;; amdgpu-corpus repo=ROCm/rocThrust kind=compiled arch=gfx1201 opt=O3
	.amdgcn_target "amdgcn-amd-amdhsa--gfx1201"
	.amdhsa_code_object_version 6
	.text
	.protected	_Z12RemoveKerneliPii    ; -- Begin function _Z12RemoveKerneliPii
	.globl	_Z12RemoveKerneliPii
	.p2align	8
	.type	_Z12RemoveKerneliPii,@function
_Z12RemoveKerneliPii:                   ; @_Z12RemoveKerneliPii
; %bb.0:
	s_mov_b32 s2, exec_lo
	v_cmpx_eq_u32_e32 0, v0
	s_cbranch_execz .LBB0_6
; %bb.1:
	s_load_b32 s4, s[0:1], 0x0
	s_wait_kmcnt 0x0
	s_cmp_eq_u32 s4, 0
	s_cbranch_scc1 .LBB0_6
; %bb.2:
	s_load_b96 s[0:2], s[0:1], 0x8
	v_mov_b32_e32 v0, 0
	s_ashr_i32 s5, s4, 31
	s_delay_alu instid0(SALU_CYCLE_1)
	s_lshl_b64 s[4:5], s[4:5], 2
	s_wait_kmcnt 0x0
	s_mov_b64 s[6:7], s[0:1]
	s_branch .LBB0_4
.LBB0_3:                                ;   in Loop: Header=BB0_4 Depth=1
	s_add_nc_u64 s[4:5], s[4:5], -4
	s_add_nc_u64 s[0:1], s[0:1], 4
	s_cmp_lg_u64 s[4:5], 0
	s_cbranch_scc0 .LBB0_6
.LBB0_4:                                ; =>This Inner Loop Header: Depth=1
	global_load_b32 v1, v0, s[0:1]
	s_wait_loadcnt 0x0
	v_cmp_eq_u32_e32 vcc_lo, s2, v1
	s_cbranch_vccnz .LBB0_3
; %bb.5:                                ;   in Loop: Header=BB0_4 Depth=1
	s_add_nc_u64 s[8:9], s[6:7], 4
	global_store_b32 v0, v1, s[6:7]
	s_mov_b64 s[6:7], s[8:9]
	s_branch .LBB0_3
.LBB0_6:
	s_endpgm
	.section	.rodata,"a",@progbits
	.p2align	6, 0x0
	.amdhsa_kernel _Z12RemoveKerneliPii
		.amdhsa_group_segment_fixed_size 0
		.amdhsa_private_segment_fixed_size 0
		.amdhsa_kernarg_size 20
		.amdhsa_user_sgpr_count 2
		.amdhsa_user_sgpr_dispatch_ptr 0
		.amdhsa_user_sgpr_queue_ptr 0
		.amdhsa_user_sgpr_kernarg_segment_ptr 1
		.amdhsa_user_sgpr_dispatch_id 0
		.amdhsa_user_sgpr_private_segment_size 0
		.amdhsa_wavefront_size32 1
		.amdhsa_uses_dynamic_stack 0
		.amdhsa_enable_private_segment 0
		.amdhsa_system_sgpr_workgroup_id_x 1
		.amdhsa_system_sgpr_workgroup_id_y 0
		.amdhsa_system_sgpr_workgroup_id_z 0
		.amdhsa_system_sgpr_workgroup_info 0
		.amdhsa_system_vgpr_workitem_id 0
		.amdhsa_next_free_vgpr 2
		.amdhsa_next_free_sgpr 10
		.amdhsa_reserve_vcc 1
		.amdhsa_float_round_mode_32 0
		.amdhsa_float_round_mode_16_64 0
		.amdhsa_float_denorm_mode_32 3
		.amdhsa_float_denorm_mode_16_64 3
		.amdhsa_fp16_overflow 0
		.amdhsa_workgroup_processor_mode 1
		.amdhsa_memory_ordered 1
		.amdhsa_forward_progress 1
		.amdhsa_inst_pref_size 2
		.amdhsa_round_robin_scheduling 0
		.amdhsa_exception_fp_ieee_invalid_op 0
		.amdhsa_exception_fp_denorm_src 0
		.amdhsa_exception_fp_ieee_div_zero 0
		.amdhsa_exception_fp_ieee_overflow 0
		.amdhsa_exception_fp_ieee_underflow 0
		.amdhsa_exception_fp_ieee_inexact 0
		.amdhsa_exception_int_div_zero 0
	.end_amdhsa_kernel
	.text
.Lfunc_end0:
	.size	_Z12RemoveKerneliPii, .Lfunc_end0-_Z12RemoveKerneliPii
                                        ; -- End function
	.set _Z12RemoveKerneliPii.num_vgpr, 2
	.set _Z12RemoveKerneliPii.num_agpr, 0
	.set _Z12RemoveKerneliPii.numbered_sgpr, 10
	.set _Z12RemoveKerneliPii.num_named_barrier, 0
	.set _Z12RemoveKerneliPii.private_seg_size, 0
	.set _Z12RemoveKerneliPii.uses_vcc, 1
	.set _Z12RemoveKerneliPii.uses_flat_scratch, 0
	.set _Z12RemoveKerneliPii.has_dyn_sized_stack, 0
	.set _Z12RemoveKerneliPii.has_recursion, 0
	.set _Z12RemoveKerneliPii.has_indirect_call, 0
	.section	.AMDGPU.csdata,"",@progbits
; Kernel info:
; codeLenInByte = 136
; TotalNumSgprs: 12
; NumVgprs: 2
; ScratchSize: 0
; MemoryBound: 0
; FloatMode: 240
; IeeeMode: 1
; LDSByteSize: 0 bytes/workgroup (compile time only)
; SGPRBlocks: 0
; VGPRBlocks: 0
; NumSGPRsForWavesPerEU: 12
; NumVGPRsForWavesPerEU: 2
; Occupancy: 16
; WaveLimiterHint : 0
; COMPUTE_PGM_RSRC2:SCRATCH_EN: 0
; COMPUTE_PGM_RSRC2:USER_SGPR: 2
; COMPUTE_PGM_RSRC2:TRAP_HANDLER: 0
; COMPUTE_PGM_RSRC2:TGID_X_EN: 1
; COMPUTE_PGM_RSRC2:TGID_Y_EN: 0
; COMPUTE_PGM_RSRC2:TGID_Z_EN: 0
; COMPUTE_PGM_RSRC2:TIDIG_COMP_CNT: 0
	.section	.text._ZN6thrust23THRUST_200600_302600_NS11hip_rocprim14__parallel_for6kernelILj256ENS1_20__uninitialized_fill7functorINS0_10device_ptrIdEEdEEmLj1EEEvT0_T1_SA_,"axG",@progbits,_ZN6thrust23THRUST_200600_302600_NS11hip_rocprim14__parallel_for6kernelILj256ENS1_20__uninitialized_fill7functorINS0_10device_ptrIdEEdEEmLj1EEEvT0_T1_SA_,comdat
	.protected	_ZN6thrust23THRUST_200600_302600_NS11hip_rocprim14__parallel_for6kernelILj256ENS1_20__uninitialized_fill7functorINS0_10device_ptrIdEEdEEmLj1EEEvT0_T1_SA_ ; -- Begin function _ZN6thrust23THRUST_200600_302600_NS11hip_rocprim14__parallel_for6kernelILj256ENS1_20__uninitialized_fill7functorINS0_10device_ptrIdEEdEEmLj1EEEvT0_T1_SA_
	.globl	_ZN6thrust23THRUST_200600_302600_NS11hip_rocprim14__parallel_for6kernelILj256ENS1_20__uninitialized_fill7functorINS0_10device_ptrIdEEdEEmLj1EEEvT0_T1_SA_
	.p2align	8
	.type	_ZN6thrust23THRUST_200600_302600_NS11hip_rocprim14__parallel_for6kernelILj256ENS1_20__uninitialized_fill7functorINS0_10device_ptrIdEEdEEmLj1EEEvT0_T1_SA_,@function
_ZN6thrust23THRUST_200600_302600_NS11hip_rocprim14__parallel_for6kernelILj256ENS1_20__uninitialized_fill7functorINS0_10device_ptrIdEEdEEmLj1EEEvT0_T1_SA_: ; @_ZN6thrust23THRUST_200600_302600_NS11hip_rocprim14__parallel_for6kernelILj256ENS1_20__uninitialized_fill7functorINS0_10device_ptrIdEEdEEmLj1EEEvT0_T1_SA_
; %bb.0:
	s_load_b256 s[0:7], s[0:1], 0x0
	s_lshl_b32 s8, ttmp9, 8
	s_mov_b32 s9, 0
	s_wait_kmcnt 0x0
	s_add_nc_u64 s[6:7], s[6:7], s[8:9]
	s_delay_alu instid0(SALU_CYCLE_1) | instskip(NEXT) | instid1(SALU_CYCLE_1)
	s_sub_nc_u64 s[4:5], s[4:5], s[6:7]
	v_cmp_lt_u64_e64 s5, 0xff, s[4:5]
	s_and_b32 vcc_lo, exec_lo, s5
	s_mov_b32 s5, -1
	s_cbranch_vccz .LBB1_3
; %bb.1:
	s_wait_alu 0xfffe
	s_and_not1_b32 vcc_lo, exec_lo, s5
	s_cbranch_vccz .LBB1_6
.LBB1_2:
	s_endpgm
.LBB1_3:
	v_cmp_gt_u32_e32 vcc_lo, s4, v0
	s_and_saveexec_b32 s4, vcc_lo
	s_cbranch_execz .LBB1_5
; %bb.4:
	v_dual_mov_b32 v4, s3 :: v_dual_lshlrev_b32 v1, 3, v0
	s_lshl_b64 s[8:9], s[6:7], 3
	v_mov_b32_e32 v3, s2
	s_add_nc_u64 s[8:9], s[0:1], s[8:9]
	s_delay_alu instid0(VALU_DEP_2) | instid1(SALU_CYCLE_1)
	v_add_co_u32 v1, s5, s8, v1
	s_wait_alu 0xf1fe
	v_add_co_ci_u32_e64 v2, null, s9, 0, s5
	flat_store_b64 v[1:2], v[3:4]
.LBB1_5:
	s_wait_alu 0xfffe
	s_or_b32 exec_lo, exec_lo, s4
	s_cbranch_execnz .LBB1_2
.LBB1_6:
	v_lshlrev_b32_e32 v0, 3, v0
	s_lshl_b64 s[4:5], s[6:7], 3
	v_mov_b32_e32 v2, s2
	s_wait_alu 0xfffe
	s_add_nc_u64 s[0:1], s[0:1], s[4:5]
	v_mov_b32_e32 v3, s3
	v_add_co_u32 v0, s0, s0, v0
	s_wait_alu 0xf1ff
	v_add_co_ci_u32_e64 v1, null, s1, 0, s0
	flat_store_b64 v[0:1], v[2:3]
	s_endpgm
	.section	.rodata,"a",@progbits
	.p2align	6, 0x0
	.amdhsa_kernel _ZN6thrust23THRUST_200600_302600_NS11hip_rocprim14__parallel_for6kernelILj256ENS1_20__uninitialized_fill7functorINS0_10device_ptrIdEEdEEmLj1EEEvT0_T1_SA_
		.amdhsa_group_segment_fixed_size 0
		.amdhsa_private_segment_fixed_size 0
		.amdhsa_kernarg_size 32
		.amdhsa_user_sgpr_count 2
		.amdhsa_user_sgpr_dispatch_ptr 0
		.amdhsa_user_sgpr_queue_ptr 0
		.amdhsa_user_sgpr_kernarg_segment_ptr 1
		.amdhsa_user_sgpr_dispatch_id 0
		.amdhsa_user_sgpr_private_segment_size 0
		.amdhsa_wavefront_size32 1
		.amdhsa_uses_dynamic_stack 0
		.amdhsa_enable_private_segment 0
		.amdhsa_system_sgpr_workgroup_id_x 1
		.amdhsa_system_sgpr_workgroup_id_y 0
		.amdhsa_system_sgpr_workgroup_id_z 0
		.amdhsa_system_sgpr_workgroup_info 0
		.amdhsa_system_vgpr_workitem_id 0
		.amdhsa_next_free_vgpr 5
		.amdhsa_next_free_sgpr 10
		.amdhsa_reserve_vcc 1
		.amdhsa_float_round_mode_32 0
		.amdhsa_float_round_mode_16_64 0
		.amdhsa_float_denorm_mode_32 3
		.amdhsa_float_denorm_mode_16_64 3
		.amdhsa_fp16_overflow 0
		.amdhsa_workgroup_processor_mode 1
		.amdhsa_memory_ordered 1
		.amdhsa_forward_progress 1
		.amdhsa_inst_pref_size 2
		.amdhsa_round_robin_scheduling 0
		.amdhsa_exception_fp_ieee_invalid_op 0
		.amdhsa_exception_fp_denorm_src 0
		.amdhsa_exception_fp_ieee_div_zero 0
		.amdhsa_exception_fp_ieee_overflow 0
		.amdhsa_exception_fp_ieee_underflow 0
		.amdhsa_exception_fp_ieee_inexact 0
		.amdhsa_exception_int_div_zero 0
	.end_amdhsa_kernel
	.section	.text._ZN6thrust23THRUST_200600_302600_NS11hip_rocprim14__parallel_for6kernelILj256ENS1_20__uninitialized_fill7functorINS0_10device_ptrIdEEdEEmLj1EEEvT0_T1_SA_,"axG",@progbits,_ZN6thrust23THRUST_200600_302600_NS11hip_rocprim14__parallel_for6kernelILj256ENS1_20__uninitialized_fill7functorINS0_10device_ptrIdEEdEEmLj1EEEvT0_T1_SA_,comdat
.Lfunc_end1:
	.size	_ZN6thrust23THRUST_200600_302600_NS11hip_rocprim14__parallel_for6kernelILj256ENS1_20__uninitialized_fill7functorINS0_10device_ptrIdEEdEEmLj1EEEvT0_T1_SA_, .Lfunc_end1-_ZN6thrust23THRUST_200600_302600_NS11hip_rocprim14__parallel_for6kernelILj256ENS1_20__uninitialized_fill7functorINS0_10device_ptrIdEEdEEmLj1EEEvT0_T1_SA_
                                        ; -- End function
	.set _ZN6thrust23THRUST_200600_302600_NS11hip_rocprim14__parallel_for6kernelILj256ENS1_20__uninitialized_fill7functorINS0_10device_ptrIdEEdEEmLj1EEEvT0_T1_SA_.num_vgpr, 5
	.set _ZN6thrust23THRUST_200600_302600_NS11hip_rocprim14__parallel_for6kernelILj256ENS1_20__uninitialized_fill7functorINS0_10device_ptrIdEEdEEmLj1EEEvT0_T1_SA_.num_agpr, 0
	.set _ZN6thrust23THRUST_200600_302600_NS11hip_rocprim14__parallel_for6kernelILj256ENS1_20__uninitialized_fill7functorINS0_10device_ptrIdEEdEEmLj1EEEvT0_T1_SA_.numbered_sgpr, 10
	.set _ZN6thrust23THRUST_200600_302600_NS11hip_rocprim14__parallel_for6kernelILj256ENS1_20__uninitialized_fill7functorINS0_10device_ptrIdEEdEEmLj1EEEvT0_T1_SA_.num_named_barrier, 0
	.set _ZN6thrust23THRUST_200600_302600_NS11hip_rocprim14__parallel_for6kernelILj256ENS1_20__uninitialized_fill7functorINS0_10device_ptrIdEEdEEmLj1EEEvT0_T1_SA_.private_seg_size, 0
	.set _ZN6thrust23THRUST_200600_302600_NS11hip_rocprim14__parallel_for6kernelILj256ENS1_20__uninitialized_fill7functorINS0_10device_ptrIdEEdEEmLj1EEEvT0_T1_SA_.uses_vcc, 1
	.set _ZN6thrust23THRUST_200600_302600_NS11hip_rocprim14__parallel_for6kernelILj256ENS1_20__uninitialized_fill7functorINS0_10device_ptrIdEEdEEmLj1EEEvT0_T1_SA_.uses_flat_scratch, 0
	.set _ZN6thrust23THRUST_200600_302600_NS11hip_rocprim14__parallel_for6kernelILj256ENS1_20__uninitialized_fill7functorINS0_10device_ptrIdEEdEEmLj1EEEvT0_T1_SA_.has_dyn_sized_stack, 0
	.set _ZN6thrust23THRUST_200600_302600_NS11hip_rocprim14__parallel_for6kernelILj256ENS1_20__uninitialized_fill7functorINS0_10device_ptrIdEEdEEmLj1EEEvT0_T1_SA_.has_recursion, 0
	.set _ZN6thrust23THRUST_200600_302600_NS11hip_rocprim14__parallel_for6kernelILj256ENS1_20__uninitialized_fill7functorINS0_10device_ptrIdEEdEEmLj1EEEvT0_T1_SA_.has_indirect_call, 0
	.section	.AMDGPU.csdata,"",@progbits
; Kernel info:
; codeLenInByte = 212
; TotalNumSgprs: 12
; NumVgprs: 5
; ScratchSize: 0
; MemoryBound: 0
; FloatMode: 240
; IeeeMode: 1
; LDSByteSize: 0 bytes/workgroup (compile time only)
; SGPRBlocks: 0
; VGPRBlocks: 0
; NumSGPRsForWavesPerEU: 12
; NumVGPRsForWavesPerEU: 5
; Occupancy: 16
; WaveLimiterHint : 0
; COMPUTE_PGM_RSRC2:SCRATCH_EN: 0
; COMPUTE_PGM_RSRC2:USER_SGPR: 2
; COMPUTE_PGM_RSRC2:TRAP_HANDLER: 0
; COMPUTE_PGM_RSRC2:TGID_X_EN: 1
; COMPUTE_PGM_RSRC2:TGID_Y_EN: 0
; COMPUTE_PGM_RSRC2:TGID_Z_EN: 0
; COMPUTE_PGM_RSRC2:TIDIG_COMP_CNT: 0
	.section	.text._ZN7rocprim17ROCPRIM_400000_NS6detail31init_lookback_scan_state_kernelINS1_19lookback_scan_stateImLb0ELb1EEENS1_16block_id_wrapperIjLb0EEEEEvT_jT0_jPNS7_10value_typeE,"axG",@progbits,_ZN7rocprim17ROCPRIM_400000_NS6detail31init_lookback_scan_state_kernelINS1_19lookback_scan_stateImLb0ELb1EEENS1_16block_id_wrapperIjLb0EEEEEvT_jT0_jPNS7_10value_typeE,comdat
	.protected	_ZN7rocprim17ROCPRIM_400000_NS6detail31init_lookback_scan_state_kernelINS1_19lookback_scan_stateImLb0ELb1EEENS1_16block_id_wrapperIjLb0EEEEEvT_jT0_jPNS7_10value_typeE ; -- Begin function _ZN7rocprim17ROCPRIM_400000_NS6detail31init_lookback_scan_state_kernelINS1_19lookback_scan_stateImLb0ELb1EEENS1_16block_id_wrapperIjLb0EEEEEvT_jT0_jPNS7_10value_typeE
	.globl	_ZN7rocprim17ROCPRIM_400000_NS6detail31init_lookback_scan_state_kernelINS1_19lookback_scan_stateImLb0ELb1EEENS1_16block_id_wrapperIjLb0EEEEEvT_jT0_jPNS7_10value_typeE
	.p2align	8
	.type	_ZN7rocprim17ROCPRIM_400000_NS6detail31init_lookback_scan_state_kernelINS1_19lookback_scan_stateImLb0ELb1EEENS1_16block_id_wrapperIjLb0EEEEEvT_jT0_jPNS7_10value_typeE,@function
_ZN7rocprim17ROCPRIM_400000_NS6detail31init_lookback_scan_state_kernelINS1_19lookback_scan_stateImLb0ELb1EEENS1_16block_id_wrapperIjLb0EEEEEvT_jT0_jPNS7_10value_typeE: ; @_ZN7rocprim17ROCPRIM_400000_NS6detail31init_lookback_scan_state_kernelINS1_19lookback_scan_stateImLb0ELb1EEENS1_16block_id_wrapperIjLb0EEEEEvT_jT0_jPNS7_10value_typeE
; %bb.0:
	s_clause 0x2
	s_load_b32 s7, s[0:1], 0x2c
	s_load_b64 s[2:3], s[0:1], 0x18
	s_load_b96 s[4:6], s[0:1], 0x0
	s_wait_kmcnt 0x0
	s_and_b32 s7, s7, 0xffff
	s_cmp_eq_u64 s[2:3], 0
	v_mad_co_u64_u32 v[0:1], null, ttmp9, s7, v[0:1]
	s_cbranch_scc1 .LBB2_8
; %bb.1:
	s_load_b32 s0, s[0:1], 0x10
	s_wait_kmcnt 0x0
	s_cmp_lt_u32 s0, s6
	s_cselect_b32 s1, s0, 0
	s_wait_alu 0xfffe
	v_cmp_eq_u32_e32 vcc_lo, s1, v0
	s_mov_b32 s1, 0
	s_and_saveexec_b32 s7, vcc_lo
	s_cbranch_execz .LBB2_7
; %bb.2:
	s_add_co_i32 s0, s0, 32
	s_mov_b32 s8, exec_lo
	s_wait_alu 0xfffe
	s_lshl_b64 s[0:1], s[0:1], 4
	v_mov_b32_e32 v5, 0
	s_wait_alu 0xfffe
	s_add_nc_u64 s[0:1], s[4:5], s[0:1]
	s_wait_alu 0xfffe
	v_dual_mov_b32 v2, s1 :: v_dual_mov_b32 v1, s0
	;;#ASMSTART
	global_load_b128 v[1:4], v[1:2] off scope:SCOPE_DEV	
s_wait_loadcnt 0x0
	;;#ASMEND
	v_and_b32_e32 v4, 0xff, v3
	s_delay_alu instid0(VALU_DEP_1)
	v_cmpx_eq_u64_e32 0, v[4:5]
	s_cbranch_execz .LBB2_6
; %bb.3:
	v_dual_mov_b32 v7, s1 :: v_dual_mov_b32 v6, s0
	s_mov_b32 s0, 0
.LBB2_4:                                ; =>This Inner Loop Header: Depth=1
	;;#ASMSTART
	global_load_b128 v[1:4], v[6:7] off scope:SCOPE_DEV	
s_wait_loadcnt 0x0
	;;#ASMEND
	v_and_b32_e32 v4, 0xff, v3
	s_delay_alu instid0(VALU_DEP_1)
	v_cmp_ne_u64_e32 vcc_lo, 0, v[4:5]
	s_wait_alu 0xfffe
	s_or_b32 s0, vcc_lo, s0
	s_wait_alu 0xfffe
	s_and_not1_b32 exec_lo, exec_lo, s0
	s_cbranch_execnz .LBB2_4
; %bb.5:
	s_or_b32 exec_lo, exec_lo, s0
.LBB2_6:
	s_delay_alu instid0(SALU_CYCLE_1)
	s_or_b32 exec_lo, exec_lo, s8
	v_mov_b32_e32 v3, 0
	global_store_b64 v3, v[1:2], s[2:3]
.LBB2_7:
	s_wait_alu 0xfffe
	s_or_b32 exec_lo, exec_lo, s7
.LBB2_8:
	s_delay_alu instid0(SALU_CYCLE_1)
	s_mov_b32 s0, exec_lo
	v_cmpx_gt_u32_e64 s6, v0
	s_cbranch_execz .LBB2_10
; %bb.9:
	v_dual_mov_b32 v2, 0 :: v_dual_add_nc_u32 v1, 32, v0
	s_delay_alu instid0(VALU_DEP_1) | instskip(SKIP_2) | instid1(VALU_DEP_3)
	v_lshlrev_b64_e32 v[4:5], 4, v[1:2]
	v_mov_b32_e32 v1, v2
	v_mov_b32_e32 v3, v2
	v_add_co_u32 v6, vcc_lo, s4, v4
	s_delay_alu instid0(VALU_DEP_1)
	v_add_co_ci_u32_e64 v7, null, s5, v5, vcc_lo
	v_mov_b32_e32 v4, v2
	global_store_b128 v[6:7], v[1:4], off
.LBB2_10:
	s_wait_alu 0xfffe
	s_or_b32 exec_lo, exec_lo, s0
	s_delay_alu instid0(SALU_CYCLE_1)
	s_mov_b32 s0, exec_lo
	v_cmpx_gt_u32_e32 32, v0
	s_cbranch_execz .LBB2_12
; %bb.11:
	v_dual_mov_b32 v1, 0 :: v_dual_mov_b32 v2, 0xff
	s_delay_alu instid0(VALU_DEP_1) | instskip(SKIP_1) | instid1(VALU_DEP_2)
	v_lshlrev_b64_e32 v[3:4], 4, v[0:1]
	v_mov_b32_e32 v0, v1
	v_add_co_u32 v5, vcc_lo, s4, v3
	s_wait_alu 0xfffd
	s_delay_alu instid0(VALU_DEP_3)
	v_add_co_ci_u32_e64 v6, null, s5, v4, vcc_lo
	v_mov_b32_e32 v3, v1
	global_store_b128 v[5:6], v[0:3], off
.LBB2_12:
	s_endpgm
	.section	.rodata,"a",@progbits
	.p2align	6, 0x0
	.amdhsa_kernel _ZN7rocprim17ROCPRIM_400000_NS6detail31init_lookback_scan_state_kernelINS1_19lookback_scan_stateImLb0ELb1EEENS1_16block_id_wrapperIjLb0EEEEEvT_jT0_jPNS7_10value_typeE
		.amdhsa_group_segment_fixed_size 0
		.amdhsa_private_segment_fixed_size 0
		.amdhsa_kernarg_size 288
		.amdhsa_user_sgpr_count 2
		.amdhsa_user_sgpr_dispatch_ptr 0
		.amdhsa_user_sgpr_queue_ptr 0
		.amdhsa_user_sgpr_kernarg_segment_ptr 1
		.amdhsa_user_sgpr_dispatch_id 0
		.amdhsa_user_sgpr_private_segment_size 0
		.amdhsa_wavefront_size32 1
		.amdhsa_uses_dynamic_stack 0
		.amdhsa_enable_private_segment 0
		.amdhsa_system_sgpr_workgroup_id_x 1
		.amdhsa_system_sgpr_workgroup_id_y 0
		.amdhsa_system_sgpr_workgroup_id_z 0
		.amdhsa_system_sgpr_workgroup_info 0
		.amdhsa_system_vgpr_workitem_id 0
		.amdhsa_next_free_vgpr 8
		.amdhsa_next_free_sgpr 9
		.amdhsa_reserve_vcc 1
		.amdhsa_float_round_mode_32 0
		.amdhsa_float_round_mode_16_64 0
		.amdhsa_float_denorm_mode_32 3
		.amdhsa_float_denorm_mode_16_64 3
		.amdhsa_fp16_overflow 0
		.amdhsa_workgroup_processor_mode 1
		.amdhsa_memory_ordered 1
		.amdhsa_forward_progress 1
		.amdhsa_inst_pref_size 4
		.amdhsa_round_robin_scheduling 0
		.amdhsa_exception_fp_ieee_invalid_op 0
		.amdhsa_exception_fp_denorm_src 0
		.amdhsa_exception_fp_ieee_div_zero 0
		.amdhsa_exception_fp_ieee_overflow 0
		.amdhsa_exception_fp_ieee_underflow 0
		.amdhsa_exception_fp_ieee_inexact 0
		.amdhsa_exception_int_div_zero 0
	.end_amdhsa_kernel
	.section	.text._ZN7rocprim17ROCPRIM_400000_NS6detail31init_lookback_scan_state_kernelINS1_19lookback_scan_stateImLb0ELb1EEENS1_16block_id_wrapperIjLb0EEEEEvT_jT0_jPNS7_10value_typeE,"axG",@progbits,_ZN7rocprim17ROCPRIM_400000_NS6detail31init_lookback_scan_state_kernelINS1_19lookback_scan_stateImLb0ELb1EEENS1_16block_id_wrapperIjLb0EEEEEvT_jT0_jPNS7_10value_typeE,comdat
.Lfunc_end2:
	.size	_ZN7rocprim17ROCPRIM_400000_NS6detail31init_lookback_scan_state_kernelINS1_19lookback_scan_stateImLb0ELb1EEENS1_16block_id_wrapperIjLb0EEEEEvT_jT0_jPNS7_10value_typeE, .Lfunc_end2-_ZN7rocprim17ROCPRIM_400000_NS6detail31init_lookback_scan_state_kernelINS1_19lookback_scan_stateImLb0ELb1EEENS1_16block_id_wrapperIjLb0EEEEEvT_jT0_jPNS7_10value_typeE
                                        ; -- End function
	.set _ZN7rocprim17ROCPRIM_400000_NS6detail31init_lookback_scan_state_kernelINS1_19lookback_scan_stateImLb0ELb1EEENS1_16block_id_wrapperIjLb0EEEEEvT_jT0_jPNS7_10value_typeE.num_vgpr, 8
	.set _ZN7rocprim17ROCPRIM_400000_NS6detail31init_lookback_scan_state_kernelINS1_19lookback_scan_stateImLb0ELb1EEENS1_16block_id_wrapperIjLb0EEEEEvT_jT0_jPNS7_10value_typeE.num_agpr, 0
	.set _ZN7rocprim17ROCPRIM_400000_NS6detail31init_lookback_scan_state_kernelINS1_19lookback_scan_stateImLb0ELb1EEENS1_16block_id_wrapperIjLb0EEEEEvT_jT0_jPNS7_10value_typeE.numbered_sgpr, 9
	.set _ZN7rocprim17ROCPRIM_400000_NS6detail31init_lookback_scan_state_kernelINS1_19lookback_scan_stateImLb0ELb1EEENS1_16block_id_wrapperIjLb0EEEEEvT_jT0_jPNS7_10value_typeE.num_named_barrier, 0
	.set _ZN7rocprim17ROCPRIM_400000_NS6detail31init_lookback_scan_state_kernelINS1_19lookback_scan_stateImLb0ELb1EEENS1_16block_id_wrapperIjLb0EEEEEvT_jT0_jPNS7_10value_typeE.private_seg_size, 0
	.set _ZN7rocprim17ROCPRIM_400000_NS6detail31init_lookback_scan_state_kernelINS1_19lookback_scan_stateImLb0ELb1EEENS1_16block_id_wrapperIjLb0EEEEEvT_jT0_jPNS7_10value_typeE.uses_vcc, 1
	.set _ZN7rocprim17ROCPRIM_400000_NS6detail31init_lookback_scan_state_kernelINS1_19lookback_scan_stateImLb0ELb1EEENS1_16block_id_wrapperIjLb0EEEEEvT_jT0_jPNS7_10value_typeE.uses_flat_scratch, 0
	.set _ZN7rocprim17ROCPRIM_400000_NS6detail31init_lookback_scan_state_kernelINS1_19lookback_scan_stateImLb0ELb1EEENS1_16block_id_wrapperIjLb0EEEEEvT_jT0_jPNS7_10value_typeE.has_dyn_sized_stack, 0
	.set _ZN7rocprim17ROCPRIM_400000_NS6detail31init_lookback_scan_state_kernelINS1_19lookback_scan_stateImLb0ELb1EEENS1_16block_id_wrapperIjLb0EEEEEvT_jT0_jPNS7_10value_typeE.has_recursion, 0
	.set _ZN7rocprim17ROCPRIM_400000_NS6detail31init_lookback_scan_state_kernelINS1_19lookback_scan_stateImLb0ELb1EEENS1_16block_id_wrapperIjLb0EEEEEvT_jT0_jPNS7_10value_typeE.has_indirect_call, 0
	.section	.AMDGPU.csdata,"",@progbits
; Kernel info:
; codeLenInByte = 412
; TotalNumSgprs: 11
; NumVgprs: 8
; ScratchSize: 0
; MemoryBound: 0
; FloatMode: 240
; IeeeMode: 1
; LDSByteSize: 0 bytes/workgroup (compile time only)
; SGPRBlocks: 0
; VGPRBlocks: 0
; NumSGPRsForWavesPerEU: 11
; NumVGPRsForWavesPerEU: 8
; Occupancy: 16
; WaveLimiterHint : 0
; COMPUTE_PGM_RSRC2:SCRATCH_EN: 0
; COMPUTE_PGM_RSRC2:USER_SGPR: 2
; COMPUTE_PGM_RSRC2:TRAP_HANDLER: 0
; COMPUTE_PGM_RSRC2:TGID_X_EN: 1
; COMPUTE_PGM_RSRC2:TGID_Y_EN: 0
; COMPUTE_PGM_RSRC2:TGID_Z_EN: 0
; COMPUTE_PGM_RSRC2:TIDIG_COMP_CNT: 0
	.section	.text._ZN7rocprim17ROCPRIM_400000_NS6detail17trampoline_kernelINS0_14default_configENS1_25partition_config_selectorILNS1_17partition_subalgoE6EdNS0_10empty_typeEbEEZZNS1_14partition_implILS5_6ELb0ES3_mN6thrust23THRUST_200600_302600_NS6detail15normal_iteratorINSA_10device_ptrIdEEEEPS6_SG_NS0_5tupleIJSF_S6_EEENSH_IJSG_SG_EEES6_PlJNSB_9not_fun_tINSB_10functional5actorINSM_9compositeIJNSM_27transparent_binary_operatorINSA_8equal_toIvEEEENSN_INSM_8argumentILj0EEEEENSM_5valueIdEEEEEEEEEEEE10hipError_tPvRmT3_T4_T5_T6_T7_T9_mT8_P12ihipStream_tbDpT10_ENKUlT_T0_E_clISt17integral_constantIbLb0EES1K_EEDaS1F_S1G_EUlS1F_E_NS1_11comp_targetILNS1_3genE0ELNS1_11target_archE4294967295ELNS1_3gpuE0ELNS1_3repE0EEENS1_30default_config_static_selectorELNS0_4arch9wavefront6targetE0EEEvT1_,"axG",@progbits,_ZN7rocprim17ROCPRIM_400000_NS6detail17trampoline_kernelINS0_14default_configENS1_25partition_config_selectorILNS1_17partition_subalgoE6EdNS0_10empty_typeEbEEZZNS1_14partition_implILS5_6ELb0ES3_mN6thrust23THRUST_200600_302600_NS6detail15normal_iteratorINSA_10device_ptrIdEEEEPS6_SG_NS0_5tupleIJSF_S6_EEENSH_IJSG_SG_EEES6_PlJNSB_9not_fun_tINSB_10functional5actorINSM_9compositeIJNSM_27transparent_binary_operatorINSA_8equal_toIvEEEENSN_INSM_8argumentILj0EEEEENSM_5valueIdEEEEEEEEEEEE10hipError_tPvRmT3_T4_T5_T6_T7_T9_mT8_P12ihipStream_tbDpT10_ENKUlT_T0_E_clISt17integral_constantIbLb0EES1K_EEDaS1F_S1G_EUlS1F_E_NS1_11comp_targetILNS1_3genE0ELNS1_11target_archE4294967295ELNS1_3gpuE0ELNS1_3repE0EEENS1_30default_config_static_selectorELNS0_4arch9wavefront6targetE0EEEvT1_,comdat
	.protected	_ZN7rocprim17ROCPRIM_400000_NS6detail17trampoline_kernelINS0_14default_configENS1_25partition_config_selectorILNS1_17partition_subalgoE6EdNS0_10empty_typeEbEEZZNS1_14partition_implILS5_6ELb0ES3_mN6thrust23THRUST_200600_302600_NS6detail15normal_iteratorINSA_10device_ptrIdEEEEPS6_SG_NS0_5tupleIJSF_S6_EEENSH_IJSG_SG_EEES6_PlJNSB_9not_fun_tINSB_10functional5actorINSM_9compositeIJNSM_27transparent_binary_operatorINSA_8equal_toIvEEEENSN_INSM_8argumentILj0EEEEENSM_5valueIdEEEEEEEEEEEE10hipError_tPvRmT3_T4_T5_T6_T7_T9_mT8_P12ihipStream_tbDpT10_ENKUlT_T0_E_clISt17integral_constantIbLb0EES1K_EEDaS1F_S1G_EUlS1F_E_NS1_11comp_targetILNS1_3genE0ELNS1_11target_archE4294967295ELNS1_3gpuE0ELNS1_3repE0EEENS1_30default_config_static_selectorELNS0_4arch9wavefront6targetE0EEEvT1_ ; -- Begin function _ZN7rocprim17ROCPRIM_400000_NS6detail17trampoline_kernelINS0_14default_configENS1_25partition_config_selectorILNS1_17partition_subalgoE6EdNS0_10empty_typeEbEEZZNS1_14partition_implILS5_6ELb0ES3_mN6thrust23THRUST_200600_302600_NS6detail15normal_iteratorINSA_10device_ptrIdEEEEPS6_SG_NS0_5tupleIJSF_S6_EEENSH_IJSG_SG_EEES6_PlJNSB_9not_fun_tINSB_10functional5actorINSM_9compositeIJNSM_27transparent_binary_operatorINSA_8equal_toIvEEEENSN_INSM_8argumentILj0EEEEENSM_5valueIdEEEEEEEEEEEE10hipError_tPvRmT3_T4_T5_T6_T7_T9_mT8_P12ihipStream_tbDpT10_ENKUlT_T0_E_clISt17integral_constantIbLb0EES1K_EEDaS1F_S1G_EUlS1F_E_NS1_11comp_targetILNS1_3genE0ELNS1_11target_archE4294967295ELNS1_3gpuE0ELNS1_3repE0EEENS1_30default_config_static_selectorELNS0_4arch9wavefront6targetE0EEEvT1_
	.globl	_ZN7rocprim17ROCPRIM_400000_NS6detail17trampoline_kernelINS0_14default_configENS1_25partition_config_selectorILNS1_17partition_subalgoE6EdNS0_10empty_typeEbEEZZNS1_14partition_implILS5_6ELb0ES3_mN6thrust23THRUST_200600_302600_NS6detail15normal_iteratorINSA_10device_ptrIdEEEEPS6_SG_NS0_5tupleIJSF_S6_EEENSH_IJSG_SG_EEES6_PlJNSB_9not_fun_tINSB_10functional5actorINSM_9compositeIJNSM_27transparent_binary_operatorINSA_8equal_toIvEEEENSN_INSM_8argumentILj0EEEEENSM_5valueIdEEEEEEEEEEEE10hipError_tPvRmT3_T4_T5_T6_T7_T9_mT8_P12ihipStream_tbDpT10_ENKUlT_T0_E_clISt17integral_constantIbLb0EES1K_EEDaS1F_S1G_EUlS1F_E_NS1_11comp_targetILNS1_3genE0ELNS1_11target_archE4294967295ELNS1_3gpuE0ELNS1_3repE0EEENS1_30default_config_static_selectorELNS0_4arch9wavefront6targetE0EEEvT1_
	.p2align	8
	.type	_ZN7rocprim17ROCPRIM_400000_NS6detail17trampoline_kernelINS0_14default_configENS1_25partition_config_selectorILNS1_17partition_subalgoE6EdNS0_10empty_typeEbEEZZNS1_14partition_implILS5_6ELb0ES3_mN6thrust23THRUST_200600_302600_NS6detail15normal_iteratorINSA_10device_ptrIdEEEEPS6_SG_NS0_5tupleIJSF_S6_EEENSH_IJSG_SG_EEES6_PlJNSB_9not_fun_tINSB_10functional5actorINSM_9compositeIJNSM_27transparent_binary_operatorINSA_8equal_toIvEEEENSN_INSM_8argumentILj0EEEEENSM_5valueIdEEEEEEEEEEEE10hipError_tPvRmT3_T4_T5_T6_T7_T9_mT8_P12ihipStream_tbDpT10_ENKUlT_T0_E_clISt17integral_constantIbLb0EES1K_EEDaS1F_S1G_EUlS1F_E_NS1_11comp_targetILNS1_3genE0ELNS1_11target_archE4294967295ELNS1_3gpuE0ELNS1_3repE0EEENS1_30default_config_static_selectorELNS0_4arch9wavefront6targetE0EEEvT1_,@function
_ZN7rocprim17ROCPRIM_400000_NS6detail17trampoline_kernelINS0_14default_configENS1_25partition_config_selectorILNS1_17partition_subalgoE6EdNS0_10empty_typeEbEEZZNS1_14partition_implILS5_6ELb0ES3_mN6thrust23THRUST_200600_302600_NS6detail15normal_iteratorINSA_10device_ptrIdEEEEPS6_SG_NS0_5tupleIJSF_S6_EEENSH_IJSG_SG_EEES6_PlJNSB_9not_fun_tINSB_10functional5actorINSM_9compositeIJNSM_27transparent_binary_operatorINSA_8equal_toIvEEEENSN_INSM_8argumentILj0EEEEENSM_5valueIdEEEEEEEEEEEE10hipError_tPvRmT3_T4_T5_T6_T7_T9_mT8_P12ihipStream_tbDpT10_ENKUlT_T0_E_clISt17integral_constantIbLb0EES1K_EEDaS1F_S1G_EUlS1F_E_NS1_11comp_targetILNS1_3genE0ELNS1_11target_archE4294967295ELNS1_3gpuE0ELNS1_3repE0EEENS1_30default_config_static_selectorELNS0_4arch9wavefront6targetE0EEEvT1_: ; @_ZN7rocprim17ROCPRIM_400000_NS6detail17trampoline_kernelINS0_14default_configENS1_25partition_config_selectorILNS1_17partition_subalgoE6EdNS0_10empty_typeEbEEZZNS1_14partition_implILS5_6ELb0ES3_mN6thrust23THRUST_200600_302600_NS6detail15normal_iteratorINSA_10device_ptrIdEEEEPS6_SG_NS0_5tupleIJSF_S6_EEENSH_IJSG_SG_EEES6_PlJNSB_9not_fun_tINSB_10functional5actorINSM_9compositeIJNSM_27transparent_binary_operatorINSA_8equal_toIvEEEENSN_INSM_8argumentILj0EEEEENSM_5valueIdEEEEEEEEEEEE10hipError_tPvRmT3_T4_T5_T6_T7_T9_mT8_P12ihipStream_tbDpT10_ENKUlT_T0_E_clISt17integral_constantIbLb0EES1K_EEDaS1F_S1G_EUlS1F_E_NS1_11comp_targetILNS1_3genE0ELNS1_11target_archE4294967295ELNS1_3gpuE0ELNS1_3repE0EEENS1_30default_config_static_selectorELNS0_4arch9wavefront6targetE0EEEvT1_
; %bb.0:
	.section	.rodata,"a",@progbits
	.p2align	6, 0x0
	.amdhsa_kernel _ZN7rocprim17ROCPRIM_400000_NS6detail17trampoline_kernelINS0_14default_configENS1_25partition_config_selectorILNS1_17partition_subalgoE6EdNS0_10empty_typeEbEEZZNS1_14partition_implILS5_6ELb0ES3_mN6thrust23THRUST_200600_302600_NS6detail15normal_iteratorINSA_10device_ptrIdEEEEPS6_SG_NS0_5tupleIJSF_S6_EEENSH_IJSG_SG_EEES6_PlJNSB_9not_fun_tINSB_10functional5actorINSM_9compositeIJNSM_27transparent_binary_operatorINSA_8equal_toIvEEEENSN_INSM_8argumentILj0EEEEENSM_5valueIdEEEEEEEEEEEE10hipError_tPvRmT3_T4_T5_T6_T7_T9_mT8_P12ihipStream_tbDpT10_ENKUlT_T0_E_clISt17integral_constantIbLb0EES1K_EEDaS1F_S1G_EUlS1F_E_NS1_11comp_targetILNS1_3genE0ELNS1_11target_archE4294967295ELNS1_3gpuE0ELNS1_3repE0EEENS1_30default_config_static_selectorELNS0_4arch9wavefront6targetE0EEEvT1_
		.amdhsa_group_segment_fixed_size 0
		.amdhsa_private_segment_fixed_size 0
		.amdhsa_kernarg_size 128
		.amdhsa_user_sgpr_count 2
		.amdhsa_user_sgpr_dispatch_ptr 0
		.amdhsa_user_sgpr_queue_ptr 0
		.amdhsa_user_sgpr_kernarg_segment_ptr 1
		.amdhsa_user_sgpr_dispatch_id 0
		.amdhsa_user_sgpr_private_segment_size 0
		.amdhsa_wavefront_size32 1
		.amdhsa_uses_dynamic_stack 0
		.amdhsa_enable_private_segment 0
		.amdhsa_system_sgpr_workgroup_id_x 1
		.amdhsa_system_sgpr_workgroup_id_y 0
		.amdhsa_system_sgpr_workgroup_id_z 0
		.amdhsa_system_sgpr_workgroup_info 0
		.amdhsa_system_vgpr_workitem_id 0
		.amdhsa_next_free_vgpr 1
		.amdhsa_next_free_sgpr 1
		.amdhsa_reserve_vcc 0
		.amdhsa_float_round_mode_32 0
		.amdhsa_float_round_mode_16_64 0
		.amdhsa_float_denorm_mode_32 3
		.amdhsa_float_denorm_mode_16_64 3
		.amdhsa_fp16_overflow 0
		.amdhsa_workgroup_processor_mode 1
		.amdhsa_memory_ordered 1
		.amdhsa_forward_progress 1
		.amdhsa_inst_pref_size 0
		.amdhsa_round_robin_scheduling 0
		.amdhsa_exception_fp_ieee_invalid_op 0
		.amdhsa_exception_fp_denorm_src 0
		.amdhsa_exception_fp_ieee_div_zero 0
		.amdhsa_exception_fp_ieee_overflow 0
		.amdhsa_exception_fp_ieee_underflow 0
		.amdhsa_exception_fp_ieee_inexact 0
		.amdhsa_exception_int_div_zero 0
	.end_amdhsa_kernel
	.section	.text._ZN7rocprim17ROCPRIM_400000_NS6detail17trampoline_kernelINS0_14default_configENS1_25partition_config_selectorILNS1_17partition_subalgoE6EdNS0_10empty_typeEbEEZZNS1_14partition_implILS5_6ELb0ES3_mN6thrust23THRUST_200600_302600_NS6detail15normal_iteratorINSA_10device_ptrIdEEEEPS6_SG_NS0_5tupleIJSF_S6_EEENSH_IJSG_SG_EEES6_PlJNSB_9not_fun_tINSB_10functional5actorINSM_9compositeIJNSM_27transparent_binary_operatorINSA_8equal_toIvEEEENSN_INSM_8argumentILj0EEEEENSM_5valueIdEEEEEEEEEEEE10hipError_tPvRmT3_T4_T5_T6_T7_T9_mT8_P12ihipStream_tbDpT10_ENKUlT_T0_E_clISt17integral_constantIbLb0EES1K_EEDaS1F_S1G_EUlS1F_E_NS1_11comp_targetILNS1_3genE0ELNS1_11target_archE4294967295ELNS1_3gpuE0ELNS1_3repE0EEENS1_30default_config_static_selectorELNS0_4arch9wavefront6targetE0EEEvT1_,"axG",@progbits,_ZN7rocprim17ROCPRIM_400000_NS6detail17trampoline_kernelINS0_14default_configENS1_25partition_config_selectorILNS1_17partition_subalgoE6EdNS0_10empty_typeEbEEZZNS1_14partition_implILS5_6ELb0ES3_mN6thrust23THRUST_200600_302600_NS6detail15normal_iteratorINSA_10device_ptrIdEEEEPS6_SG_NS0_5tupleIJSF_S6_EEENSH_IJSG_SG_EEES6_PlJNSB_9not_fun_tINSB_10functional5actorINSM_9compositeIJNSM_27transparent_binary_operatorINSA_8equal_toIvEEEENSN_INSM_8argumentILj0EEEEENSM_5valueIdEEEEEEEEEEEE10hipError_tPvRmT3_T4_T5_T6_T7_T9_mT8_P12ihipStream_tbDpT10_ENKUlT_T0_E_clISt17integral_constantIbLb0EES1K_EEDaS1F_S1G_EUlS1F_E_NS1_11comp_targetILNS1_3genE0ELNS1_11target_archE4294967295ELNS1_3gpuE0ELNS1_3repE0EEENS1_30default_config_static_selectorELNS0_4arch9wavefront6targetE0EEEvT1_,comdat
.Lfunc_end3:
	.size	_ZN7rocprim17ROCPRIM_400000_NS6detail17trampoline_kernelINS0_14default_configENS1_25partition_config_selectorILNS1_17partition_subalgoE6EdNS0_10empty_typeEbEEZZNS1_14partition_implILS5_6ELb0ES3_mN6thrust23THRUST_200600_302600_NS6detail15normal_iteratorINSA_10device_ptrIdEEEEPS6_SG_NS0_5tupleIJSF_S6_EEENSH_IJSG_SG_EEES6_PlJNSB_9not_fun_tINSB_10functional5actorINSM_9compositeIJNSM_27transparent_binary_operatorINSA_8equal_toIvEEEENSN_INSM_8argumentILj0EEEEENSM_5valueIdEEEEEEEEEEEE10hipError_tPvRmT3_T4_T5_T6_T7_T9_mT8_P12ihipStream_tbDpT10_ENKUlT_T0_E_clISt17integral_constantIbLb0EES1K_EEDaS1F_S1G_EUlS1F_E_NS1_11comp_targetILNS1_3genE0ELNS1_11target_archE4294967295ELNS1_3gpuE0ELNS1_3repE0EEENS1_30default_config_static_selectorELNS0_4arch9wavefront6targetE0EEEvT1_, .Lfunc_end3-_ZN7rocprim17ROCPRIM_400000_NS6detail17trampoline_kernelINS0_14default_configENS1_25partition_config_selectorILNS1_17partition_subalgoE6EdNS0_10empty_typeEbEEZZNS1_14partition_implILS5_6ELb0ES3_mN6thrust23THRUST_200600_302600_NS6detail15normal_iteratorINSA_10device_ptrIdEEEEPS6_SG_NS0_5tupleIJSF_S6_EEENSH_IJSG_SG_EEES6_PlJNSB_9not_fun_tINSB_10functional5actorINSM_9compositeIJNSM_27transparent_binary_operatorINSA_8equal_toIvEEEENSN_INSM_8argumentILj0EEEEENSM_5valueIdEEEEEEEEEEEE10hipError_tPvRmT3_T4_T5_T6_T7_T9_mT8_P12ihipStream_tbDpT10_ENKUlT_T0_E_clISt17integral_constantIbLb0EES1K_EEDaS1F_S1G_EUlS1F_E_NS1_11comp_targetILNS1_3genE0ELNS1_11target_archE4294967295ELNS1_3gpuE0ELNS1_3repE0EEENS1_30default_config_static_selectorELNS0_4arch9wavefront6targetE0EEEvT1_
                                        ; -- End function
	.set _ZN7rocprim17ROCPRIM_400000_NS6detail17trampoline_kernelINS0_14default_configENS1_25partition_config_selectorILNS1_17partition_subalgoE6EdNS0_10empty_typeEbEEZZNS1_14partition_implILS5_6ELb0ES3_mN6thrust23THRUST_200600_302600_NS6detail15normal_iteratorINSA_10device_ptrIdEEEEPS6_SG_NS0_5tupleIJSF_S6_EEENSH_IJSG_SG_EEES6_PlJNSB_9not_fun_tINSB_10functional5actorINSM_9compositeIJNSM_27transparent_binary_operatorINSA_8equal_toIvEEEENSN_INSM_8argumentILj0EEEEENSM_5valueIdEEEEEEEEEEEE10hipError_tPvRmT3_T4_T5_T6_T7_T9_mT8_P12ihipStream_tbDpT10_ENKUlT_T0_E_clISt17integral_constantIbLb0EES1K_EEDaS1F_S1G_EUlS1F_E_NS1_11comp_targetILNS1_3genE0ELNS1_11target_archE4294967295ELNS1_3gpuE0ELNS1_3repE0EEENS1_30default_config_static_selectorELNS0_4arch9wavefront6targetE0EEEvT1_.num_vgpr, 0
	.set _ZN7rocprim17ROCPRIM_400000_NS6detail17trampoline_kernelINS0_14default_configENS1_25partition_config_selectorILNS1_17partition_subalgoE6EdNS0_10empty_typeEbEEZZNS1_14partition_implILS5_6ELb0ES3_mN6thrust23THRUST_200600_302600_NS6detail15normal_iteratorINSA_10device_ptrIdEEEEPS6_SG_NS0_5tupleIJSF_S6_EEENSH_IJSG_SG_EEES6_PlJNSB_9not_fun_tINSB_10functional5actorINSM_9compositeIJNSM_27transparent_binary_operatorINSA_8equal_toIvEEEENSN_INSM_8argumentILj0EEEEENSM_5valueIdEEEEEEEEEEEE10hipError_tPvRmT3_T4_T5_T6_T7_T9_mT8_P12ihipStream_tbDpT10_ENKUlT_T0_E_clISt17integral_constantIbLb0EES1K_EEDaS1F_S1G_EUlS1F_E_NS1_11comp_targetILNS1_3genE0ELNS1_11target_archE4294967295ELNS1_3gpuE0ELNS1_3repE0EEENS1_30default_config_static_selectorELNS0_4arch9wavefront6targetE0EEEvT1_.num_agpr, 0
	.set _ZN7rocprim17ROCPRIM_400000_NS6detail17trampoline_kernelINS0_14default_configENS1_25partition_config_selectorILNS1_17partition_subalgoE6EdNS0_10empty_typeEbEEZZNS1_14partition_implILS5_6ELb0ES3_mN6thrust23THRUST_200600_302600_NS6detail15normal_iteratorINSA_10device_ptrIdEEEEPS6_SG_NS0_5tupleIJSF_S6_EEENSH_IJSG_SG_EEES6_PlJNSB_9not_fun_tINSB_10functional5actorINSM_9compositeIJNSM_27transparent_binary_operatorINSA_8equal_toIvEEEENSN_INSM_8argumentILj0EEEEENSM_5valueIdEEEEEEEEEEEE10hipError_tPvRmT3_T4_T5_T6_T7_T9_mT8_P12ihipStream_tbDpT10_ENKUlT_T0_E_clISt17integral_constantIbLb0EES1K_EEDaS1F_S1G_EUlS1F_E_NS1_11comp_targetILNS1_3genE0ELNS1_11target_archE4294967295ELNS1_3gpuE0ELNS1_3repE0EEENS1_30default_config_static_selectorELNS0_4arch9wavefront6targetE0EEEvT1_.numbered_sgpr, 0
	.set _ZN7rocprim17ROCPRIM_400000_NS6detail17trampoline_kernelINS0_14default_configENS1_25partition_config_selectorILNS1_17partition_subalgoE6EdNS0_10empty_typeEbEEZZNS1_14partition_implILS5_6ELb0ES3_mN6thrust23THRUST_200600_302600_NS6detail15normal_iteratorINSA_10device_ptrIdEEEEPS6_SG_NS0_5tupleIJSF_S6_EEENSH_IJSG_SG_EEES6_PlJNSB_9not_fun_tINSB_10functional5actorINSM_9compositeIJNSM_27transparent_binary_operatorINSA_8equal_toIvEEEENSN_INSM_8argumentILj0EEEEENSM_5valueIdEEEEEEEEEEEE10hipError_tPvRmT3_T4_T5_T6_T7_T9_mT8_P12ihipStream_tbDpT10_ENKUlT_T0_E_clISt17integral_constantIbLb0EES1K_EEDaS1F_S1G_EUlS1F_E_NS1_11comp_targetILNS1_3genE0ELNS1_11target_archE4294967295ELNS1_3gpuE0ELNS1_3repE0EEENS1_30default_config_static_selectorELNS0_4arch9wavefront6targetE0EEEvT1_.num_named_barrier, 0
	.set _ZN7rocprim17ROCPRIM_400000_NS6detail17trampoline_kernelINS0_14default_configENS1_25partition_config_selectorILNS1_17partition_subalgoE6EdNS0_10empty_typeEbEEZZNS1_14partition_implILS5_6ELb0ES3_mN6thrust23THRUST_200600_302600_NS6detail15normal_iteratorINSA_10device_ptrIdEEEEPS6_SG_NS0_5tupleIJSF_S6_EEENSH_IJSG_SG_EEES6_PlJNSB_9not_fun_tINSB_10functional5actorINSM_9compositeIJNSM_27transparent_binary_operatorINSA_8equal_toIvEEEENSN_INSM_8argumentILj0EEEEENSM_5valueIdEEEEEEEEEEEE10hipError_tPvRmT3_T4_T5_T6_T7_T9_mT8_P12ihipStream_tbDpT10_ENKUlT_T0_E_clISt17integral_constantIbLb0EES1K_EEDaS1F_S1G_EUlS1F_E_NS1_11comp_targetILNS1_3genE0ELNS1_11target_archE4294967295ELNS1_3gpuE0ELNS1_3repE0EEENS1_30default_config_static_selectorELNS0_4arch9wavefront6targetE0EEEvT1_.private_seg_size, 0
	.set _ZN7rocprim17ROCPRIM_400000_NS6detail17trampoline_kernelINS0_14default_configENS1_25partition_config_selectorILNS1_17partition_subalgoE6EdNS0_10empty_typeEbEEZZNS1_14partition_implILS5_6ELb0ES3_mN6thrust23THRUST_200600_302600_NS6detail15normal_iteratorINSA_10device_ptrIdEEEEPS6_SG_NS0_5tupleIJSF_S6_EEENSH_IJSG_SG_EEES6_PlJNSB_9not_fun_tINSB_10functional5actorINSM_9compositeIJNSM_27transparent_binary_operatorINSA_8equal_toIvEEEENSN_INSM_8argumentILj0EEEEENSM_5valueIdEEEEEEEEEEEE10hipError_tPvRmT3_T4_T5_T6_T7_T9_mT8_P12ihipStream_tbDpT10_ENKUlT_T0_E_clISt17integral_constantIbLb0EES1K_EEDaS1F_S1G_EUlS1F_E_NS1_11comp_targetILNS1_3genE0ELNS1_11target_archE4294967295ELNS1_3gpuE0ELNS1_3repE0EEENS1_30default_config_static_selectorELNS0_4arch9wavefront6targetE0EEEvT1_.uses_vcc, 0
	.set _ZN7rocprim17ROCPRIM_400000_NS6detail17trampoline_kernelINS0_14default_configENS1_25partition_config_selectorILNS1_17partition_subalgoE6EdNS0_10empty_typeEbEEZZNS1_14partition_implILS5_6ELb0ES3_mN6thrust23THRUST_200600_302600_NS6detail15normal_iteratorINSA_10device_ptrIdEEEEPS6_SG_NS0_5tupleIJSF_S6_EEENSH_IJSG_SG_EEES6_PlJNSB_9not_fun_tINSB_10functional5actorINSM_9compositeIJNSM_27transparent_binary_operatorINSA_8equal_toIvEEEENSN_INSM_8argumentILj0EEEEENSM_5valueIdEEEEEEEEEEEE10hipError_tPvRmT3_T4_T5_T6_T7_T9_mT8_P12ihipStream_tbDpT10_ENKUlT_T0_E_clISt17integral_constantIbLb0EES1K_EEDaS1F_S1G_EUlS1F_E_NS1_11comp_targetILNS1_3genE0ELNS1_11target_archE4294967295ELNS1_3gpuE0ELNS1_3repE0EEENS1_30default_config_static_selectorELNS0_4arch9wavefront6targetE0EEEvT1_.uses_flat_scratch, 0
	.set _ZN7rocprim17ROCPRIM_400000_NS6detail17trampoline_kernelINS0_14default_configENS1_25partition_config_selectorILNS1_17partition_subalgoE6EdNS0_10empty_typeEbEEZZNS1_14partition_implILS5_6ELb0ES3_mN6thrust23THRUST_200600_302600_NS6detail15normal_iteratorINSA_10device_ptrIdEEEEPS6_SG_NS0_5tupleIJSF_S6_EEENSH_IJSG_SG_EEES6_PlJNSB_9not_fun_tINSB_10functional5actorINSM_9compositeIJNSM_27transparent_binary_operatorINSA_8equal_toIvEEEENSN_INSM_8argumentILj0EEEEENSM_5valueIdEEEEEEEEEEEE10hipError_tPvRmT3_T4_T5_T6_T7_T9_mT8_P12ihipStream_tbDpT10_ENKUlT_T0_E_clISt17integral_constantIbLb0EES1K_EEDaS1F_S1G_EUlS1F_E_NS1_11comp_targetILNS1_3genE0ELNS1_11target_archE4294967295ELNS1_3gpuE0ELNS1_3repE0EEENS1_30default_config_static_selectorELNS0_4arch9wavefront6targetE0EEEvT1_.has_dyn_sized_stack, 0
	.set _ZN7rocprim17ROCPRIM_400000_NS6detail17trampoline_kernelINS0_14default_configENS1_25partition_config_selectorILNS1_17partition_subalgoE6EdNS0_10empty_typeEbEEZZNS1_14partition_implILS5_6ELb0ES3_mN6thrust23THRUST_200600_302600_NS6detail15normal_iteratorINSA_10device_ptrIdEEEEPS6_SG_NS0_5tupleIJSF_S6_EEENSH_IJSG_SG_EEES6_PlJNSB_9not_fun_tINSB_10functional5actorINSM_9compositeIJNSM_27transparent_binary_operatorINSA_8equal_toIvEEEENSN_INSM_8argumentILj0EEEEENSM_5valueIdEEEEEEEEEEEE10hipError_tPvRmT3_T4_T5_T6_T7_T9_mT8_P12ihipStream_tbDpT10_ENKUlT_T0_E_clISt17integral_constantIbLb0EES1K_EEDaS1F_S1G_EUlS1F_E_NS1_11comp_targetILNS1_3genE0ELNS1_11target_archE4294967295ELNS1_3gpuE0ELNS1_3repE0EEENS1_30default_config_static_selectorELNS0_4arch9wavefront6targetE0EEEvT1_.has_recursion, 0
	.set _ZN7rocprim17ROCPRIM_400000_NS6detail17trampoline_kernelINS0_14default_configENS1_25partition_config_selectorILNS1_17partition_subalgoE6EdNS0_10empty_typeEbEEZZNS1_14partition_implILS5_6ELb0ES3_mN6thrust23THRUST_200600_302600_NS6detail15normal_iteratorINSA_10device_ptrIdEEEEPS6_SG_NS0_5tupleIJSF_S6_EEENSH_IJSG_SG_EEES6_PlJNSB_9not_fun_tINSB_10functional5actorINSM_9compositeIJNSM_27transparent_binary_operatorINSA_8equal_toIvEEEENSN_INSM_8argumentILj0EEEEENSM_5valueIdEEEEEEEEEEEE10hipError_tPvRmT3_T4_T5_T6_T7_T9_mT8_P12ihipStream_tbDpT10_ENKUlT_T0_E_clISt17integral_constantIbLb0EES1K_EEDaS1F_S1G_EUlS1F_E_NS1_11comp_targetILNS1_3genE0ELNS1_11target_archE4294967295ELNS1_3gpuE0ELNS1_3repE0EEENS1_30default_config_static_selectorELNS0_4arch9wavefront6targetE0EEEvT1_.has_indirect_call, 0
	.section	.AMDGPU.csdata,"",@progbits
; Kernel info:
; codeLenInByte = 0
; TotalNumSgprs: 0
; NumVgprs: 0
; ScratchSize: 0
; MemoryBound: 0
; FloatMode: 240
; IeeeMode: 1
; LDSByteSize: 0 bytes/workgroup (compile time only)
; SGPRBlocks: 0
; VGPRBlocks: 0
; NumSGPRsForWavesPerEU: 1
; NumVGPRsForWavesPerEU: 1
; Occupancy: 16
; WaveLimiterHint : 0
; COMPUTE_PGM_RSRC2:SCRATCH_EN: 0
; COMPUTE_PGM_RSRC2:USER_SGPR: 2
; COMPUTE_PGM_RSRC2:TRAP_HANDLER: 0
; COMPUTE_PGM_RSRC2:TGID_X_EN: 1
; COMPUTE_PGM_RSRC2:TGID_Y_EN: 0
; COMPUTE_PGM_RSRC2:TGID_Z_EN: 0
; COMPUTE_PGM_RSRC2:TIDIG_COMP_CNT: 0
	.section	.text._ZN7rocprim17ROCPRIM_400000_NS6detail17trampoline_kernelINS0_14default_configENS1_25partition_config_selectorILNS1_17partition_subalgoE6EdNS0_10empty_typeEbEEZZNS1_14partition_implILS5_6ELb0ES3_mN6thrust23THRUST_200600_302600_NS6detail15normal_iteratorINSA_10device_ptrIdEEEEPS6_SG_NS0_5tupleIJSF_S6_EEENSH_IJSG_SG_EEES6_PlJNSB_9not_fun_tINSB_10functional5actorINSM_9compositeIJNSM_27transparent_binary_operatorINSA_8equal_toIvEEEENSN_INSM_8argumentILj0EEEEENSM_5valueIdEEEEEEEEEEEE10hipError_tPvRmT3_T4_T5_T6_T7_T9_mT8_P12ihipStream_tbDpT10_ENKUlT_T0_E_clISt17integral_constantIbLb0EES1K_EEDaS1F_S1G_EUlS1F_E_NS1_11comp_targetILNS1_3genE5ELNS1_11target_archE942ELNS1_3gpuE9ELNS1_3repE0EEENS1_30default_config_static_selectorELNS0_4arch9wavefront6targetE0EEEvT1_,"axG",@progbits,_ZN7rocprim17ROCPRIM_400000_NS6detail17trampoline_kernelINS0_14default_configENS1_25partition_config_selectorILNS1_17partition_subalgoE6EdNS0_10empty_typeEbEEZZNS1_14partition_implILS5_6ELb0ES3_mN6thrust23THRUST_200600_302600_NS6detail15normal_iteratorINSA_10device_ptrIdEEEEPS6_SG_NS0_5tupleIJSF_S6_EEENSH_IJSG_SG_EEES6_PlJNSB_9not_fun_tINSB_10functional5actorINSM_9compositeIJNSM_27transparent_binary_operatorINSA_8equal_toIvEEEENSN_INSM_8argumentILj0EEEEENSM_5valueIdEEEEEEEEEEEE10hipError_tPvRmT3_T4_T5_T6_T7_T9_mT8_P12ihipStream_tbDpT10_ENKUlT_T0_E_clISt17integral_constantIbLb0EES1K_EEDaS1F_S1G_EUlS1F_E_NS1_11comp_targetILNS1_3genE5ELNS1_11target_archE942ELNS1_3gpuE9ELNS1_3repE0EEENS1_30default_config_static_selectorELNS0_4arch9wavefront6targetE0EEEvT1_,comdat
	.protected	_ZN7rocprim17ROCPRIM_400000_NS6detail17trampoline_kernelINS0_14default_configENS1_25partition_config_selectorILNS1_17partition_subalgoE6EdNS0_10empty_typeEbEEZZNS1_14partition_implILS5_6ELb0ES3_mN6thrust23THRUST_200600_302600_NS6detail15normal_iteratorINSA_10device_ptrIdEEEEPS6_SG_NS0_5tupleIJSF_S6_EEENSH_IJSG_SG_EEES6_PlJNSB_9not_fun_tINSB_10functional5actorINSM_9compositeIJNSM_27transparent_binary_operatorINSA_8equal_toIvEEEENSN_INSM_8argumentILj0EEEEENSM_5valueIdEEEEEEEEEEEE10hipError_tPvRmT3_T4_T5_T6_T7_T9_mT8_P12ihipStream_tbDpT10_ENKUlT_T0_E_clISt17integral_constantIbLb0EES1K_EEDaS1F_S1G_EUlS1F_E_NS1_11comp_targetILNS1_3genE5ELNS1_11target_archE942ELNS1_3gpuE9ELNS1_3repE0EEENS1_30default_config_static_selectorELNS0_4arch9wavefront6targetE0EEEvT1_ ; -- Begin function _ZN7rocprim17ROCPRIM_400000_NS6detail17trampoline_kernelINS0_14default_configENS1_25partition_config_selectorILNS1_17partition_subalgoE6EdNS0_10empty_typeEbEEZZNS1_14partition_implILS5_6ELb0ES3_mN6thrust23THRUST_200600_302600_NS6detail15normal_iteratorINSA_10device_ptrIdEEEEPS6_SG_NS0_5tupleIJSF_S6_EEENSH_IJSG_SG_EEES6_PlJNSB_9not_fun_tINSB_10functional5actorINSM_9compositeIJNSM_27transparent_binary_operatorINSA_8equal_toIvEEEENSN_INSM_8argumentILj0EEEEENSM_5valueIdEEEEEEEEEEEE10hipError_tPvRmT3_T4_T5_T6_T7_T9_mT8_P12ihipStream_tbDpT10_ENKUlT_T0_E_clISt17integral_constantIbLb0EES1K_EEDaS1F_S1G_EUlS1F_E_NS1_11comp_targetILNS1_3genE5ELNS1_11target_archE942ELNS1_3gpuE9ELNS1_3repE0EEENS1_30default_config_static_selectorELNS0_4arch9wavefront6targetE0EEEvT1_
	.globl	_ZN7rocprim17ROCPRIM_400000_NS6detail17trampoline_kernelINS0_14default_configENS1_25partition_config_selectorILNS1_17partition_subalgoE6EdNS0_10empty_typeEbEEZZNS1_14partition_implILS5_6ELb0ES3_mN6thrust23THRUST_200600_302600_NS6detail15normal_iteratorINSA_10device_ptrIdEEEEPS6_SG_NS0_5tupleIJSF_S6_EEENSH_IJSG_SG_EEES6_PlJNSB_9not_fun_tINSB_10functional5actorINSM_9compositeIJNSM_27transparent_binary_operatorINSA_8equal_toIvEEEENSN_INSM_8argumentILj0EEEEENSM_5valueIdEEEEEEEEEEEE10hipError_tPvRmT3_T4_T5_T6_T7_T9_mT8_P12ihipStream_tbDpT10_ENKUlT_T0_E_clISt17integral_constantIbLb0EES1K_EEDaS1F_S1G_EUlS1F_E_NS1_11comp_targetILNS1_3genE5ELNS1_11target_archE942ELNS1_3gpuE9ELNS1_3repE0EEENS1_30default_config_static_selectorELNS0_4arch9wavefront6targetE0EEEvT1_
	.p2align	8
	.type	_ZN7rocprim17ROCPRIM_400000_NS6detail17trampoline_kernelINS0_14default_configENS1_25partition_config_selectorILNS1_17partition_subalgoE6EdNS0_10empty_typeEbEEZZNS1_14partition_implILS5_6ELb0ES3_mN6thrust23THRUST_200600_302600_NS6detail15normal_iteratorINSA_10device_ptrIdEEEEPS6_SG_NS0_5tupleIJSF_S6_EEENSH_IJSG_SG_EEES6_PlJNSB_9not_fun_tINSB_10functional5actorINSM_9compositeIJNSM_27transparent_binary_operatorINSA_8equal_toIvEEEENSN_INSM_8argumentILj0EEEEENSM_5valueIdEEEEEEEEEEEE10hipError_tPvRmT3_T4_T5_T6_T7_T9_mT8_P12ihipStream_tbDpT10_ENKUlT_T0_E_clISt17integral_constantIbLb0EES1K_EEDaS1F_S1G_EUlS1F_E_NS1_11comp_targetILNS1_3genE5ELNS1_11target_archE942ELNS1_3gpuE9ELNS1_3repE0EEENS1_30default_config_static_selectorELNS0_4arch9wavefront6targetE0EEEvT1_,@function
_ZN7rocprim17ROCPRIM_400000_NS6detail17trampoline_kernelINS0_14default_configENS1_25partition_config_selectorILNS1_17partition_subalgoE6EdNS0_10empty_typeEbEEZZNS1_14partition_implILS5_6ELb0ES3_mN6thrust23THRUST_200600_302600_NS6detail15normal_iteratorINSA_10device_ptrIdEEEEPS6_SG_NS0_5tupleIJSF_S6_EEENSH_IJSG_SG_EEES6_PlJNSB_9not_fun_tINSB_10functional5actorINSM_9compositeIJNSM_27transparent_binary_operatorINSA_8equal_toIvEEEENSN_INSM_8argumentILj0EEEEENSM_5valueIdEEEEEEEEEEEE10hipError_tPvRmT3_T4_T5_T6_T7_T9_mT8_P12ihipStream_tbDpT10_ENKUlT_T0_E_clISt17integral_constantIbLb0EES1K_EEDaS1F_S1G_EUlS1F_E_NS1_11comp_targetILNS1_3genE5ELNS1_11target_archE942ELNS1_3gpuE9ELNS1_3repE0EEENS1_30default_config_static_selectorELNS0_4arch9wavefront6targetE0EEEvT1_: ; @_ZN7rocprim17ROCPRIM_400000_NS6detail17trampoline_kernelINS0_14default_configENS1_25partition_config_selectorILNS1_17partition_subalgoE6EdNS0_10empty_typeEbEEZZNS1_14partition_implILS5_6ELb0ES3_mN6thrust23THRUST_200600_302600_NS6detail15normal_iteratorINSA_10device_ptrIdEEEEPS6_SG_NS0_5tupleIJSF_S6_EEENSH_IJSG_SG_EEES6_PlJNSB_9not_fun_tINSB_10functional5actorINSM_9compositeIJNSM_27transparent_binary_operatorINSA_8equal_toIvEEEENSN_INSM_8argumentILj0EEEEENSM_5valueIdEEEEEEEEEEEE10hipError_tPvRmT3_T4_T5_T6_T7_T9_mT8_P12ihipStream_tbDpT10_ENKUlT_T0_E_clISt17integral_constantIbLb0EES1K_EEDaS1F_S1G_EUlS1F_E_NS1_11comp_targetILNS1_3genE5ELNS1_11target_archE942ELNS1_3gpuE9ELNS1_3repE0EEENS1_30default_config_static_selectorELNS0_4arch9wavefront6targetE0EEEvT1_
; %bb.0:
	.section	.rodata,"a",@progbits
	.p2align	6, 0x0
	.amdhsa_kernel _ZN7rocprim17ROCPRIM_400000_NS6detail17trampoline_kernelINS0_14default_configENS1_25partition_config_selectorILNS1_17partition_subalgoE6EdNS0_10empty_typeEbEEZZNS1_14partition_implILS5_6ELb0ES3_mN6thrust23THRUST_200600_302600_NS6detail15normal_iteratorINSA_10device_ptrIdEEEEPS6_SG_NS0_5tupleIJSF_S6_EEENSH_IJSG_SG_EEES6_PlJNSB_9not_fun_tINSB_10functional5actorINSM_9compositeIJNSM_27transparent_binary_operatorINSA_8equal_toIvEEEENSN_INSM_8argumentILj0EEEEENSM_5valueIdEEEEEEEEEEEE10hipError_tPvRmT3_T4_T5_T6_T7_T9_mT8_P12ihipStream_tbDpT10_ENKUlT_T0_E_clISt17integral_constantIbLb0EES1K_EEDaS1F_S1G_EUlS1F_E_NS1_11comp_targetILNS1_3genE5ELNS1_11target_archE942ELNS1_3gpuE9ELNS1_3repE0EEENS1_30default_config_static_selectorELNS0_4arch9wavefront6targetE0EEEvT1_
		.amdhsa_group_segment_fixed_size 0
		.amdhsa_private_segment_fixed_size 0
		.amdhsa_kernarg_size 128
		.amdhsa_user_sgpr_count 2
		.amdhsa_user_sgpr_dispatch_ptr 0
		.amdhsa_user_sgpr_queue_ptr 0
		.amdhsa_user_sgpr_kernarg_segment_ptr 1
		.amdhsa_user_sgpr_dispatch_id 0
		.amdhsa_user_sgpr_private_segment_size 0
		.amdhsa_wavefront_size32 1
		.amdhsa_uses_dynamic_stack 0
		.amdhsa_enable_private_segment 0
		.amdhsa_system_sgpr_workgroup_id_x 1
		.amdhsa_system_sgpr_workgroup_id_y 0
		.amdhsa_system_sgpr_workgroup_id_z 0
		.amdhsa_system_sgpr_workgroup_info 0
		.amdhsa_system_vgpr_workitem_id 0
		.amdhsa_next_free_vgpr 1
		.amdhsa_next_free_sgpr 1
		.amdhsa_reserve_vcc 0
		.amdhsa_float_round_mode_32 0
		.amdhsa_float_round_mode_16_64 0
		.amdhsa_float_denorm_mode_32 3
		.amdhsa_float_denorm_mode_16_64 3
		.amdhsa_fp16_overflow 0
		.amdhsa_workgroup_processor_mode 1
		.amdhsa_memory_ordered 1
		.amdhsa_forward_progress 1
		.amdhsa_inst_pref_size 0
		.amdhsa_round_robin_scheduling 0
		.amdhsa_exception_fp_ieee_invalid_op 0
		.amdhsa_exception_fp_denorm_src 0
		.amdhsa_exception_fp_ieee_div_zero 0
		.amdhsa_exception_fp_ieee_overflow 0
		.amdhsa_exception_fp_ieee_underflow 0
		.amdhsa_exception_fp_ieee_inexact 0
		.amdhsa_exception_int_div_zero 0
	.end_amdhsa_kernel
	.section	.text._ZN7rocprim17ROCPRIM_400000_NS6detail17trampoline_kernelINS0_14default_configENS1_25partition_config_selectorILNS1_17partition_subalgoE6EdNS0_10empty_typeEbEEZZNS1_14partition_implILS5_6ELb0ES3_mN6thrust23THRUST_200600_302600_NS6detail15normal_iteratorINSA_10device_ptrIdEEEEPS6_SG_NS0_5tupleIJSF_S6_EEENSH_IJSG_SG_EEES6_PlJNSB_9not_fun_tINSB_10functional5actorINSM_9compositeIJNSM_27transparent_binary_operatorINSA_8equal_toIvEEEENSN_INSM_8argumentILj0EEEEENSM_5valueIdEEEEEEEEEEEE10hipError_tPvRmT3_T4_T5_T6_T7_T9_mT8_P12ihipStream_tbDpT10_ENKUlT_T0_E_clISt17integral_constantIbLb0EES1K_EEDaS1F_S1G_EUlS1F_E_NS1_11comp_targetILNS1_3genE5ELNS1_11target_archE942ELNS1_3gpuE9ELNS1_3repE0EEENS1_30default_config_static_selectorELNS0_4arch9wavefront6targetE0EEEvT1_,"axG",@progbits,_ZN7rocprim17ROCPRIM_400000_NS6detail17trampoline_kernelINS0_14default_configENS1_25partition_config_selectorILNS1_17partition_subalgoE6EdNS0_10empty_typeEbEEZZNS1_14partition_implILS5_6ELb0ES3_mN6thrust23THRUST_200600_302600_NS6detail15normal_iteratorINSA_10device_ptrIdEEEEPS6_SG_NS0_5tupleIJSF_S6_EEENSH_IJSG_SG_EEES6_PlJNSB_9not_fun_tINSB_10functional5actorINSM_9compositeIJNSM_27transparent_binary_operatorINSA_8equal_toIvEEEENSN_INSM_8argumentILj0EEEEENSM_5valueIdEEEEEEEEEEEE10hipError_tPvRmT3_T4_T5_T6_T7_T9_mT8_P12ihipStream_tbDpT10_ENKUlT_T0_E_clISt17integral_constantIbLb0EES1K_EEDaS1F_S1G_EUlS1F_E_NS1_11comp_targetILNS1_3genE5ELNS1_11target_archE942ELNS1_3gpuE9ELNS1_3repE0EEENS1_30default_config_static_selectorELNS0_4arch9wavefront6targetE0EEEvT1_,comdat
.Lfunc_end4:
	.size	_ZN7rocprim17ROCPRIM_400000_NS6detail17trampoline_kernelINS0_14default_configENS1_25partition_config_selectorILNS1_17partition_subalgoE6EdNS0_10empty_typeEbEEZZNS1_14partition_implILS5_6ELb0ES3_mN6thrust23THRUST_200600_302600_NS6detail15normal_iteratorINSA_10device_ptrIdEEEEPS6_SG_NS0_5tupleIJSF_S6_EEENSH_IJSG_SG_EEES6_PlJNSB_9not_fun_tINSB_10functional5actorINSM_9compositeIJNSM_27transparent_binary_operatorINSA_8equal_toIvEEEENSN_INSM_8argumentILj0EEEEENSM_5valueIdEEEEEEEEEEEE10hipError_tPvRmT3_T4_T5_T6_T7_T9_mT8_P12ihipStream_tbDpT10_ENKUlT_T0_E_clISt17integral_constantIbLb0EES1K_EEDaS1F_S1G_EUlS1F_E_NS1_11comp_targetILNS1_3genE5ELNS1_11target_archE942ELNS1_3gpuE9ELNS1_3repE0EEENS1_30default_config_static_selectorELNS0_4arch9wavefront6targetE0EEEvT1_, .Lfunc_end4-_ZN7rocprim17ROCPRIM_400000_NS6detail17trampoline_kernelINS0_14default_configENS1_25partition_config_selectorILNS1_17partition_subalgoE6EdNS0_10empty_typeEbEEZZNS1_14partition_implILS5_6ELb0ES3_mN6thrust23THRUST_200600_302600_NS6detail15normal_iteratorINSA_10device_ptrIdEEEEPS6_SG_NS0_5tupleIJSF_S6_EEENSH_IJSG_SG_EEES6_PlJNSB_9not_fun_tINSB_10functional5actorINSM_9compositeIJNSM_27transparent_binary_operatorINSA_8equal_toIvEEEENSN_INSM_8argumentILj0EEEEENSM_5valueIdEEEEEEEEEEEE10hipError_tPvRmT3_T4_T5_T6_T7_T9_mT8_P12ihipStream_tbDpT10_ENKUlT_T0_E_clISt17integral_constantIbLb0EES1K_EEDaS1F_S1G_EUlS1F_E_NS1_11comp_targetILNS1_3genE5ELNS1_11target_archE942ELNS1_3gpuE9ELNS1_3repE0EEENS1_30default_config_static_selectorELNS0_4arch9wavefront6targetE0EEEvT1_
                                        ; -- End function
	.set _ZN7rocprim17ROCPRIM_400000_NS6detail17trampoline_kernelINS0_14default_configENS1_25partition_config_selectorILNS1_17partition_subalgoE6EdNS0_10empty_typeEbEEZZNS1_14partition_implILS5_6ELb0ES3_mN6thrust23THRUST_200600_302600_NS6detail15normal_iteratorINSA_10device_ptrIdEEEEPS6_SG_NS0_5tupleIJSF_S6_EEENSH_IJSG_SG_EEES6_PlJNSB_9not_fun_tINSB_10functional5actorINSM_9compositeIJNSM_27transparent_binary_operatorINSA_8equal_toIvEEEENSN_INSM_8argumentILj0EEEEENSM_5valueIdEEEEEEEEEEEE10hipError_tPvRmT3_T4_T5_T6_T7_T9_mT8_P12ihipStream_tbDpT10_ENKUlT_T0_E_clISt17integral_constantIbLb0EES1K_EEDaS1F_S1G_EUlS1F_E_NS1_11comp_targetILNS1_3genE5ELNS1_11target_archE942ELNS1_3gpuE9ELNS1_3repE0EEENS1_30default_config_static_selectorELNS0_4arch9wavefront6targetE0EEEvT1_.num_vgpr, 0
	.set _ZN7rocprim17ROCPRIM_400000_NS6detail17trampoline_kernelINS0_14default_configENS1_25partition_config_selectorILNS1_17partition_subalgoE6EdNS0_10empty_typeEbEEZZNS1_14partition_implILS5_6ELb0ES3_mN6thrust23THRUST_200600_302600_NS6detail15normal_iteratorINSA_10device_ptrIdEEEEPS6_SG_NS0_5tupleIJSF_S6_EEENSH_IJSG_SG_EEES6_PlJNSB_9not_fun_tINSB_10functional5actorINSM_9compositeIJNSM_27transparent_binary_operatorINSA_8equal_toIvEEEENSN_INSM_8argumentILj0EEEEENSM_5valueIdEEEEEEEEEEEE10hipError_tPvRmT3_T4_T5_T6_T7_T9_mT8_P12ihipStream_tbDpT10_ENKUlT_T0_E_clISt17integral_constantIbLb0EES1K_EEDaS1F_S1G_EUlS1F_E_NS1_11comp_targetILNS1_3genE5ELNS1_11target_archE942ELNS1_3gpuE9ELNS1_3repE0EEENS1_30default_config_static_selectorELNS0_4arch9wavefront6targetE0EEEvT1_.num_agpr, 0
	.set _ZN7rocprim17ROCPRIM_400000_NS6detail17trampoline_kernelINS0_14default_configENS1_25partition_config_selectorILNS1_17partition_subalgoE6EdNS0_10empty_typeEbEEZZNS1_14partition_implILS5_6ELb0ES3_mN6thrust23THRUST_200600_302600_NS6detail15normal_iteratorINSA_10device_ptrIdEEEEPS6_SG_NS0_5tupleIJSF_S6_EEENSH_IJSG_SG_EEES6_PlJNSB_9not_fun_tINSB_10functional5actorINSM_9compositeIJNSM_27transparent_binary_operatorINSA_8equal_toIvEEEENSN_INSM_8argumentILj0EEEEENSM_5valueIdEEEEEEEEEEEE10hipError_tPvRmT3_T4_T5_T6_T7_T9_mT8_P12ihipStream_tbDpT10_ENKUlT_T0_E_clISt17integral_constantIbLb0EES1K_EEDaS1F_S1G_EUlS1F_E_NS1_11comp_targetILNS1_3genE5ELNS1_11target_archE942ELNS1_3gpuE9ELNS1_3repE0EEENS1_30default_config_static_selectorELNS0_4arch9wavefront6targetE0EEEvT1_.numbered_sgpr, 0
	.set _ZN7rocprim17ROCPRIM_400000_NS6detail17trampoline_kernelINS0_14default_configENS1_25partition_config_selectorILNS1_17partition_subalgoE6EdNS0_10empty_typeEbEEZZNS1_14partition_implILS5_6ELb0ES3_mN6thrust23THRUST_200600_302600_NS6detail15normal_iteratorINSA_10device_ptrIdEEEEPS6_SG_NS0_5tupleIJSF_S6_EEENSH_IJSG_SG_EEES6_PlJNSB_9not_fun_tINSB_10functional5actorINSM_9compositeIJNSM_27transparent_binary_operatorINSA_8equal_toIvEEEENSN_INSM_8argumentILj0EEEEENSM_5valueIdEEEEEEEEEEEE10hipError_tPvRmT3_T4_T5_T6_T7_T9_mT8_P12ihipStream_tbDpT10_ENKUlT_T0_E_clISt17integral_constantIbLb0EES1K_EEDaS1F_S1G_EUlS1F_E_NS1_11comp_targetILNS1_3genE5ELNS1_11target_archE942ELNS1_3gpuE9ELNS1_3repE0EEENS1_30default_config_static_selectorELNS0_4arch9wavefront6targetE0EEEvT1_.num_named_barrier, 0
	.set _ZN7rocprim17ROCPRIM_400000_NS6detail17trampoline_kernelINS0_14default_configENS1_25partition_config_selectorILNS1_17partition_subalgoE6EdNS0_10empty_typeEbEEZZNS1_14partition_implILS5_6ELb0ES3_mN6thrust23THRUST_200600_302600_NS6detail15normal_iteratorINSA_10device_ptrIdEEEEPS6_SG_NS0_5tupleIJSF_S6_EEENSH_IJSG_SG_EEES6_PlJNSB_9not_fun_tINSB_10functional5actorINSM_9compositeIJNSM_27transparent_binary_operatorINSA_8equal_toIvEEEENSN_INSM_8argumentILj0EEEEENSM_5valueIdEEEEEEEEEEEE10hipError_tPvRmT3_T4_T5_T6_T7_T9_mT8_P12ihipStream_tbDpT10_ENKUlT_T0_E_clISt17integral_constantIbLb0EES1K_EEDaS1F_S1G_EUlS1F_E_NS1_11comp_targetILNS1_3genE5ELNS1_11target_archE942ELNS1_3gpuE9ELNS1_3repE0EEENS1_30default_config_static_selectorELNS0_4arch9wavefront6targetE0EEEvT1_.private_seg_size, 0
	.set _ZN7rocprim17ROCPRIM_400000_NS6detail17trampoline_kernelINS0_14default_configENS1_25partition_config_selectorILNS1_17partition_subalgoE6EdNS0_10empty_typeEbEEZZNS1_14partition_implILS5_6ELb0ES3_mN6thrust23THRUST_200600_302600_NS6detail15normal_iteratorINSA_10device_ptrIdEEEEPS6_SG_NS0_5tupleIJSF_S6_EEENSH_IJSG_SG_EEES6_PlJNSB_9not_fun_tINSB_10functional5actorINSM_9compositeIJNSM_27transparent_binary_operatorINSA_8equal_toIvEEEENSN_INSM_8argumentILj0EEEEENSM_5valueIdEEEEEEEEEEEE10hipError_tPvRmT3_T4_T5_T6_T7_T9_mT8_P12ihipStream_tbDpT10_ENKUlT_T0_E_clISt17integral_constantIbLb0EES1K_EEDaS1F_S1G_EUlS1F_E_NS1_11comp_targetILNS1_3genE5ELNS1_11target_archE942ELNS1_3gpuE9ELNS1_3repE0EEENS1_30default_config_static_selectorELNS0_4arch9wavefront6targetE0EEEvT1_.uses_vcc, 0
	.set _ZN7rocprim17ROCPRIM_400000_NS6detail17trampoline_kernelINS0_14default_configENS1_25partition_config_selectorILNS1_17partition_subalgoE6EdNS0_10empty_typeEbEEZZNS1_14partition_implILS5_6ELb0ES3_mN6thrust23THRUST_200600_302600_NS6detail15normal_iteratorINSA_10device_ptrIdEEEEPS6_SG_NS0_5tupleIJSF_S6_EEENSH_IJSG_SG_EEES6_PlJNSB_9not_fun_tINSB_10functional5actorINSM_9compositeIJNSM_27transparent_binary_operatorINSA_8equal_toIvEEEENSN_INSM_8argumentILj0EEEEENSM_5valueIdEEEEEEEEEEEE10hipError_tPvRmT3_T4_T5_T6_T7_T9_mT8_P12ihipStream_tbDpT10_ENKUlT_T0_E_clISt17integral_constantIbLb0EES1K_EEDaS1F_S1G_EUlS1F_E_NS1_11comp_targetILNS1_3genE5ELNS1_11target_archE942ELNS1_3gpuE9ELNS1_3repE0EEENS1_30default_config_static_selectorELNS0_4arch9wavefront6targetE0EEEvT1_.uses_flat_scratch, 0
	.set _ZN7rocprim17ROCPRIM_400000_NS6detail17trampoline_kernelINS0_14default_configENS1_25partition_config_selectorILNS1_17partition_subalgoE6EdNS0_10empty_typeEbEEZZNS1_14partition_implILS5_6ELb0ES3_mN6thrust23THRUST_200600_302600_NS6detail15normal_iteratorINSA_10device_ptrIdEEEEPS6_SG_NS0_5tupleIJSF_S6_EEENSH_IJSG_SG_EEES6_PlJNSB_9not_fun_tINSB_10functional5actorINSM_9compositeIJNSM_27transparent_binary_operatorINSA_8equal_toIvEEEENSN_INSM_8argumentILj0EEEEENSM_5valueIdEEEEEEEEEEEE10hipError_tPvRmT3_T4_T5_T6_T7_T9_mT8_P12ihipStream_tbDpT10_ENKUlT_T0_E_clISt17integral_constantIbLb0EES1K_EEDaS1F_S1G_EUlS1F_E_NS1_11comp_targetILNS1_3genE5ELNS1_11target_archE942ELNS1_3gpuE9ELNS1_3repE0EEENS1_30default_config_static_selectorELNS0_4arch9wavefront6targetE0EEEvT1_.has_dyn_sized_stack, 0
	.set _ZN7rocprim17ROCPRIM_400000_NS6detail17trampoline_kernelINS0_14default_configENS1_25partition_config_selectorILNS1_17partition_subalgoE6EdNS0_10empty_typeEbEEZZNS1_14partition_implILS5_6ELb0ES3_mN6thrust23THRUST_200600_302600_NS6detail15normal_iteratorINSA_10device_ptrIdEEEEPS6_SG_NS0_5tupleIJSF_S6_EEENSH_IJSG_SG_EEES6_PlJNSB_9not_fun_tINSB_10functional5actorINSM_9compositeIJNSM_27transparent_binary_operatorINSA_8equal_toIvEEEENSN_INSM_8argumentILj0EEEEENSM_5valueIdEEEEEEEEEEEE10hipError_tPvRmT3_T4_T5_T6_T7_T9_mT8_P12ihipStream_tbDpT10_ENKUlT_T0_E_clISt17integral_constantIbLb0EES1K_EEDaS1F_S1G_EUlS1F_E_NS1_11comp_targetILNS1_3genE5ELNS1_11target_archE942ELNS1_3gpuE9ELNS1_3repE0EEENS1_30default_config_static_selectorELNS0_4arch9wavefront6targetE0EEEvT1_.has_recursion, 0
	.set _ZN7rocprim17ROCPRIM_400000_NS6detail17trampoline_kernelINS0_14default_configENS1_25partition_config_selectorILNS1_17partition_subalgoE6EdNS0_10empty_typeEbEEZZNS1_14partition_implILS5_6ELb0ES3_mN6thrust23THRUST_200600_302600_NS6detail15normal_iteratorINSA_10device_ptrIdEEEEPS6_SG_NS0_5tupleIJSF_S6_EEENSH_IJSG_SG_EEES6_PlJNSB_9not_fun_tINSB_10functional5actorINSM_9compositeIJNSM_27transparent_binary_operatorINSA_8equal_toIvEEEENSN_INSM_8argumentILj0EEEEENSM_5valueIdEEEEEEEEEEEE10hipError_tPvRmT3_T4_T5_T6_T7_T9_mT8_P12ihipStream_tbDpT10_ENKUlT_T0_E_clISt17integral_constantIbLb0EES1K_EEDaS1F_S1G_EUlS1F_E_NS1_11comp_targetILNS1_3genE5ELNS1_11target_archE942ELNS1_3gpuE9ELNS1_3repE0EEENS1_30default_config_static_selectorELNS0_4arch9wavefront6targetE0EEEvT1_.has_indirect_call, 0
	.section	.AMDGPU.csdata,"",@progbits
; Kernel info:
; codeLenInByte = 0
; TotalNumSgprs: 0
; NumVgprs: 0
; ScratchSize: 0
; MemoryBound: 0
; FloatMode: 240
; IeeeMode: 1
; LDSByteSize: 0 bytes/workgroup (compile time only)
; SGPRBlocks: 0
; VGPRBlocks: 0
; NumSGPRsForWavesPerEU: 1
; NumVGPRsForWavesPerEU: 1
; Occupancy: 16
; WaveLimiterHint : 0
; COMPUTE_PGM_RSRC2:SCRATCH_EN: 0
; COMPUTE_PGM_RSRC2:USER_SGPR: 2
; COMPUTE_PGM_RSRC2:TRAP_HANDLER: 0
; COMPUTE_PGM_RSRC2:TGID_X_EN: 1
; COMPUTE_PGM_RSRC2:TGID_Y_EN: 0
; COMPUTE_PGM_RSRC2:TGID_Z_EN: 0
; COMPUTE_PGM_RSRC2:TIDIG_COMP_CNT: 0
	.section	.text._ZN7rocprim17ROCPRIM_400000_NS6detail17trampoline_kernelINS0_14default_configENS1_25partition_config_selectorILNS1_17partition_subalgoE6EdNS0_10empty_typeEbEEZZNS1_14partition_implILS5_6ELb0ES3_mN6thrust23THRUST_200600_302600_NS6detail15normal_iteratorINSA_10device_ptrIdEEEEPS6_SG_NS0_5tupleIJSF_S6_EEENSH_IJSG_SG_EEES6_PlJNSB_9not_fun_tINSB_10functional5actorINSM_9compositeIJNSM_27transparent_binary_operatorINSA_8equal_toIvEEEENSN_INSM_8argumentILj0EEEEENSM_5valueIdEEEEEEEEEEEE10hipError_tPvRmT3_T4_T5_T6_T7_T9_mT8_P12ihipStream_tbDpT10_ENKUlT_T0_E_clISt17integral_constantIbLb0EES1K_EEDaS1F_S1G_EUlS1F_E_NS1_11comp_targetILNS1_3genE4ELNS1_11target_archE910ELNS1_3gpuE8ELNS1_3repE0EEENS1_30default_config_static_selectorELNS0_4arch9wavefront6targetE0EEEvT1_,"axG",@progbits,_ZN7rocprim17ROCPRIM_400000_NS6detail17trampoline_kernelINS0_14default_configENS1_25partition_config_selectorILNS1_17partition_subalgoE6EdNS0_10empty_typeEbEEZZNS1_14partition_implILS5_6ELb0ES3_mN6thrust23THRUST_200600_302600_NS6detail15normal_iteratorINSA_10device_ptrIdEEEEPS6_SG_NS0_5tupleIJSF_S6_EEENSH_IJSG_SG_EEES6_PlJNSB_9not_fun_tINSB_10functional5actorINSM_9compositeIJNSM_27transparent_binary_operatorINSA_8equal_toIvEEEENSN_INSM_8argumentILj0EEEEENSM_5valueIdEEEEEEEEEEEE10hipError_tPvRmT3_T4_T5_T6_T7_T9_mT8_P12ihipStream_tbDpT10_ENKUlT_T0_E_clISt17integral_constantIbLb0EES1K_EEDaS1F_S1G_EUlS1F_E_NS1_11comp_targetILNS1_3genE4ELNS1_11target_archE910ELNS1_3gpuE8ELNS1_3repE0EEENS1_30default_config_static_selectorELNS0_4arch9wavefront6targetE0EEEvT1_,comdat
	.protected	_ZN7rocprim17ROCPRIM_400000_NS6detail17trampoline_kernelINS0_14default_configENS1_25partition_config_selectorILNS1_17partition_subalgoE6EdNS0_10empty_typeEbEEZZNS1_14partition_implILS5_6ELb0ES3_mN6thrust23THRUST_200600_302600_NS6detail15normal_iteratorINSA_10device_ptrIdEEEEPS6_SG_NS0_5tupleIJSF_S6_EEENSH_IJSG_SG_EEES6_PlJNSB_9not_fun_tINSB_10functional5actorINSM_9compositeIJNSM_27transparent_binary_operatorINSA_8equal_toIvEEEENSN_INSM_8argumentILj0EEEEENSM_5valueIdEEEEEEEEEEEE10hipError_tPvRmT3_T4_T5_T6_T7_T9_mT8_P12ihipStream_tbDpT10_ENKUlT_T0_E_clISt17integral_constantIbLb0EES1K_EEDaS1F_S1G_EUlS1F_E_NS1_11comp_targetILNS1_3genE4ELNS1_11target_archE910ELNS1_3gpuE8ELNS1_3repE0EEENS1_30default_config_static_selectorELNS0_4arch9wavefront6targetE0EEEvT1_ ; -- Begin function _ZN7rocprim17ROCPRIM_400000_NS6detail17trampoline_kernelINS0_14default_configENS1_25partition_config_selectorILNS1_17partition_subalgoE6EdNS0_10empty_typeEbEEZZNS1_14partition_implILS5_6ELb0ES3_mN6thrust23THRUST_200600_302600_NS6detail15normal_iteratorINSA_10device_ptrIdEEEEPS6_SG_NS0_5tupleIJSF_S6_EEENSH_IJSG_SG_EEES6_PlJNSB_9not_fun_tINSB_10functional5actorINSM_9compositeIJNSM_27transparent_binary_operatorINSA_8equal_toIvEEEENSN_INSM_8argumentILj0EEEEENSM_5valueIdEEEEEEEEEEEE10hipError_tPvRmT3_T4_T5_T6_T7_T9_mT8_P12ihipStream_tbDpT10_ENKUlT_T0_E_clISt17integral_constantIbLb0EES1K_EEDaS1F_S1G_EUlS1F_E_NS1_11comp_targetILNS1_3genE4ELNS1_11target_archE910ELNS1_3gpuE8ELNS1_3repE0EEENS1_30default_config_static_selectorELNS0_4arch9wavefront6targetE0EEEvT1_
	.globl	_ZN7rocprim17ROCPRIM_400000_NS6detail17trampoline_kernelINS0_14default_configENS1_25partition_config_selectorILNS1_17partition_subalgoE6EdNS0_10empty_typeEbEEZZNS1_14partition_implILS5_6ELb0ES3_mN6thrust23THRUST_200600_302600_NS6detail15normal_iteratorINSA_10device_ptrIdEEEEPS6_SG_NS0_5tupleIJSF_S6_EEENSH_IJSG_SG_EEES6_PlJNSB_9not_fun_tINSB_10functional5actorINSM_9compositeIJNSM_27transparent_binary_operatorINSA_8equal_toIvEEEENSN_INSM_8argumentILj0EEEEENSM_5valueIdEEEEEEEEEEEE10hipError_tPvRmT3_T4_T5_T6_T7_T9_mT8_P12ihipStream_tbDpT10_ENKUlT_T0_E_clISt17integral_constantIbLb0EES1K_EEDaS1F_S1G_EUlS1F_E_NS1_11comp_targetILNS1_3genE4ELNS1_11target_archE910ELNS1_3gpuE8ELNS1_3repE0EEENS1_30default_config_static_selectorELNS0_4arch9wavefront6targetE0EEEvT1_
	.p2align	8
	.type	_ZN7rocprim17ROCPRIM_400000_NS6detail17trampoline_kernelINS0_14default_configENS1_25partition_config_selectorILNS1_17partition_subalgoE6EdNS0_10empty_typeEbEEZZNS1_14partition_implILS5_6ELb0ES3_mN6thrust23THRUST_200600_302600_NS6detail15normal_iteratorINSA_10device_ptrIdEEEEPS6_SG_NS0_5tupleIJSF_S6_EEENSH_IJSG_SG_EEES6_PlJNSB_9not_fun_tINSB_10functional5actorINSM_9compositeIJNSM_27transparent_binary_operatorINSA_8equal_toIvEEEENSN_INSM_8argumentILj0EEEEENSM_5valueIdEEEEEEEEEEEE10hipError_tPvRmT3_T4_T5_T6_T7_T9_mT8_P12ihipStream_tbDpT10_ENKUlT_T0_E_clISt17integral_constantIbLb0EES1K_EEDaS1F_S1G_EUlS1F_E_NS1_11comp_targetILNS1_3genE4ELNS1_11target_archE910ELNS1_3gpuE8ELNS1_3repE0EEENS1_30default_config_static_selectorELNS0_4arch9wavefront6targetE0EEEvT1_,@function
_ZN7rocprim17ROCPRIM_400000_NS6detail17trampoline_kernelINS0_14default_configENS1_25partition_config_selectorILNS1_17partition_subalgoE6EdNS0_10empty_typeEbEEZZNS1_14partition_implILS5_6ELb0ES3_mN6thrust23THRUST_200600_302600_NS6detail15normal_iteratorINSA_10device_ptrIdEEEEPS6_SG_NS0_5tupleIJSF_S6_EEENSH_IJSG_SG_EEES6_PlJNSB_9not_fun_tINSB_10functional5actorINSM_9compositeIJNSM_27transparent_binary_operatorINSA_8equal_toIvEEEENSN_INSM_8argumentILj0EEEEENSM_5valueIdEEEEEEEEEEEE10hipError_tPvRmT3_T4_T5_T6_T7_T9_mT8_P12ihipStream_tbDpT10_ENKUlT_T0_E_clISt17integral_constantIbLb0EES1K_EEDaS1F_S1G_EUlS1F_E_NS1_11comp_targetILNS1_3genE4ELNS1_11target_archE910ELNS1_3gpuE8ELNS1_3repE0EEENS1_30default_config_static_selectorELNS0_4arch9wavefront6targetE0EEEvT1_: ; @_ZN7rocprim17ROCPRIM_400000_NS6detail17trampoline_kernelINS0_14default_configENS1_25partition_config_selectorILNS1_17partition_subalgoE6EdNS0_10empty_typeEbEEZZNS1_14partition_implILS5_6ELb0ES3_mN6thrust23THRUST_200600_302600_NS6detail15normal_iteratorINSA_10device_ptrIdEEEEPS6_SG_NS0_5tupleIJSF_S6_EEENSH_IJSG_SG_EEES6_PlJNSB_9not_fun_tINSB_10functional5actorINSM_9compositeIJNSM_27transparent_binary_operatorINSA_8equal_toIvEEEENSN_INSM_8argumentILj0EEEEENSM_5valueIdEEEEEEEEEEEE10hipError_tPvRmT3_T4_T5_T6_T7_T9_mT8_P12ihipStream_tbDpT10_ENKUlT_T0_E_clISt17integral_constantIbLb0EES1K_EEDaS1F_S1G_EUlS1F_E_NS1_11comp_targetILNS1_3genE4ELNS1_11target_archE910ELNS1_3gpuE8ELNS1_3repE0EEENS1_30default_config_static_selectorELNS0_4arch9wavefront6targetE0EEEvT1_
; %bb.0:
	.section	.rodata,"a",@progbits
	.p2align	6, 0x0
	.amdhsa_kernel _ZN7rocprim17ROCPRIM_400000_NS6detail17trampoline_kernelINS0_14default_configENS1_25partition_config_selectorILNS1_17partition_subalgoE6EdNS0_10empty_typeEbEEZZNS1_14partition_implILS5_6ELb0ES3_mN6thrust23THRUST_200600_302600_NS6detail15normal_iteratorINSA_10device_ptrIdEEEEPS6_SG_NS0_5tupleIJSF_S6_EEENSH_IJSG_SG_EEES6_PlJNSB_9not_fun_tINSB_10functional5actorINSM_9compositeIJNSM_27transparent_binary_operatorINSA_8equal_toIvEEEENSN_INSM_8argumentILj0EEEEENSM_5valueIdEEEEEEEEEEEE10hipError_tPvRmT3_T4_T5_T6_T7_T9_mT8_P12ihipStream_tbDpT10_ENKUlT_T0_E_clISt17integral_constantIbLb0EES1K_EEDaS1F_S1G_EUlS1F_E_NS1_11comp_targetILNS1_3genE4ELNS1_11target_archE910ELNS1_3gpuE8ELNS1_3repE0EEENS1_30default_config_static_selectorELNS0_4arch9wavefront6targetE0EEEvT1_
		.amdhsa_group_segment_fixed_size 0
		.amdhsa_private_segment_fixed_size 0
		.amdhsa_kernarg_size 128
		.amdhsa_user_sgpr_count 2
		.amdhsa_user_sgpr_dispatch_ptr 0
		.amdhsa_user_sgpr_queue_ptr 0
		.amdhsa_user_sgpr_kernarg_segment_ptr 1
		.amdhsa_user_sgpr_dispatch_id 0
		.amdhsa_user_sgpr_private_segment_size 0
		.amdhsa_wavefront_size32 1
		.amdhsa_uses_dynamic_stack 0
		.amdhsa_enable_private_segment 0
		.amdhsa_system_sgpr_workgroup_id_x 1
		.amdhsa_system_sgpr_workgroup_id_y 0
		.amdhsa_system_sgpr_workgroup_id_z 0
		.amdhsa_system_sgpr_workgroup_info 0
		.amdhsa_system_vgpr_workitem_id 0
		.amdhsa_next_free_vgpr 1
		.amdhsa_next_free_sgpr 1
		.amdhsa_reserve_vcc 0
		.amdhsa_float_round_mode_32 0
		.amdhsa_float_round_mode_16_64 0
		.amdhsa_float_denorm_mode_32 3
		.amdhsa_float_denorm_mode_16_64 3
		.amdhsa_fp16_overflow 0
		.amdhsa_workgroup_processor_mode 1
		.amdhsa_memory_ordered 1
		.amdhsa_forward_progress 1
		.amdhsa_inst_pref_size 0
		.amdhsa_round_robin_scheduling 0
		.amdhsa_exception_fp_ieee_invalid_op 0
		.amdhsa_exception_fp_denorm_src 0
		.amdhsa_exception_fp_ieee_div_zero 0
		.amdhsa_exception_fp_ieee_overflow 0
		.amdhsa_exception_fp_ieee_underflow 0
		.amdhsa_exception_fp_ieee_inexact 0
		.amdhsa_exception_int_div_zero 0
	.end_amdhsa_kernel
	.section	.text._ZN7rocprim17ROCPRIM_400000_NS6detail17trampoline_kernelINS0_14default_configENS1_25partition_config_selectorILNS1_17partition_subalgoE6EdNS0_10empty_typeEbEEZZNS1_14partition_implILS5_6ELb0ES3_mN6thrust23THRUST_200600_302600_NS6detail15normal_iteratorINSA_10device_ptrIdEEEEPS6_SG_NS0_5tupleIJSF_S6_EEENSH_IJSG_SG_EEES6_PlJNSB_9not_fun_tINSB_10functional5actorINSM_9compositeIJNSM_27transparent_binary_operatorINSA_8equal_toIvEEEENSN_INSM_8argumentILj0EEEEENSM_5valueIdEEEEEEEEEEEE10hipError_tPvRmT3_T4_T5_T6_T7_T9_mT8_P12ihipStream_tbDpT10_ENKUlT_T0_E_clISt17integral_constantIbLb0EES1K_EEDaS1F_S1G_EUlS1F_E_NS1_11comp_targetILNS1_3genE4ELNS1_11target_archE910ELNS1_3gpuE8ELNS1_3repE0EEENS1_30default_config_static_selectorELNS0_4arch9wavefront6targetE0EEEvT1_,"axG",@progbits,_ZN7rocprim17ROCPRIM_400000_NS6detail17trampoline_kernelINS0_14default_configENS1_25partition_config_selectorILNS1_17partition_subalgoE6EdNS0_10empty_typeEbEEZZNS1_14partition_implILS5_6ELb0ES3_mN6thrust23THRUST_200600_302600_NS6detail15normal_iteratorINSA_10device_ptrIdEEEEPS6_SG_NS0_5tupleIJSF_S6_EEENSH_IJSG_SG_EEES6_PlJNSB_9not_fun_tINSB_10functional5actorINSM_9compositeIJNSM_27transparent_binary_operatorINSA_8equal_toIvEEEENSN_INSM_8argumentILj0EEEEENSM_5valueIdEEEEEEEEEEEE10hipError_tPvRmT3_T4_T5_T6_T7_T9_mT8_P12ihipStream_tbDpT10_ENKUlT_T0_E_clISt17integral_constantIbLb0EES1K_EEDaS1F_S1G_EUlS1F_E_NS1_11comp_targetILNS1_3genE4ELNS1_11target_archE910ELNS1_3gpuE8ELNS1_3repE0EEENS1_30default_config_static_selectorELNS0_4arch9wavefront6targetE0EEEvT1_,comdat
.Lfunc_end5:
	.size	_ZN7rocprim17ROCPRIM_400000_NS6detail17trampoline_kernelINS0_14default_configENS1_25partition_config_selectorILNS1_17partition_subalgoE6EdNS0_10empty_typeEbEEZZNS1_14partition_implILS5_6ELb0ES3_mN6thrust23THRUST_200600_302600_NS6detail15normal_iteratorINSA_10device_ptrIdEEEEPS6_SG_NS0_5tupleIJSF_S6_EEENSH_IJSG_SG_EEES6_PlJNSB_9not_fun_tINSB_10functional5actorINSM_9compositeIJNSM_27transparent_binary_operatorINSA_8equal_toIvEEEENSN_INSM_8argumentILj0EEEEENSM_5valueIdEEEEEEEEEEEE10hipError_tPvRmT3_T4_T5_T6_T7_T9_mT8_P12ihipStream_tbDpT10_ENKUlT_T0_E_clISt17integral_constantIbLb0EES1K_EEDaS1F_S1G_EUlS1F_E_NS1_11comp_targetILNS1_3genE4ELNS1_11target_archE910ELNS1_3gpuE8ELNS1_3repE0EEENS1_30default_config_static_selectorELNS0_4arch9wavefront6targetE0EEEvT1_, .Lfunc_end5-_ZN7rocprim17ROCPRIM_400000_NS6detail17trampoline_kernelINS0_14default_configENS1_25partition_config_selectorILNS1_17partition_subalgoE6EdNS0_10empty_typeEbEEZZNS1_14partition_implILS5_6ELb0ES3_mN6thrust23THRUST_200600_302600_NS6detail15normal_iteratorINSA_10device_ptrIdEEEEPS6_SG_NS0_5tupleIJSF_S6_EEENSH_IJSG_SG_EEES6_PlJNSB_9not_fun_tINSB_10functional5actorINSM_9compositeIJNSM_27transparent_binary_operatorINSA_8equal_toIvEEEENSN_INSM_8argumentILj0EEEEENSM_5valueIdEEEEEEEEEEEE10hipError_tPvRmT3_T4_T5_T6_T7_T9_mT8_P12ihipStream_tbDpT10_ENKUlT_T0_E_clISt17integral_constantIbLb0EES1K_EEDaS1F_S1G_EUlS1F_E_NS1_11comp_targetILNS1_3genE4ELNS1_11target_archE910ELNS1_3gpuE8ELNS1_3repE0EEENS1_30default_config_static_selectorELNS0_4arch9wavefront6targetE0EEEvT1_
                                        ; -- End function
	.set _ZN7rocprim17ROCPRIM_400000_NS6detail17trampoline_kernelINS0_14default_configENS1_25partition_config_selectorILNS1_17partition_subalgoE6EdNS0_10empty_typeEbEEZZNS1_14partition_implILS5_6ELb0ES3_mN6thrust23THRUST_200600_302600_NS6detail15normal_iteratorINSA_10device_ptrIdEEEEPS6_SG_NS0_5tupleIJSF_S6_EEENSH_IJSG_SG_EEES6_PlJNSB_9not_fun_tINSB_10functional5actorINSM_9compositeIJNSM_27transparent_binary_operatorINSA_8equal_toIvEEEENSN_INSM_8argumentILj0EEEEENSM_5valueIdEEEEEEEEEEEE10hipError_tPvRmT3_T4_T5_T6_T7_T9_mT8_P12ihipStream_tbDpT10_ENKUlT_T0_E_clISt17integral_constantIbLb0EES1K_EEDaS1F_S1G_EUlS1F_E_NS1_11comp_targetILNS1_3genE4ELNS1_11target_archE910ELNS1_3gpuE8ELNS1_3repE0EEENS1_30default_config_static_selectorELNS0_4arch9wavefront6targetE0EEEvT1_.num_vgpr, 0
	.set _ZN7rocprim17ROCPRIM_400000_NS6detail17trampoline_kernelINS0_14default_configENS1_25partition_config_selectorILNS1_17partition_subalgoE6EdNS0_10empty_typeEbEEZZNS1_14partition_implILS5_6ELb0ES3_mN6thrust23THRUST_200600_302600_NS6detail15normal_iteratorINSA_10device_ptrIdEEEEPS6_SG_NS0_5tupleIJSF_S6_EEENSH_IJSG_SG_EEES6_PlJNSB_9not_fun_tINSB_10functional5actorINSM_9compositeIJNSM_27transparent_binary_operatorINSA_8equal_toIvEEEENSN_INSM_8argumentILj0EEEEENSM_5valueIdEEEEEEEEEEEE10hipError_tPvRmT3_T4_T5_T6_T7_T9_mT8_P12ihipStream_tbDpT10_ENKUlT_T0_E_clISt17integral_constantIbLb0EES1K_EEDaS1F_S1G_EUlS1F_E_NS1_11comp_targetILNS1_3genE4ELNS1_11target_archE910ELNS1_3gpuE8ELNS1_3repE0EEENS1_30default_config_static_selectorELNS0_4arch9wavefront6targetE0EEEvT1_.num_agpr, 0
	.set _ZN7rocprim17ROCPRIM_400000_NS6detail17trampoline_kernelINS0_14default_configENS1_25partition_config_selectorILNS1_17partition_subalgoE6EdNS0_10empty_typeEbEEZZNS1_14partition_implILS5_6ELb0ES3_mN6thrust23THRUST_200600_302600_NS6detail15normal_iteratorINSA_10device_ptrIdEEEEPS6_SG_NS0_5tupleIJSF_S6_EEENSH_IJSG_SG_EEES6_PlJNSB_9not_fun_tINSB_10functional5actorINSM_9compositeIJNSM_27transparent_binary_operatorINSA_8equal_toIvEEEENSN_INSM_8argumentILj0EEEEENSM_5valueIdEEEEEEEEEEEE10hipError_tPvRmT3_T4_T5_T6_T7_T9_mT8_P12ihipStream_tbDpT10_ENKUlT_T0_E_clISt17integral_constantIbLb0EES1K_EEDaS1F_S1G_EUlS1F_E_NS1_11comp_targetILNS1_3genE4ELNS1_11target_archE910ELNS1_3gpuE8ELNS1_3repE0EEENS1_30default_config_static_selectorELNS0_4arch9wavefront6targetE0EEEvT1_.numbered_sgpr, 0
	.set _ZN7rocprim17ROCPRIM_400000_NS6detail17trampoline_kernelINS0_14default_configENS1_25partition_config_selectorILNS1_17partition_subalgoE6EdNS0_10empty_typeEbEEZZNS1_14partition_implILS5_6ELb0ES3_mN6thrust23THRUST_200600_302600_NS6detail15normal_iteratorINSA_10device_ptrIdEEEEPS6_SG_NS0_5tupleIJSF_S6_EEENSH_IJSG_SG_EEES6_PlJNSB_9not_fun_tINSB_10functional5actorINSM_9compositeIJNSM_27transparent_binary_operatorINSA_8equal_toIvEEEENSN_INSM_8argumentILj0EEEEENSM_5valueIdEEEEEEEEEEEE10hipError_tPvRmT3_T4_T5_T6_T7_T9_mT8_P12ihipStream_tbDpT10_ENKUlT_T0_E_clISt17integral_constantIbLb0EES1K_EEDaS1F_S1G_EUlS1F_E_NS1_11comp_targetILNS1_3genE4ELNS1_11target_archE910ELNS1_3gpuE8ELNS1_3repE0EEENS1_30default_config_static_selectorELNS0_4arch9wavefront6targetE0EEEvT1_.num_named_barrier, 0
	.set _ZN7rocprim17ROCPRIM_400000_NS6detail17trampoline_kernelINS0_14default_configENS1_25partition_config_selectorILNS1_17partition_subalgoE6EdNS0_10empty_typeEbEEZZNS1_14partition_implILS5_6ELb0ES3_mN6thrust23THRUST_200600_302600_NS6detail15normal_iteratorINSA_10device_ptrIdEEEEPS6_SG_NS0_5tupleIJSF_S6_EEENSH_IJSG_SG_EEES6_PlJNSB_9not_fun_tINSB_10functional5actorINSM_9compositeIJNSM_27transparent_binary_operatorINSA_8equal_toIvEEEENSN_INSM_8argumentILj0EEEEENSM_5valueIdEEEEEEEEEEEE10hipError_tPvRmT3_T4_T5_T6_T7_T9_mT8_P12ihipStream_tbDpT10_ENKUlT_T0_E_clISt17integral_constantIbLb0EES1K_EEDaS1F_S1G_EUlS1F_E_NS1_11comp_targetILNS1_3genE4ELNS1_11target_archE910ELNS1_3gpuE8ELNS1_3repE0EEENS1_30default_config_static_selectorELNS0_4arch9wavefront6targetE0EEEvT1_.private_seg_size, 0
	.set _ZN7rocprim17ROCPRIM_400000_NS6detail17trampoline_kernelINS0_14default_configENS1_25partition_config_selectorILNS1_17partition_subalgoE6EdNS0_10empty_typeEbEEZZNS1_14partition_implILS5_6ELb0ES3_mN6thrust23THRUST_200600_302600_NS6detail15normal_iteratorINSA_10device_ptrIdEEEEPS6_SG_NS0_5tupleIJSF_S6_EEENSH_IJSG_SG_EEES6_PlJNSB_9not_fun_tINSB_10functional5actorINSM_9compositeIJNSM_27transparent_binary_operatorINSA_8equal_toIvEEEENSN_INSM_8argumentILj0EEEEENSM_5valueIdEEEEEEEEEEEE10hipError_tPvRmT3_T4_T5_T6_T7_T9_mT8_P12ihipStream_tbDpT10_ENKUlT_T0_E_clISt17integral_constantIbLb0EES1K_EEDaS1F_S1G_EUlS1F_E_NS1_11comp_targetILNS1_3genE4ELNS1_11target_archE910ELNS1_3gpuE8ELNS1_3repE0EEENS1_30default_config_static_selectorELNS0_4arch9wavefront6targetE0EEEvT1_.uses_vcc, 0
	.set _ZN7rocprim17ROCPRIM_400000_NS6detail17trampoline_kernelINS0_14default_configENS1_25partition_config_selectorILNS1_17partition_subalgoE6EdNS0_10empty_typeEbEEZZNS1_14partition_implILS5_6ELb0ES3_mN6thrust23THRUST_200600_302600_NS6detail15normal_iteratorINSA_10device_ptrIdEEEEPS6_SG_NS0_5tupleIJSF_S6_EEENSH_IJSG_SG_EEES6_PlJNSB_9not_fun_tINSB_10functional5actorINSM_9compositeIJNSM_27transparent_binary_operatorINSA_8equal_toIvEEEENSN_INSM_8argumentILj0EEEEENSM_5valueIdEEEEEEEEEEEE10hipError_tPvRmT3_T4_T5_T6_T7_T9_mT8_P12ihipStream_tbDpT10_ENKUlT_T0_E_clISt17integral_constantIbLb0EES1K_EEDaS1F_S1G_EUlS1F_E_NS1_11comp_targetILNS1_3genE4ELNS1_11target_archE910ELNS1_3gpuE8ELNS1_3repE0EEENS1_30default_config_static_selectorELNS0_4arch9wavefront6targetE0EEEvT1_.uses_flat_scratch, 0
	.set _ZN7rocprim17ROCPRIM_400000_NS6detail17trampoline_kernelINS0_14default_configENS1_25partition_config_selectorILNS1_17partition_subalgoE6EdNS0_10empty_typeEbEEZZNS1_14partition_implILS5_6ELb0ES3_mN6thrust23THRUST_200600_302600_NS6detail15normal_iteratorINSA_10device_ptrIdEEEEPS6_SG_NS0_5tupleIJSF_S6_EEENSH_IJSG_SG_EEES6_PlJNSB_9not_fun_tINSB_10functional5actorINSM_9compositeIJNSM_27transparent_binary_operatorINSA_8equal_toIvEEEENSN_INSM_8argumentILj0EEEEENSM_5valueIdEEEEEEEEEEEE10hipError_tPvRmT3_T4_T5_T6_T7_T9_mT8_P12ihipStream_tbDpT10_ENKUlT_T0_E_clISt17integral_constantIbLb0EES1K_EEDaS1F_S1G_EUlS1F_E_NS1_11comp_targetILNS1_3genE4ELNS1_11target_archE910ELNS1_3gpuE8ELNS1_3repE0EEENS1_30default_config_static_selectorELNS0_4arch9wavefront6targetE0EEEvT1_.has_dyn_sized_stack, 0
	.set _ZN7rocprim17ROCPRIM_400000_NS6detail17trampoline_kernelINS0_14default_configENS1_25partition_config_selectorILNS1_17partition_subalgoE6EdNS0_10empty_typeEbEEZZNS1_14partition_implILS5_6ELb0ES3_mN6thrust23THRUST_200600_302600_NS6detail15normal_iteratorINSA_10device_ptrIdEEEEPS6_SG_NS0_5tupleIJSF_S6_EEENSH_IJSG_SG_EEES6_PlJNSB_9not_fun_tINSB_10functional5actorINSM_9compositeIJNSM_27transparent_binary_operatorINSA_8equal_toIvEEEENSN_INSM_8argumentILj0EEEEENSM_5valueIdEEEEEEEEEEEE10hipError_tPvRmT3_T4_T5_T6_T7_T9_mT8_P12ihipStream_tbDpT10_ENKUlT_T0_E_clISt17integral_constantIbLb0EES1K_EEDaS1F_S1G_EUlS1F_E_NS1_11comp_targetILNS1_3genE4ELNS1_11target_archE910ELNS1_3gpuE8ELNS1_3repE0EEENS1_30default_config_static_selectorELNS0_4arch9wavefront6targetE0EEEvT1_.has_recursion, 0
	.set _ZN7rocprim17ROCPRIM_400000_NS6detail17trampoline_kernelINS0_14default_configENS1_25partition_config_selectorILNS1_17partition_subalgoE6EdNS0_10empty_typeEbEEZZNS1_14partition_implILS5_6ELb0ES3_mN6thrust23THRUST_200600_302600_NS6detail15normal_iteratorINSA_10device_ptrIdEEEEPS6_SG_NS0_5tupleIJSF_S6_EEENSH_IJSG_SG_EEES6_PlJNSB_9not_fun_tINSB_10functional5actorINSM_9compositeIJNSM_27transparent_binary_operatorINSA_8equal_toIvEEEENSN_INSM_8argumentILj0EEEEENSM_5valueIdEEEEEEEEEEEE10hipError_tPvRmT3_T4_T5_T6_T7_T9_mT8_P12ihipStream_tbDpT10_ENKUlT_T0_E_clISt17integral_constantIbLb0EES1K_EEDaS1F_S1G_EUlS1F_E_NS1_11comp_targetILNS1_3genE4ELNS1_11target_archE910ELNS1_3gpuE8ELNS1_3repE0EEENS1_30default_config_static_selectorELNS0_4arch9wavefront6targetE0EEEvT1_.has_indirect_call, 0
	.section	.AMDGPU.csdata,"",@progbits
; Kernel info:
; codeLenInByte = 0
; TotalNumSgprs: 0
; NumVgprs: 0
; ScratchSize: 0
; MemoryBound: 0
; FloatMode: 240
; IeeeMode: 1
; LDSByteSize: 0 bytes/workgroup (compile time only)
; SGPRBlocks: 0
; VGPRBlocks: 0
; NumSGPRsForWavesPerEU: 1
; NumVGPRsForWavesPerEU: 1
; Occupancy: 16
; WaveLimiterHint : 0
; COMPUTE_PGM_RSRC2:SCRATCH_EN: 0
; COMPUTE_PGM_RSRC2:USER_SGPR: 2
; COMPUTE_PGM_RSRC2:TRAP_HANDLER: 0
; COMPUTE_PGM_RSRC2:TGID_X_EN: 1
; COMPUTE_PGM_RSRC2:TGID_Y_EN: 0
; COMPUTE_PGM_RSRC2:TGID_Z_EN: 0
; COMPUTE_PGM_RSRC2:TIDIG_COMP_CNT: 0
	.section	.text._ZN7rocprim17ROCPRIM_400000_NS6detail17trampoline_kernelINS0_14default_configENS1_25partition_config_selectorILNS1_17partition_subalgoE6EdNS0_10empty_typeEbEEZZNS1_14partition_implILS5_6ELb0ES3_mN6thrust23THRUST_200600_302600_NS6detail15normal_iteratorINSA_10device_ptrIdEEEEPS6_SG_NS0_5tupleIJSF_S6_EEENSH_IJSG_SG_EEES6_PlJNSB_9not_fun_tINSB_10functional5actorINSM_9compositeIJNSM_27transparent_binary_operatorINSA_8equal_toIvEEEENSN_INSM_8argumentILj0EEEEENSM_5valueIdEEEEEEEEEEEE10hipError_tPvRmT3_T4_T5_T6_T7_T9_mT8_P12ihipStream_tbDpT10_ENKUlT_T0_E_clISt17integral_constantIbLb0EES1K_EEDaS1F_S1G_EUlS1F_E_NS1_11comp_targetILNS1_3genE3ELNS1_11target_archE908ELNS1_3gpuE7ELNS1_3repE0EEENS1_30default_config_static_selectorELNS0_4arch9wavefront6targetE0EEEvT1_,"axG",@progbits,_ZN7rocprim17ROCPRIM_400000_NS6detail17trampoline_kernelINS0_14default_configENS1_25partition_config_selectorILNS1_17partition_subalgoE6EdNS0_10empty_typeEbEEZZNS1_14partition_implILS5_6ELb0ES3_mN6thrust23THRUST_200600_302600_NS6detail15normal_iteratorINSA_10device_ptrIdEEEEPS6_SG_NS0_5tupleIJSF_S6_EEENSH_IJSG_SG_EEES6_PlJNSB_9not_fun_tINSB_10functional5actorINSM_9compositeIJNSM_27transparent_binary_operatorINSA_8equal_toIvEEEENSN_INSM_8argumentILj0EEEEENSM_5valueIdEEEEEEEEEEEE10hipError_tPvRmT3_T4_T5_T6_T7_T9_mT8_P12ihipStream_tbDpT10_ENKUlT_T0_E_clISt17integral_constantIbLb0EES1K_EEDaS1F_S1G_EUlS1F_E_NS1_11comp_targetILNS1_3genE3ELNS1_11target_archE908ELNS1_3gpuE7ELNS1_3repE0EEENS1_30default_config_static_selectorELNS0_4arch9wavefront6targetE0EEEvT1_,comdat
	.protected	_ZN7rocprim17ROCPRIM_400000_NS6detail17trampoline_kernelINS0_14default_configENS1_25partition_config_selectorILNS1_17partition_subalgoE6EdNS0_10empty_typeEbEEZZNS1_14partition_implILS5_6ELb0ES3_mN6thrust23THRUST_200600_302600_NS6detail15normal_iteratorINSA_10device_ptrIdEEEEPS6_SG_NS0_5tupleIJSF_S6_EEENSH_IJSG_SG_EEES6_PlJNSB_9not_fun_tINSB_10functional5actorINSM_9compositeIJNSM_27transparent_binary_operatorINSA_8equal_toIvEEEENSN_INSM_8argumentILj0EEEEENSM_5valueIdEEEEEEEEEEEE10hipError_tPvRmT3_T4_T5_T6_T7_T9_mT8_P12ihipStream_tbDpT10_ENKUlT_T0_E_clISt17integral_constantIbLb0EES1K_EEDaS1F_S1G_EUlS1F_E_NS1_11comp_targetILNS1_3genE3ELNS1_11target_archE908ELNS1_3gpuE7ELNS1_3repE0EEENS1_30default_config_static_selectorELNS0_4arch9wavefront6targetE0EEEvT1_ ; -- Begin function _ZN7rocprim17ROCPRIM_400000_NS6detail17trampoline_kernelINS0_14default_configENS1_25partition_config_selectorILNS1_17partition_subalgoE6EdNS0_10empty_typeEbEEZZNS1_14partition_implILS5_6ELb0ES3_mN6thrust23THRUST_200600_302600_NS6detail15normal_iteratorINSA_10device_ptrIdEEEEPS6_SG_NS0_5tupleIJSF_S6_EEENSH_IJSG_SG_EEES6_PlJNSB_9not_fun_tINSB_10functional5actorINSM_9compositeIJNSM_27transparent_binary_operatorINSA_8equal_toIvEEEENSN_INSM_8argumentILj0EEEEENSM_5valueIdEEEEEEEEEEEE10hipError_tPvRmT3_T4_T5_T6_T7_T9_mT8_P12ihipStream_tbDpT10_ENKUlT_T0_E_clISt17integral_constantIbLb0EES1K_EEDaS1F_S1G_EUlS1F_E_NS1_11comp_targetILNS1_3genE3ELNS1_11target_archE908ELNS1_3gpuE7ELNS1_3repE0EEENS1_30default_config_static_selectorELNS0_4arch9wavefront6targetE0EEEvT1_
	.globl	_ZN7rocprim17ROCPRIM_400000_NS6detail17trampoline_kernelINS0_14default_configENS1_25partition_config_selectorILNS1_17partition_subalgoE6EdNS0_10empty_typeEbEEZZNS1_14partition_implILS5_6ELb0ES3_mN6thrust23THRUST_200600_302600_NS6detail15normal_iteratorINSA_10device_ptrIdEEEEPS6_SG_NS0_5tupleIJSF_S6_EEENSH_IJSG_SG_EEES6_PlJNSB_9not_fun_tINSB_10functional5actorINSM_9compositeIJNSM_27transparent_binary_operatorINSA_8equal_toIvEEEENSN_INSM_8argumentILj0EEEEENSM_5valueIdEEEEEEEEEEEE10hipError_tPvRmT3_T4_T5_T6_T7_T9_mT8_P12ihipStream_tbDpT10_ENKUlT_T0_E_clISt17integral_constantIbLb0EES1K_EEDaS1F_S1G_EUlS1F_E_NS1_11comp_targetILNS1_3genE3ELNS1_11target_archE908ELNS1_3gpuE7ELNS1_3repE0EEENS1_30default_config_static_selectorELNS0_4arch9wavefront6targetE0EEEvT1_
	.p2align	8
	.type	_ZN7rocprim17ROCPRIM_400000_NS6detail17trampoline_kernelINS0_14default_configENS1_25partition_config_selectorILNS1_17partition_subalgoE6EdNS0_10empty_typeEbEEZZNS1_14partition_implILS5_6ELb0ES3_mN6thrust23THRUST_200600_302600_NS6detail15normal_iteratorINSA_10device_ptrIdEEEEPS6_SG_NS0_5tupleIJSF_S6_EEENSH_IJSG_SG_EEES6_PlJNSB_9not_fun_tINSB_10functional5actorINSM_9compositeIJNSM_27transparent_binary_operatorINSA_8equal_toIvEEEENSN_INSM_8argumentILj0EEEEENSM_5valueIdEEEEEEEEEEEE10hipError_tPvRmT3_T4_T5_T6_T7_T9_mT8_P12ihipStream_tbDpT10_ENKUlT_T0_E_clISt17integral_constantIbLb0EES1K_EEDaS1F_S1G_EUlS1F_E_NS1_11comp_targetILNS1_3genE3ELNS1_11target_archE908ELNS1_3gpuE7ELNS1_3repE0EEENS1_30default_config_static_selectorELNS0_4arch9wavefront6targetE0EEEvT1_,@function
_ZN7rocprim17ROCPRIM_400000_NS6detail17trampoline_kernelINS0_14default_configENS1_25partition_config_selectorILNS1_17partition_subalgoE6EdNS0_10empty_typeEbEEZZNS1_14partition_implILS5_6ELb0ES3_mN6thrust23THRUST_200600_302600_NS6detail15normal_iteratorINSA_10device_ptrIdEEEEPS6_SG_NS0_5tupleIJSF_S6_EEENSH_IJSG_SG_EEES6_PlJNSB_9not_fun_tINSB_10functional5actorINSM_9compositeIJNSM_27transparent_binary_operatorINSA_8equal_toIvEEEENSN_INSM_8argumentILj0EEEEENSM_5valueIdEEEEEEEEEEEE10hipError_tPvRmT3_T4_T5_T6_T7_T9_mT8_P12ihipStream_tbDpT10_ENKUlT_T0_E_clISt17integral_constantIbLb0EES1K_EEDaS1F_S1G_EUlS1F_E_NS1_11comp_targetILNS1_3genE3ELNS1_11target_archE908ELNS1_3gpuE7ELNS1_3repE0EEENS1_30default_config_static_selectorELNS0_4arch9wavefront6targetE0EEEvT1_: ; @_ZN7rocprim17ROCPRIM_400000_NS6detail17trampoline_kernelINS0_14default_configENS1_25partition_config_selectorILNS1_17partition_subalgoE6EdNS0_10empty_typeEbEEZZNS1_14partition_implILS5_6ELb0ES3_mN6thrust23THRUST_200600_302600_NS6detail15normal_iteratorINSA_10device_ptrIdEEEEPS6_SG_NS0_5tupleIJSF_S6_EEENSH_IJSG_SG_EEES6_PlJNSB_9not_fun_tINSB_10functional5actorINSM_9compositeIJNSM_27transparent_binary_operatorINSA_8equal_toIvEEEENSN_INSM_8argumentILj0EEEEENSM_5valueIdEEEEEEEEEEEE10hipError_tPvRmT3_T4_T5_T6_T7_T9_mT8_P12ihipStream_tbDpT10_ENKUlT_T0_E_clISt17integral_constantIbLb0EES1K_EEDaS1F_S1G_EUlS1F_E_NS1_11comp_targetILNS1_3genE3ELNS1_11target_archE908ELNS1_3gpuE7ELNS1_3repE0EEENS1_30default_config_static_selectorELNS0_4arch9wavefront6targetE0EEEvT1_
; %bb.0:
	.section	.rodata,"a",@progbits
	.p2align	6, 0x0
	.amdhsa_kernel _ZN7rocprim17ROCPRIM_400000_NS6detail17trampoline_kernelINS0_14default_configENS1_25partition_config_selectorILNS1_17partition_subalgoE6EdNS0_10empty_typeEbEEZZNS1_14partition_implILS5_6ELb0ES3_mN6thrust23THRUST_200600_302600_NS6detail15normal_iteratorINSA_10device_ptrIdEEEEPS6_SG_NS0_5tupleIJSF_S6_EEENSH_IJSG_SG_EEES6_PlJNSB_9not_fun_tINSB_10functional5actorINSM_9compositeIJNSM_27transparent_binary_operatorINSA_8equal_toIvEEEENSN_INSM_8argumentILj0EEEEENSM_5valueIdEEEEEEEEEEEE10hipError_tPvRmT3_T4_T5_T6_T7_T9_mT8_P12ihipStream_tbDpT10_ENKUlT_T0_E_clISt17integral_constantIbLb0EES1K_EEDaS1F_S1G_EUlS1F_E_NS1_11comp_targetILNS1_3genE3ELNS1_11target_archE908ELNS1_3gpuE7ELNS1_3repE0EEENS1_30default_config_static_selectorELNS0_4arch9wavefront6targetE0EEEvT1_
		.amdhsa_group_segment_fixed_size 0
		.amdhsa_private_segment_fixed_size 0
		.amdhsa_kernarg_size 128
		.amdhsa_user_sgpr_count 2
		.amdhsa_user_sgpr_dispatch_ptr 0
		.amdhsa_user_sgpr_queue_ptr 0
		.amdhsa_user_sgpr_kernarg_segment_ptr 1
		.amdhsa_user_sgpr_dispatch_id 0
		.amdhsa_user_sgpr_private_segment_size 0
		.amdhsa_wavefront_size32 1
		.amdhsa_uses_dynamic_stack 0
		.amdhsa_enable_private_segment 0
		.amdhsa_system_sgpr_workgroup_id_x 1
		.amdhsa_system_sgpr_workgroup_id_y 0
		.amdhsa_system_sgpr_workgroup_id_z 0
		.amdhsa_system_sgpr_workgroup_info 0
		.amdhsa_system_vgpr_workitem_id 0
		.amdhsa_next_free_vgpr 1
		.amdhsa_next_free_sgpr 1
		.amdhsa_reserve_vcc 0
		.amdhsa_float_round_mode_32 0
		.amdhsa_float_round_mode_16_64 0
		.amdhsa_float_denorm_mode_32 3
		.amdhsa_float_denorm_mode_16_64 3
		.amdhsa_fp16_overflow 0
		.amdhsa_workgroup_processor_mode 1
		.amdhsa_memory_ordered 1
		.amdhsa_forward_progress 1
		.amdhsa_inst_pref_size 0
		.amdhsa_round_robin_scheduling 0
		.amdhsa_exception_fp_ieee_invalid_op 0
		.amdhsa_exception_fp_denorm_src 0
		.amdhsa_exception_fp_ieee_div_zero 0
		.amdhsa_exception_fp_ieee_overflow 0
		.amdhsa_exception_fp_ieee_underflow 0
		.amdhsa_exception_fp_ieee_inexact 0
		.amdhsa_exception_int_div_zero 0
	.end_amdhsa_kernel
	.section	.text._ZN7rocprim17ROCPRIM_400000_NS6detail17trampoline_kernelINS0_14default_configENS1_25partition_config_selectorILNS1_17partition_subalgoE6EdNS0_10empty_typeEbEEZZNS1_14partition_implILS5_6ELb0ES3_mN6thrust23THRUST_200600_302600_NS6detail15normal_iteratorINSA_10device_ptrIdEEEEPS6_SG_NS0_5tupleIJSF_S6_EEENSH_IJSG_SG_EEES6_PlJNSB_9not_fun_tINSB_10functional5actorINSM_9compositeIJNSM_27transparent_binary_operatorINSA_8equal_toIvEEEENSN_INSM_8argumentILj0EEEEENSM_5valueIdEEEEEEEEEEEE10hipError_tPvRmT3_T4_T5_T6_T7_T9_mT8_P12ihipStream_tbDpT10_ENKUlT_T0_E_clISt17integral_constantIbLb0EES1K_EEDaS1F_S1G_EUlS1F_E_NS1_11comp_targetILNS1_3genE3ELNS1_11target_archE908ELNS1_3gpuE7ELNS1_3repE0EEENS1_30default_config_static_selectorELNS0_4arch9wavefront6targetE0EEEvT1_,"axG",@progbits,_ZN7rocprim17ROCPRIM_400000_NS6detail17trampoline_kernelINS0_14default_configENS1_25partition_config_selectorILNS1_17partition_subalgoE6EdNS0_10empty_typeEbEEZZNS1_14partition_implILS5_6ELb0ES3_mN6thrust23THRUST_200600_302600_NS6detail15normal_iteratorINSA_10device_ptrIdEEEEPS6_SG_NS0_5tupleIJSF_S6_EEENSH_IJSG_SG_EEES6_PlJNSB_9not_fun_tINSB_10functional5actorINSM_9compositeIJNSM_27transparent_binary_operatorINSA_8equal_toIvEEEENSN_INSM_8argumentILj0EEEEENSM_5valueIdEEEEEEEEEEEE10hipError_tPvRmT3_T4_T5_T6_T7_T9_mT8_P12ihipStream_tbDpT10_ENKUlT_T0_E_clISt17integral_constantIbLb0EES1K_EEDaS1F_S1G_EUlS1F_E_NS1_11comp_targetILNS1_3genE3ELNS1_11target_archE908ELNS1_3gpuE7ELNS1_3repE0EEENS1_30default_config_static_selectorELNS0_4arch9wavefront6targetE0EEEvT1_,comdat
.Lfunc_end6:
	.size	_ZN7rocprim17ROCPRIM_400000_NS6detail17trampoline_kernelINS0_14default_configENS1_25partition_config_selectorILNS1_17partition_subalgoE6EdNS0_10empty_typeEbEEZZNS1_14partition_implILS5_6ELb0ES3_mN6thrust23THRUST_200600_302600_NS6detail15normal_iteratorINSA_10device_ptrIdEEEEPS6_SG_NS0_5tupleIJSF_S6_EEENSH_IJSG_SG_EEES6_PlJNSB_9not_fun_tINSB_10functional5actorINSM_9compositeIJNSM_27transparent_binary_operatorINSA_8equal_toIvEEEENSN_INSM_8argumentILj0EEEEENSM_5valueIdEEEEEEEEEEEE10hipError_tPvRmT3_T4_T5_T6_T7_T9_mT8_P12ihipStream_tbDpT10_ENKUlT_T0_E_clISt17integral_constantIbLb0EES1K_EEDaS1F_S1G_EUlS1F_E_NS1_11comp_targetILNS1_3genE3ELNS1_11target_archE908ELNS1_3gpuE7ELNS1_3repE0EEENS1_30default_config_static_selectorELNS0_4arch9wavefront6targetE0EEEvT1_, .Lfunc_end6-_ZN7rocprim17ROCPRIM_400000_NS6detail17trampoline_kernelINS0_14default_configENS1_25partition_config_selectorILNS1_17partition_subalgoE6EdNS0_10empty_typeEbEEZZNS1_14partition_implILS5_6ELb0ES3_mN6thrust23THRUST_200600_302600_NS6detail15normal_iteratorINSA_10device_ptrIdEEEEPS6_SG_NS0_5tupleIJSF_S6_EEENSH_IJSG_SG_EEES6_PlJNSB_9not_fun_tINSB_10functional5actorINSM_9compositeIJNSM_27transparent_binary_operatorINSA_8equal_toIvEEEENSN_INSM_8argumentILj0EEEEENSM_5valueIdEEEEEEEEEEEE10hipError_tPvRmT3_T4_T5_T6_T7_T9_mT8_P12ihipStream_tbDpT10_ENKUlT_T0_E_clISt17integral_constantIbLb0EES1K_EEDaS1F_S1G_EUlS1F_E_NS1_11comp_targetILNS1_3genE3ELNS1_11target_archE908ELNS1_3gpuE7ELNS1_3repE0EEENS1_30default_config_static_selectorELNS0_4arch9wavefront6targetE0EEEvT1_
                                        ; -- End function
	.set _ZN7rocprim17ROCPRIM_400000_NS6detail17trampoline_kernelINS0_14default_configENS1_25partition_config_selectorILNS1_17partition_subalgoE6EdNS0_10empty_typeEbEEZZNS1_14partition_implILS5_6ELb0ES3_mN6thrust23THRUST_200600_302600_NS6detail15normal_iteratorINSA_10device_ptrIdEEEEPS6_SG_NS0_5tupleIJSF_S6_EEENSH_IJSG_SG_EEES6_PlJNSB_9not_fun_tINSB_10functional5actorINSM_9compositeIJNSM_27transparent_binary_operatorINSA_8equal_toIvEEEENSN_INSM_8argumentILj0EEEEENSM_5valueIdEEEEEEEEEEEE10hipError_tPvRmT3_T4_T5_T6_T7_T9_mT8_P12ihipStream_tbDpT10_ENKUlT_T0_E_clISt17integral_constantIbLb0EES1K_EEDaS1F_S1G_EUlS1F_E_NS1_11comp_targetILNS1_3genE3ELNS1_11target_archE908ELNS1_3gpuE7ELNS1_3repE0EEENS1_30default_config_static_selectorELNS0_4arch9wavefront6targetE0EEEvT1_.num_vgpr, 0
	.set _ZN7rocprim17ROCPRIM_400000_NS6detail17trampoline_kernelINS0_14default_configENS1_25partition_config_selectorILNS1_17partition_subalgoE6EdNS0_10empty_typeEbEEZZNS1_14partition_implILS5_6ELb0ES3_mN6thrust23THRUST_200600_302600_NS6detail15normal_iteratorINSA_10device_ptrIdEEEEPS6_SG_NS0_5tupleIJSF_S6_EEENSH_IJSG_SG_EEES6_PlJNSB_9not_fun_tINSB_10functional5actorINSM_9compositeIJNSM_27transparent_binary_operatorINSA_8equal_toIvEEEENSN_INSM_8argumentILj0EEEEENSM_5valueIdEEEEEEEEEEEE10hipError_tPvRmT3_T4_T5_T6_T7_T9_mT8_P12ihipStream_tbDpT10_ENKUlT_T0_E_clISt17integral_constantIbLb0EES1K_EEDaS1F_S1G_EUlS1F_E_NS1_11comp_targetILNS1_3genE3ELNS1_11target_archE908ELNS1_3gpuE7ELNS1_3repE0EEENS1_30default_config_static_selectorELNS0_4arch9wavefront6targetE0EEEvT1_.num_agpr, 0
	.set _ZN7rocprim17ROCPRIM_400000_NS6detail17trampoline_kernelINS0_14default_configENS1_25partition_config_selectorILNS1_17partition_subalgoE6EdNS0_10empty_typeEbEEZZNS1_14partition_implILS5_6ELb0ES3_mN6thrust23THRUST_200600_302600_NS6detail15normal_iteratorINSA_10device_ptrIdEEEEPS6_SG_NS0_5tupleIJSF_S6_EEENSH_IJSG_SG_EEES6_PlJNSB_9not_fun_tINSB_10functional5actorINSM_9compositeIJNSM_27transparent_binary_operatorINSA_8equal_toIvEEEENSN_INSM_8argumentILj0EEEEENSM_5valueIdEEEEEEEEEEEE10hipError_tPvRmT3_T4_T5_T6_T7_T9_mT8_P12ihipStream_tbDpT10_ENKUlT_T0_E_clISt17integral_constantIbLb0EES1K_EEDaS1F_S1G_EUlS1F_E_NS1_11comp_targetILNS1_3genE3ELNS1_11target_archE908ELNS1_3gpuE7ELNS1_3repE0EEENS1_30default_config_static_selectorELNS0_4arch9wavefront6targetE0EEEvT1_.numbered_sgpr, 0
	.set _ZN7rocprim17ROCPRIM_400000_NS6detail17trampoline_kernelINS0_14default_configENS1_25partition_config_selectorILNS1_17partition_subalgoE6EdNS0_10empty_typeEbEEZZNS1_14partition_implILS5_6ELb0ES3_mN6thrust23THRUST_200600_302600_NS6detail15normal_iteratorINSA_10device_ptrIdEEEEPS6_SG_NS0_5tupleIJSF_S6_EEENSH_IJSG_SG_EEES6_PlJNSB_9not_fun_tINSB_10functional5actorINSM_9compositeIJNSM_27transparent_binary_operatorINSA_8equal_toIvEEEENSN_INSM_8argumentILj0EEEEENSM_5valueIdEEEEEEEEEEEE10hipError_tPvRmT3_T4_T5_T6_T7_T9_mT8_P12ihipStream_tbDpT10_ENKUlT_T0_E_clISt17integral_constantIbLb0EES1K_EEDaS1F_S1G_EUlS1F_E_NS1_11comp_targetILNS1_3genE3ELNS1_11target_archE908ELNS1_3gpuE7ELNS1_3repE0EEENS1_30default_config_static_selectorELNS0_4arch9wavefront6targetE0EEEvT1_.num_named_barrier, 0
	.set _ZN7rocprim17ROCPRIM_400000_NS6detail17trampoline_kernelINS0_14default_configENS1_25partition_config_selectorILNS1_17partition_subalgoE6EdNS0_10empty_typeEbEEZZNS1_14partition_implILS5_6ELb0ES3_mN6thrust23THRUST_200600_302600_NS6detail15normal_iteratorINSA_10device_ptrIdEEEEPS6_SG_NS0_5tupleIJSF_S6_EEENSH_IJSG_SG_EEES6_PlJNSB_9not_fun_tINSB_10functional5actorINSM_9compositeIJNSM_27transparent_binary_operatorINSA_8equal_toIvEEEENSN_INSM_8argumentILj0EEEEENSM_5valueIdEEEEEEEEEEEE10hipError_tPvRmT3_T4_T5_T6_T7_T9_mT8_P12ihipStream_tbDpT10_ENKUlT_T0_E_clISt17integral_constantIbLb0EES1K_EEDaS1F_S1G_EUlS1F_E_NS1_11comp_targetILNS1_3genE3ELNS1_11target_archE908ELNS1_3gpuE7ELNS1_3repE0EEENS1_30default_config_static_selectorELNS0_4arch9wavefront6targetE0EEEvT1_.private_seg_size, 0
	.set _ZN7rocprim17ROCPRIM_400000_NS6detail17trampoline_kernelINS0_14default_configENS1_25partition_config_selectorILNS1_17partition_subalgoE6EdNS0_10empty_typeEbEEZZNS1_14partition_implILS5_6ELb0ES3_mN6thrust23THRUST_200600_302600_NS6detail15normal_iteratorINSA_10device_ptrIdEEEEPS6_SG_NS0_5tupleIJSF_S6_EEENSH_IJSG_SG_EEES6_PlJNSB_9not_fun_tINSB_10functional5actorINSM_9compositeIJNSM_27transparent_binary_operatorINSA_8equal_toIvEEEENSN_INSM_8argumentILj0EEEEENSM_5valueIdEEEEEEEEEEEE10hipError_tPvRmT3_T4_T5_T6_T7_T9_mT8_P12ihipStream_tbDpT10_ENKUlT_T0_E_clISt17integral_constantIbLb0EES1K_EEDaS1F_S1G_EUlS1F_E_NS1_11comp_targetILNS1_3genE3ELNS1_11target_archE908ELNS1_3gpuE7ELNS1_3repE0EEENS1_30default_config_static_selectorELNS0_4arch9wavefront6targetE0EEEvT1_.uses_vcc, 0
	.set _ZN7rocprim17ROCPRIM_400000_NS6detail17trampoline_kernelINS0_14default_configENS1_25partition_config_selectorILNS1_17partition_subalgoE6EdNS0_10empty_typeEbEEZZNS1_14partition_implILS5_6ELb0ES3_mN6thrust23THRUST_200600_302600_NS6detail15normal_iteratorINSA_10device_ptrIdEEEEPS6_SG_NS0_5tupleIJSF_S6_EEENSH_IJSG_SG_EEES6_PlJNSB_9not_fun_tINSB_10functional5actorINSM_9compositeIJNSM_27transparent_binary_operatorINSA_8equal_toIvEEEENSN_INSM_8argumentILj0EEEEENSM_5valueIdEEEEEEEEEEEE10hipError_tPvRmT3_T4_T5_T6_T7_T9_mT8_P12ihipStream_tbDpT10_ENKUlT_T0_E_clISt17integral_constantIbLb0EES1K_EEDaS1F_S1G_EUlS1F_E_NS1_11comp_targetILNS1_3genE3ELNS1_11target_archE908ELNS1_3gpuE7ELNS1_3repE0EEENS1_30default_config_static_selectorELNS0_4arch9wavefront6targetE0EEEvT1_.uses_flat_scratch, 0
	.set _ZN7rocprim17ROCPRIM_400000_NS6detail17trampoline_kernelINS0_14default_configENS1_25partition_config_selectorILNS1_17partition_subalgoE6EdNS0_10empty_typeEbEEZZNS1_14partition_implILS5_6ELb0ES3_mN6thrust23THRUST_200600_302600_NS6detail15normal_iteratorINSA_10device_ptrIdEEEEPS6_SG_NS0_5tupleIJSF_S6_EEENSH_IJSG_SG_EEES6_PlJNSB_9not_fun_tINSB_10functional5actorINSM_9compositeIJNSM_27transparent_binary_operatorINSA_8equal_toIvEEEENSN_INSM_8argumentILj0EEEEENSM_5valueIdEEEEEEEEEEEE10hipError_tPvRmT3_T4_T5_T6_T7_T9_mT8_P12ihipStream_tbDpT10_ENKUlT_T0_E_clISt17integral_constantIbLb0EES1K_EEDaS1F_S1G_EUlS1F_E_NS1_11comp_targetILNS1_3genE3ELNS1_11target_archE908ELNS1_3gpuE7ELNS1_3repE0EEENS1_30default_config_static_selectorELNS0_4arch9wavefront6targetE0EEEvT1_.has_dyn_sized_stack, 0
	.set _ZN7rocprim17ROCPRIM_400000_NS6detail17trampoline_kernelINS0_14default_configENS1_25partition_config_selectorILNS1_17partition_subalgoE6EdNS0_10empty_typeEbEEZZNS1_14partition_implILS5_6ELb0ES3_mN6thrust23THRUST_200600_302600_NS6detail15normal_iteratorINSA_10device_ptrIdEEEEPS6_SG_NS0_5tupleIJSF_S6_EEENSH_IJSG_SG_EEES6_PlJNSB_9not_fun_tINSB_10functional5actorINSM_9compositeIJNSM_27transparent_binary_operatorINSA_8equal_toIvEEEENSN_INSM_8argumentILj0EEEEENSM_5valueIdEEEEEEEEEEEE10hipError_tPvRmT3_T4_T5_T6_T7_T9_mT8_P12ihipStream_tbDpT10_ENKUlT_T0_E_clISt17integral_constantIbLb0EES1K_EEDaS1F_S1G_EUlS1F_E_NS1_11comp_targetILNS1_3genE3ELNS1_11target_archE908ELNS1_3gpuE7ELNS1_3repE0EEENS1_30default_config_static_selectorELNS0_4arch9wavefront6targetE0EEEvT1_.has_recursion, 0
	.set _ZN7rocprim17ROCPRIM_400000_NS6detail17trampoline_kernelINS0_14default_configENS1_25partition_config_selectorILNS1_17partition_subalgoE6EdNS0_10empty_typeEbEEZZNS1_14partition_implILS5_6ELb0ES3_mN6thrust23THRUST_200600_302600_NS6detail15normal_iteratorINSA_10device_ptrIdEEEEPS6_SG_NS0_5tupleIJSF_S6_EEENSH_IJSG_SG_EEES6_PlJNSB_9not_fun_tINSB_10functional5actorINSM_9compositeIJNSM_27transparent_binary_operatorINSA_8equal_toIvEEEENSN_INSM_8argumentILj0EEEEENSM_5valueIdEEEEEEEEEEEE10hipError_tPvRmT3_T4_T5_T6_T7_T9_mT8_P12ihipStream_tbDpT10_ENKUlT_T0_E_clISt17integral_constantIbLb0EES1K_EEDaS1F_S1G_EUlS1F_E_NS1_11comp_targetILNS1_3genE3ELNS1_11target_archE908ELNS1_3gpuE7ELNS1_3repE0EEENS1_30default_config_static_selectorELNS0_4arch9wavefront6targetE0EEEvT1_.has_indirect_call, 0
	.section	.AMDGPU.csdata,"",@progbits
; Kernel info:
; codeLenInByte = 0
; TotalNumSgprs: 0
; NumVgprs: 0
; ScratchSize: 0
; MemoryBound: 0
; FloatMode: 240
; IeeeMode: 1
; LDSByteSize: 0 bytes/workgroup (compile time only)
; SGPRBlocks: 0
; VGPRBlocks: 0
; NumSGPRsForWavesPerEU: 1
; NumVGPRsForWavesPerEU: 1
; Occupancy: 16
; WaveLimiterHint : 0
; COMPUTE_PGM_RSRC2:SCRATCH_EN: 0
; COMPUTE_PGM_RSRC2:USER_SGPR: 2
; COMPUTE_PGM_RSRC2:TRAP_HANDLER: 0
; COMPUTE_PGM_RSRC2:TGID_X_EN: 1
; COMPUTE_PGM_RSRC2:TGID_Y_EN: 0
; COMPUTE_PGM_RSRC2:TGID_Z_EN: 0
; COMPUTE_PGM_RSRC2:TIDIG_COMP_CNT: 0
	.section	.text._ZN7rocprim17ROCPRIM_400000_NS6detail17trampoline_kernelINS0_14default_configENS1_25partition_config_selectorILNS1_17partition_subalgoE6EdNS0_10empty_typeEbEEZZNS1_14partition_implILS5_6ELb0ES3_mN6thrust23THRUST_200600_302600_NS6detail15normal_iteratorINSA_10device_ptrIdEEEEPS6_SG_NS0_5tupleIJSF_S6_EEENSH_IJSG_SG_EEES6_PlJNSB_9not_fun_tINSB_10functional5actorINSM_9compositeIJNSM_27transparent_binary_operatorINSA_8equal_toIvEEEENSN_INSM_8argumentILj0EEEEENSM_5valueIdEEEEEEEEEEEE10hipError_tPvRmT3_T4_T5_T6_T7_T9_mT8_P12ihipStream_tbDpT10_ENKUlT_T0_E_clISt17integral_constantIbLb0EES1K_EEDaS1F_S1G_EUlS1F_E_NS1_11comp_targetILNS1_3genE2ELNS1_11target_archE906ELNS1_3gpuE6ELNS1_3repE0EEENS1_30default_config_static_selectorELNS0_4arch9wavefront6targetE0EEEvT1_,"axG",@progbits,_ZN7rocprim17ROCPRIM_400000_NS6detail17trampoline_kernelINS0_14default_configENS1_25partition_config_selectorILNS1_17partition_subalgoE6EdNS0_10empty_typeEbEEZZNS1_14partition_implILS5_6ELb0ES3_mN6thrust23THRUST_200600_302600_NS6detail15normal_iteratorINSA_10device_ptrIdEEEEPS6_SG_NS0_5tupleIJSF_S6_EEENSH_IJSG_SG_EEES6_PlJNSB_9not_fun_tINSB_10functional5actorINSM_9compositeIJNSM_27transparent_binary_operatorINSA_8equal_toIvEEEENSN_INSM_8argumentILj0EEEEENSM_5valueIdEEEEEEEEEEEE10hipError_tPvRmT3_T4_T5_T6_T7_T9_mT8_P12ihipStream_tbDpT10_ENKUlT_T0_E_clISt17integral_constantIbLb0EES1K_EEDaS1F_S1G_EUlS1F_E_NS1_11comp_targetILNS1_3genE2ELNS1_11target_archE906ELNS1_3gpuE6ELNS1_3repE0EEENS1_30default_config_static_selectorELNS0_4arch9wavefront6targetE0EEEvT1_,comdat
	.protected	_ZN7rocprim17ROCPRIM_400000_NS6detail17trampoline_kernelINS0_14default_configENS1_25partition_config_selectorILNS1_17partition_subalgoE6EdNS0_10empty_typeEbEEZZNS1_14partition_implILS5_6ELb0ES3_mN6thrust23THRUST_200600_302600_NS6detail15normal_iteratorINSA_10device_ptrIdEEEEPS6_SG_NS0_5tupleIJSF_S6_EEENSH_IJSG_SG_EEES6_PlJNSB_9not_fun_tINSB_10functional5actorINSM_9compositeIJNSM_27transparent_binary_operatorINSA_8equal_toIvEEEENSN_INSM_8argumentILj0EEEEENSM_5valueIdEEEEEEEEEEEE10hipError_tPvRmT3_T4_T5_T6_T7_T9_mT8_P12ihipStream_tbDpT10_ENKUlT_T0_E_clISt17integral_constantIbLb0EES1K_EEDaS1F_S1G_EUlS1F_E_NS1_11comp_targetILNS1_3genE2ELNS1_11target_archE906ELNS1_3gpuE6ELNS1_3repE0EEENS1_30default_config_static_selectorELNS0_4arch9wavefront6targetE0EEEvT1_ ; -- Begin function _ZN7rocprim17ROCPRIM_400000_NS6detail17trampoline_kernelINS0_14default_configENS1_25partition_config_selectorILNS1_17partition_subalgoE6EdNS0_10empty_typeEbEEZZNS1_14partition_implILS5_6ELb0ES3_mN6thrust23THRUST_200600_302600_NS6detail15normal_iteratorINSA_10device_ptrIdEEEEPS6_SG_NS0_5tupleIJSF_S6_EEENSH_IJSG_SG_EEES6_PlJNSB_9not_fun_tINSB_10functional5actorINSM_9compositeIJNSM_27transparent_binary_operatorINSA_8equal_toIvEEEENSN_INSM_8argumentILj0EEEEENSM_5valueIdEEEEEEEEEEEE10hipError_tPvRmT3_T4_T5_T6_T7_T9_mT8_P12ihipStream_tbDpT10_ENKUlT_T0_E_clISt17integral_constantIbLb0EES1K_EEDaS1F_S1G_EUlS1F_E_NS1_11comp_targetILNS1_3genE2ELNS1_11target_archE906ELNS1_3gpuE6ELNS1_3repE0EEENS1_30default_config_static_selectorELNS0_4arch9wavefront6targetE0EEEvT1_
	.globl	_ZN7rocprim17ROCPRIM_400000_NS6detail17trampoline_kernelINS0_14default_configENS1_25partition_config_selectorILNS1_17partition_subalgoE6EdNS0_10empty_typeEbEEZZNS1_14partition_implILS5_6ELb0ES3_mN6thrust23THRUST_200600_302600_NS6detail15normal_iteratorINSA_10device_ptrIdEEEEPS6_SG_NS0_5tupleIJSF_S6_EEENSH_IJSG_SG_EEES6_PlJNSB_9not_fun_tINSB_10functional5actorINSM_9compositeIJNSM_27transparent_binary_operatorINSA_8equal_toIvEEEENSN_INSM_8argumentILj0EEEEENSM_5valueIdEEEEEEEEEEEE10hipError_tPvRmT3_T4_T5_T6_T7_T9_mT8_P12ihipStream_tbDpT10_ENKUlT_T0_E_clISt17integral_constantIbLb0EES1K_EEDaS1F_S1G_EUlS1F_E_NS1_11comp_targetILNS1_3genE2ELNS1_11target_archE906ELNS1_3gpuE6ELNS1_3repE0EEENS1_30default_config_static_selectorELNS0_4arch9wavefront6targetE0EEEvT1_
	.p2align	8
	.type	_ZN7rocprim17ROCPRIM_400000_NS6detail17trampoline_kernelINS0_14default_configENS1_25partition_config_selectorILNS1_17partition_subalgoE6EdNS0_10empty_typeEbEEZZNS1_14partition_implILS5_6ELb0ES3_mN6thrust23THRUST_200600_302600_NS6detail15normal_iteratorINSA_10device_ptrIdEEEEPS6_SG_NS0_5tupleIJSF_S6_EEENSH_IJSG_SG_EEES6_PlJNSB_9not_fun_tINSB_10functional5actorINSM_9compositeIJNSM_27transparent_binary_operatorINSA_8equal_toIvEEEENSN_INSM_8argumentILj0EEEEENSM_5valueIdEEEEEEEEEEEE10hipError_tPvRmT3_T4_T5_T6_T7_T9_mT8_P12ihipStream_tbDpT10_ENKUlT_T0_E_clISt17integral_constantIbLb0EES1K_EEDaS1F_S1G_EUlS1F_E_NS1_11comp_targetILNS1_3genE2ELNS1_11target_archE906ELNS1_3gpuE6ELNS1_3repE0EEENS1_30default_config_static_selectorELNS0_4arch9wavefront6targetE0EEEvT1_,@function
_ZN7rocprim17ROCPRIM_400000_NS6detail17trampoline_kernelINS0_14default_configENS1_25partition_config_selectorILNS1_17partition_subalgoE6EdNS0_10empty_typeEbEEZZNS1_14partition_implILS5_6ELb0ES3_mN6thrust23THRUST_200600_302600_NS6detail15normal_iteratorINSA_10device_ptrIdEEEEPS6_SG_NS0_5tupleIJSF_S6_EEENSH_IJSG_SG_EEES6_PlJNSB_9not_fun_tINSB_10functional5actorINSM_9compositeIJNSM_27transparent_binary_operatorINSA_8equal_toIvEEEENSN_INSM_8argumentILj0EEEEENSM_5valueIdEEEEEEEEEEEE10hipError_tPvRmT3_T4_T5_T6_T7_T9_mT8_P12ihipStream_tbDpT10_ENKUlT_T0_E_clISt17integral_constantIbLb0EES1K_EEDaS1F_S1G_EUlS1F_E_NS1_11comp_targetILNS1_3genE2ELNS1_11target_archE906ELNS1_3gpuE6ELNS1_3repE0EEENS1_30default_config_static_selectorELNS0_4arch9wavefront6targetE0EEEvT1_: ; @_ZN7rocprim17ROCPRIM_400000_NS6detail17trampoline_kernelINS0_14default_configENS1_25partition_config_selectorILNS1_17partition_subalgoE6EdNS0_10empty_typeEbEEZZNS1_14partition_implILS5_6ELb0ES3_mN6thrust23THRUST_200600_302600_NS6detail15normal_iteratorINSA_10device_ptrIdEEEEPS6_SG_NS0_5tupleIJSF_S6_EEENSH_IJSG_SG_EEES6_PlJNSB_9not_fun_tINSB_10functional5actorINSM_9compositeIJNSM_27transparent_binary_operatorINSA_8equal_toIvEEEENSN_INSM_8argumentILj0EEEEENSM_5valueIdEEEEEEEEEEEE10hipError_tPvRmT3_T4_T5_T6_T7_T9_mT8_P12ihipStream_tbDpT10_ENKUlT_T0_E_clISt17integral_constantIbLb0EES1K_EEDaS1F_S1G_EUlS1F_E_NS1_11comp_targetILNS1_3genE2ELNS1_11target_archE906ELNS1_3gpuE6ELNS1_3repE0EEENS1_30default_config_static_selectorELNS0_4arch9wavefront6targetE0EEEvT1_
; %bb.0:
	.section	.rodata,"a",@progbits
	.p2align	6, 0x0
	.amdhsa_kernel _ZN7rocprim17ROCPRIM_400000_NS6detail17trampoline_kernelINS0_14default_configENS1_25partition_config_selectorILNS1_17partition_subalgoE6EdNS0_10empty_typeEbEEZZNS1_14partition_implILS5_6ELb0ES3_mN6thrust23THRUST_200600_302600_NS6detail15normal_iteratorINSA_10device_ptrIdEEEEPS6_SG_NS0_5tupleIJSF_S6_EEENSH_IJSG_SG_EEES6_PlJNSB_9not_fun_tINSB_10functional5actorINSM_9compositeIJNSM_27transparent_binary_operatorINSA_8equal_toIvEEEENSN_INSM_8argumentILj0EEEEENSM_5valueIdEEEEEEEEEEEE10hipError_tPvRmT3_T4_T5_T6_T7_T9_mT8_P12ihipStream_tbDpT10_ENKUlT_T0_E_clISt17integral_constantIbLb0EES1K_EEDaS1F_S1G_EUlS1F_E_NS1_11comp_targetILNS1_3genE2ELNS1_11target_archE906ELNS1_3gpuE6ELNS1_3repE0EEENS1_30default_config_static_selectorELNS0_4arch9wavefront6targetE0EEEvT1_
		.amdhsa_group_segment_fixed_size 0
		.amdhsa_private_segment_fixed_size 0
		.amdhsa_kernarg_size 128
		.amdhsa_user_sgpr_count 2
		.amdhsa_user_sgpr_dispatch_ptr 0
		.amdhsa_user_sgpr_queue_ptr 0
		.amdhsa_user_sgpr_kernarg_segment_ptr 1
		.amdhsa_user_sgpr_dispatch_id 0
		.amdhsa_user_sgpr_private_segment_size 0
		.amdhsa_wavefront_size32 1
		.amdhsa_uses_dynamic_stack 0
		.amdhsa_enable_private_segment 0
		.amdhsa_system_sgpr_workgroup_id_x 1
		.amdhsa_system_sgpr_workgroup_id_y 0
		.amdhsa_system_sgpr_workgroup_id_z 0
		.amdhsa_system_sgpr_workgroup_info 0
		.amdhsa_system_vgpr_workitem_id 0
		.amdhsa_next_free_vgpr 1
		.amdhsa_next_free_sgpr 1
		.amdhsa_reserve_vcc 0
		.amdhsa_float_round_mode_32 0
		.amdhsa_float_round_mode_16_64 0
		.amdhsa_float_denorm_mode_32 3
		.amdhsa_float_denorm_mode_16_64 3
		.amdhsa_fp16_overflow 0
		.amdhsa_workgroup_processor_mode 1
		.amdhsa_memory_ordered 1
		.amdhsa_forward_progress 1
		.amdhsa_inst_pref_size 0
		.amdhsa_round_robin_scheduling 0
		.amdhsa_exception_fp_ieee_invalid_op 0
		.amdhsa_exception_fp_denorm_src 0
		.amdhsa_exception_fp_ieee_div_zero 0
		.amdhsa_exception_fp_ieee_overflow 0
		.amdhsa_exception_fp_ieee_underflow 0
		.amdhsa_exception_fp_ieee_inexact 0
		.amdhsa_exception_int_div_zero 0
	.end_amdhsa_kernel
	.section	.text._ZN7rocprim17ROCPRIM_400000_NS6detail17trampoline_kernelINS0_14default_configENS1_25partition_config_selectorILNS1_17partition_subalgoE6EdNS0_10empty_typeEbEEZZNS1_14partition_implILS5_6ELb0ES3_mN6thrust23THRUST_200600_302600_NS6detail15normal_iteratorINSA_10device_ptrIdEEEEPS6_SG_NS0_5tupleIJSF_S6_EEENSH_IJSG_SG_EEES6_PlJNSB_9not_fun_tINSB_10functional5actorINSM_9compositeIJNSM_27transparent_binary_operatorINSA_8equal_toIvEEEENSN_INSM_8argumentILj0EEEEENSM_5valueIdEEEEEEEEEEEE10hipError_tPvRmT3_T4_T5_T6_T7_T9_mT8_P12ihipStream_tbDpT10_ENKUlT_T0_E_clISt17integral_constantIbLb0EES1K_EEDaS1F_S1G_EUlS1F_E_NS1_11comp_targetILNS1_3genE2ELNS1_11target_archE906ELNS1_3gpuE6ELNS1_3repE0EEENS1_30default_config_static_selectorELNS0_4arch9wavefront6targetE0EEEvT1_,"axG",@progbits,_ZN7rocprim17ROCPRIM_400000_NS6detail17trampoline_kernelINS0_14default_configENS1_25partition_config_selectorILNS1_17partition_subalgoE6EdNS0_10empty_typeEbEEZZNS1_14partition_implILS5_6ELb0ES3_mN6thrust23THRUST_200600_302600_NS6detail15normal_iteratorINSA_10device_ptrIdEEEEPS6_SG_NS0_5tupleIJSF_S6_EEENSH_IJSG_SG_EEES6_PlJNSB_9not_fun_tINSB_10functional5actorINSM_9compositeIJNSM_27transparent_binary_operatorINSA_8equal_toIvEEEENSN_INSM_8argumentILj0EEEEENSM_5valueIdEEEEEEEEEEEE10hipError_tPvRmT3_T4_T5_T6_T7_T9_mT8_P12ihipStream_tbDpT10_ENKUlT_T0_E_clISt17integral_constantIbLb0EES1K_EEDaS1F_S1G_EUlS1F_E_NS1_11comp_targetILNS1_3genE2ELNS1_11target_archE906ELNS1_3gpuE6ELNS1_3repE0EEENS1_30default_config_static_selectorELNS0_4arch9wavefront6targetE0EEEvT1_,comdat
.Lfunc_end7:
	.size	_ZN7rocprim17ROCPRIM_400000_NS6detail17trampoline_kernelINS0_14default_configENS1_25partition_config_selectorILNS1_17partition_subalgoE6EdNS0_10empty_typeEbEEZZNS1_14partition_implILS5_6ELb0ES3_mN6thrust23THRUST_200600_302600_NS6detail15normal_iteratorINSA_10device_ptrIdEEEEPS6_SG_NS0_5tupleIJSF_S6_EEENSH_IJSG_SG_EEES6_PlJNSB_9not_fun_tINSB_10functional5actorINSM_9compositeIJNSM_27transparent_binary_operatorINSA_8equal_toIvEEEENSN_INSM_8argumentILj0EEEEENSM_5valueIdEEEEEEEEEEEE10hipError_tPvRmT3_T4_T5_T6_T7_T9_mT8_P12ihipStream_tbDpT10_ENKUlT_T0_E_clISt17integral_constantIbLb0EES1K_EEDaS1F_S1G_EUlS1F_E_NS1_11comp_targetILNS1_3genE2ELNS1_11target_archE906ELNS1_3gpuE6ELNS1_3repE0EEENS1_30default_config_static_selectorELNS0_4arch9wavefront6targetE0EEEvT1_, .Lfunc_end7-_ZN7rocprim17ROCPRIM_400000_NS6detail17trampoline_kernelINS0_14default_configENS1_25partition_config_selectorILNS1_17partition_subalgoE6EdNS0_10empty_typeEbEEZZNS1_14partition_implILS5_6ELb0ES3_mN6thrust23THRUST_200600_302600_NS6detail15normal_iteratorINSA_10device_ptrIdEEEEPS6_SG_NS0_5tupleIJSF_S6_EEENSH_IJSG_SG_EEES6_PlJNSB_9not_fun_tINSB_10functional5actorINSM_9compositeIJNSM_27transparent_binary_operatorINSA_8equal_toIvEEEENSN_INSM_8argumentILj0EEEEENSM_5valueIdEEEEEEEEEEEE10hipError_tPvRmT3_T4_T5_T6_T7_T9_mT8_P12ihipStream_tbDpT10_ENKUlT_T0_E_clISt17integral_constantIbLb0EES1K_EEDaS1F_S1G_EUlS1F_E_NS1_11comp_targetILNS1_3genE2ELNS1_11target_archE906ELNS1_3gpuE6ELNS1_3repE0EEENS1_30default_config_static_selectorELNS0_4arch9wavefront6targetE0EEEvT1_
                                        ; -- End function
	.set _ZN7rocprim17ROCPRIM_400000_NS6detail17trampoline_kernelINS0_14default_configENS1_25partition_config_selectorILNS1_17partition_subalgoE6EdNS0_10empty_typeEbEEZZNS1_14partition_implILS5_6ELb0ES3_mN6thrust23THRUST_200600_302600_NS6detail15normal_iteratorINSA_10device_ptrIdEEEEPS6_SG_NS0_5tupleIJSF_S6_EEENSH_IJSG_SG_EEES6_PlJNSB_9not_fun_tINSB_10functional5actorINSM_9compositeIJNSM_27transparent_binary_operatorINSA_8equal_toIvEEEENSN_INSM_8argumentILj0EEEEENSM_5valueIdEEEEEEEEEEEE10hipError_tPvRmT3_T4_T5_T6_T7_T9_mT8_P12ihipStream_tbDpT10_ENKUlT_T0_E_clISt17integral_constantIbLb0EES1K_EEDaS1F_S1G_EUlS1F_E_NS1_11comp_targetILNS1_3genE2ELNS1_11target_archE906ELNS1_3gpuE6ELNS1_3repE0EEENS1_30default_config_static_selectorELNS0_4arch9wavefront6targetE0EEEvT1_.num_vgpr, 0
	.set _ZN7rocprim17ROCPRIM_400000_NS6detail17trampoline_kernelINS0_14default_configENS1_25partition_config_selectorILNS1_17partition_subalgoE6EdNS0_10empty_typeEbEEZZNS1_14partition_implILS5_6ELb0ES3_mN6thrust23THRUST_200600_302600_NS6detail15normal_iteratorINSA_10device_ptrIdEEEEPS6_SG_NS0_5tupleIJSF_S6_EEENSH_IJSG_SG_EEES6_PlJNSB_9not_fun_tINSB_10functional5actorINSM_9compositeIJNSM_27transparent_binary_operatorINSA_8equal_toIvEEEENSN_INSM_8argumentILj0EEEEENSM_5valueIdEEEEEEEEEEEE10hipError_tPvRmT3_T4_T5_T6_T7_T9_mT8_P12ihipStream_tbDpT10_ENKUlT_T0_E_clISt17integral_constantIbLb0EES1K_EEDaS1F_S1G_EUlS1F_E_NS1_11comp_targetILNS1_3genE2ELNS1_11target_archE906ELNS1_3gpuE6ELNS1_3repE0EEENS1_30default_config_static_selectorELNS0_4arch9wavefront6targetE0EEEvT1_.num_agpr, 0
	.set _ZN7rocprim17ROCPRIM_400000_NS6detail17trampoline_kernelINS0_14default_configENS1_25partition_config_selectorILNS1_17partition_subalgoE6EdNS0_10empty_typeEbEEZZNS1_14partition_implILS5_6ELb0ES3_mN6thrust23THRUST_200600_302600_NS6detail15normal_iteratorINSA_10device_ptrIdEEEEPS6_SG_NS0_5tupleIJSF_S6_EEENSH_IJSG_SG_EEES6_PlJNSB_9not_fun_tINSB_10functional5actorINSM_9compositeIJNSM_27transparent_binary_operatorINSA_8equal_toIvEEEENSN_INSM_8argumentILj0EEEEENSM_5valueIdEEEEEEEEEEEE10hipError_tPvRmT3_T4_T5_T6_T7_T9_mT8_P12ihipStream_tbDpT10_ENKUlT_T0_E_clISt17integral_constantIbLb0EES1K_EEDaS1F_S1G_EUlS1F_E_NS1_11comp_targetILNS1_3genE2ELNS1_11target_archE906ELNS1_3gpuE6ELNS1_3repE0EEENS1_30default_config_static_selectorELNS0_4arch9wavefront6targetE0EEEvT1_.numbered_sgpr, 0
	.set _ZN7rocprim17ROCPRIM_400000_NS6detail17trampoline_kernelINS0_14default_configENS1_25partition_config_selectorILNS1_17partition_subalgoE6EdNS0_10empty_typeEbEEZZNS1_14partition_implILS5_6ELb0ES3_mN6thrust23THRUST_200600_302600_NS6detail15normal_iteratorINSA_10device_ptrIdEEEEPS6_SG_NS0_5tupleIJSF_S6_EEENSH_IJSG_SG_EEES6_PlJNSB_9not_fun_tINSB_10functional5actorINSM_9compositeIJNSM_27transparent_binary_operatorINSA_8equal_toIvEEEENSN_INSM_8argumentILj0EEEEENSM_5valueIdEEEEEEEEEEEE10hipError_tPvRmT3_T4_T5_T6_T7_T9_mT8_P12ihipStream_tbDpT10_ENKUlT_T0_E_clISt17integral_constantIbLb0EES1K_EEDaS1F_S1G_EUlS1F_E_NS1_11comp_targetILNS1_3genE2ELNS1_11target_archE906ELNS1_3gpuE6ELNS1_3repE0EEENS1_30default_config_static_selectorELNS0_4arch9wavefront6targetE0EEEvT1_.num_named_barrier, 0
	.set _ZN7rocprim17ROCPRIM_400000_NS6detail17trampoline_kernelINS0_14default_configENS1_25partition_config_selectorILNS1_17partition_subalgoE6EdNS0_10empty_typeEbEEZZNS1_14partition_implILS5_6ELb0ES3_mN6thrust23THRUST_200600_302600_NS6detail15normal_iteratorINSA_10device_ptrIdEEEEPS6_SG_NS0_5tupleIJSF_S6_EEENSH_IJSG_SG_EEES6_PlJNSB_9not_fun_tINSB_10functional5actorINSM_9compositeIJNSM_27transparent_binary_operatorINSA_8equal_toIvEEEENSN_INSM_8argumentILj0EEEEENSM_5valueIdEEEEEEEEEEEE10hipError_tPvRmT3_T4_T5_T6_T7_T9_mT8_P12ihipStream_tbDpT10_ENKUlT_T0_E_clISt17integral_constantIbLb0EES1K_EEDaS1F_S1G_EUlS1F_E_NS1_11comp_targetILNS1_3genE2ELNS1_11target_archE906ELNS1_3gpuE6ELNS1_3repE0EEENS1_30default_config_static_selectorELNS0_4arch9wavefront6targetE0EEEvT1_.private_seg_size, 0
	.set _ZN7rocprim17ROCPRIM_400000_NS6detail17trampoline_kernelINS0_14default_configENS1_25partition_config_selectorILNS1_17partition_subalgoE6EdNS0_10empty_typeEbEEZZNS1_14partition_implILS5_6ELb0ES3_mN6thrust23THRUST_200600_302600_NS6detail15normal_iteratorINSA_10device_ptrIdEEEEPS6_SG_NS0_5tupleIJSF_S6_EEENSH_IJSG_SG_EEES6_PlJNSB_9not_fun_tINSB_10functional5actorINSM_9compositeIJNSM_27transparent_binary_operatorINSA_8equal_toIvEEEENSN_INSM_8argumentILj0EEEEENSM_5valueIdEEEEEEEEEEEE10hipError_tPvRmT3_T4_T5_T6_T7_T9_mT8_P12ihipStream_tbDpT10_ENKUlT_T0_E_clISt17integral_constantIbLb0EES1K_EEDaS1F_S1G_EUlS1F_E_NS1_11comp_targetILNS1_3genE2ELNS1_11target_archE906ELNS1_3gpuE6ELNS1_3repE0EEENS1_30default_config_static_selectorELNS0_4arch9wavefront6targetE0EEEvT1_.uses_vcc, 0
	.set _ZN7rocprim17ROCPRIM_400000_NS6detail17trampoline_kernelINS0_14default_configENS1_25partition_config_selectorILNS1_17partition_subalgoE6EdNS0_10empty_typeEbEEZZNS1_14partition_implILS5_6ELb0ES3_mN6thrust23THRUST_200600_302600_NS6detail15normal_iteratorINSA_10device_ptrIdEEEEPS6_SG_NS0_5tupleIJSF_S6_EEENSH_IJSG_SG_EEES6_PlJNSB_9not_fun_tINSB_10functional5actorINSM_9compositeIJNSM_27transparent_binary_operatorINSA_8equal_toIvEEEENSN_INSM_8argumentILj0EEEEENSM_5valueIdEEEEEEEEEEEE10hipError_tPvRmT3_T4_T5_T6_T7_T9_mT8_P12ihipStream_tbDpT10_ENKUlT_T0_E_clISt17integral_constantIbLb0EES1K_EEDaS1F_S1G_EUlS1F_E_NS1_11comp_targetILNS1_3genE2ELNS1_11target_archE906ELNS1_3gpuE6ELNS1_3repE0EEENS1_30default_config_static_selectorELNS0_4arch9wavefront6targetE0EEEvT1_.uses_flat_scratch, 0
	.set _ZN7rocprim17ROCPRIM_400000_NS6detail17trampoline_kernelINS0_14default_configENS1_25partition_config_selectorILNS1_17partition_subalgoE6EdNS0_10empty_typeEbEEZZNS1_14partition_implILS5_6ELb0ES3_mN6thrust23THRUST_200600_302600_NS6detail15normal_iteratorINSA_10device_ptrIdEEEEPS6_SG_NS0_5tupleIJSF_S6_EEENSH_IJSG_SG_EEES6_PlJNSB_9not_fun_tINSB_10functional5actorINSM_9compositeIJNSM_27transparent_binary_operatorINSA_8equal_toIvEEEENSN_INSM_8argumentILj0EEEEENSM_5valueIdEEEEEEEEEEEE10hipError_tPvRmT3_T4_T5_T6_T7_T9_mT8_P12ihipStream_tbDpT10_ENKUlT_T0_E_clISt17integral_constantIbLb0EES1K_EEDaS1F_S1G_EUlS1F_E_NS1_11comp_targetILNS1_3genE2ELNS1_11target_archE906ELNS1_3gpuE6ELNS1_3repE0EEENS1_30default_config_static_selectorELNS0_4arch9wavefront6targetE0EEEvT1_.has_dyn_sized_stack, 0
	.set _ZN7rocprim17ROCPRIM_400000_NS6detail17trampoline_kernelINS0_14default_configENS1_25partition_config_selectorILNS1_17partition_subalgoE6EdNS0_10empty_typeEbEEZZNS1_14partition_implILS5_6ELb0ES3_mN6thrust23THRUST_200600_302600_NS6detail15normal_iteratorINSA_10device_ptrIdEEEEPS6_SG_NS0_5tupleIJSF_S6_EEENSH_IJSG_SG_EEES6_PlJNSB_9not_fun_tINSB_10functional5actorINSM_9compositeIJNSM_27transparent_binary_operatorINSA_8equal_toIvEEEENSN_INSM_8argumentILj0EEEEENSM_5valueIdEEEEEEEEEEEE10hipError_tPvRmT3_T4_T5_T6_T7_T9_mT8_P12ihipStream_tbDpT10_ENKUlT_T0_E_clISt17integral_constantIbLb0EES1K_EEDaS1F_S1G_EUlS1F_E_NS1_11comp_targetILNS1_3genE2ELNS1_11target_archE906ELNS1_3gpuE6ELNS1_3repE0EEENS1_30default_config_static_selectorELNS0_4arch9wavefront6targetE0EEEvT1_.has_recursion, 0
	.set _ZN7rocprim17ROCPRIM_400000_NS6detail17trampoline_kernelINS0_14default_configENS1_25partition_config_selectorILNS1_17partition_subalgoE6EdNS0_10empty_typeEbEEZZNS1_14partition_implILS5_6ELb0ES3_mN6thrust23THRUST_200600_302600_NS6detail15normal_iteratorINSA_10device_ptrIdEEEEPS6_SG_NS0_5tupleIJSF_S6_EEENSH_IJSG_SG_EEES6_PlJNSB_9not_fun_tINSB_10functional5actorINSM_9compositeIJNSM_27transparent_binary_operatorINSA_8equal_toIvEEEENSN_INSM_8argumentILj0EEEEENSM_5valueIdEEEEEEEEEEEE10hipError_tPvRmT3_T4_T5_T6_T7_T9_mT8_P12ihipStream_tbDpT10_ENKUlT_T0_E_clISt17integral_constantIbLb0EES1K_EEDaS1F_S1G_EUlS1F_E_NS1_11comp_targetILNS1_3genE2ELNS1_11target_archE906ELNS1_3gpuE6ELNS1_3repE0EEENS1_30default_config_static_selectorELNS0_4arch9wavefront6targetE0EEEvT1_.has_indirect_call, 0
	.section	.AMDGPU.csdata,"",@progbits
; Kernel info:
; codeLenInByte = 0
; TotalNumSgprs: 0
; NumVgprs: 0
; ScratchSize: 0
; MemoryBound: 0
; FloatMode: 240
; IeeeMode: 1
; LDSByteSize: 0 bytes/workgroup (compile time only)
; SGPRBlocks: 0
; VGPRBlocks: 0
; NumSGPRsForWavesPerEU: 1
; NumVGPRsForWavesPerEU: 1
; Occupancy: 16
; WaveLimiterHint : 0
; COMPUTE_PGM_RSRC2:SCRATCH_EN: 0
; COMPUTE_PGM_RSRC2:USER_SGPR: 2
; COMPUTE_PGM_RSRC2:TRAP_HANDLER: 0
; COMPUTE_PGM_RSRC2:TGID_X_EN: 1
; COMPUTE_PGM_RSRC2:TGID_Y_EN: 0
; COMPUTE_PGM_RSRC2:TGID_Z_EN: 0
; COMPUTE_PGM_RSRC2:TIDIG_COMP_CNT: 0
	.section	.text._ZN7rocprim17ROCPRIM_400000_NS6detail17trampoline_kernelINS0_14default_configENS1_25partition_config_selectorILNS1_17partition_subalgoE6EdNS0_10empty_typeEbEEZZNS1_14partition_implILS5_6ELb0ES3_mN6thrust23THRUST_200600_302600_NS6detail15normal_iteratorINSA_10device_ptrIdEEEEPS6_SG_NS0_5tupleIJSF_S6_EEENSH_IJSG_SG_EEES6_PlJNSB_9not_fun_tINSB_10functional5actorINSM_9compositeIJNSM_27transparent_binary_operatorINSA_8equal_toIvEEEENSN_INSM_8argumentILj0EEEEENSM_5valueIdEEEEEEEEEEEE10hipError_tPvRmT3_T4_T5_T6_T7_T9_mT8_P12ihipStream_tbDpT10_ENKUlT_T0_E_clISt17integral_constantIbLb0EES1K_EEDaS1F_S1G_EUlS1F_E_NS1_11comp_targetILNS1_3genE10ELNS1_11target_archE1200ELNS1_3gpuE4ELNS1_3repE0EEENS1_30default_config_static_selectorELNS0_4arch9wavefront6targetE0EEEvT1_,"axG",@progbits,_ZN7rocprim17ROCPRIM_400000_NS6detail17trampoline_kernelINS0_14default_configENS1_25partition_config_selectorILNS1_17partition_subalgoE6EdNS0_10empty_typeEbEEZZNS1_14partition_implILS5_6ELb0ES3_mN6thrust23THRUST_200600_302600_NS6detail15normal_iteratorINSA_10device_ptrIdEEEEPS6_SG_NS0_5tupleIJSF_S6_EEENSH_IJSG_SG_EEES6_PlJNSB_9not_fun_tINSB_10functional5actorINSM_9compositeIJNSM_27transparent_binary_operatorINSA_8equal_toIvEEEENSN_INSM_8argumentILj0EEEEENSM_5valueIdEEEEEEEEEEEE10hipError_tPvRmT3_T4_T5_T6_T7_T9_mT8_P12ihipStream_tbDpT10_ENKUlT_T0_E_clISt17integral_constantIbLb0EES1K_EEDaS1F_S1G_EUlS1F_E_NS1_11comp_targetILNS1_3genE10ELNS1_11target_archE1200ELNS1_3gpuE4ELNS1_3repE0EEENS1_30default_config_static_selectorELNS0_4arch9wavefront6targetE0EEEvT1_,comdat
	.protected	_ZN7rocprim17ROCPRIM_400000_NS6detail17trampoline_kernelINS0_14default_configENS1_25partition_config_selectorILNS1_17partition_subalgoE6EdNS0_10empty_typeEbEEZZNS1_14partition_implILS5_6ELb0ES3_mN6thrust23THRUST_200600_302600_NS6detail15normal_iteratorINSA_10device_ptrIdEEEEPS6_SG_NS0_5tupleIJSF_S6_EEENSH_IJSG_SG_EEES6_PlJNSB_9not_fun_tINSB_10functional5actorINSM_9compositeIJNSM_27transparent_binary_operatorINSA_8equal_toIvEEEENSN_INSM_8argumentILj0EEEEENSM_5valueIdEEEEEEEEEEEE10hipError_tPvRmT3_T4_T5_T6_T7_T9_mT8_P12ihipStream_tbDpT10_ENKUlT_T0_E_clISt17integral_constantIbLb0EES1K_EEDaS1F_S1G_EUlS1F_E_NS1_11comp_targetILNS1_3genE10ELNS1_11target_archE1200ELNS1_3gpuE4ELNS1_3repE0EEENS1_30default_config_static_selectorELNS0_4arch9wavefront6targetE0EEEvT1_ ; -- Begin function _ZN7rocprim17ROCPRIM_400000_NS6detail17trampoline_kernelINS0_14default_configENS1_25partition_config_selectorILNS1_17partition_subalgoE6EdNS0_10empty_typeEbEEZZNS1_14partition_implILS5_6ELb0ES3_mN6thrust23THRUST_200600_302600_NS6detail15normal_iteratorINSA_10device_ptrIdEEEEPS6_SG_NS0_5tupleIJSF_S6_EEENSH_IJSG_SG_EEES6_PlJNSB_9not_fun_tINSB_10functional5actorINSM_9compositeIJNSM_27transparent_binary_operatorINSA_8equal_toIvEEEENSN_INSM_8argumentILj0EEEEENSM_5valueIdEEEEEEEEEEEE10hipError_tPvRmT3_T4_T5_T6_T7_T9_mT8_P12ihipStream_tbDpT10_ENKUlT_T0_E_clISt17integral_constantIbLb0EES1K_EEDaS1F_S1G_EUlS1F_E_NS1_11comp_targetILNS1_3genE10ELNS1_11target_archE1200ELNS1_3gpuE4ELNS1_3repE0EEENS1_30default_config_static_selectorELNS0_4arch9wavefront6targetE0EEEvT1_
	.globl	_ZN7rocprim17ROCPRIM_400000_NS6detail17trampoline_kernelINS0_14default_configENS1_25partition_config_selectorILNS1_17partition_subalgoE6EdNS0_10empty_typeEbEEZZNS1_14partition_implILS5_6ELb0ES3_mN6thrust23THRUST_200600_302600_NS6detail15normal_iteratorINSA_10device_ptrIdEEEEPS6_SG_NS0_5tupleIJSF_S6_EEENSH_IJSG_SG_EEES6_PlJNSB_9not_fun_tINSB_10functional5actorINSM_9compositeIJNSM_27transparent_binary_operatorINSA_8equal_toIvEEEENSN_INSM_8argumentILj0EEEEENSM_5valueIdEEEEEEEEEEEE10hipError_tPvRmT3_T4_T5_T6_T7_T9_mT8_P12ihipStream_tbDpT10_ENKUlT_T0_E_clISt17integral_constantIbLb0EES1K_EEDaS1F_S1G_EUlS1F_E_NS1_11comp_targetILNS1_3genE10ELNS1_11target_archE1200ELNS1_3gpuE4ELNS1_3repE0EEENS1_30default_config_static_selectorELNS0_4arch9wavefront6targetE0EEEvT1_
	.p2align	8
	.type	_ZN7rocprim17ROCPRIM_400000_NS6detail17trampoline_kernelINS0_14default_configENS1_25partition_config_selectorILNS1_17partition_subalgoE6EdNS0_10empty_typeEbEEZZNS1_14partition_implILS5_6ELb0ES3_mN6thrust23THRUST_200600_302600_NS6detail15normal_iteratorINSA_10device_ptrIdEEEEPS6_SG_NS0_5tupleIJSF_S6_EEENSH_IJSG_SG_EEES6_PlJNSB_9not_fun_tINSB_10functional5actorINSM_9compositeIJNSM_27transparent_binary_operatorINSA_8equal_toIvEEEENSN_INSM_8argumentILj0EEEEENSM_5valueIdEEEEEEEEEEEE10hipError_tPvRmT3_T4_T5_T6_T7_T9_mT8_P12ihipStream_tbDpT10_ENKUlT_T0_E_clISt17integral_constantIbLb0EES1K_EEDaS1F_S1G_EUlS1F_E_NS1_11comp_targetILNS1_3genE10ELNS1_11target_archE1200ELNS1_3gpuE4ELNS1_3repE0EEENS1_30default_config_static_selectorELNS0_4arch9wavefront6targetE0EEEvT1_,@function
_ZN7rocprim17ROCPRIM_400000_NS6detail17trampoline_kernelINS0_14default_configENS1_25partition_config_selectorILNS1_17partition_subalgoE6EdNS0_10empty_typeEbEEZZNS1_14partition_implILS5_6ELb0ES3_mN6thrust23THRUST_200600_302600_NS6detail15normal_iteratorINSA_10device_ptrIdEEEEPS6_SG_NS0_5tupleIJSF_S6_EEENSH_IJSG_SG_EEES6_PlJNSB_9not_fun_tINSB_10functional5actorINSM_9compositeIJNSM_27transparent_binary_operatorINSA_8equal_toIvEEEENSN_INSM_8argumentILj0EEEEENSM_5valueIdEEEEEEEEEEEE10hipError_tPvRmT3_T4_T5_T6_T7_T9_mT8_P12ihipStream_tbDpT10_ENKUlT_T0_E_clISt17integral_constantIbLb0EES1K_EEDaS1F_S1G_EUlS1F_E_NS1_11comp_targetILNS1_3genE10ELNS1_11target_archE1200ELNS1_3gpuE4ELNS1_3repE0EEENS1_30default_config_static_selectorELNS0_4arch9wavefront6targetE0EEEvT1_: ; @_ZN7rocprim17ROCPRIM_400000_NS6detail17trampoline_kernelINS0_14default_configENS1_25partition_config_selectorILNS1_17partition_subalgoE6EdNS0_10empty_typeEbEEZZNS1_14partition_implILS5_6ELb0ES3_mN6thrust23THRUST_200600_302600_NS6detail15normal_iteratorINSA_10device_ptrIdEEEEPS6_SG_NS0_5tupleIJSF_S6_EEENSH_IJSG_SG_EEES6_PlJNSB_9not_fun_tINSB_10functional5actorINSM_9compositeIJNSM_27transparent_binary_operatorINSA_8equal_toIvEEEENSN_INSM_8argumentILj0EEEEENSM_5valueIdEEEEEEEEEEEE10hipError_tPvRmT3_T4_T5_T6_T7_T9_mT8_P12ihipStream_tbDpT10_ENKUlT_T0_E_clISt17integral_constantIbLb0EES1K_EEDaS1F_S1G_EUlS1F_E_NS1_11comp_targetILNS1_3genE10ELNS1_11target_archE1200ELNS1_3gpuE4ELNS1_3repE0EEENS1_30default_config_static_selectorELNS0_4arch9wavefront6targetE0EEEvT1_
; %bb.0:
	s_clause 0x3
	s_load_b128 s[16:19], s[0:1], 0x8
	s_load_b128 s[8:11], s[0:1], 0x40
	s_load_b32 s3, s[0:1], 0x68
	s_load_b64 s[6:7], s[0:1], 0x50
	s_mov_b32 s5, 0
	s_lshl_b32 s2, ttmp9, 10
	v_lshrrev_b32_e32 v9, 2, v0
	v_or_b32_e32 v11, 0x200, v0
	v_or_b32_e32 v10, 0x300, v0
	s_mov_b32 s14, -1
	s_wait_kmcnt 0x0
	s_lshl_b64 s[20:21], s[18:19], 3
	s_load_b64 s[10:11], s[10:11], 0x0
	s_lshl_b32 s4, s3, 10
	s_add_co_i32 s3, s3, -1
	s_add_nc_u64 s[12:13], s[18:19], s[4:5]
	s_lshl_b32 s4, s3, 10
	v_cmp_le_u64_e64 s13, s[6:7], s[12:13]
	s_add_co_i32 s7, s18, s4
	s_cmp_eq_u32 ttmp9, s3
	s_mov_b32 s3, s5
	s_cselect_b32 s12, -1, 0
	s_add_nc_u64 s[4:5], s[16:17], s[20:21]
	s_wait_alu 0xfffe
	s_and_b32 s13, s12, s13
	s_lshl_b64 s[2:3], s[2:3], 3
	s_wait_alu 0xfffe
	s_xor_b32 s13, s13, -1
	s_add_nc_u64 s[2:3], s[4:5], s[2:3]
	s_wait_alu 0xfffe
	s_and_b32 vcc_lo, exec_lo, s13
	s_cbranch_vccz .LBB8_2
; %bb.1:
	v_lshlrev_b32_e32 v12, 3, v0
	v_or_b32_e32 v13, 0x100, v0
	v_lshrrev_b32_e32 v14, 2, v11
	v_lshrrev_b32_e32 v15, 2, v10
	v_and_b32_e32 v16, 56, v9
	v_add_co_u32 v1, s4, s2, v12
	s_delay_alu instid0(VALU_DEP_1)
	v_add_co_ci_u32_e64 v2, null, s3, 0, s4
	v_lshrrev_b32_e32 v13, 2, v13
	v_and_b32_e32 v14, 0xb8, v14
	v_and_b32_e32 v15, 0xf8, v15
	s_clause 0x3
	flat_load_b64 v[3:4], v[1:2]
	flat_load_b64 v[5:6], v[1:2] offset:2048
	flat_load_b64 v[7:8], v[1:2] offset:4096
	;; [unrolled: 1-line block ×3, first 2 shown]
	v_add_nc_u32_e32 v16, v16, v12
	v_and_b32_e32 v13, 0x78, v13
	v_add_nc_u32_e32 v14, v14, v12
	s_mov_b32 s14, 0
	s_delay_alu instid0(VALU_DEP_2)
	v_add_nc_u32_e32 v13, v13, v12
	v_add_nc_u32_e32 v12, v15, v12
	s_wait_loadcnt_dscnt 0x303
	ds_store_b64 v16, v[3:4]
	s_wait_loadcnt_dscnt 0x203
	ds_store_b64 v13, v[5:6] offset:2048
	s_wait_loadcnt_dscnt 0x103
	ds_store_b64 v14, v[7:8] offset:4096
	;; [unrolled: 2-line block ×3, first 2 shown]
	s_wait_dscnt 0x0
	s_barrier_signal -1
	s_barrier_wait -1
.LBB8_2:
	s_load_b64 s[4:5], s[0:1], 0x78
	s_and_not1_b32 vcc_lo, exec_lo, s14
	s_sub_co_i32 s7, s6, s7
	s_cbranch_vccnz .LBB8_10
; %bb.3:
	v_mov_b32_e32 v1, 0
	s_mov_b32 s6, exec_lo
	s_delay_alu instid0(VALU_DEP_1)
	v_dual_mov_b32 v2, v1 :: v_dual_mov_b32 v3, v1
	v_dual_mov_b32 v4, v1 :: v_dual_mov_b32 v5, v1
	;; [unrolled: 1-line block ×3, first 2 shown]
	v_mov_b32_e32 v8, v1
	s_wait_alu 0xfffe
	v_cmpx_gt_u32_e64 s7, v0
	s_cbranch_execz .LBB8_5
; %bb.4:
	v_dual_mov_b32 v15, v1 :: v_dual_lshlrev_b32 v2, 3, v0
	v_dual_mov_b32 v14, v1 :: v_dual_mov_b32 v17, v1
	v_dual_mov_b32 v16, v1 :: v_dual_mov_b32 v19, v1
	s_delay_alu instid0(VALU_DEP_3) | instskip(NEXT) | instid1(VALU_DEP_1)
	v_add_co_u32 v2, s14, s2, v2
	v_add_co_ci_u32_e64 v3, null, s3, 0, s14
	v_mov_b32_e32 v18, v1
	flat_load_b64 v[12:13], v[2:3]
	s_wait_loadcnt_dscnt 0x0
	v_dual_mov_b32 v1, v12 :: v_dual_mov_b32 v2, v13
	v_dual_mov_b32 v3, v14 :: v_dual_mov_b32 v4, v15
	;; [unrolled: 1-line block ×4, first 2 shown]
.LBB8_5:
	s_or_b32 exec_lo, exec_lo, s6
	v_or_b32_e32 v12, 0x100, v0
	s_mov_b32 s6, exec_lo
	s_delay_alu instid0(VALU_DEP_1)
	v_cmpx_gt_u32_e64 s7, v12
	s_cbranch_execnz .LBB8_128
; %bb.6:
	s_wait_alu 0xfffe
	s_or_b32 exec_lo, exec_lo, s6
	s_delay_alu instid0(SALU_CYCLE_1)
	s_mov_b32 s6, exec_lo
	v_cmpx_gt_u32_e64 s7, v11
	s_cbranch_execnz .LBB8_129
.LBB8_7:
	s_wait_alu 0xfffe
	s_or_b32 exec_lo, exec_lo, s6
	s_delay_alu instid0(SALU_CYCLE_1)
	s_mov_b32 s6, exec_lo
	v_cmpx_gt_u32_e64 s7, v10
	s_cbranch_execz .LBB8_9
.LBB8_8:
	v_lshlrev_b32_e32 v7, 3, v0
	s_delay_alu instid0(VALU_DEP_1)
	v_add_co_u32 v7, s2, s2, v7
	s_wait_alu 0xf1ff
	v_add_co_ci_u32_e64 v8, null, s3, 0, s2
	flat_load_b64 v[7:8], v[7:8] offset:6144
.LBB8_9:
	s_wait_alu 0xfffe
	s_or_b32 exec_lo, exec_lo, s6
	v_lshrrev_b32_e32 v12, 2, v12
	v_lshrrev_b32_e32 v11, 2, v11
	;; [unrolled: 1-line block ×3, first 2 shown]
	v_and_b32_e32 v9, 56, v9
	v_lshlrev_b32_e32 v13, 3, v0
	v_and_b32_e32 v12, 0x78, v12
	v_and_b32_e32 v11, 0xf8, v11
	;; [unrolled: 1-line block ×3, first 2 shown]
	s_delay_alu instid0(VALU_DEP_4) | instskip(NEXT) | instid1(VALU_DEP_4)
	v_add_nc_u32_e32 v9, v9, v13
	v_add_nc_u32_e32 v12, v12, v13
	s_delay_alu instid0(VALU_DEP_4) | instskip(NEXT) | instid1(VALU_DEP_4)
	v_add_nc_u32_e32 v11, v11, v13
	v_add_nc_u32_e32 v10, v10, v13
	ds_store_b64 v9, v[1:2]
	s_wait_loadcnt_dscnt 0x1
	ds_store_b64 v12, v[3:4] offset:2048
	ds_store_b64 v11, v[5:6] offset:4096
	;; [unrolled: 1-line block ×3, first 2 shown]
	s_wait_dscnt 0x0
	s_barrier_signal -1
	s_barrier_wait -1
.LBB8_10:
	v_and_b32_e32 v1, 0xf8, v0
	global_inv scope:SCOPE_SE
	s_and_not1_b32 vcc_lo, exec_lo, s13
	v_lshl_add_u32 v5, v0, 5, v1
	ds_load_2addr_b64 v[1:4], v5 offset1:3
	ds_load_2addr_b64 v[5:8], v5 offset0:1 offset1:2
	s_wait_loadcnt_dscnt 0x0
	s_barrier_signal -1
	s_barrier_wait -1
	global_inv scope:SCOPE_SE
	s_wait_kmcnt 0x0
	v_cmp_neq_f64_e64 s2, s[4:5], v[1:2]
	v_cmp_neq_f64_e64 s14, s[4:5], v[3:4]
	s_cbranch_vccnz .LBB8_12
; %bb.11:
	v_cmp_neq_f64_e32 vcc_lo, s[4:5], v[7:8]
	s_wait_alu 0xf1ff
	v_cndmask_b32_e64 v27, 0, 1, s2
	v_cndmask_b32_e64 v25, 0, 1, vcc_lo
	v_cmp_neq_f64_e32 vcc_lo, s[4:5], v[5:6]
	s_delay_alu instid0(VALU_DEP_2) | instskip(SKIP_2) | instid1(VALU_DEP_1)
	v_lshlrev_b16 v10, 8, v25
	s_wait_alu 0xfffd
	v_cndmask_b32_e64 v9, 0, 1, vcc_lo
	v_or_b32_e32 v26, v9, v10
	s_cbranch_execz .LBB8_13
	s_branch .LBB8_14
.LBB8_12:
                                        ; implicit-def: $sgpr14
                                        ; implicit-def: $vgpr27
                                        ; implicit-def: $vgpr26
                                        ; implicit-def: $vgpr25
.LBB8_13:
	v_cmp_neq_f64_e32 vcc_lo, s[4:5], v[7:8]
	v_cmp_neq_f64_e64 s2, s[4:5], v[5:6]
	v_cmp_neq_f64_e64 s3, s[4:5], v[1:2]
	;; [unrolled: 1-line block ×3, first 2 shown]
	v_lshlrev_b32_e32 v9, 2, v0
	s_delay_alu instid0(VALU_DEP_1) | instskip(SKIP_2) | instid1(VALU_DEP_2)
	v_or_b32_e32 v10, 2, v9
	v_or_b32_e32 v11, 1, v9
	s_wait_alu 0xfffe
	v_cmp_gt_u32_e64 s5, s7, v10
	s_delay_alu instid0(VALU_DEP_2)
	v_cmp_gt_u32_e64 s6, s7, v11
	v_or_b32_e32 v10, 3, v9
	s_and_b32 s5, s5, vcc_lo
	v_cmp_gt_u32_e32 vcc_lo, s7, v9
	s_wait_alu 0xfffe
	v_cndmask_b32_e64 v25, 0, 1, s5
	s_and_b32 s2, s6, s2
	v_cmp_gt_u32_e64 s5, s7, v10
	s_wait_alu 0xfffe
	v_cndmask_b32_e64 v9, 0, 1, s2
	s_and_b32 s2, vcc_lo, s3
	v_lshlrev_b16 v10, 8, v25
	s_wait_alu 0xfffe
	v_cndmask_b32_e64 v27, 0, 1, s2
	s_and_b32 s2, s5, s4
	s_and_not1_b32 s3, s14, exec_lo
	s_wait_alu 0xfffe
	s_and_b32 s2, s2, exec_lo
	v_or_b32_e32 v26, v9, v10
	s_wait_alu 0xfffe
	s_or_b32 s14, s3, s2
.LBB8_14:
	s_load_b64 s[6:7], s[0:1], 0x60
	v_and_b32_e32 v30, 0xff, v27
	v_dual_mov_b32 v10, 0 :: v_dual_and_b32 v29, 0xff, v26
	v_cndmask_b32_e64 v9, 0, 1, s14
	v_mbcnt_lo_u32_b32 v31, -1, 0
	v_and_b32_e32 v28, 0xff, v25
	s_cmp_lg_u32 ttmp9, 0
	s_mov_b32 s3, -1
	v_add3_u32 v9, v30, v9, v29
	v_and_b32_e32 v32, 15, v31
	s_delay_alu instid0(VALU_DEP_2) | instskip(SKIP_2) | instid1(VALU_DEP_3)
	v_add_co_u32 v17, s2, v9, v28
	s_wait_alu 0xf1ff
	v_add_co_ci_u32_e64 v18, null, 0, 0, s2
	v_cmp_ne_u32_e64 s2, 0, v32
	s_cbranch_scc0 .LBB8_71
; %bb.15:
	v_mov_b32_e32 v11, v17
	v_mov_b32_dpp v9, v17 row_shr:1 row_mask:0xf bank_mask:0xf
	v_mov_b32_dpp v14, v10 row_shr:1 row_mask:0xf bank_mask:0xf
	v_dual_mov_b32 v13, v17 :: v_dual_mov_b32 v12, v18
	s_and_saveexec_b32 s3, s2
; %bb.16:
	s_delay_alu instid0(VALU_DEP_3) | instskip(SKIP_2) | instid1(VALU_DEP_2)
	v_add_co_u32 v13, vcc_lo, v17, v9
	s_wait_alu 0xfffd
	v_add_co_ci_u32_e64 v10, null, 0, v18, vcc_lo
	v_add_co_u32 v9, vcc_lo, 0, v13
	s_wait_alu 0xfffd
	s_delay_alu instid0(VALU_DEP_2) | instskip(NEXT) | instid1(VALU_DEP_1)
	v_add_co_ci_u32_e64 v10, null, v14, v10, vcc_lo
	v_dual_mov_b32 v12, v10 :: v_dual_mov_b32 v11, v9
; %bb.17:
	s_wait_alu 0xfffe
	s_or_b32 exec_lo, exec_lo, s3
	v_mov_b32_dpp v9, v13 row_shr:2 row_mask:0xf bank_mask:0xf
	v_mov_b32_dpp v14, v10 row_shr:2 row_mask:0xf bank_mask:0xf
	s_mov_b32 s3, exec_lo
	v_cmpx_lt_u32_e32 1, v32
; %bb.18:
	s_delay_alu instid0(VALU_DEP_3) | instskip(SKIP_2) | instid1(VALU_DEP_2)
	v_add_co_u32 v13, vcc_lo, v11, v9
	s_wait_alu 0xfffd
	v_add_co_ci_u32_e64 v10, null, 0, v12, vcc_lo
	v_add_co_u32 v9, vcc_lo, 0, v13
	s_wait_alu 0xfffd
	s_delay_alu instid0(VALU_DEP_2) | instskip(NEXT) | instid1(VALU_DEP_1)
	v_add_co_ci_u32_e64 v10, null, v14, v10, vcc_lo
	v_dual_mov_b32 v12, v10 :: v_dual_mov_b32 v11, v9
; %bb.19:
	s_wait_alu 0xfffe
	s_or_b32 exec_lo, exec_lo, s3
	v_mov_b32_dpp v9, v13 row_shr:4 row_mask:0xf bank_mask:0xf
	v_mov_b32_dpp v14, v10 row_shr:4 row_mask:0xf bank_mask:0xf
	s_mov_b32 s3, exec_lo
	v_cmpx_lt_u32_e32 3, v32
	;; [unrolled: 17-line block ×3, first 2 shown]
; %bb.22:
	s_delay_alu instid0(VALU_DEP_3) | instskip(SKIP_2) | instid1(VALU_DEP_2)
	v_add_co_u32 v13, vcc_lo, v11, v14
	s_wait_alu 0xfffd
	v_add_co_ci_u32_e64 v10, null, 0, v12, vcc_lo
	v_add_co_u32 v11, vcc_lo, 0, v13
	s_wait_alu 0xfffd
	s_delay_alu instid0(VALU_DEP_2) | instskip(NEXT) | instid1(VALU_DEP_1)
	v_add_co_ci_u32_e64 v12, null, v9, v10, vcc_lo
	v_mov_b32_e32 v10, v12
; %bb.23:
	s_wait_alu 0xfffe
	s_or_b32 exec_lo, exec_lo, s3
	ds_swizzle_b32 v9, v13 offset:swizzle(BROADCAST,32,15)
	ds_swizzle_b32 v14, v10 offset:swizzle(BROADCAST,32,15)
	v_and_b32_e32 v15, 16, v31
	s_mov_b32 s3, exec_lo
	s_delay_alu instid0(VALU_DEP_1)
	v_cmpx_ne_u32_e32 0, v15
	s_cbranch_execz .LBB8_25
; %bb.24:
	s_wait_dscnt 0x1
	v_add_co_u32 v13, vcc_lo, v11, v9
	s_wait_alu 0xfffd
	v_add_co_ci_u32_e64 v10, null, 0, v12, vcc_lo
	s_delay_alu instid0(VALU_DEP_2) | instskip(SKIP_2) | instid1(VALU_DEP_2)
	v_add_co_u32 v9, vcc_lo, 0, v13
	s_wait_dscnt 0x0
	s_wait_alu 0xfffd
	v_add_co_ci_u32_e64 v10, null, v14, v10, vcc_lo
	s_delay_alu instid0(VALU_DEP_1)
	v_dual_mov_b32 v12, v10 :: v_dual_mov_b32 v11, v9
.LBB8_25:
	s_wait_alu 0xfffe
	s_or_b32 exec_lo, exec_lo, s3
	s_wait_dscnt 0x0
	v_or_b32_e32 v14, 31, v0
	v_lshrrev_b32_e32 v9, 5, v0
	s_mov_b32 s3, exec_lo
	s_delay_alu instid0(VALU_DEP_2)
	v_cmpx_eq_u32_e64 v0, v14
; %bb.26:
	s_delay_alu instid0(VALU_DEP_2)
	v_lshlrev_b32_e32 v14, 3, v9
	ds_store_b64 v14, v[11:12]
; %bb.27:
	s_wait_alu 0xfffe
	s_or_b32 exec_lo, exec_lo, s3
	s_delay_alu instid0(SALU_CYCLE_1)
	s_mov_b32 s3, exec_lo
	s_wait_loadcnt_dscnt 0x0
	s_barrier_signal -1
	s_barrier_wait -1
	global_inv scope:SCOPE_SE
	v_cmpx_gt_u32_e32 8, v0
	s_cbranch_execz .LBB8_35
; %bb.28:
	v_lshlrev_b32_e32 v14, 3, v0
	s_mov_b32 s4, exec_lo
	ds_load_b64 v[11:12], v14
	s_wait_dscnt 0x0
	v_dual_mov_b32 v16, v11 :: v_dual_and_b32 v15, 7, v31
	v_mov_b32_dpp v20, v11 row_shr:1 row_mask:0xf bank_mask:0xf
	v_mov_b32_dpp v19, v12 row_shr:1 row_mask:0xf bank_mask:0xf
	s_delay_alu instid0(VALU_DEP_3)
	v_cmpx_ne_u32_e32 0, v15
; %bb.29:
	s_delay_alu instid0(VALU_DEP_3) | instskip(SKIP_2) | instid1(VALU_DEP_2)
	v_add_co_u32 v16, vcc_lo, v11, v20
	s_wait_alu 0xfffd
	v_add_co_ci_u32_e64 v12, null, 0, v12, vcc_lo
	v_add_co_u32 v11, vcc_lo, 0, v16
	s_wait_alu 0xfffd
	s_delay_alu instid0(VALU_DEP_2)
	v_add_co_ci_u32_e64 v12, null, v19, v12, vcc_lo
; %bb.30:
	s_wait_alu 0xfffe
	s_or_b32 exec_lo, exec_lo, s4
	v_mov_b32_dpp v20, v16 row_shr:2 row_mask:0xf bank_mask:0xf
	s_delay_alu instid0(VALU_DEP_2)
	v_mov_b32_dpp v19, v12 row_shr:2 row_mask:0xf bank_mask:0xf
	s_mov_b32 s4, exec_lo
	v_cmpx_lt_u32_e32 1, v15
; %bb.31:
	s_delay_alu instid0(VALU_DEP_3) | instskip(SKIP_2) | instid1(VALU_DEP_2)
	v_add_co_u32 v16, vcc_lo, v11, v20
	s_wait_alu 0xfffd
	v_add_co_ci_u32_e64 v12, null, 0, v12, vcc_lo
	v_add_co_u32 v11, vcc_lo, 0, v16
	s_wait_alu 0xfffd
	s_delay_alu instid0(VALU_DEP_2)
	v_add_co_ci_u32_e64 v12, null, v19, v12, vcc_lo
; %bb.32:
	s_wait_alu 0xfffe
	s_or_b32 exec_lo, exec_lo, s4
	v_mov_b32_dpp v19, v16 row_shr:4 row_mask:0xf bank_mask:0xf
	s_delay_alu instid0(VALU_DEP_2)
	v_mov_b32_dpp v16, v12 row_shr:4 row_mask:0xf bank_mask:0xf
	s_mov_b32 s4, exec_lo
	v_cmpx_lt_u32_e32 3, v15
; %bb.33:
	s_delay_alu instid0(VALU_DEP_3) | instskip(SKIP_2) | instid1(VALU_DEP_2)
	v_add_co_u32 v11, vcc_lo, v11, v19
	s_wait_alu 0xfffd
	v_add_co_ci_u32_e64 v12, null, 0, v12, vcc_lo
	v_add_co_u32 v11, vcc_lo, v11, 0
	s_wait_alu 0xfffd
	s_delay_alu instid0(VALU_DEP_2)
	v_add_co_ci_u32_e64 v12, null, v12, v16, vcc_lo
; %bb.34:
	s_wait_alu 0xfffe
	s_or_b32 exec_lo, exec_lo, s4
	ds_store_b64 v14, v[11:12]
.LBB8_35:
	s_wait_alu 0xfffe
	s_or_b32 exec_lo, exec_lo, s3
	s_delay_alu instid0(SALU_CYCLE_1)
	s_mov_b32 s4, exec_lo
	v_cmp_gt_u32_e32 vcc_lo, 32, v0
	s_wait_loadcnt_dscnt 0x0
	s_barrier_signal -1
	s_barrier_wait -1
	global_inv scope:SCOPE_SE
                                        ; implicit-def: $vgpr19_vgpr20
	v_cmpx_lt_u32_e32 31, v0
	s_cbranch_execz .LBB8_37
; %bb.36:
	v_lshl_add_u32 v9, v9, 3, -8
	ds_load_b64 v[19:20], v9
	s_wait_dscnt 0x0
	v_add_co_u32 v13, s3, v13, v19
	s_wait_alu 0xf1ff
	v_add_co_ci_u32_e64 v10, null, v10, v20, s3
.LBB8_37:
	s_wait_alu 0xfffe
	s_or_b32 exec_lo, exec_lo, s4
	v_sub_co_u32 v9, s3, v31, 1
	s_delay_alu instid0(VALU_DEP_1) | instskip(SKIP_1) | instid1(VALU_DEP_1)
	v_cmp_gt_i32_e64 s4, 0, v9
	s_wait_alu 0xf1ff
	v_cndmask_b32_e64 v9, v9, v31, s4
	s_delay_alu instid0(VALU_DEP_1)
	v_lshlrev_b32_e32 v9, 2, v9
	ds_bpermute_b32 v33, v9, v13
	ds_bpermute_b32 v34, v9, v10
	s_and_saveexec_b32 s4, vcc_lo
	s_cbranch_execz .LBB8_76
; %bb.38:
	v_mov_b32_e32 v12, 0
	ds_load_b64 v[9:10], v12 offset:56
	s_and_saveexec_b32 s5, s3
	s_cbranch_execz .LBB8_40
; %bb.39:
	s_add_co_i32 s16, ttmp9, 32
	s_mov_b32 s17, 0
	s_delay_alu instid0(SALU_CYCLE_1)
	s_lshl_b64 s[16:17], s[16:17], 4
	s_wait_kmcnt 0x0
	s_add_nc_u64 s[16:17], s[6:7], s[16:17]
	v_mov_b32_e32 v11, 1
	v_dual_mov_b32 v13, s16 :: v_dual_mov_b32 v14, s17
	s_wait_dscnt 0x0
	;;#ASMSTART
	global_store_b128 v[13:14], v[9:12] off scope:SCOPE_DEV	
s_wait_storecnt 0x0
	;;#ASMEND
.LBB8_40:
	s_wait_alu 0xfffe
	s_or_b32 exec_lo, exec_lo, s5
	v_xad_u32 v21, v31, -1, ttmp9
	s_mov_b32 s15, 0
	s_mov_b32 s5, exec_lo
	s_delay_alu instid0(VALU_DEP_1) | instskip(NEXT) | instid1(VALU_DEP_1)
	v_add_nc_u32_e32 v11, 32, v21
	v_lshlrev_b64_e32 v[11:12], 4, v[11:12]
	s_wait_kmcnt 0x0
	s_delay_alu instid0(VALU_DEP_1) | instskip(SKIP_1) | instid1(VALU_DEP_2)
	v_add_co_u32 v11, vcc_lo, s6, v11
	s_wait_alu 0xfffd
	v_add_co_ci_u32_e64 v12, null, s7, v12, vcc_lo
	;;#ASMSTART
	global_load_b128 v[13:16], v[11:12] off scope:SCOPE_DEV	
s_wait_loadcnt 0x0
	;;#ASMEND
	v_and_b32_e32 v16, 0xff, v15
	s_delay_alu instid0(VALU_DEP_1)
	v_cmpx_eq_u16_e32 0, v16
	s_cbranch_execz .LBB8_43
.LBB8_41:                               ; =>This Inner Loop Header: Depth=1
	;;#ASMSTART
	global_load_b128 v[13:16], v[11:12] off scope:SCOPE_DEV	
s_wait_loadcnt 0x0
	;;#ASMEND
	v_and_b32_e32 v16, 0xff, v15
	s_delay_alu instid0(VALU_DEP_1)
	v_cmp_ne_u16_e32 vcc_lo, 0, v16
	s_wait_alu 0xfffe
	s_or_b32 s15, vcc_lo, s15
	s_wait_alu 0xfffe
	s_and_not1_b32 exec_lo, exec_lo, s15
	s_cbranch_execnz .LBB8_41
; %bb.42:
	s_or_b32 exec_lo, exec_lo, s15
.LBB8_43:
	s_wait_alu 0xfffe
	s_or_b32 exec_lo, exec_lo, s5
	v_cmp_ne_u32_e32 vcc_lo, 31, v31
	v_and_b32_e32 v12, 0xff, v15
	v_lshlrev_b32_e64 v36, v31, -1
	s_mov_b32 s5, exec_lo
	s_wait_alu 0xfffd
	v_add_co_ci_u32_e64 v11, null, 0, v31, vcc_lo
	v_cmp_eq_u16_e32 vcc_lo, 2, v12
	s_delay_alu instid0(VALU_DEP_2)
	v_dual_mov_b32 v12, v13 :: v_dual_lshlrev_b32 v35, 2, v11
	s_wait_alu 0xfffd
	v_and_or_b32 v11, vcc_lo, v36, 0x80000000
	ds_bpermute_b32 v22, v35, v13
	ds_bpermute_b32 v16, v35, v14
	v_ctz_i32_b32_e32 v11, v11
	s_delay_alu instid0(VALU_DEP_1)
	v_cmpx_lt_u32_e64 v31, v11
	s_cbranch_execz .LBB8_45
; %bb.44:
	s_wait_dscnt 0x1
	v_add_co_u32 v12, vcc_lo, v13, v22
	s_wait_alu 0xfffd
	v_add_co_ci_u32_e64 v14, null, 0, v14, vcc_lo
	s_delay_alu instid0(VALU_DEP_2) | instskip(SKIP_2) | instid1(VALU_DEP_2)
	v_add_co_u32 v13, vcc_lo, 0, v12
	s_wait_dscnt 0x0
	s_wait_alu 0xfffd
	v_add_co_ci_u32_e64 v14, null, v16, v14, vcc_lo
.LBB8_45:
	s_wait_alu 0xfffe
	s_or_b32 exec_lo, exec_lo, s5
	v_cmp_gt_u32_e32 vcc_lo, 30, v31
	v_add_nc_u32_e32 v38, 2, v31
	s_mov_b32 s5, exec_lo
	s_wait_dscnt 0x0
	s_wait_alu 0xfffd
	v_cndmask_b32_e64 v16, 0, 2, vcc_lo
	s_delay_alu instid0(VALU_DEP_1)
	v_add_lshl_u32 v37, v16, v31, 2
	ds_bpermute_b32 v22, v37, v12
	ds_bpermute_b32 v16, v37, v14
	v_cmpx_le_u32_e64 v38, v11
	s_cbranch_execz .LBB8_47
; %bb.46:
	s_wait_dscnt 0x1
	v_add_co_u32 v12, vcc_lo, v13, v22
	s_wait_alu 0xfffd
	v_add_co_ci_u32_e64 v14, null, 0, v14, vcc_lo
	s_delay_alu instid0(VALU_DEP_2) | instskip(SKIP_2) | instid1(VALU_DEP_2)
	v_add_co_u32 v13, vcc_lo, 0, v12
	s_wait_dscnt 0x0
	s_wait_alu 0xfffd
	v_add_co_ci_u32_e64 v14, null, v16, v14, vcc_lo
.LBB8_47:
	s_wait_alu 0xfffe
	s_or_b32 exec_lo, exec_lo, s5
	v_cmp_gt_u32_e32 vcc_lo, 28, v31
	v_add_nc_u32_e32 v40, 4, v31
	s_mov_b32 s5, exec_lo
	s_wait_dscnt 0x0
	s_wait_alu 0xfffd
	v_cndmask_b32_e64 v16, 0, 4, vcc_lo
	s_delay_alu instid0(VALU_DEP_1)
	v_add_lshl_u32 v39, v16, v31, 2
	ds_bpermute_b32 v22, v39, v12
	ds_bpermute_b32 v16, v39, v14
	v_cmpx_le_u32_e64 v40, v11
	;; [unrolled: 25-line block ×3, first 2 shown]
	s_cbranch_execz .LBB8_51
; %bb.50:
	s_wait_dscnt 0x1
	v_add_co_u32 v12, vcc_lo, v13, v22
	s_wait_alu 0xfffd
	v_add_co_ci_u32_e64 v14, null, 0, v14, vcc_lo
	s_delay_alu instid0(VALU_DEP_2) | instskip(SKIP_2) | instid1(VALU_DEP_2)
	v_add_co_u32 v13, vcc_lo, 0, v12
	s_wait_dscnt 0x0
	s_wait_alu 0xfffd
	v_add_co_ci_u32_e64 v14, null, v16, v14, vcc_lo
.LBB8_51:
	s_wait_alu 0xfffe
	s_or_b32 exec_lo, exec_lo, s5
	v_lshl_or_b32 v43, v31, 2, 64
	v_add_nc_u32_e32 v44, 16, v31
	s_mov_b32 s5, exec_lo
	s_wait_dscnt 0x0
	ds_bpermute_b32 v16, v43, v12
	ds_bpermute_b32 v12, v43, v14
	v_cmpx_le_u32_e64 v44, v11
	s_cbranch_execz .LBB8_53
; %bb.52:
	s_wait_dscnt 0x1
	v_add_co_u32 v11, vcc_lo, v13, v16
	s_wait_alu 0xfffd
	v_add_co_ci_u32_e64 v14, null, 0, v14, vcc_lo
	s_delay_alu instid0(VALU_DEP_2) | instskip(SKIP_2) | instid1(VALU_DEP_2)
	v_add_co_u32 v13, vcc_lo, v11, 0
	s_wait_dscnt 0x0
	s_wait_alu 0xfffd
	v_add_co_ci_u32_e64 v14, null, v14, v12, vcc_lo
.LBB8_53:
	s_wait_alu 0xfffe
	s_or_b32 exec_lo, exec_lo, s5
	v_mov_b32_e32 v22, 0
	s_branch .LBB8_56
.LBB8_54:                               ;   in Loop: Header=BB8_56 Depth=1
	s_wait_alu 0xfffe
	s_or_b32 exec_lo, exec_lo, s5
	v_add_co_u32 v13, vcc_lo, v13, v11
	v_subrev_nc_u32_e32 v21, 32, v21
	s_wait_alu 0xfffd
	v_add_co_ci_u32_e64 v14, null, v14, v12, vcc_lo
	s_mov_b32 s5, 0
.LBB8_55:                               ;   in Loop: Header=BB8_56 Depth=1
	s_wait_alu 0xfffe
	s_and_b32 vcc_lo, exec_lo, s5
	s_wait_alu 0xfffe
	s_cbranch_vccnz .LBB8_72
.LBB8_56:                               ; =>This Loop Header: Depth=1
                                        ;     Child Loop BB8_59 Depth 2
	v_and_b32_e32 v11, 0xff, v15
	s_mov_b32 s5, -1
	s_delay_alu instid0(VALU_DEP_1)
	v_cmp_ne_u16_e32 vcc_lo, 2, v11
	s_wait_dscnt 0x0
	v_dual_mov_b32 v11, v13 :: v_dual_mov_b32 v12, v14
                                        ; implicit-def: $vgpr13_vgpr14
	s_cmp_lg_u32 vcc_lo, exec_lo
	s_cbranch_scc1 .LBB8_55
; %bb.57:                               ;   in Loop: Header=BB8_56 Depth=1
	v_lshlrev_b64_e32 v[13:14], 4, v[21:22]
	s_mov_b32 s5, exec_lo
	s_delay_alu instid0(VALU_DEP_1) | instskip(SKIP_1) | instid1(VALU_DEP_2)
	v_add_co_u32 v23, vcc_lo, s6, v13
	s_wait_alu 0xfffd
	v_add_co_ci_u32_e64 v24, null, s7, v14, vcc_lo
	;;#ASMSTART
	global_load_b128 v[13:16], v[23:24] off scope:SCOPE_DEV	
s_wait_loadcnt 0x0
	;;#ASMEND
	v_and_b32_e32 v16, 0xff, v15
	s_delay_alu instid0(VALU_DEP_1)
	v_cmpx_eq_u16_e32 0, v16
	s_cbranch_execz .LBB8_61
; %bb.58:                               ;   in Loop: Header=BB8_56 Depth=1
	s_mov_b32 s15, 0
.LBB8_59:                               ;   Parent Loop BB8_56 Depth=1
                                        ; =>  This Inner Loop Header: Depth=2
	;;#ASMSTART
	global_load_b128 v[13:16], v[23:24] off scope:SCOPE_DEV	
s_wait_loadcnt 0x0
	;;#ASMEND
	v_and_b32_e32 v16, 0xff, v15
	s_delay_alu instid0(VALU_DEP_1)
	v_cmp_ne_u16_e32 vcc_lo, 0, v16
	s_wait_alu 0xfffe
	s_or_b32 s15, vcc_lo, s15
	s_wait_alu 0xfffe
	s_and_not1_b32 exec_lo, exec_lo, s15
	s_cbranch_execnz .LBB8_59
; %bb.60:                               ;   in Loop: Header=BB8_56 Depth=1
	s_or_b32 exec_lo, exec_lo, s15
.LBB8_61:                               ;   in Loop: Header=BB8_56 Depth=1
	s_wait_alu 0xfffe
	s_or_b32 exec_lo, exec_lo, s5
	v_dual_mov_b32 v23, v13 :: v_dual_and_b32 v16, 0xff, v15
	ds_bpermute_b32 v45, v35, v13
	ds_bpermute_b32 v24, v35, v14
	s_mov_b32 s5, exec_lo
	v_cmp_eq_u16_e32 vcc_lo, 2, v16
	s_wait_alu 0xfffd
	v_and_or_b32 v16, vcc_lo, v36, 0x80000000
	s_delay_alu instid0(VALU_DEP_1) | instskip(NEXT) | instid1(VALU_DEP_1)
	v_ctz_i32_b32_e32 v16, v16
	v_cmpx_lt_u32_e64 v31, v16
	s_cbranch_execz .LBB8_63
; %bb.62:                               ;   in Loop: Header=BB8_56 Depth=1
	s_wait_dscnt 0x1
	v_add_co_u32 v23, vcc_lo, v13, v45
	s_wait_alu 0xfffd
	v_add_co_ci_u32_e64 v14, null, 0, v14, vcc_lo
	s_delay_alu instid0(VALU_DEP_2) | instskip(SKIP_2) | instid1(VALU_DEP_2)
	v_add_co_u32 v13, vcc_lo, 0, v23
	s_wait_dscnt 0x0
	s_wait_alu 0xfffd
	v_add_co_ci_u32_e64 v14, null, v24, v14, vcc_lo
.LBB8_63:                               ;   in Loop: Header=BB8_56 Depth=1
	s_wait_alu 0xfffe
	s_or_b32 exec_lo, exec_lo, s5
	s_wait_dscnt 0x1
	ds_bpermute_b32 v45, v37, v23
	s_wait_dscnt 0x1
	ds_bpermute_b32 v24, v37, v14
	s_mov_b32 s5, exec_lo
	v_cmpx_le_u32_e64 v38, v16
	s_cbranch_execz .LBB8_65
; %bb.64:                               ;   in Loop: Header=BB8_56 Depth=1
	s_wait_dscnt 0x1
	v_add_co_u32 v23, vcc_lo, v13, v45
	s_wait_alu 0xfffd
	v_add_co_ci_u32_e64 v14, null, 0, v14, vcc_lo
	s_delay_alu instid0(VALU_DEP_2) | instskip(SKIP_2) | instid1(VALU_DEP_2)
	v_add_co_u32 v13, vcc_lo, 0, v23
	s_wait_dscnt 0x0
	s_wait_alu 0xfffd
	v_add_co_ci_u32_e64 v14, null, v24, v14, vcc_lo
.LBB8_65:                               ;   in Loop: Header=BB8_56 Depth=1
	s_wait_alu 0xfffe
	s_or_b32 exec_lo, exec_lo, s5
	s_wait_dscnt 0x1
	ds_bpermute_b32 v45, v39, v23
	s_wait_dscnt 0x1
	ds_bpermute_b32 v24, v39, v14
	s_mov_b32 s5, exec_lo
	v_cmpx_le_u32_e64 v40, v16
	;; [unrolled: 20-line block ×3, first 2 shown]
	s_cbranch_execz .LBB8_69
; %bb.68:                               ;   in Loop: Header=BB8_56 Depth=1
	s_wait_dscnt 0x1
	v_add_co_u32 v23, vcc_lo, v13, v45
	s_wait_alu 0xfffd
	v_add_co_ci_u32_e64 v14, null, 0, v14, vcc_lo
	s_delay_alu instid0(VALU_DEP_2) | instskip(SKIP_2) | instid1(VALU_DEP_2)
	v_add_co_u32 v13, vcc_lo, 0, v23
	s_wait_dscnt 0x0
	s_wait_alu 0xfffd
	v_add_co_ci_u32_e64 v14, null, v24, v14, vcc_lo
.LBB8_69:                               ;   in Loop: Header=BB8_56 Depth=1
	s_wait_alu 0xfffe
	s_or_b32 exec_lo, exec_lo, s5
	s_wait_dscnt 0x0
	ds_bpermute_b32 v24, v43, v23
	ds_bpermute_b32 v23, v43, v14
	s_mov_b32 s5, exec_lo
	v_cmpx_le_u32_e64 v44, v16
	s_cbranch_execz .LBB8_54
; %bb.70:                               ;   in Loop: Header=BB8_56 Depth=1
	s_wait_dscnt 0x1
	v_add_co_u32 v13, vcc_lo, v13, v24
	s_wait_alu 0xfffd
	v_add_co_ci_u32_e64 v14, null, 0, v14, vcc_lo
	s_delay_alu instid0(VALU_DEP_2) | instskip(SKIP_2) | instid1(VALU_DEP_2)
	v_add_co_u32 v13, vcc_lo, v13, 0
	s_wait_dscnt 0x0
	s_wait_alu 0xfffd
	v_add_co_ci_u32_e64 v14, null, v14, v23, vcc_lo
	s_branch .LBB8_54
.LBB8_71:
                                        ; implicit-def: $vgpr15_vgpr16
                                        ; implicit-def: $vgpr13_vgpr14
                                        ; implicit-def: $vgpr19_vgpr20
                                        ; implicit-def: $vgpr21_vgpr22
                                        ; implicit-def: $vgpr11_vgpr12
	s_load_b64 s[4:5], s[0:1], 0x28
	s_and_b32 vcc_lo, exec_lo, s3
	s_wait_alu 0xfffe
	s_cbranch_vccnz .LBB8_77
	s_branch .LBB8_102
.LBB8_72:
	s_and_saveexec_b32 s5, s3
	s_cbranch_execz .LBB8_74
; %bb.73:
	s_add_co_i32 s16, ttmp9, 32
	s_mov_b32 s17, 0
	v_add_co_u32 v13, vcc_lo, v11, v9
	s_wait_alu 0xfffe
	s_lshl_b64 s[16:17], s[16:17], 4
	v_dual_mov_b32 v15, 2 :: v_dual_mov_b32 v16, 0
	s_wait_alu 0xfffe
	s_add_nc_u64 s[16:17], s[6:7], s[16:17]
	s_wait_alu 0xfffd
	v_add_co_ci_u32_e64 v14, null, v12, v10, vcc_lo
	s_wait_alu 0xfffe
	v_dual_mov_b32 v22, s17 :: v_dual_mov_b32 v21, s16
	;;#ASMSTART
	global_store_b128 v[21:22], v[13:16] off scope:SCOPE_DEV	
s_wait_storecnt 0x0
	;;#ASMEND
	ds_store_b128 v16, v[9:12] offset:8448
.LBB8_74:
	s_wait_alu 0xfffe
	s_or_b32 exec_lo, exec_lo, s5
	v_cmp_eq_u32_e32 vcc_lo, 0, v0
	s_and_b32 exec_lo, exec_lo, vcc_lo
; %bb.75:
	v_mov_b32_e32 v9, 0
	ds_store_b64 v9, v[11:12] offset:56
.LBB8_76:
	s_wait_alu 0xfffe
	s_or_b32 exec_lo, exec_lo, s4
	s_wait_dscnt 0x1
	v_cndmask_b32_e64 v10, v33, v19, s3
	v_cmp_ne_u32_e32 vcc_lo, 0, v0
	v_mov_b32_e32 v9, 0
	s_wait_loadcnt_dscnt 0x0
	s_barrier_signal -1
	s_barrier_wait -1
	global_inv scope:SCOPE_SE
	s_wait_alu 0xfffd
	v_cndmask_b32_e32 v16, 0, v10, vcc_lo
	ds_load_b64 v[13:14], v9 offset:56
	v_cndmask_b32_e64 v11, v34, v20, s3
	s_wait_loadcnt_dscnt 0x0
	s_barrier_signal -1
	s_barrier_wait -1
	global_inv scope:SCOPE_SE
	v_cndmask_b32_e32 v15, 0, v11, vcc_lo
	ds_load_b128 v[9:12], v9 offset:8448
	v_add_co_u32 v21, vcc_lo, v13, v16
	s_wait_alu 0xfffd
	v_add_co_ci_u32_e64 v22, null, v14, v15, vcc_lo
	s_delay_alu instid0(VALU_DEP_2) | instskip(SKIP_1) | instid1(VALU_DEP_2)
	v_add_co_u32 v19, vcc_lo, v21, v30
	s_wait_alu 0xfffd
	v_add_co_ci_u32_e64 v20, null, 0, v22, vcc_lo
	s_delay_alu instid0(VALU_DEP_2) | instskip(SKIP_1) | instid1(VALU_DEP_2)
	;; [unrolled: 4-line block ×3, first 2 shown]
	v_add_co_u32 v15, vcc_lo, v13, v28
	s_wait_alu 0xfffd
	v_add_co_ci_u32_e64 v16, null, 0, v14, vcc_lo
	s_load_b64 s[4:5], s[0:1], 0x28
	s_branch .LBB8_102
.LBB8_77:
	s_wait_dscnt 0x0
	v_dual_mov_b32 v10, 0 :: v_dual_mov_b32 v11, v17
	v_mov_b32_dpp v12, v17 row_shr:1 row_mask:0xf bank_mask:0xf
	s_delay_alu instid0(VALU_DEP_2)
	v_mov_b32_dpp v9, v10 row_shr:1 row_mask:0xf bank_mask:0xf
	s_and_saveexec_b32 s0, s2
; %bb.78:
	s_delay_alu instid0(VALU_DEP_2) | instskip(SKIP_2) | instid1(VALU_DEP_2)
	v_add_co_u32 v11, vcc_lo, v17, v12
	s_wait_alu 0xfffd
	v_add_co_ci_u32_e64 v10, null, 0, v18, vcc_lo
	v_add_co_u32 v17, vcc_lo, 0, v11
	s_wait_alu 0xfffd
	s_delay_alu instid0(VALU_DEP_2) | instskip(NEXT) | instid1(VALU_DEP_1)
	v_add_co_ci_u32_e64 v18, null, v9, v10, vcc_lo
	v_mov_b32_e32 v10, v18
; %bb.79:
	s_or_b32 exec_lo, exec_lo, s0
	v_mov_b32_dpp v9, v11 row_shr:2 row_mask:0xf bank_mask:0xf
	s_delay_alu instid0(VALU_DEP_2)
	v_mov_b32_dpp v12, v10 row_shr:2 row_mask:0xf bank_mask:0xf
	s_mov_b32 s0, exec_lo
	v_cmpx_lt_u32_e32 1, v32
; %bb.80:
	s_delay_alu instid0(VALU_DEP_3) | instskip(SKIP_2) | instid1(VALU_DEP_2)
	v_add_co_u32 v11, vcc_lo, v17, v9
	s_wait_alu 0xfffd
	v_add_co_ci_u32_e64 v10, null, 0, v18, vcc_lo
	v_add_co_u32 v9, vcc_lo, 0, v11
	s_wait_alu 0xfffd
	s_delay_alu instid0(VALU_DEP_2) | instskip(NEXT) | instid1(VALU_DEP_1)
	v_add_co_ci_u32_e64 v10, null, v12, v10, vcc_lo
	v_dual_mov_b32 v18, v10 :: v_dual_mov_b32 v17, v9
; %bb.81:
	s_or_b32 exec_lo, exec_lo, s0
	v_mov_b32_dpp v9, v11 row_shr:4 row_mask:0xf bank_mask:0xf
	v_mov_b32_dpp v12, v10 row_shr:4 row_mask:0xf bank_mask:0xf
	s_mov_b32 s0, exec_lo
	v_cmpx_lt_u32_e32 3, v32
; %bb.82:
	s_delay_alu instid0(VALU_DEP_3) | instskip(SKIP_2) | instid1(VALU_DEP_2)
	v_add_co_u32 v11, vcc_lo, v17, v9
	s_wait_alu 0xfffd
	v_add_co_ci_u32_e64 v10, null, 0, v18, vcc_lo
	v_add_co_u32 v9, vcc_lo, 0, v11
	s_wait_alu 0xfffd
	s_delay_alu instid0(VALU_DEP_2) | instskip(NEXT) | instid1(VALU_DEP_1)
	v_add_co_ci_u32_e64 v10, null, v12, v10, vcc_lo
	v_dual_mov_b32 v18, v10 :: v_dual_mov_b32 v17, v9
; %bb.83:
	s_or_b32 exec_lo, exec_lo, s0
	v_mov_b32_dpp v12, v11 row_shr:8 row_mask:0xf bank_mask:0xf
	v_mov_b32_dpp v9, v10 row_shr:8 row_mask:0xf bank_mask:0xf
	s_mov_b32 s0, exec_lo
	v_cmpx_lt_u32_e32 7, v32
; %bb.84:
	s_delay_alu instid0(VALU_DEP_3) | instskip(SKIP_2) | instid1(VALU_DEP_2)
	v_add_co_u32 v11, vcc_lo, v17, v12
	s_wait_alu 0xfffd
	v_add_co_ci_u32_e64 v10, null, 0, v18, vcc_lo
	v_add_co_u32 v17, vcc_lo, 0, v11
	s_wait_alu 0xfffd
	s_delay_alu instid0(VALU_DEP_2) | instskip(NEXT) | instid1(VALU_DEP_1)
	v_add_co_ci_u32_e64 v18, null, v9, v10, vcc_lo
	v_mov_b32_e32 v10, v18
; %bb.85:
	s_or_b32 exec_lo, exec_lo, s0
	ds_swizzle_b32 v11, v11 offset:swizzle(BROADCAST,32,15)
	ds_swizzle_b32 v9, v10 offset:swizzle(BROADCAST,32,15)
	v_and_b32_e32 v10, 16, v31
	s_mov_b32 s0, exec_lo
	s_delay_alu instid0(VALU_DEP_1)
	v_cmpx_ne_u32_e32 0, v10
	s_cbranch_execz .LBB8_87
; %bb.86:
	s_wait_dscnt 0x1
	v_add_co_u32 v10, vcc_lo, v17, v11
	s_wait_alu 0xfffd
	v_add_co_ci_u32_e64 v11, null, 0, v18, vcc_lo
	s_delay_alu instid0(VALU_DEP_2) | instskip(SKIP_2) | instid1(VALU_DEP_2)
	v_add_co_u32 v17, vcc_lo, v10, 0
	s_wait_dscnt 0x0
	s_wait_alu 0xfffd
	v_add_co_ci_u32_e64 v18, null, v11, v9, vcc_lo
.LBB8_87:
	s_or_b32 exec_lo, exec_lo, s0
	s_wait_dscnt 0x0
	v_or_b32_e32 v9, 31, v0
	v_lshrrev_b32_e32 v11, 5, v0
	s_mov_b32 s0, exec_lo
	s_delay_alu instid0(VALU_DEP_2)
	v_cmpx_eq_u32_e64 v0, v9
; %bb.88:
	s_delay_alu instid0(VALU_DEP_2)
	v_lshlrev_b32_e32 v9, 3, v11
	ds_store_b64 v9, v[17:18]
; %bb.89:
	s_or_b32 exec_lo, exec_lo, s0
	s_delay_alu instid0(SALU_CYCLE_1)
	s_mov_b32 s0, exec_lo
	s_wait_loadcnt_dscnt 0x0
	s_barrier_signal -1
	s_barrier_wait -1
	global_inv scope:SCOPE_SE
	v_cmpx_gt_u32_e32 8, v0
	s_cbranch_execz .LBB8_97
; %bb.90:
	v_lshlrev_b32_e32 v12, 3, v0
	s_mov_b32 s1, exec_lo
	ds_load_b64 v[9:10], v12
	s_wait_dscnt 0x0
	v_dual_mov_b32 v14, v9 :: v_dual_and_b32 v13, 7, v31
	v_mov_b32_dpp v16, v9 row_shr:1 row_mask:0xf bank_mask:0xf
	v_mov_b32_dpp v15, v10 row_shr:1 row_mask:0xf bank_mask:0xf
	s_delay_alu instid0(VALU_DEP_3)
	v_cmpx_ne_u32_e32 0, v13
; %bb.91:
	s_delay_alu instid0(VALU_DEP_3) | instskip(SKIP_2) | instid1(VALU_DEP_2)
	v_add_co_u32 v14, vcc_lo, v9, v16
	s_wait_alu 0xfffd
	v_add_co_ci_u32_e64 v10, null, 0, v10, vcc_lo
	v_add_co_u32 v9, vcc_lo, 0, v14
	s_wait_alu 0xfffd
	s_delay_alu instid0(VALU_DEP_2)
	v_add_co_ci_u32_e64 v10, null, v15, v10, vcc_lo
; %bb.92:
	s_or_b32 exec_lo, exec_lo, s1
	v_mov_b32_dpp v16, v14 row_shr:2 row_mask:0xf bank_mask:0xf
	s_delay_alu instid0(VALU_DEP_2)
	v_mov_b32_dpp v15, v10 row_shr:2 row_mask:0xf bank_mask:0xf
	s_mov_b32 s1, exec_lo
	v_cmpx_lt_u32_e32 1, v13
; %bb.93:
	s_delay_alu instid0(VALU_DEP_3) | instskip(SKIP_2) | instid1(VALU_DEP_2)
	v_add_co_u32 v14, vcc_lo, v9, v16
	s_wait_alu 0xfffd
	v_add_co_ci_u32_e64 v10, null, 0, v10, vcc_lo
	v_add_co_u32 v9, vcc_lo, 0, v14
	s_wait_alu 0xfffd
	s_delay_alu instid0(VALU_DEP_2)
	v_add_co_ci_u32_e64 v10, null, v15, v10, vcc_lo
; %bb.94:
	s_or_b32 exec_lo, exec_lo, s1
	v_mov_b32_dpp v15, v14 row_shr:4 row_mask:0xf bank_mask:0xf
	s_delay_alu instid0(VALU_DEP_2)
	v_mov_b32_dpp v14, v10 row_shr:4 row_mask:0xf bank_mask:0xf
	s_mov_b32 s1, exec_lo
	v_cmpx_lt_u32_e32 3, v13
; %bb.95:
	s_delay_alu instid0(VALU_DEP_3) | instskip(SKIP_2) | instid1(VALU_DEP_2)
	v_add_co_u32 v9, vcc_lo, v9, v15
	s_wait_alu 0xfffd
	v_add_co_ci_u32_e64 v10, null, 0, v10, vcc_lo
	v_add_co_u32 v9, vcc_lo, v9, 0
	s_wait_alu 0xfffd
	s_delay_alu instid0(VALU_DEP_2)
	v_add_co_ci_u32_e64 v10, null, v10, v14, vcc_lo
; %bb.96:
	s_or_b32 exec_lo, exec_lo, s1
	ds_store_b64 v12, v[9:10]
.LBB8_97:
	s_or_b32 exec_lo, exec_lo, s0
	v_mov_b32_e32 v13, 0
	v_mov_b32_e32 v14, 0
	s_mov_b32 s0, exec_lo
	s_wait_loadcnt_dscnt 0x0
	s_barrier_signal -1
	s_barrier_wait -1
	global_inv scope:SCOPE_SE
	v_cmpx_lt_u32_e32 31, v0
; %bb.98:
	v_lshl_add_u32 v9, v11, 3, -8
	ds_load_b64 v[13:14], v9
; %bb.99:
	s_or_b32 exec_lo, exec_lo, s0
	v_sub_co_u32 v9, vcc_lo, v31, 1
	v_mov_b32_e32 v12, 0
	s_delay_alu instid0(VALU_DEP_2) | instskip(NEXT) | instid1(VALU_DEP_1)
	v_cmp_gt_i32_e64 s0, 0, v9
	v_cndmask_b32_e64 v9, v9, v31, s0
	s_wait_dscnt 0x0
	v_add_co_u32 v10, s0, v13, v17
	s_wait_alu 0xf1ff
	v_add_co_ci_u32_e64 v11, null, v14, v18, s0
	v_lshlrev_b32_e32 v9, 2, v9
	v_cmp_eq_u32_e64 s0, 0, v0
	ds_bpermute_b32 v15, v9, v10
	ds_bpermute_b32 v16, v9, v11
	ds_load_b64 v[9:10], v12 offset:56
	s_and_saveexec_b32 s1, s0
	s_cbranch_execz .LBB8_101
; %bb.100:
	s_wait_kmcnt 0x0
	s_add_nc_u64 s[2:3], s[6:7], 0x200
	s_wait_alu 0xfffe
	v_dual_mov_b32 v11, 2 :: v_dual_mov_b32 v18, s3
	v_mov_b32_e32 v17, s2
	s_wait_dscnt 0x0
	;;#ASMSTART
	global_store_b128 v[17:18], v[9:12] off scope:SCOPE_DEV	
s_wait_storecnt 0x0
	;;#ASMEND
.LBB8_101:
	s_wait_alu 0xfffe
	s_or_b32 exec_lo, exec_lo, s1
	s_wait_dscnt 0x1
	s_wait_alu 0xfffd
	v_dual_cndmask_b32 v11, v15, v13 :: v_dual_cndmask_b32 v12, v16, v14
	s_wait_loadcnt_dscnt 0x0
	s_barrier_signal -1
	s_barrier_wait -1
	s_delay_alu instid0(VALU_DEP_1)
	v_cndmask_b32_e64 v21, v11, 0, s0
	v_cndmask_b32_e64 v22, v12, 0, s0
	v_mov_b32_e32 v11, 0
	v_mov_b32_e32 v12, 0
	global_inv scope:SCOPE_SE
	v_add_co_u32 v19, vcc_lo, v21, v30
	s_wait_alu 0xfffd
	v_add_co_ci_u32_e64 v20, null, 0, v22, vcc_lo
	s_delay_alu instid0(VALU_DEP_2) | instskip(SKIP_1) | instid1(VALU_DEP_2)
	v_add_co_u32 v13, vcc_lo, v19, v29
	s_wait_alu 0xfffd
	v_add_co_ci_u32_e64 v14, null, 0, v20, vcc_lo
	s_delay_alu instid0(VALU_DEP_2) | instskip(SKIP_1) | instid1(VALU_DEP_2)
	v_add_co_u32 v15, vcc_lo, v13, v28
	s_wait_alu 0xfffd
	v_add_co_ci_u32_e64 v16, null, 0, v14, vcc_lo
.LBB8_102:
	v_and_b32_e32 v23, 1, v27
	s_wait_dscnt 0x0
	v_cmp_gt_u64_e32 vcc_lo, 0x101, v[9:10]
	s_mov_b32 s1, -1
	s_delay_alu instid0(VALU_DEP_2)
	v_cmp_eq_u32_e64 s0, 1, v23
	s_cbranch_vccnz .LBB8_106
; %bb.103:
	s_wait_alu 0xfffe
	s_and_b32 vcc_lo, exec_lo, s1
	s_wait_alu 0xfffe
	s_cbranch_vccnz .LBB8_115
.LBB8_104:
	v_cmp_eq_u32_e32 vcc_lo, 0, v0
	s_and_b32 s0, vcc_lo, s12
	s_wait_alu 0xfffe
	s_and_saveexec_b32 s1, s0
	s_cbranch_execnz .LBB8_127
.LBB8_105:
	s_endpgm
.LBB8_106:
	v_add_co_u32 v17, vcc_lo, v11, v9
	s_wait_alu 0xfffd
	v_add_co_ci_u32_e64 v18, null, v12, v10, vcc_lo
	s_lshl_b64 s[2:3], s[10:11], 3
	s_wait_kmcnt 0x0
	s_wait_alu 0xfffe
	s_add_nc_u64 s[2:3], s[4:5], s[2:3]
	v_cmp_lt_u64_e32 vcc_lo, v[21:22], v[17:18]
	s_or_b32 s1, s13, vcc_lo
	s_wait_alu 0xfffe
	s_and_b32 s1, s1, s0
	s_wait_alu 0xfffe
	s_and_saveexec_b32 s0, s1
	s_cbranch_execz .LBB8_108
; %bb.107:
	v_lshlrev_b64_e32 v[27:28], 3, v[21:22]
	s_delay_alu instid0(VALU_DEP_1) | instskip(SKIP_1) | instid1(VALU_DEP_2)
	v_add_co_u32 v27, vcc_lo, s2, v27
	s_wait_alu 0xfffd
	v_add_co_ci_u32_e64 v28, null, s3, v28, vcc_lo
	global_store_b64 v[27:28], v[1:2], off
.LBB8_108:
	s_wait_alu 0xfffe
	s_or_b32 exec_lo, exec_lo, s0
	v_and_b32_e32 v22, 1, v26
	v_cmp_lt_u64_e32 vcc_lo, v[19:20], v[17:18]
	s_delay_alu instid0(VALU_DEP_2)
	v_cmp_eq_u32_e64 s0, 1, v22
	s_or_b32 s1, s13, vcc_lo
	s_wait_alu 0xfffe
	s_and_b32 s1, s1, s0
	s_wait_alu 0xfffe
	s_and_saveexec_b32 s0, s1
	s_cbranch_execz .LBB8_110
; %bb.109:
	v_lshlrev_b64_e32 v[27:28], 3, v[19:20]
	s_delay_alu instid0(VALU_DEP_1) | instskip(SKIP_1) | instid1(VALU_DEP_2)
	v_add_co_u32 v27, vcc_lo, s2, v27
	s_wait_alu 0xfffd
	v_add_co_ci_u32_e64 v28, null, s3, v28, vcc_lo
	global_store_b64 v[27:28], v[5:6], off
.LBB8_110:
	s_wait_alu 0xfffe
	s_or_b32 exec_lo, exec_lo, s0
	v_and_b32_e32 v20, 1, v25
	v_cmp_lt_u64_e32 vcc_lo, v[13:14], v[17:18]
	s_delay_alu instid0(VALU_DEP_2)
	v_cmp_eq_u32_e64 s0, 1, v20
	s_or_b32 s1, s13, vcc_lo
	s_wait_alu 0xfffe
	s_and_b32 s1, s1, s0
	s_wait_alu 0xfffe
	s_and_saveexec_b32 s0, s1
	s_cbranch_execz .LBB8_112
; %bb.111:
	v_lshlrev_b64_e32 v[27:28], 3, v[13:14]
	s_delay_alu instid0(VALU_DEP_1) | instskip(SKIP_1) | instid1(VALU_DEP_2)
	v_add_co_u32 v27, vcc_lo, s2, v27
	s_wait_alu 0xfffd
	v_add_co_ci_u32_e64 v28, null, s3, v28, vcc_lo
	global_store_b64 v[27:28], v[7:8], off
.LBB8_112:
	s_wait_alu 0xfffe
	s_or_b32 exec_lo, exec_lo, s0
	v_cmp_lt_u64_e32 vcc_lo, v[15:16], v[17:18]
	s_or_b32 s0, s13, vcc_lo
	s_wait_alu 0xfffe
	s_and_b32 s1, s0, s14
	s_wait_alu 0xfffe
	s_and_saveexec_b32 s0, s1
	s_cbranch_execz .LBB8_114
; %bb.113:
	v_lshlrev_b64_e32 v[16:17], 3, v[15:16]
	s_delay_alu instid0(VALU_DEP_1) | instskip(SKIP_1) | instid1(VALU_DEP_2)
	v_add_co_u32 v16, vcc_lo, s2, v16
	s_wait_alu 0xfffd
	v_add_co_ci_u32_e64 v17, null, s3, v17, vcc_lo
	global_store_b64 v[16:17], v[3:4], off
.LBB8_114:
	s_wait_alu 0xfffe
	s_or_b32 exec_lo, exec_lo, s0
	s_branch .LBB8_104
.LBB8_115:
	s_mov_b32 s0, exec_lo
	v_cmpx_eq_u32_e32 1, v23
; %bb.116:
	v_sub_nc_u32_e32 v14, v21, v11
	s_delay_alu instid0(VALU_DEP_1)
	v_lshlrev_b32_e32 v14, 3, v14
	ds_store_b64 v14, v[1:2]
; %bb.117:
	s_wait_alu 0xfffe
	s_or_b32 exec_lo, exec_lo, s0
	v_and_b32_e32 v1, 1, v26
	s_mov_b32 s0, exec_lo
	s_delay_alu instid0(VALU_DEP_1)
	v_cmpx_eq_u32_e32 1, v1
; %bb.118:
	v_sub_nc_u32_e32 v1, v19, v11
	s_delay_alu instid0(VALU_DEP_1)
	v_lshlrev_b32_e32 v1, 3, v1
	ds_store_b64 v1, v[5:6]
; %bb.119:
	s_wait_alu 0xfffe
	s_or_b32 exec_lo, exec_lo, s0
	v_and_b32_e32 v1, 1, v25
	s_mov_b32 s0, exec_lo
	s_delay_alu instid0(VALU_DEP_1)
	v_cmpx_eq_u32_e32 1, v1
; %bb.120:
	v_sub_nc_u32_e32 v1, v13, v11
	s_delay_alu instid0(VALU_DEP_1)
	v_lshlrev_b32_e32 v1, 3, v1
	ds_store_b64 v1, v[7:8]
; %bb.121:
	s_wait_alu 0xfffe
	s_or_b32 exec_lo, exec_lo, s0
	s_and_saveexec_b32 s0, s14
; %bb.122:
	v_sub_nc_u32_e32 v1, v15, v11
	s_delay_alu instid0(VALU_DEP_1)
	v_lshlrev_b32_e32 v1, 3, v1
	ds_store_b64 v1, v[3:4]
; %bb.123:
	s_wait_alu 0xfffe
	s_or_b32 exec_lo, exec_lo, s0
	v_mov_b32_e32 v3, 0
	s_mov_b32 s1, exec_lo
	s_wait_storecnt 0x0
	s_wait_loadcnt_dscnt 0x0
	s_barrier_signal -1
	s_barrier_wait -1
	v_mov_b32_e32 v1, v3
	global_inv scope:SCOPE_SE
	v_cmpx_gt_u64_e64 v[9:10], v[0:1]
	s_cbranch_execz .LBB8_126
; %bb.124:
	v_lshlrev_b64_e32 v[4:5], 3, v[11:12]
	s_lshl_b64 s[2:3], s[10:11], 3
	v_or_b32_e32 v2, 0x100, v0
	s_wait_kmcnt 0x0
	s_delay_alu instid0(VALU_DEP_2) | instskip(SKIP_3) | instid1(VALU_DEP_2)
	v_add_co_u32 v4, vcc_lo, s4, v4
	s_wait_alu 0xfffd
	v_add_co_ci_u32_e64 v5, null, s5, v5, vcc_lo
	s_wait_alu 0xfffe
	v_add_co_u32 v6, vcc_lo, v4, s2
	s_wait_alu 0xfffd
	s_delay_alu instid0(VALU_DEP_2)
	v_add_co_ci_u32_e64 v7, null, s3, v5, vcc_lo
	v_dual_mov_b32 v5, v1 :: v_dual_mov_b32 v4, v0
	s_mov_b32 s2, 0
.LBB8_125:                              ; =>This Inner Loop Header: Depth=1
	s_delay_alu instid0(VALU_DEP_1) | instskip(NEXT) | instid1(VALU_DEP_2)
	v_lshlrev_b32_e32 v1, 3, v4
	v_lshlrev_b64_e32 v[15:16], 3, v[4:5]
	v_dual_mov_b32 v5, v3 :: v_dual_mov_b32 v4, v2
	v_cmp_le_u64_e32 vcc_lo, v[9:10], v[2:3]
	ds_load_b64 v[13:14], v1
	v_add_nc_u32_e32 v2, 0x100, v2
	v_add_co_u32 v15, s0, v6, v15
	s_wait_alu 0xf1ff
	v_add_co_ci_u32_e64 v16, null, v7, v16, s0
	s_wait_alu 0xfffe
	s_or_b32 s2, vcc_lo, s2
	s_wait_dscnt 0x0
	global_store_b64 v[15:16], v[13:14], off
	s_wait_alu 0xfffe
	s_and_not1_b32 exec_lo, exec_lo, s2
	s_cbranch_execnz .LBB8_125
.LBB8_126:
	s_wait_alu 0xfffe
	s_or_b32 exec_lo, exec_lo, s1
	v_cmp_eq_u32_e32 vcc_lo, 0, v0
	s_and_b32 s0, vcc_lo, s12
	s_wait_alu 0xfffe
	s_and_saveexec_b32 s1, s0
	s_cbranch_execz .LBB8_105
.LBB8_127:
	v_add_co_u32 v0, vcc_lo, v11, v9
	s_wait_alu 0xfffd
	v_add_co_ci_u32_e64 v1, null, v12, v10, vcc_lo
	v_mov_b32_e32 v2, 0
	s_delay_alu instid0(VALU_DEP_3) | instskip(SKIP_1) | instid1(VALU_DEP_3)
	v_add_co_u32 v0, vcc_lo, v0, s10
	s_wait_alu 0xfffd
	v_add_co_ci_u32_e64 v1, null, s11, v1, vcc_lo
	global_store_b64 v2, v[0:1], s[8:9]
	s_endpgm
.LBB8_128:
	v_lshlrev_b32_e32 v3, 3, v0
	s_delay_alu instid0(VALU_DEP_1)
	v_add_co_u32 v3, s14, s2, v3
	s_wait_alu 0xf1ff
	v_add_co_ci_u32_e64 v4, null, s3, 0, s14
	flat_load_b64 v[3:4], v[3:4] offset:2048
	s_wait_alu 0xfffe
	s_or_b32 exec_lo, exec_lo, s6
	s_delay_alu instid0(SALU_CYCLE_1)
	s_mov_b32 s6, exec_lo
	v_cmpx_gt_u32_e64 s7, v11
	s_cbranch_execz .LBB8_7
.LBB8_129:
	v_lshlrev_b32_e32 v5, 3, v0
	s_delay_alu instid0(VALU_DEP_1)
	v_add_co_u32 v5, s14, s2, v5
	s_wait_alu 0xf1ff
	v_add_co_ci_u32_e64 v6, null, s3, 0, s14
	flat_load_b64 v[5:6], v[5:6] offset:4096
	s_wait_alu 0xfffe
	s_or_b32 exec_lo, exec_lo, s6
	s_delay_alu instid0(SALU_CYCLE_1)
	s_mov_b32 s6, exec_lo
	v_cmpx_gt_u32_e64 s7, v10
	s_cbranch_execnz .LBB8_8
	s_branch .LBB8_9
	.section	.rodata,"a",@progbits
	.p2align	6, 0x0
	.amdhsa_kernel _ZN7rocprim17ROCPRIM_400000_NS6detail17trampoline_kernelINS0_14default_configENS1_25partition_config_selectorILNS1_17partition_subalgoE6EdNS0_10empty_typeEbEEZZNS1_14partition_implILS5_6ELb0ES3_mN6thrust23THRUST_200600_302600_NS6detail15normal_iteratorINSA_10device_ptrIdEEEEPS6_SG_NS0_5tupleIJSF_S6_EEENSH_IJSG_SG_EEES6_PlJNSB_9not_fun_tINSB_10functional5actorINSM_9compositeIJNSM_27transparent_binary_operatorINSA_8equal_toIvEEEENSN_INSM_8argumentILj0EEEEENSM_5valueIdEEEEEEEEEEEE10hipError_tPvRmT3_T4_T5_T6_T7_T9_mT8_P12ihipStream_tbDpT10_ENKUlT_T0_E_clISt17integral_constantIbLb0EES1K_EEDaS1F_S1G_EUlS1F_E_NS1_11comp_targetILNS1_3genE10ELNS1_11target_archE1200ELNS1_3gpuE4ELNS1_3repE0EEENS1_30default_config_static_selectorELNS0_4arch9wavefront6targetE0EEEvT1_
		.amdhsa_group_segment_fixed_size 8464
		.amdhsa_private_segment_fixed_size 0
		.amdhsa_kernarg_size 128
		.amdhsa_user_sgpr_count 2
		.amdhsa_user_sgpr_dispatch_ptr 0
		.amdhsa_user_sgpr_queue_ptr 0
		.amdhsa_user_sgpr_kernarg_segment_ptr 1
		.amdhsa_user_sgpr_dispatch_id 0
		.amdhsa_user_sgpr_private_segment_size 0
		.amdhsa_wavefront_size32 1
		.amdhsa_uses_dynamic_stack 0
		.amdhsa_enable_private_segment 0
		.amdhsa_system_sgpr_workgroup_id_x 1
		.amdhsa_system_sgpr_workgroup_id_y 0
		.amdhsa_system_sgpr_workgroup_id_z 0
		.amdhsa_system_sgpr_workgroup_info 0
		.amdhsa_system_vgpr_workitem_id 0
		.amdhsa_next_free_vgpr 46
		.amdhsa_next_free_sgpr 22
		.amdhsa_reserve_vcc 1
		.amdhsa_float_round_mode_32 0
		.amdhsa_float_round_mode_16_64 0
		.amdhsa_float_denorm_mode_32 3
		.amdhsa_float_denorm_mode_16_64 3
		.amdhsa_fp16_overflow 0
		.amdhsa_workgroup_processor_mode 1
		.amdhsa_memory_ordered 1
		.amdhsa_forward_progress 1
		.amdhsa_inst_pref_size 50
		.amdhsa_round_robin_scheduling 0
		.amdhsa_exception_fp_ieee_invalid_op 0
		.amdhsa_exception_fp_denorm_src 0
		.amdhsa_exception_fp_ieee_div_zero 0
		.amdhsa_exception_fp_ieee_overflow 0
		.amdhsa_exception_fp_ieee_underflow 0
		.amdhsa_exception_fp_ieee_inexact 0
		.amdhsa_exception_int_div_zero 0
	.end_amdhsa_kernel
	.section	.text._ZN7rocprim17ROCPRIM_400000_NS6detail17trampoline_kernelINS0_14default_configENS1_25partition_config_selectorILNS1_17partition_subalgoE6EdNS0_10empty_typeEbEEZZNS1_14partition_implILS5_6ELb0ES3_mN6thrust23THRUST_200600_302600_NS6detail15normal_iteratorINSA_10device_ptrIdEEEEPS6_SG_NS0_5tupleIJSF_S6_EEENSH_IJSG_SG_EEES6_PlJNSB_9not_fun_tINSB_10functional5actorINSM_9compositeIJNSM_27transparent_binary_operatorINSA_8equal_toIvEEEENSN_INSM_8argumentILj0EEEEENSM_5valueIdEEEEEEEEEEEE10hipError_tPvRmT3_T4_T5_T6_T7_T9_mT8_P12ihipStream_tbDpT10_ENKUlT_T0_E_clISt17integral_constantIbLb0EES1K_EEDaS1F_S1G_EUlS1F_E_NS1_11comp_targetILNS1_3genE10ELNS1_11target_archE1200ELNS1_3gpuE4ELNS1_3repE0EEENS1_30default_config_static_selectorELNS0_4arch9wavefront6targetE0EEEvT1_,"axG",@progbits,_ZN7rocprim17ROCPRIM_400000_NS6detail17trampoline_kernelINS0_14default_configENS1_25partition_config_selectorILNS1_17partition_subalgoE6EdNS0_10empty_typeEbEEZZNS1_14partition_implILS5_6ELb0ES3_mN6thrust23THRUST_200600_302600_NS6detail15normal_iteratorINSA_10device_ptrIdEEEEPS6_SG_NS0_5tupleIJSF_S6_EEENSH_IJSG_SG_EEES6_PlJNSB_9not_fun_tINSB_10functional5actorINSM_9compositeIJNSM_27transparent_binary_operatorINSA_8equal_toIvEEEENSN_INSM_8argumentILj0EEEEENSM_5valueIdEEEEEEEEEEEE10hipError_tPvRmT3_T4_T5_T6_T7_T9_mT8_P12ihipStream_tbDpT10_ENKUlT_T0_E_clISt17integral_constantIbLb0EES1K_EEDaS1F_S1G_EUlS1F_E_NS1_11comp_targetILNS1_3genE10ELNS1_11target_archE1200ELNS1_3gpuE4ELNS1_3repE0EEENS1_30default_config_static_selectorELNS0_4arch9wavefront6targetE0EEEvT1_,comdat
.Lfunc_end8:
	.size	_ZN7rocprim17ROCPRIM_400000_NS6detail17trampoline_kernelINS0_14default_configENS1_25partition_config_selectorILNS1_17partition_subalgoE6EdNS0_10empty_typeEbEEZZNS1_14partition_implILS5_6ELb0ES3_mN6thrust23THRUST_200600_302600_NS6detail15normal_iteratorINSA_10device_ptrIdEEEEPS6_SG_NS0_5tupleIJSF_S6_EEENSH_IJSG_SG_EEES6_PlJNSB_9not_fun_tINSB_10functional5actorINSM_9compositeIJNSM_27transparent_binary_operatorINSA_8equal_toIvEEEENSN_INSM_8argumentILj0EEEEENSM_5valueIdEEEEEEEEEEEE10hipError_tPvRmT3_T4_T5_T6_T7_T9_mT8_P12ihipStream_tbDpT10_ENKUlT_T0_E_clISt17integral_constantIbLb0EES1K_EEDaS1F_S1G_EUlS1F_E_NS1_11comp_targetILNS1_3genE10ELNS1_11target_archE1200ELNS1_3gpuE4ELNS1_3repE0EEENS1_30default_config_static_selectorELNS0_4arch9wavefront6targetE0EEEvT1_, .Lfunc_end8-_ZN7rocprim17ROCPRIM_400000_NS6detail17trampoline_kernelINS0_14default_configENS1_25partition_config_selectorILNS1_17partition_subalgoE6EdNS0_10empty_typeEbEEZZNS1_14partition_implILS5_6ELb0ES3_mN6thrust23THRUST_200600_302600_NS6detail15normal_iteratorINSA_10device_ptrIdEEEEPS6_SG_NS0_5tupleIJSF_S6_EEENSH_IJSG_SG_EEES6_PlJNSB_9not_fun_tINSB_10functional5actorINSM_9compositeIJNSM_27transparent_binary_operatorINSA_8equal_toIvEEEENSN_INSM_8argumentILj0EEEEENSM_5valueIdEEEEEEEEEEEE10hipError_tPvRmT3_T4_T5_T6_T7_T9_mT8_P12ihipStream_tbDpT10_ENKUlT_T0_E_clISt17integral_constantIbLb0EES1K_EEDaS1F_S1G_EUlS1F_E_NS1_11comp_targetILNS1_3genE10ELNS1_11target_archE1200ELNS1_3gpuE4ELNS1_3repE0EEENS1_30default_config_static_selectorELNS0_4arch9wavefront6targetE0EEEvT1_
                                        ; -- End function
	.set _ZN7rocprim17ROCPRIM_400000_NS6detail17trampoline_kernelINS0_14default_configENS1_25partition_config_selectorILNS1_17partition_subalgoE6EdNS0_10empty_typeEbEEZZNS1_14partition_implILS5_6ELb0ES3_mN6thrust23THRUST_200600_302600_NS6detail15normal_iteratorINSA_10device_ptrIdEEEEPS6_SG_NS0_5tupleIJSF_S6_EEENSH_IJSG_SG_EEES6_PlJNSB_9not_fun_tINSB_10functional5actorINSM_9compositeIJNSM_27transparent_binary_operatorINSA_8equal_toIvEEEENSN_INSM_8argumentILj0EEEEENSM_5valueIdEEEEEEEEEEEE10hipError_tPvRmT3_T4_T5_T6_T7_T9_mT8_P12ihipStream_tbDpT10_ENKUlT_T0_E_clISt17integral_constantIbLb0EES1K_EEDaS1F_S1G_EUlS1F_E_NS1_11comp_targetILNS1_3genE10ELNS1_11target_archE1200ELNS1_3gpuE4ELNS1_3repE0EEENS1_30default_config_static_selectorELNS0_4arch9wavefront6targetE0EEEvT1_.num_vgpr, 46
	.set _ZN7rocprim17ROCPRIM_400000_NS6detail17trampoline_kernelINS0_14default_configENS1_25partition_config_selectorILNS1_17partition_subalgoE6EdNS0_10empty_typeEbEEZZNS1_14partition_implILS5_6ELb0ES3_mN6thrust23THRUST_200600_302600_NS6detail15normal_iteratorINSA_10device_ptrIdEEEEPS6_SG_NS0_5tupleIJSF_S6_EEENSH_IJSG_SG_EEES6_PlJNSB_9not_fun_tINSB_10functional5actorINSM_9compositeIJNSM_27transparent_binary_operatorINSA_8equal_toIvEEEENSN_INSM_8argumentILj0EEEEENSM_5valueIdEEEEEEEEEEEE10hipError_tPvRmT3_T4_T5_T6_T7_T9_mT8_P12ihipStream_tbDpT10_ENKUlT_T0_E_clISt17integral_constantIbLb0EES1K_EEDaS1F_S1G_EUlS1F_E_NS1_11comp_targetILNS1_3genE10ELNS1_11target_archE1200ELNS1_3gpuE4ELNS1_3repE0EEENS1_30default_config_static_selectorELNS0_4arch9wavefront6targetE0EEEvT1_.num_agpr, 0
	.set _ZN7rocprim17ROCPRIM_400000_NS6detail17trampoline_kernelINS0_14default_configENS1_25partition_config_selectorILNS1_17partition_subalgoE6EdNS0_10empty_typeEbEEZZNS1_14partition_implILS5_6ELb0ES3_mN6thrust23THRUST_200600_302600_NS6detail15normal_iteratorINSA_10device_ptrIdEEEEPS6_SG_NS0_5tupleIJSF_S6_EEENSH_IJSG_SG_EEES6_PlJNSB_9not_fun_tINSB_10functional5actorINSM_9compositeIJNSM_27transparent_binary_operatorINSA_8equal_toIvEEEENSN_INSM_8argumentILj0EEEEENSM_5valueIdEEEEEEEEEEEE10hipError_tPvRmT3_T4_T5_T6_T7_T9_mT8_P12ihipStream_tbDpT10_ENKUlT_T0_E_clISt17integral_constantIbLb0EES1K_EEDaS1F_S1G_EUlS1F_E_NS1_11comp_targetILNS1_3genE10ELNS1_11target_archE1200ELNS1_3gpuE4ELNS1_3repE0EEENS1_30default_config_static_selectorELNS0_4arch9wavefront6targetE0EEEvT1_.numbered_sgpr, 22
	.set _ZN7rocprim17ROCPRIM_400000_NS6detail17trampoline_kernelINS0_14default_configENS1_25partition_config_selectorILNS1_17partition_subalgoE6EdNS0_10empty_typeEbEEZZNS1_14partition_implILS5_6ELb0ES3_mN6thrust23THRUST_200600_302600_NS6detail15normal_iteratorINSA_10device_ptrIdEEEEPS6_SG_NS0_5tupleIJSF_S6_EEENSH_IJSG_SG_EEES6_PlJNSB_9not_fun_tINSB_10functional5actorINSM_9compositeIJNSM_27transparent_binary_operatorINSA_8equal_toIvEEEENSN_INSM_8argumentILj0EEEEENSM_5valueIdEEEEEEEEEEEE10hipError_tPvRmT3_T4_T5_T6_T7_T9_mT8_P12ihipStream_tbDpT10_ENKUlT_T0_E_clISt17integral_constantIbLb0EES1K_EEDaS1F_S1G_EUlS1F_E_NS1_11comp_targetILNS1_3genE10ELNS1_11target_archE1200ELNS1_3gpuE4ELNS1_3repE0EEENS1_30default_config_static_selectorELNS0_4arch9wavefront6targetE0EEEvT1_.num_named_barrier, 0
	.set _ZN7rocprim17ROCPRIM_400000_NS6detail17trampoline_kernelINS0_14default_configENS1_25partition_config_selectorILNS1_17partition_subalgoE6EdNS0_10empty_typeEbEEZZNS1_14partition_implILS5_6ELb0ES3_mN6thrust23THRUST_200600_302600_NS6detail15normal_iteratorINSA_10device_ptrIdEEEEPS6_SG_NS0_5tupleIJSF_S6_EEENSH_IJSG_SG_EEES6_PlJNSB_9not_fun_tINSB_10functional5actorINSM_9compositeIJNSM_27transparent_binary_operatorINSA_8equal_toIvEEEENSN_INSM_8argumentILj0EEEEENSM_5valueIdEEEEEEEEEEEE10hipError_tPvRmT3_T4_T5_T6_T7_T9_mT8_P12ihipStream_tbDpT10_ENKUlT_T0_E_clISt17integral_constantIbLb0EES1K_EEDaS1F_S1G_EUlS1F_E_NS1_11comp_targetILNS1_3genE10ELNS1_11target_archE1200ELNS1_3gpuE4ELNS1_3repE0EEENS1_30default_config_static_selectorELNS0_4arch9wavefront6targetE0EEEvT1_.private_seg_size, 0
	.set _ZN7rocprim17ROCPRIM_400000_NS6detail17trampoline_kernelINS0_14default_configENS1_25partition_config_selectorILNS1_17partition_subalgoE6EdNS0_10empty_typeEbEEZZNS1_14partition_implILS5_6ELb0ES3_mN6thrust23THRUST_200600_302600_NS6detail15normal_iteratorINSA_10device_ptrIdEEEEPS6_SG_NS0_5tupleIJSF_S6_EEENSH_IJSG_SG_EEES6_PlJNSB_9not_fun_tINSB_10functional5actorINSM_9compositeIJNSM_27transparent_binary_operatorINSA_8equal_toIvEEEENSN_INSM_8argumentILj0EEEEENSM_5valueIdEEEEEEEEEEEE10hipError_tPvRmT3_T4_T5_T6_T7_T9_mT8_P12ihipStream_tbDpT10_ENKUlT_T0_E_clISt17integral_constantIbLb0EES1K_EEDaS1F_S1G_EUlS1F_E_NS1_11comp_targetILNS1_3genE10ELNS1_11target_archE1200ELNS1_3gpuE4ELNS1_3repE0EEENS1_30default_config_static_selectorELNS0_4arch9wavefront6targetE0EEEvT1_.uses_vcc, 1
	.set _ZN7rocprim17ROCPRIM_400000_NS6detail17trampoline_kernelINS0_14default_configENS1_25partition_config_selectorILNS1_17partition_subalgoE6EdNS0_10empty_typeEbEEZZNS1_14partition_implILS5_6ELb0ES3_mN6thrust23THRUST_200600_302600_NS6detail15normal_iteratorINSA_10device_ptrIdEEEEPS6_SG_NS0_5tupleIJSF_S6_EEENSH_IJSG_SG_EEES6_PlJNSB_9not_fun_tINSB_10functional5actorINSM_9compositeIJNSM_27transparent_binary_operatorINSA_8equal_toIvEEEENSN_INSM_8argumentILj0EEEEENSM_5valueIdEEEEEEEEEEEE10hipError_tPvRmT3_T4_T5_T6_T7_T9_mT8_P12ihipStream_tbDpT10_ENKUlT_T0_E_clISt17integral_constantIbLb0EES1K_EEDaS1F_S1G_EUlS1F_E_NS1_11comp_targetILNS1_3genE10ELNS1_11target_archE1200ELNS1_3gpuE4ELNS1_3repE0EEENS1_30default_config_static_selectorELNS0_4arch9wavefront6targetE0EEEvT1_.uses_flat_scratch, 1
	.set _ZN7rocprim17ROCPRIM_400000_NS6detail17trampoline_kernelINS0_14default_configENS1_25partition_config_selectorILNS1_17partition_subalgoE6EdNS0_10empty_typeEbEEZZNS1_14partition_implILS5_6ELb0ES3_mN6thrust23THRUST_200600_302600_NS6detail15normal_iteratorINSA_10device_ptrIdEEEEPS6_SG_NS0_5tupleIJSF_S6_EEENSH_IJSG_SG_EEES6_PlJNSB_9not_fun_tINSB_10functional5actorINSM_9compositeIJNSM_27transparent_binary_operatorINSA_8equal_toIvEEEENSN_INSM_8argumentILj0EEEEENSM_5valueIdEEEEEEEEEEEE10hipError_tPvRmT3_T4_T5_T6_T7_T9_mT8_P12ihipStream_tbDpT10_ENKUlT_T0_E_clISt17integral_constantIbLb0EES1K_EEDaS1F_S1G_EUlS1F_E_NS1_11comp_targetILNS1_3genE10ELNS1_11target_archE1200ELNS1_3gpuE4ELNS1_3repE0EEENS1_30default_config_static_selectorELNS0_4arch9wavefront6targetE0EEEvT1_.has_dyn_sized_stack, 0
	.set _ZN7rocprim17ROCPRIM_400000_NS6detail17trampoline_kernelINS0_14default_configENS1_25partition_config_selectorILNS1_17partition_subalgoE6EdNS0_10empty_typeEbEEZZNS1_14partition_implILS5_6ELb0ES3_mN6thrust23THRUST_200600_302600_NS6detail15normal_iteratorINSA_10device_ptrIdEEEEPS6_SG_NS0_5tupleIJSF_S6_EEENSH_IJSG_SG_EEES6_PlJNSB_9not_fun_tINSB_10functional5actorINSM_9compositeIJNSM_27transparent_binary_operatorINSA_8equal_toIvEEEENSN_INSM_8argumentILj0EEEEENSM_5valueIdEEEEEEEEEEEE10hipError_tPvRmT3_T4_T5_T6_T7_T9_mT8_P12ihipStream_tbDpT10_ENKUlT_T0_E_clISt17integral_constantIbLb0EES1K_EEDaS1F_S1G_EUlS1F_E_NS1_11comp_targetILNS1_3genE10ELNS1_11target_archE1200ELNS1_3gpuE4ELNS1_3repE0EEENS1_30default_config_static_selectorELNS0_4arch9wavefront6targetE0EEEvT1_.has_recursion, 0
	.set _ZN7rocprim17ROCPRIM_400000_NS6detail17trampoline_kernelINS0_14default_configENS1_25partition_config_selectorILNS1_17partition_subalgoE6EdNS0_10empty_typeEbEEZZNS1_14partition_implILS5_6ELb0ES3_mN6thrust23THRUST_200600_302600_NS6detail15normal_iteratorINSA_10device_ptrIdEEEEPS6_SG_NS0_5tupleIJSF_S6_EEENSH_IJSG_SG_EEES6_PlJNSB_9not_fun_tINSB_10functional5actorINSM_9compositeIJNSM_27transparent_binary_operatorINSA_8equal_toIvEEEENSN_INSM_8argumentILj0EEEEENSM_5valueIdEEEEEEEEEEEE10hipError_tPvRmT3_T4_T5_T6_T7_T9_mT8_P12ihipStream_tbDpT10_ENKUlT_T0_E_clISt17integral_constantIbLb0EES1K_EEDaS1F_S1G_EUlS1F_E_NS1_11comp_targetILNS1_3genE10ELNS1_11target_archE1200ELNS1_3gpuE4ELNS1_3repE0EEENS1_30default_config_static_selectorELNS0_4arch9wavefront6targetE0EEEvT1_.has_indirect_call, 0
	.section	.AMDGPU.csdata,"",@progbits
; Kernel info:
; codeLenInByte = 6368
; TotalNumSgprs: 24
; NumVgprs: 46
; ScratchSize: 0
; MemoryBound: 0
; FloatMode: 240
; IeeeMode: 1
; LDSByteSize: 8464 bytes/workgroup (compile time only)
; SGPRBlocks: 0
; VGPRBlocks: 5
; NumSGPRsForWavesPerEU: 24
; NumVGPRsForWavesPerEU: 46
; Occupancy: 16
; WaveLimiterHint : 1
; COMPUTE_PGM_RSRC2:SCRATCH_EN: 0
; COMPUTE_PGM_RSRC2:USER_SGPR: 2
; COMPUTE_PGM_RSRC2:TRAP_HANDLER: 0
; COMPUTE_PGM_RSRC2:TGID_X_EN: 1
; COMPUTE_PGM_RSRC2:TGID_Y_EN: 0
; COMPUTE_PGM_RSRC2:TGID_Z_EN: 0
; COMPUTE_PGM_RSRC2:TIDIG_COMP_CNT: 0
	.section	.text._ZN7rocprim17ROCPRIM_400000_NS6detail17trampoline_kernelINS0_14default_configENS1_25partition_config_selectorILNS1_17partition_subalgoE6EdNS0_10empty_typeEbEEZZNS1_14partition_implILS5_6ELb0ES3_mN6thrust23THRUST_200600_302600_NS6detail15normal_iteratorINSA_10device_ptrIdEEEEPS6_SG_NS0_5tupleIJSF_S6_EEENSH_IJSG_SG_EEES6_PlJNSB_9not_fun_tINSB_10functional5actorINSM_9compositeIJNSM_27transparent_binary_operatorINSA_8equal_toIvEEEENSN_INSM_8argumentILj0EEEEENSM_5valueIdEEEEEEEEEEEE10hipError_tPvRmT3_T4_T5_T6_T7_T9_mT8_P12ihipStream_tbDpT10_ENKUlT_T0_E_clISt17integral_constantIbLb0EES1K_EEDaS1F_S1G_EUlS1F_E_NS1_11comp_targetILNS1_3genE9ELNS1_11target_archE1100ELNS1_3gpuE3ELNS1_3repE0EEENS1_30default_config_static_selectorELNS0_4arch9wavefront6targetE0EEEvT1_,"axG",@progbits,_ZN7rocprim17ROCPRIM_400000_NS6detail17trampoline_kernelINS0_14default_configENS1_25partition_config_selectorILNS1_17partition_subalgoE6EdNS0_10empty_typeEbEEZZNS1_14partition_implILS5_6ELb0ES3_mN6thrust23THRUST_200600_302600_NS6detail15normal_iteratorINSA_10device_ptrIdEEEEPS6_SG_NS0_5tupleIJSF_S6_EEENSH_IJSG_SG_EEES6_PlJNSB_9not_fun_tINSB_10functional5actorINSM_9compositeIJNSM_27transparent_binary_operatorINSA_8equal_toIvEEEENSN_INSM_8argumentILj0EEEEENSM_5valueIdEEEEEEEEEEEE10hipError_tPvRmT3_T4_T5_T6_T7_T9_mT8_P12ihipStream_tbDpT10_ENKUlT_T0_E_clISt17integral_constantIbLb0EES1K_EEDaS1F_S1G_EUlS1F_E_NS1_11comp_targetILNS1_3genE9ELNS1_11target_archE1100ELNS1_3gpuE3ELNS1_3repE0EEENS1_30default_config_static_selectorELNS0_4arch9wavefront6targetE0EEEvT1_,comdat
	.protected	_ZN7rocprim17ROCPRIM_400000_NS6detail17trampoline_kernelINS0_14default_configENS1_25partition_config_selectorILNS1_17partition_subalgoE6EdNS0_10empty_typeEbEEZZNS1_14partition_implILS5_6ELb0ES3_mN6thrust23THRUST_200600_302600_NS6detail15normal_iteratorINSA_10device_ptrIdEEEEPS6_SG_NS0_5tupleIJSF_S6_EEENSH_IJSG_SG_EEES6_PlJNSB_9not_fun_tINSB_10functional5actorINSM_9compositeIJNSM_27transparent_binary_operatorINSA_8equal_toIvEEEENSN_INSM_8argumentILj0EEEEENSM_5valueIdEEEEEEEEEEEE10hipError_tPvRmT3_T4_T5_T6_T7_T9_mT8_P12ihipStream_tbDpT10_ENKUlT_T0_E_clISt17integral_constantIbLb0EES1K_EEDaS1F_S1G_EUlS1F_E_NS1_11comp_targetILNS1_3genE9ELNS1_11target_archE1100ELNS1_3gpuE3ELNS1_3repE0EEENS1_30default_config_static_selectorELNS0_4arch9wavefront6targetE0EEEvT1_ ; -- Begin function _ZN7rocprim17ROCPRIM_400000_NS6detail17trampoline_kernelINS0_14default_configENS1_25partition_config_selectorILNS1_17partition_subalgoE6EdNS0_10empty_typeEbEEZZNS1_14partition_implILS5_6ELb0ES3_mN6thrust23THRUST_200600_302600_NS6detail15normal_iteratorINSA_10device_ptrIdEEEEPS6_SG_NS0_5tupleIJSF_S6_EEENSH_IJSG_SG_EEES6_PlJNSB_9not_fun_tINSB_10functional5actorINSM_9compositeIJNSM_27transparent_binary_operatorINSA_8equal_toIvEEEENSN_INSM_8argumentILj0EEEEENSM_5valueIdEEEEEEEEEEEE10hipError_tPvRmT3_T4_T5_T6_T7_T9_mT8_P12ihipStream_tbDpT10_ENKUlT_T0_E_clISt17integral_constantIbLb0EES1K_EEDaS1F_S1G_EUlS1F_E_NS1_11comp_targetILNS1_3genE9ELNS1_11target_archE1100ELNS1_3gpuE3ELNS1_3repE0EEENS1_30default_config_static_selectorELNS0_4arch9wavefront6targetE0EEEvT1_
	.globl	_ZN7rocprim17ROCPRIM_400000_NS6detail17trampoline_kernelINS0_14default_configENS1_25partition_config_selectorILNS1_17partition_subalgoE6EdNS0_10empty_typeEbEEZZNS1_14partition_implILS5_6ELb0ES3_mN6thrust23THRUST_200600_302600_NS6detail15normal_iteratorINSA_10device_ptrIdEEEEPS6_SG_NS0_5tupleIJSF_S6_EEENSH_IJSG_SG_EEES6_PlJNSB_9not_fun_tINSB_10functional5actorINSM_9compositeIJNSM_27transparent_binary_operatorINSA_8equal_toIvEEEENSN_INSM_8argumentILj0EEEEENSM_5valueIdEEEEEEEEEEEE10hipError_tPvRmT3_T4_T5_T6_T7_T9_mT8_P12ihipStream_tbDpT10_ENKUlT_T0_E_clISt17integral_constantIbLb0EES1K_EEDaS1F_S1G_EUlS1F_E_NS1_11comp_targetILNS1_3genE9ELNS1_11target_archE1100ELNS1_3gpuE3ELNS1_3repE0EEENS1_30default_config_static_selectorELNS0_4arch9wavefront6targetE0EEEvT1_
	.p2align	8
	.type	_ZN7rocprim17ROCPRIM_400000_NS6detail17trampoline_kernelINS0_14default_configENS1_25partition_config_selectorILNS1_17partition_subalgoE6EdNS0_10empty_typeEbEEZZNS1_14partition_implILS5_6ELb0ES3_mN6thrust23THRUST_200600_302600_NS6detail15normal_iteratorINSA_10device_ptrIdEEEEPS6_SG_NS0_5tupleIJSF_S6_EEENSH_IJSG_SG_EEES6_PlJNSB_9not_fun_tINSB_10functional5actorINSM_9compositeIJNSM_27transparent_binary_operatorINSA_8equal_toIvEEEENSN_INSM_8argumentILj0EEEEENSM_5valueIdEEEEEEEEEEEE10hipError_tPvRmT3_T4_T5_T6_T7_T9_mT8_P12ihipStream_tbDpT10_ENKUlT_T0_E_clISt17integral_constantIbLb0EES1K_EEDaS1F_S1G_EUlS1F_E_NS1_11comp_targetILNS1_3genE9ELNS1_11target_archE1100ELNS1_3gpuE3ELNS1_3repE0EEENS1_30default_config_static_selectorELNS0_4arch9wavefront6targetE0EEEvT1_,@function
_ZN7rocprim17ROCPRIM_400000_NS6detail17trampoline_kernelINS0_14default_configENS1_25partition_config_selectorILNS1_17partition_subalgoE6EdNS0_10empty_typeEbEEZZNS1_14partition_implILS5_6ELb0ES3_mN6thrust23THRUST_200600_302600_NS6detail15normal_iteratorINSA_10device_ptrIdEEEEPS6_SG_NS0_5tupleIJSF_S6_EEENSH_IJSG_SG_EEES6_PlJNSB_9not_fun_tINSB_10functional5actorINSM_9compositeIJNSM_27transparent_binary_operatorINSA_8equal_toIvEEEENSN_INSM_8argumentILj0EEEEENSM_5valueIdEEEEEEEEEEEE10hipError_tPvRmT3_T4_T5_T6_T7_T9_mT8_P12ihipStream_tbDpT10_ENKUlT_T0_E_clISt17integral_constantIbLb0EES1K_EEDaS1F_S1G_EUlS1F_E_NS1_11comp_targetILNS1_3genE9ELNS1_11target_archE1100ELNS1_3gpuE3ELNS1_3repE0EEENS1_30default_config_static_selectorELNS0_4arch9wavefront6targetE0EEEvT1_: ; @_ZN7rocprim17ROCPRIM_400000_NS6detail17trampoline_kernelINS0_14default_configENS1_25partition_config_selectorILNS1_17partition_subalgoE6EdNS0_10empty_typeEbEEZZNS1_14partition_implILS5_6ELb0ES3_mN6thrust23THRUST_200600_302600_NS6detail15normal_iteratorINSA_10device_ptrIdEEEEPS6_SG_NS0_5tupleIJSF_S6_EEENSH_IJSG_SG_EEES6_PlJNSB_9not_fun_tINSB_10functional5actorINSM_9compositeIJNSM_27transparent_binary_operatorINSA_8equal_toIvEEEENSN_INSM_8argumentILj0EEEEENSM_5valueIdEEEEEEEEEEEE10hipError_tPvRmT3_T4_T5_T6_T7_T9_mT8_P12ihipStream_tbDpT10_ENKUlT_T0_E_clISt17integral_constantIbLb0EES1K_EEDaS1F_S1G_EUlS1F_E_NS1_11comp_targetILNS1_3genE9ELNS1_11target_archE1100ELNS1_3gpuE3ELNS1_3repE0EEENS1_30default_config_static_selectorELNS0_4arch9wavefront6targetE0EEEvT1_
; %bb.0:
	.section	.rodata,"a",@progbits
	.p2align	6, 0x0
	.amdhsa_kernel _ZN7rocprim17ROCPRIM_400000_NS6detail17trampoline_kernelINS0_14default_configENS1_25partition_config_selectorILNS1_17partition_subalgoE6EdNS0_10empty_typeEbEEZZNS1_14partition_implILS5_6ELb0ES3_mN6thrust23THRUST_200600_302600_NS6detail15normal_iteratorINSA_10device_ptrIdEEEEPS6_SG_NS0_5tupleIJSF_S6_EEENSH_IJSG_SG_EEES6_PlJNSB_9not_fun_tINSB_10functional5actorINSM_9compositeIJNSM_27transparent_binary_operatorINSA_8equal_toIvEEEENSN_INSM_8argumentILj0EEEEENSM_5valueIdEEEEEEEEEEEE10hipError_tPvRmT3_T4_T5_T6_T7_T9_mT8_P12ihipStream_tbDpT10_ENKUlT_T0_E_clISt17integral_constantIbLb0EES1K_EEDaS1F_S1G_EUlS1F_E_NS1_11comp_targetILNS1_3genE9ELNS1_11target_archE1100ELNS1_3gpuE3ELNS1_3repE0EEENS1_30default_config_static_selectorELNS0_4arch9wavefront6targetE0EEEvT1_
		.amdhsa_group_segment_fixed_size 0
		.amdhsa_private_segment_fixed_size 0
		.amdhsa_kernarg_size 128
		.amdhsa_user_sgpr_count 2
		.amdhsa_user_sgpr_dispatch_ptr 0
		.amdhsa_user_sgpr_queue_ptr 0
		.amdhsa_user_sgpr_kernarg_segment_ptr 1
		.amdhsa_user_sgpr_dispatch_id 0
		.amdhsa_user_sgpr_private_segment_size 0
		.amdhsa_wavefront_size32 1
		.amdhsa_uses_dynamic_stack 0
		.amdhsa_enable_private_segment 0
		.amdhsa_system_sgpr_workgroup_id_x 1
		.amdhsa_system_sgpr_workgroup_id_y 0
		.amdhsa_system_sgpr_workgroup_id_z 0
		.amdhsa_system_sgpr_workgroup_info 0
		.amdhsa_system_vgpr_workitem_id 0
		.amdhsa_next_free_vgpr 1
		.amdhsa_next_free_sgpr 1
		.amdhsa_reserve_vcc 0
		.amdhsa_float_round_mode_32 0
		.amdhsa_float_round_mode_16_64 0
		.amdhsa_float_denorm_mode_32 3
		.amdhsa_float_denorm_mode_16_64 3
		.amdhsa_fp16_overflow 0
		.amdhsa_workgroup_processor_mode 1
		.amdhsa_memory_ordered 1
		.amdhsa_forward_progress 1
		.amdhsa_inst_pref_size 0
		.amdhsa_round_robin_scheduling 0
		.amdhsa_exception_fp_ieee_invalid_op 0
		.amdhsa_exception_fp_denorm_src 0
		.amdhsa_exception_fp_ieee_div_zero 0
		.amdhsa_exception_fp_ieee_overflow 0
		.amdhsa_exception_fp_ieee_underflow 0
		.amdhsa_exception_fp_ieee_inexact 0
		.amdhsa_exception_int_div_zero 0
	.end_amdhsa_kernel
	.section	.text._ZN7rocprim17ROCPRIM_400000_NS6detail17trampoline_kernelINS0_14default_configENS1_25partition_config_selectorILNS1_17partition_subalgoE6EdNS0_10empty_typeEbEEZZNS1_14partition_implILS5_6ELb0ES3_mN6thrust23THRUST_200600_302600_NS6detail15normal_iteratorINSA_10device_ptrIdEEEEPS6_SG_NS0_5tupleIJSF_S6_EEENSH_IJSG_SG_EEES6_PlJNSB_9not_fun_tINSB_10functional5actorINSM_9compositeIJNSM_27transparent_binary_operatorINSA_8equal_toIvEEEENSN_INSM_8argumentILj0EEEEENSM_5valueIdEEEEEEEEEEEE10hipError_tPvRmT3_T4_T5_T6_T7_T9_mT8_P12ihipStream_tbDpT10_ENKUlT_T0_E_clISt17integral_constantIbLb0EES1K_EEDaS1F_S1G_EUlS1F_E_NS1_11comp_targetILNS1_3genE9ELNS1_11target_archE1100ELNS1_3gpuE3ELNS1_3repE0EEENS1_30default_config_static_selectorELNS0_4arch9wavefront6targetE0EEEvT1_,"axG",@progbits,_ZN7rocprim17ROCPRIM_400000_NS6detail17trampoline_kernelINS0_14default_configENS1_25partition_config_selectorILNS1_17partition_subalgoE6EdNS0_10empty_typeEbEEZZNS1_14partition_implILS5_6ELb0ES3_mN6thrust23THRUST_200600_302600_NS6detail15normal_iteratorINSA_10device_ptrIdEEEEPS6_SG_NS0_5tupleIJSF_S6_EEENSH_IJSG_SG_EEES6_PlJNSB_9not_fun_tINSB_10functional5actorINSM_9compositeIJNSM_27transparent_binary_operatorINSA_8equal_toIvEEEENSN_INSM_8argumentILj0EEEEENSM_5valueIdEEEEEEEEEEEE10hipError_tPvRmT3_T4_T5_T6_T7_T9_mT8_P12ihipStream_tbDpT10_ENKUlT_T0_E_clISt17integral_constantIbLb0EES1K_EEDaS1F_S1G_EUlS1F_E_NS1_11comp_targetILNS1_3genE9ELNS1_11target_archE1100ELNS1_3gpuE3ELNS1_3repE0EEENS1_30default_config_static_selectorELNS0_4arch9wavefront6targetE0EEEvT1_,comdat
.Lfunc_end9:
	.size	_ZN7rocprim17ROCPRIM_400000_NS6detail17trampoline_kernelINS0_14default_configENS1_25partition_config_selectorILNS1_17partition_subalgoE6EdNS0_10empty_typeEbEEZZNS1_14partition_implILS5_6ELb0ES3_mN6thrust23THRUST_200600_302600_NS6detail15normal_iteratorINSA_10device_ptrIdEEEEPS6_SG_NS0_5tupleIJSF_S6_EEENSH_IJSG_SG_EEES6_PlJNSB_9not_fun_tINSB_10functional5actorINSM_9compositeIJNSM_27transparent_binary_operatorINSA_8equal_toIvEEEENSN_INSM_8argumentILj0EEEEENSM_5valueIdEEEEEEEEEEEE10hipError_tPvRmT3_T4_T5_T6_T7_T9_mT8_P12ihipStream_tbDpT10_ENKUlT_T0_E_clISt17integral_constantIbLb0EES1K_EEDaS1F_S1G_EUlS1F_E_NS1_11comp_targetILNS1_3genE9ELNS1_11target_archE1100ELNS1_3gpuE3ELNS1_3repE0EEENS1_30default_config_static_selectorELNS0_4arch9wavefront6targetE0EEEvT1_, .Lfunc_end9-_ZN7rocprim17ROCPRIM_400000_NS6detail17trampoline_kernelINS0_14default_configENS1_25partition_config_selectorILNS1_17partition_subalgoE6EdNS0_10empty_typeEbEEZZNS1_14partition_implILS5_6ELb0ES3_mN6thrust23THRUST_200600_302600_NS6detail15normal_iteratorINSA_10device_ptrIdEEEEPS6_SG_NS0_5tupleIJSF_S6_EEENSH_IJSG_SG_EEES6_PlJNSB_9not_fun_tINSB_10functional5actorINSM_9compositeIJNSM_27transparent_binary_operatorINSA_8equal_toIvEEEENSN_INSM_8argumentILj0EEEEENSM_5valueIdEEEEEEEEEEEE10hipError_tPvRmT3_T4_T5_T6_T7_T9_mT8_P12ihipStream_tbDpT10_ENKUlT_T0_E_clISt17integral_constantIbLb0EES1K_EEDaS1F_S1G_EUlS1F_E_NS1_11comp_targetILNS1_3genE9ELNS1_11target_archE1100ELNS1_3gpuE3ELNS1_3repE0EEENS1_30default_config_static_selectorELNS0_4arch9wavefront6targetE0EEEvT1_
                                        ; -- End function
	.set _ZN7rocprim17ROCPRIM_400000_NS6detail17trampoline_kernelINS0_14default_configENS1_25partition_config_selectorILNS1_17partition_subalgoE6EdNS0_10empty_typeEbEEZZNS1_14partition_implILS5_6ELb0ES3_mN6thrust23THRUST_200600_302600_NS6detail15normal_iteratorINSA_10device_ptrIdEEEEPS6_SG_NS0_5tupleIJSF_S6_EEENSH_IJSG_SG_EEES6_PlJNSB_9not_fun_tINSB_10functional5actorINSM_9compositeIJNSM_27transparent_binary_operatorINSA_8equal_toIvEEEENSN_INSM_8argumentILj0EEEEENSM_5valueIdEEEEEEEEEEEE10hipError_tPvRmT3_T4_T5_T6_T7_T9_mT8_P12ihipStream_tbDpT10_ENKUlT_T0_E_clISt17integral_constantIbLb0EES1K_EEDaS1F_S1G_EUlS1F_E_NS1_11comp_targetILNS1_3genE9ELNS1_11target_archE1100ELNS1_3gpuE3ELNS1_3repE0EEENS1_30default_config_static_selectorELNS0_4arch9wavefront6targetE0EEEvT1_.num_vgpr, 0
	.set _ZN7rocprim17ROCPRIM_400000_NS6detail17trampoline_kernelINS0_14default_configENS1_25partition_config_selectorILNS1_17partition_subalgoE6EdNS0_10empty_typeEbEEZZNS1_14partition_implILS5_6ELb0ES3_mN6thrust23THRUST_200600_302600_NS6detail15normal_iteratorINSA_10device_ptrIdEEEEPS6_SG_NS0_5tupleIJSF_S6_EEENSH_IJSG_SG_EEES6_PlJNSB_9not_fun_tINSB_10functional5actorINSM_9compositeIJNSM_27transparent_binary_operatorINSA_8equal_toIvEEEENSN_INSM_8argumentILj0EEEEENSM_5valueIdEEEEEEEEEEEE10hipError_tPvRmT3_T4_T5_T6_T7_T9_mT8_P12ihipStream_tbDpT10_ENKUlT_T0_E_clISt17integral_constantIbLb0EES1K_EEDaS1F_S1G_EUlS1F_E_NS1_11comp_targetILNS1_3genE9ELNS1_11target_archE1100ELNS1_3gpuE3ELNS1_3repE0EEENS1_30default_config_static_selectorELNS0_4arch9wavefront6targetE0EEEvT1_.num_agpr, 0
	.set _ZN7rocprim17ROCPRIM_400000_NS6detail17trampoline_kernelINS0_14default_configENS1_25partition_config_selectorILNS1_17partition_subalgoE6EdNS0_10empty_typeEbEEZZNS1_14partition_implILS5_6ELb0ES3_mN6thrust23THRUST_200600_302600_NS6detail15normal_iteratorINSA_10device_ptrIdEEEEPS6_SG_NS0_5tupleIJSF_S6_EEENSH_IJSG_SG_EEES6_PlJNSB_9not_fun_tINSB_10functional5actorINSM_9compositeIJNSM_27transparent_binary_operatorINSA_8equal_toIvEEEENSN_INSM_8argumentILj0EEEEENSM_5valueIdEEEEEEEEEEEE10hipError_tPvRmT3_T4_T5_T6_T7_T9_mT8_P12ihipStream_tbDpT10_ENKUlT_T0_E_clISt17integral_constantIbLb0EES1K_EEDaS1F_S1G_EUlS1F_E_NS1_11comp_targetILNS1_3genE9ELNS1_11target_archE1100ELNS1_3gpuE3ELNS1_3repE0EEENS1_30default_config_static_selectorELNS0_4arch9wavefront6targetE0EEEvT1_.numbered_sgpr, 0
	.set _ZN7rocprim17ROCPRIM_400000_NS6detail17trampoline_kernelINS0_14default_configENS1_25partition_config_selectorILNS1_17partition_subalgoE6EdNS0_10empty_typeEbEEZZNS1_14partition_implILS5_6ELb0ES3_mN6thrust23THRUST_200600_302600_NS6detail15normal_iteratorINSA_10device_ptrIdEEEEPS6_SG_NS0_5tupleIJSF_S6_EEENSH_IJSG_SG_EEES6_PlJNSB_9not_fun_tINSB_10functional5actorINSM_9compositeIJNSM_27transparent_binary_operatorINSA_8equal_toIvEEEENSN_INSM_8argumentILj0EEEEENSM_5valueIdEEEEEEEEEEEE10hipError_tPvRmT3_T4_T5_T6_T7_T9_mT8_P12ihipStream_tbDpT10_ENKUlT_T0_E_clISt17integral_constantIbLb0EES1K_EEDaS1F_S1G_EUlS1F_E_NS1_11comp_targetILNS1_3genE9ELNS1_11target_archE1100ELNS1_3gpuE3ELNS1_3repE0EEENS1_30default_config_static_selectorELNS0_4arch9wavefront6targetE0EEEvT1_.num_named_barrier, 0
	.set _ZN7rocprim17ROCPRIM_400000_NS6detail17trampoline_kernelINS0_14default_configENS1_25partition_config_selectorILNS1_17partition_subalgoE6EdNS0_10empty_typeEbEEZZNS1_14partition_implILS5_6ELb0ES3_mN6thrust23THRUST_200600_302600_NS6detail15normal_iteratorINSA_10device_ptrIdEEEEPS6_SG_NS0_5tupleIJSF_S6_EEENSH_IJSG_SG_EEES6_PlJNSB_9not_fun_tINSB_10functional5actorINSM_9compositeIJNSM_27transparent_binary_operatorINSA_8equal_toIvEEEENSN_INSM_8argumentILj0EEEEENSM_5valueIdEEEEEEEEEEEE10hipError_tPvRmT3_T4_T5_T6_T7_T9_mT8_P12ihipStream_tbDpT10_ENKUlT_T0_E_clISt17integral_constantIbLb0EES1K_EEDaS1F_S1G_EUlS1F_E_NS1_11comp_targetILNS1_3genE9ELNS1_11target_archE1100ELNS1_3gpuE3ELNS1_3repE0EEENS1_30default_config_static_selectorELNS0_4arch9wavefront6targetE0EEEvT1_.private_seg_size, 0
	.set _ZN7rocprim17ROCPRIM_400000_NS6detail17trampoline_kernelINS0_14default_configENS1_25partition_config_selectorILNS1_17partition_subalgoE6EdNS0_10empty_typeEbEEZZNS1_14partition_implILS5_6ELb0ES3_mN6thrust23THRUST_200600_302600_NS6detail15normal_iteratorINSA_10device_ptrIdEEEEPS6_SG_NS0_5tupleIJSF_S6_EEENSH_IJSG_SG_EEES6_PlJNSB_9not_fun_tINSB_10functional5actorINSM_9compositeIJNSM_27transparent_binary_operatorINSA_8equal_toIvEEEENSN_INSM_8argumentILj0EEEEENSM_5valueIdEEEEEEEEEEEE10hipError_tPvRmT3_T4_T5_T6_T7_T9_mT8_P12ihipStream_tbDpT10_ENKUlT_T0_E_clISt17integral_constantIbLb0EES1K_EEDaS1F_S1G_EUlS1F_E_NS1_11comp_targetILNS1_3genE9ELNS1_11target_archE1100ELNS1_3gpuE3ELNS1_3repE0EEENS1_30default_config_static_selectorELNS0_4arch9wavefront6targetE0EEEvT1_.uses_vcc, 0
	.set _ZN7rocprim17ROCPRIM_400000_NS6detail17trampoline_kernelINS0_14default_configENS1_25partition_config_selectorILNS1_17partition_subalgoE6EdNS0_10empty_typeEbEEZZNS1_14partition_implILS5_6ELb0ES3_mN6thrust23THRUST_200600_302600_NS6detail15normal_iteratorINSA_10device_ptrIdEEEEPS6_SG_NS0_5tupleIJSF_S6_EEENSH_IJSG_SG_EEES6_PlJNSB_9not_fun_tINSB_10functional5actorINSM_9compositeIJNSM_27transparent_binary_operatorINSA_8equal_toIvEEEENSN_INSM_8argumentILj0EEEEENSM_5valueIdEEEEEEEEEEEE10hipError_tPvRmT3_T4_T5_T6_T7_T9_mT8_P12ihipStream_tbDpT10_ENKUlT_T0_E_clISt17integral_constantIbLb0EES1K_EEDaS1F_S1G_EUlS1F_E_NS1_11comp_targetILNS1_3genE9ELNS1_11target_archE1100ELNS1_3gpuE3ELNS1_3repE0EEENS1_30default_config_static_selectorELNS0_4arch9wavefront6targetE0EEEvT1_.uses_flat_scratch, 0
	.set _ZN7rocprim17ROCPRIM_400000_NS6detail17trampoline_kernelINS0_14default_configENS1_25partition_config_selectorILNS1_17partition_subalgoE6EdNS0_10empty_typeEbEEZZNS1_14partition_implILS5_6ELb0ES3_mN6thrust23THRUST_200600_302600_NS6detail15normal_iteratorINSA_10device_ptrIdEEEEPS6_SG_NS0_5tupleIJSF_S6_EEENSH_IJSG_SG_EEES6_PlJNSB_9not_fun_tINSB_10functional5actorINSM_9compositeIJNSM_27transparent_binary_operatorINSA_8equal_toIvEEEENSN_INSM_8argumentILj0EEEEENSM_5valueIdEEEEEEEEEEEE10hipError_tPvRmT3_T4_T5_T6_T7_T9_mT8_P12ihipStream_tbDpT10_ENKUlT_T0_E_clISt17integral_constantIbLb0EES1K_EEDaS1F_S1G_EUlS1F_E_NS1_11comp_targetILNS1_3genE9ELNS1_11target_archE1100ELNS1_3gpuE3ELNS1_3repE0EEENS1_30default_config_static_selectorELNS0_4arch9wavefront6targetE0EEEvT1_.has_dyn_sized_stack, 0
	.set _ZN7rocprim17ROCPRIM_400000_NS6detail17trampoline_kernelINS0_14default_configENS1_25partition_config_selectorILNS1_17partition_subalgoE6EdNS0_10empty_typeEbEEZZNS1_14partition_implILS5_6ELb0ES3_mN6thrust23THRUST_200600_302600_NS6detail15normal_iteratorINSA_10device_ptrIdEEEEPS6_SG_NS0_5tupleIJSF_S6_EEENSH_IJSG_SG_EEES6_PlJNSB_9not_fun_tINSB_10functional5actorINSM_9compositeIJNSM_27transparent_binary_operatorINSA_8equal_toIvEEEENSN_INSM_8argumentILj0EEEEENSM_5valueIdEEEEEEEEEEEE10hipError_tPvRmT3_T4_T5_T6_T7_T9_mT8_P12ihipStream_tbDpT10_ENKUlT_T0_E_clISt17integral_constantIbLb0EES1K_EEDaS1F_S1G_EUlS1F_E_NS1_11comp_targetILNS1_3genE9ELNS1_11target_archE1100ELNS1_3gpuE3ELNS1_3repE0EEENS1_30default_config_static_selectorELNS0_4arch9wavefront6targetE0EEEvT1_.has_recursion, 0
	.set _ZN7rocprim17ROCPRIM_400000_NS6detail17trampoline_kernelINS0_14default_configENS1_25partition_config_selectorILNS1_17partition_subalgoE6EdNS0_10empty_typeEbEEZZNS1_14partition_implILS5_6ELb0ES3_mN6thrust23THRUST_200600_302600_NS6detail15normal_iteratorINSA_10device_ptrIdEEEEPS6_SG_NS0_5tupleIJSF_S6_EEENSH_IJSG_SG_EEES6_PlJNSB_9not_fun_tINSB_10functional5actorINSM_9compositeIJNSM_27transparent_binary_operatorINSA_8equal_toIvEEEENSN_INSM_8argumentILj0EEEEENSM_5valueIdEEEEEEEEEEEE10hipError_tPvRmT3_T4_T5_T6_T7_T9_mT8_P12ihipStream_tbDpT10_ENKUlT_T0_E_clISt17integral_constantIbLb0EES1K_EEDaS1F_S1G_EUlS1F_E_NS1_11comp_targetILNS1_3genE9ELNS1_11target_archE1100ELNS1_3gpuE3ELNS1_3repE0EEENS1_30default_config_static_selectorELNS0_4arch9wavefront6targetE0EEEvT1_.has_indirect_call, 0
	.section	.AMDGPU.csdata,"",@progbits
; Kernel info:
; codeLenInByte = 0
; TotalNumSgprs: 0
; NumVgprs: 0
; ScratchSize: 0
; MemoryBound: 0
; FloatMode: 240
; IeeeMode: 1
; LDSByteSize: 0 bytes/workgroup (compile time only)
; SGPRBlocks: 0
; VGPRBlocks: 0
; NumSGPRsForWavesPerEU: 1
; NumVGPRsForWavesPerEU: 1
; Occupancy: 16
; WaveLimiterHint : 0
; COMPUTE_PGM_RSRC2:SCRATCH_EN: 0
; COMPUTE_PGM_RSRC2:USER_SGPR: 2
; COMPUTE_PGM_RSRC2:TRAP_HANDLER: 0
; COMPUTE_PGM_RSRC2:TGID_X_EN: 1
; COMPUTE_PGM_RSRC2:TGID_Y_EN: 0
; COMPUTE_PGM_RSRC2:TGID_Z_EN: 0
; COMPUTE_PGM_RSRC2:TIDIG_COMP_CNT: 0
	.section	.text._ZN7rocprim17ROCPRIM_400000_NS6detail17trampoline_kernelINS0_14default_configENS1_25partition_config_selectorILNS1_17partition_subalgoE6EdNS0_10empty_typeEbEEZZNS1_14partition_implILS5_6ELb0ES3_mN6thrust23THRUST_200600_302600_NS6detail15normal_iteratorINSA_10device_ptrIdEEEEPS6_SG_NS0_5tupleIJSF_S6_EEENSH_IJSG_SG_EEES6_PlJNSB_9not_fun_tINSB_10functional5actorINSM_9compositeIJNSM_27transparent_binary_operatorINSA_8equal_toIvEEEENSN_INSM_8argumentILj0EEEEENSM_5valueIdEEEEEEEEEEEE10hipError_tPvRmT3_T4_T5_T6_T7_T9_mT8_P12ihipStream_tbDpT10_ENKUlT_T0_E_clISt17integral_constantIbLb0EES1K_EEDaS1F_S1G_EUlS1F_E_NS1_11comp_targetILNS1_3genE8ELNS1_11target_archE1030ELNS1_3gpuE2ELNS1_3repE0EEENS1_30default_config_static_selectorELNS0_4arch9wavefront6targetE0EEEvT1_,"axG",@progbits,_ZN7rocprim17ROCPRIM_400000_NS6detail17trampoline_kernelINS0_14default_configENS1_25partition_config_selectorILNS1_17partition_subalgoE6EdNS0_10empty_typeEbEEZZNS1_14partition_implILS5_6ELb0ES3_mN6thrust23THRUST_200600_302600_NS6detail15normal_iteratorINSA_10device_ptrIdEEEEPS6_SG_NS0_5tupleIJSF_S6_EEENSH_IJSG_SG_EEES6_PlJNSB_9not_fun_tINSB_10functional5actorINSM_9compositeIJNSM_27transparent_binary_operatorINSA_8equal_toIvEEEENSN_INSM_8argumentILj0EEEEENSM_5valueIdEEEEEEEEEEEE10hipError_tPvRmT3_T4_T5_T6_T7_T9_mT8_P12ihipStream_tbDpT10_ENKUlT_T0_E_clISt17integral_constantIbLb0EES1K_EEDaS1F_S1G_EUlS1F_E_NS1_11comp_targetILNS1_3genE8ELNS1_11target_archE1030ELNS1_3gpuE2ELNS1_3repE0EEENS1_30default_config_static_selectorELNS0_4arch9wavefront6targetE0EEEvT1_,comdat
	.protected	_ZN7rocprim17ROCPRIM_400000_NS6detail17trampoline_kernelINS0_14default_configENS1_25partition_config_selectorILNS1_17partition_subalgoE6EdNS0_10empty_typeEbEEZZNS1_14partition_implILS5_6ELb0ES3_mN6thrust23THRUST_200600_302600_NS6detail15normal_iteratorINSA_10device_ptrIdEEEEPS6_SG_NS0_5tupleIJSF_S6_EEENSH_IJSG_SG_EEES6_PlJNSB_9not_fun_tINSB_10functional5actorINSM_9compositeIJNSM_27transparent_binary_operatorINSA_8equal_toIvEEEENSN_INSM_8argumentILj0EEEEENSM_5valueIdEEEEEEEEEEEE10hipError_tPvRmT3_T4_T5_T6_T7_T9_mT8_P12ihipStream_tbDpT10_ENKUlT_T0_E_clISt17integral_constantIbLb0EES1K_EEDaS1F_S1G_EUlS1F_E_NS1_11comp_targetILNS1_3genE8ELNS1_11target_archE1030ELNS1_3gpuE2ELNS1_3repE0EEENS1_30default_config_static_selectorELNS0_4arch9wavefront6targetE0EEEvT1_ ; -- Begin function _ZN7rocprim17ROCPRIM_400000_NS6detail17trampoline_kernelINS0_14default_configENS1_25partition_config_selectorILNS1_17partition_subalgoE6EdNS0_10empty_typeEbEEZZNS1_14partition_implILS5_6ELb0ES3_mN6thrust23THRUST_200600_302600_NS6detail15normal_iteratorINSA_10device_ptrIdEEEEPS6_SG_NS0_5tupleIJSF_S6_EEENSH_IJSG_SG_EEES6_PlJNSB_9not_fun_tINSB_10functional5actorINSM_9compositeIJNSM_27transparent_binary_operatorINSA_8equal_toIvEEEENSN_INSM_8argumentILj0EEEEENSM_5valueIdEEEEEEEEEEEE10hipError_tPvRmT3_T4_T5_T6_T7_T9_mT8_P12ihipStream_tbDpT10_ENKUlT_T0_E_clISt17integral_constantIbLb0EES1K_EEDaS1F_S1G_EUlS1F_E_NS1_11comp_targetILNS1_3genE8ELNS1_11target_archE1030ELNS1_3gpuE2ELNS1_3repE0EEENS1_30default_config_static_selectorELNS0_4arch9wavefront6targetE0EEEvT1_
	.globl	_ZN7rocprim17ROCPRIM_400000_NS6detail17trampoline_kernelINS0_14default_configENS1_25partition_config_selectorILNS1_17partition_subalgoE6EdNS0_10empty_typeEbEEZZNS1_14partition_implILS5_6ELb0ES3_mN6thrust23THRUST_200600_302600_NS6detail15normal_iteratorINSA_10device_ptrIdEEEEPS6_SG_NS0_5tupleIJSF_S6_EEENSH_IJSG_SG_EEES6_PlJNSB_9not_fun_tINSB_10functional5actorINSM_9compositeIJNSM_27transparent_binary_operatorINSA_8equal_toIvEEEENSN_INSM_8argumentILj0EEEEENSM_5valueIdEEEEEEEEEEEE10hipError_tPvRmT3_T4_T5_T6_T7_T9_mT8_P12ihipStream_tbDpT10_ENKUlT_T0_E_clISt17integral_constantIbLb0EES1K_EEDaS1F_S1G_EUlS1F_E_NS1_11comp_targetILNS1_3genE8ELNS1_11target_archE1030ELNS1_3gpuE2ELNS1_3repE0EEENS1_30default_config_static_selectorELNS0_4arch9wavefront6targetE0EEEvT1_
	.p2align	8
	.type	_ZN7rocprim17ROCPRIM_400000_NS6detail17trampoline_kernelINS0_14default_configENS1_25partition_config_selectorILNS1_17partition_subalgoE6EdNS0_10empty_typeEbEEZZNS1_14partition_implILS5_6ELb0ES3_mN6thrust23THRUST_200600_302600_NS6detail15normal_iteratorINSA_10device_ptrIdEEEEPS6_SG_NS0_5tupleIJSF_S6_EEENSH_IJSG_SG_EEES6_PlJNSB_9not_fun_tINSB_10functional5actorINSM_9compositeIJNSM_27transparent_binary_operatorINSA_8equal_toIvEEEENSN_INSM_8argumentILj0EEEEENSM_5valueIdEEEEEEEEEEEE10hipError_tPvRmT3_T4_T5_T6_T7_T9_mT8_P12ihipStream_tbDpT10_ENKUlT_T0_E_clISt17integral_constantIbLb0EES1K_EEDaS1F_S1G_EUlS1F_E_NS1_11comp_targetILNS1_3genE8ELNS1_11target_archE1030ELNS1_3gpuE2ELNS1_3repE0EEENS1_30default_config_static_selectorELNS0_4arch9wavefront6targetE0EEEvT1_,@function
_ZN7rocprim17ROCPRIM_400000_NS6detail17trampoline_kernelINS0_14default_configENS1_25partition_config_selectorILNS1_17partition_subalgoE6EdNS0_10empty_typeEbEEZZNS1_14partition_implILS5_6ELb0ES3_mN6thrust23THRUST_200600_302600_NS6detail15normal_iteratorINSA_10device_ptrIdEEEEPS6_SG_NS0_5tupleIJSF_S6_EEENSH_IJSG_SG_EEES6_PlJNSB_9not_fun_tINSB_10functional5actorINSM_9compositeIJNSM_27transparent_binary_operatorINSA_8equal_toIvEEEENSN_INSM_8argumentILj0EEEEENSM_5valueIdEEEEEEEEEEEE10hipError_tPvRmT3_T4_T5_T6_T7_T9_mT8_P12ihipStream_tbDpT10_ENKUlT_T0_E_clISt17integral_constantIbLb0EES1K_EEDaS1F_S1G_EUlS1F_E_NS1_11comp_targetILNS1_3genE8ELNS1_11target_archE1030ELNS1_3gpuE2ELNS1_3repE0EEENS1_30default_config_static_selectorELNS0_4arch9wavefront6targetE0EEEvT1_: ; @_ZN7rocprim17ROCPRIM_400000_NS6detail17trampoline_kernelINS0_14default_configENS1_25partition_config_selectorILNS1_17partition_subalgoE6EdNS0_10empty_typeEbEEZZNS1_14partition_implILS5_6ELb0ES3_mN6thrust23THRUST_200600_302600_NS6detail15normal_iteratorINSA_10device_ptrIdEEEEPS6_SG_NS0_5tupleIJSF_S6_EEENSH_IJSG_SG_EEES6_PlJNSB_9not_fun_tINSB_10functional5actorINSM_9compositeIJNSM_27transparent_binary_operatorINSA_8equal_toIvEEEENSN_INSM_8argumentILj0EEEEENSM_5valueIdEEEEEEEEEEEE10hipError_tPvRmT3_T4_T5_T6_T7_T9_mT8_P12ihipStream_tbDpT10_ENKUlT_T0_E_clISt17integral_constantIbLb0EES1K_EEDaS1F_S1G_EUlS1F_E_NS1_11comp_targetILNS1_3genE8ELNS1_11target_archE1030ELNS1_3gpuE2ELNS1_3repE0EEENS1_30default_config_static_selectorELNS0_4arch9wavefront6targetE0EEEvT1_
; %bb.0:
	.section	.rodata,"a",@progbits
	.p2align	6, 0x0
	.amdhsa_kernel _ZN7rocprim17ROCPRIM_400000_NS6detail17trampoline_kernelINS0_14default_configENS1_25partition_config_selectorILNS1_17partition_subalgoE6EdNS0_10empty_typeEbEEZZNS1_14partition_implILS5_6ELb0ES3_mN6thrust23THRUST_200600_302600_NS6detail15normal_iteratorINSA_10device_ptrIdEEEEPS6_SG_NS0_5tupleIJSF_S6_EEENSH_IJSG_SG_EEES6_PlJNSB_9not_fun_tINSB_10functional5actorINSM_9compositeIJNSM_27transparent_binary_operatorINSA_8equal_toIvEEEENSN_INSM_8argumentILj0EEEEENSM_5valueIdEEEEEEEEEEEE10hipError_tPvRmT3_T4_T5_T6_T7_T9_mT8_P12ihipStream_tbDpT10_ENKUlT_T0_E_clISt17integral_constantIbLb0EES1K_EEDaS1F_S1G_EUlS1F_E_NS1_11comp_targetILNS1_3genE8ELNS1_11target_archE1030ELNS1_3gpuE2ELNS1_3repE0EEENS1_30default_config_static_selectorELNS0_4arch9wavefront6targetE0EEEvT1_
		.amdhsa_group_segment_fixed_size 0
		.amdhsa_private_segment_fixed_size 0
		.amdhsa_kernarg_size 128
		.amdhsa_user_sgpr_count 2
		.amdhsa_user_sgpr_dispatch_ptr 0
		.amdhsa_user_sgpr_queue_ptr 0
		.amdhsa_user_sgpr_kernarg_segment_ptr 1
		.amdhsa_user_sgpr_dispatch_id 0
		.amdhsa_user_sgpr_private_segment_size 0
		.amdhsa_wavefront_size32 1
		.amdhsa_uses_dynamic_stack 0
		.amdhsa_enable_private_segment 0
		.amdhsa_system_sgpr_workgroup_id_x 1
		.amdhsa_system_sgpr_workgroup_id_y 0
		.amdhsa_system_sgpr_workgroup_id_z 0
		.amdhsa_system_sgpr_workgroup_info 0
		.amdhsa_system_vgpr_workitem_id 0
		.amdhsa_next_free_vgpr 1
		.amdhsa_next_free_sgpr 1
		.amdhsa_reserve_vcc 0
		.amdhsa_float_round_mode_32 0
		.amdhsa_float_round_mode_16_64 0
		.amdhsa_float_denorm_mode_32 3
		.amdhsa_float_denorm_mode_16_64 3
		.amdhsa_fp16_overflow 0
		.amdhsa_workgroup_processor_mode 1
		.amdhsa_memory_ordered 1
		.amdhsa_forward_progress 1
		.amdhsa_inst_pref_size 0
		.amdhsa_round_robin_scheduling 0
		.amdhsa_exception_fp_ieee_invalid_op 0
		.amdhsa_exception_fp_denorm_src 0
		.amdhsa_exception_fp_ieee_div_zero 0
		.amdhsa_exception_fp_ieee_overflow 0
		.amdhsa_exception_fp_ieee_underflow 0
		.amdhsa_exception_fp_ieee_inexact 0
		.amdhsa_exception_int_div_zero 0
	.end_amdhsa_kernel
	.section	.text._ZN7rocprim17ROCPRIM_400000_NS6detail17trampoline_kernelINS0_14default_configENS1_25partition_config_selectorILNS1_17partition_subalgoE6EdNS0_10empty_typeEbEEZZNS1_14partition_implILS5_6ELb0ES3_mN6thrust23THRUST_200600_302600_NS6detail15normal_iteratorINSA_10device_ptrIdEEEEPS6_SG_NS0_5tupleIJSF_S6_EEENSH_IJSG_SG_EEES6_PlJNSB_9not_fun_tINSB_10functional5actorINSM_9compositeIJNSM_27transparent_binary_operatorINSA_8equal_toIvEEEENSN_INSM_8argumentILj0EEEEENSM_5valueIdEEEEEEEEEEEE10hipError_tPvRmT3_T4_T5_T6_T7_T9_mT8_P12ihipStream_tbDpT10_ENKUlT_T0_E_clISt17integral_constantIbLb0EES1K_EEDaS1F_S1G_EUlS1F_E_NS1_11comp_targetILNS1_3genE8ELNS1_11target_archE1030ELNS1_3gpuE2ELNS1_3repE0EEENS1_30default_config_static_selectorELNS0_4arch9wavefront6targetE0EEEvT1_,"axG",@progbits,_ZN7rocprim17ROCPRIM_400000_NS6detail17trampoline_kernelINS0_14default_configENS1_25partition_config_selectorILNS1_17partition_subalgoE6EdNS0_10empty_typeEbEEZZNS1_14partition_implILS5_6ELb0ES3_mN6thrust23THRUST_200600_302600_NS6detail15normal_iteratorINSA_10device_ptrIdEEEEPS6_SG_NS0_5tupleIJSF_S6_EEENSH_IJSG_SG_EEES6_PlJNSB_9not_fun_tINSB_10functional5actorINSM_9compositeIJNSM_27transparent_binary_operatorINSA_8equal_toIvEEEENSN_INSM_8argumentILj0EEEEENSM_5valueIdEEEEEEEEEEEE10hipError_tPvRmT3_T4_T5_T6_T7_T9_mT8_P12ihipStream_tbDpT10_ENKUlT_T0_E_clISt17integral_constantIbLb0EES1K_EEDaS1F_S1G_EUlS1F_E_NS1_11comp_targetILNS1_3genE8ELNS1_11target_archE1030ELNS1_3gpuE2ELNS1_3repE0EEENS1_30default_config_static_selectorELNS0_4arch9wavefront6targetE0EEEvT1_,comdat
.Lfunc_end10:
	.size	_ZN7rocprim17ROCPRIM_400000_NS6detail17trampoline_kernelINS0_14default_configENS1_25partition_config_selectorILNS1_17partition_subalgoE6EdNS0_10empty_typeEbEEZZNS1_14partition_implILS5_6ELb0ES3_mN6thrust23THRUST_200600_302600_NS6detail15normal_iteratorINSA_10device_ptrIdEEEEPS6_SG_NS0_5tupleIJSF_S6_EEENSH_IJSG_SG_EEES6_PlJNSB_9not_fun_tINSB_10functional5actorINSM_9compositeIJNSM_27transparent_binary_operatorINSA_8equal_toIvEEEENSN_INSM_8argumentILj0EEEEENSM_5valueIdEEEEEEEEEEEE10hipError_tPvRmT3_T4_T5_T6_T7_T9_mT8_P12ihipStream_tbDpT10_ENKUlT_T0_E_clISt17integral_constantIbLb0EES1K_EEDaS1F_S1G_EUlS1F_E_NS1_11comp_targetILNS1_3genE8ELNS1_11target_archE1030ELNS1_3gpuE2ELNS1_3repE0EEENS1_30default_config_static_selectorELNS0_4arch9wavefront6targetE0EEEvT1_, .Lfunc_end10-_ZN7rocprim17ROCPRIM_400000_NS6detail17trampoline_kernelINS0_14default_configENS1_25partition_config_selectorILNS1_17partition_subalgoE6EdNS0_10empty_typeEbEEZZNS1_14partition_implILS5_6ELb0ES3_mN6thrust23THRUST_200600_302600_NS6detail15normal_iteratorINSA_10device_ptrIdEEEEPS6_SG_NS0_5tupleIJSF_S6_EEENSH_IJSG_SG_EEES6_PlJNSB_9not_fun_tINSB_10functional5actorINSM_9compositeIJNSM_27transparent_binary_operatorINSA_8equal_toIvEEEENSN_INSM_8argumentILj0EEEEENSM_5valueIdEEEEEEEEEEEE10hipError_tPvRmT3_T4_T5_T6_T7_T9_mT8_P12ihipStream_tbDpT10_ENKUlT_T0_E_clISt17integral_constantIbLb0EES1K_EEDaS1F_S1G_EUlS1F_E_NS1_11comp_targetILNS1_3genE8ELNS1_11target_archE1030ELNS1_3gpuE2ELNS1_3repE0EEENS1_30default_config_static_selectorELNS0_4arch9wavefront6targetE0EEEvT1_
                                        ; -- End function
	.set _ZN7rocprim17ROCPRIM_400000_NS6detail17trampoline_kernelINS0_14default_configENS1_25partition_config_selectorILNS1_17partition_subalgoE6EdNS0_10empty_typeEbEEZZNS1_14partition_implILS5_6ELb0ES3_mN6thrust23THRUST_200600_302600_NS6detail15normal_iteratorINSA_10device_ptrIdEEEEPS6_SG_NS0_5tupleIJSF_S6_EEENSH_IJSG_SG_EEES6_PlJNSB_9not_fun_tINSB_10functional5actorINSM_9compositeIJNSM_27transparent_binary_operatorINSA_8equal_toIvEEEENSN_INSM_8argumentILj0EEEEENSM_5valueIdEEEEEEEEEEEE10hipError_tPvRmT3_T4_T5_T6_T7_T9_mT8_P12ihipStream_tbDpT10_ENKUlT_T0_E_clISt17integral_constantIbLb0EES1K_EEDaS1F_S1G_EUlS1F_E_NS1_11comp_targetILNS1_3genE8ELNS1_11target_archE1030ELNS1_3gpuE2ELNS1_3repE0EEENS1_30default_config_static_selectorELNS0_4arch9wavefront6targetE0EEEvT1_.num_vgpr, 0
	.set _ZN7rocprim17ROCPRIM_400000_NS6detail17trampoline_kernelINS0_14default_configENS1_25partition_config_selectorILNS1_17partition_subalgoE6EdNS0_10empty_typeEbEEZZNS1_14partition_implILS5_6ELb0ES3_mN6thrust23THRUST_200600_302600_NS6detail15normal_iteratorINSA_10device_ptrIdEEEEPS6_SG_NS0_5tupleIJSF_S6_EEENSH_IJSG_SG_EEES6_PlJNSB_9not_fun_tINSB_10functional5actorINSM_9compositeIJNSM_27transparent_binary_operatorINSA_8equal_toIvEEEENSN_INSM_8argumentILj0EEEEENSM_5valueIdEEEEEEEEEEEE10hipError_tPvRmT3_T4_T5_T6_T7_T9_mT8_P12ihipStream_tbDpT10_ENKUlT_T0_E_clISt17integral_constantIbLb0EES1K_EEDaS1F_S1G_EUlS1F_E_NS1_11comp_targetILNS1_3genE8ELNS1_11target_archE1030ELNS1_3gpuE2ELNS1_3repE0EEENS1_30default_config_static_selectorELNS0_4arch9wavefront6targetE0EEEvT1_.num_agpr, 0
	.set _ZN7rocprim17ROCPRIM_400000_NS6detail17trampoline_kernelINS0_14default_configENS1_25partition_config_selectorILNS1_17partition_subalgoE6EdNS0_10empty_typeEbEEZZNS1_14partition_implILS5_6ELb0ES3_mN6thrust23THRUST_200600_302600_NS6detail15normal_iteratorINSA_10device_ptrIdEEEEPS6_SG_NS0_5tupleIJSF_S6_EEENSH_IJSG_SG_EEES6_PlJNSB_9not_fun_tINSB_10functional5actorINSM_9compositeIJNSM_27transparent_binary_operatorINSA_8equal_toIvEEEENSN_INSM_8argumentILj0EEEEENSM_5valueIdEEEEEEEEEEEE10hipError_tPvRmT3_T4_T5_T6_T7_T9_mT8_P12ihipStream_tbDpT10_ENKUlT_T0_E_clISt17integral_constantIbLb0EES1K_EEDaS1F_S1G_EUlS1F_E_NS1_11comp_targetILNS1_3genE8ELNS1_11target_archE1030ELNS1_3gpuE2ELNS1_3repE0EEENS1_30default_config_static_selectorELNS0_4arch9wavefront6targetE0EEEvT1_.numbered_sgpr, 0
	.set _ZN7rocprim17ROCPRIM_400000_NS6detail17trampoline_kernelINS0_14default_configENS1_25partition_config_selectorILNS1_17partition_subalgoE6EdNS0_10empty_typeEbEEZZNS1_14partition_implILS5_6ELb0ES3_mN6thrust23THRUST_200600_302600_NS6detail15normal_iteratorINSA_10device_ptrIdEEEEPS6_SG_NS0_5tupleIJSF_S6_EEENSH_IJSG_SG_EEES6_PlJNSB_9not_fun_tINSB_10functional5actorINSM_9compositeIJNSM_27transparent_binary_operatorINSA_8equal_toIvEEEENSN_INSM_8argumentILj0EEEEENSM_5valueIdEEEEEEEEEEEE10hipError_tPvRmT3_T4_T5_T6_T7_T9_mT8_P12ihipStream_tbDpT10_ENKUlT_T0_E_clISt17integral_constantIbLb0EES1K_EEDaS1F_S1G_EUlS1F_E_NS1_11comp_targetILNS1_3genE8ELNS1_11target_archE1030ELNS1_3gpuE2ELNS1_3repE0EEENS1_30default_config_static_selectorELNS0_4arch9wavefront6targetE0EEEvT1_.num_named_barrier, 0
	.set _ZN7rocprim17ROCPRIM_400000_NS6detail17trampoline_kernelINS0_14default_configENS1_25partition_config_selectorILNS1_17partition_subalgoE6EdNS0_10empty_typeEbEEZZNS1_14partition_implILS5_6ELb0ES3_mN6thrust23THRUST_200600_302600_NS6detail15normal_iteratorINSA_10device_ptrIdEEEEPS6_SG_NS0_5tupleIJSF_S6_EEENSH_IJSG_SG_EEES6_PlJNSB_9not_fun_tINSB_10functional5actorINSM_9compositeIJNSM_27transparent_binary_operatorINSA_8equal_toIvEEEENSN_INSM_8argumentILj0EEEEENSM_5valueIdEEEEEEEEEEEE10hipError_tPvRmT3_T4_T5_T6_T7_T9_mT8_P12ihipStream_tbDpT10_ENKUlT_T0_E_clISt17integral_constantIbLb0EES1K_EEDaS1F_S1G_EUlS1F_E_NS1_11comp_targetILNS1_3genE8ELNS1_11target_archE1030ELNS1_3gpuE2ELNS1_3repE0EEENS1_30default_config_static_selectorELNS0_4arch9wavefront6targetE0EEEvT1_.private_seg_size, 0
	.set _ZN7rocprim17ROCPRIM_400000_NS6detail17trampoline_kernelINS0_14default_configENS1_25partition_config_selectorILNS1_17partition_subalgoE6EdNS0_10empty_typeEbEEZZNS1_14partition_implILS5_6ELb0ES3_mN6thrust23THRUST_200600_302600_NS6detail15normal_iteratorINSA_10device_ptrIdEEEEPS6_SG_NS0_5tupleIJSF_S6_EEENSH_IJSG_SG_EEES6_PlJNSB_9not_fun_tINSB_10functional5actorINSM_9compositeIJNSM_27transparent_binary_operatorINSA_8equal_toIvEEEENSN_INSM_8argumentILj0EEEEENSM_5valueIdEEEEEEEEEEEE10hipError_tPvRmT3_T4_T5_T6_T7_T9_mT8_P12ihipStream_tbDpT10_ENKUlT_T0_E_clISt17integral_constantIbLb0EES1K_EEDaS1F_S1G_EUlS1F_E_NS1_11comp_targetILNS1_3genE8ELNS1_11target_archE1030ELNS1_3gpuE2ELNS1_3repE0EEENS1_30default_config_static_selectorELNS0_4arch9wavefront6targetE0EEEvT1_.uses_vcc, 0
	.set _ZN7rocprim17ROCPRIM_400000_NS6detail17trampoline_kernelINS0_14default_configENS1_25partition_config_selectorILNS1_17partition_subalgoE6EdNS0_10empty_typeEbEEZZNS1_14partition_implILS5_6ELb0ES3_mN6thrust23THRUST_200600_302600_NS6detail15normal_iteratorINSA_10device_ptrIdEEEEPS6_SG_NS0_5tupleIJSF_S6_EEENSH_IJSG_SG_EEES6_PlJNSB_9not_fun_tINSB_10functional5actorINSM_9compositeIJNSM_27transparent_binary_operatorINSA_8equal_toIvEEEENSN_INSM_8argumentILj0EEEEENSM_5valueIdEEEEEEEEEEEE10hipError_tPvRmT3_T4_T5_T6_T7_T9_mT8_P12ihipStream_tbDpT10_ENKUlT_T0_E_clISt17integral_constantIbLb0EES1K_EEDaS1F_S1G_EUlS1F_E_NS1_11comp_targetILNS1_3genE8ELNS1_11target_archE1030ELNS1_3gpuE2ELNS1_3repE0EEENS1_30default_config_static_selectorELNS0_4arch9wavefront6targetE0EEEvT1_.uses_flat_scratch, 0
	.set _ZN7rocprim17ROCPRIM_400000_NS6detail17trampoline_kernelINS0_14default_configENS1_25partition_config_selectorILNS1_17partition_subalgoE6EdNS0_10empty_typeEbEEZZNS1_14partition_implILS5_6ELb0ES3_mN6thrust23THRUST_200600_302600_NS6detail15normal_iteratorINSA_10device_ptrIdEEEEPS6_SG_NS0_5tupleIJSF_S6_EEENSH_IJSG_SG_EEES6_PlJNSB_9not_fun_tINSB_10functional5actorINSM_9compositeIJNSM_27transparent_binary_operatorINSA_8equal_toIvEEEENSN_INSM_8argumentILj0EEEEENSM_5valueIdEEEEEEEEEEEE10hipError_tPvRmT3_T4_T5_T6_T7_T9_mT8_P12ihipStream_tbDpT10_ENKUlT_T0_E_clISt17integral_constantIbLb0EES1K_EEDaS1F_S1G_EUlS1F_E_NS1_11comp_targetILNS1_3genE8ELNS1_11target_archE1030ELNS1_3gpuE2ELNS1_3repE0EEENS1_30default_config_static_selectorELNS0_4arch9wavefront6targetE0EEEvT1_.has_dyn_sized_stack, 0
	.set _ZN7rocprim17ROCPRIM_400000_NS6detail17trampoline_kernelINS0_14default_configENS1_25partition_config_selectorILNS1_17partition_subalgoE6EdNS0_10empty_typeEbEEZZNS1_14partition_implILS5_6ELb0ES3_mN6thrust23THRUST_200600_302600_NS6detail15normal_iteratorINSA_10device_ptrIdEEEEPS6_SG_NS0_5tupleIJSF_S6_EEENSH_IJSG_SG_EEES6_PlJNSB_9not_fun_tINSB_10functional5actorINSM_9compositeIJNSM_27transparent_binary_operatorINSA_8equal_toIvEEEENSN_INSM_8argumentILj0EEEEENSM_5valueIdEEEEEEEEEEEE10hipError_tPvRmT3_T4_T5_T6_T7_T9_mT8_P12ihipStream_tbDpT10_ENKUlT_T0_E_clISt17integral_constantIbLb0EES1K_EEDaS1F_S1G_EUlS1F_E_NS1_11comp_targetILNS1_3genE8ELNS1_11target_archE1030ELNS1_3gpuE2ELNS1_3repE0EEENS1_30default_config_static_selectorELNS0_4arch9wavefront6targetE0EEEvT1_.has_recursion, 0
	.set _ZN7rocprim17ROCPRIM_400000_NS6detail17trampoline_kernelINS0_14default_configENS1_25partition_config_selectorILNS1_17partition_subalgoE6EdNS0_10empty_typeEbEEZZNS1_14partition_implILS5_6ELb0ES3_mN6thrust23THRUST_200600_302600_NS6detail15normal_iteratorINSA_10device_ptrIdEEEEPS6_SG_NS0_5tupleIJSF_S6_EEENSH_IJSG_SG_EEES6_PlJNSB_9not_fun_tINSB_10functional5actorINSM_9compositeIJNSM_27transparent_binary_operatorINSA_8equal_toIvEEEENSN_INSM_8argumentILj0EEEEENSM_5valueIdEEEEEEEEEEEE10hipError_tPvRmT3_T4_T5_T6_T7_T9_mT8_P12ihipStream_tbDpT10_ENKUlT_T0_E_clISt17integral_constantIbLb0EES1K_EEDaS1F_S1G_EUlS1F_E_NS1_11comp_targetILNS1_3genE8ELNS1_11target_archE1030ELNS1_3gpuE2ELNS1_3repE0EEENS1_30default_config_static_selectorELNS0_4arch9wavefront6targetE0EEEvT1_.has_indirect_call, 0
	.section	.AMDGPU.csdata,"",@progbits
; Kernel info:
; codeLenInByte = 0
; TotalNumSgprs: 0
; NumVgprs: 0
; ScratchSize: 0
; MemoryBound: 0
; FloatMode: 240
; IeeeMode: 1
; LDSByteSize: 0 bytes/workgroup (compile time only)
; SGPRBlocks: 0
; VGPRBlocks: 0
; NumSGPRsForWavesPerEU: 1
; NumVGPRsForWavesPerEU: 1
; Occupancy: 16
; WaveLimiterHint : 0
; COMPUTE_PGM_RSRC2:SCRATCH_EN: 0
; COMPUTE_PGM_RSRC2:USER_SGPR: 2
; COMPUTE_PGM_RSRC2:TRAP_HANDLER: 0
; COMPUTE_PGM_RSRC2:TGID_X_EN: 1
; COMPUTE_PGM_RSRC2:TGID_Y_EN: 0
; COMPUTE_PGM_RSRC2:TGID_Z_EN: 0
; COMPUTE_PGM_RSRC2:TIDIG_COMP_CNT: 0
	.section	.text._ZN7rocprim17ROCPRIM_400000_NS6detail17trampoline_kernelINS0_14default_configENS1_25transform_config_selectorImLb1EEEZNS1_14transform_implILb1ES3_S5_PmPlNS0_8identityIvEEEE10hipError_tT2_T3_mT4_P12ihipStream_tbEUlT_E_NS1_11comp_targetILNS1_3genE0ELNS1_11target_archE4294967295ELNS1_3gpuE0ELNS1_3repE0EEENS1_30default_config_static_selectorELNS0_4arch9wavefront6targetE0EEEvT1_,"axG",@progbits,_ZN7rocprim17ROCPRIM_400000_NS6detail17trampoline_kernelINS0_14default_configENS1_25transform_config_selectorImLb1EEEZNS1_14transform_implILb1ES3_S5_PmPlNS0_8identityIvEEEE10hipError_tT2_T3_mT4_P12ihipStream_tbEUlT_E_NS1_11comp_targetILNS1_3genE0ELNS1_11target_archE4294967295ELNS1_3gpuE0ELNS1_3repE0EEENS1_30default_config_static_selectorELNS0_4arch9wavefront6targetE0EEEvT1_,comdat
	.protected	_ZN7rocprim17ROCPRIM_400000_NS6detail17trampoline_kernelINS0_14default_configENS1_25transform_config_selectorImLb1EEEZNS1_14transform_implILb1ES3_S5_PmPlNS0_8identityIvEEEE10hipError_tT2_T3_mT4_P12ihipStream_tbEUlT_E_NS1_11comp_targetILNS1_3genE0ELNS1_11target_archE4294967295ELNS1_3gpuE0ELNS1_3repE0EEENS1_30default_config_static_selectorELNS0_4arch9wavefront6targetE0EEEvT1_ ; -- Begin function _ZN7rocprim17ROCPRIM_400000_NS6detail17trampoline_kernelINS0_14default_configENS1_25transform_config_selectorImLb1EEEZNS1_14transform_implILb1ES3_S5_PmPlNS0_8identityIvEEEE10hipError_tT2_T3_mT4_P12ihipStream_tbEUlT_E_NS1_11comp_targetILNS1_3genE0ELNS1_11target_archE4294967295ELNS1_3gpuE0ELNS1_3repE0EEENS1_30default_config_static_selectorELNS0_4arch9wavefront6targetE0EEEvT1_
	.globl	_ZN7rocprim17ROCPRIM_400000_NS6detail17trampoline_kernelINS0_14default_configENS1_25transform_config_selectorImLb1EEEZNS1_14transform_implILb1ES3_S5_PmPlNS0_8identityIvEEEE10hipError_tT2_T3_mT4_P12ihipStream_tbEUlT_E_NS1_11comp_targetILNS1_3genE0ELNS1_11target_archE4294967295ELNS1_3gpuE0ELNS1_3repE0EEENS1_30default_config_static_selectorELNS0_4arch9wavefront6targetE0EEEvT1_
	.p2align	8
	.type	_ZN7rocprim17ROCPRIM_400000_NS6detail17trampoline_kernelINS0_14default_configENS1_25transform_config_selectorImLb1EEEZNS1_14transform_implILb1ES3_S5_PmPlNS0_8identityIvEEEE10hipError_tT2_T3_mT4_P12ihipStream_tbEUlT_E_NS1_11comp_targetILNS1_3genE0ELNS1_11target_archE4294967295ELNS1_3gpuE0ELNS1_3repE0EEENS1_30default_config_static_selectorELNS0_4arch9wavefront6targetE0EEEvT1_,@function
_ZN7rocprim17ROCPRIM_400000_NS6detail17trampoline_kernelINS0_14default_configENS1_25transform_config_selectorImLb1EEEZNS1_14transform_implILb1ES3_S5_PmPlNS0_8identityIvEEEE10hipError_tT2_T3_mT4_P12ihipStream_tbEUlT_E_NS1_11comp_targetILNS1_3genE0ELNS1_11target_archE4294967295ELNS1_3gpuE0ELNS1_3repE0EEENS1_30default_config_static_selectorELNS0_4arch9wavefront6targetE0EEEvT1_: ; @_ZN7rocprim17ROCPRIM_400000_NS6detail17trampoline_kernelINS0_14default_configENS1_25transform_config_selectorImLb1EEEZNS1_14transform_implILb1ES3_S5_PmPlNS0_8identityIvEEEE10hipError_tT2_T3_mT4_P12ihipStream_tbEUlT_E_NS1_11comp_targetILNS1_3genE0ELNS1_11target_archE4294967295ELNS1_3gpuE0ELNS1_3repE0EEENS1_30default_config_static_selectorELNS0_4arch9wavefront6targetE0EEEvT1_
; %bb.0:
	.section	.rodata,"a",@progbits
	.p2align	6, 0x0
	.amdhsa_kernel _ZN7rocprim17ROCPRIM_400000_NS6detail17trampoline_kernelINS0_14default_configENS1_25transform_config_selectorImLb1EEEZNS1_14transform_implILb1ES3_S5_PmPlNS0_8identityIvEEEE10hipError_tT2_T3_mT4_P12ihipStream_tbEUlT_E_NS1_11comp_targetILNS1_3genE0ELNS1_11target_archE4294967295ELNS1_3gpuE0ELNS1_3repE0EEENS1_30default_config_static_selectorELNS0_4arch9wavefront6targetE0EEEvT1_
		.amdhsa_group_segment_fixed_size 0
		.amdhsa_private_segment_fixed_size 0
		.amdhsa_kernarg_size 40
		.amdhsa_user_sgpr_count 2
		.amdhsa_user_sgpr_dispatch_ptr 0
		.amdhsa_user_sgpr_queue_ptr 0
		.amdhsa_user_sgpr_kernarg_segment_ptr 1
		.amdhsa_user_sgpr_dispatch_id 0
		.amdhsa_user_sgpr_private_segment_size 0
		.amdhsa_wavefront_size32 1
		.amdhsa_uses_dynamic_stack 0
		.amdhsa_enable_private_segment 0
		.amdhsa_system_sgpr_workgroup_id_x 1
		.amdhsa_system_sgpr_workgroup_id_y 0
		.amdhsa_system_sgpr_workgroup_id_z 0
		.amdhsa_system_sgpr_workgroup_info 0
		.amdhsa_system_vgpr_workitem_id 0
		.amdhsa_next_free_vgpr 1
		.amdhsa_next_free_sgpr 1
		.amdhsa_reserve_vcc 0
		.amdhsa_float_round_mode_32 0
		.amdhsa_float_round_mode_16_64 0
		.amdhsa_float_denorm_mode_32 3
		.amdhsa_float_denorm_mode_16_64 3
		.amdhsa_fp16_overflow 0
		.amdhsa_workgroup_processor_mode 1
		.amdhsa_memory_ordered 1
		.amdhsa_forward_progress 1
		.amdhsa_inst_pref_size 0
		.amdhsa_round_robin_scheduling 0
		.amdhsa_exception_fp_ieee_invalid_op 0
		.amdhsa_exception_fp_denorm_src 0
		.amdhsa_exception_fp_ieee_div_zero 0
		.amdhsa_exception_fp_ieee_overflow 0
		.amdhsa_exception_fp_ieee_underflow 0
		.amdhsa_exception_fp_ieee_inexact 0
		.amdhsa_exception_int_div_zero 0
	.end_amdhsa_kernel
	.section	.text._ZN7rocprim17ROCPRIM_400000_NS6detail17trampoline_kernelINS0_14default_configENS1_25transform_config_selectorImLb1EEEZNS1_14transform_implILb1ES3_S5_PmPlNS0_8identityIvEEEE10hipError_tT2_T3_mT4_P12ihipStream_tbEUlT_E_NS1_11comp_targetILNS1_3genE0ELNS1_11target_archE4294967295ELNS1_3gpuE0ELNS1_3repE0EEENS1_30default_config_static_selectorELNS0_4arch9wavefront6targetE0EEEvT1_,"axG",@progbits,_ZN7rocprim17ROCPRIM_400000_NS6detail17trampoline_kernelINS0_14default_configENS1_25transform_config_selectorImLb1EEEZNS1_14transform_implILb1ES3_S5_PmPlNS0_8identityIvEEEE10hipError_tT2_T3_mT4_P12ihipStream_tbEUlT_E_NS1_11comp_targetILNS1_3genE0ELNS1_11target_archE4294967295ELNS1_3gpuE0ELNS1_3repE0EEENS1_30default_config_static_selectorELNS0_4arch9wavefront6targetE0EEEvT1_,comdat
.Lfunc_end11:
	.size	_ZN7rocprim17ROCPRIM_400000_NS6detail17trampoline_kernelINS0_14default_configENS1_25transform_config_selectorImLb1EEEZNS1_14transform_implILb1ES3_S5_PmPlNS0_8identityIvEEEE10hipError_tT2_T3_mT4_P12ihipStream_tbEUlT_E_NS1_11comp_targetILNS1_3genE0ELNS1_11target_archE4294967295ELNS1_3gpuE0ELNS1_3repE0EEENS1_30default_config_static_selectorELNS0_4arch9wavefront6targetE0EEEvT1_, .Lfunc_end11-_ZN7rocprim17ROCPRIM_400000_NS6detail17trampoline_kernelINS0_14default_configENS1_25transform_config_selectorImLb1EEEZNS1_14transform_implILb1ES3_S5_PmPlNS0_8identityIvEEEE10hipError_tT2_T3_mT4_P12ihipStream_tbEUlT_E_NS1_11comp_targetILNS1_3genE0ELNS1_11target_archE4294967295ELNS1_3gpuE0ELNS1_3repE0EEENS1_30default_config_static_selectorELNS0_4arch9wavefront6targetE0EEEvT1_
                                        ; -- End function
	.set _ZN7rocprim17ROCPRIM_400000_NS6detail17trampoline_kernelINS0_14default_configENS1_25transform_config_selectorImLb1EEEZNS1_14transform_implILb1ES3_S5_PmPlNS0_8identityIvEEEE10hipError_tT2_T3_mT4_P12ihipStream_tbEUlT_E_NS1_11comp_targetILNS1_3genE0ELNS1_11target_archE4294967295ELNS1_3gpuE0ELNS1_3repE0EEENS1_30default_config_static_selectorELNS0_4arch9wavefront6targetE0EEEvT1_.num_vgpr, 0
	.set _ZN7rocprim17ROCPRIM_400000_NS6detail17trampoline_kernelINS0_14default_configENS1_25transform_config_selectorImLb1EEEZNS1_14transform_implILb1ES3_S5_PmPlNS0_8identityIvEEEE10hipError_tT2_T3_mT4_P12ihipStream_tbEUlT_E_NS1_11comp_targetILNS1_3genE0ELNS1_11target_archE4294967295ELNS1_3gpuE0ELNS1_3repE0EEENS1_30default_config_static_selectorELNS0_4arch9wavefront6targetE0EEEvT1_.num_agpr, 0
	.set _ZN7rocprim17ROCPRIM_400000_NS6detail17trampoline_kernelINS0_14default_configENS1_25transform_config_selectorImLb1EEEZNS1_14transform_implILb1ES3_S5_PmPlNS0_8identityIvEEEE10hipError_tT2_T3_mT4_P12ihipStream_tbEUlT_E_NS1_11comp_targetILNS1_3genE0ELNS1_11target_archE4294967295ELNS1_3gpuE0ELNS1_3repE0EEENS1_30default_config_static_selectorELNS0_4arch9wavefront6targetE0EEEvT1_.numbered_sgpr, 0
	.set _ZN7rocprim17ROCPRIM_400000_NS6detail17trampoline_kernelINS0_14default_configENS1_25transform_config_selectorImLb1EEEZNS1_14transform_implILb1ES3_S5_PmPlNS0_8identityIvEEEE10hipError_tT2_T3_mT4_P12ihipStream_tbEUlT_E_NS1_11comp_targetILNS1_3genE0ELNS1_11target_archE4294967295ELNS1_3gpuE0ELNS1_3repE0EEENS1_30default_config_static_selectorELNS0_4arch9wavefront6targetE0EEEvT1_.num_named_barrier, 0
	.set _ZN7rocprim17ROCPRIM_400000_NS6detail17trampoline_kernelINS0_14default_configENS1_25transform_config_selectorImLb1EEEZNS1_14transform_implILb1ES3_S5_PmPlNS0_8identityIvEEEE10hipError_tT2_T3_mT4_P12ihipStream_tbEUlT_E_NS1_11comp_targetILNS1_3genE0ELNS1_11target_archE4294967295ELNS1_3gpuE0ELNS1_3repE0EEENS1_30default_config_static_selectorELNS0_4arch9wavefront6targetE0EEEvT1_.private_seg_size, 0
	.set _ZN7rocprim17ROCPRIM_400000_NS6detail17trampoline_kernelINS0_14default_configENS1_25transform_config_selectorImLb1EEEZNS1_14transform_implILb1ES3_S5_PmPlNS0_8identityIvEEEE10hipError_tT2_T3_mT4_P12ihipStream_tbEUlT_E_NS1_11comp_targetILNS1_3genE0ELNS1_11target_archE4294967295ELNS1_3gpuE0ELNS1_3repE0EEENS1_30default_config_static_selectorELNS0_4arch9wavefront6targetE0EEEvT1_.uses_vcc, 0
	.set _ZN7rocprim17ROCPRIM_400000_NS6detail17trampoline_kernelINS0_14default_configENS1_25transform_config_selectorImLb1EEEZNS1_14transform_implILb1ES3_S5_PmPlNS0_8identityIvEEEE10hipError_tT2_T3_mT4_P12ihipStream_tbEUlT_E_NS1_11comp_targetILNS1_3genE0ELNS1_11target_archE4294967295ELNS1_3gpuE0ELNS1_3repE0EEENS1_30default_config_static_selectorELNS0_4arch9wavefront6targetE0EEEvT1_.uses_flat_scratch, 0
	.set _ZN7rocprim17ROCPRIM_400000_NS6detail17trampoline_kernelINS0_14default_configENS1_25transform_config_selectorImLb1EEEZNS1_14transform_implILb1ES3_S5_PmPlNS0_8identityIvEEEE10hipError_tT2_T3_mT4_P12ihipStream_tbEUlT_E_NS1_11comp_targetILNS1_3genE0ELNS1_11target_archE4294967295ELNS1_3gpuE0ELNS1_3repE0EEENS1_30default_config_static_selectorELNS0_4arch9wavefront6targetE0EEEvT1_.has_dyn_sized_stack, 0
	.set _ZN7rocprim17ROCPRIM_400000_NS6detail17trampoline_kernelINS0_14default_configENS1_25transform_config_selectorImLb1EEEZNS1_14transform_implILb1ES3_S5_PmPlNS0_8identityIvEEEE10hipError_tT2_T3_mT4_P12ihipStream_tbEUlT_E_NS1_11comp_targetILNS1_3genE0ELNS1_11target_archE4294967295ELNS1_3gpuE0ELNS1_3repE0EEENS1_30default_config_static_selectorELNS0_4arch9wavefront6targetE0EEEvT1_.has_recursion, 0
	.set _ZN7rocprim17ROCPRIM_400000_NS6detail17trampoline_kernelINS0_14default_configENS1_25transform_config_selectorImLb1EEEZNS1_14transform_implILb1ES3_S5_PmPlNS0_8identityIvEEEE10hipError_tT2_T3_mT4_P12ihipStream_tbEUlT_E_NS1_11comp_targetILNS1_3genE0ELNS1_11target_archE4294967295ELNS1_3gpuE0ELNS1_3repE0EEENS1_30default_config_static_selectorELNS0_4arch9wavefront6targetE0EEEvT1_.has_indirect_call, 0
	.section	.AMDGPU.csdata,"",@progbits
; Kernel info:
; codeLenInByte = 0
; TotalNumSgprs: 0
; NumVgprs: 0
; ScratchSize: 0
; MemoryBound: 0
; FloatMode: 240
; IeeeMode: 1
; LDSByteSize: 0 bytes/workgroup (compile time only)
; SGPRBlocks: 0
; VGPRBlocks: 0
; NumSGPRsForWavesPerEU: 1
; NumVGPRsForWavesPerEU: 1
; Occupancy: 16
; WaveLimiterHint : 0
; COMPUTE_PGM_RSRC2:SCRATCH_EN: 0
; COMPUTE_PGM_RSRC2:USER_SGPR: 2
; COMPUTE_PGM_RSRC2:TRAP_HANDLER: 0
; COMPUTE_PGM_RSRC2:TGID_X_EN: 1
; COMPUTE_PGM_RSRC2:TGID_Y_EN: 0
; COMPUTE_PGM_RSRC2:TGID_Z_EN: 0
; COMPUTE_PGM_RSRC2:TIDIG_COMP_CNT: 0
	.section	.text._ZN7rocprim17ROCPRIM_400000_NS6detail17trampoline_kernelINS0_14default_configENS1_25transform_config_selectorImLb1EEEZNS1_14transform_implILb1ES3_S5_PmPlNS0_8identityIvEEEE10hipError_tT2_T3_mT4_P12ihipStream_tbEUlT_E_NS1_11comp_targetILNS1_3genE10ELNS1_11target_archE1201ELNS1_3gpuE5ELNS1_3repE0EEENS1_30default_config_static_selectorELNS0_4arch9wavefront6targetE0EEEvT1_,"axG",@progbits,_ZN7rocprim17ROCPRIM_400000_NS6detail17trampoline_kernelINS0_14default_configENS1_25transform_config_selectorImLb1EEEZNS1_14transform_implILb1ES3_S5_PmPlNS0_8identityIvEEEE10hipError_tT2_T3_mT4_P12ihipStream_tbEUlT_E_NS1_11comp_targetILNS1_3genE10ELNS1_11target_archE1201ELNS1_3gpuE5ELNS1_3repE0EEENS1_30default_config_static_selectorELNS0_4arch9wavefront6targetE0EEEvT1_,comdat
	.protected	_ZN7rocprim17ROCPRIM_400000_NS6detail17trampoline_kernelINS0_14default_configENS1_25transform_config_selectorImLb1EEEZNS1_14transform_implILb1ES3_S5_PmPlNS0_8identityIvEEEE10hipError_tT2_T3_mT4_P12ihipStream_tbEUlT_E_NS1_11comp_targetILNS1_3genE10ELNS1_11target_archE1201ELNS1_3gpuE5ELNS1_3repE0EEENS1_30default_config_static_selectorELNS0_4arch9wavefront6targetE0EEEvT1_ ; -- Begin function _ZN7rocprim17ROCPRIM_400000_NS6detail17trampoline_kernelINS0_14default_configENS1_25transform_config_selectorImLb1EEEZNS1_14transform_implILb1ES3_S5_PmPlNS0_8identityIvEEEE10hipError_tT2_T3_mT4_P12ihipStream_tbEUlT_E_NS1_11comp_targetILNS1_3genE10ELNS1_11target_archE1201ELNS1_3gpuE5ELNS1_3repE0EEENS1_30default_config_static_selectorELNS0_4arch9wavefront6targetE0EEEvT1_
	.globl	_ZN7rocprim17ROCPRIM_400000_NS6detail17trampoline_kernelINS0_14default_configENS1_25transform_config_selectorImLb1EEEZNS1_14transform_implILb1ES3_S5_PmPlNS0_8identityIvEEEE10hipError_tT2_T3_mT4_P12ihipStream_tbEUlT_E_NS1_11comp_targetILNS1_3genE10ELNS1_11target_archE1201ELNS1_3gpuE5ELNS1_3repE0EEENS1_30default_config_static_selectorELNS0_4arch9wavefront6targetE0EEEvT1_
	.p2align	8
	.type	_ZN7rocprim17ROCPRIM_400000_NS6detail17trampoline_kernelINS0_14default_configENS1_25transform_config_selectorImLb1EEEZNS1_14transform_implILb1ES3_S5_PmPlNS0_8identityIvEEEE10hipError_tT2_T3_mT4_P12ihipStream_tbEUlT_E_NS1_11comp_targetILNS1_3genE10ELNS1_11target_archE1201ELNS1_3gpuE5ELNS1_3repE0EEENS1_30default_config_static_selectorELNS0_4arch9wavefront6targetE0EEEvT1_,@function
_ZN7rocprim17ROCPRIM_400000_NS6detail17trampoline_kernelINS0_14default_configENS1_25transform_config_selectorImLb1EEEZNS1_14transform_implILb1ES3_S5_PmPlNS0_8identityIvEEEE10hipError_tT2_T3_mT4_P12ihipStream_tbEUlT_E_NS1_11comp_targetILNS1_3genE10ELNS1_11target_archE1201ELNS1_3gpuE5ELNS1_3repE0EEENS1_30default_config_static_selectorELNS0_4arch9wavefront6targetE0EEEvT1_: ; @_ZN7rocprim17ROCPRIM_400000_NS6detail17trampoline_kernelINS0_14default_configENS1_25transform_config_selectorImLb1EEEZNS1_14transform_implILb1ES3_S5_PmPlNS0_8identityIvEEEE10hipError_tT2_T3_mT4_P12ihipStream_tbEUlT_E_NS1_11comp_targetILNS1_3genE10ELNS1_11target_archE1201ELNS1_3gpuE5ELNS1_3repE0EEENS1_30default_config_static_selectorELNS0_4arch9wavefront6targetE0EEEvT1_
; %bb.0:
	s_clause 0x1
	s_load_b256 s[4:11], s[0:1], 0x0
	s_load_b32 s12, s[0:1], 0x28
	s_lshl_b32 s0, ttmp9, 11
	s_mov_b32 s1, 0
	s_wait_kmcnt 0x0
	s_mov_b32 s9, -1
	s_lshl_b64 s[2:3], s[6:7], 3
	s_add_co_i32 s12, s12, -1
	s_add_nc_u64 s[6:7], s[4:5], s[2:3]
	s_lshl_b64 s[4:5], s[0:1], 3
	s_add_nc_u64 s[2:3], s[10:11], s[2:3]
	s_cmp_lg_u32 ttmp9, s12
	s_add_nc_u64 s[6:7], s[6:7], s[4:5]
	s_cbranch_scc0 .LBB12_2
; %bb.1:
	v_lshlrev_b32_e32 v5, 4, v0
	s_add_nc_u64 s[10:11], s[2:3], s[4:5]
	s_mov_b32 s9, 0
	global_load_b128 v[1:4], v5, s[6:7] th:TH_LOAD_NT
	s_wait_loadcnt 0x0
	global_store_b128 v5, v[1:4], s[10:11]
.LBB12_2:
	s_and_not1_b32 vcc_lo, exec_lo, s9
	s_cbranch_vccnz .LBB12_11
; %bb.3:
	v_mov_b32_e32 v1, 0
	s_sub_co_i32 s1, s8, s0
	s_delay_alu instid0(SALU_CYCLE_1) | instskip(NEXT) | instid1(VALU_DEP_2)
	v_cmp_gt_u32_e32 vcc_lo, s1, v0
	v_dual_mov_b32 v2, v1 :: v_dual_mov_b32 v3, v1
	v_mov_b32_e32 v4, v1
	s_and_saveexec_b32 s0, vcc_lo
	s_cbranch_execz .LBB12_5
; %bb.4:
	v_dual_mov_b32 v5, v1 :: v_dual_lshlrev_b32 v2, 3, v0
	v_mov_b32_e32 v4, v1
	global_load_b64 v[2:3], v2, s[6:7]
	s_wait_loadcnt 0x0
	v_mov_b32_e32 v1, v2
	v_mov_b32_e32 v2, v3
	;; [unrolled: 1-line block ×4, first 2 shown]
.LBB12_5:
	s_wait_alu 0xfffe
	s_or_b32 exec_lo, exec_lo, s0
	v_or_b32_e32 v5, 0x400, v0
	s_delay_alu instid0(VALU_DEP_1) | instskip(SKIP_2) | instid1(SALU_CYCLE_1)
	v_cmp_gt_u32_e64 s0, s1, v5
	v_cmp_le_u32_e64 s1, s1, v5
	s_and_saveexec_b32 s8, s1
	s_xor_b32 s1, exec_lo, s8
	s_wait_alu 0xfffe
	s_and_not1_saveexec_b32 s1, s1
	s_cbranch_execz .LBB12_7
; %bb.6:
	v_lshlrev_b32_e32 v3, 3, v0
	global_load_b64 v[3:4], v3, s[6:7] offset:8192
.LBB12_7:
	s_wait_alu 0xfffe
	s_or_b32 exec_lo, exec_lo, s1
	v_dual_cndmask_b32 v5, 0, v1 :: v_dual_lshlrev_b32 v0, 3, v0
	s_add_nc_u64 s[2:3], s[2:3], s[4:5]
	v_cndmask_b32_e32 v6, 0, v2, vcc_lo
	s_delay_alu instid0(VALU_DEP_2)
	v_add_co_u32 v0, s1, s2, v0
	s_wait_alu 0xf1ff
	v_add_co_ci_u32_e64 v1, null, s3, 0, s1
	s_and_saveexec_b32 s1, vcc_lo
	s_cbranch_execz .LBB12_9
; %bb.8:
	global_store_b64 v[0:1], v[5:6], off
.LBB12_9:
	s_wait_alu 0xfffe
	s_or_b32 exec_lo, exec_lo, s1
	s_and_saveexec_b32 s1, s0
	s_cbranch_execz .LBB12_11
; %bb.10:
	s_wait_loadcnt 0x0
	v_cndmask_b32_e64 v4, 0, v4, s0
	v_cndmask_b32_e64 v3, 0, v3, s0
	global_store_b64 v[0:1], v[3:4], off offset:8192
.LBB12_11:
	s_endpgm
	.section	.rodata,"a",@progbits
	.p2align	6, 0x0
	.amdhsa_kernel _ZN7rocprim17ROCPRIM_400000_NS6detail17trampoline_kernelINS0_14default_configENS1_25transform_config_selectorImLb1EEEZNS1_14transform_implILb1ES3_S5_PmPlNS0_8identityIvEEEE10hipError_tT2_T3_mT4_P12ihipStream_tbEUlT_E_NS1_11comp_targetILNS1_3genE10ELNS1_11target_archE1201ELNS1_3gpuE5ELNS1_3repE0EEENS1_30default_config_static_selectorELNS0_4arch9wavefront6targetE0EEEvT1_
		.amdhsa_group_segment_fixed_size 0
		.amdhsa_private_segment_fixed_size 0
		.amdhsa_kernarg_size 296
		.amdhsa_user_sgpr_count 2
		.amdhsa_user_sgpr_dispatch_ptr 0
		.amdhsa_user_sgpr_queue_ptr 0
		.amdhsa_user_sgpr_kernarg_segment_ptr 1
		.amdhsa_user_sgpr_dispatch_id 0
		.amdhsa_user_sgpr_private_segment_size 0
		.amdhsa_wavefront_size32 1
		.amdhsa_uses_dynamic_stack 0
		.amdhsa_enable_private_segment 0
		.amdhsa_system_sgpr_workgroup_id_x 1
		.amdhsa_system_sgpr_workgroup_id_y 0
		.amdhsa_system_sgpr_workgroup_id_z 0
		.amdhsa_system_sgpr_workgroup_info 0
		.amdhsa_system_vgpr_workitem_id 0
		.amdhsa_next_free_vgpr 7
		.amdhsa_next_free_sgpr 13
		.amdhsa_reserve_vcc 1
		.amdhsa_float_round_mode_32 0
		.amdhsa_float_round_mode_16_64 0
		.amdhsa_float_denorm_mode_32 3
		.amdhsa_float_denorm_mode_16_64 3
		.amdhsa_fp16_overflow 0
		.amdhsa_workgroup_processor_mode 1
		.amdhsa_memory_ordered 1
		.amdhsa_forward_progress 1
		.amdhsa_inst_pref_size 4
		.amdhsa_round_robin_scheduling 0
		.amdhsa_exception_fp_ieee_invalid_op 0
		.amdhsa_exception_fp_denorm_src 0
		.amdhsa_exception_fp_ieee_div_zero 0
		.amdhsa_exception_fp_ieee_overflow 0
		.amdhsa_exception_fp_ieee_underflow 0
		.amdhsa_exception_fp_ieee_inexact 0
		.amdhsa_exception_int_div_zero 0
	.end_amdhsa_kernel
	.section	.text._ZN7rocprim17ROCPRIM_400000_NS6detail17trampoline_kernelINS0_14default_configENS1_25transform_config_selectorImLb1EEEZNS1_14transform_implILb1ES3_S5_PmPlNS0_8identityIvEEEE10hipError_tT2_T3_mT4_P12ihipStream_tbEUlT_E_NS1_11comp_targetILNS1_3genE10ELNS1_11target_archE1201ELNS1_3gpuE5ELNS1_3repE0EEENS1_30default_config_static_selectorELNS0_4arch9wavefront6targetE0EEEvT1_,"axG",@progbits,_ZN7rocprim17ROCPRIM_400000_NS6detail17trampoline_kernelINS0_14default_configENS1_25transform_config_selectorImLb1EEEZNS1_14transform_implILb1ES3_S5_PmPlNS0_8identityIvEEEE10hipError_tT2_T3_mT4_P12ihipStream_tbEUlT_E_NS1_11comp_targetILNS1_3genE10ELNS1_11target_archE1201ELNS1_3gpuE5ELNS1_3repE0EEENS1_30default_config_static_selectorELNS0_4arch9wavefront6targetE0EEEvT1_,comdat
.Lfunc_end12:
	.size	_ZN7rocprim17ROCPRIM_400000_NS6detail17trampoline_kernelINS0_14default_configENS1_25transform_config_selectorImLb1EEEZNS1_14transform_implILb1ES3_S5_PmPlNS0_8identityIvEEEE10hipError_tT2_T3_mT4_P12ihipStream_tbEUlT_E_NS1_11comp_targetILNS1_3genE10ELNS1_11target_archE1201ELNS1_3gpuE5ELNS1_3repE0EEENS1_30default_config_static_selectorELNS0_4arch9wavefront6targetE0EEEvT1_, .Lfunc_end12-_ZN7rocprim17ROCPRIM_400000_NS6detail17trampoline_kernelINS0_14default_configENS1_25transform_config_selectorImLb1EEEZNS1_14transform_implILb1ES3_S5_PmPlNS0_8identityIvEEEE10hipError_tT2_T3_mT4_P12ihipStream_tbEUlT_E_NS1_11comp_targetILNS1_3genE10ELNS1_11target_archE1201ELNS1_3gpuE5ELNS1_3repE0EEENS1_30default_config_static_selectorELNS0_4arch9wavefront6targetE0EEEvT1_
                                        ; -- End function
	.set _ZN7rocprim17ROCPRIM_400000_NS6detail17trampoline_kernelINS0_14default_configENS1_25transform_config_selectorImLb1EEEZNS1_14transform_implILb1ES3_S5_PmPlNS0_8identityIvEEEE10hipError_tT2_T3_mT4_P12ihipStream_tbEUlT_E_NS1_11comp_targetILNS1_3genE10ELNS1_11target_archE1201ELNS1_3gpuE5ELNS1_3repE0EEENS1_30default_config_static_selectorELNS0_4arch9wavefront6targetE0EEEvT1_.num_vgpr, 7
	.set _ZN7rocprim17ROCPRIM_400000_NS6detail17trampoline_kernelINS0_14default_configENS1_25transform_config_selectorImLb1EEEZNS1_14transform_implILb1ES3_S5_PmPlNS0_8identityIvEEEE10hipError_tT2_T3_mT4_P12ihipStream_tbEUlT_E_NS1_11comp_targetILNS1_3genE10ELNS1_11target_archE1201ELNS1_3gpuE5ELNS1_3repE0EEENS1_30default_config_static_selectorELNS0_4arch9wavefront6targetE0EEEvT1_.num_agpr, 0
	.set _ZN7rocprim17ROCPRIM_400000_NS6detail17trampoline_kernelINS0_14default_configENS1_25transform_config_selectorImLb1EEEZNS1_14transform_implILb1ES3_S5_PmPlNS0_8identityIvEEEE10hipError_tT2_T3_mT4_P12ihipStream_tbEUlT_E_NS1_11comp_targetILNS1_3genE10ELNS1_11target_archE1201ELNS1_3gpuE5ELNS1_3repE0EEENS1_30default_config_static_selectorELNS0_4arch9wavefront6targetE0EEEvT1_.numbered_sgpr, 13
	.set _ZN7rocprim17ROCPRIM_400000_NS6detail17trampoline_kernelINS0_14default_configENS1_25transform_config_selectorImLb1EEEZNS1_14transform_implILb1ES3_S5_PmPlNS0_8identityIvEEEE10hipError_tT2_T3_mT4_P12ihipStream_tbEUlT_E_NS1_11comp_targetILNS1_3genE10ELNS1_11target_archE1201ELNS1_3gpuE5ELNS1_3repE0EEENS1_30default_config_static_selectorELNS0_4arch9wavefront6targetE0EEEvT1_.num_named_barrier, 0
	.set _ZN7rocprim17ROCPRIM_400000_NS6detail17trampoline_kernelINS0_14default_configENS1_25transform_config_selectorImLb1EEEZNS1_14transform_implILb1ES3_S5_PmPlNS0_8identityIvEEEE10hipError_tT2_T3_mT4_P12ihipStream_tbEUlT_E_NS1_11comp_targetILNS1_3genE10ELNS1_11target_archE1201ELNS1_3gpuE5ELNS1_3repE0EEENS1_30default_config_static_selectorELNS0_4arch9wavefront6targetE0EEEvT1_.private_seg_size, 0
	.set _ZN7rocprim17ROCPRIM_400000_NS6detail17trampoline_kernelINS0_14default_configENS1_25transform_config_selectorImLb1EEEZNS1_14transform_implILb1ES3_S5_PmPlNS0_8identityIvEEEE10hipError_tT2_T3_mT4_P12ihipStream_tbEUlT_E_NS1_11comp_targetILNS1_3genE10ELNS1_11target_archE1201ELNS1_3gpuE5ELNS1_3repE0EEENS1_30default_config_static_selectorELNS0_4arch9wavefront6targetE0EEEvT1_.uses_vcc, 1
	.set _ZN7rocprim17ROCPRIM_400000_NS6detail17trampoline_kernelINS0_14default_configENS1_25transform_config_selectorImLb1EEEZNS1_14transform_implILb1ES3_S5_PmPlNS0_8identityIvEEEE10hipError_tT2_T3_mT4_P12ihipStream_tbEUlT_E_NS1_11comp_targetILNS1_3genE10ELNS1_11target_archE1201ELNS1_3gpuE5ELNS1_3repE0EEENS1_30default_config_static_selectorELNS0_4arch9wavefront6targetE0EEEvT1_.uses_flat_scratch, 0
	.set _ZN7rocprim17ROCPRIM_400000_NS6detail17trampoline_kernelINS0_14default_configENS1_25transform_config_selectorImLb1EEEZNS1_14transform_implILb1ES3_S5_PmPlNS0_8identityIvEEEE10hipError_tT2_T3_mT4_P12ihipStream_tbEUlT_E_NS1_11comp_targetILNS1_3genE10ELNS1_11target_archE1201ELNS1_3gpuE5ELNS1_3repE0EEENS1_30default_config_static_selectorELNS0_4arch9wavefront6targetE0EEEvT1_.has_dyn_sized_stack, 0
	.set _ZN7rocprim17ROCPRIM_400000_NS6detail17trampoline_kernelINS0_14default_configENS1_25transform_config_selectorImLb1EEEZNS1_14transform_implILb1ES3_S5_PmPlNS0_8identityIvEEEE10hipError_tT2_T3_mT4_P12ihipStream_tbEUlT_E_NS1_11comp_targetILNS1_3genE10ELNS1_11target_archE1201ELNS1_3gpuE5ELNS1_3repE0EEENS1_30default_config_static_selectorELNS0_4arch9wavefront6targetE0EEEvT1_.has_recursion, 0
	.set _ZN7rocprim17ROCPRIM_400000_NS6detail17trampoline_kernelINS0_14default_configENS1_25transform_config_selectorImLb1EEEZNS1_14transform_implILb1ES3_S5_PmPlNS0_8identityIvEEEE10hipError_tT2_T3_mT4_P12ihipStream_tbEUlT_E_NS1_11comp_targetILNS1_3genE10ELNS1_11target_archE1201ELNS1_3gpuE5ELNS1_3repE0EEENS1_30default_config_static_selectorELNS0_4arch9wavefront6targetE0EEEvT1_.has_indirect_call, 0
	.section	.AMDGPU.csdata,"",@progbits
; Kernel info:
; codeLenInByte = 388
; TotalNumSgprs: 15
; NumVgprs: 7
; ScratchSize: 0
; MemoryBound: 1
; FloatMode: 240
; IeeeMode: 1
; LDSByteSize: 0 bytes/workgroup (compile time only)
; SGPRBlocks: 0
; VGPRBlocks: 0
; NumSGPRsForWavesPerEU: 15
; NumVGPRsForWavesPerEU: 7
; Occupancy: 16
; WaveLimiterHint : 0
; COMPUTE_PGM_RSRC2:SCRATCH_EN: 0
; COMPUTE_PGM_RSRC2:USER_SGPR: 2
; COMPUTE_PGM_RSRC2:TRAP_HANDLER: 0
; COMPUTE_PGM_RSRC2:TGID_X_EN: 1
; COMPUTE_PGM_RSRC2:TGID_Y_EN: 0
; COMPUTE_PGM_RSRC2:TGID_Z_EN: 0
; COMPUTE_PGM_RSRC2:TIDIG_COMP_CNT: 0
	.section	.text._ZN7rocprim17ROCPRIM_400000_NS6detail17trampoline_kernelINS0_14default_configENS1_25transform_config_selectorImLb1EEEZNS1_14transform_implILb1ES3_S5_PmPlNS0_8identityIvEEEE10hipError_tT2_T3_mT4_P12ihipStream_tbEUlT_E_NS1_11comp_targetILNS1_3genE5ELNS1_11target_archE942ELNS1_3gpuE9ELNS1_3repE0EEENS1_30default_config_static_selectorELNS0_4arch9wavefront6targetE0EEEvT1_,"axG",@progbits,_ZN7rocprim17ROCPRIM_400000_NS6detail17trampoline_kernelINS0_14default_configENS1_25transform_config_selectorImLb1EEEZNS1_14transform_implILb1ES3_S5_PmPlNS0_8identityIvEEEE10hipError_tT2_T3_mT4_P12ihipStream_tbEUlT_E_NS1_11comp_targetILNS1_3genE5ELNS1_11target_archE942ELNS1_3gpuE9ELNS1_3repE0EEENS1_30default_config_static_selectorELNS0_4arch9wavefront6targetE0EEEvT1_,comdat
	.protected	_ZN7rocprim17ROCPRIM_400000_NS6detail17trampoline_kernelINS0_14default_configENS1_25transform_config_selectorImLb1EEEZNS1_14transform_implILb1ES3_S5_PmPlNS0_8identityIvEEEE10hipError_tT2_T3_mT4_P12ihipStream_tbEUlT_E_NS1_11comp_targetILNS1_3genE5ELNS1_11target_archE942ELNS1_3gpuE9ELNS1_3repE0EEENS1_30default_config_static_selectorELNS0_4arch9wavefront6targetE0EEEvT1_ ; -- Begin function _ZN7rocprim17ROCPRIM_400000_NS6detail17trampoline_kernelINS0_14default_configENS1_25transform_config_selectorImLb1EEEZNS1_14transform_implILb1ES3_S5_PmPlNS0_8identityIvEEEE10hipError_tT2_T3_mT4_P12ihipStream_tbEUlT_E_NS1_11comp_targetILNS1_3genE5ELNS1_11target_archE942ELNS1_3gpuE9ELNS1_3repE0EEENS1_30default_config_static_selectorELNS0_4arch9wavefront6targetE0EEEvT1_
	.globl	_ZN7rocprim17ROCPRIM_400000_NS6detail17trampoline_kernelINS0_14default_configENS1_25transform_config_selectorImLb1EEEZNS1_14transform_implILb1ES3_S5_PmPlNS0_8identityIvEEEE10hipError_tT2_T3_mT4_P12ihipStream_tbEUlT_E_NS1_11comp_targetILNS1_3genE5ELNS1_11target_archE942ELNS1_3gpuE9ELNS1_3repE0EEENS1_30default_config_static_selectorELNS0_4arch9wavefront6targetE0EEEvT1_
	.p2align	8
	.type	_ZN7rocprim17ROCPRIM_400000_NS6detail17trampoline_kernelINS0_14default_configENS1_25transform_config_selectorImLb1EEEZNS1_14transform_implILb1ES3_S5_PmPlNS0_8identityIvEEEE10hipError_tT2_T3_mT4_P12ihipStream_tbEUlT_E_NS1_11comp_targetILNS1_3genE5ELNS1_11target_archE942ELNS1_3gpuE9ELNS1_3repE0EEENS1_30default_config_static_selectorELNS0_4arch9wavefront6targetE0EEEvT1_,@function
_ZN7rocprim17ROCPRIM_400000_NS6detail17trampoline_kernelINS0_14default_configENS1_25transform_config_selectorImLb1EEEZNS1_14transform_implILb1ES3_S5_PmPlNS0_8identityIvEEEE10hipError_tT2_T3_mT4_P12ihipStream_tbEUlT_E_NS1_11comp_targetILNS1_3genE5ELNS1_11target_archE942ELNS1_3gpuE9ELNS1_3repE0EEENS1_30default_config_static_selectorELNS0_4arch9wavefront6targetE0EEEvT1_: ; @_ZN7rocprim17ROCPRIM_400000_NS6detail17trampoline_kernelINS0_14default_configENS1_25transform_config_selectorImLb1EEEZNS1_14transform_implILb1ES3_S5_PmPlNS0_8identityIvEEEE10hipError_tT2_T3_mT4_P12ihipStream_tbEUlT_E_NS1_11comp_targetILNS1_3genE5ELNS1_11target_archE942ELNS1_3gpuE9ELNS1_3repE0EEENS1_30default_config_static_selectorELNS0_4arch9wavefront6targetE0EEEvT1_
; %bb.0:
	.section	.rodata,"a",@progbits
	.p2align	6, 0x0
	.amdhsa_kernel _ZN7rocprim17ROCPRIM_400000_NS6detail17trampoline_kernelINS0_14default_configENS1_25transform_config_selectorImLb1EEEZNS1_14transform_implILb1ES3_S5_PmPlNS0_8identityIvEEEE10hipError_tT2_T3_mT4_P12ihipStream_tbEUlT_E_NS1_11comp_targetILNS1_3genE5ELNS1_11target_archE942ELNS1_3gpuE9ELNS1_3repE0EEENS1_30default_config_static_selectorELNS0_4arch9wavefront6targetE0EEEvT1_
		.amdhsa_group_segment_fixed_size 0
		.amdhsa_private_segment_fixed_size 0
		.amdhsa_kernarg_size 40
		.amdhsa_user_sgpr_count 2
		.amdhsa_user_sgpr_dispatch_ptr 0
		.amdhsa_user_sgpr_queue_ptr 0
		.amdhsa_user_sgpr_kernarg_segment_ptr 1
		.amdhsa_user_sgpr_dispatch_id 0
		.amdhsa_user_sgpr_private_segment_size 0
		.amdhsa_wavefront_size32 1
		.amdhsa_uses_dynamic_stack 0
		.amdhsa_enable_private_segment 0
		.amdhsa_system_sgpr_workgroup_id_x 1
		.amdhsa_system_sgpr_workgroup_id_y 0
		.amdhsa_system_sgpr_workgroup_id_z 0
		.amdhsa_system_sgpr_workgroup_info 0
		.amdhsa_system_vgpr_workitem_id 0
		.amdhsa_next_free_vgpr 1
		.amdhsa_next_free_sgpr 1
		.amdhsa_reserve_vcc 0
		.amdhsa_float_round_mode_32 0
		.amdhsa_float_round_mode_16_64 0
		.amdhsa_float_denorm_mode_32 3
		.amdhsa_float_denorm_mode_16_64 3
		.amdhsa_fp16_overflow 0
		.amdhsa_workgroup_processor_mode 1
		.amdhsa_memory_ordered 1
		.amdhsa_forward_progress 1
		.amdhsa_inst_pref_size 0
		.amdhsa_round_robin_scheduling 0
		.amdhsa_exception_fp_ieee_invalid_op 0
		.amdhsa_exception_fp_denorm_src 0
		.amdhsa_exception_fp_ieee_div_zero 0
		.amdhsa_exception_fp_ieee_overflow 0
		.amdhsa_exception_fp_ieee_underflow 0
		.amdhsa_exception_fp_ieee_inexact 0
		.amdhsa_exception_int_div_zero 0
	.end_amdhsa_kernel
	.section	.text._ZN7rocprim17ROCPRIM_400000_NS6detail17trampoline_kernelINS0_14default_configENS1_25transform_config_selectorImLb1EEEZNS1_14transform_implILb1ES3_S5_PmPlNS0_8identityIvEEEE10hipError_tT2_T3_mT4_P12ihipStream_tbEUlT_E_NS1_11comp_targetILNS1_3genE5ELNS1_11target_archE942ELNS1_3gpuE9ELNS1_3repE0EEENS1_30default_config_static_selectorELNS0_4arch9wavefront6targetE0EEEvT1_,"axG",@progbits,_ZN7rocprim17ROCPRIM_400000_NS6detail17trampoline_kernelINS0_14default_configENS1_25transform_config_selectorImLb1EEEZNS1_14transform_implILb1ES3_S5_PmPlNS0_8identityIvEEEE10hipError_tT2_T3_mT4_P12ihipStream_tbEUlT_E_NS1_11comp_targetILNS1_3genE5ELNS1_11target_archE942ELNS1_3gpuE9ELNS1_3repE0EEENS1_30default_config_static_selectorELNS0_4arch9wavefront6targetE0EEEvT1_,comdat
.Lfunc_end13:
	.size	_ZN7rocprim17ROCPRIM_400000_NS6detail17trampoline_kernelINS0_14default_configENS1_25transform_config_selectorImLb1EEEZNS1_14transform_implILb1ES3_S5_PmPlNS0_8identityIvEEEE10hipError_tT2_T3_mT4_P12ihipStream_tbEUlT_E_NS1_11comp_targetILNS1_3genE5ELNS1_11target_archE942ELNS1_3gpuE9ELNS1_3repE0EEENS1_30default_config_static_selectorELNS0_4arch9wavefront6targetE0EEEvT1_, .Lfunc_end13-_ZN7rocprim17ROCPRIM_400000_NS6detail17trampoline_kernelINS0_14default_configENS1_25transform_config_selectorImLb1EEEZNS1_14transform_implILb1ES3_S5_PmPlNS0_8identityIvEEEE10hipError_tT2_T3_mT4_P12ihipStream_tbEUlT_E_NS1_11comp_targetILNS1_3genE5ELNS1_11target_archE942ELNS1_3gpuE9ELNS1_3repE0EEENS1_30default_config_static_selectorELNS0_4arch9wavefront6targetE0EEEvT1_
                                        ; -- End function
	.set _ZN7rocprim17ROCPRIM_400000_NS6detail17trampoline_kernelINS0_14default_configENS1_25transform_config_selectorImLb1EEEZNS1_14transform_implILb1ES3_S5_PmPlNS0_8identityIvEEEE10hipError_tT2_T3_mT4_P12ihipStream_tbEUlT_E_NS1_11comp_targetILNS1_3genE5ELNS1_11target_archE942ELNS1_3gpuE9ELNS1_3repE0EEENS1_30default_config_static_selectorELNS0_4arch9wavefront6targetE0EEEvT1_.num_vgpr, 0
	.set _ZN7rocprim17ROCPRIM_400000_NS6detail17trampoline_kernelINS0_14default_configENS1_25transform_config_selectorImLb1EEEZNS1_14transform_implILb1ES3_S5_PmPlNS0_8identityIvEEEE10hipError_tT2_T3_mT4_P12ihipStream_tbEUlT_E_NS1_11comp_targetILNS1_3genE5ELNS1_11target_archE942ELNS1_3gpuE9ELNS1_3repE0EEENS1_30default_config_static_selectorELNS0_4arch9wavefront6targetE0EEEvT1_.num_agpr, 0
	.set _ZN7rocprim17ROCPRIM_400000_NS6detail17trampoline_kernelINS0_14default_configENS1_25transform_config_selectorImLb1EEEZNS1_14transform_implILb1ES3_S5_PmPlNS0_8identityIvEEEE10hipError_tT2_T3_mT4_P12ihipStream_tbEUlT_E_NS1_11comp_targetILNS1_3genE5ELNS1_11target_archE942ELNS1_3gpuE9ELNS1_3repE0EEENS1_30default_config_static_selectorELNS0_4arch9wavefront6targetE0EEEvT1_.numbered_sgpr, 0
	.set _ZN7rocprim17ROCPRIM_400000_NS6detail17trampoline_kernelINS0_14default_configENS1_25transform_config_selectorImLb1EEEZNS1_14transform_implILb1ES3_S5_PmPlNS0_8identityIvEEEE10hipError_tT2_T3_mT4_P12ihipStream_tbEUlT_E_NS1_11comp_targetILNS1_3genE5ELNS1_11target_archE942ELNS1_3gpuE9ELNS1_3repE0EEENS1_30default_config_static_selectorELNS0_4arch9wavefront6targetE0EEEvT1_.num_named_barrier, 0
	.set _ZN7rocprim17ROCPRIM_400000_NS6detail17trampoline_kernelINS0_14default_configENS1_25transform_config_selectorImLb1EEEZNS1_14transform_implILb1ES3_S5_PmPlNS0_8identityIvEEEE10hipError_tT2_T3_mT4_P12ihipStream_tbEUlT_E_NS1_11comp_targetILNS1_3genE5ELNS1_11target_archE942ELNS1_3gpuE9ELNS1_3repE0EEENS1_30default_config_static_selectorELNS0_4arch9wavefront6targetE0EEEvT1_.private_seg_size, 0
	.set _ZN7rocprim17ROCPRIM_400000_NS6detail17trampoline_kernelINS0_14default_configENS1_25transform_config_selectorImLb1EEEZNS1_14transform_implILb1ES3_S5_PmPlNS0_8identityIvEEEE10hipError_tT2_T3_mT4_P12ihipStream_tbEUlT_E_NS1_11comp_targetILNS1_3genE5ELNS1_11target_archE942ELNS1_3gpuE9ELNS1_3repE0EEENS1_30default_config_static_selectorELNS0_4arch9wavefront6targetE0EEEvT1_.uses_vcc, 0
	.set _ZN7rocprim17ROCPRIM_400000_NS6detail17trampoline_kernelINS0_14default_configENS1_25transform_config_selectorImLb1EEEZNS1_14transform_implILb1ES3_S5_PmPlNS0_8identityIvEEEE10hipError_tT2_T3_mT4_P12ihipStream_tbEUlT_E_NS1_11comp_targetILNS1_3genE5ELNS1_11target_archE942ELNS1_3gpuE9ELNS1_3repE0EEENS1_30default_config_static_selectorELNS0_4arch9wavefront6targetE0EEEvT1_.uses_flat_scratch, 0
	.set _ZN7rocprim17ROCPRIM_400000_NS6detail17trampoline_kernelINS0_14default_configENS1_25transform_config_selectorImLb1EEEZNS1_14transform_implILb1ES3_S5_PmPlNS0_8identityIvEEEE10hipError_tT2_T3_mT4_P12ihipStream_tbEUlT_E_NS1_11comp_targetILNS1_3genE5ELNS1_11target_archE942ELNS1_3gpuE9ELNS1_3repE0EEENS1_30default_config_static_selectorELNS0_4arch9wavefront6targetE0EEEvT1_.has_dyn_sized_stack, 0
	.set _ZN7rocprim17ROCPRIM_400000_NS6detail17trampoline_kernelINS0_14default_configENS1_25transform_config_selectorImLb1EEEZNS1_14transform_implILb1ES3_S5_PmPlNS0_8identityIvEEEE10hipError_tT2_T3_mT4_P12ihipStream_tbEUlT_E_NS1_11comp_targetILNS1_3genE5ELNS1_11target_archE942ELNS1_3gpuE9ELNS1_3repE0EEENS1_30default_config_static_selectorELNS0_4arch9wavefront6targetE0EEEvT1_.has_recursion, 0
	.set _ZN7rocprim17ROCPRIM_400000_NS6detail17trampoline_kernelINS0_14default_configENS1_25transform_config_selectorImLb1EEEZNS1_14transform_implILb1ES3_S5_PmPlNS0_8identityIvEEEE10hipError_tT2_T3_mT4_P12ihipStream_tbEUlT_E_NS1_11comp_targetILNS1_3genE5ELNS1_11target_archE942ELNS1_3gpuE9ELNS1_3repE0EEENS1_30default_config_static_selectorELNS0_4arch9wavefront6targetE0EEEvT1_.has_indirect_call, 0
	.section	.AMDGPU.csdata,"",@progbits
; Kernel info:
; codeLenInByte = 0
; TotalNumSgprs: 0
; NumVgprs: 0
; ScratchSize: 0
; MemoryBound: 0
; FloatMode: 240
; IeeeMode: 1
; LDSByteSize: 0 bytes/workgroup (compile time only)
; SGPRBlocks: 0
; VGPRBlocks: 0
; NumSGPRsForWavesPerEU: 1
; NumVGPRsForWavesPerEU: 1
; Occupancy: 16
; WaveLimiterHint : 0
; COMPUTE_PGM_RSRC2:SCRATCH_EN: 0
; COMPUTE_PGM_RSRC2:USER_SGPR: 2
; COMPUTE_PGM_RSRC2:TRAP_HANDLER: 0
; COMPUTE_PGM_RSRC2:TGID_X_EN: 1
; COMPUTE_PGM_RSRC2:TGID_Y_EN: 0
; COMPUTE_PGM_RSRC2:TGID_Z_EN: 0
; COMPUTE_PGM_RSRC2:TIDIG_COMP_CNT: 0
	.section	.text._ZN7rocprim17ROCPRIM_400000_NS6detail17trampoline_kernelINS0_14default_configENS1_25transform_config_selectorImLb1EEEZNS1_14transform_implILb1ES3_S5_PmPlNS0_8identityIvEEEE10hipError_tT2_T3_mT4_P12ihipStream_tbEUlT_E_NS1_11comp_targetILNS1_3genE4ELNS1_11target_archE910ELNS1_3gpuE8ELNS1_3repE0EEENS1_30default_config_static_selectorELNS0_4arch9wavefront6targetE0EEEvT1_,"axG",@progbits,_ZN7rocprim17ROCPRIM_400000_NS6detail17trampoline_kernelINS0_14default_configENS1_25transform_config_selectorImLb1EEEZNS1_14transform_implILb1ES3_S5_PmPlNS0_8identityIvEEEE10hipError_tT2_T3_mT4_P12ihipStream_tbEUlT_E_NS1_11comp_targetILNS1_3genE4ELNS1_11target_archE910ELNS1_3gpuE8ELNS1_3repE0EEENS1_30default_config_static_selectorELNS0_4arch9wavefront6targetE0EEEvT1_,comdat
	.protected	_ZN7rocprim17ROCPRIM_400000_NS6detail17trampoline_kernelINS0_14default_configENS1_25transform_config_selectorImLb1EEEZNS1_14transform_implILb1ES3_S5_PmPlNS0_8identityIvEEEE10hipError_tT2_T3_mT4_P12ihipStream_tbEUlT_E_NS1_11comp_targetILNS1_3genE4ELNS1_11target_archE910ELNS1_3gpuE8ELNS1_3repE0EEENS1_30default_config_static_selectorELNS0_4arch9wavefront6targetE0EEEvT1_ ; -- Begin function _ZN7rocprim17ROCPRIM_400000_NS6detail17trampoline_kernelINS0_14default_configENS1_25transform_config_selectorImLb1EEEZNS1_14transform_implILb1ES3_S5_PmPlNS0_8identityIvEEEE10hipError_tT2_T3_mT4_P12ihipStream_tbEUlT_E_NS1_11comp_targetILNS1_3genE4ELNS1_11target_archE910ELNS1_3gpuE8ELNS1_3repE0EEENS1_30default_config_static_selectorELNS0_4arch9wavefront6targetE0EEEvT1_
	.globl	_ZN7rocprim17ROCPRIM_400000_NS6detail17trampoline_kernelINS0_14default_configENS1_25transform_config_selectorImLb1EEEZNS1_14transform_implILb1ES3_S5_PmPlNS0_8identityIvEEEE10hipError_tT2_T3_mT4_P12ihipStream_tbEUlT_E_NS1_11comp_targetILNS1_3genE4ELNS1_11target_archE910ELNS1_3gpuE8ELNS1_3repE0EEENS1_30default_config_static_selectorELNS0_4arch9wavefront6targetE0EEEvT1_
	.p2align	8
	.type	_ZN7rocprim17ROCPRIM_400000_NS6detail17trampoline_kernelINS0_14default_configENS1_25transform_config_selectorImLb1EEEZNS1_14transform_implILb1ES3_S5_PmPlNS0_8identityIvEEEE10hipError_tT2_T3_mT4_P12ihipStream_tbEUlT_E_NS1_11comp_targetILNS1_3genE4ELNS1_11target_archE910ELNS1_3gpuE8ELNS1_3repE0EEENS1_30default_config_static_selectorELNS0_4arch9wavefront6targetE0EEEvT1_,@function
_ZN7rocprim17ROCPRIM_400000_NS6detail17trampoline_kernelINS0_14default_configENS1_25transform_config_selectorImLb1EEEZNS1_14transform_implILb1ES3_S5_PmPlNS0_8identityIvEEEE10hipError_tT2_T3_mT4_P12ihipStream_tbEUlT_E_NS1_11comp_targetILNS1_3genE4ELNS1_11target_archE910ELNS1_3gpuE8ELNS1_3repE0EEENS1_30default_config_static_selectorELNS0_4arch9wavefront6targetE0EEEvT1_: ; @_ZN7rocprim17ROCPRIM_400000_NS6detail17trampoline_kernelINS0_14default_configENS1_25transform_config_selectorImLb1EEEZNS1_14transform_implILb1ES3_S5_PmPlNS0_8identityIvEEEE10hipError_tT2_T3_mT4_P12ihipStream_tbEUlT_E_NS1_11comp_targetILNS1_3genE4ELNS1_11target_archE910ELNS1_3gpuE8ELNS1_3repE0EEENS1_30default_config_static_selectorELNS0_4arch9wavefront6targetE0EEEvT1_
; %bb.0:
	.section	.rodata,"a",@progbits
	.p2align	6, 0x0
	.amdhsa_kernel _ZN7rocprim17ROCPRIM_400000_NS6detail17trampoline_kernelINS0_14default_configENS1_25transform_config_selectorImLb1EEEZNS1_14transform_implILb1ES3_S5_PmPlNS0_8identityIvEEEE10hipError_tT2_T3_mT4_P12ihipStream_tbEUlT_E_NS1_11comp_targetILNS1_3genE4ELNS1_11target_archE910ELNS1_3gpuE8ELNS1_3repE0EEENS1_30default_config_static_selectorELNS0_4arch9wavefront6targetE0EEEvT1_
		.amdhsa_group_segment_fixed_size 0
		.amdhsa_private_segment_fixed_size 0
		.amdhsa_kernarg_size 40
		.amdhsa_user_sgpr_count 2
		.amdhsa_user_sgpr_dispatch_ptr 0
		.amdhsa_user_sgpr_queue_ptr 0
		.amdhsa_user_sgpr_kernarg_segment_ptr 1
		.amdhsa_user_sgpr_dispatch_id 0
		.amdhsa_user_sgpr_private_segment_size 0
		.amdhsa_wavefront_size32 1
		.amdhsa_uses_dynamic_stack 0
		.amdhsa_enable_private_segment 0
		.amdhsa_system_sgpr_workgroup_id_x 1
		.amdhsa_system_sgpr_workgroup_id_y 0
		.amdhsa_system_sgpr_workgroup_id_z 0
		.amdhsa_system_sgpr_workgroup_info 0
		.amdhsa_system_vgpr_workitem_id 0
		.amdhsa_next_free_vgpr 1
		.amdhsa_next_free_sgpr 1
		.amdhsa_reserve_vcc 0
		.amdhsa_float_round_mode_32 0
		.amdhsa_float_round_mode_16_64 0
		.amdhsa_float_denorm_mode_32 3
		.amdhsa_float_denorm_mode_16_64 3
		.amdhsa_fp16_overflow 0
		.amdhsa_workgroup_processor_mode 1
		.amdhsa_memory_ordered 1
		.amdhsa_forward_progress 1
		.amdhsa_inst_pref_size 0
		.amdhsa_round_robin_scheduling 0
		.amdhsa_exception_fp_ieee_invalid_op 0
		.amdhsa_exception_fp_denorm_src 0
		.amdhsa_exception_fp_ieee_div_zero 0
		.amdhsa_exception_fp_ieee_overflow 0
		.amdhsa_exception_fp_ieee_underflow 0
		.amdhsa_exception_fp_ieee_inexact 0
		.amdhsa_exception_int_div_zero 0
	.end_amdhsa_kernel
	.section	.text._ZN7rocprim17ROCPRIM_400000_NS6detail17trampoline_kernelINS0_14default_configENS1_25transform_config_selectorImLb1EEEZNS1_14transform_implILb1ES3_S5_PmPlNS0_8identityIvEEEE10hipError_tT2_T3_mT4_P12ihipStream_tbEUlT_E_NS1_11comp_targetILNS1_3genE4ELNS1_11target_archE910ELNS1_3gpuE8ELNS1_3repE0EEENS1_30default_config_static_selectorELNS0_4arch9wavefront6targetE0EEEvT1_,"axG",@progbits,_ZN7rocprim17ROCPRIM_400000_NS6detail17trampoline_kernelINS0_14default_configENS1_25transform_config_selectorImLb1EEEZNS1_14transform_implILb1ES3_S5_PmPlNS0_8identityIvEEEE10hipError_tT2_T3_mT4_P12ihipStream_tbEUlT_E_NS1_11comp_targetILNS1_3genE4ELNS1_11target_archE910ELNS1_3gpuE8ELNS1_3repE0EEENS1_30default_config_static_selectorELNS0_4arch9wavefront6targetE0EEEvT1_,comdat
.Lfunc_end14:
	.size	_ZN7rocprim17ROCPRIM_400000_NS6detail17trampoline_kernelINS0_14default_configENS1_25transform_config_selectorImLb1EEEZNS1_14transform_implILb1ES3_S5_PmPlNS0_8identityIvEEEE10hipError_tT2_T3_mT4_P12ihipStream_tbEUlT_E_NS1_11comp_targetILNS1_3genE4ELNS1_11target_archE910ELNS1_3gpuE8ELNS1_3repE0EEENS1_30default_config_static_selectorELNS0_4arch9wavefront6targetE0EEEvT1_, .Lfunc_end14-_ZN7rocprim17ROCPRIM_400000_NS6detail17trampoline_kernelINS0_14default_configENS1_25transform_config_selectorImLb1EEEZNS1_14transform_implILb1ES3_S5_PmPlNS0_8identityIvEEEE10hipError_tT2_T3_mT4_P12ihipStream_tbEUlT_E_NS1_11comp_targetILNS1_3genE4ELNS1_11target_archE910ELNS1_3gpuE8ELNS1_3repE0EEENS1_30default_config_static_selectorELNS0_4arch9wavefront6targetE0EEEvT1_
                                        ; -- End function
	.set _ZN7rocprim17ROCPRIM_400000_NS6detail17trampoline_kernelINS0_14default_configENS1_25transform_config_selectorImLb1EEEZNS1_14transform_implILb1ES3_S5_PmPlNS0_8identityIvEEEE10hipError_tT2_T3_mT4_P12ihipStream_tbEUlT_E_NS1_11comp_targetILNS1_3genE4ELNS1_11target_archE910ELNS1_3gpuE8ELNS1_3repE0EEENS1_30default_config_static_selectorELNS0_4arch9wavefront6targetE0EEEvT1_.num_vgpr, 0
	.set _ZN7rocprim17ROCPRIM_400000_NS6detail17trampoline_kernelINS0_14default_configENS1_25transform_config_selectorImLb1EEEZNS1_14transform_implILb1ES3_S5_PmPlNS0_8identityIvEEEE10hipError_tT2_T3_mT4_P12ihipStream_tbEUlT_E_NS1_11comp_targetILNS1_3genE4ELNS1_11target_archE910ELNS1_3gpuE8ELNS1_3repE0EEENS1_30default_config_static_selectorELNS0_4arch9wavefront6targetE0EEEvT1_.num_agpr, 0
	.set _ZN7rocprim17ROCPRIM_400000_NS6detail17trampoline_kernelINS0_14default_configENS1_25transform_config_selectorImLb1EEEZNS1_14transform_implILb1ES3_S5_PmPlNS0_8identityIvEEEE10hipError_tT2_T3_mT4_P12ihipStream_tbEUlT_E_NS1_11comp_targetILNS1_3genE4ELNS1_11target_archE910ELNS1_3gpuE8ELNS1_3repE0EEENS1_30default_config_static_selectorELNS0_4arch9wavefront6targetE0EEEvT1_.numbered_sgpr, 0
	.set _ZN7rocprim17ROCPRIM_400000_NS6detail17trampoline_kernelINS0_14default_configENS1_25transform_config_selectorImLb1EEEZNS1_14transform_implILb1ES3_S5_PmPlNS0_8identityIvEEEE10hipError_tT2_T3_mT4_P12ihipStream_tbEUlT_E_NS1_11comp_targetILNS1_3genE4ELNS1_11target_archE910ELNS1_3gpuE8ELNS1_3repE0EEENS1_30default_config_static_selectorELNS0_4arch9wavefront6targetE0EEEvT1_.num_named_barrier, 0
	.set _ZN7rocprim17ROCPRIM_400000_NS6detail17trampoline_kernelINS0_14default_configENS1_25transform_config_selectorImLb1EEEZNS1_14transform_implILb1ES3_S5_PmPlNS0_8identityIvEEEE10hipError_tT2_T3_mT4_P12ihipStream_tbEUlT_E_NS1_11comp_targetILNS1_3genE4ELNS1_11target_archE910ELNS1_3gpuE8ELNS1_3repE0EEENS1_30default_config_static_selectorELNS0_4arch9wavefront6targetE0EEEvT1_.private_seg_size, 0
	.set _ZN7rocprim17ROCPRIM_400000_NS6detail17trampoline_kernelINS0_14default_configENS1_25transform_config_selectorImLb1EEEZNS1_14transform_implILb1ES3_S5_PmPlNS0_8identityIvEEEE10hipError_tT2_T3_mT4_P12ihipStream_tbEUlT_E_NS1_11comp_targetILNS1_3genE4ELNS1_11target_archE910ELNS1_3gpuE8ELNS1_3repE0EEENS1_30default_config_static_selectorELNS0_4arch9wavefront6targetE0EEEvT1_.uses_vcc, 0
	.set _ZN7rocprim17ROCPRIM_400000_NS6detail17trampoline_kernelINS0_14default_configENS1_25transform_config_selectorImLb1EEEZNS1_14transform_implILb1ES3_S5_PmPlNS0_8identityIvEEEE10hipError_tT2_T3_mT4_P12ihipStream_tbEUlT_E_NS1_11comp_targetILNS1_3genE4ELNS1_11target_archE910ELNS1_3gpuE8ELNS1_3repE0EEENS1_30default_config_static_selectorELNS0_4arch9wavefront6targetE0EEEvT1_.uses_flat_scratch, 0
	.set _ZN7rocprim17ROCPRIM_400000_NS6detail17trampoline_kernelINS0_14default_configENS1_25transform_config_selectorImLb1EEEZNS1_14transform_implILb1ES3_S5_PmPlNS0_8identityIvEEEE10hipError_tT2_T3_mT4_P12ihipStream_tbEUlT_E_NS1_11comp_targetILNS1_3genE4ELNS1_11target_archE910ELNS1_3gpuE8ELNS1_3repE0EEENS1_30default_config_static_selectorELNS0_4arch9wavefront6targetE0EEEvT1_.has_dyn_sized_stack, 0
	.set _ZN7rocprim17ROCPRIM_400000_NS6detail17trampoline_kernelINS0_14default_configENS1_25transform_config_selectorImLb1EEEZNS1_14transform_implILb1ES3_S5_PmPlNS0_8identityIvEEEE10hipError_tT2_T3_mT4_P12ihipStream_tbEUlT_E_NS1_11comp_targetILNS1_3genE4ELNS1_11target_archE910ELNS1_3gpuE8ELNS1_3repE0EEENS1_30default_config_static_selectorELNS0_4arch9wavefront6targetE0EEEvT1_.has_recursion, 0
	.set _ZN7rocprim17ROCPRIM_400000_NS6detail17trampoline_kernelINS0_14default_configENS1_25transform_config_selectorImLb1EEEZNS1_14transform_implILb1ES3_S5_PmPlNS0_8identityIvEEEE10hipError_tT2_T3_mT4_P12ihipStream_tbEUlT_E_NS1_11comp_targetILNS1_3genE4ELNS1_11target_archE910ELNS1_3gpuE8ELNS1_3repE0EEENS1_30default_config_static_selectorELNS0_4arch9wavefront6targetE0EEEvT1_.has_indirect_call, 0
	.section	.AMDGPU.csdata,"",@progbits
; Kernel info:
; codeLenInByte = 0
; TotalNumSgprs: 0
; NumVgprs: 0
; ScratchSize: 0
; MemoryBound: 0
; FloatMode: 240
; IeeeMode: 1
; LDSByteSize: 0 bytes/workgroup (compile time only)
; SGPRBlocks: 0
; VGPRBlocks: 0
; NumSGPRsForWavesPerEU: 1
; NumVGPRsForWavesPerEU: 1
; Occupancy: 16
; WaveLimiterHint : 0
; COMPUTE_PGM_RSRC2:SCRATCH_EN: 0
; COMPUTE_PGM_RSRC2:USER_SGPR: 2
; COMPUTE_PGM_RSRC2:TRAP_HANDLER: 0
; COMPUTE_PGM_RSRC2:TGID_X_EN: 1
; COMPUTE_PGM_RSRC2:TGID_Y_EN: 0
; COMPUTE_PGM_RSRC2:TGID_Z_EN: 0
; COMPUTE_PGM_RSRC2:TIDIG_COMP_CNT: 0
	.section	.text._ZN7rocprim17ROCPRIM_400000_NS6detail17trampoline_kernelINS0_14default_configENS1_25transform_config_selectorImLb1EEEZNS1_14transform_implILb1ES3_S5_PmPlNS0_8identityIvEEEE10hipError_tT2_T3_mT4_P12ihipStream_tbEUlT_E_NS1_11comp_targetILNS1_3genE3ELNS1_11target_archE908ELNS1_3gpuE7ELNS1_3repE0EEENS1_30default_config_static_selectorELNS0_4arch9wavefront6targetE0EEEvT1_,"axG",@progbits,_ZN7rocprim17ROCPRIM_400000_NS6detail17trampoline_kernelINS0_14default_configENS1_25transform_config_selectorImLb1EEEZNS1_14transform_implILb1ES3_S5_PmPlNS0_8identityIvEEEE10hipError_tT2_T3_mT4_P12ihipStream_tbEUlT_E_NS1_11comp_targetILNS1_3genE3ELNS1_11target_archE908ELNS1_3gpuE7ELNS1_3repE0EEENS1_30default_config_static_selectorELNS0_4arch9wavefront6targetE0EEEvT1_,comdat
	.protected	_ZN7rocprim17ROCPRIM_400000_NS6detail17trampoline_kernelINS0_14default_configENS1_25transform_config_selectorImLb1EEEZNS1_14transform_implILb1ES3_S5_PmPlNS0_8identityIvEEEE10hipError_tT2_T3_mT4_P12ihipStream_tbEUlT_E_NS1_11comp_targetILNS1_3genE3ELNS1_11target_archE908ELNS1_3gpuE7ELNS1_3repE0EEENS1_30default_config_static_selectorELNS0_4arch9wavefront6targetE0EEEvT1_ ; -- Begin function _ZN7rocprim17ROCPRIM_400000_NS6detail17trampoline_kernelINS0_14default_configENS1_25transform_config_selectorImLb1EEEZNS1_14transform_implILb1ES3_S5_PmPlNS0_8identityIvEEEE10hipError_tT2_T3_mT4_P12ihipStream_tbEUlT_E_NS1_11comp_targetILNS1_3genE3ELNS1_11target_archE908ELNS1_3gpuE7ELNS1_3repE0EEENS1_30default_config_static_selectorELNS0_4arch9wavefront6targetE0EEEvT1_
	.globl	_ZN7rocprim17ROCPRIM_400000_NS6detail17trampoline_kernelINS0_14default_configENS1_25transform_config_selectorImLb1EEEZNS1_14transform_implILb1ES3_S5_PmPlNS0_8identityIvEEEE10hipError_tT2_T3_mT4_P12ihipStream_tbEUlT_E_NS1_11comp_targetILNS1_3genE3ELNS1_11target_archE908ELNS1_3gpuE7ELNS1_3repE0EEENS1_30default_config_static_selectorELNS0_4arch9wavefront6targetE0EEEvT1_
	.p2align	8
	.type	_ZN7rocprim17ROCPRIM_400000_NS6detail17trampoline_kernelINS0_14default_configENS1_25transform_config_selectorImLb1EEEZNS1_14transform_implILb1ES3_S5_PmPlNS0_8identityIvEEEE10hipError_tT2_T3_mT4_P12ihipStream_tbEUlT_E_NS1_11comp_targetILNS1_3genE3ELNS1_11target_archE908ELNS1_3gpuE7ELNS1_3repE0EEENS1_30default_config_static_selectorELNS0_4arch9wavefront6targetE0EEEvT1_,@function
_ZN7rocprim17ROCPRIM_400000_NS6detail17trampoline_kernelINS0_14default_configENS1_25transform_config_selectorImLb1EEEZNS1_14transform_implILb1ES3_S5_PmPlNS0_8identityIvEEEE10hipError_tT2_T3_mT4_P12ihipStream_tbEUlT_E_NS1_11comp_targetILNS1_3genE3ELNS1_11target_archE908ELNS1_3gpuE7ELNS1_3repE0EEENS1_30default_config_static_selectorELNS0_4arch9wavefront6targetE0EEEvT1_: ; @_ZN7rocprim17ROCPRIM_400000_NS6detail17trampoline_kernelINS0_14default_configENS1_25transform_config_selectorImLb1EEEZNS1_14transform_implILb1ES3_S5_PmPlNS0_8identityIvEEEE10hipError_tT2_T3_mT4_P12ihipStream_tbEUlT_E_NS1_11comp_targetILNS1_3genE3ELNS1_11target_archE908ELNS1_3gpuE7ELNS1_3repE0EEENS1_30default_config_static_selectorELNS0_4arch9wavefront6targetE0EEEvT1_
; %bb.0:
	.section	.rodata,"a",@progbits
	.p2align	6, 0x0
	.amdhsa_kernel _ZN7rocprim17ROCPRIM_400000_NS6detail17trampoline_kernelINS0_14default_configENS1_25transform_config_selectorImLb1EEEZNS1_14transform_implILb1ES3_S5_PmPlNS0_8identityIvEEEE10hipError_tT2_T3_mT4_P12ihipStream_tbEUlT_E_NS1_11comp_targetILNS1_3genE3ELNS1_11target_archE908ELNS1_3gpuE7ELNS1_3repE0EEENS1_30default_config_static_selectorELNS0_4arch9wavefront6targetE0EEEvT1_
		.amdhsa_group_segment_fixed_size 0
		.amdhsa_private_segment_fixed_size 0
		.amdhsa_kernarg_size 40
		.amdhsa_user_sgpr_count 2
		.amdhsa_user_sgpr_dispatch_ptr 0
		.amdhsa_user_sgpr_queue_ptr 0
		.amdhsa_user_sgpr_kernarg_segment_ptr 1
		.amdhsa_user_sgpr_dispatch_id 0
		.amdhsa_user_sgpr_private_segment_size 0
		.amdhsa_wavefront_size32 1
		.amdhsa_uses_dynamic_stack 0
		.amdhsa_enable_private_segment 0
		.amdhsa_system_sgpr_workgroup_id_x 1
		.amdhsa_system_sgpr_workgroup_id_y 0
		.amdhsa_system_sgpr_workgroup_id_z 0
		.amdhsa_system_sgpr_workgroup_info 0
		.amdhsa_system_vgpr_workitem_id 0
		.amdhsa_next_free_vgpr 1
		.amdhsa_next_free_sgpr 1
		.amdhsa_reserve_vcc 0
		.amdhsa_float_round_mode_32 0
		.amdhsa_float_round_mode_16_64 0
		.amdhsa_float_denorm_mode_32 3
		.amdhsa_float_denorm_mode_16_64 3
		.amdhsa_fp16_overflow 0
		.amdhsa_workgroup_processor_mode 1
		.amdhsa_memory_ordered 1
		.amdhsa_forward_progress 1
		.amdhsa_inst_pref_size 0
		.amdhsa_round_robin_scheduling 0
		.amdhsa_exception_fp_ieee_invalid_op 0
		.amdhsa_exception_fp_denorm_src 0
		.amdhsa_exception_fp_ieee_div_zero 0
		.amdhsa_exception_fp_ieee_overflow 0
		.amdhsa_exception_fp_ieee_underflow 0
		.amdhsa_exception_fp_ieee_inexact 0
		.amdhsa_exception_int_div_zero 0
	.end_amdhsa_kernel
	.section	.text._ZN7rocprim17ROCPRIM_400000_NS6detail17trampoline_kernelINS0_14default_configENS1_25transform_config_selectorImLb1EEEZNS1_14transform_implILb1ES3_S5_PmPlNS0_8identityIvEEEE10hipError_tT2_T3_mT4_P12ihipStream_tbEUlT_E_NS1_11comp_targetILNS1_3genE3ELNS1_11target_archE908ELNS1_3gpuE7ELNS1_3repE0EEENS1_30default_config_static_selectorELNS0_4arch9wavefront6targetE0EEEvT1_,"axG",@progbits,_ZN7rocprim17ROCPRIM_400000_NS6detail17trampoline_kernelINS0_14default_configENS1_25transform_config_selectorImLb1EEEZNS1_14transform_implILb1ES3_S5_PmPlNS0_8identityIvEEEE10hipError_tT2_T3_mT4_P12ihipStream_tbEUlT_E_NS1_11comp_targetILNS1_3genE3ELNS1_11target_archE908ELNS1_3gpuE7ELNS1_3repE0EEENS1_30default_config_static_selectorELNS0_4arch9wavefront6targetE0EEEvT1_,comdat
.Lfunc_end15:
	.size	_ZN7rocprim17ROCPRIM_400000_NS6detail17trampoline_kernelINS0_14default_configENS1_25transform_config_selectorImLb1EEEZNS1_14transform_implILb1ES3_S5_PmPlNS0_8identityIvEEEE10hipError_tT2_T3_mT4_P12ihipStream_tbEUlT_E_NS1_11comp_targetILNS1_3genE3ELNS1_11target_archE908ELNS1_3gpuE7ELNS1_3repE0EEENS1_30default_config_static_selectorELNS0_4arch9wavefront6targetE0EEEvT1_, .Lfunc_end15-_ZN7rocprim17ROCPRIM_400000_NS6detail17trampoline_kernelINS0_14default_configENS1_25transform_config_selectorImLb1EEEZNS1_14transform_implILb1ES3_S5_PmPlNS0_8identityIvEEEE10hipError_tT2_T3_mT4_P12ihipStream_tbEUlT_E_NS1_11comp_targetILNS1_3genE3ELNS1_11target_archE908ELNS1_3gpuE7ELNS1_3repE0EEENS1_30default_config_static_selectorELNS0_4arch9wavefront6targetE0EEEvT1_
                                        ; -- End function
	.set _ZN7rocprim17ROCPRIM_400000_NS6detail17trampoline_kernelINS0_14default_configENS1_25transform_config_selectorImLb1EEEZNS1_14transform_implILb1ES3_S5_PmPlNS0_8identityIvEEEE10hipError_tT2_T3_mT4_P12ihipStream_tbEUlT_E_NS1_11comp_targetILNS1_3genE3ELNS1_11target_archE908ELNS1_3gpuE7ELNS1_3repE0EEENS1_30default_config_static_selectorELNS0_4arch9wavefront6targetE0EEEvT1_.num_vgpr, 0
	.set _ZN7rocprim17ROCPRIM_400000_NS6detail17trampoline_kernelINS0_14default_configENS1_25transform_config_selectorImLb1EEEZNS1_14transform_implILb1ES3_S5_PmPlNS0_8identityIvEEEE10hipError_tT2_T3_mT4_P12ihipStream_tbEUlT_E_NS1_11comp_targetILNS1_3genE3ELNS1_11target_archE908ELNS1_3gpuE7ELNS1_3repE0EEENS1_30default_config_static_selectorELNS0_4arch9wavefront6targetE0EEEvT1_.num_agpr, 0
	.set _ZN7rocprim17ROCPRIM_400000_NS6detail17trampoline_kernelINS0_14default_configENS1_25transform_config_selectorImLb1EEEZNS1_14transform_implILb1ES3_S5_PmPlNS0_8identityIvEEEE10hipError_tT2_T3_mT4_P12ihipStream_tbEUlT_E_NS1_11comp_targetILNS1_3genE3ELNS1_11target_archE908ELNS1_3gpuE7ELNS1_3repE0EEENS1_30default_config_static_selectorELNS0_4arch9wavefront6targetE0EEEvT1_.numbered_sgpr, 0
	.set _ZN7rocprim17ROCPRIM_400000_NS6detail17trampoline_kernelINS0_14default_configENS1_25transform_config_selectorImLb1EEEZNS1_14transform_implILb1ES3_S5_PmPlNS0_8identityIvEEEE10hipError_tT2_T3_mT4_P12ihipStream_tbEUlT_E_NS1_11comp_targetILNS1_3genE3ELNS1_11target_archE908ELNS1_3gpuE7ELNS1_3repE0EEENS1_30default_config_static_selectorELNS0_4arch9wavefront6targetE0EEEvT1_.num_named_barrier, 0
	.set _ZN7rocprim17ROCPRIM_400000_NS6detail17trampoline_kernelINS0_14default_configENS1_25transform_config_selectorImLb1EEEZNS1_14transform_implILb1ES3_S5_PmPlNS0_8identityIvEEEE10hipError_tT2_T3_mT4_P12ihipStream_tbEUlT_E_NS1_11comp_targetILNS1_3genE3ELNS1_11target_archE908ELNS1_3gpuE7ELNS1_3repE0EEENS1_30default_config_static_selectorELNS0_4arch9wavefront6targetE0EEEvT1_.private_seg_size, 0
	.set _ZN7rocprim17ROCPRIM_400000_NS6detail17trampoline_kernelINS0_14default_configENS1_25transform_config_selectorImLb1EEEZNS1_14transform_implILb1ES3_S5_PmPlNS0_8identityIvEEEE10hipError_tT2_T3_mT4_P12ihipStream_tbEUlT_E_NS1_11comp_targetILNS1_3genE3ELNS1_11target_archE908ELNS1_3gpuE7ELNS1_3repE0EEENS1_30default_config_static_selectorELNS0_4arch9wavefront6targetE0EEEvT1_.uses_vcc, 0
	.set _ZN7rocprim17ROCPRIM_400000_NS6detail17trampoline_kernelINS0_14default_configENS1_25transform_config_selectorImLb1EEEZNS1_14transform_implILb1ES3_S5_PmPlNS0_8identityIvEEEE10hipError_tT2_T3_mT4_P12ihipStream_tbEUlT_E_NS1_11comp_targetILNS1_3genE3ELNS1_11target_archE908ELNS1_3gpuE7ELNS1_3repE0EEENS1_30default_config_static_selectorELNS0_4arch9wavefront6targetE0EEEvT1_.uses_flat_scratch, 0
	.set _ZN7rocprim17ROCPRIM_400000_NS6detail17trampoline_kernelINS0_14default_configENS1_25transform_config_selectorImLb1EEEZNS1_14transform_implILb1ES3_S5_PmPlNS0_8identityIvEEEE10hipError_tT2_T3_mT4_P12ihipStream_tbEUlT_E_NS1_11comp_targetILNS1_3genE3ELNS1_11target_archE908ELNS1_3gpuE7ELNS1_3repE0EEENS1_30default_config_static_selectorELNS0_4arch9wavefront6targetE0EEEvT1_.has_dyn_sized_stack, 0
	.set _ZN7rocprim17ROCPRIM_400000_NS6detail17trampoline_kernelINS0_14default_configENS1_25transform_config_selectorImLb1EEEZNS1_14transform_implILb1ES3_S5_PmPlNS0_8identityIvEEEE10hipError_tT2_T3_mT4_P12ihipStream_tbEUlT_E_NS1_11comp_targetILNS1_3genE3ELNS1_11target_archE908ELNS1_3gpuE7ELNS1_3repE0EEENS1_30default_config_static_selectorELNS0_4arch9wavefront6targetE0EEEvT1_.has_recursion, 0
	.set _ZN7rocprim17ROCPRIM_400000_NS6detail17trampoline_kernelINS0_14default_configENS1_25transform_config_selectorImLb1EEEZNS1_14transform_implILb1ES3_S5_PmPlNS0_8identityIvEEEE10hipError_tT2_T3_mT4_P12ihipStream_tbEUlT_E_NS1_11comp_targetILNS1_3genE3ELNS1_11target_archE908ELNS1_3gpuE7ELNS1_3repE0EEENS1_30default_config_static_selectorELNS0_4arch9wavefront6targetE0EEEvT1_.has_indirect_call, 0
	.section	.AMDGPU.csdata,"",@progbits
; Kernel info:
; codeLenInByte = 0
; TotalNumSgprs: 0
; NumVgprs: 0
; ScratchSize: 0
; MemoryBound: 0
; FloatMode: 240
; IeeeMode: 1
; LDSByteSize: 0 bytes/workgroup (compile time only)
; SGPRBlocks: 0
; VGPRBlocks: 0
; NumSGPRsForWavesPerEU: 1
; NumVGPRsForWavesPerEU: 1
; Occupancy: 16
; WaveLimiterHint : 0
; COMPUTE_PGM_RSRC2:SCRATCH_EN: 0
; COMPUTE_PGM_RSRC2:USER_SGPR: 2
; COMPUTE_PGM_RSRC2:TRAP_HANDLER: 0
; COMPUTE_PGM_RSRC2:TGID_X_EN: 1
; COMPUTE_PGM_RSRC2:TGID_Y_EN: 0
; COMPUTE_PGM_RSRC2:TGID_Z_EN: 0
; COMPUTE_PGM_RSRC2:TIDIG_COMP_CNT: 0
	.section	.text._ZN7rocprim17ROCPRIM_400000_NS6detail17trampoline_kernelINS0_14default_configENS1_25transform_config_selectorImLb1EEEZNS1_14transform_implILb1ES3_S5_PmPlNS0_8identityIvEEEE10hipError_tT2_T3_mT4_P12ihipStream_tbEUlT_E_NS1_11comp_targetILNS1_3genE2ELNS1_11target_archE906ELNS1_3gpuE6ELNS1_3repE0EEENS1_30default_config_static_selectorELNS0_4arch9wavefront6targetE0EEEvT1_,"axG",@progbits,_ZN7rocprim17ROCPRIM_400000_NS6detail17trampoline_kernelINS0_14default_configENS1_25transform_config_selectorImLb1EEEZNS1_14transform_implILb1ES3_S5_PmPlNS0_8identityIvEEEE10hipError_tT2_T3_mT4_P12ihipStream_tbEUlT_E_NS1_11comp_targetILNS1_3genE2ELNS1_11target_archE906ELNS1_3gpuE6ELNS1_3repE0EEENS1_30default_config_static_selectorELNS0_4arch9wavefront6targetE0EEEvT1_,comdat
	.protected	_ZN7rocprim17ROCPRIM_400000_NS6detail17trampoline_kernelINS0_14default_configENS1_25transform_config_selectorImLb1EEEZNS1_14transform_implILb1ES3_S5_PmPlNS0_8identityIvEEEE10hipError_tT2_T3_mT4_P12ihipStream_tbEUlT_E_NS1_11comp_targetILNS1_3genE2ELNS1_11target_archE906ELNS1_3gpuE6ELNS1_3repE0EEENS1_30default_config_static_selectorELNS0_4arch9wavefront6targetE0EEEvT1_ ; -- Begin function _ZN7rocprim17ROCPRIM_400000_NS6detail17trampoline_kernelINS0_14default_configENS1_25transform_config_selectorImLb1EEEZNS1_14transform_implILb1ES3_S5_PmPlNS0_8identityIvEEEE10hipError_tT2_T3_mT4_P12ihipStream_tbEUlT_E_NS1_11comp_targetILNS1_3genE2ELNS1_11target_archE906ELNS1_3gpuE6ELNS1_3repE0EEENS1_30default_config_static_selectorELNS0_4arch9wavefront6targetE0EEEvT1_
	.globl	_ZN7rocprim17ROCPRIM_400000_NS6detail17trampoline_kernelINS0_14default_configENS1_25transform_config_selectorImLb1EEEZNS1_14transform_implILb1ES3_S5_PmPlNS0_8identityIvEEEE10hipError_tT2_T3_mT4_P12ihipStream_tbEUlT_E_NS1_11comp_targetILNS1_3genE2ELNS1_11target_archE906ELNS1_3gpuE6ELNS1_3repE0EEENS1_30default_config_static_selectorELNS0_4arch9wavefront6targetE0EEEvT1_
	.p2align	8
	.type	_ZN7rocprim17ROCPRIM_400000_NS6detail17trampoline_kernelINS0_14default_configENS1_25transform_config_selectorImLb1EEEZNS1_14transform_implILb1ES3_S5_PmPlNS0_8identityIvEEEE10hipError_tT2_T3_mT4_P12ihipStream_tbEUlT_E_NS1_11comp_targetILNS1_3genE2ELNS1_11target_archE906ELNS1_3gpuE6ELNS1_3repE0EEENS1_30default_config_static_selectorELNS0_4arch9wavefront6targetE0EEEvT1_,@function
_ZN7rocprim17ROCPRIM_400000_NS6detail17trampoline_kernelINS0_14default_configENS1_25transform_config_selectorImLb1EEEZNS1_14transform_implILb1ES3_S5_PmPlNS0_8identityIvEEEE10hipError_tT2_T3_mT4_P12ihipStream_tbEUlT_E_NS1_11comp_targetILNS1_3genE2ELNS1_11target_archE906ELNS1_3gpuE6ELNS1_3repE0EEENS1_30default_config_static_selectorELNS0_4arch9wavefront6targetE0EEEvT1_: ; @_ZN7rocprim17ROCPRIM_400000_NS6detail17trampoline_kernelINS0_14default_configENS1_25transform_config_selectorImLb1EEEZNS1_14transform_implILb1ES3_S5_PmPlNS0_8identityIvEEEE10hipError_tT2_T3_mT4_P12ihipStream_tbEUlT_E_NS1_11comp_targetILNS1_3genE2ELNS1_11target_archE906ELNS1_3gpuE6ELNS1_3repE0EEENS1_30default_config_static_selectorELNS0_4arch9wavefront6targetE0EEEvT1_
; %bb.0:
	.section	.rodata,"a",@progbits
	.p2align	6, 0x0
	.amdhsa_kernel _ZN7rocprim17ROCPRIM_400000_NS6detail17trampoline_kernelINS0_14default_configENS1_25transform_config_selectorImLb1EEEZNS1_14transform_implILb1ES3_S5_PmPlNS0_8identityIvEEEE10hipError_tT2_T3_mT4_P12ihipStream_tbEUlT_E_NS1_11comp_targetILNS1_3genE2ELNS1_11target_archE906ELNS1_3gpuE6ELNS1_3repE0EEENS1_30default_config_static_selectorELNS0_4arch9wavefront6targetE0EEEvT1_
		.amdhsa_group_segment_fixed_size 0
		.amdhsa_private_segment_fixed_size 0
		.amdhsa_kernarg_size 40
		.amdhsa_user_sgpr_count 2
		.amdhsa_user_sgpr_dispatch_ptr 0
		.amdhsa_user_sgpr_queue_ptr 0
		.amdhsa_user_sgpr_kernarg_segment_ptr 1
		.amdhsa_user_sgpr_dispatch_id 0
		.amdhsa_user_sgpr_private_segment_size 0
		.amdhsa_wavefront_size32 1
		.amdhsa_uses_dynamic_stack 0
		.amdhsa_enable_private_segment 0
		.amdhsa_system_sgpr_workgroup_id_x 1
		.amdhsa_system_sgpr_workgroup_id_y 0
		.amdhsa_system_sgpr_workgroup_id_z 0
		.amdhsa_system_sgpr_workgroup_info 0
		.amdhsa_system_vgpr_workitem_id 0
		.amdhsa_next_free_vgpr 1
		.amdhsa_next_free_sgpr 1
		.amdhsa_reserve_vcc 0
		.amdhsa_float_round_mode_32 0
		.amdhsa_float_round_mode_16_64 0
		.amdhsa_float_denorm_mode_32 3
		.amdhsa_float_denorm_mode_16_64 3
		.amdhsa_fp16_overflow 0
		.amdhsa_workgroup_processor_mode 1
		.amdhsa_memory_ordered 1
		.amdhsa_forward_progress 1
		.amdhsa_inst_pref_size 0
		.amdhsa_round_robin_scheduling 0
		.amdhsa_exception_fp_ieee_invalid_op 0
		.amdhsa_exception_fp_denorm_src 0
		.amdhsa_exception_fp_ieee_div_zero 0
		.amdhsa_exception_fp_ieee_overflow 0
		.amdhsa_exception_fp_ieee_underflow 0
		.amdhsa_exception_fp_ieee_inexact 0
		.amdhsa_exception_int_div_zero 0
	.end_amdhsa_kernel
	.section	.text._ZN7rocprim17ROCPRIM_400000_NS6detail17trampoline_kernelINS0_14default_configENS1_25transform_config_selectorImLb1EEEZNS1_14transform_implILb1ES3_S5_PmPlNS0_8identityIvEEEE10hipError_tT2_T3_mT4_P12ihipStream_tbEUlT_E_NS1_11comp_targetILNS1_3genE2ELNS1_11target_archE906ELNS1_3gpuE6ELNS1_3repE0EEENS1_30default_config_static_selectorELNS0_4arch9wavefront6targetE0EEEvT1_,"axG",@progbits,_ZN7rocprim17ROCPRIM_400000_NS6detail17trampoline_kernelINS0_14default_configENS1_25transform_config_selectorImLb1EEEZNS1_14transform_implILb1ES3_S5_PmPlNS0_8identityIvEEEE10hipError_tT2_T3_mT4_P12ihipStream_tbEUlT_E_NS1_11comp_targetILNS1_3genE2ELNS1_11target_archE906ELNS1_3gpuE6ELNS1_3repE0EEENS1_30default_config_static_selectorELNS0_4arch9wavefront6targetE0EEEvT1_,comdat
.Lfunc_end16:
	.size	_ZN7rocprim17ROCPRIM_400000_NS6detail17trampoline_kernelINS0_14default_configENS1_25transform_config_selectorImLb1EEEZNS1_14transform_implILb1ES3_S5_PmPlNS0_8identityIvEEEE10hipError_tT2_T3_mT4_P12ihipStream_tbEUlT_E_NS1_11comp_targetILNS1_3genE2ELNS1_11target_archE906ELNS1_3gpuE6ELNS1_3repE0EEENS1_30default_config_static_selectorELNS0_4arch9wavefront6targetE0EEEvT1_, .Lfunc_end16-_ZN7rocprim17ROCPRIM_400000_NS6detail17trampoline_kernelINS0_14default_configENS1_25transform_config_selectorImLb1EEEZNS1_14transform_implILb1ES3_S5_PmPlNS0_8identityIvEEEE10hipError_tT2_T3_mT4_P12ihipStream_tbEUlT_E_NS1_11comp_targetILNS1_3genE2ELNS1_11target_archE906ELNS1_3gpuE6ELNS1_3repE0EEENS1_30default_config_static_selectorELNS0_4arch9wavefront6targetE0EEEvT1_
                                        ; -- End function
	.set _ZN7rocprim17ROCPRIM_400000_NS6detail17trampoline_kernelINS0_14default_configENS1_25transform_config_selectorImLb1EEEZNS1_14transform_implILb1ES3_S5_PmPlNS0_8identityIvEEEE10hipError_tT2_T3_mT4_P12ihipStream_tbEUlT_E_NS1_11comp_targetILNS1_3genE2ELNS1_11target_archE906ELNS1_3gpuE6ELNS1_3repE0EEENS1_30default_config_static_selectorELNS0_4arch9wavefront6targetE0EEEvT1_.num_vgpr, 0
	.set _ZN7rocprim17ROCPRIM_400000_NS6detail17trampoline_kernelINS0_14default_configENS1_25transform_config_selectorImLb1EEEZNS1_14transform_implILb1ES3_S5_PmPlNS0_8identityIvEEEE10hipError_tT2_T3_mT4_P12ihipStream_tbEUlT_E_NS1_11comp_targetILNS1_3genE2ELNS1_11target_archE906ELNS1_3gpuE6ELNS1_3repE0EEENS1_30default_config_static_selectorELNS0_4arch9wavefront6targetE0EEEvT1_.num_agpr, 0
	.set _ZN7rocprim17ROCPRIM_400000_NS6detail17trampoline_kernelINS0_14default_configENS1_25transform_config_selectorImLb1EEEZNS1_14transform_implILb1ES3_S5_PmPlNS0_8identityIvEEEE10hipError_tT2_T3_mT4_P12ihipStream_tbEUlT_E_NS1_11comp_targetILNS1_3genE2ELNS1_11target_archE906ELNS1_3gpuE6ELNS1_3repE0EEENS1_30default_config_static_selectorELNS0_4arch9wavefront6targetE0EEEvT1_.numbered_sgpr, 0
	.set _ZN7rocprim17ROCPRIM_400000_NS6detail17trampoline_kernelINS0_14default_configENS1_25transform_config_selectorImLb1EEEZNS1_14transform_implILb1ES3_S5_PmPlNS0_8identityIvEEEE10hipError_tT2_T3_mT4_P12ihipStream_tbEUlT_E_NS1_11comp_targetILNS1_3genE2ELNS1_11target_archE906ELNS1_3gpuE6ELNS1_3repE0EEENS1_30default_config_static_selectorELNS0_4arch9wavefront6targetE0EEEvT1_.num_named_barrier, 0
	.set _ZN7rocprim17ROCPRIM_400000_NS6detail17trampoline_kernelINS0_14default_configENS1_25transform_config_selectorImLb1EEEZNS1_14transform_implILb1ES3_S5_PmPlNS0_8identityIvEEEE10hipError_tT2_T3_mT4_P12ihipStream_tbEUlT_E_NS1_11comp_targetILNS1_3genE2ELNS1_11target_archE906ELNS1_3gpuE6ELNS1_3repE0EEENS1_30default_config_static_selectorELNS0_4arch9wavefront6targetE0EEEvT1_.private_seg_size, 0
	.set _ZN7rocprim17ROCPRIM_400000_NS6detail17trampoline_kernelINS0_14default_configENS1_25transform_config_selectorImLb1EEEZNS1_14transform_implILb1ES3_S5_PmPlNS0_8identityIvEEEE10hipError_tT2_T3_mT4_P12ihipStream_tbEUlT_E_NS1_11comp_targetILNS1_3genE2ELNS1_11target_archE906ELNS1_3gpuE6ELNS1_3repE0EEENS1_30default_config_static_selectorELNS0_4arch9wavefront6targetE0EEEvT1_.uses_vcc, 0
	.set _ZN7rocprim17ROCPRIM_400000_NS6detail17trampoline_kernelINS0_14default_configENS1_25transform_config_selectorImLb1EEEZNS1_14transform_implILb1ES3_S5_PmPlNS0_8identityIvEEEE10hipError_tT2_T3_mT4_P12ihipStream_tbEUlT_E_NS1_11comp_targetILNS1_3genE2ELNS1_11target_archE906ELNS1_3gpuE6ELNS1_3repE0EEENS1_30default_config_static_selectorELNS0_4arch9wavefront6targetE0EEEvT1_.uses_flat_scratch, 0
	.set _ZN7rocprim17ROCPRIM_400000_NS6detail17trampoline_kernelINS0_14default_configENS1_25transform_config_selectorImLb1EEEZNS1_14transform_implILb1ES3_S5_PmPlNS0_8identityIvEEEE10hipError_tT2_T3_mT4_P12ihipStream_tbEUlT_E_NS1_11comp_targetILNS1_3genE2ELNS1_11target_archE906ELNS1_3gpuE6ELNS1_3repE0EEENS1_30default_config_static_selectorELNS0_4arch9wavefront6targetE0EEEvT1_.has_dyn_sized_stack, 0
	.set _ZN7rocprim17ROCPRIM_400000_NS6detail17trampoline_kernelINS0_14default_configENS1_25transform_config_selectorImLb1EEEZNS1_14transform_implILb1ES3_S5_PmPlNS0_8identityIvEEEE10hipError_tT2_T3_mT4_P12ihipStream_tbEUlT_E_NS1_11comp_targetILNS1_3genE2ELNS1_11target_archE906ELNS1_3gpuE6ELNS1_3repE0EEENS1_30default_config_static_selectorELNS0_4arch9wavefront6targetE0EEEvT1_.has_recursion, 0
	.set _ZN7rocprim17ROCPRIM_400000_NS6detail17trampoline_kernelINS0_14default_configENS1_25transform_config_selectorImLb1EEEZNS1_14transform_implILb1ES3_S5_PmPlNS0_8identityIvEEEE10hipError_tT2_T3_mT4_P12ihipStream_tbEUlT_E_NS1_11comp_targetILNS1_3genE2ELNS1_11target_archE906ELNS1_3gpuE6ELNS1_3repE0EEENS1_30default_config_static_selectorELNS0_4arch9wavefront6targetE0EEEvT1_.has_indirect_call, 0
	.section	.AMDGPU.csdata,"",@progbits
; Kernel info:
; codeLenInByte = 0
; TotalNumSgprs: 0
; NumVgprs: 0
; ScratchSize: 0
; MemoryBound: 0
; FloatMode: 240
; IeeeMode: 1
; LDSByteSize: 0 bytes/workgroup (compile time only)
; SGPRBlocks: 0
; VGPRBlocks: 0
; NumSGPRsForWavesPerEU: 1
; NumVGPRsForWavesPerEU: 1
; Occupancy: 16
; WaveLimiterHint : 0
; COMPUTE_PGM_RSRC2:SCRATCH_EN: 0
; COMPUTE_PGM_RSRC2:USER_SGPR: 2
; COMPUTE_PGM_RSRC2:TRAP_HANDLER: 0
; COMPUTE_PGM_RSRC2:TGID_X_EN: 1
; COMPUTE_PGM_RSRC2:TGID_Y_EN: 0
; COMPUTE_PGM_RSRC2:TGID_Z_EN: 0
; COMPUTE_PGM_RSRC2:TIDIG_COMP_CNT: 0
	.section	.text._ZN7rocprim17ROCPRIM_400000_NS6detail17trampoline_kernelINS0_14default_configENS1_25transform_config_selectorImLb1EEEZNS1_14transform_implILb1ES3_S5_PmPlNS0_8identityIvEEEE10hipError_tT2_T3_mT4_P12ihipStream_tbEUlT_E_NS1_11comp_targetILNS1_3genE9ELNS1_11target_archE1100ELNS1_3gpuE3ELNS1_3repE0EEENS1_30default_config_static_selectorELNS0_4arch9wavefront6targetE0EEEvT1_,"axG",@progbits,_ZN7rocprim17ROCPRIM_400000_NS6detail17trampoline_kernelINS0_14default_configENS1_25transform_config_selectorImLb1EEEZNS1_14transform_implILb1ES3_S5_PmPlNS0_8identityIvEEEE10hipError_tT2_T3_mT4_P12ihipStream_tbEUlT_E_NS1_11comp_targetILNS1_3genE9ELNS1_11target_archE1100ELNS1_3gpuE3ELNS1_3repE0EEENS1_30default_config_static_selectorELNS0_4arch9wavefront6targetE0EEEvT1_,comdat
	.protected	_ZN7rocprim17ROCPRIM_400000_NS6detail17trampoline_kernelINS0_14default_configENS1_25transform_config_selectorImLb1EEEZNS1_14transform_implILb1ES3_S5_PmPlNS0_8identityIvEEEE10hipError_tT2_T3_mT4_P12ihipStream_tbEUlT_E_NS1_11comp_targetILNS1_3genE9ELNS1_11target_archE1100ELNS1_3gpuE3ELNS1_3repE0EEENS1_30default_config_static_selectorELNS0_4arch9wavefront6targetE0EEEvT1_ ; -- Begin function _ZN7rocprim17ROCPRIM_400000_NS6detail17trampoline_kernelINS0_14default_configENS1_25transform_config_selectorImLb1EEEZNS1_14transform_implILb1ES3_S5_PmPlNS0_8identityIvEEEE10hipError_tT2_T3_mT4_P12ihipStream_tbEUlT_E_NS1_11comp_targetILNS1_3genE9ELNS1_11target_archE1100ELNS1_3gpuE3ELNS1_3repE0EEENS1_30default_config_static_selectorELNS0_4arch9wavefront6targetE0EEEvT1_
	.globl	_ZN7rocprim17ROCPRIM_400000_NS6detail17trampoline_kernelINS0_14default_configENS1_25transform_config_selectorImLb1EEEZNS1_14transform_implILb1ES3_S5_PmPlNS0_8identityIvEEEE10hipError_tT2_T3_mT4_P12ihipStream_tbEUlT_E_NS1_11comp_targetILNS1_3genE9ELNS1_11target_archE1100ELNS1_3gpuE3ELNS1_3repE0EEENS1_30default_config_static_selectorELNS0_4arch9wavefront6targetE0EEEvT1_
	.p2align	8
	.type	_ZN7rocprim17ROCPRIM_400000_NS6detail17trampoline_kernelINS0_14default_configENS1_25transform_config_selectorImLb1EEEZNS1_14transform_implILb1ES3_S5_PmPlNS0_8identityIvEEEE10hipError_tT2_T3_mT4_P12ihipStream_tbEUlT_E_NS1_11comp_targetILNS1_3genE9ELNS1_11target_archE1100ELNS1_3gpuE3ELNS1_3repE0EEENS1_30default_config_static_selectorELNS0_4arch9wavefront6targetE0EEEvT1_,@function
_ZN7rocprim17ROCPRIM_400000_NS6detail17trampoline_kernelINS0_14default_configENS1_25transform_config_selectorImLb1EEEZNS1_14transform_implILb1ES3_S5_PmPlNS0_8identityIvEEEE10hipError_tT2_T3_mT4_P12ihipStream_tbEUlT_E_NS1_11comp_targetILNS1_3genE9ELNS1_11target_archE1100ELNS1_3gpuE3ELNS1_3repE0EEENS1_30default_config_static_selectorELNS0_4arch9wavefront6targetE0EEEvT1_: ; @_ZN7rocprim17ROCPRIM_400000_NS6detail17trampoline_kernelINS0_14default_configENS1_25transform_config_selectorImLb1EEEZNS1_14transform_implILb1ES3_S5_PmPlNS0_8identityIvEEEE10hipError_tT2_T3_mT4_P12ihipStream_tbEUlT_E_NS1_11comp_targetILNS1_3genE9ELNS1_11target_archE1100ELNS1_3gpuE3ELNS1_3repE0EEENS1_30default_config_static_selectorELNS0_4arch9wavefront6targetE0EEEvT1_
; %bb.0:
	.section	.rodata,"a",@progbits
	.p2align	6, 0x0
	.amdhsa_kernel _ZN7rocprim17ROCPRIM_400000_NS6detail17trampoline_kernelINS0_14default_configENS1_25transform_config_selectorImLb1EEEZNS1_14transform_implILb1ES3_S5_PmPlNS0_8identityIvEEEE10hipError_tT2_T3_mT4_P12ihipStream_tbEUlT_E_NS1_11comp_targetILNS1_3genE9ELNS1_11target_archE1100ELNS1_3gpuE3ELNS1_3repE0EEENS1_30default_config_static_selectorELNS0_4arch9wavefront6targetE0EEEvT1_
		.amdhsa_group_segment_fixed_size 0
		.amdhsa_private_segment_fixed_size 0
		.amdhsa_kernarg_size 40
		.amdhsa_user_sgpr_count 2
		.amdhsa_user_sgpr_dispatch_ptr 0
		.amdhsa_user_sgpr_queue_ptr 0
		.amdhsa_user_sgpr_kernarg_segment_ptr 1
		.amdhsa_user_sgpr_dispatch_id 0
		.amdhsa_user_sgpr_private_segment_size 0
		.amdhsa_wavefront_size32 1
		.amdhsa_uses_dynamic_stack 0
		.amdhsa_enable_private_segment 0
		.amdhsa_system_sgpr_workgroup_id_x 1
		.amdhsa_system_sgpr_workgroup_id_y 0
		.amdhsa_system_sgpr_workgroup_id_z 0
		.amdhsa_system_sgpr_workgroup_info 0
		.amdhsa_system_vgpr_workitem_id 0
		.amdhsa_next_free_vgpr 1
		.amdhsa_next_free_sgpr 1
		.amdhsa_reserve_vcc 0
		.amdhsa_float_round_mode_32 0
		.amdhsa_float_round_mode_16_64 0
		.amdhsa_float_denorm_mode_32 3
		.amdhsa_float_denorm_mode_16_64 3
		.amdhsa_fp16_overflow 0
		.amdhsa_workgroup_processor_mode 1
		.amdhsa_memory_ordered 1
		.amdhsa_forward_progress 1
		.amdhsa_inst_pref_size 0
		.amdhsa_round_robin_scheduling 0
		.amdhsa_exception_fp_ieee_invalid_op 0
		.amdhsa_exception_fp_denorm_src 0
		.amdhsa_exception_fp_ieee_div_zero 0
		.amdhsa_exception_fp_ieee_overflow 0
		.amdhsa_exception_fp_ieee_underflow 0
		.amdhsa_exception_fp_ieee_inexact 0
		.amdhsa_exception_int_div_zero 0
	.end_amdhsa_kernel
	.section	.text._ZN7rocprim17ROCPRIM_400000_NS6detail17trampoline_kernelINS0_14default_configENS1_25transform_config_selectorImLb1EEEZNS1_14transform_implILb1ES3_S5_PmPlNS0_8identityIvEEEE10hipError_tT2_T3_mT4_P12ihipStream_tbEUlT_E_NS1_11comp_targetILNS1_3genE9ELNS1_11target_archE1100ELNS1_3gpuE3ELNS1_3repE0EEENS1_30default_config_static_selectorELNS0_4arch9wavefront6targetE0EEEvT1_,"axG",@progbits,_ZN7rocprim17ROCPRIM_400000_NS6detail17trampoline_kernelINS0_14default_configENS1_25transform_config_selectorImLb1EEEZNS1_14transform_implILb1ES3_S5_PmPlNS0_8identityIvEEEE10hipError_tT2_T3_mT4_P12ihipStream_tbEUlT_E_NS1_11comp_targetILNS1_3genE9ELNS1_11target_archE1100ELNS1_3gpuE3ELNS1_3repE0EEENS1_30default_config_static_selectorELNS0_4arch9wavefront6targetE0EEEvT1_,comdat
.Lfunc_end17:
	.size	_ZN7rocprim17ROCPRIM_400000_NS6detail17trampoline_kernelINS0_14default_configENS1_25transform_config_selectorImLb1EEEZNS1_14transform_implILb1ES3_S5_PmPlNS0_8identityIvEEEE10hipError_tT2_T3_mT4_P12ihipStream_tbEUlT_E_NS1_11comp_targetILNS1_3genE9ELNS1_11target_archE1100ELNS1_3gpuE3ELNS1_3repE0EEENS1_30default_config_static_selectorELNS0_4arch9wavefront6targetE0EEEvT1_, .Lfunc_end17-_ZN7rocprim17ROCPRIM_400000_NS6detail17trampoline_kernelINS0_14default_configENS1_25transform_config_selectorImLb1EEEZNS1_14transform_implILb1ES3_S5_PmPlNS0_8identityIvEEEE10hipError_tT2_T3_mT4_P12ihipStream_tbEUlT_E_NS1_11comp_targetILNS1_3genE9ELNS1_11target_archE1100ELNS1_3gpuE3ELNS1_3repE0EEENS1_30default_config_static_selectorELNS0_4arch9wavefront6targetE0EEEvT1_
                                        ; -- End function
	.set _ZN7rocprim17ROCPRIM_400000_NS6detail17trampoline_kernelINS0_14default_configENS1_25transform_config_selectorImLb1EEEZNS1_14transform_implILb1ES3_S5_PmPlNS0_8identityIvEEEE10hipError_tT2_T3_mT4_P12ihipStream_tbEUlT_E_NS1_11comp_targetILNS1_3genE9ELNS1_11target_archE1100ELNS1_3gpuE3ELNS1_3repE0EEENS1_30default_config_static_selectorELNS0_4arch9wavefront6targetE0EEEvT1_.num_vgpr, 0
	.set _ZN7rocprim17ROCPRIM_400000_NS6detail17trampoline_kernelINS0_14default_configENS1_25transform_config_selectorImLb1EEEZNS1_14transform_implILb1ES3_S5_PmPlNS0_8identityIvEEEE10hipError_tT2_T3_mT4_P12ihipStream_tbEUlT_E_NS1_11comp_targetILNS1_3genE9ELNS1_11target_archE1100ELNS1_3gpuE3ELNS1_3repE0EEENS1_30default_config_static_selectorELNS0_4arch9wavefront6targetE0EEEvT1_.num_agpr, 0
	.set _ZN7rocprim17ROCPRIM_400000_NS6detail17trampoline_kernelINS0_14default_configENS1_25transform_config_selectorImLb1EEEZNS1_14transform_implILb1ES3_S5_PmPlNS0_8identityIvEEEE10hipError_tT2_T3_mT4_P12ihipStream_tbEUlT_E_NS1_11comp_targetILNS1_3genE9ELNS1_11target_archE1100ELNS1_3gpuE3ELNS1_3repE0EEENS1_30default_config_static_selectorELNS0_4arch9wavefront6targetE0EEEvT1_.numbered_sgpr, 0
	.set _ZN7rocprim17ROCPRIM_400000_NS6detail17trampoline_kernelINS0_14default_configENS1_25transform_config_selectorImLb1EEEZNS1_14transform_implILb1ES3_S5_PmPlNS0_8identityIvEEEE10hipError_tT2_T3_mT4_P12ihipStream_tbEUlT_E_NS1_11comp_targetILNS1_3genE9ELNS1_11target_archE1100ELNS1_3gpuE3ELNS1_3repE0EEENS1_30default_config_static_selectorELNS0_4arch9wavefront6targetE0EEEvT1_.num_named_barrier, 0
	.set _ZN7rocprim17ROCPRIM_400000_NS6detail17trampoline_kernelINS0_14default_configENS1_25transform_config_selectorImLb1EEEZNS1_14transform_implILb1ES3_S5_PmPlNS0_8identityIvEEEE10hipError_tT2_T3_mT4_P12ihipStream_tbEUlT_E_NS1_11comp_targetILNS1_3genE9ELNS1_11target_archE1100ELNS1_3gpuE3ELNS1_3repE0EEENS1_30default_config_static_selectorELNS0_4arch9wavefront6targetE0EEEvT1_.private_seg_size, 0
	.set _ZN7rocprim17ROCPRIM_400000_NS6detail17trampoline_kernelINS0_14default_configENS1_25transform_config_selectorImLb1EEEZNS1_14transform_implILb1ES3_S5_PmPlNS0_8identityIvEEEE10hipError_tT2_T3_mT4_P12ihipStream_tbEUlT_E_NS1_11comp_targetILNS1_3genE9ELNS1_11target_archE1100ELNS1_3gpuE3ELNS1_3repE0EEENS1_30default_config_static_selectorELNS0_4arch9wavefront6targetE0EEEvT1_.uses_vcc, 0
	.set _ZN7rocprim17ROCPRIM_400000_NS6detail17trampoline_kernelINS0_14default_configENS1_25transform_config_selectorImLb1EEEZNS1_14transform_implILb1ES3_S5_PmPlNS0_8identityIvEEEE10hipError_tT2_T3_mT4_P12ihipStream_tbEUlT_E_NS1_11comp_targetILNS1_3genE9ELNS1_11target_archE1100ELNS1_3gpuE3ELNS1_3repE0EEENS1_30default_config_static_selectorELNS0_4arch9wavefront6targetE0EEEvT1_.uses_flat_scratch, 0
	.set _ZN7rocprim17ROCPRIM_400000_NS6detail17trampoline_kernelINS0_14default_configENS1_25transform_config_selectorImLb1EEEZNS1_14transform_implILb1ES3_S5_PmPlNS0_8identityIvEEEE10hipError_tT2_T3_mT4_P12ihipStream_tbEUlT_E_NS1_11comp_targetILNS1_3genE9ELNS1_11target_archE1100ELNS1_3gpuE3ELNS1_3repE0EEENS1_30default_config_static_selectorELNS0_4arch9wavefront6targetE0EEEvT1_.has_dyn_sized_stack, 0
	.set _ZN7rocprim17ROCPRIM_400000_NS6detail17trampoline_kernelINS0_14default_configENS1_25transform_config_selectorImLb1EEEZNS1_14transform_implILb1ES3_S5_PmPlNS0_8identityIvEEEE10hipError_tT2_T3_mT4_P12ihipStream_tbEUlT_E_NS1_11comp_targetILNS1_3genE9ELNS1_11target_archE1100ELNS1_3gpuE3ELNS1_3repE0EEENS1_30default_config_static_selectorELNS0_4arch9wavefront6targetE0EEEvT1_.has_recursion, 0
	.set _ZN7rocprim17ROCPRIM_400000_NS6detail17trampoline_kernelINS0_14default_configENS1_25transform_config_selectorImLb1EEEZNS1_14transform_implILb1ES3_S5_PmPlNS0_8identityIvEEEE10hipError_tT2_T3_mT4_P12ihipStream_tbEUlT_E_NS1_11comp_targetILNS1_3genE9ELNS1_11target_archE1100ELNS1_3gpuE3ELNS1_3repE0EEENS1_30default_config_static_selectorELNS0_4arch9wavefront6targetE0EEEvT1_.has_indirect_call, 0
	.section	.AMDGPU.csdata,"",@progbits
; Kernel info:
; codeLenInByte = 0
; TotalNumSgprs: 0
; NumVgprs: 0
; ScratchSize: 0
; MemoryBound: 0
; FloatMode: 240
; IeeeMode: 1
; LDSByteSize: 0 bytes/workgroup (compile time only)
; SGPRBlocks: 0
; VGPRBlocks: 0
; NumSGPRsForWavesPerEU: 1
; NumVGPRsForWavesPerEU: 1
; Occupancy: 16
; WaveLimiterHint : 0
; COMPUTE_PGM_RSRC2:SCRATCH_EN: 0
; COMPUTE_PGM_RSRC2:USER_SGPR: 2
; COMPUTE_PGM_RSRC2:TRAP_HANDLER: 0
; COMPUTE_PGM_RSRC2:TGID_X_EN: 1
; COMPUTE_PGM_RSRC2:TGID_Y_EN: 0
; COMPUTE_PGM_RSRC2:TGID_Z_EN: 0
; COMPUTE_PGM_RSRC2:TIDIG_COMP_CNT: 0
	.section	.text._ZN7rocprim17ROCPRIM_400000_NS6detail17trampoline_kernelINS0_14default_configENS1_25transform_config_selectorImLb1EEEZNS1_14transform_implILb1ES3_S5_PmPlNS0_8identityIvEEEE10hipError_tT2_T3_mT4_P12ihipStream_tbEUlT_E_NS1_11comp_targetILNS1_3genE8ELNS1_11target_archE1030ELNS1_3gpuE2ELNS1_3repE0EEENS1_30default_config_static_selectorELNS0_4arch9wavefront6targetE0EEEvT1_,"axG",@progbits,_ZN7rocprim17ROCPRIM_400000_NS6detail17trampoline_kernelINS0_14default_configENS1_25transform_config_selectorImLb1EEEZNS1_14transform_implILb1ES3_S5_PmPlNS0_8identityIvEEEE10hipError_tT2_T3_mT4_P12ihipStream_tbEUlT_E_NS1_11comp_targetILNS1_3genE8ELNS1_11target_archE1030ELNS1_3gpuE2ELNS1_3repE0EEENS1_30default_config_static_selectorELNS0_4arch9wavefront6targetE0EEEvT1_,comdat
	.protected	_ZN7rocprim17ROCPRIM_400000_NS6detail17trampoline_kernelINS0_14default_configENS1_25transform_config_selectorImLb1EEEZNS1_14transform_implILb1ES3_S5_PmPlNS0_8identityIvEEEE10hipError_tT2_T3_mT4_P12ihipStream_tbEUlT_E_NS1_11comp_targetILNS1_3genE8ELNS1_11target_archE1030ELNS1_3gpuE2ELNS1_3repE0EEENS1_30default_config_static_selectorELNS0_4arch9wavefront6targetE0EEEvT1_ ; -- Begin function _ZN7rocprim17ROCPRIM_400000_NS6detail17trampoline_kernelINS0_14default_configENS1_25transform_config_selectorImLb1EEEZNS1_14transform_implILb1ES3_S5_PmPlNS0_8identityIvEEEE10hipError_tT2_T3_mT4_P12ihipStream_tbEUlT_E_NS1_11comp_targetILNS1_3genE8ELNS1_11target_archE1030ELNS1_3gpuE2ELNS1_3repE0EEENS1_30default_config_static_selectorELNS0_4arch9wavefront6targetE0EEEvT1_
	.globl	_ZN7rocprim17ROCPRIM_400000_NS6detail17trampoline_kernelINS0_14default_configENS1_25transform_config_selectorImLb1EEEZNS1_14transform_implILb1ES3_S5_PmPlNS0_8identityIvEEEE10hipError_tT2_T3_mT4_P12ihipStream_tbEUlT_E_NS1_11comp_targetILNS1_3genE8ELNS1_11target_archE1030ELNS1_3gpuE2ELNS1_3repE0EEENS1_30default_config_static_selectorELNS0_4arch9wavefront6targetE0EEEvT1_
	.p2align	8
	.type	_ZN7rocprim17ROCPRIM_400000_NS6detail17trampoline_kernelINS0_14default_configENS1_25transform_config_selectorImLb1EEEZNS1_14transform_implILb1ES3_S5_PmPlNS0_8identityIvEEEE10hipError_tT2_T3_mT4_P12ihipStream_tbEUlT_E_NS1_11comp_targetILNS1_3genE8ELNS1_11target_archE1030ELNS1_3gpuE2ELNS1_3repE0EEENS1_30default_config_static_selectorELNS0_4arch9wavefront6targetE0EEEvT1_,@function
_ZN7rocprim17ROCPRIM_400000_NS6detail17trampoline_kernelINS0_14default_configENS1_25transform_config_selectorImLb1EEEZNS1_14transform_implILb1ES3_S5_PmPlNS0_8identityIvEEEE10hipError_tT2_T3_mT4_P12ihipStream_tbEUlT_E_NS1_11comp_targetILNS1_3genE8ELNS1_11target_archE1030ELNS1_3gpuE2ELNS1_3repE0EEENS1_30default_config_static_selectorELNS0_4arch9wavefront6targetE0EEEvT1_: ; @_ZN7rocprim17ROCPRIM_400000_NS6detail17trampoline_kernelINS0_14default_configENS1_25transform_config_selectorImLb1EEEZNS1_14transform_implILb1ES3_S5_PmPlNS0_8identityIvEEEE10hipError_tT2_T3_mT4_P12ihipStream_tbEUlT_E_NS1_11comp_targetILNS1_3genE8ELNS1_11target_archE1030ELNS1_3gpuE2ELNS1_3repE0EEENS1_30default_config_static_selectorELNS0_4arch9wavefront6targetE0EEEvT1_
; %bb.0:
	.section	.rodata,"a",@progbits
	.p2align	6, 0x0
	.amdhsa_kernel _ZN7rocprim17ROCPRIM_400000_NS6detail17trampoline_kernelINS0_14default_configENS1_25transform_config_selectorImLb1EEEZNS1_14transform_implILb1ES3_S5_PmPlNS0_8identityIvEEEE10hipError_tT2_T3_mT4_P12ihipStream_tbEUlT_E_NS1_11comp_targetILNS1_3genE8ELNS1_11target_archE1030ELNS1_3gpuE2ELNS1_3repE0EEENS1_30default_config_static_selectorELNS0_4arch9wavefront6targetE0EEEvT1_
		.amdhsa_group_segment_fixed_size 0
		.amdhsa_private_segment_fixed_size 0
		.amdhsa_kernarg_size 40
		.amdhsa_user_sgpr_count 2
		.amdhsa_user_sgpr_dispatch_ptr 0
		.amdhsa_user_sgpr_queue_ptr 0
		.amdhsa_user_sgpr_kernarg_segment_ptr 1
		.amdhsa_user_sgpr_dispatch_id 0
		.amdhsa_user_sgpr_private_segment_size 0
		.amdhsa_wavefront_size32 1
		.amdhsa_uses_dynamic_stack 0
		.amdhsa_enable_private_segment 0
		.amdhsa_system_sgpr_workgroup_id_x 1
		.amdhsa_system_sgpr_workgroup_id_y 0
		.amdhsa_system_sgpr_workgroup_id_z 0
		.amdhsa_system_sgpr_workgroup_info 0
		.amdhsa_system_vgpr_workitem_id 0
		.amdhsa_next_free_vgpr 1
		.amdhsa_next_free_sgpr 1
		.amdhsa_reserve_vcc 0
		.amdhsa_float_round_mode_32 0
		.amdhsa_float_round_mode_16_64 0
		.amdhsa_float_denorm_mode_32 3
		.amdhsa_float_denorm_mode_16_64 3
		.amdhsa_fp16_overflow 0
		.amdhsa_workgroup_processor_mode 1
		.amdhsa_memory_ordered 1
		.amdhsa_forward_progress 1
		.amdhsa_inst_pref_size 0
		.amdhsa_round_robin_scheduling 0
		.amdhsa_exception_fp_ieee_invalid_op 0
		.amdhsa_exception_fp_denorm_src 0
		.amdhsa_exception_fp_ieee_div_zero 0
		.amdhsa_exception_fp_ieee_overflow 0
		.amdhsa_exception_fp_ieee_underflow 0
		.amdhsa_exception_fp_ieee_inexact 0
		.amdhsa_exception_int_div_zero 0
	.end_amdhsa_kernel
	.section	.text._ZN7rocprim17ROCPRIM_400000_NS6detail17trampoline_kernelINS0_14default_configENS1_25transform_config_selectorImLb1EEEZNS1_14transform_implILb1ES3_S5_PmPlNS0_8identityIvEEEE10hipError_tT2_T3_mT4_P12ihipStream_tbEUlT_E_NS1_11comp_targetILNS1_3genE8ELNS1_11target_archE1030ELNS1_3gpuE2ELNS1_3repE0EEENS1_30default_config_static_selectorELNS0_4arch9wavefront6targetE0EEEvT1_,"axG",@progbits,_ZN7rocprim17ROCPRIM_400000_NS6detail17trampoline_kernelINS0_14default_configENS1_25transform_config_selectorImLb1EEEZNS1_14transform_implILb1ES3_S5_PmPlNS0_8identityIvEEEE10hipError_tT2_T3_mT4_P12ihipStream_tbEUlT_E_NS1_11comp_targetILNS1_3genE8ELNS1_11target_archE1030ELNS1_3gpuE2ELNS1_3repE0EEENS1_30default_config_static_selectorELNS0_4arch9wavefront6targetE0EEEvT1_,comdat
.Lfunc_end18:
	.size	_ZN7rocprim17ROCPRIM_400000_NS6detail17trampoline_kernelINS0_14default_configENS1_25transform_config_selectorImLb1EEEZNS1_14transform_implILb1ES3_S5_PmPlNS0_8identityIvEEEE10hipError_tT2_T3_mT4_P12ihipStream_tbEUlT_E_NS1_11comp_targetILNS1_3genE8ELNS1_11target_archE1030ELNS1_3gpuE2ELNS1_3repE0EEENS1_30default_config_static_selectorELNS0_4arch9wavefront6targetE0EEEvT1_, .Lfunc_end18-_ZN7rocprim17ROCPRIM_400000_NS6detail17trampoline_kernelINS0_14default_configENS1_25transform_config_selectorImLb1EEEZNS1_14transform_implILb1ES3_S5_PmPlNS0_8identityIvEEEE10hipError_tT2_T3_mT4_P12ihipStream_tbEUlT_E_NS1_11comp_targetILNS1_3genE8ELNS1_11target_archE1030ELNS1_3gpuE2ELNS1_3repE0EEENS1_30default_config_static_selectorELNS0_4arch9wavefront6targetE0EEEvT1_
                                        ; -- End function
	.set _ZN7rocprim17ROCPRIM_400000_NS6detail17trampoline_kernelINS0_14default_configENS1_25transform_config_selectorImLb1EEEZNS1_14transform_implILb1ES3_S5_PmPlNS0_8identityIvEEEE10hipError_tT2_T3_mT4_P12ihipStream_tbEUlT_E_NS1_11comp_targetILNS1_3genE8ELNS1_11target_archE1030ELNS1_3gpuE2ELNS1_3repE0EEENS1_30default_config_static_selectorELNS0_4arch9wavefront6targetE0EEEvT1_.num_vgpr, 0
	.set _ZN7rocprim17ROCPRIM_400000_NS6detail17trampoline_kernelINS0_14default_configENS1_25transform_config_selectorImLb1EEEZNS1_14transform_implILb1ES3_S5_PmPlNS0_8identityIvEEEE10hipError_tT2_T3_mT4_P12ihipStream_tbEUlT_E_NS1_11comp_targetILNS1_3genE8ELNS1_11target_archE1030ELNS1_3gpuE2ELNS1_3repE0EEENS1_30default_config_static_selectorELNS0_4arch9wavefront6targetE0EEEvT1_.num_agpr, 0
	.set _ZN7rocprim17ROCPRIM_400000_NS6detail17trampoline_kernelINS0_14default_configENS1_25transform_config_selectorImLb1EEEZNS1_14transform_implILb1ES3_S5_PmPlNS0_8identityIvEEEE10hipError_tT2_T3_mT4_P12ihipStream_tbEUlT_E_NS1_11comp_targetILNS1_3genE8ELNS1_11target_archE1030ELNS1_3gpuE2ELNS1_3repE0EEENS1_30default_config_static_selectorELNS0_4arch9wavefront6targetE0EEEvT1_.numbered_sgpr, 0
	.set _ZN7rocprim17ROCPRIM_400000_NS6detail17trampoline_kernelINS0_14default_configENS1_25transform_config_selectorImLb1EEEZNS1_14transform_implILb1ES3_S5_PmPlNS0_8identityIvEEEE10hipError_tT2_T3_mT4_P12ihipStream_tbEUlT_E_NS1_11comp_targetILNS1_3genE8ELNS1_11target_archE1030ELNS1_3gpuE2ELNS1_3repE0EEENS1_30default_config_static_selectorELNS0_4arch9wavefront6targetE0EEEvT1_.num_named_barrier, 0
	.set _ZN7rocprim17ROCPRIM_400000_NS6detail17trampoline_kernelINS0_14default_configENS1_25transform_config_selectorImLb1EEEZNS1_14transform_implILb1ES3_S5_PmPlNS0_8identityIvEEEE10hipError_tT2_T3_mT4_P12ihipStream_tbEUlT_E_NS1_11comp_targetILNS1_3genE8ELNS1_11target_archE1030ELNS1_3gpuE2ELNS1_3repE0EEENS1_30default_config_static_selectorELNS0_4arch9wavefront6targetE0EEEvT1_.private_seg_size, 0
	.set _ZN7rocprim17ROCPRIM_400000_NS6detail17trampoline_kernelINS0_14default_configENS1_25transform_config_selectorImLb1EEEZNS1_14transform_implILb1ES3_S5_PmPlNS0_8identityIvEEEE10hipError_tT2_T3_mT4_P12ihipStream_tbEUlT_E_NS1_11comp_targetILNS1_3genE8ELNS1_11target_archE1030ELNS1_3gpuE2ELNS1_3repE0EEENS1_30default_config_static_selectorELNS0_4arch9wavefront6targetE0EEEvT1_.uses_vcc, 0
	.set _ZN7rocprim17ROCPRIM_400000_NS6detail17trampoline_kernelINS0_14default_configENS1_25transform_config_selectorImLb1EEEZNS1_14transform_implILb1ES3_S5_PmPlNS0_8identityIvEEEE10hipError_tT2_T3_mT4_P12ihipStream_tbEUlT_E_NS1_11comp_targetILNS1_3genE8ELNS1_11target_archE1030ELNS1_3gpuE2ELNS1_3repE0EEENS1_30default_config_static_selectorELNS0_4arch9wavefront6targetE0EEEvT1_.uses_flat_scratch, 0
	.set _ZN7rocprim17ROCPRIM_400000_NS6detail17trampoline_kernelINS0_14default_configENS1_25transform_config_selectorImLb1EEEZNS1_14transform_implILb1ES3_S5_PmPlNS0_8identityIvEEEE10hipError_tT2_T3_mT4_P12ihipStream_tbEUlT_E_NS1_11comp_targetILNS1_3genE8ELNS1_11target_archE1030ELNS1_3gpuE2ELNS1_3repE0EEENS1_30default_config_static_selectorELNS0_4arch9wavefront6targetE0EEEvT1_.has_dyn_sized_stack, 0
	.set _ZN7rocprim17ROCPRIM_400000_NS6detail17trampoline_kernelINS0_14default_configENS1_25transform_config_selectorImLb1EEEZNS1_14transform_implILb1ES3_S5_PmPlNS0_8identityIvEEEE10hipError_tT2_T3_mT4_P12ihipStream_tbEUlT_E_NS1_11comp_targetILNS1_3genE8ELNS1_11target_archE1030ELNS1_3gpuE2ELNS1_3repE0EEENS1_30default_config_static_selectorELNS0_4arch9wavefront6targetE0EEEvT1_.has_recursion, 0
	.set _ZN7rocprim17ROCPRIM_400000_NS6detail17trampoline_kernelINS0_14default_configENS1_25transform_config_selectorImLb1EEEZNS1_14transform_implILb1ES3_S5_PmPlNS0_8identityIvEEEE10hipError_tT2_T3_mT4_P12ihipStream_tbEUlT_E_NS1_11comp_targetILNS1_3genE8ELNS1_11target_archE1030ELNS1_3gpuE2ELNS1_3repE0EEENS1_30default_config_static_selectorELNS0_4arch9wavefront6targetE0EEEvT1_.has_indirect_call, 0
	.section	.AMDGPU.csdata,"",@progbits
; Kernel info:
; codeLenInByte = 0
; TotalNumSgprs: 0
; NumVgprs: 0
; ScratchSize: 0
; MemoryBound: 0
; FloatMode: 240
; IeeeMode: 1
; LDSByteSize: 0 bytes/workgroup (compile time only)
; SGPRBlocks: 0
; VGPRBlocks: 0
; NumSGPRsForWavesPerEU: 1
; NumVGPRsForWavesPerEU: 1
; Occupancy: 16
; WaveLimiterHint : 0
; COMPUTE_PGM_RSRC2:SCRATCH_EN: 0
; COMPUTE_PGM_RSRC2:USER_SGPR: 2
; COMPUTE_PGM_RSRC2:TRAP_HANDLER: 0
; COMPUTE_PGM_RSRC2:TGID_X_EN: 1
; COMPUTE_PGM_RSRC2:TGID_Y_EN: 0
; COMPUTE_PGM_RSRC2:TGID_Z_EN: 0
; COMPUTE_PGM_RSRC2:TIDIG_COMP_CNT: 0
	.section	.text._ZN7rocprim17ROCPRIM_400000_NS6detail31init_lookback_scan_state_kernelINS1_19lookback_scan_stateImLb1ELb1EEENS1_16block_id_wrapperIjLb1EEEEEvT_jT0_jPNS7_10value_typeE,"axG",@progbits,_ZN7rocprim17ROCPRIM_400000_NS6detail31init_lookback_scan_state_kernelINS1_19lookback_scan_stateImLb1ELb1EEENS1_16block_id_wrapperIjLb1EEEEEvT_jT0_jPNS7_10value_typeE,comdat
	.protected	_ZN7rocprim17ROCPRIM_400000_NS6detail31init_lookback_scan_state_kernelINS1_19lookback_scan_stateImLb1ELb1EEENS1_16block_id_wrapperIjLb1EEEEEvT_jT0_jPNS7_10value_typeE ; -- Begin function _ZN7rocprim17ROCPRIM_400000_NS6detail31init_lookback_scan_state_kernelINS1_19lookback_scan_stateImLb1ELb1EEENS1_16block_id_wrapperIjLb1EEEEEvT_jT0_jPNS7_10value_typeE
	.globl	_ZN7rocprim17ROCPRIM_400000_NS6detail31init_lookback_scan_state_kernelINS1_19lookback_scan_stateImLb1ELb1EEENS1_16block_id_wrapperIjLb1EEEEEvT_jT0_jPNS7_10value_typeE
	.p2align	8
	.type	_ZN7rocprim17ROCPRIM_400000_NS6detail31init_lookback_scan_state_kernelINS1_19lookback_scan_stateImLb1ELb1EEENS1_16block_id_wrapperIjLb1EEEEEvT_jT0_jPNS7_10value_typeE,@function
_ZN7rocprim17ROCPRIM_400000_NS6detail31init_lookback_scan_state_kernelINS1_19lookback_scan_stateImLb1ELb1EEENS1_16block_id_wrapperIjLb1EEEEEvT_jT0_jPNS7_10value_typeE: ; @_ZN7rocprim17ROCPRIM_400000_NS6detail31init_lookback_scan_state_kernelINS1_19lookback_scan_stateImLb1ELb1EEENS1_16block_id_wrapperIjLb1EEEEEvT_jT0_jPNS7_10value_typeE
; %bb.0:
	s_clause 0x2
	s_load_b32 s7, s[0:1], 0x34
	s_load_b64 s[2:3], s[0:1], 0x20
	s_load_b96 s[4:6], s[0:1], 0x0
	s_wait_kmcnt 0x0
	s_and_b32 s7, s7, 0xffff
	s_cmp_eq_u64 s[2:3], 0
	v_mad_co_u64_u32 v[0:1], null, ttmp9, s7, v[0:1]
	s_cbranch_scc1 .LBB19_10
; %bb.1:
	s_load_b32 s8, s[0:1], 0x18
	s_mov_b32 s9, 0
	s_wait_kmcnt 0x0
	s_cmp_lt_u32 s8, s6
	s_cselect_b32 s7, s8, 0
	s_wait_alu 0xfffe
	v_cmp_eq_u32_e32 vcc_lo, s7, v0
	s_and_saveexec_b32 s7, vcc_lo
	s_cbranch_execz .LBB19_9
; %bb.2:
	s_add_co_i32 s8, s8, 32
	s_mov_b32 s10, exec_lo
	s_lshl_b64 s[8:9], s[8:9], 4
	v_mov_b32_e32 v5, 0
	s_add_nc_u64 s[8:9], s[4:5], s[8:9]
	s_delay_alu instid0(SALU_CYCLE_1) | instskip(SKIP_2) | instid1(VALU_DEP_1)
	v_dual_mov_b32 v1, s8 :: v_dual_mov_b32 v2, s9
	;;#ASMSTART
	global_load_b128 v[1:4], v[1:2] off scope:SCOPE_DEV	
s_wait_loadcnt 0x0
	;;#ASMEND
	v_and_b32_e32 v4, 0xff, v3
	v_cmpx_eq_u64_e32 0, v[4:5]
	s_cbranch_execz .LBB19_8
; %bb.3:
	v_dual_mov_b32 v6, s8 :: v_dual_mov_b32 v7, s9
	s_mov_b32 s9, 1
	s_mov_b32 s8, 0
.LBB19_4:                               ; =>This Loop Header: Depth=1
                                        ;     Child Loop BB19_5 Depth 2
	s_wait_alu 0xfffe
	s_mov_b32 s11, s9
.LBB19_5:                               ;   Parent Loop BB19_4 Depth=1
                                        ; =>  This Inner Loop Header: Depth=2
	s_delay_alu instid0(SALU_CYCLE_1)
	s_add_co_i32 s11, s11, -1
	s_sleep 1
	s_cmp_eq_u32 s11, 0
	s_cbranch_scc0 .LBB19_5
; %bb.6:                                ;   in Loop: Header=BB19_4 Depth=1
	;;#ASMSTART
	global_load_b128 v[1:4], v[6:7] off scope:SCOPE_DEV	
s_wait_loadcnt 0x0
	;;#ASMEND
	v_and_b32_e32 v4, 0xff, v3
	s_cmp_lt_u32 s9, 32
	s_cselect_b32 s11, -1, 0
	s_delay_alu instid0(SALU_CYCLE_1) | instskip(NEXT) | instid1(VALU_DEP_1)
	s_cmp_lg_u32 s11, 0
	v_cmp_ne_u64_e32 vcc_lo, 0, v[4:5]
	s_add_co_ci_u32 s9, s9, 0
	s_or_b32 s8, vcc_lo, s8
	s_wait_alu 0xfffe
	s_and_not1_b32 exec_lo, exec_lo, s8
	s_cbranch_execnz .LBB19_4
; %bb.7:
	s_or_b32 exec_lo, exec_lo, s8
.LBB19_8:
	s_delay_alu instid0(SALU_CYCLE_1)
	s_or_b32 exec_lo, exec_lo, s10
	v_mov_b32_e32 v3, 0
	global_store_b64 v3, v[1:2], s[2:3]
.LBB19_9:
	s_wait_alu 0xfffe
	s_or_b32 exec_lo, exec_lo, s7
.LBB19_10:
	s_delay_alu instid0(SALU_CYCLE_1)
	s_mov_b32 s2, exec_lo
	v_cmpx_eq_u32_e32 0, v0
	s_cbranch_execz .LBB19_12
; %bb.11:
	s_load_b64 s[0:1], s[0:1], 0x10
	v_mov_b32_e32 v1, 0
	s_wait_kmcnt 0x0
	global_store_b32 v1, v1, s[0:1]
.LBB19_12:
	s_or_b32 exec_lo, exec_lo, s2
	s_delay_alu instid0(SALU_CYCLE_1)
	s_mov_b32 s0, exec_lo
	v_cmpx_gt_u32_e64 s6, v0
	s_cbranch_execz .LBB19_14
; %bb.13:
	v_dual_mov_b32 v2, 0 :: v_dual_add_nc_u32 v1, 32, v0
	s_delay_alu instid0(VALU_DEP_1) | instskip(SKIP_2) | instid1(VALU_DEP_3)
	v_lshlrev_b64_e32 v[4:5], 4, v[1:2]
	v_mov_b32_e32 v1, v2
	v_mov_b32_e32 v3, v2
	v_add_co_u32 v6, vcc_lo, s4, v4
	s_delay_alu instid0(VALU_DEP_1)
	v_add_co_ci_u32_e64 v7, null, s5, v5, vcc_lo
	v_mov_b32_e32 v4, v2
	global_store_b128 v[6:7], v[1:4], off
.LBB19_14:
	s_wait_alu 0xfffe
	s_or_b32 exec_lo, exec_lo, s0
	s_delay_alu instid0(SALU_CYCLE_1)
	s_mov_b32 s0, exec_lo
	v_cmpx_gt_u32_e32 32, v0
	s_cbranch_execz .LBB19_16
; %bb.15:
	v_dual_mov_b32 v1, 0 :: v_dual_mov_b32 v2, 0xff
	s_delay_alu instid0(VALU_DEP_1) | instskip(SKIP_1) | instid1(VALU_DEP_2)
	v_lshlrev_b64_e32 v[3:4], 4, v[0:1]
	v_mov_b32_e32 v0, v1
	v_add_co_u32 v5, vcc_lo, s4, v3
	s_wait_alu 0xfffd
	s_delay_alu instid0(VALU_DEP_3)
	v_add_co_ci_u32_e64 v6, null, s5, v4, vcc_lo
	v_mov_b32_e32 v3, v1
	global_store_b128 v[5:6], v[0:3], off
.LBB19_16:
	s_endpgm
	.section	.rodata,"a",@progbits
	.p2align	6, 0x0
	.amdhsa_kernel _ZN7rocprim17ROCPRIM_400000_NS6detail31init_lookback_scan_state_kernelINS1_19lookback_scan_stateImLb1ELb1EEENS1_16block_id_wrapperIjLb1EEEEEvT_jT0_jPNS7_10value_typeE
		.amdhsa_group_segment_fixed_size 0
		.amdhsa_private_segment_fixed_size 0
		.amdhsa_kernarg_size 296
		.amdhsa_user_sgpr_count 2
		.amdhsa_user_sgpr_dispatch_ptr 0
		.amdhsa_user_sgpr_queue_ptr 0
		.amdhsa_user_sgpr_kernarg_segment_ptr 1
		.amdhsa_user_sgpr_dispatch_id 0
		.amdhsa_user_sgpr_private_segment_size 0
		.amdhsa_wavefront_size32 1
		.amdhsa_uses_dynamic_stack 0
		.amdhsa_enable_private_segment 0
		.amdhsa_system_sgpr_workgroup_id_x 1
		.amdhsa_system_sgpr_workgroup_id_y 0
		.amdhsa_system_sgpr_workgroup_id_z 0
		.amdhsa_system_sgpr_workgroup_info 0
		.amdhsa_system_vgpr_workitem_id 0
		.amdhsa_next_free_vgpr 8
		.amdhsa_next_free_sgpr 12
		.amdhsa_reserve_vcc 1
		.amdhsa_float_round_mode_32 0
		.amdhsa_float_round_mode_16_64 0
		.amdhsa_float_denorm_mode_32 3
		.amdhsa_float_denorm_mode_16_64 3
		.amdhsa_fp16_overflow 0
		.amdhsa_workgroup_processor_mode 1
		.amdhsa_memory_ordered 1
		.amdhsa_forward_progress 1
		.amdhsa_inst_pref_size 4
		.amdhsa_round_robin_scheduling 0
		.amdhsa_exception_fp_ieee_invalid_op 0
		.amdhsa_exception_fp_denorm_src 0
		.amdhsa_exception_fp_ieee_div_zero 0
		.amdhsa_exception_fp_ieee_overflow 0
		.amdhsa_exception_fp_ieee_underflow 0
		.amdhsa_exception_fp_ieee_inexact 0
		.amdhsa_exception_int_div_zero 0
	.end_amdhsa_kernel
	.section	.text._ZN7rocprim17ROCPRIM_400000_NS6detail31init_lookback_scan_state_kernelINS1_19lookback_scan_stateImLb1ELb1EEENS1_16block_id_wrapperIjLb1EEEEEvT_jT0_jPNS7_10value_typeE,"axG",@progbits,_ZN7rocprim17ROCPRIM_400000_NS6detail31init_lookback_scan_state_kernelINS1_19lookback_scan_stateImLb1ELb1EEENS1_16block_id_wrapperIjLb1EEEEEvT_jT0_jPNS7_10value_typeE,comdat
.Lfunc_end19:
	.size	_ZN7rocprim17ROCPRIM_400000_NS6detail31init_lookback_scan_state_kernelINS1_19lookback_scan_stateImLb1ELb1EEENS1_16block_id_wrapperIjLb1EEEEEvT_jT0_jPNS7_10value_typeE, .Lfunc_end19-_ZN7rocprim17ROCPRIM_400000_NS6detail31init_lookback_scan_state_kernelINS1_19lookback_scan_stateImLb1ELb1EEENS1_16block_id_wrapperIjLb1EEEEEvT_jT0_jPNS7_10value_typeE
                                        ; -- End function
	.set _ZN7rocprim17ROCPRIM_400000_NS6detail31init_lookback_scan_state_kernelINS1_19lookback_scan_stateImLb1ELb1EEENS1_16block_id_wrapperIjLb1EEEEEvT_jT0_jPNS7_10value_typeE.num_vgpr, 8
	.set _ZN7rocprim17ROCPRIM_400000_NS6detail31init_lookback_scan_state_kernelINS1_19lookback_scan_stateImLb1ELb1EEENS1_16block_id_wrapperIjLb1EEEEEvT_jT0_jPNS7_10value_typeE.num_agpr, 0
	.set _ZN7rocprim17ROCPRIM_400000_NS6detail31init_lookback_scan_state_kernelINS1_19lookback_scan_stateImLb1ELb1EEENS1_16block_id_wrapperIjLb1EEEEEvT_jT0_jPNS7_10value_typeE.numbered_sgpr, 12
	.set _ZN7rocprim17ROCPRIM_400000_NS6detail31init_lookback_scan_state_kernelINS1_19lookback_scan_stateImLb1ELb1EEENS1_16block_id_wrapperIjLb1EEEEEvT_jT0_jPNS7_10value_typeE.num_named_barrier, 0
	.set _ZN7rocprim17ROCPRIM_400000_NS6detail31init_lookback_scan_state_kernelINS1_19lookback_scan_stateImLb1ELb1EEENS1_16block_id_wrapperIjLb1EEEEEvT_jT0_jPNS7_10value_typeE.private_seg_size, 0
	.set _ZN7rocprim17ROCPRIM_400000_NS6detail31init_lookback_scan_state_kernelINS1_19lookback_scan_stateImLb1ELb1EEENS1_16block_id_wrapperIjLb1EEEEEvT_jT0_jPNS7_10value_typeE.uses_vcc, 1
	.set _ZN7rocprim17ROCPRIM_400000_NS6detail31init_lookback_scan_state_kernelINS1_19lookback_scan_stateImLb1ELb1EEENS1_16block_id_wrapperIjLb1EEEEEvT_jT0_jPNS7_10value_typeE.uses_flat_scratch, 0
	.set _ZN7rocprim17ROCPRIM_400000_NS6detail31init_lookback_scan_state_kernelINS1_19lookback_scan_stateImLb1ELb1EEENS1_16block_id_wrapperIjLb1EEEEEvT_jT0_jPNS7_10value_typeE.has_dyn_sized_stack, 0
	.set _ZN7rocprim17ROCPRIM_400000_NS6detail31init_lookback_scan_state_kernelINS1_19lookback_scan_stateImLb1ELb1EEENS1_16block_id_wrapperIjLb1EEEEEvT_jT0_jPNS7_10value_typeE.has_recursion, 0
	.set _ZN7rocprim17ROCPRIM_400000_NS6detail31init_lookback_scan_state_kernelINS1_19lookback_scan_stateImLb1ELb1EEENS1_16block_id_wrapperIjLb1EEEEEvT_jT0_jPNS7_10value_typeE.has_indirect_call, 0
	.section	.AMDGPU.csdata,"",@progbits
; Kernel info:
; codeLenInByte = 492
; TotalNumSgprs: 14
; NumVgprs: 8
; ScratchSize: 0
; MemoryBound: 0
; FloatMode: 240
; IeeeMode: 1
; LDSByteSize: 0 bytes/workgroup (compile time only)
; SGPRBlocks: 0
; VGPRBlocks: 0
; NumSGPRsForWavesPerEU: 14
; NumVGPRsForWavesPerEU: 8
; Occupancy: 16
; WaveLimiterHint : 0
; COMPUTE_PGM_RSRC2:SCRATCH_EN: 0
; COMPUTE_PGM_RSRC2:USER_SGPR: 2
; COMPUTE_PGM_RSRC2:TRAP_HANDLER: 0
; COMPUTE_PGM_RSRC2:TGID_X_EN: 1
; COMPUTE_PGM_RSRC2:TGID_Y_EN: 0
; COMPUTE_PGM_RSRC2:TGID_Z_EN: 0
; COMPUTE_PGM_RSRC2:TIDIG_COMP_CNT: 0
	.section	.text._ZN7rocprim17ROCPRIM_400000_NS6detail17trampoline_kernelINS0_14default_configENS1_25partition_config_selectorILNS1_17partition_subalgoE6EdNS0_10empty_typeEbEEZZNS1_14partition_implILS5_6ELb0ES3_mN6thrust23THRUST_200600_302600_NS6detail15normal_iteratorINSA_10device_ptrIdEEEEPS6_SG_NS0_5tupleIJSF_S6_EEENSH_IJSG_SG_EEES6_PlJNSB_9not_fun_tINSB_10functional5actorINSM_9compositeIJNSM_27transparent_binary_operatorINSA_8equal_toIvEEEENSN_INSM_8argumentILj0EEEEENSM_5valueIdEEEEEEEEEEEE10hipError_tPvRmT3_T4_T5_T6_T7_T9_mT8_P12ihipStream_tbDpT10_ENKUlT_T0_E_clISt17integral_constantIbLb1EES1K_EEDaS1F_S1G_EUlS1F_E_NS1_11comp_targetILNS1_3genE0ELNS1_11target_archE4294967295ELNS1_3gpuE0ELNS1_3repE0EEENS1_30default_config_static_selectorELNS0_4arch9wavefront6targetE0EEEvT1_,"axG",@progbits,_ZN7rocprim17ROCPRIM_400000_NS6detail17trampoline_kernelINS0_14default_configENS1_25partition_config_selectorILNS1_17partition_subalgoE6EdNS0_10empty_typeEbEEZZNS1_14partition_implILS5_6ELb0ES3_mN6thrust23THRUST_200600_302600_NS6detail15normal_iteratorINSA_10device_ptrIdEEEEPS6_SG_NS0_5tupleIJSF_S6_EEENSH_IJSG_SG_EEES6_PlJNSB_9not_fun_tINSB_10functional5actorINSM_9compositeIJNSM_27transparent_binary_operatorINSA_8equal_toIvEEEENSN_INSM_8argumentILj0EEEEENSM_5valueIdEEEEEEEEEEEE10hipError_tPvRmT3_T4_T5_T6_T7_T9_mT8_P12ihipStream_tbDpT10_ENKUlT_T0_E_clISt17integral_constantIbLb1EES1K_EEDaS1F_S1G_EUlS1F_E_NS1_11comp_targetILNS1_3genE0ELNS1_11target_archE4294967295ELNS1_3gpuE0ELNS1_3repE0EEENS1_30default_config_static_selectorELNS0_4arch9wavefront6targetE0EEEvT1_,comdat
	.protected	_ZN7rocprim17ROCPRIM_400000_NS6detail17trampoline_kernelINS0_14default_configENS1_25partition_config_selectorILNS1_17partition_subalgoE6EdNS0_10empty_typeEbEEZZNS1_14partition_implILS5_6ELb0ES3_mN6thrust23THRUST_200600_302600_NS6detail15normal_iteratorINSA_10device_ptrIdEEEEPS6_SG_NS0_5tupleIJSF_S6_EEENSH_IJSG_SG_EEES6_PlJNSB_9not_fun_tINSB_10functional5actorINSM_9compositeIJNSM_27transparent_binary_operatorINSA_8equal_toIvEEEENSN_INSM_8argumentILj0EEEEENSM_5valueIdEEEEEEEEEEEE10hipError_tPvRmT3_T4_T5_T6_T7_T9_mT8_P12ihipStream_tbDpT10_ENKUlT_T0_E_clISt17integral_constantIbLb1EES1K_EEDaS1F_S1G_EUlS1F_E_NS1_11comp_targetILNS1_3genE0ELNS1_11target_archE4294967295ELNS1_3gpuE0ELNS1_3repE0EEENS1_30default_config_static_selectorELNS0_4arch9wavefront6targetE0EEEvT1_ ; -- Begin function _ZN7rocprim17ROCPRIM_400000_NS6detail17trampoline_kernelINS0_14default_configENS1_25partition_config_selectorILNS1_17partition_subalgoE6EdNS0_10empty_typeEbEEZZNS1_14partition_implILS5_6ELb0ES3_mN6thrust23THRUST_200600_302600_NS6detail15normal_iteratorINSA_10device_ptrIdEEEEPS6_SG_NS0_5tupleIJSF_S6_EEENSH_IJSG_SG_EEES6_PlJNSB_9not_fun_tINSB_10functional5actorINSM_9compositeIJNSM_27transparent_binary_operatorINSA_8equal_toIvEEEENSN_INSM_8argumentILj0EEEEENSM_5valueIdEEEEEEEEEEEE10hipError_tPvRmT3_T4_T5_T6_T7_T9_mT8_P12ihipStream_tbDpT10_ENKUlT_T0_E_clISt17integral_constantIbLb1EES1K_EEDaS1F_S1G_EUlS1F_E_NS1_11comp_targetILNS1_3genE0ELNS1_11target_archE4294967295ELNS1_3gpuE0ELNS1_3repE0EEENS1_30default_config_static_selectorELNS0_4arch9wavefront6targetE0EEEvT1_
	.globl	_ZN7rocprim17ROCPRIM_400000_NS6detail17trampoline_kernelINS0_14default_configENS1_25partition_config_selectorILNS1_17partition_subalgoE6EdNS0_10empty_typeEbEEZZNS1_14partition_implILS5_6ELb0ES3_mN6thrust23THRUST_200600_302600_NS6detail15normal_iteratorINSA_10device_ptrIdEEEEPS6_SG_NS0_5tupleIJSF_S6_EEENSH_IJSG_SG_EEES6_PlJNSB_9not_fun_tINSB_10functional5actorINSM_9compositeIJNSM_27transparent_binary_operatorINSA_8equal_toIvEEEENSN_INSM_8argumentILj0EEEEENSM_5valueIdEEEEEEEEEEEE10hipError_tPvRmT3_T4_T5_T6_T7_T9_mT8_P12ihipStream_tbDpT10_ENKUlT_T0_E_clISt17integral_constantIbLb1EES1K_EEDaS1F_S1G_EUlS1F_E_NS1_11comp_targetILNS1_3genE0ELNS1_11target_archE4294967295ELNS1_3gpuE0ELNS1_3repE0EEENS1_30default_config_static_selectorELNS0_4arch9wavefront6targetE0EEEvT1_
	.p2align	8
	.type	_ZN7rocprim17ROCPRIM_400000_NS6detail17trampoline_kernelINS0_14default_configENS1_25partition_config_selectorILNS1_17partition_subalgoE6EdNS0_10empty_typeEbEEZZNS1_14partition_implILS5_6ELb0ES3_mN6thrust23THRUST_200600_302600_NS6detail15normal_iteratorINSA_10device_ptrIdEEEEPS6_SG_NS0_5tupleIJSF_S6_EEENSH_IJSG_SG_EEES6_PlJNSB_9not_fun_tINSB_10functional5actorINSM_9compositeIJNSM_27transparent_binary_operatorINSA_8equal_toIvEEEENSN_INSM_8argumentILj0EEEEENSM_5valueIdEEEEEEEEEEEE10hipError_tPvRmT3_T4_T5_T6_T7_T9_mT8_P12ihipStream_tbDpT10_ENKUlT_T0_E_clISt17integral_constantIbLb1EES1K_EEDaS1F_S1G_EUlS1F_E_NS1_11comp_targetILNS1_3genE0ELNS1_11target_archE4294967295ELNS1_3gpuE0ELNS1_3repE0EEENS1_30default_config_static_selectorELNS0_4arch9wavefront6targetE0EEEvT1_,@function
_ZN7rocprim17ROCPRIM_400000_NS6detail17trampoline_kernelINS0_14default_configENS1_25partition_config_selectorILNS1_17partition_subalgoE6EdNS0_10empty_typeEbEEZZNS1_14partition_implILS5_6ELb0ES3_mN6thrust23THRUST_200600_302600_NS6detail15normal_iteratorINSA_10device_ptrIdEEEEPS6_SG_NS0_5tupleIJSF_S6_EEENSH_IJSG_SG_EEES6_PlJNSB_9not_fun_tINSB_10functional5actorINSM_9compositeIJNSM_27transparent_binary_operatorINSA_8equal_toIvEEEENSN_INSM_8argumentILj0EEEEENSM_5valueIdEEEEEEEEEEEE10hipError_tPvRmT3_T4_T5_T6_T7_T9_mT8_P12ihipStream_tbDpT10_ENKUlT_T0_E_clISt17integral_constantIbLb1EES1K_EEDaS1F_S1G_EUlS1F_E_NS1_11comp_targetILNS1_3genE0ELNS1_11target_archE4294967295ELNS1_3gpuE0ELNS1_3repE0EEENS1_30default_config_static_selectorELNS0_4arch9wavefront6targetE0EEEvT1_: ; @_ZN7rocprim17ROCPRIM_400000_NS6detail17trampoline_kernelINS0_14default_configENS1_25partition_config_selectorILNS1_17partition_subalgoE6EdNS0_10empty_typeEbEEZZNS1_14partition_implILS5_6ELb0ES3_mN6thrust23THRUST_200600_302600_NS6detail15normal_iteratorINSA_10device_ptrIdEEEEPS6_SG_NS0_5tupleIJSF_S6_EEENSH_IJSG_SG_EEES6_PlJNSB_9not_fun_tINSB_10functional5actorINSM_9compositeIJNSM_27transparent_binary_operatorINSA_8equal_toIvEEEENSN_INSM_8argumentILj0EEEEENSM_5valueIdEEEEEEEEEEEE10hipError_tPvRmT3_T4_T5_T6_T7_T9_mT8_P12ihipStream_tbDpT10_ENKUlT_T0_E_clISt17integral_constantIbLb1EES1K_EEDaS1F_S1G_EUlS1F_E_NS1_11comp_targetILNS1_3genE0ELNS1_11target_archE4294967295ELNS1_3gpuE0ELNS1_3repE0EEENS1_30default_config_static_selectorELNS0_4arch9wavefront6targetE0EEEvT1_
; %bb.0:
	.section	.rodata,"a",@progbits
	.p2align	6, 0x0
	.amdhsa_kernel _ZN7rocprim17ROCPRIM_400000_NS6detail17trampoline_kernelINS0_14default_configENS1_25partition_config_selectorILNS1_17partition_subalgoE6EdNS0_10empty_typeEbEEZZNS1_14partition_implILS5_6ELb0ES3_mN6thrust23THRUST_200600_302600_NS6detail15normal_iteratorINSA_10device_ptrIdEEEEPS6_SG_NS0_5tupleIJSF_S6_EEENSH_IJSG_SG_EEES6_PlJNSB_9not_fun_tINSB_10functional5actorINSM_9compositeIJNSM_27transparent_binary_operatorINSA_8equal_toIvEEEENSN_INSM_8argumentILj0EEEEENSM_5valueIdEEEEEEEEEEEE10hipError_tPvRmT3_T4_T5_T6_T7_T9_mT8_P12ihipStream_tbDpT10_ENKUlT_T0_E_clISt17integral_constantIbLb1EES1K_EEDaS1F_S1G_EUlS1F_E_NS1_11comp_targetILNS1_3genE0ELNS1_11target_archE4294967295ELNS1_3gpuE0ELNS1_3repE0EEENS1_30default_config_static_selectorELNS0_4arch9wavefront6targetE0EEEvT1_
		.amdhsa_group_segment_fixed_size 0
		.amdhsa_private_segment_fixed_size 0
		.amdhsa_kernarg_size 136
		.amdhsa_user_sgpr_count 2
		.amdhsa_user_sgpr_dispatch_ptr 0
		.amdhsa_user_sgpr_queue_ptr 0
		.amdhsa_user_sgpr_kernarg_segment_ptr 1
		.amdhsa_user_sgpr_dispatch_id 0
		.amdhsa_user_sgpr_private_segment_size 0
		.amdhsa_wavefront_size32 1
		.amdhsa_uses_dynamic_stack 0
		.amdhsa_enable_private_segment 0
		.amdhsa_system_sgpr_workgroup_id_x 1
		.amdhsa_system_sgpr_workgroup_id_y 0
		.amdhsa_system_sgpr_workgroup_id_z 0
		.amdhsa_system_sgpr_workgroup_info 0
		.amdhsa_system_vgpr_workitem_id 0
		.amdhsa_next_free_vgpr 1
		.amdhsa_next_free_sgpr 1
		.amdhsa_reserve_vcc 0
		.amdhsa_float_round_mode_32 0
		.amdhsa_float_round_mode_16_64 0
		.amdhsa_float_denorm_mode_32 3
		.amdhsa_float_denorm_mode_16_64 3
		.amdhsa_fp16_overflow 0
		.amdhsa_workgroup_processor_mode 1
		.amdhsa_memory_ordered 1
		.amdhsa_forward_progress 1
		.amdhsa_inst_pref_size 0
		.amdhsa_round_robin_scheduling 0
		.amdhsa_exception_fp_ieee_invalid_op 0
		.amdhsa_exception_fp_denorm_src 0
		.amdhsa_exception_fp_ieee_div_zero 0
		.amdhsa_exception_fp_ieee_overflow 0
		.amdhsa_exception_fp_ieee_underflow 0
		.amdhsa_exception_fp_ieee_inexact 0
		.amdhsa_exception_int_div_zero 0
	.end_amdhsa_kernel
	.section	.text._ZN7rocprim17ROCPRIM_400000_NS6detail17trampoline_kernelINS0_14default_configENS1_25partition_config_selectorILNS1_17partition_subalgoE6EdNS0_10empty_typeEbEEZZNS1_14partition_implILS5_6ELb0ES3_mN6thrust23THRUST_200600_302600_NS6detail15normal_iteratorINSA_10device_ptrIdEEEEPS6_SG_NS0_5tupleIJSF_S6_EEENSH_IJSG_SG_EEES6_PlJNSB_9not_fun_tINSB_10functional5actorINSM_9compositeIJNSM_27transparent_binary_operatorINSA_8equal_toIvEEEENSN_INSM_8argumentILj0EEEEENSM_5valueIdEEEEEEEEEEEE10hipError_tPvRmT3_T4_T5_T6_T7_T9_mT8_P12ihipStream_tbDpT10_ENKUlT_T0_E_clISt17integral_constantIbLb1EES1K_EEDaS1F_S1G_EUlS1F_E_NS1_11comp_targetILNS1_3genE0ELNS1_11target_archE4294967295ELNS1_3gpuE0ELNS1_3repE0EEENS1_30default_config_static_selectorELNS0_4arch9wavefront6targetE0EEEvT1_,"axG",@progbits,_ZN7rocprim17ROCPRIM_400000_NS6detail17trampoline_kernelINS0_14default_configENS1_25partition_config_selectorILNS1_17partition_subalgoE6EdNS0_10empty_typeEbEEZZNS1_14partition_implILS5_6ELb0ES3_mN6thrust23THRUST_200600_302600_NS6detail15normal_iteratorINSA_10device_ptrIdEEEEPS6_SG_NS0_5tupleIJSF_S6_EEENSH_IJSG_SG_EEES6_PlJNSB_9not_fun_tINSB_10functional5actorINSM_9compositeIJNSM_27transparent_binary_operatorINSA_8equal_toIvEEEENSN_INSM_8argumentILj0EEEEENSM_5valueIdEEEEEEEEEEEE10hipError_tPvRmT3_T4_T5_T6_T7_T9_mT8_P12ihipStream_tbDpT10_ENKUlT_T0_E_clISt17integral_constantIbLb1EES1K_EEDaS1F_S1G_EUlS1F_E_NS1_11comp_targetILNS1_3genE0ELNS1_11target_archE4294967295ELNS1_3gpuE0ELNS1_3repE0EEENS1_30default_config_static_selectorELNS0_4arch9wavefront6targetE0EEEvT1_,comdat
.Lfunc_end20:
	.size	_ZN7rocprim17ROCPRIM_400000_NS6detail17trampoline_kernelINS0_14default_configENS1_25partition_config_selectorILNS1_17partition_subalgoE6EdNS0_10empty_typeEbEEZZNS1_14partition_implILS5_6ELb0ES3_mN6thrust23THRUST_200600_302600_NS6detail15normal_iteratorINSA_10device_ptrIdEEEEPS6_SG_NS0_5tupleIJSF_S6_EEENSH_IJSG_SG_EEES6_PlJNSB_9not_fun_tINSB_10functional5actorINSM_9compositeIJNSM_27transparent_binary_operatorINSA_8equal_toIvEEEENSN_INSM_8argumentILj0EEEEENSM_5valueIdEEEEEEEEEEEE10hipError_tPvRmT3_T4_T5_T6_T7_T9_mT8_P12ihipStream_tbDpT10_ENKUlT_T0_E_clISt17integral_constantIbLb1EES1K_EEDaS1F_S1G_EUlS1F_E_NS1_11comp_targetILNS1_3genE0ELNS1_11target_archE4294967295ELNS1_3gpuE0ELNS1_3repE0EEENS1_30default_config_static_selectorELNS0_4arch9wavefront6targetE0EEEvT1_, .Lfunc_end20-_ZN7rocprim17ROCPRIM_400000_NS6detail17trampoline_kernelINS0_14default_configENS1_25partition_config_selectorILNS1_17partition_subalgoE6EdNS0_10empty_typeEbEEZZNS1_14partition_implILS5_6ELb0ES3_mN6thrust23THRUST_200600_302600_NS6detail15normal_iteratorINSA_10device_ptrIdEEEEPS6_SG_NS0_5tupleIJSF_S6_EEENSH_IJSG_SG_EEES6_PlJNSB_9not_fun_tINSB_10functional5actorINSM_9compositeIJNSM_27transparent_binary_operatorINSA_8equal_toIvEEEENSN_INSM_8argumentILj0EEEEENSM_5valueIdEEEEEEEEEEEE10hipError_tPvRmT3_T4_T5_T6_T7_T9_mT8_P12ihipStream_tbDpT10_ENKUlT_T0_E_clISt17integral_constantIbLb1EES1K_EEDaS1F_S1G_EUlS1F_E_NS1_11comp_targetILNS1_3genE0ELNS1_11target_archE4294967295ELNS1_3gpuE0ELNS1_3repE0EEENS1_30default_config_static_selectorELNS0_4arch9wavefront6targetE0EEEvT1_
                                        ; -- End function
	.set _ZN7rocprim17ROCPRIM_400000_NS6detail17trampoline_kernelINS0_14default_configENS1_25partition_config_selectorILNS1_17partition_subalgoE6EdNS0_10empty_typeEbEEZZNS1_14partition_implILS5_6ELb0ES3_mN6thrust23THRUST_200600_302600_NS6detail15normal_iteratorINSA_10device_ptrIdEEEEPS6_SG_NS0_5tupleIJSF_S6_EEENSH_IJSG_SG_EEES6_PlJNSB_9not_fun_tINSB_10functional5actorINSM_9compositeIJNSM_27transparent_binary_operatorINSA_8equal_toIvEEEENSN_INSM_8argumentILj0EEEEENSM_5valueIdEEEEEEEEEEEE10hipError_tPvRmT3_T4_T5_T6_T7_T9_mT8_P12ihipStream_tbDpT10_ENKUlT_T0_E_clISt17integral_constantIbLb1EES1K_EEDaS1F_S1G_EUlS1F_E_NS1_11comp_targetILNS1_3genE0ELNS1_11target_archE4294967295ELNS1_3gpuE0ELNS1_3repE0EEENS1_30default_config_static_selectorELNS0_4arch9wavefront6targetE0EEEvT1_.num_vgpr, 0
	.set _ZN7rocprim17ROCPRIM_400000_NS6detail17trampoline_kernelINS0_14default_configENS1_25partition_config_selectorILNS1_17partition_subalgoE6EdNS0_10empty_typeEbEEZZNS1_14partition_implILS5_6ELb0ES3_mN6thrust23THRUST_200600_302600_NS6detail15normal_iteratorINSA_10device_ptrIdEEEEPS6_SG_NS0_5tupleIJSF_S6_EEENSH_IJSG_SG_EEES6_PlJNSB_9not_fun_tINSB_10functional5actorINSM_9compositeIJNSM_27transparent_binary_operatorINSA_8equal_toIvEEEENSN_INSM_8argumentILj0EEEEENSM_5valueIdEEEEEEEEEEEE10hipError_tPvRmT3_T4_T5_T6_T7_T9_mT8_P12ihipStream_tbDpT10_ENKUlT_T0_E_clISt17integral_constantIbLb1EES1K_EEDaS1F_S1G_EUlS1F_E_NS1_11comp_targetILNS1_3genE0ELNS1_11target_archE4294967295ELNS1_3gpuE0ELNS1_3repE0EEENS1_30default_config_static_selectorELNS0_4arch9wavefront6targetE0EEEvT1_.num_agpr, 0
	.set _ZN7rocprim17ROCPRIM_400000_NS6detail17trampoline_kernelINS0_14default_configENS1_25partition_config_selectorILNS1_17partition_subalgoE6EdNS0_10empty_typeEbEEZZNS1_14partition_implILS5_6ELb0ES3_mN6thrust23THRUST_200600_302600_NS6detail15normal_iteratorINSA_10device_ptrIdEEEEPS6_SG_NS0_5tupleIJSF_S6_EEENSH_IJSG_SG_EEES6_PlJNSB_9not_fun_tINSB_10functional5actorINSM_9compositeIJNSM_27transparent_binary_operatorINSA_8equal_toIvEEEENSN_INSM_8argumentILj0EEEEENSM_5valueIdEEEEEEEEEEEE10hipError_tPvRmT3_T4_T5_T6_T7_T9_mT8_P12ihipStream_tbDpT10_ENKUlT_T0_E_clISt17integral_constantIbLb1EES1K_EEDaS1F_S1G_EUlS1F_E_NS1_11comp_targetILNS1_3genE0ELNS1_11target_archE4294967295ELNS1_3gpuE0ELNS1_3repE0EEENS1_30default_config_static_selectorELNS0_4arch9wavefront6targetE0EEEvT1_.numbered_sgpr, 0
	.set _ZN7rocprim17ROCPRIM_400000_NS6detail17trampoline_kernelINS0_14default_configENS1_25partition_config_selectorILNS1_17partition_subalgoE6EdNS0_10empty_typeEbEEZZNS1_14partition_implILS5_6ELb0ES3_mN6thrust23THRUST_200600_302600_NS6detail15normal_iteratorINSA_10device_ptrIdEEEEPS6_SG_NS0_5tupleIJSF_S6_EEENSH_IJSG_SG_EEES6_PlJNSB_9not_fun_tINSB_10functional5actorINSM_9compositeIJNSM_27transparent_binary_operatorINSA_8equal_toIvEEEENSN_INSM_8argumentILj0EEEEENSM_5valueIdEEEEEEEEEEEE10hipError_tPvRmT3_T4_T5_T6_T7_T9_mT8_P12ihipStream_tbDpT10_ENKUlT_T0_E_clISt17integral_constantIbLb1EES1K_EEDaS1F_S1G_EUlS1F_E_NS1_11comp_targetILNS1_3genE0ELNS1_11target_archE4294967295ELNS1_3gpuE0ELNS1_3repE0EEENS1_30default_config_static_selectorELNS0_4arch9wavefront6targetE0EEEvT1_.num_named_barrier, 0
	.set _ZN7rocprim17ROCPRIM_400000_NS6detail17trampoline_kernelINS0_14default_configENS1_25partition_config_selectorILNS1_17partition_subalgoE6EdNS0_10empty_typeEbEEZZNS1_14partition_implILS5_6ELb0ES3_mN6thrust23THRUST_200600_302600_NS6detail15normal_iteratorINSA_10device_ptrIdEEEEPS6_SG_NS0_5tupleIJSF_S6_EEENSH_IJSG_SG_EEES6_PlJNSB_9not_fun_tINSB_10functional5actorINSM_9compositeIJNSM_27transparent_binary_operatorINSA_8equal_toIvEEEENSN_INSM_8argumentILj0EEEEENSM_5valueIdEEEEEEEEEEEE10hipError_tPvRmT3_T4_T5_T6_T7_T9_mT8_P12ihipStream_tbDpT10_ENKUlT_T0_E_clISt17integral_constantIbLb1EES1K_EEDaS1F_S1G_EUlS1F_E_NS1_11comp_targetILNS1_3genE0ELNS1_11target_archE4294967295ELNS1_3gpuE0ELNS1_3repE0EEENS1_30default_config_static_selectorELNS0_4arch9wavefront6targetE0EEEvT1_.private_seg_size, 0
	.set _ZN7rocprim17ROCPRIM_400000_NS6detail17trampoline_kernelINS0_14default_configENS1_25partition_config_selectorILNS1_17partition_subalgoE6EdNS0_10empty_typeEbEEZZNS1_14partition_implILS5_6ELb0ES3_mN6thrust23THRUST_200600_302600_NS6detail15normal_iteratorINSA_10device_ptrIdEEEEPS6_SG_NS0_5tupleIJSF_S6_EEENSH_IJSG_SG_EEES6_PlJNSB_9not_fun_tINSB_10functional5actorINSM_9compositeIJNSM_27transparent_binary_operatorINSA_8equal_toIvEEEENSN_INSM_8argumentILj0EEEEENSM_5valueIdEEEEEEEEEEEE10hipError_tPvRmT3_T4_T5_T6_T7_T9_mT8_P12ihipStream_tbDpT10_ENKUlT_T0_E_clISt17integral_constantIbLb1EES1K_EEDaS1F_S1G_EUlS1F_E_NS1_11comp_targetILNS1_3genE0ELNS1_11target_archE4294967295ELNS1_3gpuE0ELNS1_3repE0EEENS1_30default_config_static_selectorELNS0_4arch9wavefront6targetE0EEEvT1_.uses_vcc, 0
	.set _ZN7rocprim17ROCPRIM_400000_NS6detail17trampoline_kernelINS0_14default_configENS1_25partition_config_selectorILNS1_17partition_subalgoE6EdNS0_10empty_typeEbEEZZNS1_14partition_implILS5_6ELb0ES3_mN6thrust23THRUST_200600_302600_NS6detail15normal_iteratorINSA_10device_ptrIdEEEEPS6_SG_NS0_5tupleIJSF_S6_EEENSH_IJSG_SG_EEES6_PlJNSB_9not_fun_tINSB_10functional5actorINSM_9compositeIJNSM_27transparent_binary_operatorINSA_8equal_toIvEEEENSN_INSM_8argumentILj0EEEEENSM_5valueIdEEEEEEEEEEEE10hipError_tPvRmT3_T4_T5_T6_T7_T9_mT8_P12ihipStream_tbDpT10_ENKUlT_T0_E_clISt17integral_constantIbLb1EES1K_EEDaS1F_S1G_EUlS1F_E_NS1_11comp_targetILNS1_3genE0ELNS1_11target_archE4294967295ELNS1_3gpuE0ELNS1_3repE0EEENS1_30default_config_static_selectorELNS0_4arch9wavefront6targetE0EEEvT1_.uses_flat_scratch, 0
	.set _ZN7rocprim17ROCPRIM_400000_NS6detail17trampoline_kernelINS0_14default_configENS1_25partition_config_selectorILNS1_17partition_subalgoE6EdNS0_10empty_typeEbEEZZNS1_14partition_implILS5_6ELb0ES3_mN6thrust23THRUST_200600_302600_NS6detail15normal_iteratorINSA_10device_ptrIdEEEEPS6_SG_NS0_5tupleIJSF_S6_EEENSH_IJSG_SG_EEES6_PlJNSB_9not_fun_tINSB_10functional5actorINSM_9compositeIJNSM_27transparent_binary_operatorINSA_8equal_toIvEEEENSN_INSM_8argumentILj0EEEEENSM_5valueIdEEEEEEEEEEEE10hipError_tPvRmT3_T4_T5_T6_T7_T9_mT8_P12ihipStream_tbDpT10_ENKUlT_T0_E_clISt17integral_constantIbLb1EES1K_EEDaS1F_S1G_EUlS1F_E_NS1_11comp_targetILNS1_3genE0ELNS1_11target_archE4294967295ELNS1_3gpuE0ELNS1_3repE0EEENS1_30default_config_static_selectorELNS0_4arch9wavefront6targetE0EEEvT1_.has_dyn_sized_stack, 0
	.set _ZN7rocprim17ROCPRIM_400000_NS6detail17trampoline_kernelINS0_14default_configENS1_25partition_config_selectorILNS1_17partition_subalgoE6EdNS0_10empty_typeEbEEZZNS1_14partition_implILS5_6ELb0ES3_mN6thrust23THRUST_200600_302600_NS6detail15normal_iteratorINSA_10device_ptrIdEEEEPS6_SG_NS0_5tupleIJSF_S6_EEENSH_IJSG_SG_EEES6_PlJNSB_9not_fun_tINSB_10functional5actorINSM_9compositeIJNSM_27transparent_binary_operatorINSA_8equal_toIvEEEENSN_INSM_8argumentILj0EEEEENSM_5valueIdEEEEEEEEEEEE10hipError_tPvRmT3_T4_T5_T6_T7_T9_mT8_P12ihipStream_tbDpT10_ENKUlT_T0_E_clISt17integral_constantIbLb1EES1K_EEDaS1F_S1G_EUlS1F_E_NS1_11comp_targetILNS1_3genE0ELNS1_11target_archE4294967295ELNS1_3gpuE0ELNS1_3repE0EEENS1_30default_config_static_selectorELNS0_4arch9wavefront6targetE0EEEvT1_.has_recursion, 0
	.set _ZN7rocprim17ROCPRIM_400000_NS6detail17trampoline_kernelINS0_14default_configENS1_25partition_config_selectorILNS1_17partition_subalgoE6EdNS0_10empty_typeEbEEZZNS1_14partition_implILS5_6ELb0ES3_mN6thrust23THRUST_200600_302600_NS6detail15normal_iteratorINSA_10device_ptrIdEEEEPS6_SG_NS0_5tupleIJSF_S6_EEENSH_IJSG_SG_EEES6_PlJNSB_9not_fun_tINSB_10functional5actorINSM_9compositeIJNSM_27transparent_binary_operatorINSA_8equal_toIvEEEENSN_INSM_8argumentILj0EEEEENSM_5valueIdEEEEEEEEEEEE10hipError_tPvRmT3_T4_T5_T6_T7_T9_mT8_P12ihipStream_tbDpT10_ENKUlT_T0_E_clISt17integral_constantIbLb1EES1K_EEDaS1F_S1G_EUlS1F_E_NS1_11comp_targetILNS1_3genE0ELNS1_11target_archE4294967295ELNS1_3gpuE0ELNS1_3repE0EEENS1_30default_config_static_selectorELNS0_4arch9wavefront6targetE0EEEvT1_.has_indirect_call, 0
	.section	.AMDGPU.csdata,"",@progbits
; Kernel info:
; codeLenInByte = 0
; TotalNumSgprs: 0
; NumVgprs: 0
; ScratchSize: 0
; MemoryBound: 0
; FloatMode: 240
; IeeeMode: 1
; LDSByteSize: 0 bytes/workgroup (compile time only)
; SGPRBlocks: 0
; VGPRBlocks: 0
; NumSGPRsForWavesPerEU: 1
; NumVGPRsForWavesPerEU: 1
; Occupancy: 16
; WaveLimiterHint : 0
; COMPUTE_PGM_RSRC2:SCRATCH_EN: 0
; COMPUTE_PGM_RSRC2:USER_SGPR: 2
; COMPUTE_PGM_RSRC2:TRAP_HANDLER: 0
; COMPUTE_PGM_RSRC2:TGID_X_EN: 1
; COMPUTE_PGM_RSRC2:TGID_Y_EN: 0
; COMPUTE_PGM_RSRC2:TGID_Z_EN: 0
; COMPUTE_PGM_RSRC2:TIDIG_COMP_CNT: 0
	.section	.text._ZN7rocprim17ROCPRIM_400000_NS6detail17trampoline_kernelINS0_14default_configENS1_25partition_config_selectorILNS1_17partition_subalgoE6EdNS0_10empty_typeEbEEZZNS1_14partition_implILS5_6ELb0ES3_mN6thrust23THRUST_200600_302600_NS6detail15normal_iteratorINSA_10device_ptrIdEEEEPS6_SG_NS0_5tupleIJSF_S6_EEENSH_IJSG_SG_EEES6_PlJNSB_9not_fun_tINSB_10functional5actorINSM_9compositeIJNSM_27transparent_binary_operatorINSA_8equal_toIvEEEENSN_INSM_8argumentILj0EEEEENSM_5valueIdEEEEEEEEEEEE10hipError_tPvRmT3_T4_T5_T6_T7_T9_mT8_P12ihipStream_tbDpT10_ENKUlT_T0_E_clISt17integral_constantIbLb1EES1K_EEDaS1F_S1G_EUlS1F_E_NS1_11comp_targetILNS1_3genE5ELNS1_11target_archE942ELNS1_3gpuE9ELNS1_3repE0EEENS1_30default_config_static_selectorELNS0_4arch9wavefront6targetE0EEEvT1_,"axG",@progbits,_ZN7rocprim17ROCPRIM_400000_NS6detail17trampoline_kernelINS0_14default_configENS1_25partition_config_selectorILNS1_17partition_subalgoE6EdNS0_10empty_typeEbEEZZNS1_14partition_implILS5_6ELb0ES3_mN6thrust23THRUST_200600_302600_NS6detail15normal_iteratorINSA_10device_ptrIdEEEEPS6_SG_NS0_5tupleIJSF_S6_EEENSH_IJSG_SG_EEES6_PlJNSB_9not_fun_tINSB_10functional5actorINSM_9compositeIJNSM_27transparent_binary_operatorINSA_8equal_toIvEEEENSN_INSM_8argumentILj0EEEEENSM_5valueIdEEEEEEEEEEEE10hipError_tPvRmT3_T4_T5_T6_T7_T9_mT8_P12ihipStream_tbDpT10_ENKUlT_T0_E_clISt17integral_constantIbLb1EES1K_EEDaS1F_S1G_EUlS1F_E_NS1_11comp_targetILNS1_3genE5ELNS1_11target_archE942ELNS1_3gpuE9ELNS1_3repE0EEENS1_30default_config_static_selectorELNS0_4arch9wavefront6targetE0EEEvT1_,comdat
	.protected	_ZN7rocprim17ROCPRIM_400000_NS6detail17trampoline_kernelINS0_14default_configENS1_25partition_config_selectorILNS1_17partition_subalgoE6EdNS0_10empty_typeEbEEZZNS1_14partition_implILS5_6ELb0ES3_mN6thrust23THRUST_200600_302600_NS6detail15normal_iteratorINSA_10device_ptrIdEEEEPS6_SG_NS0_5tupleIJSF_S6_EEENSH_IJSG_SG_EEES6_PlJNSB_9not_fun_tINSB_10functional5actorINSM_9compositeIJNSM_27transparent_binary_operatorINSA_8equal_toIvEEEENSN_INSM_8argumentILj0EEEEENSM_5valueIdEEEEEEEEEEEE10hipError_tPvRmT3_T4_T5_T6_T7_T9_mT8_P12ihipStream_tbDpT10_ENKUlT_T0_E_clISt17integral_constantIbLb1EES1K_EEDaS1F_S1G_EUlS1F_E_NS1_11comp_targetILNS1_3genE5ELNS1_11target_archE942ELNS1_3gpuE9ELNS1_3repE0EEENS1_30default_config_static_selectorELNS0_4arch9wavefront6targetE0EEEvT1_ ; -- Begin function _ZN7rocprim17ROCPRIM_400000_NS6detail17trampoline_kernelINS0_14default_configENS1_25partition_config_selectorILNS1_17partition_subalgoE6EdNS0_10empty_typeEbEEZZNS1_14partition_implILS5_6ELb0ES3_mN6thrust23THRUST_200600_302600_NS6detail15normal_iteratorINSA_10device_ptrIdEEEEPS6_SG_NS0_5tupleIJSF_S6_EEENSH_IJSG_SG_EEES6_PlJNSB_9not_fun_tINSB_10functional5actorINSM_9compositeIJNSM_27transparent_binary_operatorINSA_8equal_toIvEEEENSN_INSM_8argumentILj0EEEEENSM_5valueIdEEEEEEEEEEEE10hipError_tPvRmT3_T4_T5_T6_T7_T9_mT8_P12ihipStream_tbDpT10_ENKUlT_T0_E_clISt17integral_constantIbLb1EES1K_EEDaS1F_S1G_EUlS1F_E_NS1_11comp_targetILNS1_3genE5ELNS1_11target_archE942ELNS1_3gpuE9ELNS1_3repE0EEENS1_30default_config_static_selectorELNS0_4arch9wavefront6targetE0EEEvT1_
	.globl	_ZN7rocprim17ROCPRIM_400000_NS6detail17trampoline_kernelINS0_14default_configENS1_25partition_config_selectorILNS1_17partition_subalgoE6EdNS0_10empty_typeEbEEZZNS1_14partition_implILS5_6ELb0ES3_mN6thrust23THRUST_200600_302600_NS6detail15normal_iteratorINSA_10device_ptrIdEEEEPS6_SG_NS0_5tupleIJSF_S6_EEENSH_IJSG_SG_EEES6_PlJNSB_9not_fun_tINSB_10functional5actorINSM_9compositeIJNSM_27transparent_binary_operatorINSA_8equal_toIvEEEENSN_INSM_8argumentILj0EEEEENSM_5valueIdEEEEEEEEEEEE10hipError_tPvRmT3_T4_T5_T6_T7_T9_mT8_P12ihipStream_tbDpT10_ENKUlT_T0_E_clISt17integral_constantIbLb1EES1K_EEDaS1F_S1G_EUlS1F_E_NS1_11comp_targetILNS1_3genE5ELNS1_11target_archE942ELNS1_3gpuE9ELNS1_3repE0EEENS1_30default_config_static_selectorELNS0_4arch9wavefront6targetE0EEEvT1_
	.p2align	8
	.type	_ZN7rocprim17ROCPRIM_400000_NS6detail17trampoline_kernelINS0_14default_configENS1_25partition_config_selectorILNS1_17partition_subalgoE6EdNS0_10empty_typeEbEEZZNS1_14partition_implILS5_6ELb0ES3_mN6thrust23THRUST_200600_302600_NS6detail15normal_iteratorINSA_10device_ptrIdEEEEPS6_SG_NS0_5tupleIJSF_S6_EEENSH_IJSG_SG_EEES6_PlJNSB_9not_fun_tINSB_10functional5actorINSM_9compositeIJNSM_27transparent_binary_operatorINSA_8equal_toIvEEEENSN_INSM_8argumentILj0EEEEENSM_5valueIdEEEEEEEEEEEE10hipError_tPvRmT3_T4_T5_T6_T7_T9_mT8_P12ihipStream_tbDpT10_ENKUlT_T0_E_clISt17integral_constantIbLb1EES1K_EEDaS1F_S1G_EUlS1F_E_NS1_11comp_targetILNS1_3genE5ELNS1_11target_archE942ELNS1_3gpuE9ELNS1_3repE0EEENS1_30default_config_static_selectorELNS0_4arch9wavefront6targetE0EEEvT1_,@function
_ZN7rocprim17ROCPRIM_400000_NS6detail17trampoline_kernelINS0_14default_configENS1_25partition_config_selectorILNS1_17partition_subalgoE6EdNS0_10empty_typeEbEEZZNS1_14partition_implILS5_6ELb0ES3_mN6thrust23THRUST_200600_302600_NS6detail15normal_iteratorINSA_10device_ptrIdEEEEPS6_SG_NS0_5tupleIJSF_S6_EEENSH_IJSG_SG_EEES6_PlJNSB_9not_fun_tINSB_10functional5actorINSM_9compositeIJNSM_27transparent_binary_operatorINSA_8equal_toIvEEEENSN_INSM_8argumentILj0EEEEENSM_5valueIdEEEEEEEEEEEE10hipError_tPvRmT3_T4_T5_T6_T7_T9_mT8_P12ihipStream_tbDpT10_ENKUlT_T0_E_clISt17integral_constantIbLb1EES1K_EEDaS1F_S1G_EUlS1F_E_NS1_11comp_targetILNS1_3genE5ELNS1_11target_archE942ELNS1_3gpuE9ELNS1_3repE0EEENS1_30default_config_static_selectorELNS0_4arch9wavefront6targetE0EEEvT1_: ; @_ZN7rocprim17ROCPRIM_400000_NS6detail17trampoline_kernelINS0_14default_configENS1_25partition_config_selectorILNS1_17partition_subalgoE6EdNS0_10empty_typeEbEEZZNS1_14partition_implILS5_6ELb0ES3_mN6thrust23THRUST_200600_302600_NS6detail15normal_iteratorINSA_10device_ptrIdEEEEPS6_SG_NS0_5tupleIJSF_S6_EEENSH_IJSG_SG_EEES6_PlJNSB_9not_fun_tINSB_10functional5actorINSM_9compositeIJNSM_27transparent_binary_operatorINSA_8equal_toIvEEEENSN_INSM_8argumentILj0EEEEENSM_5valueIdEEEEEEEEEEEE10hipError_tPvRmT3_T4_T5_T6_T7_T9_mT8_P12ihipStream_tbDpT10_ENKUlT_T0_E_clISt17integral_constantIbLb1EES1K_EEDaS1F_S1G_EUlS1F_E_NS1_11comp_targetILNS1_3genE5ELNS1_11target_archE942ELNS1_3gpuE9ELNS1_3repE0EEENS1_30default_config_static_selectorELNS0_4arch9wavefront6targetE0EEEvT1_
; %bb.0:
	.section	.rodata,"a",@progbits
	.p2align	6, 0x0
	.amdhsa_kernel _ZN7rocprim17ROCPRIM_400000_NS6detail17trampoline_kernelINS0_14default_configENS1_25partition_config_selectorILNS1_17partition_subalgoE6EdNS0_10empty_typeEbEEZZNS1_14partition_implILS5_6ELb0ES3_mN6thrust23THRUST_200600_302600_NS6detail15normal_iteratorINSA_10device_ptrIdEEEEPS6_SG_NS0_5tupleIJSF_S6_EEENSH_IJSG_SG_EEES6_PlJNSB_9not_fun_tINSB_10functional5actorINSM_9compositeIJNSM_27transparent_binary_operatorINSA_8equal_toIvEEEENSN_INSM_8argumentILj0EEEEENSM_5valueIdEEEEEEEEEEEE10hipError_tPvRmT3_T4_T5_T6_T7_T9_mT8_P12ihipStream_tbDpT10_ENKUlT_T0_E_clISt17integral_constantIbLb1EES1K_EEDaS1F_S1G_EUlS1F_E_NS1_11comp_targetILNS1_3genE5ELNS1_11target_archE942ELNS1_3gpuE9ELNS1_3repE0EEENS1_30default_config_static_selectorELNS0_4arch9wavefront6targetE0EEEvT1_
		.amdhsa_group_segment_fixed_size 0
		.amdhsa_private_segment_fixed_size 0
		.amdhsa_kernarg_size 136
		.amdhsa_user_sgpr_count 2
		.amdhsa_user_sgpr_dispatch_ptr 0
		.amdhsa_user_sgpr_queue_ptr 0
		.amdhsa_user_sgpr_kernarg_segment_ptr 1
		.amdhsa_user_sgpr_dispatch_id 0
		.amdhsa_user_sgpr_private_segment_size 0
		.amdhsa_wavefront_size32 1
		.amdhsa_uses_dynamic_stack 0
		.amdhsa_enable_private_segment 0
		.amdhsa_system_sgpr_workgroup_id_x 1
		.amdhsa_system_sgpr_workgroup_id_y 0
		.amdhsa_system_sgpr_workgroup_id_z 0
		.amdhsa_system_sgpr_workgroup_info 0
		.amdhsa_system_vgpr_workitem_id 0
		.amdhsa_next_free_vgpr 1
		.amdhsa_next_free_sgpr 1
		.amdhsa_reserve_vcc 0
		.amdhsa_float_round_mode_32 0
		.amdhsa_float_round_mode_16_64 0
		.amdhsa_float_denorm_mode_32 3
		.amdhsa_float_denorm_mode_16_64 3
		.amdhsa_fp16_overflow 0
		.amdhsa_workgroup_processor_mode 1
		.amdhsa_memory_ordered 1
		.amdhsa_forward_progress 1
		.amdhsa_inst_pref_size 0
		.amdhsa_round_robin_scheduling 0
		.amdhsa_exception_fp_ieee_invalid_op 0
		.amdhsa_exception_fp_denorm_src 0
		.amdhsa_exception_fp_ieee_div_zero 0
		.amdhsa_exception_fp_ieee_overflow 0
		.amdhsa_exception_fp_ieee_underflow 0
		.amdhsa_exception_fp_ieee_inexact 0
		.amdhsa_exception_int_div_zero 0
	.end_amdhsa_kernel
	.section	.text._ZN7rocprim17ROCPRIM_400000_NS6detail17trampoline_kernelINS0_14default_configENS1_25partition_config_selectorILNS1_17partition_subalgoE6EdNS0_10empty_typeEbEEZZNS1_14partition_implILS5_6ELb0ES3_mN6thrust23THRUST_200600_302600_NS6detail15normal_iteratorINSA_10device_ptrIdEEEEPS6_SG_NS0_5tupleIJSF_S6_EEENSH_IJSG_SG_EEES6_PlJNSB_9not_fun_tINSB_10functional5actorINSM_9compositeIJNSM_27transparent_binary_operatorINSA_8equal_toIvEEEENSN_INSM_8argumentILj0EEEEENSM_5valueIdEEEEEEEEEEEE10hipError_tPvRmT3_T4_T5_T6_T7_T9_mT8_P12ihipStream_tbDpT10_ENKUlT_T0_E_clISt17integral_constantIbLb1EES1K_EEDaS1F_S1G_EUlS1F_E_NS1_11comp_targetILNS1_3genE5ELNS1_11target_archE942ELNS1_3gpuE9ELNS1_3repE0EEENS1_30default_config_static_selectorELNS0_4arch9wavefront6targetE0EEEvT1_,"axG",@progbits,_ZN7rocprim17ROCPRIM_400000_NS6detail17trampoline_kernelINS0_14default_configENS1_25partition_config_selectorILNS1_17partition_subalgoE6EdNS0_10empty_typeEbEEZZNS1_14partition_implILS5_6ELb0ES3_mN6thrust23THRUST_200600_302600_NS6detail15normal_iteratorINSA_10device_ptrIdEEEEPS6_SG_NS0_5tupleIJSF_S6_EEENSH_IJSG_SG_EEES6_PlJNSB_9not_fun_tINSB_10functional5actorINSM_9compositeIJNSM_27transparent_binary_operatorINSA_8equal_toIvEEEENSN_INSM_8argumentILj0EEEEENSM_5valueIdEEEEEEEEEEEE10hipError_tPvRmT3_T4_T5_T6_T7_T9_mT8_P12ihipStream_tbDpT10_ENKUlT_T0_E_clISt17integral_constantIbLb1EES1K_EEDaS1F_S1G_EUlS1F_E_NS1_11comp_targetILNS1_3genE5ELNS1_11target_archE942ELNS1_3gpuE9ELNS1_3repE0EEENS1_30default_config_static_selectorELNS0_4arch9wavefront6targetE0EEEvT1_,comdat
.Lfunc_end21:
	.size	_ZN7rocprim17ROCPRIM_400000_NS6detail17trampoline_kernelINS0_14default_configENS1_25partition_config_selectorILNS1_17partition_subalgoE6EdNS0_10empty_typeEbEEZZNS1_14partition_implILS5_6ELb0ES3_mN6thrust23THRUST_200600_302600_NS6detail15normal_iteratorINSA_10device_ptrIdEEEEPS6_SG_NS0_5tupleIJSF_S6_EEENSH_IJSG_SG_EEES6_PlJNSB_9not_fun_tINSB_10functional5actorINSM_9compositeIJNSM_27transparent_binary_operatorINSA_8equal_toIvEEEENSN_INSM_8argumentILj0EEEEENSM_5valueIdEEEEEEEEEEEE10hipError_tPvRmT3_T4_T5_T6_T7_T9_mT8_P12ihipStream_tbDpT10_ENKUlT_T0_E_clISt17integral_constantIbLb1EES1K_EEDaS1F_S1G_EUlS1F_E_NS1_11comp_targetILNS1_3genE5ELNS1_11target_archE942ELNS1_3gpuE9ELNS1_3repE0EEENS1_30default_config_static_selectorELNS0_4arch9wavefront6targetE0EEEvT1_, .Lfunc_end21-_ZN7rocprim17ROCPRIM_400000_NS6detail17trampoline_kernelINS0_14default_configENS1_25partition_config_selectorILNS1_17partition_subalgoE6EdNS0_10empty_typeEbEEZZNS1_14partition_implILS5_6ELb0ES3_mN6thrust23THRUST_200600_302600_NS6detail15normal_iteratorINSA_10device_ptrIdEEEEPS6_SG_NS0_5tupleIJSF_S6_EEENSH_IJSG_SG_EEES6_PlJNSB_9not_fun_tINSB_10functional5actorINSM_9compositeIJNSM_27transparent_binary_operatorINSA_8equal_toIvEEEENSN_INSM_8argumentILj0EEEEENSM_5valueIdEEEEEEEEEEEE10hipError_tPvRmT3_T4_T5_T6_T7_T9_mT8_P12ihipStream_tbDpT10_ENKUlT_T0_E_clISt17integral_constantIbLb1EES1K_EEDaS1F_S1G_EUlS1F_E_NS1_11comp_targetILNS1_3genE5ELNS1_11target_archE942ELNS1_3gpuE9ELNS1_3repE0EEENS1_30default_config_static_selectorELNS0_4arch9wavefront6targetE0EEEvT1_
                                        ; -- End function
	.set _ZN7rocprim17ROCPRIM_400000_NS6detail17trampoline_kernelINS0_14default_configENS1_25partition_config_selectorILNS1_17partition_subalgoE6EdNS0_10empty_typeEbEEZZNS1_14partition_implILS5_6ELb0ES3_mN6thrust23THRUST_200600_302600_NS6detail15normal_iteratorINSA_10device_ptrIdEEEEPS6_SG_NS0_5tupleIJSF_S6_EEENSH_IJSG_SG_EEES6_PlJNSB_9not_fun_tINSB_10functional5actorINSM_9compositeIJNSM_27transparent_binary_operatorINSA_8equal_toIvEEEENSN_INSM_8argumentILj0EEEEENSM_5valueIdEEEEEEEEEEEE10hipError_tPvRmT3_T4_T5_T6_T7_T9_mT8_P12ihipStream_tbDpT10_ENKUlT_T0_E_clISt17integral_constantIbLb1EES1K_EEDaS1F_S1G_EUlS1F_E_NS1_11comp_targetILNS1_3genE5ELNS1_11target_archE942ELNS1_3gpuE9ELNS1_3repE0EEENS1_30default_config_static_selectorELNS0_4arch9wavefront6targetE0EEEvT1_.num_vgpr, 0
	.set _ZN7rocprim17ROCPRIM_400000_NS6detail17trampoline_kernelINS0_14default_configENS1_25partition_config_selectorILNS1_17partition_subalgoE6EdNS0_10empty_typeEbEEZZNS1_14partition_implILS5_6ELb0ES3_mN6thrust23THRUST_200600_302600_NS6detail15normal_iteratorINSA_10device_ptrIdEEEEPS6_SG_NS0_5tupleIJSF_S6_EEENSH_IJSG_SG_EEES6_PlJNSB_9not_fun_tINSB_10functional5actorINSM_9compositeIJNSM_27transparent_binary_operatorINSA_8equal_toIvEEEENSN_INSM_8argumentILj0EEEEENSM_5valueIdEEEEEEEEEEEE10hipError_tPvRmT3_T4_T5_T6_T7_T9_mT8_P12ihipStream_tbDpT10_ENKUlT_T0_E_clISt17integral_constantIbLb1EES1K_EEDaS1F_S1G_EUlS1F_E_NS1_11comp_targetILNS1_3genE5ELNS1_11target_archE942ELNS1_3gpuE9ELNS1_3repE0EEENS1_30default_config_static_selectorELNS0_4arch9wavefront6targetE0EEEvT1_.num_agpr, 0
	.set _ZN7rocprim17ROCPRIM_400000_NS6detail17trampoline_kernelINS0_14default_configENS1_25partition_config_selectorILNS1_17partition_subalgoE6EdNS0_10empty_typeEbEEZZNS1_14partition_implILS5_6ELb0ES3_mN6thrust23THRUST_200600_302600_NS6detail15normal_iteratorINSA_10device_ptrIdEEEEPS6_SG_NS0_5tupleIJSF_S6_EEENSH_IJSG_SG_EEES6_PlJNSB_9not_fun_tINSB_10functional5actorINSM_9compositeIJNSM_27transparent_binary_operatorINSA_8equal_toIvEEEENSN_INSM_8argumentILj0EEEEENSM_5valueIdEEEEEEEEEEEE10hipError_tPvRmT3_T4_T5_T6_T7_T9_mT8_P12ihipStream_tbDpT10_ENKUlT_T0_E_clISt17integral_constantIbLb1EES1K_EEDaS1F_S1G_EUlS1F_E_NS1_11comp_targetILNS1_3genE5ELNS1_11target_archE942ELNS1_3gpuE9ELNS1_3repE0EEENS1_30default_config_static_selectorELNS0_4arch9wavefront6targetE0EEEvT1_.numbered_sgpr, 0
	.set _ZN7rocprim17ROCPRIM_400000_NS6detail17trampoline_kernelINS0_14default_configENS1_25partition_config_selectorILNS1_17partition_subalgoE6EdNS0_10empty_typeEbEEZZNS1_14partition_implILS5_6ELb0ES3_mN6thrust23THRUST_200600_302600_NS6detail15normal_iteratorINSA_10device_ptrIdEEEEPS6_SG_NS0_5tupleIJSF_S6_EEENSH_IJSG_SG_EEES6_PlJNSB_9not_fun_tINSB_10functional5actorINSM_9compositeIJNSM_27transparent_binary_operatorINSA_8equal_toIvEEEENSN_INSM_8argumentILj0EEEEENSM_5valueIdEEEEEEEEEEEE10hipError_tPvRmT3_T4_T5_T6_T7_T9_mT8_P12ihipStream_tbDpT10_ENKUlT_T0_E_clISt17integral_constantIbLb1EES1K_EEDaS1F_S1G_EUlS1F_E_NS1_11comp_targetILNS1_3genE5ELNS1_11target_archE942ELNS1_3gpuE9ELNS1_3repE0EEENS1_30default_config_static_selectorELNS0_4arch9wavefront6targetE0EEEvT1_.num_named_barrier, 0
	.set _ZN7rocprim17ROCPRIM_400000_NS6detail17trampoline_kernelINS0_14default_configENS1_25partition_config_selectorILNS1_17partition_subalgoE6EdNS0_10empty_typeEbEEZZNS1_14partition_implILS5_6ELb0ES3_mN6thrust23THRUST_200600_302600_NS6detail15normal_iteratorINSA_10device_ptrIdEEEEPS6_SG_NS0_5tupleIJSF_S6_EEENSH_IJSG_SG_EEES6_PlJNSB_9not_fun_tINSB_10functional5actorINSM_9compositeIJNSM_27transparent_binary_operatorINSA_8equal_toIvEEEENSN_INSM_8argumentILj0EEEEENSM_5valueIdEEEEEEEEEEEE10hipError_tPvRmT3_T4_T5_T6_T7_T9_mT8_P12ihipStream_tbDpT10_ENKUlT_T0_E_clISt17integral_constantIbLb1EES1K_EEDaS1F_S1G_EUlS1F_E_NS1_11comp_targetILNS1_3genE5ELNS1_11target_archE942ELNS1_3gpuE9ELNS1_3repE0EEENS1_30default_config_static_selectorELNS0_4arch9wavefront6targetE0EEEvT1_.private_seg_size, 0
	.set _ZN7rocprim17ROCPRIM_400000_NS6detail17trampoline_kernelINS0_14default_configENS1_25partition_config_selectorILNS1_17partition_subalgoE6EdNS0_10empty_typeEbEEZZNS1_14partition_implILS5_6ELb0ES3_mN6thrust23THRUST_200600_302600_NS6detail15normal_iteratorINSA_10device_ptrIdEEEEPS6_SG_NS0_5tupleIJSF_S6_EEENSH_IJSG_SG_EEES6_PlJNSB_9not_fun_tINSB_10functional5actorINSM_9compositeIJNSM_27transparent_binary_operatorINSA_8equal_toIvEEEENSN_INSM_8argumentILj0EEEEENSM_5valueIdEEEEEEEEEEEE10hipError_tPvRmT3_T4_T5_T6_T7_T9_mT8_P12ihipStream_tbDpT10_ENKUlT_T0_E_clISt17integral_constantIbLb1EES1K_EEDaS1F_S1G_EUlS1F_E_NS1_11comp_targetILNS1_3genE5ELNS1_11target_archE942ELNS1_3gpuE9ELNS1_3repE0EEENS1_30default_config_static_selectorELNS0_4arch9wavefront6targetE0EEEvT1_.uses_vcc, 0
	.set _ZN7rocprim17ROCPRIM_400000_NS6detail17trampoline_kernelINS0_14default_configENS1_25partition_config_selectorILNS1_17partition_subalgoE6EdNS0_10empty_typeEbEEZZNS1_14partition_implILS5_6ELb0ES3_mN6thrust23THRUST_200600_302600_NS6detail15normal_iteratorINSA_10device_ptrIdEEEEPS6_SG_NS0_5tupleIJSF_S6_EEENSH_IJSG_SG_EEES6_PlJNSB_9not_fun_tINSB_10functional5actorINSM_9compositeIJNSM_27transparent_binary_operatorINSA_8equal_toIvEEEENSN_INSM_8argumentILj0EEEEENSM_5valueIdEEEEEEEEEEEE10hipError_tPvRmT3_T4_T5_T6_T7_T9_mT8_P12ihipStream_tbDpT10_ENKUlT_T0_E_clISt17integral_constantIbLb1EES1K_EEDaS1F_S1G_EUlS1F_E_NS1_11comp_targetILNS1_3genE5ELNS1_11target_archE942ELNS1_3gpuE9ELNS1_3repE0EEENS1_30default_config_static_selectorELNS0_4arch9wavefront6targetE0EEEvT1_.uses_flat_scratch, 0
	.set _ZN7rocprim17ROCPRIM_400000_NS6detail17trampoline_kernelINS0_14default_configENS1_25partition_config_selectorILNS1_17partition_subalgoE6EdNS0_10empty_typeEbEEZZNS1_14partition_implILS5_6ELb0ES3_mN6thrust23THRUST_200600_302600_NS6detail15normal_iteratorINSA_10device_ptrIdEEEEPS6_SG_NS0_5tupleIJSF_S6_EEENSH_IJSG_SG_EEES6_PlJNSB_9not_fun_tINSB_10functional5actorINSM_9compositeIJNSM_27transparent_binary_operatorINSA_8equal_toIvEEEENSN_INSM_8argumentILj0EEEEENSM_5valueIdEEEEEEEEEEEE10hipError_tPvRmT3_T4_T5_T6_T7_T9_mT8_P12ihipStream_tbDpT10_ENKUlT_T0_E_clISt17integral_constantIbLb1EES1K_EEDaS1F_S1G_EUlS1F_E_NS1_11comp_targetILNS1_3genE5ELNS1_11target_archE942ELNS1_3gpuE9ELNS1_3repE0EEENS1_30default_config_static_selectorELNS0_4arch9wavefront6targetE0EEEvT1_.has_dyn_sized_stack, 0
	.set _ZN7rocprim17ROCPRIM_400000_NS6detail17trampoline_kernelINS0_14default_configENS1_25partition_config_selectorILNS1_17partition_subalgoE6EdNS0_10empty_typeEbEEZZNS1_14partition_implILS5_6ELb0ES3_mN6thrust23THRUST_200600_302600_NS6detail15normal_iteratorINSA_10device_ptrIdEEEEPS6_SG_NS0_5tupleIJSF_S6_EEENSH_IJSG_SG_EEES6_PlJNSB_9not_fun_tINSB_10functional5actorINSM_9compositeIJNSM_27transparent_binary_operatorINSA_8equal_toIvEEEENSN_INSM_8argumentILj0EEEEENSM_5valueIdEEEEEEEEEEEE10hipError_tPvRmT3_T4_T5_T6_T7_T9_mT8_P12ihipStream_tbDpT10_ENKUlT_T0_E_clISt17integral_constantIbLb1EES1K_EEDaS1F_S1G_EUlS1F_E_NS1_11comp_targetILNS1_3genE5ELNS1_11target_archE942ELNS1_3gpuE9ELNS1_3repE0EEENS1_30default_config_static_selectorELNS0_4arch9wavefront6targetE0EEEvT1_.has_recursion, 0
	.set _ZN7rocprim17ROCPRIM_400000_NS6detail17trampoline_kernelINS0_14default_configENS1_25partition_config_selectorILNS1_17partition_subalgoE6EdNS0_10empty_typeEbEEZZNS1_14partition_implILS5_6ELb0ES3_mN6thrust23THRUST_200600_302600_NS6detail15normal_iteratorINSA_10device_ptrIdEEEEPS6_SG_NS0_5tupleIJSF_S6_EEENSH_IJSG_SG_EEES6_PlJNSB_9not_fun_tINSB_10functional5actorINSM_9compositeIJNSM_27transparent_binary_operatorINSA_8equal_toIvEEEENSN_INSM_8argumentILj0EEEEENSM_5valueIdEEEEEEEEEEEE10hipError_tPvRmT3_T4_T5_T6_T7_T9_mT8_P12ihipStream_tbDpT10_ENKUlT_T0_E_clISt17integral_constantIbLb1EES1K_EEDaS1F_S1G_EUlS1F_E_NS1_11comp_targetILNS1_3genE5ELNS1_11target_archE942ELNS1_3gpuE9ELNS1_3repE0EEENS1_30default_config_static_selectorELNS0_4arch9wavefront6targetE0EEEvT1_.has_indirect_call, 0
	.section	.AMDGPU.csdata,"",@progbits
; Kernel info:
; codeLenInByte = 0
; TotalNumSgprs: 0
; NumVgprs: 0
; ScratchSize: 0
; MemoryBound: 0
; FloatMode: 240
; IeeeMode: 1
; LDSByteSize: 0 bytes/workgroup (compile time only)
; SGPRBlocks: 0
; VGPRBlocks: 0
; NumSGPRsForWavesPerEU: 1
; NumVGPRsForWavesPerEU: 1
; Occupancy: 16
; WaveLimiterHint : 0
; COMPUTE_PGM_RSRC2:SCRATCH_EN: 0
; COMPUTE_PGM_RSRC2:USER_SGPR: 2
; COMPUTE_PGM_RSRC2:TRAP_HANDLER: 0
; COMPUTE_PGM_RSRC2:TGID_X_EN: 1
; COMPUTE_PGM_RSRC2:TGID_Y_EN: 0
; COMPUTE_PGM_RSRC2:TGID_Z_EN: 0
; COMPUTE_PGM_RSRC2:TIDIG_COMP_CNT: 0
	.section	.text._ZN7rocprim17ROCPRIM_400000_NS6detail17trampoline_kernelINS0_14default_configENS1_25partition_config_selectorILNS1_17partition_subalgoE6EdNS0_10empty_typeEbEEZZNS1_14partition_implILS5_6ELb0ES3_mN6thrust23THRUST_200600_302600_NS6detail15normal_iteratorINSA_10device_ptrIdEEEEPS6_SG_NS0_5tupleIJSF_S6_EEENSH_IJSG_SG_EEES6_PlJNSB_9not_fun_tINSB_10functional5actorINSM_9compositeIJNSM_27transparent_binary_operatorINSA_8equal_toIvEEEENSN_INSM_8argumentILj0EEEEENSM_5valueIdEEEEEEEEEEEE10hipError_tPvRmT3_T4_T5_T6_T7_T9_mT8_P12ihipStream_tbDpT10_ENKUlT_T0_E_clISt17integral_constantIbLb1EES1K_EEDaS1F_S1G_EUlS1F_E_NS1_11comp_targetILNS1_3genE4ELNS1_11target_archE910ELNS1_3gpuE8ELNS1_3repE0EEENS1_30default_config_static_selectorELNS0_4arch9wavefront6targetE0EEEvT1_,"axG",@progbits,_ZN7rocprim17ROCPRIM_400000_NS6detail17trampoline_kernelINS0_14default_configENS1_25partition_config_selectorILNS1_17partition_subalgoE6EdNS0_10empty_typeEbEEZZNS1_14partition_implILS5_6ELb0ES3_mN6thrust23THRUST_200600_302600_NS6detail15normal_iteratorINSA_10device_ptrIdEEEEPS6_SG_NS0_5tupleIJSF_S6_EEENSH_IJSG_SG_EEES6_PlJNSB_9not_fun_tINSB_10functional5actorINSM_9compositeIJNSM_27transparent_binary_operatorINSA_8equal_toIvEEEENSN_INSM_8argumentILj0EEEEENSM_5valueIdEEEEEEEEEEEE10hipError_tPvRmT3_T4_T5_T6_T7_T9_mT8_P12ihipStream_tbDpT10_ENKUlT_T0_E_clISt17integral_constantIbLb1EES1K_EEDaS1F_S1G_EUlS1F_E_NS1_11comp_targetILNS1_3genE4ELNS1_11target_archE910ELNS1_3gpuE8ELNS1_3repE0EEENS1_30default_config_static_selectorELNS0_4arch9wavefront6targetE0EEEvT1_,comdat
	.protected	_ZN7rocprim17ROCPRIM_400000_NS6detail17trampoline_kernelINS0_14default_configENS1_25partition_config_selectorILNS1_17partition_subalgoE6EdNS0_10empty_typeEbEEZZNS1_14partition_implILS5_6ELb0ES3_mN6thrust23THRUST_200600_302600_NS6detail15normal_iteratorINSA_10device_ptrIdEEEEPS6_SG_NS0_5tupleIJSF_S6_EEENSH_IJSG_SG_EEES6_PlJNSB_9not_fun_tINSB_10functional5actorINSM_9compositeIJNSM_27transparent_binary_operatorINSA_8equal_toIvEEEENSN_INSM_8argumentILj0EEEEENSM_5valueIdEEEEEEEEEEEE10hipError_tPvRmT3_T4_T5_T6_T7_T9_mT8_P12ihipStream_tbDpT10_ENKUlT_T0_E_clISt17integral_constantIbLb1EES1K_EEDaS1F_S1G_EUlS1F_E_NS1_11comp_targetILNS1_3genE4ELNS1_11target_archE910ELNS1_3gpuE8ELNS1_3repE0EEENS1_30default_config_static_selectorELNS0_4arch9wavefront6targetE0EEEvT1_ ; -- Begin function _ZN7rocprim17ROCPRIM_400000_NS6detail17trampoline_kernelINS0_14default_configENS1_25partition_config_selectorILNS1_17partition_subalgoE6EdNS0_10empty_typeEbEEZZNS1_14partition_implILS5_6ELb0ES3_mN6thrust23THRUST_200600_302600_NS6detail15normal_iteratorINSA_10device_ptrIdEEEEPS6_SG_NS0_5tupleIJSF_S6_EEENSH_IJSG_SG_EEES6_PlJNSB_9not_fun_tINSB_10functional5actorINSM_9compositeIJNSM_27transparent_binary_operatorINSA_8equal_toIvEEEENSN_INSM_8argumentILj0EEEEENSM_5valueIdEEEEEEEEEEEE10hipError_tPvRmT3_T4_T5_T6_T7_T9_mT8_P12ihipStream_tbDpT10_ENKUlT_T0_E_clISt17integral_constantIbLb1EES1K_EEDaS1F_S1G_EUlS1F_E_NS1_11comp_targetILNS1_3genE4ELNS1_11target_archE910ELNS1_3gpuE8ELNS1_3repE0EEENS1_30default_config_static_selectorELNS0_4arch9wavefront6targetE0EEEvT1_
	.globl	_ZN7rocprim17ROCPRIM_400000_NS6detail17trampoline_kernelINS0_14default_configENS1_25partition_config_selectorILNS1_17partition_subalgoE6EdNS0_10empty_typeEbEEZZNS1_14partition_implILS5_6ELb0ES3_mN6thrust23THRUST_200600_302600_NS6detail15normal_iteratorINSA_10device_ptrIdEEEEPS6_SG_NS0_5tupleIJSF_S6_EEENSH_IJSG_SG_EEES6_PlJNSB_9not_fun_tINSB_10functional5actorINSM_9compositeIJNSM_27transparent_binary_operatorINSA_8equal_toIvEEEENSN_INSM_8argumentILj0EEEEENSM_5valueIdEEEEEEEEEEEE10hipError_tPvRmT3_T4_T5_T6_T7_T9_mT8_P12ihipStream_tbDpT10_ENKUlT_T0_E_clISt17integral_constantIbLb1EES1K_EEDaS1F_S1G_EUlS1F_E_NS1_11comp_targetILNS1_3genE4ELNS1_11target_archE910ELNS1_3gpuE8ELNS1_3repE0EEENS1_30default_config_static_selectorELNS0_4arch9wavefront6targetE0EEEvT1_
	.p2align	8
	.type	_ZN7rocprim17ROCPRIM_400000_NS6detail17trampoline_kernelINS0_14default_configENS1_25partition_config_selectorILNS1_17partition_subalgoE6EdNS0_10empty_typeEbEEZZNS1_14partition_implILS5_6ELb0ES3_mN6thrust23THRUST_200600_302600_NS6detail15normal_iteratorINSA_10device_ptrIdEEEEPS6_SG_NS0_5tupleIJSF_S6_EEENSH_IJSG_SG_EEES6_PlJNSB_9not_fun_tINSB_10functional5actorINSM_9compositeIJNSM_27transparent_binary_operatorINSA_8equal_toIvEEEENSN_INSM_8argumentILj0EEEEENSM_5valueIdEEEEEEEEEEEE10hipError_tPvRmT3_T4_T5_T6_T7_T9_mT8_P12ihipStream_tbDpT10_ENKUlT_T0_E_clISt17integral_constantIbLb1EES1K_EEDaS1F_S1G_EUlS1F_E_NS1_11comp_targetILNS1_3genE4ELNS1_11target_archE910ELNS1_3gpuE8ELNS1_3repE0EEENS1_30default_config_static_selectorELNS0_4arch9wavefront6targetE0EEEvT1_,@function
_ZN7rocprim17ROCPRIM_400000_NS6detail17trampoline_kernelINS0_14default_configENS1_25partition_config_selectorILNS1_17partition_subalgoE6EdNS0_10empty_typeEbEEZZNS1_14partition_implILS5_6ELb0ES3_mN6thrust23THRUST_200600_302600_NS6detail15normal_iteratorINSA_10device_ptrIdEEEEPS6_SG_NS0_5tupleIJSF_S6_EEENSH_IJSG_SG_EEES6_PlJNSB_9not_fun_tINSB_10functional5actorINSM_9compositeIJNSM_27transparent_binary_operatorINSA_8equal_toIvEEEENSN_INSM_8argumentILj0EEEEENSM_5valueIdEEEEEEEEEEEE10hipError_tPvRmT3_T4_T5_T6_T7_T9_mT8_P12ihipStream_tbDpT10_ENKUlT_T0_E_clISt17integral_constantIbLb1EES1K_EEDaS1F_S1G_EUlS1F_E_NS1_11comp_targetILNS1_3genE4ELNS1_11target_archE910ELNS1_3gpuE8ELNS1_3repE0EEENS1_30default_config_static_selectorELNS0_4arch9wavefront6targetE0EEEvT1_: ; @_ZN7rocprim17ROCPRIM_400000_NS6detail17trampoline_kernelINS0_14default_configENS1_25partition_config_selectorILNS1_17partition_subalgoE6EdNS0_10empty_typeEbEEZZNS1_14partition_implILS5_6ELb0ES3_mN6thrust23THRUST_200600_302600_NS6detail15normal_iteratorINSA_10device_ptrIdEEEEPS6_SG_NS0_5tupleIJSF_S6_EEENSH_IJSG_SG_EEES6_PlJNSB_9not_fun_tINSB_10functional5actorINSM_9compositeIJNSM_27transparent_binary_operatorINSA_8equal_toIvEEEENSN_INSM_8argumentILj0EEEEENSM_5valueIdEEEEEEEEEEEE10hipError_tPvRmT3_T4_T5_T6_T7_T9_mT8_P12ihipStream_tbDpT10_ENKUlT_T0_E_clISt17integral_constantIbLb1EES1K_EEDaS1F_S1G_EUlS1F_E_NS1_11comp_targetILNS1_3genE4ELNS1_11target_archE910ELNS1_3gpuE8ELNS1_3repE0EEENS1_30default_config_static_selectorELNS0_4arch9wavefront6targetE0EEEvT1_
; %bb.0:
	.section	.rodata,"a",@progbits
	.p2align	6, 0x0
	.amdhsa_kernel _ZN7rocprim17ROCPRIM_400000_NS6detail17trampoline_kernelINS0_14default_configENS1_25partition_config_selectorILNS1_17partition_subalgoE6EdNS0_10empty_typeEbEEZZNS1_14partition_implILS5_6ELb0ES3_mN6thrust23THRUST_200600_302600_NS6detail15normal_iteratorINSA_10device_ptrIdEEEEPS6_SG_NS0_5tupleIJSF_S6_EEENSH_IJSG_SG_EEES6_PlJNSB_9not_fun_tINSB_10functional5actorINSM_9compositeIJNSM_27transparent_binary_operatorINSA_8equal_toIvEEEENSN_INSM_8argumentILj0EEEEENSM_5valueIdEEEEEEEEEEEE10hipError_tPvRmT3_T4_T5_T6_T7_T9_mT8_P12ihipStream_tbDpT10_ENKUlT_T0_E_clISt17integral_constantIbLb1EES1K_EEDaS1F_S1G_EUlS1F_E_NS1_11comp_targetILNS1_3genE4ELNS1_11target_archE910ELNS1_3gpuE8ELNS1_3repE0EEENS1_30default_config_static_selectorELNS0_4arch9wavefront6targetE0EEEvT1_
		.amdhsa_group_segment_fixed_size 0
		.amdhsa_private_segment_fixed_size 0
		.amdhsa_kernarg_size 136
		.amdhsa_user_sgpr_count 2
		.amdhsa_user_sgpr_dispatch_ptr 0
		.amdhsa_user_sgpr_queue_ptr 0
		.amdhsa_user_sgpr_kernarg_segment_ptr 1
		.amdhsa_user_sgpr_dispatch_id 0
		.amdhsa_user_sgpr_private_segment_size 0
		.amdhsa_wavefront_size32 1
		.amdhsa_uses_dynamic_stack 0
		.amdhsa_enable_private_segment 0
		.amdhsa_system_sgpr_workgroup_id_x 1
		.amdhsa_system_sgpr_workgroup_id_y 0
		.amdhsa_system_sgpr_workgroup_id_z 0
		.amdhsa_system_sgpr_workgroup_info 0
		.amdhsa_system_vgpr_workitem_id 0
		.amdhsa_next_free_vgpr 1
		.amdhsa_next_free_sgpr 1
		.amdhsa_reserve_vcc 0
		.amdhsa_float_round_mode_32 0
		.amdhsa_float_round_mode_16_64 0
		.amdhsa_float_denorm_mode_32 3
		.amdhsa_float_denorm_mode_16_64 3
		.amdhsa_fp16_overflow 0
		.amdhsa_workgroup_processor_mode 1
		.amdhsa_memory_ordered 1
		.amdhsa_forward_progress 1
		.amdhsa_inst_pref_size 0
		.amdhsa_round_robin_scheduling 0
		.amdhsa_exception_fp_ieee_invalid_op 0
		.amdhsa_exception_fp_denorm_src 0
		.amdhsa_exception_fp_ieee_div_zero 0
		.amdhsa_exception_fp_ieee_overflow 0
		.amdhsa_exception_fp_ieee_underflow 0
		.amdhsa_exception_fp_ieee_inexact 0
		.amdhsa_exception_int_div_zero 0
	.end_amdhsa_kernel
	.section	.text._ZN7rocprim17ROCPRIM_400000_NS6detail17trampoline_kernelINS0_14default_configENS1_25partition_config_selectorILNS1_17partition_subalgoE6EdNS0_10empty_typeEbEEZZNS1_14partition_implILS5_6ELb0ES3_mN6thrust23THRUST_200600_302600_NS6detail15normal_iteratorINSA_10device_ptrIdEEEEPS6_SG_NS0_5tupleIJSF_S6_EEENSH_IJSG_SG_EEES6_PlJNSB_9not_fun_tINSB_10functional5actorINSM_9compositeIJNSM_27transparent_binary_operatorINSA_8equal_toIvEEEENSN_INSM_8argumentILj0EEEEENSM_5valueIdEEEEEEEEEEEE10hipError_tPvRmT3_T4_T5_T6_T7_T9_mT8_P12ihipStream_tbDpT10_ENKUlT_T0_E_clISt17integral_constantIbLb1EES1K_EEDaS1F_S1G_EUlS1F_E_NS1_11comp_targetILNS1_3genE4ELNS1_11target_archE910ELNS1_3gpuE8ELNS1_3repE0EEENS1_30default_config_static_selectorELNS0_4arch9wavefront6targetE0EEEvT1_,"axG",@progbits,_ZN7rocprim17ROCPRIM_400000_NS6detail17trampoline_kernelINS0_14default_configENS1_25partition_config_selectorILNS1_17partition_subalgoE6EdNS0_10empty_typeEbEEZZNS1_14partition_implILS5_6ELb0ES3_mN6thrust23THRUST_200600_302600_NS6detail15normal_iteratorINSA_10device_ptrIdEEEEPS6_SG_NS0_5tupleIJSF_S6_EEENSH_IJSG_SG_EEES6_PlJNSB_9not_fun_tINSB_10functional5actorINSM_9compositeIJNSM_27transparent_binary_operatorINSA_8equal_toIvEEEENSN_INSM_8argumentILj0EEEEENSM_5valueIdEEEEEEEEEEEE10hipError_tPvRmT3_T4_T5_T6_T7_T9_mT8_P12ihipStream_tbDpT10_ENKUlT_T0_E_clISt17integral_constantIbLb1EES1K_EEDaS1F_S1G_EUlS1F_E_NS1_11comp_targetILNS1_3genE4ELNS1_11target_archE910ELNS1_3gpuE8ELNS1_3repE0EEENS1_30default_config_static_selectorELNS0_4arch9wavefront6targetE0EEEvT1_,comdat
.Lfunc_end22:
	.size	_ZN7rocprim17ROCPRIM_400000_NS6detail17trampoline_kernelINS0_14default_configENS1_25partition_config_selectorILNS1_17partition_subalgoE6EdNS0_10empty_typeEbEEZZNS1_14partition_implILS5_6ELb0ES3_mN6thrust23THRUST_200600_302600_NS6detail15normal_iteratorINSA_10device_ptrIdEEEEPS6_SG_NS0_5tupleIJSF_S6_EEENSH_IJSG_SG_EEES6_PlJNSB_9not_fun_tINSB_10functional5actorINSM_9compositeIJNSM_27transparent_binary_operatorINSA_8equal_toIvEEEENSN_INSM_8argumentILj0EEEEENSM_5valueIdEEEEEEEEEEEE10hipError_tPvRmT3_T4_T5_T6_T7_T9_mT8_P12ihipStream_tbDpT10_ENKUlT_T0_E_clISt17integral_constantIbLb1EES1K_EEDaS1F_S1G_EUlS1F_E_NS1_11comp_targetILNS1_3genE4ELNS1_11target_archE910ELNS1_3gpuE8ELNS1_3repE0EEENS1_30default_config_static_selectorELNS0_4arch9wavefront6targetE0EEEvT1_, .Lfunc_end22-_ZN7rocprim17ROCPRIM_400000_NS6detail17trampoline_kernelINS0_14default_configENS1_25partition_config_selectorILNS1_17partition_subalgoE6EdNS0_10empty_typeEbEEZZNS1_14partition_implILS5_6ELb0ES3_mN6thrust23THRUST_200600_302600_NS6detail15normal_iteratorINSA_10device_ptrIdEEEEPS6_SG_NS0_5tupleIJSF_S6_EEENSH_IJSG_SG_EEES6_PlJNSB_9not_fun_tINSB_10functional5actorINSM_9compositeIJNSM_27transparent_binary_operatorINSA_8equal_toIvEEEENSN_INSM_8argumentILj0EEEEENSM_5valueIdEEEEEEEEEEEE10hipError_tPvRmT3_T4_T5_T6_T7_T9_mT8_P12ihipStream_tbDpT10_ENKUlT_T0_E_clISt17integral_constantIbLb1EES1K_EEDaS1F_S1G_EUlS1F_E_NS1_11comp_targetILNS1_3genE4ELNS1_11target_archE910ELNS1_3gpuE8ELNS1_3repE0EEENS1_30default_config_static_selectorELNS0_4arch9wavefront6targetE0EEEvT1_
                                        ; -- End function
	.set _ZN7rocprim17ROCPRIM_400000_NS6detail17trampoline_kernelINS0_14default_configENS1_25partition_config_selectorILNS1_17partition_subalgoE6EdNS0_10empty_typeEbEEZZNS1_14partition_implILS5_6ELb0ES3_mN6thrust23THRUST_200600_302600_NS6detail15normal_iteratorINSA_10device_ptrIdEEEEPS6_SG_NS0_5tupleIJSF_S6_EEENSH_IJSG_SG_EEES6_PlJNSB_9not_fun_tINSB_10functional5actorINSM_9compositeIJNSM_27transparent_binary_operatorINSA_8equal_toIvEEEENSN_INSM_8argumentILj0EEEEENSM_5valueIdEEEEEEEEEEEE10hipError_tPvRmT3_T4_T5_T6_T7_T9_mT8_P12ihipStream_tbDpT10_ENKUlT_T0_E_clISt17integral_constantIbLb1EES1K_EEDaS1F_S1G_EUlS1F_E_NS1_11comp_targetILNS1_3genE4ELNS1_11target_archE910ELNS1_3gpuE8ELNS1_3repE0EEENS1_30default_config_static_selectorELNS0_4arch9wavefront6targetE0EEEvT1_.num_vgpr, 0
	.set _ZN7rocprim17ROCPRIM_400000_NS6detail17trampoline_kernelINS0_14default_configENS1_25partition_config_selectorILNS1_17partition_subalgoE6EdNS0_10empty_typeEbEEZZNS1_14partition_implILS5_6ELb0ES3_mN6thrust23THRUST_200600_302600_NS6detail15normal_iteratorINSA_10device_ptrIdEEEEPS6_SG_NS0_5tupleIJSF_S6_EEENSH_IJSG_SG_EEES6_PlJNSB_9not_fun_tINSB_10functional5actorINSM_9compositeIJNSM_27transparent_binary_operatorINSA_8equal_toIvEEEENSN_INSM_8argumentILj0EEEEENSM_5valueIdEEEEEEEEEEEE10hipError_tPvRmT3_T4_T5_T6_T7_T9_mT8_P12ihipStream_tbDpT10_ENKUlT_T0_E_clISt17integral_constantIbLb1EES1K_EEDaS1F_S1G_EUlS1F_E_NS1_11comp_targetILNS1_3genE4ELNS1_11target_archE910ELNS1_3gpuE8ELNS1_3repE0EEENS1_30default_config_static_selectorELNS0_4arch9wavefront6targetE0EEEvT1_.num_agpr, 0
	.set _ZN7rocprim17ROCPRIM_400000_NS6detail17trampoline_kernelINS0_14default_configENS1_25partition_config_selectorILNS1_17partition_subalgoE6EdNS0_10empty_typeEbEEZZNS1_14partition_implILS5_6ELb0ES3_mN6thrust23THRUST_200600_302600_NS6detail15normal_iteratorINSA_10device_ptrIdEEEEPS6_SG_NS0_5tupleIJSF_S6_EEENSH_IJSG_SG_EEES6_PlJNSB_9not_fun_tINSB_10functional5actorINSM_9compositeIJNSM_27transparent_binary_operatorINSA_8equal_toIvEEEENSN_INSM_8argumentILj0EEEEENSM_5valueIdEEEEEEEEEEEE10hipError_tPvRmT3_T4_T5_T6_T7_T9_mT8_P12ihipStream_tbDpT10_ENKUlT_T0_E_clISt17integral_constantIbLb1EES1K_EEDaS1F_S1G_EUlS1F_E_NS1_11comp_targetILNS1_3genE4ELNS1_11target_archE910ELNS1_3gpuE8ELNS1_3repE0EEENS1_30default_config_static_selectorELNS0_4arch9wavefront6targetE0EEEvT1_.numbered_sgpr, 0
	.set _ZN7rocprim17ROCPRIM_400000_NS6detail17trampoline_kernelINS0_14default_configENS1_25partition_config_selectorILNS1_17partition_subalgoE6EdNS0_10empty_typeEbEEZZNS1_14partition_implILS5_6ELb0ES3_mN6thrust23THRUST_200600_302600_NS6detail15normal_iteratorINSA_10device_ptrIdEEEEPS6_SG_NS0_5tupleIJSF_S6_EEENSH_IJSG_SG_EEES6_PlJNSB_9not_fun_tINSB_10functional5actorINSM_9compositeIJNSM_27transparent_binary_operatorINSA_8equal_toIvEEEENSN_INSM_8argumentILj0EEEEENSM_5valueIdEEEEEEEEEEEE10hipError_tPvRmT3_T4_T5_T6_T7_T9_mT8_P12ihipStream_tbDpT10_ENKUlT_T0_E_clISt17integral_constantIbLb1EES1K_EEDaS1F_S1G_EUlS1F_E_NS1_11comp_targetILNS1_3genE4ELNS1_11target_archE910ELNS1_3gpuE8ELNS1_3repE0EEENS1_30default_config_static_selectorELNS0_4arch9wavefront6targetE0EEEvT1_.num_named_barrier, 0
	.set _ZN7rocprim17ROCPRIM_400000_NS6detail17trampoline_kernelINS0_14default_configENS1_25partition_config_selectorILNS1_17partition_subalgoE6EdNS0_10empty_typeEbEEZZNS1_14partition_implILS5_6ELb0ES3_mN6thrust23THRUST_200600_302600_NS6detail15normal_iteratorINSA_10device_ptrIdEEEEPS6_SG_NS0_5tupleIJSF_S6_EEENSH_IJSG_SG_EEES6_PlJNSB_9not_fun_tINSB_10functional5actorINSM_9compositeIJNSM_27transparent_binary_operatorINSA_8equal_toIvEEEENSN_INSM_8argumentILj0EEEEENSM_5valueIdEEEEEEEEEEEE10hipError_tPvRmT3_T4_T5_T6_T7_T9_mT8_P12ihipStream_tbDpT10_ENKUlT_T0_E_clISt17integral_constantIbLb1EES1K_EEDaS1F_S1G_EUlS1F_E_NS1_11comp_targetILNS1_3genE4ELNS1_11target_archE910ELNS1_3gpuE8ELNS1_3repE0EEENS1_30default_config_static_selectorELNS0_4arch9wavefront6targetE0EEEvT1_.private_seg_size, 0
	.set _ZN7rocprim17ROCPRIM_400000_NS6detail17trampoline_kernelINS0_14default_configENS1_25partition_config_selectorILNS1_17partition_subalgoE6EdNS0_10empty_typeEbEEZZNS1_14partition_implILS5_6ELb0ES3_mN6thrust23THRUST_200600_302600_NS6detail15normal_iteratorINSA_10device_ptrIdEEEEPS6_SG_NS0_5tupleIJSF_S6_EEENSH_IJSG_SG_EEES6_PlJNSB_9not_fun_tINSB_10functional5actorINSM_9compositeIJNSM_27transparent_binary_operatorINSA_8equal_toIvEEEENSN_INSM_8argumentILj0EEEEENSM_5valueIdEEEEEEEEEEEE10hipError_tPvRmT3_T4_T5_T6_T7_T9_mT8_P12ihipStream_tbDpT10_ENKUlT_T0_E_clISt17integral_constantIbLb1EES1K_EEDaS1F_S1G_EUlS1F_E_NS1_11comp_targetILNS1_3genE4ELNS1_11target_archE910ELNS1_3gpuE8ELNS1_3repE0EEENS1_30default_config_static_selectorELNS0_4arch9wavefront6targetE0EEEvT1_.uses_vcc, 0
	.set _ZN7rocprim17ROCPRIM_400000_NS6detail17trampoline_kernelINS0_14default_configENS1_25partition_config_selectorILNS1_17partition_subalgoE6EdNS0_10empty_typeEbEEZZNS1_14partition_implILS5_6ELb0ES3_mN6thrust23THRUST_200600_302600_NS6detail15normal_iteratorINSA_10device_ptrIdEEEEPS6_SG_NS0_5tupleIJSF_S6_EEENSH_IJSG_SG_EEES6_PlJNSB_9not_fun_tINSB_10functional5actorINSM_9compositeIJNSM_27transparent_binary_operatorINSA_8equal_toIvEEEENSN_INSM_8argumentILj0EEEEENSM_5valueIdEEEEEEEEEEEE10hipError_tPvRmT3_T4_T5_T6_T7_T9_mT8_P12ihipStream_tbDpT10_ENKUlT_T0_E_clISt17integral_constantIbLb1EES1K_EEDaS1F_S1G_EUlS1F_E_NS1_11comp_targetILNS1_3genE4ELNS1_11target_archE910ELNS1_3gpuE8ELNS1_3repE0EEENS1_30default_config_static_selectorELNS0_4arch9wavefront6targetE0EEEvT1_.uses_flat_scratch, 0
	.set _ZN7rocprim17ROCPRIM_400000_NS6detail17trampoline_kernelINS0_14default_configENS1_25partition_config_selectorILNS1_17partition_subalgoE6EdNS0_10empty_typeEbEEZZNS1_14partition_implILS5_6ELb0ES3_mN6thrust23THRUST_200600_302600_NS6detail15normal_iteratorINSA_10device_ptrIdEEEEPS6_SG_NS0_5tupleIJSF_S6_EEENSH_IJSG_SG_EEES6_PlJNSB_9not_fun_tINSB_10functional5actorINSM_9compositeIJNSM_27transparent_binary_operatorINSA_8equal_toIvEEEENSN_INSM_8argumentILj0EEEEENSM_5valueIdEEEEEEEEEEEE10hipError_tPvRmT3_T4_T5_T6_T7_T9_mT8_P12ihipStream_tbDpT10_ENKUlT_T0_E_clISt17integral_constantIbLb1EES1K_EEDaS1F_S1G_EUlS1F_E_NS1_11comp_targetILNS1_3genE4ELNS1_11target_archE910ELNS1_3gpuE8ELNS1_3repE0EEENS1_30default_config_static_selectorELNS0_4arch9wavefront6targetE0EEEvT1_.has_dyn_sized_stack, 0
	.set _ZN7rocprim17ROCPRIM_400000_NS6detail17trampoline_kernelINS0_14default_configENS1_25partition_config_selectorILNS1_17partition_subalgoE6EdNS0_10empty_typeEbEEZZNS1_14partition_implILS5_6ELb0ES3_mN6thrust23THRUST_200600_302600_NS6detail15normal_iteratorINSA_10device_ptrIdEEEEPS6_SG_NS0_5tupleIJSF_S6_EEENSH_IJSG_SG_EEES6_PlJNSB_9not_fun_tINSB_10functional5actorINSM_9compositeIJNSM_27transparent_binary_operatorINSA_8equal_toIvEEEENSN_INSM_8argumentILj0EEEEENSM_5valueIdEEEEEEEEEEEE10hipError_tPvRmT3_T4_T5_T6_T7_T9_mT8_P12ihipStream_tbDpT10_ENKUlT_T0_E_clISt17integral_constantIbLb1EES1K_EEDaS1F_S1G_EUlS1F_E_NS1_11comp_targetILNS1_3genE4ELNS1_11target_archE910ELNS1_3gpuE8ELNS1_3repE0EEENS1_30default_config_static_selectorELNS0_4arch9wavefront6targetE0EEEvT1_.has_recursion, 0
	.set _ZN7rocprim17ROCPRIM_400000_NS6detail17trampoline_kernelINS0_14default_configENS1_25partition_config_selectorILNS1_17partition_subalgoE6EdNS0_10empty_typeEbEEZZNS1_14partition_implILS5_6ELb0ES3_mN6thrust23THRUST_200600_302600_NS6detail15normal_iteratorINSA_10device_ptrIdEEEEPS6_SG_NS0_5tupleIJSF_S6_EEENSH_IJSG_SG_EEES6_PlJNSB_9not_fun_tINSB_10functional5actorINSM_9compositeIJNSM_27transparent_binary_operatorINSA_8equal_toIvEEEENSN_INSM_8argumentILj0EEEEENSM_5valueIdEEEEEEEEEEEE10hipError_tPvRmT3_T4_T5_T6_T7_T9_mT8_P12ihipStream_tbDpT10_ENKUlT_T0_E_clISt17integral_constantIbLb1EES1K_EEDaS1F_S1G_EUlS1F_E_NS1_11comp_targetILNS1_3genE4ELNS1_11target_archE910ELNS1_3gpuE8ELNS1_3repE0EEENS1_30default_config_static_selectorELNS0_4arch9wavefront6targetE0EEEvT1_.has_indirect_call, 0
	.section	.AMDGPU.csdata,"",@progbits
; Kernel info:
; codeLenInByte = 0
; TotalNumSgprs: 0
; NumVgprs: 0
; ScratchSize: 0
; MemoryBound: 0
; FloatMode: 240
; IeeeMode: 1
; LDSByteSize: 0 bytes/workgroup (compile time only)
; SGPRBlocks: 0
; VGPRBlocks: 0
; NumSGPRsForWavesPerEU: 1
; NumVGPRsForWavesPerEU: 1
; Occupancy: 16
; WaveLimiterHint : 0
; COMPUTE_PGM_RSRC2:SCRATCH_EN: 0
; COMPUTE_PGM_RSRC2:USER_SGPR: 2
; COMPUTE_PGM_RSRC2:TRAP_HANDLER: 0
; COMPUTE_PGM_RSRC2:TGID_X_EN: 1
; COMPUTE_PGM_RSRC2:TGID_Y_EN: 0
; COMPUTE_PGM_RSRC2:TGID_Z_EN: 0
; COMPUTE_PGM_RSRC2:TIDIG_COMP_CNT: 0
	.section	.text._ZN7rocprim17ROCPRIM_400000_NS6detail17trampoline_kernelINS0_14default_configENS1_25partition_config_selectorILNS1_17partition_subalgoE6EdNS0_10empty_typeEbEEZZNS1_14partition_implILS5_6ELb0ES3_mN6thrust23THRUST_200600_302600_NS6detail15normal_iteratorINSA_10device_ptrIdEEEEPS6_SG_NS0_5tupleIJSF_S6_EEENSH_IJSG_SG_EEES6_PlJNSB_9not_fun_tINSB_10functional5actorINSM_9compositeIJNSM_27transparent_binary_operatorINSA_8equal_toIvEEEENSN_INSM_8argumentILj0EEEEENSM_5valueIdEEEEEEEEEEEE10hipError_tPvRmT3_T4_T5_T6_T7_T9_mT8_P12ihipStream_tbDpT10_ENKUlT_T0_E_clISt17integral_constantIbLb1EES1K_EEDaS1F_S1G_EUlS1F_E_NS1_11comp_targetILNS1_3genE3ELNS1_11target_archE908ELNS1_3gpuE7ELNS1_3repE0EEENS1_30default_config_static_selectorELNS0_4arch9wavefront6targetE0EEEvT1_,"axG",@progbits,_ZN7rocprim17ROCPRIM_400000_NS6detail17trampoline_kernelINS0_14default_configENS1_25partition_config_selectorILNS1_17partition_subalgoE6EdNS0_10empty_typeEbEEZZNS1_14partition_implILS5_6ELb0ES3_mN6thrust23THRUST_200600_302600_NS6detail15normal_iteratorINSA_10device_ptrIdEEEEPS6_SG_NS0_5tupleIJSF_S6_EEENSH_IJSG_SG_EEES6_PlJNSB_9not_fun_tINSB_10functional5actorINSM_9compositeIJNSM_27transparent_binary_operatorINSA_8equal_toIvEEEENSN_INSM_8argumentILj0EEEEENSM_5valueIdEEEEEEEEEEEE10hipError_tPvRmT3_T4_T5_T6_T7_T9_mT8_P12ihipStream_tbDpT10_ENKUlT_T0_E_clISt17integral_constantIbLb1EES1K_EEDaS1F_S1G_EUlS1F_E_NS1_11comp_targetILNS1_3genE3ELNS1_11target_archE908ELNS1_3gpuE7ELNS1_3repE0EEENS1_30default_config_static_selectorELNS0_4arch9wavefront6targetE0EEEvT1_,comdat
	.protected	_ZN7rocprim17ROCPRIM_400000_NS6detail17trampoline_kernelINS0_14default_configENS1_25partition_config_selectorILNS1_17partition_subalgoE6EdNS0_10empty_typeEbEEZZNS1_14partition_implILS5_6ELb0ES3_mN6thrust23THRUST_200600_302600_NS6detail15normal_iteratorINSA_10device_ptrIdEEEEPS6_SG_NS0_5tupleIJSF_S6_EEENSH_IJSG_SG_EEES6_PlJNSB_9not_fun_tINSB_10functional5actorINSM_9compositeIJNSM_27transparent_binary_operatorINSA_8equal_toIvEEEENSN_INSM_8argumentILj0EEEEENSM_5valueIdEEEEEEEEEEEE10hipError_tPvRmT3_T4_T5_T6_T7_T9_mT8_P12ihipStream_tbDpT10_ENKUlT_T0_E_clISt17integral_constantIbLb1EES1K_EEDaS1F_S1G_EUlS1F_E_NS1_11comp_targetILNS1_3genE3ELNS1_11target_archE908ELNS1_3gpuE7ELNS1_3repE0EEENS1_30default_config_static_selectorELNS0_4arch9wavefront6targetE0EEEvT1_ ; -- Begin function _ZN7rocprim17ROCPRIM_400000_NS6detail17trampoline_kernelINS0_14default_configENS1_25partition_config_selectorILNS1_17partition_subalgoE6EdNS0_10empty_typeEbEEZZNS1_14partition_implILS5_6ELb0ES3_mN6thrust23THRUST_200600_302600_NS6detail15normal_iteratorINSA_10device_ptrIdEEEEPS6_SG_NS0_5tupleIJSF_S6_EEENSH_IJSG_SG_EEES6_PlJNSB_9not_fun_tINSB_10functional5actorINSM_9compositeIJNSM_27transparent_binary_operatorINSA_8equal_toIvEEEENSN_INSM_8argumentILj0EEEEENSM_5valueIdEEEEEEEEEEEE10hipError_tPvRmT3_T4_T5_T6_T7_T9_mT8_P12ihipStream_tbDpT10_ENKUlT_T0_E_clISt17integral_constantIbLb1EES1K_EEDaS1F_S1G_EUlS1F_E_NS1_11comp_targetILNS1_3genE3ELNS1_11target_archE908ELNS1_3gpuE7ELNS1_3repE0EEENS1_30default_config_static_selectorELNS0_4arch9wavefront6targetE0EEEvT1_
	.globl	_ZN7rocprim17ROCPRIM_400000_NS6detail17trampoline_kernelINS0_14default_configENS1_25partition_config_selectorILNS1_17partition_subalgoE6EdNS0_10empty_typeEbEEZZNS1_14partition_implILS5_6ELb0ES3_mN6thrust23THRUST_200600_302600_NS6detail15normal_iteratorINSA_10device_ptrIdEEEEPS6_SG_NS0_5tupleIJSF_S6_EEENSH_IJSG_SG_EEES6_PlJNSB_9not_fun_tINSB_10functional5actorINSM_9compositeIJNSM_27transparent_binary_operatorINSA_8equal_toIvEEEENSN_INSM_8argumentILj0EEEEENSM_5valueIdEEEEEEEEEEEE10hipError_tPvRmT3_T4_T5_T6_T7_T9_mT8_P12ihipStream_tbDpT10_ENKUlT_T0_E_clISt17integral_constantIbLb1EES1K_EEDaS1F_S1G_EUlS1F_E_NS1_11comp_targetILNS1_3genE3ELNS1_11target_archE908ELNS1_3gpuE7ELNS1_3repE0EEENS1_30default_config_static_selectorELNS0_4arch9wavefront6targetE0EEEvT1_
	.p2align	8
	.type	_ZN7rocprim17ROCPRIM_400000_NS6detail17trampoline_kernelINS0_14default_configENS1_25partition_config_selectorILNS1_17partition_subalgoE6EdNS0_10empty_typeEbEEZZNS1_14partition_implILS5_6ELb0ES3_mN6thrust23THRUST_200600_302600_NS6detail15normal_iteratorINSA_10device_ptrIdEEEEPS6_SG_NS0_5tupleIJSF_S6_EEENSH_IJSG_SG_EEES6_PlJNSB_9not_fun_tINSB_10functional5actorINSM_9compositeIJNSM_27transparent_binary_operatorINSA_8equal_toIvEEEENSN_INSM_8argumentILj0EEEEENSM_5valueIdEEEEEEEEEEEE10hipError_tPvRmT3_T4_T5_T6_T7_T9_mT8_P12ihipStream_tbDpT10_ENKUlT_T0_E_clISt17integral_constantIbLb1EES1K_EEDaS1F_S1G_EUlS1F_E_NS1_11comp_targetILNS1_3genE3ELNS1_11target_archE908ELNS1_3gpuE7ELNS1_3repE0EEENS1_30default_config_static_selectorELNS0_4arch9wavefront6targetE0EEEvT1_,@function
_ZN7rocprim17ROCPRIM_400000_NS6detail17trampoline_kernelINS0_14default_configENS1_25partition_config_selectorILNS1_17partition_subalgoE6EdNS0_10empty_typeEbEEZZNS1_14partition_implILS5_6ELb0ES3_mN6thrust23THRUST_200600_302600_NS6detail15normal_iteratorINSA_10device_ptrIdEEEEPS6_SG_NS0_5tupleIJSF_S6_EEENSH_IJSG_SG_EEES6_PlJNSB_9not_fun_tINSB_10functional5actorINSM_9compositeIJNSM_27transparent_binary_operatorINSA_8equal_toIvEEEENSN_INSM_8argumentILj0EEEEENSM_5valueIdEEEEEEEEEEEE10hipError_tPvRmT3_T4_T5_T6_T7_T9_mT8_P12ihipStream_tbDpT10_ENKUlT_T0_E_clISt17integral_constantIbLb1EES1K_EEDaS1F_S1G_EUlS1F_E_NS1_11comp_targetILNS1_3genE3ELNS1_11target_archE908ELNS1_3gpuE7ELNS1_3repE0EEENS1_30default_config_static_selectorELNS0_4arch9wavefront6targetE0EEEvT1_: ; @_ZN7rocprim17ROCPRIM_400000_NS6detail17trampoline_kernelINS0_14default_configENS1_25partition_config_selectorILNS1_17partition_subalgoE6EdNS0_10empty_typeEbEEZZNS1_14partition_implILS5_6ELb0ES3_mN6thrust23THRUST_200600_302600_NS6detail15normal_iteratorINSA_10device_ptrIdEEEEPS6_SG_NS0_5tupleIJSF_S6_EEENSH_IJSG_SG_EEES6_PlJNSB_9not_fun_tINSB_10functional5actorINSM_9compositeIJNSM_27transparent_binary_operatorINSA_8equal_toIvEEEENSN_INSM_8argumentILj0EEEEENSM_5valueIdEEEEEEEEEEEE10hipError_tPvRmT3_T4_T5_T6_T7_T9_mT8_P12ihipStream_tbDpT10_ENKUlT_T0_E_clISt17integral_constantIbLb1EES1K_EEDaS1F_S1G_EUlS1F_E_NS1_11comp_targetILNS1_3genE3ELNS1_11target_archE908ELNS1_3gpuE7ELNS1_3repE0EEENS1_30default_config_static_selectorELNS0_4arch9wavefront6targetE0EEEvT1_
; %bb.0:
	.section	.rodata,"a",@progbits
	.p2align	6, 0x0
	.amdhsa_kernel _ZN7rocprim17ROCPRIM_400000_NS6detail17trampoline_kernelINS0_14default_configENS1_25partition_config_selectorILNS1_17partition_subalgoE6EdNS0_10empty_typeEbEEZZNS1_14partition_implILS5_6ELb0ES3_mN6thrust23THRUST_200600_302600_NS6detail15normal_iteratorINSA_10device_ptrIdEEEEPS6_SG_NS0_5tupleIJSF_S6_EEENSH_IJSG_SG_EEES6_PlJNSB_9not_fun_tINSB_10functional5actorINSM_9compositeIJNSM_27transparent_binary_operatorINSA_8equal_toIvEEEENSN_INSM_8argumentILj0EEEEENSM_5valueIdEEEEEEEEEEEE10hipError_tPvRmT3_T4_T5_T6_T7_T9_mT8_P12ihipStream_tbDpT10_ENKUlT_T0_E_clISt17integral_constantIbLb1EES1K_EEDaS1F_S1G_EUlS1F_E_NS1_11comp_targetILNS1_3genE3ELNS1_11target_archE908ELNS1_3gpuE7ELNS1_3repE0EEENS1_30default_config_static_selectorELNS0_4arch9wavefront6targetE0EEEvT1_
		.amdhsa_group_segment_fixed_size 0
		.amdhsa_private_segment_fixed_size 0
		.amdhsa_kernarg_size 136
		.amdhsa_user_sgpr_count 2
		.amdhsa_user_sgpr_dispatch_ptr 0
		.amdhsa_user_sgpr_queue_ptr 0
		.amdhsa_user_sgpr_kernarg_segment_ptr 1
		.amdhsa_user_sgpr_dispatch_id 0
		.amdhsa_user_sgpr_private_segment_size 0
		.amdhsa_wavefront_size32 1
		.amdhsa_uses_dynamic_stack 0
		.amdhsa_enable_private_segment 0
		.amdhsa_system_sgpr_workgroup_id_x 1
		.amdhsa_system_sgpr_workgroup_id_y 0
		.amdhsa_system_sgpr_workgroup_id_z 0
		.amdhsa_system_sgpr_workgroup_info 0
		.amdhsa_system_vgpr_workitem_id 0
		.amdhsa_next_free_vgpr 1
		.amdhsa_next_free_sgpr 1
		.amdhsa_reserve_vcc 0
		.amdhsa_float_round_mode_32 0
		.amdhsa_float_round_mode_16_64 0
		.amdhsa_float_denorm_mode_32 3
		.amdhsa_float_denorm_mode_16_64 3
		.amdhsa_fp16_overflow 0
		.amdhsa_workgroup_processor_mode 1
		.amdhsa_memory_ordered 1
		.amdhsa_forward_progress 1
		.amdhsa_inst_pref_size 0
		.amdhsa_round_robin_scheduling 0
		.amdhsa_exception_fp_ieee_invalid_op 0
		.amdhsa_exception_fp_denorm_src 0
		.amdhsa_exception_fp_ieee_div_zero 0
		.amdhsa_exception_fp_ieee_overflow 0
		.amdhsa_exception_fp_ieee_underflow 0
		.amdhsa_exception_fp_ieee_inexact 0
		.amdhsa_exception_int_div_zero 0
	.end_amdhsa_kernel
	.section	.text._ZN7rocprim17ROCPRIM_400000_NS6detail17trampoline_kernelINS0_14default_configENS1_25partition_config_selectorILNS1_17partition_subalgoE6EdNS0_10empty_typeEbEEZZNS1_14partition_implILS5_6ELb0ES3_mN6thrust23THRUST_200600_302600_NS6detail15normal_iteratorINSA_10device_ptrIdEEEEPS6_SG_NS0_5tupleIJSF_S6_EEENSH_IJSG_SG_EEES6_PlJNSB_9not_fun_tINSB_10functional5actorINSM_9compositeIJNSM_27transparent_binary_operatorINSA_8equal_toIvEEEENSN_INSM_8argumentILj0EEEEENSM_5valueIdEEEEEEEEEEEE10hipError_tPvRmT3_T4_T5_T6_T7_T9_mT8_P12ihipStream_tbDpT10_ENKUlT_T0_E_clISt17integral_constantIbLb1EES1K_EEDaS1F_S1G_EUlS1F_E_NS1_11comp_targetILNS1_3genE3ELNS1_11target_archE908ELNS1_3gpuE7ELNS1_3repE0EEENS1_30default_config_static_selectorELNS0_4arch9wavefront6targetE0EEEvT1_,"axG",@progbits,_ZN7rocprim17ROCPRIM_400000_NS6detail17trampoline_kernelINS0_14default_configENS1_25partition_config_selectorILNS1_17partition_subalgoE6EdNS0_10empty_typeEbEEZZNS1_14partition_implILS5_6ELb0ES3_mN6thrust23THRUST_200600_302600_NS6detail15normal_iteratorINSA_10device_ptrIdEEEEPS6_SG_NS0_5tupleIJSF_S6_EEENSH_IJSG_SG_EEES6_PlJNSB_9not_fun_tINSB_10functional5actorINSM_9compositeIJNSM_27transparent_binary_operatorINSA_8equal_toIvEEEENSN_INSM_8argumentILj0EEEEENSM_5valueIdEEEEEEEEEEEE10hipError_tPvRmT3_T4_T5_T6_T7_T9_mT8_P12ihipStream_tbDpT10_ENKUlT_T0_E_clISt17integral_constantIbLb1EES1K_EEDaS1F_S1G_EUlS1F_E_NS1_11comp_targetILNS1_3genE3ELNS1_11target_archE908ELNS1_3gpuE7ELNS1_3repE0EEENS1_30default_config_static_selectorELNS0_4arch9wavefront6targetE0EEEvT1_,comdat
.Lfunc_end23:
	.size	_ZN7rocprim17ROCPRIM_400000_NS6detail17trampoline_kernelINS0_14default_configENS1_25partition_config_selectorILNS1_17partition_subalgoE6EdNS0_10empty_typeEbEEZZNS1_14partition_implILS5_6ELb0ES3_mN6thrust23THRUST_200600_302600_NS6detail15normal_iteratorINSA_10device_ptrIdEEEEPS6_SG_NS0_5tupleIJSF_S6_EEENSH_IJSG_SG_EEES6_PlJNSB_9not_fun_tINSB_10functional5actorINSM_9compositeIJNSM_27transparent_binary_operatorINSA_8equal_toIvEEEENSN_INSM_8argumentILj0EEEEENSM_5valueIdEEEEEEEEEEEE10hipError_tPvRmT3_T4_T5_T6_T7_T9_mT8_P12ihipStream_tbDpT10_ENKUlT_T0_E_clISt17integral_constantIbLb1EES1K_EEDaS1F_S1G_EUlS1F_E_NS1_11comp_targetILNS1_3genE3ELNS1_11target_archE908ELNS1_3gpuE7ELNS1_3repE0EEENS1_30default_config_static_selectorELNS0_4arch9wavefront6targetE0EEEvT1_, .Lfunc_end23-_ZN7rocprim17ROCPRIM_400000_NS6detail17trampoline_kernelINS0_14default_configENS1_25partition_config_selectorILNS1_17partition_subalgoE6EdNS0_10empty_typeEbEEZZNS1_14partition_implILS5_6ELb0ES3_mN6thrust23THRUST_200600_302600_NS6detail15normal_iteratorINSA_10device_ptrIdEEEEPS6_SG_NS0_5tupleIJSF_S6_EEENSH_IJSG_SG_EEES6_PlJNSB_9not_fun_tINSB_10functional5actorINSM_9compositeIJNSM_27transparent_binary_operatorINSA_8equal_toIvEEEENSN_INSM_8argumentILj0EEEEENSM_5valueIdEEEEEEEEEEEE10hipError_tPvRmT3_T4_T5_T6_T7_T9_mT8_P12ihipStream_tbDpT10_ENKUlT_T0_E_clISt17integral_constantIbLb1EES1K_EEDaS1F_S1G_EUlS1F_E_NS1_11comp_targetILNS1_3genE3ELNS1_11target_archE908ELNS1_3gpuE7ELNS1_3repE0EEENS1_30default_config_static_selectorELNS0_4arch9wavefront6targetE0EEEvT1_
                                        ; -- End function
	.set _ZN7rocprim17ROCPRIM_400000_NS6detail17trampoline_kernelINS0_14default_configENS1_25partition_config_selectorILNS1_17partition_subalgoE6EdNS0_10empty_typeEbEEZZNS1_14partition_implILS5_6ELb0ES3_mN6thrust23THRUST_200600_302600_NS6detail15normal_iteratorINSA_10device_ptrIdEEEEPS6_SG_NS0_5tupleIJSF_S6_EEENSH_IJSG_SG_EEES6_PlJNSB_9not_fun_tINSB_10functional5actorINSM_9compositeIJNSM_27transparent_binary_operatorINSA_8equal_toIvEEEENSN_INSM_8argumentILj0EEEEENSM_5valueIdEEEEEEEEEEEE10hipError_tPvRmT3_T4_T5_T6_T7_T9_mT8_P12ihipStream_tbDpT10_ENKUlT_T0_E_clISt17integral_constantIbLb1EES1K_EEDaS1F_S1G_EUlS1F_E_NS1_11comp_targetILNS1_3genE3ELNS1_11target_archE908ELNS1_3gpuE7ELNS1_3repE0EEENS1_30default_config_static_selectorELNS0_4arch9wavefront6targetE0EEEvT1_.num_vgpr, 0
	.set _ZN7rocprim17ROCPRIM_400000_NS6detail17trampoline_kernelINS0_14default_configENS1_25partition_config_selectorILNS1_17partition_subalgoE6EdNS0_10empty_typeEbEEZZNS1_14partition_implILS5_6ELb0ES3_mN6thrust23THRUST_200600_302600_NS6detail15normal_iteratorINSA_10device_ptrIdEEEEPS6_SG_NS0_5tupleIJSF_S6_EEENSH_IJSG_SG_EEES6_PlJNSB_9not_fun_tINSB_10functional5actorINSM_9compositeIJNSM_27transparent_binary_operatorINSA_8equal_toIvEEEENSN_INSM_8argumentILj0EEEEENSM_5valueIdEEEEEEEEEEEE10hipError_tPvRmT3_T4_T5_T6_T7_T9_mT8_P12ihipStream_tbDpT10_ENKUlT_T0_E_clISt17integral_constantIbLb1EES1K_EEDaS1F_S1G_EUlS1F_E_NS1_11comp_targetILNS1_3genE3ELNS1_11target_archE908ELNS1_3gpuE7ELNS1_3repE0EEENS1_30default_config_static_selectorELNS0_4arch9wavefront6targetE0EEEvT1_.num_agpr, 0
	.set _ZN7rocprim17ROCPRIM_400000_NS6detail17trampoline_kernelINS0_14default_configENS1_25partition_config_selectorILNS1_17partition_subalgoE6EdNS0_10empty_typeEbEEZZNS1_14partition_implILS5_6ELb0ES3_mN6thrust23THRUST_200600_302600_NS6detail15normal_iteratorINSA_10device_ptrIdEEEEPS6_SG_NS0_5tupleIJSF_S6_EEENSH_IJSG_SG_EEES6_PlJNSB_9not_fun_tINSB_10functional5actorINSM_9compositeIJNSM_27transparent_binary_operatorINSA_8equal_toIvEEEENSN_INSM_8argumentILj0EEEEENSM_5valueIdEEEEEEEEEEEE10hipError_tPvRmT3_T4_T5_T6_T7_T9_mT8_P12ihipStream_tbDpT10_ENKUlT_T0_E_clISt17integral_constantIbLb1EES1K_EEDaS1F_S1G_EUlS1F_E_NS1_11comp_targetILNS1_3genE3ELNS1_11target_archE908ELNS1_3gpuE7ELNS1_3repE0EEENS1_30default_config_static_selectorELNS0_4arch9wavefront6targetE0EEEvT1_.numbered_sgpr, 0
	.set _ZN7rocprim17ROCPRIM_400000_NS6detail17trampoline_kernelINS0_14default_configENS1_25partition_config_selectorILNS1_17partition_subalgoE6EdNS0_10empty_typeEbEEZZNS1_14partition_implILS5_6ELb0ES3_mN6thrust23THRUST_200600_302600_NS6detail15normal_iteratorINSA_10device_ptrIdEEEEPS6_SG_NS0_5tupleIJSF_S6_EEENSH_IJSG_SG_EEES6_PlJNSB_9not_fun_tINSB_10functional5actorINSM_9compositeIJNSM_27transparent_binary_operatorINSA_8equal_toIvEEEENSN_INSM_8argumentILj0EEEEENSM_5valueIdEEEEEEEEEEEE10hipError_tPvRmT3_T4_T5_T6_T7_T9_mT8_P12ihipStream_tbDpT10_ENKUlT_T0_E_clISt17integral_constantIbLb1EES1K_EEDaS1F_S1G_EUlS1F_E_NS1_11comp_targetILNS1_3genE3ELNS1_11target_archE908ELNS1_3gpuE7ELNS1_3repE0EEENS1_30default_config_static_selectorELNS0_4arch9wavefront6targetE0EEEvT1_.num_named_barrier, 0
	.set _ZN7rocprim17ROCPRIM_400000_NS6detail17trampoline_kernelINS0_14default_configENS1_25partition_config_selectorILNS1_17partition_subalgoE6EdNS0_10empty_typeEbEEZZNS1_14partition_implILS5_6ELb0ES3_mN6thrust23THRUST_200600_302600_NS6detail15normal_iteratorINSA_10device_ptrIdEEEEPS6_SG_NS0_5tupleIJSF_S6_EEENSH_IJSG_SG_EEES6_PlJNSB_9not_fun_tINSB_10functional5actorINSM_9compositeIJNSM_27transparent_binary_operatorINSA_8equal_toIvEEEENSN_INSM_8argumentILj0EEEEENSM_5valueIdEEEEEEEEEEEE10hipError_tPvRmT3_T4_T5_T6_T7_T9_mT8_P12ihipStream_tbDpT10_ENKUlT_T0_E_clISt17integral_constantIbLb1EES1K_EEDaS1F_S1G_EUlS1F_E_NS1_11comp_targetILNS1_3genE3ELNS1_11target_archE908ELNS1_3gpuE7ELNS1_3repE0EEENS1_30default_config_static_selectorELNS0_4arch9wavefront6targetE0EEEvT1_.private_seg_size, 0
	.set _ZN7rocprim17ROCPRIM_400000_NS6detail17trampoline_kernelINS0_14default_configENS1_25partition_config_selectorILNS1_17partition_subalgoE6EdNS0_10empty_typeEbEEZZNS1_14partition_implILS5_6ELb0ES3_mN6thrust23THRUST_200600_302600_NS6detail15normal_iteratorINSA_10device_ptrIdEEEEPS6_SG_NS0_5tupleIJSF_S6_EEENSH_IJSG_SG_EEES6_PlJNSB_9not_fun_tINSB_10functional5actorINSM_9compositeIJNSM_27transparent_binary_operatorINSA_8equal_toIvEEEENSN_INSM_8argumentILj0EEEEENSM_5valueIdEEEEEEEEEEEE10hipError_tPvRmT3_T4_T5_T6_T7_T9_mT8_P12ihipStream_tbDpT10_ENKUlT_T0_E_clISt17integral_constantIbLb1EES1K_EEDaS1F_S1G_EUlS1F_E_NS1_11comp_targetILNS1_3genE3ELNS1_11target_archE908ELNS1_3gpuE7ELNS1_3repE0EEENS1_30default_config_static_selectorELNS0_4arch9wavefront6targetE0EEEvT1_.uses_vcc, 0
	.set _ZN7rocprim17ROCPRIM_400000_NS6detail17trampoline_kernelINS0_14default_configENS1_25partition_config_selectorILNS1_17partition_subalgoE6EdNS0_10empty_typeEbEEZZNS1_14partition_implILS5_6ELb0ES3_mN6thrust23THRUST_200600_302600_NS6detail15normal_iteratorINSA_10device_ptrIdEEEEPS6_SG_NS0_5tupleIJSF_S6_EEENSH_IJSG_SG_EEES6_PlJNSB_9not_fun_tINSB_10functional5actorINSM_9compositeIJNSM_27transparent_binary_operatorINSA_8equal_toIvEEEENSN_INSM_8argumentILj0EEEEENSM_5valueIdEEEEEEEEEEEE10hipError_tPvRmT3_T4_T5_T6_T7_T9_mT8_P12ihipStream_tbDpT10_ENKUlT_T0_E_clISt17integral_constantIbLb1EES1K_EEDaS1F_S1G_EUlS1F_E_NS1_11comp_targetILNS1_3genE3ELNS1_11target_archE908ELNS1_3gpuE7ELNS1_3repE0EEENS1_30default_config_static_selectorELNS0_4arch9wavefront6targetE0EEEvT1_.uses_flat_scratch, 0
	.set _ZN7rocprim17ROCPRIM_400000_NS6detail17trampoline_kernelINS0_14default_configENS1_25partition_config_selectorILNS1_17partition_subalgoE6EdNS0_10empty_typeEbEEZZNS1_14partition_implILS5_6ELb0ES3_mN6thrust23THRUST_200600_302600_NS6detail15normal_iteratorINSA_10device_ptrIdEEEEPS6_SG_NS0_5tupleIJSF_S6_EEENSH_IJSG_SG_EEES6_PlJNSB_9not_fun_tINSB_10functional5actorINSM_9compositeIJNSM_27transparent_binary_operatorINSA_8equal_toIvEEEENSN_INSM_8argumentILj0EEEEENSM_5valueIdEEEEEEEEEEEE10hipError_tPvRmT3_T4_T5_T6_T7_T9_mT8_P12ihipStream_tbDpT10_ENKUlT_T0_E_clISt17integral_constantIbLb1EES1K_EEDaS1F_S1G_EUlS1F_E_NS1_11comp_targetILNS1_3genE3ELNS1_11target_archE908ELNS1_3gpuE7ELNS1_3repE0EEENS1_30default_config_static_selectorELNS0_4arch9wavefront6targetE0EEEvT1_.has_dyn_sized_stack, 0
	.set _ZN7rocprim17ROCPRIM_400000_NS6detail17trampoline_kernelINS0_14default_configENS1_25partition_config_selectorILNS1_17partition_subalgoE6EdNS0_10empty_typeEbEEZZNS1_14partition_implILS5_6ELb0ES3_mN6thrust23THRUST_200600_302600_NS6detail15normal_iteratorINSA_10device_ptrIdEEEEPS6_SG_NS0_5tupleIJSF_S6_EEENSH_IJSG_SG_EEES6_PlJNSB_9not_fun_tINSB_10functional5actorINSM_9compositeIJNSM_27transparent_binary_operatorINSA_8equal_toIvEEEENSN_INSM_8argumentILj0EEEEENSM_5valueIdEEEEEEEEEEEE10hipError_tPvRmT3_T4_T5_T6_T7_T9_mT8_P12ihipStream_tbDpT10_ENKUlT_T0_E_clISt17integral_constantIbLb1EES1K_EEDaS1F_S1G_EUlS1F_E_NS1_11comp_targetILNS1_3genE3ELNS1_11target_archE908ELNS1_3gpuE7ELNS1_3repE0EEENS1_30default_config_static_selectorELNS0_4arch9wavefront6targetE0EEEvT1_.has_recursion, 0
	.set _ZN7rocprim17ROCPRIM_400000_NS6detail17trampoline_kernelINS0_14default_configENS1_25partition_config_selectorILNS1_17partition_subalgoE6EdNS0_10empty_typeEbEEZZNS1_14partition_implILS5_6ELb0ES3_mN6thrust23THRUST_200600_302600_NS6detail15normal_iteratorINSA_10device_ptrIdEEEEPS6_SG_NS0_5tupleIJSF_S6_EEENSH_IJSG_SG_EEES6_PlJNSB_9not_fun_tINSB_10functional5actorINSM_9compositeIJNSM_27transparent_binary_operatorINSA_8equal_toIvEEEENSN_INSM_8argumentILj0EEEEENSM_5valueIdEEEEEEEEEEEE10hipError_tPvRmT3_T4_T5_T6_T7_T9_mT8_P12ihipStream_tbDpT10_ENKUlT_T0_E_clISt17integral_constantIbLb1EES1K_EEDaS1F_S1G_EUlS1F_E_NS1_11comp_targetILNS1_3genE3ELNS1_11target_archE908ELNS1_3gpuE7ELNS1_3repE0EEENS1_30default_config_static_selectorELNS0_4arch9wavefront6targetE0EEEvT1_.has_indirect_call, 0
	.section	.AMDGPU.csdata,"",@progbits
; Kernel info:
; codeLenInByte = 0
; TotalNumSgprs: 0
; NumVgprs: 0
; ScratchSize: 0
; MemoryBound: 0
; FloatMode: 240
; IeeeMode: 1
; LDSByteSize: 0 bytes/workgroup (compile time only)
; SGPRBlocks: 0
; VGPRBlocks: 0
; NumSGPRsForWavesPerEU: 1
; NumVGPRsForWavesPerEU: 1
; Occupancy: 16
; WaveLimiterHint : 0
; COMPUTE_PGM_RSRC2:SCRATCH_EN: 0
; COMPUTE_PGM_RSRC2:USER_SGPR: 2
; COMPUTE_PGM_RSRC2:TRAP_HANDLER: 0
; COMPUTE_PGM_RSRC2:TGID_X_EN: 1
; COMPUTE_PGM_RSRC2:TGID_Y_EN: 0
; COMPUTE_PGM_RSRC2:TGID_Z_EN: 0
; COMPUTE_PGM_RSRC2:TIDIG_COMP_CNT: 0
	.section	.text._ZN7rocprim17ROCPRIM_400000_NS6detail17trampoline_kernelINS0_14default_configENS1_25partition_config_selectorILNS1_17partition_subalgoE6EdNS0_10empty_typeEbEEZZNS1_14partition_implILS5_6ELb0ES3_mN6thrust23THRUST_200600_302600_NS6detail15normal_iteratorINSA_10device_ptrIdEEEEPS6_SG_NS0_5tupleIJSF_S6_EEENSH_IJSG_SG_EEES6_PlJNSB_9not_fun_tINSB_10functional5actorINSM_9compositeIJNSM_27transparent_binary_operatorINSA_8equal_toIvEEEENSN_INSM_8argumentILj0EEEEENSM_5valueIdEEEEEEEEEEEE10hipError_tPvRmT3_T4_T5_T6_T7_T9_mT8_P12ihipStream_tbDpT10_ENKUlT_T0_E_clISt17integral_constantIbLb1EES1K_EEDaS1F_S1G_EUlS1F_E_NS1_11comp_targetILNS1_3genE2ELNS1_11target_archE906ELNS1_3gpuE6ELNS1_3repE0EEENS1_30default_config_static_selectorELNS0_4arch9wavefront6targetE0EEEvT1_,"axG",@progbits,_ZN7rocprim17ROCPRIM_400000_NS6detail17trampoline_kernelINS0_14default_configENS1_25partition_config_selectorILNS1_17partition_subalgoE6EdNS0_10empty_typeEbEEZZNS1_14partition_implILS5_6ELb0ES3_mN6thrust23THRUST_200600_302600_NS6detail15normal_iteratorINSA_10device_ptrIdEEEEPS6_SG_NS0_5tupleIJSF_S6_EEENSH_IJSG_SG_EEES6_PlJNSB_9not_fun_tINSB_10functional5actorINSM_9compositeIJNSM_27transparent_binary_operatorINSA_8equal_toIvEEEENSN_INSM_8argumentILj0EEEEENSM_5valueIdEEEEEEEEEEEE10hipError_tPvRmT3_T4_T5_T6_T7_T9_mT8_P12ihipStream_tbDpT10_ENKUlT_T0_E_clISt17integral_constantIbLb1EES1K_EEDaS1F_S1G_EUlS1F_E_NS1_11comp_targetILNS1_3genE2ELNS1_11target_archE906ELNS1_3gpuE6ELNS1_3repE0EEENS1_30default_config_static_selectorELNS0_4arch9wavefront6targetE0EEEvT1_,comdat
	.protected	_ZN7rocprim17ROCPRIM_400000_NS6detail17trampoline_kernelINS0_14default_configENS1_25partition_config_selectorILNS1_17partition_subalgoE6EdNS0_10empty_typeEbEEZZNS1_14partition_implILS5_6ELb0ES3_mN6thrust23THRUST_200600_302600_NS6detail15normal_iteratorINSA_10device_ptrIdEEEEPS6_SG_NS0_5tupleIJSF_S6_EEENSH_IJSG_SG_EEES6_PlJNSB_9not_fun_tINSB_10functional5actorINSM_9compositeIJNSM_27transparent_binary_operatorINSA_8equal_toIvEEEENSN_INSM_8argumentILj0EEEEENSM_5valueIdEEEEEEEEEEEE10hipError_tPvRmT3_T4_T5_T6_T7_T9_mT8_P12ihipStream_tbDpT10_ENKUlT_T0_E_clISt17integral_constantIbLb1EES1K_EEDaS1F_S1G_EUlS1F_E_NS1_11comp_targetILNS1_3genE2ELNS1_11target_archE906ELNS1_3gpuE6ELNS1_3repE0EEENS1_30default_config_static_selectorELNS0_4arch9wavefront6targetE0EEEvT1_ ; -- Begin function _ZN7rocprim17ROCPRIM_400000_NS6detail17trampoline_kernelINS0_14default_configENS1_25partition_config_selectorILNS1_17partition_subalgoE6EdNS0_10empty_typeEbEEZZNS1_14partition_implILS5_6ELb0ES3_mN6thrust23THRUST_200600_302600_NS6detail15normal_iteratorINSA_10device_ptrIdEEEEPS6_SG_NS0_5tupleIJSF_S6_EEENSH_IJSG_SG_EEES6_PlJNSB_9not_fun_tINSB_10functional5actorINSM_9compositeIJNSM_27transparent_binary_operatorINSA_8equal_toIvEEEENSN_INSM_8argumentILj0EEEEENSM_5valueIdEEEEEEEEEEEE10hipError_tPvRmT3_T4_T5_T6_T7_T9_mT8_P12ihipStream_tbDpT10_ENKUlT_T0_E_clISt17integral_constantIbLb1EES1K_EEDaS1F_S1G_EUlS1F_E_NS1_11comp_targetILNS1_3genE2ELNS1_11target_archE906ELNS1_3gpuE6ELNS1_3repE0EEENS1_30default_config_static_selectorELNS0_4arch9wavefront6targetE0EEEvT1_
	.globl	_ZN7rocprim17ROCPRIM_400000_NS6detail17trampoline_kernelINS0_14default_configENS1_25partition_config_selectorILNS1_17partition_subalgoE6EdNS0_10empty_typeEbEEZZNS1_14partition_implILS5_6ELb0ES3_mN6thrust23THRUST_200600_302600_NS6detail15normal_iteratorINSA_10device_ptrIdEEEEPS6_SG_NS0_5tupleIJSF_S6_EEENSH_IJSG_SG_EEES6_PlJNSB_9not_fun_tINSB_10functional5actorINSM_9compositeIJNSM_27transparent_binary_operatorINSA_8equal_toIvEEEENSN_INSM_8argumentILj0EEEEENSM_5valueIdEEEEEEEEEEEE10hipError_tPvRmT3_T4_T5_T6_T7_T9_mT8_P12ihipStream_tbDpT10_ENKUlT_T0_E_clISt17integral_constantIbLb1EES1K_EEDaS1F_S1G_EUlS1F_E_NS1_11comp_targetILNS1_3genE2ELNS1_11target_archE906ELNS1_3gpuE6ELNS1_3repE0EEENS1_30default_config_static_selectorELNS0_4arch9wavefront6targetE0EEEvT1_
	.p2align	8
	.type	_ZN7rocprim17ROCPRIM_400000_NS6detail17trampoline_kernelINS0_14default_configENS1_25partition_config_selectorILNS1_17partition_subalgoE6EdNS0_10empty_typeEbEEZZNS1_14partition_implILS5_6ELb0ES3_mN6thrust23THRUST_200600_302600_NS6detail15normal_iteratorINSA_10device_ptrIdEEEEPS6_SG_NS0_5tupleIJSF_S6_EEENSH_IJSG_SG_EEES6_PlJNSB_9not_fun_tINSB_10functional5actorINSM_9compositeIJNSM_27transparent_binary_operatorINSA_8equal_toIvEEEENSN_INSM_8argumentILj0EEEEENSM_5valueIdEEEEEEEEEEEE10hipError_tPvRmT3_T4_T5_T6_T7_T9_mT8_P12ihipStream_tbDpT10_ENKUlT_T0_E_clISt17integral_constantIbLb1EES1K_EEDaS1F_S1G_EUlS1F_E_NS1_11comp_targetILNS1_3genE2ELNS1_11target_archE906ELNS1_3gpuE6ELNS1_3repE0EEENS1_30default_config_static_selectorELNS0_4arch9wavefront6targetE0EEEvT1_,@function
_ZN7rocprim17ROCPRIM_400000_NS6detail17trampoline_kernelINS0_14default_configENS1_25partition_config_selectorILNS1_17partition_subalgoE6EdNS0_10empty_typeEbEEZZNS1_14partition_implILS5_6ELb0ES3_mN6thrust23THRUST_200600_302600_NS6detail15normal_iteratorINSA_10device_ptrIdEEEEPS6_SG_NS0_5tupleIJSF_S6_EEENSH_IJSG_SG_EEES6_PlJNSB_9not_fun_tINSB_10functional5actorINSM_9compositeIJNSM_27transparent_binary_operatorINSA_8equal_toIvEEEENSN_INSM_8argumentILj0EEEEENSM_5valueIdEEEEEEEEEEEE10hipError_tPvRmT3_T4_T5_T6_T7_T9_mT8_P12ihipStream_tbDpT10_ENKUlT_T0_E_clISt17integral_constantIbLb1EES1K_EEDaS1F_S1G_EUlS1F_E_NS1_11comp_targetILNS1_3genE2ELNS1_11target_archE906ELNS1_3gpuE6ELNS1_3repE0EEENS1_30default_config_static_selectorELNS0_4arch9wavefront6targetE0EEEvT1_: ; @_ZN7rocprim17ROCPRIM_400000_NS6detail17trampoline_kernelINS0_14default_configENS1_25partition_config_selectorILNS1_17partition_subalgoE6EdNS0_10empty_typeEbEEZZNS1_14partition_implILS5_6ELb0ES3_mN6thrust23THRUST_200600_302600_NS6detail15normal_iteratorINSA_10device_ptrIdEEEEPS6_SG_NS0_5tupleIJSF_S6_EEENSH_IJSG_SG_EEES6_PlJNSB_9not_fun_tINSB_10functional5actorINSM_9compositeIJNSM_27transparent_binary_operatorINSA_8equal_toIvEEEENSN_INSM_8argumentILj0EEEEENSM_5valueIdEEEEEEEEEEEE10hipError_tPvRmT3_T4_T5_T6_T7_T9_mT8_P12ihipStream_tbDpT10_ENKUlT_T0_E_clISt17integral_constantIbLb1EES1K_EEDaS1F_S1G_EUlS1F_E_NS1_11comp_targetILNS1_3genE2ELNS1_11target_archE906ELNS1_3gpuE6ELNS1_3repE0EEENS1_30default_config_static_selectorELNS0_4arch9wavefront6targetE0EEEvT1_
; %bb.0:
	.section	.rodata,"a",@progbits
	.p2align	6, 0x0
	.amdhsa_kernel _ZN7rocprim17ROCPRIM_400000_NS6detail17trampoline_kernelINS0_14default_configENS1_25partition_config_selectorILNS1_17partition_subalgoE6EdNS0_10empty_typeEbEEZZNS1_14partition_implILS5_6ELb0ES3_mN6thrust23THRUST_200600_302600_NS6detail15normal_iteratorINSA_10device_ptrIdEEEEPS6_SG_NS0_5tupleIJSF_S6_EEENSH_IJSG_SG_EEES6_PlJNSB_9not_fun_tINSB_10functional5actorINSM_9compositeIJNSM_27transparent_binary_operatorINSA_8equal_toIvEEEENSN_INSM_8argumentILj0EEEEENSM_5valueIdEEEEEEEEEEEE10hipError_tPvRmT3_T4_T5_T6_T7_T9_mT8_P12ihipStream_tbDpT10_ENKUlT_T0_E_clISt17integral_constantIbLb1EES1K_EEDaS1F_S1G_EUlS1F_E_NS1_11comp_targetILNS1_3genE2ELNS1_11target_archE906ELNS1_3gpuE6ELNS1_3repE0EEENS1_30default_config_static_selectorELNS0_4arch9wavefront6targetE0EEEvT1_
		.amdhsa_group_segment_fixed_size 0
		.amdhsa_private_segment_fixed_size 0
		.amdhsa_kernarg_size 136
		.amdhsa_user_sgpr_count 2
		.amdhsa_user_sgpr_dispatch_ptr 0
		.amdhsa_user_sgpr_queue_ptr 0
		.amdhsa_user_sgpr_kernarg_segment_ptr 1
		.amdhsa_user_sgpr_dispatch_id 0
		.amdhsa_user_sgpr_private_segment_size 0
		.amdhsa_wavefront_size32 1
		.amdhsa_uses_dynamic_stack 0
		.amdhsa_enable_private_segment 0
		.amdhsa_system_sgpr_workgroup_id_x 1
		.amdhsa_system_sgpr_workgroup_id_y 0
		.amdhsa_system_sgpr_workgroup_id_z 0
		.amdhsa_system_sgpr_workgroup_info 0
		.amdhsa_system_vgpr_workitem_id 0
		.amdhsa_next_free_vgpr 1
		.amdhsa_next_free_sgpr 1
		.amdhsa_reserve_vcc 0
		.amdhsa_float_round_mode_32 0
		.amdhsa_float_round_mode_16_64 0
		.amdhsa_float_denorm_mode_32 3
		.amdhsa_float_denorm_mode_16_64 3
		.amdhsa_fp16_overflow 0
		.amdhsa_workgroup_processor_mode 1
		.amdhsa_memory_ordered 1
		.amdhsa_forward_progress 1
		.amdhsa_inst_pref_size 0
		.amdhsa_round_robin_scheduling 0
		.amdhsa_exception_fp_ieee_invalid_op 0
		.amdhsa_exception_fp_denorm_src 0
		.amdhsa_exception_fp_ieee_div_zero 0
		.amdhsa_exception_fp_ieee_overflow 0
		.amdhsa_exception_fp_ieee_underflow 0
		.amdhsa_exception_fp_ieee_inexact 0
		.amdhsa_exception_int_div_zero 0
	.end_amdhsa_kernel
	.section	.text._ZN7rocprim17ROCPRIM_400000_NS6detail17trampoline_kernelINS0_14default_configENS1_25partition_config_selectorILNS1_17partition_subalgoE6EdNS0_10empty_typeEbEEZZNS1_14partition_implILS5_6ELb0ES3_mN6thrust23THRUST_200600_302600_NS6detail15normal_iteratorINSA_10device_ptrIdEEEEPS6_SG_NS0_5tupleIJSF_S6_EEENSH_IJSG_SG_EEES6_PlJNSB_9not_fun_tINSB_10functional5actorINSM_9compositeIJNSM_27transparent_binary_operatorINSA_8equal_toIvEEEENSN_INSM_8argumentILj0EEEEENSM_5valueIdEEEEEEEEEEEE10hipError_tPvRmT3_T4_T5_T6_T7_T9_mT8_P12ihipStream_tbDpT10_ENKUlT_T0_E_clISt17integral_constantIbLb1EES1K_EEDaS1F_S1G_EUlS1F_E_NS1_11comp_targetILNS1_3genE2ELNS1_11target_archE906ELNS1_3gpuE6ELNS1_3repE0EEENS1_30default_config_static_selectorELNS0_4arch9wavefront6targetE0EEEvT1_,"axG",@progbits,_ZN7rocprim17ROCPRIM_400000_NS6detail17trampoline_kernelINS0_14default_configENS1_25partition_config_selectorILNS1_17partition_subalgoE6EdNS0_10empty_typeEbEEZZNS1_14partition_implILS5_6ELb0ES3_mN6thrust23THRUST_200600_302600_NS6detail15normal_iteratorINSA_10device_ptrIdEEEEPS6_SG_NS0_5tupleIJSF_S6_EEENSH_IJSG_SG_EEES6_PlJNSB_9not_fun_tINSB_10functional5actorINSM_9compositeIJNSM_27transparent_binary_operatorINSA_8equal_toIvEEEENSN_INSM_8argumentILj0EEEEENSM_5valueIdEEEEEEEEEEEE10hipError_tPvRmT3_T4_T5_T6_T7_T9_mT8_P12ihipStream_tbDpT10_ENKUlT_T0_E_clISt17integral_constantIbLb1EES1K_EEDaS1F_S1G_EUlS1F_E_NS1_11comp_targetILNS1_3genE2ELNS1_11target_archE906ELNS1_3gpuE6ELNS1_3repE0EEENS1_30default_config_static_selectorELNS0_4arch9wavefront6targetE0EEEvT1_,comdat
.Lfunc_end24:
	.size	_ZN7rocprim17ROCPRIM_400000_NS6detail17trampoline_kernelINS0_14default_configENS1_25partition_config_selectorILNS1_17partition_subalgoE6EdNS0_10empty_typeEbEEZZNS1_14partition_implILS5_6ELb0ES3_mN6thrust23THRUST_200600_302600_NS6detail15normal_iteratorINSA_10device_ptrIdEEEEPS6_SG_NS0_5tupleIJSF_S6_EEENSH_IJSG_SG_EEES6_PlJNSB_9not_fun_tINSB_10functional5actorINSM_9compositeIJNSM_27transparent_binary_operatorINSA_8equal_toIvEEEENSN_INSM_8argumentILj0EEEEENSM_5valueIdEEEEEEEEEEEE10hipError_tPvRmT3_T4_T5_T6_T7_T9_mT8_P12ihipStream_tbDpT10_ENKUlT_T0_E_clISt17integral_constantIbLb1EES1K_EEDaS1F_S1G_EUlS1F_E_NS1_11comp_targetILNS1_3genE2ELNS1_11target_archE906ELNS1_3gpuE6ELNS1_3repE0EEENS1_30default_config_static_selectorELNS0_4arch9wavefront6targetE0EEEvT1_, .Lfunc_end24-_ZN7rocprim17ROCPRIM_400000_NS6detail17trampoline_kernelINS0_14default_configENS1_25partition_config_selectorILNS1_17partition_subalgoE6EdNS0_10empty_typeEbEEZZNS1_14partition_implILS5_6ELb0ES3_mN6thrust23THRUST_200600_302600_NS6detail15normal_iteratorINSA_10device_ptrIdEEEEPS6_SG_NS0_5tupleIJSF_S6_EEENSH_IJSG_SG_EEES6_PlJNSB_9not_fun_tINSB_10functional5actorINSM_9compositeIJNSM_27transparent_binary_operatorINSA_8equal_toIvEEEENSN_INSM_8argumentILj0EEEEENSM_5valueIdEEEEEEEEEEEE10hipError_tPvRmT3_T4_T5_T6_T7_T9_mT8_P12ihipStream_tbDpT10_ENKUlT_T0_E_clISt17integral_constantIbLb1EES1K_EEDaS1F_S1G_EUlS1F_E_NS1_11comp_targetILNS1_3genE2ELNS1_11target_archE906ELNS1_3gpuE6ELNS1_3repE0EEENS1_30default_config_static_selectorELNS0_4arch9wavefront6targetE0EEEvT1_
                                        ; -- End function
	.set _ZN7rocprim17ROCPRIM_400000_NS6detail17trampoline_kernelINS0_14default_configENS1_25partition_config_selectorILNS1_17partition_subalgoE6EdNS0_10empty_typeEbEEZZNS1_14partition_implILS5_6ELb0ES3_mN6thrust23THRUST_200600_302600_NS6detail15normal_iteratorINSA_10device_ptrIdEEEEPS6_SG_NS0_5tupleIJSF_S6_EEENSH_IJSG_SG_EEES6_PlJNSB_9not_fun_tINSB_10functional5actorINSM_9compositeIJNSM_27transparent_binary_operatorINSA_8equal_toIvEEEENSN_INSM_8argumentILj0EEEEENSM_5valueIdEEEEEEEEEEEE10hipError_tPvRmT3_T4_T5_T6_T7_T9_mT8_P12ihipStream_tbDpT10_ENKUlT_T0_E_clISt17integral_constantIbLb1EES1K_EEDaS1F_S1G_EUlS1F_E_NS1_11comp_targetILNS1_3genE2ELNS1_11target_archE906ELNS1_3gpuE6ELNS1_3repE0EEENS1_30default_config_static_selectorELNS0_4arch9wavefront6targetE0EEEvT1_.num_vgpr, 0
	.set _ZN7rocprim17ROCPRIM_400000_NS6detail17trampoline_kernelINS0_14default_configENS1_25partition_config_selectorILNS1_17partition_subalgoE6EdNS0_10empty_typeEbEEZZNS1_14partition_implILS5_6ELb0ES3_mN6thrust23THRUST_200600_302600_NS6detail15normal_iteratorINSA_10device_ptrIdEEEEPS6_SG_NS0_5tupleIJSF_S6_EEENSH_IJSG_SG_EEES6_PlJNSB_9not_fun_tINSB_10functional5actorINSM_9compositeIJNSM_27transparent_binary_operatorINSA_8equal_toIvEEEENSN_INSM_8argumentILj0EEEEENSM_5valueIdEEEEEEEEEEEE10hipError_tPvRmT3_T4_T5_T6_T7_T9_mT8_P12ihipStream_tbDpT10_ENKUlT_T0_E_clISt17integral_constantIbLb1EES1K_EEDaS1F_S1G_EUlS1F_E_NS1_11comp_targetILNS1_3genE2ELNS1_11target_archE906ELNS1_3gpuE6ELNS1_3repE0EEENS1_30default_config_static_selectorELNS0_4arch9wavefront6targetE0EEEvT1_.num_agpr, 0
	.set _ZN7rocprim17ROCPRIM_400000_NS6detail17trampoline_kernelINS0_14default_configENS1_25partition_config_selectorILNS1_17partition_subalgoE6EdNS0_10empty_typeEbEEZZNS1_14partition_implILS5_6ELb0ES3_mN6thrust23THRUST_200600_302600_NS6detail15normal_iteratorINSA_10device_ptrIdEEEEPS6_SG_NS0_5tupleIJSF_S6_EEENSH_IJSG_SG_EEES6_PlJNSB_9not_fun_tINSB_10functional5actorINSM_9compositeIJNSM_27transparent_binary_operatorINSA_8equal_toIvEEEENSN_INSM_8argumentILj0EEEEENSM_5valueIdEEEEEEEEEEEE10hipError_tPvRmT3_T4_T5_T6_T7_T9_mT8_P12ihipStream_tbDpT10_ENKUlT_T0_E_clISt17integral_constantIbLb1EES1K_EEDaS1F_S1G_EUlS1F_E_NS1_11comp_targetILNS1_3genE2ELNS1_11target_archE906ELNS1_3gpuE6ELNS1_3repE0EEENS1_30default_config_static_selectorELNS0_4arch9wavefront6targetE0EEEvT1_.numbered_sgpr, 0
	.set _ZN7rocprim17ROCPRIM_400000_NS6detail17trampoline_kernelINS0_14default_configENS1_25partition_config_selectorILNS1_17partition_subalgoE6EdNS0_10empty_typeEbEEZZNS1_14partition_implILS5_6ELb0ES3_mN6thrust23THRUST_200600_302600_NS6detail15normal_iteratorINSA_10device_ptrIdEEEEPS6_SG_NS0_5tupleIJSF_S6_EEENSH_IJSG_SG_EEES6_PlJNSB_9not_fun_tINSB_10functional5actorINSM_9compositeIJNSM_27transparent_binary_operatorINSA_8equal_toIvEEEENSN_INSM_8argumentILj0EEEEENSM_5valueIdEEEEEEEEEEEE10hipError_tPvRmT3_T4_T5_T6_T7_T9_mT8_P12ihipStream_tbDpT10_ENKUlT_T0_E_clISt17integral_constantIbLb1EES1K_EEDaS1F_S1G_EUlS1F_E_NS1_11comp_targetILNS1_3genE2ELNS1_11target_archE906ELNS1_3gpuE6ELNS1_3repE0EEENS1_30default_config_static_selectorELNS0_4arch9wavefront6targetE0EEEvT1_.num_named_barrier, 0
	.set _ZN7rocprim17ROCPRIM_400000_NS6detail17trampoline_kernelINS0_14default_configENS1_25partition_config_selectorILNS1_17partition_subalgoE6EdNS0_10empty_typeEbEEZZNS1_14partition_implILS5_6ELb0ES3_mN6thrust23THRUST_200600_302600_NS6detail15normal_iteratorINSA_10device_ptrIdEEEEPS6_SG_NS0_5tupleIJSF_S6_EEENSH_IJSG_SG_EEES6_PlJNSB_9not_fun_tINSB_10functional5actorINSM_9compositeIJNSM_27transparent_binary_operatorINSA_8equal_toIvEEEENSN_INSM_8argumentILj0EEEEENSM_5valueIdEEEEEEEEEEEE10hipError_tPvRmT3_T4_T5_T6_T7_T9_mT8_P12ihipStream_tbDpT10_ENKUlT_T0_E_clISt17integral_constantIbLb1EES1K_EEDaS1F_S1G_EUlS1F_E_NS1_11comp_targetILNS1_3genE2ELNS1_11target_archE906ELNS1_3gpuE6ELNS1_3repE0EEENS1_30default_config_static_selectorELNS0_4arch9wavefront6targetE0EEEvT1_.private_seg_size, 0
	.set _ZN7rocprim17ROCPRIM_400000_NS6detail17trampoline_kernelINS0_14default_configENS1_25partition_config_selectorILNS1_17partition_subalgoE6EdNS0_10empty_typeEbEEZZNS1_14partition_implILS5_6ELb0ES3_mN6thrust23THRUST_200600_302600_NS6detail15normal_iteratorINSA_10device_ptrIdEEEEPS6_SG_NS0_5tupleIJSF_S6_EEENSH_IJSG_SG_EEES6_PlJNSB_9not_fun_tINSB_10functional5actorINSM_9compositeIJNSM_27transparent_binary_operatorINSA_8equal_toIvEEEENSN_INSM_8argumentILj0EEEEENSM_5valueIdEEEEEEEEEEEE10hipError_tPvRmT3_T4_T5_T6_T7_T9_mT8_P12ihipStream_tbDpT10_ENKUlT_T0_E_clISt17integral_constantIbLb1EES1K_EEDaS1F_S1G_EUlS1F_E_NS1_11comp_targetILNS1_3genE2ELNS1_11target_archE906ELNS1_3gpuE6ELNS1_3repE0EEENS1_30default_config_static_selectorELNS0_4arch9wavefront6targetE0EEEvT1_.uses_vcc, 0
	.set _ZN7rocprim17ROCPRIM_400000_NS6detail17trampoline_kernelINS0_14default_configENS1_25partition_config_selectorILNS1_17partition_subalgoE6EdNS0_10empty_typeEbEEZZNS1_14partition_implILS5_6ELb0ES3_mN6thrust23THRUST_200600_302600_NS6detail15normal_iteratorINSA_10device_ptrIdEEEEPS6_SG_NS0_5tupleIJSF_S6_EEENSH_IJSG_SG_EEES6_PlJNSB_9not_fun_tINSB_10functional5actorINSM_9compositeIJNSM_27transparent_binary_operatorINSA_8equal_toIvEEEENSN_INSM_8argumentILj0EEEEENSM_5valueIdEEEEEEEEEEEE10hipError_tPvRmT3_T4_T5_T6_T7_T9_mT8_P12ihipStream_tbDpT10_ENKUlT_T0_E_clISt17integral_constantIbLb1EES1K_EEDaS1F_S1G_EUlS1F_E_NS1_11comp_targetILNS1_3genE2ELNS1_11target_archE906ELNS1_3gpuE6ELNS1_3repE0EEENS1_30default_config_static_selectorELNS0_4arch9wavefront6targetE0EEEvT1_.uses_flat_scratch, 0
	.set _ZN7rocprim17ROCPRIM_400000_NS6detail17trampoline_kernelINS0_14default_configENS1_25partition_config_selectorILNS1_17partition_subalgoE6EdNS0_10empty_typeEbEEZZNS1_14partition_implILS5_6ELb0ES3_mN6thrust23THRUST_200600_302600_NS6detail15normal_iteratorINSA_10device_ptrIdEEEEPS6_SG_NS0_5tupleIJSF_S6_EEENSH_IJSG_SG_EEES6_PlJNSB_9not_fun_tINSB_10functional5actorINSM_9compositeIJNSM_27transparent_binary_operatorINSA_8equal_toIvEEEENSN_INSM_8argumentILj0EEEEENSM_5valueIdEEEEEEEEEEEE10hipError_tPvRmT3_T4_T5_T6_T7_T9_mT8_P12ihipStream_tbDpT10_ENKUlT_T0_E_clISt17integral_constantIbLb1EES1K_EEDaS1F_S1G_EUlS1F_E_NS1_11comp_targetILNS1_3genE2ELNS1_11target_archE906ELNS1_3gpuE6ELNS1_3repE0EEENS1_30default_config_static_selectorELNS0_4arch9wavefront6targetE0EEEvT1_.has_dyn_sized_stack, 0
	.set _ZN7rocprim17ROCPRIM_400000_NS6detail17trampoline_kernelINS0_14default_configENS1_25partition_config_selectorILNS1_17partition_subalgoE6EdNS0_10empty_typeEbEEZZNS1_14partition_implILS5_6ELb0ES3_mN6thrust23THRUST_200600_302600_NS6detail15normal_iteratorINSA_10device_ptrIdEEEEPS6_SG_NS0_5tupleIJSF_S6_EEENSH_IJSG_SG_EEES6_PlJNSB_9not_fun_tINSB_10functional5actorINSM_9compositeIJNSM_27transparent_binary_operatorINSA_8equal_toIvEEEENSN_INSM_8argumentILj0EEEEENSM_5valueIdEEEEEEEEEEEE10hipError_tPvRmT3_T4_T5_T6_T7_T9_mT8_P12ihipStream_tbDpT10_ENKUlT_T0_E_clISt17integral_constantIbLb1EES1K_EEDaS1F_S1G_EUlS1F_E_NS1_11comp_targetILNS1_3genE2ELNS1_11target_archE906ELNS1_3gpuE6ELNS1_3repE0EEENS1_30default_config_static_selectorELNS0_4arch9wavefront6targetE0EEEvT1_.has_recursion, 0
	.set _ZN7rocprim17ROCPRIM_400000_NS6detail17trampoline_kernelINS0_14default_configENS1_25partition_config_selectorILNS1_17partition_subalgoE6EdNS0_10empty_typeEbEEZZNS1_14partition_implILS5_6ELb0ES3_mN6thrust23THRUST_200600_302600_NS6detail15normal_iteratorINSA_10device_ptrIdEEEEPS6_SG_NS0_5tupleIJSF_S6_EEENSH_IJSG_SG_EEES6_PlJNSB_9not_fun_tINSB_10functional5actorINSM_9compositeIJNSM_27transparent_binary_operatorINSA_8equal_toIvEEEENSN_INSM_8argumentILj0EEEEENSM_5valueIdEEEEEEEEEEEE10hipError_tPvRmT3_T4_T5_T6_T7_T9_mT8_P12ihipStream_tbDpT10_ENKUlT_T0_E_clISt17integral_constantIbLb1EES1K_EEDaS1F_S1G_EUlS1F_E_NS1_11comp_targetILNS1_3genE2ELNS1_11target_archE906ELNS1_3gpuE6ELNS1_3repE0EEENS1_30default_config_static_selectorELNS0_4arch9wavefront6targetE0EEEvT1_.has_indirect_call, 0
	.section	.AMDGPU.csdata,"",@progbits
; Kernel info:
; codeLenInByte = 0
; TotalNumSgprs: 0
; NumVgprs: 0
; ScratchSize: 0
; MemoryBound: 0
; FloatMode: 240
; IeeeMode: 1
; LDSByteSize: 0 bytes/workgroup (compile time only)
; SGPRBlocks: 0
; VGPRBlocks: 0
; NumSGPRsForWavesPerEU: 1
; NumVGPRsForWavesPerEU: 1
; Occupancy: 16
; WaveLimiterHint : 0
; COMPUTE_PGM_RSRC2:SCRATCH_EN: 0
; COMPUTE_PGM_RSRC2:USER_SGPR: 2
; COMPUTE_PGM_RSRC2:TRAP_HANDLER: 0
; COMPUTE_PGM_RSRC2:TGID_X_EN: 1
; COMPUTE_PGM_RSRC2:TGID_Y_EN: 0
; COMPUTE_PGM_RSRC2:TGID_Z_EN: 0
; COMPUTE_PGM_RSRC2:TIDIG_COMP_CNT: 0
	.section	.text._ZN7rocprim17ROCPRIM_400000_NS6detail17trampoline_kernelINS0_14default_configENS1_25partition_config_selectorILNS1_17partition_subalgoE6EdNS0_10empty_typeEbEEZZNS1_14partition_implILS5_6ELb0ES3_mN6thrust23THRUST_200600_302600_NS6detail15normal_iteratorINSA_10device_ptrIdEEEEPS6_SG_NS0_5tupleIJSF_S6_EEENSH_IJSG_SG_EEES6_PlJNSB_9not_fun_tINSB_10functional5actorINSM_9compositeIJNSM_27transparent_binary_operatorINSA_8equal_toIvEEEENSN_INSM_8argumentILj0EEEEENSM_5valueIdEEEEEEEEEEEE10hipError_tPvRmT3_T4_T5_T6_T7_T9_mT8_P12ihipStream_tbDpT10_ENKUlT_T0_E_clISt17integral_constantIbLb1EES1K_EEDaS1F_S1G_EUlS1F_E_NS1_11comp_targetILNS1_3genE10ELNS1_11target_archE1200ELNS1_3gpuE4ELNS1_3repE0EEENS1_30default_config_static_selectorELNS0_4arch9wavefront6targetE0EEEvT1_,"axG",@progbits,_ZN7rocprim17ROCPRIM_400000_NS6detail17trampoline_kernelINS0_14default_configENS1_25partition_config_selectorILNS1_17partition_subalgoE6EdNS0_10empty_typeEbEEZZNS1_14partition_implILS5_6ELb0ES3_mN6thrust23THRUST_200600_302600_NS6detail15normal_iteratorINSA_10device_ptrIdEEEEPS6_SG_NS0_5tupleIJSF_S6_EEENSH_IJSG_SG_EEES6_PlJNSB_9not_fun_tINSB_10functional5actorINSM_9compositeIJNSM_27transparent_binary_operatorINSA_8equal_toIvEEEENSN_INSM_8argumentILj0EEEEENSM_5valueIdEEEEEEEEEEEE10hipError_tPvRmT3_T4_T5_T6_T7_T9_mT8_P12ihipStream_tbDpT10_ENKUlT_T0_E_clISt17integral_constantIbLb1EES1K_EEDaS1F_S1G_EUlS1F_E_NS1_11comp_targetILNS1_3genE10ELNS1_11target_archE1200ELNS1_3gpuE4ELNS1_3repE0EEENS1_30default_config_static_selectorELNS0_4arch9wavefront6targetE0EEEvT1_,comdat
	.protected	_ZN7rocprim17ROCPRIM_400000_NS6detail17trampoline_kernelINS0_14default_configENS1_25partition_config_selectorILNS1_17partition_subalgoE6EdNS0_10empty_typeEbEEZZNS1_14partition_implILS5_6ELb0ES3_mN6thrust23THRUST_200600_302600_NS6detail15normal_iteratorINSA_10device_ptrIdEEEEPS6_SG_NS0_5tupleIJSF_S6_EEENSH_IJSG_SG_EEES6_PlJNSB_9not_fun_tINSB_10functional5actorINSM_9compositeIJNSM_27transparent_binary_operatorINSA_8equal_toIvEEEENSN_INSM_8argumentILj0EEEEENSM_5valueIdEEEEEEEEEEEE10hipError_tPvRmT3_T4_T5_T6_T7_T9_mT8_P12ihipStream_tbDpT10_ENKUlT_T0_E_clISt17integral_constantIbLb1EES1K_EEDaS1F_S1G_EUlS1F_E_NS1_11comp_targetILNS1_3genE10ELNS1_11target_archE1200ELNS1_3gpuE4ELNS1_3repE0EEENS1_30default_config_static_selectorELNS0_4arch9wavefront6targetE0EEEvT1_ ; -- Begin function _ZN7rocprim17ROCPRIM_400000_NS6detail17trampoline_kernelINS0_14default_configENS1_25partition_config_selectorILNS1_17partition_subalgoE6EdNS0_10empty_typeEbEEZZNS1_14partition_implILS5_6ELb0ES3_mN6thrust23THRUST_200600_302600_NS6detail15normal_iteratorINSA_10device_ptrIdEEEEPS6_SG_NS0_5tupleIJSF_S6_EEENSH_IJSG_SG_EEES6_PlJNSB_9not_fun_tINSB_10functional5actorINSM_9compositeIJNSM_27transparent_binary_operatorINSA_8equal_toIvEEEENSN_INSM_8argumentILj0EEEEENSM_5valueIdEEEEEEEEEEEE10hipError_tPvRmT3_T4_T5_T6_T7_T9_mT8_P12ihipStream_tbDpT10_ENKUlT_T0_E_clISt17integral_constantIbLb1EES1K_EEDaS1F_S1G_EUlS1F_E_NS1_11comp_targetILNS1_3genE10ELNS1_11target_archE1200ELNS1_3gpuE4ELNS1_3repE0EEENS1_30default_config_static_selectorELNS0_4arch9wavefront6targetE0EEEvT1_
	.globl	_ZN7rocprim17ROCPRIM_400000_NS6detail17trampoline_kernelINS0_14default_configENS1_25partition_config_selectorILNS1_17partition_subalgoE6EdNS0_10empty_typeEbEEZZNS1_14partition_implILS5_6ELb0ES3_mN6thrust23THRUST_200600_302600_NS6detail15normal_iteratorINSA_10device_ptrIdEEEEPS6_SG_NS0_5tupleIJSF_S6_EEENSH_IJSG_SG_EEES6_PlJNSB_9not_fun_tINSB_10functional5actorINSM_9compositeIJNSM_27transparent_binary_operatorINSA_8equal_toIvEEEENSN_INSM_8argumentILj0EEEEENSM_5valueIdEEEEEEEEEEEE10hipError_tPvRmT3_T4_T5_T6_T7_T9_mT8_P12ihipStream_tbDpT10_ENKUlT_T0_E_clISt17integral_constantIbLb1EES1K_EEDaS1F_S1G_EUlS1F_E_NS1_11comp_targetILNS1_3genE10ELNS1_11target_archE1200ELNS1_3gpuE4ELNS1_3repE0EEENS1_30default_config_static_selectorELNS0_4arch9wavefront6targetE0EEEvT1_
	.p2align	8
	.type	_ZN7rocprim17ROCPRIM_400000_NS6detail17trampoline_kernelINS0_14default_configENS1_25partition_config_selectorILNS1_17partition_subalgoE6EdNS0_10empty_typeEbEEZZNS1_14partition_implILS5_6ELb0ES3_mN6thrust23THRUST_200600_302600_NS6detail15normal_iteratorINSA_10device_ptrIdEEEEPS6_SG_NS0_5tupleIJSF_S6_EEENSH_IJSG_SG_EEES6_PlJNSB_9not_fun_tINSB_10functional5actorINSM_9compositeIJNSM_27transparent_binary_operatorINSA_8equal_toIvEEEENSN_INSM_8argumentILj0EEEEENSM_5valueIdEEEEEEEEEEEE10hipError_tPvRmT3_T4_T5_T6_T7_T9_mT8_P12ihipStream_tbDpT10_ENKUlT_T0_E_clISt17integral_constantIbLb1EES1K_EEDaS1F_S1G_EUlS1F_E_NS1_11comp_targetILNS1_3genE10ELNS1_11target_archE1200ELNS1_3gpuE4ELNS1_3repE0EEENS1_30default_config_static_selectorELNS0_4arch9wavefront6targetE0EEEvT1_,@function
_ZN7rocprim17ROCPRIM_400000_NS6detail17trampoline_kernelINS0_14default_configENS1_25partition_config_selectorILNS1_17partition_subalgoE6EdNS0_10empty_typeEbEEZZNS1_14partition_implILS5_6ELb0ES3_mN6thrust23THRUST_200600_302600_NS6detail15normal_iteratorINSA_10device_ptrIdEEEEPS6_SG_NS0_5tupleIJSF_S6_EEENSH_IJSG_SG_EEES6_PlJNSB_9not_fun_tINSB_10functional5actorINSM_9compositeIJNSM_27transparent_binary_operatorINSA_8equal_toIvEEEENSN_INSM_8argumentILj0EEEEENSM_5valueIdEEEEEEEEEEEE10hipError_tPvRmT3_T4_T5_T6_T7_T9_mT8_P12ihipStream_tbDpT10_ENKUlT_T0_E_clISt17integral_constantIbLb1EES1K_EEDaS1F_S1G_EUlS1F_E_NS1_11comp_targetILNS1_3genE10ELNS1_11target_archE1200ELNS1_3gpuE4ELNS1_3repE0EEENS1_30default_config_static_selectorELNS0_4arch9wavefront6targetE0EEEvT1_: ; @_ZN7rocprim17ROCPRIM_400000_NS6detail17trampoline_kernelINS0_14default_configENS1_25partition_config_selectorILNS1_17partition_subalgoE6EdNS0_10empty_typeEbEEZZNS1_14partition_implILS5_6ELb0ES3_mN6thrust23THRUST_200600_302600_NS6detail15normal_iteratorINSA_10device_ptrIdEEEEPS6_SG_NS0_5tupleIJSF_S6_EEENSH_IJSG_SG_EEES6_PlJNSB_9not_fun_tINSB_10functional5actorINSM_9compositeIJNSM_27transparent_binary_operatorINSA_8equal_toIvEEEENSN_INSM_8argumentILj0EEEEENSM_5valueIdEEEEEEEEEEEE10hipError_tPvRmT3_T4_T5_T6_T7_T9_mT8_P12ihipStream_tbDpT10_ENKUlT_T0_E_clISt17integral_constantIbLb1EES1K_EEDaS1F_S1G_EUlS1F_E_NS1_11comp_targetILNS1_3genE10ELNS1_11target_archE1200ELNS1_3gpuE4ELNS1_3repE0EEENS1_30default_config_static_selectorELNS0_4arch9wavefront6targetE0EEEvT1_
; %bb.0:
	s_endpgm
	.section	.rodata,"a",@progbits
	.p2align	6, 0x0
	.amdhsa_kernel _ZN7rocprim17ROCPRIM_400000_NS6detail17trampoline_kernelINS0_14default_configENS1_25partition_config_selectorILNS1_17partition_subalgoE6EdNS0_10empty_typeEbEEZZNS1_14partition_implILS5_6ELb0ES3_mN6thrust23THRUST_200600_302600_NS6detail15normal_iteratorINSA_10device_ptrIdEEEEPS6_SG_NS0_5tupleIJSF_S6_EEENSH_IJSG_SG_EEES6_PlJNSB_9not_fun_tINSB_10functional5actorINSM_9compositeIJNSM_27transparent_binary_operatorINSA_8equal_toIvEEEENSN_INSM_8argumentILj0EEEEENSM_5valueIdEEEEEEEEEEEE10hipError_tPvRmT3_T4_T5_T6_T7_T9_mT8_P12ihipStream_tbDpT10_ENKUlT_T0_E_clISt17integral_constantIbLb1EES1K_EEDaS1F_S1G_EUlS1F_E_NS1_11comp_targetILNS1_3genE10ELNS1_11target_archE1200ELNS1_3gpuE4ELNS1_3repE0EEENS1_30default_config_static_selectorELNS0_4arch9wavefront6targetE0EEEvT1_
		.amdhsa_group_segment_fixed_size 0
		.amdhsa_private_segment_fixed_size 0
		.amdhsa_kernarg_size 136
		.amdhsa_user_sgpr_count 2
		.amdhsa_user_sgpr_dispatch_ptr 0
		.amdhsa_user_sgpr_queue_ptr 0
		.amdhsa_user_sgpr_kernarg_segment_ptr 1
		.amdhsa_user_sgpr_dispatch_id 0
		.amdhsa_user_sgpr_private_segment_size 0
		.amdhsa_wavefront_size32 1
		.amdhsa_uses_dynamic_stack 0
		.amdhsa_enable_private_segment 0
		.amdhsa_system_sgpr_workgroup_id_x 1
		.amdhsa_system_sgpr_workgroup_id_y 0
		.amdhsa_system_sgpr_workgroup_id_z 0
		.amdhsa_system_sgpr_workgroup_info 0
		.amdhsa_system_vgpr_workitem_id 0
		.amdhsa_next_free_vgpr 1
		.amdhsa_next_free_sgpr 1
		.amdhsa_reserve_vcc 0
		.amdhsa_float_round_mode_32 0
		.amdhsa_float_round_mode_16_64 0
		.amdhsa_float_denorm_mode_32 3
		.amdhsa_float_denorm_mode_16_64 3
		.amdhsa_fp16_overflow 0
		.amdhsa_workgroup_processor_mode 1
		.amdhsa_memory_ordered 1
		.amdhsa_forward_progress 1
		.amdhsa_inst_pref_size 1
		.amdhsa_round_robin_scheduling 0
		.amdhsa_exception_fp_ieee_invalid_op 0
		.amdhsa_exception_fp_denorm_src 0
		.amdhsa_exception_fp_ieee_div_zero 0
		.amdhsa_exception_fp_ieee_overflow 0
		.amdhsa_exception_fp_ieee_underflow 0
		.amdhsa_exception_fp_ieee_inexact 0
		.amdhsa_exception_int_div_zero 0
	.end_amdhsa_kernel
	.section	.text._ZN7rocprim17ROCPRIM_400000_NS6detail17trampoline_kernelINS0_14default_configENS1_25partition_config_selectorILNS1_17partition_subalgoE6EdNS0_10empty_typeEbEEZZNS1_14partition_implILS5_6ELb0ES3_mN6thrust23THRUST_200600_302600_NS6detail15normal_iteratorINSA_10device_ptrIdEEEEPS6_SG_NS0_5tupleIJSF_S6_EEENSH_IJSG_SG_EEES6_PlJNSB_9not_fun_tINSB_10functional5actorINSM_9compositeIJNSM_27transparent_binary_operatorINSA_8equal_toIvEEEENSN_INSM_8argumentILj0EEEEENSM_5valueIdEEEEEEEEEEEE10hipError_tPvRmT3_T4_T5_T6_T7_T9_mT8_P12ihipStream_tbDpT10_ENKUlT_T0_E_clISt17integral_constantIbLb1EES1K_EEDaS1F_S1G_EUlS1F_E_NS1_11comp_targetILNS1_3genE10ELNS1_11target_archE1200ELNS1_3gpuE4ELNS1_3repE0EEENS1_30default_config_static_selectorELNS0_4arch9wavefront6targetE0EEEvT1_,"axG",@progbits,_ZN7rocprim17ROCPRIM_400000_NS6detail17trampoline_kernelINS0_14default_configENS1_25partition_config_selectorILNS1_17partition_subalgoE6EdNS0_10empty_typeEbEEZZNS1_14partition_implILS5_6ELb0ES3_mN6thrust23THRUST_200600_302600_NS6detail15normal_iteratorINSA_10device_ptrIdEEEEPS6_SG_NS0_5tupleIJSF_S6_EEENSH_IJSG_SG_EEES6_PlJNSB_9not_fun_tINSB_10functional5actorINSM_9compositeIJNSM_27transparent_binary_operatorINSA_8equal_toIvEEEENSN_INSM_8argumentILj0EEEEENSM_5valueIdEEEEEEEEEEEE10hipError_tPvRmT3_T4_T5_T6_T7_T9_mT8_P12ihipStream_tbDpT10_ENKUlT_T0_E_clISt17integral_constantIbLb1EES1K_EEDaS1F_S1G_EUlS1F_E_NS1_11comp_targetILNS1_3genE10ELNS1_11target_archE1200ELNS1_3gpuE4ELNS1_3repE0EEENS1_30default_config_static_selectorELNS0_4arch9wavefront6targetE0EEEvT1_,comdat
.Lfunc_end25:
	.size	_ZN7rocprim17ROCPRIM_400000_NS6detail17trampoline_kernelINS0_14default_configENS1_25partition_config_selectorILNS1_17partition_subalgoE6EdNS0_10empty_typeEbEEZZNS1_14partition_implILS5_6ELb0ES3_mN6thrust23THRUST_200600_302600_NS6detail15normal_iteratorINSA_10device_ptrIdEEEEPS6_SG_NS0_5tupleIJSF_S6_EEENSH_IJSG_SG_EEES6_PlJNSB_9not_fun_tINSB_10functional5actorINSM_9compositeIJNSM_27transparent_binary_operatorINSA_8equal_toIvEEEENSN_INSM_8argumentILj0EEEEENSM_5valueIdEEEEEEEEEEEE10hipError_tPvRmT3_T4_T5_T6_T7_T9_mT8_P12ihipStream_tbDpT10_ENKUlT_T0_E_clISt17integral_constantIbLb1EES1K_EEDaS1F_S1G_EUlS1F_E_NS1_11comp_targetILNS1_3genE10ELNS1_11target_archE1200ELNS1_3gpuE4ELNS1_3repE0EEENS1_30default_config_static_selectorELNS0_4arch9wavefront6targetE0EEEvT1_, .Lfunc_end25-_ZN7rocprim17ROCPRIM_400000_NS6detail17trampoline_kernelINS0_14default_configENS1_25partition_config_selectorILNS1_17partition_subalgoE6EdNS0_10empty_typeEbEEZZNS1_14partition_implILS5_6ELb0ES3_mN6thrust23THRUST_200600_302600_NS6detail15normal_iteratorINSA_10device_ptrIdEEEEPS6_SG_NS0_5tupleIJSF_S6_EEENSH_IJSG_SG_EEES6_PlJNSB_9not_fun_tINSB_10functional5actorINSM_9compositeIJNSM_27transparent_binary_operatorINSA_8equal_toIvEEEENSN_INSM_8argumentILj0EEEEENSM_5valueIdEEEEEEEEEEEE10hipError_tPvRmT3_T4_T5_T6_T7_T9_mT8_P12ihipStream_tbDpT10_ENKUlT_T0_E_clISt17integral_constantIbLb1EES1K_EEDaS1F_S1G_EUlS1F_E_NS1_11comp_targetILNS1_3genE10ELNS1_11target_archE1200ELNS1_3gpuE4ELNS1_3repE0EEENS1_30default_config_static_selectorELNS0_4arch9wavefront6targetE0EEEvT1_
                                        ; -- End function
	.set _ZN7rocprim17ROCPRIM_400000_NS6detail17trampoline_kernelINS0_14default_configENS1_25partition_config_selectorILNS1_17partition_subalgoE6EdNS0_10empty_typeEbEEZZNS1_14partition_implILS5_6ELb0ES3_mN6thrust23THRUST_200600_302600_NS6detail15normal_iteratorINSA_10device_ptrIdEEEEPS6_SG_NS0_5tupleIJSF_S6_EEENSH_IJSG_SG_EEES6_PlJNSB_9not_fun_tINSB_10functional5actorINSM_9compositeIJNSM_27transparent_binary_operatorINSA_8equal_toIvEEEENSN_INSM_8argumentILj0EEEEENSM_5valueIdEEEEEEEEEEEE10hipError_tPvRmT3_T4_T5_T6_T7_T9_mT8_P12ihipStream_tbDpT10_ENKUlT_T0_E_clISt17integral_constantIbLb1EES1K_EEDaS1F_S1G_EUlS1F_E_NS1_11comp_targetILNS1_3genE10ELNS1_11target_archE1200ELNS1_3gpuE4ELNS1_3repE0EEENS1_30default_config_static_selectorELNS0_4arch9wavefront6targetE0EEEvT1_.num_vgpr, 0
	.set _ZN7rocprim17ROCPRIM_400000_NS6detail17trampoline_kernelINS0_14default_configENS1_25partition_config_selectorILNS1_17partition_subalgoE6EdNS0_10empty_typeEbEEZZNS1_14partition_implILS5_6ELb0ES3_mN6thrust23THRUST_200600_302600_NS6detail15normal_iteratorINSA_10device_ptrIdEEEEPS6_SG_NS0_5tupleIJSF_S6_EEENSH_IJSG_SG_EEES6_PlJNSB_9not_fun_tINSB_10functional5actorINSM_9compositeIJNSM_27transparent_binary_operatorINSA_8equal_toIvEEEENSN_INSM_8argumentILj0EEEEENSM_5valueIdEEEEEEEEEEEE10hipError_tPvRmT3_T4_T5_T6_T7_T9_mT8_P12ihipStream_tbDpT10_ENKUlT_T0_E_clISt17integral_constantIbLb1EES1K_EEDaS1F_S1G_EUlS1F_E_NS1_11comp_targetILNS1_3genE10ELNS1_11target_archE1200ELNS1_3gpuE4ELNS1_3repE0EEENS1_30default_config_static_selectorELNS0_4arch9wavefront6targetE0EEEvT1_.num_agpr, 0
	.set _ZN7rocprim17ROCPRIM_400000_NS6detail17trampoline_kernelINS0_14default_configENS1_25partition_config_selectorILNS1_17partition_subalgoE6EdNS0_10empty_typeEbEEZZNS1_14partition_implILS5_6ELb0ES3_mN6thrust23THRUST_200600_302600_NS6detail15normal_iteratorINSA_10device_ptrIdEEEEPS6_SG_NS0_5tupleIJSF_S6_EEENSH_IJSG_SG_EEES6_PlJNSB_9not_fun_tINSB_10functional5actorINSM_9compositeIJNSM_27transparent_binary_operatorINSA_8equal_toIvEEEENSN_INSM_8argumentILj0EEEEENSM_5valueIdEEEEEEEEEEEE10hipError_tPvRmT3_T4_T5_T6_T7_T9_mT8_P12ihipStream_tbDpT10_ENKUlT_T0_E_clISt17integral_constantIbLb1EES1K_EEDaS1F_S1G_EUlS1F_E_NS1_11comp_targetILNS1_3genE10ELNS1_11target_archE1200ELNS1_3gpuE4ELNS1_3repE0EEENS1_30default_config_static_selectorELNS0_4arch9wavefront6targetE0EEEvT1_.numbered_sgpr, 0
	.set _ZN7rocprim17ROCPRIM_400000_NS6detail17trampoline_kernelINS0_14default_configENS1_25partition_config_selectorILNS1_17partition_subalgoE6EdNS0_10empty_typeEbEEZZNS1_14partition_implILS5_6ELb0ES3_mN6thrust23THRUST_200600_302600_NS6detail15normal_iteratorINSA_10device_ptrIdEEEEPS6_SG_NS0_5tupleIJSF_S6_EEENSH_IJSG_SG_EEES6_PlJNSB_9not_fun_tINSB_10functional5actorINSM_9compositeIJNSM_27transparent_binary_operatorINSA_8equal_toIvEEEENSN_INSM_8argumentILj0EEEEENSM_5valueIdEEEEEEEEEEEE10hipError_tPvRmT3_T4_T5_T6_T7_T9_mT8_P12ihipStream_tbDpT10_ENKUlT_T0_E_clISt17integral_constantIbLb1EES1K_EEDaS1F_S1G_EUlS1F_E_NS1_11comp_targetILNS1_3genE10ELNS1_11target_archE1200ELNS1_3gpuE4ELNS1_3repE0EEENS1_30default_config_static_selectorELNS0_4arch9wavefront6targetE0EEEvT1_.num_named_barrier, 0
	.set _ZN7rocprim17ROCPRIM_400000_NS6detail17trampoline_kernelINS0_14default_configENS1_25partition_config_selectorILNS1_17partition_subalgoE6EdNS0_10empty_typeEbEEZZNS1_14partition_implILS5_6ELb0ES3_mN6thrust23THRUST_200600_302600_NS6detail15normal_iteratorINSA_10device_ptrIdEEEEPS6_SG_NS0_5tupleIJSF_S6_EEENSH_IJSG_SG_EEES6_PlJNSB_9not_fun_tINSB_10functional5actorINSM_9compositeIJNSM_27transparent_binary_operatorINSA_8equal_toIvEEEENSN_INSM_8argumentILj0EEEEENSM_5valueIdEEEEEEEEEEEE10hipError_tPvRmT3_T4_T5_T6_T7_T9_mT8_P12ihipStream_tbDpT10_ENKUlT_T0_E_clISt17integral_constantIbLb1EES1K_EEDaS1F_S1G_EUlS1F_E_NS1_11comp_targetILNS1_3genE10ELNS1_11target_archE1200ELNS1_3gpuE4ELNS1_3repE0EEENS1_30default_config_static_selectorELNS0_4arch9wavefront6targetE0EEEvT1_.private_seg_size, 0
	.set _ZN7rocprim17ROCPRIM_400000_NS6detail17trampoline_kernelINS0_14default_configENS1_25partition_config_selectorILNS1_17partition_subalgoE6EdNS0_10empty_typeEbEEZZNS1_14partition_implILS5_6ELb0ES3_mN6thrust23THRUST_200600_302600_NS6detail15normal_iteratorINSA_10device_ptrIdEEEEPS6_SG_NS0_5tupleIJSF_S6_EEENSH_IJSG_SG_EEES6_PlJNSB_9not_fun_tINSB_10functional5actorINSM_9compositeIJNSM_27transparent_binary_operatorINSA_8equal_toIvEEEENSN_INSM_8argumentILj0EEEEENSM_5valueIdEEEEEEEEEEEE10hipError_tPvRmT3_T4_T5_T6_T7_T9_mT8_P12ihipStream_tbDpT10_ENKUlT_T0_E_clISt17integral_constantIbLb1EES1K_EEDaS1F_S1G_EUlS1F_E_NS1_11comp_targetILNS1_3genE10ELNS1_11target_archE1200ELNS1_3gpuE4ELNS1_3repE0EEENS1_30default_config_static_selectorELNS0_4arch9wavefront6targetE0EEEvT1_.uses_vcc, 0
	.set _ZN7rocprim17ROCPRIM_400000_NS6detail17trampoline_kernelINS0_14default_configENS1_25partition_config_selectorILNS1_17partition_subalgoE6EdNS0_10empty_typeEbEEZZNS1_14partition_implILS5_6ELb0ES3_mN6thrust23THRUST_200600_302600_NS6detail15normal_iteratorINSA_10device_ptrIdEEEEPS6_SG_NS0_5tupleIJSF_S6_EEENSH_IJSG_SG_EEES6_PlJNSB_9not_fun_tINSB_10functional5actorINSM_9compositeIJNSM_27transparent_binary_operatorINSA_8equal_toIvEEEENSN_INSM_8argumentILj0EEEEENSM_5valueIdEEEEEEEEEEEE10hipError_tPvRmT3_T4_T5_T6_T7_T9_mT8_P12ihipStream_tbDpT10_ENKUlT_T0_E_clISt17integral_constantIbLb1EES1K_EEDaS1F_S1G_EUlS1F_E_NS1_11comp_targetILNS1_3genE10ELNS1_11target_archE1200ELNS1_3gpuE4ELNS1_3repE0EEENS1_30default_config_static_selectorELNS0_4arch9wavefront6targetE0EEEvT1_.uses_flat_scratch, 0
	.set _ZN7rocprim17ROCPRIM_400000_NS6detail17trampoline_kernelINS0_14default_configENS1_25partition_config_selectorILNS1_17partition_subalgoE6EdNS0_10empty_typeEbEEZZNS1_14partition_implILS5_6ELb0ES3_mN6thrust23THRUST_200600_302600_NS6detail15normal_iteratorINSA_10device_ptrIdEEEEPS6_SG_NS0_5tupleIJSF_S6_EEENSH_IJSG_SG_EEES6_PlJNSB_9not_fun_tINSB_10functional5actorINSM_9compositeIJNSM_27transparent_binary_operatorINSA_8equal_toIvEEEENSN_INSM_8argumentILj0EEEEENSM_5valueIdEEEEEEEEEEEE10hipError_tPvRmT3_T4_T5_T6_T7_T9_mT8_P12ihipStream_tbDpT10_ENKUlT_T0_E_clISt17integral_constantIbLb1EES1K_EEDaS1F_S1G_EUlS1F_E_NS1_11comp_targetILNS1_3genE10ELNS1_11target_archE1200ELNS1_3gpuE4ELNS1_3repE0EEENS1_30default_config_static_selectorELNS0_4arch9wavefront6targetE0EEEvT1_.has_dyn_sized_stack, 0
	.set _ZN7rocprim17ROCPRIM_400000_NS6detail17trampoline_kernelINS0_14default_configENS1_25partition_config_selectorILNS1_17partition_subalgoE6EdNS0_10empty_typeEbEEZZNS1_14partition_implILS5_6ELb0ES3_mN6thrust23THRUST_200600_302600_NS6detail15normal_iteratorINSA_10device_ptrIdEEEEPS6_SG_NS0_5tupleIJSF_S6_EEENSH_IJSG_SG_EEES6_PlJNSB_9not_fun_tINSB_10functional5actorINSM_9compositeIJNSM_27transparent_binary_operatorINSA_8equal_toIvEEEENSN_INSM_8argumentILj0EEEEENSM_5valueIdEEEEEEEEEEEE10hipError_tPvRmT3_T4_T5_T6_T7_T9_mT8_P12ihipStream_tbDpT10_ENKUlT_T0_E_clISt17integral_constantIbLb1EES1K_EEDaS1F_S1G_EUlS1F_E_NS1_11comp_targetILNS1_3genE10ELNS1_11target_archE1200ELNS1_3gpuE4ELNS1_3repE0EEENS1_30default_config_static_selectorELNS0_4arch9wavefront6targetE0EEEvT1_.has_recursion, 0
	.set _ZN7rocprim17ROCPRIM_400000_NS6detail17trampoline_kernelINS0_14default_configENS1_25partition_config_selectorILNS1_17partition_subalgoE6EdNS0_10empty_typeEbEEZZNS1_14partition_implILS5_6ELb0ES3_mN6thrust23THRUST_200600_302600_NS6detail15normal_iteratorINSA_10device_ptrIdEEEEPS6_SG_NS0_5tupleIJSF_S6_EEENSH_IJSG_SG_EEES6_PlJNSB_9not_fun_tINSB_10functional5actorINSM_9compositeIJNSM_27transparent_binary_operatorINSA_8equal_toIvEEEENSN_INSM_8argumentILj0EEEEENSM_5valueIdEEEEEEEEEEEE10hipError_tPvRmT3_T4_T5_T6_T7_T9_mT8_P12ihipStream_tbDpT10_ENKUlT_T0_E_clISt17integral_constantIbLb1EES1K_EEDaS1F_S1G_EUlS1F_E_NS1_11comp_targetILNS1_3genE10ELNS1_11target_archE1200ELNS1_3gpuE4ELNS1_3repE0EEENS1_30default_config_static_selectorELNS0_4arch9wavefront6targetE0EEEvT1_.has_indirect_call, 0
	.section	.AMDGPU.csdata,"",@progbits
; Kernel info:
; codeLenInByte = 4
; TotalNumSgprs: 0
; NumVgprs: 0
; ScratchSize: 0
; MemoryBound: 0
; FloatMode: 240
; IeeeMode: 1
; LDSByteSize: 0 bytes/workgroup (compile time only)
; SGPRBlocks: 0
; VGPRBlocks: 0
; NumSGPRsForWavesPerEU: 1
; NumVGPRsForWavesPerEU: 1
; Occupancy: 16
; WaveLimiterHint : 0
; COMPUTE_PGM_RSRC2:SCRATCH_EN: 0
; COMPUTE_PGM_RSRC2:USER_SGPR: 2
; COMPUTE_PGM_RSRC2:TRAP_HANDLER: 0
; COMPUTE_PGM_RSRC2:TGID_X_EN: 1
; COMPUTE_PGM_RSRC2:TGID_Y_EN: 0
; COMPUTE_PGM_RSRC2:TGID_Z_EN: 0
; COMPUTE_PGM_RSRC2:TIDIG_COMP_CNT: 0
	.section	.text._ZN7rocprim17ROCPRIM_400000_NS6detail17trampoline_kernelINS0_14default_configENS1_25partition_config_selectorILNS1_17partition_subalgoE6EdNS0_10empty_typeEbEEZZNS1_14partition_implILS5_6ELb0ES3_mN6thrust23THRUST_200600_302600_NS6detail15normal_iteratorINSA_10device_ptrIdEEEEPS6_SG_NS0_5tupleIJSF_S6_EEENSH_IJSG_SG_EEES6_PlJNSB_9not_fun_tINSB_10functional5actorINSM_9compositeIJNSM_27transparent_binary_operatorINSA_8equal_toIvEEEENSN_INSM_8argumentILj0EEEEENSM_5valueIdEEEEEEEEEEEE10hipError_tPvRmT3_T4_T5_T6_T7_T9_mT8_P12ihipStream_tbDpT10_ENKUlT_T0_E_clISt17integral_constantIbLb1EES1K_EEDaS1F_S1G_EUlS1F_E_NS1_11comp_targetILNS1_3genE9ELNS1_11target_archE1100ELNS1_3gpuE3ELNS1_3repE0EEENS1_30default_config_static_selectorELNS0_4arch9wavefront6targetE0EEEvT1_,"axG",@progbits,_ZN7rocprim17ROCPRIM_400000_NS6detail17trampoline_kernelINS0_14default_configENS1_25partition_config_selectorILNS1_17partition_subalgoE6EdNS0_10empty_typeEbEEZZNS1_14partition_implILS5_6ELb0ES3_mN6thrust23THRUST_200600_302600_NS6detail15normal_iteratorINSA_10device_ptrIdEEEEPS6_SG_NS0_5tupleIJSF_S6_EEENSH_IJSG_SG_EEES6_PlJNSB_9not_fun_tINSB_10functional5actorINSM_9compositeIJNSM_27transparent_binary_operatorINSA_8equal_toIvEEEENSN_INSM_8argumentILj0EEEEENSM_5valueIdEEEEEEEEEEEE10hipError_tPvRmT3_T4_T5_T6_T7_T9_mT8_P12ihipStream_tbDpT10_ENKUlT_T0_E_clISt17integral_constantIbLb1EES1K_EEDaS1F_S1G_EUlS1F_E_NS1_11comp_targetILNS1_3genE9ELNS1_11target_archE1100ELNS1_3gpuE3ELNS1_3repE0EEENS1_30default_config_static_selectorELNS0_4arch9wavefront6targetE0EEEvT1_,comdat
	.protected	_ZN7rocprim17ROCPRIM_400000_NS6detail17trampoline_kernelINS0_14default_configENS1_25partition_config_selectorILNS1_17partition_subalgoE6EdNS0_10empty_typeEbEEZZNS1_14partition_implILS5_6ELb0ES3_mN6thrust23THRUST_200600_302600_NS6detail15normal_iteratorINSA_10device_ptrIdEEEEPS6_SG_NS0_5tupleIJSF_S6_EEENSH_IJSG_SG_EEES6_PlJNSB_9not_fun_tINSB_10functional5actorINSM_9compositeIJNSM_27transparent_binary_operatorINSA_8equal_toIvEEEENSN_INSM_8argumentILj0EEEEENSM_5valueIdEEEEEEEEEEEE10hipError_tPvRmT3_T4_T5_T6_T7_T9_mT8_P12ihipStream_tbDpT10_ENKUlT_T0_E_clISt17integral_constantIbLb1EES1K_EEDaS1F_S1G_EUlS1F_E_NS1_11comp_targetILNS1_3genE9ELNS1_11target_archE1100ELNS1_3gpuE3ELNS1_3repE0EEENS1_30default_config_static_selectorELNS0_4arch9wavefront6targetE0EEEvT1_ ; -- Begin function _ZN7rocprim17ROCPRIM_400000_NS6detail17trampoline_kernelINS0_14default_configENS1_25partition_config_selectorILNS1_17partition_subalgoE6EdNS0_10empty_typeEbEEZZNS1_14partition_implILS5_6ELb0ES3_mN6thrust23THRUST_200600_302600_NS6detail15normal_iteratorINSA_10device_ptrIdEEEEPS6_SG_NS0_5tupleIJSF_S6_EEENSH_IJSG_SG_EEES6_PlJNSB_9not_fun_tINSB_10functional5actorINSM_9compositeIJNSM_27transparent_binary_operatorINSA_8equal_toIvEEEENSN_INSM_8argumentILj0EEEEENSM_5valueIdEEEEEEEEEEEE10hipError_tPvRmT3_T4_T5_T6_T7_T9_mT8_P12ihipStream_tbDpT10_ENKUlT_T0_E_clISt17integral_constantIbLb1EES1K_EEDaS1F_S1G_EUlS1F_E_NS1_11comp_targetILNS1_3genE9ELNS1_11target_archE1100ELNS1_3gpuE3ELNS1_3repE0EEENS1_30default_config_static_selectorELNS0_4arch9wavefront6targetE0EEEvT1_
	.globl	_ZN7rocprim17ROCPRIM_400000_NS6detail17trampoline_kernelINS0_14default_configENS1_25partition_config_selectorILNS1_17partition_subalgoE6EdNS0_10empty_typeEbEEZZNS1_14partition_implILS5_6ELb0ES3_mN6thrust23THRUST_200600_302600_NS6detail15normal_iteratorINSA_10device_ptrIdEEEEPS6_SG_NS0_5tupleIJSF_S6_EEENSH_IJSG_SG_EEES6_PlJNSB_9not_fun_tINSB_10functional5actorINSM_9compositeIJNSM_27transparent_binary_operatorINSA_8equal_toIvEEEENSN_INSM_8argumentILj0EEEEENSM_5valueIdEEEEEEEEEEEE10hipError_tPvRmT3_T4_T5_T6_T7_T9_mT8_P12ihipStream_tbDpT10_ENKUlT_T0_E_clISt17integral_constantIbLb1EES1K_EEDaS1F_S1G_EUlS1F_E_NS1_11comp_targetILNS1_3genE9ELNS1_11target_archE1100ELNS1_3gpuE3ELNS1_3repE0EEENS1_30default_config_static_selectorELNS0_4arch9wavefront6targetE0EEEvT1_
	.p2align	8
	.type	_ZN7rocprim17ROCPRIM_400000_NS6detail17trampoline_kernelINS0_14default_configENS1_25partition_config_selectorILNS1_17partition_subalgoE6EdNS0_10empty_typeEbEEZZNS1_14partition_implILS5_6ELb0ES3_mN6thrust23THRUST_200600_302600_NS6detail15normal_iteratorINSA_10device_ptrIdEEEEPS6_SG_NS0_5tupleIJSF_S6_EEENSH_IJSG_SG_EEES6_PlJNSB_9not_fun_tINSB_10functional5actorINSM_9compositeIJNSM_27transparent_binary_operatorINSA_8equal_toIvEEEENSN_INSM_8argumentILj0EEEEENSM_5valueIdEEEEEEEEEEEE10hipError_tPvRmT3_T4_T5_T6_T7_T9_mT8_P12ihipStream_tbDpT10_ENKUlT_T0_E_clISt17integral_constantIbLb1EES1K_EEDaS1F_S1G_EUlS1F_E_NS1_11comp_targetILNS1_3genE9ELNS1_11target_archE1100ELNS1_3gpuE3ELNS1_3repE0EEENS1_30default_config_static_selectorELNS0_4arch9wavefront6targetE0EEEvT1_,@function
_ZN7rocprim17ROCPRIM_400000_NS6detail17trampoline_kernelINS0_14default_configENS1_25partition_config_selectorILNS1_17partition_subalgoE6EdNS0_10empty_typeEbEEZZNS1_14partition_implILS5_6ELb0ES3_mN6thrust23THRUST_200600_302600_NS6detail15normal_iteratorINSA_10device_ptrIdEEEEPS6_SG_NS0_5tupleIJSF_S6_EEENSH_IJSG_SG_EEES6_PlJNSB_9not_fun_tINSB_10functional5actorINSM_9compositeIJNSM_27transparent_binary_operatorINSA_8equal_toIvEEEENSN_INSM_8argumentILj0EEEEENSM_5valueIdEEEEEEEEEEEE10hipError_tPvRmT3_T4_T5_T6_T7_T9_mT8_P12ihipStream_tbDpT10_ENKUlT_T0_E_clISt17integral_constantIbLb1EES1K_EEDaS1F_S1G_EUlS1F_E_NS1_11comp_targetILNS1_3genE9ELNS1_11target_archE1100ELNS1_3gpuE3ELNS1_3repE0EEENS1_30default_config_static_selectorELNS0_4arch9wavefront6targetE0EEEvT1_: ; @_ZN7rocprim17ROCPRIM_400000_NS6detail17trampoline_kernelINS0_14default_configENS1_25partition_config_selectorILNS1_17partition_subalgoE6EdNS0_10empty_typeEbEEZZNS1_14partition_implILS5_6ELb0ES3_mN6thrust23THRUST_200600_302600_NS6detail15normal_iteratorINSA_10device_ptrIdEEEEPS6_SG_NS0_5tupleIJSF_S6_EEENSH_IJSG_SG_EEES6_PlJNSB_9not_fun_tINSB_10functional5actorINSM_9compositeIJNSM_27transparent_binary_operatorINSA_8equal_toIvEEEENSN_INSM_8argumentILj0EEEEENSM_5valueIdEEEEEEEEEEEE10hipError_tPvRmT3_T4_T5_T6_T7_T9_mT8_P12ihipStream_tbDpT10_ENKUlT_T0_E_clISt17integral_constantIbLb1EES1K_EEDaS1F_S1G_EUlS1F_E_NS1_11comp_targetILNS1_3genE9ELNS1_11target_archE1100ELNS1_3gpuE3ELNS1_3repE0EEENS1_30default_config_static_selectorELNS0_4arch9wavefront6targetE0EEEvT1_
; %bb.0:
	.section	.rodata,"a",@progbits
	.p2align	6, 0x0
	.amdhsa_kernel _ZN7rocprim17ROCPRIM_400000_NS6detail17trampoline_kernelINS0_14default_configENS1_25partition_config_selectorILNS1_17partition_subalgoE6EdNS0_10empty_typeEbEEZZNS1_14partition_implILS5_6ELb0ES3_mN6thrust23THRUST_200600_302600_NS6detail15normal_iteratorINSA_10device_ptrIdEEEEPS6_SG_NS0_5tupleIJSF_S6_EEENSH_IJSG_SG_EEES6_PlJNSB_9not_fun_tINSB_10functional5actorINSM_9compositeIJNSM_27transparent_binary_operatorINSA_8equal_toIvEEEENSN_INSM_8argumentILj0EEEEENSM_5valueIdEEEEEEEEEEEE10hipError_tPvRmT3_T4_T5_T6_T7_T9_mT8_P12ihipStream_tbDpT10_ENKUlT_T0_E_clISt17integral_constantIbLb1EES1K_EEDaS1F_S1G_EUlS1F_E_NS1_11comp_targetILNS1_3genE9ELNS1_11target_archE1100ELNS1_3gpuE3ELNS1_3repE0EEENS1_30default_config_static_selectorELNS0_4arch9wavefront6targetE0EEEvT1_
		.amdhsa_group_segment_fixed_size 0
		.amdhsa_private_segment_fixed_size 0
		.amdhsa_kernarg_size 136
		.amdhsa_user_sgpr_count 2
		.amdhsa_user_sgpr_dispatch_ptr 0
		.amdhsa_user_sgpr_queue_ptr 0
		.amdhsa_user_sgpr_kernarg_segment_ptr 1
		.amdhsa_user_sgpr_dispatch_id 0
		.amdhsa_user_sgpr_private_segment_size 0
		.amdhsa_wavefront_size32 1
		.amdhsa_uses_dynamic_stack 0
		.amdhsa_enable_private_segment 0
		.amdhsa_system_sgpr_workgroup_id_x 1
		.amdhsa_system_sgpr_workgroup_id_y 0
		.amdhsa_system_sgpr_workgroup_id_z 0
		.amdhsa_system_sgpr_workgroup_info 0
		.amdhsa_system_vgpr_workitem_id 0
		.amdhsa_next_free_vgpr 1
		.amdhsa_next_free_sgpr 1
		.amdhsa_reserve_vcc 0
		.amdhsa_float_round_mode_32 0
		.amdhsa_float_round_mode_16_64 0
		.amdhsa_float_denorm_mode_32 3
		.amdhsa_float_denorm_mode_16_64 3
		.amdhsa_fp16_overflow 0
		.amdhsa_workgroup_processor_mode 1
		.amdhsa_memory_ordered 1
		.amdhsa_forward_progress 1
		.amdhsa_inst_pref_size 0
		.amdhsa_round_robin_scheduling 0
		.amdhsa_exception_fp_ieee_invalid_op 0
		.amdhsa_exception_fp_denorm_src 0
		.amdhsa_exception_fp_ieee_div_zero 0
		.amdhsa_exception_fp_ieee_overflow 0
		.amdhsa_exception_fp_ieee_underflow 0
		.amdhsa_exception_fp_ieee_inexact 0
		.amdhsa_exception_int_div_zero 0
	.end_amdhsa_kernel
	.section	.text._ZN7rocprim17ROCPRIM_400000_NS6detail17trampoline_kernelINS0_14default_configENS1_25partition_config_selectorILNS1_17partition_subalgoE6EdNS0_10empty_typeEbEEZZNS1_14partition_implILS5_6ELb0ES3_mN6thrust23THRUST_200600_302600_NS6detail15normal_iteratorINSA_10device_ptrIdEEEEPS6_SG_NS0_5tupleIJSF_S6_EEENSH_IJSG_SG_EEES6_PlJNSB_9not_fun_tINSB_10functional5actorINSM_9compositeIJNSM_27transparent_binary_operatorINSA_8equal_toIvEEEENSN_INSM_8argumentILj0EEEEENSM_5valueIdEEEEEEEEEEEE10hipError_tPvRmT3_T4_T5_T6_T7_T9_mT8_P12ihipStream_tbDpT10_ENKUlT_T0_E_clISt17integral_constantIbLb1EES1K_EEDaS1F_S1G_EUlS1F_E_NS1_11comp_targetILNS1_3genE9ELNS1_11target_archE1100ELNS1_3gpuE3ELNS1_3repE0EEENS1_30default_config_static_selectorELNS0_4arch9wavefront6targetE0EEEvT1_,"axG",@progbits,_ZN7rocprim17ROCPRIM_400000_NS6detail17trampoline_kernelINS0_14default_configENS1_25partition_config_selectorILNS1_17partition_subalgoE6EdNS0_10empty_typeEbEEZZNS1_14partition_implILS5_6ELb0ES3_mN6thrust23THRUST_200600_302600_NS6detail15normal_iteratorINSA_10device_ptrIdEEEEPS6_SG_NS0_5tupleIJSF_S6_EEENSH_IJSG_SG_EEES6_PlJNSB_9not_fun_tINSB_10functional5actorINSM_9compositeIJNSM_27transparent_binary_operatorINSA_8equal_toIvEEEENSN_INSM_8argumentILj0EEEEENSM_5valueIdEEEEEEEEEEEE10hipError_tPvRmT3_T4_T5_T6_T7_T9_mT8_P12ihipStream_tbDpT10_ENKUlT_T0_E_clISt17integral_constantIbLb1EES1K_EEDaS1F_S1G_EUlS1F_E_NS1_11comp_targetILNS1_3genE9ELNS1_11target_archE1100ELNS1_3gpuE3ELNS1_3repE0EEENS1_30default_config_static_selectorELNS0_4arch9wavefront6targetE0EEEvT1_,comdat
.Lfunc_end26:
	.size	_ZN7rocprim17ROCPRIM_400000_NS6detail17trampoline_kernelINS0_14default_configENS1_25partition_config_selectorILNS1_17partition_subalgoE6EdNS0_10empty_typeEbEEZZNS1_14partition_implILS5_6ELb0ES3_mN6thrust23THRUST_200600_302600_NS6detail15normal_iteratorINSA_10device_ptrIdEEEEPS6_SG_NS0_5tupleIJSF_S6_EEENSH_IJSG_SG_EEES6_PlJNSB_9not_fun_tINSB_10functional5actorINSM_9compositeIJNSM_27transparent_binary_operatorINSA_8equal_toIvEEEENSN_INSM_8argumentILj0EEEEENSM_5valueIdEEEEEEEEEEEE10hipError_tPvRmT3_T4_T5_T6_T7_T9_mT8_P12ihipStream_tbDpT10_ENKUlT_T0_E_clISt17integral_constantIbLb1EES1K_EEDaS1F_S1G_EUlS1F_E_NS1_11comp_targetILNS1_3genE9ELNS1_11target_archE1100ELNS1_3gpuE3ELNS1_3repE0EEENS1_30default_config_static_selectorELNS0_4arch9wavefront6targetE0EEEvT1_, .Lfunc_end26-_ZN7rocprim17ROCPRIM_400000_NS6detail17trampoline_kernelINS0_14default_configENS1_25partition_config_selectorILNS1_17partition_subalgoE6EdNS0_10empty_typeEbEEZZNS1_14partition_implILS5_6ELb0ES3_mN6thrust23THRUST_200600_302600_NS6detail15normal_iteratorINSA_10device_ptrIdEEEEPS6_SG_NS0_5tupleIJSF_S6_EEENSH_IJSG_SG_EEES6_PlJNSB_9not_fun_tINSB_10functional5actorINSM_9compositeIJNSM_27transparent_binary_operatorINSA_8equal_toIvEEEENSN_INSM_8argumentILj0EEEEENSM_5valueIdEEEEEEEEEEEE10hipError_tPvRmT3_T4_T5_T6_T7_T9_mT8_P12ihipStream_tbDpT10_ENKUlT_T0_E_clISt17integral_constantIbLb1EES1K_EEDaS1F_S1G_EUlS1F_E_NS1_11comp_targetILNS1_3genE9ELNS1_11target_archE1100ELNS1_3gpuE3ELNS1_3repE0EEENS1_30default_config_static_selectorELNS0_4arch9wavefront6targetE0EEEvT1_
                                        ; -- End function
	.set _ZN7rocprim17ROCPRIM_400000_NS6detail17trampoline_kernelINS0_14default_configENS1_25partition_config_selectorILNS1_17partition_subalgoE6EdNS0_10empty_typeEbEEZZNS1_14partition_implILS5_6ELb0ES3_mN6thrust23THRUST_200600_302600_NS6detail15normal_iteratorINSA_10device_ptrIdEEEEPS6_SG_NS0_5tupleIJSF_S6_EEENSH_IJSG_SG_EEES6_PlJNSB_9not_fun_tINSB_10functional5actorINSM_9compositeIJNSM_27transparent_binary_operatorINSA_8equal_toIvEEEENSN_INSM_8argumentILj0EEEEENSM_5valueIdEEEEEEEEEEEE10hipError_tPvRmT3_T4_T5_T6_T7_T9_mT8_P12ihipStream_tbDpT10_ENKUlT_T0_E_clISt17integral_constantIbLb1EES1K_EEDaS1F_S1G_EUlS1F_E_NS1_11comp_targetILNS1_3genE9ELNS1_11target_archE1100ELNS1_3gpuE3ELNS1_3repE0EEENS1_30default_config_static_selectorELNS0_4arch9wavefront6targetE0EEEvT1_.num_vgpr, 0
	.set _ZN7rocprim17ROCPRIM_400000_NS6detail17trampoline_kernelINS0_14default_configENS1_25partition_config_selectorILNS1_17partition_subalgoE6EdNS0_10empty_typeEbEEZZNS1_14partition_implILS5_6ELb0ES3_mN6thrust23THRUST_200600_302600_NS6detail15normal_iteratorINSA_10device_ptrIdEEEEPS6_SG_NS0_5tupleIJSF_S6_EEENSH_IJSG_SG_EEES6_PlJNSB_9not_fun_tINSB_10functional5actorINSM_9compositeIJNSM_27transparent_binary_operatorINSA_8equal_toIvEEEENSN_INSM_8argumentILj0EEEEENSM_5valueIdEEEEEEEEEEEE10hipError_tPvRmT3_T4_T5_T6_T7_T9_mT8_P12ihipStream_tbDpT10_ENKUlT_T0_E_clISt17integral_constantIbLb1EES1K_EEDaS1F_S1G_EUlS1F_E_NS1_11comp_targetILNS1_3genE9ELNS1_11target_archE1100ELNS1_3gpuE3ELNS1_3repE0EEENS1_30default_config_static_selectorELNS0_4arch9wavefront6targetE0EEEvT1_.num_agpr, 0
	.set _ZN7rocprim17ROCPRIM_400000_NS6detail17trampoline_kernelINS0_14default_configENS1_25partition_config_selectorILNS1_17partition_subalgoE6EdNS0_10empty_typeEbEEZZNS1_14partition_implILS5_6ELb0ES3_mN6thrust23THRUST_200600_302600_NS6detail15normal_iteratorINSA_10device_ptrIdEEEEPS6_SG_NS0_5tupleIJSF_S6_EEENSH_IJSG_SG_EEES6_PlJNSB_9not_fun_tINSB_10functional5actorINSM_9compositeIJNSM_27transparent_binary_operatorINSA_8equal_toIvEEEENSN_INSM_8argumentILj0EEEEENSM_5valueIdEEEEEEEEEEEE10hipError_tPvRmT3_T4_T5_T6_T7_T9_mT8_P12ihipStream_tbDpT10_ENKUlT_T0_E_clISt17integral_constantIbLb1EES1K_EEDaS1F_S1G_EUlS1F_E_NS1_11comp_targetILNS1_3genE9ELNS1_11target_archE1100ELNS1_3gpuE3ELNS1_3repE0EEENS1_30default_config_static_selectorELNS0_4arch9wavefront6targetE0EEEvT1_.numbered_sgpr, 0
	.set _ZN7rocprim17ROCPRIM_400000_NS6detail17trampoline_kernelINS0_14default_configENS1_25partition_config_selectorILNS1_17partition_subalgoE6EdNS0_10empty_typeEbEEZZNS1_14partition_implILS5_6ELb0ES3_mN6thrust23THRUST_200600_302600_NS6detail15normal_iteratorINSA_10device_ptrIdEEEEPS6_SG_NS0_5tupleIJSF_S6_EEENSH_IJSG_SG_EEES6_PlJNSB_9not_fun_tINSB_10functional5actorINSM_9compositeIJNSM_27transparent_binary_operatorINSA_8equal_toIvEEEENSN_INSM_8argumentILj0EEEEENSM_5valueIdEEEEEEEEEEEE10hipError_tPvRmT3_T4_T5_T6_T7_T9_mT8_P12ihipStream_tbDpT10_ENKUlT_T0_E_clISt17integral_constantIbLb1EES1K_EEDaS1F_S1G_EUlS1F_E_NS1_11comp_targetILNS1_3genE9ELNS1_11target_archE1100ELNS1_3gpuE3ELNS1_3repE0EEENS1_30default_config_static_selectorELNS0_4arch9wavefront6targetE0EEEvT1_.num_named_barrier, 0
	.set _ZN7rocprim17ROCPRIM_400000_NS6detail17trampoline_kernelINS0_14default_configENS1_25partition_config_selectorILNS1_17partition_subalgoE6EdNS0_10empty_typeEbEEZZNS1_14partition_implILS5_6ELb0ES3_mN6thrust23THRUST_200600_302600_NS6detail15normal_iteratorINSA_10device_ptrIdEEEEPS6_SG_NS0_5tupleIJSF_S6_EEENSH_IJSG_SG_EEES6_PlJNSB_9not_fun_tINSB_10functional5actorINSM_9compositeIJNSM_27transparent_binary_operatorINSA_8equal_toIvEEEENSN_INSM_8argumentILj0EEEEENSM_5valueIdEEEEEEEEEEEE10hipError_tPvRmT3_T4_T5_T6_T7_T9_mT8_P12ihipStream_tbDpT10_ENKUlT_T0_E_clISt17integral_constantIbLb1EES1K_EEDaS1F_S1G_EUlS1F_E_NS1_11comp_targetILNS1_3genE9ELNS1_11target_archE1100ELNS1_3gpuE3ELNS1_3repE0EEENS1_30default_config_static_selectorELNS0_4arch9wavefront6targetE0EEEvT1_.private_seg_size, 0
	.set _ZN7rocprim17ROCPRIM_400000_NS6detail17trampoline_kernelINS0_14default_configENS1_25partition_config_selectorILNS1_17partition_subalgoE6EdNS0_10empty_typeEbEEZZNS1_14partition_implILS5_6ELb0ES3_mN6thrust23THRUST_200600_302600_NS6detail15normal_iteratorINSA_10device_ptrIdEEEEPS6_SG_NS0_5tupleIJSF_S6_EEENSH_IJSG_SG_EEES6_PlJNSB_9not_fun_tINSB_10functional5actorINSM_9compositeIJNSM_27transparent_binary_operatorINSA_8equal_toIvEEEENSN_INSM_8argumentILj0EEEEENSM_5valueIdEEEEEEEEEEEE10hipError_tPvRmT3_T4_T5_T6_T7_T9_mT8_P12ihipStream_tbDpT10_ENKUlT_T0_E_clISt17integral_constantIbLb1EES1K_EEDaS1F_S1G_EUlS1F_E_NS1_11comp_targetILNS1_3genE9ELNS1_11target_archE1100ELNS1_3gpuE3ELNS1_3repE0EEENS1_30default_config_static_selectorELNS0_4arch9wavefront6targetE0EEEvT1_.uses_vcc, 0
	.set _ZN7rocprim17ROCPRIM_400000_NS6detail17trampoline_kernelINS0_14default_configENS1_25partition_config_selectorILNS1_17partition_subalgoE6EdNS0_10empty_typeEbEEZZNS1_14partition_implILS5_6ELb0ES3_mN6thrust23THRUST_200600_302600_NS6detail15normal_iteratorINSA_10device_ptrIdEEEEPS6_SG_NS0_5tupleIJSF_S6_EEENSH_IJSG_SG_EEES6_PlJNSB_9not_fun_tINSB_10functional5actorINSM_9compositeIJNSM_27transparent_binary_operatorINSA_8equal_toIvEEEENSN_INSM_8argumentILj0EEEEENSM_5valueIdEEEEEEEEEEEE10hipError_tPvRmT3_T4_T5_T6_T7_T9_mT8_P12ihipStream_tbDpT10_ENKUlT_T0_E_clISt17integral_constantIbLb1EES1K_EEDaS1F_S1G_EUlS1F_E_NS1_11comp_targetILNS1_3genE9ELNS1_11target_archE1100ELNS1_3gpuE3ELNS1_3repE0EEENS1_30default_config_static_selectorELNS0_4arch9wavefront6targetE0EEEvT1_.uses_flat_scratch, 0
	.set _ZN7rocprim17ROCPRIM_400000_NS6detail17trampoline_kernelINS0_14default_configENS1_25partition_config_selectorILNS1_17partition_subalgoE6EdNS0_10empty_typeEbEEZZNS1_14partition_implILS5_6ELb0ES3_mN6thrust23THRUST_200600_302600_NS6detail15normal_iteratorINSA_10device_ptrIdEEEEPS6_SG_NS0_5tupleIJSF_S6_EEENSH_IJSG_SG_EEES6_PlJNSB_9not_fun_tINSB_10functional5actorINSM_9compositeIJNSM_27transparent_binary_operatorINSA_8equal_toIvEEEENSN_INSM_8argumentILj0EEEEENSM_5valueIdEEEEEEEEEEEE10hipError_tPvRmT3_T4_T5_T6_T7_T9_mT8_P12ihipStream_tbDpT10_ENKUlT_T0_E_clISt17integral_constantIbLb1EES1K_EEDaS1F_S1G_EUlS1F_E_NS1_11comp_targetILNS1_3genE9ELNS1_11target_archE1100ELNS1_3gpuE3ELNS1_3repE0EEENS1_30default_config_static_selectorELNS0_4arch9wavefront6targetE0EEEvT1_.has_dyn_sized_stack, 0
	.set _ZN7rocprim17ROCPRIM_400000_NS6detail17trampoline_kernelINS0_14default_configENS1_25partition_config_selectorILNS1_17partition_subalgoE6EdNS0_10empty_typeEbEEZZNS1_14partition_implILS5_6ELb0ES3_mN6thrust23THRUST_200600_302600_NS6detail15normal_iteratorINSA_10device_ptrIdEEEEPS6_SG_NS0_5tupleIJSF_S6_EEENSH_IJSG_SG_EEES6_PlJNSB_9not_fun_tINSB_10functional5actorINSM_9compositeIJNSM_27transparent_binary_operatorINSA_8equal_toIvEEEENSN_INSM_8argumentILj0EEEEENSM_5valueIdEEEEEEEEEEEE10hipError_tPvRmT3_T4_T5_T6_T7_T9_mT8_P12ihipStream_tbDpT10_ENKUlT_T0_E_clISt17integral_constantIbLb1EES1K_EEDaS1F_S1G_EUlS1F_E_NS1_11comp_targetILNS1_3genE9ELNS1_11target_archE1100ELNS1_3gpuE3ELNS1_3repE0EEENS1_30default_config_static_selectorELNS0_4arch9wavefront6targetE0EEEvT1_.has_recursion, 0
	.set _ZN7rocprim17ROCPRIM_400000_NS6detail17trampoline_kernelINS0_14default_configENS1_25partition_config_selectorILNS1_17partition_subalgoE6EdNS0_10empty_typeEbEEZZNS1_14partition_implILS5_6ELb0ES3_mN6thrust23THRUST_200600_302600_NS6detail15normal_iteratorINSA_10device_ptrIdEEEEPS6_SG_NS0_5tupleIJSF_S6_EEENSH_IJSG_SG_EEES6_PlJNSB_9not_fun_tINSB_10functional5actorINSM_9compositeIJNSM_27transparent_binary_operatorINSA_8equal_toIvEEEENSN_INSM_8argumentILj0EEEEENSM_5valueIdEEEEEEEEEEEE10hipError_tPvRmT3_T4_T5_T6_T7_T9_mT8_P12ihipStream_tbDpT10_ENKUlT_T0_E_clISt17integral_constantIbLb1EES1K_EEDaS1F_S1G_EUlS1F_E_NS1_11comp_targetILNS1_3genE9ELNS1_11target_archE1100ELNS1_3gpuE3ELNS1_3repE0EEENS1_30default_config_static_selectorELNS0_4arch9wavefront6targetE0EEEvT1_.has_indirect_call, 0
	.section	.AMDGPU.csdata,"",@progbits
; Kernel info:
; codeLenInByte = 0
; TotalNumSgprs: 0
; NumVgprs: 0
; ScratchSize: 0
; MemoryBound: 0
; FloatMode: 240
; IeeeMode: 1
; LDSByteSize: 0 bytes/workgroup (compile time only)
; SGPRBlocks: 0
; VGPRBlocks: 0
; NumSGPRsForWavesPerEU: 1
; NumVGPRsForWavesPerEU: 1
; Occupancy: 16
; WaveLimiterHint : 0
; COMPUTE_PGM_RSRC2:SCRATCH_EN: 0
; COMPUTE_PGM_RSRC2:USER_SGPR: 2
; COMPUTE_PGM_RSRC2:TRAP_HANDLER: 0
; COMPUTE_PGM_RSRC2:TGID_X_EN: 1
; COMPUTE_PGM_RSRC2:TGID_Y_EN: 0
; COMPUTE_PGM_RSRC2:TGID_Z_EN: 0
; COMPUTE_PGM_RSRC2:TIDIG_COMP_CNT: 0
	.section	.text._ZN7rocprim17ROCPRIM_400000_NS6detail17trampoline_kernelINS0_14default_configENS1_25partition_config_selectorILNS1_17partition_subalgoE6EdNS0_10empty_typeEbEEZZNS1_14partition_implILS5_6ELb0ES3_mN6thrust23THRUST_200600_302600_NS6detail15normal_iteratorINSA_10device_ptrIdEEEEPS6_SG_NS0_5tupleIJSF_S6_EEENSH_IJSG_SG_EEES6_PlJNSB_9not_fun_tINSB_10functional5actorINSM_9compositeIJNSM_27transparent_binary_operatorINSA_8equal_toIvEEEENSN_INSM_8argumentILj0EEEEENSM_5valueIdEEEEEEEEEEEE10hipError_tPvRmT3_T4_T5_T6_T7_T9_mT8_P12ihipStream_tbDpT10_ENKUlT_T0_E_clISt17integral_constantIbLb1EES1K_EEDaS1F_S1G_EUlS1F_E_NS1_11comp_targetILNS1_3genE8ELNS1_11target_archE1030ELNS1_3gpuE2ELNS1_3repE0EEENS1_30default_config_static_selectorELNS0_4arch9wavefront6targetE0EEEvT1_,"axG",@progbits,_ZN7rocprim17ROCPRIM_400000_NS6detail17trampoline_kernelINS0_14default_configENS1_25partition_config_selectorILNS1_17partition_subalgoE6EdNS0_10empty_typeEbEEZZNS1_14partition_implILS5_6ELb0ES3_mN6thrust23THRUST_200600_302600_NS6detail15normal_iteratorINSA_10device_ptrIdEEEEPS6_SG_NS0_5tupleIJSF_S6_EEENSH_IJSG_SG_EEES6_PlJNSB_9not_fun_tINSB_10functional5actorINSM_9compositeIJNSM_27transparent_binary_operatorINSA_8equal_toIvEEEENSN_INSM_8argumentILj0EEEEENSM_5valueIdEEEEEEEEEEEE10hipError_tPvRmT3_T4_T5_T6_T7_T9_mT8_P12ihipStream_tbDpT10_ENKUlT_T0_E_clISt17integral_constantIbLb1EES1K_EEDaS1F_S1G_EUlS1F_E_NS1_11comp_targetILNS1_3genE8ELNS1_11target_archE1030ELNS1_3gpuE2ELNS1_3repE0EEENS1_30default_config_static_selectorELNS0_4arch9wavefront6targetE0EEEvT1_,comdat
	.protected	_ZN7rocprim17ROCPRIM_400000_NS6detail17trampoline_kernelINS0_14default_configENS1_25partition_config_selectorILNS1_17partition_subalgoE6EdNS0_10empty_typeEbEEZZNS1_14partition_implILS5_6ELb0ES3_mN6thrust23THRUST_200600_302600_NS6detail15normal_iteratorINSA_10device_ptrIdEEEEPS6_SG_NS0_5tupleIJSF_S6_EEENSH_IJSG_SG_EEES6_PlJNSB_9not_fun_tINSB_10functional5actorINSM_9compositeIJNSM_27transparent_binary_operatorINSA_8equal_toIvEEEENSN_INSM_8argumentILj0EEEEENSM_5valueIdEEEEEEEEEEEE10hipError_tPvRmT3_T4_T5_T6_T7_T9_mT8_P12ihipStream_tbDpT10_ENKUlT_T0_E_clISt17integral_constantIbLb1EES1K_EEDaS1F_S1G_EUlS1F_E_NS1_11comp_targetILNS1_3genE8ELNS1_11target_archE1030ELNS1_3gpuE2ELNS1_3repE0EEENS1_30default_config_static_selectorELNS0_4arch9wavefront6targetE0EEEvT1_ ; -- Begin function _ZN7rocprim17ROCPRIM_400000_NS6detail17trampoline_kernelINS0_14default_configENS1_25partition_config_selectorILNS1_17partition_subalgoE6EdNS0_10empty_typeEbEEZZNS1_14partition_implILS5_6ELb0ES3_mN6thrust23THRUST_200600_302600_NS6detail15normal_iteratorINSA_10device_ptrIdEEEEPS6_SG_NS0_5tupleIJSF_S6_EEENSH_IJSG_SG_EEES6_PlJNSB_9not_fun_tINSB_10functional5actorINSM_9compositeIJNSM_27transparent_binary_operatorINSA_8equal_toIvEEEENSN_INSM_8argumentILj0EEEEENSM_5valueIdEEEEEEEEEEEE10hipError_tPvRmT3_T4_T5_T6_T7_T9_mT8_P12ihipStream_tbDpT10_ENKUlT_T0_E_clISt17integral_constantIbLb1EES1K_EEDaS1F_S1G_EUlS1F_E_NS1_11comp_targetILNS1_3genE8ELNS1_11target_archE1030ELNS1_3gpuE2ELNS1_3repE0EEENS1_30default_config_static_selectorELNS0_4arch9wavefront6targetE0EEEvT1_
	.globl	_ZN7rocprim17ROCPRIM_400000_NS6detail17trampoline_kernelINS0_14default_configENS1_25partition_config_selectorILNS1_17partition_subalgoE6EdNS0_10empty_typeEbEEZZNS1_14partition_implILS5_6ELb0ES3_mN6thrust23THRUST_200600_302600_NS6detail15normal_iteratorINSA_10device_ptrIdEEEEPS6_SG_NS0_5tupleIJSF_S6_EEENSH_IJSG_SG_EEES6_PlJNSB_9not_fun_tINSB_10functional5actorINSM_9compositeIJNSM_27transparent_binary_operatorINSA_8equal_toIvEEEENSN_INSM_8argumentILj0EEEEENSM_5valueIdEEEEEEEEEEEE10hipError_tPvRmT3_T4_T5_T6_T7_T9_mT8_P12ihipStream_tbDpT10_ENKUlT_T0_E_clISt17integral_constantIbLb1EES1K_EEDaS1F_S1G_EUlS1F_E_NS1_11comp_targetILNS1_3genE8ELNS1_11target_archE1030ELNS1_3gpuE2ELNS1_3repE0EEENS1_30default_config_static_selectorELNS0_4arch9wavefront6targetE0EEEvT1_
	.p2align	8
	.type	_ZN7rocprim17ROCPRIM_400000_NS6detail17trampoline_kernelINS0_14default_configENS1_25partition_config_selectorILNS1_17partition_subalgoE6EdNS0_10empty_typeEbEEZZNS1_14partition_implILS5_6ELb0ES3_mN6thrust23THRUST_200600_302600_NS6detail15normal_iteratorINSA_10device_ptrIdEEEEPS6_SG_NS0_5tupleIJSF_S6_EEENSH_IJSG_SG_EEES6_PlJNSB_9not_fun_tINSB_10functional5actorINSM_9compositeIJNSM_27transparent_binary_operatorINSA_8equal_toIvEEEENSN_INSM_8argumentILj0EEEEENSM_5valueIdEEEEEEEEEEEE10hipError_tPvRmT3_T4_T5_T6_T7_T9_mT8_P12ihipStream_tbDpT10_ENKUlT_T0_E_clISt17integral_constantIbLb1EES1K_EEDaS1F_S1G_EUlS1F_E_NS1_11comp_targetILNS1_3genE8ELNS1_11target_archE1030ELNS1_3gpuE2ELNS1_3repE0EEENS1_30default_config_static_selectorELNS0_4arch9wavefront6targetE0EEEvT1_,@function
_ZN7rocprim17ROCPRIM_400000_NS6detail17trampoline_kernelINS0_14default_configENS1_25partition_config_selectorILNS1_17partition_subalgoE6EdNS0_10empty_typeEbEEZZNS1_14partition_implILS5_6ELb0ES3_mN6thrust23THRUST_200600_302600_NS6detail15normal_iteratorINSA_10device_ptrIdEEEEPS6_SG_NS0_5tupleIJSF_S6_EEENSH_IJSG_SG_EEES6_PlJNSB_9not_fun_tINSB_10functional5actorINSM_9compositeIJNSM_27transparent_binary_operatorINSA_8equal_toIvEEEENSN_INSM_8argumentILj0EEEEENSM_5valueIdEEEEEEEEEEEE10hipError_tPvRmT3_T4_T5_T6_T7_T9_mT8_P12ihipStream_tbDpT10_ENKUlT_T0_E_clISt17integral_constantIbLb1EES1K_EEDaS1F_S1G_EUlS1F_E_NS1_11comp_targetILNS1_3genE8ELNS1_11target_archE1030ELNS1_3gpuE2ELNS1_3repE0EEENS1_30default_config_static_selectorELNS0_4arch9wavefront6targetE0EEEvT1_: ; @_ZN7rocprim17ROCPRIM_400000_NS6detail17trampoline_kernelINS0_14default_configENS1_25partition_config_selectorILNS1_17partition_subalgoE6EdNS0_10empty_typeEbEEZZNS1_14partition_implILS5_6ELb0ES3_mN6thrust23THRUST_200600_302600_NS6detail15normal_iteratorINSA_10device_ptrIdEEEEPS6_SG_NS0_5tupleIJSF_S6_EEENSH_IJSG_SG_EEES6_PlJNSB_9not_fun_tINSB_10functional5actorINSM_9compositeIJNSM_27transparent_binary_operatorINSA_8equal_toIvEEEENSN_INSM_8argumentILj0EEEEENSM_5valueIdEEEEEEEEEEEE10hipError_tPvRmT3_T4_T5_T6_T7_T9_mT8_P12ihipStream_tbDpT10_ENKUlT_T0_E_clISt17integral_constantIbLb1EES1K_EEDaS1F_S1G_EUlS1F_E_NS1_11comp_targetILNS1_3genE8ELNS1_11target_archE1030ELNS1_3gpuE2ELNS1_3repE0EEENS1_30default_config_static_selectorELNS0_4arch9wavefront6targetE0EEEvT1_
; %bb.0:
	.section	.rodata,"a",@progbits
	.p2align	6, 0x0
	.amdhsa_kernel _ZN7rocprim17ROCPRIM_400000_NS6detail17trampoline_kernelINS0_14default_configENS1_25partition_config_selectorILNS1_17partition_subalgoE6EdNS0_10empty_typeEbEEZZNS1_14partition_implILS5_6ELb0ES3_mN6thrust23THRUST_200600_302600_NS6detail15normal_iteratorINSA_10device_ptrIdEEEEPS6_SG_NS0_5tupleIJSF_S6_EEENSH_IJSG_SG_EEES6_PlJNSB_9not_fun_tINSB_10functional5actorINSM_9compositeIJNSM_27transparent_binary_operatorINSA_8equal_toIvEEEENSN_INSM_8argumentILj0EEEEENSM_5valueIdEEEEEEEEEEEE10hipError_tPvRmT3_T4_T5_T6_T7_T9_mT8_P12ihipStream_tbDpT10_ENKUlT_T0_E_clISt17integral_constantIbLb1EES1K_EEDaS1F_S1G_EUlS1F_E_NS1_11comp_targetILNS1_3genE8ELNS1_11target_archE1030ELNS1_3gpuE2ELNS1_3repE0EEENS1_30default_config_static_selectorELNS0_4arch9wavefront6targetE0EEEvT1_
		.amdhsa_group_segment_fixed_size 0
		.amdhsa_private_segment_fixed_size 0
		.amdhsa_kernarg_size 136
		.amdhsa_user_sgpr_count 2
		.amdhsa_user_sgpr_dispatch_ptr 0
		.amdhsa_user_sgpr_queue_ptr 0
		.amdhsa_user_sgpr_kernarg_segment_ptr 1
		.amdhsa_user_sgpr_dispatch_id 0
		.amdhsa_user_sgpr_private_segment_size 0
		.amdhsa_wavefront_size32 1
		.amdhsa_uses_dynamic_stack 0
		.amdhsa_enable_private_segment 0
		.amdhsa_system_sgpr_workgroup_id_x 1
		.amdhsa_system_sgpr_workgroup_id_y 0
		.amdhsa_system_sgpr_workgroup_id_z 0
		.amdhsa_system_sgpr_workgroup_info 0
		.amdhsa_system_vgpr_workitem_id 0
		.amdhsa_next_free_vgpr 1
		.amdhsa_next_free_sgpr 1
		.amdhsa_reserve_vcc 0
		.amdhsa_float_round_mode_32 0
		.amdhsa_float_round_mode_16_64 0
		.amdhsa_float_denorm_mode_32 3
		.amdhsa_float_denorm_mode_16_64 3
		.amdhsa_fp16_overflow 0
		.amdhsa_workgroup_processor_mode 1
		.amdhsa_memory_ordered 1
		.amdhsa_forward_progress 1
		.amdhsa_inst_pref_size 0
		.amdhsa_round_robin_scheduling 0
		.amdhsa_exception_fp_ieee_invalid_op 0
		.amdhsa_exception_fp_denorm_src 0
		.amdhsa_exception_fp_ieee_div_zero 0
		.amdhsa_exception_fp_ieee_overflow 0
		.amdhsa_exception_fp_ieee_underflow 0
		.amdhsa_exception_fp_ieee_inexact 0
		.amdhsa_exception_int_div_zero 0
	.end_amdhsa_kernel
	.section	.text._ZN7rocprim17ROCPRIM_400000_NS6detail17trampoline_kernelINS0_14default_configENS1_25partition_config_selectorILNS1_17partition_subalgoE6EdNS0_10empty_typeEbEEZZNS1_14partition_implILS5_6ELb0ES3_mN6thrust23THRUST_200600_302600_NS6detail15normal_iteratorINSA_10device_ptrIdEEEEPS6_SG_NS0_5tupleIJSF_S6_EEENSH_IJSG_SG_EEES6_PlJNSB_9not_fun_tINSB_10functional5actorINSM_9compositeIJNSM_27transparent_binary_operatorINSA_8equal_toIvEEEENSN_INSM_8argumentILj0EEEEENSM_5valueIdEEEEEEEEEEEE10hipError_tPvRmT3_T4_T5_T6_T7_T9_mT8_P12ihipStream_tbDpT10_ENKUlT_T0_E_clISt17integral_constantIbLb1EES1K_EEDaS1F_S1G_EUlS1F_E_NS1_11comp_targetILNS1_3genE8ELNS1_11target_archE1030ELNS1_3gpuE2ELNS1_3repE0EEENS1_30default_config_static_selectorELNS0_4arch9wavefront6targetE0EEEvT1_,"axG",@progbits,_ZN7rocprim17ROCPRIM_400000_NS6detail17trampoline_kernelINS0_14default_configENS1_25partition_config_selectorILNS1_17partition_subalgoE6EdNS0_10empty_typeEbEEZZNS1_14partition_implILS5_6ELb0ES3_mN6thrust23THRUST_200600_302600_NS6detail15normal_iteratorINSA_10device_ptrIdEEEEPS6_SG_NS0_5tupleIJSF_S6_EEENSH_IJSG_SG_EEES6_PlJNSB_9not_fun_tINSB_10functional5actorINSM_9compositeIJNSM_27transparent_binary_operatorINSA_8equal_toIvEEEENSN_INSM_8argumentILj0EEEEENSM_5valueIdEEEEEEEEEEEE10hipError_tPvRmT3_T4_T5_T6_T7_T9_mT8_P12ihipStream_tbDpT10_ENKUlT_T0_E_clISt17integral_constantIbLb1EES1K_EEDaS1F_S1G_EUlS1F_E_NS1_11comp_targetILNS1_3genE8ELNS1_11target_archE1030ELNS1_3gpuE2ELNS1_3repE0EEENS1_30default_config_static_selectorELNS0_4arch9wavefront6targetE0EEEvT1_,comdat
.Lfunc_end27:
	.size	_ZN7rocprim17ROCPRIM_400000_NS6detail17trampoline_kernelINS0_14default_configENS1_25partition_config_selectorILNS1_17partition_subalgoE6EdNS0_10empty_typeEbEEZZNS1_14partition_implILS5_6ELb0ES3_mN6thrust23THRUST_200600_302600_NS6detail15normal_iteratorINSA_10device_ptrIdEEEEPS6_SG_NS0_5tupleIJSF_S6_EEENSH_IJSG_SG_EEES6_PlJNSB_9not_fun_tINSB_10functional5actorINSM_9compositeIJNSM_27transparent_binary_operatorINSA_8equal_toIvEEEENSN_INSM_8argumentILj0EEEEENSM_5valueIdEEEEEEEEEEEE10hipError_tPvRmT3_T4_T5_T6_T7_T9_mT8_P12ihipStream_tbDpT10_ENKUlT_T0_E_clISt17integral_constantIbLb1EES1K_EEDaS1F_S1G_EUlS1F_E_NS1_11comp_targetILNS1_3genE8ELNS1_11target_archE1030ELNS1_3gpuE2ELNS1_3repE0EEENS1_30default_config_static_selectorELNS0_4arch9wavefront6targetE0EEEvT1_, .Lfunc_end27-_ZN7rocprim17ROCPRIM_400000_NS6detail17trampoline_kernelINS0_14default_configENS1_25partition_config_selectorILNS1_17partition_subalgoE6EdNS0_10empty_typeEbEEZZNS1_14partition_implILS5_6ELb0ES3_mN6thrust23THRUST_200600_302600_NS6detail15normal_iteratorINSA_10device_ptrIdEEEEPS6_SG_NS0_5tupleIJSF_S6_EEENSH_IJSG_SG_EEES6_PlJNSB_9not_fun_tINSB_10functional5actorINSM_9compositeIJNSM_27transparent_binary_operatorINSA_8equal_toIvEEEENSN_INSM_8argumentILj0EEEEENSM_5valueIdEEEEEEEEEEEE10hipError_tPvRmT3_T4_T5_T6_T7_T9_mT8_P12ihipStream_tbDpT10_ENKUlT_T0_E_clISt17integral_constantIbLb1EES1K_EEDaS1F_S1G_EUlS1F_E_NS1_11comp_targetILNS1_3genE8ELNS1_11target_archE1030ELNS1_3gpuE2ELNS1_3repE0EEENS1_30default_config_static_selectorELNS0_4arch9wavefront6targetE0EEEvT1_
                                        ; -- End function
	.set _ZN7rocprim17ROCPRIM_400000_NS6detail17trampoline_kernelINS0_14default_configENS1_25partition_config_selectorILNS1_17partition_subalgoE6EdNS0_10empty_typeEbEEZZNS1_14partition_implILS5_6ELb0ES3_mN6thrust23THRUST_200600_302600_NS6detail15normal_iteratorINSA_10device_ptrIdEEEEPS6_SG_NS0_5tupleIJSF_S6_EEENSH_IJSG_SG_EEES6_PlJNSB_9not_fun_tINSB_10functional5actorINSM_9compositeIJNSM_27transparent_binary_operatorINSA_8equal_toIvEEEENSN_INSM_8argumentILj0EEEEENSM_5valueIdEEEEEEEEEEEE10hipError_tPvRmT3_T4_T5_T6_T7_T9_mT8_P12ihipStream_tbDpT10_ENKUlT_T0_E_clISt17integral_constantIbLb1EES1K_EEDaS1F_S1G_EUlS1F_E_NS1_11comp_targetILNS1_3genE8ELNS1_11target_archE1030ELNS1_3gpuE2ELNS1_3repE0EEENS1_30default_config_static_selectorELNS0_4arch9wavefront6targetE0EEEvT1_.num_vgpr, 0
	.set _ZN7rocprim17ROCPRIM_400000_NS6detail17trampoline_kernelINS0_14default_configENS1_25partition_config_selectorILNS1_17partition_subalgoE6EdNS0_10empty_typeEbEEZZNS1_14partition_implILS5_6ELb0ES3_mN6thrust23THRUST_200600_302600_NS6detail15normal_iteratorINSA_10device_ptrIdEEEEPS6_SG_NS0_5tupleIJSF_S6_EEENSH_IJSG_SG_EEES6_PlJNSB_9not_fun_tINSB_10functional5actorINSM_9compositeIJNSM_27transparent_binary_operatorINSA_8equal_toIvEEEENSN_INSM_8argumentILj0EEEEENSM_5valueIdEEEEEEEEEEEE10hipError_tPvRmT3_T4_T5_T6_T7_T9_mT8_P12ihipStream_tbDpT10_ENKUlT_T0_E_clISt17integral_constantIbLb1EES1K_EEDaS1F_S1G_EUlS1F_E_NS1_11comp_targetILNS1_3genE8ELNS1_11target_archE1030ELNS1_3gpuE2ELNS1_3repE0EEENS1_30default_config_static_selectorELNS0_4arch9wavefront6targetE0EEEvT1_.num_agpr, 0
	.set _ZN7rocprim17ROCPRIM_400000_NS6detail17trampoline_kernelINS0_14default_configENS1_25partition_config_selectorILNS1_17partition_subalgoE6EdNS0_10empty_typeEbEEZZNS1_14partition_implILS5_6ELb0ES3_mN6thrust23THRUST_200600_302600_NS6detail15normal_iteratorINSA_10device_ptrIdEEEEPS6_SG_NS0_5tupleIJSF_S6_EEENSH_IJSG_SG_EEES6_PlJNSB_9not_fun_tINSB_10functional5actorINSM_9compositeIJNSM_27transparent_binary_operatorINSA_8equal_toIvEEEENSN_INSM_8argumentILj0EEEEENSM_5valueIdEEEEEEEEEEEE10hipError_tPvRmT3_T4_T5_T6_T7_T9_mT8_P12ihipStream_tbDpT10_ENKUlT_T0_E_clISt17integral_constantIbLb1EES1K_EEDaS1F_S1G_EUlS1F_E_NS1_11comp_targetILNS1_3genE8ELNS1_11target_archE1030ELNS1_3gpuE2ELNS1_3repE0EEENS1_30default_config_static_selectorELNS0_4arch9wavefront6targetE0EEEvT1_.numbered_sgpr, 0
	.set _ZN7rocprim17ROCPRIM_400000_NS6detail17trampoline_kernelINS0_14default_configENS1_25partition_config_selectorILNS1_17partition_subalgoE6EdNS0_10empty_typeEbEEZZNS1_14partition_implILS5_6ELb0ES3_mN6thrust23THRUST_200600_302600_NS6detail15normal_iteratorINSA_10device_ptrIdEEEEPS6_SG_NS0_5tupleIJSF_S6_EEENSH_IJSG_SG_EEES6_PlJNSB_9not_fun_tINSB_10functional5actorINSM_9compositeIJNSM_27transparent_binary_operatorINSA_8equal_toIvEEEENSN_INSM_8argumentILj0EEEEENSM_5valueIdEEEEEEEEEEEE10hipError_tPvRmT3_T4_T5_T6_T7_T9_mT8_P12ihipStream_tbDpT10_ENKUlT_T0_E_clISt17integral_constantIbLb1EES1K_EEDaS1F_S1G_EUlS1F_E_NS1_11comp_targetILNS1_3genE8ELNS1_11target_archE1030ELNS1_3gpuE2ELNS1_3repE0EEENS1_30default_config_static_selectorELNS0_4arch9wavefront6targetE0EEEvT1_.num_named_barrier, 0
	.set _ZN7rocprim17ROCPRIM_400000_NS6detail17trampoline_kernelINS0_14default_configENS1_25partition_config_selectorILNS1_17partition_subalgoE6EdNS0_10empty_typeEbEEZZNS1_14partition_implILS5_6ELb0ES3_mN6thrust23THRUST_200600_302600_NS6detail15normal_iteratorINSA_10device_ptrIdEEEEPS6_SG_NS0_5tupleIJSF_S6_EEENSH_IJSG_SG_EEES6_PlJNSB_9not_fun_tINSB_10functional5actorINSM_9compositeIJNSM_27transparent_binary_operatorINSA_8equal_toIvEEEENSN_INSM_8argumentILj0EEEEENSM_5valueIdEEEEEEEEEEEE10hipError_tPvRmT3_T4_T5_T6_T7_T9_mT8_P12ihipStream_tbDpT10_ENKUlT_T0_E_clISt17integral_constantIbLb1EES1K_EEDaS1F_S1G_EUlS1F_E_NS1_11comp_targetILNS1_3genE8ELNS1_11target_archE1030ELNS1_3gpuE2ELNS1_3repE0EEENS1_30default_config_static_selectorELNS0_4arch9wavefront6targetE0EEEvT1_.private_seg_size, 0
	.set _ZN7rocprim17ROCPRIM_400000_NS6detail17trampoline_kernelINS0_14default_configENS1_25partition_config_selectorILNS1_17partition_subalgoE6EdNS0_10empty_typeEbEEZZNS1_14partition_implILS5_6ELb0ES3_mN6thrust23THRUST_200600_302600_NS6detail15normal_iteratorINSA_10device_ptrIdEEEEPS6_SG_NS0_5tupleIJSF_S6_EEENSH_IJSG_SG_EEES6_PlJNSB_9not_fun_tINSB_10functional5actorINSM_9compositeIJNSM_27transparent_binary_operatorINSA_8equal_toIvEEEENSN_INSM_8argumentILj0EEEEENSM_5valueIdEEEEEEEEEEEE10hipError_tPvRmT3_T4_T5_T6_T7_T9_mT8_P12ihipStream_tbDpT10_ENKUlT_T0_E_clISt17integral_constantIbLb1EES1K_EEDaS1F_S1G_EUlS1F_E_NS1_11comp_targetILNS1_3genE8ELNS1_11target_archE1030ELNS1_3gpuE2ELNS1_3repE0EEENS1_30default_config_static_selectorELNS0_4arch9wavefront6targetE0EEEvT1_.uses_vcc, 0
	.set _ZN7rocprim17ROCPRIM_400000_NS6detail17trampoline_kernelINS0_14default_configENS1_25partition_config_selectorILNS1_17partition_subalgoE6EdNS0_10empty_typeEbEEZZNS1_14partition_implILS5_6ELb0ES3_mN6thrust23THRUST_200600_302600_NS6detail15normal_iteratorINSA_10device_ptrIdEEEEPS6_SG_NS0_5tupleIJSF_S6_EEENSH_IJSG_SG_EEES6_PlJNSB_9not_fun_tINSB_10functional5actorINSM_9compositeIJNSM_27transparent_binary_operatorINSA_8equal_toIvEEEENSN_INSM_8argumentILj0EEEEENSM_5valueIdEEEEEEEEEEEE10hipError_tPvRmT3_T4_T5_T6_T7_T9_mT8_P12ihipStream_tbDpT10_ENKUlT_T0_E_clISt17integral_constantIbLb1EES1K_EEDaS1F_S1G_EUlS1F_E_NS1_11comp_targetILNS1_3genE8ELNS1_11target_archE1030ELNS1_3gpuE2ELNS1_3repE0EEENS1_30default_config_static_selectorELNS0_4arch9wavefront6targetE0EEEvT1_.uses_flat_scratch, 0
	.set _ZN7rocprim17ROCPRIM_400000_NS6detail17trampoline_kernelINS0_14default_configENS1_25partition_config_selectorILNS1_17partition_subalgoE6EdNS0_10empty_typeEbEEZZNS1_14partition_implILS5_6ELb0ES3_mN6thrust23THRUST_200600_302600_NS6detail15normal_iteratorINSA_10device_ptrIdEEEEPS6_SG_NS0_5tupleIJSF_S6_EEENSH_IJSG_SG_EEES6_PlJNSB_9not_fun_tINSB_10functional5actorINSM_9compositeIJNSM_27transparent_binary_operatorINSA_8equal_toIvEEEENSN_INSM_8argumentILj0EEEEENSM_5valueIdEEEEEEEEEEEE10hipError_tPvRmT3_T4_T5_T6_T7_T9_mT8_P12ihipStream_tbDpT10_ENKUlT_T0_E_clISt17integral_constantIbLb1EES1K_EEDaS1F_S1G_EUlS1F_E_NS1_11comp_targetILNS1_3genE8ELNS1_11target_archE1030ELNS1_3gpuE2ELNS1_3repE0EEENS1_30default_config_static_selectorELNS0_4arch9wavefront6targetE0EEEvT1_.has_dyn_sized_stack, 0
	.set _ZN7rocprim17ROCPRIM_400000_NS6detail17trampoline_kernelINS0_14default_configENS1_25partition_config_selectorILNS1_17partition_subalgoE6EdNS0_10empty_typeEbEEZZNS1_14partition_implILS5_6ELb0ES3_mN6thrust23THRUST_200600_302600_NS6detail15normal_iteratorINSA_10device_ptrIdEEEEPS6_SG_NS0_5tupleIJSF_S6_EEENSH_IJSG_SG_EEES6_PlJNSB_9not_fun_tINSB_10functional5actorINSM_9compositeIJNSM_27transparent_binary_operatorINSA_8equal_toIvEEEENSN_INSM_8argumentILj0EEEEENSM_5valueIdEEEEEEEEEEEE10hipError_tPvRmT3_T4_T5_T6_T7_T9_mT8_P12ihipStream_tbDpT10_ENKUlT_T0_E_clISt17integral_constantIbLb1EES1K_EEDaS1F_S1G_EUlS1F_E_NS1_11comp_targetILNS1_3genE8ELNS1_11target_archE1030ELNS1_3gpuE2ELNS1_3repE0EEENS1_30default_config_static_selectorELNS0_4arch9wavefront6targetE0EEEvT1_.has_recursion, 0
	.set _ZN7rocprim17ROCPRIM_400000_NS6detail17trampoline_kernelINS0_14default_configENS1_25partition_config_selectorILNS1_17partition_subalgoE6EdNS0_10empty_typeEbEEZZNS1_14partition_implILS5_6ELb0ES3_mN6thrust23THRUST_200600_302600_NS6detail15normal_iteratorINSA_10device_ptrIdEEEEPS6_SG_NS0_5tupleIJSF_S6_EEENSH_IJSG_SG_EEES6_PlJNSB_9not_fun_tINSB_10functional5actorINSM_9compositeIJNSM_27transparent_binary_operatorINSA_8equal_toIvEEEENSN_INSM_8argumentILj0EEEEENSM_5valueIdEEEEEEEEEEEE10hipError_tPvRmT3_T4_T5_T6_T7_T9_mT8_P12ihipStream_tbDpT10_ENKUlT_T0_E_clISt17integral_constantIbLb1EES1K_EEDaS1F_S1G_EUlS1F_E_NS1_11comp_targetILNS1_3genE8ELNS1_11target_archE1030ELNS1_3gpuE2ELNS1_3repE0EEENS1_30default_config_static_selectorELNS0_4arch9wavefront6targetE0EEEvT1_.has_indirect_call, 0
	.section	.AMDGPU.csdata,"",@progbits
; Kernel info:
; codeLenInByte = 0
; TotalNumSgprs: 0
; NumVgprs: 0
; ScratchSize: 0
; MemoryBound: 0
; FloatMode: 240
; IeeeMode: 1
; LDSByteSize: 0 bytes/workgroup (compile time only)
; SGPRBlocks: 0
; VGPRBlocks: 0
; NumSGPRsForWavesPerEU: 1
; NumVGPRsForWavesPerEU: 1
; Occupancy: 16
; WaveLimiterHint : 0
; COMPUTE_PGM_RSRC2:SCRATCH_EN: 0
; COMPUTE_PGM_RSRC2:USER_SGPR: 2
; COMPUTE_PGM_RSRC2:TRAP_HANDLER: 0
; COMPUTE_PGM_RSRC2:TGID_X_EN: 1
; COMPUTE_PGM_RSRC2:TGID_Y_EN: 0
; COMPUTE_PGM_RSRC2:TGID_Z_EN: 0
; COMPUTE_PGM_RSRC2:TIDIG_COMP_CNT: 0
	.section	.text._ZN7rocprim17ROCPRIM_400000_NS6detail31init_lookback_scan_state_kernelINS1_19lookback_scan_stateImLb1ELb1EEENS1_16block_id_wrapperIjLb0EEEEEvT_jT0_jPNS7_10value_typeE,"axG",@progbits,_ZN7rocprim17ROCPRIM_400000_NS6detail31init_lookback_scan_state_kernelINS1_19lookback_scan_stateImLb1ELb1EEENS1_16block_id_wrapperIjLb0EEEEEvT_jT0_jPNS7_10value_typeE,comdat
	.protected	_ZN7rocprim17ROCPRIM_400000_NS6detail31init_lookback_scan_state_kernelINS1_19lookback_scan_stateImLb1ELb1EEENS1_16block_id_wrapperIjLb0EEEEEvT_jT0_jPNS7_10value_typeE ; -- Begin function _ZN7rocprim17ROCPRIM_400000_NS6detail31init_lookback_scan_state_kernelINS1_19lookback_scan_stateImLb1ELb1EEENS1_16block_id_wrapperIjLb0EEEEEvT_jT0_jPNS7_10value_typeE
	.globl	_ZN7rocprim17ROCPRIM_400000_NS6detail31init_lookback_scan_state_kernelINS1_19lookback_scan_stateImLb1ELb1EEENS1_16block_id_wrapperIjLb0EEEEEvT_jT0_jPNS7_10value_typeE
	.p2align	8
	.type	_ZN7rocprim17ROCPRIM_400000_NS6detail31init_lookback_scan_state_kernelINS1_19lookback_scan_stateImLb1ELb1EEENS1_16block_id_wrapperIjLb0EEEEEvT_jT0_jPNS7_10value_typeE,@function
_ZN7rocprim17ROCPRIM_400000_NS6detail31init_lookback_scan_state_kernelINS1_19lookback_scan_stateImLb1ELb1EEENS1_16block_id_wrapperIjLb0EEEEEvT_jT0_jPNS7_10value_typeE: ; @_ZN7rocprim17ROCPRIM_400000_NS6detail31init_lookback_scan_state_kernelINS1_19lookback_scan_stateImLb1ELb1EEENS1_16block_id_wrapperIjLb0EEEEEvT_jT0_jPNS7_10value_typeE
; %bb.0:
	s_clause 0x2
	s_load_b32 s7, s[0:1], 0x2c
	s_load_b64 s[2:3], s[0:1], 0x18
	s_load_b96 s[4:6], s[0:1], 0x0
	s_wait_kmcnt 0x0
	s_and_b32 s7, s7, 0xffff
	s_cmp_eq_u64 s[2:3], 0
	v_mad_co_u64_u32 v[0:1], null, ttmp9, s7, v[0:1]
	s_cbranch_scc1 .LBB28_10
; %bb.1:
	s_load_b32 s0, s[0:1], 0x10
	s_wait_kmcnt 0x0
	s_cmp_lt_u32 s0, s6
	s_cselect_b32 s1, s0, 0
	s_wait_alu 0xfffe
	v_cmp_eq_u32_e32 vcc_lo, s1, v0
	s_mov_b32 s1, 0
	s_and_saveexec_b32 s7, vcc_lo
	s_cbranch_execz .LBB28_9
; %bb.2:
	s_add_co_i32 s0, s0, 32
	s_mov_b32 s8, exec_lo
	s_wait_alu 0xfffe
	s_lshl_b64 s[0:1], s[0:1], 4
	v_mov_b32_e32 v5, 0
	s_wait_alu 0xfffe
	s_add_nc_u64 s[0:1], s[4:5], s[0:1]
	s_wait_alu 0xfffe
	v_dual_mov_b32 v2, s1 :: v_dual_mov_b32 v1, s0
	;;#ASMSTART
	global_load_b128 v[1:4], v[1:2] off scope:SCOPE_DEV	
s_wait_loadcnt 0x0
	;;#ASMEND
	v_and_b32_e32 v4, 0xff, v3
	s_delay_alu instid0(VALU_DEP_1)
	v_cmpx_eq_u64_e32 0, v[4:5]
	s_cbranch_execz .LBB28_8
; %bb.3:
	v_dual_mov_b32 v7, s1 :: v_dual_mov_b32 v6, s0
	s_mov_b32 s1, 1
	s_mov_b32 s0, 0
.LBB28_4:                               ; =>This Loop Header: Depth=1
                                        ;     Child Loop BB28_5 Depth 2
	s_wait_alu 0xfffe
	s_mov_b32 s9, s1
.LBB28_5:                               ;   Parent Loop BB28_4 Depth=1
                                        ; =>  This Inner Loop Header: Depth=2
	s_delay_alu instid0(SALU_CYCLE_1)
	s_add_co_i32 s9, s9, -1
	s_sleep 1
	s_cmp_eq_u32 s9, 0
	s_cbranch_scc0 .LBB28_5
; %bb.6:                                ;   in Loop: Header=BB28_4 Depth=1
	;;#ASMSTART
	global_load_b128 v[1:4], v[6:7] off scope:SCOPE_DEV	
s_wait_loadcnt 0x0
	;;#ASMEND
	v_and_b32_e32 v4, 0xff, v3
	s_cmp_lt_u32 s1, 32
	s_cselect_b32 s9, -1, 0
	s_delay_alu instid0(SALU_CYCLE_1) | instskip(NEXT) | instid1(VALU_DEP_1)
	s_cmp_lg_u32 s9, 0
	v_cmp_ne_u64_e32 vcc_lo, 0, v[4:5]
	s_add_co_ci_u32 s1, s1, 0
	s_or_b32 s0, vcc_lo, s0
	s_wait_alu 0xfffe
	s_and_not1_b32 exec_lo, exec_lo, s0
	s_cbranch_execnz .LBB28_4
; %bb.7:
	s_or_b32 exec_lo, exec_lo, s0
.LBB28_8:
	s_delay_alu instid0(SALU_CYCLE_1)
	s_or_b32 exec_lo, exec_lo, s8
	v_mov_b32_e32 v3, 0
	global_store_b64 v3, v[1:2], s[2:3]
.LBB28_9:
	s_wait_alu 0xfffe
	s_or_b32 exec_lo, exec_lo, s7
.LBB28_10:
	s_delay_alu instid0(SALU_CYCLE_1)
	s_mov_b32 s0, exec_lo
	v_cmpx_gt_u32_e64 s6, v0
	s_cbranch_execz .LBB28_12
; %bb.11:
	v_dual_mov_b32 v2, 0 :: v_dual_add_nc_u32 v1, 32, v0
	s_delay_alu instid0(VALU_DEP_1) | instskip(SKIP_2) | instid1(VALU_DEP_3)
	v_lshlrev_b64_e32 v[4:5], 4, v[1:2]
	v_mov_b32_e32 v1, v2
	v_mov_b32_e32 v3, v2
	v_add_co_u32 v6, vcc_lo, s4, v4
	s_delay_alu instid0(VALU_DEP_1)
	v_add_co_ci_u32_e64 v7, null, s5, v5, vcc_lo
	v_mov_b32_e32 v4, v2
	global_store_b128 v[6:7], v[1:4], off
.LBB28_12:
	s_wait_alu 0xfffe
	s_or_b32 exec_lo, exec_lo, s0
	s_delay_alu instid0(SALU_CYCLE_1)
	s_mov_b32 s0, exec_lo
	v_cmpx_gt_u32_e32 32, v0
	s_cbranch_execz .LBB28_14
; %bb.13:
	v_dual_mov_b32 v1, 0 :: v_dual_mov_b32 v2, 0xff
	s_delay_alu instid0(VALU_DEP_1) | instskip(SKIP_1) | instid1(VALU_DEP_2)
	v_lshlrev_b64_e32 v[3:4], 4, v[0:1]
	v_mov_b32_e32 v0, v1
	v_add_co_u32 v5, vcc_lo, s4, v3
	s_wait_alu 0xfffd
	s_delay_alu instid0(VALU_DEP_3)
	v_add_co_ci_u32_e64 v6, null, s5, v4, vcc_lo
	v_mov_b32_e32 v3, v1
	global_store_b128 v[5:6], v[0:3], off
.LBB28_14:
	s_endpgm
	.section	.rodata,"a",@progbits
	.p2align	6, 0x0
	.amdhsa_kernel _ZN7rocprim17ROCPRIM_400000_NS6detail31init_lookback_scan_state_kernelINS1_19lookback_scan_stateImLb1ELb1EEENS1_16block_id_wrapperIjLb0EEEEEvT_jT0_jPNS7_10value_typeE
		.amdhsa_group_segment_fixed_size 0
		.amdhsa_private_segment_fixed_size 0
		.amdhsa_kernarg_size 288
		.amdhsa_user_sgpr_count 2
		.amdhsa_user_sgpr_dispatch_ptr 0
		.amdhsa_user_sgpr_queue_ptr 0
		.amdhsa_user_sgpr_kernarg_segment_ptr 1
		.amdhsa_user_sgpr_dispatch_id 0
		.amdhsa_user_sgpr_private_segment_size 0
		.amdhsa_wavefront_size32 1
		.amdhsa_uses_dynamic_stack 0
		.amdhsa_enable_private_segment 0
		.amdhsa_system_sgpr_workgroup_id_x 1
		.amdhsa_system_sgpr_workgroup_id_y 0
		.amdhsa_system_sgpr_workgroup_id_z 0
		.amdhsa_system_sgpr_workgroup_info 0
		.amdhsa_system_vgpr_workitem_id 0
		.amdhsa_next_free_vgpr 8
		.amdhsa_next_free_sgpr 10
		.amdhsa_reserve_vcc 1
		.amdhsa_float_round_mode_32 0
		.amdhsa_float_round_mode_16_64 0
		.amdhsa_float_denorm_mode_32 3
		.amdhsa_float_denorm_mode_16_64 3
		.amdhsa_fp16_overflow 0
		.amdhsa_workgroup_processor_mode 1
		.amdhsa_memory_ordered 1
		.amdhsa_forward_progress 1
		.amdhsa_inst_pref_size 4
		.amdhsa_round_robin_scheduling 0
		.amdhsa_exception_fp_ieee_invalid_op 0
		.amdhsa_exception_fp_denorm_src 0
		.amdhsa_exception_fp_ieee_div_zero 0
		.amdhsa_exception_fp_ieee_overflow 0
		.amdhsa_exception_fp_ieee_underflow 0
		.amdhsa_exception_fp_ieee_inexact 0
		.amdhsa_exception_int_div_zero 0
	.end_amdhsa_kernel
	.section	.text._ZN7rocprim17ROCPRIM_400000_NS6detail31init_lookback_scan_state_kernelINS1_19lookback_scan_stateImLb1ELb1EEENS1_16block_id_wrapperIjLb0EEEEEvT_jT0_jPNS7_10value_typeE,"axG",@progbits,_ZN7rocprim17ROCPRIM_400000_NS6detail31init_lookback_scan_state_kernelINS1_19lookback_scan_stateImLb1ELb1EEENS1_16block_id_wrapperIjLb0EEEEEvT_jT0_jPNS7_10value_typeE,comdat
.Lfunc_end28:
	.size	_ZN7rocprim17ROCPRIM_400000_NS6detail31init_lookback_scan_state_kernelINS1_19lookback_scan_stateImLb1ELb1EEENS1_16block_id_wrapperIjLb0EEEEEvT_jT0_jPNS7_10value_typeE, .Lfunc_end28-_ZN7rocprim17ROCPRIM_400000_NS6detail31init_lookback_scan_state_kernelINS1_19lookback_scan_stateImLb1ELb1EEENS1_16block_id_wrapperIjLb0EEEEEvT_jT0_jPNS7_10value_typeE
                                        ; -- End function
	.set _ZN7rocprim17ROCPRIM_400000_NS6detail31init_lookback_scan_state_kernelINS1_19lookback_scan_stateImLb1ELb1EEENS1_16block_id_wrapperIjLb0EEEEEvT_jT0_jPNS7_10value_typeE.num_vgpr, 8
	.set _ZN7rocprim17ROCPRIM_400000_NS6detail31init_lookback_scan_state_kernelINS1_19lookback_scan_stateImLb1ELb1EEENS1_16block_id_wrapperIjLb0EEEEEvT_jT0_jPNS7_10value_typeE.num_agpr, 0
	.set _ZN7rocprim17ROCPRIM_400000_NS6detail31init_lookback_scan_state_kernelINS1_19lookback_scan_stateImLb1ELb1EEENS1_16block_id_wrapperIjLb0EEEEEvT_jT0_jPNS7_10value_typeE.numbered_sgpr, 10
	.set _ZN7rocprim17ROCPRIM_400000_NS6detail31init_lookback_scan_state_kernelINS1_19lookback_scan_stateImLb1ELb1EEENS1_16block_id_wrapperIjLb0EEEEEvT_jT0_jPNS7_10value_typeE.num_named_barrier, 0
	.set _ZN7rocprim17ROCPRIM_400000_NS6detail31init_lookback_scan_state_kernelINS1_19lookback_scan_stateImLb1ELb1EEENS1_16block_id_wrapperIjLb0EEEEEvT_jT0_jPNS7_10value_typeE.private_seg_size, 0
	.set _ZN7rocprim17ROCPRIM_400000_NS6detail31init_lookback_scan_state_kernelINS1_19lookback_scan_stateImLb1ELb1EEENS1_16block_id_wrapperIjLb0EEEEEvT_jT0_jPNS7_10value_typeE.uses_vcc, 1
	.set _ZN7rocprim17ROCPRIM_400000_NS6detail31init_lookback_scan_state_kernelINS1_19lookback_scan_stateImLb1ELb1EEENS1_16block_id_wrapperIjLb0EEEEEvT_jT0_jPNS7_10value_typeE.uses_flat_scratch, 0
	.set _ZN7rocprim17ROCPRIM_400000_NS6detail31init_lookback_scan_state_kernelINS1_19lookback_scan_stateImLb1ELb1EEENS1_16block_id_wrapperIjLb0EEEEEvT_jT0_jPNS7_10value_typeE.has_dyn_sized_stack, 0
	.set _ZN7rocprim17ROCPRIM_400000_NS6detail31init_lookback_scan_state_kernelINS1_19lookback_scan_stateImLb1ELb1EEENS1_16block_id_wrapperIjLb0EEEEEvT_jT0_jPNS7_10value_typeE.has_recursion, 0
	.set _ZN7rocprim17ROCPRIM_400000_NS6detail31init_lookback_scan_state_kernelINS1_19lookback_scan_stateImLb1ELb1EEENS1_16block_id_wrapperIjLb0EEEEEvT_jT0_jPNS7_10value_typeE.has_indirect_call, 0
	.section	.AMDGPU.csdata,"",@progbits
; Kernel info:
; codeLenInByte = 456
; TotalNumSgprs: 12
; NumVgprs: 8
; ScratchSize: 0
; MemoryBound: 0
; FloatMode: 240
; IeeeMode: 1
; LDSByteSize: 0 bytes/workgroup (compile time only)
; SGPRBlocks: 0
; VGPRBlocks: 0
; NumSGPRsForWavesPerEU: 12
; NumVGPRsForWavesPerEU: 8
; Occupancy: 16
; WaveLimiterHint : 0
; COMPUTE_PGM_RSRC2:SCRATCH_EN: 0
; COMPUTE_PGM_RSRC2:USER_SGPR: 2
; COMPUTE_PGM_RSRC2:TRAP_HANDLER: 0
; COMPUTE_PGM_RSRC2:TGID_X_EN: 1
; COMPUTE_PGM_RSRC2:TGID_Y_EN: 0
; COMPUTE_PGM_RSRC2:TGID_Z_EN: 0
; COMPUTE_PGM_RSRC2:TIDIG_COMP_CNT: 0
	.section	.text._ZN7rocprim17ROCPRIM_400000_NS6detail17trampoline_kernelINS0_14default_configENS1_25partition_config_selectorILNS1_17partition_subalgoE6EdNS0_10empty_typeEbEEZZNS1_14partition_implILS5_6ELb0ES3_mN6thrust23THRUST_200600_302600_NS6detail15normal_iteratorINSA_10device_ptrIdEEEEPS6_SG_NS0_5tupleIJSF_S6_EEENSH_IJSG_SG_EEES6_PlJNSB_9not_fun_tINSB_10functional5actorINSM_9compositeIJNSM_27transparent_binary_operatorINSA_8equal_toIvEEEENSN_INSM_8argumentILj0EEEEENSM_5valueIdEEEEEEEEEEEE10hipError_tPvRmT3_T4_T5_T6_T7_T9_mT8_P12ihipStream_tbDpT10_ENKUlT_T0_E_clISt17integral_constantIbLb1EES1J_IbLb0EEEEDaS1F_S1G_EUlS1F_E_NS1_11comp_targetILNS1_3genE0ELNS1_11target_archE4294967295ELNS1_3gpuE0ELNS1_3repE0EEENS1_30default_config_static_selectorELNS0_4arch9wavefront6targetE0EEEvT1_,"axG",@progbits,_ZN7rocprim17ROCPRIM_400000_NS6detail17trampoline_kernelINS0_14default_configENS1_25partition_config_selectorILNS1_17partition_subalgoE6EdNS0_10empty_typeEbEEZZNS1_14partition_implILS5_6ELb0ES3_mN6thrust23THRUST_200600_302600_NS6detail15normal_iteratorINSA_10device_ptrIdEEEEPS6_SG_NS0_5tupleIJSF_S6_EEENSH_IJSG_SG_EEES6_PlJNSB_9not_fun_tINSB_10functional5actorINSM_9compositeIJNSM_27transparent_binary_operatorINSA_8equal_toIvEEEENSN_INSM_8argumentILj0EEEEENSM_5valueIdEEEEEEEEEEEE10hipError_tPvRmT3_T4_T5_T6_T7_T9_mT8_P12ihipStream_tbDpT10_ENKUlT_T0_E_clISt17integral_constantIbLb1EES1J_IbLb0EEEEDaS1F_S1G_EUlS1F_E_NS1_11comp_targetILNS1_3genE0ELNS1_11target_archE4294967295ELNS1_3gpuE0ELNS1_3repE0EEENS1_30default_config_static_selectorELNS0_4arch9wavefront6targetE0EEEvT1_,comdat
	.protected	_ZN7rocprim17ROCPRIM_400000_NS6detail17trampoline_kernelINS0_14default_configENS1_25partition_config_selectorILNS1_17partition_subalgoE6EdNS0_10empty_typeEbEEZZNS1_14partition_implILS5_6ELb0ES3_mN6thrust23THRUST_200600_302600_NS6detail15normal_iteratorINSA_10device_ptrIdEEEEPS6_SG_NS0_5tupleIJSF_S6_EEENSH_IJSG_SG_EEES6_PlJNSB_9not_fun_tINSB_10functional5actorINSM_9compositeIJNSM_27transparent_binary_operatorINSA_8equal_toIvEEEENSN_INSM_8argumentILj0EEEEENSM_5valueIdEEEEEEEEEEEE10hipError_tPvRmT3_T4_T5_T6_T7_T9_mT8_P12ihipStream_tbDpT10_ENKUlT_T0_E_clISt17integral_constantIbLb1EES1J_IbLb0EEEEDaS1F_S1G_EUlS1F_E_NS1_11comp_targetILNS1_3genE0ELNS1_11target_archE4294967295ELNS1_3gpuE0ELNS1_3repE0EEENS1_30default_config_static_selectorELNS0_4arch9wavefront6targetE0EEEvT1_ ; -- Begin function _ZN7rocprim17ROCPRIM_400000_NS6detail17trampoline_kernelINS0_14default_configENS1_25partition_config_selectorILNS1_17partition_subalgoE6EdNS0_10empty_typeEbEEZZNS1_14partition_implILS5_6ELb0ES3_mN6thrust23THRUST_200600_302600_NS6detail15normal_iteratorINSA_10device_ptrIdEEEEPS6_SG_NS0_5tupleIJSF_S6_EEENSH_IJSG_SG_EEES6_PlJNSB_9not_fun_tINSB_10functional5actorINSM_9compositeIJNSM_27transparent_binary_operatorINSA_8equal_toIvEEEENSN_INSM_8argumentILj0EEEEENSM_5valueIdEEEEEEEEEEEE10hipError_tPvRmT3_T4_T5_T6_T7_T9_mT8_P12ihipStream_tbDpT10_ENKUlT_T0_E_clISt17integral_constantIbLb1EES1J_IbLb0EEEEDaS1F_S1G_EUlS1F_E_NS1_11comp_targetILNS1_3genE0ELNS1_11target_archE4294967295ELNS1_3gpuE0ELNS1_3repE0EEENS1_30default_config_static_selectorELNS0_4arch9wavefront6targetE0EEEvT1_
	.globl	_ZN7rocprim17ROCPRIM_400000_NS6detail17trampoline_kernelINS0_14default_configENS1_25partition_config_selectorILNS1_17partition_subalgoE6EdNS0_10empty_typeEbEEZZNS1_14partition_implILS5_6ELb0ES3_mN6thrust23THRUST_200600_302600_NS6detail15normal_iteratorINSA_10device_ptrIdEEEEPS6_SG_NS0_5tupleIJSF_S6_EEENSH_IJSG_SG_EEES6_PlJNSB_9not_fun_tINSB_10functional5actorINSM_9compositeIJNSM_27transparent_binary_operatorINSA_8equal_toIvEEEENSN_INSM_8argumentILj0EEEEENSM_5valueIdEEEEEEEEEEEE10hipError_tPvRmT3_T4_T5_T6_T7_T9_mT8_P12ihipStream_tbDpT10_ENKUlT_T0_E_clISt17integral_constantIbLb1EES1J_IbLb0EEEEDaS1F_S1G_EUlS1F_E_NS1_11comp_targetILNS1_3genE0ELNS1_11target_archE4294967295ELNS1_3gpuE0ELNS1_3repE0EEENS1_30default_config_static_selectorELNS0_4arch9wavefront6targetE0EEEvT1_
	.p2align	8
	.type	_ZN7rocprim17ROCPRIM_400000_NS6detail17trampoline_kernelINS0_14default_configENS1_25partition_config_selectorILNS1_17partition_subalgoE6EdNS0_10empty_typeEbEEZZNS1_14partition_implILS5_6ELb0ES3_mN6thrust23THRUST_200600_302600_NS6detail15normal_iteratorINSA_10device_ptrIdEEEEPS6_SG_NS0_5tupleIJSF_S6_EEENSH_IJSG_SG_EEES6_PlJNSB_9not_fun_tINSB_10functional5actorINSM_9compositeIJNSM_27transparent_binary_operatorINSA_8equal_toIvEEEENSN_INSM_8argumentILj0EEEEENSM_5valueIdEEEEEEEEEEEE10hipError_tPvRmT3_T4_T5_T6_T7_T9_mT8_P12ihipStream_tbDpT10_ENKUlT_T0_E_clISt17integral_constantIbLb1EES1J_IbLb0EEEEDaS1F_S1G_EUlS1F_E_NS1_11comp_targetILNS1_3genE0ELNS1_11target_archE4294967295ELNS1_3gpuE0ELNS1_3repE0EEENS1_30default_config_static_selectorELNS0_4arch9wavefront6targetE0EEEvT1_,@function
_ZN7rocprim17ROCPRIM_400000_NS6detail17trampoline_kernelINS0_14default_configENS1_25partition_config_selectorILNS1_17partition_subalgoE6EdNS0_10empty_typeEbEEZZNS1_14partition_implILS5_6ELb0ES3_mN6thrust23THRUST_200600_302600_NS6detail15normal_iteratorINSA_10device_ptrIdEEEEPS6_SG_NS0_5tupleIJSF_S6_EEENSH_IJSG_SG_EEES6_PlJNSB_9not_fun_tINSB_10functional5actorINSM_9compositeIJNSM_27transparent_binary_operatorINSA_8equal_toIvEEEENSN_INSM_8argumentILj0EEEEENSM_5valueIdEEEEEEEEEEEE10hipError_tPvRmT3_T4_T5_T6_T7_T9_mT8_P12ihipStream_tbDpT10_ENKUlT_T0_E_clISt17integral_constantIbLb1EES1J_IbLb0EEEEDaS1F_S1G_EUlS1F_E_NS1_11comp_targetILNS1_3genE0ELNS1_11target_archE4294967295ELNS1_3gpuE0ELNS1_3repE0EEENS1_30default_config_static_selectorELNS0_4arch9wavefront6targetE0EEEvT1_: ; @_ZN7rocprim17ROCPRIM_400000_NS6detail17trampoline_kernelINS0_14default_configENS1_25partition_config_selectorILNS1_17partition_subalgoE6EdNS0_10empty_typeEbEEZZNS1_14partition_implILS5_6ELb0ES3_mN6thrust23THRUST_200600_302600_NS6detail15normal_iteratorINSA_10device_ptrIdEEEEPS6_SG_NS0_5tupleIJSF_S6_EEENSH_IJSG_SG_EEES6_PlJNSB_9not_fun_tINSB_10functional5actorINSM_9compositeIJNSM_27transparent_binary_operatorINSA_8equal_toIvEEEENSN_INSM_8argumentILj0EEEEENSM_5valueIdEEEEEEEEEEEE10hipError_tPvRmT3_T4_T5_T6_T7_T9_mT8_P12ihipStream_tbDpT10_ENKUlT_T0_E_clISt17integral_constantIbLb1EES1J_IbLb0EEEEDaS1F_S1G_EUlS1F_E_NS1_11comp_targetILNS1_3genE0ELNS1_11target_archE4294967295ELNS1_3gpuE0ELNS1_3repE0EEENS1_30default_config_static_selectorELNS0_4arch9wavefront6targetE0EEEvT1_
; %bb.0:
	.section	.rodata,"a",@progbits
	.p2align	6, 0x0
	.amdhsa_kernel _ZN7rocprim17ROCPRIM_400000_NS6detail17trampoline_kernelINS0_14default_configENS1_25partition_config_selectorILNS1_17partition_subalgoE6EdNS0_10empty_typeEbEEZZNS1_14partition_implILS5_6ELb0ES3_mN6thrust23THRUST_200600_302600_NS6detail15normal_iteratorINSA_10device_ptrIdEEEEPS6_SG_NS0_5tupleIJSF_S6_EEENSH_IJSG_SG_EEES6_PlJNSB_9not_fun_tINSB_10functional5actorINSM_9compositeIJNSM_27transparent_binary_operatorINSA_8equal_toIvEEEENSN_INSM_8argumentILj0EEEEENSM_5valueIdEEEEEEEEEEEE10hipError_tPvRmT3_T4_T5_T6_T7_T9_mT8_P12ihipStream_tbDpT10_ENKUlT_T0_E_clISt17integral_constantIbLb1EES1J_IbLb0EEEEDaS1F_S1G_EUlS1F_E_NS1_11comp_targetILNS1_3genE0ELNS1_11target_archE4294967295ELNS1_3gpuE0ELNS1_3repE0EEENS1_30default_config_static_selectorELNS0_4arch9wavefront6targetE0EEEvT1_
		.amdhsa_group_segment_fixed_size 0
		.amdhsa_private_segment_fixed_size 0
		.amdhsa_kernarg_size 128
		.amdhsa_user_sgpr_count 2
		.amdhsa_user_sgpr_dispatch_ptr 0
		.amdhsa_user_sgpr_queue_ptr 0
		.amdhsa_user_sgpr_kernarg_segment_ptr 1
		.amdhsa_user_sgpr_dispatch_id 0
		.amdhsa_user_sgpr_private_segment_size 0
		.amdhsa_wavefront_size32 1
		.amdhsa_uses_dynamic_stack 0
		.amdhsa_enable_private_segment 0
		.amdhsa_system_sgpr_workgroup_id_x 1
		.amdhsa_system_sgpr_workgroup_id_y 0
		.amdhsa_system_sgpr_workgroup_id_z 0
		.amdhsa_system_sgpr_workgroup_info 0
		.amdhsa_system_vgpr_workitem_id 0
		.amdhsa_next_free_vgpr 1
		.amdhsa_next_free_sgpr 1
		.amdhsa_reserve_vcc 0
		.amdhsa_float_round_mode_32 0
		.amdhsa_float_round_mode_16_64 0
		.amdhsa_float_denorm_mode_32 3
		.amdhsa_float_denorm_mode_16_64 3
		.amdhsa_fp16_overflow 0
		.amdhsa_workgroup_processor_mode 1
		.amdhsa_memory_ordered 1
		.amdhsa_forward_progress 1
		.amdhsa_inst_pref_size 0
		.amdhsa_round_robin_scheduling 0
		.amdhsa_exception_fp_ieee_invalid_op 0
		.amdhsa_exception_fp_denorm_src 0
		.amdhsa_exception_fp_ieee_div_zero 0
		.amdhsa_exception_fp_ieee_overflow 0
		.amdhsa_exception_fp_ieee_underflow 0
		.amdhsa_exception_fp_ieee_inexact 0
		.amdhsa_exception_int_div_zero 0
	.end_amdhsa_kernel
	.section	.text._ZN7rocprim17ROCPRIM_400000_NS6detail17trampoline_kernelINS0_14default_configENS1_25partition_config_selectorILNS1_17partition_subalgoE6EdNS0_10empty_typeEbEEZZNS1_14partition_implILS5_6ELb0ES3_mN6thrust23THRUST_200600_302600_NS6detail15normal_iteratorINSA_10device_ptrIdEEEEPS6_SG_NS0_5tupleIJSF_S6_EEENSH_IJSG_SG_EEES6_PlJNSB_9not_fun_tINSB_10functional5actorINSM_9compositeIJNSM_27transparent_binary_operatorINSA_8equal_toIvEEEENSN_INSM_8argumentILj0EEEEENSM_5valueIdEEEEEEEEEEEE10hipError_tPvRmT3_T4_T5_T6_T7_T9_mT8_P12ihipStream_tbDpT10_ENKUlT_T0_E_clISt17integral_constantIbLb1EES1J_IbLb0EEEEDaS1F_S1G_EUlS1F_E_NS1_11comp_targetILNS1_3genE0ELNS1_11target_archE4294967295ELNS1_3gpuE0ELNS1_3repE0EEENS1_30default_config_static_selectorELNS0_4arch9wavefront6targetE0EEEvT1_,"axG",@progbits,_ZN7rocprim17ROCPRIM_400000_NS6detail17trampoline_kernelINS0_14default_configENS1_25partition_config_selectorILNS1_17partition_subalgoE6EdNS0_10empty_typeEbEEZZNS1_14partition_implILS5_6ELb0ES3_mN6thrust23THRUST_200600_302600_NS6detail15normal_iteratorINSA_10device_ptrIdEEEEPS6_SG_NS0_5tupleIJSF_S6_EEENSH_IJSG_SG_EEES6_PlJNSB_9not_fun_tINSB_10functional5actorINSM_9compositeIJNSM_27transparent_binary_operatorINSA_8equal_toIvEEEENSN_INSM_8argumentILj0EEEEENSM_5valueIdEEEEEEEEEEEE10hipError_tPvRmT3_T4_T5_T6_T7_T9_mT8_P12ihipStream_tbDpT10_ENKUlT_T0_E_clISt17integral_constantIbLb1EES1J_IbLb0EEEEDaS1F_S1G_EUlS1F_E_NS1_11comp_targetILNS1_3genE0ELNS1_11target_archE4294967295ELNS1_3gpuE0ELNS1_3repE0EEENS1_30default_config_static_selectorELNS0_4arch9wavefront6targetE0EEEvT1_,comdat
.Lfunc_end29:
	.size	_ZN7rocprim17ROCPRIM_400000_NS6detail17trampoline_kernelINS0_14default_configENS1_25partition_config_selectorILNS1_17partition_subalgoE6EdNS0_10empty_typeEbEEZZNS1_14partition_implILS5_6ELb0ES3_mN6thrust23THRUST_200600_302600_NS6detail15normal_iteratorINSA_10device_ptrIdEEEEPS6_SG_NS0_5tupleIJSF_S6_EEENSH_IJSG_SG_EEES6_PlJNSB_9not_fun_tINSB_10functional5actorINSM_9compositeIJNSM_27transparent_binary_operatorINSA_8equal_toIvEEEENSN_INSM_8argumentILj0EEEEENSM_5valueIdEEEEEEEEEEEE10hipError_tPvRmT3_T4_T5_T6_T7_T9_mT8_P12ihipStream_tbDpT10_ENKUlT_T0_E_clISt17integral_constantIbLb1EES1J_IbLb0EEEEDaS1F_S1G_EUlS1F_E_NS1_11comp_targetILNS1_3genE0ELNS1_11target_archE4294967295ELNS1_3gpuE0ELNS1_3repE0EEENS1_30default_config_static_selectorELNS0_4arch9wavefront6targetE0EEEvT1_, .Lfunc_end29-_ZN7rocprim17ROCPRIM_400000_NS6detail17trampoline_kernelINS0_14default_configENS1_25partition_config_selectorILNS1_17partition_subalgoE6EdNS0_10empty_typeEbEEZZNS1_14partition_implILS5_6ELb0ES3_mN6thrust23THRUST_200600_302600_NS6detail15normal_iteratorINSA_10device_ptrIdEEEEPS6_SG_NS0_5tupleIJSF_S6_EEENSH_IJSG_SG_EEES6_PlJNSB_9not_fun_tINSB_10functional5actorINSM_9compositeIJNSM_27transparent_binary_operatorINSA_8equal_toIvEEEENSN_INSM_8argumentILj0EEEEENSM_5valueIdEEEEEEEEEEEE10hipError_tPvRmT3_T4_T5_T6_T7_T9_mT8_P12ihipStream_tbDpT10_ENKUlT_T0_E_clISt17integral_constantIbLb1EES1J_IbLb0EEEEDaS1F_S1G_EUlS1F_E_NS1_11comp_targetILNS1_3genE0ELNS1_11target_archE4294967295ELNS1_3gpuE0ELNS1_3repE0EEENS1_30default_config_static_selectorELNS0_4arch9wavefront6targetE0EEEvT1_
                                        ; -- End function
	.set _ZN7rocprim17ROCPRIM_400000_NS6detail17trampoline_kernelINS0_14default_configENS1_25partition_config_selectorILNS1_17partition_subalgoE6EdNS0_10empty_typeEbEEZZNS1_14partition_implILS5_6ELb0ES3_mN6thrust23THRUST_200600_302600_NS6detail15normal_iteratorINSA_10device_ptrIdEEEEPS6_SG_NS0_5tupleIJSF_S6_EEENSH_IJSG_SG_EEES6_PlJNSB_9not_fun_tINSB_10functional5actorINSM_9compositeIJNSM_27transparent_binary_operatorINSA_8equal_toIvEEEENSN_INSM_8argumentILj0EEEEENSM_5valueIdEEEEEEEEEEEE10hipError_tPvRmT3_T4_T5_T6_T7_T9_mT8_P12ihipStream_tbDpT10_ENKUlT_T0_E_clISt17integral_constantIbLb1EES1J_IbLb0EEEEDaS1F_S1G_EUlS1F_E_NS1_11comp_targetILNS1_3genE0ELNS1_11target_archE4294967295ELNS1_3gpuE0ELNS1_3repE0EEENS1_30default_config_static_selectorELNS0_4arch9wavefront6targetE0EEEvT1_.num_vgpr, 0
	.set _ZN7rocprim17ROCPRIM_400000_NS6detail17trampoline_kernelINS0_14default_configENS1_25partition_config_selectorILNS1_17partition_subalgoE6EdNS0_10empty_typeEbEEZZNS1_14partition_implILS5_6ELb0ES3_mN6thrust23THRUST_200600_302600_NS6detail15normal_iteratorINSA_10device_ptrIdEEEEPS6_SG_NS0_5tupleIJSF_S6_EEENSH_IJSG_SG_EEES6_PlJNSB_9not_fun_tINSB_10functional5actorINSM_9compositeIJNSM_27transparent_binary_operatorINSA_8equal_toIvEEEENSN_INSM_8argumentILj0EEEEENSM_5valueIdEEEEEEEEEEEE10hipError_tPvRmT3_T4_T5_T6_T7_T9_mT8_P12ihipStream_tbDpT10_ENKUlT_T0_E_clISt17integral_constantIbLb1EES1J_IbLb0EEEEDaS1F_S1G_EUlS1F_E_NS1_11comp_targetILNS1_3genE0ELNS1_11target_archE4294967295ELNS1_3gpuE0ELNS1_3repE0EEENS1_30default_config_static_selectorELNS0_4arch9wavefront6targetE0EEEvT1_.num_agpr, 0
	.set _ZN7rocprim17ROCPRIM_400000_NS6detail17trampoline_kernelINS0_14default_configENS1_25partition_config_selectorILNS1_17partition_subalgoE6EdNS0_10empty_typeEbEEZZNS1_14partition_implILS5_6ELb0ES3_mN6thrust23THRUST_200600_302600_NS6detail15normal_iteratorINSA_10device_ptrIdEEEEPS6_SG_NS0_5tupleIJSF_S6_EEENSH_IJSG_SG_EEES6_PlJNSB_9not_fun_tINSB_10functional5actorINSM_9compositeIJNSM_27transparent_binary_operatorINSA_8equal_toIvEEEENSN_INSM_8argumentILj0EEEEENSM_5valueIdEEEEEEEEEEEE10hipError_tPvRmT3_T4_T5_T6_T7_T9_mT8_P12ihipStream_tbDpT10_ENKUlT_T0_E_clISt17integral_constantIbLb1EES1J_IbLb0EEEEDaS1F_S1G_EUlS1F_E_NS1_11comp_targetILNS1_3genE0ELNS1_11target_archE4294967295ELNS1_3gpuE0ELNS1_3repE0EEENS1_30default_config_static_selectorELNS0_4arch9wavefront6targetE0EEEvT1_.numbered_sgpr, 0
	.set _ZN7rocprim17ROCPRIM_400000_NS6detail17trampoline_kernelINS0_14default_configENS1_25partition_config_selectorILNS1_17partition_subalgoE6EdNS0_10empty_typeEbEEZZNS1_14partition_implILS5_6ELb0ES3_mN6thrust23THRUST_200600_302600_NS6detail15normal_iteratorINSA_10device_ptrIdEEEEPS6_SG_NS0_5tupleIJSF_S6_EEENSH_IJSG_SG_EEES6_PlJNSB_9not_fun_tINSB_10functional5actorINSM_9compositeIJNSM_27transparent_binary_operatorINSA_8equal_toIvEEEENSN_INSM_8argumentILj0EEEEENSM_5valueIdEEEEEEEEEEEE10hipError_tPvRmT3_T4_T5_T6_T7_T9_mT8_P12ihipStream_tbDpT10_ENKUlT_T0_E_clISt17integral_constantIbLb1EES1J_IbLb0EEEEDaS1F_S1G_EUlS1F_E_NS1_11comp_targetILNS1_3genE0ELNS1_11target_archE4294967295ELNS1_3gpuE0ELNS1_3repE0EEENS1_30default_config_static_selectorELNS0_4arch9wavefront6targetE0EEEvT1_.num_named_barrier, 0
	.set _ZN7rocprim17ROCPRIM_400000_NS6detail17trampoline_kernelINS0_14default_configENS1_25partition_config_selectorILNS1_17partition_subalgoE6EdNS0_10empty_typeEbEEZZNS1_14partition_implILS5_6ELb0ES3_mN6thrust23THRUST_200600_302600_NS6detail15normal_iteratorINSA_10device_ptrIdEEEEPS6_SG_NS0_5tupleIJSF_S6_EEENSH_IJSG_SG_EEES6_PlJNSB_9not_fun_tINSB_10functional5actorINSM_9compositeIJNSM_27transparent_binary_operatorINSA_8equal_toIvEEEENSN_INSM_8argumentILj0EEEEENSM_5valueIdEEEEEEEEEEEE10hipError_tPvRmT3_T4_T5_T6_T7_T9_mT8_P12ihipStream_tbDpT10_ENKUlT_T0_E_clISt17integral_constantIbLb1EES1J_IbLb0EEEEDaS1F_S1G_EUlS1F_E_NS1_11comp_targetILNS1_3genE0ELNS1_11target_archE4294967295ELNS1_3gpuE0ELNS1_3repE0EEENS1_30default_config_static_selectorELNS0_4arch9wavefront6targetE0EEEvT1_.private_seg_size, 0
	.set _ZN7rocprim17ROCPRIM_400000_NS6detail17trampoline_kernelINS0_14default_configENS1_25partition_config_selectorILNS1_17partition_subalgoE6EdNS0_10empty_typeEbEEZZNS1_14partition_implILS5_6ELb0ES3_mN6thrust23THRUST_200600_302600_NS6detail15normal_iteratorINSA_10device_ptrIdEEEEPS6_SG_NS0_5tupleIJSF_S6_EEENSH_IJSG_SG_EEES6_PlJNSB_9not_fun_tINSB_10functional5actorINSM_9compositeIJNSM_27transparent_binary_operatorINSA_8equal_toIvEEEENSN_INSM_8argumentILj0EEEEENSM_5valueIdEEEEEEEEEEEE10hipError_tPvRmT3_T4_T5_T6_T7_T9_mT8_P12ihipStream_tbDpT10_ENKUlT_T0_E_clISt17integral_constantIbLb1EES1J_IbLb0EEEEDaS1F_S1G_EUlS1F_E_NS1_11comp_targetILNS1_3genE0ELNS1_11target_archE4294967295ELNS1_3gpuE0ELNS1_3repE0EEENS1_30default_config_static_selectorELNS0_4arch9wavefront6targetE0EEEvT1_.uses_vcc, 0
	.set _ZN7rocprim17ROCPRIM_400000_NS6detail17trampoline_kernelINS0_14default_configENS1_25partition_config_selectorILNS1_17partition_subalgoE6EdNS0_10empty_typeEbEEZZNS1_14partition_implILS5_6ELb0ES3_mN6thrust23THRUST_200600_302600_NS6detail15normal_iteratorINSA_10device_ptrIdEEEEPS6_SG_NS0_5tupleIJSF_S6_EEENSH_IJSG_SG_EEES6_PlJNSB_9not_fun_tINSB_10functional5actorINSM_9compositeIJNSM_27transparent_binary_operatorINSA_8equal_toIvEEEENSN_INSM_8argumentILj0EEEEENSM_5valueIdEEEEEEEEEEEE10hipError_tPvRmT3_T4_T5_T6_T7_T9_mT8_P12ihipStream_tbDpT10_ENKUlT_T0_E_clISt17integral_constantIbLb1EES1J_IbLb0EEEEDaS1F_S1G_EUlS1F_E_NS1_11comp_targetILNS1_3genE0ELNS1_11target_archE4294967295ELNS1_3gpuE0ELNS1_3repE0EEENS1_30default_config_static_selectorELNS0_4arch9wavefront6targetE0EEEvT1_.uses_flat_scratch, 0
	.set _ZN7rocprim17ROCPRIM_400000_NS6detail17trampoline_kernelINS0_14default_configENS1_25partition_config_selectorILNS1_17partition_subalgoE6EdNS0_10empty_typeEbEEZZNS1_14partition_implILS5_6ELb0ES3_mN6thrust23THRUST_200600_302600_NS6detail15normal_iteratorINSA_10device_ptrIdEEEEPS6_SG_NS0_5tupleIJSF_S6_EEENSH_IJSG_SG_EEES6_PlJNSB_9not_fun_tINSB_10functional5actorINSM_9compositeIJNSM_27transparent_binary_operatorINSA_8equal_toIvEEEENSN_INSM_8argumentILj0EEEEENSM_5valueIdEEEEEEEEEEEE10hipError_tPvRmT3_T4_T5_T6_T7_T9_mT8_P12ihipStream_tbDpT10_ENKUlT_T0_E_clISt17integral_constantIbLb1EES1J_IbLb0EEEEDaS1F_S1G_EUlS1F_E_NS1_11comp_targetILNS1_3genE0ELNS1_11target_archE4294967295ELNS1_3gpuE0ELNS1_3repE0EEENS1_30default_config_static_selectorELNS0_4arch9wavefront6targetE0EEEvT1_.has_dyn_sized_stack, 0
	.set _ZN7rocprim17ROCPRIM_400000_NS6detail17trampoline_kernelINS0_14default_configENS1_25partition_config_selectorILNS1_17partition_subalgoE6EdNS0_10empty_typeEbEEZZNS1_14partition_implILS5_6ELb0ES3_mN6thrust23THRUST_200600_302600_NS6detail15normal_iteratorINSA_10device_ptrIdEEEEPS6_SG_NS0_5tupleIJSF_S6_EEENSH_IJSG_SG_EEES6_PlJNSB_9not_fun_tINSB_10functional5actorINSM_9compositeIJNSM_27transparent_binary_operatorINSA_8equal_toIvEEEENSN_INSM_8argumentILj0EEEEENSM_5valueIdEEEEEEEEEEEE10hipError_tPvRmT3_T4_T5_T6_T7_T9_mT8_P12ihipStream_tbDpT10_ENKUlT_T0_E_clISt17integral_constantIbLb1EES1J_IbLb0EEEEDaS1F_S1G_EUlS1F_E_NS1_11comp_targetILNS1_3genE0ELNS1_11target_archE4294967295ELNS1_3gpuE0ELNS1_3repE0EEENS1_30default_config_static_selectorELNS0_4arch9wavefront6targetE0EEEvT1_.has_recursion, 0
	.set _ZN7rocprim17ROCPRIM_400000_NS6detail17trampoline_kernelINS0_14default_configENS1_25partition_config_selectorILNS1_17partition_subalgoE6EdNS0_10empty_typeEbEEZZNS1_14partition_implILS5_6ELb0ES3_mN6thrust23THRUST_200600_302600_NS6detail15normal_iteratorINSA_10device_ptrIdEEEEPS6_SG_NS0_5tupleIJSF_S6_EEENSH_IJSG_SG_EEES6_PlJNSB_9not_fun_tINSB_10functional5actorINSM_9compositeIJNSM_27transparent_binary_operatorINSA_8equal_toIvEEEENSN_INSM_8argumentILj0EEEEENSM_5valueIdEEEEEEEEEEEE10hipError_tPvRmT3_T4_T5_T6_T7_T9_mT8_P12ihipStream_tbDpT10_ENKUlT_T0_E_clISt17integral_constantIbLb1EES1J_IbLb0EEEEDaS1F_S1G_EUlS1F_E_NS1_11comp_targetILNS1_3genE0ELNS1_11target_archE4294967295ELNS1_3gpuE0ELNS1_3repE0EEENS1_30default_config_static_selectorELNS0_4arch9wavefront6targetE0EEEvT1_.has_indirect_call, 0
	.section	.AMDGPU.csdata,"",@progbits
; Kernel info:
; codeLenInByte = 0
; TotalNumSgprs: 0
; NumVgprs: 0
; ScratchSize: 0
; MemoryBound: 0
; FloatMode: 240
; IeeeMode: 1
; LDSByteSize: 0 bytes/workgroup (compile time only)
; SGPRBlocks: 0
; VGPRBlocks: 0
; NumSGPRsForWavesPerEU: 1
; NumVGPRsForWavesPerEU: 1
; Occupancy: 16
; WaveLimiterHint : 0
; COMPUTE_PGM_RSRC2:SCRATCH_EN: 0
; COMPUTE_PGM_RSRC2:USER_SGPR: 2
; COMPUTE_PGM_RSRC2:TRAP_HANDLER: 0
; COMPUTE_PGM_RSRC2:TGID_X_EN: 1
; COMPUTE_PGM_RSRC2:TGID_Y_EN: 0
; COMPUTE_PGM_RSRC2:TGID_Z_EN: 0
; COMPUTE_PGM_RSRC2:TIDIG_COMP_CNT: 0
	.section	.text._ZN7rocprim17ROCPRIM_400000_NS6detail17trampoline_kernelINS0_14default_configENS1_25partition_config_selectorILNS1_17partition_subalgoE6EdNS0_10empty_typeEbEEZZNS1_14partition_implILS5_6ELb0ES3_mN6thrust23THRUST_200600_302600_NS6detail15normal_iteratorINSA_10device_ptrIdEEEEPS6_SG_NS0_5tupleIJSF_S6_EEENSH_IJSG_SG_EEES6_PlJNSB_9not_fun_tINSB_10functional5actorINSM_9compositeIJNSM_27transparent_binary_operatorINSA_8equal_toIvEEEENSN_INSM_8argumentILj0EEEEENSM_5valueIdEEEEEEEEEEEE10hipError_tPvRmT3_T4_T5_T6_T7_T9_mT8_P12ihipStream_tbDpT10_ENKUlT_T0_E_clISt17integral_constantIbLb1EES1J_IbLb0EEEEDaS1F_S1G_EUlS1F_E_NS1_11comp_targetILNS1_3genE5ELNS1_11target_archE942ELNS1_3gpuE9ELNS1_3repE0EEENS1_30default_config_static_selectorELNS0_4arch9wavefront6targetE0EEEvT1_,"axG",@progbits,_ZN7rocprim17ROCPRIM_400000_NS6detail17trampoline_kernelINS0_14default_configENS1_25partition_config_selectorILNS1_17partition_subalgoE6EdNS0_10empty_typeEbEEZZNS1_14partition_implILS5_6ELb0ES3_mN6thrust23THRUST_200600_302600_NS6detail15normal_iteratorINSA_10device_ptrIdEEEEPS6_SG_NS0_5tupleIJSF_S6_EEENSH_IJSG_SG_EEES6_PlJNSB_9not_fun_tINSB_10functional5actorINSM_9compositeIJNSM_27transparent_binary_operatorINSA_8equal_toIvEEEENSN_INSM_8argumentILj0EEEEENSM_5valueIdEEEEEEEEEEEE10hipError_tPvRmT3_T4_T5_T6_T7_T9_mT8_P12ihipStream_tbDpT10_ENKUlT_T0_E_clISt17integral_constantIbLb1EES1J_IbLb0EEEEDaS1F_S1G_EUlS1F_E_NS1_11comp_targetILNS1_3genE5ELNS1_11target_archE942ELNS1_3gpuE9ELNS1_3repE0EEENS1_30default_config_static_selectorELNS0_4arch9wavefront6targetE0EEEvT1_,comdat
	.protected	_ZN7rocprim17ROCPRIM_400000_NS6detail17trampoline_kernelINS0_14default_configENS1_25partition_config_selectorILNS1_17partition_subalgoE6EdNS0_10empty_typeEbEEZZNS1_14partition_implILS5_6ELb0ES3_mN6thrust23THRUST_200600_302600_NS6detail15normal_iteratorINSA_10device_ptrIdEEEEPS6_SG_NS0_5tupleIJSF_S6_EEENSH_IJSG_SG_EEES6_PlJNSB_9not_fun_tINSB_10functional5actorINSM_9compositeIJNSM_27transparent_binary_operatorINSA_8equal_toIvEEEENSN_INSM_8argumentILj0EEEEENSM_5valueIdEEEEEEEEEEEE10hipError_tPvRmT3_T4_T5_T6_T7_T9_mT8_P12ihipStream_tbDpT10_ENKUlT_T0_E_clISt17integral_constantIbLb1EES1J_IbLb0EEEEDaS1F_S1G_EUlS1F_E_NS1_11comp_targetILNS1_3genE5ELNS1_11target_archE942ELNS1_3gpuE9ELNS1_3repE0EEENS1_30default_config_static_selectorELNS0_4arch9wavefront6targetE0EEEvT1_ ; -- Begin function _ZN7rocprim17ROCPRIM_400000_NS6detail17trampoline_kernelINS0_14default_configENS1_25partition_config_selectorILNS1_17partition_subalgoE6EdNS0_10empty_typeEbEEZZNS1_14partition_implILS5_6ELb0ES3_mN6thrust23THRUST_200600_302600_NS6detail15normal_iteratorINSA_10device_ptrIdEEEEPS6_SG_NS0_5tupleIJSF_S6_EEENSH_IJSG_SG_EEES6_PlJNSB_9not_fun_tINSB_10functional5actorINSM_9compositeIJNSM_27transparent_binary_operatorINSA_8equal_toIvEEEENSN_INSM_8argumentILj0EEEEENSM_5valueIdEEEEEEEEEEEE10hipError_tPvRmT3_T4_T5_T6_T7_T9_mT8_P12ihipStream_tbDpT10_ENKUlT_T0_E_clISt17integral_constantIbLb1EES1J_IbLb0EEEEDaS1F_S1G_EUlS1F_E_NS1_11comp_targetILNS1_3genE5ELNS1_11target_archE942ELNS1_3gpuE9ELNS1_3repE0EEENS1_30default_config_static_selectorELNS0_4arch9wavefront6targetE0EEEvT1_
	.globl	_ZN7rocprim17ROCPRIM_400000_NS6detail17trampoline_kernelINS0_14default_configENS1_25partition_config_selectorILNS1_17partition_subalgoE6EdNS0_10empty_typeEbEEZZNS1_14partition_implILS5_6ELb0ES3_mN6thrust23THRUST_200600_302600_NS6detail15normal_iteratorINSA_10device_ptrIdEEEEPS6_SG_NS0_5tupleIJSF_S6_EEENSH_IJSG_SG_EEES6_PlJNSB_9not_fun_tINSB_10functional5actorINSM_9compositeIJNSM_27transparent_binary_operatorINSA_8equal_toIvEEEENSN_INSM_8argumentILj0EEEEENSM_5valueIdEEEEEEEEEEEE10hipError_tPvRmT3_T4_T5_T6_T7_T9_mT8_P12ihipStream_tbDpT10_ENKUlT_T0_E_clISt17integral_constantIbLb1EES1J_IbLb0EEEEDaS1F_S1G_EUlS1F_E_NS1_11comp_targetILNS1_3genE5ELNS1_11target_archE942ELNS1_3gpuE9ELNS1_3repE0EEENS1_30default_config_static_selectorELNS0_4arch9wavefront6targetE0EEEvT1_
	.p2align	8
	.type	_ZN7rocprim17ROCPRIM_400000_NS6detail17trampoline_kernelINS0_14default_configENS1_25partition_config_selectorILNS1_17partition_subalgoE6EdNS0_10empty_typeEbEEZZNS1_14partition_implILS5_6ELb0ES3_mN6thrust23THRUST_200600_302600_NS6detail15normal_iteratorINSA_10device_ptrIdEEEEPS6_SG_NS0_5tupleIJSF_S6_EEENSH_IJSG_SG_EEES6_PlJNSB_9not_fun_tINSB_10functional5actorINSM_9compositeIJNSM_27transparent_binary_operatorINSA_8equal_toIvEEEENSN_INSM_8argumentILj0EEEEENSM_5valueIdEEEEEEEEEEEE10hipError_tPvRmT3_T4_T5_T6_T7_T9_mT8_P12ihipStream_tbDpT10_ENKUlT_T0_E_clISt17integral_constantIbLb1EES1J_IbLb0EEEEDaS1F_S1G_EUlS1F_E_NS1_11comp_targetILNS1_3genE5ELNS1_11target_archE942ELNS1_3gpuE9ELNS1_3repE0EEENS1_30default_config_static_selectorELNS0_4arch9wavefront6targetE0EEEvT1_,@function
_ZN7rocprim17ROCPRIM_400000_NS6detail17trampoline_kernelINS0_14default_configENS1_25partition_config_selectorILNS1_17partition_subalgoE6EdNS0_10empty_typeEbEEZZNS1_14partition_implILS5_6ELb0ES3_mN6thrust23THRUST_200600_302600_NS6detail15normal_iteratorINSA_10device_ptrIdEEEEPS6_SG_NS0_5tupleIJSF_S6_EEENSH_IJSG_SG_EEES6_PlJNSB_9not_fun_tINSB_10functional5actorINSM_9compositeIJNSM_27transparent_binary_operatorINSA_8equal_toIvEEEENSN_INSM_8argumentILj0EEEEENSM_5valueIdEEEEEEEEEEEE10hipError_tPvRmT3_T4_T5_T6_T7_T9_mT8_P12ihipStream_tbDpT10_ENKUlT_T0_E_clISt17integral_constantIbLb1EES1J_IbLb0EEEEDaS1F_S1G_EUlS1F_E_NS1_11comp_targetILNS1_3genE5ELNS1_11target_archE942ELNS1_3gpuE9ELNS1_3repE0EEENS1_30default_config_static_selectorELNS0_4arch9wavefront6targetE0EEEvT1_: ; @_ZN7rocprim17ROCPRIM_400000_NS6detail17trampoline_kernelINS0_14default_configENS1_25partition_config_selectorILNS1_17partition_subalgoE6EdNS0_10empty_typeEbEEZZNS1_14partition_implILS5_6ELb0ES3_mN6thrust23THRUST_200600_302600_NS6detail15normal_iteratorINSA_10device_ptrIdEEEEPS6_SG_NS0_5tupleIJSF_S6_EEENSH_IJSG_SG_EEES6_PlJNSB_9not_fun_tINSB_10functional5actorINSM_9compositeIJNSM_27transparent_binary_operatorINSA_8equal_toIvEEEENSN_INSM_8argumentILj0EEEEENSM_5valueIdEEEEEEEEEEEE10hipError_tPvRmT3_T4_T5_T6_T7_T9_mT8_P12ihipStream_tbDpT10_ENKUlT_T0_E_clISt17integral_constantIbLb1EES1J_IbLb0EEEEDaS1F_S1G_EUlS1F_E_NS1_11comp_targetILNS1_3genE5ELNS1_11target_archE942ELNS1_3gpuE9ELNS1_3repE0EEENS1_30default_config_static_selectorELNS0_4arch9wavefront6targetE0EEEvT1_
; %bb.0:
	.section	.rodata,"a",@progbits
	.p2align	6, 0x0
	.amdhsa_kernel _ZN7rocprim17ROCPRIM_400000_NS6detail17trampoline_kernelINS0_14default_configENS1_25partition_config_selectorILNS1_17partition_subalgoE6EdNS0_10empty_typeEbEEZZNS1_14partition_implILS5_6ELb0ES3_mN6thrust23THRUST_200600_302600_NS6detail15normal_iteratorINSA_10device_ptrIdEEEEPS6_SG_NS0_5tupleIJSF_S6_EEENSH_IJSG_SG_EEES6_PlJNSB_9not_fun_tINSB_10functional5actorINSM_9compositeIJNSM_27transparent_binary_operatorINSA_8equal_toIvEEEENSN_INSM_8argumentILj0EEEEENSM_5valueIdEEEEEEEEEEEE10hipError_tPvRmT3_T4_T5_T6_T7_T9_mT8_P12ihipStream_tbDpT10_ENKUlT_T0_E_clISt17integral_constantIbLb1EES1J_IbLb0EEEEDaS1F_S1G_EUlS1F_E_NS1_11comp_targetILNS1_3genE5ELNS1_11target_archE942ELNS1_3gpuE9ELNS1_3repE0EEENS1_30default_config_static_selectorELNS0_4arch9wavefront6targetE0EEEvT1_
		.amdhsa_group_segment_fixed_size 0
		.amdhsa_private_segment_fixed_size 0
		.amdhsa_kernarg_size 128
		.amdhsa_user_sgpr_count 2
		.amdhsa_user_sgpr_dispatch_ptr 0
		.amdhsa_user_sgpr_queue_ptr 0
		.amdhsa_user_sgpr_kernarg_segment_ptr 1
		.amdhsa_user_sgpr_dispatch_id 0
		.amdhsa_user_sgpr_private_segment_size 0
		.amdhsa_wavefront_size32 1
		.amdhsa_uses_dynamic_stack 0
		.amdhsa_enable_private_segment 0
		.amdhsa_system_sgpr_workgroup_id_x 1
		.amdhsa_system_sgpr_workgroup_id_y 0
		.amdhsa_system_sgpr_workgroup_id_z 0
		.amdhsa_system_sgpr_workgroup_info 0
		.amdhsa_system_vgpr_workitem_id 0
		.amdhsa_next_free_vgpr 1
		.amdhsa_next_free_sgpr 1
		.amdhsa_reserve_vcc 0
		.amdhsa_float_round_mode_32 0
		.amdhsa_float_round_mode_16_64 0
		.amdhsa_float_denorm_mode_32 3
		.amdhsa_float_denorm_mode_16_64 3
		.amdhsa_fp16_overflow 0
		.amdhsa_workgroup_processor_mode 1
		.amdhsa_memory_ordered 1
		.amdhsa_forward_progress 1
		.amdhsa_inst_pref_size 0
		.amdhsa_round_robin_scheduling 0
		.amdhsa_exception_fp_ieee_invalid_op 0
		.amdhsa_exception_fp_denorm_src 0
		.amdhsa_exception_fp_ieee_div_zero 0
		.amdhsa_exception_fp_ieee_overflow 0
		.amdhsa_exception_fp_ieee_underflow 0
		.amdhsa_exception_fp_ieee_inexact 0
		.amdhsa_exception_int_div_zero 0
	.end_amdhsa_kernel
	.section	.text._ZN7rocprim17ROCPRIM_400000_NS6detail17trampoline_kernelINS0_14default_configENS1_25partition_config_selectorILNS1_17partition_subalgoE6EdNS0_10empty_typeEbEEZZNS1_14partition_implILS5_6ELb0ES3_mN6thrust23THRUST_200600_302600_NS6detail15normal_iteratorINSA_10device_ptrIdEEEEPS6_SG_NS0_5tupleIJSF_S6_EEENSH_IJSG_SG_EEES6_PlJNSB_9not_fun_tINSB_10functional5actorINSM_9compositeIJNSM_27transparent_binary_operatorINSA_8equal_toIvEEEENSN_INSM_8argumentILj0EEEEENSM_5valueIdEEEEEEEEEEEE10hipError_tPvRmT3_T4_T5_T6_T7_T9_mT8_P12ihipStream_tbDpT10_ENKUlT_T0_E_clISt17integral_constantIbLb1EES1J_IbLb0EEEEDaS1F_S1G_EUlS1F_E_NS1_11comp_targetILNS1_3genE5ELNS1_11target_archE942ELNS1_3gpuE9ELNS1_3repE0EEENS1_30default_config_static_selectorELNS0_4arch9wavefront6targetE0EEEvT1_,"axG",@progbits,_ZN7rocprim17ROCPRIM_400000_NS6detail17trampoline_kernelINS0_14default_configENS1_25partition_config_selectorILNS1_17partition_subalgoE6EdNS0_10empty_typeEbEEZZNS1_14partition_implILS5_6ELb0ES3_mN6thrust23THRUST_200600_302600_NS6detail15normal_iteratorINSA_10device_ptrIdEEEEPS6_SG_NS0_5tupleIJSF_S6_EEENSH_IJSG_SG_EEES6_PlJNSB_9not_fun_tINSB_10functional5actorINSM_9compositeIJNSM_27transparent_binary_operatorINSA_8equal_toIvEEEENSN_INSM_8argumentILj0EEEEENSM_5valueIdEEEEEEEEEEEE10hipError_tPvRmT3_T4_T5_T6_T7_T9_mT8_P12ihipStream_tbDpT10_ENKUlT_T0_E_clISt17integral_constantIbLb1EES1J_IbLb0EEEEDaS1F_S1G_EUlS1F_E_NS1_11comp_targetILNS1_3genE5ELNS1_11target_archE942ELNS1_3gpuE9ELNS1_3repE0EEENS1_30default_config_static_selectorELNS0_4arch9wavefront6targetE0EEEvT1_,comdat
.Lfunc_end30:
	.size	_ZN7rocprim17ROCPRIM_400000_NS6detail17trampoline_kernelINS0_14default_configENS1_25partition_config_selectorILNS1_17partition_subalgoE6EdNS0_10empty_typeEbEEZZNS1_14partition_implILS5_6ELb0ES3_mN6thrust23THRUST_200600_302600_NS6detail15normal_iteratorINSA_10device_ptrIdEEEEPS6_SG_NS0_5tupleIJSF_S6_EEENSH_IJSG_SG_EEES6_PlJNSB_9not_fun_tINSB_10functional5actorINSM_9compositeIJNSM_27transparent_binary_operatorINSA_8equal_toIvEEEENSN_INSM_8argumentILj0EEEEENSM_5valueIdEEEEEEEEEEEE10hipError_tPvRmT3_T4_T5_T6_T7_T9_mT8_P12ihipStream_tbDpT10_ENKUlT_T0_E_clISt17integral_constantIbLb1EES1J_IbLb0EEEEDaS1F_S1G_EUlS1F_E_NS1_11comp_targetILNS1_3genE5ELNS1_11target_archE942ELNS1_3gpuE9ELNS1_3repE0EEENS1_30default_config_static_selectorELNS0_4arch9wavefront6targetE0EEEvT1_, .Lfunc_end30-_ZN7rocprim17ROCPRIM_400000_NS6detail17trampoline_kernelINS0_14default_configENS1_25partition_config_selectorILNS1_17partition_subalgoE6EdNS0_10empty_typeEbEEZZNS1_14partition_implILS5_6ELb0ES3_mN6thrust23THRUST_200600_302600_NS6detail15normal_iteratorINSA_10device_ptrIdEEEEPS6_SG_NS0_5tupleIJSF_S6_EEENSH_IJSG_SG_EEES6_PlJNSB_9not_fun_tINSB_10functional5actorINSM_9compositeIJNSM_27transparent_binary_operatorINSA_8equal_toIvEEEENSN_INSM_8argumentILj0EEEEENSM_5valueIdEEEEEEEEEEEE10hipError_tPvRmT3_T4_T5_T6_T7_T9_mT8_P12ihipStream_tbDpT10_ENKUlT_T0_E_clISt17integral_constantIbLb1EES1J_IbLb0EEEEDaS1F_S1G_EUlS1F_E_NS1_11comp_targetILNS1_3genE5ELNS1_11target_archE942ELNS1_3gpuE9ELNS1_3repE0EEENS1_30default_config_static_selectorELNS0_4arch9wavefront6targetE0EEEvT1_
                                        ; -- End function
	.set _ZN7rocprim17ROCPRIM_400000_NS6detail17trampoline_kernelINS0_14default_configENS1_25partition_config_selectorILNS1_17partition_subalgoE6EdNS0_10empty_typeEbEEZZNS1_14partition_implILS5_6ELb0ES3_mN6thrust23THRUST_200600_302600_NS6detail15normal_iteratorINSA_10device_ptrIdEEEEPS6_SG_NS0_5tupleIJSF_S6_EEENSH_IJSG_SG_EEES6_PlJNSB_9not_fun_tINSB_10functional5actorINSM_9compositeIJNSM_27transparent_binary_operatorINSA_8equal_toIvEEEENSN_INSM_8argumentILj0EEEEENSM_5valueIdEEEEEEEEEEEE10hipError_tPvRmT3_T4_T5_T6_T7_T9_mT8_P12ihipStream_tbDpT10_ENKUlT_T0_E_clISt17integral_constantIbLb1EES1J_IbLb0EEEEDaS1F_S1G_EUlS1F_E_NS1_11comp_targetILNS1_3genE5ELNS1_11target_archE942ELNS1_3gpuE9ELNS1_3repE0EEENS1_30default_config_static_selectorELNS0_4arch9wavefront6targetE0EEEvT1_.num_vgpr, 0
	.set _ZN7rocprim17ROCPRIM_400000_NS6detail17trampoline_kernelINS0_14default_configENS1_25partition_config_selectorILNS1_17partition_subalgoE6EdNS0_10empty_typeEbEEZZNS1_14partition_implILS5_6ELb0ES3_mN6thrust23THRUST_200600_302600_NS6detail15normal_iteratorINSA_10device_ptrIdEEEEPS6_SG_NS0_5tupleIJSF_S6_EEENSH_IJSG_SG_EEES6_PlJNSB_9not_fun_tINSB_10functional5actorINSM_9compositeIJNSM_27transparent_binary_operatorINSA_8equal_toIvEEEENSN_INSM_8argumentILj0EEEEENSM_5valueIdEEEEEEEEEEEE10hipError_tPvRmT3_T4_T5_T6_T7_T9_mT8_P12ihipStream_tbDpT10_ENKUlT_T0_E_clISt17integral_constantIbLb1EES1J_IbLb0EEEEDaS1F_S1G_EUlS1F_E_NS1_11comp_targetILNS1_3genE5ELNS1_11target_archE942ELNS1_3gpuE9ELNS1_3repE0EEENS1_30default_config_static_selectorELNS0_4arch9wavefront6targetE0EEEvT1_.num_agpr, 0
	.set _ZN7rocprim17ROCPRIM_400000_NS6detail17trampoline_kernelINS0_14default_configENS1_25partition_config_selectorILNS1_17partition_subalgoE6EdNS0_10empty_typeEbEEZZNS1_14partition_implILS5_6ELb0ES3_mN6thrust23THRUST_200600_302600_NS6detail15normal_iteratorINSA_10device_ptrIdEEEEPS6_SG_NS0_5tupleIJSF_S6_EEENSH_IJSG_SG_EEES6_PlJNSB_9not_fun_tINSB_10functional5actorINSM_9compositeIJNSM_27transparent_binary_operatorINSA_8equal_toIvEEEENSN_INSM_8argumentILj0EEEEENSM_5valueIdEEEEEEEEEEEE10hipError_tPvRmT3_T4_T5_T6_T7_T9_mT8_P12ihipStream_tbDpT10_ENKUlT_T0_E_clISt17integral_constantIbLb1EES1J_IbLb0EEEEDaS1F_S1G_EUlS1F_E_NS1_11comp_targetILNS1_3genE5ELNS1_11target_archE942ELNS1_3gpuE9ELNS1_3repE0EEENS1_30default_config_static_selectorELNS0_4arch9wavefront6targetE0EEEvT1_.numbered_sgpr, 0
	.set _ZN7rocprim17ROCPRIM_400000_NS6detail17trampoline_kernelINS0_14default_configENS1_25partition_config_selectorILNS1_17partition_subalgoE6EdNS0_10empty_typeEbEEZZNS1_14partition_implILS5_6ELb0ES3_mN6thrust23THRUST_200600_302600_NS6detail15normal_iteratorINSA_10device_ptrIdEEEEPS6_SG_NS0_5tupleIJSF_S6_EEENSH_IJSG_SG_EEES6_PlJNSB_9not_fun_tINSB_10functional5actorINSM_9compositeIJNSM_27transparent_binary_operatorINSA_8equal_toIvEEEENSN_INSM_8argumentILj0EEEEENSM_5valueIdEEEEEEEEEEEE10hipError_tPvRmT3_T4_T5_T6_T7_T9_mT8_P12ihipStream_tbDpT10_ENKUlT_T0_E_clISt17integral_constantIbLb1EES1J_IbLb0EEEEDaS1F_S1G_EUlS1F_E_NS1_11comp_targetILNS1_3genE5ELNS1_11target_archE942ELNS1_3gpuE9ELNS1_3repE0EEENS1_30default_config_static_selectorELNS0_4arch9wavefront6targetE0EEEvT1_.num_named_barrier, 0
	.set _ZN7rocprim17ROCPRIM_400000_NS6detail17trampoline_kernelINS0_14default_configENS1_25partition_config_selectorILNS1_17partition_subalgoE6EdNS0_10empty_typeEbEEZZNS1_14partition_implILS5_6ELb0ES3_mN6thrust23THRUST_200600_302600_NS6detail15normal_iteratorINSA_10device_ptrIdEEEEPS6_SG_NS0_5tupleIJSF_S6_EEENSH_IJSG_SG_EEES6_PlJNSB_9not_fun_tINSB_10functional5actorINSM_9compositeIJNSM_27transparent_binary_operatorINSA_8equal_toIvEEEENSN_INSM_8argumentILj0EEEEENSM_5valueIdEEEEEEEEEEEE10hipError_tPvRmT3_T4_T5_T6_T7_T9_mT8_P12ihipStream_tbDpT10_ENKUlT_T0_E_clISt17integral_constantIbLb1EES1J_IbLb0EEEEDaS1F_S1G_EUlS1F_E_NS1_11comp_targetILNS1_3genE5ELNS1_11target_archE942ELNS1_3gpuE9ELNS1_3repE0EEENS1_30default_config_static_selectorELNS0_4arch9wavefront6targetE0EEEvT1_.private_seg_size, 0
	.set _ZN7rocprim17ROCPRIM_400000_NS6detail17trampoline_kernelINS0_14default_configENS1_25partition_config_selectorILNS1_17partition_subalgoE6EdNS0_10empty_typeEbEEZZNS1_14partition_implILS5_6ELb0ES3_mN6thrust23THRUST_200600_302600_NS6detail15normal_iteratorINSA_10device_ptrIdEEEEPS6_SG_NS0_5tupleIJSF_S6_EEENSH_IJSG_SG_EEES6_PlJNSB_9not_fun_tINSB_10functional5actorINSM_9compositeIJNSM_27transparent_binary_operatorINSA_8equal_toIvEEEENSN_INSM_8argumentILj0EEEEENSM_5valueIdEEEEEEEEEEEE10hipError_tPvRmT3_T4_T5_T6_T7_T9_mT8_P12ihipStream_tbDpT10_ENKUlT_T0_E_clISt17integral_constantIbLb1EES1J_IbLb0EEEEDaS1F_S1G_EUlS1F_E_NS1_11comp_targetILNS1_3genE5ELNS1_11target_archE942ELNS1_3gpuE9ELNS1_3repE0EEENS1_30default_config_static_selectorELNS0_4arch9wavefront6targetE0EEEvT1_.uses_vcc, 0
	.set _ZN7rocprim17ROCPRIM_400000_NS6detail17trampoline_kernelINS0_14default_configENS1_25partition_config_selectorILNS1_17partition_subalgoE6EdNS0_10empty_typeEbEEZZNS1_14partition_implILS5_6ELb0ES3_mN6thrust23THRUST_200600_302600_NS6detail15normal_iteratorINSA_10device_ptrIdEEEEPS6_SG_NS0_5tupleIJSF_S6_EEENSH_IJSG_SG_EEES6_PlJNSB_9not_fun_tINSB_10functional5actorINSM_9compositeIJNSM_27transparent_binary_operatorINSA_8equal_toIvEEEENSN_INSM_8argumentILj0EEEEENSM_5valueIdEEEEEEEEEEEE10hipError_tPvRmT3_T4_T5_T6_T7_T9_mT8_P12ihipStream_tbDpT10_ENKUlT_T0_E_clISt17integral_constantIbLb1EES1J_IbLb0EEEEDaS1F_S1G_EUlS1F_E_NS1_11comp_targetILNS1_3genE5ELNS1_11target_archE942ELNS1_3gpuE9ELNS1_3repE0EEENS1_30default_config_static_selectorELNS0_4arch9wavefront6targetE0EEEvT1_.uses_flat_scratch, 0
	.set _ZN7rocprim17ROCPRIM_400000_NS6detail17trampoline_kernelINS0_14default_configENS1_25partition_config_selectorILNS1_17partition_subalgoE6EdNS0_10empty_typeEbEEZZNS1_14partition_implILS5_6ELb0ES3_mN6thrust23THRUST_200600_302600_NS6detail15normal_iteratorINSA_10device_ptrIdEEEEPS6_SG_NS0_5tupleIJSF_S6_EEENSH_IJSG_SG_EEES6_PlJNSB_9not_fun_tINSB_10functional5actorINSM_9compositeIJNSM_27transparent_binary_operatorINSA_8equal_toIvEEEENSN_INSM_8argumentILj0EEEEENSM_5valueIdEEEEEEEEEEEE10hipError_tPvRmT3_T4_T5_T6_T7_T9_mT8_P12ihipStream_tbDpT10_ENKUlT_T0_E_clISt17integral_constantIbLb1EES1J_IbLb0EEEEDaS1F_S1G_EUlS1F_E_NS1_11comp_targetILNS1_3genE5ELNS1_11target_archE942ELNS1_3gpuE9ELNS1_3repE0EEENS1_30default_config_static_selectorELNS0_4arch9wavefront6targetE0EEEvT1_.has_dyn_sized_stack, 0
	.set _ZN7rocprim17ROCPRIM_400000_NS6detail17trampoline_kernelINS0_14default_configENS1_25partition_config_selectorILNS1_17partition_subalgoE6EdNS0_10empty_typeEbEEZZNS1_14partition_implILS5_6ELb0ES3_mN6thrust23THRUST_200600_302600_NS6detail15normal_iteratorINSA_10device_ptrIdEEEEPS6_SG_NS0_5tupleIJSF_S6_EEENSH_IJSG_SG_EEES6_PlJNSB_9not_fun_tINSB_10functional5actorINSM_9compositeIJNSM_27transparent_binary_operatorINSA_8equal_toIvEEEENSN_INSM_8argumentILj0EEEEENSM_5valueIdEEEEEEEEEEEE10hipError_tPvRmT3_T4_T5_T6_T7_T9_mT8_P12ihipStream_tbDpT10_ENKUlT_T0_E_clISt17integral_constantIbLb1EES1J_IbLb0EEEEDaS1F_S1G_EUlS1F_E_NS1_11comp_targetILNS1_3genE5ELNS1_11target_archE942ELNS1_3gpuE9ELNS1_3repE0EEENS1_30default_config_static_selectorELNS0_4arch9wavefront6targetE0EEEvT1_.has_recursion, 0
	.set _ZN7rocprim17ROCPRIM_400000_NS6detail17trampoline_kernelINS0_14default_configENS1_25partition_config_selectorILNS1_17partition_subalgoE6EdNS0_10empty_typeEbEEZZNS1_14partition_implILS5_6ELb0ES3_mN6thrust23THRUST_200600_302600_NS6detail15normal_iteratorINSA_10device_ptrIdEEEEPS6_SG_NS0_5tupleIJSF_S6_EEENSH_IJSG_SG_EEES6_PlJNSB_9not_fun_tINSB_10functional5actorINSM_9compositeIJNSM_27transparent_binary_operatorINSA_8equal_toIvEEEENSN_INSM_8argumentILj0EEEEENSM_5valueIdEEEEEEEEEEEE10hipError_tPvRmT3_T4_T5_T6_T7_T9_mT8_P12ihipStream_tbDpT10_ENKUlT_T0_E_clISt17integral_constantIbLb1EES1J_IbLb0EEEEDaS1F_S1G_EUlS1F_E_NS1_11comp_targetILNS1_3genE5ELNS1_11target_archE942ELNS1_3gpuE9ELNS1_3repE0EEENS1_30default_config_static_selectorELNS0_4arch9wavefront6targetE0EEEvT1_.has_indirect_call, 0
	.section	.AMDGPU.csdata,"",@progbits
; Kernel info:
; codeLenInByte = 0
; TotalNumSgprs: 0
; NumVgprs: 0
; ScratchSize: 0
; MemoryBound: 0
; FloatMode: 240
; IeeeMode: 1
; LDSByteSize: 0 bytes/workgroup (compile time only)
; SGPRBlocks: 0
; VGPRBlocks: 0
; NumSGPRsForWavesPerEU: 1
; NumVGPRsForWavesPerEU: 1
; Occupancy: 16
; WaveLimiterHint : 0
; COMPUTE_PGM_RSRC2:SCRATCH_EN: 0
; COMPUTE_PGM_RSRC2:USER_SGPR: 2
; COMPUTE_PGM_RSRC2:TRAP_HANDLER: 0
; COMPUTE_PGM_RSRC2:TGID_X_EN: 1
; COMPUTE_PGM_RSRC2:TGID_Y_EN: 0
; COMPUTE_PGM_RSRC2:TGID_Z_EN: 0
; COMPUTE_PGM_RSRC2:TIDIG_COMP_CNT: 0
	.section	.text._ZN7rocprim17ROCPRIM_400000_NS6detail17trampoline_kernelINS0_14default_configENS1_25partition_config_selectorILNS1_17partition_subalgoE6EdNS0_10empty_typeEbEEZZNS1_14partition_implILS5_6ELb0ES3_mN6thrust23THRUST_200600_302600_NS6detail15normal_iteratorINSA_10device_ptrIdEEEEPS6_SG_NS0_5tupleIJSF_S6_EEENSH_IJSG_SG_EEES6_PlJNSB_9not_fun_tINSB_10functional5actorINSM_9compositeIJNSM_27transparent_binary_operatorINSA_8equal_toIvEEEENSN_INSM_8argumentILj0EEEEENSM_5valueIdEEEEEEEEEEEE10hipError_tPvRmT3_T4_T5_T6_T7_T9_mT8_P12ihipStream_tbDpT10_ENKUlT_T0_E_clISt17integral_constantIbLb1EES1J_IbLb0EEEEDaS1F_S1G_EUlS1F_E_NS1_11comp_targetILNS1_3genE4ELNS1_11target_archE910ELNS1_3gpuE8ELNS1_3repE0EEENS1_30default_config_static_selectorELNS0_4arch9wavefront6targetE0EEEvT1_,"axG",@progbits,_ZN7rocprim17ROCPRIM_400000_NS6detail17trampoline_kernelINS0_14default_configENS1_25partition_config_selectorILNS1_17partition_subalgoE6EdNS0_10empty_typeEbEEZZNS1_14partition_implILS5_6ELb0ES3_mN6thrust23THRUST_200600_302600_NS6detail15normal_iteratorINSA_10device_ptrIdEEEEPS6_SG_NS0_5tupleIJSF_S6_EEENSH_IJSG_SG_EEES6_PlJNSB_9not_fun_tINSB_10functional5actorINSM_9compositeIJNSM_27transparent_binary_operatorINSA_8equal_toIvEEEENSN_INSM_8argumentILj0EEEEENSM_5valueIdEEEEEEEEEEEE10hipError_tPvRmT3_T4_T5_T6_T7_T9_mT8_P12ihipStream_tbDpT10_ENKUlT_T0_E_clISt17integral_constantIbLb1EES1J_IbLb0EEEEDaS1F_S1G_EUlS1F_E_NS1_11comp_targetILNS1_3genE4ELNS1_11target_archE910ELNS1_3gpuE8ELNS1_3repE0EEENS1_30default_config_static_selectorELNS0_4arch9wavefront6targetE0EEEvT1_,comdat
	.protected	_ZN7rocprim17ROCPRIM_400000_NS6detail17trampoline_kernelINS0_14default_configENS1_25partition_config_selectorILNS1_17partition_subalgoE6EdNS0_10empty_typeEbEEZZNS1_14partition_implILS5_6ELb0ES3_mN6thrust23THRUST_200600_302600_NS6detail15normal_iteratorINSA_10device_ptrIdEEEEPS6_SG_NS0_5tupleIJSF_S6_EEENSH_IJSG_SG_EEES6_PlJNSB_9not_fun_tINSB_10functional5actorINSM_9compositeIJNSM_27transparent_binary_operatorINSA_8equal_toIvEEEENSN_INSM_8argumentILj0EEEEENSM_5valueIdEEEEEEEEEEEE10hipError_tPvRmT3_T4_T5_T6_T7_T9_mT8_P12ihipStream_tbDpT10_ENKUlT_T0_E_clISt17integral_constantIbLb1EES1J_IbLb0EEEEDaS1F_S1G_EUlS1F_E_NS1_11comp_targetILNS1_3genE4ELNS1_11target_archE910ELNS1_3gpuE8ELNS1_3repE0EEENS1_30default_config_static_selectorELNS0_4arch9wavefront6targetE0EEEvT1_ ; -- Begin function _ZN7rocprim17ROCPRIM_400000_NS6detail17trampoline_kernelINS0_14default_configENS1_25partition_config_selectorILNS1_17partition_subalgoE6EdNS0_10empty_typeEbEEZZNS1_14partition_implILS5_6ELb0ES3_mN6thrust23THRUST_200600_302600_NS6detail15normal_iteratorINSA_10device_ptrIdEEEEPS6_SG_NS0_5tupleIJSF_S6_EEENSH_IJSG_SG_EEES6_PlJNSB_9not_fun_tINSB_10functional5actorINSM_9compositeIJNSM_27transparent_binary_operatorINSA_8equal_toIvEEEENSN_INSM_8argumentILj0EEEEENSM_5valueIdEEEEEEEEEEEE10hipError_tPvRmT3_T4_T5_T6_T7_T9_mT8_P12ihipStream_tbDpT10_ENKUlT_T0_E_clISt17integral_constantIbLb1EES1J_IbLb0EEEEDaS1F_S1G_EUlS1F_E_NS1_11comp_targetILNS1_3genE4ELNS1_11target_archE910ELNS1_3gpuE8ELNS1_3repE0EEENS1_30default_config_static_selectorELNS0_4arch9wavefront6targetE0EEEvT1_
	.globl	_ZN7rocprim17ROCPRIM_400000_NS6detail17trampoline_kernelINS0_14default_configENS1_25partition_config_selectorILNS1_17partition_subalgoE6EdNS0_10empty_typeEbEEZZNS1_14partition_implILS5_6ELb0ES3_mN6thrust23THRUST_200600_302600_NS6detail15normal_iteratorINSA_10device_ptrIdEEEEPS6_SG_NS0_5tupleIJSF_S6_EEENSH_IJSG_SG_EEES6_PlJNSB_9not_fun_tINSB_10functional5actorINSM_9compositeIJNSM_27transparent_binary_operatorINSA_8equal_toIvEEEENSN_INSM_8argumentILj0EEEEENSM_5valueIdEEEEEEEEEEEE10hipError_tPvRmT3_T4_T5_T6_T7_T9_mT8_P12ihipStream_tbDpT10_ENKUlT_T0_E_clISt17integral_constantIbLb1EES1J_IbLb0EEEEDaS1F_S1G_EUlS1F_E_NS1_11comp_targetILNS1_3genE4ELNS1_11target_archE910ELNS1_3gpuE8ELNS1_3repE0EEENS1_30default_config_static_selectorELNS0_4arch9wavefront6targetE0EEEvT1_
	.p2align	8
	.type	_ZN7rocprim17ROCPRIM_400000_NS6detail17trampoline_kernelINS0_14default_configENS1_25partition_config_selectorILNS1_17partition_subalgoE6EdNS0_10empty_typeEbEEZZNS1_14partition_implILS5_6ELb0ES3_mN6thrust23THRUST_200600_302600_NS6detail15normal_iteratorINSA_10device_ptrIdEEEEPS6_SG_NS0_5tupleIJSF_S6_EEENSH_IJSG_SG_EEES6_PlJNSB_9not_fun_tINSB_10functional5actorINSM_9compositeIJNSM_27transparent_binary_operatorINSA_8equal_toIvEEEENSN_INSM_8argumentILj0EEEEENSM_5valueIdEEEEEEEEEEEE10hipError_tPvRmT3_T4_T5_T6_T7_T9_mT8_P12ihipStream_tbDpT10_ENKUlT_T0_E_clISt17integral_constantIbLb1EES1J_IbLb0EEEEDaS1F_S1G_EUlS1F_E_NS1_11comp_targetILNS1_3genE4ELNS1_11target_archE910ELNS1_3gpuE8ELNS1_3repE0EEENS1_30default_config_static_selectorELNS0_4arch9wavefront6targetE0EEEvT1_,@function
_ZN7rocprim17ROCPRIM_400000_NS6detail17trampoline_kernelINS0_14default_configENS1_25partition_config_selectorILNS1_17partition_subalgoE6EdNS0_10empty_typeEbEEZZNS1_14partition_implILS5_6ELb0ES3_mN6thrust23THRUST_200600_302600_NS6detail15normal_iteratorINSA_10device_ptrIdEEEEPS6_SG_NS0_5tupleIJSF_S6_EEENSH_IJSG_SG_EEES6_PlJNSB_9not_fun_tINSB_10functional5actorINSM_9compositeIJNSM_27transparent_binary_operatorINSA_8equal_toIvEEEENSN_INSM_8argumentILj0EEEEENSM_5valueIdEEEEEEEEEEEE10hipError_tPvRmT3_T4_T5_T6_T7_T9_mT8_P12ihipStream_tbDpT10_ENKUlT_T0_E_clISt17integral_constantIbLb1EES1J_IbLb0EEEEDaS1F_S1G_EUlS1F_E_NS1_11comp_targetILNS1_3genE4ELNS1_11target_archE910ELNS1_3gpuE8ELNS1_3repE0EEENS1_30default_config_static_selectorELNS0_4arch9wavefront6targetE0EEEvT1_: ; @_ZN7rocprim17ROCPRIM_400000_NS6detail17trampoline_kernelINS0_14default_configENS1_25partition_config_selectorILNS1_17partition_subalgoE6EdNS0_10empty_typeEbEEZZNS1_14partition_implILS5_6ELb0ES3_mN6thrust23THRUST_200600_302600_NS6detail15normal_iteratorINSA_10device_ptrIdEEEEPS6_SG_NS0_5tupleIJSF_S6_EEENSH_IJSG_SG_EEES6_PlJNSB_9not_fun_tINSB_10functional5actorINSM_9compositeIJNSM_27transparent_binary_operatorINSA_8equal_toIvEEEENSN_INSM_8argumentILj0EEEEENSM_5valueIdEEEEEEEEEEEE10hipError_tPvRmT3_T4_T5_T6_T7_T9_mT8_P12ihipStream_tbDpT10_ENKUlT_T0_E_clISt17integral_constantIbLb1EES1J_IbLb0EEEEDaS1F_S1G_EUlS1F_E_NS1_11comp_targetILNS1_3genE4ELNS1_11target_archE910ELNS1_3gpuE8ELNS1_3repE0EEENS1_30default_config_static_selectorELNS0_4arch9wavefront6targetE0EEEvT1_
; %bb.0:
	.section	.rodata,"a",@progbits
	.p2align	6, 0x0
	.amdhsa_kernel _ZN7rocprim17ROCPRIM_400000_NS6detail17trampoline_kernelINS0_14default_configENS1_25partition_config_selectorILNS1_17partition_subalgoE6EdNS0_10empty_typeEbEEZZNS1_14partition_implILS5_6ELb0ES3_mN6thrust23THRUST_200600_302600_NS6detail15normal_iteratorINSA_10device_ptrIdEEEEPS6_SG_NS0_5tupleIJSF_S6_EEENSH_IJSG_SG_EEES6_PlJNSB_9not_fun_tINSB_10functional5actorINSM_9compositeIJNSM_27transparent_binary_operatorINSA_8equal_toIvEEEENSN_INSM_8argumentILj0EEEEENSM_5valueIdEEEEEEEEEEEE10hipError_tPvRmT3_T4_T5_T6_T7_T9_mT8_P12ihipStream_tbDpT10_ENKUlT_T0_E_clISt17integral_constantIbLb1EES1J_IbLb0EEEEDaS1F_S1G_EUlS1F_E_NS1_11comp_targetILNS1_3genE4ELNS1_11target_archE910ELNS1_3gpuE8ELNS1_3repE0EEENS1_30default_config_static_selectorELNS0_4arch9wavefront6targetE0EEEvT1_
		.amdhsa_group_segment_fixed_size 0
		.amdhsa_private_segment_fixed_size 0
		.amdhsa_kernarg_size 128
		.amdhsa_user_sgpr_count 2
		.amdhsa_user_sgpr_dispatch_ptr 0
		.amdhsa_user_sgpr_queue_ptr 0
		.amdhsa_user_sgpr_kernarg_segment_ptr 1
		.amdhsa_user_sgpr_dispatch_id 0
		.amdhsa_user_sgpr_private_segment_size 0
		.amdhsa_wavefront_size32 1
		.amdhsa_uses_dynamic_stack 0
		.amdhsa_enable_private_segment 0
		.amdhsa_system_sgpr_workgroup_id_x 1
		.amdhsa_system_sgpr_workgroup_id_y 0
		.amdhsa_system_sgpr_workgroup_id_z 0
		.amdhsa_system_sgpr_workgroup_info 0
		.amdhsa_system_vgpr_workitem_id 0
		.amdhsa_next_free_vgpr 1
		.amdhsa_next_free_sgpr 1
		.amdhsa_reserve_vcc 0
		.amdhsa_float_round_mode_32 0
		.amdhsa_float_round_mode_16_64 0
		.amdhsa_float_denorm_mode_32 3
		.amdhsa_float_denorm_mode_16_64 3
		.amdhsa_fp16_overflow 0
		.amdhsa_workgroup_processor_mode 1
		.amdhsa_memory_ordered 1
		.amdhsa_forward_progress 1
		.amdhsa_inst_pref_size 0
		.amdhsa_round_robin_scheduling 0
		.amdhsa_exception_fp_ieee_invalid_op 0
		.amdhsa_exception_fp_denorm_src 0
		.amdhsa_exception_fp_ieee_div_zero 0
		.amdhsa_exception_fp_ieee_overflow 0
		.amdhsa_exception_fp_ieee_underflow 0
		.amdhsa_exception_fp_ieee_inexact 0
		.amdhsa_exception_int_div_zero 0
	.end_amdhsa_kernel
	.section	.text._ZN7rocprim17ROCPRIM_400000_NS6detail17trampoline_kernelINS0_14default_configENS1_25partition_config_selectorILNS1_17partition_subalgoE6EdNS0_10empty_typeEbEEZZNS1_14partition_implILS5_6ELb0ES3_mN6thrust23THRUST_200600_302600_NS6detail15normal_iteratorINSA_10device_ptrIdEEEEPS6_SG_NS0_5tupleIJSF_S6_EEENSH_IJSG_SG_EEES6_PlJNSB_9not_fun_tINSB_10functional5actorINSM_9compositeIJNSM_27transparent_binary_operatorINSA_8equal_toIvEEEENSN_INSM_8argumentILj0EEEEENSM_5valueIdEEEEEEEEEEEE10hipError_tPvRmT3_T4_T5_T6_T7_T9_mT8_P12ihipStream_tbDpT10_ENKUlT_T0_E_clISt17integral_constantIbLb1EES1J_IbLb0EEEEDaS1F_S1G_EUlS1F_E_NS1_11comp_targetILNS1_3genE4ELNS1_11target_archE910ELNS1_3gpuE8ELNS1_3repE0EEENS1_30default_config_static_selectorELNS0_4arch9wavefront6targetE0EEEvT1_,"axG",@progbits,_ZN7rocprim17ROCPRIM_400000_NS6detail17trampoline_kernelINS0_14default_configENS1_25partition_config_selectorILNS1_17partition_subalgoE6EdNS0_10empty_typeEbEEZZNS1_14partition_implILS5_6ELb0ES3_mN6thrust23THRUST_200600_302600_NS6detail15normal_iteratorINSA_10device_ptrIdEEEEPS6_SG_NS0_5tupleIJSF_S6_EEENSH_IJSG_SG_EEES6_PlJNSB_9not_fun_tINSB_10functional5actorINSM_9compositeIJNSM_27transparent_binary_operatorINSA_8equal_toIvEEEENSN_INSM_8argumentILj0EEEEENSM_5valueIdEEEEEEEEEEEE10hipError_tPvRmT3_T4_T5_T6_T7_T9_mT8_P12ihipStream_tbDpT10_ENKUlT_T0_E_clISt17integral_constantIbLb1EES1J_IbLb0EEEEDaS1F_S1G_EUlS1F_E_NS1_11comp_targetILNS1_3genE4ELNS1_11target_archE910ELNS1_3gpuE8ELNS1_3repE0EEENS1_30default_config_static_selectorELNS0_4arch9wavefront6targetE0EEEvT1_,comdat
.Lfunc_end31:
	.size	_ZN7rocprim17ROCPRIM_400000_NS6detail17trampoline_kernelINS0_14default_configENS1_25partition_config_selectorILNS1_17partition_subalgoE6EdNS0_10empty_typeEbEEZZNS1_14partition_implILS5_6ELb0ES3_mN6thrust23THRUST_200600_302600_NS6detail15normal_iteratorINSA_10device_ptrIdEEEEPS6_SG_NS0_5tupleIJSF_S6_EEENSH_IJSG_SG_EEES6_PlJNSB_9not_fun_tINSB_10functional5actorINSM_9compositeIJNSM_27transparent_binary_operatorINSA_8equal_toIvEEEENSN_INSM_8argumentILj0EEEEENSM_5valueIdEEEEEEEEEEEE10hipError_tPvRmT3_T4_T5_T6_T7_T9_mT8_P12ihipStream_tbDpT10_ENKUlT_T0_E_clISt17integral_constantIbLb1EES1J_IbLb0EEEEDaS1F_S1G_EUlS1F_E_NS1_11comp_targetILNS1_3genE4ELNS1_11target_archE910ELNS1_3gpuE8ELNS1_3repE0EEENS1_30default_config_static_selectorELNS0_4arch9wavefront6targetE0EEEvT1_, .Lfunc_end31-_ZN7rocprim17ROCPRIM_400000_NS6detail17trampoline_kernelINS0_14default_configENS1_25partition_config_selectorILNS1_17partition_subalgoE6EdNS0_10empty_typeEbEEZZNS1_14partition_implILS5_6ELb0ES3_mN6thrust23THRUST_200600_302600_NS6detail15normal_iteratorINSA_10device_ptrIdEEEEPS6_SG_NS0_5tupleIJSF_S6_EEENSH_IJSG_SG_EEES6_PlJNSB_9not_fun_tINSB_10functional5actorINSM_9compositeIJNSM_27transparent_binary_operatorINSA_8equal_toIvEEEENSN_INSM_8argumentILj0EEEEENSM_5valueIdEEEEEEEEEEEE10hipError_tPvRmT3_T4_T5_T6_T7_T9_mT8_P12ihipStream_tbDpT10_ENKUlT_T0_E_clISt17integral_constantIbLb1EES1J_IbLb0EEEEDaS1F_S1G_EUlS1F_E_NS1_11comp_targetILNS1_3genE4ELNS1_11target_archE910ELNS1_3gpuE8ELNS1_3repE0EEENS1_30default_config_static_selectorELNS0_4arch9wavefront6targetE0EEEvT1_
                                        ; -- End function
	.set _ZN7rocprim17ROCPRIM_400000_NS6detail17trampoline_kernelINS0_14default_configENS1_25partition_config_selectorILNS1_17partition_subalgoE6EdNS0_10empty_typeEbEEZZNS1_14partition_implILS5_6ELb0ES3_mN6thrust23THRUST_200600_302600_NS6detail15normal_iteratorINSA_10device_ptrIdEEEEPS6_SG_NS0_5tupleIJSF_S6_EEENSH_IJSG_SG_EEES6_PlJNSB_9not_fun_tINSB_10functional5actorINSM_9compositeIJNSM_27transparent_binary_operatorINSA_8equal_toIvEEEENSN_INSM_8argumentILj0EEEEENSM_5valueIdEEEEEEEEEEEE10hipError_tPvRmT3_T4_T5_T6_T7_T9_mT8_P12ihipStream_tbDpT10_ENKUlT_T0_E_clISt17integral_constantIbLb1EES1J_IbLb0EEEEDaS1F_S1G_EUlS1F_E_NS1_11comp_targetILNS1_3genE4ELNS1_11target_archE910ELNS1_3gpuE8ELNS1_3repE0EEENS1_30default_config_static_selectorELNS0_4arch9wavefront6targetE0EEEvT1_.num_vgpr, 0
	.set _ZN7rocprim17ROCPRIM_400000_NS6detail17trampoline_kernelINS0_14default_configENS1_25partition_config_selectorILNS1_17partition_subalgoE6EdNS0_10empty_typeEbEEZZNS1_14partition_implILS5_6ELb0ES3_mN6thrust23THRUST_200600_302600_NS6detail15normal_iteratorINSA_10device_ptrIdEEEEPS6_SG_NS0_5tupleIJSF_S6_EEENSH_IJSG_SG_EEES6_PlJNSB_9not_fun_tINSB_10functional5actorINSM_9compositeIJNSM_27transparent_binary_operatorINSA_8equal_toIvEEEENSN_INSM_8argumentILj0EEEEENSM_5valueIdEEEEEEEEEEEE10hipError_tPvRmT3_T4_T5_T6_T7_T9_mT8_P12ihipStream_tbDpT10_ENKUlT_T0_E_clISt17integral_constantIbLb1EES1J_IbLb0EEEEDaS1F_S1G_EUlS1F_E_NS1_11comp_targetILNS1_3genE4ELNS1_11target_archE910ELNS1_3gpuE8ELNS1_3repE0EEENS1_30default_config_static_selectorELNS0_4arch9wavefront6targetE0EEEvT1_.num_agpr, 0
	.set _ZN7rocprim17ROCPRIM_400000_NS6detail17trampoline_kernelINS0_14default_configENS1_25partition_config_selectorILNS1_17partition_subalgoE6EdNS0_10empty_typeEbEEZZNS1_14partition_implILS5_6ELb0ES3_mN6thrust23THRUST_200600_302600_NS6detail15normal_iteratorINSA_10device_ptrIdEEEEPS6_SG_NS0_5tupleIJSF_S6_EEENSH_IJSG_SG_EEES6_PlJNSB_9not_fun_tINSB_10functional5actorINSM_9compositeIJNSM_27transparent_binary_operatorINSA_8equal_toIvEEEENSN_INSM_8argumentILj0EEEEENSM_5valueIdEEEEEEEEEEEE10hipError_tPvRmT3_T4_T5_T6_T7_T9_mT8_P12ihipStream_tbDpT10_ENKUlT_T0_E_clISt17integral_constantIbLb1EES1J_IbLb0EEEEDaS1F_S1G_EUlS1F_E_NS1_11comp_targetILNS1_3genE4ELNS1_11target_archE910ELNS1_3gpuE8ELNS1_3repE0EEENS1_30default_config_static_selectorELNS0_4arch9wavefront6targetE0EEEvT1_.numbered_sgpr, 0
	.set _ZN7rocprim17ROCPRIM_400000_NS6detail17trampoline_kernelINS0_14default_configENS1_25partition_config_selectorILNS1_17partition_subalgoE6EdNS0_10empty_typeEbEEZZNS1_14partition_implILS5_6ELb0ES3_mN6thrust23THRUST_200600_302600_NS6detail15normal_iteratorINSA_10device_ptrIdEEEEPS6_SG_NS0_5tupleIJSF_S6_EEENSH_IJSG_SG_EEES6_PlJNSB_9not_fun_tINSB_10functional5actorINSM_9compositeIJNSM_27transparent_binary_operatorINSA_8equal_toIvEEEENSN_INSM_8argumentILj0EEEEENSM_5valueIdEEEEEEEEEEEE10hipError_tPvRmT3_T4_T5_T6_T7_T9_mT8_P12ihipStream_tbDpT10_ENKUlT_T0_E_clISt17integral_constantIbLb1EES1J_IbLb0EEEEDaS1F_S1G_EUlS1F_E_NS1_11comp_targetILNS1_3genE4ELNS1_11target_archE910ELNS1_3gpuE8ELNS1_3repE0EEENS1_30default_config_static_selectorELNS0_4arch9wavefront6targetE0EEEvT1_.num_named_barrier, 0
	.set _ZN7rocprim17ROCPRIM_400000_NS6detail17trampoline_kernelINS0_14default_configENS1_25partition_config_selectorILNS1_17partition_subalgoE6EdNS0_10empty_typeEbEEZZNS1_14partition_implILS5_6ELb0ES3_mN6thrust23THRUST_200600_302600_NS6detail15normal_iteratorINSA_10device_ptrIdEEEEPS6_SG_NS0_5tupleIJSF_S6_EEENSH_IJSG_SG_EEES6_PlJNSB_9not_fun_tINSB_10functional5actorINSM_9compositeIJNSM_27transparent_binary_operatorINSA_8equal_toIvEEEENSN_INSM_8argumentILj0EEEEENSM_5valueIdEEEEEEEEEEEE10hipError_tPvRmT3_T4_T5_T6_T7_T9_mT8_P12ihipStream_tbDpT10_ENKUlT_T0_E_clISt17integral_constantIbLb1EES1J_IbLb0EEEEDaS1F_S1G_EUlS1F_E_NS1_11comp_targetILNS1_3genE4ELNS1_11target_archE910ELNS1_3gpuE8ELNS1_3repE0EEENS1_30default_config_static_selectorELNS0_4arch9wavefront6targetE0EEEvT1_.private_seg_size, 0
	.set _ZN7rocprim17ROCPRIM_400000_NS6detail17trampoline_kernelINS0_14default_configENS1_25partition_config_selectorILNS1_17partition_subalgoE6EdNS0_10empty_typeEbEEZZNS1_14partition_implILS5_6ELb0ES3_mN6thrust23THRUST_200600_302600_NS6detail15normal_iteratorINSA_10device_ptrIdEEEEPS6_SG_NS0_5tupleIJSF_S6_EEENSH_IJSG_SG_EEES6_PlJNSB_9not_fun_tINSB_10functional5actorINSM_9compositeIJNSM_27transparent_binary_operatorINSA_8equal_toIvEEEENSN_INSM_8argumentILj0EEEEENSM_5valueIdEEEEEEEEEEEE10hipError_tPvRmT3_T4_T5_T6_T7_T9_mT8_P12ihipStream_tbDpT10_ENKUlT_T0_E_clISt17integral_constantIbLb1EES1J_IbLb0EEEEDaS1F_S1G_EUlS1F_E_NS1_11comp_targetILNS1_3genE4ELNS1_11target_archE910ELNS1_3gpuE8ELNS1_3repE0EEENS1_30default_config_static_selectorELNS0_4arch9wavefront6targetE0EEEvT1_.uses_vcc, 0
	.set _ZN7rocprim17ROCPRIM_400000_NS6detail17trampoline_kernelINS0_14default_configENS1_25partition_config_selectorILNS1_17partition_subalgoE6EdNS0_10empty_typeEbEEZZNS1_14partition_implILS5_6ELb0ES3_mN6thrust23THRUST_200600_302600_NS6detail15normal_iteratorINSA_10device_ptrIdEEEEPS6_SG_NS0_5tupleIJSF_S6_EEENSH_IJSG_SG_EEES6_PlJNSB_9not_fun_tINSB_10functional5actorINSM_9compositeIJNSM_27transparent_binary_operatorINSA_8equal_toIvEEEENSN_INSM_8argumentILj0EEEEENSM_5valueIdEEEEEEEEEEEE10hipError_tPvRmT3_T4_T5_T6_T7_T9_mT8_P12ihipStream_tbDpT10_ENKUlT_T0_E_clISt17integral_constantIbLb1EES1J_IbLb0EEEEDaS1F_S1G_EUlS1F_E_NS1_11comp_targetILNS1_3genE4ELNS1_11target_archE910ELNS1_3gpuE8ELNS1_3repE0EEENS1_30default_config_static_selectorELNS0_4arch9wavefront6targetE0EEEvT1_.uses_flat_scratch, 0
	.set _ZN7rocprim17ROCPRIM_400000_NS6detail17trampoline_kernelINS0_14default_configENS1_25partition_config_selectorILNS1_17partition_subalgoE6EdNS0_10empty_typeEbEEZZNS1_14partition_implILS5_6ELb0ES3_mN6thrust23THRUST_200600_302600_NS6detail15normal_iteratorINSA_10device_ptrIdEEEEPS6_SG_NS0_5tupleIJSF_S6_EEENSH_IJSG_SG_EEES6_PlJNSB_9not_fun_tINSB_10functional5actorINSM_9compositeIJNSM_27transparent_binary_operatorINSA_8equal_toIvEEEENSN_INSM_8argumentILj0EEEEENSM_5valueIdEEEEEEEEEEEE10hipError_tPvRmT3_T4_T5_T6_T7_T9_mT8_P12ihipStream_tbDpT10_ENKUlT_T0_E_clISt17integral_constantIbLb1EES1J_IbLb0EEEEDaS1F_S1G_EUlS1F_E_NS1_11comp_targetILNS1_3genE4ELNS1_11target_archE910ELNS1_3gpuE8ELNS1_3repE0EEENS1_30default_config_static_selectorELNS0_4arch9wavefront6targetE0EEEvT1_.has_dyn_sized_stack, 0
	.set _ZN7rocprim17ROCPRIM_400000_NS6detail17trampoline_kernelINS0_14default_configENS1_25partition_config_selectorILNS1_17partition_subalgoE6EdNS0_10empty_typeEbEEZZNS1_14partition_implILS5_6ELb0ES3_mN6thrust23THRUST_200600_302600_NS6detail15normal_iteratorINSA_10device_ptrIdEEEEPS6_SG_NS0_5tupleIJSF_S6_EEENSH_IJSG_SG_EEES6_PlJNSB_9not_fun_tINSB_10functional5actorINSM_9compositeIJNSM_27transparent_binary_operatorINSA_8equal_toIvEEEENSN_INSM_8argumentILj0EEEEENSM_5valueIdEEEEEEEEEEEE10hipError_tPvRmT3_T4_T5_T6_T7_T9_mT8_P12ihipStream_tbDpT10_ENKUlT_T0_E_clISt17integral_constantIbLb1EES1J_IbLb0EEEEDaS1F_S1G_EUlS1F_E_NS1_11comp_targetILNS1_3genE4ELNS1_11target_archE910ELNS1_3gpuE8ELNS1_3repE0EEENS1_30default_config_static_selectorELNS0_4arch9wavefront6targetE0EEEvT1_.has_recursion, 0
	.set _ZN7rocprim17ROCPRIM_400000_NS6detail17trampoline_kernelINS0_14default_configENS1_25partition_config_selectorILNS1_17partition_subalgoE6EdNS0_10empty_typeEbEEZZNS1_14partition_implILS5_6ELb0ES3_mN6thrust23THRUST_200600_302600_NS6detail15normal_iteratorINSA_10device_ptrIdEEEEPS6_SG_NS0_5tupleIJSF_S6_EEENSH_IJSG_SG_EEES6_PlJNSB_9not_fun_tINSB_10functional5actorINSM_9compositeIJNSM_27transparent_binary_operatorINSA_8equal_toIvEEEENSN_INSM_8argumentILj0EEEEENSM_5valueIdEEEEEEEEEEEE10hipError_tPvRmT3_T4_T5_T6_T7_T9_mT8_P12ihipStream_tbDpT10_ENKUlT_T0_E_clISt17integral_constantIbLb1EES1J_IbLb0EEEEDaS1F_S1G_EUlS1F_E_NS1_11comp_targetILNS1_3genE4ELNS1_11target_archE910ELNS1_3gpuE8ELNS1_3repE0EEENS1_30default_config_static_selectorELNS0_4arch9wavefront6targetE0EEEvT1_.has_indirect_call, 0
	.section	.AMDGPU.csdata,"",@progbits
; Kernel info:
; codeLenInByte = 0
; TotalNumSgprs: 0
; NumVgprs: 0
; ScratchSize: 0
; MemoryBound: 0
; FloatMode: 240
; IeeeMode: 1
; LDSByteSize: 0 bytes/workgroup (compile time only)
; SGPRBlocks: 0
; VGPRBlocks: 0
; NumSGPRsForWavesPerEU: 1
; NumVGPRsForWavesPerEU: 1
; Occupancy: 16
; WaveLimiterHint : 0
; COMPUTE_PGM_RSRC2:SCRATCH_EN: 0
; COMPUTE_PGM_RSRC2:USER_SGPR: 2
; COMPUTE_PGM_RSRC2:TRAP_HANDLER: 0
; COMPUTE_PGM_RSRC2:TGID_X_EN: 1
; COMPUTE_PGM_RSRC2:TGID_Y_EN: 0
; COMPUTE_PGM_RSRC2:TGID_Z_EN: 0
; COMPUTE_PGM_RSRC2:TIDIG_COMP_CNT: 0
	.section	.text._ZN7rocprim17ROCPRIM_400000_NS6detail17trampoline_kernelINS0_14default_configENS1_25partition_config_selectorILNS1_17partition_subalgoE6EdNS0_10empty_typeEbEEZZNS1_14partition_implILS5_6ELb0ES3_mN6thrust23THRUST_200600_302600_NS6detail15normal_iteratorINSA_10device_ptrIdEEEEPS6_SG_NS0_5tupleIJSF_S6_EEENSH_IJSG_SG_EEES6_PlJNSB_9not_fun_tINSB_10functional5actorINSM_9compositeIJNSM_27transparent_binary_operatorINSA_8equal_toIvEEEENSN_INSM_8argumentILj0EEEEENSM_5valueIdEEEEEEEEEEEE10hipError_tPvRmT3_T4_T5_T6_T7_T9_mT8_P12ihipStream_tbDpT10_ENKUlT_T0_E_clISt17integral_constantIbLb1EES1J_IbLb0EEEEDaS1F_S1G_EUlS1F_E_NS1_11comp_targetILNS1_3genE3ELNS1_11target_archE908ELNS1_3gpuE7ELNS1_3repE0EEENS1_30default_config_static_selectorELNS0_4arch9wavefront6targetE0EEEvT1_,"axG",@progbits,_ZN7rocprim17ROCPRIM_400000_NS6detail17trampoline_kernelINS0_14default_configENS1_25partition_config_selectorILNS1_17partition_subalgoE6EdNS0_10empty_typeEbEEZZNS1_14partition_implILS5_6ELb0ES3_mN6thrust23THRUST_200600_302600_NS6detail15normal_iteratorINSA_10device_ptrIdEEEEPS6_SG_NS0_5tupleIJSF_S6_EEENSH_IJSG_SG_EEES6_PlJNSB_9not_fun_tINSB_10functional5actorINSM_9compositeIJNSM_27transparent_binary_operatorINSA_8equal_toIvEEEENSN_INSM_8argumentILj0EEEEENSM_5valueIdEEEEEEEEEEEE10hipError_tPvRmT3_T4_T5_T6_T7_T9_mT8_P12ihipStream_tbDpT10_ENKUlT_T0_E_clISt17integral_constantIbLb1EES1J_IbLb0EEEEDaS1F_S1G_EUlS1F_E_NS1_11comp_targetILNS1_3genE3ELNS1_11target_archE908ELNS1_3gpuE7ELNS1_3repE0EEENS1_30default_config_static_selectorELNS0_4arch9wavefront6targetE0EEEvT1_,comdat
	.protected	_ZN7rocprim17ROCPRIM_400000_NS6detail17trampoline_kernelINS0_14default_configENS1_25partition_config_selectorILNS1_17partition_subalgoE6EdNS0_10empty_typeEbEEZZNS1_14partition_implILS5_6ELb0ES3_mN6thrust23THRUST_200600_302600_NS6detail15normal_iteratorINSA_10device_ptrIdEEEEPS6_SG_NS0_5tupleIJSF_S6_EEENSH_IJSG_SG_EEES6_PlJNSB_9not_fun_tINSB_10functional5actorINSM_9compositeIJNSM_27transparent_binary_operatorINSA_8equal_toIvEEEENSN_INSM_8argumentILj0EEEEENSM_5valueIdEEEEEEEEEEEE10hipError_tPvRmT3_T4_T5_T6_T7_T9_mT8_P12ihipStream_tbDpT10_ENKUlT_T0_E_clISt17integral_constantIbLb1EES1J_IbLb0EEEEDaS1F_S1G_EUlS1F_E_NS1_11comp_targetILNS1_3genE3ELNS1_11target_archE908ELNS1_3gpuE7ELNS1_3repE0EEENS1_30default_config_static_selectorELNS0_4arch9wavefront6targetE0EEEvT1_ ; -- Begin function _ZN7rocprim17ROCPRIM_400000_NS6detail17trampoline_kernelINS0_14default_configENS1_25partition_config_selectorILNS1_17partition_subalgoE6EdNS0_10empty_typeEbEEZZNS1_14partition_implILS5_6ELb0ES3_mN6thrust23THRUST_200600_302600_NS6detail15normal_iteratorINSA_10device_ptrIdEEEEPS6_SG_NS0_5tupleIJSF_S6_EEENSH_IJSG_SG_EEES6_PlJNSB_9not_fun_tINSB_10functional5actorINSM_9compositeIJNSM_27transparent_binary_operatorINSA_8equal_toIvEEEENSN_INSM_8argumentILj0EEEEENSM_5valueIdEEEEEEEEEEEE10hipError_tPvRmT3_T4_T5_T6_T7_T9_mT8_P12ihipStream_tbDpT10_ENKUlT_T0_E_clISt17integral_constantIbLb1EES1J_IbLb0EEEEDaS1F_S1G_EUlS1F_E_NS1_11comp_targetILNS1_3genE3ELNS1_11target_archE908ELNS1_3gpuE7ELNS1_3repE0EEENS1_30default_config_static_selectorELNS0_4arch9wavefront6targetE0EEEvT1_
	.globl	_ZN7rocprim17ROCPRIM_400000_NS6detail17trampoline_kernelINS0_14default_configENS1_25partition_config_selectorILNS1_17partition_subalgoE6EdNS0_10empty_typeEbEEZZNS1_14partition_implILS5_6ELb0ES3_mN6thrust23THRUST_200600_302600_NS6detail15normal_iteratorINSA_10device_ptrIdEEEEPS6_SG_NS0_5tupleIJSF_S6_EEENSH_IJSG_SG_EEES6_PlJNSB_9not_fun_tINSB_10functional5actorINSM_9compositeIJNSM_27transparent_binary_operatorINSA_8equal_toIvEEEENSN_INSM_8argumentILj0EEEEENSM_5valueIdEEEEEEEEEEEE10hipError_tPvRmT3_T4_T5_T6_T7_T9_mT8_P12ihipStream_tbDpT10_ENKUlT_T0_E_clISt17integral_constantIbLb1EES1J_IbLb0EEEEDaS1F_S1G_EUlS1F_E_NS1_11comp_targetILNS1_3genE3ELNS1_11target_archE908ELNS1_3gpuE7ELNS1_3repE0EEENS1_30default_config_static_selectorELNS0_4arch9wavefront6targetE0EEEvT1_
	.p2align	8
	.type	_ZN7rocprim17ROCPRIM_400000_NS6detail17trampoline_kernelINS0_14default_configENS1_25partition_config_selectorILNS1_17partition_subalgoE6EdNS0_10empty_typeEbEEZZNS1_14partition_implILS5_6ELb0ES3_mN6thrust23THRUST_200600_302600_NS6detail15normal_iteratorINSA_10device_ptrIdEEEEPS6_SG_NS0_5tupleIJSF_S6_EEENSH_IJSG_SG_EEES6_PlJNSB_9not_fun_tINSB_10functional5actorINSM_9compositeIJNSM_27transparent_binary_operatorINSA_8equal_toIvEEEENSN_INSM_8argumentILj0EEEEENSM_5valueIdEEEEEEEEEEEE10hipError_tPvRmT3_T4_T5_T6_T7_T9_mT8_P12ihipStream_tbDpT10_ENKUlT_T0_E_clISt17integral_constantIbLb1EES1J_IbLb0EEEEDaS1F_S1G_EUlS1F_E_NS1_11comp_targetILNS1_3genE3ELNS1_11target_archE908ELNS1_3gpuE7ELNS1_3repE0EEENS1_30default_config_static_selectorELNS0_4arch9wavefront6targetE0EEEvT1_,@function
_ZN7rocprim17ROCPRIM_400000_NS6detail17trampoline_kernelINS0_14default_configENS1_25partition_config_selectorILNS1_17partition_subalgoE6EdNS0_10empty_typeEbEEZZNS1_14partition_implILS5_6ELb0ES3_mN6thrust23THRUST_200600_302600_NS6detail15normal_iteratorINSA_10device_ptrIdEEEEPS6_SG_NS0_5tupleIJSF_S6_EEENSH_IJSG_SG_EEES6_PlJNSB_9not_fun_tINSB_10functional5actorINSM_9compositeIJNSM_27transparent_binary_operatorINSA_8equal_toIvEEEENSN_INSM_8argumentILj0EEEEENSM_5valueIdEEEEEEEEEEEE10hipError_tPvRmT3_T4_T5_T6_T7_T9_mT8_P12ihipStream_tbDpT10_ENKUlT_T0_E_clISt17integral_constantIbLb1EES1J_IbLb0EEEEDaS1F_S1G_EUlS1F_E_NS1_11comp_targetILNS1_3genE3ELNS1_11target_archE908ELNS1_3gpuE7ELNS1_3repE0EEENS1_30default_config_static_selectorELNS0_4arch9wavefront6targetE0EEEvT1_: ; @_ZN7rocprim17ROCPRIM_400000_NS6detail17trampoline_kernelINS0_14default_configENS1_25partition_config_selectorILNS1_17partition_subalgoE6EdNS0_10empty_typeEbEEZZNS1_14partition_implILS5_6ELb0ES3_mN6thrust23THRUST_200600_302600_NS6detail15normal_iteratorINSA_10device_ptrIdEEEEPS6_SG_NS0_5tupleIJSF_S6_EEENSH_IJSG_SG_EEES6_PlJNSB_9not_fun_tINSB_10functional5actorINSM_9compositeIJNSM_27transparent_binary_operatorINSA_8equal_toIvEEEENSN_INSM_8argumentILj0EEEEENSM_5valueIdEEEEEEEEEEEE10hipError_tPvRmT3_T4_T5_T6_T7_T9_mT8_P12ihipStream_tbDpT10_ENKUlT_T0_E_clISt17integral_constantIbLb1EES1J_IbLb0EEEEDaS1F_S1G_EUlS1F_E_NS1_11comp_targetILNS1_3genE3ELNS1_11target_archE908ELNS1_3gpuE7ELNS1_3repE0EEENS1_30default_config_static_selectorELNS0_4arch9wavefront6targetE0EEEvT1_
; %bb.0:
	.section	.rodata,"a",@progbits
	.p2align	6, 0x0
	.amdhsa_kernel _ZN7rocprim17ROCPRIM_400000_NS6detail17trampoline_kernelINS0_14default_configENS1_25partition_config_selectorILNS1_17partition_subalgoE6EdNS0_10empty_typeEbEEZZNS1_14partition_implILS5_6ELb0ES3_mN6thrust23THRUST_200600_302600_NS6detail15normal_iteratorINSA_10device_ptrIdEEEEPS6_SG_NS0_5tupleIJSF_S6_EEENSH_IJSG_SG_EEES6_PlJNSB_9not_fun_tINSB_10functional5actorINSM_9compositeIJNSM_27transparent_binary_operatorINSA_8equal_toIvEEEENSN_INSM_8argumentILj0EEEEENSM_5valueIdEEEEEEEEEEEE10hipError_tPvRmT3_T4_T5_T6_T7_T9_mT8_P12ihipStream_tbDpT10_ENKUlT_T0_E_clISt17integral_constantIbLb1EES1J_IbLb0EEEEDaS1F_S1G_EUlS1F_E_NS1_11comp_targetILNS1_3genE3ELNS1_11target_archE908ELNS1_3gpuE7ELNS1_3repE0EEENS1_30default_config_static_selectorELNS0_4arch9wavefront6targetE0EEEvT1_
		.amdhsa_group_segment_fixed_size 0
		.amdhsa_private_segment_fixed_size 0
		.amdhsa_kernarg_size 128
		.amdhsa_user_sgpr_count 2
		.amdhsa_user_sgpr_dispatch_ptr 0
		.amdhsa_user_sgpr_queue_ptr 0
		.amdhsa_user_sgpr_kernarg_segment_ptr 1
		.amdhsa_user_sgpr_dispatch_id 0
		.amdhsa_user_sgpr_private_segment_size 0
		.amdhsa_wavefront_size32 1
		.amdhsa_uses_dynamic_stack 0
		.amdhsa_enable_private_segment 0
		.amdhsa_system_sgpr_workgroup_id_x 1
		.amdhsa_system_sgpr_workgroup_id_y 0
		.amdhsa_system_sgpr_workgroup_id_z 0
		.amdhsa_system_sgpr_workgroup_info 0
		.amdhsa_system_vgpr_workitem_id 0
		.amdhsa_next_free_vgpr 1
		.amdhsa_next_free_sgpr 1
		.amdhsa_reserve_vcc 0
		.amdhsa_float_round_mode_32 0
		.amdhsa_float_round_mode_16_64 0
		.amdhsa_float_denorm_mode_32 3
		.amdhsa_float_denorm_mode_16_64 3
		.amdhsa_fp16_overflow 0
		.amdhsa_workgroup_processor_mode 1
		.amdhsa_memory_ordered 1
		.amdhsa_forward_progress 1
		.amdhsa_inst_pref_size 0
		.amdhsa_round_robin_scheduling 0
		.amdhsa_exception_fp_ieee_invalid_op 0
		.amdhsa_exception_fp_denorm_src 0
		.amdhsa_exception_fp_ieee_div_zero 0
		.amdhsa_exception_fp_ieee_overflow 0
		.amdhsa_exception_fp_ieee_underflow 0
		.amdhsa_exception_fp_ieee_inexact 0
		.amdhsa_exception_int_div_zero 0
	.end_amdhsa_kernel
	.section	.text._ZN7rocprim17ROCPRIM_400000_NS6detail17trampoline_kernelINS0_14default_configENS1_25partition_config_selectorILNS1_17partition_subalgoE6EdNS0_10empty_typeEbEEZZNS1_14partition_implILS5_6ELb0ES3_mN6thrust23THRUST_200600_302600_NS6detail15normal_iteratorINSA_10device_ptrIdEEEEPS6_SG_NS0_5tupleIJSF_S6_EEENSH_IJSG_SG_EEES6_PlJNSB_9not_fun_tINSB_10functional5actorINSM_9compositeIJNSM_27transparent_binary_operatorINSA_8equal_toIvEEEENSN_INSM_8argumentILj0EEEEENSM_5valueIdEEEEEEEEEEEE10hipError_tPvRmT3_T4_T5_T6_T7_T9_mT8_P12ihipStream_tbDpT10_ENKUlT_T0_E_clISt17integral_constantIbLb1EES1J_IbLb0EEEEDaS1F_S1G_EUlS1F_E_NS1_11comp_targetILNS1_3genE3ELNS1_11target_archE908ELNS1_3gpuE7ELNS1_3repE0EEENS1_30default_config_static_selectorELNS0_4arch9wavefront6targetE0EEEvT1_,"axG",@progbits,_ZN7rocprim17ROCPRIM_400000_NS6detail17trampoline_kernelINS0_14default_configENS1_25partition_config_selectorILNS1_17partition_subalgoE6EdNS0_10empty_typeEbEEZZNS1_14partition_implILS5_6ELb0ES3_mN6thrust23THRUST_200600_302600_NS6detail15normal_iteratorINSA_10device_ptrIdEEEEPS6_SG_NS0_5tupleIJSF_S6_EEENSH_IJSG_SG_EEES6_PlJNSB_9not_fun_tINSB_10functional5actorINSM_9compositeIJNSM_27transparent_binary_operatorINSA_8equal_toIvEEEENSN_INSM_8argumentILj0EEEEENSM_5valueIdEEEEEEEEEEEE10hipError_tPvRmT3_T4_T5_T6_T7_T9_mT8_P12ihipStream_tbDpT10_ENKUlT_T0_E_clISt17integral_constantIbLb1EES1J_IbLb0EEEEDaS1F_S1G_EUlS1F_E_NS1_11comp_targetILNS1_3genE3ELNS1_11target_archE908ELNS1_3gpuE7ELNS1_3repE0EEENS1_30default_config_static_selectorELNS0_4arch9wavefront6targetE0EEEvT1_,comdat
.Lfunc_end32:
	.size	_ZN7rocprim17ROCPRIM_400000_NS6detail17trampoline_kernelINS0_14default_configENS1_25partition_config_selectorILNS1_17partition_subalgoE6EdNS0_10empty_typeEbEEZZNS1_14partition_implILS5_6ELb0ES3_mN6thrust23THRUST_200600_302600_NS6detail15normal_iteratorINSA_10device_ptrIdEEEEPS6_SG_NS0_5tupleIJSF_S6_EEENSH_IJSG_SG_EEES6_PlJNSB_9not_fun_tINSB_10functional5actorINSM_9compositeIJNSM_27transparent_binary_operatorINSA_8equal_toIvEEEENSN_INSM_8argumentILj0EEEEENSM_5valueIdEEEEEEEEEEEE10hipError_tPvRmT3_T4_T5_T6_T7_T9_mT8_P12ihipStream_tbDpT10_ENKUlT_T0_E_clISt17integral_constantIbLb1EES1J_IbLb0EEEEDaS1F_S1G_EUlS1F_E_NS1_11comp_targetILNS1_3genE3ELNS1_11target_archE908ELNS1_3gpuE7ELNS1_3repE0EEENS1_30default_config_static_selectorELNS0_4arch9wavefront6targetE0EEEvT1_, .Lfunc_end32-_ZN7rocprim17ROCPRIM_400000_NS6detail17trampoline_kernelINS0_14default_configENS1_25partition_config_selectorILNS1_17partition_subalgoE6EdNS0_10empty_typeEbEEZZNS1_14partition_implILS5_6ELb0ES3_mN6thrust23THRUST_200600_302600_NS6detail15normal_iteratorINSA_10device_ptrIdEEEEPS6_SG_NS0_5tupleIJSF_S6_EEENSH_IJSG_SG_EEES6_PlJNSB_9not_fun_tINSB_10functional5actorINSM_9compositeIJNSM_27transparent_binary_operatorINSA_8equal_toIvEEEENSN_INSM_8argumentILj0EEEEENSM_5valueIdEEEEEEEEEEEE10hipError_tPvRmT3_T4_T5_T6_T7_T9_mT8_P12ihipStream_tbDpT10_ENKUlT_T0_E_clISt17integral_constantIbLb1EES1J_IbLb0EEEEDaS1F_S1G_EUlS1F_E_NS1_11comp_targetILNS1_3genE3ELNS1_11target_archE908ELNS1_3gpuE7ELNS1_3repE0EEENS1_30default_config_static_selectorELNS0_4arch9wavefront6targetE0EEEvT1_
                                        ; -- End function
	.set _ZN7rocprim17ROCPRIM_400000_NS6detail17trampoline_kernelINS0_14default_configENS1_25partition_config_selectorILNS1_17partition_subalgoE6EdNS0_10empty_typeEbEEZZNS1_14partition_implILS5_6ELb0ES3_mN6thrust23THRUST_200600_302600_NS6detail15normal_iteratorINSA_10device_ptrIdEEEEPS6_SG_NS0_5tupleIJSF_S6_EEENSH_IJSG_SG_EEES6_PlJNSB_9not_fun_tINSB_10functional5actorINSM_9compositeIJNSM_27transparent_binary_operatorINSA_8equal_toIvEEEENSN_INSM_8argumentILj0EEEEENSM_5valueIdEEEEEEEEEEEE10hipError_tPvRmT3_T4_T5_T6_T7_T9_mT8_P12ihipStream_tbDpT10_ENKUlT_T0_E_clISt17integral_constantIbLb1EES1J_IbLb0EEEEDaS1F_S1G_EUlS1F_E_NS1_11comp_targetILNS1_3genE3ELNS1_11target_archE908ELNS1_3gpuE7ELNS1_3repE0EEENS1_30default_config_static_selectorELNS0_4arch9wavefront6targetE0EEEvT1_.num_vgpr, 0
	.set _ZN7rocprim17ROCPRIM_400000_NS6detail17trampoline_kernelINS0_14default_configENS1_25partition_config_selectorILNS1_17partition_subalgoE6EdNS0_10empty_typeEbEEZZNS1_14partition_implILS5_6ELb0ES3_mN6thrust23THRUST_200600_302600_NS6detail15normal_iteratorINSA_10device_ptrIdEEEEPS6_SG_NS0_5tupleIJSF_S6_EEENSH_IJSG_SG_EEES6_PlJNSB_9not_fun_tINSB_10functional5actorINSM_9compositeIJNSM_27transparent_binary_operatorINSA_8equal_toIvEEEENSN_INSM_8argumentILj0EEEEENSM_5valueIdEEEEEEEEEEEE10hipError_tPvRmT3_T4_T5_T6_T7_T9_mT8_P12ihipStream_tbDpT10_ENKUlT_T0_E_clISt17integral_constantIbLb1EES1J_IbLb0EEEEDaS1F_S1G_EUlS1F_E_NS1_11comp_targetILNS1_3genE3ELNS1_11target_archE908ELNS1_3gpuE7ELNS1_3repE0EEENS1_30default_config_static_selectorELNS0_4arch9wavefront6targetE0EEEvT1_.num_agpr, 0
	.set _ZN7rocprim17ROCPRIM_400000_NS6detail17trampoline_kernelINS0_14default_configENS1_25partition_config_selectorILNS1_17partition_subalgoE6EdNS0_10empty_typeEbEEZZNS1_14partition_implILS5_6ELb0ES3_mN6thrust23THRUST_200600_302600_NS6detail15normal_iteratorINSA_10device_ptrIdEEEEPS6_SG_NS0_5tupleIJSF_S6_EEENSH_IJSG_SG_EEES6_PlJNSB_9not_fun_tINSB_10functional5actorINSM_9compositeIJNSM_27transparent_binary_operatorINSA_8equal_toIvEEEENSN_INSM_8argumentILj0EEEEENSM_5valueIdEEEEEEEEEEEE10hipError_tPvRmT3_T4_T5_T6_T7_T9_mT8_P12ihipStream_tbDpT10_ENKUlT_T0_E_clISt17integral_constantIbLb1EES1J_IbLb0EEEEDaS1F_S1G_EUlS1F_E_NS1_11comp_targetILNS1_3genE3ELNS1_11target_archE908ELNS1_3gpuE7ELNS1_3repE0EEENS1_30default_config_static_selectorELNS0_4arch9wavefront6targetE0EEEvT1_.numbered_sgpr, 0
	.set _ZN7rocprim17ROCPRIM_400000_NS6detail17trampoline_kernelINS0_14default_configENS1_25partition_config_selectorILNS1_17partition_subalgoE6EdNS0_10empty_typeEbEEZZNS1_14partition_implILS5_6ELb0ES3_mN6thrust23THRUST_200600_302600_NS6detail15normal_iteratorINSA_10device_ptrIdEEEEPS6_SG_NS0_5tupleIJSF_S6_EEENSH_IJSG_SG_EEES6_PlJNSB_9not_fun_tINSB_10functional5actorINSM_9compositeIJNSM_27transparent_binary_operatorINSA_8equal_toIvEEEENSN_INSM_8argumentILj0EEEEENSM_5valueIdEEEEEEEEEEEE10hipError_tPvRmT3_T4_T5_T6_T7_T9_mT8_P12ihipStream_tbDpT10_ENKUlT_T0_E_clISt17integral_constantIbLb1EES1J_IbLb0EEEEDaS1F_S1G_EUlS1F_E_NS1_11comp_targetILNS1_3genE3ELNS1_11target_archE908ELNS1_3gpuE7ELNS1_3repE0EEENS1_30default_config_static_selectorELNS0_4arch9wavefront6targetE0EEEvT1_.num_named_barrier, 0
	.set _ZN7rocprim17ROCPRIM_400000_NS6detail17trampoline_kernelINS0_14default_configENS1_25partition_config_selectorILNS1_17partition_subalgoE6EdNS0_10empty_typeEbEEZZNS1_14partition_implILS5_6ELb0ES3_mN6thrust23THRUST_200600_302600_NS6detail15normal_iteratorINSA_10device_ptrIdEEEEPS6_SG_NS0_5tupleIJSF_S6_EEENSH_IJSG_SG_EEES6_PlJNSB_9not_fun_tINSB_10functional5actorINSM_9compositeIJNSM_27transparent_binary_operatorINSA_8equal_toIvEEEENSN_INSM_8argumentILj0EEEEENSM_5valueIdEEEEEEEEEEEE10hipError_tPvRmT3_T4_T5_T6_T7_T9_mT8_P12ihipStream_tbDpT10_ENKUlT_T0_E_clISt17integral_constantIbLb1EES1J_IbLb0EEEEDaS1F_S1G_EUlS1F_E_NS1_11comp_targetILNS1_3genE3ELNS1_11target_archE908ELNS1_3gpuE7ELNS1_3repE0EEENS1_30default_config_static_selectorELNS0_4arch9wavefront6targetE0EEEvT1_.private_seg_size, 0
	.set _ZN7rocprim17ROCPRIM_400000_NS6detail17trampoline_kernelINS0_14default_configENS1_25partition_config_selectorILNS1_17partition_subalgoE6EdNS0_10empty_typeEbEEZZNS1_14partition_implILS5_6ELb0ES3_mN6thrust23THRUST_200600_302600_NS6detail15normal_iteratorINSA_10device_ptrIdEEEEPS6_SG_NS0_5tupleIJSF_S6_EEENSH_IJSG_SG_EEES6_PlJNSB_9not_fun_tINSB_10functional5actorINSM_9compositeIJNSM_27transparent_binary_operatorINSA_8equal_toIvEEEENSN_INSM_8argumentILj0EEEEENSM_5valueIdEEEEEEEEEEEE10hipError_tPvRmT3_T4_T5_T6_T7_T9_mT8_P12ihipStream_tbDpT10_ENKUlT_T0_E_clISt17integral_constantIbLb1EES1J_IbLb0EEEEDaS1F_S1G_EUlS1F_E_NS1_11comp_targetILNS1_3genE3ELNS1_11target_archE908ELNS1_3gpuE7ELNS1_3repE0EEENS1_30default_config_static_selectorELNS0_4arch9wavefront6targetE0EEEvT1_.uses_vcc, 0
	.set _ZN7rocprim17ROCPRIM_400000_NS6detail17trampoline_kernelINS0_14default_configENS1_25partition_config_selectorILNS1_17partition_subalgoE6EdNS0_10empty_typeEbEEZZNS1_14partition_implILS5_6ELb0ES3_mN6thrust23THRUST_200600_302600_NS6detail15normal_iteratorINSA_10device_ptrIdEEEEPS6_SG_NS0_5tupleIJSF_S6_EEENSH_IJSG_SG_EEES6_PlJNSB_9not_fun_tINSB_10functional5actorINSM_9compositeIJNSM_27transparent_binary_operatorINSA_8equal_toIvEEEENSN_INSM_8argumentILj0EEEEENSM_5valueIdEEEEEEEEEEEE10hipError_tPvRmT3_T4_T5_T6_T7_T9_mT8_P12ihipStream_tbDpT10_ENKUlT_T0_E_clISt17integral_constantIbLb1EES1J_IbLb0EEEEDaS1F_S1G_EUlS1F_E_NS1_11comp_targetILNS1_3genE3ELNS1_11target_archE908ELNS1_3gpuE7ELNS1_3repE0EEENS1_30default_config_static_selectorELNS0_4arch9wavefront6targetE0EEEvT1_.uses_flat_scratch, 0
	.set _ZN7rocprim17ROCPRIM_400000_NS6detail17trampoline_kernelINS0_14default_configENS1_25partition_config_selectorILNS1_17partition_subalgoE6EdNS0_10empty_typeEbEEZZNS1_14partition_implILS5_6ELb0ES3_mN6thrust23THRUST_200600_302600_NS6detail15normal_iteratorINSA_10device_ptrIdEEEEPS6_SG_NS0_5tupleIJSF_S6_EEENSH_IJSG_SG_EEES6_PlJNSB_9not_fun_tINSB_10functional5actorINSM_9compositeIJNSM_27transparent_binary_operatorINSA_8equal_toIvEEEENSN_INSM_8argumentILj0EEEEENSM_5valueIdEEEEEEEEEEEE10hipError_tPvRmT3_T4_T5_T6_T7_T9_mT8_P12ihipStream_tbDpT10_ENKUlT_T0_E_clISt17integral_constantIbLb1EES1J_IbLb0EEEEDaS1F_S1G_EUlS1F_E_NS1_11comp_targetILNS1_3genE3ELNS1_11target_archE908ELNS1_3gpuE7ELNS1_3repE0EEENS1_30default_config_static_selectorELNS0_4arch9wavefront6targetE0EEEvT1_.has_dyn_sized_stack, 0
	.set _ZN7rocprim17ROCPRIM_400000_NS6detail17trampoline_kernelINS0_14default_configENS1_25partition_config_selectorILNS1_17partition_subalgoE6EdNS0_10empty_typeEbEEZZNS1_14partition_implILS5_6ELb0ES3_mN6thrust23THRUST_200600_302600_NS6detail15normal_iteratorINSA_10device_ptrIdEEEEPS6_SG_NS0_5tupleIJSF_S6_EEENSH_IJSG_SG_EEES6_PlJNSB_9not_fun_tINSB_10functional5actorINSM_9compositeIJNSM_27transparent_binary_operatorINSA_8equal_toIvEEEENSN_INSM_8argumentILj0EEEEENSM_5valueIdEEEEEEEEEEEE10hipError_tPvRmT3_T4_T5_T6_T7_T9_mT8_P12ihipStream_tbDpT10_ENKUlT_T0_E_clISt17integral_constantIbLb1EES1J_IbLb0EEEEDaS1F_S1G_EUlS1F_E_NS1_11comp_targetILNS1_3genE3ELNS1_11target_archE908ELNS1_3gpuE7ELNS1_3repE0EEENS1_30default_config_static_selectorELNS0_4arch9wavefront6targetE0EEEvT1_.has_recursion, 0
	.set _ZN7rocprim17ROCPRIM_400000_NS6detail17trampoline_kernelINS0_14default_configENS1_25partition_config_selectorILNS1_17partition_subalgoE6EdNS0_10empty_typeEbEEZZNS1_14partition_implILS5_6ELb0ES3_mN6thrust23THRUST_200600_302600_NS6detail15normal_iteratorINSA_10device_ptrIdEEEEPS6_SG_NS0_5tupleIJSF_S6_EEENSH_IJSG_SG_EEES6_PlJNSB_9not_fun_tINSB_10functional5actorINSM_9compositeIJNSM_27transparent_binary_operatorINSA_8equal_toIvEEEENSN_INSM_8argumentILj0EEEEENSM_5valueIdEEEEEEEEEEEE10hipError_tPvRmT3_T4_T5_T6_T7_T9_mT8_P12ihipStream_tbDpT10_ENKUlT_T0_E_clISt17integral_constantIbLb1EES1J_IbLb0EEEEDaS1F_S1G_EUlS1F_E_NS1_11comp_targetILNS1_3genE3ELNS1_11target_archE908ELNS1_3gpuE7ELNS1_3repE0EEENS1_30default_config_static_selectorELNS0_4arch9wavefront6targetE0EEEvT1_.has_indirect_call, 0
	.section	.AMDGPU.csdata,"",@progbits
; Kernel info:
; codeLenInByte = 0
; TotalNumSgprs: 0
; NumVgprs: 0
; ScratchSize: 0
; MemoryBound: 0
; FloatMode: 240
; IeeeMode: 1
; LDSByteSize: 0 bytes/workgroup (compile time only)
; SGPRBlocks: 0
; VGPRBlocks: 0
; NumSGPRsForWavesPerEU: 1
; NumVGPRsForWavesPerEU: 1
; Occupancy: 16
; WaveLimiterHint : 0
; COMPUTE_PGM_RSRC2:SCRATCH_EN: 0
; COMPUTE_PGM_RSRC2:USER_SGPR: 2
; COMPUTE_PGM_RSRC2:TRAP_HANDLER: 0
; COMPUTE_PGM_RSRC2:TGID_X_EN: 1
; COMPUTE_PGM_RSRC2:TGID_Y_EN: 0
; COMPUTE_PGM_RSRC2:TGID_Z_EN: 0
; COMPUTE_PGM_RSRC2:TIDIG_COMP_CNT: 0
	.section	.text._ZN7rocprim17ROCPRIM_400000_NS6detail17trampoline_kernelINS0_14default_configENS1_25partition_config_selectorILNS1_17partition_subalgoE6EdNS0_10empty_typeEbEEZZNS1_14partition_implILS5_6ELb0ES3_mN6thrust23THRUST_200600_302600_NS6detail15normal_iteratorINSA_10device_ptrIdEEEEPS6_SG_NS0_5tupleIJSF_S6_EEENSH_IJSG_SG_EEES6_PlJNSB_9not_fun_tINSB_10functional5actorINSM_9compositeIJNSM_27transparent_binary_operatorINSA_8equal_toIvEEEENSN_INSM_8argumentILj0EEEEENSM_5valueIdEEEEEEEEEEEE10hipError_tPvRmT3_T4_T5_T6_T7_T9_mT8_P12ihipStream_tbDpT10_ENKUlT_T0_E_clISt17integral_constantIbLb1EES1J_IbLb0EEEEDaS1F_S1G_EUlS1F_E_NS1_11comp_targetILNS1_3genE2ELNS1_11target_archE906ELNS1_3gpuE6ELNS1_3repE0EEENS1_30default_config_static_selectorELNS0_4arch9wavefront6targetE0EEEvT1_,"axG",@progbits,_ZN7rocprim17ROCPRIM_400000_NS6detail17trampoline_kernelINS0_14default_configENS1_25partition_config_selectorILNS1_17partition_subalgoE6EdNS0_10empty_typeEbEEZZNS1_14partition_implILS5_6ELb0ES3_mN6thrust23THRUST_200600_302600_NS6detail15normal_iteratorINSA_10device_ptrIdEEEEPS6_SG_NS0_5tupleIJSF_S6_EEENSH_IJSG_SG_EEES6_PlJNSB_9not_fun_tINSB_10functional5actorINSM_9compositeIJNSM_27transparent_binary_operatorINSA_8equal_toIvEEEENSN_INSM_8argumentILj0EEEEENSM_5valueIdEEEEEEEEEEEE10hipError_tPvRmT3_T4_T5_T6_T7_T9_mT8_P12ihipStream_tbDpT10_ENKUlT_T0_E_clISt17integral_constantIbLb1EES1J_IbLb0EEEEDaS1F_S1G_EUlS1F_E_NS1_11comp_targetILNS1_3genE2ELNS1_11target_archE906ELNS1_3gpuE6ELNS1_3repE0EEENS1_30default_config_static_selectorELNS0_4arch9wavefront6targetE0EEEvT1_,comdat
	.protected	_ZN7rocprim17ROCPRIM_400000_NS6detail17trampoline_kernelINS0_14default_configENS1_25partition_config_selectorILNS1_17partition_subalgoE6EdNS0_10empty_typeEbEEZZNS1_14partition_implILS5_6ELb0ES3_mN6thrust23THRUST_200600_302600_NS6detail15normal_iteratorINSA_10device_ptrIdEEEEPS6_SG_NS0_5tupleIJSF_S6_EEENSH_IJSG_SG_EEES6_PlJNSB_9not_fun_tINSB_10functional5actorINSM_9compositeIJNSM_27transparent_binary_operatorINSA_8equal_toIvEEEENSN_INSM_8argumentILj0EEEEENSM_5valueIdEEEEEEEEEEEE10hipError_tPvRmT3_T4_T5_T6_T7_T9_mT8_P12ihipStream_tbDpT10_ENKUlT_T0_E_clISt17integral_constantIbLb1EES1J_IbLb0EEEEDaS1F_S1G_EUlS1F_E_NS1_11comp_targetILNS1_3genE2ELNS1_11target_archE906ELNS1_3gpuE6ELNS1_3repE0EEENS1_30default_config_static_selectorELNS0_4arch9wavefront6targetE0EEEvT1_ ; -- Begin function _ZN7rocprim17ROCPRIM_400000_NS6detail17trampoline_kernelINS0_14default_configENS1_25partition_config_selectorILNS1_17partition_subalgoE6EdNS0_10empty_typeEbEEZZNS1_14partition_implILS5_6ELb0ES3_mN6thrust23THRUST_200600_302600_NS6detail15normal_iteratorINSA_10device_ptrIdEEEEPS6_SG_NS0_5tupleIJSF_S6_EEENSH_IJSG_SG_EEES6_PlJNSB_9not_fun_tINSB_10functional5actorINSM_9compositeIJNSM_27transparent_binary_operatorINSA_8equal_toIvEEEENSN_INSM_8argumentILj0EEEEENSM_5valueIdEEEEEEEEEEEE10hipError_tPvRmT3_T4_T5_T6_T7_T9_mT8_P12ihipStream_tbDpT10_ENKUlT_T0_E_clISt17integral_constantIbLb1EES1J_IbLb0EEEEDaS1F_S1G_EUlS1F_E_NS1_11comp_targetILNS1_3genE2ELNS1_11target_archE906ELNS1_3gpuE6ELNS1_3repE0EEENS1_30default_config_static_selectorELNS0_4arch9wavefront6targetE0EEEvT1_
	.globl	_ZN7rocprim17ROCPRIM_400000_NS6detail17trampoline_kernelINS0_14default_configENS1_25partition_config_selectorILNS1_17partition_subalgoE6EdNS0_10empty_typeEbEEZZNS1_14partition_implILS5_6ELb0ES3_mN6thrust23THRUST_200600_302600_NS6detail15normal_iteratorINSA_10device_ptrIdEEEEPS6_SG_NS0_5tupleIJSF_S6_EEENSH_IJSG_SG_EEES6_PlJNSB_9not_fun_tINSB_10functional5actorINSM_9compositeIJNSM_27transparent_binary_operatorINSA_8equal_toIvEEEENSN_INSM_8argumentILj0EEEEENSM_5valueIdEEEEEEEEEEEE10hipError_tPvRmT3_T4_T5_T6_T7_T9_mT8_P12ihipStream_tbDpT10_ENKUlT_T0_E_clISt17integral_constantIbLb1EES1J_IbLb0EEEEDaS1F_S1G_EUlS1F_E_NS1_11comp_targetILNS1_3genE2ELNS1_11target_archE906ELNS1_3gpuE6ELNS1_3repE0EEENS1_30default_config_static_selectorELNS0_4arch9wavefront6targetE0EEEvT1_
	.p2align	8
	.type	_ZN7rocprim17ROCPRIM_400000_NS6detail17trampoline_kernelINS0_14default_configENS1_25partition_config_selectorILNS1_17partition_subalgoE6EdNS0_10empty_typeEbEEZZNS1_14partition_implILS5_6ELb0ES3_mN6thrust23THRUST_200600_302600_NS6detail15normal_iteratorINSA_10device_ptrIdEEEEPS6_SG_NS0_5tupleIJSF_S6_EEENSH_IJSG_SG_EEES6_PlJNSB_9not_fun_tINSB_10functional5actorINSM_9compositeIJNSM_27transparent_binary_operatorINSA_8equal_toIvEEEENSN_INSM_8argumentILj0EEEEENSM_5valueIdEEEEEEEEEEEE10hipError_tPvRmT3_T4_T5_T6_T7_T9_mT8_P12ihipStream_tbDpT10_ENKUlT_T0_E_clISt17integral_constantIbLb1EES1J_IbLb0EEEEDaS1F_S1G_EUlS1F_E_NS1_11comp_targetILNS1_3genE2ELNS1_11target_archE906ELNS1_3gpuE6ELNS1_3repE0EEENS1_30default_config_static_selectorELNS0_4arch9wavefront6targetE0EEEvT1_,@function
_ZN7rocprim17ROCPRIM_400000_NS6detail17trampoline_kernelINS0_14default_configENS1_25partition_config_selectorILNS1_17partition_subalgoE6EdNS0_10empty_typeEbEEZZNS1_14partition_implILS5_6ELb0ES3_mN6thrust23THRUST_200600_302600_NS6detail15normal_iteratorINSA_10device_ptrIdEEEEPS6_SG_NS0_5tupleIJSF_S6_EEENSH_IJSG_SG_EEES6_PlJNSB_9not_fun_tINSB_10functional5actorINSM_9compositeIJNSM_27transparent_binary_operatorINSA_8equal_toIvEEEENSN_INSM_8argumentILj0EEEEENSM_5valueIdEEEEEEEEEEEE10hipError_tPvRmT3_T4_T5_T6_T7_T9_mT8_P12ihipStream_tbDpT10_ENKUlT_T0_E_clISt17integral_constantIbLb1EES1J_IbLb0EEEEDaS1F_S1G_EUlS1F_E_NS1_11comp_targetILNS1_3genE2ELNS1_11target_archE906ELNS1_3gpuE6ELNS1_3repE0EEENS1_30default_config_static_selectorELNS0_4arch9wavefront6targetE0EEEvT1_: ; @_ZN7rocprim17ROCPRIM_400000_NS6detail17trampoline_kernelINS0_14default_configENS1_25partition_config_selectorILNS1_17partition_subalgoE6EdNS0_10empty_typeEbEEZZNS1_14partition_implILS5_6ELb0ES3_mN6thrust23THRUST_200600_302600_NS6detail15normal_iteratorINSA_10device_ptrIdEEEEPS6_SG_NS0_5tupleIJSF_S6_EEENSH_IJSG_SG_EEES6_PlJNSB_9not_fun_tINSB_10functional5actorINSM_9compositeIJNSM_27transparent_binary_operatorINSA_8equal_toIvEEEENSN_INSM_8argumentILj0EEEEENSM_5valueIdEEEEEEEEEEEE10hipError_tPvRmT3_T4_T5_T6_T7_T9_mT8_P12ihipStream_tbDpT10_ENKUlT_T0_E_clISt17integral_constantIbLb1EES1J_IbLb0EEEEDaS1F_S1G_EUlS1F_E_NS1_11comp_targetILNS1_3genE2ELNS1_11target_archE906ELNS1_3gpuE6ELNS1_3repE0EEENS1_30default_config_static_selectorELNS0_4arch9wavefront6targetE0EEEvT1_
; %bb.0:
	.section	.rodata,"a",@progbits
	.p2align	6, 0x0
	.amdhsa_kernel _ZN7rocprim17ROCPRIM_400000_NS6detail17trampoline_kernelINS0_14default_configENS1_25partition_config_selectorILNS1_17partition_subalgoE6EdNS0_10empty_typeEbEEZZNS1_14partition_implILS5_6ELb0ES3_mN6thrust23THRUST_200600_302600_NS6detail15normal_iteratorINSA_10device_ptrIdEEEEPS6_SG_NS0_5tupleIJSF_S6_EEENSH_IJSG_SG_EEES6_PlJNSB_9not_fun_tINSB_10functional5actorINSM_9compositeIJNSM_27transparent_binary_operatorINSA_8equal_toIvEEEENSN_INSM_8argumentILj0EEEEENSM_5valueIdEEEEEEEEEEEE10hipError_tPvRmT3_T4_T5_T6_T7_T9_mT8_P12ihipStream_tbDpT10_ENKUlT_T0_E_clISt17integral_constantIbLb1EES1J_IbLb0EEEEDaS1F_S1G_EUlS1F_E_NS1_11comp_targetILNS1_3genE2ELNS1_11target_archE906ELNS1_3gpuE6ELNS1_3repE0EEENS1_30default_config_static_selectorELNS0_4arch9wavefront6targetE0EEEvT1_
		.amdhsa_group_segment_fixed_size 0
		.amdhsa_private_segment_fixed_size 0
		.amdhsa_kernarg_size 128
		.amdhsa_user_sgpr_count 2
		.amdhsa_user_sgpr_dispatch_ptr 0
		.amdhsa_user_sgpr_queue_ptr 0
		.amdhsa_user_sgpr_kernarg_segment_ptr 1
		.amdhsa_user_sgpr_dispatch_id 0
		.amdhsa_user_sgpr_private_segment_size 0
		.amdhsa_wavefront_size32 1
		.amdhsa_uses_dynamic_stack 0
		.amdhsa_enable_private_segment 0
		.amdhsa_system_sgpr_workgroup_id_x 1
		.amdhsa_system_sgpr_workgroup_id_y 0
		.amdhsa_system_sgpr_workgroup_id_z 0
		.amdhsa_system_sgpr_workgroup_info 0
		.amdhsa_system_vgpr_workitem_id 0
		.amdhsa_next_free_vgpr 1
		.amdhsa_next_free_sgpr 1
		.amdhsa_reserve_vcc 0
		.amdhsa_float_round_mode_32 0
		.amdhsa_float_round_mode_16_64 0
		.amdhsa_float_denorm_mode_32 3
		.amdhsa_float_denorm_mode_16_64 3
		.amdhsa_fp16_overflow 0
		.amdhsa_workgroup_processor_mode 1
		.amdhsa_memory_ordered 1
		.amdhsa_forward_progress 1
		.amdhsa_inst_pref_size 0
		.amdhsa_round_robin_scheduling 0
		.amdhsa_exception_fp_ieee_invalid_op 0
		.amdhsa_exception_fp_denorm_src 0
		.amdhsa_exception_fp_ieee_div_zero 0
		.amdhsa_exception_fp_ieee_overflow 0
		.amdhsa_exception_fp_ieee_underflow 0
		.amdhsa_exception_fp_ieee_inexact 0
		.amdhsa_exception_int_div_zero 0
	.end_amdhsa_kernel
	.section	.text._ZN7rocprim17ROCPRIM_400000_NS6detail17trampoline_kernelINS0_14default_configENS1_25partition_config_selectorILNS1_17partition_subalgoE6EdNS0_10empty_typeEbEEZZNS1_14partition_implILS5_6ELb0ES3_mN6thrust23THRUST_200600_302600_NS6detail15normal_iteratorINSA_10device_ptrIdEEEEPS6_SG_NS0_5tupleIJSF_S6_EEENSH_IJSG_SG_EEES6_PlJNSB_9not_fun_tINSB_10functional5actorINSM_9compositeIJNSM_27transparent_binary_operatorINSA_8equal_toIvEEEENSN_INSM_8argumentILj0EEEEENSM_5valueIdEEEEEEEEEEEE10hipError_tPvRmT3_T4_T5_T6_T7_T9_mT8_P12ihipStream_tbDpT10_ENKUlT_T0_E_clISt17integral_constantIbLb1EES1J_IbLb0EEEEDaS1F_S1G_EUlS1F_E_NS1_11comp_targetILNS1_3genE2ELNS1_11target_archE906ELNS1_3gpuE6ELNS1_3repE0EEENS1_30default_config_static_selectorELNS0_4arch9wavefront6targetE0EEEvT1_,"axG",@progbits,_ZN7rocprim17ROCPRIM_400000_NS6detail17trampoline_kernelINS0_14default_configENS1_25partition_config_selectorILNS1_17partition_subalgoE6EdNS0_10empty_typeEbEEZZNS1_14partition_implILS5_6ELb0ES3_mN6thrust23THRUST_200600_302600_NS6detail15normal_iteratorINSA_10device_ptrIdEEEEPS6_SG_NS0_5tupleIJSF_S6_EEENSH_IJSG_SG_EEES6_PlJNSB_9not_fun_tINSB_10functional5actorINSM_9compositeIJNSM_27transparent_binary_operatorINSA_8equal_toIvEEEENSN_INSM_8argumentILj0EEEEENSM_5valueIdEEEEEEEEEEEE10hipError_tPvRmT3_T4_T5_T6_T7_T9_mT8_P12ihipStream_tbDpT10_ENKUlT_T0_E_clISt17integral_constantIbLb1EES1J_IbLb0EEEEDaS1F_S1G_EUlS1F_E_NS1_11comp_targetILNS1_3genE2ELNS1_11target_archE906ELNS1_3gpuE6ELNS1_3repE0EEENS1_30default_config_static_selectorELNS0_4arch9wavefront6targetE0EEEvT1_,comdat
.Lfunc_end33:
	.size	_ZN7rocprim17ROCPRIM_400000_NS6detail17trampoline_kernelINS0_14default_configENS1_25partition_config_selectorILNS1_17partition_subalgoE6EdNS0_10empty_typeEbEEZZNS1_14partition_implILS5_6ELb0ES3_mN6thrust23THRUST_200600_302600_NS6detail15normal_iteratorINSA_10device_ptrIdEEEEPS6_SG_NS0_5tupleIJSF_S6_EEENSH_IJSG_SG_EEES6_PlJNSB_9not_fun_tINSB_10functional5actorINSM_9compositeIJNSM_27transparent_binary_operatorINSA_8equal_toIvEEEENSN_INSM_8argumentILj0EEEEENSM_5valueIdEEEEEEEEEEEE10hipError_tPvRmT3_T4_T5_T6_T7_T9_mT8_P12ihipStream_tbDpT10_ENKUlT_T0_E_clISt17integral_constantIbLb1EES1J_IbLb0EEEEDaS1F_S1G_EUlS1F_E_NS1_11comp_targetILNS1_3genE2ELNS1_11target_archE906ELNS1_3gpuE6ELNS1_3repE0EEENS1_30default_config_static_selectorELNS0_4arch9wavefront6targetE0EEEvT1_, .Lfunc_end33-_ZN7rocprim17ROCPRIM_400000_NS6detail17trampoline_kernelINS0_14default_configENS1_25partition_config_selectorILNS1_17partition_subalgoE6EdNS0_10empty_typeEbEEZZNS1_14partition_implILS5_6ELb0ES3_mN6thrust23THRUST_200600_302600_NS6detail15normal_iteratorINSA_10device_ptrIdEEEEPS6_SG_NS0_5tupleIJSF_S6_EEENSH_IJSG_SG_EEES6_PlJNSB_9not_fun_tINSB_10functional5actorINSM_9compositeIJNSM_27transparent_binary_operatorINSA_8equal_toIvEEEENSN_INSM_8argumentILj0EEEEENSM_5valueIdEEEEEEEEEEEE10hipError_tPvRmT3_T4_T5_T6_T7_T9_mT8_P12ihipStream_tbDpT10_ENKUlT_T0_E_clISt17integral_constantIbLb1EES1J_IbLb0EEEEDaS1F_S1G_EUlS1F_E_NS1_11comp_targetILNS1_3genE2ELNS1_11target_archE906ELNS1_3gpuE6ELNS1_3repE0EEENS1_30default_config_static_selectorELNS0_4arch9wavefront6targetE0EEEvT1_
                                        ; -- End function
	.set _ZN7rocprim17ROCPRIM_400000_NS6detail17trampoline_kernelINS0_14default_configENS1_25partition_config_selectorILNS1_17partition_subalgoE6EdNS0_10empty_typeEbEEZZNS1_14partition_implILS5_6ELb0ES3_mN6thrust23THRUST_200600_302600_NS6detail15normal_iteratorINSA_10device_ptrIdEEEEPS6_SG_NS0_5tupleIJSF_S6_EEENSH_IJSG_SG_EEES6_PlJNSB_9not_fun_tINSB_10functional5actorINSM_9compositeIJNSM_27transparent_binary_operatorINSA_8equal_toIvEEEENSN_INSM_8argumentILj0EEEEENSM_5valueIdEEEEEEEEEEEE10hipError_tPvRmT3_T4_T5_T6_T7_T9_mT8_P12ihipStream_tbDpT10_ENKUlT_T0_E_clISt17integral_constantIbLb1EES1J_IbLb0EEEEDaS1F_S1G_EUlS1F_E_NS1_11comp_targetILNS1_3genE2ELNS1_11target_archE906ELNS1_3gpuE6ELNS1_3repE0EEENS1_30default_config_static_selectorELNS0_4arch9wavefront6targetE0EEEvT1_.num_vgpr, 0
	.set _ZN7rocprim17ROCPRIM_400000_NS6detail17trampoline_kernelINS0_14default_configENS1_25partition_config_selectorILNS1_17partition_subalgoE6EdNS0_10empty_typeEbEEZZNS1_14partition_implILS5_6ELb0ES3_mN6thrust23THRUST_200600_302600_NS6detail15normal_iteratorINSA_10device_ptrIdEEEEPS6_SG_NS0_5tupleIJSF_S6_EEENSH_IJSG_SG_EEES6_PlJNSB_9not_fun_tINSB_10functional5actorINSM_9compositeIJNSM_27transparent_binary_operatorINSA_8equal_toIvEEEENSN_INSM_8argumentILj0EEEEENSM_5valueIdEEEEEEEEEEEE10hipError_tPvRmT3_T4_T5_T6_T7_T9_mT8_P12ihipStream_tbDpT10_ENKUlT_T0_E_clISt17integral_constantIbLb1EES1J_IbLb0EEEEDaS1F_S1G_EUlS1F_E_NS1_11comp_targetILNS1_3genE2ELNS1_11target_archE906ELNS1_3gpuE6ELNS1_3repE0EEENS1_30default_config_static_selectorELNS0_4arch9wavefront6targetE0EEEvT1_.num_agpr, 0
	.set _ZN7rocprim17ROCPRIM_400000_NS6detail17trampoline_kernelINS0_14default_configENS1_25partition_config_selectorILNS1_17partition_subalgoE6EdNS0_10empty_typeEbEEZZNS1_14partition_implILS5_6ELb0ES3_mN6thrust23THRUST_200600_302600_NS6detail15normal_iteratorINSA_10device_ptrIdEEEEPS6_SG_NS0_5tupleIJSF_S6_EEENSH_IJSG_SG_EEES6_PlJNSB_9not_fun_tINSB_10functional5actorINSM_9compositeIJNSM_27transparent_binary_operatorINSA_8equal_toIvEEEENSN_INSM_8argumentILj0EEEEENSM_5valueIdEEEEEEEEEEEE10hipError_tPvRmT3_T4_T5_T6_T7_T9_mT8_P12ihipStream_tbDpT10_ENKUlT_T0_E_clISt17integral_constantIbLb1EES1J_IbLb0EEEEDaS1F_S1G_EUlS1F_E_NS1_11comp_targetILNS1_3genE2ELNS1_11target_archE906ELNS1_3gpuE6ELNS1_3repE0EEENS1_30default_config_static_selectorELNS0_4arch9wavefront6targetE0EEEvT1_.numbered_sgpr, 0
	.set _ZN7rocprim17ROCPRIM_400000_NS6detail17trampoline_kernelINS0_14default_configENS1_25partition_config_selectorILNS1_17partition_subalgoE6EdNS0_10empty_typeEbEEZZNS1_14partition_implILS5_6ELb0ES3_mN6thrust23THRUST_200600_302600_NS6detail15normal_iteratorINSA_10device_ptrIdEEEEPS6_SG_NS0_5tupleIJSF_S6_EEENSH_IJSG_SG_EEES6_PlJNSB_9not_fun_tINSB_10functional5actorINSM_9compositeIJNSM_27transparent_binary_operatorINSA_8equal_toIvEEEENSN_INSM_8argumentILj0EEEEENSM_5valueIdEEEEEEEEEEEE10hipError_tPvRmT3_T4_T5_T6_T7_T9_mT8_P12ihipStream_tbDpT10_ENKUlT_T0_E_clISt17integral_constantIbLb1EES1J_IbLb0EEEEDaS1F_S1G_EUlS1F_E_NS1_11comp_targetILNS1_3genE2ELNS1_11target_archE906ELNS1_3gpuE6ELNS1_3repE0EEENS1_30default_config_static_selectorELNS0_4arch9wavefront6targetE0EEEvT1_.num_named_barrier, 0
	.set _ZN7rocprim17ROCPRIM_400000_NS6detail17trampoline_kernelINS0_14default_configENS1_25partition_config_selectorILNS1_17partition_subalgoE6EdNS0_10empty_typeEbEEZZNS1_14partition_implILS5_6ELb0ES3_mN6thrust23THRUST_200600_302600_NS6detail15normal_iteratorINSA_10device_ptrIdEEEEPS6_SG_NS0_5tupleIJSF_S6_EEENSH_IJSG_SG_EEES6_PlJNSB_9not_fun_tINSB_10functional5actorINSM_9compositeIJNSM_27transparent_binary_operatorINSA_8equal_toIvEEEENSN_INSM_8argumentILj0EEEEENSM_5valueIdEEEEEEEEEEEE10hipError_tPvRmT3_T4_T5_T6_T7_T9_mT8_P12ihipStream_tbDpT10_ENKUlT_T0_E_clISt17integral_constantIbLb1EES1J_IbLb0EEEEDaS1F_S1G_EUlS1F_E_NS1_11comp_targetILNS1_3genE2ELNS1_11target_archE906ELNS1_3gpuE6ELNS1_3repE0EEENS1_30default_config_static_selectorELNS0_4arch9wavefront6targetE0EEEvT1_.private_seg_size, 0
	.set _ZN7rocprim17ROCPRIM_400000_NS6detail17trampoline_kernelINS0_14default_configENS1_25partition_config_selectorILNS1_17partition_subalgoE6EdNS0_10empty_typeEbEEZZNS1_14partition_implILS5_6ELb0ES3_mN6thrust23THRUST_200600_302600_NS6detail15normal_iteratorINSA_10device_ptrIdEEEEPS6_SG_NS0_5tupleIJSF_S6_EEENSH_IJSG_SG_EEES6_PlJNSB_9not_fun_tINSB_10functional5actorINSM_9compositeIJNSM_27transparent_binary_operatorINSA_8equal_toIvEEEENSN_INSM_8argumentILj0EEEEENSM_5valueIdEEEEEEEEEEEE10hipError_tPvRmT3_T4_T5_T6_T7_T9_mT8_P12ihipStream_tbDpT10_ENKUlT_T0_E_clISt17integral_constantIbLb1EES1J_IbLb0EEEEDaS1F_S1G_EUlS1F_E_NS1_11comp_targetILNS1_3genE2ELNS1_11target_archE906ELNS1_3gpuE6ELNS1_3repE0EEENS1_30default_config_static_selectorELNS0_4arch9wavefront6targetE0EEEvT1_.uses_vcc, 0
	.set _ZN7rocprim17ROCPRIM_400000_NS6detail17trampoline_kernelINS0_14default_configENS1_25partition_config_selectorILNS1_17partition_subalgoE6EdNS0_10empty_typeEbEEZZNS1_14partition_implILS5_6ELb0ES3_mN6thrust23THRUST_200600_302600_NS6detail15normal_iteratorINSA_10device_ptrIdEEEEPS6_SG_NS0_5tupleIJSF_S6_EEENSH_IJSG_SG_EEES6_PlJNSB_9not_fun_tINSB_10functional5actorINSM_9compositeIJNSM_27transparent_binary_operatorINSA_8equal_toIvEEEENSN_INSM_8argumentILj0EEEEENSM_5valueIdEEEEEEEEEEEE10hipError_tPvRmT3_T4_T5_T6_T7_T9_mT8_P12ihipStream_tbDpT10_ENKUlT_T0_E_clISt17integral_constantIbLb1EES1J_IbLb0EEEEDaS1F_S1G_EUlS1F_E_NS1_11comp_targetILNS1_3genE2ELNS1_11target_archE906ELNS1_3gpuE6ELNS1_3repE0EEENS1_30default_config_static_selectorELNS0_4arch9wavefront6targetE0EEEvT1_.uses_flat_scratch, 0
	.set _ZN7rocprim17ROCPRIM_400000_NS6detail17trampoline_kernelINS0_14default_configENS1_25partition_config_selectorILNS1_17partition_subalgoE6EdNS0_10empty_typeEbEEZZNS1_14partition_implILS5_6ELb0ES3_mN6thrust23THRUST_200600_302600_NS6detail15normal_iteratorINSA_10device_ptrIdEEEEPS6_SG_NS0_5tupleIJSF_S6_EEENSH_IJSG_SG_EEES6_PlJNSB_9not_fun_tINSB_10functional5actorINSM_9compositeIJNSM_27transparent_binary_operatorINSA_8equal_toIvEEEENSN_INSM_8argumentILj0EEEEENSM_5valueIdEEEEEEEEEEEE10hipError_tPvRmT3_T4_T5_T6_T7_T9_mT8_P12ihipStream_tbDpT10_ENKUlT_T0_E_clISt17integral_constantIbLb1EES1J_IbLb0EEEEDaS1F_S1G_EUlS1F_E_NS1_11comp_targetILNS1_3genE2ELNS1_11target_archE906ELNS1_3gpuE6ELNS1_3repE0EEENS1_30default_config_static_selectorELNS0_4arch9wavefront6targetE0EEEvT1_.has_dyn_sized_stack, 0
	.set _ZN7rocprim17ROCPRIM_400000_NS6detail17trampoline_kernelINS0_14default_configENS1_25partition_config_selectorILNS1_17partition_subalgoE6EdNS0_10empty_typeEbEEZZNS1_14partition_implILS5_6ELb0ES3_mN6thrust23THRUST_200600_302600_NS6detail15normal_iteratorINSA_10device_ptrIdEEEEPS6_SG_NS0_5tupleIJSF_S6_EEENSH_IJSG_SG_EEES6_PlJNSB_9not_fun_tINSB_10functional5actorINSM_9compositeIJNSM_27transparent_binary_operatorINSA_8equal_toIvEEEENSN_INSM_8argumentILj0EEEEENSM_5valueIdEEEEEEEEEEEE10hipError_tPvRmT3_T4_T5_T6_T7_T9_mT8_P12ihipStream_tbDpT10_ENKUlT_T0_E_clISt17integral_constantIbLb1EES1J_IbLb0EEEEDaS1F_S1G_EUlS1F_E_NS1_11comp_targetILNS1_3genE2ELNS1_11target_archE906ELNS1_3gpuE6ELNS1_3repE0EEENS1_30default_config_static_selectorELNS0_4arch9wavefront6targetE0EEEvT1_.has_recursion, 0
	.set _ZN7rocprim17ROCPRIM_400000_NS6detail17trampoline_kernelINS0_14default_configENS1_25partition_config_selectorILNS1_17partition_subalgoE6EdNS0_10empty_typeEbEEZZNS1_14partition_implILS5_6ELb0ES3_mN6thrust23THRUST_200600_302600_NS6detail15normal_iteratorINSA_10device_ptrIdEEEEPS6_SG_NS0_5tupleIJSF_S6_EEENSH_IJSG_SG_EEES6_PlJNSB_9not_fun_tINSB_10functional5actorINSM_9compositeIJNSM_27transparent_binary_operatorINSA_8equal_toIvEEEENSN_INSM_8argumentILj0EEEEENSM_5valueIdEEEEEEEEEEEE10hipError_tPvRmT3_T4_T5_T6_T7_T9_mT8_P12ihipStream_tbDpT10_ENKUlT_T0_E_clISt17integral_constantIbLb1EES1J_IbLb0EEEEDaS1F_S1G_EUlS1F_E_NS1_11comp_targetILNS1_3genE2ELNS1_11target_archE906ELNS1_3gpuE6ELNS1_3repE0EEENS1_30default_config_static_selectorELNS0_4arch9wavefront6targetE0EEEvT1_.has_indirect_call, 0
	.section	.AMDGPU.csdata,"",@progbits
; Kernel info:
; codeLenInByte = 0
; TotalNumSgprs: 0
; NumVgprs: 0
; ScratchSize: 0
; MemoryBound: 0
; FloatMode: 240
; IeeeMode: 1
; LDSByteSize: 0 bytes/workgroup (compile time only)
; SGPRBlocks: 0
; VGPRBlocks: 0
; NumSGPRsForWavesPerEU: 1
; NumVGPRsForWavesPerEU: 1
; Occupancy: 16
; WaveLimiterHint : 0
; COMPUTE_PGM_RSRC2:SCRATCH_EN: 0
; COMPUTE_PGM_RSRC2:USER_SGPR: 2
; COMPUTE_PGM_RSRC2:TRAP_HANDLER: 0
; COMPUTE_PGM_RSRC2:TGID_X_EN: 1
; COMPUTE_PGM_RSRC2:TGID_Y_EN: 0
; COMPUTE_PGM_RSRC2:TGID_Z_EN: 0
; COMPUTE_PGM_RSRC2:TIDIG_COMP_CNT: 0
	.section	.text._ZN7rocprim17ROCPRIM_400000_NS6detail17trampoline_kernelINS0_14default_configENS1_25partition_config_selectorILNS1_17partition_subalgoE6EdNS0_10empty_typeEbEEZZNS1_14partition_implILS5_6ELb0ES3_mN6thrust23THRUST_200600_302600_NS6detail15normal_iteratorINSA_10device_ptrIdEEEEPS6_SG_NS0_5tupleIJSF_S6_EEENSH_IJSG_SG_EEES6_PlJNSB_9not_fun_tINSB_10functional5actorINSM_9compositeIJNSM_27transparent_binary_operatorINSA_8equal_toIvEEEENSN_INSM_8argumentILj0EEEEENSM_5valueIdEEEEEEEEEEEE10hipError_tPvRmT3_T4_T5_T6_T7_T9_mT8_P12ihipStream_tbDpT10_ENKUlT_T0_E_clISt17integral_constantIbLb1EES1J_IbLb0EEEEDaS1F_S1G_EUlS1F_E_NS1_11comp_targetILNS1_3genE10ELNS1_11target_archE1200ELNS1_3gpuE4ELNS1_3repE0EEENS1_30default_config_static_selectorELNS0_4arch9wavefront6targetE0EEEvT1_,"axG",@progbits,_ZN7rocprim17ROCPRIM_400000_NS6detail17trampoline_kernelINS0_14default_configENS1_25partition_config_selectorILNS1_17partition_subalgoE6EdNS0_10empty_typeEbEEZZNS1_14partition_implILS5_6ELb0ES3_mN6thrust23THRUST_200600_302600_NS6detail15normal_iteratorINSA_10device_ptrIdEEEEPS6_SG_NS0_5tupleIJSF_S6_EEENSH_IJSG_SG_EEES6_PlJNSB_9not_fun_tINSB_10functional5actorINSM_9compositeIJNSM_27transparent_binary_operatorINSA_8equal_toIvEEEENSN_INSM_8argumentILj0EEEEENSM_5valueIdEEEEEEEEEEEE10hipError_tPvRmT3_T4_T5_T6_T7_T9_mT8_P12ihipStream_tbDpT10_ENKUlT_T0_E_clISt17integral_constantIbLb1EES1J_IbLb0EEEEDaS1F_S1G_EUlS1F_E_NS1_11comp_targetILNS1_3genE10ELNS1_11target_archE1200ELNS1_3gpuE4ELNS1_3repE0EEENS1_30default_config_static_selectorELNS0_4arch9wavefront6targetE0EEEvT1_,comdat
	.protected	_ZN7rocprim17ROCPRIM_400000_NS6detail17trampoline_kernelINS0_14default_configENS1_25partition_config_selectorILNS1_17partition_subalgoE6EdNS0_10empty_typeEbEEZZNS1_14partition_implILS5_6ELb0ES3_mN6thrust23THRUST_200600_302600_NS6detail15normal_iteratorINSA_10device_ptrIdEEEEPS6_SG_NS0_5tupleIJSF_S6_EEENSH_IJSG_SG_EEES6_PlJNSB_9not_fun_tINSB_10functional5actorINSM_9compositeIJNSM_27transparent_binary_operatorINSA_8equal_toIvEEEENSN_INSM_8argumentILj0EEEEENSM_5valueIdEEEEEEEEEEEE10hipError_tPvRmT3_T4_T5_T6_T7_T9_mT8_P12ihipStream_tbDpT10_ENKUlT_T0_E_clISt17integral_constantIbLb1EES1J_IbLb0EEEEDaS1F_S1G_EUlS1F_E_NS1_11comp_targetILNS1_3genE10ELNS1_11target_archE1200ELNS1_3gpuE4ELNS1_3repE0EEENS1_30default_config_static_selectorELNS0_4arch9wavefront6targetE0EEEvT1_ ; -- Begin function _ZN7rocprim17ROCPRIM_400000_NS6detail17trampoline_kernelINS0_14default_configENS1_25partition_config_selectorILNS1_17partition_subalgoE6EdNS0_10empty_typeEbEEZZNS1_14partition_implILS5_6ELb0ES3_mN6thrust23THRUST_200600_302600_NS6detail15normal_iteratorINSA_10device_ptrIdEEEEPS6_SG_NS0_5tupleIJSF_S6_EEENSH_IJSG_SG_EEES6_PlJNSB_9not_fun_tINSB_10functional5actorINSM_9compositeIJNSM_27transparent_binary_operatorINSA_8equal_toIvEEEENSN_INSM_8argumentILj0EEEEENSM_5valueIdEEEEEEEEEEEE10hipError_tPvRmT3_T4_T5_T6_T7_T9_mT8_P12ihipStream_tbDpT10_ENKUlT_T0_E_clISt17integral_constantIbLb1EES1J_IbLb0EEEEDaS1F_S1G_EUlS1F_E_NS1_11comp_targetILNS1_3genE10ELNS1_11target_archE1200ELNS1_3gpuE4ELNS1_3repE0EEENS1_30default_config_static_selectorELNS0_4arch9wavefront6targetE0EEEvT1_
	.globl	_ZN7rocprim17ROCPRIM_400000_NS6detail17trampoline_kernelINS0_14default_configENS1_25partition_config_selectorILNS1_17partition_subalgoE6EdNS0_10empty_typeEbEEZZNS1_14partition_implILS5_6ELb0ES3_mN6thrust23THRUST_200600_302600_NS6detail15normal_iteratorINSA_10device_ptrIdEEEEPS6_SG_NS0_5tupleIJSF_S6_EEENSH_IJSG_SG_EEES6_PlJNSB_9not_fun_tINSB_10functional5actorINSM_9compositeIJNSM_27transparent_binary_operatorINSA_8equal_toIvEEEENSN_INSM_8argumentILj0EEEEENSM_5valueIdEEEEEEEEEEEE10hipError_tPvRmT3_T4_T5_T6_T7_T9_mT8_P12ihipStream_tbDpT10_ENKUlT_T0_E_clISt17integral_constantIbLb1EES1J_IbLb0EEEEDaS1F_S1G_EUlS1F_E_NS1_11comp_targetILNS1_3genE10ELNS1_11target_archE1200ELNS1_3gpuE4ELNS1_3repE0EEENS1_30default_config_static_selectorELNS0_4arch9wavefront6targetE0EEEvT1_
	.p2align	8
	.type	_ZN7rocprim17ROCPRIM_400000_NS6detail17trampoline_kernelINS0_14default_configENS1_25partition_config_selectorILNS1_17partition_subalgoE6EdNS0_10empty_typeEbEEZZNS1_14partition_implILS5_6ELb0ES3_mN6thrust23THRUST_200600_302600_NS6detail15normal_iteratorINSA_10device_ptrIdEEEEPS6_SG_NS0_5tupleIJSF_S6_EEENSH_IJSG_SG_EEES6_PlJNSB_9not_fun_tINSB_10functional5actorINSM_9compositeIJNSM_27transparent_binary_operatorINSA_8equal_toIvEEEENSN_INSM_8argumentILj0EEEEENSM_5valueIdEEEEEEEEEEEE10hipError_tPvRmT3_T4_T5_T6_T7_T9_mT8_P12ihipStream_tbDpT10_ENKUlT_T0_E_clISt17integral_constantIbLb1EES1J_IbLb0EEEEDaS1F_S1G_EUlS1F_E_NS1_11comp_targetILNS1_3genE10ELNS1_11target_archE1200ELNS1_3gpuE4ELNS1_3repE0EEENS1_30default_config_static_selectorELNS0_4arch9wavefront6targetE0EEEvT1_,@function
_ZN7rocprim17ROCPRIM_400000_NS6detail17trampoline_kernelINS0_14default_configENS1_25partition_config_selectorILNS1_17partition_subalgoE6EdNS0_10empty_typeEbEEZZNS1_14partition_implILS5_6ELb0ES3_mN6thrust23THRUST_200600_302600_NS6detail15normal_iteratorINSA_10device_ptrIdEEEEPS6_SG_NS0_5tupleIJSF_S6_EEENSH_IJSG_SG_EEES6_PlJNSB_9not_fun_tINSB_10functional5actorINSM_9compositeIJNSM_27transparent_binary_operatorINSA_8equal_toIvEEEENSN_INSM_8argumentILj0EEEEENSM_5valueIdEEEEEEEEEEEE10hipError_tPvRmT3_T4_T5_T6_T7_T9_mT8_P12ihipStream_tbDpT10_ENKUlT_T0_E_clISt17integral_constantIbLb1EES1J_IbLb0EEEEDaS1F_S1G_EUlS1F_E_NS1_11comp_targetILNS1_3genE10ELNS1_11target_archE1200ELNS1_3gpuE4ELNS1_3repE0EEENS1_30default_config_static_selectorELNS0_4arch9wavefront6targetE0EEEvT1_: ; @_ZN7rocprim17ROCPRIM_400000_NS6detail17trampoline_kernelINS0_14default_configENS1_25partition_config_selectorILNS1_17partition_subalgoE6EdNS0_10empty_typeEbEEZZNS1_14partition_implILS5_6ELb0ES3_mN6thrust23THRUST_200600_302600_NS6detail15normal_iteratorINSA_10device_ptrIdEEEEPS6_SG_NS0_5tupleIJSF_S6_EEENSH_IJSG_SG_EEES6_PlJNSB_9not_fun_tINSB_10functional5actorINSM_9compositeIJNSM_27transparent_binary_operatorINSA_8equal_toIvEEEENSN_INSM_8argumentILj0EEEEENSM_5valueIdEEEEEEEEEEEE10hipError_tPvRmT3_T4_T5_T6_T7_T9_mT8_P12ihipStream_tbDpT10_ENKUlT_T0_E_clISt17integral_constantIbLb1EES1J_IbLb0EEEEDaS1F_S1G_EUlS1F_E_NS1_11comp_targetILNS1_3genE10ELNS1_11target_archE1200ELNS1_3gpuE4ELNS1_3repE0EEENS1_30default_config_static_selectorELNS0_4arch9wavefront6targetE0EEEvT1_
; %bb.0:
	s_endpgm
	.section	.rodata,"a",@progbits
	.p2align	6, 0x0
	.amdhsa_kernel _ZN7rocprim17ROCPRIM_400000_NS6detail17trampoline_kernelINS0_14default_configENS1_25partition_config_selectorILNS1_17partition_subalgoE6EdNS0_10empty_typeEbEEZZNS1_14partition_implILS5_6ELb0ES3_mN6thrust23THRUST_200600_302600_NS6detail15normal_iteratorINSA_10device_ptrIdEEEEPS6_SG_NS0_5tupleIJSF_S6_EEENSH_IJSG_SG_EEES6_PlJNSB_9not_fun_tINSB_10functional5actorINSM_9compositeIJNSM_27transparent_binary_operatorINSA_8equal_toIvEEEENSN_INSM_8argumentILj0EEEEENSM_5valueIdEEEEEEEEEEEE10hipError_tPvRmT3_T4_T5_T6_T7_T9_mT8_P12ihipStream_tbDpT10_ENKUlT_T0_E_clISt17integral_constantIbLb1EES1J_IbLb0EEEEDaS1F_S1G_EUlS1F_E_NS1_11comp_targetILNS1_3genE10ELNS1_11target_archE1200ELNS1_3gpuE4ELNS1_3repE0EEENS1_30default_config_static_selectorELNS0_4arch9wavefront6targetE0EEEvT1_
		.amdhsa_group_segment_fixed_size 0
		.amdhsa_private_segment_fixed_size 0
		.amdhsa_kernarg_size 128
		.amdhsa_user_sgpr_count 2
		.amdhsa_user_sgpr_dispatch_ptr 0
		.amdhsa_user_sgpr_queue_ptr 0
		.amdhsa_user_sgpr_kernarg_segment_ptr 1
		.amdhsa_user_sgpr_dispatch_id 0
		.amdhsa_user_sgpr_private_segment_size 0
		.amdhsa_wavefront_size32 1
		.amdhsa_uses_dynamic_stack 0
		.amdhsa_enable_private_segment 0
		.amdhsa_system_sgpr_workgroup_id_x 1
		.amdhsa_system_sgpr_workgroup_id_y 0
		.amdhsa_system_sgpr_workgroup_id_z 0
		.amdhsa_system_sgpr_workgroup_info 0
		.amdhsa_system_vgpr_workitem_id 0
		.amdhsa_next_free_vgpr 1
		.amdhsa_next_free_sgpr 1
		.amdhsa_reserve_vcc 0
		.amdhsa_float_round_mode_32 0
		.amdhsa_float_round_mode_16_64 0
		.amdhsa_float_denorm_mode_32 3
		.amdhsa_float_denorm_mode_16_64 3
		.amdhsa_fp16_overflow 0
		.amdhsa_workgroup_processor_mode 1
		.amdhsa_memory_ordered 1
		.amdhsa_forward_progress 1
		.amdhsa_inst_pref_size 1
		.amdhsa_round_robin_scheduling 0
		.amdhsa_exception_fp_ieee_invalid_op 0
		.amdhsa_exception_fp_denorm_src 0
		.amdhsa_exception_fp_ieee_div_zero 0
		.amdhsa_exception_fp_ieee_overflow 0
		.amdhsa_exception_fp_ieee_underflow 0
		.amdhsa_exception_fp_ieee_inexact 0
		.amdhsa_exception_int_div_zero 0
	.end_amdhsa_kernel
	.section	.text._ZN7rocprim17ROCPRIM_400000_NS6detail17trampoline_kernelINS0_14default_configENS1_25partition_config_selectorILNS1_17partition_subalgoE6EdNS0_10empty_typeEbEEZZNS1_14partition_implILS5_6ELb0ES3_mN6thrust23THRUST_200600_302600_NS6detail15normal_iteratorINSA_10device_ptrIdEEEEPS6_SG_NS0_5tupleIJSF_S6_EEENSH_IJSG_SG_EEES6_PlJNSB_9not_fun_tINSB_10functional5actorINSM_9compositeIJNSM_27transparent_binary_operatorINSA_8equal_toIvEEEENSN_INSM_8argumentILj0EEEEENSM_5valueIdEEEEEEEEEEEE10hipError_tPvRmT3_T4_T5_T6_T7_T9_mT8_P12ihipStream_tbDpT10_ENKUlT_T0_E_clISt17integral_constantIbLb1EES1J_IbLb0EEEEDaS1F_S1G_EUlS1F_E_NS1_11comp_targetILNS1_3genE10ELNS1_11target_archE1200ELNS1_3gpuE4ELNS1_3repE0EEENS1_30default_config_static_selectorELNS0_4arch9wavefront6targetE0EEEvT1_,"axG",@progbits,_ZN7rocprim17ROCPRIM_400000_NS6detail17trampoline_kernelINS0_14default_configENS1_25partition_config_selectorILNS1_17partition_subalgoE6EdNS0_10empty_typeEbEEZZNS1_14partition_implILS5_6ELb0ES3_mN6thrust23THRUST_200600_302600_NS6detail15normal_iteratorINSA_10device_ptrIdEEEEPS6_SG_NS0_5tupleIJSF_S6_EEENSH_IJSG_SG_EEES6_PlJNSB_9not_fun_tINSB_10functional5actorINSM_9compositeIJNSM_27transparent_binary_operatorINSA_8equal_toIvEEEENSN_INSM_8argumentILj0EEEEENSM_5valueIdEEEEEEEEEEEE10hipError_tPvRmT3_T4_T5_T6_T7_T9_mT8_P12ihipStream_tbDpT10_ENKUlT_T0_E_clISt17integral_constantIbLb1EES1J_IbLb0EEEEDaS1F_S1G_EUlS1F_E_NS1_11comp_targetILNS1_3genE10ELNS1_11target_archE1200ELNS1_3gpuE4ELNS1_3repE0EEENS1_30default_config_static_selectorELNS0_4arch9wavefront6targetE0EEEvT1_,comdat
.Lfunc_end34:
	.size	_ZN7rocprim17ROCPRIM_400000_NS6detail17trampoline_kernelINS0_14default_configENS1_25partition_config_selectorILNS1_17partition_subalgoE6EdNS0_10empty_typeEbEEZZNS1_14partition_implILS5_6ELb0ES3_mN6thrust23THRUST_200600_302600_NS6detail15normal_iteratorINSA_10device_ptrIdEEEEPS6_SG_NS0_5tupleIJSF_S6_EEENSH_IJSG_SG_EEES6_PlJNSB_9not_fun_tINSB_10functional5actorINSM_9compositeIJNSM_27transparent_binary_operatorINSA_8equal_toIvEEEENSN_INSM_8argumentILj0EEEEENSM_5valueIdEEEEEEEEEEEE10hipError_tPvRmT3_T4_T5_T6_T7_T9_mT8_P12ihipStream_tbDpT10_ENKUlT_T0_E_clISt17integral_constantIbLb1EES1J_IbLb0EEEEDaS1F_S1G_EUlS1F_E_NS1_11comp_targetILNS1_3genE10ELNS1_11target_archE1200ELNS1_3gpuE4ELNS1_3repE0EEENS1_30default_config_static_selectorELNS0_4arch9wavefront6targetE0EEEvT1_, .Lfunc_end34-_ZN7rocprim17ROCPRIM_400000_NS6detail17trampoline_kernelINS0_14default_configENS1_25partition_config_selectorILNS1_17partition_subalgoE6EdNS0_10empty_typeEbEEZZNS1_14partition_implILS5_6ELb0ES3_mN6thrust23THRUST_200600_302600_NS6detail15normal_iteratorINSA_10device_ptrIdEEEEPS6_SG_NS0_5tupleIJSF_S6_EEENSH_IJSG_SG_EEES6_PlJNSB_9not_fun_tINSB_10functional5actorINSM_9compositeIJNSM_27transparent_binary_operatorINSA_8equal_toIvEEEENSN_INSM_8argumentILj0EEEEENSM_5valueIdEEEEEEEEEEEE10hipError_tPvRmT3_T4_T5_T6_T7_T9_mT8_P12ihipStream_tbDpT10_ENKUlT_T0_E_clISt17integral_constantIbLb1EES1J_IbLb0EEEEDaS1F_S1G_EUlS1F_E_NS1_11comp_targetILNS1_3genE10ELNS1_11target_archE1200ELNS1_3gpuE4ELNS1_3repE0EEENS1_30default_config_static_selectorELNS0_4arch9wavefront6targetE0EEEvT1_
                                        ; -- End function
	.set _ZN7rocprim17ROCPRIM_400000_NS6detail17trampoline_kernelINS0_14default_configENS1_25partition_config_selectorILNS1_17partition_subalgoE6EdNS0_10empty_typeEbEEZZNS1_14partition_implILS5_6ELb0ES3_mN6thrust23THRUST_200600_302600_NS6detail15normal_iteratorINSA_10device_ptrIdEEEEPS6_SG_NS0_5tupleIJSF_S6_EEENSH_IJSG_SG_EEES6_PlJNSB_9not_fun_tINSB_10functional5actorINSM_9compositeIJNSM_27transparent_binary_operatorINSA_8equal_toIvEEEENSN_INSM_8argumentILj0EEEEENSM_5valueIdEEEEEEEEEEEE10hipError_tPvRmT3_T4_T5_T6_T7_T9_mT8_P12ihipStream_tbDpT10_ENKUlT_T0_E_clISt17integral_constantIbLb1EES1J_IbLb0EEEEDaS1F_S1G_EUlS1F_E_NS1_11comp_targetILNS1_3genE10ELNS1_11target_archE1200ELNS1_3gpuE4ELNS1_3repE0EEENS1_30default_config_static_selectorELNS0_4arch9wavefront6targetE0EEEvT1_.num_vgpr, 0
	.set _ZN7rocprim17ROCPRIM_400000_NS6detail17trampoline_kernelINS0_14default_configENS1_25partition_config_selectorILNS1_17partition_subalgoE6EdNS0_10empty_typeEbEEZZNS1_14partition_implILS5_6ELb0ES3_mN6thrust23THRUST_200600_302600_NS6detail15normal_iteratorINSA_10device_ptrIdEEEEPS6_SG_NS0_5tupleIJSF_S6_EEENSH_IJSG_SG_EEES6_PlJNSB_9not_fun_tINSB_10functional5actorINSM_9compositeIJNSM_27transparent_binary_operatorINSA_8equal_toIvEEEENSN_INSM_8argumentILj0EEEEENSM_5valueIdEEEEEEEEEEEE10hipError_tPvRmT3_T4_T5_T6_T7_T9_mT8_P12ihipStream_tbDpT10_ENKUlT_T0_E_clISt17integral_constantIbLb1EES1J_IbLb0EEEEDaS1F_S1G_EUlS1F_E_NS1_11comp_targetILNS1_3genE10ELNS1_11target_archE1200ELNS1_3gpuE4ELNS1_3repE0EEENS1_30default_config_static_selectorELNS0_4arch9wavefront6targetE0EEEvT1_.num_agpr, 0
	.set _ZN7rocprim17ROCPRIM_400000_NS6detail17trampoline_kernelINS0_14default_configENS1_25partition_config_selectorILNS1_17partition_subalgoE6EdNS0_10empty_typeEbEEZZNS1_14partition_implILS5_6ELb0ES3_mN6thrust23THRUST_200600_302600_NS6detail15normal_iteratorINSA_10device_ptrIdEEEEPS6_SG_NS0_5tupleIJSF_S6_EEENSH_IJSG_SG_EEES6_PlJNSB_9not_fun_tINSB_10functional5actorINSM_9compositeIJNSM_27transparent_binary_operatorINSA_8equal_toIvEEEENSN_INSM_8argumentILj0EEEEENSM_5valueIdEEEEEEEEEEEE10hipError_tPvRmT3_T4_T5_T6_T7_T9_mT8_P12ihipStream_tbDpT10_ENKUlT_T0_E_clISt17integral_constantIbLb1EES1J_IbLb0EEEEDaS1F_S1G_EUlS1F_E_NS1_11comp_targetILNS1_3genE10ELNS1_11target_archE1200ELNS1_3gpuE4ELNS1_3repE0EEENS1_30default_config_static_selectorELNS0_4arch9wavefront6targetE0EEEvT1_.numbered_sgpr, 0
	.set _ZN7rocprim17ROCPRIM_400000_NS6detail17trampoline_kernelINS0_14default_configENS1_25partition_config_selectorILNS1_17partition_subalgoE6EdNS0_10empty_typeEbEEZZNS1_14partition_implILS5_6ELb0ES3_mN6thrust23THRUST_200600_302600_NS6detail15normal_iteratorINSA_10device_ptrIdEEEEPS6_SG_NS0_5tupleIJSF_S6_EEENSH_IJSG_SG_EEES6_PlJNSB_9not_fun_tINSB_10functional5actorINSM_9compositeIJNSM_27transparent_binary_operatorINSA_8equal_toIvEEEENSN_INSM_8argumentILj0EEEEENSM_5valueIdEEEEEEEEEEEE10hipError_tPvRmT3_T4_T5_T6_T7_T9_mT8_P12ihipStream_tbDpT10_ENKUlT_T0_E_clISt17integral_constantIbLb1EES1J_IbLb0EEEEDaS1F_S1G_EUlS1F_E_NS1_11comp_targetILNS1_3genE10ELNS1_11target_archE1200ELNS1_3gpuE4ELNS1_3repE0EEENS1_30default_config_static_selectorELNS0_4arch9wavefront6targetE0EEEvT1_.num_named_barrier, 0
	.set _ZN7rocprim17ROCPRIM_400000_NS6detail17trampoline_kernelINS0_14default_configENS1_25partition_config_selectorILNS1_17partition_subalgoE6EdNS0_10empty_typeEbEEZZNS1_14partition_implILS5_6ELb0ES3_mN6thrust23THRUST_200600_302600_NS6detail15normal_iteratorINSA_10device_ptrIdEEEEPS6_SG_NS0_5tupleIJSF_S6_EEENSH_IJSG_SG_EEES6_PlJNSB_9not_fun_tINSB_10functional5actorINSM_9compositeIJNSM_27transparent_binary_operatorINSA_8equal_toIvEEEENSN_INSM_8argumentILj0EEEEENSM_5valueIdEEEEEEEEEEEE10hipError_tPvRmT3_T4_T5_T6_T7_T9_mT8_P12ihipStream_tbDpT10_ENKUlT_T0_E_clISt17integral_constantIbLb1EES1J_IbLb0EEEEDaS1F_S1G_EUlS1F_E_NS1_11comp_targetILNS1_3genE10ELNS1_11target_archE1200ELNS1_3gpuE4ELNS1_3repE0EEENS1_30default_config_static_selectorELNS0_4arch9wavefront6targetE0EEEvT1_.private_seg_size, 0
	.set _ZN7rocprim17ROCPRIM_400000_NS6detail17trampoline_kernelINS0_14default_configENS1_25partition_config_selectorILNS1_17partition_subalgoE6EdNS0_10empty_typeEbEEZZNS1_14partition_implILS5_6ELb0ES3_mN6thrust23THRUST_200600_302600_NS6detail15normal_iteratorINSA_10device_ptrIdEEEEPS6_SG_NS0_5tupleIJSF_S6_EEENSH_IJSG_SG_EEES6_PlJNSB_9not_fun_tINSB_10functional5actorINSM_9compositeIJNSM_27transparent_binary_operatorINSA_8equal_toIvEEEENSN_INSM_8argumentILj0EEEEENSM_5valueIdEEEEEEEEEEEE10hipError_tPvRmT3_T4_T5_T6_T7_T9_mT8_P12ihipStream_tbDpT10_ENKUlT_T0_E_clISt17integral_constantIbLb1EES1J_IbLb0EEEEDaS1F_S1G_EUlS1F_E_NS1_11comp_targetILNS1_3genE10ELNS1_11target_archE1200ELNS1_3gpuE4ELNS1_3repE0EEENS1_30default_config_static_selectorELNS0_4arch9wavefront6targetE0EEEvT1_.uses_vcc, 0
	.set _ZN7rocprim17ROCPRIM_400000_NS6detail17trampoline_kernelINS0_14default_configENS1_25partition_config_selectorILNS1_17partition_subalgoE6EdNS0_10empty_typeEbEEZZNS1_14partition_implILS5_6ELb0ES3_mN6thrust23THRUST_200600_302600_NS6detail15normal_iteratorINSA_10device_ptrIdEEEEPS6_SG_NS0_5tupleIJSF_S6_EEENSH_IJSG_SG_EEES6_PlJNSB_9not_fun_tINSB_10functional5actorINSM_9compositeIJNSM_27transparent_binary_operatorINSA_8equal_toIvEEEENSN_INSM_8argumentILj0EEEEENSM_5valueIdEEEEEEEEEEEE10hipError_tPvRmT3_T4_T5_T6_T7_T9_mT8_P12ihipStream_tbDpT10_ENKUlT_T0_E_clISt17integral_constantIbLb1EES1J_IbLb0EEEEDaS1F_S1G_EUlS1F_E_NS1_11comp_targetILNS1_3genE10ELNS1_11target_archE1200ELNS1_3gpuE4ELNS1_3repE0EEENS1_30default_config_static_selectorELNS0_4arch9wavefront6targetE0EEEvT1_.uses_flat_scratch, 0
	.set _ZN7rocprim17ROCPRIM_400000_NS6detail17trampoline_kernelINS0_14default_configENS1_25partition_config_selectorILNS1_17partition_subalgoE6EdNS0_10empty_typeEbEEZZNS1_14partition_implILS5_6ELb0ES3_mN6thrust23THRUST_200600_302600_NS6detail15normal_iteratorINSA_10device_ptrIdEEEEPS6_SG_NS0_5tupleIJSF_S6_EEENSH_IJSG_SG_EEES6_PlJNSB_9not_fun_tINSB_10functional5actorINSM_9compositeIJNSM_27transparent_binary_operatorINSA_8equal_toIvEEEENSN_INSM_8argumentILj0EEEEENSM_5valueIdEEEEEEEEEEEE10hipError_tPvRmT3_T4_T5_T6_T7_T9_mT8_P12ihipStream_tbDpT10_ENKUlT_T0_E_clISt17integral_constantIbLb1EES1J_IbLb0EEEEDaS1F_S1G_EUlS1F_E_NS1_11comp_targetILNS1_3genE10ELNS1_11target_archE1200ELNS1_3gpuE4ELNS1_3repE0EEENS1_30default_config_static_selectorELNS0_4arch9wavefront6targetE0EEEvT1_.has_dyn_sized_stack, 0
	.set _ZN7rocprim17ROCPRIM_400000_NS6detail17trampoline_kernelINS0_14default_configENS1_25partition_config_selectorILNS1_17partition_subalgoE6EdNS0_10empty_typeEbEEZZNS1_14partition_implILS5_6ELb0ES3_mN6thrust23THRUST_200600_302600_NS6detail15normal_iteratorINSA_10device_ptrIdEEEEPS6_SG_NS0_5tupleIJSF_S6_EEENSH_IJSG_SG_EEES6_PlJNSB_9not_fun_tINSB_10functional5actorINSM_9compositeIJNSM_27transparent_binary_operatorINSA_8equal_toIvEEEENSN_INSM_8argumentILj0EEEEENSM_5valueIdEEEEEEEEEEEE10hipError_tPvRmT3_T4_T5_T6_T7_T9_mT8_P12ihipStream_tbDpT10_ENKUlT_T0_E_clISt17integral_constantIbLb1EES1J_IbLb0EEEEDaS1F_S1G_EUlS1F_E_NS1_11comp_targetILNS1_3genE10ELNS1_11target_archE1200ELNS1_3gpuE4ELNS1_3repE0EEENS1_30default_config_static_selectorELNS0_4arch9wavefront6targetE0EEEvT1_.has_recursion, 0
	.set _ZN7rocprim17ROCPRIM_400000_NS6detail17trampoline_kernelINS0_14default_configENS1_25partition_config_selectorILNS1_17partition_subalgoE6EdNS0_10empty_typeEbEEZZNS1_14partition_implILS5_6ELb0ES3_mN6thrust23THRUST_200600_302600_NS6detail15normal_iteratorINSA_10device_ptrIdEEEEPS6_SG_NS0_5tupleIJSF_S6_EEENSH_IJSG_SG_EEES6_PlJNSB_9not_fun_tINSB_10functional5actorINSM_9compositeIJNSM_27transparent_binary_operatorINSA_8equal_toIvEEEENSN_INSM_8argumentILj0EEEEENSM_5valueIdEEEEEEEEEEEE10hipError_tPvRmT3_T4_T5_T6_T7_T9_mT8_P12ihipStream_tbDpT10_ENKUlT_T0_E_clISt17integral_constantIbLb1EES1J_IbLb0EEEEDaS1F_S1G_EUlS1F_E_NS1_11comp_targetILNS1_3genE10ELNS1_11target_archE1200ELNS1_3gpuE4ELNS1_3repE0EEENS1_30default_config_static_selectorELNS0_4arch9wavefront6targetE0EEEvT1_.has_indirect_call, 0
	.section	.AMDGPU.csdata,"",@progbits
; Kernel info:
; codeLenInByte = 4
; TotalNumSgprs: 0
; NumVgprs: 0
; ScratchSize: 0
; MemoryBound: 0
; FloatMode: 240
; IeeeMode: 1
; LDSByteSize: 0 bytes/workgroup (compile time only)
; SGPRBlocks: 0
; VGPRBlocks: 0
; NumSGPRsForWavesPerEU: 1
; NumVGPRsForWavesPerEU: 1
; Occupancy: 16
; WaveLimiterHint : 0
; COMPUTE_PGM_RSRC2:SCRATCH_EN: 0
; COMPUTE_PGM_RSRC2:USER_SGPR: 2
; COMPUTE_PGM_RSRC2:TRAP_HANDLER: 0
; COMPUTE_PGM_RSRC2:TGID_X_EN: 1
; COMPUTE_PGM_RSRC2:TGID_Y_EN: 0
; COMPUTE_PGM_RSRC2:TGID_Z_EN: 0
; COMPUTE_PGM_RSRC2:TIDIG_COMP_CNT: 0
	.section	.text._ZN7rocprim17ROCPRIM_400000_NS6detail17trampoline_kernelINS0_14default_configENS1_25partition_config_selectorILNS1_17partition_subalgoE6EdNS0_10empty_typeEbEEZZNS1_14partition_implILS5_6ELb0ES3_mN6thrust23THRUST_200600_302600_NS6detail15normal_iteratorINSA_10device_ptrIdEEEEPS6_SG_NS0_5tupleIJSF_S6_EEENSH_IJSG_SG_EEES6_PlJNSB_9not_fun_tINSB_10functional5actorINSM_9compositeIJNSM_27transparent_binary_operatorINSA_8equal_toIvEEEENSN_INSM_8argumentILj0EEEEENSM_5valueIdEEEEEEEEEEEE10hipError_tPvRmT3_T4_T5_T6_T7_T9_mT8_P12ihipStream_tbDpT10_ENKUlT_T0_E_clISt17integral_constantIbLb1EES1J_IbLb0EEEEDaS1F_S1G_EUlS1F_E_NS1_11comp_targetILNS1_3genE9ELNS1_11target_archE1100ELNS1_3gpuE3ELNS1_3repE0EEENS1_30default_config_static_selectorELNS0_4arch9wavefront6targetE0EEEvT1_,"axG",@progbits,_ZN7rocprim17ROCPRIM_400000_NS6detail17trampoline_kernelINS0_14default_configENS1_25partition_config_selectorILNS1_17partition_subalgoE6EdNS0_10empty_typeEbEEZZNS1_14partition_implILS5_6ELb0ES3_mN6thrust23THRUST_200600_302600_NS6detail15normal_iteratorINSA_10device_ptrIdEEEEPS6_SG_NS0_5tupleIJSF_S6_EEENSH_IJSG_SG_EEES6_PlJNSB_9not_fun_tINSB_10functional5actorINSM_9compositeIJNSM_27transparent_binary_operatorINSA_8equal_toIvEEEENSN_INSM_8argumentILj0EEEEENSM_5valueIdEEEEEEEEEEEE10hipError_tPvRmT3_T4_T5_T6_T7_T9_mT8_P12ihipStream_tbDpT10_ENKUlT_T0_E_clISt17integral_constantIbLb1EES1J_IbLb0EEEEDaS1F_S1G_EUlS1F_E_NS1_11comp_targetILNS1_3genE9ELNS1_11target_archE1100ELNS1_3gpuE3ELNS1_3repE0EEENS1_30default_config_static_selectorELNS0_4arch9wavefront6targetE0EEEvT1_,comdat
	.protected	_ZN7rocprim17ROCPRIM_400000_NS6detail17trampoline_kernelINS0_14default_configENS1_25partition_config_selectorILNS1_17partition_subalgoE6EdNS0_10empty_typeEbEEZZNS1_14partition_implILS5_6ELb0ES3_mN6thrust23THRUST_200600_302600_NS6detail15normal_iteratorINSA_10device_ptrIdEEEEPS6_SG_NS0_5tupleIJSF_S6_EEENSH_IJSG_SG_EEES6_PlJNSB_9not_fun_tINSB_10functional5actorINSM_9compositeIJNSM_27transparent_binary_operatorINSA_8equal_toIvEEEENSN_INSM_8argumentILj0EEEEENSM_5valueIdEEEEEEEEEEEE10hipError_tPvRmT3_T4_T5_T6_T7_T9_mT8_P12ihipStream_tbDpT10_ENKUlT_T0_E_clISt17integral_constantIbLb1EES1J_IbLb0EEEEDaS1F_S1G_EUlS1F_E_NS1_11comp_targetILNS1_3genE9ELNS1_11target_archE1100ELNS1_3gpuE3ELNS1_3repE0EEENS1_30default_config_static_selectorELNS0_4arch9wavefront6targetE0EEEvT1_ ; -- Begin function _ZN7rocprim17ROCPRIM_400000_NS6detail17trampoline_kernelINS0_14default_configENS1_25partition_config_selectorILNS1_17partition_subalgoE6EdNS0_10empty_typeEbEEZZNS1_14partition_implILS5_6ELb0ES3_mN6thrust23THRUST_200600_302600_NS6detail15normal_iteratorINSA_10device_ptrIdEEEEPS6_SG_NS0_5tupleIJSF_S6_EEENSH_IJSG_SG_EEES6_PlJNSB_9not_fun_tINSB_10functional5actorINSM_9compositeIJNSM_27transparent_binary_operatorINSA_8equal_toIvEEEENSN_INSM_8argumentILj0EEEEENSM_5valueIdEEEEEEEEEEEE10hipError_tPvRmT3_T4_T5_T6_T7_T9_mT8_P12ihipStream_tbDpT10_ENKUlT_T0_E_clISt17integral_constantIbLb1EES1J_IbLb0EEEEDaS1F_S1G_EUlS1F_E_NS1_11comp_targetILNS1_3genE9ELNS1_11target_archE1100ELNS1_3gpuE3ELNS1_3repE0EEENS1_30default_config_static_selectorELNS0_4arch9wavefront6targetE0EEEvT1_
	.globl	_ZN7rocprim17ROCPRIM_400000_NS6detail17trampoline_kernelINS0_14default_configENS1_25partition_config_selectorILNS1_17partition_subalgoE6EdNS0_10empty_typeEbEEZZNS1_14partition_implILS5_6ELb0ES3_mN6thrust23THRUST_200600_302600_NS6detail15normal_iteratorINSA_10device_ptrIdEEEEPS6_SG_NS0_5tupleIJSF_S6_EEENSH_IJSG_SG_EEES6_PlJNSB_9not_fun_tINSB_10functional5actorINSM_9compositeIJNSM_27transparent_binary_operatorINSA_8equal_toIvEEEENSN_INSM_8argumentILj0EEEEENSM_5valueIdEEEEEEEEEEEE10hipError_tPvRmT3_T4_T5_T6_T7_T9_mT8_P12ihipStream_tbDpT10_ENKUlT_T0_E_clISt17integral_constantIbLb1EES1J_IbLb0EEEEDaS1F_S1G_EUlS1F_E_NS1_11comp_targetILNS1_3genE9ELNS1_11target_archE1100ELNS1_3gpuE3ELNS1_3repE0EEENS1_30default_config_static_selectorELNS0_4arch9wavefront6targetE0EEEvT1_
	.p2align	8
	.type	_ZN7rocprim17ROCPRIM_400000_NS6detail17trampoline_kernelINS0_14default_configENS1_25partition_config_selectorILNS1_17partition_subalgoE6EdNS0_10empty_typeEbEEZZNS1_14partition_implILS5_6ELb0ES3_mN6thrust23THRUST_200600_302600_NS6detail15normal_iteratorINSA_10device_ptrIdEEEEPS6_SG_NS0_5tupleIJSF_S6_EEENSH_IJSG_SG_EEES6_PlJNSB_9not_fun_tINSB_10functional5actorINSM_9compositeIJNSM_27transparent_binary_operatorINSA_8equal_toIvEEEENSN_INSM_8argumentILj0EEEEENSM_5valueIdEEEEEEEEEEEE10hipError_tPvRmT3_T4_T5_T6_T7_T9_mT8_P12ihipStream_tbDpT10_ENKUlT_T0_E_clISt17integral_constantIbLb1EES1J_IbLb0EEEEDaS1F_S1G_EUlS1F_E_NS1_11comp_targetILNS1_3genE9ELNS1_11target_archE1100ELNS1_3gpuE3ELNS1_3repE0EEENS1_30default_config_static_selectorELNS0_4arch9wavefront6targetE0EEEvT1_,@function
_ZN7rocprim17ROCPRIM_400000_NS6detail17trampoline_kernelINS0_14default_configENS1_25partition_config_selectorILNS1_17partition_subalgoE6EdNS0_10empty_typeEbEEZZNS1_14partition_implILS5_6ELb0ES3_mN6thrust23THRUST_200600_302600_NS6detail15normal_iteratorINSA_10device_ptrIdEEEEPS6_SG_NS0_5tupleIJSF_S6_EEENSH_IJSG_SG_EEES6_PlJNSB_9not_fun_tINSB_10functional5actorINSM_9compositeIJNSM_27transparent_binary_operatorINSA_8equal_toIvEEEENSN_INSM_8argumentILj0EEEEENSM_5valueIdEEEEEEEEEEEE10hipError_tPvRmT3_T4_T5_T6_T7_T9_mT8_P12ihipStream_tbDpT10_ENKUlT_T0_E_clISt17integral_constantIbLb1EES1J_IbLb0EEEEDaS1F_S1G_EUlS1F_E_NS1_11comp_targetILNS1_3genE9ELNS1_11target_archE1100ELNS1_3gpuE3ELNS1_3repE0EEENS1_30default_config_static_selectorELNS0_4arch9wavefront6targetE0EEEvT1_: ; @_ZN7rocprim17ROCPRIM_400000_NS6detail17trampoline_kernelINS0_14default_configENS1_25partition_config_selectorILNS1_17partition_subalgoE6EdNS0_10empty_typeEbEEZZNS1_14partition_implILS5_6ELb0ES3_mN6thrust23THRUST_200600_302600_NS6detail15normal_iteratorINSA_10device_ptrIdEEEEPS6_SG_NS0_5tupleIJSF_S6_EEENSH_IJSG_SG_EEES6_PlJNSB_9not_fun_tINSB_10functional5actorINSM_9compositeIJNSM_27transparent_binary_operatorINSA_8equal_toIvEEEENSN_INSM_8argumentILj0EEEEENSM_5valueIdEEEEEEEEEEEE10hipError_tPvRmT3_T4_T5_T6_T7_T9_mT8_P12ihipStream_tbDpT10_ENKUlT_T0_E_clISt17integral_constantIbLb1EES1J_IbLb0EEEEDaS1F_S1G_EUlS1F_E_NS1_11comp_targetILNS1_3genE9ELNS1_11target_archE1100ELNS1_3gpuE3ELNS1_3repE0EEENS1_30default_config_static_selectorELNS0_4arch9wavefront6targetE0EEEvT1_
; %bb.0:
	.section	.rodata,"a",@progbits
	.p2align	6, 0x0
	.amdhsa_kernel _ZN7rocprim17ROCPRIM_400000_NS6detail17trampoline_kernelINS0_14default_configENS1_25partition_config_selectorILNS1_17partition_subalgoE6EdNS0_10empty_typeEbEEZZNS1_14partition_implILS5_6ELb0ES3_mN6thrust23THRUST_200600_302600_NS6detail15normal_iteratorINSA_10device_ptrIdEEEEPS6_SG_NS0_5tupleIJSF_S6_EEENSH_IJSG_SG_EEES6_PlJNSB_9not_fun_tINSB_10functional5actorINSM_9compositeIJNSM_27transparent_binary_operatorINSA_8equal_toIvEEEENSN_INSM_8argumentILj0EEEEENSM_5valueIdEEEEEEEEEEEE10hipError_tPvRmT3_T4_T5_T6_T7_T9_mT8_P12ihipStream_tbDpT10_ENKUlT_T0_E_clISt17integral_constantIbLb1EES1J_IbLb0EEEEDaS1F_S1G_EUlS1F_E_NS1_11comp_targetILNS1_3genE9ELNS1_11target_archE1100ELNS1_3gpuE3ELNS1_3repE0EEENS1_30default_config_static_selectorELNS0_4arch9wavefront6targetE0EEEvT1_
		.amdhsa_group_segment_fixed_size 0
		.amdhsa_private_segment_fixed_size 0
		.amdhsa_kernarg_size 128
		.amdhsa_user_sgpr_count 2
		.amdhsa_user_sgpr_dispatch_ptr 0
		.amdhsa_user_sgpr_queue_ptr 0
		.amdhsa_user_sgpr_kernarg_segment_ptr 1
		.amdhsa_user_sgpr_dispatch_id 0
		.amdhsa_user_sgpr_private_segment_size 0
		.amdhsa_wavefront_size32 1
		.amdhsa_uses_dynamic_stack 0
		.amdhsa_enable_private_segment 0
		.amdhsa_system_sgpr_workgroup_id_x 1
		.amdhsa_system_sgpr_workgroup_id_y 0
		.amdhsa_system_sgpr_workgroup_id_z 0
		.amdhsa_system_sgpr_workgroup_info 0
		.amdhsa_system_vgpr_workitem_id 0
		.amdhsa_next_free_vgpr 1
		.amdhsa_next_free_sgpr 1
		.amdhsa_reserve_vcc 0
		.amdhsa_float_round_mode_32 0
		.amdhsa_float_round_mode_16_64 0
		.amdhsa_float_denorm_mode_32 3
		.amdhsa_float_denorm_mode_16_64 3
		.amdhsa_fp16_overflow 0
		.amdhsa_workgroup_processor_mode 1
		.amdhsa_memory_ordered 1
		.amdhsa_forward_progress 1
		.amdhsa_inst_pref_size 0
		.amdhsa_round_robin_scheduling 0
		.amdhsa_exception_fp_ieee_invalid_op 0
		.amdhsa_exception_fp_denorm_src 0
		.amdhsa_exception_fp_ieee_div_zero 0
		.amdhsa_exception_fp_ieee_overflow 0
		.amdhsa_exception_fp_ieee_underflow 0
		.amdhsa_exception_fp_ieee_inexact 0
		.amdhsa_exception_int_div_zero 0
	.end_amdhsa_kernel
	.section	.text._ZN7rocprim17ROCPRIM_400000_NS6detail17trampoline_kernelINS0_14default_configENS1_25partition_config_selectorILNS1_17partition_subalgoE6EdNS0_10empty_typeEbEEZZNS1_14partition_implILS5_6ELb0ES3_mN6thrust23THRUST_200600_302600_NS6detail15normal_iteratorINSA_10device_ptrIdEEEEPS6_SG_NS0_5tupleIJSF_S6_EEENSH_IJSG_SG_EEES6_PlJNSB_9not_fun_tINSB_10functional5actorINSM_9compositeIJNSM_27transparent_binary_operatorINSA_8equal_toIvEEEENSN_INSM_8argumentILj0EEEEENSM_5valueIdEEEEEEEEEEEE10hipError_tPvRmT3_T4_T5_T6_T7_T9_mT8_P12ihipStream_tbDpT10_ENKUlT_T0_E_clISt17integral_constantIbLb1EES1J_IbLb0EEEEDaS1F_S1G_EUlS1F_E_NS1_11comp_targetILNS1_3genE9ELNS1_11target_archE1100ELNS1_3gpuE3ELNS1_3repE0EEENS1_30default_config_static_selectorELNS0_4arch9wavefront6targetE0EEEvT1_,"axG",@progbits,_ZN7rocprim17ROCPRIM_400000_NS6detail17trampoline_kernelINS0_14default_configENS1_25partition_config_selectorILNS1_17partition_subalgoE6EdNS0_10empty_typeEbEEZZNS1_14partition_implILS5_6ELb0ES3_mN6thrust23THRUST_200600_302600_NS6detail15normal_iteratorINSA_10device_ptrIdEEEEPS6_SG_NS0_5tupleIJSF_S6_EEENSH_IJSG_SG_EEES6_PlJNSB_9not_fun_tINSB_10functional5actorINSM_9compositeIJNSM_27transparent_binary_operatorINSA_8equal_toIvEEEENSN_INSM_8argumentILj0EEEEENSM_5valueIdEEEEEEEEEEEE10hipError_tPvRmT3_T4_T5_T6_T7_T9_mT8_P12ihipStream_tbDpT10_ENKUlT_T0_E_clISt17integral_constantIbLb1EES1J_IbLb0EEEEDaS1F_S1G_EUlS1F_E_NS1_11comp_targetILNS1_3genE9ELNS1_11target_archE1100ELNS1_3gpuE3ELNS1_3repE0EEENS1_30default_config_static_selectorELNS0_4arch9wavefront6targetE0EEEvT1_,comdat
.Lfunc_end35:
	.size	_ZN7rocprim17ROCPRIM_400000_NS6detail17trampoline_kernelINS0_14default_configENS1_25partition_config_selectorILNS1_17partition_subalgoE6EdNS0_10empty_typeEbEEZZNS1_14partition_implILS5_6ELb0ES3_mN6thrust23THRUST_200600_302600_NS6detail15normal_iteratorINSA_10device_ptrIdEEEEPS6_SG_NS0_5tupleIJSF_S6_EEENSH_IJSG_SG_EEES6_PlJNSB_9not_fun_tINSB_10functional5actorINSM_9compositeIJNSM_27transparent_binary_operatorINSA_8equal_toIvEEEENSN_INSM_8argumentILj0EEEEENSM_5valueIdEEEEEEEEEEEE10hipError_tPvRmT3_T4_T5_T6_T7_T9_mT8_P12ihipStream_tbDpT10_ENKUlT_T0_E_clISt17integral_constantIbLb1EES1J_IbLb0EEEEDaS1F_S1G_EUlS1F_E_NS1_11comp_targetILNS1_3genE9ELNS1_11target_archE1100ELNS1_3gpuE3ELNS1_3repE0EEENS1_30default_config_static_selectorELNS0_4arch9wavefront6targetE0EEEvT1_, .Lfunc_end35-_ZN7rocprim17ROCPRIM_400000_NS6detail17trampoline_kernelINS0_14default_configENS1_25partition_config_selectorILNS1_17partition_subalgoE6EdNS0_10empty_typeEbEEZZNS1_14partition_implILS5_6ELb0ES3_mN6thrust23THRUST_200600_302600_NS6detail15normal_iteratorINSA_10device_ptrIdEEEEPS6_SG_NS0_5tupleIJSF_S6_EEENSH_IJSG_SG_EEES6_PlJNSB_9not_fun_tINSB_10functional5actorINSM_9compositeIJNSM_27transparent_binary_operatorINSA_8equal_toIvEEEENSN_INSM_8argumentILj0EEEEENSM_5valueIdEEEEEEEEEEEE10hipError_tPvRmT3_T4_T5_T6_T7_T9_mT8_P12ihipStream_tbDpT10_ENKUlT_T0_E_clISt17integral_constantIbLb1EES1J_IbLb0EEEEDaS1F_S1G_EUlS1F_E_NS1_11comp_targetILNS1_3genE9ELNS1_11target_archE1100ELNS1_3gpuE3ELNS1_3repE0EEENS1_30default_config_static_selectorELNS0_4arch9wavefront6targetE0EEEvT1_
                                        ; -- End function
	.set _ZN7rocprim17ROCPRIM_400000_NS6detail17trampoline_kernelINS0_14default_configENS1_25partition_config_selectorILNS1_17partition_subalgoE6EdNS0_10empty_typeEbEEZZNS1_14partition_implILS5_6ELb0ES3_mN6thrust23THRUST_200600_302600_NS6detail15normal_iteratorINSA_10device_ptrIdEEEEPS6_SG_NS0_5tupleIJSF_S6_EEENSH_IJSG_SG_EEES6_PlJNSB_9not_fun_tINSB_10functional5actorINSM_9compositeIJNSM_27transparent_binary_operatorINSA_8equal_toIvEEEENSN_INSM_8argumentILj0EEEEENSM_5valueIdEEEEEEEEEEEE10hipError_tPvRmT3_T4_T5_T6_T7_T9_mT8_P12ihipStream_tbDpT10_ENKUlT_T0_E_clISt17integral_constantIbLb1EES1J_IbLb0EEEEDaS1F_S1G_EUlS1F_E_NS1_11comp_targetILNS1_3genE9ELNS1_11target_archE1100ELNS1_3gpuE3ELNS1_3repE0EEENS1_30default_config_static_selectorELNS0_4arch9wavefront6targetE0EEEvT1_.num_vgpr, 0
	.set _ZN7rocprim17ROCPRIM_400000_NS6detail17trampoline_kernelINS0_14default_configENS1_25partition_config_selectorILNS1_17partition_subalgoE6EdNS0_10empty_typeEbEEZZNS1_14partition_implILS5_6ELb0ES3_mN6thrust23THRUST_200600_302600_NS6detail15normal_iteratorINSA_10device_ptrIdEEEEPS6_SG_NS0_5tupleIJSF_S6_EEENSH_IJSG_SG_EEES6_PlJNSB_9not_fun_tINSB_10functional5actorINSM_9compositeIJNSM_27transparent_binary_operatorINSA_8equal_toIvEEEENSN_INSM_8argumentILj0EEEEENSM_5valueIdEEEEEEEEEEEE10hipError_tPvRmT3_T4_T5_T6_T7_T9_mT8_P12ihipStream_tbDpT10_ENKUlT_T0_E_clISt17integral_constantIbLb1EES1J_IbLb0EEEEDaS1F_S1G_EUlS1F_E_NS1_11comp_targetILNS1_3genE9ELNS1_11target_archE1100ELNS1_3gpuE3ELNS1_3repE0EEENS1_30default_config_static_selectorELNS0_4arch9wavefront6targetE0EEEvT1_.num_agpr, 0
	.set _ZN7rocprim17ROCPRIM_400000_NS6detail17trampoline_kernelINS0_14default_configENS1_25partition_config_selectorILNS1_17partition_subalgoE6EdNS0_10empty_typeEbEEZZNS1_14partition_implILS5_6ELb0ES3_mN6thrust23THRUST_200600_302600_NS6detail15normal_iteratorINSA_10device_ptrIdEEEEPS6_SG_NS0_5tupleIJSF_S6_EEENSH_IJSG_SG_EEES6_PlJNSB_9not_fun_tINSB_10functional5actorINSM_9compositeIJNSM_27transparent_binary_operatorINSA_8equal_toIvEEEENSN_INSM_8argumentILj0EEEEENSM_5valueIdEEEEEEEEEEEE10hipError_tPvRmT3_T4_T5_T6_T7_T9_mT8_P12ihipStream_tbDpT10_ENKUlT_T0_E_clISt17integral_constantIbLb1EES1J_IbLb0EEEEDaS1F_S1G_EUlS1F_E_NS1_11comp_targetILNS1_3genE9ELNS1_11target_archE1100ELNS1_3gpuE3ELNS1_3repE0EEENS1_30default_config_static_selectorELNS0_4arch9wavefront6targetE0EEEvT1_.numbered_sgpr, 0
	.set _ZN7rocprim17ROCPRIM_400000_NS6detail17trampoline_kernelINS0_14default_configENS1_25partition_config_selectorILNS1_17partition_subalgoE6EdNS0_10empty_typeEbEEZZNS1_14partition_implILS5_6ELb0ES3_mN6thrust23THRUST_200600_302600_NS6detail15normal_iteratorINSA_10device_ptrIdEEEEPS6_SG_NS0_5tupleIJSF_S6_EEENSH_IJSG_SG_EEES6_PlJNSB_9not_fun_tINSB_10functional5actorINSM_9compositeIJNSM_27transparent_binary_operatorINSA_8equal_toIvEEEENSN_INSM_8argumentILj0EEEEENSM_5valueIdEEEEEEEEEEEE10hipError_tPvRmT3_T4_T5_T6_T7_T9_mT8_P12ihipStream_tbDpT10_ENKUlT_T0_E_clISt17integral_constantIbLb1EES1J_IbLb0EEEEDaS1F_S1G_EUlS1F_E_NS1_11comp_targetILNS1_3genE9ELNS1_11target_archE1100ELNS1_3gpuE3ELNS1_3repE0EEENS1_30default_config_static_selectorELNS0_4arch9wavefront6targetE0EEEvT1_.num_named_barrier, 0
	.set _ZN7rocprim17ROCPRIM_400000_NS6detail17trampoline_kernelINS0_14default_configENS1_25partition_config_selectorILNS1_17partition_subalgoE6EdNS0_10empty_typeEbEEZZNS1_14partition_implILS5_6ELb0ES3_mN6thrust23THRUST_200600_302600_NS6detail15normal_iteratorINSA_10device_ptrIdEEEEPS6_SG_NS0_5tupleIJSF_S6_EEENSH_IJSG_SG_EEES6_PlJNSB_9not_fun_tINSB_10functional5actorINSM_9compositeIJNSM_27transparent_binary_operatorINSA_8equal_toIvEEEENSN_INSM_8argumentILj0EEEEENSM_5valueIdEEEEEEEEEEEE10hipError_tPvRmT3_T4_T5_T6_T7_T9_mT8_P12ihipStream_tbDpT10_ENKUlT_T0_E_clISt17integral_constantIbLb1EES1J_IbLb0EEEEDaS1F_S1G_EUlS1F_E_NS1_11comp_targetILNS1_3genE9ELNS1_11target_archE1100ELNS1_3gpuE3ELNS1_3repE0EEENS1_30default_config_static_selectorELNS0_4arch9wavefront6targetE0EEEvT1_.private_seg_size, 0
	.set _ZN7rocprim17ROCPRIM_400000_NS6detail17trampoline_kernelINS0_14default_configENS1_25partition_config_selectorILNS1_17partition_subalgoE6EdNS0_10empty_typeEbEEZZNS1_14partition_implILS5_6ELb0ES3_mN6thrust23THRUST_200600_302600_NS6detail15normal_iteratorINSA_10device_ptrIdEEEEPS6_SG_NS0_5tupleIJSF_S6_EEENSH_IJSG_SG_EEES6_PlJNSB_9not_fun_tINSB_10functional5actorINSM_9compositeIJNSM_27transparent_binary_operatorINSA_8equal_toIvEEEENSN_INSM_8argumentILj0EEEEENSM_5valueIdEEEEEEEEEEEE10hipError_tPvRmT3_T4_T5_T6_T7_T9_mT8_P12ihipStream_tbDpT10_ENKUlT_T0_E_clISt17integral_constantIbLb1EES1J_IbLb0EEEEDaS1F_S1G_EUlS1F_E_NS1_11comp_targetILNS1_3genE9ELNS1_11target_archE1100ELNS1_3gpuE3ELNS1_3repE0EEENS1_30default_config_static_selectorELNS0_4arch9wavefront6targetE0EEEvT1_.uses_vcc, 0
	.set _ZN7rocprim17ROCPRIM_400000_NS6detail17trampoline_kernelINS0_14default_configENS1_25partition_config_selectorILNS1_17partition_subalgoE6EdNS0_10empty_typeEbEEZZNS1_14partition_implILS5_6ELb0ES3_mN6thrust23THRUST_200600_302600_NS6detail15normal_iteratorINSA_10device_ptrIdEEEEPS6_SG_NS0_5tupleIJSF_S6_EEENSH_IJSG_SG_EEES6_PlJNSB_9not_fun_tINSB_10functional5actorINSM_9compositeIJNSM_27transparent_binary_operatorINSA_8equal_toIvEEEENSN_INSM_8argumentILj0EEEEENSM_5valueIdEEEEEEEEEEEE10hipError_tPvRmT3_T4_T5_T6_T7_T9_mT8_P12ihipStream_tbDpT10_ENKUlT_T0_E_clISt17integral_constantIbLb1EES1J_IbLb0EEEEDaS1F_S1G_EUlS1F_E_NS1_11comp_targetILNS1_3genE9ELNS1_11target_archE1100ELNS1_3gpuE3ELNS1_3repE0EEENS1_30default_config_static_selectorELNS0_4arch9wavefront6targetE0EEEvT1_.uses_flat_scratch, 0
	.set _ZN7rocprim17ROCPRIM_400000_NS6detail17trampoline_kernelINS0_14default_configENS1_25partition_config_selectorILNS1_17partition_subalgoE6EdNS0_10empty_typeEbEEZZNS1_14partition_implILS5_6ELb0ES3_mN6thrust23THRUST_200600_302600_NS6detail15normal_iteratorINSA_10device_ptrIdEEEEPS6_SG_NS0_5tupleIJSF_S6_EEENSH_IJSG_SG_EEES6_PlJNSB_9not_fun_tINSB_10functional5actorINSM_9compositeIJNSM_27transparent_binary_operatorINSA_8equal_toIvEEEENSN_INSM_8argumentILj0EEEEENSM_5valueIdEEEEEEEEEEEE10hipError_tPvRmT3_T4_T5_T6_T7_T9_mT8_P12ihipStream_tbDpT10_ENKUlT_T0_E_clISt17integral_constantIbLb1EES1J_IbLb0EEEEDaS1F_S1G_EUlS1F_E_NS1_11comp_targetILNS1_3genE9ELNS1_11target_archE1100ELNS1_3gpuE3ELNS1_3repE0EEENS1_30default_config_static_selectorELNS0_4arch9wavefront6targetE0EEEvT1_.has_dyn_sized_stack, 0
	.set _ZN7rocprim17ROCPRIM_400000_NS6detail17trampoline_kernelINS0_14default_configENS1_25partition_config_selectorILNS1_17partition_subalgoE6EdNS0_10empty_typeEbEEZZNS1_14partition_implILS5_6ELb0ES3_mN6thrust23THRUST_200600_302600_NS6detail15normal_iteratorINSA_10device_ptrIdEEEEPS6_SG_NS0_5tupleIJSF_S6_EEENSH_IJSG_SG_EEES6_PlJNSB_9not_fun_tINSB_10functional5actorINSM_9compositeIJNSM_27transparent_binary_operatorINSA_8equal_toIvEEEENSN_INSM_8argumentILj0EEEEENSM_5valueIdEEEEEEEEEEEE10hipError_tPvRmT3_T4_T5_T6_T7_T9_mT8_P12ihipStream_tbDpT10_ENKUlT_T0_E_clISt17integral_constantIbLb1EES1J_IbLb0EEEEDaS1F_S1G_EUlS1F_E_NS1_11comp_targetILNS1_3genE9ELNS1_11target_archE1100ELNS1_3gpuE3ELNS1_3repE0EEENS1_30default_config_static_selectorELNS0_4arch9wavefront6targetE0EEEvT1_.has_recursion, 0
	.set _ZN7rocprim17ROCPRIM_400000_NS6detail17trampoline_kernelINS0_14default_configENS1_25partition_config_selectorILNS1_17partition_subalgoE6EdNS0_10empty_typeEbEEZZNS1_14partition_implILS5_6ELb0ES3_mN6thrust23THRUST_200600_302600_NS6detail15normal_iteratorINSA_10device_ptrIdEEEEPS6_SG_NS0_5tupleIJSF_S6_EEENSH_IJSG_SG_EEES6_PlJNSB_9not_fun_tINSB_10functional5actorINSM_9compositeIJNSM_27transparent_binary_operatorINSA_8equal_toIvEEEENSN_INSM_8argumentILj0EEEEENSM_5valueIdEEEEEEEEEEEE10hipError_tPvRmT3_T4_T5_T6_T7_T9_mT8_P12ihipStream_tbDpT10_ENKUlT_T0_E_clISt17integral_constantIbLb1EES1J_IbLb0EEEEDaS1F_S1G_EUlS1F_E_NS1_11comp_targetILNS1_3genE9ELNS1_11target_archE1100ELNS1_3gpuE3ELNS1_3repE0EEENS1_30default_config_static_selectorELNS0_4arch9wavefront6targetE0EEEvT1_.has_indirect_call, 0
	.section	.AMDGPU.csdata,"",@progbits
; Kernel info:
; codeLenInByte = 0
; TotalNumSgprs: 0
; NumVgprs: 0
; ScratchSize: 0
; MemoryBound: 0
; FloatMode: 240
; IeeeMode: 1
; LDSByteSize: 0 bytes/workgroup (compile time only)
; SGPRBlocks: 0
; VGPRBlocks: 0
; NumSGPRsForWavesPerEU: 1
; NumVGPRsForWavesPerEU: 1
; Occupancy: 16
; WaveLimiterHint : 0
; COMPUTE_PGM_RSRC2:SCRATCH_EN: 0
; COMPUTE_PGM_RSRC2:USER_SGPR: 2
; COMPUTE_PGM_RSRC2:TRAP_HANDLER: 0
; COMPUTE_PGM_RSRC2:TGID_X_EN: 1
; COMPUTE_PGM_RSRC2:TGID_Y_EN: 0
; COMPUTE_PGM_RSRC2:TGID_Z_EN: 0
; COMPUTE_PGM_RSRC2:TIDIG_COMP_CNT: 0
	.section	.text._ZN7rocprim17ROCPRIM_400000_NS6detail17trampoline_kernelINS0_14default_configENS1_25partition_config_selectorILNS1_17partition_subalgoE6EdNS0_10empty_typeEbEEZZNS1_14partition_implILS5_6ELb0ES3_mN6thrust23THRUST_200600_302600_NS6detail15normal_iteratorINSA_10device_ptrIdEEEEPS6_SG_NS0_5tupleIJSF_S6_EEENSH_IJSG_SG_EEES6_PlJNSB_9not_fun_tINSB_10functional5actorINSM_9compositeIJNSM_27transparent_binary_operatorINSA_8equal_toIvEEEENSN_INSM_8argumentILj0EEEEENSM_5valueIdEEEEEEEEEEEE10hipError_tPvRmT3_T4_T5_T6_T7_T9_mT8_P12ihipStream_tbDpT10_ENKUlT_T0_E_clISt17integral_constantIbLb1EES1J_IbLb0EEEEDaS1F_S1G_EUlS1F_E_NS1_11comp_targetILNS1_3genE8ELNS1_11target_archE1030ELNS1_3gpuE2ELNS1_3repE0EEENS1_30default_config_static_selectorELNS0_4arch9wavefront6targetE0EEEvT1_,"axG",@progbits,_ZN7rocprim17ROCPRIM_400000_NS6detail17trampoline_kernelINS0_14default_configENS1_25partition_config_selectorILNS1_17partition_subalgoE6EdNS0_10empty_typeEbEEZZNS1_14partition_implILS5_6ELb0ES3_mN6thrust23THRUST_200600_302600_NS6detail15normal_iteratorINSA_10device_ptrIdEEEEPS6_SG_NS0_5tupleIJSF_S6_EEENSH_IJSG_SG_EEES6_PlJNSB_9not_fun_tINSB_10functional5actorINSM_9compositeIJNSM_27transparent_binary_operatorINSA_8equal_toIvEEEENSN_INSM_8argumentILj0EEEEENSM_5valueIdEEEEEEEEEEEE10hipError_tPvRmT3_T4_T5_T6_T7_T9_mT8_P12ihipStream_tbDpT10_ENKUlT_T0_E_clISt17integral_constantIbLb1EES1J_IbLb0EEEEDaS1F_S1G_EUlS1F_E_NS1_11comp_targetILNS1_3genE8ELNS1_11target_archE1030ELNS1_3gpuE2ELNS1_3repE0EEENS1_30default_config_static_selectorELNS0_4arch9wavefront6targetE0EEEvT1_,comdat
	.protected	_ZN7rocprim17ROCPRIM_400000_NS6detail17trampoline_kernelINS0_14default_configENS1_25partition_config_selectorILNS1_17partition_subalgoE6EdNS0_10empty_typeEbEEZZNS1_14partition_implILS5_6ELb0ES3_mN6thrust23THRUST_200600_302600_NS6detail15normal_iteratorINSA_10device_ptrIdEEEEPS6_SG_NS0_5tupleIJSF_S6_EEENSH_IJSG_SG_EEES6_PlJNSB_9not_fun_tINSB_10functional5actorINSM_9compositeIJNSM_27transparent_binary_operatorINSA_8equal_toIvEEEENSN_INSM_8argumentILj0EEEEENSM_5valueIdEEEEEEEEEEEE10hipError_tPvRmT3_T4_T5_T6_T7_T9_mT8_P12ihipStream_tbDpT10_ENKUlT_T0_E_clISt17integral_constantIbLb1EES1J_IbLb0EEEEDaS1F_S1G_EUlS1F_E_NS1_11comp_targetILNS1_3genE8ELNS1_11target_archE1030ELNS1_3gpuE2ELNS1_3repE0EEENS1_30default_config_static_selectorELNS0_4arch9wavefront6targetE0EEEvT1_ ; -- Begin function _ZN7rocprim17ROCPRIM_400000_NS6detail17trampoline_kernelINS0_14default_configENS1_25partition_config_selectorILNS1_17partition_subalgoE6EdNS0_10empty_typeEbEEZZNS1_14partition_implILS5_6ELb0ES3_mN6thrust23THRUST_200600_302600_NS6detail15normal_iteratorINSA_10device_ptrIdEEEEPS6_SG_NS0_5tupleIJSF_S6_EEENSH_IJSG_SG_EEES6_PlJNSB_9not_fun_tINSB_10functional5actorINSM_9compositeIJNSM_27transparent_binary_operatorINSA_8equal_toIvEEEENSN_INSM_8argumentILj0EEEEENSM_5valueIdEEEEEEEEEEEE10hipError_tPvRmT3_T4_T5_T6_T7_T9_mT8_P12ihipStream_tbDpT10_ENKUlT_T0_E_clISt17integral_constantIbLb1EES1J_IbLb0EEEEDaS1F_S1G_EUlS1F_E_NS1_11comp_targetILNS1_3genE8ELNS1_11target_archE1030ELNS1_3gpuE2ELNS1_3repE0EEENS1_30default_config_static_selectorELNS0_4arch9wavefront6targetE0EEEvT1_
	.globl	_ZN7rocprim17ROCPRIM_400000_NS6detail17trampoline_kernelINS0_14default_configENS1_25partition_config_selectorILNS1_17partition_subalgoE6EdNS0_10empty_typeEbEEZZNS1_14partition_implILS5_6ELb0ES3_mN6thrust23THRUST_200600_302600_NS6detail15normal_iteratorINSA_10device_ptrIdEEEEPS6_SG_NS0_5tupleIJSF_S6_EEENSH_IJSG_SG_EEES6_PlJNSB_9not_fun_tINSB_10functional5actorINSM_9compositeIJNSM_27transparent_binary_operatorINSA_8equal_toIvEEEENSN_INSM_8argumentILj0EEEEENSM_5valueIdEEEEEEEEEEEE10hipError_tPvRmT3_T4_T5_T6_T7_T9_mT8_P12ihipStream_tbDpT10_ENKUlT_T0_E_clISt17integral_constantIbLb1EES1J_IbLb0EEEEDaS1F_S1G_EUlS1F_E_NS1_11comp_targetILNS1_3genE8ELNS1_11target_archE1030ELNS1_3gpuE2ELNS1_3repE0EEENS1_30default_config_static_selectorELNS0_4arch9wavefront6targetE0EEEvT1_
	.p2align	8
	.type	_ZN7rocprim17ROCPRIM_400000_NS6detail17trampoline_kernelINS0_14default_configENS1_25partition_config_selectorILNS1_17partition_subalgoE6EdNS0_10empty_typeEbEEZZNS1_14partition_implILS5_6ELb0ES3_mN6thrust23THRUST_200600_302600_NS6detail15normal_iteratorINSA_10device_ptrIdEEEEPS6_SG_NS0_5tupleIJSF_S6_EEENSH_IJSG_SG_EEES6_PlJNSB_9not_fun_tINSB_10functional5actorINSM_9compositeIJNSM_27transparent_binary_operatorINSA_8equal_toIvEEEENSN_INSM_8argumentILj0EEEEENSM_5valueIdEEEEEEEEEEEE10hipError_tPvRmT3_T4_T5_T6_T7_T9_mT8_P12ihipStream_tbDpT10_ENKUlT_T0_E_clISt17integral_constantIbLb1EES1J_IbLb0EEEEDaS1F_S1G_EUlS1F_E_NS1_11comp_targetILNS1_3genE8ELNS1_11target_archE1030ELNS1_3gpuE2ELNS1_3repE0EEENS1_30default_config_static_selectorELNS0_4arch9wavefront6targetE0EEEvT1_,@function
_ZN7rocprim17ROCPRIM_400000_NS6detail17trampoline_kernelINS0_14default_configENS1_25partition_config_selectorILNS1_17partition_subalgoE6EdNS0_10empty_typeEbEEZZNS1_14partition_implILS5_6ELb0ES3_mN6thrust23THRUST_200600_302600_NS6detail15normal_iteratorINSA_10device_ptrIdEEEEPS6_SG_NS0_5tupleIJSF_S6_EEENSH_IJSG_SG_EEES6_PlJNSB_9not_fun_tINSB_10functional5actorINSM_9compositeIJNSM_27transparent_binary_operatorINSA_8equal_toIvEEEENSN_INSM_8argumentILj0EEEEENSM_5valueIdEEEEEEEEEEEE10hipError_tPvRmT3_T4_T5_T6_T7_T9_mT8_P12ihipStream_tbDpT10_ENKUlT_T0_E_clISt17integral_constantIbLb1EES1J_IbLb0EEEEDaS1F_S1G_EUlS1F_E_NS1_11comp_targetILNS1_3genE8ELNS1_11target_archE1030ELNS1_3gpuE2ELNS1_3repE0EEENS1_30default_config_static_selectorELNS0_4arch9wavefront6targetE0EEEvT1_: ; @_ZN7rocprim17ROCPRIM_400000_NS6detail17trampoline_kernelINS0_14default_configENS1_25partition_config_selectorILNS1_17partition_subalgoE6EdNS0_10empty_typeEbEEZZNS1_14partition_implILS5_6ELb0ES3_mN6thrust23THRUST_200600_302600_NS6detail15normal_iteratorINSA_10device_ptrIdEEEEPS6_SG_NS0_5tupleIJSF_S6_EEENSH_IJSG_SG_EEES6_PlJNSB_9not_fun_tINSB_10functional5actorINSM_9compositeIJNSM_27transparent_binary_operatorINSA_8equal_toIvEEEENSN_INSM_8argumentILj0EEEEENSM_5valueIdEEEEEEEEEEEE10hipError_tPvRmT3_T4_T5_T6_T7_T9_mT8_P12ihipStream_tbDpT10_ENKUlT_T0_E_clISt17integral_constantIbLb1EES1J_IbLb0EEEEDaS1F_S1G_EUlS1F_E_NS1_11comp_targetILNS1_3genE8ELNS1_11target_archE1030ELNS1_3gpuE2ELNS1_3repE0EEENS1_30default_config_static_selectorELNS0_4arch9wavefront6targetE0EEEvT1_
; %bb.0:
	.section	.rodata,"a",@progbits
	.p2align	6, 0x0
	.amdhsa_kernel _ZN7rocprim17ROCPRIM_400000_NS6detail17trampoline_kernelINS0_14default_configENS1_25partition_config_selectorILNS1_17partition_subalgoE6EdNS0_10empty_typeEbEEZZNS1_14partition_implILS5_6ELb0ES3_mN6thrust23THRUST_200600_302600_NS6detail15normal_iteratorINSA_10device_ptrIdEEEEPS6_SG_NS0_5tupleIJSF_S6_EEENSH_IJSG_SG_EEES6_PlJNSB_9not_fun_tINSB_10functional5actorINSM_9compositeIJNSM_27transparent_binary_operatorINSA_8equal_toIvEEEENSN_INSM_8argumentILj0EEEEENSM_5valueIdEEEEEEEEEEEE10hipError_tPvRmT3_T4_T5_T6_T7_T9_mT8_P12ihipStream_tbDpT10_ENKUlT_T0_E_clISt17integral_constantIbLb1EES1J_IbLb0EEEEDaS1F_S1G_EUlS1F_E_NS1_11comp_targetILNS1_3genE8ELNS1_11target_archE1030ELNS1_3gpuE2ELNS1_3repE0EEENS1_30default_config_static_selectorELNS0_4arch9wavefront6targetE0EEEvT1_
		.amdhsa_group_segment_fixed_size 0
		.amdhsa_private_segment_fixed_size 0
		.amdhsa_kernarg_size 128
		.amdhsa_user_sgpr_count 2
		.amdhsa_user_sgpr_dispatch_ptr 0
		.amdhsa_user_sgpr_queue_ptr 0
		.amdhsa_user_sgpr_kernarg_segment_ptr 1
		.amdhsa_user_sgpr_dispatch_id 0
		.amdhsa_user_sgpr_private_segment_size 0
		.amdhsa_wavefront_size32 1
		.amdhsa_uses_dynamic_stack 0
		.amdhsa_enable_private_segment 0
		.amdhsa_system_sgpr_workgroup_id_x 1
		.amdhsa_system_sgpr_workgroup_id_y 0
		.amdhsa_system_sgpr_workgroup_id_z 0
		.amdhsa_system_sgpr_workgroup_info 0
		.amdhsa_system_vgpr_workitem_id 0
		.amdhsa_next_free_vgpr 1
		.amdhsa_next_free_sgpr 1
		.amdhsa_reserve_vcc 0
		.amdhsa_float_round_mode_32 0
		.amdhsa_float_round_mode_16_64 0
		.amdhsa_float_denorm_mode_32 3
		.amdhsa_float_denorm_mode_16_64 3
		.amdhsa_fp16_overflow 0
		.amdhsa_workgroup_processor_mode 1
		.amdhsa_memory_ordered 1
		.amdhsa_forward_progress 1
		.amdhsa_inst_pref_size 0
		.amdhsa_round_robin_scheduling 0
		.amdhsa_exception_fp_ieee_invalid_op 0
		.amdhsa_exception_fp_denorm_src 0
		.amdhsa_exception_fp_ieee_div_zero 0
		.amdhsa_exception_fp_ieee_overflow 0
		.amdhsa_exception_fp_ieee_underflow 0
		.amdhsa_exception_fp_ieee_inexact 0
		.amdhsa_exception_int_div_zero 0
	.end_amdhsa_kernel
	.section	.text._ZN7rocprim17ROCPRIM_400000_NS6detail17trampoline_kernelINS0_14default_configENS1_25partition_config_selectorILNS1_17partition_subalgoE6EdNS0_10empty_typeEbEEZZNS1_14partition_implILS5_6ELb0ES3_mN6thrust23THRUST_200600_302600_NS6detail15normal_iteratorINSA_10device_ptrIdEEEEPS6_SG_NS0_5tupleIJSF_S6_EEENSH_IJSG_SG_EEES6_PlJNSB_9not_fun_tINSB_10functional5actorINSM_9compositeIJNSM_27transparent_binary_operatorINSA_8equal_toIvEEEENSN_INSM_8argumentILj0EEEEENSM_5valueIdEEEEEEEEEEEE10hipError_tPvRmT3_T4_T5_T6_T7_T9_mT8_P12ihipStream_tbDpT10_ENKUlT_T0_E_clISt17integral_constantIbLb1EES1J_IbLb0EEEEDaS1F_S1G_EUlS1F_E_NS1_11comp_targetILNS1_3genE8ELNS1_11target_archE1030ELNS1_3gpuE2ELNS1_3repE0EEENS1_30default_config_static_selectorELNS0_4arch9wavefront6targetE0EEEvT1_,"axG",@progbits,_ZN7rocprim17ROCPRIM_400000_NS6detail17trampoline_kernelINS0_14default_configENS1_25partition_config_selectorILNS1_17partition_subalgoE6EdNS0_10empty_typeEbEEZZNS1_14partition_implILS5_6ELb0ES3_mN6thrust23THRUST_200600_302600_NS6detail15normal_iteratorINSA_10device_ptrIdEEEEPS6_SG_NS0_5tupleIJSF_S6_EEENSH_IJSG_SG_EEES6_PlJNSB_9not_fun_tINSB_10functional5actorINSM_9compositeIJNSM_27transparent_binary_operatorINSA_8equal_toIvEEEENSN_INSM_8argumentILj0EEEEENSM_5valueIdEEEEEEEEEEEE10hipError_tPvRmT3_T4_T5_T6_T7_T9_mT8_P12ihipStream_tbDpT10_ENKUlT_T0_E_clISt17integral_constantIbLb1EES1J_IbLb0EEEEDaS1F_S1G_EUlS1F_E_NS1_11comp_targetILNS1_3genE8ELNS1_11target_archE1030ELNS1_3gpuE2ELNS1_3repE0EEENS1_30default_config_static_selectorELNS0_4arch9wavefront6targetE0EEEvT1_,comdat
.Lfunc_end36:
	.size	_ZN7rocprim17ROCPRIM_400000_NS6detail17trampoline_kernelINS0_14default_configENS1_25partition_config_selectorILNS1_17partition_subalgoE6EdNS0_10empty_typeEbEEZZNS1_14partition_implILS5_6ELb0ES3_mN6thrust23THRUST_200600_302600_NS6detail15normal_iteratorINSA_10device_ptrIdEEEEPS6_SG_NS0_5tupleIJSF_S6_EEENSH_IJSG_SG_EEES6_PlJNSB_9not_fun_tINSB_10functional5actorINSM_9compositeIJNSM_27transparent_binary_operatorINSA_8equal_toIvEEEENSN_INSM_8argumentILj0EEEEENSM_5valueIdEEEEEEEEEEEE10hipError_tPvRmT3_T4_T5_T6_T7_T9_mT8_P12ihipStream_tbDpT10_ENKUlT_T0_E_clISt17integral_constantIbLb1EES1J_IbLb0EEEEDaS1F_S1G_EUlS1F_E_NS1_11comp_targetILNS1_3genE8ELNS1_11target_archE1030ELNS1_3gpuE2ELNS1_3repE0EEENS1_30default_config_static_selectorELNS0_4arch9wavefront6targetE0EEEvT1_, .Lfunc_end36-_ZN7rocprim17ROCPRIM_400000_NS6detail17trampoline_kernelINS0_14default_configENS1_25partition_config_selectorILNS1_17partition_subalgoE6EdNS0_10empty_typeEbEEZZNS1_14partition_implILS5_6ELb0ES3_mN6thrust23THRUST_200600_302600_NS6detail15normal_iteratorINSA_10device_ptrIdEEEEPS6_SG_NS0_5tupleIJSF_S6_EEENSH_IJSG_SG_EEES6_PlJNSB_9not_fun_tINSB_10functional5actorINSM_9compositeIJNSM_27transparent_binary_operatorINSA_8equal_toIvEEEENSN_INSM_8argumentILj0EEEEENSM_5valueIdEEEEEEEEEEEE10hipError_tPvRmT3_T4_T5_T6_T7_T9_mT8_P12ihipStream_tbDpT10_ENKUlT_T0_E_clISt17integral_constantIbLb1EES1J_IbLb0EEEEDaS1F_S1G_EUlS1F_E_NS1_11comp_targetILNS1_3genE8ELNS1_11target_archE1030ELNS1_3gpuE2ELNS1_3repE0EEENS1_30default_config_static_selectorELNS0_4arch9wavefront6targetE0EEEvT1_
                                        ; -- End function
	.set _ZN7rocprim17ROCPRIM_400000_NS6detail17trampoline_kernelINS0_14default_configENS1_25partition_config_selectorILNS1_17partition_subalgoE6EdNS0_10empty_typeEbEEZZNS1_14partition_implILS5_6ELb0ES3_mN6thrust23THRUST_200600_302600_NS6detail15normal_iteratorINSA_10device_ptrIdEEEEPS6_SG_NS0_5tupleIJSF_S6_EEENSH_IJSG_SG_EEES6_PlJNSB_9not_fun_tINSB_10functional5actorINSM_9compositeIJNSM_27transparent_binary_operatorINSA_8equal_toIvEEEENSN_INSM_8argumentILj0EEEEENSM_5valueIdEEEEEEEEEEEE10hipError_tPvRmT3_T4_T5_T6_T7_T9_mT8_P12ihipStream_tbDpT10_ENKUlT_T0_E_clISt17integral_constantIbLb1EES1J_IbLb0EEEEDaS1F_S1G_EUlS1F_E_NS1_11comp_targetILNS1_3genE8ELNS1_11target_archE1030ELNS1_3gpuE2ELNS1_3repE0EEENS1_30default_config_static_selectorELNS0_4arch9wavefront6targetE0EEEvT1_.num_vgpr, 0
	.set _ZN7rocprim17ROCPRIM_400000_NS6detail17trampoline_kernelINS0_14default_configENS1_25partition_config_selectorILNS1_17partition_subalgoE6EdNS0_10empty_typeEbEEZZNS1_14partition_implILS5_6ELb0ES3_mN6thrust23THRUST_200600_302600_NS6detail15normal_iteratorINSA_10device_ptrIdEEEEPS6_SG_NS0_5tupleIJSF_S6_EEENSH_IJSG_SG_EEES6_PlJNSB_9not_fun_tINSB_10functional5actorINSM_9compositeIJNSM_27transparent_binary_operatorINSA_8equal_toIvEEEENSN_INSM_8argumentILj0EEEEENSM_5valueIdEEEEEEEEEEEE10hipError_tPvRmT3_T4_T5_T6_T7_T9_mT8_P12ihipStream_tbDpT10_ENKUlT_T0_E_clISt17integral_constantIbLb1EES1J_IbLb0EEEEDaS1F_S1G_EUlS1F_E_NS1_11comp_targetILNS1_3genE8ELNS1_11target_archE1030ELNS1_3gpuE2ELNS1_3repE0EEENS1_30default_config_static_selectorELNS0_4arch9wavefront6targetE0EEEvT1_.num_agpr, 0
	.set _ZN7rocprim17ROCPRIM_400000_NS6detail17trampoline_kernelINS0_14default_configENS1_25partition_config_selectorILNS1_17partition_subalgoE6EdNS0_10empty_typeEbEEZZNS1_14partition_implILS5_6ELb0ES3_mN6thrust23THRUST_200600_302600_NS6detail15normal_iteratorINSA_10device_ptrIdEEEEPS6_SG_NS0_5tupleIJSF_S6_EEENSH_IJSG_SG_EEES6_PlJNSB_9not_fun_tINSB_10functional5actorINSM_9compositeIJNSM_27transparent_binary_operatorINSA_8equal_toIvEEEENSN_INSM_8argumentILj0EEEEENSM_5valueIdEEEEEEEEEEEE10hipError_tPvRmT3_T4_T5_T6_T7_T9_mT8_P12ihipStream_tbDpT10_ENKUlT_T0_E_clISt17integral_constantIbLb1EES1J_IbLb0EEEEDaS1F_S1G_EUlS1F_E_NS1_11comp_targetILNS1_3genE8ELNS1_11target_archE1030ELNS1_3gpuE2ELNS1_3repE0EEENS1_30default_config_static_selectorELNS0_4arch9wavefront6targetE0EEEvT1_.numbered_sgpr, 0
	.set _ZN7rocprim17ROCPRIM_400000_NS6detail17trampoline_kernelINS0_14default_configENS1_25partition_config_selectorILNS1_17partition_subalgoE6EdNS0_10empty_typeEbEEZZNS1_14partition_implILS5_6ELb0ES3_mN6thrust23THRUST_200600_302600_NS6detail15normal_iteratorINSA_10device_ptrIdEEEEPS6_SG_NS0_5tupleIJSF_S6_EEENSH_IJSG_SG_EEES6_PlJNSB_9not_fun_tINSB_10functional5actorINSM_9compositeIJNSM_27transparent_binary_operatorINSA_8equal_toIvEEEENSN_INSM_8argumentILj0EEEEENSM_5valueIdEEEEEEEEEEEE10hipError_tPvRmT3_T4_T5_T6_T7_T9_mT8_P12ihipStream_tbDpT10_ENKUlT_T0_E_clISt17integral_constantIbLb1EES1J_IbLb0EEEEDaS1F_S1G_EUlS1F_E_NS1_11comp_targetILNS1_3genE8ELNS1_11target_archE1030ELNS1_3gpuE2ELNS1_3repE0EEENS1_30default_config_static_selectorELNS0_4arch9wavefront6targetE0EEEvT1_.num_named_barrier, 0
	.set _ZN7rocprim17ROCPRIM_400000_NS6detail17trampoline_kernelINS0_14default_configENS1_25partition_config_selectorILNS1_17partition_subalgoE6EdNS0_10empty_typeEbEEZZNS1_14partition_implILS5_6ELb0ES3_mN6thrust23THRUST_200600_302600_NS6detail15normal_iteratorINSA_10device_ptrIdEEEEPS6_SG_NS0_5tupleIJSF_S6_EEENSH_IJSG_SG_EEES6_PlJNSB_9not_fun_tINSB_10functional5actorINSM_9compositeIJNSM_27transparent_binary_operatorINSA_8equal_toIvEEEENSN_INSM_8argumentILj0EEEEENSM_5valueIdEEEEEEEEEEEE10hipError_tPvRmT3_T4_T5_T6_T7_T9_mT8_P12ihipStream_tbDpT10_ENKUlT_T0_E_clISt17integral_constantIbLb1EES1J_IbLb0EEEEDaS1F_S1G_EUlS1F_E_NS1_11comp_targetILNS1_3genE8ELNS1_11target_archE1030ELNS1_3gpuE2ELNS1_3repE0EEENS1_30default_config_static_selectorELNS0_4arch9wavefront6targetE0EEEvT1_.private_seg_size, 0
	.set _ZN7rocprim17ROCPRIM_400000_NS6detail17trampoline_kernelINS0_14default_configENS1_25partition_config_selectorILNS1_17partition_subalgoE6EdNS0_10empty_typeEbEEZZNS1_14partition_implILS5_6ELb0ES3_mN6thrust23THRUST_200600_302600_NS6detail15normal_iteratorINSA_10device_ptrIdEEEEPS6_SG_NS0_5tupleIJSF_S6_EEENSH_IJSG_SG_EEES6_PlJNSB_9not_fun_tINSB_10functional5actorINSM_9compositeIJNSM_27transparent_binary_operatorINSA_8equal_toIvEEEENSN_INSM_8argumentILj0EEEEENSM_5valueIdEEEEEEEEEEEE10hipError_tPvRmT3_T4_T5_T6_T7_T9_mT8_P12ihipStream_tbDpT10_ENKUlT_T0_E_clISt17integral_constantIbLb1EES1J_IbLb0EEEEDaS1F_S1G_EUlS1F_E_NS1_11comp_targetILNS1_3genE8ELNS1_11target_archE1030ELNS1_3gpuE2ELNS1_3repE0EEENS1_30default_config_static_selectorELNS0_4arch9wavefront6targetE0EEEvT1_.uses_vcc, 0
	.set _ZN7rocprim17ROCPRIM_400000_NS6detail17trampoline_kernelINS0_14default_configENS1_25partition_config_selectorILNS1_17partition_subalgoE6EdNS0_10empty_typeEbEEZZNS1_14partition_implILS5_6ELb0ES3_mN6thrust23THRUST_200600_302600_NS6detail15normal_iteratorINSA_10device_ptrIdEEEEPS6_SG_NS0_5tupleIJSF_S6_EEENSH_IJSG_SG_EEES6_PlJNSB_9not_fun_tINSB_10functional5actorINSM_9compositeIJNSM_27transparent_binary_operatorINSA_8equal_toIvEEEENSN_INSM_8argumentILj0EEEEENSM_5valueIdEEEEEEEEEEEE10hipError_tPvRmT3_T4_T5_T6_T7_T9_mT8_P12ihipStream_tbDpT10_ENKUlT_T0_E_clISt17integral_constantIbLb1EES1J_IbLb0EEEEDaS1F_S1G_EUlS1F_E_NS1_11comp_targetILNS1_3genE8ELNS1_11target_archE1030ELNS1_3gpuE2ELNS1_3repE0EEENS1_30default_config_static_selectorELNS0_4arch9wavefront6targetE0EEEvT1_.uses_flat_scratch, 0
	.set _ZN7rocprim17ROCPRIM_400000_NS6detail17trampoline_kernelINS0_14default_configENS1_25partition_config_selectorILNS1_17partition_subalgoE6EdNS0_10empty_typeEbEEZZNS1_14partition_implILS5_6ELb0ES3_mN6thrust23THRUST_200600_302600_NS6detail15normal_iteratorINSA_10device_ptrIdEEEEPS6_SG_NS0_5tupleIJSF_S6_EEENSH_IJSG_SG_EEES6_PlJNSB_9not_fun_tINSB_10functional5actorINSM_9compositeIJNSM_27transparent_binary_operatorINSA_8equal_toIvEEEENSN_INSM_8argumentILj0EEEEENSM_5valueIdEEEEEEEEEEEE10hipError_tPvRmT3_T4_T5_T6_T7_T9_mT8_P12ihipStream_tbDpT10_ENKUlT_T0_E_clISt17integral_constantIbLb1EES1J_IbLb0EEEEDaS1F_S1G_EUlS1F_E_NS1_11comp_targetILNS1_3genE8ELNS1_11target_archE1030ELNS1_3gpuE2ELNS1_3repE0EEENS1_30default_config_static_selectorELNS0_4arch9wavefront6targetE0EEEvT1_.has_dyn_sized_stack, 0
	.set _ZN7rocprim17ROCPRIM_400000_NS6detail17trampoline_kernelINS0_14default_configENS1_25partition_config_selectorILNS1_17partition_subalgoE6EdNS0_10empty_typeEbEEZZNS1_14partition_implILS5_6ELb0ES3_mN6thrust23THRUST_200600_302600_NS6detail15normal_iteratorINSA_10device_ptrIdEEEEPS6_SG_NS0_5tupleIJSF_S6_EEENSH_IJSG_SG_EEES6_PlJNSB_9not_fun_tINSB_10functional5actorINSM_9compositeIJNSM_27transparent_binary_operatorINSA_8equal_toIvEEEENSN_INSM_8argumentILj0EEEEENSM_5valueIdEEEEEEEEEEEE10hipError_tPvRmT3_T4_T5_T6_T7_T9_mT8_P12ihipStream_tbDpT10_ENKUlT_T0_E_clISt17integral_constantIbLb1EES1J_IbLb0EEEEDaS1F_S1G_EUlS1F_E_NS1_11comp_targetILNS1_3genE8ELNS1_11target_archE1030ELNS1_3gpuE2ELNS1_3repE0EEENS1_30default_config_static_selectorELNS0_4arch9wavefront6targetE0EEEvT1_.has_recursion, 0
	.set _ZN7rocprim17ROCPRIM_400000_NS6detail17trampoline_kernelINS0_14default_configENS1_25partition_config_selectorILNS1_17partition_subalgoE6EdNS0_10empty_typeEbEEZZNS1_14partition_implILS5_6ELb0ES3_mN6thrust23THRUST_200600_302600_NS6detail15normal_iteratorINSA_10device_ptrIdEEEEPS6_SG_NS0_5tupleIJSF_S6_EEENSH_IJSG_SG_EEES6_PlJNSB_9not_fun_tINSB_10functional5actorINSM_9compositeIJNSM_27transparent_binary_operatorINSA_8equal_toIvEEEENSN_INSM_8argumentILj0EEEEENSM_5valueIdEEEEEEEEEEEE10hipError_tPvRmT3_T4_T5_T6_T7_T9_mT8_P12ihipStream_tbDpT10_ENKUlT_T0_E_clISt17integral_constantIbLb1EES1J_IbLb0EEEEDaS1F_S1G_EUlS1F_E_NS1_11comp_targetILNS1_3genE8ELNS1_11target_archE1030ELNS1_3gpuE2ELNS1_3repE0EEENS1_30default_config_static_selectorELNS0_4arch9wavefront6targetE0EEEvT1_.has_indirect_call, 0
	.section	.AMDGPU.csdata,"",@progbits
; Kernel info:
; codeLenInByte = 0
; TotalNumSgprs: 0
; NumVgprs: 0
; ScratchSize: 0
; MemoryBound: 0
; FloatMode: 240
; IeeeMode: 1
; LDSByteSize: 0 bytes/workgroup (compile time only)
; SGPRBlocks: 0
; VGPRBlocks: 0
; NumSGPRsForWavesPerEU: 1
; NumVGPRsForWavesPerEU: 1
; Occupancy: 16
; WaveLimiterHint : 0
; COMPUTE_PGM_RSRC2:SCRATCH_EN: 0
; COMPUTE_PGM_RSRC2:USER_SGPR: 2
; COMPUTE_PGM_RSRC2:TRAP_HANDLER: 0
; COMPUTE_PGM_RSRC2:TGID_X_EN: 1
; COMPUTE_PGM_RSRC2:TGID_Y_EN: 0
; COMPUTE_PGM_RSRC2:TGID_Z_EN: 0
; COMPUTE_PGM_RSRC2:TIDIG_COMP_CNT: 0
	.section	.text._ZN7rocprim17ROCPRIM_400000_NS6detail31init_lookback_scan_state_kernelINS1_19lookback_scan_stateImLb0ELb1EEENS1_16block_id_wrapperIjLb1EEEEEvT_jT0_jPNS7_10value_typeE,"axG",@progbits,_ZN7rocprim17ROCPRIM_400000_NS6detail31init_lookback_scan_state_kernelINS1_19lookback_scan_stateImLb0ELb1EEENS1_16block_id_wrapperIjLb1EEEEEvT_jT0_jPNS7_10value_typeE,comdat
	.protected	_ZN7rocprim17ROCPRIM_400000_NS6detail31init_lookback_scan_state_kernelINS1_19lookback_scan_stateImLb0ELb1EEENS1_16block_id_wrapperIjLb1EEEEEvT_jT0_jPNS7_10value_typeE ; -- Begin function _ZN7rocprim17ROCPRIM_400000_NS6detail31init_lookback_scan_state_kernelINS1_19lookback_scan_stateImLb0ELb1EEENS1_16block_id_wrapperIjLb1EEEEEvT_jT0_jPNS7_10value_typeE
	.globl	_ZN7rocprim17ROCPRIM_400000_NS6detail31init_lookback_scan_state_kernelINS1_19lookback_scan_stateImLb0ELb1EEENS1_16block_id_wrapperIjLb1EEEEEvT_jT0_jPNS7_10value_typeE
	.p2align	8
	.type	_ZN7rocprim17ROCPRIM_400000_NS6detail31init_lookback_scan_state_kernelINS1_19lookback_scan_stateImLb0ELb1EEENS1_16block_id_wrapperIjLb1EEEEEvT_jT0_jPNS7_10value_typeE,@function
_ZN7rocprim17ROCPRIM_400000_NS6detail31init_lookback_scan_state_kernelINS1_19lookback_scan_stateImLb0ELb1EEENS1_16block_id_wrapperIjLb1EEEEEvT_jT0_jPNS7_10value_typeE: ; @_ZN7rocprim17ROCPRIM_400000_NS6detail31init_lookback_scan_state_kernelINS1_19lookback_scan_stateImLb0ELb1EEENS1_16block_id_wrapperIjLb1EEEEEvT_jT0_jPNS7_10value_typeE
; %bb.0:
	s_clause 0x2
	s_load_b32 s7, s[0:1], 0x34
	s_load_b64 s[2:3], s[0:1], 0x20
	s_load_b96 s[4:6], s[0:1], 0x0
	s_wait_kmcnt 0x0
	s_and_b32 s7, s7, 0xffff
	s_cmp_eq_u64 s[2:3], 0
	v_mad_co_u64_u32 v[0:1], null, ttmp9, s7, v[0:1]
	s_cbranch_scc1 .LBB37_8
; %bb.1:
	s_load_b32 s8, s[0:1], 0x18
	s_mov_b32 s9, 0
	s_wait_kmcnt 0x0
	s_cmp_lt_u32 s8, s6
	s_cselect_b32 s7, s8, 0
	s_wait_alu 0xfffe
	v_cmp_eq_u32_e32 vcc_lo, s7, v0
	s_and_saveexec_b32 s7, vcc_lo
	s_cbranch_execz .LBB37_7
; %bb.2:
	s_add_co_i32 s8, s8, 32
	s_mov_b32 s10, exec_lo
	s_lshl_b64 s[8:9], s[8:9], 4
	v_mov_b32_e32 v5, 0
	s_add_nc_u64 s[8:9], s[4:5], s[8:9]
	s_delay_alu instid0(SALU_CYCLE_1) | instskip(SKIP_2) | instid1(VALU_DEP_1)
	v_dual_mov_b32 v1, s8 :: v_dual_mov_b32 v2, s9
	;;#ASMSTART
	global_load_b128 v[1:4], v[1:2] off scope:SCOPE_DEV	
s_wait_loadcnt 0x0
	;;#ASMEND
	v_and_b32_e32 v4, 0xff, v3
	v_cmpx_eq_u64_e32 0, v[4:5]
	s_cbranch_execz .LBB37_6
; %bb.3:
	v_dual_mov_b32 v6, s8 :: v_dual_mov_b32 v7, s9
	s_mov_b32 s8, 0
.LBB37_4:                               ; =>This Inner Loop Header: Depth=1
	;;#ASMSTART
	global_load_b128 v[1:4], v[6:7] off scope:SCOPE_DEV	
s_wait_loadcnt 0x0
	;;#ASMEND
	v_and_b32_e32 v4, 0xff, v3
	s_delay_alu instid0(VALU_DEP_1)
	v_cmp_ne_u64_e32 vcc_lo, 0, v[4:5]
	s_wait_alu 0xfffe
	s_or_b32 s8, vcc_lo, s8
	s_wait_alu 0xfffe
	s_and_not1_b32 exec_lo, exec_lo, s8
	s_cbranch_execnz .LBB37_4
; %bb.5:
	s_or_b32 exec_lo, exec_lo, s8
.LBB37_6:
	s_delay_alu instid0(SALU_CYCLE_1)
	s_or_b32 exec_lo, exec_lo, s10
	v_mov_b32_e32 v3, 0
	global_store_b64 v3, v[1:2], s[2:3]
.LBB37_7:
	s_wait_alu 0xfffe
	s_or_b32 exec_lo, exec_lo, s7
.LBB37_8:
	s_delay_alu instid0(SALU_CYCLE_1)
	s_mov_b32 s2, exec_lo
	v_cmpx_eq_u32_e32 0, v0
	s_cbranch_execz .LBB37_10
; %bb.9:
	s_load_b64 s[0:1], s[0:1], 0x10
	v_mov_b32_e32 v1, 0
	s_wait_kmcnt 0x0
	global_store_b32 v1, v1, s[0:1]
.LBB37_10:
	s_or_b32 exec_lo, exec_lo, s2
	s_delay_alu instid0(SALU_CYCLE_1)
	s_mov_b32 s0, exec_lo
	v_cmpx_gt_u32_e64 s6, v0
	s_cbranch_execz .LBB37_12
; %bb.11:
	v_dual_mov_b32 v2, 0 :: v_dual_add_nc_u32 v1, 32, v0
	s_delay_alu instid0(VALU_DEP_1) | instskip(SKIP_2) | instid1(VALU_DEP_3)
	v_lshlrev_b64_e32 v[4:5], 4, v[1:2]
	v_mov_b32_e32 v1, v2
	v_mov_b32_e32 v3, v2
	v_add_co_u32 v6, vcc_lo, s4, v4
	s_delay_alu instid0(VALU_DEP_1)
	v_add_co_ci_u32_e64 v7, null, s5, v5, vcc_lo
	v_mov_b32_e32 v4, v2
	global_store_b128 v[6:7], v[1:4], off
.LBB37_12:
	s_wait_alu 0xfffe
	s_or_b32 exec_lo, exec_lo, s0
	s_delay_alu instid0(SALU_CYCLE_1)
	s_mov_b32 s0, exec_lo
	v_cmpx_gt_u32_e32 32, v0
	s_cbranch_execz .LBB37_14
; %bb.13:
	v_dual_mov_b32 v1, 0 :: v_dual_mov_b32 v2, 0xff
	s_delay_alu instid0(VALU_DEP_1) | instskip(SKIP_1) | instid1(VALU_DEP_2)
	v_lshlrev_b64_e32 v[3:4], 4, v[0:1]
	v_mov_b32_e32 v0, v1
	v_add_co_u32 v5, vcc_lo, s4, v3
	s_wait_alu 0xfffd
	s_delay_alu instid0(VALU_DEP_3)
	v_add_co_ci_u32_e64 v6, null, s5, v4, vcc_lo
	v_mov_b32_e32 v3, v1
	global_store_b128 v[5:6], v[0:3], off
.LBB37_14:
	s_endpgm
	.section	.rodata,"a",@progbits
	.p2align	6, 0x0
	.amdhsa_kernel _ZN7rocprim17ROCPRIM_400000_NS6detail31init_lookback_scan_state_kernelINS1_19lookback_scan_stateImLb0ELb1EEENS1_16block_id_wrapperIjLb1EEEEEvT_jT0_jPNS7_10value_typeE
		.amdhsa_group_segment_fixed_size 0
		.amdhsa_private_segment_fixed_size 0
		.amdhsa_kernarg_size 296
		.amdhsa_user_sgpr_count 2
		.amdhsa_user_sgpr_dispatch_ptr 0
		.amdhsa_user_sgpr_queue_ptr 0
		.amdhsa_user_sgpr_kernarg_segment_ptr 1
		.amdhsa_user_sgpr_dispatch_id 0
		.amdhsa_user_sgpr_private_segment_size 0
		.amdhsa_wavefront_size32 1
		.amdhsa_uses_dynamic_stack 0
		.amdhsa_enable_private_segment 0
		.amdhsa_system_sgpr_workgroup_id_x 1
		.amdhsa_system_sgpr_workgroup_id_y 0
		.amdhsa_system_sgpr_workgroup_id_z 0
		.amdhsa_system_sgpr_workgroup_info 0
		.amdhsa_system_vgpr_workitem_id 0
		.amdhsa_next_free_vgpr 8
		.amdhsa_next_free_sgpr 11
		.amdhsa_reserve_vcc 1
		.amdhsa_float_round_mode_32 0
		.amdhsa_float_round_mode_16_64 0
		.amdhsa_float_denorm_mode_32 3
		.amdhsa_float_denorm_mode_16_64 3
		.amdhsa_fp16_overflow 0
		.amdhsa_workgroup_processor_mode 1
		.amdhsa_memory_ordered 1
		.amdhsa_forward_progress 1
		.amdhsa_inst_pref_size 4
		.amdhsa_round_robin_scheduling 0
		.amdhsa_exception_fp_ieee_invalid_op 0
		.amdhsa_exception_fp_denorm_src 0
		.amdhsa_exception_fp_ieee_div_zero 0
		.amdhsa_exception_fp_ieee_overflow 0
		.amdhsa_exception_fp_ieee_underflow 0
		.amdhsa_exception_fp_ieee_inexact 0
		.amdhsa_exception_int_div_zero 0
	.end_amdhsa_kernel
	.section	.text._ZN7rocprim17ROCPRIM_400000_NS6detail31init_lookback_scan_state_kernelINS1_19lookback_scan_stateImLb0ELb1EEENS1_16block_id_wrapperIjLb1EEEEEvT_jT0_jPNS7_10value_typeE,"axG",@progbits,_ZN7rocprim17ROCPRIM_400000_NS6detail31init_lookback_scan_state_kernelINS1_19lookback_scan_stateImLb0ELb1EEENS1_16block_id_wrapperIjLb1EEEEEvT_jT0_jPNS7_10value_typeE,comdat
.Lfunc_end37:
	.size	_ZN7rocprim17ROCPRIM_400000_NS6detail31init_lookback_scan_state_kernelINS1_19lookback_scan_stateImLb0ELb1EEENS1_16block_id_wrapperIjLb1EEEEEvT_jT0_jPNS7_10value_typeE, .Lfunc_end37-_ZN7rocprim17ROCPRIM_400000_NS6detail31init_lookback_scan_state_kernelINS1_19lookback_scan_stateImLb0ELb1EEENS1_16block_id_wrapperIjLb1EEEEEvT_jT0_jPNS7_10value_typeE
                                        ; -- End function
	.set _ZN7rocprim17ROCPRIM_400000_NS6detail31init_lookback_scan_state_kernelINS1_19lookback_scan_stateImLb0ELb1EEENS1_16block_id_wrapperIjLb1EEEEEvT_jT0_jPNS7_10value_typeE.num_vgpr, 8
	.set _ZN7rocprim17ROCPRIM_400000_NS6detail31init_lookback_scan_state_kernelINS1_19lookback_scan_stateImLb0ELb1EEENS1_16block_id_wrapperIjLb1EEEEEvT_jT0_jPNS7_10value_typeE.num_agpr, 0
	.set _ZN7rocprim17ROCPRIM_400000_NS6detail31init_lookback_scan_state_kernelINS1_19lookback_scan_stateImLb0ELb1EEENS1_16block_id_wrapperIjLb1EEEEEvT_jT0_jPNS7_10value_typeE.numbered_sgpr, 11
	.set _ZN7rocprim17ROCPRIM_400000_NS6detail31init_lookback_scan_state_kernelINS1_19lookback_scan_stateImLb0ELb1EEENS1_16block_id_wrapperIjLb1EEEEEvT_jT0_jPNS7_10value_typeE.num_named_barrier, 0
	.set _ZN7rocprim17ROCPRIM_400000_NS6detail31init_lookback_scan_state_kernelINS1_19lookback_scan_stateImLb0ELb1EEENS1_16block_id_wrapperIjLb1EEEEEvT_jT0_jPNS7_10value_typeE.private_seg_size, 0
	.set _ZN7rocprim17ROCPRIM_400000_NS6detail31init_lookback_scan_state_kernelINS1_19lookback_scan_stateImLb0ELb1EEENS1_16block_id_wrapperIjLb1EEEEEvT_jT0_jPNS7_10value_typeE.uses_vcc, 1
	.set _ZN7rocprim17ROCPRIM_400000_NS6detail31init_lookback_scan_state_kernelINS1_19lookback_scan_stateImLb0ELb1EEENS1_16block_id_wrapperIjLb1EEEEEvT_jT0_jPNS7_10value_typeE.uses_flat_scratch, 0
	.set _ZN7rocprim17ROCPRIM_400000_NS6detail31init_lookback_scan_state_kernelINS1_19lookback_scan_stateImLb0ELb1EEENS1_16block_id_wrapperIjLb1EEEEEvT_jT0_jPNS7_10value_typeE.has_dyn_sized_stack, 0
	.set _ZN7rocprim17ROCPRIM_400000_NS6detail31init_lookback_scan_state_kernelINS1_19lookback_scan_stateImLb0ELb1EEENS1_16block_id_wrapperIjLb1EEEEEvT_jT0_jPNS7_10value_typeE.has_recursion, 0
	.set _ZN7rocprim17ROCPRIM_400000_NS6detail31init_lookback_scan_state_kernelINS1_19lookback_scan_stateImLb0ELb1EEENS1_16block_id_wrapperIjLb1EEEEEvT_jT0_jPNS7_10value_typeE.has_indirect_call, 0
	.section	.AMDGPU.csdata,"",@progbits
; Kernel info:
; codeLenInByte = 448
; TotalNumSgprs: 13
; NumVgprs: 8
; ScratchSize: 0
; MemoryBound: 0
; FloatMode: 240
; IeeeMode: 1
; LDSByteSize: 0 bytes/workgroup (compile time only)
; SGPRBlocks: 0
; VGPRBlocks: 0
; NumSGPRsForWavesPerEU: 13
; NumVGPRsForWavesPerEU: 8
; Occupancy: 16
; WaveLimiterHint : 0
; COMPUTE_PGM_RSRC2:SCRATCH_EN: 0
; COMPUTE_PGM_RSRC2:USER_SGPR: 2
; COMPUTE_PGM_RSRC2:TRAP_HANDLER: 0
; COMPUTE_PGM_RSRC2:TGID_X_EN: 1
; COMPUTE_PGM_RSRC2:TGID_Y_EN: 0
; COMPUTE_PGM_RSRC2:TGID_Z_EN: 0
; COMPUTE_PGM_RSRC2:TIDIG_COMP_CNT: 0
	.section	.text._ZN7rocprim17ROCPRIM_400000_NS6detail17trampoline_kernelINS0_14default_configENS1_25partition_config_selectorILNS1_17partition_subalgoE6EdNS0_10empty_typeEbEEZZNS1_14partition_implILS5_6ELb0ES3_mN6thrust23THRUST_200600_302600_NS6detail15normal_iteratorINSA_10device_ptrIdEEEEPS6_SG_NS0_5tupleIJSF_S6_EEENSH_IJSG_SG_EEES6_PlJNSB_9not_fun_tINSB_10functional5actorINSM_9compositeIJNSM_27transparent_binary_operatorINSA_8equal_toIvEEEENSN_INSM_8argumentILj0EEEEENSM_5valueIdEEEEEEEEEEEE10hipError_tPvRmT3_T4_T5_T6_T7_T9_mT8_P12ihipStream_tbDpT10_ENKUlT_T0_E_clISt17integral_constantIbLb0EES1J_IbLb1EEEEDaS1F_S1G_EUlS1F_E_NS1_11comp_targetILNS1_3genE0ELNS1_11target_archE4294967295ELNS1_3gpuE0ELNS1_3repE0EEENS1_30default_config_static_selectorELNS0_4arch9wavefront6targetE0EEEvT1_,"axG",@progbits,_ZN7rocprim17ROCPRIM_400000_NS6detail17trampoline_kernelINS0_14default_configENS1_25partition_config_selectorILNS1_17partition_subalgoE6EdNS0_10empty_typeEbEEZZNS1_14partition_implILS5_6ELb0ES3_mN6thrust23THRUST_200600_302600_NS6detail15normal_iteratorINSA_10device_ptrIdEEEEPS6_SG_NS0_5tupleIJSF_S6_EEENSH_IJSG_SG_EEES6_PlJNSB_9not_fun_tINSB_10functional5actorINSM_9compositeIJNSM_27transparent_binary_operatorINSA_8equal_toIvEEEENSN_INSM_8argumentILj0EEEEENSM_5valueIdEEEEEEEEEEEE10hipError_tPvRmT3_T4_T5_T6_T7_T9_mT8_P12ihipStream_tbDpT10_ENKUlT_T0_E_clISt17integral_constantIbLb0EES1J_IbLb1EEEEDaS1F_S1G_EUlS1F_E_NS1_11comp_targetILNS1_3genE0ELNS1_11target_archE4294967295ELNS1_3gpuE0ELNS1_3repE0EEENS1_30default_config_static_selectorELNS0_4arch9wavefront6targetE0EEEvT1_,comdat
	.protected	_ZN7rocprim17ROCPRIM_400000_NS6detail17trampoline_kernelINS0_14default_configENS1_25partition_config_selectorILNS1_17partition_subalgoE6EdNS0_10empty_typeEbEEZZNS1_14partition_implILS5_6ELb0ES3_mN6thrust23THRUST_200600_302600_NS6detail15normal_iteratorINSA_10device_ptrIdEEEEPS6_SG_NS0_5tupleIJSF_S6_EEENSH_IJSG_SG_EEES6_PlJNSB_9not_fun_tINSB_10functional5actorINSM_9compositeIJNSM_27transparent_binary_operatorINSA_8equal_toIvEEEENSN_INSM_8argumentILj0EEEEENSM_5valueIdEEEEEEEEEEEE10hipError_tPvRmT3_T4_T5_T6_T7_T9_mT8_P12ihipStream_tbDpT10_ENKUlT_T0_E_clISt17integral_constantIbLb0EES1J_IbLb1EEEEDaS1F_S1G_EUlS1F_E_NS1_11comp_targetILNS1_3genE0ELNS1_11target_archE4294967295ELNS1_3gpuE0ELNS1_3repE0EEENS1_30default_config_static_selectorELNS0_4arch9wavefront6targetE0EEEvT1_ ; -- Begin function _ZN7rocprim17ROCPRIM_400000_NS6detail17trampoline_kernelINS0_14default_configENS1_25partition_config_selectorILNS1_17partition_subalgoE6EdNS0_10empty_typeEbEEZZNS1_14partition_implILS5_6ELb0ES3_mN6thrust23THRUST_200600_302600_NS6detail15normal_iteratorINSA_10device_ptrIdEEEEPS6_SG_NS0_5tupleIJSF_S6_EEENSH_IJSG_SG_EEES6_PlJNSB_9not_fun_tINSB_10functional5actorINSM_9compositeIJNSM_27transparent_binary_operatorINSA_8equal_toIvEEEENSN_INSM_8argumentILj0EEEEENSM_5valueIdEEEEEEEEEEEE10hipError_tPvRmT3_T4_T5_T6_T7_T9_mT8_P12ihipStream_tbDpT10_ENKUlT_T0_E_clISt17integral_constantIbLb0EES1J_IbLb1EEEEDaS1F_S1G_EUlS1F_E_NS1_11comp_targetILNS1_3genE0ELNS1_11target_archE4294967295ELNS1_3gpuE0ELNS1_3repE0EEENS1_30default_config_static_selectorELNS0_4arch9wavefront6targetE0EEEvT1_
	.globl	_ZN7rocprim17ROCPRIM_400000_NS6detail17trampoline_kernelINS0_14default_configENS1_25partition_config_selectorILNS1_17partition_subalgoE6EdNS0_10empty_typeEbEEZZNS1_14partition_implILS5_6ELb0ES3_mN6thrust23THRUST_200600_302600_NS6detail15normal_iteratorINSA_10device_ptrIdEEEEPS6_SG_NS0_5tupleIJSF_S6_EEENSH_IJSG_SG_EEES6_PlJNSB_9not_fun_tINSB_10functional5actorINSM_9compositeIJNSM_27transparent_binary_operatorINSA_8equal_toIvEEEENSN_INSM_8argumentILj0EEEEENSM_5valueIdEEEEEEEEEEEE10hipError_tPvRmT3_T4_T5_T6_T7_T9_mT8_P12ihipStream_tbDpT10_ENKUlT_T0_E_clISt17integral_constantIbLb0EES1J_IbLb1EEEEDaS1F_S1G_EUlS1F_E_NS1_11comp_targetILNS1_3genE0ELNS1_11target_archE4294967295ELNS1_3gpuE0ELNS1_3repE0EEENS1_30default_config_static_selectorELNS0_4arch9wavefront6targetE0EEEvT1_
	.p2align	8
	.type	_ZN7rocprim17ROCPRIM_400000_NS6detail17trampoline_kernelINS0_14default_configENS1_25partition_config_selectorILNS1_17partition_subalgoE6EdNS0_10empty_typeEbEEZZNS1_14partition_implILS5_6ELb0ES3_mN6thrust23THRUST_200600_302600_NS6detail15normal_iteratorINSA_10device_ptrIdEEEEPS6_SG_NS0_5tupleIJSF_S6_EEENSH_IJSG_SG_EEES6_PlJNSB_9not_fun_tINSB_10functional5actorINSM_9compositeIJNSM_27transparent_binary_operatorINSA_8equal_toIvEEEENSN_INSM_8argumentILj0EEEEENSM_5valueIdEEEEEEEEEEEE10hipError_tPvRmT3_T4_T5_T6_T7_T9_mT8_P12ihipStream_tbDpT10_ENKUlT_T0_E_clISt17integral_constantIbLb0EES1J_IbLb1EEEEDaS1F_S1G_EUlS1F_E_NS1_11comp_targetILNS1_3genE0ELNS1_11target_archE4294967295ELNS1_3gpuE0ELNS1_3repE0EEENS1_30default_config_static_selectorELNS0_4arch9wavefront6targetE0EEEvT1_,@function
_ZN7rocprim17ROCPRIM_400000_NS6detail17trampoline_kernelINS0_14default_configENS1_25partition_config_selectorILNS1_17partition_subalgoE6EdNS0_10empty_typeEbEEZZNS1_14partition_implILS5_6ELb0ES3_mN6thrust23THRUST_200600_302600_NS6detail15normal_iteratorINSA_10device_ptrIdEEEEPS6_SG_NS0_5tupleIJSF_S6_EEENSH_IJSG_SG_EEES6_PlJNSB_9not_fun_tINSB_10functional5actorINSM_9compositeIJNSM_27transparent_binary_operatorINSA_8equal_toIvEEEENSN_INSM_8argumentILj0EEEEENSM_5valueIdEEEEEEEEEEEE10hipError_tPvRmT3_T4_T5_T6_T7_T9_mT8_P12ihipStream_tbDpT10_ENKUlT_T0_E_clISt17integral_constantIbLb0EES1J_IbLb1EEEEDaS1F_S1G_EUlS1F_E_NS1_11comp_targetILNS1_3genE0ELNS1_11target_archE4294967295ELNS1_3gpuE0ELNS1_3repE0EEENS1_30default_config_static_selectorELNS0_4arch9wavefront6targetE0EEEvT1_: ; @_ZN7rocprim17ROCPRIM_400000_NS6detail17trampoline_kernelINS0_14default_configENS1_25partition_config_selectorILNS1_17partition_subalgoE6EdNS0_10empty_typeEbEEZZNS1_14partition_implILS5_6ELb0ES3_mN6thrust23THRUST_200600_302600_NS6detail15normal_iteratorINSA_10device_ptrIdEEEEPS6_SG_NS0_5tupleIJSF_S6_EEENSH_IJSG_SG_EEES6_PlJNSB_9not_fun_tINSB_10functional5actorINSM_9compositeIJNSM_27transparent_binary_operatorINSA_8equal_toIvEEEENSN_INSM_8argumentILj0EEEEENSM_5valueIdEEEEEEEEEEEE10hipError_tPvRmT3_T4_T5_T6_T7_T9_mT8_P12ihipStream_tbDpT10_ENKUlT_T0_E_clISt17integral_constantIbLb0EES1J_IbLb1EEEEDaS1F_S1G_EUlS1F_E_NS1_11comp_targetILNS1_3genE0ELNS1_11target_archE4294967295ELNS1_3gpuE0ELNS1_3repE0EEENS1_30default_config_static_selectorELNS0_4arch9wavefront6targetE0EEEvT1_
; %bb.0:
	.section	.rodata,"a",@progbits
	.p2align	6, 0x0
	.amdhsa_kernel _ZN7rocprim17ROCPRIM_400000_NS6detail17trampoline_kernelINS0_14default_configENS1_25partition_config_selectorILNS1_17partition_subalgoE6EdNS0_10empty_typeEbEEZZNS1_14partition_implILS5_6ELb0ES3_mN6thrust23THRUST_200600_302600_NS6detail15normal_iteratorINSA_10device_ptrIdEEEEPS6_SG_NS0_5tupleIJSF_S6_EEENSH_IJSG_SG_EEES6_PlJNSB_9not_fun_tINSB_10functional5actorINSM_9compositeIJNSM_27transparent_binary_operatorINSA_8equal_toIvEEEENSN_INSM_8argumentILj0EEEEENSM_5valueIdEEEEEEEEEEEE10hipError_tPvRmT3_T4_T5_T6_T7_T9_mT8_P12ihipStream_tbDpT10_ENKUlT_T0_E_clISt17integral_constantIbLb0EES1J_IbLb1EEEEDaS1F_S1G_EUlS1F_E_NS1_11comp_targetILNS1_3genE0ELNS1_11target_archE4294967295ELNS1_3gpuE0ELNS1_3repE0EEENS1_30default_config_static_selectorELNS0_4arch9wavefront6targetE0EEEvT1_
		.amdhsa_group_segment_fixed_size 0
		.amdhsa_private_segment_fixed_size 0
		.amdhsa_kernarg_size 136
		.amdhsa_user_sgpr_count 2
		.amdhsa_user_sgpr_dispatch_ptr 0
		.amdhsa_user_sgpr_queue_ptr 0
		.amdhsa_user_sgpr_kernarg_segment_ptr 1
		.amdhsa_user_sgpr_dispatch_id 0
		.amdhsa_user_sgpr_private_segment_size 0
		.amdhsa_wavefront_size32 1
		.amdhsa_uses_dynamic_stack 0
		.amdhsa_enable_private_segment 0
		.amdhsa_system_sgpr_workgroup_id_x 1
		.amdhsa_system_sgpr_workgroup_id_y 0
		.amdhsa_system_sgpr_workgroup_id_z 0
		.amdhsa_system_sgpr_workgroup_info 0
		.amdhsa_system_vgpr_workitem_id 0
		.amdhsa_next_free_vgpr 1
		.amdhsa_next_free_sgpr 1
		.amdhsa_reserve_vcc 0
		.amdhsa_float_round_mode_32 0
		.amdhsa_float_round_mode_16_64 0
		.amdhsa_float_denorm_mode_32 3
		.amdhsa_float_denorm_mode_16_64 3
		.amdhsa_fp16_overflow 0
		.amdhsa_workgroup_processor_mode 1
		.amdhsa_memory_ordered 1
		.amdhsa_forward_progress 1
		.amdhsa_inst_pref_size 0
		.amdhsa_round_robin_scheduling 0
		.amdhsa_exception_fp_ieee_invalid_op 0
		.amdhsa_exception_fp_denorm_src 0
		.amdhsa_exception_fp_ieee_div_zero 0
		.amdhsa_exception_fp_ieee_overflow 0
		.amdhsa_exception_fp_ieee_underflow 0
		.amdhsa_exception_fp_ieee_inexact 0
		.amdhsa_exception_int_div_zero 0
	.end_amdhsa_kernel
	.section	.text._ZN7rocprim17ROCPRIM_400000_NS6detail17trampoline_kernelINS0_14default_configENS1_25partition_config_selectorILNS1_17partition_subalgoE6EdNS0_10empty_typeEbEEZZNS1_14partition_implILS5_6ELb0ES3_mN6thrust23THRUST_200600_302600_NS6detail15normal_iteratorINSA_10device_ptrIdEEEEPS6_SG_NS0_5tupleIJSF_S6_EEENSH_IJSG_SG_EEES6_PlJNSB_9not_fun_tINSB_10functional5actorINSM_9compositeIJNSM_27transparent_binary_operatorINSA_8equal_toIvEEEENSN_INSM_8argumentILj0EEEEENSM_5valueIdEEEEEEEEEEEE10hipError_tPvRmT3_T4_T5_T6_T7_T9_mT8_P12ihipStream_tbDpT10_ENKUlT_T0_E_clISt17integral_constantIbLb0EES1J_IbLb1EEEEDaS1F_S1G_EUlS1F_E_NS1_11comp_targetILNS1_3genE0ELNS1_11target_archE4294967295ELNS1_3gpuE0ELNS1_3repE0EEENS1_30default_config_static_selectorELNS0_4arch9wavefront6targetE0EEEvT1_,"axG",@progbits,_ZN7rocprim17ROCPRIM_400000_NS6detail17trampoline_kernelINS0_14default_configENS1_25partition_config_selectorILNS1_17partition_subalgoE6EdNS0_10empty_typeEbEEZZNS1_14partition_implILS5_6ELb0ES3_mN6thrust23THRUST_200600_302600_NS6detail15normal_iteratorINSA_10device_ptrIdEEEEPS6_SG_NS0_5tupleIJSF_S6_EEENSH_IJSG_SG_EEES6_PlJNSB_9not_fun_tINSB_10functional5actorINSM_9compositeIJNSM_27transparent_binary_operatorINSA_8equal_toIvEEEENSN_INSM_8argumentILj0EEEEENSM_5valueIdEEEEEEEEEEEE10hipError_tPvRmT3_T4_T5_T6_T7_T9_mT8_P12ihipStream_tbDpT10_ENKUlT_T0_E_clISt17integral_constantIbLb0EES1J_IbLb1EEEEDaS1F_S1G_EUlS1F_E_NS1_11comp_targetILNS1_3genE0ELNS1_11target_archE4294967295ELNS1_3gpuE0ELNS1_3repE0EEENS1_30default_config_static_selectorELNS0_4arch9wavefront6targetE0EEEvT1_,comdat
.Lfunc_end38:
	.size	_ZN7rocprim17ROCPRIM_400000_NS6detail17trampoline_kernelINS0_14default_configENS1_25partition_config_selectorILNS1_17partition_subalgoE6EdNS0_10empty_typeEbEEZZNS1_14partition_implILS5_6ELb0ES3_mN6thrust23THRUST_200600_302600_NS6detail15normal_iteratorINSA_10device_ptrIdEEEEPS6_SG_NS0_5tupleIJSF_S6_EEENSH_IJSG_SG_EEES6_PlJNSB_9not_fun_tINSB_10functional5actorINSM_9compositeIJNSM_27transparent_binary_operatorINSA_8equal_toIvEEEENSN_INSM_8argumentILj0EEEEENSM_5valueIdEEEEEEEEEEEE10hipError_tPvRmT3_T4_T5_T6_T7_T9_mT8_P12ihipStream_tbDpT10_ENKUlT_T0_E_clISt17integral_constantIbLb0EES1J_IbLb1EEEEDaS1F_S1G_EUlS1F_E_NS1_11comp_targetILNS1_3genE0ELNS1_11target_archE4294967295ELNS1_3gpuE0ELNS1_3repE0EEENS1_30default_config_static_selectorELNS0_4arch9wavefront6targetE0EEEvT1_, .Lfunc_end38-_ZN7rocprim17ROCPRIM_400000_NS6detail17trampoline_kernelINS0_14default_configENS1_25partition_config_selectorILNS1_17partition_subalgoE6EdNS0_10empty_typeEbEEZZNS1_14partition_implILS5_6ELb0ES3_mN6thrust23THRUST_200600_302600_NS6detail15normal_iteratorINSA_10device_ptrIdEEEEPS6_SG_NS0_5tupleIJSF_S6_EEENSH_IJSG_SG_EEES6_PlJNSB_9not_fun_tINSB_10functional5actorINSM_9compositeIJNSM_27transparent_binary_operatorINSA_8equal_toIvEEEENSN_INSM_8argumentILj0EEEEENSM_5valueIdEEEEEEEEEEEE10hipError_tPvRmT3_T4_T5_T6_T7_T9_mT8_P12ihipStream_tbDpT10_ENKUlT_T0_E_clISt17integral_constantIbLb0EES1J_IbLb1EEEEDaS1F_S1G_EUlS1F_E_NS1_11comp_targetILNS1_3genE0ELNS1_11target_archE4294967295ELNS1_3gpuE0ELNS1_3repE0EEENS1_30default_config_static_selectorELNS0_4arch9wavefront6targetE0EEEvT1_
                                        ; -- End function
	.set _ZN7rocprim17ROCPRIM_400000_NS6detail17trampoline_kernelINS0_14default_configENS1_25partition_config_selectorILNS1_17partition_subalgoE6EdNS0_10empty_typeEbEEZZNS1_14partition_implILS5_6ELb0ES3_mN6thrust23THRUST_200600_302600_NS6detail15normal_iteratorINSA_10device_ptrIdEEEEPS6_SG_NS0_5tupleIJSF_S6_EEENSH_IJSG_SG_EEES6_PlJNSB_9not_fun_tINSB_10functional5actorINSM_9compositeIJNSM_27transparent_binary_operatorINSA_8equal_toIvEEEENSN_INSM_8argumentILj0EEEEENSM_5valueIdEEEEEEEEEEEE10hipError_tPvRmT3_T4_T5_T6_T7_T9_mT8_P12ihipStream_tbDpT10_ENKUlT_T0_E_clISt17integral_constantIbLb0EES1J_IbLb1EEEEDaS1F_S1G_EUlS1F_E_NS1_11comp_targetILNS1_3genE0ELNS1_11target_archE4294967295ELNS1_3gpuE0ELNS1_3repE0EEENS1_30default_config_static_selectorELNS0_4arch9wavefront6targetE0EEEvT1_.num_vgpr, 0
	.set _ZN7rocprim17ROCPRIM_400000_NS6detail17trampoline_kernelINS0_14default_configENS1_25partition_config_selectorILNS1_17partition_subalgoE6EdNS0_10empty_typeEbEEZZNS1_14partition_implILS5_6ELb0ES3_mN6thrust23THRUST_200600_302600_NS6detail15normal_iteratorINSA_10device_ptrIdEEEEPS6_SG_NS0_5tupleIJSF_S6_EEENSH_IJSG_SG_EEES6_PlJNSB_9not_fun_tINSB_10functional5actorINSM_9compositeIJNSM_27transparent_binary_operatorINSA_8equal_toIvEEEENSN_INSM_8argumentILj0EEEEENSM_5valueIdEEEEEEEEEEEE10hipError_tPvRmT3_T4_T5_T6_T7_T9_mT8_P12ihipStream_tbDpT10_ENKUlT_T0_E_clISt17integral_constantIbLb0EES1J_IbLb1EEEEDaS1F_S1G_EUlS1F_E_NS1_11comp_targetILNS1_3genE0ELNS1_11target_archE4294967295ELNS1_3gpuE0ELNS1_3repE0EEENS1_30default_config_static_selectorELNS0_4arch9wavefront6targetE0EEEvT1_.num_agpr, 0
	.set _ZN7rocprim17ROCPRIM_400000_NS6detail17trampoline_kernelINS0_14default_configENS1_25partition_config_selectorILNS1_17partition_subalgoE6EdNS0_10empty_typeEbEEZZNS1_14partition_implILS5_6ELb0ES3_mN6thrust23THRUST_200600_302600_NS6detail15normal_iteratorINSA_10device_ptrIdEEEEPS6_SG_NS0_5tupleIJSF_S6_EEENSH_IJSG_SG_EEES6_PlJNSB_9not_fun_tINSB_10functional5actorINSM_9compositeIJNSM_27transparent_binary_operatorINSA_8equal_toIvEEEENSN_INSM_8argumentILj0EEEEENSM_5valueIdEEEEEEEEEEEE10hipError_tPvRmT3_T4_T5_T6_T7_T9_mT8_P12ihipStream_tbDpT10_ENKUlT_T0_E_clISt17integral_constantIbLb0EES1J_IbLb1EEEEDaS1F_S1G_EUlS1F_E_NS1_11comp_targetILNS1_3genE0ELNS1_11target_archE4294967295ELNS1_3gpuE0ELNS1_3repE0EEENS1_30default_config_static_selectorELNS0_4arch9wavefront6targetE0EEEvT1_.numbered_sgpr, 0
	.set _ZN7rocprim17ROCPRIM_400000_NS6detail17trampoline_kernelINS0_14default_configENS1_25partition_config_selectorILNS1_17partition_subalgoE6EdNS0_10empty_typeEbEEZZNS1_14partition_implILS5_6ELb0ES3_mN6thrust23THRUST_200600_302600_NS6detail15normal_iteratorINSA_10device_ptrIdEEEEPS6_SG_NS0_5tupleIJSF_S6_EEENSH_IJSG_SG_EEES6_PlJNSB_9not_fun_tINSB_10functional5actorINSM_9compositeIJNSM_27transparent_binary_operatorINSA_8equal_toIvEEEENSN_INSM_8argumentILj0EEEEENSM_5valueIdEEEEEEEEEEEE10hipError_tPvRmT3_T4_T5_T6_T7_T9_mT8_P12ihipStream_tbDpT10_ENKUlT_T0_E_clISt17integral_constantIbLb0EES1J_IbLb1EEEEDaS1F_S1G_EUlS1F_E_NS1_11comp_targetILNS1_3genE0ELNS1_11target_archE4294967295ELNS1_3gpuE0ELNS1_3repE0EEENS1_30default_config_static_selectorELNS0_4arch9wavefront6targetE0EEEvT1_.num_named_barrier, 0
	.set _ZN7rocprim17ROCPRIM_400000_NS6detail17trampoline_kernelINS0_14default_configENS1_25partition_config_selectorILNS1_17partition_subalgoE6EdNS0_10empty_typeEbEEZZNS1_14partition_implILS5_6ELb0ES3_mN6thrust23THRUST_200600_302600_NS6detail15normal_iteratorINSA_10device_ptrIdEEEEPS6_SG_NS0_5tupleIJSF_S6_EEENSH_IJSG_SG_EEES6_PlJNSB_9not_fun_tINSB_10functional5actorINSM_9compositeIJNSM_27transparent_binary_operatorINSA_8equal_toIvEEEENSN_INSM_8argumentILj0EEEEENSM_5valueIdEEEEEEEEEEEE10hipError_tPvRmT3_T4_T5_T6_T7_T9_mT8_P12ihipStream_tbDpT10_ENKUlT_T0_E_clISt17integral_constantIbLb0EES1J_IbLb1EEEEDaS1F_S1G_EUlS1F_E_NS1_11comp_targetILNS1_3genE0ELNS1_11target_archE4294967295ELNS1_3gpuE0ELNS1_3repE0EEENS1_30default_config_static_selectorELNS0_4arch9wavefront6targetE0EEEvT1_.private_seg_size, 0
	.set _ZN7rocprim17ROCPRIM_400000_NS6detail17trampoline_kernelINS0_14default_configENS1_25partition_config_selectorILNS1_17partition_subalgoE6EdNS0_10empty_typeEbEEZZNS1_14partition_implILS5_6ELb0ES3_mN6thrust23THRUST_200600_302600_NS6detail15normal_iteratorINSA_10device_ptrIdEEEEPS6_SG_NS0_5tupleIJSF_S6_EEENSH_IJSG_SG_EEES6_PlJNSB_9not_fun_tINSB_10functional5actorINSM_9compositeIJNSM_27transparent_binary_operatorINSA_8equal_toIvEEEENSN_INSM_8argumentILj0EEEEENSM_5valueIdEEEEEEEEEEEE10hipError_tPvRmT3_T4_T5_T6_T7_T9_mT8_P12ihipStream_tbDpT10_ENKUlT_T0_E_clISt17integral_constantIbLb0EES1J_IbLb1EEEEDaS1F_S1G_EUlS1F_E_NS1_11comp_targetILNS1_3genE0ELNS1_11target_archE4294967295ELNS1_3gpuE0ELNS1_3repE0EEENS1_30default_config_static_selectorELNS0_4arch9wavefront6targetE0EEEvT1_.uses_vcc, 0
	.set _ZN7rocprim17ROCPRIM_400000_NS6detail17trampoline_kernelINS0_14default_configENS1_25partition_config_selectorILNS1_17partition_subalgoE6EdNS0_10empty_typeEbEEZZNS1_14partition_implILS5_6ELb0ES3_mN6thrust23THRUST_200600_302600_NS6detail15normal_iteratorINSA_10device_ptrIdEEEEPS6_SG_NS0_5tupleIJSF_S6_EEENSH_IJSG_SG_EEES6_PlJNSB_9not_fun_tINSB_10functional5actorINSM_9compositeIJNSM_27transparent_binary_operatorINSA_8equal_toIvEEEENSN_INSM_8argumentILj0EEEEENSM_5valueIdEEEEEEEEEEEE10hipError_tPvRmT3_T4_T5_T6_T7_T9_mT8_P12ihipStream_tbDpT10_ENKUlT_T0_E_clISt17integral_constantIbLb0EES1J_IbLb1EEEEDaS1F_S1G_EUlS1F_E_NS1_11comp_targetILNS1_3genE0ELNS1_11target_archE4294967295ELNS1_3gpuE0ELNS1_3repE0EEENS1_30default_config_static_selectorELNS0_4arch9wavefront6targetE0EEEvT1_.uses_flat_scratch, 0
	.set _ZN7rocprim17ROCPRIM_400000_NS6detail17trampoline_kernelINS0_14default_configENS1_25partition_config_selectorILNS1_17partition_subalgoE6EdNS0_10empty_typeEbEEZZNS1_14partition_implILS5_6ELb0ES3_mN6thrust23THRUST_200600_302600_NS6detail15normal_iteratorINSA_10device_ptrIdEEEEPS6_SG_NS0_5tupleIJSF_S6_EEENSH_IJSG_SG_EEES6_PlJNSB_9not_fun_tINSB_10functional5actorINSM_9compositeIJNSM_27transparent_binary_operatorINSA_8equal_toIvEEEENSN_INSM_8argumentILj0EEEEENSM_5valueIdEEEEEEEEEEEE10hipError_tPvRmT3_T4_T5_T6_T7_T9_mT8_P12ihipStream_tbDpT10_ENKUlT_T0_E_clISt17integral_constantIbLb0EES1J_IbLb1EEEEDaS1F_S1G_EUlS1F_E_NS1_11comp_targetILNS1_3genE0ELNS1_11target_archE4294967295ELNS1_3gpuE0ELNS1_3repE0EEENS1_30default_config_static_selectorELNS0_4arch9wavefront6targetE0EEEvT1_.has_dyn_sized_stack, 0
	.set _ZN7rocprim17ROCPRIM_400000_NS6detail17trampoline_kernelINS0_14default_configENS1_25partition_config_selectorILNS1_17partition_subalgoE6EdNS0_10empty_typeEbEEZZNS1_14partition_implILS5_6ELb0ES3_mN6thrust23THRUST_200600_302600_NS6detail15normal_iteratorINSA_10device_ptrIdEEEEPS6_SG_NS0_5tupleIJSF_S6_EEENSH_IJSG_SG_EEES6_PlJNSB_9not_fun_tINSB_10functional5actorINSM_9compositeIJNSM_27transparent_binary_operatorINSA_8equal_toIvEEEENSN_INSM_8argumentILj0EEEEENSM_5valueIdEEEEEEEEEEEE10hipError_tPvRmT3_T4_T5_T6_T7_T9_mT8_P12ihipStream_tbDpT10_ENKUlT_T0_E_clISt17integral_constantIbLb0EES1J_IbLb1EEEEDaS1F_S1G_EUlS1F_E_NS1_11comp_targetILNS1_3genE0ELNS1_11target_archE4294967295ELNS1_3gpuE0ELNS1_3repE0EEENS1_30default_config_static_selectorELNS0_4arch9wavefront6targetE0EEEvT1_.has_recursion, 0
	.set _ZN7rocprim17ROCPRIM_400000_NS6detail17trampoline_kernelINS0_14default_configENS1_25partition_config_selectorILNS1_17partition_subalgoE6EdNS0_10empty_typeEbEEZZNS1_14partition_implILS5_6ELb0ES3_mN6thrust23THRUST_200600_302600_NS6detail15normal_iteratorINSA_10device_ptrIdEEEEPS6_SG_NS0_5tupleIJSF_S6_EEENSH_IJSG_SG_EEES6_PlJNSB_9not_fun_tINSB_10functional5actorINSM_9compositeIJNSM_27transparent_binary_operatorINSA_8equal_toIvEEEENSN_INSM_8argumentILj0EEEEENSM_5valueIdEEEEEEEEEEEE10hipError_tPvRmT3_T4_T5_T6_T7_T9_mT8_P12ihipStream_tbDpT10_ENKUlT_T0_E_clISt17integral_constantIbLb0EES1J_IbLb1EEEEDaS1F_S1G_EUlS1F_E_NS1_11comp_targetILNS1_3genE0ELNS1_11target_archE4294967295ELNS1_3gpuE0ELNS1_3repE0EEENS1_30default_config_static_selectorELNS0_4arch9wavefront6targetE0EEEvT1_.has_indirect_call, 0
	.section	.AMDGPU.csdata,"",@progbits
; Kernel info:
; codeLenInByte = 0
; TotalNumSgprs: 0
; NumVgprs: 0
; ScratchSize: 0
; MemoryBound: 0
; FloatMode: 240
; IeeeMode: 1
; LDSByteSize: 0 bytes/workgroup (compile time only)
; SGPRBlocks: 0
; VGPRBlocks: 0
; NumSGPRsForWavesPerEU: 1
; NumVGPRsForWavesPerEU: 1
; Occupancy: 16
; WaveLimiterHint : 0
; COMPUTE_PGM_RSRC2:SCRATCH_EN: 0
; COMPUTE_PGM_RSRC2:USER_SGPR: 2
; COMPUTE_PGM_RSRC2:TRAP_HANDLER: 0
; COMPUTE_PGM_RSRC2:TGID_X_EN: 1
; COMPUTE_PGM_RSRC2:TGID_Y_EN: 0
; COMPUTE_PGM_RSRC2:TGID_Z_EN: 0
; COMPUTE_PGM_RSRC2:TIDIG_COMP_CNT: 0
	.section	.text._ZN7rocprim17ROCPRIM_400000_NS6detail17trampoline_kernelINS0_14default_configENS1_25partition_config_selectorILNS1_17partition_subalgoE6EdNS0_10empty_typeEbEEZZNS1_14partition_implILS5_6ELb0ES3_mN6thrust23THRUST_200600_302600_NS6detail15normal_iteratorINSA_10device_ptrIdEEEEPS6_SG_NS0_5tupleIJSF_S6_EEENSH_IJSG_SG_EEES6_PlJNSB_9not_fun_tINSB_10functional5actorINSM_9compositeIJNSM_27transparent_binary_operatorINSA_8equal_toIvEEEENSN_INSM_8argumentILj0EEEEENSM_5valueIdEEEEEEEEEEEE10hipError_tPvRmT3_T4_T5_T6_T7_T9_mT8_P12ihipStream_tbDpT10_ENKUlT_T0_E_clISt17integral_constantIbLb0EES1J_IbLb1EEEEDaS1F_S1G_EUlS1F_E_NS1_11comp_targetILNS1_3genE5ELNS1_11target_archE942ELNS1_3gpuE9ELNS1_3repE0EEENS1_30default_config_static_selectorELNS0_4arch9wavefront6targetE0EEEvT1_,"axG",@progbits,_ZN7rocprim17ROCPRIM_400000_NS6detail17trampoline_kernelINS0_14default_configENS1_25partition_config_selectorILNS1_17partition_subalgoE6EdNS0_10empty_typeEbEEZZNS1_14partition_implILS5_6ELb0ES3_mN6thrust23THRUST_200600_302600_NS6detail15normal_iteratorINSA_10device_ptrIdEEEEPS6_SG_NS0_5tupleIJSF_S6_EEENSH_IJSG_SG_EEES6_PlJNSB_9not_fun_tINSB_10functional5actorINSM_9compositeIJNSM_27transparent_binary_operatorINSA_8equal_toIvEEEENSN_INSM_8argumentILj0EEEEENSM_5valueIdEEEEEEEEEEEE10hipError_tPvRmT3_T4_T5_T6_T7_T9_mT8_P12ihipStream_tbDpT10_ENKUlT_T0_E_clISt17integral_constantIbLb0EES1J_IbLb1EEEEDaS1F_S1G_EUlS1F_E_NS1_11comp_targetILNS1_3genE5ELNS1_11target_archE942ELNS1_3gpuE9ELNS1_3repE0EEENS1_30default_config_static_selectorELNS0_4arch9wavefront6targetE0EEEvT1_,comdat
	.protected	_ZN7rocprim17ROCPRIM_400000_NS6detail17trampoline_kernelINS0_14default_configENS1_25partition_config_selectorILNS1_17partition_subalgoE6EdNS0_10empty_typeEbEEZZNS1_14partition_implILS5_6ELb0ES3_mN6thrust23THRUST_200600_302600_NS6detail15normal_iteratorINSA_10device_ptrIdEEEEPS6_SG_NS0_5tupleIJSF_S6_EEENSH_IJSG_SG_EEES6_PlJNSB_9not_fun_tINSB_10functional5actorINSM_9compositeIJNSM_27transparent_binary_operatorINSA_8equal_toIvEEEENSN_INSM_8argumentILj0EEEEENSM_5valueIdEEEEEEEEEEEE10hipError_tPvRmT3_T4_T5_T6_T7_T9_mT8_P12ihipStream_tbDpT10_ENKUlT_T0_E_clISt17integral_constantIbLb0EES1J_IbLb1EEEEDaS1F_S1G_EUlS1F_E_NS1_11comp_targetILNS1_3genE5ELNS1_11target_archE942ELNS1_3gpuE9ELNS1_3repE0EEENS1_30default_config_static_selectorELNS0_4arch9wavefront6targetE0EEEvT1_ ; -- Begin function _ZN7rocprim17ROCPRIM_400000_NS6detail17trampoline_kernelINS0_14default_configENS1_25partition_config_selectorILNS1_17partition_subalgoE6EdNS0_10empty_typeEbEEZZNS1_14partition_implILS5_6ELb0ES3_mN6thrust23THRUST_200600_302600_NS6detail15normal_iteratorINSA_10device_ptrIdEEEEPS6_SG_NS0_5tupleIJSF_S6_EEENSH_IJSG_SG_EEES6_PlJNSB_9not_fun_tINSB_10functional5actorINSM_9compositeIJNSM_27transparent_binary_operatorINSA_8equal_toIvEEEENSN_INSM_8argumentILj0EEEEENSM_5valueIdEEEEEEEEEEEE10hipError_tPvRmT3_T4_T5_T6_T7_T9_mT8_P12ihipStream_tbDpT10_ENKUlT_T0_E_clISt17integral_constantIbLb0EES1J_IbLb1EEEEDaS1F_S1G_EUlS1F_E_NS1_11comp_targetILNS1_3genE5ELNS1_11target_archE942ELNS1_3gpuE9ELNS1_3repE0EEENS1_30default_config_static_selectorELNS0_4arch9wavefront6targetE0EEEvT1_
	.globl	_ZN7rocprim17ROCPRIM_400000_NS6detail17trampoline_kernelINS0_14default_configENS1_25partition_config_selectorILNS1_17partition_subalgoE6EdNS0_10empty_typeEbEEZZNS1_14partition_implILS5_6ELb0ES3_mN6thrust23THRUST_200600_302600_NS6detail15normal_iteratorINSA_10device_ptrIdEEEEPS6_SG_NS0_5tupleIJSF_S6_EEENSH_IJSG_SG_EEES6_PlJNSB_9not_fun_tINSB_10functional5actorINSM_9compositeIJNSM_27transparent_binary_operatorINSA_8equal_toIvEEEENSN_INSM_8argumentILj0EEEEENSM_5valueIdEEEEEEEEEEEE10hipError_tPvRmT3_T4_T5_T6_T7_T9_mT8_P12ihipStream_tbDpT10_ENKUlT_T0_E_clISt17integral_constantIbLb0EES1J_IbLb1EEEEDaS1F_S1G_EUlS1F_E_NS1_11comp_targetILNS1_3genE5ELNS1_11target_archE942ELNS1_3gpuE9ELNS1_3repE0EEENS1_30default_config_static_selectorELNS0_4arch9wavefront6targetE0EEEvT1_
	.p2align	8
	.type	_ZN7rocprim17ROCPRIM_400000_NS6detail17trampoline_kernelINS0_14default_configENS1_25partition_config_selectorILNS1_17partition_subalgoE6EdNS0_10empty_typeEbEEZZNS1_14partition_implILS5_6ELb0ES3_mN6thrust23THRUST_200600_302600_NS6detail15normal_iteratorINSA_10device_ptrIdEEEEPS6_SG_NS0_5tupleIJSF_S6_EEENSH_IJSG_SG_EEES6_PlJNSB_9not_fun_tINSB_10functional5actorINSM_9compositeIJNSM_27transparent_binary_operatorINSA_8equal_toIvEEEENSN_INSM_8argumentILj0EEEEENSM_5valueIdEEEEEEEEEEEE10hipError_tPvRmT3_T4_T5_T6_T7_T9_mT8_P12ihipStream_tbDpT10_ENKUlT_T0_E_clISt17integral_constantIbLb0EES1J_IbLb1EEEEDaS1F_S1G_EUlS1F_E_NS1_11comp_targetILNS1_3genE5ELNS1_11target_archE942ELNS1_3gpuE9ELNS1_3repE0EEENS1_30default_config_static_selectorELNS0_4arch9wavefront6targetE0EEEvT1_,@function
_ZN7rocprim17ROCPRIM_400000_NS6detail17trampoline_kernelINS0_14default_configENS1_25partition_config_selectorILNS1_17partition_subalgoE6EdNS0_10empty_typeEbEEZZNS1_14partition_implILS5_6ELb0ES3_mN6thrust23THRUST_200600_302600_NS6detail15normal_iteratorINSA_10device_ptrIdEEEEPS6_SG_NS0_5tupleIJSF_S6_EEENSH_IJSG_SG_EEES6_PlJNSB_9not_fun_tINSB_10functional5actorINSM_9compositeIJNSM_27transparent_binary_operatorINSA_8equal_toIvEEEENSN_INSM_8argumentILj0EEEEENSM_5valueIdEEEEEEEEEEEE10hipError_tPvRmT3_T4_T5_T6_T7_T9_mT8_P12ihipStream_tbDpT10_ENKUlT_T0_E_clISt17integral_constantIbLb0EES1J_IbLb1EEEEDaS1F_S1G_EUlS1F_E_NS1_11comp_targetILNS1_3genE5ELNS1_11target_archE942ELNS1_3gpuE9ELNS1_3repE0EEENS1_30default_config_static_selectorELNS0_4arch9wavefront6targetE0EEEvT1_: ; @_ZN7rocprim17ROCPRIM_400000_NS6detail17trampoline_kernelINS0_14default_configENS1_25partition_config_selectorILNS1_17partition_subalgoE6EdNS0_10empty_typeEbEEZZNS1_14partition_implILS5_6ELb0ES3_mN6thrust23THRUST_200600_302600_NS6detail15normal_iteratorINSA_10device_ptrIdEEEEPS6_SG_NS0_5tupleIJSF_S6_EEENSH_IJSG_SG_EEES6_PlJNSB_9not_fun_tINSB_10functional5actorINSM_9compositeIJNSM_27transparent_binary_operatorINSA_8equal_toIvEEEENSN_INSM_8argumentILj0EEEEENSM_5valueIdEEEEEEEEEEEE10hipError_tPvRmT3_T4_T5_T6_T7_T9_mT8_P12ihipStream_tbDpT10_ENKUlT_T0_E_clISt17integral_constantIbLb0EES1J_IbLb1EEEEDaS1F_S1G_EUlS1F_E_NS1_11comp_targetILNS1_3genE5ELNS1_11target_archE942ELNS1_3gpuE9ELNS1_3repE0EEENS1_30default_config_static_selectorELNS0_4arch9wavefront6targetE0EEEvT1_
; %bb.0:
	.section	.rodata,"a",@progbits
	.p2align	6, 0x0
	.amdhsa_kernel _ZN7rocprim17ROCPRIM_400000_NS6detail17trampoline_kernelINS0_14default_configENS1_25partition_config_selectorILNS1_17partition_subalgoE6EdNS0_10empty_typeEbEEZZNS1_14partition_implILS5_6ELb0ES3_mN6thrust23THRUST_200600_302600_NS6detail15normal_iteratorINSA_10device_ptrIdEEEEPS6_SG_NS0_5tupleIJSF_S6_EEENSH_IJSG_SG_EEES6_PlJNSB_9not_fun_tINSB_10functional5actorINSM_9compositeIJNSM_27transparent_binary_operatorINSA_8equal_toIvEEEENSN_INSM_8argumentILj0EEEEENSM_5valueIdEEEEEEEEEEEE10hipError_tPvRmT3_T4_T5_T6_T7_T9_mT8_P12ihipStream_tbDpT10_ENKUlT_T0_E_clISt17integral_constantIbLb0EES1J_IbLb1EEEEDaS1F_S1G_EUlS1F_E_NS1_11comp_targetILNS1_3genE5ELNS1_11target_archE942ELNS1_3gpuE9ELNS1_3repE0EEENS1_30default_config_static_selectorELNS0_4arch9wavefront6targetE0EEEvT1_
		.amdhsa_group_segment_fixed_size 0
		.amdhsa_private_segment_fixed_size 0
		.amdhsa_kernarg_size 136
		.amdhsa_user_sgpr_count 2
		.amdhsa_user_sgpr_dispatch_ptr 0
		.amdhsa_user_sgpr_queue_ptr 0
		.amdhsa_user_sgpr_kernarg_segment_ptr 1
		.amdhsa_user_sgpr_dispatch_id 0
		.amdhsa_user_sgpr_private_segment_size 0
		.amdhsa_wavefront_size32 1
		.amdhsa_uses_dynamic_stack 0
		.amdhsa_enable_private_segment 0
		.amdhsa_system_sgpr_workgroup_id_x 1
		.amdhsa_system_sgpr_workgroup_id_y 0
		.amdhsa_system_sgpr_workgroup_id_z 0
		.amdhsa_system_sgpr_workgroup_info 0
		.amdhsa_system_vgpr_workitem_id 0
		.amdhsa_next_free_vgpr 1
		.amdhsa_next_free_sgpr 1
		.amdhsa_reserve_vcc 0
		.amdhsa_float_round_mode_32 0
		.amdhsa_float_round_mode_16_64 0
		.amdhsa_float_denorm_mode_32 3
		.amdhsa_float_denorm_mode_16_64 3
		.amdhsa_fp16_overflow 0
		.amdhsa_workgroup_processor_mode 1
		.amdhsa_memory_ordered 1
		.amdhsa_forward_progress 1
		.amdhsa_inst_pref_size 0
		.amdhsa_round_robin_scheduling 0
		.amdhsa_exception_fp_ieee_invalid_op 0
		.amdhsa_exception_fp_denorm_src 0
		.amdhsa_exception_fp_ieee_div_zero 0
		.amdhsa_exception_fp_ieee_overflow 0
		.amdhsa_exception_fp_ieee_underflow 0
		.amdhsa_exception_fp_ieee_inexact 0
		.amdhsa_exception_int_div_zero 0
	.end_amdhsa_kernel
	.section	.text._ZN7rocprim17ROCPRIM_400000_NS6detail17trampoline_kernelINS0_14default_configENS1_25partition_config_selectorILNS1_17partition_subalgoE6EdNS0_10empty_typeEbEEZZNS1_14partition_implILS5_6ELb0ES3_mN6thrust23THRUST_200600_302600_NS6detail15normal_iteratorINSA_10device_ptrIdEEEEPS6_SG_NS0_5tupleIJSF_S6_EEENSH_IJSG_SG_EEES6_PlJNSB_9not_fun_tINSB_10functional5actorINSM_9compositeIJNSM_27transparent_binary_operatorINSA_8equal_toIvEEEENSN_INSM_8argumentILj0EEEEENSM_5valueIdEEEEEEEEEEEE10hipError_tPvRmT3_T4_T5_T6_T7_T9_mT8_P12ihipStream_tbDpT10_ENKUlT_T0_E_clISt17integral_constantIbLb0EES1J_IbLb1EEEEDaS1F_S1G_EUlS1F_E_NS1_11comp_targetILNS1_3genE5ELNS1_11target_archE942ELNS1_3gpuE9ELNS1_3repE0EEENS1_30default_config_static_selectorELNS0_4arch9wavefront6targetE0EEEvT1_,"axG",@progbits,_ZN7rocprim17ROCPRIM_400000_NS6detail17trampoline_kernelINS0_14default_configENS1_25partition_config_selectorILNS1_17partition_subalgoE6EdNS0_10empty_typeEbEEZZNS1_14partition_implILS5_6ELb0ES3_mN6thrust23THRUST_200600_302600_NS6detail15normal_iteratorINSA_10device_ptrIdEEEEPS6_SG_NS0_5tupleIJSF_S6_EEENSH_IJSG_SG_EEES6_PlJNSB_9not_fun_tINSB_10functional5actorINSM_9compositeIJNSM_27transparent_binary_operatorINSA_8equal_toIvEEEENSN_INSM_8argumentILj0EEEEENSM_5valueIdEEEEEEEEEEEE10hipError_tPvRmT3_T4_T5_T6_T7_T9_mT8_P12ihipStream_tbDpT10_ENKUlT_T0_E_clISt17integral_constantIbLb0EES1J_IbLb1EEEEDaS1F_S1G_EUlS1F_E_NS1_11comp_targetILNS1_3genE5ELNS1_11target_archE942ELNS1_3gpuE9ELNS1_3repE0EEENS1_30default_config_static_selectorELNS0_4arch9wavefront6targetE0EEEvT1_,comdat
.Lfunc_end39:
	.size	_ZN7rocprim17ROCPRIM_400000_NS6detail17trampoline_kernelINS0_14default_configENS1_25partition_config_selectorILNS1_17partition_subalgoE6EdNS0_10empty_typeEbEEZZNS1_14partition_implILS5_6ELb0ES3_mN6thrust23THRUST_200600_302600_NS6detail15normal_iteratorINSA_10device_ptrIdEEEEPS6_SG_NS0_5tupleIJSF_S6_EEENSH_IJSG_SG_EEES6_PlJNSB_9not_fun_tINSB_10functional5actorINSM_9compositeIJNSM_27transparent_binary_operatorINSA_8equal_toIvEEEENSN_INSM_8argumentILj0EEEEENSM_5valueIdEEEEEEEEEEEE10hipError_tPvRmT3_T4_T5_T6_T7_T9_mT8_P12ihipStream_tbDpT10_ENKUlT_T0_E_clISt17integral_constantIbLb0EES1J_IbLb1EEEEDaS1F_S1G_EUlS1F_E_NS1_11comp_targetILNS1_3genE5ELNS1_11target_archE942ELNS1_3gpuE9ELNS1_3repE0EEENS1_30default_config_static_selectorELNS0_4arch9wavefront6targetE0EEEvT1_, .Lfunc_end39-_ZN7rocprim17ROCPRIM_400000_NS6detail17trampoline_kernelINS0_14default_configENS1_25partition_config_selectorILNS1_17partition_subalgoE6EdNS0_10empty_typeEbEEZZNS1_14partition_implILS5_6ELb0ES3_mN6thrust23THRUST_200600_302600_NS6detail15normal_iteratorINSA_10device_ptrIdEEEEPS6_SG_NS0_5tupleIJSF_S6_EEENSH_IJSG_SG_EEES6_PlJNSB_9not_fun_tINSB_10functional5actorINSM_9compositeIJNSM_27transparent_binary_operatorINSA_8equal_toIvEEEENSN_INSM_8argumentILj0EEEEENSM_5valueIdEEEEEEEEEEEE10hipError_tPvRmT3_T4_T5_T6_T7_T9_mT8_P12ihipStream_tbDpT10_ENKUlT_T0_E_clISt17integral_constantIbLb0EES1J_IbLb1EEEEDaS1F_S1G_EUlS1F_E_NS1_11comp_targetILNS1_3genE5ELNS1_11target_archE942ELNS1_3gpuE9ELNS1_3repE0EEENS1_30default_config_static_selectorELNS0_4arch9wavefront6targetE0EEEvT1_
                                        ; -- End function
	.set _ZN7rocprim17ROCPRIM_400000_NS6detail17trampoline_kernelINS0_14default_configENS1_25partition_config_selectorILNS1_17partition_subalgoE6EdNS0_10empty_typeEbEEZZNS1_14partition_implILS5_6ELb0ES3_mN6thrust23THRUST_200600_302600_NS6detail15normal_iteratorINSA_10device_ptrIdEEEEPS6_SG_NS0_5tupleIJSF_S6_EEENSH_IJSG_SG_EEES6_PlJNSB_9not_fun_tINSB_10functional5actorINSM_9compositeIJNSM_27transparent_binary_operatorINSA_8equal_toIvEEEENSN_INSM_8argumentILj0EEEEENSM_5valueIdEEEEEEEEEEEE10hipError_tPvRmT3_T4_T5_T6_T7_T9_mT8_P12ihipStream_tbDpT10_ENKUlT_T0_E_clISt17integral_constantIbLb0EES1J_IbLb1EEEEDaS1F_S1G_EUlS1F_E_NS1_11comp_targetILNS1_3genE5ELNS1_11target_archE942ELNS1_3gpuE9ELNS1_3repE0EEENS1_30default_config_static_selectorELNS0_4arch9wavefront6targetE0EEEvT1_.num_vgpr, 0
	.set _ZN7rocprim17ROCPRIM_400000_NS6detail17trampoline_kernelINS0_14default_configENS1_25partition_config_selectorILNS1_17partition_subalgoE6EdNS0_10empty_typeEbEEZZNS1_14partition_implILS5_6ELb0ES3_mN6thrust23THRUST_200600_302600_NS6detail15normal_iteratorINSA_10device_ptrIdEEEEPS6_SG_NS0_5tupleIJSF_S6_EEENSH_IJSG_SG_EEES6_PlJNSB_9not_fun_tINSB_10functional5actorINSM_9compositeIJNSM_27transparent_binary_operatorINSA_8equal_toIvEEEENSN_INSM_8argumentILj0EEEEENSM_5valueIdEEEEEEEEEEEE10hipError_tPvRmT3_T4_T5_T6_T7_T9_mT8_P12ihipStream_tbDpT10_ENKUlT_T0_E_clISt17integral_constantIbLb0EES1J_IbLb1EEEEDaS1F_S1G_EUlS1F_E_NS1_11comp_targetILNS1_3genE5ELNS1_11target_archE942ELNS1_3gpuE9ELNS1_3repE0EEENS1_30default_config_static_selectorELNS0_4arch9wavefront6targetE0EEEvT1_.num_agpr, 0
	.set _ZN7rocprim17ROCPRIM_400000_NS6detail17trampoline_kernelINS0_14default_configENS1_25partition_config_selectorILNS1_17partition_subalgoE6EdNS0_10empty_typeEbEEZZNS1_14partition_implILS5_6ELb0ES3_mN6thrust23THRUST_200600_302600_NS6detail15normal_iteratorINSA_10device_ptrIdEEEEPS6_SG_NS0_5tupleIJSF_S6_EEENSH_IJSG_SG_EEES6_PlJNSB_9not_fun_tINSB_10functional5actorINSM_9compositeIJNSM_27transparent_binary_operatorINSA_8equal_toIvEEEENSN_INSM_8argumentILj0EEEEENSM_5valueIdEEEEEEEEEEEE10hipError_tPvRmT3_T4_T5_T6_T7_T9_mT8_P12ihipStream_tbDpT10_ENKUlT_T0_E_clISt17integral_constantIbLb0EES1J_IbLb1EEEEDaS1F_S1G_EUlS1F_E_NS1_11comp_targetILNS1_3genE5ELNS1_11target_archE942ELNS1_3gpuE9ELNS1_3repE0EEENS1_30default_config_static_selectorELNS0_4arch9wavefront6targetE0EEEvT1_.numbered_sgpr, 0
	.set _ZN7rocprim17ROCPRIM_400000_NS6detail17trampoline_kernelINS0_14default_configENS1_25partition_config_selectorILNS1_17partition_subalgoE6EdNS0_10empty_typeEbEEZZNS1_14partition_implILS5_6ELb0ES3_mN6thrust23THRUST_200600_302600_NS6detail15normal_iteratorINSA_10device_ptrIdEEEEPS6_SG_NS0_5tupleIJSF_S6_EEENSH_IJSG_SG_EEES6_PlJNSB_9not_fun_tINSB_10functional5actorINSM_9compositeIJNSM_27transparent_binary_operatorINSA_8equal_toIvEEEENSN_INSM_8argumentILj0EEEEENSM_5valueIdEEEEEEEEEEEE10hipError_tPvRmT3_T4_T5_T6_T7_T9_mT8_P12ihipStream_tbDpT10_ENKUlT_T0_E_clISt17integral_constantIbLb0EES1J_IbLb1EEEEDaS1F_S1G_EUlS1F_E_NS1_11comp_targetILNS1_3genE5ELNS1_11target_archE942ELNS1_3gpuE9ELNS1_3repE0EEENS1_30default_config_static_selectorELNS0_4arch9wavefront6targetE0EEEvT1_.num_named_barrier, 0
	.set _ZN7rocprim17ROCPRIM_400000_NS6detail17trampoline_kernelINS0_14default_configENS1_25partition_config_selectorILNS1_17partition_subalgoE6EdNS0_10empty_typeEbEEZZNS1_14partition_implILS5_6ELb0ES3_mN6thrust23THRUST_200600_302600_NS6detail15normal_iteratorINSA_10device_ptrIdEEEEPS6_SG_NS0_5tupleIJSF_S6_EEENSH_IJSG_SG_EEES6_PlJNSB_9not_fun_tINSB_10functional5actorINSM_9compositeIJNSM_27transparent_binary_operatorINSA_8equal_toIvEEEENSN_INSM_8argumentILj0EEEEENSM_5valueIdEEEEEEEEEEEE10hipError_tPvRmT3_T4_T5_T6_T7_T9_mT8_P12ihipStream_tbDpT10_ENKUlT_T0_E_clISt17integral_constantIbLb0EES1J_IbLb1EEEEDaS1F_S1G_EUlS1F_E_NS1_11comp_targetILNS1_3genE5ELNS1_11target_archE942ELNS1_3gpuE9ELNS1_3repE0EEENS1_30default_config_static_selectorELNS0_4arch9wavefront6targetE0EEEvT1_.private_seg_size, 0
	.set _ZN7rocprim17ROCPRIM_400000_NS6detail17trampoline_kernelINS0_14default_configENS1_25partition_config_selectorILNS1_17partition_subalgoE6EdNS0_10empty_typeEbEEZZNS1_14partition_implILS5_6ELb0ES3_mN6thrust23THRUST_200600_302600_NS6detail15normal_iteratorINSA_10device_ptrIdEEEEPS6_SG_NS0_5tupleIJSF_S6_EEENSH_IJSG_SG_EEES6_PlJNSB_9not_fun_tINSB_10functional5actorINSM_9compositeIJNSM_27transparent_binary_operatorINSA_8equal_toIvEEEENSN_INSM_8argumentILj0EEEEENSM_5valueIdEEEEEEEEEEEE10hipError_tPvRmT3_T4_T5_T6_T7_T9_mT8_P12ihipStream_tbDpT10_ENKUlT_T0_E_clISt17integral_constantIbLb0EES1J_IbLb1EEEEDaS1F_S1G_EUlS1F_E_NS1_11comp_targetILNS1_3genE5ELNS1_11target_archE942ELNS1_3gpuE9ELNS1_3repE0EEENS1_30default_config_static_selectorELNS0_4arch9wavefront6targetE0EEEvT1_.uses_vcc, 0
	.set _ZN7rocprim17ROCPRIM_400000_NS6detail17trampoline_kernelINS0_14default_configENS1_25partition_config_selectorILNS1_17partition_subalgoE6EdNS0_10empty_typeEbEEZZNS1_14partition_implILS5_6ELb0ES3_mN6thrust23THRUST_200600_302600_NS6detail15normal_iteratorINSA_10device_ptrIdEEEEPS6_SG_NS0_5tupleIJSF_S6_EEENSH_IJSG_SG_EEES6_PlJNSB_9not_fun_tINSB_10functional5actorINSM_9compositeIJNSM_27transparent_binary_operatorINSA_8equal_toIvEEEENSN_INSM_8argumentILj0EEEEENSM_5valueIdEEEEEEEEEEEE10hipError_tPvRmT3_T4_T5_T6_T7_T9_mT8_P12ihipStream_tbDpT10_ENKUlT_T0_E_clISt17integral_constantIbLb0EES1J_IbLb1EEEEDaS1F_S1G_EUlS1F_E_NS1_11comp_targetILNS1_3genE5ELNS1_11target_archE942ELNS1_3gpuE9ELNS1_3repE0EEENS1_30default_config_static_selectorELNS0_4arch9wavefront6targetE0EEEvT1_.uses_flat_scratch, 0
	.set _ZN7rocprim17ROCPRIM_400000_NS6detail17trampoline_kernelINS0_14default_configENS1_25partition_config_selectorILNS1_17partition_subalgoE6EdNS0_10empty_typeEbEEZZNS1_14partition_implILS5_6ELb0ES3_mN6thrust23THRUST_200600_302600_NS6detail15normal_iteratorINSA_10device_ptrIdEEEEPS6_SG_NS0_5tupleIJSF_S6_EEENSH_IJSG_SG_EEES6_PlJNSB_9not_fun_tINSB_10functional5actorINSM_9compositeIJNSM_27transparent_binary_operatorINSA_8equal_toIvEEEENSN_INSM_8argumentILj0EEEEENSM_5valueIdEEEEEEEEEEEE10hipError_tPvRmT3_T4_T5_T6_T7_T9_mT8_P12ihipStream_tbDpT10_ENKUlT_T0_E_clISt17integral_constantIbLb0EES1J_IbLb1EEEEDaS1F_S1G_EUlS1F_E_NS1_11comp_targetILNS1_3genE5ELNS1_11target_archE942ELNS1_3gpuE9ELNS1_3repE0EEENS1_30default_config_static_selectorELNS0_4arch9wavefront6targetE0EEEvT1_.has_dyn_sized_stack, 0
	.set _ZN7rocprim17ROCPRIM_400000_NS6detail17trampoline_kernelINS0_14default_configENS1_25partition_config_selectorILNS1_17partition_subalgoE6EdNS0_10empty_typeEbEEZZNS1_14partition_implILS5_6ELb0ES3_mN6thrust23THRUST_200600_302600_NS6detail15normal_iteratorINSA_10device_ptrIdEEEEPS6_SG_NS0_5tupleIJSF_S6_EEENSH_IJSG_SG_EEES6_PlJNSB_9not_fun_tINSB_10functional5actorINSM_9compositeIJNSM_27transparent_binary_operatorINSA_8equal_toIvEEEENSN_INSM_8argumentILj0EEEEENSM_5valueIdEEEEEEEEEEEE10hipError_tPvRmT3_T4_T5_T6_T7_T9_mT8_P12ihipStream_tbDpT10_ENKUlT_T0_E_clISt17integral_constantIbLb0EES1J_IbLb1EEEEDaS1F_S1G_EUlS1F_E_NS1_11comp_targetILNS1_3genE5ELNS1_11target_archE942ELNS1_3gpuE9ELNS1_3repE0EEENS1_30default_config_static_selectorELNS0_4arch9wavefront6targetE0EEEvT1_.has_recursion, 0
	.set _ZN7rocprim17ROCPRIM_400000_NS6detail17trampoline_kernelINS0_14default_configENS1_25partition_config_selectorILNS1_17partition_subalgoE6EdNS0_10empty_typeEbEEZZNS1_14partition_implILS5_6ELb0ES3_mN6thrust23THRUST_200600_302600_NS6detail15normal_iteratorINSA_10device_ptrIdEEEEPS6_SG_NS0_5tupleIJSF_S6_EEENSH_IJSG_SG_EEES6_PlJNSB_9not_fun_tINSB_10functional5actorINSM_9compositeIJNSM_27transparent_binary_operatorINSA_8equal_toIvEEEENSN_INSM_8argumentILj0EEEEENSM_5valueIdEEEEEEEEEEEE10hipError_tPvRmT3_T4_T5_T6_T7_T9_mT8_P12ihipStream_tbDpT10_ENKUlT_T0_E_clISt17integral_constantIbLb0EES1J_IbLb1EEEEDaS1F_S1G_EUlS1F_E_NS1_11comp_targetILNS1_3genE5ELNS1_11target_archE942ELNS1_3gpuE9ELNS1_3repE0EEENS1_30default_config_static_selectorELNS0_4arch9wavefront6targetE0EEEvT1_.has_indirect_call, 0
	.section	.AMDGPU.csdata,"",@progbits
; Kernel info:
; codeLenInByte = 0
; TotalNumSgprs: 0
; NumVgprs: 0
; ScratchSize: 0
; MemoryBound: 0
; FloatMode: 240
; IeeeMode: 1
; LDSByteSize: 0 bytes/workgroup (compile time only)
; SGPRBlocks: 0
; VGPRBlocks: 0
; NumSGPRsForWavesPerEU: 1
; NumVGPRsForWavesPerEU: 1
; Occupancy: 16
; WaveLimiterHint : 0
; COMPUTE_PGM_RSRC2:SCRATCH_EN: 0
; COMPUTE_PGM_RSRC2:USER_SGPR: 2
; COMPUTE_PGM_RSRC2:TRAP_HANDLER: 0
; COMPUTE_PGM_RSRC2:TGID_X_EN: 1
; COMPUTE_PGM_RSRC2:TGID_Y_EN: 0
; COMPUTE_PGM_RSRC2:TGID_Z_EN: 0
; COMPUTE_PGM_RSRC2:TIDIG_COMP_CNT: 0
	.section	.text._ZN7rocprim17ROCPRIM_400000_NS6detail17trampoline_kernelINS0_14default_configENS1_25partition_config_selectorILNS1_17partition_subalgoE6EdNS0_10empty_typeEbEEZZNS1_14partition_implILS5_6ELb0ES3_mN6thrust23THRUST_200600_302600_NS6detail15normal_iteratorINSA_10device_ptrIdEEEEPS6_SG_NS0_5tupleIJSF_S6_EEENSH_IJSG_SG_EEES6_PlJNSB_9not_fun_tINSB_10functional5actorINSM_9compositeIJNSM_27transparent_binary_operatorINSA_8equal_toIvEEEENSN_INSM_8argumentILj0EEEEENSM_5valueIdEEEEEEEEEEEE10hipError_tPvRmT3_T4_T5_T6_T7_T9_mT8_P12ihipStream_tbDpT10_ENKUlT_T0_E_clISt17integral_constantIbLb0EES1J_IbLb1EEEEDaS1F_S1G_EUlS1F_E_NS1_11comp_targetILNS1_3genE4ELNS1_11target_archE910ELNS1_3gpuE8ELNS1_3repE0EEENS1_30default_config_static_selectorELNS0_4arch9wavefront6targetE0EEEvT1_,"axG",@progbits,_ZN7rocprim17ROCPRIM_400000_NS6detail17trampoline_kernelINS0_14default_configENS1_25partition_config_selectorILNS1_17partition_subalgoE6EdNS0_10empty_typeEbEEZZNS1_14partition_implILS5_6ELb0ES3_mN6thrust23THRUST_200600_302600_NS6detail15normal_iteratorINSA_10device_ptrIdEEEEPS6_SG_NS0_5tupleIJSF_S6_EEENSH_IJSG_SG_EEES6_PlJNSB_9not_fun_tINSB_10functional5actorINSM_9compositeIJNSM_27transparent_binary_operatorINSA_8equal_toIvEEEENSN_INSM_8argumentILj0EEEEENSM_5valueIdEEEEEEEEEEEE10hipError_tPvRmT3_T4_T5_T6_T7_T9_mT8_P12ihipStream_tbDpT10_ENKUlT_T0_E_clISt17integral_constantIbLb0EES1J_IbLb1EEEEDaS1F_S1G_EUlS1F_E_NS1_11comp_targetILNS1_3genE4ELNS1_11target_archE910ELNS1_3gpuE8ELNS1_3repE0EEENS1_30default_config_static_selectorELNS0_4arch9wavefront6targetE0EEEvT1_,comdat
	.protected	_ZN7rocprim17ROCPRIM_400000_NS6detail17trampoline_kernelINS0_14default_configENS1_25partition_config_selectorILNS1_17partition_subalgoE6EdNS0_10empty_typeEbEEZZNS1_14partition_implILS5_6ELb0ES3_mN6thrust23THRUST_200600_302600_NS6detail15normal_iteratorINSA_10device_ptrIdEEEEPS6_SG_NS0_5tupleIJSF_S6_EEENSH_IJSG_SG_EEES6_PlJNSB_9not_fun_tINSB_10functional5actorINSM_9compositeIJNSM_27transparent_binary_operatorINSA_8equal_toIvEEEENSN_INSM_8argumentILj0EEEEENSM_5valueIdEEEEEEEEEEEE10hipError_tPvRmT3_T4_T5_T6_T7_T9_mT8_P12ihipStream_tbDpT10_ENKUlT_T0_E_clISt17integral_constantIbLb0EES1J_IbLb1EEEEDaS1F_S1G_EUlS1F_E_NS1_11comp_targetILNS1_3genE4ELNS1_11target_archE910ELNS1_3gpuE8ELNS1_3repE0EEENS1_30default_config_static_selectorELNS0_4arch9wavefront6targetE0EEEvT1_ ; -- Begin function _ZN7rocprim17ROCPRIM_400000_NS6detail17trampoline_kernelINS0_14default_configENS1_25partition_config_selectorILNS1_17partition_subalgoE6EdNS0_10empty_typeEbEEZZNS1_14partition_implILS5_6ELb0ES3_mN6thrust23THRUST_200600_302600_NS6detail15normal_iteratorINSA_10device_ptrIdEEEEPS6_SG_NS0_5tupleIJSF_S6_EEENSH_IJSG_SG_EEES6_PlJNSB_9not_fun_tINSB_10functional5actorINSM_9compositeIJNSM_27transparent_binary_operatorINSA_8equal_toIvEEEENSN_INSM_8argumentILj0EEEEENSM_5valueIdEEEEEEEEEEEE10hipError_tPvRmT3_T4_T5_T6_T7_T9_mT8_P12ihipStream_tbDpT10_ENKUlT_T0_E_clISt17integral_constantIbLb0EES1J_IbLb1EEEEDaS1F_S1G_EUlS1F_E_NS1_11comp_targetILNS1_3genE4ELNS1_11target_archE910ELNS1_3gpuE8ELNS1_3repE0EEENS1_30default_config_static_selectorELNS0_4arch9wavefront6targetE0EEEvT1_
	.globl	_ZN7rocprim17ROCPRIM_400000_NS6detail17trampoline_kernelINS0_14default_configENS1_25partition_config_selectorILNS1_17partition_subalgoE6EdNS0_10empty_typeEbEEZZNS1_14partition_implILS5_6ELb0ES3_mN6thrust23THRUST_200600_302600_NS6detail15normal_iteratorINSA_10device_ptrIdEEEEPS6_SG_NS0_5tupleIJSF_S6_EEENSH_IJSG_SG_EEES6_PlJNSB_9not_fun_tINSB_10functional5actorINSM_9compositeIJNSM_27transparent_binary_operatorINSA_8equal_toIvEEEENSN_INSM_8argumentILj0EEEEENSM_5valueIdEEEEEEEEEEEE10hipError_tPvRmT3_T4_T5_T6_T7_T9_mT8_P12ihipStream_tbDpT10_ENKUlT_T0_E_clISt17integral_constantIbLb0EES1J_IbLb1EEEEDaS1F_S1G_EUlS1F_E_NS1_11comp_targetILNS1_3genE4ELNS1_11target_archE910ELNS1_3gpuE8ELNS1_3repE0EEENS1_30default_config_static_selectorELNS0_4arch9wavefront6targetE0EEEvT1_
	.p2align	8
	.type	_ZN7rocprim17ROCPRIM_400000_NS6detail17trampoline_kernelINS0_14default_configENS1_25partition_config_selectorILNS1_17partition_subalgoE6EdNS0_10empty_typeEbEEZZNS1_14partition_implILS5_6ELb0ES3_mN6thrust23THRUST_200600_302600_NS6detail15normal_iteratorINSA_10device_ptrIdEEEEPS6_SG_NS0_5tupleIJSF_S6_EEENSH_IJSG_SG_EEES6_PlJNSB_9not_fun_tINSB_10functional5actorINSM_9compositeIJNSM_27transparent_binary_operatorINSA_8equal_toIvEEEENSN_INSM_8argumentILj0EEEEENSM_5valueIdEEEEEEEEEEEE10hipError_tPvRmT3_T4_T5_T6_T7_T9_mT8_P12ihipStream_tbDpT10_ENKUlT_T0_E_clISt17integral_constantIbLb0EES1J_IbLb1EEEEDaS1F_S1G_EUlS1F_E_NS1_11comp_targetILNS1_3genE4ELNS1_11target_archE910ELNS1_3gpuE8ELNS1_3repE0EEENS1_30default_config_static_selectorELNS0_4arch9wavefront6targetE0EEEvT1_,@function
_ZN7rocprim17ROCPRIM_400000_NS6detail17trampoline_kernelINS0_14default_configENS1_25partition_config_selectorILNS1_17partition_subalgoE6EdNS0_10empty_typeEbEEZZNS1_14partition_implILS5_6ELb0ES3_mN6thrust23THRUST_200600_302600_NS6detail15normal_iteratorINSA_10device_ptrIdEEEEPS6_SG_NS0_5tupleIJSF_S6_EEENSH_IJSG_SG_EEES6_PlJNSB_9not_fun_tINSB_10functional5actorINSM_9compositeIJNSM_27transparent_binary_operatorINSA_8equal_toIvEEEENSN_INSM_8argumentILj0EEEEENSM_5valueIdEEEEEEEEEEEE10hipError_tPvRmT3_T4_T5_T6_T7_T9_mT8_P12ihipStream_tbDpT10_ENKUlT_T0_E_clISt17integral_constantIbLb0EES1J_IbLb1EEEEDaS1F_S1G_EUlS1F_E_NS1_11comp_targetILNS1_3genE4ELNS1_11target_archE910ELNS1_3gpuE8ELNS1_3repE0EEENS1_30default_config_static_selectorELNS0_4arch9wavefront6targetE0EEEvT1_: ; @_ZN7rocprim17ROCPRIM_400000_NS6detail17trampoline_kernelINS0_14default_configENS1_25partition_config_selectorILNS1_17partition_subalgoE6EdNS0_10empty_typeEbEEZZNS1_14partition_implILS5_6ELb0ES3_mN6thrust23THRUST_200600_302600_NS6detail15normal_iteratorINSA_10device_ptrIdEEEEPS6_SG_NS0_5tupleIJSF_S6_EEENSH_IJSG_SG_EEES6_PlJNSB_9not_fun_tINSB_10functional5actorINSM_9compositeIJNSM_27transparent_binary_operatorINSA_8equal_toIvEEEENSN_INSM_8argumentILj0EEEEENSM_5valueIdEEEEEEEEEEEE10hipError_tPvRmT3_T4_T5_T6_T7_T9_mT8_P12ihipStream_tbDpT10_ENKUlT_T0_E_clISt17integral_constantIbLb0EES1J_IbLb1EEEEDaS1F_S1G_EUlS1F_E_NS1_11comp_targetILNS1_3genE4ELNS1_11target_archE910ELNS1_3gpuE8ELNS1_3repE0EEENS1_30default_config_static_selectorELNS0_4arch9wavefront6targetE0EEEvT1_
; %bb.0:
	.section	.rodata,"a",@progbits
	.p2align	6, 0x0
	.amdhsa_kernel _ZN7rocprim17ROCPRIM_400000_NS6detail17trampoline_kernelINS0_14default_configENS1_25partition_config_selectorILNS1_17partition_subalgoE6EdNS0_10empty_typeEbEEZZNS1_14partition_implILS5_6ELb0ES3_mN6thrust23THRUST_200600_302600_NS6detail15normal_iteratorINSA_10device_ptrIdEEEEPS6_SG_NS0_5tupleIJSF_S6_EEENSH_IJSG_SG_EEES6_PlJNSB_9not_fun_tINSB_10functional5actorINSM_9compositeIJNSM_27transparent_binary_operatorINSA_8equal_toIvEEEENSN_INSM_8argumentILj0EEEEENSM_5valueIdEEEEEEEEEEEE10hipError_tPvRmT3_T4_T5_T6_T7_T9_mT8_P12ihipStream_tbDpT10_ENKUlT_T0_E_clISt17integral_constantIbLb0EES1J_IbLb1EEEEDaS1F_S1G_EUlS1F_E_NS1_11comp_targetILNS1_3genE4ELNS1_11target_archE910ELNS1_3gpuE8ELNS1_3repE0EEENS1_30default_config_static_selectorELNS0_4arch9wavefront6targetE0EEEvT1_
		.amdhsa_group_segment_fixed_size 0
		.amdhsa_private_segment_fixed_size 0
		.amdhsa_kernarg_size 136
		.amdhsa_user_sgpr_count 2
		.amdhsa_user_sgpr_dispatch_ptr 0
		.amdhsa_user_sgpr_queue_ptr 0
		.amdhsa_user_sgpr_kernarg_segment_ptr 1
		.amdhsa_user_sgpr_dispatch_id 0
		.amdhsa_user_sgpr_private_segment_size 0
		.amdhsa_wavefront_size32 1
		.amdhsa_uses_dynamic_stack 0
		.amdhsa_enable_private_segment 0
		.amdhsa_system_sgpr_workgroup_id_x 1
		.amdhsa_system_sgpr_workgroup_id_y 0
		.amdhsa_system_sgpr_workgroup_id_z 0
		.amdhsa_system_sgpr_workgroup_info 0
		.amdhsa_system_vgpr_workitem_id 0
		.amdhsa_next_free_vgpr 1
		.amdhsa_next_free_sgpr 1
		.amdhsa_reserve_vcc 0
		.amdhsa_float_round_mode_32 0
		.amdhsa_float_round_mode_16_64 0
		.amdhsa_float_denorm_mode_32 3
		.amdhsa_float_denorm_mode_16_64 3
		.amdhsa_fp16_overflow 0
		.amdhsa_workgroup_processor_mode 1
		.amdhsa_memory_ordered 1
		.amdhsa_forward_progress 1
		.amdhsa_inst_pref_size 0
		.amdhsa_round_robin_scheduling 0
		.amdhsa_exception_fp_ieee_invalid_op 0
		.amdhsa_exception_fp_denorm_src 0
		.amdhsa_exception_fp_ieee_div_zero 0
		.amdhsa_exception_fp_ieee_overflow 0
		.amdhsa_exception_fp_ieee_underflow 0
		.amdhsa_exception_fp_ieee_inexact 0
		.amdhsa_exception_int_div_zero 0
	.end_amdhsa_kernel
	.section	.text._ZN7rocprim17ROCPRIM_400000_NS6detail17trampoline_kernelINS0_14default_configENS1_25partition_config_selectorILNS1_17partition_subalgoE6EdNS0_10empty_typeEbEEZZNS1_14partition_implILS5_6ELb0ES3_mN6thrust23THRUST_200600_302600_NS6detail15normal_iteratorINSA_10device_ptrIdEEEEPS6_SG_NS0_5tupleIJSF_S6_EEENSH_IJSG_SG_EEES6_PlJNSB_9not_fun_tINSB_10functional5actorINSM_9compositeIJNSM_27transparent_binary_operatorINSA_8equal_toIvEEEENSN_INSM_8argumentILj0EEEEENSM_5valueIdEEEEEEEEEEEE10hipError_tPvRmT3_T4_T5_T6_T7_T9_mT8_P12ihipStream_tbDpT10_ENKUlT_T0_E_clISt17integral_constantIbLb0EES1J_IbLb1EEEEDaS1F_S1G_EUlS1F_E_NS1_11comp_targetILNS1_3genE4ELNS1_11target_archE910ELNS1_3gpuE8ELNS1_3repE0EEENS1_30default_config_static_selectorELNS0_4arch9wavefront6targetE0EEEvT1_,"axG",@progbits,_ZN7rocprim17ROCPRIM_400000_NS6detail17trampoline_kernelINS0_14default_configENS1_25partition_config_selectorILNS1_17partition_subalgoE6EdNS0_10empty_typeEbEEZZNS1_14partition_implILS5_6ELb0ES3_mN6thrust23THRUST_200600_302600_NS6detail15normal_iteratorINSA_10device_ptrIdEEEEPS6_SG_NS0_5tupleIJSF_S6_EEENSH_IJSG_SG_EEES6_PlJNSB_9not_fun_tINSB_10functional5actorINSM_9compositeIJNSM_27transparent_binary_operatorINSA_8equal_toIvEEEENSN_INSM_8argumentILj0EEEEENSM_5valueIdEEEEEEEEEEEE10hipError_tPvRmT3_T4_T5_T6_T7_T9_mT8_P12ihipStream_tbDpT10_ENKUlT_T0_E_clISt17integral_constantIbLb0EES1J_IbLb1EEEEDaS1F_S1G_EUlS1F_E_NS1_11comp_targetILNS1_3genE4ELNS1_11target_archE910ELNS1_3gpuE8ELNS1_3repE0EEENS1_30default_config_static_selectorELNS0_4arch9wavefront6targetE0EEEvT1_,comdat
.Lfunc_end40:
	.size	_ZN7rocprim17ROCPRIM_400000_NS6detail17trampoline_kernelINS0_14default_configENS1_25partition_config_selectorILNS1_17partition_subalgoE6EdNS0_10empty_typeEbEEZZNS1_14partition_implILS5_6ELb0ES3_mN6thrust23THRUST_200600_302600_NS6detail15normal_iteratorINSA_10device_ptrIdEEEEPS6_SG_NS0_5tupleIJSF_S6_EEENSH_IJSG_SG_EEES6_PlJNSB_9not_fun_tINSB_10functional5actorINSM_9compositeIJNSM_27transparent_binary_operatorINSA_8equal_toIvEEEENSN_INSM_8argumentILj0EEEEENSM_5valueIdEEEEEEEEEEEE10hipError_tPvRmT3_T4_T5_T6_T7_T9_mT8_P12ihipStream_tbDpT10_ENKUlT_T0_E_clISt17integral_constantIbLb0EES1J_IbLb1EEEEDaS1F_S1G_EUlS1F_E_NS1_11comp_targetILNS1_3genE4ELNS1_11target_archE910ELNS1_3gpuE8ELNS1_3repE0EEENS1_30default_config_static_selectorELNS0_4arch9wavefront6targetE0EEEvT1_, .Lfunc_end40-_ZN7rocprim17ROCPRIM_400000_NS6detail17trampoline_kernelINS0_14default_configENS1_25partition_config_selectorILNS1_17partition_subalgoE6EdNS0_10empty_typeEbEEZZNS1_14partition_implILS5_6ELb0ES3_mN6thrust23THRUST_200600_302600_NS6detail15normal_iteratorINSA_10device_ptrIdEEEEPS6_SG_NS0_5tupleIJSF_S6_EEENSH_IJSG_SG_EEES6_PlJNSB_9not_fun_tINSB_10functional5actorINSM_9compositeIJNSM_27transparent_binary_operatorINSA_8equal_toIvEEEENSN_INSM_8argumentILj0EEEEENSM_5valueIdEEEEEEEEEEEE10hipError_tPvRmT3_T4_T5_T6_T7_T9_mT8_P12ihipStream_tbDpT10_ENKUlT_T0_E_clISt17integral_constantIbLb0EES1J_IbLb1EEEEDaS1F_S1G_EUlS1F_E_NS1_11comp_targetILNS1_3genE4ELNS1_11target_archE910ELNS1_3gpuE8ELNS1_3repE0EEENS1_30default_config_static_selectorELNS0_4arch9wavefront6targetE0EEEvT1_
                                        ; -- End function
	.set _ZN7rocprim17ROCPRIM_400000_NS6detail17trampoline_kernelINS0_14default_configENS1_25partition_config_selectorILNS1_17partition_subalgoE6EdNS0_10empty_typeEbEEZZNS1_14partition_implILS5_6ELb0ES3_mN6thrust23THRUST_200600_302600_NS6detail15normal_iteratorINSA_10device_ptrIdEEEEPS6_SG_NS0_5tupleIJSF_S6_EEENSH_IJSG_SG_EEES6_PlJNSB_9not_fun_tINSB_10functional5actorINSM_9compositeIJNSM_27transparent_binary_operatorINSA_8equal_toIvEEEENSN_INSM_8argumentILj0EEEEENSM_5valueIdEEEEEEEEEEEE10hipError_tPvRmT3_T4_T5_T6_T7_T9_mT8_P12ihipStream_tbDpT10_ENKUlT_T0_E_clISt17integral_constantIbLb0EES1J_IbLb1EEEEDaS1F_S1G_EUlS1F_E_NS1_11comp_targetILNS1_3genE4ELNS1_11target_archE910ELNS1_3gpuE8ELNS1_3repE0EEENS1_30default_config_static_selectorELNS0_4arch9wavefront6targetE0EEEvT1_.num_vgpr, 0
	.set _ZN7rocprim17ROCPRIM_400000_NS6detail17trampoline_kernelINS0_14default_configENS1_25partition_config_selectorILNS1_17partition_subalgoE6EdNS0_10empty_typeEbEEZZNS1_14partition_implILS5_6ELb0ES3_mN6thrust23THRUST_200600_302600_NS6detail15normal_iteratorINSA_10device_ptrIdEEEEPS6_SG_NS0_5tupleIJSF_S6_EEENSH_IJSG_SG_EEES6_PlJNSB_9not_fun_tINSB_10functional5actorINSM_9compositeIJNSM_27transparent_binary_operatorINSA_8equal_toIvEEEENSN_INSM_8argumentILj0EEEEENSM_5valueIdEEEEEEEEEEEE10hipError_tPvRmT3_T4_T5_T6_T7_T9_mT8_P12ihipStream_tbDpT10_ENKUlT_T0_E_clISt17integral_constantIbLb0EES1J_IbLb1EEEEDaS1F_S1G_EUlS1F_E_NS1_11comp_targetILNS1_3genE4ELNS1_11target_archE910ELNS1_3gpuE8ELNS1_3repE0EEENS1_30default_config_static_selectorELNS0_4arch9wavefront6targetE0EEEvT1_.num_agpr, 0
	.set _ZN7rocprim17ROCPRIM_400000_NS6detail17trampoline_kernelINS0_14default_configENS1_25partition_config_selectorILNS1_17partition_subalgoE6EdNS0_10empty_typeEbEEZZNS1_14partition_implILS5_6ELb0ES3_mN6thrust23THRUST_200600_302600_NS6detail15normal_iteratorINSA_10device_ptrIdEEEEPS6_SG_NS0_5tupleIJSF_S6_EEENSH_IJSG_SG_EEES6_PlJNSB_9not_fun_tINSB_10functional5actorINSM_9compositeIJNSM_27transparent_binary_operatorINSA_8equal_toIvEEEENSN_INSM_8argumentILj0EEEEENSM_5valueIdEEEEEEEEEEEE10hipError_tPvRmT3_T4_T5_T6_T7_T9_mT8_P12ihipStream_tbDpT10_ENKUlT_T0_E_clISt17integral_constantIbLb0EES1J_IbLb1EEEEDaS1F_S1G_EUlS1F_E_NS1_11comp_targetILNS1_3genE4ELNS1_11target_archE910ELNS1_3gpuE8ELNS1_3repE0EEENS1_30default_config_static_selectorELNS0_4arch9wavefront6targetE0EEEvT1_.numbered_sgpr, 0
	.set _ZN7rocprim17ROCPRIM_400000_NS6detail17trampoline_kernelINS0_14default_configENS1_25partition_config_selectorILNS1_17partition_subalgoE6EdNS0_10empty_typeEbEEZZNS1_14partition_implILS5_6ELb0ES3_mN6thrust23THRUST_200600_302600_NS6detail15normal_iteratorINSA_10device_ptrIdEEEEPS6_SG_NS0_5tupleIJSF_S6_EEENSH_IJSG_SG_EEES6_PlJNSB_9not_fun_tINSB_10functional5actorINSM_9compositeIJNSM_27transparent_binary_operatorINSA_8equal_toIvEEEENSN_INSM_8argumentILj0EEEEENSM_5valueIdEEEEEEEEEEEE10hipError_tPvRmT3_T4_T5_T6_T7_T9_mT8_P12ihipStream_tbDpT10_ENKUlT_T0_E_clISt17integral_constantIbLb0EES1J_IbLb1EEEEDaS1F_S1G_EUlS1F_E_NS1_11comp_targetILNS1_3genE4ELNS1_11target_archE910ELNS1_3gpuE8ELNS1_3repE0EEENS1_30default_config_static_selectorELNS0_4arch9wavefront6targetE0EEEvT1_.num_named_barrier, 0
	.set _ZN7rocprim17ROCPRIM_400000_NS6detail17trampoline_kernelINS0_14default_configENS1_25partition_config_selectorILNS1_17partition_subalgoE6EdNS0_10empty_typeEbEEZZNS1_14partition_implILS5_6ELb0ES3_mN6thrust23THRUST_200600_302600_NS6detail15normal_iteratorINSA_10device_ptrIdEEEEPS6_SG_NS0_5tupleIJSF_S6_EEENSH_IJSG_SG_EEES6_PlJNSB_9not_fun_tINSB_10functional5actorINSM_9compositeIJNSM_27transparent_binary_operatorINSA_8equal_toIvEEEENSN_INSM_8argumentILj0EEEEENSM_5valueIdEEEEEEEEEEEE10hipError_tPvRmT3_T4_T5_T6_T7_T9_mT8_P12ihipStream_tbDpT10_ENKUlT_T0_E_clISt17integral_constantIbLb0EES1J_IbLb1EEEEDaS1F_S1G_EUlS1F_E_NS1_11comp_targetILNS1_3genE4ELNS1_11target_archE910ELNS1_3gpuE8ELNS1_3repE0EEENS1_30default_config_static_selectorELNS0_4arch9wavefront6targetE0EEEvT1_.private_seg_size, 0
	.set _ZN7rocprim17ROCPRIM_400000_NS6detail17trampoline_kernelINS0_14default_configENS1_25partition_config_selectorILNS1_17partition_subalgoE6EdNS0_10empty_typeEbEEZZNS1_14partition_implILS5_6ELb0ES3_mN6thrust23THRUST_200600_302600_NS6detail15normal_iteratorINSA_10device_ptrIdEEEEPS6_SG_NS0_5tupleIJSF_S6_EEENSH_IJSG_SG_EEES6_PlJNSB_9not_fun_tINSB_10functional5actorINSM_9compositeIJNSM_27transparent_binary_operatorINSA_8equal_toIvEEEENSN_INSM_8argumentILj0EEEEENSM_5valueIdEEEEEEEEEEEE10hipError_tPvRmT3_T4_T5_T6_T7_T9_mT8_P12ihipStream_tbDpT10_ENKUlT_T0_E_clISt17integral_constantIbLb0EES1J_IbLb1EEEEDaS1F_S1G_EUlS1F_E_NS1_11comp_targetILNS1_3genE4ELNS1_11target_archE910ELNS1_3gpuE8ELNS1_3repE0EEENS1_30default_config_static_selectorELNS0_4arch9wavefront6targetE0EEEvT1_.uses_vcc, 0
	.set _ZN7rocprim17ROCPRIM_400000_NS6detail17trampoline_kernelINS0_14default_configENS1_25partition_config_selectorILNS1_17partition_subalgoE6EdNS0_10empty_typeEbEEZZNS1_14partition_implILS5_6ELb0ES3_mN6thrust23THRUST_200600_302600_NS6detail15normal_iteratorINSA_10device_ptrIdEEEEPS6_SG_NS0_5tupleIJSF_S6_EEENSH_IJSG_SG_EEES6_PlJNSB_9not_fun_tINSB_10functional5actorINSM_9compositeIJNSM_27transparent_binary_operatorINSA_8equal_toIvEEEENSN_INSM_8argumentILj0EEEEENSM_5valueIdEEEEEEEEEEEE10hipError_tPvRmT3_T4_T5_T6_T7_T9_mT8_P12ihipStream_tbDpT10_ENKUlT_T0_E_clISt17integral_constantIbLb0EES1J_IbLb1EEEEDaS1F_S1G_EUlS1F_E_NS1_11comp_targetILNS1_3genE4ELNS1_11target_archE910ELNS1_3gpuE8ELNS1_3repE0EEENS1_30default_config_static_selectorELNS0_4arch9wavefront6targetE0EEEvT1_.uses_flat_scratch, 0
	.set _ZN7rocprim17ROCPRIM_400000_NS6detail17trampoline_kernelINS0_14default_configENS1_25partition_config_selectorILNS1_17partition_subalgoE6EdNS0_10empty_typeEbEEZZNS1_14partition_implILS5_6ELb0ES3_mN6thrust23THRUST_200600_302600_NS6detail15normal_iteratorINSA_10device_ptrIdEEEEPS6_SG_NS0_5tupleIJSF_S6_EEENSH_IJSG_SG_EEES6_PlJNSB_9not_fun_tINSB_10functional5actorINSM_9compositeIJNSM_27transparent_binary_operatorINSA_8equal_toIvEEEENSN_INSM_8argumentILj0EEEEENSM_5valueIdEEEEEEEEEEEE10hipError_tPvRmT3_T4_T5_T6_T7_T9_mT8_P12ihipStream_tbDpT10_ENKUlT_T0_E_clISt17integral_constantIbLb0EES1J_IbLb1EEEEDaS1F_S1G_EUlS1F_E_NS1_11comp_targetILNS1_3genE4ELNS1_11target_archE910ELNS1_3gpuE8ELNS1_3repE0EEENS1_30default_config_static_selectorELNS0_4arch9wavefront6targetE0EEEvT1_.has_dyn_sized_stack, 0
	.set _ZN7rocprim17ROCPRIM_400000_NS6detail17trampoline_kernelINS0_14default_configENS1_25partition_config_selectorILNS1_17partition_subalgoE6EdNS0_10empty_typeEbEEZZNS1_14partition_implILS5_6ELb0ES3_mN6thrust23THRUST_200600_302600_NS6detail15normal_iteratorINSA_10device_ptrIdEEEEPS6_SG_NS0_5tupleIJSF_S6_EEENSH_IJSG_SG_EEES6_PlJNSB_9not_fun_tINSB_10functional5actorINSM_9compositeIJNSM_27transparent_binary_operatorINSA_8equal_toIvEEEENSN_INSM_8argumentILj0EEEEENSM_5valueIdEEEEEEEEEEEE10hipError_tPvRmT3_T4_T5_T6_T7_T9_mT8_P12ihipStream_tbDpT10_ENKUlT_T0_E_clISt17integral_constantIbLb0EES1J_IbLb1EEEEDaS1F_S1G_EUlS1F_E_NS1_11comp_targetILNS1_3genE4ELNS1_11target_archE910ELNS1_3gpuE8ELNS1_3repE0EEENS1_30default_config_static_selectorELNS0_4arch9wavefront6targetE0EEEvT1_.has_recursion, 0
	.set _ZN7rocprim17ROCPRIM_400000_NS6detail17trampoline_kernelINS0_14default_configENS1_25partition_config_selectorILNS1_17partition_subalgoE6EdNS0_10empty_typeEbEEZZNS1_14partition_implILS5_6ELb0ES3_mN6thrust23THRUST_200600_302600_NS6detail15normal_iteratorINSA_10device_ptrIdEEEEPS6_SG_NS0_5tupleIJSF_S6_EEENSH_IJSG_SG_EEES6_PlJNSB_9not_fun_tINSB_10functional5actorINSM_9compositeIJNSM_27transparent_binary_operatorINSA_8equal_toIvEEEENSN_INSM_8argumentILj0EEEEENSM_5valueIdEEEEEEEEEEEE10hipError_tPvRmT3_T4_T5_T6_T7_T9_mT8_P12ihipStream_tbDpT10_ENKUlT_T0_E_clISt17integral_constantIbLb0EES1J_IbLb1EEEEDaS1F_S1G_EUlS1F_E_NS1_11comp_targetILNS1_3genE4ELNS1_11target_archE910ELNS1_3gpuE8ELNS1_3repE0EEENS1_30default_config_static_selectorELNS0_4arch9wavefront6targetE0EEEvT1_.has_indirect_call, 0
	.section	.AMDGPU.csdata,"",@progbits
; Kernel info:
; codeLenInByte = 0
; TotalNumSgprs: 0
; NumVgprs: 0
; ScratchSize: 0
; MemoryBound: 0
; FloatMode: 240
; IeeeMode: 1
; LDSByteSize: 0 bytes/workgroup (compile time only)
; SGPRBlocks: 0
; VGPRBlocks: 0
; NumSGPRsForWavesPerEU: 1
; NumVGPRsForWavesPerEU: 1
; Occupancy: 16
; WaveLimiterHint : 0
; COMPUTE_PGM_RSRC2:SCRATCH_EN: 0
; COMPUTE_PGM_RSRC2:USER_SGPR: 2
; COMPUTE_PGM_RSRC2:TRAP_HANDLER: 0
; COMPUTE_PGM_RSRC2:TGID_X_EN: 1
; COMPUTE_PGM_RSRC2:TGID_Y_EN: 0
; COMPUTE_PGM_RSRC2:TGID_Z_EN: 0
; COMPUTE_PGM_RSRC2:TIDIG_COMP_CNT: 0
	.section	.text._ZN7rocprim17ROCPRIM_400000_NS6detail17trampoline_kernelINS0_14default_configENS1_25partition_config_selectorILNS1_17partition_subalgoE6EdNS0_10empty_typeEbEEZZNS1_14partition_implILS5_6ELb0ES3_mN6thrust23THRUST_200600_302600_NS6detail15normal_iteratorINSA_10device_ptrIdEEEEPS6_SG_NS0_5tupleIJSF_S6_EEENSH_IJSG_SG_EEES6_PlJNSB_9not_fun_tINSB_10functional5actorINSM_9compositeIJNSM_27transparent_binary_operatorINSA_8equal_toIvEEEENSN_INSM_8argumentILj0EEEEENSM_5valueIdEEEEEEEEEEEE10hipError_tPvRmT3_T4_T5_T6_T7_T9_mT8_P12ihipStream_tbDpT10_ENKUlT_T0_E_clISt17integral_constantIbLb0EES1J_IbLb1EEEEDaS1F_S1G_EUlS1F_E_NS1_11comp_targetILNS1_3genE3ELNS1_11target_archE908ELNS1_3gpuE7ELNS1_3repE0EEENS1_30default_config_static_selectorELNS0_4arch9wavefront6targetE0EEEvT1_,"axG",@progbits,_ZN7rocprim17ROCPRIM_400000_NS6detail17trampoline_kernelINS0_14default_configENS1_25partition_config_selectorILNS1_17partition_subalgoE6EdNS0_10empty_typeEbEEZZNS1_14partition_implILS5_6ELb0ES3_mN6thrust23THRUST_200600_302600_NS6detail15normal_iteratorINSA_10device_ptrIdEEEEPS6_SG_NS0_5tupleIJSF_S6_EEENSH_IJSG_SG_EEES6_PlJNSB_9not_fun_tINSB_10functional5actorINSM_9compositeIJNSM_27transparent_binary_operatorINSA_8equal_toIvEEEENSN_INSM_8argumentILj0EEEEENSM_5valueIdEEEEEEEEEEEE10hipError_tPvRmT3_T4_T5_T6_T7_T9_mT8_P12ihipStream_tbDpT10_ENKUlT_T0_E_clISt17integral_constantIbLb0EES1J_IbLb1EEEEDaS1F_S1G_EUlS1F_E_NS1_11comp_targetILNS1_3genE3ELNS1_11target_archE908ELNS1_3gpuE7ELNS1_3repE0EEENS1_30default_config_static_selectorELNS0_4arch9wavefront6targetE0EEEvT1_,comdat
	.protected	_ZN7rocprim17ROCPRIM_400000_NS6detail17trampoline_kernelINS0_14default_configENS1_25partition_config_selectorILNS1_17partition_subalgoE6EdNS0_10empty_typeEbEEZZNS1_14partition_implILS5_6ELb0ES3_mN6thrust23THRUST_200600_302600_NS6detail15normal_iteratorINSA_10device_ptrIdEEEEPS6_SG_NS0_5tupleIJSF_S6_EEENSH_IJSG_SG_EEES6_PlJNSB_9not_fun_tINSB_10functional5actorINSM_9compositeIJNSM_27transparent_binary_operatorINSA_8equal_toIvEEEENSN_INSM_8argumentILj0EEEEENSM_5valueIdEEEEEEEEEEEE10hipError_tPvRmT3_T4_T5_T6_T7_T9_mT8_P12ihipStream_tbDpT10_ENKUlT_T0_E_clISt17integral_constantIbLb0EES1J_IbLb1EEEEDaS1F_S1G_EUlS1F_E_NS1_11comp_targetILNS1_3genE3ELNS1_11target_archE908ELNS1_3gpuE7ELNS1_3repE0EEENS1_30default_config_static_selectorELNS0_4arch9wavefront6targetE0EEEvT1_ ; -- Begin function _ZN7rocprim17ROCPRIM_400000_NS6detail17trampoline_kernelINS0_14default_configENS1_25partition_config_selectorILNS1_17partition_subalgoE6EdNS0_10empty_typeEbEEZZNS1_14partition_implILS5_6ELb0ES3_mN6thrust23THRUST_200600_302600_NS6detail15normal_iteratorINSA_10device_ptrIdEEEEPS6_SG_NS0_5tupleIJSF_S6_EEENSH_IJSG_SG_EEES6_PlJNSB_9not_fun_tINSB_10functional5actorINSM_9compositeIJNSM_27transparent_binary_operatorINSA_8equal_toIvEEEENSN_INSM_8argumentILj0EEEEENSM_5valueIdEEEEEEEEEEEE10hipError_tPvRmT3_T4_T5_T6_T7_T9_mT8_P12ihipStream_tbDpT10_ENKUlT_T0_E_clISt17integral_constantIbLb0EES1J_IbLb1EEEEDaS1F_S1G_EUlS1F_E_NS1_11comp_targetILNS1_3genE3ELNS1_11target_archE908ELNS1_3gpuE7ELNS1_3repE0EEENS1_30default_config_static_selectorELNS0_4arch9wavefront6targetE0EEEvT1_
	.globl	_ZN7rocprim17ROCPRIM_400000_NS6detail17trampoline_kernelINS0_14default_configENS1_25partition_config_selectorILNS1_17partition_subalgoE6EdNS0_10empty_typeEbEEZZNS1_14partition_implILS5_6ELb0ES3_mN6thrust23THRUST_200600_302600_NS6detail15normal_iteratorINSA_10device_ptrIdEEEEPS6_SG_NS0_5tupleIJSF_S6_EEENSH_IJSG_SG_EEES6_PlJNSB_9not_fun_tINSB_10functional5actorINSM_9compositeIJNSM_27transparent_binary_operatorINSA_8equal_toIvEEEENSN_INSM_8argumentILj0EEEEENSM_5valueIdEEEEEEEEEEEE10hipError_tPvRmT3_T4_T5_T6_T7_T9_mT8_P12ihipStream_tbDpT10_ENKUlT_T0_E_clISt17integral_constantIbLb0EES1J_IbLb1EEEEDaS1F_S1G_EUlS1F_E_NS1_11comp_targetILNS1_3genE3ELNS1_11target_archE908ELNS1_3gpuE7ELNS1_3repE0EEENS1_30default_config_static_selectorELNS0_4arch9wavefront6targetE0EEEvT1_
	.p2align	8
	.type	_ZN7rocprim17ROCPRIM_400000_NS6detail17trampoline_kernelINS0_14default_configENS1_25partition_config_selectorILNS1_17partition_subalgoE6EdNS0_10empty_typeEbEEZZNS1_14partition_implILS5_6ELb0ES3_mN6thrust23THRUST_200600_302600_NS6detail15normal_iteratorINSA_10device_ptrIdEEEEPS6_SG_NS0_5tupleIJSF_S6_EEENSH_IJSG_SG_EEES6_PlJNSB_9not_fun_tINSB_10functional5actorINSM_9compositeIJNSM_27transparent_binary_operatorINSA_8equal_toIvEEEENSN_INSM_8argumentILj0EEEEENSM_5valueIdEEEEEEEEEEEE10hipError_tPvRmT3_T4_T5_T6_T7_T9_mT8_P12ihipStream_tbDpT10_ENKUlT_T0_E_clISt17integral_constantIbLb0EES1J_IbLb1EEEEDaS1F_S1G_EUlS1F_E_NS1_11comp_targetILNS1_3genE3ELNS1_11target_archE908ELNS1_3gpuE7ELNS1_3repE0EEENS1_30default_config_static_selectorELNS0_4arch9wavefront6targetE0EEEvT1_,@function
_ZN7rocprim17ROCPRIM_400000_NS6detail17trampoline_kernelINS0_14default_configENS1_25partition_config_selectorILNS1_17partition_subalgoE6EdNS0_10empty_typeEbEEZZNS1_14partition_implILS5_6ELb0ES3_mN6thrust23THRUST_200600_302600_NS6detail15normal_iteratorINSA_10device_ptrIdEEEEPS6_SG_NS0_5tupleIJSF_S6_EEENSH_IJSG_SG_EEES6_PlJNSB_9not_fun_tINSB_10functional5actorINSM_9compositeIJNSM_27transparent_binary_operatorINSA_8equal_toIvEEEENSN_INSM_8argumentILj0EEEEENSM_5valueIdEEEEEEEEEEEE10hipError_tPvRmT3_T4_T5_T6_T7_T9_mT8_P12ihipStream_tbDpT10_ENKUlT_T0_E_clISt17integral_constantIbLb0EES1J_IbLb1EEEEDaS1F_S1G_EUlS1F_E_NS1_11comp_targetILNS1_3genE3ELNS1_11target_archE908ELNS1_3gpuE7ELNS1_3repE0EEENS1_30default_config_static_selectorELNS0_4arch9wavefront6targetE0EEEvT1_: ; @_ZN7rocprim17ROCPRIM_400000_NS6detail17trampoline_kernelINS0_14default_configENS1_25partition_config_selectorILNS1_17partition_subalgoE6EdNS0_10empty_typeEbEEZZNS1_14partition_implILS5_6ELb0ES3_mN6thrust23THRUST_200600_302600_NS6detail15normal_iteratorINSA_10device_ptrIdEEEEPS6_SG_NS0_5tupleIJSF_S6_EEENSH_IJSG_SG_EEES6_PlJNSB_9not_fun_tINSB_10functional5actorINSM_9compositeIJNSM_27transparent_binary_operatorINSA_8equal_toIvEEEENSN_INSM_8argumentILj0EEEEENSM_5valueIdEEEEEEEEEEEE10hipError_tPvRmT3_T4_T5_T6_T7_T9_mT8_P12ihipStream_tbDpT10_ENKUlT_T0_E_clISt17integral_constantIbLb0EES1J_IbLb1EEEEDaS1F_S1G_EUlS1F_E_NS1_11comp_targetILNS1_3genE3ELNS1_11target_archE908ELNS1_3gpuE7ELNS1_3repE0EEENS1_30default_config_static_selectorELNS0_4arch9wavefront6targetE0EEEvT1_
; %bb.0:
	.section	.rodata,"a",@progbits
	.p2align	6, 0x0
	.amdhsa_kernel _ZN7rocprim17ROCPRIM_400000_NS6detail17trampoline_kernelINS0_14default_configENS1_25partition_config_selectorILNS1_17partition_subalgoE6EdNS0_10empty_typeEbEEZZNS1_14partition_implILS5_6ELb0ES3_mN6thrust23THRUST_200600_302600_NS6detail15normal_iteratorINSA_10device_ptrIdEEEEPS6_SG_NS0_5tupleIJSF_S6_EEENSH_IJSG_SG_EEES6_PlJNSB_9not_fun_tINSB_10functional5actorINSM_9compositeIJNSM_27transparent_binary_operatorINSA_8equal_toIvEEEENSN_INSM_8argumentILj0EEEEENSM_5valueIdEEEEEEEEEEEE10hipError_tPvRmT3_T4_T5_T6_T7_T9_mT8_P12ihipStream_tbDpT10_ENKUlT_T0_E_clISt17integral_constantIbLb0EES1J_IbLb1EEEEDaS1F_S1G_EUlS1F_E_NS1_11comp_targetILNS1_3genE3ELNS1_11target_archE908ELNS1_3gpuE7ELNS1_3repE0EEENS1_30default_config_static_selectorELNS0_4arch9wavefront6targetE0EEEvT1_
		.amdhsa_group_segment_fixed_size 0
		.amdhsa_private_segment_fixed_size 0
		.amdhsa_kernarg_size 136
		.amdhsa_user_sgpr_count 2
		.amdhsa_user_sgpr_dispatch_ptr 0
		.amdhsa_user_sgpr_queue_ptr 0
		.amdhsa_user_sgpr_kernarg_segment_ptr 1
		.amdhsa_user_sgpr_dispatch_id 0
		.amdhsa_user_sgpr_private_segment_size 0
		.amdhsa_wavefront_size32 1
		.amdhsa_uses_dynamic_stack 0
		.amdhsa_enable_private_segment 0
		.amdhsa_system_sgpr_workgroup_id_x 1
		.amdhsa_system_sgpr_workgroup_id_y 0
		.amdhsa_system_sgpr_workgroup_id_z 0
		.amdhsa_system_sgpr_workgroup_info 0
		.amdhsa_system_vgpr_workitem_id 0
		.amdhsa_next_free_vgpr 1
		.amdhsa_next_free_sgpr 1
		.amdhsa_reserve_vcc 0
		.amdhsa_float_round_mode_32 0
		.amdhsa_float_round_mode_16_64 0
		.amdhsa_float_denorm_mode_32 3
		.amdhsa_float_denorm_mode_16_64 3
		.amdhsa_fp16_overflow 0
		.amdhsa_workgroup_processor_mode 1
		.amdhsa_memory_ordered 1
		.amdhsa_forward_progress 1
		.amdhsa_inst_pref_size 0
		.amdhsa_round_robin_scheduling 0
		.amdhsa_exception_fp_ieee_invalid_op 0
		.amdhsa_exception_fp_denorm_src 0
		.amdhsa_exception_fp_ieee_div_zero 0
		.amdhsa_exception_fp_ieee_overflow 0
		.amdhsa_exception_fp_ieee_underflow 0
		.amdhsa_exception_fp_ieee_inexact 0
		.amdhsa_exception_int_div_zero 0
	.end_amdhsa_kernel
	.section	.text._ZN7rocprim17ROCPRIM_400000_NS6detail17trampoline_kernelINS0_14default_configENS1_25partition_config_selectorILNS1_17partition_subalgoE6EdNS0_10empty_typeEbEEZZNS1_14partition_implILS5_6ELb0ES3_mN6thrust23THRUST_200600_302600_NS6detail15normal_iteratorINSA_10device_ptrIdEEEEPS6_SG_NS0_5tupleIJSF_S6_EEENSH_IJSG_SG_EEES6_PlJNSB_9not_fun_tINSB_10functional5actorINSM_9compositeIJNSM_27transparent_binary_operatorINSA_8equal_toIvEEEENSN_INSM_8argumentILj0EEEEENSM_5valueIdEEEEEEEEEEEE10hipError_tPvRmT3_T4_T5_T6_T7_T9_mT8_P12ihipStream_tbDpT10_ENKUlT_T0_E_clISt17integral_constantIbLb0EES1J_IbLb1EEEEDaS1F_S1G_EUlS1F_E_NS1_11comp_targetILNS1_3genE3ELNS1_11target_archE908ELNS1_3gpuE7ELNS1_3repE0EEENS1_30default_config_static_selectorELNS0_4arch9wavefront6targetE0EEEvT1_,"axG",@progbits,_ZN7rocprim17ROCPRIM_400000_NS6detail17trampoline_kernelINS0_14default_configENS1_25partition_config_selectorILNS1_17partition_subalgoE6EdNS0_10empty_typeEbEEZZNS1_14partition_implILS5_6ELb0ES3_mN6thrust23THRUST_200600_302600_NS6detail15normal_iteratorINSA_10device_ptrIdEEEEPS6_SG_NS0_5tupleIJSF_S6_EEENSH_IJSG_SG_EEES6_PlJNSB_9not_fun_tINSB_10functional5actorINSM_9compositeIJNSM_27transparent_binary_operatorINSA_8equal_toIvEEEENSN_INSM_8argumentILj0EEEEENSM_5valueIdEEEEEEEEEEEE10hipError_tPvRmT3_T4_T5_T6_T7_T9_mT8_P12ihipStream_tbDpT10_ENKUlT_T0_E_clISt17integral_constantIbLb0EES1J_IbLb1EEEEDaS1F_S1G_EUlS1F_E_NS1_11comp_targetILNS1_3genE3ELNS1_11target_archE908ELNS1_3gpuE7ELNS1_3repE0EEENS1_30default_config_static_selectorELNS0_4arch9wavefront6targetE0EEEvT1_,comdat
.Lfunc_end41:
	.size	_ZN7rocprim17ROCPRIM_400000_NS6detail17trampoline_kernelINS0_14default_configENS1_25partition_config_selectorILNS1_17partition_subalgoE6EdNS0_10empty_typeEbEEZZNS1_14partition_implILS5_6ELb0ES3_mN6thrust23THRUST_200600_302600_NS6detail15normal_iteratorINSA_10device_ptrIdEEEEPS6_SG_NS0_5tupleIJSF_S6_EEENSH_IJSG_SG_EEES6_PlJNSB_9not_fun_tINSB_10functional5actorINSM_9compositeIJNSM_27transparent_binary_operatorINSA_8equal_toIvEEEENSN_INSM_8argumentILj0EEEEENSM_5valueIdEEEEEEEEEEEE10hipError_tPvRmT3_T4_T5_T6_T7_T9_mT8_P12ihipStream_tbDpT10_ENKUlT_T0_E_clISt17integral_constantIbLb0EES1J_IbLb1EEEEDaS1F_S1G_EUlS1F_E_NS1_11comp_targetILNS1_3genE3ELNS1_11target_archE908ELNS1_3gpuE7ELNS1_3repE0EEENS1_30default_config_static_selectorELNS0_4arch9wavefront6targetE0EEEvT1_, .Lfunc_end41-_ZN7rocprim17ROCPRIM_400000_NS6detail17trampoline_kernelINS0_14default_configENS1_25partition_config_selectorILNS1_17partition_subalgoE6EdNS0_10empty_typeEbEEZZNS1_14partition_implILS5_6ELb0ES3_mN6thrust23THRUST_200600_302600_NS6detail15normal_iteratorINSA_10device_ptrIdEEEEPS6_SG_NS0_5tupleIJSF_S6_EEENSH_IJSG_SG_EEES6_PlJNSB_9not_fun_tINSB_10functional5actorINSM_9compositeIJNSM_27transparent_binary_operatorINSA_8equal_toIvEEEENSN_INSM_8argumentILj0EEEEENSM_5valueIdEEEEEEEEEEEE10hipError_tPvRmT3_T4_T5_T6_T7_T9_mT8_P12ihipStream_tbDpT10_ENKUlT_T0_E_clISt17integral_constantIbLb0EES1J_IbLb1EEEEDaS1F_S1G_EUlS1F_E_NS1_11comp_targetILNS1_3genE3ELNS1_11target_archE908ELNS1_3gpuE7ELNS1_3repE0EEENS1_30default_config_static_selectorELNS0_4arch9wavefront6targetE0EEEvT1_
                                        ; -- End function
	.set _ZN7rocprim17ROCPRIM_400000_NS6detail17trampoline_kernelINS0_14default_configENS1_25partition_config_selectorILNS1_17partition_subalgoE6EdNS0_10empty_typeEbEEZZNS1_14partition_implILS5_6ELb0ES3_mN6thrust23THRUST_200600_302600_NS6detail15normal_iteratorINSA_10device_ptrIdEEEEPS6_SG_NS0_5tupleIJSF_S6_EEENSH_IJSG_SG_EEES6_PlJNSB_9not_fun_tINSB_10functional5actorINSM_9compositeIJNSM_27transparent_binary_operatorINSA_8equal_toIvEEEENSN_INSM_8argumentILj0EEEEENSM_5valueIdEEEEEEEEEEEE10hipError_tPvRmT3_T4_T5_T6_T7_T9_mT8_P12ihipStream_tbDpT10_ENKUlT_T0_E_clISt17integral_constantIbLb0EES1J_IbLb1EEEEDaS1F_S1G_EUlS1F_E_NS1_11comp_targetILNS1_3genE3ELNS1_11target_archE908ELNS1_3gpuE7ELNS1_3repE0EEENS1_30default_config_static_selectorELNS0_4arch9wavefront6targetE0EEEvT1_.num_vgpr, 0
	.set _ZN7rocprim17ROCPRIM_400000_NS6detail17trampoline_kernelINS0_14default_configENS1_25partition_config_selectorILNS1_17partition_subalgoE6EdNS0_10empty_typeEbEEZZNS1_14partition_implILS5_6ELb0ES3_mN6thrust23THRUST_200600_302600_NS6detail15normal_iteratorINSA_10device_ptrIdEEEEPS6_SG_NS0_5tupleIJSF_S6_EEENSH_IJSG_SG_EEES6_PlJNSB_9not_fun_tINSB_10functional5actorINSM_9compositeIJNSM_27transparent_binary_operatorINSA_8equal_toIvEEEENSN_INSM_8argumentILj0EEEEENSM_5valueIdEEEEEEEEEEEE10hipError_tPvRmT3_T4_T5_T6_T7_T9_mT8_P12ihipStream_tbDpT10_ENKUlT_T0_E_clISt17integral_constantIbLb0EES1J_IbLb1EEEEDaS1F_S1G_EUlS1F_E_NS1_11comp_targetILNS1_3genE3ELNS1_11target_archE908ELNS1_3gpuE7ELNS1_3repE0EEENS1_30default_config_static_selectorELNS0_4arch9wavefront6targetE0EEEvT1_.num_agpr, 0
	.set _ZN7rocprim17ROCPRIM_400000_NS6detail17trampoline_kernelINS0_14default_configENS1_25partition_config_selectorILNS1_17partition_subalgoE6EdNS0_10empty_typeEbEEZZNS1_14partition_implILS5_6ELb0ES3_mN6thrust23THRUST_200600_302600_NS6detail15normal_iteratorINSA_10device_ptrIdEEEEPS6_SG_NS0_5tupleIJSF_S6_EEENSH_IJSG_SG_EEES6_PlJNSB_9not_fun_tINSB_10functional5actorINSM_9compositeIJNSM_27transparent_binary_operatorINSA_8equal_toIvEEEENSN_INSM_8argumentILj0EEEEENSM_5valueIdEEEEEEEEEEEE10hipError_tPvRmT3_T4_T5_T6_T7_T9_mT8_P12ihipStream_tbDpT10_ENKUlT_T0_E_clISt17integral_constantIbLb0EES1J_IbLb1EEEEDaS1F_S1G_EUlS1F_E_NS1_11comp_targetILNS1_3genE3ELNS1_11target_archE908ELNS1_3gpuE7ELNS1_3repE0EEENS1_30default_config_static_selectorELNS0_4arch9wavefront6targetE0EEEvT1_.numbered_sgpr, 0
	.set _ZN7rocprim17ROCPRIM_400000_NS6detail17trampoline_kernelINS0_14default_configENS1_25partition_config_selectorILNS1_17partition_subalgoE6EdNS0_10empty_typeEbEEZZNS1_14partition_implILS5_6ELb0ES3_mN6thrust23THRUST_200600_302600_NS6detail15normal_iteratorINSA_10device_ptrIdEEEEPS6_SG_NS0_5tupleIJSF_S6_EEENSH_IJSG_SG_EEES6_PlJNSB_9not_fun_tINSB_10functional5actorINSM_9compositeIJNSM_27transparent_binary_operatorINSA_8equal_toIvEEEENSN_INSM_8argumentILj0EEEEENSM_5valueIdEEEEEEEEEEEE10hipError_tPvRmT3_T4_T5_T6_T7_T9_mT8_P12ihipStream_tbDpT10_ENKUlT_T0_E_clISt17integral_constantIbLb0EES1J_IbLb1EEEEDaS1F_S1G_EUlS1F_E_NS1_11comp_targetILNS1_3genE3ELNS1_11target_archE908ELNS1_3gpuE7ELNS1_3repE0EEENS1_30default_config_static_selectorELNS0_4arch9wavefront6targetE0EEEvT1_.num_named_barrier, 0
	.set _ZN7rocprim17ROCPRIM_400000_NS6detail17trampoline_kernelINS0_14default_configENS1_25partition_config_selectorILNS1_17partition_subalgoE6EdNS0_10empty_typeEbEEZZNS1_14partition_implILS5_6ELb0ES3_mN6thrust23THRUST_200600_302600_NS6detail15normal_iteratorINSA_10device_ptrIdEEEEPS6_SG_NS0_5tupleIJSF_S6_EEENSH_IJSG_SG_EEES6_PlJNSB_9not_fun_tINSB_10functional5actorINSM_9compositeIJNSM_27transparent_binary_operatorINSA_8equal_toIvEEEENSN_INSM_8argumentILj0EEEEENSM_5valueIdEEEEEEEEEEEE10hipError_tPvRmT3_T4_T5_T6_T7_T9_mT8_P12ihipStream_tbDpT10_ENKUlT_T0_E_clISt17integral_constantIbLb0EES1J_IbLb1EEEEDaS1F_S1G_EUlS1F_E_NS1_11comp_targetILNS1_3genE3ELNS1_11target_archE908ELNS1_3gpuE7ELNS1_3repE0EEENS1_30default_config_static_selectorELNS0_4arch9wavefront6targetE0EEEvT1_.private_seg_size, 0
	.set _ZN7rocprim17ROCPRIM_400000_NS6detail17trampoline_kernelINS0_14default_configENS1_25partition_config_selectorILNS1_17partition_subalgoE6EdNS0_10empty_typeEbEEZZNS1_14partition_implILS5_6ELb0ES3_mN6thrust23THRUST_200600_302600_NS6detail15normal_iteratorINSA_10device_ptrIdEEEEPS6_SG_NS0_5tupleIJSF_S6_EEENSH_IJSG_SG_EEES6_PlJNSB_9not_fun_tINSB_10functional5actorINSM_9compositeIJNSM_27transparent_binary_operatorINSA_8equal_toIvEEEENSN_INSM_8argumentILj0EEEEENSM_5valueIdEEEEEEEEEEEE10hipError_tPvRmT3_T4_T5_T6_T7_T9_mT8_P12ihipStream_tbDpT10_ENKUlT_T0_E_clISt17integral_constantIbLb0EES1J_IbLb1EEEEDaS1F_S1G_EUlS1F_E_NS1_11comp_targetILNS1_3genE3ELNS1_11target_archE908ELNS1_3gpuE7ELNS1_3repE0EEENS1_30default_config_static_selectorELNS0_4arch9wavefront6targetE0EEEvT1_.uses_vcc, 0
	.set _ZN7rocprim17ROCPRIM_400000_NS6detail17trampoline_kernelINS0_14default_configENS1_25partition_config_selectorILNS1_17partition_subalgoE6EdNS0_10empty_typeEbEEZZNS1_14partition_implILS5_6ELb0ES3_mN6thrust23THRUST_200600_302600_NS6detail15normal_iteratorINSA_10device_ptrIdEEEEPS6_SG_NS0_5tupleIJSF_S6_EEENSH_IJSG_SG_EEES6_PlJNSB_9not_fun_tINSB_10functional5actorINSM_9compositeIJNSM_27transparent_binary_operatorINSA_8equal_toIvEEEENSN_INSM_8argumentILj0EEEEENSM_5valueIdEEEEEEEEEEEE10hipError_tPvRmT3_T4_T5_T6_T7_T9_mT8_P12ihipStream_tbDpT10_ENKUlT_T0_E_clISt17integral_constantIbLb0EES1J_IbLb1EEEEDaS1F_S1G_EUlS1F_E_NS1_11comp_targetILNS1_3genE3ELNS1_11target_archE908ELNS1_3gpuE7ELNS1_3repE0EEENS1_30default_config_static_selectorELNS0_4arch9wavefront6targetE0EEEvT1_.uses_flat_scratch, 0
	.set _ZN7rocprim17ROCPRIM_400000_NS6detail17trampoline_kernelINS0_14default_configENS1_25partition_config_selectorILNS1_17partition_subalgoE6EdNS0_10empty_typeEbEEZZNS1_14partition_implILS5_6ELb0ES3_mN6thrust23THRUST_200600_302600_NS6detail15normal_iteratorINSA_10device_ptrIdEEEEPS6_SG_NS0_5tupleIJSF_S6_EEENSH_IJSG_SG_EEES6_PlJNSB_9not_fun_tINSB_10functional5actorINSM_9compositeIJNSM_27transparent_binary_operatorINSA_8equal_toIvEEEENSN_INSM_8argumentILj0EEEEENSM_5valueIdEEEEEEEEEEEE10hipError_tPvRmT3_T4_T5_T6_T7_T9_mT8_P12ihipStream_tbDpT10_ENKUlT_T0_E_clISt17integral_constantIbLb0EES1J_IbLb1EEEEDaS1F_S1G_EUlS1F_E_NS1_11comp_targetILNS1_3genE3ELNS1_11target_archE908ELNS1_3gpuE7ELNS1_3repE0EEENS1_30default_config_static_selectorELNS0_4arch9wavefront6targetE0EEEvT1_.has_dyn_sized_stack, 0
	.set _ZN7rocprim17ROCPRIM_400000_NS6detail17trampoline_kernelINS0_14default_configENS1_25partition_config_selectorILNS1_17partition_subalgoE6EdNS0_10empty_typeEbEEZZNS1_14partition_implILS5_6ELb0ES3_mN6thrust23THRUST_200600_302600_NS6detail15normal_iteratorINSA_10device_ptrIdEEEEPS6_SG_NS0_5tupleIJSF_S6_EEENSH_IJSG_SG_EEES6_PlJNSB_9not_fun_tINSB_10functional5actorINSM_9compositeIJNSM_27transparent_binary_operatorINSA_8equal_toIvEEEENSN_INSM_8argumentILj0EEEEENSM_5valueIdEEEEEEEEEEEE10hipError_tPvRmT3_T4_T5_T6_T7_T9_mT8_P12ihipStream_tbDpT10_ENKUlT_T0_E_clISt17integral_constantIbLb0EES1J_IbLb1EEEEDaS1F_S1G_EUlS1F_E_NS1_11comp_targetILNS1_3genE3ELNS1_11target_archE908ELNS1_3gpuE7ELNS1_3repE0EEENS1_30default_config_static_selectorELNS0_4arch9wavefront6targetE0EEEvT1_.has_recursion, 0
	.set _ZN7rocprim17ROCPRIM_400000_NS6detail17trampoline_kernelINS0_14default_configENS1_25partition_config_selectorILNS1_17partition_subalgoE6EdNS0_10empty_typeEbEEZZNS1_14partition_implILS5_6ELb0ES3_mN6thrust23THRUST_200600_302600_NS6detail15normal_iteratorINSA_10device_ptrIdEEEEPS6_SG_NS0_5tupleIJSF_S6_EEENSH_IJSG_SG_EEES6_PlJNSB_9not_fun_tINSB_10functional5actorINSM_9compositeIJNSM_27transparent_binary_operatorINSA_8equal_toIvEEEENSN_INSM_8argumentILj0EEEEENSM_5valueIdEEEEEEEEEEEE10hipError_tPvRmT3_T4_T5_T6_T7_T9_mT8_P12ihipStream_tbDpT10_ENKUlT_T0_E_clISt17integral_constantIbLb0EES1J_IbLb1EEEEDaS1F_S1G_EUlS1F_E_NS1_11comp_targetILNS1_3genE3ELNS1_11target_archE908ELNS1_3gpuE7ELNS1_3repE0EEENS1_30default_config_static_selectorELNS0_4arch9wavefront6targetE0EEEvT1_.has_indirect_call, 0
	.section	.AMDGPU.csdata,"",@progbits
; Kernel info:
; codeLenInByte = 0
; TotalNumSgprs: 0
; NumVgprs: 0
; ScratchSize: 0
; MemoryBound: 0
; FloatMode: 240
; IeeeMode: 1
; LDSByteSize: 0 bytes/workgroup (compile time only)
; SGPRBlocks: 0
; VGPRBlocks: 0
; NumSGPRsForWavesPerEU: 1
; NumVGPRsForWavesPerEU: 1
; Occupancy: 16
; WaveLimiterHint : 0
; COMPUTE_PGM_RSRC2:SCRATCH_EN: 0
; COMPUTE_PGM_RSRC2:USER_SGPR: 2
; COMPUTE_PGM_RSRC2:TRAP_HANDLER: 0
; COMPUTE_PGM_RSRC2:TGID_X_EN: 1
; COMPUTE_PGM_RSRC2:TGID_Y_EN: 0
; COMPUTE_PGM_RSRC2:TGID_Z_EN: 0
; COMPUTE_PGM_RSRC2:TIDIG_COMP_CNT: 0
	.section	.text._ZN7rocprim17ROCPRIM_400000_NS6detail17trampoline_kernelINS0_14default_configENS1_25partition_config_selectorILNS1_17partition_subalgoE6EdNS0_10empty_typeEbEEZZNS1_14partition_implILS5_6ELb0ES3_mN6thrust23THRUST_200600_302600_NS6detail15normal_iteratorINSA_10device_ptrIdEEEEPS6_SG_NS0_5tupleIJSF_S6_EEENSH_IJSG_SG_EEES6_PlJNSB_9not_fun_tINSB_10functional5actorINSM_9compositeIJNSM_27transparent_binary_operatorINSA_8equal_toIvEEEENSN_INSM_8argumentILj0EEEEENSM_5valueIdEEEEEEEEEEEE10hipError_tPvRmT3_T4_T5_T6_T7_T9_mT8_P12ihipStream_tbDpT10_ENKUlT_T0_E_clISt17integral_constantIbLb0EES1J_IbLb1EEEEDaS1F_S1G_EUlS1F_E_NS1_11comp_targetILNS1_3genE2ELNS1_11target_archE906ELNS1_3gpuE6ELNS1_3repE0EEENS1_30default_config_static_selectorELNS0_4arch9wavefront6targetE0EEEvT1_,"axG",@progbits,_ZN7rocprim17ROCPRIM_400000_NS6detail17trampoline_kernelINS0_14default_configENS1_25partition_config_selectorILNS1_17partition_subalgoE6EdNS0_10empty_typeEbEEZZNS1_14partition_implILS5_6ELb0ES3_mN6thrust23THRUST_200600_302600_NS6detail15normal_iteratorINSA_10device_ptrIdEEEEPS6_SG_NS0_5tupleIJSF_S6_EEENSH_IJSG_SG_EEES6_PlJNSB_9not_fun_tINSB_10functional5actorINSM_9compositeIJNSM_27transparent_binary_operatorINSA_8equal_toIvEEEENSN_INSM_8argumentILj0EEEEENSM_5valueIdEEEEEEEEEEEE10hipError_tPvRmT3_T4_T5_T6_T7_T9_mT8_P12ihipStream_tbDpT10_ENKUlT_T0_E_clISt17integral_constantIbLb0EES1J_IbLb1EEEEDaS1F_S1G_EUlS1F_E_NS1_11comp_targetILNS1_3genE2ELNS1_11target_archE906ELNS1_3gpuE6ELNS1_3repE0EEENS1_30default_config_static_selectorELNS0_4arch9wavefront6targetE0EEEvT1_,comdat
	.protected	_ZN7rocprim17ROCPRIM_400000_NS6detail17trampoline_kernelINS0_14default_configENS1_25partition_config_selectorILNS1_17partition_subalgoE6EdNS0_10empty_typeEbEEZZNS1_14partition_implILS5_6ELb0ES3_mN6thrust23THRUST_200600_302600_NS6detail15normal_iteratorINSA_10device_ptrIdEEEEPS6_SG_NS0_5tupleIJSF_S6_EEENSH_IJSG_SG_EEES6_PlJNSB_9not_fun_tINSB_10functional5actorINSM_9compositeIJNSM_27transparent_binary_operatorINSA_8equal_toIvEEEENSN_INSM_8argumentILj0EEEEENSM_5valueIdEEEEEEEEEEEE10hipError_tPvRmT3_T4_T5_T6_T7_T9_mT8_P12ihipStream_tbDpT10_ENKUlT_T0_E_clISt17integral_constantIbLb0EES1J_IbLb1EEEEDaS1F_S1G_EUlS1F_E_NS1_11comp_targetILNS1_3genE2ELNS1_11target_archE906ELNS1_3gpuE6ELNS1_3repE0EEENS1_30default_config_static_selectorELNS0_4arch9wavefront6targetE0EEEvT1_ ; -- Begin function _ZN7rocprim17ROCPRIM_400000_NS6detail17trampoline_kernelINS0_14default_configENS1_25partition_config_selectorILNS1_17partition_subalgoE6EdNS0_10empty_typeEbEEZZNS1_14partition_implILS5_6ELb0ES3_mN6thrust23THRUST_200600_302600_NS6detail15normal_iteratorINSA_10device_ptrIdEEEEPS6_SG_NS0_5tupleIJSF_S6_EEENSH_IJSG_SG_EEES6_PlJNSB_9not_fun_tINSB_10functional5actorINSM_9compositeIJNSM_27transparent_binary_operatorINSA_8equal_toIvEEEENSN_INSM_8argumentILj0EEEEENSM_5valueIdEEEEEEEEEEEE10hipError_tPvRmT3_T4_T5_T6_T7_T9_mT8_P12ihipStream_tbDpT10_ENKUlT_T0_E_clISt17integral_constantIbLb0EES1J_IbLb1EEEEDaS1F_S1G_EUlS1F_E_NS1_11comp_targetILNS1_3genE2ELNS1_11target_archE906ELNS1_3gpuE6ELNS1_3repE0EEENS1_30default_config_static_selectorELNS0_4arch9wavefront6targetE0EEEvT1_
	.globl	_ZN7rocprim17ROCPRIM_400000_NS6detail17trampoline_kernelINS0_14default_configENS1_25partition_config_selectorILNS1_17partition_subalgoE6EdNS0_10empty_typeEbEEZZNS1_14partition_implILS5_6ELb0ES3_mN6thrust23THRUST_200600_302600_NS6detail15normal_iteratorINSA_10device_ptrIdEEEEPS6_SG_NS0_5tupleIJSF_S6_EEENSH_IJSG_SG_EEES6_PlJNSB_9not_fun_tINSB_10functional5actorINSM_9compositeIJNSM_27transparent_binary_operatorINSA_8equal_toIvEEEENSN_INSM_8argumentILj0EEEEENSM_5valueIdEEEEEEEEEEEE10hipError_tPvRmT3_T4_T5_T6_T7_T9_mT8_P12ihipStream_tbDpT10_ENKUlT_T0_E_clISt17integral_constantIbLb0EES1J_IbLb1EEEEDaS1F_S1G_EUlS1F_E_NS1_11comp_targetILNS1_3genE2ELNS1_11target_archE906ELNS1_3gpuE6ELNS1_3repE0EEENS1_30default_config_static_selectorELNS0_4arch9wavefront6targetE0EEEvT1_
	.p2align	8
	.type	_ZN7rocprim17ROCPRIM_400000_NS6detail17trampoline_kernelINS0_14default_configENS1_25partition_config_selectorILNS1_17partition_subalgoE6EdNS0_10empty_typeEbEEZZNS1_14partition_implILS5_6ELb0ES3_mN6thrust23THRUST_200600_302600_NS6detail15normal_iteratorINSA_10device_ptrIdEEEEPS6_SG_NS0_5tupleIJSF_S6_EEENSH_IJSG_SG_EEES6_PlJNSB_9not_fun_tINSB_10functional5actorINSM_9compositeIJNSM_27transparent_binary_operatorINSA_8equal_toIvEEEENSN_INSM_8argumentILj0EEEEENSM_5valueIdEEEEEEEEEEEE10hipError_tPvRmT3_T4_T5_T6_T7_T9_mT8_P12ihipStream_tbDpT10_ENKUlT_T0_E_clISt17integral_constantIbLb0EES1J_IbLb1EEEEDaS1F_S1G_EUlS1F_E_NS1_11comp_targetILNS1_3genE2ELNS1_11target_archE906ELNS1_3gpuE6ELNS1_3repE0EEENS1_30default_config_static_selectorELNS0_4arch9wavefront6targetE0EEEvT1_,@function
_ZN7rocprim17ROCPRIM_400000_NS6detail17trampoline_kernelINS0_14default_configENS1_25partition_config_selectorILNS1_17partition_subalgoE6EdNS0_10empty_typeEbEEZZNS1_14partition_implILS5_6ELb0ES3_mN6thrust23THRUST_200600_302600_NS6detail15normal_iteratorINSA_10device_ptrIdEEEEPS6_SG_NS0_5tupleIJSF_S6_EEENSH_IJSG_SG_EEES6_PlJNSB_9not_fun_tINSB_10functional5actorINSM_9compositeIJNSM_27transparent_binary_operatorINSA_8equal_toIvEEEENSN_INSM_8argumentILj0EEEEENSM_5valueIdEEEEEEEEEEEE10hipError_tPvRmT3_T4_T5_T6_T7_T9_mT8_P12ihipStream_tbDpT10_ENKUlT_T0_E_clISt17integral_constantIbLb0EES1J_IbLb1EEEEDaS1F_S1G_EUlS1F_E_NS1_11comp_targetILNS1_3genE2ELNS1_11target_archE906ELNS1_3gpuE6ELNS1_3repE0EEENS1_30default_config_static_selectorELNS0_4arch9wavefront6targetE0EEEvT1_: ; @_ZN7rocprim17ROCPRIM_400000_NS6detail17trampoline_kernelINS0_14default_configENS1_25partition_config_selectorILNS1_17partition_subalgoE6EdNS0_10empty_typeEbEEZZNS1_14partition_implILS5_6ELb0ES3_mN6thrust23THRUST_200600_302600_NS6detail15normal_iteratorINSA_10device_ptrIdEEEEPS6_SG_NS0_5tupleIJSF_S6_EEENSH_IJSG_SG_EEES6_PlJNSB_9not_fun_tINSB_10functional5actorINSM_9compositeIJNSM_27transparent_binary_operatorINSA_8equal_toIvEEEENSN_INSM_8argumentILj0EEEEENSM_5valueIdEEEEEEEEEEEE10hipError_tPvRmT3_T4_T5_T6_T7_T9_mT8_P12ihipStream_tbDpT10_ENKUlT_T0_E_clISt17integral_constantIbLb0EES1J_IbLb1EEEEDaS1F_S1G_EUlS1F_E_NS1_11comp_targetILNS1_3genE2ELNS1_11target_archE906ELNS1_3gpuE6ELNS1_3repE0EEENS1_30default_config_static_selectorELNS0_4arch9wavefront6targetE0EEEvT1_
; %bb.0:
	.section	.rodata,"a",@progbits
	.p2align	6, 0x0
	.amdhsa_kernel _ZN7rocprim17ROCPRIM_400000_NS6detail17trampoline_kernelINS0_14default_configENS1_25partition_config_selectorILNS1_17partition_subalgoE6EdNS0_10empty_typeEbEEZZNS1_14partition_implILS5_6ELb0ES3_mN6thrust23THRUST_200600_302600_NS6detail15normal_iteratorINSA_10device_ptrIdEEEEPS6_SG_NS0_5tupleIJSF_S6_EEENSH_IJSG_SG_EEES6_PlJNSB_9not_fun_tINSB_10functional5actorINSM_9compositeIJNSM_27transparent_binary_operatorINSA_8equal_toIvEEEENSN_INSM_8argumentILj0EEEEENSM_5valueIdEEEEEEEEEEEE10hipError_tPvRmT3_T4_T5_T6_T7_T9_mT8_P12ihipStream_tbDpT10_ENKUlT_T0_E_clISt17integral_constantIbLb0EES1J_IbLb1EEEEDaS1F_S1G_EUlS1F_E_NS1_11comp_targetILNS1_3genE2ELNS1_11target_archE906ELNS1_3gpuE6ELNS1_3repE0EEENS1_30default_config_static_selectorELNS0_4arch9wavefront6targetE0EEEvT1_
		.amdhsa_group_segment_fixed_size 0
		.amdhsa_private_segment_fixed_size 0
		.amdhsa_kernarg_size 136
		.amdhsa_user_sgpr_count 2
		.amdhsa_user_sgpr_dispatch_ptr 0
		.amdhsa_user_sgpr_queue_ptr 0
		.amdhsa_user_sgpr_kernarg_segment_ptr 1
		.amdhsa_user_sgpr_dispatch_id 0
		.amdhsa_user_sgpr_private_segment_size 0
		.amdhsa_wavefront_size32 1
		.amdhsa_uses_dynamic_stack 0
		.amdhsa_enable_private_segment 0
		.amdhsa_system_sgpr_workgroup_id_x 1
		.amdhsa_system_sgpr_workgroup_id_y 0
		.amdhsa_system_sgpr_workgroup_id_z 0
		.amdhsa_system_sgpr_workgroup_info 0
		.amdhsa_system_vgpr_workitem_id 0
		.amdhsa_next_free_vgpr 1
		.amdhsa_next_free_sgpr 1
		.amdhsa_reserve_vcc 0
		.amdhsa_float_round_mode_32 0
		.amdhsa_float_round_mode_16_64 0
		.amdhsa_float_denorm_mode_32 3
		.amdhsa_float_denorm_mode_16_64 3
		.amdhsa_fp16_overflow 0
		.amdhsa_workgroup_processor_mode 1
		.amdhsa_memory_ordered 1
		.amdhsa_forward_progress 1
		.amdhsa_inst_pref_size 0
		.amdhsa_round_robin_scheduling 0
		.amdhsa_exception_fp_ieee_invalid_op 0
		.amdhsa_exception_fp_denorm_src 0
		.amdhsa_exception_fp_ieee_div_zero 0
		.amdhsa_exception_fp_ieee_overflow 0
		.amdhsa_exception_fp_ieee_underflow 0
		.amdhsa_exception_fp_ieee_inexact 0
		.amdhsa_exception_int_div_zero 0
	.end_amdhsa_kernel
	.section	.text._ZN7rocprim17ROCPRIM_400000_NS6detail17trampoline_kernelINS0_14default_configENS1_25partition_config_selectorILNS1_17partition_subalgoE6EdNS0_10empty_typeEbEEZZNS1_14partition_implILS5_6ELb0ES3_mN6thrust23THRUST_200600_302600_NS6detail15normal_iteratorINSA_10device_ptrIdEEEEPS6_SG_NS0_5tupleIJSF_S6_EEENSH_IJSG_SG_EEES6_PlJNSB_9not_fun_tINSB_10functional5actorINSM_9compositeIJNSM_27transparent_binary_operatorINSA_8equal_toIvEEEENSN_INSM_8argumentILj0EEEEENSM_5valueIdEEEEEEEEEEEE10hipError_tPvRmT3_T4_T5_T6_T7_T9_mT8_P12ihipStream_tbDpT10_ENKUlT_T0_E_clISt17integral_constantIbLb0EES1J_IbLb1EEEEDaS1F_S1G_EUlS1F_E_NS1_11comp_targetILNS1_3genE2ELNS1_11target_archE906ELNS1_3gpuE6ELNS1_3repE0EEENS1_30default_config_static_selectorELNS0_4arch9wavefront6targetE0EEEvT1_,"axG",@progbits,_ZN7rocprim17ROCPRIM_400000_NS6detail17trampoline_kernelINS0_14default_configENS1_25partition_config_selectorILNS1_17partition_subalgoE6EdNS0_10empty_typeEbEEZZNS1_14partition_implILS5_6ELb0ES3_mN6thrust23THRUST_200600_302600_NS6detail15normal_iteratorINSA_10device_ptrIdEEEEPS6_SG_NS0_5tupleIJSF_S6_EEENSH_IJSG_SG_EEES6_PlJNSB_9not_fun_tINSB_10functional5actorINSM_9compositeIJNSM_27transparent_binary_operatorINSA_8equal_toIvEEEENSN_INSM_8argumentILj0EEEEENSM_5valueIdEEEEEEEEEEEE10hipError_tPvRmT3_T4_T5_T6_T7_T9_mT8_P12ihipStream_tbDpT10_ENKUlT_T0_E_clISt17integral_constantIbLb0EES1J_IbLb1EEEEDaS1F_S1G_EUlS1F_E_NS1_11comp_targetILNS1_3genE2ELNS1_11target_archE906ELNS1_3gpuE6ELNS1_3repE0EEENS1_30default_config_static_selectorELNS0_4arch9wavefront6targetE0EEEvT1_,comdat
.Lfunc_end42:
	.size	_ZN7rocprim17ROCPRIM_400000_NS6detail17trampoline_kernelINS0_14default_configENS1_25partition_config_selectorILNS1_17partition_subalgoE6EdNS0_10empty_typeEbEEZZNS1_14partition_implILS5_6ELb0ES3_mN6thrust23THRUST_200600_302600_NS6detail15normal_iteratorINSA_10device_ptrIdEEEEPS6_SG_NS0_5tupleIJSF_S6_EEENSH_IJSG_SG_EEES6_PlJNSB_9not_fun_tINSB_10functional5actorINSM_9compositeIJNSM_27transparent_binary_operatorINSA_8equal_toIvEEEENSN_INSM_8argumentILj0EEEEENSM_5valueIdEEEEEEEEEEEE10hipError_tPvRmT3_T4_T5_T6_T7_T9_mT8_P12ihipStream_tbDpT10_ENKUlT_T0_E_clISt17integral_constantIbLb0EES1J_IbLb1EEEEDaS1F_S1G_EUlS1F_E_NS1_11comp_targetILNS1_3genE2ELNS1_11target_archE906ELNS1_3gpuE6ELNS1_3repE0EEENS1_30default_config_static_selectorELNS0_4arch9wavefront6targetE0EEEvT1_, .Lfunc_end42-_ZN7rocprim17ROCPRIM_400000_NS6detail17trampoline_kernelINS0_14default_configENS1_25partition_config_selectorILNS1_17partition_subalgoE6EdNS0_10empty_typeEbEEZZNS1_14partition_implILS5_6ELb0ES3_mN6thrust23THRUST_200600_302600_NS6detail15normal_iteratorINSA_10device_ptrIdEEEEPS6_SG_NS0_5tupleIJSF_S6_EEENSH_IJSG_SG_EEES6_PlJNSB_9not_fun_tINSB_10functional5actorINSM_9compositeIJNSM_27transparent_binary_operatorINSA_8equal_toIvEEEENSN_INSM_8argumentILj0EEEEENSM_5valueIdEEEEEEEEEEEE10hipError_tPvRmT3_T4_T5_T6_T7_T9_mT8_P12ihipStream_tbDpT10_ENKUlT_T0_E_clISt17integral_constantIbLb0EES1J_IbLb1EEEEDaS1F_S1G_EUlS1F_E_NS1_11comp_targetILNS1_3genE2ELNS1_11target_archE906ELNS1_3gpuE6ELNS1_3repE0EEENS1_30default_config_static_selectorELNS0_4arch9wavefront6targetE0EEEvT1_
                                        ; -- End function
	.set _ZN7rocprim17ROCPRIM_400000_NS6detail17trampoline_kernelINS0_14default_configENS1_25partition_config_selectorILNS1_17partition_subalgoE6EdNS0_10empty_typeEbEEZZNS1_14partition_implILS5_6ELb0ES3_mN6thrust23THRUST_200600_302600_NS6detail15normal_iteratorINSA_10device_ptrIdEEEEPS6_SG_NS0_5tupleIJSF_S6_EEENSH_IJSG_SG_EEES6_PlJNSB_9not_fun_tINSB_10functional5actorINSM_9compositeIJNSM_27transparent_binary_operatorINSA_8equal_toIvEEEENSN_INSM_8argumentILj0EEEEENSM_5valueIdEEEEEEEEEEEE10hipError_tPvRmT3_T4_T5_T6_T7_T9_mT8_P12ihipStream_tbDpT10_ENKUlT_T0_E_clISt17integral_constantIbLb0EES1J_IbLb1EEEEDaS1F_S1G_EUlS1F_E_NS1_11comp_targetILNS1_3genE2ELNS1_11target_archE906ELNS1_3gpuE6ELNS1_3repE0EEENS1_30default_config_static_selectorELNS0_4arch9wavefront6targetE0EEEvT1_.num_vgpr, 0
	.set _ZN7rocprim17ROCPRIM_400000_NS6detail17trampoline_kernelINS0_14default_configENS1_25partition_config_selectorILNS1_17partition_subalgoE6EdNS0_10empty_typeEbEEZZNS1_14partition_implILS5_6ELb0ES3_mN6thrust23THRUST_200600_302600_NS6detail15normal_iteratorINSA_10device_ptrIdEEEEPS6_SG_NS0_5tupleIJSF_S6_EEENSH_IJSG_SG_EEES6_PlJNSB_9not_fun_tINSB_10functional5actorINSM_9compositeIJNSM_27transparent_binary_operatorINSA_8equal_toIvEEEENSN_INSM_8argumentILj0EEEEENSM_5valueIdEEEEEEEEEEEE10hipError_tPvRmT3_T4_T5_T6_T7_T9_mT8_P12ihipStream_tbDpT10_ENKUlT_T0_E_clISt17integral_constantIbLb0EES1J_IbLb1EEEEDaS1F_S1G_EUlS1F_E_NS1_11comp_targetILNS1_3genE2ELNS1_11target_archE906ELNS1_3gpuE6ELNS1_3repE0EEENS1_30default_config_static_selectorELNS0_4arch9wavefront6targetE0EEEvT1_.num_agpr, 0
	.set _ZN7rocprim17ROCPRIM_400000_NS6detail17trampoline_kernelINS0_14default_configENS1_25partition_config_selectorILNS1_17partition_subalgoE6EdNS0_10empty_typeEbEEZZNS1_14partition_implILS5_6ELb0ES3_mN6thrust23THRUST_200600_302600_NS6detail15normal_iteratorINSA_10device_ptrIdEEEEPS6_SG_NS0_5tupleIJSF_S6_EEENSH_IJSG_SG_EEES6_PlJNSB_9not_fun_tINSB_10functional5actorINSM_9compositeIJNSM_27transparent_binary_operatorINSA_8equal_toIvEEEENSN_INSM_8argumentILj0EEEEENSM_5valueIdEEEEEEEEEEEE10hipError_tPvRmT3_T4_T5_T6_T7_T9_mT8_P12ihipStream_tbDpT10_ENKUlT_T0_E_clISt17integral_constantIbLb0EES1J_IbLb1EEEEDaS1F_S1G_EUlS1F_E_NS1_11comp_targetILNS1_3genE2ELNS1_11target_archE906ELNS1_3gpuE6ELNS1_3repE0EEENS1_30default_config_static_selectorELNS0_4arch9wavefront6targetE0EEEvT1_.numbered_sgpr, 0
	.set _ZN7rocprim17ROCPRIM_400000_NS6detail17trampoline_kernelINS0_14default_configENS1_25partition_config_selectorILNS1_17partition_subalgoE6EdNS0_10empty_typeEbEEZZNS1_14partition_implILS5_6ELb0ES3_mN6thrust23THRUST_200600_302600_NS6detail15normal_iteratorINSA_10device_ptrIdEEEEPS6_SG_NS0_5tupleIJSF_S6_EEENSH_IJSG_SG_EEES6_PlJNSB_9not_fun_tINSB_10functional5actorINSM_9compositeIJNSM_27transparent_binary_operatorINSA_8equal_toIvEEEENSN_INSM_8argumentILj0EEEEENSM_5valueIdEEEEEEEEEEEE10hipError_tPvRmT3_T4_T5_T6_T7_T9_mT8_P12ihipStream_tbDpT10_ENKUlT_T0_E_clISt17integral_constantIbLb0EES1J_IbLb1EEEEDaS1F_S1G_EUlS1F_E_NS1_11comp_targetILNS1_3genE2ELNS1_11target_archE906ELNS1_3gpuE6ELNS1_3repE0EEENS1_30default_config_static_selectorELNS0_4arch9wavefront6targetE0EEEvT1_.num_named_barrier, 0
	.set _ZN7rocprim17ROCPRIM_400000_NS6detail17trampoline_kernelINS0_14default_configENS1_25partition_config_selectorILNS1_17partition_subalgoE6EdNS0_10empty_typeEbEEZZNS1_14partition_implILS5_6ELb0ES3_mN6thrust23THRUST_200600_302600_NS6detail15normal_iteratorINSA_10device_ptrIdEEEEPS6_SG_NS0_5tupleIJSF_S6_EEENSH_IJSG_SG_EEES6_PlJNSB_9not_fun_tINSB_10functional5actorINSM_9compositeIJNSM_27transparent_binary_operatorINSA_8equal_toIvEEEENSN_INSM_8argumentILj0EEEEENSM_5valueIdEEEEEEEEEEEE10hipError_tPvRmT3_T4_T5_T6_T7_T9_mT8_P12ihipStream_tbDpT10_ENKUlT_T0_E_clISt17integral_constantIbLb0EES1J_IbLb1EEEEDaS1F_S1G_EUlS1F_E_NS1_11comp_targetILNS1_3genE2ELNS1_11target_archE906ELNS1_3gpuE6ELNS1_3repE0EEENS1_30default_config_static_selectorELNS0_4arch9wavefront6targetE0EEEvT1_.private_seg_size, 0
	.set _ZN7rocprim17ROCPRIM_400000_NS6detail17trampoline_kernelINS0_14default_configENS1_25partition_config_selectorILNS1_17partition_subalgoE6EdNS0_10empty_typeEbEEZZNS1_14partition_implILS5_6ELb0ES3_mN6thrust23THRUST_200600_302600_NS6detail15normal_iteratorINSA_10device_ptrIdEEEEPS6_SG_NS0_5tupleIJSF_S6_EEENSH_IJSG_SG_EEES6_PlJNSB_9not_fun_tINSB_10functional5actorINSM_9compositeIJNSM_27transparent_binary_operatorINSA_8equal_toIvEEEENSN_INSM_8argumentILj0EEEEENSM_5valueIdEEEEEEEEEEEE10hipError_tPvRmT3_T4_T5_T6_T7_T9_mT8_P12ihipStream_tbDpT10_ENKUlT_T0_E_clISt17integral_constantIbLb0EES1J_IbLb1EEEEDaS1F_S1G_EUlS1F_E_NS1_11comp_targetILNS1_3genE2ELNS1_11target_archE906ELNS1_3gpuE6ELNS1_3repE0EEENS1_30default_config_static_selectorELNS0_4arch9wavefront6targetE0EEEvT1_.uses_vcc, 0
	.set _ZN7rocprim17ROCPRIM_400000_NS6detail17trampoline_kernelINS0_14default_configENS1_25partition_config_selectorILNS1_17partition_subalgoE6EdNS0_10empty_typeEbEEZZNS1_14partition_implILS5_6ELb0ES3_mN6thrust23THRUST_200600_302600_NS6detail15normal_iteratorINSA_10device_ptrIdEEEEPS6_SG_NS0_5tupleIJSF_S6_EEENSH_IJSG_SG_EEES6_PlJNSB_9not_fun_tINSB_10functional5actorINSM_9compositeIJNSM_27transparent_binary_operatorINSA_8equal_toIvEEEENSN_INSM_8argumentILj0EEEEENSM_5valueIdEEEEEEEEEEEE10hipError_tPvRmT3_T4_T5_T6_T7_T9_mT8_P12ihipStream_tbDpT10_ENKUlT_T0_E_clISt17integral_constantIbLb0EES1J_IbLb1EEEEDaS1F_S1G_EUlS1F_E_NS1_11comp_targetILNS1_3genE2ELNS1_11target_archE906ELNS1_3gpuE6ELNS1_3repE0EEENS1_30default_config_static_selectorELNS0_4arch9wavefront6targetE0EEEvT1_.uses_flat_scratch, 0
	.set _ZN7rocprim17ROCPRIM_400000_NS6detail17trampoline_kernelINS0_14default_configENS1_25partition_config_selectorILNS1_17partition_subalgoE6EdNS0_10empty_typeEbEEZZNS1_14partition_implILS5_6ELb0ES3_mN6thrust23THRUST_200600_302600_NS6detail15normal_iteratorINSA_10device_ptrIdEEEEPS6_SG_NS0_5tupleIJSF_S6_EEENSH_IJSG_SG_EEES6_PlJNSB_9not_fun_tINSB_10functional5actorINSM_9compositeIJNSM_27transparent_binary_operatorINSA_8equal_toIvEEEENSN_INSM_8argumentILj0EEEEENSM_5valueIdEEEEEEEEEEEE10hipError_tPvRmT3_T4_T5_T6_T7_T9_mT8_P12ihipStream_tbDpT10_ENKUlT_T0_E_clISt17integral_constantIbLb0EES1J_IbLb1EEEEDaS1F_S1G_EUlS1F_E_NS1_11comp_targetILNS1_3genE2ELNS1_11target_archE906ELNS1_3gpuE6ELNS1_3repE0EEENS1_30default_config_static_selectorELNS0_4arch9wavefront6targetE0EEEvT1_.has_dyn_sized_stack, 0
	.set _ZN7rocprim17ROCPRIM_400000_NS6detail17trampoline_kernelINS0_14default_configENS1_25partition_config_selectorILNS1_17partition_subalgoE6EdNS0_10empty_typeEbEEZZNS1_14partition_implILS5_6ELb0ES3_mN6thrust23THRUST_200600_302600_NS6detail15normal_iteratorINSA_10device_ptrIdEEEEPS6_SG_NS0_5tupleIJSF_S6_EEENSH_IJSG_SG_EEES6_PlJNSB_9not_fun_tINSB_10functional5actorINSM_9compositeIJNSM_27transparent_binary_operatorINSA_8equal_toIvEEEENSN_INSM_8argumentILj0EEEEENSM_5valueIdEEEEEEEEEEEE10hipError_tPvRmT3_T4_T5_T6_T7_T9_mT8_P12ihipStream_tbDpT10_ENKUlT_T0_E_clISt17integral_constantIbLb0EES1J_IbLb1EEEEDaS1F_S1G_EUlS1F_E_NS1_11comp_targetILNS1_3genE2ELNS1_11target_archE906ELNS1_3gpuE6ELNS1_3repE0EEENS1_30default_config_static_selectorELNS0_4arch9wavefront6targetE0EEEvT1_.has_recursion, 0
	.set _ZN7rocprim17ROCPRIM_400000_NS6detail17trampoline_kernelINS0_14default_configENS1_25partition_config_selectorILNS1_17partition_subalgoE6EdNS0_10empty_typeEbEEZZNS1_14partition_implILS5_6ELb0ES3_mN6thrust23THRUST_200600_302600_NS6detail15normal_iteratorINSA_10device_ptrIdEEEEPS6_SG_NS0_5tupleIJSF_S6_EEENSH_IJSG_SG_EEES6_PlJNSB_9not_fun_tINSB_10functional5actorINSM_9compositeIJNSM_27transparent_binary_operatorINSA_8equal_toIvEEEENSN_INSM_8argumentILj0EEEEENSM_5valueIdEEEEEEEEEEEE10hipError_tPvRmT3_T4_T5_T6_T7_T9_mT8_P12ihipStream_tbDpT10_ENKUlT_T0_E_clISt17integral_constantIbLb0EES1J_IbLb1EEEEDaS1F_S1G_EUlS1F_E_NS1_11comp_targetILNS1_3genE2ELNS1_11target_archE906ELNS1_3gpuE6ELNS1_3repE0EEENS1_30default_config_static_selectorELNS0_4arch9wavefront6targetE0EEEvT1_.has_indirect_call, 0
	.section	.AMDGPU.csdata,"",@progbits
; Kernel info:
; codeLenInByte = 0
; TotalNumSgprs: 0
; NumVgprs: 0
; ScratchSize: 0
; MemoryBound: 0
; FloatMode: 240
; IeeeMode: 1
; LDSByteSize: 0 bytes/workgroup (compile time only)
; SGPRBlocks: 0
; VGPRBlocks: 0
; NumSGPRsForWavesPerEU: 1
; NumVGPRsForWavesPerEU: 1
; Occupancy: 16
; WaveLimiterHint : 0
; COMPUTE_PGM_RSRC2:SCRATCH_EN: 0
; COMPUTE_PGM_RSRC2:USER_SGPR: 2
; COMPUTE_PGM_RSRC2:TRAP_HANDLER: 0
; COMPUTE_PGM_RSRC2:TGID_X_EN: 1
; COMPUTE_PGM_RSRC2:TGID_Y_EN: 0
; COMPUTE_PGM_RSRC2:TGID_Z_EN: 0
; COMPUTE_PGM_RSRC2:TIDIG_COMP_CNT: 0
	.section	.text._ZN7rocprim17ROCPRIM_400000_NS6detail17trampoline_kernelINS0_14default_configENS1_25partition_config_selectorILNS1_17partition_subalgoE6EdNS0_10empty_typeEbEEZZNS1_14partition_implILS5_6ELb0ES3_mN6thrust23THRUST_200600_302600_NS6detail15normal_iteratorINSA_10device_ptrIdEEEEPS6_SG_NS0_5tupleIJSF_S6_EEENSH_IJSG_SG_EEES6_PlJNSB_9not_fun_tINSB_10functional5actorINSM_9compositeIJNSM_27transparent_binary_operatorINSA_8equal_toIvEEEENSN_INSM_8argumentILj0EEEEENSM_5valueIdEEEEEEEEEEEE10hipError_tPvRmT3_T4_T5_T6_T7_T9_mT8_P12ihipStream_tbDpT10_ENKUlT_T0_E_clISt17integral_constantIbLb0EES1J_IbLb1EEEEDaS1F_S1G_EUlS1F_E_NS1_11comp_targetILNS1_3genE10ELNS1_11target_archE1200ELNS1_3gpuE4ELNS1_3repE0EEENS1_30default_config_static_selectorELNS0_4arch9wavefront6targetE0EEEvT1_,"axG",@progbits,_ZN7rocprim17ROCPRIM_400000_NS6detail17trampoline_kernelINS0_14default_configENS1_25partition_config_selectorILNS1_17partition_subalgoE6EdNS0_10empty_typeEbEEZZNS1_14partition_implILS5_6ELb0ES3_mN6thrust23THRUST_200600_302600_NS6detail15normal_iteratorINSA_10device_ptrIdEEEEPS6_SG_NS0_5tupleIJSF_S6_EEENSH_IJSG_SG_EEES6_PlJNSB_9not_fun_tINSB_10functional5actorINSM_9compositeIJNSM_27transparent_binary_operatorINSA_8equal_toIvEEEENSN_INSM_8argumentILj0EEEEENSM_5valueIdEEEEEEEEEEEE10hipError_tPvRmT3_T4_T5_T6_T7_T9_mT8_P12ihipStream_tbDpT10_ENKUlT_T0_E_clISt17integral_constantIbLb0EES1J_IbLb1EEEEDaS1F_S1G_EUlS1F_E_NS1_11comp_targetILNS1_3genE10ELNS1_11target_archE1200ELNS1_3gpuE4ELNS1_3repE0EEENS1_30default_config_static_selectorELNS0_4arch9wavefront6targetE0EEEvT1_,comdat
	.protected	_ZN7rocprim17ROCPRIM_400000_NS6detail17trampoline_kernelINS0_14default_configENS1_25partition_config_selectorILNS1_17partition_subalgoE6EdNS0_10empty_typeEbEEZZNS1_14partition_implILS5_6ELb0ES3_mN6thrust23THRUST_200600_302600_NS6detail15normal_iteratorINSA_10device_ptrIdEEEEPS6_SG_NS0_5tupleIJSF_S6_EEENSH_IJSG_SG_EEES6_PlJNSB_9not_fun_tINSB_10functional5actorINSM_9compositeIJNSM_27transparent_binary_operatorINSA_8equal_toIvEEEENSN_INSM_8argumentILj0EEEEENSM_5valueIdEEEEEEEEEEEE10hipError_tPvRmT3_T4_T5_T6_T7_T9_mT8_P12ihipStream_tbDpT10_ENKUlT_T0_E_clISt17integral_constantIbLb0EES1J_IbLb1EEEEDaS1F_S1G_EUlS1F_E_NS1_11comp_targetILNS1_3genE10ELNS1_11target_archE1200ELNS1_3gpuE4ELNS1_3repE0EEENS1_30default_config_static_selectorELNS0_4arch9wavefront6targetE0EEEvT1_ ; -- Begin function _ZN7rocprim17ROCPRIM_400000_NS6detail17trampoline_kernelINS0_14default_configENS1_25partition_config_selectorILNS1_17partition_subalgoE6EdNS0_10empty_typeEbEEZZNS1_14partition_implILS5_6ELb0ES3_mN6thrust23THRUST_200600_302600_NS6detail15normal_iteratorINSA_10device_ptrIdEEEEPS6_SG_NS0_5tupleIJSF_S6_EEENSH_IJSG_SG_EEES6_PlJNSB_9not_fun_tINSB_10functional5actorINSM_9compositeIJNSM_27transparent_binary_operatorINSA_8equal_toIvEEEENSN_INSM_8argumentILj0EEEEENSM_5valueIdEEEEEEEEEEEE10hipError_tPvRmT3_T4_T5_T6_T7_T9_mT8_P12ihipStream_tbDpT10_ENKUlT_T0_E_clISt17integral_constantIbLb0EES1J_IbLb1EEEEDaS1F_S1G_EUlS1F_E_NS1_11comp_targetILNS1_3genE10ELNS1_11target_archE1200ELNS1_3gpuE4ELNS1_3repE0EEENS1_30default_config_static_selectorELNS0_4arch9wavefront6targetE0EEEvT1_
	.globl	_ZN7rocprim17ROCPRIM_400000_NS6detail17trampoline_kernelINS0_14default_configENS1_25partition_config_selectorILNS1_17partition_subalgoE6EdNS0_10empty_typeEbEEZZNS1_14partition_implILS5_6ELb0ES3_mN6thrust23THRUST_200600_302600_NS6detail15normal_iteratorINSA_10device_ptrIdEEEEPS6_SG_NS0_5tupleIJSF_S6_EEENSH_IJSG_SG_EEES6_PlJNSB_9not_fun_tINSB_10functional5actorINSM_9compositeIJNSM_27transparent_binary_operatorINSA_8equal_toIvEEEENSN_INSM_8argumentILj0EEEEENSM_5valueIdEEEEEEEEEEEE10hipError_tPvRmT3_T4_T5_T6_T7_T9_mT8_P12ihipStream_tbDpT10_ENKUlT_T0_E_clISt17integral_constantIbLb0EES1J_IbLb1EEEEDaS1F_S1G_EUlS1F_E_NS1_11comp_targetILNS1_3genE10ELNS1_11target_archE1200ELNS1_3gpuE4ELNS1_3repE0EEENS1_30default_config_static_selectorELNS0_4arch9wavefront6targetE0EEEvT1_
	.p2align	8
	.type	_ZN7rocprim17ROCPRIM_400000_NS6detail17trampoline_kernelINS0_14default_configENS1_25partition_config_selectorILNS1_17partition_subalgoE6EdNS0_10empty_typeEbEEZZNS1_14partition_implILS5_6ELb0ES3_mN6thrust23THRUST_200600_302600_NS6detail15normal_iteratorINSA_10device_ptrIdEEEEPS6_SG_NS0_5tupleIJSF_S6_EEENSH_IJSG_SG_EEES6_PlJNSB_9not_fun_tINSB_10functional5actorINSM_9compositeIJNSM_27transparent_binary_operatorINSA_8equal_toIvEEEENSN_INSM_8argumentILj0EEEEENSM_5valueIdEEEEEEEEEEEE10hipError_tPvRmT3_T4_T5_T6_T7_T9_mT8_P12ihipStream_tbDpT10_ENKUlT_T0_E_clISt17integral_constantIbLb0EES1J_IbLb1EEEEDaS1F_S1G_EUlS1F_E_NS1_11comp_targetILNS1_3genE10ELNS1_11target_archE1200ELNS1_3gpuE4ELNS1_3repE0EEENS1_30default_config_static_selectorELNS0_4arch9wavefront6targetE0EEEvT1_,@function
_ZN7rocprim17ROCPRIM_400000_NS6detail17trampoline_kernelINS0_14default_configENS1_25partition_config_selectorILNS1_17partition_subalgoE6EdNS0_10empty_typeEbEEZZNS1_14partition_implILS5_6ELb0ES3_mN6thrust23THRUST_200600_302600_NS6detail15normal_iteratorINSA_10device_ptrIdEEEEPS6_SG_NS0_5tupleIJSF_S6_EEENSH_IJSG_SG_EEES6_PlJNSB_9not_fun_tINSB_10functional5actorINSM_9compositeIJNSM_27transparent_binary_operatorINSA_8equal_toIvEEEENSN_INSM_8argumentILj0EEEEENSM_5valueIdEEEEEEEEEEEE10hipError_tPvRmT3_T4_T5_T6_T7_T9_mT8_P12ihipStream_tbDpT10_ENKUlT_T0_E_clISt17integral_constantIbLb0EES1J_IbLb1EEEEDaS1F_S1G_EUlS1F_E_NS1_11comp_targetILNS1_3genE10ELNS1_11target_archE1200ELNS1_3gpuE4ELNS1_3repE0EEENS1_30default_config_static_selectorELNS0_4arch9wavefront6targetE0EEEvT1_: ; @_ZN7rocprim17ROCPRIM_400000_NS6detail17trampoline_kernelINS0_14default_configENS1_25partition_config_selectorILNS1_17partition_subalgoE6EdNS0_10empty_typeEbEEZZNS1_14partition_implILS5_6ELb0ES3_mN6thrust23THRUST_200600_302600_NS6detail15normal_iteratorINSA_10device_ptrIdEEEEPS6_SG_NS0_5tupleIJSF_S6_EEENSH_IJSG_SG_EEES6_PlJNSB_9not_fun_tINSB_10functional5actorINSM_9compositeIJNSM_27transparent_binary_operatorINSA_8equal_toIvEEEENSN_INSM_8argumentILj0EEEEENSM_5valueIdEEEEEEEEEEEE10hipError_tPvRmT3_T4_T5_T6_T7_T9_mT8_P12ihipStream_tbDpT10_ENKUlT_T0_E_clISt17integral_constantIbLb0EES1J_IbLb1EEEEDaS1F_S1G_EUlS1F_E_NS1_11comp_targetILNS1_3genE10ELNS1_11target_archE1200ELNS1_3gpuE4ELNS1_3repE0EEENS1_30default_config_static_selectorELNS0_4arch9wavefront6targetE0EEEvT1_
; %bb.0:
	s_clause 0x3
	s_load_b64 s[12:13], s[0:1], 0x28
	s_load_b128 s[8:11], s[0:1], 0x40
	s_load_b64 s[18:19], s[0:1], 0x50
	s_load_b64 s[14:15], s[0:1], 0x60
	v_cmp_eq_u32_e64 s2, 0, v0
	s_and_saveexec_b32 s3, s2
	s_cbranch_execz .LBB43_4
; %bb.1:
	s_mov_b32 s5, exec_lo
	s_mov_b32 s4, exec_lo
	v_mbcnt_lo_u32_b32 v1, s5, 0
                                        ; implicit-def: $vgpr2
	s_delay_alu instid0(VALU_DEP_1)
	v_cmpx_eq_u32_e32 0, v1
	s_cbranch_execz .LBB43_3
; %bb.2:
	s_load_b64 s[6:7], s[0:1], 0x70
	s_bcnt1_i32_b32 s5, s5
	s_wait_alu 0xfffe
	v_dual_mov_b32 v2, 0 :: v_dual_mov_b32 v3, s5
	s_wait_kmcnt 0x0
	global_atomic_add_u32 v2, v2, v3, s[6:7] th:TH_ATOMIC_RETURN scope:SCOPE_DEV
.LBB43_3:
	s_or_b32 exec_lo, exec_lo, s4
	s_wait_loadcnt 0x0
	v_readfirstlane_b32 s4, v2
	s_wait_alu 0xf1ff
	s_delay_alu instid0(VALU_DEP_1)
	v_dual_mov_b32 v2, 0 :: v_dual_add_nc_u32 v1, s4, v1
	ds_store_b32 v2, v1
.LBB43_4:
	s_or_b32 exec_lo, exec_lo, s3
	v_mov_b32_e32 v2, 0
	s_clause 0x2
	s_load_b128 s[4:7], s[0:1], 0x8
	s_load_b32 s3, s[0:1], 0x68
	s_load_b64 s[16:17], s[0:1], 0x80
	s_wait_dscnt 0x0
	s_barrier_signal -1
	s_barrier_wait -1
	global_inv scope:SCOPE_SE
	ds_load_b32 v1, v2
	s_wait_loadcnt_dscnt 0x0
	s_barrier_signal -1
	s_barrier_wait -1
	global_inv scope:SCOPE_SE
	s_wait_kmcnt 0x0
	global_load_b64 v[17:18], v2, s[10:11]
	s_mov_b32 s1, 0
	v_lshrrev_b32_e32 v9, 2, v0
	v_or_b32_e32 v11, 0x200, v0
	v_or_b32_e32 v10, 0x300, v0
	s_lshl_b64 s[20:21], s[6:7], 3
	s_lshl_b32 s0, s3, 10
	s_add_co_i32 s10, s3, -1
	s_add_nc_u64 s[22:23], s[6:7], s[0:1]
	s_lshl_b32 s3, s10, 10
	v_cmp_le_u64_e64 s1, s[18:19], s[22:23]
	s_add_co_i32 s0, s6, s3
	v_readfirstlane_b32 s11, v1
	v_lshlrev_b32_e32 v1, 10, v1
	s_add_nc_u64 s[4:5], s[4:5], s[20:21]
	s_cmp_eq_u32 s11, s10
	s_delay_alu instid0(VALU_DEP_1) | instskip(SKIP_1) | instid1(SALU_CYCLE_1)
	v_lshlrev_b64_e32 v[1:2], 3, v[1:2]
	s_cselect_b32 s6, -1, 0
	s_and_b32 s1, s1, s6
	s_delay_alu instid0(SALU_CYCLE_1) | instskip(SKIP_1) | instid1(VALU_DEP_1)
	s_xor_b32 s7, s1, -1
	s_wait_alu 0xfffe
	v_add_co_u32 v12, vcc_lo, s4, v1
	s_delay_alu instid0(VALU_DEP_1)
	v_add_co_ci_u32_e64 v13, null, s5, v2, vcc_lo
	s_and_b32 vcc_lo, exec_lo, s7
	s_mov_b32 s1, -1
	s_wait_alu 0xfffe
	s_cbranch_vccz .LBB43_6
; %bb.5:
	v_lshlrev_b32_e32 v14, 3, v0
	v_or_b32_e32 v15, 0x100, v0
	v_lshrrev_b32_e32 v16, 2, v11
	v_lshrrev_b32_e32 v19, 2, v10
	v_and_b32_e32 v20, 56, v9
	v_add_co_u32 v1, vcc_lo, v12, v14
	s_wait_alu 0xfffd
	v_add_co_ci_u32_e64 v2, null, 0, v13, vcc_lo
	v_lshrrev_b32_e32 v15, 2, v15
	v_and_b32_e32 v16, 0xb8, v16
	v_and_b32_e32 v19, 0xf8, v19
	s_clause 0x3
	flat_load_b64 v[3:4], v[1:2]
	flat_load_b64 v[5:6], v[1:2] offset:2048
	flat_load_b64 v[7:8], v[1:2] offset:4096
	;; [unrolled: 1-line block ×3, first 2 shown]
	v_add_nc_u32_e32 v20, v20, v14
	v_and_b32_e32 v15, 0x78, v15
	v_add_nc_u32_e32 v16, v16, v14
	s_mov_b32 s1, 0
	s_delay_alu instid0(VALU_DEP_2)
	v_add_nc_u32_e32 v15, v15, v14
	v_add_nc_u32_e32 v14, v19, v14
	s_wait_loadcnt_dscnt 0x303
	ds_store_b64 v20, v[3:4]
	s_wait_loadcnt_dscnt 0x203
	ds_store_b64 v15, v[5:6] offset:2048
	s_wait_loadcnt_dscnt 0x103
	ds_store_b64 v16, v[7:8] offset:4096
	;; [unrolled: 2-line block ×3, first 2 shown]
	s_wait_dscnt 0x0
	s_barrier_signal -1
	s_barrier_wait -1
.LBB43_6:
	s_and_not1_b32 vcc_lo, exec_lo, s1
	s_sub_co_i32 s18, s18, s0
	s_wait_alu 0xfffe
	s_cbranch_vccnz .LBB43_14
; %bb.7:
	v_mov_b32_e32 v1, 0
	s_mov_b32 s0, exec_lo
	s_delay_alu instid0(VALU_DEP_1)
	v_dual_mov_b32 v2, v1 :: v_dual_mov_b32 v3, v1
	v_dual_mov_b32 v4, v1 :: v_dual_mov_b32 v5, v1
	;; [unrolled: 1-line block ×3, first 2 shown]
	v_mov_b32_e32 v8, v1
	v_cmpx_gt_u32_e64 s18, v0
	s_cbranch_execz .LBB43_9
; %bb.8:
	v_dual_mov_b32 v21, v1 :: v_dual_lshlrev_b32 v2, 3, v0
	v_dual_mov_b32 v22, v1 :: v_dual_mov_b32 v23, v1
	v_dual_mov_b32 v24, v1 :: v_dual_mov_b32 v25, v1
	s_delay_alu instid0(VALU_DEP_3)
	v_add_co_u32 v2, vcc_lo, v12, v2
	s_wait_alu 0xfffd
	v_add_co_ci_u32_e64 v3, null, 0, v13, vcc_lo
	v_mov_b32_e32 v26, v1
	flat_load_b64 v[19:20], v[2:3]
	s_wait_loadcnt_dscnt 0x0
	v_dual_mov_b32 v1, v19 :: v_dual_mov_b32 v2, v20
	v_dual_mov_b32 v3, v21 :: v_dual_mov_b32 v4, v22
	;; [unrolled: 1-line block ×4, first 2 shown]
.LBB43_9:
	s_or_b32 exec_lo, exec_lo, s0
	v_or_b32_e32 v14, 0x100, v0
	s_mov_b32 s0, exec_lo
	s_delay_alu instid0(VALU_DEP_1)
	v_cmpx_gt_u32_e64 s18, v14
	s_cbranch_execnz .LBB43_132
; %bb.10:
	s_or_b32 exec_lo, exec_lo, s0
	s_delay_alu instid0(SALU_CYCLE_1)
	s_mov_b32 s0, exec_lo
	v_cmpx_gt_u32_e64 s18, v11
	s_cbranch_execnz .LBB43_133
.LBB43_11:
	s_or_b32 exec_lo, exec_lo, s0
	s_delay_alu instid0(SALU_CYCLE_1)
	s_mov_b32 s0, exec_lo
	v_cmpx_gt_u32_e64 s18, v10
	s_cbranch_execz .LBB43_13
.LBB43_12:
	v_lshlrev_b32_e32 v7, 3, v0
	s_delay_alu instid0(VALU_DEP_1)
	v_add_co_u32 v7, vcc_lo, v12, v7
	s_wait_alu 0xfffd
	v_add_co_ci_u32_e64 v8, null, 0, v13, vcc_lo
	flat_load_b64 v[7:8], v[7:8] offset:6144
.LBB43_13:
	s_or_b32 exec_lo, exec_lo, s0
	v_lshrrev_b32_e32 v12, 2, v14
	v_lshrrev_b32_e32 v11, 2, v11
	;; [unrolled: 1-line block ×3, first 2 shown]
	v_and_b32_e32 v9, 56, v9
	v_lshlrev_b32_e32 v13, 3, v0
	v_and_b32_e32 v12, 0x78, v12
	v_and_b32_e32 v11, 0xf8, v11
	v_and_b32_e32 v10, 0xf8, v10
	s_delay_alu instid0(VALU_DEP_4) | instskip(NEXT) | instid1(VALU_DEP_4)
	v_add_nc_u32_e32 v9, v9, v13
	v_add_nc_u32_e32 v12, v12, v13
	s_delay_alu instid0(VALU_DEP_4) | instskip(NEXT) | instid1(VALU_DEP_4)
	v_add_nc_u32_e32 v11, v11, v13
	v_add_nc_u32_e32 v10, v10, v13
	ds_store_b64 v9, v[1:2]
	s_wait_loadcnt_dscnt 0x1
	ds_store_b64 v12, v[3:4] offset:2048
	ds_store_b64 v11, v[5:6] offset:4096
	;; [unrolled: 1-line block ×3, first 2 shown]
	s_wait_dscnt 0x0
	s_barrier_signal -1
	s_barrier_wait -1
.LBB43_14:
	v_and_b32_e32 v1, 0xf8, v0
	s_wait_loadcnt 0x0
	global_inv scope:SCOPE_SE
	s_and_not1_b32 vcc_lo, exec_lo, s7
	v_lshl_add_u32 v5, v0, 5, v1
	ds_load_2addr_b64 v[1:4], v5 offset1:3
	ds_load_2addr_b64 v[5:8], v5 offset0:1 offset1:2
	s_wait_loadcnt_dscnt 0x0
	s_barrier_signal -1
	s_barrier_wait -1
	global_inv scope:SCOPE_SE
	v_cmp_neq_f64_e64 s0, s[16:17], v[1:2]
	v_cmp_neq_f64_e64 s10, s[16:17], v[3:4]
	s_wait_alu 0xfffe
	s_cbranch_vccnz .LBB43_16
; %bb.15:
	v_cmp_neq_f64_e32 vcc_lo, s[16:17], v[7:8]
	v_cndmask_b32_e64 v29, 0, 1, s0
	s_wait_alu 0xfffd
	v_cndmask_b32_e64 v27, 0, 1, vcc_lo
	v_cmp_neq_f64_e32 vcc_lo, s[16:17], v[5:6]
	s_delay_alu instid0(VALU_DEP_2) | instskip(SKIP_2) | instid1(VALU_DEP_1)
	v_lshlrev_b16 v10, 8, v27
	s_wait_alu 0xfffd
	v_cndmask_b32_e64 v9, 0, 1, vcc_lo
	v_or_b32_e32 v28, v9, v10
	s_cbranch_execz .LBB43_17
	s_branch .LBB43_18
.LBB43_16:
                                        ; implicit-def: $sgpr10
                                        ; implicit-def: $vgpr29
                                        ; implicit-def: $vgpr28
                                        ; implicit-def: $vgpr27
.LBB43_17:
	v_cmp_neq_f64_e32 vcc_lo, s[16:17], v[7:8]
	v_cmp_neq_f64_e64 s0, s[16:17], v[5:6]
	v_cmp_neq_f64_e64 s1, s[16:17], v[1:2]
	;; [unrolled: 1-line block ×3, first 2 shown]
	v_lshlrev_b32_e32 v9, 2, v0
	s_delay_alu instid0(VALU_DEP_1) | instskip(SKIP_1) | instid1(VALU_DEP_2)
	v_or_b32_e32 v10, 2, v9
	v_or_b32_e32 v11, 1, v9
	v_cmp_gt_u32_e64 s4, s18, v10
	s_delay_alu instid0(VALU_DEP_2)
	v_cmp_gt_u32_e64 s5, s18, v11
	v_or_b32_e32 v10, 3, v9
	s_and_b32 s4, s4, vcc_lo
	v_cmp_gt_u32_e32 vcc_lo, s18, v9
	s_wait_alu 0xfffe
	v_cndmask_b32_e64 v27, 0, 1, s4
	s_and_b32 s0, s5, s0
	v_cmp_gt_u32_e64 s4, s18, v10
	s_wait_alu 0xfffe
	v_cndmask_b32_e64 v9, 0, 1, s0
	s_and_b32 s0, vcc_lo, s1
	v_lshlrev_b16 v10, 8, v27
	s_wait_alu 0xfffe
	v_cndmask_b32_e64 v29, 0, 1, s0
	s_and_b32 s0, s4, s3
	s_and_not1_b32 s1, s10, exec_lo
	s_wait_alu 0xfffe
	s_and_b32 s0, s0, exec_lo
	v_or_b32_e32 v28, v9, v10
	s_wait_alu 0xfffe
	s_or_b32 s10, s1, s0
.LBB43_18:
	v_and_b32_e32 v32, 0xff, v29
	s_delay_alu instid0(VALU_DEP_2)
	v_dual_mov_b32 v10, 0 :: v_dual_and_b32 v31, 0xff, v28
	v_cndmask_b32_e64 v9, 0, 1, s10
	v_mbcnt_lo_u32_b32 v33, -1, 0
	v_and_b32_e32 v30, 0xff, v27
	s_cmp_lg_u32 s11, 0
	s_mov_b32 s1, -1
	v_add3_u32 v9, v32, v9, v31
	v_and_b32_e32 v34, 15, v33
	s_delay_alu instid0(VALU_DEP_2) | instskip(SKIP_2) | instid1(VALU_DEP_3)
	v_add_co_u32 v19, s0, v9, v30
	s_wait_alu 0xf1ff
	v_add_co_ci_u32_e64 v20, null, 0, 0, s0
	v_cmp_ne_u32_e64 s0, 0, v34
	s_cbranch_scc0 .LBB43_75
; %bb.19:
	v_mov_b32_e32 v11, v19
	v_mov_b32_dpp v9, v19 row_shr:1 row_mask:0xf bank_mask:0xf
	v_mov_b32_dpp v14, v10 row_shr:1 row_mask:0xf bank_mask:0xf
	v_dual_mov_b32 v13, v19 :: v_dual_mov_b32 v12, v20
	s_and_saveexec_b32 s1, s0
; %bb.20:
	s_delay_alu instid0(VALU_DEP_3) | instskip(SKIP_2) | instid1(VALU_DEP_2)
	v_add_co_u32 v13, vcc_lo, v19, v9
	s_wait_alu 0xfffd
	v_add_co_ci_u32_e64 v10, null, 0, v20, vcc_lo
	v_add_co_u32 v9, vcc_lo, 0, v13
	s_wait_alu 0xfffd
	s_delay_alu instid0(VALU_DEP_2) | instskip(NEXT) | instid1(VALU_DEP_1)
	v_add_co_ci_u32_e64 v10, null, v14, v10, vcc_lo
	v_dual_mov_b32 v12, v10 :: v_dual_mov_b32 v11, v9
; %bb.21:
	s_wait_alu 0xfffe
	s_or_b32 exec_lo, exec_lo, s1
	v_mov_b32_dpp v9, v13 row_shr:2 row_mask:0xf bank_mask:0xf
	v_mov_b32_dpp v14, v10 row_shr:2 row_mask:0xf bank_mask:0xf
	s_mov_b32 s1, exec_lo
	v_cmpx_lt_u32_e32 1, v34
; %bb.22:
	s_delay_alu instid0(VALU_DEP_3) | instskip(SKIP_2) | instid1(VALU_DEP_2)
	v_add_co_u32 v13, vcc_lo, v11, v9
	s_wait_alu 0xfffd
	v_add_co_ci_u32_e64 v10, null, 0, v12, vcc_lo
	v_add_co_u32 v9, vcc_lo, 0, v13
	s_wait_alu 0xfffd
	s_delay_alu instid0(VALU_DEP_2) | instskip(NEXT) | instid1(VALU_DEP_1)
	v_add_co_ci_u32_e64 v10, null, v14, v10, vcc_lo
	v_dual_mov_b32 v12, v10 :: v_dual_mov_b32 v11, v9
; %bb.23:
	s_wait_alu 0xfffe
	s_or_b32 exec_lo, exec_lo, s1
	v_mov_b32_dpp v9, v13 row_shr:4 row_mask:0xf bank_mask:0xf
	v_mov_b32_dpp v14, v10 row_shr:4 row_mask:0xf bank_mask:0xf
	s_mov_b32 s1, exec_lo
	v_cmpx_lt_u32_e32 3, v34
	;; [unrolled: 17-line block ×3, first 2 shown]
; %bb.26:
	s_delay_alu instid0(VALU_DEP_3) | instskip(SKIP_2) | instid1(VALU_DEP_2)
	v_add_co_u32 v13, vcc_lo, v11, v14
	s_wait_alu 0xfffd
	v_add_co_ci_u32_e64 v10, null, 0, v12, vcc_lo
	v_add_co_u32 v11, vcc_lo, 0, v13
	s_wait_alu 0xfffd
	s_delay_alu instid0(VALU_DEP_2) | instskip(NEXT) | instid1(VALU_DEP_1)
	v_add_co_ci_u32_e64 v12, null, v9, v10, vcc_lo
	v_mov_b32_e32 v10, v12
; %bb.27:
	s_wait_alu 0xfffe
	s_or_b32 exec_lo, exec_lo, s1
	ds_swizzle_b32 v9, v13 offset:swizzle(BROADCAST,32,15)
	ds_swizzle_b32 v14, v10 offset:swizzle(BROADCAST,32,15)
	v_and_b32_e32 v15, 16, v33
	s_mov_b32 s1, exec_lo
	s_delay_alu instid0(VALU_DEP_1)
	v_cmpx_ne_u32_e32 0, v15
	s_cbranch_execz .LBB43_29
; %bb.28:
	s_wait_dscnt 0x1
	v_add_co_u32 v13, vcc_lo, v11, v9
	s_wait_alu 0xfffd
	v_add_co_ci_u32_e64 v10, null, 0, v12, vcc_lo
	s_delay_alu instid0(VALU_DEP_2) | instskip(SKIP_2) | instid1(VALU_DEP_2)
	v_add_co_u32 v9, vcc_lo, 0, v13
	s_wait_dscnt 0x0
	s_wait_alu 0xfffd
	v_add_co_ci_u32_e64 v10, null, v14, v10, vcc_lo
	s_delay_alu instid0(VALU_DEP_1)
	v_dual_mov_b32 v12, v10 :: v_dual_mov_b32 v11, v9
.LBB43_29:
	s_wait_alu 0xfffe
	s_or_b32 exec_lo, exec_lo, s1
	s_wait_dscnt 0x0
	v_or_b32_e32 v14, 31, v0
	v_lshrrev_b32_e32 v9, 5, v0
	s_mov_b32 s1, exec_lo
	s_delay_alu instid0(VALU_DEP_2)
	v_cmpx_eq_u32_e64 v0, v14
; %bb.30:
	s_delay_alu instid0(VALU_DEP_2)
	v_lshlrev_b32_e32 v14, 3, v9
	ds_store_b64 v14, v[11:12]
; %bb.31:
	s_wait_alu 0xfffe
	s_or_b32 exec_lo, exec_lo, s1
	s_delay_alu instid0(SALU_CYCLE_1)
	s_mov_b32 s1, exec_lo
	s_wait_loadcnt_dscnt 0x0
	s_barrier_signal -1
	s_barrier_wait -1
	global_inv scope:SCOPE_SE
	v_cmpx_gt_u32_e32 8, v0
	s_cbranch_execz .LBB43_39
; %bb.32:
	v_lshlrev_b32_e32 v14, 3, v0
	s_mov_b32 s3, exec_lo
	ds_load_b64 v[11:12], v14
	s_wait_dscnt 0x0
	v_dual_mov_b32 v16, v11 :: v_dual_and_b32 v15, 7, v33
	v_mov_b32_dpp v22, v11 row_shr:1 row_mask:0xf bank_mask:0xf
	v_mov_b32_dpp v21, v12 row_shr:1 row_mask:0xf bank_mask:0xf
	s_delay_alu instid0(VALU_DEP_3)
	v_cmpx_ne_u32_e32 0, v15
; %bb.33:
	s_delay_alu instid0(VALU_DEP_3) | instskip(SKIP_2) | instid1(VALU_DEP_2)
	v_add_co_u32 v16, vcc_lo, v11, v22
	s_wait_alu 0xfffd
	v_add_co_ci_u32_e64 v12, null, 0, v12, vcc_lo
	v_add_co_u32 v11, vcc_lo, 0, v16
	s_wait_alu 0xfffd
	s_delay_alu instid0(VALU_DEP_2)
	v_add_co_ci_u32_e64 v12, null, v21, v12, vcc_lo
; %bb.34:
	s_or_b32 exec_lo, exec_lo, s3
	v_mov_b32_dpp v22, v16 row_shr:2 row_mask:0xf bank_mask:0xf
	s_delay_alu instid0(VALU_DEP_2)
	v_mov_b32_dpp v21, v12 row_shr:2 row_mask:0xf bank_mask:0xf
	s_mov_b32 s3, exec_lo
	v_cmpx_lt_u32_e32 1, v15
; %bb.35:
	s_delay_alu instid0(VALU_DEP_3) | instskip(SKIP_2) | instid1(VALU_DEP_2)
	v_add_co_u32 v16, vcc_lo, v11, v22
	s_wait_alu 0xfffd
	v_add_co_ci_u32_e64 v12, null, 0, v12, vcc_lo
	v_add_co_u32 v11, vcc_lo, 0, v16
	s_wait_alu 0xfffd
	s_delay_alu instid0(VALU_DEP_2)
	v_add_co_ci_u32_e64 v12, null, v21, v12, vcc_lo
; %bb.36:
	s_or_b32 exec_lo, exec_lo, s3
	v_mov_b32_dpp v21, v16 row_shr:4 row_mask:0xf bank_mask:0xf
	s_delay_alu instid0(VALU_DEP_2)
	v_mov_b32_dpp v16, v12 row_shr:4 row_mask:0xf bank_mask:0xf
	s_mov_b32 s3, exec_lo
	v_cmpx_lt_u32_e32 3, v15
; %bb.37:
	s_delay_alu instid0(VALU_DEP_3) | instskip(SKIP_2) | instid1(VALU_DEP_2)
	v_add_co_u32 v11, vcc_lo, v11, v21
	s_wait_alu 0xfffd
	v_add_co_ci_u32_e64 v12, null, 0, v12, vcc_lo
	v_add_co_u32 v11, vcc_lo, v11, 0
	s_wait_alu 0xfffd
	s_delay_alu instid0(VALU_DEP_2)
	v_add_co_ci_u32_e64 v12, null, v12, v16, vcc_lo
; %bb.38:
	s_or_b32 exec_lo, exec_lo, s3
	ds_store_b64 v14, v[11:12]
.LBB43_39:
	s_wait_alu 0xfffe
	s_or_b32 exec_lo, exec_lo, s1
	s_delay_alu instid0(SALU_CYCLE_1)
	s_mov_b32 s3, exec_lo
	v_cmp_gt_u32_e32 vcc_lo, 32, v0
	s_wait_loadcnt_dscnt 0x0
	s_barrier_signal -1
	s_barrier_wait -1
	global_inv scope:SCOPE_SE
                                        ; implicit-def: $vgpr21_vgpr22
	v_cmpx_lt_u32_e32 31, v0
	s_cbranch_execz .LBB43_41
; %bb.40:
	v_lshl_add_u32 v9, v9, 3, -8
	ds_load_b64 v[21:22], v9
	s_wait_dscnt 0x0
	v_add_co_u32 v13, s1, v13, v21
	s_wait_alu 0xf1ff
	v_add_co_ci_u32_e64 v10, null, v10, v22, s1
.LBB43_41:
	s_or_b32 exec_lo, exec_lo, s3
	v_sub_co_u32 v9, s1, v33, 1
	s_delay_alu instid0(VALU_DEP_1) | instskip(NEXT) | instid1(VALU_DEP_1)
	v_cmp_gt_i32_e64 s3, 0, v9
	v_cndmask_b32_e64 v9, v9, v33, s3
	s_delay_alu instid0(VALU_DEP_1)
	v_lshlrev_b32_e32 v9, 2, v9
	ds_bpermute_b32 v35, v9, v13
	ds_bpermute_b32 v36, v9, v10
	s_and_saveexec_b32 s3, vcc_lo
	s_cbranch_execz .LBB43_80
; %bb.42:
	v_mov_b32_e32 v12, 0
	ds_load_b64 v[9:10], v12 offset:56
	s_and_saveexec_b32 s4, s1
	s_cbranch_execz .LBB43_44
; %bb.43:
	s_add_co_i32 s16, s11, 32
	s_mov_b32 s17, 0
	s_wait_alu 0xfffe
	s_lshl_b64 s[16:17], s[16:17], 4
	s_wait_alu 0xfffe
	s_add_nc_u64 s[16:17], s[14:15], s[16:17]
	v_mov_b32_e32 v11, 1
	s_wait_alu 0xfffe
	v_dual_mov_b32 v13, s16 :: v_dual_mov_b32 v14, s17
	s_wait_dscnt 0x0
	;;#ASMSTART
	global_store_b128 v[13:14], v[9:12] off scope:SCOPE_DEV	
s_wait_storecnt 0x0
	;;#ASMEND
.LBB43_44:
	s_wait_alu 0xfffe
	s_or_b32 exec_lo, exec_lo, s4
	v_xad_u32 v23, v33, -1, s11
	s_mov_b32 s5, 0
	s_mov_b32 s4, exec_lo
	s_delay_alu instid0(VALU_DEP_1) | instskip(NEXT) | instid1(VALU_DEP_1)
	v_add_nc_u32_e32 v11, 32, v23
	v_lshlrev_b64_e32 v[11:12], 4, v[11:12]
	s_delay_alu instid0(VALU_DEP_1) | instskip(SKIP_1) | instid1(VALU_DEP_2)
	v_add_co_u32 v11, vcc_lo, s14, v11
	s_wait_alu 0xfffd
	v_add_co_ci_u32_e64 v12, null, s15, v12, vcc_lo
	;;#ASMSTART
	global_load_b128 v[13:16], v[11:12] off scope:SCOPE_DEV	
s_wait_loadcnt 0x0
	;;#ASMEND
	v_and_b32_e32 v16, 0xff, v15
	s_delay_alu instid0(VALU_DEP_1)
	v_cmpx_eq_u16_e32 0, v16
	s_cbranch_execz .LBB43_47
.LBB43_45:                              ; =>This Inner Loop Header: Depth=1
	;;#ASMSTART
	global_load_b128 v[13:16], v[11:12] off scope:SCOPE_DEV	
s_wait_loadcnt 0x0
	;;#ASMEND
	v_and_b32_e32 v16, 0xff, v15
	s_delay_alu instid0(VALU_DEP_1)
	v_cmp_ne_u16_e32 vcc_lo, 0, v16
	s_wait_alu 0xfffe
	s_or_b32 s5, vcc_lo, s5
	s_wait_alu 0xfffe
	s_and_not1_b32 exec_lo, exec_lo, s5
	s_cbranch_execnz .LBB43_45
; %bb.46:
	s_or_b32 exec_lo, exec_lo, s5
.LBB43_47:
	s_wait_alu 0xfffe
	s_or_b32 exec_lo, exec_lo, s4
	v_cmp_ne_u32_e32 vcc_lo, 31, v33
	v_and_b32_e32 v12, 0xff, v15
	v_lshlrev_b32_e64 v38, v33, -1
	s_mov_b32 s4, exec_lo
	s_wait_alu 0xfffd
	v_add_co_ci_u32_e64 v11, null, 0, v33, vcc_lo
	v_cmp_eq_u16_e32 vcc_lo, 2, v12
	s_delay_alu instid0(VALU_DEP_2)
	v_dual_mov_b32 v12, v13 :: v_dual_lshlrev_b32 v37, 2, v11
	s_wait_alu 0xfffd
	v_and_or_b32 v11, vcc_lo, v38, 0x80000000
	ds_bpermute_b32 v24, v37, v13
	ds_bpermute_b32 v16, v37, v14
	v_ctz_i32_b32_e32 v11, v11
	s_delay_alu instid0(VALU_DEP_1)
	v_cmpx_lt_u32_e64 v33, v11
	s_cbranch_execz .LBB43_49
; %bb.48:
	s_wait_dscnt 0x1
	v_add_co_u32 v12, vcc_lo, v13, v24
	s_wait_alu 0xfffd
	v_add_co_ci_u32_e64 v14, null, 0, v14, vcc_lo
	s_delay_alu instid0(VALU_DEP_2) | instskip(SKIP_2) | instid1(VALU_DEP_2)
	v_add_co_u32 v13, vcc_lo, 0, v12
	s_wait_dscnt 0x0
	s_wait_alu 0xfffd
	v_add_co_ci_u32_e64 v14, null, v16, v14, vcc_lo
.LBB43_49:
	s_wait_alu 0xfffe
	s_or_b32 exec_lo, exec_lo, s4
	v_cmp_gt_u32_e32 vcc_lo, 30, v33
	v_add_nc_u32_e32 v40, 2, v33
	s_mov_b32 s4, exec_lo
	s_wait_dscnt 0x0
	s_wait_alu 0xfffd
	v_cndmask_b32_e64 v16, 0, 2, vcc_lo
	s_delay_alu instid0(VALU_DEP_1)
	v_add_lshl_u32 v39, v16, v33, 2
	ds_bpermute_b32 v24, v39, v12
	ds_bpermute_b32 v16, v39, v14
	v_cmpx_le_u32_e64 v40, v11
	s_cbranch_execz .LBB43_51
; %bb.50:
	s_wait_dscnt 0x1
	v_add_co_u32 v12, vcc_lo, v13, v24
	s_wait_alu 0xfffd
	v_add_co_ci_u32_e64 v14, null, 0, v14, vcc_lo
	s_delay_alu instid0(VALU_DEP_2) | instskip(SKIP_2) | instid1(VALU_DEP_2)
	v_add_co_u32 v13, vcc_lo, 0, v12
	s_wait_dscnt 0x0
	s_wait_alu 0xfffd
	v_add_co_ci_u32_e64 v14, null, v16, v14, vcc_lo
.LBB43_51:
	s_wait_alu 0xfffe
	s_or_b32 exec_lo, exec_lo, s4
	v_cmp_gt_u32_e32 vcc_lo, 28, v33
	v_add_nc_u32_e32 v42, 4, v33
	s_mov_b32 s4, exec_lo
	s_wait_dscnt 0x0
	s_wait_alu 0xfffd
	v_cndmask_b32_e64 v16, 0, 4, vcc_lo
	s_delay_alu instid0(VALU_DEP_1)
	v_add_lshl_u32 v41, v16, v33, 2
	ds_bpermute_b32 v24, v41, v12
	ds_bpermute_b32 v16, v41, v14
	v_cmpx_le_u32_e64 v42, v11
	;; [unrolled: 25-line block ×3, first 2 shown]
	s_cbranch_execz .LBB43_55
; %bb.54:
	s_wait_dscnt 0x1
	v_add_co_u32 v12, vcc_lo, v13, v24
	s_wait_alu 0xfffd
	v_add_co_ci_u32_e64 v14, null, 0, v14, vcc_lo
	s_delay_alu instid0(VALU_DEP_2) | instskip(SKIP_2) | instid1(VALU_DEP_2)
	v_add_co_u32 v13, vcc_lo, 0, v12
	s_wait_dscnt 0x0
	s_wait_alu 0xfffd
	v_add_co_ci_u32_e64 v14, null, v16, v14, vcc_lo
.LBB43_55:
	s_wait_alu 0xfffe
	s_or_b32 exec_lo, exec_lo, s4
	v_lshl_or_b32 v45, v33, 2, 64
	v_add_nc_u32_e32 v46, 16, v33
	s_mov_b32 s4, exec_lo
	s_wait_dscnt 0x0
	ds_bpermute_b32 v16, v45, v12
	ds_bpermute_b32 v12, v45, v14
	v_cmpx_le_u32_e64 v46, v11
	s_cbranch_execz .LBB43_57
; %bb.56:
	s_wait_dscnt 0x1
	v_add_co_u32 v11, vcc_lo, v13, v16
	s_wait_alu 0xfffd
	v_add_co_ci_u32_e64 v14, null, 0, v14, vcc_lo
	s_delay_alu instid0(VALU_DEP_2) | instskip(SKIP_2) | instid1(VALU_DEP_2)
	v_add_co_u32 v13, vcc_lo, v11, 0
	s_wait_dscnt 0x0
	s_wait_alu 0xfffd
	v_add_co_ci_u32_e64 v14, null, v14, v12, vcc_lo
.LBB43_57:
	s_wait_alu 0xfffe
	s_or_b32 exec_lo, exec_lo, s4
	v_mov_b32_e32 v24, 0
	s_branch .LBB43_60
.LBB43_58:                              ;   in Loop: Header=BB43_60 Depth=1
	s_wait_alu 0xfffe
	s_or_b32 exec_lo, exec_lo, s4
	v_add_co_u32 v13, vcc_lo, v13, v11
	v_subrev_nc_u32_e32 v23, 32, v23
	s_wait_alu 0xfffd
	v_add_co_ci_u32_e64 v14, null, v14, v12, vcc_lo
	s_mov_b32 s4, 0
.LBB43_59:                              ;   in Loop: Header=BB43_60 Depth=1
	s_wait_alu 0xfffe
	s_and_b32 vcc_lo, exec_lo, s4
	s_wait_alu 0xfffe
	s_cbranch_vccnz .LBB43_76
.LBB43_60:                              ; =>This Loop Header: Depth=1
                                        ;     Child Loop BB43_63 Depth 2
	v_and_b32_e32 v11, 0xff, v15
	s_mov_b32 s4, -1
	s_delay_alu instid0(VALU_DEP_1)
	v_cmp_ne_u16_e32 vcc_lo, 2, v11
	s_wait_dscnt 0x0
	v_dual_mov_b32 v11, v13 :: v_dual_mov_b32 v12, v14
                                        ; implicit-def: $vgpr13_vgpr14
	s_cmp_lg_u32 vcc_lo, exec_lo
	s_cbranch_scc1 .LBB43_59
; %bb.61:                               ;   in Loop: Header=BB43_60 Depth=1
	v_lshlrev_b64_e32 v[13:14], 4, v[23:24]
	s_mov_b32 s4, exec_lo
	s_delay_alu instid0(VALU_DEP_1) | instskip(SKIP_1) | instid1(VALU_DEP_2)
	v_add_co_u32 v25, vcc_lo, s14, v13
	s_wait_alu 0xfffd
	v_add_co_ci_u32_e64 v26, null, s15, v14, vcc_lo
	;;#ASMSTART
	global_load_b128 v[13:16], v[25:26] off scope:SCOPE_DEV	
s_wait_loadcnt 0x0
	;;#ASMEND
	v_and_b32_e32 v16, 0xff, v15
	s_delay_alu instid0(VALU_DEP_1)
	v_cmpx_eq_u16_e32 0, v16
	s_cbranch_execz .LBB43_65
; %bb.62:                               ;   in Loop: Header=BB43_60 Depth=1
	s_mov_b32 s5, 0
.LBB43_63:                              ;   Parent Loop BB43_60 Depth=1
                                        ; =>  This Inner Loop Header: Depth=2
	;;#ASMSTART
	global_load_b128 v[13:16], v[25:26] off scope:SCOPE_DEV	
s_wait_loadcnt 0x0
	;;#ASMEND
	v_and_b32_e32 v16, 0xff, v15
	s_delay_alu instid0(VALU_DEP_1)
	v_cmp_ne_u16_e32 vcc_lo, 0, v16
	s_wait_alu 0xfffe
	s_or_b32 s5, vcc_lo, s5
	s_wait_alu 0xfffe
	s_and_not1_b32 exec_lo, exec_lo, s5
	s_cbranch_execnz .LBB43_63
; %bb.64:                               ;   in Loop: Header=BB43_60 Depth=1
	s_or_b32 exec_lo, exec_lo, s5
.LBB43_65:                              ;   in Loop: Header=BB43_60 Depth=1
	s_wait_alu 0xfffe
	s_or_b32 exec_lo, exec_lo, s4
	v_dual_mov_b32 v25, v13 :: v_dual_and_b32 v16, 0xff, v15
	ds_bpermute_b32 v47, v37, v13
	ds_bpermute_b32 v26, v37, v14
	s_mov_b32 s4, exec_lo
	v_cmp_eq_u16_e32 vcc_lo, 2, v16
	s_wait_alu 0xfffd
	v_and_or_b32 v16, vcc_lo, v38, 0x80000000
	s_delay_alu instid0(VALU_DEP_1) | instskip(NEXT) | instid1(VALU_DEP_1)
	v_ctz_i32_b32_e32 v16, v16
	v_cmpx_lt_u32_e64 v33, v16
	s_cbranch_execz .LBB43_67
; %bb.66:                               ;   in Loop: Header=BB43_60 Depth=1
	s_wait_dscnt 0x1
	v_add_co_u32 v25, vcc_lo, v13, v47
	s_wait_alu 0xfffd
	v_add_co_ci_u32_e64 v14, null, 0, v14, vcc_lo
	s_delay_alu instid0(VALU_DEP_2) | instskip(SKIP_2) | instid1(VALU_DEP_2)
	v_add_co_u32 v13, vcc_lo, 0, v25
	s_wait_dscnt 0x0
	s_wait_alu 0xfffd
	v_add_co_ci_u32_e64 v14, null, v26, v14, vcc_lo
.LBB43_67:                              ;   in Loop: Header=BB43_60 Depth=1
	s_wait_alu 0xfffe
	s_or_b32 exec_lo, exec_lo, s4
	s_wait_dscnt 0x1
	ds_bpermute_b32 v47, v39, v25
	s_wait_dscnt 0x1
	ds_bpermute_b32 v26, v39, v14
	s_mov_b32 s4, exec_lo
	v_cmpx_le_u32_e64 v40, v16
	s_cbranch_execz .LBB43_69
; %bb.68:                               ;   in Loop: Header=BB43_60 Depth=1
	s_wait_dscnt 0x1
	v_add_co_u32 v25, vcc_lo, v13, v47
	s_wait_alu 0xfffd
	v_add_co_ci_u32_e64 v14, null, 0, v14, vcc_lo
	s_delay_alu instid0(VALU_DEP_2) | instskip(SKIP_2) | instid1(VALU_DEP_2)
	v_add_co_u32 v13, vcc_lo, 0, v25
	s_wait_dscnt 0x0
	s_wait_alu 0xfffd
	v_add_co_ci_u32_e64 v14, null, v26, v14, vcc_lo
.LBB43_69:                              ;   in Loop: Header=BB43_60 Depth=1
	s_wait_alu 0xfffe
	s_or_b32 exec_lo, exec_lo, s4
	s_wait_dscnt 0x1
	ds_bpermute_b32 v47, v41, v25
	s_wait_dscnt 0x1
	ds_bpermute_b32 v26, v41, v14
	s_mov_b32 s4, exec_lo
	v_cmpx_le_u32_e64 v42, v16
	;; [unrolled: 20-line block ×3, first 2 shown]
	s_cbranch_execz .LBB43_73
; %bb.72:                               ;   in Loop: Header=BB43_60 Depth=1
	s_wait_dscnt 0x1
	v_add_co_u32 v25, vcc_lo, v13, v47
	s_wait_alu 0xfffd
	v_add_co_ci_u32_e64 v14, null, 0, v14, vcc_lo
	s_delay_alu instid0(VALU_DEP_2) | instskip(SKIP_2) | instid1(VALU_DEP_2)
	v_add_co_u32 v13, vcc_lo, 0, v25
	s_wait_dscnt 0x0
	s_wait_alu 0xfffd
	v_add_co_ci_u32_e64 v14, null, v26, v14, vcc_lo
.LBB43_73:                              ;   in Loop: Header=BB43_60 Depth=1
	s_wait_alu 0xfffe
	s_or_b32 exec_lo, exec_lo, s4
	s_wait_dscnt 0x0
	ds_bpermute_b32 v26, v45, v25
	ds_bpermute_b32 v25, v45, v14
	s_mov_b32 s4, exec_lo
	v_cmpx_le_u32_e64 v46, v16
	s_cbranch_execz .LBB43_58
; %bb.74:                               ;   in Loop: Header=BB43_60 Depth=1
	s_wait_dscnt 0x1
	v_add_co_u32 v13, vcc_lo, v13, v26
	s_wait_alu 0xfffd
	v_add_co_ci_u32_e64 v14, null, 0, v14, vcc_lo
	s_delay_alu instid0(VALU_DEP_2) | instskip(SKIP_2) | instid1(VALU_DEP_2)
	v_add_co_u32 v13, vcc_lo, v13, 0
	s_wait_dscnt 0x0
	s_wait_alu 0xfffd
	v_add_co_ci_u32_e64 v14, null, v14, v25, vcc_lo
	s_branch .LBB43_58
.LBB43_75:
                                        ; implicit-def: $vgpr15_vgpr16
                                        ; implicit-def: $vgpr13_vgpr14
                                        ; implicit-def: $vgpr21_vgpr22
                                        ; implicit-def: $vgpr23_vgpr24
                                        ; implicit-def: $vgpr11_vgpr12
	s_wait_alu 0xfffe
	s_and_b32 vcc_lo, exec_lo, s1
	s_wait_alu 0xfffe
	s_cbranch_vccnz .LBB43_81
	s_branch .LBB43_106
.LBB43_76:
	s_and_saveexec_b32 s4, s1
	s_cbranch_execz .LBB43_78
; %bb.77:
	s_add_co_i32 s16, s11, 32
	s_mov_b32 s17, 0
	v_add_co_u32 v13, vcc_lo, v11, v9
	s_wait_alu 0xfffe
	s_lshl_b64 s[16:17], s[16:17], 4
	v_dual_mov_b32 v15, 2 :: v_dual_mov_b32 v16, 0
	s_wait_alu 0xfffe
	s_add_nc_u64 s[16:17], s[14:15], s[16:17]
	s_wait_alu 0xfffd
	v_add_co_ci_u32_e64 v14, null, v12, v10, vcc_lo
	s_wait_alu 0xfffe
	v_dual_mov_b32 v24, s17 :: v_dual_mov_b32 v23, s16
	;;#ASMSTART
	global_store_b128 v[23:24], v[13:16] off scope:SCOPE_DEV	
s_wait_storecnt 0x0
	;;#ASMEND
	ds_store_b128 v16, v[9:12] offset:8448
.LBB43_78:
	s_wait_alu 0xfffe
	s_or_b32 exec_lo, exec_lo, s4
	s_delay_alu instid0(SALU_CYCLE_1)
	s_and_b32 exec_lo, exec_lo, s2
; %bb.79:
	v_mov_b32_e32 v9, 0
	ds_store_b64 v9, v[11:12] offset:56
.LBB43_80:
	s_wait_alu 0xfffe
	s_or_b32 exec_lo, exec_lo, s3
	v_mov_b32_e32 v9, 0
	s_wait_loadcnt_dscnt 0x0
	s_barrier_signal -1
	s_barrier_wait -1
	global_inv scope:SCOPE_SE
	ds_load_b64 v[13:14], v9 offset:56
	v_cndmask_b32_e64 v11, v35, v21, s1
	v_cndmask_b32_e64 v10, v36, v22, s1
	s_wait_loadcnt_dscnt 0x0
	s_barrier_signal -1
	s_barrier_wait -1
	v_cndmask_b32_e64 v16, v11, 0, s2
	v_cndmask_b32_e64 v15, v10, 0, s2
	global_inv scope:SCOPE_SE
	ds_load_b128 v[9:12], v9 offset:8448
	v_add_co_u32 v23, vcc_lo, v13, v16
	s_wait_alu 0xfffd
	v_add_co_ci_u32_e64 v24, null, v14, v15, vcc_lo
	s_delay_alu instid0(VALU_DEP_2) | instskip(SKIP_1) | instid1(VALU_DEP_2)
	v_add_co_u32 v21, vcc_lo, v23, v32
	s_wait_alu 0xfffd
	v_add_co_ci_u32_e64 v22, null, 0, v24, vcc_lo
	s_delay_alu instid0(VALU_DEP_2) | instskip(SKIP_1) | instid1(VALU_DEP_2)
	;; [unrolled: 4-line block ×3, first 2 shown]
	v_add_co_u32 v15, vcc_lo, v13, v30
	s_wait_alu 0xfffd
	v_add_co_ci_u32_e64 v16, null, 0, v14, vcc_lo
	s_branch .LBB43_106
.LBB43_81:
	s_wait_dscnt 0x0
	v_dual_mov_b32 v10, 0 :: v_dual_mov_b32 v11, v19
	v_mov_b32_dpp v12, v19 row_shr:1 row_mask:0xf bank_mask:0xf
	s_delay_alu instid0(VALU_DEP_2)
	v_mov_b32_dpp v9, v10 row_shr:1 row_mask:0xf bank_mask:0xf
	s_and_saveexec_b32 s1, s0
; %bb.82:
	s_delay_alu instid0(VALU_DEP_2) | instskip(SKIP_2) | instid1(VALU_DEP_2)
	v_add_co_u32 v11, vcc_lo, v19, v12
	s_wait_alu 0xfffd
	v_add_co_ci_u32_e64 v10, null, 0, v20, vcc_lo
	v_add_co_u32 v19, vcc_lo, 0, v11
	s_wait_alu 0xfffd
	s_delay_alu instid0(VALU_DEP_2) | instskip(NEXT) | instid1(VALU_DEP_1)
	v_add_co_ci_u32_e64 v20, null, v9, v10, vcc_lo
	v_mov_b32_e32 v10, v20
; %bb.83:
	s_wait_alu 0xfffe
	s_or_b32 exec_lo, exec_lo, s1
	v_mov_b32_dpp v9, v11 row_shr:2 row_mask:0xf bank_mask:0xf
	s_delay_alu instid0(VALU_DEP_2)
	v_mov_b32_dpp v12, v10 row_shr:2 row_mask:0xf bank_mask:0xf
	s_mov_b32 s0, exec_lo
	v_cmpx_lt_u32_e32 1, v34
; %bb.84:
	s_delay_alu instid0(VALU_DEP_3) | instskip(SKIP_2) | instid1(VALU_DEP_2)
	v_add_co_u32 v11, vcc_lo, v19, v9
	s_wait_alu 0xfffd
	v_add_co_ci_u32_e64 v10, null, 0, v20, vcc_lo
	v_add_co_u32 v9, vcc_lo, 0, v11
	s_wait_alu 0xfffd
	s_delay_alu instid0(VALU_DEP_2) | instskip(NEXT) | instid1(VALU_DEP_1)
	v_add_co_ci_u32_e64 v10, null, v12, v10, vcc_lo
	v_dual_mov_b32 v20, v10 :: v_dual_mov_b32 v19, v9
; %bb.85:
	s_wait_alu 0xfffe
	s_or_b32 exec_lo, exec_lo, s0
	v_mov_b32_dpp v9, v11 row_shr:4 row_mask:0xf bank_mask:0xf
	v_mov_b32_dpp v12, v10 row_shr:4 row_mask:0xf bank_mask:0xf
	s_mov_b32 s0, exec_lo
	v_cmpx_lt_u32_e32 3, v34
; %bb.86:
	s_delay_alu instid0(VALU_DEP_3) | instskip(SKIP_2) | instid1(VALU_DEP_2)
	v_add_co_u32 v11, vcc_lo, v19, v9
	s_wait_alu 0xfffd
	v_add_co_ci_u32_e64 v10, null, 0, v20, vcc_lo
	v_add_co_u32 v9, vcc_lo, 0, v11
	s_wait_alu 0xfffd
	s_delay_alu instid0(VALU_DEP_2) | instskip(NEXT) | instid1(VALU_DEP_1)
	v_add_co_ci_u32_e64 v10, null, v12, v10, vcc_lo
	v_dual_mov_b32 v20, v10 :: v_dual_mov_b32 v19, v9
; %bb.87:
	s_wait_alu 0xfffe
	s_or_b32 exec_lo, exec_lo, s0
	v_mov_b32_dpp v12, v11 row_shr:8 row_mask:0xf bank_mask:0xf
	v_mov_b32_dpp v9, v10 row_shr:8 row_mask:0xf bank_mask:0xf
	s_mov_b32 s0, exec_lo
	v_cmpx_lt_u32_e32 7, v34
; %bb.88:
	s_delay_alu instid0(VALU_DEP_3) | instskip(SKIP_2) | instid1(VALU_DEP_2)
	v_add_co_u32 v11, vcc_lo, v19, v12
	s_wait_alu 0xfffd
	v_add_co_ci_u32_e64 v10, null, 0, v20, vcc_lo
	v_add_co_u32 v19, vcc_lo, 0, v11
	s_wait_alu 0xfffd
	s_delay_alu instid0(VALU_DEP_2) | instskip(NEXT) | instid1(VALU_DEP_1)
	v_add_co_ci_u32_e64 v20, null, v9, v10, vcc_lo
	v_mov_b32_e32 v10, v20
; %bb.89:
	s_wait_alu 0xfffe
	s_or_b32 exec_lo, exec_lo, s0
	ds_swizzle_b32 v11, v11 offset:swizzle(BROADCAST,32,15)
	ds_swizzle_b32 v9, v10 offset:swizzle(BROADCAST,32,15)
	v_and_b32_e32 v10, 16, v33
	s_mov_b32 s0, exec_lo
	s_delay_alu instid0(VALU_DEP_1)
	v_cmpx_ne_u32_e32 0, v10
	s_cbranch_execz .LBB43_91
; %bb.90:
	s_wait_dscnt 0x1
	v_add_co_u32 v10, vcc_lo, v19, v11
	s_wait_alu 0xfffd
	v_add_co_ci_u32_e64 v11, null, 0, v20, vcc_lo
	s_delay_alu instid0(VALU_DEP_2) | instskip(SKIP_2) | instid1(VALU_DEP_2)
	v_add_co_u32 v19, vcc_lo, v10, 0
	s_wait_dscnt 0x0
	s_wait_alu 0xfffd
	v_add_co_ci_u32_e64 v20, null, v11, v9, vcc_lo
.LBB43_91:
	s_wait_alu 0xfffe
	s_or_b32 exec_lo, exec_lo, s0
	s_wait_dscnt 0x0
	v_or_b32_e32 v9, 31, v0
	v_lshrrev_b32_e32 v11, 5, v0
	s_mov_b32 s0, exec_lo
	s_delay_alu instid0(VALU_DEP_2)
	v_cmpx_eq_u32_e64 v0, v9
; %bb.92:
	s_delay_alu instid0(VALU_DEP_2)
	v_lshlrev_b32_e32 v9, 3, v11
	ds_store_b64 v9, v[19:20]
; %bb.93:
	s_wait_alu 0xfffe
	s_or_b32 exec_lo, exec_lo, s0
	s_delay_alu instid0(SALU_CYCLE_1)
	s_mov_b32 s0, exec_lo
	s_wait_loadcnt_dscnt 0x0
	s_barrier_signal -1
	s_barrier_wait -1
	global_inv scope:SCOPE_SE
	v_cmpx_gt_u32_e32 8, v0
	s_cbranch_execz .LBB43_101
; %bb.94:
	v_lshlrev_b32_e32 v12, 3, v0
	s_mov_b32 s1, exec_lo
	ds_load_b64 v[9:10], v12
	s_wait_dscnt 0x0
	v_dual_mov_b32 v14, v9 :: v_dual_and_b32 v13, 7, v33
	v_mov_b32_dpp v16, v9 row_shr:1 row_mask:0xf bank_mask:0xf
	v_mov_b32_dpp v15, v10 row_shr:1 row_mask:0xf bank_mask:0xf
	s_delay_alu instid0(VALU_DEP_3)
	v_cmpx_ne_u32_e32 0, v13
; %bb.95:
	s_delay_alu instid0(VALU_DEP_3) | instskip(SKIP_2) | instid1(VALU_DEP_2)
	v_add_co_u32 v14, vcc_lo, v9, v16
	s_wait_alu 0xfffd
	v_add_co_ci_u32_e64 v10, null, 0, v10, vcc_lo
	v_add_co_u32 v9, vcc_lo, 0, v14
	s_wait_alu 0xfffd
	s_delay_alu instid0(VALU_DEP_2)
	v_add_co_ci_u32_e64 v10, null, v15, v10, vcc_lo
; %bb.96:
	s_wait_alu 0xfffe
	s_or_b32 exec_lo, exec_lo, s1
	v_mov_b32_dpp v16, v14 row_shr:2 row_mask:0xf bank_mask:0xf
	s_delay_alu instid0(VALU_DEP_2)
	v_mov_b32_dpp v15, v10 row_shr:2 row_mask:0xf bank_mask:0xf
	s_mov_b32 s1, exec_lo
	v_cmpx_lt_u32_e32 1, v13
; %bb.97:
	s_delay_alu instid0(VALU_DEP_3) | instskip(SKIP_2) | instid1(VALU_DEP_2)
	v_add_co_u32 v14, vcc_lo, v9, v16
	s_wait_alu 0xfffd
	v_add_co_ci_u32_e64 v10, null, 0, v10, vcc_lo
	v_add_co_u32 v9, vcc_lo, 0, v14
	s_wait_alu 0xfffd
	s_delay_alu instid0(VALU_DEP_2)
	v_add_co_ci_u32_e64 v10, null, v15, v10, vcc_lo
; %bb.98:
	s_wait_alu 0xfffe
	s_or_b32 exec_lo, exec_lo, s1
	v_mov_b32_dpp v15, v14 row_shr:4 row_mask:0xf bank_mask:0xf
	s_delay_alu instid0(VALU_DEP_2)
	v_mov_b32_dpp v14, v10 row_shr:4 row_mask:0xf bank_mask:0xf
	s_mov_b32 s1, exec_lo
	v_cmpx_lt_u32_e32 3, v13
; %bb.99:
	s_delay_alu instid0(VALU_DEP_3) | instskip(SKIP_2) | instid1(VALU_DEP_2)
	v_add_co_u32 v9, vcc_lo, v9, v15
	s_wait_alu 0xfffd
	v_add_co_ci_u32_e64 v10, null, 0, v10, vcc_lo
	v_add_co_u32 v9, vcc_lo, v9, 0
	s_wait_alu 0xfffd
	s_delay_alu instid0(VALU_DEP_2)
	v_add_co_ci_u32_e64 v10, null, v10, v14, vcc_lo
; %bb.100:
	s_wait_alu 0xfffe
	s_or_b32 exec_lo, exec_lo, s1
	ds_store_b64 v12, v[9:10]
.LBB43_101:
	s_wait_alu 0xfffe
	s_or_b32 exec_lo, exec_lo, s0
	v_mov_b32_e32 v13, 0
	v_mov_b32_e32 v14, 0
	s_mov_b32 s0, exec_lo
	s_wait_loadcnt_dscnt 0x0
	s_barrier_signal -1
	s_barrier_wait -1
	global_inv scope:SCOPE_SE
	v_cmpx_lt_u32_e32 31, v0
; %bb.102:
	v_lshl_add_u32 v9, v11, 3, -8
	ds_load_b64 v[13:14], v9
; %bb.103:
	s_wait_alu 0xfffe
	s_or_b32 exec_lo, exec_lo, s0
	v_sub_co_u32 v9, vcc_lo, v33, 1
	v_mov_b32_e32 v12, 0
	s_delay_alu instid0(VALU_DEP_2) | instskip(SKIP_1) | instid1(VALU_DEP_1)
	v_cmp_gt_i32_e64 s0, 0, v9
	s_wait_alu 0xf1ff
	v_cndmask_b32_e64 v9, v9, v33, s0
	s_wait_dscnt 0x0
	v_add_co_u32 v10, s0, v13, v19
	s_wait_alu 0xf1ff
	v_add_co_ci_u32_e64 v11, null, v14, v20, s0
	v_lshlrev_b32_e32 v9, 2, v9
	ds_bpermute_b32 v15, v9, v10
	ds_bpermute_b32 v16, v9, v11
	ds_load_b64 v[9:10], v12 offset:56
	s_and_saveexec_b32 s0, s2
	s_cbranch_execz .LBB43_105
; %bb.104:
	s_add_nc_u64 s[4:5], s[14:15], 0x200
	s_wait_alu 0xfffe
	v_dual_mov_b32 v11, 2 :: v_dual_mov_b32 v20, s5
	v_mov_b32_e32 v19, s4
	s_wait_dscnt 0x0
	;;#ASMSTART
	global_store_b128 v[19:20], v[9:12] off scope:SCOPE_DEV	
s_wait_storecnt 0x0
	;;#ASMEND
.LBB43_105:
	s_wait_alu 0xfffe
	s_or_b32 exec_lo, exec_lo, s0
	s_wait_dscnt 0x1
	s_wait_alu 0xfffd
	v_dual_cndmask_b32 v11, v15, v13 :: v_dual_cndmask_b32 v12, v16, v14
	s_wait_loadcnt_dscnt 0x0
	s_barrier_signal -1
	s_barrier_wait -1
	s_delay_alu instid0(VALU_DEP_1)
	v_cndmask_b32_e64 v23, v11, 0, s2
	v_cndmask_b32_e64 v24, v12, 0, s2
	v_mov_b32_e32 v11, 0
	v_mov_b32_e32 v12, 0
	global_inv scope:SCOPE_SE
	v_add_co_u32 v21, vcc_lo, v23, v32
	s_wait_alu 0xfffd
	v_add_co_ci_u32_e64 v22, null, 0, v24, vcc_lo
	s_delay_alu instid0(VALU_DEP_2) | instskip(SKIP_1) | instid1(VALU_DEP_2)
	v_add_co_u32 v13, vcc_lo, v21, v31
	s_wait_alu 0xfffd
	v_add_co_ci_u32_e64 v14, null, 0, v22, vcc_lo
	s_delay_alu instid0(VALU_DEP_2) | instskip(SKIP_1) | instid1(VALU_DEP_2)
	v_add_co_u32 v15, vcc_lo, v13, v30
	s_wait_alu 0xfffd
	v_add_co_ci_u32_e64 v16, null, 0, v14, vcc_lo
.LBB43_106:
	v_and_b32_e32 v25, 1, v29
	s_wait_dscnt 0x0
	v_cmp_gt_u64_e32 vcc_lo, 0x101, v[9:10]
	s_mov_b32 s1, -1
	s_delay_alu instid0(VALU_DEP_2)
	v_cmp_eq_u32_e64 s0, 1, v25
	s_cbranch_vccnz .LBB43_110
; %bb.107:
	s_wait_alu 0xfffe
	s_and_b32 vcc_lo, exec_lo, s1
	s_wait_alu 0xfffe
	s_cbranch_vccnz .LBB43_119
.LBB43_108:
	s_and_b32 s0, s2, s6
	s_wait_alu 0xfffe
	s_and_saveexec_b32 s1, s0
	s_cbranch_execnz .LBB43_131
.LBB43_109:
	s_endpgm
.LBB43_110:
	v_add_co_u32 v19, vcc_lo, v11, v9
	s_wait_alu 0xfffd
	v_add_co_ci_u32_e64 v20, null, v12, v10, vcc_lo
	v_lshlrev_b64_e32 v[29:30], 3, v[17:18]
	s_delay_alu instid0(VALU_DEP_2) | instskip(NEXT) | instid1(VALU_DEP_2)
	v_cmp_lt_u64_e32 vcc_lo, v[23:24], v[19:20]
	v_add_co_u32 v26, s1, s12, v29
	s_wait_alu 0xf1fe
	s_delay_alu instid0(VALU_DEP_3)
	v_add_co_ci_u32_e64 v29, null, s13, v30, s1
	s_or_b32 s1, s7, vcc_lo
	s_wait_alu 0xfffe
	s_and_b32 s1, s1, s0
	s_wait_alu 0xfffe
	s_and_saveexec_b32 s0, s1
	s_cbranch_execz .LBB43_112
; %bb.111:
	v_lshlrev_b64_e32 v[30:31], 3, v[23:24]
	s_delay_alu instid0(VALU_DEP_1) | instskip(SKIP_1) | instid1(VALU_DEP_2)
	v_add_co_u32 v30, vcc_lo, v26, v30
	s_wait_alu 0xfffd
	v_add_co_ci_u32_e64 v31, null, v29, v31, vcc_lo
	global_store_b64 v[30:31], v[1:2], off
.LBB43_112:
	s_wait_alu 0xfffe
	s_or_b32 exec_lo, exec_lo, s0
	v_and_b32_e32 v24, 1, v28
	v_cmp_lt_u64_e32 vcc_lo, v[21:22], v[19:20]
	s_delay_alu instid0(VALU_DEP_2)
	v_cmp_eq_u32_e64 s0, 1, v24
	s_or_b32 s1, s7, vcc_lo
	s_wait_alu 0xfffe
	s_and_b32 s1, s1, s0
	s_wait_alu 0xfffe
	s_and_saveexec_b32 s0, s1
	s_cbranch_execz .LBB43_114
; %bb.113:
	v_lshlrev_b64_e32 v[30:31], 3, v[21:22]
	s_delay_alu instid0(VALU_DEP_1) | instskip(SKIP_1) | instid1(VALU_DEP_2)
	v_add_co_u32 v30, vcc_lo, v26, v30
	s_wait_alu 0xfffd
	v_add_co_ci_u32_e64 v31, null, v29, v31, vcc_lo
	global_store_b64 v[30:31], v[5:6], off
.LBB43_114:
	s_wait_alu 0xfffe
	s_or_b32 exec_lo, exec_lo, s0
	v_and_b32_e32 v22, 1, v27
	v_cmp_lt_u64_e32 vcc_lo, v[13:14], v[19:20]
	s_delay_alu instid0(VALU_DEP_2)
	v_cmp_eq_u32_e64 s0, 1, v22
	s_or_b32 s1, s7, vcc_lo
	s_wait_alu 0xfffe
	s_and_b32 s1, s1, s0
	s_wait_alu 0xfffe
	s_and_saveexec_b32 s0, s1
	s_cbranch_execz .LBB43_116
; %bb.115:
	v_lshlrev_b64_e32 v[30:31], 3, v[13:14]
	s_delay_alu instid0(VALU_DEP_1) | instskip(SKIP_1) | instid1(VALU_DEP_2)
	v_add_co_u32 v30, vcc_lo, v26, v30
	s_wait_alu 0xfffd
	v_add_co_ci_u32_e64 v31, null, v29, v31, vcc_lo
	global_store_b64 v[30:31], v[7:8], off
.LBB43_116:
	s_wait_alu 0xfffe
	s_or_b32 exec_lo, exec_lo, s0
	v_cmp_lt_u64_e32 vcc_lo, v[15:16], v[19:20]
	s_or_b32 s0, s7, vcc_lo
	s_wait_alu 0xfffe
	s_and_b32 s1, s0, s10
	s_wait_alu 0xfffe
	s_and_saveexec_b32 s0, s1
	s_cbranch_execz .LBB43_118
; %bb.117:
	v_lshlrev_b64_e32 v[19:20], 3, v[15:16]
	s_delay_alu instid0(VALU_DEP_1) | instskip(SKIP_1) | instid1(VALU_DEP_2)
	v_add_co_u32 v19, vcc_lo, v26, v19
	s_wait_alu 0xfffd
	v_add_co_ci_u32_e64 v20, null, v29, v20, vcc_lo
	global_store_b64 v[19:20], v[3:4], off
.LBB43_118:
	s_wait_alu 0xfffe
	s_or_b32 exec_lo, exec_lo, s0
	s_branch .LBB43_108
.LBB43_119:
	s_mov_b32 s0, exec_lo
	v_cmpx_eq_u32_e32 1, v25
; %bb.120:
	v_sub_nc_u32_e32 v14, v23, v11
	s_delay_alu instid0(VALU_DEP_1)
	v_lshlrev_b32_e32 v14, 3, v14
	ds_store_b64 v14, v[1:2]
; %bb.121:
	s_wait_alu 0xfffe
	s_or_b32 exec_lo, exec_lo, s0
	v_and_b32_e32 v1, 1, v28
	s_mov_b32 s0, exec_lo
	s_delay_alu instid0(VALU_DEP_1)
	v_cmpx_eq_u32_e32 1, v1
; %bb.122:
	v_sub_nc_u32_e32 v1, v21, v11
	s_delay_alu instid0(VALU_DEP_1)
	v_lshlrev_b32_e32 v1, 3, v1
	ds_store_b64 v1, v[5:6]
; %bb.123:
	s_wait_alu 0xfffe
	s_or_b32 exec_lo, exec_lo, s0
	v_and_b32_e32 v1, 1, v27
	s_mov_b32 s0, exec_lo
	s_delay_alu instid0(VALU_DEP_1)
	v_cmpx_eq_u32_e32 1, v1
; %bb.124:
	v_sub_nc_u32_e32 v1, v13, v11
	s_delay_alu instid0(VALU_DEP_1)
	v_lshlrev_b32_e32 v1, 3, v1
	ds_store_b64 v1, v[7:8]
; %bb.125:
	s_wait_alu 0xfffe
	s_or_b32 exec_lo, exec_lo, s0
	s_and_saveexec_b32 s0, s10
; %bb.126:
	v_sub_nc_u32_e32 v1, v15, v11
	s_delay_alu instid0(VALU_DEP_1)
	v_lshlrev_b32_e32 v1, 3, v1
	ds_store_b64 v1, v[3:4]
; %bb.127:
	s_wait_alu 0xfffe
	s_or_b32 exec_lo, exec_lo, s0
	v_mov_b32_e32 v1, 0
	s_mov_b32 s1, exec_lo
	s_wait_storecnt 0x0
	s_wait_loadcnt_dscnt 0x0
	s_barrier_signal -1
	s_barrier_wait -1
	global_inv scope:SCOPE_SE
	v_cmpx_gt_u64_e64 v[9:10], v[0:1]
	s_cbranch_execz .LBB43_130
; %bb.128:
	v_lshlrev_b64_e32 v[2:3], 3, v[11:12]
	v_lshlrev_b64_e32 v[4:5], 3, v[17:18]
	s_mov_b32 s3, 0
	s_delay_alu instid0(VALU_DEP_2) | instskip(SKIP_1) | instid1(VALU_DEP_3)
	v_add_co_u32 v6, vcc_lo, s12, v2
	s_wait_alu 0xfffd
	v_add_co_ci_u32_e64 v7, null, s13, v3, vcc_lo
	v_dual_mov_b32 v3, v1 :: v_dual_mov_b32 v2, v0
	s_delay_alu instid0(VALU_DEP_3) | instskip(SKIP_1) | instid1(VALU_DEP_3)
	v_add_co_u32 v4, vcc_lo, v6, v4
	s_wait_alu 0xfffd
	v_add_co_ci_u32_e64 v5, null, v7, v5, vcc_lo
	v_or_b32_e32 v0, 0x100, v0
.LBB43_129:                             ; =>This Inner Loop Header: Depth=1
	v_lshlrev_b32_e32 v6, 3, v2
	v_lshlrev_b64_e32 v[13:14], 3, v[2:3]
	v_mov_b32_e32 v3, v1
	s_delay_alu instid0(VALU_DEP_4)
	v_cmp_le_u64_e32 vcc_lo, v[9:10], v[0:1]
	v_mov_b32_e32 v2, v0
	ds_load_b64 v[6:7], v6
	v_add_nc_u32_e32 v0, 0x100, v0
	v_add_co_u32 v13, s0, v4, v13
	s_wait_alu 0xf1ff
	v_add_co_ci_u32_e64 v14, null, v5, v14, s0
	s_wait_alu 0xfffe
	s_or_b32 s3, vcc_lo, s3
	s_wait_dscnt 0x0
	global_store_b64 v[13:14], v[6:7], off
	s_wait_alu 0xfffe
	s_and_not1_b32 exec_lo, exec_lo, s3
	s_cbranch_execnz .LBB43_129
.LBB43_130:
	s_wait_alu 0xfffe
	s_or_b32 exec_lo, exec_lo, s1
	s_and_b32 s0, s2, s6
	s_wait_alu 0xfffe
	s_and_saveexec_b32 s1, s0
	s_cbranch_execz .LBB43_109
.LBB43_131:
	v_add_co_u32 v0, vcc_lo, v11, v9
	s_wait_alu 0xfffd
	v_add_co_ci_u32_e64 v1, null, v12, v10, vcc_lo
	v_mov_b32_e32 v2, 0
	s_delay_alu instid0(VALU_DEP_3) | instskip(SKIP_1) | instid1(VALU_DEP_3)
	v_add_co_u32 v0, vcc_lo, v0, v17
	s_wait_alu 0xfffd
	v_add_co_ci_u32_e64 v1, null, v1, v18, vcc_lo
	global_store_b64 v2, v[0:1], s[8:9]
	s_endpgm
.LBB43_132:
	v_lshlrev_b32_e32 v3, 3, v0
	s_delay_alu instid0(VALU_DEP_1) | instskip(SKIP_4) | instid1(SALU_CYCLE_1)
	v_add_co_u32 v3, vcc_lo, v12, v3
	s_wait_alu 0xfffd
	v_add_co_ci_u32_e64 v4, null, 0, v13, vcc_lo
	flat_load_b64 v[3:4], v[3:4] offset:2048
	s_or_b32 exec_lo, exec_lo, s0
	s_mov_b32 s0, exec_lo
	v_cmpx_gt_u32_e64 s18, v11
	s_cbranch_execz .LBB43_11
.LBB43_133:
	v_lshlrev_b32_e32 v5, 3, v0
	s_delay_alu instid0(VALU_DEP_1) | instskip(SKIP_4) | instid1(SALU_CYCLE_1)
	v_add_co_u32 v5, vcc_lo, v12, v5
	s_wait_alu 0xfffd
	v_add_co_ci_u32_e64 v6, null, 0, v13, vcc_lo
	flat_load_b64 v[5:6], v[5:6] offset:4096
	s_or_b32 exec_lo, exec_lo, s0
	s_mov_b32 s0, exec_lo
	v_cmpx_gt_u32_e64 s18, v10
	s_cbranch_execnz .LBB43_12
	s_branch .LBB43_13
	.section	.rodata,"a",@progbits
	.p2align	6, 0x0
	.amdhsa_kernel _ZN7rocprim17ROCPRIM_400000_NS6detail17trampoline_kernelINS0_14default_configENS1_25partition_config_selectorILNS1_17partition_subalgoE6EdNS0_10empty_typeEbEEZZNS1_14partition_implILS5_6ELb0ES3_mN6thrust23THRUST_200600_302600_NS6detail15normal_iteratorINSA_10device_ptrIdEEEEPS6_SG_NS0_5tupleIJSF_S6_EEENSH_IJSG_SG_EEES6_PlJNSB_9not_fun_tINSB_10functional5actorINSM_9compositeIJNSM_27transparent_binary_operatorINSA_8equal_toIvEEEENSN_INSM_8argumentILj0EEEEENSM_5valueIdEEEEEEEEEEEE10hipError_tPvRmT3_T4_T5_T6_T7_T9_mT8_P12ihipStream_tbDpT10_ENKUlT_T0_E_clISt17integral_constantIbLb0EES1J_IbLb1EEEEDaS1F_S1G_EUlS1F_E_NS1_11comp_targetILNS1_3genE10ELNS1_11target_archE1200ELNS1_3gpuE4ELNS1_3repE0EEENS1_30default_config_static_selectorELNS0_4arch9wavefront6targetE0EEEvT1_
		.amdhsa_group_segment_fixed_size 8464
		.amdhsa_private_segment_fixed_size 0
		.amdhsa_kernarg_size 136
		.amdhsa_user_sgpr_count 2
		.amdhsa_user_sgpr_dispatch_ptr 0
		.amdhsa_user_sgpr_queue_ptr 0
		.amdhsa_user_sgpr_kernarg_segment_ptr 1
		.amdhsa_user_sgpr_dispatch_id 0
		.amdhsa_user_sgpr_private_segment_size 0
		.amdhsa_wavefront_size32 1
		.amdhsa_uses_dynamic_stack 0
		.amdhsa_enable_private_segment 0
		.amdhsa_system_sgpr_workgroup_id_x 1
		.amdhsa_system_sgpr_workgroup_id_y 0
		.amdhsa_system_sgpr_workgroup_id_z 0
		.amdhsa_system_sgpr_workgroup_info 0
		.amdhsa_system_vgpr_workitem_id 0
		.amdhsa_next_free_vgpr 48
		.amdhsa_next_free_sgpr 24
		.amdhsa_reserve_vcc 1
		.amdhsa_float_round_mode_32 0
		.amdhsa_float_round_mode_16_64 0
		.amdhsa_float_denorm_mode_32 3
		.amdhsa_float_denorm_mode_16_64 3
		.amdhsa_fp16_overflow 0
		.amdhsa_workgroup_processor_mode 1
		.amdhsa_memory_ordered 1
		.amdhsa_forward_progress 1
		.amdhsa_inst_pref_size 52
		.amdhsa_round_robin_scheduling 0
		.amdhsa_exception_fp_ieee_invalid_op 0
		.amdhsa_exception_fp_denorm_src 0
		.amdhsa_exception_fp_ieee_div_zero 0
		.amdhsa_exception_fp_ieee_overflow 0
		.amdhsa_exception_fp_ieee_underflow 0
		.amdhsa_exception_fp_ieee_inexact 0
		.amdhsa_exception_int_div_zero 0
	.end_amdhsa_kernel
	.section	.text._ZN7rocprim17ROCPRIM_400000_NS6detail17trampoline_kernelINS0_14default_configENS1_25partition_config_selectorILNS1_17partition_subalgoE6EdNS0_10empty_typeEbEEZZNS1_14partition_implILS5_6ELb0ES3_mN6thrust23THRUST_200600_302600_NS6detail15normal_iteratorINSA_10device_ptrIdEEEEPS6_SG_NS0_5tupleIJSF_S6_EEENSH_IJSG_SG_EEES6_PlJNSB_9not_fun_tINSB_10functional5actorINSM_9compositeIJNSM_27transparent_binary_operatorINSA_8equal_toIvEEEENSN_INSM_8argumentILj0EEEEENSM_5valueIdEEEEEEEEEEEE10hipError_tPvRmT3_T4_T5_T6_T7_T9_mT8_P12ihipStream_tbDpT10_ENKUlT_T0_E_clISt17integral_constantIbLb0EES1J_IbLb1EEEEDaS1F_S1G_EUlS1F_E_NS1_11comp_targetILNS1_3genE10ELNS1_11target_archE1200ELNS1_3gpuE4ELNS1_3repE0EEENS1_30default_config_static_selectorELNS0_4arch9wavefront6targetE0EEEvT1_,"axG",@progbits,_ZN7rocprim17ROCPRIM_400000_NS6detail17trampoline_kernelINS0_14default_configENS1_25partition_config_selectorILNS1_17partition_subalgoE6EdNS0_10empty_typeEbEEZZNS1_14partition_implILS5_6ELb0ES3_mN6thrust23THRUST_200600_302600_NS6detail15normal_iteratorINSA_10device_ptrIdEEEEPS6_SG_NS0_5tupleIJSF_S6_EEENSH_IJSG_SG_EEES6_PlJNSB_9not_fun_tINSB_10functional5actorINSM_9compositeIJNSM_27transparent_binary_operatorINSA_8equal_toIvEEEENSN_INSM_8argumentILj0EEEEENSM_5valueIdEEEEEEEEEEEE10hipError_tPvRmT3_T4_T5_T6_T7_T9_mT8_P12ihipStream_tbDpT10_ENKUlT_T0_E_clISt17integral_constantIbLb0EES1J_IbLb1EEEEDaS1F_S1G_EUlS1F_E_NS1_11comp_targetILNS1_3genE10ELNS1_11target_archE1200ELNS1_3gpuE4ELNS1_3repE0EEENS1_30default_config_static_selectorELNS0_4arch9wavefront6targetE0EEEvT1_,comdat
.Lfunc_end43:
	.size	_ZN7rocprim17ROCPRIM_400000_NS6detail17trampoline_kernelINS0_14default_configENS1_25partition_config_selectorILNS1_17partition_subalgoE6EdNS0_10empty_typeEbEEZZNS1_14partition_implILS5_6ELb0ES3_mN6thrust23THRUST_200600_302600_NS6detail15normal_iteratorINSA_10device_ptrIdEEEEPS6_SG_NS0_5tupleIJSF_S6_EEENSH_IJSG_SG_EEES6_PlJNSB_9not_fun_tINSB_10functional5actorINSM_9compositeIJNSM_27transparent_binary_operatorINSA_8equal_toIvEEEENSN_INSM_8argumentILj0EEEEENSM_5valueIdEEEEEEEEEEEE10hipError_tPvRmT3_T4_T5_T6_T7_T9_mT8_P12ihipStream_tbDpT10_ENKUlT_T0_E_clISt17integral_constantIbLb0EES1J_IbLb1EEEEDaS1F_S1G_EUlS1F_E_NS1_11comp_targetILNS1_3genE10ELNS1_11target_archE1200ELNS1_3gpuE4ELNS1_3repE0EEENS1_30default_config_static_selectorELNS0_4arch9wavefront6targetE0EEEvT1_, .Lfunc_end43-_ZN7rocprim17ROCPRIM_400000_NS6detail17trampoline_kernelINS0_14default_configENS1_25partition_config_selectorILNS1_17partition_subalgoE6EdNS0_10empty_typeEbEEZZNS1_14partition_implILS5_6ELb0ES3_mN6thrust23THRUST_200600_302600_NS6detail15normal_iteratorINSA_10device_ptrIdEEEEPS6_SG_NS0_5tupleIJSF_S6_EEENSH_IJSG_SG_EEES6_PlJNSB_9not_fun_tINSB_10functional5actorINSM_9compositeIJNSM_27transparent_binary_operatorINSA_8equal_toIvEEEENSN_INSM_8argumentILj0EEEEENSM_5valueIdEEEEEEEEEEEE10hipError_tPvRmT3_T4_T5_T6_T7_T9_mT8_P12ihipStream_tbDpT10_ENKUlT_T0_E_clISt17integral_constantIbLb0EES1J_IbLb1EEEEDaS1F_S1G_EUlS1F_E_NS1_11comp_targetILNS1_3genE10ELNS1_11target_archE1200ELNS1_3gpuE4ELNS1_3repE0EEENS1_30default_config_static_selectorELNS0_4arch9wavefront6targetE0EEEvT1_
                                        ; -- End function
	.set _ZN7rocprim17ROCPRIM_400000_NS6detail17trampoline_kernelINS0_14default_configENS1_25partition_config_selectorILNS1_17partition_subalgoE6EdNS0_10empty_typeEbEEZZNS1_14partition_implILS5_6ELb0ES3_mN6thrust23THRUST_200600_302600_NS6detail15normal_iteratorINSA_10device_ptrIdEEEEPS6_SG_NS0_5tupleIJSF_S6_EEENSH_IJSG_SG_EEES6_PlJNSB_9not_fun_tINSB_10functional5actorINSM_9compositeIJNSM_27transparent_binary_operatorINSA_8equal_toIvEEEENSN_INSM_8argumentILj0EEEEENSM_5valueIdEEEEEEEEEEEE10hipError_tPvRmT3_T4_T5_T6_T7_T9_mT8_P12ihipStream_tbDpT10_ENKUlT_T0_E_clISt17integral_constantIbLb0EES1J_IbLb1EEEEDaS1F_S1G_EUlS1F_E_NS1_11comp_targetILNS1_3genE10ELNS1_11target_archE1200ELNS1_3gpuE4ELNS1_3repE0EEENS1_30default_config_static_selectorELNS0_4arch9wavefront6targetE0EEEvT1_.num_vgpr, 48
	.set _ZN7rocprim17ROCPRIM_400000_NS6detail17trampoline_kernelINS0_14default_configENS1_25partition_config_selectorILNS1_17partition_subalgoE6EdNS0_10empty_typeEbEEZZNS1_14partition_implILS5_6ELb0ES3_mN6thrust23THRUST_200600_302600_NS6detail15normal_iteratorINSA_10device_ptrIdEEEEPS6_SG_NS0_5tupleIJSF_S6_EEENSH_IJSG_SG_EEES6_PlJNSB_9not_fun_tINSB_10functional5actorINSM_9compositeIJNSM_27transparent_binary_operatorINSA_8equal_toIvEEEENSN_INSM_8argumentILj0EEEEENSM_5valueIdEEEEEEEEEEEE10hipError_tPvRmT3_T4_T5_T6_T7_T9_mT8_P12ihipStream_tbDpT10_ENKUlT_T0_E_clISt17integral_constantIbLb0EES1J_IbLb1EEEEDaS1F_S1G_EUlS1F_E_NS1_11comp_targetILNS1_3genE10ELNS1_11target_archE1200ELNS1_3gpuE4ELNS1_3repE0EEENS1_30default_config_static_selectorELNS0_4arch9wavefront6targetE0EEEvT1_.num_agpr, 0
	.set _ZN7rocprim17ROCPRIM_400000_NS6detail17trampoline_kernelINS0_14default_configENS1_25partition_config_selectorILNS1_17partition_subalgoE6EdNS0_10empty_typeEbEEZZNS1_14partition_implILS5_6ELb0ES3_mN6thrust23THRUST_200600_302600_NS6detail15normal_iteratorINSA_10device_ptrIdEEEEPS6_SG_NS0_5tupleIJSF_S6_EEENSH_IJSG_SG_EEES6_PlJNSB_9not_fun_tINSB_10functional5actorINSM_9compositeIJNSM_27transparent_binary_operatorINSA_8equal_toIvEEEENSN_INSM_8argumentILj0EEEEENSM_5valueIdEEEEEEEEEEEE10hipError_tPvRmT3_T4_T5_T6_T7_T9_mT8_P12ihipStream_tbDpT10_ENKUlT_T0_E_clISt17integral_constantIbLb0EES1J_IbLb1EEEEDaS1F_S1G_EUlS1F_E_NS1_11comp_targetILNS1_3genE10ELNS1_11target_archE1200ELNS1_3gpuE4ELNS1_3repE0EEENS1_30default_config_static_selectorELNS0_4arch9wavefront6targetE0EEEvT1_.numbered_sgpr, 24
	.set _ZN7rocprim17ROCPRIM_400000_NS6detail17trampoline_kernelINS0_14default_configENS1_25partition_config_selectorILNS1_17partition_subalgoE6EdNS0_10empty_typeEbEEZZNS1_14partition_implILS5_6ELb0ES3_mN6thrust23THRUST_200600_302600_NS6detail15normal_iteratorINSA_10device_ptrIdEEEEPS6_SG_NS0_5tupleIJSF_S6_EEENSH_IJSG_SG_EEES6_PlJNSB_9not_fun_tINSB_10functional5actorINSM_9compositeIJNSM_27transparent_binary_operatorINSA_8equal_toIvEEEENSN_INSM_8argumentILj0EEEEENSM_5valueIdEEEEEEEEEEEE10hipError_tPvRmT3_T4_T5_T6_T7_T9_mT8_P12ihipStream_tbDpT10_ENKUlT_T0_E_clISt17integral_constantIbLb0EES1J_IbLb1EEEEDaS1F_S1G_EUlS1F_E_NS1_11comp_targetILNS1_3genE10ELNS1_11target_archE1200ELNS1_3gpuE4ELNS1_3repE0EEENS1_30default_config_static_selectorELNS0_4arch9wavefront6targetE0EEEvT1_.num_named_barrier, 0
	.set _ZN7rocprim17ROCPRIM_400000_NS6detail17trampoline_kernelINS0_14default_configENS1_25partition_config_selectorILNS1_17partition_subalgoE6EdNS0_10empty_typeEbEEZZNS1_14partition_implILS5_6ELb0ES3_mN6thrust23THRUST_200600_302600_NS6detail15normal_iteratorINSA_10device_ptrIdEEEEPS6_SG_NS0_5tupleIJSF_S6_EEENSH_IJSG_SG_EEES6_PlJNSB_9not_fun_tINSB_10functional5actorINSM_9compositeIJNSM_27transparent_binary_operatorINSA_8equal_toIvEEEENSN_INSM_8argumentILj0EEEEENSM_5valueIdEEEEEEEEEEEE10hipError_tPvRmT3_T4_T5_T6_T7_T9_mT8_P12ihipStream_tbDpT10_ENKUlT_T0_E_clISt17integral_constantIbLb0EES1J_IbLb1EEEEDaS1F_S1G_EUlS1F_E_NS1_11comp_targetILNS1_3genE10ELNS1_11target_archE1200ELNS1_3gpuE4ELNS1_3repE0EEENS1_30default_config_static_selectorELNS0_4arch9wavefront6targetE0EEEvT1_.private_seg_size, 0
	.set _ZN7rocprim17ROCPRIM_400000_NS6detail17trampoline_kernelINS0_14default_configENS1_25partition_config_selectorILNS1_17partition_subalgoE6EdNS0_10empty_typeEbEEZZNS1_14partition_implILS5_6ELb0ES3_mN6thrust23THRUST_200600_302600_NS6detail15normal_iteratorINSA_10device_ptrIdEEEEPS6_SG_NS0_5tupleIJSF_S6_EEENSH_IJSG_SG_EEES6_PlJNSB_9not_fun_tINSB_10functional5actorINSM_9compositeIJNSM_27transparent_binary_operatorINSA_8equal_toIvEEEENSN_INSM_8argumentILj0EEEEENSM_5valueIdEEEEEEEEEEEE10hipError_tPvRmT3_T4_T5_T6_T7_T9_mT8_P12ihipStream_tbDpT10_ENKUlT_T0_E_clISt17integral_constantIbLb0EES1J_IbLb1EEEEDaS1F_S1G_EUlS1F_E_NS1_11comp_targetILNS1_3genE10ELNS1_11target_archE1200ELNS1_3gpuE4ELNS1_3repE0EEENS1_30default_config_static_selectorELNS0_4arch9wavefront6targetE0EEEvT1_.uses_vcc, 1
	.set _ZN7rocprim17ROCPRIM_400000_NS6detail17trampoline_kernelINS0_14default_configENS1_25partition_config_selectorILNS1_17partition_subalgoE6EdNS0_10empty_typeEbEEZZNS1_14partition_implILS5_6ELb0ES3_mN6thrust23THRUST_200600_302600_NS6detail15normal_iteratorINSA_10device_ptrIdEEEEPS6_SG_NS0_5tupleIJSF_S6_EEENSH_IJSG_SG_EEES6_PlJNSB_9not_fun_tINSB_10functional5actorINSM_9compositeIJNSM_27transparent_binary_operatorINSA_8equal_toIvEEEENSN_INSM_8argumentILj0EEEEENSM_5valueIdEEEEEEEEEEEE10hipError_tPvRmT3_T4_T5_T6_T7_T9_mT8_P12ihipStream_tbDpT10_ENKUlT_T0_E_clISt17integral_constantIbLb0EES1J_IbLb1EEEEDaS1F_S1G_EUlS1F_E_NS1_11comp_targetILNS1_3genE10ELNS1_11target_archE1200ELNS1_3gpuE4ELNS1_3repE0EEENS1_30default_config_static_selectorELNS0_4arch9wavefront6targetE0EEEvT1_.uses_flat_scratch, 1
	.set _ZN7rocprim17ROCPRIM_400000_NS6detail17trampoline_kernelINS0_14default_configENS1_25partition_config_selectorILNS1_17partition_subalgoE6EdNS0_10empty_typeEbEEZZNS1_14partition_implILS5_6ELb0ES3_mN6thrust23THRUST_200600_302600_NS6detail15normal_iteratorINSA_10device_ptrIdEEEEPS6_SG_NS0_5tupleIJSF_S6_EEENSH_IJSG_SG_EEES6_PlJNSB_9not_fun_tINSB_10functional5actorINSM_9compositeIJNSM_27transparent_binary_operatorINSA_8equal_toIvEEEENSN_INSM_8argumentILj0EEEEENSM_5valueIdEEEEEEEEEEEE10hipError_tPvRmT3_T4_T5_T6_T7_T9_mT8_P12ihipStream_tbDpT10_ENKUlT_T0_E_clISt17integral_constantIbLb0EES1J_IbLb1EEEEDaS1F_S1G_EUlS1F_E_NS1_11comp_targetILNS1_3genE10ELNS1_11target_archE1200ELNS1_3gpuE4ELNS1_3repE0EEENS1_30default_config_static_selectorELNS0_4arch9wavefront6targetE0EEEvT1_.has_dyn_sized_stack, 0
	.set _ZN7rocprim17ROCPRIM_400000_NS6detail17trampoline_kernelINS0_14default_configENS1_25partition_config_selectorILNS1_17partition_subalgoE6EdNS0_10empty_typeEbEEZZNS1_14partition_implILS5_6ELb0ES3_mN6thrust23THRUST_200600_302600_NS6detail15normal_iteratorINSA_10device_ptrIdEEEEPS6_SG_NS0_5tupleIJSF_S6_EEENSH_IJSG_SG_EEES6_PlJNSB_9not_fun_tINSB_10functional5actorINSM_9compositeIJNSM_27transparent_binary_operatorINSA_8equal_toIvEEEENSN_INSM_8argumentILj0EEEEENSM_5valueIdEEEEEEEEEEEE10hipError_tPvRmT3_T4_T5_T6_T7_T9_mT8_P12ihipStream_tbDpT10_ENKUlT_T0_E_clISt17integral_constantIbLb0EES1J_IbLb1EEEEDaS1F_S1G_EUlS1F_E_NS1_11comp_targetILNS1_3genE10ELNS1_11target_archE1200ELNS1_3gpuE4ELNS1_3repE0EEENS1_30default_config_static_selectorELNS0_4arch9wavefront6targetE0EEEvT1_.has_recursion, 0
	.set _ZN7rocprim17ROCPRIM_400000_NS6detail17trampoline_kernelINS0_14default_configENS1_25partition_config_selectorILNS1_17partition_subalgoE6EdNS0_10empty_typeEbEEZZNS1_14partition_implILS5_6ELb0ES3_mN6thrust23THRUST_200600_302600_NS6detail15normal_iteratorINSA_10device_ptrIdEEEEPS6_SG_NS0_5tupleIJSF_S6_EEENSH_IJSG_SG_EEES6_PlJNSB_9not_fun_tINSB_10functional5actorINSM_9compositeIJNSM_27transparent_binary_operatorINSA_8equal_toIvEEEENSN_INSM_8argumentILj0EEEEENSM_5valueIdEEEEEEEEEEEE10hipError_tPvRmT3_T4_T5_T6_T7_T9_mT8_P12ihipStream_tbDpT10_ENKUlT_T0_E_clISt17integral_constantIbLb0EES1J_IbLb1EEEEDaS1F_S1G_EUlS1F_E_NS1_11comp_targetILNS1_3genE10ELNS1_11target_archE1200ELNS1_3gpuE4ELNS1_3repE0EEENS1_30default_config_static_selectorELNS0_4arch9wavefront6targetE0EEEvT1_.has_indirect_call, 0
	.section	.AMDGPU.csdata,"",@progbits
; Kernel info:
; codeLenInByte = 6564
; TotalNumSgprs: 26
; NumVgprs: 48
; ScratchSize: 0
; MemoryBound: 0
; FloatMode: 240
; IeeeMode: 1
; LDSByteSize: 8464 bytes/workgroup (compile time only)
; SGPRBlocks: 0
; VGPRBlocks: 5
; NumSGPRsForWavesPerEU: 26
; NumVGPRsForWavesPerEU: 48
; Occupancy: 16
; WaveLimiterHint : 1
; COMPUTE_PGM_RSRC2:SCRATCH_EN: 0
; COMPUTE_PGM_RSRC2:USER_SGPR: 2
; COMPUTE_PGM_RSRC2:TRAP_HANDLER: 0
; COMPUTE_PGM_RSRC2:TGID_X_EN: 1
; COMPUTE_PGM_RSRC2:TGID_Y_EN: 0
; COMPUTE_PGM_RSRC2:TGID_Z_EN: 0
; COMPUTE_PGM_RSRC2:TIDIG_COMP_CNT: 0
	.section	.text._ZN7rocprim17ROCPRIM_400000_NS6detail17trampoline_kernelINS0_14default_configENS1_25partition_config_selectorILNS1_17partition_subalgoE6EdNS0_10empty_typeEbEEZZNS1_14partition_implILS5_6ELb0ES3_mN6thrust23THRUST_200600_302600_NS6detail15normal_iteratorINSA_10device_ptrIdEEEEPS6_SG_NS0_5tupleIJSF_S6_EEENSH_IJSG_SG_EEES6_PlJNSB_9not_fun_tINSB_10functional5actorINSM_9compositeIJNSM_27transparent_binary_operatorINSA_8equal_toIvEEEENSN_INSM_8argumentILj0EEEEENSM_5valueIdEEEEEEEEEEEE10hipError_tPvRmT3_T4_T5_T6_T7_T9_mT8_P12ihipStream_tbDpT10_ENKUlT_T0_E_clISt17integral_constantIbLb0EES1J_IbLb1EEEEDaS1F_S1G_EUlS1F_E_NS1_11comp_targetILNS1_3genE9ELNS1_11target_archE1100ELNS1_3gpuE3ELNS1_3repE0EEENS1_30default_config_static_selectorELNS0_4arch9wavefront6targetE0EEEvT1_,"axG",@progbits,_ZN7rocprim17ROCPRIM_400000_NS6detail17trampoline_kernelINS0_14default_configENS1_25partition_config_selectorILNS1_17partition_subalgoE6EdNS0_10empty_typeEbEEZZNS1_14partition_implILS5_6ELb0ES3_mN6thrust23THRUST_200600_302600_NS6detail15normal_iteratorINSA_10device_ptrIdEEEEPS6_SG_NS0_5tupleIJSF_S6_EEENSH_IJSG_SG_EEES6_PlJNSB_9not_fun_tINSB_10functional5actorINSM_9compositeIJNSM_27transparent_binary_operatorINSA_8equal_toIvEEEENSN_INSM_8argumentILj0EEEEENSM_5valueIdEEEEEEEEEEEE10hipError_tPvRmT3_T4_T5_T6_T7_T9_mT8_P12ihipStream_tbDpT10_ENKUlT_T0_E_clISt17integral_constantIbLb0EES1J_IbLb1EEEEDaS1F_S1G_EUlS1F_E_NS1_11comp_targetILNS1_3genE9ELNS1_11target_archE1100ELNS1_3gpuE3ELNS1_3repE0EEENS1_30default_config_static_selectorELNS0_4arch9wavefront6targetE0EEEvT1_,comdat
	.protected	_ZN7rocprim17ROCPRIM_400000_NS6detail17trampoline_kernelINS0_14default_configENS1_25partition_config_selectorILNS1_17partition_subalgoE6EdNS0_10empty_typeEbEEZZNS1_14partition_implILS5_6ELb0ES3_mN6thrust23THRUST_200600_302600_NS6detail15normal_iteratorINSA_10device_ptrIdEEEEPS6_SG_NS0_5tupleIJSF_S6_EEENSH_IJSG_SG_EEES6_PlJNSB_9not_fun_tINSB_10functional5actorINSM_9compositeIJNSM_27transparent_binary_operatorINSA_8equal_toIvEEEENSN_INSM_8argumentILj0EEEEENSM_5valueIdEEEEEEEEEEEE10hipError_tPvRmT3_T4_T5_T6_T7_T9_mT8_P12ihipStream_tbDpT10_ENKUlT_T0_E_clISt17integral_constantIbLb0EES1J_IbLb1EEEEDaS1F_S1G_EUlS1F_E_NS1_11comp_targetILNS1_3genE9ELNS1_11target_archE1100ELNS1_3gpuE3ELNS1_3repE0EEENS1_30default_config_static_selectorELNS0_4arch9wavefront6targetE0EEEvT1_ ; -- Begin function _ZN7rocprim17ROCPRIM_400000_NS6detail17trampoline_kernelINS0_14default_configENS1_25partition_config_selectorILNS1_17partition_subalgoE6EdNS0_10empty_typeEbEEZZNS1_14partition_implILS5_6ELb0ES3_mN6thrust23THRUST_200600_302600_NS6detail15normal_iteratorINSA_10device_ptrIdEEEEPS6_SG_NS0_5tupleIJSF_S6_EEENSH_IJSG_SG_EEES6_PlJNSB_9not_fun_tINSB_10functional5actorINSM_9compositeIJNSM_27transparent_binary_operatorINSA_8equal_toIvEEEENSN_INSM_8argumentILj0EEEEENSM_5valueIdEEEEEEEEEEEE10hipError_tPvRmT3_T4_T5_T6_T7_T9_mT8_P12ihipStream_tbDpT10_ENKUlT_T0_E_clISt17integral_constantIbLb0EES1J_IbLb1EEEEDaS1F_S1G_EUlS1F_E_NS1_11comp_targetILNS1_3genE9ELNS1_11target_archE1100ELNS1_3gpuE3ELNS1_3repE0EEENS1_30default_config_static_selectorELNS0_4arch9wavefront6targetE0EEEvT1_
	.globl	_ZN7rocprim17ROCPRIM_400000_NS6detail17trampoline_kernelINS0_14default_configENS1_25partition_config_selectorILNS1_17partition_subalgoE6EdNS0_10empty_typeEbEEZZNS1_14partition_implILS5_6ELb0ES3_mN6thrust23THRUST_200600_302600_NS6detail15normal_iteratorINSA_10device_ptrIdEEEEPS6_SG_NS0_5tupleIJSF_S6_EEENSH_IJSG_SG_EEES6_PlJNSB_9not_fun_tINSB_10functional5actorINSM_9compositeIJNSM_27transparent_binary_operatorINSA_8equal_toIvEEEENSN_INSM_8argumentILj0EEEEENSM_5valueIdEEEEEEEEEEEE10hipError_tPvRmT3_T4_T5_T6_T7_T9_mT8_P12ihipStream_tbDpT10_ENKUlT_T0_E_clISt17integral_constantIbLb0EES1J_IbLb1EEEEDaS1F_S1G_EUlS1F_E_NS1_11comp_targetILNS1_3genE9ELNS1_11target_archE1100ELNS1_3gpuE3ELNS1_3repE0EEENS1_30default_config_static_selectorELNS0_4arch9wavefront6targetE0EEEvT1_
	.p2align	8
	.type	_ZN7rocprim17ROCPRIM_400000_NS6detail17trampoline_kernelINS0_14default_configENS1_25partition_config_selectorILNS1_17partition_subalgoE6EdNS0_10empty_typeEbEEZZNS1_14partition_implILS5_6ELb0ES3_mN6thrust23THRUST_200600_302600_NS6detail15normal_iteratorINSA_10device_ptrIdEEEEPS6_SG_NS0_5tupleIJSF_S6_EEENSH_IJSG_SG_EEES6_PlJNSB_9not_fun_tINSB_10functional5actorINSM_9compositeIJNSM_27transparent_binary_operatorINSA_8equal_toIvEEEENSN_INSM_8argumentILj0EEEEENSM_5valueIdEEEEEEEEEEEE10hipError_tPvRmT3_T4_T5_T6_T7_T9_mT8_P12ihipStream_tbDpT10_ENKUlT_T0_E_clISt17integral_constantIbLb0EES1J_IbLb1EEEEDaS1F_S1G_EUlS1F_E_NS1_11comp_targetILNS1_3genE9ELNS1_11target_archE1100ELNS1_3gpuE3ELNS1_3repE0EEENS1_30default_config_static_selectorELNS0_4arch9wavefront6targetE0EEEvT1_,@function
_ZN7rocprim17ROCPRIM_400000_NS6detail17trampoline_kernelINS0_14default_configENS1_25partition_config_selectorILNS1_17partition_subalgoE6EdNS0_10empty_typeEbEEZZNS1_14partition_implILS5_6ELb0ES3_mN6thrust23THRUST_200600_302600_NS6detail15normal_iteratorINSA_10device_ptrIdEEEEPS6_SG_NS0_5tupleIJSF_S6_EEENSH_IJSG_SG_EEES6_PlJNSB_9not_fun_tINSB_10functional5actorINSM_9compositeIJNSM_27transparent_binary_operatorINSA_8equal_toIvEEEENSN_INSM_8argumentILj0EEEEENSM_5valueIdEEEEEEEEEEEE10hipError_tPvRmT3_T4_T5_T6_T7_T9_mT8_P12ihipStream_tbDpT10_ENKUlT_T0_E_clISt17integral_constantIbLb0EES1J_IbLb1EEEEDaS1F_S1G_EUlS1F_E_NS1_11comp_targetILNS1_3genE9ELNS1_11target_archE1100ELNS1_3gpuE3ELNS1_3repE0EEENS1_30default_config_static_selectorELNS0_4arch9wavefront6targetE0EEEvT1_: ; @_ZN7rocprim17ROCPRIM_400000_NS6detail17trampoline_kernelINS0_14default_configENS1_25partition_config_selectorILNS1_17partition_subalgoE6EdNS0_10empty_typeEbEEZZNS1_14partition_implILS5_6ELb0ES3_mN6thrust23THRUST_200600_302600_NS6detail15normal_iteratorINSA_10device_ptrIdEEEEPS6_SG_NS0_5tupleIJSF_S6_EEENSH_IJSG_SG_EEES6_PlJNSB_9not_fun_tINSB_10functional5actorINSM_9compositeIJNSM_27transparent_binary_operatorINSA_8equal_toIvEEEENSN_INSM_8argumentILj0EEEEENSM_5valueIdEEEEEEEEEEEE10hipError_tPvRmT3_T4_T5_T6_T7_T9_mT8_P12ihipStream_tbDpT10_ENKUlT_T0_E_clISt17integral_constantIbLb0EES1J_IbLb1EEEEDaS1F_S1G_EUlS1F_E_NS1_11comp_targetILNS1_3genE9ELNS1_11target_archE1100ELNS1_3gpuE3ELNS1_3repE0EEENS1_30default_config_static_selectorELNS0_4arch9wavefront6targetE0EEEvT1_
; %bb.0:
	.section	.rodata,"a",@progbits
	.p2align	6, 0x0
	.amdhsa_kernel _ZN7rocprim17ROCPRIM_400000_NS6detail17trampoline_kernelINS0_14default_configENS1_25partition_config_selectorILNS1_17partition_subalgoE6EdNS0_10empty_typeEbEEZZNS1_14partition_implILS5_6ELb0ES3_mN6thrust23THRUST_200600_302600_NS6detail15normal_iteratorINSA_10device_ptrIdEEEEPS6_SG_NS0_5tupleIJSF_S6_EEENSH_IJSG_SG_EEES6_PlJNSB_9not_fun_tINSB_10functional5actorINSM_9compositeIJNSM_27transparent_binary_operatorINSA_8equal_toIvEEEENSN_INSM_8argumentILj0EEEEENSM_5valueIdEEEEEEEEEEEE10hipError_tPvRmT3_T4_T5_T6_T7_T9_mT8_P12ihipStream_tbDpT10_ENKUlT_T0_E_clISt17integral_constantIbLb0EES1J_IbLb1EEEEDaS1F_S1G_EUlS1F_E_NS1_11comp_targetILNS1_3genE9ELNS1_11target_archE1100ELNS1_3gpuE3ELNS1_3repE0EEENS1_30default_config_static_selectorELNS0_4arch9wavefront6targetE0EEEvT1_
		.amdhsa_group_segment_fixed_size 0
		.amdhsa_private_segment_fixed_size 0
		.amdhsa_kernarg_size 136
		.amdhsa_user_sgpr_count 2
		.amdhsa_user_sgpr_dispatch_ptr 0
		.amdhsa_user_sgpr_queue_ptr 0
		.amdhsa_user_sgpr_kernarg_segment_ptr 1
		.amdhsa_user_sgpr_dispatch_id 0
		.amdhsa_user_sgpr_private_segment_size 0
		.amdhsa_wavefront_size32 1
		.amdhsa_uses_dynamic_stack 0
		.amdhsa_enable_private_segment 0
		.amdhsa_system_sgpr_workgroup_id_x 1
		.amdhsa_system_sgpr_workgroup_id_y 0
		.amdhsa_system_sgpr_workgroup_id_z 0
		.amdhsa_system_sgpr_workgroup_info 0
		.amdhsa_system_vgpr_workitem_id 0
		.amdhsa_next_free_vgpr 1
		.amdhsa_next_free_sgpr 1
		.amdhsa_reserve_vcc 0
		.amdhsa_float_round_mode_32 0
		.amdhsa_float_round_mode_16_64 0
		.amdhsa_float_denorm_mode_32 3
		.amdhsa_float_denorm_mode_16_64 3
		.amdhsa_fp16_overflow 0
		.amdhsa_workgroup_processor_mode 1
		.amdhsa_memory_ordered 1
		.amdhsa_forward_progress 1
		.amdhsa_inst_pref_size 0
		.amdhsa_round_robin_scheduling 0
		.amdhsa_exception_fp_ieee_invalid_op 0
		.amdhsa_exception_fp_denorm_src 0
		.amdhsa_exception_fp_ieee_div_zero 0
		.amdhsa_exception_fp_ieee_overflow 0
		.amdhsa_exception_fp_ieee_underflow 0
		.amdhsa_exception_fp_ieee_inexact 0
		.amdhsa_exception_int_div_zero 0
	.end_amdhsa_kernel
	.section	.text._ZN7rocprim17ROCPRIM_400000_NS6detail17trampoline_kernelINS0_14default_configENS1_25partition_config_selectorILNS1_17partition_subalgoE6EdNS0_10empty_typeEbEEZZNS1_14partition_implILS5_6ELb0ES3_mN6thrust23THRUST_200600_302600_NS6detail15normal_iteratorINSA_10device_ptrIdEEEEPS6_SG_NS0_5tupleIJSF_S6_EEENSH_IJSG_SG_EEES6_PlJNSB_9not_fun_tINSB_10functional5actorINSM_9compositeIJNSM_27transparent_binary_operatorINSA_8equal_toIvEEEENSN_INSM_8argumentILj0EEEEENSM_5valueIdEEEEEEEEEEEE10hipError_tPvRmT3_T4_T5_T6_T7_T9_mT8_P12ihipStream_tbDpT10_ENKUlT_T0_E_clISt17integral_constantIbLb0EES1J_IbLb1EEEEDaS1F_S1G_EUlS1F_E_NS1_11comp_targetILNS1_3genE9ELNS1_11target_archE1100ELNS1_3gpuE3ELNS1_3repE0EEENS1_30default_config_static_selectorELNS0_4arch9wavefront6targetE0EEEvT1_,"axG",@progbits,_ZN7rocprim17ROCPRIM_400000_NS6detail17trampoline_kernelINS0_14default_configENS1_25partition_config_selectorILNS1_17partition_subalgoE6EdNS0_10empty_typeEbEEZZNS1_14partition_implILS5_6ELb0ES3_mN6thrust23THRUST_200600_302600_NS6detail15normal_iteratorINSA_10device_ptrIdEEEEPS6_SG_NS0_5tupleIJSF_S6_EEENSH_IJSG_SG_EEES6_PlJNSB_9not_fun_tINSB_10functional5actorINSM_9compositeIJNSM_27transparent_binary_operatorINSA_8equal_toIvEEEENSN_INSM_8argumentILj0EEEEENSM_5valueIdEEEEEEEEEEEE10hipError_tPvRmT3_T4_T5_T6_T7_T9_mT8_P12ihipStream_tbDpT10_ENKUlT_T0_E_clISt17integral_constantIbLb0EES1J_IbLb1EEEEDaS1F_S1G_EUlS1F_E_NS1_11comp_targetILNS1_3genE9ELNS1_11target_archE1100ELNS1_3gpuE3ELNS1_3repE0EEENS1_30default_config_static_selectorELNS0_4arch9wavefront6targetE0EEEvT1_,comdat
.Lfunc_end44:
	.size	_ZN7rocprim17ROCPRIM_400000_NS6detail17trampoline_kernelINS0_14default_configENS1_25partition_config_selectorILNS1_17partition_subalgoE6EdNS0_10empty_typeEbEEZZNS1_14partition_implILS5_6ELb0ES3_mN6thrust23THRUST_200600_302600_NS6detail15normal_iteratorINSA_10device_ptrIdEEEEPS6_SG_NS0_5tupleIJSF_S6_EEENSH_IJSG_SG_EEES6_PlJNSB_9not_fun_tINSB_10functional5actorINSM_9compositeIJNSM_27transparent_binary_operatorINSA_8equal_toIvEEEENSN_INSM_8argumentILj0EEEEENSM_5valueIdEEEEEEEEEEEE10hipError_tPvRmT3_T4_T5_T6_T7_T9_mT8_P12ihipStream_tbDpT10_ENKUlT_T0_E_clISt17integral_constantIbLb0EES1J_IbLb1EEEEDaS1F_S1G_EUlS1F_E_NS1_11comp_targetILNS1_3genE9ELNS1_11target_archE1100ELNS1_3gpuE3ELNS1_3repE0EEENS1_30default_config_static_selectorELNS0_4arch9wavefront6targetE0EEEvT1_, .Lfunc_end44-_ZN7rocprim17ROCPRIM_400000_NS6detail17trampoline_kernelINS0_14default_configENS1_25partition_config_selectorILNS1_17partition_subalgoE6EdNS0_10empty_typeEbEEZZNS1_14partition_implILS5_6ELb0ES3_mN6thrust23THRUST_200600_302600_NS6detail15normal_iteratorINSA_10device_ptrIdEEEEPS6_SG_NS0_5tupleIJSF_S6_EEENSH_IJSG_SG_EEES6_PlJNSB_9not_fun_tINSB_10functional5actorINSM_9compositeIJNSM_27transparent_binary_operatorINSA_8equal_toIvEEEENSN_INSM_8argumentILj0EEEEENSM_5valueIdEEEEEEEEEEEE10hipError_tPvRmT3_T4_T5_T6_T7_T9_mT8_P12ihipStream_tbDpT10_ENKUlT_T0_E_clISt17integral_constantIbLb0EES1J_IbLb1EEEEDaS1F_S1G_EUlS1F_E_NS1_11comp_targetILNS1_3genE9ELNS1_11target_archE1100ELNS1_3gpuE3ELNS1_3repE0EEENS1_30default_config_static_selectorELNS0_4arch9wavefront6targetE0EEEvT1_
                                        ; -- End function
	.set _ZN7rocprim17ROCPRIM_400000_NS6detail17trampoline_kernelINS0_14default_configENS1_25partition_config_selectorILNS1_17partition_subalgoE6EdNS0_10empty_typeEbEEZZNS1_14partition_implILS5_6ELb0ES3_mN6thrust23THRUST_200600_302600_NS6detail15normal_iteratorINSA_10device_ptrIdEEEEPS6_SG_NS0_5tupleIJSF_S6_EEENSH_IJSG_SG_EEES6_PlJNSB_9not_fun_tINSB_10functional5actorINSM_9compositeIJNSM_27transparent_binary_operatorINSA_8equal_toIvEEEENSN_INSM_8argumentILj0EEEEENSM_5valueIdEEEEEEEEEEEE10hipError_tPvRmT3_T4_T5_T6_T7_T9_mT8_P12ihipStream_tbDpT10_ENKUlT_T0_E_clISt17integral_constantIbLb0EES1J_IbLb1EEEEDaS1F_S1G_EUlS1F_E_NS1_11comp_targetILNS1_3genE9ELNS1_11target_archE1100ELNS1_3gpuE3ELNS1_3repE0EEENS1_30default_config_static_selectorELNS0_4arch9wavefront6targetE0EEEvT1_.num_vgpr, 0
	.set _ZN7rocprim17ROCPRIM_400000_NS6detail17trampoline_kernelINS0_14default_configENS1_25partition_config_selectorILNS1_17partition_subalgoE6EdNS0_10empty_typeEbEEZZNS1_14partition_implILS5_6ELb0ES3_mN6thrust23THRUST_200600_302600_NS6detail15normal_iteratorINSA_10device_ptrIdEEEEPS6_SG_NS0_5tupleIJSF_S6_EEENSH_IJSG_SG_EEES6_PlJNSB_9not_fun_tINSB_10functional5actorINSM_9compositeIJNSM_27transparent_binary_operatorINSA_8equal_toIvEEEENSN_INSM_8argumentILj0EEEEENSM_5valueIdEEEEEEEEEEEE10hipError_tPvRmT3_T4_T5_T6_T7_T9_mT8_P12ihipStream_tbDpT10_ENKUlT_T0_E_clISt17integral_constantIbLb0EES1J_IbLb1EEEEDaS1F_S1G_EUlS1F_E_NS1_11comp_targetILNS1_3genE9ELNS1_11target_archE1100ELNS1_3gpuE3ELNS1_3repE0EEENS1_30default_config_static_selectorELNS0_4arch9wavefront6targetE0EEEvT1_.num_agpr, 0
	.set _ZN7rocprim17ROCPRIM_400000_NS6detail17trampoline_kernelINS0_14default_configENS1_25partition_config_selectorILNS1_17partition_subalgoE6EdNS0_10empty_typeEbEEZZNS1_14partition_implILS5_6ELb0ES3_mN6thrust23THRUST_200600_302600_NS6detail15normal_iteratorINSA_10device_ptrIdEEEEPS6_SG_NS0_5tupleIJSF_S6_EEENSH_IJSG_SG_EEES6_PlJNSB_9not_fun_tINSB_10functional5actorINSM_9compositeIJNSM_27transparent_binary_operatorINSA_8equal_toIvEEEENSN_INSM_8argumentILj0EEEEENSM_5valueIdEEEEEEEEEEEE10hipError_tPvRmT3_T4_T5_T6_T7_T9_mT8_P12ihipStream_tbDpT10_ENKUlT_T0_E_clISt17integral_constantIbLb0EES1J_IbLb1EEEEDaS1F_S1G_EUlS1F_E_NS1_11comp_targetILNS1_3genE9ELNS1_11target_archE1100ELNS1_3gpuE3ELNS1_3repE0EEENS1_30default_config_static_selectorELNS0_4arch9wavefront6targetE0EEEvT1_.numbered_sgpr, 0
	.set _ZN7rocprim17ROCPRIM_400000_NS6detail17trampoline_kernelINS0_14default_configENS1_25partition_config_selectorILNS1_17partition_subalgoE6EdNS0_10empty_typeEbEEZZNS1_14partition_implILS5_6ELb0ES3_mN6thrust23THRUST_200600_302600_NS6detail15normal_iteratorINSA_10device_ptrIdEEEEPS6_SG_NS0_5tupleIJSF_S6_EEENSH_IJSG_SG_EEES6_PlJNSB_9not_fun_tINSB_10functional5actorINSM_9compositeIJNSM_27transparent_binary_operatorINSA_8equal_toIvEEEENSN_INSM_8argumentILj0EEEEENSM_5valueIdEEEEEEEEEEEE10hipError_tPvRmT3_T4_T5_T6_T7_T9_mT8_P12ihipStream_tbDpT10_ENKUlT_T0_E_clISt17integral_constantIbLb0EES1J_IbLb1EEEEDaS1F_S1G_EUlS1F_E_NS1_11comp_targetILNS1_3genE9ELNS1_11target_archE1100ELNS1_3gpuE3ELNS1_3repE0EEENS1_30default_config_static_selectorELNS0_4arch9wavefront6targetE0EEEvT1_.num_named_barrier, 0
	.set _ZN7rocprim17ROCPRIM_400000_NS6detail17trampoline_kernelINS0_14default_configENS1_25partition_config_selectorILNS1_17partition_subalgoE6EdNS0_10empty_typeEbEEZZNS1_14partition_implILS5_6ELb0ES3_mN6thrust23THRUST_200600_302600_NS6detail15normal_iteratorINSA_10device_ptrIdEEEEPS6_SG_NS0_5tupleIJSF_S6_EEENSH_IJSG_SG_EEES6_PlJNSB_9not_fun_tINSB_10functional5actorINSM_9compositeIJNSM_27transparent_binary_operatorINSA_8equal_toIvEEEENSN_INSM_8argumentILj0EEEEENSM_5valueIdEEEEEEEEEEEE10hipError_tPvRmT3_T4_T5_T6_T7_T9_mT8_P12ihipStream_tbDpT10_ENKUlT_T0_E_clISt17integral_constantIbLb0EES1J_IbLb1EEEEDaS1F_S1G_EUlS1F_E_NS1_11comp_targetILNS1_3genE9ELNS1_11target_archE1100ELNS1_3gpuE3ELNS1_3repE0EEENS1_30default_config_static_selectorELNS0_4arch9wavefront6targetE0EEEvT1_.private_seg_size, 0
	.set _ZN7rocprim17ROCPRIM_400000_NS6detail17trampoline_kernelINS0_14default_configENS1_25partition_config_selectorILNS1_17partition_subalgoE6EdNS0_10empty_typeEbEEZZNS1_14partition_implILS5_6ELb0ES3_mN6thrust23THRUST_200600_302600_NS6detail15normal_iteratorINSA_10device_ptrIdEEEEPS6_SG_NS0_5tupleIJSF_S6_EEENSH_IJSG_SG_EEES6_PlJNSB_9not_fun_tINSB_10functional5actorINSM_9compositeIJNSM_27transparent_binary_operatorINSA_8equal_toIvEEEENSN_INSM_8argumentILj0EEEEENSM_5valueIdEEEEEEEEEEEE10hipError_tPvRmT3_T4_T5_T6_T7_T9_mT8_P12ihipStream_tbDpT10_ENKUlT_T0_E_clISt17integral_constantIbLb0EES1J_IbLb1EEEEDaS1F_S1G_EUlS1F_E_NS1_11comp_targetILNS1_3genE9ELNS1_11target_archE1100ELNS1_3gpuE3ELNS1_3repE0EEENS1_30default_config_static_selectorELNS0_4arch9wavefront6targetE0EEEvT1_.uses_vcc, 0
	.set _ZN7rocprim17ROCPRIM_400000_NS6detail17trampoline_kernelINS0_14default_configENS1_25partition_config_selectorILNS1_17partition_subalgoE6EdNS0_10empty_typeEbEEZZNS1_14partition_implILS5_6ELb0ES3_mN6thrust23THRUST_200600_302600_NS6detail15normal_iteratorINSA_10device_ptrIdEEEEPS6_SG_NS0_5tupleIJSF_S6_EEENSH_IJSG_SG_EEES6_PlJNSB_9not_fun_tINSB_10functional5actorINSM_9compositeIJNSM_27transparent_binary_operatorINSA_8equal_toIvEEEENSN_INSM_8argumentILj0EEEEENSM_5valueIdEEEEEEEEEEEE10hipError_tPvRmT3_T4_T5_T6_T7_T9_mT8_P12ihipStream_tbDpT10_ENKUlT_T0_E_clISt17integral_constantIbLb0EES1J_IbLb1EEEEDaS1F_S1G_EUlS1F_E_NS1_11comp_targetILNS1_3genE9ELNS1_11target_archE1100ELNS1_3gpuE3ELNS1_3repE0EEENS1_30default_config_static_selectorELNS0_4arch9wavefront6targetE0EEEvT1_.uses_flat_scratch, 0
	.set _ZN7rocprim17ROCPRIM_400000_NS6detail17trampoline_kernelINS0_14default_configENS1_25partition_config_selectorILNS1_17partition_subalgoE6EdNS0_10empty_typeEbEEZZNS1_14partition_implILS5_6ELb0ES3_mN6thrust23THRUST_200600_302600_NS6detail15normal_iteratorINSA_10device_ptrIdEEEEPS6_SG_NS0_5tupleIJSF_S6_EEENSH_IJSG_SG_EEES6_PlJNSB_9not_fun_tINSB_10functional5actorINSM_9compositeIJNSM_27transparent_binary_operatorINSA_8equal_toIvEEEENSN_INSM_8argumentILj0EEEEENSM_5valueIdEEEEEEEEEEEE10hipError_tPvRmT3_T4_T5_T6_T7_T9_mT8_P12ihipStream_tbDpT10_ENKUlT_T0_E_clISt17integral_constantIbLb0EES1J_IbLb1EEEEDaS1F_S1G_EUlS1F_E_NS1_11comp_targetILNS1_3genE9ELNS1_11target_archE1100ELNS1_3gpuE3ELNS1_3repE0EEENS1_30default_config_static_selectorELNS0_4arch9wavefront6targetE0EEEvT1_.has_dyn_sized_stack, 0
	.set _ZN7rocprim17ROCPRIM_400000_NS6detail17trampoline_kernelINS0_14default_configENS1_25partition_config_selectorILNS1_17partition_subalgoE6EdNS0_10empty_typeEbEEZZNS1_14partition_implILS5_6ELb0ES3_mN6thrust23THRUST_200600_302600_NS6detail15normal_iteratorINSA_10device_ptrIdEEEEPS6_SG_NS0_5tupleIJSF_S6_EEENSH_IJSG_SG_EEES6_PlJNSB_9not_fun_tINSB_10functional5actorINSM_9compositeIJNSM_27transparent_binary_operatorINSA_8equal_toIvEEEENSN_INSM_8argumentILj0EEEEENSM_5valueIdEEEEEEEEEEEE10hipError_tPvRmT3_T4_T5_T6_T7_T9_mT8_P12ihipStream_tbDpT10_ENKUlT_T0_E_clISt17integral_constantIbLb0EES1J_IbLb1EEEEDaS1F_S1G_EUlS1F_E_NS1_11comp_targetILNS1_3genE9ELNS1_11target_archE1100ELNS1_3gpuE3ELNS1_3repE0EEENS1_30default_config_static_selectorELNS0_4arch9wavefront6targetE0EEEvT1_.has_recursion, 0
	.set _ZN7rocprim17ROCPRIM_400000_NS6detail17trampoline_kernelINS0_14default_configENS1_25partition_config_selectorILNS1_17partition_subalgoE6EdNS0_10empty_typeEbEEZZNS1_14partition_implILS5_6ELb0ES3_mN6thrust23THRUST_200600_302600_NS6detail15normal_iteratorINSA_10device_ptrIdEEEEPS6_SG_NS0_5tupleIJSF_S6_EEENSH_IJSG_SG_EEES6_PlJNSB_9not_fun_tINSB_10functional5actorINSM_9compositeIJNSM_27transparent_binary_operatorINSA_8equal_toIvEEEENSN_INSM_8argumentILj0EEEEENSM_5valueIdEEEEEEEEEEEE10hipError_tPvRmT3_T4_T5_T6_T7_T9_mT8_P12ihipStream_tbDpT10_ENKUlT_T0_E_clISt17integral_constantIbLb0EES1J_IbLb1EEEEDaS1F_S1G_EUlS1F_E_NS1_11comp_targetILNS1_3genE9ELNS1_11target_archE1100ELNS1_3gpuE3ELNS1_3repE0EEENS1_30default_config_static_selectorELNS0_4arch9wavefront6targetE0EEEvT1_.has_indirect_call, 0
	.section	.AMDGPU.csdata,"",@progbits
; Kernel info:
; codeLenInByte = 0
; TotalNumSgprs: 0
; NumVgprs: 0
; ScratchSize: 0
; MemoryBound: 0
; FloatMode: 240
; IeeeMode: 1
; LDSByteSize: 0 bytes/workgroup (compile time only)
; SGPRBlocks: 0
; VGPRBlocks: 0
; NumSGPRsForWavesPerEU: 1
; NumVGPRsForWavesPerEU: 1
; Occupancy: 16
; WaveLimiterHint : 0
; COMPUTE_PGM_RSRC2:SCRATCH_EN: 0
; COMPUTE_PGM_RSRC2:USER_SGPR: 2
; COMPUTE_PGM_RSRC2:TRAP_HANDLER: 0
; COMPUTE_PGM_RSRC2:TGID_X_EN: 1
; COMPUTE_PGM_RSRC2:TGID_Y_EN: 0
; COMPUTE_PGM_RSRC2:TGID_Z_EN: 0
; COMPUTE_PGM_RSRC2:TIDIG_COMP_CNT: 0
	.section	.text._ZN7rocprim17ROCPRIM_400000_NS6detail17trampoline_kernelINS0_14default_configENS1_25partition_config_selectorILNS1_17partition_subalgoE6EdNS0_10empty_typeEbEEZZNS1_14partition_implILS5_6ELb0ES3_mN6thrust23THRUST_200600_302600_NS6detail15normal_iteratorINSA_10device_ptrIdEEEEPS6_SG_NS0_5tupleIJSF_S6_EEENSH_IJSG_SG_EEES6_PlJNSB_9not_fun_tINSB_10functional5actorINSM_9compositeIJNSM_27transparent_binary_operatorINSA_8equal_toIvEEEENSN_INSM_8argumentILj0EEEEENSM_5valueIdEEEEEEEEEEEE10hipError_tPvRmT3_T4_T5_T6_T7_T9_mT8_P12ihipStream_tbDpT10_ENKUlT_T0_E_clISt17integral_constantIbLb0EES1J_IbLb1EEEEDaS1F_S1G_EUlS1F_E_NS1_11comp_targetILNS1_3genE8ELNS1_11target_archE1030ELNS1_3gpuE2ELNS1_3repE0EEENS1_30default_config_static_selectorELNS0_4arch9wavefront6targetE0EEEvT1_,"axG",@progbits,_ZN7rocprim17ROCPRIM_400000_NS6detail17trampoline_kernelINS0_14default_configENS1_25partition_config_selectorILNS1_17partition_subalgoE6EdNS0_10empty_typeEbEEZZNS1_14partition_implILS5_6ELb0ES3_mN6thrust23THRUST_200600_302600_NS6detail15normal_iteratorINSA_10device_ptrIdEEEEPS6_SG_NS0_5tupleIJSF_S6_EEENSH_IJSG_SG_EEES6_PlJNSB_9not_fun_tINSB_10functional5actorINSM_9compositeIJNSM_27transparent_binary_operatorINSA_8equal_toIvEEEENSN_INSM_8argumentILj0EEEEENSM_5valueIdEEEEEEEEEEEE10hipError_tPvRmT3_T4_T5_T6_T7_T9_mT8_P12ihipStream_tbDpT10_ENKUlT_T0_E_clISt17integral_constantIbLb0EES1J_IbLb1EEEEDaS1F_S1G_EUlS1F_E_NS1_11comp_targetILNS1_3genE8ELNS1_11target_archE1030ELNS1_3gpuE2ELNS1_3repE0EEENS1_30default_config_static_selectorELNS0_4arch9wavefront6targetE0EEEvT1_,comdat
	.protected	_ZN7rocprim17ROCPRIM_400000_NS6detail17trampoline_kernelINS0_14default_configENS1_25partition_config_selectorILNS1_17partition_subalgoE6EdNS0_10empty_typeEbEEZZNS1_14partition_implILS5_6ELb0ES3_mN6thrust23THRUST_200600_302600_NS6detail15normal_iteratorINSA_10device_ptrIdEEEEPS6_SG_NS0_5tupleIJSF_S6_EEENSH_IJSG_SG_EEES6_PlJNSB_9not_fun_tINSB_10functional5actorINSM_9compositeIJNSM_27transparent_binary_operatorINSA_8equal_toIvEEEENSN_INSM_8argumentILj0EEEEENSM_5valueIdEEEEEEEEEEEE10hipError_tPvRmT3_T4_T5_T6_T7_T9_mT8_P12ihipStream_tbDpT10_ENKUlT_T0_E_clISt17integral_constantIbLb0EES1J_IbLb1EEEEDaS1F_S1G_EUlS1F_E_NS1_11comp_targetILNS1_3genE8ELNS1_11target_archE1030ELNS1_3gpuE2ELNS1_3repE0EEENS1_30default_config_static_selectorELNS0_4arch9wavefront6targetE0EEEvT1_ ; -- Begin function _ZN7rocprim17ROCPRIM_400000_NS6detail17trampoline_kernelINS0_14default_configENS1_25partition_config_selectorILNS1_17partition_subalgoE6EdNS0_10empty_typeEbEEZZNS1_14partition_implILS5_6ELb0ES3_mN6thrust23THRUST_200600_302600_NS6detail15normal_iteratorINSA_10device_ptrIdEEEEPS6_SG_NS0_5tupleIJSF_S6_EEENSH_IJSG_SG_EEES6_PlJNSB_9not_fun_tINSB_10functional5actorINSM_9compositeIJNSM_27transparent_binary_operatorINSA_8equal_toIvEEEENSN_INSM_8argumentILj0EEEEENSM_5valueIdEEEEEEEEEEEE10hipError_tPvRmT3_T4_T5_T6_T7_T9_mT8_P12ihipStream_tbDpT10_ENKUlT_T0_E_clISt17integral_constantIbLb0EES1J_IbLb1EEEEDaS1F_S1G_EUlS1F_E_NS1_11comp_targetILNS1_3genE8ELNS1_11target_archE1030ELNS1_3gpuE2ELNS1_3repE0EEENS1_30default_config_static_selectorELNS0_4arch9wavefront6targetE0EEEvT1_
	.globl	_ZN7rocprim17ROCPRIM_400000_NS6detail17trampoline_kernelINS0_14default_configENS1_25partition_config_selectorILNS1_17partition_subalgoE6EdNS0_10empty_typeEbEEZZNS1_14partition_implILS5_6ELb0ES3_mN6thrust23THRUST_200600_302600_NS6detail15normal_iteratorINSA_10device_ptrIdEEEEPS6_SG_NS0_5tupleIJSF_S6_EEENSH_IJSG_SG_EEES6_PlJNSB_9not_fun_tINSB_10functional5actorINSM_9compositeIJNSM_27transparent_binary_operatorINSA_8equal_toIvEEEENSN_INSM_8argumentILj0EEEEENSM_5valueIdEEEEEEEEEEEE10hipError_tPvRmT3_T4_T5_T6_T7_T9_mT8_P12ihipStream_tbDpT10_ENKUlT_T0_E_clISt17integral_constantIbLb0EES1J_IbLb1EEEEDaS1F_S1G_EUlS1F_E_NS1_11comp_targetILNS1_3genE8ELNS1_11target_archE1030ELNS1_3gpuE2ELNS1_3repE0EEENS1_30default_config_static_selectorELNS0_4arch9wavefront6targetE0EEEvT1_
	.p2align	8
	.type	_ZN7rocprim17ROCPRIM_400000_NS6detail17trampoline_kernelINS0_14default_configENS1_25partition_config_selectorILNS1_17partition_subalgoE6EdNS0_10empty_typeEbEEZZNS1_14partition_implILS5_6ELb0ES3_mN6thrust23THRUST_200600_302600_NS6detail15normal_iteratorINSA_10device_ptrIdEEEEPS6_SG_NS0_5tupleIJSF_S6_EEENSH_IJSG_SG_EEES6_PlJNSB_9not_fun_tINSB_10functional5actorINSM_9compositeIJNSM_27transparent_binary_operatorINSA_8equal_toIvEEEENSN_INSM_8argumentILj0EEEEENSM_5valueIdEEEEEEEEEEEE10hipError_tPvRmT3_T4_T5_T6_T7_T9_mT8_P12ihipStream_tbDpT10_ENKUlT_T0_E_clISt17integral_constantIbLb0EES1J_IbLb1EEEEDaS1F_S1G_EUlS1F_E_NS1_11comp_targetILNS1_3genE8ELNS1_11target_archE1030ELNS1_3gpuE2ELNS1_3repE0EEENS1_30default_config_static_selectorELNS0_4arch9wavefront6targetE0EEEvT1_,@function
_ZN7rocprim17ROCPRIM_400000_NS6detail17trampoline_kernelINS0_14default_configENS1_25partition_config_selectorILNS1_17partition_subalgoE6EdNS0_10empty_typeEbEEZZNS1_14partition_implILS5_6ELb0ES3_mN6thrust23THRUST_200600_302600_NS6detail15normal_iteratorINSA_10device_ptrIdEEEEPS6_SG_NS0_5tupleIJSF_S6_EEENSH_IJSG_SG_EEES6_PlJNSB_9not_fun_tINSB_10functional5actorINSM_9compositeIJNSM_27transparent_binary_operatorINSA_8equal_toIvEEEENSN_INSM_8argumentILj0EEEEENSM_5valueIdEEEEEEEEEEEE10hipError_tPvRmT3_T4_T5_T6_T7_T9_mT8_P12ihipStream_tbDpT10_ENKUlT_T0_E_clISt17integral_constantIbLb0EES1J_IbLb1EEEEDaS1F_S1G_EUlS1F_E_NS1_11comp_targetILNS1_3genE8ELNS1_11target_archE1030ELNS1_3gpuE2ELNS1_3repE0EEENS1_30default_config_static_selectorELNS0_4arch9wavefront6targetE0EEEvT1_: ; @_ZN7rocprim17ROCPRIM_400000_NS6detail17trampoline_kernelINS0_14default_configENS1_25partition_config_selectorILNS1_17partition_subalgoE6EdNS0_10empty_typeEbEEZZNS1_14partition_implILS5_6ELb0ES3_mN6thrust23THRUST_200600_302600_NS6detail15normal_iteratorINSA_10device_ptrIdEEEEPS6_SG_NS0_5tupleIJSF_S6_EEENSH_IJSG_SG_EEES6_PlJNSB_9not_fun_tINSB_10functional5actorINSM_9compositeIJNSM_27transparent_binary_operatorINSA_8equal_toIvEEEENSN_INSM_8argumentILj0EEEEENSM_5valueIdEEEEEEEEEEEE10hipError_tPvRmT3_T4_T5_T6_T7_T9_mT8_P12ihipStream_tbDpT10_ENKUlT_T0_E_clISt17integral_constantIbLb0EES1J_IbLb1EEEEDaS1F_S1G_EUlS1F_E_NS1_11comp_targetILNS1_3genE8ELNS1_11target_archE1030ELNS1_3gpuE2ELNS1_3repE0EEENS1_30default_config_static_selectorELNS0_4arch9wavefront6targetE0EEEvT1_
; %bb.0:
	.section	.rodata,"a",@progbits
	.p2align	6, 0x0
	.amdhsa_kernel _ZN7rocprim17ROCPRIM_400000_NS6detail17trampoline_kernelINS0_14default_configENS1_25partition_config_selectorILNS1_17partition_subalgoE6EdNS0_10empty_typeEbEEZZNS1_14partition_implILS5_6ELb0ES3_mN6thrust23THRUST_200600_302600_NS6detail15normal_iteratorINSA_10device_ptrIdEEEEPS6_SG_NS0_5tupleIJSF_S6_EEENSH_IJSG_SG_EEES6_PlJNSB_9not_fun_tINSB_10functional5actorINSM_9compositeIJNSM_27transparent_binary_operatorINSA_8equal_toIvEEEENSN_INSM_8argumentILj0EEEEENSM_5valueIdEEEEEEEEEEEE10hipError_tPvRmT3_T4_T5_T6_T7_T9_mT8_P12ihipStream_tbDpT10_ENKUlT_T0_E_clISt17integral_constantIbLb0EES1J_IbLb1EEEEDaS1F_S1G_EUlS1F_E_NS1_11comp_targetILNS1_3genE8ELNS1_11target_archE1030ELNS1_3gpuE2ELNS1_3repE0EEENS1_30default_config_static_selectorELNS0_4arch9wavefront6targetE0EEEvT1_
		.amdhsa_group_segment_fixed_size 0
		.amdhsa_private_segment_fixed_size 0
		.amdhsa_kernarg_size 136
		.amdhsa_user_sgpr_count 2
		.amdhsa_user_sgpr_dispatch_ptr 0
		.amdhsa_user_sgpr_queue_ptr 0
		.amdhsa_user_sgpr_kernarg_segment_ptr 1
		.amdhsa_user_sgpr_dispatch_id 0
		.amdhsa_user_sgpr_private_segment_size 0
		.amdhsa_wavefront_size32 1
		.amdhsa_uses_dynamic_stack 0
		.amdhsa_enable_private_segment 0
		.amdhsa_system_sgpr_workgroup_id_x 1
		.amdhsa_system_sgpr_workgroup_id_y 0
		.amdhsa_system_sgpr_workgroup_id_z 0
		.amdhsa_system_sgpr_workgroup_info 0
		.amdhsa_system_vgpr_workitem_id 0
		.amdhsa_next_free_vgpr 1
		.amdhsa_next_free_sgpr 1
		.amdhsa_reserve_vcc 0
		.amdhsa_float_round_mode_32 0
		.amdhsa_float_round_mode_16_64 0
		.amdhsa_float_denorm_mode_32 3
		.amdhsa_float_denorm_mode_16_64 3
		.amdhsa_fp16_overflow 0
		.amdhsa_workgroup_processor_mode 1
		.amdhsa_memory_ordered 1
		.amdhsa_forward_progress 1
		.amdhsa_inst_pref_size 0
		.amdhsa_round_robin_scheduling 0
		.amdhsa_exception_fp_ieee_invalid_op 0
		.amdhsa_exception_fp_denorm_src 0
		.amdhsa_exception_fp_ieee_div_zero 0
		.amdhsa_exception_fp_ieee_overflow 0
		.amdhsa_exception_fp_ieee_underflow 0
		.amdhsa_exception_fp_ieee_inexact 0
		.amdhsa_exception_int_div_zero 0
	.end_amdhsa_kernel
	.section	.text._ZN7rocprim17ROCPRIM_400000_NS6detail17trampoline_kernelINS0_14default_configENS1_25partition_config_selectorILNS1_17partition_subalgoE6EdNS0_10empty_typeEbEEZZNS1_14partition_implILS5_6ELb0ES3_mN6thrust23THRUST_200600_302600_NS6detail15normal_iteratorINSA_10device_ptrIdEEEEPS6_SG_NS0_5tupleIJSF_S6_EEENSH_IJSG_SG_EEES6_PlJNSB_9not_fun_tINSB_10functional5actorINSM_9compositeIJNSM_27transparent_binary_operatorINSA_8equal_toIvEEEENSN_INSM_8argumentILj0EEEEENSM_5valueIdEEEEEEEEEEEE10hipError_tPvRmT3_T4_T5_T6_T7_T9_mT8_P12ihipStream_tbDpT10_ENKUlT_T0_E_clISt17integral_constantIbLb0EES1J_IbLb1EEEEDaS1F_S1G_EUlS1F_E_NS1_11comp_targetILNS1_3genE8ELNS1_11target_archE1030ELNS1_3gpuE2ELNS1_3repE0EEENS1_30default_config_static_selectorELNS0_4arch9wavefront6targetE0EEEvT1_,"axG",@progbits,_ZN7rocprim17ROCPRIM_400000_NS6detail17trampoline_kernelINS0_14default_configENS1_25partition_config_selectorILNS1_17partition_subalgoE6EdNS0_10empty_typeEbEEZZNS1_14partition_implILS5_6ELb0ES3_mN6thrust23THRUST_200600_302600_NS6detail15normal_iteratorINSA_10device_ptrIdEEEEPS6_SG_NS0_5tupleIJSF_S6_EEENSH_IJSG_SG_EEES6_PlJNSB_9not_fun_tINSB_10functional5actorINSM_9compositeIJNSM_27transparent_binary_operatorINSA_8equal_toIvEEEENSN_INSM_8argumentILj0EEEEENSM_5valueIdEEEEEEEEEEEE10hipError_tPvRmT3_T4_T5_T6_T7_T9_mT8_P12ihipStream_tbDpT10_ENKUlT_T0_E_clISt17integral_constantIbLb0EES1J_IbLb1EEEEDaS1F_S1G_EUlS1F_E_NS1_11comp_targetILNS1_3genE8ELNS1_11target_archE1030ELNS1_3gpuE2ELNS1_3repE0EEENS1_30default_config_static_selectorELNS0_4arch9wavefront6targetE0EEEvT1_,comdat
.Lfunc_end45:
	.size	_ZN7rocprim17ROCPRIM_400000_NS6detail17trampoline_kernelINS0_14default_configENS1_25partition_config_selectorILNS1_17partition_subalgoE6EdNS0_10empty_typeEbEEZZNS1_14partition_implILS5_6ELb0ES3_mN6thrust23THRUST_200600_302600_NS6detail15normal_iteratorINSA_10device_ptrIdEEEEPS6_SG_NS0_5tupleIJSF_S6_EEENSH_IJSG_SG_EEES6_PlJNSB_9not_fun_tINSB_10functional5actorINSM_9compositeIJNSM_27transparent_binary_operatorINSA_8equal_toIvEEEENSN_INSM_8argumentILj0EEEEENSM_5valueIdEEEEEEEEEEEE10hipError_tPvRmT3_T4_T5_T6_T7_T9_mT8_P12ihipStream_tbDpT10_ENKUlT_T0_E_clISt17integral_constantIbLb0EES1J_IbLb1EEEEDaS1F_S1G_EUlS1F_E_NS1_11comp_targetILNS1_3genE8ELNS1_11target_archE1030ELNS1_3gpuE2ELNS1_3repE0EEENS1_30default_config_static_selectorELNS0_4arch9wavefront6targetE0EEEvT1_, .Lfunc_end45-_ZN7rocprim17ROCPRIM_400000_NS6detail17trampoline_kernelINS0_14default_configENS1_25partition_config_selectorILNS1_17partition_subalgoE6EdNS0_10empty_typeEbEEZZNS1_14partition_implILS5_6ELb0ES3_mN6thrust23THRUST_200600_302600_NS6detail15normal_iteratorINSA_10device_ptrIdEEEEPS6_SG_NS0_5tupleIJSF_S6_EEENSH_IJSG_SG_EEES6_PlJNSB_9not_fun_tINSB_10functional5actorINSM_9compositeIJNSM_27transparent_binary_operatorINSA_8equal_toIvEEEENSN_INSM_8argumentILj0EEEEENSM_5valueIdEEEEEEEEEEEE10hipError_tPvRmT3_T4_T5_T6_T7_T9_mT8_P12ihipStream_tbDpT10_ENKUlT_T0_E_clISt17integral_constantIbLb0EES1J_IbLb1EEEEDaS1F_S1G_EUlS1F_E_NS1_11comp_targetILNS1_3genE8ELNS1_11target_archE1030ELNS1_3gpuE2ELNS1_3repE0EEENS1_30default_config_static_selectorELNS0_4arch9wavefront6targetE0EEEvT1_
                                        ; -- End function
	.set _ZN7rocprim17ROCPRIM_400000_NS6detail17trampoline_kernelINS0_14default_configENS1_25partition_config_selectorILNS1_17partition_subalgoE6EdNS0_10empty_typeEbEEZZNS1_14partition_implILS5_6ELb0ES3_mN6thrust23THRUST_200600_302600_NS6detail15normal_iteratorINSA_10device_ptrIdEEEEPS6_SG_NS0_5tupleIJSF_S6_EEENSH_IJSG_SG_EEES6_PlJNSB_9not_fun_tINSB_10functional5actorINSM_9compositeIJNSM_27transparent_binary_operatorINSA_8equal_toIvEEEENSN_INSM_8argumentILj0EEEEENSM_5valueIdEEEEEEEEEEEE10hipError_tPvRmT3_T4_T5_T6_T7_T9_mT8_P12ihipStream_tbDpT10_ENKUlT_T0_E_clISt17integral_constantIbLb0EES1J_IbLb1EEEEDaS1F_S1G_EUlS1F_E_NS1_11comp_targetILNS1_3genE8ELNS1_11target_archE1030ELNS1_3gpuE2ELNS1_3repE0EEENS1_30default_config_static_selectorELNS0_4arch9wavefront6targetE0EEEvT1_.num_vgpr, 0
	.set _ZN7rocprim17ROCPRIM_400000_NS6detail17trampoline_kernelINS0_14default_configENS1_25partition_config_selectorILNS1_17partition_subalgoE6EdNS0_10empty_typeEbEEZZNS1_14partition_implILS5_6ELb0ES3_mN6thrust23THRUST_200600_302600_NS6detail15normal_iteratorINSA_10device_ptrIdEEEEPS6_SG_NS0_5tupleIJSF_S6_EEENSH_IJSG_SG_EEES6_PlJNSB_9not_fun_tINSB_10functional5actorINSM_9compositeIJNSM_27transparent_binary_operatorINSA_8equal_toIvEEEENSN_INSM_8argumentILj0EEEEENSM_5valueIdEEEEEEEEEEEE10hipError_tPvRmT3_T4_T5_T6_T7_T9_mT8_P12ihipStream_tbDpT10_ENKUlT_T0_E_clISt17integral_constantIbLb0EES1J_IbLb1EEEEDaS1F_S1G_EUlS1F_E_NS1_11comp_targetILNS1_3genE8ELNS1_11target_archE1030ELNS1_3gpuE2ELNS1_3repE0EEENS1_30default_config_static_selectorELNS0_4arch9wavefront6targetE0EEEvT1_.num_agpr, 0
	.set _ZN7rocprim17ROCPRIM_400000_NS6detail17trampoline_kernelINS0_14default_configENS1_25partition_config_selectorILNS1_17partition_subalgoE6EdNS0_10empty_typeEbEEZZNS1_14partition_implILS5_6ELb0ES3_mN6thrust23THRUST_200600_302600_NS6detail15normal_iteratorINSA_10device_ptrIdEEEEPS6_SG_NS0_5tupleIJSF_S6_EEENSH_IJSG_SG_EEES6_PlJNSB_9not_fun_tINSB_10functional5actorINSM_9compositeIJNSM_27transparent_binary_operatorINSA_8equal_toIvEEEENSN_INSM_8argumentILj0EEEEENSM_5valueIdEEEEEEEEEEEE10hipError_tPvRmT3_T4_T5_T6_T7_T9_mT8_P12ihipStream_tbDpT10_ENKUlT_T0_E_clISt17integral_constantIbLb0EES1J_IbLb1EEEEDaS1F_S1G_EUlS1F_E_NS1_11comp_targetILNS1_3genE8ELNS1_11target_archE1030ELNS1_3gpuE2ELNS1_3repE0EEENS1_30default_config_static_selectorELNS0_4arch9wavefront6targetE0EEEvT1_.numbered_sgpr, 0
	.set _ZN7rocprim17ROCPRIM_400000_NS6detail17trampoline_kernelINS0_14default_configENS1_25partition_config_selectorILNS1_17partition_subalgoE6EdNS0_10empty_typeEbEEZZNS1_14partition_implILS5_6ELb0ES3_mN6thrust23THRUST_200600_302600_NS6detail15normal_iteratorINSA_10device_ptrIdEEEEPS6_SG_NS0_5tupleIJSF_S6_EEENSH_IJSG_SG_EEES6_PlJNSB_9not_fun_tINSB_10functional5actorINSM_9compositeIJNSM_27transparent_binary_operatorINSA_8equal_toIvEEEENSN_INSM_8argumentILj0EEEEENSM_5valueIdEEEEEEEEEEEE10hipError_tPvRmT3_T4_T5_T6_T7_T9_mT8_P12ihipStream_tbDpT10_ENKUlT_T0_E_clISt17integral_constantIbLb0EES1J_IbLb1EEEEDaS1F_S1G_EUlS1F_E_NS1_11comp_targetILNS1_3genE8ELNS1_11target_archE1030ELNS1_3gpuE2ELNS1_3repE0EEENS1_30default_config_static_selectorELNS0_4arch9wavefront6targetE0EEEvT1_.num_named_barrier, 0
	.set _ZN7rocprim17ROCPRIM_400000_NS6detail17trampoline_kernelINS0_14default_configENS1_25partition_config_selectorILNS1_17partition_subalgoE6EdNS0_10empty_typeEbEEZZNS1_14partition_implILS5_6ELb0ES3_mN6thrust23THRUST_200600_302600_NS6detail15normal_iteratorINSA_10device_ptrIdEEEEPS6_SG_NS0_5tupleIJSF_S6_EEENSH_IJSG_SG_EEES6_PlJNSB_9not_fun_tINSB_10functional5actorINSM_9compositeIJNSM_27transparent_binary_operatorINSA_8equal_toIvEEEENSN_INSM_8argumentILj0EEEEENSM_5valueIdEEEEEEEEEEEE10hipError_tPvRmT3_T4_T5_T6_T7_T9_mT8_P12ihipStream_tbDpT10_ENKUlT_T0_E_clISt17integral_constantIbLb0EES1J_IbLb1EEEEDaS1F_S1G_EUlS1F_E_NS1_11comp_targetILNS1_3genE8ELNS1_11target_archE1030ELNS1_3gpuE2ELNS1_3repE0EEENS1_30default_config_static_selectorELNS0_4arch9wavefront6targetE0EEEvT1_.private_seg_size, 0
	.set _ZN7rocprim17ROCPRIM_400000_NS6detail17trampoline_kernelINS0_14default_configENS1_25partition_config_selectorILNS1_17partition_subalgoE6EdNS0_10empty_typeEbEEZZNS1_14partition_implILS5_6ELb0ES3_mN6thrust23THRUST_200600_302600_NS6detail15normal_iteratorINSA_10device_ptrIdEEEEPS6_SG_NS0_5tupleIJSF_S6_EEENSH_IJSG_SG_EEES6_PlJNSB_9not_fun_tINSB_10functional5actorINSM_9compositeIJNSM_27transparent_binary_operatorINSA_8equal_toIvEEEENSN_INSM_8argumentILj0EEEEENSM_5valueIdEEEEEEEEEEEE10hipError_tPvRmT3_T4_T5_T6_T7_T9_mT8_P12ihipStream_tbDpT10_ENKUlT_T0_E_clISt17integral_constantIbLb0EES1J_IbLb1EEEEDaS1F_S1G_EUlS1F_E_NS1_11comp_targetILNS1_3genE8ELNS1_11target_archE1030ELNS1_3gpuE2ELNS1_3repE0EEENS1_30default_config_static_selectorELNS0_4arch9wavefront6targetE0EEEvT1_.uses_vcc, 0
	.set _ZN7rocprim17ROCPRIM_400000_NS6detail17trampoline_kernelINS0_14default_configENS1_25partition_config_selectorILNS1_17partition_subalgoE6EdNS0_10empty_typeEbEEZZNS1_14partition_implILS5_6ELb0ES3_mN6thrust23THRUST_200600_302600_NS6detail15normal_iteratorINSA_10device_ptrIdEEEEPS6_SG_NS0_5tupleIJSF_S6_EEENSH_IJSG_SG_EEES6_PlJNSB_9not_fun_tINSB_10functional5actorINSM_9compositeIJNSM_27transparent_binary_operatorINSA_8equal_toIvEEEENSN_INSM_8argumentILj0EEEEENSM_5valueIdEEEEEEEEEEEE10hipError_tPvRmT3_T4_T5_T6_T7_T9_mT8_P12ihipStream_tbDpT10_ENKUlT_T0_E_clISt17integral_constantIbLb0EES1J_IbLb1EEEEDaS1F_S1G_EUlS1F_E_NS1_11comp_targetILNS1_3genE8ELNS1_11target_archE1030ELNS1_3gpuE2ELNS1_3repE0EEENS1_30default_config_static_selectorELNS0_4arch9wavefront6targetE0EEEvT1_.uses_flat_scratch, 0
	.set _ZN7rocprim17ROCPRIM_400000_NS6detail17trampoline_kernelINS0_14default_configENS1_25partition_config_selectorILNS1_17partition_subalgoE6EdNS0_10empty_typeEbEEZZNS1_14partition_implILS5_6ELb0ES3_mN6thrust23THRUST_200600_302600_NS6detail15normal_iteratorINSA_10device_ptrIdEEEEPS6_SG_NS0_5tupleIJSF_S6_EEENSH_IJSG_SG_EEES6_PlJNSB_9not_fun_tINSB_10functional5actorINSM_9compositeIJNSM_27transparent_binary_operatorINSA_8equal_toIvEEEENSN_INSM_8argumentILj0EEEEENSM_5valueIdEEEEEEEEEEEE10hipError_tPvRmT3_T4_T5_T6_T7_T9_mT8_P12ihipStream_tbDpT10_ENKUlT_T0_E_clISt17integral_constantIbLb0EES1J_IbLb1EEEEDaS1F_S1G_EUlS1F_E_NS1_11comp_targetILNS1_3genE8ELNS1_11target_archE1030ELNS1_3gpuE2ELNS1_3repE0EEENS1_30default_config_static_selectorELNS0_4arch9wavefront6targetE0EEEvT1_.has_dyn_sized_stack, 0
	.set _ZN7rocprim17ROCPRIM_400000_NS6detail17trampoline_kernelINS0_14default_configENS1_25partition_config_selectorILNS1_17partition_subalgoE6EdNS0_10empty_typeEbEEZZNS1_14partition_implILS5_6ELb0ES3_mN6thrust23THRUST_200600_302600_NS6detail15normal_iteratorINSA_10device_ptrIdEEEEPS6_SG_NS0_5tupleIJSF_S6_EEENSH_IJSG_SG_EEES6_PlJNSB_9not_fun_tINSB_10functional5actorINSM_9compositeIJNSM_27transparent_binary_operatorINSA_8equal_toIvEEEENSN_INSM_8argumentILj0EEEEENSM_5valueIdEEEEEEEEEEEE10hipError_tPvRmT3_T4_T5_T6_T7_T9_mT8_P12ihipStream_tbDpT10_ENKUlT_T0_E_clISt17integral_constantIbLb0EES1J_IbLb1EEEEDaS1F_S1G_EUlS1F_E_NS1_11comp_targetILNS1_3genE8ELNS1_11target_archE1030ELNS1_3gpuE2ELNS1_3repE0EEENS1_30default_config_static_selectorELNS0_4arch9wavefront6targetE0EEEvT1_.has_recursion, 0
	.set _ZN7rocprim17ROCPRIM_400000_NS6detail17trampoline_kernelINS0_14default_configENS1_25partition_config_selectorILNS1_17partition_subalgoE6EdNS0_10empty_typeEbEEZZNS1_14partition_implILS5_6ELb0ES3_mN6thrust23THRUST_200600_302600_NS6detail15normal_iteratorINSA_10device_ptrIdEEEEPS6_SG_NS0_5tupleIJSF_S6_EEENSH_IJSG_SG_EEES6_PlJNSB_9not_fun_tINSB_10functional5actorINSM_9compositeIJNSM_27transparent_binary_operatorINSA_8equal_toIvEEEENSN_INSM_8argumentILj0EEEEENSM_5valueIdEEEEEEEEEEEE10hipError_tPvRmT3_T4_T5_T6_T7_T9_mT8_P12ihipStream_tbDpT10_ENKUlT_T0_E_clISt17integral_constantIbLb0EES1J_IbLb1EEEEDaS1F_S1G_EUlS1F_E_NS1_11comp_targetILNS1_3genE8ELNS1_11target_archE1030ELNS1_3gpuE2ELNS1_3repE0EEENS1_30default_config_static_selectorELNS0_4arch9wavefront6targetE0EEEvT1_.has_indirect_call, 0
	.section	.AMDGPU.csdata,"",@progbits
; Kernel info:
; codeLenInByte = 0
; TotalNumSgprs: 0
; NumVgprs: 0
; ScratchSize: 0
; MemoryBound: 0
; FloatMode: 240
; IeeeMode: 1
; LDSByteSize: 0 bytes/workgroup (compile time only)
; SGPRBlocks: 0
; VGPRBlocks: 0
; NumSGPRsForWavesPerEU: 1
; NumVGPRsForWavesPerEU: 1
; Occupancy: 16
; WaveLimiterHint : 0
; COMPUTE_PGM_RSRC2:SCRATCH_EN: 0
; COMPUTE_PGM_RSRC2:USER_SGPR: 2
; COMPUTE_PGM_RSRC2:TRAP_HANDLER: 0
; COMPUTE_PGM_RSRC2:TGID_X_EN: 1
; COMPUTE_PGM_RSRC2:TGID_Y_EN: 0
; COMPUTE_PGM_RSRC2:TGID_Z_EN: 0
; COMPUTE_PGM_RSRC2:TIDIG_COMP_CNT: 0
	.section	.text._ZN6thrust23THRUST_200600_302600_NS11hip_rocprim14__parallel_for6kernelILj256ENS1_20__uninitialized_fill7functorINS0_10device_ptrIfEEfEEmLj1EEEvT0_T1_SA_,"axG",@progbits,_ZN6thrust23THRUST_200600_302600_NS11hip_rocprim14__parallel_for6kernelILj256ENS1_20__uninitialized_fill7functorINS0_10device_ptrIfEEfEEmLj1EEEvT0_T1_SA_,comdat
	.protected	_ZN6thrust23THRUST_200600_302600_NS11hip_rocprim14__parallel_for6kernelILj256ENS1_20__uninitialized_fill7functorINS0_10device_ptrIfEEfEEmLj1EEEvT0_T1_SA_ ; -- Begin function _ZN6thrust23THRUST_200600_302600_NS11hip_rocprim14__parallel_for6kernelILj256ENS1_20__uninitialized_fill7functorINS0_10device_ptrIfEEfEEmLj1EEEvT0_T1_SA_
	.globl	_ZN6thrust23THRUST_200600_302600_NS11hip_rocprim14__parallel_for6kernelILj256ENS1_20__uninitialized_fill7functorINS0_10device_ptrIfEEfEEmLj1EEEvT0_T1_SA_
	.p2align	8
	.type	_ZN6thrust23THRUST_200600_302600_NS11hip_rocprim14__parallel_for6kernelILj256ENS1_20__uninitialized_fill7functorINS0_10device_ptrIfEEfEEmLj1EEEvT0_T1_SA_,@function
_ZN6thrust23THRUST_200600_302600_NS11hip_rocprim14__parallel_for6kernelILj256ENS1_20__uninitialized_fill7functorINS0_10device_ptrIfEEfEEmLj1EEEvT0_T1_SA_: ; @_ZN6thrust23THRUST_200600_302600_NS11hip_rocprim14__parallel_for6kernelILj256ENS1_20__uninitialized_fill7functorINS0_10device_ptrIfEEfEEmLj1EEEvT0_T1_SA_
; %bb.0:
	s_clause 0x1
	s_load_b128 s[8:11], s[0:1], 0x10
	s_load_b96 s[0:2], s[0:1], 0x0
	s_lshl_b32 s4, ttmp9, 8
	s_mov_b32 s5, 0
	s_wait_kmcnt 0x0
	s_add_nc_u64 s[4:5], s[10:11], s[4:5]
	s_delay_alu instid0(SALU_CYCLE_1) | instskip(NEXT) | instid1(SALU_CYCLE_1)
	s_sub_nc_u64 s[6:7], s[8:9], s[4:5]
	v_cmp_lt_u64_e64 s3, 0xff, s[6:7]
	s_and_b32 vcc_lo, exec_lo, s3
	s_mov_b32 s3, -1
	s_cbranch_vccz .LBB46_3
; %bb.1:
	s_and_not1_b32 vcc_lo, exec_lo, s3
	s_cbranch_vccz .LBB46_6
.LBB46_2:
	s_endpgm
.LBB46_3:
	s_mov_b32 s3, exec_lo
	v_cmpx_gt_u32_e64 s6, v0
	s_cbranch_execz .LBB46_5
; %bb.4:
	v_lshlrev_b32_e32 v1, 2, v0
	s_lshl_b64 s[6:7], s[4:5], 2
	v_mov_b32_e32 v3, s2
	s_wait_alu 0xfffe
	s_add_nc_u64 s[6:7], s[0:1], s[6:7]
	s_wait_alu 0xfffe
	v_add_co_u32 v1, s6, s6, v1
	s_wait_alu 0xf1ff
	v_add_co_ci_u32_e64 v2, null, s7, 0, s6
	flat_store_b32 v[1:2], v3
.LBB46_5:
	s_or_b32 exec_lo, exec_lo, s3
	s_cbranch_execnz .LBB46_2
.LBB46_6:
	v_lshlrev_b32_e32 v0, 2, v0
	s_lshl_b64 s[4:5], s[4:5], 2
	v_mov_b32_e32 v2, s2
	s_add_nc_u64 s[0:1], s[0:1], s[4:5]
	s_delay_alu instid0(VALU_DEP_2) | instid1(SALU_CYCLE_1)
	v_add_co_u32 v0, s0, s0, v0
	s_wait_alu 0xf1ff
	v_add_co_ci_u32_e64 v1, null, s1, 0, s0
	flat_store_b32 v[0:1], v2
	s_endpgm
	.section	.rodata,"a",@progbits
	.p2align	6, 0x0
	.amdhsa_kernel _ZN6thrust23THRUST_200600_302600_NS11hip_rocprim14__parallel_for6kernelILj256ENS1_20__uninitialized_fill7functorINS0_10device_ptrIfEEfEEmLj1EEEvT0_T1_SA_
		.amdhsa_group_segment_fixed_size 0
		.amdhsa_private_segment_fixed_size 0
		.amdhsa_kernarg_size 32
		.amdhsa_user_sgpr_count 2
		.amdhsa_user_sgpr_dispatch_ptr 0
		.amdhsa_user_sgpr_queue_ptr 0
		.amdhsa_user_sgpr_kernarg_segment_ptr 1
		.amdhsa_user_sgpr_dispatch_id 0
		.amdhsa_user_sgpr_private_segment_size 0
		.amdhsa_wavefront_size32 1
		.amdhsa_uses_dynamic_stack 0
		.amdhsa_enable_private_segment 0
		.amdhsa_system_sgpr_workgroup_id_x 1
		.amdhsa_system_sgpr_workgroup_id_y 0
		.amdhsa_system_sgpr_workgroup_id_z 0
		.amdhsa_system_sgpr_workgroup_info 0
		.amdhsa_system_vgpr_workitem_id 0
		.amdhsa_next_free_vgpr 4
		.amdhsa_next_free_sgpr 12
		.amdhsa_reserve_vcc 1
		.amdhsa_float_round_mode_32 0
		.amdhsa_float_round_mode_16_64 0
		.amdhsa_float_denorm_mode_32 3
		.amdhsa_float_denorm_mode_16_64 3
		.amdhsa_fp16_overflow 0
		.amdhsa_workgroup_processor_mode 1
		.amdhsa_memory_ordered 1
		.amdhsa_forward_progress 1
		.amdhsa_inst_pref_size 2
		.amdhsa_round_robin_scheduling 0
		.amdhsa_exception_fp_ieee_invalid_op 0
		.amdhsa_exception_fp_denorm_src 0
		.amdhsa_exception_fp_ieee_div_zero 0
		.amdhsa_exception_fp_ieee_overflow 0
		.amdhsa_exception_fp_ieee_underflow 0
		.amdhsa_exception_fp_ieee_inexact 0
		.amdhsa_exception_int_div_zero 0
	.end_amdhsa_kernel
	.section	.text._ZN6thrust23THRUST_200600_302600_NS11hip_rocprim14__parallel_for6kernelILj256ENS1_20__uninitialized_fill7functorINS0_10device_ptrIfEEfEEmLj1EEEvT0_T1_SA_,"axG",@progbits,_ZN6thrust23THRUST_200600_302600_NS11hip_rocprim14__parallel_for6kernelILj256ENS1_20__uninitialized_fill7functorINS0_10device_ptrIfEEfEEmLj1EEEvT0_T1_SA_,comdat
.Lfunc_end46:
	.size	_ZN6thrust23THRUST_200600_302600_NS11hip_rocprim14__parallel_for6kernelILj256ENS1_20__uninitialized_fill7functorINS0_10device_ptrIfEEfEEmLj1EEEvT0_T1_SA_, .Lfunc_end46-_ZN6thrust23THRUST_200600_302600_NS11hip_rocprim14__parallel_for6kernelILj256ENS1_20__uninitialized_fill7functorINS0_10device_ptrIfEEfEEmLj1EEEvT0_T1_SA_
                                        ; -- End function
	.set _ZN6thrust23THRUST_200600_302600_NS11hip_rocprim14__parallel_for6kernelILj256ENS1_20__uninitialized_fill7functorINS0_10device_ptrIfEEfEEmLj1EEEvT0_T1_SA_.num_vgpr, 4
	.set _ZN6thrust23THRUST_200600_302600_NS11hip_rocprim14__parallel_for6kernelILj256ENS1_20__uninitialized_fill7functorINS0_10device_ptrIfEEfEEmLj1EEEvT0_T1_SA_.num_agpr, 0
	.set _ZN6thrust23THRUST_200600_302600_NS11hip_rocprim14__parallel_for6kernelILj256ENS1_20__uninitialized_fill7functorINS0_10device_ptrIfEEfEEmLj1EEEvT0_T1_SA_.numbered_sgpr, 12
	.set _ZN6thrust23THRUST_200600_302600_NS11hip_rocprim14__parallel_for6kernelILj256ENS1_20__uninitialized_fill7functorINS0_10device_ptrIfEEfEEmLj1EEEvT0_T1_SA_.num_named_barrier, 0
	.set _ZN6thrust23THRUST_200600_302600_NS11hip_rocprim14__parallel_for6kernelILj256ENS1_20__uninitialized_fill7functorINS0_10device_ptrIfEEfEEmLj1EEEvT0_T1_SA_.private_seg_size, 0
	.set _ZN6thrust23THRUST_200600_302600_NS11hip_rocprim14__parallel_for6kernelILj256ENS1_20__uninitialized_fill7functorINS0_10device_ptrIfEEfEEmLj1EEEvT0_T1_SA_.uses_vcc, 1
	.set _ZN6thrust23THRUST_200600_302600_NS11hip_rocprim14__parallel_for6kernelILj256ENS1_20__uninitialized_fill7functorINS0_10device_ptrIfEEfEEmLj1EEEvT0_T1_SA_.uses_flat_scratch, 0
	.set _ZN6thrust23THRUST_200600_302600_NS11hip_rocprim14__parallel_for6kernelILj256ENS1_20__uninitialized_fill7functorINS0_10device_ptrIfEEfEEmLj1EEEvT0_T1_SA_.has_dyn_sized_stack, 0
	.set _ZN6thrust23THRUST_200600_302600_NS11hip_rocprim14__parallel_for6kernelILj256ENS1_20__uninitialized_fill7functorINS0_10device_ptrIfEEfEEmLj1EEEvT0_T1_SA_.has_recursion, 0
	.set _ZN6thrust23THRUST_200600_302600_NS11hip_rocprim14__parallel_for6kernelILj256ENS1_20__uninitialized_fill7functorINS0_10device_ptrIfEEfEEmLj1EEEvT0_T1_SA_.has_indirect_call, 0
	.section	.AMDGPU.csdata,"",@progbits
; Kernel info:
; codeLenInByte = 216
; TotalNumSgprs: 14
; NumVgprs: 4
; ScratchSize: 0
; MemoryBound: 0
; FloatMode: 240
; IeeeMode: 1
; LDSByteSize: 0 bytes/workgroup (compile time only)
; SGPRBlocks: 0
; VGPRBlocks: 0
; NumSGPRsForWavesPerEU: 14
; NumVGPRsForWavesPerEU: 4
; Occupancy: 16
; WaveLimiterHint : 0
; COMPUTE_PGM_RSRC2:SCRATCH_EN: 0
; COMPUTE_PGM_RSRC2:USER_SGPR: 2
; COMPUTE_PGM_RSRC2:TRAP_HANDLER: 0
; COMPUTE_PGM_RSRC2:TGID_X_EN: 1
; COMPUTE_PGM_RSRC2:TGID_Y_EN: 0
; COMPUTE_PGM_RSRC2:TGID_Z_EN: 0
; COMPUTE_PGM_RSRC2:TIDIG_COMP_CNT: 0
	.section	.text._ZN7rocprim17ROCPRIM_400000_NS6detail17trampoline_kernelINS0_14default_configENS1_25partition_config_selectorILNS1_17partition_subalgoE6EfNS0_10empty_typeEbEEZZNS1_14partition_implILS5_6ELb0ES3_mN6thrust23THRUST_200600_302600_NS6detail15normal_iteratorINSA_10device_ptrIfEEEEPS6_SG_NS0_5tupleIJSF_S6_EEENSH_IJSG_SG_EEES6_PlJNSB_9not_fun_tINSB_10functional5actorINSM_9compositeIJNSM_27transparent_binary_operatorINSA_8equal_toIvEEEENSN_INSM_8argumentILj0EEEEENSM_5valueIfEEEEEEEEEEEE10hipError_tPvRmT3_T4_T5_T6_T7_T9_mT8_P12ihipStream_tbDpT10_ENKUlT_T0_E_clISt17integral_constantIbLb0EES1K_EEDaS1F_S1G_EUlS1F_E_NS1_11comp_targetILNS1_3genE0ELNS1_11target_archE4294967295ELNS1_3gpuE0ELNS1_3repE0EEENS1_30default_config_static_selectorELNS0_4arch9wavefront6targetE0EEEvT1_,"axG",@progbits,_ZN7rocprim17ROCPRIM_400000_NS6detail17trampoline_kernelINS0_14default_configENS1_25partition_config_selectorILNS1_17partition_subalgoE6EfNS0_10empty_typeEbEEZZNS1_14partition_implILS5_6ELb0ES3_mN6thrust23THRUST_200600_302600_NS6detail15normal_iteratorINSA_10device_ptrIfEEEEPS6_SG_NS0_5tupleIJSF_S6_EEENSH_IJSG_SG_EEES6_PlJNSB_9not_fun_tINSB_10functional5actorINSM_9compositeIJNSM_27transparent_binary_operatorINSA_8equal_toIvEEEENSN_INSM_8argumentILj0EEEEENSM_5valueIfEEEEEEEEEEEE10hipError_tPvRmT3_T4_T5_T6_T7_T9_mT8_P12ihipStream_tbDpT10_ENKUlT_T0_E_clISt17integral_constantIbLb0EES1K_EEDaS1F_S1G_EUlS1F_E_NS1_11comp_targetILNS1_3genE0ELNS1_11target_archE4294967295ELNS1_3gpuE0ELNS1_3repE0EEENS1_30default_config_static_selectorELNS0_4arch9wavefront6targetE0EEEvT1_,comdat
	.protected	_ZN7rocprim17ROCPRIM_400000_NS6detail17trampoline_kernelINS0_14default_configENS1_25partition_config_selectorILNS1_17partition_subalgoE6EfNS0_10empty_typeEbEEZZNS1_14partition_implILS5_6ELb0ES3_mN6thrust23THRUST_200600_302600_NS6detail15normal_iteratorINSA_10device_ptrIfEEEEPS6_SG_NS0_5tupleIJSF_S6_EEENSH_IJSG_SG_EEES6_PlJNSB_9not_fun_tINSB_10functional5actorINSM_9compositeIJNSM_27transparent_binary_operatorINSA_8equal_toIvEEEENSN_INSM_8argumentILj0EEEEENSM_5valueIfEEEEEEEEEEEE10hipError_tPvRmT3_T4_T5_T6_T7_T9_mT8_P12ihipStream_tbDpT10_ENKUlT_T0_E_clISt17integral_constantIbLb0EES1K_EEDaS1F_S1G_EUlS1F_E_NS1_11comp_targetILNS1_3genE0ELNS1_11target_archE4294967295ELNS1_3gpuE0ELNS1_3repE0EEENS1_30default_config_static_selectorELNS0_4arch9wavefront6targetE0EEEvT1_ ; -- Begin function _ZN7rocprim17ROCPRIM_400000_NS6detail17trampoline_kernelINS0_14default_configENS1_25partition_config_selectorILNS1_17partition_subalgoE6EfNS0_10empty_typeEbEEZZNS1_14partition_implILS5_6ELb0ES3_mN6thrust23THRUST_200600_302600_NS6detail15normal_iteratorINSA_10device_ptrIfEEEEPS6_SG_NS0_5tupleIJSF_S6_EEENSH_IJSG_SG_EEES6_PlJNSB_9not_fun_tINSB_10functional5actorINSM_9compositeIJNSM_27transparent_binary_operatorINSA_8equal_toIvEEEENSN_INSM_8argumentILj0EEEEENSM_5valueIfEEEEEEEEEEEE10hipError_tPvRmT3_T4_T5_T6_T7_T9_mT8_P12ihipStream_tbDpT10_ENKUlT_T0_E_clISt17integral_constantIbLb0EES1K_EEDaS1F_S1G_EUlS1F_E_NS1_11comp_targetILNS1_3genE0ELNS1_11target_archE4294967295ELNS1_3gpuE0ELNS1_3repE0EEENS1_30default_config_static_selectorELNS0_4arch9wavefront6targetE0EEEvT1_
	.globl	_ZN7rocprim17ROCPRIM_400000_NS6detail17trampoline_kernelINS0_14default_configENS1_25partition_config_selectorILNS1_17partition_subalgoE6EfNS0_10empty_typeEbEEZZNS1_14partition_implILS5_6ELb0ES3_mN6thrust23THRUST_200600_302600_NS6detail15normal_iteratorINSA_10device_ptrIfEEEEPS6_SG_NS0_5tupleIJSF_S6_EEENSH_IJSG_SG_EEES6_PlJNSB_9not_fun_tINSB_10functional5actorINSM_9compositeIJNSM_27transparent_binary_operatorINSA_8equal_toIvEEEENSN_INSM_8argumentILj0EEEEENSM_5valueIfEEEEEEEEEEEE10hipError_tPvRmT3_T4_T5_T6_T7_T9_mT8_P12ihipStream_tbDpT10_ENKUlT_T0_E_clISt17integral_constantIbLb0EES1K_EEDaS1F_S1G_EUlS1F_E_NS1_11comp_targetILNS1_3genE0ELNS1_11target_archE4294967295ELNS1_3gpuE0ELNS1_3repE0EEENS1_30default_config_static_selectorELNS0_4arch9wavefront6targetE0EEEvT1_
	.p2align	8
	.type	_ZN7rocprim17ROCPRIM_400000_NS6detail17trampoline_kernelINS0_14default_configENS1_25partition_config_selectorILNS1_17partition_subalgoE6EfNS0_10empty_typeEbEEZZNS1_14partition_implILS5_6ELb0ES3_mN6thrust23THRUST_200600_302600_NS6detail15normal_iteratorINSA_10device_ptrIfEEEEPS6_SG_NS0_5tupleIJSF_S6_EEENSH_IJSG_SG_EEES6_PlJNSB_9not_fun_tINSB_10functional5actorINSM_9compositeIJNSM_27transparent_binary_operatorINSA_8equal_toIvEEEENSN_INSM_8argumentILj0EEEEENSM_5valueIfEEEEEEEEEEEE10hipError_tPvRmT3_T4_T5_T6_T7_T9_mT8_P12ihipStream_tbDpT10_ENKUlT_T0_E_clISt17integral_constantIbLb0EES1K_EEDaS1F_S1G_EUlS1F_E_NS1_11comp_targetILNS1_3genE0ELNS1_11target_archE4294967295ELNS1_3gpuE0ELNS1_3repE0EEENS1_30default_config_static_selectorELNS0_4arch9wavefront6targetE0EEEvT1_,@function
_ZN7rocprim17ROCPRIM_400000_NS6detail17trampoline_kernelINS0_14default_configENS1_25partition_config_selectorILNS1_17partition_subalgoE6EfNS0_10empty_typeEbEEZZNS1_14partition_implILS5_6ELb0ES3_mN6thrust23THRUST_200600_302600_NS6detail15normal_iteratorINSA_10device_ptrIfEEEEPS6_SG_NS0_5tupleIJSF_S6_EEENSH_IJSG_SG_EEES6_PlJNSB_9not_fun_tINSB_10functional5actorINSM_9compositeIJNSM_27transparent_binary_operatorINSA_8equal_toIvEEEENSN_INSM_8argumentILj0EEEEENSM_5valueIfEEEEEEEEEEEE10hipError_tPvRmT3_T4_T5_T6_T7_T9_mT8_P12ihipStream_tbDpT10_ENKUlT_T0_E_clISt17integral_constantIbLb0EES1K_EEDaS1F_S1G_EUlS1F_E_NS1_11comp_targetILNS1_3genE0ELNS1_11target_archE4294967295ELNS1_3gpuE0ELNS1_3repE0EEENS1_30default_config_static_selectorELNS0_4arch9wavefront6targetE0EEEvT1_: ; @_ZN7rocprim17ROCPRIM_400000_NS6detail17trampoline_kernelINS0_14default_configENS1_25partition_config_selectorILNS1_17partition_subalgoE6EfNS0_10empty_typeEbEEZZNS1_14partition_implILS5_6ELb0ES3_mN6thrust23THRUST_200600_302600_NS6detail15normal_iteratorINSA_10device_ptrIfEEEEPS6_SG_NS0_5tupleIJSF_S6_EEENSH_IJSG_SG_EEES6_PlJNSB_9not_fun_tINSB_10functional5actorINSM_9compositeIJNSM_27transparent_binary_operatorINSA_8equal_toIvEEEENSN_INSM_8argumentILj0EEEEENSM_5valueIfEEEEEEEEEEEE10hipError_tPvRmT3_T4_T5_T6_T7_T9_mT8_P12ihipStream_tbDpT10_ENKUlT_T0_E_clISt17integral_constantIbLb0EES1K_EEDaS1F_S1G_EUlS1F_E_NS1_11comp_targetILNS1_3genE0ELNS1_11target_archE4294967295ELNS1_3gpuE0ELNS1_3repE0EEENS1_30default_config_static_selectorELNS0_4arch9wavefront6targetE0EEEvT1_
; %bb.0:
	.section	.rodata,"a",@progbits
	.p2align	6, 0x0
	.amdhsa_kernel _ZN7rocprim17ROCPRIM_400000_NS6detail17trampoline_kernelINS0_14default_configENS1_25partition_config_selectorILNS1_17partition_subalgoE6EfNS0_10empty_typeEbEEZZNS1_14partition_implILS5_6ELb0ES3_mN6thrust23THRUST_200600_302600_NS6detail15normal_iteratorINSA_10device_ptrIfEEEEPS6_SG_NS0_5tupleIJSF_S6_EEENSH_IJSG_SG_EEES6_PlJNSB_9not_fun_tINSB_10functional5actorINSM_9compositeIJNSM_27transparent_binary_operatorINSA_8equal_toIvEEEENSN_INSM_8argumentILj0EEEEENSM_5valueIfEEEEEEEEEEEE10hipError_tPvRmT3_T4_T5_T6_T7_T9_mT8_P12ihipStream_tbDpT10_ENKUlT_T0_E_clISt17integral_constantIbLb0EES1K_EEDaS1F_S1G_EUlS1F_E_NS1_11comp_targetILNS1_3genE0ELNS1_11target_archE4294967295ELNS1_3gpuE0ELNS1_3repE0EEENS1_30default_config_static_selectorELNS0_4arch9wavefront6targetE0EEEvT1_
		.amdhsa_group_segment_fixed_size 0
		.amdhsa_private_segment_fixed_size 0
		.amdhsa_kernarg_size 120
		.amdhsa_user_sgpr_count 2
		.amdhsa_user_sgpr_dispatch_ptr 0
		.amdhsa_user_sgpr_queue_ptr 0
		.amdhsa_user_sgpr_kernarg_segment_ptr 1
		.amdhsa_user_sgpr_dispatch_id 0
		.amdhsa_user_sgpr_private_segment_size 0
		.amdhsa_wavefront_size32 1
		.amdhsa_uses_dynamic_stack 0
		.amdhsa_enable_private_segment 0
		.amdhsa_system_sgpr_workgroup_id_x 1
		.amdhsa_system_sgpr_workgroup_id_y 0
		.amdhsa_system_sgpr_workgroup_id_z 0
		.amdhsa_system_sgpr_workgroup_info 0
		.amdhsa_system_vgpr_workitem_id 0
		.amdhsa_next_free_vgpr 1
		.amdhsa_next_free_sgpr 1
		.amdhsa_reserve_vcc 0
		.amdhsa_float_round_mode_32 0
		.amdhsa_float_round_mode_16_64 0
		.amdhsa_float_denorm_mode_32 3
		.amdhsa_float_denorm_mode_16_64 3
		.amdhsa_fp16_overflow 0
		.amdhsa_workgroup_processor_mode 1
		.amdhsa_memory_ordered 1
		.amdhsa_forward_progress 1
		.amdhsa_inst_pref_size 0
		.amdhsa_round_robin_scheduling 0
		.amdhsa_exception_fp_ieee_invalid_op 0
		.amdhsa_exception_fp_denorm_src 0
		.amdhsa_exception_fp_ieee_div_zero 0
		.amdhsa_exception_fp_ieee_overflow 0
		.amdhsa_exception_fp_ieee_underflow 0
		.amdhsa_exception_fp_ieee_inexact 0
		.amdhsa_exception_int_div_zero 0
	.end_amdhsa_kernel
	.section	.text._ZN7rocprim17ROCPRIM_400000_NS6detail17trampoline_kernelINS0_14default_configENS1_25partition_config_selectorILNS1_17partition_subalgoE6EfNS0_10empty_typeEbEEZZNS1_14partition_implILS5_6ELb0ES3_mN6thrust23THRUST_200600_302600_NS6detail15normal_iteratorINSA_10device_ptrIfEEEEPS6_SG_NS0_5tupleIJSF_S6_EEENSH_IJSG_SG_EEES6_PlJNSB_9not_fun_tINSB_10functional5actorINSM_9compositeIJNSM_27transparent_binary_operatorINSA_8equal_toIvEEEENSN_INSM_8argumentILj0EEEEENSM_5valueIfEEEEEEEEEEEE10hipError_tPvRmT3_T4_T5_T6_T7_T9_mT8_P12ihipStream_tbDpT10_ENKUlT_T0_E_clISt17integral_constantIbLb0EES1K_EEDaS1F_S1G_EUlS1F_E_NS1_11comp_targetILNS1_3genE0ELNS1_11target_archE4294967295ELNS1_3gpuE0ELNS1_3repE0EEENS1_30default_config_static_selectorELNS0_4arch9wavefront6targetE0EEEvT1_,"axG",@progbits,_ZN7rocprim17ROCPRIM_400000_NS6detail17trampoline_kernelINS0_14default_configENS1_25partition_config_selectorILNS1_17partition_subalgoE6EfNS0_10empty_typeEbEEZZNS1_14partition_implILS5_6ELb0ES3_mN6thrust23THRUST_200600_302600_NS6detail15normal_iteratorINSA_10device_ptrIfEEEEPS6_SG_NS0_5tupleIJSF_S6_EEENSH_IJSG_SG_EEES6_PlJNSB_9not_fun_tINSB_10functional5actorINSM_9compositeIJNSM_27transparent_binary_operatorINSA_8equal_toIvEEEENSN_INSM_8argumentILj0EEEEENSM_5valueIfEEEEEEEEEEEE10hipError_tPvRmT3_T4_T5_T6_T7_T9_mT8_P12ihipStream_tbDpT10_ENKUlT_T0_E_clISt17integral_constantIbLb0EES1K_EEDaS1F_S1G_EUlS1F_E_NS1_11comp_targetILNS1_3genE0ELNS1_11target_archE4294967295ELNS1_3gpuE0ELNS1_3repE0EEENS1_30default_config_static_selectorELNS0_4arch9wavefront6targetE0EEEvT1_,comdat
.Lfunc_end47:
	.size	_ZN7rocprim17ROCPRIM_400000_NS6detail17trampoline_kernelINS0_14default_configENS1_25partition_config_selectorILNS1_17partition_subalgoE6EfNS0_10empty_typeEbEEZZNS1_14partition_implILS5_6ELb0ES3_mN6thrust23THRUST_200600_302600_NS6detail15normal_iteratorINSA_10device_ptrIfEEEEPS6_SG_NS0_5tupleIJSF_S6_EEENSH_IJSG_SG_EEES6_PlJNSB_9not_fun_tINSB_10functional5actorINSM_9compositeIJNSM_27transparent_binary_operatorINSA_8equal_toIvEEEENSN_INSM_8argumentILj0EEEEENSM_5valueIfEEEEEEEEEEEE10hipError_tPvRmT3_T4_T5_T6_T7_T9_mT8_P12ihipStream_tbDpT10_ENKUlT_T0_E_clISt17integral_constantIbLb0EES1K_EEDaS1F_S1G_EUlS1F_E_NS1_11comp_targetILNS1_3genE0ELNS1_11target_archE4294967295ELNS1_3gpuE0ELNS1_3repE0EEENS1_30default_config_static_selectorELNS0_4arch9wavefront6targetE0EEEvT1_, .Lfunc_end47-_ZN7rocprim17ROCPRIM_400000_NS6detail17trampoline_kernelINS0_14default_configENS1_25partition_config_selectorILNS1_17partition_subalgoE6EfNS0_10empty_typeEbEEZZNS1_14partition_implILS5_6ELb0ES3_mN6thrust23THRUST_200600_302600_NS6detail15normal_iteratorINSA_10device_ptrIfEEEEPS6_SG_NS0_5tupleIJSF_S6_EEENSH_IJSG_SG_EEES6_PlJNSB_9not_fun_tINSB_10functional5actorINSM_9compositeIJNSM_27transparent_binary_operatorINSA_8equal_toIvEEEENSN_INSM_8argumentILj0EEEEENSM_5valueIfEEEEEEEEEEEE10hipError_tPvRmT3_T4_T5_T6_T7_T9_mT8_P12ihipStream_tbDpT10_ENKUlT_T0_E_clISt17integral_constantIbLb0EES1K_EEDaS1F_S1G_EUlS1F_E_NS1_11comp_targetILNS1_3genE0ELNS1_11target_archE4294967295ELNS1_3gpuE0ELNS1_3repE0EEENS1_30default_config_static_selectorELNS0_4arch9wavefront6targetE0EEEvT1_
                                        ; -- End function
	.set _ZN7rocprim17ROCPRIM_400000_NS6detail17trampoline_kernelINS0_14default_configENS1_25partition_config_selectorILNS1_17partition_subalgoE6EfNS0_10empty_typeEbEEZZNS1_14partition_implILS5_6ELb0ES3_mN6thrust23THRUST_200600_302600_NS6detail15normal_iteratorINSA_10device_ptrIfEEEEPS6_SG_NS0_5tupleIJSF_S6_EEENSH_IJSG_SG_EEES6_PlJNSB_9not_fun_tINSB_10functional5actorINSM_9compositeIJNSM_27transparent_binary_operatorINSA_8equal_toIvEEEENSN_INSM_8argumentILj0EEEEENSM_5valueIfEEEEEEEEEEEE10hipError_tPvRmT3_T4_T5_T6_T7_T9_mT8_P12ihipStream_tbDpT10_ENKUlT_T0_E_clISt17integral_constantIbLb0EES1K_EEDaS1F_S1G_EUlS1F_E_NS1_11comp_targetILNS1_3genE0ELNS1_11target_archE4294967295ELNS1_3gpuE0ELNS1_3repE0EEENS1_30default_config_static_selectorELNS0_4arch9wavefront6targetE0EEEvT1_.num_vgpr, 0
	.set _ZN7rocprim17ROCPRIM_400000_NS6detail17trampoline_kernelINS0_14default_configENS1_25partition_config_selectorILNS1_17partition_subalgoE6EfNS0_10empty_typeEbEEZZNS1_14partition_implILS5_6ELb0ES3_mN6thrust23THRUST_200600_302600_NS6detail15normal_iteratorINSA_10device_ptrIfEEEEPS6_SG_NS0_5tupleIJSF_S6_EEENSH_IJSG_SG_EEES6_PlJNSB_9not_fun_tINSB_10functional5actorINSM_9compositeIJNSM_27transparent_binary_operatorINSA_8equal_toIvEEEENSN_INSM_8argumentILj0EEEEENSM_5valueIfEEEEEEEEEEEE10hipError_tPvRmT3_T4_T5_T6_T7_T9_mT8_P12ihipStream_tbDpT10_ENKUlT_T0_E_clISt17integral_constantIbLb0EES1K_EEDaS1F_S1G_EUlS1F_E_NS1_11comp_targetILNS1_3genE0ELNS1_11target_archE4294967295ELNS1_3gpuE0ELNS1_3repE0EEENS1_30default_config_static_selectorELNS0_4arch9wavefront6targetE0EEEvT1_.num_agpr, 0
	.set _ZN7rocprim17ROCPRIM_400000_NS6detail17trampoline_kernelINS0_14default_configENS1_25partition_config_selectorILNS1_17partition_subalgoE6EfNS0_10empty_typeEbEEZZNS1_14partition_implILS5_6ELb0ES3_mN6thrust23THRUST_200600_302600_NS6detail15normal_iteratorINSA_10device_ptrIfEEEEPS6_SG_NS0_5tupleIJSF_S6_EEENSH_IJSG_SG_EEES6_PlJNSB_9not_fun_tINSB_10functional5actorINSM_9compositeIJNSM_27transparent_binary_operatorINSA_8equal_toIvEEEENSN_INSM_8argumentILj0EEEEENSM_5valueIfEEEEEEEEEEEE10hipError_tPvRmT3_T4_T5_T6_T7_T9_mT8_P12ihipStream_tbDpT10_ENKUlT_T0_E_clISt17integral_constantIbLb0EES1K_EEDaS1F_S1G_EUlS1F_E_NS1_11comp_targetILNS1_3genE0ELNS1_11target_archE4294967295ELNS1_3gpuE0ELNS1_3repE0EEENS1_30default_config_static_selectorELNS0_4arch9wavefront6targetE0EEEvT1_.numbered_sgpr, 0
	.set _ZN7rocprim17ROCPRIM_400000_NS6detail17trampoline_kernelINS0_14default_configENS1_25partition_config_selectorILNS1_17partition_subalgoE6EfNS0_10empty_typeEbEEZZNS1_14partition_implILS5_6ELb0ES3_mN6thrust23THRUST_200600_302600_NS6detail15normal_iteratorINSA_10device_ptrIfEEEEPS6_SG_NS0_5tupleIJSF_S6_EEENSH_IJSG_SG_EEES6_PlJNSB_9not_fun_tINSB_10functional5actorINSM_9compositeIJNSM_27transparent_binary_operatorINSA_8equal_toIvEEEENSN_INSM_8argumentILj0EEEEENSM_5valueIfEEEEEEEEEEEE10hipError_tPvRmT3_T4_T5_T6_T7_T9_mT8_P12ihipStream_tbDpT10_ENKUlT_T0_E_clISt17integral_constantIbLb0EES1K_EEDaS1F_S1G_EUlS1F_E_NS1_11comp_targetILNS1_3genE0ELNS1_11target_archE4294967295ELNS1_3gpuE0ELNS1_3repE0EEENS1_30default_config_static_selectorELNS0_4arch9wavefront6targetE0EEEvT1_.num_named_barrier, 0
	.set _ZN7rocprim17ROCPRIM_400000_NS6detail17trampoline_kernelINS0_14default_configENS1_25partition_config_selectorILNS1_17partition_subalgoE6EfNS0_10empty_typeEbEEZZNS1_14partition_implILS5_6ELb0ES3_mN6thrust23THRUST_200600_302600_NS6detail15normal_iteratorINSA_10device_ptrIfEEEEPS6_SG_NS0_5tupleIJSF_S6_EEENSH_IJSG_SG_EEES6_PlJNSB_9not_fun_tINSB_10functional5actorINSM_9compositeIJNSM_27transparent_binary_operatorINSA_8equal_toIvEEEENSN_INSM_8argumentILj0EEEEENSM_5valueIfEEEEEEEEEEEE10hipError_tPvRmT3_T4_T5_T6_T7_T9_mT8_P12ihipStream_tbDpT10_ENKUlT_T0_E_clISt17integral_constantIbLb0EES1K_EEDaS1F_S1G_EUlS1F_E_NS1_11comp_targetILNS1_3genE0ELNS1_11target_archE4294967295ELNS1_3gpuE0ELNS1_3repE0EEENS1_30default_config_static_selectorELNS0_4arch9wavefront6targetE0EEEvT1_.private_seg_size, 0
	.set _ZN7rocprim17ROCPRIM_400000_NS6detail17trampoline_kernelINS0_14default_configENS1_25partition_config_selectorILNS1_17partition_subalgoE6EfNS0_10empty_typeEbEEZZNS1_14partition_implILS5_6ELb0ES3_mN6thrust23THRUST_200600_302600_NS6detail15normal_iteratorINSA_10device_ptrIfEEEEPS6_SG_NS0_5tupleIJSF_S6_EEENSH_IJSG_SG_EEES6_PlJNSB_9not_fun_tINSB_10functional5actorINSM_9compositeIJNSM_27transparent_binary_operatorINSA_8equal_toIvEEEENSN_INSM_8argumentILj0EEEEENSM_5valueIfEEEEEEEEEEEE10hipError_tPvRmT3_T4_T5_T6_T7_T9_mT8_P12ihipStream_tbDpT10_ENKUlT_T0_E_clISt17integral_constantIbLb0EES1K_EEDaS1F_S1G_EUlS1F_E_NS1_11comp_targetILNS1_3genE0ELNS1_11target_archE4294967295ELNS1_3gpuE0ELNS1_3repE0EEENS1_30default_config_static_selectorELNS0_4arch9wavefront6targetE0EEEvT1_.uses_vcc, 0
	.set _ZN7rocprim17ROCPRIM_400000_NS6detail17trampoline_kernelINS0_14default_configENS1_25partition_config_selectorILNS1_17partition_subalgoE6EfNS0_10empty_typeEbEEZZNS1_14partition_implILS5_6ELb0ES3_mN6thrust23THRUST_200600_302600_NS6detail15normal_iteratorINSA_10device_ptrIfEEEEPS6_SG_NS0_5tupleIJSF_S6_EEENSH_IJSG_SG_EEES6_PlJNSB_9not_fun_tINSB_10functional5actorINSM_9compositeIJNSM_27transparent_binary_operatorINSA_8equal_toIvEEEENSN_INSM_8argumentILj0EEEEENSM_5valueIfEEEEEEEEEEEE10hipError_tPvRmT3_T4_T5_T6_T7_T9_mT8_P12ihipStream_tbDpT10_ENKUlT_T0_E_clISt17integral_constantIbLb0EES1K_EEDaS1F_S1G_EUlS1F_E_NS1_11comp_targetILNS1_3genE0ELNS1_11target_archE4294967295ELNS1_3gpuE0ELNS1_3repE0EEENS1_30default_config_static_selectorELNS0_4arch9wavefront6targetE0EEEvT1_.uses_flat_scratch, 0
	.set _ZN7rocprim17ROCPRIM_400000_NS6detail17trampoline_kernelINS0_14default_configENS1_25partition_config_selectorILNS1_17partition_subalgoE6EfNS0_10empty_typeEbEEZZNS1_14partition_implILS5_6ELb0ES3_mN6thrust23THRUST_200600_302600_NS6detail15normal_iteratorINSA_10device_ptrIfEEEEPS6_SG_NS0_5tupleIJSF_S6_EEENSH_IJSG_SG_EEES6_PlJNSB_9not_fun_tINSB_10functional5actorINSM_9compositeIJNSM_27transparent_binary_operatorINSA_8equal_toIvEEEENSN_INSM_8argumentILj0EEEEENSM_5valueIfEEEEEEEEEEEE10hipError_tPvRmT3_T4_T5_T6_T7_T9_mT8_P12ihipStream_tbDpT10_ENKUlT_T0_E_clISt17integral_constantIbLb0EES1K_EEDaS1F_S1G_EUlS1F_E_NS1_11comp_targetILNS1_3genE0ELNS1_11target_archE4294967295ELNS1_3gpuE0ELNS1_3repE0EEENS1_30default_config_static_selectorELNS0_4arch9wavefront6targetE0EEEvT1_.has_dyn_sized_stack, 0
	.set _ZN7rocprim17ROCPRIM_400000_NS6detail17trampoline_kernelINS0_14default_configENS1_25partition_config_selectorILNS1_17partition_subalgoE6EfNS0_10empty_typeEbEEZZNS1_14partition_implILS5_6ELb0ES3_mN6thrust23THRUST_200600_302600_NS6detail15normal_iteratorINSA_10device_ptrIfEEEEPS6_SG_NS0_5tupleIJSF_S6_EEENSH_IJSG_SG_EEES6_PlJNSB_9not_fun_tINSB_10functional5actorINSM_9compositeIJNSM_27transparent_binary_operatorINSA_8equal_toIvEEEENSN_INSM_8argumentILj0EEEEENSM_5valueIfEEEEEEEEEEEE10hipError_tPvRmT3_T4_T5_T6_T7_T9_mT8_P12ihipStream_tbDpT10_ENKUlT_T0_E_clISt17integral_constantIbLb0EES1K_EEDaS1F_S1G_EUlS1F_E_NS1_11comp_targetILNS1_3genE0ELNS1_11target_archE4294967295ELNS1_3gpuE0ELNS1_3repE0EEENS1_30default_config_static_selectorELNS0_4arch9wavefront6targetE0EEEvT1_.has_recursion, 0
	.set _ZN7rocprim17ROCPRIM_400000_NS6detail17trampoline_kernelINS0_14default_configENS1_25partition_config_selectorILNS1_17partition_subalgoE6EfNS0_10empty_typeEbEEZZNS1_14partition_implILS5_6ELb0ES3_mN6thrust23THRUST_200600_302600_NS6detail15normal_iteratorINSA_10device_ptrIfEEEEPS6_SG_NS0_5tupleIJSF_S6_EEENSH_IJSG_SG_EEES6_PlJNSB_9not_fun_tINSB_10functional5actorINSM_9compositeIJNSM_27transparent_binary_operatorINSA_8equal_toIvEEEENSN_INSM_8argumentILj0EEEEENSM_5valueIfEEEEEEEEEEEE10hipError_tPvRmT3_T4_T5_T6_T7_T9_mT8_P12ihipStream_tbDpT10_ENKUlT_T0_E_clISt17integral_constantIbLb0EES1K_EEDaS1F_S1G_EUlS1F_E_NS1_11comp_targetILNS1_3genE0ELNS1_11target_archE4294967295ELNS1_3gpuE0ELNS1_3repE0EEENS1_30default_config_static_selectorELNS0_4arch9wavefront6targetE0EEEvT1_.has_indirect_call, 0
	.section	.AMDGPU.csdata,"",@progbits
; Kernel info:
; codeLenInByte = 0
; TotalNumSgprs: 0
; NumVgprs: 0
; ScratchSize: 0
; MemoryBound: 0
; FloatMode: 240
; IeeeMode: 1
; LDSByteSize: 0 bytes/workgroup (compile time only)
; SGPRBlocks: 0
; VGPRBlocks: 0
; NumSGPRsForWavesPerEU: 1
; NumVGPRsForWavesPerEU: 1
; Occupancy: 16
; WaveLimiterHint : 0
; COMPUTE_PGM_RSRC2:SCRATCH_EN: 0
; COMPUTE_PGM_RSRC2:USER_SGPR: 2
; COMPUTE_PGM_RSRC2:TRAP_HANDLER: 0
; COMPUTE_PGM_RSRC2:TGID_X_EN: 1
; COMPUTE_PGM_RSRC2:TGID_Y_EN: 0
; COMPUTE_PGM_RSRC2:TGID_Z_EN: 0
; COMPUTE_PGM_RSRC2:TIDIG_COMP_CNT: 0
	.section	.text._ZN7rocprim17ROCPRIM_400000_NS6detail17trampoline_kernelINS0_14default_configENS1_25partition_config_selectorILNS1_17partition_subalgoE6EfNS0_10empty_typeEbEEZZNS1_14partition_implILS5_6ELb0ES3_mN6thrust23THRUST_200600_302600_NS6detail15normal_iteratorINSA_10device_ptrIfEEEEPS6_SG_NS0_5tupleIJSF_S6_EEENSH_IJSG_SG_EEES6_PlJNSB_9not_fun_tINSB_10functional5actorINSM_9compositeIJNSM_27transparent_binary_operatorINSA_8equal_toIvEEEENSN_INSM_8argumentILj0EEEEENSM_5valueIfEEEEEEEEEEEE10hipError_tPvRmT3_T4_T5_T6_T7_T9_mT8_P12ihipStream_tbDpT10_ENKUlT_T0_E_clISt17integral_constantIbLb0EES1K_EEDaS1F_S1G_EUlS1F_E_NS1_11comp_targetILNS1_3genE5ELNS1_11target_archE942ELNS1_3gpuE9ELNS1_3repE0EEENS1_30default_config_static_selectorELNS0_4arch9wavefront6targetE0EEEvT1_,"axG",@progbits,_ZN7rocprim17ROCPRIM_400000_NS6detail17trampoline_kernelINS0_14default_configENS1_25partition_config_selectorILNS1_17partition_subalgoE6EfNS0_10empty_typeEbEEZZNS1_14partition_implILS5_6ELb0ES3_mN6thrust23THRUST_200600_302600_NS6detail15normal_iteratorINSA_10device_ptrIfEEEEPS6_SG_NS0_5tupleIJSF_S6_EEENSH_IJSG_SG_EEES6_PlJNSB_9not_fun_tINSB_10functional5actorINSM_9compositeIJNSM_27transparent_binary_operatorINSA_8equal_toIvEEEENSN_INSM_8argumentILj0EEEEENSM_5valueIfEEEEEEEEEEEE10hipError_tPvRmT3_T4_T5_T6_T7_T9_mT8_P12ihipStream_tbDpT10_ENKUlT_T0_E_clISt17integral_constantIbLb0EES1K_EEDaS1F_S1G_EUlS1F_E_NS1_11comp_targetILNS1_3genE5ELNS1_11target_archE942ELNS1_3gpuE9ELNS1_3repE0EEENS1_30default_config_static_selectorELNS0_4arch9wavefront6targetE0EEEvT1_,comdat
	.protected	_ZN7rocprim17ROCPRIM_400000_NS6detail17trampoline_kernelINS0_14default_configENS1_25partition_config_selectorILNS1_17partition_subalgoE6EfNS0_10empty_typeEbEEZZNS1_14partition_implILS5_6ELb0ES3_mN6thrust23THRUST_200600_302600_NS6detail15normal_iteratorINSA_10device_ptrIfEEEEPS6_SG_NS0_5tupleIJSF_S6_EEENSH_IJSG_SG_EEES6_PlJNSB_9not_fun_tINSB_10functional5actorINSM_9compositeIJNSM_27transparent_binary_operatorINSA_8equal_toIvEEEENSN_INSM_8argumentILj0EEEEENSM_5valueIfEEEEEEEEEEEE10hipError_tPvRmT3_T4_T5_T6_T7_T9_mT8_P12ihipStream_tbDpT10_ENKUlT_T0_E_clISt17integral_constantIbLb0EES1K_EEDaS1F_S1G_EUlS1F_E_NS1_11comp_targetILNS1_3genE5ELNS1_11target_archE942ELNS1_3gpuE9ELNS1_3repE0EEENS1_30default_config_static_selectorELNS0_4arch9wavefront6targetE0EEEvT1_ ; -- Begin function _ZN7rocprim17ROCPRIM_400000_NS6detail17trampoline_kernelINS0_14default_configENS1_25partition_config_selectorILNS1_17partition_subalgoE6EfNS0_10empty_typeEbEEZZNS1_14partition_implILS5_6ELb0ES3_mN6thrust23THRUST_200600_302600_NS6detail15normal_iteratorINSA_10device_ptrIfEEEEPS6_SG_NS0_5tupleIJSF_S6_EEENSH_IJSG_SG_EEES6_PlJNSB_9not_fun_tINSB_10functional5actorINSM_9compositeIJNSM_27transparent_binary_operatorINSA_8equal_toIvEEEENSN_INSM_8argumentILj0EEEEENSM_5valueIfEEEEEEEEEEEE10hipError_tPvRmT3_T4_T5_T6_T7_T9_mT8_P12ihipStream_tbDpT10_ENKUlT_T0_E_clISt17integral_constantIbLb0EES1K_EEDaS1F_S1G_EUlS1F_E_NS1_11comp_targetILNS1_3genE5ELNS1_11target_archE942ELNS1_3gpuE9ELNS1_3repE0EEENS1_30default_config_static_selectorELNS0_4arch9wavefront6targetE0EEEvT1_
	.globl	_ZN7rocprim17ROCPRIM_400000_NS6detail17trampoline_kernelINS0_14default_configENS1_25partition_config_selectorILNS1_17partition_subalgoE6EfNS0_10empty_typeEbEEZZNS1_14partition_implILS5_6ELb0ES3_mN6thrust23THRUST_200600_302600_NS6detail15normal_iteratorINSA_10device_ptrIfEEEEPS6_SG_NS0_5tupleIJSF_S6_EEENSH_IJSG_SG_EEES6_PlJNSB_9not_fun_tINSB_10functional5actorINSM_9compositeIJNSM_27transparent_binary_operatorINSA_8equal_toIvEEEENSN_INSM_8argumentILj0EEEEENSM_5valueIfEEEEEEEEEEEE10hipError_tPvRmT3_T4_T5_T6_T7_T9_mT8_P12ihipStream_tbDpT10_ENKUlT_T0_E_clISt17integral_constantIbLb0EES1K_EEDaS1F_S1G_EUlS1F_E_NS1_11comp_targetILNS1_3genE5ELNS1_11target_archE942ELNS1_3gpuE9ELNS1_3repE0EEENS1_30default_config_static_selectorELNS0_4arch9wavefront6targetE0EEEvT1_
	.p2align	8
	.type	_ZN7rocprim17ROCPRIM_400000_NS6detail17trampoline_kernelINS0_14default_configENS1_25partition_config_selectorILNS1_17partition_subalgoE6EfNS0_10empty_typeEbEEZZNS1_14partition_implILS5_6ELb0ES3_mN6thrust23THRUST_200600_302600_NS6detail15normal_iteratorINSA_10device_ptrIfEEEEPS6_SG_NS0_5tupleIJSF_S6_EEENSH_IJSG_SG_EEES6_PlJNSB_9not_fun_tINSB_10functional5actorINSM_9compositeIJNSM_27transparent_binary_operatorINSA_8equal_toIvEEEENSN_INSM_8argumentILj0EEEEENSM_5valueIfEEEEEEEEEEEE10hipError_tPvRmT3_T4_T5_T6_T7_T9_mT8_P12ihipStream_tbDpT10_ENKUlT_T0_E_clISt17integral_constantIbLb0EES1K_EEDaS1F_S1G_EUlS1F_E_NS1_11comp_targetILNS1_3genE5ELNS1_11target_archE942ELNS1_3gpuE9ELNS1_3repE0EEENS1_30default_config_static_selectorELNS0_4arch9wavefront6targetE0EEEvT1_,@function
_ZN7rocprim17ROCPRIM_400000_NS6detail17trampoline_kernelINS0_14default_configENS1_25partition_config_selectorILNS1_17partition_subalgoE6EfNS0_10empty_typeEbEEZZNS1_14partition_implILS5_6ELb0ES3_mN6thrust23THRUST_200600_302600_NS6detail15normal_iteratorINSA_10device_ptrIfEEEEPS6_SG_NS0_5tupleIJSF_S6_EEENSH_IJSG_SG_EEES6_PlJNSB_9not_fun_tINSB_10functional5actorINSM_9compositeIJNSM_27transparent_binary_operatorINSA_8equal_toIvEEEENSN_INSM_8argumentILj0EEEEENSM_5valueIfEEEEEEEEEEEE10hipError_tPvRmT3_T4_T5_T6_T7_T9_mT8_P12ihipStream_tbDpT10_ENKUlT_T0_E_clISt17integral_constantIbLb0EES1K_EEDaS1F_S1G_EUlS1F_E_NS1_11comp_targetILNS1_3genE5ELNS1_11target_archE942ELNS1_3gpuE9ELNS1_3repE0EEENS1_30default_config_static_selectorELNS0_4arch9wavefront6targetE0EEEvT1_: ; @_ZN7rocprim17ROCPRIM_400000_NS6detail17trampoline_kernelINS0_14default_configENS1_25partition_config_selectorILNS1_17partition_subalgoE6EfNS0_10empty_typeEbEEZZNS1_14partition_implILS5_6ELb0ES3_mN6thrust23THRUST_200600_302600_NS6detail15normal_iteratorINSA_10device_ptrIfEEEEPS6_SG_NS0_5tupleIJSF_S6_EEENSH_IJSG_SG_EEES6_PlJNSB_9not_fun_tINSB_10functional5actorINSM_9compositeIJNSM_27transparent_binary_operatorINSA_8equal_toIvEEEENSN_INSM_8argumentILj0EEEEENSM_5valueIfEEEEEEEEEEEE10hipError_tPvRmT3_T4_T5_T6_T7_T9_mT8_P12ihipStream_tbDpT10_ENKUlT_T0_E_clISt17integral_constantIbLb0EES1K_EEDaS1F_S1G_EUlS1F_E_NS1_11comp_targetILNS1_3genE5ELNS1_11target_archE942ELNS1_3gpuE9ELNS1_3repE0EEENS1_30default_config_static_selectorELNS0_4arch9wavefront6targetE0EEEvT1_
; %bb.0:
	.section	.rodata,"a",@progbits
	.p2align	6, 0x0
	.amdhsa_kernel _ZN7rocprim17ROCPRIM_400000_NS6detail17trampoline_kernelINS0_14default_configENS1_25partition_config_selectorILNS1_17partition_subalgoE6EfNS0_10empty_typeEbEEZZNS1_14partition_implILS5_6ELb0ES3_mN6thrust23THRUST_200600_302600_NS6detail15normal_iteratorINSA_10device_ptrIfEEEEPS6_SG_NS0_5tupleIJSF_S6_EEENSH_IJSG_SG_EEES6_PlJNSB_9not_fun_tINSB_10functional5actorINSM_9compositeIJNSM_27transparent_binary_operatorINSA_8equal_toIvEEEENSN_INSM_8argumentILj0EEEEENSM_5valueIfEEEEEEEEEEEE10hipError_tPvRmT3_T4_T5_T6_T7_T9_mT8_P12ihipStream_tbDpT10_ENKUlT_T0_E_clISt17integral_constantIbLb0EES1K_EEDaS1F_S1G_EUlS1F_E_NS1_11comp_targetILNS1_3genE5ELNS1_11target_archE942ELNS1_3gpuE9ELNS1_3repE0EEENS1_30default_config_static_selectorELNS0_4arch9wavefront6targetE0EEEvT1_
		.amdhsa_group_segment_fixed_size 0
		.amdhsa_private_segment_fixed_size 0
		.amdhsa_kernarg_size 120
		.amdhsa_user_sgpr_count 2
		.amdhsa_user_sgpr_dispatch_ptr 0
		.amdhsa_user_sgpr_queue_ptr 0
		.amdhsa_user_sgpr_kernarg_segment_ptr 1
		.amdhsa_user_sgpr_dispatch_id 0
		.amdhsa_user_sgpr_private_segment_size 0
		.amdhsa_wavefront_size32 1
		.amdhsa_uses_dynamic_stack 0
		.amdhsa_enable_private_segment 0
		.amdhsa_system_sgpr_workgroup_id_x 1
		.amdhsa_system_sgpr_workgroup_id_y 0
		.amdhsa_system_sgpr_workgroup_id_z 0
		.amdhsa_system_sgpr_workgroup_info 0
		.amdhsa_system_vgpr_workitem_id 0
		.amdhsa_next_free_vgpr 1
		.amdhsa_next_free_sgpr 1
		.amdhsa_reserve_vcc 0
		.amdhsa_float_round_mode_32 0
		.amdhsa_float_round_mode_16_64 0
		.amdhsa_float_denorm_mode_32 3
		.amdhsa_float_denorm_mode_16_64 3
		.amdhsa_fp16_overflow 0
		.amdhsa_workgroup_processor_mode 1
		.amdhsa_memory_ordered 1
		.amdhsa_forward_progress 1
		.amdhsa_inst_pref_size 0
		.amdhsa_round_robin_scheduling 0
		.amdhsa_exception_fp_ieee_invalid_op 0
		.amdhsa_exception_fp_denorm_src 0
		.amdhsa_exception_fp_ieee_div_zero 0
		.amdhsa_exception_fp_ieee_overflow 0
		.amdhsa_exception_fp_ieee_underflow 0
		.amdhsa_exception_fp_ieee_inexact 0
		.amdhsa_exception_int_div_zero 0
	.end_amdhsa_kernel
	.section	.text._ZN7rocprim17ROCPRIM_400000_NS6detail17trampoline_kernelINS0_14default_configENS1_25partition_config_selectorILNS1_17partition_subalgoE6EfNS0_10empty_typeEbEEZZNS1_14partition_implILS5_6ELb0ES3_mN6thrust23THRUST_200600_302600_NS6detail15normal_iteratorINSA_10device_ptrIfEEEEPS6_SG_NS0_5tupleIJSF_S6_EEENSH_IJSG_SG_EEES6_PlJNSB_9not_fun_tINSB_10functional5actorINSM_9compositeIJNSM_27transparent_binary_operatorINSA_8equal_toIvEEEENSN_INSM_8argumentILj0EEEEENSM_5valueIfEEEEEEEEEEEE10hipError_tPvRmT3_T4_T5_T6_T7_T9_mT8_P12ihipStream_tbDpT10_ENKUlT_T0_E_clISt17integral_constantIbLb0EES1K_EEDaS1F_S1G_EUlS1F_E_NS1_11comp_targetILNS1_3genE5ELNS1_11target_archE942ELNS1_3gpuE9ELNS1_3repE0EEENS1_30default_config_static_selectorELNS0_4arch9wavefront6targetE0EEEvT1_,"axG",@progbits,_ZN7rocprim17ROCPRIM_400000_NS6detail17trampoline_kernelINS0_14default_configENS1_25partition_config_selectorILNS1_17partition_subalgoE6EfNS0_10empty_typeEbEEZZNS1_14partition_implILS5_6ELb0ES3_mN6thrust23THRUST_200600_302600_NS6detail15normal_iteratorINSA_10device_ptrIfEEEEPS6_SG_NS0_5tupleIJSF_S6_EEENSH_IJSG_SG_EEES6_PlJNSB_9not_fun_tINSB_10functional5actorINSM_9compositeIJNSM_27transparent_binary_operatorINSA_8equal_toIvEEEENSN_INSM_8argumentILj0EEEEENSM_5valueIfEEEEEEEEEEEE10hipError_tPvRmT3_T4_T5_T6_T7_T9_mT8_P12ihipStream_tbDpT10_ENKUlT_T0_E_clISt17integral_constantIbLb0EES1K_EEDaS1F_S1G_EUlS1F_E_NS1_11comp_targetILNS1_3genE5ELNS1_11target_archE942ELNS1_3gpuE9ELNS1_3repE0EEENS1_30default_config_static_selectorELNS0_4arch9wavefront6targetE0EEEvT1_,comdat
.Lfunc_end48:
	.size	_ZN7rocprim17ROCPRIM_400000_NS6detail17trampoline_kernelINS0_14default_configENS1_25partition_config_selectorILNS1_17partition_subalgoE6EfNS0_10empty_typeEbEEZZNS1_14partition_implILS5_6ELb0ES3_mN6thrust23THRUST_200600_302600_NS6detail15normal_iteratorINSA_10device_ptrIfEEEEPS6_SG_NS0_5tupleIJSF_S6_EEENSH_IJSG_SG_EEES6_PlJNSB_9not_fun_tINSB_10functional5actorINSM_9compositeIJNSM_27transparent_binary_operatorINSA_8equal_toIvEEEENSN_INSM_8argumentILj0EEEEENSM_5valueIfEEEEEEEEEEEE10hipError_tPvRmT3_T4_T5_T6_T7_T9_mT8_P12ihipStream_tbDpT10_ENKUlT_T0_E_clISt17integral_constantIbLb0EES1K_EEDaS1F_S1G_EUlS1F_E_NS1_11comp_targetILNS1_3genE5ELNS1_11target_archE942ELNS1_3gpuE9ELNS1_3repE0EEENS1_30default_config_static_selectorELNS0_4arch9wavefront6targetE0EEEvT1_, .Lfunc_end48-_ZN7rocprim17ROCPRIM_400000_NS6detail17trampoline_kernelINS0_14default_configENS1_25partition_config_selectorILNS1_17partition_subalgoE6EfNS0_10empty_typeEbEEZZNS1_14partition_implILS5_6ELb0ES3_mN6thrust23THRUST_200600_302600_NS6detail15normal_iteratorINSA_10device_ptrIfEEEEPS6_SG_NS0_5tupleIJSF_S6_EEENSH_IJSG_SG_EEES6_PlJNSB_9not_fun_tINSB_10functional5actorINSM_9compositeIJNSM_27transparent_binary_operatorINSA_8equal_toIvEEEENSN_INSM_8argumentILj0EEEEENSM_5valueIfEEEEEEEEEEEE10hipError_tPvRmT3_T4_T5_T6_T7_T9_mT8_P12ihipStream_tbDpT10_ENKUlT_T0_E_clISt17integral_constantIbLb0EES1K_EEDaS1F_S1G_EUlS1F_E_NS1_11comp_targetILNS1_3genE5ELNS1_11target_archE942ELNS1_3gpuE9ELNS1_3repE0EEENS1_30default_config_static_selectorELNS0_4arch9wavefront6targetE0EEEvT1_
                                        ; -- End function
	.set _ZN7rocprim17ROCPRIM_400000_NS6detail17trampoline_kernelINS0_14default_configENS1_25partition_config_selectorILNS1_17partition_subalgoE6EfNS0_10empty_typeEbEEZZNS1_14partition_implILS5_6ELb0ES3_mN6thrust23THRUST_200600_302600_NS6detail15normal_iteratorINSA_10device_ptrIfEEEEPS6_SG_NS0_5tupleIJSF_S6_EEENSH_IJSG_SG_EEES6_PlJNSB_9not_fun_tINSB_10functional5actorINSM_9compositeIJNSM_27transparent_binary_operatorINSA_8equal_toIvEEEENSN_INSM_8argumentILj0EEEEENSM_5valueIfEEEEEEEEEEEE10hipError_tPvRmT3_T4_T5_T6_T7_T9_mT8_P12ihipStream_tbDpT10_ENKUlT_T0_E_clISt17integral_constantIbLb0EES1K_EEDaS1F_S1G_EUlS1F_E_NS1_11comp_targetILNS1_3genE5ELNS1_11target_archE942ELNS1_3gpuE9ELNS1_3repE0EEENS1_30default_config_static_selectorELNS0_4arch9wavefront6targetE0EEEvT1_.num_vgpr, 0
	.set _ZN7rocprim17ROCPRIM_400000_NS6detail17trampoline_kernelINS0_14default_configENS1_25partition_config_selectorILNS1_17partition_subalgoE6EfNS0_10empty_typeEbEEZZNS1_14partition_implILS5_6ELb0ES3_mN6thrust23THRUST_200600_302600_NS6detail15normal_iteratorINSA_10device_ptrIfEEEEPS6_SG_NS0_5tupleIJSF_S6_EEENSH_IJSG_SG_EEES6_PlJNSB_9not_fun_tINSB_10functional5actorINSM_9compositeIJNSM_27transparent_binary_operatorINSA_8equal_toIvEEEENSN_INSM_8argumentILj0EEEEENSM_5valueIfEEEEEEEEEEEE10hipError_tPvRmT3_T4_T5_T6_T7_T9_mT8_P12ihipStream_tbDpT10_ENKUlT_T0_E_clISt17integral_constantIbLb0EES1K_EEDaS1F_S1G_EUlS1F_E_NS1_11comp_targetILNS1_3genE5ELNS1_11target_archE942ELNS1_3gpuE9ELNS1_3repE0EEENS1_30default_config_static_selectorELNS0_4arch9wavefront6targetE0EEEvT1_.num_agpr, 0
	.set _ZN7rocprim17ROCPRIM_400000_NS6detail17trampoline_kernelINS0_14default_configENS1_25partition_config_selectorILNS1_17partition_subalgoE6EfNS0_10empty_typeEbEEZZNS1_14partition_implILS5_6ELb0ES3_mN6thrust23THRUST_200600_302600_NS6detail15normal_iteratorINSA_10device_ptrIfEEEEPS6_SG_NS0_5tupleIJSF_S6_EEENSH_IJSG_SG_EEES6_PlJNSB_9not_fun_tINSB_10functional5actorINSM_9compositeIJNSM_27transparent_binary_operatorINSA_8equal_toIvEEEENSN_INSM_8argumentILj0EEEEENSM_5valueIfEEEEEEEEEEEE10hipError_tPvRmT3_T4_T5_T6_T7_T9_mT8_P12ihipStream_tbDpT10_ENKUlT_T0_E_clISt17integral_constantIbLb0EES1K_EEDaS1F_S1G_EUlS1F_E_NS1_11comp_targetILNS1_3genE5ELNS1_11target_archE942ELNS1_3gpuE9ELNS1_3repE0EEENS1_30default_config_static_selectorELNS0_4arch9wavefront6targetE0EEEvT1_.numbered_sgpr, 0
	.set _ZN7rocprim17ROCPRIM_400000_NS6detail17trampoline_kernelINS0_14default_configENS1_25partition_config_selectorILNS1_17partition_subalgoE6EfNS0_10empty_typeEbEEZZNS1_14partition_implILS5_6ELb0ES3_mN6thrust23THRUST_200600_302600_NS6detail15normal_iteratorINSA_10device_ptrIfEEEEPS6_SG_NS0_5tupleIJSF_S6_EEENSH_IJSG_SG_EEES6_PlJNSB_9not_fun_tINSB_10functional5actorINSM_9compositeIJNSM_27transparent_binary_operatorINSA_8equal_toIvEEEENSN_INSM_8argumentILj0EEEEENSM_5valueIfEEEEEEEEEEEE10hipError_tPvRmT3_T4_T5_T6_T7_T9_mT8_P12ihipStream_tbDpT10_ENKUlT_T0_E_clISt17integral_constantIbLb0EES1K_EEDaS1F_S1G_EUlS1F_E_NS1_11comp_targetILNS1_3genE5ELNS1_11target_archE942ELNS1_3gpuE9ELNS1_3repE0EEENS1_30default_config_static_selectorELNS0_4arch9wavefront6targetE0EEEvT1_.num_named_barrier, 0
	.set _ZN7rocprim17ROCPRIM_400000_NS6detail17trampoline_kernelINS0_14default_configENS1_25partition_config_selectorILNS1_17partition_subalgoE6EfNS0_10empty_typeEbEEZZNS1_14partition_implILS5_6ELb0ES3_mN6thrust23THRUST_200600_302600_NS6detail15normal_iteratorINSA_10device_ptrIfEEEEPS6_SG_NS0_5tupleIJSF_S6_EEENSH_IJSG_SG_EEES6_PlJNSB_9not_fun_tINSB_10functional5actorINSM_9compositeIJNSM_27transparent_binary_operatorINSA_8equal_toIvEEEENSN_INSM_8argumentILj0EEEEENSM_5valueIfEEEEEEEEEEEE10hipError_tPvRmT3_T4_T5_T6_T7_T9_mT8_P12ihipStream_tbDpT10_ENKUlT_T0_E_clISt17integral_constantIbLb0EES1K_EEDaS1F_S1G_EUlS1F_E_NS1_11comp_targetILNS1_3genE5ELNS1_11target_archE942ELNS1_3gpuE9ELNS1_3repE0EEENS1_30default_config_static_selectorELNS0_4arch9wavefront6targetE0EEEvT1_.private_seg_size, 0
	.set _ZN7rocprim17ROCPRIM_400000_NS6detail17trampoline_kernelINS0_14default_configENS1_25partition_config_selectorILNS1_17partition_subalgoE6EfNS0_10empty_typeEbEEZZNS1_14partition_implILS5_6ELb0ES3_mN6thrust23THRUST_200600_302600_NS6detail15normal_iteratorINSA_10device_ptrIfEEEEPS6_SG_NS0_5tupleIJSF_S6_EEENSH_IJSG_SG_EEES6_PlJNSB_9not_fun_tINSB_10functional5actorINSM_9compositeIJNSM_27transparent_binary_operatorINSA_8equal_toIvEEEENSN_INSM_8argumentILj0EEEEENSM_5valueIfEEEEEEEEEEEE10hipError_tPvRmT3_T4_T5_T6_T7_T9_mT8_P12ihipStream_tbDpT10_ENKUlT_T0_E_clISt17integral_constantIbLb0EES1K_EEDaS1F_S1G_EUlS1F_E_NS1_11comp_targetILNS1_3genE5ELNS1_11target_archE942ELNS1_3gpuE9ELNS1_3repE0EEENS1_30default_config_static_selectorELNS0_4arch9wavefront6targetE0EEEvT1_.uses_vcc, 0
	.set _ZN7rocprim17ROCPRIM_400000_NS6detail17trampoline_kernelINS0_14default_configENS1_25partition_config_selectorILNS1_17partition_subalgoE6EfNS0_10empty_typeEbEEZZNS1_14partition_implILS5_6ELb0ES3_mN6thrust23THRUST_200600_302600_NS6detail15normal_iteratorINSA_10device_ptrIfEEEEPS6_SG_NS0_5tupleIJSF_S6_EEENSH_IJSG_SG_EEES6_PlJNSB_9not_fun_tINSB_10functional5actorINSM_9compositeIJNSM_27transparent_binary_operatorINSA_8equal_toIvEEEENSN_INSM_8argumentILj0EEEEENSM_5valueIfEEEEEEEEEEEE10hipError_tPvRmT3_T4_T5_T6_T7_T9_mT8_P12ihipStream_tbDpT10_ENKUlT_T0_E_clISt17integral_constantIbLb0EES1K_EEDaS1F_S1G_EUlS1F_E_NS1_11comp_targetILNS1_3genE5ELNS1_11target_archE942ELNS1_3gpuE9ELNS1_3repE0EEENS1_30default_config_static_selectorELNS0_4arch9wavefront6targetE0EEEvT1_.uses_flat_scratch, 0
	.set _ZN7rocprim17ROCPRIM_400000_NS6detail17trampoline_kernelINS0_14default_configENS1_25partition_config_selectorILNS1_17partition_subalgoE6EfNS0_10empty_typeEbEEZZNS1_14partition_implILS5_6ELb0ES3_mN6thrust23THRUST_200600_302600_NS6detail15normal_iteratorINSA_10device_ptrIfEEEEPS6_SG_NS0_5tupleIJSF_S6_EEENSH_IJSG_SG_EEES6_PlJNSB_9not_fun_tINSB_10functional5actorINSM_9compositeIJNSM_27transparent_binary_operatorINSA_8equal_toIvEEEENSN_INSM_8argumentILj0EEEEENSM_5valueIfEEEEEEEEEEEE10hipError_tPvRmT3_T4_T5_T6_T7_T9_mT8_P12ihipStream_tbDpT10_ENKUlT_T0_E_clISt17integral_constantIbLb0EES1K_EEDaS1F_S1G_EUlS1F_E_NS1_11comp_targetILNS1_3genE5ELNS1_11target_archE942ELNS1_3gpuE9ELNS1_3repE0EEENS1_30default_config_static_selectorELNS0_4arch9wavefront6targetE0EEEvT1_.has_dyn_sized_stack, 0
	.set _ZN7rocprim17ROCPRIM_400000_NS6detail17trampoline_kernelINS0_14default_configENS1_25partition_config_selectorILNS1_17partition_subalgoE6EfNS0_10empty_typeEbEEZZNS1_14partition_implILS5_6ELb0ES3_mN6thrust23THRUST_200600_302600_NS6detail15normal_iteratorINSA_10device_ptrIfEEEEPS6_SG_NS0_5tupleIJSF_S6_EEENSH_IJSG_SG_EEES6_PlJNSB_9not_fun_tINSB_10functional5actorINSM_9compositeIJNSM_27transparent_binary_operatorINSA_8equal_toIvEEEENSN_INSM_8argumentILj0EEEEENSM_5valueIfEEEEEEEEEEEE10hipError_tPvRmT3_T4_T5_T6_T7_T9_mT8_P12ihipStream_tbDpT10_ENKUlT_T0_E_clISt17integral_constantIbLb0EES1K_EEDaS1F_S1G_EUlS1F_E_NS1_11comp_targetILNS1_3genE5ELNS1_11target_archE942ELNS1_3gpuE9ELNS1_3repE0EEENS1_30default_config_static_selectorELNS0_4arch9wavefront6targetE0EEEvT1_.has_recursion, 0
	.set _ZN7rocprim17ROCPRIM_400000_NS6detail17trampoline_kernelINS0_14default_configENS1_25partition_config_selectorILNS1_17partition_subalgoE6EfNS0_10empty_typeEbEEZZNS1_14partition_implILS5_6ELb0ES3_mN6thrust23THRUST_200600_302600_NS6detail15normal_iteratorINSA_10device_ptrIfEEEEPS6_SG_NS0_5tupleIJSF_S6_EEENSH_IJSG_SG_EEES6_PlJNSB_9not_fun_tINSB_10functional5actorINSM_9compositeIJNSM_27transparent_binary_operatorINSA_8equal_toIvEEEENSN_INSM_8argumentILj0EEEEENSM_5valueIfEEEEEEEEEEEE10hipError_tPvRmT3_T4_T5_T6_T7_T9_mT8_P12ihipStream_tbDpT10_ENKUlT_T0_E_clISt17integral_constantIbLb0EES1K_EEDaS1F_S1G_EUlS1F_E_NS1_11comp_targetILNS1_3genE5ELNS1_11target_archE942ELNS1_3gpuE9ELNS1_3repE0EEENS1_30default_config_static_selectorELNS0_4arch9wavefront6targetE0EEEvT1_.has_indirect_call, 0
	.section	.AMDGPU.csdata,"",@progbits
; Kernel info:
; codeLenInByte = 0
; TotalNumSgprs: 0
; NumVgprs: 0
; ScratchSize: 0
; MemoryBound: 0
; FloatMode: 240
; IeeeMode: 1
; LDSByteSize: 0 bytes/workgroup (compile time only)
; SGPRBlocks: 0
; VGPRBlocks: 0
; NumSGPRsForWavesPerEU: 1
; NumVGPRsForWavesPerEU: 1
; Occupancy: 16
; WaveLimiterHint : 0
; COMPUTE_PGM_RSRC2:SCRATCH_EN: 0
; COMPUTE_PGM_RSRC2:USER_SGPR: 2
; COMPUTE_PGM_RSRC2:TRAP_HANDLER: 0
; COMPUTE_PGM_RSRC2:TGID_X_EN: 1
; COMPUTE_PGM_RSRC2:TGID_Y_EN: 0
; COMPUTE_PGM_RSRC2:TGID_Z_EN: 0
; COMPUTE_PGM_RSRC2:TIDIG_COMP_CNT: 0
	.section	.text._ZN7rocprim17ROCPRIM_400000_NS6detail17trampoline_kernelINS0_14default_configENS1_25partition_config_selectorILNS1_17partition_subalgoE6EfNS0_10empty_typeEbEEZZNS1_14partition_implILS5_6ELb0ES3_mN6thrust23THRUST_200600_302600_NS6detail15normal_iteratorINSA_10device_ptrIfEEEEPS6_SG_NS0_5tupleIJSF_S6_EEENSH_IJSG_SG_EEES6_PlJNSB_9not_fun_tINSB_10functional5actorINSM_9compositeIJNSM_27transparent_binary_operatorINSA_8equal_toIvEEEENSN_INSM_8argumentILj0EEEEENSM_5valueIfEEEEEEEEEEEE10hipError_tPvRmT3_T4_T5_T6_T7_T9_mT8_P12ihipStream_tbDpT10_ENKUlT_T0_E_clISt17integral_constantIbLb0EES1K_EEDaS1F_S1G_EUlS1F_E_NS1_11comp_targetILNS1_3genE4ELNS1_11target_archE910ELNS1_3gpuE8ELNS1_3repE0EEENS1_30default_config_static_selectorELNS0_4arch9wavefront6targetE0EEEvT1_,"axG",@progbits,_ZN7rocprim17ROCPRIM_400000_NS6detail17trampoline_kernelINS0_14default_configENS1_25partition_config_selectorILNS1_17partition_subalgoE6EfNS0_10empty_typeEbEEZZNS1_14partition_implILS5_6ELb0ES3_mN6thrust23THRUST_200600_302600_NS6detail15normal_iteratorINSA_10device_ptrIfEEEEPS6_SG_NS0_5tupleIJSF_S6_EEENSH_IJSG_SG_EEES6_PlJNSB_9not_fun_tINSB_10functional5actorINSM_9compositeIJNSM_27transparent_binary_operatorINSA_8equal_toIvEEEENSN_INSM_8argumentILj0EEEEENSM_5valueIfEEEEEEEEEEEE10hipError_tPvRmT3_T4_T5_T6_T7_T9_mT8_P12ihipStream_tbDpT10_ENKUlT_T0_E_clISt17integral_constantIbLb0EES1K_EEDaS1F_S1G_EUlS1F_E_NS1_11comp_targetILNS1_3genE4ELNS1_11target_archE910ELNS1_3gpuE8ELNS1_3repE0EEENS1_30default_config_static_selectorELNS0_4arch9wavefront6targetE0EEEvT1_,comdat
	.protected	_ZN7rocprim17ROCPRIM_400000_NS6detail17trampoline_kernelINS0_14default_configENS1_25partition_config_selectorILNS1_17partition_subalgoE6EfNS0_10empty_typeEbEEZZNS1_14partition_implILS5_6ELb0ES3_mN6thrust23THRUST_200600_302600_NS6detail15normal_iteratorINSA_10device_ptrIfEEEEPS6_SG_NS0_5tupleIJSF_S6_EEENSH_IJSG_SG_EEES6_PlJNSB_9not_fun_tINSB_10functional5actorINSM_9compositeIJNSM_27transparent_binary_operatorINSA_8equal_toIvEEEENSN_INSM_8argumentILj0EEEEENSM_5valueIfEEEEEEEEEEEE10hipError_tPvRmT3_T4_T5_T6_T7_T9_mT8_P12ihipStream_tbDpT10_ENKUlT_T0_E_clISt17integral_constantIbLb0EES1K_EEDaS1F_S1G_EUlS1F_E_NS1_11comp_targetILNS1_3genE4ELNS1_11target_archE910ELNS1_3gpuE8ELNS1_3repE0EEENS1_30default_config_static_selectorELNS0_4arch9wavefront6targetE0EEEvT1_ ; -- Begin function _ZN7rocprim17ROCPRIM_400000_NS6detail17trampoline_kernelINS0_14default_configENS1_25partition_config_selectorILNS1_17partition_subalgoE6EfNS0_10empty_typeEbEEZZNS1_14partition_implILS5_6ELb0ES3_mN6thrust23THRUST_200600_302600_NS6detail15normal_iteratorINSA_10device_ptrIfEEEEPS6_SG_NS0_5tupleIJSF_S6_EEENSH_IJSG_SG_EEES6_PlJNSB_9not_fun_tINSB_10functional5actorINSM_9compositeIJNSM_27transparent_binary_operatorINSA_8equal_toIvEEEENSN_INSM_8argumentILj0EEEEENSM_5valueIfEEEEEEEEEEEE10hipError_tPvRmT3_T4_T5_T6_T7_T9_mT8_P12ihipStream_tbDpT10_ENKUlT_T0_E_clISt17integral_constantIbLb0EES1K_EEDaS1F_S1G_EUlS1F_E_NS1_11comp_targetILNS1_3genE4ELNS1_11target_archE910ELNS1_3gpuE8ELNS1_3repE0EEENS1_30default_config_static_selectorELNS0_4arch9wavefront6targetE0EEEvT1_
	.globl	_ZN7rocprim17ROCPRIM_400000_NS6detail17trampoline_kernelINS0_14default_configENS1_25partition_config_selectorILNS1_17partition_subalgoE6EfNS0_10empty_typeEbEEZZNS1_14partition_implILS5_6ELb0ES3_mN6thrust23THRUST_200600_302600_NS6detail15normal_iteratorINSA_10device_ptrIfEEEEPS6_SG_NS0_5tupleIJSF_S6_EEENSH_IJSG_SG_EEES6_PlJNSB_9not_fun_tINSB_10functional5actorINSM_9compositeIJNSM_27transparent_binary_operatorINSA_8equal_toIvEEEENSN_INSM_8argumentILj0EEEEENSM_5valueIfEEEEEEEEEEEE10hipError_tPvRmT3_T4_T5_T6_T7_T9_mT8_P12ihipStream_tbDpT10_ENKUlT_T0_E_clISt17integral_constantIbLb0EES1K_EEDaS1F_S1G_EUlS1F_E_NS1_11comp_targetILNS1_3genE4ELNS1_11target_archE910ELNS1_3gpuE8ELNS1_3repE0EEENS1_30default_config_static_selectorELNS0_4arch9wavefront6targetE0EEEvT1_
	.p2align	8
	.type	_ZN7rocprim17ROCPRIM_400000_NS6detail17trampoline_kernelINS0_14default_configENS1_25partition_config_selectorILNS1_17partition_subalgoE6EfNS0_10empty_typeEbEEZZNS1_14partition_implILS5_6ELb0ES3_mN6thrust23THRUST_200600_302600_NS6detail15normal_iteratorINSA_10device_ptrIfEEEEPS6_SG_NS0_5tupleIJSF_S6_EEENSH_IJSG_SG_EEES6_PlJNSB_9not_fun_tINSB_10functional5actorINSM_9compositeIJNSM_27transparent_binary_operatorINSA_8equal_toIvEEEENSN_INSM_8argumentILj0EEEEENSM_5valueIfEEEEEEEEEEEE10hipError_tPvRmT3_T4_T5_T6_T7_T9_mT8_P12ihipStream_tbDpT10_ENKUlT_T0_E_clISt17integral_constantIbLb0EES1K_EEDaS1F_S1G_EUlS1F_E_NS1_11comp_targetILNS1_3genE4ELNS1_11target_archE910ELNS1_3gpuE8ELNS1_3repE0EEENS1_30default_config_static_selectorELNS0_4arch9wavefront6targetE0EEEvT1_,@function
_ZN7rocprim17ROCPRIM_400000_NS6detail17trampoline_kernelINS0_14default_configENS1_25partition_config_selectorILNS1_17partition_subalgoE6EfNS0_10empty_typeEbEEZZNS1_14partition_implILS5_6ELb0ES3_mN6thrust23THRUST_200600_302600_NS6detail15normal_iteratorINSA_10device_ptrIfEEEEPS6_SG_NS0_5tupleIJSF_S6_EEENSH_IJSG_SG_EEES6_PlJNSB_9not_fun_tINSB_10functional5actorINSM_9compositeIJNSM_27transparent_binary_operatorINSA_8equal_toIvEEEENSN_INSM_8argumentILj0EEEEENSM_5valueIfEEEEEEEEEEEE10hipError_tPvRmT3_T4_T5_T6_T7_T9_mT8_P12ihipStream_tbDpT10_ENKUlT_T0_E_clISt17integral_constantIbLb0EES1K_EEDaS1F_S1G_EUlS1F_E_NS1_11comp_targetILNS1_3genE4ELNS1_11target_archE910ELNS1_3gpuE8ELNS1_3repE0EEENS1_30default_config_static_selectorELNS0_4arch9wavefront6targetE0EEEvT1_: ; @_ZN7rocprim17ROCPRIM_400000_NS6detail17trampoline_kernelINS0_14default_configENS1_25partition_config_selectorILNS1_17partition_subalgoE6EfNS0_10empty_typeEbEEZZNS1_14partition_implILS5_6ELb0ES3_mN6thrust23THRUST_200600_302600_NS6detail15normal_iteratorINSA_10device_ptrIfEEEEPS6_SG_NS0_5tupleIJSF_S6_EEENSH_IJSG_SG_EEES6_PlJNSB_9not_fun_tINSB_10functional5actorINSM_9compositeIJNSM_27transparent_binary_operatorINSA_8equal_toIvEEEENSN_INSM_8argumentILj0EEEEENSM_5valueIfEEEEEEEEEEEE10hipError_tPvRmT3_T4_T5_T6_T7_T9_mT8_P12ihipStream_tbDpT10_ENKUlT_T0_E_clISt17integral_constantIbLb0EES1K_EEDaS1F_S1G_EUlS1F_E_NS1_11comp_targetILNS1_3genE4ELNS1_11target_archE910ELNS1_3gpuE8ELNS1_3repE0EEENS1_30default_config_static_selectorELNS0_4arch9wavefront6targetE0EEEvT1_
; %bb.0:
	.section	.rodata,"a",@progbits
	.p2align	6, 0x0
	.amdhsa_kernel _ZN7rocprim17ROCPRIM_400000_NS6detail17trampoline_kernelINS0_14default_configENS1_25partition_config_selectorILNS1_17partition_subalgoE6EfNS0_10empty_typeEbEEZZNS1_14partition_implILS5_6ELb0ES3_mN6thrust23THRUST_200600_302600_NS6detail15normal_iteratorINSA_10device_ptrIfEEEEPS6_SG_NS0_5tupleIJSF_S6_EEENSH_IJSG_SG_EEES6_PlJNSB_9not_fun_tINSB_10functional5actorINSM_9compositeIJNSM_27transparent_binary_operatorINSA_8equal_toIvEEEENSN_INSM_8argumentILj0EEEEENSM_5valueIfEEEEEEEEEEEE10hipError_tPvRmT3_T4_T5_T6_T7_T9_mT8_P12ihipStream_tbDpT10_ENKUlT_T0_E_clISt17integral_constantIbLb0EES1K_EEDaS1F_S1G_EUlS1F_E_NS1_11comp_targetILNS1_3genE4ELNS1_11target_archE910ELNS1_3gpuE8ELNS1_3repE0EEENS1_30default_config_static_selectorELNS0_4arch9wavefront6targetE0EEEvT1_
		.amdhsa_group_segment_fixed_size 0
		.amdhsa_private_segment_fixed_size 0
		.amdhsa_kernarg_size 120
		.amdhsa_user_sgpr_count 2
		.amdhsa_user_sgpr_dispatch_ptr 0
		.amdhsa_user_sgpr_queue_ptr 0
		.amdhsa_user_sgpr_kernarg_segment_ptr 1
		.amdhsa_user_sgpr_dispatch_id 0
		.amdhsa_user_sgpr_private_segment_size 0
		.amdhsa_wavefront_size32 1
		.amdhsa_uses_dynamic_stack 0
		.amdhsa_enable_private_segment 0
		.amdhsa_system_sgpr_workgroup_id_x 1
		.amdhsa_system_sgpr_workgroup_id_y 0
		.amdhsa_system_sgpr_workgroup_id_z 0
		.amdhsa_system_sgpr_workgroup_info 0
		.amdhsa_system_vgpr_workitem_id 0
		.amdhsa_next_free_vgpr 1
		.amdhsa_next_free_sgpr 1
		.amdhsa_reserve_vcc 0
		.amdhsa_float_round_mode_32 0
		.amdhsa_float_round_mode_16_64 0
		.amdhsa_float_denorm_mode_32 3
		.amdhsa_float_denorm_mode_16_64 3
		.amdhsa_fp16_overflow 0
		.amdhsa_workgroup_processor_mode 1
		.amdhsa_memory_ordered 1
		.amdhsa_forward_progress 1
		.amdhsa_inst_pref_size 0
		.amdhsa_round_robin_scheduling 0
		.amdhsa_exception_fp_ieee_invalid_op 0
		.amdhsa_exception_fp_denorm_src 0
		.amdhsa_exception_fp_ieee_div_zero 0
		.amdhsa_exception_fp_ieee_overflow 0
		.amdhsa_exception_fp_ieee_underflow 0
		.amdhsa_exception_fp_ieee_inexact 0
		.amdhsa_exception_int_div_zero 0
	.end_amdhsa_kernel
	.section	.text._ZN7rocprim17ROCPRIM_400000_NS6detail17trampoline_kernelINS0_14default_configENS1_25partition_config_selectorILNS1_17partition_subalgoE6EfNS0_10empty_typeEbEEZZNS1_14partition_implILS5_6ELb0ES3_mN6thrust23THRUST_200600_302600_NS6detail15normal_iteratorINSA_10device_ptrIfEEEEPS6_SG_NS0_5tupleIJSF_S6_EEENSH_IJSG_SG_EEES6_PlJNSB_9not_fun_tINSB_10functional5actorINSM_9compositeIJNSM_27transparent_binary_operatorINSA_8equal_toIvEEEENSN_INSM_8argumentILj0EEEEENSM_5valueIfEEEEEEEEEEEE10hipError_tPvRmT3_T4_T5_T6_T7_T9_mT8_P12ihipStream_tbDpT10_ENKUlT_T0_E_clISt17integral_constantIbLb0EES1K_EEDaS1F_S1G_EUlS1F_E_NS1_11comp_targetILNS1_3genE4ELNS1_11target_archE910ELNS1_3gpuE8ELNS1_3repE0EEENS1_30default_config_static_selectorELNS0_4arch9wavefront6targetE0EEEvT1_,"axG",@progbits,_ZN7rocprim17ROCPRIM_400000_NS6detail17trampoline_kernelINS0_14default_configENS1_25partition_config_selectorILNS1_17partition_subalgoE6EfNS0_10empty_typeEbEEZZNS1_14partition_implILS5_6ELb0ES3_mN6thrust23THRUST_200600_302600_NS6detail15normal_iteratorINSA_10device_ptrIfEEEEPS6_SG_NS0_5tupleIJSF_S6_EEENSH_IJSG_SG_EEES6_PlJNSB_9not_fun_tINSB_10functional5actorINSM_9compositeIJNSM_27transparent_binary_operatorINSA_8equal_toIvEEEENSN_INSM_8argumentILj0EEEEENSM_5valueIfEEEEEEEEEEEE10hipError_tPvRmT3_T4_T5_T6_T7_T9_mT8_P12ihipStream_tbDpT10_ENKUlT_T0_E_clISt17integral_constantIbLb0EES1K_EEDaS1F_S1G_EUlS1F_E_NS1_11comp_targetILNS1_3genE4ELNS1_11target_archE910ELNS1_3gpuE8ELNS1_3repE0EEENS1_30default_config_static_selectorELNS0_4arch9wavefront6targetE0EEEvT1_,comdat
.Lfunc_end49:
	.size	_ZN7rocprim17ROCPRIM_400000_NS6detail17trampoline_kernelINS0_14default_configENS1_25partition_config_selectorILNS1_17partition_subalgoE6EfNS0_10empty_typeEbEEZZNS1_14partition_implILS5_6ELb0ES3_mN6thrust23THRUST_200600_302600_NS6detail15normal_iteratorINSA_10device_ptrIfEEEEPS6_SG_NS0_5tupleIJSF_S6_EEENSH_IJSG_SG_EEES6_PlJNSB_9not_fun_tINSB_10functional5actorINSM_9compositeIJNSM_27transparent_binary_operatorINSA_8equal_toIvEEEENSN_INSM_8argumentILj0EEEEENSM_5valueIfEEEEEEEEEEEE10hipError_tPvRmT3_T4_T5_T6_T7_T9_mT8_P12ihipStream_tbDpT10_ENKUlT_T0_E_clISt17integral_constantIbLb0EES1K_EEDaS1F_S1G_EUlS1F_E_NS1_11comp_targetILNS1_3genE4ELNS1_11target_archE910ELNS1_3gpuE8ELNS1_3repE0EEENS1_30default_config_static_selectorELNS0_4arch9wavefront6targetE0EEEvT1_, .Lfunc_end49-_ZN7rocprim17ROCPRIM_400000_NS6detail17trampoline_kernelINS0_14default_configENS1_25partition_config_selectorILNS1_17partition_subalgoE6EfNS0_10empty_typeEbEEZZNS1_14partition_implILS5_6ELb0ES3_mN6thrust23THRUST_200600_302600_NS6detail15normal_iteratorINSA_10device_ptrIfEEEEPS6_SG_NS0_5tupleIJSF_S6_EEENSH_IJSG_SG_EEES6_PlJNSB_9not_fun_tINSB_10functional5actorINSM_9compositeIJNSM_27transparent_binary_operatorINSA_8equal_toIvEEEENSN_INSM_8argumentILj0EEEEENSM_5valueIfEEEEEEEEEEEE10hipError_tPvRmT3_T4_T5_T6_T7_T9_mT8_P12ihipStream_tbDpT10_ENKUlT_T0_E_clISt17integral_constantIbLb0EES1K_EEDaS1F_S1G_EUlS1F_E_NS1_11comp_targetILNS1_3genE4ELNS1_11target_archE910ELNS1_3gpuE8ELNS1_3repE0EEENS1_30default_config_static_selectorELNS0_4arch9wavefront6targetE0EEEvT1_
                                        ; -- End function
	.set _ZN7rocprim17ROCPRIM_400000_NS6detail17trampoline_kernelINS0_14default_configENS1_25partition_config_selectorILNS1_17partition_subalgoE6EfNS0_10empty_typeEbEEZZNS1_14partition_implILS5_6ELb0ES3_mN6thrust23THRUST_200600_302600_NS6detail15normal_iteratorINSA_10device_ptrIfEEEEPS6_SG_NS0_5tupleIJSF_S6_EEENSH_IJSG_SG_EEES6_PlJNSB_9not_fun_tINSB_10functional5actorINSM_9compositeIJNSM_27transparent_binary_operatorINSA_8equal_toIvEEEENSN_INSM_8argumentILj0EEEEENSM_5valueIfEEEEEEEEEEEE10hipError_tPvRmT3_T4_T5_T6_T7_T9_mT8_P12ihipStream_tbDpT10_ENKUlT_T0_E_clISt17integral_constantIbLb0EES1K_EEDaS1F_S1G_EUlS1F_E_NS1_11comp_targetILNS1_3genE4ELNS1_11target_archE910ELNS1_3gpuE8ELNS1_3repE0EEENS1_30default_config_static_selectorELNS0_4arch9wavefront6targetE0EEEvT1_.num_vgpr, 0
	.set _ZN7rocprim17ROCPRIM_400000_NS6detail17trampoline_kernelINS0_14default_configENS1_25partition_config_selectorILNS1_17partition_subalgoE6EfNS0_10empty_typeEbEEZZNS1_14partition_implILS5_6ELb0ES3_mN6thrust23THRUST_200600_302600_NS6detail15normal_iteratorINSA_10device_ptrIfEEEEPS6_SG_NS0_5tupleIJSF_S6_EEENSH_IJSG_SG_EEES6_PlJNSB_9not_fun_tINSB_10functional5actorINSM_9compositeIJNSM_27transparent_binary_operatorINSA_8equal_toIvEEEENSN_INSM_8argumentILj0EEEEENSM_5valueIfEEEEEEEEEEEE10hipError_tPvRmT3_T4_T5_T6_T7_T9_mT8_P12ihipStream_tbDpT10_ENKUlT_T0_E_clISt17integral_constantIbLb0EES1K_EEDaS1F_S1G_EUlS1F_E_NS1_11comp_targetILNS1_3genE4ELNS1_11target_archE910ELNS1_3gpuE8ELNS1_3repE0EEENS1_30default_config_static_selectorELNS0_4arch9wavefront6targetE0EEEvT1_.num_agpr, 0
	.set _ZN7rocprim17ROCPRIM_400000_NS6detail17trampoline_kernelINS0_14default_configENS1_25partition_config_selectorILNS1_17partition_subalgoE6EfNS0_10empty_typeEbEEZZNS1_14partition_implILS5_6ELb0ES3_mN6thrust23THRUST_200600_302600_NS6detail15normal_iteratorINSA_10device_ptrIfEEEEPS6_SG_NS0_5tupleIJSF_S6_EEENSH_IJSG_SG_EEES6_PlJNSB_9not_fun_tINSB_10functional5actorINSM_9compositeIJNSM_27transparent_binary_operatorINSA_8equal_toIvEEEENSN_INSM_8argumentILj0EEEEENSM_5valueIfEEEEEEEEEEEE10hipError_tPvRmT3_T4_T5_T6_T7_T9_mT8_P12ihipStream_tbDpT10_ENKUlT_T0_E_clISt17integral_constantIbLb0EES1K_EEDaS1F_S1G_EUlS1F_E_NS1_11comp_targetILNS1_3genE4ELNS1_11target_archE910ELNS1_3gpuE8ELNS1_3repE0EEENS1_30default_config_static_selectorELNS0_4arch9wavefront6targetE0EEEvT1_.numbered_sgpr, 0
	.set _ZN7rocprim17ROCPRIM_400000_NS6detail17trampoline_kernelINS0_14default_configENS1_25partition_config_selectorILNS1_17partition_subalgoE6EfNS0_10empty_typeEbEEZZNS1_14partition_implILS5_6ELb0ES3_mN6thrust23THRUST_200600_302600_NS6detail15normal_iteratorINSA_10device_ptrIfEEEEPS6_SG_NS0_5tupleIJSF_S6_EEENSH_IJSG_SG_EEES6_PlJNSB_9not_fun_tINSB_10functional5actorINSM_9compositeIJNSM_27transparent_binary_operatorINSA_8equal_toIvEEEENSN_INSM_8argumentILj0EEEEENSM_5valueIfEEEEEEEEEEEE10hipError_tPvRmT3_T4_T5_T6_T7_T9_mT8_P12ihipStream_tbDpT10_ENKUlT_T0_E_clISt17integral_constantIbLb0EES1K_EEDaS1F_S1G_EUlS1F_E_NS1_11comp_targetILNS1_3genE4ELNS1_11target_archE910ELNS1_3gpuE8ELNS1_3repE0EEENS1_30default_config_static_selectorELNS0_4arch9wavefront6targetE0EEEvT1_.num_named_barrier, 0
	.set _ZN7rocprim17ROCPRIM_400000_NS6detail17trampoline_kernelINS0_14default_configENS1_25partition_config_selectorILNS1_17partition_subalgoE6EfNS0_10empty_typeEbEEZZNS1_14partition_implILS5_6ELb0ES3_mN6thrust23THRUST_200600_302600_NS6detail15normal_iteratorINSA_10device_ptrIfEEEEPS6_SG_NS0_5tupleIJSF_S6_EEENSH_IJSG_SG_EEES6_PlJNSB_9not_fun_tINSB_10functional5actorINSM_9compositeIJNSM_27transparent_binary_operatorINSA_8equal_toIvEEEENSN_INSM_8argumentILj0EEEEENSM_5valueIfEEEEEEEEEEEE10hipError_tPvRmT3_T4_T5_T6_T7_T9_mT8_P12ihipStream_tbDpT10_ENKUlT_T0_E_clISt17integral_constantIbLb0EES1K_EEDaS1F_S1G_EUlS1F_E_NS1_11comp_targetILNS1_3genE4ELNS1_11target_archE910ELNS1_3gpuE8ELNS1_3repE0EEENS1_30default_config_static_selectorELNS0_4arch9wavefront6targetE0EEEvT1_.private_seg_size, 0
	.set _ZN7rocprim17ROCPRIM_400000_NS6detail17trampoline_kernelINS0_14default_configENS1_25partition_config_selectorILNS1_17partition_subalgoE6EfNS0_10empty_typeEbEEZZNS1_14partition_implILS5_6ELb0ES3_mN6thrust23THRUST_200600_302600_NS6detail15normal_iteratorINSA_10device_ptrIfEEEEPS6_SG_NS0_5tupleIJSF_S6_EEENSH_IJSG_SG_EEES6_PlJNSB_9not_fun_tINSB_10functional5actorINSM_9compositeIJNSM_27transparent_binary_operatorINSA_8equal_toIvEEEENSN_INSM_8argumentILj0EEEEENSM_5valueIfEEEEEEEEEEEE10hipError_tPvRmT3_T4_T5_T6_T7_T9_mT8_P12ihipStream_tbDpT10_ENKUlT_T0_E_clISt17integral_constantIbLb0EES1K_EEDaS1F_S1G_EUlS1F_E_NS1_11comp_targetILNS1_3genE4ELNS1_11target_archE910ELNS1_3gpuE8ELNS1_3repE0EEENS1_30default_config_static_selectorELNS0_4arch9wavefront6targetE0EEEvT1_.uses_vcc, 0
	.set _ZN7rocprim17ROCPRIM_400000_NS6detail17trampoline_kernelINS0_14default_configENS1_25partition_config_selectorILNS1_17partition_subalgoE6EfNS0_10empty_typeEbEEZZNS1_14partition_implILS5_6ELb0ES3_mN6thrust23THRUST_200600_302600_NS6detail15normal_iteratorINSA_10device_ptrIfEEEEPS6_SG_NS0_5tupleIJSF_S6_EEENSH_IJSG_SG_EEES6_PlJNSB_9not_fun_tINSB_10functional5actorINSM_9compositeIJNSM_27transparent_binary_operatorINSA_8equal_toIvEEEENSN_INSM_8argumentILj0EEEEENSM_5valueIfEEEEEEEEEEEE10hipError_tPvRmT3_T4_T5_T6_T7_T9_mT8_P12ihipStream_tbDpT10_ENKUlT_T0_E_clISt17integral_constantIbLb0EES1K_EEDaS1F_S1G_EUlS1F_E_NS1_11comp_targetILNS1_3genE4ELNS1_11target_archE910ELNS1_3gpuE8ELNS1_3repE0EEENS1_30default_config_static_selectorELNS0_4arch9wavefront6targetE0EEEvT1_.uses_flat_scratch, 0
	.set _ZN7rocprim17ROCPRIM_400000_NS6detail17trampoline_kernelINS0_14default_configENS1_25partition_config_selectorILNS1_17partition_subalgoE6EfNS0_10empty_typeEbEEZZNS1_14partition_implILS5_6ELb0ES3_mN6thrust23THRUST_200600_302600_NS6detail15normal_iteratorINSA_10device_ptrIfEEEEPS6_SG_NS0_5tupleIJSF_S6_EEENSH_IJSG_SG_EEES6_PlJNSB_9not_fun_tINSB_10functional5actorINSM_9compositeIJNSM_27transparent_binary_operatorINSA_8equal_toIvEEEENSN_INSM_8argumentILj0EEEEENSM_5valueIfEEEEEEEEEEEE10hipError_tPvRmT3_T4_T5_T6_T7_T9_mT8_P12ihipStream_tbDpT10_ENKUlT_T0_E_clISt17integral_constantIbLb0EES1K_EEDaS1F_S1G_EUlS1F_E_NS1_11comp_targetILNS1_3genE4ELNS1_11target_archE910ELNS1_3gpuE8ELNS1_3repE0EEENS1_30default_config_static_selectorELNS0_4arch9wavefront6targetE0EEEvT1_.has_dyn_sized_stack, 0
	.set _ZN7rocprim17ROCPRIM_400000_NS6detail17trampoline_kernelINS0_14default_configENS1_25partition_config_selectorILNS1_17partition_subalgoE6EfNS0_10empty_typeEbEEZZNS1_14partition_implILS5_6ELb0ES3_mN6thrust23THRUST_200600_302600_NS6detail15normal_iteratorINSA_10device_ptrIfEEEEPS6_SG_NS0_5tupleIJSF_S6_EEENSH_IJSG_SG_EEES6_PlJNSB_9not_fun_tINSB_10functional5actorINSM_9compositeIJNSM_27transparent_binary_operatorINSA_8equal_toIvEEEENSN_INSM_8argumentILj0EEEEENSM_5valueIfEEEEEEEEEEEE10hipError_tPvRmT3_T4_T5_T6_T7_T9_mT8_P12ihipStream_tbDpT10_ENKUlT_T0_E_clISt17integral_constantIbLb0EES1K_EEDaS1F_S1G_EUlS1F_E_NS1_11comp_targetILNS1_3genE4ELNS1_11target_archE910ELNS1_3gpuE8ELNS1_3repE0EEENS1_30default_config_static_selectorELNS0_4arch9wavefront6targetE0EEEvT1_.has_recursion, 0
	.set _ZN7rocprim17ROCPRIM_400000_NS6detail17trampoline_kernelINS0_14default_configENS1_25partition_config_selectorILNS1_17partition_subalgoE6EfNS0_10empty_typeEbEEZZNS1_14partition_implILS5_6ELb0ES3_mN6thrust23THRUST_200600_302600_NS6detail15normal_iteratorINSA_10device_ptrIfEEEEPS6_SG_NS0_5tupleIJSF_S6_EEENSH_IJSG_SG_EEES6_PlJNSB_9not_fun_tINSB_10functional5actorINSM_9compositeIJNSM_27transparent_binary_operatorINSA_8equal_toIvEEEENSN_INSM_8argumentILj0EEEEENSM_5valueIfEEEEEEEEEEEE10hipError_tPvRmT3_T4_T5_T6_T7_T9_mT8_P12ihipStream_tbDpT10_ENKUlT_T0_E_clISt17integral_constantIbLb0EES1K_EEDaS1F_S1G_EUlS1F_E_NS1_11comp_targetILNS1_3genE4ELNS1_11target_archE910ELNS1_3gpuE8ELNS1_3repE0EEENS1_30default_config_static_selectorELNS0_4arch9wavefront6targetE0EEEvT1_.has_indirect_call, 0
	.section	.AMDGPU.csdata,"",@progbits
; Kernel info:
; codeLenInByte = 0
; TotalNumSgprs: 0
; NumVgprs: 0
; ScratchSize: 0
; MemoryBound: 0
; FloatMode: 240
; IeeeMode: 1
; LDSByteSize: 0 bytes/workgroup (compile time only)
; SGPRBlocks: 0
; VGPRBlocks: 0
; NumSGPRsForWavesPerEU: 1
; NumVGPRsForWavesPerEU: 1
; Occupancy: 16
; WaveLimiterHint : 0
; COMPUTE_PGM_RSRC2:SCRATCH_EN: 0
; COMPUTE_PGM_RSRC2:USER_SGPR: 2
; COMPUTE_PGM_RSRC2:TRAP_HANDLER: 0
; COMPUTE_PGM_RSRC2:TGID_X_EN: 1
; COMPUTE_PGM_RSRC2:TGID_Y_EN: 0
; COMPUTE_PGM_RSRC2:TGID_Z_EN: 0
; COMPUTE_PGM_RSRC2:TIDIG_COMP_CNT: 0
	.section	.text._ZN7rocprim17ROCPRIM_400000_NS6detail17trampoline_kernelINS0_14default_configENS1_25partition_config_selectorILNS1_17partition_subalgoE6EfNS0_10empty_typeEbEEZZNS1_14partition_implILS5_6ELb0ES3_mN6thrust23THRUST_200600_302600_NS6detail15normal_iteratorINSA_10device_ptrIfEEEEPS6_SG_NS0_5tupleIJSF_S6_EEENSH_IJSG_SG_EEES6_PlJNSB_9not_fun_tINSB_10functional5actorINSM_9compositeIJNSM_27transparent_binary_operatorINSA_8equal_toIvEEEENSN_INSM_8argumentILj0EEEEENSM_5valueIfEEEEEEEEEEEE10hipError_tPvRmT3_T4_T5_T6_T7_T9_mT8_P12ihipStream_tbDpT10_ENKUlT_T0_E_clISt17integral_constantIbLb0EES1K_EEDaS1F_S1G_EUlS1F_E_NS1_11comp_targetILNS1_3genE3ELNS1_11target_archE908ELNS1_3gpuE7ELNS1_3repE0EEENS1_30default_config_static_selectorELNS0_4arch9wavefront6targetE0EEEvT1_,"axG",@progbits,_ZN7rocprim17ROCPRIM_400000_NS6detail17trampoline_kernelINS0_14default_configENS1_25partition_config_selectorILNS1_17partition_subalgoE6EfNS0_10empty_typeEbEEZZNS1_14partition_implILS5_6ELb0ES3_mN6thrust23THRUST_200600_302600_NS6detail15normal_iteratorINSA_10device_ptrIfEEEEPS6_SG_NS0_5tupleIJSF_S6_EEENSH_IJSG_SG_EEES6_PlJNSB_9not_fun_tINSB_10functional5actorINSM_9compositeIJNSM_27transparent_binary_operatorINSA_8equal_toIvEEEENSN_INSM_8argumentILj0EEEEENSM_5valueIfEEEEEEEEEEEE10hipError_tPvRmT3_T4_T5_T6_T7_T9_mT8_P12ihipStream_tbDpT10_ENKUlT_T0_E_clISt17integral_constantIbLb0EES1K_EEDaS1F_S1G_EUlS1F_E_NS1_11comp_targetILNS1_3genE3ELNS1_11target_archE908ELNS1_3gpuE7ELNS1_3repE0EEENS1_30default_config_static_selectorELNS0_4arch9wavefront6targetE0EEEvT1_,comdat
	.protected	_ZN7rocprim17ROCPRIM_400000_NS6detail17trampoline_kernelINS0_14default_configENS1_25partition_config_selectorILNS1_17partition_subalgoE6EfNS0_10empty_typeEbEEZZNS1_14partition_implILS5_6ELb0ES3_mN6thrust23THRUST_200600_302600_NS6detail15normal_iteratorINSA_10device_ptrIfEEEEPS6_SG_NS0_5tupleIJSF_S6_EEENSH_IJSG_SG_EEES6_PlJNSB_9not_fun_tINSB_10functional5actorINSM_9compositeIJNSM_27transparent_binary_operatorINSA_8equal_toIvEEEENSN_INSM_8argumentILj0EEEEENSM_5valueIfEEEEEEEEEEEE10hipError_tPvRmT3_T4_T5_T6_T7_T9_mT8_P12ihipStream_tbDpT10_ENKUlT_T0_E_clISt17integral_constantIbLb0EES1K_EEDaS1F_S1G_EUlS1F_E_NS1_11comp_targetILNS1_3genE3ELNS1_11target_archE908ELNS1_3gpuE7ELNS1_3repE0EEENS1_30default_config_static_selectorELNS0_4arch9wavefront6targetE0EEEvT1_ ; -- Begin function _ZN7rocprim17ROCPRIM_400000_NS6detail17trampoline_kernelINS0_14default_configENS1_25partition_config_selectorILNS1_17partition_subalgoE6EfNS0_10empty_typeEbEEZZNS1_14partition_implILS5_6ELb0ES3_mN6thrust23THRUST_200600_302600_NS6detail15normal_iteratorINSA_10device_ptrIfEEEEPS6_SG_NS0_5tupleIJSF_S6_EEENSH_IJSG_SG_EEES6_PlJNSB_9not_fun_tINSB_10functional5actorINSM_9compositeIJNSM_27transparent_binary_operatorINSA_8equal_toIvEEEENSN_INSM_8argumentILj0EEEEENSM_5valueIfEEEEEEEEEEEE10hipError_tPvRmT3_T4_T5_T6_T7_T9_mT8_P12ihipStream_tbDpT10_ENKUlT_T0_E_clISt17integral_constantIbLb0EES1K_EEDaS1F_S1G_EUlS1F_E_NS1_11comp_targetILNS1_3genE3ELNS1_11target_archE908ELNS1_3gpuE7ELNS1_3repE0EEENS1_30default_config_static_selectorELNS0_4arch9wavefront6targetE0EEEvT1_
	.globl	_ZN7rocprim17ROCPRIM_400000_NS6detail17trampoline_kernelINS0_14default_configENS1_25partition_config_selectorILNS1_17partition_subalgoE6EfNS0_10empty_typeEbEEZZNS1_14partition_implILS5_6ELb0ES3_mN6thrust23THRUST_200600_302600_NS6detail15normal_iteratorINSA_10device_ptrIfEEEEPS6_SG_NS0_5tupleIJSF_S6_EEENSH_IJSG_SG_EEES6_PlJNSB_9not_fun_tINSB_10functional5actorINSM_9compositeIJNSM_27transparent_binary_operatorINSA_8equal_toIvEEEENSN_INSM_8argumentILj0EEEEENSM_5valueIfEEEEEEEEEEEE10hipError_tPvRmT3_T4_T5_T6_T7_T9_mT8_P12ihipStream_tbDpT10_ENKUlT_T0_E_clISt17integral_constantIbLb0EES1K_EEDaS1F_S1G_EUlS1F_E_NS1_11comp_targetILNS1_3genE3ELNS1_11target_archE908ELNS1_3gpuE7ELNS1_3repE0EEENS1_30default_config_static_selectorELNS0_4arch9wavefront6targetE0EEEvT1_
	.p2align	8
	.type	_ZN7rocprim17ROCPRIM_400000_NS6detail17trampoline_kernelINS0_14default_configENS1_25partition_config_selectorILNS1_17partition_subalgoE6EfNS0_10empty_typeEbEEZZNS1_14partition_implILS5_6ELb0ES3_mN6thrust23THRUST_200600_302600_NS6detail15normal_iteratorINSA_10device_ptrIfEEEEPS6_SG_NS0_5tupleIJSF_S6_EEENSH_IJSG_SG_EEES6_PlJNSB_9not_fun_tINSB_10functional5actorINSM_9compositeIJNSM_27transparent_binary_operatorINSA_8equal_toIvEEEENSN_INSM_8argumentILj0EEEEENSM_5valueIfEEEEEEEEEEEE10hipError_tPvRmT3_T4_T5_T6_T7_T9_mT8_P12ihipStream_tbDpT10_ENKUlT_T0_E_clISt17integral_constantIbLb0EES1K_EEDaS1F_S1G_EUlS1F_E_NS1_11comp_targetILNS1_3genE3ELNS1_11target_archE908ELNS1_3gpuE7ELNS1_3repE0EEENS1_30default_config_static_selectorELNS0_4arch9wavefront6targetE0EEEvT1_,@function
_ZN7rocprim17ROCPRIM_400000_NS6detail17trampoline_kernelINS0_14default_configENS1_25partition_config_selectorILNS1_17partition_subalgoE6EfNS0_10empty_typeEbEEZZNS1_14partition_implILS5_6ELb0ES3_mN6thrust23THRUST_200600_302600_NS6detail15normal_iteratorINSA_10device_ptrIfEEEEPS6_SG_NS0_5tupleIJSF_S6_EEENSH_IJSG_SG_EEES6_PlJNSB_9not_fun_tINSB_10functional5actorINSM_9compositeIJNSM_27transparent_binary_operatorINSA_8equal_toIvEEEENSN_INSM_8argumentILj0EEEEENSM_5valueIfEEEEEEEEEEEE10hipError_tPvRmT3_T4_T5_T6_T7_T9_mT8_P12ihipStream_tbDpT10_ENKUlT_T0_E_clISt17integral_constantIbLb0EES1K_EEDaS1F_S1G_EUlS1F_E_NS1_11comp_targetILNS1_3genE3ELNS1_11target_archE908ELNS1_3gpuE7ELNS1_3repE0EEENS1_30default_config_static_selectorELNS0_4arch9wavefront6targetE0EEEvT1_: ; @_ZN7rocprim17ROCPRIM_400000_NS6detail17trampoline_kernelINS0_14default_configENS1_25partition_config_selectorILNS1_17partition_subalgoE6EfNS0_10empty_typeEbEEZZNS1_14partition_implILS5_6ELb0ES3_mN6thrust23THRUST_200600_302600_NS6detail15normal_iteratorINSA_10device_ptrIfEEEEPS6_SG_NS0_5tupleIJSF_S6_EEENSH_IJSG_SG_EEES6_PlJNSB_9not_fun_tINSB_10functional5actorINSM_9compositeIJNSM_27transparent_binary_operatorINSA_8equal_toIvEEEENSN_INSM_8argumentILj0EEEEENSM_5valueIfEEEEEEEEEEEE10hipError_tPvRmT3_T4_T5_T6_T7_T9_mT8_P12ihipStream_tbDpT10_ENKUlT_T0_E_clISt17integral_constantIbLb0EES1K_EEDaS1F_S1G_EUlS1F_E_NS1_11comp_targetILNS1_3genE3ELNS1_11target_archE908ELNS1_3gpuE7ELNS1_3repE0EEENS1_30default_config_static_selectorELNS0_4arch9wavefront6targetE0EEEvT1_
; %bb.0:
	.section	.rodata,"a",@progbits
	.p2align	6, 0x0
	.amdhsa_kernel _ZN7rocprim17ROCPRIM_400000_NS6detail17trampoline_kernelINS0_14default_configENS1_25partition_config_selectorILNS1_17partition_subalgoE6EfNS0_10empty_typeEbEEZZNS1_14partition_implILS5_6ELb0ES3_mN6thrust23THRUST_200600_302600_NS6detail15normal_iteratorINSA_10device_ptrIfEEEEPS6_SG_NS0_5tupleIJSF_S6_EEENSH_IJSG_SG_EEES6_PlJNSB_9not_fun_tINSB_10functional5actorINSM_9compositeIJNSM_27transparent_binary_operatorINSA_8equal_toIvEEEENSN_INSM_8argumentILj0EEEEENSM_5valueIfEEEEEEEEEEEE10hipError_tPvRmT3_T4_T5_T6_T7_T9_mT8_P12ihipStream_tbDpT10_ENKUlT_T0_E_clISt17integral_constantIbLb0EES1K_EEDaS1F_S1G_EUlS1F_E_NS1_11comp_targetILNS1_3genE3ELNS1_11target_archE908ELNS1_3gpuE7ELNS1_3repE0EEENS1_30default_config_static_selectorELNS0_4arch9wavefront6targetE0EEEvT1_
		.amdhsa_group_segment_fixed_size 0
		.amdhsa_private_segment_fixed_size 0
		.amdhsa_kernarg_size 120
		.amdhsa_user_sgpr_count 2
		.amdhsa_user_sgpr_dispatch_ptr 0
		.amdhsa_user_sgpr_queue_ptr 0
		.amdhsa_user_sgpr_kernarg_segment_ptr 1
		.amdhsa_user_sgpr_dispatch_id 0
		.amdhsa_user_sgpr_private_segment_size 0
		.amdhsa_wavefront_size32 1
		.amdhsa_uses_dynamic_stack 0
		.amdhsa_enable_private_segment 0
		.amdhsa_system_sgpr_workgroup_id_x 1
		.amdhsa_system_sgpr_workgroup_id_y 0
		.amdhsa_system_sgpr_workgroup_id_z 0
		.amdhsa_system_sgpr_workgroup_info 0
		.amdhsa_system_vgpr_workitem_id 0
		.amdhsa_next_free_vgpr 1
		.amdhsa_next_free_sgpr 1
		.amdhsa_reserve_vcc 0
		.amdhsa_float_round_mode_32 0
		.amdhsa_float_round_mode_16_64 0
		.amdhsa_float_denorm_mode_32 3
		.amdhsa_float_denorm_mode_16_64 3
		.amdhsa_fp16_overflow 0
		.amdhsa_workgroup_processor_mode 1
		.amdhsa_memory_ordered 1
		.amdhsa_forward_progress 1
		.amdhsa_inst_pref_size 0
		.amdhsa_round_robin_scheduling 0
		.amdhsa_exception_fp_ieee_invalid_op 0
		.amdhsa_exception_fp_denorm_src 0
		.amdhsa_exception_fp_ieee_div_zero 0
		.amdhsa_exception_fp_ieee_overflow 0
		.amdhsa_exception_fp_ieee_underflow 0
		.amdhsa_exception_fp_ieee_inexact 0
		.amdhsa_exception_int_div_zero 0
	.end_amdhsa_kernel
	.section	.text._ZN7rocprim17ROCPRIM_400000_NS6detail17trampoline_kernelINS0_14default_configENS1_25partition_config_selectorILNS1_17partition_subalgoE6EfNS0_10empty_typeEbEEZZNS1_14partition_implILS5_6ELb0ES3_mN6thrust23THRUST_200600_302600_NS6detail15normal_iteratorINSA_10device_ptrIfEEEEPS6_SG_NS0_5tupleIJSF_S6_EEENSH_IJSG_SG_EEES6_PlJNSB_9not_fun_tINSB_10functional5actorINSM_9compositeIJNSM_27transparent_binary_operatorINSA_8equal_toIvEEEENSN_INSM_8argumentILj0EEEEENSM_5valueIfEEEEEEEEEEEE10hipError_tPvRmT3_T4_T5_T6_T7_T9_mT8_P12ihipStream_tbDpT10_ENKUlT_T0_E_clISt17integral_constantIbLb0EES1K_EEDaS1F_S1G_EUlS1F_E_NS1_11comp_targetILNS1_3genE3ELNS1_11target_archE908ELNS1_3gpuE7ELNS1_3repE0EEENS1_30default_config_static_selectorELNS0_4arch9wavefront6targetE0EEEvT1_,"axG",@progbits,_ZN7rocprim17ROCPRIM_400000_NS6detail17trampoline_kernelINS0_14default_configENS1_25partition_config_selectorILNS1_17partition_subalgoE6EfNS0_10empty_typeEbEEZZNS1_14partition_implILS5_6ELb0ES3_mN6thrust23THRUST_200600_302600_NS6detail15normal_iteratorINSA_10device_ptrIfEEEEPS6_SG_NS0_5tupleIJSF_S6_EEENSH_IJSG_SG_EEES6_PlJNSB_9not_fun_tINSB_10functional5actorINSM_9compositeIJNSM_27transparent_binary_operatorINSA_8equal_toIvEEEENSN_INSM_8argumentILj0EEEEENSM_5valueIfEEEEEEEEEEEE10hipError_tPvRmT3_T4_T5_T6_T7_T9_mT8_P12ihipStream_tbDpT10_ENKUlT_T0_E_clISt17integral_constantIbLb0EES1K_EEDaS1F_S1G_EUlS1F_E_NS1_11comp_targetILNS1_3genE3ELNS1_11target_archE908ELNS1_3gpuE7ELNS1_3repE0EEENS1_30default_config_static_selectorELNS0_4arch9wavefront6targetE0EEEvT1_,comdat
.Lfunc_end50:
	.size	_ZN7rocprim17ROCPRIM_400000_NS6detail17trampoline_kernelINS0_14default_configENS1_25partition_config_selectorILNS1_17partition_subalgoE6EfNS0_10empty_typeEbEEZZNS1_14partition_implILS5_6ELb0ES3_mN6thrust23THRUST_200600_302600_NS6detail15normal_iteratorINSA_10device_ptrIfEEEEPS6_SG_NS0_5tupleIJSF_S6_EEENSH_IJSG_SG_EEES6_PlJNSB_9not_fun_tINSB_10functional5actorINSM_9compositeIJNSM_27transparent_binary_operatorINSA_8equal_toIvEEEENSN_INSM_8argumentILj0EEEEENSM_5valueIfEEEEEEEEEEEE10hipError_tPvRmT3_T4_T5_T6_T7_T9_mT8_P12ihipStream_tbDpT10_ENKUlT_T0_E_clISt17integral_constantIbLb0EES1K_EEDaS1F_S1G_EUlS1F_E_NS1_11comp_targetILNS1_3genE3ELNS1_11target_archE908ELNS1_3gpuE7ELNS1_3repE0EEENS1_30default_config_static_selectorELNS0_4arch9wavefront6targetE0EEEvT1_, .Lfunc_end50-_ZN7rocprim17ROCPRIM_400000_NS6detail17trampoline_kernelINS0_14default_configENS1_25partition_config_selectorILNS1_17partition_subalgoE6EfNS0_10empty_typeEbEEZZNS1_14partition_implILS5_6ELb0ES3_mN6thrust23THRUST_200600_302600_NS6detail15normal_iteratorINSA_10device_ptrIfEEEEPS6_SG_NS0_5tupleIJSF_S6_EEENSH_IJSG_SG_EEES6_PlJNSB_9not_fun_tINSB_10functional5actorINSM_9compositeIJNSM_27transparent_binary_operatorINSA_8equal_toIvEEEENSN_INSM_8argumentILj0EEEEENSM_5valueIfEEEEEEEEEEEE10hipError_tPvRmT3_T4_T5_T6_T7_T9_mT8_P12ihipStream_tbDpT10_ENKUlT_T0_E_clISt17integral_constantIbLb0EES1K_EEDaS1F_S1G_EUlS1F_E_NS1_11comp_targetILNS1_3genE3ELNS1_11target_archE908ELNS1_3gpuE7ELNS1_3repE0EEENS1_30default_config_static_selectorELNS0_4arch9wavefront6targetE0EEEvT1_
                                        ; -- End function
	.set _ZN7rocprim17ROCPRIM_400000_NS6detail17trampoline_kernelINS0_14default_configENS1_25partition_config_selectorILNS1_17partition_subalgoE6EfNS0_10empty_typeEbEEZZNS1_14partition_implILS5_6ELb0ES3_mN6thrust23THRUST_200600_302600_NS6detail15normal_iteratorINSA_10device_ptrIfEEEEPS6_SG_NS0_5tupleIJSF_S6_EEENSH_IJSG_SG_EEES6_PlJNSB_9not_fun_tINSB_10functional5actorINSM_9compositeIJNSM_27transparent_binary_operatorINSA_8equal_toIvEEEENSN_INSM_8argumentILj0EEEEENSM_5valueIfEEEEEEEEEEEE10hipError_tPvRmT3_T4_T5_T6_T7_T9_mT8_P12ihipStream_tbDpT10_ENKUlT_T0_E_clISt17integral_constantIbLb0EES1K_EEDaS1F_S1G_EUlS1F_E_NS1_11comp_targetILNS1_3genE3ELNS1_11target_archE908ELNS1_3gpuE7ELNS1_3repE0EEENS1_30default_config_static_selectorELNS0_4arch9wavefront6targetE0EEEvT1_.num_vgpr, 0
	.set _ZN7rocprim17ROCPRIM_400000_NS6detail17trampoline_kernelINS0_14default_configENS1_25partition_config_selectorILNS1_17partition_subalgoE6EfNS0_10empty_typeEbEEZZNS1_14partition_implILS5_6ELb0ES3_mN6thrust23THRUST_200600_302600_NS6detail15normal_iteratorINSA_10device_ptrIfEEEEPS6_SG_NS0_5tupleIJSF_S6_EEENSH_IJSG_SG_EEES6_PlJNSB_9not_fun_tINSB_10functional5actorINSM_9compositeIJNSM_27transparent_binary_operatorINSA_8equal_toIvEEEENSN_INSM_8argumentILj0EEEEENSM_5valueIfEEEEEEEEEEEE10hipError_tPvRmT3_T4_T5_T6_T7_T9_mT8_P12ihipStream_tbDpT10_ENKUlT_T0_E_clISt17integral_constantIbLb0EES1K_EEDaS1F_S1G_EUlS1F_E_NS1_11comp_targetILNS1_3genE3ELNS1_11target_archE908ELNS1_3gpuE7ELNS1_3repE0EEENS1_30default_config_static_selectorELNS0_4arch9wavefront6targetE0EEEvT1_.num_agpr, 0
	.set _ZN7rocprim17ROCPRIM_400000_NS6detail17trampoline_kernelINS0_14default_configENS1_25partition_config_selectorILNS1_17partition_subalgoE6EfNS0_10empty_typeEbEEZZNS1_14partition_implILS5_6ELb0ES3_mN6thrust23THRUST_200600_302600_NS6detail15normal_iteratorINSA_10device_ptrIfEEEEPS6_SG_NS0_5tupleIJSF_S6_EEENSH_IJSG_SG_EEES6_PlJNSB_9not_fun_tINSB_10functional5actorINSM_9compositeIJNSM_27transparent_binary_operatorINSA_8equal_toIvEEEENSN_INSM_8argumentILj0EEEEENSM_5valueIfEEEEEEEEEEEE10hipError_tPvRmT3_T4_T5_T6_T7_T9_mT8_P12ihipStream_tbDpT10_ENKUlT_T0_E_clISt17integral_constantIbLb0EES1K_EEDaS1F_S1G_EUlS1F_E_NS1_11comp_targetILNS1_3genE3ELNS1_11target_archE908ELNS1_3gpuE7ELNS1_3repE0EEENS1_30default_config_static_selectorELNS0_4arch9wavefront6targetE0EEEvT1_.numbered_sgpr, 0
	.set _ZN7rocprim17ROCPRIM_400000_NS6detail17trampoline_kernelINS0_14default_configENS1_25partition_config_selectorILNS1_17partition_subalgoE6EfNS0_10empty_typeEbEEZZNS1_14partition_implILS5_6ELb0ES3_mN6thrust23THRUST_200600_302600_NS6detail15normal_iteratorINSA_10device_ptrIfEEEEPS6_SG_NS0_5tupleIJSF_S6_EEENSH_IJSG_SG_EEES6_PlJNSB_9not_fun_tINSB_10functional5actorINSM_9compositeIJNSM_27transparent_binary_operatorINSA_8equal_toIvEEEENSN_INSM_8argumentILj0EEEEENSM_5valueIfEEEEEEEEEEEE10hipError_tPvRmT3_T4_T5_T6_T7_T9_mT8_P12ihipStream_tbDpT10_ENKUlT_T0_E_clISt17integral_constantIbLb0EES1K_EEDaS1F_S1G_EUlS1F_E_NS1_11comp_targetILNS1_3genE3ELNS1_11target_archE908ELNS1_3gpuE7ELNS1_3repE0EEENS1_30default_config_static_selectorELNS0_4arch9wavefront6targetE0EEEvT1_.num_named_barrier, 0
	.set _ZN7rocprim17ROCPRIM_400000_NS6detail17trampoline_kernelINS0_14default_configENS1_25partition_config_selectorILNS1_17partition_subalgoE6EfNS0_10empty_typeEbEEZZNS1_14partition_implILS5_6ELb0ES3_mN6thrust23THRUST_200600_302600_NS6detail15normal_iteratorINSA_10device_ptrIfEEEEPS6_SG_NS0_5tupleIJSF_S6_EEENSH_IJSG_SG_EEES6_PlJNSB_9not_fun_tINSB_10functional5actorINSM_9compositeIJNSM_27transparent_binary_operatorINSA_8equal_toIvEEEENSN_INSM_8argumentILj0EEEEENSM_5valueIfEEEEEEEEEEEE10hipError_tPvRmT3_T4_T5_T6_T7_T9_mT8_P12ihipStream_tbDpT10_ENKUlT_T0_E_clISt17integral_constantIbLb0EES1K_EEDaS1F_S1G_EUlS1F_E_NS1_11comp_targetILNS1_3genE3ELNS1_11target_archE908ELNS1_3gpuE7ELNS1_3repE0EEENS1_30default_config_static_selectorELNS0_4arch9wavefront6targetE0EEEvT1_.private_seg_size, 0
	.set _ZN7rocprim17ROCPRIM_400000_NS6detail17trampoline_kernelINS0_14default_configENS1_25partition_config_selectorILNS1_17partition_subalgoE6EfNS0_10empty_typeEbEEZZNS1_14partition_implILS5_6ELb0ES3_mN6thrust23THRUST_200600_302600_NS6detail15normal_iteratorINSA_10device_ptrIfEEEEPS6_SG_NS0_5tupleIJSF_S6_EEENSH_IJSG_SG_EEES6_PlJNSB_9not_fun_tINSB_10functional5actorINSM_9compositeIJNSM_27transparent_binary_operatorINSA_8equal_toIvEEEENSN_INSM_8argumentILj0EEEEENSM_5valueIfEEEEEEEEEEEE10hipError_tPvRmT3_T4_T5_T6_T7_T9_mT8_P12ihipStream_tbDpT10_ENKUlT_T0_E_clISt17integral_constantIbLb0EES1K_EEDaS1F_S1G_EUlS1F_E_NS1_11comp_targetILNS1_3genE3ELNS1_11target_archE908ELNS1_3gpuE7ELNS1_3repE0EEENS1_30default_config_static_selectorELNS0_4arch9wavefront6targetE0EEEvT1_.uses_vcc, 0
	.set _ZN7rocprim17ROCPRIM_400000_NS6detail17trampoline_kernelINS0_14default_configENS1_25partition_config_selectorILNS1_17partition_subalgoE6EfNS0_10empty_typeEbEEZZNS1_14partition_implILS5_6ELb0ES3_mN6thrust23THRUST_200600_302600_NS6detail15normal_iteratorINSA_10device_ptrIfEEEEPS6_SG_NS0_5tupleIJSF_S6_EEENSH_IJSG_SG_EEES6_PlJNSB_9not_fun_tINSB_10functional5actorINSM_9compositeIJNSM_27transparent_binary_operatorINSA_8equal_toIvEEEENSN_INSM_8argumentILj0EEEEENSM_5valueIfEEEEEEEEEEEE10hipError_tPvRmT3_T4_T5_T6_T7_T9_mT8_P12ihipStream_tbDpT10_ENKUlT_T0_E_clISt17integral_constantIbLb0EES1K_EEDaS1F_S1G_EUlS1F_E_NS1_11comp_targetILNS1_3genE3ELNS1_11target_archE908ELNS1_3gpuE7ELNS1_3repE0EEENS1_30default_config_static_selectorELNS0_4arch9wavefront6targetE0EEEvT1_.uses_flat_scratch, 0
	.set _ZN7rocprim17ROCPRIM_400000_NS6detail17trampoline_kernelINS0_14default_configENS1_25partition_config_selectorILNS1_17partition_subalgoE6EfNS0_10empty_typeEbEEZZNS1_14partition_implILS5_6ELb0ES3_mN6thrust23THRUST_200600_302600_NS6detail15normal_iteratorINSA_10device_ptrIfEEEEPS6_SG_NS0_5tupleIJSF_S6_EEENSH_IJSG_SG_EEES6_PlJNSB_9not_fun_tINSB_10functional5actorINSM_9compositeIJNSM_27transparent_binary_operatorINSA_8equal_toIvEEEENSN_INSM_8argumentILj0EEEEENSM_5valueIfEEEEEEEEEEEE10hipError_tPvRmT3_T4_T5_T6_T7_T9_mT8_P12ihipStream_tbDpT10_ENKUlT_T0_E_clISt17integral_constantIbLb0EES1K_EEDaS1F_S1G_EUlS1F_E_NS1_11comp_targetILNS1_3genE3ELNS1_11target_archE908ELNS1_3gpuE7ELNS1_3repE0EEENS1_30default_config_static_selectorELNS0_4arch9wavefront6targetE0EEEvT1_.has_dyn_sized_stack, 0
	.set _ZN7rocprim17ROCPRIM_400000_NS6detail17trampoline_kernelINS0_14default_configENS1_25partition_config_selectorILNS1_17partition_subalgoE6EfNS0_10empty_typeEbEEZZNS1_14partition_implILS5_6ELb0ES3_mN6thrust23THRUST_200600_302600_NS6detail15normal_iteratorINSA_10device_ptrIfEEEEPS6_SG_NS0_5tupleIJSF_S6_EEENSH_IJSG_SG_EEES6_PlJNSB_9not_fun_tINSB_10functional5actorINSM_9compositeIJNSM_27transparent_binary_operatorINSA_8equal_toIvEEEENSN_INSM_8argumentILj0EEEEENSM_5valueIfEEEEEEEEEEEE10hipError_tPvRmT3_T4_T5_T6_T7_T9_mT8_P12ihipStream_tbDpT10_ENKUlT_T0_E_clISt17integral_constantIbLb0EES1K_EEDaS1F_S1G_EUlS1F_E_NS1_11comp_targetILNS1_3genE3ELNS1_11target_archE908ELNS1_3gpuE7ELNS1_3repE0EEENS1_30default_config_static_selectorELNS0_4arch9wavefront6targetE0EEEvT1_.has_recursion, 0
	.set _ZN7rocprim17ROCPRIM_400000_NS6detail17trampoline_kernelINS0_14default_configENS1_25partition_config_selectorILNS1_17partition_subalgoE6EfNS0_10empty_typeEbEEZZNS1_14partition_implILS5_6ELb0ES3_mN6thrust23THRUST_200600_302600_NS6detail15normal_iteratorINSA_10device_ptrIfEEEEPS6_SG_NS0_5tupleIJSF_S6_EEENSH_IJSG_SG_EEES6_PlJNSB_9not_fun_tINSB_10functional5actorINSM_9compositeIJNSM_27transparent_binary_operatorINSA_8equal_toIvEEEENSN_INSM_8argumentILj0EEEEENSM_5valueIfEEEEEEEEEEEE10hipError_tPvRmT3_T4_T5_T6_T7_T9_mT8_P12ihipStream_tbDpT10_ENKUlT_T0_E_clISt17integral_constantIbLb0EES1K_EEDaS1F_S1G_EUlS1F_E_NS1_11comp_targetILNS1_3genE3ELNS1_11target_archE908ELNS1_3gpuE7ELNS1_3repE0EEENS1_30default_config_static_selectorELNS0_4arch9wavefront6targetE0EEEvT1_.has_indirect_call, 0
	.section	.AMDGPU.csdata,"",@progbits
; Kernel info:
; codeLenInByte = 0
; TotalNumSgprs: 0
; NumVgprs: 0
; ScratchSize: 0
; MemoryBound: 0
; FloatMode: 240
; IeeeMode: 1
; LDSByteSize: 0 bytes/workgroup (compile time only)
; SGPRBlocks: 0
; VGPRBlocks: 0
; NumSGPRsForWavesPerEU: 1
; NumVGPRsForWavesPerEU: 1
; Occupancy: 16
; WaveLimiterHint : 0
; COMPUTE_PGM_RSRC2:SCRATCH_EN: 0
; COMPUTE_PGM_RSRC2:USER_SGPR: 2
; COMPUTE_PGM_RSRC2:TRAP_HANDLER: 0
; COMPUTE_PGM_RSRC2:TGID_X_EN: 1
; COMPUTE_PGM_RSRC2:TGID_Y_EN: 0
; COMPUTE_PGM_RSRC2:TGID_Z_EN: 0
; COMPUTE_PGM_RSRC2:TIDIG_COMP_CNT: 0
	.section	.text._ZN7rocprim17ROCPRIM_400000_NS6detail17trampoline_kernelINS0_14default_configENS1_25partition_config_selectorILNS1_17partition_subalgoE6EfNS0_10empty_typeEbEEZZNS1_14partition_implILS5_6ELb0ES3_mN6thrust23THRUST_200600_302600_NS6detail15normal_iteratorINSA_10device_ptrIfEEEEPS6_SG_NS0_5tupleIJSF_S6_EEENSH_IJSG_SG_EEES6_PlJNSB_9not_fun_tINSB_10functional5actorINSM_9compositeIJNSM_27transparent_binary_operatorINSA_8equal_toIvEEEENSN_INSM_8argumentILj0EEEEENSM_5valueIfEEEEEEEEEEEE10hipError_tPvRmT3_T4_T5_T6_T7_T9_mT8_P12ihipStream_tbDpT10_ENKUlT_T0_E_clISt17integral_constantIbLb0EES1K_EEDaS1F_S1G_EUlS1F_E_NS1_11comp_targetILNS1_3genE2ELNS1_11target_archE906ELNS1_3gpuE6ELNS1_3repE0EEENS1_30default_config_static_selectorELNS0_4arch9wavefront6targetE0EEEvT1_,"axG",@progbits,_ZN7rocprim17ROCPRIM_400000_NS6detail17trampoline_kernelINS0_14default_configENS1_25partition_config_selectorILNS1_17partition_subalgoE6EfNS0_10empty_typeEbEEZZNS1_14partition_implILS5_6ELb0ES3_mN6thrust23THRUST_200600_302600_NS6detail15normal_iteratorINSA_10device_ptrIfEEEEPS6_SG_NS0_5tupleIJSF_S6_EEENSH_IJSG_SG_EEES6_PlJNSB_9not_fun_tINSB_10functional5actorINSM_9compositeIJNSM_27transparent_binary_operatorINSA_8equal_toIvEEEENSN_INSM_8argumentILj0EEEEENSM_5valueIfEEEEEEEEEEEE10hipError_tPvRmT3_T4_T5_T6_T7_T9_mT8_P12ihipStream_tbDpT10_ENKUlT_T0_E_clISt17integral_constantIbLb0EES1K_EEDaS1F_S1G_EUlS1F_E_NS1_11comp_targetILNS1_3genE2ELNS1_11target_archE906ELNS1_3gpuE6ELNS1_3repE0EEENS1_30default_config_static_selectorELNS0_4arch9wavefront6targetE0EEEvT1_,comdat
	.protected	_ZN7rocprim17ROCPRIM_400000_NS6detail17trampoline_kernelINS0_14default_configENS1_25partition_config_selectorILNS1_17partition_subalgoE6EfNS0_10empty_typeEbEEZZNS1_14partition_implILS5_6ELb0ES3_mN6thrust23THRUST_200600_302600_NS6detail15normal_iteratorINSA_10device_ptrIfEEEEPS6_SG_NS0_5tupleIJSF_S6_EEENSH_IJSG_SG_EEES6_PlJNSB_9not_fun_tINSB_10functional5actorINSM_9compositeIJNSM_27transparent_binary_operatorINSA_8equal_toIvEEEENSN_INSM_8argumentILj0EEEEENSM_5valueIfEEEEEEEEEEEE10hipError_tPvRmT3_T4_T5_T6_T7_T9_mT8_P12ihipStream_tbDpT10_ENKUlT_T0_E_clISt17integral_constantIbLb0EES1K_EEDaS1F_S1G_EUlS1F_E_NS1_11comp_targetILNS1_3genE2ELNS1_11target_archE906ELNS1_3gpuE6ELNS1_3repE0EEENS1_30default_config_static_selectorELNS0_4arch9wavefront6targetE0EEEvT1_ ; -- Begin function _ZN7rocprim17ROCPRIM_400000_NS6detail17trampoline_kernelINS0_14default_configENS1_25partition_config_selectorILNS1_17partition_subalgoE6EfNS0_10empty_typeEbEEZZNS1_14partition_implILS5_6ELb0ES3_mN6thrust23THRUST_200600_302600_NS6detail15normal_iteratorINSA_10device_ptrIfEEEEPS6_SG_NS0_5tupleIJSF_S6_EEENSH_IJSG_SG_EEES6_PlJNSB_9not_fun_tINSB_10functional5actorINSM_9compositeIJNSM_27transparent_binary_operatorINSA_8equal_toIvEEEENSN_INSM_8argumentILj0EEEEENSM_5valueIfEEEEEEEEEEEE10hipError_tPvRmT3_T4_T5_T6_T7_T9_mT8_P12ihipStream_tbDpT10_ENKUlT_T0_E_clISt17integral_constantIbLb0EES1K_EEDaS1F_S1G_EUlS1F_E_NS1_11comp_targetILNS1_3genE2ELNS1_11target_archE906ELNS1_3gpuE6ELNS1_3repE0EEENS1_30default_config_static_selectorELNS0_4arch9wavefront6targetE0EEEvT1_
	.globl	_ZN7rocprim17ROCPRIM_400000_NS6detail17trampoline_kernelINS0_14default_configENS1_25partition_config_selectorILNS1_17partition_subalgoE6EfNS0_10empty_typeEbEEZZNS1_14partition_implILS5_6ELb0ES3_mN6thrust23THRUST_200600_302600_NS6detail15normal_iteratorINSA_10device_ptrIfEEEEPS6_SG_NS0_5tupleIJSF_S6_EEENSH_IJSG_SG_EEES6_PlJNSB_9not_fun_tINSB_10functional5actorINSM_9compositeIJNSM_27transparent_binary_operatorINSA_8equal_toIvEEEENSN_INSM_8argumentILj0EEEEENSM_5valueIfEEEEEEEEEEEE10hipError_tPvRmT3_T4_T5_T6_T7_T9_mT8_P12ihipStream_tbDpT10_ENKUlT_T0_E_clISt17integral_constantIbLb0EES1K_EEDaS1F_S1G_EUlS1F_E_NS1_11comp_targetILNS1_3genE2ELNS1_11target_archE906ELNS1_3gpuE6ELNS1_3repE0EEENS1_30default_config_static_selectorELNS0_4arch9wavefront6targetE0EEEvT1_
	.p2align	8
	.type	_ZN7rocprim17ROCPRIM_400000_NS6detail17trampoline_kernelINS0_14default_configENS1_25partition_config_selectorILNS1_17partition_subalgoE6EfNS0_10empty_typeEbEEZZNS1_14partition_implILS5_6ELb0ES3_mN6thrust23THRUST_200600_302600_NS6detail15normal_iteratorINSA_10device_ptrIfEEEEPS6_SG_NS0_5tupleIJSF_S6_EEENSH_IJSG_SG_EEES6_PlJNSB_9not_fun_tINSB_10functional5actorINSM_9compositeIJNSM_27transparent_binary_operatorINSA_8equal_toIvEEEENSN_INSM_8argumentILj0EEEEENSM_5valueIfEEEEEEEEEEEE10hipError_tPvRmT3_T4_T5_T6_T7_T9_mT8_P12ihipStream_tbDpT10_ENKUlT_T0_E_clISt17integral_constantIbLb0EES1K_EEDaS1F_S1G_EUlS1F_E_NS1_11comp_targetILNS1_3genE2ELNS1_11target_archE906ELNS1_3gpuE6ELNS1_3repE0EEENS1_30default_config_static_selectorELNS0_4arch9wavefront6targetE0EEEvT1_,@function
_ZN7rocprim17ROCPRIM_400000_NS6detail17trampoline_kernelINS0_14default_configENS1_25partition_config_selectorILNS1_17partition_subalgoE6EfNS0_10empty_typeEbEEZZNS1_14partition_implILS5_6ELb0ES3_mN6thrust23THRUST_200600_302600_NS6detail15normal_iteratorINSA_10device_ptrIfEEEEPS6_SG_NS0_5tupleIJSF_S6_EEENSH_IJSG_SG_EEES6_PlJNSB_9not_fun_tINSB_10functional5actorINSM_9compositeIJNSM_27transparent_binary_operatorINSA_8equal_toIvEEEENSN_INSM_8argumentILj0EEEEENSM_5valueIfEEEEEEEEEEEE10hipError_tPvRmT3_T4_T5_T6_T7_T9_mT8_P12ihipStream_tbDpT10_ENKUlT_T0_E_clISt17integral_constantIbLb0EES1K_EEDaS1F_S1G_EUlS1F_E_NS1_11comp_targetILNS1_3genE2ELNS1_11target_archE906ELNS1_3gpuE6ELNS1_3repE0EEENS1_30default_config_static_selectorELNS0_4arch9wavefront6targetE0EEEvT1_: ; @_ZN7rocprim17ROCPRIM_400000_NS6detail17trampoline_kernelINS0_14default_configENS1_25partition_config_selectorILNS1_17partition_subalgoE6EfNS0_10empty_typeEbEEZZNS1_14partition_implILS5_6ELb0ES3_mN6thrust23THRUST_200600_302600_NS6detail15normal_iteratorINSA_10device_ptrIfEEEEPS6_SG_NS0_5tupleIJSF_S6_EEENSH_IJSG_SG_EEES6_PlJNSB_9not_fun_tINSB_10functional5actorINSM_9compositeIJNSM_27transparent_binary_operatorINSA_8equal_toIvEEEENSN_INSM_8argumentILj0EEEEENSM_5valueIfEEEEEEEEEEEE10hipError_tPvRmT3_T4_T5_T6_T7_T9_mT8_P12ihipStream_tbDpT10_ENKUlT_T0_E_clISt17integral_constantIbLb0EES1K_EEDaS1F_S1G_EUlS1F_E_NS1_11comp_targetILNS1_3genE2ELNS1_11target_archE906ELNS1_3gpuE6ELNS1_3repE0EEENS1_30default_config_static_selectorELNS0_4arch9wavefront6targetE0EEEvT1_
; %bb.0:
	.section	.rodata,"a",@progbits
	.p2align	6, 0x0
	.amdhsa_kernel _ZN7rocprim17ROCPRIM_400000_NS6detail17trampoline_kernelINS0_14default_configENS1_25partition_config_selectorILNS1_17partition_subalgoE6EfNS0_10empty_typeEbEEZZNS1_14partition_implILS5_6ELb0ES3_mN6thrust23THRUST_200600_302600_NS6detail15normal_iteratorINSA_10device_ptrIfEEEEPS6_SG_NS0_5tupleIJSF_S6_EEENSH_IJSG_SG_EEES6_PlJNSB_9not_fun_tINSB_10functional5actorINSM_9compositeIJNSM_27transparent_binary_operatorINSA_8equal_toIvEEEENSN_INSM_8argumentILj0EEEEENSM_5valueIfEEEEEEEEEEEE10hipError_tPvRmT3_T4_T5_T6_T7_T9_mT8_P12ihipStream_tbDpT10_ENKUlT_T0_E_clISt17integral_constantIbLb0EES1K_EEDaS1F_S1G_EUlS1F_E_NS1_11comp_targetILNS1_3genE2ELNS1_11target_archE906ELNS1_3gpuE6ELNS1_3repE0EEENS1_30default_config_static_selectorELNS0_4arch9wavefront6targetE0EEEvT1_
		.amdhsa_group_segment_fixed_size 0
		.amdhsa_private_segment_fixed_size 0
		.amdhsa_kernarg_size 120
		.amdhsa_user_sgpr_count 2
		.amdhsa_user_sgpr_dispatch_ptr 0
		.amdhsa_user_sgpr_queue_ptr 0
		.amdhsa_user_sgpr_kernarg_segment_ptr 1
		.amdhsa_user_sgpr_dispatch_id 0
		.amdhsa_user_sgpr_private_segment_size 0
		.amdhsa_wavefront_size32 1
		.amdhsa_uses_dynamic_stack 0
		.amdhsa_enable_private_segment 0
		.amdhsa_system_sgpr_workgroup_id_x 1
		.amdhsa_system_sgpr_workgroup_id_y 0
		.amdhsa_system_sgpr_workgroup_id_z 0
		.amdhsa_system_sgpr_workgroup_info 0
		.amdhsa_system_vgpr_workitem_id 0
		.amdhsa_next_free_vgpr 1
		.amdhsa_next_free_sgpr 1
		.amdhsa_reserve_vcc 0
		.amdhsa_float_round_mode_32 0
		.amdhsa_float_round_mode_16_64 0
		.amdhsa_float_denorm_mode_32 3
		.amdhsa_float_denorm_mode_16_64 3
		.amdhsa_fp16_overflow 0
		.amdhsa_workgroup_processor_mode 1
		.amdhsa_memory_ordered 1
		.amdhsa_forward_progress 1
		.amdhsa_inst_pref_size 0
		.amdhsa_round_robin_scheduling 0
		.amdhsa_exception_fp_ieee_invalid_op 0
		.amdhsa_exception_fp_denorm_src 0
		.amdhsa_exception_fp_ieee_div_zero 0
		.amdhsa_exception_fp_ieee_overflow 0
		.amdhsa_exception_fp_ieee_underflow 0
		.amdhsa_exception_fp_ieee_inexact 0
		.amdhsa_exception_int_div_zero 0
	.end_amdhsa_kernel
	.section	.text._ZN7rocprim17ROCPRIM_400000_NS6detail17trampoline_kernelINS0_14default_configENS1_25partition_config_selectorILNS1_17partition_subalgoE6EfNS0_10empty_typeEbEEZZNS1_14partition_implILS5_6ELb0ES3_mN6thrust23THRUST_200600_302600_NS6detail15normal_iteratorINSA_10device_ptrIfEEEEPS6_SG_NS0_5tupleIJSF_S6_EEENSH_IJSG_SG_EEES6_PlJNSB_9not_fun_tINSB_10functional5actorINSM_9compositeIJNSM_27transparent_binary_operatorINSA_8equal_toIvEEEENSN_INSM_8argumentILj0EEEEENSM_5valueIfEEEEEEEEEEEE10hipError_tPvRmT3_T4_T5_T6_T7_T9_mT8_P12ihipStream_tbDpT10_ENKUlT_T0_E_clISt17integral_constantIbLb0EES1K_EEDaS1F_S1G_EUlS1F_E_NS1_11comp_targetILNS1_3genE2ELNS1_11target_archE906ELNS1_3gpuE6ELNS1_3repE0EEENS1_30default_config_static_selectorELNS0_4arch9wavefront6targetE0EEEvT1_,"axG",@progbits,_ZN7rocprim17ROCPRIM_400000_NS6detail17trampoline_kernelINS0_14default_configENS1_25partition_config_selectorILNS1_17partition_subalgoE6EfNS0_10empty_typeEbEEZZNS1_14partition_implILS5_6ELb0ES3_mN6thrust23THRUST_200600_302600_NS6detail15normal_iteratorINSA_10device_ptrIfEEEEPS6_SG_NS0_5tupleIJSF_S6_EEENSH_IJSG_SG_EEES6_PlJNSB_9not_fun_tINSB_10functional5actorINSM_9compositeIJNSM_27transparent_binary_operatorINSA_8equal_toIvEEEENSN_INSM_8argumentILj0EEEEENSM_5valueIfEEEEEEEEEEEE10hipError_tPvRmT3_T4_T5_T6_T7_T9_mT8_P12ihipStream_tbDpT10_ENKUlT_T0_E_clISt17integral_constantIbLb0EES1K_EEDaS1F_S1G_EUlS1F_E_NS1_11comp_targetILNS1_3genE2ELNS1_11target_archE906ELNS1_3gpuE6ELNS1_3repE0EEENS1_30default_config_static_selectorELNS0_4arch9wavefront6targetE0EEEvT1_,comdat
.Lfunc_end51:
	.size	_ZN7rocprim17ROCPRIM_400000_NS6detail17trampoline_kernelINS0_14default_configENS1_25partition_config_selectorILNS1_17partition_subalgoE6EfNS0_10empty_typeEbEEZZNS1_14partition_implILS5_6ELb0ES3_mN6thrust23THRUST_200600_302600_NS6detail15normal_iteratorINSA_10device_ptrIfEEEEPS6_SG_NS0_5tupleIJSF_S6_EEENSH_IJSG_SG_EEES6_PlJNSB_9not_fun_tINSB_10functional5actorINSM_9compositeIJNSM_27transparent_binary_operatorINSA_8equal_toIvEEEENSN_INSM_8argumentILj0EEEEENSM_5valueIfEEEEEEEEEEEE10hipError_tPvRmT3_T4_T5_T6_T7_T9_mT8_P12ihipStream_tbDpT10_ENKUlT_T0_E_clISt17integral_constantIbLb0EES1K_EEDaS1F_S1G_EUlS1F_E_NS1_11comp_targetILNS1_3genE2ELNS1_11target_archE906ELNS1_3gpuE6ELNS1_3repE0EEENS1_30default_config_static_selectorELNS0_4arch9wavefront6targetE0EEEvT1_, .Lfunc_end51-_ZN7rocprim17ROCPRIM_400000_NS6detail17trampoline_kernelINS0_14default_configENS1_25partition_config_selectorILNS1_17partition_subalgoE6EfNS0_10empty_typeEbEEZZNS1_14partition_implILS5_6ELb0ES3_mN6thrust23THRUST_200600_302600_NS6detail15normal_iteratorINSA_10device_ptrIfEEEEPS6_SG_NS0_5tupleIJSF_S6_EEENSH_IJSG_SG_EEES6_PlJNSB_9not_fun_tINSB_10functional5actorINSM_9compositeIJNSM_27transparent_binary_operatorINSA_8equal_toIvEEEENSN_INSM_8argumentILj0EEEEENSM_5valueIfEEEEEEEEEEEE10hipError_tPvRmT3_T4_T5_T6_T7_T9_mT8_P12ihipStream_tbDpT10_ENKUlT_T0_E_clISt17integral_constantIbLb0EES1K_EEDaS1F_S1G_EUlS1F_E_NS1_11comp_targetILNS1_3genE2ELNS1_11target_archE906ELNS1_3gpuE6ELNS1_3repE0EEENS1_30default_config_static_selectorELNS0_4arch9wavefront6targetE0EEEvT1_
                                        ; -- End function
	.set _ZN7rocprim17ROCPRIM_400000_NS6detail17trampoline_kernelINS0_14default_configENS1_25partition_config_selectorILNS1_17partition_subalgoE6EfNS0_10empty_typeEbEEZZNS1_14partition_implILS5_6ELb0ES3_mN6thrust23THRUST_200600_302600_NS6detail15normal_iteratorINSA_10device_ptrIfEEEEPS6_SG_NS0_5tupleIJSF_S6_EEENSH_IJSG_SG_EEES6_PlJNSB_9not_fun_tINSB_10functional5actorINSM_9compositeIJNSM_27transparent_binary_operatorINSA_8equal_toIvEEEENSN_INSM_8argumentILj0EEEEENSM_5valueIfEEEEEEEEEEEE10hipError_tPvRmT3_T4_T5_T6_T7_T9_mT8_P12ihipStream_tbDpT10_ENKUlT_T0_E_clISt17integral_constantIbLb0EES1K_EEDaS1F_S1G_EUlS1F_E_NS1_11comp_targetILNS1_3genE2ELNS1_11target_archE906ELNS1_3gpuE6ELNS1_3repE0EEENS1_30default_config_static_selectorELNS0_4arch9wavefront6targetE0EEEvT1_.num_vgpr, 0
	.set _ZN7rocprim17ROCPRIM_400000_NS6detail17trampoline_kernelINS0_14default_configENS1_25partition_config_selectorILNS1_17partition_subalgoE6EfNS0_10empty_typeEbEEZZNS1_14partition_implILS5_6ELb0ES3_mN6thrust23THRUST_200600_302600_NS6detail15normal_iteratorINSA_10device_ptrIfEEEEPS6_SG_NS0_5tupleIJSF_S6_EEENSH_IJSG_SG_EEES6_PlJNSB_9not_fun_tINSB_10functional5actorINSM_9compositeIJNSM_27transparent_binary_operatorINSA_8equal_toIvEEEENSN_INSM_8argumentILj0EEEEENSM_5valueIfEEEEEEEEEEEE10hipError_tPvRmT3_T4_T5_T6_T7_T9_mT8_P12ihipStream_tbDpT10_ENKUlT_T0_E_clISt17integral_constantIbLb0EES1K_EEDaS1F_S1G_EUlS1F_E_NS1_11comp_targetILNS1_3genE2ELNS1_11target_archE906ELNS1_3gpuE6ELNS1_3repE0EEENS1_30default_config_static_selectorELNS0_4arch9wavefront6targetE0EEEvT1_.num_agpr, 0
	.set _ZN7rocprim17ROCPRIM_400000_NS6detail17trampoline_kernelINS0_14default_configENS1_25partition_config_selectorILNS1_17partition_subalgoE6EfNS0_10empty_typeEbEEZZNS1_14partition_implILS5_6ELb0ES3_mN6thrust23THRUST_200600_302600_NS6detail15normal_iteratorINSA_10device_ptrIfEEEEPS6_SG_NS0_5tupleIJSF_S6_EEENSH_IJSG_SG_EEES6_PlJNSB_9not_fun_tINSB_10functional5actorINSM_9compositeIJNSM_27transparent_binary_operatorINSA_8equal_toIvEEEENSN_INSM_8argumentILj0EEEEENSM_5valueIfEEEEEEEEEEEE10hipError_tPvRmT3_T4_T5_T6_T7_T9_mT8_P12ihipStream_tbDpT10_ENKUlT_T0_E_clISt17integral_constantIbLb0EES1K_EEDaS1F_S1G_EUlS1F_E_NS1_11comp_targetILNS1_3genE2ELNS1_11target_archE906ELNS1_3gpuE6ELNS1_3repE0EEENS1_30default_config_static_selectorELNS0_4arch9wavefront6targetE0EEEvT1_.numbered_sgpr, 0
	.set _ZN7rocprim17ROCPRIM_400000_NS6detail17trampoline_kernelINS0_14default_configENS1_25partition_config_selectorILNS1_17partition_subalgoE6EfNS0_10empty_typeEbEEZZNS1_14partition_implILS5_6ELb0ES3_mN6thrust23THRUST_200600_302600_NS6detail15normal_iteratorINSA_10device_ptrIfEEEEPS6_SG_NS0_5tupleIJSF_S6_EEENSH_IJSG_SG_EEES6_PlJNSB_9not_fun_tINSB_10functional5actorINSM_9compositeIJNSM_27transparent_binary_operatorINSA_8equal_toIvEEEENSN_INSM_8argumentILj0EEEEENSM_5valueIfEEEEEEEEEEEE10hipError_tPvRmT3_T4_T5_T6_T7_T9_mT8_P12ihipStream_tbDpT10_ENKUlT_T0_E_clISt17integral_constantIbLb0EES1K_EEDaS1F_S1G_EUlS1F_E_NS1_11comp_targetILNS1_3genE2ELNS1_11target_archE906ELNS1_3gpuE6ELNS1_3repE0EEENS1_30default_config_static_selectorELNS0_4arch9wavefront6targetE0EEEvT1_.num_named_barrier, 0
	.set _ZN7rocprim17ROCPRIM_400000_NS6detail17trampoline_kernelINS0_14default_configENS1_25partition_config_selectorILNS1_17partition_subalgoE6EfNS0_10empty_typeEbEEZZNS1_14partition_implILS5_6ELb0ES3_mN6thrust23THRUST_200600_302600_NS6detail15normal_iteratorINSA_10device_ptrIfEEEEPS6_SG_NS0_5tupleIJSF_S6_EEENSH_IJSG_SG_EEES6_PlJNSB_9not_fun_tINSB_10functional5actorINSM_9compositeIJNSM_27transparent_binary_operatorINSA_8equal_toIvEEEENSN_INSM_8argumentILj0EEEEENSM_5valueIfEEEEEEEEEEEE10hipError_tPvRmT3_T4_T5_T6_T7_T9_mT8_P12ihipStream_tbDpT10_ENKUlT_T0_E_clISt17integral_constantIbLb0EES1K_EEDaS1F_S1G_EUlS1F_E_NS1_11comp_targetILNS1_3genE2ELNS1_11target_archE906ELNS1_3gpuE6ELNS1_3repE0EEENS1_30default_config_static_selectorELNS0_4arch9wavefront6targetE0EEEvT1_.private_seg_size, 0
	.set _ZN7rocprim17ROCPRIM_400000_NS6detail17trampoline_kernelINS0_14default_configENS1_25partition_config_selectorILNS1_17partition_subalgoE6EfNS0_10empty_typeEbEEZZNS1_14partition_implILS5_6ELb0ES3_mN6thrust23THRUST_200600_302600_NS6detail15normal_iteratorINSA_10device_ptrIfEEEEPS6_SG_NS0_5tupleIJSF_S6_EEENSH_IJSG_SG_EEES6_PlJNSB_9not_fun_tINSB_10functional5actorINSM_9compositeIJNSM_27transparent_binary_operatorINSA_8equal_toIvEEEENSN_INSM_8argumentILj0EEEEENSM_5valueIfEEEEEEEEEEEE10hipError_tPvRmT3_T4_T5_T6_T7_T9_mT8_P12ihipStream_tbDpT10_ENKUlT_T0_E_clISt17integral_constantIbLb0EES1K_EEDaS1F_S1G_EUlS1F_E_NS1_11comp_targetILNS1_3genE2ELNS1_11target_archE906ELNS1_3gpuE6ELNS1_3repE0EEENS1_30default_config_static_selectorELNS0_4arch9wavefront6targetE0EEEvT1_.uses_vcc, 0
	.set _ZN7rocprim17ROCPRIM_400000_NS6detail17trampoline_kernelINS0_14default_configENS1_25partition_config_selectorILNS1_17partition_subalgoE6EfNS0_10empty_typeEbEEZZNS1_14partition_implILS5_6ELb0ES3_mN6thrust23THRUST_200600_302600_NS6detail15normal_iteratorINSA_10device_ptrIfEEEEPS6_SG_NS0_5tupleIJSF_S6_EEENSH_IJSG_SG_EEES6_PlJNSB_9not_fun_tINSB_10functional5actorINSM_9compositeIJNSM_27transparent_binary_operatorINSA_8equal_toIvEEEENSN_INSM_8argumentILj0EEEEENSM_5valueIfEEEEEEEEEEEE10hipError_tPvRmT3_T4_T5_T6_T7_T9_mT8_P12ihipStream_tbDpT10_ENKUlT_T0_E_clISt17integral_constantIbLb0EES1K_EEDaS1F_S1G_EUlS1F_E_NS1_11comp_targetILNS1_3genE2ELNS1_11target_archE906ELNS1_3gpuE6ELNS1_3repE0EEENS1_30default_config_static_selectorELNS0_4arch9wavefront6targetE0EEEvT1_.uses_flat_scratch, 0
	.set _ZN7rocprim17ROCPRIM_400000_NS6detail17trampoline_kernelINS0_14default_configENS1_25partition_config_selectorILNS1_17partition_subalgoE6EfNS0_10empty_typeEbEEZZNS1_14partition_implILS5_6ELb0ES3_mN6thrust23THRUST_200600_302600_NS6detail15normal_iteratorINSA_10device_ptrIfEEEEPS6_SG_NS0_5tupleIJSF_S6_EEENSH_IJSG_SG_EEES6_PlJNSB_9not_fun_tINSB_10functional5actorINSM_9compositeIJNSM_27transparent_binary_operatorINSA_8equal_toIvEEEENSN_INSM_8argumentILj0EEEEENSM_5valueIfEEEEEEEEEEEE10hipError_tPvRmT3_T4_T5_T6_T7_T9_mT8_P12ihipStream_tbDpT10_ENKUlT_T0_E_clISt17integral_constantIbLb0EES1K_EEDaS1F_S1G_EUlS1F_E_NS1_11comp_targetILNS1_3genE2ELNS1_11target_archE906ELNS1_3gpuE6ELNS1_3repE0EEENS1_30default_config_static_selectorELNS0_4arch9wavefront6targetE0EEEvT1_.has_dyn_sized_stack, 0
	.set _ZN7rocprim17ROCPRIM_400000_NS6detail17trampoline_kernelINS0_14default_configENS1_25partition_config_selectorILNS1_17partition_subalgoE6EfNS0_10empty_typeEbEEZZNS1_14partition_implILS5_6ELb0ES3_mN6thrust23THRUST_200600_302600_NS6detail15normal_iteratorINSA_10device_ptrIfEEEEPS6_SG_NS0_5tupleIJSF_S6_EEENSH_IJSG_SG_EEES6_PlJNSB_9not_fun_tINSB_10functional5actorINSM_9compositeIJNSM_27transparent_binary_operatorINSA_8equal_toIvEEEENSN_INSM_8argumentILj0EEEEENSM_5valueIfEEEEEEEEEEEE10hipError_tPvRmT3_T4_T5_T6_T7_T9_mT8_P12ihipStream_tbDpT10_ENKUlT_T0_E_clISt17integral_constantIbLb0EES1K_EEDaS1F_S1G_EUlS1F_E_NS1_11comp_targetILNS1_3genE2ELNS1_11target_archE906ELNS1_3gpuE6ELNS1_3repE0EEENS1_30default_config_static_selectorELNS0_4arch9wavefront6targetE0EEEvT1_.has_recursion, 0
	.set _ZN7rocprim17ROCPRIM_400000_NS6detail17trampoline_kernelINS0_14default_configENS1_25partition_config_selectorILNS1_17partition_subalgoE6EfNS0_10empty_typeEbEEZZNS1_14partition_implILS5_6ELb0ES3_mN6thrust23THRUST_200600_302600_NS6detail15normal_iteratorINSA_10device_ptrIfEEEEPS6_SG_NS0_5tupleIJSF_S6_EEENSH_IJSG_SG_EEES6_PlJNSB_9not_fun_tINSB_10functional5actorINSM_9compositeIJNSM_27transparent_binary_operatorINSA_8equal_toIvEEEENSN_INSM_8argumentILj0EEEEENSM_5valueIfEEEEEEEEEEEE10hipError_tPvRmT3_T4_T5_T6_T7_T9_mT8_P12ihipStream_tbDpT10_ENKUlT_T0_E_clISt17integral_constantIbLb0EES1K_EEDaS1F_S1G_EUlS1F_E_NS1_11comp_targetILNS1_3genE2ELNS1_11target_archE906ELNS1_3gpuE6ELNS1_3repE0EEENS1_30default_config_static_selectorELNS0_4arch9wavefront6targetE0EEEvT1_.has_indirect_call, 0
	.section	.AMDGPU.csdata,"",@progbits
; Kernel info:
; codeLenInByte = 0
; TotalNumSgprs: 0
; NumVgprs: 0
; ScratchSize: 0
; MemoryBound: 0
; FloatMode: 240
; IeeeMode: 1
; LDSByteSize: 0 bytes/workgroup (compile time only)
; SGPRBlocks: 0
; VGPRBlocks: 0
; NumSGPRsForWavesPerEU: 1
; NumVGPRsForWavesPerEU: 1
; Occupancy: 16
; WaveLimiterHint : 0
; COMPUTE_PGM_RSRC2:SCRATCH_EN: 0
; COMPUTE_PGM_RSRC2:USER_SGPR: 2
; COMPUTE_PGM_RSRC2:TRAP_HANDLER: 0
; COMPUTE_PGM_RSRC2:TGID_X_EN: 1
; COMPUTE_PGM_RSRC2:TGID_Y_EN: 0
; COMPUTE_PGM_RSRC2:TGID_Z_EN: 0
; COMPUTE_PGM_RSRC2:TIDIG_COMP_CNT: 0
	.section	.text._ZN7rocprim17ROCPRIM_400000_NS6detail17trampoline_kernelINS0_14default_configENS1_25partition_config_selectorILNS1_17partition_subalgoE6EfNS0_10empty_typeEbEEZZNS1_14partition_implILS5_6ELb0ES3_mN6thrust23THRUST_200600_302600_NS6detail15normal_iteratorINSA_10device_ptrIfEEEEPS6_SG_NS0_5tupleIJSF_S6_EEENSH_IJSG_SG_EEES6_PlJNSB_9not_fun_tINSB_10functional5actorINSM_9compositeIJNSM_27transparent_binary_operatorINSA_8equal_toIvEEEENSN_INSM_8argumentILj0EEEEENSM_5valueIfEEEEEEEEEEEE10hipError_tPvRmT3_T4_T5_T6_T7_T9_mT8_P12ihipStream_tbDpT10_ENKUlT_T0_E_clISt17integral_constantIbLb0EES1K_EEDaS1F_S1G_EUlS1F_E_NS1_11comp_targetILNS1_3genE10ELNS1_11target_archE1200ELNS1_3gpuE4ELNS1_3repE0EEENS1_30default_config_static_selectorELNS0_4arch9wavefront6targetE0EEEvT1_,"axG",@progbits,_ZN7rocprim17ROCPRIM_400000_NS6detail17trampoline_kernelINS0_14default_configENS1_25partition_config_selectorILNS1_17partition_subalgoE6EfNS0_10empty_typeEbEEZZNS1_14partition_implILS5_6ELb0ES3_mN6thrust23THRUST_200600_302600_NS6detail15normal_iteratorINSA_10device_ptrIfEEEEPS6_SG_NS0_5tupleIJSF_S6_EEENSH_IJSG_SG_EEES6_PlJNSB_9not_fun_tINSB_10functional5actorINSM_9compositeIJNSM_27transparent_binary_operatorINSA_8equal_toIvEEEENSN_INSM_8argumentILj0EEEEENSM_5valueIfEEEEEEEEEEEE10hipError_tPvRmT3_T4_T5_T6_T7_T9_mT8_P12ihipStream_tbDpT10_ENKUlT_T0_E_clISt17integral_constantIbLb0EES1K_EEDaS1F_S1G_EUlS1F_E_NS1_11comp_targetILNS1_3genE10ELNS1_11target_archE1200ELNS1_3gpuE4ELNS1_3repE0EEENS1_30default_config_static_selectorELNS0_4arch9wavefront6targetE0EEEvT1_,comdat
	.protected	_ZN7rocprim17ROCPRIM_400000_NS6detail17trampoline_kernelINS0_14default_configENS1_25partition_config_selectorILNS1_17partition_subalgoE6EfNS0_10empty_typeEbEEZZNS1_14partition_implILS5_6ELb0ES3_mN6thrust23THRUST_200600_302600_NS6detail15normal_iteratorINSA_10device_ptrIfEEEEPS6_SG_NS0_5tupleIJSF_S6_EEENSH_IJSG_SG_EEES6_PlJNSB_9not_fun_tINSB_10functional5actorINSM_9compositeIJNSM_27transparent_binary_operatorINSA_8equal_toIvEEEENSN_INSM_8argumentILj0EEEEENSM_5valueIfEEEEEEEEEEEE10hipError_tPvRmT3_T4_T5_T6_T7_T9_mT8_P12ihipStream_tbDpT10_ENKUlT_T0_E_clISt17integral_constantIbLb0EES1K_EEDaS1F_S1G_EUlS1F_E_NS1_11comp_targetILNS1_3genE10ELNS1_11target_archE1200ELNS1_3gpuE4ELNS1_3repE0EEENS1_30default_config_static_selectorELNS0_4arch9wavefront6targetE0EEEvT1_ ; -- Begin function _ZN7rocprim17ROCPRIM_400000_NS6detail17trampoline_kernelINS0_14default_configENS1_25partition_config_selectorILNS1_17partition_subalgoE6EfNS0_10empty_typeEbEEZZNS1_14partition_implILS5_6ELb0ES3_mN6thrust23THRUST_200600_302600_NS6detail15normal_iteratorINSA_10device_ptrIfEEEEPS6_SG_NS0_5tupleIJSF_S6_EEENSH_IJSG_SG_EEES6_PlJNSB_9not_fun_tINSB_10functional5actorINSM_9compositeIJNSM_27transparent_binary_operatorINSA_8equal_toIvEEEENSN_INSM_8argumentILj0EEEEENSM_5valueIfEEEEEEEEEEEE10hipError_tPvRmT3_T4_T5_T6_T7_T9_mT8_P12ihipStream_tbDpT10_ENKUlT_T0_E_clISt17integral_constantIbLb0EES1K_EEDaS1F_S1G_EUlS1F_E_NS1_11comp_targetILNS1_3genE10ELNS1_11target_archE1200ELNS1_3gpuE4ELNS1_3repE0EEENS1_30default_config_static_selectorELNS0_4arch9wavefront6targetE0EEEvT1_
	.globl	_ZN7rocprim17ROCPRIM_400000_NS6detail17trampoline_kernelINS0_14default_configENS1_25partition_config_selectorILNS1_17partition_subalgoE6EfNS0_10empty_typeEbEEZZNS1_14partition_implILS5_6ELb0ES3_mN6thrust23THRUST_200600_302600_NS6detail15normal_iteratorINSA_10device_ptrIfEEEEPS6_SG_NS0_5tupleIJSF_S6_EEENSH_IJSG_SG_EEES6_PlJNSB_9not_fun_tINSB_10functional5actorINSM_9compositeIJNSM_27transparent_binary_operatorINSA_8equal_toIvEEEENSN_INSM_8argumentILj0EEEEENSM_5valueIfEEEEEEEEEEEE10hipError_tPvRmT3_T4_T5_T6_T7_T9_mT8_P12ihipStream_tbDpT10_ENKUlT_T0_E_clISt17integral_constantIbLb0EES1K_EEDaS1F_S1G_EUlS1F_E_NS1_11comp_targetILNS1_3genE10ELNS1_11target_archE1200ELNS1_3gpuE4ELNS1_3repE0EEENS1_30default_config_static_selectorELNS0_4arch9wavefront6targetE0EEEvT1_
	.p2align	8
	.type	_ZN7rocprim17ROCPRIM_400000_NS6detail17trampoline_kernelINS0_14default_configENS1_25partition_config_selectorILNS1_17partition_subalgoE6EfNS0_10empty_typeEbEEZZNS1_14partition_implILS5_6ELb0ES3_mN6thrust23THRUST_200600_302600_NS6detail15normal_iteratorINSA_10device_ptrIfEEEEPS6_SG_NS0_5tupleIJSF_S6_EEENSH_IJSG_SG_EEES6_PlJNSB_9not_fun_tINSB_10functional5actorINSM_9compositeIJNSM_27transparent_binary_operatorINSA_8equal_toIvEEEENSN_INSM_8argumentILj0EEEEENSM_5valueIfEEEEEEEEEEEE10hipError_tPvRmT3_T4_T5_T6_T7_T9_mT8_P12ihipStream_tbDpT10_ENKUlT_T0_E_clISt17integral_constantIbLb0EES1K_EEDaS1F_S1G_EUlS1F_E_NS1_11comp_targetILNS1_3genE10ELNS1_11target_archE1200ELNS1_3gpuE4ELNS1_3repE0EEENS1_30default_config_static_selectorELNS0_4arch9wavefront6targetE0EEEvT1_,@function
_ZN7rocprim17ROCPRIM_400000_NS6detail17trampoline_kernelINS0_14default_configENS1_25partition_config_selectorILNS1_17partition_subalgoE6EfNS0_10empty_typeEbEEZZNS1_14partition_implILS5_6ELb0ES3_mN6thrust23THRUST_200600_302600_NS6detail15normal_iteratorINSA_10device_ptrIfEEEEPS6_SG_NS0_5tupleIJSF_S6_EEENSH_IJSG_SG_EEES6_PlJNSB_9not_fun_tINSB_10functional5actorINSM_9compositeIJNSM_27transparent_binary_operatorINSA_8equal_toIvEEEENSN_INSM_8argumentILj0EEEEENSM_5valueIfEEEEEEEEEEEE10hipError_tPvRmT3_T4_T5_T6_T7_T9_mT8_P12ihipStream_tbDpT10_ENKUlT_T0_E_clISt17integral_constantIbLb0EES1K_EEDaS1F_S1G_EUlS1F_E_NS1_11comp_targetILNS1_3genE10ELNS1_11target_archE1200ELNS1_3gpuE4ELNS1_3repE0EEENS1_30default_config_static_selectorELNS0_4arch9wavefront6targetE0EEEvT1_: ; @_ZN7rocprim17ROCPRIM_400000_NS6detail17trampoline_kernelINS0_14default_configENS1_25partition_config_selectorILNS1_17partition_subalgoE6EfNS0_10empty_typeEbEEZZNS1_14partition_implILS5_6ELb0ES3_mN6thrust23THRUST_200600_302600_NS6detail15normal_iteratorINSA_10device_ptrIfEEEEPS6_SG_NS0_5tupleIJSF_S6_EEENSH_IJSG_SG_EEES6_PlJNSB_9not_fun_tINSB_10functional5actorINSM_9compositeIJNSM_27transparent_binary_operatorINSA_8equal_toIvEEEENSN_INSM_8argumentILj0EEEEENSM_5valueIfEEEEEEEEEEEE10hipError_tPvRmT3_T4_T5_T6_T7_T9_mT8_P12ihipStream_tbDpT10_ENKUlT_T0_E_clISt17integral_constantIbLb0EES1K_EEDaS1F_S1G_EUlS1F_E_NS1_11comp_targetILNS1_3genE10ELNS1_11target_archE1200ELNS1_3gpuE4ELNS1_3repE0EEENS1_30default_config_static_selectorELNS0_4arch9wavefront6targetE0EEEvT1_
; %bb.0:
	s_clause 0x3
	s_load_b128 s[4:7], s[0:1], 0x8
	s_load_b128 s[8:11], s[0:1], 0x40
	s_load_b32 s12, s[0:1], 0x68
	s_load_b64 s[2:3], s[0:1], 0x50
	s_mov_b32 s13, 0
	v_lshlrev_b32_e32 v8, 2, v0
	s_wait_kmcnt 0x0
	s_lshl_b64 s[14:15], s[6:7], 2
	s_load_b64 s[10:11], s[10:11], 0x0
	s_add_co_i32 s17, s12, -1
	s_mulk_i32 s12, 0xa80
	s_add_nc_u64 s[14:15], s[4:5], s[14:15]
	s_add_nc_u64 s[4:5], s[6:7], s[12:13]
	s_add_co_i32 s6, s12, s6
	v_cmp_le_u64_e64 s3, s[2:3], s[4:5]
	s_sub_co_i32 s16, s2, s6
	s_cmp_eq_u32 ttmp9, s17
	s_mul_i32 s2, ttmp9, 0xa80
	s_cselect_b32 s12, -1, 0
	s_mov_b32 s4, -1
	s_and_b32 s5, s12, s3
	s_mov_b32 s3, s13
	s_wait_alu 0xfffe
	s_xor_b32 s13, s5, -1
	s_lshl_b64 s[2:3], s[2:3], 2
	s_and_b32 vcc_lo, exec_lo, s13
	s_wait_alu 0xfffe
	s_add_nc_u64 s[2:3], s[14:15], s[2:3]
	s_cbranch_vccz .LBB52_2
; %bb.1:
	s_wait_alu 0xfffe
	v_add_co_u32 v1, s4, s2, v8
	s_wait_alu 0xf1ff
	v_add_co_ci_u32_e64 v2, null, s3, 0, s4
	s_mov_b32 s4, 0
	s_clause 0x6
	flat_load_b32 v3, v[1:2]
	flat_load_b32 v4, v[1:2] offset:1536
	flat_load_b32 v5, v[1:2] offset:3072
	;; [unrolled: 1-line block ×6, first 2 shown]
	s_wait_loadcnt_dscnt 0x505
	ds_store_2addr_stride64_b32 v8, v3, v4 offset1:6
	s_wait_loadcnt_dscnt 0x304
	ds_store_2addr_stride64_b32 v8, v5, v6 offset0:12 offset1:18
	s_wait_loadcnt_dscnt 0x103
	ds_store_2addr_stride64_b32 v8, v7, v9 offset0:24 offset1:30
	s_wait_loadcnt_dscnt 0x3
	ds_store_b32 v8, v1 offset:9216
	s_wait_dscnt 0x0
	s_barrier_signal -1
	s_barrier_wait -1
.LBB52_2:
	s_load_b32 s15, s[0:1], 0x74
	s_and_not1_b32 vcc_lo, exec_lo, s4
	s_addk_co_i32 s16, 0xa80
	s_cbranch_vccnz .LBB52_18
; %bb.3:
	v_mov_b32_e32 v1, 0
	s_mov_b32 s4, exec_lo
	s_delay_alu instid0(VALU_DEP_1)
	v_dual_mov_b32 v2, v1 :: v_dual_mov_b32 v3, v1
	v_dual_mov_b32 v4, v1 :: v_dual_mov_b32 v5, v1
	;; [unrolled: 1-line block ×3, first 2 shown]
	v_cmpx_gt_u32_e64 s16, v0
	s_cbranch_execz .LBB52_5
; %bb.4:
	v_add_co_u32 v2, s5, s2, v8
	s_wait_alu 0xf1ff
	v_add_co_ci_u32_e64 v3, null, s3, 0, s5
	v_dual_mov_b32 v10, v1 :: v_dual_mov_b32 v11, v1
	v_dual_mov_b32 v12, v1 :: v_dual_mov_b32 v13, v1
	flat_load_b32 v9, v[2:3]
	v_dual_mov_b32 v14, v1 :: v_dual_mov_b32 v15, v1
	s_wait_loadcnt_dscnt 0x0
	v_dual_mov_b32 v1, v9 :: v_dual_mov_b32 v2, v10
	v_dual_mov_b32 v3, v11 :: v_dual_mov_b32 v4, v12
	s_delay_alu instid0(VALU_DEP_3)
	v_dual_mov_b32 v5, v13 :: v_dual_mov_b32 v6, v14
	v_mov_b32_e32 v7, v15
.LBB52_5:
	s_wait_alu 0xfffe
	s_or_b32 exec_lo, exec_lo, s4
	v_add_nc_u32_e32 v9, 0x180, v0
	s_mov_b32 s4, exec_lo
	s_delay_alu instid0(VALU_DEP_1)
	v_cmpx_gt_u32_e64 s16, v9
	s_cbranch_execz .LBB52_7
; %bb.6:
	v_add_co_u32 v9, s5, s2, v8
	s_wait_alu 0xf1ff
	v_add_co_ci_u32_e64 v10, null, s3, 0, s5
	flat_load_b32 v2, v[9:10] offset:1536
.LBB52_7:
	s_wait_alu 0xfffe
	s_or_b32 exec_lo, exec_lo, s4
	v_add_nc_u32_e32 v9, 0x300, v0
	s_mov_b32 s4, exec_lo
	s_delay_alu instid0(VALU_DEP_1)
	v_cmpx_gt_u32_e64 s16, v9
	s_cbranch_execz .LBB52_9
; %bb.8:
	v_add_co_u32 v9, s5, s2, v8
	s_wait_alu 0xf1ff
	v_add_co_ci_u32_e64 v10, null, s3, 0, s5
	flat_load_b32 v3, v[9:10] offset:3072
.LBB52_9:
	;; [unrolled: 13-line block ×3, first 2 shown]
	s_wait_alu 0xfffe
	s_or_b32 exec_lo, exec_lo, s4
	v_or_b32_e32 v9, 0x600, v0
	s_mov_b32 s4, exec_lo
	s_delay_alu instid0(VALU_DEP_1)
	v_cmpx_gt_u32_e64 s16, v9
	s_cbranch_execz .LBB52_13
; %bb.12:
	v_add_co_u32 v9, s5, s2, v8
	s_wait_alu 0xf1ff
	v_add_co_ci_u32_e64 v10, null, s3, 0, s5
	flat_load_b32 v5, v[9:10] offset:6144
.LBB52_13:
	s_wait_alu 0xfffe
	s_or_b32 exec_lo, exec_lo, s4
	v_add_nc_u32_e32 v9, 0x780, v0
	s_mov_b32 s4, exec_lo
	s_delay_alu instid0(VALU_DEP_1)
	v_cmpx_gt_u32_e64 s16, v9
	s_cbranch_execz .LBB52_15
; %bb.14:
	v_add_co_u32 v9, s5, s2, v8
	s_wait_alu 0xf1ff
	v_add_co_ci_u32_e64 v10, null, s3, 0, s5
	flat_load_b32 v6, v[9:10] offset:7680
.LBB52_15:
	s_wait_alu 0xfffe
	s_or_b32 exec_lo, exec_lo, s4
	v_add_nc_u32_e32 v9, 0x900, v0
	s_mov_b32 s4, exec_lo
	s_delay_alu instid0(VALU_DEP_1)
	v_cmpx_gt_u32_e64 s16, v9
	s_cbranch_execz .LBB52_17
; %bb.16:
	v_add_co_u32 v9, s2, s2, v8
	s_wait_alu 0xf1ff
	v_add_co_ci_u32_e64 v10, null, s3, 0, s2
	flat_load_b32 v7, v[9:10] offset:9216
.LBB52_17:
	s_wait_alu 0xfffe
	s_or_b32 exec_lo, exec_lo, s4
	s_wait_loadcnt_dscnt 0x0
	ds_store_2addr_stride64_b32 v8, v1, v2 offset1:6
	ds_store_2addr_stride64_b32 v8, v3, v4 offset0:12 offset1:18
	ds_store_2addr_stride64_b32 v8, v5, v6 offset0:24 offset1:30
	ds_store_b32 v8, v7 offset:9216
	s_wait_dscnt 0x0
	s_barrier_signal -1
	s_barrier_wait -1
.LBB52_18:
	v_mul_u32_u24_e32 v1, 7, v0
	global_inv scope:SCOPE_SE
	s_and_not1_b32 vcc_lo, exec_lo, s13
	v_lshlrev_b32_e32 v34, 2, v1
	ds_load_2addr_b32 v[9:10], v34 offset0:4 offset1:5
	ds_load_b32 v29, v34 offset:24
	ds_load_2addr_b32 v[13:14], v34 offset1:1
	ds_load_2addr_b32 v[11:12], v34 offset0:2 offset1:3
	s_wait_loadcnt_dscnt 0x0
	s_barrier_signal -1
	s_barrier_wait -1
	global_inv scope:SCOPE_SE
	s_wait_kmcnt 0x0
	v_cmp_neq_f32_e64 s2, s15, v9
	v_cmp_neq_f32_e64 s14, s15, v29
	;; [unrolled: 1-line block ×7, first 2 shown]
	s_cbranch_vccnz .LBB52_20
; %bb.19:
	v_cndmask_b32_e64 v2, 0, 1, s6
	v_cndmask_b32_e64 v3, 0, 1, s7
	s_wait_alu 0xf1ff
	v_cndmask_b32_e64 v4, 0, 1, s4
	v_cndmask_b32_e64 v5, 0, 1, s5
	;; [unrolled: 1-line block ×3, first 2 shown]
	v_lshlrev_b16 v2, 8, v2
	v_lshlrev_b16 v3, 8, v3
	v_cndmask_b32_e64 v30, 0, 1, s3
	s_delay_alu instid0(VALU_DEP_3) | instskip(NEXT) | instid1(VALU_DEP_3)
	v_or_b32_e32 v2, v4, v2
	v_or_b32_e32 v3, v5, v3
	s_delay_alu instid0(VALU_DEP_2) | instskip(NEXT) | instid1(VALU_DEP_2)
	v_and_b32_e32 v2, 0xffff, v2
	v_lshlrev_b32_e32 v3, 16, v3
	s_delay_alu instid0(VALU_DEP_1)
	v_or_b32_e32 v33, v2, v3
	s_cbranch_execz .LBB52_21
	s_branch .LBB52_22
.LBB52_20:
                                        ; implicit-def: $sgpr14
                                        ; implicit-def: $vgpr30
                                        ; implicit-def: $vgpr31
                                        ; implicit-def: $vgpr33
.LBB52_21:
	v_add_nc_u32_e32 v2, 1, v1
	v_cmp_neq_f32_e32 vcc_lo, s15, v14
	v_add_nc_u32_e32 v3, 3, v1
	v_cmp_neq_f32_e64 s2, s15, v13
	v_cmp_neq_f32_e64 s4, s15, v12
	v_cmp_gt_u32_e64 s3, s16, v2
	v_add_nc_u32_e32 v2, 2, v1
	v_cmp_gt_u32_e64 s6, s16, v3
	v_cmp_neq_f32_e64 s5, s15, v11
	v_add_nc_u32_e32 v5, 5, v1
	s_and_b32 s3, s3, vcc_lo
	v_cmp_gt_u32_e32 vcc_lo, s16, v1
	s_wait_alu 0xfffe
	v_cndmask_b32_e64 v3, 0, 1, s3
	v_cmp_gt_u32_e64 s3, s16, v2
	s_and_b32 s4, s6, s4
	s_and_b32 s2, vcc_lo, s2
	v_lshlrev_b16 v3, 8, v3
	s_wait_alu 0xfffe
	v_cndmask_b32_e64 v4, 0, 1, s2
	v_cndmask_b32_e64 v2, 0, 1, s4
	s_and_b32 s2, s3, s5
	v_cmp_neq_f32_e32 vcc_lo, s15, v10
	s_wait_alu 0xfffe
	v_cndmask_b32_e64 v6, 0, 1, s2
	v_cmp_gt_u32_e64 s2, s16, v5
	v_or_b32_e32 v3, v4, v3
	v_add_nc_u32_e32 v4, 4, v1
	v_lshlrev_b16 v2, 8, v2
	v_cmp_neq_f32_e64 s3, s15, v9
	s_and_b32 s2, s2, vcc_lo
	v_add_nc_u32_e32 v1, 6, v1
	v_cmp_gt_u32_e32 vcc_lo, s16, v4
	v_or_b32_e32 v2, v6, v2
	s_wait_alu 0xfffe
	v_cndmask_b32_e64 v30, 0, 1, s2
	v_and_b32_e32 v3, 0xffff, v3
	s_and_b32 s2, vcc_lo, s3
	v_cmp_gt_u32_e32 vcc_lo, s16, v1
	s_wait_alu 0xfffe
	v_cndmask_b32_e64 v5, 0, 1, s2
	v_cmp_neq_f32_e64 s2, s15, v29
	v_lshlrev_b32_e32 v2, 16, v2
	v_lshlrev_b16 v4, 8, v30
	s_and_not1_b32 s3, s14, exec_lo
	s_and_b32 s2, vcc_lo, s2
	s_delay_alu instid0(VALU_DEP_2) | instskip(NEXT) | instid1(VALU_DEP_2)
	v_or_b32_e32 v33, v3, v2
	v_or_b32_e32 v31, v5, v4
	s_wait_alu 0xfffe
	s_and_b32 s2, s2, exec_lo
	s_wait_alu 0xfffe
	s_or_b32 s14, s3, s2
.LBB52_22:
	s_delay_alu instid0(VALU_DEP_1)
	v_dual_mov_b32 v2, 0 :: v_dual_and_b32 v37, 0xff, v33
	v_bfe_u32 v36, v33, 8, 8
	s_wait_alu 0xfffe
	v_cndmask_b32_e64 v1, 0, 1, s14
	v_bfe_u32 v39, v33, 16, 8
	v_lshrrev_b32_e32 v32, 24, v33
	s_load_b64 s[6:7], s[0:1], 0x60
	v_and_b32_e32 v38, 0xff, v31
	v_add3_u32 v1, v37, v1, v36
	v_mbcnt_lo_u32_b32 v40, -1, 0
	v_and_b32_e32 v35, 0xff, v30
	s_cmp_lg_u32 ttmp9, 0
	s_mov_b32 s3, -1
	v_add_co_u32 v1, s2, v1, v39
	s_wait_alu 0xf1ff
	v_add_co_ci_u32_e64 v3, null, 0, 0, s2
	v_and_b32_e32 v41, 15, v40
	s_delay_alu instid0(VALU_DEP_3) | instskip(NEXT) | instid1(VALU_DEP_1)
	v_add_co_u32 v1, vcc_lo, v1, v32
	v_add_co_ci_u32_e64 v3, null, 0, v3, vcc_lo
	s_delay_alu instid0(VALU_DEP_3) | instskip(NEXT) | instid1(VALU_DEP_3)
	v_cmp_ne_u32_e64 s2, 0, v41
	v_add_co_u32 v1, vcc_lo, v1, v38
	s_wait_alu 0xfffd
	s_delay_alu instid0(VALU_DEP_3) | instskip(NEXT) | instid1(VALU_DEP_2)
	v_add_co_ci_u32_e64 v3, null, 0, v3, vcc_lo
	v_add_co_u32 v15, vcc_lo, v1, v35
	s_wait_alu 0xfffd
	s_delay_alu instid0(VALU_DEP_2)
	v_add_co_ci_u32_e64 v16, null, 0, v3, vcc_lo
	s_cbranch_scc0 .LBB52_81
; %bb.23:
	v_mov_b32_e32 v3, v15
	v_mov_b32_dpp v1, v15 row_shr:1 row_mask:0xf bank_mask:0xf
	v_mov_b32_dpp v6, v2 row_shr:1 row_mask:0xf bank_mask:0xf
	v_dual_mov_b32 v5, v15 :: v_dual_mov_b32 v4, v16
	s_and_saveexec_b32 s3, s2
; %bb.24:
	s_delay_alu instid0(VALU_DEP_3) | instskip(SKIP_2) | instid1(VALU_DEP_2)
	v_add_co_u32 v5, vcc_lo, v15, v1
	s_wait_alu 0xfffd
	v_add_co_ci_u32_e64 v2, null, 0, v16, vcc_lo
	v_add_co_u32 v1, vcc_lo, 0, v5
	s_wait_alu 0xfffd
	s_delay_alu instid0(VALU_DEP_2) | instskip(NEXT) | instid1(VALU_DEP_1)
	v_add_co_ci_u32_e64 v2, null, v6, v2, vcc_lo
	v_dual_mov_b32 v4, v2 :: v_dual_mov_b32 v3, v1
; %bb.25:
	s_wait_alu 0xfffe
	s_or_b32 exec_lo, exec_lo, s3
	v_mov_b32_dpp v1, v5 row_shr:2 row_mask:0xf bank_mask:0xf
	v_mov_b32_dpp v6, v2 row_shr:2 row_mask:0xf bank_mask:0xf
	v_cmp_lt_u32_e32 vcc_lo, 1, v41
	s_and_saveexec_b32 s4, vcc_lo
; %bb.26:
	s_delay_alu instid0(VALU_DEP_3) | instskip(SKIP_2) | instid1(VALU_DEP_2)
	v_add_co_u32 v5, s3, v3, v1
	s_wait_alu 0xf1ff
	v_add_co_ci_u32_e64 v2, null, 0, v4, s3
	v_add_co_u32 v1, s3, 0, v5
	s_wait_alu 0xf1ff
	s_delay_alu instid0(VALU_DEP_2) | instskip(NEXT) | instid1(VALU_DEP_1)
	v_add_co_ci_u32_e64 v2, null, v6, v2, s3
	v_dual_mov_b32 v4, v2 :: v_dual_mov_b32 v3, v1
; %bb.27:
	s_wait_alu 0xfffe
	s_or_b32 exec_lo, exec_lo, s4
	v_mov_b32_dpp v1, v5 row_shr:4 row_mask:0xf bank_mask:0xf
	v_mov_b32_dpp v6, v2 row_shr:4 row_mask:0xf bank_mask:0xf
	v_cmp_lt_u32_e64 s3, 3, v41
	s_and_saveexec_b32 s5, s3
; %bb.28:
	v_add_co_u32 v5, s4, v3, v1
	s_wait_alu 0xf1ff
	v_add_co_ci_u32_e64 v2, null, 0, v4, s4
	s_delay_alu instid0(VALU_DEP_2) | instskip(SKIP_1) | instid1(VALU_DEP_2)
	v_add_co_u32 v1, s4, 0, v5
	s_wait_alu 0xf1ff
	v_add_co_ci_u32_e64 v2, null, v6, v2, s4
	s_delay_alu instid0(VALU_DEP_1)
	v_dual_mov_b32 v4, v2 :: v_dual_mov_b32 v3, v1
; %bb.29:
	s_wait_alu 0xfffe
	s_or_b32 exec_lo, exec_lo, s5
	v_mov_b32_dpp v6, v5 row_shr:8 row_mask:0xf bank_mask:0xf
	v_mov_b32_dpp v1, v2 row_shr:8 row_mask:0xf bank_mask:0xf
	v_cmp_lt_u32_e64 s4, 7, v41
	s_and_saveexec_b32 s15, s4
; %bb.30:
	v_add_co_u32 v5, s5, v3, v6
	s_wait_alu 0xf1ff
	v_add_co_ci_u32_e64 v2, null, 0, v4, s5
	s_delay_alu instid0(VALU_DEP_2) | instskip(SKIP_1) | instid1(VALU_DEP_2)
	v_add_co_u32 v3, s5, 0, v5
	s_wait_alu 0xf1ff
	v_add_co_ci_u32_e64 v4, null, v1, v2, s5
	s_delay_alu instid0(VALU_DEP_1)
	v_mov_b32_e32 v2, v4
; %bb.31:
	s_wait_alu 0xfffe
	s_or_b32 exec_lo, exec_lo, s15
	ds_swizzle_b32 v1, v5 offset:swizzle(BROADCAST,32,15)
	ds_swizzle_b32 v6, v2 offset:swizzle(BROADCAST,32,15)
	v_and_b32_e32 v7, 16, v40
	s_mov_b32 s15, exec_lo
	s_delay_alu instid0(VALU_DEP_1)
	v_cmpx_ne_u32_e32 0, v7
	s_cbranch_execz .LBB52_33
; %bb.32:
	s_wait_dscnt 0x1
	v_add_co_u32 v5, s5, v3, v1
	s_wait_alu 0xf1ff
	v_add_co_ci_u32_e64 v2, null, 0, v4, s5
	s_delay_alu instid0(VALU_DEP_2) | instskip(SKIP_2) | instid1(VALU_DEP_2)
	v_add_co_u32 v1, s5, 0, v5
	s_wait_dscnt 0x0
	s_wait_alu 0xf1ff
	v_add_co_ci_u32_e64 v2, null, v6, v2, s5
	s_delay_alu instid0(VALU_DEP_1)
	v_dual_mov_b32 v4, v2 :: v_dual_mov_b32 v3, v1
.LBB52_33:
	s_wait_alu 0xfffe
	s_or_b32 exec_lo, exec_lo, s15
	s_wait_dscnt 0x1
	v_and_b32_e32 v1, 0x1e0, v0
	s_mov_b32 s15, exec_lo
	s_delay_alu instid0(VALU_DEP_1) | instskip(SKIP_1) | instid1(VALU_DEP_1)
	v_min_u32_e32 v1, 0x160, v1
	s_wait_dscnt 0x0
	v_or_b32_e32 v6, 31, v1
	v_lshrrev_b32_e32 v1, 5, v0
	s_delay_alu instid0(VALU_DEP_2)
	v_cmpx_eq_u32_e64 v0, v6
; %bb.34:
	s_delay_alu instid0(VALU_DEP_2)
	v_lshlrev_b32_e32 v6, 3, v1
	ds_store_b64 v6, v[3:4]
; %bb.35:
	s_wait_alu 0xfffe
	s_or_b32 exec_lo, exec_lo, s15
	s_delay_alu instid0(SALU_CYCLE_1)
	s_mov_b32 s15, exec_lo
	s_wait_loadcnt_dscnt 0x0
	s_barrier_signal -1
	s_barrier_wait -1
	global_inv scope:SCOPE_SE
	v_cmpx_gt_u32_e32 12, v0
	s_cbranch_execz .LBB52_45
; %bb.36:
	v_lshlrev_b32_e32 v6, 3, v0
	ds_load_b64 v[3:4], v6
	s_wait_dscnt 0x0
	v_mov_b32_dpp v17, v3 row_shr:1 row_mask:0xf bank_mask:0xf
	v_mov_b32_dpp v8, v4 row_shr:1 row_mask:0xf bank_mask:0xf
	v_mov_b32_e32 v7, v3
	s_and_saveexec_b32 s16, s2
; %bb.37:
	s_delay_alu instid0(VALU_DEP_3) | instskip(SKIP_2) | instid1(VALU_DEP_2)
	v_add_co_u32 v7, s5, v3, v17
	s_wait_alu 0xf1ff
	v_add_co_ci_u32_e64 v4, null, 0, v4, s5
	v_add_co_u32 v3, s5, 0, v7
	s_wait_alu 0xf1ff
	s_delay_alu instid0(VALU_DEP_2)
	v_add_co_ci_u32_e64 v4, null, v8, v4, s5
; %bb.38:
	s_wait_alu 0xfffe
	s_or_b32 exec_lo, exec_lo, s16
	v_mov_b32_dpp v17, v7 row_shr:2 row_mask:0xf bank_mask:0xf
	s_delay_alu instid0(VALU_DEP_2)
	v_mov_b32_dpp v8, v4 row_shr:2 row_mask:0xf bank_mask:0xf
	s_and_saveexec_b32 s5, vcc_lo
; %bb.39:
	s_delay_alu instid0(VALU_DEP_2) | instskip(SKIP_2) | instid1(VALU_DEP_2)
	v_add_co_u32 v7, vcc_lo, v3, v17
	s_wait_alu 0xfffd
	v_add_co_ci_u32_e64 v4, null, 0, v4, vcc_lo
	v_add_co_u32 v3, vcc_lo, 0, v7
	s_wait_alu 0xfffd
	s_delay_alu instid0(VALU_DEP_2)
	v_add_co_ci_u32_e64 v4, null, v8, v4, vcc_lo
; %bb.40:
	s_wait_alu 0xfffe
	s_or_b32 exec_lo, exec_lo, s5
	v_mov_b32_dpp v17, v7 row_shr:4 row_mask:0xf bank_mask:0xf
	s_delay_alu instid0(VALU_DEP_2)
	v_mov_b32_dpp v8, v4 row_shr:4 row_mask:0xf bank_mask:0xf
	s_and_saveexec_b32 s5, s3
; %bb.41:
	s_delay_alu instid0(VALU_DEP_2) | instskip(SKIP_2) | instid1(VALU_DEP_2)
	v_add_co_u32 v7, vcc_lo, v3, v17
	s_wait_alu 0xfffd
	v_add_co_ci_u32_e64 v4, null, 0, v4, vcc_lo
	v_add_co_u32 v3, vcc_lo, 0, v7
	s_wait_alu 0xfffd
	s_delay_alu instid0(VALU_DEP_2)
	v_add_co_ci_u32_e64 v4, null, v8, v4, vcc_lo
; %bb.42:
	s_wait_alu 0xfffe
	s_or_b32 exec_lo, exec_lo, s5
	v_mov_b32_dpp v8, v7 row_shr:8 row_mask:0xf bank_mask:0xf
	s_delay_alu instid0(VALU_DEP_2)
	v_mov_b32_dpp v7, v4 row_shr:8 row_mask:0xf bank_mask:0xf
	s_and_saveexec_b32 s3, s4
; %bb.43:
	s_delay_alu instid0(VALU_DEP_2) | instskip(SKIP_2) | instid1(VALU_DEP_2)
	v_add_co_u32 v3, vcc_lo, v3, v8
	s_wait_alu 0xfffd
	v_add_co_ci_u32_e64 v4, null, 0, v4, vcc_lo
	v_add_co_u32 v3, vcc_lo, v3, 0
	s_wait_alu 0xfffd
	s_delay_alu instid0(VALU_DEP_2)
	v_add_co_ci_u32_e64 v4, null, v4, v7, vcc_lo
; %bb.44:
	s_wait_alu 0xfffe
	s_or_b32 exec_lo, exec_lo, s3
	ds_store_b64 v6, v[3:4]
.LBB52_45:
	s_wait_alu 0xfffe
	s_or_b32 exec_lo, exec_lo, s15
	s_delay_alu instid0(SALU_CYCLE_1)
	s_mov_b32 s4, exec_lo
	v_cmp_gt_u32_e32 vcc_lo, 32, v0
	s_wait_loadcnt_dscnt 0x0
	s_barrier_signal -1
	s_barrier_wait -1
	global_inv scope:SCOPE_SE
                                        ; implicit-def: $vgpr17_vgpr18
	v_cmpx_lt_u32_e32 31, v0
	s_cbranch_execz .LBB52_47
; %bb.46:
	v_lshl_add_u32 v1, v1, 3, -8
	ds_load_b64 v[17:18], v1
	s_wait_dscnt 0x0
	v_add_co_u32 v5, s3, v5, v17
	s_wait_alu 0xf1ff
	v_add_co_ci_u32_e64 v2, null, v2, v18, s3
.LBB52_47:
	s_wait_alu 0xfffe
	s_or_b32 exec_lo, exec_lo, s4
	v_sub_co_u32 v1, s3, v40, 1
	s_delay_alu instid0(VALU_DEP_1) | instskip(SKIP_1) | instid1(VALU_DEP_1)
	v_cmp_gt_i32_e64 s4, 0, v1
	s_wait_alu 0xf1ff
	v_cndmask_b32_e64 v1, v1, v40, s4
	s_delay_alu instid0(VALU_DEP_1)
	v_lshlrev_b32_e32 v1, 2, v1
	ds_bpermute_b32 v23, v1, v5
	ds_bpermute_b32 v24, v1, v2
	s_and_saveexec_b32 s4, vcc_lo
	s_cbranch_execz .LBB52_86
; %bb.48:
	v_mov_b32_e32 v4, 0
	ds_load_b64 v[1:2], v4 offset:88
	s_and_saveexec_b32 s5, s3
	s_cbranch_execz .LBB52_50
; %bb.49:
	s_add_co_i32 s16, ttmp9, 32
	s_mov_b32 s17, 0
	s_wait_alu 0xfffe
	s_lshl_b64 s[16:17], s[16:17], 4
	s_wait_kmcnt 0x0
	s_wait_alu 0xfffe
	s_add_nc_u64 s[16:17], s[6:7], s[16:17]
	v_mov_b32_e32 v3, 1
	s_wait_alu 0xfffe
	v_dual_mov_b32 v5, s16 :: v_dual_mov_b32 v6, s17
	s_wait_dscnt 0x0
	;;#ASMSTART
	global_store_b128 v[5:6], v[1:4] off scope:SCOPE_DEV	
s_wait_storecnt 0x0
	;;#ASMEND
.LBB52_50:
	s_wait_alu 0xfffe
	s_or_b32 exec_lo, exec_lo, s5
	v_xad_u32 v19, v40, -1, ttmp9
	s_mov_b32 s15, 0
	s_mov_b32 s5, exec_lo
	s_delay_alu instid0(VALU_DEP_1) | instskip(NEXT) | instid1(VALU_DEP_1)
	v_add_nc_u32_e32 v3, 32, v19
	v_lshlrev_b64_e32 v[3:4], 4, v[3:4]
	s_wait_kmcnt 0x0
	s_delay_alu instid0(VALU_DEP_1) | instskip(SKIP_1) | instid1(VALU_DEP_2)
	v_add_co_u32 v3, vcc_lo, s6, v3
	s_wait_alu 0xfffd
	v_add_co_ci_u32_e64 v4, null, s7, v4, vcc_lo
	;;#ASMSTART
	global_load_b128 v[5:8], v[3:4] off scope:SCOPE_DEV	
s_wait_loadcnt 0x0
	;;#ASMEND
	v_and_b32_e32 v8, 0xff, v7
	s_delay_alu instid0(VALU_DEP_1)
	v_cmpx_eq_u16_e32 0, v8
	s_cbranch_execz .LBB52_53
.LBB52_51:                              ; =>This Inner Loop Header: Depth=1
	;;#ASMSTART
	global_load_b128 v[5:8], v[3:4] off scope:SCOPE_DEV	
s_wait_loadcnt 0x0
	;;#ASMEND
	v_and_b32_e32 v8, 0xff, v7
	s_delay_alu instid0(VALU_DEP_1)
	v_cmp_ne_u16_e32 vcc_lo, 0, v8
	s_wait_alu 0xfffe
	s_or_b32 s15, vcc_lo, s15
	s_wait_alu 0xfffe
	s_and_not1_b32 exec_lo, exec_lo, s15
	s_cbranch_execnz .LBB52_51
; %bb.52:
	s_or_b32 exec_lo, exec_lo, s15
.LBB52_53:
	s_wait_alu 0xfffe
	s_or_b32 exec_lo, exec_lo, s5
	v_cmp_ne_u32_e32 vcc_lo, 31, v40
	v_and_b32_e32 v4, 0xff, v7
	v_lshlrev_b32_e64 v26, v40, -1
	s_mov_b32 s5, exec_lo
	s_wait_alu 0xfffd
	v_add_co_ci_u32_e64 v3, null, 0, v40, vcc_lo
	v_cmp_eq_u16_e32 vcc_lo, 2, v4
	s_delay_alu instid0(VALU_DEP_2)
	v_dual_mov_b32 v4, v5 :: v_dual_lshlrev_b32 v25, 2, v3
	s_wait_alu 0xfffd
	v_and_or_b32 v3, vcc_lo, v26, 0x80000000
	ds_bpermute_b32 v20, v25, v5
	ds_bpermute_b32 v8, v25, v6
	v_ctz_i32_b32_e32 v3, v3
	s_delay_alu instid0(VALU_DEP_1)
	v_cmpx_lt_u32_e64 v40, v3
	s_cbranch_execz .LBB52_55
; %bb.54:
	s_wait_dscnt 0x1
	v_add_co_u32 v4, vcc_lo, v5, v20
	s_wait_alu 0xfffd
	v_add_co_ci_u32_e64 v6, null, 0, v6, vcc_lo
	s_delay_alu instid0(VALU_DEP_2) | instskip(SKIP_2) | instid1(VALU_DEP_2)
	v_add_co_u32 v5, vcc_lo, 0, v4
	s_wait_dscnt 0x0
	s_wait_alu 0xfffd
	v_add_co_ci_u32_e64 v6, null, v8, v6, vcc_lo
.LBB52_55:
	s_wait_alu 0xfffe
	s_or_b32 exec_lo, exec_lo, s5
	v_cmp_gt_u32_e32 vcc_lo, 30, v40
	v_add_nc_u32_e32 v28, 2, v40
	s_mov_b32 s5, exec_lo
	s_wait_dscnt 0x0
	s_wait_alu 0xfffd
	v_cndmask_b32_e64 v8, 0, 2, vcc_lo
	s_delay_alu instid0(VALU_DEP_1)
	v_add_lshl_u32 v27, v8, v40, 2
	ds_bpermute_b32 v20, v27, v4
	ds_bpermute_b32 v8, v27, v6
	v_cmpx_le_u32_e64 v28, v3
	s_cbranch_execz .LBB52_57
; %bb.56:
	s_wait_dscnt 0x1
	v_add_co_u32 v4, vcc_lo, v5, v20
	s_wait_alu 0xfffd
	v_add_co_ci_u32_e64 v6, null, 0, v6, vcc_lo
	s_delay_alu instid0(VALU_DEP_2) | instskip(SKIP_2) | instid1(VALU_DEP_2)
	v_add_co_u32 v5, vcc_lo, 0, v4
	s_wait_dscnt 0x0
	s_wait_alu 0xfffd
	v_add_co_ci_u32_e64 v6, null, v8, v6, vcc_lo
.LBB52_57:
	s_wait_alu 0xfffe
	s_or_b32 exec_lo, exec_lo, s5
	v_cmp_gt_u32_e32 vcc_lo, 28, v40
	v_add_nc_u32_e32 v43, 4, v40
	s_mov_b32 s5, exec_lo
	s_wait_dscnt 0x0
	s_wait_alu 0xfffd
	v_cndmask_b32_e64 v8, 0, 4, vcc_lo
	s_delay_alu instid0(VALU_DEP_1)
	v_add_lshl_u32 v42, v8, v40, 2
	ds_bpermute_b32 v20, v42, v4
	ds_bpermute_b32 v8, v42, v6
	v_cmpx_le_u32_e64 v43, v3
	;; [unrolled: 25-line block ×3, first 2 shown]
	s_cbranch_execz .LBB52_61
; %bb.60:
	s_wait_dscnt 0x1
	v_add_co_u32 v4, vcc_lo, v5, v20
	s_wait_alu 0xfffd
	v_add_co_ci_u32_e64 v6, null, 0, v6, vcc_lo
	s_delay_alu instid0(VALU_DEP_2) | instskip(SKIP_2) | instid1(VALU_DEP_2)
	v_add_co_u32 v5, vcc_lo, 0, v4
	s_wait_dscnt 0x0
	s_wait_alu 0xfffd
	v_add_co_ci_u32_e64 v6, null, v8, v6, vcc_lo
.LBB52_61:
	s_wait_alu 0xfffe
	s_or_b32 exec_lo, exec_lo, s5
	v_lshl_or_b32 v46, v40, 2, 64
	v_add_nc_u32_e32 v47, 16, v40
	s_mov_b32 s5, exec_lo
	s_wait_dscnt 0x0
	ds_bpermute_b32 v8, v46, v4
	ds_bpermute_b32 v4, v46, v6
	v_cmpx_le_u32_e64 v47, v3
	s_cbranch_execz .LBB52_63
; %bb.62:
	s_wait_dscnt 0x1
	v_add_co_u32 v3, vcc_lo, v5, v8
	s_wait_alu 0xfffd
	v_add_co_ci_u32_e64 v6, null, 0, v6, vcc_lo
	s_delay_alu instid0(VALU_DEP_2) | instskip(SKIP_2) | instid1(VALU_DEP_2)
	v_add_co_u32 v5, vcc_lo, v3, 0
	s_wait_dscnt 0x0
	s_wait_alu 0xfffd
	v_add_co_ci_u32_e64 v6, null, v6, v4, vcc_lo
.LBB52_63:
	s_wait_alu 0xfffe
	s_or_b32 exec_lo, exec_lo, s5
	v_mov_b32_e32 v20, 0
	s_branch .LBB52_66
.LBB52_64:                              ;   in Loop: Header=BB52_66 Depth=1
	s_wait_alu 0xfffe
	s_or_b32 exec_lo, exec_lo, s5
	v_add_co_u32 v5, vcc_lo, v5, v3
	v_subrev_nc_u32_e32 v19, 32, v19
	s_wait_alu 0xfffd
	v_add_co_ci_u32_e64 v6, null, v6, v4, vcc_lo
	s_mov_b32 s5, 0
.LBB52_65:                              ;   in Loop: Header=BB52_66 Depth=1
	s_wait_alu 0xfffe
	s_and_b32 vcc_lo, exec_lo, s5
	s_wait_alu 0xfffe
	s_cbranch_vccnz .LBB52_82
.LBB52_66:                              ; =>This Loop Header: Depth=1
                                        ;     Child Loop BB52_69 Depth 2
	v_and_b32_e32 v3, 0xff, v7
	s_mov_b32 s5, -1
	s_delay_alu instid0(VALU_DEP_1)
	v_cmp_ne_u16_e32 vcc_lo, 2, v3
	s_wait_dscnt 0x0
	v_dual_mov_b32 v3, v5 :: v_dual_mov_b32 v4, v6
                                        ; implicit-def: $vgpr5_vgpr6
	s_cmp_lg_u32 vcc_lo, exec_lo
	s_cbranch_scc1 .LBB52_65
; %bb.67:                               ;   in Loop: Header=BB52_66 Depth=1
	v_lshlrev_b64_e32 v[5:6], 4, v[19:20]
	s_mov_b32 s5, exec_lo
	s_delay_alu instid0(VALU_DEP_1) | instskip(SKIP_1) | instid1(VALU_DEP_2)
	v_add_co_u32 v21, vcc_lo, s6, v5
	s_wait_alu 0xfffd
	v_add_co_ci_u32_e64 v22, null, s7, v6, vcc_lo
	;;#ASMSTART
	global_load_b128 v[5:8], v[21:22] off scope:SCOPE_DEV	
s_wait_loadcnt 0x0
	;;#ASMEND
	v_and_b32_e32 v8, 0xff, v7
	s_delay_alu instid0(VALU_DEP_1)
	v_cmpx_eq_u16_e32 0, v8
	s_cbranch_execz .LBB52_71
; %bb.68:                               ;   in Loop: Header=BB52_66 Depth=1
	s_mov_b32 s15, 0
.LBB52_69:                              ;   Parent Loop BB52_66 Depth=1
                                        ; =>  This Inner Loop Header: Depth=2
	;;#ASMSTART
	global_load_b128 v[5:8], v[21:22] off scope:SCOPE_DEV	
s_wait_loadcnt 0x0
	;;#ASMEND
	v_and_b32_e32 v8, 0xff, v7
	s_delay_alu instid0(VALU_DEP_1)
	v_cmp_ne_u16_e32 vcc_lo, 0, v8
	s_wait_alu 0xfffe
	s_or_b32 s15, vcc_lo, s15
	s_wait_alu 0xfffe
	s_and_not1_b32 exec_lo, exec_lo, s15
	s_cbranch_execnz .LBB52_69
; %bb.70:                               ;   in Loop: Header=BB52_66 Depth=1
	s_or_b32 exec_lo, exec_lo, s15
.LBB52_71:                              ;   in Loop: Header=BB52_66 Depth=1
	s_wait_alu 0xfffe
	s_or_b32 exec_lo, exec_lo, s5
	v_dual_mov_b32 v21, v5 :: v_dual_and_b32 v8, 0xff, v7
	ds_bpermute_b32 v48, v25, v5
	ds_bpermute_b32 v22, v25, v6
	s_mov_b32 s5, exec_lo
	v_cmp_eq_u16_e32 vcc_lo, 2, v8
	s_wait_alu 0xfffd
	v_and_or_b32 v8, vcc_lo, v26, 0x80000000
	s_delay_alu instid0(VALU_DEP_1) | instskip(NEXT) | instid1(VALU_DEP_1)
	v_ctz_i32_b32_e32 v8, v8
	v_cmpx_lt_u32_e64 v40, v8
	s_cbranch_execz .LBB52_73
; %bb.72:                               ;   in Loop: Header=BB52_66 Depth=1
	s_wait_dscnt 0x1
	v_add_co_u32 v21, vcc_lo, v5, v48
	s_wait_alu 0xfffd
	v_add_co_ci_u32_e64 v6, null, 0, v6, vcc_lo
	s_delay_alu instid0(VALU_DEP_2) | instskip(SKIP_2) | instid1(VALU_DEP_2)
	v_add_co_u32 v5, vcc_lo, 0, v21
	s_wait_dscnt 0x0
	s_wait_alu 0xfffd
	v_add_co_ci_u32_e64 v6, null, v22, v6, vcc_lo
.LBB52_73:                              ;   in Loop: Header=BB52_66 Depth=1
	s_wait_alu 0xfffe
	s_or_b32 exec_lo, exec_lo, s5
	s_wait_dscnt 0x1
	ds_bpermute_b32 v48, v27, v21
	s_wait_dscnt 0x1
	ds_bpermute_b32 v22, v27, v6
	s_mov_b32 s5, exec_lo
	v_cmpx_le_u32_e64 v28, v8
	s_cbranch_execz .LBB52_75
; %bb.74:                               ;   in Loop: Header=BB52_66 Depth=1
	s_wait_dscnt 0x1
	v_add_co_u32 v21, vcc_lo, v5, v48
	s_wait_alu 0xfffd
	v_add_co_ci_u32_e64 v6, null, 0, v6, vcc_lo
	s_delay_alu instid0(VALU_DEP_2) | instskip(SKIP_2) | instid1(VALU_DEP_2)
	v_add_co_u32 v5, vcc_lo, 0, v21
	s_wait_dscnt 0x0
	s_wait_alu 0xfffd
	v_add_co_ci_u32_e64 v6, null, v22, v6, vcc_lo
.LBB52_75:                              ;   in Loop: Header=BB52_66 Depth=1
	s_wait_alu 0xfffe
	s_or_b32 exec_lo, exec_lo, s5
	s_wait_dscnt 0x1
	ds_bpermute_b32 v48, v42, v21
	s_wait_dscnt 0x1
	ds_bpermute_b32 v22, v42, v6
	s_mov_b32 s5, exec_lo
	v_cmpx_le_u32_e64 v43, v8
	s_cbranch_execz .LBB52_77
; %bb.76:                               ;   in Loop: Header=BB52_66 Depth=1
	s_wait_dscnt 0x1
	v_add_co_u32 v21, vcc_lo, v5, v48
	s_wait_alu 0xfffd
	v_add_co_ci_u32_e64 v6, null, 0, v6, vcc_lo
	s_delay_alu instid0(VALU_DEP_2) | instskip(SKIP_2) | instid1(VALU_DEP_2)
	v_add_co_u32 v5, vcc_lo, 0, v21
	s_wait_dscnt 0x0
	s_wait_alu 0xfffd
	v_add_co_ci_u32_e64 v6, null, v22, v6, vcc_lo
.LBB52_77:                              ;   in Loop: Header=BB52_66 Depth=1
	s_wait_alu 0xfffe
	s_or_b32 exec_lo, exec_lo, s5
	s_wait_dscnt 0x1
	ds_bpermute_b32 v48, v44, v21
	s_wait_dscnt 0x1
	ds_bpermute_b32 v22, v44, v6
	s_mov_b32 s5, exec_lo
	v_cmpx_le_u32_e64 v45, v8
	s_cbranch_execz .LBB52_79
; %bb.78:                               ;   in Loop: Header=BB52_66 Depth=1
	s_wait_dscnt 0x1
	v_add_co_u32 v21, vcc_lo, v5, v48
	s_wait_alu 0xfffd
	v_add_co_ci_u32_e64 v6, null, 0, v6, vcc_lo
	s_delay_alu instid0(VALU_DEP_2) | instskip(SKIP_2) | instid1(VALU_DEP_2)
	v_add_co_u32 v5, vcc_lo, 0, v21
	s_wait_dscnt 0x0
	s_wait_alu 0xfffd
	v_add_co_ci_u32_e64 v6, null, v22, v6, vcc_lo
.LBB52_79:                              ;   in Loop: Header=BB52_66 Depth=1
	s_wait_alu 0xfffe
	s_or_b32 exec_lo, exec_lo, s5
	s_wait_dscnt 0x0
	ds_bpermute_b32 v22, v46, v21
	ds_bpermute_b32 v21, v46, v6
	s_mov_b32 s5, exec_lo
	v_cmpx_le_u32_e64 v47, v8
	s_cbranch_execz .LBB52_64
; %bb.80:                               ;   in Loop: Header=BB52_66 Depth=1
	s_wait_dscnt 0x1
	v_add_co_u32 v5, vcc_lo, v5, v22
	s_wait_alu 0xfffd
	v_add_co_ci_u32_e64 v6, null, 0, v6, vcc_lo
	s_delay_alu instid0(VALU_DEP_2) | instskip(SKIP_2) | instid1(VALU_DEP_2)
	v_add_co_u32 v5, vcc_lo, v5, 0
	s_wait_dscnt 0x0
	s_wait_alu 0xfffd
	v_add_co_ci_u32_e64 v6, null, v6, v21, vcc_lo
	s_branch .LBB52_64
.LBB52_81:
                                        ; implicit-def: $vgpr17_vgpr18
                                        ; implicit-def: $vgpr6_vgpr7
                                        ; implicit-def: $vgpr19_vgpr20
                                        ; implicit-def: $vgpr21_vgpr22
                                        ; implicit-def: $vgpr23_vgpr24
                                        ; implicit-def: $vgpr25_vgpr26
                                        ; implicit-def: $vgpr27_vgpr28
                                        ; implicit-def: $vgpr4_vgpr5
	s_load_b64 s[4:5], s[0:1], 0x28
	s_and_b32 vcc_lo, exec_lo, s3
	s_wait_alu 0xfffe
	s_cbranch_vccnz .LBB52_87
	s_branch .LBB52_114
.LBB52_82:
	s_and_saveexec_b32 s5, s3
	s_cbranch_execz .LBB52_84
; %bb.83:
	s_add_co_i32 s16, ttmp9, 32
	s_mov_b32 s17, 0
	v_add_co_u32 v5, vcc_lo, v3, v1
	s_wait_alu 0xfffe
	s_lshl_b64 s[16:17], s[16:17], 4
	v_dual_mov_b32 v7, 2 :: v_dual_mov_b32 v8, 0
	s_wait_alu 0xfffe
	s_add_nc_u64 s[16:17], s[6:7], s[16:17]
	s_wait_alu 0xfffd
	v_add_co_ci_u32_e64 v6, null, v4, v2, vcc_lo
	s_wait_alu 0xfffe
	v_dual_mov_b32 v20, s17 :: v_dual_mov_b32 v19, s16
	;;#ASMSTART
	global_store_b128 v[19:20], v[5:8] off scope:SCOPE_DEV	
s_wait_storecnt 0x0
	;;#ASMEND
	ds_store_b128 v8, v[1:4] offset:10752
.LBB52_84:
	s_wait_alu 0xfffe
	s_or_b32 exec_lo, exec_lo, s5
	v_cmp_eq_u32_e32 vcc_lo, 0, v0
	s_and_b32 exec_lo, exec_lo, vcc_lo
; %bb.85:
	v_mov_b32_e32 v1, 0
	ds_store_b64 v1, v[3:4] offset:88
.LBB52_86:
	s_wait_alu 0xfffe
	s_or_b32 exec_lo, exec_lo, s4
	s_wait_dscnt 0x1
	v_cndmask_b32_e64 v4, v23, v17, s3
	v_cmp_ne_u32_e32 vcc_lo, 0, v0
	v_mov_b32_e32 v3, 0
	s_wait_loadcnt_dscnt 0x0
	s_barrier_signal -1
	s_barrier_wait -1
	global_inv scope:SCOPE_SE
	s_wait_alu 0xfffd
	v_cndmask_b32_e32 v4, 0, v4, vcc_lo
	ds_load_b64 v[1:2], v3 offset:88
	v_cndmask_b32_e64 v5, v24, v18, s3
	s_wait_loadcnt_dscnt 0x0
	s_barrier_signal -1
	s_barrier_wait -1
	global_inv scope:SCOPE_SE
	v_cndmask_b32_e32 v5, 0, v5, vcc_lo
	v_add_co_u32 v27, vcc_lo, v1, v4
	s_wait_alu 0xfffd
	s_delay_alu instid0(VALU_DEP_2) | instskip(SKIP_4) | instid1(VALU_DEP_2)
	v_add_co_ci_u32_e64 v28, null, v2, v5, vcc_lo
	ds_load_b128 v[2:5], v3 offset:10752
	v_add_co_u32 v25, vcc_lo, v27, v37
	s_wait_alu 0xfffd
	v_add_co_ci_u32_e64 v26, null, 0, v28, vcc_lo
	v_add_co_u32 v23, vcc_lo, v25, v36
	s_wait_alu 0xfffd
	s_delay_alu instid0(VALU_DEP_2) | instskip(NEXT) | instid1(VALU_DEP_2)
	v_add_co_ci_u32_e64 v24, null, 0, v26, vcc_lo
	v_add_co_u32 v21, vcc_lo, v23, v39
	s_wait_alu 0xfffd
	s_delay_alu instid0(VALU_DEP_2) | instskip(NEXT) | instid1(VALU_DEP_2)
	;; [unrolled: 4-line block ×4, first 2 shown]
	v_add_co_ci_u32_e64 v7, null, 0, v20, vcc_lo
	v_add_co_u32 v17, vcc_lo, v6, v35
	s_wait_alu 0xfffd
	s_delay_alu instid0(VALU_DEP_2)
	v_add_co_ci_u32_e64 v18, null, 0, v7, vcc_lo
	s_load_b64 s[4:5], s[0:1], 0x28
	s_branch .LBB52_114
.LBB52_87:
	s_wait_dscnt 0x0
	v_dual_mov_b32 v2, 0 :: v_dual_mov_b32 v3, v15
	v_mov_b32_dpp v4, v15 row_shr:1 row_mask:0xf bank_mask:0xf
	s_delay_alu instid0(VALU_DEP_2)
	v_mov_b32_dpp v1, v2 row_shr:1 row_mask:0xf bank_mask:0xf
	s_and_saveexec_b32 s0, s2
; %bb.88:
	s_delay_alu instid0(VALU_DEP_2) | instskip(SKIP_2) | instid1(VALU_DEP_2)
	v_add_co_u32 v3, vcc_lo, v15, v4
	s_wait_alu 0xfffd
	v_add_co_ci_u32_e64 v2, null, 0, v16, vcc_lo
	v_add_co_u32 v15, vcc_lo, 0, v3
	s_wait_alu 0xfffd
	s_delay_alu instid0(VALU_DEP_2) | instskip(NEXT) | instid1(VALU_DEP_1)
	v_add_co_ci_u32_e64 v16, null, v1, v2, vcc_lo
	v_mov_b32_e32 v2, v16
; %bb.89:
	s_or_b32 exec_lo, exec_lo, s0
	v_mov_b32_dpp v1, v3 row_shr:2 row_mask:0xf bank_mask:0xf
	s_delay_alu instid0(VALU_DEP_2)
	v_mov_b32_dpp v4, v2 row_shr:2 row_mask:0xf bank_mask:0xf
	v_cmp_lt_u32_e32 vcc_lo, 1, v41
	s_and_saveexec_b32 s1, vcc_lo
; %bb.90:
	s_delay_alu instid0(VALU_DEP_3) | instskip(NEXT) | instid1(VALU_DEP_1)
	v_add_co_u32 v3, s0, v15, v1
	v_add_co_ci_u32_e64 v2, null, 0, v16, s0
	s_delay_alu instid0(VALU_DEP_2) | instskip(SKIP_1) | instid1(VALU_DEP_2)
	v_add_co_u32 v1, s0, 0, v3
	s_wait_alu 0xf1ff
	v_add_co_ci_u32_e64 v2, null, v4, v2, s0
	s_delay_alu instid0(VALU_DEP_1)
	v_dual_mov_b32 v16, v2 :: v_dual_mov_b32 v15, v1
; %bb.91:
	s_or_b32 exec_lo, exec_lo, s1
	v_mov_b32_dpp v1, v3 row_shr:4 row_mask:0xf bank_mask:0xf
	v_mov_b32_dpp v4, v2 row_shr:4 row_mask:0xf bank_mask:0xf
	v_cmp_lt_u32_e64 s0, 3, v41
	s_and_saveexec_b32 s3, s0
; %bb.92:
	v_add_co_u32 v3, s1, v15, v1
	s_wait_alu 0xf1ff
	v_add_co_ci_u32_e64 v2, null, 0, v16, s1
	s_delay_alu instid0(VALU_DEP_2) | instskip(SKIP_1) | instid1(VALU_DEP_2)
	v_add_co_u32 v1, s1, 0, v3
	s_wait_alu 0xf1ff
	v_add_co_ci_u32_e64 v2, null, v4, v2, s1
	s_delay_alu instid0(VALU_DEP_1)
	v_dual_mov_b32 v16, v2 :: v_dual_mov_b32 v15, v1
; %bb.93:
	s_wait_alu 0xfffe
	s_or_b32 exec_lo, exec_lo, s3
	v_mov_b32_dpp v4, v3 row_shr:8 row_mask:0xf bank_mask:0xf
	v_mov_b32_dpp v1, v2 row_shr:8 row_mask:0xf bank_mask:0xf
	v_cmp_lt_u32_e64 s1, 7, v41
	s_and_saveexec_b32 s15, s1
; %bb.94:
	v_add_co_u32 v3, s3, v15, v4
	s_wait_alu 0xf1ff
	v_add_co_ci_u32_e64 v2, null, 0, v16, s3
	s_delay_alu instid0(VALU_DEP_2) | instskip(SKIP_1) | instid1(VALU_DEP_2)
	v_add_co_u32 v15, s3, 0, v3
	s_wait_alu 0xf1ff
	v_add_co_ci_u32_e64 v16, null, v1, v2, s3
	s_delay_alu instid0(VALU_DEP_1)
	v_mov_b32_e32 v2, v16
; %bb.95:
	s_wait_alu 0xfffe
	s_or_b32 exec_lo, exec_lo, s15
	ds_swizzle_b32 v3, v3 offset:swizzle(BROADCAST,32,15)
	ds_swizzle_b32 v1, v2 offset:swizzle(BROADCAST,32,15)
	v_and_b32_e32 v2, 16, v40
	s_mov_b32 s15, exec_lo
	s_delay_alu instid0(VALU_DEP_1)
	v_cmpx_ne_u32_e32 0, v2
	s_cbranch_execz .LBB52_97
; %bb.96:
	s_wait_dscnt 0x1
	v_add_co_u32 v2, s3, v15, v3
	s_wait_alu 0xf1ff
	v_add_co_ci_u32_e64 v3, null, 0, v16, s3
	s_delay_alu instid0(VALU_DEP_2) | instskip(SKIP_2) | instid1(VALU_DEP_2)
	v_add_co_u32 v15, s3, v2, 0
	s_wait_dscnt 0x0
	s_wait_alu 0xf1ff
	v_add_co_ci_u32_e64 v16, null, v3, v1, s3
.LBB52_97:
	s_wait_alu 0xfffe
	s_or_b32 exec_lo, exec_lo, s15
	s_wait_dscnt 0x0
	v_and_b32_e32 v1, 0x1e0, v0
	v_lshrrev_b32_e32 v3, 5, v0
	s_mov_b32 s15, exec_lo
	s_delay_alu instid0(VALU_DEP_2) | instskip(NEXT) | instid1(VALU_DEP_1)
	v_min_u32_e32 v1, 0x160, v1
	v_or_b32_e32 v1, 31, v1
	s_delay_alu instid0(VALU_DEP_1)
	v_cmpx_eq_u32_e64 v0, v1
; %bb.98:
	v_lshlrev_b32_e32 v1, 3, v3
	ds_store_b64 v1, v[15:16]
; %bb.99:
	s_wait_alu 0xfffe
	s_or_b32 exec_lo, exec_lo, s15
	s_delay_alu instid0(SALU_CYCLE_1)
	s_mov_b32 s15, exec_lo
	s_wait_loadcnt_dscnt 0x0
	s_barrier_signal -1
	s_barrier_wait -1
	global_inv scope:SCOPE_SE
	v_cmpx_gt_u32_e32 12, v0
	s_cbranch_execz .LBB52_109
; %bb.100:
	v_mad_i32_i24 v1, 0xffffffec, v0, v34
	ds_load_b64 v[1:2], v1
	s_wait_dscnt 0x0
	v_mov_b32_dpp v6, v1 row_shr:1 row_mask:0xf bank_mask:0xf
	v_mov_b32_dpp v5, v2 row_shr:1 row_mask:0xf bank_mask:0xf
	v_mov_b32_e32 v4, v1
	s_and_saveexec_b32 s3, s2
; %bb.101:
	s_delay_alu instid0(VALU_DEP_3) | instskip(SKIP_2) | instid1(VALU_DEP_2)
	v_add_co_u32 v4, s2, v1, v6
	s_wait_alu 0xf1ff
	v_add_co_ci_u32_e64 v2, null, 0, v2, s2
	v_add_co_u32 v1, s2, 0, v4
	s_wait_alu 0xf1ff
	s_delay_alu instid0(VALU_DEP_2)
	v_add_co_ci_u32_e64 v2, null, v5, v2, s2
; %bb.102:
	s_wait_alu 0xfffe
	s_or_b32 exec_lo, exec_lo, s3
	v_mov_b32_dpp v6, v4 row_shr:2 row_mask:0xf bank_mask:0xf
	s_delay_alu instid0(VALU_DEP_2)
	v_mov_b32_dpp v5, v2 row_shr:2 row_mask:0xf bank_mask:0xf
	s_and_saveexec_b32 s2, vcc_lo
; %bb.103:
	s_delay_alu instid0(VALU_DEP_2) | instskip(SKIP_2) | instid1(VALU_DEP_2)
	v_add_co_u32 v4, vcc_lo, v1, v6
	s_wait_alu 0xfffd
	v_add_co_ci_u32_e64 v2, null, 0, v2, vcc_lo
	v_add_co_u32 v1, vcc_lo, 0, v4
	s_wait_alu 0xfffd
	s_delay_alu instid0(VALU_DEP_2)
	v_add_co_ci_u32_e64 v2, null, v5, v2, vcc_lo
; %bb.104:
	s_wait_alu 0xfffe
	s_or_b32 exec_lo, exec_lo, s2
	v_mov_b32_dpp v6, v4 row_shr:4 row_mask:0xf bank_mask:0xf
	s_delay_alu instid0(VALU_DEP_2)
	v_mov_b32_dpp v5, v2 row_shr:4 row_mask:0xf bank_mask:0xf
	s_and_saveexec_b32 s2, s0
; %bb.105:
	s_delay_alu instid0(VALU_DEP_2) | instskip(SKIP_2) | instid1(VALU_DEP_2)
	v_add_co_u32 v4, vcc_lo, v1, v6
	s_wait_alu 0xfffd
	v_add_co_ci_u32_e64 v2, null, 0, v2, vcc_lo
	v_add_co_u32 v1, vcc_lo, 0, v4
	s_wait_alu 0xfffd
	s_delay_alu instid0(VALU_DEP_2)
	v_add_co_ci_u32_e64 v2, null, v5, v2, vcc_lo
; %bb.106:
	s_wait_alu 0xfffe
	s_or_b32 exec_lo, exec_lo, s2
	v_mul_i32_i24_e32 v5, 0xffffffec, v0
	v_mov_b32_dpp v6, v4 row_shr:8 row_mask:0xf bank_mask:0xf
	v_mov_b32_dpp v4, v2 row_shr:8 row_mask:0xf bank_mask:0xf
	s_and_saveexec_b32 s0, s1
; %bb.107:
	s_delay_alu instid0(VALU_DEP_2) | instskip(SKIP_2) | instid1(VALU_DEP_2)
	v_add_co_u32 v1, vcc_lo, v1, v6
	s_wait_alu 0xfffd
	v_add_co_ci_u32_e64 v2, null, 0, v2, vcc_lo
	v_add_co_u32 v1, vcc_lo, v1, 0
	s_wait_alu 0xfffd
	s_delay_alu instid0(VALU_DEP_2)
	v_add_co_ci_u32_e64 v2, null, v2, v4, vcc_lo
; %bb.108:
	s_wait_alu 0xfffe
	s_or_b32 exec_lo, exec_lo, s0
	v_add_nc_u32_e32 v4, v34, v5
	ds_store_b64 v4, v[1:2]
.LBB52_109:
	s_wait_alu 0xfffe
	s_or_b32 exec_lo, exec_lo, s15
	v_mov_b32_e32 v6, 0
	v_mov_b32_e32 v7, 0
	s_mov_b32 s0, exec_lo
	s_wait_loadcnt_dscnt 0x0
	s_barrier_signal -1
	s_barrier_wait -1
	global_inv scope:SCOPE_SE
	v_cmpx_lt_u32_e32 31, v0
; %bb.110:
	v_lshl_add_u32 v1, v3, 3, -8
	ds_load_b64 v[6:7], v1
; %bb.111:
	s_wait_alu 0xfffe
	s_or_b32 exec_lo, exec_lo, s0
	v_sub_co_u32 v1, vcc_lo, v40, 1
	v_mov_b32_e32 v5, 0
	s_delay_alu instid0(VALU_DEP_2) | instskip(SKIP_1) | instid1(VALU_DEP_1)
	v_cmp_gt_i32_e64 s0, 0, v1
	s_wait_alu 0xf1ff
	v_cndmask_b32_e64 v1, v1, v40, s0
	s_delay_alu instid0(VALU_DEP_1)
	v_lshlrev_b32_e32 v2, 2, v1
	s_wait_dscnt 0x0
	v_add_co_u32 v1, s0, v6, v15
	s_wait_alu 0xf1ff
	v_add_co_ci_u32_e64 v3, null, v7, v16, s0
	v_cmp_eq_u32_e64 s0, 0, v0
	ds_bpermute_b32 v1, v2, v1
	ds_bpermute_b32 v8, v2, v3
	ds_load_b64 v[2:3], v5 offset:88
	s_and_saveexec_b32 s1, s0
	s_cbranch_execz .LBB52_113
; %bb.112:
	s_wait_kmcnt 0x0
	s_add_nc_u64 s[2:3], s[6:7], 0x200
	v_mov_b32_e32 v4, 2
	s_wait_alu 0xfffe
	v_dual_mov_b32 v16, s3 :: v_dual_mov_b32 v15, s2
	s_wait_dscnt 0x0
	;;#ASMSTART
	global_store_b128 v[15:16], v[2:5] off scope:SCOPE_DEV	
s_wait_storecnt 0x0
	;;#ASMEND
.LBB52_113:
	s_wait_alu 0xfffe
	s_or_b32 exec_lo, exec_lo, s1
	s_wait_dscnt 0x1
	s_wait_alu 0xfffd
	v_dual_cndmask_b32 v1, v1, v6 :: v_dual_cndmask_b32 v4, v8, v7
	s_wait_loadcnt_dscnt 0x0
	s_barrier_signal -1
	s_barrier_wait -1
	s_delay_alu instid0(VALU_DEP_1)
	v_cndmask_b32_e64 v27, v1, 0, s0
	v_cndmask_b32_e64 v28, v4, 0, s0
	v_mov_b32_e32 v4, 0
	v_mov_b32_e32 v5, 0
	global_inv scope:SCOPE_SE
	v_add_co_u32 v25, vcc_lo, v27, v37
	s_wait_alu 0xfffd
	v_add_co_ci_u32_e64 v26, null, 0, v28, vcc_lo
	s_delay_alu instid0(VALU_DEP_2) | instskip(SKIP_1) | instid1(VALU_DEP_2)
	v_add_co_u32 v23, vcc_lo, v25, v36
	s_wait_alu 0xfffd
	v_add_co_ci_u32_e64 v24, null, 0, v26, vcc_lo
	s_delay_alu instid0(VALU_DEP_2) | instskip(SKIP_1) | instid1(VALU_DEP_2)
	;; [unrolled: 4-line block ×5, first 2 shown]
	v_add_co_u32 v17, vcc_lo, v6, v35
	s_wait_alu 0xfffd
	v_add_co_ci_u32_e64 v18, null, 0, v7, vcc_lo
.LBB52_114:
	v_lshrrev_b32_e32 v8, 8, v33
	v_lshrrev_b32_e32 v1, 16, v33
	v_and_b32_e32 v33, 1, v33
	s_wait_dscnt 0x0
	v_cmp_gt_u64_e32 vcc_lo, 0x181, v[2:3]
	s_mov_b32 s1, -1
	s_delay_alu instid0(VALU_DEP_2)
	v_cmp_eq_u32_e64 s0, 1, v33
	s_cbranch_vccnz .LBB52_118
; %bb.115:
	s_wait_alu 0xfffe
	s_and_b32 vcc_lo, exec_lo, s1
	s_wait_alu 0xfffe
	s_cbranch_vccnz .LBB52_133
.LBB52_116:
	v_cmp_eq_u32_e32 vcc_lo, 0, v0
	s_and_b32 s0, vcc_lo, s12
	s_wait_alu 0xfffe
	s_and_saveexec_b32 s1, s0
	s_cbranch_execnz .LBB52_150
.LBB52_117:
	s_endpgm
.LBB52_118:
	v_add_co_u32 v15, vcc_lo, v4, v2
	s_wait_alu 0xfffd
	v_add_co_ci_u32_e64 v16, null, v5, v3, vcc_lo
	s_lshl_b64 s[2:3], s[10:11], 2
	s_wait_kmcnt 0x0
	s_wait_alu 0xfffe
	s_add_nc_u64 s[2:3], s[4:5], s[2:3]
	v_cmp_lt_u64_e32 vcc_lo, v[27:28], v[15:16]
	s_or_b32 s1, s13, vcc_lo
	s_wait_alu 0xfffe
	s_and_b32 s1, s1, s0
	s_wait_alu 0xfffe
	s_and_saveexec_b32 s0, s1
	s_cbranch_execz .LBB52_120
; %bb.119:
	v_lshlrev_b64_e32 v[34:35], 2, v[27:28]
	s_delay_alu instid0(VALU_DEP_1) | instskip(SKIP_1) | instid1(VALU_DEP_2)
	v_add_co_u32 v34, vcc_lo, s2, v34
	s_wait_alu 0xfffd
	v_add_co_ci_u32_e64 v35, null, s3, v35, vcc_lo
	global_store_b32 v[34:35], v13, off
.LBB52_120:
	s_wait_alu 0xfffe
	s_or_b32 exec_lo, exec_lo, s0
	v_and_b32_e32 v28, 1, v8
	v_cmp_lt_u64_e32 vcc_lo, v[25:26], v[15:16]
	s_delay_alu instid0(VALU_DEP_2)
	v_cmp_eq_u32_e64 s0, 1, v28
	s_or_b32 s1, s13, vcc_lo
	s_wait_alu 0xfffe
	s_and_b32 s1, s1, s0
	s_wait_alu 0xfffe
	s_and_saveexec_b32 s0, s1
	s_cbranch_execz .LBB52_122
; %bb.121:
	v_lshlrev_b64_e32 v[34:35], 2, v[25:26]
	s_delay_alu instid0(VALU_DEP_1) | instskip(SKIP_1) | instid1(VALU_DEP_2)
	v_add_co_u32 v34, vcc_lo, s2, v34
	s_wait_alu 0xfffd
	v_add_co_ci_u32_e64 v35, null, s3, v35, vcc_lo
	global_store_b32 v[34:35], v14, off
.LBB52_122:
	s_wait_alu 0xfffe
	s_or_b32 exec_lo, exec_lo, s0
	v_and_b32_e32 v26, 1, v1
	v_cmp_lt_u64_e32 vcc_lo, v[23:24], v[15:16]
	s_delay_alu instid0(VALU_DEP_2)
	v_cmp_eq_u32_e64 s0, 1, v26
	;; [unrolled: 20-line block ×5, first 2 shown]
	s_or_b32 s1, s13, vcc_lo
	s_wait_alu 0xfffe
	s_and_b32 s1, s1, s0
	s_wait_alu 0xfffe
	s_and_saveexec_b32 s0, s1
	s_cbranch_execz .LBB52_130
; %bb.129:
	v_lshlrev_b64_e32 v[34:35], 2, v[6:7]
	s_delay_alu instid0(VALU_DEP_1) | instskip(SKIP_1) | instid1(VALU_DEP_2)
	v_add_co_u32 v34, vcc_lo, s2, v34
	s_wait_alu 0xfffd
	v_add_co_ci_u32_e64 v35, null, s3, v35, vcc_lo
	global_store_b32 v[34:35], v10, off
.LBB52_130:
	s_wait_alu 0xfffe
	s_or_b32 exec_lo, exec_lo, s0
	v_cmp_lt_u64_e32 vcc_lo, v[17:18], v[15:16]
	s_or_b32 s0, s13, vcc_lo
	s_wait_alu 0xfffe
	s_and_b32 s1, s0, s14
	s_wait_alu 0xfffe
	s_and_saveexec_b32 s0, s1
	s_cbranch_execz .LBB52_132
; %bb.131:
	v_lshlrev_b64_e32 v[15:16], 2, v[17:18]
	s_delay_alu instid0(VALU_DEP_1) | instskip(SKIP_1) | instid1(VALU_DEP_2)
	v_add_co_u32 v15, vcc_lo, s2, v15
	s_wait_alu 0xfffd
	v_add_co_ci_u32_e64 v16, null, s3, v16, vcc_lo
	global_store_b32 v[15:16], v29, off
.LBB52_132:
	s_wait_alu 0xfffe
	s_or_b32 exec_lo, exec_lo, s0
	s_branch .LBB52_116
.LBB52_133:
	s_mov_b32 s0, exec_lo
	v_cmpx_eq_u32_e32 1, v33
; %bb.134:
	v_sub_nc_u32_e32 v7, v27, v4
	s_delay_alu instid0(VALU_DEP_1)
	v_lshlrev_b32_e32 v7, 2, v7
	ds_store_b32 v7, v13
; %bb.135:
	s_wait_alu 0xfffe
	s_or_b32 exec_lo, exec_lo, s0
	v_and_b32_e32 v7, 1, v8
	s_mov_b32 s0, exec_lo
	s_delay_alu instid0(VALU_DEP_1)
	v_cmpx_eq_u32_e32 1, v7
; %bb.136:
	v_sub_nc_u32_e32 v7, v25, v4
	s_delay_alu instid0(VALU_DEP_1)
	v_lshlrev_b32_e32 v7, 2, v7
	ds_store_b32 v7, v14
; %bb.137:
	s_wait_alu 0xfffe
	s_or_b32 exec_lo, exec_lo, s0
	v_and_b32_e32 v1, 1, v1
	s_mov_b32 s0, exec_lo
	s_delay_alu instid0(VALU_DEP_1)
	;; [unrolled: 12-line block ×5, first 2 shown]
	v_cmpx_eq_u32_e32 1, v1
; %bb.144:
	v_sub_nc_u32_e32 v1, v6, v4
	s_delay_alu instid0(VALU_DEP_1)
	v_lshlrev_b32_e32 v1, 2, v1
	ds_store_b32 v1, v10
; %bb.145:
	s_wait_alu 0xfffe
	s_or_b32 exec_lo, exec_lo, s0
	s_and_saveexec_b32 s0, s14
; %bb.146:
	v_sub_nc_u32_e32 v1, v17, v4
	s_delay_alu instid0(VALU_DEP_1)
	v_lshlrev_b32_e32 v1, 2, v1
	ds_store_b32 v1, v29
; %bb.147:
	s_wait_alu 0xfffe
	s_or_b32 exec_lo, exec_lo, s0
	v_lshlrev_b64_e32 v[8:9], 2, v[4:5]
	v_mov_b32_e32 v7, 0
	s_lshl_b64 s[0:1], s[10:11], 2
	s_wait_storecnt 0x0
	s_wait_loadcnt_dscnt 0x0
	s_barrier_signal -1
	s_barrier_wait -1
	s_wait_kmcnt 0x0
	v_add_co_u32 v6, vcc_lo, s4, v8
	s_wait_alu 0xfffd
	v_add_co_ci_u32_e64 v8, null, s5, v9, vcc_lo
	global_inv scope:SCOPE_SE
	s_wait_alu 0xfffe
	v_add_co_u32 v10, vcc_lo, v6, s0
	v_dual_mov_b32 v1, v7 :: v_dual_add_nc_u32 v6, 0x180, v0
	s_wait_alu 0xfffd
	v_add_co_ci_u32_e64 v11, null, s1, v8, vcc_lo
	s_mov_b32 s1, 0
	v_dual_mov_b32 v9, v1 :: v_dual_mov_b32 v8, v0
.LBB52_148:                             ; =>This Inner Loop Header: Depth=1
	s_delay_alu instid0(VALU_DEP_1) | instskip(NEXT) | instid1(VALU_DEP_2)
	v_lshlrev_b32_e32 v1, 2, v8
	v_lshlrev_b64_e32 v[12:13], 2, v[8:9]
	v_dual_mov_b32 v9, v7 :: v_dual_mov_b32 v8, v6
	v_cmp_le_u64_e32 vcc_lo, v[2:3], v[6:7]
	ds_load_b32 v1, v1
	v_add_nc_u32_e32 v6, 0x180, v6
	v_add_co_u32 v12, s0, v10, v12
	s_wait_alu 0xf1ff
	v_add_co_ci_u32_e64 v13, null, v11, v13, s0
	s_wait_alu 0xfffe
	s_or_b32 s1, vcc_lo, s1
	s_wait_dscnt 0x0
	global_store_b32 v[12:13], v1, off
	s_wait_alu 0xfffe
	s_and_not1_b32 exec_lo, exec_lo, s1
	s_cbranch_execnz .LBB52_148
; %bb.149:
	s_or_b32 exec_lo, exec_lo, s1
	v_cmp_eq_u32_e32 vcc_lo, 0, v0
	s_and_b32 s0, vcc_lo, s12
	s_wait_alu 0xfffe
	s_and_saveexec_b32 s1, s0
	s_cbranch_execz .LBB52_117
.LBB52_150:
	v_add_co_u32 v0, vcc_lo, v4, v2
	s_wait_alu 0xfffd
	v_add_co_ci_u32_e64 v1, null, v5, v3, vcc_lo
	v_mov_b32_e32 v2, 0
	s_delay_alu instid0(VALU_DEP_3) | instskip(SKIP_1) | instid1(VALU_DEP_3)
	v_add_co_u32 v0, vcc_lo, v0, s10
	s_wait_alu 0xfffd
	v_add_co_ci_u32_e64 v1, null, s11, v1, vcc_lo
	global_store_b64 v2, v[0:1], s[8:9]
	s_endpgm
	.section	.rodata,"a",@progbits
	.p2align	6, 0x0
	.amdhsa_kernel _ZN7rocprim17ROCPRIM_400000_NS6detail17trampoline_kernelINS0_14default_configENS1_25partition_config_selectorILNS1_17partition_subalgoE6EfNS0_10empty_typeEbEEZZNS1_14partition_implILS5_6ELb0ES3_mN6thrust23THRUST_200600_302600_NS6detail15normal_iteratorINSA_10device_ptrIfEEEEPS6_SG_NS0_5tupleIJSF_S6_EEENSH_IJSG_SG_EEES6_PlJNSB_9not_fun_tINSB_10functional5actorINSM_9compositeIJNSM_27transparent_binary_operatorINSA_8equal_toIvEEEENSN_INSM_8argumentILj0EEEEENSM_5valueIfEEEEEEEEEEEE10hipError_tPvRmT3_T4_T5_T6_T7_T9_mT8_P12ihipStream_tbDpT10_ENKUlT_T0_E_clISt17integral_constantIbLb0EES1K_EEDaS1F_S1G_EUlS1F_E_NS1_11comp_targetILNS1_3genE10ELNS1_11target_archE1200ELNS1_3gpuE4ELNS1_3repE0EEENS1_30default_config_static_selectorELNS0_4arch9wavefront6targetE0EEEvT1_
		.amdhsa_group_segment_fixed_size 10768
		.amdhsa_private_segment_fixed_size 0
		.amdhsa_kernarg_size 120
		.amdhsa_user_sgpr_count 2
		.amdhsa_user_sgpr_dispatch_ptr 0
		.amdhsa_user_sgpr_queue_ptr 0
		.amdhsa_user_sgpr_kernarg_segment_ptr 1
		.amdhsa_user_sgpr_dispatch_id 0
		.amdhsa_user_sgpr_private_segment_size 0
		.amdhsa_wavefront_size32 1
		.amdhsa_uses_dynamic_stack 0
		.amdhsa_enable_private_segment 0
		.amdhsa_system_sgpr_workgroup_id_x 1
		.amdhsa_system_sgpr_workgroup_id_y 0
		.amdhsa_system_sgpr_workgroup_id_z 0
		.amdhsa_system_sgpr_workgroup_info 0
		.amdhsa_system_vgpr_workitem_id 0
		.amdhsa_next_free_vgpr 49
		.amdhsa_next_free_sgpr 18
		.amdhsa_reserve_vcc 1
		.amdhsa_float_round_mode_32 0
		.amdhsa_float_round_mode_16_64 0
		.amdhsa_float_denorm_mode_32 3
		.amdhsa_float_denorm_mode_16_64 3
		.amdhsa_fp16_overflow 0
		.amdhsa_workgroup_processor_mode 1
		.amdhsa_memory_ordered 1
		.amdhsa_forward_progress 1
		.amdhsa_inst_pref_size 59
		.amdhsa_round_robin_scheduling 0
		.amdhsa_exception_fp_ieee_invalid_op 0
		.amdhsa_exception_fp_denorm_src 0
		.amdhsa_exception_fp_ieee_div_zero 0
		.amdhsa_exception_fp_ieee_overflow 0
		.amdhsa_exception_fp_ieee_underflow 0
		.amdhsa_exception_fp_ieee_inexact 0
		.amdhsa_exception_int_div_zero 0
	.end_amdhsa_kernel
	.section	.text._ZN7rocprim17ROCPRIM_400000_NS6detail17trampoline_kernelINS0_14default_configENS1_25partition_config_selectorILNS1_17partition_subalgoE6EfNS0_10empty_typeEbEEZZNS1_14partition_implILS5_6ELb0ES3_mN6thrust23THRUST_200600_302600_NS6detail15normal_iteratorINSA_10device_ptrIfEEEEPS6_SG_NS0_5tupleIJSF_S6_EEENSH_IJSG_SG_EEES6_PlJNSB_9not_fun_tINSB_10functional5actorINSM_9compositeIJNSM_27transparent_binary_operatorINSA_8equal_toIvEEEENSN_INSM_8argumentILj0EEEEENSM_5valueIfEEEEEEEEEEEE10hipError_tPvRmT3_T4_T5_T6_T7_T9_mT8_P12ihipStream_tbDpT10_ENKUlT_T0_E_clISt17integral_constantIbLb0EES1K_EEDaS1F_S1G_EUlS1F_E_NS1_11comp_targetILNS1_3genE10ELNS1_11target_archE1200ELNS1_3gpuE4ELNS1_3repE0EEENS1_30default_config_static_selectorELNS0_4arch9wavefront6targetE0EEEvT1_,"axG",@progbits,_ZN7rocprim17ROCPRIM_400000_NS6detail17trampoline_kernelINS0_14default_configENS1_25partition_config_selectorILNS1_17partition_subalgoE6EfNS0_10empty_typeEbEEZZNS1_14partition_implILS5_6ELb0ES3_mN6thrust23THRUST_200600_302600_NS6detail15normal_iteratorINSA_10device_ptrIfEEEEPS6_SG_NS0_5tupleIJSF_S6_EEENSH_IJSG_SG_EEES6_PlJNSB_9not_fun_tINSB_10functional5actorINSM_9compositeIJNSM_27transparent_binary_operatorINSA_8equal_toIvEEEENSN_INSM_8argumentILj0EEEEENSM_5valueIfEEEEEEEEEEEE10hipError_tPvRmT3_T4_T5_T6_T7_T9_mT8_P12ihipStream_tbDpT10_ENKUlT_T0_E_clISt17integral_constantIbLb0EES1K_EEDaS1F_S1G_EUlS1F_E_NS1_11comp_targetILNS1_3genE10ELNS1_11target_archE1200ELNS1_3gpuE4ELNS1_3repE0EEENS1_30default_config_static_selectorELNS0_4arch9wavefront6targetE0EEEvT1_,comdat
.Lfunc_end52:
	.size	_ZN7rocprim17ROCPRIM_400000_NS6detail17trampoline_kernelINS0_14default_configENS1_25partition_config_selectorILNS1_17partition_subalgoE6EfNS0_10empty_typeEbEEZZNS1_14partition_implILS5_6ELb0ES3_mN6thrust23THRUST_200600_302600_NS6detail15normal_iteratorINSA_10device_ptrIfEEEEPS6_SG_NS0_5tupleIJSF_S6_EEENSH_IJSG_SG_EEES6_PlJNSB_9not_fun_tINSB_10functional5actorINSM_9compositeIJNSM_27transparent_binary_operatorINSA_8equal_toIvEEEENSN_INSM_8argumentILj0EEEEENSM_5valueIfEEEEEEEEEEEE10hipError_tPvRmT3_T4_T5_T6_T7_T9_mT8_P12ihipStream_tbDpT10_ENKUlT_T0_E_clISt17integral_constantIbLb0EES1K_EEDaS1F_S1G_EUlS1F_E_NS1_11comp_targetILNS1_3genE10ELNS1_11target_archE1200ELNS1_3gpuE4ELNS1_3repE0EEENS1_30default_config_static_selectorELNS0_4arch9wavefront6targetE0EEEvT1_, .Lfunc_end52-_ZN7rocprim17ROCPRIM_400000_NS6detail17trampoline_kernelINS0_14default_configENS1_25partition_config_selectorILNS1_17partition_subalgoE6EfNS0_10empty_typeEbEEZZNS1_14partition_implILS5_6ELb0ES3_mN6thrust23THRUST_200600_302600_NS6detail15normal_iteratorINSA_10device_ptrIfEEEEPS6_SG_NS0_5tupleIJSF_S6_EEENSH_IJSG_SG_EEES6_PlJNSB_9not_fun_tINSB_10functional5actorINSM_9compositeIJNSM_27transparent_binary_operatorINSA_8equal_toIvEEEENSN_INSM_8argumentILj0EEEEENSM_5valueIfEEEEEEEEEEEE10hipError_tPvRmT3_T4_T5_T6_T7_T9_mT8_P12ihipStream_tbDpT10_ENKUlT_T0_E_clISt17integral_constantIbLb0EES1K_EEDaS1F_S1G_EUlS1F_E_NS1_11comp_targetILNS1_3genE10ELNS1_11target_archE1200ELNS1_3gpuE4ELNS1_3repE0EEENS1_30default_config_static_selectorELNS0_4arch9wavefront6targetE0EEEvT1_
                                        ; -- End function
	.set _ZN7rocprim17ROCPRIM_400000_NS6detail17trampoline_kernelINS0_14default_configENS1_25partition_config_selectorILNS1_17partition_subalgoE6EfNS0_10empty_typeEbEEZZNS1_14partition_implILS5_6ELb0ES3_mN6thrust23THRUST_200600_302600_NS6detail15normal_iteratorINSA_10device_ptrIfEEEEPS6_SG_NS0_5tupleIJSF_S6_EEENSH_IJSG_SG_EEES6_PlJNSB_9not_fun_tINSB_10functional5actorINSM_9compositeIJNSM_27transparent_binary_operatorINSA_8equal_toIvEEEENSN_INSM_8argumentILj0EEEEENSM_5valueIfEEEEEEEEEEEE10hipError_tPvRmT3_T4_T5_T6_T7_T9_mT8_P12ihipStream_tbDpT10_ENKUlT_T0_E_clISt17integral_constantIbLb0EES1K_EEDaS1F_S1G_EUlS1F_E_NS1_11comp_targetILNS1_3genE10ELNS1_11target_archE1200ELNS1_3gpuE4ELNS1_3repE0EEENS1_30default_config_static_selectorELNS0_4arch9wavefront6targetE0EEEvT1_.num_vgpr, 49
	.set _ZN7rocprim17ROCPRIM_400000_NS6detail17trampoline_kernelINS0_14default_configENS1_25partition_config_selectorILNS1_17partition_subalgoE6EfNS0_10empty_typeEbEEZZNS1_14partition_implILS5_6ELb0ES3_mN6thrust23THRUST_200600_302600_NS6detail15normal_iteratorINSA_10device_ptrIfEEEEPS6_SG_NS0_5tupleIJSF_S6_EEENSH_IJSG_SG_EEES6_PlJNSB_9not_fun_tINSB_10functional5actorINSM_9compositeIJNSM_27transparent_binary_operatorINSA_8equal_toIvEEEENSN_INSM_8argumentILj0EEEEENSM_5valueIfEEEEEEEEEEEE10hipError_tPvRmT3_T4_T5_T6_T7_T9_mT8_P12ihipStream_tbDpT10_ENKUlT_T0_E_clISt17integral_constantIbLb0EES1K_EEDaS1F_S1G_EUlS1F_E_NS1_11comp_targetILNS1_3genE10ELNS1_11target_archE1200ELNS1_3gpuE4ELNS1_3repE0EEENS1_30default_config_static_selectorELNS0_4arch9wavefront6targetE0EEEvT1_.num_agpr, 0
	.set _ZN7rocprim17ROCPRIM_400000_NS6detail17trampoline_kernelINS0_14default_configENS1_25partition_config_selectorILNS1_17partition_subalgoE6EfNS0_10empty_typeEbEEZZNS1_14partition_implILS5_6ELb0ES3_mN6thrust23THRUST_200600_302600_NS6detail15normal_iteratorINSA_10device_ptrIfEEEEPS6_SG_NS0_5tupleIJSF_S6_EEENSH_IJSG_SG_EEES6_PlJNSB_9not_fun_tINSB_10functional5actorINSM_9compositeIJNSM_27transparent_binary_operatorINSA_8equal_toIvEEEENSN_INSM_8argumentILj0EEEEENSM_5valueIfEEEEEEEEEEEE10hipError_tPvRmT3_T4_T5_T6_T7_T9_mT8_P12ihipStream_tbDpT10_ENKUlT_T0_E_clISt17integral_constantIbLb0EES1K_EEDaS1F_S1G_EUlS1F_E_NS1_11comp_targetILNS1_3genE10ELNS1_11target_archE1200ELNS1_3gpuE4ELNS1_3repE0EEENS1_30default_config_static_selectorELNS0_4arch9wavefront6targetE0EEEvT1_.numbered_sgpr, 18
	.set _ZN7rocprim17ROCPRIM_400000_NS6detail17trampoline_kernelINS0_14default_configENS1_25partition_config_selectorILNS1_17partition_subalgoE6EfNS0_10empty_typeEbEEZZNS1_14partition_implILS5_6ELb0ES3_mN6thrust23THRUST_200600_302600_NS6detail15normal_iteratorINSA_10device_ptrIfEEEEPS6_SG_NS0_5tupleIJSF_S6_EEENSH_IJSG_SG_EEES6_PlJNSB_9not_fun_tINSB_10functional5actorINSM_9compositeIJNSM_27transparent_binary_operatorINSA_8equal_toIvEEEENSN_INSM_8argumentILj0EEEEENSM_5valueIfEEEEEEEEEEEE10hipError_tPvRmT3_T4_T5_T6_T7_T9_mT8_P12ihipStream_tbDpT10_ENKUlT_T0_E_clISt17integral_constantIbLb0EES1K_EEDaS1F_S1G_EUlS1F_E_NS1_11comp_targetILNS1_3genE10ELNS1_11target_archE1200ELNS1_3gpuE4ELNS1_3repE0EEENS1_30default_config_static_selectorELNS0_4arch9wavefront6targetE0EEEvT1_.num_named_barrier, 0
	.set _ZN7rocprim17ROCPRIM_400000_NS6detail17trampoline_kernelINS0_14default_configENS1_25partition_config_selectorILNS1_17partition_subalgoE6EfNS0_10empty_typeEbEEZZNS1_14partition_implILS5_6ELb0ES3_mN6thrust23THRUST_200600_302600_NS6detail15normal_iteratorINSA_10device_ptrIfEEEEPS6_SG_NS0_5tupleIJSF_S6_EEENSH_IJSG_SG_EEES6_PlJNSB_9not_fun_tINSB_10functional5actorINSM_9compositeIJNSM_27transparent_binary_operatorINSA_8equal_toIvEEEENSN_INSM_8argumentILj0EEEEENSM_5valueIfEEEEEEEEEEEE10hipError_tPvRmT3_T4_T5_T6_T7_T9_mT8_P12ihipStream_tbDpT10_ENKUlT_T0_E_clISt17integral_constantIbLb0EES1K_EEDaS1F_S1G_EUlS1F_E_NS1_11comp_targetILNS1_3genE10ELNS1_11target_archE1200ELNS1_3gpuE4ELNS1_3repE0EEENS1_30default_config_static_selectorELNS0_4arch9wavefront6targetE0EEEvT1_.private_seg_size, 0
	.set _ZN7rocprim17ROCPRIM_400000_NS6detail17trampoline_kernelINS0_14default_configENS1_25partition_config_selectorILNS1_17partition_subalgoE6EfNS0_10empty_typeEbEEZZNS1_14partition_implILS5_6ELb0ES3_mN6thrust23THRUST_200600_302600_NS6detail15normal_iteratorINSA_10device_ptrIfEEEEPS6_SG_NS0_5tupleIJSF_S6_EEENSH_IJSG_SG_EEES6_PlJNSB_9not_fun_tINSB_10functional5actorINSM_9compositeIJNSM_27transparent_binary_operatorINSA_8equal_toIvEEEENSN_INSM_8argumentILj0EEEEENSM_5valueIfEEEEEEEEEEEE10hipError_tPvRmT3_T4_T5_T6_T7_T9_mT8_P12ihipStream_tbDpT10_ENKUlT_T0_E_clISt17integral_constantIbLb0EES1K_EEDaS1F_S1G_EUlS1F_E_NS1_11comp_targetILNS1_3genE10ELNS1_11target_archE1200ELNS1_3gpuE4ELNS1_3repE0EEENS1_30default_config_static_selectorELNS0_4arch9wavefront6targetE0EEEvT1_.uses_vcc, 1
	.set _ZN7rocprim17ROCPRIM_400000_NS6detail17trampoline_kernelINS0_14default_configENS1_25partition_config_selectorILNS1_17partition_subalgoE6EfNS0_10empty_typeEbEEZZNS1_14partition_implILS5_6ELb0ES3_mN6thrust23THRUST_200600_302600_NS6detail15normal_iteratorINSA_10device_ptrIfEEEEPS6_SG_NS0_5tupleIJSF_S6_EEENSH_IJSG_SG_EEES6_PlJNSB_9not_fun_tINSB_10functional5actorINSM_9compositeIJNSM_27transparent_binary_operatorINSA_8equal_toIvEEEENSN_INSM_8argumentILj0EEEEENSM_5valueIfEEEEEEEEEEEE10hipError_tPvRmT3_T4_T5_T6_T7_T9_mT8_P12ihipStream_tbDpT10_ENKUlT_T0_E_clISt17integral_constantIbLb0EES1K_EEDaS1F_S1G_EUlS1F_E_NS1_11comp_targetILNS1_3genE10ELNS1_11target_archE1200ELNS1_3gpuE4ELNS1_3repE0EEENS1_30default_config_static_selectorELNS0_4arch9wavefront6targetE0EEEvT1_.uses_flat_scratch, 1
	.set _ZN7rocprim17ROCPRIM_400000_NS6detail17trampoline_kernelINS0_14default_configENS1_25partition_config_selectorILNS1_17partition_subalgoE6EfNS0_10empty_typeEbEEZZNS1_14partition_implILS5_6ELb0ES3_mN6thrust23THRUST_200600_302600_NS6detail15normal_iteratorINSA_10device_ptrIfEEEEPS6_SG_NS0_5tupleIJSF_S6_EEENSH_IJSG_SG_EEES6_PlJNSB_9not_fun_tINSB_10functional5actorINSM_9compositeIJNSM_27transparent_binary_operatorINSA_8equal_toIvEEEENSN_INSM_8argumentILj0EEEEENSM_5valueIfEEEEEEEEEEEE10hipError_tPvRmT3_T4_T5_T6_T7_T9_mT8_P12ihipStream_tbDpT10_ENKUlT_T0_E_clISt17integral_constantIbLb0EES1K_EEDaS1F_S1G_EUlS1F_E_NS1_11comp_targetILNS1_3genE10ELNS1_11target_archE1200ELNS1_3gpuE4ELNS1_3repE0EEENS1_30default_config_static_selectorELNS0_4arch9wavefront6targetE0EEEvT1_.has_dyn_sized_stack, 0
	.set _ZN7rocprim17ROCPRIM_400000_NS6detail17trampoline_kernelINS0_14default_configENS1_25partition_config_selectorILNS1_17partition_subalgoE6EfNS0_10empty_typeEbEEZZNS1_14partition_implILS5_6ELb0ES3_mN6thrust23THRUST_200600_302600_NS6detail15normal_iteratorINSA_10device_ptrIfEEEEPS6_SG_NS0_5tupleIJSF_S6_EEENSH_IJSG_SG_EEES6_PlJNSB_9not_fun_tINSB_10functional5actorINSM_9compositeIJNSM_27transparent_binary_operatorINSA_8equal_toIvEEEENSN_INSM_8argumentILj0EEEEENSM_5valueIfEEEEEEEEEEEE10hipError_tPvRmT3_T4_T5_T6_T7_T9_mT8_P12ihipStream_tbDpT10_ENKUlT_T0_E_clISt17integral_constantIbLb0EES1K_EEDaS1F_S1G_EUlS1F_E_NS1_11comp_targetILNS1_3genE10ELNS1_11target_archE1200ELNS1_3gpuE4ELNS1_3repE0EEENS1_30default_config_static_selectorELNS0_4arch9wavefront6targetE0EEEvT1_.has_recursion, 0
	.set _ZN7rocprim17ROCPRIM_400000_NS6detail17trampoline_kernelINS0_14default_configENS1_25partition_config_selectorILNS1_17partition_subalgoE6EfNS0_10empty_typeEbEEZZNS1_14partition_implILS5_6ELb0ES3_mN6thrust23THRUST_200600_302600_NS6detail15normal_iteratorINSA_10device_ptrIfEEEEPS6_SG_NS0_5tupleIJSF_S6_EEENSH_IJSG_SG_EEES6_PlJNSB_9not_fun_tINSB_10functional5actorINSM_9compositeIJNSM_27transparent_binary_operatorINSA_8equal_toIvEEEENSN_INSM_8argumentILj0EEEEENSM_5valueIfEEEEEEEEEEEE10hipError_tPvRmT3_T4_T5_T6_T7_T9_mT8_P12ihipStream_tbDpT10_ENKUlT_T0_E_clISt17integral_constantIbLb0EES1K_EEDaS1F_S1G_EUlS1F_E_NS1_11comp_targetILNS1_3genE10ELNS1_11target_archE1200ELNS1_3gpuE4ELNS1_3repE0EEENS1_30default_config_static_selectorELNS0_4arch9wavefront6targetE0EEEvT1_.has_indirect_call, 0
	.section	.AMDGPU.csdata,"",@progbits
; Kernel info:
; codeLenInByte = 7468
; TotalNumSgprs: 20
; NumVgprs: 49
; ScratchSize: 0
; MemoryBound: 0
; FloatMode: 240
; IeeeMode: 1
; LDSByteSize: 10768 bytes/workgroup (compile time only)
; SGPRBlocks: 0
; VGPRBlocks: 6
; NumSGPRsForWavesPerEU: 20
; NumVGPRsForWavesPerEU: 49
; Occupancy: 15
; WaveLimiterHint : 1
; COMPUTE_PGM_RSRC2:SCRATCH_EN: 0
; COMPUTE_PGM_RSRC2:USER_SGPR: 2
; COMPUTE_PGM_RSRC2:TRAP_HANDLER: 0
; COMPUTE_PGM_RSRC2:TGID_X_EN: 1
; COMPUTE_PGM_RSRC2:TGID_Y_EN: 0
; COMPUTE_PGM_RSRC2:TGID_Z_EN: 0
; COMPUTE_PGM_RSRC2:TIDIG_COMP_CNT: 0
	.section	.text._ZN7rocprim17ROCPRIM_400000_NS6detail17trampoline_kernelINS0_14default_configENS1_25partition_config_selectorILNS1_17partition_subalgoE6EfNS0_10empty_typeEbEEZZNS1_14partition_implILS5_6ELb0ES3_mN6thrust23THRUST_200600_302600_NS6detail15normal_iteratorINSA_10device_ptrIfEEEEPS6_SG_NS0_5tupleIJSF_S6_EEENSH_IJSG_SG_EEES6_PlJNSB_9not_fun_tINSB_10functional5actorINSM_9compositeIJNSM_27transparent_binary_operatorINSA_8equal_toIvEEEENSN_INSM_8argumentILj0EEEEENSM_5valueIfEEEEEEEEEEEE10hipError_tPvRmT3_T4_T5_T6_T7_T9_mT8_P12ihipStream_tbDpT10_ENKUlT_T0_E_clISt17integral_constantIbLb0EES1K_EEDaS1F_S1G_EUlS1F_E_NS1_11comp_targetILNS1_3genE9ELNS1_11target_archE1100ELNS1_3gpuE3ELNS1_3repE0EEENS1_30default_config_static_selectorELNS0_4arch9wavefront6targetE0EEEvT1_,"axG",@progbits,_ZN7rocprim17ROCPRIM_400000_NS6detail17trampoline_kernelINS0_14default_configENS1_25partition_config_selectorILNS1_17partition_subalgoE6EfNS0_10empty_typeEbEEZZNS1_14partition_implILS5_6ELb0ES3_mN6thrust23THRUST_200600_302600_NS6detail15normal_iteratorINSA_10device_ptrIfEEEEPS6_SG_NS0_5tupleIJSF_S6_EEENSH_IJSG_SG_EEES6_PlJNSB_9not_fun_tINSB_10functional5actorINSM_9compositeIJNSM_27transparent_binary_operatorINSA_8equal_toIvEEEENSN_INSM_8argumentILj0EEEEENSM_5valueIfEEEEEEEEEEEE10hipError_tPvRmT3_T4_T5_T6_T7_T9_mT8_P12ihipStream_tbDpT10_ENKUlT_T0_E_clISt17integral_constantIbLb0EES1K_EEDaS1F_S1G_EUlS1F_E_NS1_11comp_targetILNS1_3genE9ELNS1_11target_archE1100ELNS1_3gpuE3ELNS1_3repE0EEENS1_30default_config_static_selectorELNS0_4arch9wavefront6targetE0EEEvT1_,comdat
	.protected	_ZN7rocprim17ROCPRIM_400000_NS6detail17trampoline_kernelINS0_14default_configENS1_25partition_config_selectorILNS1_17partition_subalgoE6EfNS0_10empty_typeEbEEZZNS1_14partition_implILS5_6ELb0ES3_mN6thrust23THRUST_200600_302600_NS6detail15normal_iteratorINSA_10device_ptrIfEEEEPS6_SG_NS0_5tupleIJSF_S6_EEENSH_IJSG_SG_EEES6_PlJNSB_9not_fun_tINSB_10functional5actorINSM_9compositeIJNSM_27transparent_binary_operatorINSA_8equal_toIvEEEENSN_INSM_8argumentILj0EEEEENSM_5valueIfEEEEEEEEEEEE10hipError_tPvRmT3_T4_T5_T6_T7_T9_mT8_P12ihipStream_tbDpT10_ENKUlT_T0_E_clISt17integral_constantIbLb0EES1K_EEDaS1F_S1G_EUlS1F_E_NS1_11comp_targetILNS1_3genE9ELNS1_11target_archE1100ELNS1_3gpuE3ELNS1_3repE0EEENS1_30default_config_static_selectorELNS0_4arch9wavefront6targetE0EEEvT1_ ; -- Begin function _ZN7rocprim17ROCPRIM_400000_NS6detail17trampoline_kernelINS0_14default_configENS1_25partition_config_selectorILNS1_17partition_subalgoE6EfNS0_10empty_typeEbEEZZNS1_14partition_implILS5_6ELb0ES3_mN6thrust23THRUST_200600_302600_NS6detail15normal_iteratorINSA_10device_ptrIfEEEEPS6_SG_NS0_5tupleIJSF_S6_EEENSH_IJSG_SG_EEES6_PlJNSB_9not_fun_tINSB_10functional5actorINSM_9compositeIJNSM_27transparent_binary_operatorINSA_8equal_toIvEEEENSN_INSM_8argumentILj0EEEEENSM_5valueIfEEEEEEEEEEEE10hipError_tPvRmT3_T4_T5_T6_T7_T9_mT8_P12ihipStream_tbDpT10_ENKUlT_T0_E_clISt17integral_constantIbLb0EES1K_EEDaS1F_S1G_EUlS1F_E_NS1_11comp_targetILNS1_3genE9ELNS1_11target_archE1100ELNS1_3gpuE3ELNS1_3repE0EEENS1_30default_config_static_selectorELNS0_4arch9wavefront6targetE0EEEvT1_
	.globl	_ZN7rocprim17ROCPRIM_400000_NS6detail17trampoline_kernelINS0_14default_configENS1_25partition_config_selectorILNS1_17partition_subalgoE6EfNS0_10empty_typeEbEEZZNS1_14partition_implILS5_6ELb0ES3_mN6thrust23THRUST_200600_302600_NS6detail15normal_iteratorINSA_10device_ptrIfEEEEPS6_SG_NS0_5tupleIJSF_S6_EEENSH_IJSG_SG_EEES6_PlJNSB_9not_fun_tINSB_10functional5actorINSM_9compositeIJNSM_27transparent_binary_operatorINSA_8equal_toIvEEEENSN_INSM_8argumentILj0EEEEENSM_5valueIfEEEEEEEEEEEE10hipError_tPvRmT3_T4_T5_T6_T7_T9_mT8_P12ihipStream_tbDpT10_ENKUlT_T0_E_clISt17integral_constantIbLb0EES1K_EEDaS1F_S1G_EUlS1F_E_NS1_11comp_targetILNS1_3genE9ELNS1_11target_archE1100ELNS1_3gpuE3ELNS1_3repE0EEENS1_30default_config_static_selectorELNS0_4arch9wavefront6targetE0EEEvT1_
	.p2align	8
	.type	_ZN7rocprim17ROCPRIM_400000_NS6detail17trampoline_kernelINS0_14default_configENS1_25partition_config_selectorILNS1_17partition_subalgoE6EfNS0_10empty_typeEbEEZZNS1_14partition_implILS5_6ELb0ES3_mN6thrust23THRUST_200600_302600_NS6detail15normal_iteratorINSA_10device_ptrIfEEEEPS6_SG_NS0_5tupleIJSF_S6_EEENSH_IJSG_SG_EEES6_PlJNSB_9not_fun_tINSB_10functional5actorINSM_9compositeIJNSM_27transparent_binary_operatorINSA_8equal_toIvEEEENSN_INSM_8argumentILj0EEEEENSM_5valueIfEEEEEEEEEEEE10hipError_tPvRmT3_T4_T5_T6_T7_T9_mT8_P12ihipStream_tbDpT10_ENKUlT_T0_E_clISt17integral_constantIbLb0EES1K_EEDaS1F_S1G_EUlS1F_E_NS1_11comp_targetILNS1_3genE9ELNS1_11target_archE1100ELNS1_3gpuE3ELNS1_3repE0EEENS1_30default_config_static_selectorELNS0_4arch9wavefront6targetE0EEEvT1_,@function
_ZN7rocprim17ROCPRIM_400000_NS6detail17trampoline_kernelINS0_14default_configENS1_25partition_config_selectorILNS1_17partition_subalgoE6EfNS0_10empty_typeEbEEZZNS1_14partition_implILS5_6ELb0ES3_mN6thrust23THRUST_200600_302600_NS6detail15normal_iteratorINSA_10device_ptrIfEEEEPS6_SG_NS0_5tupleIJSF_S6_EEENSH_IJSG_SG_EEES6_PlJNSB_9not_fun_tINSB_10functional5actorINSM_9compositeIJNSM_27transparent_binary_operatorINSA_8equal_toIvEEEENSN_INSM_8argumentILj0EEEEENSM_5valueIfEEEEEEEEEEEE10hipError_tPvRmT3_T4_T5_T6_T7_T9_mT8_P12ihipStream_tbDpT10_ENKUlT_T0_E_clISt17integral_constantIbLb0EES1K_EEDaS1F_S1G_EUlS1F_E_NS1_11comp_targetILNS1_3genE9ELNS1_11target_archE1100ELNS1_3gpuE3ELNS1_3repE0EEENS1_30default_config_static_selectorELNS0_4arch9wavefront6targetE0EEEvT1_: ; @_ZN7rocprim17ROCPRIM_400000_NS6detail17trampoline_kernelINS0_14default_configENS1_25partition_config_selectorILNS1_17partition_subalgoE6EfNS0_10empty_typeEbEEZZNS1_14partition_implILS5_6ELb0ES3_mN6thrust23THRUST_200600_302600_NS6detail15normal_iteratorINSA_10device_ptrIfEEEEPS6_SG_NS0_5tupleIJSF_S6_EEENSH_IJSG_SG_EEES6_PlJNSB_9not_fun_tINSB_10functional5actorINSM_9compositeIJNSM_27transparent_binary_operatorINSA_8equal_toIvEEEENSN_INSM_8argumentILj0EEEEENSM_5valueIfEEEEEEEEEEEE10hipError_tPvRmT3_T4_T5_T6_T7_T9_mT8_P12ihipStream_tbDpT10_ENKUlT_T0_E_clISt17integral_constantIbLb0EES1K_EEDaS1F_S1G_EUlS1F_E_NS1_11comp_targetILNS1_3genE9ELNS1_11target_archE1100ELNS1_3gpuE3ELNS1_3repE0EEENS1_30default_config_static_selectorELNS0_4arch9wavefront6targetE0EEEvT1_
; %bb.0:
	.section	.rodata,"a",@progbits
	.p2align	6, 0x0
	.amdhsa_kernel _ZN7rocprim17ROCPRIM_400000_NS6detail17trampoline_kernelINS0_14default_configENS1_25partition_config_selectorILNS1_17partition_subalgoE6EfNS0_10empty_typeEbEEZZNS1_14partition_implILS5_6ELb0ES3_mN6thrust23THRUST_200600_302600_NS6detail15normal_iteratorINSA_10device_ptrIfEEEEPS6_SG_NS0_5tupleIJSF_S6_EEENSH_IJSG_SG_EEES6_PlJNSB_9not_fun_tINSB_10functional5actorINSM_9compositeIJNSM_27transparent_binary_operatorINSA_8equal_toIvEEEENSN_INSM_8argumentILj0EEEEENSM_5valueIfEEEEEEEEEEEE10hipError_tPvRmT3_T4_T5_T6_T7_T9_mT8_P12ihipStream_tbDpT10_ENKUlT_T0_E_clISt17integral_constantIbLb0EES1K_EEDaS1F_S1G_EUlS1F_E_NS1_11comp_targetILNS1_3genE9ELNS1_11target_archE1100ELNS1_3gpuE3ELNS1_3repE0EEENS1_30default_config_static_selectorELNS0_4arch9wavefront6targetE0EEEvT1_
		.amdhsa_group_segment_fixed_size 0
		.amdhsa_private_segment_fixed_size 0
		.amdhsa_kernarg_size 120
		.amdhsa_user_sgpr_count 2
		.amdhsa_user_sgpr_dispatch_ptr 0
		.amdhsa_user_sgpr_queue_ptr 0
		.amdhsa_user_sgpr_kernarg_segment_ptr 1
		.amdhsa_user_sgpr_dispatch_id 0
		.amdhsa_user_sgpr_private_segment_size 0
		.amdhsa_wavefront_size32 1
		.amdhsa_uses_dynamic_stack 0
		.amdhsa_enable_private_segment 0
		.amdhsa_system_sgpr_workgroup_id_x 1
		.amdhsa_system_sgpr_workgroup_id_y 0
		.amdhsa_system_sgpr_workgroup_id_z 0
		.amdhsa_system_sgpr_workgroup_info 0
		.amdhsa_system_vgpr_workitem_id 0
		.amdhsa_next_free_vgpr 1
		.amdhsa_next_free_sgpr 1
		.amdhsa_reserve_vcc 0
		.amdhsa_float_round_mode_32 0
		.amdhsa_float_round_mode_16_64 0
		.amdhsa_float_denorm_mode_32 3
		.amdhsa_float_denorm_mode_16_64 3
		.amdhsa_fp16_overflow 0
		.amdhsa_workgroup_processor_mode 1
		.amdhsa_memory_ordered 1
		.amdhsa_forward_progress 1
		.amdhsa_inst_pref_size 0
		.amdhsa_round_robin_scheduling 0
		.amdhsa_exception_fp_ieee_invalid_op 0
		.amdhsa_exception_fp_denorm_src 0
		.amdhsa_exception_fp_ieee_div_zero 0
		.amdhsa_exception_fp_ieee_overflow 0
		.amdhsa_exception_fp_ieee_underflow 0
		.amdhsa_exception_fp_ieee_inexact 0
		.amdhsa_exception_int_div_zero 0
	.end_amdhsa_kernel
	.section	.text._ZN7rocprim17ROCPRIM_400000_NS6detail17trampoline_kernelINS0_14default_configENS1_25partition_config_selectorILNS1_17partition_subalgoE6EfNS0_10empty_typeEbEEZZNS1_14partition_implILS5_6ELb0ES3_mN6thrust23THRUST_200600_302600_NS6detail15normal_iteratorINSA_10device_ptrIfEEEEPS6_SG_NS0_5tupleIJSF_S6_EEENSH_IJSG_SG_EEES6_PlJNSB_9not_fun_tINSB_10functional5actorINSM_9compositeIJNSM_27transparent_binary_operatorINSA_8equal_toIvEEEENSN_INSM_8argumentILj0EEEEENSM_5valueIfEEEEEEEEEEEE10hipError_tPvRmT3_T4_T5_T6_T7_T9_mT8_P12ihipStream_tbDpT10_ENKUlT_T0_E_clISt17integral_constantIbLb0EES1K_EEDaS1F_S1G_EUlS1F_E_NS1_11comp_targetILNS1_3genE9ELNS1_11target_archE1100ELNS1_3gpuE3ELNS1_3repE0EEENS1_30default_config_static_selectorELNS0_4arch9wavefront6targetE0EEEvT1_,"axG",@progbits,_ZN7rocprim17ROCPRIM_400000_NS6detail17trampoline_kernelINS0_14default_configENS1_25partition_config_selectorILNS1_17partition_subalgoE6EfNS0_10empty_typeEbEEZZNS1_14partition_implILS5_6ELb0ES3_mN6thrust23THRUST_200600_302600_NS6detail15normal_iteratorINSA_10device_ptrIfEEEEPS6_SG_NS0_5tupleIJSF_S6_EEENSH_IJSG_SG_EEES6_PlJNSB_9not_fun_tINSB_10functional5actorINSM_9compositeIJNSM_27transparent_binary_operatorINSA_8equal_toIvEEEENSN_INSM_8argumentILj0EEEEENSM_5valueIfEEEEEEEEEEEE10hipError_tPvRmT3_T4_T5_T6_T7_T9_mT8_P12ihipStream_tbDpT10_ENKUlT_T0_E_clISt17integral_constantIbLb0EES1K_EEDaS1F_S1G_EUlS1F_E_NS1_11comp_targetILNS1_3genE9ELNS1_11target_archE1100ELNS1_3gpuE3ELNS1_3repE0EEENS1_30default_config_static_selectorELNS0_4arch9wavefront6targetE0EEEvT1_,comdat
.Lfunc_end53:
	.size	_ZN7rocprim17ROCPRIM_400000_NS6detail17trampoline_kernelINS0_14default_configENS1_25partition_config_selectorILNS1_17partition_subalgoE6EfNS0_10empty_typeEbEEZZNS1_14partition_implILS5_6ELb0ES3_mN6thrust23THRUST_200600_302600_NS6detail15normal_iteratorINSA_10device_ptrIfEEEEPS6_SG_NS0_5tupleIJSF_S6_EEENSH_IJSG_SG_EEES6_PlJNSB_9not_fun_tINSB_10functional5actorINSM_9compositeIJNSM_27transparent_binary_operatorINSA_8equal_toIvEEEENSN_INSM_8argumentILj0EEEEENSM_5valueIfEEEEEEEEEEEE10hipError_tPvRmT3_T4_T5_T6_T7_T9_mT8_P12ihipStream_tbDpT10_ENKUlT_T0_E_clISt17integral_constantIbLb0EES1K_EEDaS1F_S1G_EUlS1F_E_NS1_11comp_targetILNS1_3genE9ELNS1_11target_archE1100ELNS1_3gpuE3ELNS1_3repE0EEENS1_30default_config_static_selectorELNS0_4arch9wavefront6targetE0EEEvT1_, .Lfunc_end53-_ZN7rocprim17ROCPRIM_400000_NS6detail17trampoline_kernelINS0_14default_configENS1_25partition_config_selectorILNS1_17partition_subalgoE6EfNS0_10empty_typeEbEEZZNS1_14partition_implILS5_6ELb0ES3_mN6thrust23THRUST_200600_302600_NS6detail15normal_iteratorINSA_10device_ptrIfEEEEPS6_SG_NS0_5tupleIJSF_S6_EEENSH_IJSG_SG_EEES6_PlJNSB_9not_fun_tINSB_10functional5actorINSM_9compositeIJNSM_27transparent_binary_operatorINSA_8equal_toIvEEEENSN_INSM_8argumentILj0EEEEENSM_5valueIfEEEEEEEEEEEE10hipError_tPvRmT3_T4_T5_T6_T7_T9_mT8_P12ihipStream_tbDpT10_ENKUlT_T0_E_clISt17integral_constantIbLb0EES1K_EEDaS1F_S1G_EUlS1F_E_NS1_11comp_targetILNS1_3genE9ELNS1_11target_archE1100ELNS1_3gpuE3ELNS1_3repE0EEENS1_30default_config_static_selectorELNS0_4arch9wavefront6targetE0EEEvT1_
                                        ; -- End function
	.set _ZN7rocprim17ROCPRIM_400000_NS6detail17trampoline_kernelINS0_14default_configENS1_25partition_config_selectorILNS1_17partition_subalgoE6EfNS0_10empty_typeEbEEZZNS1_14partition_implILS5_6ELb0ES3_mN6thrust23THRUST_200600_302600_NS6detail15normal_iteratorINSA_10device_ptrIfEEEEPS6_SG_NS0_5tupleIJSF_S6_EEENSH_IJSG_SG_EEES6_PlJNSB_9not_fun_tINSB_10functional5actorINSM_9compositeIJNSM_27transparent_binary_operatorINSA_8equal_toIvEEEENSN_INSM_8argumentILj0EEEEENSM_5valueIfEEEEEEEEEEEE10hipError_tPvRmT3_T4_T5_T6_T7_T9_mT8_P12ihipStream_tbDpT10_ENKUlT_T0_E_clISt17integral_constantIbLb0EES1K_EEDaS1F_S1G_EUlS1F_E_NS1_11comp_targetILNS1_3genE9ELNS1_11target_archE1100ELNS1_3gpuE3ELNS1_3repE0EEENS1_30default_config_static_selectorELNS0_4arch9wavefront6targetE0EEEvT1_.num_vgpr, 0
	.set _ZN7rocprim17ROCPRIM_400000_NS6detail17trampoline_kernelINS0_14default_configENS1_25partition_config_selectorILNS1_17partition_subalgoE6EfNS0_10empty_typeEbEEZZNS1_14partition_implILS5_6ELb0ES3_mN6thrust23THRUST_200600_302600_NS6detail15normal_iteratorINSA_10device_ptrIfEEEEPS6_SG_NS0_5tupleIJSF_S6_EEENSH_IJSG_SG_EEES6_PlJNSB_9not_fun_tINSB_10functional5actorINSM_9compositeIJNSM_27transparent_binary_operatorINSA_8equal_toIvEEEENSN_INSM_8argumentILj0EEEEENSM_5valueIfEEEEEEEEEEEE10hipError_tPvRmT3_T4_T5_T6_T7_T9_mT8_P12ihipStream_tbDpT10_ENKUlT_T0_E_clISt17integral_constantIbLb0EES1K_EEDaS1F_S1G_EUlS1F_E_NS1_11comp_targetILNS1_3genE9ELNS1_11target_archE1100ELNS1_3gpuE3ELNS1_3repE0EEENS1_30default_config_static_selectorELNS0_4arch9wavefront6targetE0EEEvT1_.num_agpr, 0
	.set _ZN7rocprim17ROCPRIM_400000_NS6detail17trampoline_kernelINS0_14default_configENS1_25partition_config_selectorILNS1_17partition_subalgoE6EfNS0_10empty_typeEbEEZZNS1_14partition_implILS5_6ELb0ES3_mN6thrust23THRUST_200600_302600_NS6detail15normal_iteratorINSA_10device_ptrIfEEEEPS6_SG_NS0_5tupleIJSF_S6_EEENSH_IJSG_SG_EEES6_PlJNSB_9not_fun_tINSB_10functional5actorINSM_9compositeIJNSM_27transparent_binary_operatorINSA_8equal_toIvEEEENSN_INSM_8argumentILj0EEEEENSM_5valueIfEEEEEEEEEEEE10hipError_tPvRmT3_T4_T5_T6_T7_T9_mT8_P12ihipStream_tbDpT10_ENKUlT_T0_E_clISt17integral_constantIbLb0EES1K_EEDaS1F_S1G_EUlS1F_E_NS1_11comp_targetILNS1_3genE9ELNS1_11target_archE1100ELNS1_3gpuE3ELNS1_3repE0EEENS1_30default_config_static_selectorELNS0_4arch9wavefront6targetE0EEEvT1_.numbered_sgpr, 0
	.set _ZN7rocprim17ROCPRIM_400000_NS6detail17trampoline_kernelINS0_14default_configENS1_25partition_config_selectorILNS1_17partition_subalgoE6EfNS0_10empty_typeEbEEZZNS1_14partition_implILS5_6ELb0ES3_mN6thrust23THRUST_200600_302600_NS6detail15normal_iteratorINSA_10device_ptrIfEEEEPS6_SG_NS0_5tupleIJSF_S6_EEENSH_IJSG_SG_EEES6_PlJNSB_9not_fun_tINSB_10functional5actorINSM_9compositeIJNSM_27transparent_binary_operatorINSA_8equal_toIvEEEENSN_INSM_8argumentILj0EEEEENSM_5valueIfEEEEEEEEEEEE10hipError_tPvRmT3_T4_T5_T6_T7_T9_mT8_P12ihipStream_tbDpT10_ENKUlT_T0_E_clISt17integral_constantIbLb0EES1K_EEDaS1F_S1G_EUlS1F_E_NS1_11comp_targetILNS1_3genE9ELNS1_11target_archE1100ELNS1_3gpuE3ELNS1_3repE0EEENS1_30default_config_static_selectorELNS0_4arch9wavefront6targetE0EEEvT1_.num_named_barrier, 0
	.set _ZN7rocprim17ROCPRIM_400000_NS6detail17trampoline_kernelINS0_14default_configENS1_25partition_config_selectorILNS1_17partition_subalgoE6EfNS0_10empty_typeEbEEZZNS1_14partition_implILS5_6ELb0ES3_mN6thrust23THRUST_200600_302600_NS6detail15normal_iteratorINSA_10device_ptrIfEEEEPS6_SG_NS0_5tupleIJSF_S6_EEENSH_IJSG_SG_EEES6_PlJNSB_9not_fun_tINSB_10functional5actorINSM_9compositeIJNSM_27transparent_binary_operatorINSA_8equal_toIvEEEENSN_INSM_8argumentILj0EEEEENSM_5valueIfEEEEEEEEEEEE10hipError_tPvRmT3_T4_T5_T6_T7_T9_mT8_P12ihipStream_tbDpT10_ENKUlT_T0_E_clISt17integral_constantIbLb0EES1K_EEDaS1F_S1G_EUlS1F_E_NS1_11comp_targetILNS1_3genE9ELNS1_11target_archE1100ELNS1_3gpuE3ELNS1_3repE0EEENS1_30default_config_static_selectorELNS0_4arch9wavefront6targetE0EEEvT1_.private_seg_size, 0
	.set _ZN7rocprim17ROCPRIM_400000_NS6detail17trampoline_kernelINS0_14default_configENS1_25partition_config_selectorILNS1_17partition_subalgoE6EfNS0_10empty_typeEbEEZZNS1_14partition_implILS5_6ELb0ES3_mN6thrust23THRUST_200600_302600_NS6detail15normal_iteratorINSA_10device_ptrIfEEEEPS6_SG_NS0_5tupleIJSF_S6_EEENSH_IJSG_SG_EEES6_PlJNSB_9not_fun_tINSB_10functional5actorINSM_9compositeIJNSM_27transparent_binary_operatorINSA_8equal_toIvEEEENSN_INSM_8argumentILj0EEEEENSM_5valueIfEEEEEEEEEEEE10hipError_tPvRmT3_T4_T5_T6_T7_T9_mT8_P12ihipStream_tbDpT10_ENKUlT_T0_E_clISt17integral_constantIbLb0EES1K_EEDaS1F_S1G_EUlS1F_E_NS1_11comp_targetILNS1_3genE9ELNS1_11target_archE1100ELNS1_3gpuE3ELNS1_3repE0EEENS1_30default_config_static_selectorELNS0_4arch9wavefront6targetE0EEEvT1_.uses_vcc, 0
	.set _ZN7rocprim17ROCPRIM_400000_NS6detail17trampoline_kernelINS0_14default_configENS1_25partition_config_selectorILNS1_17partition_subalgoE6EfNS0_10empty_typeEbEEZZNS1_14partition_implILS5_6ELb0ES3_mN6thrust23THRUST_200600_302600_NS6detail15normal_iteratorINSA_10device_ptrIfEEEEPS6_SG_NS0_5tupleIJSF_S6_EEENSH_IJSG_SG_EEES6_PlJNSB_9not_fun_tINSB_10functional5actorINSM_9compositeIJNSM_27transparent_binary_operatorINSA_8equal_toIvEEEENSN_INSM_8argumentILj0EEEEENSM_5valueIfEEEEEEEEEEEE10hipError_tPvRmT3_T4_T5_T6_T7_T9_mT8_P12ihipStream_tbDpT10_ENKUlT_T0_E_clISt17integral_constantIbLb0EES1K_EEDaS1F_S1G_EUlS1F_E_NS1_11comp_targetILNS1_3genE9ELNS1_11target_archE1100ELNS1_3gpuE3ELNS1_3repE0EEENS1_30default_config_static_selectorELNS0_4arch9wavefront6targetE0EEEvT1_.uses_flat_scratch, 0
	.set _ZN7rocprim17ROCPRIM_400000_NS6detail17trampoline_kernelINS0_14default_configENS1_25partition_config_selectorILNS1_17partition_subalgoE6EfNS0_10empty_typeEbEEZZNS1_14partition_implILS5_6ELb0ES3_mN6thrust23THRUST_200600_302600_NS6detail15normal_iteratorINSA_10device_ptrIfEEEEPS6_SG_NS0_5tupleIJSF_S6_EEENSH_IJSG_SG_EEES6_PlJNSB_9not_fun_tINSB_10functional5actorINSM_9compositeIJNSM_27transparent_binary_operatorINSA_8equal_toIvEEEENSN_INSM_8argumentILj0EEEEENSM_5valueIfEEEEEEEEEEEE10hipError_tPvRmT3_T4_T5_T6_T7_T9_mT8_P12ihipStream_tbDpT10_ENKUlT_T0_E_clISt17integral_constantIbLb0EES1K_EEDaS1F_S1G_EUlS1F_E_NS1_11comp_targetILNS1_3genE9ELNS1_11target_archE1100ELNS1_3gpuE3ELNS1_3repE0EEENS1_30default_config_static_selectorELNS0_4arch9wavefront6targetE0EEEvT1_.has_dyn_sized_stack, 0
	.set _ZN7rocprim17ROCPRIM_400000_NS6detail17trampoline_kernelINS0_14default_configENS1_25partition_config_selectorILNS1_17partition_subalgoE6EfNS0_10empty_typeEbEEZZNS1_14partition_implILS5_6ELb0ES3_mN6thrust23THRUST_200600_302600_NS6detail15normal_iteratorINSA_10device_ptrIfEEEEPS6_SG_NS0_5tupleIJSF_S6_EEENSH_IJSG_SG_EEES6_PlJNSB_9not_fun_tINSB_10functional5actorINSM_9compositeIJNSM_27transparent_binary_operatorINSA_8equal_toIvEEEENSN_INSM_8argumentILj0EEEEENSM_5valueIfEEEEEEEEEEEE10hipError_tPvRmT3_T4_T5_T6_T7_T9_mT8_P12ihipStream_tbDpT10_ENKUlT_T0_E_clISt17integral_constantIbLb0EES1K_EEDaS1F_S1G_EUlS1F_E_NS1_11comp_targetILNS1_3genE9ELNS1_11target_archE1100ELNS1_3gpuE3ELNS1_3repE0EEENS1_30default_config_static_selectorELNS0_4arch9wavefront6targetE0EEEvT1_.has_recursion, 0
	.set _ZN7rocprim17ROCPRIM_400000_NS6detail17trampoline_kernelINS0_14default_configENS1_25partition_config_selectorILNS1_17partition_subalgoE6EfNS0_10empty_typeEbEEZZNS1_14partition_implILS5_6ELb0ES3_mN6thrust23THRUST_200600_302600_NS6detail15normal_iteratorINSA_10device_ptrIfEEEEPS6_SG_NS0_5tupleIJSF_S6_EEENSH_IJSG_SG_EEES6_PlJNSB_9not_fun_tINSB_10functional5actorINSM_9compositeIJNSM_27transparent_binary_operatorINSA_8equal_toIvEEEENSN_INSM_8argumentILj0EEEEENSM_5valueIfEEEEEEEEEEEE10hipError_tPvRmT3_T4_T5_T6_T7_T9_mT8_P12ihipStream_tbDpT10_ENKUlT_T0_E_clISt17integral_constantIbLb0EES1K_EEDaS1F_S1G_EUlS1F_E_NS1_11comp_targetILNS1_3genE9ELNS1_11target_archE1100ELNS1_3gpuE3ELNS1_3repE0EEENS1_30default_config_static_selectorELNS0_4arch9wavefront6targetE0EEEvT1_.has_indirect_call, 0
	.section	.AMDGPU.csdata,"",@progbits
; Kernel info:
; codeLenInByte = 0
; TotalNumSgprs: 0
; NumVgprs: 0
; ScratchSize: 0
; MemoryBound: 0
; FloatMode: 240
; IeeeMode: 1
; LDSByteSize: 0 bytes/workgroup (compile time only)
; SGPRBlocks: 0
; VGPRBlocks: 0
; NumSGPRsForWavesPerEU: 1
; NumVGPRsForWavesPerEU: 1
; Occupancy: 16
; WaveLimiterHint : 0
; COMPUTE_PGM_RSRC2:SCRATCH_EN: 0
; COMPUTE_PGM_RSRC2:USER_SGPR: 2
; COMPUTE_PGM_RSRC2:TRAP_HANDLER: 0
; COMPUTE_PGM_RSRC2:TGID_X_EN: 1
; COMPUTE_PGM_RSRC2:TGID_Y_EN: 0
; COMPUTE_PGM_RSRC2:TGID_Z_EN: 0
; COMPUTE_PGM_RSRC2:TIDIG_COMP_CNT: 0
	.section	.text._ZN7rocprim17ROCPRIM_400000_NS6detail17trampoline_kernelINS0_14default_configENS1_25partition_config_selectorILNS1_17partition_subalgoE6EfNS0_10empty_typeEbEEZZNS1_14partition_implILS5_6ELb0ES3_mN6thrust23THRUST_200600_302600_NS6detail15normal_iteratorINSA_10device_ptrIfEEEEPS6_SG_NS0_5tupleIJSF_S6_EEENSH_IJSG_SG_EEES6_PlJNSB_9not_fun_tINSB_10functional5actorINSM_9compositeIJNSM_27transparent_binary_operatorINSA_8equal_toIvEEEENSN_INSM_8argumentILj0EEEEENSM_5valueIfEEEEEEEEEEEE10hipError_tPvRmT3_T4_T5_T6_T7_T9_mT8_P12ihipStream_tbDpT10_ENKUlT_T0_E_clISt17integral_constantIbLb0EES1K_EEDaS1F_S1G_EUlS1F_E_NS1_11comp_targetILNS1_3genE8ELNS1_11target_archE1030ELNS1_3gpuE2ELNS1_3repE0EEENS1_30default_config_static_selectorELNS0_4arch9wavefront6targetE0EEEvT1_,"axG",@progbits,_ZN7rocprim17ROCPRIM_400000_NS6detail17trampoline_kernelINS0_14default_configENS1_25partition_config_selectorILNS1_17partition_subalgoE6EfNS0_10empty_typeEbEEZZNS1_14partition_implILS5_6ELb0ES3_mN6thrust23THRUST_200600_302600_NS6detail15normal_iteratorINSA_10device_ptrIfEEEEPS6_SG_NS0_5tupleIJSF_S6_EEENSH_IJSG_SG_EEES6_PlJNSB_9not_fun_tINSB_10functional5actorINSM_9compositeIJNSM_27transparent_binary_operatorINSA_8equal_toIvEEEENSN_INSM_8argumentILj0EEEEENSM_5valueIfEEEEEEEEEEEE10hipError_tPvRmT3_T4_T5_T6_T7_T9_mT8_P12ihipStream_tbDpT10_ENKUlT_T0_E_clISt17integral_constantIbLb0EES1K_EEDaS1F_S1G_EUlS1F_E_NS1_11comp_targetILNS1_3genE8ELNS1_11target_archE1030ELNS1_3gpuE2ELNS1_3repE0EEENS1_30default_config_static_selectorELNS0_4arch9wavefront6targetE0EEEvT1_,comdat
	.protected	_ZN7rocprim17ROCPRIM_400000_NS6detail17trampoline_kernelINS0_14default_configENS1_25partition_config_selectorILNS1_17partition_subalgoE6EfNS0_10empty_typeEbEEZZNS1_14partition_implILS5_6ELb0ES3_mN6thrust23THRUST_200600_302600_NS6detail15normal_iteratorINSA_10device_ptrIfEEEEPS6_SG_NS0_5tupleIJSF_S6_EEENSH_IJSG_SG_EEES6_PlJNSB_9not_fun_tINSB_10functional5actorINSM_9compositeIJNSM_27transparent_binary_operatorINSA_8equal_toIvEEEENSN_INSM_8argumentILj0EEEEENSM_5valueIfEEEEEEEEEEEE10hipError_tPvRmT3_T4_T5_T6_T7_T9_mT8_P12ihipStream_tbDpT10_ENKUlT_T0_E_clISt17integral_constantIbLb0EES1K_EEDaS1F_S1G_EUlS1F_E_NS1_11comp_targetILNS1_3genE8ELNS1_11target_archE1030ELNS1_3gpuE2ELNS1_3repE0EEENS1_30default_config_static_selectorELNS0_4arch9wavefront6targetE0EEEvT1_ ; -- Begin function _ZN7rocprim17ROCPRIM_400000_NS6detail17trampoline_kernelINS0_14default_configENS1_25partition_config_selectorILNS1_17partition_subalgoE6EfNS0_10empty_typeEbEEZZNS1_14partition_implILS5_6ELb0ES3_mN6thrust23THRUST_200600_302600_NS6detail15normal_iteratorINSA_10device_ptrIfEEEEPS6_SG_NS0_5tupleIJSF_S6_EEENSH_IJSG_SG_EEES6_PlJNSB_9not_fun_tINSB_10functional5actorINSM_9compositeIJNSM_27transparent_binary_operatorINSA_8equal_toIvEEEENSN_INSM_8argumentILj0EEEEENSM_5valueIfEEEEEEEEEEEE10hipError_tPvRmT3_T4_T5_T6_T7_T9_mT8_P12ihipStream_tbDpT10_ENKUlT_T0_E_clISt17integral_constantIbLb0EES1K_EEDaS1F_S1G_EUlS1F_E_NS1_11comp_targetILNS1_3genE8ELNS1_11target_archE1030ELNS1_3gpuE2ELNS1_3repE0EEENS1_30default_config_static_selectorELNS0_4arch9wavefront6targetE0EEEvT1_
	.globl	_ZN7rocprim17ROCPRIM_400000_NS6detail17trampoline_kernelINS0_14default_configENS1_25partition_config_selectorILNS1_17partition_subalgoE6EfNS0_10empty_typeEbEEZZNS1_14partition_implILS5_6ELb0ES3_mN6thrust23THRUST_200600_302600_NS6detail15normal_iteratorINSA_10device_ptrIfEEEEPS6_SG_NS0_5tupleIJSF_S6_EEENSH_IJSG_SG_EEES6_PlJNSB_9not_fun_tINSB_10functional5actorINSM_9compositeIJNSM_27transparent_binary_operatorINSA_8equal_toIvEEEENSN_INSM_8argumentILj0EEEEENSM_5valueIfEEEEEEEEEEEE10hipError_tPvRmT3_T4_T5_T6_T7_T9_mT8_P12ihipStream_tbDpT10_ENKUlT_T0_E_clISt17integral_constantIbLb0EES1K_EEDaS1F_S1G_EUlS1F_E_NS1_11comp_targetILNS1_3genE8ELNS1_11target_archE1030ELNS1_3gpuE2ELNS1_3repE0EEENS1_30default_config_static_selectorELNS0_4arch9wavefront6targetE0EEEvT1_
	.p2align	8
	.type	_ZN7rocprim17ROCPRIM_400000_NS6detail17trampoline_kernelINS0_14default_configENS1_25partition_config_selectorILNS1_17partition_subalgoE6EfNS0_10empty_typeEbEEZZNS1_14partition_implILS5_6ELb0ES3_mN6thrust23THRUST_200600_302600_NS6detail15normal_iteratorINSA_10device_ptrIfEEEEPS6_SG_NS0_5tupleIJSF_S6_EEENSH_IJSG_SG_EEES6_PlJNSB_9not_fun_tINSB_10functional5actorINSM_9compositeIJNSM_27transparent_binary_operatorINSA_8equal_toIvEEEENSN_INSM_8argumentILj0EEEEENSM_5valueIfEEEEEEEEEEEE10hipError_tPvRmT3_T4_T5_T6_T7_T9_mT8_P12ihipStream_tbDpT10_ENKUlT_T0_E_clISt17integral_constantIbLb0EES1K_EEDaS1F_S1G_EUlS1F_E_NS1_11comp_targetILNS1_3genE8ELNS1_11target_archE1030ELNS1_3gpuE2ELNS1_3repE0EEENS1_30default_config_static_selectorELNS0_4arch9wavefront6targetE0EEEvT1_,@function
_ZN7rocprim17ROCPRIM_400000_NS6detail17trampoline_kernelINS0_14default_configENS1_25partition_config_selectorILNS1_17partition_subalgoE6EfNS0_10empty_typeEbEEZZNS1_14partition_implILS5_6ELb0ES3_mN6thrust23THRUST_200600_302600_NS6detail15normal_iteratorINSA_10device_ptrIfEEEEPS6_SG_NS0_5tupleIJSF_S6_EEENSH_IJSG_SG_EEES6_PlJNSB_9not_fun_tINSB_10functional5actorINSM_9compositeIJNSM_27transparent_binary_operatorINSA_8equal_toIvEEEENSN_INSM_8argumentILj0EEEEENSM_5valueIfEEEEEEEEEEEE10hipError_tPvRmT3_T4_T5_T6_T7_T9_mT8_P12ihipStream_tbDpT10_ENKUlT_T0_E_clISt17integral_constantIbLb0EES1K_EEDaS1F_S1G_EUlS1F_E_NS1_11comp_targetILNS1_3genE8ELNS1_11target_archE1030ELNS1_3gpuE2ELNS1_3repE0EEENS1_30default_config_static_selectorELNS0_4arch9wavefront6targetE0EEEvT1_: ; @_ZN7rocprim17ROCPRIM_400000_NS6detail17trampoline_kernelINS0_14default_configENS1_25partition_config_selectorILNS1_17partition_subalgoE6EfNS0_10empty_typeEbEEZZNS1_14partition_implILS5_6ELb0ES3_mN6thrust23THRUST_200600_302600_NS6detail15normal_iteratorINSA_10device_ptrIfEEEEPS6_SG_NS0_5tupleIJSF_S6_EEENSH_IJSG_SG_EEES6_PlJNSB_9not_fun_tINSB_10functional5actorINSM_9compositeIJNSM_27transparent_binary_operatorINSA_8equal_toIvEEEENSN_INSM_8argumentILj0EEEEENSM_5valueIfEEEEEEEEEEEE10hipError_tPvRmT3_T4_T5_T6_T7_T9_mT8_P12ihipStream_tbDpT10_ENKUlT_T0_E_clISt17integral_constantIbLb0EES1K_EEDaS1F_S1G_EUlS1F_E_NS1_11comp_targetILNS1_3genE8ELNS1_11target_archE1030ELNS1_3gpuE2ELNS1_3repE0EEENS1_30default_config_static_selectorELNS0_4arch9wavefront6targetE0EEEvT1_
; %bb.0:
	.section	.rodata,"a",@progbits
	.p2align	6, 0x0
	.amdhsa_kernel _ZN7rocprim17ROCPRIM_400000_NS6detail17trampoline_kernelINS0_14default_configENS1_25partition_config_selectorILNS1_17partition_subalgoE6EfNS0_10empty_typeEbEEZZNS1_14partition_implILS5_6ELb0ES3_mN6thrust23THRUST_200600_302600_NS6detail15normal_iteratorINSA_10device_ptrIfEEEEPS6_SG_NS0_5tupleIJSF_S6_EEENSH_IJSG_SG_EEES6_PlJNSB_9not_fun_tINSB_10functional5actorINSM_9compositeIJNSM_27transparent_binary_operatorINSA_8equal_toIvEEEENSN_INSM_8argumentILj0EEEEENSM_5valueIfEEEEEEEEEEEE10hipError_tPvRmT3_T4_T5_T6_T7_T9_mT8_P12ihipStream_tbDpT10_ENKUlT_T0_E_clISt17integral_constantIbLb0EES1K_EEDaS1F_S1G_EUlS1F_E_NS1_11comp_targetILNS1_3genE8ELNS1_11target_archE1030ELNS1_3gpuE2ELNS1_3repE0EEENS1_30default_config_static_selectorELNS0_4arch9wavefront6targetE0EEEvT1_
		.amdhsa_group_segment_fixed_size 0
		.amdhsa_private_segment_fixed_size 0
		.amdhsa_kernarg_size 120
		.amdhsa_user_sgpr_count 2
		.amdhsa_user_sgpr_dispatch_ptr 0
		.amdhsa_user_sgpr_queue_ptr 0
		.amdhsa_user_sgpr_kernarg_segment_ptr 1
		.amdhsa_user_sgpr_dispatch_id 0
		.amdhsa_user_sgpr_private_segment_size 0
		.amdhsa_wavefront_size32 1
		.amdhsa_uses_dynamic_stack 0
		.amdhsa_enable_private_segment 0
		.amdhsa_system_sgpr_workgroup_id_x 1
		.amdhsa_system_sgpr_workgroup_id_y 0
		.amdhsa_system_sgpr_workgroup_id_z 0
		.amdhsa_system_sgpr_workgroup_info 0
		.amdhsa_system_vgpr_workitem_id 0
		.amdhsa_next_free_vgpr 1
		.amdhsa_next_free_sgpr 1
		.amdhsa_reserve_vcc 0
		.amdhsa_float_round_mode_32 0
		.amdhsa_float_round_mode_16_64 0
		.amdhsa_float_denorm_mode_32 3
		.amdhsa_float_denorm_mode_16_64 3
		.amdhsa_fp16_overflow 0
		.amdhsa_workgroup_processor_mode 1
		.amdhsa_memory_ordered 1
		.amdhsa_forward_progress 1
		.amdhsa_inst_pref_size 0
		.amdhsa_round_robin_scheduling 0
		.amdhsa_exception_fp_ieee_invalid_op 0
		.amdhsa_exception_fp_denorm_src 0
		.amdhsa_exception_fp_ieee_div_zero 0
		.amdhsa_exception_fp_ieee_overflow 0
		.amdhsa_exception_fp_ieee_underflow 0
		.amdhsa_exception_fp_ieee_inexact 0
		.amdhsa_exception_int_div_zero 0
	.end_amdhsa_kernel
	.section	.text._ZN7rocprim17ROCPRIM_400000_NS6detail17trampoline_kernelINS0_14default_configENS1_25partition_config_selectorILNS1_17partition_subalgoE6EfNS0_10empty_typeEbEEZZNS1_14partition_implILS5_6ELb0ES3_mN6thrust23THRUST_200600_302600_NS6detail15normal_iteratorINSA_10device_ptrIfEEEEPS6_SG_NS0_5tupleIJSF_S6_EEENSH_IJSG_SG_EEES6_PlJNSB_9not_fun_tINSB_10functional5actorINSM_9compositeIJNSM_27transparent_binary_operatorINSA_8equal_toIvEEEENSN_INSM_8argumentILj0EEEEENSM_5valueIfEEEEEEEEEEEE10hipError_tPvRmT3_T4_T5_T6_T7_T9_mT8_P12ihipStream_tbDpT10_ENKUlT_T0_E_clISt17integral_constantIbLb0EES1K_EEDaS1F_S1G_EUlS1F_E_NS1_11comp_targetILNS1_3genE8ELNS1_11target_archE1030ELNS1_3gpuE2ELNS1_3repE0EEENS1_30default_config_static_selectorELNS0_4arch9wavefront6targetE0EEEvT1_,"axG",@progbits,_ZN7rocprim17ROCPRIM_400000_NS6detail17trampoline_kernelINS0_14default_configENS1_25partition_config_selectorILNS1_17partition_subalgoE6EfNS0_10empty_typeEbEEZZNS1_14partition_implILS5_6ELb0ES3_mN6thrust23THRUST_200600_302600_NS6detail15normal_iteratorINSA_10device_ptrIfEEEEPS6_SG_NS0_5tupleIJSF_S6_EEENSH_IJSG_SG_EEES6_PlJNSB_9not_fun_tINSB_10functional5actorINSM_9compositeIJNSM_27transparent_binary_operatorINSA_8equal_toIvEEEENSN_INSM_8argumentILj0EEEEENSM_5valueIfEEEEEEEEEEEE10hipError_tPvRmT3_T4_T5_T6_T7_T9_mT8_P12ihipStream_tbDpT10_ENKUlT_T0_E_clISt17integral_constantIbLb0EES1K_EEDaS1F_S1G_EUlS1F_E_NS1_11comp_targetILNS1_3genE8ELNS1_11target_archE1030ELNS1_3gpuE2ELNS1_3repE0EEENS1_30default_config_static_selectorELNS0_4arch9wavefront6targetE0EEEvT1_,comdat
.Lfunc_end54:
	.size	_ZN7rocprim17ROCPRIM_400000_NS6detail17trampoline_kernelINS0_14default_configENS1_25partition_config_selectorILNS1_17partition_subalgoE6EfNS0_10empty_typeEbEEZZNS1_14partition_implILS5_6ELb0ES3_mN6thrust23THRUST_200600_302600_NS6detail15normal_iteratorINSA_10device_ptrIfEEEEPS6_SG_NS0_5tupleIJSF_S6_EEENSH_IJSG_SG_EEES6_PlJNSB_9not_fun_tINSB_10functional5actorINSM_9compositeIJNSM_27transparent_binary_operatorINSA_8equal_toIvEEEENSN_INSM_8argumentILj0EEEEENSM_5valueIfEEEEEEEEEEEE10hipError_tPvRmT3_T4_T5_T6_T7_T9_mT8_P12ihipStream_tbDpT10_ENKUlT_T0_E_clISt17integral_constantIbLb0EES1K_EEDaS1F_S1G_EUlS1F_E_NS1_11comp_targetILNS1_3genE8ELNS1_11target_archE1030ELNS1_3gpuE2ELNS1_3repE0EEENS1_30default_config_static_selectorELNS0_4arch9wavefront6targetE0EEEvT1_, .Lfunc_end54-_ZN7rocprim17ROCPRIM_400000_NS6detail17trampoline_kernelINS0_14default_configENS1_25partition_config_selectorILNS1_17partition_subalgoE6EfNS0_10empty_typeEbEEZZNS1_14partition_implILS5_6ELb0ES3_mN6thrust23THRUST_200600_302600_NS6detail15normal_iteratorINSA_10device_ptrIfEEEEPS6_SG_NS0_5tupleIJSF_S6_EEENSH_IJSG_SG_EEES6_PlJNSB_9not_fun_tINSB_10functional5actorINSM_9compositeIJNSM_27transparent_binary_operatorINSA_8equal_toIvEEEENSN_INSM_8argumentILj0EEEEENSM_5valueIfEEEEEEEEEEEE10hipError_tPvRmT3_T4_T5_T6_T7_T9_mT8_P12ihipStream_tbDpT10_ENKUlT_T0_E_clISt17integral_constantIbLb0EES1K_EEDaS1F_S1G_EUlS1F_E_NS1_11comp_targetILNS1_3genE8ELNS1_11target_archE1030ELNS1_3gpuE2ELNS1_3repE0EEENS1_30default_config_static_selectorELNS0_4arch9wavefront6targetE0EEEvT1_
                                        ; -- End function
	.set _ZN7rocprim17ROCPRIM_400000_NS6detail17trampoline_kernelINS0_14default_configENS1_25partition_config_selectorILNS1_17partition_subalgoE6EfNS0_10empty_typeEbEEZZNS1_14partition_implILS5_6ELb0ES3_mN6thrust23THRUST_200600_302600_NS6detail15normal_iteratorINSA_10device_ptrIfEEEEPS6_SG_NS0_5tupleIJSF_S6_EEENSH_IJSG_SG_EEES6_PlJNSB_9not_fun_tINSB_10functional5actorINSM_9compositeIJNSM_27transparent_binary_operatorINSA_8equal_toIvEEEENSN_INSM_8argumentILj0EEEEENSM_5valueIfEEEEEEEEEEEE10hipError_tPvRmT3_T4_T5_T6_T7_T9_mT8_P12ihipStream_tbDpT10_ENKUlT_T0_E_clISt17integral_constantIbLb0EES1K_EEDaS1F_S1G_EUlS1F_E_NS1_11comp_targetILNS1_3genE8ELNS1_11target_archE1030ELNS1_3gpuE2ELNS1_3repE0EEENS1_30default_config_static_selectorELNS0_4arch9wavefront6targetE0EEEvT1_.num_vgpr, 0
	.set _ZN7rocprim17ROCPRIM_400000_NS6detail17trampoline_kernelINS0_14default_configENS1_25partition_config_selectorILNS1_17partition_subalgoE6EfNS0_10empty_typeEbEEZZNS1_14partition_implILS5_6ELb0ES3_mN6thrust23THRUST_200600_302600_NS6detail15normal_iteratorINSA_10device_ptrIfEEEEPS6_SG_NS0_5tupleIJSF_S6_EEENSH_IJSG_SG_EEES6_PlJNSB_9not_fun_tINSB_10functional5actorINSM_9compositeIJNSM_27transparent_binary_operatorINSA_8equal_toIvEEEENSN_INSM_8argumentILj0EEEEENSM_5valueIfEEEEEEEEEEEE10hipError_tPvRmT3_T4_T5_T6_T7_T9_mT8_P12ihipStream_tbDpT10_ENKUlT_T0_E_clISt17integral_constantIbLb0EES1K_EEDaS1F_S1G_EUlS1F_E_NS1_11comp_targetILNS1_3genE8ELNS1_11target_archE1030ELNS1_3gpuE2ELNS1_3repE0EEENS1_30default_config_static_selectorELNS0_4arch9wavefront6targetE0EEEvT1_.num_agpr, 0
	.set _ZN7rocprim17ROCPRIM_400000_NS6detail17trampoline_kernelINS0_14default_configENS1_25partition_config_selectorILNS1_17partition_subalgoE6EfNS0_10empty_typeEbEEZZNS1_14partition_implILS5_6ELb0ES3_mN6thrust23THRUST_200600_302600_NS6detail15normal_iteratorINSA_10device_ptrIfEEEEPS6_SG_NS0_5tupleIJSF_S6_EEENSH_IJSG_SG_EEES6_PlJNSB_9not_fun_tINSB_10functional5actorINSM_9compositeIJNSM_27transparent_binary_operatorINSA_8equal_toIvEEEENSN_INSM_8argumentILj0EEEEENSM_5valueIfEEEEEEEEEEEE10hipError_tPvRmT3_T4_T5_T6_T7_T9_mT8_P12ihipStream_tbDpT10_ENKUlT_T0_E_clISt17integral_constantIbLb0EES1K_EEDaS1F_S1G_EUlS1F_E_NS1_11comp_targetILNS1_3genE8ELNS1_11target_archE1030ELNS1_3gpuE2ELNS1_3repE0EEENS1_30default_config_static_selectorELNS0_4arch9wavefront6targetE0EEEvT1_.numbered_sgpr, 0
	.set _ZN7rocprim17ROCPRIM_400000_NS6detail17trampoline_kernelINS0_14default_configENS1_25partition_config_selectorILNS1_17partition_subalgoE6EfNS0_10empty_typeEbEEZZNS1_14partition_implILS5_6ELb0ES3_mN6thrust23THRUST_200600_302600_NS6detail15normal_iteratorINSA_10device_ptrIfEEEEPS6_SG_NS0_5tupleIJSF_S6_EEENSH_IJSG_SG_EEES6_PlJNSB_9not_fun_tINSB_10functional5actorINSM_9compositeIJNSM_27transparent_binary_operatorINSA_8equal_toIvEEEENSN_INSM_8argumentILj0EEEEENSM_5valueIfEEEEEEEEEEEE10hipError_tPvRmT3_T4_T5_T6_T7_T9_mT8_P12ihipStream_tbDpT10_ENKUlT_T0_E_clISt17integral_constantIbLb0EES1K_EEDaS1F_S1G_EUlS1F_E_NS1_11comp_targetILNS1_3genE8ELNS1_11target_archE1030ELNS1_3gpuE2ELNS1_3repE0EEENS1_30default_config_static_selectorELNS0_4arch9wavefront6targetE0EEEvT1_.num_named_barrier, 0
	.set _ZN7rocprim17ROCPRIM_400000_NS6detail17trampoline_kernelINS0_14default_configENS1_25partition_config_selectorILNS1_17partition_subalgoE6EfNS0_10empty_typeEbEEZZNS1_14partition_implILS5_6ELb0ES3_mN6thrust23THRUST_200600_302600_NS6detail15normal_iteratorINSA_10device_ptrIfEEEEPS6_SG_NS0_5tupleIJSF_S6_EEENSH_IJSG_SG_EEES6_PlJNSB_9not_fun_tINSB_10functional5actorINSM_9compositeIJNSM_27transparent_binary_operatorINSA_8equal_toIvEEEENSN_INSM_8argumentILj0EEEEENSM_5valueIfEEEEEEEEEEEE10hipError_tPvRmT3_T4_T5_T6_T7_T9_mT8_P12ihipStream_tbDpT10_ENKUlT_T0_E_clISt17integral_constantIbLb0EES1K_EEDaS1F_S1G_EUlS1F_E_NS1_11comp_targetILNS1_3genE8ELNS1_11target_archE1030ELNS1_3gpuE2ELNS1_3repE0EEENS1_30default_config_static_selectorELNS0_4arch9wavefront6targetE0EEEvT1_.private_seg_size, 0
	.set _ZN7rocprim17ROCPRIM_400000_NS6detail17trampoline_kernelINS0_14default_configENS1_25partition_config_selectorILNS1_17partition_subalgoE6EfNS0_10empty_typeEbEEZZNS1_14partition_implILS5_6ELb0ES3_mN6thrust23THRUST_200600_302600_NS6detail15normal_iteratorINSA_10device_ptrIfEEEEPS6_SG_NS0_5tupleIJSF_S6_EEENSH_IJSG_SG_EEES6_PlJNSB_9not_fun_tINSB_10functional5actorINSM_9compositeIJNSM_27transparent_binary_operatorINSA_8equal_toIvEEEENSN_INSM_8argumentILj0EEEEENSM_5valueIfEEEEEEEEEEEE10hipError_tPvRmT3_T4_T5_T6_T7_T9_mT8_P12ihipStream_tbDpT10_ENKUlT_T0_E_clISt17integral_constantIbLb0EES1K_EEDaS1F_S1G_EUlS1F_E_NS1_11comp_targetILNS1_3genE8ELNS1_11target_archE1030ELNS1_3gpuE2ELNS1_3repE0EEENS1_30default_config_static_selectorELNS0_4arch9wavefront6targetE0EEEvT1_.uses_vcc, 0
	.set _ZN7rocprim17ROCPRIM_400000_NS6detail17trampoline_kernelINS0_14default_configENS1_25partition_config_selectorILNS1_17partition_subalgoE6EfNS0_10empty_typeEbEEZZNS1_14partition_implILS5_6ELb0ES3_mN6thrust23THRUST_200600_302600_NS6detail15normal_iteratorINSA_10device_ptrIfEEEEPS6_SG_NS0_5tupleIJSF_S6_EEENSH_IJSG_SG_EEES6_PlJNSB_9not_fun_tINSB_10functional5actorINSM_9compositeIJNSM_27transparent_binary_operatorINSA_8equal_toIvEEEENSN_INSM_8argumentILj0EEEEENSM_5valueIfEEEEEEEEEEEE10hipError_tPvRmT3_T4_T5_T6_T7_T9_mT8_P12ihipStream_tbDpT10_ENKUlT_T0_E_clISt17integral_constantIbLb0EES1K_EEDaS1F_S1G_EUlS1F_E_NS1_11comp_targetILNS1_3genE8ELNS1_11target_archE1030ELNS1_3gpuE2ELNS1_3repE0EEENS1_30default_config_static_selectorELNS0_4arch9wavefront6targetE0EEEvT1_.uses_flat_scratch, 0
	.set _ZN7rocprim17ROCPRIM_400000_NS6detail17trampoline_kernelINS0_14default_configENS1_25partition_config_selectorILNS1_17partition_subalgoE6EfNS0_10empty_typeEbEEZZNS1_14partition_implILS5_6ELb0ES3_mN6thrust23THRUST_200600_302600_NS6detail15normal_iteratorINSA_10device_ptrIfEEEEPS6_SG_NS0_5tupleIJSF_S6_EEENSH_IJSG_SG_EEES6_PlJNSB_9not_fun_tINSB_10functional5actorINSM_9compositeIJNSM_27transparent_binary_operatorINSA_8equal_toIvEEEENSN_INSM_8argumentILj0EEEEENSM_5valueIfEEEEEEEEEEEE10hipError_tPvRmT3_T4_T5_T6_T7_T9_mT8_P12ihipStream_tbDpT10_ENKUlT_T0_E_clISt17integral_constantIbLb0EES1K_EEDaS1F_S1G_EUlS1F_E_NS1_11comp_targetILNS1_3genE8ELNS1_11target_archE1030ELNS1_3gpuE2ELNS1_3repE0EEENS1_30default_config_static_selectorELNS0_4arch9wavefront6targetE0EEEvT1_.has_dyn_sized_stack, 0
	.set _ZN7rocprim17ROCPRIM_400000_NS6detail17trampoline_kernelINS0_14default_configENS1_25partition_config_selectorILNS1_17partition_subalgoE6EfNS0_10empty_typeEbEEZZNS1_14partition_implILS5_6ELb0ES3_mN6thrust23THRUST_200600_302600_NS6detail15normal_iteratorINSA_10device_ptrIfEEEEPS6_SG_NS0_5tupleIJSF_S6_EEENSH_IJSG_SG_EEES6_PlJNSB_9not_fun_tINSB_10functional5actorINSM_9compositeIJNSM_27transparent_binary_operatorINSA_8equal_toIvEEEENSN_INSM_8argumentILj0EEEEENSM_5valueIfEEEEEEEEEEEE10hipError_tPvRmT3_T4_T5_T6_T7_T9_mT8_P12ihipStream_tbDpT10_ENKUlT_T0_E_clISt17integral_constantIbLb0EES1K_EEDaS1F_S1G_EUlS1F_E_NS1_11comp_targetILNS1_3genE8ELNS1_11target_archE1030ELNS1_3gpuE2ELNS1_3repE0EEENS1_30default_config_static_selectorELNS0_4arch9wavefront6targetE0EEEvT1_.has_recursion, 0
	.set _ZN7rocprim17ROCPRIM_400000_NS6detail17trampoline_kernelINS0_14default_configENS1_25partition_config_selectorILNS1_17partition_subalgoE6EfNS0_10empty_typeEbEEZZNS1_14partition_implILS5_6ELb0ES3_mN6thrust23THRUST_200600_302600_NS6detail15normal_iteratorINSA_10device_ptrIfEEEEPS6_SG_NS0_5tupleIJSF_S6_EEENSH_IJSG_SG_EEES6_PlJNSB_9not_fun_tINSB_10functional5actorINSM_9compositeIJNSM_27transparent_binary_operatorINSA_8equal_toIvEEEENSN_INSM_8argumentILj0EEEEENSM_5valueIfEEEEEEEEEEEE10hipError_tPvRmT3_T4_T5_T6_T7_T9_mT8_P12ihipStream_tbDpT10_ENKUlT_T0_E_clISt17integral_constantIbLb0EES1K_EEDaS1F_S1G_EUlS1F_E_NS1_11comp_targetILNS1_3genE8ELNS1_11target_archE1030ELNS1_3gpuE2ELNS1_3repE0EEENS1_30default_config_static_selectorELNS0_4arch9wavefront6targetE0EEEvT1_.has_indirect_call, 0
	.section	.AMDGPU.csdata,"",@progbits
; Kernel info:
; codeLenInByte = 0
; TotalNumSgprs: 0
; NumVgprs: 0
; ScratchSize: 0
; MemoryBound: 0
; FloatMode: 240
; IeeeMode: 1
; LDSByteSize: 0 bytes/workgroup (compile time only)
; SGPRBlocks: 0
; VGPRBlocks: 0
; NumSGPRsForWavesPerEU: 1
; NumVGPRsForWavesPerEU: 1
; Occupancy: 16
; WaveLimiterHint : 0
; COMPUTE_PGM_RSRC2:SCRATCH_EN: 0
; COMPUTE_PGM_RSRC2:USER_SGPR: 2
; COMPUTE_PGM_RSRC2:TRAP_HANDLER: 0
; COMPUTE_PGM_RSRC2:TGID_X_EN: 1
; COMPUTE_PGM_RSRC2:TGID_Y_EN: 0
; COMPUTE_PGM_RSRC2:TGID_Z_EN: 0
; COMPUTE_PGM_RSRC2:TIDIG_COMP_CNT: 0
	.section	.text._ZN7rocprim17ROCPRIM_400000_NS6detail17trampoline_kernelINS0_14default_configENS1_25partition_config_selectorILNS1_17partition_subalgoE6EfNS0_10empty_typeEbEEZZNS1_14partition_implILS5_6ELb0ES3_mN6thrust23THRUST_200600_302600_NS6detail15normal_iteratorINSA_10device_ptrIfEEEEPS6_SG_NS0_5tupleIJSF_S6_EEENSH_IJSG_SG_EEES6_PlJNSB_9not_fun_tINSB_10functional5actorINSM_9compositeIJNSM_27transparent_binary_operatorINSA_8equal_toIvEEEENSN_INSM_8argumentILj0EEEEENSM_5valueIfEEEEEEEEEEEE10hipError_tPvRmT3_T4_T5_T6_T7_T9_mT8_P12ihipStream_tbDpT10_ENKUlT_T0_E_clISt17integral_constantIbLb1EES1K_EEDaS1F_S1G_EUlS1F_E_NS1_11comp_targetILNS1_3genE0ELNS1_11target_archE4294967295ELNS1_3gpuE0ELNS1_3repE0EEENS1_30default_config_static_selectorELNS0_4arch9wavefront6targetE0EEEvT1_,"axG",@progbits,_ZN7rocprim17ROCPRIM_400000_NS6detail17trampoline_kernelINS0_14default_configENS1_25partition_config_selectorILNS1_17partition_subalgoE6EfNS0_10empty_typeEbEEZZNS1_14partition_implILS5_6ELb0ES3_mN6thrust23THRUST_200600_302600_NS6detail15normal_iteratorINSA_10device_ptrIfEEEEPS6_SG_NS0_5tupleIJSF_S6_EEENSH_IJSG_SG_EEES6_PlJNSB_9not_fun_tINSB_10functional5actorINSM_9compositeIJNSM_27transparent_binary_operatorINSA_8equal_toIvEEEENSN_INSM_8argumentILj0EEEEENSM_5valueIfEEEEEEEEEEEE10hipError_tPvRmT3_T4_T5_T6_T7_T9_mT8_P12ihipStream_tbDpT10_ENKUlT_T0_E_clISt17integral_constantIbLb1EES1K_EEDaS1F_S1G_EUlS1F_E_NS1_11comp_targetILNS1_3genE0ELNS1_11target_archE4294967295ELNS1_3gpuE0ELNS1_3repE0EEENS1_30default_config_static_selectorELNS0_4arch9wavefront6targetE0EEEvT1_,comdat
	.protected	_ZN7rocprim17ROCPRIM_400000_NS6detail17trampoline_kernelINS0_14default_configENS1_25partition_config_selectorILNS1_17partition_subalgoE6EfNS0_10empty_typeEbEEZZNS1_14partition_implILS5_6ELb0ES3_mN6thrust23THRUST_200600_302600_NS6detail15normal_iteratorINSA_10device_ptrIfEEEEPS6_SG_NS0_5tupleIJSF_S6_EEENSH_IJSG_SG_EEES6_PlJNSB_9not_fun_tINSB_10functional5actorINSM_9compositeIJNSM_27transparent_binary_operatorINSA_8equal_toIvEEEENSN_INSM_8argumentILj0EEEEENSM_5valueIfEEEEEEEEEEEE10hipError_tPvRmT3_T4_T5_T6_T7_T9_mT8_P12ihipStream_tbDpT10_ENKUlT_T0_E_clISt17integral_constantIbLb1EES1K_EEDaS1F_S1G_EUlS1F_E_NS1_11comp_targetILNS1_3genE0ELNS1_11target_archE4294967295ELNS1_3gpuE0ELNS1_3repE0EEENS1_30default_config_static_selectorELNS0_4arch9wavefront6targetE0EEEvT1_ ; -- Begin function _ZN7rocprim17ROCPRIM_400000_NS6detail17trampoline_kernelINS0_14default_configENS1_25partition_config_selectorILNS1_17partition_subalgoE6EfNS0_10empty_typeEbEEZZNS1_14partition_implILS5_6ELb0ES3_mN6thrust23THRUST_200600_302600_NS6detail15normal_iteratorINSA_10device_ptrIfEEEEPS6_SG_NS0_5tupleIJSF_S6_EEENSH_IJSG_SG_EEES6_PlJNSB_9not_fun_tINSB_10functional5actorINSM_9compositeIJNSM_27transparent_binary_operatorINSA_8equal_toIvEEEENSN_INSM_8argumentILj0EEEEENSM_5valueIfEEEEEEEEEEEE10hipError_tPvRmT3_T4_T5_T6_T7_T9_mT8_P12ihipStream_tbDpT10_ENKUlT_T0_E_clISt17integral_constantIbLb1EES1K_EEDaS1F_S1G_EUlS1F_E_NS1_11comp_targetILNS1_3genE0ELNS1_11target_archE4294967295ELNS1_3gpuE0ELNS1_3repE0EEENS1_30default_config_static_selectorELNS0_4arch9wavefront6targetE0EEEvT1_
	.globl	_ZN7rocprim17ROCPRIM_400000_NS6detail17trampoline_kernelINS0_14default_configENS1_25partition_config_selectorILNS1_17partition_subalgoE6EfNS0_10empty_typeEbEEZZNS1_14partition_implILS5_6ELb0ES3_mN6thrust23THRUST_200600_302600_NS6detail15normal_iteratorINSA_10device_ptrIfEEEEPS6_SG_NS0_5tupleIJSF_S6_EEENSH_IJSG_SG_EEES6_PlJNSB_9not_fun_tINSB_10functional5actorINSM_9compositeIJNSM_27transparent_binary_operatorINSA_8equal_toIvEEEENSN_INSM_8argumentILj0EEEEENSM_5valueIfEEEEEEEEEEEE10hipError_tPvRmT3_T4_T5_T6_T7_T9_mT8_P12ihipStream_tbDpT10_ENKUlT_T0_E_clISt17integral_constantIbLb1EES1K_EEDaS1F_S1G_EUlS1F_E_NS1_11comp_targetILNS1_3genE0ELNS1_11target_archE4294967295ELNS1_3gpuE0ELNS1_3repE0EEENS1_30default_config_static_selectorELNS0_4arch9wavefront6targetE0EEEvT1_
	.p2align	8
	.type	_ZN7rocprim17ROCPRIM_400000_NS6detail17trampoline_kernelINS0_14default_configENS1_25partition_config_selectorILNS1_17partition_subalgoE6EfNS0_10empty_typeEbEEZZNS1_14partition_implILS5_6ELb0ES3_mN6thrust23THRUST_200600_302600_NS6detail15normal_iteratorINSA_10device_ptrIfEEEEPS6_SG_NS0_5tupleIJSF_S6_EEENSH_IJSG_SG_EEES6_PlJNSB_9not_fun_tINSB_10functional5actorINSM_9compositeIJNSM_27transparent_binary_operatorINSA_8equal_toIvEEEENSN_INSM_8argumentILj0EEEEENSM_5valueIfEEEEEEEEEEEE10hipError_tPvRmT3_T4_T5_T6_T7_T9_mT8_P12ihipStream_tbDpT10_ENKUlT_T0_E_clISt17integral_constantIbLb1EES1K_EEDaS1F_S1G_EUlS1F_E_NS1_11comp_targetILNS1_3genE0ELNS1_11target_archE4294967295ELNS1_3gpuE0ELNS1_3repE0EEENS1_30default_config_static_selectorELNS0_4arch9wavefront6targetE0EEEvT1_,@function
_ZN7rocprim17ROCPRIM_400000_NS6detail17trampoline_kernelINS0_14default_configENS1_25partition_config_selectorILNS1_17partition_subalgoE6EfNS0_10empty_typeEbEEZZNS1_14partition_implILS5_6ELb0ES3_mN6thrust23THRUST_200600_302600_NS6detail15normal_iteratorINSA_10device_ptrIfEEEEPS6_SG_NS0_5tupleIJSF_S6_EEENSH_IJSG_SG_EEES6_PlJNSB_9not_fun_tINSB_10functional5actorINSM_9compositeIJNSM_27transparent_binary_operatorINSA_8equal_toIvEEEENSN_INSM_8argumentILj0EEEEENSM_5valueIfEEEEEEEEEEEE10hipError_tPvRmT3_T4_T5_T6_T7_T9_mT8_P12ihipStream_tbDpT10_ENKUlT_T0_E_clISt17integral_constantIbLb1EES1K_EEDaS1F_S1G_EUlS1F_E_NS1_11comp_targetILNS1_3genE0ELNS1_11target_archE4294967295ELNS1_3gpuE0ELNS1_3repE0EEENS1_30default_config_static_selectorELNS0_4arch9wavefront6targetE0EEEvT1_: ; @_ZN7rocprim17ROCPRIM_400000_NS6detail17trampoline_kernelINS0_14default_configENS1_25partition_config_selectorILNS1_17partition_subalgoE6EfNS0_10empty_typeEbEEZZNS1_14partition_implILS5_6ELb0ES3_mN6thrust23THRUST_200600_302600_NS6detail15normal_iteratorINSA_10device_ptrIfEEEEPS6_SG_NS0_5tupleIJSF_S6_EEENSH_IJSG_SG_EEES6_PlJNSB_9not_fun_tINSB_10functional5actorINSM_9compositeIJNSM_27transparent_binary_operatorINSA_8equal_toIvEEEENSN_INSM_8argumentILj0EEEEENSM_5valueIfEEEEEEEEEEEE10hipError_tPvRmT3_T4_T5_T6_T7_T9_mT8_P12ihipStream_tbDpT10_ENKUlT_T0_E_clISt17integral_constantIbLb1EES1K_EEDaS1F_S1G_EUlS1F_E_NS1_11comp_targetILNS1_3genE0ELNS1_11target_archE4294967295ELNS1_3gpuE0ELNS1_3repE0EEENS1_30default_config_static_selectorELNS0_4arch9wavefront6targetE0EEEvT1_
; %bb.0:
	.section	.rodata,"a",@progbits
	.p2align	6, 0x0
	.amdhsa_kernel _ZN7rocprim17ROCPRIM_400000_NS6detail17trampoline_kernelINS0_14default_configENS1_25partition_config_selectorILNS1_17partition_subalgoE6EfNS0_10empty_typeEbEEZZNS1_14partition_implILS5_6ELb0ES3_mN6thrust23THRUST_200600_302600_NS6detail15normal_iteratorINSA_10device_ptrIfEEEEPS6_SG_NS0_5tupleIJSF_S6_EEENSH_IJSG_SG_EEES6_PlJNSB_9not_fun_tINSB_10functional5actorINSM_9compositeIJNSM_27transparent_binary_operatorINSA_8equal_toIvEEEENSN_INSM_8argumentILj0EEEEENSM_5valueIfEEEEEEEEEEEE10hipError_tPvRmT3_T4_T5_T6_T7_T9_mT8_P12ihipStream_tbDpT10_ENKUlT_T0_E_clISt17integral_constantIbLb1EES1K_EEDaS1F_S1G_EUlS1F_E_NS1_11comp_targetILNS1_3genE0ELNS1_11target_archE4294967295ELNS1_3gpuE0ELNS1_3repE0EEENS1_30default_config_static_selectorELNS0_4arch9wavefront6targetE0EEEvT1_
		.amdhsa_group_segment_fixed_size 0
		.amdhsa_private_segment_fixed_size 0
		.amdhsa_kernarg_size 128
		.amdhsa_user_sgpr_count 2
		.amdhsa_user_sgpr_dispatch_ptr 0
		.amdhsa_user_sgpr_queue_ptr 0
		.amdhsa_user_sgpr_kernarg_segment_ptr 1
		.amdhsa_user_sgpr_dispatch_id 0
		.amdhsa_user_sgpr_private_segment_size 0
		.amdhsa_wavefront_size32 1
		.amdhsa_uses_dynamic_stack 0
		.amdhsa_enable_private_segment 0
		.amdhsa_system_sgpr_workgroup_id_x 1
		.amdhsa_system_sgpr_workgroup_id_y 0
		.amdhsa_system_sgpr_workgroup_id_z 0
		.amdhsa_system_sgpr_workgroup_info 0
		.amdhsa_system_vgpr_workitem_id 0
		.amdhsa_next_free_vgpr 1
		.amdhsa_next_free_sgpr 1
		.amdhsa_reserve_vcc 0
		.amdhsa_float_round_mode_32 0
		.amdhsa_float_round_mode_16_64 0
		.amdhsa_float_denorm_mode_32 3
		.amdhsa_float_denorm_mode_16_64 3
		.amdhsa_fp16_overflow 0
		.amdhsa_workgroup_processor_mode 1
		.amdhsa_memory_ordered 1
		.amdhsa_forward_progress 1
		.amdhsa_inst_pref_size 0
		.amdhsa_round_robin_scheduling 0
		.amdhsa_exception_fp_ieee_invalid_op 0
		.amdhsa_exception_fp_denorm_src 0
		.amdhsa_exception_fp_ieee_div_zero 0
		.amdhsa_exception_fp_ieee_overflow 0
		.amdhsa_exception_fp_ieee_underflow 0
		.amdhsa_exception_fp_ieee_inexact 0
		.amdhsa_exception_int_div_zero 0
	.end_amdhsa_kernel
	.section	.text._ZN7rocprim17ROCPRIM_400000_NS6detail17trampoline_kernelINS0_14default_configENS1_25partition_config_selectorILNS1_17partition_subalgoE6EfNS0_10empty_typeEbEEZZNS1_14partition_implILS5_6ELb0ES3_mN6thrust23THRUST_200600_302600_NS6detail15normal_iteratorINSA_10device_ptrIfEEEEPS6_SG_NS0_5tupleIJSF_S6_EEENSH_IJSG_SG_EEES6_PlJNSB_9not_fun_tINSB_10functional5actorINSM_9compositeIJNSM_27transparent_binary_operatorINSA_8equal_toIvEEEENSN_INSM_8argumentILj0EEEEENSM_5valueIfEEEEEEEEEEEE10hipError_tPvRmT3_T4_T5_T6_T7_T9_mT8_P12ihipStream_tbDpT10_ENKUlT_T0_E_clISt17integral_constantIbLb1EES1K_EEDaS1F_S1G_EUlS1F_E_NS1_11comp_targetILNS1_3genE0ELNS1_11target_archE4294967295ELNS1_3gpuE0ELNS1_3repE0EEENS1_30default_config_static_selectorELNS0_4arch9wavefront6targetE0EEEvT1_,"axG",@progbits,_ZN7rocprim17ROCPRIM_400000_NS6detail17trampoline_kernelINS0_14default_configENS1_25partition_config_selectorILNS1_17partition_subalgoE6EfNS0_10empty_typeEbEEZZNS1_14partition_implILS5_6ELb0ES3_mN6thrust23THRUST_200600_302600_NS6detail15normal_iteratorINSA_10device_ptrIfEEEEPS6_SG_NS0_5tupleIJSF_S6_EEENSH_IJSG_SG_EEES6_PlJNSB_9not_fun_tINSB_10functional5actorINSM_9compositeIJNSM_27transparent_binary_operatorINSA_8equal_toIvEEEENSN_INSM_8argumentILj0EEEEENSM_5valueIfEEEEEEEEEEEE10hipError_tPvRmT3_T4_T5_T6_T7_T9_mT8_P12ihipStream_tbDpT10_ENKUlT_T0_E_clISt17integral_constantIbLb1EES1K_EEDaS1F_S1G_EUlS1F_E_NS1_11comp_targetILNS1_3genE0ELNS1_11target_archE4294967295ELNS1_3gpuE0ELNS1_3repE0EEENS1_30default_config_static_selectorELNS0_4arch9wavefront6targetE0EEEvT1_,comdat
.Lfunc_end55:
	.size	_ZN7rocprim17ROCPRIM_400000_NS6detail17trampoline_kernelINS0_14default_configENS1_25partition_config_selectorILNS1_17partition_subalgoE6EfNS0_10empty_typeEbEEZZNS1_14partition_implILS5_6ELb0ES3_mN6thrust23THRUST_200600_302600_NS6detail15normal_iteratorINSA_10device_ptrIfEEEEPS6_SG_NS0_5tupleIJSF_S6_EEENSH_IJSG_SG_EEES6_PlJNSB_9not_fun_tINSB_10functional5actorINSM_9compositeIJNSM_27transparent_binary_operatorINSA_8equal_toIvEEEENSN_INSM_8argumentILj0EEEEENSM_5valueIfEEEEEEEEEEEE10hipError_tPvRmT3_T4_T5_T6_T7_T9_mT8_P12ihipStream_tbDpT10_ENKUlT_T0_E_clISt17integral_constantIbLb1EES1K_EEDaS1F_S1G_EUlS1F_E_NS1_11comp_targetILNS1_3genE0ELNS1_11target_archE4294967295ELNS1_3gpuE0ELNS1_3repE0EEENS1_30default_config_static_selectorELNS0_4arch9wavefront6targetE0EEEvT1_, .Lfunc_end55-_ZN7rocprim17ROCPRIM_400000_NS6detail17trampoline_kernelINS0_14default_configENS1_25partition_config_selectorILNS1_17partition_subalgoE6EfNS0_10empty_typeEbEEZZNS1_14partition_implILS5_6ELb0ES3_mN6thrust23THRUST_200600_302600_NS6detail15normal_iteratorINSA_10device_ptrIfEEEEPS6_SG_NS0_5tupleIJSF_S6_EEENSH_IJSG_SG_EEES6_PlJNSB_9not_fun_tINSB_10functional5actorINSM_9compositeIJNSM_27transparent_binary_operatorINSA_8equal_toIvEEEENSN_INSM_8argumentILj0EEEEENSM_5valueIfEEEEEEEEEEEE10hipError_tPvRmT3_T4_T5_T6_T7_T9_mT8_P12ihipStream_tbDpT10_ENKUlT_T0_E_clISt17integral_constantIbLb1EES1K_EEDaS1F_S1G_EUlS1F_E_NS1_11comp_targetILNS1_3genE0ELNS1_11target_archE4294967295ELNS1_3gpuE0ELNS1_3repE0EEENS1_30default_config_static_selectorELNS0_4arch9wavefront6targetE0EEEvT1_
                                        ; -- End function
	.set _ZN7rocprim17ROCPRIM_400000_NS6detail17trampoline_kernelINS0_14default_configENS1_25partition_config_selectorILNS1_17partition_subalgoE6EfNS0_10empty_typeEbEEZZNS1_14partition_implILS5_6ELb0ES3_mN6thrust23THRUST_200600_302600_NS6detail15normal_iteratorINSA_10device_ptrIfEEEEPS6_SG_NS0_5tupleIJSF_S6_EEENSH_IJSG_SG_EEES6_PlJNSB_9not_fun_tINSB_10functional5actorINSM_9compositeIJNSM_27transparent_binary_operatorINSA_8equal_toIvEEEENSN_INSM_8argumentILj0EEEEENSM_5valueIfEEEEEEEEEEEE10hipError_tPvRmT3_T4_T5_T6_T7_T9_mT8_P12ihipStream_tbDpT10_ENKUlT_T0_E_clISt17integral_constantIbLb1EES1K_EEDaS1F_S1G_EUlS1F_E_NS1_11comp_targetILNS1_3genE0ELNS1_11target_archE4294967295ELNS1_3gpuE0ELNS1_3repE0EEENS1_30default_config_static_selectorELNS0_4arch9wavefront6targetE0EEEvT1_.num_vgpr, 0
	.set _ZN7rocprim17ROCPRIM_400000_NS6detail17trampoline_kernelINS0_14default_configENS1_25partition_config_selectorILNS1_17partition_subalgoE6EfNS0_10empty_typeEbEEZZNS1_14partition_implILS5_6ELb0ES3_mN6thrust23THRUST_200600_302600_NS6detail15normal_iteratorINSA_10device_ptrIfEEEEPS6_SG_NS0_5tupleIJSF_S6_EEENSH_IJSG_SG_EEES6_PlJNSB_9not_fun_tINSB_10functional5actorINSM_9compositeIJNSM_27transparent_binary_operatorINSA_8equal_toIvEEEENSN_INSM_8argumentILj0EEEEENSM_5valueIfEEEEEEEEEEEE10hipError_tPvRmT3_T4_T5_T6_T7_T9_mT8_P12ihipStream_tbDpT10_ENKUlT_T0_E_clISt17integral_constantIbLb1EES1K_EEDaS1F_S1G_EUlS1F_E_NS1_11comp_targetILNS1_3genE0ELNS1_11target_archE4294967295ELNS1_3gpuE0ELNS1_3repE0EEENS1_30default_config_static_selectorELNS0_4arch9wavefront6targetE0EEEvT1_.num_agpr, 0
	.set _ZN7rocprim17ROCPRIM_400000_NS6detail17trampoline_kernelINS0_14default_configENS1_25partition_config_selectorILNS1_17partition_subalgoE6EfNS0_10empty_typeEbEEZZNS1_14partition_implILS5_6ELb0ES3_mN6thrust23THRUST_200600_302600_NS6detail15normal_iteratorINSA_10device_ptrIfEEEEPS6_SG_NS0_5tupleIJSF_S6_EEENSH_IJSG_SG_EEES6_PlJNSB_9not_fun_tINSB_10functional5actorINSM_9compositeIJNSM_27transparent_binary_operatorINSA_8equal_toIvEEEENSN_INSM_8argumentILj0EEEEENSM_5valueIfEEEEEEEEEEEE10hipError_tPvRmT3_T4_T5_T6_T7_T9_mT8_P12ihipStream_tbDpT10_ENKUlT_T0_E_clISt17integral_constantIbLb1EES1K_EEDaS1F_S1G_EUlS1F_E_NS1_11comp_targetILNS1_3genE0ELNS1_11target_archE4294967295ELNS1_3gpuE0ELNS1_3repE0EEENS1_30default_config_static_selectorELNS0_4arch9wavefront6targetE0EEEvT1_.numbered_sgpr, 0
	.set _ZN7rocprim17ROCPRIM_400000_NS6detail17trampoline_kernelINS0_14default_configENS1_25partition_config_selectorILNS1_17partition_subalgoE6EfNS0_10empty_typeEbEEZZNS1_14partition_implILS5_6ELb0ES3_mN6thrust23THRUST_200600_302600_NS6detail15normal_iteratorINSA_10device_ptrIfEEEEPS6_SG_NS0_5tupleIJSF_S6_EEENSH_IJSG_SG_EEES6_PlJNSB_9not_fun_tINSB_10functional5actorINSM_9compositeIJNSM_27transparent_binary_operatorINSA_8equal_toIvEEEENSN_INSM_8argumentILj0EEEEENSM_5valueIfEEEEEEEEEEEE10hipError_tPvRmT3_T4_T5_T6_T7_T9_mT8_P12ihipStream_tbDpT10_ENKUlT_T0_E_clISt17integral_constantIbLb1EES1K_EEDaS1F_S1G_EUlS1F_E_NS1_11comp_targetILNS1_3genE0ELNS1_11target_archE4294967295ELNS1_3gpuE0ELNS1_3repE0EEENS1_30default_config_static_selectorELNS0_4arch9wavefront6targetE0EEEvT1_.num_named_barrier, 0
	.set _ZN7rocprim17ROCPRIM_400000_NS6detail17trampoline_kernelINS0_14default_configENS1_25partition_config_selectorILNS1_17partition_subalgoE6EfNS0_10empty_typeEbEEZZNS1_14partition_implILS5_6ELb0ES3_mN6thrust23THRUST_200600_302600_NS6detail15normal_iteratorINSA_10device_ptrIfEEEEPS6_SG_NS0_5tupleIJSF_S6_EEENSH_IJSG_SG_EEES6_PlJNSB_9not_fun_tINSB_10functional5actorINSM_9compositeIJNSM_27transparent_binary_operatorINSA_8equal_toIvEEEENSN_INSM_8argumentILj0EEEEENSM_5valueIfEEEEEEEEEEEE10hipError_tPvRmT3_T4_T5_T6_T7_T9_mT8_P12ihipStream_tbDpT10_ENKUlT_T0_E_clISt17integral_constantIbLb1EES1K_EEDaS1F_S1G_EUlS1F_E_NS1_11comp_targetILNS1_3genE0ELNS1_11target_archE4294967295ELNS1_3gpuE0ELNS1_3repE0EEENS1_30default_config_static_selectorELNS0_4arch9wavefront6targetE0EEEvT1_.private_seg_size, 0
	.set _ZN7rocprim17ROCPRIM_400000_NS6detail17trampoline_kernelINS0_14default_configENS1_25partition_config_selectorILNS1_17partition_subalgoE6EfNS0_10empty_typeEbEEZZNS1_14partition_implILS5_6ELb0ES3_mN6thrust23THRUST_200600_302600_NS6detail15normal_iteratorINSA_10device_ptrIfEEEEPS6_SG_NS0_5tupleIJSF_S6_EEENSH_IJSG_SG_EEES6_PlJNSB_9not_fun_tINSB_10functional5actorINSM_9compositeIJNSM_27transparent_binary_operatorINSA_8equal_toIvEEEENSN_INSM_8argumentILj0EEEEENSM_5valueIfEEEEEEEEEEEE10hipError_tPvRmT3_T4_T5_T6_T7_T9_mT8_P12ihipStream_tbDpT10_ENKUlT_T0_E_clISt17integral_constantIbLb1EES1K_EEDaS1F_S1G_EUlS1F_E_NS1_11comp_targetILNS1_3genE0ELNS1_11target_archE4294967295ELNS1_3gpuE0ELNS1_3repE0EEENS1_30default_config_static_selectorELNS0_4arch9wavefront6targetE0EEEvT1_.uses_vcc, 0
	.set _ZN7rocprim17ROCPRIM_400000_NS6detail17trampoline_kernelINS0_14default_configENS1_25partition_config_selectorILNS1_17partition_subalgoE6EfNS0_10empty_typeEbEEZZNS1_14partition_implILS5_6ELb0ES3_mN6thrust23THRUST_200600_302600_NS6detail15normal_iteratorINSA_10device_ptrIfEEEEPS6_SG_NS0_5tupleIJSF_S6_EEENSH_IJSG_SG_EEES6_PlJNSB_9not_fun_tINSB_10functional5actorINSM_9compositeIJNSM_27transparent_binary_operatorINSA_8equal_toIvEEEENSN_INSM_8argumentILj0EEEEENSM_5valueIfEEEEEEEEEEEE10hipError_tPvRmT3_T4_T5_T6_T7_T9_mT8_P12ihipStream_tbDpT10_ENKUlT_T0_E_clISt17integral_constantIbLb1EES1K_EEDaS1F_S1G_EUlS1F_E_NS1_11comp_targetILNS1_3genE0ELNS1_11target_archE4294967295ELNS1_3gpuE0ELNS1_3repE0EEENS1_30default_config_static_selectorELNS0_4arch9wavefront6targetE0EEEvT1_.uses_flat_scratch, 0
	.set _ZN7rocprim17ROCPRIM_400000_NS6detail17trampoline_kernelINS0_14default_configENS1_25partition_config_selectorILNS1_17partition_subalgoE6EfNS0_10empty_typeEbEEZZNS1_14partition_implILS5_6ELb0ES3_mN6thrust23THRUST_200600_302600_NS6detail15normal_iteratorINSA_10device_ptrIfEEEEPS6_SG_NS0_5tupleIJSF_S6_EEENSH_IJSG_SG_EEES6_PlJNSB_9not_fun_tINSB_10functional5actorINSM_9compositeIJNSM_27transparent_binary_operatorINSA_8equal_toIvEEEENSN_INSM_8argumentILj0EEEEENSM_5valueIfEEEEEEEEEEEE10hipError_tPvRmT3_T4_T5_T6_T7_T9_mT8_P12ihipStream_tbDpT10_ENKUlT_T0_E_clISt17integral_constantIbLb1EES1K_EEDaS1F_S1G_EUlS1F_E_NS1_11comp_targetILNS1_3genE0ELNS1_11target_archE4294967295ELNS1_3gpuE0ELNS1_3repE0EEENS1_30default_config_static_selectorELNS0_4arch9wavefront6targetE0EEEvT1_.has_dyn_sized_stack, 0
	.set _ZN7rocprim17ROCPRIM_400000_NS6detail17trampoline_kernelINS0_14default_configENS1_25partition_config_selectorILNS1_17partition_subalgoE6EfNS0_10empty_typeEbEEZZNS1_14partition_implILS5_6ELb0ES3_mN6thrust23THRUST_200600_302600_NS6detail15normal_iteratorINSA_10device_ptrIfEEEEPS6_SG_NS0_5tupleIJSF_S6_EEENSH_IJSG_SG_EEES6_PlJNSB_9not_fun_tINSB_10functional5actorINSM_9compositeIJNSM_27transparent_binary_operatorINSA_8equal_toIvEEEENSN_INSM_8argumentILj0EEEEENSM_5valueIfEEEEEEEEEEEE10hipError_tPvRmT3_T4_T5_T6_T7_T9_mT8_P12ihipStream_tbDpT10_ENKUlT_T0_E_clISt17integral_constantIbLb1EES1K_EEDaS1F_S1G_EUlS1F_E_NS1_11comp_targetILNS1_3genE0ELNS1_11target_archE4294967295ELNS1_3gpuE0ELNS1_3repE0EEENS1_30default_config_static_selectorELNS0_4arch9wavefront6targetE0EEEvT1_.has_recursion, 0
	.set _ZN7rocprim17ROCPRIM_400000_NS6detail17trampoline_kernelINS0_14default_configENS1_25partition_config_selectorILNS1_17partition_subalgoE6EfNS0_10empty_typeEbEEZZNS1_14partition_implILS5_6ELb0ES3_mN6thrust23THRUST_200600_302600_NS6detail15normal_iteratorINSA_10device_ptrIfEEEEPS6_SG_NS0_5tupleIJSF_S6_EEENSH_IJSG_SG_EEES6_PlJNSB_9not_fun_tINSB_10functional5actorINSM_9compositeIJNSM_27transparent_binary_operatorINSA_8equal_toIvEEEENSN_INSM_8argumentILj0EEEEENSM_5valueIfEEEEEEEEEEEE10hipError_tPvRmT3_T4_T5_T6_T7_T9_mT8_P12ihipStream_tbDpT10_ENKUlT_T0_E_clISt17integral_constantIbLb1EES1K_EEDaS1F_S1G_EUlS1F_E_NS1_11comp_targetILNS1_3genE0ELNS1_11target_archE4294967295ELNS1_3gpuE0ELNS1_3repE0EEENS1_30default_config_static_selectorELNS0_4arch9wavefront6targetE0EEEvT1_.has_indirect_call, 0
	.section	.AMDGPU.csdata,"",@progbits
; Kernel info:
; codeLenInByte = 0
; TotalNumSgprs: 0
; NumVgprs: 0
; ScratchSize: 0
; MemoryBound: 0
; FloatMode: 240
; IeeeMode: 1
; LDSByteSize: 0 bytes/workgroup (compile time only)
; SGPRBlocks: 0
; VGPRBlocks: 0
; NumSGPRsForWavesPerEU: 1
; NumVGPRsForWavesPerEU: 1
; Occupancy: 16
; WaveLimiterHint : 0
; COMPUTE_PGM_RSRC2:SCRATCH_EN: 0
; COMPUTE_PGM_RSRC2:USER_SGPR: 2
; COMPUTE_PGM_RSRC2:TRAP_HANDLER: 0
; COMPUTE_PGM_RSRC2:TGID_X_EN: 1
; COMPUTE_PGM_RSRC2:TGID_Y_EN: 0
; COMPUTE_PGM_RSRC2:TGID_Z_EN: 0
; COMPUTE_PGM_RSRC2:TIDIG_COMP_CNT: 0
	.section	.text._ZN7rocprim17ROCPRIM_400000_NS6detail17trampoline_kernelINS0_14default_configENS1_25partition_config_selectorILNS1_17partition_subalgoE6EfNS0_10empty_typeEbEEZZNS1_14partition_implILS5_6ELb0ES3_mN6thrust23THRUST_200600_302600_NS6detail15normal_iteratorINSA_10device_ptrIfEEEEPS6_SG_NS0_5tupleIJSF_S6_EEENSH_IJSG_SG_EEES6_PlJNSB_9not_fun_tINSB_10functional5actorINSM_9compositeIJNSM_27transparent_binary_operatorINSA_8equal_toIvEEEENSN_INSM_8argumentILj0EEEEENSM_5valueIfEEEEEEEEEEEE10hipError_tPvRmT3_T4_T5_T6_T7_T9_mT8_P12ihipStream_tbDpT10_ENKUlT_T0_E_clISt17integral_constantIbLb1EES1K_EEDaS1F_S1G_EUlS1F_E_NS1_11comp_targetILNS1_3genE5ELNS1_11target_archE942ELNS1_3gpuE9ELNS1_3repE0EEENS1_30default_config_static_selectorELNS0_4arch9wavefront6targetE0EEEvT1_,"axG",@progbits,_ZN7rocprim17ROCPRIM_400000_NS6detail17trampoline_kernelINS0_14default_configENS1_25partition_config_selectorILNS1_17partition_subalgoE6EfNS0_10empty_typeEbEEZZNS1_14partition_implILS5_6ELb0ES3_mN6thrust23THRUST_200600_302600_NS6detail15normal_iteratorINSA_10device_ptrIfEEEEPS6_SG_NS0_5tupleIJSF_S6_EEENSH_IJSG_SG_EEES6_PlJNSB_9not_fun_tINSB_10functional5actorINSM_9compositeIJNSM_27transparent_binary_operatorINSA_8equal_toIvEEEENSN_INSM_8argumentILj0EEEEENSM_5valueIfEEEEEEEEEEEE10hipError_tPvRmT3_T4_T5_T6_T7_T9_mT8_P12ihipStream_tbDpT10_ENKUlT_T0_E_clISt17integral_constantIbLb1EES1K_EEDaS1F_S1G_EUlS1F_E_NS1_11comp_targetILNS1_3genE5ELNS1_11target_archE942ELNS1_3gpuE9ELNS1_3repE0EEENS1_30default_config_static_selectorELNS0_4arch9wavefront6targetE0EEEvT1_,comdat
	.protected	_ZN7rocprim17ROCPRIM_400000_NS6detail17trampoline_kernelINS0_14default_configENS1_25partition_config_selectorILNS1_17partition_subalgoE6EfNS0_10empty_typeEbEEZZNS1_14partition_implILS5_6ELb0ES3_mN6thrust23THRUST_200600_302600_NS6detail15normal_iteratorINSA_10device_ptrIfEEEEPS6_SG_NS0_5tupleIJSF_S6_EEENSH_IJSG_SG_EEES6_PlJNSB_9not_fun_tINSB_10functional5actorINSM_9compositeIJNSM_27transparent_binary_operatorINSA_8equal_toIvEEEENSN_INSM_8argumentILj0EEEEENSM_5valueIfEEEEEEEEEEEE10hipError_tPvRmT3_T4_T5_T6_T7_T9_mT8_P12ihipStream_tbDpT10_ENKUlT_T0_E_clISt17integral_constantIbLb1EES1K_EEDaS1F_S1G_EUlS1F_E_NS1_11comp_targetILNS1_3genE5ELNS1_11target_archE942ELNS1_3gpuE9ELNS1_3repE0EEENS1_30default_config_static_selectorELNS0_4arch9wavefront6targetE0EEEvT1_ ; -- Begin function _ZN7rocprim17ROCPRIM_400000_NS6detail17trampoline_kernelINS0_14default_configENS1_25partition_config_selectorILNS1_17partition_subalgoE6EfNS0_10empty_typeEbEEZZNS1_14partition_implILS5_6ELb0ES3_mN6thrust23THRUST_200600_302600_NS6detail15normal_iteratorINSA_10device_ptrIfEEEEPS6_SG_NS0_5tupleIJSF_S6_EEENSH_IJSG_SG_EEES6_PlJNSB_9not_fun_tINSB_10functional5actorINSM_9compositeIJNSM_27transparent_binary_operatorINSA_8equal_toIvEEEENSN_INSM_8argumentILj0EEEEENSM_5valueIfEEEEEEEEEEEE10hipError_tPvRmT3_T4_T5_T6_T7_T9_mT8_P12ihipStream_tbDpT10_ENKUlT_T0_E_clISt17integral_constantIbLb1EES1K_EEDaS1F_S1G_EUlS1F_E_NS1_11comp_targetILNS1_3genE5ELNS1_11target_archE942ELNS1_3gpuE9ELNS1_3repE0EEENS1_30default_config_static_selectorELNS0_4arch9wavefront6targetE0EEEvT1_
	.globl	_ZN7rocprim17ROCPRIM_400000_NS6detail17trampoline_kernelINS0_14default_configENS1_25partition_config_selectorILNS1_17partition_subalgoE6EfNS0_10empty_typeEbEEZZNS1_14partition_implILS5_6ELb0ES3_mN6thrust23THRUST_200600_302600_NS6detail15normal_iteratorINSA_10device_ptrIfEEEEPS6_SG_NS0_5tupleIJSF_S6_EEENSH_IJSG_SG_EEES6_PlJNSB_9not_fun_tINSB_10functional5actorINSM_9compositeIJNSM_27transparent_binary_operatorINSA_8equal_toIvEEEENSN_INSM_8argumentILj0EEEEENSM_5valueIfEEEEEEEEEEEE10hipError_tPvRmT3_T4_T5_T6_T7_T9_mT8_P12ihipStream_tbDpT10_ENKUlT_T0_E_clISt17integral_constantIbLb1EES1K_EEDaS1F_S1G_EUlS1F_E_NS1_11comp_targetILNS1_3genE5ELNS1_11target_archE942ELNS1_3gpuE9ELNS1_3repE0EEENS1_30default_config_static_selectorELNS0_4arch9wavefront6targetE0EEEvT1_
	.p2align	8
	.type	_ZN7rocprim17ROCPRIM_400000_NS6detail17trampoline_kernelINS0_14default_configENS1_25partition_config_selectorILNS1_17partition_subalgoE6EfNS0_10empty_typeEbEEZZNS1_14partition_implILS5_6ELb0ES3_mN6thrust23THRUST_200600_302600_NS6detail15normal_iteratorINSA_10device_ptrIfEEEEPS6_SG_NS0_5tupleIJSF_S6_EEENSH_IJSG_SG_EEES6_PlJNSB_9not_fun_tINSB_10functional5actorINSM_9compositeIJNSM_27transparent_binary_operatorINSA_8equal_toIvEEEENSN_INSM_8argumentILj0EEEEENSM_5valueIfEEEEEEEEEEEE10hipError_tPvRmT3_T4_T5_T6_T7_T9_mT8_P12ihipStream_tbDpT10_ENKUlT_T0_E_clISt17integral_constantIbLb1EES1K_EEDaS1F_S1G_EUlS1F_E_NS1_11comp_targetILNS1_3genE5ELNS1_11target_archE942ELNS1_3gpuE9ELNS1_3repE0EEENS1_30default_config_static_selectorELNS0_4arch9wavefront6targetE0EEEvT1_,@function
_ZN7rocprim17ROCPRIM_400000_NS6detail17trampoline_kernelINS0_14default_configENS1_25partition_config_selectorILNS1_17partition_subalgoE6EfNS0_10empty_typeEbEEZZNS1_14partition_implILS5_6ELb0ES3_mN6thrust23THRUST_200600_302600_NS6detail15normal_iteratorINSA_10device_ptrIfEEEEPS6_SG_NS0_5tupleIJSF_S6_EEENSH_IJSG_SG_EEES6_PlJNSB_9not_fun_tINSB_10functional5actorINSM_9compositeIJNSM_27transparent_binary_operatorINSA_8equal_toIvEEEENSN_INSM_8argumentILj0EEEEENSM_5valueIfEEEEEEEEEEEE10hipError_tPvRmT3_T4_T5_T6_T7_T9_mT8_P12ihipStream_tbDpT10_ENKUlT_T0_E_clISt17integral_constantIbLb1EES1K_EEDaS1F_S1G_EUlS1F_E_NS1_11comp_targetILNS1_3genE5ELNS1_11target_archE942ELNS1_3gpuE9ELNS1_3repE0EEENS1_30default_config_static_selectorELNS0_4arch9wavefront6targetE0EEEvT1_: ; @_ZN7rocprim17ROCPRIM_400000_NS6detail17trampoline_kernelINS0_14default_configENS1_25partition_config_selectorILNS1_17partition_subalgoE6EfNS0_10empty_typeEbEEZZNS1_14partition_implILS5_6ELb0ES3_mN6thrust23THRUST_200600_302600_NS6detail15normal_iteratorINSA_10device_ptrIfEEEEPS6_SG_NS0_5tupleIJSF_S6_EEENSH_IJSG_SG_EEES6_PlJNSB_9not_fun_tINSB_10functional5actorINSM_9compositeIJNSM_27transparent_binary_operatorINSA_8equal_toIvEEEENSN_INSM_8argumentILj0EEEEENSM_5valueIfEEEEEEEEEEEE10hipError_tPvRmT3_T4_T5_T6_T7_T9_mT8_P12ihipStream_tbDpT10_ENKUlT_T0_E_clISt17integral_constantIbLb1EES1K_EEDaS1F_S1G_EUlS1F_E_NS1_11comp_targetILNS1_3genE5ELNS1_11target_archE942ELNS1_3gpuE9ELNS1_3repE0EEENS1_30default_config_static_selectorELNS0_4arch9wavefront6targetE0EEEvT1_
; %bb.0:
	.section	.rodata,"a",@progbits
	.p2align	6, 0x0
	.amdhsa_kernel _ZN7rocprim17ROCPRIM_400000_NS6detail17trampoline_kernelINS0_14default_configENS1_25partition_config_selectorILNS1_17partition_subalgoE6EfNS0_10empty_typeEbEEZZNS1_14partition_implILS5_6ELb0ES3_mN6thrust23THRUST_200600_302600_NS6detail15normal_iteratorINSA_10device_ptrIfEEEEPS6_SG_NS0_5tupleIJSF_S6_EEENSH_IJSG_SG_EEES6_PlJNSB_9not_fun_tINSB_10functional5actorINSM_9compositeIJNSM_27transparent_binary_operatorINSA_8equal_toIvEEEENSN_INSM_8argumentILj0EEEEENSM_5valueIfEEEEEEEEEEEE10hipError_tPvRmT3_T4_T5_T6_T7_T9_mT8_P12ihipStream_tbDpT10_ENKUlT_T0_E_clISt17integral_constantIbLb1EES1K_EEDaS1F_S1G_EUlS1F_E_NS1_11comp_targetILNS1_3genE5ELNS1_11target_archE942ELNS1_3gpuE9ELNS1_3repE0EEENS1_30default_config_static_selectorELNS0_4arch9wavefront6targetE0EEEvT1_
		.amdhsa_group_segment_fixed_size 0
		.amdhsa_private_segment_fixed_size 0
		.amdhsa_kernarg_size 128
		.amdhsa_user_sgpr_count 2
		.amdhsa_user_sgpr_dispatch_ptr 0
		.amdhsa_user_sgpr_queue_ptr 0
		.amdhsa_user_sgpr_kernarg_segment_ptr 1
		.amdhsa_user_sgpr_dispatch_id 0
		.amdhsa_user_sgpr_private_segment_size 0
		.amdhsa_wavefront_size32 1
		.amdhsa_uses_dynamic_stack 0
		.amdhsa_enable_private_segment 0
		.amdhsa_system_sgpr_workgroup_id_x 1
		.amdhsa_system_sgpr_workgroup_id_y 0
		.amdhsa_system_sgpr_workgroup_id_z 0
		.amdhsa_system_sgpr_workgroup_info 0
		.amdhsa_system_vgpr_workitem_id 0
		.amdhsa_next_free_vgpr 1
		.amdhsa_next_free_sgpr 1
		.amdhsa_reserve_vcc 0
		.amdhsa_float_round_mode_32 0
		.amdhsa_float_round_mode_16_64 0
		.amdhsa_float_denorm_mode_32 3
		.amdhsa_float_denorm_mode_16_64 3
		.amdhsa_fp16_overflow 0
		.amdhsa_workgroup_processor_mode 1
		.amdhsa_memory_ordered 1
		.amdhsa_forward_progress 1
		.amdhsa_inst_pref_size 0
		.amdhsa_round_robin_scheduling 0
		.amdhsa_exception_fp_ieee_invalid_op 0
		.amdhsa_exception_fp_denorm_src 0
		.amdhsa_exception_fp_ieee_div_zero 0
		.amdhsa_exception_fp_ieee_overflow 0
		.amdhsa_exception_fp_ieee_underflow 0
		.amdhsa_exception_fp_ieee_inexact 0
		.amdhsa_exception_int_div_zero 0
	.end_amdhsa_kernel
	.section	.text._ZN7rocprim17ROCPRIM_400000_NS6detail17trampoline_kernelINS0_14default_configENS1_25partition_config_selectorILNS1_17partition_subalgoE6EfNS0_10empty_typeEbEEZZNS1_14partition_implILS5_6ELb0ES3_mN6thrust23THRUST_200600_302600_NS6detail15normal_iteratorINSA_10device_ptrIfEEEEPS6_SG_NS0_5tupleIJSF_S6_EEENSH_IJSG_SG_EEES6_PlJNSB_9not_fun_tINSB_10functional5actorINSM_9compositeIJNSM_27transparent_binary_operatorINSA_8equal_toIvEEEENSN_INSM_8argumentILj0EEEEENSM_5valueIfEEEEEEEEEEEE10hipError_tPvRmT3_T4_T5_T6_T7_T9_mT8_P12ihipStream_tbDpT10_ENKUlT_T0_E_clISt17integral_constantIbLb1EES1K_EEDaS1F_S1G_EUlS1F_E_NS1_11comp_targetILNS1_3genE5ELNS1_11target_archE942ELNS1_3gpuE9ELNS1_3repE0EEENS1_30default_config_static_selectorELNS0_4arch9wavefront6targetE0EEEvT1_,"axG",@progbits,_ZN7rocprim17ROCPRIM_400000_NS6detail17trampoline_kernelINS0_14default_configENS1_25partition_config_selectorILNS1_17partition_subalgoE6EfNS0_10empty_typeEbEEZZNS1_14partition_implILS5_6ELb0ES3_mN6thrust23THRUST_200600_302600_NS6detail15normal_iteratorINSA_10device_ptrIfEEEEPS6_SG_NS0_5tupleIJSF_S6_EEENSH_IJSG_SG_EEES6_PlJNSB_9not_fun_tINSB_10functional5actorINSM_9compositeIJNSM_27transparent_binary_operatorINSA_8equal_toIvEEEENSN_INSM_8argumentILj0EEEEENSM_5valueIfEEEEEEEEEEEE10hipError_tPvRmT3_T4_T5_T6_T7_T9_mT8_P12ihipStream_tbDpT10_ENKUlT_T0_E_clISt17integral_constantIbLb1EES1K_EEDaS1F_S1G_EUlS1F_E_NS1_11comp_targetILNS1_3genE5ELNS1_11target_archE942ELNS1_3gpuE9ELNS1_3repE0EEENS1_30default_config_static_selectorELNS0_4arch9wavefront6targetE0EEEvT1_,comdat
.Lfunc_end56:
	.size	_ZN7rocprim17ROCPRIM_400000_NS6detail17trampoline_kernelINS0_14default_configENS1_25partition_config_selectorILNS1_17partition_subalgoE6EfNS0_10empty_typeEbEEZZNS1_14partition_implILS5_6ELb0ES3_mN6thrust23THRUST_200600_302600_NS6detail15normal_iteratorINSA_10device_ptrIfEEEEPS6_SG_NS0_5tupleIJSF_S6_EEENSH_IJSG_SG_EEES6_PlJNSB_9not_fun_tINSB_10functional5actorINSM_9compositeIJNSM_27transparent_binary_operatorINSA_8equal_toIvEEEENSN_INSM_8argumentILj0EEEEENSM_5valueIfEEEEEEEEEEEE10hipError_tPvRmT3_T4_T5_T6_T7_T9_mT8_P12ihipStream_tbDpT10_ENKUlT_T0_E_clISt17integral_constantIbLb1EES1K_EEDaS1F_S1G_EUlS1F_E_NS1_11comp_targetILNS1_3genE5ELNS1_11target_archE942ELNS1_3gpuE9ELNS1_3repE0EEENS1_30default_config_static_selectorELNS0_4arch9wavefront6targetE0EEEvT1_, .Lfunc_end56-_ZN7rocprim17ROCPRIM_400000_NS6detail17trampoline_kernelINS0_14default_configENS1_25partition_config_selectorILNS1_17partition_subalgoE6EfNS0_10empty_typeEbEEZZNS1_14partition_implILS5_6ELb0ES3_mN6thrust23THRUST_200600_302600_NS6detail15normal_iteratorINSA_10device_ptrIfEEEEPS6_SG_NS0_5tupleIJSF_S6_EEENSH_IJSG_SG_EEES6_PlJNSB_9not_fun_tINSB_10functional5actorINSM_9compositeIJNSM_27transparent_binary_operatorINSA_8equal_toIvEEEENSN_INSM_8argumentILj0EEEEENSM_5valueIfEEEEEEEEEEEE10hipError_tPvRmT3_T4_T5_T6_T7_T9_mT8_P12ihipStream_tbDpT10_ENKUlT_T0_E_clISt17integral_constantIbLb1EES1K_EEDaS1F_S1G_EUlS1F_E_NS1_11comp_targetILNS1_3genE5ELNS1_11target_archE942ELNS1_3gpuE9ELNS1_3repE0EEENS1_30default_config_static_selectorELNS0_4arch9wavefront6targetE0EEEvT1_
                                        ; -- End function
	.set _ZN7rocprim17ROCPRIM_400000_NS6detail17trampoline_kernelINS0_14default_configENS1_25partition_config_selectorILNS1_17partition_subalgoE6EfNS0_10empty_typeEbEEZZNS1_14partition_implILS5_6ELb0ES3_mN6thrust23THRUST_200600_302600_NS6detail15normal_iteratorINSA_10device_ptrIfEEEEPS6_SG_NS0_5tupleIJSF_S6_EEENSH_IJSG_SG_EEES6_PlJNSB_9not_fun_tINSB_10functional5actorINSM_9compositeIJNSM_27transparent_binary_operatorINSA_8equal_toIvEEEENSN_INSM_8argumentILj0EEEEENSM_5valueIfEEEEEEEEEEEE10hipError_tPvRmT3_T4_T5_T6_T7_T9_mT8_P12ihipStream_tbDpT10_ENKUlT_T0_E_clISt17integral_constantIbLb1EES1K_EEDaS1F_S1G_EUlS1F_E_NS1_11comp_targetILNS1_3genE5ELNS1_11target_archE942ELNS1_3gpuE9ELNS1_3repE0EEENS1_30default_config_static_selectorELNS0_4arch9wavefront6targetE0EEEvT1_.num_vgpr, 0
	.set _ZN7rocprim17ROCPRIM_400000_NS6detail17trampoline_kernelINS0_14default_configENS1_25partition_config_selectorILNS1_17partition_subalgoE6EfNS0_10empty_typeEbEEZZNS1_14partition_implILS5_6ELb0ES3_mN6thrust23THRUST_200600_302600_NS6detail15normal_iteratorINSA_10device_ptrIfEEEEPS6_SG_NS0_5tupleIJSF_S6_EEENSH_IJSG_SG_EEES6_PlJNSB_9not_fun_tINSB_10functional5actorINSM_9compositeIJNSM_27transparent_binary_operatorINSA_8equal_toIvEEEENSN_INSM_8argumentILj0EEEEENSM_5valueIfEEEEEEEEEEEE10hipError_tPvRmT3_T4_T5_T6_T7_T9_mT8_P12ihipStream_tbDpT10_ENKUlT_T0_E_clISt17integral_constantIbLb1EES1K_EEDaS1F_S1G_EUlS1F_E_NS1_11comp_targetILNS1_3genE5ELNS1_11target_archE942ELNS1_3gpuE9ELNS1_3repE0EEENS1_30default_config_static_selectorELNS0_4arch9wavefront6targetE0EEEvT1_.num_agpr, 0
	.set _ZN7rocprim17ROCPRIM_400000_NS6detail17trampoline_kernelINS0_14default_configENS1_25partition_config_selectorILNS1_17partition_subalgoE6EfNS0_10empty_typeEbEEZZNS1_14partition_implILS5_6ELb0ES3_mN6thrust23THRUST_200600_302600_NS6detail15normal_iteratorINSA_10device_ptrIfEEEEPS6_SG_NS0_5tupleIJSF_S6_EEENSH_IJSG_SG_EEES6_PlJNSB_9not_fun_tINSB_10functional5actorINSM_9compositeIJNSM_27transparent_binary_operatorINSA_8equal_toIvEEEENSN_INSM_8argumentILj0EEEEENSM_5valueIfEEEEEEEEEEEE10hipError_tPvRmT3_T4_T5_T6_T7_T9_mT8_P12ihipStream_tbDpT10_ENKUlT_T0_E_clISt17integral_constantIbLb1EES1K_EEDaS1F_S1G_EUlS1F_E_NS1_11comp_targetILNS1_3genE5ELNS1_11target_archE942ELNS1_3gpuE9ELNS1_3repE0EEENS1_30default_config_static_selectorELNS0_4arch9wavefront6targetE0EEEvT1_.numbered_sgpr, 0
	.set _ZN7rocprim17ROCPRIM_400000_NS6detail17trampoline_kernelINS0_14default_configENS1_25partition_config_selectorILNS1_17partition_subalgoE6EfNS0_10empty_typeEbEEZZNS1_14partition_implILS5_6ELb0ES3_mN6thrust23THRUST_200600_302600_NS6detail15normal_iteratorINSA_10device_ptrIfEEEEPS6_SG_NS0_5tupleIJSF_S6_EEENSH_IJSG_SG_EEES6_PlJNSB_9not_fun_tINSB_10functional5actorINSM_9compositeIJNSM_27transparent_binary_operatorINSA_8equal_toIvEEEENSN_INSM_8argumentILj0EEEEENSM_5valueIfEEEEEEEEEEEE10hipError_tPvRmT3_T4_T5_T6_T7_T9_mT8_P12ihipStream_tbDpT10_ENKUlT_T0_E_clISt17integral_constantIbLb1EES1K_EEDaS1F_S1G_EUlS1F_E_NS1_11comp_targetILNS1_3genE5ELNS1_11target_archE942ELNS1_3gpuE9ELNS1_3repE0EEENS1_30default_config_static_selectorELNS0_4arch9wavefront6targetE0EEEvT1_.num_named_barrier, 0
	.set _ZN7rocprim17ROCPRIM_400000_NS6detail17trampoline_kernelINS0_14default_configENS1_25partition_config_selectorILNS1_17partition_subalgoE6EfNS0_10empty_typeEbEEZZNS1_14partition_implILS5_6ELb0ES3_mN6thrust23THRUST_200600_302600_NS6detail15normal_iteratorINSA_10device_ptrIfEEEEPS6_SG_NS0_5tupleIJSF_S6_EEENSH_IJSG_SG_EEES6_PlJNSB_9not_fun_tINSB_10functional5actorINSM_9compositeIJNSM_27transparent_binary_operatorINSA_8equal_toIvEEEENSN_INSM_8argumentILj0EEEEENSM_5valueIfEEEEEEEEEEEE10hipError_tPvRmT3_T4_T5_T6_T7_T9_mT8_P12ihipStream_tbDpT10_ENKUlT_T0_E_clISt17integral_constantIbLb1EES1K_EEDaS1F_S1G_EUlS1F_E_NS1_11comp_targetILNS1_3genE5ELNS1_11target_archE942ELNS1_3gpuE9ELNS1_3repE0EEENS1_30default_config_static_selectorELNS0_4arch9wavefront6targetE0EEEvT1_.private_seg_size, 0
	.set _ZN7rocprim17ROCPRIM_400000_NS6detail17trampoline_kernelINS0_14default_configENS1_25partition_config_selectorILNS1_17partition_subalgoE6EfNS0_10empty_typeEbEEZZNS1_14partition_implILS5_6ELb0ES3_mN6thrust23THRUST_200600_302600_NS6detail15normal_iteratorINSA_10device_ptrIfEEEEPS6_SG_NS0_5tupleIJSF_S6_EEENSH_IJSG_SG_EEES6_PlJNSB_9not_fun_tINSB_10functional5actorINSM_9compositeIJNSM_27transparent_binary_operatorINSA_8equal_toIvEEEENSN_INSM_8argumentILj0EEEEENSM_5valueIfEEEEEEEEEEEE10hipError_tPvRmT3_T4_T5_T6_T7_T9_mT8_P12ihipStream_tbDpT10_ENKUlT_T0_E_clISt17integral_constantIbLb1EES1K_EEDaS1F_S1G_EUlS1F_E_NS1_11comp_targetILNS1_3genE5ELNS1_11target_archE942ELNS1_3gpuE9ELNS1_3repE0EEENS1_30default_config_static_selectorELNS0_4arch9wavefront6targetE0EEEvT1_.uses_vcc, 0
	.set _ZN7rocprim17ROCPRIM_400000_NS6detail17trampoline_kernelINS0_14default_configENS1_25partition_config_selectorILNS1_17partition_subalgoE6EfNS0_10empty_typeEbEEZZNS1_14partition_implILS5_6ELb0ES3_mN6thrust23THRUST_200600_302600_NS6detail15normal_iteratorINSA_10device_ptrIfEEEEPS6_SG_NS0_5tupleIJSF_S6_EEENSH_IJSG_SG_EEES6_PlJNSB_9not_fun_tINSB_10functional5actorINSM_9compositeIJNSM_27transparent_binary_operatorINSA_8equal_toIvEEEENSN_INSM_8argumentILj0EEEEENSM_5valueIfEEEEEEEEEEEE10hipError_tPvRmT3_T4_T5_T6_T7_T9_mT8_P12ihipStream_tbDpT10_ENKUlT_T0_E_clISt17integral_constantIbLb1EES1K_EEDaS1F_S1G_EUlS1F_E_NS1_11comp_targetILNS1_3genE5ELNS1_11target_archE942ELNS1_3gpuE9ELNS1_3repE0EEENS1_30default_config_static_selectorELNS0_4arch9wavefront6targetE0EEEvT1_.uses_flat_scratch, 0
	.set _ZN7rocprim17ROCPRIM_400000_NS6detail17trampoline_kernelINS0_14default_configENS1_25partition_config_selectorILNS1_17partition_subalgoE6EfNS0_10empty_typeEbEEZZNS1_14partition_implILS5_6ELb0ES3_mN6thrust23THRUST_200600_302600_NS6detail15normal_iteratorINSA_10device_ptrIfEEEEPS6_SG_NS0_5tupleIJSF_S6_EEENSH_IJSG_SG_EEES6_PlJNSB_9not_fun_tINSB_10functional5actorINSM_9compositeIJNSM_27transparent_binary_operatorINSA_8equal_toIvEEEENSN_INSM_8argumentILj0EEEEENSM_5valueIfEEEEEEEEEEEE10hipError_tPvRmT3_T4_T5_T6_T7_T9_mT8_P12ihipStream_tbDpT10_ENKUlT_T0_E_clISt17integral_constantIbLb1EES1K_EEDaS1F_S1G_EUlS1F_E_NS1_11comp_targetILNS1_3genE5ELNS1_11target_archE942ELNS1_3gpuE9ELNS1_3repE0EEENS1_30default_config_static_selectorELNS0_4arch9wavefront6targetE0EEEvT1_.has_dyn_sized_stack, 0
	.set _ZN7rocprim17ROCPRIM_400000_NS6detail17trampoline_kernelINS0_14default_configENS1_25partition_config_selectorILNS1_17partition_subalgoE6EfNS0_10empty_typeEbEEZZNS1_14partition_implILS5_6ELb0ES3_mN6thrust23THRUST_200600_302600_NS6detail15normal_iteratorINSA_10device_ptrIfEEEEPS6_SG_NS0_5tupleIJSF_S6_EEENSH_IJSG_SG_EEES6_PlJNSB_9not_fun_tINSB_10functional5actorINSM_9compositeIJNSM_27transparent_binary_operatorINSA_8equal_toIvEEEENSN_INSM_8argumentILj0EEEEENSM_5valueIfEEEEEEEEEEEE10hipError_tPvRmT3_T4_T5_T6_T7_T9_mT8_P12ihipStream_tbDpT10_ENKUlT_T0_E_clISt17integral_constantIbLb1EES1K_EEDaS1F_S1G_EUlS1F_E_NS1_11comp_targetILNS1_3genE5ELNS1_11target_archE942ELNS1_3gpuE9ELNS1_3repE0EEENS1_30default_config_static_selectorELNS0_4arch9wavefront6targetE0EEEvT1_.has_recursion, 0
	.set _ZN7rocprim17ROCPRIM_400000_NS6detail17trampoline_kernelINS0_14default_configENS1_25partition_config_selectorILNS1_17partition_subalgoE6EfNS0_10empty_typeEbEEZZNS1_14partition_implILS5_6ELb0ES3_mN6thrust23THRUST_200600_302600_NS6detail15normal_iteratorINSA_10device_ptrIfEEEEPS6_SG_NS0_5tupleIJSF_S6_EEENSH_IJSG_SG_EEES6_PlJNSB_9not_fun_tINSB_10functional5actorINSM_9compositeIJNSM_27transparent_binary_operatorINSA_8equal_toIvEEEENSN_INSM_8argumentILj0EEEEENSM_5valueIfEEEEEEEEEEEE10hipError_tPvRmT3_T4_T5_T6_T7_T9_mT8_P12ihipStream_tbDpT10_ENKUlT_T0_E_clISt17integral_constantIbLb1EES1K_EEDaS1F_S1G_EUlS1F_E_NS1_11comp_targetILNS1_3genE5ELNS1_11target_archE942ELNS1_3gpuE9ELNS1_3repE0EEENS1_30default_config_static_selectorELNS0_4arch9wavefront6targetE0EEEvT1_.has_indirect_call, 0
	.section	.AMDGPU.csdata,"",@progbits
; Kernel info:
; codeLenInByte = 0
; TotalNumSgprs: 0
; NumVgprs: 0
; ScratchSize: 0
; MemoryBound: 0
; FloatMode: 240
; IeeeMode: 1
; LDSByteSize: 0 bytes/workgroup (compile time only)
; SGPRBlocks: 0
; VGPRBlocks: 0
; NumSGPRsForWavesPerEU: 1
; NumVGPRsForWavesPerEU: 1
; Occupancy: 16
; WaveLimiterHint : 0
; COMPUTE_PGM_RSRC2:SCRATCH_EN: 0
; COMPUTE_PGM_RSRC2:USER_SGPR: 2
; COMPUTE_PGM_RSRC2:TRAP_HANDLER: 0
; COMPUTE_PGM_RSRC2:TGID_X_EN: 1
; COMPUTE_PGM_RSRC2:TGID_Y_EN: 0
; COMPUTE_PGM_RSRC2:TGID_Z_EN: 0
; COMPUTE_PGM_RSRC2:TIDIG_COMP_CNT: 0
	.section	.text._ZN7rocprim17ROCPRIM_400000_NS6detail17trampoline_kernelINS0_14default_configENS1_25partition_config_selectorILNS1_17partition_subalgoE6EfNS0_10empty_typeEbEEZZNS1_14partition_implILS5_6ELb0ES3_mN6thrust23THRUST_200600_302600_NS6detail15normal_iteratorINSA_10device_ptrIfEEEEPS6_SG_NS0_5tupleIJSF_S6_EEENSH_IJSG_SG_EEES6_PlJNSB_9not_fun_tINSB_10functional5actorINSM_9compositeIJNSM_27transparent_binary_operatorINSA_8equal_toIvEEEENSN_INSM_8argumentILj0EEEEENSM_5valueIfEEEEEEEEEEEE10hipError_tPvRmT3_T4_T5_T6_T7_T9_mT8_P12ihipStream_tbDpT10_ENKUlT_T0_E_clISt17integral_constantIbLb1EES1K_EEDaS1F_S1G_EUlS1F_E_NS1_11comp_targetILNS1_3genE4ELNS1_11target_archE910ELNS1_3gpuE8ELNS1_3repE0EEENS1_30default_config_static_selectorELNS0_4arch9wavefront6targetE0EEEvT1_,"axG",@progbits,_ZN7rocprim17ROCPRIM_400000_NS6detail17trampoline_kernelINS0_14default_configENS1_25partition_config_selectorILNS1_17partition_subalgoE6EfNS0_10empty_typeEbEEZZNS1_14partition_implILS5_6ELb0ES3_mN6thrust23THRUST_200600_302600_NS6detail15normal_iteratorINSA_10device_ptrIfEEEEPS6_SG_NS0_5tupleIJSF_S6_EEENSH_IJSG_SG_EEES6_PlJNSB_9not_fun_tINSB_10functional5actorINSM_9compositeIJNSM_27transparent_binary_operatorINSA_8equal_toIvEEEENSN_INSM_8argumentILj0EEEEENSM_5valueIfEEEEEEEEEEEE10hipError_tPvRmT3_T4_T5_T6_T7_T9_mT8_P12ihipStream_tbDpT10_ENKUlT_T0_E_clISt17integral_constantIbLb1EES1K_EEDaS1F_S1G_EUlS1F_E_NS1_11comp_targetILNS1_3genE4ELNS1_11target_archE910ELNS1_3gpuE8ELNS1_3repE0EEENS1_30default_config_static_selectorELNS0_4arch9wavefront6targetE0EEEvT1_,comdat
	.protected	_ZN7rocprim17ROCPRIM_400000_NS6detail17trampoline_kernelINS0_14default_configENS1_25partition_config_selectorILNS1_17partition_subalgoE6EfNS0_10empty_typeEbEEZZNS1_14partition_implILS5_6ELb0ES3_mN6thrust23THRUST_200600_302600_NS6detail15normal_iteratorINSA_10device_ptrIfEEEEPS6_SG_NS0_5tupleIJSF_S6_EEENSH_IJSG_SG_EEES6_PlJNSB_9not_fun_tINSB_10functional5actorINSM_9compositeIJNSM_27transparent_binary_operatorINSA_8equal_toIvEEEENSN_INSM_8argumentILj0EEEEENSM_5valueIfEEEEEEEEEEEE10hipError_tPvRmT3_T4_T5_T6_T7_T9_mT8_P12ihipStream_tbDpT10_ENKUlT_T0_E_clISt17integral_constantIbLb1EES1K_EEDaS1F_S1G_EUlS1F_E_NS1_11comp_targetILNS1_3genE4ELNS1_11target_archE910ELNS1_3gpuE8ELNS1_3repE0EEENS1_30default_config_static_selectorELNS0_4arch9wavefront6targetE0EEEvT1_ ; -- Begin function _ZN7rocprim17ROCPRIM_400000_NS6detail17trampoline_kernelINS0_14default_configENS1_25partition_config_selectorILNS1_17partition_subalgoE6EfNS0_10empty_typeEbEEZZNS1_14partition_implILS5_6ELb0ES3_mN6thrust23THRUST_200600_302600_NS6detail15normal_iteratorINSA_10device_ptrIfEEEEPS6_SG_NS0_5tupleIJSF_S6_EEENSH_IJSG_SG_EEES6_PlJNSB_9not_fun_tINSB_10functional5actorINSM_9compositeIJNSM_27transparent_binary_operatorINSA_8equal_toIvEEEENSN_INSM_8argumentILj0EEEEENSM_5valueIfEEEEEEEEEEEE10hipError_tPvRmT3_T4_T5_T6_T7_T9_mT8_P12ihipStream_tbDpT10_ENKUlT_T0_E_clISt17integral_constantIbLb1EES1K_EEDaS1F_S1G_EUlS1F_E_NS1_11comp_targetILNS1_3genE4ELNS1_11target_archE910ELNS1_3gpuE8ELNS1_3repE0EEENS1_30default_config_static_selectorELNS0_4arch9wavefront6targetE0EEEvT1_
	.globl	_ZN7rocprim17ROCPRIM_400000_NS6detail17trampoline_kernelINS0_14default_configENS1_25partition_config_selectorILNS1_17partition_subalgoE6EfNS0_10empty_typeEbEEZZNS1_14partition_implILS5_6ELb0ES3_mN6thrust23THRUST_200600_302600_NS6detail15normal_iteratorINSA_10device_ptrIfEEEEPS6_SG_NS0_5tupleIJSF_S6_EEENSH_IJSG_SG_EEES6_PlJNSB_9not_fun_tINSB_10functional5actorINSM_9compositeIJNSM_27transparent_binary_operatorINSA_8equal_toIvEEEENSN_INSM_8argumentILj0EEEEENSM_5valueIfEEEEEEEEEEEE10hipError_tPvRmT3_T4_T5_T6_T7_T9_mT8_P12ihipStream_tbDpT10_ENKUlT_T0_E_clISt17integral_constantIbLb1EES1K_EEDaS1F_S1G_EUlS1F_E_NS1_11comp_targetILNS1_3genE4ELNS1_11target_archE910ELNS1_3gpuE8ELNS1_3repE0EEENS1_30default_config_static_selectorELNS0_4arch9wavefront6targetE0EEEvT1_
	.p2align	8
	.type	_ZN7rocprim17ROCPRIM_400000_NS6detail17trampoline_kernelINS0_14default_configENS1_25partition_config_selectorILNS1_17partition_subalgoE6EfNS0_10empty_typeEbEEZZNS1_14partition_implILS5_6ELb0ES3_mN6thrust23THRUST_200600_302600_NS6detail15normal_iteratorINSA_10device_ptrIfEEEEPS6_SG_NS0_5tupleIJSF_S6_EEENSH_IJSG_SG_EEES6_PlJNSB_9not_fun_tINSB_10functional5actorINSM_9compositeIJNSM_27transparent_binary_operatorINSA_8equal_toIvEEEENSN_INSM_8argumentILj0EEEEENSM_5valueIfEEEEEEEEEEEE10hipError_tPvRmT3_T4_T5_T6_T7_T9_mT8_P12ihipStream_tbDpT10_ENKUlT_T0_E_clISt17integral_constantIbLb1EES1K_EEDaS1F_S1G_EUlS1F_E_NS1_11comp_targetILNS1_3genE4ELNS1_11target_archE910ELNS1_3gpuE8ELNS1_3repE0EEENS1_30default_config_static_selectorELNS0_4arch9wavefront6targetE0EEEvT1_,@function
_ZN7rocprim17ROCPRIM_400000_NS6detail17trampoline_kernelINS0_14default_configENS1_25partition_config_selectorILNS1_17partition_subalgoE6EfNS0_10empty_typeEbEEZZNS1_14partition_implILS5_6ELb0ES3_mN6thrust23THRUST_200600_302600_NS6detail15normal_iteratorINSA_10device_ptrIfEEEEPS6_SG_NS0_5tupleIJSF_S6_EEENSH_IJSG_SG_EEES6_PlJNSB_9not_fun_tINSB_10functional5actorINSM_9compositeIJNSM_27transparent_binary_operatorINSA_8equal_toIvEEEENSN_INSM_8argumentILj0EEEEENSM_5valueIfEEEEEEEEEEEE10hipError_tPvRmT3_T4_T5_T6_T7_T9_mT8_P12ihipStream_tbDpT10_ENKUlT_T0_E_clISt17integral_constantIbLb1EES1K_EEDaS1F_S1G_EUlS1F_E_NS1_11comp_targetILNS1_3genE4ELNS1_11target_archE910ELNS1_3gpuE8ELNS1_3repE0EEENS1_30default_config_static_selectorELNS0_4arch9wavefront6targetE0EEEvT1_: ; @_ZN7rocprim17ROCPRIM_400000_NS6detail17trampoline_kernelINS0_14default_configENS1_25partition_config_selectorILNS1_17partition_subalgoE6EfNS0_10empty_typeEbEEZZNS1_14partition_implILS5_6ELb0ES3_mN6thrust23THRUST_200600_302600_NS6detail15normal_iteratorINSA_10device_ptrIfEEEEPS6_SG_NS0_5tupleIJSF_S6_EEENSH_IJSG_SG_EEES6_PlJNSB_9not_fun_tINSB_10functional5actorINSM_9compositeIJNSM_27transparent_binary_operatorINSA_8equal_toIvEEEENSN_INSM_8argumentILj0EEEEENSM_5valueIfEEEEEEEEEEEE10hipError_tPvRmT3_T4_T5_T6_T7_T9_mT8_P12ihipStream_tbDpT10_ENKUlT_T0_E_clISt17integral_constantIbLb1EES1K_EEDaS1F_S1G_EUlS1F_E_NS1_11comp_targetILNS1_3genE4ELNS1_11target_archE910ELNS1_3gpuE8ELNS1_3repE0EEENS1_30default_config_static_selectorELNS0_4arch9wavefront6targetE0EEEvT1_
; %bb.0:
	.section	.rodata,"a",@progbits
	.p2align	6, 0x0
	.amdhsa_kernel _ZN7rocprim17ROCPRIM_400000_NS6detail17trampoline_kernelINS0_14default_configENS1_25partition_config_selectorILNS1_17partition_subalgoE6EfNS0_10empty_typeEbEEZZNS1_14partition_implILS5_6ELb0ES3_mN6thrust23THRUST_200600_302600_NS6detail15normal_iteratorINSA_10device_ptrIfEEEEPS6_SG_NS0_5tupleIJSF_S6_EEENSH_IJSG_SG_EEES6_PlJNSB_9not_fun_tINSB_10functional5actorINSM_9compositeIJNSM_27transparent_binary_operatorINSA_8equal_toIvEEEENSN_INSM_8argumentILj0EEEEENSM_5valueIfEEEEEEEEEEEE10hipError_tPvRmT3_T4_T5_T6_T7_T9_mT8_P12ihipStream_tbDpT10_ENKUlT_T0_E_clISt17integral_constantIbLb1EES1K_EEDaS1F_S1G_EUlS1F_E_NS1_11comp_targetILNS1_3genE4ELNS1_11target_archE910ELNS1_3gpuE8ELNS1_3repE0EEENS1_30default_config_static_selectorELNS0_4arch9wavefront6targetE0EEEvT1_
		.amdhsa_group_segment_fixed_size 0
		.amdhsa_private_segment_fixed_size 0
		.amdhsa_kernarg_size 128
		.amdhsa_user_sgpr_count 2
		.amdhsa_user_sgpr_dispatch_ptr 0
		.amdhsa_user_sgpr_queue_ptr 0
		.amdhsa_user_sgpr_kernarg_segment_ptr 1
		.amdhsa_user_sgpr_dispatch_id 0
		.amdhsa_user_sgpr_private_segment_size 0
		.amdhsa_wavefront_size32 1
		.amdhsa_uses_dynamic_stack 0
		.amdhsa_enable_private_segment 0
		.amdhsa_system_sgpr_workgroup_id_x 1
		.amdhsa_system_sgpr_workgroup_id_y 0
		.amdhsa_system_sgpr_workgroup_id_z 0
		.amdhsa_system_sgpr_workgroup_info 0
		.amdhsa_system_vgpr_workitem_id 0
		.amdhsa_next_free_vgpr 1
		.amdhsa_next_free_sgpr 1
		.amdhsa_reserve_vcc 0
		.amdhsa_float_round_mode_32 0
		.amdhsa_float_round_mode_16_64 0
		.amdhsa_float_denorm_mode_32 3
		.amdhsa_float_denorm_mode_16_64 3
		.amdhsa_fp16_overflow 0
		.amdhsa_workgroup_processor_mode 1
		.amdhsa_memory_ordered 1
		.amdhsa_forward_progress 1
		.amdhsa_inst_pref_size 0
		.amdhsa_round_robin_scheduling 0
		.amdhsa_exception_fp_ieee_invalid_op 0
		.amdhsa_exception_fp_denorm_src 0
		.amdhsa_exception_fp_ieee_div_zero 0
		.amdhsa_exception_fp_ieee_overflow 0
		.amdhsa_exception_fp_ieee_underflow 0
		.amdhsa_exception_fp_ieee_inexact 0
		.amdhsa_exception_int_div_zero 0
	.end_amdhsa_kernel
	.section	.text._ZN7rocprim17ROCPRIM_400000_NS6detail17trampoline_kernelINS0_14default_configENS1_25partition_config_selectorILNS1_17partition_subalgoE6EfNS0_10empty_typeEbEEZZNS1_14partition_implILS5_6ELb0ES3_mN6thrust23THRUST_200600_302600_NS6detail15normal_iteratorINSA_10device_ptrIfEEEEPS6_SG_NS0_5tupleIJSF_S6_EEENSH_IJSG_SG_EEES6_PlJNSB_9not_fun_tINSB_10functional5actorINSM_9compositeIJNSM_27transparent_binary_operatorINSA_8equal_toIvEEEENSN_INSM_8argumentILj0EEEEENSM_5valueIfEEEEEEEEEEEE10hipError_tPvRmT3_T4_T5_T6_T7_T9_mT8_P12ihipStream_tbDpT10_ENKUlT_T0_E_clISt17integral_constantIbLb1EES1K_EEDaS1F_S1G_EUlS1F_E_NS1_11comp_targetILNS1_3genE4ELNS1_11target_archE910ELNS1_3gpuE8ELNS1_3repE0EEENS1_30default_config_static_selectorELNS0_4arch9wavefront6targetE0EEEvT1_,"axG",@progbits,_ZN7rocprim17ROCPRIM_400000_NS6detail17trampoline_kernelINS0_14default_configENS1_25partition_config_selectorILNS1_17partition_subalgoE6EfNS0_10empty_typeEbEEZZNS1_14partition_implILS5_6ELb0ES3_mN6thrust23THRUST_200600_302600_NS6detail15normal_iteratorINSA_10device_ptrIfEEEEPS6_SG_NS0_5tupleIJSF_S6_EEENSH_IJSG_SG_EEES6_PlJNSB_9not_fun_tINSB_10functional5actorINSM_9compositeIJNSM_27transparent_binary_operatorINSA_8equal_toIvEEEENSN_INSM_8argumentILj0EEEEENSM_5valueIfEEEEEEEEEEEE10hipError_tPvRmT3_T4_T5_T6_T7_T9_mT8_P12ihipStream_tbDpT10_ENKUlT_T0_E_clISt17integral_constantIbLb1EES1K_EEDaS1F_S1G_EUlS1F_E_NS1_11comp_targetILNS1_3genE4ELNS1_11target_archE910ELNS1_3gpuE8ELNS1_3repE0EEENS1_30default_config_static_selectorELNS0_4arch9wavefront6targetE0EEEvT1_,comdat
.Lfunc_end57:
	.size	_ZN7rocprim17ROCPRIM_400000_NS6detail17trampoline_kernelINS0_14default_configENS1_25partition_config_selectorILNS1_17partition_subalgoE6EfNS0_10empty_typeEbEEZZNS1_14partition_implILS5_6ELb0ES3_mN6thrust23THRUST_200600_302600_NS6detail15normal_iteratorINSA_10device_ptrIfEEEEPS6_SG_NS0_5tupleIJSF_S6_EEENSH_IJSG_SG_EEES6_PlJNSB_9not_fun_tINSB_10functional5actorINSM_9compositeIJNSM_27transparent_binary_operatorINSA_8equal_toIvEEEENSN_INSM_8argumentILj0EEEEENSM_5valueIfEEEEEEEEEEEE10hipError_tPvRmT3_T4_T5_T6_T7_T9_mT8_P12ihipStream_tbDpT10_ENKUlT_T0_E_clISt17integral_constantIbLb1EES1K_EEDaS1F_S1G_EUlS1F_E_NS1_11comp_targetILNS1_3genE4ELNS1_11target_archE910ELNS1_3gpuE8ELNS1_3repE0EEENS1_30default_config_static_selectorELNS0_4arch9wavefront6targetE0EEEvT1_, .Lfunc_end57-_ZN7rocprim17ROCPRIM_400000_NS6detail17trampoline_kernelINS0_14default_configENS1_25partition_config_selectorILNS1_17partition_subalgoE6EfNS0_10empty_typeEbEEZZNS1_14partition_implILS5_6ELb0ES3_mN6thrust23THRUST_200600_302600_NS6detail15normal_iteratorINSA_10device_ptrIfEEEEPS6_SG_NS0_5tupleIJSF_S6_EEENSH_IJSG_SG_EEES6_PlJNSB_9not_fun_tINSB_10functional5actorINSM_9compositeIJNSM_27transparent_binary_operatorINSA_8equal_toIvEEEENSN_INSM_8argumentILj0EEEEENSM_5valueIfEEEEEEEEEEEE10hipError_tPvRmT3_T4_T5_T6_T7_T9_mT8_P12ihipStream_tbDpT10_ENKUlT_T0_E_clISt17integral_constantIbLb1EES1K_EEDaS1F_S1G_EUlS1F_E_NS1_11comp_targetILNS1_3genE4ELNS1_11target_archE910ELNS1_3gpuE8ELNS1_3repE0EEENS1_30default_config_static_selectorELNS0_4arch9wavefront6targetE0EEEvT1_
                                        ; -- End function
	.set _ZN7rocprim17ROCPRIM_400000_NS6detail17trampoline_kernelINS0_14default_configENS1_25partition_config_selectorILNS1_17partition_subalgoE6EfNS0_10empty_typeEbEEZZNS1_14partition_implILS5_6ELb0ES3_mN6thrust23THRUST_200600_302600_NS6detail15normal_iteratorINSA_10device_ptrIfEEEEPS6_SG_NS0_5tupleIJSF_S6_EEENSH_IJSG_SG_EEES6_PlJNSB_9not_fun_tINSB_10functional5actorINSM_9compositeIJNSM_27transparent_binary_operatorINSA_8equal_toIvEEEENSN_INSM_8argumentILj0EEEEENSM_5valueIfEEEEEEEEEEEE10hipError_tPvRmT3_T4_T5_T6_T7_T9_mT8_P12ihipStream_tbDpT10_ENKUlT_T0_E_clISt17integral_constantIbLb1EES1K_EEDaS1F_S1G_EUlS1F_E_NS1_11comp_targetILNS1_3genE4ELNS1_11target_archE910ELNS1_3gpuE8ELNS1_3repE0EEENS1_30default_config_static_selectorELNS0_4arch9wavefront6targetE0EEEvT1_.num_vgpr, 0
	.set _ZN7rocprim17ROCPRIM_400000_NS6detail17trampoline_kernelINS0_14default_configENS1_25partition_config_selectorILNS1_17partition_subalgoE6EfNS0_10empty_typeEbEEZZNS1_14partition_implILS5_6ELb0ES3_mN6thrust23THRUST_200600_302600_NS6detail15normal_iteratorINSA_10device_ptrIfEEEEPS6_SG_NS0_5tupleIJSF_S6_EEENSH_IJSG_SG_EEES6_PlJNSB_9not_fun_tINSB_10functional5actorINSM_9compositeIJNSM_27transparent_binary_operatorINSA_8equal_toIvEEEENSN_INSM_8argumentILj0EEEEENSM_5valueIfEEEEEEEEEEEE10hipError_tPvRmT3_T4_T5_T6_T7_T9_mT8_P12ihipStream_tbDpT10_ENKUlT_T0_E_clISt17integral_constantIbLb1EES1K_EEDaS1F_S1G_EUlS1F_E_NS1_11comp_targetILNS1_3genE4ELNS1_11target_archE910ELNS1_3gpuE8ELNS1_3repE0EEENS1_30default_config_static_selectorELNS0_4arch9wavefront6targetE0EEEvT1_.num_agpr, 0
	.set _ZN7rocprim17ROCPRIM_400000_NS6detail17trampoline_kernelINS0_14default_configENS1_25partition_config_selectorILNS1_17partition_subalgoE6EfNS0_10empty_typeEbEEZZNS1_14partition_implILS5_6ELb0ES3_mN6thrust23THRUST_200600_302600_NS6detail15normal_iteratorINSA_10device_ptrIfEEEEPS6_SG_NS0_5tupleIJSF_S6_EEENSH_IJSG_SG_EEES6_PlJNSB_9not_fun_tINSB_10functional5actorINSM_9compositeIJNSM_27transparent_binary_operatorINSA_8equal_toIvEEEENSN_INSM_8argumentILj0EEEEENSM_5valueIfEEEEEEEEEEEE10hipError_tPvRmT3_T4_T5_T6_T7_T9_mT8_P12ihipStream_tbDpT10_ENKUlT_T0_E_clISt17integral_constantIbLb1EES1K_EEDaS1F_S1G_EUlS1F_E_NS1_11comp_targetILNS1_3genE4ELNS1_11target_archE910ELNS1_3gpuE8ELNS1_3repE0EEENS1_30default_config_static_selectorELNS0_4arch9wavefront6targetE0EEEvT1_.numbered_sgpr, 0
	.set _ZN7rocprim17ROCPRIM_400000_NS6detail17trampoline_kernelINS0_14default_configENS1_25partition_config_selectorILNS1_17partition_subalgoE6EfNS0_10empty_typeEbEEZZNS1_14partition_implILS5_6ELb0ES3_mN6thrust23THRUST_200600_302600_NS6detail15normal_iteratorINSA_10device_ptrIfEEEEPS6_SG_NS0_5tupleIJSF_S6_EEENSH_IJSG_SG_EEES6_PlJNSB_9not_fun_tINSB_10functional5actorINSM_9compositeIJNSM_27transparent_binary_operatorINSA_8equal_toIvEEEENSN_INSM_8argumentILj0EEEEENSM_5valueIfEEEEEEEEEEEE10hipError_tPvRmT3_T4_T5_T6_T7_T9_mT8_P12ihipStream_tbDpT10_ENKUlT_T0_E_clISt17integral_constantIbLb1EES1K_EEDaS1F_S1G_EUlS1F_E_NS1_11comp_targetILNS1_3genE4ELNS1_11target_archE910ELNS1_3gpuE8ELNS1_3repE0EEENS1_30default_config_static_selectorELNS0_4arch9wavefront6targetE0EEEvT1_.num_named_barrier, 0
	.set _ZN7rocprim17ROCPRIM_400000_NS6detail17trampoline_kernelINS0_14default_configENS1_25partition_config_selectorILNS1_17partition_subalgoE6EfNS0_10empty_typeEbEEZZNS1_14partition_implILS5_6ELb0ES3_mN6thrust23THRUST_200600_302600_NS6detail15normal_iteratorINSA_10device_ptrIfEEEEPS6_SG_NS0_5tupleIJSF_S6_EEENSH_IJSG_SG_EEES6_PlJNSB_9not_fun_tINSB_10functional5actorINSM_9compositeIJNSM_27transparent_binary_operatorINSA_8equal_toIvEEEENSN_INSM_8argumentILj0EEEEENSM_5valueIfEEEEEEEEEEEE10hipError_tPvRmT3_T4_T5_T6_T7_T9_mT8_P12ihipStream_tbDpT10_ENKUlT_T0_E_clISt17integral_constantIbLb1EES1K_EEDaS1F_S1G_EUlS1F_E_NS1_11comp_targetILNS1_3genE4ELNS1_11target_archE910ELNS1_3gpuE8ELNS1_3repE0EEENS1_30default_config_static_selectorELNS0_4arch9wavefront6targetE0EEEvT1_.private_seg_size, 0
	.set _ZN7rocprim17ROCPRIM_400000_NS6detail17trampoline_kernelINS0_14default_configENS1_25partition_config_selectorILNS1_17partition_subalgoE6EfNS0_10empty_typeEbEEZZNS1_14partition_implILS5_6ELb0ES3_mN6thrust23THRUST_200600_302600_NS6detail15normal_iteratorINSA_10device_ptrIfEEEEPS6_SG_NS0_5tupleIJSF_S6_EEENSH_IJSG_SG_EEES6_PlJNSB_9not_fun_tINSB_10functional5actorINSM_9compositeIJNSM_27transparent_binary_operatorINSA_8equal_toIvEEEENSN_INSM_8argumentILj0EEEEENSM_5valueIfEEEEEEEEEEEE10hipError_tPvRmT3_T4_T5_T6_T7_T9_mT8_P12ihipStream_tbDpT10_ENKUlT_T0_E_clISt17integral_constantIbLb1EES1K_EEDaS1F_S1G_EUlS1F_E_NS1_11comp_targetILNS1_3genE4ELNS1_11target_archE910ELNS1_3gpuE8ELNS1_3repE0EEENS1_30default_config_static_selectorELNS0_4arch9wavefront6targetE0EEEvT1_.uses_vcc, 0
	.set _ZN7rocprim17ROCPRIM_400000_NS6detail17trampoline_kernelINS0_14default_configENS1_25partition_config_selectorILNS1_17partition_subalgoE6EfNS0_10empty_typeEbEEZZNS1_14partition_implILS5_6ELb0ES3_mN6thrust23THRUST_200600_302600_NS6detail15normal_iteratorINSA_10device_ptrIfEEEEPS6_SG_NS0_5tupleIJSF_S6_EEENSH_IJSG_SG_EEES6_PlJNSB_9not_fun_tINSB_10functional5actorINSM_9compositeIJNSM_27transparent_binary_operatorINSA_8equal_toIvEEEENSN_INSM_8argumentILj0EEEEENSM_5valueIfEEEEEEEEEEEE10hipError_tPvRmT3_T4_T5_T6_T7_T9_mT8_P12ihipStream_tbDpT10_ENKUlT_T0_E_clISt17integral_constantIbLb1EES1K_EEDaS1F_S1G_EUlS1F_E_NS1_11comp_targetILNS1_3genE4ELNS1_11target_archE910ELNS1_3gpuE8ELNS1_3repE0EEENS1_30default_config_static_selectorELNS0_4arch9wavefront6targetE0EEEvT1_.uses_flat_scratch, 0
	.set _ZN7rocprim17ROCPRIM_400000_NS6detail17trampoline_kernelINS0_14default_configENS1_25partition_config_selectorILNS1_17partition_subalgoE6EfNS0_10empty_typeEbEEZZNS1_14partition_implILS5_6ELb0ES3_mN6thrust23THRUST_200600_302600_NS6detail15normal_iteratorINSA_10device_ptrIfEEEEPS6_SG_NS0_5tupleIJSF_S6_EEENSH_IJSG_SG_EEES6_PlJNSB_9not_fun_tINSB_10functional5actorINSM_9compositeIJNSM_27transparent_binary_operatorINSA_8equal_toIvEEEENSN_INSM_8argumentILj0EEEEENSM_5valueIfEEEEEEEEEEEE10hipError_tPvRmT3_T4_T5_T6_T7_T9_mT8_P12ihipStream_tbDpT10_ENKUlT_T0_E_clISt17integral_constantIbLb1EES1K_EEDaS1F_S1G_EUlS1F_E_NS1_11comp_targetILNS1_3genE4ELNS1_11target_archE910ELNS1_3gpuE8ELNS1_3repE0EEENS1_30default_config_static_selectorELNS0_4arch9wavefront6targetE0EEEvT1_.has_dyn_sized_stack, 0
	.set _ZN7rocprim17ROCPRIM_400000_NS6detail17trampoline_kernelINS0_14default_configENS1_25partition_config_selectorILNS1_17partition_subalgoE6EfNS0_10empty_typeEbEEZZNS1_14partition_implILS5_6ELb0ES3_mN6thrust23THRUST_200600_302600_NS6detail15normal_iteratorINSA_10device_ptrIfEEEEPS6_SG_NS0_5tupleIJSF_S6_EEENSH_IJSG_SG_EEES6_PlJNSB_9not_fun_tINSB_10functional5actorINSM_9compositeIJNSM_27transparent_binary_operatorINSA_8equal_toIvEEEENSN_INSM_8argumentILj0EEEEENSM_5valueIfEEEEEEEEEEEE10hipError_tPvRmT3_T4_T5_T6_T7_T9_mT8_P12ihipStream_tbDpT10_ENKUlT_T0_E_clISt17integral_constantIbLb1EES1K_EEDaS1F_S1G_EUlS1F_E_NS1_11comp_targetILNS1_3genE4ELNS1_11target_archE910ELNS1_3gpuE8ELNS1_3repE0EEENS1_30default_config_static_selectorELNS0_4arch9wavefront6targetE0EEEvT1_.has_recursion, 0
	.set _ZN7rocprim17ROCPRIM_400000_NS6detail17trampoline_kernelINS0_14default_configENS1_25partition_config_selectorILNS1_17partition_subalgoE6EfNS0_10empty_typeEbEEZZNS1_14partition_implILS5_6ELb0ES3_mN6thrust23THRUST_200600_302600_NS6detail15normal_iteratorINSA_10device_ptrIfEEEEPS6_SG_NS0_5tupleIJSF_S6_EEENSH_IJSG_SG_EEES6_PlJNSB_9not_fun_tINSB_10functional5actorINSM_9compositeIJNSM_27transparent_binary_operatorINSA_8equal_toIvEEEENSN_INSM_8argumentILj0EEEEENSM_5valueIfEEEEEEEEEEEE10hipError_tPvRmT3_T4_T5_T6_T7_T9_mT8_P12ihipStream_tbDpT10_ENKUlT_T0_E_clISt17integral_constantIbLb1EES1K_EEDaS1F_S1G_EUlS1F_E_NS1_11comp_targetILNS1_3genE4ELNS1_11target_archE910ELNS1_3gpuE8ELNS1_3repE0EEENS1_30default_config_static_selectorELNS0_4arch9wavefront6targetE0EEEvT1_.has_indirect_call, 0
	.section	.AMDGPU.csdata,"",@progbits
; Kernel info:
; codeLenInByte = 0
; TotalNumSgprs: 0
; NumVgprs: 0
; ScratchSize: 0
; MemoryBound: 0
; FloatMode: 240
; IeeeMode: 1
; LDSByteSize: 0 bytes/workgroup (compile time only)
; SGPRBlocks: 0
; VGPRBlocks: 0
; NumSGPRsForWavesPerEU: 1
; NumVGPRsForWavesPerEU: 1
; Occupancy: 16
; WaveLimiterHint : 0
; COMPUTE_PGM_RSRC2:SCRATCH_EN: 0
; COMPUTE_PGM_RSRC2:USER_SGPR: 2
; COMPUTE_PGM_RSRC2:TRAP_HANDLER: 0
; COMPUTE_PGM_RSRC2:TGID_X_EN: 1
; COMPUTE_PGM_RSRC2:TGID_Y_EN: 0
; COMPUTE_PGM_RSRC2:TGID_Z_EN: 0
; COMPUTE_PGM_RSRC2:TIDIG_COMP_CNT: 0
	.section	.text._ZN7rocprim17ROCPRIM_400000_NS6detail17trampoline_kernelINS0_14default_configENS1_25partition_config_selectorILNS1_17partition_subalgoE6EfNS0_10empty_typeEbEEZZNS1_14partition_implILS5_6ELb0ES3_mN6thrust23THRUST_200600_302600_NS6detail15normal_iteratorINSA_10device_ptrIfEEEEPS6_SG_NS0_5tupleIJSF_S6_EEENSH_IJSG_SG_EEES6_PlJNSB_9not_fun_tINSB_10functional5actorINSM_9compositeIJNSM_27transparent_binary_operatorINSA_8equal_toIvEEEENSN_INSM_8argumentILj0EEEEENSM_5valueIfEEEEEEEEEEEE10hipError_tPvRmT3_T4_T5_T6_T7_T9_mT8_P12ihipStream_tbDpT10_ENKUlT_T0_E_clISt17integral_constantIbLb1EES1K_EEDaS1F_S1G_EUlS1F_E_NS1_11comp_targetILNS1_3genE3ELNS1_11target_archE908ELNS1_3gpuE7ELNS1_3repE0EEENS1_30default_config_static_selectorELNS0_4arch9wavefront6targetE0EEEvT1_,"axG",@progbits,_ZN7rocprim17ROCPRIM_400000_NS6detail17trampoline_kernelINS0_14default_configENS1_25partition_config_selectorILNS1_17partition_subalgoE6EfNS0_10empty_typeEbEEZZNS1_14partition_implILS5_6ELb0ES3_mN6thrust23THRUST_200600_302600_NS6detail15normal_iteratorINSA_10device_ptrIfEEEEPS6_SG_NS0_5tupleIJSF_S6_EEENSH_IJSG_SG_EEES6_PlJNSB_9not_fun_tINSB_10functional5actorINSM_9compositeIJNSM_27transparent_binary_operatorINSA_8equal_toIvEEEENSN_INSM_8argumentILj0EEEEENSM_5valueIfEEEEEEEEEEEE10hipError_tPvRmT3_T4_T5_T6_T7_T9_mT8_P12ihipStream_tbDpT10_ENKUlT_T0_E_clISt17integral_constantIbLb1EES1K_EEDaS1F_S1G_EUlS1F_E_NS1_11comp_targetILNS1_3genE3ELNS1_11target_archE908ELNS1_3gpuE7ELNS1_3repE0EEENS1_30default_config_static_selectorELNS0_4arch9wavefront6targetE0EEEvT1_,comdat
	.protected	_ZN7rocprim17ROCPRIM_400000_NS6detail17trampoline_kernelINS0_14default_configENS1_25partition_config_selectorILNS1_17partition_subalgoE6EfNS0_10empty_typeEbEEZZNS1_14partition_implILS5_6ELb0ES3_mN6thrust23THRUST_200600_302600_NS6detail15normal_iteratorINSA_10device_ptrIfEEEEPS6_SG_NS0_5tupleIJSF_S6_EEENSH_IJSG_SG_EEES6_PlJNSB_9not_fun_tINSB_10functional5actorINSM_9compositeIJNSM_27transparent_binary_operatorINSA_8equal_toIvEEEENSN_INSM_8argumentILj0EEEEENSM_5valueIfEEEEEEEEEEEE10hipError_tPvRmT3_T4_T5_T6_T7_T9_mT8_P12ihipStream_tbDpT10_ENKUlT_T0_E_clISt17integral_constantIbLb1EES1K_EEDaS1F_S1G_EUlS1F_E_NS1_11comp_targetILNS1_3genE3ELNS1_11target_archE908ELNS1_3gpuE7ELNS1_3repE0EEENS1_30default_config_static_selectorELNS0_4arch9wavefront6targetE0EEEvT1_ ; -- Begin function _ZN7rocprim17ROCPRIM_400000_NS6detail17trampoline_kernelINS0_14default_configENS1_25partition_config_selectorILNS1_17partition_subalgoE6EfNS0_10empty_typeEbEEZZNS1_14partition_implILS5_6ELb0ES3_mN6thrust23THRUST_200600_302600_NS6detail15normal_iteratorINSA_10device_ptrIfEEEEPS6_SG_NS0_5tupleIJSF_S6_EEENSH_IJSG_SG_EEES6_PlJNSB_9not_fun_tINSB_10functional5actorINSM_9compositeIJNSM_27transparent_binary_operatorINSA_8equal_toIvEEEENSN_INSM_8argumentILj0EEEEENSM_5valueIfEEEEEEEEEEEE10hipError_tPvRmT3_T4_T5_T6_T7_T9_mT8_P12ihipStream_tbDpT10_ENKUlT_T0_E_clISt17integral_constantIbLb1EES1K_EEDaS1F_S1G_EUlS1F_E_NS1_11comp_targetILNS1_3genE3ELNS1_11target_archE908ELNS1_3gpuE7ELNS1_3repE0EEENS1_30default_config_static_selectorELNS0_4arch9wavefront6targetE0EEEvT1_
	.globl	_ZN7rocprim17ROCPRIM_400000_NS6detail17trampoline_kernelINS0_14default_configENS1_25partition_config_selectorILNS1_17partition_subalgoE6EfNS0_10empty_typeEbEEZZNS1_14partition_implILS5_6ELb0ES3_mN6thrust23THRUST_200600_302600_NS6detail15normal_iteratorINSA_10device_ptrIfEEEEPS6_SG_NS0_5tupleIJSF_S6_EEENSH_IJSG_SG_EEES6_PlJNSB_9not_fun_tINSB_10functional5actorINSM_9compositeIJNSM_27transparent_binary_operatorINSA_8equal_toIvEEEENSN_INSM_8argumentILj0EEEEENSM_5valueIfEEEEEEEEEEEE10hipError_tPvRmT3_T4_T5_T6_T7_T9_mT8_P12ihipStream_tbDpT10_ENKUlT_T0_E_clISt17integral_constantIbLb1EES1K_EEDaS1F_S1G_EUlS1F_E_NS1_11comp_targetILNS1_3genE3ELNS1_11target_archE908ELNS1_3gpuE7ELNS1_3repE0EEENS1_30default_config_static_selectorELNS0_4arch9wavefront6targetE0EEEvT1_
	.p2align	8
	.type	_ZN7rocprim17ROCPRIM_400000_NS6detail17trampoline_kernelINS0_14default_configENS1_25partition_config_selectorILNS1_17partition_subalgoE6EfNS0_10empty_typeEbEEZZNS1_14partition_implILS5_6ELb0ES3_mN6thrust23THRUST_200600_302600_NS6detail15normal_iteratorINSA_10device_ptrIfEEEEPS6_SG_NS0_5tupleIJSF_S6_EEENSH_IJSG_SG_EEES6_PlJNSB_9not_fun_tINSB_10functional5actorINSM_9compositeIJNSM_27transparent_binary_operatorINSA_8equal_toIvEEEENSN_INSM_8argumentILj0EEEEENSM_5valueIfEEEEEEEEEEEE10hipError_tPvRmT3_T4_T5_T6_T7_T9_mT8_P12ihipStream_tbDpT10_ENKUlT_T0_E_clISt17integral_constantIbLb1EES1K_EEDaS1F_S1G_EUlS1F_E_NS1_11comp_targetILNS1_3genE3ELNS1_11target_archE908ELNS1_3gpuE7ELNS1_3repE0EEENS1_30default_config_static_selectorELNS0_4arch9wavefront6targetE0EEEvT1_,@function
_ZN7rocprim17ROCPRIM_400000_NS6detail17trampoline_kernelINS0_14default_configENS1_25partition_config_selectorILNS1_17partition_subalgoE6EfNS0_10empty_typeEbEEZZNS1_14partition_implILS5_6ELb0ES3_mN6thrust23THRUST_200600_302600_NS6detail15normal_iteratorINSA_10device_ptrIfEEEEPS6_SG_NS0_5tupleIJSF_S6_EEENSH_IJSG_SG_EEES6_PlJNSB_9not_fun_tINSB_10functional5actorINSM_9compositeIJNSM_27transparent_binary_operatorINSA_8equal_toIvEEEENSN_INSM_8argumentILj0EEEEENSM_5valueIfEEEEEEEEEEEE10hipError_tPvRmT3_T4_T5_T6_T7_T9_mT8_P12ihipStream_tbDpT10_ENKUlT_T0_E_clISt17integral_constantIbLb1EES1K_EEDaS1F_S1G_EUlS1F_E_NS1_11comp_targetILNS1_3genE3ELNS1_11target_archE908ELNS1_3gpuE7ELNS1_3repE0EEENS1_30default_config_static_selectorELNS0_4arch9wavefront6targetE0EEEvT1_: ; @_ZN7rocprim17ROCPRIM_400000_NS6detail17trampoline_kernelINS0_14default_configENS1_25partition_config_selectorILNS1_17partition_subalgoE6EfNS0_10empty_typeEbEEZZNS1_14partition_implILS5_6ELb0ES3_mN6thrust23THRUST_200600_302600_NS6detail15normal_iteratorINSA_10device_ptrIfEEEEPS6_SG_NS0_5tupleIJSF_S6_EEENSH_IJSG_SG_EEES6_PlJNSB_9not_fun_tINSB_10functional5actorINSM_9compositeIJNSM_27transparent_binary_operatorINSA_8equal_toIvEEEENSN_INSM_8argumentILj0EEEEENSM_5valueIfEEEEEEEEEEEE10hipError_tPvRmT3_T4_T5_T6_T7_T9_mT8_P12ihipStream_tbDpT10_ENKUlT_T0_E_clISt17integral_constantIbLb1EES1K_EEDaS1F_S1G_EUlS1F_E_NS1_11comp_targetILNS1_3genE3ELNS1_11target_archE908ELNS1_3gpuE7ELNS1_3repE0EEENS1_30default_config_static_selectorELNS0_4arch9wavefront6targetE0EEEvT1_
; %bb.0:
	.section	.rodata,"a",@progbits
	.p2align	6, 0x0
	.amdhsa_kernel _ZN7rocprim17ROCPRIM_400000_NS6detail17trampoline_kernelINS0_14default_configENS1_25partition_config_selectorILNS1_17partition_subalgoE6EfNS0_10empty_typeEbEEZZNS1_14partition_implILS5_6ELb0ES3_mN6thrust23THRUST_200600_302600_NS6detail15normal_iteratorINSA_10device_ptrIfEEEEPS6_SG_NS0_5tupleIJSF_S6_EEENSH_IJSG_SG_EEES6_PlJNSB_9not_fun_tINSB_10functional5actorINSM_9compositeIJNSM_27transparent_binary_operatorINSA_8equal_toIvEEEENSN_INSM_8argumentILj0EEEEENSM_5valueIfEEEEEEEEEEEE10hipError_tPvRmT3_T4_T5_T6_T7_T9_mT8_P12ihipStream_tbDpT10_ENKUlT_T0_E_clISt17integral_constantIbLb1EES1K_EEDaS1F_S1G_EUlS1F_E_NS1_11comp_targetILNS1_3genE3ELNS1_11target_archE908ELNS1_3gpuE7ELNS1_3repE0EEENS1_30default_config_static_selectorELNS0_4arch9wavefront6targetE0EEEvT1_
		.amdhsa_group_segment_fixed_size 0
		.amdhsa_private_segment_fixed_size 0
		.amdhsa_kernarg_size 128
		.amdhsa_user_sgpr_count 2
		.amdhsa_user_sgpr_dispatch_ptr 0
		.amdhsa_user_sgpr_queue_ptr 0
		.amdhsa_user_sgpr_kernarg_segment_ptr 1
		.amdhsa_user_sgpr_dispatch_id 0
		.amdhsa_user_sgpr_private_segment_size 0
		.amdhsa_wavefront_size32 1
		.amdhsa_uses_dynamic_stack 0
		.amdhsa_enable_private_segment 0
		.amdhsa_system_sgpr_workgroup_id_x 1
		.amdhsa_system_sgpr_workgroup_id_y 0
		.amdhsa_system_sgpr_workgroup_id_z 0
		.amdhsa_system_sgpr_workgroup_info 0
		.amdhsa_system_vgpr_workitem_id 0
		.amdhsa_next_free_vgpr 1
		.amdhsa_next_free_sgpr 1
		.amdhsa_reserve_vcc 0
		.amdhsa_float_round_mode_32 0
		.amdhsa_float_round_mode_16_64 0
		.amdhsa_float_denorm_mode_32 3
		.amdhsa_float_denorm_mode_16_64 3
		.amdhsa_fp16_overflow 0
		.amdhsa_workgroup_processor_mode 1
		.amdhsa_memory_ordered 1
		.amdhsa_forward_progress 1
		.amdhsa_inst_pref_size 0
		.amdhsa_round_robin_scheduling 0
		.amdhsa_exception_fp_ieee_invalid_op 0
		.amdhsa_exception_fp_denorm_src 0
		.amdhsa_exception_fp_ieee_div_zero 0
		.amdhsa_exception_fp_ieee_overflow 0
		.amdhsa_exception_fp_ieee_underflow 0
		.amdhsa_exception_fp_ieee_inexact 0
		.amdhsa_exception_int_div_zero 0
	.end_amdhsa_kernel
	.section	.text._ZN7rocprim17ROCPRIM_400000_NS6detail17trampoline_kernelINS0_14default_configENS1_25partition_config_selectorILNS1_17partition_subalgoE6EfNS0_10empty_typeEbEEZZNS1_14partition_implILS5_6ELb0ES3_mN6thrust23THRUST_200600_302600_NS6detail15normal_iteratorINSA_10device_ptrIfEEEEPS6_SG_NS0_5tupleIJSF_S6_EEENSH_IJSG_SG_EEES6_PlJNSB_9not_fun_tINSB_10functional5actorINSM_9compositeIJNSM_27transparent_binary_operatorINSA_8equal_toIvEEEENSN_INSM_8argumentILj0EEEEENSM_5valueIfEEEEEEEEEEEE10hipError_tPvRmT3_T4_T5_T6_T7_T9_mT8_P12ihipStream_tbDpT10_ENKUlT_T0_E_clISt17integral_constantIbLb1EES1K_EEDaS1F_S1G_EUlS1F_E_NS1_11comp_targetILNS1_3genE3ELNS1_11target_archE908ELNS1_3gpuE7ELNS1_3repE0EEENS1_30default_config_static_selectorELNS0_4arch9wavefront6targetE0EEEvT1_,"axG",@progbits,_ZN7rocprim17ROCPRIM_400000_NS6detail17trampoline_kernelINS0_14default_configENS1_25partition_config_selectorILNS1_17partition_subalgoE6EfNS0_10empty_typeEbEEZZNS1_14partition_implILS5_6ELb0ES3_mN6thrust23THRUST_200600_302600_NS6detail15normal_iteratorINSA_10device_ptrIfEEEEPS6_SG_NS0_5tupleIJSF_S6_EEENSH_IJSG_SG_EEES6_PlJNSB_9not_fun_tINSB_10functional5actorINSM_9compositeIJNSM_27transparent_binary_operatorINSA_8equal_toIvEEEENSN_INSM_8argumentILj0EEEEENSM_5valueIfEEEEEEEEEEEE10hipError_tPvRmT3_T4_T5_T6_T7_T9_mT8_P12ihipStream_tbDpT10_ENKUlT_T0_E_clISt17integral_constantIbLb1EES1K_EEDaS1F_S1G_EUlS1F_E_NS1_11comp_targetILNS1_3genE3ELNS1_11target_archE908ELNS1_3gpuE7ELNS1_3repE0EEENS1_30default_config_static_selectorELNS0_4arch9wavefront6targetE0EEEvT1_,comdat
.Lfunc_end58:
	.size	_ZN7rocprim17ROCPRIM_400000_NS6detail17trampoline_kernelINS0_14default_configENS1_25partition_config_selectorILNS1_17partition_subalgoE6EfNS0_10empty_typeEbEEZZNS1_14partition_implILS5_6ELb0ES3_mN6thrust23THRUST_200600_302600_NS6detail15normal_iteratorINSA_10device_ptrIfEEEEPS6_SG_NS0_5tupleIJSF_S6_EEENSH_IJSG_SG_EEES6_PlJNSB_9not_fun_tINSB_10functional5actorINSM_9compositeIJNSM_27transparent_binary_operatorINSA_8equal_toIvEEEENSN_INSM_8argumentILj0EEEEENSM_5valueIfEEEEEEEEEEEE10hipError_tPvRmT3_T4_T5_T6_T7_T9_mT8_P12ihipStream_tbDpT10_ENKUlT_T0_E_clISt17integral_constantIbLb1EES1K_EEDaS1F_S1G_EUlS1F_E_NS1_11comp_targetILNS1_3genE3ELNS1_11target_archE908ELNS1_3gpuE7ELNS1_3repE0EEENS1_30default_config_static_selectorELNS0_4arch9wavefront6targetE0EEEvT1_, .Lfunc_end58-_ZN7rocprim17ROCPRIM_400000_NS6detail17trampoline_kernelINS0_14default_configENS1_25partition_config_selectorILNS1_17partition_subalgoE6EfNS0_10empty_typeEbEEZZNS1_14partition_implILS5_6ELb0ES3_mN6thrust23THRUST_200600_302600_NS6detail15normal_iteratorINSA_10device_ptrIfEEEEPS6_SG_NS0_5tupleIJSF_S6_EEENSH_IJSG_SG_EEES6_PlJNSB_9not_fun_tINSB_10functional5actorINSM_9compositeIJNSM_27transparent_binary_operatorINSA_8equal_toIvEEEENSN_INSM_8argumentILj0EEEEENSM_5valueIfEEEEEEEEEEEE10hipError_tPvRmT3_T4_T5_T6_T7_T9_mT8_P12ihipStream_tbDpT10_ENKUlT_T0_E_clISt17integral_constantIbLb1EES1K_EEDaS1F_S1G_EUlS1F_E_NS1_11comp_targetILNS1_3genE3ELNS1_11target_archE908ELNS1_3gpuE7ELNS1_3repE0EEENS1_30default_config_static_selectorELNS0_4arch9wavefront6targetE0EEEvT1_
                                        ; -- End function
	.set _ZN7rocprim17ROCPRIM_400000_NS6detail17trampoline_kernelINS0_14default_configENS1_25partition_config_selectorILNS1_17partition_subalgoE6EfNS0_10empty_typeEbEEZZNS1_14partition_implILS5_6ELb0ES3_mN6thrust23THRUST_200600_302600_NS6detail15normal_iteratorINSA_10device_ptrIfEEEEPS6_SG_NS0_5tupleIJSF_S6_EEENSH_IJSG_SG_EEES6_PlJNSB_9not_fun_tINSB_10functional5actorINSM_9compositeIJNSM_27transparent_binary_operatorINSA_8equal_toIvEEEENSN_INSM_8argumentILj0EEEEENSM_5valueIfEEEEEEEEEEEE10hipError_tPvRmT3_T4_T5_T6_T7_T9_mT8_P12ihipStream_tbDpT10_ENKUlT_T0_E_clISt17integral_constantIbLb1EES1K_EEDaS1F_S1G_EUlS1F_E_NS1_11comp_targetILNS1_3genE3ELNS1_11target_archE908ELNS1_3gpuE7ELNS1_3repE0EEENS1_30default_config_static_selectorELNS0_4arch9wavefront6targetE0EEEvT1_.num_vgpr, 0
	.set _ZN7rocprim17ROCPRIM_400000_NS6detail17trampoline_kernelINS0_14default_configENS1_25partition_config_selectorILNS1_17partition_subalgoE6EfNS0_10empty_typeEbEEZZNS1_14partition_implILS5_6ELb0ES3_mN6thrust23THRUST_200600_302600_NS6detail15normal_iteratorINSA_10device_ptrIfEEEEPS6_SG_NS0_5tupleIJSF_S6_EEENSH_IJSG_SG_EEES6_PlJNSB_9not_fun_tINSB_10functional5actorINSM_9compositeIJNSM_27transparent_binary_operatorINSA_8equal_toIvEEEENSN_INSM_8argumentILj0EEEEENSM_5valueIfEEEEEEEEEEEE10hipError_tPvRmT3_T4_T5_T6_T7_T9_mT8_P12ihipStream_tbDpT10_ENKUlT_T0_E_clISt17integral_constantIbLb1EES1K_EEDaS1F_S1G_EUlS1F_E_NS1_11comp_targetILNS1_3genE3ELNS1_11target_archE908ELNS1_3gpuE7ELNS1_3repE0EEENS1_30default_config_static_selectorELNS0_4arch9wavefront6targetE0EEEvT1_.num_agpr, 0
	.set _ZN7rocprim17ROCPRIM_400000_NS6detail17trampoline_kernelINS0_14default_configENS1_25partition_config_selectorILNS1_17partition_subalgoE6EfNS0_10empty_typeEbEEZZNS1_14partition_implILS5_6ELb0ES3_mN6thrust23THRUST_200600_302600_NS6detail15normal_iteratorINSA_10device_ptrIfEEEEPS6_SG_NS0_5tupleIJSF_S6_EEENSH_IJSG_SG_EEES6_PlJNSB_9not_fun_tINSB_10functional5actorINSM_9compositeIJNSM_27transparent_binary_operatorINSA_8equal_toIvEEEENSN_INSM_8argumentILj0EEEEENSM_5valueIfEEEEEEEEEEEE10hipError_tPvRmT3_T4_T5_T6_T7_T9_mT8_P12ihipStream_tbDpT10_ENKUlT_T0_E_clISt17integral_constantIbLb1EES1K_EEDaS1F_S1G_EUlS1F_E_NS1_11comp_targetILNS1_3genE3ELNS1_11target_archE908ELNS1_3gpuE7ELNS1_3repE0EEENS1_30default_config_static_selectorELNS0_4arch9wavefront6targetE0EEEvT1_.numbered_sgpr, 0
	.set _ZN7rocprim17ROCPRIM_400000_NS6detail17trampoline_kernelINS0_14default_configENS1_25partition_config_selectorILNS1_17partition_subalgoE6EfNS0_10empty_typeEbEEZZNS1_14partition_implILS5_6ELb0ES3_mN6thrust23THRUST_200600_302600_NS6detail15normal_iteratorINSA_10device_ptrIfEEEEPS6_SG_NS0_5tupleIJSF_S6_EEENSH_IJSG_SG_EEES6_PlJNSB_9not_fun_tINSB_10functional5actorINSM_9compositeIJNSM_27transparent_binary_operatorINSA_8equal_toIvEEEENSN_INSM_8argumentILj0EEEEENSM_5valueIfEEEEEEEEEEEE10hipError_tPvRmT3_T4_T5_T6_T7_T9_mT8_P12ihipStream_tbDpT10_ENKUlT_T0_E_clISt17integral_constantIbLb1EES1K_EEDaS1F_S1G_EUlS1F_E_NS1_11comp_targetILNS1_3genE3ELNS1_11target_archE908ELNS1_3gpuE7ELNS1_3repE0EEENS1_30default_config_static_selectorELNS0_4arch9wavefront6targetE0EEEvT1_.num_named_barrier, 0
	.set _ZN7rocprim17ROCPRIM_400000_NS6detail17trampoline_kernelINS0_14default_configENS1_25partition_config_selectorILNS1_17partition_subalgoE6EfNS0_10empty_typeEbEEZZNS1_14partition_implILS5_6ELb0ES3_mN6thrust23THRUST_200600_302600_NS6detail15normal_iteratorINSA_10device_ptrIfEEEEPS6_SG_NS0_5tupleIJSF_S6_EEENSH_IJSG_SG_EEES6_PlJNSB_9not_fun_tINSB_10functional5actorINSM_9compositeIJNSM_27transparent_binary_operatorINSA_8equal_toIvEEEENSN_INSM_8argumentILj0EEEEENSM_5valueIfEEEEEEEEEEEE10hipError_tPvRmT3_T4_T5_T6_T7_T9_mT8_P12ihipStream_tbDpT10_ENKUlT_T0_E_clISt17integral_constantIbLb1EES1K_EEDaS1F_S1G_EUlS1F_E_NS1_11comp_targetILNS1_3genE3ELNS1_11target_archE908ELNS1_3gpuE7ELNS1_3repE0EEENS1_30default_config_static_selectorELNS0_4arch9wavefront6targetE0EEEvT1_.private_seg_size, 0
	.set _ZN7rocprim17ROCPRIM_400000_NS6detail17trampoline_kernelINS0_14default_configENS1_25partition_config_selectorILNS1_17partition_subalgoE6EfNS0_10empty_typeEbEEZZNS1_14partition_implILS5_6ELb0ES3_mN6thrust23THRUST_200600_302600_NS6detail15normal_iteratorINSA_10device_ptrIfEEEEPS6_SG_NS0_5tupleIJSF_S6_EEENSH_IJSG_SG_EEES6_PlJNSB_9not_fun_tINSB_10functional5actorINSM_9compositeIJNSM_27transparent_binary_operatorINSA_8equal_toIvEEEENSN_INSM_8argumentILj0EEEEENSM_5valueIfEEEEEEEEEEEE10hipError_tPvRmT3_T4_T5_T6_T7_T9_mT8_P12ihipStream_tbDpT10_ENKUlT_T0_E_clISt17integral_constantIbLb1EES1K_EEDaS1F_S1G_EUlS1F_E_NS1_11comp_targetILNS1_3genE3ELNS1_11target_archE908ELNS1_3gpuE7ELNS1_3repE0EEENS1_30default_config_static_selectorELNS0_4arch9wavefront6targetE0EEEvT1_.uses_vcc, 0
	.set _ZN7rocprim17ROCPRIM_400000_NS6detail17trampoline_kernelINS0_14default_configENS1_25partition_config_selectorILNS1_17partition_subalgoE6EfNS0_10empty_typeEbEEZZNS1_14partition_implILS5_6ELb0ES3_mN6thrust23THRUST_200600_302600_NS6detail15normal_iteratorINSA_10device_ptrIfEEEEPS6_SG_NS0_5tupleIJSF_S6_EEENSH_IJSG_SG_EEES6_PlJNSB_9not_fun_tINSB_10functional5actorINSM_9compositeIJNSM_27transparent_binary_operatorINSA_8equal_toIvEEEENSN_INSM_8argumentILj0EEEEENSM_5valueIfEEEEEEEEEEEE10hipError_tPvRmT3_T4_T5_T6_T7_T9_mT8_P12ihipStream_tbDpT10_ENKUlT_T0_E_clISt17integral_constantIbLb1EES1K_EEDaS1F_S1G_EUlS1F_E_NS1_11comp_targetILNS1_3genE3ELNS1_11target_archE908ELNS1_3gpuE7ELNS1_3repE0EEENS1_30default_config_static_selectorELNS0_4arch9wavefront6targetE0EEEvT1_.uses_flat_scratch, 0
	.set _ZN7rocprim17ROCPRIM_400000_NS6detail17trampoline_kernelINS0_14default_configENS1_25partition_config_selectorILNS1_17partition_subalgoE6EfNS0_10empty_typeEbEEZZNS1_14partition_implILS5_6ELb0ES3_mN6thrust23THRUST_200600_302600_NS6detail15normal_iteratorINSA_10device_ptrIfEEEEPS6_SG_NS0_5tupleIJSF_S6_EEENSH_IJSG_SG_EEES6_PlJNSB_9not_fun_tINSB_10functional5actorINSM_9compositeIJNSM_27transparent_binary_operatorINSA_8equal_toIvEEEENSN_INSM_8argumentILj0EEEEENSM_5valueIfEEEEEEEEEEEE10hipError_tPvRmT3_T4_T5_T6_T7_T9_mT8_P12ihipStream_tbDpT10_ENKUlT_T0_E_clISt17integral_constantIbLb1EES1K_EEDaS1F_S1G_EUlS1F_E_NS1_11comp_targetILNS1_3genE3ELNS1_11target_archE908ELNS1_3gpuE7ELNS1_3repE0EEENS1_30default_config_static_selectorELNS0_4arch9wavefront6targetE0EEEvT1_.has_dyn_sized_stack, 0
	.set _ZN7rocprim17ROCPRIM_400000_NS6detail17trampoline_kernelINS0_14default_configENS1_25partition_config_selectorILNS1_17partition_subalgoE6EfNS0_10empty_typeEbEEZZNS1_14partition_implILS5_6ELb0ES3_mN6thrust23THRUST_200600_302600_NS6detail15normal_iteratorINSA_10device_ptrIfEEEEPS6_SG_NS0_5tupleIJSF_S6_EEENSH_IJSG_SG_EEES6_PlJNSB_9not_fun_tINSB_10functional5actorINSM_9compositeIJNSM_27transparent_binary_operatorINSA_8equal_toIvEEEENSN_INSM_8argumentILj0EEEEENSM_5valueIfEEEEEEEEEEEE10hipError_tPvRmT3_T4_T5_T6_T7_T9_mT8_P12ihipStream_tbDpT10_ENKUlT_T0_E_clISt17integral_constantIbLb1EES1K_EEDaS1F_S1G_EUlS1F_E_NS1_11comp_targetILNS1_3genE3ELNS1_11target_archE908ELNS1_3gpuE7ELNS1_3repE0EEENS1_30default_config_static_selectorELNS0_4arch9wavefront6targetE0EEEvT1_.has_recursion, 0
	.set _ZN7rocprim17ROCPRIM_400000_NS6detail17trampoline_kernelINS0_14default_configENS1_25partition_config_selectorILNS1_17partition_subalgoE6EfNS0_10empty_typeEbEEZZNS1_14partition_implILS5_6ELb0ES3_mN6thrust23THRUST_200600_302600_NS6detail15normal_iteratorINSA_10device_ptrIfEEEEPS6_SG_NS0_5tupleIJSF_S6_EEENSH_IJSG_SG_EEES6_PlJNSB_9not_fun_tINSB_10functional5actorINSM_9compositeIJNSM_27transparent_binary_operatorINSA_8equal_toIvEEEENSN_INSM_8argumentILj0EEEEENSM_5valueIfEEEEEEEEEEEE10hipError_tPvRmT3_T4_T5_T6_T7_T9_mT8_P12ihipStream_tbDpT10_ENKUlT_T0_E_clISt17integral_constantIbLb1EES1K_EEDaS1F_S1G_EUlS1F_E_NS1_11comp_targetILNS1_3genE3ELNS1_11target_archE908ELNS1_3gpuE7ELNS1_3repE0EEENS1_30default_config_static_selectorELNS0_4arch9wavefront6targetE0EEEvT1_.has_indirect_call, 0
	.section	.AMDGPU.csdata,"",@progbits
; Kernel info:
; codeLenInByte = 0
; TotalNumSgprs: 0
; NumVgprs: 0
; ScratchSize: 0
; MemoryBound: 0
; FloatMode: 240
; IeeeMode: 1
; LDSByteSize: 0 bytes/workgroup (compile time only)
; SGPRBlocks: 0
; VGPRBlocks: 0
; NumSGPRsForWavesPerEU: 1
; NumVGPRsForWavesPerEU: 1
; Occupancy: 16
; WaveLimiterHint : 0
; COMPUTE_PGM_RSRC2:SCRATCH_EN: 0
; COMPUTE_PGM_RSRC2:USER_SGPR: 2
; COMPUTE_PGM_RSRC2:TRAP_HANDLER: 0
; COMPUTE_PGM_RSRC2:TGID_X_EN: 1
; COMPUTE_PGM_RSRC2:TGID_Y_EN: 0
; COMPUTE_PGM_RSRC2:TGID_Z_EN: 0
; COMPUTE_PGM_RSRC2:TIDIG_COMP_CNT: 0
	.section	.text._ZN7rocprim17ROCPRIM_400000_NS6detail17trampoline_kernelINS0_14default_configENS1_25partition_config_selectorILNS1_17partition_subalgoE6EfNS0_10empty_typeEbEEZZNS1_14partition_implILS5_6ELb0ES3_mN6thrust23THRUST_200600_302600_NS6detail15normal_iteratorINSA_10device_ptrIfEEEEPS6_SG_NS0_5tupleIJSF_S6_EEENSH_IJSG_SG_EEES6_PlJNSB_9not_fun_tINSB_10functional5actorINSM_9compositeIJNSM_27transparent_binary_operatorINSA_8equal_toIvEEEENSN_INSM_8argumentILj0EEEEENSM_5valueIfEEEEEEEEEEEE10hipError_tPvRmT3_T4_T5_T6_T7_T9_mT8_P12ihipStream_tbDpT10_ENKUlT_T0_E_clISt17integral_constantIbLb1EES1K_EEDaS1F_S1G_EUlS1F_E_NS1_11comp_targetILNS1_3genE2ELNS1_11target_archE906ELNS1_3gpuE6ELNS1_3repE0EEENS1_30default_config_static_selectorELNS0_4arch9wavefront6targetE0EEEvT1_,"axG",@progbits,_ZN7rocprim17ROCPRIM_400000_NS6detail17trampoline_kernelINS0_14default_configENS1_25partition_config_selectorILNS1_17partition_subalgoE6EfNS0_10empty_typeEbEEZZNS1_14partition_implILS5_6ELb0ES3_mN6thrust23THRUST_200600_302600_NS6detail15normal_iteratorINSA_10device_ptrIfEEEEPS6_SG_NS0_5tupleIJSF_S6_EEENSH_IJSG_SG_EEES6_PlJNSB_9not_fun_tINSB_10functional5actorINSM_9compositeIJNSM_27transparent_binary_operatorINSA_8equal_toIvEEEENSN_INSM_8argumentILj0EEEEENSM_5valueIfEEEEEEEEEEEE10hipError_tPvRmT3_T4_T5_T6_T7_T9_mT8_P12ihipStream_tbDpT10_ENKUlT_T0_E_clISt17integral_constantIbLb1EES1K_EEDaS1F_S1G_EUlS1F_E_NS1_11comp_targetILNS1_3genE2ELNS1_11target_archE906ELNS1_3gpuE6ELNS1_3repE0EEENS1_30default_config_static_selectorELNS0_4arch9wavefront6targetE0EEEvT1_,comdat
	.protected	_ZN7rocprim17ROCPRIM_400000_NS6detail17trampoline_kernelINS0_14default_configENS1_25partition_config_selectorILNS1_17partition_subalgoE6EfNS0_10empty_typeEbEEZZNS1_14partition_implILS5_6ELb0ES3_mN6thrust23THRUST_200600_302600_NS6detail15normal_iteratorINSA_10device_ptrIfEEEEPS6_SG_NS0_5tupleIJSF_S6_EEENSH_IJSG_SG_EEES6_PlJNSB_9not_fun_tINSB_10functional5actorINSM_9compositeIJNSM_27transparent_binary_operatorINSA_8equal_toIvEEEENSN_INSM_8argumentILj0EEEEENSM_5valueIfEEEEEEEEEEEE10hipError_tPvRmT3_T4_T5_T6_T7_T9_mT8_P12ihipStream_tbDpT10_ENKUlT_T0_E_clISt17integral_constantIbLb1EES1K_EEDaS1F_S1G_EUlS1F_E_NS1_11comp_targetILNS1_3genE2ELNS1_11target_archE906ELNS1_3gpuE6ELNS1_3repE0EEENS1_30default_config_static_selectorELNS0_4arch9wavefront6targetE0EEEvT1_ ; -- Begin function _ZN7rocprim17ROCPRIM_400000_NS6detail17trampoline_kernelINS0_14default_configENS1_25partition_config_selectorILNS1_17partition_subalgoE6EfNS0_10empty_typeEbEEZZNS1_14partition_implILS5_6ELb0ES3_mN6thrust23THRUST_200600_302600_NS6detail15normal_iteratorINSA_10device_ptrIfEEEEPS6_SG_NS0_5tupleIJSF_S6_EEENSH_IJSG_SG_EEES6_PlJNSB_9not_fun_tINSB_10functional5actorINSM_9compositeIJNSM_27transparent_binary_operatorINSA_8equal_toIvEEEENSN_INSM_8argumentILj0EEEEENSM_5valueIfEEEEEEEEEEEE10hipError_tPvRmT3_T4_T5_T6_T7_T9_mT8_P12ihipStream_tbDpT10_ENKUlT_T0_E_clISt17integral_constantIbLb1EES1K_EEDaS1F_S1G_EUlS1F_E_NS1_11comp_targetILNS1_3genE2ELNS1_11target_archE906ELNS1_3gpuE6ELNS1_3repE0EEENS1_30default_config_static_selectorELNS0_4arch9wavefront6targetE0EEEvT1_
	.globl	_ZN7rocprim17ROCPRIM_400000_NS6detail17trampoline_kernelINS0_14default_configENS1_25partition_config_selectorILNS1_17partition_subalgoE6EfNS0_10empty_typeEbEEZZNS1_14partition_implILS5_6ELb0ES3_mN6thrust23THRUST_200600_302600_NS6detail15normal_iteratorINSA_10device_ptrIfEEEEPS6_SG_NS0_5tupleIJSF_S6_EEENSH_IJSG_SG_EEES6_PlJNSB_9not_fun_tINSB_10functional5actorINSM_9compositeIJNSM_27transparent_binary_operatorINSA_8equal_toIvEEEENSN_INSM_8argumentILj0EEEEENSM_5valueIfEEEEEEEEEEEE10hipError_tPvRmT3_T4_T5_T6_T7_T9_mT8_P12ihipStream_tbDpT10_ENKUlT_T0_E_clISt17integral_constantIbLb1EES1K_EEDaS1F_S1G_EUlS1F_E_NS1_11comp_targetILNS1_3genE2ELNS1_11target_archE906ELNS1_3gpuE6ELNS1_3repE0EEENS1_30default_config_static_selectorELNS0_4arch9wavefront6targetE0EEEvT1_
	.p2align	8
	.type	_ZN7rocprim17ROCPRIM_400000_NS6detail17trampoline_kernelINS0_14default_configENS1_25partition_config_selectorILNS1_17partition_subalgoE6EfNS0_10empty_typeEbEEZZNS1_14partition_implILS5_6ELb0ES3_mN6thrust23THRUST_200600_302600_NS6detail15normal_iteratorINSA_10device_ptrIfEEEEPS6_SG_NS0_5tupleIJSF_S6_EEENSH_IJSG_SG_EEES6_PlJNSB_9not_fun_tINSB_10functional5actorINSM_9compositeIJNSM_27transparent_binary_operatorINSA_8equal_toIvEEEENSN_INSM_8argumentILj0EEEEENSM_5valueIfEEEEEEEEEEEE10hipError_tPvRmT3_T4_T5_T6_T7_T9_mT8_P12ihipStream_tbDpT10_ENKUlT_T0_E_clISt17integral_constantIbLb1EES1K_EEDaS1F_S1G_EUlS1F_E_NS1_11comp_targetILNS1_3genE2ELNS1_11target_archE906ELNS1_3gpuE6ELNS1_3repE0EEENS1_30default_config_static_selectorELNS0_4arch9wavefront6targetE0EEEvT1_,@function
_ZN7rocprim17ROCPRIM_400000_NS6detail17trampoline_kernelINS0_14default_configENS1_25partition_config_selectorILNS1_17partition_subalgoE6EfNS0_10empty_typeEbEEZZNS1_14partition_implILS5_6ELb0ES3_mN6thrust23THRUST_200600_302600_NS6detail15normal_iteratorINSA_10device_ptrIfEEEEPS6_SG_NS0_5tupleIJSF_S6_EEENSH_IJSG_SG_EEES6_PlJNSB_9not_fun_tINSB_10functional5actorINSM_9compositeIJNSM_27transparent_binary_operatorINSA_8equal_toIvEEEENSN_INSM_8argumentILj0EEEEENSM_5valueIfEEEEEEEEEEEE10hipError_tPvRmT3_T4_T5_T6_T7_T9_mT8_P12ihipStream_tbDpT10_ENKUlT_T0_E_clISt17integral_constantIbLb1EES1K_EEDaS1F_S1G_EUlS1F_E_NS1_11comp_targetILNS1_3genE2ELNS1_11target_archE906ELNS1_3gpuE6ELNS1_3repE0EEENS1_30default_config_static_selectorELNS0_4arch9wavefront6targetE0EEEvT1_: ; @_ZN7rocprim17ROCPRIM_400000_NS6detail17trampoline_kernelINS0_14default_configENS1_25partition_config_selectorILNS1_17partition_subalgoE6EfNS0_10empty_typeEbEEZZNS1_14partition_implILS5_6ELb0ES3_mN6thrust23THRUST_200600_302600_NS6detail15normal_iteratorINSA_10device_ptrIfEEEEPS6_SG_NS0_5tupleIJSF_S6_EEENSH_IJSG_SG_EEES6_PlJNSB_9not_fun_tINSB_10functional5actorINSM_9compositeIJNSM_27transparent_binary_operatorINSA_8equal_toIvEEEENSN_INSM_8argumentILj0EEEEENSM_5valueIfEEEEEEEEEEEE10hipError_tPvRmT3_T4_T5_T6_T7_T9_mT8_P12ihipStream_tbDpT10_ENKUlT_T0_E_clISt17integral_constantIbLb1EES1K_EEDaS1F_S1G_EUlS1F_E_NS1_11comp_targetILNS1_3genE2ELNS1_11target_archE906ELNS1_3gpuE6ELNS1_3repE0EEENS1_30default_config_static_selectorELNS0_4arch9wavefront6targetE0EEEvT1_
; %bb.0:
	.section	.rodata,"a",@progbits
	.p2align	6, 0x0
	.amdhsa_kernel _ZN7rocprim17ROCPRIM_400000_NS6detail17trampoline_kernelINS0_14default_configENS1_25partition_config_selectorILNS1_17partition_subalgoE6EfNS0_10empty_typeEbEEZZNS1_14partition_implILS5_6ELb0ES3_mN6thrust23THRUST_200600_302600_NS6detail15normal_iteratorINSA_10device_ptrIfEEEEPS6_SG_NS0_5tupleIJSF_S6_EEENSH_IJSG_SG_EEES6_PlJNSB_9not_fun_tINSB_10functional5actorINSM_9compositeIJNSM_27transparent_binary_operatorINSA_8equal_toIvEEEENSN_INSM_8argumentILj0EEEEENSM_5valueIfEEEEEEEEEEEE10hipError_tPvRmT3_T4_T5_T6_T7_T9_mT8_P12ihipStream_tbDpT10_ENKUlT_T0_E_clISt17integral_constantIbLb1EES1K_EEDaS1F_S1G_EUlS1F_E_NS1_11comp_targetILNS1_3genE2ELNS1_11target_archE906ELNS1_3gpuE6ELNS1_3repE0EEENS1_30default_config_static_selectorELNS0_4arch9wavefront6targetE0EEEvT1_
		.amdhsa_group_segment_fixed_size 0
		.amdhsa_private_segment_fixed_size 0
		.amdhsa_kernarg_size 128
		.amdhsa_user_sgpr_count 2
		.amdhsa_user_sgpr_dispatch_ptr 0
		.amdhsa_user_sgpr_queue_ptr 0
		.amdhsa_user_sgpr_kernarg_segment_ptr 1
		.amdhsa_user_sgpr_dispatch_id 0
		.amdhsa_user_sgpr_private_segment_size 0
		.amdhsa_wavefront_size32 1
		.amdhsa_uses_dynamic_stack 0
		.amdhsa_enable_private_segment 0
		.amdhsa_system_sgpr_workgroup_id_x 1
		.amdhsa_system_sgpr_workgroup_id_y 0
		.amdhsa_system_sgpr_workgroup_id_z 0
		.amdhsa_system_sgpr_workgroup_info 0
		.amdhsa_system_vgpr_workitem_id 0
		.amdhsa_next_free_vgpr 1
		.amdhsa_next_free_sgpr 1
		.amdhsa_reserve_vcc 0
		.amdhsa_float_round_mode_32 0
		.amdhsa_float_round_mode_16_64 0
		.amdhsa_float_denorm_mode_32 3
		.amdhsa_float_denorm_mode_16_64 3
		.amdhsa_fp16_overflow 0
		.amdhsa_workgroup_processor_mode 1
		.amdhsa_memory_ordered 1
		.amdhsa_forward_progress 1
		.amdhsa_inst_pref_size 0
		.amdhsa_round_robin_scheduling 0
		.amdhsa_exception_fp_ieee_invalid_op 0
		.amdhsa_exception_fp_denorm_src 0
		.amdhsa_exception_fp_ieee_div_zero 0
		.amdhsa_exception_fp_ieee_overflow 0
		.amdhsa_exception_fp_ieee_underflow 0
		.amdhsa_exception_fp_ieee_inexact 0
		.amdhsa_exception_int_div_zero 0
	.end_amdhsa_kernel
	.section	.text._ZN7rocprim17ROCPRIM_400000_NS6detail17trampoline_kernelINS0_14default_configENS1_25partition_config_selectorILNS1_17partition_subalgoE6EfNS0_10empty_typeEbEEZZNS1_14partition_implILS5_6ELb0ES3_mN6thrust23THRUST_200600_302600_NS6detail15normal_iteratorINSA_10device_ptrIfEEEEPS6_SG_NS0_5tupleIJSF_S6_EEENSH_IJSG_SG_EEES6_PlJNSB_9not_fun_tINSB_10functional5actorINSM_9compositeIJNSM_27transparent_binary_operatorINSA_8equal_toIvEEEENSN_INSM_8argumentILj0EEEEENSM_5valueIfEEEEEEEEEEEE10hipError_tPvRmT3_T4_T5_T6_T7_T9_mT8_P12ihipStream_tbDpT10_ENKUlT_T0_E_clISt17integral_constantIbLb1EES1K_EEDaS1F_S1G_EUlS1F_E_NS1_11comp_targetILNS1_3genE2ELNS1_11target_archE906ELNS1_3gpuE6ELNS1_3repE0EEENS1_30default_config_static_selectorELNS0_4arch9wavefront6targetE0EEEvT1_,"axG",@progbits,_ZN7rocprim17ROCPRIM_400000_NS6detail17trampoline_kernelINS0_14default_configENS1_25partition_config_selectorILNS1_17partition_subalgoE6EfNS0_10empty_typeEbEEZZNS1_14partition_implILS5_6ELb0ES3_mN6thrust23THRUST_200600_302600_NS6detail15normal_iteratorINSA_10device_ptrIfEEEEPS6_SG_NS0_5tupleIJSF_S6_EEENSH_IJSG_SG_EEES6_PlJNSB_9not_fun_tINSB_10functional5actorINSM_9compositeIJNSM_27transparent_binary_operatorINSA_8equal_toIvEEEENSN_INSM_8argumentILj0EEEEENSM_5valueIfEEEEEEEEEEEE10hipError_tPvRmT3_T4_T5_T6_T7_T9_mT8_P12ihipStream_tbDpT10_ENKUlT_T0_E_clISt17integral_constantIbLb1EES1K_EEDaS1F_S1G_EUlS1F_E_NS1_11comp_targetILNS1_3genE2ELNS1_11target_archE906ELNS1_3gpuE6ELNS1_3repE0EEENS1_30default_config_static_selectorELNS0_4arch9wavefront6targetE0EEEvT1_,comdat
.Lfunc_end59:
	.size	_ZN7rocprim17ROCPRIM_400000_NS6detail17trampoline_kernelINS0_14default_configENS1_25partition_config_selectorILNS1_17partition_subalgoE6EfNS0_10empty_typeEbEEZZNS1_14partition_implILS5_6ELb0ES3_mN6thrust23THRUST_200600_302600_NS6detail15normal_iteratorINSA_10device_ptrIfEEEEPS6_SG_NS0_5tupleIJSF_S6_EEENSH_IJSG_SG_EEES6_PlJNSB_9not_fun_tINSB_10functional5actorINSM_9compositeIJNSM_27transparent_binary_operatorINSA_8equal_toIvEEEENSN_INSM_8argumentILj0EEEEENSM_5valueIfEEEEEEEEEEEE10hipError_tPvRmT3_T4_T5_T6_T7_T9_mT8_P12ihipStream_tbDpT10_ENKUlT_T0_E_clISt17integral_constantIbLb1EES1K_EEDaS1F_S1G_EUlS1F_E_NS1_11comp_targetILNS1_3genE2ELNS1_11target_archE906ELNS1_3gpuE6ELNS1_3repE0EEENS1_30default_config_static_selectorELNS0_4arch9wavefront6targetE0EEEvT1_, .Lfunc_end59-_ZN7rocprim17ROCPRIM_400000_NS6detail17trampoline_kernelINS0_14default_configENS1_25partition_config_selectorILNS1_17partition_subalgoE6EfNS0_10empty_typeEbEEZZNS1_14partition_implILS5_6ELb0ES3_mN6thrust23THRUST_200600_302600_NS6detail15normal_iteratorINSA_10device_ptrIfEEEEPS6_SG_NS0_5tupleIJSF_S6_EEENSH_IJSG_SG_EEES6_PlJNSB_9not_fun_tINSB_10functional5actorINSM_9compositeIJNSM_27transparent_binary_operatorINSA_8equal_toIvEEEENSN_INSM_8argumentILj0EEEEENSM_5valueIfEEEEEEEEEEEE10hipError_tPvRmT3_T4_T5_T6_T7_T9_mT8_P12ihipStream_tbDpT10_ENKUlT_T0_E_clISt17integral_constantIbLb1EES1K_EEDaS1F_S1G_EUlS1F_E_NS1_11comp_targetILNS1_3genE2ELNS1_11target_archE906ELNS1_3gpuE6ELNS1_3repE0EEENS1_30default_config_static_selectorELNS0_4arch9wavefront6targetE0EEEvT1_
                                        ; -- End function
	.set _ZN7rocprim17ROCPRIM_400000_NS6detail17trampoline_kernelINS0_14default_configENS1_25partition_config_selectorILNS1_17partition_subalgoE6EfNS0_10empty_typeEbEEZZNS1_14partition_implILS5_6ELb0ES3_mN6thrust23THRUST_200600_302600_NS6detail15normal_iteratorINSA_10device_ptrIfEEEEPS6_SG_NS0_5tupleIJSF_S6_EEENSH_IJSG_SG_EEES6_PlJNSB_9not_fun_tINSB_10functional5actorINSM_9compositeIJNSM_27transparent_binary_operatorINSA_8equal_toIvEEEENSN_INSM_8argumentILj0EEEEENSM_5valueIfEEEEEEEEEEEE10hipError_tPvRmT3_T4_T5_T6_T7_T9_mT8_P12ihipStream_tbDpT10_ENKUlT_T0_E_clISt17integral_constantIbLb1EES1K_EEDaS1F_S1G_EUlS1F_E_NS1_11comp_targetILNS1_3genE2ELNS1_11target_archE906ELNS1_3gpuE6ELNS1_3repE0EEENS1_30default_config_static_selectorELNS0_4arch9wavefront6targetE0EEEvT1_.num_vgpr, 0
	.set _ZN7rocprim17ROCPRIM_400000_NS6detail17trampoline_kernelINS0_14default_configENS1_25partition_config_selectorILNS1_17partition_subalgoE6EfNS0_10empty_typeEbEEZZNS1_14partition_implILS5_6ELb0ES3_mN6thrust23THRUST_200600_302600_NS6detail15normal_iteratorINSA_10device_ptrIfEEEEPS6_SG_NS0_5tupleIJSF_S6_EEENSH_IJSG_SG_EEES6_PlJNSB_9not_fun_tINSB_10functional5actorINSM_9compositeIJNSM_27transparent_binary_operatorINSA_8equal_toIvEEEENSN_INSM_8argumentILj0EEEEENSM_5valueIfEEEEEEEEEEEE10hipError_tPvRmT3_T4_T5_T6_T7_T9_mT8_P12ihipStream_tbDpT10_ENKUlT_T0_E_clISt17integral_constantIbLb1EES1K_EEDaS1F_S1G_EUlS1F_E_NS1_11comp_targetILNS1_3genE2ELNS1_11target_archE906ELNS1_3gpuE6ELNS1_3repE0EEENS1_30default_config_static_selectorELNS0_4arch9wavefront6targetE0EEEvT1_.num_agpr, 0
	.set _ZN7rocprim17ROCPRIM_400000_NS6detail17trampoline_kernelINS0_14default_configENS1_25partition_config_selectorILNS1_17partition_subalgoE6EfNS0_10empty_typeEbEEZZNS1_14partition_implILS5_6ELb0ES3_mN6thrust23THRUST_200600_302600_NS6detail15normal_iteratorINSA_10device_ptrIfEEEEPS6_SG_NS0_5tupleIJSF_S6_EEENSH_IJSG_SG_EEES6_PlJNSB_9not_fun_tINSB_10functional5actorINSM_9compositeIJNSM_27transparent_binary_operatorINSA_8equal_toIvEEEENSN_INSM_8argumentILj0EEEEENSM_5valueIfEEEEEEEEEEEE10hipError_tPvRmT3_T4_T5_T6_T7_T9_mT8_P12ihipStream_tbDpT10_ENKUlT_T0_E_clISt17integral_constantIbLb1EES1K_EEDaS1F_S1G_EUlS1F_E_NS1_11comp_targetILNS1_3genE2ELNS1_11target_archE906ELNS1_3gpuE6ELNS1_3repE0EEENS1_30default_config_static_selectorELNS0_4arch9wavefront6targetE0EEEvT1_.numbered_sgpr, 0
	.set _ZN7rocprim17ROCPRIM_400000_NS6detail17trampoline_kernelINS0_14default_configENS1_25partition_config_selectorILNS1_17partition_subalgoE6EfNS0_10empty_typeEbEEZZNS1_14partition_implILS5_6ELb0ES3_mN6thrust23THRUST_200600_302600_NS6detail15normal_iteratorINSA_10device_ptrIfEEEEPS6_SG_NS0_5tupleIJSF_S6_EEENSH_IJSG_SG_EEES6_PlJNSB_9not_fun_tINSB_10functional5actorINSM_9compositeIJNSM_27transparent_binary_operatorINSA_8equal_toIvEEEENSN_INSM_8argumentILj0EEEEENSM_5valueIfEEEEEEEEEEEE10hipError_tPvRmT3_T4_T5_T6_T7_T9_mT8_P12ihipStream_tbDpT10_ENKUlT_T0_E_clISt17integral_constantIbLb1EES1K_EEDaS1F_S1G_EUlS1F_E_NS1_11comp_targetILNS1_3genE2ELNS1_11target_archE906ELNS1_3gpuE6ELNS1_3repE0EEENS1_30default_config_static_selectorELNS0_4arch9wavefront6targetE0EEEvT1_.num_named_barrier, 0
	.set _ZN7rocprim17ROCPRIM_400000_NS6detail17trampoline_kernelINS0_14default_configENS1_25partition_config_selectorILNS1_17partition_subalgoE6EfNS0_10empty_typeEbEEZZNS1_14partition_implILS5_6ELb0ES3_mN6thrust23THRUST_200600_302600_NS6detail15normal_iteratorINSA_10device_ptrIfEEEEPS6_SG_NS0_5tupleIJSF_S6_EEENSH_IJSG_SG_EEES6_PlJNSB_9not_fun_tINSB_10functional5actorINSM_9compositeIJNSM_27transparent_binary_operatorINSA_8equal_toIvEEEENSN_INSM_8argumentILj0EEEEENSM_5valueIfEEEEEEEEEEEE10hipError_tPvRmT3_T4_T5_T6_T7_T9_mT8_P12ihipStream_tbDpT10_ENKUlT_T0_E_clISt17integral_constantIbLb1EES1K_EEDaS1F_S1G_EUlS1F_E_NS1_11comp_targetILNS1_3genE2ELNS1_11target_archE906ELNS1_3gpuE6ELNS1_3repE0EEENS1_30default_config_static_selectorELNS0_4arch9wavefront6targetE0EEEvT1_.private_seg_size, 0
	.set _ZN7rocprim17ROCPRIM_400000_NS6detail17trampoline_kernelINS0_14default_configENS1_25partition_config_selectorILNS1_17partition_subalgoE6EfNS0_10empty_typeEbEEZZNS1_14partition_implILS5_6ELb0ES3_mN6thrust23THRUST_200600_302600_NS6detail15normal_iteratorINSA_10device_ptrIfEEEEPS6_SG_NS0_5tupleIJSF_S6_EEENSH_IJSG_SG_EEES6_PlJNSB_9not_fun_tINSB_10functional5actorINSM_9compositeIJNSM_27transparent_binary_operatorINSA_8equal_toIvEEEENSN_INSM_8argumentILj0EEEEENSM_5valueIfEEEEEEEEEEEE10hipError_tPvRmT3_T4_T5_T6_T7_T9_mT8_P12ihipStream_tbDpT10_ENKUlT_T0_E_clISt17integral_constantIbLb1EES1K_EEDaS1F_S1G_EUlS1F_E_NS1_11comp_targetILNS1_3genE2ELNS1_11target_archE906ELNS1_3gpuE6ELNS1_3repE0EEENS1_30default_config_static_selectorELNS0_4arch9wavefront6targetE0EEEvT1_.uses_vcc, 0
	.set _ZN7rocprim17ROCPRIM_400000_NS6detail17trampoline_kernelINS0_14default_configENS1_25partition_config_selectorILNS1_17partition_subalgoE6EfNS0_10empty_typeEbEEZZNS1_14partition_implILS5_6ELb0ES3_mN6thrust23THRUST_200600_302600_NS6detail15normal_iteratorINSA_10device_ptrIfEEEEPS6_SG_NS0_5tupleIJSF_S6_EEENSH_IJSG_SG_EEES6_PlJNSB_9not_fun_tINSB_10functional5actorINSM_9compositeIJNSM_27transparent_binary_operatorINSA_8equal_toIvEEEENSN_INSM_8argumentILj0EEEEENSM_5valueIfEEEEEEEEEEEE10hipError_tPvRmT3_T4_T5_T6_T7_T9_mT8_P12ihipStream_tbDpT10_ENKUlT_T0_E_clISt17integral_constantIbLb1EES1K_EEDaS1F_S1G_EUlS1F_E_NS1_11comp_targetILNS1_3genE2ELNS1_11target_archE906ELNS1_3gpuE6ELNS1_3repE0EEENS1_30default_config_static_selectorELNS0_4arch9wavefront6targetE0EEEvT1_.uses_flat_scratch, 0
	.set _ZN7rocprim17ROCPRIM_400000_NS6detail17trampoline_kernelINS0_14default_configENS1_25partition_config_selectorILNS1_17partition_subalgoE6EfNS0_10empty_typeEbEEZZNS1_14partition_implILS5_6ELb0ES3_mN6thrust23THRUST_200600_302600_NS6detail15normal_iteratorINSA_10device_ptrIfEEEEPS6_SG_NS0_5tupleIJSF_S6_EEENSH_IJSG_SG_EEES6_PlJNSB_9not_fun_tINSB_10functional5actorINSM_9compositeIJNSM_27transparent_binary_operatorINSA_8equal_toIvEEEENSN_INSM_8argumentILj0EEEEENSM_5valueIfEEEEEEEEEEEE10hipError_tPvRmT3_T4_T5_T6_T7_T9_mT8_P12ihipStream_tbDpT10_ENKUlT_T0_E_clISt17integral_constantIbLb1EES1K_EEDaS1F_S1G_EUlS1F_E_NS1_11comp_targetILNS1_3genE2ELNS1_11target_archE906ELNS1_3gpuE6ELNS1_3repE0EEENS1_30default_config_static_selectorELNS0_4arch9wavefront6targetE0EEEvT1_.has_dyn_sized_stack, 0
	.set _ZN7rocprim17ROCPRIM_400000_NS6detail17trampoline_kernelINS0_14default_configENS1_25partition_config_selectorILNS1_17partition_subalgoE6EfNS0_10empty_typeEbEEZZNS1_14partition_implILS5_6ELb0ES3_mN6thrust23THRUST_200600_302600_NS6detail15normal_iteratorINSA_10device_ptrIfEEEEPS6_SG_NS0_5tupleIJSF_S6_EEENSH_IJSG_SG_EEES6_PlJNSB_9not_fun_tINSB_10functional5actorINSM_9compositeIJNSM_27transparent_binary_operatorINSA_8equal_toIvEEEENSN_INSM_8argumentILj0EEEEENSM_5valueIfEEEEEEEEEEEE10hipError_tPvRmT3_T4_T5_T6_T7_T9_mT8_P12ihipStream_tbDpT10_ENKUlT_T0_E_clISt17integral_constantIbLb1EES1K_EEDaS1F_S1G_EUlS1F_E_NS1_11comp_targetILNS1_3genE2ELNS1_11target_archE906ELNS1_3gpuE6ELNS1_3repE0EEENS1_30default_config_static_selectorELNS0_4arch9wavefront6targetE0EEEvT1_.has_recursion, 0
	.set _ZN7rocprim17ROCPRIM_400000_NS6detail17trampoline_kernelINS0_14default_configENS1_25partition_config_selectorILNS1_17partition_subalgoE6EfNS0_10empty_typeEbEEZZNS1_14partition_implILS5_6ELb0ES3_mN6thrust23THRUST_200600_302600_NS6detail15normal_iteratorINSA_10device_ptrIfEEEEPS6_SG_NS0_5tupleIJSF_S6_EEENSH_IJSG_SG_EEES6_PlJNSB_9not_fun_tINSB_10functional5actorINSM_9compositeIJNSM_27transparent_binary_operatorINSA_8equal_toIvEEEENSN_INSM_8argumentILj0EEEEENSM_5valueIfEEEEEEEEEEEE10hipError_tPvRmT3_T4_T5_T6_T7_T9_mT8_P12ihipStream_tbDpT10_ENKUlT_T0_E_clISt17integral_constantIbLb1EES1K_EEDaS1F_S1G_EUlS1F_E_NS1_11comp_targetILNS1_3genE2ELNS1_11target_archE906ELNS1_3gpuE6ELNS1_3repE0EEENS1_30default_config_static_selectorELNS0_4arch9wavefront6targetE0EEEvT1_.has_indirect_call, 0
	.section	.AMDGPU.csdata,"",@progbits
; Kernel info:
; codeLenInByte = 0
; TotalNumSgprs: 0
; NumVgprs: 0
; ScratchSize: 0
; MemoryBound: 0
; FloatMode: 240
; IeeeMode: 1
; LDSByteSize: 0 bytes/workgroup (compile time only)
; SGPRBlocks: 0
; VGPRBlocks: 0
; NumSGPRsForWavesPerEU: 1
; NumVGPRsForWavesPerEU: 1
; Occupancy: 16
; WaveLimiterHint : 0
; COMPUTE_PGM_RSRC2:SCRATCH_EN: 0
; COMPUTE_PGM_RSRC2:USER_SGPR: 2
; COMPUTE_PGM_RSRC2:TRAP_HANDLER: 0
; COMPUTE_PGM_RSRC2:TGID_X_EN: 1
; COMPUTE_PGM_RSRC2:TGID_Y_EN: 0
; COMPUTE_PGM_RSRC2:TGID_Z_EN: 0
; COMPUTE_PGM_RSRC2:TIDIG_COMP_CNT: 0
	.section	.text._ZN7rocprim17ROCPRIM_400000_NS6detail17trampoline_kernelINS0_14default_configENS1_25partition_config_selectorILNS1_17partition_subalgoE6EfNS0_10empty_typeEbEEZZNS1_14partition_implILS5_6ELb0ES3_mN6thrust23THRUST_200600_302600_NS6detail15normal_iteratorINSA_10device_ptrIfEEEEPS6_SG_NS0_5tupleIJSF_S6_EEENSH_IJSG_SG_EEES6_PlJNSB_9not_fun_tINSB_10functional5actorINSM_9compositeIJNSM_27transparent_binary_operatorINSA_8equal_toIvEEEENSN_INSM_8argumentILj0EEEEENSM_5valueIfEEEEEEEEEEEE10hipError_tPvRmT3_T4_T5_T6_T7_T9_mT8_P12ihipStream_tbDpT10_ENKUlT_T0_E_clISt17integral_constantIbLb1EES1K_EEDaS1F_S1G_EUlS1F_E_NS1_11comp_targetILNS1_3genE10ELNS1_11target_archE1200ELNS1_3gpuE4ELNS1_3repE0EEENS1_30default_config_static_selectorELNS0_4arch9wavefront6targetE0EEEvT1_,"axG",@progbits,_ZN7rocprim17ROCPRIM_400000_NS6detail17trampoline_kernelINS0_14default_configENS1_25partition_config_selectorILNS1_17partition_subalgoE6EfNS0_10empty_typeEbEEZZNS1_14partition_implILS5_6ELb0ES3_mN6thrust23THRUST_200600_302600_NS6detail15normal_iteratorINSA_10device_ptrIfEEEEPS6_SG_NS0_5tupleIJSF_S6_EEENSH_IJSG_SG_EEES6_PlJNSB_9not_fun_tINSB_10functional5actorINSM_9compositeIJNSM_27transparent_binary_operatorINSA_8equal_toIvEEEENSN_INSM_8argumentILj0EEEEENSM_5valueIfEEEEEEEEEEEE10hipError_tPvRmT3_T4_T5_T6_T7_T9_mT8_P12ihipStream_tbDpT10_ENKUlT_T0_E_clISt17integral_constantIbLb1EES1K_EEDaS1F_S1G_EUlS1F_E_NS1_11comp_targetILNS1_3genE10ELNS1_11target_archE1200ELNS1_3gpuE4ELNS1_3repE0EEENS1_30default_config_static_selectorELNS0_4arch9wavefront6targetE0EEEvT1_,comdat
	.protected	_ZN7rocprim17ROCPRIM_400000_NS6detail17trampoline_kernelINS0_14default_configENS1_25partition_config_selectorILNS1_17partition_subalgoE6EfNS0_10empty_typeEbEEZZNS1_14partition_implILS5_6ELb0ES3_mN6thrust23THRUST_200600_302600_NS6detail15normal_iteratorINSA_10device_ptrIfEEEEPS6_SG_NS0_5tupleIJSF_S6_EEENSH_IJSG_SG_EEES6_PlJNSB_9not_fun_tINSB_10functional5actorINSM_9compositeIJNSM_27transparent_binary_operatorINSA_8equal_toIvEEEENSN_INSM_8argumentILj0EEEEENSM_5valueIfEEEEEEEEEEEE10hipError_tPvRmT3_T4_T5_T6_T7_T9_mT8_P12ihipStream_tbDpT10_ENKUlT_T0_E_clISt17integral_constantIbLb1EES1K_EEDaS1F_S1G_EUlS1F_E_NS1_11comp_targetILNS1_3genE10ELNS1_11target_archE1200ELNS1_3gpuE4ELNS1_3repE0EEENS1_30default_config_static_selectorELNS0_4arch9wavefront6targetE0EEEvT1_ ; -- Begin function _ZN7rocprim17ROCPRIM_400000_NS6detail17trampoline_kernelINS0_14default_configENS1_25partition_config_selectorILNS1_17partition_subalgoE6EfNS0_10empty_typeEbEEZZNS1_14partition_implILS5_6ELb0ES3_mN6thrust23THRUST_200600_302600_NS6detail15normal_iteratorINSA_10device_ptrIfEEEEPS6_SG_NS0_5tupleIJSF_S6_EEENSH_IJSG_SG_EEES6_PlJNSB_9not_fun_tINSB_10functional5actorINSM_9compositeIJNSM_27transparent_binary_operatorINSA_8equal_toIvEEEENSN_INSM_8argumentILj0EEEEENSM_5valueIfEEEEEEEEEEEE10hipError_tPvRmT3_T4_T5_T6_T7_T9_mT8_P12ihipStream_tbDpT10_ENKUlT_T0_E_clISt17integral_constantIbLb1EES1K_EEDaS1F_S1G_EUlS1F_E_NS1_11comp_targetILNS1_3genE10ELNS1_11target_archE1200ELNS1_3gpuE4ELNS1_3repE0EEENS1_30default_config_static_selectorELNS0_4arch9wavefront6targetE0EEEvT1_
	.globl	_ZN7rocprim17ROCPRIM_400000_NS6detail17trampoline_kernelINS0_14default_configENS1_25partition_config_selectorILNS1_17partition_subalgoE6EfNS0_10empty_typeEbEEZZNS1_14partition_implILS5_6ELb0ES3_mN6thrust23THRUST_200600_302600_NS6detail15normal_iteratorINSA_10device_ptrIfEEEEPS6_SG_NS0_5tupleIJSF_S6_EEENSH_IJSG_SG_EEES6_PlJNSB_9not_fun_tINSB_10functional5actorINSM_9compositeIJNSM_27transparent_binary_operatorINSA_8equal_toIvEEEENSN_INSM_8argumentILj0EEEEENSM_5valueIfEEEEEEEEEEEE10hipError_tPvRmT3_T4_T5_T6_T7_T9_mT8_P12ihipStream_tbDpT10_ENKUlT_T0_E_clISt17integral_constantIbLb1EES1K_EEDaS1F_S1G_EUlS1F_E_NS1_11comp_targetILNS1_3genE10ELNS1_11target_archE1200ELNS1_3gpuE4ELNS1_3repE0EEENS1_30default_config_static_selectorELNS0_4arch9wavefront6targetE0EEEvT1_
	.p2align	8
	.type	_ZN7rocprim17ROCPRIM_400000_NS6detail17trampoline_kernelINS0_14default_configENS1_25partition_config_selectorILNS1_17partition_subalgoE6EfNS0_10empty_typeEbEEZZNS1_14partition_implILS5_6ELb0ES3_mN6thrust23THRUST_200600_302600_NS6detail15normal_iteratorINSA_10device_ptrIfEEEEPS6_SG_NS0_5tupleIJSF_S6_EEENSH_IJSG_SG_EEES6_PlJNSB_9not_fun_tINSB_10functional5actorINSM_9compositeIJNSM_27transparent_binary_operatorINSA_8equal_toIvEEEENSN_INSM_8argumentILj0EEEEENSM_5valueIfEEEEEEEEEEEE10hipError_tPvRmT3_T4_T5_T6_T7_T9_mT8_P12ihipStream_tbDpT10_ENKUlT_T0_E_clISt17integral_constantIbLb1EES1K_EEDaS1F_S1G_EUlS1F_E_NS1_11comp_targetILNS1_3genE10ELNS1_11target_archE1200ELNS1_3gpuE4ELNS1_3repE0EEENS1_30default_config_static_selectorELNS0_4arch9wavefront6targetE0EEEvT1_,@function
_ZN7rocprim17ROCPRIM_400000_NS6detail17trampoline_kernelINS0_14default_configENS1_25partition_config_selectorILNS1_17partition_subalgoE6EfNS0_10empty_typeEbEEZZNS1_14partition_implILS5_6ELb0ES3_mN6thrust23THRUST_200600_302600_NS6detail15normal_iteratorINSA_10device_ptrIfEEEEPS6_SG_NS0_5tupleIJSF_S6_EEENSH_IJSG_SG_EEES6_PlJNSB_9not_fun_tINSB_10functional5actorINSM_9compositeIJNSM_27transparent_binary_operatorINSA_8equal_toIvEEEENSN_INSM_8argumentILj0EEEEENSM_5valueIfEEEEEEEEEEEE10hipError_tPvRmT3_T4_T5_T6_T7_T9_mT8_P12ihipStream_tbDpT10_ENKUlT_T0_E_clISt17integral_constantIbLb1EES1K_EEDaS1F_S1G_EUlS1F_E_NS1_11comp_targetILNS1_3genE10ELNS1_11target_archE1200ELNS1_3gpuE4ELNS1_3repE0EEENS1_30default_config_static_selectorELNS0_4arch9wavefront6targetE0EEEvT1_: ; @_ZN7rocprim17ROCPRIM_400000_NS6detail17trampoline_kernelINS0_14default_configENS1_25partition_config_selectorILNS1_17partition_subalgoE6EfNS0_10empty_typeEbEEZZNS1_14partition_implILS5_6ELb0ES3_mN6thrust23THRUST_200600_302600_NS6detail15normal_iteratorINSA_10device_ptrIfEEEEPS6_SG_NS0_5tupleIJSF_S6_EEENSH_IJSG_SG_EEES6_PlJNSB_9not_fun_tINSB_10functional5actorINSM_9compositeIJNSM_27transparent_binary_operatorINSA_8equal_toIvEEEENSN_INSM_8argumentILj0EEEEENSM_5valueIfEEEEEEEEEEEE10hipError_tPvRmT3_T4_T5_T6_T7_T9_mT8_P12ihipStream_tbDpT10_ENKUlT_T0_E_clISt17integral_constantIbLb1EES1K_EEDaS1F_S1G_EUlS1F_E_NS1_11comp_targetILNS1_3genE10ELNS1_11target_archE1200ELNS1_3gpuE4ELNS1_3repE0EEENS1_30default_config_static_selectorELNS0_4arch9wavefront6targetE0EEEvT1_
; %bb.0:
	s_endpgm
	.section	.rodata,"a",@progbits
	.p2align	6, 0x0
	.amdhsa_kernel _ZN7rocprim17ROCPRIM_400000_NS6detail17trampoline_kernelINS0_14default_configENS1_25partition_config_selectorILNS1_17partition_subalgoE6EfNS0_10empty_typeEbEEZZNS1_14partition_implILS5_6ELb0ES3_mN6thrust23THRUST_200600_302600_NS6detail15normal_iteratorINSA_10device_ptrIfEEEEPS6_SG_NS0_5tupleIJSF_S6_EEENSH_IJSG_SG_EEES6_PlJNSB_9not_fun_tINSB_10functional5actorINSM_9compositeIJNSM_27transparent_binary_operatorINSA_8equal_toIvEEEENSN_INSM_8argumentILj0EEEEENSM_5valueIfEEEEEEEEEEEE10hipError_tPvRmT3_T4_T5_T6_T7_T9_mT8_P12ihipStream_tbDpT10_ENKUlT_T0_E_clISt17integral_constantIbLb1EES1K_EEDaS1F_S1G_EUlS1F_E_NS1_11comp_targetILNS1_3genE10ELNS1_11target_archE1200ELNS1_3gpuE4ELNS1_3repE0EEENS1_30default_config_static_selectorELNS0_4arch9wavefront6targetE0EEEvT1_
		.amdhsa_group_segment_fixed_size 0
		.amdhsa_private_segment_fixed_size 0
		.amdhsa_kernarg_size 128
		.amdhsa_user_sgpr_count 2
		.amdhsa_user_sgpr_dispatch_ptr 0
		.amdhsa_user_sgpr_queue_ptr 0
		.amdhsa_user_sgpr_kernarg_segment_ptr 1
		.amdhsa_user_sgpr_dispatch_id 0
		.amdhsa_user_sgpr_private_segment_size 0
		.amdhsa_wavefront_size32 1
		.amdhsa_uses_dynamic_stack 0
		.amdhsa_enable_private_segment 0
		.amdhsa_system_sgpr_workgroup_id_x 1
		.amdhsa_system_sgpr_workgroup_id_y 0
		.amdhsa_system_sgpr_workgroup_id_z 0
		.amdhsa_system_sgpr_workgroup_info 0
		.amdhsa_system_vgpr_workitem_id 0
		.amdhsa_next_free_vgpr 1
		.amdhsa_next_free_sgpr 1
		.amdhsa_reserve_vcc 0
		.amdhsa_float_round_mode_32 0
		.amdhsa_float_round_mode_16_64 0
		.amdhsa_float_denorm_mode_32 3
		.amdhsa_float_denorm_mode_16_64 3
		.amdhsa_fp16_overflow 0
		.amdhsa_workgroup_processor_mode 1
		.amdhsa_memory_ordered 1
		.amdhsa_forward_progress 1
		.amdhsa_inst_pref_size 1
		.amdhsa_round_robin_scheduling 0
		.amdhsa_exception_fp_ieee_invalid_op 0
		.amdhsa_exception_fp_denorm_src 0
		.amdhsa_exception_fp_ieee_div_zero 0
		.amdhsa_exception_fp_ieee_overflow 0
		.amdhsa_exception_fp_ieee_underflow 0
		.amdhsa_exception_fp_ieee_inexact 0
		.amdhsa_exception_int_div_zero 0
	.end_amdhsa_kernel
	.section	.text._ZN7rocprim17ROCPRIM_400000_NS6detail17trampoline_kernelINS0_14default_configENS1_25partition_config_selectorILNS1_17partition_subalgoE6EfNS0_10empty_typeEbEEZZNS1_14partition_implILS5_6ELb0ES3_mN6thrust23THRUST_200600_302600_NS6detail15normal_iteratorINSA_10device_ptrIfEEEEPS6_SG_NS0_5tupleIJSF_S6_EEENSH_IJSG_SG_EEES6_PlJNSB_9not_fun_tINSB_10functional5actorINSM_9compositeIJNSM_27transparent_binary_operatorINSA_8equal_toIvEEEENSN_INSM_8argumentILj0EEEEENSM_5valueIfEEEEEEEEEEEE10hipError_tPvRmT3_T4_T5_T6_T7_T9_mT8_P12ihipStream_tbDpT10_ENKUlT_T0_E_clISt17integral_constantIbLb1EES1K_EEDaS1F_S1G_EUlS1F_E_NS1_11comp_targetILNS1_3genE10ELNS1_11target_archE1200ELNS1_3gpuE4ELNS1_3repE0EEENS1_30default_config_static_selectorELNS0_4arch9wavefront6targetE0EEEvT1_,"axG",@progbits,_ZN7rocprim17ROCPRIM_400000_NS6detail17trampoline_kernelINS0_14default_configENS1_25partition_config_selectorILNS1_17partition_subalgoE6EfNS0_10empty_typeEbEEZZNS1_14partition_implILS5_6ELb0ES3_mN6thrust23THRUST_200600_302600_NS6detail15normal_iteratorINSA_10device_ptrIfEEEEPS6_SG_NS0_5tupleIJSF_S6_EEENSH_IJSG_SG_EEES6_PlJNSB_9not_fun_tINSB_10functional5actorINSM_9compositeIJNSM_27transparent_binary_operatorINSA_8equal_toIvEEEENSN_INSM_8argumentILj0EEEEENSM_5valueIfEEEEEEEEEEEE10hipError_tPvRmT3_T4_T5_T6_T7_T9_mT8_P12ihipStream_tbDpT10_ENKUlT_T0_E_clISt17integral_constantIbLb1EES1K_EEDaS1F_S1G_EUlS1F_E_NS1_11comp_targetILNS1_3genE10ELNS1_11target_archE1200ELNS1_3gpuE4ELNS1_3repE0EEENS1_30default_config_static_selectorELNS0_4arch9wavefront6targetE0EEEvT1_,comdat
.Lfunc_end60:
	.size	_ZN7rocprim17ROCPRIM_400000_NS6detail17trampoline_kernelINS0_14default_configENS1_25partition_config_selectorILNS1_17partition_subalgoE6EfNS0_10empty_typeEbEEZZNS1_14partition_implILS5_6ELb0ES3_mN6thrust23THRUST_200600_302600_NS6detail15normal_iteratorINSA_10device_ptrIfEEEEPS6_SG_NS0_5tupleIJSF_S6_EEENSH_IJSG_SG_EEES6_PlJNSB_9not_fun_tINSB_10functional5actorINSM_9compositeIJNSM_27transparent_binary_operatorINSA_8equal_toIvEEEENSN_INSM_8argumentILj0EEEEENSM_5valueIfEEEEEEEEEEEE10hipError_tPvRmT3_T4_T5_T6_T7_T9_mT8_P12ihipStream_tbDpT10_ENKUlT_T0_E_clISt17integral_constantIbLb1EES1K_EEDaS1F_S1G_EUlS1F_E_NS1_11comp_targetILNS1_3genE10ELNS1_11target_archE1200ELNS1_3gpuE4ELNS1_3repE0EEENS1_30default_config_static_selectorELNS0_4arch9wavefront6targetE0EEEvT1_, .Lfunc_end60-_ZN7rocprim17ROCPRIM_400000_NS6detail17trampoline_kernelINS0_14default_configENS1_25partition_config_selectorILNS1_17partition_subalgoE6EfNS0_10empty_typeEbEEZZNS1_14partition_implILS5_6ELb0ES3_mN6thrust23THRUST_200600_302600_NS6detail15normal_iteratorINSA_10device_ptrIfEEEEPS6_SG_NS0_5tupleIJSF_S6_EEENSH_IJSG_SG_EEES6_PlJNSB_9not_fun_tINSB_10functional5actorINSM_9compositeIJNSM_27transparent_binary_operatorINSA_8equal_toIvEEEENSN_INSM_8argumentILj0EEEEENSM_5valueIfEEEEEEEEEEEE10hipError_tPvRmT3_T4_T5_T6_T7_T9_mT8_P12ihipStream_tbDpT10_ENKUlT_T0_E_clISt17integral_constantIbLb1EES1K_EEDaS1F_S1G_EUlS1F_E_NS1_11comp_targetILNS1_3genE10ELNS1_11target_archE1200ELNS1_3gpuE4ELNS1_3repE0EEENS1_30default_config_static_selectorELNS0_4arch9wavefront6targetE0EEEvT1_
                                        ; -- End function
	.set _ZN7rocprim17ROCPRIM_400000_NS6detail17trampoline_kernelINS0_14default_configENS1_25partition_config_selectorILNS1_17partition_subalgoE6EfNS0_10empty_typeEbEEZZNS1_14partition_implILS5_6ELb0ES3_mN6thrust23THRUST_200600_302600_NS6detail15normal_iteratorINSA_10device_ptrIfEEEEPS6_SG_NS0_5tupleIJSF_S6_EEENSH_IJSG_SG_EEES6_PlJNSB_9not_fun_tINSB_10functional5actorINSM_9compositeIJNSM_27transparent_binary_operatorINSA_8equal_toIvEEEENSN_INSM_8argumentILj0EEEEENSM_5valueIfEEEEEEEEEEEE10hipError_tPvRmT3_T4_T5_T6_T7_T9_mT8_P12ihipStream_tbDpT10_ENKUlT_T0_E_clISt17integral_constantIbLb1EES1K_EEDaS1F_S1G_EUlS1F_E_NS1_11comp_targetILNS1_3genE10ELNS1_11target_archE1200ELNS1_3gpuE4ELNS1_3repE0EEENS1_30default_config_static_selectorELNS0_4arch9wavefront6targetE0EEEvT1_.num_vgpr, 0
	.set _ZN7rocprim17ROCPRIM_400000_NS6detail17trampoline_kernelINS0_14default_configENS1_25partition_config_selectorILNS1_17partition_subalgoE6EfNS0_10empty_typeEbEEZZNS1_14partition_implILS5_6ELb0ES3_mN6thrust23THRUST_200600_302600_NS6detail15normal_iteratorINSA_10device_ptrIfEEEEPS6_SG_NS0_5tupleIJSF_S6_EEENSH_IJSG_SG_EEES6_PlJNSB_9not_fun_tINSB_10functional5actorINSM_9compositeIJNSM_27transparent_binary_operatorINSA_8equal_toIvEEEENSN_INSM_8argumentILj0EEEEENSM_5valueIfEEEEEEEEEEEE10hipError_tPvRmT3_T4_T5_T6_T7_T9_mT8_P12ihipStream_tbDpT10_ENKUlT_T0_E_clISt17integral_constantIbLb1EES1K_EEDaS1F_S1G_EUlS1F_E_NS1_11comp_targetILNS1_3genE10ELNS1_11target_archE1200ELNS1_3gpuE4ELNS1_3repE0EEENS1_30default_config_static_selectorELNS0_4arch9wavefront6targetE0EEEvT1_.num_agpr, 0
	.set _ZN7rocprim17ROCPRIM_400000_NS6detail17trampoline_kernelINS0_14default_configENS1_25partition_config_selectorILNS1_17partition_subalgoE6EfNS0_10empty_typeEbEEZZNS1_14partition_implILS5_6ELb0ES3_mN6thrust23THRUST_200600_302600_NS6detail15normal_iteratorINSA_10device_ptrIfEEEEPS6_SG_NS0_5tupleIJSF_S6_EEENSH_IJSG_SG_EEES6_PlJNSB_9not_fun_tINSB_10functional5actorINSM_9compositeIJNSM_27transparent_binary_operatorINSA_8equal_toIvEEEENSN_INSM_8argumentILj0EEEEENSM_5valueIfEEEEEEEEEEEE10hipError_tPvRmT3_T4_T5_T6_T7_T9_mT8_P12ihipStream_tbDpT10_ENKUlT_T0_E_clISt17integral_constantIbLb1EES1K_EEDaS1F_S1G_EUlS1F_E_NS1_11comp_targetILNS1_3genE10ELNS1_11target_archE1200ELNS1_3gpuE4ELNS1_3repE0EEENS1_30default_config_static_selectorELNS0_4arch9wavefront6targetE0EEEvT1_.numbered_sgpr, 0
	.set _ZN7rocprim17ROCPRIM_400000_NS6detail17trampoline_kernelINS0_14default_configENS1_25partition_config_selectorILNS1_17partition_subalgoE6EfNS0_10empty_typeEbEEZZNS1_14partition_implILS5_6ELb0ES3_mN6thrust23THRUST_200600_302600_NS6detail15normal_iteratorINSA_10device_ptrIfEEEEPS6_SG_NS0_5tupleIJSF_S6_EEENSH_IJSG_SG_EEES6_PlJNSB_9not_fun_tINSB_10functional5actorINSM_9compositeIJNSM_27transparent_binary_operatorINSA_8equal_toIvEEEENSN_INSM_8argumentILj0EEEEENSM_5valueIfEEEEEEEEEEEE10hipError_tPvRmT3_T4_T5_T6_T7_T9_mT8_P12ihipStream_tbDpT10_ENKUlT_T0_E_clISt17integral_constantIbLb1EES1K_EEDaS1F_S1G_EUlS1F_E_NS1_11comp_targetILNS1_3genE10ELNS1_11target_archE1200ELNS1_3gpuE4ELNS1_3repE0EEENS1_30default_config_static_selectorELNS0_4arch9wavefront6targetE0EEEvT1_.num_named_barrier, 0
	.set _ZN7rocprim17ROCPRIM_400000_NS6detail17trampoline_kernelINS0_14default_configENS1_25partition_config_selectorILNS1_17partition_subalgoE6EfNS0_10empty_typeEbEEZZNS1_14partition_implILS5_6ELb0ES3_mN6thrust23THRUST_200600_302600_NS6detail15normal_iteratorINSA_10device_ptrIfEEEEPS6_SG_NS0_5tupleIJSF_S6_EEENSH_IJSG_SG_EEES6_PlJNSB_9not_fun_tINSB_10functional5actorINSM_9compositeIJNSM_27transparent_binary_operatorINSA_8equal_toIvEEEENSN_INSM_8argumentILj0EEEEENSM_5valueIfEEEEEEEEEEEE10hipError_tPvRmT3_T4_T5_T6_T7_T9_mT8_P12ihipStream_tbDpT10_ENKUlT_T0_E_clISt17integral_constantIbLb1EES1K_EEDaS1F_S1G_EUlS1F_E_NS1_11comp_targetILNS1_3genE10ELNS1_11target_archE1200ELNS1_3gpuE4ELNS1_3repE0EEENS1_30default_config_static_selectorELNS0_4arch9wavefront6targetE0EEEvT1_.private_seg_size, 0
	.set _ZN7rocprim17ROCPRIM_400000_NS6detail17trampoline_kernelINS0_14default_configENS1_25partition_config_selectorILNS1_17partition_subalgoE6EfNS0_10empty_typeEbEEZZNS1_14partition_implILS5_6ELb0ES3_mN6thrust23THRUST_200600_302600_NS6detail15normal_iteratorINSA_10device_ptrIfEEEEPS6_SG_NS0_5tupleIJSF_S6_EEENSH_IJSG_SG_EEES6_PlJNSB_9not_fun_tINSB_10functional5actorINSM_9compositeIJNSM_27transparent_binary_operatorINSA_8equal_toIvEEEENSN_INSM_8argumentILj0EEEEENSM_5valueIfEEEEEEEEEEEE10hipError_tPvRmT3_T4_T5_T6_T7_T9_mT8_P12ihipStream_tbDpT10_ENKUlT_T0_E_clISt17integral_constantIbLb1EES1K_EEDaS1F_S1G_EUlS1F_E_NS1_11comp_targetILNS1_3genE10ELNS1_11target_archE1200ELNS1_3gpuE4ELNS1_3repE0EEENS1_30default_config_static_selectorELNS0_4arch9wavefront6targetE0EEEvT1_.uses_vcc, 0
	.set _ZN7rocprim17ROCPRIM_400000_NS6detail17trampoline_kernelINS0_14default_configENS1_25partition_config_selectorILNS1_17partition_subalgoE6EfNS0_10empty_typeEbEEZZNS1_14partition_implILS5_6ELb0ES3_mN6thrust23THRUST_200600_302600_NS6detail15normal_iteratorINSA_10device_ptrIfEEEEPS6_SG_NS0_5tupleIJSF_S6_EEENSH_IJSG_SG_EEES6_PlJNSB_9not_fun_tINSB_10functional5actorINSM_9compositeIJNSM_27transparent_binary_operatorINSA_8equal_toIvEEEENSN_INSM_8argumentILj0EEEEENSM_5valueIfEEEEEEEEEEEE10hipError_tPvRmT3_T4_T5_T6_T7_T9_mT8_P12ihipStream_tbDpT10_ENKUlT_T0_E_clISt17integral_constantIbLb1EES1K_EEDaS1F_S1G_EUlS1F_E_NS1_11comp_targetILNS1_3genE10ELNS1_11target_archE1200ELNS1_3gpuE4ELNS1_3repE0EEENS1_30default_config_static_selectorELNS0_4arch9wavefront6targetE0EEEvT1_.uses_flat_scratch, 0
	.set _ZN7rocprim17ROCPRIM_400000_NS6detail17trampoline_kernelINS0_14default_configENS1_25partition_config_selectorILNS1_17partition_subalgoE6EfNS0_10empty_typeEbEEZZNS1_14partition_implILS5_6ELb0ES3_mN6thrust23THRUST_200600_302600_NS6detail15normal_iteratorINSA_10device_ptrIfEEEEPS6_SG_NS0_5tupleIJSF_S6_EEENSH_IJSG_SG_EEES6_PlJNSB_9not_fun_tINSB_10functional5actorINSM_9compositeIJNSM_27transparent_binary_operatorINSA_8equal_toIvEEEENSN_INSM_8argumentILj0EEEEENSM_5valueIfEEEEEEEEEEEE10hipError_tPvRmT3_T4_T5_T6_T7_T9_mT8_P12ihipStream_tbDpT10_ENKUlT_T0_E_clISt17integral_constantIbLb1EES1K_EEDaS1F_S1G_EUlS1F_E_NS1_11comp_targetILNS1_3genE10ELNS1_11target_archE1200ELNS1_3gpuE4ELNS1_3repE0EEENS1_30default_config_static_selectorELNS0_4arch9wavefront6targetE0EEEvT1_.has_dyn_sized_stack, 0
	.set _ZN7rocprim17ROCPRIM_400000_NS6detail17trampoline_kernelINS0_14default_configENS1_25partition_config_selectorILNS1_17partition_subalgoE6EfNS0_10empty_typeEbEEZZNS1_14partition_implILS5_6ELb0ES3_mN6thrust23THRUST_200600_302600_NS6detail15normal_iteratorINSA_10device_ptrIfEEEEPS6_SG_NS0_5tupleIJSF_S6_EEENSH_IJSG_SG_EEES6_PlJNSB_9not_fun_tINSB_10functional5actorINSM_9compositeIJNSM_27transparent_binary_operatorINSA_8equal_toIvEEEENSN_INSM_8argumentILj0EEEEENSM_5valueIfEEEEEEEEEEEE10hipError_tPvRmT3_T4_T5_T6_T7_T9_mT8_P12ihipStream_tbDpT10_ENKUlT_T0_E_clISt17integral_constantIbLb1EES1K_EEDaS1F_S1G_EUlS1F_E_NS1_11comp_targetILNS1_3genE10ELNS1_11target_archE1200ELNS1_3gpuE4ELNS1_3repE0EEENS1_30default_config_static_selectorELNS0_4arch9wavefront6targetE0EEEvT1_.has_recursion, 0
	.set _ZN7rocprim17ROCPRIM_400000_NS6detail17trampoline_kernelINS0_14default_configENS1_25partition_config_selectorILNS1_17partition_subalgoE6EfNS0_10empty_typeEbEEZZNS1_14partition_implILS5_6ELb0ES3_mN6thrust23THRUST_200600_302600_NS6detail15normal_iteratorINSA_10device_ptrIfEEEEPS6_SG_NS0_5tupleIJSF_S6_EEENSH_IJSG_SG_EEES6_PlJNSB_9not_fun_tINSB_10functional5actorINSM_9compositeIJNSM_27transparent_binary_operatorINSA_8equal_toIvEEEENSN_INSM_8argumentILj0EEEEENSM_5valueIfEEEEEEEEEEEE10hipError_tPvRmT3_T4_T5_T6_T7_T9_mT8_P12ihipStream_tbDpT10_ENKUlT_T0_E_clISt17integral_constantIbLb1EES1K_EEDaS1F_S1G_EUlS1F_E_NS1_11comp_targetILNS1_3genE10ELNS1_11target_archE1200ELNS1_3gpuE4ELNS1_3repE0EEENS1_30default_config_static_selectorELNS0_4arch9wavefront6targetE0EEEvT1_.has_indirect_call, 0
	.section	.AMDGPU.csdata,"",@progbits
; Kernel info:
; codeLenInByte = 4
; TotalNumSgprs: 0
; NumVgprs: 0
; ScratchSize: 0
; MemoryBound: 0
; FloatMode: 240
; IeeeMode: 1
; LDSByteSize: 0 bytes/workgroup (compile time only)
; SGPRBlocks: 0
; VGPRBlocks: 0
; NumSGPRsForWavesPerEU: 1
; NumVGPRsForWavesPerEU: 1
; Occupancy: 16
; WaveLimiterHint : 0
; COMPUTE_PGM_RSRC2:SCRATCH_EN: 0
; COMPUTE_PGM_RSRC2:USER_SGPR: 2
; COMPUTE_PGM_RSRC2:TRAP_HANDLER: 0
; COMPUTE_PGM_RSRC2:TGID_X_EN: 1
; COMPUTE_PGM_RSRC2:TGID_Y_EN: 0
; COMPUTE_PGM_RSRC2:TGID_Z_EN: 0
; COMPUTE_PGM_RSRC2:TIDIG_COMP_CNT: 0
	.section	.text._ZN7rocprim17ROCPRIM_400000_NS6detail17trampoline_kernelINS0_14default_configENS1_25partition_config_selectorILNS1_17partition_subalgoE6EfNS0_10empty_typeEbEEZZNS1_14partition_implILS5_6ELb0ES3_mN6thrust23THRUST_200600_302600_NS6detail15normal_iteratorINSA_10device_ptrIfEEEEPS6_SG_NS0_5tupleIJSF_S6_EEENSH_IJSG_SG_EEES6_PlJNSB_9not_fun_tINSB_10functional5actorINSM_9compositeIJNSM_27transparent_binary_operatorINSA_8equal_toIvEEEENSN_INSM_8argumentILj0EEEEENSM_5valueIfEEEEEEEEEEEE10hipError_tPvRmT3_T4_T5_T6_T7_T9_mT8_P12ihipStream_tbDpT10_ENKUlT_T0_E_clISt17integral_constantIbLb1EES1K_EEDaS1F_S1G_EUlS1F_E_NS1_11comp_targetILNS1_3genE9ELNS1_11target_archE1100ELNS1_3gpuE3ELNS1_3repE0EEENS1_30default_config_static_selectorELNS0_4arch9wavefront6targetE0EEEvT1_,"axG",@progbits,_ZN7rocprim17ROCPRIM_400000_NS6detail17trampoline_kernelINS0_14default_configENS1_25partition_config_selectorILNS1_17partition_subalgoE6EfNS0_10empty_typeEbEEZZNS1_14partition_implILS5_6ELb0ES3_mN6thrust23THRUST_200600_302600_NS6detail15normal_iteratorINSA_10device_ptrIfEEEEPS6_SG_NS0_5tupleIJSF_S6_EEENSH_IJSG_SG_EEES6_PlJNSB_9not_fun_tINSB_10functional5actorINSM_9compositeIJNSM_27transparent_binary_operatorINSA_8equal_toIvEEEENSN_INSM_8argumentILj0EEEEENSM_5valueIfEEEEEEEEEEEE10hipError_tPvRmT3_T4_T5_T6_T7_T9_mT8_P12ihipStream_tbDpT10_ENKUlT_T0_E_clISt17integral_constantIbLb1EES1K_EEDaS1F_S1G_EUlS1F_E_NS1_11comp_targetILNS1_3genE9ELNS1_11target_archE1100ELNS1_3gpuE3ELNS1_3repE0EEENS1_30default_config_static_selectorELNS0_4arch9wavefront6targetE0EEEvT1_,comdat
	.protected	_ZN7rocprim17ROCPRIM_400000_NS6detail17trampoline_kernelINS0_14default_configENS1_25partition_config_selectorILNS1_17partition_subalgoE6EfNS0_10empty_typeEbEEZZNS1_14partition_implILS5_6ELb0ES3_mN6thrust23THRUST_200600_302600_NS6detail15normal_iteratorINSA_10device_ptrIfEEEEPS6_SG_NS0_5tupleIJSF_S6_EEENSH_IJSG_SG_EEES6_PlJNSB_9not_fun_tINSB_10functional5actorINSM_9compositeIJNSM_27transparent_binary_operatorINSA_8equal_toIvEEEENSN_INSM_8argumentILj0EEEEENSM_5valueIfEEEEEEEEEEEE10hipError_tPvRmT3_T4_T5_T6_T7_T9_mT8_P12ihipStream_tbDpT10_ENKUlT_T0_E_clISt17integral_constantIbLb1EES1K_EEDaS1F_S1G_EUlS1F_E_NS1_11comp_targetILNS1_3genE9ELNS1_11target_archE1100ELNS1_3gpuE3ELNS1_3repE0EEENS1_30default_config_static_selectorELNS0_4arch9wavefront6targetE0EEEvT1_ ; -- Begin function _ZN7rocprim17ROCPRIM_400000_NS6detail17trampoline_kernelINS0_14default_configENS1_25partition_config_selectorILNS1_17partition_subalgoE6EfNS0_10empty_typeEbEEZZNS1_14partition_implILS5_6ELb0ES3_mN6thrust23THRUST_200600_302600_NS6detail15normal_iteratorINSA_10device_ptrIfEEEEPS6_SG_NS0_5tupleIJSF_S6_EEENSH_IJSG_SG_EEES6_PlJNSB_9not_fun_tINSB_10functional5actorINSM_9compositeIJNSM_27transparent_binary_operatorINSA_8equal_toIvEEEENSN_INSM_8argumentILj0EEEEENSM_5valueIfEEEEEEEEEEEE10hipError_tPvRmT3_T4_T5_T6_T7_T9_mT8_P12ihipStream_tbDpT10_ENKUlT_T0_E_clISt17integral_constantIbLb1EES1K_EEDaS1F_S1G_EUlS1F_E_NS1_11comp_targetILNS1_3genE9ELNS1_11target_archE1100ELNS1_3gpuE3ELNS1_3repE0EEENS1_30default_config_static_selectorELNS0_4arch9wavefront6targetE0EEEvT1_
	.globl	_ZN7rocprim17ROCPRIM_400000_NS6detail17trampoline_kernelINS0_14default_configENS1_25partition_config_selectorILNS1_17partition_subalgoE6EfNS0_10empty_typeEbEEZZNS1_14partition_implILS5_6ELb0ES3_mN6thrust23THRUST_200600_302600_NS6detail15normal_iteratorINSA_10device_ptrIfEEEEPS6_SG_NS0_5tupleIJSF_S6_EEENSH_IJSG_SG_EEES6_PlJNSB_9not_fun_tINSB_10functional5actorINSM_9compositeIJNSM_27transparent_binary_operatorINSA_8equal_toIvEEEENSN_INSM_8argumentILj0EEEEENSM_5valueIfEEEEEEEEEEEE10hipError_tPvRmT3_T4_T5_T6_T7_T9_mT8_P12ihipStream_tbDpT10_ENKUlT_T0_E_clISt17integral_constantIbLb1EES1K_EEDaS1F_S1G_EUlS1F_E_NS1_11comp_targetILNS1_3genE9ELNS1_11target_archE1100ELNS1_3gpuE3ELNS1_3repE0EEENS1_30default_config_static_selectorELNS0_4arch9wavefront6targetE0EEEvT1_
	.p2align	8
	.type	_ZN7rocprim17ROCPRIM_400000_NS6detail17trampoline_kernelINS0_14default_configENS1_25partition_config_selectorILNS1_17partition_subalgoE6EfNS0_10empty_typeEbEEZZNS1_14partition_implILS5_6ELb0ES3_mN6thrust23THRUST_200600_302600_NS6detail15normal_iteratorINSA_10device_ptrIfEEEEPS6_SG_NS0_5tupleIJSF_S6_EEENSH_IJSG_SG_EEES6_PlJNSB_9not_fun_tINSB_10functional5actorINSM_9compositeIJNSM_27transparent_binary_operatorINSA_8equal_toIvEEEENSN_INSM_8argumentILj0EEEEENSM_5valueIfEEEEEEEEEEEE10hipError_tPvRmT3_T4_T5_T6_T7_T9_mT8_P12ihipStream_tbDpT10_ENKUlT_T0_E_clISt17integral_constantIbLb1EES1K_EEDaS1F_S1G_EUlS1F_E_NS1_11comp_targetILNS1_3genE9ELNS1_11target_archE1100ELNS1_3gpuE3ELNS1_3repE0EEENS1_30default_config_static_selectorELNS0_4arch9wavefront6targetE0EEEvT1_,@function
_ZN7rocprim17ROCPRIM_400000_NS6detail17trampoline_kernelINS0_14default_configENS1_25partition_config_selectorILNS1_17partition_subalgoE6EfNS0_10empty_typeEbEEZZNS1_14partition_implILS5_6ELb0ES3_mN6thrust23THRUST_200600_302600_NS6detail15normal_iteratorINSA_10device_ptrIfEEEEPS6_SG_NS0_5tupleIJSF_S6_EEENSH_IJSG_SG_EEES6_PlJNSB_9not_fun_tINSB_10functional5actorINSM_9compositeIJNSM_27transparent_binary_operatorINSA_8equal_toIvEEEENSN_INSM_8argumentILj0EEEEENSM_5valueIfEEEEEEEEEEEE10hipError_tPvRmT3_T4_T5_T6_T7_T9_mT8_P12ihipStream_tbDpT10_ENKUlT_T0_E_clISt17integral_constantIbLb1EES1K_EEDaS1F_S1G_EUlS1F_E_NS1_11comp_targetILNS1_3genE9ELNS1_11target_archE1100ELNS1_3gpuE3ELNS1_3repE0EEENS1_30default_config_static_selectorELNS0_4arch9wavefront6targetE0EEEvT1_: ; @_ZN7rocprim17ROCPRIM_400000_NS6detail17trampoline_kernelINS0_14default_configENS1_25partition_config_selectorILNS1_17partition_subalgoE6EfNS0_10empty_typeEbEEZZNS1_14partition_implILS5_6ELb0ES3_mN6thrust23THRUST_200600_302600_NS6detail15normal_iteratorINSA_10device_ptrIfEEEEPS6_SG_NS0_5tupleIJSF_S6_EEENSH_IJSG_SG_EEES6_PlJNSB_9not_fun_tINSB_10functional5actorINSM_9compositeIJNSM_27transparent_binary_operatorINSA_8equal_toIvEEEENSN_INSM_8argumentILj0EEEEENSM_5valueIfEEEEEEEEEEEE10hipError_tPvRmT3_T4_T5_T6_T7_T9_mT8_P12ihipStream_tbDpT10_ENKUlT_T0_E_clISt17integral_constantIbLb1EES1K_EEDaS1F_S1G_EUlS1F_E_NS1_11comp_targetILNS1_3genE9ELNS1_11target_archE1100ELNS1_3gpuE3ELNS1_3repE0EEENS1_30default_config_static_selectorELNS0_4arch9wavefront6targetE0EEEvT1_
; %bb.0:
	.section	.rodata,"a",@progbits
	.p2align	6, 0x0
	.amdhsa_kernel _ZN7rocprim17ROCPRIM_400000_NS6detail17trampoline_kernelINS0_14default_configENS1_25partition_config_selectorILNS1_17partition_subalgoE6EfNS0_10empty_typeEbEEZZNS1_14partition_implILS5_6ELb0ES3_mN6thrust23THRUST_200600_302600_NS6detail15normal_iteratorINSA_10device_ptrIfEEEEPS6_SG_NS0_5tupleIJSF_S6_EEENSH_IJSG_SG_EEES6_PlJNSB_9not_fun_tINSB_10functional5actorINSM_9compositeIJNSM_27transparent_binary_operatorINSA_8equal_toIvEEEENSN_INSM_8argumentILj0EEEEENSM_5valueIfEEEEEEEEEEEE10hipError_tPvRmT3_T4_T5_T6_T7_T9_mT8_P12ihipStream_tbDpT10_ENKUlT_T0_E_clISt17integral_constantIbLb1EES1K_EEDaS1F_S1G_EUlS1F_E_NS1_11comp_targetILNS1_3genE9ELNS1_11target_archE1100ELNS1_3gpuE3ELNS1_3repE0EEENS1_30default_config_static_selectorELNS0_4arch9wavefront6targetE0EEEvT1_
		.amdhsa_group_segment_fixed_size 0
		.amdhsa_private_segment_fixed_size 0
		.amdhsa_kernarg_size 128
		.amdhsa_user_sgpr_count 2
		.amdhsa_user_sgpr_dispatch_ptr 0
		.amdhsa_user_sgpr_queue_ptr 0
		.amdhsa_user_sgpr_kernarg_segment_ptr 1
		.amdhsa_user_sgpr_dispatch_id 0
		.amdhsa_user_sgpr_private_segment_size 0
		.amdhsa_wavefront_size32 1
		.amdhsa_uses_dynamic_stack 0
		.amdhsa_enable_private_segment 0
		.amdhsa_system_sgpr_workgroup_id_x 1
		.amdhsa_system_sgpr_workgroup_id_y 0
		.amdhsa_system_sgpr_workgroup_id_z 0
		.amdhsa_system_sgpr_workgroup_info 0
		.amdhsa_system_vgpr_workitem_id 0
		.amdhsa_next_free_vgpr 1
		.amdhsa_next_free_sgpr 1
		.amdhsa_reserve_vcc 0
		.amdhsa_float_round_mode_32 0
		.amdhsa_float_round_mode_16_64 0
		.amdhsa_float_denorm_mode_32 3
		.amdhsa_float_denorm_mode_16_64 3
		.amdhsa_fp16_overflow 0
		.amdhsa_workgroup_processor_mode 1
		.amdhsa_memory_ordered 1
		.amdhsa_forward_progress 1
		.amdhsa_inst_pref_size 0
		.amdhsa_round_robin_scheduling 0
		.amdhsa_exception_fp_ieee_invalid_op 0
		.amdhsa_exception_fp_denorm_src 0
		.amdhsa_exception_fp_ieee_div_zero 0
		.amdhsa_exception_fp_ieee_overflow 0
		.amdhsa_exception_fp_ieee_underflow 0
		.amdhsa_exception_fp_ieee_inexact 0
		.amdhsa_exception_int_div_zero 0
	.end_amdhsa_kernel
	.section	.text._ZN7rocprim17ROCPRIM_400000_NS6detail17trampoline_kernelINS0_14default_configENS1_25partition_config_selectorILNS1_17partition_subalgoE6EfNS0_10empty_typeEbEEZZNS1_14partition_implILS5_6ELb0ES3_mN6thrust23THRUST_200600_302600_NS6detail15normal_iteratorINSA_10device_ptrIfEEEEPS6_SG_NS0_5tupleIJSF_S6_EEENSH_IJSG_SG_EEES6_PlJNSB_9not_fun_tINSB_10functional5actorINSM_9compositeIJNSM_27transparent_binary_operatorINSA_8equal_toIvEEEENSN_INSM_8argumentILj0EEEEENSM_5valueIfEEEEEEEEEEEE10hipError_tPvRmT3_T4_T5_T6_T7_T9_mT8_P12ihipStream_tbDpT10_ENKUlT_T0_E_clISt17integral_constantIbLb1EES1K_EEDaS1F_S1G_EUlS1F_E_NS1_11comp_targetILNS1_3genE9ELNS1_11target_archE1100ELNS1_3gpuE3ELNS1_3repE0EEENS1_30default_config_static_selectorELNS0_4arch9wavefront6targetE0EEEvT1_,"axG",@progbits,_ZN7rocprim17ROCPRIM_400000_NS6detail17trampoline_kernelINS0_14default_configENS1_25partition_config_selectorILNS1_17partition_subalgoE6EfNS0_10empty_typeEbEEZZNS1_14partition_implILS5_6ELb0ES3_mN6thrust23THRUST_200600_302600_NS6detail15normal_iteratorINSA_10device_ptrIfEEEEPS6_SG_NS0_5tupleIJSF_S6_EEENSH_IJSG_SG_EEES6_PlJNSB_9not_fun_tINSB_10functional5actorINSM_9compositeIJNSM_27transparent_binary_operatorINSA_8equal_toIvEEEENSN_INSM_8argumentILj0EEEEENSM_5valueIfEEEEEEEEEEEE10hipError_tPvRmT3_T4_T5_T6_T7_T9_mT8_P12ihipStream_tbDpT10_ENKUlT_T0_E_clISt17integral_constantIbLb1EES1K_EEDaS1F_S1G_EUlS1F_E_NS1_11comp_targetILNS1_3genE9ELNS1_11target_archE1100ELNS1_3gpuE3ELNS1_3repE0EEENS1_30default_config_static_selectorELNS0_4arch9wavefront6targetE0EEEvT1_,comdat
.Lfunc_end61:
	.size	_ZN7rocprim17ROCPRIM_400000_NS6detail17trampoline_kernelINS0_14default_configENS1_25partition_config_selectorILNS1_17partition_subalgoE6EfNS0_10empty_typeEbEEZZNS1_14partition_implILS5_6ELb0ES3_mN6thrust23THRUST_200600_302600_NS6detail15normal_iteratorINSA_10device_ptrIfEEEEPS6_SG_NS0_5tupleIJSF_S6_EEENSH_IJSG_SG_EEES6_PlJNSB_9not_fun_tINSB_10functional5actorINSM_9compositeIJNSM_27transparent_binary_operatorINSA_8equal_toIvEEEENSN_INSM_8argumentILj0EEEEENSM_5valueIfEEEEEEEEEEEE10hipError_tPvRmT3_T4_T5_T6_T7_T9_mT8_P12ihipStream_tbDpT10_ENKUlT_T0_E_clISt17integral_constantIbLb1EES1K_EEDaS1F_S1G_EUlS1F_E_NS1_11comp_targetILNS1_3genE9ELNS1_11target_archE1100ELNS1_3gpuE3ELNS1_3repE0EEENS1_30default_config_static_selectorELNS0_4arch9wavefront6targetE0EEEvT1_, .Lfunc_end61-_ZN7rocprim17ROCPRIM_400000_NS6detail17trampoline_kernelINS0_14default_configENS1_25partition_config_selectorILNS1_17partition_subalgoE6EfNS0_10empty_typeEbEEZZNS1_14partition_implILS5_6ELb0ES3_mN6thrust23THRUST_200600_302600_NS6detail15normal_iteratorINSA_10device_ptrIfEEEEPS6_SG_NS0_5tupleIJSF_S6_EEENSH_IJSG_SG_EEES6_PlJNSB_9not_fun_tINSB_10functional5actorINSM_9compositeIJNSM_27transparent_binary_operatorINSA_8equal_toIvEEEENSN_INSM_8argumentILj0EEEEENSM_5valueIfEEEEEEEEEEEE10hipError_tPvRmT3_T4_T5_T6_T7_T9_mT8_P12ihipStream_tbDpT10_ENKUlT_T0_E_clISt17integral_constantIbLb1EES1K_EEDaS1F_S1G_EUlS1F_E_NS1_11comp_targetILNS1_3genE9ELNS1_11target_archE1100ELNS1_3gpuE3ELNS1_3repE0EEENS1_30default_config_static_selectorELNS0_4arch9wavefront6targetE0EEEvT1_
                                        ; -- End function
	.set _ZN7rocprim17ROCPRIM_400000_NS6detail17trampoline_kernelINS0_14default_configENS1_25partition_config_selectorILNS1_17partition_subalgoE6EfNS0_10empty_typeEbEEZZNS1_14partition_implILS5_6ELb0ES3_mN6thrust23THRUST_200600_302600_NS6detail15normal_iteratorINSA_10device_ptrIfEEEEPS6_SG_NS0_5tupleIJSF_S6_EEENSH_IJSG_SG_EEES6_PlJNSB_9not_fun_tINSB_10functional5actorINSM_9compositeIJNSM_27transparent_binary_operatorINSA_8equal_toIvEEEENSN_INSM_8argumentILj0EEEEENSM_5valueIfEEEEEEEEEEEE10hipError_tPvRmT3_T4_T5_T6_T7_T9_mT8_P12ihipStream_tbDpT10_ENKUlT_T0_E_clISt17integral_constantIbLb1EES1K_EEDaS1F_S1G_EUlS1F_E_NS1_11comp_targetILNS1_3genE9ELNS1_11target_archE1100ELNS1_3gpuE3ELNS1_3repE0EEENS1_30default_config_static_selectorELNS0_4arch9wavefront6targetE0EEEvT1_.num_vgpr, 0
	.set _ZN7rocprim17ROCPRIM_400000_NS6detail17trampoline_kernelINS0_14default_configENS1_25partition_config_selectorILNS1_17partition_subalgoE6EfNS0_10empty_typeEbEEZZNS1_14partition_implILS5_6ELb0ES3_mN6thrust23THRUST_200600_302600_NS6detail15normal_iteratorINSA_10device_ptrIfEEEEPS6_SG_NS0_5tupleIJSF_S6_EEENSH_IJSG_SG_EEES6_PlJNSB_9not_fun_tINSB_10functional5actorINSM_9compositeIJNSM_27transparent_binary_operatorINSA_8equal_toIvEEEENSN_INSM_8argumentILj0EEEEENSM_5valueIfEEEEEEEEEEEE10hipError_tPvRmT3_T4_T5_T6_T7_T9_mT8_P12ihipStream_tbDpT10_ENKUlT_T0_E_clISt17integral_constantIbLb1EES1K_EEDaS1F_S1G_EUlS1F_E_NS1_11comp_targetILNS1_3genE9ELNS1_11target_archE1100ELNS1_3gpuE3ELNS1_3repE0EEENS1_30default_config_static_selectorELNS0_4arch9wavefront6targetE0EEEvT1_.num_agpr, 0
	.set _ZN7rocprim17ROCPRIM_400000_NS6detail17trampoline_kernelINS0_14default_configENS1_25partition_config_selectorILNS1_17partition_subalgoE6EfNS0_10empty_typeEbEEZZNS1_14partition_implILS5_6ELb0ES3_mN6thrust23THRUST_200600_302600_NS6detail15normal_iteratorINSA_10device_ptrIfEEEEPS6_SG_NS0_5tupleIJSF_S6_EEENSH_IJSG_SG_EEES6_PlJNSB_9not_fun_tINSB_10functional5actorINSM_9compositeIJNSM_27transparent_binary_operatorINSA_8equal_toIvEEEENSN_INSM_8argumentILj0EEEEENSM_5valueIfEEEEEEEEEEEE10hipError_tPvRmT3_T4_T5_T6_T7_T9_mT8_P12ihipStream_tbDpT10_ENKUlT_T0_E_clISt17integral_constantIbLb1EES1K_EEDaS1F_S1G_EUlS1F_E_NS1_11comp_targetILNS1_3genE9ELNS1_11target_archE1100ELNS1_3gpuE3ELNS1_3repE0EEENS1_30default_config_static_selectorELNS0_4arch9wavefront6targetE0EEEvT1_.numbered_sgpr, 0
	.set _ZN7rocprim17ROCPRIM_400000_NS6detail17trampoline_kernelINS0_14default_configENS1_25partition_config_selectorILNS1_17partition_subalgoE6EfNS0_10empty_typeEbEEZZNS1_14partition_implILS5_6ELb0ES3_mN6thrust23THRUST_200600_302600_NS6detail15normal_iteratorINSA_10device_ptrIfEEEEPS6_SG_NS0_5tupleIJSF_S6_EEENSH_IJSG_SG_EEES6_PlJNSB_9not_fun_tINSB_10functional5actorINSM_9compositeIJNSM_27transparent_binary_operatorINSA_8equal_toIvEEEENSN_INSM_8argumentILj0EEEEENSM_5valueIfEEEEEEEEEEEE10hipError_tPvRmT3_T4_T5_T6_T7_T9_mT8_P12ihipStream_tbDpT10_ENKUlT_T0_E_clISt17integral_constantIbLb1EES1K_EEDaS1F_S1G_EUlS1F_E_NS1_11comp_targetILNS1_3genE9ELNS1_11target_archE1100ELNS1_3gpuE3ELNS1_3repE0EEENS1_30default_config_static_selectorELNS0_4arch9wavefront6targetE0EEEvT1_.num_named_barrier, 0
	.set _ZN7rocprim17ROCPRIM_400000_NS6detail17trampoline_kernelINS0_14default_configENS1_25partition_config_selectorILNS1_17partition_subalgoE6EfNS0_10empty_typeEbEEZZNS1_14partition_implILS5_6ELb0ES3_mN6thrust23THRUST_200600_302600_NS6detail15normal_iteratorINSA_10device_ptrIfEEEEPS6_SG_NS0_5tupleIJSF_S6_EEENSH_IJSG_SG_EEES6_PlJNSB_9not_fun_tINSB_10functional5actorINSM_9compositeIJNSM_27transparent_binary_operatorINSA_8equal_toIvEEEENSN_INSM_8argumentILj0EEEEENSM_5valueIfEEEEEEEEEEEE10hipError_tPvRmT3_T4_T5_T6_T7_T9_mT8_P12ihipStream_tbDpT10_ENKUlT_T0_E_clISt17integral_constantIbLb1EES1K_EEDaS1F_S1G_EUlS1F_E_NS1_11comp_targetILNS1_3genE9ELNS1_11target_archE1100ELNS1_3gpuE3ELNS1_3repE0EEENS1_30default_config_static_selectorELNS0_4arch9wavefront6targetE0EEEvT1_.private_seg_size, 0
	.set _ZN7rocprim17ROCPRIM_400000_NS6detail17trampoline_kernelINS0_14default_configENS1_25partition_config_selectorILNS1_17partition_subalgoE6EfNS0_10empty_typeEbEEZZNS1_14partition_implILS5_6ELb0ES3_mN6thrust23THRUST_200600_302600_NS6detail15normal_iteratorINSA_10device_ptrIfEEEEPS6_SG_NS0_5tupleIJSF_S6_EEENSH_IJSG_SG_EEES6_PlJNSB_9not_fun_tINSB_10functional5actorINSM_9compositeIJNSM_27transparent_binary_operatorINSA_8equal_toIvEEEENSN_INSM_8argumentILj0EEEEENSM_5valueIfEEEEEEEEEEEE10hipError_tPvRmT3_T4_T5_T6_T7_T9_mT8_P12ihipStream_tbDpT10_ENKUlT_T0_E_clISt17integral_constantIbLb1EES1K_EEDaS1F_S1G_EUlS1F_E_NS1_11comp_targetILNS1_3genE9ELNS1_11target_archE1100ELNS1_3gpuE3ELNS1_3repE0EEENS1_30default_config_static_selectorELNS0_4arch9wavefront6targetE0EEEvT1_.uses_vcc, 0
	.set _ZN7rocprim17ROCPRIM_400000_NS6detail17trampoline_kernelINS0_14default_configENS1_25partition_config_selectorILNS1_17partition_subalgoE6EfNS0_10empty_typeEbEEZZNS1_14partition_implILS5_6ELb0ES3_mN6thrust23THRUST_200600_302600_NS6detail15normal_iteratorINSA_10device_ptrIfEEEEPS6_SG_NS0_5tupleIJSF_S6_EEENSH_IJSG_SG_EEES6_PlJNSB_9not_fun_tINSB_10functional5actorINSM_9compositeIJNSM_27transparent_binary_operatorINSA_8equal_toIvEEEENSN_INSM_8argumentILj0EEEEENSM_5valueIfEEEEEEEEEEEE10hipError_tPvRmT3_T4_T5_T6_T7_T9_mT8_P12ihipStream_tbDpT10_ENKUlT_T0_E_clISt17integral_constantIbLb1EES1K_EEDaS1F_S1G_EUlS1F_E_NS1_11comp_targetILNS1_3genE9ELNS1_11target_archE1100ELNS1_3gpuE3ELNS1_3repE0EEENS1_30default_config_static_selectorELNS0_4arch9wavefront6targetE0EEEvT1_.uses_flat_scratch, 0
	.set _ZN7rocprim17ROCPRIM_400000_NS6detail17trampoline_kernelINS0_14default_configENS1_25partition_config_selectorILNS1_17partition_subalgoE6EfNS0_10empty_typeEbEEZZNS1_14partition_implILS5_6ELb0ES3_mN6thrust23THRUST_200600_302600_NS6detail15normal_iteratorINSA_10device_ptrIfEEEEPS6_SG_NS0_5tupleIJSF_S6_EEENSH_IJSG_SG_EEES6_PlJNSB_9not_fun_tINSB_10functional5actorINSM_9compositeIJNSM_27transparent_binary_operatorINSA_8equal_toIvEEEENSN_INSM_8argumentILj0EEEEENSM_5valueIfEEEEEEEEEEEE10hipError_tPvRmT3_T4_T5_T6_T7_T9_mT8_P12ihipStream_tbDpT10_ENKUlT_T0_E_clISt17integral_constantIbLb1EES1K_EEDaS1F_S1G_EUlS1F_E_NS1_11comp_targetILNS1_3genE9ELNS1_11target_archE1100ELNS1_3gpuE3ELNS1_3repE0EEENS1_30default_config_static_selectorELNS0_4arch9wavefront6targetE0EEEvT1_.has_dyn_sized_stack, 0
	.set _ZN7rocprim17ROCPRIM_400000_NS6detail17trampoline_kernelINS0_14default_configENS1_25partition_config_selectorILNS1_17partition_subalgoE6EfNS0_10empty_typeEbEEZZNS1_14partition_implILS5_6ELb0ES3_mN6thrust23THRUST_200600_302600_NS6detail15normal_iteratorINSA_10device_ptrIfEEEEPS6_SG_NS0_5tupleIJSF_S6_EEENSH_IJSG_SG_EEES6_PlJNSB_9not_fun_tINSB_10functional5actorINSM_9compositeIJNSM_27transparent_binary_operatorINSA_8equal_toIvEEEENSN_INSM_8argumentILj0EEEEENSM_5valueIfEEEEEEEEEEEE10hipError_tPvRmT3_T4_T5_T6_T7_T9_mT8_P12ihipStream_tbDpT10_ENKUlT_T0_E_clISt17integral_constantIbLb1EES1K_EEDaS1F_S1G_EUlS1F_E_NS1_11comp_targetILNS1_3genE9ELNS1_11target_archE1100ELNS1_3gpuE3ELNS1_3repE0EEENS1_30default_config_static_selectorELNS0_4arch9wavefront6targetE0EEEvT1_.has_recursion, 0
	.set _ZN7rocprim17ROCPRIM_400000_NS6detail17trampoline_kernelINS0_14default_configENS1_25partition_config_selectorILNS1_17partition_subalgoE6EfNS0_10empty_typeEbEEZZNS1_14partition_implILS5_6ELb0ES3_mN6thrust23THRUST_200600_302600_NS6detail15normal_iteratorINSA_10device_ptrIfEEEEPS6_SG_NS0_5tupleIJSF_S6_EEENSH_IJSG_SG_EEES6_PlJNSB_9not_fun_tINSB_10functional5actorINSM_9compositeIJNSM_27transparent_binary_operatorINSA_8equal_toIvEEEENSN_INSM_8argumentILj0EEEEENSM_5valueIfEEEEEEEEEEEE10hipError_tPvRmT3_T4_T5_T6_T7_T9_mT8_P12ihipStream_tbDpT10_ENKUlT_T0_E_clISt17integral_constantIbLb1EES1K_EEDaS1F_S1G_EUlS1F_E_NS1_11comp_targetILNS1_3genE9ELNS1_11target_archE1100ELNS1_3gpuE3ELNS1_3repE0EEENS1_30default_config_static_selectorELNS0_4arch9wavefront6targetE0EEEvT1_.has_indirect_call, 0
	.section	.AMDGPU.csdata,"",@progbits
; Kernel info:
; codeLenInByte = 0
; TotalNumSgprs: 0
; NumVgprs: 0
; ScratchSize: 0
; MemoryBound: 0
; FloatMode: 240
; IeeeMode: 1
; LDSByteSize: 0 bytes/workgroup (compile time only)
; SGPRBlocks: 0
; VGPRBlocks: 0
; NumSGPRsForWavesPerEU: 1
; NumVGPRsForWavesPerEU: 1
; Occupancy: 16
; WaveLimiterHint : 0
; COMPUTE_PGM_RSRC2:SCRATCH_EN: 0
; COMPUTE_PGM_RSRC2:USER_SGPR: 2
; COMPUTE_PGM_RSRC2:TRAP_HANDLER: 0
; COMPUTE_PGM_RSRC2:TGID_X_EN: 1
; COMPUTE_PGM_RSRC2:TGID_Y_EN: 0
; COMPUTE_PGM_RSRC2:TGID_Z_EN: 0
; COMPUTE_PGM_RSRC2:TIDIG_COMP_CNT: 0
	.section	.text._ZN7rocprim17ROCPRIM_400000_NS6detail17trampoline_kernelINS0_14default_configENS1_25partition_config_selectorILNS1_17partition_subalgoE6EfNS0_10empty_typeEbEEZZNS1_14partition_implILS5_6ELb0ES3_mN6thrust23THRUST_200600_302600_NS6detail15normal_iteratorINSA_10device_ptrIfEEEEPS6_SG_NS0_5tupleIJSF_S6_EEENSH_IJSG_SG_EEES6_PlJNSB_9not_fun_tINSB_10functional5actorINSM_9compositeIJNSM_27transparent_binary_operatorINSA_8equal_toIvEEEENSN_INSM_8argumentILj0EEEEENSM_5valueIfEEEEEEEEEEEE10hipError_tPvRmT3_T4_T5_T6_T7_T9_mT8_P12ihipStream_tbDpT10_ENKUlT_T0_E_clISt17integral_constantIbLb1EES1K_EEDaS1F_S1G_EUlS1F_E_NS1_11comp_targetILNS1_3genE8ELNS1_11target_archE1030ELNS1_3gpuE2ELNS1_3repE0EEENS1_30default_config_static_selectorELNS0_4arch9wavefront6targetE0EEEvT1_,"axG",@progbits,_ZN7rocprim17ROCPRIM_400000_NS6detail17trampoline_kernelINS0_14default_configENS1_25partition_config_selectorILNS1_17partition_subalgoE6EfNS0_10empty_typeEbEEZZNS1_14partition_implILS5_6ELb0ES3_mN6thrust23THRUST_200600_302600_NS6detail15normal_iteratorINSA_10device_ptrIfEEEEPS6_SG_NS0_5tupleIJSF_S6_EEENSH_IJSG_SG_EEES6_PlJNSB_9not_fun_tINSB_10functional5actorINSM_9compositeIJNSM_27transparent_binary_operatorINSA_8equal_toIvEEEENSN_INSM_8argumentILj0EEEEENSM_5valueIfEEEEEEEEEEEE10hipError_tPvRmT3_T4_T5_T6_T7_T9_mT8_P12ihipStream_tbDpT10_ENKUlT_T0_E_clISt17integral_constantIbLb1EES1K_EEDaS1F_S1G_EUlS1F_E_NS1_11comp_targetILNS1_3genE8ELNS1_11target_archE1030ELNS1_3gpuE2ELNS1_3repE0EEENS1_30default_config_static_selectorELNS0_4arch9wavefront6targetE0EEEvT1_,comdat
	.protected	_ZN7rocprim17ROCPRIM_400000_NS6detail17trampoline_kernelINS0_14default_configENS1_25partition_config_selectorILNS1_17partition_subalgoE6EfNS0_10empty_typeEbEEZZNS1_14partition_implILS5_6ELb0ES3_mN6thrust23THRUST_200600_302600_NS6detail15normal_iteratorINSA_10device_ptrIfEEEEPS6_SG_NS0_5tupleIJSF_S6_EEENSH_IJSG_SG_EEES6_PlJNSB_9not_fun_tINSB_10functional5actorINSM_9compositeIJNSM_27transparent_binary_operatorINSA_8equal_toIvEEEENSN_INSM_8argumentILj0EEEEENSM_5valueIfEEEEEEEEEEEE10hipError_tPvRmT3_T4_T5_T6_T7_T9_mT8_P12ihipStream_tbDpT10_ENKUlT_T0_E_clISt17integral_constantIbLb1EES1K_EEDaS1F_S1G_EUlS1F_E_NS1_11comp_targetILNS1_3genE8ELNS1_11target_archE1030ELNS1_3gpuE2ELNS1_3repE0EEENS1_30default_config_static_selectorELNS0_4arch9wavefront6targetE0EEEvT1_ ; -- Begin function _ZN7rocprim17ROCPRIM_400000_NS6detail17trampoline_kernelINS0_14default_configENS1_25partition_config_selectorILNS1_17partition_subalgoE6EfNS0_10empty_typeEbEEZZNS1_14partition_implILS5_6ELb0ES3_mN6thrust23THRUST_200600_302600_NS6detail15normal_iteratorINSA_10device_ptrIfEEEEPS6_SG_NS0_5tupleIJSF_S6_EEENSH_IJSG_SG_EEES6_PlJNSB_9not_fun_tINSB_10functional5actorINSM_9compositeIJNSM_27transparent_binary_operatorINSA_8equal_toIvEEEENSN_INSM_8argumentILj0EEEEENSM_5valueIfEEEEEEEEEEEE10hipError_tPvRmT3_T4_T5_T6_T7_T9_mT8_P12ihipStream_tbDpT10_ENKUlT_T0_E_clISt17integral_constantIbLb1EES1K_EEDaS1F_S1G_EUlS1F_E_NS1_11comp_targetILNS1_3genE8ELNS1_11target_archE1030ELNS1_3gpuE2ELNS1_3repE0EEENS1_30default_config_static_selectorELNS0_4arch9wavefront6targetE0EEEvT1_
	.globl	_ZN7rocprim17ROCPRIM_400000_NS6detail17trampoline_kernelINS0_14default_configENS1_25partition_config_selectorILNS1_17partition_subalgoE6EfNS0_10empty_typeEbEEZZNS1_14partition_implILS5_6ELb0ES3_mN6thrust23THRUST_200600_302600_NS6detail15normal_iteratorINSA_10device_ptrIfEEEEPS6_SG_NS0_5tupleIJSF_S6_EEENSH_IJSG_SG_EEES6_PlJNSB_9not_fun_tINSB_10functional5actorINSM_9compositeIJNSM_27transparent_binary_operatorINSA_8equal_toIvEEEENSN_INSM_8argumentILj0EEEEENSM_5valueIfEEEEEEEEEEEE10hipError_tPvRmT3_T4_T5_T6_T7_T9_mT8_P12ihipStream_tbDpT10_ENKUlT_T0_E_clISt17integral_constantIbLb1EES1K_EEDaS1F_S1G_EUlS1F_E_NS1_11comp_targetILNS1_3genE8ELNS1_11target_archE1030ELNS1_3gpuE2ELNS1_3repE0EEENS1_30default_config_static_selectorELNS0_4arch9wavefront6targetE0EEEvT1_
	.p2align	8
	.type	_ZN7rocprim17ROCPRIM_400000_NS6detail17trampoline_kernelINS0_14default_configENS1_25partition_config_selectorILNS1_17partition_subalgoE6EfNS0_10empty_typeEbEEZZNS1_14partition_implILS5_6ELb0ES3_mN6thrust23THRUST_200600_302600_NS6detail15normal_iteratorINSA_10device_ptrIfEEEEPS6_SG_NS0_5tupleIJSF_S6_EEENSH_IJSG_SG_EEES6_PlJNSB_9not_fun_tINSB_10functional5actorINSM_9compositeIJNSM_27transparent_binary_operatorINSA_8equal_toIvEEEENSN_INSM_8argumentILj0EEEEENSM_5valueIfEEEEEEEEEEEE10hipError_tPvRmT3_T4_T5_T6_T7_T9_mT8_P12ihipStream_tbDpT10_ENKUlT_T0_E_clISt17integral_constantIbLb1EES1K_EEDaS1F_S1G_EUlS1F_E_NS1_11comp_targetILNS1_3genE8ELNS1_11target_archE1030ELNS1_3gpuE2ELNS1_3repE0EEENS1_30default_config_static_selectorELNS0_4arch9wavefront6targetE0EEEvT1_,@function
_ZN7rocprim17ROCPRIM_400000_NS6detail17trampoline_kernelINS0_14default_configENS1_25partition_config_selectorILNS1_17partition_subalgoE6EfNS0_10empty_typeEbEEZZNS1_14partition_implILS5_6ELb0ES3_mN6thrust23THRUST_200600_302600_NS6detail15normal_iteratorINSA_10device_ptrIfEEEEPS6_SG_NS0_5tupleIJSF_S6_EEENSH_IJSG_SG_EEES6_PlJNSB_9not_fun_tINSB_10functional5actorINSM_9compositeIJNSM_27transparent_binary_operatorINSA_8equal_toIvEEEENSN_INSM_8argumentILj0EEEEENSM_5valueIfEEEEEEEEEEEE10hipError_tPvRmT3_T4_T5_T6_T7_T9_mT8_P12ihipStream_tbDpT10_ENKUlT_T0_E_clISt17integral_constantIbLb1EES1K_EEDaS1F_S1G_EUlS1F_E_NS1_11comp_targetILNS1_3genE8ELNS1_11target_archE1030ELNS1_3gpuE2ELNS1_3repE0EEENS1_30default_config_static_selectorELNS0_4arch9wavefront6targetE0EEEvT1_: ; @_ZN7rocprim17ROCPRIM_400000_NS6detail17trampoline_kernelINS0_14default_configENS1_25partition_config_selectorILNS1_17partition_subalgoE6EfNS0_10empty_typeEbEEZZNS1_14partition_implILS5_6ELb0ES3_mN6thrust23THRUST_200600_302600_NS6detail15normal_iteratorINSA_10device_ptrIfEEEEPS6_SG_NS0_5tupleIJSF_S6_EEENSH_IJSG_SG_EEES6_PlJNSB_9not_fun_tINSB_10functional5actorINSM_9compositeIJNSM_27transparent_binary_operatorINSA_8equal_toIvEEEENSN_INSM_8argumentILj0EEEEENSM_5valueIfEEEEEEEEEEEE10hipError_tPvRmT3_T4_T5_T6_T7_T9_mT8_P12ihipStream_tbDpT10_ENKUlT_T0_E_clISt17integral_constantIbLb1EES1K_EEDaS1F_S1G_EUlS1F_E_NS1_11comp_targetILNS1_3genE8ELNS1_11target_archE1030ELNS1_3gpuE2ELNS1_3repE0EEENS1_30default_config_static_selectorELNS0_4arch9wavefront6targetE0EEEvT1_
; %bb.0:
	.section	.rodata,"a",@progbits
	.p2align	6, 0x0
	.amdhsa_kernel _ZN7rocprim17ROCPRIM_400000_NS6detail17trampoline_kernelINS0_14default_configENS1_25partition_config_selectorILNS1_17partition_subalgoE6EfNS0_10empty_typeEbEEZZNS1_14partition_implILS5_6ELb0ES3_mN6thrust23THRUST_200600_302600_NS6detail15normal_iteratorINSA_10device_ptrIfEEEEPS6_SG_NS0_5tupleIJSF_S6_EEENSH_IJSG_SG_EEES6_PlJNSB_9not_fun_tINSB_10functional5actorINSM_9compositeIJNSM_27transparent_binary_operatorINSA_8equal_toIvEEEENSN_INSM_8argumentILj0EEEEENSM_5valueIfEEEEEEEEEEEE10hipError_tPvRmT3_T4_T5_T6_T7_T9_mT8_P12ihipStream_tbDpT10_ENKUlT_T0_E_clISt17integral_constantIbLb1EES1K_EEDaS1F_S1G_EUlS1F_E_NS1_11comp_targetILNS1_3genE8ELNS1_11target_archE1030ELNS1_3gpuE2ELNS1_3repE0EEENS1_30default_config_static_selectorELNS0_4arch9wavefront6targetE0EEEvT1_
		.amdhsa_group_segment_fixed_size 0
		.amdhsa_private_segment_fixed_size 0
		.amdhsa_kernarg_size 128
		.amdhsa_user_sgpr_count 2
		.amdhsa_user_sgpr_dispatch_ptr 0
		.amdhsa_user_sgpr_queue_ptr 0
		.amdhsa_user_sgpr_kernarg_segment_ptr 1
		.amdhsa_user_sgpr_dispatch_id 0
		.amdhsa_user_sgpr_private_segment_size 0
		.amdhsa_wavefront_size32 1
		.amdhsa_uses_dynamic_stack 0
		.amdhsa_enable_private_segment 0
		.amdhsa_system_sgpr_workgroup_id_x 1
		.amdhsa_system_sgpr_workgroup_id_y 0
		.amdhsa_system_sgpr_workgroup_id_z 0
		.amdhsa_system_sgpr_workgroup_info 0
		.amdhsa_system_vgpr_workitem_id 0
		.amdhsa_next_free_vgpr 1
		.amdhsa_next_free_sgpr 1
		.amdhsa_reserve_vcc 0
		.amdhsa_float_round_mode_32 0
		.amdhsa_float_round_mode_16_64 0
		.amdhsa_float_denorm_mode_32 3
		.amdhsa_float_denorm_mode_16_64 3
		.amdhsa_fp16_overflow 0
		.amdhsa_workgroup_processor_mode 1
		.amdhsa_memory_ordered 1
		.amdhsa_forward_progress 1
		.amdhsa_inst_pref_size 0
		.amdhsa_round_robin_scheduling 0
		.amdhsa_exception_fp_ieee_invalid_op 0
		.amdhsa_exception_fp_denorm_src 0
		.amdhsa_exception_fp_ieee_div_zero 0
		.amdhsa_exception_fp_ieee_overflow 0
		.amdhsa_exception_fp_ieee_underflow 0
		.amdhsa_exception_fp_ieee_inexact 0
		.amdhsa_exception_int_div_zero 0
	.end_amdhsa_kernel
	.section	.text._ZN7rocprim17ROCPRIM_400000_NS6detail17trampoline_kernelINS0_14default_configENS1_25partition_config_selectorILNS1_17partition_subalgoE6EfNS0_10empty_typeEbEEZZNS1_14partition_implILS5_6ELb0ES3_mN6thrust23THRUST_200600_302600_NS6detail15normal_iteratorINSA_10device_ptrIfEEEEPS6_SG_NS0_5tupleIJSF_S6_EEENSH_IJSG_SG_EEES6_PlJNSB_9not_fun_tINSB_10functional5actorINSM_9compositeIJNSM_27transparent_binary_operatorINSA_8equal_toIvEEEENSN_INSM_8argumentILj0EEEEENSM_5valueIfEEEEEEEEEEEE10hipError_tPvRmT3_T4_T5_T6_T7_T9_mT8_P12ihipStream_tbDpT10_ENKUlT_T0_E_clISt17integral_constantIbLb1EES1K_EEDaS1F_S1G_EUlS1F_E_NS1_11comp_targetILNS1_3genE8ELNS1_11target_archE1030ELNS1_3gpuE2ELNS1_3repE0EEENS1_30default_config_static_selectorELNS0_4arch9wavefront6targetE0EEEvT1_,"axG",@progbits,_ZN7rocprim17ROCPRIM_400000_NS6detail17trampoline_kernelINS0_14default_configENS1_25partition_config_selectorILNS1_17partition_subalgoE6EfNS0_10empty_typeEbEEZZNS1_14partition_implILS5_6ELb0ES3_mN6thrust23THRUST_200600_302600_NS6detail15normal_iteratorINSA_10device_ptrIfEEEEPS6_SG_NS0_5tupleIJSF_S6_EEENSH_IJSG_SG_EEES6_PlJNSB_9not_fun_tINSB_10functional5actorINSM_9compositeIJNSM_27transparent_binary_operatorINSA_8equal_toIvEEEENSN_INSM_8argumentILj0EEEEENSM_5valueIfEEEEEEEEEEEE10hipError_tPvRmT3_T4_T5_T6_T7_T9_mT8_P12ihipStream_tbDpT10_ENKUlT_T0_E_clISt17integral_constantIbLb1EES1K_EEDaS1F_S1G_EUlS1F_E_NS1_11comp_targetILNS1_3genE8ELNS1_11target_archE1030ELNS1_3gpuE2ELNS1_3repE0EEENS1_30default_config_static_selectorELNS0_4arch9wavefront6targetE0EEEvT1_,comdat
.Lfunc_end62:
	.size	_ZN7rocprim17ROCPRIM_400000_NS6detail17trampoline_kernelINS0_14default_configENS1_25partition_config_selectorILNS1_17partition_subalgoE6EfNS0_10empty_typeEbEEZZNS1_14partition_implILS5_6ELb0ES3_mN6thrust23THRUST_200600_302600_NS6detail15normal_iteratorINSA_10device_ptrIfEEEEPS6_SG_NS0_5tupleIJSF_S6_EEENSH_IJSG_SG_EEES6_PlJNSB_9not_fun_tINSB_10functional5actorINSM_9compositeIJNSM_27transparent_binary_operatorINSA_8equal_toIvEEEENSN_INSM_8argumentILj0EEEEENSM_5valueIfEEEEEEEEEEEE10hipError_tPvRmT3_T4_T5_T6_T7_T9_mT8_P12ihipStream_tbDpT10_ENKUlT_T0_E_clISt17integral_constantIbLb1EES1K_EEDaS1F_S1G_EUlS1F_E_NS1_11comp_targetILNS1_3genE8ELNS1_11target_archE1030ELNS1_3gpuE2ELNS1_3repE0EEENS1_30default_config_static_selectorELNS0_4arch9wavefront6targetE0EEEvT1_, .Lfunc_end62-_ZN7rocprim17ROCPRIM_400000_NS6detail17trampoline_kernelINS0_14default_configENS1_25partition_config_selectorILNS1_17partition_subalgoE6EfNS0_10empty_typeEbEEZZNS1_14partition_implILS5_6ELb0ES3_mN6thrust23THRUST_200600_302600_NS6detail15normal_iteratorINSA_10device_ptrIfEEEEPS6_SG_NS0_5tupleIJSF_S6_EEENSH_IJSG_SG_EEES6_PlJNSB_9not_fun_tINSB_10functional5actorINSM_9compositeIJNSM_27transparent_binary_operatorINSA_8equal_toIvEEEENSN_INSM_8argumentILj0EEEEENSM_5valueIfEEEEEEEEEEEE10hipError_tPvRmT3_T4_T5_T6_T7_T9_mT8_P12ihipStream_tbDpT10_ENKUlT_T0_E_clISt17integral_constantIbLb1EES1K_EEDaS1F_S1G_EUlS1F_E_NS1_11comp_targetILNS1_3genE8ELNS1_11target_archE1030ELNS1_3gpuE2ELNS1_3repE0EEENS1_30default_config_static_selectorELNS0_4arch9wavefront6targetE0EEEvT1_
                                        ; -- End function
	.set _ZN7rocprim17ROCPRIM_400000_NS6detail17trampoline_kernelINS0_14default_configENS1_25partition_config_selectorILNS1_17partition_subalgoE6EfNS0_10empty_typeEbEEZZNS1_14partition_implILS5_6ELb0ES3_mN6thrust23THRUST_200600_302600_NS6detail15normal_iteratorINSA_10device_ptrIfEEEEPS6_SG_NS0_5tupleIJSF_S6_EEENSH_IJSG_SG_EEES6_PlJNSB_9not_fun_tINSB_10functional5actorINSM_9compositeIJNSM_27transparent_binary_operatorINSA_8equal_toIvEEEENSN_INSM_8argumentILj0EEEEENSM_5valueIfEEEEEEEEEEEE10hipError_tPvRmT3_T4_T5_T6_T7_T9_mT8_P12ihipStream_tbDpT10_ENKUlT_T0_E_clISt17integral_constantIbLb1EES1K_EEDaS1F_S1G_EUlS1F_E_NS1_11comp_targetILNS1_3genE8ELNS1_11target_archE1030ELNS1_3gpuE2ELNS1_3repE0EEENS1_30default_config_static_selectorELNS0_4arch9wavefront6targetE0EEEvT1_.num_vgpr, 0
	.set _ZN7rocprim17ROCPRIM_400000_NS6detail17trampoline_kernelINS0_14default_configENS1_25partition_config_selectorILNS1_17partition_subalgoE6EfNS0_10empty_typeEbEEZZNS1_14partition_implILS5_6ELb0ES3_mN6thrust23THRUST_200600_302600_NS6detail15normal_iteratorINSA_10device_ptrIfEEEEPS6_SG_NS0_5tupleIJSF_S6_EEENSH_IJSG_SG_EEES6_PlJNSB_9not_fun_tINSB_10functional5actorINSM_9compositeIJNSM_27transparent_binary_operatorINSA_8equal_toIvEEEENSN_INSM_8argumentILj0EEEEENSM_5valueIfEEEEEEEEEEEE10hipError_tPvRmT3_T4_T5_T6_T7_T9_mT8_P12ihipStream_tbDpT10_ENKUlT_T0_E_clISt17integral_constantIbLb1EES1K_EEDaS1F_S1G_EUlS1F_E_NS1_11comp_targetILNS1_3genE8ELNS1_11target_archE1030ELNS1_3gpuE2ELNS1_3repE0EEENS1_30default_config_static_selectorELNS0_4arch9wavefront6targetE0EEEvT1_.num_agpr, 0
	.set _ZN7rocprim17ROCPRIM_400000_NS6detail17trampoline_kernelINS0_14default_configENS1_25partition_config_selectorILNS1_17partition_subalgoE6EfNS0_10empty_typeEbEEZZNS1_14partition_implILS5_6ELb0ES3_mN6thrust23THRUST_200600_302600_NS6detail15normal_iteratorINSA_10device_ptrIfEEEEPS6_SG_NS0_5tupleIJSF_S6_EEENSH_IJSG_SG_EEES6_PlJNSB_9not_fun_tINSB_10functional5actorINSM_9compositeIJNSM_27transparent_binary_operatorINSA_8equal_toIvEEEENSN_INSM_8argumentILj0EEEEENSM_5valueIfEEEEEEEEEEEE10hipError_tPvRmT3_T4_T5_T6_T7_T9_mT8_P12ihipStream_tbDpT10_ENKUlT_T0_E_clISt17integral_constantIbLb1EES1K_EEDaS1F_S1G_EUlS1F_E_NS1_11comp_targetILNS1_3genE8ELNS1_11target_archE1030ELNS1_3gpuE2ELNS1_3repE0EEENS1_30default_config_static_selectorELNS0_4arch9wavefront6targetE0EEEvT1_.numbered_sgpr, 0
	.set _ZN7rocprim17ROCPRIM_400000_NS6detail17trampoline_kernelINS0_14default_configENS1_25partition_config_selectorILNS1_17partition_subalgoE6EfNS0_10empty_typeEbEEZZNS1_14partition_implILS5_6ELb0ES3_mN6thrust23THRUST_200600_302600_NS6detail15normal_iteratorINSA_10device_ptrIfEEEEPS6_SG_NS0_5tupleIJSF_S6_EEENSH_IJSG_SG_EEES6_PlJNSB_9not_fun_tINSB_10functional5actorINSM_9compositeIJNSM_27transparent_binary_operatorINSA_8equal_toIvEEEENSN_INSM_8argumentILj0EEEEENSM_5valueIfEEEEEEEEEEEE10hipError_tPvRmT3_T4_T5_T6_T7_T9_mT8_P12ihipStream_tbDpT10_ENKUlT_T0_E_clISt17integral_constantIbLb1EES1K_EEDaS1F_S1G_EUlS1F_E_NS1_11comp_targetILNS1_3genE8ELNS1_11target_archE1030ELNS1_3gpuE2ELNS1_3repE0EEENS1_30default_config_static_selectorELNS0_4arch9wavefront6targetE0EEEvT1_.num_named_barrier, 0
	.set _ZN7rocprim17ROCPRIM_400000_NS6detail17trampoline_kernelINS0_14default_configENS1_25partition_config_selectorILNS1_17partition_subalgoE6EfNS0_10empty_typeEbEEZZNS1_14partition_implILS5_6ELb0ES3_mN6thrust23THRUST_200600_302600_NS6detail15normal_iteratorINSA_10device_ptrIfEEEEPS6_SG_NS0_5tupleIJSF_S6_EEENSH_IJSG_SG_EEES6_PlJNSB_9not_fun_tINSB_10functional5actorINSM_9compositeIJNSM_27transparent_binary_operatorINSA_8equal_toIvEEEENSN_INSM_8argumentILj0EEEEENSM_5valueIfEEEEEEEEEEEE10hipError_tPvRmT3_T4_T5_T6_T7_T9_mT8_P12ihipStream_tbDpT10_ENKUlT_T0_E_clISt17integral_constantIbLb1EES1K_EEDaS1F_S1G_EUlS1F_E_NS1_11comp_targetILNS1_3genE8ELNS1_11target_archE1030ELNS1_3gpuE2ELNS1_3repE0EEENS1_30default_config_static_selectorELNS0_4arch9wavefront6targetE0EEEvT1_.private_seg_size, 0
	.set _ZN7rocprim17ROCPRIM_400000_NS6detail17trampoline_kernelINS0_14default_configENS1_25partition_config_selectorILNS1_17partition_subalgoE6EfNS0_10empty_typeEbEEZZNS1_14partition_implILS5_6ELb0ES3_mN6thrust23THRUST_200600_302600_NS6detail15normal_iteratorINSA_10device_ptrIfEEEEPS6_SG_NS0_5tupleIJSF_S6_EEENSH_IJSG_SG_EEES6_PlJNSB_9not_fun_tINSB_10functional5actorINSM_9compositeIJNSM_27transparent_binary_operatorINSA_8equal_toIvEEEENSN_INSM_8argumentILj0EEEEENSM_5valueIfEEEEEEEEEEEE10hipError_tPvRmT3_T4_T5_T6_T7_T9_mT8_P12ihipStream_tbDpT10_ENKUlT_T0_E_clISt17integral_constantIbLb1EES1K_EEDaS1F_S1G_EUlS1F_E_NS1_11comp_targetILNS1_3genE8ELNS1_11target_archE1030ELNS1_3gpuE2ELNS1_3repE0EEENS1_30default_config_static_selectorELNS0_4arch9wavefront6targetE0EEEvT1_.uses_vcc, 0
	.set _ZN7rocprim17ROCPRIM_400000_NS6detail17trampoline_kernelINS0_14default_configENS1_25partition_config_selectorILNS1_17partition_subalgoE6EfNS0_10empty_typeEbEEZZNS1_14partition_implILS5_6ELb0ES3_mN6thrust23THRUST_200600_302600_NS6detail15normal_iteratorINSA_10device_ptrIfEEEEPS6_SG_NS0_5tupleIJSF_S6_EEENSH_IJSG_SG_EEES6_PlJNSB_9not_fun_tINSB_10functional5actorINSM_9compositeIJNSM_27transparent_binary_operatorINSA_8equal_toIvEEEENSN_INSM_8argumentILj0EEEEENSM_5valueIfEEEEEEEEEEEE10hipError_tPvRmT3_T4_T5_T6_T7_T9_mT8_P12ihipStream_tbDpT10_ENKUlT_T0_E_clISt17integral_constantIbLb1EES1K_EEDaS1F_S1G_EUlS1F_E_NS1_11comp_targetILNS1_3genE8ELNS1_11target_archE1030ELNS1_3gpuE2ELNS1_3repE0EEENS1_30default_config_static_selectorELNS0_4arch9wavefront6targetE0EEEvT1_.uses_flat_scratch, 0
	.set _ZN7rocprim17ROCPRIM_400000_NS6detail17trampoline_kernelINS0_14default_configENS1_25partition_config_selectorILNS1_17partition_subalgoE6EfNS0_10empty_typeEbEEZZNS1_14partition_implILS5_6ELb0ES3_mN6thrust23THRUST_200600_302600_NS6detail15normal_iteratorINSA_10device_ptrIfEEEEPS6_SG_NS0_5tupleIJSF_S6_EEENSH_IJSG_SG_EEES6_PlJNSB_9not_fun_tINSB_10functional5actorINSM_9compositeIJNSM_27transparent_binary_operatorINSA_8equal_toIvEEEENSN_INSM_8argumentILj0EEEEENSM_5valueIfEEEEEEEEEEEE10hipError_tPvRmT3_T4_T5_T6_T7_T9_mT8_P12ihipStream_tbDpT10_ENKUlT_T0_E_clISt17integral_constantIbLb1EES1K_EEDaS1F_S1G_EUlS1F_E_NS1_11comp_targetILNS1_3genE8ELNS1_11target_archE1030ELNS1_3gpuE2ELNS1_3repE0EEENS1_30default_config_static_selectorELNS0_4arch9wavefront6targetE0EEEvT1_.has_dyn_sized_stack, 0
	.set _ZN7rocprim17ROCPRIM_400000_NS6detail17trampoline_kernelINS0_14default_configENS1_25partition_config_selectorILNS1_17partition_subalgoE6EfNS0_10empty_typeEbEEZZNS1_14partition_implILS5_6ELb0ES3_mN6thrust23THRUST_200600_302600_NS6detail15normal_iteratorINSA_10device_ptrIfEEEEPS6_SG_NS0_5tupleIJSF_S6_EEENSH_IJSG_SG_EEES6_PlJNSB_9not_fun_tINSB_10functional5actorINSM_9compositeIJNSM_27transparent_binary_operatorINSA_8equal_toIvEEEENSN_INSM_8argumentILj0EEEEENSM_5valueIfEEEEEEEEEEEE10hipError_tPvRmT3_T4_T5_T6_T7_T9_mT8_P12ihipStream_tbDpT10_ENKUlT_T0_E_clISt17integral_constantIbLb1EES1K_EEDaS1F_S1G_EUlS1F_E_NS1_11comp_targetILNS1_3genE8ELNS1_11target_archE1030ELNS1_3gpuE2ELNS1_3repE0EEENS1_30default_config_static_selectorELNS0_4arch9wavefront6targetE0EEEvT1_.has_recursion, 0
	.set _ZN7rocprim17ROCPRIM_400000_NS6detail17trampoline_kernelINS0_14default_configENS1_25partition_config_selectorILNS1_17partition_subalgoE6EfNS0_10empty_typeEbEEZZNS1_14partition_implILS5_6ELb0ES3_mN6thrust23THRUST_200600_302600_NS6detail15normal_iteratorINSA_10device_ptrIfEEEEPS6_SG_NS0_5tupleIJSF_S6_EEENSH_IJSG_SG_EEES6_PlJNSB_9not_fun_tINSB_10functional5actorINSM_9compositeIJNSM_27transparent_binary_operatorINSA_8equal_toIvEEEENSN_INSM_8argumentILj0EEEEENSM_5valueIfEEEEEEEEEEEE10hipError_tPvRmT3_T4_T5_T6_T7_T9_mT8_P12ihipStream_tbDpT10_ENKUlT_T0_E_clISt17integral_constantIbLb1EES1K_EEDaS1F_S1G_EUlS1F_E_NS1_11comp_targetILNS1_3genE8ELNS1_11target_archE1030ELNS1_3gpuE2ELNS1_3repE0EEENS1_30default_config_static_selectorELNS0_4arch9wavefront6targetE0EEEvT1_.has_indirect_call, 0
	.section	.AMDGPU.csdata,"",@progbits
; Kernel info:
; codeLenInByte = 0
; TotalNumSgprs: 0
; NumVgprs: 0
; ScratchSize: 0
; MemoryBound: 0
; FloatMode: 240
; IeeeMode: 1
; LDSByteSize: 0 bytes/workgroup (compile time only)
; SGPRBlocks: 0
; VGPRBlocks: 0
; NumSGPRsForWavesPerEU: 1
; NumVGPRsForWavesPerEU: 1
; Occupancy: 16
; WaveLimiterHint : 0
; COMPUTE_PGM_RSRC2:SCRATCH_EN: 0
; COMPUTE_PGM_RSRC2:USER_SGPR: 2
; COMPUTE_PGM_RSRC2:TRAP_HANDLER: 0
; COMPUTE_PGM_RSRC2:TGID_X_EN: 1
; COMPUTE_PGM_RSRC2:TGID_Y_EN: 0
; COMPUTE_PGM_RSRC2:TGID_Z_EN: 0
; COMPUTE_PGM_RSRC2:TIDIG_COMP_CNT: 0
	.section	.text._ZN7rocprim17ROCPRIM_400000_NS6detail17trampoline_kernelINS0_14default_configENS1_25partition_config_selectorILNS1_17partition_subalgoE6EfNS0_10empty_typeEbEEZZNS1_14partition_implILS5_6ELb0ES3_mN6thrust23THRUST_200600_302600_NS6detail15normal_iteratorINSA_10device_ptrIfEEEEPS6_SG_NS0_5tupleIJSF_S6_EEENSH_IJSG_SG_EEES6_PlJNSB_9not_fun_tINSB_10functional5actorINSM_9compositeIJNSM_27transparent_binary_operatorINSA_8equal_toIvEEEENSN_INSM_8argumentILj0EEEEENSM_5valueIfEEEEEEEEEEEE10hipError_tPvRmT3_T4_T5_T6_T7_T9_mT8_P12ihipStream_tbDpT10_ENKUlT_T0_E_clISt17integral_constantIbLb1EES1J_IbLb0EEEEDaS1F_S1G_EUlS1F_E_NS1_11comp_targetILNS1_3genE0ELNS1_11target_archE4294967295ELNS1_3gpuE0ELNS1_3repE0EEENS1_30default_config_static_selectorELNS0_4arch9wavefront6targetE0EEEvT1_,"axG",@progbits,_ZN7rocprim17ROCPRIM_400000_NS6detail17trampoline_kernelINS0_14default_configENS1_25partition_config_selectorILNS1_17partition_subalgoE6EfNS0_10empty_typeEbEEZZNS1_14partition_implILS5_6ELb0ES3_mN6thrust23THRUST_200600_302600_NS6detail15normal_iteratorINSA_10device_ptrIfEEEEPS6_SG_NS0_5tupleIJSF_S6_EEENSH_IJSG_SG_EEES6_PlJNSB_9not_fun_tINSB_10functional5actorINSM_9compositeIJNSM_27transparent_binary_operatorINSA_8equal_toIvEEEENSN_INSM_8argumentILj0EEEEENSM_5valueIfEEEEEEEEEEEE10hipError_tPvRmT3_T4_T5_T6_T7_T9_mT8_P12ihipStream_tbDpT10_ENKUlT_T0_E_clISt17integral_constantIbLb1EES1J_IbLb0EEEEDaS1F_S1G_EUlS1F_E_NS1_11comp_targetILNS1_3genE0ELNS1_11target_archE4294967295ELNS1_3gpuE0ELNS1_3repE0EEENS1_30default_config_static_selectorELNS0_4arch9wavefront6targetE0EEEvT1_,comdat
	.protected	_ZN7rocprim17ROCPRIM_400000_NS6detail17trampoline_kernelINS0_14default_configENS1_25partition_config_selectorILNS1_17partition_subalgoE6EfNS0_10empty_typeEbEEZZNS1_14partition_implILS5_6ELb0ES3_mN6thrust23THRUST_200600_302600_NS6detail15normal_iteratorINSA_10device_ptrIfEEEEPS6_SG_NS0_5tupleIJSF_S6_EEENSH_IJSG_SG_EEES6_PlJNSB_9not_fun_tINSB_10functional5actorINSM_9compositeIJNSM_27transparent_binary_operatorINSA_8equal_toIvEEEENSN_INSM_8argumentILj0EEEEENSM_5valueIfEEEEEEEEEEEE10hipError_tPvRmT3_T4_T5_T6_T7_T9_mT8_P12ihipStream_tbDpT10_ENKUlT_T0_E_clISt17integral_constantIbLb1EES1J_IbLb0EEEEDaS1F_S1G_EUlS1F_E_NS1_11comp_targetILNS1_3genE0ELNS1_11target_archE4294967295ELNS1_3gpuE0ELNS1_3repE0EEENS1_30default_config_static_selectorELNS0_4arch9wavefront6targetE0EEEvT1_ ; -- Begin function _ZN7rocprim17ROCPRIM_400000_NS6detail17trampoline_kernelINS0_14default_configENS1_25partition_config_selectorILNS1_17partition_subalgoE6EfNS0_10empty_typeEbEEZZNS1_14partition_implILS5_6ELb0ES3_mN6thrust23THRUST_200600_302600_NS6detail15normal_iteratorINSA_10device_ptrIfEEEEPS6_SG_NS0_5tupleIJSF_S6_EEENSH_IJSG_SG_EEES6_PlJNSB_9not_fun_tINSB_10functional5actorINSM_9compositeIJNSM_27transparent_binary_operatorINSA_8equal_toIvEEEENSN_INSM_8argumentILj0EEEEENSM_5valueIfEEEEEEEEEEEE10hipError_tPvRmT3_T4_T5_T6_T7_T9_mT8_P12ihipStream_tbDpT10_ENKUlT_T0_E_clISt17integral_constantIbLb1EES1J_IbLb0EEEEDaS1F_S1G_EUlS1F_E_NS1_11comp_targetILNS1_3genE0ELNS1_11target_archE4294967295ELNS1_3gpuE0ELNS1_3repE0EEENS1_30default_config_static_selectorELNS0_4arch9wavefront6targetE0EEEvT1_
	.globl	_ZN7rocprim17ROCPRIM_400000_NS6detail17trampoline_kernelINS0_14default_configENS1_25partition_config_selectorILNS1_17partition_subalgoE6EfNS0_10empty_typeEbEEZZNS1_14partition_implILS5_6ELb0ES3_mN6thrust23THRUST_200600_302600_NS6detail15normal_iteratorINSA_10device_ptrIfEEEEPS6_SG_NS0_5tupleIJSF_S6_EEENSH_IJSG_SG_EEES6_PlJNSB_9not_fun_tINSB_10functional5actorINSM_9compositeIJNSM_27transparent_binary_operatorINSA_8equal_toIvEEEENSN_INSM_8argumentILj0EEEEENSM_5valueIfEEEEEEEEEEEE10hipError_tPvRmT3_T4_T5_T6_T7_T9_mT8_P12ihipStream_tbDpT10_ENKUlT_T0_E_clISt17integral_constantIbLb1EES1J_IbLb0EEEEDaS1F_S1G_EUlS1F_E_NS1_11comp_targetILNS1_3genE0ELNS1_11target_archE4294967295ELNS1_3gpuE0ELNS1_3repE0EEENS1_30default_config_static_selectorELNS0_4arch9wavefront6targetE0EEEvT1_
	.p2align	8
	.type	_ZN7rocprim17ROCPRIM_400000_NS6detail17trampoline_kernelINS0_14default_configENS1_25partition_config_selectorILNS1_17partition_subalgoE6EfNS0_10empty_typeEbEEZZNS1_14partition_implILS5_6ELb0ES3_mN6thrust23THRUST_200600_302600_NS6detail15normal_iteratorINSA_10device_ptrIfEEEEPS6_SG_NS0_5tupleIJSF_S6_EEENSH_IJSG_SG_EEES6_PlJNSB_9not_fun_tINSB_10functional5actorINSM_9compositeIJNSM_27transparent_binary_operatorINSA_8equal_toIvEEEENSN_INSM_8argumentILj0EEEEENSM_5valueIfEEEEEEEEEEEE10hipError_tPvRmT3_T4_T5_T6_T7_T9_mT8_P12ihipStream_tbDpT10_ENKUlT_T0_E_clISt17integral_constantIbLb1EES1J_IbLb0EEEEDaS1F_S1G_EUlS1F_E_NS1_11comp_targetILNS1_3genE0ELNS1_11target_archE4294967295ELNS1_3gpuE0ELNS1_3repE0EEENS1_30default_config_static_selectorELNS0_4arch9wavefront6targetE0EEEvT1_,@function
_ZN7rocprim17ROCPRIM_400000_NS6detail17trampoline_kernelINS0_14default_configENS1_25partition_config_selectorILNS1_17partition_subalgoE6EfNS0_10empty_typeEbEEZZNS1_14partition_implILS5_6ELb0ES3_mN6thrust23THRUST_200600_302600_NS6detail15normal_iteratorINSA_10device_ptrIfEEEEPS6_SG_NS0_5tupleIJSF_S6_EEENSH_IJSG_SG_EEES6_PlJNSB_9not_fun_tINSB_10functional5actorINSM_9compositeIJNSM_27transparent_binary_operatorINSA_8equal_toIvEEEENSN_INSM_8argumentILj0EEEEENSM_5valueIfEEEEEEEEEEEE10hipError_tPvRmT3_T4_T5_T6_T7_T9_mT8_P12ihipStream_tbDpT10_ENKUlT_T0_E_clISt17integral_constantIbLb1EES1J_IbLb0EEEEDaS1F_S1G_EUlS1F_E_NS1_11comp_targetILNS1_3genE0ELNS1_11target_archE4294967295ELNS1_3gpuE0ELNS1_3repE0EEENS1_30default_config_static_selectorELNS0_4arch9wavefront6targetE0EEEvT1_: ; @_ZN7rocprim17ROCPRIM_400000_NS6detail17trampoline_kernelINS0_14default_configENS1_25partition_config_selectorILNS1_17partition_subalgoE6EfNS0_10empty_typeEbEEZZNS1_14partition_implILS5_6ELb0ES3_mN6thrust23THRUST_200600_302600_NS6detail15normal_iteratorINSA_10device_ptrIfEEEEPS6_SG_NS0_5tupleIJSF_S6_EEENSH_IJSG_SG_EEES6_PlJNSB_9not_fun_tINSB_10functional5actorINSM_9compositeIJNSM_27transparent_binary_operatorINSA_8equal_toIvEEEENSN_INSM_8argumentILj0EEEEENSM_5valueIfEEEEEEEEEEEE10hipError_tPvRmT3_T4_T5_T6_T7_T9_mT8_P12ihipStream_tbDpT10_ENKUlT_T0_E_clISt17integral_constantIbLb1EES1J_IbLb0EEEEDaS1F_S1G_EUlS1F_E_NS1_11comp_targetILNS1_3genE0ELNS1_11target_archE4294967295ELNS1_3gpuE0ELNS1_3repE0EEENS1_30default_config_static_selectorELNS0_4arch9wavefront6targetE0EEEvT1_
; %bb.0:
	.section	.rodata,"a",@progbits
	.p2align	6, 0x0
	.amdhsa_kernel _ZN7rocprim17ROCPRIM_400000_NS6detail17trampoline_kernelINS0_14default_configENS1_25partition_config_selectorILNS1_17partition_subalgoE6EfNS0_10empty_typeEbEEZZNS1_14partition_implILS5_6ELb0ES3_mN6thrust23THRUST_200600_302600_NS6detail15normal_iteratorINSA_10device_ptrIfEEEEPS6_SG_NS0_5tupleIJSF_S6_EEENSH_IJSG_SG_EEES6_PlJNSB_9not_fun_tINSB_10functional5actorINSM_9compositeIJNSM_27transparent_binary_operatorINSA_8equal_toIvEEEENSN_INSM_8argumentILj0EEEEENSM_5valueIfEEEEEEEEEEEE10hipError_tPvRmT3_T4_T5_T6_T7_T9_mT8_P12ihipStream_tbDpT10_ENKUlT_T0_E_clISt17integral_constantIbLb1EES1J_IbLb0EEEEDaS1F_S1G_EUlS1F_E_NS1_11comp_targetILNS1_3genE0ELNS1_11target_archE4294967295ELNS1_3gpuE0ELNS1_3repE0EEENS1_30default_config_static_selectorELNS0_4arch9wavefront6targetE0EEEvT1_
		.amdhsa_group_segment_fixed_size 0
		.amdhsa_private_segment_fixed_size 0
		.amdhsa_kernarg_size 120
		.amdhsa_user_sgpr_count 2
		.amdhsa_user_sgpr_dispatch_ptr 0
		.amdhsa_user_sgpr_queue_ptr 0
		.amdhsa_user_sgpr_kernarg_segment_ptr 1
		.amdhsa_user_sgpr_dispatch_id 0
		.amdhsa_user_sgpr_private_segment_size 0
		.amdhsa_wavefront_size32 1
		.amdhsa_uses_dynamic_stack 0
		.amdhsa_enable_private_segment 0
		.amdhsa_system_sgpr_workgroup_id_x 1
		.amdhsa_system_sgpr_workgroup_id_y 0
		.amdhsa_system_sgpr_workgroup_id_z 0
		.amdhsa_system_sgpr_workgroup_info 0
		.amdhsa_system_vgpr_workitem_id 0
		.amdhsa_next_free_vgpr 1
		.amdhsa_next_free_sgpr 1
		.amdhsa_reserve_vcc 0
		.amdhsa_float_round_mode_32 0
		.amdhsa_float_round_mode_16_64 0
		.amdhsa_float_denorm_mode_32 3
		.amdhsa_float_denorm_mode_16_64 3
		.amdhsa_fp16_overflow 0
		.amdhsa_workgroup_processor_mode 1
		.amdhsa_memory_ordered 1
		.amdhsa_forward_progress 1
		.amdhsa_inst_pref_size 0
		.amdhsa_round_robin_scheduling 0
		.amdhsa_exception_fp_ieee_invalid_op 0
		.amdhsa_exception_fp_denorm_src 0
		.amdhsa_exception_fp_ieee_div_zero 0
		.amdhsa_exception_fp_ieee_overflow 0
		.amdhsa_exception_fp_ieee_underflow 0
		.amdhsa_exception_fp_ieee_inexact 0
		.amdhsa_exception_int_div_zero 0
	.end_amdhsa_kernel
	.section	.text._ZN7rocprim17ROCPRIM_400000_NS6detail17trampoline_kernelINS0_14default_configENS1_25partition_config_selectorILNS1_17partition_subalgoE6EfNS0_10empty_typeEbEEZZNS1_14partition_implILS5_6ELb0ES3_mN6thrust23THRUST_200600_302600_NS6detail15normal_iteratorINSA_10device_ptrIfEEEEPS6_SG_NS0_5tupleIJSF_S6_EEENSH_IJSG_SG_EEES6_PlJNSB_9not_fun_tINSB_10functional5actorINSM_9compositeIJNSM_27transparent_binary_operatorINSA_8equal_toIvEEEENSN_INSM_8argumentILj0EEEEENSM_5valueIfEEEEEEEEEEEE10hipError_tPvRmT3_T4_T5_T6_T7_T9_mT8_P12ihipStream_tbDpT10_ENKUlT_T0_E_clISt17integral_constantIbLb1EES1J_IbLb0EEEEDaS1F_S1G_EUlS1F_E_NS1_11comp_targetILNS1_3genE0ELNS1_11target_archE4294967295ELNS1_3gpuE0ELNS1_3repE0EEENS1_30default_config_static_selectorELNS0_4arch9wavefront6targetE0EEEvT1_,"axG",@progbits,_ZN7rocprim17ROCPRIM_400000_NS6detail17trampoline_kernelINS0_14default_configENS1_25partition_config_selectorILNS1_17partition_subalgoE6EfNS0_10empty_typeEbEEZZNS1_14partition_implILS5_6ELb0ES3_mN6thrust23THRUST_200600_302600_NS6detail15normal_iteratorINSA_10device_ptrIfEEEEPS6_SG_NS0_5tupleIJSF_S6_EEENSH_IJSG_SG_EEES6_PlJNSB_9not_fun_tINSB_10functional5actorINSM_9compositeIJNSM_27transparent_binary_operatorINSA_8equal_toIvEEEENSN_INSM_8argumentILj0EEEEENSM_5valueIfEEEEEEEEEEEE10hipError_tPvRmT3_T4_T5_T6_T7_T9_mT8_P12ihipStream_tbDpT10_ENKUlT_T0_E_clISt17integral_constantIbLb1EES1J_IbLb0EEEEDaS1F_S1G_EUlS1F_E_NS1_11comp_targetILNS1_3genE0ELNS1_11target_archE4294967295ELNS1_3gpuE0ELNS1_3repE0EEENS1_30default_config_static_selectorELNS0_4arch9wavefront6targetE0EEEvT1_,comdat
.Lfunc_end63:
	.size	_ZN7rocprim17ROCPRIM_400000_NS6detail17trampoline_kernelINS0_14default_configENS1_25partition_config_selectorILNS1_17partition_subalgoE6EfNS0_10empty_typeEbEEZZNS1_14partition_implILS5_6ELb0ES3_mN6thrust23THRUST_200600_302600_NS6detail15normal_iteratorINSA_10device_ptrIfEEEEPS6_SG_NS0_5tupleIJSF_S6_EEENSH_IJSG_SG_EEES6_PlJNSB_9not_fun_tINSB_10functional5actorINSM_9compositeIJNSM_27transparent_binary_operatorINSA_8equal_toIvEEEENSN_INSM_8argumentILj0EEEEENSM_5valueIfEEEEEEEEEEEE10hipError_tPvRmT3_T4_T5_T6_T7_T9_mT8_P12ihipStream_tbDpT10_ENKUlT_T0_E_clISt17integral_constantIbLb1EES1J_IbLb0EEEEDaS1F_S1G_EUlS1F_E_NS1_11comp_targetILNS1_3genE0ELNS1_11target_archE4294967295ELNS1_3gpuE0ELNS1_3repE0EEENS1_30default_config_static_selectorELNS0_4arch9wavefront6targetE0EEEvT1_, .Lfunc_end63-_ZN7rocprim17ROCPRIM_400000_NS6detail17trampoline_kernelINS0_14default_configENS1_25partition_config_selectorILNS1_17partition_subalgoE6EfNS0_10empty_typeEbEEZZNS1_14partition_implILS5_6ELb0ES3_mN6thrust23THRUST_200600_302600_NS6detail15normal_iteratorINSA_10device_ptrIfEEEEPS6_SG_NS0_5tupleIJSF_S6_EEENSH_IJSG_SG_EEES6_PlJNSB_9not_fun_tINSB_10functional5actorINSM_9compositeIJNSM_27transparent_binary_operatorINSA_8equal_toIvEEEENSN_INSM_8argumentILj0EEEEENSM_5valueIfEEEEEEEEEEEE10hipError_tPvRmT3_T4_T5_T6_T7_T9_mT8_P12ihipStream_tbDpT10_ENKUlT_T0_E_clISt17integral_constantIbLb1EES1J_IbLb0EEEEDaS1F_S1G_EUlS1F_E_NS1_11comp_targetILNS1_3genE0ELNS1_11target_archE4294967295ELNS1_3gpuE0ELNS1_3repE0EEENS1_30default_config_static_selectorELNS0_4arch9wavefront6targetE0EEEvT1_
                                        ; -- End function
	.set _ZN7rocprim17ROCPRIM_400000_NS6detail17trampoline_kernelINS0_14default_configENS1_25partition_config_selectorILNS1_17partition_subalgoE6EfNS0_10empty_typeEbEEZZNS1_14partition_implILS5_6ELb0ES3_mN6thrust23THRUST_200600_302600_NS6detail15normal_iteratorINSA_10device_ptrIfEEEEPS6_SG_NS0_5tupleIJSF_S6_EEENSH_IJSG_SG_EEES6_PlJNSB_9not_fun_tINSB_10functional5actorINSM_9compositeIJNSM_27transparent_binary_operatorINSA_8equal_toIvEEEENSN_INSM_8argumentILj0EEEEENSM_5valueIfEEEEEEEEEEEE10hipError_tPvRmT3_T4_T5_T6_T7_T9_mT8_P12ihipStream_tbDpT10_ENKUlT_T0_E_clISt17integral_constantIbLb1EES1J_IbLb0EEEEDaS1F_S1G_EUlS1F_E_NS1_11comp_targetILNS1_3genE0ELNS1_11target_archE4294967295ELNS1_3gpuE0ELNS1_3repE0EEENS1_30default_config_static_selectorELNS0_4arch9wavefront6targetE0EEEvT1_.num_vgpr, 0
	.set _ZN7rocprim17ROCPRIM_400000_NS6detail17trampoline_kernelINS0_14default_configENS1_25partition_config_selectorILNS1_17partition_subalgoE6EfNS0_10empty_typeEbEEZZNS1_14partition_implILS5_6ELb0ES3_mN6thrust23THRUST_200600_302600_NS6detail15normal_iteratorINSA_10device_ptrIfEEEEPS6_SG_NS0_5tupleIJSF_S6_EEENSH_IJSG_SG_EEES6_PlJNSB_9not_fun_tINSB_10functional5actorINSM_9compositeIJNSM_27transparent_binary_operatorINSA_8equal_toIvEEEENSN_INSM_8argumentILj0EEEEENSM_5valueIfEEEEEEEEEEEE10hipError_tPvRmT3_T4_T5_T6_T7_T9_mT8_P12ihipStream_tbDpT10_ENKUlT_T0_E_clISt17integral_constantIbLb1EES1J_IbLb0EEEEDaS1F_S1G_EUlS1F_E_NS1_11comp_targetILNS1_3genE0ELNS1_11target_archE4294967295ELNS1_3gpuE0ELNS1_3repE0EEENS1_30default_config_static_selectorELNS0_4arch9wavefront6targetE0EEEvT1_.num_agpr, 0
	.set _ZN7rocprim17ROCPRIM_400000_NS6detail17trampoline_kernelINS0_14default_configENS1_25partition_config_selectorILNS1_17partition_subalgoE6EfNS0_10empty_typeEbEEZZNS1_14partition_implILS5_6ELb0ES3_mN6thrust23THRUST_200600_302600_NS6detail15normal_iteratorINSA_10device_ptrIfEEEEPS6_SG_NS0_5tupleIJSF_S6_EEENSH_IJSG_SG_EEES6_PlJNSB_9not_fun_tINSB_10functional5actorINSM_9compositeIJNSM_27transparent_binary_operatorINSA_8equal_toIvEEEENSN_INSM_8argumentILj0EEEEENSM_5valueIfEEEEEEEEEEEE10hipError_tPvRmT3_T4_T5_T6_T7_T9_mT8_P12ihipStream_tbDpT10_ENKUlT_T0_E_clISt17integral_constantIbLb1EES1J_IbLb0EEEEDaS1F_S1G_EUlS1F_E_NS1_11comp_targetILNS1_3genE0ELNS1_11target_archE4294967295ELNS1_3gpuE0ELNS1_3repE0EEENS1_30default_config_static_selectorELNS0_4arch9wavefront6targetE0EEEvT1_.numbered_sgpr, 0
	.set _ZN7rocprim17ROCPRIM_400000_NS6detail17trampoline_kernelINS0_14default_configENS1_25partition_config_selectorILNS1_17partition_subalgoE6EfNS0_10empty_typeEbEEZZNS1_14partition_implILS5_6ELb0ES3_mN6thrust23THRUST_200600_302600_NS6detail15normal_iteratorINSA_10device_ptrIfEEEEPS6_SG_NS0_5tupleIJSF_S6_EEENSH_IJSG_SG_EEES6_PlJNSB_9not_fun_tINSB_10functional5actorINSM_9compositeIJNSM_27transparent_binary_operatorINSA_8equal_toIvEEEENSN_INSM_8argumentILj0EEEEENSM_5valueIfEEEEEEEEEEEE10hipError_tPvRmT3_T4_T5_T6_T7_T9_mT8_P12ihipStream_tbDpT10_ENKUlT_T0_E_clISt17integral_constantIbLb1EES1J_IbLb0EEEEDaS1F_S1G_EUlS1F_E_NS1_11comp_targetILNS1_3genE0ELNS1_11target_archE4294967295ELNS1_3gpuE0ELNS1_3repE0EEENS1_30default_config_static_selectorELNS0_4arch9wavefront6targetE0EEEvT1_.num_named_barrier, 0
	.set _ZN7rocprim17ROCPRIM_400000_NS6detail17trampoline_kernelINS0_14default_configENS1_25partition_config_selectorILNS1_17partition_subalgoE6EfNS0_10empty_typeEbEEZZNS1_14partition_implILS5_6ELb0ES3_mN6thrust23THRUST_200600_302600_NS6detail15normal_iteratorINSA_10device_ptrIfEEEEPS6_SG_NS0_5tupleIJSF_S6_EEENSH_IJSG_SG_EEES6_PlJNSB_9not_fun_tINSB_10functional5actorINSM_9compositeIJNSM_27transparent_binary_operatorINSA_8equal_toIvEEEENSN_INSM_8argumentILj0EEEEENSM_5valueIfEEEEEEEEEEEE10hipError_tPvRmT3_T4_T5_T6_T7_T9_mT8_P12ihipStream_tbDpT10_ENKUlT_T0_E_clISt17integral_constantIbLb1EES1J_IbLb0EEEEDaS1F_S1G_EUlS1F_E_NS1_11comp_targetILNS1_3genE0ELNS1_11target_archE4294967295ELNS1_3gpuE0ELNS1_3repE0EEENS1_30default_config_static_selectorELNS0_4arch9wavefront6targetE0EEEvT1_.private_seg_size, 0
	.set _ZN7rocprim17ROCPRIM_400000_NS6detail17trampoline_kernelINS0_14default_configENS1_25partition_config_selectorILNS1_17partition_subalgoE6EfNS0_10empty_typeEbEEZZNS1_14partition_implILS5_6ELb0ES3_mN6thrust23THRUST_200600_302600_NS6detail15normal_iteratorINSA_10device_ptrIfEEEEPS6_SG_NS0_5tupleIJSF_S6_EEENSH_IJSG_SG_EEES6_PlJNSB_9not_fun_tINSB_10functional5actorINSM_9compositeIJNSM_27transparent_binary_operatorINSA_8equal_toIvEEEENSN_INSM_8argumentILj0EEEEENSM_5valueIfEEEEEEEEEEEE10hipError_tPvRmT3_T4_T5_T6_T7_T9_mT8_P12ihipStream_tbDpT10_ENKUlT_T0_E_clISt17integral_constantIbLb1EES1J_IbLb0EEEEDaS1F_S1G_EUlS1F_E_NS1_11comp_targetILNS1_3genE0ELNS1_11target_archE4294967295ELNS1_3gpuE0ELNS1_3repE0EEENS1_30default_config_static_selectorELNS0_4arch9wavefront6targetE0EEEvT1_.uses_vcc, 0
	.set _ZN7rocprim17ROCPRIM_400000_NS6detail17trampoline_kernelINS0_14default_configENS1_25partition_config_selectorILNS1_17partition_subalgoE6EfNS0_10empty_typeEbEEZZNS1_14partition_implILS5_6ELb0ES3_mN6thrust23THRUST_200600_302600_NS6detail15normal_iteratorINSA_10device_ptrIfEEEEPS6_SG_NS0_5tupleIJSF_S6_EEENSH_IJSG_SG_EEES6_PlJNSB_9not_fun_tINSB_10functional5actorINSM_9compositeIJNSM_27transparent_binary_operatorINSA_8equal_toIvEEEENSN_INSM_8argumentILj0EEEEENSM_5valueIfEEEEEEEEEEEE10hipError_tPvRmT3_T4_T5_T6_T7_T9_mT8_P12ihipStream_tbDpT10_ENKUlT_T0_E_clISt17integral_constantIbLb1EES1J_IbLb0EEEEDaS1F_S1G_EUlS1F_E_NS1_11comp_targetILNS1_3genE0ELNS1_11target_archE4294967295ELNS1_3gpuE0ELNS1_3repE0EEENS1_30default_config_static_selectorELNS0_4arch9wavefront6targetE0EEEvT1_.uses_flat_scratch, 0
	.set _ZN7rocprim17ROCPRIM_400000_NS6detail17trampoline_kernelINS0_14default_configENS1_25partition_config_selectorILNS1_17partition_subalgoE6EfNS0_10empty_typeEbEEZZNS1_14partition_implILS5_6ELb0ES3_mN6thrust23THRUST_200600_302600_NS6detail15normal_iteratorINSA_10device_ptrIfEEEEPS6_SG_NS0_5tupleIJSF_S6_EEENSH_IJSG_SG_EEES6_PlJNSB_9not_fun_tINSB_10functional5actorINSM_9compositeIJNSM_27transparent_binary_operatorINSA_8equal_toIvEEEENSN_INSM_8argumentILj0EEEEENSM_5valueIfEEEEEEEEEEEE10hipError_tPvRmT3_T4_T5_T6_T7_T9_mT8_P12ihipStream_tbDpT10_ENKUlT_T0_E_clISt17integral_constantIbLb1EES1J_IbLb0EEEEDaS1F_S1G_EUlS1F_E_NS1_11comp_targetILNS1_3genE0ELNS1_11target_archE4294967295ELNS1_3gpuE0ELNS1_3repE0EEENS1_30default_config_static_selectorELNS0_4arch9wavefront6targetE0EEEvT1_.has_dyn_sized_stack, 0
	.set _ZN7rocprim17ROCPRIM_400000_NS6detail17trampoline_kernelINS0_14default_configENS1_25partition_config_selectorILNS1_17partition_subalgoE6EfNS0_10empty_typeEbEEZZNS1_14partition_implILS5_6ELb0ES3_mN6thrust23THRUST_200600_302600_NS6detail15normal_iteratorINSA_10device_ptrIfEEEEPS6_SG_NS0_5tupleIJSF_S6_EEENSH_IJSG_SG_EEES6_PlJNSB_9not_fun_tINSB_10functional5actorINSM_9compositeIJNSM_27transparent_binary_operatorINSA_8equal_toIvEEEENSN_INSM_8argumentILj0EEEEENSM_5valueIfEEEEEEEEEEEE10hipError_tPvRmT3_T4_T5_T6_T7_T9_mT8_P12ihipStream_tbDpT10_ENKUlT_T0_E_clISt17integral_constantIbLb1EES1J_IbLb0EEEEDaS1F_S1G_EUlS1F_E_NS1_11comp_targetILNS1_3genE0ELNS1_11target_archE4294967295ELNS1_3gpuE0ELNS1_3repE0EEENS1_30default_config_static_selectorELNS0_4arch9wavefront6targetE0EEEvT1_.has_recursion, 0
	.set _ZN7rocprim17ROCPRIM_400000_NS6detail17trampoline_kernelINS0_14default_configENS1_25partition_config_selectorILNS1_17partition_subalgoE6EfNS0_10empty_typeEbEEZZNS1_14partition_implILS5_6ELb0ES3_mN6thrust23THRUST_200600_302600_NS6detail15normal_iteratorINSA_10device_ptrIfEEEEPS6_SG_NS0_5tupleIJSF_S6_EEENSH_IJSG_SG_EEES6_PlJNSB_9not_fun_tINSB_10functional5actorINSM_9compositeIJNSM_27transparent_binary_operatorINSA_8equal_toIvEEEENSN_INSM_8argumentILj0EEEEENSM_5valueIfEEEEEEEEEEEE10hipError_tPvRmT3_T4_T5_T6_T7_T9_mT8_P12ihipStream_tbDpT10_ENKUlT_T0_E_clISt17integral_constantIbLb1EES1J_IbLb0EEEEDaS1F_S1G_EUlS1F_E_NS1_11comp_targetILNS1_3genE0ELNS1_11target_archE4294967295ELNS1_3gpuE0ELNS1_3repE0EEENS1_30default_config_static_selectorELNS0_4arch9wavefront6targetE0EEEvT1_.has_indirect_call, 0
	.section	.AMDGPU.csdata,"",@progbits
; Kernel info:
; codeLenInByte = 0
; TotalNumSgprs: 0
; NumVgprs: 0
; ScratchSize: 0
; MemoryBound: 0
; FloatMode: 240
; IeeeMode: 1
; LDSByteSize: 0 bytes/workgroup (compile time only)
; SGPRBlocks: 0
; VGPRBlocks: 0
; NumSGPRsForWavesPerEU: 1
; NumVGPRsForWavesPerEU: 1
; Occupancy: 16
; WaveLimiterHint : 0
; COMPUTE_PGM_RSRC2:SCRATCH_EN: 0
; COMPUTE_PGM_RSRC2:USER_SGPR: 2
; COMPUTE_PGM_RSRC2:TRAP_HANDLER: 0
; COMPUTE_PGM_RSRC2:TGID_X_EN: 1
; COMPUTE_PGM_RSRC2:TGID_Y_EN: 0
; COMPUTE_PGM_RSRC2:TGID_Z_EN: 0
; COMPUTE_PGM_RSRC2:TIDIG_COMP_CNT: 0
	.section	.text._ZN7rocprim17ROCPRIM_400000_NS6detail17trampoline_kernelINS0_14default_configENS1_25partition_config_selectorILNS1_17partition_subalgoE6EfNS0_10empty_typeEbEEZZNS1_14partition_implILS5_6ELb0ES3_mN6thrust23THRUST_200600_302600_NS6detail15normal_iteratorINSA_10device_ptrIfEEEEPS6_SG_NS0_5tupleIJSF_S6_EEENSH_IJSG_SG_EEES6_PlJNSB_9not_fun_tINSB_10functional5actorINSM_9compositeIJNSM_27transparent_binary_operatorINSA_8equal_toIvEEEENSN_INSM_8argumentILj0EEEEENSM_5valueIfEEEEEEEEEEEE10hipError_tPvRmT3_T4_T5_T6_T7_T9_mT8_P12ihipStream_tbDpT10_ENKUlT_T0_E_clISt17integral_constantIbLb1EES1J_IbLb0EEEEDaS1F_S1G_EUlS1F_E_NS1_11comp_targetILNS1_3genE5ELNS1_11target_archE942ELNS1_3gpuE9ELNS1_3repE0EEENS1_30default_config_static_selectorELNS0_4arch9wavefront6targetE0EEEvT1_,"axG",@progbits,_ZN7rocprim17ROCPRIM_400000_NS6detail17trampoline_kernelINS0_14default_configENS1_25partition_config_selectorILNS1_17partition_subalgoE6EfNS0_10empty_typeEbEEZZNS1_14partition_implILS5_6ELb0ES3_mN6thrust23THRUST_200600_302600_NS6detail15normal_iteratorINSA_10device_ptrIfEEEEPS6_SG_NS0_5tupleIJSF_S6_EEENSH_IJSG_SG_EEES6_PlJNSB_9not_fun_tINSB_10functional5actorINSM_9compositeIJNSM_27transparent_binary_operatorINSA_8equal_toIvEEEENSN_INSM_8argumentILj0EEEEENSM_5valueIfEEEEEEEEEEEE10hipError_tPvRmT3_T4_T5_T6_T7_T9_mT8_P12ihipStream_tbDpT10_ENKUlT_T0_E_clISt17integral_constantIbLb1EES1J_IbLb0EEEEDaS1F_S1G_EUlS1F_E_NS1_11comp_targetILNS1_3genE5ELNS1_11target_archE942ELNS1_3gpuE9ELNS1_3repE0EEENS1_30default_config_static_selectorELNS0_4arch9wavefront6targetE0EEEvT1_,comdat
	.protected	_ZN7rocprim17ROCPRIM_400000_NS6detail17trampoline_kernelINS0_14default_configENS1_25partition_config_selectorILNS1_17partition_subalgoE6EfNS0_10empty_typeEbEEZZNS1_14partition_implILS5_6ELb0ES3_mN6thrust23THRUST_200600_302600_NS6detail15normal_iteratorINSA_10device_ptrIfEEEEPS6_SG_NS0_5tupleIJSF_S6_EEENSH_IJSG_SG_EEES6_PlJNSB_9not_fun_tINSB_10functional5actorINSM_9compositeIJNSM_27transparent_binary_operatorINSA_8equal_toIvEEEENSN_INSM_8argumentILj0EEEEENSM_5valueIfEEEEEEEEEEEE10hipError_tPvRmT3_T4_T5_T6_T7_T9_mT8_P12ihipStream_tbDpT10_ENKUlT_T0_E_clISt17integral_constantIbLb1EES1J_IbLb0EEEEDaS1F_S1G_EUlS1F_E_NS1_11comp_targetILNS1_3genE5ELNS1_11target_archE942ELNS1_3gpuE9ELNS1_3repE0EEENS1_30default_config_static_selectorELNS0_4arch9wavefront6targetE0EEEvT1_ ; -- Begin function _ZN7rocprim17ROCPRIM_400000_NS6detail17trampoline_kernelINS0_14default_configENS1_25partition_config_selectorILNS1_17partition_subalgoE6EfNS0_10empty_typeEbEEZZNS1_14partition_implILS5_6ELb0ES3_mN6thrust23THRUST_200600_302600_NS6detail15normal_iteratorINSA_10device_ptrIfEEEEPS6_SG_NS0_5tupleIJSF_S6_EEENSH_IJSG_SG_EEES6_PlJNSB_9not_fun_tINSB_10functional5actorINSM_9compositeIJNSM_27transparent_binary_operatorINSA_8equal_toIvEEEENSN_INSM_8argumentILj0EEEEENSM_5valueIfEEEEEEEEEEEE10hipError_tPvRmT3_T4_T5_T6_T7_T9_mT8_P12ihipStream_tbDpT10_ENKUlT_T0_E_clISt17integral_constantIbLb1EES1J_IbLb0EEEEDaS1F_S1G_EUlS1F_E_NS1_11comp_targetILNS1_3genE5ELNS1_11target_archE942ELNS1_3gpuE9ELNS1_3repE0EEENS1_30default_config_static_selectorELNS0_4arch9wavefront6targetE0EEEvT1_
	.globl	_ZN7rocprim17ROCPRIM_400000_NS6detail17trampoline_kernelINS0_14default_configENS1_25partition_config_selectorILNS1_17partition_subalgoE6EfNS0_10empty_typeEbEEZZNS1_14partition_implILS5_6ELb0ES3_mN6thrust23THRUST_200600_302600_NS6detail15normal_iteratorINSA_10device_ptrIfEEEEPS6_SG_NS0_5tupleIJSF_S6_EEENSH_IJSG_SG_EEES6_PlJNSB_9not_fun_tINSB_10functional5actorINSM_9compositeIJNSM_27transparent_binary_operatorINSA_8equal_toIvEEEENSN_INSM_8argumentILj0EEEEENSM_5valueIfEEEEEEEEEEEE10hipError_tPvRmT3_T4_T5_T6_T7_T9_mT8_P12ihipStream_tbDpT10_ENKUlT_T0_E_clISt17integral_constantIbLb1EES1J_IbLb0EEEEDaS1F_S1G_EUlS1F_E_NS1_11comp_targetILNS1_3genE5ELNS1_11target_archE942ELNS1_3gpuE9ELNS1_3repE0EEENS1_30default_config_static_selectorELNS0_4arch9wavefront6targetE0EEEvT1_
	.p2align	8
	.type	_ZN7rocprim17ROCPRIM_400000_NS6detail17trampoline_kernelINS0_14default_configENS1_25partition_config_selectorILNS1_17partition_subalgoE6EfNS0_10empty_typeEbEEZZNS1_14partition_implILS5_6ELb0ES3_mN6thrust23THRUST_200600_302600_NS6detail15normal_iteratorINSA_10device_ptrIfEEEEPS6_SG_NS0_5tupleIJSF_S6_EEENSH_IJSG_SG_EEES6_PlJNSB_9not_fun_tINSB_10functional5actorINSM_9compositeIJNSM_27transparent_binary_operatorINSA_8equal_toIvEEEENSN_INSM_8argumentILj0EEEEENSM_5valueIfEEEEEEEEEEEE10hipError_tPvRmT3_T4_T5_T6_T7_T9_mT8_P12ihipStream_tbDpT10_ENKUlT_T0_E_clISt17integral_constantIbLb1EES1J_IbLb0EEEEDaS1F_S1G_EUlS1F_E_NS1_11comp_targetILNS1_3genE5ELNS1_11target_archE942ELNS1_3gpuE9ELNS1_3repE0EEENS1_30default_config_static_selectorELNS0_4arch9wavefront6targetE0EEEvT1_,@function
_ZN7rocprim17ROCPRIM_400000_NS6detail17trampoline_kernelINS0_14default_configENS1_25partition_config_selectorILNS1_17partition_subalgoE6EfNS0_10empty_typeEbEEZZNS1_14partition_implILS5_6ELb0ES3_mN6thrust23THRUST_200600_302600_NS6detail15normal_iteratorINSA_10device_ptrIfEEEEPS6_SG_NS0_5tupleIJSF_S6_EEENSH_IJSG_SG_EEES6_PlJNSB_9not_fun_tINSB_10functional5actorINSM_9compositeIJNSM_27transparent_binary_operatorINSA_8equal_toIvEEEENSN_INSM_8argumentILj0EEEEENSM_5valueIfEEEEEEEEEEEE10hipError_tPvRmT3_T4_T5_T6_T7_T9_mT8_P12ihipStream_tbDpT10_ENKUlT_T0_E_clISt17integral_constantIbLb1EES1J_IbLb0EEEEDaS1F_S1G_EUlS1F_E_NS1_11comp_targetILNS1_3genE5ELNS1_11target_archE942ELNS1_3gpuE9ELNS1_3repE0EEENS1_30default_config_static_selectorELNS0_4arch9wavefront6targetE0EEEvT1_: ; @_ZN7rocprim17ROCPRIM_400000_NS6detail17trampoline_kernelINS0_14default_configENS1_25partition_config_selectorILNS1_17partition_subalgoE6EfNS0_10empty_typeEbEEZZNS1_14partition_implILS5_6ELb0ES3_mN6thrust23THRUST_200600_302600_NS6detail15normal_iteratorINSA_10device_ptrIfEEEEPS6_SG_NS0_5tupleIJSF_S6_EEENSH_IJSG_SG_EEES6_PlJNSB_9not_fun_tINSB_10functional5actorINSM_9compositeIJNSM_27transparent_binary_operatorINSA_8equal_toIvEEEENSN_INSM_8argumentILj0EEEEENSM_5valueIfEEEEEEEEEEEE10hipError_tPvRmT3_T4_T5_T6_T7_T9_mT8_P12ihipStream_tbDpT10_ENKUlT_T0_E_clISt17integral_constantIbLb1EES1J_IbLb0EEEEDaS1F_S1G_EUlS1F_E_NS1_11comp_targetILNS1_3genE5ELNS1_11target_archE942ELNS1_3gpuE9ELNS1_3repE0EEENS1_30default_config_static_selectorELNS0_4arch9wavefront6targetE0EEEvT1_
; %bb.0:
	.section	.rodata,"a",@progbits
	.p2align	6, 0x0
	.amdhsa_kernel _ZN7rocprim17ROCPRIM_400000_NS6detail17trampoline_kernelINS0_14default_configENS1_25partition_config_selectorILNS1_17partition_subalgoE6EfNS0_10empty_typeEbEEZZNS1_14partition_implILS5_6ELb0ES3_mN6thrust23THRUST_200600_302600_NS6detail15normal_iteratorINSA_10device_ptrIfEEEEPS6_SG_NS0_5tupleIJSF_S6_EEENSH_IJSG_SG_EEES6_PlJNSB_9not_fun_tINSB_10functional5actorINSM_9compositeIJNSM_27transparent_binary_operatorINSA_8equal_toIvEEEENSN_INSM_8argumentILj0EEEEENSM_5valueIfEEEEEEEEEEEE10hipError_tPvRmT3_T4_T5_T6_T7_T9_mT8_P12ihipStream_tbDpT10_ENKUlT_T0_E_clISt17integral_constantIbLb1EES1J_IbLb0EEEEDaS1F_S1G_EUlS1F_E_NS1_11comp_targetILNS1_3genE5ELNS1_11target_archE942ELNS1_3gpuE9ELNS1_3repE0EEENS1_30default_config_static_selectorELNS0_4arch9wavefront6targetE0EEEvT1_
		.amdhsa_group_segment_fixed_size 0
		.amdhsa_private_segment_fixed_size 0
		.amdhsa_kernarg_size 120
		.amdhsa_user_sgpr_count 2
		.amdhsa_user_sgpr_dispatch_ptr 0
		.amdhsa_user_sgpr_queue_ptr 0
		.amdhsa_user_sgpr_kernarg_segment_ptr 1
		.amdhsa_user_sgpr_dispatch_id 0
		.amdhsa_user_sgpr_private_segment_size 0
		.amdhsa_wavefront_size32 1
		.amdhsa_uses_dynamic_stack 0
		.amdhsa_enable_private_segment 0
		.amdhsa_system_sgpr_workgroup_id_x 1
		.amdhsa_system_sgpr_workgroup_id_y 0
		.amdhsa_system_sgpr_workgroup_id_z 0
		.amdhsa_system_sgpr_workgroup_info 0
		.amdhsa_system_vgpr_workitem_id 0
		.amdhsa_next_free_vgpr 1
		.amdhsa_next_free_sgpr 1
		.amdhsa_reserve_vcc 0
		.amdhsa_float_round_mode_32 0
		.amdhsa_float_round_mode_16_64 0
		.amdhsa_float_denorm_mode_32 3
		.amdhsa_float_denorm_mode_16_64 3
		.amdhsa_fp16_overflow 0
		.amdhsa_workgroup_processor_mode 1
		.amdhsa_memory_ordered 1
		.amdhsa_forward_progress 1
		.amdhsa_inst_pref_size 0
		.amdhsa_round_robin_scheduling 0
		.amdhsa_exception_fp_ieee_invalid_op 0
		.amdhsa_exception_fp_denorm_src 0
		.amdhsa_exception_fp_ieee_div_zero 0
		.amdhsa_exception_fp_ieee_overflow 0
		.amdhsa_exception_fp_ieee_underflow 0
		.amdhsa_exception_fp_ieee_inexact 0
		.amdhsa_exception_int_div_zero 0
	.end_amdhsa_kernel
	.section	.text._ZN7rocprim17ROCPRIM_400000_NS6detail17trampoline_kernelINS0_14default_configENS1_25partition_config_selectorILNS1_17partition_subalgoE6EfNS0_10empty_typeEbEEZZNS1_14partition_implILS5_6ELb0ES3_mN6thrust23THRUST_200600_302600_NS6detail15normal_iteratorINSA_10device_ptrIfEEEEPS6_SG_NS0_5tupleIJSF_S6_EEENSH_IJSG_SG_EEES6_PlJNSB_9not_fun_tINSB_10functional5actorINSM_9compositeIJNSM_27transparent_binary_operatorINSA_8equal_toIvEEEENSN_INSM_8argumentILj0EEEEENSM_5valueIfEEEEEEEEEEEE10hipError_tPvRmT3_T4_T5_T6_T7_T9_mT8_P12ihipStream_tbDpT10_ENKUlT_T0_E_clISt17integral_constantIbLb1EES1J_IbLb0EEEEDaS1F_S1G_EUlS1F_E_NS1_11comp_targetILNS1_3genE5ELNS1_11target_archE942ELNS1_3gpuE9ELNS1_3repE0EEENS1_30default_config_static_selectorELNS0_4arch9wavefront6targetE0EEEvT1_,"axG",@progbits,_ZN7rocprim17ROCPRIM_400000_NS6detail17trampoline_kernelINS0_14default_configENS1_25partition_config_selectorILNS1_17partition_subalgoE6EfNS0_10empty_typeEbEEZZNS1_14partition_implILS5_6ELb0ES3_mN6thrust23THRUST_200600_302600_NS6detail15normal_iteratorINSA_10device_ptrIfEEEEPS6_SG_NS0_5tupleIJSF_S6_EEENSH_IJSG_SG_EEES6_PlJNSB_9not_fun_tINSB_10functional5actorINSM_9compositeIJNSM_27transparent_binary_operatorINSA_8equal_toIvEEEENSN_INSM_8argumentILj0EEEEENSM_5valueIfEEEEEEEEEEEE10hipError_tPvRmT3_T4_T5_T6_T7_T9_mT8_P12ihipStream_tbDpT10_ENKUlT_T0_E_clISt17integral_constantIbLb1EES1J_IbLb0EEEEDaS1F_S1G_EUlS1F_E_NS1_11comp_targetILNS1_3genE5ELNS1_11target_archE942ELNS1_3gpuE9ELNS1_3repE0EEENS1_30default_config_static_selectorELNS0_4arch9wavefront6targetE0EEEvT1_,comdat
.Lfunc_end64:
	.size	_ZN7rocprim17ROCPRIM_400000_NS6detail17trampoline_kernelINS0_14default_configENS1_25partition_config_selectorILNS1_17partition_subalgoE6EfNS0_10empty_typeEbEEZZNS1_14partition_implILS5_6ELb0ES3_mN6thrust23THRUST_200600_302600_NS6detail15normal_iteratorINSA_10device_ptrIfEEEEPS6_SG_NS0_5tupleIJSF_S6_EEENSH_IJSG_SG_EEES6_PlJNSB_9not_fun_tINSB_10functional5actorINSM_9compositeIJNSM_27transparent_binary_operatorINSA_8equal_toIvEEEENSN_INSM_8argumentILj0EEEEENSM_5valueIfEEEEEEEEEEEE10hipError_tPvRmT3_T4_T5_T6_T7_T9_mT8_P12ihipStream_tbDpT10_ENKUlT_T0_E_clISt17integral_constantIbLb1EES1J_IbLb0EEEEDaS1F_S1G_EUlS1F_E_NS1_11comp_targetILNS1_3genE5ELNS1_11target_archE942ELNS1_3gpuE9ELNS1_3repE0EEENS1_30default_config_static_selectorELNS0_4arch9wavefront6targetE0EEEvT1_, .Lfunc_end64-_ZN7rocprim17ROCPRIM_400000_NS6detail17trampoline_kernelINS0_14default_configENS1_25partition_config_selectorILNS1_17partition_subalgoE6EfNS0_10empty_typeEbEEZZNS1_14partition_implILS5_6ELb0ES3_mN6thrust23THRUST_200600_302600_NS6detail15normal_iteratorINSA_10device_ptrIfEEEEPS6_SG_NS0_5tupleIJSF_S6_EEENSH_IJSG_SG_EEES6_PlJNSB_9not_fun_tINSB_10functional5actorINSM_9compositeIJNSM_27transparent_binary_operatorINSA_8equal_toIvEEEENSN_INSM_8argumentILj0EEEEENSM_5valueIfEEEEEEEEEEEE10hipError_tPvRmT3_T4_T5_T6_T7_T9_mT8_P12ihipStream_tbDpT10_ENKUlT_T0_E_clISt17integral_constantIbLb1EES1J_IbLb0EEEEDaS1F_S1G_EUlS1F_E_NS1_11comp_targetILNS1_3genE5ELNS1_11target_archE942ELNS1_3gpuE9ELNS1_3repE0EEENS1_30default_config_static_selectorELNS0_4arch9wavefront6targetE0EEEvT1_
                                        ; -- End function
	.set _ZN7rocprim17ROCPRIM_400000_NS6detail17trampoline_kernelINS0_14default_configENS1_25partition_config_selectorILNS1_17partition_subalgoE6EfNS0_10empty_typeEbEEZZNS1_14partition_implILS5_6ELb0ES3_mN6thrust23THRUST_200600_302600_NS6detail15normal_iteratorINSA_10device_ptrIfEEEEPS6_SG_NS0_5tupleIJSF_S6_EEENSH_IJSG_SG_EEES6_PlJNSB_9not_fun_tINSB_10functional5actorINSM_9compositeIJNSM_27transparent_binary_operatorINSA_8equal_toIvEEEENSN_INSM_8argumentILj0EEEEENSM_5valueIfEEEEEEEEEEEE10hipError_tPvRmT3_T4_T5_T6_T7_T9_mT8_P12ihipStream_tbDpT10_ENKUlT_T0_E_clISt17integral_constantIbLb1EES1J_IbLb0EEEEDaS1F_S1G_EUlS1F_E_NS1_11comp_targetILNS1_3genE5ELNS1_11target_archE942ELNS1_3gpuE9ELNS1_3repE0EEENS1_30default_config_static_selectorELNS0_4arch9wavefront6targetE0EEEvT1_.num_vgpr, 0
	.set _ZN7rocprim17ROCPRIM_400000_NS6detail17trampoline_kernelINS0_14default_configENS1_25partition_config_selectorILNS1_17partition_subalgoE6EfNS0_10empty_typeEbEEZZNS1_14partition_implILS5_6ELb0ES3_mN6thrust23THRUST_200600_302600_NS6detail15normal_iteratorINSA_10device_ptrIfEEEEPS6_SG_NS0_5tupleIJSF_S6_EEENSH_IJSG_SG_EEES6_PlJNSB_9not_fun_tINSB_10functional5actorINSM_9compositeIJNSM_27transparent_binary_operatorINSA_8equal_toIvEEEENSN_INSM_8argumentILj0EEEEENSM_5valueIfEEEEEEEEEEEE10hipError_tPvRmT3_T4_T5_T6_T7_T9_mT8_P12ihipStream_tbDpT10_ENKUlT_T0_E_clISt17integral_constantIbLb1EES1J_IbLb0EEEEDaS1F_S1G_EUlS1F_E_NS1_11comp_targetILNS1_3genE5ELNS1_11target_archE942ELNS1_3gpuE9ELNS1_3repE0EEENS1_30default_config_static_selectorELNS0_4arch9wavefront6targetE0EEEvT1_.num_agpr, 0
	.set _ZN7rocprim17ROCPRIM_400000_NS6detail17trampoline_kernelINS0_14default_configENS1_25partition_config_selectorILNS1_17partition_subalgoE6EfNS0_10empty_typeEbEEZZNS1_14partition_implILS5_6ELb0ES3_mN6thrust23THRUST_200600_302600_NS6detail15normal_iteratorINSA_10device_ptrIfEEEEPS6_SG_NS0_5tupleIJSF_S6_EEENSH_IJSG_SG_EEES6_PlJNSB_9not_fun_tINSB_10functional5actorINSM_9compositeIJNSM_27transparent_binary_operatorINSA_8equal_toIvEEEENSN_INSM_8argumentILj0EEEEENSM_5valueIfEEEEEEEEEEEE10hipError_tPvRmT3_T4_T5_T6_T7_T9_mT8_P12ihipStream_tbDpT10_ENKUlT_T0_E_clISt17integral_constantIbLb1EES1J_IbLb0EEEEDaS1F_S1G_EUlS1F_E_NS1_11comp_targetILNS1_3genE5ELNS1_11target_archE942ELNS1_3gpuE9ELNS1_3repE0EEENS1_30default_config_static_selectorELNS0_4arch9wavefront6targetE0EEEvT1_.numbered_sgpr, 0
	.set _ZN7rocprim17ROCPRIM_400000_NS6detail17trampoline_kernelINS0_14default_configENS1_25partition_config_selectorILNS1_17partition_subalgoE6EfNS0_10empty_typeEbEEZZNS1_14partition_implILS5_6ELb0ES3_mN6thrust23THRUST_200600_302600_NS6detail15normal_iteratorINSA_10device_ptrIfEEEEPS6_SG_NS0_5tupleIJSF_S6_EEENSH_IJSG_SG_EEES6_PlJNSB_9not_fun_tINSB_10functional5actorINSM_9compositeIJNSM_27transparent_binary_operatorINSA_8equal_toIvEEEENSN_INSM_8argumentILj0EEEEENSM_5valueIfEEEEEEEEEEEE10hipError_tPvRmT3_T4_T5_T6_T7_T9_mT8_P12ihipStream_tbDpT10_ENKUlT_T0_E_clISt17integral_constantIbLb1EES1J_IbLb0EEEEDaS1F_S1G_EUlS1F_E_NS1_11comp_targetILNS1_3genE5ELNS1_11target_archE942ELNS1_3gpuE9ELNS1_3repE0EEENS1_30default_config_static_selectorELNS0_4arch9wavefront6targetE0EEEvT1_.num_named_barrier, 0
	.set _ZN7rocprim17ROCPRIM_400000_NS6detail17trampoline_kernelINS0_14default_configENS1_25partition_config_selectorILNS1_17partition_subalgoE6EfNS0_10empty_typeEbEEZZNS1_14partition_implILS5_6ELb0ES3_mN6thrust23THRUST_200600_302600_NS6detail15normal_iteratorINSA_10device_ptrIfEEEEPS6_SG_NS0_5tupleIJSF_S6_EEENSH_IJSG_SG_EEES6_PlJNSB_9not_fun_tINSB_10functional5actorINSM_9compositeIJNSM_27transparent_binary_operatorINSA_8equal_toIvEEEENSN_INSM_8argumentILj0EEEEENSM_5valueIfEEEEEEEEEEEE10hipError_tPvRmT3_T4_T5_T6_T7_T9_mT8_P12ihipStream_tbDpT10_ENKUlT_T0_E_clISt17integral_constantIbLb1EES1J_IbLb0EEEEDaS1F_S1G_EUlS1F_E_NS1_11comp_targetILNS1_3genE5ELNS1_11target_archE942ELNS1_3gpuE9ELNS1_3repE0EEENS1_30default_config_static_selectorELNS0_4arch9wavefront6targetE0EEEvT1_.private_seg_size, 0
	.set _ZN7rocprim17ROCPRIM_400000_NS6detail17trampoline_kernelINS0_14default_configENS1_25partition_config_selectorILNS1_17partition_subalgoE6EfNS0_10empty_typeEbEEZZNS1_14partition_implILS5_6ELb0ES3_mN6thrust23THRUST_200600_302600_NS6detail15normal_iteratorINSA_10device_ptrIfEEEEPS6_SG_NS0_5tupleIJSF_S6_EEENSH_IJSG_SG_EEES6_PlJNSB_9not_fun_tINSB_10functional5actorINSM_9compositeIJNSM_27transparent_binary_operatorINSA_8equal_toIvEEEENSN_INSM_8argumentILj0EEEEENSM_5valueIfEEEEEEEEEEEE10hipError_tPvRmT3_T4_T5_T6_T7_T9_mT8_P12ihipStream_tbDpT10_ENKUlT_T0_E_clISt17integral_constantIbLb1EES1J_IbLb0EEEEDaS1F_S1G_EUlS1F_E_NS1_11comp_targetILNS1_3genE5ELNS1_11target_archE942ELNS1_3gpuE9ELNS1_3repE0EEENS1_30default_config_static_selectorELNS0_4arch9wavefront6targetE0EEEvT1_.uses_vcc, 0
	.set _ZN7rocprim17ROCPRIM_400000_NS6detail17trampoline_kernelINS0_14default_configENS1_25partition_config_selectorILNS1_17partition_subalgoE6EfNS0_10empty_typeEbEEZZNS1_14partition_implILS5_6ELb0ES3_mN6thrust23THRUST_200600_302600_NS6detail15normal_iteratorINSA_10device_ptrIfEEEEPS6_SG_NS0_5tupleIJSF_S6_EEENSH_IJSG_SG_EEES6_PlJNSB_9not_fun_tINSB_10functional5actorINSM_9compositeIJNSM_27transparent_binary_operatorINSA_8equal_toIvEEEENSN_INSM_8argumentILj0EEEEENSM_5valueIfEEEEEEEEEEEE10hipError_tPvRmT3_T4_T5_T6_T7_T9_mT8_P12ihipStream_tbDpT10_ENKUlT_T0_E_clISt17integral_constantIbLb1EES1J_IbLb0EEEEDaS1F_S1G_EUlS1F_E_NS1_11comp_targetILNS1_3genE5ELNS1_11target_archE942ELNS1_3gpuE9ELNS1_3repE0EEENS1_30default_config_static_selectorELNS0_4arch9wavefront6targetE0EEEvT1_.uses_flat_scratch, 0
	.set _ZN7rocprim17ROCPRIM_400000_NS6detail17trampoline_kernelINS0_14default_configENS1_25partition_config_selectorILNS1_17partition_subalgoE6EfNS0_10empty_typeEbEEZZNS1_14partition_implILS5_6ELb0ES3_mN6thrust23THRUST_200600_302600_NS6detail15normal_iteratorINSA_10device_ptrIfEEEEPS6_SG_NS0_5tupleIJSF_S6_EEENSH_IJSG_SG_EEES6_PlJNSB_9not_fun_tINSB_10functional5actorINSM_9compositeIJNSM_27transparent_binary_operatorINSA_8equal_toIvEEEENSN_INSM_8argumentILj0EEEEENSM_5valueIfEEEEEEEEEEEE10hipError_tPvRmT3_T4_T5_T6_T7_T9_mT8_P12ihipStream_tbDpT10_ENKUlT_T0_E_clISt17integral_constantIbLb1EES1J_IbLb0EEEEDaS1F_S1G_EUlS1F_E_NS1_11comp_targetILNS1_3genE5ELNS1_11target_archE942ELNS1_3gpuE9ELNS1_3repE0EEENS1_30default_config_static_selectorELNS0_4arch9wavefront6targetE0EEEvT1_.has_dyn_sized_stack, 0
	.set _ZN7rocprim17ROCPRIM_400000_NS6detail17trampoline_kernelINS0_14default_configENS1_25partition_config_selectorILNS1_17partition_subalgoE6EfNS0_10empty_typeEbEEZZNS1_14partition_implILS5_6ELb0ES3_mN6thrust23THRUST_200600_302600_NS6detail15normal_iteratorINSA_10device_ptrIfEEEEPS6_SG_NS0_5tupleIJSF_S6_EEENSH_IJSG_SG_EEES6_PlJNSB_9not_fun_tINSB_10functional5actorINSM_9compositeIJNSM_27transparent_binary_operatorINSA_8equal_toIvEEEENSN_INSM_8argumentILj0EEEEENSM_5valueIfEEEEEEEEEEEE10hipError_tPvRmT3_T4_T5_T6_T7_T9_mT8_P12ihipStream_tbDpT10_ENKUlT_T0_E_clISt17integral_constantIbLb1EES1J_IbLb0EEEEDaS1F_S1G_EUlS1F_E_NS1_11comp_targetILNS1_3genE5ELNS1_11target_archE942ELNS1_3gpuE9ELNS1_3repE0EEENS1_30default_config_static_selectorELNS0_4arch9wavefront6targetE0EEEvT1_.has_recursion, 0
	.set _ZN7rocprim17ROCPRIM_400000_NS6detail17trampoline_kernelINS0_14default_configENS1_25partition_config_selectorILNS1_17partition_subalgoE6EfNS0_10empty_typeEbEEZZNS1_14partition_implILS5_6ELb0ES3_mN6thrust23THRUST_200600_302600_NS6detail15normal_iteratorINSA_10device_ptrIfEEEEPS6_SG_NS0_5tupleIJSF_S6_EEENSH_IJSG_SG_EEES6_PlJNSB_9not_fun_tINSB_10functional5actorINSM_9compositeIJNSM_27transparent_binary_operatorINSA_8equal_toIvEEEENSN_INSM_8argumentILj0EEEEENSM_5valueIfEEEEEEEEEEEE10hipError_tPvRmT3_T4_T5_T6_T7_T9_mT8_P12ihipStream_tbDpT10_ENKUlT_T0_E_clISt17integral_constantIbLb1EES1J_IbLb0EEEEDaS1F_S1G_EUlS1F_E_NS1_11comp_targetILNS1_3genE5ELNS1_11target_archE942ELNS1_3gpuE9ELNS1_3repE0EEENS1_30default_config_static_selectorELNS0_4arch9wavefront6targetE0EEEvT1_.has_indirect_call, 0
	.section	.AMDGPU.csdata,"",@progbits
; Kernel info:
; codeLenInByte = 0
; TotalNumSgprs: 0
; NumVgprs: 0
; ScratchSize: 0
; MemoryBound: 0
; FloatMode: 240
; IeeeMode: 1
; LDSByteSize: 0 bytes/workgroup (compile time only)
; SGPRBlocks: 0
; VGPRBlocks: 0
; NumSGPRsForWavesPerEU: 1
; NumVGPRsForWavesPerEU: 1
; Occupancy: 16
; WaveLimiterHint : 0
; COMPUTE_PGM_RSRC2:SCRATCH_EN: 0
; COMPUTE_PGM_RSRC2:USER_SGPR: 2
; COMPUTE_PGM_RSRC2:TRAP_HANDLER: 0
; COMPUTE_PGM_RSRC2:TGID_X_EN: 1
; COMPUTE_PGM_RSRC2:TGID_Y_EN: 0
; COMPUTE_PGM_RSRC2:TGID_Z_EN: 0
; COMPUTE_PGM_RSRC2:TIDIG_COMP_CNT: 0
	.section	.text._ZN7rocprim17ROCPRIM_400000_NS6detail17trampoline_kernelINS0_14default_configENS1_25partition_config_selectorILNS1_17partition_subalgoE6EfNS0_10empty_typeEbEEZZNS1_14partition_implILS5_6ELb0ES3_mN6thrust23THRUST_200600_302600_NS6detail15normal_iteratorINSA_10device_ptrIfEEEEPS6_SG_NS0_5tupleIJSF_S6_EEENSH_IJSG_SG_EEES6_PlJNSB_9not_fun_tINSB_10functional5actorINSM_9compositeIJNSM_27transparent_binary_operatorINSA_8equal_toIvEEEENSN_INSM_8argumentILj0EEEEENSM_5valueIfEEEEEEEEEEEE10hipError_tPvRmT3_T4_T5_T6_T7_T9_mT8_P12ihipStream_tbDpT10_ENKUlT_T0_E_clISt17integral_constantIbLb1EES1J_IbLb0EEEEDaS1F_S1G_EUlS1F_E_NS1_11comp_targetILNS1_3genE4ELNS1_11target_archE910ELNS1_3gpuE8ELNS1_3repE0EEENS1_30default_config_static_selectorELNS0_4arch9wavefront6targetE0EEEvT1_,"axG",@progbits,_ZN7rocprim17ROCPRIM_400000_NS6detail17trampoline_kernelINS0_14default_configENS1_25partition_config_selectorILNS1_17partition_subalgoE6EfNS0_10empty_typeEbEEZZNS1_14partition_implILS5_6ELb0ES3_mN6thrust23THRUST_200600_302600_NS6detail15normal_iteratorINSA_10device_ptrIfEEEEPS6_SG_NS0_5tupleIJSF_S6_EEENSH_IJSG_SG_EEES6_PlJNSB_9not_fun_tINSB_10functional5actorINSM_9compositeIJNSM_27transparent_binary_operatorINSA_8equal_toIvEEEENSN_INSM_8argumentILj0EEEEENSM_5valueIfEEEEEEEEEEEE10hipError_tPvRmT3_T4_T5_T6_T7_T9_mT8_P12ihipStream_tbDpT10_ENKUlT_T0_E_clISt17integral_constantIbLb1EES1J_IbLb0EEEEDaS1F_S1G_EUlS1F_E_NS1_11comp_targetILNS1_3genE4ELNS1_11target_archE910ELNS1_3gpuE8ELNS1_3repE0EEENS1_30default_config_static_selectorELNS0_4arch9wavefront6targetE0EEEvT1_,comdat
	.protected	_ZN7rocprim17ROCPRIM_400000_NS6detail17trampoline_kernelINS0_14default_configENS1_25partition_config_selectorILNS1_17partition_subalgoE6EfNS0_10empty_typeEbEEZZNS1_14partition_implILS5_6ELb0ES3_mN6thrust23THRUST_200600_302600_NS6detail15normal_iteratorINSA_10device_ptrIfEEEEPS6_SG_NS0_5tupleIJSF_S6_EEENSH_IJSG_SG_EEES6_PlJNSB_9not_fun_tINSB_10functional5actorINSM_9compositeIJNSM_27transparent_binary_operatorINSA_8equal_toIvEEEENSN_INSM_8argumentILj0EEEEENSM_5valueIfEEEEEEEEEEEE10hipError_tPvRmT3_T4_T5_T6_T7_T9_mT8_P12ihipStream_tbDpT10_ENKUlT_T0_E_clISt17integral_constantIbLb1EES1J_IbLb0EEEEDaS1F_S1G_EUlS1F_E_NS1_11comp_targetILNS1_3genE4ELNS1_11target_archE910ELNS1_3gpuE8ELNS1_3repE0EEENS1_30default_config_static_selectorELNS0_4arch9wavefront6targetE0EEEvT1_ ; -- Begin function _ZN7rocprim17ROCPRIM_400000_NS6detail17trampoline_kernelINS0_14default_configENS1_25partition_config_selectorILNS1_17partition_subalgoE6EfNS0_10empty_typeEbEEZZNS1_14partition_implILS5_6ELb0ES3_mN6thrust23THRUST_200600_302600_NS6detail15normal_iteratorINSA_10device_ptrIfEEEEPS6_SG_NS0_5tupleIJSF_S6_EEENSH_IJSG_SG_EEES6_PlJNSB_9not_fun_tINSB_10functional5actorINSM_9compositeIJNSM_27transparent_binary_operatorINSA_8equal_toIvEEEENSN_INSM_8argumentILj0EEEEENSM_5valueIfEEEEEEEEEEEE10hipError_tPvRmT3_T4_T5_T6_T7_T9_mT8_P12ihipStream_tbDpT10_ENKUlT_T0_E_clISt17integral_constantIbLb1EES1J_IbLb0EEEEDaS1F_S1G_EUlS1F_E_NS1_11comp_targetILNS1_3genE4ELNS1_11target_archE910ELNS1_3gpuE8ELNS1_3repE0EEENS1_30default_config_static_selectorELNS0_4arch9wavefront6targetE0EEEvT1_
	.globl	_ZN7rocprim17ROCPRIM_400000_NS6detail17trampoline_kernelINS0_14default_configENS1_25partition_config_selectorILNS1_17partition_subalgoE6EfNS0_10empty_typeEbEEZZNS1_14partition_implILS5_6ELb0ES3_mN6thrust23THRUST_200600_302600_NS6detail15normal_iteratorINSA_10device_ptrIfEEEEPS6_SG_NS0_5tupleIJSF_S6_EEENSH_IJSG_SG_EEES6_PlJNSB_9not_fun_tINSB_10functional5actorINSM_9compositeIJNSM_27transparent_binary_operatorINSA_8equal_toIvEEEENSN_INSM_8argumentILj0EEEEENSM_5valueIfEEEEEEEEEEEE10hipError_tPvRmT3_T4_T5_T6_T7_T9_mT8_P12ihipStream_tbDpT10_ENKUlT_T0_E_clISt17integral_constantIbLb1EES1J_IbLb0EEEEDaS1F_S1G_EUlS1F_E_NS1_11comp_targetILNS1_3genE4ELNS1_11target_archE910ELNS1_3gpuE8ELNS1_3repE0EEENS1_30default_config_static_selectorELNS0_4arch9wavefront6targetE0EEEvT1_
	.p2align	8
	.type	_ZN7rocprim17ROCPRIM_400000_NS6detail17trampoline_kernelINS0_14default_configENS1_25partition_config_selectorILNS1_17partition_subalgoE6EfNS0_10empty_typeEbEEZZNS1_14partition_implILS5_6ELb0ES3_mN6thrust23THRUST_200600_302600_NS6detail15normal_iteratorINSA_10device_ptrIfEEEEPS6_SG_NS0_5tupleIJSF_S6_EEENSH_IJSG_SG_EEES6_PlJNSB_9not_fun_tINSB_10functional5actorINSM_9compositeIJNSM_27transparent_binary_operatorINSA_8equal_toIvEEEENSN_INSM_8argumentILj0EEEEENSM_5valueIfEEEEEEEEEEEE10hipError_tPvRmT3_T4_T5_T6_T7_T9_mT8_P12ihipStream_tbDpT10_ENKUlT_T0_E_clISt17integral_constantIbLb1EES1J_IbLb0EEEEDaS1F_S1G_EUlS1F_E_NS1_11comp_targetILNS1_3genE4ELNS1_11target_archE910ELNS1_3gpuE8ELNS1_3repE0EEENS1_30default_config_static_selectorELNS0_4arch9wavefront6targetE0EEEvT1_,@function
_ZN7rocprim17ROCPRIM_400000_NS6detail17trampoline_kernelINS0_14default_configENS1_25partition_config_selectorILNS1_17partition_subalgoE6EfNS0_10empty_typeEbEEZZNS1_14partition_implILS5_6ELb0ES3_mN6thrust23THRUST_200600_302600_NS6detail15normal_iteratorINSA_10device_ptrIfEEEEPS6_SG_NS0_5tupleIJSF_S6_EEENSH_IJSG_SG_EEES6_PlJNSB_9not_fun_tINSB_10functional5actorINSM_9compositeIJNSM_27transparent_binary_operatorINSA_8equal_toIvEEEENSN_INSM_8argumentILj0EEEEENSM_5valueIfEEEEEEEEEEEE10hipError_tPvRmT3_T4_T5_T6_T7_T9_mT8_P12ihipStream_tbDpT10_ENKUlT_T0_E_clISt17integral_constantIbLb1EES1J_IbLb0EEEEDaS1F_S1G_EUlS1F_E_NS1_11comp_targetILNS1_3genE4ELNS1_11target_archE910ELNS1_3gpuE8ELNS1_3repE0EEENS1_30default_config_static_selectorELNS0_4arch9wavefront6targetE0EEEvT1_: ; @_ZN7rocprim17ROCPRIM_400000_NS6detail17trampoline_kernelINS0_14default_configENS1_25partition_config_selectorILNS1_17partition_subalgoE6EfNS0_10empty_typeEbEEZZNS1_14partition_implILS5_6ELb0ES3_mN6thrust23THRUST_200600_302600_NS6detail15normal_iteratorINSA_10device_ptrIfEEEEPS6_SG_NS0_5tupleIJSF_S6_EEENSH_IJSG_SG_EEES6_PlJNSB_9not_fun_tINSB_10functional5actorINSM_9compositeIJNSM_27transparent_binary_operatorINSA_8equal_toIvEEEENSN_INSM_8argumentILj0EEEEENSM_5valueIfEEEEEEEEEEEE10hipError_tPvRmT3_T4_T5_T6_T7_T9_mT8_P12ihipStream_tbDpT10_ENKUlT_T0_E_clISt17integral_constantIbLb1EES1J_IbLb0EEEEDaS1F_S1G_EUlS1F_E_NS1_11comp_targetILNS1_3genE4ELNS1_11target_archE910ELNS1_3gpuE8ELNS1_3repE0EEENS1_30default_config_static_selectorELNS0_4arch9wavefront6targetE0EEEvT1_
; %bb.0:
	.section	.rodata,"a",@progbits
	.p2align	6, 0x0
	.amdhsa_kernel _ZN7rocprim17ROCPRIM_400000_NS6detail17trampoline_kernelINS0_14default_configENS1_25partition_config_selectorILNS1_17partition_subalgoE6EfNS0_10empty_typeEbEEZZNS1_14partition_implILS5_6ELb0ES3_mN6thrust23THRUST_200600_302600_NS6detail15normal_iteratorINSA_10device_ptrIfEEEEPS6_SG_NS0_5tupleIJSF_S6_EEENSH_IJSG_SG_EEES6_PlJNSB_9not_fun_tINSB_10functional5actorINSM_9compositeIJNSM_27transparent_binary_operatorINSA_8equal_toIvEEEENSN_INSM_8argumentILj0EEEEENSM_5valueIfEEEEEEEEEEEE10hipError_tPvRmT3_T4_T5_T6_T7_T9_mT8_P12ihipStream_tbDpT10_ENKUlT_T0_E_clISt17integral_constantIbLb1EES1J_IbLb0EEEEDaS1F_S1G_EUlS1F_E_NS1_11comp_targetILNS1_3genE4ELNS1_11target_archE910ELNS1_3gpuE8ELNS1_3repE0EEENS1_30default_config_static_selectorELNS0_4arch9wavefront6targetE0EEEvT1_
		.amdhsa_group_segment_fixed_size 0
		.amdhsa_private_segment_fixed_size 0
		.amdhsa_kernarg_size 120
		.amdhsa_user_sgpr_count 2
		.amdhsa_user_sgpr_dispatch_ptr 0
		.amdhsa_user_sgpr_queue_ptr 0
		.amdhsa_user_sgpr_kernarg_segment_ptr 1
		.amdhsa_user_sgpr_dispatch_id 0
		.amdhsa_user_sgpr_private_segment_size 0
		.amdhsa_wavefront_size32 1
		.amdhsa_uses_dynamic_stack 0
		.amdhsa_enable_private_segment 0
		.amdhsa_system_sgpr_workgroup_id_x 1
		.amdhsa_system_sgpr_workgroup_id_y 0
		.amdhsa_system_sgpr_workgroup_id_z 0
		.amdhsa_system_sgpr_workgroup_info 0
		.amdhsa_system_vgpr_workitem_id 0
		.amdhsa_next_free_vgpr 1
		.amdhsa_next_free_sgpr 1
		.amdhsa_reserve_vcc 0
		.amdhsa_float_round_mode_32 0
		.amdhsa_float_round_mode_16_64 0
		.amdhsa_float_denorm_mode_32 3
		.amdhsa_float_denorm_mode_16_64 3
		.amdhsa_fp16_overflow 0
		.amdhsa_workgroup_processor_mode 1
		.amdhsa_memory_ordered 1
		.amdhsa_forward_progress 1
		.amdhsa_inst_pref_size 0
		.amdhsa_round_robin_scheduling 0
		.amdhsa_exception_fp_ieee_invalid_op 0
		.amdhsa_exception_fp_denorm_src 0
		.amdhsa_exception_fp_ieee_div_zero 0
		.amdhsa_exception_fp_ieee_overflow 0
		.amdhsa_exception_fp_ieee_underflow 0
		.amdhsa_exception_fp_ieee_inexact 0
		.amdhsa_exception_int_div_zero 0
	.end_amdhsa_kernel
	.section	.text._ZN7rocprim17ROCPRIM_400000_NS6detail17trampoline_kernelINS0_14default_configENS1_25partition_config_selectorILNS1_17partition_subalgoE6EfNS0_10empty_typeEbEEZZNS1_14partition_implILS5_6ELb0ES3_mN6thrust23THRUST_200600_302600_NS6detail15normal_iteratorINSA_10device_ptrIfEEEEPS6_SG_NS0_5tupleIJSF_S6_EEENSH_IJSG_SG_EEES6_PlJNSB_9not_fun_tINSB_10functional5actorINSM_9compositeIJNSM_27transparent_binary_operatorINSA_8equal_toIvEEEENSN_INSM_8argumentILj0EEEEENSM_5valueIfEEEEEEEEEEEE10hipError_tPvRmT3_T4_T5_T6_T7_T9_mT8_P12ihipStream_tbDpT10_ENKUlT_T0_E_clISt17integral_constantIbLb1EES1J_IbLb0EEEEDaS1F_S1G_EUlS1F_E_NS1_11comp_targetILNS1_3genE4ELNS1_11target_archE910ELNS1_3gpuE8ELNS1_3repE0EEENS1_30default_config_static_selectorELNS0_4arch9wavefront6targetE0EEEvT1_,"axG",@progbits,_ZN7rocprim17ROCPRIM_400000_NS6detail17trampoline_kernelINS0_14default_configENS1_25partition_config_selectorILNS1_17partition_subalgoE6EfNS0_10empty_typeEbEEZZNS1_14partition_implILS5_6ELb0ES3_mN6thrust23THRUST_200600_302600_NS6detail15normal_iteratorINSA_10device_ptrIfEEEEPS6_SG_NS0_5tupleIJSF_S6_EEENSH_IJSG_SG_EEES6_PlJNSB_9not_fun_tINSB_10functional5actorINSM_9compositeIJNSM_27transparent_binary_operatorINSA_8equal_toIvEEEENSN_INSM_8argumentILj0EEEEENSM_5valueIfEEEEEEEEEEEE10hipError_tPvRmT3_T4_T5_T6_T7_T9_mT8_P12ihipStream_tbDpT10_ENKUlT_T0_E_clISt17integral_constantIbLb1EES1J_IbLb0EEEEDaS1F_S1G_EUlS1F_E_NS1_11comp_targetILNS1_3genE4ELNS1_11target_archE910ELNS1_3gpuE8ELNS1_3repE0EEENS1_30default_config_static_selectorELNS0_4arch9wavefront6targetE0EEEvT1_,comdat
.Lfunc_end65:
	.size	_ZN7rocprim17ROCPRIM_400000_NS6detail17trampoline_kernelINS0_14default_configENS1_25partition_config_selectorILNS1_17partition_subalgoE6EfNS0_10empty_typeEbEEZZNS1_14partition_implILS5_6ELb0ES3_mN6thrust23THRUST_200600_302600_NS6detail15normal_iteratorINSA_10device_ptrIfEEEEPS6_SG_NS0_5tupleIJSF_S6_EEENSH_IJSG_SG_EEES6_PlJNSB_9not_fun_tINSB_10functional5actorINSM_9compositeIJNSM_27transparent_binary_operatorINSA_8equal_toIvEEEENSN_INSM_8argumentILj0EEEEENSM_5valueIfEEEEEEEEEEEE10hipError_tPvRmT3_T4_T5_T6_T7_T9_mT8_P12ihipStream_tbDpT10_ENKUlT_T0_E_clISt17integral_constantIbLb1EES1J_IbLb0EEEEDaS1F_S1G_EUlS1F_E_NS1_11comp_targetILNS1_3genE4ELNS1_11target_archE910ELNS1_3gpuE8ELNS1_3repE0EEENS1_30default_config_static_selectorELNS0_4arch9wavefront6targetE0EEEvT1_, .Lfunc_end65-_ZN7rocprim17ROCPRIM_400000_NS6detail17trampoline_kernelINS0_14default_configENS1_25partition_config_selectorILNS1_17partition_subalgoE6EfNS0_10empty_typeEbEEZZNS1_14partition_implILS5_6ELb0ES3_mN6thrust23THRUST_200600_302600_NS6detail15normal_iteratorINSA_10device_ptrIfEEEEPS6_SG_NS0_5tupleIJSF_S6_EEENSH_IJSG_SG_EEES6_PlJNSB_9not_fun_tINSB_10functional5actorINSM_9compositeIJNSM_27transparent_binary_operatorINSA_8equal_toIvEEEENSN_INSM_8argumentILj0EEEEENSM_5valueIfEEEEEEEEEEEE10hipError_tPvRmT3_T4_T5_T6_T7_T9_mT8_P12ihipStream_tbDpT10_ENKUlT_T0_E_clISt17integral_constantIbLb1EES1J_IbLb0EEEEDaS1F_S1G_EUlS1F_E_NS1_11comp_targetILNS1_3genE4ELNS1_11target_archE910ELNS1_3gpuE8ELNS1_3repE0EEENS1_30default_config_static_selectorELNS0_4arch9wavefront6targetE0EEEvT1_
                                        ; -- End function
	.set _ZN7rocprim17ROCPRIM_400000_NS6detail17trampoline_kernelINS0_14default_configENS1_25partition_config_selectorILNS1_17partition_subalgoE6EfNS0_10empty_typeEbEEZZNS1_14partition_implILS5_6ELb0ES3_mN6thrust23THRUST_200600_302600_NS6detail15normal_iteratorINSA_10device_ptrIfEEEEPS6_SG_NS0_5tupleIJSF_S6_EEENSH_IJSG_SG_EEES6_PlJNSB_9not_fun_tINSB_10functional5actorINSM_9compositeIJNSM_27transparent_binary_operatorINSA_8equal_toIvEEEENSN_INSM_8argumentILj0EEEEENSM_5valueIfEEEEEEEEEEEE10hipError_tPvRmT3_T4_T5_T6_T7_T9_mT8_P12ihipStream_tbDpT10_ENKUlT_T0_E_clISt17integral_constantIbLb1EES1J_IbLb0EEEEDaS1F_S1G_EUlS1F_E_NS1_11comp_targetILNS1_3genE4ELNS1_11target_archE910ELNS1_3gpuE8ELNS1_3repE0EEENS1_30default_config_static_selectorELNS0_4arch9wavefront6targetE0EEEvT1_.num_vgpr, 0
	.set _ZN7rocprim17ROCPRIM_400000_NS6detail17trampoline_kernelINS0_14default_configENS1_25partition_config_selectorILNS1_17partition_subalgoE6EfNS0_10empty_typeEbEEZZNS1_14partition_implILS5_6ELb0ES3_mN6thrust23THRUST_200600_302600_NS6detail15normal_iteratorINSA_10device_ptrIfEEEEPS6_SG_NS0_5tupleIJSF_S6_EEENSH_IJSG_SG_EEES6_PlJNSB_9not_fun_tINSB_10functional5actorINSM_9compositeIJNSM_27transparent_binary_operatorINSA_8equal_toIvEEEENSN_INSM_8argumentILj0EEEEENSM_5valueIfEEEEEEEEEEEE10hipError_tPvRmT3_T4_T5_T6_T7_T9_mT8_P12ihipStream_tbDpT10_ENKUlT_T0_E_clISt17integral_constantIbLb1EES1J_IbLb0EEEEDaS1F_S1G_EUlS1F_E_NS1_11comp_targetILNS1_3genE4ELNS1_11target_archE910ELNS1_3gpuE8ELNS1_3repE0EEENS1_30default_config_static_selectorELNS0_4arch9wavefront6targetE0EEEvT1_.num_agpr, 0
	.set _ZN7rocprim17ROCPRIM_400000_NS6detail17trampoline_kernelINS0_14default_configENS1_25partition_config_selectorILNS1_17partition_subalgoE6EfNS0_10empty_typeEbEEZZNS1_14partition_implILS5_6ELb0ES3_mN6thrust23THRUST_200600_302600_NS6detail15normal_iteratorINSA_10device_ptrIfEEEEPS6_SG_NS0_5tupleIJSF_S6_EEENSH_IJSG_SG_EEES6_PlJNSB_9not_fun_tINSB_10functional5actorINSM_9compositeIJNSM_27transparent_binary_operatorINSA_8equal_toIvEEEENSN_INSM_8argumentILj0EEEEENSM_5valueIfEEEEEEEEEEEE10hipError_tPvRmT3_T4_T5_T6_T7_T9_mT8_P12ihipStream_tbDpT10_ENKUlT_T0_E_clISt17integral_constantIbLb1EES1J_IbLb0EEEEDaS1F_S1G_EUlS1F_E_NS1_11comp_targetILNS1_3genE4ELNS1_11target_archE910ELNS1_3gpuE8ELNS1_3repE0EEENS1_30default_config_static_selectorELNS0_4arch9wavefront6targetE0EEEvT1_.numbered_sgpr, 0
	.set _ZN7rocprim17ROCPRIM_400000_NS6detail17trampoline_kernelINS0_14default_configENS1_25partition_config_selectorILNS1_17partition_subalgoE6EfNS0_10empty_typeEbEEZZNS1_14partition_implILS5_6ELb0ES3_mN6thrust23THRUST_200600_302600_NS6detail15normal_iteratorINSA_10device_ptrIfEEEEPS6_SG_NS0_5tupleIJSF_S6_EEENSH_IJSG_SG_EEES6_PlJNSB_9not_fun_tINSB_10functional5actorINSM_9compositeIJNSM_27transparent_binary_operatorINSA_8equal_toIvEEEENSN_INSM_8argumentILj0EEEEENSM_5valueIfEEEEEEEEEEEE10hipError_tPvRmT3_T4_T5_T6_T7_T9_mT8_P12ihipStream_tbDpT10_ENKUlT_T0_E_clISt17integral_constantIbLb1EES1J_IbLb0EEEEDaS1F_S1G_EUlS1F_E_NS1_11comp_targetILNS1_3genE4ELNS1_11target_archE910ELNS1_3gpuE8ELNS1_3repE0EEENS1_30default_config_static_selectorELNS0_4arch9wavefront6targetE0EEEvT1_.num_named_barrier, 0
	.set _ZN7rocprim17ROCPRIM_400000_NS6detail17trampoline_kernelINS0_14default_configENS1_25partition_config_selectorILNS1_17partition_subalgoE6EfNS0_10empty_typeEbEEZZNS1_14partition_implILS5_6ELb0ES3_mN6thrust23THRUST_200600_302600_NS6detail15normal_iteratorINSA_10device_ptrIfEEEEPS6_SG_NS0_5tupleIJSF_S6_EEENSH_IJSG_SG_EEES6_PlJNSB_9not_fun_tINSB_10functional5actorINSM_9compositeIJNSM_27transparent_binary_operatorINSA_8equal_toIvEEEENSN_INSM_8argumentILj0EEEEENSM_5valueIfEEEEEEEEEEEE10hipError_tPvRmT3_T4_T5_T6_T7_T9_mT8_P12ihipStream_tbDpT10_ENKUlT_T0_E_clISt17integral_constantIbLb1EES1J_IbLb0EEEEDaS1F_S1G_EUlS1F_E_NS1_11comp_targetILNS1_3genE4ELNS1_11target_archE910ELNS1_3gpuE8ELNS1_3repE0EEENS1_30default_config_static_selectorELNS0_4arch9wavefront6targetE0EEEvT1_.private_seg_size, 0
	.set _ZN7rocprim17ROCPRIM_400000_NS6detail17trampoline_kernelINS0_14default_configENS1_25partition_config_selectorILNS1_17partition_subalgoE6EfNS0_10empty_typeEbEEZZNS1_14partition_implILS5_6ELb0ES3_mN6thrust23THRUST_200600_302600_NS6detail15normal_iteratorINSA_10device_ptrIfEEEEPS6_SG_NS0_5tupleIJSF_S6_EEENSH_IJSG_SG_EEES6_PlJNSB_9not_fun_tINSB_10functional5actorINSM_9compositeIJNSM_27transparent_binary_operatorINSA_8equal_toIvEEEENSN_INSM_8argumentILj0EEEEENSM_5valueIfEEEEEEEEEEEE10hipError_tPvRmT3_T4_T5_T6_T7_T9_mT8_P12ihipStream_tbDpT10_ENKUlT_T0_E_clISt17integral_constantIbLb1EES1J_IbLb0EEEEDaS1F_S1G_EUlS1F_E_NS1_11comp_targetILNS1_3genE4ELNS1_11target_archE910ELNS1_3gpuE8ELNS1_3repE0EEENS1_30default_config_static_selectorELNS0_4arch9wavefront6targetE0EEEvT1_.uses_vcc, 0
	.set _ZN7rocprim17ROCPRIM_400000_NS6detail17trampoline_kernelINS0_14default_configENS1_25partition_config_selectorILNS1_17partition_subalgoE6EfNS0_10empty_typeEbEEZZNS1_14partition_implILS5_6ELb0ES3_mN6thrust23THRUST_200600_302600_NS6detail15normal_iteratorINSA_10device_ptrIfEEEEPS6_SG_NS0_5tupleIJSF_S6_EEENSH_IJSG_SG_EEES6_PlJNSB_9not_fun_tINSB_10functional5actorINSM_9compositeIJNSM_27transparent_binary_operatorINSA_8equal_toIvEEEENSN_INSM_8argumentILj0EEEEENSM_5valueIfEEEEEEEEEEEE10hipError_tPvRmT3_T4_T5_T6_T7_T9_mT8_P12ihipStream_tbDpT10_ENKUlT_T0_E_clISt17integral_constantIbLb1EES1J_IbLb0EEEEDaS1F_S1G_EUlS1F_E_NS1_11comp_targetILNS1_3genE4ELNS1_11target_archE910ELNS1_3gpuE8ELNS1_3repE0EEENS1_30default_config_static_selectorELNS0_4arch9wavefront6targetE0EEEvT1_.uses_flat_scratch, 0
	.set _ZN7rocprim17ROCPRIM_400000_NS6detail17trampoline_kernelINS0_14default_configENS1_25partition_config_selectorILNS1_17partition_subalgoE6EfNS0_10empty_typeEbEEZZNS1_14partition_implILS5_6ELb0ES3_mN6thrust23THRUST_200600_302600_NS6detail15normal_iteratorINSA_10device_ptrIfEEEEPS6_SG_NS0_5tupleIJSF_S6_EEENSH_IJSG_SG_EEES6_PlJNSB_9not_fun_tINSB_10functional5actorINSM_9compositeIJNSM_27transparent_binary_operatorINSA_8equal_toIvEEEENSN_INSM_8argumentILj0EEEEENSM_5valueIfEEEEEEEEEEEE10hipError_tPvRmT3_T4_T5_T6_T7_T9_mT8_P12ihipStream_tbDpT10_ENKUlT_T0_E_clISt17integral_constantIbLb1EES1J_IbLb0EEEEDaS1F_S1G_EUlS1F_E_NS1_11comp_targetILNS1_3genE4ELNS1_11target_archE910ELNS1_3gpuE8ELNS1_3repE0EEENS1_30default_config_static_selectorELNS0_4arch9wavefront6targetE0EEEvT1_.has_dyn_sized_stack, 0
	.set _ZN7rocprim17ROCPRIM_400000_NS6detail17trampoline_kernelINS0_14default_configENS1_25partition_config_selectorILNS1_17partition_subalgoE6EfNS0_10empty_typeEbEEZZNS1_14partition_implILS5_6ELb0ES3_mN6thrust23THRUST_200600_302600_NS6detail15normal_iteratorINSA_10device_ptrIfEEEEPS6_SG_NS0_5tupleIJSF_S6_EEENSH_IJSG_SG_EEES6_PlJNSB_9not_fun_tINSB_10functional5actorINSM_9compositeIJNSM_27transparent_binary_operatorINSA_8equal_toIvEEEENSN_INSM_8argumentILj0EEEEENSM_5valueIfEEEEEEEEEEEE10hipError_tPvRmT3_T4_T5_T6_T7_T9_mT8_P12ihipStream_tbDpT10_ENKUlT_T0_E_clISt17integral_constantIbLb1EES1J_IbLb0EEEEDaS1F_S1G_EUlS1F_E_NS1_11comp_targetILNS1_3genE4ELNS1_11target_archE910ELNS1_3gpuE8ELNS1_3repE0EEENS1_30default_config_static_selectorELNS0_4arch9wavefront6targetE0EEEvT1_.has_recursion, 0
	.set _ZN7rocprim17ROCPRIM_400000_NS6detail17trampoline_kernelINS0_14default_configENS1_25partition_config_selectorILNS1_17partition_subalgoE6EfNS0_10empty_typeEbEEZZNS1_14partition_implILS5_6ELb0ES3_mN6thrust23THRUST_200600_302600_NS6detail15normal_iteratorINSA_10device_ptrIfEEEEPS6_SG_NS0_5tupleIJSF_S6_EEENSH_IJSG_SG_EEES6_PlJNSB_9not_fun_tINSB_10functional5actorINSM_9compositeIJNSM_27transparent_binary_operatorINSA_8equal_toIvEEEENSN_INSM_8argumentILj0EEEEENSM_5valueIfEEEEEEEEEEEE10hipError_tPvRmT3_T4_T5_T6_T7_T9_mT8_P12ihipStream_tbDpT10_ENKUlT_T0_E_clISt17integral_constantIbLb1EES1J_IbLb0EEEEDaS1F_S1G_EUlS1F_E_NS1_11comp_targetILNS1_3genE4ELNS1_11target_archE910ELNS1_3gpuE8ELNS1_3repE0EEENS1_30default_config_static_selectorELNS0_4arch9wavefront6targetE0EEEvT1_.has_indirect_call, 0
	.section	.AMDGPU.csdata,"",@progbits
; Kernel info:
; codeLenInByte = 0
; TotalNumSgprs: 0
; NumVgprs: 0
; ScratchSize: 0
; MemoryBound: 0
; FloatMode: 240
; IeeeMode: 1
; LDSByteSize: 0 bytes/workgroup (compile time only)
; SGPRBlocks: 0
; VGPRBlocks: 0
; NumSGPRsForWavesPerEU: 1
; NumVGPRsForWavesPerEU: 1
; Occupancy: 16
; WaveLimiterHint : 0
; COMPUTE_PGM_RSRC2:SCRATCH_EN: 0
; COMPUTE_PGM_RSRC2:USER_SGPR: 2
; COMPUTE_PGM_RSRC2:TRAP_HANDLER: 0
; COMPUTE_PGM_RSRC2:TGID_X_EN: 1
; COMPUTE_PGM_RSRC2:TGID_Y_EN: 0
; COMPUTE_PGM_RSRC2:TGID_Z_EN: 0
; COMPUTE_PGM_RSRC2:TIDIG_COMP_CNT: 0
	.section	.text._ZN7rocprim17ROCPRIM_400000_NS6detail17trampoline_kernelINS0_14default_configENS1_25partition_config_selectorILNS1_17partition_subalgoE6EfNS0_10empty_typeEbEEZZNS1_14partition_implILS5_6ELb0ES3_mN6thrust23THRUST_200600_302600_NS6detail15normal_iteratorINSA_10device_ptrIfEEEEPS6_SG_NS0_5tupleIJSF_S6_EEENSH_IJSG_SG_EEES6_PlJNSB_9not_fun_tINSB_10functional5actorINSM_9compositeIJNSM_27transparent_binary_operatorINSA_8equal_toIvEEEENSN_INSM_8argumentILj0EEEEENSM_5valueIfEEEEEEEEEEEE10hipError_tPvRmT3_T4_T5_T6_T7_T9_mT8_P12ihipStream_tbDpT10_ENKUlT_T0_E_clISt17integral_constantIbLb1EES1J_IbLb0EEEEDaS1F_S1G_EUlS1F_E_NS1_11comp_targetILNS1_3genE3ELNS1_11target_archE908ELNS1_3gpuE7ELNS1_3repE0EEENS1_30default_config_static_selectorELNS0_4arch9wavefront6targetE0EEEvT1_,"axG",@progbits,_ZN7rocprim17ROCPRIM_400000_NS6detail17trampoline_kernelINS0_14default_configENS1_25partition_config_selectorILNS1_17partition_subalgoE6EfNS0_10empty_typeEbEEZZNS1_14partition_implILS5_6ELb0ES3_mN6thrust23THRUST_200600_302600_NS6detail15normal_iteratorINSA_10device_ptrIfEEEEPS6_SG_NS0_5tupleIJSF_S6_EEENSH_IJSG_SG_EEES6_PlJNSB_9not_fun_tINSB_10functional5actorINSM_9compositeIJNSM_27transparent_binary_operatorINSA_8equal_toIvEEEENSN_INSM_8argumentILj0EEEEENSM_5valueIfEEEEEEEEEEEE10hipError_tPvRmT3_T4_T5_T6_T7_T9_mT8_P12ihipStream_tbDpT10_ENKUlT_T0_E_clISt17integral_constantIbLb1EES1J_IbLb0EEEEDaS1F_S1G_EUlS1F_E_NS1_11comp_targetILNS1_3genE3ELNS1_11target_archE908ELNS1_3gpuE7ELNS1_3repE0EEENS1_30default_config_static_selectorELNS0_4arch9wavefront6targetE0EEEvT1_,comdat
	.protected	_ZN7rocprim17ROCPRIM_400000_NS6detail17trampoline_kernelINS0_14default_configENS1_25partition_config_selectorILNS1_17partition_subalgoE6EfNS0_10empty_typeEbEEZZNS1_14partition_implILS5_6ELb0ES3_mN6thrust23THRUST_200600_302600_NS6detail15normal_iteratorINSA_10device_ptrIfEEEEPS6_SG_NS0_5tupleIJSF_S6_EEENSH_IJSG_SG_EEES6_PlJNSB_9not_fun_tINSB_10functional5actorINSM_9compositeIJNSM_27transparent_binary_operatorINSA_8equal_toIvEEEENSN_INSM_8argumentILj0EEEEENSM_5valueIfEEEEEEEEEEEE10hipError_tPvRmT3_T4_T5_T6_T7_T9_mT8_P12ihipStream_tbDpT10_ENKUlT_T0_E_clISt17integral_constantIbLb1EES1J_IbLb0EEEEDaS1F_S1G_EUlS1F_E_NS1_11comp_targetILNS1_3genE3ELNS1_11target_archE908ELNS1_3gpuE7ELNS1_3repE0EEENS1_30default_config_static_selectorELNS0_4arch9wavefront6targetE0EEEvT1_ ; -- Begin function _ZN7rocprim17ROCPRIM_400000_NS6detail17trampoline_kernelINS0_14default_configENS1_25partition_config_selectorILNS1_17partition_subalgoE6EfNS0_10empty_typeEbEEZZNS1_14partition_implILS5_6ELb0ES3_mN6thrust23THRUST_200600_302600_NS6detail15normal_iteratorINSA_10device_ptrIfEEEEPS6_SG_NS0_5tupleIJSF_S6_EEENSH_IJSG_SG_EEES6_PlJNSB_9not_fun_tINSB_10functional5actorINSM_9compositeIJNSM_27transparent_binary_operatorINSA_8equal_toIvEEEENSN_INSM_8argumentILj0EEEEENSM_5valueIfEEEEEEEEEEEE10hipError_tPvRmT3_T4_T5_T6_T7_T9_mT8_P12ihipStream_tbDpT10_ENKUlT_T0_E_clISt17integral_constantIbLb1EES1J_IbLb0EEEEDaS1F_S1G_EUlS1F_E_NS1_11comp_targetILNS1_3genE3ELNS1_11target_archE908ELNS1_3gpuE7ELNS1_3repE0EEENS1_30default_config_static_selectorELNS0_4arch9wavefront6targetE0EEEvT1_
	.globl	_ZN7rocprim17ROCPRIM_400000_NS6detail17trampoline_kernelINS0_14default_configENS1_25partition_config_selectorILNS1_17partition_subalgoE6EfNS0_10empty_typeEbEEZZNS1_14partition_implILS5_6ELb0ES3_mN6thrust23THRUST_200600_302600_NS6detail15normal_iteratorINSA_10device_ptrIfEEEEPS6_SG_NS0_5tupleIJSF_S6_EEENSH_IJSG_SG_EEES6_PlJNSB_9not_fun_tINSB_10functional5actorINSM_9compositeIJNSM_27transparent_binary_operatorINSA_8equal_toIvEEEENSN_INSM_8argumentILj0EEEEENSM_5valueIfEEEEEEEEEEEE10hipError_tPvRmT3_T4_T5_T6_T7_T9_mT8_P12ihipStream_tbDpT10_ENKUlT_T0_E_clISt17integral_constantIbLb1EES1J_IbLb0EEEEDaS1F_S1G_EUlS1F_E_NS1_11comp_targetILNS1_3genE3ELNS1_11target_archE908ELNS1_3gpuE7ELNS1_3repE0EEENS1_30default_config_static_selectorELNS0_4arch9wavefront6targetE0EEEvT1_
	.p2align	8
	.type	_ZN7rocprim17ROCPRIM_400000_NS6detail17trampoline_kernelINS0_14default_configENS1_25partition_config_selectorILNS1_17partition_subalgoE6EfNS0_10empty_typeEbEEZZNS1_14partition_implILS5_6ELb0ES3_mN6thrust23THRUST_200600_302600_NS6detail15normal_iteratorINSA_10device_ptrIfEEEEPS6_SG_NS0_5tupleIJSF_S6_EEENSH_IJSG_SG_EEES6_PlJNSB_9not_fun_tINSB_10functional5actorINSM_9compositeIJNSM_27transparent_binary_operatorINSA_8equal_toIvEEEENSN_INSM_8argumentILj0EEEEENSM_5valueIfEEEEEEEEEEEE10hipError_tPvRmT3_T4_T5_T6_T7_T9_mT8_P12ihipStream_tbDpT10_ENKUlT_T0_E_clISt17integral_constantIbLb1EES1J_IbLb0EEEEDaS1F_S1G_EUlS1F_E_NS1_11comp_targetILNS1_3genE3ELNS1_11target_archE908ELNS1_3gpuE7ELNS1_3repE0EEENS1_30default_config_static_selectorELNS0_4arch9wavefront6targetE0EEEvT1_,@function
_ZN7rocprim17ROCPRIM_400000_NS6detail17trampoline_kernelINS0_14default_configENS1_25partition_config_selectorILNS1_17partition_subalgoE6EfNS0_10empty_typeEbEEZZNS1_14partition_implILS5_6ELb0ES3_mN6thrust23THRUST_200600_302600_NS6detail15normal_iteratorINSA_10device_ptrIfEEEEPS6_SG_NS0_5tupleIJSF_S6_EEENSH_IJSG_SG_EEES6_PlJNSB_9not_fun_tINSB_10functional5actorINSM_9compositeIJNSM_27transparent_binary_operatorINSA_8equal_toIvEEEENSN_INSM_8argumentILj0EEEEENSM_5valueIfEEEEEEEEEEEE10hipError_tPvRmT3_T4_T5_T6_T7_T9_mT8_P12ihipStream_tbDpT10_ENKUlT_T0_E_clISt17integral_constantIbLb1EES1J_IbLb0EEEEDaS1F_S1G_EUlS1F_E_NS1_11comp_targetILNS1_3genE3ELNS1_11target_archE908ELNS1_3gpuE7ELNS1_3repE0EEENS1_30default_config_static_selectorELNS0_4arch9wavefront6targetE0EEEvT1_: ; @_ZN7rocprim17ROCPRIM_400000_NS6detail17trampoline_kernelINS0_14default_configENS1_25partition_config_selectorILNS1_17partition_subalgoE6EfNS0_10empty_typeEbEEZZNS1_14partition_implILS5_6ELb0ES3_mN6thrust23THRUST_200600_302600_NS6detail15normal_iteratorINSA_10device_ptrIfEEEEPS6_SG_NS0_5tupleIJSF_S6_EEENSH_IJSG_SG_EEES6_PlJNSB_9not_fun_tINSB_10functional5actorINSM_9compositeIJNSM_27transparent_binary_operatorINSA_8equal_toIvEEEENSN_INSM_8argumentILj0EEEEENSM_5valueIfEEEEEEEEEEEE10hipError_tPvRmT3_T4_T5_T6_T7_T9_mT8_P12ihipStream_tbDpT10_ENKUlT_T0_E_clISt17integral_constantIbLb1EES1J_IbLb0EEEEDaS1F_S1G_EUlS1F_E_NS1_11comp_targetILNS1_3genE3ELNS1_11target_archE908ELNS1_3gpuE7ELNS1_3repE0EEENS1_30default_config_static_selectorELNS0_4arch9wavefront6targetE0EEEvT1_
; %bb.0:
	.section	.rodata,"a",@progbits
	.p2align	6, 0x0
	.amdhsa_kernel _ZN7rocprim17ROCPRIM_400000_NS6detail17trampoline_kernelINS0_14default_configENS1_25partition_config_selectorILNS1_17partition_subalgoE6EfNS0_10empty_typeEbEEZZNS1_14partition_implILS5_6ELb0ES3_mN6thrust23THRUST_200600_302600_NS6detail15normal_iteratorINSA_10device_ptrIfEEEEPS6_SG_NS0_5tupleIJSF_S6_EEENSH_IJSG_SG_EEES6_PlJNSB_9not_fun_tINSB_10functional5actorINSM_9compositeIJNSM_27transparent_binary_operatorINSA_8equal_toIvEEEENSN_INSM_8argumentILj0EEEEENSM_5valueIfEEEEEEEEEEEE10hipError_tPvRmT3_T4_T5_T6_T7_T9_mT8_P12ihipStream_tbDpT10_ENKUlT_T0_E_clISt17integral_constantIbLb1EES1J_IbLb0EEEEDaS1F_S1G_EUlS1F_E_NS1_11comp_targetILNS1_3genE3ELNS1_11target_archE908ELNS1_3gpuE7ELNS1_3repE0EEENS1_30default_config_static_selectorELNS0_4arch9wavefront6targetE0EEEvT1_
		.amdhsa_group_segment_fixed_size 0
		.amdhsa_private_segment_fixed_size 0
		.amdhsa_kernarg_size 120
		.amdhsa_user_sgpr_count 2
		.amdhsa_user_sgpr_dispatch_ptr 0
		.amdhsa_user_sgpr_queue_ptr 0
		.amdhsa_user_sgpr_kernarg_segment_ptr 1
		.amdhsa_user_sgpr_dispatch_id 0
		.amdhsa_user_sgpr_private_segment_size 0
		.amdhsa_wavefront_size32 1
		.amdhsa_uses_dynamic_stack 0
		.amdhsa_enable_private_segment 0
		.amdhsa_system_sgpr_workgroup_id_x 1
		.amdhsa_system_sgpr_workgroup_id_y 0
		.amdhsa_system_sgpr_workgroup_id_z 0
		.amdhsa_system_sgpr_workgroup_info 0
		.amdhsa_system_vgpr_workitem_id 0
		.amdhsa_next_free_vgpr 1
		.amdhsa_next_free_sgpr 1
		.amdhsa_reserve_vcc 0
		.amdhsa_float_round_mode_32 0
		.amdhsa_float_round_mode_16_64 0
		.amdhsa_float_denorm_mode_32 3
		.amdhsa_float_denorm_mode_16_64 3
		.amdhsa_fp16_overflow 0
		.amdhsa_workgroup_processor_mode 1
		.amdhsa_memory_ordered 1
		.amdhsa_forward_progress 1
		.amdhsa_inst_pref_size 0
		.amdhsa_round_robin_scheduling 0
		.amdhsa_exception_fp_ieee_invalid_op 0
		.amdhsa_exception_fp_denorm_src 0
		.amdhsa_exception_fp_ieee_div_zero 0
		.amdhsa_exception_fp_ieee_overflow 0
		.amdhsa_exception_fp_ieee_underflow 0
		.amdhsa_exception_fp_ieee_inexact 0
		.amdhsa_exception_int_div_zero 0
	.end_amdhsa_kernel
	.section	.text._ZN7rocprim17ROCPRIM_400000_NS6detail17trampoline_kernelINS0_14default_configENS1_25partition_config_selectorILNS1_17partition_subalgoE6EfNS0_10empty_typeEbEEZZNS1_14partition_implILS5_6ELb0ES3_mN6thrust23THRUST_200600_302600_NS6detail15normal_iteratorINSA_10device_ptrIfEEEEPS6_SG_NS0_5tupleIJSF_S6_EEENSH_IJSG_SG_EEES6_PlJNSB_9not_fun_tINSB_10functional5actorINSM_9compositeIJNSM_27transparent_binary_operatorINSA_8equal_toIvEEEENSN_INSM_8argumentILj0EEEEENSM_5valueIfEEEEEEEEEEEE10hipError_tPvRmT3_T4_T5_T6_T7_T9_mT8_P12ihipStream_tbDpT10_ENKUlT_T0_E_clISt17integral_constantIbLb1EES1J_IbLb0EEEEDaS1F_S1G_EUlS1F_E_NS1_11comp_targetILNS1_3genE3ELNS1_11target_archE908ELNS1_3gpuE7ELNS1_3repE0EEENS1_30default_config_static_selectorELNS0_4arch9wavefront6targetE0EEEvT1_,"axG",@progbits,_ZN7rocprim17ROCPRIM_400000_NS6detail17trampoline_kernelINS0_14default_configENS1_25partition_config_selectorILNS1_17partition_subalgoE6EfNS0_10empty_typeEbEEZZNS1_14partition_implILS5_6ELb0ES3_mN6thrust23THRUST_200600_302600_NS6detail15normal_iteratorINSA_10device_ptrIfEEEEPS6_SG_NS0_5tupleIJSF_S6_EEENSH_IJSG_SG_EEES6_PlJNSB_9not_fun_tINSB_10functional5actorINSM_9compositeIJNSM_27transparent_binary_operatorINSA_8equal_toIvEEEENSN_INSM_8argumentILj0EEEEENSM_5valueIfEEEEEEEEEEEE10hipError_tPvRmT3_T4_T5_T6_T7_T9_mT8_P12ihipStream_tbDpT10_ENKUlT_T0_E_clISt17integral_constantIbLb1EES1J_IbLb0EEEEDaS1F_S1G_EUlS1F_E_NS1_11comp_targetILNS1_3genE3ELNS1_11target_archE908ELNS1_3gpuE7ELNS1_3repE0EEENS1_30default_config_static_selectorELNS0_4arch9wavefront6targetE0EEEvT1_,comdat
.Lfunc_end66:
	.size	_ZN7rocprim17ROCPRIM_400000_NS6detail17trampoline_kernelINS0_14default_configENS1_25partition_config_selectorILNS1_17partition_subalgoE6EfNS0_10empty_typeEbEEZZNS1_14partition_implILS5_6ELb0ES3_mN6thrust23THRUST_200600_302600_NS6detail15normal_iteratorINSA_10device_ptrIfEEEEPS6_SG_NS0_5tupleIJSF_S6_EEENSH_IJSG_SG_EEES6_PlJNSB_9not_fun_tINSB_10functional5actorINSM_9compositeIJNSM_27transparent_binary_operatorINSA_8equal_toIvEEEENSN_INSM_8argumentILj0EEEEENSM_5valueIfEEEEEEEEEEEE10hipError_tPvRmT3_T4_T5_T6_T7_T9_mT8_P12ihipStream_tbDpT10_ENKUlT_T0_E_clISt17integral_constantIbLb1EES1J_IbLb0EEEEDaS1F_S1G_EUlS1F_E_NS1_11comp_targetILNS1_3genE3ELNS1_11target_archE908ELNS1_3gpuE7ELNS1_3repE0EEENS1_30default_config_static_selectorELNS0_4arch9wavefront6targetE0EEEvT1_, .Lfunc_end66-_ZN7rocprim17ROCPRIM_400000_NS6detail17trampoline_kernelINS0_14default_configENS1_25partition_config_selectorILNS1_17partition_subalgoE6EfNS0_10empty_typeEbEEZZNS1_14partition_implILS5_6ELb0ES3_mN6thrust23THRUST_200600_302600_NS6detail15normal_iteratorINSA_10device_ptrIfEEEEPS6_SG_NS0_5tupleIJSF_S6_EEENSH_IJSG_SG_EEES6_PlJNSB_9not_fun_tINSB_10functional5actorINSM_9compositeIJNSM_27transparent_binary_operatorINSA_8equal_toIvEEEENSN_INSM_8argumentILj0EEEEENSM_5valueIfEEEEEEEEEEEE10hipError_tPvRmT3_T4_T5_T6_T7_T9_mT8_P12ihipStream_tbDpT10_ENKUlT_T0_E_clISt17integral_constantIbLb1EES1J_IbLb0EEEEDaS1F_S1G_EUlS1F_E_NS1_11comp_targetILNS1_3genE3ELNS1_11target_archE908ELNS1_3gpuE7ELNS1_3repE0EEENS1_30default_config_static_selectorELNS0_4arch9wavefront6targetE0EEEvT1_
                                        ; -- End function
	.set _ZN7rocprim17ROCPRIM_400000_NS6detail17trampoline_kernelINS0_14default_configENS1_25partition_config_selectorILNS1_17partition_subalgoE6EfNS0_10empty_typeEbEEZZNS1_14partition_implILS5_6ELb0ES3_mN6thrust23THRUST_200600_302600_NS6detail15normal_iteratorINSA_10device_ptrIfEEEEPS6_SG_NS0_5tupleIJSF_S6_EEENSH_IJSG_SG_EEES6_PlJNSB_9not_fun_tINSB_10functional5actorINSM_9compositeIJNSM_27transparent_binary_operatorINSA_8equal_toIvEEEENSN_INSM_8argumentILj0EEEEENSM_5valueIfEEEEEEEEEEEE10hipError_tPvRmT3_T4_T5_T6_T7_T9_mT8_P12ihipStream_tbDpT10_ENKUlT_T0_E_clISt17integral_constantIbLb1EES1J_IbLb0EEEEDaS1F_S1G_EUlS1F_E_NS1_11comp_targetILNS1_3genE3ELNS1_11target_archE908ELNS1_3gpuE7ELNS1_3repE0EEENS1_30default_config_static_selectorELNS0_4arch9wavefront6targetE0EEEvT1_.num_vgpr, 0
	.set _ZN7rocprim17ROCPRIM_400000_NS6detail17trampoline_kernelINS0_14default_configENS1_25partition_config_selectorILNS1_17partition_subalgoE6EfNS0_10empty_typeEbEEZZNS1_14partition_implILS5_6ELb0ES3_mN6thrust23THRUST_200600_302600_NS6detail15normal_iteratorINSA_10device_ptrIfEEEEPS6_SG_NS0_5tupleIJSF_S6_EEENSH_IJSG_SG_EEES6_PlJNSB_9not_fun_tINSB_10functional5actorINSM_9compositeIJNSM_27transparent_binary_operatorINSA_8equal_toIvEEEENSN_INSM_8argumentILj0EEEEENSM_5valueIfEEEEEEEEEEEE10hipError_tPvRmT3_T4_T5_T6_T7_T9_mT8_P12ihipStream_tbDpT10_ENKUlT_T0_E_clISt17integral_constantIbLb1EES1J_IbLb0EEEEDaS1F_S1G_EUlS1F_E_NS1_11comp_targetILNS1_3genE3ELNS1_11target_archE908ELNS1_3gpuE7ELNS1_3repE0EEENS1_30default_config_static_selectorELNS0_4arch9wavefront6targetE0EEEvT1_.num_agpr, 0
	.set _ZN7rocprim17ROCPRIM_400000_NS6detail17trampoline_kernelINS0_14default_configENS1_25partition_config_selectorILNS1_17partition_subalgoE6EfNS0_10empty_typeEbEEZZNS1_14partition_implILS5_6ELb0ES3_mN6thrust23THRUST_200600_302600_NS6detail15normal_iteratorINSA_10device_ptrIfEEEEPS6_SG_NS0_5tupleIJSF_S6_EEENSH_IJSG_SG_EEES6_PlJNSB_9not_fun_tINSB_10functional5actorINSM_9compositeIJNSM_27transparent_binary_operatorINSA_8equal_toIvEEEENSN_INSM_8argumentILj0EEEEENSM_5valueIfEEEEEEEEEEEE10hipError_tPvRmT3_T4_T5_T6_T7_T9_mT8_P12ihipStream_tbDpT10_ENKUlT_T0_E_clISt17integral_constantIbLb1EES1J_IbLb0EEEEDaS1F_S1G_EUlS1F_E_NS1_11comp_targetILNS1_3genE3ELNS1_11target_archE908ELNS1_3gpuE7ELNS1_3repE0EEENS1_30default_config_static_selectorELNS0_4arch9wavefront6targetE0EEEvT1_.numbered_sgpr, 0
	.set _ZN7rocprim17ROCPRIM_400000_NS6detail17trampoline_kernelINS0_14default_configENS1_25partition_config_selectorILNS1_17partition_subalgoE6EfNS0_10empty_typeEbEEZZNS1_14partition_implILS5_6ELb0ES3_mN6thrust23THRUST_200600_302600_NS6detail15normal_iteratorINSA_10device_ptrIfEEEEPS6_SG_NS0_5tupleIJSF_S6_EEENSH_IJSG_SG_EEES6_PlJNSB_9not_fun_tINSB_10functional5actorINSM_9compositeIJNSM_27transparent_binary_operatorINSA_8equal_toIvEEEENSN_INSM_8argumentILj0EEEEENSM_5valueIfEEEEEEEEEEEE10hipError_tPvRmT3_T4_T5_T6_T7_T9_mT8_P12ihipStream_tbDpT10_ENKUlT_T0_E_clISt17integral_constantIbLb1EES1J_IbLb0EEEEDaS1F_S1G_EUlS1F_E_NS1_11comp_targetILNS1_3genE3ELNS1_11target_archE908ELNS1_3gpuE7ELNS1_3repE0EEENS1_30default_config_static_selectorELNS0_4arch9wavefront6targetE0EEEvT1_.num_named_barrier, 0
	.set _ZN7rocprim17ROCPRIM_400000_NS6detail17trampoline_kernelINS0_14default_configENS1_25partition_config_selectorILNS1_17partition_subalgoE6EfNS0_10empty_typeEbEEZZNS1_14partition_implILS5_6ELb0ES3_mN6thrust23THRUST_200600_302600_NS6detail15normal_iteratorINSA_10device_ptrIfEEEEPS6_SG_NS0_5tupleIJSF_S6_EEENSH_IJSG_SG_EEES6_PlJNSB_9not_fun_tINSB_10functional5actorINSM_9compositeIJNSM_27transparent_binary_operatorINSA_8equal_toIvEEEENSN_INSM_8argumentILj0EEEEENSM_5valueIfEEEEEEEEEEEE10hipError_tPvRmT3_T4_T5_T6_T7_T9_mT8_P12ihipStream_tbDpT10_ENKUlT_T0_E_clISt17integral_constantIbLb1EES1J_IbLb0EEEEDaS1F_S1G_EUlS1F_E_NS1_11comp_targetILNS1_3genE3ELNS1_11target_archE908ELNS1_3gpuE7ELNS1_3repE0EEENS1_30default_config_static_selectorELNS0_4arch9wavefront6targetE0EEEvT1_.private_seg_size, 0
	.set _ZN7rocprim17ROCPRIM_400000_NS6detail17trampoline_kernelINS0_14default_configENS1_25partition_config_selectorILNS1_17partition_subalgoE6EfNS0_10empty_typeEbEEZZNS1_14partition_implILS5_6ELb0ES3_mN6thrust23THRUST_200600_302600_NS6detail15normal_iteratorINSA_10device_ptrIfEEEEPS6_SG_NS0_5tupleIJSF_S6_EEENSH_IJSG_SG_EEES6_PlJNSB_9not_fun_tINSB_10functional5actorINSM_9compositeIJNSM_27transparent_binary_operatorINSA_8equal_toIvEEEENSN_INSM_8argumentILj0EEEEENSM_5valueIfEEEEEEEEEEEE10hipError_tPvRmT3_T4_T5_T6_T7_T9_mT8_P12ihipStream_tbDpT10_ENKUlT_T0_E_clISt17integral_constantIbLb1EES1J_IbLb0EEEEDaS1F_S1G_EUlS1F_E_NS1_11comp_targetILNS1_3genE3ELNS1_11target_archE908ELNS1_3gpuE7ELNS1_3repE0EEENS1_30default_config_static_selectorELNS0_4arch9wavefront6targetE0EEEvT1_.uses_vcc, 0
	.set _ZN7rocprim17ROCPRIM_400000_NS6detail17trampoline_kernelINS0_14default_configENS1_25partition_config_selectorILNS1_17partition_subalgoE6EfNS0_10empty_typeEbEEZZNS1_14partition_implILS5_6ELb0ES3_mN6thrust23THRUST_200600_302600_NS6detail15normal_iteratorINSA_10device_ptrIfEEEEPS6_SG_NS0_5tupleIJSF_S6_EEENSH_IJSG_SG_EEES6_PlJNSB_9not_fun_tINSB_10functional5actorINSM_9compositeIJNSM_27transparent_binary_operatorINSA_8equal_toIvEEEENSN_INSM_8argumentILj0EEEEENSM_5valueIfEEEEEEEEEEEE10hipError_tPvRmT3_T4_T5_T6_T7_T9_mT8_P12ihipStream_tbDpT10_ENKUlT_T0_E_clISt17integral_constantIbLb1EES1J_IbLb0EEEEDaS1F_S1G_EUlS1F_E_NS1_11comp_targetILNS1_3genE3ELNS1_11target_archE908ELNS1_3gpuE7ELNS1_3repE0EEENS1_30default_config_static_selectorELNS0_4arch9wavefront6targetE0EEEvT1_.uses_flat_scratch, 0
	.set _ZN7rocprim17ROCPRIM_400000_NS6detail17trampoline_kernelINS0_14default_configENS1_25partition_config_selectorILNS1_17partition_subalgoE6EfNS0_10empty_typeEbEEZZNS1_14partition_implILS5_6ELb0ES3_mN6thrust23THRUST_200600_302600_NS6detail15normal_iteratorINSA_10device_ptrIfEEEEPS6_SG_NS0_5tupleIJSF_S6_EEENSH_IJSG_SG_EEES6_PlJNSB_9not_fun_tINSB_10functional5actorINSM_9compositeIJNSM_27transparent_binary_operatorINSA_8equal_toIvEEEENSN_INSM_8argumentILj0EEEEENSM_5valueIfEEEEEEEEEEEE10hipError_tPvRmT3_T4_T5_T6_T7_T9_mT8_P12ihipStream_tbDpT10_ENKUlT_T0_E_clISt17integral_constantIbLb1EES1J_IbLb0EEEEDaS1F_S1G_EUlS1F_E_NS1_11comp_targetILNS1_3genE3ELNS1_11target_archE908ELNS1_3gpuE7ELNS1_3repE0EEENS1_30default_config_static_selectorELNS0_4arch9wavefront6targetE0EEEvT1_.has_dyn_sized_stack, 0
	.set _ZN7rocprim17ROCPRIM_400000_NS6detail17trampoline_kernelINS0_14default_configENS1_25partition_config_selectorILNS1_17partition_subalgoE6EfNS0_10empty_typeEbEEZZNS1_14partition_implILS5_6ELb0ES3_mN6thrust23THRUST_200600_302600_NS6detail15normal_iteratorINSA_10device_ptrIfEEEEPS6_SG_NS0_5tupleIJSF_S6_EEENSH_IJSG_SG_EEES6_PlJNSB_9not_fun_tINSB_10functional5actorINSM_9compositeIJNSM_27transparent_binary_operatorINSA_8equal_toIvEEEENSN_INSM_8argumentILj0EEEEENSM_5valueIfEEEEEEEEEEEE10hipError_tPvRmT3_T4_T5_T6_T7_T9_mT8_P12ihipStream_tbDpT10_ENKUlT_T0_E_clISt17integral_constantIbLb1EES1J_IbLb0EEEEDaS1F_S1G_EUlS1F_E_NS1_11comp_targetILNS1_3genE3ELNS1_11target_archE908ELNS1_3gpuE7ELNS1_3repE0EEENS1_30default_config_static_selectorELNS0_4arch9wavefront6targetE0EEEvT1_.has_recursion, 0
	.set _ZN7rocprim17ROCPRIM_400000_NS6detail17trampoline_kernelINS0_14default_configENS1_25partition_config_selectorILNS1_17partition_subalgoE6EfNS0_10empty_typeEbEEZZNS1_14partition_implILS5_6ELb0ES3_mN6thrust23THRUST_200600_302600_NS6detail15normal_iteratorINSA_10device_ptrIfEEEEPS6_SG_NS0_5tupleIJSF_S6_EEENSH_IJSG_SG_EEES6_PlJNSB_9not_fun_tINSB_10functional5actorINSM_9compositeIJNSM_27transparent_binary_operatorINSA_8equal_toIvEEEENSN_INSM_8argumentILj0EEEEENSM_5valueIfEEEEEEEEEEEE10hipError_tPvRmT3_T4_T5_T6_T7_T9_mT8_P12ihipStream_tbDpT10_ENKUlT_T0_E_clISt17integral_constantIbLb1EES1J_IbLb0EEEEDaS1F_S1G_EUlS1F_E_NS1_11comp_targetILNS1_3genE3ELNS1_11target_archE908ELNS1_3gpuE7ELNS1_3repE0EEENS1_30default_config_static_selectorELNS0_4arch9wavefront6targetE0EEEvT1_.has_indirect_call, 0
	.section	.AMDGPU.csdata,"",@progbits
; Kernel info:
; codeLenInByte = 0
; TotalNumSgprs: 0
; NumVgprs: 0
; ScratchSize: 0
; MemoryBound: 0
; FloatMode: 240
; IeeeMode: 1
; LDSByteSize: 0 bytes/workgroup (compile time only)
; SGPRBlocks: 0
; VGPRBlocks: 0
; NumSGPRsForWavesPerEU: 1
; NumVGPRsForWavesPerEU: 1
; Occupancy: 16
; WaveLimiterHint : 0
; COMPUTE_PGM_RSRC2:SCRATCH_EN: 0
; COMPUTE_PGM_RSRC2:USER_SGPR: 2
; COMPUTE_PGM_RSRC2:TRAP_HANDLER: 0
; COMPUTE_PGM_RSRC2:TGID_X_EN: 1
; COMPUTE_PGM_RSRC2:TGID_Y_EN: 0
; COMPUTE_PGM_RSRC2:TGID_Z_EN: 0
; COMPUTE_PGM_RSRC2:TIDIG_COMP_CNT: 0
	.section	.text._ZN7rocprim17ROCPRIM_400000_NS6detail17trampoline_kernelINS0_14default_configENS1_25partition_config_selectorILNS1_17partition_subalgoE6EfNS0_10empty_typeEbEEZZNS1_14partition_implILS5_6ELb0ES3_mN6thrust23THRUST_200600_302600_NS6detail15normal_iteratorINSA_10device_ptrIfEEEEPS6_SG_NS0_5tupleIJSF_S6_EEENSH_IJSG_SG_EEES6_PlJNSB_9not_fun_tINSB_10functional5actorINSM_9compositeIJNSM_27transparent_binary_operatorINSA_8equal_toIvEEEENSN_INSM_8argumentILj0EEEEENSM_5valueIfEEEEEEEEEEEE10hipError_tPvRmT3_T4_T5_T6_T7_T9_mT8_P12ihipStream_tbDpT10_ENKUlT_T0_E_clISt17integral_constantIbLb1EES1J_IbLb0EEEEDaS1F_S1G_EUlS1F_E_NS1_11comp_targetILNS1_3genE2ELNS1_11target_archE906ELNS1_3gpuE6ELNS1_3repE0EEENS1_30default_config_static_selectorELNS0_4arch9wavefront6targetE0EEEvT1_,"axG",@progbits,_ZN7rocprim17ROCPRIM_400000_NS6detail17trampoline_kernelINS0_14default_configENS1_25partition_config_selectorILNS1_17partition_subalgoE6EfNS0_10empty_typeEbEEZZNS1_14partition_implILS5_6ELb0ES3_mN6thrust23THRUST_200600_302600_NS6detail15normal_iteratorINSA_10device_ptrIfEEEEPS6_SG_NS0_5tupleIJSF_S6_EEENSH_IJSG_SG_EEES6_PlJNSB_9not_fun_tINSB_10functional5actorINSM_9compositeIJNSM_27transparent_binary_operatorINSA_8equal_toIvEEEENSN_INSM_8argumentILj0EEEEENSM_5valueIfEEEEEEEEEEEE10hipError_tPvRmT3_T4_T5_T6_T7_T9_mT8_P12ihipStream_tbDpT10_ENKUlT_T0_E_clISt17integral_constantIbLb1EES1J_IbLb0EEEEDaS1F_S1G_EUlS1F_E_NS1_11comp_targetILNS1_3genE2ELNS1_11target_archE906ELNS1_3gpuE6ELNS1_3repE0EEENS1_30default_config_static_selectorELNS0_4arch9wavefront6targetE0EEEvT1_,comdat
	.protected	_ZN7rocprim17ROCPRIM_400000_NS6detail17trampoline_kernelINS0_14default_configENS1_25partition_config_selectorILNS1_17partition_subalgoE6EfNS0_10empty_typeEbEEZZNS1_14partition_implILS5_6ELb0ES3_mN6thrust23THRUST_200600_302600_NS6detail15normal_iteratorINSA_10device_ptrIfEEEEPS6_SG_NS0_5tupleIJSF_S6_EEENSH_IJSG_SG_EEES6_PlJNSB_9not_fun_tINSB_10functional5actorINSM_9compositeIJNSM_27transparent_binary_operatorINSA_8equal_toIvEEEENSN_INSM_8argumentILj0EEEEENSM_5valueIfEEEEEEEEEEEE10hipError_tPvRmT3_T4_T5_T6_T7_T9_mT8_P12ihipStream_tbDpT10_ENKUlT_T0_E_clISt17integral_constantIbLb1EES1J_IbLb0EEEEDaS1F_S1G_EUlS1F_E_NS1_11comp_targetILNS1_3genE2ELNS1_11target_archE906ELNS1_3gpuE6ELNS1_3repE0EEENS1_30default_config_static_selectorELNS0_4arch9wavefront6targetE0EEEvT1_ ; -- Begin function _ZN7rocprim17ROCPRIM_400000_NS6detail17trampoline_kernelINS0_14default_configENS1_25partition_config_selectorILNS1_17partition_subalgoE6EfNS0_10empty_typeEbEEZZNS1_14partition_implILS5_6ELb0ES3_mN6thrust23THRUST_200600_302600_NS6detail15normal_iteratorINSA_10device_ptrIfEEEEPS6_SG_NS0_5tupleIJSF_S6_EEENSH_IJSG_SG_EEES6_PlJNSB_9not_fun_tINSB_10functional5actorINSM_9compositeIJNSM_27transparent_binary_operatorINSA_8equal_toIvEEEENSN_INSM_8argumentILj0EEEEENSM_5valueIfEEEEEEEEEEEE10hipError_tPvRmT3_T4_T5_T6_T7_T9_mT8_P12ihipStream_tbDpT10_ENKUlT_T0_E_clISt17integral_constantIbLb1EES1J_IbLb0EEEEDaS1F_S1G_EUlS1F_E_NS1_11comp_targetILNS1_3genE2ELNS1_11target_archE906ELNS1_3gpuE6ELNS1_3repE0EEENS1_30default_config_static_selectorELNS0_4arch9wavefront6targetE0EEEvT1_
	.globl	_ZN7rocprim17ROCPRIM_400000_NS6detail17trampoline_kernelINS0_14default_configENS1_25partition_config_selectorILNS1_17partition_subalgoE6EfNS0_10empty_typeEbEEZZNS1_14partition_implILS5_6ELb0ES3_mN6thrust23THRUST_200600_302600_NS6detail15normal_iteratorINSA_10device_ptrIfEEEEPS6_SG_NS0_5tupleIJSF_S6_EEENSH_IJSG_SG_EEES6_PlJNSB_9not_fun_tINSB_10functional5actorINSM_9compositeIJNSM_27transparent_binary_operatorINSA_8equal_toIvEEEENSN_INSM_8argumentILj0EEEEENSM_5valueIfEEEEEEEEEEEE10hipError_tPvRmT3_T4_T5_T6_T7_T9_mT8_P12ihipStream_tbDpT10_ENKUlT_T0_E_clISt17integral_constantIbLb1EES1J_IbLb0EEEEDaS1F_S1G_EUlS1F_E_NS1_11comp_targetILNS1_3genE2ELNS1_11target_archE906ELNS1_3gpuE6ELNS1_3repE0EEENS1_30default_config_static_selectorELNS0_4arch9wavefront6targetE0EEEvT1_
	.p2align	8
	.type	_ZN7rocprim17ROCPRIM_400000_NS6detail17trampoline_kernelINS0_14default_configENS1_25partition_config_selectorILNS1_17partition_subalgoE6EfNS0_10empty_typeEbEEZZNS1_14partition_implILS5_6ELb0ES3_mN6thrust23THRUST_200600_302600_NS6detail15normal_iteratorINSA_10device_ptrIfEEEEPS6_SG_NS0_5tupleIJSF_S6_EEENSH_IJSG_SG_EEES6_PlJNSB_9not_fun_tINSB_10functional5actorINSM_9compositeIJNSM_27transparent_binary_operatorINSA_8equal_toIvEEEENSN_INSM_8argumentILj0EEEEENSM_5valueIfEEEEEEEEEEEE10hipError_tPvRmT3_T4_T5_T6_T7_T9_mT8_P12ihipStream_tbDpT10_ENKUlT_T0_E_clISt17integral_constantIbLb1EES1J_IbLb0EEEEDaS1F_S1G_EUlS1F_E_NS1_11comp_targetILNS1_3genE2ELNS1_11target_archE906ELNS1_3gpuE6ELNS1_3repE0EEENS1_30default_config_static_selectorELNS0_4arch9wavefront6targetE0EEEvT1_,@function
_ZN7rocprim17ROCPRIM_400000_NS6detail17trampoline_kernelINS0_14default_configENS1_25partition_config_selectorILNS1_17partition_subalgoE6EfNS0_10empty_typeEbEEZZNS1_14partition_implILS5_6ELb0ES3_mN6thrust23THRUST_200600_302600_NS6detail15normal_iteratorINSA_10device_ptrIfEEEEPS6_SG_NS0_5tupleIJSF_S6_EEENSH_IJSG_SG_EEES6_PlJNSB_9not_fun_tINSB_10functional5actorINSM_9compositeIJNSM_27transparent_binary_operatorINSA_8equal_toIvEEEENSN_INSM_8argumentILj0EEEEENSM_5valueIfEEEEEEEEEEEE10hipError_tPvRmT3_T4_T5_T6_T7_T9_mT8_P12ihipStream_tbDpT10_ENKUlT_T0_E_clISt17integral_constantIbLb1EES1J_IbLb0EEEEDaS1F_S1G_EUlS1F_E_NS1_11comp_targetILNS1_3genE2ELNS1_11target_archE906ELNS1_3gpuE6ELNS1_3repE0EEENS1_30default_config_static_selectorELNS0_4arch9wavefront6targetE0EEEvT1_: ; @_ZN7rocprim17ROCPRIM_400000_NS6detail17trampoline_kernelINS0_14default_configENS1_25partition_config_selectorILNS1_17partition_subalgoE6EfNS0_10empty_typeEbEEZZNS1_14partition_implILS5_6ELb0ES3_mN6thrust23THRUST_200600_302600_NS6detail15normal_iteratorINSA_10device_ptrIfEEEEPS6_SG_NS0_5tupleIJSF_S6_EEENSH_IJSG_SG_EEES6_PlJNSB_9not_fun_tINSB_10functional5actorINSM_9compositeIJNSM_27transparent_binary_operatorINSA_8equal_toIvEEEENSN_INSM_8argumentILj0EEEEENSM_5valueIfEEEEEEEEEEEE10hipError_tPvRmT3_T4_T5_T6_T7_T9_mT8_P12ihipStream_tbDpT10_ENKUlT_T0_E_clISt17integral_constantIbLb1EES1J_IbLb0EEEEDaS1F_S1G_EUlS1F_E_NS1_11comp_targetILNS1_3genE2ELNS1_11target_archE906ELNS1_3gpuE6ELNS1_3repE0EEENS1_30default_config_static_selectorELNS0_4arch9wavefront6targetE0EEEvT1_
; %bb.0:
	.section	.rodata,"a",@progbits
	.p2align	6, 0x0
	.amdhsa_kernel _ZN7rocprim17ROCPRIM_400000_NS6detail17trampoline_kernelINS0_14default_configENS1_25partition_config_selectorILNS1_17partition_subalgoE6EfNS0_10empty_typeEbEEZZNS1_14partition_implILS5_6ELb0ES3_mN6thrust23THRUST_200600_302600_NS6detail15normal_iteratorINSA_10device_ptrIfEEEEPS6_SG_NS0_5tupleIJSF_S6_EEENSH_IJSG_SG_EEES6_PlJNSB_9not_fun_tINSB_10functional5actorINSM_9compositeIJNSM_27transparent_binary_operatorINSA_8equal_toIvEEEENSN_INSM_8argumentILj0EEEEENSM_5valueIfEEEEEEEEEEEE10hipError_tPvRmT3_T4_T5_T6_T7_T9_mT8_P12ihipStream_tbDpT10_ENKUlT_T0_E_clISt17integral_constantIbLb1EES1J_IbLb0EEEEDaS1F_S1G_EUlS1F_E_NS1_11comp_targetILNS1_3genE2ELNS1_11target_archE906ELNS1_3gpuE6ELNS1_3repE0EEENS1_30default_config_static_selectorELNS0_4arch9wavefront6targetE0EEEvT1_
		.amdhsa_group_segment_fixed_size 0
		.amdhsa_private_segment_fixed_size 0
		.amdhsa_kernarg_size 120
		.amdhsa_user_sgpr_count 2
		.amdhsa_user_sgpr_dispatch_ptr 0
		.amdhsa_user_sgpr_queue_ptr 0
		.amdhsa_user_sgpr_kernarg_segment_ptr 1
		.amdhsa_user_sgpr_dispatch_id 0
		.amdhsa_user_sgpr_private_segment_size 0
		.amdhsa_wavefront_size32 1
		.amdhsa_uses_dynamic_stack 0
		.amdhsa_enable_private_segment 0
		.amdhsa_system_sgpr_workgroup_id_x 1
		.amdhsa_system_sgpr_workgroup_id_y 0
		.amdhsa_system_sgpr_workgroup_id_z 0
		.amdhsa_system_sgpr_workgroup_info 0
		.amdhsa_system_vgpr_workitem_id 0
		.amdhsa_next_free_vgpr 1
		.amdhsa_next_free_sgpr 1
		.amdhsa_reserve_vcc 0
		.amdhsa_float_round_mode_32 0
		.amdhsa_float_round_mode_16_64 0
		.amdhsa_float_denorm_mode_32 3
		.amdhsa_float_denorm_mode_16_64 3
		.amdhsa_fp16_overflow 0
		.amdhsa_workgroup_processor_mode 1
		.amdhsa_memory_ordered 1
		.amdhsa_forward_progress 1
		.amdhsa_inst_pref_size 0
		.amdhsa_round_robin_scheduling 0
		.amdhsa_exception_fp_ieee_invalid_op 0
		.amdhsa_exception_fp_denorm_src 0
		.amdhsa_exception_fp_ieee_div_zero 0
		.amdhsa_exception_fp_ieee_overflow 0
		.amdhsa_exception_fp_ieee_underflow 0
		.amdhsa_exception_fp_ieee_inexact 0
		.amdhsa_exception_int_div_zero 0
	.end_amdhsa_kernel
	.section	.text._ZN7rocprim17ROCPRIM_400000_NS6detail17trampoline_kernelINS0_14default_configENS1_25partition_config_selectorILNS1_17partition_subalgoE6EfNS0_10empty_typeEbEEZZNS1_14partition_implILS5_6ELb0ES3_mN6thrust23THRUST_200600_302600_NS6detail15normal_iteratorINSA_10device_ptrIfEEEEPS6_SG_NS0_5tupleIJSF_S6_EEENSH_IJSG_SG_EEES6_PlJNSB_9not_fun_tINSB_10functional5actorINSM_9compositeIJNSM_27transparent_binary_operatorINSA_8equal_toIvEEEENSN_INSM_8argumentILj0EEEEENSM_5valueIfEEEEEEEEEEEE10hipError_tPvRmT3_T4_T5_T6_T7_T9_mT8_P12ihipStream_tbDpT10_ENKUlT_T0_E_clISt17integral_constantIbLb1EES1J_IbLb0EEEEDaS1F_S1G_EUlS1F_E_NS1_11comp_targetILNS1_3genE2ELNS1_11target_archE906ELNS1_3gpuE6ELNS1_3repE0EEENS1_30default_config_static_selectorELNS0_4arch9wavefront6targetE0EEEvT1_,"axG",@progbits,_ZN7rocprim17ROCPRIM_400000_NS6detail17trampoline_kernelINS0_14default_configENS1_25partition_config_selectorILNS1_17partition_subalgoE6EfNS0_10empty_typeEbEEZZNS1_14partition_implILS5_6ELb0ES3_mN6thrust23THRUST_200600_302600_NS6detail15normal_iteratorINSA_10device_ptrIfEEEEPS6_SG_NS0_5tupleIJSF_S6_EEENSH_IJSG_SG_EEES6_PlJNSB_9not_fun_tINSB_10functional5actorINSM_9compositeIJNSM_27transparent_binary_operatorINSA_8equal_toIvEEEENSN_INSM_8argumentILj0EEEEENSM_5valueIfEEEEEEEEEEEE10hipError_tPvRmT3_T4_T5_T6_T7_T9_mT8_P12ihipStream_tbDpT10_ENKUlT_T0_E_clISt17integral_constantIbLb1EES1J_IbLb0EEEEDaS1F_S1G_EUlS1F_E_NS1_11comp_targetILNS1_3genE2ELNS1_11target_archE906ELNS1_3gpuE6ELNS1_3repE0EEENS1_30default_config_static_selectorELNS0_4arch9wavefront6targetE0EEEvT1_,comdat
.Lfunc_end67:
	.size	_ZN7rocprim17ROCPRIM_400000_NS6detail17trampoline_kernelINS0_14default_configENS1_25partition_config_selectorILNS1_17partition_subalgoE6EfNS0_10empty_typeEbEEZZNS1_14partition_implILS5_6ELb0ES3_mN6thrust23THRUST_200600_302600_NS6detail15normal_iteratorINSA_10device_ptrIfEEEEPS6_SG_NS0_5tupleIJSF_S6_EEENSH_IJSG_SG_EEES6_PlJNSB_9not_fun_tINSB_10functional5actorINSM_9compositeIJNSM_27transparent_binary_operatorINSA_8equal_toIvEEEENSN_INSM_8argumentILj0EEEEENSM_5valueIfEEEEEEEEEEEE10hipError_tPvRmT3_T4_T5_T6_T7_T9_mT8_P12ihipStream_tbDpT10_ENKUlT_T0_E_clISt17integral_constantIbLb1EES1J_IbLb0EEEEDaS1F_S1G_EUlS1F_E_NS1_11comp_targetILNS1_3genE2ELNS1_11target_archE906ELNS1_3gpuE6ELNS1_3repE0EEENS1_30default_config_static_selectorELNS0_4arch9wavefront6targetE0EEEvT1_, .Lfunc_end67-_ZN7rocprim17ROCPRIM_400000_NS6detail17trampoline_kernelINS0_14default_configENS1_25partition_config_selectorILNS1_17partition_subalgoE6EfNS0_10empty_typeEbEEZZNS1_14partition_implILS5_6ELb0ES3_mN6thrust23THRUST_200600_302600_NS6detail15normal_iteratorINSA_10device_ptrIfEEEEPS6_SG_NS0_5tupleIJSF_S6_EEENSH_IJSG_SG_EEES6_PlJNSB_9not_fun_tINSB_10functional5actorINSM_9compositeIJNSM_27transparent_binary_operatorINSA_8equal_toIvEEEENSN_INSM_8argumentILj0EEEEENSM_5valueIfEEEEEEEEEEEE10hipError_tPvRmT3_T4_T5_T6_T7_T9_mT8_P12ihipStream_tbDpT10_ENKUlT_T0_E_clISt17integral_constantIbLb1EES1J_IbLb0EEEEDaS1F_S1G_EUlS1F_E_NS1_11comp_targetILNS1_3genE2ELNS1_11target_archE906ELNS1_3gpuE6ELNS1_3repE0EEENS1_30default_config_static_selectorELNS0_4arch9wavefront6targetE0EEEvT1_
                                        ; -- End function
	.set _ZN7rocprim17ROCPRIM_400000_NS6detail17trampoline_kernelINS0_14default_configENS1_25partition_config_selectorILNS1_17partition_subalgoE6EfNS0_10empty_typeEbEEZZNS1_14partition_implILS5_6ELb0ES3_mN6thrust23THRUST_200600_302600_NS6detail15normal_iteratorINSA_10device_ptrIfEEEEPS6_SG_NS0_5tupleIJSF_S6_EEENSH_IJSG_SG_EEES6_PlJNSB_9not_fun_tINSB_10functional5actorINSM_9compositeIJNSM_27transparent_binary_operatorINSA_8equal_toIvEEEENSN_INSM_8argumentILj0EEEEENSM_5valueIfEEEEEEEEEEEE10hipError_tPvRmT3_T4_T5_T6_T7_T9_mT8_P12ihipStream_tbDpT10_ENKUlT_T0_E_clISt17integral_constantIbLb1EES1J_IbLb0EEEEDaS1F_S1G_EUlS1F_E_NS1_11comp_targetILNS1_3genE2ELNS1_11target_archE906ELNS1_3gpuE6ELNS1_3repE0EEENS1_30default_config_static_selectorELNS0_4arch9wavefront6targetE0EEEvT1_.num_vgpr, 0
	.set _ZN7rocprim17ROCPRIM_400000_NS6detail17trampoline_kernelINS0_14default_configENS1_25partition_config_selectorILNS1_17partition_subalgoE6EfNS0_10empty_typeEbEEZZNS1_14partition_implILS5_6ELb0ES3_mN6thrust23THRUST_200600_302600_NS6detail15normal_iteratorINSA_10device_ptrIfEEEEPS6_SG_NS0_5tupleIJSF_S6_EEENSH_IJSG_SG_EEES6_PlJNSB_9not_fun_tINSB_10functional5actorINSM_9compositeIJNSM_27transparent_binary_operatorINSA_8equal_toIvEEEENSN_INSM_8argumentILj0EEEEENSM_5valueIfEEEEEEEEEEEE10hipError_tPvRmT3_T4_T5_T6_T7_T9_mT8_P12ihipStream_tbDpT10_ENKUlT_T0_E_clISt17integral_constantIbLb1EES1J_IbLb0EEEEDaS1F_S1G_EUlS1F_E_NS1_11comp_targetILNS1_3genE2ELNS1_11target_archE906ELNS1_3gpuE6ELNS1_3repE0EEENS1_30default_config_static_selectorELNS0_4arch9wavefront6targetE0EEEvT1_.num_agpr, 0
	.set _ZN7rocprim17ROCPRIM_400000_NS6detail17trampoline_kernelINS0_14default_configENS1_25partition_config_selectorILNS1_17partition_subalgoE6EfNS0_10empty_typeEbEEZZNS1_14partition_implILS5_6ELb0ES3_mN6thrust23THRUST_200600_302600_NS6detail15normal_iteratorINSA_10device_ptrIfEEEEPS6_SG_NS0_5tupleIJSF_S6_EEENSH_IJSG_SG_EEES6_PlJNSB_9not_fun_tINSB_10functional5actorINSM_9compositeIJNSM_27transparent_binary_operatorINSA_8equal_toIvEEEENSN_INSM_8argumentILj0EEEEENSM_5valueIfEEEEEEEEEEEE10hipError_tPvRmT3_T4_T5_T6_T7_T9_mT8_P12ihipStream_tbDpT10_ENKUlT_T0_E_clISt17integral_constantIbLb1EES1J_IbLb0EEEEDaS1F_S1G_EUlS1F_E_NS1_11comp_targetILNS1_3genE2ELNS1_11target_archE906ELNS1_3gpuE6ELNS1_3repE0EEENS1_30default_config_static_selectorELNS0_4arch9wavefront6targetE0EEEvT1_.numbered_sgpr, 0
	.set _ZN7rocprim17ROCPRIM_400000_NS6detail17trampoline_kernelINS0_14default_configENS1_25partition_config_selectorILNS1_17partition_subalgoE6EfNS0_10empty_typeEbEEZZNS1_14partition_implILS5_6ELb0ES3_mN6thrust23THRUST_200600_302600_NS6detail15normal_iteratorINSA_10device_ptrIfEEEEPS6_SG_NS0_5tupleIJSF_S6_EEENSH_IJSG_SG_EEES6_PlJNSB_9not_fun_tINSB_10functional5actorINSM_9compositeIJNSM_27transparent_binary_operatorINSA_8equal_toIvEEEENSN_INSM_8argumentILj0EEEEENSM_5valueIfEEEEEEEEEEEE10hipError_tPvRmT3_T4_T5_T6_T7_T9_mT8_P12ihipStream_tbDpT10_ENKUlT_T0_E_clISt17integral_constantIbLb1EES1J_IbLb0EEEEDaS1F_S1G_EUlS1F_E_NS1_11comp_targetILNS1_3genE2ELNS1_11target_archE906ELNS1_3gpuE6ELNS1_3repE0EEENS1_30default_config_static_selectorELNS0_4arch9wavefront6targetE0EEEvT1_.num_named_barrier, 0
	.set _ZN7rocprim17ROCPRIM_400000_NS6detail17trampoline_kernelINS0_14default_configENS1_25partition_config_selectorILNS1_17partition_subalgoE6EfNS0_10empty_typeEbEEZZNS1_14partition_implILS5_6ELb0ES3_mN6thrust23THRUST_200600_302600_NS6detail15normal_iteratorINSA_10device_ptrIfEEEEPS6_SG_NS0_5tupleIJSF_S6_EEENSH_IJSG_SG_EEES6_PlJNSB_9not_fun_tINSB_10functional5actorINSM_9compositeIJNSM_27transparent_binary_operatorINSA_8equal_toIvEEEENSN_INSM_8argumentILj0EEEEENSM_5valueIfEEEEEEEEEEEE10hipError_tPvRmT3_T4_T5_T6_T7_T9_mT8_P12ihipStream_tbDpT10_ENKUlT_T0_E_clISt17integral_constantIbLb1EES1J_IbLb0EEEEDaS1F_S1G_EUlS1F_E_NS1_11comp_targetILNS1_3genE2ELNS1_11target_archE906ELNS1_3gpuE6ELNS1_3repE0EEENS1_30default_config_static_selectorELNS0_4arch9wavefront6targetE0EEEvT1_.private_seg_size, 0
	.set _ZN7rocprim17ROCPRIM_400000_NS6detail17trampoline_kernelINS0_14default_configENS1_25partition_config_selectorILNS1_17partition_subalgoE6EfNS0_10empty_typeEbEEZZNS1_14partition_implILS5_6ELb0ES3_mN6thrust23THRUST_200600_302600_NS6detail15normal_iteratorINSA_10device_ptrIfEEEEPS6_SG_NS0_5tupleIJSF_S6_EEENSH_IJSG_SG_EEES6_PlJNSB_9not_fun_tINSB_10functional5actorINSM_9compositeIJNSM_27transparent_binary_operatorINSA_8equal_toIvEEEENSN_INSM_8argumentILj0EEEEENSM_5valueIfEEEEEEEEEEEE10hipError_tPvRmT3_T4_T5_T6_T7_T9_mT8_P12ihipStream_tbDpT10_ENKUlT_T0_E_clISt17integral_constantIbLb1EES1J_IbLb0EEEEDaS1F_S1G_EUlS1F_E_NS1_11comp_targetILNS1_3genE2ELNS1_11target_archE906ELNS1_3gpuE6ELNS1_3repE0EEENS1_30default_config_static_selectorELNS0_4arch9wavefront6targetE0EEEvT1_.uses_vcc, 0
	.set _ZN7rocprim17ROCPRIM_400000_NS6detail17trampoline_kernelINS0_14default_configENS1_25partition_config_selectorILNS1_17partition_subalgoE6EfNS0_10empty_typeEbEEZZNS1_14partition_implILS5_6ELb0ES3_mN6thrust23THRUST_200600_302600_NS6detail15normal_iteratorINSA_10device_ptrIfEEEEPS6_SG_NS0_5tupleIJSF_S6_EEENSH_IJSG_SG_EEES6_PlJNSB_9not_fun_tINSB_10functional5actorINSM_9compositeIJNSM_27transparent_binary_operatorINSA_8equal_toIvEEEENSN_INSM_8argumentILj0EEEEENSM_5valueIfEEEEEEEEEEEE10hipError_tPvRmT3_T4_T5_T6_T7_T9_mT8_P12ihipStream_tbDpT10_ENKUlT_T0_E_clISt17integral_constantIbLb1EES1J_IbLb0EEEEDaS1F_S1G_EUlS1F_E_NS1_11comp_targetILNS1_3genE2ELNS1_11target_archE906ELNS1_3gpuE6ELNS1_3repE0EEENS1_30default_config_static_selectorELNS0_4arch9wavefront6targetE0EEEvT1_.uses_flat_scratch, 0
	.set _ZN7rocprim17ROCPRIM_400000_NS6detail17trampoline_kernelINS0_14default_configENS1_25partition_config_selectorILNS1_17partition_subalgoE6EfNS0_10empty_typeEbEEZZNS1_14partition_implILS5_6ELb0ES3_mN6thrust23THRUST_200600_302600_NS6detail15normal_iteratorINSA_10device_ptrIfEEEEPS6_SG_NS0_5tupleIJSF_S6_EEENSH_IJSG_SG_EEES6_PlJNSB_9not_fun_tINSB_10functional5actorINSM_9compositeIJNSM_27transparent_binary_operatorINSA_8equal_toIvEEEENSN_INSM_8argumentILj0EEEEENSM_5valueIfEEEEEEEEEEEE10hipError_tPvRmT3_T4_T5_T6_T7_T9_mT8_P12ihipStream_tbDpT10_ENKUlT_T0_E_clISt17integral_constantIbLb1EES1J_IbLb0EEEEDaS1F_S1G_EUlS1F_E_NS1_11comp_targetILNS1_3genE2ELNS1_11target_archE906ELNS1_3gpuE6ELNS1_3repE0EEENS1_30default_config_static_selectorELNS0_4arch9wavefront6targetE0EEEvT1_.has_dyn_sized_stack, 0
	.set _ZN7rocprim17ROCPRIM_400000_NS6detail17trampoline_kernelINS0_14default_configENS1_25partition_config_selectorILNS1_17partition_subalgoE6EfNS0_10empty_typeEbEEZZNS1_14partition_implILS5_6ELb0ES3_mN6thrust23THRUST_200600_302600_NS6detail15normal_iteratorINSA_10device_ptrIfEEEEPS6_SG_NS0_5tupleIJSF_S6_EEENSH_IJSG_SG_EEES6_PlJNSB_9not_fun_tINSB_10functional5actorINSM_9compositeIJNSM_27transparent_binary_operatorINSA_8equal_toIvEEEENSN_INSM_8argumentILj0EEEEENSM_5valueIfEEEEEEEEEEEE10hipError_tPvRmT3_T4_T5_T6_T7_T9_mT8_P12ihipStream_tbDpT10_ENKUlT_T0_E_clISt17integral_constantIbLb1EES1J_IbLb0EEEEDaS1F_S1G_EUlS1F_E_NS1_11comp_targetILNS1_3genE2ELNS1_11target_archE906ELNS1_3gpuE6ELNS1_3repE0EEENS1_30default_config_static_selectorELNS0_4arch9wavefront6targetE0EEEvT1_.has_recursion, 0
	.set _ZN7rocprim17ROCPRIM_400000_NS6detail17trampoline_kernelINS0_14default_configENS1_25partition_config_selectorILNS1_17partition_subalgoE6EfNS0_10empty_typeEbEEZZNS1_14partition_implILS5_6ELb0ES3_mN6thrust23THRUST_200600_302600_NS6detail15normal_iteratorINSA_10device_ptrIfEEEEPS6_SG_NS0_5tupleIJSF_S6_EEENSH_IJSG_SG_EEES6_PlJNSB_9not_fun_tINSB_10functional5actorINSM_9compositeIJNSM_27transparent_binary_operatorINSA_8equal_toIvEEEENSN_INSM_8argumentILj0EEEEENSM_5valueIfEEEEEEEEEEEE10hipError_tPvRmT3_T4_T5_T6_T7_T9_mT8_P12ihipStream_tbDpT10_ENKUlT_T0_E_clISt17integral_constantIbLb1EES1J_IbLb0EEEEDaS1F_S1G_EUlS1F_E_NS1_11comp_targetILNS1_3genE2ELNS1_11target_archE906ELNS1_3gpuE6ELNS1_3repE0EEENS1_30default_config_static_selectorELNS0_4arch9wavefront6targetE0EEEvT1_.has_indirect_call, 0
	.section	.AMDGPU.csdata,"",@progbits
; Kernel info:
; codeLenInByte = 0
; TotalNumSgprs: 0
; NumVgprs: 0
; ScratchSize: 0
; MemoryBound: 0
; FloatMode: 240
; IeeeMode: 1
; LDSByteSize: 0 bytes/workgroup (compile time only)
; SGPRBlocks: 0
; VGPRBlocks: 0
; NumSGPRsForWavesPerEU: 1
; NumVGPRsForWavesPerEU: 1
; Occupancy: 16
; WaveLimiterHint : 0
; COMPUTE_PGM_RSRC2:SCRATCH_EN: 0
; COMPUTE_PGM_RSRC2:USER_SGPR: 2
; COMPUTE_PGM_RSRC2:TRAP_HANDLER: 0
; COMPUTE_PGM_RSRC2:TGID_X_EN: 1
; COMPUTE_PGM_RSRC2:TGID_Y_EN: 0
; COMPUTE_PGM_RSRC2:TGID_Z_EN: 0
; COMPUTE_PGM_RSRC2:TIDIG_COMP_CNT: 0
	.section	.text._ZN7rocprim17ROCPRIM_400000_NS6detail17trampoline_kernelINS0_14default_configENS1_25partition_config_selectorILNS1_17partition_subalgoE6EfNS0_10empty_typeEbEEZZNS1_14partition_implILS5_6ELb0ES3_mN6thrust23THRUST_200600_302600_NS6detail15normal_iteratorINSA_10device_ptrIfEEEEPS6_SG_NS0_5tupleIJSF_S6_EEENSH_IJSG_SG_EEES6_PlJNSB_9not_fun_tINSB_10functional5actorINSM_9compositeIJNSM_27transparent_binary_operatorINSA_8equal_toIvEEEENSN_INSM_8argumentILj0EEEEENSM_5valueIfEEEEEEEEEEEE10hipError_tPvRmT3_T4_T5_T6_T7_T9_mT8_P12ihipStream_tbDpT10_ENKUlT_T0_E_clISt17integral_constantIbLb1EES1J_IbLb0EEEEDaS1F_S1G_EUlS1F_E_NS1_11comp_targetILNS1_3genE10ELNS1_11target_archE1200ELNS1_3gpuE4ELNS1_3repE0EEENS1_30default_config_static_selectorELNS0_4arch9wavefront6targetE0EEEvT1_,"axG",@progbits,_ZN7rocprim17ROCPRIM_400000_NS6detail17trampoline_kernelINS0_14default_configENS1_25partition_config_selectorILNS1_17partition_subalgoE6EfNS0_10empty_typeEbEEZZNS1_14partition_implILS5_6ELb0ES3_mN6thrust23THRUST_200600_302600_NS6detail15normal_iteratorINSA_10device_ptrIfEEEEPS6_SG_NS0_5tupleIJSF_S6_EEENSH_IJSG_SG_EEES6_PlJNSB_9not_fun_tINSB_10functional5actorINSM_9compositeIJNSM_27transparent_binary_operatorINSA_8equal_toIvEEEENSN_INSM_8argumentILj0EEEEENSM_5valueIfEEEEEEEEEEEE10hipError_tPvRmT3_T4_T5_T6_T7_T9_mT8_P12ihipStream_tbDpT10_ENKUlT_T0_E_clISt17integral_constantIbLb1EES1J_IbLb0EEEEDaS1F_S1G_EUlS1F_E_NS1_11comp_targetILNS1_3genE10ELNS1_11target_archE1200ELNS1_3gpuE4ELNS1_3repE0EEENS1_30default_config_static_selectorELNS0_4arch9wavefront6targetE0EEEvT1_,comdat
	.protected	_ZN7rocprim17ROCPRIM_400000_NS6detail17trampoline_kernelINS0_14default_configENS1_25partition_config_selectorILNS1_17partition_subalgoE6EfNS0_10empty_typeEbEEZZNS1_14partition_implILS5_6ELb0ES3_mN6thrust23THRUST_200600_302600_NS6detail15normal_iteratorINSA_10device_ptrIfEEEEPS6_SG_NS0_5tupleIJSF_S6_EEENSH_IJSG_SG_EEES6_PlJNSB_9not_fun_tINSB_10functional5actorINSM_9compositeIJNSM_27transparent_binary_operatorINSA_8equal_toIvEEEENSN_INSM_8argumentILj0EEEEENSM_5valueIfEEEEEEEEEEEE10hipError_tPvRmT3_T4_T5_T6_T7_T9_mT8_P12ihipStream_tbDpT10_ENKUlT_T0_E_clISt17integral_constantIbLb1EES1J_IbLb0EEEEDaS1F_S1G_EUlS1F_E_NS1_11comp_targetILNS1_3genE10ELNS1_11target_archE1200ELNS1_3gpuE4ELNS1_3repE0EEENS1_30default_config_static_selectorELNS0_4arch9wavefront6targetE0EEEvT1_ ; -- Begin function _ZN7rocprim17ROCPRIM_400000_NS6detail17trampoline_kernelINS0_14default_configENS1_25partition_config_selectorILNS1_17partition_subalgoE6EfNS0_10empty_typeEbEEZZNS1_14partition_implILS5_6ELb0ES3_mN6thrust23THRUST_200600_302600_NS6detail15normal_iteratorINSA_10device_ptrIfEEEEPS6_SG_NS0_5tupleIJSF_S6_EEENSH_IJSG_SG_EEES6_PlJNSB_9not_fun_tINSB_10functional5actorINSM_9compositeIJNSM_27transparent_binary_operatorINSA_8equal_toIvEEEENSN_INSM_8argumentILj0EEEEENSM_5valueIfEEEEEEEEEEEE10hipError_tPvRmT3_T4_T5_T6_T7_T9_mT8_P12ihipStream_tbDpT10_ENKUlT_T0_E_clISt17integral_constantIbLb1EES1J_IbLb0EEEEDaS1F_S1G_EUlS1F_E_NS1_11comp_targetILNS1_3genE10ELNS1_11target_archE1200ELNS1_3gpuE4ELNS1_3repE0EEENS1_30default_config_static_selectorELNS0_4arch9wavefront6targetE0EEEvT1_
	.globl	_ZN7rocprim17ROCPRIM_400000_NS6detail17trampoline_kernelINS0_14default_configENS1_25partition_config_selectorILNS1_17partition_subalgoE6EfNS0_10empty_typeEbEEZZNS1_14partition_implILS5_6ELb0ES3_mN6thrust23THRUST_200600_302600_NS6detail15normal_iteratorINSA_10device_ptrIfEEEEPS6_SG_NS0_5tupleIJSF_S6_EEENSH_IJSG_SG_EEES6_PlJNSB_9not_fun_tINSB_10functional5actorINSM_9compositeIJNSM_27transparent_binary_operatorINSA_8equal_toIvEEEENSN_INSM_8argumentILj0EEEEENSM_5valueIfEEEEEEEEEEEE10hipError_tPvRmT3_T4_T5_T6_T7_T9_mT8_P12ihipStream_tbDpT10_ENKUlT_T0_E_clISt17integral_constantIbLb1EES1J_IbLb0EEEEDaS1F_S1G_EUlS1F_E_NS1_11comp_targetILNS1_3genE10ELNS1_11target_archE1200ELNS1_3gpuE4ELNS1_3repE0EEENS1_30default_config_static_selectorELNS0_4arch9wavefront6targetE0EEEvT1_
	.p2align	8
	.type	_ZN7rocprim17ROCPRIM_400000_NS6detail17trampoline_kernelINS0_14default_configENS1_25partition_config_selectorILNS1_17partition_subalgoE6EfNS0_10empty_typeEbEEZZNS1_14partition_implILS5_6ELb0ES3_mN6thrust23THRUST_200600_302600_NS6detail15normal_iteratorINSA_10device_ptrIfEEEEPS6_SG_NS0_5tupleIJSF_S6_EEENSH_IJSG_SG_EEES6_PlJNSB_9not_fun_tINSB_10functional5actorINSM_9compositeIJNSM_27transparent_binary_operatorINSA_8equal_toIvEEEENSN_INSM_8argumentILj0EEEEENSM_5valueIfEEEEEEEEEEEE10hipError_tPvRmT3_T4_T5_T6_T7_T9_mT8_P12ihipStream_tbDpT10_ENKUlT_T0_E_clISt17integral_constantIbLb1EES1J_IbLb0EEEEDaS1F_S1G_EUlS1F_E_NS1_11comp_targetILNS1_3genE10ELNS1_11target_archE1200ELNS1_3gpuE4ELNS1_3repE0EEENS1_30default_config_static_selectorELNS0_4arch9wavefront6targetE0EEEvT1_,@function
_ZN7rocprim17ROCPRIM_400000_NS6detail17trampoline_kernelINS0_14default_configENS1_25partition_config_selectorILNS1_17partition_subalgoE6EfNS0_10empty_typeEbEEZZNS1_14partition_implILS5_6ELb0ES3_mN6thrust23THRUST_200600_302600_NS6detail15normal_iteratorINSA_10device_ptrIfEEEEPS6_SG_NS0_5tupleIJSF_S6_EEENSH_IJSG_SG_EEES6_PlJNSB_9not_fun_tINSB_10functional5actorINSM_9compositeIJNSM_27transparent_binary_operatorINSA_8equal_toIvEEEENSN_INSM_8argumentILj0EEEEENSM_5valueIfEEEEEEEEEEEE10hipError_tPvRmT3_T4_T5_T6_T7_T9_mT8_P12ihipStream_tbDpT10_ENKUlT_T0_E_clISt17integral_constantIbLb1EES1J_IbLb0EEEEDaS1F_S1G_EUlS1F_E_NS1_11comp_targetILNS1_3genE10ELNS1_11target_archE1200ELNS1_3gpuE4ELNS1_3repE0EEENS1_30default_config_static_selectorELNS0_4arch9wavefront6targetE0EEEvT1_: ; @_ZN7rocprim17ROCPRIM_400000_NS6detail17trampoline_kernelINS0_14default_configENS1_25partition_config_selectorILNS1_17partition_subalgoE6EfNS0_10empty_typeEbEEZZNS1_14partition_implILS5_6ELb0ES3_mN6thrust23THRUST_200600_302600_NS6detail15normal_iteratorINSA_10device_ptrIfEEEEPS6_SG_NS0_5tupleIJSF_S6_EEENSH_IJSG_SG_EEES6_PlJNSB_9not_fun_tINSB_10functional5actorINSM_9compositeIJNSM_27transparent_binary_operatorINSA_8equal_toIvEEEENSN_INSM_8argumentILj0EEEEENSM_5valueIfEEEEEEEEEEEE10hipError_tPvRmT3_T4_T5_T6_T7_T9_mT8_P12ihipStream_tbDpT10_ENKUlT_T0_E_clISt17integral_constantIbLb1EES1J_IbLb0EEEEDaS1F_S1G_EUlS1F_E_NS1_11comp_targetILNS1_3genE10ELNS1_11target_archE1200ELNS1_3gpuE4ELNS1_3repE0EEENS1_30default_config_static_selectorELNS0_4arch9wavefront6targetE0EEEvT1_
; %bb.0:
	s_endpgm
	.section	.rodata,"a",@progbits
	.p2align	6, 0x0
	.amdhsa_kernel _ZN7rocprim17ROCPRIM_400000_NS6detail17trampoline_kernelINS0_14default_configENS1_25partition_config_selectorILNS1_17partition_subalgoE6EfNS0_10empty_typeEbEEZZNS1_14partition_implILS5_6ELb0ES3_mN6thrust23THRUST_200600_302600_NS6detail15normal_iteratorINSA_10device_ptrIfEEEEPS6_SG_NS0_5tupleIJSF_S6_EEENSH_IJSG_SG_EEES6_PlJNSB_9not_fun_tINSB_10functional5actorINSM_9compositeIJNSM_27transparent_binary_operatorINSA_8equal_toIvEEEENSN_INSM_8argumentILj0EEEEENSM_5valueIfEEEEEEEEEEEE10hipError_tPvRmT3_T4_T5_T6_T7_T9_mT8_P12ihipStream_tbDpT10_ENKUlT_T0_E_clISt17integral_constantIbLb1EES1J_IbLb0EEEEDaS1F_S1G_EUlS1F_E_NS1_11comp_targetILNS1_3genE10ELNS1_11target_archE1200ELNS1_3gpuE4ELNS1_3repE0EEENS1_30default_config_static_selectorELNS0_4arch9wavefront6targetE0EEEvT1_
		.amdhsa_group_segment_fixed_size 0
		.amdhsa_private_segment_fixed_size 0
		.amdhsa_kernarg_size 120
		.amdhsa_user_sgpr_count 2
		.amdhsa_user_sgpr_dispatch_ptr 0
		.amdhsa_user_sgpr_queue_ptr 0
		.amdhsa_user_sgpr_kernarg_segment_ptr 1
		.amdhsa_user_sgpr_dispatch_id 0
		.amdhsa_user_sgpr_private_segment_size 0
		.amdhsa_wavefront_size32 1
		.amdhsa_uses_dynamic_stack 0
		.amdhsa_enable_private_segment 0
		.amdhsa_system_sgpr_workgroup_id_x 1
		.amdhsa_system_sgpr_workgroup_id_y 0
		.amdhsa_system_sgpr_workgroup_id_z 0
		.amdhsa_system_sgpr_workgroup_info 0
		.amdhsa_system_vgpr_workitem_id 0
		.amdhsa_next_free_vgpr 1
		.amdhsa_next_free_sgpr 1
		.amdhsa_reserve_vcc 0
		.amdhsa_float_round_mode_32 0
		.amdhsa_float_round_mode_16_64 0
		.amdhsa_float_denorm_mode_32 3
		.amdhsa_float_denorm_mode_16_64 3
		.amdhsa_fp16_overflow 0
		.amdhsa_workgroup_processor_mode 1
		.amdhsa_memory_ordered 1
		.amdhsa_forward_progress 1
		.amdhsa_inst_pref_size 1
		.amdhsa_round_robin_scheduling 0
		.amdhsa_exception_fp_ieee_invalid_op 0
		.amdhsa_exception_fp_denorm_src 0
		.amdhsa_exception_fp_ieee_div_zero 0
		.amdhsa_exception_fp_ieee_overflow 0
		.amdhsa_exception_fp_ieee_underflow 0
		.amdhsa_exception_fp_ieee_inexact 0
		.amdhsa_exception_int_div_zero 0
	.end_amdhsa_kernel
	.section	.text._ZN7rocprim17ROCPRIM_400000_NS6detail17trampoline_kernelINS0_14default_configENS1_25partition_config_selectorILNS1_17partition_subalgoE6EfNS0_10empty_typeEbEEZZNS1_14partition_implILS5_6ELb0ES3_mN6thrust23THRUST_200600_302600_NS6detail15normal_iteratorINSA_10device_ptrIfEEEEPS6_SG_NS0_5tupleIJSF_S6_EEENSH_IJSG_SG_EEES6_PlJNSB_9not_fun_tINSB_10functional5actorINSM_9compositeIJNSM_27transparent_binary_operatorINSA_8equal_toIvEEEENSN_INSM_8argumentILj0EEEEENSM_5valueIfEEEEEEEEEEEE10hipError_tPvRmT3_T4_T5_T6_T7_T9_mT8_P12ihipStream_tbDpT10_ENKUlT_T0_E_clISt17integral_constantIbLb1EES1J_IbLb0EEEEDaS1F_S1G_EUlS1F_E_NS1_11comp_targetILNS1_3genE10ELNS1_11target_archE1200ELNS1_3gpuE4ELNS1_3repE0EEENS1_30default_config_static_selectorELNS0_4arch9wavefront6targetE0EEEvT1_,"axG",@progbits,_ZN7rocprim17ROCPRIM_400000_NS6detail17trampoline_kernelINS0_14default_configENS1_25partition_config_selectorILNS1_17partition_subalgoE6EfNS0_10empty_typeEbEEZZNS1_14partition_implILS5_6ELb0ES3_mN6thrust23THRUST_200600_302600_NS6detail15normal_iteratorINSA_10device_ptrIfEEEEPS6_SG_NS0_5tupleIJSF_S6_EEENSH_IJSG_SG_EEES6_PlJNSB_9not_fun_tINSB_10functional5actorINSM_9compositeIJNSM_27transparent_binary_operatorINSA_8equal_toIvEEEENSN_INSM_8argumentILj0EEEEENSM_5valueIfEEEEEEEEEEEE10hipError_tPvRmT3_T4_T5_T6_T7_T9_mT8_P12ihipStream_tbDpT10_ENKUlT_T0_E_clISt17integral_constantIbLb1EES1J_IbLb0EEEEDaS1F_S1G_EUlS1F_E_NS1_11comp_targetILNS1_3genE10ELNS1_11target_archE1200ELNS1_3gpuE4ELNS1_3repE0EEENS1_30default_config_static_selectorELNS0_4arch9wavefront6targetE0EEEvT1_,comdat
.Lfunc_end68:
	.size	_ZN7rocprim17ROCPRIM_400000_NS6detail17trampoline_kernelINS0_14default_configENS1_25partition_config_selectorILNS1_17partition_subalgoE6EfNS0_10empty_typeEbEEZZNS1_14partition_implILS5_6ELb0ES3_mN6thrust23THRUST_200600_302600_NS6detail15normal_iteratorINSA_10device_ptrIfEEEEPS6_SG_NS0_5tupleIJSF_S6_EEENSH_IJSG_SG_EEES6_PlJNSB_9not_fun_tINSB_10functional5actorINSM_9compositeIJNSM_27transparent_binary_operatorINSA_8equal_toIvEEEENSN_INSM_8argumentILj0EEEEENSM_5valueIfEEEEEEEEEEEE10hipError_tPvRmT3_T4_T5_T6_T7_T9_mT8_P12ihipStream_tbDpT10_ENKUlT_T0_E_clISt17integral_constantIbLb1EES1J_IbLb0EEEEDaS1F_S1G_EUlS1F_E_NS1_11comp_targetILNS1_3genE10ELNS1_11target_archE1200ELNS1_3gpuE4ELNS1_3repE0EEENS1_30default_config_static_selectorELNS0_4arch9wavefront6targetE0EEEvT1_, .Lfunc_end68-_ZN7rocprim17ROCPRIM_400000_NS6detail17trampoline_kernelINS0_14default_configENS1_25partition_config_selectorILNS1_17partition_subalgoE6EfNS0_10empty_typeEbEEZZNS1_14partition_implILS5_6ELb0ES3_mN6thrust23THRUST_200600_302600_NS6detail15normal_iteratorINSA_10device_ptrIfEEEEPS6_SG_NS0_5tupleIJSF_S6_EEENSH_IJSG_SG_EEES6_PlJNSB_9not_fun_tINSB_10functional5actorINSM_9compositeIJNSM_27transparent_binary_operatorINSA_8equal_toIvEEEENSN_INSM_8argumentILj0EEEEENSM_5valueIfEEEEEEEEEEEE10hipError_tPvRmT3_T4_T5_T6_T7_T9_mT8_P12ihipStream_tbDpT10_ENKUlT_T0_E_clISt17integral_constantIbLb1EES1J_IbLb0EEEEDaS1F_S1G_EUlS1F_E_NS1_11comp_targetILNS1_3genE10ELNS1_11target_archE1200ELNS1_3gpuE4ELNS1_3repE0EEENS1_30default_config_static_selectorELNS0_4arch9wavefront6targetE0EEEvT1_
                                        ; -- End function
	.set _ZN7rocprim17ROCPRIM_400000_NS6detail17trampoline_kernelINS0_14default_configENS1_25partition_config_selectorILNS1_17partition_subalgoE6EfNS0_10empty_typeEbEEZZNS1_14partition_implILS5_6ELb0ES3_mN6thrust23THRUST_200600_302600_NS6detail15normal_iteratorINSA_10device_ptrIfEEEEPS6_SG_NS0_5tupleIJSF_S6_EEENSH_IJSG_SG_EEES6_PlJNSB_9not_fun_tINSB_10functional5actorINSM_9compositeIJNSM_27transparent_binary_operatorINSA_8equal_toIvEEEENSN_INSM_8argumentILj0EEEEENSM_5valueIfEEEEEEEEEEEE10hipError_tPvRmT3_T4_T5_T6_T7_T9_mT8_P12ihipStream_tbDpT10_ENKUlT_T0_E_clISt17integral_constantIbLb1EES1J_IbLb0EEEEDaS1F_S1G_EUlS1F_E_NS1_11comp_targetILNS1_3genE10ELNS1_11target_archE1200ELNS1_3gpuE4ELNS1_3repE0EEENS1_30default_config_static_selectorELNS0_4arch9wavefront6targetE0EEEvT1_.num_vgpr, 0
	.set _ZN7rocprim17ROCPRIM_400000_NS6detail17trampoline_kernelINS0_14default_configENS1_25partition_config_selectorILNS1_17partition_subalgoE6EfNS0_10empty_typeEbEEZZNS1_14partition_implILS5_6ELb0ES3_mN6thrust23THRUST_200600_302600_NS6detail15normal_iteratorINSA_10device_ptrIfEEEEPS6_SG_NS0_5tupleIJSF_S6_EEENSH_IJSG_SG_EEES6_PlJNSB_9not_fun_tINSB_10functional5actorINSM_9compositeIJNSM_27transparent_binary_operatorINSA_8equal_toIvEEEENSN_INSM_8argumentILj0EEEEENSM_5valueIfEEEEEEEEEEEE10hipError_tPvRmT3_T4_T5_T6_T7_T9_mT8_P12ihipStream_tbDpT10_ENKUlT_T0_E_clISt17integral_constantIbLb1EES1J_IbLb0EEEEDaS1F_S1G_EUlS1F_E_NS1_11comp_targetILNS1_3genE10ELNS1_11target_archE1200ELNS1_3gpuE4ELNS1_3repE0EEENS1_30default_config_static_selectorELNS0_4arch9wavefront6targetE0EEEvT1_.num_agpr, 0
	.set _ZN7rocprim17ROCPRIM_400000_NS6detail17trampoline_kernelINS0_14default_configENS1_25partition_config_selectorILNS1_17partition_subalgoE6EfNS0_10empty_typeEbEEZZNS1_14partition_implILS5_6ELb0ES3_mN6thrust23THRUST_200600_302600_NS6detail15normal_iteratorINSA_10device_ptrIfEEEEPS6_SG_NS0_5tupleIJSF_S6_EEENSH_IJSG_SG_EEES6_PlJNSB_9not_fun_tINSB_10functional5actorINSM_9compositeIJNSM_27transparent_binary_operatorINSA_8equal_toIvEEEENSN_INSM_8argumentILj0EEEEENSM_5valueIfEEEEEEEEEEEE10hipError_tPvRmT3_T4_T5_T6_T7_T9_mT8_P12ihipStream_tbDpT10_ENKUlT_T0_E_clISt17integral_constantIbLb1EES1J_IbLb0EEEEDaS1F_S1G_EUlS1F_E_NS1_11comp_targetILNS1_3genE10ELNS1_11target_archE1200ELNS1_3gpuE4ELNS1_3repE0EEENS1_30default_config_static_selectorELNS0_4arch9wavefront6targetE0EEEvT1_.numbered_sgpr, 0
	.set _ZN7rocprim17ROCPRIM_400000_NS6detail17trampoline_kernelINS0_14default_configENS1_25partition_config_selectorILNS1_17partition_subalgoE6EfNS0_10empty_typeEbEEZZNS1_14partition_implILS5_6ELb0ES3_mN6thrust23THRUST_200600_302600_NS6detail15normal_iteratorINSA_10device_ptrIfEEEEPS6_SG_NS0_5tupleIJSF_S6_EEENSH_IJSG_SG_EEES6_PlJNSB_9not_fun_tINSB_10functional5actorINSM_9compositeIJNSM_27transparent_binary_operatorINSA_8equal_toIvEEEENSN_INSM_8argumentILj0EEEEENSM_5valueIfEEEEEEEEEEEE10hipError_tPvRmT3_T4_T5_T6_T7_T9_mT8_P12ihipStream_tbDpT10_ENKUlT_T0_E_clISt17integral_constantIbLb1EES1J_IbLb0EEEEDaS1F_S1G_EUlS1F_E_NS1_11comp_targetILNS1_3genE10ELNS1_11target_archE1200ELNS1_3gpuE4ELNS1_3repE0EEENS1_30default_config_static_selectorELNS0_4arch9wavefront6targetE0EEEvT1_.num_named_barrier, 0
	.set _ZN7rocprim17ROCPRIM_400000_NS6detail17trampoline_kernelINS0_14default_configENS1_25partition_config_selectorILNS1_17partition_subalgoE6EfNS0_10empty_typeEbEEZZNS1_14partition_implILS5_6ELb0ES3_mN6thrust23THRUST_200600_302600_NS6detail15normal_iteratorINSA_10device_ptrIfEEEEPS6_SG_NS0_5tupleIJSF_S6_EEENSH_IJSG_SG_EEES6_PlJNSB_9not_fun_tINSB_10functional5actorINSM_9compositeIJNSM_27transparent_binary_operatorINSA_8equal_toIvEEEENSN_INSM_8argumentILj0EEEEENSM_5valueIfEEEEEEEEEEEE10hipError_tPvRmT3_T4_T5_T6_T7_T9_mT8_P12ihipStream_tbDpT10_ENKUlT_T0_E_clISt17integral_constantIbLb1EES1J_IbLb0EEEEDaS1F_S1G_EUlS1F_E_NS1_11comp_targetILNS1_3genE10ELNS1_11target_archE1200ELNS1_3gpuE4ELNS1_3repE0EEENS1_30default_config_static_selectorELNS0_4arch9wavefront6targetE0EEEvT1_.private_seg_size, 0
	.set _ZN7rocprim17ROCPRIM_400000_NS6detail17trampoline_kernelINS0_14default_configENS1_25partition_config_selectorILNS1_17partition_subalgoE6EfNS0_10empty_typeEbEEZZNS1_14partition_implILS5_6ELb0ES3_mN6thrust23THRUST_200600_302600_NS6detail15normal_iteratorINSA_10device_ptrIfEEEEPS6_SG_NS0_5tupleIJSF_S6_EEENSH_IJSG_SG_EEES6_PlJNSB_9not_fun_tINSB_10functional5actorINSM_9compositeIJNSM_27transparent_binary_operatorINSA_8equal_toIvEEEENSN_INSM_8argumentILj0EEEEENSM_5valueIfEEEEEEEEEEEE10hipError_tPvRmT3_T4_T5_T6_T7_T9_mT8_P12ihipStream_tbDpT10_ENKUlT_T0_E_clISt17integral_constantIbLb1EES1J_IbLb0EEEEDaS1F_S1G_EUlS1F_E_NS1_11comp_targetILNS1_3genE10ELNS1_11target_archE1200ELNS1_3gpuE4ELNS1_3repE0EEENS1_30default_config_static_selectorELNS0_4arch9wavefront6targetE0EEEvT1_.uses_vcc, 0
	.set _ZN7rocprim17ROCPRIM_400000_NS6detail17trampoline_kernelINS0_14default_configENS1_25partition_config_selectorILNS1_17partition_subalgoE6EfNS0_10empty_typeEbEEZZNS1_14partition_implILS5_6ELb0ES3_mN6thrust23THRUST_200600_302600_NS6detail15normal_iteratorINSA_10device_ptrIfEEEEPS6_SG_NS0_5tupleIJSF_S6_EEENSH_IJSG_SG_EEES6_PlJNSB_9not_fun_tINSB_10functional5actorINSM_9compositeIJNSM_27transparent_binary_operatorINSA_8equal_toIvEEEENSN_INSM_8argumentILj0EEEEENSM_5valueIfEEEEEEEEEEEE10hipError_tPvRmT3_T4_T5_T6_T7_T9_mT8_P12ihipStream_tbDpT10_ENKUlT_T0_E_clISt17integral_constantIbLb1EES1J_IbLb0EEEEDaS1F_S1G_EUlS1F_E_NS1_11comp_targetILNS1_3genE10ELNS1_11target_archE1200ELNS1_3gpuE4ELNS1_3repE0EEENS1_30default_config_static_selectorELNS0_4arch9wavefront6targetE0EEEvT1_.uses_flat_scratch, 0
	.set _ZN7rocprim17ROCPRIM_400000_NS6detail17trampoline_kernelINS0_14default_configENS1_25partition_config_selectorILNS1_17partition_subalgoE6EfNS0_10empty_typeEbEEZZNS1_14partition_implILS5_6ELb0ES3_mN6thrust23THRUST_200600_302600_NS6detail15normal_iteratorINSA_10device_ptrIfEEEEPS6_SG_NS0_5tupleIJSF_S6_EEENSH_IJSG_SG_EEES6_PlJNSB_9not_fun_tINSB_10functional5actorINSM_9compositeIJNSM_27transparent_binary_operatorINSA_8equal_toIvEEEENSN_INSM_8argumentILj0EEEEENSM_5valueIfEEEEEEEEEEEE10hipError_tPvRmT3_T4_T5_T6_T7_T9_mT8_P12ihipStream_tbDpT10_ENKUlT_T0_E_clISt17integral_constantIbLb1EES1J_IbLb0EEEEDaS1F_S1G_EUlS1F_E_NS1_11comp_targetILNS1_3genE10ELNS1_11target_archE1200ELNS1_3gpuE4ELNS1_3repE0EEENS1_30default_config_static_selectorELNS0_4arch9wavefront6targetE0EEEvT1_.has_dyn_sized_stack, 0
	.set _ZN7rocprim17ROCPRIM_400000_NS6detail17trampoline_kernelINS0_14default_configENS1_25partition_config_selectorILNS1_17partition_subalgoE6EfNS0_10empty_typeEbEEZZNS1_14partition_implILS5_6ELb0ES3_mN6thrust23THRUST_200600_302600_NS6detail15normal_iteratorINSA_10device_ptrIfEEEEPS6_SG_NS0_5tupleIJSF_S6_EEENSH_IJSG_SG_EEES6_PlJNSB_9not_fun_tINSB_10functional5actorINSM_9compositeIJNSM_27transparent_binary_operatorINSA_8equal_toIvEEEENSN_INSM_8argumentILj0EEEEENSM_5valueIfEEEEEEEEEEEE10hipError_tPvRmT3_T4_T5_T6_T7_T9_mT8_P12ihipStream_tbDpT10_ENKUlT_T0_E_clISt17integral_constantIbLb1EES1J_IbLb0EEEEDaS1F_S1G_EUlS1F_E_NS1_11comp_targetILNS1_3genE10ELNS1_11target_archE1200ELNS1_3gpuE4ELNS1_3repE0EEENS1_30default_config_static_selectorELNS0_4arch9wavefront6targetE0EEEvT1_.has_recursion, 0
	.set _ZN7rocprim17ROCPRIM_400000_NS6detail17trampoline_kernelINS0_14default_configENS1_25partition_config_selectorILNS1_17partition_subalgoE6EfNS0_10empty_typeEbEEZZNS1_14partition_implILS5_6ELb0ES3_mN6thrust23THRUST_200600_302600_NS6detail15normal_iteratorINSA_10device_ptrIfEEEEPS6_SG_NS0_5tupleIJSF_S6_EEENSH_IJSG_SG_EEES6_PlJNSB_9not_fun_tINSB_10functional5actorINSM_9compositeIJNSM_27transparent_binary_operatorINSA_8equal_toIvEEEENSN_INSM_8argumentILj0EEEEENSM_5valueIfEEEEEEEEEEEE10hipError_tPvRmT3_T4_T5_T6_T7_T9_mT8_P12ihipStream_tbDpT10_ENKUlT_T0_E_clISt17integral_constantIbLb1EES1J_IbLb0EEEEDaS1F_S1G_EUlS1F_E_NS1_11comp_targetILNS1_3genE10ELNS1_11target_archE1200ELNS1_3gpuE4ELNS1_3repE0EEENS1_30default_config_static_selectorELNS0_4arch9wavefront6targetE0EEEvT1_.has_indirect_call, 0
	.section	.AMDGPU.csdata,"",@progbits
; Kernel info:
; codeLenInByte = 4
; TotalNumSgprs: 0
; NumVgprs: 0
; ScratchSize: 0
; MemoryBound: 0
; FloatMode: 240
; IeeeMode: 1
; LDSByteSize: 0 bytes/workgroup (compile time only)
; SGPRBlocks: 0
; VGPRBlocks: 0
; NumSGPRsForWavesPerEU: 1
; NumVGPRsForWavesPerEU: 1
; Occupancy: 16
; WaveLimiterHint : 0
; COMPUTE_PGM_RSRC2:SCRATCH_EN: 0
; COMPUTE_PGM_RSRC2:USER_SGPR: 2
; COMPUTE_PGM_RSRC2:TRAP_HANDLER: 0
; COMPUTE_PGM_RSRC2:TGID_X_EN: 1
; COMPUTE_PGM_RSRC2:TGID_Y_EN: 0
; COMPUTE_PGM_RSRC2:TGID_Z_EN: 0
; COMPUTE_PGM_RSRC2:TIDIG_COMP_CNT: 0
	.section	.text._ZN7rocprim17ROCPRIM_400000_NS6detail17trampoline_kernelINS0_14default_configENS1_25partition_config_selectorILNS1_17partition_subalgoE6EfNS0_10empty_typeEbEEZZNS1_14partition_implILS5_6ELb0ES3_mN6thrust23THRUST_200600_302600_NS6detail15normal_iteratorINSA_10device_ptrIfEEEEPS6_SG_NS0_5tupleIJSF_S6_EEENSH_IJSG_SG_EEES6_PlJNSB_9not_fun_tINSB_10functional5actorINSM_9compositeIJNSM_27transparent_binary_operatorINSA_8equal_toIvEEEENSN_INSM_8argumentILj0EEEEENSM_5valueIfEEEEEEEEEEEE10hipError_tPvRmT3_T4_T5_T6_T7_T9_mT8_P12ihipStream_tbDpT10_ENKUlT_T0_E_clISt17integral_constantIbLb1EES1J_IbLb0EEEEDaS1F_S1G_EUlS1F_E_NS1_11comp_targetILNS1_3genE9ELNS1_11target_archE1100ELNS1_3gpuE3ELNS1_3repE0EEENS1_30default_config_static_selectorELNS0_4arch9wavefront6targetE0EEEvT1_,"axG",@progbits,_ZN7rocprim17ROCPRIM_400000_NS6detail17trampoline_kernelINS0_14default_configENS1_25partition_config_selectorILNS1_17partition_subalgoE6EfNS0_10empty_typeEbEEZZNS1_14partition_implILS5_6ELb0ES3_mN6thrust23THRUST_200600_302600_NS6detail15normal_iteratorINSA_10device_ptrIfEEEEPS6_SG_NS0_5tupleIJSF_S6_EEENSH_IJSG_SG_EEES6_PlJNSB_9not_fun_tINSB_10functional5actorINSM_9compositeIJNSM_27transparent_binary_operatorINSA_8equal_toIvEEEENSN_INSM_8argumentILj0EEEEENSM_5valueIfEEEEEEEEEEEE10hipError_tPvRmT3_T4_T5_T6_T7_T9_mT8_P12ihipStream_tbDpT10_ENKUlT_T0_E_clISt17integral_constantIbLb1EES1J_IbLb0EEEEDaS1F_S1G_EUlS1F_E_NS1_11comp_targetILNS1_3genE9ELNS1_11target_archE1100ELNS1_3gpuE3ELNS1_3repE0EEENS1_30default_config_static_selectorELNS0_4arch9wavefront6targetE0EEEvT1_,comdat
	.protected	_ZN7rocprim17ROCPRIM_400000_NS6detail17trampoline_kernelINS0_14default_configENS1_25partition_config_selectorILNS1_17partition_subalgoE6EfNS0_10empty_typeEbEEZZNS1_14partition_implILS5_6ELb0ES3_mN6thrust23THRUST_200600_302600_NS6detail15normal_iteratorINSA_10device_ptrIfEEEEPS6_SG_NS0_5tupleIJSF_S6_EEENSH_IJSG_SG_EEES6_PlJNSB_9not_fun_tINSB_10functional5actorINSM_9compositeIJNSM_27transparent_binary_operatorINSA_8equal_toIvEEEENSN_INSM_8argumentILj0EEEEENSM_5valueIfEEEEEEEEEEEE10hipError_tPvRmT3_T4_T5_T6_T7_T9_mT8_P12ihipStream_tbDpT10_ENKUlT_T0_E_clISt17integral_constantIbLb1EES1J_IbLb0EEEEDaS1F_S1G_EUlS1F_E_NS1_11comp_targetILNS1_3genE9ELNS1_11target_archE1100ELNS1_3gpuE3ELNS1_3repE0EEENS1_30default_config_static_selectorELNS0_4arch9wavefront6targetE0EEEvT1_ ; -- Begin function _ZN7rocprim17ROCPRIM_400000_NS6detail17trampoline_kernelINS0_14default_configENS1_25partition_config_selectorILNS1_17partition_subalgoE6EfNS0_10empty_typeEbEEZZNS1_14partition_implILS5_6ELb0ES3_mN6thrust23THRUST_200600_302600_NS6detail15normal_iteratorINSA_10device_ptrIfEEEEPS6_SG_NS0_5tupleIJSF_S6_EEENSH_IJSG_SG_EEES6_PlJNSB_9not_fun_tINSB_10functional5actorINSM_9compositeIJNSM_27transparent_binary_operatorINSA_8equal_toIvEEEENSN_INSM_8argumentILj0EEEEENSM_5valueIfEEEEEEEEEEEE10hipError_tPvRmT3_T4_T5_T6_T7_T9_mT8_P12ihipStream_tbDpT10_ENKUlT_T0_E_clISt17integral_constantIbLb1EES1J_IbLb0EEEEDaS1F_S1G_EUlS1F_E_NS1_11comp_targetILNS1_3genE9ELNS1_11target_archE1100ELNS1_3gpuE3ELNS1_3repE0EEENS1_30default_config_static_selectorELNS0_4arch9wavefront6targetE0EEEvT1_
	.globl	_ZN7rocprim17ROCPRIM_400000_NS6detail17trampoline_kernelINS0_14default_configENS1_25partition_config_selectorILNS1_17partition_subalgoE6EfNS0_10empty_typeEbEEZZNS1_14partition_implILS5_6ELb0ES3_mN6thrust23THRUST_200600_302600_NS6detail15normal_iteratorINSA_10device_ptrIfEEEEPS6_SG_NS0_5tupleIJSF_S6_EEENSH_IJSG_SG_EEES6_PlJNSB_9not_fun_tINSB_10functional5actorINSM_9compositeIJNSM_27transparent_binary_operatorINSA_8equal_toIvEEEENSN_INSM_8argumentILj0EEEEENSM_5valueIfEEEEEEEEEEEE10hipError_tPvRmT3_T4_T5_T6_T7_T9_mT8_P12ihipStream_tbDpT10_ENKUlT_T0_E_clISt17integral_constantIbLb1EES1J_IbLb0EEEEDaS1F_S1G_EUlS1F_E_NS1_11comp_targetILNS1_3genE9ELNS1_11target_archE1100ELNS1_3gpuE3ELNS1_3repE0EEENS1_30default_config_static_selectorELNS0_4arch9wavefront6targetE0EEEvT1_
	.p2align	8
	.type	_ZN7rocprim17ROCPRIM_400000_NS6detail17trampoline_kernelINS0_14default_configENS1_25partition_config_selectorILNS1_17partition_subalgoE6EfNS0_10empty_typeEbEEZZNS1_14partition_implILS5_6ELb0ES3_mN6thrust23THRUST_200600_302600_NS6detail15normal_iteratorINSA_10device_ptrIfEEEEPS6_SG_NS0_5tupleIJSF_S6_EEENSH_IJSG_SG_EEES6_PlJNSB_9not_fun_tINSB_10functional5actorINSM_9compositeIJNSM_27transparent_binary_operatorINSA_8equal_toIvEEEENSN_INSM_8argumentILj0EEEEENSM_5valueIfEEEEEEEEEEEE10hipError_tPvRmT3_T4_T5_T6_T7_T9_mT8_P12ihipStream_tbDpT10_ENKUlT_T0_E_clISt17integral_constantIbLb1EES1J_IbLb0EEEEDaS1F_S1G_EUlS1F_E_NS1_11comp_targetILNS1_3genE9ELNS1_11target_archE1100ELNS1_3gpuE3ELNS1_3repE0EEENS1_30default_config_static_selectorELNS0_4arch9wavefront6targetE0EEEvT1_,@function
_ZN7rocprim17ROCPRIM_400000_NS6detail17trampoline_kernelINS0_14default_configENS1_25partition_config_selectorILNS1_17partition_subalgoE6EfNS0_10empty_typeEbEEZZNS1_14partition_implILS5_6ELb0ES3_mN6thrust23THRUST_200600_302600_NS6detail15normal_iteratorINSA_10device_ptrIfEEEEPS6_SG_NS0_5tupleIJSF_S6_EEENSH_IJSG_SG_EEES6_PlJNSB_9not_fun_tINSB_10functional5actorINSM_9compositeIJNSM_27transparent_binary_operatorINSA_8equal_toIvEEEENSN_INSM_8argumentILj0EEEEENSM_5valueIfEEEEEEEEEEEE10hipError_tPvRmT3_T4_T5_T6_T7_T9_mT8_P12ihipStream_tbDpT10_ENKUlT_T0_E_clISt17integral_constantIbLb1EES1J_IbLb0EEEEDaS1F_S1G_EUlS1F_E_NS1_11comp_targetILNS1_3genE9ELNS1_11target_archE1100ELNS1_3gpuE3ELNS1_3repE0EEENS1_30default_config_static_selectorELNS0_4arch9wavefront6targetE0EEEvT1_: ; @_ZN7rocprim17ROCPRIM_400000_NS6detail17trampoline_kernelINS0_14default_configENS1_25partition_config_selectorILNS1_17partition_subalgoE6EfNS0_10empty_typeEbEEZZNS1_14partition_implILS5_6ELb0ES3_mN6thrust23THRUST_200600_302600_NS6detail15normal_iteratorINSA_10device_ptrIfEEEEPS6_SG_NS0_5tupleIJSF_S6_EEENSH_IJSG_SG_EEES6_PlJNSB_9not_fun_tINSB_10functional5actorINSM_9compositeIJNSM_27transparent_binary_operatorINSA_8equal_toIvEEEENSN_INSM_8argumentILj0EEEEENSM_5valueIfEEEEEEEEEEEE10hipError_tPvRmT3_T4_T5_T6_T7_T9_mT8_P12ihipStream_tbDpT10_ENKUlT_T0_E_clISt17integral_constantIbLb1EES1J_IbLb0EEEEDaS1F_S1G_EUlS1F_E_NS1_11comp_targetILNS1_3genE9ELNS1_11target_archE1100ELNS1_3gpuE3ELNS1_3repE0EEENS1_30default_config_static_selectorELNS0_4arch9wavefront6targetE0EEEvT1_
; %bb.0:
	.section	.rodata,"a",@progbits
	.p2align	6, 0x0
	.amdhsa_kernel _ZN7rocprim17ROCPRIM_400000_NS6detail17trampoline_kernelINS0_14default_configENS1_25partition_config_selectorILNS1_17partition_subalgoE6EfNS0_10empty_typeEbEEZZNS1_14partition_implILS5_6ELb0ES3_mN6thrust23THRUST_200600_302600_NS6detail15normal_iteratorINSA_10device_ptrIfEEEEPS6_SG_NS0_5tupleIJSF_S6_EEENSH_IJSG_SG_EEES6_PlJNSB_9not_fun_tINSB_10functional5actorINSM_9compositeIJNSM_27transparent_binary_operatorINSA_8equal_toIvEEEENSN_INSM_8argumentILj0EEEEENSM_5valueIfEEEEEEEEEEEE10hipError_tPvRmT3_T4_T5_T6_T7_T9_mT8_P12ihipStream_tbDpT10_ENKUlT_T0_E_clISt17integral_constantIbLb1EES1J_IbLb0EEEEDaS1F_S1G_EUlS1F_E_NS1_11comp_targetILNS1_3genE9ELNS1_11target_archE1100ELNS1_3gpuE3ELNS1_3repE0EEENS1_30default_config_static_selectorELNS0_4arch9wavefront6targetE0EEEvT1_
		.amdhsa_group_segment_fixed_size 0
		.amdhsa_private_segment_fixed_size 0
		.amdhsa_kernarg_size 120
		.amdhsa_user_sgpr_count 2
		.amdhsa_user_sgpr_dispatch_ptr 0
		.amdhsa_user_sgpr_queue_ptr 0
		.amdhsa_user_sgpr_kernarg_segment_ptr 1
		.amdhsa_user_sgpr_dispatch_id 0
		.amdhsa_user_sgpr_private_segment_size 0
		.amdhsa_wavefront_size32 1
		.amdhsa_uses_dynamic_stack 0
		.amdhsa_enable_private_segment 0
		.amdhsa_system_sgpr_workgroup_id_x 1
		.amdhsa_system_sgpr_workgroup_id_y 0
		.amdhsa_system_sgpr_workgroup_id_z 0
		.amdhsa_system_sgpr_workgroup_info 0
		.amdhsa_system_vgpr_workitem_id 0
		.amdhsa_next_free_vgpr 1
		.amdhsa_next_free_sgpr 1
		.amdhsa_reserve_vcc 0
		.amdhsa_float_round_mode_32 0
		.amdhsa_float_round_mode_16_64 0
		.amdhsa_float_denorm_mode_32 3
		.amdhsa_float_denorm_mode_16_64 3
		.amdhsa_fp16_overflow 0
		.amdhsa_workgroup_processor_mode 1
		.amdhsa_memory_ordered 1
		.amdhsa_forward_progress 1
		.amdhsa_inst_pref_size 0
		.amdhsa_round_robin_scheduling 0
		.amdhsa_exception_fp_ieee_invalid_op 0
		.amdhsa_exception_fp_denorm_src 0
		.amdhsa_exception_fp_ieee_div_zero 0
		.amdhsa_exception_fp_ieee_overflow 0
		.amdhsa_exception_fp_ieee_underflow 0
		.amdhsa_exception_fp_ieee_inexact 0
		.amdhsa_exception_int_div_zero 0
	.end_amdhsa_kernel
	.section	.text._ZN7rocprim17ROCPRIM_400000_NS6detail17trampoline_kernelINS0_14default_configENS1_25partition_config_selectorILNS1_17partition_subalgoE6EfNS0_10empty_typeEbEEZZNS1_14partition_implILS5_6ELb0ES3_mN6thrust23THRUST_200600_302600_NS6detail15normal_iteratorINSA_10device_ptrIfEEEEPS6_SG_NS0_5tupleIJSF_S6_EEENSH_IJSG_SG_EEES6_PlJNSB_9not_fun_tINSB_10functional5actorINSM_9compositeIJNSM_27transparent_binary_operatorINSA_8equal_toIvEEEENSN_INSM_8argumentILj0EEEEENSM_5valueIfEEEEEEEEEEEE10hipError_tPvRmT3_T4_T5_T6_T7_T9_mT8_P12ihipStream_tbDpT10_ENKUlT_T0_E_clISt17integral_constantIbLb1EES1J_IbLb0EEEEDaS1F_S1G_EUlS1F_E_NS1_11comp_targetILNS1_3genE9ELNS1_11target_archE1100ELNS1_3gpuE3ELNS1_3repE0EEENS1_30default_config_static_selectorELNS0_4arch9wavefront6targetE0EEEvT1_,"axG",@progbits,_ZN7rocprim17ROCPRIM_400000_NS6detail17trampoline_kernelINS0_14default_configENS1_25partition_config_selectorILNS1_17partition_subalgoE6EfNS0_10empty_typeEbEEZZNS1_14partition_implILS5_6ELb0ES3_mN6thrust23THRUST_200600_302600_NS6detail15normal_iteratorINSA_10device_ptrIfEEEEPS6_SG_NS0_5tupleIJSF_S6_EEENSH_IJSG_SG_EEES6_PlJNSB_9not_fun_tINSB_10functional5actorINSM_9compositeIJNSM_27transparent_binary_operatorINSA_8equal_toIvEEEENSN_INSM_8argumentILj0EEEEENSM_5valueIfEEEEEEEEEEEE10hipError_tPvRmT3_T4_T5_T6_T7_T9_mT8_P12ihipStream_tbDpT10_ENKUlT_T0_E_clISt17integral_constantIbLb1EES1J_IbLb0EEEEDaS1F_S1G_EUlS1F_E_NS1_11comp_targetILNS1_3genE9ELNS1_11target_archE1100ELNS1_3gpuE3ELNS1_3repE0EEENS1_30default_config_static_selectorELNS0_4arch9wavefront6targetE0EEEvT1_,comdat
.Lfunc_end69:
	.size	_ZN7rocprim17ROCPRIM_400000_NS6detail17trampoline_kernelINS0_14default_configENS1_25partition_config_selectorILNS1_17partition_subalgoE6EfNS0_10empty_typeEbEEZZNS1_14partition_implILS5_6ELb0ES3_mN6thrust23THRUST_200600_302600_NS6detail15normal_iteratorINSA_10device_ptrIfEEEEPS6_SG_NS0_5tupleIJSF_S6_EEENSH_IJSG_SG_EEES6_PlJNSB_9not_fun_tINSB_10functional5actorINSM_9compositeIJNSM_27transparent_binary_operatorINSA_8equal_toIvEEEENSN_INSM_8argumentILj0EEEEENSM_5valueIfEEEEEEEEEEEE10hipError_tPvRmT3_T4_T5_T6_T7_T9_mT8_P12ihipStream_tbDpT10_ENKUlT_T0_E_clISt17integral_constantIbLb1EES1J_IbLb0EEEEDaS1F_S1G_EUlS1F_E_NS1_11comp_targetILNS1_3genE9ELNS1_11target_archE1100ELNS1_3gpuE3ELNS1_3repE0EEENS1_30default_config_static_selectorELNS0_4arch9wavefront6targetE0EEEvT1_, .Lfunc_end69-_ZN7rocprim17ROCPRIM_400000_NS6detail17trampoline_kernelINS0_14default_configENS1_25partition_config_selectorILNS1_17partition_subalgoE6EfNS0_10empty_typeEbEEZZNS1_14partition_implILS5_6ELb0ES3_mN6thrust23THRUST_200600_302600_NS6detail15normal_iteratorINSA_10device_ptrIfEEEEPS6_SG_NS0_5tupleIJSF_S6_EEENSH_IJSG_SG_EEES6_PlJNSB_9not_fun_tINSB_10functional5actorINSM_9compositeIJNSM_27transparent_binary_operatorINSA_8equal_toIvEEEENSN_INSM_8argumentILj0EEEEENSM_5valueIfEEEEEEEEEEEE10hipError_tPvRmT3_T4_T5_T6_T7_T9_mT8_P12ihipStream_tbDpT10_ENKUlT_T0_E_clISt17integral_constantIbLb1EES1J_IbLb0EEEEDaS1F_S1G_EUlS1F_E_NS1_11comp_targetILNS1_3genE9ELNS1_11target_archE1100ELNS1_3gpuE3ELNS1_3repE0EEENS1_30default_config_static_selectorELNS0_4arch9wavefront6targetE0EEEvT1_
                                        ; -- End function
	.set _ZN7rocprim17ROCPRIM_400000_NS6detail17trampoline_kernelINS0_14default_configENS1_25partition_config_selectorILNS1_17partition_subalgoE6EfNS0_10empty_typeEbEEZZNS1_14partition_implILS5_6ELb0ES3_mN6thrust23THRUST_200600_302600_NS6detail15normal_iteratorINSA_10device_ptrIfEEEEPS6_SG_NS0_5tupleIJSF_S6_EEENSH_IJSG_SG_EEES6_PlJNSB_9not_fun_tINSB_10functional5actorINSM_9compositeIJNSM_27transparent_binary_operatorINSA_8equal_toIvEEEENSN_INSM_8argumentILj0EEEEENSM_5valueIfEEEEEEEEEEEE10hipError_tPvRmT3_T4_T5_T6_T7_T9_mT8_P12ihipStream_tbDpT10_ENKUlT_T0_E_clISt17integral_constantIbLb1EES1J_IbLb0EEEEDaS1F_S1G_EUlS1F_E_NS1_11comp_targetILNS1_3genE9ELNS1_11target_archE1100ELNS1_3gpuE3ELNS1_3repE0EEENS1_30default_config_static_selectorELNS0_4arch9wavefront6targetE0EEEvT1_.num_vgpr, 0
	.set _ZN7rocprim17ROCPRIM_400000_NS6detail17trampoline_kernelINS0_14default_configENS1_25partition_config_selectorILNS1_17partition_subalgoE6EfNS0_10empty_typeEbEEZZNS1_14partition_implILS5_6ELb0ES3_mN6thrust23THRUST_200600_302600_NS6detail15normal_iteratorINSA_10device_ptrIfEEEEPS6_SG_NS0_5tupleIJSF_S6_EEENSH_IJSG_SG_EEES6_PlJNSB_9not_fun_tINSB_10functional5actorINSM_9compositeIJNSM_27transparent_binary_operatorINSA_8equal_toIvEEEENSN_INSM_8argumentILj0EEEEENSM_5valueIfEEEEEEEEEEEE10hipError_tPvRmT3_T4_T5_T6_T7_T9_mT8_P12ihipStream_tbDpT10_ENKUlT_T0_E_clISt17integral_constantIbLb1EES1J_IbLb0EEEEDaS1F_S1G_EUlS1F_E_NS1_11comp_targetILNS1_3genE9ELNS1_11target_archE1100ELNS1_3gpuE3ELNS1_3repE0EEENS1_30default_config_static_selectorELNS0_4arch9wavefront6targetE0EEEvT1_.num_agpr, 0
	.set _ZN7rocprim17ROCPRIM_400000_NS6detail17trampoline_kernelINS0_14default_configENS1_25partition_config_selectorILNS1_17partition_subalgoE6EfNS0_10empty_typeEbEEZZNS1_14partition_implILS5_6ELb0ES3_mN6thrust23THRUST_200600_302600_NS6detail15normal_iteratorINSA_10device_ptrIfEEEEPS6_SG_NS0_5tupleIJSF_S6_EEENSH_IJSG_SG_EEES6_PlJNSB_9not_fun_tINSB_10functional5actorINSM_9compositeIJNSM_27transparent_binary_operatorINSA_8equal_toIvEEEENSN_INSM_8argumentILj0EEEEENSM_5valueIfEEEEEEEEEEEE10hipError_tPvRmT3_T4_T5_T6_T7_T9_mT8_P12ihipStream_tbDpT10_ENKUlT_T0_E_clISt17integral_constantIbLb1EES1J_IbLb0EEEEDaS1F_S1G_EUlS1F_E_NS1_11comp_targetILNS1_3genE9ELNS1_11target_archE1100ELNS1_3gpuE3ELNS1_3repE0EEENS1_30default_config_static_selectorELNS0_4arch9wavefront6targetE0EEEvT1_.numbered_sgpr, 0
	.set _ZN7rocprim17ROCPRIM_400000_NS6detail17trampoline_kernelINS0_14default_configENS1_25partition_config_selectorILNS1_17partition_subalgoE6EfNS0_10empty_typeEbEEZZNS1_14partition_implILS5_6ELb0ES3_mN6thrust23THRUST_200600_302600_NS6detail15normal_iteratorINSA_10device_ptrIfEEEEPS6_SG_NS0_5tupleIJSF_S6_EEENSH_IJSG_SG_EEES6_PlJNSB_9not_fun_tINSB_10functional5actorINSM_9compositeIJNSM_27transparent_binary_operatorINSA_8equal_toIvEEEENSN_INSM_8argumentILj0EEEEENSM_5valueIfEEEEEEEEEEEE10hipError_tPvRmT3_T4_T5_T6_T7_T9_mT8_P12ihipStream_tbDpT10_ENKUlT_T0_E_clISt17integral_constantIbLb1EES1J_IbLb0EEEEDaS1F_S1G_EUlS1F_E_NS1_11comp_targetILNS1_3genE9ELNS1_11target_archE1100ELNS1_3gpuE3ELNS1_3repE0EEENS1_30default_config_static_selectorELNS0_4arch9wavefront6targetE0EEEvT1_.num_named_barrier, 0
	.set _ZN7rocprim17ROCPRIM_400000_NS6detail17trampoline_kernelINS0_14default_configENS1_25partition_config_selectorILNS1_17partition_subalgoE6EfNS0_10empty_typeEbEEZZNS1_14partition_implILS5_6ELb0ES3_mN6thrust23THRUST_200600_302600_NS6detail15normal_iteratorINSA_10device_ptrIfEEEEPS6_SG_NS0_5tupleIJSF_S6_EEENSH_IJSG_SG_EEES6_PlJNSB_9not_fun_tINSB_10functional5actorINSM_9compositeIJNSM_27transparent_binary_operatorINSA_8equal_toIvEEEENSN_INSM_8argumentILj0EEEEENSM_5valueIfEEEEEEEEEEEE10hipError_tPvRmT3_T4_T5_T6_T7_T9_mT8_P12ihipStream_tbDpT10_ENKUlT_T0_E_clISt17integral_constantIbLb1EES1J_IbLb0EEEEDaS1F_S1G_EUlS1F_E_NS1_11comp_targetILNS1_3genE9ELNS1_11target_archE1100ELNS1_3gpuE3ELNS1_3repE0EEENS1_30default_config_static_selectorELNS0_4arch9wavefront6targetE0EEEvT1_.private_seg_size, 0
	.set _ZN7rocprim17ROCPRIM_400000_NS6detail17trampoline_kernelINS0_14default_configENS1_25partition_config_selectorILNS1_17partition_subalgoE6EfNS0_10empty_typeEbEEZZNS1_14partition_implILS5_6ELb0ES3_mN6thrust23THRUST_200600_302600_NS6detail15normal_iteratorINSA_10device_ptrIfEEEEPS6_SG_NS0_5tupleIJSF_S6_EEENSH_IJSG_SG_EEES6_PlJNSB_9not_fun_tINSB_10functional5actorINSM_9compositeIJNSM_27transparent_binary_operatorINSA_8equal_toIvEEEENSN_INSM_8argumentILj0EEEEENSM_5valueIfEEEEEEEEEEEE10hipError_tPvRmT3_T4_T5_T6_T7_T9_mT8_P12ihipStream_tbDpT10_ENKUlT_T0_E_clISt17integral_constantIbLb1EES1J_IbLb0EEEEDaS1F_S1G_EUlS1F_E_NS1_11comp_targetILNS1_3genE9ELNS1_11target_archE1100ELNS1_3gpuE3ELNS1_3repE0EEENS1_30default_config_static_selectorELNS0_4arch9wavefront6targetE0EEEvT1_.uses_vcc, 0
	.set _ZN7rocprim17ROCPRIM_400000_NS6detail17trampoline_kernelINS0_14default_configENS1_25partition_config_selectorILNS1_17partition_subalgoE6EfNS0_10empty_typeEbEEZZNS1_14partition_implILS5_6ELb0ES3_mN6thrust23THRUST_200600_302600_NS6detail15normal_iteratorINSA_10device_ptrIfEEEEPS6_SG_NS0_5tupleIJSF_S6_EEENSH_IJSG_SG_EEES6_PlJNSB_9not_fun_tINSB_10functional5actorINSM_9compositeIJNSM_27transparent_binary_operatorINSA_8equal_toIvEEEENSN_INSM_8argumentILj0EEEEENSM_5valueIfEEEEEEEEEEEE10hipError_tPvRmT3_T4_T5_T6_T7_T9_mT8_P12ihipStream_tbDpT10_ENKUlT_T0_E_clISt17integral_constantIbLb1EES1J_IbLb0EEEEDaS1F_S1G_EUlS1F_E_NS1_11comp_targetILNS1_3genE9ELNS1_11target_archE1100ELNS1_3gpuE3ELNS1_3repE0EEENS1_30default_config_static_selectorELNS0_4arch9wavefront6targetE0EEEvT1_.uses_flat_scratch, 0
	.set _ZN7rocprim17ROCPRIM_400000_NS6detail17trampoline_kernelINS0_14default_configENS1_25partition_config_selectorILNS1_17partition_subalgoE6EfNS0_10empty_typeEbEEZZNS1_14partition_implILS5_6ELb0ES3_mN6thrust23THRUST_200600_302600_NS6detail15normal_iteratorINSA_10device_ptrIfEEEEPS6_SG_NS0_5tupleIJSF_S6_EEENSH_IJSG_SG_EEES6_PlJNSB_9not_fun_tINSB_10functional5actorINSM_9compositeIJNSM_27transparent_binary_operatorINSA_8equal_toIvEEEENSN_INSM_8argumentILj0EEEEENSM_5valueIfEEEEEEEEEEEE10hipError_tPvRmT3_T4_T5_T6_T7_T9_mT8_P12ihipStream_tbDpT10_ENKUlT_T0_E_clISt17integral_constantIbLb1EES1J_IbLb0EEEEDaS1F_S1G_EUlS1F_E_NS1_11comp_targetILNS1_3genE9ELNS1_11target_archE1100ELNS1_3gpuE3ELNS1_3repE0EEENS1_30default_config_static_selectorELNS0_4arch9wavefront6targetE0EEEvT1_.has_dyn_sized_stack, 0
	.set _ZN7rocprim17ROCPRIM_400000_NS6detail17trampoline_kernelINS0_14default_configENS1_25partition_config_selectorILNS1_17partition_subalgoE6EfNS0_10empty_typeEbEEZZNS1_14partition_implILS5_6ELb0ES3_mN6thrust23THRUST_200600_302600_NS6detail15normal_iteratorINSA_10device_ptrIfEEEEPS6_SG_NS0_5tupleIJSF_S6_EEENSH_IJSG_SG_EEES6_PlJNSB_9not_fun_tINSB_10functional5actorINSM_9compositeIJNSM_27transparent_binary_operatorINSA_8equal_toIvEEEENSN_INSM_8argumentILj0EEEEENSM_5valueIfEEEEEEEEEEEE10hipError_tPvRmT3_T4_T5_T6_T7_T9_mT8_P12ihipStream_tbDpT10_ENKUlT_T0_E_clISt17integral_constantIbLb1EES1J_IbLb0EEEEDaS1F_S1G_EUlS1F_E_NS1_11comp_targetILNS1_3genE9ELNS1_11target_archE1100ELNS1_3gpuE3ELNS1_3repE0EEENS1_30default_config_static_selectorELNS0_4arch9wavefront6targetE0EEEvT1_.has_recursion, 0
	.set _ZN7rocprim17ROCPRIM_400000_NS6detail17trampoline_kernelINS0_14default_configENS1_25partition_config_selectorILNS1_17partition_subalgoE6EfNS0_10empty_typeEbEEZZNS1_14partition_implILS5_6ELb0ES3_mN6thrust23THRUST_200600_302600_NS6detail15normal_iteratorINSA_10device_ptrIfEEEEPS6_SG_NS0_5tupleIJSF_S6_EEENSH_IJSG_SG_EEES6_PlJNSB_9not_fun_tINSB_10functional5actorINSM_9compositeIJNSM_27transparent_binary_operatorINSA_8equal_toIvEEEENSN_INSM_8argumentILj0EEEEENSM_5valueIfEEEEEEEEEEEE10hipError_tPvRmT3_T4_T5_T6_T7_T9_mT8_P12ihipStream_tbDpT10_ENKUlT_T0_E_clISt17integral_constantIbLb1EES1J_IbLb0EEEEDaS1F_S1G_EUlS1F_E_NS1_11comp_targetILNS1_3genE9ELNS1_11target_archE1100ELNS1_3gpuE3ELNS1_3repE0EEENS1_30default_config_static_selectorELNS0_4arch9wavefront6targetE0EEEvT1_.has_indirect_call, 0
	.section	.AMDGPU.csdata,"",@progbits
; Kernel info:
; codeLenInByte = 0
; TotalNumSgprs: 0
; NumVgprs: 0
; ScratchSize: 0
; MemoryBound: 0
; FloatMode: 240
; IeeeMode: 1
; LDSByteSize: 0 bytes/workgroup (compile time only)
; SGPRBlocks: 0
; VGPRBlocks: 0
; NumSGPRsForWavesPerEU: 1
; NumVGPRsForWavesPerEU: 1
; Occupancy: 16
; WaveLimiterHint : 0
; COMPUTE_PGM_RSRC2:SCRATCH_EN: 0
; COMPUTE_PGM_RSRC2:USER_SGPR: 2
; COMPUTE_PGM_RSRC2:TRAP_HANDLER: 0
; COMPUTE_PGM_RSRC2:TGID_X_EN: 1
; COMPUTE_PGM_RSRC2:TGID_Y_EN: 0
; COMPUTE_PGM_RSRC2:TGID_Z_EN: 0
; COMPUTE_PGM_RSRC2:TIDIG_COMP_CNT: 0
	.section	.text._ZN7rocprim17ROCPRIM_400000_NS6detail17trampoline_kernelINS0_14default_configENS1_25partition_config_selectorILNS1_17partition_subalgoE6EfNS0_10empty_typeEbEEZZNS1_14partition_implILS5_6ELb0ES3_mN6thrust23THRUST_200600_302600_NS6detail15normal_iteratorINSA_10device_ptrIfEEEEPS6_SG_NS0_5tupleIJSF_S6_EEENSH_IJSG_SG_EEES6_PlJNSB_9not_fun_tINSB_10functional5actorINSM_9compositeIJNSM_27transparent_binary_operatorINSA_8equal_toIvEEEENSN_INSM_8argumentILj0EEEEENSM_5valueIfEEEEEEEEEEEE10hipError_tPvRmT3_T4_T5_T6_T7_T9_mT8_P12ihipStream_tbDpT10_ENKUlT_T0_E_clISt17integral_constantIbLb1EES1J_IbLb0EEEEDaS1F_S1G_EUlS1F_E_NS1_11comp_targetILNS1_3genE8ELNS1_11target_archE1030ELNS1_3gpuE2ELNS1_3repE0EEENS1_30default_config_static_selectorELNS0_4arch9wavefront6targetE0EEEvT1_,"axG",@progbits,_ZN7rocprim17ROCPRIM_400000_NS6detail17trampoline_kernelINS0_14default_configENS1_25partition_config_selectorILNS1_17partition_subalgoE6EfNS0_10empty_typeEbEEZZNS1_14partition_implILS5_6ELb0ES3_mN6thrust23THRUST_200600_302600_NS6detail15normal_iteratorINSA_10device_ptrIfEEEEPS6_SG_NS0_5tupleIJSF_S6_EEENSH_IJSG_SG_EEES6_PlJNSB_9not_fun_tINSB_10functional5actorINSM_9compositeIJNSM_27transparent_binary_operatorINSA_8equal_toIvEEEENSN_INSM_8argumentILj0EEEEENSM_5valueIfEEEEEEEEEEEE10hipError_tPvRmT3_T4_T5_T6_T7_T9_mT8_P12ihipStream_tbDpT10_ENKUlT_T0_E_clISt17integral_constantIbLb1EES1J_IbLb0EEEEDaS1F_S1G_EUlS1F_E_NS1_11comp_targetILNS1_3genE8ELNS1_11target_archE1030ELNS1_3gpuE2ELNS1_3repE0EEENS1_30default_config_static_selectorELNS0_4arch9wavefront6targetE0EEEvT1_,comdat
	.protected	_ZN7rocprim17ROCPRIM_400000_NS6detail17trampoline_kernelINS0_14default_configENS1_25partition_config_selectorILNS1_17partition_subalgoE6EfNS0_10empty_typeEbEEZZNS1_14partition_implILS5_6ELb0ES3_mN6thrust23THRUST_200600_302600_NS6detail15normal_iteratorINSA_10device_ptrIfEEEEPS6_SG_NS0_5tupleIJSF_S6_EEENSH_IJSG_SG_EEES6_PlJNSB_9not_fun_tINSB_10functional5actorINSM_9compositeIJNSM_27transparent_binary_operatorINSA_8equal_toIvEEEENSN_INSM_8argumentILj0EEEEENSM_5valueIfEEEEEEEEEEEE10hipError_tPvRmT3_T4_T5_T6_T7_T9_mT8_P12ihipStream_tbDpT10_ENKUlT_T0_E_clISt17integral_constantIbLb1EES1J_IbLb0EEEEDaS1F_S1G_EUlS1F_E_NS1_11comp_targetILNS1_3genE8ELNS1_11target_archE1030ELNS1_3gpuE2ELNS1_3repE0EEENS1_30default_config_static_selectorELNS0_4arch9wavefront6targetE0EEEvT1_ ; -- Begin function _ZN7rocprim17ROCPRIM_400000_NS6detail17trampoline_kernelINS0_14default_configENS1_25partition_config_selectorILNS1_17partition_subalgoE6EfNS0_10empty_typeEbEEZZNS1_14partition_implILS5_6ELb0ES3_mN6thrust23THRUST_200600_302600_NS6detail15normal_iteratorINSA_10device_ptrIfEEEEPS6_SG_NS0_5tupleIJSF_S6_EEENSH_IJSG_SG_EEES6_PlJNSB_9not_fun_tINSB_10functional5actorINSM_9compositeIJNSM_27transparent_binary_operatorINSA_8equal_toIvEEEENSN_INSM_8argumentILj0EEEEENSM_5valueIfEEEEEEEEEEEE10hipError_tPvRmT3_T4_T5_T6_T7_T9_mT8_P12ihipStream_tbDpT10_ENKUlT_T0_E_clISt17integral_constantIbLb1EES1J_IbLb0EEEEDaS1F_S1G_EUlS1F_E_NS1_11comp_targetILNS1_3genE8ELNS1_11target_archE1030ELNS1_3gpuE2ELNS1_3repE0EEENS1_30default_config_static_selectorELNS0_4arch9wavefront6targetE0EEEvT1_
	.globl	_ZN7rocprim17ROCPRIM_400000_NS6detail17trampoline_kernelINS0_14default_configENS1_25partition_config_selectorILNS1_17partition_subalgoE6EfNS0_10empty_typeEbEEZZNS1_14partition_implILS5_6ELb0ES3_mN6thrust23THRUST_200600_302600_NS6detail15normal_iteratorINSA_10device_ptrIfEEEEPS6_SG_NS0_5tupleIJSF_S6_EEENSH_IJSG_SG_EEES6_PlJNSB_9not_fun_tINSB_10functional5actorINSM_9compositeIJNSM_27transparent_binary_operatorINSA_8equal_toIvEEEENSN_INSM_8argumentILj0EEEEENSM_5valueIfEEEEEEEEEEEE10hipError_tPvRmT3_T4_T5_T6_T7_T9_mT8_P12ihipStream_tbDpT10_ENKUlT_T0_E_clISt17integral_constantIbLb1EES1J_IbLb0EEEEDaS1F_S1G_EUlS1F_E_NS1_11comp_targetILNS1_3genE8ELNS1_11target_archE1030ELNS1_3gpuE2ELNS1_3repE0EEENS1_30default_config_static_selectorELNS0_4arch9wavefront6targetE0EEEvT1_
	.p2align	8
	.type	_ZN7rocprim17ROCPRIM_400000_NS6detail17trampoline_kernelINS0_14default_configENS1_25partition_config_selectorILNS1_17partition_subalgoE6EfNS0_10empty_typeEbEEZZNS1_14partition_implILS5_6ELb0ES3_mN6thrust23THRUST_200600_302600_NS6detail15normal_iteratorINSA_10device_ptrIfEEEEPS6_SG_NS0_5tupleIJSF_S6_EEENSH_IJSG_SG_EEES6_PlJNSB_9not_fun_tINSB_10functional5actorINSM_9compositeIJNSM_27transparent_binary_operatorINSA_8equal_toIvEEEENSN_INSM_8argumentILj0EEEEENSM_5valueIfEEEEEEEEEEEE10hipError_tPvRmT3_T4_T5_T6_T7_T9_mT8_P12ihipStream_tbDpT10_ENKUlT_T0_E_clISt17integral_constantIbLb1EES1J_IbLb0EEEEDaS1F_S1G_EUlS1F_E_NS1_11comp_targetILNS1_3genE8ELNS1_11target_archE1030ELNS1_3gpuE2ELNS1_3repE0EEENS1_30default_config_static_selectorELNS0_4arch9wavefront6targetE0EEEvT1_,@function
_ZN7rocprim17ROCPRIM_400000_NS6detail17trampoline_kernelINS0_14default_configENS1_25partition_config_selectorILNS1_17partition_subalgoE6EfNS0_10empty_typeEbEEZZNS1_14partition_implILS5_6ELb0ES3_mN6thrust23THRUST_200600_302600_NS6detail15normal_iteratorINSA_10device_ptrIfEEEEPS6_SG_NS0_5tupleIJSF_S6_EEENSH_IJSG_SG_EEES6_PlJNSB_9not_fun_tINSB_10functional5actorINSM_9compositeIJNSM_27transparent_binary_operatorINSA_8equal_toIvEEEENSN_INSM_8argumentILj0EEEEENSM_5valueIfEEEEEEEEEEEE10hipError_tPvRmT3_T4_T5_T6_T7_T9_mT8_P12ihipStream_tbDpT10_ENKUlT_T0_E_clISt17integral_constantIbLb1EES1J_IbLb0EEEEDaS1F_S1G_EUlS1F_E_NS1_11comp_targetILNS1_3genE8ELNS1_11target_archE1030ELNS1_3gpuE2ELNS1_3repE0EEENS1_30default_config_static_selectorELNS0_4arch9wavefront6targetE0EEEvT1_: ; @_ZN7rocprim17ROCPRIM_400000_NS6detail17trampoline_kernelINS0_14default_configENS1_25partition_config_selectorILNS1_17partition_subalgoE6EfNS0_10empty_typeEbEEZZNS1_14partition_implILS5_6ELb0ES3_mN6thrust23THRUST_200600_302600_NS6detail15normal_iteratorINSA_10device_ptrIfEEEEPS6_SG_NS0_5tupleIJSF_S6_EEENSH_IJSG_SG_EEES6_PlJNSB_9not_fun_tINSB_10functional5actorINSM_9compositeIJNSM_27transparent_binary_operatorINSA_8equal_toIvEEEENSN_INSM_8argumentILj0EEEEENSM_5valueIfEEEEEEEEEEEE10hipError_tPvRmT3_T4_T5_T6_T7_T9_mT8_P12ihipStream_tbDpT10_ENKUlT_T0_E_clISt17integral_constantIbLb1EES1J_IbLb0EEEEDaS1F_S1G_EUlS1F_E_NS1_11comp_targetILNS1_3genE8ELNS1_11target_archE1030ELNS1_3gpuE2ELNS1_3repE0EEENS1_30default_config_static_selectorELNS0_4arch9wavefront6targetE0EEEvT1_
; %bb.0:
	.section	.rodata,"a",@progbits
	.p2align	6, 0x0
	.amdhsa_kernel _ZN7rocprim17ROCPRIM_400000_NS6detail17trampoline_kernelINS0_14default_configENS1_25partition_config_selectorILNS1_17partition_subalgoE6EfNS0_10empty_typeEbEEZZNS1_14partition_implILS5_6ELb0ES3_mN6thrust23THRUST_200600_302600_NS6detail15normal_iteratorINSA_10device_ptrIfEEEEPS6_SG_NS0_5tupleIJSF_S6_EEENSH_IJSG_SG_EEES6_PlJNSB_9not_fun_tINSB_10functional5actorINSM_9compositeIJNSM_27transparent_binary_operatorINSA_8equal_toIvEEEENSN_INSM_8argumentILj0EEEEENSM_5valueIfEEEEEEEEEEEE10hipError_tPvRmT3_T4_T5_T6_T7_T9_mT8_P12ihipStream_tbDpT10_ENKUlT_T0_E_clISt17integral_constantIbLb1EES1J_IbLb0EEEEDaS1F_S1G_EUlS1F_E_NS1_11comp_targetILNS1_3genE8ELNS1_11target_archE1030ELNS1_3gpuE2ELNS1_3repE0EEENS1_30default_config_static_selectorELNS0_4arch9wavefront6targetE0EEEvT1_
		.amdhsa_group_segment_fixed_size 0
		.amdhsa_private_segment_fixed_size 0
		.amdhsa_kernarg_size 120
		.amdhsa_user_sgpr_count 2
		.amdhsa_user_sgpr_dispatch_ptr 0
		.amdhsa_user_sgpr_queue_ptr 0
		.amdhsa_user_sgpr_kernarg_segment_ptr 1
		.amdhsa_user_sgpr_dispatch_id 0
		.amdhsa_user_sgpr_private_segment_size 0
		.amdhsa_wavefront_size32 1
		.amdhsa_uses_dynamic_stack 0
		.amdhsa_enable_private_segment 0
		.amdhsa_system_sgpr_workgroup_id_x 1
		.amdhsa_system_sgpr_workgroup_id_y 0
		.amdhsa_system_sgpr_workgroup_id_z 0
		.amdhsa_system_sgpr_workgroup_info 0
		.amdhsa_system_vgpr_workitem_id 0
		.amdhsa_next_free_vgpr 1
		.amdhsa_next_free_sgpr 1
		.amdhsa_reserve_vcc 0
		.amdhsa_float_round_mode_32 0
		.amdhsa_float_round_mode_16_64 0
		.amdhsa_float_denorm_mode_32 3
		.amdhsa_float_denorm_mode_16_64 3
		.amdhsa_fp16_overflow 0
		.amdhsa_workgroup_processor_mode 1
		.amdhsa_memory_ordered 1
		.amdhsa_forward_progress 1
		.amdhsa_inst_pref_size 0
		.amdhsa_round_robin_scheduling 0
		.amdhsa_exception_fp_ieee_invalid_op 0
		.amdhsa_exception_fp_denorm_src 0
		.amdhsa_exception_fp_ieee_div_zero 0
		.amdhsa_exception_fp_ieee_overflow 0
		.amdhsa_exception_fp_ieee_underflow 0
		.amdhsa_exception_fp_ieee_inexact 0
		.amdhsa_exception_int_div_zero 0
	.end_amdhsa_kernel
	.section	.text._ZN7rocprim17ROCPRIM_400000_NS6detail17trampoline_kernelINS0_14default_configENS1_25partition_config_selectorILNS1_17partition_subalgoE6EfNS0_10empty_typeEbEEZZNS1_14partition_implILS5_6ELb0ES3_mN6thrust23THRUST_200600_302600_NS6detail15normal_iteratorINSA_10device_ptrIfEEEEPS6_SG_NS0_5tupleIJSF_S6_EEENSH_IJSG_SG_EEES6_PlJNSB_9not_fun_tINSB_10functional5actorINSM_9compositeIJNSM_27transparent_binary_operatorINSA_8equal_toIvEEEENSN_INSM_8argumentILj0EEEEENSM_5valueIfEEEEEEEEEEEE10hipError_tPvRmT3_T4_T5_T6_T7_T9_mT8_P12ihipStream_tbDpT10_ENKUlT_T0_E_clISt17integral_constantIbLb1EES1J_IbLb0EEEEDaS1F_S1G_EUlS1F_E_NS1_11comp_targetILNS1_3genE8ELNS1_11target_archE1030ELNS1_3gpuE2ELNS1_3repE0EEENS1_30default_config_static_selectorELNS0_4arch9wavefront6targetE0EEEvT1_,"axG",@progbits,_ZN7rocprim17ROCPRIM_400000_NS6detail17trampoline_kernelINS0_14default_configENS1_25partition_config_selectorILNS1_17partition_subalgoE6EfNS0_10empty_typeEbEEZZNS1_14partition_implILS5_6ELb0ES3_mN6thrust23THRUST_200600_302600_NS6detail15normal_iteratorINSA_10device_ptrIfEEEEPS6_SG_NS0_5tupleIJSF_S6_EEENSH_IJSG_SG_EEES6_PlJNSB_9not_fun_tINSB_10functional5actorINSM_9compositeIJNSM_27transparent_binary_operatorINSA_8equal_toIvEEEENSN_INSM_8argumentILj0EEEEENSM_5valueIfEEEEEEEEEEEE10hipError_tPvRmT3_T4_T5_T6_T7_T9_mT8_P12ihipStream_tbDpT10_ENKUlT_T0_E_clISt17integral_constantIbLb1EES1J_IbLb0EEEEDaS1F_S1G_EUlS1F_E_NS1_11comp_targetILNS1_3genE8ELNS1_11target_archE1030ELNS1_3gpuE2ELNS1_3repE0EEENS1_30default_config_static_selectorELNS0_4arch9wavefront6targetE0EEEvT1_,comdat
.Lfunc_end70:
	.size	_ZN7rocprim17ROCPRIM_400000_NS6detail17trampoline_kernelINS0_14default_configENS1_25partition_config_selectorILNS1_17partition_subalgoE6EfNS0_10empty_typeEbEEZZNS1_14partition_implILS5_6ELb0ES3_mN6thrust23THRUST_200600_302600_NS6detail15normal_iteratorINSA_10device_ptrIfEEEEPS6_SG_NS0_5tupleIJSF_S6_EEENSH_IJSG_SG_EEES6_PlJNSB_9not_fun_tINSB_10functional5actorINSM_9compositeIJNSM_27transparent_binary_operatorINSA_8equal_toIvEEEENSN_INSM_8argumentILj0EEEEENSM_5valueIfEEEEEEEEEEEE10hipError_tPvRmT3_T4_T5_T6_T7_T9_mT8_P12ihipStream_tbDpT10_ENKUlT_T0_E_clISt17integral_constantIbLb1EES1J_IbLb0EEEEDaS1F_S1G_EUlS1F_E_NS1_11comp_targetILNS1_3genE8ELNS1_11target_archE1030ELNS1_3gpuE2ELNS1_3repE0EEENS1_30default_config_static_selectorELNS0_4arch9wavefront6targetE0EEEvT1_, .Lfunc_end70-_ZN7rocprim17ROCPRIM_400000_NS6detail17trampoline_kernelINS0_14default_configENS1_25partition_config_selectorILNS1_17partition_subalgoE6EfNS0_10empty_typeEbEEZZNS1_14partition_implILS5_6ELb0ES3_mN6thrust23THRUST_200600_302600_NS6detail15normal_iteratorINSA_10device_ptrIfEEEEPS6_SG_NS0_5tupleIJSF_S6_EEENSH_IJSG_SG_EEES6_PlJNSB_9not_fun_tINSB_10functional5actorINSM_9compositeIJNSM_27transparent_binary_operatorINSA_8equal_toIvEEEENSN_INSM_8argumentILj0EEEEENSM_5valueIfEEEEEEEEEEEE10hipError_tPvRmT3_T4_T5_T6_T7_T9_mT8_P12ihipStream_tbDpT10_ENKUlT_T0_E_clISt17integral_constantIbLb1EES1J_IbLb0EEEEDaS1F_S1G_EUlS1F_E_NS1_11comp_targetILNS1_3genE8ELNS1_11target_archE1030ELNS1_3gpuE2ELNS1_3repE0EEENS1_30default_config_static_selectorELNS0_4arch9wavefront6targetE0EEEvT1_
                                        ; -- End function
	.set _ZN7rocprim17ROCPRIM_400000_NS6detail17trampoline_kernelINS0_14default_configENS1_25partition_config_selectorILNS1_17partition_subalgoE6EfNS0_10empty_typeEbEEZZNS1_14partition_implILS5_6ELb0ES3_mN6thrust23THRUST_200600_302600_NS6detail15normal_iteratorINSA_10device_ptrIfEEEEPS6_SG_NS0_5tupleIJSF_S6_EEENSH_IJSG_SG_EEES6_PlJNSB_9not_fun_tINSB_10functional5actorINSM_9compositeIJNSM_27transparent_binary_operatorINSA_8equal_toIvEEEENSN_INSM_8argumentILj0EEEEENSM_5valueIfEEEEEEEEEEEE10hipError_tPvRmT3_T4_T5_T6_T7_T9_mT8_P12ihipStream_tbDpT10_ENKUlT_T0_E_clISt17integral_constantIbLb1EES1J_IbLb0EEEEDaS1F_S1G_EUlS1F_E_NS1_11comp_targetILNS1_3genE8ELNS1_11target_archE1030ELNS1_3gpuE2ELNS1_3repE0EEENS1_30default_config_static_selectorELNS0_4arch9wavefront6targetE0EEEvT1_.num_vgpr, 0
	.set _ZN7rocprim17ROCPRIM_400000_NS6detail17trampoline_kernelINS0_14default_configENS1_25partition_config_selectorILNS1_17partition_subalgoE6EfNS0_10empty_typeEbEEZZNS1_14partition_implILS5_6ELb0ES3_mN6thrust23THRUST_200600_302600_NS6detail15normal_iteratorINSA_10device_ptrIfEEEEPS6_SG_NS0_5tupleIJSF_S6_EEENSH_IJSG_SG_EEES6_PlJNSB_9not_fun_tINSB_10functional5actorINSM_9compositeIJNSM_27transparent_binary_operatorINSA_8equal_toIvEEEENSN_INSM_8argumentILj0EEEEENSM_5valueIfEEEEEEEEEEEE10hipError_tPvRmT3_T4_T5_T6_T7_T9_mT8_P12ihipStream_tbDpT10_ENKUlT_T0_E_clISt17integral_constantIbLb1EES1J_IbLb0EEEEDaS1F_S1G_EUlS1F_E_NS1_11comp_targetILNS1_3genE8ELNS1_11target_archE1030ELNS1_3gpuE2ELNS1_3repE0EEENS1_30default_config_static_selectorELNS0_4arch9wavefront6targetE0EEEvT1_.num_agpr, 0
	.set _ZN7rocprim17ROCPRIM_400000_NS6detail17trampoline_kernelINS0_14default_configENS1_25partition_config_selectorILNS1_17partition_subalgoE6EfNS0_10empty_typeEbEEZZNS1_14partition_implILS5_6ELb0ES3_mN6thrust23THRUST_200600_302600_NS6detail15normal_iteratorINSA_10device_ptrIfEEEEPS6_SG_NS0_5tupleIJSF_S6_EEENSH_IJSG_SG_EEES6_PlJNSB_9not_fun_tINSB_10functional5actorINSM_9compositeIJNSM_27transparent_binary_operatorINSA_8equal_toIvEEEENSN_INSM_8argumentILj0EEEEENSM_5valueIfEEEEEEEEEEEE10hipError_tPvRmT3_T4_T5_T6_T7_T9_mT8_P12ihipStream_tbDpT10_ENKUlT_T0_E_clISt17integral_constantIbLb1EES1J_IbLb0EEEEDaS1F_S1G_EUlS1F_E_NS1_11comp_targetILNS1_3genE8ELNS1_11target_archE1030ELNS1_3gpuE2ELNS1_3repE0EEENS1_30default_config_static_selectorELNS0_4arch9wavefront6targetE0EEEvT1_.numbered_sgpr, 0
	.set _ZN7rocprim17ROCPRIM_400000_NS6detail17trampoline_kernelINS0_14default_configENS1_25partition_config_selectorILNS1_17partition_subalgoE6EfNS0_10empty_typeEbEEZZNS1_14partition_implILS5_6ELb0ES3_mN6thrust23THRUST_200600_302600_NS6detail15normal_iteratorINSA_10device_ptrIfEEEEPS6_SG_NS0_5tupleIJSF_S6_EEENSH_IJSG_SG_EEES6_PlJNSB_9not_fun_tINSB_10functional5actorINSM_9compositeIJNSM_27transparent_binary_operatorINSA_8equal_toIvEEEENSN_INSM_8argumentILj0EEEEENSM_5valueIfEEEEEEEEEEEE10hipError_tPvRmT3_T4_T5_T6_T7_T9_mT8_P12ihipStream_tbDpT10_ENKUlT_T0_E_clISt17integral_constantIbLb1EES1J_IbLb0EEEEDaS1F_S1G_EUlS1F_E_NS1_11comp_targetILNS1_3genE8ELNS1_11target_archE1030ELNS1_3gpuE2ELNS1_3repE0EEENS1_30default_config_static_selectorELNS0_4arch9wavefront6targetE0EEEvT1_.num_named_barrier, 0
	.set _ZN7rocprim17ROCPRIM_400000_NS6detail17trampoline_kernelINS0_14default_configENS1_25partition_config_selectorILNS1_17partition_subalgoE6EfNS0_10empty_typeEbEEZZNS1_14partition_implILS5_6ELb0ES3_mN6thrust23THRUST_200600_302600_NS6detail15normal_iteratorINSA_10device_ptrIfEEEEPS6_SG_NS0_5tupleIJSF_S6_EEENSH_IJSG_SG_EEES6_PlJNSB_9not_fun_tINSB_10functional5actorINSM_9compositeIJNSM_27transparent_binary_operatorINSA_8equal_toIvEEEENSN_INSM_8argumentILj0EEEEENSM_5valueIfEEEEEEEEEEEE10hipError_tPvRmT3_T4_T5_T6_T7_T9_mT8_P12ihipStream_tbDpT10_ENKUlT_T0_E_clISt17integral_constantIbLb1EES1J_IbLb0EEEEDaS1F_S1G_EUlS1F_E_NS1_11comp_targetILNS1_3genE8ELNS1_11target_archE1030ELNS1_3gpuE2ELNS1_3repE0EEENS1_30default_config_static_selectorELNS0_4arch9wavefront6targetE0EEEvT1_.private_seg_size, 0
	.set _ZN7rocprim17ROCPRIM_400000_NS6detail17trampoline_kernelINS0_14default_configENS1_25partition_config_selectorILNS1_17partition_subalgoE6EfNS0_10empty_typeEbEEZZNS1_14partition_implILS5_6ELb0ES3_mN6thrust23THRUST_200600_302600_NS6detail15normal_iteratorINSA_10device_ptrIfEEEEPS6_SG_NS0_5tupleIJSF_S6_EEENSH_IJSG_SG_EEES6_PlJNSB_9not_fun_tINSB_10functional5actorINSM_9compositeIJNSM_27transparent_binary_operatorINSA_8equal_toIvEEEENSN_INSM_8argumentILj0EEEEENSM_5valueIfEEEEEEEEEEEE10hipError_tPvRmT3_T4_T5_T6_T7_T9_mT8_P12ihipStream_tbDpT10_ENKUlT_T0_E_clISt17integral_constantIbLb1EES1J_IbLb0EEEEDaS1F_S1G_EUlS1F_E_NS1_11comp_targetILNS1_3genE8ELNS1_11target_archE1030ELNS1_3gpuE2ELNS1_3repE0EEENS1_30default_config_static_selectorELNS0_4arch9wavefront6targetE0EEEvT1_.uses_vcc, 0
	.set _ZN7rocprim17ROCPRIM_400000_NS6detail17trampoline_kernelINS0_14default_configENS1_25partition_config_selectorILNS1_17partition_subalgoE6EfNS0_10empty_typeEbEEZZNS1_14partition_implILS5_6ELb0ES3_mN6thrust23THRUST_200600_302600_NS6detail15normal_iteratorINSA_10device_ptrIfEEEEPS6_SG_NS0_5tupleIJSF_S6_EEENSH_IJSG_SG_EEES6_PlJNSB_9not_fun_tINSB_10functional5actorINSM_9compositeIJNSM_27transparent_binary_operatorINSA_8equal_toIvEEEENSN_INSM_8argumentILj0EEEEENSM_5valueIfEEEEEEEEEEEE10hipError_tPvRmT3_T4_T5_T6_T7_T9_mT8_P12ihipStream_tbDpT10_ENKUlT_T0_E_clISt17integral_constantIbLb1EES1J_IbLb0EEEEDaS1F_S1G_EUlS1F_E_NS1_11comp_targetILNS1_3genE8ELNS1_11target_archE1030ELNS1_3gpuE2ELNS1_3repE0EEENS1_30default_config_static_selectorELNS0_4arch9wavefront6targetE0EEEvT1_.uses_flat_scratch, 0
	.set _ZN7rocprim17ROCPRIM_400000_NS6detail17trampoline_kernelINS0_14default_configENS1_25partition_config_selectorILNS1_17partition_subalgoE6EfNS0_10empty_typeEbEEZZNS1_14partition_implILS5_6ELb0ES3_mN6thrust23THRUST_200600_302600_NS6detail15normal_iteratorINSA_10device_ptrIfEEEEPS6_SG_NS0_5tupleIJSF_S6_EEENSH_IJSG_SG_EEES6_PlJNSB_9not_fun_tINSB_10functional5actorINSM_9compositeIJNSM_27transparent_binary_operatorINSA_8equal_toIvEEEENSN_INSM_8argumentILj0EEEEENSM_5valueIfEEEEEEEEEEEE10hipError_tPvRmT3_T4_T5_T6_T7_T9_mT8_P12ihipStream_tbDpT10_ENKUlT_T0_E_clISt17integral_constantIbLb1EES1J_IbLb0EEEEDaS1F_S1G_EUlS1F_E_NS1_11comp_targetILNS1_3genE8ELNS1_11target_archE1030ELNS1_3gpuE2ELNS1_3repE0EEENS1_30default_config_static_selectorELNS0_4arch9wavefront6targetE0EEEvT1_.has_dyn_sized_stack, 0
	.set _ZN7rocprim17ROCPRIM_400000_NS6detail17trampoline_kernelINS0_14default_configENS1_25partition_config_selectorILNS1_17partition_subalgoE6EfNS0_10empty_typeEbEEZZNS1_14partition_implILS5_6ELb0ES3_mN6thrust23THRUST_200600_302600_NS6detail15normal_iteratorINSA_10device_ptrIfEEEEPS6_SG_NS0_5tupleIJSF_S6_EEENSH_IJSG_SG_EEES6_PlJNSB_9not_fun_tINSB_10functional5actorINSM_9compositeIJNSM_27transparent_binary_operatorINSA_8equal_toIvEEEENSN_INSM_8argumentILj0EEEEENSM_5valueIfEEEEEEEEEEEE10hipError_tPvRmT3_T4_T5_T6_T7_T9_mT8_P12ihipStream_tbDpT10_ENKUlT_T0_E_clISt17integral_constantIbLb1EES1J_IbLb0EEEEDaS1F_S1G_EUlS1F_E_NS1_11comp_targetILNS1_3genE8ELNS1_11target_archE1030ELNS1_3gpuE2ELNS1_3repE0EEENS1_30default_config_static_selectorELNS0_4arch9wavefront6targetE0EEEvT1_.has_recursion, 0
	.set _ZN7rocprim17ROCPRIM_400000_NS6detail17trampoline_kernelINS0_14default_configENS1_25partition_config_selectorILNS1_17partition_subalgoE6EfNS0_10empty_typeEbEEZZNS1_14partition_implILS5_6ELb0ES3_mN6thrust23THRUST_200600_302600_NS6detail15normal_iteratorINSA_10device_ptrIfEEEEPS6_SG_NS0_5tupleIJSF_S6_EEENSH_IJSG_SG_EEES6_PlJNSB_9not_fun_tINSB_10functional5actorINSM_9compositeIJNSM_27transparent_binary_operatorINSA_8equal_toIvEEEENSN_INSM_8argumentILj0EEEEENSM_5valueIfEEEEEEEEEEEE10hipError_tPvRmT3_T4_T5_T6_T7_T9_mT8_P12ihipStream_tbDpT10_ENKUlT_T0_E_clISt17integral_constantIbLb1EES1J_IbLb0EEEEDaS1F_S1G_EUlS1F_E_NS1_11comp_targetILNS1_3genE8ELNS1_11target_archE1030ELNS1_3gpuE2ELNS1_3repE0EEENS1_30default_config_static_selectorELNS0_4arch9wavefront6targetE0EEEvT1_.has_indirect_call, 0
	.section	.AMDGPU.csdata,"",@progbits
; Kernel info:
; codeLenInByte = 0
; TotalNumSgprs: 0
; NumVgprs: 0
; ScratchSize: 0
; MemoryBound: 0
; FloatMode: 240
; IeeeMode: 1
; LDSByteSize: 0 bytes/workgroup (compile time only)
; SGPRBlocks: 0
; VGPRBlocks: 0
; NumSGPRsForWavesPerEU: 1
; NumVGPRsForWavesPerEU: 1
; Occupancy: 16
; WaveLimiterHint : 0
; COMPUTE_PGM_RSRC2:SCRATCH_EN: 0
; COMPUTE_PGM_RSRC2:USER_SGPR: 2
; COMPUTE_PGM_RSRC2:TRAP_HANDLER: 0
; COMPUTE_PGM_RSRC2:TGID_X_EN: 1
; COMPUTE_PGM_RSRC2:TGID_Y_EN: 0
; COMPUTE_PGM_RSRC2:TGID_Z_EN: 0
; COMPUTE_PGM_RSRC2:TIDIG_COMP_CNT: 0
	.section	.text._ZN7rocprim17ROCPRIM_400000_NS6detail17trampoline_kernelINS0_14default_configENS1_25partition_config_selectorILNS1_17partition_subalgoE6EfNS0_10empty_typeEbEEZZNS1_14partition_implILS5_6ELb0ES3_mN6thrust23THRUST_200600_302600_NS6detail15normal_iteratorINSA_10device_ptrIfEEEEPS6_SG_NS0_5tupleIJSF_S6_EEENSH_IJSG_SG_EEES6_PlJNSB_9not_fun_tINSB_10functional5actorINSM_9compositeIJNSM_27transparent_binary_operatorINSA_8equal_toIvEEEENSN_INSM_8argumentILj0EEEEENSM_5valueIfEEEEEEEEEEEE10hipError_tPvRmT3_T4_T5_T6_T7_T9_mT8_P12ihipStream_tbDpT10_ENKUlT_T0_E_clISt17integral_constantIbLb0EES1J_IbLb1EEEEDaS1F_S1G_EUlS1F_E_NS1_11comp_targetILNS1_3genE0ELNS1_11target_archE4294967295ELNS1_3gpuE0ELNS1_3repE0EEENS1_30default_config_static_selectorELNS0_4arch9wavefront6targetE0EEEvT1_,"axG",@progbits,_ZN7rocprim17ROCPRIM_400000_NS6detail17trampoline_kernelINS0_14default_configENS1_25partition_config_selectorILNS1_17partition_subalgoE6EfNS0_10empty_typeEbEEZZNS1_14partition_implILS5_6ELb0ES3_mN6thrust23THRUST_200600_302600_NS6detail15normal_iteratorINSA_10device_ptrIfEEEEPS6_SG_NS0_5tupleIJSF_S6_EEENSH_IJSG_SG_EEES6_PlJNSB_9not_fun_tINSB_10functional5actorINSM_9compositeIJNSM_27transparent_binary_operatorINSA_8equal_toIvEEEENSN_INSM_8argumentILj0EEEEENSM_5valueIfEEEEEEEEEEEE10hipError_tPvRmT3_T4_T5_T6_T7_T9_mT8_P12ihipStream_tbDpT10_ENKUlT_T0_E_clISt17integral_constantIbLb0EES1J_IbLb1EEEEDaS1F_S1G_EUlS1F_E_NS1_11comp_targetILNS1_3genE0ELNS1_11target_archE4294967295ELNS1_3gpuE0ELNS1_3repE0EEENS1_30default_config_static_selectorELNS0_4arch9wavefront6targetE0EEEvT1_,comdat
	.protected	_ZN7rocprim17ROCPRIM_400000_NS6detail17trampoline_kernelINS0_14default_configENS1_25partition_config_selectorILNS1_17partition_subalgoE6EfNS0_10empty_typeEbEEZZNS1_14partition_implILS5_6ELb0ES3_mN6thrust23THRUST_200600_302600_NS6detail15normal_iteratorINSA_10device_ptrIfEEEEPS6_SG_NS0_5tupleIJSF_S6_EEENSH_IJSG_SG_EEES6_PlJNSB_9not_fun_tINSB_10functional5actorINSM_9compositeIJNSM_27transparent_binary_operatorINSA_8equal_toIvEEEENSN_INSM_8argumentILj0EEEEENSM_5valueIfEEEEEEEEEEEE10hipError_tPvRmT3_T4_T5_T6_T7_T9_mT8_P12ihipStream_tbDpT10_ENKUlT_T0_E_clISt17integral_constantIbLb0EES1J_IbLb1EEEEDaS1F_S1G_EUlS1F_E_NS1_11comp_targetILNS1_3genE0ELNS1_11target_archE4294967295ELNS1_3gpuE0ELNS1_3repE0EEENS1_30default_config_static_selectorELNS0_4arch9wavefront6targetE0EEEvT1_ ; -- Begin function _ZN7rocprim17ROCPRIM_400000_NS6detail17trampoline_kernelINS0_14default_configENS1_25partition_config_selectorILNS1_17partition_subalgoE6EfNS0_10empty_typeEbEEZZNS1_14partition_implILS5_6ELb0ES3_mN6thrust23THRUST_200600_302600_NS6detail15normal_iteratorINSA_10device_ptrIfEEEEPS6_SG_NS0_5tupleIJSF_S6_EEENSH_IJSG_SG_EEES6_PlJNSB_9not_fun_tINSB_10functional5actorINSM_9compositeIJNSM_27transparent_binary_operatorINSA_8equal_toIvEEEENSN_INSM_8argumentILj0EEEEENSM_5valueIfEEEEEEEEEEEE10hipError_tPvRmT3_T4_T5_T6_T7_T9_mT8_P12ihipStream_tbDpT10_ENKUlT_T0_E_clISt17integral_constantIbLb0EES1J_IbLb1EEEEDaS1F_S1G_EUlS1F_E_NS1_11comp_targetILNS1_3genE0ELNS1_11target_archE4294967295ELNS1_3gpuE0ELNS1_3repE0EEENS1_30default_config_static_selectorELNS0_4arch9wavefront6targetE0EEEvT1_
	.globl	_ZN7rocprim17ROCPRIM_400000_NS6detail17trampoline_kernelINS0_14default_configENS1_25partition_config_selectorILNS1_17partition_subalgoE6EfNS0_10empty_typeEbEEZZNS1_14partition_implILS5_6ELb0ES3_mN6thrust23THRUST_200600_302600_NS6detail15normal_iteratorINSA_10device_ptrIfEEEEPS6_SG_NS0_5tupleIJSF_S6_EEENSH_IJSG_SG_EEES6_PlJNSB_9not_fun_tINSB_10functional5actorINSM_9compositeIJNSM_27transparent_binary_operatorINSA_8equal_toIvEEEENSN_INSM_8argumentILj0EEEEENSM_5valueIfEEEEEEEEEEEE10hipError_tPvRmT3_T4_T5_T6_T7_T9_mT8_P12ihipStream_tbDpT10_ENKUlT_T0_E_clISt17integral_constantIbLb0EES1J_IbLb1EEEEDaS1F_S1G_EUlS1F_E_NS1_11comp_targetILNS1_3genE0ELNS1_11target_archE4294967295ELNS1_3gpuE0ELNS1_3repE0EEENS1_30default_config_static_selectorELNS0_4arch9wavefront6targetE0EEEvT1_
	.p2align	8
	.type	_ZN7rocprim17ROCPRIM_400000_NS6detail17trampoline_kernelINS0_14default_configENS1_25partition_config_selectorILNS1_17partition_subalgoE6EfNS0_10empty_typeEbEEZZNS1_14partition_implILS5_6ELb0ES3_mN6thrust23THRUST_200600_302600_NS6detail15normal_iteratorINSA_10device_ptrIfEEEEPS6_SG_NS0_5tupleIJSF_S6_EEENSH_IJSG_SG_EEES6_PlJNSB_9not_fun_tINSB_10functional5actorINSM_9compositeIJNSM_27transparent_binary_operatorINSA_8equal_toIvEEEENSN_INSM_8argumentILj0EEEEENSM_5valueIfEEEEEEEEEEEE10hipError_tPvRmT3_T4_T5_T6_T7_T9_mT8_P12ihipStream_tbDpT10_ENKUlT_T0_E_clISt17integral_constantIbLb0EES1J_IbLb1EEEEDaS1F_S1G_EUlS1F_E_NS1_11comp_targetILNS1_3genE0ELNS1_11target_archE4294967295ELNS1_3gpuE0ELNS1_3repE0EEENS1_30default_config_static_selectorELNS0_4arch9wavefront6targetE0EEEvT1_,@function
_ZN7rocprim17ROCPRIM_400000_NS6detail17trampoline_kernelINS0_14default_configENS1_25partition_config_selectorILNS1_17partition_subalgoE6EfNS0_10empty_typeEbEEZZNS1_14partition_implILS5_6ELb0ES3_mN6thrust23THRUST_200600_302600_NS6detail15normal_iteratorINSA_10device_ptrIfEEEEPS6_SG_NS0_5tupleIJSF_S6_EEENSH_IJSG_SG_EEES6_PlJNSB_9not_fun_tINSB_10functional5actorINSM_9compositeIJNSM_27transparent_binary_operatorINSA_8equal_toIvEEEENSN_INSM_8argumentILj0EEEEENSM_5valueIfEEEEEEEEEEEE10hipError_tPvRmT3_T4_T5_T6_T7_T9_mT8_P12ihipStream_tbDpT10_ENKUlT_T0_E_clISt17integral_constantIbLb0EES1J_IbLb1EEEEDaS1F_S1G_EUlS1F_E_NS1_11comp_targetILNS1_3genE0ELNS1_11target_archE4294967295ELNS1_3gpuE0ELNS1_3repE0EEENS1_30default_config_static_selectorELNS0_4arch9wavefront6targetE0EEEvT1_: ; @_ZN7rocprim17ROCPRIM_400000_NS6detail17trampoline_kernelINS0_14default_configENS1_25partition_config_selectorILNS1_17partition_subalgoE6EfNS0_10empty_typeEbEEZZNS1_14partition_implILS5_6ELb0ES3_mN6thrust23THRUST_200600_302600_NS6detail15normal_iteratorINSA_10device_ptrIfEEEEPS6_SG_NS0_5tupleIJSF_S6_EEENSH_IJSG_SG_EEES6_PlJNSB_9not_fun_tINSB_10functional5actorINSM_9compositeIJNSM_27transparent_binary_operatorINSA_8equal_toIvEEEENSN_INSM_8argumentILj0EEEEENSM_5valueIfEEEEEEEEEEEE10hipError_tPvRmT3_T4_T5_T6_T7_T9_mT8_P12ihipStream_tbDpT10_ENKUlT_T0_E_clISt17integral_constantIbLb0EES1J_IbLb1EEEEDaS1F_S1G_EUlS1F_E_NS1_11comp_targetILNS1_3genE0ELNS1_11target_archE4294967295ELNS1_3gpuE0ELNS1_3repE0EEENS1_30default_config_static_selectorELNS0_4arch9wavefront6targetE0EEEvT1_
; %bb.0:
	.section	.rodata,"a",@progbits
	.p2align	6, 0x0
	.amdhsa_kernel _ZN7rocprim17ROCPRIM_400000_NS6detail17trampoline_kernelINS0_14default_configENS1_25partition_config_selectorILNS1_17partition_subalgoE6EfNS0_10empty_typeEbEEZZNS1_14partition_implILS5_6ELb0ES3_mN6thrust23THRUST_200600_302600_NS6detail15normal_iteratorINSA_10device_ptrIfEEEEPS6_SG_NS0_5tupleIJSF_S6_EEENSH_IJSG_SG_EEES6_PlJNSB_9not_fun_tINSB_10functional5actorINSM_9compositeIJNSM_27transparent_binary_operatorINSA_8equal_toIvEEEENSN_INSM_8argumentILj0EEEEENSM_5valueIfEEEEEEEEEEEE10hipError_tPvRmT3_T4_T5_T6_T7_T9_mT8_P12ihipStream_tbDpT10_ENKUlT_T0_E_clISt17integral_constantIbLb0EES1J_IbLb1EEEEDaS1F_S1G_EUlS1F_E_NS1_11comp_targetILNS1_3genE0ELNS1_11target_archE4294967295ELNS1_3gpuE0ELNS1_3repE0EEENS1_30default_config_static_selectorELNS0_4arch9wavefront6targetE0EEEvT1_
		.amdhsa_group_segment_fixed_size 0
		.amdhsa_private_segment_fixed_size 0
		.amdhsa_kernarg_size 128
		.amdhsa_user_sgpr_count 2
		.amdhsa_user_sgpr_dispatch_ptr 0
		.amdhsa_user_sgpr_queue_ptr 0
		.amdhsa_user_sgpr_kernarg_segment_ptr 1
		.amdhsa_user_sgpr_dispatch_id 0
		.amdhsa_user_sgpr_private_segment_size 0
		.amdhsa_wavefront_size32 1
		.amdhsa_uses_dynamic_stack 0
		.amdhsa_enable_private_segment 0
		.amdhsa_system_sgpr_workgroup_id_x 1
		.amdhsa_system_sgpr_workgroup_id_y 0
		.amdhsa_system_sgpr_workgroup_id_z 0
		.amdhsa_system_sgpr_workgroup_info 0
		.amdhsa_system_vgpr_workitem_id 0
		.amdhsa_next_free_vgpr 1
		.amdhsa_next_free_sgpr 1
		.amdhsa_reserve_vcc 0
		.amdhsa_float_round_mode_32 0
		.amdhsa_float_round_mode_16_64 0
		.amdhsa_float_denorm_mode_32 3
		.amdhsa_float_denorm_mode_16_64 3
		.amdhsa_fp16_overflow 0
		.amdhsa_workgroup_processor_mode 1
		.amdhsa_memory_ordered 1
		.amdhsa_forward_progress 1
		.amdhsa_inst_pref_size 0
		.amdhsa_round_robin_scheduling 0
		.amdhsa_exception_fp_ieee_invalid_op 0
		.amdhsa_exception_fp_denorm_src 0
		.amdhsa_exception_fp_ieee_div_zero 0
		.amdhsa_exception_fp_ieee_overflow 0
		.amdhsa_exception_fp_ieee_underflow 0
		.amdhsa_exception_fp_ieee_inexact 0
		.amdhsa_exception_int_div_zero 0
	.end_amdhsa_kernel
	.section	.text._ZN7rocprim17ROCPRIM_400000_NS6detail17trampoline_kernelINS0_14default_configENS1_25partition_config_selectorILNS1_17partition_subalgoE6EfNS0_10empty_typeEbEEZZNS1_14partition_implILS5_6ELb0ES3_mN6thrust23THRUST_200600_302600_NS6detail15normal_iteratorINSA_10device_ptrIfEEEEPS6_SG_NS0_5tupleIJSF_S6_EEENSH_IJSG_SG_EEES6_PlJNSB_9not_fun_tINSB_10functional5actorINSM_9compositeIJNSM_27transparent_binary_operatorINSA_8equal_toIvEEEENSN_INSM_8argumentILj0EEEEENSM_5valueIfEEEEEEEEEEEE10hipError_tPvRmT3_T4_T5_T6_T7_T9_mT8_P12ihipStream_tbDpT10_ENKUlT_T0_E_clISt17integral_constantIbLb0EES1J_IbLb1EEEEDaS1F_S1G_EUlS1F_E_NS1_11comp_targetILNS1_3genE0ELNS1_11target_archE4294967295ELNS1_3gpuE0ELNS1_3repE0EEENS1_30default_config_static_selectorELNS0_4arch9wavefront6targetE0EEEvT1_,"axG",@progbits,_ZN7rocprim17ROCPRIM_400000_NS6detail17trampoline_kernelINS0_14default_configENS1_25partition_config_selectorILNS1_17partition_subalgoE6EfNS0_10empty_typeEbEEZZNS1_14partition_implILS5_6ELb0ES3_mN6thrust23THRUST_200600_302600_NS6detail15normal_iteratorINSA_10device_ptrIfEEEEPS6_SG_NS0_5tupleIJSF_S6_EEENSH_IJSG_SG_EEES6_PlJNSB_9not_fun_tINSB_10functional5actorINSM_9compositeIJNSM_27transparent_binary_operatorINSA_8equal_toIvEEEENSN_INSM_8argumentILj0EEEEENSM_5valueIfEEEEEEEEEEEE10hipError_tPvRmT3_T4_T5_T6_T7_T9_mT8_P12ihipStream_tbDpT10_ENKUlT_T0_E_clISt17integral_constantIbLb0EES1J_IbLb1EEEEDaS1F_S1G_EUlS1F_E_NS1_11comp_targetILNS1_3genE0ELNS1_11target_archE4294967295ELNS1_3gpuE0ELNS1_3repE0EEENS1_30default_config_static_selectorELNS0_4arch9wavefront6targetE0EEEvT1_,comdat
.Lfunc_end71:
	.size	_ZN7rocprim17ROCPRIM_400000_NS6detail17trampoline_kernelINS0_14default_configENS1_25partition_config_selectorILNS1_17partition_subalgoE6EfNS0_10empty_typeEbEEZZNS1_14partition_implILS5_6ELb0ES3_mN6thrust23THRUST_200600_302600_NS6detail15normal_iteratorINSA_10device_ptrIfEEEEPS6_SG_NS0_5tupleIJSF_S6_EEENSH_IJSG_SG_EEES6_PlJNSB_9not_fun_tINSB_10functional5actorINSM_9compositeIJNSM_27transparent_binary_operatorINSA_8equal_toIvEEEENSN_INSM_8argumentILj0EEEEENSM_5valueIfEEEEEEEEEEEE10hipError_tPvRmT3_T4_T5_T6_T7_T9_mT8_P12ihipStream_tbDpT10_ENKUlT_T0_E_clISt17integral_constantIbLb0EES1J_IbLb1EEEEDaS1F_S1G_EUlS1F_E_NS1_11comp_targetILNS1_3genE0ELNS1_11target_archE4294967295ELNS1_3gpuE0ELNS1_3repE0EEENS1_30default_config_static_selectorELNS0_4arch9wavefront6targetE0EEEvT1_, .Lfunc_end71-_ZN7rocprim17ROCPRIM_400000_NS6detail17trampoline_kernelINS0_14default_configENS1_25partition_config_selectorILNS1_17partition_subalgoE6EfNS0_10empty_typeEbEEZZNS1_14partition_implILS5_6ELb0ES3_mN6thrust23THRUST_200600_302600_NS6detail15normal_iteratorINSA_10device_ptrIfEEEEPS6_SG_NS0_5tupleIJSF_S6_EEENSH_IJSG_SG_EEES6_PlJNSB_9not_fun_tINSB_10functional5actorINSM_9compositeIJNSM_27transparent_binary_operatorINSA_8equal_toIvEEEENSN_INSM_8argumentILj0EEEEENSM_5valueIfEEEEEEEEEEEE10hipError_tPvRmT3_T4_T5_T6_T7_T9_mT8_P12ihipStream_tbDpT10_ENKUlT_T0_E_clISt17integral_constantIbLb0EES1J_IbLb1EEEEDaS1F_S1G_EUlS1F_E_NS1_11comp_targetILNS1_3genE0ELNS1_11target_archE4294967295ELNS1_3gpuE0ELNS1_3repE0EEENS1_30default_config_static_selectorELNS0_4arch9wavefront6targetE0EEEvT1_
                                        ; -- End function
	.set _ZN7rocprim17ROCPRIM_400000_NS6detail17trampoline_kernelINS0_14default_configENS1_25partition_config_selectorILNS1_17partition_subalgoE6EfNS0_10empty_typeEbEEZZNS1_14partition_implILS5_6ELb0ES3_mN6thrust23THRUST_200600_302600_NS6detail15normal_iteratorINSA_10device_ptrIfEEEEPS6_SG_NS0_5tupleIJSF_S6_EEENSH_IJSG_SG_EEES6_PlJNSB_9not_fun_tINSB_10functional5actorINSM_9compositeIJNSM_27transparent_binary_operatorINSA_8equal_toIvEEEENSN_INSM_8argumentILj0EEEEENSM_5valueIfEEEEEEEEEEEE10hipError_tPvRmT3_T4_T5_T6_T7_T9_mT8_P12ihipStream_tbDpT10_ENKUlT_T0_E_clISt17integral_constantIbLb0EES1J_IbLb1EEEEDaS1F_S1G_EUlS1F_E_NS1_11comp_targetILNS1_3genE0ELNS1_11target_archE4294967295ELNS1_3gpuE0ELNS1_3repE0EEENS1_30default_config_static_selectorELNS0_4arch9wavefront6targetE0EEEvT1_.num_vgpr, 0
	.set _ZN7rocprim17ROCPRIM_400000_NS6detail17trampoline_kernelINS0_14default_configENS1_25partition_config_selectorILNS1_17partition_subalgoE6EfNS0_10empty_typeEbEEZZNS1_14partition_implILS5_6ELb0ES3_mN6thrust23THRUST_200600_302600_NS6detail15normal_iteratorINSA_10device_ptrIfEEEEPS6_SG_NS0_5tupleIJSF_S6_EEENSH_IJSG_SG_EEES6_PlJNSB_9not_fun_tINSB_10functional5actorINSM_9compositeIJNSM_27transparent_binary_operatorINSA_8equal_toIvEEEENSN_INSM_8argumentILj0EEEEENSM_5valueIfEEEEEEEEEEEE10hipError_tPvRmT3_T4_T5_T6_T7_T9_mT8_P12ihipStream_tbDpT10_ENKUlT_T0_E_clISt17integral_constantIbLb0EES1J_IbLb1EEEEDaS1F_S1G_EUlS1F_E_NS1_11comp_targetILNS1_3genE0ELNS1_11target_archE4294967295ELNS1_3gpuE0ELNS1_3repE0EEENS1_30default_config_static_selectorELNS0_4arch9wavefront6targetE0EEEvT1_.num_agpr, 0
	.set _ZN7rocprim17ROCPRIM_400000_NS6detail17trampoline_kernelINS0_14default_configENS1_25partition_config_selectorILNS1_17partition_subalgoE6EfNS0_10empty_typeEbEEZZNS1_14partition_implILS5_6ELb0ES3_mN6thrust23THRUST_200600_302600_NS6detail15normal_iteratorINSA_10device_ptrIfEEEEPS6_SG_NS0_5tupleIJSF_S6_EEENSH_IJSG_SG_EEES6_PlJNSB_9not_fun_tINSB_10functional5actorINSM_9compositeIJNSM_27transparent_binary_operatorINSA_8equal_toIvEEEENSN_INSM_8argumentILj0EEEEENSM_5valueIfEEEEEEEEEEEE10hipError_tPvRmT3_T4_T5_T6_T7_T9_mT8_P12ihipStream_tbDpT10_ENKUlT_T0_E_clISt17integral_constantIbLb0EES1J_IbLb1EEEEDaS1F_S1G_EUlS1F_E_NS1_11comp_targetILNS1_3genE0ELNS1_11target_archE4294967295ELNS1_3gpuE0ELNS1_3repE0EEENS1_30default_config_static_selectorELNS0_4arch9wavefront6targetE0EEEvT1_.numbered_sgpr, 0
	.set _ZN7rocprim17ROCPRIM_400000_NS6detail17trampoline_kernelINS0_14default_configENS1_25partition_config_selectorILNS1_17partition_subalgoE6EfNS0_10empty_typeEbEEZZNS1_14partition_implILS5_6ELb0ES3_mN6thrust23THRUST_200600_302600_NS6detail15normal_iteratorINSA_10device_ptrIfEEEEPS6_SG_NS0_5tupleIJSF_S6_EEENSH_IJSG_SG_EEES6_PlJNSB_9not_fun_tINSB_10functional5actorINSM_9compositeIJNSM_27transparent_binary_operatorINSA_8equal_toIvEEEENSN_INSM_8argumentILj0EEEEENSM_5valueIfEEEEEEEEEEEE10hipError_tPvRmT3_T4_T5_T6_T7_T9_mT8_P12ihipStream_tbDpT10_ENKUlT_T0_E_clISt17integral_constantIbLb0EES1J_IbLb1EEEEDaS1F_S1G_EUlS1F_E_NS1_11comp_targetILNS1_3genE0ELNS1_11target_archE4294967295ELNS1_3gpuE0ELNS1_3repE0EEENS1_30default_config_static_selectorELNS0_4arch9wavefront6targetE0EEEvT1_.num_named_barrier, 0
	.set _ZN7rocprim17ROCPRIM_400000_NS6detail17trampoline_kernelINS0_14default_configENS1_25partition_config_selectorILNS1_17partition_subalgoE6EfNS0_10empty_typeEbEEZZNS1_14partition_implILS5_6ELb0ES3_mN6thrust23THRUST_200600_302600_NS6detail15normal_iteratorINSA_10device_ptrIfEEEEPS6_SG_NS0_5tupleIJSF_S6_EEENSH_IJSG_SG_EEES6_PlJNSB_9not_fun_tINSB_10functional5actorINSM_9compositeIJNSM_27transparent_binary_operatorINSA_8equal_toIvEEEENSN_INSM_8argumentILj0EEEEENSM_5valueIfEEEEEEEEEEEE10hipError_tPvRmT3_T4_T5_T6_T7_T9_mT8_P12ihipStream_tbDpT10_ENKUlT_T0_E_clISt17integral_constantIbLb0EES1J_IbLb1EEEEDaS1F_S1G_EUlS1F_E_NS1_11comp_targetILNS1_3genE0ELNS1_11target_archE4294967295ELNS1_3gpuE0ELNS1_3repE0EEENS1_30default_config_static_selectorELNS0_4arch9wavefront6targetE0EEEvT1_.private_seg_size, 0
	.set _ZN7rocprim17ROCPRIM_400000_NS6detail17trampoline_kernelINS0_14default_configENS1_25partition_config_selectorILNS1_17partition_subalgoE6EfNS0_10empty_typeEbEEZZNS1_14partition_implILS5_6ELb0ES3_mN6thrust23THRUST_200600_302600_NS6detail15normal_iteratorINSA_10device_ptrIfEEEEPS6_SG_NS0_5tupleIJSF_S6_EEENSH_IJSG_SG_EEES6_PlJNSB_9not_fun_tINSB_10functional5actorINSM_9compositeIJNSM_27transparent_binary_operatorINSA_8equal_toIvEEEENSN_INSM_8argumentILj0EEEEENSM_5valueIfEEEEEEEEEEEE10hipError_tPvRmT3_T4_T5_T6_T7_T9_mT8_P12ihipStream_tbDpT10_ENKUlT_T0_E_clISt17integral_constantIbLb0EES1J_IbLb1EEEEDaS1F_S1G_EUlS1F_E_NS1_11comp_targetILNS1_3genE0ELNS1_11target_archE4294967295ELNS1_3gpuE0ELNS1_3repE0EEENS1_30default_config_static_selectorELNS0_4arch9wavefront6targetE0EEEvT1_.uses_vcc, 0
	.set _ZN7rocprim17ROCPRIM_400000_NS6detail17trampoline_kernelINS0_14default_configENS1_25partition_config_selectorILNS1_17partition_subalgoE6EfNS0_10empty_typeEbEEZZNS1_14partition_implILS5_6ELb0ES3_mN6thrust23THRUST_200600_302600_NS6detail15normal_iteratorINSA_10device_ptrIfEEEEPS6_SG_NS0_5tupleIJSF_S6_EEENSH_IJSG_SG_EEES6_PlJNSB_9not_fun_tINSB_10functional5actorINSM_9compositeIJNSM_27transparent_binary_operatorINSA_8equal_toIvEEEENSN_INSM_8argumentILj0EEEEENSM_5valueIfEEEEEEEEEEEE10hipError_tPvRmT3_T4_T5_T6_T7_T9_mT8_P12ihipStream_tbDpT10_ENKUlT_T0_E_clISt17integral_constantIbLb0EES1J_IbLb1EEEEDaS1F_S1G_EUlS1F_E_NS1_11comp_targetILNS1_3genE0ELNS1_11target_archE4294967295ELNS1_3gpuE0ELNS1_3repE0EEENS1_30default_config_static_selectorELNS0_4arch9wavefront6targetE0EEEvT1_.uses_flat_scratch, 0
	.set _ZN7rocprim17ROCPRIM_400000_NS6detail17trampoline_kernelINS0_14default_configENS1_25partition_config_selectorILNS1_17partition_subalgoE6EfNS0_10empty_typeEbEEZZNS1_14partition_implILS5_6ELb0ES3_mN6thrust23THRUST_200600_302600_NS6detail15normal_iteratorINSA_10device_ptrIfEEEEPS6_SG_NS0_5tupleIJSF_S6_EEENSH_IJSG_SG_EEES6_PlJNSB_9not_fun_tINSB_10functional5actorINSM_9compositeIJNSM_27transparent_binary_operatorINSA_8equal_toIvEEEENSN_INSM_8argumentILj0EEEEENSM_5valueIfEEEEEEEEEEEE10hipError_tPvRmT3_T4_T5_T6_T7_T9_mT8_P12ihipStream_tbDpT10_ENKUlT_T0_E_clISt17integral_constantIbLb0EES1J_IbLb1EEEEDaS1F_S1G_EUlS1F_E_NS1_11comp_targetILNS1_3genE0ELNS1_11target_archE4294967295ELNS1_3gpuE0ELNS1_3repE0EEENS1_30default_config_static_selectorELNS0_4arch9wavefront6targetE0EEEvT1_.has_dyn_sized_stack, 0
	.set _ZN7rocprim17ROCPRIM_400000_NS6detail17trampoline_kernelINS0_14default_configENS1_25partition_config_selectorILNS1_17partition_subalgoE6EfNS0_10empty_typeEbEEZZNS1_14partition_implILS5_6ELb0ES3_mN6thrust23THRUST_200600_302600_NS6detail15normal_iteratorINSA_10device_ptrIfEEEEPS6_SG_NS0_5tupleIJSF_S6_EEENSH_IJSG_SG_EEES6_PlJNSB_9not_fun_tINSB_10functional5actorINSM_9compositeIJNSM_27transparent_binary_operatorINSA_8equal_toIvEEEENSN_INSM_8argumentILj0EEEEENSM_5valueIfEEEEEEEEEEEE10hipError_tPvRmT3_T4_T5_T6_T7_T9_mT8_P12ihipStream_tbDpT10_ENKUlT_T0_E_clISt17integral_constantIbLb0EES1J_IbLb1EEEEDaS1F_S1G_EUlS1F_E_NS1_11comp_targetILNS1_3genE0ELNS1_11target_archE4294967295ELNS1_3gpuE0ELNS1_3repE0EEENS1_30default_config_static_selectorELNS0_4arch9wavefront6targetE0EEEvT1_.has_recursion, 0
	.set _ZN7rocprim17ROCPRIM_400000_NS6detail17trampoline_kernelINS0_14default_configENS1_25partition_config_selectorILNS1_17partition_subalgoE6EfNS0_10empty_typeEbEEZZNS1_14partition_implILS5_6ELb0ES3_mN6thrust23THRUST_200600_302600_NS6detail15normal_iteratorINSA_10device_ptrIfEEEEPS6_SG_NS0_5tupleIJSF_S6_EEENSH_IJSG_SG_EEES6_PlJNSB_9not_fun_tINSB_10functional5actorINSM_9compositeIJNSM_27transparent_binary_operatorINSA_8equal_toIvEEEENSN_INSM_8argumentILj0EEEEENSM_5valueIfEEEEEEEEEEEE10hipError_tPvRmT3_T4_T5_T6_T7_T9_mT8_P12ihipStream_tbDpT10_ENKUlT_T0_E_clISt17integral_constantIbLb0EES1J_IbLb1EEEEDaS1F_S1G_EUlS1F_E_NS1_11comp_targetILNS1_3genE0ELNS1_11target_archE4294967295ELNS1_3gpuE0ELNS1_3repE0EEENS1_30default_config_static_selectorELNS0_4arch9wavefront6targetE0EEEvT1_.has_indirect_call, 0
	.section	.AMDGPU.csdata,"",@progbits
; Kernel info:
; codeLenInByte = 0
; TotalNumSgprs: 0
; NumVgprs: 0
; ScratchSize: 0
; MemoryBound: 0
; FloatMode: 240
; IeeeMode: 1
; LDSByteSize: 0 bytes/workgroup (compile time only)
; SGPRBlocks: 0
; VGPRBlocks: 0
; NumSGPRsForWavesPerEU: 1
; NumVGPRsForWavesPerEU: 1
; Occupancy: 16
; WaveLimiterHint : 0
; COMPUTE_PGM_RSRC2:SCRATCH_EN: 0
; COMPUTE_PGM_RSRC2:USER_SGPR: 2
; COMPUTE_PGM_RSRC2:TRAP_HANDLER: 0
; COMPUTE_PGM_RSRC2:TGID_X_EN: 1
; COMPUTE_PGM_RSRC2:TGID_Y_EN: 0
; COMPUTE_PGM_RSRC2:TGID_Z_EN: 0
; COMPUTE_PGM_RSRC2:TIDIG_COMP_CNT: 0
	.section	.text._ZN7rocprim17ROCPRIM_400000_NS6detail17trampoline_kernelINS0_14default_configENS1_25partition_config_selectorILNS1_17partition_subalgoE6EfNS0_10empty_typeEbEEZZNS1_14partition_implILS5_6ELb0ES3_mN6thrust23THRUST_200600_302600_NS6detail15normal_iteratorINSA_10device_ptrIfEEEEPS6_SG_NS0_5tupleIJSF_S6_EEENSH_IJSG_SG_EEES6_PlJNSB_9not_fun_tINSB_10functional5actorINSM_9compositeIJNSM_27transparent_binary_operatorINSA_8equal_toIvEEEENSN_INSM_8argumentILj0EEEEENSM_5valueIfEEEEEEEEEEEE10hipError_tPvRmT3_T4_T5_T6_T7_T9_mT8_P12ihipStream_tbDpT10_ENKUlT_T0_E_clISt17integral_constantIbLb0EES1J_IbLb1EEEEDaS1F_S1G_EUlS1F_E_NS1_11comp_targetILNS1_3genE5ELNS1_11target_archE942ELNS1_3gpuE9ELNS1_3repE0EEENS1_30default_config_static_selectorELNS0_4arch9wavefront6targetE0EEEvT1_,"axG",@progbits,_ZN7rocprim17ROCPRIM_400000_NS6detail17trampoline_kernelINS0_14default_configENS1_25partition_config_selectorILNS1_17partition_subalgoE6EfNS0_10empty_typeEbEEZZNS1_14partition_implILS5_6ELb0ES3_mN6thrust23THRUST_200600_302600_NS6detail15normal_iteratorINSA_10device_ptrIfEEEEPS6_SG_NS0_5tupleIJSF_S6_EEENSH_IJSG_SG_EEES6_PlJNSB_9not_fun_tINSB_10functional5actorINSM_9compositeIJNSM_27transparent_binary_operatorINSA_8equal_toIvEEEENSN_INSM_8argumentILj0EEEEENSM_5valueIfEEEEEEEEEEEE10hipError_tPvRmT3_T4_T5_T6_T7_T9_mT8_P12ihipStream_tbDpT10_ENKUlT_T0_E_clISt17integral_constantIbLb0EES1J_IbLb1EEEEDaS1F_S1G_EUlS1F_E_NS1_11comp_targetILNS1_3genE5ELNS1_11target_archE942ELNS1_3gpuE9ELNS1_3repE0EEENS1_30default_config_static_selectorELNS0_4arch9wavefront6targetE0EEEvT1_,comdat
	.protected	_ZN7rocprim17ROCPRIM_400000_NS6detail17trampoline_kernelINS0_14default_configENS1_25partition_config_selectorILNS1_17partition_subalgoE6EfNS0_10empty_typeEbEEZZNS1_14partition_implILS5_6ELb0ES3_mN6thrust23THRUST_200600_302600_NS6detail15normal_iteratorINSA_10device_ptrIfEEEEPS6_SG_NS0_5tupleIJSF_S6_EEENSH_IJSG_SG_EEES6_PlJNSB_9not_fun_tINSB_10functional5actorINSM_9compositeIJNSM_27transparent_binary_operatorINSA_8equal_toIvEEEENSN_INSM_8argumentILj0EEEEENSM_5valueIfEEEEEEEEEEEE10hipError_tPvRmT3_T4_T5_T6_T7_T9_mT8_P12ihipStream_tbDpT10_ENKUlT_T0_E_clISt17integral_constantIbLb0EES1J_IbLb1EEEEDaS1F_S1G_EUlS1F_E_NS1_11comp_targetILNS1_3genE5ELNS1_11target_archE942ELNS1_3gpuE9ELNS1_3repE0EEENS1_30default_config_static_selectorELNS0_4arch9wavefront6targetE0EEEvT1_ ; -- Begin function _ZN7rocprim17ROCPRIM_400000_NS6detail17trampoline_kernelINS0_14default_configENS1_25partition_config_selectorILNS1_17partition_subalgoE6EfNS0_10empty_typeEbEEZZNS1_14partition_implILS5_6ELb0ES3_mN6thrust23THRUST_200600_302600_NS6detail15normal_iteratorINSA_10device_ptrIfEEEEPS6_SG_NS0_5tupleIJSF_S6_EEENSH_IJSG_SG_EEES6_PlJNSB_9not_fun_tINSB_10functional5actorINSM_9compositeIJNSM_27transparent_binary_operatorINSA_8equal_toIvEEEENSN_INSM_8argumentILj0EEEEENSM_5valueIfEEEEEEEEEEEE10hipError_tPvRmT3_T4_T5_T6_T7_T9_mT8_P12ihipStream_tbDpT10_ENKUlT_T0_E_clISt17integral_constantIbLb0EES1J_IbLb1EEEEDaS1F_S1G_EUlS1F_E_NS1_11comp_targetILNS1_3genE5ELNS1_11target_archE942ELNS1_3gpuE9ELNS1_3repE0EEENS1_30default_config_static_selectorELNS0_4arch9wavefront6targetE0EEEvT1_
	.globl	_ZN7rocprim17ROCPRIM_400000_NS6detail17trampoline_kernelINS0_14default_configENS1_25partition_config_selectorILNS1_17partition_subalgoE6EfNS0_10empty_typeEbEEZZNS1_14partition_implILS5_6ELb0ES3_mN6thrust23THRUST_200600_302600_NS6detail15normal_iteratorINSA_10device_ptrIfEEEEPS6_SG_NS0_5tupleIJSF_S6_EEENSH_IJSG_SG_EEES6_PlJNSB_9not_fun_tINSB_10functional5actorINSM_9compositeIJNSM_27transparent_binary_operatorINSA_8equal_toIvEEEENSN_INSM_8argumentILj0EEEEENSM_5valueIfEEEEEEEEEEEE10hipError_tPvRmT3_T4_T5_T6_T7_T9_mT8_P12ihipStream_tbDpT10_ENKUlT_T0_E_clISt17integral_constantIbLb0EES1J_IbLb1EEEEDaS1F_S1G_EUlS1F_E_NS1_11comp_targetILNS1_3genE5ELNS1_11target_archE942ELNS1_3gpuE9ELNS1_3repE0EEENS1_30default_config_static_selectorELNS0_4arch9wavefront6targetE0EEEvT1_
	.p2align	8
	.type	_ZN7rocprim17ROCPRIM_400000_NS6detail17trampoline_kernelINS0_14default_configENS1_25partition_config_selectorILNS1_17partition_subalgoE6EfNS0_10empty_typeEbEEZZNS1_14partition_implILS5_6ELb0ES3_mN6thrust23THRUST_200600_302600_NS6detail15normal_iteratorINSA_10device_ptrIfEEEEPS6_SG_NS0_5tupleIJSF_S6_EEENSH_IJSG_SG_EEES6_PlJNSB_9not_fun_tINSB_10functional5actorINSM_9compositeIJNSM_27transparent_binary_operatorINSA_8equal_toIvEEEENSN_INSM_8argumentILj0EEEEENSM_5valueIfEEEEEEEEEEEE10hipError_tPvRmT3_T4_T5_T6_T7_T9_mT8_P12ihipStream_tbDpT10_ENKUlT_T0_E_clISt17integral_constantIbLb0EES1J_IbLb1EEEEDaS1F_S1G_EUlS1F_E_NS1_11comp_targetILNS1_3genE5ELNS1_11target_archE942ELNS1_3gpuE9ELNS1_3repE0EEENS1_30default_config_static_selectorELNS0_4arch9wavefront6targetE0EEEvT1_,@function
_ZN7rocprim17ROCPRIM_400000_NS6detail17trampoline_kernelINS0_14default_configENS1_25partition_config_selectorILNS1_17partition_subalgoE6EfNS0_10empty_typeEbEEZZNS1_14partition_implILS5_6ELb0ES3_mN6thrust23THRUST_200600_302600_NS6detail15normal_iteratorINSA_10device_ptrIfEEEEPS6_SG_NS0_5tupleIJSF_S6_EEENSH_IJSG_SG_EEES6_PlJNSB_9not_fun_tINSB_10functional5actorINSM_9compositeIJNSM_27transparent_binary_operatorINSA_8equal_toIvEEEENSN_INSM_8argumentILj0EEEEENSM_5valueIfEEEEEEEEEEEE10hipError_tPvRmT3_T4_T5_T6_T7_T9_mT8_P12ihipStream_tbDpT10_ENKUlT_T0_E_clISt17integral_constantIbLb0EES1J_IbLb1EEEEDaS1F_S1G_EUlS1F_E_NS1_11comp_targetILNS1_3genE5ELNS1_11target_archE942ELNS1_3gpuE9ELNS1_3repE0EEENS1_30default_config_static_selectorELNS0_4arch9wavefront6targetE0EEEvT1_: ; @_ZN7rocprim17ROCPRIM_400000_NS6detail17trampoline_kernelINS0_14default_configENS1_25partition_config_selectorILNS1_17partition_subalgoE6EfNS0_10empty_typeEbEEZZNS1_14partition_implILS5_6ELb0ES3_mN6thrust23THRUST_200600_302600_NS6detail15normal_iteratorINSA_10device_ptrIfEEEEPS6_SG_NS0_5tupleIJSF_S6_EEENSH_IJSG_SG_EEES6_PlJNSB_9not_fun_tINSB_10functional5actorINSM_9compositeIJNSM_27transparent_binary_operatorINSA_8equal_toIvEEEENSN_INSM_8argumentILj0EEEEENSM_5valueIfEEEEEEEEEEEE10hipError_tPvRmT3_T4_T5_T6_T7_T9_mT8_P12ihipStream_tbDpT10_ENKUlT_T0_E_clISt17integral_constantIbLb0EES1J_IbLb1EEEEDaS1F_S1G_EUlS1F_E_NS1_11comp_targetILNS1_3genE5ELNS1_11target_archE942ELNS1_3gpuE9ELNS1_3repE0EEENS1_30default_config_static_selectorELNS0_4arch9wavefront6targetE0EEEvT1_
; %bb.0:
	.section	.rodata,"a",@progbits
	.p2align	6, 0x0
	.amdhsa_kernel _ZN7rocprim17ROCPRIM_400000_NS6detail17trampoline_kernelINS0_14default_configENS1_25partition_config_selectorILNS1_17partition_subalgoE6EfNS0_10empty_typeEbEEZZNS1_14partition_implILS5_6ELb0ES3_mN6thrust23THRUST_200600_302600_NS6detail15normal_iteratorINSA_10device_ptrIfEEEEPS6_SG_NS0_5tupleIJSF_S6_EEENSH_IJSG_SG_EEES6_PlJNSB_9not_fun_tINSB_10functional5actorINSM_9compositeIJNSM_27transparent_binary_operatorINSA_8equal_toIvEEEENSN_INSM_8argumentILj0EEEEENSM_5valueIfEEEEEEEEEEEE10hipError_tPvRmT3_T4_T5_T6_T7_T9_mT8_P12ihipStream_tbDpT10_ENKUlT_T0_E_clISt17integral_constantIbLb0EES1J_IbLb1EEEEDaS1F_S1G_EUlS1F_E_NS1_11comp_targetILNS1_3genE5ELNS1_11target_archE942ELNS1_3gpuE9ELNS1_3repE0EEENS1_30default_config_static_selectorELNS0_4arch9wavefront6targetE0EEEvT1_
		.amdhsa_group_segment_fixed_size 0
		.amdhsa_private_segment_fixed_size 0
		.amdhsa_kernarg_size 128
		.amdhsa_user_sgpr_count 2
		.amdhsa_user_sgpr_dispatch_ptr 0
		.amdhsa_user_sgpr_queue_ptr 0
		.amdhsa_user_sgpr_kernarg_segment_ptr 1
		.amdhsa_user_sgpr_dispatch_id 0
		.amdhsa_user_sgpr_private_segment_size 0
		.amdhsa_wavefront_size32 1
		.amdhsa_uses_dynamic_stack 0
		.amdhsa_enable_private_segment 0
		.amdhsa_system_sgpr_workgroup_id_x 1
		.amdhsa_system_sgpr_workgroup_id_y 0
		.amdhsa_system_sgpr_workgroup_id_z 0
		.amdhsa_system_sgpr_workgroup_info 0
		.amdhsa_system_vgpr_workitem_id 0
		.amdhsa_next_free_vgpr 1
		.amdhsa_next_free_sgpr 1
		.amdhsa_reserve_vcc 0
		.amdhsa_float_round_mode_32 0
		.amdhsa_float_round_mode_16_64 0
		.amdhsa_float_denorm_mode_32 3
		.amdhsa_float_denorm_mode_16_64 3
		.amdhsa_fp16_overflow 0
		.amdhsa_workgroup_processor_mode 1
		.amdhsa_memory_ordered 1
		.amdhsa_forward_progress 1
		.amdhsa_inst_pref_size 0
		.amdhsa_round_robin_scheduling 0
		.amdhsa_exception_fp_ieee_invalid_op 0
		.amdhsa_exception_fp_denorm_src 0
		.amdhsa_exception_fp_ieee_div_zero 0
		.amdhsa_exception_fp_ieee_overflow 0
		.amdhsa_exception_fp_ieee_underflow 0
		.amdhsa_exception_fp_ieee_inexact 0
		.amdhsa_exception_int_div_zero 0
	.end_amdhsa_kernel
	.section	.text._ZN7rocprim17ROCPRIM_400000_NS6detail17trampoline_kernelINS0_14default_configENS1_25partition_config_selectorILNS1_17partition_subalgoE6EfNS0_10empty_typeEbEEZZNS1_14partition_implILS5_6ELb0ES3_mN6thrust23THRUST_200600_302600_NS6detail15normal_iteratorINSA_10device_ptrIfEEEEPS6_SG_NS0_5tupleIJSF_S6_EEENSH_IJSG_SG_EEES6_PlJNSB_9not_fun_tINSB_10functional5actorINSM_9compositeIJNSM_27transparent_binary_operatorINSA_8equal_toIvEEEENSN_INSM_8argumentILj0EEEEENSM_5valueIfEEEEEEEEEEEE10hipError_tPvRmT3_T4_T5_T6_T7_T9_mT8_P12ihipStream_tbDpT10_ENKUlT_T0_E_clISt17integral_constantIbLb0EES1J_IbLb1EEEEDaS1F_S1G_EUlS1F_E_NS1_11comp_targetILNS1_3genE5ELNS1_11target_archE942ELNS1_3gpuE9ELNS1_3repE0EEENS1_30default_config_static_selectorELNS0_4arch9wavefront6targetE0EEEvT1_,"axG",@progbits,_ZN7rocprim17ROCPRIM_400000_NS6detail17trampoline_kernelINS0_14default_configENS1_25partition_config_selectorILNS1_17partition_subalgoE6EfNS0_10empty_typeEbEEZZNS1_14partition_implILS5_6ELb0ES3_mN6thrust23THRUST_200600_302600_NS6detail15normal_iteratorINSA_10device_ptrIfEEEEPS6_SG_NS0_5tupleIJSF_S6_EEENSH_IJSG_SG_EEES6_PlJNSB_9not_fun_tINSB_10functional5actorINSM_9compositeIJNSM_27transparent_binary_operatorINSA_8equal_toIvEEEENSN_INSM_8argumentILj0EEEEENSM_5valueIfEEEEEEEEEEEE10hipError_tPvRmT3_T4_T5_T6_T7_T9_mT8_P12ihipStream_tbDpT10_ENKUlT_T0_E_clISt17integral_constantIbLb0EES1J_IbLb1EEEEDaS1F_S1G_EUlS1F_E_NS1_11comp_targetILNS1_3genE5ELNS1_11target_archE942ELNS1_3gpuE9ELNS1_3repE0EEENS1_30default_config_static_selectorELNS0_4arch9wavefront6targetE0EEEvT1_,comdat
.Lfunc_end72:
	.size	_ZN7rocprim17ROCPRIM_400000_NS6detail17trampoline_kernelINS0_14default_configENS1_25partition_config_selectorILNS1_17partition_subalgoE6EfNS0_10empty_typeEbEEZZNS1_14partition_implILS5_6ELb0ES3_mN6thrust23THRUST_200600_302600_NS6detail15normal_iteratorINSA_10device_ptrIfEEEEPS6_SG_NS0_5tupleIJSF_S6_EEENSH_IJSG_SG_EEES6_PlJNSB_9not_fun_tINSB_10functional5actorINSM_9compositeIJNSM_27transparent_binary_operatorINSA_8equal_toIvEEEENSN_INSM_8argumentILj0EEEEENSM_5valueIfEEEEEEEEEEEE10hipError_tPvRmT3_T4_T5_T6_T7_T9_mT8_P12ihipStream_tbDpT10_ENKUlT_T0_E_clISt17integral_constantIbLb0EES1J_IbLb1EEEEDaS1F_S1G_EUlS1F_E_NS1_11comp_targetILNS1_3genE5ELNS1_11target_archE942ELNS1_3gpuE9ELNS1_3repE0EEENS1_30default_config_static_selectorELNS0_4arch9wavefront6targetE0EEEvT1_, .Lfunc_end72-_ZN7rocprim17ROCPRIM_400000_NS6detail17trampoline_kernelINS0_14default_configENS1_25partition_config_selectorILNS1_17partition_subalgoE6EfNS0_10empty_typeEbEEZZNS1_14partition_implILS5_6ELb0ES3_mN6thrust23THRUST_200600_302600_NS6detail15normal_iteratorINSA_10device_ptrIfEEEEPS6_SG_NS0_5tupleIJSF_S6_EEENSH_IJSG_SG_EEES6_PlJNSB_9not_fun_tINSB_10functional5actorINSM_9compositeIJNSM_27transparent_binary_operatorINSA_8equal_toIvEEEENSN_INSM_8argumentILj0EEEEENSM_5valueIfEEEEEEEEEEEE10hipError_tPvRmT3_T4_T5_T6_T7_T9_mT8_P12ihipStream_tbDpT10_ENKUlT_T0_E_clISt17integral_constantIbLb0EES1J_IbLb1EEEEDaS1F_S1G_EUlS1F_E_NS1_11comp_targetILNS1_3genE5ELNS1_11target_archE942ELNS1_3gpuE9ELNS1_3repE0EEENS1_30default_config_static_selectorELNS0_4arch9wavefront6targetE0EEEvT1_
                                        ; -- End function
	.set _ZN7rocprim17ROCPRIM_400000_NS6detail17trampoline_kernelINS0_14default_configENS1_25partition_config_selectorILNS1_17partition_subalgoE6EfNS0_10empty_typeEbEEZZNS1_14partition_implILS5_6ELb0ES3_mN6thrust23THRUST_200600_302600_NS6detail15normal_iteratorINSA_10device_ptrIfEEEEPS6_SG_NS0_5tupleIJSF_S6_EEENSH_IJSG_SG_EEES6_PlJNSB_9not_fun_tINSB_10functional5actorINSM_9compositeIJNSM_27transparent_binary_operatorINSA_8equal_toIvEEEENSN_INSM_8argumentILj0EEEEENSM_5valueIfEEEEEEEEEEEE10hipError_tPvRmT3_T4_T5_T6_T7_T9_mT8_P12ihipStream_tbDpT10_ENKUlT_T0_E_clISt17integral_constantIbLb0EES1J_IbLb1EEEEDaS1F_S1G_EUlS1F_E_NS1_11comp_targetILNS1_3genE5ELNS1_11target_archE942ELNS1_3gpuE9ELNS1_3repE0EEENS1_30default_config_static_selectorELNS0_4arch9wavefront6targetE0EEEvT1_.num_vgpr, 0
	.set _ZN7rocprim17ROCPRIM_400000_NS6detail17trampoline_kernelINS0_14default_configENS1_25partition_config_selectorILNS1_17partition_subalgoE6EfNS0_10empty_typeEbEEZZNS1_14partition_implILS5_6ELb0ES3_mN6thrust23THRUST_200600_302600_NS6detail15normal_iteratorINSA_10device_ptrIfEEEEPS6_SG_NS0_5tupleIJSF_S6_EEENSH_IJSG_SG_EEES6_PlJNSB_9not_fun_tINSB_10functional5actorINSM_9compositeIJNSM_27transparent_binary_operatorINSA_8equal_toIvEEEENSN_INSM_8argumentILj0EEEEENSM_5valueIfEEEEEEEEEEEE10hipError_tPvRmT3_T4_T5_T6_T7_T9_mT8_P12ihipStream_tbDpT10_ENKUlT_T0_E_clISt17integral_constantIbLb0EES1J_IbLb1EEEEDaS1F_S1G_EUlS1F_E_NS1_11comp_targetILNS1_3genE5ELNS1_11target_archE942ELNS1_3gpuE9ELNS1_3repE0EEENS1_30default_config_static_selectorELNS0_4arch9wavefront6targetE0EEEvT1_.num_agpr, 0
	.set _ZN7rocprim17ROCPRIM_400000_NS6detail17trampoline_kernelINS0_14default_configENS1_25partition_config_selectorILNS1_17partition_subalgoE6EfNS0_10empty_typeEbEEZZNS1_14partition_implILS5_6ELb0ES3_mN6thrust23THRUST_200600_302600_NS6detail15normal_iteratorINSA_10device_ptrIfEEEEPS6_SG_NS0_5tupleIJSF_S6_EEENSH_IJSG_SG_EEES6_PlJNSB_9not_fun_tINSB_10functional5actorINSM_9compositeIJNSM_27transparent_binary_operatorINSA_8equal_toIvEEEENSN_INSM_8argumentILj0EEEEENSM_5valueIfEEEEEEEEEEEE10hipError_tPvRmT3_T4_T5_T6_T7_T9_mT8_P12ihipStream_tbDpT10_ENKUlT_T0_E_clISt17integral_constantIbLb0EES1J_IbLb1EEEEDaS1F_S1G_EUlS1F_E_NS1_11comp_targetILNS1_3genE5ELNS1_11target_archE942ELNS1_3gpuE9ELNS1_3repE0EEENS1_30default_config_static_selectorELNS0_4arch9wavefront6targetE0EEEvT1_.numbered_sgpr, 0
	.set _ZN7rocprim17ROCPRIM_400000_NS6detail17trampoline_kernelINS0_14default_configENS1_25partition_config_selectorILNS1_17partition_subalgoE6EfNS0_10empty_typeEbEEZZNS1_14partition_implILS5_6ELb0ES3_mN6thrust23THRUST_200600_302600_NS6detail15normal_iteratorINSA_10device_ptrIfEEEEPS6_SG_NS0_5tupleIJSF_S6_EEENSH_IJSG_SG_EEES6_PlJNSB_9not_fun_tINSB_10functional5actorINSM_9compositeIJNSM_27transparent_binary_operatorINSA_8equal_toIvEEEENSN_INSM_8argumentILj0EEEEENSM_5valueIfEEEEEEEEEEEE10hipError_tPvRmT3_T4_T5_T6_T7_T9_mT8_P12ihipStream_tbDpT10_ENKUlT_T0_E_clISt17integral_constantIbLb0EES1J_IbLb1EEEEDaS1F_S1G_EUlS1F_E_NS1_11comp_targetILNS1_3genE5ELNS1_11target_archE942ELNS1_3gpuE9ELNS1_3repE0EEENS1_30default_config_static_selectorELNS0_4arch9wavefront6targetE0EEEvT1_.num_named_barrier, 0
	.set _ZN7rocprim17ROCPRIM_400000_NS6detail17trampoline_kernelINS0_14default_configENS1_25partition_config_selectorILNS1_17partition_subalgoE6EfNS0_10empty_typeEbEEZZNS1_14partition_implILS5_6ELb0ES3_mN6thrust23THRUST_200600_302600_NS6detail15normal_iteratorINSA_10device_ptrIfEEEEPS6_SG_NS0_5tupleIJSF_S6_EEENSH_IJSG_SG_EEES6_PlJNSB_9not_fun_tINSB_10functional5actorINSM_9compositeIJNSM_27transparent_binary_operatorINSA_8equal_toIvEEEENSN_INSM_8argumentILj0EEEEENSM_5valueIfEEEEEEEEEEEE10hipError_tPvRmT3_T4_T5_T6_T7_T9_mT8_P12ihipStream_tbDpT10_ENKUlT_T0_E_clISt17integral_constantIbLb0EES1J_IbLb1EEEEDaS1F_S1G_EUlS1F_E_NS1_11comp_targetILNS1_3genE5ELNS1_11target_archE942ELNS1_3gpuE9ELNS1_3repE0EEENS1_30default_config_static_selectorELNS0_4arch9wavefront6targetE0EEEvT1_.private_seg_size, 0
	.set _ZN7rocprim17ROCPRIM_400000_NS6detail17trampoline_kernelINS0_14default_configENS1_25partition_config_selectorILNS1_17partition_subalgoE6EfNS0_10empty_typeEbEEZZNS1_14partition_implILS5_6ELb0ES3_mN6thrust23THRUST_200600_302600_NS6detail15normal_iteratorINSA_10device_ptrIfEEEEPS6_SG_NS0_5tupleIJSF_S6_EEENSH_IJSG_SG_EEES6_PlJNSB_9not_fun_tINSB_10functional5actorINSM_9compositeIJNSM_27transparent_binary_operatorINSA_8equal_toIvEEEENSN_INSM_8argumentILj0EEEEENSM_5valueIfEEEEEEEEEEEE10hipError_tPvRmT3_T4_T5_T6_T7_T9_mT8_P12ihipStream_tbDpT10_ENKUlT_T0_E_clISt17integral_constantIbLb0EES1J_IbLb1EEEEDaS1F_S1G_EUlS1F_E_NS1_11comp_targetILNS1_3genE5ELNS1_11target_archE942ELNS1_3gpuE9ELNS1_3repE0EEENS1_30default_config_static_selectorELNS0_4arch9wavefront6targetE0EEEvT1_.uses_vcc, 0
	.set _ZN7rocprim17ROCPRIM_400000_NS6detail17trampoline_kernelINS0_14default_configENS1_25partition_config_selectorILNS1_17partition_subalgoE6EfNS0_10empty_typeEbEEZZNS1_14partition_implILS5_6ELb0ES3_mN6thrust23THRUST_200600_302600_NS6detail15normal_iteratorINSA_10device_ptrIfEEEEPS6_SG_NS0_5tupleIJSF_S6_EEENSH_IJSG_SG_EEES6_PlJNSB_9not_fun_tINSB_10functional5actorINSM_9compositeIJNSM_27transparent_binary_operatorINSA_8equal_toIvEEEENSN_INSM_8argumentILj0EEEEENSM_5valueIfEEEEEEEEEEEE10hipError_tPvRmT3_T4_T5_T6_T7_T9_mT8_P12ihipStream_tbDpT10_ENKUlT_T0_E_clISt17integral_constantIbLb0EES1J_IbLb1EEEEDaS1F_S1G_EUlS1F_E_NS1_11comp_targetILNS1_3genE5ELNS1_11target_archE942ELNS1_3gpuE9ELNS1_3repE0EEENS1_30default_config_static_selectorELNS0_4arch9wavefront6targetE0EEEvT1_.uses_flat_scratch, 0
	.set _ZN7rocprim17ROCPRIM_400000_NS6detail17trampoline_kernelINS0_14default_configENS1_25partition_config_selectorILNS1_17partition_subalgoE6EfNS0_10empty_typeEbEEZZNS1_14partition_implILS5_6ELb0ES3_mN6thrust23THRUST_200600_302600_NS6detail15normal_iteratorINSA_10device_ptrIfEEEEPS6_SG_NS0_5tupleIJSF_S6_EEENSH_IJSG_SG_EEES6_PlJNSB_9not_fun_tINSB_10functional5actorINSM_9compositeIJNSM_27transparent_binary_operatorINSA_8equal_toIvEEEENSN_INSM_8argumentILj0EEEEENSM_5valueIfEEEEEEEEEEEE10hipError_tPvRmT3_T4_T5_T6_T7_T9_mT8_P12ihipStream_tbDpT10_ENKUlT_T0_E_clISt17integral_constantIbLb0EES1J_IbLb1EEEEDaS1F_S1G_EUlS1F_E_NS1_11comp_targetILNS1_3genE5ELNS1_11target_archE942ELNS1_3gpuE9ELNS1_3repE0EEENS1_30default_config_static_selectorELNS0_4arch9wavefront6targetE0EEEvT1_.has_dyn_sized_stack, 0
	.set _ZN7rocprim17ROCPRIM_400000_NS6detail17trampoline_kernelINS0_14default_configENS1_25partition_config_selectorILNS1_17partition_subalgoE6EfNS0_10empty_typeEbEEZZNS1_14partition_implILS5_6ELb0ES3_mN6thrust23THRUST_200600_302600_NS6detail15normal_iteratorINSA_10device_ptrIfEEEEPS6_SG_NS0_5tupleIJSF_S6_EEENSH_IJSG_SG_EEES6_PlJNSB_9not_fun_tINSB_10functional5actorINSM_9compositeIJNSM_27transparent_binary_operatorINSA_8equal_toIvEEEENSN_INSM_8argumentILj0EEEEENSM_5valueIfEEEEEEEEEEEE10hipError_tPvRmT3_T4_T5_T6_T7_T9_mT8_P12ihipStream_tbDpT10_ENKUlT_T0_E_clISt17integral_constantIbLb0EES1J_IbLb1EEEEDaS1F_S1G_EUlS1F_E_NS1_11comp_targetILNS1_3genE5ELNS1_11target_archE942ELNS1_3gpuE9ELNS1_3repE0EEENS1_30default_config_static_selectorELNS0_4arch9wavefront6targetE0EEEvT1_.has_recursion, 0
	.set _ZN7rocprim17ROCPRIM_400000_NS6detail17trampoline_kernelINS0_14default_configENS1_25partition_config_selectorILNS1_17partition_subalgoE6EfNS0_10empty_typeEbEEZZNS1_14partition_implILS5_6ELb0ES3_mN6thrust23THRUST_200600_302600_NS6detail15normal_iteratorINSA_10device_ptrIfEEEEPS6_SG_NS0_5tupleIJSF_S6_EEENSH_IJSG_SG_EEES6_PlJNSB_9not_fun_tINSB_10functional5actorINSM_9compositeIJNSM_27transparent_binary_operatorINSA_8equal_toIvEEEENSN_INSM_8argumentILj0EEEEENSM_5valueIfEEEEEEEEEEEE10hipError_tPvRmT3_T4_T5_T6_T7_T9_mT8_P12ihipStream_tbDpT10_ENKUlT_T0_E_clISt17integral_constantIbLb0EES1J_IbLb1EEEEDaS1F_S1G_EUlS1F_E_NS1_11comp_targetILNS1_3genE5ELNS1_11target_archE942ELNS1_3gpuE9ELNS1_3repE0EEENS1_30default_config_static_selectorELNS0_4arch9wavefront6targetE0EEEvT1_.has_indirect_call, 0
	.section	.AMDGPU.csdata,"",@progbits
; Kernel info:
; codeLenInByte = 0
; TotalNumSgprs: 0
; NumVgprs: 0
; ScratchSize: 0
; MemoryBound: 0
; FloatMode: 240
; IeeeMode: 1
; LDSByteSize: 0 bytes/workgroup (compile time only)
; SGPRBlocks: 0
; VGPRBlocks: 0
; NumSGPRsForWavesPerEU: 1
; NumVGPRsForWavesPerEU: 1
; Occupancy: 16
; WaveLimiterHint : 0
; COMPUTE_PGM_RSRC2:SCRATCH_EN: 0
; COMPUTE_PGM_RSRC2:USER_SGPR: 2
; COMPUTE_PGM_RSRC2:TRAP_HANDLER: 0
; COMPUTE_PGM_RSRC2:TGID_X_EN: 1
; COMPUTE_PGM_RSRC2:TGID_Y_EN: 0
; COMPUTE_PGM_RSRC2:TGID_Z_EN: 0
; COMPUTE_PGM_RSRC2:TIDIG_COMP_CNT: 0
	.section	.text._ZN7rocprim17ROCPRIM_400000_NS6detail17trampoline_kernelINS0_14default_configENS1_25partition_config_selectorILNS1_17partition_subalgoE6EfNS0_10empty_typeEbEEZZNS1_14partition_implILS5_6ELb0ES3_mN6thrust23THRUST_200600_302600_NS6detail15normal_iteratorINSA_10device_ptrIfEEEEPS6_SG_NS0_5tupleIJSF_S6_EEENSH_IJSG_SG_EEES6_PlJNSB_9not_fun_tINSB_10functional5actorINSM_9compositeIJNSM_27transparent_binary_operatorINSA_8equal_toIvEEEENSN_INSM_8argumentILj0EEEEENSM_5valueIfEEEEEEEEEEEE10hipError_tPvRmT3_T4_T5_T6_T7_T9_mT8_P12ihipStream_tbDpT10_ENKUlT_T0_E_clISt17integral_constantIbLb0EES1J_IbLb1EEEEDaS1F_S1G_EUlS1F_E_NS1_11comp_targetILNS1_3genE4ELNS1_11target_archE910ELNS1_3gpuE8ELNS1_3repE0EEENS1_30default_config_static_selectorELNS0_4arch9wavefront6targetE0EEEvT1_,"axG",@progbits,_ZN7rocprim17ROCPRIM_400000_NS6detail17trampoline_kernelINS0_14default_configENS1_25partition_config_selectorILNS1_17partition_subalgoE6EfNS0_10empty_typeEbEEZZNS1_14partition_implILS5_6ELb0ES3_mN6thrust23THRUST_200600_302600_NS6detail15normal_iteratorINSA_10device_ptrIfEEEEPS6_SG_NS0_5tupleIJSF_S6_EEENSH_IJSG_SG_EEES6_PlJNSB_9not_fun_tINSB_10functional5actorINSM_9compositeIJNSM_27transparent_binary_operatorINSA_8equal_toIvEEEENSN_INSM_8argumentILj0EEEEENSM_5valueIfEEEEEEEEEEEE10hipError_tPvRmT3_T4_T5_T6_T7_T9_mT8_P12ihipStream_tbDpT10_ENKUlT_T0_E_clISt17integral_constantIbLb0EES1J_IbLb1EEEEDaS1F_S1G_EUlS1F_E_NS1_11comp_targetILNS1_3genE4ELNS1_11target_archE910ELNS1_3gpuE8ELNS1_3repE0EEENS1_30default_config_static_selectorELNS0_4arch9wavefront6targetE0EEEvT1_,comdat
	.protected	_ZN7rocprim17ROCPRIM_400000_NS6detail17trampoline_kernelINS0_14default_configENS1_25partition_config_selectorILNS1_17partition_subalgoE6EfNS0_10empty_typeEbEEZZNS1_14partition_implILS5_6ELb0ES3_mN6thrust23THRUST_200600_302600_NS6detail15normal_iteratorINSA_10device_ptrIfEEEEPS6_SG_NS0_5tupleIJSF_S6_EEENSH_IJSG_SG_EEES6_PlJNSB_9not_fun_tINSB_10functional5actorINSM_9compositeIJNSM_27transparent_binary_operatorINSA_8equal_toIvEEEENSN_INSM_8argumentILj0EEEEENSM_5valueIfEEEEEEEEEEEE10hipError_tPvRmT3_T4_T5_T6_T7_T9_mT8_P12ihipStream_tbDpT10_ENKUlT_T0_E_clISt17integral_constantIbLb0EES1J_IbLb1EEEEDaS1F_S1G_EUlS1F_E_NS1_11comp_targetILNS1_3genE4ELNS1_11target_archE910ELNS1_3gpuE8ELNS1_3repE0EEENS1_30default_config_static_selectorELNS0_4arch9wavefront6targetE0EEEvT1_ ; -- Begin function _ZN7rocprim17ROCPRIM_400000_NS6detail17trampoline_kernelINS0_14default_configENS1_25partition_config_selectorILNS1_17partition_subalgoE6EfNS0_10empty_typeEbEEZZNS1_14partition_implILS5_6ELb0ES3_mN6thrust23THRUST_200600_302600_NS6detail15normal_iteratorINSA_10device_ptrIfEEEEPS6_SG_NS0_5tupleIJSF_S6_EEENSH_IJSG_SG_EEES6_PlJNSB_9not_fun_tINSB_10functional5actorINSM_9compositeIJNSM_27transparent_binary_operatorINSA_8equal_toIvEEEENSN_INSM_8argumentILj0EEEEENSM_5valueIfEEEEEEEEEEEE10hipError_tPvRmT3_T4_T5_T6_T7_T9_mT8_P12ihipStream_tbDpT10_ENKUlT_T0_E_clISt17integral_constantIbLb0EES1J_IbLb1EEEEDaS1F_S1G_EUlS1F_E_NS1_11comp_targetILNS1_3genE4ELNS1_11target_archE910ELNS1_3gpuE8ELNS1_3repE0EEENS1_30default_config_static_selectorELNS0_4arch9wavefront6targetE0EEEvT1_
	.globl	_ZN7rocprim17ROCPRIM_400000_NS6detail17trampoline_kernelINS0_14default_configENS1_25partition_config_selectorILNS1_17partition_subalgoE6EfNS0_10empty_typeEbEEZZNS1_14partition_implILS5_6ELb0ES3_mN6thrust23THRUST_200600_302600_NS6detail15normal_iteratorINSA_10device_ptrIfEEEEPS6_SG_NS0_5tupleIJSF_S6_EEENSH_IJSG_SG_EEES6_PlJNSB_9not_fun_tINSB_10functional5actorINSM_9compositeIJNSM_27transparent_binary_operatorINSA_8equal_toIvEEEENSN_INSM_8argumentILj0EEEEENSM_5valueIfEEEEEEEEEEEE10hipError_tPvRmT3_T4_T5_T6_T7_T9_mT8_P12ihipStream_tbDpT10_ENKUlT_T0_E_clISt17integral_constantIbLb0EES1J_IbLb1EEEEDaS1F_S1G_EUlS1F_E_NS1_11comp_targetILNS1_3genE4ELNS1_11target_archE910ELNS1_3gpuE8ELNS1_3repE0EEENS1_30default_config_static_selectorELNS0_4arch9wavefront6targetE0EEEvT1_
	.p2align	8
	.type	_ZN7rocprim17ROCPRIM_400000_NS6detail17trampoline_kernelINS0_14default_configENS1_25partition_config_selectorILNS1_17partition_subalgoE6EfNS0_10empty_typeEbEEZZNS1_14partition_implILS5_6ELb0ES3_mN6thrust23THRUST_200600_302600_NS6detail15normal_iteratorINSA_10device_ptrIfEEEEPS6_SG_NS0_5tupleIJSF_S6_EEENSH_IJSG_SG_EEES6_PlJNSB_9not_fun_tINSB_10functional5actorINSM_9compositeIJNSM_27transparent_binary_operatorINSA_8equal_toIvEEEENSN_INSM_8argumentILj0EEEEENSM_5valueIfEEEEEEEEEEEE10hipError_tPvRmT3_T4_T5_T6_T7_T9_mT8_P12ihipStream_tbDpT10_ENKUlT_T0_E_clISt17integral_constantIbLb0EES1J_IbLb1EEEEDaS1F_S1G_EUlS1F_E_NS1_11comp_targetILNS1_3genE4ELNS1_11target_archE910ELNS1_3gpuE8ELNS1_3repE0EEENS1_30default_config_static_selectorELNS0_4arch9wavefront6targetE0EEEvT1_,@function
_ZN7rocprim17ROCPRIM_400000_NS6detail17trampoline_kernelINS0_14default_configENS1_25partition_config_selectorILNS1_17partition_subalgoE6EfNS0_10empty_typeEbEEZZNS1_14partition_implILS5_6ELb0ES3_mN6thrust23THRUST_200600_302600_NS6detail15normal_iteratorINSA_10device_ptrIfEEEEPS6_SG_NS0_5tupleIJSF_S6_EEENSH_IJSG_SG_EEES6_PlJNSB_9not_fun_tINSB_10functional5actorINSM_9compositeIJNSM_27transparent_binary_operatorINSA_8equal_toIvEEEENSN_INSM_8argumentILj0EEEEENSM_5valueIfEEEEEEEEEEEE10hipError_tPvRmT3_T4_T5_T6_T7_T9_mT8_P12ihipStream_tbDpT10_ENKUlT_T0_E_clISt17integral_constantIbLb0EES1J_IbLb1EEEEDaS1F_S1G_EUlS1F_E_NS1_11comp_targetILNS1_3genE4ELNS1_11target_archE910ELNS1_3gpuE8ELNS1_3repE0EEENS1_30default_config_static_selectorELNS0_4arch9wavefront6targetE0EEEvT1_: ; @_ZN7rocprim17ROCPRIM_400000_NS6detail17trampoline_kernelINS0_14default_configENS1_25partition_config_selectorILNS1_17partition_subalgoE6EfNS0_10empty_typeEbEEZZNS1_14partition_implILS5_6ELb0ES3_mN6thrust23THRUST_200600_302600_NS6detail15normal_iteratorINSA_10device_ptrIfEEEEPS6_SG_NS0_5tupleIJSF_S6_EEENSH_IJSG_SG_EEES6_PlJNSB_9not_fun_tINSB_10functional5actorINSM_9compositeIJNSM_27transparent_binary_operatorINSA_8equal_toIvEEEENSN_INSM_8argumentILj0EEEEENSM_5valueIfEEEEEEEEEEEE10hipError_tPvRmT3_T4_T5_T6_T7_T9_mT8_P12ihipStream_tbDpT10_ENKUlT_T0_E_clISt17integral_constantIbLb0EES1J_IbLb1EEEEDaS1F_S1G_EUlS1F_E_NS1_11comp_targetILNS1_3genE4ELNS1_11target_archE910ELNS1_3gpuE8ELNS1_3repE0EEENS1_30default_config_static_selectorELNS0_4arch9wavefront6targetE0EEEvT1_
; %bb.0:
	.section	.rodata,"a",@progbits
	.p2align	6, 0x0
	.amdhsa_kernel _ZN7rocprim17ROCPRIM_400000_NS6detail17trampoline_kernelINS0_14default_configENS1_25partition_config_selectorILNS1_17partition_subalgoE6EfNS0_10empty_typeEbEEZZNS1_14partition_implILS5_6ELb0ES3_mN6thrust23THRUST_200600_302600_NS6detail15normal_iteratorINSA_10device_ptrIfEEEEPS6_SG_NS0_5tupleIJSF_S6_EEENSH_IJSG_SG_EEES6_PlJNSB_9not_fun_tINSB_10functional5actorINSM_9compositeIJNSM_27transparent_binary_operatorINSA_8equal_toIvEEEENSN_INSM_8argumentILj0EEEEENSM_5valueIfEEEEEEEEEEEE10hipError_tPvRmT3_T4_T5_T6_T7_T9_mT8_P12ihipStream_tbDpT10_ENKUlT_T0_E_clISt17integral_constantIbLb0EES1J_IbLb1EEEEDaS1F_S1G_EUlS1F_E_NS1_11comp_targetILNS1_3genE4ELNS1_11target_archE910ELNS1_3gpuE8ELNS1_3repE0EEENS1_30default_config_static_selectorELNS0_4arch9wavefront6targetE0EEEvT1_
		.amdhsa_group_segment_fixed_size 0
		.amdhsa_private_segment_fixed_size 0
		.amdhsa_kernarg_size 128
		.amdhsa_user_sgpr_count 2
		.amdhsa_user_sgpr_dispatch_ptr 0
		.amdhsa_user_sgpr_queue_ptr 0
		.amdhsa_user_sgpr_kernarg_segment_ptr 1
		.amdhsa_user_sgpr_dispatch_id 0
		.amdhsa_user_sgpr_private_segment_size 0
		.amdhsa_wavefront_size32 1
		.amdhsa_uses_dynamic_stack 0
		.amdhsa_enable_private_segment 0
		.amdhsa_system_sgpr_workgroup_id_x 1
		.amdhsa_system_sgpr_workgroup_id_y 0
		.amdhsa_system_sgpr_workgroup_id_z 0
		.amdhsa_system_sgpr_workgroup_info 0
		.amdhsa_system_vgpr_workitem_id 0
		.amdhsa_next_free_vgpr 1
		.amdhsa_next_free_sgpr 1
		.amdhsa_reserve_vcc 0
		.amdhsa_float_round_mode_32 0
		.amdhsa_float_round_mode_16_64 0
		.amdhsa_float_denorm_mode_32 3
		.amdhsa_float_denorm_mode_16_64 3
		.amdhsa_fp16_overflow 0
		.amdhsa_workgroup_processor_mode 1
		.amdhsa_memory_ordered 1
		.amdhsa_forward_progress 1
		.amdhsa_inst_pref_size 0
		.amdhsa_round_robin_scheduling 0
		.amdhsa_exception_fp_ieee_invalid_op 0
		.amdhsa_exception_fp_denorm_src 0
		.amdhsa_exception_fp_ieee_div_zero 0
		.amdhsa_exception_fp_ieee_overflow 0
		.amdhsa_exception_fp_ieee_underflow 0
		.amdhsa_exception_fp_ieee_inexact 0
		.amdhsa_exception_int_div_zero 0
	.end_amdhsa_kernel
	.section	.text._ZN7rocprim17ROCPRIM_400000_NS6detail17trampoline_kernelINS0_14default_configENS1_25partition_config_selectorILNS1_17partition_subalgoE6EfNS0_10empty_typeEbEEZZNS1_14partition_implILS5_6ELb0ES3_mN6thrust23THRUST_200600_302600_NS6detail15normal_iteratorINSA_10device_ptrIfEEEEPS6_SG_NS0_5tupleIJSF_S6_EEENSH_IJSG_SG_EEES6_PlJNSB_9not_fun_tINSB_10functional5actorINSM_9compositeIJNSM_27transparent_binary_operatorINSA_8equal_toIvEEEENSN_INSM_8argumentILj0EEEEENSM_5valueIfEEEEEEEEEEEE10hipError_tPvRmT3_T4_T5_T6_T7_T9_mT8_P12ihipStream_tbDpT10_ENKUlT_T0_E_clISt17integral_constantIbLb0EES1J_IbLb1EEEEDaS1F_S1G_EUlS1F_E_NS1_11comp_targetILNS1_3genE4ELNS1_11target_archE910ELNS1_3gpuE8ELNS1_3repE0EEENS1_30default_config_static_selectorELNS0_4arch9wavefront6targetE0EEEvT1_,"axG",@progbits,_ZN7rocprim17ROCPRIM_400000_NS6detail17trampoline_kernelINS0_14default_configENS1_25partition_config_selectorILNS1_17partition_subalgoE6EfNS0_10empty_typeEbEEZZNS1_14partition_implILS5_6ELb0ES3_mN6thrust23THRUST_200600_302600_NS6detail15normal_iteratorINSA_10device_ptrIfEEEEPS6_SG_NS0_5tupleIJSF_S6_EEENSH_IJSG_SG_EEES6_PlJNSB_9not_fun_tINSB_10functional5actorINSM_9compositeIJNSM_27transparent_binary_operatorINSA_8equal_toIvEEEENSN_INSM_8argumentILj0EEEEENSM_5valueIfEEEEEEEEEEEE10hipError_tPvRmT3_T4_T5_T6_T7_T9_mT8_P12ihipStream_tbDpT10_ENKUlT_T0_E_clISt17integral_constantIbLb0EES1J_IbLb1EEEEDaS1F_S1G_EUlS1F_E_NS1_11comp_targetILNS1_3genE4ELNS1_11target_archE910ELNS1_3gpuE8ELNS1_3repE0EEENS1_30default_config_static_selectorELNS0_4arch9wavefront6targetE0EEEvT1_,comdat
.Lfunc_end73:
	.size	_ZN7rocprim17ROCPRIM_400000_NS6detail17trampoline_kernelINS0_14default_configENS1_25partition_config_selectorILNS1_17partition_subalgoE6EfNS0_10empty_typeEbEEZZNS1_14partition_implILS5_6ELb0ES3_mN6thrust23THRUST_200600_302600_NS6detail15normal_iteratorINSA_10device_ptrIfEEEEPS6_SG_NS0_5tupleIJSF_S6_EEENSH_IJSG_SG_EEES6_PlJNSB_9not_fun_tINSB_10functional5actorINSM_9compositeIJNSM_27transparent_binary_operatorINSA_8equal_toIvEEEENSN_INSM_8argumentILj0EEEEENSM_5valueIfEEEEEEEEEEEE10hipError_tPvRmT3_T4_T5_T6_T7_T9_mT8_P12ihipStream_tbDpT10_ENKUlT_T0_E_clISt17integral_constantIbLb0EES1J_IbLb1EEEEDaS1F_S1G_EUlS1F_E_NS1_11comp_targetILNS1_3genE4ELNS1_11target_archE910ELNS1_3gpuE8ELNS1_3repE0EEENS1_30default_config_static_selectorELNS0_4arch9wavefront6targetE0EEEvT1_, .Lfunc_end73-_ZN7rocprim17ROCPRIM_400000_NS6detail17trampoline_kernelINS0_14default_configENS1_25partition_config_selectorILNS1_17partition_subalgoE6EfNS0_10empty_typeEbEEZZNS1_14partition_implILS5_6ELb0ES3_mN6thrust23THRUST_200600_302600_NS6detail15normal_iteratorINSA_10device_ptrIfEEEEPS6_SG_NS0_5tupleIJSF_S6_EEENSH_IJSG_SG_EEES6_PlJNSB_9not_fun_tINSB_10functional5actorINSM_9compositeIJNSM_27transparent_binary_operatorINSA_8equal_toIvEEEENSN_INSM_8argumentILj0EEEEENSM_5valueIfEEEEEEEEEEEE10hipError_tPvRmT3_T4_T5_T6_T7_T9_mT8_P12ihipStream_tbDpT10_ENKUlT_T0_E_clISt17integral_constantIbLb0EES1J_IbLb1EEEEDaS1F_S1G_EUlS1F_E_NS1_11comp_targetILNS1_3genE4ELNS1_11target_archE910ELNS1_3gpuE8ELNS1_3repE0EEENS1_30default_config_static_selectorELNS0_4arch9wavefront6targetE0EEEvT1_
                                        ; -- End function
	.set _ZN7rocprim17ROCPRIM_400000_NS6detail17trampoline_kernelINS0_14default_configENS1_25partition_config_selectorILNS1_17partition_subalgoE6EfNS0_10empty_typeEbEEZZNS1_14partition_implILS5_6ELb0ES3_mN6thrust23THRUST_200600_302600_NS6detail15normal_iteratorINSA_10device_ptrIfEEEEPS6_SG_NS0_5tupleIJSF_S6_EEENSH_IJSG_SG_EEES6_PlJNSB_9not_fun_tINSB_10functional5actorINSM_9compositeIJNSM_27transparent_binary_operatorINSA_8equal_toIvEEEENSN_INSM_8argumentILj0EEEEENSM_5valueIfEEEEEEEEEEEE10hipError_tPvRmT3_T4_T5_T6_T7_T9_mT8_P12ihipStream_tbDpT10_ENKUlT_T0_E_clISt17integral_constantIbLb0EES1J_IbLb1EEEEDaS1F_S1G_EUlS1F_E_NS1_11comp_targetILNS1_3genE4ELNS1_11target_archE910ELNS1_3gpuE8ELNS1_3repE0EEENS1_30default_config_static_selectorELNS0_4arch9wavefront6targetE0EEEvT1_.num_vgpr, 0
	.set _ZN7rocprim17ROCPRIM_400000_NS6detail17trampoline_kernelINS0_14default_configENS1_25partition_config_selectorILNS1_17partition_subalgoE6EfNS0_10empty_typeEbEEZZNS1_14partition_implILS5_6ELb0ES3_mN6thrust23THRUST_200600_302600_NS6detail15normal_iteratorINSA_10device_ptrIfEEEEPS6_SG_NS0_5tupleIJSF_S6_EEENSH_IJSG_SG_EEES6_PlJNSB_9not_fun_tINSB_10functional5actorINSM_9compositeIJNSM_27transparent_binary_operatorINSA_8equal_toIvEEEENSN_INSM_8argumentILj0EEEEENSM_5valueIfEEEEEEEEEEEE10hipError_tPvRmT3_T4_T5_T6_T7_T9_mT8_P12ihipStream_tbDpT10_ENKUlT_T0_E_clISt17integral_constantIbLb0EES1J_IbLb1EEEEDaS1F_S1G_EUlS1F_E_NS1_11comp_targetILNS1_3genE4ELNS1_11target_archE910ELNS1_3gpuE8ELNS1_3repE0EEENS1_30default_config_static_selectorELNS0_4arch9wavefront6targetE0EEEvT1_.num_agpr, 0
	.set _ZN7rocprim17ROCPRIM_400000_NS6detail17trampoline_kernelINS0_14default_configENS1_25partition_config_selectorILNS1_17partition_subalgoE6EfNS0_10empty_typeEbEEZZNS1_14partition_implILS5_6ELb0ES3_mN6thrust23THRUST_200600_302600_NS6detail15normal_iteratorINSA_10device_ptrIfEEEEPS6_SG_NS0_5tupleIJSF_S6_EEENSH_IJSG_SG_EEES6_PlJNSB_9not_fun_tINSB_10functional5actorINSM_9compositeIJNSM_27transparent_binary_operatorINSA_8equal_toIvEEEENSN_INSM_8argumentILj0EEEEENSM_5valueIfEEEEEEEEEEEE10hipError_tPvRmT3_T4_T5_T6_T7_T9_mT8_P12ihipStream_tbDpT10_ENKUlT_T0_E_clISt17integral_constantIbLb0EES1J_IbLb1EEEEDaS1F_S1G_EUlS1F_E_NS1_11comp_targetILNS1_3genE4ELNS1_11target_archE910ELNS1_3gpuE8ELNS1_3repE0EEENS1_30default_config_static_selectorELNS0_4arch9wavefront6targetE0EEEvT1_.numbered_sgpr, 0
	.set _ZN7rocprim17ROCPRIM_400000_NS6detail17trampoline_kernelINS0_14default_configENS1_25partition_config_selectorILNS1_17partition_subalgoE6EfNS0_10empty_typeEbEEZZNS1_14partition_implILS5_6ELb0ES3_mN6thrust23THRUST_200600_302600_NS6detail15normal_iteratorINSA_10device_ptrIfEEEEPS6_SG_NS0_5tupleIJSF_S6_EEENSH_IJSG_SG_EEES6_PlJNSB_9not_fun_tINSB_10functional5actorINSM_9compositeIJNSM_27transparent_binary_operatorINSA_8equal_toIvEEEENSN_INSM_8argumentILj0EEEEENSM_5valueIfEEEEEEEEEEEE10hipError_tPvRmT3_T4_T5_T6_T7_T9_mT8_P12ihipStream_tbDpT10_ENKUlT_T0_E_clISt17integral_constantIbLb0EES1J_IbLb1EEEEDaS1F_S1G_EUlS1F_E_NS1_11comp_targetILNS1_3genE4ELNS1_11target_archE910ELNS1_3gpuE8ELNS1_3repE0EEENS1_30default_config_static_selectorELNS0_4arch9wavefront6targetE0EEEvT1_.num_named_barrier, 0
	.set _ZN7rocprim17ROCPRIM_400000_NS6detail17trampoline_kernelINS0_14default_configENS1_25partition_config_selectorILNS1_17partition_subalgoE6EfNS0_10empty_typeEbEEZZNS1_14partition_implILS5_6ELb0ES3_mN6thrust23THRUST_200600_302600_NS6detail15normal_iteratorINSA_10device_ptrIfEEEEPS6_SG_NS0_5tupleIJSF_S6_EEENSH_IJSG_SG_EEES6_PlJNSB_9not_fun_tINSB_10functional5actorINSM_9compositeIJNSM_27transparent_binary_operatorINSA_8equal_toIvEEEENSN_INSM_8argumentILj0EEEEENSM_5valueIfEEEEEEEEEEEE10hipError_tPvRmT3_T4_T5_T6_T7_T9_mT8_P12ihipStream_tbDpT10_ENKUlT_T0_E_clISt17integral_constantIbLb0EES1J_IbLb1EEEEDaS1F_S1G_EUlS1F_E_NS1_11comp_targetILNS1_3genE4ELNS1_11target_archE910ELNS1_3gpuE8ELNS1_3repE0EEENS1_30default_config_static_selectorELNS0_4arch9wavefront6targetE0EEEvT1_.private_seg_size, 0
	.set _ZN7rocprim17ROCPRIM_400000_NS6detail17trampoline_kernelINS0_14default_configENS1_25partition_config_selectorILNS1_17partition_subalgoE6EfNS0_10empty_typeEbEEZZNS1_14partition_implILS5_6ELb0ES3_mN6thrust23THRUST_200600_302600_NS6detail15normal_iteratorINSA_10device_ptrIfEEEEPS6_SG_NS0_5tupleIJSF_S6_EEENSH_IJSG_SG_EEES6_PlJNSB_9not_fun_tINSB_10functional5actorINSM_9compositeIJNSM_27transparent_binary_operatorINSA_8equal_toIvEEEENSN_INSM_8argumentILj0EEEEENSM_5valueIfEEEEEEEEEEEE10hipError_tPvRmT3_T4_T5_T6_T7_T9_mT8_P12ihipStream_tbDpT10_ENKUlT_T0_E_clISt17integral_constantIbLb0EES1J_IbLb1EEEEDaS1F_S1G_EUlS1F_E_NS1_11comp_targetILNS1_3genE4ELNS1_11target_archE910ELNS1_3gpuE8ELNS1_3repE0EEENS1_30default_config_static_selectorELNS0_4arch9wavefront6targetE0EEEvT1_.uses_vcc, 0
	.set _ZN7rocprim17ROCPRIM_400000_NS6detail17trampoline_kernelINS0_14default_configENS1_25partition_config_selectorILNS1_17partition_subalgoE6EfNS0_10empty_typeEbEEZZNS1_14partition_implILS5_6ELb0ES3_mN6thrust23THRUST_200600_302600_NS6detail15normal_iteratorINSA_10device_ptrIfEEEEPS6_SG_NS0_5tupleIJSF_S6_EEENSH_IJSG_SG_EEES6_PlJNSB_9not_fun_tINSB_10functional5actorINSM_9compositeIJNSM_27transparent_binary_operatorINSA_8equal_toIvEEEENSN_INSM_8argumentILj0EEEEENSM_5valueIfEEEEEEEEEEEE10hipError_tPvRmT3_T4_T5_T6_T7_T9_mT8_P12ihipStream_tbDpT10_ENKUlT_T0_E_clISt17integral_constantIbLb0EES1J_IbLb1EEEEDaS1F_S1G_EUlS1F_E_NS1_11comp_targetILNS1_3genE4ELNS1_11target_archE910ELNS1_3gpuE8ELNS1_3repE0EEENS1_30default_config_static_selectorELNS0_4arch9wavefront6targetE0EEEvT1_.uses_flat_scratch, 0
	.set _ZN7rocprim17ROCPRIM_400000_NS6detail17trampoline_kernelINS0_14default_configENS1_25partition_config_selectorILNS1_17partition_subalgoE6EfNS0_10empty_typeEbEEZZNS1_14partition_implILS5_6ELb0ES3_mN6thrust23THRUST_200600_302600_NS6detail15normal_iteratorINSA_10device_ptrIfEEEEPS6_SG_NS0_5tupleIJSF_S6_EEENSH_IJSG_SG_EEES6_PlJNSB_9not_fun_tINSB_10functional5actorINSM_9compositeIJNSM_27transparent_binary_operatorINSA_8equal_toIvEEEENSN_INSM_8argumentILj0EEEEENSM_5valueIfEEEEEEEEEEEE10hipError_tPvRmT3_T4_T5_T6_T7_T9_mT8_P12ihipStream_tbDpT10_ENKUlT_T0_E_clISt17integral_constantIbLb0EES1J_IbLb1EEEEDaS1F_S1G_EUlS1F_E_NS1_11comp_targetILNS1_3genE4ELNS1_11target_archE910ELNS1_3gpuE8ELNS1_3repE0EEENS1_30default_config_static_selectorELNS0_4arch9wavefront6targetE0EEEvT1_.has_dyn_sized_stack, 0
	.set _ZN7rocprim17ROCPRIM_400000_NS6detail17trampoline_kernelINS0_14default_configENS1_25partition_config_selectorILNS1_17partition_subalgoE6EfNS0_10empty_typeEbEEZZNS1_14partition_implILS5_6ELb0ES3_mN6thrust23THRUST_200600_302600_NS6detail15normal_iteratorINSA_10device_ptrIfEEEEPS6_SG_NS0_5tupleIJSF_S6_EEENSH_IJSG_SG_EEES6_PlJNSB_9not_fun_tINSB_10functional5actorINSM_9compositeIJNSM_27transparent_binary_operatorINSA_8equal_toIvEEEENSN_INSM_8argumentILj0EEEEENSM_5valueIfEEEEEEEEEEEE10hipError_tPvRmT3_T4_T5_T6_T7_T9_mT8_P12ihipStream_tbDpT10_ENKUlT_T0_E_clISt17integral_constantIbLb0EES1J_IbLb1EEEEDaS1F_S1G_EUlS1F_E_NS1_11comp_targetILNS1_3genE4ELNS1_11target_archE910ELNS1_3gpuE8ELNS1_3repE0EEENS1_30default_config_static_selectorELNS0_4arch9wavefront6targetE0EEEvT1_.has_recursion, 0
	.set _ZN7rocprim17ROCPRIM_400000_NS6detail17trampoline_kernelINS0_14default_configENS1_25partition_config_selectorILNS1_17partition_subalgoE6EfNS0_10empty_typeEbEEZZNS1_14partition_implILS5_6ELb0ES3_mN6thrust23THRUST_200600_302600_NS6detail15normal_iteratorINSA_10device_ptrIfEEEEPS6_SG_NS0_5tupleIJSF_S6_EEENSH_IJSG_SG_EEES6_PlJNSB_9not_fun_tINSB_10functional5actorINSM_9compositeIJNSM_27transparent_binary_operatorINSA_8equal_toIvEEEENSN_INSM_8argumentILj0EEEEENSM_5valueIfEEEEEEEEEEEE10hipError_tPvRmT3_T4_T5_T6_T7_T9_mT8_P12ihipStream_tbDpT10_ENKUlT_T0_E_clISt17integral_constantIbLb0EES1J_IbLb1EEEEDaS1F_S1G_EUlS1F_E_NS1_11comp_targetILNS1_3genE4ELNS1_11target_archE910ELNS1_3gpuE8ELNS1_3repE0EEENS1_30default_config_static_selectorELNS0_4arch9wavefront6targetE0EEEvT1_.has_indirect_call, 0
	.section	.AMDGPU.csdata,"",@progbits
; Kernel info:
; codeLenInByte = 0
; TotalNumSgprs: 0
; NumVgprs: 0
; ScratchSize: 0
; MemoryBound: 0
; FloatMode: 240
; IeeeMode: 1
; LDSByteSize: 0 bytes/workgroup (compile time only)
; SGPRBlocks: 0
; VGPRBlocks: 0
; NumSGPRsForWavesPerEU: 1
; NumVGPRsForWavesPerEU: 1
; Occupancy: 16
; WaveLimiterHint : 0
; COMPUTE_PGM_RSRC2:SCRATCH_EN: 0
; COMPUTE_PGM_RSRC2:USER_SGPR: 2
; COMPUTE_PGM_RSRC2:TRAP_HANDLER: 0
; COMPUTE_PGM_RSRC2:TGID_X_EN: 1
; COMPUTE_PGM_RSRC2:TGID_Y_EN: 0
; COMPUTE_PGM_RSRC2:TGID_Z_EN: 0
; COMPUTE_PGM_RSRC2:TIDIG_COMP_CNT: 0
	.section	.text._ZN7rocprim17ROCPRIM_400000_NS6detail17trampoline_kernelINS0_14default_configENS1_25partition_config_selectorILNS1_17partition_subalgoE6EfNS0_10empty_typeEbEEZZNS1_14partition_implILS5_6ELb0ES3_mN6thrust23THRUST_200600_302600_NS6detail15normal_iteratorINSA_10device_ptrIfEEEEPS6_SG_NS0_5tupleIJSF_S6_EEENSH_IJSG_SG_EEES6_PlJNSB_9not_fun_tINSB_10functional5actorINSM_9compositeIJNSM_27transparent_binary_operatorINSA_8equal_toIvEEEENSN_INSM_8argumentILj0EEEEENSM_5valueIfEEEEEEEEEEEE10hipError_tPvRmT3_T4_T5_T6_T7_T9_mT8_P12ihipStream_tbDpT10_ENKUlT_T0_E_clISt17integral_constantIbLb0EES1J_IbLb1EEEEDaS1F_S1G_EUlS1F_E_NS1_11comp_targetILNS1_3genE3ELNS1_11target_archE908ELNS1_3gpuE7ELNS1_3repE0EEENS1_30default_config_static_selectorELNS0_4arch9wavefront6targetE0EEEvT1_,"axG",@progbits,_ZN7rocprim17ROCPRIM_400000_NS6detail17trampoline_kernelINS0_14default_configENS1_25partition_config_selectorILNS1_17partition_subalgoE6EfNS0_10empty_typeEbEEZZNS1_14partition_implILS5_6ELb0ES3_mN6thrust23THRUST_200600_302600_NS6detail15normal_iteratorINSA_10device_ptrIfEEEEPS6_SG_NS0_5tupleIJSF_S6_EEENSH_IJSG_SG_EEES6_PlJNSB_9not_fun_tINSB_10functional5actorINSM_9compositeIJNSM_27transparent_binary_operatorINSA_8equal_toIvEEEENSN_INSM_8argumentILj0EEEEENSM_5valueIfEEEEEEEEEEEE10hipError_tPvRmT3_T4_T5_T6_T7_T9_mT8_P12ihipStream_tbDpT10_ENKUlT_T0_E_clISt17integral_constantIbLb0EES1J_IbLb1EEEEDaS1F_S1G_EUlS1F_E_NS1_11comp_targetILNS1_3genE3ELNS1_11target_archE908ELNS1_3gpuE7ELNS1_3repE0EEENS1_30default_config_static_selectorELNS0_4arch9wavefront6targetE0EEEvT1_,comdat
	.protected	_ZN7rocprim17ROCPRIM_400000_NS6detail17trampoline_kernelINS0_14default_configENS1_25partition_config_selectorILNS1_17partition_subalgoE6EfNS0_10empty_typeEbEEZZNS1_14partition_implILS5_6ELb0ES3_mN6thrust23THRUST_200600_302600_NS6detail15normal_iteratorINSA_10device_ptrIfEEEEPS6_SG_NS0_5tupleIJSF_S6_EEENSH_IJSG_SG_EEES6_PlJNSB_9not_fun_tINSB_10functional5actorINSM_9compositeIJNSM_27transparent_binary_operatorINSA_8equal_toIvEEEENSN_INSM_8argumentILj0EEEEENSM_5valueIfEEEEEEEEEEEE10hipError_tPvRmT3_T4_T5_T6_T7_T9_mT8_P12ihipStream_tbDpT10_ENKUlT_T0_E_clISt17integral_constantIbLb0EES1J_IbLb1EEEEDaS1F_S1G_EUlS1F_E_NS1_11comp_targetILNS1_3genE3ELNS1_11target_archE908ELNS1_3gpuE7ELNS1_3repE0EEENS1_30default_config_static_selectorELNS0_4arch9wavefront6targetE0EEEvT1_ ; -- Begin function _ZN7rocprim17ROCPRIM_400000_NS6detail17trampoline_kernelINS0_14default_configENS1_25partition_config_selectorILNS1_17partition_subalgoE6EfNS0_10empty_typeEbEEZZNS1_14partition_implILS5_6ELb0ES3_mN6thrust23THRUST_200600_302600_NS6detail15normal_iteratorINSA_10device_ptrIfEEEEPS6_SG_NS0_5tupleIJSF_S6_EEENSH_IJSG_SG_EEES6_PlJNSB_9not_fun_tINSB_10functional5actorINSM_9compositeIJNSM_27transparent_binary_operatorINSA_8equal_toIvEEEENSN_INSM_8argumentILj0EEEEENSM_5valueIfEEEEEEEEEEEE10hipError_tPvRmT3_T4_T5_T6_T7_T9_mT8_P12ihipStream_tbDpT10_ENKUlT_T0_E_clISt17integral_constantIbLb0EES1J_IbLb1EEEEDaS1F_S1G_EUlS1F_E_NS1_11comp_targetILNS1_3genE3ELNS1_11target_archE908ELNS1_3gpuE7ELNS1_3repE0EEENS1_30default_config_static_selectorELNS0_4arch9wavefront6targetE0EEEvT1_
	.globl	_ZN7rocprim17ROCPRIM_400000_NS6detail17trampoline_kernelINS0_14default_configENS1_25partition_config_selectorILNS1_17partition_subalgoE6EfNS0_10empty_typeEbEEZZNS1_14partition_implILS5_6ELb0ES3_mN6thrust23THRUST_200600_302600_NS6detail15normal_iteratorINSA_10device_ptrIfEEEEPS6_SG_NS0_5tupleIJSF_S6_EEENSH_IJSG_SG_EEES6_PlJNSB_9not_fun_tINSB_10functional5actorINSM_9compositeIJNSM_27transparent_binary_operatorINSA_8equal_toIvEEEENSN_INSM_8argumentILj0EEEEENSM_5valueIfEEEEEEEEEEEE10hipError_tPvRmT3_T4_T5_T6_T7_T9_mT8_P12ihipStream_tbDpT10_ENKUlT_T0_E_clISt17integral_constantIbLb0EES1J_IbLb1EEEEDaS1F_S1G_EUlS1F_E_NS1_11comp_targetILNS1_3genE3ELNS1_11target_archE908ELNS1_3gpuE7ELNS1_3repE0EEENS1_30default_config_static_selectorELNS0_4arch9wavefront6targetE0EEEvT1_
	.p2align	8
	.type	_ZN7rocprim17ROCPRIM_400000_NS6detail17trampoline_kernelINS0_14default_configENS1_25partition_config_selectorILNS1_17partition_subalgoE6EfNS0_10empty_typeEbEEZZNS1_14partition_implILS5_6ELb0ES3_mN6thrust23THRUST_200600_302600_NS6detail15normal_iteratorINSA_10device_ptrIfEEEEPS6_SG_NS0_5tupleIJSF_S6_EEENSH_IJSG_SG_EEES6_PlJNSB_9not_fun_tINSB_10functional5actorINSM_9compositeIJNSM_27transparent_binary_operatorINSA_8equal_toIvEEEENSN_INSM_8argumentILj0EEEEENSM_5valueIfEEEEEEEEEEEE10hipError_tPvRmT3_T4_T5_T6_T7_T9_mT8_P12ihipStream_tbDpT10_ENKUlT_T0_E_clISt17integral_constantIbLb0EES1J_IbLb1EEEEDaS1F_S1G_EUlS1F_E_NS1_11comp_targetILNS1_3genE3ELNS1_11target_archE908ELNS1_3gpuE7ELNS1_3repE0EEENS1_30default_config_static_selectorELNS0_4arch9wavefront6targetE0EEEvT1_,@function
_ZN7rocprim17ROCPRIM_400000_NS6detail17trampoline_kernelINS0_14default_configENS1_25partition_config_selectorILNS1_17partition_subalgoE6EfNS0_10empty_typeEbEEZZNS1_14partition_implILS5_6ELb0ES3_mN6thrust23THRUST_200600_302600_NS6detail15normal_iteratorINSA_10device_ptrIfEEEEPS6_SG_NS0_5tupleIJSF_S6_EEENSH_IJSG_SG_EEES6_PlJNSB_9not_fun_tINSB_10functional5actorINSM_9compositeIJNSM_27transparent_binary_operatorINSA_8equal_toIvEEEENSN_INSM_8argumentILj0EEEEENSM_5valueIfEEEEEEEEEEEE10hipError_tPvRmT3_T4_T5_T6_T7_T9_mT8_P12ihipStream_tbDpT10_ENKUlT_T0_E_clISt17integral_constantIbLb0EES1J_IbLb1EEEEDaS1F_S1G_EUlS1F_E_NS1_11comp_targetILNS1_3genE3ELNS1_11target_archE908ELNS1_3gpuE7ELNS1_3repE0EEENS1_30default_config_static_selectorELNS0_4arch9wavefront6targetE0EEEvT1_: ; @_ZN7rocprim17ROCPRIM_400000_NS6detail17trampoline_kernelINS0_14default_configENS1_25partition_config_selectorILNS1_17partition_subalgoE6EfNS0_10empty_typeEbEEZZNS1_14partition_implILS5_6ELb0ES3_mN6thrust23THRUST_200600_302600_NS6detail15normal_iteratorINSA_10device_ptrIfEEEEPS6_SG_NS0_5tupleIJSF_S6_EEENSH_IJSG_SG_EEES6_PlJNSB_9not_fun_tINSB_10functional5actorINSM_9compositeIJNSM_27transparent_binary_operatorINSA_8equal_toIvEEEENSN_INSM_8argumentILj0EEEEENSM_5valueIfEEEEEEEEEEEE10hipError_tPvRmT3_T4_T5_T6_T7_T9_mT8_P12ihipStream_tbDpT10_ENKUlT_T0_E_clISt17integral_constantIbLb0EES1J_IbLb1EEEEDaS1F_S1G_EUlS1F_E_NS1_11comp_targetILNS1_3genE3ELNS1_11target_archE908ELNS1_3gpuE7ELNS1_3repE0EEENS1_30default_config_static_selectorELNS0_4arch9wavefront6targetE0EEEvT1_
; %bb.0:
	.section	.rodata,"a",@progbits
	.p2align	6, 0x0
	.amdhsa_kernel _ZN7rocprim17ROCPRIM_400000_NS6detail17trampoline_kernelINS0_14default_configENS1_25partition_config_selectorILNS1_17partition_subalgoE6EfNS0_10empty_typeEbEEZZNS1_14partition_implILS5_6ELb0ES3_mN6thrust23THRUST_200600_302600_NS6detail15normal_iteratorINSA_10device_ptrIfEEEEPS6_SG_NS0_5tupleIJSF_S6_EEENSH_IJSG_SG_EEES6_PlJNSB_9not_fun_tINSB_10functional5actorINSM_9compositeIJNSM_27transparent_binary_operatorINSA_8equal_toIvEEEENSN_INSM_8argumentILj0EEEEENSM_5valueIfEEEEEEEEEEEE10hipError_tPvRmT3_T4_T5_T6_T7_T9_mT8_P12ihipStream_tbDpT10_ENKUlT_T0_E_clISt17integral_constantIbLb0EES1J_IbLb1EEEEDaS1F_S1G_EUlS1F_E_NS1_11comp_targetILNS1_3genE3ELNS1_11target_archE908ELNS1_3gpuE7ELNS1_3repE0EEENS1_30default_config_static_selectorELNS0_4arch9wavefront6targetE0EEEvT1_
		.amdhsa_group_segment_fixed_size 0
		.amdhsa_private_segment_fixed_size 0
		.amdhsa_kernarg_size 128
		.amdhsa_user_sgpr_count 2
		.amdhsa_user_sgpr_dispatch_ptr 0
		.amdhsa_user_sgpr_queue_ptr 0
		.amdhsa_user_sgpr_kernarg_segment_ptr 1
		.amdhsa_user_sgpr_dispatch_id 0
		.amdhsa_user_sgpr_private_segment_size 0
		.amdhsa_wavefront_size32 1
		.amdhsa_uses_dynamic_stack 0
		.amdhsa_enable_private_segment 0
		.amdhsa_system_sgpr_workgroup_id_x 1
		.amdhsa_system_sgpr_workgroup_id_y 0
		.amdhsa_system_sgpr_workgroup_id_z 0
		.amdhsa_system_sgpr_workgroup_info 0
		.amdhsa_system_vgpr_workitem_id 0
		.amdhsa_next_free_vgpr 1
		.amdhsa_next_free_sgpr 1
		.amdhsa_reserve_vcc 0
		.amdhsa_float_round_mode_32 0
		.amdhsa_float_round_mode_16_64 0
		.amdhsa_float_denorm_mode_32 3
		.amdhsa_float_denorm_mode_16_64 3
		.amdhsa_fp16_overflow 0
		.amdhsa_workgroup_processor_mode 1
		.amdhsa_memory_ordered 1
		.amdhsa_forward_progress 1
		.amdhsa_inst_pref_size 0
		.amdhsa_round_robin_scheduling 0
		.amdhsa_exception_fp_ieee_invalid_op 0
		.amdhsa_exception_fp_denorm_src 0
		.amdhsa_exception_fp_ieee_div_zero 0
		.amdhsa_exception_fp_ieee_overflow 0
		.amdhsa_exception_fp_ieee_underflow 0
		.amdhsa_exception_fp_ieee_inexact 0
		.amdhsa_exception_int_div_zero 0
	.end_amdhsa_kernel
	.section	.text._ZN7rocprim17ROCPRIM_400000_NS6detail17trampoline_kernelINS0_14default_configENS1_25partition_config_selectorILNS1_17partition_subalgoE6EfNS0_10empty_typeEbEEZZNS1_14partition_implILS5_6ELb0ES3_mN6thrust23THRUST_200600_302600_NS6detail15normal_iteratorINSA_10device_ptrIfEEEEPS6_SG_NS0_5tupleIJSF_S6_EEENSH_IJSG_SG_EEES6_PlJNSB_9not_fun_tINSB_10functional5actorINSM_9compositeIJNSM_27transparent_binary_operatorINSA_8equal_toIvEEEENSN_INSM_8argumentILj0EEEEENSM_5valueIfEEEEEEEEEEEE10hipError_tPvRmT3_T4_T5_T6_T7_T9_mT8_P12ihipStream_tbDpT10_ENKUlT_T0_E_clISt17integral_constantIbLb0EES1J_IbLb1EEEEDaS1F_S1G_EUlS1F_E_NS1_11comp_targetILNS1_3genE3ELNS1_11target_archE908ELNS1_3gpuE7ELNS1_3repE0EEENS1_30default_config_static_selectorELNS0_4arch9wavefront6targetE0EEEvT1_,"axG",@progbits,_ZN7rocprim17ROCPRIM_400000_NS6detail17trampoline_kernelINS0_14default_configENS1_25partition_config_selectorILNS1_17partition_subalgoE6EfNS0_10empty_typeEbEEZZNS1_14partition_implILS5_6ELb0ES3_mN6thrust23THRUST_200600_302600_NS6detail15normal_iteratorINSA_10device_ptrIfEEEEPS6_SG_NS0_5tupleIJSF_S6_EEENSH_IJSG_SG_EEES6_PlJNSB_9not_fun_tINSB_10functional5actorINSM_9compositeIJNSM_27transparent_binary_operatorINSA_8equal_toIvEEEENSN_INSM_8argumentILj0EEEEENSM_5valueIfEEEEEEEEEEEE10hipError_tPvRmT3_T4_T5_T6_T7_T9_mT8_P12ihipStream_tbDpT10_ENKUlT_T0_E_clISt17integral_constantIbLb0EES1J_IbLb1EEEEDaS1F_S1G_EUlS1F_E_NS1_11comp_targetILNS1_3genE3ELNS1_11target_archE908ELNS1_3gpuE7ELNS1_3repE0EEENS1_30default_config_static_selectorELNS0_4arch9wavefront6targetE0EEEvT1_,comdat
.Lfunc_end74:
	.size	_ZN7rocprim17ROCPRIM_400000_NS6detail17trampoline_kernelINS0_14default_configENS1_25partition_config_selectorILNS1_17partition_subalgoE6EfNS0_10empty_typeEbEEZZNS1_14partition_implILS5_6ELb0ES3_mN6thrust23THRUST_200600_302600_NS6detail15normal_iteratorINSA_10device_ptrIfEEEEPS6_SG_NS0_5tupleIJSF_S6_EEENSH_IJSG_SG_EEES6_PlJNSB_9not_fun_tINSB_10functional5actorINSM_9compositeIJNSM_27transparent_binary_operatorINSA_8equal_toIvEEEENSN_INSM_8argumentILj0EEEEENSM_5valueIfEEEEEEEEEEEE10hipError_tPvRmT3_T4_T5_T6_T7_T9_mT8_P12ihipStream_tbDpT10_ENKUlT_T0_E_clISt17integral_constantIbLb0EES1J_IbLb1EEEEDaS1F_S1G_EUlS1F_E_NS1_11comp_targetILNS1_3genE3ELNS1_11target_archE908ELNS1_3gpuE7ELNS1_3repE0EEENS1_30default_config_static_selectorELNS0_4arch9wavefront6targetE0EEEvT1_, .Lfunc_end74-_ZN7rocprim17ROCPRIM_400000_NS6detail17trampoline_kernelINS0_14default_configENS1_25partition_config_selectorILNS1_17partition_subalgoE6EfNS0_10empty_typeEbEEZZNS1_14partition_implILS5_6ELb0ES3_mN6thrust23THRUST_200600_302600_NS6detail15normal_iteratorINSA_10device_ptrIfEEEEPS6_SG_NS0_5tupleIJSF_S6_EEENSH_IJSG_SG_EEES6_PlJNSB_9not_fun_tINSB_10functional5actorINSM_9compositeIJNSM_27transparent_binary_operatorINSA_8equal_toIvEEEENSN_INSM_8argumentILj0EEEEENSM_5valueIfEEEEEEEEEEEE10hipError_tPvRmT3_T4_T5_T6_T7_T9_mT8_P12ihipStream_tbDpT10_ENKUlT_T0_E_clISt17integral_constantIbLb0EES1J_IbLb1EEEEDaS1F_S1G_EUlS1F_E_NS1_11comp_targetILNS1_3genE3ELNS1_11target_archE908ELNS1_3gpuE7ELNS1_3repE0EEENS1_30default_config_static_selectorELNS0_4arch9wavefront6targetE0EEEvT1_
                                        ; -- End function
	.set _ZN7rocprim17ROCPRIM_400000_NS6detail17trampoline_kernelINS0_14default_configENS1_25partition_config_selectorILNS1_17partition_subalgoE6EfNS0_10empty_typeEbEEZZNS1_14partition_implILS5_6ELb0ES3_mN6thrust23THRUST_200600_302600_NS6detail15normal_iteratorINSA_10device_ptrIfEEEEPS6_SG_NS0_5tupleIJSF_S6_EEENSH_IJSG_SG_EEES6_PlJNSB_9not_fun_tINSB_10functional5actorINSM_9compositeIJNSM_27transparent_binary_operatorINSA_8equal_toIvEEEENSN_INSM_8argumentILj0EEEEENSM_5valueIfEEEEEEEEEEEE10hipError_tPvRmT3_T4_T5_T6_T7_T9_mT8_P12ihipStream_tbDpT10_ENKUlT_T0_E_clISt17integral_constantIbLb0EES1J_IbLb1EEEEDaS1F_S1G_EUlS1F_E_NS1_11comp_targetILNS1_3genE3ELNS1_11target_archE908ELNS1_3gpuE7ELNS1_3repE0EEENS1_30default_config_static_selectorELNS0_4arch9wavefront6targetE0EEEvT1_.num_vgpr, 0
	.set _ZN7rocprim17ROCPRIM_400000_NS6detail17trampoline_kernelINS0_14default_configENS1_25partition_config_selectorILNS1_17partition_subalgoE6EfNS0_10empty_typeEbEEZZNS1_14partition_implILS5_6ELb0ES3_mN6thrust23THRUST_200600_302600_NS6detail15normal_iteratorINSA_10device_ptrIfEEEEPS6_SG_NS0_5tupleIJSF_S6_EEENSH_IJSG_SG_EEES6_PlJNSB_9not_fun_tINSB_10functional5actorINSM_9compositeIJNSM_27transparent_binary_operatorINSA_8equal_toIvEEEENSN_INSM_8argumentILj0EEEEENSM_5valueIfEEEEEEEEEEEE10hipError_tPvRmT3_T4_T5_T6_T7_T9_mT8_P12ihipStream_tbDpT10_ENKUlT_T0_E_clISt17integral_constantIbLb0EES1J_IbLb1EEEEDaS1F_S1G_EUlS1F_E_NS1_11comp_targetILNS1_3genE3ELNS1_11target_archE908ELNS1_3gpuE7ELNS1_3repE0EEENS1_30default_config_static_selectorELNS0_4arch9wavefront6targetE0EEEvT1_.num_agpr, 0
	.set _ZN7rocprim17ROCPRIM_400000_NS6detail17trampoline_kernelINS0_14default_configENS1_25partition_config_selectorILNS1_17partition_subalgoE6EfNS0_10empty_typeEbEEZZNS1_14partition_implILS5_6ELb0ES3_mN6thrust23THRUST_200600_302600_NS6detail15normal_iteratorINSA_10device_ptrIfEEEEPS6_SG_NS0_5tupleIJSF_S6_EEENSH_IJSG_SG_EEES6_PlJNSB_9not_fun_tINSB_10functional5actorINSM_9compositeIJNSM_27transparent_binary_operatorINSA_8equal_toIvEEEENSN_INSM_8argumentILj0EEEEENSM_5valueIfEEEEEEEEEEEE10hipError_tPvRmT3_T4_T5_T6_T7_T9_mT8_P12ihipStream_tbDpT10_ENKUlT_T0_E_clISt17integral_constantIbLb0EES1J_IbLb1EEEEDaS1F_S1G_EUlS1F_E_NS1_11comp_targetILNS1_3genE3ELNS1_11target_archE908ELNS1_3gpuE7ELNS1_3repE0EEENS1_30default_config_static_selectorELNS0_4arch9wavefront6targetE0EEEvT1_.numbered_sgpr, 0
	.set _ZN7rocprim17ROCPRIM_400000_NS6detail17trampoline_kernelINS0_14default_configENS1_25partition_config_selectorILNS1_17partition_subalgoE6EfNS0_10empty_typeEbEEZZNS1_14partition_implILS5_6ELb0ES3_mN6thrust23THRUST_200600_302600_NS6detail15normal_iteratorINSA_10device_ptrIfEEEEPS6_SG_NS0_5tupleIJSF_S6_EEENSH_IJSG_SG_EEES6_PlJNSB_9not_fun_tINSB_10functional5actorINSM_9compositeIJNSM_27transparent_binary_operatorINSA_8equal_toIvEEEENSN_INSM_8argumentILj0EEEEENSM_5valueIfEEEEEEEEEEEE10hipError_tPvRmT3_T4_T5_T6_T7_T9_mT8_P12ihipStream_tbDpT10_ENKUlT_T0_E_clISt17integral_constantIbLb0EES1J_IbLb1EEEEDaS1F_S1G_EUlS1F_E_NS1_11comp_targetILNS1_3genE3ELNS1_11target_archE908ELNS1_3gpuE7ELNS1_3repE0EEENS1_30default_config_static_selectorELNS0_4arch9wavefront6targetE0EEEvT1_.num_named_barrier, 0
	.set _ZN7rocprim17ROCPRIM_400000_NS6detail17trampoline_kernelINS0_14default_configENS1_25partition_config_selectorILNS1_17partition_subalgoE6EfNS0_10empty_typeEbEEZZNS1_14partition_implILS5_6ELb0ES3_mN6thrust23THRUST_200600_302600_NS6detail15normal_iteratorINSA_10device_ptrIfEEEEPS6_SG_NS0_5tupleIJSF_S6_EEENSH_IJSG_SG_EEES6_PlJNSB_9not_fun_tINSB_10functional5actorINSM_9compositeIJNSM_27transparent_binary_operatorINSA_8equal_toIvEEEENSN_INSM_8argumentILj0EEEEENSM_5valueIfEEEEEEEEEEEE10hipError_tPvRmT3_T4_T5_T6_T7_T9_mT8_P12ihipStream_tbDpT10_ENKUlT_T0_E_clISt17integral_constantIbLb0EES1J_IbLb1EEEEDaS1F_S1G_EUlS1F_E_NS1_11comp_targetILNS1_3genE3ELNS1_11target_archE908ELNS1_3gpuE7ELNS1_3repE0EEENS1_30default_config_static_selectorELNS0_4arch9wavefront6targetE0EEEvT1_.private_seg_size, 0
	.set _ZN7rocprim17ROCPRIM_400000_NS6detail17trampoline_kernelINS0_14default_configENS1_25partition_config_selectorILNS1_17partition_subalgoE6EfNS0_10empty_typeEbEEZZNS1_14partition_implILS5_6ELb0ES3_mN6thrust23THRUST_200600_302600_NS6detail15normal_iteratorINSA_10device_ptrIfEEEEPS6_SG_NS0_5tupleIJSF_S6_EEENSH_IJSG_SG_EEES6_PlJNSB_9not_fun_tINSB_10functional5actorINSM_9compositeIJNSM_27transparent_binary_operatorINSA_8equal_toIvEEEENSN_INSM_8argumentILj0EEEEENSM_5valueIfEEEEEEEEEEEE10hipError_tPvRmT3_T4_T5_T6_T7_T9_mT8_P12ihipStream_tbDpT10_ENKUlT_T0_E_clISt17integral_constantIbLb0EES1J_IbLb1EEEEDaS1F_S1G_EUlS1F_E_NS1_11comp_targetILNS1_3genE3ELNS1_11target_archE908ELNS1_3gpuE7ELNS1_3repE0EEENS1_30default_config_static_selectorELNS0_4arch9wavefront6targetE0EEEvT1_.uses_vcc, 0
	.set _ZN7rocprim17ROCPRIM_400000_NS6detail17trampoline_kernelINS0_14default_configENS1_25partition_config_selectorILNS1_17partition_subalgoE6EfNS0_10empty_typeEbEEZZNS1_14partition_implILS5_6ELb0ES3_mN6thrust23THRUST_200600_302600_NS6detail15normal_iteratorINSA_10device_ptrIfEEEEPS6_SG_NS0_5tupleIJSF_S6_EEENSH_IJSG_SG_EEES6_PlJNSB_9not_fun_tINSB_10functional5actorINSM_9compositeIJNSM_27transparent_binary_operatorINSA_8equal_toIvEEEENSN_INSM_8argumentILj0EEEEENSM_5valueIfEEEEEEEEEEEE10hipError_tPvRmT3_T4_T5_T6_T7_T9_mT8_P12ihipStream_tbDpT10_ENKUlT_T0_E_clISt17integral_constantIbLb0EES1J_IbLb1EEEEDaS1F_S1G_EUlS1F_E_NS1_11comp_targetILNS1_3genE3ELNS1_11target_archE908ELNS1_3gpuE7ELNS1_3repE0EEENS1_30default_config_static_selectorELNS0_4arch9wavefront6targetE0EEEvT1_.uses_flat_scratch, 0
	.set _ZN7rocprim17ROCPRIM_400000_NS6detail17trampoline_kernelINS0_14default_configENS1_25partition_config_selectorILNS1_17partition_subalgoE6EfNS0_10empty_typeEbEEZZNS1_14partition_implILS5_6ELb0ES3_mN6thrust23THRUST_200600_302600_NS6detail15normal_iteratorINSA_10device_ptrIfEEEEPS6_SG_NS0_5tupleIJSF_S6_EEENSH_IJSG_SG_EEES6_PlJNSB_9not_fun_tINSB_10functional5actorINSM_9compositeIJNSM_27transparent_binary_operatorINSA_8equal_toIvEEEENSN_INSM_8argumentILj0EEEEENSM_5valueIfEEEEEEEEEEEE10hipError_tPvRmT3_T4_T5_T6_T7_T9_mT8_P12ihipStream_tbDpT10_ENKUlT_T0_E_clISt17integral_constantIbLb0EES1J_IbLb1EEEEDaS1F_S1G_EUlS1F_E_NS1_11comp_targetILNS1_3genE3ELNS1_11target_archE908ELNS1_3gpuE7ELNS1_3repE0EEENS1_30default_config_static_selectorELNS0_4arch9wavefront6targetE0EEEvT1_.has_dyn_sized_stack, 0
	.set _ZN7rocprim17ROCPRIM_400000_NS6detail17trampoline_kernelINS0_14default_configENS1_25partition_config_selectorILNS1_17partition_subalgoE6EfNS0_10empty_typeEbEEZZNS1_14partition_implILS5_6ELb0ES3_mN6thrust23THRUST_200600_302600_NS6detail15normal_iteratorINSA_10device_ptrIfEEEEPS6_SG_NS0_5tupleIJSF_S6_EEENSH_IJSG_SG_EEES6_PlJNSB_9not_fun_tINSB_10functional5actorINSM_9compositeIJNSM_27transparent_binary_operatorINSA_8equal_toIvEEEENSN_INSM_8argumentILj0EEEEENSM_5valueIfEEEEEEEEEEEE10hipError_tPvRmT3_T4_T5_T6_T7_T9_mT8_P12ihipStream_tbDpT10_ENKUlT_T0_E_clISt17integral_constantIbLb0EES1J_IbLb1EEEEDaS1F_S1G_EUlS1F_E_NS1_11comp_targetILNS1_3genE3ELNS1_11target_archE908ELNS1_3gpuE7ELNS1_3repE0EEENS1_30default_config_static_selectorELNS0_4arch9wavefront6targetE0EEEvT1_.has_recursion, 0
	.set _ZN7rocprim17ROCPRIM_400000_NS6detail17trampoline_kernelINS0_14default_configENS1_25partition_config_selectorILNS1_17partition_subalgoE6EfNS0_10empty_typeEbEEZZNS1_14partition_implILS5_6ELb0ES3_mN6thrust23THRUST_200600_302600_NS6detail15normal_iteratorINSA_10device_ptrIfEEEEPS6_SG_NS0_5tupleIJSF_S6_EEENSH_IJSG_SG_EEES6_PlJNSB_9not_fun_tINSB_10functional5actorINSM_9compositeIJNSM_27transparent_binary_operatorINSA_8equal_toIvEEEENSN_INSM_8argumentILj0EEEEENSM_5valueIfEEEEEEEEEEEE10hipError_tPvRmT3_T4_T5_T6_T7_T9_mT8_P12ihipStream_tbDpT10_ENKUlT_T0_E_clISt17integral_constantIbLb0EES1J_IbLb1EEEEDaS1F_S1G_EUlS1F_E_NS1_11comp_targetILNS1_3genE3ELNS1_11target_archE908ELNS1_3gpuE7ELNS1_3repE0EEENS1_30default_config_static_selectorELNS0_4arch9wavefront6targetE0EEEvT1_.has_indirect_call, 0
	.section	.AMDGPU.csdata,"",@progbits
; Kernel info:
; codeLenInByte = 0
; TotalNumSgprs: 0
; NumVgprs: 0
; ScratchSize: 0
; MemoryBound: 0
; FloatMode: 240
; IeeeMode: 1
; LDSByteSize: 0 bytes/workgroup (compile time only)
; SGPRBlocks: 0
; VGPRBlocks: 0
; NumSGPRsForWavesPerEU: 1
; NumVGPRsForWavesPerEU: 1
; Occupancy: 16
; WaveLimiterHint : 0
; COMPUTE_PGM_RSRC2:SCRATCH_EN: 0
; COMPUTE_PGM_RSRC2:USER_SGPR: 2
; COMPUTE_PGM_RSRC2:TRAP_HANDLER: 0
; COMPUTE_PGM_RSRC2:TGID_X_EN: 1
; COMPUTE_PGM_RSRC2:TGID_Y_EN: 0
; COMPUTE_PGM_RSRC2:TGID_Z_EN: 0
; COMPUTE_PGM_RSRC2:TIDIG_COMP_CNT: 0
	.section	.text._ZN7rocprim17ROCPRIM_400000_NS6detail17trampoline_kernelINS0_14default_configENS1_25partition_config_selectorILNS1_17partition_subalgoE6EfNS0_10empty_typeEbEEZZNS1_14partition_implILS5_6ELb0ES3_mN6thrust23THRUST_200600_302600_NS6detail15normal_iteratorINSA_10device_ptrIfEEEEPS6_SG_NS0_5tupleIJSF_S6_EEENSH_IJSG_SG_EEES6_PlJNSB_9not_fun_tINSB_10functional5actorINSM_9compositeIJNSM_27transparent_binary_operatorINSA_8equal_toIvEEEENSN_INSM_8argumentILj0EEEEENSM_5valueIfEEEEEEEEEEEE10hipError_tPvRmT3_T4_T5_T6_T7_T9_mT8_P12ihipStream_tbDpT10_ENKUlT_T0_E_clISt17integral_constantIbLb0EES1J_IbLb1EEEEDaS1F_S1G_EUlS1F_E_NS1_11comp_targetILNS1_3genE2ELNS1_11target_archE906ELNS1_3gpuE6ELNS1_3repE0EEENS1_30default_config_static_selectorELNS0_4arch9wavefront6targetE0EEEvT1_,"axG",@progbits,_ZN7rocprim17ROCPRIM_400000_NS6detail17trampoline_kernelINS0_14default_configENS1_25partition_config_selectorILNS1_17partition_subalgoE6EfNS0_10empty_typeEbEEZZNS1_14partition_implILS5_6ELb0ES3_mN6thrust23THRUST_200600_302600_NS6detail15normal_iteratorINSA_10device_ptrIfEEEEPS6_SG_NS0_5tupleIJSF_S6_EEENSH_IJSG_SG_EEES6_PlJNSB_9not_fun_tINSB_10functional5actorINSM_9compositeIJNSM_27transparent_binary_operatorINSA_8equal_toIvEEEENSN_INSM_8argumentILj0EEEEENSM_5valueIfEEEEEEEEEEEE10hipError_tPvRmT3_T4_T5_T6_T7_T9_mT8_P12ihipStream_tbDpT10_ENKUlT_T0_E_clISt17integral_constantIbLb0EES1J_IbLb1EEEEDaS1F_S1G_EUlS1F_E_NS1_11comp_targetILNS1_3genE2ELNS1_11target_archE906ELNS1_3gpuE6ELNS1_3repE0EEENS1_30default_config_static_selectorELNS0_4arch9wavefront6targetE0EEEvT1_,comdat
	.protected	_ZN7rocprim17ROCPRIM_400000_NS6detail17trampoline_kernelINS0_14default_configENS1_25partition_config_selectorILNS1_17partition_subalgoE6EfNS0_10empty_typeEbEEZZNS1_14partition_implILS5_6ELb0ES3_mN6thrust23THRUST_200600_302600_NS6detail15normal_iteratorINSA_10device_ptrIfEEEEPS6_SG_NS0_5tupleIJSF_S6_EEENSH_IJSG_SG_EEES6_PlJNSB_9not_fun_tINSB_10functional5actorINSM_9compositeIJNSM_27transparent_binary_operatorINSA_8equal_toIvEEEENSN_INSM_8argumentILj0EEEEENSM_5valueIfEEEEEEEEEEEE10hipError_tPvRmT3_T4_T5_T6_T7_T9_mT8_P12ihipStream_tbDpT10_ENKUlT_T0_E_clISt17integral_constantIbLb0EES1J_IbLb1EEEEDaS1F_S1G_EUlS1F_E_NS1_11comp_targetILNS1_3genE2ELNS1_11target_archE906ELNS1_3gpuE6ELNS1_3repE0EEENS1_30default_config_static_selectorELNS0_4arch9wavefront6targetE0EEEvT1_ ; -- Begin function _ZN7rocprim17ROCPRIM_400000_NS6detail17trampoline_kernelINS0_14default_configENS1_25partition_config_selectorILNS1_17partition_subalgoE6EfNS0_10empty_typeEbEEZZNS1_14partition_implILS5_6ELb0ES3_mN6thrust23THRUST_200600_302600_NS6detail15normal_iteratorINSA_10device_ptrIfEEEEPS6_SG_NS0_5tupleIJSF_S6_EEENSH_IJSG_SG_EEES6_PlJNSB_9not_fun_tINSB_10functional5actorINSM_9compositeIJNSM_27transparent_binary_operatorINSA_8equal_toIvEEEENSN_INSM_8argumentILj0EEEEENSM_5valueIfEEEEEEEEEEEE10hipError_tPvRmT3_T4_T5_T6_T7_T9_mT8_P12ihipStream_tbDpT10_ENKUlT_T0_E_clISt17integral_constantIbLb0EES1J_IbLb1EEEEDaS1F_S1G_EUlS1F_E_NS1_11comp_targetILNS1_3genE2ELNS1_11target_archE906ELNS1_3gpuE6ELNS1_3repE0EEENS1_30default_config_static_selectorELNS0_4arch9wavefront6targetE0EEEvT1_
	.globl	_ZN7rocprim17ROCPRIM_400000_NS6detail17trampoline_kernelINS0_14default_configENS1_25partition_config_selectorILNS1_17partition_subalgoE6EfNS0_10empty_typeEbEEZZNS1_14partition_implILS5_6ELb0ES3_mN6thrust23THRUST_200600_302600_NS6detail15normal_iteratorINSA_10device_ptrIfEEEEPS6_SG_NS0_5tupleIJSF_S6_EEENSH_IJSG_SG_EEES6_PlJNSB_9not_fun_tINSB_10functional5actorINSM_9compositeIJNSM_27transparent_binary_operatorINSA_8equal_toIvEEEENSN_INSM_8argumentILj0EEEEENSM_5valueIfEEEEEEEEEEEE10hipError_tPvRmT3_T4_T5_T6_T7_T9_mT8_P12ihipStream_tbDpT10_ENKUlT_T0_E_clISt17integral_constantIbLb0EES1J_IbLb1EEEEDaS1F_S1G_EUlS1F_E_NS1_11comp_targetILNS1_3genE2ELNS1_11target_archE906ELNS1_3gpuE6ELNS1_3repE0EEENS1_30default_config_static_selectorELNS0_4arch9wavefront6targetE0EEEvT1_
	.p2align	8
	.type	_ZN7rocprim17ROCPRIM_400000_NS6detail17trampoline_kernelINS0_14default_configENS1_25partition_config_selectorILNS1_17partition_subalgoE6EfNS0_10empty_typeEbEEZZNS1_14partition_implILS5_6ELb0ES3_mN6thrust23THRUST_200600_302600_NS6detail15normal_iteratorINSA_10device_ptrIfEEEEPS6_SG_NS0_5tupleIJSF_S6_EEENSH_IJSG_SG_EEES6_PlJNSB_9not_fun_tINSB_10functional5actorINSM_9compositeIJNSM_27transparent_binary_operatorINSA_8equal_toIvEEEENSN_INSM_8argumentILj0EEEEENSM_5valueIfEEEEEEEEEEEE10hipError_tPvRmT3_T4_T5_T6_T7_T9_mT8_P12ihipStream_tbDpT10_ENKUlT_T0_E_clISt17integral_constantIbLb0EES1J_IbLb1EEEEDaS1F_S1G_EUlS1F_E_NS1_11comp_targetILNS1_3genE2ELNS1_11target_archE906ELNS1_3gpuE6ELNS1_3repE0EEENS1_30default_config_static_selectorELNS0_4arch9wavefront6targetE0EEEvT1_,@function
_ZN7rocprim17ROCPRIM_400000_NS6detail17trampoline_kernelINS0_14default_configENS1_25partition_config_selectorILNS1_17partition_subalgoE6EfNS0_10empty_typeEbEEZZNS1_14partition_implILS5_6ELb0ES3_mN6thrust23THRUST_200600_302600_NS6detail15normal_iteratorINSA_10device_ptrIfEEEEPS6_SG_NS0_5tupleIJSF_S6_EEENSH_IJSG_SG_EEES6_PlJNSB_9not_fun_tINSB_10functional5actorINSM_9compositeIJNSM_27transparent_binary_operatorINSA_8equal_toIvEEEENSN_INSM_8argumentILj0EEEEENSM_5valueIfEEEEEEEEEEEE10hipError_tPvRmT3_T4_T5_T6_T7_T9_mT8_P12ihipStream_tbDpT10_ENKUlT_T0_E_clISt17integral_constantIbLb0EES1J_IbLb1EEEEDaS1F_S1G_EUlS1F_E_NS1_11comp_targetILNS1_3genE2ELNS1_11target_archE906ELNS1_3gpuE6ELNS1_3repE0EEENS1_30default_config_static_selectorELNS0_4arch9wavefront6targetE0EEEvT1_: ; @_ZN7rocprim17ROCPRIM_400000_NS6detail17trampoline_kernelINS0_14default_configENS1_25partition_config_selectorILNS1_17partition_subalgoE6EfNS0_10empty_typeEbEEZZNS1_14partition_implILS5_6ELb0ES3_mN6thrust23THRUST_200600_302600_NS6detail15normal_iteratorINSA_10device_ptrIfEEEEPS6_SG_NS0_5tupleIJSF_S6_EEENSH_IJSG_SG_EEES6_PlJNSB_9not_fun_tINSB_10functional5actorINSM_9compositeIJNSM_27transparent_binary_operatorINSA_8equal_toIvEEEENSN_INSM_8argumentILj0EEEEENSM_5valueIfEEEEEEEEEEEE10hipError_tPvRmT3_T4_T5_T6_T7_T9_mT8_P12ihipStream_tbDpT10_ENKUlT_T0_E_clISt17integral_constantIbLb0EES1J_IbLb1EEEEDaS1F_S1G_EUlS1F_E_NS1_11comp_targetILNS1_3genE2ELNS1_11target_archE906ELNS1_3gpuE6ELNS1_3repE0EEENS1_30default_config_static_selectorELNS0_4arch9wavefront6targetE0EEEvT1_
; %bb.0:
	.section	.rodata,"a",@progbits
	.p2align	6, 0x0
	.amdhsa_kernel _ZN7rocprim17ROCPRIM_400000_NS6detail17trampoline_kernelINS0_14default_configENS1_25partition_config_selectorILNS1_17partition_subalgoE6EfNS0_10empty_typeEbEEZZNS1_14partition_implILS5_6ELb0ES3_mN6thrust23THRUST_200600_302600_NS6detail15normal_iteratorINSA_10device_ptrIfEEEEPS6_SG_NS0_5tupleIJSF_S6_EEENSH_IJSG_SG_EEES6_PlJNSB_9not_fun_tINSB_10functional5actorINSM_9compositeIJNSM_27transparent_binary_operatorINSA_8equal_toIvEEEENSN_INSM_8argumentILj0EEEEENSM_5valueIfEEEEEEEEEEEE10hipError_tPvRmT3_T4_T5_T6_T7_T9_mT8_P12ihipStream_tbDpT10_ENKUlT_T0_E_clISt17integral_constantIbLb0EES1J_IbLb1EEEEDaS1F_S1G_EUlS1F_E_NS1_11comp_targetILNS1_3genE2ELNS1_11target_archE906ELNS1_3gpuE6ELNS1_3repE0EEENS1_30default_config_static_selectorELNS0_4arch9wavefront6targetE0EEEvT1_
		.amdhsa_group_segment_fixed_size 0
		.amdhsa_private_segment_fixed_size 0
		.amdhsa_kernarg_size 128
		.amdhsa_user_sgpr_count 2
		.amdhsa_user_sgpr_dispatch_ptr 0
		.amdhsa_user_sgpr_queue_ptr 0
		.amdhsa_user_sgpr_kernarg_segment_ptr 1
		.amdhsa_user_sgpr_dispatch_id 0
		.amdhsa_user_sgpr_private_segment_size 0
		.amdhsa_wavefront_size32 1
		.amdhsa_uses_dynamic_stack 0
		.amdhsa_enable_private_segment 0
		.amdhsa_system_sgpr_workgroup_id_x 1
		.amdhsa_system_sgpr_workgroup_id_y 0
		.amdhsa_system_sgpr_workgroup_id_z 0
		.amdhsa_system_sgpr_workgroup_info 0
		.amdhsa_system_vgpr_workitem_id 0
		.amdhsa_next_free_vgpr 1
		.amdhsa_next_free_sgpr 1
		.amdhsa_reserve_vcc 0
		.amdhsa_float_round_mode_32 0
		.amdhsa_float_round_mode_16_64 0
		.amdhsa_float_denorm_mode_32 3
		.amdhsa_float_denorm_mode_16_64 3
		.amdhsa_fp16_overflow 0
		.amdhsa_workgroup_processor_mode 1
		.amdhsa_memory_ordered 1
		.amdhsa_forward_progress 1
		.amdhsa_inst_pref_size 0
		.amdhsa_round_robin_scheduling 0
		.amdhsa_exception_fp_ieee_invalid_op 0
		.amdhsa_exception_fp_denorm_src 0
		.amdhsa_exception_fp_ieee_div_zero 0
		.amdhsa_exception_fp_ieee_overflow 0
		.amdhsa_exception_fp_ieee_underflow 0
		.amdhsa_exception_fp_ieee_inexact 0
		.amdhsa_exception_int_div_zero 0
	.end_amdhsa_kernel
	.section	.text._ZN7rocprim17ROCPRIM_400000_NS6detail17trampoline_kernelINS0_14default_configENS1_25partition_config_selectorILNS1_17partition_subalgoE6EfNS0_10empty_typeEbEEZZNS1_14partition_implILS5_6ELb0ES3_mN6thrust23THRUST_200600_302600_NS6detail15normal_iteratorINSA_10device_ptrIfEEEEPS6_SG_NS0_5tupleIJSF_S6_EEENSH_IJSG_SG_EEES6_PlJNSB_9not_fun_tINSB_10functional5actorINSM_9compositeIJNSM_27transparent_binary_operatorINSA_8equal_toIvEEEENSN_INSM_8argumentILj0EEEEENSM_5valueIfEEEEEEEEEEEE10hipError_tPvRmT3_T4_T5_T6_T7_T9_mT8_P12ihipStream_tbDpT10_ENKUlT_T0_E_clISt17integral_constantIbLb0EES1J_IbLb1EEEEDaS1F_S1G_EUlS1F_E_NS1_11comp_targetILNS1_3genE2ELNS1_11target_archE906ELNS1_3gpuE6ELNS1_3repE0EEENS1_30default_config_static_selectorELNS0_4arch9wavefront6targetE0EEEvT1_,"axG",@progbits,_ZN7rocprim17ROCPRIM_400000_NS6detail17trampoline_kernelINS0_14default_configENS1_25partition_config_selectorILNS1_17partition_subalgoE6EfNS0_10empty_typeEbEEZZNS1_14partition_implILS5_6ELb0ES3_mN6thrust23THRUST_200600_302600_NS6detail15normal_iteratorINSA_10device_ptrIfEEEEPS6_SG_NS0_5tupleIJSF_S6_EEENSH_IJSG_SG_EEES6_PlJNSB_9not_fun_tINSB_10functional5actorINSM_9compositeIJNSM_27transparent_binary_operatorINSA_8equal_toIvEEEENSN_INSM_8argumentILj0EEEEENSM_5valueIfEEEEEEEEEEEE10hipError_tPvRmT3_T4_T5_T6_T7_T9_mT8_P12ihipStream_tbDpT10_ENKUlT_T0_E_clISt17integral_constantIbLb0EES1J_IbLb1EEEEDaS1F_S1G_EUlS1F_E_NS1_11comp_targetILNS1_3genE2ELNS1_11target_archE906ELNS1_3gpuE6ELNS1_3repE0EEENS1_30default_config_static_selectorELNS0_4arch9wavefront6targetE0EEEvT1_,comdat
.Lfunc_end75:
	.size	_ZN7rocprim17ROCPRIM_400000_NS6detail17trampoline_kernelINS0_14default_configENS1_25partition_config_selectorILNS1_17partition_subalgoE6EfNS0_10empty_typeEbEEZZNS1_14partition_implILS5_6ELb0ES3_mN6thrust23THRUST_200600_302600_NS6detail15normal_iteratorINSA_10device_ptrIfEEEEPS6_SG_NS0_5tupleIJSF_S6_EEENSH_IJSG_SG_EEES6_PlJNSB_9not_fun_tINSB_10functional5actorINSM_9compositeIJNSM_27transparent_binary_operatorINSA_8equal_toIvEEEENSN_INSM_8argumentILj0EEEEENSM_5valueIfEEEEEEEEEEEE10hipError_tPvRmT3_T4_T5_T6_T7_T9_mT8_P12ihipStream_tbDpT10_ENKUlT_T0_E_clISt17integral_constantIbLb0EES1J_IbLb1EEEEDaS1F_S1G_EUlS1F_E_NS1_11comp_targetILNS1_3genE2ELNS1_11target_archE906ELNS1_3gpuE6ELNS1_3repE0EEENS1_30default_config_static_selectorELNS0_4arch9wavefront6targetE0EEEvT1_, .Lfunc_end75-_ZN7rocprim17ROCPRIM_400000_NS6detail17trampoline_kernelINS0_14default_configENS1_25partition_config_selectorILNS1_17partition_subalgoE6EfNS0_10empty_typeEbEEZZNS1_14partition_implILS5_6ELb0ES3_mN6thrust23THRUST_200600_302600_NS6detail15normal_iteratorINSA_10device_ptrIfEEEEPS6_SG_NS0_5tupleIJSF_S6_EEENSH_IJSG_SG_EEES6_PlJNSB_9not_fun_tINSB_10functional5actorINSM_9compositeIJNSM_27transparent_binary_operatorINSA_8equal_toIvEEEENSN_INSM_8argumentILj0EEEEENSM_5valueIfEEEEEEEEEEEE10hipError_tPvRmT3_T4_T5_T6_T7_T9_mT8_P12ihipStream_tbDpT10_ENKUlT_T0_E_clISt17integral_constantIbLb0EES1J_IbLb1EEEEDaS1F_S1G_EUlS1F_E_NS1_11comp_targetILNS1_3genE2ELNS1_11target_archE906ELNS1_3gpuE6ELNS1_3repE0EEENS1_30default_config_static_selectorELNS0_4arch9wavefront6targetE0EEEvT1_
                                        ; -- End function
	.set _ZN7rocprim17ROCPRIM_400000_NS6detail17trampoline_kernelINS0_14default_configENS1_25partition_config_selectorILNS1_17partition_subalgoE6EfNS0_10empty_typeEbEEZZNS1_14partition_implILS5_6ELb0ES3_mN6thrust23THRUST_200600_302600_NS6detail15normal_iteratorINSA_10device_ptrIfEEEEPS6_SG_NS0_5tupleIJSF_S6_EEENSH_IJSG_SG_EEES6_PlJNSB_9not_fun_tINSB_10functional5actorINSM_9compositeIJNSM_27transparent_binary_operatorINSA_8equal_toIvEEEENSN_INSM_8argumentILj0EEEEENSM_5valueIfEEEEEEEEEEEE10hipError_tPvRmT3_T4_T5_T6_T7_T9_mT8_P12ihipStream_tbDpT10_ENKUlT_T0_E_clISt17integral_constantIbLb0EES1J_IbLb1EEEEDaS1F_S1G_EUlS1F_E_NS1_11comp_targetILNS1_3genE2ELNS1_11target_archE906ELNS1_3gpuE6ELNS1_3repE0EEENS1_30default_config_static_selectorELNS0_4arch9wavefront6targetE0EEEvT1_.num_vgpr, 0
	.set _ZN7rocprim17ROCPRIM_400000_NS6detail17trampoline_kernelINS0_14default_configENS1_25partition_config_selectorILNS1_17partition_subalgoE6EfNS0_10empty_typeEbEEZZNS1_14partition_implILS5_6ELb0ES3_mN6thrust23THRUST_200600_302600_NS6detail15normal_iteratorINSA_10device_ptrIfEEEEPS6_SG_NS0_5tupleIJSF_S6_EEENSH_IJSG_SG_EEES6_PlJNSB_9not_fun_tINSB_10functional5actorINSM_9compositeIJNSM_27transparent_binary_operatorINSA_8equal_toIvEEEENSN_INSM_8argumentILj0EEEEENSM_5valueIfEEEEEEEEEEEE10hipError_tPvRmT3_T4_T5_T6_T7_T9_mT8_P12ihipStream_tbDpT10_ENKUlT_T0_E_clISt17integral_constantIbLb0EES1J_IbLb1EEEEDaS1F_S1G_EUlS1F_E_NS1_11comp_targetILNS1_3genE2ELNS1_11target_archE906ELNS1_3gpuE6ELNS1_3repE0EEENS1_30default_config_static_selectorELNS0_4arch9wavefront6targetE0EEEvT1_.num_agpr, 0
	.set _ZN7rocprim17ROCPRIM_400000_NS6detail17trampoline_kernelINS0_14default_configENS1_25partition_config_selectorILNS1_17partition_subalgoE6EfNS0_10empty_typeEbEEZZNS1_14partition_implILS5_6ELb0ES3_mN6thrust23THRUST_200600_302600_NS6detail15normal_iteratorINSA_10device_ptrIfEEEEPS6_SG_NS0_5tupleIJSF_S6_EEENSH_IJSG_SG_EEES6_PlJNSB_9not_fun_tINSB_10functional5actorINSM_9compositeIJNSM_27transparent_binary_operatorINSA_8equal_toIvEEEENSN_INSM_8argumentILj0EEEEENSM_5valueIfEEEEEEEEEEEE10hipError_tPvRmT3_T4_T5_T6_T7_T9_mT8_P12ihipStream_tbDpT10_ENKUlT_T0_E_clISt17integral_constantIbLb0EES1J_IbLb1EEEEDaS1F_S1G_EUlS1F_E_NS1_11comp_targetILNS1_3genE2ELNS1_11target_archE906ELNS1_3gpuE6ELNS1_3repE0EEENS1_30default_config_static_selectorELNS0_4arch9wavefront6targetE0EEEvT1_.numbered_sgpr, 0
	.set _ZN7rocprim17ROCPRIM_400000_NS6detail17trampoline_kernelINS0_14default_configENS1_25partition_config_selectorILNS1_17partition_subalgoE6EfNS0_10empty_typeEbEEZZNS1_14partition_implILS5_6ELb0ES3_mN6thrust23THRUST_200600_302600_NS6detail15normal_iteratorINSA_10device_ptrIfEEEEPS6_SG_NS0_5tupleIJSF_S6_EEENSH_IJSG_SG_EEES6_PlJNSB_9not_fun_tINSB_10functional5actorINSM_9compositeIJNSM_27transparent_binary_operatorINSA_8equal_toIvEEEENSN_INSM_8argumentILj0EEEEENSM_5valueIfEEEEEEEEEEEE10hipError_tPvRmT3_T4_T5_T6_T7_T9_mT8_P12ihipStream_tbDpT10_ENKUlT_T0_E_clISt17integral_constantIbLb0EES1J_IbLb1EEEEDaS1F_S1G_EUlS1F_E_NS1_11comp_targetILNS1_3genE2ELNS1_11target_archE906ELNS1_3gpuE6ELNS1_3repE0EEENS1_30default_config_static_selectorELNS0_4arch9wavefront6targetE0EEEvT1_.num_named_barrier, 0
	.set _ZN7rocprim17ROCPRIM_400000_NS6detail17trampoline_kernelINS0_14default_configENS1_25partition_config_selectorILNS1_17partition_subalgoE6EfNS0_10empty_typeEbEEZZNS1_14partition_implILS5_6ELb0ES3_mN6thrust23THRUST_200600_302600_NS6detail15normal_iteratorINSA_10device_ptrIfEEEEPS6_SG_NS0_5tupleIJSF_S6_EEENSH_IJSG_SG_EEES6_PlJNSB_9not_fun_tINSB_10functional5actorINSM_9compositeIJNSM_27transparent_binary_operatorINSA_8equal_toIvEEEENSN_INSM_8argumentILj0EEEEENSM_5valueIfEEEEEEEEEEEE10hipError_tPvRmT3_T4_T5_T6_T7_T9_mT8_P12ihipStream_tbDpT10_ENKUlT_T0_E_clISt17integral_constantIbLb0EES1J_IbLb1EEEEDaS1F_S1G_EUlS1F_E_NS1_11comp_targetILNS1_3genE2ELNS1_11target_archE906ELNS1_3gpuE6ELNS1_3repE0EEENS1_30default_config_static_selectorELNS0_4arch9wavefront6targetE0EEEvT1_.private_seg_size, 0
	.set _ZN7rocprim17ROCPRIM_400000_NS6detail17trampoline_kernelINS0_14default_configENS1_25partition_config_selectorILNS1_17partition_subalgoE6EfNS0_10empty_typeEbEEZZNS1_14partition_implILS5_6ELb0ES3_mN6thrust23THRUST_200600_302600_NS6detail15normal_iteratorINSA_10device_ptrIfEEEEPS6_SG_NS0_5tupleIJSF_S6_EEENSH_IJSG_SG_EEES6_PlJNSB_9not_fun_tINSB_10functional5actorINSM_9compositeIJNSM_27transparent_binary_operatorINSA_8equal_toIvEEEENSN_INSM_8argumentILj0EEEEENSM_5valueIfEEEEEEEEEEEE10hipError_tPvRmT3_T4_T5_T6_T7_T9_mT8_P12ihipStream_tbDpT10_ENKUlT_T0_E_clISt17integral_constantIbLb0EES1J_IbLb1EEEEDaS1F_S1G_EUlS1F_E_NS1_11comp_targetILNS1_3genE2ELNS1_11target_archE906ELNS1_3gpuE6ELNS1_3repE0EEENS1_30default_config_static_selectorELNS0_4arch9wavefront6targetE0EEEvT1_.uses_vcc, 0
	.set _ZN7rocprim17ROCPRIM_400000_NS6detail17trampoline_kernelINS0_14default_configENS1_25partition_config_selectorILNS1_17partition_subalgoE6EfNS0_10empty_typeEbEEZZNS1_14partition_implILS5_6ELb0ES3_mN6thrust23THRUST_200600_302600_NS6detail15normal_iteratorINSA_10device_ptrIfEEEEPS6_SG_NS0_5tupleIJSF_S6_EEENSH_IJSG_SG_EEES6_PlJNSB_9not_fun_tINSB_10functional5actorINSM_9compositeIJNSM_27transparent_binary_operatorINSA_8equal_toIvEEEENSN_INSM_8argumentILj0EEEEENSM_5valueIfEEEEEEEEEEEE10hipError_tPvRmT3_T4_T5_T6_T7_T9_mT8_P12ihipStream_tbDpT10_ENKUlT_T0_E_clISt17integral_constantIbLb0EES1J_IbLb1EEEEDaS1F_S1G_EUlS1F_E_NS1_11comp_targetILNS1_3genE2ELNS1_11target_archE906ELNS1_3gpuE6ELNS1_3repE0EEENS1_30default_config_static_selectorELNS0_4arch9wavefront6targetE0EEEvT1_.uses_flat_scratch, 0
	.set _ZN7rocprim17ROCPRIM_400000_NS6detail17trampoline_kernelINS0_14default_configENS1_25partition_config_selectorILNS1_17partition_subalgoE6EfNS0_10empty_typeEbEEZZNS1_14partition_implILS5_6ELb0ES3_mN6thrust23THRUST_200600_302600_NS6detail15normal_iteratorINSA_10device_ptrIfEEEEPS6_SG_NS0_5tupleIJSF_S6_EEENSH_IJSG_SG_EEES6_PlJNSB_9not_fun_tINSB_10functional5actorINSM_9compositeIJNSM_27transparent_binary_operatorINSA_8equal_toIvEEEENSN_INSM_8argumentILj0EEEEENSM_5valueIfEEEEEEEEEEEE10hipError_tPvRmT3_T4_T5_T6_T7_T9_mT8_P12ihipStream_tbDpT10_ENKUlT_T0_E_clISt17integral_constantIbLb0EES1J_IbLb1EEEEDaS1F_S1G_EUlS1F_E_NS1_11comp_targetILNS1_3genE2ELNS1_11target_archE906ELNS1_3gpuE6ELNS1_3repE0EEENS1_30default_config_static_selectorELNS0_4arch9wavefront6targetE0EEEvT1_.has_dyn_sized_stack, 0
	.set _ZN7rocprim17ROCPRIM_400000_NS6detail17trampoline_kernelINS0_14default_configENS1_25partition_config_selectorILNS1_17partition_subalgoE6EfNS0_10empty_typeEbEEZZNS1_14partition_implILS5_6ELb0ES3_mN6thrust23THRUST_200600_302600_NS6detail15normal_iteratorINSA_10device_ptrIfEEEEPS6_SG_NS0_5tupleIJSF_S6_EEENSH_IJSG_SG_EEES6_PlJNSB_9not_fun_tINSB_10functional5actorINSM_9compositeIJNSM_27transparent_binary_operatorINSA_8equal_toIvEEEENSN_INSM_8argumentILj0EEEEENSM_5valueIfEEEEEEEEEEEE10hipError_tPvRmT3_T4_T5_T6_T7_T9_mT8_P12ihipStream_tbDpT10_ENKUlT_T0_E_clISt17integral_constantIbLb0EES1J_IbLb1EEEEDaS1F_S1G_EUlS1F_E_NS1_11comp_targetILNS1_3genE2ELNS1_11target_archE906ELNS1_3gpuE6ELNS1_3repE0EEENS1_30default_config_static_selectorELNS0_4arch9wavefront6targetE0EEEvT1_.has_recursion, 0
	.set _ZN7rocprim17ROCPRIM_400000_NS6detail17trampoline_kernelINS0_14default_configENS1_25partition_config_selectorILNS1_17partition_subalgoE6EfNS0_10empty_typeEbEEZZNS1_14partition_implILS5_6ELb0ES3_mN6thrust23THRUST_200600_302600_NS6detail15normal_iteratorINSA_10device_ptrIfEEEEPS6_SG_NS0_5tupleIJSF_S6_EEENSH_IJSG_SG_EEES6_PlJNSB_9not_fun_tINSB_10functional5actorINSM_9compositeIJNSM_27transparent_binary_operatorINSA_8equal_toIvEEEENSN_INSM_8argumentILj0EEEEENSM_5valueIfEEEEEEEEEEEE10hipError_tPvRmT3_T4_T5_T6_T7_T9_mT8_P12ihipStream_tbDpT10_ENKUlT_T0_E_clISt17integral_constantIbLb0EES1J_IbLb1EEEEDaS1F_S1G_EUlS1F_E_NS1_11comp_targetILNS1_3genE2ELNS1_11target_archE906ELNS1_3gpuE6ELNS1_3repE0EEENS1_30default_config_static_selectorELNS0_4arch9wavefront6targetE0EEEvT1_.has_indirect_call, 0
	.section	.AMDGPU.csdata,"",@progbits
; Kernel info:
; codeLenInByte = 0
; TotalNumSgprs: 0
; NumVgprs: 0
; ScratchSize: 0
; MemoryBound: 0
; FloatMode: 240
; IeeeMode: 1
; LDSByteSize: 0 bytes/workgroup (compile time only)
; SGPRBlocks: 0
; VGPRBlocks: 0
; NumSGPRsForWavesPerEU: 1
; NumVGPRsForWavesPerEU: 1
; Occupancy: 16
; WaveLimiterHint : 0
; COMPUTE_PGM_RSRC2:SCRATCH_EN: 0
; COMPUTE_PGM_RSRC2:USER_SGPR: 2
; COMPUTE_PGM_RSRC2:TRAP_HANDLER: 0
; COMPUTE_PGM_RSRC2:TGID_X_EN: 1
; COMPUTE_PGM_RSRC2:TGID_Y_EN: 0
; COMPUTE_PGM_RSRC2:TGID_Z_EN: 0
; COMPUTE_PGM_RSRC2:TIDIG_COMP_CNT: 0
	.section	.text._ZN7rocprim17ROCPRIM_400000_NS6detail17trampoline_kernelINS0_14default_configENS1_25partition_config_selectorILNS1_17partition_subalgoE6EfNS0_10empty_typeEbEEZZNS1_14partition_implILS5_6ELb0ES3_mN6thrust23THRUST_200600_302600_NS6detail15normal_iteratorINSA_10device_ptrIfEEEEPS6_SG_NS0_5tupleIJSF_S6_EEENSH_IJSG_SG_EEES6_PlJNSB_9not_fun_tINSB_10functional5actorINSM_9compositeIJNSM_27transparent_binary_operatorINSA_8equal_toIvEEEENSN_INSM_8argumentILj0EEEEENSM_5valueIfEEEEEEEEEEEE10hipError_tPvRmT3_T4_T5_T6_T7_T9_mT8_P12ihipStream_tbDpT10_ENKUlT_T0_E_clISt17integral_constantIbLb0EES1J_IbLb1EEEEDaS1F_S1G_EUlS1F_E_NS1_11comp_targetILNS1_3genE10ELNS1_11target_archE1200ELNS1_3gpuE4ELNS1_3repE0EEENS1_30default_config_static_selectorELNS0_4arch9wavefront6targetE0EEEvT1_,"axG",@progbits,_ZN7rocprim17ROCPRIM_400000_NS6detail17trampoline_kernelINS0_14default_configENS1_25partition_config_selectorILNS1_17partition_subalgoE6EfNS0_10empty_typeEbEEZZNS1_14partition_implILS5_6ELb0ES3_mN6thrust23THRUST_200600_302600_NS6detail15normal_iteratorINSA_10device_ptrIfEEEEPS6_SG_NS0_5tupleIJSF_S6_EEENSH_IJSG_SG_EEES6_PlJNSB_9not_fun_tINSB_10functional5actorINSM_9compositeIJNSM_27transparent_binary_operatorINSA_8equal_toIvEEEENSN_INSM_8argumentILj0EEEEENSM_5valueIfEEEEEEEEEEEE10hipError_tPvRmT3_T4_T5_T6_T7_T9_mT8_P12ihipStream_tbDpT10_ENKUlT_T0_E_clISt17integral_constantIbLb0EES1J_IbLb1EEEEDaS1F_S1G_EUlS1F_E_NS1_11comp_targetILNS1_3genE10ELNS1_11target_archE1200ELNS1_3gpuE4ELNS1_3repE0EEENS1_30default_config_static_selectorELNS0_4arch9wavefront6targetE0EEEvT1_,comdat
	.protected	_ZN7rocprim17ROCPRIM_400000_NS6detail17trampoline_kernelINS0_14default_configENS1_25partition_config_selectorILNS1_17partition_subalgoE6EfNS0_10empty_typeEbEEZZNS1_14partition_implILS5_6ELb0ES3_mN6thrust23THRUST_200600_302600_NS6detail15normal_iteratorINSA_10device_ptrIfEEEEPS6_SG_NS0_5tupleIJSF_S6_EEENSH_IJSG_SG_EEES6_PlJNSB_9not_fun_tINSB_10functional5actorINSM_9compositeIJNSM_27transparent_binary_operatorINSA_8equal_toIvEEEENSN_INSM_8argumentILj0EEEEENSM_5valueIfEEEEEEEEEEEE10hipError_tPvRmT3_T4_T5_T6_T7_T9_mT8_P12ihipStream_tbDpT10_ENKUlT_T0_E_clISt17integral_constantIbLb0EES1J_IbLb1EEEEDaS1F_S1G_EUlS1F_E_NS1_11comp_targetILNS1_3genE10ELNS1_11target_archE1200ELNS1_3gpuE4ELNS1_3repE0EEENS1_30default_config_static_selectorELNS0_4arch9wavefront6targetE0EEEvT1_ ; -- Begin function _ZN7rocprim17ROCPRIM_400000_NS6detail17trampoline_kernelINS0_14default_configENS1_25partition_config_selectorILNS1_17partition_subalgoE6EfNS0_10empty_typeEbEEZZNS1_14partition_implILS5_6ELb0ES3_mN6thrust23THRUST_200600_302600_NS6detail15normal_iteratorINSA_10device_ptrIfEEEEPS6_SG_NS0_5tupleIJSF_S6_EEENSH_IJSG_SG_EEES6_PlJNSB_9not_fun_tINSB_10functional5actorINSM_9compositeIJNSM_27transparent_binary_operatorINSA_8equal_toIvEEEENSN_INSM_8argumentILj0EEEEENSM_5valueIfEEEEEEEEEEEE10hipError_tPvRmT3_T4_T5_T6_T7_T9_mT8_P12ihipStream_tbDpT10_ENKUlT_T0_E_clISt17integral_constantIbLb0EES1J_IbLb1EEEEDaS1F_S1G_EUlS1F_E_NS1_11comp_targetILNS1_3genE10ELNS1_11target_archE1200ELNS1_3gpuE4ELNS1_3repE0EEENS1_30default_config_static_selectorELNS0_4arch9wavefront6targetE0EEEvT1_
	.globl	_ZN7rocprim17ROCPRIM_400000_NS6detail17trampoline_kernelINS0_14default_configENS1_25partition_config_selectorILNS1_17partition_subalgoE6EfNS0_10empty_typeEbEEZZNS1_14partition_implILS5_6ELb0ES3_mN6thrust23THRUST_200600_302600_NS6detail15normal_iteratorINSA_10device_ptrIfEEEEPS6_SG_NS0_5tupleIJSF_S6_EEENSH_IJSG_SG_EEES6_PlJNSB_9not_fun_tINSB_10functional5actorINSM_9compositeIJNSM_27transparent_binary_operatorINSA_8equal_toIvEEEENSN_INSM_8argumentILj0EEEEENSM_5valueIfEEEEEEEEEEEE10hipError_tPvRmT3_T4_T5_T6_T7_T9_mT8_P12ihipStream_tbDpT10_ENKUlT_T0_E_clISt17integral_constantIbLb0EES1J_IbLb1EEEEDaS1F_S1G_EUlS1F_E_NS1_11comp_targetILNS1_3genE10ELNS1_11target_archE1200ELNS1_3gpuE4ELNS1_3repE0EEENS1_30default_config_static_selectorELNS0_4arch9wavefront6targetE0EEEvT1_
	.p2align	8
	.type	_ZN7rocprim17ROCPRIM_400000_NS6detail17trampoline_kernelINS0_14default_configENS1_25partition_config_selectorILNS1_17partition_subalgoE6EfNS0_10empty_typeEbEEZZNS1_14partition_implILS5_6ELb0ES3_mN6thrust23THRUST_200600_302600_NS6detail15normal_iteratorINSA_10device_ptrIfEEEEPS6_SG_NS0_5tupleIJSF_S6_EEENSH_IJSG_SG_EEES6_PlJNSB_9not_fun_tINSB_10functional5actorINSM_9compositeIJNSM_27transparent_binary_operatorINSA_8equal_toIvEEEENSN_INSM_8argumentILj0EEEEENSM_5valueIfEEEEEEEEEEEE10hipError_tPvRmT3_T4_T5_T6_T7_T9_mT8_P12ihipStream_tbDpT10_ENKUlT_T0_E_clISt17integral_constantIbLb0EES1J_IbLb1EEEEDaS1F_S1G_EUlS1F_E_NS1_11comp_targetILNS1_3genE10ELNS1_11target_archE1200ELNS1_3gpuE4ELNS1_3repE0EEENS1_30default_config_static_selectorELNS0_4arch9wavefront6targetE0EEEvT1_,@function
_ZN7rocprim17ROCPRIM_400000_NS6detail17trampoline_kernelINS0_14default_configENS1_25partition_config_selectorILNS1_17partition_subalgoE6EfNS0_10empty_typeEbEEZZNS1_14partition_implILS5_6ELb0ES3_mN6thrust23THRUST_200600_302600_NS6detail15normal_iteratorINSA_10device_ptrIfEEEEPS6_SG_NS0_5tupleIJSF_S6_EEENSH_IJSG_SG_EEES6_PlJNSB_9not_fun_tINSB_10functional5actorINSM_9compositeIJNSM_27transparent_binary_operatorINSA_8equal_toIvEEEENSN_INSM_8argumentILj0EEEEENSM_5valueIfEEEEEEEEEEEE10hipError_tPvRmT3_T4_T5_T6_T7_T9_mT8_P12ihipStream_tbDpT10_ENKUlT_T0_E_clISt17integral_constantIbLb0EES1J_IbLb1EEEEDaS1F_S1G_EUlS1F_E_NS1_11comp_targetILNS1_3genE10ELNS1_11target_archE1200ELNS1_3gpuE4ELNS1_3repE0EEENS1_30default_config_static_selectorELNS0_4arch9wavefront6targetE0EEEvT1_: ; @_ZN7rocprim17ROCPRIM_400000_NS6detail17trampoline_kernelINS0_14default_configENS1_25partition_config_selectorILNS1_17partition_subalgoE6EfNS0_10empty_typeEbEEZZNS1_14partition_implILS5_6ELb0ES3_mN6thrust23THRUST_200600_302600_NS6detail15normal_iteratorINSA_10device_ptrIfEEEEPS6_SG_NS0_5tupleIJSF_S6_EEENSH_IJSG_SG_EEES6_PlJNSB_9not_fun_tINSB_10functional5actorINSM_9compositeIJNSM_27transparent_binary_operatorINSA_8equal_toIvEEEENSN_INSM_8argumentILj0EEEEENSM_5valueIfEEEEEEEEEEEE10hipError_tPvRmT3_T4_T5_T6_T7_T9_mT8_P12ihipStream_tbDpT10_ENKUlT_T0_E_clISt17integral_constantIbLb0EES1J_IbLb1EEEEDaS1F_S1G_EUlS1F_E_NS1_11comp_targetILNS1_3genE10ELNS1_11target_archE1200ELNS1_3gpuE4ELNS1_3repE0EEENS1_30default_config_static_selectorELNS0_4arch9wavefront6targetE0EEEvT1_
; %bb.0:
	s_clause 0x3
	s_load_b64 s[12:13], s[0:1], 0x28
	s_load_b128 s[8:11], s[0:1], 0x40
	s_load_b64 s[16:17], s[0:1], 0x50
	s_load_b64 s[14:15], s[0:1], 0x60
	v_cmp_eq_u32_e64 s2, 0, v0
	s_and_saveexec_b32 s3, s2
	s_cbranch_execz .LBB76_4
; %bb.1:
	s_mov_b32 s5, exec_lo
	s_mov_b32 s4, exec_lo
	v_mbcnt_lo_u32_b32 v1, s5, 0
                                        ; implicit-def: $vgpr2
	s_delay_alu instid0(VALU_DEP_1)
	v_cmpx_eq_u32_e32 0, v1
	s_cbranch_execz .LBB76_3
; %bb.2:
	s_load_b64 s[6:7], s[0:1], 0x70
	s_bcnt1_i32_b32 s5, s5
	s_wait_alu 0xfffe
	v_dual_mov_b32 v2, 0 :: v_dual_mov_b32 v3, s5
	s_wait_kmcnt 0x0
	global_atomic_add_u32 v2, v2, v3, s[6:7] th:TH_ATOMIC_RETURN scope:SCOPE_DEV
.LBB76_3:
	s_or_b32 exec_lo, exec_lo, s4
	s_wait_loadcnt 0x0
	v_readfirstlane_b32 s4, v2
	s_wait_alu 0xf1ff
	s_delay_alu instid0(VALU_DEP_1)
	v_dual_mov_b32 v2, 0 :: v_dual_add_nc_u32 v1, s4, v1
	ds_store_b32 v2, v1
.LBB76_4:
	s_or_b32 exec_lo, exec_lo, s3
	v_mov_b32_e32 v2, 0
	s_clause 0x2
	s_load_b128 s[4:7], s[0:1], 0x8
	s_load_b32 s3, s[0:1], 0x68
	s_load_b32 s19, s[0:1], 0x7c
	s_wait_dscnt 0x0
	s_barrier_signal -1
	s_barrier_wait -1
	global_inv scope:SCOPE_SE
	ds_load_b32 v1, v2
	s_wait_loadcnt_dscnt 0x0
	s_barrier_signal -1
	s_barrier_wait -1
	global_inv scope:SCOPE_SE
	s_wait_kmcnt 0x0
	global_load_b64 v[9:10], v2, s[10:11]
	s_mov_b32 s1, 0
	v_lshlrev_b32_e32 v8, 2, v0
	s_lshl_b64 s[10:11], s[6:7], 2
	s_mul_i32 s0, s3, 0xa80
	s_add_co_i32 s20, s3, -1
	s_add_co_i32 s3, s0, s6
	s_add_nc_u64 s[6:7], s[6:7], s[0:1]
	s_sub_co_i32 s0, s16, s3
	v_cmp_le_u64_e64 s1, s[16:17], s[6:7]
	v_readfirstlane_b32 s18, v1
	v_mul_lo_u32 v1, 0xa80, v1
	s_add_nc_u64 s[4:5], s[4:5], s[10:11]
	s_cmp_eq_u32 s18, s20
	s_cselect_b32 s7, -1, 0
	s_delay_alu instid0(VALU_DEP_1) | instskip(SKIP_2) | instid1(SALU_CYCLE_1)
	v_lshlrev_b64_e32 v[1:2], 2, v[1:2]
	s_wait_alu 0xfffe
	s_and_b32 s1, s1, s7
	s_xor_b32 s10, s1, -1
	s_mov_b32 s1, -1
	s_delay_alu instid0(VALU_DEP_1) | instskip(NEXT) | instid1(VALU_DEP_1)
	v_add_co_u32 v11, vcc_lo, s4, v1
	v_add_co_ci_u32_e64 v12, null, s5, v2, vcc_lo
	s_and_b32 vcc_lo, exec_lo, s10
	s_wait_alu 0xfffe
	s_cbranch_vccz .LBB76_6
; %bb.5:
	v_add_co_u32 v1, vcc_lo, v11, v8
	s_wait_alu 0xfffd
	v_add_co_ci_u32_e64 v2, null, 0, v12, vcc_lo
	s_mov_b32 s1, 0
	s_clause 0x6
	flat_load_b32 v3, v[1:2]
	flat_load_b32 v4, v[1:2] offset:1536
	flat_load_b32 v5, v[1:2] offset:3072
	;; [unrolled: 1-line block ×6, first 2 shown]
	s_wait_loadcnt_dscnt 0x505
	ds_store_2addr_stride64_b32 v8, v3, v4 offset1:6
	s_wait_loadcnt_dscnt 0x304
	ds_store_2addr_stride64_b32 v8, v5, v6 offset0:12 offset1:18
	s_wait_loadcnt_dscnt 0x103
	ds_store_2addr_stride64_b32 v8, v7, v13 offset0:24 offset1:30
	s_wait_loadcnt_dscnt 0x3
	ds_store_b32 v8, v1 offset:9216
	s_wait_dscnt 0x0
	s_barrier_signal -1
	s_barrier_wait -1
.LBB76_6:
	s_and_not1_b32 vcc_lo, exec_lo, s1
	s_add_co_i32 s16, s0, 0xa80
	s_wait_alu 0xfffe
	s_cbranch_vccnz .LBB76_22
; %bb.7:
	v_mov_b32_e32 v1, 0
	s_mov_b32 s0, exec_lo
	s_delay_alu instid0(VALU_DEP_1)
	v_dual_mov_b32 v2, v1 :: v_dual_mov_b32 v3, v1
	v_dual_mov_b32 v4, v1 :: v_dual_mov_b32 v5, v1
	;; [unrolled: 1-line block ×3, first 2 shown]
	v_cmpx_gt_u32_e64 s16, v0
	s_cbranch_execz .LBB76_9
; %bb.8:
	v_add_co_u32 v2, vcc_lo, v11, v8
	s_wait_alu 0xfffd
	v_add_co_ci_u32_e64 v3, null, 0, v12, vcc_lo
	v_dual_mov_b32 v14, v1 :: v_dual_mov_b32 v15, v1
	v_dual_mov_b32 v16, v1 :: v_dual_mov_b32 v17, v1
	flat_load_b32 v13, v[2:3]
	v_dual_mov_b32 v18, v1 :: v_dual_mov_b32 v19, v1
	s_wait_loadcnt_dscnt 0x0
	v_dual_mov_b32 v1, v13 :: v_dual_mov_b32 v2, v14
	v_dual_mov_b32 v3, v15 :: v_dual_mov_b32 v4, v16
	s_delay_alu instid0(VALU_DEP_3)
	v_dual_mov_b32 v5, v17 :: v_dual_mov_b32 v6, v18
	v_mov_b32_e32 v7, v19
.LBB76_9:
	s_or_b32 exec_lo, exec_lo, s0
	v_add_nc_u32_e32 v13, 0x180, v0
	s_mov_b32 s0, exec_lo
	s_delay_alu instid0(VALU_DEP_1)
	v_cmpx_gt_u32_e64 s16, v13
	s_cbranch_execz .LBB76_11
; %bb.10:
	v_add_co_u32 v13, vcc_lo, v11, v8
	s_wait_alu 0xfffd
	v_add_co_ci_u32_e64 v14, null, 0, v12, vcc_lo
	flat_load_b32 v2, v[13:14] offset:1536
.LBB76_11:
	s_or_b32 exec_lo, exec_lo, s0
	v_add_nc_u32_e32 v13, 0x300, v0
	s_mov_b32 s0, exec_lo
	s_delay_alu instid0(VALU_DEP_1)
	v_cmpx_gt_u32_e64 s16, v13
	s_cbranch_execz .LBB76_13
; %bb.12:
	v_add_co_u32 v13, vcc_lo, v11, v8
	s_wait_alu 0xfffd
	v_add_co_ci_u32_e64 v14, null, 0, v12, vcc_lo
	flat_load_b32 v3, v[13:14] offset:3072
.LBB76_13:
	;; [unrolled: 12-line block ×3, first 2 shown]
	s_or_b32 exec_lo, exec_lo, s0
	v_or_b32_e32 v13, 0x600, v0
	s_mov_b32 s0, exec_lo
	s_delay_alu instid0(VALU_DEP_1)
	v_cmpx_gt_u32_e64 s16, v13
	s_cbranch_execz .LBB76_17
; %bb.16:
	v_add_co_u32 v13, vcc_lo, v11, v8
	s_wait_alu 0xfffd
	v_add_co_ci_u32_e64 v14, null, 0, v12, vcc_lo
	flat_load_b32 v5, v[13:14] offset:6144
.LBB76_17:
	s_or_b32 exec_lo, exec_lo, s0
	v_add_nc_u32_e32 v13, 0x780, v0
	s_mov_b32 s0, exec_lo
	s_delay_alu instid0(VALU_DEP_1)
	v_cmpx_gt_u32_e64 s16, v13
	s_cbranch_execz .LBB76_19
; %bb.18:
	v_add_co_u32 v13, vcc_lo, v11, v8
	s_wait_alu 0xfffd
	v_add_co_ci_u32_e64 v14, null, 0, v12, vcc_lo
	flat_load_b32 v6, v[13:14] offset:7680
.LBB76_19:
	s_or_b32 exec_lo, exec_lo, s0
	v_add_nc_u32_e32 v13, 0x900, v0
	s_mov_b32 s0, exec_lo
	s_delay_alu instid0(VALU_DEP_1)
	v_cmpx_gt_u32_e64 s16, v13
	s_cbranch_execz .LBB76_21
; %bb.20:
	v_add_co_u32 v11, vcc_lo, v11, v8
	s_wait_alu 0xfffd
	v_add_co_ci_u32_e64 v12, null, 0, v12, vcc_lo
	flat_load_b32 v7, v[11:12] offset:9216
.LBB76_21:
	s_or_b32 exec_lo, exec_lo, s0
	s_wait_loadcnt_dscnt 0x0
	ds_store_2addr_stride64_b32 v8, v1, v2 offset1:6
	ds_store_2addr_stride64_b32 v8, v3, v4 offset0:12 offset1:18
	ds_store_2addr_stride64_b32 v8, v5, v6 offset0:24 offset1:30
	ds_store_b32 v8, v7 offset:9216
	s_wait_dscnt 0x0
	s_barrier_signal -1
	s_barrier_wait -1
.LBB76_22:
	v_mul_u32_u24_e32 v1, 7, v0
	s_wait_loadcnt 0x0
	global_inv scope:SCOPE_SE
	s_and_not1_b32 vcc_lo, exec_lo, s10
	v_lshlrev_b32_e32 v32, 2, v1
	ds_load_2addr_b32 v[11:12], v32 offset0:4 offset1:5
	ds_load_b32 v33, v32 offset:24
	ds_load_2addr_b32 v[15:16], v32 offset1:1
	ds_load_2addr_b32 v[13:14], v32 offset0:2 offset1:3
	s_wait_loadcnt_dscnt 0x0
	s_barrier_signal -1
	s_barrier_wait -1
	global_inv scope:SCOPE_SE
	v_cmp_neq_f32_e64 s0, s19, v11
	v_cmp_neq_f32_e64 s11, s19, v33
	;; [unrolled: 1-line block ×7, first 2 shown]
	s_wait_alu 0xfffe
	s_cbranch_vccnz .LBB76_24
; %bb.23:
	s_wait_alu 0xf1ff
	v_cndmask_b32_e64 v2, 0, 1, s5
	v_cndmask_b32_e64 v3, 0, 1, s6
	;; [unrolled: 1-line block ×5, first 2 shown]
	v_lshlrev_b16 v2, 8, v2
	v_lshlrev_b16 v3, 8, v3
	v_cndmask_b32_e64 v34, 0, 1, s1
	s_delay_alu instid0(VALU_DEP_3) | instskip(NEXT) | instid1(VALU_DEP_3)
	v_or_b32_e32 v2, v4, v2
	v_or_b32_e32 v3, v5, v3
	s_delay_alu instid0(VALU_DEP_2) | instskip(NEXT) | instid1(VALU_DEP_2)
	v_and_b32_e32 v2, 0xffff, v2
	v_lshlrev_b32_e32 v3, 16, v3
	s_delay_alu instid0(VALU_DEP_1)
	v_or_b32_e32 v31, v2, v3
	s_cbranch_execz .LBB76_25
	s_branch .LBB76_26
.LBB76_24:
                                        ; implicit-def: $sgpr11
                                        ; implicit-def: $vgpr34
                                        ; implicit-def: $vgpr35
                                        ; implicit-def: $vgpr31
.LBB76_25:
	v_add_nc_u32_e32 v2, 1, v1
	v_cmp_neq_f32_e32 vcc_lo, s19, v16
	v_add_nc_u32_e32 v3, 3, v1
	v_cmp_neq_f32_e64 s0, s19, v15
	v_cmp_neq_f32_e64 s3, s19, v14
	v_cmp_gt_u32_e64 s1, s16, v2
	v_add_nc_u32_e32 v2, 2, v1
	v_cmp_gt_u32_e64 s5, s16, v3
	v_cmp_neq_f32_e64 s4, s19, v13
	v_add_nc_u32_e32 v5, 5, v1
	s_and_b32 s1, s1, vcc_lo
	v_cmp_gt_u32_e32 vcc_lo, s16, v1
	s_wait_alu 0xfffe
	v_cndmask_b32_e64 v3, 0, 1, s1
	v_cmp_gt_u32_e64 s1, s16, v2
	s_and_b32 s3, s5, s3
	s_and_b32 s0, vcc_lo, s0
	v_lshlrev_b16 v3, 8, v3
	s_wait_alu 0xfffe
	v_cndmask_b32_e64 v4, 0, 1, s0
	v_cndmask_b32_e64 v2, 0, 1, s3
	s_and_b32 s0, s1, s4
	v_cmp_neq_f32_e32 vcc_lo, s19, v12
	s_wait_alu 0xfffe
	v_cndmask_b32_e64 v6, 0, 1, s0
	v_cmp_gt_u32_e64 s0, s16, v5
	v_or_b32_e32 v3, v4, v3
	v_add_nc_u32_e32 v4, 4, v1
	v_lshlrev_b16 v2, 8, v2
	v_cmp_neq_f32_e64 s1, s19, v11
	s_and_b32 s0, s0, vcc_lo
	v_add_nc_u32_e32 v1, 6, v1
	v_cmp_gt_u32_e32 vcc_lo, s16, v4
	v_or_b32_e32 v2, v6, v2
	s_wait_alu 0xfffe
	v_cndmask_b32_e64 v34, 0, 1, s0
	v_and_b32_e32 v3, 0xffff, v3
	s_and_b32 s0, vcc_lo, s1
	v_cmp_gt_u32_e32 vcc_lo, s16, v1
	s_wait_alu 0xfffe
	v_cndmask_b32_e64 v5, 0, 1, s0
	v_cmp_neq_f32_e64 s0, s19, v33
	v_lshlrev_b32_e32 v2, 16, v2
	v_lshlrev_b16 v4, 8, v34
	s_and_not1_b32 s1, s11, exec_lo
	s_and_b32 s0, vcc_lo, s0
	s_delay_alu instid0(VALU_DEP_2) | instskip(NEXT) | instid1(VALU_DEP_2)
	v_or_b32_e32 v31, v3, v2
	v_or_b32_e32 v35, v5, v4
	s_wait_alu 0xfffe
	s_and_b32 s0, s0, exec_lo
	s_wait_alu 0xfffe
	s_or_b32 s11, s1, s0
.LBB76_26:
	s_delay_alu instid0(VALU_DEP_1)
	v_dual_mov_b32 v2, 0 :: v_dual_and_b32 v39, 0xff, v31
	v_bfe_u32 v38, v31, 8, 8
	v_cndmask_b32_e64 v1, 0, 1, s11
	v_bfe_u32 v41, v31, 16, 8
	v_lshrrev_b32_e32 v36, 24, v31
	v_and_b32_e32 v40, 0xff, v35
	v_mbcnt_lo_u32_b32 v42, -1, 0
	v_add3_u32 v1, v39, v1, v38
	v_and_b32_e32 v37, 0xff, v34
	s_cmp_lg_u32 s18, 0
	s_mov_b32 s1, -1
	v_and_b32_e32 v43, 15, v42
	v_add_co_u32 v1, s0, v1, v41
	s_wait_alu 0xf1ff
	v_add_co_ci_u32_e64 v3, null, 0, 0, s0
	s_delay_alu instid0(VALU_DEP_3) | instskip(NEXT) | instid1(VALU_DEP_3)
	v_cmp_ne_u32_e64 s0, 0, v43
	v_add_co_u32 v1, vcc_lo, v1, v36
	s_wait_alu 0xfffd
	s_delay_alu instid0(VALU_DEP_3) | instskip(NEXT) | instid1(VALU_DEP_2)
	v_add_co_ci_u32_e64 v3, null, 0, v3, vcc_lo
	v_add_co_u32 v1, vcc_lo, v1, v40
	s_wait_alu 0xfffd
	s_delay_alu instid0(VALU_DEP_2) | instskip(NEXT) | instid1(VALU_DEP_2)
	v_add_co_ci_u32_e64 v3, null, 0, v3, vcc_lo
	v_add_co_u32 v17, vcc_lo, v1, v37
	s_wait_alu 0xfffd
	s_delay_alu instid0(VALU_DEP_2)
	v_add_co_ci_u32_e64 v18, null, 0, v3, vcc_lo
	s_cbranch_scc0 .LBB76_85
; %bb.27:
	v_mov_b32_e32 v3, v17
	v_mov_b32_dpp v1, v17 row_shr:1 row_mask:0xf bank_mask:0xf
	v_mov_b32_dpp v6, v2 row_shr:1 row_mask:0xf bank_mask:0xf
	v_dual_mov_b32 v5, v17 :: v_dual_mov_b32 v4, v18
	s_and_saveexec_b32 s1, s0
; %bb.28:
	s_delay_alu instid0(VALU_DEP_3) | instskip(SKIP_2) | instid1(VALU_DEP_2)
	v_add_co_u32 v5, vcc_lo, v17, v1
	s_wait_alu 0xfffd
	v_add_co_ci_u32_e64 v2, null, 0, v18, vcc_lo
	v_add_co_u32 v1, vcc_lo, 0, v5
	s_wait_alu 0xfffd
	s_delay_alu instid0(VALU_DEP_2) | instskip(NEXT) | instid1(VALU_DEP_1)
	v_add_co_ci_u32_e64 v2, null, v6, v2, vcc_lo
	v_dual_mov_b32 v4, v2 :: v_dual_mov_b32 v3, v1
; %bb.29:
	s_wait_alu 0xfffe
	s_or_b32 exec_lo, exec_lo, s1
	v_mov_b32_dpp v1, v5 row_shr:2 row_mask:0xf bank_mask:0xf
	v_mov_b32_dpp v6, v2 row_shr:2 row_mask:0xf bank_mask:0xf
	v_cmp_lt_u32_e32 vcc_lo, 1, v43
	s_and_saveexec_b32 s3, vcc_lo
; %bb.30:
	s_delay_alu instid0(VALU_DEP_3) | instskip(SKIP_2) | instid1(VALU_DEP_2)
	v_add_co_u32 v5, s1, v3, v1
	s_wait_alu 0xf1ff
	v_add_co_ci_u32_e64 v2, null, 0, v4, s1
	v_add_co_u32 v1, s1, 0, v5
	s_wait_alu 0xf1ff
	s_delay_alu instid0(VALU_DEP_2) | instskip(NEXT) | instid1(VALU_DEP_1)
	v_add_co_ci_u32_e64 v2, null, v6, v2, s1
	v_dual_mov_b32 v4, v2 :: v_dual_mov_b32 v3, v1
; %bb.31:
	s_wait_alu 0xfffe
	s_or_b32 exec_lo, exec_lo, s3
	v_mov_b32_dpp v1, v5 row_shr:4 row_mask:0xf bank_mask:0xf
	v_mov_b32_dpp v6, v2 row_shr:4 row_mask:0xf bank_mask:0xf
	v_cmp_lt_u32_e64 s1, 3, v43
	s_and_saveexec_b32 s4, s1
; %bb.32:
	v_add_co_u32 v5, s3, v3, v1
	s_wait_alu 0xf1ff
	v_add_co_ci_u32_e64 v2, null, 0, v4, s3
	s_delay_alu instid0(VALU_DEP_2) | instskip(SKIP_1) | instid1(VALU_DEP_2)
	v_add_co_u32 v1, s3, 0, v5
	s_wait_alu 0xf1ff
	v_add_co_ci_u32_e64 v2, null, v6, v2, s3
	s_delay_alu instid0(VALU_DEP_1)
	v_dual_mov_b32 v4, v2 :: v_dual_mov_b32 v3, v1
; %bb.33:
	s_wait_alu 0xfffe
	s_or_b32 exec_lo, exec_lo, s4
	v_mov_b32_dpp v6, v5 row_shr:8 row_mask:0xf bank_mask:0xf
	v_mov_b32_dpp v1, v2 row_shr:8 row_mask:0xf bank_mask:0xf
	v_cmp_lt_u32_e64 s3, 7, v43
	s_and_saveexec_b32 s5, s3
; %bb.34:
	v_add_co_u32 v5, s4, v3, v6
	s_wait_alu 0xf1ff
	v_add_co_ci_u32_e64 v2, null, 0, v4, s4
	s_delay_alu instid0(VALU_DEP_2) | instskip(SKIP_1) | instid1(VALU_DEP_2)
	v_add_co_u32 v3, s4, 0, v5
	s_wait_alu 0xf1ff
	v_add_co_ci_u32_e64 v4, null, v1, v2, s4
	s_delay_alu instid0(VALU_DEP_1)
	v_mov_b32_e32 v2, v4
; %bb.35:
	s_wait_alu 0xfffe
	s_or_b32 exec_lo, exec_lo, s5
	ds_swizzle_b32 v1, v5 offset:swizzle(BROADCAST,32,15)
	ds_swizzle_b32 v6, v2 offset:swizzle(BROADCAST,32,15)
	v_and_b32_e32 v7, 16, v42
	s_mov_b32 s5, exec_lo
	s_delay_alu instid0(VALU_DEP_1)
	v_cmpx_ne_u32_e32 0, v7
	s_cbranch_execz .LBB76_37
; %bb.36:
	s_wait_dscnt 0x1
	v_add_co_u32 v5, s4, v3, v1
	s_wait_alu 0xf1ff
	v_add_co_ci_u32_e64 v2, null, 0, v4, s4
	s_delay_alu instid0(VALU_DEP_2) | instskip(SKIP_2) | instid1(VALU_DEP_2)
	v_add_co_u32 v1, s4, 0, v5
	s_wait_dscnt 0x0
	s_wait_alu 0xf1ff
	v_add_co_ci_u32_e64 v2, null, v6, v2, s4
	s_delay_alu instid0(VALU_DEP_1)
	v_dual_mov_b32 v4, v2 :: v_dual_mov_b32 v3, v1
.LBB76_37:
	s_wait_alu 0xfffe
	s_or_b32 exec_lo, exec_lo, s5
	s_wait_dscnt 0x1
	v_and_b32_e32 v1, 0x1e0, v0
	s_mov_b32 s5, exec_lo
	s_delay_alu instid0(VALU_DEP_1) | instskip(SKIP_1) | instid1(VALU_DEP_1)
	v_min_u32_e32 v1, 0x160, v1
	s_wait_dscnt 0x0
	v_or_b32_e32 v6, 31, v1
	v_lshrrev_b32_e32 v1, 5, v0
	s_delay_alu instid0(VALU_DEP_2)
	v_cmpx_eq_u32_e64 v0, v6
; %bb.38:
	s_delay_alu instid0(VALU_DEP_2)
	v_lshlrev_b32_e32 v6, 3, v1
	ds_store_b64 v6, v[3:4]
; %bb.39:
	s_wait_alu 0xfffe
	s_or_b32 exec_lo, exec_lo, s5
	s_delay_alu instid0(SALU_CYCLE_1)
	s_mov_b32 s5, exec_lo
	s_wait_loadcnt_dscnt 0x0
	s_barrier_signal -1
	s_barrier_wait -1
	global_inv scope:SCOPE_SE
	v_cmpx_gt_u32_e32 12, v0
	s_cbranch_execz .LBB76_49
; %bb.40:
	v_lshlrev_b32_e32 v6, 3, v0
	ds_load_b64 v[3:4], v6
	s_wait_dscnt 0x0
	v_mov_b32_dpp v19, v3 row_shr:1 row_mask:0xf bank_mask:0xf
	v_mov_b32_dpp v8, v4 row_shr:1 row_mask:0xf bank_mask:0xf
	v_mov_b32_e32 v7, v3
	s_and_saveexec_b32 s6, s0
; %bb.41:
	s_delay_alu instid0(VALU_DEP_3) | instskip(SKIP_2) | instid1(VALU_DEP_2)
	v_add_co_u32 v7, s4, v3, v19
	s_wait_alu 0xf1ff
	v_add_co_ci_u32_e64 v4, null, 0, v4, s4
	v_add_co_u32 v3, s4, 0, v7
	s_wait_alu 0xf1ff
	s_delay_alu instid0(VALU_DEP_2)
	v_add_co_ci_u32_e64 v4, null, v8, v4, s4
; %bb.42:
	s_wait_alu 0xfffe
	s_or_b32 exec_lo, exec_lo, s6
	v_mov_b32_dpp v19, v7 row_shr:2 row_mask:0xf bank_mask:0xf
	s_delay_alu instid0(VALU_DEP_2)
	v_mov_b32_dpp v8, v4 row_shr:2 row_mask:0xf bank_mask:0xf
	s_and_saveexec_b32 s4, vcc_lo
; %bb.43:
	s_delay_alu instid0(VALU_DEP_2) | instskip(SKIP_2) | instid1(VALU_DEP_2)
	v_add_co_u32 v7, vcc_lo, v3, v19
	s_wait_alu 0xfffd
	v_add_co_ci_u32_e64 v4, null, 0, v4, vcc_lo
	v_add_co_u32 v3, vcc_lo, 0, v7
	s_wait_alu 0xfffd
	s_delay_alu instid0(VALU_DEP_2)
	v_add_co_ci_u32_e64 v4, null, v8, v4, vcc_lo
; %bb.44:
	s_wait_alu 0xfffe
	s_or_b32 exec_lo, exec_lo, s4
	v_mov_b32_dpp v19, v7 row_shr:4 row_mask:0xf bank_mask:0xf
	s_delay_alu instid0(VALU_DEP_2)
	v_mov_b32_dpp v8, v4 row_shr:4 row_mask:0xf bank_mask:0xf
	s_and_saveexec_b32 s4, s1
; %bb.45:
	s_delay_alu instid0(VALU_DEP_2) | instskip(SKIP_2) | instid1(VALU_DEP_2)
	v_add_co_u32 v7, vcc_lo, v3, v19
	s_wait_alu 0xfffd
	v_add_co_ci_u32_e64 v4, null, 0, v4, vcc_lo
	v_add_co_u32 v3, vcc_lo, 0, v7
	s_wait_alu 0xfffd
	s_delay_alu instid0(VALU_DEP_2)
	v_add_co_ci_u32_e64 v4, null, v8, v4, vcc_lo
; %bb.46:
	s_wait_alu 0xfffe
	s_or_b32 exec_lo, exec_lo, s4
	v_mov_b32_dpp v8, v7 row_shr:8 row_mask:0xf bank_mask:0xf
	s_delay_alu instid0(VALU_DEP_2)
	v_mov_b32_dpp v7, v4 row_shr:8 row_mask:0xf bank_mask:0xf
	s_and_saveexec_b32 s1, s3
; %bb.47:
	s_delay_alu instid0(VALU_DEP_2) | instskip(SKIP_2) | instid1(VALU_DEP_2)
	v_add_co_u32 v3, vcc_lo, v3, v8
	s_wait_alu 0xfffd
	v_add_co_ci_u32_e64 v4, null, 0, v4, vcc_lo
	v_add_co_u32 v3, vcc_lo, v3, 0
	s_wait_alu 0xfffd
	s_delay_alu instid0(VALU_DEP_2)
	v_add_co_ci_u32_e64 v4, null, v4, v7, vcc_lo
; %bb.48:
	s_wait_alu 0xfffe
	s_or_b32 exec_lo, exec_lo, s1
	ds_store_b64 v6, v[3:4]
.LBB76_49:
	s_wait_alu 0xfffe
	s_or_b32 exec_lo, exec_lo, s5
	s_delay_alu instid0(SALU_CYCLE_1)
	s_mov_b32 s3, exec_lo
	v_cmp_gt_u32_e32 vcc_lo, 32, v0
	s_wait_loadcnt_dscnt 0x0
	s_barrier_signal -1
	s_barrier_wait -1
	global_inv scope:SCOPE_SE
                                        ; implicit-def: $vgpr19_vgpr20
	v_cmpx_lt_u32_e32 31, v0
	s_cbranch_execz .LBB76_51
; %bb.50:
	v_lshl_add_u32 v1, v1, 3, -8
	ds_load_b64 v[19:20], v1
	s_wait_dscnt 0x0
	v_add_co_u32 v5, s1, v5, v19
	s_wait_alu 0xf1ff
	v_add_co_ci_u32_e64 v2, null, v2, v20, s1
.LBB76_51:
	s_wait_alu 0xfffe
	s_or_b32 exec_lo, exec_lo, s3
	v_sub_co_u32 v1, s1, v42, 1
	s_delay_alu instid0(VALU_DEP_1) | instskip(SKIP_1) | instid1(VALU_DEP_1)
	v_cmp_gt_i32_e64 s3, 0, v1
	s_wait_alu 0xf1ff
	v_cndmask_b32_e64 v1, v1, v42, s3
	s_delay_alu instid0(VALU_DEP_1)
	v_lshlrev_b32_e32 v1, 2, v1
	ds_bpermute_b32 v25, v1, v5
	ds_bpermute_b32 v26, v1, v2
	s_and_saveexec_b32 s3, vcc_lo
	s_cbranch_execz .LBB76_90
; %bb.52:
	v_mov_b32_e32 v4, 0
	ds_load_b64 v[1:2], v4 offset:88
	s_and_saveexec_b32 s4, s1
	s_cbranch_execz .LBB76_54
; %bb.53:
	s_add_co_i32 s16, s18, 32
	s_mov_b32 s17, 0
	s_wait_alu 0xfffe
	s_lshl_b64 s[16:17], s[16:17], 4
	s_wait_alu 0xfffe
	s_add_nc_u64 s[16:17], s[14:15], s[16:17]
	v_mov_b32_e32 v3, 1
	s_wait_alu 0xfffe
	v_dual_mov_b32 v5, s16 :: v_dual_mov_b32 v6, s17
	s_wait_dscnt 0x0
	;;#ASMSTART
	global_store_b128 v[5:6], v[1:4] off scope:SCOPE_DEV	
s_wait_storecnt 0x0
	;;#ASMEND
.LBB76_54:
	s_wait_alu 0xfffe
	s_or_b32 exec_lo, exec_lo, s4
	v_xad_u32 v21, v42, -1, s18
	s_mov_b32 s5, 0
	s_mov_b32 s4, exec_lo
	s_delay_alu instid0(VALU_DEP_1) | instskip(NEXT) | instid1(VALU_DEP_1)
	v_add_nc_u32_e32 v3, 32, v21
	v_lshlrev_b64_e32 v[3:4], 4, v[3:4]
	s_delay_alu instid0(VALU_DEP_1) | instskip(SKIP_1) | instid1(VALU_DEP_2)
	v_add_co_u32 v3, vcc_lo, s14, v3
	s_wait_alu 0xfffd
	v_add_co_ci_u32_e64 v4, null, s15, v4, vcc_lo
	;;#ASMSTART
	global_load_b128 v[5:8], v[3:4] off scope:SCOPE_DEV	
s_wait_loadcnt 0x0
	;;#ASMEND
	v_and_b32_e32 v8, 0xff, v7
	s_delay_alu instid0(VALU_DEP_1)
	v_cmpx_eq_u16_e32 0, v8
	s_cbranch_execz .LBB76_57
.LBB76_55:                              ; =>This Inner Loop Header: Depth=1
	;;#ASMSTART
	global_load_b128 v[5:8], v[3:4] off scope:SCOPE_DEV	
s_wait_loadcnt 0x0
	;;#ASMEND
	v_and_b32_e32 v8, 0xff, v7
	s_delay_alu instid0(VALU_DEP_1)
	v_cmp_ne_u16_e32 vcc_lo, 0, v8
	s_wait_alu 0xfffe
	s_or_b32 s5, vcc_lo, s5
	s_wait_alu 0xfffe
	s_and_not1_b32 exec_lo, exec_lo, s5
	s_cbranch_execnz .LBB76_55
; %bb.56:
	s_or_b32 exec_lo, exec_lo, s5
.LBB76_57:
	s_wait_alu 0xfffe
	s_or_b32 exec_lo, exec_lo, s4
	v_cmp_ne_u32_e32 vcc_lo, 31, v42
	v_and_b32_e32 v4, 0xff, v7
	v_lshlrev_b32_e64 v28, v42, -1
	s_mov_b32 s4, exec_lo
	s_wait_alu 0xfffd
	v_add_co_ci_u32_e64 v3, null, 0, v42, vcc_lo
	v_cmp_eq_u16_e32 vcc_lo, 2, v4
	s_delay_alu instid0(VALU_DEP_2)
	v_dual_mov_b32 v4, v5 :: v_dual_lshlrev_b32 v27, 2, v3
	s_wait_alu 0xfffd
	v_and_or_b32 v3, vcc_lo, v28, 0x80000000
	ds_bpermute_b32 v22, v27, v5
	ds_bpermute_b32 v8, v27, v6
	v_ctz_i32_b32_e32 v3, v3
	s_delay_alu instid0(VALU_DEP_1)
	v_cmpx_lt_u32_e64 v42, v3
	s_cbranch_execz .LBB76_59
; %bb.58:
	s_wait_dscnt 0x1
	v_add_co_u32 v4, vcc_lo, v5, v22
	s_wait_alu 0xfffd
	v_add_co_ci_u32_e64 v6, null, 0, v6, vcc_lo
	s_delay_alu instid0(VALU_DEP_2) | instskip(SKIP_2) | instid1(VALU_DEP_2)
	v_add_co_u32 v5, vcc_lo, 0, v4
	s_wait_dscnt 0x0
	s_wait_alu 0xfffd
	v_add_co_ci_u32_e64 v6, null, v8, v6, vcc_lo
.LBB76_59:
	s_wait_alu 0xfffe
	s_or_b32 exec_lo, exec_lo, s4
	v_cmp_gt_u32_e32 vcc_lo, 30, v42
	v_add_nc_u32_e32 v30, 2, v42
	s_mov_b32 s4, exec_lo
	s_wait_dscnt 0x0
	s_wait_alu 0xfffd
	v_cndmask_b32_e64 v8, 0, 2, vcc_lo
	s_delay_alu instid0(VALU_DEP_1)
	v_add_lshl_u32 v29, v8, v42, 2
	ds_bpermute_b32 v22, v29, v4
	ds_bpermute_b32 v8, v29, v6
	v_cmpx_le_u32_e64 v30, v3
	s_cbranch_execz .LBB76_61
; %bb.60:
	s_wait_dscnt 0x1
	v_add_co_u32 v4, vcc_lo, v5, v22
	s_wait_alu 0xfffd
	v_add_co_ci_u32_e64 v6, null, 0, v6, vcc_lo
	s_delay_alu instid0(VALU_DEP_2) | instskip(SKIP_2) | instid1(VALU_DEP_2)
	v_add_co_u32 v5, vcc_lo, 0, v4
	s_wait_dscnt 0x0
	s_wait_alu 0xfffd
	v_add_co_ci_u32_e64 v6, null, v8, v6, vcc_lo
.LBB76_61:
	s_wait_alu 0xfffe
	s_or_b32 exec_lo, exec_lo, s4
	v_cmp_gt_u32_e32 vcc_lo, 28, v42
	v_add_nc_u32_e32 v45, 4, v42
	s_mov_b32 s4, exec_lo
	s_wait_dscnt 0x0
	s_wait_alu 0xfffd
	v_cndmask_b32_e64 v8, 0, 4, vcc_lo
	s_delay_alu instid0(VALU_DEP_1)
	v_add_lshl_u32 v44, v8, v42, 2
	ds_bpermute_b32 v22, v44, v4
	ds_bpermute_b32 v8, v44, v6
	v_cmpx_le_u32_e64 v45, v3
	;; [unrolled: 25-line block ×3, first 2 shown]
	s_cbranch_execz .LBB76_65
; %bb.64:
	s_wait_dscnt 0x1
	v_add_co_u32 v4, vcc_lo, v5, v22
	s_wait_alu 0xfffd
	v_add_co_ci_u32_e64 v6, null, 0, v6, vcc_lo
	s_delay_alu instid0(VALU_DEP_2) | instskip(SKIP_2) | instid1(VALU_DEP_2)
	v_add_co_u32 v5, vcc_lo, 0, v4
	s_wait_dscnt 0x0
	s_wait_alu 0xfffd
	v_add_co_ci_u32_e64 v6, null, v8, v6, vcc_lo
.LBB76_65:
	s_wait_alu 0xfffe
	s_or_b32 exec_lo, exec_lo, s4
	v_lshl_or_b32 v48, v42, 2, 64
	v_add_nc_u32_e32 v49, 16, v42
	s_mov_b32 s4, exec_lo
	s_wait_dscnt 0x0
	ds_bpermute_b32 v8, v48, v4
	ds_bpermute_b32 v4, v48, v6
	v_cmpx_le_u32_e64 v49, v3
	s_cbranch_execz .LBB76_67
; %bb.66:
	s_wait_dscnt 0x1
	v_add_co_u32 v3, vcc_lo, v5, v8
	s_wait_alu 0xfffd
	v_add_co_ci_u32_e64 v6, null, 0, v6, vcc_lo
	s_delay_alu instid0(VALU_DEP_2) | instskip(SKIP_2) | instid1(VALU_DEP_2)
	v_add_co_u32 v5, vcc_lo, v3, 0
	s_wait_dscnt 0x0
	s_wait_alu 0xfffd
	v_add_co_ci_u32_e64 v6, null, v6, v4, vcc_lo
.LBB76_67:
	s_wait_alu 0xfffe
	s_or_b32 exec_lo, exec_lo, s4
	v_mov_b32_e32 v22, 0
	s_branch .LBB76_70
.LBB76_68:                              ;   in Loop: Header=BB76_70 Depth=1
	s_wait_alu 0xfffe
	s_or_b32 exec_lo, exec_lo, s4
	v_add_co_u32 v5, vcc_lo, v5, v3
	v_subrev_nc_u32_e32 v21, 32, v21
	s_wait_alu 0xfffd
	v_add_co_ci_u32_e64 v6, null, v6, v4, vcc_lo
	s_mov_b32 s4, 0
.LBB76_69:                              ;   in Loop: Header=BB76_70 Depth=1
	s_wait_alu 0xfffe
	s_and_b32 vcc_lo, exec_lo, s4
	s_wait_alu 0xfffe
	s_cbranch_vccnz .LBB76_86
.LBB76_70:                              ; =>This Loop Header: Depth=1
                                        ;     Child Loop BB76_73 Depth 2
	v_and_b32_e32 v3, 0xff, v7
	s_mov_b32 s4, -1
	s_delay_alu instid0(VALU_DEP_1)
	v_cmp_ne_u16_e32 vcc_lo, 2, v3
	s_wait_dscnt 0x0
	v_dual_mov_b32 v3, v5 :: v_dual_mov_b32 v4, v6
                                        ; implicit-def: $vgpr5_vgpr6
	s_cmp_lg_u32 vcc_lo, exec_lo
	s_cbranch_scc1 .LBB76_69
; %bb.71:                               ;   in Loop: Header=BB76_70 Depth=1
	v_lshlrev_b64_e32 v[5:6], 4, v[21:22]
	s_mov_b32 s4, exec_lo
	s_delay_alu instid0(VALU_DEP_1) | instskip(SKIP_1) | instid1(VALU_DEP_2)
	v_add_co_u32 v23, vcc_lo, s14, v5
	s_wait_alu 0xfffd
	v_add_co_ci_u32_e64 v24, null, s15, v6, vcc_lo
	;;#ASMSTART
	global_load_b128 v[5:8], v[23:24] off scope:SCOPE_DEV	
s_wait_loadcnt 0x0
	;;#ASMEND
	v_and_b32_e32 v8, 0xff, v7
	s_delay_alu instid0(VALU_DEP_1)
	v_cmpx_eq_u16_e32 0, v8
	s_cbranch_execz .LBB76_75
; %bb.72:                               ;   in Loop: Header=BB76_70 Depth=1
	s_mov_b32 s5, 0
.LBB76_73:                              ;   Parent Loop BB76_70 Depth=1
                                        ; =>  This Inner Loop Header: Depth=2
	;;#ASMSTART
	global_load_b128 v[5:8], v[23:24] off scope:SCOPE_DEV	
s_wait_loadcnt 0x0
	;;#ASMEND
	v_and_b32_e32 v8, 0xff, v7
	s_delay_alu instid0(VALU_DEP_1)
	v_cmp_ne_u16_e32 vcc_lo, 0, v8
	s_wait_alu 0xfffe
	s_or_b32 s5, vcc_lo, s5
	s_wait_alu 0xfffe
	s_and_not1_b32 exec_lo, exec_lo, s5
	s_cbranch_execnz .LBB76_73
; %bb.74:                               ;   in Loop: Header=BB76_70 Depth=1
	s_or_b32 exec_lo, exec_lo, s5
.LBB76_75:                              ;   in Loop: Header=BB76_70 Depth=1
	s_wait_alu 0xfffe
	s_or_b32 exec_lo, exec_lo, s4
	v_dual_mov_b32 v23, v5 :: v_dual_and_b32 v8, 0xff, v7
	ds_bpermute_b32 v50, v27, v5
	ds_bpermute_b32 v24, v27, v6
	s_mov_b32 s4, exec_lo
	v_cmp_eq_u16_e32 vcc_lo, 2, v8
	s_wait_alu 0xfffd
	v_and_or_b32 v8, vcc_lo, v28, 0x80000000
	s_delay_alu instid0(VALU_DEP_1) | instskip(NEXT) | instid1(VALU_DEP_1)
	v_ctz_i32_b32_e32 v8, v8
	v_cmpx_lt_u32_e64 v42, v8
	s_cbranch_execz .LBB76_77
; %bb.76:                               ;   in Loop: Header=BB76_70 Depth=1
	s_wait_dscnt 0x1
	v_add_co_u32 v23, vcc_lo, v5, v50
	s_wait_alu 0xfffd
	v_add_co_ci_u32_e64 v6, null, 0, v6, vcc_lo
	s_delay_alu instid0(VALU_DEP_2) | instskip(SKIP_2) | instid1(VALU_DEP_2)
	v_add_co_u32 v5, vcc_lo, 0, v23
	s_wait_dscnt 0x0
	s_wait_alu 0xfffd
	v_add_co_ci_u32_e64 v6, null, v24, v6, vcc_lo
.LBB76_77:                              ;   in Loop: Header=BB76_70 Depth=1
	s_wait_alu 0xfffe
	s_or_b32 exec_lo, exec_lo, s4
	s_wait_dscnt 0x1
	ds_bpermute_b32 v50, v29, v23
	s_wait_dscnt 0x1
	ds_bpermute_b32 v24, v29, v6
	s_mov_b32 s4, exec_lo
	v_cmpx_le_u32_e64 v30, v8
	s_cbranch_execz .LBB76_79
; %bb.78:                               ;   in Loop: Header=BB76_70 Depth=1
	s_wait_dscnt 0x1
	v_add_co_u32 v23, vcc_lo, v5, v50
	s_wait_alu 0xfffd
	v_add_co_ci_u32_e64 v6, null, 0, v6, vcc_lo
	s_delay_alu instid0(VALU_DEP_2) | instskip(SKIP_2) | instid1(VALU_DEP_2)
	v_add_co_u32 v5, vcc_lo, 0, v23
	s_wait_dscnt 0x0
	s_wait_alu 0xfffd
	v_add_co_ci_u32_e64 v6, null, v24, v6, vcc_lo
.LBB76_79:                              ;   in Loop: Header=BB76_70 Depth=1
	s_wait_alu 0xfffe
	s_or_b32 exec_lo, exec_lo, s4
	s_wait_dscnt 0x1
	ds_bpermute_b32 v50, v44, v23
	s_wait_dscnt 0x1
	ds_bpermute_b32 v24, v44, v6
	s_mov_b32 s4, exec_lo
	v_cmpx_le_u32_e64 v45, v8
	;; [unrolled: 20-line block ×3, first 2 shown]
	s_cbranch_execz .LBB76_83
; %bb.82:                               ;   in Loop: Header=BB76_70 Depth=1
	s_wait_dscnt 0x1
	v_add_co_u32 v23, vcc_lo, v5, v50
	s_wait_alu 0xfffd
	v_add_co_ci_u32_e64 v6, null, 0, v6, vcc_lo
	s_delay_alu instid0(VALU_DEP_2) | instskip(SKIP_2) | instid1(VALU_DEP_2)
	v_add_co_u32 v5, vcc_lo, 0, v23
	s_wait_dscnt 0x0
	s_wait_alu 0xfffd
	v_add_co_ci_u32_e64 v6, null, v24, v6, vcc_lo
.LBB76_83:                              ;   in Loop: Header=BB76_70 Depth=1
	s_wait_alu 0xfffe
	s_or_b32 exec_lo, exec_lo, s4
	s_wait_dscnt 0x0
	ds_bpermute_b32 v24, v48, v23
	ds_bpermute_b32 v23, v48, v6
	s_mov_b32 s4, exec_lo
	v_cmpx_le_u32_e64 v49, v8
	s_cbranch_execz .LBB76_68
; %bb.84:                               ;   in Loop: Header=BB76_70 Depth=1
	s_wait_dscnt 0x1
	v_add_co_u32 v5, vcc_lo, v5, v24
	s_wait_alu 0xfffd
	v_add_co_ci_u32_e64 v6, null, 0, v6, vcc_lo
	s_delay_alu instid0(VALU_DEP_2) | instskip(SKIP_2) | instid1(VALU_DEP_2)
	v_add_co_u32 v5, vcc_lo, v5, 0
	s_wait_dscnt 0x0
	s_wait_alu 0xfffd
	v_add_co_ci_u32_e64 v6, null, v6, v23, vcc_lo
	s_branch .LBB76_68
.LBB76_85:
                                        ; implicit-def: $vgpr19_vgpr20
                                        ; implicit-def: $vgpr6_vgpr7
                                        ; implicit-def: $vgpr21_vgpr22
                                        ; implicit-def: $vgpr23_vgpr24
                                        ; implicit-def: $vgpr25_vgpr26
                                        ; implicit-def: $vgpr27_vgpr28
                                        ; implicit-def: $vgpr29_vgpr30
                                        ; implicit-def: $vgpr4_vgpr5
	s_wait_alu 0xfffe
	s_and_b32 vcc_lo, exec_lo, s1
	s_wait_alu 0xfffe
	s_cbranch_vccnz .LBB76_91
	s_branch .LBB76_118
.LBB76_86:
	s_and_saveexec_b32 s4, s1
	s_cbranch_execz .LBB76_88
; %bb.87:
	s_add_co_i32 s16, s18, 32
	s_mov_b32 s17, 0
	v_add_co_u32 v5, vcc_lo, v3, v1
	s_wait_alu 0xfffe
	s_lshl_b64 s[16:17], s[16:17], 4
	v_dual_mov_b32 v7, 2 :: v_dual_mov_b32 v8, 0
	s_wait_alu 0xfffe
	s_add_nc_u64 s[16:17], s[14:15], s[16:17]
	s_wait_alu 0xfffd
	v_add_co_ci_u32_e64 v6, null, v4, v2, vcc_lo
	s_wait_alu 0xfffe
	v_dual_mov_b32 v22, s17 :: v_dual_mov_b32 v21, s16
	;;#ASMSTART
	global_store_b128 v[21:22], v[5:8] off scope:SCOPE_DEV	
s_wait_storecnt 0x0
	;;#ASMEND
	ds_store_b128 v8, v[1:4] offset:10752
.LBB76_88:
	s_wait_alu 0xfffe
	s_or_b32 exec_lo, exec_lo, s4
	s_delay_alu instid0(SALU_CYCLE_1)
	s_and_b32 exec_lo, exec_lo, s2
; %bb.89:
	v_mov_b32_e32 v1, 0
	ds_store_b64 v1, v[3:4] offset:88
.LBB76_90:
	s_wait_alu 0xfffe
	s_or_b32 exec_lo, exec_lo, s3
	v_mov_b32_e32 v3, 0
	s_wait_loadcnt_dscnt 0x0
	s_barrier_signal -1
	s_barrier_wait -1
	global_inv scope:SCOPE_SE
	ds_load_b64 v[1:2], v3 offset:88
	v_cndmask_b32_e64 v4, v25, v19, s1
	v_cndmask_b32_e64 v5, v26, v20, s1
	s_wait_loadcnt_dscnt 0x0
	s_barrier_signal -1
	s_barrier_wait -1
	v_cndmask_b32_e64 v4, v4, 0, s2
	v_cndmask_b32_e64 v5, v5, 0, s2
	global_inv scope:SCOPE_SE
	v_add_co_u32 v29, vcc_lo, v1, v4
	s_wait_alu 0xfffd
	v_add_co_ci_u32_e64 v30, null, v2, v5, vcc_lo
	ds_load_b128 v[2:5], v3 offset:10752
	v_add_co_u32 v27, vcc_lo, v29, v39
	s_wait_alu 0xfffd
	v_add_co_ci_u32_e64 v28, null, 0, v30, vcc_lo
	s_delay_alu instid0(VALU_DEP_2) | instskip(SKIP_1) | instid1(VALU_DEP_2)
	v_add_co_u32 v25, vcc_lo, v27, v38
	s_wait_alu 0xfffd
	v_add_co_ci_u32_e64 v26, null, 0, v28, vcc_lo
	s_delay_alu instid0(VALU_DEP_2) | instskip(SKIP_1) | instid1(VALU_DEP_2)
	;; [unrolled: 4-line block ×5, first 2 shown]
	v_add_co_u32 v19, vcc_lo, v6, v37
	s_wait_alu 0xfffd
	v_add_co_ci_u32_e64 v20, null, 0, v7, vcc_lo
	s_branch .LBB76_118
.LBB76_91:
	s_wait_dscnt 0x0
	v_dual_mov_b32 v2, 0 :: v_dual_mov_b32 v3, v17
	v_mov_b32_dpp v4, v17 row_shr:1 row_mask:0xf bank_mask:0xf
	s_delay_alu instid0(VALU_DEP_2)
	v_mov_b32_dpp v1, v2 row_shr:1 row_mask:0xf bank_mask:0xf
	s_and_saveexec_b32 s1, s0
; %bb.92:
	s_delay_alu instid0(VALU_DEP_2) | instskip(SKIP_2) | instid1(VALU_DEP_2)
	v_add_co_u32 v3, vcc_lo, v17, v4
	s_wait_alu 0xfffd
	v_add_co_ci_u32_e64 v2, null, 0, v18, vcc_lo
	v_add_co_u32 v17, vcc_lo, 0, v3
	s_wait_alu 0xfffd
	s_delay_alu instid0(VALU_DEP_2) | instskip(NEXT) | instid1(VALU_DEP_1)
	v_add_co_ci_u32_e64 v18, null, v1, v2, vcc_lo
	v_mov_b32_e32 v2, v18
; %bb.93:
	s_wait_alu 0xfffe
	s_or_b32 exec_lo, exec_lo, s1
	v_mov_b32_dpp v1, v3 row_shr:2 row_mask:0xf bank_mask:0xf
	s_delay_alu instid0(VALU_DEP_2)
	v_mov_b32_dpp v4, v2 row_shr:2 row_mask:0xf bank_mask:0xf
	v_cmp_lt_u32_e32 vcc_lo, 1, v43
	s_and_saveexec_b32 s3, vcc_lo
; %bb.94:
	s_delay_alu instid0(VALU_DEP_3) | instskip(SKIP_2) | instid1(VALU_DEP_2)
	v_add_co_u32 v3, s1, v17, v1
	s_wait_alu 0xf1ff
	v_add_co_ci_u32_e64 v2, null, 0, v18, s1
	v_add_co_u32 v1, s1, 0, v3
	s_wait_alu 0xf1ff
	s_delay_alu instid0(VALU_DEP_2) | instskip(NEXT) | instid1(VALU_DEP_1)
	v_add_co_ci_u32_e64 v2, null, v4, v2, s1
	v_dual_mov_b32 v18, v2 :: v_dual_mov_b32 v17, v1
; %bb.95:
	s_wait_alu 0xfffe
	s_or_b32 exec_lo, exec_lo, s3
	v_mov_b32_dpp v1, v3 row_shr:4 row_mask:0xf bank_mask:0xf
	v_mov_b32_dpp v4, v2 row_shr:4 row_mask:0xf bank_mask:0xf
	v_cmp_lt_u32_e64 s1, 3, v43
	s_and_saveexec_b32 s4, s1
; %bb.96:
	v_add_co_u32 v3, s3, v17, v1
	s_wait_alu 0xf1ff
	v_add_co_ci_u32_e64 v2, null, 0, v18, s3
	s_delay_alu instid0(VALU_DEP_2) | instskip(SKIP_1) | instid1(VALU_DEP_2)
	v_add_co_u32 v1, s3, 0, v3
	s_wait_alu 0xf1ff
	v_add_co_ci_u32_e64 v2, null, v4, v2, s3
	s_delay_alu instid0(VALU_DEP_1)
	v_dual_mov_b32 v18, v2 :: v_dual_mov_b32 v17, v1
; %bb.97:
	s_wait_alu 0xfffe
	s_or_b32 exec_lo, exec_lo, s4
	v_mov_b32_dpp v4, v3 row_shr:8 row_mask:0xf bank_mask:0xf
	v_mov_b32_dpp v1, v2 row_shr:8 row_mask:0xf bank_mask:0xf
	v_cmp_lt_u32_e64 s3, 7, v43
	s_and_saveexec_b32 s5, s3
; %bb.98:
	v_add_co_u32 v3, s4, v17, v4
	s_wait_alu 0xf1ff
	v_add_co_ci_u32_e64 v2, null, 0, v18, s4
	s_delay_alu instid0(VALU_DEP_2) | instskip(SKIP_1) | instid1(VALU_DEP_2)
	v_add_co_u32 v17, s4, 0, v3
	s_wait_alu 0xf1ff
	v_add_co_ci_u32_e64 v18, null, v1, v2, s4
	s_delay_alu instid0(VALU_DEP_1)
	v_mov_b32_e32 v2, v18
; %bb.99:
	s_wait_alu 0xfffe
	s_or_b32 exec_lo, exec_lo, s5
	ds_swizzle_b32 v3, v3 offset:swizzle(BROADCAST,32,15)
	ds_swizzle_b32 v1, v2 offset:swizzle(BROADCAST,32,15)
	v_and_b32_e32 v2, 16, v42
	s_mov_b32 s5, exec_lo
	s_delay_alu instid0(VALU_DEP_1)
	v_cmpx_ne_u32_e32 0, v2
	s_cbranch_execz .LBB76_101
; %bb.100:
	s_wait_dscnt 0x1
	v_add_co_u32 v2, s4, v17, v3
	s_wait_alu 0xf1ff
	v_add_co_ci_u32_e64 v3, null, 0, v18, s4
	s_delay_alu instid0(VALU_DEP_2) | instskip(SKIP_2) | instid1(VALU_DEP_2)
	v_add_co_u32 v17, s4, v2, 0
	s_wait_dscnt 0x0
	s_wait_alu 0xf1ff
	v_add_co_ci_u32_e64 v18, null, v3, v1, s4
.LBB76_101:
	s_wait_alu 0xfffe
	s_or_b32 exec_lo, exec_lo, s5
	s_wait_dscnt 0x0
	v_and_b32_e32 v1, 0x1e0, v0
	v_lshrrev_b32_e32 v3, 5, v0
	s_mov_b32 s5, exec_lo
	s_delay_alu instid0(VALU_DEP_2) | instskip(NEXT) | instid1(VALU_DEP_1)
	v_min_u32_e32 v1, 0x160, v1
	v_or_b32_e32 v1, 31, v1
	s_delay_alu instid0(VALU_DEP_1)
	v_cmpx_eq_u32_e64 v0, v1
; %bb.102:
	v_lshlrev_b32_e32 v1, 3, v3
	ds_store_b64 v1, v[17:18]
; %bb.103:
	s_wait_alu 0xfffe
	s_or_b32 exec_lo, exec_lo, s5
	s_delay_alu instid0(SALU_CYCLE_1)
	s_mov_b32 s5, exec_lo
	s_wait_loadcnt_dscnt 0x0
	s_barrier_signal -1
	s_barrier_wait -1
	global_inv scope:SCOPE_SE
	v_cmpx_gt_u32_e32 12, v0
	s_cbranch_execz .LBB76_113
; %bb.104:
	v_mad_i32_i24 v1, 0xffffffec, v0, v32
	ds_load_b64 v[1:2], v1
	s_wait_dscnt 0x0
	v_mov_b32_dpp v6, v1 row_shr:1 row_mask:0xf bank_mask:0xf
	v_mov_b32_dpp v5, v2 row_shr:1 row_mask:0xf bank_mask:0xf
	v_mov_b32_e32 v4, v1
	s_and_saveexec_b32 s4, s0
; %bb.105:
	s_delay_alu instid0(VALU_DEP_3) | instskip(SKIP_2) | instid1(VALU_DEP_2)
	v_add_co_u32 v4, s0, v1, v6
	s_wait_alu 0xf1ff
	v_add_co_ci_u32_e64 v2, null, 0, v2, s0
	v_add_co_u32 v1, s0, 0, v4
	s_wait_alu 0xf1ff
	s_delay_alu instid0(VALU_DEP_2)
	v_add_co_ci_u32_e64 v2, null, v5, v2, s0
; %bb.106:
	s_wait_alu 0xfffe
	s_or_b32 exec_lo, exec_lo, s4
	v_mov_b32_dpp v6, v4 row_shr:2 row_mask:0xf bank_mask:0xf
	s_delay_alu instid0(VALU_DEP_2)
	v_mov_b32_dpp v5, v2 row_shr:2 row_mask:0xf bank_mask:0xf
	s_and_saveexec_b32 s0, vcc_lo
; %bb.107:
	s_delay_alu instid0(VALU_DEP_2) | instskip(SKIP_2) | instid1(VALU_DEP_2)
	v_add_co_u32 v4, vcc_lo, v1, v6
	s_wait_alu 0xfffd
	v_add_co_ci_u32_e64 v2, null, 0, v2, vcc_lo
	v_add_co_u32 v1, vcc_lo, 0, v4
	s_wait_alu 0xfffd
	s_delay_alu instid0(VALU_DEP_2)
	v_add_co_ci_u32_e64 v2, null, v5, v2, vcc_lo
; %bb.108:
	s_wait_alu 0xfffe
	s_or_b32 exec_lo, exec_lo, s0
	v_mov_b32_dpp v6, v4 row_shr:4 row_mask:0xf bank_mask:0xf
	s_delay_alu instid0(VALU_DEP_2)
	v_mov_b32_dpp v5, v2 row_shr:4 row_mask:0xf bank_mask:0xf
	s_and_saveexec_b32 s0, s1
; %bb.109:
	s_delay_alu instid0(VALU_DEP_2) | instskip(SKIP_2) | instid1(VALU_DEP_2)
	v_add_co_u32 v4, vcc_lo, v1, v6
	s_wait_alu 0xfffd
	v_add_co_ci_u32_e64 v2, null, 0, v2, vcc_lo
	v_add_co_u32 v1, vcc_lo, 0, v4
	s_wait_alu 0xfffd
	s_delay_alu instid0(VALU_DEP_2)
	v_add_co_ci_u32_e64 v2, null, v5, v2, vcc_lo
; %bb.110:
	s_wait_alu 0xfffe
	s_or_b32 exec_lo, exec_lo, s0
	v_mul_i32_i24_e32 v5, 0xffffffec, v0
	v_mov_b32_dpp v6, v4 row_shr:8 row_mask:0xf bank_mask:0xf
	v_mov_b32_dpp v4, v2 row_shr:8 row_mask:0xf bank_mask:0xf
	s_and_saveexec_b32 s0, s3
; %bb.111:
	s_delay_alu instid0(VALU_DEP_2) | instskip(SKIP_2) | instid1(VALU_DEP_2)
	v_add_co_u32 v1, vcc_lo, v1, v6
	s_wait_alu 0xfffd
	v_add_co_ci_u32_e64 v2, null, 0, v2, vcc_lo
	v_add_co_u32 v1, vcc_lo, v1, 0
	s_wait_alu 0xfffd
	s_delay_alu instid0(VALU_DEP_2)
	v_add_co_ci_u32_e64 v2, null, v2, v4, vcc_lo
; %bb.112:
	s_wait_alu 0xfffe
	s_or_b32 exec_lo, exec_lo, s0
	v_add_nc_u32_e32 v4, v32, v5
	ds_store_b64 v4, v[1:2]
.LBB76_113:
	s_wait_alu 0xfffe
	s_or_b32 exec_lo, exec_lo, s5
	v_mov_b32_e32 v6, 0
	v_mov_b32_e32 v7, 0
	s_mov_b32 s0, exec_lo
	s_wait_loadcnt_dscnt 0x0
	s_barrier_signal -1
	s_barrier_wait -1
	global_inv scope:SCOPE_SE
	v_cmpx_lt_u32_e32 31, v0
; %bb.114:
	v_lshl_add_u32 v1, v3, 3, -8
	ds_load_b64 v[6:7], v1
; %bb.115:
	s_wait_alu 0xfffe
	s_or_b32 exec_lo, exec_lo, s0
	v_sub_co_u32 v1, vcc_lo, v42, 1
	v_mov_b32_e32 v5, 0
	s_delay_alu instid0(VALU_DEP_2) | instskip(SKIP_1) | instid1(VALU_DEP_1)
	v_cmp_gt_i32_e64 s0, 0, v1
	s_wait_alu 0xf1ff
	v_cndmask_b32_e64 v1, v1, v42, s0
	s_delay_alu instid0(VALU_DEP_1)
	v_lshlrev_b32_e32 v2, 2, v1
	s_wait_dscnt 0x0
	v_add_co_u32 v1, s0, v6, v17
	s_wait_alu 0xf1ff
	v_add_co_ci_u32_e64 v3, null, v7, v18, s0
	ds_bpermute_b32 v1, v2, v1
	ds_bpermute_b32 v8, v2, v3
	ds_load_b64 v[2:3], v5 offset:88
	s_and_saveexec_b32 s0, s2
	s_cbranch_execz .LBB76_117
; %bb.116:
	s_add_nc_u64 s[4:5], s[14:15], 0x200
	v_mov_b32_e32 v4, 2
	s_wait_alu 0xfffe
	v_dual_mov_b32 v18, s5 :: v_dual_mov_b32 v17, s4
	s_wait_dscnt 0x0
	;;#ASMSTART
	global_store_b128 v[17:18], v[2:5] off scope:SCOPE_DEV	
s_wait_storecnt 0x0
	;;#ASMEND
.LBB76_117:
	s_wait_alu 0xfffe
	s_or_b32 exec_lo, exec_lo, s0
	s_wait_dscnt 0x1
	s_wait_alu 0xfffd
	v_dual_cndmask_b32 v1, v1, v6 :: v_dual_cndmask_b32 v4, v8, v7
	s_wait_loadcnt_dscnt 0x0
	s_barrier_signal -1
	s_barrier_wait -1
	s_delay_alu instid0(VALU_DEP_1)
	v_cndmask_b32_e64 v29, v1, 0, s2
	v_cndmask_b32_e64 v30, v4, 0, s2
	v_mov_b32_e32 v4, 0
	v_mov_b32_e32 v5, 0
	global_inv scope:SCOPE_SE
	v_add_co_u32 v27, vcc_lo, v29, v39
	s_wait_alu 0xfffd
	v_add_co_ci_u32_e64 v28, null, 0, v30, vcc_lo
	s_delay_alu instid0(VALU_DEP_2) | instskip(SKIP_1) | instid1(VALU_DEP_2)
	v_add_co_u32 v25, vcc_lo, v27, v38
	s_wait_alu 0xfffd
	v_add_co_ci_u32_e64 v26, null, 0, v28, vcc_lo
	s_delay_alu instid0(VALU_DEP_2) | instskip(SKIP_1) | instid1(VALU_DEP_2)
	;; [unrolled: 4-line block ×5, first 2 shown]
	v_add_co_u32 v19, vcc_lo, v6, v37
	s_wait_alu 0xfffd
	v_add_co_ci_u32_e64 v20, null, 0, v7, vcc_lo
.LBB76_118:
	v_and_b32_e32 v37, 1, v31
	s_wait_dscnt 0x0
	v_cmp_gt_u64_e32 vcc_lo, 0x181, v[2:3]
	v_lshlrev_b64_e32 v[17:18], 2, v[9:10]
	v_lshrrev_b32_e32 v8, 8, v31
	v_lshrrev_b32_e32 v1, 16, v31
	v_cmp_eq_u32_e64 s0, 1, v37
	s_mov_b32 s1, -1
	s_cbranch_vccnz .LBB76_122
; %bb.119:
	s_wait_alu 0xfffe
	s_and_b32 vcc_lo, exec_lo, s1
	s_wait_alu 0xfffe
	s_cbranch_vccnz .LBB76_137
.LBB76_120:
	s_and_b32 s0, s2, s7
	s_wait_alu 0xfffe
	s_and_saveexec_b32 s1, s0
	s_cbranch_execnz .LBB76_154
.LBB76_121:
	s_endpgm
.LBB76_122:
	v_add_co_u32 v31, vcc_lo, v4, v2
	s_wait_alu 0xfffd
	v_add_co_ci_u32_e64 v32, null, v5, v3, vcc_lo
	v_add_co_u32 v38, s1, s12, v17
	s_wait_alu 0xf1fe
	v_add_co_ci_u32_e64 v39, null, s13, v18, s1
	s_delay_alu instid0(VALU_DEP_3)
	v_cmp_lt_u64_e32 vcc_lo, v[29:30], v[31:32]
	s_or_b32 s1, s10, vcc_lo
	s_wait_alu 0xfffe
	s_and_b32 s1, s1, s0
	s_wait_alu 0xfffe
	s_and_saveexec_b32 s0, s1
	s_cbranch_execz .LBB76_124
; %bb.123:
	v_lshlrev_b64_e32 v[40:41], 2, v[29:30]
	s_delay_alu instid0(VALU_DEP_1) | instskip(SKIP_1) | instid1(VALU_DEP_2)
	v_add_co_u32 v40, vcc_lo, v38, v40
	s_wait_alu 0xfffd
	v_add_co_ci_u32_e64 v41, null, v39, v41, vcc_lo
	global_store_b32 v[40:41], v15, off
.LBB76_124:
	s_wait_alu 0xfffe
	s_or_b32 exec_lo, exec_lo, s0
	v_and_b32_e32 v30, 1, v8
	v_cmp_lt_u64_e32 vcc_lo, v[27:28], v[31:32]
	s_delay_alu instid0(VALU_DEP_2)
	v_cmp_eq_u32_e64 s0, 1, v30
	s_or_b32 s1, s10, vcc_lo
	s_wait_alu 0xfffe
	s_and_b32 s1, s1, s0
	s_wait_alu 0xfffe
	s_and_saveexec_b32 s0, s1
	s_cbranch_execz .LBB76_126
; %bb.125:
	v_lshlrev_b64_e32 v[40:41], 2, v[27:28]
	s_delay_alu instid0(VALU_DEP_1) | instskip(SKIP_1) | instid1(VALU_DEP_2)
	v_add_co_u32 v40, vcc_lo, v38, v40
	s_wait_alu 0xfffd
	v_add_co_ci_u32_e64 v41, null, v39, v41, vcc_lo
	global_store_b32 v[40:41], v16, off
.LBB76_126:
	s_wait_alu 0xfffe
	s_or_b32 exec_lo, exec_lo, s0
	v_and_b32_e32 v28, 1, v1
	v_cmp_lt_u64_e32 vcc_lo, v[25:26], v[31:32]
	s_delay_alu instid0(VALU_DEP_2)
	v_cmp_eq_u32_e64 s0, 1, v28
	;; [unrolled: 20-line block ×5, first 2 shown]
	s_or_b32 s1, s10, vcc_lo
	s_wait_alu 0xfffe
	s_and_b32 s1, s1, s0
	s_wait_alu 0xfffe
	s_and_saveexec_b32 s0, s1
	s_cbranch_execz .LBB76_134
; %bb.133:
	v_lshlrev_b64_e32 v[40:41], 2, v[6:7]
	s_delay_alu instid0(VALU_DEP_1) | instskip(SKIP_1) | instid1(VALU_DEP_2)
	v_add_co_u32 v40, vcc_lo, v38, v40
	s_wait_alu 0xfffd
	v_add_co_ci_u32_e64 v41, null, v39, v41, vcc_lo
	global_store_b32 v[40:41], v12, off
.LBB76_134:
	s_wait_alu 0xfffe
	s_or_b32 exec_lo, exec_lo, s0
	v_cmp_lt_u64_e32 vcc_lo, v[19:20], v[31:32]
	s_or_b32 s0, s10, vcc_lo
	s_wait_alu 0xfffe
	s_and_b32 s1, s0, s11
	s_wait_alu 0xfffe
	s_and_saveexec_b32 s0, s1
	s_cbranch_execz .LBB76_136
; %bb.135:
	v_lshlrev_b64_e32 v[30:31], 2, v[19:20]
	s_delay_alu instid0(VALU_DEP_1) | instskip(SKIP_1) | instid1(VALU_DEP_2)
	v_add_co_u32 v30, vcc_lo, v38, v30
	s_wait_alu 0xfffd
	v_add_co_ci_u32_e64 v31, null, v39, v31, vcc_lo
	global_store_b32 v[30:31], v33, off
.LBB76_136:
	s_wait_alu 0xfffe
	s_or_b32 exec_lo, exec_lo, s0
	s_branch .LBB76_120
.LBB76_137:
	s_mov_b32 s0, exec_lo
	v_cmpx_eq_u32_e32 1, v37
; %bb.138:
	v_sub_nc_u32_e32 v7, v29, v4
	s_delay_alu instid0(VALU_DEP_1)
	v_lshlrev_b32_e32 v7, 2, v7
	ds_store_b32 v7, v15
; %bb.139:
	s_wait_alu 0xfffe
	s_or_b32 exec_lo, exec_lo, s0
	v_and_b32_e32 v7, 1, v8
	s_mov_b32 s0, exec_lo
	s_delay_alu instid0(VALU_DEP_1)
	v_cmpx_eq_u32_e32 1, v7
; %bb.140:
	v_sub_nc_u32_e32 v7, v27, v4
	s_delay_alu instid0(VALU_DEP_1)
	v_lshlrev_b32_e32 v7, 2, v7
	ds_store_b32 v7, v16
; %bb.141:
	s_wait_alu 0xfffe
	s_or_b32 exec_lo, exec_lo, s0
	v_and_b32_e32 v1, 1, v1
	s_mov_b32 s0, exec_lo
	s_delay_alu instid0(VALU_DEP_1)
	;; [unrolled: 12-line block ×5, first 2 shown]
	v_cmpx_eq_u32_e32 1, v1
; %bb.148:
	v_sub_nc_u32_e32 v1, v6, v4
	s_delay_alu instid0(VALU_DEP_1)
	v_lshlrev_b32_e32 v1, 2, v1
	ds_store_b32 v1, v12
; %bb.149:
	s_wait_alu 0xfffe
	s_or_b32 exec_lo, exec_lo, s0
	s_and_saveexec_b32 s0, s11
; %bb.150:
	v_sub_nc_u32_e32 v1, v19, v4
	s_delay_alu instid0(VALU_DEP_1)
	v_lshlrev_b32_e32 v1, 2, v1
	ds_store_b32 v1, v33
; %bb.151:
	s_wait_alu 0xfffe
	s_or_b32 exec_lo, exec_lo, s0
	v_lshlrev_b64_e32 v[6:7], 2, v[4:5]
	v_mov_b32_e32 v1, 0
	s_mov_b32 s1, 0
	s_wait_storecnt 0x0
	s_wait_loadcnt_dscnt 0x0
	s_barrier_signal -1
	s_barrier_wait -1
	v_add_co_u32 v8, vcc_lo, s12, v6
	s_wait_alu 0xfffd
	v_add_co_ci_u32_e64 v11, null, s13, v7, vcc_lo
	v_dual_mov_b32 v7, v1 :: v_dual_mov_b32 v6, v0
	s_delay_alu instid0(VALU_DEP_3) | instskip(SKIP_1) | instid1(VALU_DEP_3)
	v_add_co_u32 v8, vcc_lo, v8, v17
	s_wait_alu 0xfffd
	v_add_co_ci_u32_e64 v11, null, v11, v18, vcc_lo
	v_add_nc_u32_e32 v0, 0x180, v0
	global_inv scope:SCOPE_SE
.LBB76_152:                             ; =>This Inner Loop Header: Depth=1
	v_lshlrev_b32_e32 v12, 2, v6
	v_cmp_le_u64_e32 vcc_lo, v[2:3], v[0:1]
	ds_load_b32 v14, v12
	v_lshlrev_b64_e32 v[12:13], 2, v[6:7]
	v_dual_mov_b32 v7, v1 :: v_dual_mov_b32 v6, v0
	v_add_nc_u32_e32 v0, 0x180, v0
	s_wait_alu 0xfffe
	s_or_b32 s1, vcc_lo, s1
	s_delay_alu instid0(VALU_DEP_3)
	v_add_co_u32 v12, s0, v8, v12
	s_wait_alu 0xf1ff
	v_add_co_ci_u32_e64 v13, null, v11, v13, s0
	s_wait_dscnt 0x0
	global_store_b32 v[12:13], v14, off
	s_wait_alu 0xfffe
	s_and_not1_b32 exec_lo, exec_lo, s1
	s_cbranch_execnz .LBB76_152
; %bb.153:
	s_or_b32 exec_lo, exec_lo, s1
	s_and_b32 s0, s2, s7
	s_wait_alu 0xfffe
	s_and_saveexec_b32 s1, s0
	s_cbranch_execz .LBB76_121
.LBB76_154:
	v_add_co_u32 v0, vcc_lo, v4, v2
	s_wait_alu 0xfffd
	v_add_co_ci_u32_e64 v1, null, v5, v3, vcc_lo
	v_mov_b32_e32 v2, 0
	s_delay_alu instid0(VALU_DEP_3) | instskip(SKIP_1) | instid1(VALU_DEP_3)
	v_add_co_u32 v0, vcc_lo, v0, v9
	s_wait_alu 0xfffd
	v_add_co_ci_u32_e64 v1, null, v1, v10, vcc_lo
	global_store_b64 v2, v[0:1], s[8:9]
	s_endpgm
	.section	.rodata,"a",@progbits
	.p2align	6, 0x0
	.amdhsa_kernel _ZN7rocprim17ROCPRIM_400000_NS6detail17trampoline_kernelINS0_14default_configENS1_25partition_config_selectorILNS1_17partition_subalgoE6EfNS0_10empty_typeEbEEZZNS1_14partition_implILS5_6ELb0ES3_mN6thrust23THRUST_200600_302600_NS6detail15normal_iteratorINSA_10device_ptrIfEEEEPS6_SG_NS0_5tupleIJSF_S6_EEENSH_IJSG_SG_EEES6_PlJNSB_9not_fun_tINSB_10functional5actorINSM_9compositeIJNSM_27transparent_binary_operatorINSA_8equal_toIvEEEENSN_INSM_8argumentILj0EEEEENSM_5valueIfEEEEEEEEEEEE10hipError_tPvRmT3_T4_T5_T6_T7_T9_mT8_P12ihipStream_tbDpT10_ENKUlT_T0_E_clISt17integral_constantIbLb0EES1J_IbLb1EEEEDaS1F_S1G_EUlS1F_E_NS1_11comp_targetILNS1_3genE10ELNS1_11target_archE1200ELNS1_3gpuE4ELNS1_3repE0EEENS1_30default_config_static_selectorELNS0_4arch9wavefront6targetE0EEEvT1_
		.amdhsa_group_segment_fixed_size 10768
		.amdhsa_private_segment_fixed_size 0
		.amdhsa_kernarg_size 128
		.amdhsa_user_sgpr_count 2
		.amdhsa_user_sgpr_dispatch_ptr 0
		.amdhsa_user_sgpr_queue_ptr 0
		.amdhsa_user_sgpr_kernarg_segment_ptr 1
		.amdhsa_user_sgpr_dispatch_id 0
		.amdhsa_user_sgpr_private_segment_size 0
		.amdhsa_wavefront_size32 1
		.amdhsa_uses_dynamic_stack 0
		.amdhsa_enable_private_segment 0
		.amdhsa_system_sgpr_workgroup_id_x 1
		.amdhsa_system_sgpr_workgroup_id_y 0
		.amdhsa_system_sgpr_workgroup_id_z 0
		.amdhsa_system_sgpr_workgroup_info 0
		.amdhsa_system_vgpr_workitem_id 0
		.amdhsa_next_free_vgpr 51
		.amdhsa_next_free_sgpr 21
		.amdhsa_reserve_vcc 1
		.amdhsa_float_round_mode_32 0
		.amdhsa_float_round_mode_16_64 0
		.amdhsa_float_denorm_mode_32 3
		.amdhsa_float_denorm_mode_16_64 3
		.amdhsa_fp16_overflow 0
		.amdhsa_workgroup_processor_mode 1
		.amdhsa_memory_ordered 1
		.amdhsa_forward_progress 1
		.amdhsa_inst_pref_size 60
		.amdhsa_round_robin_scheduling 0
		.amdhsa_exception_fp_ieee_invalid_op 0
		.amdhsa_exception_fp_denorm_src 0
		.amdhsa_exception_fp_ieee_div_zero 0
		.amdhsa_exception_fp_ieee_overflow 0
		.amdhsa_exception_fp_ieee_underflow 0
		.amdhsa_exception_fp_ieee_inexact 0
		.amdhsa_exception_int_div_zero 0
	.end_amdhsa_kernel
	.section	.text._ZN7rocprim17ROCPRIM_400000_NS6detail17trampoline_kernelINS0_14default_configENS1_25partition_config_selectorILNS1_17partition_subalgoE6EfNS0_10empty_typeEbEEZZNS1_14partition_implILS5_6ELb0ES3_mN6thrust23THRUST_200600_302600_NS6detail15normal_iteratorINSA_10device_ptrIfEEEEPS6_SG_NS0_5tupleIJSF_S6_EEENSH_IJSG_SG_EEES6_PlJNSB_9not_fun_tINSB_10functional5actorINSM_9compositeIJNSM_27transparent_binary_operatorINSA_8equal_toIvEEEENSN_INSM_8argumentILj0EEEEENSM_5valueIfEEEEEEEEEEEE10hipError_tPvRmT3_T4_T5_T6_T7_T9_mT8_P12ihipStream_tbDpT10_ENKUlT_T0_E_clISt17integral_constantIbLb0EES1J_IbLb1EEEEDaS1F_S1G_EUlS1F_E_NS1_11comp_targetILNS1_3genE10ELNS1_11target_archE1200ELNS1_3gpuE4ELNS1_3repE0EEENS1_30default_config_static_selectorELNS0_4arch9wavefront6targetE0EEEvT1_,"axG",@progbits,_ZN7rocprim17ROCPRIM_400000_NS6detail17trampoline_kernelINS0_14default_configENS1_25partition_config_selectorILNS1_17partition_subalgoE6EfNS0_10empty_typeEbEEZZNS1_14partition_implILS5_6ELb0ES3_mN6thrust23THRUST_200600_302600_NS6detail15normal_iteratorINSA_10device_ptrIfEEEEPS6_SG_NS0_5tupleIJSF_S6_EEENSH_IJSG_SG_EEES6_PlJNSB_9not_fun_tINSB_10functional5actorINSM_9compositeIJNSM_27transparent_binary_operatorINSA_8equal_toIvEEEENSN_INSM_8argumentILj0EEEEENSM_5valueIfEEEEEEEEEEEE10hipError_tPvRmT3_T4_T5_T6_T7_T9_mT8_P12ihipStream_tbDpT10_ENKUlT_T0_E_clISt17integral_constantIbLb0EES1J_IbLb1EEEEDaS1F_S1G_EUlS1F_E_NS1_11comp_targetILNS1_3genE10ELNS1_11target_archE1200ELNS1_3gpuE4ELNS1_3repE0EEENS1_30default_config_static_selectorELNS0_4arch9wavefront6targetE0EEEvT1_,comdat
.Lfunc_end76:
	.size	_ZN7rocprim17ROCPRIM_400000_NS6detail17trampoline_kernelINS0_14default_configENS1_25partition_config_selectorILNS1_17partition_subalgoE6EfNS0_10empty_typeEbEEZZNS1_14partition_implILS5_6ELb0ES3_mN6thrust23THRUST_200600_302600_NS6detail15normal_iteratorINSA_10device_ptrIfEEEEPS6_SG_NS0_5tupleIJSF_S6_EEENSH_IJSG_SG_EEES6_PlJNSB_9not_fun_tINSB_10functional5actorINSM_9compositeIJNSM_27transparent_binary_operatorINSA_8equal_toIvEEEENSN_INSM_8argumentILj0EEEEENSM_5valueIfEEEEEEEEEEEE10hipError_tPvRmT3_T4_T5_T6_T7_T9_mT8_P12ihipStream_tbDpT10_ENKUlT_T0_E_clISt17integral_constantIbLb0EES1J_IbLb1EEEEDaS1F_S1G_EUlS1F_E_NS1_11comp_targetILNS1_3genE10ELNS1_11target_archE1200ELNS1_3gpuE4ELNS1_3repE0EEENS1_30default_config_static_selectorELNS0_4arch9wavefront6targetE0EEEvT1_, .Lfunc_end76-_ZN7rocprim17ROCPRIM_400000_NS6detail17trampoline_kernelINS0_14default_configENS1_25partition_config_selectorILNS1_17partition_subalgoE6EfNS0_10empty_typeEbEEZZNS1_14partition_implILS5_6ELb0ES3_mN6thrust23THRUST_200600_302600_NS6detail15normal_iteratorINSA_10device_ptrIfEEEEPS6_SG_NS0_5tupleIJSF_S6_EEENSH_IJSG_SG_EEES6_PlJNSB_9not_fun_tINSB_10functional5actorINSM_9compositeIJNSM_27transparent_binary_operatorINSA_8equal_toIvEEEENSN_INSM_8argumentILj0EEEEENSM_5valueIfEEEEEEEEEEEE10hipError_tPvRmT3_T4_T5_T6_T7_T9_mT8_P12ihipStream_tbDpT10_ENKUlT_T0_E_clISt17integral_constantIbLb0EES1J_IbLb1EEEEDaS1F_S1G_EUlS1F_E_NS1_11comp_targetILNS1_3genE10ELNS1_11target_archE1200ELNS1_3gpuE4ELNS1_3repE0EEENS1_30default_config_static_selectorELNS0_4arch9wavefront6targetE0EEEvT1_
                                        ; -- End function
	.set _ZN7rocprim17ROCPRIM_400000_NS6detail17trampoline_kernelINS0_14default_configENS1_25partition_config_selectorILNS1_17partition_subalgoE6EfNS0_10empty_typeEbEEZZNS1_14partition_implILS5_6ELb0ES3_mN6thrust23THRUST_200600_302600_NS6detail15normal_iteratorINSA_10device_ptrIfEEEEPS6_SG_NS0_5tupleIJSF_S6_EEENSH_IJSG_SG_EEES6_PlJNSB_9not_fun_tINSB_10functional5actorINSM_9compositeIJNSM_27transparent_binary_operatorINSA_8equal_toIvEEEENSN_INSM_8argumentILj0EEEEENSM_5valueIfEEEEEEEEEEEE10hipError_tPvRmT3_T4_T5_T6_T7_T9_mT8_P12ihipStream_tbDpT10_ENKUlT_T0_E_clISt17integral_constantIbLb0EES1J_IbLb1EEEEDaS1F_S1G_EUlS1F_E_NS1_11comp_targetILNS1_3genE10ELNS1_11target_archE1200ELNS1_3gpuE4ELNS1_3repE0EEENS1_30default_config_static_selectorELNS0_4arch9wavefront6targetE0EEEvT1_.num_vgpr, 51
	.set _ZN7rocprim17ROCPRIM_400000_NS6detail17trampoline_kernelINS0_14default_configENS1_25partition_config_selectorILNS1_17partition_subalgoE6EfNS0_10empty_typeEbEEZZNS1_14partition_implILS5_6ELb0ES3_mN6thrust23THRUST_200600_302600_NS6detail15normal_iteratorINSA_10device_ptrIfEEEEPS6_SG_NS0_5tupleIJSF_S6_EEENSH_IJSG_SG_EEES6_PlJNSB_9not_fun_tINSB_10functional5actorINSM_9compositeIJNSM_27transparent_binary_operatorINSA_8equal_toIvEEEENSN_INSM_8argumentILj0EEEEENSM_5valueIfEEEEEEEEEEEE10hipError_tPvRmT3_T4_T5_T6_T7_T9_mT8_P12ihipStream_tbDpT10_ENKUlT_T0_E_clISt17integral_constantIbLb0EES1J_IbLb1EEEEDaS1F_S1G_EUlS1F_E_NS1_11comp_targetILNS1_3genE10ELNS1_11target_archE1200ELNS1_3gpuE4ELNS1_3repE0EEENS1_30default_config_static_selectorELNS0_4arch9wavefront6targetE0EEEvT1_.num_agpr, 0
	.set _ZN7rocprim17ROCPRIM_400000_NS6detail17trampoline_kernelINS0_14default_configENS1_25partition_config_selectorILNS1_17partition_subalgoE6EfNS0_10empty_typeEbEEZZNS1_14partition_implILS5_6ELb0ES3_mN6thrust23THRUST_200600_302600_NS6detail15normal_iteratorINSA_10device_ptrIfEEEEPS6_SG_NS0_5tupleIJSF_S6_EEENSH_IJSG_SG_EEES6_PlJNSB_9not_fun_tINSB_10functional5actorINSM_9compositeIJNSM_27transparent_binary_operatorINSA_8equal_toIvEEEENSN_INSM_8argumentILj0EEEEENSM_5valueIfEEEEEEEEEEEE10hipError_tPvRmT3_T4_T5_T6_T7_T9_mT8_P12ihipStream_tbDpT10_ENKUlT_T0_E_clISt17integral_constantIbLb0EES1J_IbLb1EEEEDaS1F_S1G_EUlS1F_E_NS1_11comp_targetILNS1_3genE10ELNS1_11target_archE1200ELNS1_3gpuE4ELNS1_3repE0EEENS1_30default_config_static_selectorELNS0_4arch9wavefront6targetE0EEEvT1_.numbered_sgpr, 21
	.set _ZN7rocprim17ROCPRIM_400000_NS6detail17trampoline_kernelINS0_14default_configENS1_25partition_config_selectorILNS1_17partition_subalgoE6EfNS0_10empty_typeEbEEZZNS1_14partition_implILS5_6ELb0ES3_mN6thrust23THRUST_200600_302600_NS6detail15normal_iteratorINSA_10device_ptrIfEEEEPS6_SG_NS0_5tupleIJSF_S6_EEENSH_IJSG_SG_EEES6_PlJNSB_9not_fun_tINSB_10functional5actorINSM_9compositeIJNSM_27transparent_binary_operatorINSA_8equal_toIvEEEENSN_INSM_8argumentILj0EEEEENSM_5valueIfEEEEEEEEEEEE10hipError_tPvRmT3_T4_T5_T6_T7_T9_mT8_P12ihipStream_tbDpT10_ENKUlT_T0_E_clISt17integral_constantIbLb0EES1J_IbLb1EEEEDaS1F_S1G_EUlS1F_E_NS1_11comp_targetILNS1_3genE10ELNS1_11target_archE1200ELNS1_3gpuE4ELNS1_3repE0EEENS1_30default_config_static_selectorELNS0_4arch9wavefront6targetE0EEEvT1_.num_named_barrier, 0
	.set _ZN7rocprim17ROCPRIM_400000_NS6detail17trampoline_kernelINS0_14default_configENS1_25partition_config_selectorILNS1_17partition_subalgoE6EfNS0_10empty_typeEbEEZZNS1_14partition_implILS5_6ELb0ES3_mN6thrust23THRUST_200600_302600_NS6detail15normal_iteratorINSA_10device_ptrIfEEEEPS6_SG_NS0_5tupleIJSF_S6_EEENSH_IJSG_SG_EEES6_PlJNSB_9not_fun_tINSB_10functional5actorINSM_9compositeIJNSM_27transparent_binary_operatorINSA_8equal_toIvEEEENSN_INSM_8argumentILj0EEEEENSM_5valueIfEEEEEEEEEEEE10hipError_tPvRmT3_T4_T5_T6_T7_T9_mT8_P12ihipStream_tbDpT10_ENKUlT_T0_E_clISt17integral_constantIbLb0EES1J_IbLb1EEEEDaS1F_S1G_EUlS1F_E_NS1_11comp_targetILNS1_3genE10ELNS1_11target_archE1200ELNS1_3gpuE4ELNS1_3repE0EEENS1_30default_config_static_selectorELNS0_4arch9wavefront6targetE0EEEvT1_.private_seg_size, 0
	.set _ZN7rocprim17ROCPRIM_400000_NS6detail17trampoline_kernelINS0_14default_configENS1_25partition_config_selectorILNS1_17partition_subalgoE6EfNS0_10empty_typeEbEEZZNS1_14partition_implILS5_6ELb0ES3_mN6thrust23THRUST_200600_302600_NS6detail15normal_iteratorINSA_10device_ptrIfEEEEPS6_SG_NS0_5tupleIJSF_S6_EEENSH_IJSG_SG_EEES6_PlJNSB_9not_fun_tINSB_10functional5actorINSM_9compositeIJNSM_27transparent_binary_operatorINSA_8equal_toIvEEEENSN_INSM_8argumentILj0EEEEENSM_5valueIfEEEEEEEEEEEE10hipError_tPvRmT3_T4_T5_T6_T7_T9_mT8_P12ihipStream_tbDpT10_ENKUlT_T0_E_clISt17integral_constantIbLb0EES1J_IbLb1EEEEDaS1F_S1G_EUlS1F_E_NS1_11comp_targetILNS1_3genE10ELNS1_11target_archE1200ELNS1_3gpuE4ELNS1_3repE0EEENS1_30default_config_static_selectorELNS0_4arch9wavefront6targetE0EEEvT1_.uses_vcc, 1
	.set _ZN7rocprim17ROCPRIM_400000_NS6detail17trampoline_kernelINS0_14default_configENS1_25partition_config_selectorILNS1_17partition_subalgoE6EfNS0_10empty_typeEbEEZZNS1_14partition_implILS5_6ELb0ES3_mN6thrust23THRUST_200600_302600_NS6detail15normal_iteratorINSA_10device_ptrIfEEEEPS6_SG_NS0_5tupleIJSF_S6_EEENSH_IJSG_SG_EEES6_PlJNSB_9not_fun_tINSB_10functional5actorINSM_9compositeIJNSM_27transparent_binary_operatorINSA_8equal_toIvEEEENSN_INSM_8argumentILj0EEEEENSM_5valueIfEEEEEEEEEEEE10hipError_tPvRmT3_T4_T5_T6_T7_T9_mT8_P12ihipStream_tbDpT10_ENKUlT_T0_E_clISt17integral_constantIbLb0EES1J_IbLb1EEEEDaS1F_S1G_EUlS1F_E_NS1_11comp_targetILNS1_3genE10ELNS1_11target_archE1200ELNS1_3gpuE4ELNS1_3repE0EEENS1_30default_config_static_selectorELNS0_4arch9wavefront6targetE0EEEvT1_.uses_flat_scratch, 1
	.set _ZN7rocprim17ROCPRIM_400000_NS6detail17trampoline_kernelINS0_14default_configENS1_25partition_config_selectorILNS1_17partition_subalgoE6EfNS0_10empty_typeEbEEZZNS1_14partition_implILS5_6ELb0ES3_mN6thrust23THRUST_200600_302600_NS6detail15normal_iteratorINSA_10device_ptrIfEEEEPS6_SG_NS0_5tupleIJSF_S6_EEENSH_IJSG_SG_EEES6_PlJNSB_9not_fun_tINSB_10functional5actorINSM_9compositeIJNSM_27transparent_binary_operatorINSA_8equal_toIvEEEENSN_INSM_8argumentILj0EEEEENSM_5valueIfEEEEEEEEEEEE10hipError_tPvRmT3_T4_T5_T6_T7_T9_mT8_P12ihipStream_tbDpT10_ENKUlT_T0_E_clISt17integral_constantIbLb0EES1J_IbLb1EEEEDaS1F_S1G_EUlS1F_E_NS1_11comp_targetILNS1_3genE10ELNS1_11target_archE1200ELNS1_3gpuE4ELNS1_3repE0EEENS1_30default_config_static_selectorELNS0_4arch9wavefront6targetE0EEEvT1_.has_dyn_sized_stack, 0
	.set _ZN7rocprim17ROCPRIM_400000_NS6detail17trampoline_kernelINS0_14default_configENS1_25partition_config_selectorILNS1_17partition_subalgoE6EfNS0_10empty_typeEbEEZZNS1_14partition_implILS5_6ELb0ES3_mN6thrust23THRUST_200600_302600_NS6detail15normal_iteratorINSA_10device_ptrIfEEEEPS6_SG_NS0_5tupleIJSF_S6_EEENSH_IJSG_SG_EEES6_PlJNSB_9not_fun_tINSB_10functional5actorINSM_9compositeIJNSM_27transparent_binary_operatorINSA_8equal_toIvEEEENSN_INSM_8argumentILj0EEEEENSM_5valueIfEEEEEEEEEEEE10hipError_tPvRmT3_T4_T5_T6_T7_T9_mT8_P12ihipStream_tbDpT10_ENKUlT_T0_E_clISt17integral_constantIbLb0EES1J_IbLb1EEEEDaS1F_S1G_EUlS1F_E_NS1_11comp_targetILNS1_3genE10ELNS1_11target_archE1200ELNS1_3gpuE4ELNS1_3repE0EEENS1_30default_config_static_selectorELNS0_4arch9wavefront6targetE0EEEvT1_.has_recursion, 0
	.set _ZN7rocprim17ROCPRIM_400000_NS6detail17trampoline_kernelINS0_14default_configENS1_25partition_config_selectorILNS1_17partition_subalgoE6EfNS0_10empty_typeEbEEZZNS1_14partition_implILS5_6ELb0ES3_mN6thrust23THRUST_200600_302600_NS6detail15normal_iteratorINSA_10device_ptrIfEEEEPS6_SG_NS0_5tupleIJSF_S6_EEENSH_IJSG_SG_EEES6_PlJNSB_9not_fun_tINSB_10functional5actorINSM_9compositeIJNSM_27transparent_binary_operatorINSA_8equal_toIvEEEENSN_INSM_8argumentILj0EEEEENSM_5valueIfEEEEEEEEEEEE10hipError_tPvRmT3_T4_T5_T6_T7_T9_mT8_P12ihipStream_tbDpT10_ENKUlT_T0_E_clISt17integral_constantIbLb0EES1J_IbLb1EEEEDaS1F_S1G_EUlS1F_E_NS1_11comp_targetILNS1_3genE10ELNS1_11target_archE1200ELNS1_3gpuE4ELNS1_3repE0EEENS1_30default_config_static_selectorELNS0_4arch9wavefront6targetE0EEEvT1_.has_indirect_call, 0
	.section	.AMDGPU.csdata,"",@progbits
; Kernel info:
; codeLenInByte = 7632
; TotalNumSgprs: 23
; NumVgprs: 51
; ScratchSize: 0
; MemoryBound: 0
; FloatMode: 240
; IeeeMode: 1
; LDSByteSize: 10768 bytes/workgroup (compile time only)
; SGPRBlocks: 0
; VGPRBlocks: 6
; NumSGPRsForWavesPerEU: 23
; NumVGPRsForWavesPerEU: 51
; Occupancy: 15
; WaveLimiterHint : 1
; COMPUTE_PGM_RSRC2:SCRATCH_EN: 0
; COMPUTE_PGM_RSRC2:USER_SGPR: 2
; COMPUTE_PGM_RSRC2:TRAP_HANDLER: 0
; COMPUTE_PGM_RSRC2:TGID_X_EN: 1
; COMPUTE_PGM_RSRC2:TGID_Y_EN: 0
; COMPUTE_PGM_RSRC2:TGID_Z_EN: 0
; COMPUTE_PGM_RSRC2:TIDIG_COMP_CNT: 0
	.section	.text._ZN7rocprim17ROCPRIM_400000_NS6detail17trampoline_kernelINS0_14default_configENS1_25partition_config_selectorILNS1_17partition_subalgoE6EfNS0_10empty_typeEbEEZZNS1_14partition_implILS5_6ELb0ES3_mN6thrust23THRUST_200600_302600_NS6detail15normal_iteratorINSA_10device_ptrIfEEEEPS6_SG_NS0_5tupleIJSF_S6_EEENSH_IJSG_SG_EEES6_PlJNSB_9not_fun_tINSB_10functional5actorINSM_9compositeIJNSM_27transparent_binary_operatorINSA_8equal_toIvEEEENSN_INSM_8argumentILj0EEEEENSM_5valueIfEEEEEEEEEEEE10hipError_tPvRmT3_T4_T5_T6_T7_T9_mT8_P12ihipStream_tbDpT10_ENKUlT_T0_E_clISt17integral_constantIbLb0EES1J_IbLb1EEEEDaS1F_S1G_EUlS1F_E_NS1_11comp_targetILNS1_3genE9ELNS1_11target_archE1100ELNS1_3gpuE3ELNS1_3repE0EEENS1_30default_config_static_selectorELNS0_4arch9wavefront6targetE0EEEvT1_,"axG",@progbits,_ZN7rocprim17ROCPRIM_400000_NS6detail17trampoline_kernelINS0_14default_configENS1_25partition_config_selectorILNS1_17partition_subalgoE6EfNS0_10empty_typeEbEEZZNS1_14partition_implILS5_6ELb0ES3_mN6thrust23THRUST_200600_302600_NS6detail15normal_iteratorINSA_10device_ptrIfEEEEPS6_SG_NS0_5tupleIJSF_S6_EEENSH_IJSG_SG_EEES6_PlJNSB_9not_fun_tINSB_10functional5actorINSM_9compositeIJNSM_27transparent_binary_operatorINSA_8equal_toIvEEEENSN_INSM_8argumentILj0EEEEENSM_5valueIfEEEEEEEEEEEE10hipError_tPvRmT3_T4_T5_T6_T7_T9_mT8_P12ihipStream_tbDpT10_ENKUlT_T0_E_clISt17integral_constantIbLb0EES1J_IbLb1EEEEDaS1F_S1G_EUlS1F_E_NS1_11comp_targetILNS1_3genE9ELNS1_11target_archE1100ELNS1_3gpuE3ELNS1_3repE0EEENS1_30default_config_static_selectorELNS0_4arch9wavefront6targetE0EEEvT1_,comdat
	.protected	_ZN7rocprim17ROCPRIM_400000_NS6detail17trampoline_kernelINS0_14default_configENS1_25partition_config_selectorILNS1_17partition_subalgoE6EfNS0_10empty_typeEbEEZZNS1_14partition_implILS5_6ELb0ES3_mN6thrust23THRUST_200600_302600_NS6detail15normal_iteratorINSA_10device_ptrIfEEEEPS6_SG_NS0_5tupleIJSF_S6_EEENSH_IJSG_SG_EEES6_PlJNSB_9not_fun_tINSB_10functional5actorINSM_9compositeIJNSM_27transparent_binary_operatorINSA_8equal_toIvEEEENSN_INSM_8argumentILj0EEEEENSM_5valueIfEEEEEEEEEEEE10hipError_tPvRmT3_T4_T5_T6_T7_T9_mT8_P12ihipStream_tbDpT10_ENKUlT_T0_E_clISt17integral_constantIbLb0EES1J_IbLb1EEEEDaS1F_S1G_EUlS1F_E_NS1_11comp_targetILNS1_3genE9ELNS1_11target_archE1100ELNS1_3gpuE3ELNS1_3repE0EEENS1_30default_config_static_selectorELNS0_4arch9wavefront6targetE0EEEvT1_ ; -- Begin function _ZN7rocprim17ROCPRIM_400000_NS6detail17trampoline_kernelINS0_14default_configENS1_25partition_config_selectorILNS1_17partition_subalgoE6EfNS0_10empty_typeEbEEZZNS1_14partition_implILS5_6ELb0ES3_mN6thrust23THRUST_200600_302600_NS6detail15normal_iteratorINSA_10device_ptrIfEEEEPS6_SG_NS0_5tupleIJSF_S6_EEENSH_IJSG_SG_EEES6_PlJNSB_9not_fun_tINSB_10functional5actorINSM_9compositeIJNSM_27transparent_binary_operatorINSA_8equal_toIvEEEENSN_INSM_8argumentILj0EEEEENSM_5valueIfEEEEEEEEEEEE10hipError_tPvRmT3_T4_T5_T6_T7_T9_mT8_P12ihipStream_tbDpT10_ENKUlT_T0_E_clISt17integral_constantIbLb0EES1J_IbLb1EEEEDaS1F_S1G_EUlS1F_E_NS1_11comp_targetILNS1_3genE9ELNS1_11target_archE1100ELNS1_3gpuE3ELNS1_3repE0EEENS1_30default_config_static_selectorELNS0_4arch9wavefront6targetE0EEEvT1_
	.globl	_ZN7rocprim17ROCPRIM_400000_NS6detail17trampoline_kernelINS0_14default_configENS1_25partition_config_selectorILNS1_17partition_subalgoE6EfNS0_10empty_typeEbEEZZNS1_14partition_implILS5_6ELb0ES3_mN6thrust23THRUST_200600_302600_NS6detail15normal_iteratorINSA_10device_ptrIfEEEEPS6_SG_NS0_5tupleIJSF_S6_EEENSH_IJSG_SG_EEES6_PlJNSB_9not_fun_tINSB_10functional5actorINSM_9compositeIJNSM_27transparent_binary_operatorINSA_8equal_toIvEEEENSN_INSM_8argumentILj0EEEEENSM_5valueIfEEEEEEEEEEEE10hipError_tPvRmT3_T4_T5_T6_T7_T9_mT8_P12ihipStream_tbDpT10_ENKUlT_T0_E_clISt17integral_constantIbLb0EES1J_IbLb1EEEEDaS1F_S1G_EUlS1F_E_NS1_11comp_targetILNS1_3genE9ELNS1_11target_archE1100ELNS1_3gpuE3ELNS1_3repE0EEENS1_30default_config_static_selectorELNS0_4arch9wavefront6targetE0EEEvT1_
	.p2align	8
	.type	_ZN7rocprim17ROCPRIM_400000_NS6detail17trampoline_kernelINS0_14default_configENS1_25partition_config_selectorILNS1_17partition_subalgoE6EfNS0_10empty_typeEbEEZZNS1_14partition_implILS5_6ELb0ES3_mN6thrust23THRUST_200600_302600_NS6detail15normal_iteratorINSA_10device_ptrIfEEEEPS6_SG_NS0_5tupleIJSF_S6_EEENSH_IJSG_SG_EEES6_PlJNSB_9not_fun_tINSB_10functional5actorINSM_9compositeIJNSM_27transparent_binary_operatorINSA_8equal_toIvEEEENSN_INSM_8argumentILj0EEEEENSM_5valueIfEEEEEEEEEEEE10hipError_tPvRmT3_T4_T5_T6_T7_T9_mT8_P12ihipStream_tbDpT10_ENKUlT_T0_E_clISt17integral_constantIbLb0EES1J_IbLb1EEEEDaS1F_S1G_EUlS1F_E_NS1_11comp_targetILNS1_3genE9ELNS1_11target_archE1100ELNS1_3gpuE3ELNS1_3repE0EEENS1_30default_config_static_selectorELNS0_4arch9wavefront6targetE0EEEvT1_,@function
_ZN7rocprim17ROCPRIM_400000_NS6detail17trampoline_kernelINS0_14default_configENS1_25partition_config_selectorILNS1_17partition_subalgoE6EfNS0_10empty_typeEbEEZZNS1_14partition_implILS5_6ELb0ES3_mN6thrust23THRUST_200600_302600_NS6detail15normal_iteratorINSA_10device_ptrIfEEEEPS6_SG_NS0_5tupleIJSF_S6_EEENSH_IJSG_SG_EEES6_PlJNSB_9not_fun_tINSB_10functional5actorINSM_9compositeIJNSM_27transparent_binary_operatorINSA_8equal_toIvEEEENSN_INSM_8argumentILj0EEEEENSM_5valueIfEEEEEEEEEEEE10hipError_tPvRmT3_T4_T5_T6_T7_T9_mT8_P12ihipStream_tbDpT10_ENKUlT_T0_E_clISt17integral_constantIbLb0EES1J_IbLb1EEEEDaS1F_S1G_EUlS1F_E_NS1_11comp_targetILNS1_3genE9ELNS1_11target_archE1100ELNS1_3gpuE3ELNS1_3repE0EEENS1_30default_config_static_selectorELNS0_4arch9wavefront6targetE0EEEvT1_: ; @_ZN7rocprim17ROCPRIM_400000_NS6detail17trampoline_kernelINS0_14default_configENS1_25partition_config_selectorILNS1_17partition_subalgoE6EfNS0_10empty_typeEbEEZZNS1_14partition_implILS5_6ELb0ES3_mN6thrust23THRUST_200600_302600_NS6detail15normal_iteratorINSA_10device_ptrIfEEEEPS6_SG_NS0_5tupleIJSF_S6_EEENSH_IJSG_SG_EEES6_PlJNSB_9not_fun_tINSB_10functional5actorINSM_9compositeIJNSM_27transparent_binary_operatorINSA_8equal_toIvEEEENSN_INSM_8argumentILj0EEEEENSM_5valueIfEEEEEEEEEEEE10hipError_tPvRmT3_T4_T5_T6_T7_T9_mT8_P12ihipStream_tbDpT10_ENKUlT_T0_E_clISt17integral_constantIbLb0EES1J_IbLb1EEEEDaS1F_S1G_EUlS1F_E_NS1_11comp_targetILNS1_3genE9ELNS1_11target_archE1100ELNS1_3gpuE3ELNS1_3repE0EEENS1_30default_config_static_selectorELNS0_4arch9wavefront6targetE0EEEvT1_
; %bb.0:
	.section	.rodata,"a",@progbits
	.p2align	6, 0x0
	.amdhsa_kernel _ZN7rocprim17ROCPRIM_400000_NS6detail17trampoline_kernelINS0_14default_configENS1_25partition_config_selectorILNS1_17partition_subalgoE6EfNS0_10empty_typeEbEEZZNS1_14partition_implILS5_6ELb0ES3_mN6thrust23THRUST_200600_302600_NS6detail15normal_iteratorINSA_10device_ptrIfEEEEPS6_SG_NS0_5tupleIJSF_S6_EEENSH_IJSG_SG_EEES6_PlJNSB_9not_fun_tINSB_10functional5actorINSM_9compositeIJNSM_27transparent_binary_operatorINSA_8equal_toIvEEEENSN_INSM_8argumentILj0EEEEENSM_5valueIfEEEEEEEEEEEE10hipError_tPvRmT3_T4_T5_T6_T7_T9_mT8_P12ihipStream_tbDpT10_ENKUlT_T0_E_clISt17integral_constantIbLb0EES1J_IbLb1EEEEDaS1F_S1G_EUlS1F_E_NS1_11comp_targetILNS1_3genE9ELNS1_11target_archE1100ELNS1_3gpuE3ELNS1_3repE0EEENS1_30default_config_static_selectorELNS0_4arch9wavefront6targetE0EEEvT1_
		.amdhsa_group_segment_fixed_size 0
		.amdhsa_private_segment_fixed_size 0
		.amdhsa_kernarg_size 128
		.amdhsa_user_sgpr_count 2
		.amdhsa_user_sgpr_dispatch_ptr 0
		.amdhsa_user_sgpr_queue_ptr 0
		.amdhsa_user_sgpr_kernarg_segment_ptr 1
		.amdhsa_user_sgpr_dispatch_id 0
		.amdhsa_user_sgpr_private_segment_size 0
		.amdhsa_wavefront_size32 1
		.amdhsa_uses_dynamic_stack 0
		.amdhsa_enable_private_segment 0
		.amdhsa_system_sgpr_workgroup_id_x 1
		.amdhsa_system_sgpr_workgroup_id_y 0
		.amdhsa_system_sgpr_workgroup_id_z 0
		.amdhsa_system_sgpr_workgroup_info 0
		.amdhsa_system_vgpr_workitem_id 0
		.amdhsa_next_free_vgpr 1
		.amdhsa_next_free_sgpr 1
		.amdhsa_reserve_vcc 0
		.amdhsa_float_round_mode_32 0
		.amdhsa_float_round_mode_16_64 0
		.amdhsa_float_denorm_mode_32 3
		.amdhsa_float_denorm_mode_16_64 3
		.amdhsa_fp16_overflow 0
		.amdhsa_workgroup_processor_mode 1
		.amdhsa_memory_ordered 1
		.amdhsa_forward_progress 1
		.amdhsa_inst_pref_size 0
		.amdhsa_round_robin_scheduling 0
		.amdhsa_exception_fp_ieee_invalid_op 0
		.amdhsa_exception_fp_denorm_src 0
		.amdhsa_exception_fp_ieee_div_zero 0
		.amdhsa_exception_fp_ieee_overflow 0
		.amdhsa_exception_fp_ieee_underflow 0
		.amdhsa_exception_fp_ieee_inexact 0
		.amdhsa_exception_int_div_zero 0
	.end_amdhsa_kernel
	.section	.text._ZN7rocprim17ROCPRIM_400000_NS6detail17trampoline_kernelINS0_14default_configENS1_25partition_config_selectorILNS1_17partition_subalgoE6EfNS0_10empty_typeEbEEZZNS1_14partition_implILS5_6ELb0ES3_mN6thrust23THRUST_200600_302600_NS6detail15normal_iteratorINSA_10device_ptrIfEEEEPS6_SG_NS0_5tupleIJSF_S6_EEENSH_IJSG_SG_EEES6_PlJNSB_9not_fun_tINSB_10functional5actorINSM_9compositeIJNSM_27transparent_binary_operatorINSA_8equal_toIvEEEENSN_INSM_8argumentILj0EEEEENSM_5valueIfEEEEEEEEEEEE10hipError_tPvRmT3_T4_T5_T6_T7_T9_mT8_P12ihipStream_tbDpT10_ENKUlT_T0_E_clISt17integral_constantIbLb0EES1J_IbLb1EEEEDaS1F_S1G_EUlS1F_E_NS1_11comp_targetILNS1_3genE9ELNS1_11target_archE1100ELNS1_3gpuE3ELNS1_3repE0EEENS1_30default_config_static_selectorELNS0_4arch9wavefront6targetE0EEEvT1_,"axG",@progbits,_ZN7rocprim17ROCPRIM_400000_NS6detail17trampoline_kernelINS0_14default_configENS1_25partition_config_selectorILNS1_17partition_subalgoE6EfNS0_10empty_typeEbEEZZNS1_14partition_implILS5_6ELb0ES3_mN6thrust23THRUST_200600_302600_NS6detail15normal_iteratorINSA_10device_ptrIfEEEEPS6_SG_NS0_5tupleIJSF_S6_EEENSH_IJSG_SG_EEES6_PlJNSB_9not_fun_tINSB_10functional5actorINSM_9compositeIJNSM_27transparent_binary_operatorINSA_8equal_toIvEEEENSN_INSM_8argumentILj0EEEEENSM_5valueIfEEEEEEEEEEEE10hipError_tPvRmT3_T4_T5_T6_T7_T9_mT8_P12ihipStream_tbDpT10_ENKUlT_T0_E_clISt17integral_constantIbLb0EES1J_IbLb1EEEEDaS1F_S1G_EUlS1F_E_NS1_11comp_targetILNS1_3genE9ELNS1_11target_archE1100ELNS1_3gpuE3ELNS1_3repE0EEENS1_30default_config_static_selectorELNS0_4arch9wavefront6targetE0EEEvT1_,comdat
.Lfunc_end77:
	.size	_ZN7rocprim17ROCPRIM_400000_NS6detail17trampoline_kernelINS0_14default_configENS1_25partition_config_selectorILNS1_17partition_subalgoE6EfNS0_10empty_typeEbEEZZNS1_14partition_implILS5_6ELb0ES3_mN6thrust23THRUST_200600_302600_NS6detail15normal_iteratorINSA_10device_ptrIfEEEEPS6_SG_NS0_5tupleIJSF_S6_EEENSH_IJSG_SG_EEES6_PlJNSB_9not_fun_tINSB_10functional5actorINSM_9compositeIJNSM_27transparent_binary_operatorINSA_8equal_toIvEEEENSN_INSM_8argumentILj0EEEEENSM_5valueIfEEEEEEEEEEEE10hipError_tPvRmT3_T4_T5_T6_T7_T9_mT8_P12ihipStream_tbDpT10_ENKUlT_T0_E_clISt17integral_constantIbLb0EES1J_IbLb1EEEEDaS1F_S1G_EUlS1F_E_NS1_11comp_targetILNS1_3genE9ELNS1_11target_archE1100ELNS1_3gpuE3ELNS1_3repE0EEENS1_30default_config_static_selectorELNS0_4arch9wavefront6targetE0EEEvT1_, .Lfunc_end77-_ZN7rocprim17ROCPRIM_400000_NS6detail17trampoline_kernelINS0_14default_configENS1_25partition_config_selectorILNS1_17partition_subalgoE6EfNS0_10empty_typeEbEEZZNS1_14partition_implILS5_6ELb0ES3_mN6thrust23THRUST_200600_302600_NS6detail15normal_iteratorINSA_10device_ptrIfEEEEPS6_SG_NS0_5tupleIJSF_S6_EEENSH_IJSG_SG_EEES6_PlJNSB_9not_fun_tINSB_10functional5actorINSM_9compositeIJNSM_27transparent_binary_operatorINSA_8equal_toIvEEEENSN_INSM_8argumentILj0EEEEENSM_5valueIfEEEEEEEEEEEE10hipError_tPvRmT3_T4_T5_T6_T7_T9_mT8_P12ihipStream_tbDpT10_ENKUlT_T0_E_clISt17integral_constantIbLb0EES1J_IbLb1EEEEDaS1F_S1G_EUlS1F_E_NS1_11comp_targetILNS1_3genE9ELNS1_11target_archE1100ELNS1_3gpuE3ELNS1_3repE0EEENS1_30default_config_static_selectorELNS0_4arch9wavefront6targetE0EEEvT1_
                                        ; -- End function
	.set _ZN7rocprim17ROCPRIM_400000_NS6detail17trampoline_kernelINS0_14default_configENS1_25partition_config_selectorILNS1_17partition_subalgoE6EfNS0_10empty_typeEbEEZZNS1_14partition_implILS5_6ELb0ES3_mN6thrust23THRUST_200600_302600_NS6detail15normal_iteratorINSA_10device_ptrIfEEEEPS6_SG_NS0_5tupleIJSF_S6_EEENSH_IJSG_SG_EEES6_PlJNSB_9not_fun_tINSB_10functional5actorINSM_9compositeIJNSM_27transparent_binary_operatorINSA_8equal_toIvEEEENSN_INSM_8argumentILj0EEEEENSM_5valueIfEEEEEEEEEEEE10hipError_tPvRmT3_T4_T5_T6_T7_T9_mT8_P12ihipStream_tbDpT10_ENKUlT_T0_E_clISt17integral_constantIbLb0EES1J_IbLb1EEEEDaS1F_S1G_EUlS1F_E_NS1_11comp_targetILNS1_3genE9ELNS1_11target_archE1100ELNS1_3gpuE3ELNS1_3repE0EEENS1_30default_config_static_selectorELNS0_4arch9wavefront6targetE0EEEvT1_.num_vgpr, 0
	.set _ZN7rocprim17ROCPRIM_400000_NS6detail17trampoline_kernelINS0_14default_configENS1_25partition_config_selectorILNS1_17partition_subalgoE6EfNS0_10empty_typeEbEEZZNS1_14partition_implILS5_6ELb0ES3_mN6thrust23THRUST_200600_302600_NS6detail15normal_iteratorINSA_10device_ptrIfEEEEPS6_SG_NS0_5tupleIJSF_S6_EEENSH_IJSG_SG_EEES6_PlJNSB_9not_fun_tINSB_10functional5actorINSM_9compositeIJNSM_27transparent_binary_operatorINSA_8equal_toIvEEEENSN_INSM_8argumentILj0EEEEENSM_5valueIfEEEEEEEEEEEE10hipError_tPvRmT3_T4_T5_T6_T7_T9_mT8_P12ihipStream_tbDpT10_ENKUlT_T0_E_clISt17integral_constantIbLb0EES1J_IbLb1EEEEDaS1F_S1G_EUlS1F_E_NS1_11comp_targetILNS1_3genE9ELNS1_11target_archE1100ELNS1_3gpuE3ELNS1_3repE0EEENS1_30default_config_static_selectorELNS0_4arch9wavefront6targetE0EEEvT1_.num_agpr, 0
	.set _ZN7rocprim17ROCPRIM_400000_NS6detail17trampoline_kernelINS0_14default_configENS1_25partition_config_selectorILNS1_17partition_subalgoE6EfNS0_10empty_typeEbEEZZNS1_14partition_implILS5_6ELb0ES3_mN6thrust23THRUST_200600_302600_NS6detail15normal_iteratorINSA_10device_ptrIfEEEEPS6_SG_NS0_5tupleIJSF_S6_EEENSH_IJSG_SG_EEES6_PlJNSB_9not_fun_tINSB_10functional5actorINSM_9compositeIJNSM_27transparent_binary_operatorINSA_8equal_toIvEEEENSN_INSM_8argumentILj0EEEEENSM_5valueIfEEEEEEEEEEEE10hipError_tPvRmT3_T4_T5_T6_T7_T9_mT8_P12ihipStream_tbDpT10_ENKUlT_T0_E_clISt17integral_constantIbLb0EES1J_IbLb1EEEEDaS1F_S1G_EUlS1F_E_NS1_11comp_targetILNS1_3genE9ELNS1_11target_archE1100ELNS1_3gpuE3ELNS1_3repE0EEENS1_30default_config_static_selectorELNS0_4arch9wavefront6targetE0EEEvT1_.numbered_sgpr, 0
	.set _ZN7rocprim17ROCPRIM_400000_NS6detail17trampoline_kernelINS0_14default_configENS1_25partition_config_selectorILNS1_17partition_subalgoE6EfNS0_10empty_typeEbEEZZNS1_14partition_implILS5_6ELb0ES3_mN6thrust23THRUST_200600_302600_NS6detail15normal_iteratorINSA_10device_ptrIfEEEEPS6_SG_NS0_5tupleIJSF_S6_EEENSH_IJSG_SG_EEES6_PlJNSB_9not_fun_tINSB_10functional5actorINSM_9compositeIJNSM_27transparent_binary_operatorINSA_8equal_toIvEEEENSN_INSM_8argumentILj0EEEEENSM_5valueIfEEEEEEEEEEEE10hipError_tPvRmT3_T4_T5_T6_T7_T9_mT8_P12ihipStream_tbDpT10_ENKUlT_T0_E_clISt17integral_constantIbLb0EES1J_IbLb1EEEEDaS1F_S1G_EUlS1F_E_NS1_11comp_targetILNS1_3genE9ELNS1_11target_archE1100ELNS1_3gpuE3ELNS1_3repE0EEENS1_30default_config_static_selectorELNS0_4arch9wavefront6targetE0EEEvT1_.num_named_barrier, 0
	.set _ZN7rocprim17ROCPRIM_400000_NS6detail17trampoline_kernelINS0_14default_configENS1_25partition_config_selectorILNS1_17partition_subalgoE6EfNS0_10empty_typeEbEEZZNS1_14partition_implILS5_6ELb0ES3_mN6thrust23THRUST_200600_302600_NS6detail15normal_iteratorINSA_10device_ptrIfEEEEPS6_SG_NS0_5tupleIJSF_S6_EEENSH_IJSG_SG_EEES6_PlJNSB_9not_fun_tINSB_10functional5actorINSM_9compositeIJNSM_27transparent_binary_operatorINSA_8equal_toIvEEEENSN_INSM_8argumentILj0EEEEENSM_5valueIfEEEEEEEEEEEE10hipError_tPvRmT3_T4_T5_T6_T7_T9_mT8_P12ihipStream_tbDpT10_ENKUlT_T0_E_clISt17integral_constantIbLb0EES1J_IbLb1EEEEDaS1F_S1G_EUlS1F_E_NS1_11comp_targetILNS1_3genE9ELNS1_11target_archE1100ELNS1_3gpuE3ELNS1_3repE0EEENS1_30default_config_static_selectorELNS0_4arch9wavefront6targetE0EEEvT1_.private_seg_size, 0
	.set _ZN7rocprim17ROCPRIM_400000_NS6detail17trampoline_kernelINS0_14default_configENS1_25partition_config_selectorILNS1_17partition_subalgoE6EfNS0_10empty_typeEbEEZZNS1_14partition_implILS5_6ELb0ES3_mN6thrust23THRUST_200600_302600_NS6detail15normal_iteratorINSA_10device_ptrIfEEEEPS6_SG_NS0_5tupleIJSF_S6_EEENSH_IJSG_SG_EEES6_PlJNSB_9not_fun_tINSB_10functional5actorINSM_9compositeIJNSM_27transparent_binary_operatorINSA_8equal_toIvEEEENSN_INSM_8argumentILj0EEEEENSM_5valueIfEEEEEEEEEEEE10hipError_tPvRmT3_T4_T5_T6_T7_T9_mT8_P12ihipStream_tbDpT10_ENKUlT_T0_E_clISt17integral_constantIbLb0EES1J_IbLb1EEEEDaS1F_S1G_EUlS1F_E_NS1_11comp_targetILNS1_3genE9ELNS1_11target_archE1100ELNS1_3gpuE3ELNS1_3repE0EEENS1_30default_config_static_selectorELNS0_4arch9wavefront6targetE0EEEvT1_.uses_vcc, 0
	.set _ZN7rocprim17ROCPRIM_400000_NS6detail17trampoline_kernelINS0_14default_configENS1_25partition_config_selectorILNS1_17partition_subalgoE6EfNS0_10empty_typeEbEEZZNS1_14partition_implILS5_6ELb0ES3_mN6thrust23THRUST_200600_302600_NS6detail15normal_iteratorINSA_10device_ptrIfEEEEPS6_SG_NS0_5tupleIJSF_S6_EEENSH_IJSG_SG_EEES6_PlJNSB_9not_fun_tINSB_10functional5actorINSM_9compositeIJNSM_27transparent_binary_operatorINSA_8equal_toIvEEEENSN_INSM_8argumentILj0EEEEENSM_5valueIfEEEEEEEEEEEE10hipError_tPvRmT3_T4_T5_T6_T7_T9_mT8_P12ihipStream_tbDpT10_ENKUlT_T0_E_clISt17integral_constantIbLb0EES1J_IbLb1EEEEDaS1F_S1G_EUlS1F_E_NS1_11comp_targetILNS1_3genE9ELNS1_11target_archE1100ELNS1_3gpuE3ELNS1_3repE0EEENS1_30default_config_static_selectorELNS0_4arch9wavefront6targetE0EEEvT1_.uses_flat_scratch, 0
	.set _ZN7rocprim17ROCPRIM_400000_NS6detail17trampoline_kernelINS0_14default_configENS1_25partition_config_selectorILNS1_17partition_subalgoE6EfNS0_10empty_typeEbEEZZNS1_14partition_implILS5_6ELb0ES3_mN6thrust23THRUST_200600_302600_NS6detail15normal_iteratorINSA_10device_ptrIfEEEEPS6_SG_NS0_5tupleIJSF_S6_EEENSH_IJSG_SG_EEES6_PlJNSB_9not_fun_tINSB_10functional5actorINSM_9compositeIJNSM_27transparent_binary_operatorINSA_8equal_toIvEEEENSN_INSM_8argumentILj0EEEEENSM_5valueIfEEEEEEEEEEEE10hipError_tPvRmT3_T4_T5_T6_T7_T9_mT8_P12ihipStream_tbDpT10_ENKUlT_T0_E_clISt17integral_constantIbLb0EES1J_IbLb1EEEEDaS1F_S1G_EUlS1F_E_NS1_11comp_targetILNS1_3genE9ELNS1_11target_archE1100ELNS1_3gpuE3ELNS1_3repE0EEENS1_30default_config_static_selectorELNS0_4arch9wavefront6targetE0EEEvT1_.has_dyn_sized_stack, 0
	.set _ZN7rocprim17ROCPRIM_400000_NS6detail17trampoline_kernelINS0_14default_configENS1_25partition_config_selectorILNS1_17partition_subalgoE6EfNS0_10empty_typeEbEEZZNS1_14partition_implILS5_6ELb0ES3_mN6thrust23THRUST_200600_302600_NS6detail15normal_iteratorINSA_10device_ptrIfEEEEPS6_SG_NS0_5tupleIJSF_S6_EEENSH_IJSG_SG_EEES6_PlJNSB_9not_fun_tINSB_10functional5actorINSM_9compositeIJNSM_27transparent_binary_operatorINSA_8equal_toIvEEEENSN_INSM_8argumentILj0EEEEENSM_5valueIfEEEEEEEEEEEE10hipError_tPvRmT3_T4_T5_T6_T7_T9_mT8_P12ihipStream_tbDpT10_ENKUlT_T0_E_clISt17integral_constantIbLb0EES1J_IbLb1EEEEDaS1F_S1G_EUlS1F_E_NS1_11comp_targetILNS1_3genE9ELNS1_11target_archE1100ELNS1_3gpuE3ELNS1_3repE0EEENS1_30default_config_static_selectorELNS0_4arch9wavefront6targetE0EEEvT1_.has_recursion, 0
	.set _ZN7rocprim17ROCPRIM_400000_NS6detail17trampoline_kernelINS0_14default_configENS1_25partition_config_selectorILNS1_17partition_subalgoE6EfNS0_10empty_typeEbEEZZNS1_14partition_implILS5_6ELb0ES3_mN6thrust23THRUST_200600_302600_NS6detail15normal_iteratorINSA_10device_ptrIfEEEEPS6_SG_NS0_5tupleIJSF_S6_EEENSH_IJSG_SG_EEES6_PlJNSB_9not_fun_tINSB_10functional5actorINSM_9compositeIJNSM_27transparent_binary_operatorINSA_8equal_toIvEEEENSN_INSM_8argumentILj0EEEEENSM_5valueIfEEEEEEEEEEEE10hipError_tPvRmT3_T4_T5_T6_T7_T9_mT8_P12ihipStream_tbDpT10_ENKUlT_T0_E_clISt17integral_constantIbLb0EES1J_IbLb1EEEEDaS1F_S1G_EUlS1F_E_NS1_11comp_targetILNS1_3genE9ELNS1_11target_archE1100ELNS1_3gpuE3ELNS1_3repE0EEENS1_30default_config_static_selectorELNS0_4arch9wavefront6targetE0EEEvT1_.has_indirect_call, 0
	.section	.AMDGPU.csdata,"",@progbits
; Kernel info:
; codeLenInByte = 0
; TotalNumSgprs: 0
; NumVgprs: 0
; ScratchSize: 0
; MemoryBound: 0
; FloatMode: 240
; IeeeMode: 1
; LDSByteSize: 0 bytes/workgroup (compile time only)
; SGPRBlocks: 0
; VGPRBlocks: 0
; NumSGPRsForWavesPerEU: 1
; NumVGPRsForWavesPerEU: 1
; Occupancy: 16
; WaveLimiterHint : 0
; COMPUTE_PGM_RSRC2:SCRATCH_EN: 0
; COMPUTE_PGM_RSRC2:USER_SGPR: 2
; COMPUTE_PGM_RSRC2:TRAP_HANDLER: 0
; COMPUTE_PGM_RSRC2:TGID_X_EN: 1
; COMPUTE_PGM_RSRC2:TGID_Y_EN: 0
; COMPUTE_PGM_RSRC2:TGID_Z_EN: 0
; COMPUTE_PGM_RSRC2:TIDIG_COMP_CNT: 0
	.section	.text._ZN7rocprim17ROCPRIM_400000_NS6detail17trampoline_kernelINS0_14default_configENS1_25partition_config_selectorILNS1_17partition_subalgoE6EfNS0_10empty_typeEbEEZZNS1_14partition_implILS5_6ELb0ES3_mN6thrust23THRUST_200600_302600_NS6detail15normal_iteratorINSA_10device_ptrIfEEEEPS6_SG_NS0_5tupleIJSF_S6_EEENSH_IJSG_SG_EEES6_PlJNSB_9not_fun_tINSB_10functional5actorINSM_9compositeIJNSM_27transparent_binary_operatorINSA_8equal_toIvEEEENSN_INSM_8argumentILj0EEEEENSM_5valueIfEEEEEEEEEEEE10hipError_tPvRmT3_T4_T5_T6_T7_T9_mT8_P12ihipStream_tbDpT10_ENKUlT_T0_E_clISt17integral_constantIbLb0EES1J_IbLb1EEEEDaS1F_S1G_EUlS1F_E_NS1_11comp_targetILNS1_3genE8ELNS1_11target_archE1030ELNS1_3gpuE2ELNS1_3repE0EEENS1_30default_config_static_selectorELNS0_4arch9wavefront6targetE0EEEvT1_,"axG",@progbits,_ZN7rocprim17ROCPRIM_400000_NS6detail17trampoline_kernelINS0_14default_configENS1_25partition_config_selectorILNS1_17partition_subalgoE6EfNS0_10empty_typeEbEEZZNS1_14partition_implILS5_6ELb0ES3_mN6thrust23THRUST_200600_302600_NS6detail15normal_iteratorINSA_10device_ptrIfEEEEPS6_SG_NS0_5tupleIJSF_S6_EEENSH_IJSG_SG_EEES6_PlJNSB_9not_fun_tINSB_10functional5actorINSM_9compositeIJNSM_27transparent_binary_operatorINSA_8equal_toIvEEEENSN_INSM_8argumentILj0EEEEENSM_5valueIfEEEEEEEEEEEE10hipError_tPvRmT3_T4_T5_T6_T7_T9_mT8_P12ihipStream_tbDpT10_ENKUlT_T0_E_clISt17integral_constantIbLb0EES1J_IbLb1EEEEDaS1F_S1G_EUlS1F_E_NS1_11comp_targetILNS1_3genE8ELNS1_11target_archE1030ELNS1_3gpuE2ELNS1_3repE0EEENS1_30default_config_static_selectorELNS0_4arch9wavefront6targetE0EEEvT1_,comdat
	.protected	_ZN7rocprim17ROCPRIM_400000_NS6detail17trampoline_kernelINS0_14default_configENS1_25partition_config_selectorILNS1_17partition_subalgoE6EfNS0_10empty_typeEbEEZZNS1_14partition_implILS5_6ELb0ES3_mN6thrust23THRUST_200600_302600_NS6detail15normal_iteratorINSA_10device_ptrIfEEEEPS6_SG_NS0_5tupleIJSF_S6_EEENSH_IJSG_SG_EEES6_PlJNSB_9not_fun_tINSB_10functional5actorINSM_9compositeIJNSM_27transparent_binary_operatorINSA_8equal_toIvEEEENSN_INSM_8argumentILj0EEEEENSM_5valueIfEEEEEEEEEEEE10hipError_tPvRmT3_T4_T5_T6_T7_T9_mT8_P12ihipStream_tbDpT10_ENKUlT_T0_E_clISt17integral_constantIbLb0EES1J_IbLb1EEEEDaS1F_S1G_EUlS1F_E_NS1_11comp_targetILNS1_3genE8ELNS1_11target_archE1030ELNS1_3gpuE2ELNS1_3repE0EEENS1_30default_config_static_selectorELNS0_4arch9wavefront6targetE0EEEvT1_ ; -- Begin function _ZN7rocprim17ROCPRIM_400000_NS6detail17trampoline_kernelINS0_14default_configENS1_25partition_config_selectorILNS1_17partition_subalgoE6EfNS0_10empty_typeEbEEZZNS1_14partition_implILS5_6ELb0ES3_mN6thrust23THRUST_200600_302600_NS6detail15normal_iteratorINSA_10device_ptrIfEEEEPS6_SG_NS0_5tupleIJSF_S6_EEENSH_IJSG_SG_EEES6_PlJNSB_9not_fun_tINSB_10functional5actorINSM_9compositeIJNSM_27transparent_binary_operatorINSA_8equal_toIvEEEENSN_INSM_8argumentILj0EEEEENSM_5valueIfEEEEEEEEEEEE10hipError_tPvRmT3_T4_T5_T6_T7_T9_mT8_P12ihipStream_tbDpT10_ENKUlT_T0_E_clISt17integral_constantIbLb0EES1J_IbLb1EEEEDaS1F_S1G_EUlS1F_E_NS1_11comp_targetILNS1_3genE8ELNS1_11target_archE1030ELNS1_3gpuE2ELNS1_3repE0EEENS1_30default_config_static_selectorELNS0_4arch9wavefront6targetE0EEEvT1_
	.globl	_ZN7rocprim17ROCPRIM_400000_NS6detail17trampoline_kernelINS0_14default_configENS1_25partition_config_selectorILNS1_17partition_subalgoE6EfNS0_10empty_typeEbEEZZNS1_14partition_implILS5_6ELb0ES3_mN6thrust23THRUST_200600_302600_NS6detail15normal_iteratorINSA_10device_ptrIfEEEEPS6_SG_NS0_5tupleIJSF_S6_EEENSH_IJSG_SG_EEES6_PlJNSB_9not_fun_tINSB_10functional5actorINSM_9compositeIJNSM_27transparent_binary_operatorINSA_8equal_toIvEEEENSN_INSM_8argumentILj0EEEEENSM_5valueIfEEEEEEEEEEEE10hipError_tPvRmT3_T4_T5_T6_T7_T9_mT8_P12ihipStream_tbDpT10_ENKUlT_T0_E_clISt17integral_constantIbLb0EES1J_IbLb1EEEEDaS1F_S1G_EUlS1F_E_NS1_11comp_targetILNS1_3genE8ELNS1_11target_archE1030ELNS1_3gpuE2ELNS1_3repE0EEENS1_30default_config_static_selectorELNS0_4arch9wavefront6targetE0EEEvT1_
	.p2align	8
	.type	_ZN7rocprim17ROCPRIM_400000_NS6detail17trampoline_kernelINS0_14default_configENS1_25partition_config_selectorILNS1_17partition_subalgoE6EfNS0_10empty_typeEbEEZZNS1_14partition_implILS5_6ELb0ES3_mN6thrust23THRUST_200600_302600_NS6detail15normal_iteratorINSA_10device_ptrIfEEEEPS6_SG_NS0_5tupleIJSF_S6_EEENSH_IJSG_SG_EEES6_PlJNSB_9not_fun_tINSB_10functional5actorINSM_9compositeIJNSM_27transparent_binary_operatorINSA_8equal_toIvEEEENSN_INSM_8argumentILj0EEEEENSM_5valueIfEEEEEEEEEEEE10hipError_tPvRmT3_T4_T5_T6_T7_T9_mT8_P12ihipStream_tbDpT10_ENKUlT_T0_E_clISt17integral_constantIbLb0EES1J_IbLb1EEEEDaS1F_S1G_EUlS1F_E_NS1_11comp_targetILNS1_3genE8ELNS1_11target_archE1030ELNS1_3gpuE2ELNS1_3repE0EEENS1_30default_config_static_selectorELNS0_4arch9wavefront6targetE0EEEvT1_,@function
_ZN7rocprim17ROCPRIM_400000_NS6detail17trampoline_kernelINS0_14default_configENS1_25partition_config_selectorILNS1_17partition_subalgoE6EfNS0_10empty_typeEbEEZZNS1_14partition_implILS5_6ELb0ES3_mN6thrust23THRUST_200600_302600_NS6detail15normal_iteratorINSA_10device_ptrIfEEEEPS6_SG_NS0_5tupleIJSF_S6_EEENSH_IJSG_SG_EEES6_PlJNSB_9not_fun_tINSB_10functional5actorINSM_9compositeIJNSM_27transparent_binary_operatorINSA_8equal_toIvEEEENSN_INSM_8argumentILj0EEEEENSM_5valueIfEEEEEEEEEEEE10hipError_tPvRmT3_T4_T5_T6_T7_T9_mT8_P12ihipStream_tbDpT10_ENKUlT_T0_E_clISt17integral_constantIbLb0EES1J_IbLb1EEEEDaS1F_S1G_EUlS1F_E_NS1_11comp_targetILNS1_3genE8ELNS1_11target_archE1030ELNS1_3gpuE2ELNS1_3repE0EEENS1_30default_config_static_selectorELNS0_4arch9wavefront6targetE0EEEvT1_: ; @_ZN7rocprim17ROCPRIM_400000_NS6detail17trampoline_kernelINS0_14default_configENS1_25partition_config_selectorILNS1_17partition_subalgoE6EfNS0_10empty_typeEbEEZZNS1_14partition_implILS5_6ELb0ES3_mN6thrust23THRUST_200600_302600_NS6detail15normal_iteratorINSA_10device_ptrIfEEEEPS6_SG_NS0_5tupleIJSF_S6_EEENSH_IJSG_SG_EEES6_PlJNSB_9not_fun_tINSB_10functional5actorINSM_9compositeIJNSM_27transparent_binary_operatorINSA_8equal_toIvEEEENSN_INSM_8argumentILj0EEEEENSM_5valueIfEEEEEEEEEEEE10hipError_tPvRmT3_T4_T5_T6_T7_T9_mT8_P12ihipStream_tbDpT10_ENKUlT_T0_E_clISt17integral_constantIbLb0EES1J_IbLb1EEEEDaS1F_S1G_EUlS1F_E_NS1_11comp_targetILNS1_3genE8ELNS1_11target_archE1030ELNS1_3gpuE2ELNS1_3repE0EEENS1_30default_config_static_selectorELNS0_4arch9wavefront6targetE0EEEvT1_
; %bb.0:
	.section	.rodata,"a",@progbits
	.p2align	6, 0x0
	.amdhsa_kernel _ZN7rocprim17ROCPRIM_400000_NS6detail17trampoline_kernelINS0_14default_configENS1_25partition_config_selectorILNS1_17partition_subalgoE6EfNS0_10empty_typeEbEEZZNS1_14partition_implILS5_6ELb0ES3_mN6thrust23THRUST_200600_302600_NS6detail15normal_iteratorINSA_10device_ptrIfEEEEPS6_SG_NS0_5tupleIJSF_S6_EEENSH_IJSG_SG_EEES6_PlJNSB_9not_fun_tINSB_10functional5actorINSM_9compositeIJNSM_27transparent_binary_operatorINSA_8equal_toIvEEEENSN_INSM_8argumentILj0EEEEENSM_5valueIfEEEEEEEEEEEE10hipError_tPvRmT3_T4_T5_T6_T7_T9_mT8_P12ihipStream_tbDpT10_ENKUlT_T0_E_clISt17integral_constantIbLb0EES1J_IbLb1EEEEDaS1F_S1G_EUlS1F_E_NS1_11comp_targetILNS1_3genE8ELNS1_11target_archE1030ELNS1_3gpuE2ELNS1_3repE0EEENS1_30default_config_static_selectorELNS0_4arch9wavefront6targetE0EEEvT1_
		.amdhsa_group_segment_fixed_size 0
		.amdhsa_private_segment_fixed_size 0
		.amdhsa_kernarg_size 128
		.amdhsa_user_sgpr_count 2
		.amdhsa_user_sgpr_dispatch_ptr 0
		.amdhsa_user_sgpr_queue_ptr 0
		.amdhsa_user_sgpr_kernarg_segment_ptr 1
		.amdhsa_user_sgpr_dispatch_id 0
		.amdhsa_user_sgpr_private_segment_size 0
		.amdhsa_wavefront_size32 1
		.amdhsa_uses_dynamic_stack 0
		.amdhsa_enable_private_segment 0
		.amdhsa_system_sgpr_workgroup_id_x 1
		.amdhsa_system_sgpr_workgroup_id_y 0
		.amdhsa_system_sgpr_workgroup_id_z 0
		.amdhsa_system_sgpr_workgroup_info 0
		.amdhsa_system_vgpr_workitem_id 0
		.amdhsa_next_free_vgpr 1
		.amdhsa_next_free_sgpr 1
		.amdhsa_reserve_vcc 0
		.amdhsa_float_round_mode_32 0
		.amdhsa_float_round_mode_16_64 0
		.amdhsa_float_denorm_mode_32 3
		.amdhsa_float_denorm_mode_16_64 3
		.amdhsa_fp16_overflow 0
		.amdhsa_workgroup_processor_mode 1
		.amdhsa_memory_ordered 1
		.amdhsa_forward_progress 1
		.amdhsa_inst_pref_size 0
		.amdhsa_round_robin_scheduling 0
		.amdhsa_exception_fp_ieee_invalid_op 0
		.amdhsa_exception_fp_denorm_src 0
		.amdhsa_exception_fp_ieee_div_zero 0
		.amdhsa_exception_fp_ieee_overflow 0
		.amdhsa_exception_fp_ieee_underflow 0
		.amdhsa_exception_fp_ieee_inexact 0
		.amdhsa_exception_int_div_zero 0
	.end_amdhsa_kernel
	.section	.text._ZN7rocprim17ROCPRIM_400000_NS6detail17trampoline_kernelINS0_14default_configENS1_25partition_config_selectorILNS1_17partition_subalgoE6EfNS0_10empty_typeEbEEZZNS1_14partition_implILS5_6ELb0ES3_mN6thrust23THRUST_200600_302600_NS6detail15normal_iteratorINSA_10device_ptrIfEEEEPS6_SG_NS0_5tupleIJSF_S6_EEENSH_IJSG_SG_EEES6_PlJNSB_9not_fun_tINSB_10functional5actorINSM_9compositeIJNSM_27transparent_binary_operatorINSA_8equal_toIvEEEENSN_INSM_8argumentILj0EEEEENSM_5valueIfEEEEEEEEEEEE10hipError_tPvRmT3_T4_T5_T6_T7_T9_mT8_P12ihipStream_tbDpT10_ENKUlT_T0_E_clISt17integral_constantIbLb0EES1J_IbLb1EEEEDaS1F_S1G_EUlS1F_E_NS1_11comp_targetILNS1_3genE8ELNS1_11target_archE1030ELNS1_3gpuE2ELNS1_3repE0EEENS1_30default_config_static_selectorELNS0_4arch9wavefront6targetE0EEEvT1_,"axG",@progbits,_ZN7rocprim17ROCPRIM_400000_NS6detail17trampoline_kernelINS0_14default_configENS1_25partition_config_selectorILNS1_17partition_subalgoE6EfNS0_10empty_typeEbEEZZNS1_14partition_implILS5_6ELb0ES3_mN6thrust23THRUST_200600_302600_NS6detail15normal_iteratorINSA_10device_ptrIfEEEEPS6_SG_NS0_5tupleIJSF_S6_EEENSH_IJSG_SG_EEES6_PlJNSB_9not_fun_tINSB_10functional5actorINSM_9compositeIJNSM_27transparent_binary_operatorINSA_8equal_toIvEEEENSN_INSM_8argumentILj0EEEEENSM_5valueIfEEEEEEEEEEEE10hipError_tPvRmT3_T4_T5_T6_T7_T9_mT8_P12ihipStream_tbDpT10_ENKUlT_T0_E_clISt17integral_constantIbLb0EES1J_IbLb1EEEEDaS1F_S1G_EUlS1F_E_NS1_11comp_targetILNS1_3genE8ELNS1_11target_archE1030ELNS1_3gpuE2ELNS1_3repE0EEENS1_30default_config_static_selectorELNS0_4arch9wavefront6targetE0EEEvT1_,comdat
.Lfunc_end78:
	.size	_ZN7rocprim17ROCPRIM_400000_NS6detail17trampoline_kernelINS0_14default_configENS1_25partition_config_selectorILNS1_17partition_subalgoE6EfNS0_10empty_typeEbEEZZNS1_14partition_implILS5_6ELb0ES3_mN6thrust23THRUST_200600_302600_NS6detail15normal_iteratorINSA_10device_ptrIfEEEEPS6_SG_NS0_5tupleIJSF_S6_EEENSH_IJSG_SG_EEES6_PlJNSB_9not_fun_tINSB_10functional5actorINSM_9compositeIJNSM_27transparent_binary_operatorINSA_8equal_toIvEEEENSN_INSM_8argumentILj0EEEEENSM_5valueIfEEEEEEEEEEEE10hipError_tPvRmT3_T4_T5_T6_T7_T9_mT8_P12ihipStream_tbDpT10_ENKUlT_T0_E_clISt17integral_constantIbLb0EES1J_IbLb1EEEEDaS1F_S1G_EUlS1F_E_NS1_11comp_targetILNS1_3genE8ELNS1_11target_archE1030ELNS1_3gpuE2ELNS1_3repE0EEENS1_30default_config_static_selectorELNS0_4arch9wavefront6targetE0EEEvT1_, .Lfunc_end78-_ZN7rocprim17ROCPRIM_400000_NS6detail17trampoline_kernelINS0_14default_configENS1_25partition_config_selectorILNS1_17partition_subalgoE6EfNS0_10empty_typeEbEEZZNS1_14partition_implILS5_6ELb0ES3_mN6thrust23THRUST_200600_302600_NS6detail15normal_iteratorINSA_10device_ptrIfEEEEPS6_SG_NS0_5tupleIJSF_S6_EEENSH_IJSG_SG_EEES6_PlJNSB_9not_fun_tINSB_10functional5actorINSM_9compositeIJNSM_27transparent_binary_operatorINSA_8equal_toIvEEEENSN_INSM_8argumentILj0EEEEENSM_5valueIfEEEEEEEEEEEE10hipError_tPvRmT3_T4_T5_T6_T7_T9_mT8_P12ihipStream_tbDpT10_ENKUlT_T0_E_clISt17integral_constantIbLb0EES1J_IbLb1EEEEDaS1F_S1G_EUlS1F_E_NS1_11comp_targetILNS1_3genE8ELNS1_11target_archE1030ELNS1_3gpuE2ELNS1_3repE0EEENS1_30default_config_static_selectorELNS0_4arch9wavefront6targetE0EEEvT1_
                                        ; -- End function
	.set _ZN7rocprim17ROCPRIM_400000_NS6detail17trampoline_kernelINS0_14default_configENS1_25partition_config_selectorILNS1_17partition_subalgoE6EfNS0_10empty_typeEbEEZZNS1_14partition_implILS5_6ELb0ES3_mN6thrust23THRUST_200600_302600_NS6detail15normal_iteratorINSA_10device_ptrIfEEEEPS6_SG_NS0_5tupleIJSF_S6_EEENSH_IJSG_SG_EEES6_PlJNSB_9not_fun_tINSB_10functional5actorINSM_9compositeIJNSM_27transparent_binary_operatorINSA_8equal_toIvEEEENSN_INSM_8argumentILj0EEEEENSM_5valueIfEEEEEEEEEEEE10hipError_tPvRmT3_T4_T5_T6_T7_T9_mT8_P12ihipStream_tbDpT10_ENKUlT_T0_E_clISt17integral_constantIbLb0EES1J_IbLb1EEEEDaS1F_S1G_EUlS1F_E_NS1_11comp_targetILNS1_3genE8ELNS1_11target_archE1030ELNS1_3gpuE2ELNS1_3repE0EEENS1_30default_config_static_selectorELNS0_4arch9wavefront6targetE0EEEvT1_.num_vgpr, 0
	.set _ZN7rocprim17ROCPRIM_400000_NS6detail17trampoline_kernelINS0_14default_configENS1_25partition_config_selectorILNS1_17partition_subalgoE6EfNS0_10empty_typeEbEEZZNS1_14partition_implILS5_6ELb0ES3_mN6thrust23THRUST_200600_302600_NS6detail15normal_iteratorINSA_10device_ptrIfEEEEPS6_SG_NS0_5tupleIJSF_S6_EEENSH_IJSG_SG_EEES6_PlJNSB_9not_fun_tINSB_10functional5actorINSM_9compositeIJNSM_27transparent_binary_operatorINSA_8equal_toIvEEEENSN_INSM_8argumentILj0EEEEENSM_5valueIfEEEEEEEEEEEE10hipError_tPvRmT3_T4_T5_T6_T7_T9_mT8_P12ihipStream_tbDpT10_ENKUlT_T0_E_clISt17integral_constantIbLb0EES1J_IbLb1EEEEDaS1F_S1G_EUlS1F_E_NS1_11comp_targetILNS1_3genE8ELNS1_11target_archE1030ELNS1_3gpuE2ELNS1_3repE0EEENS1_30default_config_static_selectorELNS0_4arch9wavefront6targetE0EEEvT1_.num_agpr, 0
	.set _ZN7rocprim17ROCPRIM_400000_NS6detail17trampoline_kernelINS0_14default_configENS1_25partition_config_selectorILNS1_17partition_subalgoE6EfNS0_10empty_typeEbEEZZNS1_14partition_implILS5_6ELb0ES3_mN6thrust23THRUST_200600_302600_NS6detail15normal_iteratorINSA_10device_ptrIfEEEEPS6_SG_NS0_5tupleIJSF_S6_EEENSH_IJSG_SG_EEES6_PlJNSB_9not_fun_tINSB_10functional5actorINSM_9compositeIJNSM_27transparent_binary_operatorINSA_8equal_toIvEEEENSN_INSM_8argumentILj0EEEEENSM_5valueIfEEEEEEEEEEEE10hipError_tPvRmT3_T4_T5_T6_T7_T9_mT8_P12ihipStream_tbDpT10_ENKUlT_T0_E_clISt17integral_constantIbLb0EES1J_IbLb1EEEEDaS1F_S1G_EUlS1F_E_NS1_11comp_targetILNS1_3genE8ELNS1_11target_archE1030ELNS1_3gpuE2ELNS1_3repE0EEENS1_30default_config_static_selectorELNS0_4arch9wavefront6targetE0EEEvT1_.numbered_sgpr, 0
	.set _ZN7rocprim17ROCPRIM_400000_NS6detail17trampoline_kernelINS0_14default_configENS1_25partition_config_selectorILNS1_17partition_subalgoE6EfNS0_10empty_typeEbEEZZNS1_14partition_implILS5_6ELb0ES3_mN6thrust23THRUST_200600_302600_NS6detail15normal_iteratorINSA_10device_ptrIfEEEEPS6_SG_NS0_5tupleIJSF_S6_EEENSH_IJSG_SG_EEES6_PlJNSB_9not_fun_tINSB_10functional5actorINSM_9compositeIJNSM_27transparent_binary_operatorINSA_8equal_toIvEEEENSN_INSM_8argumentILj0EEEEENSM_5valueIfEEEEEEEEEEEE10hipError_tPvRmT3_T4_T5_T6_T7_T9_mT8_P12ihipStream_tbDpT10_ENKUlT_T0_E_clISt17integral_constantIbLb0EES1J_IbLb1EEEEDaS1F_S1G_EUlS1F_E_NS1_11comp_targetILNS1_3genE8ELNS1_11target_archE1030ELNS1_3gpuE2ELNS1_3repE0EEENS1_30default_config_static_selectorELNS0_4arch9wavefront6targetE0EEEvT1_.num_named_barrier, 0
	.set _ZN7rocprim17ROCPRIM_400000_NS6detail17trampoline_kernelINS0_14default_configENS1_25partition_config_selectorILNS1_17partition_subalgoE6EfNS0_10empty_typeEbEEZZNS1_14partition_implILS5_6ELb0ES3_mN6thrust23THRUST_200600_302600_NS6detail15normal_iteratorINSA_10device_ptrIfEEEEPS6_SG_NS0_5tupleIJSF_S6_EEENSH_IJSG_SG_EEES6_PlJNSB_9not_fun_tINSB_10functional5actorINSM_9compositeIJNSM_27transparent_binary_operatorINSA_8equal_toIvEEEENSN_INSM_8argumentILj0EEEEENSM_5valueIfEEEEEEEEEEEE10hipError_tPvRmT3_T4_T5_T6_T7_T9_mT8_P12ihipStream_tbDpT10_ENKUlT_T0_E_clISt17integral_constantIbLb0EES1J_IbLb1EEEEDaS1F_S1G_EUlS1F_E_NS1_11comp_targetILNS1_3genE8ELNS1_11target_archE1030ELNS1_3gpuE2ELNS1_3repE0EEENS1_30default_config_static_selectorELNS0_4arch9wavefront6targetE0EEEvT1_.private_seg_size, 0
	.set _ZN7rocprim17ROCPRIM_400000_NS6detail17trampoline_kernelINS0_14default_configENS1_25partition_config_selectorILNS1_17partition_subalgoE6EfNS0_10empty_typeEbEEZZNS1_14partition_implILS5_6ELb0ES3_mN6thrust23THRUST_200600_302600_NS6detail15normal_iteratorINSA_10device_ptrIfEEEEPS6_SG_NS0_5tupleIJSF_S6_EEENSH_IJSG_SG_EEES6_PlJNSB_9not_fun_tINSB_10functional5actorINSM_9compositeIJNSM_27transparent_binary_operatorINSA_8equal_toIvEEEENSN_INSM_8argumentILj0EEEEENSM_5valueIfEEEEEEEEEEEE10hipError_tPvRmT3_T4_T5_T6_T7_T9_mT8_P12ihipStream_tbDpT10_ENKUlT_T0_E_clISt17integral_constantIbLb0EES1J_IbLb1EEEEDaS1F_S1G_EUlS1F_E_NS1_11comp_targetILNS1_3genE8ELNS1_11target_archE1030ELNS1_3gpuE2ELNS1_3repE0EEENS1_30default_config_static_selectorELNS0_4arch9wavefront6targetE0EEEvT1_.uses_vcc, 0
	.set _ZN7rocprim17ROCPRIM_400000_NS6detail17trampoline_kernelINS0_14default_configENS1_25partition_config_selectorILNS1_17partition_subalgoE6EfNS0_10empty_typeEbEEZZNS1_14partition_implILS5_6ELb0ES3_mN6thrust23THRUST_200600_302600_NS6detail15normal_iteratorINSA_10device_ptrIfEEEEPS6_SG_NS0_5tupleIJSF_S6_EEENSH_IJSG_SG_EEES6_PlJNSB_9not_fun_tINSB_10functional5actorINSM_9compositeIJNSM_27transparent_binary_operatorINSA_8equal_toIvEEEENSN_INSM_8argumentILj0EEEEENSM_5valueIfEEEEEEEEEEEE10hipError_tPvRmT3_T4_T5_T6_T7_T9_mT8_P12ihipStream_tbDpT10_ENKUlT_T0_E_clISt17integral_constantIbLb0EES1J_IbLb1EEEEDaS1F_S1G_EUlS1F_E_NS1_11comp_targetILNS1_3genE8ELNS1_11target_archE1030ELNS1_3gpuE2ELNS1_3repE0EEENS1_30default_config_static_selectorELNS0_4arch9wavefront6targetE0EEEvT1_.uses_flat_scratch, 0
	.set _ZN7rocprim17ROCPRIM_400000_NS6detail17trampoline_kernelINS0_14default_configENS1_25partition_config_selectorILNS1_17partition_subalgoE6EfNS0_10empty_typeEbEEZZNS1_14partition_implILS5_6ELb0ES3_mN6thrust23THRUST_200600_302600_NS6detail15normal_iteratorINSA_10device_ptrIfEEEEPS6_SG_NS0_5tupleIJSF_S6_EEENSH_IJSG_SG_EEES6_PlJNSB_9not_fun_tINSB_10functional5actorINSM_9compositeIJNSM_27transparent_binary_operatorINSA_8equal_toIvEEEENSN_INSM_8argumentILj0EEEEENSM_5valueIfEEEEEEEEEEEE10hipError_tPvRmT3_T4_T5_T6_T7_T9_mT8_P12ihipStream_tbDpT10_ENKUlT_T0_E_clISt17integral_constantIbLb0EES1J_IbLb1EEEEDaS1F_S1G_EUlS1F_E_NS1_11comp_targetILNS1_3genE8ELNS1_11target_archE1030ELNS1_3gpuE2ELNS1_3repE0EEENS1_30default_config_static_selectorELNS0_4arch9wavefront6targetE0EEEvT1_.has_dyn_sized_stack, 0
	.set _ZN7rocprim17ROCPRIM_400000_NS6detail17trampoline_kernelINS0_14default_configENS1_25partition_config_selectorILNS1_17partition_subalgoE6EfNS0_10empty_typeEbEEZZNS1_14partition_implILS5_6ELb0ES3_mN6thrust23THRUST_200600_302600_NS6detail15normal_iteratorINSA_10device_ptrIfEEEEPS6_SG_NS0_5tupleIJSF_S6_EEENSH_IJSG_SG_EEES6_PlJNSB_9not_fun_tINSB_10functional5actorINSM_9compositeIJNSM_27transparent_binary_operatorINSA_8equal_toIvEEEENSN_INSM_8argumentILj0EEEEENSM_5valueIfEEEEEEEEEEEE10hipError_tPvRmT3_T4_T5_T6_T7_T9_mT8_P12ihipStream_tbDpT10_ENKUlT_T0_E_clISt17integral_constantIbLb0EES1J_IbLb1EEEEDaS1F_S1G_EUlS1F_E_NS1_11comp_targetILNS1_3genE8ELNS1_11target_archE1030ELNS1_3gpuE2ELNS1_3repE0EEENS1_30default_config_static_selectorELNS0_4arch9wavefront6targetE0EEEvT1_.has_recursion, 0
	.set _ZN7rocprim17ROCPRIM_400000_NS6detail17trampoline_kernelINS0_14default_configENS1_25partition_config_selectorILNS1_17partition_subalgoE6EfNS0_10empty_typeEbEEZZNS1_14partition_implILS5_6ELb0ES3_mN6thrust23THRUST_200600_302600_NS6detail15normal_iteratorINSA_10device_ptrIfEEEEPS6_SG_NS0_5tupleIJSF_S6_EEENSH_IJSG_SG_EEES6_PlJNSB_9not_fun_tINSB_10functional5actorINSM_9compositeIJNSM_27transparent_binary_operatorINSA_8equal_toIvEEEENSN_INSM_8argumentILj0EEEEENSM_5valueIfEEEEEEEEEEEE10hipError_tPvRmT3_T4_T5_T6_T7_T9_mT8_P12ihipStream_tbDpT10_ENKUlT_T0_E_clISt17integral_constantIbLb0EES1J_IbLb1EEEEDaS1F_S1G_EUlS1F_E_NS1_11comp_targetILNS1_3genE8ELNS1_11target_archE1030ELNS1_3gpuE2ELNS1_3repE0EEENS1_30default_config_static_selectorELNS0_4arch9wavefront6targetE0EEEvT1_.has_indirect_call, 0
	.section	.AMDGPU.csdata,"",@progbits
; Kernel info:
; codeLenInByte = 0
; TotalNumSgprs: 0
; NumVgprs: 0
; ScratchSize: 0
; MemoryBound: 0
; FloatMode: 240
; IeeeMode: 1
; LDSByteSize: 0 bytes/workgroup (compile time only)
; SGPRBlocks: 0
; VGPRBlocks: 0
; NumSGPRsForWavesPerEU: 1
; NumVGPRsForWavesPerEU: 1
; Occupancy: 16
; WaveLimiterHint : 0
; COMPUTE_PGM_RSRC2:SCRATCH_EN: 0
; COMPUTE_PGM_RSRC2:USER_SGPR: 2
; COMPUTE_PGM_RSRC2:TRAP_HANDLER: 0
; COMPUTE_PGM_RSRC2:TGID_X_EN: 1
; COMPUTE_PGM_RSRC2:TGID_Y_EN: 0
; COMPUTE_PGM_RSRC2:TGID_Z_EN: 0
; COMPUTE_PGM_RSRC2:TIDIG_COMP_CNT: 0
	.section	.text._ZN6thrust23THRUST_200600_302600_NS11hip_rocprim14__parallel_for6kernelILj256ENS1_20__uninitialized_fill7functorINS0_10device_ptrIyEEyEEmLj1EEEvT0_T1_SA_,"axG",@progbits,_ZN6thrust23THRUST_200600_302600_NS11hip_rocprim14__parallel_for6kernelILj256ENS1_20__uninitialized_fill7functorINS0_10device_ptrIyEEyEEmLj1EEEvT0_T1_SA_,comdat
	.protected	_ZN6thrust23THRUST_200600_302600_NS11hip_rocprim14__parallel_for6kernelILj256ENS1_20__uninitialized_fill7functorINS0_10device_ptrIyEEyEEmLj1EEEvT0_T1_SA_ ; -- Begin function _ZN6thrust23THRUST_200600_302600_NS11hip_rocprim14__parallel_for6kernelILj256ENS1_20__uninitialized_fill7functorINS0_10device_ptrIyEEyEEmLj1EEEvT0_T1_SA_
	.globl	_ZN6thrust23THRUST_200600_302600_NS11hip_rocprim14__parallel_for6kernelILj256ENS1_20__uninitialized_fill7functorINS0_10device_ptrIyEEyEEmLj1EEEvT0_T1_SA_
	.p2align	8
	.type	_ZN6thrust23THRUST_200600_302600_NS11hip_rocprim14__parallel_for6kernelILj256ENS1_20__uninitialized_fill7functorINS0_10device_ptrIyEEyEEmLj1EEEvT0_T1_SA_,@function
_ZN6thrust23THRUST_200600_302600_NS11hip_rocprim14__parallel_for6kernelILj256ENS1_20__uninitialized_fill7functorINS0_10device_ptrIyEEyEEmLj1EEEvT0_T1_SA_: ; @_ZN6thrust23THRUST_200600_302600_NS11hip_rocprim14__parallel_for6kernelILj256ENS1_20__uninitialized_fill7functorINS0_10device_ptrIyEEyEEmLj1EEEvT0_T1_SA_
; %bb.0:
	s_load_b256 s[0:7], s[0:1], 0x0
	s_lshl_b32 s8, ttmp9, 8
	s_mov_b32 s9, 0
	s_wait_kmcnt 0x0
	s_add_nc_u64 s[6:7], s[6:7], s[8:9]
	s_delay_alu instid0(SALU_CYCLE_1) | instskip(NEXT) | instid1(SALU_CYCLE_1)
	s_sub_nc_u64 s[4:5], s[4:5], s[6:7]
	v_cmp_lt_u64_e64 s5, 0xff, s[4:5]
	s_and_b32 vcc_lo, exec_lo, s5
	s_mov_b32 s5, -1
	s_cbranch_vccz .LBB79_3
; %bb.1:
	s_wait_alu 0xfffe
	s_and_not1_b32 vcc_lo, exec_lo, s5
	s_cbranch_vccz .LBB79_6
.LBB79_2:
	s_endpgm
.LBB79_3:
	v_cmp_gt_u32_e32 vcc_lo, s4, v0
	s_and_saveexec_b32 s4, vcc_lo
	s_cbranch_execz .LBB79_5
; %bb.4:
	v_dual_mov_b32 v4, s3 :: v_dual_lshlrev_b32 v1, 3, v0
	s_lshl_b64 s[8:9], s[6:7], 3
	v_mov_b32_e32 v3, s2
	s_add_nc_u64 s[8:9], s[0:1], s[8:9]
	s_delay_alu instid0(VALU_DEP_2) | instid1(SALU_CYCLE_1)
	v_add_co_u32 v1, s5, s8, v1
	s_wait_alu 0xf1fe
	v_add_co_ci_u32_e64 v2, null, s9, 0, s5
	flat_store_b64 v[1:2], v[3:4]
.LBB79_5:
	s_wait_alu 0xfffe
	s_or_b32 exec_lo, exec_lo, s4
	s_cbranch_execnz .LBB79_2
.LBB79_6:
	v_lshlrev_b32_e32 v0, 3, v0
	s_lshl_b64 s[4:5], s[6:7], 3
	v_mov_b32_e32 v2, s2
	s_wait_alu 0xfffe
	s_add_nc_u64 s[0:1], s[0:1], s[4:5]
	v_mov_b32_e32 v3, s3
	v_add_co_u32 v0, s0, s0, v0
	s_wait_alu 0xf1ff
	v_add_co_ci_u32_e64 v1, null, s1, 0, s0
	flat_store_b64 v[0:1], v[2:3]
	s_endpgm
	.section	.rodata,"a",@progbits
	.p2align	6, 0x0
	.amdhsa_kernel _ZN6thrust23THRUST_200600_302600_NS11hip_rocprim14__parallel_for6kernelILj256ENS1_20__uninitialized_fill7functorINS0_10device_ptrIyEEyEEmLj1EEEvT0_T1_SA_
		.amdhsa_group_segment_fixed_size 0
		.amdhsa_private_segment_fixed_size 0
		.amdhsa_kernarg_size 32
		.amdhsa_user_sgpr_count 2
		.amdhsa_user_sgpr_dispatch_ptr 0
		.amdhsa_user_sgpr_queue_ptr 0
		.amdhsa_user_sgpr_kernarg_segment_ptr 1
		.amdhsa_user_sgpr_dispatch_id 0
		.amdhsa_user_sgpr_private_segment_size 0
		.amdhsa_wavefront_size32 1
		.amdhsa_uses_dynamic_stack 0
		.amdhsa_enable_private_segment 0
		.amdhsa_system_sgpr_workgroup_id_x 1
		.amdhsa_system_sgpr_workgroup_id_y 0
		.amdhsa_system_sgpr_workgroup_id_z 0
		.amdhsa_system_sgpr_workgroup_info 0
		.amdhsa_system_vgpr_workitem_id 0
		.amdhsa_next_free_vgpr 5
		.amdhsa_next_free_sgpr 10
		.amdhsa_reserve_vcc 1
		.amdhsa_float_round_mode_32 0
		.amdhsa_float_round_mode_16_64 0
		.amdhsa_float_denorm_mode_32 3
		.amdhsa_float_denorm_mode_16_64 3
		.amdhsa_fp16_overflow 0
		.amdhsa_workgroup_processor_mode 1
		.amdhsa_memory_ordered 1
		.amdhsa_forward_progress 1
		.amdhsa_inst_pref_size 2
		.amdhsa_round_robin_scheduling 0
		.amdhsa_exception_fp_ieee_invalid_op 0
		.amdhsa_exception_fp_denorm_src 0
		.amdhsa_exception_fp_ieee_div_zero 0
		.amdhsa_exception_fp_ieee_overflow 0
		.amdhsa_exception_fp_ieee_underflow 0
		.amdhsa_exception_fp_ieee_inexact 0
		.amdhsa_exception_int_div_zero 0
	.end_amdhsa_kernel
	.section	.text._ZN6thrust23THRUST_200600_302600_NS11hip_rocprim14__parallel_for6kernelILj256ENS1_20__uninitialized_fill7functorINS0_10device_ptrIyEEyEEmLj1EEEvT0_T1_SA_,"axG",@progbits,_ZN6thrust23THRUST_200600_302600_NS11hip_rocprim14__parallel_for6kernelILj256ENS1_20__uninitialized_fill7functorINS0_10device_ptrIyEEyEEmLj1EEEvT0_T1_SA_,comdat
.Lfunc_end79:
	.size	_ZN6thrust23THRUST_200600_302600_NS11hip_rocprim14__parallel_for6kernelILj256ENS1_20__uninitialized_fill7functorINS0_10device_ptrIyEEyEEmLj1EEEvT0_T1_SA_, .Lfunc_end79-_ZN6thrust23THRUST_200600_302600_NS11hip_rocprim14__parallel_for6kernelILj256ENS1_20__uninitialized_fill7functorINS0_10device_ptrIyEEyEEmLj1EEEvT0_T1_SA_
                                        ; -- End function
	.set _ZN6thrust23THRUST_200600_302600_NS11hip_rocprim14__parallel_for6kernelILj256ENS1_20__uninitialized_fill7functorINS0_10device_ptrIyEEyEEmLj1EEEvT0_T1_SA_.num_vgpr, 5
	.set _ZN6thrust23THRUST_200600_302600_NS11hip_rocprim14__parallel_for6kernelILj256ENS1_20__uninitialized_fill7functorINS0_10device_ptrIyEEyEEmLj1EEEvT0_T1_SA_.num_agpr, 0
	.set _ZN6thrust23THRUST_200600_302600_NS11hip_rocprim14__parallel_for6kernelILj256ENS1_20__uninitialized_fill7functorINS0_10device_ptrIyEEyEEmLj1EEEvT0_T1_SA_.numbered_sgpr, 10
	.set _ZN6thrust23THRUST_200600_302600_NS11hip_rocprim14__parallel_for6kernelILj256ENS1_20__uninitialized_fill7functorINS0_10device_ptrIyEEyEEmLj1EEEvT0_T1_SA_.num_named_barrier, 0
	.set _ZN6thrust23THRUST_200600_302600_NS11hip_rocprim14__parallel_for6kernelILj256ENS1_20__uninitialized_fill7functorINS0_10device_ptrIyEEyEEmLj1EEEvT0_T1_SA_.private_seg_size, 0
	.set _ZN6thrust23THRUST_200600_302600_NS11hip_rocprim14__parallel_for6kernelILj256ENS1_20__uninitialized_fill7functorINS0_10device_ptrIyEEyEEmLj1EEEvT0_T1_SA_.uses_vcc, 1
	.set _ZN6thrust23THRUST_200600_302600_NS11hip_rocprim14__parallel_for6kernelILj256ENS1_20__uninitialized_fill7functorINS0_10device_ptrIyEEyEEmLj1EEEvT0_T1_SA_.uses_flat_scratch, 0
	.set _ZN6thrust23THRUST_200600_302600_NS11hip_rocprim14__parallel_for6kernelILj256ENS1_20__uninitialized_fill7functorINS0_10device_ptrIyEEyEEmLj1EEEvT0_T1_SA_.has_dyn_sized_stack, 0
	.set _ZN6thrust23THRUST_200600_302600_NS11hip_rocprim14__parallel_for6kernelILj256ENS1_20__uninitialized_fill7functorINS0_10device_ptrIyEEyEEmLj1EEEvT0_T1_SA_.has_recursion, 0
	.set _ZN6thrust23THRUST_200600_302600_NS11hip_rocprim14__parallel_for6kernelILj256ENS1_20__uninitialized_fill7functorINS0_10device_ptrIyEEyEEmLj1EEEvT0_T1_SA_.has_indirect_call, 0
	.section	.AMDGPU.csdata,"",@progbits
; Kernel info:
; codeLenInByte = 212
; TotalNumSgprs: 12
; NumVgprs: 5
; ScratchSize: 0
; MemoryBound: 0
; FloatMode: 240
; IeeeMode: 1
; LDSByteSize: 0 bytes/workgroup (compile time only)
; SGPRBlocks: 0
; VGPRBlocks: 0
; NumSGPRsForWavesPerEU: 12
; NumVGPRsForWavesPerEU: 5
; Occupancy: 16
; WaveLimiterHint : 0
; COMPUTE_PGM_RSRC2:SCRATCH_EN: 0
; COMPUTE_PGM_RSRC2:USER_SGPR: 2
; COMPUTE_PGM_RSRC2:TRAP_HANDLER: 0
; COMPUTE_PGM_RSRC2:TGID_X_EN: 1
; COMPUTE_PGM_RSRC2:TGID_Y_EN: 0
; COMPUTE_PGM_RSRC2:TGID_Z_EN: 0
; COMPUTE_PGM_RSRC2:TIDIG_COMP_CNT: 0
	.section	.text._ZN7rocprim17ROCPRIM_400000_NS6detail17trampoline_kernelINS0_14default_configENS1_25partition_config_selectorILNS1_17partition_subalgoE6EyNS0_10empty_typeEbEEZZNS1_14partition_implILS5_6ELb0ES3_mN6thrust23THRUST_200600_302600_NS6detail15normal_iteratorINSA_10device_ptrIyEEEEPS6_SG_NS0_5tupleIJSF_S6_EEENSH_IJSG_SG_EEES6_PlJNSB_9not_fun_tINSB_10functional5actorINSM_9compositeIJNSM_27transparent_binary_operatorINSA_8equal_toIvEEEENSN_INSM_8argumentILj0EEEEENSM_5valueIyEEEEEEEEEEEE10hipError_tPvRmT3_T4_T5_T6_T7_T9_mT8_P12ihipStream_tbDpT10_ENKUlT_T0_E_clISt17integral_constantIbLb0EES1K_EEDaS1F_S1G_EUlS1F_E_NS1_11comp_targetILNS1_3genE0ELNS1_11target_archE4294967295ELNS1_3gpuE0ELNS1_3repE0EEENS1_30default_config_static_selectorELNS0_4arch9wavefront6targetE0EEEvT1_,"axG",@progbits,_ZN7rocprim17ROCPRIM_400000_NS6detail17trampoline_kernelINS0_14default_configENS1_25partition_config_selectorILNS1_17partition_subalgoE6EyNS0_10empty_typeEbEEZZNS1_14partition_implILS5_6ELb0ES3_mN6thrust23THRUST_200600_302600_NS6detail15normal_iteratorINSA_10device_ptrIyEEEEPS6_SG_NS0_5tupleIJSF_S6_EEENSH_IJSG_SG_EEES6_PlJNSB_9not_fun_tINSB_10functional5actorINSM_9compositeIJNSM_27transparent_binary_operatorINSA_8equal_toIvEEEENSN_INSM_8argumentILj0EEEEENSM_5valueIyEEEEEEEEEEEE10hipError_tPvRmT3_T4_T5_T6_T7_T9_mT8_P12ihipStream_tbDpT10_ENKUlT_T0_E_clISt17integral_constantIbLb0EES1K_EEDaS1F_S1G_EUlS1F_E_NS1_11comp_targetILNS1_3genE0ELNS1_11target_archE4294967295ELNS1_3gpuE0ELNS1_3repE0EEENS1_30default_config_static_selectorELNS0_4arch9wavefront6targetE0EEEvT1_,comdat
	.protected	_ZN7rocprim17ROCPRIM_400000_NS6detail17trampoline_kernelINS0_14default_configENS1_25partition_config_selectorILNS1_17partition_subalgoE6EyNS0_10empty_typeEbEEZZNS1_14partition_implILS5_6ELb0ES3_mN6thrust23THRUST_200600_302600_NS6detail15normal_iteratorINSA_10device_ptrIyEEEEPS6_SG_NS0_5tupleIJSF_S6_EEENSH_IJSG_SG_EEES6_PlJNSB_9not_fun_tINSB_10functional5actorINSM_9compositeIJNSM_27transparent_binary_operatorINSA_8equal_toIvEEEENSN_INSM_8argumentILj0EEEEENSM_5valueIyEEEEEEEEEEEE10hipError_tPvRmT3_T4_T5_T6_T7_T9_mT8_P12ihipStream_tbDpT10_ENKUlT_T0_E_clISt17integral_constantIbLb0EES1K_EEDaS1F_S1G_EUlS1F_E_NS1_11comp_targetILNS1_3genE0ELNS1_11target_archE4294967295ELNS1_3gpuE0ELNS1_3repE0EEENS1_30default_config_static_selectorELNS0_4arch9wavefront6targetE0EEEvT1_ ; -- Begin function _ZN7rocprim17ROCPRIM_400000_NS6detail17trampoline_kernelINS0_14default_configENS1_25partition_config_selectorILNS1_17partition_subalgoE6EyNS0_10empty_typeEbEEZZNS1_14partition_implILS5_6ELb0ES3_mN6thrust23THRUST_200600_302600_NS6detail15normal_iteratorINSA_10device_ptrIyEEEEPS6_SG_NS0_5tupleIJSF_S6_EEENSH_IJSG_SG_EEES6_PlJNSB_9not_fun_tINSB_10functional5actorINSM_9compositeIJNSM_27transparent_binary_operatorINSA_8equal_toIvEEEENSN_INSM_8argumentILj0EEEEENSM_5valueIyEEEEEEEEEEEE10hipError_tPvRmT3_T4_T5_T6_T7_T9_mT8_P12ihipStream_tbDpT10_ENKUlT_T0_E_clISt17integral_constantIbLb0EES1K_EEDaS1F_S1G_EUlS1F_E_NS1_11comp_targetILNS1_3genE0ELNS1_11target_archE4294967295ELNS1_3gpuE0ELNS1_3repE0EEENS1_30default_config_static_selectorELNS0_4arch9wavefront6targetE0EEEvT1_
	.globl	_ZN7rocprim17ROCPRIM_400000_NS6detail17trampoline_kernelINS0_14default_configENS1_25partition_config_selectorILNS1_17partition_subalgoE6EyNS0_10empty_typeEbEEZZNS1_14partition_implILS5_6ELb0ES3_mN6thrust23THRUST_200600_302600_NS6detail15normal_iteratorINSA_10device_ptrIyEEEEPS6_SG_NS0_5tupleIJSF_S6_EEENSH_IJSG_SG_EEES6_PlJNSB_9not_fun_tINSB_10functional5actorINSM_9compositeIJNSM_27transparent_binary_operatorINSA_8equal_toIvEEEENSN_INSM_8argumentILj0EEEEENSM_5valueIyEEEEEEEEEEEE10hipError_tPvRmT3_T4_T5_T6_T7_T9_mT8_P12ihipStream_tbDpT10_ENKUlT_T0_E_clISt17integral_constantIbLb0EES1K_EEDaS1F_S1G_EUlS1F_E_NS1_11comp_targetILNS1_3genE0ELNS1_11target_archE4294967295ELNS1_3gpuE0ELNS1_3repE0EEENS1_30default_config_static_selectorELNS0_4arch9wavefront6targetE0EEEvT1_
	.p2align	8
	.type	_ZN7rocprim17ROCPRIM_400000_NS6detail17trampoline_kernelINS0_14default_configENS1_25partition_config_selectorILNS1_17partition_subalgoE6EyNS0_10empty_typeEbEEZZNS1_14partition_implILS5_6ELb0ES3_mN6thrust23THRUST_200600_302600_NS6detail15normal_iteratorINSA_10device_ptrIyEEEEPS6_SG_NS0_5tupleIJSF_S6_EEENSH_IJSG_SG_EEES6_PlJNSB_9not_fun_tINSB_10functional5actorINSM_9compositeIJNSM_27transparent_binary_operatorINSA_8equal_toIvEEEENSN_INSM_8argumentILj0EEEEENSM_5valueIyEEEEEEEEEEEE10hipError_tPvRmT3_T4_T5_T6_T7_T9_mT8_P12ihipStream_tbDpT10_ENKUlT_T0_E_clISt17integral_constantIbLb0EES1K_EEDaS1F_S1G_EUlS1F_E_NS1_11comp_targetILNS1_3genE0ELNS1_11target_archE4294967295ELNS1_3gpuE0ELNS1_3repE0EEENS1_30default_config_static_selectorELNS0_4arch9wavefront6targetE0EEEvT1_,@function
_ZN7rocprim17ROCPRIM_400000_NS6detail17trampoline_kernelINS0_14default_configENS1_25partition_config_selectorILNS1_17partition_subalgoE6EyNS0_10empty_typeEbEEZZNS1_14partition_implILS5_6ELb0ES3_mN6thrust23THRUST_200600_302600_NS6detail15normal_iteratorINSA_10device_ptrIyEEEEPS6_SG_NS0_5tupleIJSF_S6_EEENSH_IJSG_SG_EEES6_PlJNSB_9not_fun_tINSB_10functional5actorINSM_9compositeIJNSM_27transparent_binary_operatorINSA_8equal_toIvEEEENSN_INSM_8argumentILj0EEEEENSM_5valueIyEEEEEEEEEEEE10hipError_tPvRmT3_T4_T5_T6_T7_T9_mT8_P12ihipStream_tbDpT10_ENKUlT_T0_E_clISt17integral_constantIbLb0EES1K_EEDaS1F_S1G_EUlS1F_E_NS1_11comp_targetILNS1_3genE0ELNS1_11target_archE4294967295ELNS1_3gpuE0ELNS1_3repE0EEENS1_30default_config_static_selectorELNS0_4arch9wavefront6targetE0EEEvT1_: ; @_ZN7rocprim17ROCPRIM_400000_NS6detail17trampoline_kernelINS0_14default_configENS1_25partition_config_selectorILNS1_17partition_subalgoE6EyNS0_10empty_typeEbEEZZNS1_14partition_implILS5_6ELb0ES3_mN6thrust23THRUST_200600_302600_NS6detail15normal_iteratorINSA_10device_ptrIyEEEEPS6_SG_NS0_5tupleIJSF_S6_EEENSH_IJSG_SG_EEES6_PlJNSB_9not_fun_tINSB_10functional5actorINSM_9compositeIJNSM_27transparent_binary_operatorINSA_8equal_toIvEEEENSN_INSM_8argumentILj0EEEEENSM_5valueIyEEEEEEEEEEEE10hipError_tPvRmT3_T4_T5_T6_T7_T9_mT8_P12ihipStream_tbDpT10_ENKUlT_T0_E_clISt17integral_constantIbLb0EES1K_EEDaS1F_S1G_EUlS1F_E_NS1_11comp_targetILNS1_3genE0ELNS1_11target_archE4294967295ELNS1_3gpuE0ELNS1_3repE0EEENS1_30default_config_static_selectorELNS0_4arch9wavefront6targetE0EEEvT1_
; %bb.0:
	.section	.rodata,"a",@progbits
	.p2align	6, 0x0
	.amdhsa_kernel _ZN7rocprim17ROCPRIM_400000_NS6detail17trampoline_kernelINS0_14default_configENS1_25partition_config_selectorILNS1_17partition_subalgoE6EyNS0_10empty_typeEbEEZZNS1_14partition_implILS5_6ELb0ES3_mN6thrust23THRUST_200600_302600_NS6detail15normal_iteratorINSA_10device_ptrIyEEEEPS6_SG_NS0_5tupleIJSF_S6_EEENSH_IJSG_SG_EEES6_PlJNSB_9not_fun_tINSB_10functional5actorINSM_9compositeIJNSM_27transparent_binary_operatorINSA_8equal_toIvEEEENSN_INSM_8argumentILj0EEEEENSM_5valueIyEEEEEEEEEEEE10hipError_tPvRmT3_T4_T5_T6_T7_T9_mT8_P12ihipStream_tbDpT10_ENKUlT_T0_E_clISt17integral_constantIbLb0EES1K_EEDaS1F_S1G_EUlS1F_E_NS1_11comp_targetILNS1_3genE0ELNS1_11target_archE4294967295ELNS1_3gpuE0ELNS1_3repE0EEENS1_30default_config_static_selectorELNS0_4arch9wavefront6targetE0EEEvT1_
		.amdhsa_group_segment_fixed_size 0
		.amdhsa_private_segment_fixed_size 0
		.amdhsa_kernarg_size 128
		.amdhsa_user_sgpr_count 2
		.amdhsa_user_sgpr_dispatch_ptr 0
		.amdhsa_user_sgpr_queue_ptr 0
		.amdhsa_user_sgpr_kernarg_segment_ptr 1
		.amdhsa_user_sgpr_dispatch_id 0
		.amdhsa_user_sgpr_private_segment_size 0
		.amdhsa_wavefront_size32 1
		.amdhsa_uses_dynamic_stack 0
		.amdhsa_enable_private_segment 0
		.amdhsa_system_sgpr_workgroup_id_x 1
		.amdhsa_system_sgpr_workgroup_id_y 0
		.amdhsa_system_sgpr_workgroup_id_z 0
		.amdhsa_system_sgpr_workgroup_info 0
		.amdhsa_system_vgpr_workitem_id 0
		.amdhsa_next_free_vgpr 1
		.amdhsa_next_free_sgpr 1
		.amdhsa_reserve_vcc 0
		.amdhsa_float_round_mode_32 0
		.amdhsa_float_round_mode_16_64 0
		.amdhsa_float_denorm_mode_32 3
		.amdhsa_float_denorm_mode_16_64 3
		.amdhsa_fp16_overflow 0
		.amdhsa_workgroup_processor_mode 1
		.amdhsa_memory_ordered 1
		.amdhsa_forward_progress 1
		.amdhsa_inst_pref_size 0
		.amdhsa_round_robin_scheduling 0
		.amdhsa_exception_fp_ieee_invalid_op 0
		.amdhsa_exception_fp_denorm_src 0
		.amdhsa_exception_fp_ieee_div_zero 0
		.amdhsa_exception_fp_ieee_overflow 0
		.amdhsa_exception_fp_ieee_underflow 0
		.amdhsa_exception_fp_ieee_inexact 0
		.amdhsa_exception_int_div_zero 0
	.end_amdhsa_kernel
	.section	.text._ZN7rocprim17ROCPRIM_400000_NS6detail17trampoline_kernelINS0_14default_configENS1_25partition_config_selectorILNS1_17partition_subalgoE6EyNS0_10empty_typeEbEEZZNS1_14partition_implILS5_6ELb0ES3_mN6thrust23THRUST_200600_302600_NS6detail15normal_iteratorINSA_10device_ptrIyEEEEPS6_SG_NS0_5tupleIJSF_S6_EEENSH_IJSG_SG_EEES6_PlJNSB_9not_fun_tINSB_10functional5actorINSM_9compositeIJNSM_27transparent_binary_operatorINSA_8equal_toIvEEEENSN_INSM_8argumentILj0EEEEENSM_5valueIyEEEEEEEEEEEE10hipError_tPvRmT3_T4_T5_T6_T7_T9_mT8_P12ihipStream_tbDpT10_ENKUlT_T0_E_clISt17integral_constantIbLb0EES1K_EEDaS1F_S1G_EUlS1F_E_NS1_11comp_targetILNS1_3genE0ELNS1_11target_archE4294967295ELNS1_3gpuE0ELNS1_3repE0EEENS1_30default_config_static_selectorELNS0_4arch9wavefront6targetE0EEEvT1_,"axG",@progbits,_ZN7rocprim17ROCPRIM_400000_NS6detail17trampoline_kernelINS0_14default_configENS1_25partition_config_selectorILNS1_17partition_subalgoE6EyNS0_10empty_typeEbEEZZNS1_14partition_implILS5_6ELb0ES3_mN6thrust23THRUST_200600_302600_NS6detail15normal_iteratorINSA_10device_ptrIyEEEEPS6_SG_NS0_5tupleIJSF_S6_EEENSH_IJSG_SG_EEES6_PlJNSB_9not_fun_tINSB_10functional5actorINSM_9compositeIJNSM_27transparent_binary_operatorINSA_8equal_toIvEEEENSN_INSM_8argumentILj0EEEEENSM_5valueIyEEEEEEEEEEEE10hipError_tPvRmT3_T4_T5_T6_T7_T9_mT8_P12ihipStream_tbDpT10_ENKUlT_T0_E_clISt17integral_constantIbLb0EES1K_EEDaS1F_S1G_EUlS1F_E_NS1_11comp_targetILNS1_3genE0ELNS1_11target_archE4294967295ELNS1_3gpuE0ELNS1_3repE0EEENS1_30default_config_static_selectorELNS0_4arch9wavefront6targetE0EEEvT1_,comdat
.Lfunc_end80:
	.size	_ZN7rocprim17ROCPRIM_400000_NS6detail17trampoline_kernelINS0_14default_configENS1_25partition_config_selectorILNS1_17partition_subalgoE6EyNS0_10empty_typeEbEEZZNS1_14partition_implILS5_6ELb0ES3_mN6thrust23THRUST_200600_302600_NS6detail15normal_iteratorINSA_10device_ptrIyEEEEPS6_SG_NS0_5tupleIJSF_S6_EEENSH_IJSG_SG_EEES6_PlJNSB_9not_fun_tINSB_10functional5actorINSM_9compositeIJNSM_27transparent_binary_operatorINSA_8equal_toIvEEEENSN_INSM_8argumentILj0EEEEENSM_5valueIyEEEEEEEEEEEE10hipError_tPvRmT3_T4_T5_T6_T7_T9_mT8_P12ihipStream_tbDpT10_ENKUlT_T0_E_clISt17integral_constantIbLb0EES1K_EEDaS1F_S1G_EUlS1F_E_NS1_11comp_targetILNS1_3genE0ELNS1_11target_archE4294967295ELNS1_3gpuE0ELNS1_3repE0EEENS1_30default_config_static_selectorELNS0_4arch9wavefront6targetE0EEEvT1_, .Lfunc_end80-_ZN7rocprim17ROCPRIM_400000_NS6detail17trampoline_kernelINS0_14default_configENS1_25partition_config_selectorILNS1_17partition_subalgoE6EyNS0_10empty_typeEbEEZZNS1_14partition_implILS5_6ELb0ES3_mN6thrust23THRUST_200600_302600_NS6detail15normal_iteratorINSA_10device_ptrIyEEEEPS6_SG_NS0_5tupleIJSF_S6_EEENSH_IJSG_SG_EEES6_PlJNSB_9not_fun_tINSB_10functional5actorINSM_9compositeIJNSM_27transparent_binary_operatorINSA_8equal_toIvEEEENSN_INSM_8argumentILj0EEEEENSM_5valueIyEEEEEEEEEEEE10hipError_tPvRmT3_T4_T5_T6_T7_T9_mT8_P12ihipStream_tbDpT10_ENKUlT_T0_E_clISt17integral_constantIbLb0EES1K_EEDaS1F_S1G_EUlS1F_E_NS1_11comp_targetILNS1_3genE0ELNS1_11target_archE4294967295ELNS1_3gpuE0ELNS1_3repE0EEENS1_30default_config_static_selectorELNS0_4arch9wavefront6targetE0EEEvT1_
                                        ; -- End function
	.set _ZN7rocprim17ROCPRIM_400000_NS6detail17trampoline_kernelINS0_14default_configENS1_25partition_config_selectorILNS1_17partition_subalgoE6EyNS0_10empty_typeEbEEZZNS1_14partition_implILS5_6ELb0ES3_mN6thrust23THRUST_200600_302600_NS6detail15normal_iteratorINSA_10device_ptrIyEEEEPS6_SG_NS0_5tupleIJSF_S6_EEENSH_IJSG_SG_EEES6_PlJNSB_9not_fun_tINSB_10functional5actorINSM_9compositeIJNSM_27transparent_binary_operatorINSA_8equal_toIvEEEENSN_INSM_8argumentILj0EEEEENSM_5valueIyEEEEEEEEEEEE10hipError_tPvRmT3_T4_T5_T6_T7_T9_mT8_P12ihipStream_tbDpT10_ENKUlT_T0_E_clISt17integral_constantIbLb0EES1K_EEDaS1F_S1G_EUlS1F_E_NS1_11comp_targetILNS1_3genE0ELNS1_11target_archE4294967295ELNS1_3gpuE0ELNS1_3repE0EEENS1_30default_config_static_selectorELNS0_4arch9wavefront6targetE0EEEvT1_.num_vgpr, 0
	.set _ZN7rocprim17ROCPRIM_400000_NS6detail17trampoline_kernelINS0_14default_configENS1_25partition_config_selectorILNS1_17partition_subalgoE6EyNS0_10empty_typeEbEEZZNS1_14partition_implILS5_6ELb0ES3_mN6thrust23THRUST_200600_302600_NS6detail15normal_iteratorINSA_10device_ptrIyEEEEPS6_SG_NS0_5tupleIJSF_S6_EEENSH_IJSG_SG_EEES6_PlJNSB_9not_fun_tINSB_10functional5actorINSM_9compositeIJNSM_27transparent_binary_operatorINSA_8equal_toIvEEEENSN_INSM_8argumentILj0EEEEENSM_5valueIyEEEEEEEEEEEE10hipError_tPvRmT3_T4_T5_T6_T7_T9_mT8_P12ihipStream_tbDpT10_ENKUlT_T0_E_clISt17integral_constantIbLb0EES1K_EEDaS1F_S1G_EUlS1F_E_NS1_11comp_targetILNS1_3genE0ELNS1_11target_archE4294967295ELNS1_3gpuE0ELNS1_3repE0EEENS1_30default_config_static_selectorELNS0_4arch9wavefront6targetE0EEEvT1_.num_agpr, 0
	.set _ZN7rocprim17ROCPRIM_400000_NS6detail17trampoline_kernelINS0_14default_configENS1_25partition_config_selectorILNS1_17partition_subalgoE6EyNS0_10empty_typeEbEEZZNS1_14partition_implILS5_6ELb0ES3_mN6thrust23THRUST_200600_302600_NS6detail15normal_iteratorINSA_10device_ptrIyEEEEPS6_SG_NS0_5tupleIJSF_S6_EEENSH_IJSG_SG_EEES6_PlJNSB_9not_fun_tINSB_10functional5actorINSM_9compositeIJNSM_27transparent_binary_operatorINSA_8equal_toIvEEEENSN_INSM_8argumentILj0EEEEENSM_5valueIyEEEEEEEEEEEE10hipError_tPvRmT3_T4_T5_T6_T7_T9_mT8_P12ihipStream_tbDpT10_ENKUlT_T0_E_clISt17integral_constantIbLb0EES1K_EEDaS1F_S1G_EUlS1F_E_NS1_11comp_targetILNS1_3genE0ELNS1_11target_archE4294967295ELNS1_3gpuE0ELNS1_3repE0EEENS1_30default_config_static_selectorELNS0_4arch9wavefront6targetE0EEEvT1_.numbered_sgpr, 0
	.set _ZN7rocprim17ROCPRIM_400000_NS6detail17trampoline_kernelINS0_14default_configENS1_25partition_config_selectorILNS1_17partition_subalgoE6EyNS0_10empty_typeEbEEZZNS1_14partition_implILS5_6ELb0ES3_mN6thrust23THRUST_200600_302600_NS6detail15normal_iteratorINSA_10device_ptrIyEEEEPS6_SG_NS0_5tupleIJSF_S6_EEENSH_IJSG_SG_EEES6_PlJNSB_9not_fun_tINSB_10functional5actorINSM_9compositeIJNSM_27transparent_binary_operatorINSA_8equal_toIvEEEENSN_INSM_8argumentILj0EEEEENSM_5valueIyEEEEEEEEEEEE10hipError_tPvRmT3_T4_T5_T6_T7_T9_mT8_P12ihipStream_tbDpT10_ENKUlT_T0_E_clISt17integral_constantIbLb0EES1K_EEDaS1F_S1G_EUlS1F_E_NS1_11comp_targetILNS1_3genE0ELNS1_11target_archE4294967295ELNS1_3gpuE0ELNS1_3repE0EEENS1_30default_config_static_selectorELNS0_4arch9wavefront6targetE0EEEvT1_.num_named_barrier, 0
	.set _ZN7rocprim17ROCPRIM_400000_NS6detail17trampoline_kernelINS0_14default_configENS1_25partition_config_selectorILNS1_17partition_subalgoE6EyNS0_10empty_typeEbEEZZNS1_14partition_implILS5_6ELb0ES3_mN6thrust23THRUST_200600_302600_NS6detail15normal_iteratorINSA_10device_ptrIyEEEEPS6_SG_NS0_5tupleIJSF_S6_EEENSH_IJSG_SG_EEES6_PlJNSB_9not_fun_tINSB_10functional5actorINSM_9compositeIJNSM_27transparent_binary_operatorINSA_8equal_toIvEEEENSN_INSM_8argumentILj0EEEEENSM_5valueIyEEEEEEEEEEEE10hipError_tPvRmT3_T4_T5_T6_T7_T9_mT8_P12ihipStream_tbDpT10_ENKUlT_T0_E_clISt17integral_constantIbLb0EES1K_EEDaS1F_S1G_EUlS1F_E_NS1_11comp_targetILNS1_3genE0ELNS1_11target_archE4294967295ELNS1_3gpuE0ELNS1_3repE0EEENS1_30default_config_static_selectorELNS0_4arch9wavefront6targetE0EEEvT1_.private_seg_size, 0
	.set _ZN7rocprim17ROCPRIM_400000_NS6detail17trampoline_kernelINS0_14default_configENS1_25partition_config_selectorILNS1_17partition_subalgoE6EyNS0_10empty_typeEbEEZZNS1_14partition_implILS5_6ELb0ES3_mN6thrust23THRUST_200600_302600_NS6detail15normal_iteratorINSA_10device_ptrIyEEEEPS6_SG_NS0_5tupleIJSF_S6_EEENSH_IJSG_SG_EEES6_PlJNSB_9not_fun_tINSB_10functional5actorINSM_9compositeIJNSM_27transparent_binary_operatorINSA_8equal_toIvEEEENSN_INSM_8argumentILj0EEEEENSM_5valueIyEEEEEEEEEEEE10hipError_tPvRmT3_T4_T5_T6_T7_T9_mT8_P12ihipStream_tbDpT10_ENKUlT_T0_E_clISt17integral_constantIbLb0EES1K_EEDaS1F_S1G_EUlS1F_E_NS1_11comp_targetILNS1_3genE0ELNS1_11target_archE4294967295ELNS1_3gpuE0ELNS1_3repE0EEENS1_30default_config_static_selectorELNS0_4arch9wavefront6targetE0EEEvT1_.uses_vcc, 0
	.set _ZN7rocprim17ROCPRIM_400000_NS6detail17trampoline_kernelINS0_14default_configENS1_25partition_config_selectorILNS1_17partition_subalgoE6EyNS0_10empty_typeEbEEZZNS1_14partition_implILS5_6ELb0ES3_mN6thrust23THRUST_200600_302600_NS6detail15normal_iteratorINSA_10device_ptrIyEEEEPS6_SG_NS0_5tupleIJSF_S6_EEENSH_IJSG_SG_EEES6_PlJNSB_9not_fun_tINSB_10functional5actorINSM_9compositeIJNSM_27transparent_binary_operatorINSA_8equal_toIvEEEENSN_INSM_8argumentILj0EEEEENSM_5valueIyEEEEEEEEEEEE10hipError_tPvRmT3_T4_T5_T6_T7_T9_mT8_P12ihipStream_tbDpT10_ENKUlT_T0_E_clISt17integral_constantIbLb0EES1K_EEDaS1F_S1G_EUlS1F_E_NS1_11comp_targetILNS1_3genE0ELNS1_11target_archE4294967295ELNS1_3gpuE0ELNS1_3repE0EEENS1_30default_config_static_selectorELNS0_4arch9wavefront6targetE0EEEvT1_.uses_flat_scratch, 0
	.set _ZN7rocprim17ROCPRIM_400000_NS6detail17trampoline_kernelINS0_14default_configENS1_25partition_config_selectorILNS1_17partition_subalgoE6EyNS0_10empty_typeEbEEZZNS1_14partition_implILS5_6ELb0ES3_mN6thrust23THRUST_200600_302600_NS6detail15normal_iteratorINSA_10device_ptrIyEEEEPS6_SG_NS0_5tupleIJSF_S6_EEENSH_IJSG_SG_EEES6_PlJNSB_9not_fun_tINSB_10functional5actorINSM_9compositeIJNSM_27transparent_binary_operatorINSA_8equal_toIvEEEENSN_INSM_8argumentILj0EEEEENSM_5valueIyEEEEEEEEEEEE10hipError_tPvRmT3_T4_T5_T6_T7_T9_mT8_P12ihipStream_tbDpT10_ENKUlT_T0_E_clISt17integral_constantIbLb0EES1K_EEDaS1F_S1G_EUlS1F_E_NS1_11comp_targetILNS1_3genE0ELNS1_11target_archE4294967295ELNS1_3gpuE0ELNS1_3repE0EEENS1_30default_config_static_selectorELNS0_4arch9wavefront6targetE0EEEvT1_.has_dyn_sized_stack, 0
	.set _ZN7rocprim17ROCPRIM_400000_NS6detail17trampoline_kernelINS0_14default_configENS1_25partition_config_selectorILNS1_17partition_subalgoE6EyNS0_10empty_typeEbEEZZNS1_14partition_implILS5_6ELb0ES3_mN6thrust23THRUST_200600_302600_NS6detail15normal_iteratorINSA_10device_ptrIyEEEEPS6_SG_NS0_5tupleIJSF_S6_EEENSH_IJSG_SG_EEES6_PlJNSB_9not_fun_tINSB_10functional5actorINSM_9compositeIJNSM_27transparent_binary_operatorINSA_8equal_toIvEEEENSN_INSM_8argumentILj0EEEEENSM_5valueIyEEEEEEEEEEEE10hipError_tPvRmT3_T4_T5_T6_T7_T9_mT8_P12ihipStream_tbDpT10_ENKUlT_T0_E_clISt17integral_constantIbLb0EES1K_EEDaS1F_S1G_EUlS1F_E_NS1_11comp_targetILNS1_3genE0ELNS1_11target_archE4294967295ELNS1_3gpuE0ELNS1_3repE0EEENS1_30default_config_static_selectorELNS0_4arch9wavefront6targetE0EEEvT1_.has_recursion, 0
	.set _ZN7rocprim17ROCPRIM_400000_NS6detail17trampoline_kernelINS0_14default_configENS1_25partition_config_selectorILNS1_17partition_subalgoE6EyNS0_10empty_typeEbEEZZNS1_14partition_implILS5_6ELb0ES3_mN6thrust23THRUST_200600_302600_NS6detail15normal_iteratorINSA_10device_ptrIyEEEEPS6_SG_NS0_5tupleIJSF_S6_EEENSH_IJSG_SG_EEES6_PlJNSB_9not_fun_tINSB_10functional5actorINSM_9compositeIJNSM_27transparent_binary_operatorINSA_8equal_toIvEEEENSN_INSM_8argumentILj0EEEEENSM_5valueIyEEEEEEEEEEEE10hipError_tPvRmT3_T4_T5_T6_T7_T9_mT8_P12ihipStream_tbDpT10_ENKUlT_T0_E_clISt17integral_constantIbLb0EES1K_EEDaS1F_S1G_EUlS1F_E_NS1_11comp_targetILNS1_3genE0ELNS1_11target_archE4294967295ELNS1_3gpuE0ELNS1_3repE0EEENS1_30default_config_static_selectorELNS0_4arch9wavefront6targetE0EEEvT1_.has_indirect_call, 0
	.section	.AMDGPU.csdata,"",@progbits
; Kernel info:
; codeLenInByte = 0
; TotalNumSgprs: 0
; NumVgprs: 0
; ScratchSize: 0
; MemoryBound: 0
; FloatMode: 240
; IeeeMode: 1
; LDSByteSize: 0 bytes/workgroup (compile time only)
; SGPRBlocks: 0
; VGPRBlocks: 0
; NumSGPRsForWavesPerEU: 1
; NumVGPRsForWavesPerEU: 1
; Occupancy: 16
; WaveLimiterHint : 0
; COMPUTE_PGM_RSRC2:SCRATCH_EN: 0
; COMPUTE_PGM_RSRC2:USER_SGPR: 2
; COMPUTE_PGM_RSRC2:TRAP_HANDLER: 0
; COMPUTE_PGM_RSRC2:TGID_X_EN: 1
; COMPUTE_PGM_RSRC2:TGID_Y_EN: 0
; COMPUTE_PGM_RSRC2:TGID_Z_EN: 0
; COMPUTE_PGM_RSRC2:TIDIG_COMP_CNT: 0
	.section	.text._ZN7rocprim17ROCPRIM_400000_NS6detail17trampoline_kernelINS0_14default_configENS1_25partition_config_selectorILNS1_17partition_subalgoE6EyNS0_10empty_typeEbEEZZNS1_14partition_implILS5_6ELb0ES3_mN6thrust23THRUST_200600_302600_NS6detail15normal_iteratorINSA_10device_ptrIyEEEEPS6_SG_NS0_5tupleIJSF_S6_EEENSH_IJSG_SG_EEES6_PlJNSB_9not_fun_tINSB_10functional5actorINSM_9compositeIJNSM_27transparent_binary_operatorINSA_8equal_toIvEEEENSN_INSM_8argumentILj0EEEEENSM_5valueIyEEEEEEEEEEEE10hipError_tPvRmT3_T4_T5_T6_T7_T9_mT8_P12ihipStream_tbDpT10_ENKUlT_T0_E_clISt17integral_constantIbLb0EES1K_EEDaS1F_S1G_EUlS1F_E_NS1_11comp_targetILNS1_3genE5ELNS1_11target_archE942ELNS1_3gpuE9ELNS1_3repE0EEENS1_30default_config_static_selectorELNS0_4arch9wavefront6targetE0EEEvT1_,"axG",@progbits,_ZN7rocprim17ROCPRIM_400000_NS6detail17trampoline_kernelINS0_14default_configENS1_25partition_config_selectorILNS1_17partition_subalgoE6EyNS0_10empty_typeEbEEZZNS1_14partition_implILS5_6ELb0ES3_mN6thrust23THRUST_200600_302600_NS6detail15normal_iteratorINSA_10device_ptrIyEEEEPS6_SG_NS0_5tupleIJSF_S6_EEENSH_IJSG_SG_EEES6_PlJNSB_9not_fun_tINSB_10functional5actorINSM_9compositeIJNSM_27transparent_binary_operatorINSA_8equal_toIvEEEENSN_INSM_8argumentILj0EEEEENSM_5valueIyEEEEEEEEEEEE10hipError_tPvRmT3_T4_T5_T6_T7_T9_mT8_P12ihipStream_tbDpT10_ENKUlT_T0_E_clISt17integral_constantIbLb0EES1K_EEDaS1F_S1G_EUlS1F_E_NS1_11comp_targetILNS1_3genE5ELNS1_11target_archE942ELNS1_3gpuE9ELNS1_3repE0EEENS1_30default_config_static_selectorELNS0_4arch9wavefront6targetE0EEEvT1_,comdat
	.protected	_ZN7rocprim17ROCPRIM_400000_NS6detail17trampoline_kernelINS0_14default_configENS1_25partition_config_selectorILNS1_17partition_subalgoE6EyNS0_10empty_typeEbEEZZNS1_14partition_implILS5_6ELb0ES3_mN6thrust23THRUST_200600_302600_NS6detail15normal_iteratorINSA_10device_ptrIyEEEEPS6_SG_NS0_5tupleIJSF_S6_EEENSH_IJSG_SG_EEES6_PlJNSB_9not_fun_tINSB_10functional5actorINSM_9compositeIJNSM_27transparent_binary_operatorINSA_8equal_toIvEEEENSN_INSM_8argumentILj0EEEEENSM_5valueIyEEEEEEEEEEEE10hipError_tPvRmT3_T4_T5_T6_T7_T9_mT8_P12ihipStream_tbDpT10_ENKUlT_T0_E_clISt17integral_constantIbLb0EES1K_EEDaS1F_S1G_EUlS1F_E_NS1_11comp_targetILNS1_3genE5ELNS1_11target_archE942ELNS1_3gpuE9ELNS1_3repE0EEENS1_30default_config_static_selectorELNS0_4arch9wavefront6targetE0EEEvT1_ ; -- Begin function _ZN7rocprim17ROCPRIM_400000_NS6detail17trampoline_kernelINS0_14default_configENS1_25partition_config_selectorILNS1_17partition_subalgoE6EyNS0_10empty_typeEbEEZZNS1_14partition_implILS5_6ELb0ES3_mN6thrust23THRUST_200600_302600_NS6detail15normal_iteratorINSA_10device_ptrIyEEEEPS6_SG_NS0_5tupleIJSF_S6_EEENSH_IJSG_SG_EEES6_PlJNSB_9not_fun_tINSB_10functional5actorINSM_9compositeIJNSM_27transparent_binary_operatorINSA_8equal_toIvEEEENSN_INSM_8argumentILj0EEEEENSM_5valueIyEEEEEEEEEEEE10hipError_tPvRmT3_T4_T5_T6_T7_T9_mT8_P12ihipStream_tbDpT10_ENKUlT_T0_E_clISt17integral_constantIbLb0EES1K_EEDaS1F_S1G_EUlS1F_E_NS1_11comp_targetILNS1_3genE5ELNS1_11target_archE942ELNS1_3gpuE9ELNS1_3repE0EEENS1_30default_config_static_selectorELNS0_4arch9wavefront6targetE0EEEvT1_
	.globl	_ZN7rocprim17ROCPRIM_400000_NS6detail17trampoline_kernelINS0_14default_configENS1_25partition_config_selectorILNS1_17partition_subalgoE6EyNS0_10empty_typeEbEEZZNS1_14partition_implILS5_6ELb0ES3_mN6thrust23THRUST_200600_302600_NS6detail15normal_iteratorINSA_10device_ptrIyEEEEPS6_SG_NS0_5tupleIJSF_S6_EEENSH_IJSG_SG_EEES6_PlJNSB_9not_fun_tINSB_10functional5actorINSM_9compositeIJNSM_27transparent_binary_operatorINSA_8equal_toIvEEEENSN_INSM_8argumentILj0EEEEENSM_5valueIyEEEEEEEEEEEE10hipError_tPvRmT3_T4_T5_T6_T7_T9_mT8_P12ihipStream_tbDpT10_ENKUlT_T0_E_clISt17integral_constantIbLb0EES1K_EEDaS1F_S1G_EUlS1F_E_NS1_11comp_targetILNS1_3genE5ELNS1_11target_archE942ELNS1_3gpuE9ELNS1_3repE0EEENS1_30default_config_static_selectorELNS0_4arch9wavefront6targetE0EEEvT1_
	.p2align	8
	.type	_ZN7rocprim17ROCPRIM_400000_NS6detail17trampoline_kernelINS0_14default_configENS1_25partition_config_selectorILNS1_17partition_subalgoE6EyNS0_10empty_typeEbEEZZNS1_14partition_implILS5_6ELb0ES3_mN6thrust23THRUST_200600_302600_NS6detail15normal_iteratorINSA_10device_ptrIyEEEEPS6_SG_NS0_5tupleIJSF_S6_EEENSH_IJSG_SG_EEES6_PlJNSB_9not_fun_tINSB_10functional5actorINSM_9compositeIJNSM_27transparent_binary_operatorINSA_8equal_toIvEEEENSN_INSM_8argumentILj0EEEEENSM_5valueIyEEEEEEEEEEEE10hipError_tPvRmT3_T4_T5_T6_T7_T9_mT8_P12ihipStream_tbDpT10_ENKUlT_T0_E_clISt17integral_constantIbLb0EES1K_EEDaS1F_S1G_EUlS1F_E_NS1_11comp_targetILNS1_3genE5ELNS1_11target_archE942ELNS1_3gpuE9ELNS1_3repE0EEENS1_30default_config_static_selectorELNS0_4arch9wavefront6targetE0EEEvT1_,@function
_ZN7rocprim17ROCPRIM_400000_NS6detail17trampoline_kernelINS0_14default_configENS1_25partition_config_selectorILNS1_17partition_subalgoE6EyNS0_10empty_typeEbEEZZNS1_14partition_implILS5_6ELb0ES3_mN6thrust23THRUST_200600_302600_NS6detail15normal_iteratorINSA_10device_ptrIyEEEEPS6_SG_NS0_5tupleIJSF_S6_EEENSH_IJSG_SG_EEES6_PlJNSB_9not_fun_tINSB_10functional5actorINSM_9compositeIJNSM_27transparent_binary_operatorINSA_8equal_toIvEEEENSN_INSM_8argumentILj0EEEEENSM_5valueIyEEEEEEEEEEEE10hipError_tPvRmT3_T4_T5_T6_T7_T9_mT8_P12ihipStream_tbDpT10_ENKUlT_T0_E_clISt17integral_constantIbLb0EES1K_EEDaS1F_S1G_EUlS1F_E_NS1_11comp_targetILNS1_3genE5ELNS1_11target_archE942ELNS1_3gpuE9ELNS1_3repE0EEENS1_30default_config_static_selectorELNS0_4arch9wavefront6targetE0EEEvT1_: ; @_ZN7rocprim17ROCPRIM_400000_NS6detail17trampoline_kernelINS0_14default_configENS1_25partition_config_selectorILNS1_17partition_subalgoE6EyNS0_10empty_typeEbEEZZNS1_14partition_implILS5_6ELb0ES3_mN6thrust23THRUST_200600_302600_NS6detail15normal_iteratorINSA_10device_ptrIyEEEEPS6_SG_NS0_5tupleIJSF_S6_EEENSH_IJSG_SG_EEES6_PlJNSB_9not_fun_tINSB_10functional5actorINSM_9compositeIJNSM_27transparent_binary_operatorINSA_8equal_toIvEEEENSN_INSM_8argumentILj0EEEEENSM_5valueIyEEEEEEEEEEEE10hipError_tPvRmT3_T4_T5_T6_T7_T9_mT8_P12ihipStream_tbDpT10_ENKUlT_T0_E_clISt17integral_constantIbLb0EES1K_EEDaS1F_S1G_EUlS1F_E_NS1_11comp_targetILNS1_3genE5ELNS1_11target_archE942ELNS1_3gpuE9ELNS1_3repE0EEENS1_30default_config_static_selectorELNS0_4arch9wavefront6targetE0EEEvT1_
; %bb.0:
	.section	.rodata,"a",@progbits
	.p2align	6, 0x0
	.amdhsa_kernel _ZN7rocprim17ROCPRIM_400000_NS6detail17trampoline_kernelINS0_14default_configENS1_25partition_config_selectorILNS1_17partition_subalgoE6EyNS0_10empty_typeEbEEZZNS1_14partition_implILS5_6ELb0ES3_mN6thrust23THRUST_200600_302600_NS6detail15normal_iteratorINSA_10device_ptrIyEEEEPS6_SG_NS0_5tupleIJSF_S6_EEENSH_IJSG_SG_EEES6_PlJNSB_9not_fun_tINSB_10functional5actorINSM_9compositeIJNSM_27transparent_binary_operatorINSA_8equal_toIvEEEENSN_INSM_8argumentILj0EEEEENSM_5valueIyEEEEEEEEEEEE10hipError_tPvRmT3_T4_T5_T6_T7_T9_mT8_P12ihipStream_tbDpT10_ENKUlT_T0_E_clISt17integral_constantIbLb0EES1K_EEDaS1F_S1G_EUlS1F_E_NS1_11comp_targetILNS1_3genE5ELNS1_11target_archE942ELNS1_3gpuE9ELNS1_3repE0EEENS1_30default_config_static_selectorELNS0_4arch9wavefront6targetE0EEEvT1_
		.amdhsa_group_segment_fixed_size 0
		.amdhsa_private_segment_fixed_size 0
		.amdhsa_kernarg_size 128
		.amdhsa_user_sgpr_count 2
		.amdhsa_user_sgpr_dispatch_ptr 0
		.amdhsa_user_sgpr_queue_ptr 0
		.amdhsa_user_sgpr_kernarg_segment_ptr 1
		.amdhsa_user_sgpr_dispatch_id 0
		.amdhsa_user_sgpr_private_segment_size 0
		.amdhsa_wavefront_size32 1
		.amdhsa_uses_dynamic_stack 0
		.amdhsa_enable_private_segment 0
		.amdhsa_system_sgpr_workgroup_id_x 1
		.amdhsa_system_sgpr_workgroup_id_y 0
		.amdhsa_system_sgpr_workgroup_id_z 0
		.amdhsa_system_sgpr_workgroup_info 0
		.amdhsa_system_vgpr_workitem_id 0
		.amdhsa_next_free_vgpr 1
		.amdhsa_next_free_sgpr 1
		.amdhsa_reserve_vcc 0
		.amdhsa_float_round_mode_32 0
		.amdhsa_float_round_mode_16_64 0
		.amdhsa_float_denorm_mode_32 3
		.amdhsa_float_denorm_mode_16_64 3
		.amdhsa_fp16_overflow 0
		.amdhsa_workgroup_processor_mode 1
		.amdhsa_memory_ordered 1
		.amdhsa_forward_progress 1
		.amdhsa_inst_pref_size 0
		.amdhsa_round_robin_scheduling 0
		.amdhsa_exception_fp_ieee_invalid_op 0
		.amdhsa_exception_fp_denorm_src 0
		.amdhsa_exception_fp_ieee_div_zero 0
		.amdhsa_exception_fp_ieee_overflow 0
		.amdhsa_exception_fp_ieee_underflow 0
		.amdhsa_exception_fp_ieee_inexact 0
		.amdhsa_exception_int_div_zero 0
	.end_amdhsa_kernel
	.section	.text._ZN7rocprim17ROCPRIM_400000_NS6detail17trampoline_kernelINS0_14default_configENS1_25partition_config_selectorILNS1_17partition_subalgoE6EyNS0_10empty_typeEbEEZZNS1_14partition_implILS5_6ELb0ES3_mN6thrust23THRUST_200600_302600_NS6detail15normal_iteratorINSA_10device_ptrIyEEEEPS6_SG_NS0_5tupleIJSF_S6_EEENSH_IJSG_SG_EEES6_PlJNSB_9not_fun_tINSB_10functional5actorINSM_9compositeIJNSM_27transparent_binary_operatorINSA_8equal_toIvEEEENSN_INSM_8argumentILj0EEEEENSM_5valueIyEEEEEEEEEEEE10hipError_tPvRmT3_T4_T5_T6_T7_T9_mT8_P12ihipStream_tbDpT10_ENKUlT_T0_E_clISt17integral_constantIbLb0EES1K_EEDaS1F_S1G_EUlS1F_E_NS1_11comp_targetILNS1_3genE5ELNS1_11target_archE942ELNS1_3gpuE9ELNS1_3repE0EEENS1_30default_config_static_selectorELNS0_4arch9wavefront6targetE0EEEvT1_,"axG",@progbits,_ZN7rocprim17ROCPRIM_400000_NS6detail17trampoline_kernelINS0_14default_configENS1_25partition_config_selectorILNS1_17partition_subalgoE6EyNS0_10empty_typeEbEEZZNS1_14partition_implILS5_6ELb0ES3_mN6thrust23THRUST_200600_302600_NS6detail15normal_iteratorINSA_10device_ptrIyEEEEPS6_SG_NS0_5tupleIJSF_S6_EEENSH_IJSG_SG_EEES6_PlJNSB_9not_fun_tINSB_10functional5actorINSM_9compositeIJNSM_27transparent_binary_operatorINSA_8equal_toIvEEEENSN_INSM_8argumentILj0EEEEENSM_5valueIyEEEEEEEEEEEE10hipError_tPvRmT3_T4_T5_T6_T7_T9_mT8_P12ihipStream_tbDpT10_ENKUlT_T0_E_clISt17integral_constantIbLb0EES1K_EEDaS1F_S1G_EUlS1F_E_NS1_11comp_targetILNS1_3genE5ELNS1_11target_archE942ELNS1_3gpuE9ELNS1_3repE0EEENS1_30default_config_static_selectorELNS0_4arch9wavefront6targetE0EEEvT1_,comdat
.Lfunc_end81:
	.size	_ZN7rocprim17ROCPRIM_400000_NS6detail17trampoline_kernelINS0_14default_configENS1_25partition_config_selectorILNS1_17partition_subalgoE6EyNS0_10empty_typeEbEEZZNS1_14partition_implILS5_6ELb0ES3_mN6thrust23THRUST_200600_302600_NS6detail15normal_iteratorINSA_10device_ptrIyEEEEPS6_SG_NS0_5tupleIJSF_S6_EEENSH_IJSG_SG_EEES6_PlJNSB_9not_fun_tINSB_10functional5actorINSM_9compositeIJNSM_27transparent_binary_operatorINSA_8equal_toIvEEEENSN_INSM_8argumentILj0EEEEENSM_5valueIyEEEEEEEEEEEE10hipError_tPvRmT3_T4_T5_T6_T7_T9_mT8_P12ihipStream_tbDpT10_ENKUlT_T0_E_clISt17integral_constantIbLb0EES1K_EEDaS1F_S1G_EUlS1F_E_NS1_11comp_targetILNS1_3genE5ELNS1_11target_archE942ELNS1_3gpuE9ELNS1_3repE0EEENS1_30default_config_static_selectorELNS0_4arch9wavefront6targetE0EEEvT1_, .Lfunc_end81-_ZN7rocprim17ROCPRIM_400000_NS6detail17trampoline_kernelINS0_14default_configENS1_25partition_config_selectorILNS1_17partition_subalgoE6EyNS0_10empty_typeEbEEZZNS1_14partition_implILS5_6ELb0ES3_mN6thrust23THRUST_200600_302600_NS6detail15normal_iteratorINSA_10device_ptrIyEEEEPS6_SG_NS0_5tupleIJSF_S6_EEENSH_IJSG_SG_EEES6_PlJNSB_9not_fun_tINSB_10functional5actorINSM_9compositeIJNSM_27transparent_binary_operatorINSA_8equal_toIvEEEENSN_INSM_8argumentILj0EEEEENSM_5valueIyEEEEEEEEEEEE10hipError_tPvRmT3_T4_T5_T6_T7_T9_mT8_P12ihipStream_tbDpT10_ENKUlT_T0_E_clISt17integral_constantIbLb0EES1K_EEDaS1F_S1G_EUlS1F_E_NS1_11comp_targetILNS1_3genE5ELNS1_11target_archE942ELNS1_3gpuE9ELNS1_3repE0EEENS1_30default_config_static_selectorELNS0_4arch9wavefront6targetE0EEEvT1_
                                        ; -- End function
	.set _ZN7rocprim17ROCPRIM_400000_NS6detail17trampoline_kernelINS0_14default_configENS1_25partition_config_selectorILNS1_17partition_subalgoE6EyNS0_10empty_typeEbEEZZNS1_14partition_implILS5_6ELb0ES3_mN6thrust23THRUST_200600_302600_NS6detail15normal_iteratorINSA_10device_ptrIyEEEEPS6_SG_NS0_5tupleIJSF_S6_EEENSH_IJSG_SG_EEES6_PlJNSB_9not_fun_tINSB_10functional5actorINSM_9compositeIJNSM_27transparent_binary_operatorINSA_8equal_toIvEEEENSN_INSM_8argumentILj0EEEEENSM_5valueIyEEEEEEEEEEEE10hipError_tPvRmT3_T4_T5_T6_T7_T9_mT8_P12ihipStream_tbDpT10_ENKUlT_T0_E_clISt17integral_constantIbLb0EES1K_EEDaS1F_S1G_EUlS1F_E_NS1_11comp_targetILNS1_3genE5ELNS1_11target_archE942ELNS1_3gpuE9ELNS1_3repE0EEENS1_30default_config_static_selectorELNS0_4arch9wavefront6targetE0EEEvT1_.num_vgpr, 0
	.set _ZN7rocprim17ROCPRIM_400000_NS6detail17trampoline_kernelINS0_14default_configENS1_25partition_config_selectorILNS1_17partition_subalgoE6EyNS0_10empty_typeEbEEZZNS1_14partition_implILS5_6ELb0ES3_mN6thrust23THRUST_200600_302600_NS6detail15normal_iteratorINSA_10device_ptrIyEEEEPS6_SG_NS0_5tupleIJSF_S6_EEENSH_IJSG_SG_EEES6_PlJNSB_9not_fun_tINSB_10functional5actorINSM_9compositeIJNSM_27transparent_binary_operatorINSA_8equal_toIvEEEENSN_INSM_8argumentILj0EEEEENSM_5valueIyEEEEEEEEEEEE10hipError_tPvRmT3_T4_T5_T6_T7_T9_mT8_P12ihipStream_tbDpT10_ENKUlT_T0_E_clISt17integral_constantIbLb0EES1K_EEDaS1F_S1G_EUlS1F_E_NS1_11comp_targetILNS1_3genE5ELNS1_11target_archE942ELNS1_3gpuE9ELNS1_3repE0EEENS1_30default_config_static_selectorELNS0_4arch9wavefront6targetE0EEEvT1_.num_agpr, 0
	.set _ZN7rocprim17ROCPRIM_400000_NS6detail17trampoline_kernelINS0_14default_configENS1_25partition_config_selectorILNS1_17partition_subalgoE6EyNS0_10empty_typeEbEEZZNS1_14partition_implILS5_6ELb0ES3_mN6thrust23THRUST_200600_302600_NS6detail15normal_iteratorINSA_10device_ptrIyEEEEPS6_SG_NS0_5tupleIJSF_S6_EEENSH_IJSG_SG_EEES6_PlJNSB_9not_fun_tINSB_10functional5actorINSM_9compositeIJNSM_27transparent_binary_operatorINSA_8equal_toIvEEEENSN_INSM_8argumentILj0EEEEENSM_5valueIyEEEEEEEEEEEE10hipError_tPvRmT3_T4_T5_T6_T7_T9_mT8_P12ihipStream_tbDpT10_ENKUlT_T0_E_clISt17integral_constantIbLb0EES1K_EEDaS1F_S1G_EUlS1F_E_NS1_11comp_targetILNS1_3genE5ELNS1_11target_archE942ELNS1_3gpuE9ELNS1_3repE0EEENS1_30default_config_static_selectorELNS0_4arch9wavefront6targetE0EEEvT1_.numbered_sgpr, 0
	.set _ZN7rocprim17ROCPRIM_400000_NS6detail17trampoline_kernelINS0_14default_configENS1_25partition_config_selectorILNS1_17partition_subalgoE6EyNS0_10empty_typeEbEEZZNS1_14partition_implILS5_6ELb0ES3_mN6thrust23THRUST_200600_302600_NS6detail15normal_iteratorINSA_10device_ptrIyEEEEPS6_SG_NS0_5tupleIJSF_S6_EEENSH_IJSG_SG_EEES6_PlJNSB_9not_fun_tINSB_10functional5actorINSM_9compositeIJNSM_27transparent_binary_operatorINSA_8equal_toIvEEEENSN_INSM_8argumentILj0EEEEENSM_5valueIyEEEEEEEEEEEE10hipError_tPvRmT3_T4_T5_T6_T7_T9_mT8_P12ihipStream_tbDpT10_ENKUlT_T0_E_clISt17integral_constantIbLb0EES1K_EEDaS1F_S1G_EUlS1F_E_NS1_11comp_targetILNS1_3genE5ELNS1_11target_archE942ELNS1_3gpuE9ELNS1_3repE0EEENS1_30default_config_static_selectorELNS0_4arch9wavefront6targetE0EEEvT1_.num_named_barrier, 0
	.set _ZN7rocprim17ROCPRIM_400000_NS6detail17trampoline_kernelINS0_14default_configENS1_25partition_config_selectorILNS1_17partition_subalgoE6EyNS0_10empty_typeEbEEZZNS1_14partition_implILS5_6ELb0ES3_mN6thrust23THRUST_200600_302600_NS6detail15normal_iteratorINSA_10device_ptrIyEEEEPS6_SG_NS0_5tupleIJSF_S6_EEENSH_IJSG_SG_EEES6_PlJNSB_9not_fun_tINSB_10functional5actorINSM_9compositeIJNSM_27transparent_binary_operatorINSA_8equal_toIvEEEENSN_INSM_8argumentILj0EEEEENSM_5valueIyEEEEEEEEEEEE10hipError_tPvRmT3_T4_T5_T6_T7_T9_mT8_P12ihipStream_tbDpT10_ENKUlT_T0_E_clISt17integral_constantIbLb0EES1K_EEDaS1F_S1G_EUlS1F_E_NS1_11comp_targetILNS1_3genE5ELNS1_11target_archE942ELNS1_3gpuE9ELNS1_3repE0EEENS1_30default_config_static_selectorELNS0_4arch9wavefront6targetE0EEEvT1_.private_seg_size, 0
	.set _ZN7rocprim17ROCPRIM_400000_NS6detail17trampoline_kernelINS0_14default_configENS1_25partition_config_selectorILNS1_17partition_subalgoE6EyNS0_10empty_typeEbEEZZNS1_14partition_implILS5_6ELb0ES3_mN6thrust23THRUST_200600_302600_NS6detail15normal_iteratorINSA_10device_ptrIyEEEEPS6_SG_NS0_5tupleIJSF_S6_EEENSH_IJSG_SG_EEES6_PlJNSB_9not_fun_tINSB_10functional5actorINSM_9compositeIJNSM_27transparent_binary_operatorINSA_8equal_toIvEEEENSN_INSM_8argumentILj0EEEEENSM_5valueIyEEEEEEEEEEEE10hipError_tPvRmT3_T4_T5_T6_T7_T9_mT8_P12ihipStream_tbDpT10_ENKUlT_T0_E_clISt17integral_constantIbLb0EES1K_EEDaS1F_S1G_EUlS1F_E_NS1_11comp_targetILNS1_3genE5ELNS1_11target_archE942ELNS1_3gpuE9ELNS1_3repE0EEENS1_30default_config_static_selectorELNS0_4arch9wavefront6targetE0EEEvT1_.uses_vcc, 0
	.set _ZN7rocprim17ROCPRIM_400000_NS6detail17trampoline_kernelINS0_14default_configENS1_25partition_config_selectorILNS1_17partition_subalgoE6EyNS0_10empty_typeEbEEZZNS1_14partition_implILS5_6ELb0ES3_mN6thrust23THRUST_200600_302600_NS6detail15normal_iteratorINSA_10device_ptrIyEEEEPS6_SG_NS0_5tupleIJSF_S6_EEENSH_IJSG_SG_EEES6_PlJNSB_9not_fun_tINSB_10functional5actorINSM_9compositeIJNSM_27transparent_binary_operatorINSA_8equal_toIvEEEENSN_INSM_8argumentILj0EEEEENSM_5valueIyEEEEEEEEEEEE10hipError_tPvRmT3_T4_T5_T6_T7_T9_mT8_P12ihipStream_tbDpT10_ENKUlT_T0_E_clISt17integral_constantIbLb0EES1K_EEDaS1F_S1G_EUlS1F_E_NS1_11comp_targetILNS1_3genE5ELNS1_11target_archE942ELNS1_3gpuE9ELNS1_3repE0EEENS1_30default_config_static_selectorELNS0_4arch9wavefront6targetE0EEEvT1_.uses_flat_scratch, 0
	.set _ZN7rocprim17ROCPRIM_400000_NS6detail17trampoline_kernelINS0_14default_configENS1_25partition_config_selectorILNS1_17partition_subalgoE6EyNS0_10empty_typeEbEEZZNS1_14partition_implILS5_6ELb0ES3_mN6thrust23THRUST_200600_302600_NS6detail15normal_iteratorINSA_10device_ptrIyEEEEPS6_SG_NS0_5tupleIJSF_S6_EEENSH_IJSG_SG_EEES6_PlJNSB_9not_fun_tINSB_10functional5actorINSM_9compositeIJNSM_27transparent_binary_operatorINSA_8equal_toIvEEEENSN_INSM_8argumentILj0EEEEENSM_5valueIyEEEEEEEEEEEE10hipError_tPvRmT3_T4_T5_T6_T7_T9_mT8_P12ihipStream_tbDpT10_ENKUlT_T0_E_clISt17integral_constantIbLb0EES1K_EEDaS1F_S1G_EUlS1F_E_NS1_11comp_targetILNS1_3genE5ELNS1_11target_archE942ELNS1_3gpuE9ELNS1_3repE0EEENS1_30default_config_static_selectorELNS0_4arch9wavefront6targetE0EEEvT1_.has_dyn_sized_stack, 0
	.set _ZN7rocprim17ROCPRIM_400000_NS6detail17trampoline_kernelINS0_14default_configENS1_25partition_config_selectorILNS1_17partition_subalgoE6EyNS0_10empty_typeEbEEZZNS1_14partition_implILS5_6ELb0ES3_mN6thrust23THRUST_200600_302600_NS6detail15normal_iteratorINSA_10device_ptrIyEEEEPS6_SG_NS0_5tupleIJSF_S6_EEENSH_IJSG_SG_EEES6_PlJNSB_9not_fun_tINSB_10functional5actorINSM_9compositeIJNSM_27transparent_binary_operatorINSA_8equal_toIvEEEENSN_INSM_8argumentILj0EEEEENSM_5valueIyEEEEEEEEEEEE10hipError_tPvRmT3_T4_T5_T6_T7_T9_mT8_P12ihipStream_tbDpT10_ENKUlT_T0_E_clISt17integral_constantIbLb0EES1K_EEDaS1F_S1G_EUlS1F_E_NS1_11comp_targetILNS1_3genE5ELNS1_11target_archE942ELNS1_3gpuE9ELNS1_3repE0EEENS1_30default_config_static_selectorELNS0_4arch9wavefront6targetE0EEEvT1_.has_recursion, 0
	.set _ZN7rocprim17ROCPRIM_400000_NS6detail17trampoline_kernelINS0_14default_configENS1_25partition_config_selectorILNS1_17partition_subalgoE6EyNS0_10empty_typeEbEEZZNS1_14partition_implILS5_6ELb0ES3_mN6thrust23THRUST_200600_302600_NS6detail15normal_iteratorINSA_10device_ptrIyEEEEPS6_SG_NS0_5tupleIJSF_S6_EEENSH_IJSG_SG_EEES6_PlJNSB_9not_fun_tINSB_10functional5actorINSM_9compositeIJNSM_27transparent_binary_operatorINSA_8equal_toIvEEEENSN_INSM_8argumentILj0EEEEENSM_5valueIyEEEEEEEEEEEE10hipError_tPvRmT3_T4_T5_T6_T7_T9_mT8_P12ihipStream_tbDpT10_ENKUlT_T0_E_clISt17integral_constantIbLb0EES1K_EEDaS1F_S1G_EUlS1F_E_NS1_11comp_targetILNS1_3genE5ELNS1_11target_archE942ELNS1_3gpuE9ELNS1_3repE0EEENS1_30default_config_static_selectorELNS0_4arch9wavefront6targetE0EEEvT1_.has_indirect_call, 0
	.section	.AMDGPU.csdata,"",@progbits
; Kernel info:
; codeLenInByte = 0
; TotalNumSgprs: 0
; NumVgprs: 0
; ScratchSize: 0
; MemoryBound: 0
; FloatMode: 240
; IeeeMode: 1
; LDSByteSize: 0 bytes/workgroup (compile time only)
; SGPRBlocks: 0
; VGPRBlocks: 0
; NumSGPRsForWavesPerEU: 1
; NumVGPRsForWavesPerEU: 1
; Occupancy: 16
; WaveLimiterHint : 0
; COMPUTE_PGM_RSRC2:SCRATCH_EN: 0
; COMPUTE_PGM_RSRC2:USER_SGPR: 2
; COMPUTE_PGM_RSRC2:TRAP_HANDLER: 0
; COMPUTE_PGM_RSRC2:TGID_X_EN: 1
; COMPUTE_PGM_RSRC2:TGID_Y_EN: 0
; COMPUTE_PGM_RSRC2:TGID_Z_EN: 0
; COMPUTE_PGM_RSRC2:TIDIG_COMP_CNT: 0
	.section	.text._ZN7rocprim17ROCPRIM_400000_NS6detail17trampoline_kernelINS0_14default_configENS1_25partition_config_selectorILNS1_17partition_subalgoE6EyNS0_10empty_typeEbEEZZNS1_14partition_implILS5_6ELb0ES3_mN6thrust23THRUST_200600_302600_NS6detail15normal_iteratorINSA_10device_ptrIyEEEEPS6_SG_NS0_5tupleIJSF_S6_EEENSH_IJSG_SG_EEES6_PlJNSB_9not_fun_tINSB_10functional5actorINSM_9compositeIJNSM_27transparent_binary_operatorINSA_8equal_toIvEEEENSN_INSM_8argumentILj0EEEEENSM_5valueIyEEEEEEEEEEEE10hipError_tPvRmT3_T4_T5_T6_T7_T9_mT8_P12ihipStream_tbDpT10_ENKUlT_T0_E_clISt17integral_constantIbLb0EES1K_EEDaS1F_S1G_EUlS1F_E_NS1_11comp_targetILNS1_3genE4ELNS1_11target_archE910ELNS1_3gpuE8ELNS1_3repE0EEENS1_30default_config_static_selectorELNS0_4arch9wavefront6targetE0EEEvT1_,"axG",@progbits,_ZN7rocprim17ROCPRIM_400000_NS6detail17trampoline_kernelINS0_14default_configENS1_25partition_config_selectorILNS1_17partition_subalgoE6EyNS0_10empty_typeEbEEZZNS1_14partition_implILS5_6ELb0ES3_mN6thrust23THRUST_200600_302600_NS6detail15normal_iteratorINSA_10device_ptrIyEEEEPS6_SG_NS0_5tupleIJSF_S6_EEENSH_IJSG_SG_EEES6_PlJNSB_9not_fun_tINSB_10functional5actorINSM_9compositeIJNSM_27transparent_binary_operatorINSA_8equal_toIvEEEENSN_INSM_8argumentILj0EEEEENSM_5valueIyEEEEEEEEEEEE10hipError_tPvRmT3_T4_T5_T6_T7_T9_mT8_P12ihipStream_tbDpT10_ENKUlT_T0_E_clISt17integral_constantIbLb0EES1K_EEDaS1F_S1G_EUlS1F_E_NS1_11comp_targetILNS1_3genE4ELNS1_11target_archE910ELNS1_3gpuE8ELNS1_3repE0EEENS1_30default_config_static_selectorELNS0_4arch9wavefront6targetE0EEEvT1_,comdat
	.protected	_ZN7rocprim17ROCPRIM_400000_NS6detail17trampoline_kernelINS0_14default_configENS1_25partition_config_selectorILNS1_17partition_subalgoE6EyNS0_10empty_typeEbEEZZNS1_14partition_implILS5_6ELb0ES3_mN6thrust23THRUST_200600_302600_NS6detail15normal_iteratorINSA_10device_ptrIyEEEEPS6_SG_NS0_5tupleIJSF_S6_EEENSH_IJSG_SG_EEES6_PlJNSB_9not_fun_tINSB_10functional5actorINSM_9compositeIJNSM_27transparent_binary_operatorINSA_8equal_toIvEEEENSN_INSM_8argumentILj0EEEEENSM_5valueIyEEEEEEEEEEEE10hipError_tPvRmT3_T4_T5_T6_T7_T9_mT8_P12ihipStream_tbDpT10_ENKUlT_T0_E_clISt17integral_constantIbLb0EES1K_EEDaS1F_S1G_EUlS1F_E_NS1_11comp_targetILNS1_3genE4ELNS1_11target_archE910ELNS1_3gpuE8ELNS1_3repE0EEENS1_30default_config_static_selectorELNS0_4arch9wavefront6targetE0EEEvT1_ ; -- Begin function _ZN7rocprim17ROCPRIM_400000_NS6detail17trampoline_kernelINS0_14default_configENS1_25partition_config_selectorILNS1_17partition_subalgoE6EyNS0_10empty_typeEbEEZZNS1_14partition_implILS5_6ELb0ES3_mN6thrust23THRUST_200600_302600_NS6detail15normal_iteratorINSA_10device_ptrIyEEEEPS6_SG_NS0_5tupleIJSF_S6_EEENSH_IJSG_SG_EEES6_PlJNSB_9not_fun_tINSB_10functional5actorINSM_9compositeIJNSM_27transparent_binary_operatorINSA_8equal_toIvEEEENSN_INSM_8argumentILj0EEEEENSM_5valueIyEEEEEEEEEEEE10hipError_tPvRmT3_T4_T5_T6_T7_T9_mT8_P12ihipStream_tbDpT10_ENKUlT_T0_E_clISt17integral_constantIbLb0EES1K_EEDaS1F_S1G_EUlS1F_E_NS1_11comp_targetILNS1_3genE4ELNS1_11target_archE910ELNS1_3gpuE8ELNS1_3repE0EEENS1_30default_config_static_selectorELNS0_4arch9wavefront6targetE0EEEvT1_
	.globl	_ZN7rocprim17ROCPRIM_400000_NS6detail17trampoline_kernelINS0_14default_configENS1_25partition_config_selectorILNS1_17partition_subalgoE6EyNS0_10empty_typeEbEEZZNS1_14partition_implILS5_6ELb0ES3_mN6thrust23THRUST_200600_302600_NS6detail15normal_iteratorINSA_10device_ptrIyEEEEPS6_SG_NS0_5tupleIJSF_S6_EEENSH_IJSG_SG_EEES6_PlJNSB_9not_fun_tINSB_10functional5actorINSM_9compositeIJNSM_27transparent_binary_operatorINSA_8equal_toIvEEEENSN_INSM_8argumentILj0EEEEENSM_5valueIyEEEEEEEEEEEE10hipError_tPvRmT3_T4_T5_T6_T7_T9_mT8_P12ihipStream_tbDpT10_ENKUlT_T0_E_clISt17integral_constantIbLb0EES1K_EEDaS1F_S1G_EUlS1F_E_NS1_11comp_targetILNS1_3genE4ELNS1_11target_archE910ELNS1_3gpuE8ELNS1_3repE0EEENS1_30default_config_static_selectorELNS0_4arch9wavefront6targetE0EEEvT1_
	.p2align	8
	.type	_ZN7rocprim17ROCPRIM_400000_NS6detail17trampoline_kernelINS0_14default_configENS1_25partition_config_selectorILNS1_17partition_subalgoE6EyNS0_10empty_typeEbEEZZNS1_14partition_implILS5_6ELb0ES3_mN6thrust23THRUST_200600_302600_NS6detail15normal_iteratorINSA_10device_ptrIyEEEEPS6_SG_NS0_5tupleIJSF_S6_EEENSH_IJSG_SG_EEES6_PlJNSB_9not_fun_tINSB_10functional5actorINSM_9compositeIJNSM_27transparent_binary_operatorINSA_8equal_toIvEEEENSN_INSM_8argumentILj0EEEEENSM_5valueIyEEEEEEEEEEEE10hipError_tPvRmT3_T4_T5_T6_T7_T9_mT8_P12ihipStream_tbDpT10_ENKUlT_T0_E_clISt17integral_constantIbLb0EES1K_EEDaS1F_S1G_EUlS1F_E_NS1_11comp_targetILNS1_3genE4ELNS1_11target_archE910ELNS1_3gpuE8ELNS1_3repE0EEENS1_30default_config_static_selectorELNS0_4arch9wavefront6targetE0EEEvT1_,@function
_ZN7rocprim17ROCPRIM_400000_NS6detail17trampoline_kernelINS0_14default_configENS1_25partition_config_selectorILNS1_17partition_subalgoE6EyNS0_10empty_typeEbEEZZNS1_14partition_implILS5_6ELb0ES3_mN6thrust23THRUST_200600_302600_NS6detail15normal_iteratorINSA_10device_ptrIyEEEEPS6_SG_NS0_5tupleIJSF_S6_EEENSH_IJSG_SG_EEES6_PlJNSB_9not_fun_tINSB_10functional5actorINSM_9compositeIJNSM_27transparent_binary_operatorINSA_8equal_toIvEEEENSN_INSM_8argumentILj0EEEEENSM_5valueIyEEEEEEEEEEEE10hipError_tPvRmT3_T4_T5_T6_T7_T9_mT8_P12ihipStream_tbDpT10_ENKUlT_T0_E_clISt17integral_constantIbLb0EES1K_EEDaS1F_S1G_EUlS1F_E_NS1_11comp_targetILNS1_3genE4ELNS1_11target_archE910ELNS1_3gpuE8ELNS1_3repE0EEENS1_30default_config_static_selectorELNS0_4arch9wavefront6targetE0EEEvT1_: ; @_ZN7rocprim17ROCPRIM_400000_NS6detail17trampoline_kernelINS0_14default_configENS1_25partition_config_selectorILNS1_17partition_subalgoE6EyNS0_10empty_typeEbEEZZNS1_14partition_implILS5_6ELb0ES3_mN6thrust23THRUST_200600_302600_NS6detail15normal_iteratorINSA_10device_ptrIyEEEEPS6_SG_NS0_5tupleIJSF_S6_EEENSH_IJSG_SG_EEES6_PlJNSB_9not_fun_tINSB_10functional5actorINSM_9compositeIJNSM_27transparent_binary_operatorINSA_8equal_toIvEEEENSN_INSM_8argumentILj0EEEEENSM_5valueIyEEEEEEEEEEEE10hipError_tPvRmT3_T4_T5_T6_T7_T9_mT8_P12ihipStream_tbDpT10_ENKUlT_T0_E_clISt17integral_constantIbLb0EES1K_EEDaS1F_S1G_EUlS1F_E_NS1_11comp_targetILNS1_3genE4ELNS1_11target_archE910ELNS1_3gpuE8ELNS1_3repE0EEENS1_30default_config_static_selectorELNS0_4arch9wavefront6targetE0EEEvT1_
; %bb.0:
	.section	.rodata,"a",@progbits
	.p2align	6, 0x0
	.amdhsa_kernel _ZN7rocprim17ROCPRIM_400000_NS6detail17trampoline_kernelINS0_14default_configENS1_25partition_config_selectorILNS1_17partition_subalgoE6EyNS0_10empty_typeEbEEZZNS1_14partition_implILS5_6ELb0ES3_mN6thrust23THRUST_200600_302600_NS6detail15normal_iteratorINSA_10device_ptrIyEEEEPS6_SG_NS0_5tupleIJSF_S6_EEENSH_IJSG_SG_EEES6_PlJNSB_9not_fun_tINSB_10functional5actorINSM_9compositeIJNSM_27transparent_binary_operatorINSA_8equal_toIvEEEENSN_INSM_8argumentILj0EEEEENSM_5valueIyEEEEEEEEEEEE10hipError_tPvRmT3_T4_T5_T6_T7_T9_mT8_P12ihipStream_tbDpT10_ENKUlT_T0_E_clISt17integral_constantIbLb0EES1K_EEDaS1F_S1G_EUlS1F_E_NS1_11comp_targetILNS1_3genE4ELNS1_11target_archE910ELNS1_3gpuE8ELNS1_3repE0EEENS1_30default_config_static_selectorELNS0_4arch9wavefront6targetE0EEEvT1_
		.amdhsa_group_segment_fixed_size 0
		.amdhsa_private_segment_fixed_size 0
		.amdhsa_kernarg_size 128
		.amdhsa_user_sgpr_count 2
		.amdhsa_user_sgpr_dispatch_ptr 0
		.amdhsa_user_sgpr_queue_ptr 0
		.amdhsa_user_sgpr_kernarg_segment_ptr 1
		.amdhsa_user_sgpr_dispatch_id 0
		.amdhsa_user_sgpr_private_segment_size 0
		.amdhsa_wavefront_size32 1
		.amdhsa_uses_dynamic_stack 0
		.amdhsa_enable_private_segment 0
		.amdhsa_system_sgpr_workgroup_id_x 1
		.amdhsa_system_sgpr_workgroup_id_y 0
		.amdhsa_system_sgpr_workgroup_id_z 0
		.amdhsa_system_sgpr_workgroup_info 0
		.amdhsa_system_vgpr_workitem_id 0
		.amdhsa_next_free_vgpr 1
		.amdhsa_next_free_sgpr 1
		.amdhsa_reserve_vcc 0
		.amdhsa_float_round_mode_32 0
		.amdhsa_float_round_mode_16_64 0
		.amdhsa_float_denorm_mode_32 3
		.amdhsa_float_denorm_mode_16_64 3
		.amdhsa_fp16_overflow 0
		.amdhsa_workgroup_processor_mode 1
		.amdhsa_memory_ordered 1
		.amdhsa_forward_progress 1
		.amdhsa_inst_pref_size 0
		.amdhsa_round_robin_scheduling 0
		.amdhsa_exception_fp_ieee_invalid_op 0
		.amdhsa_exception_fp_denorm_src 0
		.amdhsa_exception_fp_ieee_div_zero 0
		.amdhsa_exception_fp_ieee_overflow 0
		.amdhsa_exception_fp_ieee_underflow 0
		.amdhsa_exception_fp_ieee_inexact 0
		.amdhsa_exception_int_div_zero 0
	.end_amdhsa_kernel
	.section	.text._ZN7rocprim17ROCPRIM_400000_NS6detail17trampoline_kernelINS0_14default_configENS1_25partition_config_selectorILNS1_17partition_subalgoE6EyNS0_10empty_typeEbEEZZNS1_14partition_implILS5_6ELb0ES3_mN6thrust23THRUST_200600_302600_NS6detail15normal_iteratorINSA_10device_ptrIyEEEEPS6_SG_NS0_5tupleIJSF_S6_EEENSH_IJSG_SG_EEES6_PlJNSB_9not_fun_tINSB_10functional5actorINSM_9compositeIJNSM_27transparent_binary_operatorINSA_8equal_toIvEEEENSN_INSM_8argumentILj0EEEEENSM_5valueIyEEEEEEEEEEEE10hipError_tPvRmT3_T4_T5_T6_T7_T9_mT8_P12ihipStream_tbDpT10_ENKUlT_T0_E_clISt17integral_constantIbLb0EES1K_EEDaS1F_S1G_EUlS1F_E_NS1_11comp_targetILNS1_3genE4ELNS1_11target_archE910ELNS1_3gpuE8ELNS1_3repE0EEENS1_30default_config_static_selectorELNS0_4arch9wavefront6targetE0EEEvT1_,"axG",@progbits,_ZN7rocprim17ROCPRIM_400000_NS6detail17trampoline_kernelINS0_14default_configENS1_25partition_config_selectorILNS1_17partition_subalgoE6EyNS0_10empty_typeEbEEZZNS1_14partition_implILS5_6ELb0ES3_mN6thrust23THRUST_200600_302600_NS6detail15normal_iteratorINSA_10device_ptrIyEEEEPS6_SG_NS0_5tupleIJSF_S6_EEENSH_IJSG_SG_EEES6_PlJNSB_9not_fun_tINSB_10functional5actorINSM_9compositeIJNSM_27transparent_binary_operatorINSA_8equal_toIvEEEENSN_INSM_8argumentILj0EEEEENSM_5valueIyEEEEEEEEEEEE10hipError_tPvRmT3_T4_T5_T6_T7_T9_mT8_P12ihipStream_tbDpT10_ENKUlT_T0_E_clISt17integral_constantIbLb0EES1K_EEDaS1F_S1G_EUlS1F_E_NS1_11comp_targetILNS1_3genE4ELNS1_11target_archE910ELNS1_3gpuE8ELNS1_3repE0EEENS1_30default_config_static_selectorELNS0_4arch9wavefront6targetE0EEEvT1_,comdat
.Lfunc_end82:
	.size	_ZN7rocprim17ROCPRIM_400000_NS6detail17trampoline_kernelINS0_14default_configENS1_25partition_config_selectorILNS1_17partition_subalgoE6EyNS0_10empty_typeEbEEZZNS1_14partition_implILS5_6ELb0ES3_mN6thrust23THRUST_200600_302600_NS6detail15normal_iteratorINSA_10device_ptrIyEEEEPS6_SG_NS0_5tupleIJSF_S6_EEENSH_IJSG_SG_EEES6_PlJNSB_9not_fun_tINSB_10functional5actorINSM_9compositeIJNSM_27transparent_binary_operatorINSA_8equal_toIvEEEENSN_INSM_8argumentILj0EEEEENSM_5valueIyEEEEEEEEEEEE10hipError_tPvRmT3_T4_T5_T6_T7_T9_mT8_P12ihipStream_tbDpT10_ENKUlT_T0_E_clISt17integral_constantIbLb0EES1K_EEDaS1F_S1G_EUlS1F_E_NS1_11comp_targetILNS1_3genE4ELNS1_11target_archE910ELNS1_3gpuE8ELNS1_3repE0EEENS1_30default_config_static_selectorELNS0_4arch9wavefront6targetE0EEEvT1_, .Lfunc_end82-_ZN7rocprim17ROCPRIM_400000_NS6detail17trampoline_kernelINS0_14default_configENS1_25partition_config_selectorILNS1_17partition_subalgoE6EyNS0_10empty_typeEbEEZZNS1_14partition_implILS5_6ELb0ES3_mN6thrust23THRUST_200600_302600_NS6detail15normal_iteratorINSA_10device_ptrIyEEEEPS6_SG_NS0_5tupleIJSF_S6_EEENSH_IJSG_SG_EEES6_PlJNSB_9not_fun_tINSB_10functional5actorINSM_9compositeIJNSM_27transparent_binary_operatorINSA_8equal_toIvEEEENSN_INSM_8argumentILj0EEEEENSM_5valueIyEEEEEEEEEEEE10hipError_tPvRmT3_T4_T5_T6_T7_T9_mT8_P12ihipStream_tbDpT10_ENKUlT_T0_E_clISt17integral_constantIbLb0EES1K_EEDaS1F_S1G_EUlS1F_E_NS1_11comp_targetILNS1_3genE4ELNS1_11target_archE910ELNS1_3gpuE8ELNS1_3repE0EEENS1_30default_config_static_selectorELNS0_4arch9wavefront6targetE0EEEvT1_
                                        ; -- End function
	.set _ZN7rocprim17ROCPRIM_400000_NS6detail17trampoline_kernelINS0_14default_configENS1_25partition_config_selectorILNS1_17partition_subalgoE6EyNS0_10empty_typeEbEEZZNS1_14partition_implILS5_6ELb0ES3_mN6thrust23THRUST_200600_302600_NS6detail15normal_iteratorINSA_10device_ptrIyEEEEPS6_SG_NS0_5tupleIJSF_S6_EEENSH_IJSG_SG_EEES6_PlJNSB_9not_fun_tINSB_10functional5actorINSM_9compositeIJNSM_27transparent_binary_operatorINSA_8equal_toIvEEEENSN_INSM_8argumentILj0EEEEENSM_5valueIyEEEEEEEEEEEE10hipError_tPvRmT3_T4_T5_T6_T7_T9_mT8_P12ihipStream_tbDpT10_ENKUlT_T0_E_clISt17integral_constantIbLb0EES1K_EEDaS1F_S1G_EUlS1F_E_NS1_11comp_targetILNS1_3genE4ELNS1_11target_archE910ELNS1_3gpuE8ELNS1_3repE0EEENS1_30default_config_static_selectorELNS0_4arch9wavefront6targetE0EEEvT1_.num_vgpr, 0
	.set _ZN7rocprim17ROCPRIM_400000_NS6detail17trampoline_kernelINS0_14default_configENS1_25partition_config_selectorILNS1_17partition_subalgoE6EyNS0_10empty_typeEbEEZZNS1_14partition_implILS5_6ELb0ES3_mN6thrust23THRUST_200600_302600_NS6detail15normal_iteratorINSA_10device_ptrIyEEEEPS6_SG_NS0_5tupleIJSF_S6_EEENSH_IJSG_SG_EEES6_PlJNSB_9not_fun_tINSB_10functional5actorINSM_9compositeIJNSM_27transparent_binary_operatorINSA_8equal_toIvEEEENSN_INSM_8argumentILj0EEEEENSM_5valueIyEEEEEEEEEEEE10hipError_tPvRmT3_T4_T5_T6_T7_T9_mT8_P12ihipStream_tbDpT10_ENKUlT_T0_E_clISt17integral_constantIbLb0EES1K_EEDaS1F_S1G_EUlS1F_E_NS1_11comp_targetILNS1_3genE4ELNS1_11target_archE910ELNS1_3gpuE8ELNS1_3repE0EEENS1_30default_config_static_selectorELNS0_4arch9wavefront6targetE0EEEvT1_.num_agpr, 0
	.set _ZN7rocprim17ROCPRIM_400000_NS6detail17trampoline_kernelINS0_14default_configENS1_25partition_config_selectorILNS1_17partition_subalgoE6EyNS0_10empty_typeEbEEZZNS1_14partition_implILS5_6ELb0ES3_mN6thrust23THRUST_200600_302600_NS6detail15normal_iteratorINSA_10device_ptrIyEEEEPS6_SG_NS0_5tupleIJSF_S6_EEENSH_IJSG_SG_EEES6_PlJNSB_9not_fun_tINSB_10functional5actorINSM_9compositeIJNSM_27transparent_binary_operatorINSA_8equal_toIvEEEENSN_INSM_8argumentILj0EEEEENSM_5valueIyEEEEEEEEEEEE10hipError_tPvRmT3_T4_T5_T6_T7_T9_mT8_P12ihipStream_tbDpT10_ENKUlT_T0_E_clISt17integral_constantIbLb0EES1K_EEDaS1F_S1G_EUlS1F_E_NS1_11comp_targetILNS1_3genE4ELNS1_11target_archE910ELNS1_3gpuE8ELNS1_3repE0EEENS1_30default_config_static_selectorELNS0_4arch9wavefront6targetE0EEEvT1_.numbered_sgpr, 0
	.set _ZN7rocprim17ROCPRIM_400000_NS6detail17trampoline_kernelINS0_14default_configENS1_25partition_config_selectorILNS1_17partition_subalgoE6EyNS0_10empty_typeEbEEZZNS1_14partition_implILS5_6ELb0ES3_mN6thrust23THRUST_200600_302600_NS6detail15normal_iteratorINSA_10device_ptrIyEEEEPS6_SG_NS0_5tupleIJSF_S6_EEENSH_IJSG_SG_EEES6_PlJNSB_9not_fun_tINSB_10functional5actorINSM_9compositeIJNSM_27transparent_binary_operatorINSA_8equal_toIvEEEENSN_INSM_8argumentILj0EEEEENSM_5valueIyEEEEEEEEEEEE10hipError_tPvRmT3_T4_T5_T6_T7_T9_mT8_P12ihipStream_tbDpT10_ENKUlT_T0_E_clISt17integral_constantIbLb0EES1K_EEDaS1F_S1G_EUlS1F_E_NS1_11comp_targetILNS1_3genE4ELNS1_11target_archE910ELNS1_3gpuE8ELNS1_3repE0EEENS1_30default_config_static_selectorELNS0_4arch9wavefront6targetE0EEEvT1_.num_named_barrier, 0
	.set _ZN7rocprim17ROCPRIM_400000_NS6detail17trampoline_kernelINS0_14default_configENS1_25partition_config_selectorILNS1_17partition_subalgoE6EyNS0_10empty_typeEbEEZZNS1_14partition_implILS5_6ELb0ES3_mN6thrust23THRUST_200600_302600_NS6detail15normal_iteratorINSA_10device_ptrIyEEEEPS6_SG_NS0_5tupleIJSF_S6_EEENSH_IJSG_SG_EEES6_PlJNSB_9not_fun_tINSB_10functional5actorINSM_9compositeIJNSM_27transparent_binary_operatorINSA_8equal_toIvEEEENSN_INSM_8argumentILj0EEEEENSM_5valueIyEEEEEEEEEEEE10hipError_tPvRmT3_T4_T5_T6_T7_T9_mT8_P12ihipStream_tbDpT10_ENKUlT_T0_E_clISt17integral_constantIbLb0EES1K_EEDaS1F_S1G_EUlS1F_E_NS1_11comp_targetILNS1_3genE4ELNS1_11target_archE910ELNS1_3gpuE8ELNS1_3repE0EEENS1_30default_config_static_selectorELNS0_4arch9wavefront6targetE0EEEvT1_.private_seg_size, 0
	.set _ZN7rocprim17ROCPRIM_400000_NS6detail17trampoline_kernelINS0_14default_configENS1_25partition_config_selectorILNS1_17partition_subalgoE6EyNS0_10empty_typeEbEEZZNS1_14partition_implILS5_6ELb0ES3_mN6thrust23THRUST_200600_302600_NS6detail15normal_iteratorINSA_10device_ptrIyEEEEPS6_SG_NS0_5tupleIJSF_S6_EEENSH_IJSG_SG_EEES6_PlJNSB_9not_fun_tINSB_10functional5actorINSM_9compositeIJNSM_27transparent_binary_operatorINSA_8equal_toIvEEEENSN_INSM_8argumentILj0EEEEENSM_5valueIyEEEEEEEEEEEE10hipError_tPvRmT3_T4_T5_T6_T7_T9_mT8_P12ihipStream_tbDpT10_ENKUlT_T0_E_clISt17integral_constantIbLb0EES1K_EEDaS1F_S1G_EUlS1F_E_NS1_11comp_targetILNS1_3genE4ELNS1_11target_archE910ELNS1_3gpuE8ELNS1_3repE0EEENS1_30default_config_static_selectorELNS0_4arch9wavefront6targetE0EEEvT1_.uses_vcc, 0
	.set _ZN7rocprim17ROCPRIM_400000_NS6detail17trampoline_kernelINS0_14default_configENS1_25partition_config_selectorILNS1_17partition_subalgoE6EyNS0_10empty_typeEbEEZZNS1_14partition_implILS5_6ELb0ES3_mN6thrust23THRUST_200600_302600_NS6detail15normal_iteratorINSA_10device_ptrIyEEEEPS6_SG_NS0_5tupleIJSF_S6_EEENSH_IJSG_SG_EEES6_PlJNSB_9not_fun_tINSB_10functional5actorINSM_9compositeIJNSM_27transparent_binary_operatorINSA_8equal_toIvEEEENSN_INSM_8argumentILj0EEEEENSM_5valueIyEEEEEEEEEEEE10hipError_tPvRmT3_T4_T5_T6_T7_T9_mT8_P12ihipStream_tbDpT10_ENKUlT_T0_E_clISt17integral_constantIbLb0EES1K_EEDaS1F_S1G_EUlS1F_E_NS1_11comp_targetILNS1_3genE4ELNS1_11target_archE910ELNS1_3gpuE8ELNS1_3repE0EEENS1_30default_config_static_selectorELNS0_4arch9wavefront6targetE0EEEvT1_.uses_flat_scratch, 0
	.set _ZN7rocprim17ROCPRIM_400000_NS6detail17trampoline_kernelINS0_14default_configENS1_25partition_config_selectorILNS1_17partition_subalgoE6EyNS0_10empty_typeEbEEZZNS1_14partition_implILS5_6ELb0ES3_mN6thrust23THRUST_200600_302600_NS6detail15normal_iteratorINSA_10device_ptrIyEEEEPS6_SG_NS0_5tupleIJSF_S6_EEENSH_IJSG_SG_EEES6_PlJNSB_9not_fun_tINSB_10functional5actorINSM_9compositeIJNSM_27transparent_binary_operatorINSA_8equal_toIvEEEENSN_INSM_8argumentILj0EEEEENSM_5valueIyEEEEEEEEEEEE10hipError_tPvRmT3_T4_T5_T6_T7_T9_mT8_P12ihipStream_tbDpT10_ENKUlT_T0_E_clISt17integral_constantIbLb0EES1K_EEDaS1F_S1G_EUlS1F_E_NS1_11comp_targetILNS1_3genE4ELNS1_11target_archE910ELNS1_3gpuE8ELNS1_3repE0EEENS1_30default_config_static_selectorELNS0_4arch9wavefront6targetE0EEEvT1_.has_dyn_sized_stack, 0
	.set _ZN7rocprim17ROCPRIM_400000_NS6detail17trampoline_kernelINS0_14default_configENS1_25partition_config_selectorILNS1_17partition_subalgoE6EyNS0_10empty_typeEbEEZZNS1_14partition_implILS5_6ELb0ES3_mN6thrust23THRUST_200600_302600_NS6detail15normal_iteratorINSA_10device_ptrIyEEEEPS6_SG_NS0_5tupleIJSF_S6_EEENSH_IJSG_SG_EEES6_PlJNSB_9not_fun_tINSB_10functional5actorINSM_9compositeIJNSM_27transparent_binary_operatorINSA_8equal_toIvEEEENSN_INSM_8argumentILj0EEEEENSM_5valueIyEEEEEEEEEEEE10hipError_tPvRmT3_T4_T5_T6_T7_T9_mT8_P12ihipStream_tbDpT10_ENKUlT_T0_E_clISt17integral_constantIbLb0EES1K_EEDaS1F_S1G_EUlS1F_E_NS1_11comp_targetILNS1_3genE4ELNS1_11target_archE910ELNS1_3gpuE8ELNS1_3repE0EEENS1_30default_config_static_selectorELNS0_4arch9wavefront6targetE0EEEvT1_.has_recursion, 0
	.set _ZN7rocprim17ROCPRIM_400000_NS6detail17trampoline_kernelINS0_14default_configENS1_25partition_config_selectorILNS1_17partition_subalgoE6EyNS0_10empty_typeEbEEZZNS1_14partition_implILS5_6ELb0ES3_mN6thrust23THRUST_200600_302600_NS6detail15normal_iteratorINSA_10device_ptrIyEEEEPS6_SG_NS0_5tupleIJSF_S6_EEENSH_IJSG_SG_EEES6_PlJNSB_9not_fun_tINSB_10functional5actorINSM_9compositeIJNSM_27transparent_binary_operatorINSA_8equal_toIvEEEENSN_INSM_8argumentILj0EEEEENSM_5valueIyEEEEEEEEEEEE10hipError_tPvRmT3_T4_T5_T6_T7_T9_mT8_P12ihipStream_tbDpT10_ENKUlT_T0_E_clISt17integral_constantIbLb0EES1K_EEDaS1F_S1G_EUlS1F_E_NS1_11comp_targetILNS1_3genE4ELNS1_11target_archE910ELNS1_3gpuE8ELNS1_3repE0EEENS1_30default_config_static_selectorELNS0_4arch9wavefront6targetE0EEEvT1_.has_indirect_call, 0
	.section	.AMDGPU.csdata,"",@progbits
; Kernel info:
; codeLenInByte = 0
; TotalNumSgprs: 0
; NumVgprs: 0
; ScratchSize: 0
; MemoryBound: 0
; FloatMode: 240
; IeeeMode: 1
; LDSByteSize: 0 bytes/workgroup (compile time only)
; SGPRBlocks: 0
; VGPRBlocks: 0
; NumSGPRsForWavesPerEU: 1
; NumVGPRsForWavesPerEU: 1
; Occupancy: 16
; WaveLimiterHint : 0
; COMPUTE_PGM_RSRC2:SCRATCH_EN: 0
; COMPUTE_PGM_RSRC2:USER_SGPR: 2
; COMPUTE_PGM_RSRC2:TRAP_HANDLER: 0
; COMPUTE_PGM_RSRC2:TGID_X_EN: 1
; COMPUTE_PGM_RSRC2:TGID_Y_EN: 0
; COMPUTE_PGM_RSRC2:TGID_Z_EN: 0
; COMPUTE_PGM_RSRC2:TIDIG_COMP_CNT: 0
	.section	.text._ZN7rocprim17ROCPRIM_400000_NS6detail17trampoline_kernelINS0_14default_configENS1_25partition_config_selectorILNS1_17partition_subalgoE6EyNS0_10empty_typeEbEEZZNS1_14partition_implILS5_6ELb0ES3_mN6thrust23THRUST_200600_302600_NS6detail15normal_iteratorINSA_10device_ptrIyEEEEPS6_SG_NS0_5tupleIJSF_S6_EEENSH_IJSG_SG_EEES6_PlJNSB_9not_fun_tINSB_10functional5actorINSM_9compositeIJNSM_27transparent_binary_operatorINSA_8equal_toIvEEEENSN_INSM_8argumentILj0EEEEENSM_5valueIyEEEEEEEEEEEE10hipError_tPvRmT3_T4_T5_T6_T7_T9_mT8_P12ihipStream_tbDpT10_ENKUlT_T0_E_clISt17integral_constantIbLb0EES1K_EEDaS1F_S1G_EUlS1F_E_NS1_11comp_targetILNS1_3genE3ELNS1_11target_archE908ELNS1_3gpuE7ELNS1_3repE0EEENS1_30default_config_static_selectorELNS0_4arch9wavefront6targetE0EEEvT1_,"axG",@progbits,_ZN7rocprim17ROCPRIM_400000_NS6detail17trampoline_kernelINS0_14default_configENS1_25partition_config_selectorILNS1_17partition_subalgoE6EyNS0_10empty_typeEbEEZZNS1_14partition_implILS5_6ELb0ES3_mN6thrust23THRUST_200600_302600_NS6detail15normal_iteratorINSA_10device_ptrIyEEEEPS6_SG_NS0_5tupleIJSF_S6_EEENSH_IJSG_SG_EEES6_PlJNSB_9not_fun_tINSB_10functional5actorINSM_9compositeIJNSM_27transparent_binary_operatorINSA_8equal_toIvEEEENSN_INSM_8argumentILj0EEEEENSM_5valueIyEEEEEEEEEEEE10hipError_tPvRmT3_T4_T5_T6_T7_T9_mT8_P12ihipStream_tbDpT10_ENKUlT_T0_E_clISt17integral_constantIbLb0EES1K_EEDaS1F_S1G_EUlS1F_E_NS1_11comp_targetILNS1_3genE3ELNS1_11target_archE908ELNS1_3gpuE7ELNS1_3repE0EEENS1_30default_config_static_selectorELNS0_4arch9wavefront6targetE0EEEvT1_,comdat
	.protected	_ZN7rocprim17ROCPRIM_400000_NS6detail17trampoline_kernelINS0_14default_configENS1_25partition_config_selectorILNS1_17partition_subalgoE6EyNS0_10empty_typeEbEEZZNS1_14partition_implILS5_6ELb0ES3_mN6thrust23THRUST_200600_302600_NS6detail15normal_iteratorINSA_10device_ptrIyEEEEPS6_SG_NS0_5tupleIJSF_S6_EEENSH_IJSG_SG_EEES6_PlJNSB_9not_fun_tINSB_10functional5actorINSM_9compositeIJNSM_27transparent_binary_operatorINSA_8equal_toIvEEEENSN_INSM_8argumentILj0EEEEENSM_5valueIyEEEEEEEEEEEE10hipError_tPvRmT3_T4_T5_T6_T7_T9_mT8_P12ihipStream_tbDpT10_ENKUlT_T0_E_clISt17integral_constantIbLb0EES1K_EEDaS1F_S1G_EUlS1F_E_NS1_11comp_targetILNS1_3genE3ELNS1_11target_archE908ELNS1_3gpuE7ELNS1_3repE0EEENS1_30default_config_static_selectorELNS0_4arch9wavefront6targetE0EEEvT1_ ; -- Begin function _ZN7rocprim17ROCPRIM_400000_NS6detail17trampoline_kernelINS0_14default_configENS1_25partition_config_selectorILNS1_17partition_subalgoE6EyNS0_10empty_typeEbEEZZNS1_14partition_implILS5_6ELb0ES3_mN6thrust23THRUST_200600_302600_NS6detail15normal_iteratorINSA_10device_ptrIyEEEEPS6_SG_NS0_5tupleIJSF_S6_EEENSH_IJSG_SG_EEES6_PlJNSB_9not_fun_tINSB_10functional5actorINSM_9compositeIJNSM_27transparent_binary_operatorINSA_8equal_toIvEEEENSN_INSM_8argumentILj0EEEEENSM_5valueIyEEEEEEEEEEEE10hipError_tPvRmT3_T4_T5_T6_T7_T9_mT8_P12ihipStream_tbDpT10_ENKUlT_T0_E_clISt17integral_constantIbLb0EES1K_EEDaS1F_S1G_EUlS1F_E_NS1_11comp_targetILNS1_3genE3ELNS1_11target_archE908ELNS1_3gpuE7ELNS1_3repE0EEENS1_30default_config_static_selectorELNS0_4arch9wavefront6targetE0EEEvT1_
	.globl	_ZN7rocprim17ROCPRIM_400000_NS6detail17trampoline_kernelINS0_14default_configENS1_25partition_config_selectorILNS1_17partition_subalgoE6EyNS0_10empty_typeEbEEZZNS1_14partition_implILS5_6ELb0ES3_mN6thrust23THRUST_200600_302600_NS6detail15normal_iteratorINSA_10device_ptrIyEEEEPS6_SG_NS0_5tupleIJSF_S6_EEENSH_IJSG_SG_EEES6_PlJNSB_9not_fun_tINSB_10functional5actorINSM_9compositeIJNSM_27transparent_binary_operatorINSA_8equal_toIvEEEENSN_INSM_8argumentILj0EEEEENSM_5valueIyEEEEEEEEEEEE10hipError_tPvRmT3_T4_T5_T6_T7_T9_mT8_P12ihipStream_tbDpT10_ENKUlT_T0_E_clISt17integral_constantIbLb0EES1K_EEDaS1F_S1G_EUlS1F_E_NS1_11comp_targetILNS1_3genE3ELNS1_11target_archE908ELNS1_3gpuE7ELNS1_3repE0EEENS1_30default_config_static_selectorELNS0_4arch9wavefront6targetE0EEEvT1_
	.p2align	8
	.type	_ZN7rocprim17ROCPRIM_400000_NS6detail17trampoline_kernelINS0_14default_configENS1_25partition_config_selectorILNS1_17partition_subalgoE6EyNS0_10empty_typeEbEEZZNS1_14partition_implILS5_6ELb0ES3_mN6thrust23THRUST_200600_302600_NS6detail15normal_iteratorINSA_10device_ptrIyEEEEPS6_SG_NS0_5tupleIJSF_S6_EEENSH_IJSG_SG_EEES6_PlJNSB_9not_fun_tINSB_10functional5actorINSM_9compositeIJNSM_27transparent_binary_operatorINSA_8equal_toIvEEEENSN_INSM_8argumentILj0EEEEENSM_5valueIyEEEEEEEEEEEE10hipError_tPvRmT3_T4_T5_T6_T7_T9_mT8_P12ihipStream_tbDpT10_ENKUlT_T0_E_clISt17integral_constantIbLb0EES1K_EEDaS1F_S1G_EUlS1F_E_NS1_11comp_targetILNS1_3genE3ELNS1_11target_archE908ELNS1_3gpuE7ELNS1_3repE0EEENS1_30default_config_static_selectorELNS0_4arch9wavefront6targetE0EEEvT1_,@function
_ZN7rocprim17ROCPRIM_400000_NS6detail17trampoline_kernelINS0_14default_configENS1_25partition_config_selectorILNS1_17partition_subalgoE6EyNS0_10empty_typeEbEEZZNS1_14partition_implILS5_6ELb0ES3_mN6thrust23THRUST_200600_302600_NS6detail15normal_iteratorINSA_10device_ptrIyEEEEPS6_SG_NS0_5tupleIJSF_S6_EEENSH_IJSG_SG_EEES6_PlJNSB_9not_fun_tINSB_10functional5actorINSM_9compositeIJNSM_27transparent_binary_operatorINSA_8equal_toIvEEEENSN_INSM_8argumentILj0EEEEENSM_5valueIyEEEEEEEEEEEE10hipError_tPvRmT3_T4_T5_T6_T7_T9_mT8_P12ihipStream_tbDpT10_ENKUlT_T0_E_clISt17integral_constantIbLb0EES1K_EEDaS1F_S1G_EUlS1F_E_NS1_11comp_targetILNS1_3genE3ELNS1_11target_archE908ELNS1_3gpuE7ELNS1_3repE0EEENS1_30default_config_static_selectorELNS0_4arch9wavefront6targetE0EEEvT1_: ; @_ZN7rocprim17ROCPRIM_400000_NS6detail17trampoline_kernelINS0_14default_configENS1_25partition_config_selectorILNS1_17partition_subalgoE6EyNS0_10empty_typeEbEEZZNS1_14partition_implILS5_6ELb0ES3_mN6thrust23THRUST_200600_302600_NS6detail15normal_iteratorINSA_10device_ptrIyEEEEPS6_SG_NS0_5tupleIJSF_S6_EEENSH_IJSG_SG_EEES6_PlJNSB_9not_fun_tINSB_10functional5actorINSM_9compositeIJNSM_27transparent_binary_operatorINSA_8equal_toIvEEEENSN_INSM_8argumentILj0EEEEENSM_5valueIyEEEEEEEEEEEE10hipError_tPvRmT3_T4_T5_T6_T7_T9_mT8_P12ihipStream_tbDpT10_ENKUlT_T0_E_clISt17integral_constantIbLb0EES1K_EEDaS1F_S1G_EUlS1F_E_NS1_11comp_targetILNS1_3genE3ELNS1_11target_archE908ELNS1_3gpuE7ELNS1_3repE0EEENS1_30default_config_static_selectorELNS0_4arch9wavefront6targetE0EEEvT1_
; %bb.0:
	.section	.rodata,"a",@progbits
	.p2align	6, 0x0
	.amdhsa_kernel _ZN7rocprim17ROCPRIM_400000_NS6detail17trampoline_kernelINS0_14default_configENS1_25partition_config_selectorILNS1_17partition_subalgoE6EyNS0_10empty_typeEbEEZZNS1_14partition_implILS5_6ELb0ES3_mN6thrust23THRUST_200600_302600_NS6detail15normal_iteratorINSA_10device_ptrIyEEEEPS6_SG_NS0_5tupleIJSF_S6_EEENSH_IJSG_SG_EEES6_PlJNSB_9not_fun_tINSB_10functional5actorINSM_9compositeIJNSM_27transparent_binary_operatorINSA_8equal_toIvEEEENSN_INSM_8argumentILj0EEEEENSM_5valueIyEEEEEEEEEEEE10hipError_tPvRmT3_T4_T5_T6_T7_T9_mT8_P12ihipStream_tbDpT10_ENKUlT_T0_E_clISt17integral_constantIbLb0EES1K_EEDaS1F_S1G_EUlS1F_E_NS1_11comp_targetILNS1_3genE3ELNS1_11target_archE908ELNS1_3gpuE7ELNS1_3repE0EEENS1_30default_config_static_selectorELNS0_4arch9wavefront6targetE0EEEvT1_
		.amdhsa_group_segment_fixed_size 0
		.amdhsa_private_segment_fixed_size 0
		.amdhsa_kernarg_size 128
		.amdhsa_user_sgpr_count 2
		.amdhsa_user_sgpr_dispatch_ptr 0
		.amdhsa_user_sgpr_queue_ptr 0
		.amdhsa_user_sgpr_kernarg_segment_ptr 1
		.amdhsa_user_sgpr_dispatch_id 0
		.amdhsa_user_sgpr_private_segment_size 0
		.amdhsa_wavefront_size32 1
		.amdhsa_uses_dynamic_stack 0
		.amdhsa_enable_private_segment 0
		.amdhsa_system_sgpr_workgroup_id_x 1
		.amdhsa_system_sgpr_workgroup_id_y 0
		.amdhsa_system_sgpr_workgroup_id_z 0
		.amdhsa_system_sgpr_workgroup_info 0
		.amdhsa_system_vgpr_workitem_id 0
		.amdhsa_next_free_vgpr 1
		.amdhsa_next_free_sgpr 1
		.amdhsa_reserve_vcc 0
		.amdhsa_float_round_mode_32 0
		.amdhsa_float_round_mode_16_64 0
		.amdhsa_float_denorm_mode_32 3
		.amdhsa_float_denorm_mode_16_64 3
		.amdhsa_fp16_overflow 0
		.amdhsa_workgroup_processor_mode 1
		.amdhsa_memory_ordered 1
		.amdhsa_forward_progress 1
		.amdhsa_inst_pref_size 0
		.amdhsa_round_robin_scheduling 0
		.amdhsa_exception_fp_ieee_invalid_op 0
		.amdhsa_exception_fp_denorm_src 0
		.amdhsa_exception_fp_ieee_div_zero 0
		.amdhsa_exception_fp_ieee_overflow 0
		.amdhsa_exception_fp_ieee_underflow 0
		.amdhsa_exception_fp_ieee_inexact 0
		.amdhsa_exception_int_div_zero 0
	.end_amdhsa_kernel
	.section	.text._ZN7rocprim17ROCPRIM_400000_NS6detail17trampoline_kernelINS0_14default_configENS1_25partition_config_selectorILNS1_17partition_subalgoE6EyNS0_10empty_typeEbEEZZNS1_14partition_implILS5_6ELb0ES3_mN6thrust23THRUST_200600_302600_NS6detail15normal_iteratorINSA_10device_ptrIyEEEEPS6_SG_NS0_5tupleIJSF_S6_EEENSH_IJSG_SG_EEES6_PlJNSB_9not_fun_tINSB_10functional5actorINSM_9compositeIJNSM_27transparent_binary_operatorINSA_8equal_toIvEEEENSN_INSM_8argumentILj0EEEEENSM_5valueIyEEEEEEEEEEEE10hipError_tPvRmT3_T4_T5_T6_T7_T9_mT8_P12ihipStream_tbDpT10_ENKUlT_T0_E_clISt17integral_constantIbLb0EES1K_EEDaS1F_S1G_EUlS1F_E_NS1_11comp_targetILNS1_3genE3ELNS1_11target_archE908ELNS1_3gpuE7ELNS1_3repE0EEENS1_30default_config_static_selectorELNS0_4arch9wavefront6targetE0EEEvT1_,"axG",@progbits,_ZN7rocprim17ROCPRIM_400000_NS6detail17trampoline_kernelINS0_14default_configENS1_25partition_config_selectorILNS1_17partition_subalgoE6EyNS0_10empty_typeEbEEZZNS1_14partition_implILS5_6ELb0ES3_mN6thrust23THRUST_200600_302600_NS6detail15normal_iteratorINSA_10device_ptrIyEEEEPS6_SG_NS0_5tupleIJSF_S6_EEENSH_IJSG_SG_EEES6_PlJNSB_9not_fun_tINSB_10functional5actorINSM_9compositeIJNSM_27transparent_binary_operatorINSA_8equal_toIvEEEENSN_INSM_8argumentILj0EEEEENSM_5valueIyEEEEEEEEEEEE10hipError_tPvRmT3_T4_T5_T6_T7_T9_mT8_P12ihipStream_tbDpT10_ENKUlT_T0_E_clISt17integral_constantIbLb0EES1K_EEDaS1F_S1G_EUlS1F_E_NS1_11comp_targetILNS1_3genE3ELNS1_11target_archE908ELNS1_3gpuE7ELNS1_3repE0EEENS1_30default_config_static_selectorELNS0_4arch9wavefront6targetE0EEEvT1_,comdat
.Lfunc_end83:
	.size	_ZN7rocprim17ROCPRIM_400000_NS6detail17trampoline_kernelINS0_14default_configENS1_25partition_config_selectorILNS1_17partition_subalgoE6EyNS0_10empty_typeEbEEZZNS1_14partition_implILS5_6ELb0ES3_mN6thrust23THRUST_200600_302600_NS6detail15normal_iteratorINSA_10device_ptrIyEEEEPS6_SG_NS0_5tupleIJSF_S6_EEENSH_IJSG_SG_EEES6_PlJNSB_9not_fun_tINSB_10functional5actorINSM_9compositeIJNSM_27transparent_binary_operatorINSA_8equal_toIvEEEENSN_INSM_8argumentILj0EEEEENSM_5valueIyEEEEEEEEEEEE10hipError_tPvRmT3_T4_T5_T6_T7_T9_mT8_P12ihipStream_tbDpT10_ENKUlT_T0_E_clISt17integral_constantIbLb0EES1K_EEDaS1F_S1G_EUlS1F_E_NS1_11comp_targetILNS1_3genE3ELNS1_11target_archE908ELNS1_3gpuE7ELNS1_3repE0EEENS1_30default_config_static_selectorELNS0_4arch9wavefront6targetE0EEEvT1_, .Lfunc_end83-_ZN7rocprim17ROCPRIM_400000_NS6detail17trampoline_kernelINS0_14default_configENS1_25partition_config_selectorILNS1_17partition_subalgoE6EyNS0_10empty_typeEbEEZZNS1_14partition_implILS5_6ELb0ES3_mN6thrust23THRUST_200600_302600_NS6detail15normal_iteratorINSA_10device_ptrIyEEEEPS6_SG_NS0_5tupleIJSF_S6_EEENSH_IJSG_SG_EEES6_PlJNSB_9not_fun_tINSB_10functional5actorINSM_9compositeIJNSM_27transparent_binary_operatorINSA_8equal_toIvEEEENSN_INSM_8argumentILj0EEEEENSM_5valueIyEEEEEEEEEEEE10hipError_tPvRmT3_T4_T5_T6_T7_T9_mT8_P12ihipStream_tbDpT10_ENKUlT_T0_E_clISt17integral_constantIbLb0EES1K_EEDaS1F_S1G_EUlS1F_E_NS1_11comp_targetILNS1_3genE3ELNS1_11target_archE908ELNS1_3gpuE7ELNS1_3repE0EEENS1_30default_config_static_selectorELNS0_4arch9wavefront6targetE0EEEvT1_
                                        ; -- End function
	.set _ZN7rocprim17ROCPRIM_400000_NS6detail17trampoline_kernelINS0_14default_configENS1_25partition_config_selectorILNS1_17partition_subalgoE6EyNS0_10empty_typeEbEEZZNS1_14partition_implILS5_6ELb0ES3_mN6thrust23THRUST_200600_302600_NS6detail15normal_iteratorINSA_10device_ptrIyEEEEPS6_SG_NS0_5tupleIJSF_S6_EEENSH_IJSG_SG_EEES6_PlJNSB_9not_fun_tINSB_10functional5actorINSM_9compositeIJNSM_27transparent_binary_operatorINSA_8equal_toIvEEEENSN_INSM_8argumentILj0EEEEENSM_5valueIyEEEEEEEEEEEE10hipError_tPvRmT3_T4_T5_T6_T7_T9_mT8_P12ihipStream_tbDpT10_ENKUlT_T0_E_clISt17integral_constantIbLb0EES1K_EEDaS1F_S1G_EUlS1F_E_NS1_11comp_targetILNS1_3genE3ELNS1_11target_archE908ELNS1_3gpuE7ELNS1_3repE0EEENS1_30default_config_static_selectorELNS0_4arch9wavefront6targetE0EEEvT1_.num_vgpr, 0
	.set _ZN7rocprim17ROCPRIM_400000_NS6detail17trampoline_kernelINS0_14default_configENS1_25partition_config_selectorILNS1_17partition_subalgoE6EyNS0_10empty_typeEbEEZZNS1_14partition_implILS5_6ELb0ES3_mN6thrust23THRUST_200600_302600_NS6detail15normal_iteratorINSA_10device_ptrIyEEEEPS6_SG_NS0_5tupleIJSF_S6_EEENSH_IJSG_SG_EEES6_PlJNSB_9not_fun_tINSB_10functional5actorINSM_9compositeIJNSM_27transparent_binary_operatorINSA_8equal_toIvEEEENSN_INSM_8argumentILj0EEEEENSM_5valueIyEEEEEEEEEEEE10hipError_tPvRmT3_T4_T5_T6_T7_T9_mT8_P12ihipStream_tbDpT10_ENKUlT_T0_E_clISt17integral_constantIbLb0EES1K_EEDaS1F_S1G_EUlS1F_E_NS1_11comp_targetILNS1_3genE3ELNS1_11target_archE908ELNS1_3gpuE7ELNS1_3repE0EEENS1_30default_config_static_selectorELNS0_4arch9wavefront6targetE0EEEvT1_.num_agpr, 0
	.set _ZN7rocprim17ROCPRIM_400000_NS6detail17trampoline_kernelINS0_14default_configENS1_25partition_config_selectorILNS1_17partition_subalgoE6EyNS0_10empty_typeEbEEZZNS1_14partition_implILS5_6ELb0ES3_mN6thrust23THRUST_200600_302600_NS6detail15normal_iteratorINSA_10device_ptrIyEEEEPS6_SG_NS0_5tupleIJSF_S6_EEENSH_IJSG_SG_EEES6_PlJNSB_9not_fun_tINSB_10functional5actorINSM_9compositeIJNSM_27transparent_binary_operatorINSA_8equal_toIvEEEENSN_INSM_8argumentILj0EEEEENSM_5valueIyEEEEEEEEEEEE10hipError_tPvRmT3_T4_T5_T6_T7_T9_mT8_P12ihipStream_tbDpT10_ENKUlT_T0_E_clISt17integral_constantIbLb0EES1K_EEDaS1F_S1G_EUlS1F_E_NS1_11comp_targetILNS1_3genE3ELNS1_11target_archE908ELNS1_3gpuE7ELNS1_3repE0EEENS1_30default_config_static_selectorELNS0_4arch9wavefront6targetE0EEEvT1_.numbered_sgpr, 0
	.set _ZN7rocprim17ROCPRIM_400000_NS6detail17trampoline_kernelINS0_14default_configENS1_25partition_config_selectorILNS1_17partition_subalgoE6EyNS0_10empty_typeEbEEZZNS1_14partition_implILS5_6ELb0ES3_mN6thrust23THRUST_200600_302600_NS6detail15normal_iteratorINSA_10device_ptrIyEEEEPS6_SG_NS0_5tupleIJSF_S6_EEENSH_IJSG_SG_EEES6_PlJNSB_9not_fun_tINSB_10functional5actorINSM_9compositeIJNSM_27transparent_binary_operatorINSA_8equal_toIvEEEENSN_INSM_8argumentILj0EEEEENSM_5valueIyEEEEEEEEEEEE10hipError_tPvRmT3_T4_T5_T6_T7_T9_mT8_P12ihipStream_tbDpT10_ENKUlT_T0_E_clISt17integral_constantIbLb0EES1K_EEDaS1F_S1G_EUlS1F_E_NS1_11comp_targetILNS1_3genE3ELNS1_11target_archE908ELNS1_3gpuE7ELNS1_3repE0EEENS1_30default_config_static_selectorELNS0_4arch9wavefront6targetE0EEEvT1_.num_named_barrier, 0
	.set _ZN7rocprim17ROCPRIM_400000_NS6detail17trampoline_kernelINS0_14default_configENS1_25partition_config_selectorILNS1_17partition_subalgoE6EyNS0_10empty_typeEbEEZZNS1_14partition_implILS5_6ELb0ES3_mN6thrust23THRUST_200600_302600_NS6detail15normal_iteratorINSA_10device_ptrIyEEEEPS6_SG_NS0_5tupleIJSF_S6_EEENSH_IJSG_SG_EEES6_PlJNSB_9not_fun_tINSB_10functional5actorINSM_9compositeIJNSM_27transparent_binary_operatorINSA_8equal_toIvEEEENSN_INSM_8argumentILj0EEEEENSM_5valueIyEEEEEEEEEEEE10hipError_tPvRmT3_T4_T5_T6_T7_T9_mT8_P12ihipStream_tbDpT10_ENKUlT_T0_E_clISt17integral_constantIbLb0EES1K_EEDaS1F_S1G_EUlS1F_E_NS1_11comp_targetILNS1_3genE3ELNS1_11target_archE908ELNS1_3gpuE7ELNS1_3repE0EEENS1_30default_config_static_selectorELNS0_4arch9wavefront6targetE0EEEvT1_.private_seg_size, 0
	.set _ZN7rocprim17ROCPRIM_400000_NS6detail17trampoline_kernelINS0_14default_configENS1_25partition_config_selectorILNS1_17partition_subalgoE6EyNS0_10empty_typeEbEEZZNS1_14partition_implILS5_6ELb0ES3_mN6thrust23THRUST_200600_302600_NS6detail15normal_iteratorINSA_10device_ptrIyEEEEPS6_SG_NS0_5tupleIJSF_S6_EEENSH_IJSG_SG_EEES6_PlJNSB_9not_fun_tINSB_10functional5actorINSM_9compositeIJNSM_27transparent_binary_operatorINSA_8equal_toIvEEEENSN_INSM_8argumentILj0EEEEENSM_5valueIyEEEEEEEEEEEE10hipError_tPvRmT3_T4_T5_T6_T7_T9_mT8_P12ihipStream_tbDpT10_ENKUlT_T0_E_clISt17integral_constantIbLb0EES1K_EEDaS1F_S1G_EUlS1F_E_NS1_11comp_targetILNS1_3genE3ELNS1_11target_archE908ELNS1_3gpuE7ELNS1_3repE0EEENS1_30default_config_static_selectorELNS0_4arch9wavefront6targetE0EEEvT1_.uses_vcc, 0
	.set _ZN7rocprim17ROCPRIM_400000_NS6detail17trampoline_kernelINS0_14default_configENS1_25partition_config_selectorILNS1_17partition_subalgoE6EyNS0_10empty_typeEbEEZZNS1_14partition_implILS5_6ELb0ES3_mN6thrust23THRUST_200600_302600_NS6detail15normal_iteratorINSA_10device_ptrIyEEEEPS6_SG_NS0_5tupleIJSF_S6_EEENSH_IJSG_SG_EEES6_PlJNSB_9not_fun_tINSB_10functional5actorINSM_9compositeIJNSM_27transparent_binary_operatorINSA_8equal_toIvEEEENSN_INSM_8argumentILj0EEEEENSM_5valueIyEEEEEEEEEEEE10hipError_tPvRmT3_T4_T5_T6_T7_T9_mT8_P12ihipStream_tbDpT10_ENKUlT_T0_E_clISt17integral_constantIbLb0EES1K_EEDaS1F_S1G_EUlS1F_E_NS1_11comp_targetILNS1_3genE3ELNS1_11target_archE908ELNS1_3gpuE7ELNS1_3repE0EEENS1_30default_config_static_selectorELNS0_4arch9wavefront6targetE0EEEvT1_.uses_flat_scratch, 0
	.set _ZN7rocprim17ROCPRIM_400000_NS6detail17trampoline_kernelINS0_14default_configENS1_25partition_config_selectorILNS1_17partition_subalgoE6EyNS0_10empty_typeEbEEZZNS1_14partition_implILS5_6ELb0ES3_mN6thrust23THRUST_200600_302600_NS6detail15normal_iteratorINSA_10device_ptrIyEEEEPS6_SG_NS0_5tupleIJSF_S6_EEENSH_IJSG_SG_EEES6_PlJNSB_9not_fun_tINSB_10functional5actorINSM_9compositeIJNSM_27transparent_binary_operatorINSA_8equal_toIvEEEENSN_INSM_8argumentILj0EEEEENSM_5valueIyEEEEEEEEEEEE10hipError_tPvRmT3_T4_T5_T6_T7_T9_mT8_P12ihipStream_tbDpT10_ENKUlT_T0_E_clISt17integral_constantIbLb0EES1K_EEDaS1F_S1G_EUlS1F_E_NS1_11comp_targetILNS1_3genE3ELNS1_11target_archE908ELNS1_3gpuE7ELNS1_3repE0EEENS1_30default_config_static_selectorELNS0_4arch9wavefront6targetE0EEEvT1_.has_dyn_sized_stack, 0
	.set _ZN7rocprim17ROCPRIM_400000_NS6detail17trampoline_kernelINS0_14default_configENS1_25partition_config_selectorILNS1_17partition_subalgoE6EyNS0_10empty_typeEbEEZZNS1_14partition_implILS5_6ELb0ES3_mN6thrust23THRUST_200600_302600_NS6detail15normal_iteratorINSA_10device_ptrIyEEEEPS6_SG_NS0_5tupleIJSF_S6_EEENSH_IJSG_SG_EEES6_PlJNSB_9not_fun_tINSB_10functional5actorINSM_9compositeIJNSM_27transparent_binary_operatorINSA_8equal_toIvEEEENSN_INSM_8argumentILj0EEEEENSM_5valueIyEEEEEEEEEEEE10hipError_tPvRmT3_T4_T5_T6_T7_T9_mT8_P12ihipStream_tbDpT10_ENKUlT_T0_E_clISt17integral_constantIbLb0EES1K_EEDaS1F_S1G_EUlS1F_E_NS1_11comp_targetILNS1_3genE3ELNS1_11target_archE908ELNS1_3gpuE7ELNS1_3repE0EEENS1_30default_config_static_selectorELNS0_4arch9wavefront6targetE0EEEvT1_.has_recursion, 0
	.set _ZN7rocprim17ROCPRIM_400000_NS6detail17trampoline_kernelINS0_14default_configENS1_25partition_config_selectorILNS1_17partition_subalgoE6EyNS0_10empty_typeEbEEZZNS1_14partition_implILS5_6ELb0ES3_mN6thrust23THRUST_200600_302600_NS6detail15normal_iteratorINSA_10device_ptrIyEEEEPS6_SG_NS0_5tupleIJSF_S6_EEENSH_IJSG_SG_EEES6_PlJNSB_9not_fun_tINSB_10functional5actorINSM_9compositeIJNSM_27transparent_binary_operatorINSA_8equal_toIvEEEENSN_INSM_8argumentILj0EEEEENSM_5valueIyEEEEEEEEEEEE10hipError_tPvRmT3_T4_T5_T6_T7_T9_mT8_P12ihipStream_tbDpT10_ENKUlT_T0_E_clISt17integral_constantIbLb0EES1K_EEDaS1F_S1G_EUlS1F_E_NS1_11comp_targetILNS1_3genE3ELNS1_11target_archE908ELNS1_3gpuE7ELNS1_3repE0EEENS1_30default_config_static_selectorELNS0_4arch9wavefront6targetE0EEEvT1_.has_indirect_call, 0
	.section	.AMDGPU.csdata,"",@progbits
; Kernel info:
; codeLenInByte = 0
; TotalNumSgprs: 0
; NumVgprs: 0
; ScratchSize: 0
; MemoryBound: 0
; FloatMode: 240
; IeeeMode: 1
; LDSByteSize: 0 bytes/workgroup (compile time only)
; SGPRBlocks: 0
; VGPRBlocks: 0
; NumSGPRsForWavesPerEU: 1
; NumVGPRsForWavesPerEU: 1
; Occupancy: 16
; WaveLimiterHint : 0
; COMPUTE_PGM_RSRC2:SCRATCH_EN: 0
; COMPUTE_PGM_RSRC2:USER_SGPR: 2
; COMPUTE_PGM_RSRC2:TRAP_HANDLER: 0
; COMPUTE_PGM_RSRC2:TGID_X_EN: 1
; COMPUTE_PGM_RSRC2:TGID_Y_EN: 0
; COMPUTE_PGM_RSRC2:TGID_Z_EN: 0
; COMPUTE_PGM_RSRC2:TIDIG_COMP_CNT: 0
	.section	.text._ZN7rocprim17ROCPRIM_400000_NS6detail17trampoline_kernelINS0_14default_configENS1_25partition_config_selectorILNS1_17partition_subalgoE6EyNS0_10empty_typeEbEEZZNS1_14partition_implILS5_6ELb0ES3_mN6thrust23THRUST_200600_302600_NS6detail15normal_iteratorINSA_10device_ptrIyEEEEPS6_SG_NS0_5tupleIJSF_S6_EEENSH_IJSG_SG_EEES6_PlJNSB_9not_fun_tINSB_10functional5actorINSM_9compositeIJNSM_27transparent_binary_operatorINSA_8equal_toIvEEEENSN_INSM_8argumentILj0EEEEENSM_5valueIyEEEEEEEEEEEE10hipError_tPvRmT3_T4_T5_T6_T7_T9_mT8_P12ihipStream_tbDpT10_ENKUlT_T0_E_clISt17integral_constantIbLb0EES1K_EEDaS1F_S1G_EUlS1F_E_NS1_11comp_targetILNS1_3genE2ELNS1_11target_archE906ELNS1_3gpuE6ELNS1_3repE0EEENS1_30default_config_static_selectorELNS0_4arch9wavefront6targetE0EEEvT1_,"axG",@progbits,_ZN7rocprim17ROCPRIM_400000_NS6detail17trampoline_kernelINS0_14default_configENS1_25partition_config_selectorILNS1_17partition_subalgoE6EyNS0_10empty_typeEbEEZZNS1_14partition_implILS5_6ELb0ES3_mN6thrust23THRUST_200600_302600_NS6detail15normal_iteratorINSA_10device_ptrIyEEEEPS6_SG_NS0_5tupleIJSF_S6_EEENSH_IJSG_SG_EEES6_PlJNSB_9not_fun_tINSB_10functional5actorINSM_9compositeIJNSM_27transparent_binary_operatorINSA_8equal_toIvEEEENSN_INSM_8argumentILj0EEEEENSM_5valueIyEEEEEEEEEEEE10hipError_tPvRmT3_T4_T5_T6_T7_T9_mT8_P12ihipStream_tbDpT10_ENKUlT_T0_E_clISt17integral_constantIbLb0EES1K_EEDaS1F_S1G_EUlS1F_E_NS1_11comp_targetILNS1_3genE2ELNS1_11target_archE906ELNS1_3gpuE6ELNS1_3repE0EEENS1_30default_config_static_selectorELNS0_4arch9wavefront6targetE0EEEvT1_,comdat
	.protected	_ZN7rocprim17ROCPRIM_400000_NS6detail17trampoline_kernelINS0_14default_configENS1_25partition_config_selectorILNS1_17partition_subalgoE6EyNS0_10empty_typeEbEEZZNS1_14partition_implILS5_6ELb0ES3_mN6thrust23THRUST_200600_302600_NS6detail15normal_iteratorINSA_10device_ptrIyEEEEPS6_SG_NS0_5tupleIJSF_S6_EEENSH_IJSG_SG_EEES6_PlJNSB_9not_fun_tINSB_10functional5actorINSM_9compositeIJNSM_27transparent_binary_operatorINSA_8equal_toIvEEEENSN_INSM_8argumentILj0EEEEENSM_5valueIyEEEEEEEEEEEE10hipError_tPvRmT3_T4_T5_T6_T7_T9_mT8_P12ihipStream_tbDpT10_ENKUlT_T0_E_clISt17integral_constantIbLb0EES1K_EEDaS1F_S1G_EUlS1F_E_NS1_11comp_targetILNS1_3genE2ELNS1_11target_archE906ELNS1_3gpuE6ELNS1_3repE0EEENS1_30default_config_static_selectorELNS0_4arch9wavefront6targetE0EEEvT1_ ; -- Begin function _ZN7rocprim17ROCPRIM_400000_NS6detail17trampoline_kernelINS0_14default_configENS1_25partition_config_selectorILNS1_17partition_subalgoE6EyNS0_10empty_typeEbEEZZNS1_14partition_implILS5_6ELb0ES3_mN6thrust23THRUST_200600_302600_NS6detail15normal_iteratorINSA_10device_ptrIyEEEEPS6_SG_NS0_5tupleIJSF_S6_EEENSH_IJSG_SG_EEES6_PlJNSB_9not_fun_tINSB_10functional5actorINSM_9compositeIJNSM_27transparent_binary_operatorINSA_8equal_toIvEEEENSN_INSM_8argumentILj0EEEEENSM_5valueIyEEEEEEEEEEEE10hipError_tPvRmT3_T4_T5_T6_T7_T9_mT8_P12ihipStream_tbDpT10_ENKUlT_T0_E_clISt17integral_constantIbLb0EES1K_EEDaS1F_S1G_EUlS1F_E_NS1_11comp_targetILNS1_3genE2ELNS1_11target_archE906ELNS1_3gpuE6ELNS1_3repE0EEENS1_30default_config_static_selectorELNS0_4arch9wavefront6targetE0EEEvT1_
	.globl	_ZN7rocprim17ROCPRIM_400000_NS6detail17trampoline_kernelINS0_14default_configENS1_25partition_config_selectorILNS1_17partition_subalgoE6EyNS0_10empty_typeEbEEZZNS1_14partition_implILS5_6ELb0ES3_mN6thrust23THRUST_200600_302600_NS6detail15normal_iteratorINSA_10device_ptrIyEEEEPS6_SG_NS0_5tupleIJSF_S6_EEENSH_IJSG_SG_EEES6_PlJNSB_9not_fun_tINSB_10functional5actorINSM_9compositeIJNSM_27transparent_binary_operatorINSA_8equal_toIvEEEENSN_INSM_8argumentILj0EEEEENSM_5valueIyEEEEEEEEEEEE10hipError_tPvRmT3_T4_T5_T6_T7_T9_mT8_P12ihipStream_tbDpT10_ENKUlT_T0_E_clISt17integral_constantIbLb0EES1K_EEDaS1F_S1G_EUlS1F_E_NS1_11comp_targetILNS1_3genE2ELNS1_11target_archE906ELNS1_3gpuE6ELNS1_3repE0EEENS1_30default_config_static_selectorELNS0_4arch9wavefront6targetE0EEEvT1_
	.p2align	8
	.type	_ZN7rocprim17ROCPRIM_400000_NS6detail17trampoline_kernelINS0_14default_configENS1_25partition_config_selectorILNS1_17partition_subalgoE6EyNS0_10empty_typeEbEEZZNS1_14partition_implILS5_6ELb0ES3_mN6thrust23THRUST_200600_302600_NS6detail15normal_iteratorINSA_10device_ptrIyEEEEPS6_SG_NS0_5tupleIJSF_S6_EEENSH_IJSG_SG_EEES6_PlJNSB_9not_fun_tINSB_10functional5actorINSM_9compositeIJNSM_27transparent_binary_operatorINSA_8equal_toIvEEEENSN_INSM_8argumentILj0EEEEENSM_5valueIyEEEEEEEEEEEE10hipError_tPvRmT3_T4_T5_T6_T7_T9_mT8_P12ihipStream_tbDpT10_ENKUlT_T0_E_clISt17integral_constantIbLb0EES1K_EEDaS1F_S1G_EUlS1F_E_NS1_11comp_targetILNS1_3genE2ELNS1_11target_archE906ELNS1_3gpuE6ELNS1_3repE0EEENS1_30default_config_static_selectorELNS0_4arch9wavefront6targetE0EEEvT1_,@function
_ZN7rocprim17ROCPRIM_400000_NS6detail17trampoline_kernelINS0_14default_configENS1_25partition_config_selectorILNS1_17partition_subalgoE6EyNS0_10empty_typeEbEEZZNS1_14partition_implILS5_6ELb0ES3_mN6thrust23THRUST_200600_302600_NS6detail15normal_iteratorINSA_10device_ptrIyEEEEPS6_SG_NS0_5tupleIJSF_S6_EEENSH_IJSG_SG_EEES6_PlJNSB_9not_fun_tINSB_10functional5actorINSM_9compositeIJNSM_27transparent_binary_operatorINSA_8equal_toIvEEEENSN_INSM_8argumentILj0EEEEENSM_5valueIyEEEEEEEEEEEE10hipError_tPvRmT3_T4_T5_T6_T7_T9_mT8_P12ihipStream_tbDpT10_ENKUlT_T0_E_clISt17integral_constantIbLb0EES1K_EEDaS1F_S1G_EUlS1F_E_NS1_11comp_targetILNS1_3genE2ELNS1_11target_archE906ELNS1_3gpuE6ELNS1_3repE0EEENS1_30default_config_static_selectorELNS0_4arch9wavefront6targetE0EEEvT1_: ; @_ZN7rocprim17ROCPRIM_400000_NS6detail17trampoline_kernelINS0_14default_configENS1_25partition_config_selectorILNS1_17partition_subalgoE6EyNS0_10empty_typeEbEEZZNS1_14partition_implILS5_6ELb0ES3_mN6thrust23THRUST_200600_302600_NS6detail15normal_iteratorINSA_10device_ptrIyEEEEPS6_SG_NS0_5tupleIJSF_S6_EEENSH_IJSG_SG_EEES6_PlJNSB_9not_fun_tINSB_10functional5actorINSM_9compositeIJNSM_27transparent_binary_operatorINSA_8equal_toIvEEEENSN_INSM_8argumentILj0EEEEENSM_5valueIyEEEEEEEEEEEE10hipError_tPvRmT3_T4_T5_T6_T7_T9_mT8_P12ihipStream_tbDpT10_ENKUlT_T0_E_clISt17integral_constantIbLb0EES1K_EEDaS1F_S1G_EUlS1F_E_NS1_11comp_targetILNS1_3genE2ELNS1_11target_archE906ELNS1_3gpuE6ELNS1_3repE0EEENS1_30default_config_static_selectorELNS0_4arch9wavefront6targetE0EEEvT1_
; %bb.0:
	.section	.rodata,"a",@progbits
	.p2align	6, 0x0
	.amdhsa_kernel _ZN7rocprim17ROCPRIM_400000_NS6detail17trampoline_kernelINS0_14default_configENS1_25partition_config_selectorILNS1_17partition_subalgoE6EyNS0_10empty_typeEbEEZZNS1_14partition_implILS5_6ELb0ES3_mN6thrust23THRUST_200600_302600_NS6detail15normal_iteratorINSA_10device_ptrIyEEEEPS6_SG_NS0_5tupleIJSF_S6_EEENSH_IJSG_SG_EEES6_PlJNSB_9not_fun_tINSB_10functional5actorINSM_9compositeIJNSM_27transparent_binary_operatorINSA_8equal_toIvEEEENSN_INSM_8argumentILj0EEEEENSM_5valueIyEEEEEEEEEEEE10hipError_tPvRmT3_T4_T5_T6_T7_T9_mT8_P12ihipStream_tbDpT10_ENKUlT_T0_E_clISt17integral_constantIbLb0EES1K_EEDaS1F_S1G_EUlS1F_E_NS1_11comp_targetILNS1_3genE2ELNS1_11target_archE906ELNS1_3gpuE6ELNS1_3repE0EEENS1_30default_config_static_selectorELNS0_4arch9wavefront6targetE0EEEvT1_
		.amdhsa_group_segment_fixed_size 0
		.amdhsa_private_segment_fixed_size 0
		.amdhsa_kernarg_size 128
		.amdhsa_user_sgpr_count 2
		.amdhsa_user_sgpr_dispatch_ptr 0
		.amdhsa_user_sgpr_queue_ptr 0
		.amdhsa_user_sgpr_kernarg_segment_ptr 1
		.amdhsa_user_sgpr_dispatch_id 0
		.amdhsa_user_sgpr_private_segment_size 0
		.amdhsa_wavefront_size32 1
		.amdhsa_uses_dynamic_stack 0
		.amdhsa_enable_private_segment 0
		.amdhsa_system_sgpr_workgroup_id_x 1
		.amdhsa_system_sgpr_workgroup_id_y 0
		.amdhsa_system_sgpr_workgroup_id_z 0
		.amdhsa_system_sgpr_workgroup_info 0
		.amdhsa_system_vgpr_workitem_id 0
		.amdhsa_next_free_vgpr 1
		.amdhsa_next_free_sgpr 1
		.amdhsa_reserve_vcc 0
		.amdhsa_float_round_mode_32 0
		.amdhsa_float_round_mode_16_64 0
		.amdhsa_float_denorm_mode_32 3
		.amdhsa_float_denorm_mode_16_64 3
		.amdhsa_fp16_overflow 0
		.amdhsa_workgroup_processor_mode 1
		.amdhsa_memory_ordered 1
		.amdhsa_forward_progress 1
		.amdhsa_inst_pref_size 0
		.amdhsa_round_robin_scheduling 0
		.amdhsa_exception_fp_ieee_invalid_op 0
		.amdhsa_exception_fp_denorm_src 0
		.amdhsa_exception_fp_ieee_div_zero 0
		.amdhsa_exception_fp_ieee_overflow 0
		.amdhsa_exception_fp_ieee_underflow 0
		.amdhsa_exception_fp_ieee_inexact 0
		.amdhsa_exception_int_div_zero 0
	.end_amdhsa_kernel
	.section	.text._ZN7rocprim17ROCPRIM_400000_NS6detail17trampoline_kernelINS0_14default_configENS1_25partition_config_selectorILNS1_17partition_subalgoE6EyNS0_10empty_typeEbEEZZNS1_14partition_implILS5_6ELb0ES3_mN6thrust23THRUST_200600_302600_NS6detail15normal_iteratorINSA_10device_ptrIyEEEEPS6_SG_NS0_5tupleIJSF_S6_EEENSH_IJSG_SG_EEES6_PlJNSB_9not_fun_tINSB_10functional5actorINSM_9compositeIJNSM_27transparent_binary_operatorINSA_8equal_toIvEEEENSN_INSM_8argumentILj0EEEEENSM_5valueIyEEEEEEEEEEEE10hipError_tPvRmT3_T4_T5_T6_T7_T9_mT8_P12ihipStream_tbDpT10_ENKUlT_T0_E_clISt17integral_constantIbLb0EES1K_EEDaS1F_S1G_EUlS1F_E_NS1_11comp_targetILNS1_3genE2ELNS1_11target_archE906ELNS1_3gpuE6ELNS1_3repE0EEENS1_30default_config_static_selectorELNS0_4arch9wavefront6targetE0EEEvT1_,"axG",@progbits,_ZN7rocprim17ROCPRIM_400000_NS6detail17trampoline_kernelINS0_14default_configENS1_25partition_config_selectorILNS1_17partition_subalgoE6EyNS0_10empty_typeEbEEZZNS1_14partition_implILS5_6ELb0ES3_mN6thrust23THRUST_200600_302600_NS6detail15normal_iteratorINSA_10device_ptrIyEEEEPS6_SG_NS0_5tupleIJSF_S6_EEENSH_IJSG_SG_EEES6_PlJNSB_9not_fun_tINSB_10functional5actorINSM_9compositeIJNSM_27transparent_binary_operatorINSA_8equal_toIvEEEENSN_INSM_8argumentILj0EEEEENSM_5valueIyEEEEEEEEEEEE10hipError_tPvRmT3_T4_T5_T6_T7_T9_mT8_P12ihipStream_tbDpT10_ENKUlT_T0_E_clISt17integral_constantIbLb0EES1K_EEDaS1F_S1G_EUlS1F_E_NS1_11comp_targetILNS1_3genE2ELNS1_11target_archE906ELNS1_3gpuE6ELNS1_3repE0EEENS1_30default_config_static_selectorELNS0_4arch9wavefront6targetE0EEEvT1_,comdat
.Lfunc_end84:
	.size	_ZN7rocprim17ROCPRIM_400000_NS6detail17trampoline_kernelINS0_14default_configENS1_25partition_config_selectorILNS1_17partition_subalgoE6EyNS0_10empty_typeEbEEZZNS1_14partition_implILS5_6ELb0ES3_mN6thrust23THRUST_200600_302600_NS6detail15normal_iteratorINSA_10device_ptrIyEEEEPS6_SG_NS0_5tupleIJSF_S6_EEENSH_IJSG_SG_EEES6_PlJNSB_9not_fun_tINSB_10functional5actorINSM_9compositeIJNSM_27transparent_binary_operatorINSA_8equal_toIvEEEENSN_INSM_8argumentILj0EEEEENSM_5valueIyEEEEEEEEEEEE10hipError_tPvRmT3_T4_T5_T6_T7_T9_mT8_P12ihipStream_tbDpT10_ENKUlT_T0_E_clISt17integral_constantIbLb0EES1K_EEDaS1F_S1G_EUlS1F_E_NS1_11comp_targetILNS1_3genE2ELNS1_11target_archE906ELNS1_3gpuE6ELNS1_3repE0EEENS1_30default_config_static_selectorELNS0_4arch9wavefront6targetE0EEEvT1_, .Lfunc_end84-_ZN7rocprim17ROCPRIM_400000_NS6detail17trampoline_kernelINS0_14default_configENS1_25partition_config_selectorILNS1_17partition_subalgoE6EyNS0_10empty_typeEbEEZZNS1_14partition_implILS5_6ELb0ES3_mN6thrust23THRUST_200600_302600_NS6detail15normal_iteratorINSA_10device_ptrIyEEEEPS6_SG_NS0_5tupleIJSF_S6_EEENSH_IJSG_SG_EEES6_PlJNSB_9not_fun_tINSB_10functional5actorINSM_9compositeIJNSM_27transparent_binary_operatorINSA_8equal_toIvEEEENSN_INSM_8argumentILj0EEEEENSM_5valueIyEEEEEEEEEEEE10hipError_tPvRmT3_T4_T5_T6_T7_T9_mT8_P12ihipStream_tbDpT10_ENKUlT_T0_E_clISt17integral_constantIbLb0EES1K_EEDaS1F_S1G_EUlS1F_E_NS1_11comp_targetILNS1_3genE2ELNS1_11target_archE906ELNS1_3gpuE6ELNS1_3repE0EEENS1_30default_config_static_selectorELNS0_4arch9wavefront6targetE0EEEvT1_
                                        ; -- End function
	.set _ZN7rocprim17ROCPRIM_400000_NS6detail17trampoline_kernelINS0_14default_configENS1_25partition_config_selectorILNS1_17partition_subalgoE6EyNS0_10empty_typeEbEEZZNS1_14partition_implILS5_6ELb0ES3_mN6thrust23THRUST_200600_302600_NS6detail15normal_iteratorINSA_10device_ptrIyEEEEPS6_SG_NS0_5tupleIJSF_S6_EEENSH_IJSG_SG_EEES6_PlJNSB_9not_fun_tINSB_10functional5actorINSM_9compositeIJNSM_27transparent_binary_operatorINSA_8equal_toIvEEEENSN_INSM_8argumentILj0EEEEENSM_5valueIyEEEEEEEEEEEE10hipError_tPvRmT3_T4_T5_T6_T7_T9_mT8_P12ihipStream_tbDpT10_ENKUlT_T0_E_clISt17integral_constantIbLb0EES1K_EEDaS1F_S1G_EUlS1F_E_NS1_11comp_targetILNS1_3genE2ELNS1_11target_archE906ELNS1_3gpuE6ELNS1_3repE0EEENS1_30default_config_static_selectorELNS0_4arch9wavefront6targetE0EEEvT1_.num_vgpr, 0
	.set _ZN7rocprim17ROCPRIM_400000_NS6detail17trampoline_kernelINS0_14default_configENS1_25partition_config_selectorILNS1_17partition_subalgoE6EyNS0_10empty_typeEbEEZZNS1_14partition_implILS5_6ELb0ES3_mN6thrust23THRUST_200600_302600_NS6detail15normal_iteratorINSA_10device_ptrIyEEEEPS6_SG_NS0_5tupleIJSF_S6_EEENSH_IJSG_SG_EEES6_PlJNSB_9not_fun_tINSB_10functional5actorINSM_9compositeIJNSM_27transparent_binary_operatorINSA_8equal_toIvEEEENSN_INSM_8argumentILj0EEEEENSM_5valueIyEEEEEEEEEEEE10hipError_tPvRmT3_T4_T5_T6_T7_T9_mT8_P12ihipStream_tbDpT10_ENKUlT_T0_E_clISt17integral_constantIbLb0EES1K_EEDaS1F_S1G_EUlS1F_E_NS1_11comp_targetILNS1_3genE2ELNS1_11target_archE906ELNS1_3gpuE6ELNS1_3repE0EEENS1_30default_config_static_selectorELNS0_4arch9wavefront6targetE0EEEvT1_.num_agpr, 0
	.set _ZN7rocprim17ROCPRIM_400000_NS6detail17trampoline_kernelINS0_14default_configENS1_25partition_config_selectorILNS1_17partition_subalgoE6EyNS0_10empty_typeEbEEZZNS1_14partition_implILS5_6ELb0ES3_mN6thrust23THRUST_200600_302600_NS6detail15normal_iteratorINSA_10device_ptrIyEEEEPS6_SG_NS0_5tupleIJSF_S6_EEENSH_IJSG_SG_EEES6_PlJNSB_9not_fun_tINSB_10functional5actorINSM_9compositeIJNSM_27transparent_binary_operatorINSA_8equal_toIvEEEENSN_INSM_8argumentILj0EEEEENSM_5valueIyEEEEEEEEEEEE10hipError_tPvRmT3_T4_T5_T6_T7_T9_mT8_P12ihipStream_tbDpT10_ENKUlT_T0_E_clISt17integral_constantIbLb0EES1K_EEDaS1F_S1G_EUlS1F_E_NS1_11comp_targetILNS1_3genE2ELNS1_11target_archE906ELNS1_3gpuE6ELNS1_3repE0EEENS1_30default_config_static_selectorELNS0_4arch9wavefront6targetE0EEEvT1_.numbered_sgpr, 0
	.set _ZN7rocprim17ROCPRIM_400000_NS6detail17trampoline_kernelINS0_14default_configENS1_25partition_config_selectorILNS1_17partition_subalgoE6EyNS0_10empty_typeEbEEZZNS1_14partition_implILS5_6ELb0ES3_mN6thrust23THRUST_200600_302600_NS6detail15normal_iteratorINSA_10device_ptrIyEEEEPS6_SG_NS0_5tupleIJSF_S6_EEENSH_IJSG_SG_EEES6_PlJNSB_9not_fun_tINSB_10functional5actorINSM_9compositeIJNSM_27transparent_binary_operatorINSA_8equal_toIvEEEENSN_INSM_8argumentILj0EEEEENSM_5valueIyEEEEEEEEEEEE10hipError_tPvRmT3_T4_T5_T6_T7_T9_mT8_P12ihipStream_tbDpT10_ENKUlT_T0_E_clISt17integral_constantIbLb0EES1K_EEDaS1F_S1G_EUlS1F_E_NS1_11comp_targetILNS1_3genE2ELNS1_11target_archE906ELNS1_3gpuE6ELNS1_3repE0EEENS1_30default_config_static_selectorELNS0_4arch9wavefront6targetE0EEEvT1_.num_named_barrier, 0
	.set _ZN7rocprim17ROCPRIM_400000_NS6detail17trampoline_kernelINS0_14default_configENS1_25partition_config_selectorILNS1_17partition_subalgoE6EyNS0_10empty_typeEbEEZZNS1_14partition_implILS5_6ELb0ES3_mN6thrust23THRUST_200600_302600_NS6detail15normal_iteratorINSA_10device_ptrIyEEEEPS6_SG_NS0_5tupleIJSF_S6_EEENSH_IJSG_SG_EEES6_PlJNSB_9not_fun_tINSB_10functional5actorINSM_9compositeIJNSM_27transparent_binary_operatorINSA_8equal_toIvEEEENSN_INSM_8argumentILj0EEEEENSM_5valueIyEEEEEEEEEEEE10hipError_tPvRmT3_T4_T5_T6_T7_T9_mT8_P12ihipStream_tbDpT10_ENKUlT_T0_E_clISt17integral_constantIbLb0EES1K_EEDaS1F_S1G_EUlS1F_E_NS1_11comp_targetILNS1_3genE2ELNS1_11target_archE906ELNS1_3gpuE6ELNS1_3repE0EEENS1_30default_config_static_selectorELNS0_4arch9wavefront6targetE0EEEvT1_.private_seg_size, 0
	.set _ZN7rocprim17ROCPRIM_400000_NS6detail17trampoline_kernelINS0_14default_configENS1_25partition_config_selectorILNS1_17partition_subalgoE6EyNS0_10empty_typeEbEEZZNS1_14partition_implILS5_6ELb0ES3_mN6thrust23THRUST_200600_302600_NS6detail15normal_iteratorINSA_10device_ptrIyEEEEPS6_SG_NS0_5tupleIJSF_S6_EEENSH_IJSG_SG_EEES6_PlJNSB_9not_fun_tINSB_10functional5actorINSM_9compositeIJNSM_27transparent_binary_operatorINSA_8equal_toIvEEEENSN_INSM_8argumentILj0EEEEENSM_5valueIyEEEEEEEEEEEE10hipError_tPvRmT3_T4_T5_T6_T7_T9_mT8_P12ihipStream_tbDpT10_ENKUlT_T0_E_clISt17integral_constantIbLb0EES1K_EEDaS1F_S1G_EUlS1F_E_NS1_11comp_targetILNS1_3genE2ELNS1_11target_archE906ELNS1_3gpuE6ELNS1_3repE0EEENS1_30default_config_static_selectorELNS0_4arch9wavefront6targetE0EEEvT1_.uses_vcc, 0
	.set _ZN7rocprim17ROCPRIM_400000_NS6detail17trampoline_kernelINS0_14default_configENS1_25partition_config_selectorILNS1_17partition_subalgoE6EyNS0_10empty_typeEbEEZZNS1_14partition_implILS5_6ELb0ES3_mN6thrust23THRUST_200600_302600_NS6detail15normal_iteratorINSA_10device_ptrIyEEEEPS6_SG_NS0_5tupleIJSF_S6_EEENSH_IJSG_SG_EEES6_PlJNSB_9not_fun_tINSB_10functional5actorINSM_9compositeIJNSM_27transparent_binary_operatorINSA_8equal_toIvEEEENSN_INSM_8argumentILj0EEEEENSM_5valueIyEEEEEEEEEEEE10hipError_tPvRmT3_T4_T5_T6_T7_T9_mT8_P12ihipStream_tbDpT10_ENKUlT_T0_E_clISt17integral_constantIbLb0EES1K_EEDaS1F_S1G_EUlS1F_E_NS1_11comp_targetILNS1_3genE2ELNS1_11target_archE906ELNS1_3gpuE6ELNS1_3repE0EEENS1_30default_config_static_selectorELNS0_4arch9wavefront6targetE0EEEvT1_.uses_flat_scratch, 0
	.set _ZN7rocprim17ROCPRIM_400000_NS6detail17trampoline_kernelINS0_14default_configENS1_25partition_config_selectorILNS1_17partition_subalgoE6EyNS0_10empty_typeEbEEZZNS1_14partition_implILS5_6ELb0ES3_mN6thrust23THRUST_200600_302600_NS6detail15normal_iteratorINSA_10device_ptrIyEEEEPS6_SG_NS0_5tupleIJSF_S6_EEENSH_IJSG_SG_EEES6_PlJNSB_9not_fun_tINSB_10functional5actorINSM_9compositeIJNSM_27transparent_binary_operatorINSA_8equal_toIvEEEENSN_INSM_8argumentILj0EEEEENSM_5valueIyEEEEEEEEEEEE10hipError_tPvRmT3_T4_T5_T6_T7_T9_mT8_P12ihipStream_tbDpT10_ENKUlT_T0_E_clISt17integral_constantIbLb0EES1K_EEDaS1F_S1G_EUlS1F_E_NS1_11comp_targetILNS1_3genE2ELNS1_11target_archE906ELNS1_3gpuE6ELNS1_3repE0EEENS1_30default_config_static_selectorELNS0_4arch9wavefront6targetE0EEEvT1_.has_dyn_sized_stack, 0
	.set _ZN7rocprim17ROCPRIM_400000_NS6detail17trampoline_kernelINS0_14default_configENS1_25partition_config_selectorILNS1_17partition_subalgoE6EyNS0_10empty_typeEbEEZZNS1_14partition_implILS5_6ELb0ES3_mN6thrust23THRUST_200600_302600_NS6detail15normal_iteratorINSA_10device_ptrIyEEEEPS6_SG_NS0_5tupleIJSF_S6_EEENSH_IJSG_SG_EEES6_PlJNSB_9not_fun_tINSB_10functional5actorINSM_9compositeIJNSM_27transparent_binary_operatorINSA_8equal_toIvEEEENSN_INSM_8argumentILj0EEEEENSM_5valueIyEEEEEEEEEEEE10hipError_tPvRmT3_T4_T5_T6_T7_T9_mT8_P12ihipStream_tbDpT10_ENKUlT_T0_E_clISt17integral_constantIbLb0EES1K_EEDaS1F_S1G_EUlS1F_E_NS1_11comp_targetILNS1_3genE2ELNS1_11target_archE906ELNS1_3gpuE6ELNS1_3repE0EEENS1_30default_config_static_selectorELNS0_4arch9wavefront6targetE0EEEvT1_.has_recursion, 0
	.set _ZN7rocprim17ROCPRIM_400000_NS6detail17trampoline_kernelINS0_14default_configENS1_25partition_config_selectorILNS1_17partition_subalgoE6EyNS0_10empty_typeEbEEZZNS1_14partition_implILS5_6ELb0ES3_mN6thrust23THRUST_200600_302600_NS6detail15normal_iteratorINSA_10device_ptrIyEEEEPS6_SG_NS0_5tupleIJSF_S6_EEENSH_IJSG_SG_EEES6_PlJNSB_9not_fun_tINSB_10functional5actorINSM_9compositeIJNSM_27transparent_binary_operatorINSA_8equal_toIvEEEENSN_INSM_8argumentILj0EEEEENSM_5valueIyEEEEEEEEEEEE10hipError_tPvRmT3_T4_T5_T6_T7_T9_mT8_P12ihipStream_tbDpT10_ENKUlT_T0_E_clISt17integral_constantIbLb0EES1K_EEDaS1F_S1G_EUlS1F_E_NS1_11comp_targetILNS1_3genE2ELNS1_11target_archE906ELNS1_3gpuE6ELNS1_3repE0EEENS1_30default_config_static_selectorELNS0_4arch9wavefront6targetE0EEEvT1_.has_indirect_call, 0
	.section	.AMDGPU.csdata,"",@progbits
; Kernel info:
; codeLenInByte = 0
; TotalNumSgprs: 0
; NumVgprs: 0
; ScratchSize: 0
; MemoryBound: 0
; FloatMode: 240
; IeeeMode: 1
; LDSByteSize: 0 bytes/workgroup (compile time only)
; SGPRBlocks: 0
; VGPRBlocks: 0
; NumSGPRsForWavesPerEU: 1
; NumVGPRsForWavesPerEU: 1
; Occupancy: 16
; WaveLimiterHint : 0
; COMPUTE_PGM_RSRC2:SCRATCH_EN: 0
; COMPUTE_PGM_RSRC2:USER_SGPR: 2
; COMPUTE_PGM_RSRC2:TRAP_HANDLER: 0
; COMPUTE_PGM_RSRC2:TGID_X_EN: 1
; COMPUTE_PGM_RSRC2:TGID_Y_EN: 0
; COMPUTE_PGM_RSRC2:TGID_Z_EN: 0
; COMPUTE_PGM_RSRC2:TIDIG_COMP_CNT: 0
	.section	.text._ZN7rocprim17ROCPRIM_400000_NS6detail17trampoline_kernelINS0_14default_configENS1_25partition_config_selectorILNS1_17partition_subalgoE6EyNS0_10empty_typeEbEEZZNS1_14partition_implILS5_6ELb0ES3_mN6thrust23THRUST_200600_302600_NS6detail15normal_iteratorINSA_10device_ptrIyEEEEPS6_SG_NS0_5tupleIJSF_S6_EEENSH_IJSG_SG_EEES6_PlJNSB_9not_fun_tINSB_10functional5actorINSM_9compositeIJNSM_27transparent_binary_operatorINSA_8equal_toIvEEEENSN_INSM_8argumentILj0EEEEENSM_5valueIyEEEEEEEEEEEE10hipError_tPvRmT3_T4_T5_T6_T7_T9_mT8_P12ihipStream_tbDpT10_ENKUlT_T0_E_clISt17integral_constantIbLb0EES1K_EEDaS1F_S1G_EUlS1F_E_NS1_11comp_targetILNS1_3genE10ELNS1_11target_archE1200ELNS1_3gpuE4ELNS1_3repE0EEENS1_30default_config_static_selectorELNS0_4arch9wavefront6targetE0EEEvT1_,"axG",@progbits,_ZN7rocprim17ROCPRIM_400000_NS6detail17trampoline_kernelINS0_14default_configENS1_25partition_config_selectorILNS1_17partition_subalgoE6EyNS0_10empty_typeEbEEZZNS1_14partition_implILS5_6ELb0ES3_mN6thrust23THRUST_200600_302600_NS6detail15normal_iteratorINSA_10device_ptrIyEEEEPS6_SG_NS0_5tupleIJSF_S6_EEENSH_IJSG_SG_EEES6_PlJNSB_9not_fun_tINSB_10functional5actorINSM_9compositeIJNSM_27transparent_binary_operatorINSA_8equal_toIvEEEENSN_INSM_8argumentILj0EEEEENSM_5valueIyEEEEEEEEEEEE10hipError_tPvRmT3_T4_T5_T6_T7_T9_mT8_P12ihipStream_tbDpT10_ENKUlT_T0_E_clISt17integral_constantIbLb0EES1K_EEDaS1F_S1G_EUlS1F_E_NS1_11comp_targetILNS1_3genE10ELNS1_11target_archE1200ELNS1_3gpuE4ELNS1_3repE0EEENS1_30default_config_static_selectorELNS0_4arch9wavefront6targetE0EEEvT1_,comdat
	.protected	_ZN7rocprim17ROCPRIM_400000_NS6detail17trampoline_kernelINS0_14default_configENS1_25partition_config_selectorILNS1_17partition_subalgoE6EyNS0_10empty_typeEbEEZZNS1_14partition_implILS5_6ELb0ES3_mN6thrust23THRUST_200600_302600_NS6detail15normal_iteratorINSA_10device_ptrIyEEEEPS6_SG_NS0_5tupleIJSF_S6_EEENSH_IJSG_SG_EEES6_PlJNSB_9not_fun_tINSB_10functional5actorINSM_9compositeIJNSM_27transparent_binary_operatorINSA_8equal_toIvEEEENSN_INSM_8argumentILj0EEEEENSM_5valueIyEEEEEEEEEEEE10hipError_tPvRmT3_T4_T5_T6_T7_T9_mT8_P12ihipStream_tbDpT10_ENKUlT_T0_E_clISt17integral_constantIbLb0EES1K_EEDaS1F_S1G_EUlS1F_E_NS1_11comp_targetILNS1_3genE10ELNS1_11target_archE1200ELNS1_3gpuE4ELNS1_3repE0EEENS1_30default_config_static_selectorELNS0_4arch9wavefront6targetE0EEEvT1_ ; -- Begin function _ZN7rocprim17ROCPRIM_400000_NS6detail17trampoline_kernelINS0_14default_configENS1_25partition_config_selectorILNS1_17partition_subalgoE6EyNS0_10empty_typeEbEEZZNS1_14partition_implILS5_6ELb0ES3_mN6thrust23THRUST_200600_302600_NS6detail15normal_iteratorINSA_10device_ptrIyEEEEPS6_SG_NS0_5tupleIJSF_S6_EEENSH_IJSG_SG_EEES6_PlJNSB_9not_fun_tINSB_10functional5actorINSM_9compositeIJNSM_27transparent_binary_operatorINSA_8equal_toIvEEEENSN_INSM_8argumentILj0EEEEENSM_5valueIyEEEEEEEEEEEE10hipError_tPvRmT3_T4_T5_T6_T7_T9_mT8_P12ihipStream_tbDpT10_ENKUlT_T0_E_clISt17integral_constantIbLb0EES1K_EEDaS1F_S1G_EUlS1F_E_NS1_11comp_targetILNS1_3genE10ELNS1_11target_archE1200ELNS1_3gpuE4ELNS1_3repE0EEENS1_30default_config_static_selectorELNS0_4arch9wavefront6targetE0EEEvT1_
	.globl	_ZN7rocprim17ROCPRIM_400000_NS6detail17trampoline_kernelINS0_14default_configENS1_25partition_config_selectorILNS1_17partition_subalgoE6EyNS0_10empty_typeEbEEZZNS1_14partition_implILS5_6ELb0ES3_mN6thrust23THRUST_200600_302600_NS6detail15normal_iteratorINSA_10device_ptrIyEEEEPS6_SG_NS0_5tupleIJSF_S6_EEENSH_IJSG_SG_EEES6_PlJNSB_9not_fun_tINSB_10functional5actorINSM_9compositeIJNSM_27transparent_binary_operatorINSA_8equal_toIvEEEENSN_INSM_8argumentILj0EEEEENSM_5valueIyEEEEEEEEEEEE10hipError_tPvRmT3_T4_T5_T6_T7_T9_mT8_P12ihipStream_tbDpT10_ENKUlT_T0_E_clISt17integral_constantIbLb0EES1K_EEDaS1F_S1G_EUlS1F_E_NS1_11comp_targetILNS1_3genE10ELNS1_11target_archE1200ELNS1_3gpuE4ELNS1_3repE0EEENS1_30default_config_static_selectorELNS0_4arch9wavefront6targetE0EEEvT1_
	.p2align	8
	.type	_ZN7rocprim17ROCPRIM_400000_NS6detail17trampoline_kernelINS0_14default_configENS1_25partition_config_selectorILNS1_17partition_subalgoE6EyNS0_10empty_typeEbEEZZNS1_14partition_implILS5_6ELb0ES3_mN6thrust23THRUST_200600_302600_NS6detail15normal_iteratorINSA_10device_ptrIyEEEEPS6_SG_NS0_5tupleIJSF_S6_EEENSH_IJSG_SG_EEES6_PlJNSB_9not_fun_tINSB_10functional5actorINSM_9compositeIJNSM_27transparent_binary_operatorINSA_8equal_toIvEEEENSN_INSM_8argumentILj0EEEEENSM_5valueIyEEEEEEEEEEEE10hipError_tPvRmT3_T4_T5_T6_T7_T9_mT8_P12ihipStream_tbDpT10_ENKUlT_T0_E_clISt17integral_constantIbLb0EES1K_EEDaS1F_S1G_EUlS1F_E_NS1_11comp_targetILNS1_3genE10ELNS1_11target_archE1200ELNS1_3gpuE4ELNS1_3repE0EEENS1_30default_config_static_selectorELNS0_4arch9wavefront6targetE0EEEvT1_,@function
_ZN7rocprim17ROCPRIM_400000_NS6detail17trampoline_kernelINS0_14default_configENS1_25partition_config_selectorILNS1_17partition_subalgoE6EyNS0_10empty_typeEbEEZZNS1_14partition_implILS5_6ELb0ES3_mN6thrust23THRUST_200600_302600_NS6detail15normal_iteratorINSA_10device_ptrIyEEEEPS6_SG_NS0_5tupleIJSF_S6_EEENSH_IJSG_SG_EEES6_PlJNSB_9not_fun_tINSB_10functional5actorINSM_9compositeIJNSM_27transparent_binary_operatorINSA_8equal_toIvEEEENSN_INSM_8argumentILj0EEEEENSM_5valueIyEEEEEEEEEEEE10hipError_tPvRmT3_T4_T5_T6_T7_T9_mT8_P12ihipStream_tbDpT10_ENKUlT_T0_E_clISt17integral_constantIbLb0EES1K_EEDaS1F_S1G_EUlS1F_E_NS1_11comp_targetILNS1_3genE10ELNS1_11target_archE1200ELNS1_3gpuE4ELNS1_3repE0EEENS1_30default_config_static_selectorELNS0_4arch9wavefront6targetE0EEEvT1_: ; @_ZN7rocprim17ROCPRIM_400000_NS6detail17trampoline_kernelINS0_14default_configENS1_25partition_config_selectorILNS1_17partition_subalgoE6EyNS0_10empty_typeEbEEZZNS1_14partition_implILS5_6ELb0ES3_mN6thrust23THRUST_200600_302600_NS6detail15normal_iteratorINSA_10device_ptrIyEEEEPS6_SG_NS0_5tupleIJSF_S6_EEENSH_IJSG_SG_EEES6_PlJNSB_9not_fun_tINSB_10functional5actorINSM_9compositeIJNSM_27transparent_binary_operatorINSA_8equal_toIvEEEENSN_INSM_8argumentILj0EEEEENSM_5valueIyEEEEEEEEEEEE10hipError_tPvRmT3_T4_T5_T6_T7_T9_mT8_P12ihipStream_tbDpT10_ENKUlT_T0_E_clISt17integral_constantIbLb0EES1K_EEDaS1F_S1G_EUlS1F_E_NS1_11comp_targetILNS1_3genE10ELNS1_11target_archE1200ELNS1_3gpuE4ELNS1_3repE0EEENS1_30default_config_static_selectorELNS0_4arch9wavefront6targetE0EEEvT1_
; %bb.0:
	s_clause 0x3
	s_load_b128 s[16:19], s[0:1], 0x8
	s_load_b128 s[8:11], s[0:1], 0x40
	s_load_b32 s3, s[0:1], 0x68
	s_load_b64 s[4:5], s[0:1], 0x50
	s_mov_b32 s7, 0
	s_lshl_b32 s2, ttmp9, 10
	v_lshrrev_b32_e32 v9, 2, v0
	v_or_b32_e32 v11, 0x200, v0
	v_or_b32_e32 v10, 0x300, v0
	s_mov_b32 s14, -1
	s_wait_kmcnt 0x0
	s_lshl_b64 s[20:21], s[18:19], 3
	s_load_b64 s[10:11], s[10:11], 0x0
	s_lshl_b32 s6, s3, 10
	s_add_co_i32 s3, s3, -1
	s_add_nc_u64 s[12:13], s[18:19], s[6:7]
	s_lshl_b32 s6, s3, 10
	v_cmp_le_u64_e64 s13, s[4:5], s[12:13]
	s_add_co_i32 s5, s18, s6
	s_cmp_eq_u32 ttmp9, s3
	s_mov_b32 s3, s7
	s_cselect_b32 s12, -1, 0
	s_add_nc_u64 s[6:7], s[16:17], s[20:21]
	s_wait_alu 0xfffe
	s_and_b32 s13, s12, s13
	s_lshl_b64 s[2:3], s[2:3], 3
	s_wait_alu 0xfffe
	s_xor_b32 s13, s13, -1
	s_add_nc_u64 s[2:3], s[6:7], s[2:3]
	s_wait_alu 0xfffe
	s_and_b32 vcc_lo, exec_lo, s13
	s_cbranch_vccz .LBB85_2
; %bb.1:
	v_lshlrev_b32_e32 v12, 3, v0
	v_or_b32_e32 v13, 0x100, v0
	v_lshrrev_b32_e32 v14, 2, v11
	v_lshrrev_b32_e32 v15, 2, v10
	v_and_b32_e32 v16, 56, v9
	v_add_co_u32 v1, s6, s2, v12
	s_delay_alu instid0(VALU_DEP_1)
	v_add_co_ci_u32_e64 v2, null, s3, 0, s6
	v_lshrrev_b32_e32 v13, 2, v13
	v_and_b32_e32 v14, 0xb8, v14
	v_and_b32_e32 v15, 0xf8, v15
	s_clause 0x3
	flat_load_b64 v[3:4], v[1:2]
	flat_load_b64 v[5:6], v[1:2] offset:2048
	flat_load_b64 v[7:8], v[1:2] offset:4096
	;; [unrolled: 1-line block ×3, first 2 shown]
	v_add_nc_u32_e32 v16, v16, v12
	v_and_b32_e32 v13, 0x78, v13
	v_add_nc_u32_e32 v14, v14, v12
	s_mov_b32 s14, 0
	s_delay_alu instid0(VALU_DEP_2)
	v_add_nc_u32_e32 v13, v13, v12
	v_add_nc_u32_e32 v12, v15, v12
	s_wait_loadcnt_dscnt 0x303
	ds_store_b64 v16, v[3:4]
	s_wait_loadcnt_dscnt 0x203
	ds_store_b64 v13, v[5:6] offset:2048
	s_wait_loadcnt_dscnt 0x103
	ds_store_b64 v14, v[7:8] offset:4096
	;; [unrolled: 2-line block ×3, first 2 shown]
	s_wait_dscnt 0x0
	s_barrier_signal -1
	s_barrier_wait -1
.LBB85_2:
	s_load_b64 s[6:7], s[0:1], 0x78
	s_and_not1_b32 vcc_lo, exec_lo, s14
	s_sub_co_i32 s15, s4, s5
	s_cbranch_vccnz .LBB85_10
; %bb.3:
	v_mov_b32_e32 v1, 0
	s_mov_b32 s4, exec_lo
	s_delay_alu instid0(VALU_DEP_1)
	v_dual_mov_b32 v2, v1 :: v_dual_mov_b32 v3, v1
	v_dual_mov_b32 v4, v1 :: v_dual_mov_b32 v5, v1
	;; [unrolled: 1-line block ×3, first 2 shown]
	v_mov_b32_e32 v8, v1
	v_cmpx_gt_u32_e64 s15, v0
	s_cbranch_execz .LBB85_5
; %bb.4:
	v_dual_mov_b32 v15, v1 :: v_dual_lshlrev_b32 v2, 3, v0
	v_dual_mov_b32 v14, v1 :: v_dual_mov_b32 v17, v1
	v_dual_mov_b32 v16, v1 :: v_dual_mov_b32 v19, v1
	s_delay_alu instid0(VALU_DEP_3)
	v_add_co_u32 v2, s5, s2, v2
	s_wait_alu 0xf1ff
	v_add_co_ci_u32_e64 v3, null, s3, 0, s5
	v_mov_b32_e32 v18, v1
	flat_load_b64 v[12:13], v[2:3]
	s_wait_loadcnt_dscnt 0x0
	v_dual_mov_b32 v1, v12 :: v_dual_mov_b32 v2, v13
	v_dual_mov_b32 v3, v14 :: v_dual_mov_b32 v4, v15
	;; [unrolled: 1-line block ×4, first 2 shown]
.LBB85_5:
	s_wait_alu 0xfffe
	s_or_b32 exec_lo, exec_lo, s4
	v_or_b32_e32 v12, 0x100, v0
	s_mov_b32 s4, exec_lo
	s_delay_alu instid0(VALU_DEP_1)
	v_cmpx_gt_u32_e64 s15, v12
	s_cbranch_execnz .LBB85_128
; %bb.6:
	s_wait_alu 0xfffe
	s_or_b32 exec_lo, exec_lo, s4
	s_delay_alu instid0(SALU_CYCLE_1)
	s_mov_b32 s4, exec_lo
	v_cmpx_gt_u32_e64 s15, v11
	s_cbranch_execnz .LBB85_129
.LBB85_7:
	s_wait_alu 0xfffe
	s_or_b32 exec_lo, exec_lo, s4
	s_delay_alu instid0(SALU_CYCLE_1)
	s_mov_b32 s4, exec_lo
	v_cmpx_gt_u32_e64 s15, v10
	s_cbranch_execz .LBB85_9
.LBB85_8:
	v_lshlrev_b32_e32 v7, 3, v0
	s_delay_alu instid0(VALU_DEP_1)
	v_add_co_u32 v7, s2, s2, v7
	s_wait_alu 0xf1ff
	v_add_co_ci_u32_e64 v8, null, s3, 0, s2
	flat_load_b64 v[7:8], v[7:8] offset:6144
.LBB85_9:
	s_wait_alu 0xfffe
	s_or_b32 exec_lo, exec_lo, s4
	v_lshrrev_b32_e32 v12, 2, v12
	v_lshrrev_b32_e32 v11, 2, v11
	;; [unrolled: 1-line block ×3, first 2 shown]
	v_and_b32_e32 v9, 56, v9
	v_lshlrev_b32_e32 v13, 3, v0
	v_and_b32_e32 v12, 0x78, v12
	v_and_b32_e32 v11, 0xf8, v11
	;; [unrolled: 1-line block ×3, first 2 shown]
	s_delay_alu instid0(VALU_DEP_4) | instskip(NEXT) | instid1(VALU_DEP_4)
	v_add_nc_u32_e32 v9, v9, v13
	v_add_nc_u32_e32 v12, v12, v13
	s_delay_alu instid0(VALU_DEP_4) | instskip(NEXT) | instid1(VALU_DEP_4)
	v_add_nc_u32_e32 v11, v11, v13
	v_add_nc_u32_e32 v10, v10, v13
	ds_store_b64 v9, v[1:2]
	s_wait_loadcnt_dscnt 0x1
	ds_store_b64 v12, v[3:4] offset:2048
	ds_store_b64 v11, v[5:6] offset:4096
	;; [unrolled: 1-line block ×3, first 2 shown]
	s_wait_dscnt 0x0
	s_barrier_signal -1
	s_barrier_wait -1
.LBB85_10:
	v_and_b32_e32 v1, 0xf8, v0
	global_inv scope:SCOPE_SE
	s_and_not1_b32 vcc_lo, exec_lo, s13
	v_lshl_add_u32 v5, v0, 5, v1
	ds_load_2addr_b64 v[1:4], v5 offset1:3
	ds_load_2addr_b64 v[5:8], v5 offset0:1 offset1:2
	s_wait_loadcnt_dscnt 0x0
	s_barrier_signal -1
	s_barrier_wait -1
	global_inv scope:SCOPE_SE
	s_wait_kmcnt 0x0
	v_cmp_ne_u64_e64 s2, s[6:7], v[1:2]
	v_cmp_ne_u64_e64 s14, s[6:7], v[3:4]
	s_cbranch_vccnz .LBB85_12
; %bb.11:
	v_cmp_ne_u64_e32 vcc_lo, s[6:7], v[7:8]
	s_wait_alu 0xf1ff
	v_cndmask_b32_e64 v27, 0, 1, s2
	v_cndmask_b32_e64 v25, 0, 1, vcc_lo
	v_cmp_ne_u64_e32 vcc_lo, s[6:7], v[5:6]
	s_delay_alu instid0(VALU_DEP_2) | instskip(SKIP_2) | instid1(VALU_DEP_1)
	v_lshlrev_b16 v10, 8, v25
	s_wait_alu 0xfffd
	v_cndmask_b32_e64 v9, 0, 1, vcc_lo
	v_or_b32_e32 v26, v9, v10
	s_cbranch_execz .LBB85_13
	s_branch .LBB85_14
.LBB85_12:
                                        ; implicit-def: $sgpr14
                                        ; implicit-def: $vgpr27
                                        ; implicit-def: $vgpr26
                                        ; implicit-def: $vgpr25
.LBB85_13:
	v_lshlrev_b32_e32 v9, 2, v0
	v_cmp_ne_u64_e64 s2, s[6:7], v[7:8]
	v_cmp_ne_u64_e64 s4, s[6:7], v[5:6]
	v_cmp_ne_u64_e32 vcc_lo, s[6:7], v[1:2]
	v_cmp_ne_u64_e64 s5, s[6:7], v[3:4]
	v_or_b32_e32 v10, 2, v9
	v_or_b32_e32 v11, 1, v9
	s_delay_alu instid0(VALU_DEP_2) | instskip(NEXT) | instid1(VALU_DEP_2)
	v_cmp_gt_u32_e64 s3, s15, v10
	v_cmp_gt_u32_e64 s6, s15, v11
	v_or_b32_e32 v10, 3, v9
	s_and_b32 s2, s3, s2
	s_and_b32 s4, s6, s4
	s_wait_alu 0xfffe
	v_cndmask_b32_e64 v25, 0, 1, s2
	v_cmp_gt_u32_e64 s2, s15, v9
	v_cmp_gt_u32_e64 s3, s15, v10
	v_cndmask_b32_e64 v9, 0, 1, s4
	s_delay_alu instid0(VALU_DEP_4)
	v_lshlrev_b16 v10, 8, v25
	s_and_b32 s2, s2, vcc_lo
	s_wait_alu 0xfffe
	v_cndmask_b32_e64 v27, 0, 1, s2
	s_and_b32 s2, s3, s5
	v_or_b32_e32 v26, v9, v10
	s_and_not1_b32 s3, s14, exec_lo
	s_wait_alu 0xfffe
	s_and_b32 s2, s2, exec_lo
	s_wait_alu 0xfffe
	s_or_b32 s14, s3, s2
.LBB85_14:
	s_load_b64 s[6:7], s[0:1], 0x60
	v_and_b32_e32 v30, 0xff, v27
	v_dual_mov_b32 v10, 0 :: v_dual_and_b32 v29, 0xff, v26
	v_cndmask_b32_e64 v9, 0, 1, s14
	v_mbcnt_lo_u32_b32 v31, -1, 0
	v_and_b32_e32 v28, 0xff, v25
	s_cmp_lg_u32 ttmp9, 0
	s_mov_b32 s3, -1
	v_add3_u32 v9, v30, v9, v29
	v_and_b32_e32 v32, 15, v31
	s_delay_alu instid0(VALU_DEP_2) | instskip(SKIP_2) | instid1(VALU_DEP_3)
	v_add_co_u32 v17, s2, v9, v28
	s_wait_alu 0xf1ff
	v_add_co_ci_u32_e64 v18, null, 0, 0, s2
	v_cmp_ne_u32_e64 s2, 0, v32
	s_cbranch_scc0 .LBB85_71
; %bb.15:
	v_mov_b32_e32 v11, v17
	v_mov_b32_dpp v9, v17 row_shr:1 row_mask:0xf bank_mask:0xf
	v_mov_b32_dpp v14, v10 row_shr:1 row_mask:0xf bank_mask:0xf
	v_dual_mov_b32 v13, v17 :: v_dual_mov_b32 v12, v18
	s_and_saveexec_b32 s3, s2
; %bb.16:
	s_delay_alu instid0(VALU_DEP_3) | instskip(SKIP_2) | instid1(VALU_DEP_2)
	v_add_co_u32 v13, vcc_lo, v17, v9
	s_wait_alu 0xfffd
	v_add_co_ci_u32_e64 v10, null, 0, v18, vcc_lo
	v_add_co_u32 v9, vcc_lo, 0, v13
	s_wait_alu 0xfffd
	s_delay_alu instid0(VALU_DEP_2) | instskip(NEXT) | instid1(VALU_DEP_1)
	v_add_co_ci_u32_e64 v10, null, v14, v10, vcc_lo
	v_dual_mov_b32 v12, v10 :: v_dual_mov_b32 v11, v9
; %bb.17:
	s_wait_alu 0xfffe
	s_or_b32 exec_lo, exec_lo, s3
	v_mov_b32_dpp v9, v13 row_shr:2 row_mask:0xf bank_mask:0xf
	v_mov_b32_dpp v14, v10 row_shr:2 row_mask:0xf bank_mask:0xf
	s_mov_b32 s3, exec_lo
	v_cmpx_lt_u32_e32 1, v32
; %bb.18:
	s_delay_alu instid0(VALU_DEP_3) | instskip(SKIP_2) | instid1(VALU_DEP_2)
	v_add_co_u32 v13, vcc_lo, v11, v9
	s_wait_alu 0xfffd
	v_add_co_ci_u32_e64 v10, null, 0, v12, vcc_lo
	v_add_co_u32 v9, vcc_lo, 0, v13
	s_wait_alu 0xfffd
	s_delay_alu instid0(VALU_DEP_2) | instskip(NEXT) | instid1(VALU_DEP_1)
	v_add_co_ci_u32_e64 v10, null, v14, v10, vcc_lo
	v_dual_mov_b32 v12, v10 :: v_dual_mov_b32 v11, v9
; %bb.19:
	s_wait_alu 0xfffe
	s_or_b32 exec_lo, exec_lo, s3
	v_mov_b32_dpp v9, v13 row_shr:4 row_mask:0xf bank_mask:0xf
	v_mov_b32_dpp v14, v10 row_shr:4 row_mask:0xf bank_mask:0xf
	s_mov_b32 s3, exec_lo
	v_cmpx_lt_u32_e32 3, v32
	;; [unrolled: 17-line block ×3, first 2 shown]
; %bb.22:
	s_delay_alu instid0(VALU_DEP_3) | instskip(SKIP_2) | instid1(VALU_DEP_2)
	v_add_co_u32 v13, vcc_lo, v11, v14
	s_wait_alu 0xfffd
	v_add_co_ci_u32_e64 v10, null, 0, v12, vcc_lo
	v_add_co_u32 v11, vcc_lo, 0, v13
	s_wait_alu 0xfffd
	s_delay_alu instid0(VALU_DEP_2) | instskip(NEXT) | instid1(VALU_DEP_1)
	v_add_co_ci_u32_e64 v12, null, v9, v10, vcc_lo
	v_mov_b32_e32 v10, v12
; %bb.23:
	s_wait_alu 0xfffe
	s_or_b32 exec_lo, exec_lo, s3
	ds_swizzle_b32 v9, v13 offset:swizzle(BROADCAST,32,15)
	ds_swizzle_b32 v14, v10 offset:swizzle(BROADCAST,32,15)
	v_and_b32_e32 v15, 16, v31
	s_mov_b32 s3, exec_lo
	s_delay_alu instid0(VALU_DEP_1)
	v_cmpx_ne_u32_e32 0, v15
	s_cbranch_execz .LBB85_25
; %bb.24:
	s_wait_dscnt 0x1
	v_add_co_u32 v13, vcc_lo, v11, v9
	s_wait_alu 0xfffd
	v_add_co_ci_u32_e64 v10, null, 0, v12, vcc_lo
	s_delay_alu instid0(VALU_DEP_2) | instskip(SKIP_2) | instid1(VALU_DEP_2)
	v_add_co_u32 v9, vcc_lo, 0, v13
	s_wait_dscnt 0x0
	s_wait_alu 0xfffd
	v_add_co_ci_u32_e64 v10, null, v14, v10, vcc_lo
	s_delay_alu instid0(VALU_DEP_1)
	v_dual_mov_b32 v12, v10 :: v_dual_mov_b32 v11, v9
.LBB85_25:
	s_wait_alu 0xfffe
	s_or_b32 exec_lo, exec_lo, s3
	s_wait_dscnt 0x0
	v_or_b32_e32 v14, 31, v0
	v_lshrrev_b32_e32 v9, 5, v0
	s_mov_b32 s3, exec_lo
	s_delay_alu instid0(VALU_DEP_2)
	v_cmpx_eq_u32_e64 v0, v14
; %bb.26:
	s_delay_alu instid0(VALU_DEP_2)
	v_lshlrev_b32_e32 v14, 3, v9
	ds_store_b64 v14, v[11:12]
; %bb.27:
	s_wait_alu 0xfffe
	s_or_b32 exec_lo, exec_lo, s3
	s_delay_alu instid0(SALU_CYCLE_1)
	s_mov_b32 s3, exec_lo
	s_wait_loadcnt_dscnt 0x0
	s_barrier_signal -1
	s_barrier_wait -1
	global_inv scope:SCOPE_SE
	v_cmpx_gt_u32_e32 8, v0
	s_cbranch_execz .LBB85_35
; %bb.28:
	v_lshlrev_b32_e32 v14, 3, v0
	s_mov_b32 s4, exec_lo
	ds_load_b64 v[11:12], v14
	s_wait_dscnt 0x0
	v_dual_mov_b32 v16, v11 :: v_dual_and_b32 v15, 7, v31
	v_mov_b32_dpp v20, v11 row_shr:1 row_mask:0xf bank_mask:0xf
	v_mov_b32_dpp v19, v12 row_shr:1 row_mask:0xf bank_mask:0xf
	s_delay_alu instid0(VALU_DEP_3)
	v_cmpx_ne_u32_e32 0, v15
; %bb.29:
	s_delay_alu instid0(VALU_DEP_3) | instskip(SKIP_2) | instid1(VALU_DEP_2)
	v_add_co_u32 v16, vcc_lo, v11, v20
	s_wait_alu 0xfffd
	v_add_co_ci_u32_e64 v12, null, 0, v12, vcc_lo
	v_add_co_u32 v11, vcc_lo, 0, v16
	s_wait_alu 0xfffd
	s_delay_alu instid0(VALU_DEP_2)
	v_add_co_ci_u32_e64 v12, null, v19, v12, vcc_lo
; %bb.30:
	s_wait_alu 0xfffe
	s_or_b32 exec_lo, exec_lo, s4
	v_mov_b32_dpp v20, v16 row_shr:2 row_mask:0xf bank_mask:0xf
	s_delay_alu instid0(VALU_DEP_2)
	v_mov_b32_dpp v19, v12 row_shr:2 row_mask:0xf bank_mask:0xf
	s_mov_b32 s4, exec_lo
	v_cmpx_lt_u32_e32 1, v15
; %bb.31:
	s_delay_alu instid0(VALU_DEP_3) | instskip(SKIP_2) | instid1(VALU_DEP_2)
	v_add_co_u32 v16, vcc_lo, v11, v20
	s_wait_alu 0xfffd
	v_add_co_ci_u32_e64 v12, null, 0, v12, vcc_lo
	v_add_co_u32 v11, vcc_lo, 0, v16
	s_wait_alu 0xfffd
	s_delay_alu instid0(VALU_DEP_2)
	v_add_co_ci_u32_e64 v12, null, v19, v12, vcc_lo
; %bb.32:
	s_wait_alu 0xfffe
	s_or_b32 exec_lo, exec_lo, s4
	v_mov_b32_dpp v19, v16 row_shr:4 row_mask:0xf bank_mask:0xf
	s_delay_alu instid0(VALU_DEP_2)
	v_mov_b32_dpp v16, v12 row_shr:4 row_mask:0xf bank_mask:0xf
	s_mov_b32 s4, exec_lo
	v_cmpx_lt_u32_e32 3, v15
; %bb.33:
	s_delay_alu instid0(VALU_DEP_3) | instskip(SKIP_2) | instid1(VALU_DEP_2)
	v_add_co_u32 v11, vcc_lo, v11, v19
	s_wait_alu 0xfffd
	v_add_co_ci_u32_e64 v12, null, 0, v12, vcc_lo
	v_add_co_u32 v11, vcc_lo, v11, 0
	s_wait_alu 0xfffd
	s_delay_alu instid0(VALU_DEP_2)
	v_add_co_ci_u32_e64 v12, null, v12, v16, vcc_lo
; %bb.34:
	s_wait_alu 0xfffe
	s_or_b32 exec_lo, exec_lo, s4
	ds_store_b64 v14, v[11:12]
.LBB85_35:
	s_wait_alu 0xfffe
	s_or_b32 exec_lo, exec_lo, s3
	s_delay_alu instid0(SALU_CYCLE_1)
	s_mov_b32 s4, exec_lo
	v_cmp_gt_u32_e32 vcc_lo, 32, v0
	s_wait_loadcnt_dscnt 0x0
	s_barrier_signal -1
	s_barrier_wait -1
	global_inv scope:SCOPE_SE
                                        ; implicit-def: $vgpr19_vgpr20
	v_cmpx_lt_u32_e32 31, v0
	s_cbranch_execz .LBB85_37
; %bb.36:
	v_lshl_add_u32 v9, v9, 3, -8
	ds_load_b64 v[19:20], v9
	s_wait_dscnt 0x0
	v_add_co_u32 v13, s3, v13, v19
	s_wait_alu 0xf1ff
	v_add_co_ci_u32_e64 v10, null, v10, v20, s3
.LBB85_37:
	s_wait_alu 0xfffe
	s_or_b32 exec_lo, exec_lo, s4
	v_sub_co_u32 v9, s3, v31, 1
	s_delay_alu instid0(VALU_DEP_1) | instskip(SKIP_1) | instid1(VALU_DEP_1)
	v_cmp_gt_i32_e64 s4, 0, v9
	s_wait_alu 0xf1ff
	v_cndmask_b32_e64 v9, v9, v31, s4
	s_delay_alu instid0(VALU_DEP_1)
	v_lshlrev_b32_e32 v9, 2, v9
	ds_bpermute_b32 v33, v9, v13
	ds_bpermute_b32 v34, v9, v10
	s_and_saveexec_b32 s4, vcc_lo
	s_cbranch_execz .LBB85_76
; %bb.38:
	v_mov_b32_e32 v12, 0
	ds_load_b64 v[9:10], v12 offset:56
	s_and_saveexec_b32 s5, s3
	s_cbranch_execz .LBB85_40
; %bb.39:
	s_add_co_i32 s16, ttmp9, 32
	s_mov_b32 s17, 0
	s_delay_alu instid0(SALU_CYCLE_1)
	s_lshl_b64 s[16:17], s[16:17], 4
	s_wait_kmcnt 0x0
	s_add_nc_u64 s[16:17], s[6:7], s[16:17]
	v_mov_b32_e32 v11, 1
	v_dual_mov_b32 v13, s16 :: v_dual_mov_b32 v14, s17
	s_wait_dscnt 0x0
	;;#ASMSTART
	global_store_b128 v[13:14], v[9:12] off scope:SCOPE_DEV	
s_wait_storecnt 0x0
	;;#ASMEND
.LBB85_40:
	s_wait_alu 0xfffe
	s_or_b32 exec_lo, exec_lo, s5
	v_xad_u32 v21, v31, -1, ttmp9
	s_mov_b32 s15, 0
	s_mov_b32 s5, exec_lo
	s_delay_alu instid0(VALU_DEP_1) | instskip(NEXT) | instid1(VALU_DEP_1)
	v_add_nc_u32_e32 v11, 32, v21
	v_lshlrev_b64_e32 v[11:12], 4, v[11:12]
	s_wait_kmcnt 0x0
	s_delay_alu instid0(VALU_DEP_1) | instskip(SKIP_1) | instid1(VALU_DEP_2)
	v_add_co_u32 v11, vcc_lo, s6, v11
	s_wait_alu 0xfffd
	v_add_co_ci_u32_e64 v12, null, s7, v12, vcc_lo
	;;#ASMSTART
	global_load_b128 v[13:16], v[11:12] off scope:SCOPE_DEV	
s_wait_loadcnt 0x0
	;;#ASMEND
	v_and_b32_e32 v16, 0xff, v15
	s_delay_alu instid0(VALU_DEP_1)
	v_cmpx_eq_u16_e32 0, v16
	s_cbranch_execz .LBB85_43
.LBB85_41:                              ; =>This Inner Loop Header: Depth=1
	;;#ASMSTART
	global_load_b128 v[13:16], v[11:12] off scope:SCOPE_DEV	
s_wait_loadcnt 0x0
	;;#ASMEND
	v_and_b32_e32 v16, 0xff, v15
	s_delay_alu instid0(VALU_DEP_1)
	v_cmp_ne_u16_e32 vcc_lo, 0, v16
	s_wait_alu 0xfffe
	s_or_b32 s15, vcc_lo, s15
	s_wait_alu 0xfffe
	s_and_not1_b32 exec_lo, exec_lo, s15
	s_cbranch_execnz .LBB85_41
; %bb.42:
	s_or_b32 exec_lo, exec_lo, s15
.LBB85_43:
	s_wait_alu 0xfffe
	s_or_b32 exec_lo, exec_lo, s5
	v_cmp_ne_u32_e32 vcc_lo, 31, v31
	v_and_b32_e32 v12, 0xff, v15
	v_lshlrev_b32_e64 v36, v31, -1
	s_mov_b32 s5, exec_lo
	s_wait_alu 0xfffd
	v_add_co_ci_u32_e64 v11, null, 0, v31, vcc_lo
	v_cmp_eq_u16_e32 vcc_lo, 2, v12
	s_delay_alu instid0(VALU_DEP_2)
	v_dual_mov_b32 v12, v13 :: v_dual_lshlrev_b32 v35, 2, v11
	s_wait_alu 0xfffd
	v_and_or_b32 v11, vcc_lo, v36, 0x80000000
	ds_bpermute_b32 v22, v35, v13
	ds_bpermute_b32 v16, v35, v14
	v_ctz_i32_b32_e32 v11, v11
	s_delay_alu instid0(VALU_DEP_1)
	v_cmpx_lt_u32_e64 v31, v11
	s_cbranch_execz .LBB85_45
; %bb.44:
	s_wait_dscnt 0x1
	v_add_co_u32 v12, vcc_lo, v13, v22
	s_wait_alu 0xfffd
	v_add_co_ci_u32_e64 v14, null, 0, v14, vcc_lo
	s_delay_alu instid0(VALU_DEP_2) | instskip(SKIP_2) | instid1(VALU_DEP_2)
	v_add_co_u32 v13, vcc_lo, 0, v12
	s_wait_dscnt 0x0
	s_wait_alu 0xfffd
	v_add_co_ci_u32_e64 v14, null, v16, v14, vcc_lo
.LBB85_45:
	s_wait_alu 0xfffe
	s_or_b32 exec_lo, exec_lo, s5
	v_cmp_gt_u32_e32 vcc_lo, 30, v31
	v_add_nc_u32_e32 v38, 2, v31
	s_mov_b32 s5, exec_lo
	s_wait_dscnt 0x0
	s_wait_alu 0xfffd
	v_cndmask_b32_e64 v16, 0, 2, vcc_lo
	s_delay_alu instid0(VALU_DEP_1)
	v_add_lshl_u32 v37, v16, v31, 2
	ds_bpermute_b32 v22, v37, v12
	ds_bpermute_b32 v16, v37, v14
	v_cmpx_le_u32_e64 v38, v11
	s_cbranch_execz .LBB85_47
; %bb.46:
	s_wait_dscnt 0x1
	v_add_co_u32 v12, vcc_lo, v13, v22
	s_wait_alu 0xfffd
	v_add_co_ci_u32_e64 v14, null, 0, v14, vcc_lo
	s_delay_alu instid0(VALU_DEP_2) | instskip(SKIP_2) | instid1(VALU_DEP_2)
	v_add_co_u32 v13, vcc_lo, 0, v12
	s_wait_dscnt 0x0
	s_wait_alu 0xfffd
	v_add_co_ci_u32_e64 v14, null, v16, v14, vcc_lo
.LBB85_47:
	s_wait_alu 0xfffe
	s_or_b32 exec_lo, exec_lo, s5
	v_cmp_gt_u32_e32 vcc_lo, 28, v31
	v_add_nc_u32_e32 v40, 4, v31
	s_mov_b32 s5, exec_lo
	s_wait_dscnt 0x0
	s_wait_alu 0xfffd
	v_cndmask_b32_e64 v16, 0, 4, vcc_lo
	s_delay_alu instid0(VALU_DEP_1)
	v_add_lshl_u32 v39, v16, v31, 2
	ds_bpermute_b32 v22, v39, v12
	ds_bpermute_b32 v16, v39, v14
	v_cmpx_le_u32_e64 v40, v11
	;; [unrolled: 25-line block ×3, first 2 shown]
	s_cbranch_execz .LBB85_51
; %bb.50:
	s_wait_dscnt 0x1
	v_add_co_u32 v12, vcc_lo, v13, v22
	s_wait_alu 0xfffd
	v_add_co_ci_u32_e64 v14, null, 0, v14, vcc_lo
	s_delay_alu instid0(VALU_DEP_2) | instskip(SKIP_2) | instid1(VALU_DEP_2)
	v_add_co_u32 v13, vcc_lo, 0, v12
	s_wait_dscnt 0x0
	s_wait_alu 0xfffd
	v_add_co_ci_u32_e64 v14, null, v16, v14, vcc_lo
.LBB85_51:
	s_wait_alu 0xfffe
	s_or_b32 exec_lo, exec_lo, s5
	v_lshl_or_b32 v43, v31, 2, 64
	v_add_nc_u32_e32 v44, 16, v31
	s_mov_b32 s5, exec_lo
	s_wait_dscnt 0x0
	ds_bpermute_b32 v16, v43, v12
	ds_bpermute_b32 v12, v43, v14
	v_cmpx_le_u32_e64 v44, v11
	s_cbranch_execz .LBB85_53
; %bb.52:
	s_wait_dscnt 0x1
	v_add_co_u32 v11, vcc_lo, v13, v16
	s_wait_alu 0xfffd
	v_add_co_ci_u32_e64 v14, null, 0, v14, vcc_lo
	s_delay_alu instid0(VALU_DEP_2) | instskip(SKIP_2) | instid1(VALU_DEP_2)
	v_add_co_u32 v13, vcc_lo, v11, 0
	s_wait_dscnt 0x0
	s_wait_alu 0xfffd
	v_add_co_ci_u32_e64 v14, null, v14, v12, vcc_lo
.LBB85_53:
	s_wait_alu 0xfffe
	s_or_b32 exec_lo, exec_lo, s5
	v_mov_b32_e32 v22, 0
	s_branch .LBB85_56
.LBB85_54:                              ;   in Loop: Header=BB85_56 Depth=1
	s_wait_alu 0xfffe
	s_or_b32 exec_lo, exec_lo, s5
	v_add_co_u32 v13, vcc_lo, v13, v11
	v_subrev_nc_u32_e32 v21, 32, v21
	s_wait_alu 0xfffd
	v_add_co_ci_u32_e64 v14, null, v14, v12, vcc_lo
	s_mov_b32 s5, 0
.LBB85_55:                              ;   in Loop: Header=BB85_56 Depth=1
	s_wait_alu 0xfffe
	s_and_b32 vcc_lo, exec_lo, s5
	s_wait_alu 0xfffe
	s_cbranch_vccnz .LBB85_72
.LBB85_56:                              ; =>This Loop Header: Depth=1
                                        ;     Child Loop BB85_59 Depth 2
	v_and_b32_e32 v11, 0xff, v15
	s_mov_b32 s5, -1
	s_delay_alu instid0(VALU_DEP_1)
	v_cmp_ne_u16_e32 vcc_lo, 2, v11
	s_wait_dscnt 0x0
	v_dual_mov_b32 v11, v13 :: v_dual_mov_b32 v12, v14
                                        ; implicit-def: $vgpr13_vgpr14
	s_cmp_lg_u32 vcc_lo, exec_lo
	s_cbranch_scc1 .LBB85_55
; %bb.57:                               ;   in Loop: Header=BB85_56 Depth=1
	v_lshlrev_b64_e32 v[13:14], 4, v[21:22]
	s_mov_b32 s5, exec_lo
	s_delay_alu instid0(VALU_DEP_1) | instskip(SKIP_1) | instid1(VALU_DEP_2)
	v_add_co_u32 v23, vcc_lo, s6, v13
	s_wait_alu 0xfffd
	v_add_co_ci_u32_e64 v24, null, s7, v14, vcc_lo
	;;#ASMSTART
	global_load_b128 v[13:16], v[23:24] off scope:SCOPE_DEV	
s_wait_loadcnt 0x0
	;;#ASMEND
	v_and_b32_e32 v16, 0xff, v15
	s_delay_alu instid0(VALU_DEP_1)
	v_cmpx_eq_u16_e32 0, v16
	s_cbranch_execz .LBB85_61
; %bb.58:                               ;   in Loop: Header=BB85_56 Depth=1
	s_mov_b32 s15, 0
.LBB85_59:                              ;   Parent Loop BB85_56 Depth=1
                                        ; =>  This Inner Loop Header: Depth=2
	;;#ASMSTART
	global_load_b128 v[13:16], v[23:24] off scope:SCOPE_DEV	
s_wait_loadcnt 0x0
	;;#ASMEND
	v_and_b32_e32 v16, 0xff, v15
	s_delay_alu instid0(VALU_DEP_1)
	v_cmp_ne_u16_e32 vcc_lo, 0, v16
	s_wait_alu 0xfffe
	s_or_b32 s15, vcc_lo, s15
	s_wait_alu 0xfffe
	s_and_not1_b32 exec_lo, exec_lo, s15
	s_cbranch_execnz .LBB85_59
; %bb.60:                               ;   in Loop: Header=BB85_56 Depth=1
	s_or_b32 exec_lo, exec_lo, s15
.LBB85_61:                              ;   in Loop: Header=BB85_56 Depth=1
	s_wait_alu 0xfffe
	s_or_b32 exec_lo, exec_lo, s5
	v_dual_mov_b32 v23, v13 :: v_dual_and_b32 v16, 0xff, v15
	ds_bpermute_b32 v45, v35, v13
	ds_bpermute_b32 v24, v35, v14
	s_mov_b32 s5, exec_lo
	v_cmp_eq_u16_e32 vcc_lo, 2, v16
	s_wait_alu 0xfffd
	v_and_or_b32 v16, vcc_lo, v36, 0x80000000
	s_delay_alu instid0(VALU_DEP_1) | instskip(NEXT) | instid1(VALU_DEP_1)
	v_ctz_i32_b32_e32 v16, v16
	v_cmpx_lt_u32_e64 v31, v16
	s_cbranch_execz .LBB85_63
; %bb.62:                               ;   in Loop: Header=BB85_56 Depth=1
	s_wait_dscnt 0x1
	v_add_co_u32 v23, vcc_lo, v13, v45
	s_wait_alu 0xfffd
	v_add_co_ci_u32_e64 v14, null, 0, v14, vcc_lo
	s_delay_alu instid0(VALU_DEP_2) | instskip(SKIP_2) | instid1(VALU_DEP_2)
	v_add_co_u32 v13, vcc_lo, 0, v23
	s_wait_dscnt 0x0
	s_wait_alu 0xfffd
	v_add_co_ci_u32_e64 v14, null, v24, v14, vcc_lo
.LBB85_63:                              ;   in Loop: Header=BB85_56 Depth=1
	s_wait_alu 0xfffe
	s_or_b32 exec_lo, exec_lo, s5
	s_wait_dscnt 0x1
	ds_bpermute_b32 v45, v37, v23
	s_wait_dscnt 0x1
	ds_bpermute_b32 v24, v37, v14
	s_mov_b32 s5, exec_lo
	v_cmpx_le_u32_e64 v38, v16
	s_cbranch_execz .LBB85_65
; %bb.64:                               ;   in Loop: Header=BB85_56 Depth=1
	s_wait_dscnt 0x1
	v_add_co_u32 v23, vcc_lo, v13, v45
	s_wait_alu 0xfffd
	v_add_co_ci_u32_e64 v14, null, 0, v14, vcc_lo
	s_delay_alu instid0(VALU_DEP_2) | instskip(SKIP_2) | instid1(VALU_DEP_2)
	v_add_co_u32 v13, vcc_lo, 0, v23
	s_wait_dscnt 0x0
	s_wait_alu 0xfffd
	v_add_co_ci_u32_e64 v14, null, v24, v14, vcc_lo
.LBB85_65:                              ;   in Loop: Header=BB85_56 Depth=1
	s_wait_alu 0xfffe
	s_or_b32 exec_lo, exec_lo, s5
	s_wait_dscnt 0x1
	ds_bpermute_b32 v45, v39, v23
	s_wait_dscnt 0x1
	ds_bpermute_b32 v24, v39, v14
	s_mov_b32 s5, exec_lo
	v_cmpx_le_u32_e64 v40, v16
	;; [unrolled: 20-line block ×3, first 2 shown]
	s_cbranch_execz .LBB85_69
; %bb.68:                               ;   in Loop: Header=BB85_56 Depth=1
	s_wait_dscnt 0x1
	v_add_co_u32 v23, vcc_lo, v13, v45
	s_wait_alu 0xfffd
	v_add_co_ci_u32_e64 v14, null, 0, v14, vcc_lo
	s_delay_alu instid0(VALU_DEP_2) | instskip(SKIP_2) | instid1(VALU_DEP_2)
	v_add_co_u32 v13, vcc_lo, 0, v23
	s_wait_dscnt 0x0
	s_wait_alu 0xfffd
	v_add_co_ci_u32_e64 v14, null, v24, v14, vcc_lo
.LBB85_69:                              ;   in Loop: Header=BB85_56 Depth=1
	s_wait_alu 0xfffe
	s_or_b32 exec_lo, exec_lo, s5
	s_wait_dscnt 0x0
	ds_bpermute_b32 v24, v43, v23
	ds_bpermute_b32 v23, v43, v14
	s_mov_b32 s5, exec_lo
	v_cmpx_le_u32_e64 v44, v16
	s_cbranch_execz .LBB85_54
; %bb.70:                               ;   in Loop: Header=BB85_56 Depth=1
	s_wait_dscnt 0x1
	v_add_co_u32 v13, vcc_lo, v13, v24
	s_wait_alu 0xfffd
	v_add_co_ci_u32_e64 v14, null, 0, v14, vcc_lo
	s_delay_alu instid0(VALU_DEP_2) | instskip(SKIP_2) | instid1(VALU_DEP_2)
	v_add_co_u32 v13, vcc_lo, v13, 0
	s_wait_dscnt 0x0
	s_wait_alu 0xfffd
	v_add_co_ci_u32_e64 v14, null, v14, v23, vcc_lo
	s_branch .LBB85_54
.LBB85_71:
                                        ; implicit-def: $vgpr15_vgpr16
                                        ; implicit-def: $vgpr13_vgpr14
                                        ; implicit-def: $vgpr19_vgpr20
                                        ; implicit-def: $vgpr21_vgpr22
                                        ; implicit-def: $vgpr11_vgpr12
	s_wait_alu 0xfffe
	s_and_b32 vcc_lo, exec_lo, s3
	s_wait_alu 0xfffe
	s_cbranch_vccnz .LBB85_77
	s_branch .LBB85_102
.LBB85_72:
	s_and_saveexec_b32 s5, s3
	s_cbranch_execz .LBB85_74
; %bb.73:
	s_add_co_i32 s16, ttmp9, 32
	s_mov_b32 s17, 0
	v_add_co_u32 v13, vcc_lo, v11, v9
	s_wait_alu 0xfffe
	s_lshl_b64 s[16:17], s[16:17], 4
	v_dual_mov_b32 v15, 2 :: v_dual_mov_b32 v16, 0
	s_wait_alu 0xfffe
	s_add_nc_u64 s[16:17], s[6:7], s[16:17]
	s_wait_alu 0xfffd
	v_add_co_ci_u32_e64 v14, null, v12, v10, vcc_lo
	s_wait_alu 0xfffe
	v_dual_mov_b32 v22, s17 :: v_dual_mov_b32 v21, s16
	;;#ASMSTART
	global_store_b128 v[21:22], v[13:16] off scope:SCOPE_DEV	
s_wait_storecnt 0x0
	;;#ASMEND
	ds_store_b128 v16, v[9:12] offset:8448
.LBB85_74:
	s_wait_alu 0xfffe
	s_or_b32 exec_lo, exec_lo, s5
	v_cmp_eq_u32_e32 vcc_lo, 0, v0
	s_and_b32 exec_lo, exec_lo, vcc_lo
; %bb.75:
	v_mov_b32_e32 v9, 0
	ds_store_b64 v9, v[11:12] offset:56
.LBB85_76:
	s_wait_alu 0xfffe
	s_or_b32 exec_lo, exec_lo, s4
	s_wait_dscnt 0x1
	v_cndmask_b32_e64 v10, v33, v19, s3
	v_cmp_ne_u32_e32 vcc_lo, 0, v0
	v_mov_b32_e32 v9, 0
	s_wait_loadcnt_dscnt 0x0
	s_barrier_signal -1
	s_barrier_wait -1
	global_inv scope:SCOPE_SE
	s_wait_alu 0xfffd
	v_cndmask_b32_e32 v16, 0, v10, vcc_lo
	ds_load_b64 v[13:14], v9 offset:56
	v_cndmask_b32_e64 v11, v34, v20, s3
	s_wait_loadcnt_dscnt 0x0
	s_barrier_signal -1
	s_barrier_wait -1
	global_inv scope:SCOPE_SE
	v_cndmask_b32_e32 v15, 0, v11, vcc_lo
	ds_load_b128 v[9:12], v9 offset:8448
	v_add_co_u32 v21, vcc_lo, v13, v16
	s_wait_alu 0xfffd
	v_add_co_ci_u32_e64 v22, null, v14, v15, vcc_lo
	s_delay_alu instid0(VALU_DEP_2) | instskip(SKIP_1) | instid1(VALU_DEP_2)
	v_add_co_u32 v19, vcc_lo, v21, v30
	s_wait_alu 0xfffd
	v_add_co_ci_u32_e64 v20, null, 0, v22, vcc_lo
	s_delay_alu instid0(VALU_DEP_2) | instskip(SKIP_1) | instid1(VALU_DEP_2)
	v_add_co_u32 v13, vcc_lo, v19, v29
	s_wait_alu 0xfffd
	v_add_co_ci_u32_e64 v14, null, 0, v20, vcc_lo
	s_delay_alu instid0(VALU_DEP_2) | instskip(SKIP_1) | instid1(VALU_DEP_2)
	v_add_co_u32 v15, vcc_lo, v13, v28
	s_wait_alu 0xfffd
	v_add_co_ci_u32_e64 v16, null, 0, v14, vcc_lo
	s_branch .LBB85_102
.LBB85_77:
	s_wait_dscnt 0x0
	v_dual_mov_b32 v10, 0 :: v_dual_mov_b32 v11, v17
	v_mov_b32_dpp v12, v17 row_shr:1 row_mask:0xf bank_mask:0xf
	s_delay_alu instid0(VALU_DEP_2)
	v_mov_b32_dpp v9, v10 row_shr:1 row_mask:0xf bank_mask:0xf
	s_and_saveexec_b32 s3, s2
; %bb.78:
	s_delay_alu instid0(VALU_DEP_2) | instskip(SKIP_2) | instid1(VALU_DEP_2)
	v_add_co_u32 v11, vcc_lo, v17, v12
	s_wait_alu 0xfffd
	v_add_co_ci_u32_e64 v10, null, 0, v18, vcc_lo
	v_add_co_u32 v17, vcc_lo, 0, v11
	s_wait_alu 0xfffd
	s_delay_alu instid0(VALU_DEP_2) | instskip(NEXT) | instid1(VALU_DEP_1)
	v_add_co_ci_u32_e64 v18, null, v9, v10, vcc_lo
	v_mov_b32_e32 v10, v18
; %bb.79:
	s_wait_alu 0xfffe
	s_or_b32 exec_lo, exec_lo, s3
	v_mov_b32_dpp v9, v11 row_shr:2 row_mask:0xf bank_mask:0xf
	s_delay_alu instid0(VALU_DEP_2)
	v_mov_b32_dpp v12, v10 row_shr:2 row_mask:0xf bank_mask:0xf
	s_mov_b32 s2, exec_lo
	v_cmpx_lt_u32_e32 1, v32
; %bb.80:
	s_delay_alu instid0(VALU_DEP_3) | instskip(SKIP_2) | instid1(VALU_DEP_2)
	v_add_co_u32 v11, vcc_lo, v17, v9
	s_wait_alu 0xfffd
	v_add_co_ci_u32_e64 v10, null, 0, v18, vcc_lo
	v_add_co_u32 v9, vcc_lo, 0, v11
	s_wait_alu 0xfffd
	s_delay_alu instid0(VALU_DEP_2) | instskip(NEXT) | instid1(VALU_DEP_1)
	v_add_co_ci_u32_e64 v10, null, v12, v10, vcc_lo
	v_dual_mov_b32 v18, v10 :: v_dual_mov_b32 v17, v9
; %bb.81:
	s_wait_alu 0xfffe
	s_or_b32 exec_lo, exec_lo, s2
	v_mov_b32_dpp v9, v11 row_shr:4 row_mask:0xf bank_mask:0xf
	v_mov_b32_dpp v12, v10 row_shr:4 row_mask:0xf bank_mask:0xf
	s_mov_b32 s2, exec_lo
	v_cmpx_lt_u32_e32 3, v32
; %bb.82:
	s_delay_alu instid0(VALU_DEP_3) | instskip(SKIP_2) | instid1(VALU_DEP_2)
	v_add_co_u32 v11, vcc_lo, v17, v9
	s_wait_alu 0xfffd
	v_add_co_ci_u32_e64 v10, null, 0, v18, vcc_lo
	v_add_co_u32 v9, vcc_lo, 0, v11
	s_wait_alu 0xfffd
	s_delay_alu instid0(VALU_DEP_2) | instskip(NEXT) | instid1(VALU_DEP_1)
	v_add_co_ci_u32_e64 v10, null, v12, v10, vcc_lo
	v_dual_mov_b32 v18, v10 :: v_dual_mov_b32 v17, v9
; %bb.83:
	s_wait_alu 0xfffe
	s_or_b32 exec_lo, exec_lo, s2
	v_mov_b32_dpp v12, v11 row_shr:8 row_mask:0xf bank_mask:0xf
	v_mov_b32_dpp v9, v10 row_shr:8 row_mask:0xf bank_mask:0xf
	s_mov_b32 s2, exec_lo
	v_cmpx_lt_u32_e32 7, v32
; %bb.84:
	s_delay_alu instid0(VALU_DEP_3) | instskip(SKIP_2) | instid1(VALU_DEP_2)
	v_add_co_u32 v11, vcc_lo, v17, v12
	s_wait_alu 0xfffd
	v_add_co_ci_u32_e64 v10, null, 0, v18, vcc_lo
	v_add_co_u32 v17, vcc_lo, 0, v11
	s_wait_alu 0xfffd
	s_delay_alu instid0(VALU_DEP_2) | instskip(NEXT) | instid1(VALU_DEP_1)
	v_add_co_ci_u32_e64 v18, null, v9, v10, vcc_lo
	v_mov_b32_e32 v10, v18
; %bb.85:
	s_wait_alu 0xfffe
	s_or_b32 exec_lo, exec_lo, s2
	ds_swizzle_b32 v11, v11 offset:swizzle(BROADCAST,32,15)
	ds_swizzle_b32 v9, v10 offset:swizzle(BROADCAST,32,15)
	v_and_b32_e32 v10, 16, v31
	s_mov_b32 s2, exec_lo
	s_delay_alu instid0(VALU_DEP_1)
	v_cmpx_ne_u32_e32 0, v10
	s_cbranch_execz .LBB85_87
; %bb.86:
	s_wait_dscnt 0x1
	v_add_co_u32 v10, vcc_lo, v17, v11
	s_wait_alu 0xfffd
	v_add_co_ci_u32_e64 v11, null, 0, v18, vcc_lo
	s_delay_alu instid0(VALU_DEP_2) | instskip(SKIP_2) | instid1(VALU_DEP_2)
	v_add_co_u32 v17, vcc_lo, v10, 0
	s_wait_dscnt 0x0
	s_wait_alu 0xfffd
	v_add_co_ci_u32_e64 v18, null, v11, v9, vcc_lo
.LBB85_87:
	s_wait_alu 0xfffe
	s_or_b32 exec_lo, exec_lo, s2
	s_wait_dscnt 0x0
	v_or_b32_e32 v9, 31, v0
	v_lshrrev_b32_e32 v11, 5, v0
	s_mov_b32 s2, exec_lo
	s_delay_alu instid0(VALU_DEP_2)
	v_cmpx_eq_u32_e64 v0, v9
; %bb.88:
	s_delay_alu instid0(VALU_DEP_2)
	v_lshlrev_b32_e32 v9, 3, v11
	ds_store_b64 v9, v[17:18]
; %bb.89:
	s_wait_alu 0xfffe
	s_or_b32 exec_lo, exec_lo, s2
	s_delay_alu instid0(SALU_CYCLE_1)
	s_mov_b32 s2, exec_lo
	s_wait_loadcnt_dscnt 0x0
	s_barrier_signal -1
	s_barrier_wait -1
	global_inv scope:SCOPE_SE
	v_cmpx_gt_u32_e32 8, v0
	s_cbranch_execz .LBB85_97
; %bb.90:
	v_lshlrev_b32_e32 v12, 3, v0
	s_mov_b32 s3, exec_lo
	ds_load_b64 v[9:10], v12
	s_wait_dscnt 0x0
	v_dual_mov_b32 v14, v9 :: v_dual_and_b32 v13, 7, v31
	v_mov_b32_dpp v16, v9 row_shr:1 row_mask:0xf bank_mask:0xf
	v_mov_b32_dpp v15, v10 row_shr:1 row_mask:0xf bank_mask:0xf
	s_delay_alu instid0(VALU_DEP_3)
	v_cmpx_ne_u32_e32 0, v13
; %bb.91:
	s_delay_alu instid0(VALU_DEP_3) | instskip(SKIP_2) | instid1(VALU_DEP_2)
	v_add_co_u32 v14, vcc_lo, v9, v16
	s_wait_alu 0xfffd
	v_add_co_ci_u32_e64 v10, null, 0, v10, vcc_lo
	v_add_co_u32 v9, vcc_lo, 0, v14
	s_wait_alu 0xfffd
	s_delay_alu instid0(VALU_DEP_2)
	v_add_co_ci_u32_e64 v10, null, v15, v10, vcc_lo
; %bb.92:
	s_wait_alu 0xfffe
	s_or_b32 exec_lo, exec_lo, s3
	v_mov_b32_dpp v16, v14 row_shr:2 row_mask:0xf bank_mask:0xf
	s_delay_alu instid0(VALU_DEP_2)
	v_mov_b32_dpp v15, v10 row_shr:2 row_mask:0xf bank_mask:0xf
	s_mov_b32 s3, exec_lo
	v_cmpx_lt_u32_e32 1, v13
; %bb.93:
	s_delay_alu instid0(VALU_DEP_3) | instskip(SKIP_2) | instid1(VALU_DEP_2)
	v_add_co_u32 v14, vcc_lo, v9, v16
	s_wait_alu 0xfffd
	v_add_co_ci_u32_e64 v10, null, 0, v10, vcc_lo
	v_add_co_u32 v9, vcc_lo, 0, v14
	s_wait_alu 0xfffd
	s_delay_alu instid0(VALU_DEP_2)
	v_add_co_ci_u32_e64 v10, null, v15, v10, vcc_lo
; %bb.94:
	s_wait_alu 0xfffe
	s_or_b32 exec_lo, exec_lo, s3
	v_mov_b32_dpp v15, v14 row_shr:4 row_mask:0xf bank_mask:0xf
	s_delay_alu instid0(VALU_DEP_2)
	v_mov_b32_dpp v14, v10 row_shr:4 row_mask:0xf bank_mask:0xf
	s_mov_b32 s3, exec_lo
	v_cmpx_lt_u32_e32 3, v13
; %bb.95:
	s_delay_alu instid0(VALU_DEP_3) | instskip(SKIP_2) | instid1(VALU_DEP_2)
	v_add_co_u32 v9, vcc_lo, v9, v15
	s_wait_alu 0xfffd
	v_add_co_ci_u32_e64 v10, null, 0, v10, vcc_lo
	v_add_co_u32 v9, vcc_lo, v9, 0
	s_wait_alu 0xfffd
	s_delay_alu instid0(VALU_DEP_2)
	v_add_co_ci_u32_e64 v10, null, v10, v14, vcc_lo
; %bb.96:
	s_wait_alu 0xfffe
	s_or_b32 exec_lo, exec_lo, s3
	ds_store_b64 v12, v[9:10]
.LBB85_97:
	s_wait_alu 0xfffe
	s_or_b32 exec_lo, exec_lo, s2
	v_mov_b32_e32 v13, 0
	v_mov_b32_e32 v14, 0
	s_mov_b32 s2, exec_lo
	s_wait_loadcnt_dscnt 0x0
	s_barrier_signal -1
	s_barrier_wait -1
	global_inv scope:SCOPE_SE
	v_cmpx_lt_u32_e32 31, v0
; %bb.98:
	v_lshl_add_u32 v9, v11, 3, -8
	ds_load_b64 v[13:14], v9
; %bb.99:
	s_wait_alu 0xfffe
	s_or_b32 exec_lo, exec_lo, s2
	v_sub_co_u32 v9, vcc_lo, v31, 1
	v_mov_b32_e32 v12, 0
	s_delay_alu instid0(VALU_DEP_2) | instskip(SKIP_1) | instid1(VALU_DEP_1)
	v_cmp_gt_i32_e64 s2, 0, v9
	s_wait_alu 0xf1ff
	v_cndmask_b32_e64 v9, v9, v31, s2
	s_wait_dscnt 0x0
	v_add_co_u32 v10, s2, v13, v17
	s_wait_alu 0xf1ff
	v_add_co_ci_u32_e64 v11, null, v14, v18, s2
	v_lshlrev_b32_e32 v9, 2, v9
	v_cmp_eq_u32_e64 s2, 0, v0
	ds_bpermute_b32 v15, v9, v10
	ds_bpermute_b32 v16, v9, v11
	ds_load_b64 v[9:10], v12 offset:56
	s_and_saveexec_b32 s3, s2
	s_cbranch_execz .LBB85_101
; %bb.100:
	s_wait_kmcnt 0x0
	s_add_nc_u64 s[4:5], s[6:7], 0x200
	s_wait_alu 0xfffe
	v_dual_mov_b32 v11, 2 :: v_dual_mov_b32 v18, s5
	v_mov_b32_e32 v17, s4
	s_wait_dscnt 0x0
	;;#ASMSTART
	global_store_b128 v[17:18], v[9:12] off scope:SCOPE_DEV	
s_wait_storecnt 0x0
	;;#ASMEND
.LBB85_101:
	s_wait_alu 0xfffe
	s_or_b32 exec_lo, exec_lo, s3
	s_wait_dscnt 0x1
	s_wait_alu 0xfffd
	v_dual_cndmask_b32 v11, v15, v13 :: v_dual_cndmask_b32 v12, v16, v14
	s_wait_loadcnt_dscnt 0x0
	s_barrier_signal -1
	s_barrier_wait -1
	s_delay_alu instid0(VALU_DEP_1)
	v_cndmask_b32_e64 v21, v11, 0, s2
	v_cndmask_b32_e64 v22, v12, 0, s2
	v_mov_b32_e32 v11, 0
	v_mov_b32_e32 v12, 0
	global_inv scope:SCOPE_SE
	v_add_co_u32 v19, vcc_lo, v21, v30
	s_wait_alu 0xfffd
	v_add_co_ci_u32_e64 v20, null, 0, v22, vcc_lo
	s_delay_alu instid0(VALU_DEP_2) | instskip(SKIP_1) | instid1(VALU_DEP_2)
	v_add_co_u32 v13, vcc_lo, v19, v29
	s_wait_alu 0xfffd
	v_add_co_ci_u32_e64 v14, null, 0, v20, vcc_lo
	s_delay_alu instid0(VALU_DEP_2) | instskip(SKIP_1) | instid1(VALU_DEP_2)
	v_add_co_u32 v15, vcc_lo, v13, v28
	s_wait_alu 0xfffd
	v_add_co_ci_u32_e64 v16, null, 0, v14, vcc_lo
.LBB85_102:
	s_load_b64 s[2:3], s[0:1], 0x28
	v_and_b32_e32 v23, 1, v27
	s_wait_dscnt 0x0
	v_cmp_gt_u64_e32 vcc_lo, 0x101, v[9:10]
	s_mov_b32 s1, -1
	s_delay_alu instid0(VALU_DEP_2)
	v_cmp_eq_u32_e64 s0, 1, v23
	s_cbranch_vccnz .LBB85_106
; %bb.103:
	s_wait_alu 0xfffe
	s_and_b32 vcc_lo, exec_lo, s1
	s_wait_alu 0xfffe
	s_cbranch_vccnz .LBB85_115
.LBB85_104:
	v_cmp_eq_u32_e32 vcc_lo, 0, v0
	s_and_b32 s0, vcc_lo, s12
	s_wait_alu 0xfffe
	s_and_saveexec_b32 s1, s0
	s_cbranch_execnz .LBB85_127
.LBB85_105:
	s_endpgm
.LBB85_106:
	v_add_co_u32 v17, vcc_lo, v11, v9
	s_wait_alu 0xfffd
	v_add_co_ci_u32_e64 v18, null, v12, v10, vcc_lo
	s_lshl_b64 s[4:5], s[10:11], 3
	s_wait_kmcnt 0x0
	s_wait_alu 0xfffe
	s_add_nc_u64 s[4:5], s[2:3], s[4:5]
	v_cmp_lt_u64_e32 vcc_lo, v[21:22], v[17:18]
	s_or_b32 s1, s13, vcc_lo
	s_wait_alu 0xfffe
	s_and_b32 s1, s1, s0
	s_wait_alu 0xfffe
	s_and_saveexec_b32 s0, s1
	s_cbranch_execz .LBB85_108
; %bb.107:
	v_lshlrev_b64_e32 v[27:28], 3, v[21:22]
	s_delay_alu instid0(VALU_DEP_1) | instskip(SKIP_1) | instid1(VALU_DEP_2)
	v_add_co_u32 v27, vcc_lo, s4, v27
	s_wait_alu 0xfffd
	v_add_co_ci_u32_e64 v28, null, s5, v28, vcc_lo
	global_store_b64 v[27:28], v[1:2], off
.LBB85_108:
	s_wait_alu 0xfffe
	s_or_b32 exec_lo, exec_lo, s0
	v_and_b32_e32 v22, 1, v26
	v_cmp_lt_u64_e32 vcc_lo, v[19:20], v[17:18]
	s_delay_alu instid0(VALU_DEP_2)
	v_cmp_eq_u32_e64 s0, 1, v22
	s_or_b32 s1, s13, vcc_lo
	s_wait_alu 0xfffe
	s_and_b32 s1, s1, s0
	s_wait_alu 0xfffe
	s_and_saveexec_b32 s0, s1
	s_cbranch_execz .LBB85_110
; %bb.109:
	v_lshlrev_b64_e32 v[27:28], 3, v[19:20]
	s_delay_alu instid0(VALU_DEP_1) | instskip(SKIP_1) | instid1(VALU_DEP_2)
	v_add_co_u32 v27, vcc_lo, s4, v27
	s_wait_alu 0xfffd
	v_add_co_ci_u32_e64 v28, null, s5, v28, vcc_lo
	global_store_b64 v[27:28], v[5:6], off
.LBB85_110:
	s_wait_alu 0xfffe
	s_or_b32 exec_lo, exec_lo, s0
	v_and_b32_e32 v20, 1, v25
	v_cmp_lt_u64_e32 vcc_lo, v[13:14], v[17:18]
	s_delay_alu instid0(VALU_DEP_2)
	v_cmp_eq_u32_e64 s0, 1, v20
	s_or_b32 s1, s13, vcc_lo
	s_wait_alu 0xfffe
	s_and_b32 s1, s1, s0
	s_wait_alu 0xfffe
	s_and_saveexec_b32 s0, s1
	s_cbranch_execz .LBB85_112
; %bb.111:
	v_lshlrev_b64_e32 v[27:28], 3, v[13:14]
	s_delay_alu instid0(VALU_DEP_1) | instskip(SKIP_1) | instid1(VALU_DEP_2)
	v_add_co_u32 v27, vcc_lo, s4, v27
	s_wait_alu 0xfffd
	v_add_co_ci_u32_e64 v28, null, s5, v28, vcc_lo
	global_store_b64 v[27:28], v[7:8], off
.LBB85_112:
	s_wait_alu 0xfffe
	s_or_b32 exec_lo, exec_lo, s0
	v_cmp_lt_u64_e32 vcc_lo, v[15:16], v[17:18]
	s_or_b32 s0, s13, vcc_lo
	s_wait_alu 0xfffe
	s_and_b32 s1, s0, s14
	s_wait_alu 0xfffe
	s_and_saveexec_b32 s0, s1
	s_cbranch_execz .LBB85_114
; %bb.113:
	v_lshlrev_b64_e32 v[16:17], 3, v[15:16]
	s_delay_alu instid0(VALU_DEP_1) | instskip(SKIP_1) | instid1(VALU_DEP_2)
	v_add_co_u32 v16, vcc_lo, s4, v16
	s_wait_alu 0xfffd
	v_add_co_ci_u32_e64 v17, null, s5, v17, vcc_lo
	global_store_b64 v[16:17], v[3:4], off
.LBB85_114:
	s_wait_alu 0xfffe
	s_or_b32 exec_lo, exec_lo, s0
	s_branch .LBB85_104
.LBB85_115:
	s_mov_b32 s0, exec_lo
	v_cmpx_eq_u32_e32 1, v23
; %bb.116:
	v_sub_nc_u32_e32 v14, v21, v11
	s_delay_alu instid0(VALU_DEP_1)
	v_lshlrev_b32_e32 v14, 3, v14
	ds_store_b64 v14, v[1:2]
; %bb.117:
	s_wait_alu 0xfffe
	s_or_b32 exec_lo, exec_lo, s0
	v_and_b32_e32 v1, 1, v26
	s_mov_b32 s0, exec_lo
	s_delay_alu instid0(VALU_DEP_1)
	v_cmpx_eq_u32_e32 1, v1
; %bb.118:
	v_sub_nc_u32_e32 v1, v19, v11
	s_delay_alu instid0(VALU_DEP_1)
	v_lshlrev_b32_e32 v1, 3, v1
	ds_store_b64 v1, v[5:6]
; %bb.119:
	s_wait_alu 0xfffe
	s_or_b32 exec_lo, exec_lo, s0
	v_and_b32_e32 v1, 1, v25
	s_mov_b32 s0, exec_lo
	s_delay_alu instid0(VALU_DEP_1)
	v_cmpx_eq_u32_e32 1, v1
; %bb.120:
	v_sub_nc_u32_e32 v1, v13, v11
	s_delay_alu instid0(VALU_DEP_1)
	v_lshlrev_b32_e32 v1, 3, v1
	ds_store_b64 v1, v[7:8]
; %bb.121:
	s_wait_alu 0xfffe
	s_or_b32 exec_lo, exec_lo, s0
	s_and_saveexec_b32 s0, s14
; %bb.122:
	v_sub_nc_u32_e32 v1, v15, v11
	s_delay_alu instid0(VALU_DEP_1)
	v_lshlrev_b32_e32 v1, 3, v1
	ds_store_b64 v1, v[3:4]
; %bb.123:
	s_wait_alu 0xfffe
	s_or_b32 exec_lo, exec_lo, s0
	v_mov_b32_e32 v3, 0
	s_mov_b32 s1, exec_lo
	s_wait_storecnt 0x0
	s_wait_loadcnt_dscnt 0x0
	s_barrier_signal -1
	s_barrier_wait -1
	v_mov_b32_e32 v1, v3
	global_inv scope:SCOPE_SE
	v_cmpx_gt_u64_e64 v[9:10], v[0:1]
	s_cbranch_execz .LBB85_126
; %bb.124:
	v_lshlrev_b64_e32 v[4:5], 3, v[11:12]
	s_lshl_b64 s[4:5], s[10:11], 3
	v_or_b32_e32 v2, 0x100, v0
	s_wait_kmcnt 0x0
	s_wait_alu 0xfffe
	s_add_nc_u64 s[2:3], s[2:3], s[4:5]
	s_wait_alu 0xfffe
	v_add_co_u32 v6, vcc_lo, s2, v4
	s_wait_alu 0xfffd
	v_add_co_ci_u32_e64 v7, null, s3, v5, vcc_lo
	v_dual_mov_b32 v5, v1 :: v_dual_mov_b32 v4, v0
	s_mov_b32 s2, 0
.LBB85_125:                             ; =>This Inner Loop Header: Depth=1
	s_delay_alu instid0(VALU_DEP_1) | instskip(NEXT) | instid1(VALU_DEP_2)
	v_lshlrev_b32_e32 v1, 3, v4
	v_lshlrev_b64_e32 v[15:16], 3, v[4:5]
	v_dual_mov_b32 v5, v3 :: v_dual_mov_b32 v4, v2
	v_cmp_le_u64_e32 vcc_lo, v[9:10], v[2:3]
	ds_load_b64 v[13:14], v1
	v_add_nc_u32_e32 v2, 0x100, v2
	v_add_co_u32 v15, s0, v6, v15
	s_wait_alu 0xf1ff
	v_add_co_ci_u32_e64 v16, null, v7, v16, s0
	s_wait_alu 0xfffe
	s_or_b32 s2, vcc_lo, s2
	s_wait_dscnt 0x0
	global_store_b64 v[15:16], v[13:14], off
	s_wait_alu 0xfffe
	s_and_not1_b32 exec_lo, exec_lo, s2
	s_cbranch_execnz .LBB85_125
.LBB85_126:
	s_wait_alu 0xfffe
	s_or_b32 exec_lo, exec_lo, s1
	v_cmp_eq_u32_e32 vcc_lo, 0, v0
	s_and_b32 s0, vcc_lo, s12
	s_wait_alu 0xfffe
	s_and_saveexec_b32 s1, s0
	s_cbranch_execz .LBB85_105
.LBB85_127:
	v_add_co_u32 v0, vcc_lo, v11, v9
	s_wait_alu 0xfffd
	v_add_co_ci_u32_e64 v1, null, v12, v10, vcc_lo
	v_mov_b32_e32 v2, 0
	s_delay_alu instid0(VALU_DEP_3) | instskip(SKIP_1) | instid1(VALU_DEP_3)
	v_add_co_u32 v0, vcc_lo, v0, s10
	s_wait_alu 0xfffd
	v_add_co_ci_u32_e64 v1, null, s11, v1, vcc_lo
	global_store_b64 v2, v[0:1], s[8:9]
	s_endpgm
.LBB85_128:
	v_lshlrev_b32_e32 v3, 3, v0
	s_delay_alu instid0(VALU_DEP_1)
	v_add_co_u32 v3, s5, s2, v3
	s_wait_alu 0xf1ff
	v_add_co_ci_u32_e64 v4, null, s3, 0, s5
	flat_load_b64 v[3:4], v[3:4] offset:2048
	s_wait_alu 0xfffe
	s_or_b32 exec_lo, exec_lo, s4
	s_delay_alu instid0(SALU_CYCLE_1)
	s_mov_b32 s4, exec_lo
	v_cmpx_gt_u32_e64 s15, v11
	s_cbranch_execz .LBB85_7
.LBB85_129:
	v_lshlrev_b32_e32 v5, 3, v0
	s_delay_alu instid0(VALU_DEP_1)
	v_add_co_u32 v5, s5, s2, v5
	s_wait_alu 0xf1ff
	v_add_co_ci_u32_e64 v6, null, s3, 0, s5
	flat_load_b64 v[5:6], v[5:6] offset:4096
	s_wait_alu 0xfffe
	s_or_b32 exec_lo, exec_lo, s4
	s_delay_alu instid0(SALU_CYCLE_1)
	s_mov_b32 s4, exec_lo
	v_cmpx_gt_u32_e64 s15, v10
	s_cbranch_execnz .LBB85_8
	s_branch .LBB85_9
	.section	.rodata,"a",@progbits
	.p2align	6, 0x0
	.amdhsa_kernel _ZN7rocprim17ROCPRIM_400000_NS6detail17trampoline_kernelINS0_14default_configENS1_25partition_config_selectorILNS1_17partition_subalgoE6EyNS0_10empty_typeEbEEZZNS1_14partition_implILS5_6ELb0ES3_mN6thrust23THRUST_200600_302600_NS6detail15normal_iteratorINSA_10device_ptrIyEEEEPS6_SG_NS0_5tupleIJSF_S6_EEENSH_IJSG_SG_EEES6_PlJNSB_9not_fun_tINSB_10functional5actorINSM_9compositeIJNSM_27transparent_binary_operatorINSA_8equal_toIvEEEENSN_INSM_8argumentILj0EEEEENSM_5valueIyEEEEEEEEEEEE10hipError_tPvRmT3_T4_T5_T6_T7_T9_mT8_P12ihipStream_tbDpT10_ENKUlT_T0_E_clISt17integral_constantIbLb0EES1K_EEDaS1F_S1G_EUlS1F_E_NS1_11comp_targetILNS1_3genE10ELNS1_11target_archE1200ELNS1_3gpuE4ELNS1_3repE0EEENS1_30default_config_static_selectorELNS0_4arch9wavefront6targetE0EEEvT1_
		.amdhsa_group_segment_fixed_size 8464
		.amdhsa_private_segment_fixed_size 0
		.amdhsa_kernarg_size 128
		.amdhsa_user_sgpr_count 2
		.amdhsa_user_sgpr_dispatch_ptr 0
		.amdhsa_user_sgpr_queue_ptr 0
		.amdhsa_user_sgpr_kernarg_segment_ptr 1
		.amdhsa_user_sgpr_dispatch_id 0
		.amdhsa_user_sgpr_private_segment_size 0
		.amdhsa_wavefront_size32 1
		.amdhsa_uses_dynamic_stack 0
		.amdhsa_enable_private_segment 0
		.amdhsa_system_sgpr_workgroup_id_x 1
		.amdhsa_system_sgpr_workgroup_id_y 0
		.amdhsa_system_sgpr_workgroup_id_z 0
		.amdhsa_system_sgpr_workgroup_info 0
		.amdhsa_system_vgpr_workitem_id 0
		.amdhsa_next_free_vgpr 46
		.amdhsa_next_free_sgpr 22
		.amdhsa_reserve_vcc 1
		.amdhsa_float_round_mode_32 0
		.amdhsa_float_round_mode_16_64 0
		.amdhsa_float_denorm_mode_32 3
		.amdhsa_float_denorm_mode_16_64 3
		.amdhsa_fp16_overflow 0
		.amdhsa_workgroup_processor_mode 1
		.amdhsa_memory_ordered 1
		.amdhsa_forward_progress 1
		.amdhsa_inst_pref_size 50
		.amdhsa_round_robin_scheduling 0
		.amdhsa_exception_fp_ieee_invalid_op 0
		.amdhsa_exception_fp_denorm_src 0
		.amdhsa_exception_fp_ieee_div_zero 0
		.amdhsa_exception_fp_ieee_overflow 0
		.amdhsa_exception_fp_ieee_underflow 0
		.amdhsa_exception_fp_ieee_inexact 0
		.amdhsa_exception_int_div_zero 0
	.end_amdhsa_kernel
	.section	.text._ZN7rocprim17ROCPRIM_400000_NS6detail17trampoline_kernelINS0_14default_configENS1_25partition_config_selectorILNS1_17partition_subalgoE6EyNS0_10empty_typeEbEEZZNS1_14partition_implILS5_6ELb0ES3_mN6thrust23THRUST_200600_302600_NS6detail15normal_iteratorINSA_10device_ptrIyEEEEPS6_SG_NS0_5tupleIJSF_S6_EEENSH_IJSG_SG_EEES6_PlJNSB_9not_fun_tINSB_10functional5actorINSM_9compositeIJNSM_27transparent_binary_operatorINSA_8equal_toIvEEEENSN_INSM_8argumentILj0EEEEENSM_5valueIyEEEEEEEEEEEE10hipError_tPvRmT3_T4_T5_T6_T7_T9_mT8_P12ihipStream_tbDpT10_ENKUlT_T0_E_clISt17integral_constantIbLb0EES1K_EEDaS1F_S1G_EUlS1F_E_NS1_11comp_targetILNS1_3genE10ELNS1_11target_archE1200ELNS1_3gpuE4ELNS1_3repE0EEENS1_30default_config_static_selectorELNS0_4arch9wavefront6targetE0EEEvT1_,"axG",@progbits,_ZN7rocprim17ROCPRIM_400000_NS6detail17trampoline_kernelINS0_14default_configENS1_25partition_config_selectorILNS1_17partition_subalgoE6EyNS0_10empty_typeEbEEZZNS1_14partition_implILS5_6ELb0ES3_mN6thrust23THRUST_200600_302600_NS6detail15normal_iteratorINSA_10device_ptrIyEEEEPS6_SG_NS0_5tupleIJSF_S6_EEENSH_IJSG_SG_EEES6_PlJNSB_9not_fun_tINSB_10functional5actorINSM_9compositeIJNSM_27transparent_binary_operatorINSA_8equal_toIvEEEENSN_INSM_8argumentILj0EEEEENSM_5valueIyEEEEEEEEEEEE10hipError_tPvRmT3_T4_T5_T6_T7_T9_mT8_P12ihipStream_tbDpT10_ENKUlT_T0_E_clISt17integral_constantIbLb0EES1K_EEDaS1F_S1G_EUlS1F_E_NS1_11comp_targetILNS1_3genE10ELNS1_11target_archE1200ELNS1_3gpuE4ELNS1_3repE0EEENS1_30default_config_static_selectorELNS0_4arch9wavefront6targetE0EEEvT1_,comdat
.Lfunc_end85:
	.size	_ZN7rocprim17ROCPRIM_400000_NS6detail17trampoline_kernelINS0_14default_configENS1_25partition_config_selectorILNS1_17partition_subalgoE6EyNS0_10empty_typeEbEEZZNS1_14partition_implILS5_6ELb0ES3_mN6thrust23THRUST_200600_302600_NS6detail15normal_iteratorINSA_10device_ptrIyEEEEPS6_SG_NS0_5tupleIJSF_S6_EEENSH_IJSG_SG_EEES6_PlJNSB_9not_fun_tINSB_10functional5actorINSM_9compositeIJNSM_27transparent_binary_operatorINSA_8equal_toIvEEEENSN_INSM_8argumentILj0EEEEENSM_5valueIyEEEEEEEEEEEE10hipError_tPvRmT3_T4_T5_T6_T7_T9_mT8_P12ihipStream_tbDpT10_ENKUlT_T0_E_clISt17integral_constantIbLb0EES1K_EEDaS1F_S1G_EUlS1F_E_NS1_11comp_targetILNS1_3genE10ELNS1_11target_archE1200ELNS1_3gpuE4ELNS1_3repE0EEENS1_30default_config_static_selectorELNS0_4arch9wavefront6targetE0EEEvT1_, .Lfunc_end85-_ZN7rocprim17ROCPRIM_400000_NS6detail17trampoline_kernelINS0_14default_configENS1_25partition_config_selectorILNS1_17partition_subalgoE6EyNS0_10empty_typeEbEEZZNS1_14partition_implILS5_6ELb0ES3_mN6thrust23THRUST_200600_302600_NS6detail15normal_iteratorINSA_10device_ptrIyEEEEPS6_SG_NS0_5tupleIJSF_S6_EEENSH_IJSG_SG_EEES6_PlJNSB_9not_fun_tINSB_10functional5actorINSM_9compositeIJNSM_27transparent_binary_operatorINSA_8equal_toIvEEEENSN_INSM_8argumentILj0EEEEENSM_5valueIyEEEEEEEEEEEE10hipError_tPvRmT3_T4_T5_T6_T7_T9_mT8_P12ihipStream_tbDpT10_ENKUlT_T0_E_clISt17integral_constantIbLb0EES1K_EEDaS1F_S1G_EUlS1F_E_NS1_11comp_targetILNS1_3genE10ELNS1_11target_archE1200ELNS1_3gpuE4ELNS1_3repE0EEENS1_30default_config_static_selectorELNS0_4arch9wavefront6targetE0EEEvT1_
                                        ; -- End function
	.set _ZN7rocprim17ROCPRIM_400000_NS6detail17trampoline_kernelINS0_14default_configENS1_25partition_config_selectorILNS1_17partition_subalgoE6EyNS0_10empty_typeEbEEZZNS1_14partition_implILS5_6ELb0ES3_mN6thrust23THRUST_200600_302600_NS6detail15normal_iteratorINSA_10device_ptrIyEEEEPS6_SG_NS0_5tupleIJSF_S6_EEENSH_IJSG_SG_EEES6_PlJNSB_9not_fun_tINSB_10functional5actorINSM_9compositeIJNSM_27transparent_binary_operatorINSA_8equal_toIvEEEENSN_INSM_8argumentILj0EEEEENSM_5valueIyEEEEEEEEEEEE10hipError_tPvRmT3_T4_T5_T6_T7_T9_mT8_P12ihipStream_tbDpT10_ENKUlT_T0_E_clISt17integral_constantIbLb0EES1K_EEDaS1F_S1G_EUlS1F_E_NS1_11comp_targetILNS1_3genE10ELNS1_11target_archE1200ELNS1_3gpuE4ELNS1_3repE0EEENS1_30default_config_static_selectorELNS0_4arch9wavefront6targetE0EEEvT1_.num_vgpr, 46
	.set _ZN7rocprim17ROCPRIM_400000_NS6detail17trampoline_kernelINS0_14default_configENS1_25partition_config_selectorILNS1_17partition_subalgoE6EyNS0_10empty_typeEbEEZZNS1_14partition_implILS5_6ELb0ES3_mN6thrust23THRUST_200600_302600_NS6detail15normal_iteratorINSA_10device_ptrIyEEEEPS6_SG_NS0_5tupleIJSF_S6_EEENSH_IJSG_SG_EEES6_PlJNSB_9not_fun_tINSB_10functional5actorINSM_9compositeIJNSM_27transparent_binary_operatorINSA_8equal_toIvEEEENSN_INSM_8argumentILj0EEEEENSM_5valueIyEEEEEEEEEEEE10hipError_tPvRmT3_T4_T5_T6_T7_T9_mT8_P12ihipStream_tbDpT10_ENKUlT_T0_E_clISt17integral_constantIbLb0EES1K_EEDaS1F_S1G_EUlS1F_E_NS1_11comp_targetILNS1_3genE10ELNS1_11target_archE1200ELNS1_3gpuE4ELNS1_3repE0EEENS1_30default_config_static_selectorELNS0_4arch9wavefront6targetE0EEEvT1_.num_agpr, 0
	.set _ZN7rocprim17ROCPRIM_400000_NS6detail17trampoline_kernelINS0_14default_configENS1_25partition_config_selectorILNS1_17partition_subalgoE6EyNS0_10empty_typeEbEEZZNS1_14partition_implILS5_6ELb0ES3_mN6thrust23THRUST_200600_302600_NS6detail15normal_iteratorINSA_10device_ptrIyEEEEPS6_SG_NS0_5tupleIJSF_S6_EEENSH_IJSG_SG_EEES6_PlJNSB_9not_fun_tINSB_10functional5actorINSM_9compositeIJNSM_27transparent_binary_operatorINSA_8equal_toIvEEEENSN_INSM_8argumentILj0EEEEENSM_5valueIyEEEEEEEEEEEE10hipError_tPvRmT3_T4_T5_T6_T7_T9_mT8_P12ihipStream_tbDpT10_ENKUlT_T0_E_clISt17integral_constantIbLb0EES1K_EEDaS1F_S1G_EUlS1F_E_NS1_11comp_targetILNS1_3genE10ELNS1_11target_archE1200ELNS1_3gpuE4ELNS1_3repE0EEENS1_30default_config_static_selectorELNS0_4arch9wavefront6targetE0EEEvT1_.numbered_sgpr, 22
	.set _ZN7rocprim17ROCPRIM_400000_NS6detail17trampoline_kernelINS0_14default_configENS1_25partition_config_selectorILNS1_17partition_subalgoE6EyNS0_10empty_typeEbEEZZNS1_14partition_implILS5_6ELb0ES3_mN6thrust23THRUST_200600_302600_NS6detail15normal_iteratorINSA_10device_ptrIyEEEEPS6_SG_NS0_5tupleIJSF_S6_EEENSH_IJSG_SG_EEES6_PlJNSB_9not_fun_tINSB_10functional5actorINSM_9compositeIJNSM_27transparent_binary_operatorINSA_8equal_toIvEEEENSN_INSM_8argumentILj0EEEEENSM_5valueIyEEEEEEEEEEEE10hipError_tPvRmT3_T4_T5_T6_T7_T9_mT8_P12ihipStream_tbDpT10_ENKUlT_T0_E_clISt17integral_constantIbLb0EES1K_EEDaS1F_S1G_EUlS1F_E_NS1_11comp_targetILNS1_3genE10ELNS1_11target_archE1200ELNS1_3gpuE4ELNS1_3repE0EEENS1_30default_config_static_selectorELNS0_4arch9wavefront6targetE0EEEvT1_.num_named_barrier, 0
	.set _ZN7rocprim17ROCPRIM_400000_NS6detail17trampoline_kernelINS0_14default_configENS1_25partition_config_selectorILNS1_17partition_subalgoE6EyNS0_10empty_typeEbEEZZNS1_14partition_implILS5_6ELb0ES3_mN6thrust23THRUST_200600_302600_NS6detail15normal_iteratorINSA_10device_ptrIyEEEEPS6_SG_NS0_5tupleIJSF_S6_EEENSH_IJSG_SG_EEES6_PlJNSB_9not_fun_tINSB_10functional5actorINSM_9compositeIJNSM_27transparent_binary_operatorINSA_8equal_toIvEEEENSN_INSM_8argumentILj0EEEEENSM_5valueIyEEEEEEEEEEEE10hipError_tPvRmT3_T4_T5_T6_T7_T9_mT8_P12ihipStream_tbDpT10_ENKUlT_T0_E_clISt17integral_constantIbLb0EES1K_EEDaS1F_S1G_EUlS1F_E_NS1_11comp_targetILNS1_3genE10ELNS1_11target_archE1200ELNS1_3gpuE4ELNS1_3repE0EEENS1_30default_config_static_selectorELNS0_4arch9wavefront6targetE0EEEvT1_.private_seg_size, 0
	.set _ZN7rocprim17ROCPRIM_400000_NS6detail17trampoline_kernelINS0_14default_configENS1_25partition_config_selectorILNS1_17partition_subalgoE6EyNS0_10empty_typeEbEEZZNS1_14partition_implILS5_6ELb0ES3_mN6thrust23THRUST_200600_302600_NS6detail15normal_iteratorINSA_10device_ptrIyEEEEPS6_SG_NS0_5tupleIJSF_S6_EEENSH_IJSG_SG_EEES6_PlJNSB_9not_fun_tINSB_10functional5actorINSM_9compositeIJNSM_27transparent_binary_operatorINSA_8equal_toIvEEEENSN_INSM_8argumentILj0EEEEENSM_5valueIyEEEEEEEEEEEE10hipError_tPvRmT3_T4_T5_T6_T7_T9_mT8_P12ihipStream_tbDpT10_ENKUlT_T0_E_clISt17integral_constantIbLb0EES1K_EEDaS1F_S1G_EUlS1F_E_NS1_11comp_targetILNS1_3genE10ELNS1_11target_archE1200ELNS1_3gpuE4ELNS1_3repE0EEENS1_30default_config_static_selectorELNS0_4arch9wavefront6targetE0EEEvT1_.uses_vcc, 1
	.set _ZN7rocprim17ROCPRIM_400000_NS6detail17trampoline_kernelINS0_14default_configENS1_25partition_config_selectorILNS1_17partition_subalgoE6EyNS0_10empty_typeEbEEZZNS1_14partition_implILS5_6ELb0ES3_mN6thrust23THRUST_200600_302600_NS6detail15normal_iteratorINSA_10device_ptrIyEEEEPS6_SG_NS0_5tupleIJSF_S6_EEENSH_IJSG_SG_EEES6_PlJNSB_9not_fun_tINSB_10functional5actorINSM_9compositeIJNSM_27transparent_binary_operatorINSA_8equal_toIvEEEENSN_INSM_8argumentILj0EEEEENSM_5valueIyEEEEEEEEEEEE10hipError_tPvRmT3_T4_T5_T6_T7_T9_mT8_P12ihipStream_tbDpT10_ENKUlT_T0_E_clISt17integral_constantIbLb0EES1K_EEDaS1F_S1G_EUlS1F_E_NS1_11comp_targetILNS1_3genE10ELNS1_11target_archE1200ELNS1_3gpuE4ELNS1_3repE0EEENS1_30default_config_static_selectorELNS0_4arch9wavefront6targetE0EEEvT1_.uses_flat_scratch, 1
	.set _ZN7rocprim17ROCPRIM_400000_NS6detail17trampoline_kernelINS0_14default_configENS1_25partition_config_selectorILNS1_17partition_subalgoE6EyNS0_10empty_typeEbEEZZNS1_14partition_implILS5_6ELb0ES3_mN6thrust23THRUST_200600_302600_NS6detail15normal_iteratorINSA_10device_ptrIyEEEEPS6_SG_NS0_5tupleIJSF_S6_EEENSH_IJSG_SG_EEES6_PlJNSB_9not_fun_tINSB_10functional5actorINSM_9compositeIJNSM_27transparent_binary_operatorINSA_8equal_toIvEEEENSN_INSM_8argumentILj0EEEEENSM_5valueIyEEEEEEEEEEEE10hipError_tPvRmT3_T4_T5_T6_T7_T9_mT8_P12ihipStream_tbDpT10_ENKUlT_T0_E_clISt17integral_constantIbLb0EES1K_EEDaS1F_S1G_EUlS1F_E_NS1_11comp_targetILNS1_3genE10ELNS1_11target_archE1200ELNS1_3gpuE4ELNS1_3repE0EEENS1_30default_config_static_selectorELNS0_4arch9wavefront6targetE0EEEvT1_.has_dyn_sized_stack, 0
	.set _ZN7rocprim17ROCPRIM_400000_NS6detail17trampoline_kernelINS0_14default_configENS1_25partition_config_selectorILNS1_17partition_subalgoE6EyNS0_10empty_typeEbEEZZNS1_14partition_implILS5_6ELb0ES3_mN6thrust23THRUST_200600_302600_NS6detail15normal_iteratorINSA_10device_ptrIyEEEEPS6_SG_NS0_5tupleIJSF_S6_EEENSH_IJSG_SG_EEES6_PlJNSB_9not_fun_tINSB_10functional5actorINSM_9compositeIJNSM_27transparent_binary_operatorINSA_8equal_toIvEEEENSN_INSM_8argumentILj0EEEEENSM_5valueIyEEEEEEEEEEEE10hipError_tPvRmT3_T4_T5_T6_T7_T9_mT8_P12ihipStream_tbDpT10_ENKUlT_T0_E_clISt17integral_constantIbLb0EES1K_EEDaS1F_S1G_EUlS1F_E_NS1_11comp_targetILNS1_3genE10ELNS1_11target_archE1200ELNS1_3gpuE4ELNS1_3repE0EEENS1_30default_config_static_selectorELNS0_4arch9wavefront6targetE0EEEvT1_.has_recursion, 0
	.set _ZN7rocprim17ROCPRIM_400000_NS6detail17trampoline_kernelINS0_14default_configENS1_25partition_config_selectorILNS1_17partition_subalgoE6EyNS0_10empty_typeEbEEZZNS1_14partition_implILS5_6ELb0ES3_mN6thrust23THRUST_200600_302600_NS6detail15normal_iteratorINSA_10device_ptrIyEEEEPS6_SG_NS0_5tupleIJSF_S6_EEENSH_IJSG_SG_EEES6_PlJNSB_9not_fun_tINSB_10functional5actorINSM_9compositeIJNSM_27transparent_binary_operatorINSA_8equal_toIvEEEENSN_INSM_8argumentILj0EEEEENSM_5valueIyEEEEEEEEEEEE10hipError_tPvRmT3_T4_T5_T6_T7_T9_mT8_P12ihipStream_tbDpT10_ENKUlT_T0_E_clISt17integral_constantIbLb0EES1K_EEDaS1F_S1G_EUlS1F_E_NS1_11comp_targetILNS1_3genE10ELNS1_11target_archE1200ELNS1_3gpuE4ELNS1_3repE0EEENS1_30default_config_static_selectorELNS0_4arch9wavefront6targetE0EEEvT1_.has_indirect_call, 0
	.section	.AMDGPU.csdata,"",@progbits
; Kernel info:
; codeLenInByte = 6392
; TotalNumSgprs: 24
; NumVgprs: 46
; ScratchSize: 0
; MemoryBound: 0
; FloatMode: 240
; IeeeMode: 1
; LDSByteSize: 8464 bytes/workgroup (compile time only)
; SGPRBlocks: 0
; VGPRBlocks: 5
; NumSGPRsForWavesPerEU: 24
; NumVGPRsForWavesPerEU: 46
; Occupancy: 16
; WaveLimiterHint : 1
; COMPUTE_PGM_RSRC2:SCRATCH_EN: 0
; COMPUTE_PGM_RSRC2:USER_SGPR: 2
; COMPUTE_PGM_RSRC2:TRAP_HANDLER: 0
; COMPUTE_PGM_RSRC2:TGID_X_EN: 1
; COMPUTE_PGM_RSRC2:TGID_Y_EN: 0
; COMPUTE_PGM_RSRC2:TGID_Z_EN: 0
; COMPUTE_PGM_RSRC2:TIDIG_COMP_CNT: 0
	.section	.text._ZN7rocprim17ROCPRIM_400000_NS6detail17trampoline_kernelINS0_14default_configENS1_25partition_config_selectorILNS1_17partition_subalgoE6EyNS0_10empty_typeEbEEZZNS1_14partition_implILS5_6ELb0ES3_mN6thrust23THRUST_200600_302600_NS6detail15normal_iteratorINSA_10device_ptrIyEEEEPS6_SG_NS0_5tupleIJSF_S6_EEENSH_IJSG_SG_EEES6_PlJNSB_9not_fun_tINSB_10functional5actorINSM_9compositeIJNSM_27transparent_binary_operatorINSA_8equal_toIvEEEENSN_INSM_8argumentILj0EEEEENSM_5valueIyEEEEEEEEEEEE10hipError_tPvRmT3_T4_T5_T6_T7_T9_mT8_P12ihipStream_tbDpT10_ENKUlT_T0_E_clISt17integral_constantIbLb0EES1K_EEDaS1F_S1G_EUlS1F_E_NS1_11comp_targetILNS1_3genE9ELNS1_11target_archE1100ELNS1_3gpuE3ELNS1_3repE0EEENS1_30default_config_static_selectorELNS0_4arch9wavefront6targetE0EEEvT1_,"axG",@progbits,_ZN7rocprim17ROCPRIM_400000_NS6detail17trampoline_kernelINS0_14default_configENS1_25partition_config_selectorILNS1_17partition_subalgoE6EyNS0_10empty_typeEbEEZZNS1_14partition_implILS5_6ELb0ES3_mN6thrust23THRUST_200600_302600_NS6detail15normal_iteratorINSA_10device_ptrIyEEEEPS6_SG_NS0_5tupleIJSF_S6_EEENSH_IJSG_SG_EEES6_PlJNSB_9not_fun_tINSB_10functional5actorINSM_9compositeIJNSM_27transparent_binary_operatorINSA_8equal_toIvEEEENSN_INSM_8argumentILj0EEEEENSM_5valueIyEEEEEEEEEEEE10hipError_tPvRmT3_T4_T5_T6_T7_T9_mT8_P12ihipStream_tbDpT10_ENKUlT_T0_E_clISt17integral_constantIbLb0EES1K_EEDaS1F_S1G_EUlS1F_E_NS1_11comp_targetILNS1_3genE9ELNS1_11target_archE1100ELNS1_3gpuE3ELNS1_3repE0EEENS1_30default_config_static_selectorELNS0_4arch9wavefront6targetE0EEEvT1_,comdat
	.protected	_ZN7rocprim17ROCPRIM_400000_NS6detail17trampoline_kernelINS0_14default_configENS1_25partition_config_selectorILNS1_17partition_subalgoE6EyNS0_10empty_typeEbEEZZNS1_14partition_implILS5_6ELb0ES3_mN6thrust23THRUST_200600_302600_NS6detail15normal_iteratorINSA_10device_ptrIyEEEEPS6_SG_NS0_5tupleIJSF_S6_EEENSH_IJSG_SG_EEES6_PlJNSB_9not_fun_tINSB_10functional5actorINSM_9compositeIJNSM_27transparent_binary_operatorINSA_8equal_toIvEEEENSN_INSM_8argumentILj0EEEEENSM_5valueIyEEEEEEEEEEEE10hipError_tPvRmT3_T4_T5_T6_T7_T9_mT8_P12ihipStream_tbDpT10_ENKUlT_T0_E_clISt17integral_constantIbLb0EES1K_EEDaS1F_S1G_EUlS1F_E_NS1_11comp_targetILNS1_3genE9ELNS1_11target_archE1100ELNS1_3gpuE3ELNS1_3repE0EEENS1_30default_config_static_selectorELNS0_4arch9wavefront6targetE0EEEvT1_ ; -- Begin function _ZN7rocprim17ROCPRIM_400000_NS6detail17trampoline_kernelINS0_14default_configENS1_25partition_config_selectorILNS1_17partition_subalgoE6EyNS0_10empty_typeEbEEZZNS1_14partition_implILS5_6ELb0ES3_mN6thrust23THRUST_200600_302600_NS6detail15normal_iteratorINSA_10device_ptrIyEEEEPS6_SG_NS0_5tupleIJSF_S6_EEENSH_IJSG_SG_EEES6_PlJNSB_9not_fun_tINSB_10functional5actorINSM_9compositeIJNSM_27transparent_binary_operatorINSA_8equal_toIvEEEENSN_INSM_8argumentILj0EEEEENSM_5valueIyEEEEEEEEEEEE10hipError_tPvRmT3_T4_T5_T6_T7_T9_mT8_P12ihipStream_tbDpT10_ENKUlT_T0_E_clISt17integral_constantIbLb0EES1K_EEDaS1F_S1G_EUlS1F_E_NS1_11comp_targetILNS1_3genE9ELNS1_11target_archE1100ELNS1_3gpuE3ELNS1_3repE0EEENS1_30default_config_static_selectorELNS0_4arch9wavefront6targetE0EEEvT1_
	.globl	_ZN7rocprim17ROCPRIM_400000_NS6detail17trampoline_kernelINS0_14default_configENS1_25partition_config_selectorILNS1_17partition_subalgoE6EyNS0_10empty_typeEbEEZZNS1_14partition_implILS5_6ELb0ES3_mN6thrust23THRUST_200600_302600_NS6detail15normal_iteratorINSA_10device_ptrIyEEEEPS6_SG_NS0_5tupleIJSF_S6_EEENSH_IJSG_SG_EEES6_PlJNSB_9not_fun_tINSB_10functional5actorINSM_9compositeIJNSM_27transparent_binary_operatorINSA_8equal_toIvEEEENSN_INSM_8argumentILj0EEEEENSM_5valueIyEEEEEEEEEEEE10hipError_tPvRmT3_T4_T5_T6_T7_T9_mT8_P12ihipStream_tbDpT10_ENKUlT_T0_E_clISt17integral_constantIbLb0EES1K_EEDaS1F_S1G_EUlS1F_E_NS1_11comp_targetILNS1_3genE9ELNS1_11target_archE1100ELNS1_3gpuE3ELNS1_3repE0EEENS1_30default_config_static_selectorELNS0_4arch9wavefront6targetE0EEEvT1_
	.p2align	8
	.type	_ZN7rocprim17ROCPRIM_400000_NS6detail17trampoline_kernelINS0_14default_configENS1_25partition_config_selectorILNS1_17partition_subalgoE6EyNS0_10empty_typeEbEEZZNS1_14partition_implILS5_6ELb0ES3_mN6thrust23THRUST_200600_302600_NS6detail15normal_iteratorINSA_10device_ptrIyEEEEPS6_SG_NS0_5tupleIJSF_S6_EEENSH_IJSG_SG_EEES6_PlJNSB_9not_fun_tINSB_10functional5actorINSM_9compositeIJNSM_27transparent_binary_operatorINSA_8equal_toIvEEEENSN_INSM_8argumentILj0EEEEENSM_5valueIyEEEEEEEEEEEE10hipError_tPvRmT3_T4_T5_T6_T7_T9_mT8_P12ihipStream_tbDpT10_ENKUlT_T0_E_clISt17integral_constantIbLb0EES1K_EEDaS1F_S1G_EUlS1F_E_NS1_11comp_targetILNS1_3genE9ELNS1_11target_archE1100ELNS1_3gpuE3ELNS1_3repE0EEENS1_30default_config_static_selectorELNS0_4arch9wavefront6targetE0EEEvT1_,@function
_ZN7rocprim17ROCPRIM_400000_NS6detail17trampoline_kernelINS0_14default_configENS1_25partition_config_selectorILNS1_17partition_subalgoE6EyNS0_10empty_typeEbEEZZNS1_14partition_implILS5_6ELb0ES3_mN6thrust23THRUST_200600_302600_NS6detail15normal_iteratorINSA_10device_ptrIyEEEEPS6_SG_NS0_5tupleIJSF_S6_EEENSH_IJSG_SG_EEES6_PlJNSB_9not_fun_tINSB_10functional5actorINSM_9compositeIJNSM_27transparent_binary_operatorINSA_8equal_toIvEEEENSN_INSM_8argumentILj0EEEEENSM_5valueIyEEEEEEEEEEEE10hipError_tPvRmT3_T4_T5_T6_T7_T9_mT8_P12ihipStream_tbDpT10_ENKUlT_T0_E_clISt17integral_constantIbLb0EES1K_EEDaS1F_S1G_EUlS1F_E_NS1_11comp_targetILNS1_3genE9ELNS1_11target_archE1100ELNS1_3gpuE3ELNS1_3repE0EEENS1_30default_config_static_selectorELNS0_4arch9wavefront6targetE0EEEvT1_: ; @_ZN7rocprim17ROCPRIM_400000_NS6detail17trampoline_kernelINS0_14default_configENS1_25partition_config_selectorILNS1_17partition_subalgoE6EyNS0_10empty_typeEbEEZZNS1_14partition_implILS5_6ELb0ES3_mN6thrust23THRUST_200600_302600_NS6detail15normal_iteratorINSA_10device_ptrIyEEEEPS6_SG_NS0_5tupleIJSF_S6_EEENSH_IJSG_SG_EEES6_PlJNSB_9not_fun_tINSB_10functional5actorINSM_9compositeIJNSM_27transparent_binary_operatorINSA_8equal_toIvEEEENSN_INSM_8argumentILj0EEEEENSM_5valueIyEEEEEEEEEEEE10hipError_tPvRmT3_T4_T5_T6_T7_T9_mT8_P12ihipStream_tbDpT10_ENKUlT_T0_E_clISt17integral_constantIbLb0EES1K_EEDaS1F_S1G_EUlS1F_E_NS1_11comp_targetILNS1_3genE9ELNS1_11target_archE1100ELNS1_3gpuE3ELNS1_3repE0EEENS1_30default_config_static_selectorELNS0_4arch9wavefront6targetE0EEEvT1_
; %bb.0:
	.section	.rodata,"a",@progbits
	.p2align	6, 0x0
	.amdhsa_kernel _ZN7rocprim17ROCPRIM_400000_NS6detail17trampoline_kernelINS0_14default_configENS1_25partition_config_selectorILNS1_17partition_subalgoE6EyNS0_10empty_typeEbEEZZNS1_14partition_implILS5_6ELb0ES3_mN6thrust23THRUST_200600_302600_NS6detail15normal_iteratorINSA_10device_ptrIyEEEEPS6_SG_NS0_5tupleIJSF_S6_EEENSH_IJSG_SG_EEES6_PlJNSB_9not_fun_tINSB_10functional5actorINSM_9compositeIJNSM_27transparent_binary_operatorINSA_8equal_toIvEEEENSN_INSM_8argumentILj0EEEEENSM_5valueIyEEEEEEEEEEEE10hipError_tPvRmT3_T4_T5_T6_T7_T9_mT8_P12ihipStream_tbDpT10_ENKUlT_T0_E_clISt17integral_constantIbLb0EES1K_EEDaS1F_S1G_EUlS1F_E_NS1_11comp_targetILNS1_3genE9ELNS1_11target_archE1100ELNS1_3gpuE3ELNS1_3repE0EEENS1_30default_config_static_selectorELNS0_4arch9wavefront6targetE0EEEvT1_
		.amdhsa_group_segment_fixed_size 0
		.amdhsa_private_segment_fixed_size 0
		.amdhsa_kernarg_size 128
		.amdhsa_user_sgpr_count 2
		.amdhsa_user_sgpr_dispatch_ptr 0
		.amdhsa_user_sgpr_queue_ptr 0
		.amdhsa_user_sgpr_kernarg_segment_ptr 1
		.amdhsa_user_sgpr_dispatch_id 0
		.amdhsa_user_sgpr_private_segment_size 0
		.amdhsa_wavefront_size32 1
		.amdhsa_uses_dynamic_stack 0
		.amdhsa_enable_private_segment 0
		.amdhsa_system_sgpr_workgroup_id_x 1
		.amdhsa_system_sgpr_workgroup_id_y 0
		.amdhsa_system_sgpr_workgroup_id_z 0
		.amdhsa_system_sgpr_workgroup_info 0
		.amdhsa_system_vgpr_workitem_id 0
		.amdhsa_next_free_vgpr 1
		.amdhsa_next_free_sgpr 1
		.amdhsa_reserve_vcc 0
		.amdhsa_float_round_mode_32 0
		.amdhsa_float_round_mode_16_64 0
		.amdhsa_float_denorm_mode_32 3
		.amdhsa_float_denorm_mode_16_64 3
		.amdhsa_fp16_overflow 0
		.amdhsa_workgroup_processor_mode 1
		.amdhsa_memory_ordered 1
		.amdhsa_forward_progress 1
		.amdhsa_inst_pref_size 0
		.amdhsa_round_robin_scheduling 0
		.amdhsa_exception_fp_ieee_invalid_op 0
		.amdhsa_exception_fp_denorm_src 0
		.amdhsa_exception_fp_ieee_div_zero 0
		.amdhsa_exception_fp_ieee_overflow 0
		.amdhsa_exception_fp_ieee_underflow 0
		.amdhsa_exception_fp_ieee_inexact 0
		.amdhsa_exception_int_div_zero 0
	.end_amdhsa_kernel
	.section	.text._ZN7rocprim17ROCPRIM_400000_NS6detail17trampoline_kernelINS0_14default_configENS1_25partition_config_selectorILNS1_17partition_subalgoE6EyNS0_10empty_typeEbEEZZNS1_14partition_implILS5_6ELb0ES3_mN6thrust23THRUST_200600_302600_NS6detail15normal_iteratorINSA_10device_ptrIyEEEEPS6_SG_NS0_5tupleIJSF_S6_EEENSH_IJSG_SG_EEES6_PlJNSB_9not_fun_tINSB_10functional5actorINSM_9compositeIJNSM_27transparent_binary_operatorINSA_8equal_toIvEEEENSN_INSM_8argumentILj0EEEEENSM_5valueIyEEEEEEEEEEEE10hipError_tPvRmT3_T4_T5_T6_T7_T9_mT8_P12ihipStream_tbDpT10_ENKUlT_T0_E_clISt17integral_constantIbLb0EES1K_EEDaS1F_S1G_EUlS1F_E_NS1_11comp_targetILNS1_3genE9ELNS1_11target_archE1100ELNS1_3gpuE3ELNS1_3repE0EEENS1_30default_config_static_selectorELNS0_4arch9wavefront6targetE0EEEvT1_,"axG",@progbits,_ZN7rocprim17ROCPRIM_400000_NS6detail17trampoline_kernelINS0_14default_configENS1_25partition_config_selectorILNS1_17partition_subalgoE6EyNS0_10empty_typeEbEEZZNS1_14partition_implILS5_6ELb0ES3_mN6thrust23THRUST_200600_302600_NS6detail15normal_iteratorINSA_10device_ptrIyEEEEPS6_SG_NS0_5tupleIJSF_S6_EEENSH_IJSG_SG_EEES6_PlJNSB_9not_fun_tINSB_10functional5actorINSM_9compositeIJNSM_27transparent_binary_operatorINSA_8equal_toIvEEEENSN_INSM_8argumentILj0EEEEENSM_5valueIyEEEEEEEEEEEE10hipError_tPvRmT3_T4_T5_T6_T7_T9_mT8_P12ihipStream_tbDpT10_ENKUlT_T0_E_clISt17integral_constantIbLb0EES1K_EEDaS1F_S1G_EUlS1F_E_NS1_11comp_targetILNS1_3genE9ELNS1_11target_archE1100ELNS1_3gpuE3ELNS1_3repE0EEENS1_30default_config_static_selectorELNS0_4arch9wavefront6targetE0EEEvT1_,comdat
.Lfunc_end86:
	.size	_ZN7rocprim17ROCPRIM_400000_NS6detail17trampoline_kernelINS0_14default_configENS1_25partition_config_selectorILNS1_17partition_subalgoE6EyNS0_10empty_typeEbEEZZNS1_14partition_implILS5_6ELb0ES3_mN6thrust23THRUST_200600_302600_NS6detail15normal_iteratorINSA_10device_ptrIyEEEEPS6_SG_NS0_5tupleIJSF_S6_EEENSH_IJSG_SG_EEES6_PlJNSB_9not_fun_tINSB_10functional5actorINSM_9compositeIJNSM_27transparent_binary_operatorINSA_8equal_toIvEEEENSN_INSM_8argumentILj0EEEEENSM_5valueIyEEEEEEEEEEEE10hipError_tPvRmT3_T4_T5_T6_T7_T9_mT8_P12ihipStream_tbDpT10_ENKUlT_T0_E_clISt17integral_constantIbLb0EES1K_EEDaS1F_S1G_EUlS1F_E_NS1_11comp_targetILNS1_3genE9ELNS1_11target_archE1100ELNS1_3gpuE3ELNS1_3repE0EEENS1_30default_config_static_selectorELNS0_4arch9wavefront6targetE0EEEvT1_, .Lfunc_end86-_ZN7rocprim17ROCPRIM_400000_NS6detail17trampoline_kernelINS0_14default_configENS1_25partition_config_selectorILNS1_17partition_subalgoE6EyNS0_10empty_typeEbEEZZNS1_14partition_implILS5_6ELb0ES3_mN6thrust23THRUST_200600_302600_NS6detail15normal_iteratorINSA_10device_ptrIyEEEEPS6_SG_NS0_5tupleIJSF_S6_EEENSH_IJSG_SG_EEES6_PlJNSB_9not_fun_tINSB_10functional5actorINSM_9compositeIJNSM_27transparent_binary_operatorINSA_8equal_toIvEEEENSN_INSM_8argumentILj0EEEEENSM_5valueIyEEEEEEEEEEEE10hipError_tPvRmT3_T4_T5_T6_T7_T9_mT8_P12ihipStream_tbDpT10_ENKUlT_T0_E_clISt17integral_constantIbLb0EES1K_EEDaS1F_S1G_EUlS1F_E_NS1_11comp_targetILNS1_3genE9ELNS1_11target_archE1100ELNS1_3gpuE3ELNS1_3repE0EEENS1_30default_config_static_selectorELNS0_4arch9wavefront6targetE0EEEvT1_
                                        ; -- End function
	.set _ZN7rocprim17ROCPRIM_400000_NS6detail17trampoline_kernelINS0_14default_configENS1_25partition_config_selectorILNS1_17partition_subalgoE6EyNS0_10empty_typeEbEEZZNS1_14partition_implILS5_6ELb0ES3_mN6thrust23THRUST_200600_302600_NS6detail15normal_iteratorINSA_10device_ptrIyEEEEPS6_SG_NS0_5tupleIJSF_S6_EEENSH_IJSG_SG_EEES6_PlJNSB_9not_fun_tINSB_10functional5actorINSM_9compositeIJNSM_27transparent_binary_operatorINSA_8equal_toIvEEEENSN_INSM_8argumentILj0EEEEENSM_5valueIyEEEEEEEEEEEE10hipError_tPvRmT3_T4_T5_T6_T7_T9_mT8_P12ihipStream_tbDpT10_ENKUlT_T0_E_clISt17integral_constantIbLb0EES1K_EEDaS1F_S1G_EUlS1F_E_NS1_11comp_targetILNS1_3genE9ELNS1_11target_archE1100ELNS1_3gpuE3ELNS1_3repE0EEENS1_30default_config_static_selectorELNS0_4arch9wavefront6targetE0EEEvT1_.num_vgpr, 0
	.set _ZN7rocprim17ROCPRIM_400000_NS6detail17trampoline_kernelINS0_14default_configENS1_25partition_config_selectorILNS1_17partition_subalgoE6EyNS0_10empty_typeEbEEZZNS1_14partition_implILS5_6ELb0ES3_mN6thrust23THRUST_200600_302600_NS6detail15normal_iteratorINSA_10device_ptrIyEEEEPS6_SG_NS0_5tupleIJSF_S6_EEENSH_IJSG_SG_EEES6_PlJNSB_9not_fun_tINSB_10functional5actorINSM_9compositeIJNSM_27transparent_binary_operatorINSA_8equal_toIvEEEENSN_INSM_8argumentILj0EEEEENSM_5valueIyEEEEEEEEEEEE10hipError_tPvRmT3_T4_T5_T6_T7_T9_mT8_P12ihipStream_tbDpT10_ENKUlT_T0_E_clISt17integral_constantIbLb0EES1K_EEDaS1F_S1G_EUlS1F_E_NS1_11comp_targetILNS1_3genE9ELNS1_11target_archE1100ELNS1_3gpuE3ELNS1_3repE0EEENS1_30default_config_static_selectorELNS0_4arch9wavefront6targetE0EEEvT1_.num_agpr, 0
	.set _ZN7rocprim17ROCPRIM_400000_NS6detail17trampoline_kernelINS0_14default_configENS1_25partition_config_selectorILNS1_17partition_subalgoE6EyNS0_10empty_typeEbEEZZNS1_14partition_implILS5_6ELb0ES3_mN6thrust23THRUST_200600_302600_NS6detail15normal_iteratorINSA_10device_ptrIyEEEEPS6_SG_NS0_5tupleIJSF_S6_EEENSH_IJSG_SG_EEES6_PlJNSB_9not_fun_tINSB_10functional5actorINSM_9compositeIJNSM_27transparent_binary_operatorINSA_8equal_toIvEEEENSN_INSM_8argumentILj0EEEEENSM_5valueIyEEEEEEEEEEEE10hipError_tPvRmT3_T4_T5_T6_T7_T9_mT8_P12ihipStream_tbDpT10_ENKUlT_T0_E_clISt17integral_constantIbLb0EES1K_EEDaS1F_S1G_EUlS1F_E_NS1_11comp_targetILNS1_3genE9ELNS1_11target_archE1100ELNS1_3gpuE3ELNS1_3repE0EEENS1_30default_config_static_selectorELNS0_4arch9wavefront6targetE0EEEvT1_.numbered_sgpr, 0
	.set _ZN7rocprim17ROCPRIM_400000_NS6detail17trampoline_kernelINS0_14default_configENS1_25partition_config_selectorILNS1_17partition_subalgoE6EyNS0_10empty_typeEbEEZZNS1_14partition_implILS5_6ELb0ES3_mN6thrust23THRUST_200600_302600_NS6detail15normal_iteratorINSA_10device_ptrIyEEEEPS6_SG_NS0_5tupleIJSF_S6_EEENSH_IJSG_SG_EEES6_PlJNSB_9not_fun_tINSB_10functional5actorINSM_9compositeIJNSM_27transparent_binary_operatorINSA_8equal_toIvEEEENSN_INSM_8argumentILj0EEEEENSM_5valueIyEEEEEEEEEEEE10hipError_tPvRmT3_T4_T5_T6_T7_T9_mT8_P12ihipStream_tbDpT10_ENKUlT_T0_E_clISt17integral_constantIbLb0EES1K_EEDaS1F_S1G_EUlS1F_E_NS1_11comp_targetILNS1_3genE9ELNS1_11target_archE1100ELNS1_3gpuE3ELNS1_3repE0EEENS1_30default_config_static_selectorELNS0_4arch9wavefront6targetE0EEEvT1_.num_named_barrier, 0
	.set _ZN7rocprim17ROCPRIM_400000_NS6detail17trampoline_kernelINS0_14default_configENS1_25partition_config_selectorILNS1_17partition_subalgoE6EyNS0_10empty_typeEbEEZZNS1_14partition_implILS5_6ELb0ES3_mN6thrust23THRUST_200600_302600_NS6detail15normal_iteratorINSA_10device_ptrIyEEEEPS6_SG_NS0_5tupleIJSF_S6_EEENSH_IJSG_SG_EEES6_PlJNSB_9not_fun_tINSB_10functional5actorINSM_9compositeIJNSM_27transparent_binary_operatorINSA_8equal_toIvEEEENSN_INSM_8argumentILj0EEEEENSM_5valueIyEEEEEEEEEEEE10hipError_tPvRmT3_T4_T5_T6_T7_T9_mT8_P12ihipStream_tbDpT10_ENKUlT_T0_E_clISt17integral_constantIbLb0EES1K_EEDaS1F_S1G_EUlS1F_E_NS1_11comp_targetILNS1_3genE9ELNS1_11target_archE1100ELNS1_3gpuE3ELNS1_3repE0EEENS1_30default_config_static_selectorELNS0_4arch9wavefront6targetE0EEEvT1_.private_seg_size, 0
	.set _ZN7rocprim17ROCPRIM_400000_NS6detail17trampoline_kernelINS0_14default_configENS1_25partition_config_selectorILNS1_17partition_subalgoE6EyNS0_10empty_typeEbEEZZNS1_14partition_implILS5_6ELb0ES3_mN6thrust23THRUST_200600_302600_NS6detail15normal_iteratorINSA_10device_ptrIyEEEEPS6_SG_NS0_5tupleIJSF_S6_EEENSH_IJSG_SG_EEES6_PlJNSB_9not_fun_tINSB_10functional5actorINSM_9compositeIJNSM_27transparent_binary_operatorINSA_8equal_toIvEEEENSN_INSM_8argumentILj0EEEEENSM_5valueIyEEEEEEEEEEEE10hipError_tPvRmT3_T4_T5_T6_T7_T9_mT8_P12ihipStream_tbDpT10_ENKUlT_T0_E_clISt17integral_constantIbLb0EES1K_EEDaS1F_S1G_EUlS1F_E_NS1_11comp_targetILNS1_3genE9ELNS1_11target_archE1100ELNS1_3gpuE3ELNS1_3repE0EEENS1_30default_config_static_selectorELNS0_4arch9wavefront6targetE0EEEvT1_.uses_vcc, 0
	.set _ZN7rocprim17ROCPRIM_400000_NS6detail17trampoline_kernelINS0_14default_configENS1_25partition_config_selectorILNS1_17partition_subalgoE6EyNS0_10empty_typeEbEEZZNS1_14partition_implILS5_6ELb0ES3_mN6thrust23THRUST_200600_302600_NS6detail15normal_iteratorINSA_10device_ptrIyEEEEPS6_SG_NS0_5tupleIJSF_S6_EEENSH_IJSG_SG_EEES6_PlJNSB_9not_fun_tINSB_10functional5actorINSM_9compositeIJNSM_27transparent_binary_operatorINSA_8equal_toIvEEEENSN_INSM_8argumentILj0EEEEENSM_5valueIyEEEEEEEEEEEE10hipError_tPvRmT3_T4_T5_T6_T7_T9_mT8_P12ihipStream_tbDpT10_ENKUlT_T0_E_clISt17integral_constantIbLb0EES1K_EEDaS1F_S1G_EUlS1F_E_NS1_11comp_targetILNS1_3genE9ELNS1_11target_archE1100ELNS1_3gpuE3ELNS1_3repE0EEENS1_30default_config_static_selectorELNS0_4arch9wavefront6targetE0EEEvT1_.uses_flat_scratch, 0
	.set _ZN7rocprim17ROCPRIM_400000_NS6detail17trampoline_kernelINS0_14default_configENS1_25partition_config_selectorILNS1_17partition_subalgoE6EyNS0_10empty_typeEbEEZZNS1_14partition_implILS5_6ELb0ES3_mN6thrust23THRUST_200600_302600_NS6detail15normal_iteratorINSA_10device_ptrIyEEEEPS6_SG_NS0_5tupleIJSF_S6_EEENSH_IJSG_SG_EEES6_PlJNSB_9not_fun_tINSB_10functional5actorINSM_9compositeIJNSM_27transparent_binary_operatorINSA_8equal_toIvEEEENSN_INSM_8argumentILj0EEEEENSM_5valueIyEEEEEEEEEEEE10hipError_tPvRmT3_T4_T5_T6_T7_T9_mT8_P12ihipStream_tbDpT10_ENKUlT_T0_E_clISt17integral_constantIbLb0EES1K_EEDaS1F_S1G_EUlS1F_E_NS1_11comp_targetILNS1_3genE9ELNS1_11target_archE1100ELNS1_3gpuE3ELNS1_3repE0EEENS1_30default_config_static_selectorELNS0_4arch9wavefront6targetE0EEEvT1_.has_dyn_sized_stack, 0
	.set _ZN7rocprim17ROCPRIM_400000_NS6detail17trampoline_kernelINS0_14default_configENS1_25partition_config_selectorILNS1_17partition_subalgoE6EyNS0_10empty_typeEbEEZZNS1_14partition_implILS5_6ELb0ES3_mN6thrust23THRUST_200600_302600_NS6detail15normal_iteratorINSA_10device_ptrIyEEEEPS6_SG_NS0_5tupleIJSF_S6_EEENSH_IJSG_SG_EEES6_PlJNSB_9not_fun_tINSB_10functional5actorINSM_9compositeIJNSM_27transparent_binary_operatorINSA_8equal_toIvEEEENSN_INSM_8argumentILj0EEEEENSM_5valueIyEEEEEEEEEEEE10hipError_tPvRmT3_T4_T5_T6_T7_T9_mT8_P12ihipStream_tbDpT10_ENKUlT_T0_E_clISt17integral_constantIbLb0EES1K_EEDaS1F_S1G_EUlS1F_E_NS1_11comp_targetILNS1_3genE9ELNS1_11target_archE1100ELNS1_3gpuE3ELNS1_3repE0EEENS1_30default_config_static_selectorELNS0_4arch9wavefront6targetE0EEEvT1_.has_recursion, 0
	.set _ZN7rocprim17ROCPRIM_400000_NS6detail17trampoline_kernelINS0_14default_configENS1_25partition_config_selectorILNS1_17partition_subalgoE6EyNS0_10empty_typeEbEEZZNS1_14partition_implILS5_6ELb0ES3_mN6thrust23THRUST_200600_302600_NS6detail15normal_iteratorINSA_10device_ptrIyEEEEPS6_SG_NS0_5tupleIJSF_S6_EEENSH_IJSG_SG_EEES6_PlJNSB_9not_fun_tINSB_10functional5actorINSM_9compositeIJNSM_27transparent_binary_operatorINSA_8equal_toIvEEEENSN_INSM_8argumentILj0EEEEENSM_5valueIyEEEEEEEEEEEE10hipError_tPvRmT3_T4_T5_T6_T7_T9_mT8_P12ihipStream_tbDpT10_ENKUlT_T0_E_clISt17integral_constantIbLb0EES1K_EEDaS1F_S1G_EUlS1F_E_NS1_11comp_targetILNS1_3genE9ELNS1_11target_archE1100ELNS1_3gpuE3ELNS1_3repE0EEENS1_30default_config_static_selectorELNS0_4arch9wavefront6targetE0EEEvT1_.has_indirect_call, 0
	.section	.AMDGPU.csdata,"",@progbits
; Kernel info:
; codeLenInByte = 0
; TotalNumSgprs: 0
; NumVgprs: 0
; ScratchSize: 0
; MemoryBound: 0
; FloatMode: 240
; IeeeMode: 1
; LDSByteSize: 0 bytes/workgroup (compile time only)
; SGPRBlocks: 0
; VGPRBlocks: 0
; NumSGPRsForWavesPerEU: 1
; NumVGPRsForWavesPerEU: 1
; Occupancy: 16
; WaveLimiterHint : 0
; COMPUTE_PGM_RSRC2:SCRATCH_EN: 0
; COMPUTE_PGM_RSRC2:USER_SGPR: 2
; COMPUTE_PGM_RSRC2:TRAP_HANDLER: 0
; COMPUTE_PGM_RSRC2:TGID_X_EN: 1
; COMPUTE_PGM_RSRC2:TGID_Y_EN: 0
; COMPUTE_PGM_RSRC2:TGID_Z_EN: 0
; COMPUTE_PGM_RSRC2:TIDIG_COMP_CNT: 0
	.section	.text._ZN7rocprim17ROCPRIM_400000_NS6detail17trampoline_kernelINS0_14default_configENS1_25partition_config_selectorILNS1_17partition_subalgoE6EyNS0_10empty_typeEbEEZZNS1_14partition_implILS5_6ELb0ES3_mN6thrust23THRUST_200600_302600_NS6detail15normal_iteratorINSA_10device_ptrIyEEEEPS6_SG_NS0_5tupleIJSF_S6_EEENSH_IJSG_SG_EEES6_PlJNSB_9not_fun_tINSB_10functional5actorINSM_9compositeIJNSM_27transparent_binary_operatorINSA_8equal_toIvEEEENSN_INSM_8argumentILj0EEEEENSM_5valueIyEEEEEEEEEEEE10hipError_tPvRmT3_T4_T5_T6_T7_T9_mT8_P12ihipStream_tbDpT10_ENKUlT_T0_E_clISt17integral_constantIbLb0EES1K_EEDaS1F_S1G_EUlS1F_E_NS1_11comp_targetILNS1_3genE8ELNS1_11target_archE1030ELNS1_3gpuE2ELNS1_3repE0EEENS1_30default_config_static_selectorELNS0_4arch9wavefront6targetE0EEEvT1_,"axG",@progbits,_ZN7rocprim17ROCPRIM_400000_NS6detail17trampoline_kernelINS0_14default_configENS1_25partition_config_selectorILNS1_17partition_subalgoE6EyNS0_10empty_typeEbEEZZNS1_14partition_implILS5_6ELb0ES3_mN6thrust23THRUST_200600_302600_NS6detail15normal_iteratorINSA_10device_ptrIyEEEEPS6_SG_NS0_5tupleIJSF_S6_EEENSH_IJSG_SG_EEES6_PlJNSB_9not_fun_tINSB_10functional5actorINSM_9compositeIJNSM_27transparent_binary_operatorINSA_8equal_toIvEEEENSN_INSM_8argumentILj0EEEEENSM_5valueIyEEEEEEEEEEEE10hipError_tPvRmT3_T4_T5_T6_T7_T9_mT8_P12ihipStream_tbDpT10_ENKUlT_T0_E_clISt17integral_constantIbLb0EES1K_EEDaS1F_S1G_EUlS1F_E_NS1_11comp_targetILNS1_3genE8ELNS1_11target_archE1030ELNS1_3gpuE2ELNS1_3repE0EEENS1_30default_config_static_selectorELNS0_4arch9wavefront6targetE0EEEvT1_,comdat
	.protected	_ZN7rocprim17ROCPRIM_400000_NS6detail17trampoline_kernelINS0_14default_configENS1_25partition_config_selectorILNS1_17partition_subalgoE6EyNS0_10empty_typeEbEEZZNS1_14partition_implILS5_6ELb0ES3_mN6thrust23THRUST_200600_302600_NS6detail15normal_iteratorINSA_10device_ptrIyEEEEPS6_SG_NS0_5tupleIJSF_S6_EEENSH_IJSG_SG_EEES6_PlJNSB_9not_fun_tINSB_10functional5actorINSM_9compositeIJNSM_27transparent_binary_operatorINSA_8equal_toIvEEEENSN_INSM_8argumentILj0EEEEENSM_5valueIyEEEEEEEEEEEE10hipError_tPvRmT3_T4_T5_T6_T7_T9_mT8_P12ihipStream_tbDpT10_ENKUlT_T0_E_clISt17integral_constantIbLb0EES1K_EEDaS1F_S1G_EUlS1F_E_NS1_11comp_targetILNS1_3genE8ELNS1_11target_archE1030ELNS1_3gpuE2ELNS1_3repE0EEENS1_30default_config_static_selectorELNS0_4arch9wavefront6targetE0EEEvT1_ ; -- Begin function _ZN7rocprim17ROCPRIM_400000_NS6detail17trampoline_kernelINS0_14default_configENS1_25partition_config_selectorILNS1_17partition_subalgoE6EyNS0_10empty_typeEbEEZZNS1_14partition_implILS5_6ELb0ES3_mN6thrust23THRUST_200600_302600_NS6detail15normal_iteratorINSA_10device_ptrIyEEEEPS6_SG_NS0_5tupleIJSF_S6_EEENSH_IJSG_SG_EEES6_PlJNSB_9not_fun_tINSB_10functional5actorINSM_9compositeIJNSM_27transparent_binary_operatorINSA_8equal_toIvEEEENSN_INSM_8argumentILj0EEEEENSM_5valueIyEEEEEEEEEEEE10hipError_tPvRmT3_T4_T5_T6_T7_T9_mT8_P12ihipStream_tbDpT10_ENKUlT_T0_E_clISt17integral_constantIbLb0EES1K_EEDaS1F_S1G_EUlS1F_E_NS1_11comp_targetILNS1_3genE8ELNS1_11target_archE1030ELNS1_3gpuE2ELNS1_3repE0EEENS1_30default_config_static_selectorELNS0_4arch9wavefront6targetE0EEEvT1_
	.globl	_ZN7rocprim17ROCPRIM_400000_NS6detail17trampoline_kernelINS0_14default_configENS1_25partition_config_selectorILNS1_17partition_subalgoE6EyNS0_10empty_typeEbEEZZNS1_14partition_implILS5_6ELb0ES3_mN6thrust23THRUST_200600_302600_NS6detail15normal_iteratorINSA_10device_ptrIyEEEEPS6_SG_NS0_5tupleIJSF_S6_EEENSH_IJSG_SG_EEES6_PlJNSB_9not_fun_tINSB_10functional5actorINSM_9compositeIJNSM_27transparent_binary_operatorINSA_8equal_toIvEEEENSN_INSM_8argumentILj0EEEEENSM_5valueIyEEEEEEEEEEEE10hipError_tPvRmT3_T4_T5_T6_T7_T9_mT8_P12ihipStream_tbDpT10_ENKUlT_T0_E_clISt17integral_constantIbLb0EES1K_EEDaS1F_S1G_EUlS1F_E_NS1_11comp_targetILNS1_3genE8ELNS1_11target_archE1030ELNS1_3gpuE2ELNS1_3repE0EEENS1_30default_config_static_selectorELNS0_4arch9wavefront6targetE0EEEvT1_
	.p2align	8
	.type	_ZN7rocprim17ROCPRIM_400000_NS6detail17trampoline_kernelINS0_14default_configENS1_25partition_config_selectorILNS1_17partition_subalgoE6EyNS0_10empty_typeEbEEZZNS1_14partition_implILS5_6ELb0ES3_mN6thrust23THRUST_200600_302600_NS6detail15normal_iteratorINSA_10device_ptrIyEEEEPS6_SG_NS0_5tupleIJSF_S6_EEENSH_IJSG_SG_EEES6_PlJNSB_9not_fun_tINSB_10functional5actorINSM_9compositeIJNSM_27transparent_binary_operatorINSA_8equal_toIvEEEENSN_INSM_8argumentILj0EEEEENSM_5valueIyEEEEEEEEEEEE10hipError_tPvRmT3_T4_T5_T6_T7_T9_mT8_P12ihipStream_tbDpT10_ENKUlT_T0_E_clISt17integral_constantIbLb0EES1K_EEDaS1F_S1G_EUlS1F_E_NS1_11comp_targetILNS1_3genE8ELNS1_11target_archE1030ELNS1_3gpuE2ELNS1_3repE0EEENS1_30default_config_static_selectorELNS0_4arch9wavefront6targetE0EEEvT1_,@function
_ZN7rocprim17ROCPRIM_400000_NS6detail17trampoline_kernelINS0_14default_configENS1_25partition_config_selectorILNS1_17partition_subalgoE6EyNS0_10empty_typeEbEEZZNS1_14partition_implILS5_6ELb0ES3_mN6thrust23THRUST_200600_302600_NS6detail15normal_iteratorINSA_10device_ptrIyEEEEPS6_SG_NS0_5tupleIJSF_S6_EEENSH_IJSG_SG_EEES6_PlJNSB_9not_fun_tINSB_10functional5actorINSM_9compositeIJNSM_27transparent_binary_operatorINSA_8equal_toIvEEEENSN_INSM_8argumentILj0EEEEENSM_5valueIyEEEEEEEEEEEE10hipError_tPvRmT3_T4_T5_T6_T7_T9_mT8_P12ihipStream_tbDpT10_ENKUlT_T0_E_clISt17integral_constantIbLb0EES1K_EEDaS1F_S1G_EUlS1F_E_NS1_11comp_targetILNS1_3genE8ELNS1_11target_archE1030ELNS1_3gpuE2ELNS1_3repE0EEENS1_30default_config_static_selectorELNS0_4arch9wavefront6targetE0EEEvT1_: ; @_ZN7rocprim17ROCPRIM_400000_NS6detail17trampoline_kernelINS0_14default_configENS1_25partition_config_selectorILNS1_17partition_subalgoE6EyNS0_10empty_typeEbEEZZNS1_14partition_implILS5_6ELb0ES3_mN6thrust23THRUST_200600_302600_NS6detail15normal_iteratorINSA_10device_ptrIyEEEEPS6_SG_NS0_5tupleIJSF_S6_EEENSH_IJSG_SG_EEES6_PlJNSB_9not_fun_tINSB_10functional5actorINSM_9compositeIJNSM_27transparent_binary_operatorINSA_8equal_toIvEEEENSN_INSM_8argumentILj0EEEEENSM_5valueIyEEEEEEEEEEEE10hipError_tPvRmT3_T4_T5_T6_T7_T9_mT8_P12ihipStream_tbDpT10_ENKUlT_T0_E_clISt17integral_constantIbLb0EES1K_EEDaS1F_S1G_EUlS1F_E_NS1_11comp_targetILNS1_3genE8ELNS1_11target_archE1030ELNS1_3gpuE2ELNS1_3repE0EEENS1_30default_config_static_selectorELNS0_4arch9wavefront6targetE0EEEvT1_
; %bb.0:
	.section	.rodata,"a",@progbits
	.p2align	6, 0x0
	.amdhsa_kernel _ZN7rocprim17ROCPRIM_400000_NS6detail17trampoline_kernelINS0_14default_configENS1_25partition_config_selectorILNS1_17partition_subalgoE6EyNS0_10empty_typeEbEEZZNS1_14partition_implILS5_6ELb0ES3_mN6thrust23THRUST_200600_302600_NS6detail15normal_iteratorINSA_10device_ptrIyEEEEPS6_SG_NS0_5tupleIJSF_S6_EEENSH_IJSG_SG_EEES6_PlJNSB_9not_fun_tINSB_10functional5actorINSM_9compositeIJNSM_27transparent_binary_operatorINSA_8equal_toIvEEEENSN_INSM_8argumentILj0EEEEENSM_5valueIyEEEEEEEEEEEE10hipError_tPvRmT3_T4_T5_T6_T7_T9_mT8_P12ihipStream_tbDpT10_ENKUlT_T0_E_clISt17integral_constantIbLb0EES1K_EEDaS1F_S1G_EUlS1F_E_NS1_11comp_targetILNS1_3genE8ELNS1_11target_archE1030ELNS1_3gpuE2ELNS1_3repE0EEENS1_30default_config_static_selectorELNS0_4arch9wavefront6targetE0EEEvT1_
		.amdhsa_group_segment_fixed_size 0
		.amdhsa_private_segment_fixed_size 0
		.amdhsa_kernarg_size 128
		.amdhsa_user_sgpr_count 2
		.amdhsa_user_sgpr_dispatch_ptr 0
		.amdhsa_user_sgpr_queue_ptr 0
		.amdhsa_user_sgpr_kernarg_segment_ptr 1
		.amdhsa_user_sgpr_dispatch_id 0
		.amdhsa_user_sgpr_private_segment_size 0
		.amdhsa_wavefront_size32 1
		.amdhsa_uses_dynamic_stack 0
		.amdhsa_enable_private_segment 0
		.amdhsa_system_sgpr_workgroup_id_x 1
		.amdhsa_system_sgpr_workgroup_id_y 0
		.amdhsa_system_sgpr_workgroup_id_z 0
		.amdhsa_system_sgpr_workgroup_info 0
		.amdhsa_system_vgpr_workitem_id 0
		.amdhsa_next_free_vgpr 1
		.amdhsa_next_free_sgpr 1
		.amdhsa_reserve_vcc 0
		.amdhsa_float_round_mode_32 0
		.amdhsa_float_round_mode_16_64 0
		.amdhsa_float_denorm_mode_32 3
		.amdhsa_float_denorm_mode_16_64 3
		.amdhsa_fp16_overflow 0
		.amdhsa_workgroup_processor_mode 1
		.amdhsa_memory_ordered 1
		.amdhsa_forward_progress 1
		.amdhsa_inst_pref_size 0
		.amdhsa_round_robin_scheduling 0
		.amdhsa_exception_fp_ieee_invalid_op 0
		.amdhsa_exception_fp_denorm_src 0
		.amdhsa_exception_fp_ieee_div_zero 0
		.amdhsa_exception_fp_ieee_overflow 0
		.amdhsa_exception_fp_ieee_underflow 0
		.amdhsa_exception_fp_ieee_inexact 0
		.amdhsa_exception_int_div_zero 0
	.end_amdhsa_kernel
	.section	.text._ZN7rocprim17ROCPRIM_400000_NS6detail17trampoline_kernelINS0_14default_configENS1_25partition_config_selectorILNS1_17partition_subalgoE6EyNS0_10empty_typeEbEEZZNS1_14partition_implILS5_6ELb0ES3_mN6thrust23THRUST_200600_302600_NS6detail15normal_iteratorINSA_10device_ptrIyEEEEPS6_SG_NS0_5tupleIJSF_S6_EEENSH_IJSG_SG_EEES6_PlJNSB_9not_fun_tINSB_10functional5actorINSM_9compositeIJNSM_27transparent_binary_operatorINSA_8equal_toIvEEEENSN_INSM_8argumentILj0EEEEENSM_5valueIyEEEEEEEEEEEE10hipError_tPvRmT3_T4_T5_T6_T7_T9_mT8_P12ihipStream_tbDpT10_ENKUlT_T0_E_clISt17integral_constantIbLb0EES1K_EEDaS1F_S1G_EUlS1F_E_NS1_11comp_targetILNS1_3genE8ELNS1_11target_archE1030ELNS1_3gpuE2ELNS1_3repE0EEENS1_30default_config_static_selectorELNS0_4arch9wavefront6targetE0EEEvT1_,"axG",@progbits,_ZN7rocprim17ROCPRIM_400000_NS6detail17trampoline_kernelINS0_14default_configENS1_25partition_config_selectorILNS1_17partition_subalgoE6EyNS0_10empty_typeEbEEZZNS1_14partition_implILS5_6ELb0ES3_mN6thrust23THRUST_200600_302600_NS6detail15normal_iteratorINSA_10device_ptrIyEEEEPS6_SG_NS0_5tupleIJSF_S6_EEENSH_IJSG_SG_EEES6_PlJNSB_9not_fun_tINSB_10functional5actorINSM_9compositeIJNSM_27transparent_binary_operatorINSA_8equal_toIvEEEENSN_INSM_8argumentILj0EEEEENSM_5valueIyEEEEEEEEEEEE10hipError_tPvRmT3_T4_T5_T6_T7_T9_mT8_P12ihipStream_tbDpT10_ENKUlT_T0_E_clISt17integral_constantIbLb0EES1K_EEDaS1F_S1G_EUlS1F_E_NS1_11comp_targetILNS1_3genE8ELNS1_11target_archE1030ELNS1_3gpuE2ELNS1_3repE0EEENS1_30default_config_static_selectorELNS0_4arch9wavefront6targetE0EEEvT1_,comdat
.Lfunc_end87:
	.size	_ZN7rocprim17ROCPRIM_400000_NS6detail17trampoline_kernelINS0_14default_configENS1_25partition_config_selectorILNS1_17partition_subalgoE6EyNS0_10empty_typeEbEEZZNS1_14partition_implILS5_6ELb0ES3_mN6thrust23THRUST_200600_302600_NS6detail15normal_iteratorINSA_10device_ptrIyEEEEPS6_SG_NS0_5tupleIJSF_S6_EEENSH_IJSG_SG_EEES6_PlJNSB_9not_fun_tINSB_10functional5actorINSM_9compositeIJNSM_27transparent_binary_operatorINSA_8equal_toIvEEEENSN_INSM_8argumentILj0EEEEENSM_5valueIyEEEEEEEEEEEE10hipError_tPvRmT3_T4_T5_T6_T7_T9_mT8_P12ihipStream_tbDpT10_ENKUlT_T0_E_clISt17integral_constantIbLb0EES1K_EEDaS1F_S1G_EUlS1F_E_NS1_11comp_targetILNS1_3genE8ELNS1_11target_archE1030ELNS1_3gpuE2ELNS1_3repE0EEENS1_30default_config_static_selectorELNS0_4arch9wavefront6targetE0EEEvT1_, .Lfunc_end87-_ZN7rocprim17ROCPRIM_400000_NS6detail17trampoline_kernelINS0_14default_configENS1_25partition_config_selectorILNS1_17partition_subalgoE6EyNS0_10empty_typeEbEEZZNS1_14partition_implILS5_6ELb0ES3_mN6thrust23THRUST_200600_302600_NS6detail15normal_iteratorINSA_10device_ptrIyEEEEPS6_SG_NS0_5tupleIJSF_S6_EEENSH_IJSG_SG_EEES6_PlJNSB_9not_fun_tINSB_10functional5actorINSM_9compositeIJNSM_27transparent_binary_operatorINSA_8equal_toIvEEEENSN_INSM_8argumentILj0EEEEENSM_5valueIyEEEEEEEEEEEE10hipError_tPvRmT3_T4_T5_T6_T7_T9_mT8_P12ihipStream_tbDpT10_ENKUlT_T0_E_clISt17integral_constantIbLb0EES1K_EEDaS1F_S1G_EUlS1F_E_NS1_11comp_targetILNS1_3genE8ELNS1_11target_archE1030ELNS1_3gpuE2ELNS1_3repE0EEENS1_30default_config_static_selectorELNS0_4arch9wavefront6targetE0EEEvT1_
                                        ; -- End function
	.set _ZN7rocprim17ROCPRIM_400000_NS6detail17trampoline_kernelINS0_14default_configENS1_25partition_config_selectorILNS1_17partition_subalgoE6EyNS0_10empty_typeEbEEZZNS1_14partition_implILS5_6ELb0ES3_mN6thrust23THRUST_200600_302600_NS6detail15normal_iteratorINSA_10device_ptrIyEEEEPS6_SG_NS0_5tupleIJSF_S6_EEENSH_IJSG_SG_EEES6_PlJNSB_9not_fun_tINSB_10functional5actorINSM_9compositeIJNSM_27transparent_binary_operatorINSA_8equal_toIvEEEENSN_INSM_8argumentILj0EEEEENSM_5valueIyEEEEEEEEEEEE10hipError_tPvRmT3_T4_T5_T6_T7_T9_mT8_P12ihipStream_tbDpT10_ENKUlT_T0_E_clISt17integral_constantIbLb0EES1K_EEDaS1F_S1G_EUlS1F_E_NS1_11comp_targetILNS1_3genE8ELNS1_11target_archE1030ELNS1_3gpuE2ELNS1_3repE0EEENS1_30default_config_static_selectorELNS0_4arch9wavefront6targetE0EEEvT1_.num_vgpr, 0
	.set _ZN7rocprim17ROCPRIM_400000_NS6detail17trampoline_kernelINS0_14default_configENS1_25partition_config_selectorILNS1_17partition_subalgoE6EyNS0_10empty_typeEbEEZZNS1_14partition_implILS5_6ELb0ES3_mN6thrust23THRUST_200600_302600_NS6detail15normal_iteratorINSA_10device_ptrIyEEEEPS6_SG_NS0_5tupleIJSF_S6_EEENSH_IJSG_SG_EEES6_PlJNSB_9not_fun_tINSB_10functional5actorINSM_9compositeIJNSM_27transparent_binary_operatorINSA_8equal_toIvEEEENSN_INSM_8argumentILj0EEEEENSM_5valueIyEEEEEEEEEEEE10hipError_tPvRmT3_T4_T5_T6_T7_T9_mT8_P12ihipStream_tbDpT10_ENKUlT_T0_E_clISt17integral_constantIbLb0EES1K_EEDaS1F_S1G_EUlS1F_E_NS1_11comp_targetILNS1_3genE8ELNS1_11target_archE1030ELNS1_3gpuE2ELNS1_3repE0EEENS1_30default_config_static_selectorELNS0_4arch9wavefront6targetE0EEEvT1_.num_agpr, 0
	.set _ZN7rocprim17ROCPRIM_400000_NS6detail17trampoline_kernelINS0_14default_configENS1_25partition_config_selectorILNS1_17partition_subalgoE6EyNS0_10empty_typeEbEEZZNS1_14partition_implILS5_6ELb0ES3_mN6thrust23THRUST_200600_302600_NS6detail15normal_iteratorINSA_10device_ptrIyEEEEPS6_SG_NS0_5tupleIJSF_S6_EEENSH_IJSG_SG_EEES6_PlJNSB_9not_fun_tINSB_10functional5actorINSM_9compositeIJNSM_27transparent_binary_operatorINSA_8equal_toIvEEEENSN_INSM_8argumentILj0EEEEENSM_5valueIyEEEEEEEEEEEE10hipError_tPvRmT3_T4_T5_T6_T7_T9_mT8_P12ihipStream_tbDpT10_ENKUlT_T0_E_clISt17integral_constantIbLb0EES1K_EEDaS1F_S1G_EUlS1F_E_NS1_11comp_targetILNS1_3genE8ELNS1_11target_archE1030ELNS1_3gpuE2ELNS1_3repE0EEENS1_30default_config_static_selectorELNS0_4arch9wavefront6targetE0EEEvT1_.numbered_sgpr, 0
	.set _ZN7rocprim17ROCPRIM_400000_NS6detail17trampoline_kernelINS0_14default_configENS1_25partition_config_selectorILNS1_17partition_subalgoE6EyNS0_10empty_typeEbEEZZNS1_14partition_implILS5_6ELb0ES3_mN6thrust23THRUST_200600_302600_NS6detail15normal_iteratorINSA_10device_ptrIyEEEEPS6_SG_NS0_5tupleIJSF_S6_EEENSH_IJSG_SG_EEES6_PlJNSB_9not_fun_tINSB_10functional5actorINSM_9compositeIJNSM_27transparent_binary_operatorINSA_8equal_toIvEEEENSN_INSM_8argumentILj0EEEEENSM_5valueIyEEEEEEEEEEEE10hipError_tPvRmT3_T4_T5_T6_T7_T9_mT8_P12ihipStream_tbDpT10_ENKUlT_T0_E_clISt17integral_constantIbLb0EES1K_EEDaS1F_S1G_EUlS1F_E_NS1_11comp_targetILNS1_3genE8ELNS1_11target_archE1030ELNS1_3gpuE2ELNS1_3repE0EEENS1_30default_config_static_selectorELNS0_4arch9wavefront6targetE0EEEvT1_.num_named_barrier, 0
	.set _ZN7rocprim17ROCPRIM_400000_NS6detail17trampoline_kernelINS0_14default_configENS1_25partition_config_selectorILNS1_17partition_subalgoE6EyNS0_10empty_typeEbEEZZNS1_14partition_implILS5_6ELb0ES3_mN6thrust23THRUST_200600_302600_NS6detail15normal_iteratorINSA_10device_ptrIyEEEEPS6_SG_NS0_5tupleIJSF_S6_EEENSH_IJSG_SG_EEES6_PlJNSB_9not_fun_tINSB_10functional5actorINSM_9compositeIJNSM_27transparent_binary_operatorINSA_8equal_toIvEEEENSN_INSM_8argumentILj0EEEEENSM_5valueIyEEEEEEEEEEEE10hipError_tPvRmT3_T4_T5_T6_T7_T9_mT8_P12ihipStream_tbDpT10_ENKUlT_T0_E_clISt17integral_constantIbLb0EES1K_EEDaS1F_S1G_EUlS1F_E_NS1_11comp_targetILNS1_3genE8ELNS1_11target_archE1030ELNS1_3gpuE2ELNS1_3repE0EEENS1_30default_config_static_selectorELNS0_4arch9wavefront6targetE0EEEvT1_.private_seg_size, 0
	.set _ZN7rocprim17ROCPRIM_400000_NS6detail17trampoline_kernelINS0_14default_configENS1_25partition_config_selectorILNS1_17partition_subalgoE6EyNS0_10empty_typeEbEEZZNS1_14partition_implILS5_6ELb0ES3_mN6thrust23THRUST_200600_302600_NS6detail15normal_iteratorINSA_10device_ptrIyEEEEPS6_SG_NS0_5tupleIJSF_S6_EEENSH_IJSG_SG_EEES6_PlJNSB_9not_fun_tINSB_10functional5actorINSM_9compositeIJNSM_27transparent_binary_operatorINSA_8equal_toIvEEEENSN_INSM_8argumentILj0EEEEENSM_5valueIyEEEEEEEEEEEE10hipError_tPvRmT3_T4_T5_T6_T7_T9_mT8_P12ihipStream_tbDpT10_ENKUlT_T0_E_clISt17integral_constantIbLb0EES1K_EEDaS1F_S1G_EUlS1F_E_NS1_11comp_targetILNS1_3genE8ELNS1_11target_archE1030ELNS1_3gpuE2ELNS1_3repE0EEENS1_30default_config_static_selectorELNS0_4arch9wavefront6targetE0EEEvT1_.uses_vcc, 0
	.set _ZN7rocprim17ROCPRIM_400000_NS6detail17trampoline_kernelINS0_14default_configENS1_25partition_config_selectorILNS1_17partition_subalgoE6EyNS0_10empty_typeEbEEZZNS1_14partition_implILS5_6ELb0ES3_mN6thrust23THRUST_200600_302600_NS6detail15normal_iteratorINSA_10device_ptrIyEEEEPS6_SG_NS0_5tupleIJSF_S6_EEENSH_IJSG_SG_EEES6_PlJNSB_9not_fun_tINSB_10functional5actorINSM_9compositeIJNSM_27transparent_binary_operatorINSA_8equal_toIvEEEENSN_INSM_8argumentILj0EEEEENSM_5valueIyEEEEEEEEEEEE10hipError_tPvRmT3_T4_T5_T6_T7_T9_mT8_P12ihipStream_tbDpT10_ENKUlT_T0_E_clISt17integral_constantIbLb0EES1K_EEDaS1F_S1G_EUlS1F_E_NS1_11comp_targetILNS1_3genE8ELNS1_11target_archE1030ELNS1_3gpuE2ELNS1_3repE0EEENS1_30default_config_static_selectorELNS0_4arch9wavefront6targetE0EEEvT1_.uses_flat_scratch, 0
	.set _ZN7rocprim17ROCPRIM_400000_NS6detail17trampoline_kernelINS0_14default_configENS1_25partition_config_selectorILNS1_17partition_subalgoE6EyNS0_10empty_typeEbEEZZNS1_14partition_implILS5_6ELb0ES3_mN6thrust23THRUST_200600_302600_NS6detail15normal_iteratorINSA_10device_ptrIyEEEEPS6_SG_NS0_5tupleIJSF_S6_EEENSH_IJSG_SG_EEES6_PlJNSB_9not_fun_tINSB_10functional5actorINSM_9compositeIJNSM_27transparent_binary_operatorINSA_8equal_toIvEEEENSN_INSM_8argumentILj0EEEEENSM_5valueIyEEEEEEEEEEEE10hipError_tPvRmT3_T4_T5_T6_T7_T9_mT8_P12ihipStream_tbDpT10_ENKUlT_T0_E_clISt17integral_constantIbLb0EES1K_EEDaS1F_S1G_EUlS1F_E_NS1_11comp_targetILNS1_3genE8ELNS1_11target_archE1030ELNS1_3gpuE2ELNS1_3repE0EEENS1_30default_config_static_selectorELNS0_4arch9wavefront6targetE0EEEvT1_.has_dyn_sized_stack, 0
	.set _ZN7rocprim17ROCPRIM_400000_NS6detail17trampoline_kernelINS0_14default_configENS1_25partition_config_selectorILNS1_17partition_subalgoE6EyNS0_10empty_typeEbEEZZNS1_14partition_implILS5_6ELb0ES3_mN6thrust23THRUST_200600_302600_NS6detail15normal_iteratorINSA_10device_ptrIyEEEEPS6_SG_NS0_5tupleIJSF_S6_EEENSH_IJSG_SG_EEES6_PlJNSB_9not_fun_tINSB_10functional5actorINSM_9compositeIJNSM_27transparent_binary_operatorINSA_8equal_toIvEEEENSN_INSM_8argumentILj0EEEEENSM_5valueIyEEEEEEEEEEEE10hipError_tPvRmT3_T4_T5_T6_T7_T9_mT8_P12ihipStream_tbDpT10_ENKUlT_T0_E_clISt17integral_constantIbLb0EES1K_EEDaS1F_S1G_EUlS1F_E_NS1_11comp_targetILNS1_3genE8ELNS1_11target_archE1030ELNS1_3gpuE2ELNS1_3repE0EEENS1_30default_config_static_selectorELNS0_4arch9wavefront6targetE0EEEvT1_.has_recursion, 0
	.set _ZN7rocprim17ROCPRIM_400000_NS6detail17trampoline_kernelINS0_14default_configENS1_25partition_config_selectorILNS1_17partition_subalgoE6EyNS0_10empty_typeEbEEZZNS1_14partition_implILS5_6ELb0ES3_mN6thrust23THRUST_200600_302600_NS6detail15normal_iteratorINSA_10device_ptrIyEEEEPS6_SG_NS0_5tupleIJSF_S6_EEENSH_IJSG_SG_EEES6_PlJNSB_9not_fun_tINSB_10functional5actorINSM_9compositeIJNSM_27transparent_binary_operatorINSA_8equal_toIvEEEENSN_INSM_8argumentILj0EEEEENSM_5valueIyEEEEEEEEEEEE10hipError_tPvRmT3_T4_T5_T6_T7_T9_mT8_P12ihipStream_tbDpT10_ENKUlT_T0_E_clISt17integral_constantIbLb0EES1K_EEDaS1F_S1G_EUlS1F_E_NS1_11comp_targetILNS1_3genE8ELNS1_11target_archE1030ELNS1_3gpuE2ELNS1_3repE0EEENS1_30default_config_static_selectorELNS0_4arch9wavefront6targetE0EEEvT1_.has_indirect_call, 0
	.section	.AMDGPU.csdata,"",@progbits
; Kernel info:
; codeLenInByte = 0
; TotalNumSgprs: 0
; NumVgprs: 0
; ScratchSize: 0
; MemoryBound: 0
; FloatMode: 240
; IeeeMode: 1
; LDSByteSize: 0 bytes/workgroup (compile time only)
; SGPRBlocks: 0
; VGPRBlocks: 0
; NumSGPRsForWavesPerEU: 1
; NumVGPRsForWavesPerEU: 1
; Occupancy: 16
; WaveLimiterHint : 0
; COMPUTE_PGM_RSRC2:SCRATCH_EN: 0
; COMPUTE_PGM_RSRC2:USER_SGPR: 2
; COMPUTE_PGM_RSRC2:TRAP_HANDLER: 0
; COMPUTE_PGM_RSRC2:TGID_X_EN: 1
; COMPUTE_PGM_RSRC2:TGID_Y_EN: 0
; COMPUTE_PGM_RSRC2:TGID_Z_EN: 0
; COMPUTE_PGM_RSRC2:TIDIG_COMP_CNT: 0
	.section	.text._ZN7rocprim17ROCPRIM_400000_NS6detail17trampoline_kernelINS0_14default_configENS1_25partition_config_selectorILNS1_17partition_subalgoE6EyNS0_10empty_typeEbEEZZNS1_14partition_implILS5_6ELb0ES3_mN6thrust23THRUST_200600_302600_NS6detail15normal_iteratorINSA_10device_ptrIyEEEEPS6_SG_NS0_5tupleIJSF_S6_EEENSH_IJSG_SG_EEES6_PlJNSB_9not_fun_tINSB_10functional5actorINSM_9compositeIJNSM_27transparent_binary_operatorINSA_8equal_toIvEEEENSN_INSM_8argumentILj0EEEEENSM_5valueIyEEEEEEEEEEEE10hipError_tPvRmT3_T4_T5_T6_T7_T9_mT8_P12ihipStream_tbDpT10_ENKUlT_T0_E_clISt17integral_constantIbLb1EES1K_EEDaS1F_S1G_EUlS1F_E_NS1_11comp_targetILNS1_3genE0ELNS1_11target_archE4294967295ELNS1_3gpuE0ELNS1_3repE0EEENS1_30default_config_static_selectorELNS0_4arch9wavefront6targetE0EEEvT1_,"axG",@progbits,_ZN7rocprim17ROCPRIM_400000_NS6detail17trampoline_kernelINS0_14default_configENS1_25partition_config_selectorILNS1_17partition_subalgoE6EyNS0_10empty_typeEbEEZZNS1_14partition_implILS5_6ELb0ES3_mN6thrust23THRUST_200600_302600_NS6detail15normal_iteratorINSA_10device_ptrIyEEEEPS6_SG_NS0_5tupleIJSF_S6_EEENSH_IJSG_SG_EEES6_PlJNSB_9not_fun_tINSB_10functional5actorINSM_9compositeIJNSM_27transparent_binary_operatorINSA_8equal_toIvEEEENSN_INSM_8argumentILj0EEEEENSM_5valueIyEEEEEEEEEEEE10hipError_tPvRmT3_T4_T5_T6_T7_T9_mT8_P12ihipStream_tbDpT10_ENKUlT_T0_E_clISt17integral_constantIbLb1EES1K_EEDaS1F_S1G_EUlS1F_E_NS1_11comp_targetILNS1_3genE0ELNS1_11target_archE4294967295ELNS1_3gpuE0ELNS1_3repE0EEENS1_30default_config_static_selectorELNS0_4arch9wavefront6targetE0EEEvT1_,comdat
	.protected	_ZN7rocprim17ROCPRIM_400000_NS6detail17trampoline_kernelINS0_14default_configENS1_25partition_config_selectorILNS1_17partition_subalgoE6EyNS0_10empty_typeEbEEZZNS1_14partition_implILS5_6ELb0ES3_mN6thrust23THRUST_200600_302600_NS6detail15normal_iteratorINSA_10device_ptrIyEEEEPS6_SG_NS0_5tupleIJSF_S6_EEENSH_IJSG_SG_EEES6_PlJNSB_9not_fun_tINSB_10functional5actorINSM_9compositeIJNSM_27transparent_binary_operatorINSA_8equal_toIvEEEENSN_INSM_8argumentILj0EEEEENSM_5valueIyEEEEEEEEEEEE10hipError_tPvRmT3_T4_T5_T6_T7_T9_mT8_P12ihipStream_tbDpT10_ENKUlT_T0_E_clISt17integral_constantIbLb1EES1K_EEDaS1F_S1G_EUlS1F_E_NS1_11comp_targetILNS1_3genE0ELNS1_11target_archE4294967295ELNS1_3gpuE0ELNS1_3repE0EEENS1_30default_config_static_selectorELNS0_4arch9wavefront6targetE0EEEvT1_ ; -- Begin function _ZN7rocprim17ROCPRIM_400000_NS6detail17trampoline_kernelINS0_14default_configENS1_25partition_config_selectorILNS1_17partition_subalgoE6EyNS0_10empty_typeEbEEZZNS1_14partition_implILS5_6ELb0ES3_mN6thrust23THRUST_200600_302600_NS6detail15normal_iteratorINSA_10device_ptrIyEEEEPS6_SG_NS0_5tupleIJSF_S6_EEENSH_IJSG_SG_EEES6_PlJNSB_9not_fun_tINSB_10functional5actorINSM_9compositeIJNSM_27transparent_binary_operatorINSA_8equal_toIvEEEENSN_INSM_8argumentILj0EEEEENSM_5valueIyEEEEEEEEEEEE10hipError_tPvRmT3_T4_T5_T6_T7_T9_mT8_P12ihipStream_tbDpT10_ENKUlT_T0_E_clISt17integral_constantIbLb1EES1K_EEDaS1F_S1G_EUlS1F_E_NS1_11comp_targetILNS1_3genE0ELNS1_11target_archE4294967295ELNS1_3gpuE0ELNS1_3repE0EEENS1_30default_config_static_selectorELNS0_4arch9wavefront6targetE0EEEvT1_
	.globl	_ZN7rocprim17ROCPRIM_400000_NS6detail17trampoline_kernelINS0_14default_configENS1_25partition_config_selectorILNS1_17partition_subalgoE6EyNS0_10empty_typeEbEEZZNS1_14partition_implILS5_6ELb0ES3_mN6thrust23THRUST_200600_302600_NS6detail15normal_iteratorINSA_10device_ptrIyEEEEPS6_SG_NS0_5tupleIJSF_S6_EEENSH_IJSG_SG_EEES6_PlJNSB_9not_fun_tINSB_10functional5actorINSM_9compositeIJNSM_27transparent_binary_operatorINSA_8equal_toIvEEEENSN_INSM_8argumentILj0EEEEENSM_5valueIyEEEEEEEEEEEE10hipError_tPvRmT3_T4_T5_T6_T7_T9_mT8_P12ihipStream_tbDpT10_ENKUlT_T0_E_clISt17integral_constantIbLb1EES1K_EEDaS1F_S1G_EUlS1F_E_NS1_11comp_targetILNS1_3genE0ELNS1_11target_archE4294967295ELNS1_3gpuE0ELNS1_3repE0EEENS1_30default_config_static_selectorELNS0_4arch9wavefront6targetE0EEEvT1_
	.p2align	8
	.type	_ZN7rocprim17ROCPRIM_400000_NS6detail17trampoline_kernelINS0_14default_configENS1_25partition_config_selectorILNS1_17partition_subalgoE6EyNS0_10empty_typeEbEEZZNS1_14partition_implILS5_6ELb0ES3_mN6thrust23THRUST_200600_302600_NS6detail15normal_iteratorINSA_10device_ptrIyEEEEPS6_SG_NS0_5tupleIJSF_S6_EEENSH_IJSG_SG_EEES6_PlJNSB_9not_fun_tINSB_10functional5actorINSM_9compositeIJNSM_27transparent_binary_operatorINSA_8equal_toIvEEEENSN_INSM_8argumentILj0EEEEENSM_5valueIyEEEEEEEEEEEE10hipError_tPvRmT3_T4_T5_T6_T7_T9_mT8_P12ihipStream_tbDpT10_ENKUlT_T0_E_clISt17integral_constantIbLb1EES1K_EEDaS1F_S1G_EUlS1F_E_NS1_11comp_targetILNS1_3genE0ELNS1_11target_archE4294967295ELNS1_3gpuE0ELNS1_3repE0EEENS1_30default_config_static_selectorELNS0_4arch9wavefront6targetE0EEEvT1_,@function
_ZN7rocprim17ROCPRIM_400000_NS6detail17trampoline_kernelINS0_14default_configENS1_25partition_config_selectorILNS1_17partition_subalgoE6EyNS0_10empty_typeEbEEZZNS1_14partition_implILS5_6ELb0ES3_mN6thrust23THRUST_200600_302600_NS6detail15normal_iteratorINSA_10device_ptrIyEEEEPS6_SG_NS0_5tupleIJSF_S6_EEENSH_IJSG_SG_EEES6_PlJNSB_9not_fun_tINSB_10functional5actorINSM_9compositeIJNSM_27transparent_binary_operatorINSA_8equal_toIvEEEENSN_INSM_8argumentILj0EEEEENSM_5valueIyEEEEEEEEEEEE10hipError_tPvRmT3_T4_T5_T6_T7_T9_mT8_P12ihipStream_tbDpT10_ENKUlT_T0_E_clISt17integral_constantIbLb1EES1K_EEDaS1F_S1G_EUlS1F_E_NS1_11comp_targetILNS1_3genE0ELNS1_11target_archE4294967295ELNS1_3gpuE0ELNS1_3repE0EEENS1_30default_config_static_selectorELNS0_4arch9wavefront6targetE0EEEvT1_: ; @_ZN7rocprim17ROCPRIM_400000_NS6detail17trampoline_kernelINS0_14default_configENS1_25partition_config_selectorILNS1_17partition_subalgoE6EyNS0_10empty_typeEbEEZZNS1_14partition_implILS5_6ELb0ES3_mN6thrust23THRUST_200600_302600_NS6detail15normal_iteratorINSA_10device_ptrIyEEEEPS6_SG_NS0_5tupleIJSF_S6_EEENSH_IJSG_SG_EEES6_PlJNSB_9not_fun_tINSB_10functional5actorINSM_9compositeIJNSM_27transparent_binary_operatorINSA_8equal_toIvEEEENSN_INSM_8argumentILj0EEEEENSM_5valueIyEEEEEEEEEEEE10hipError_tPvRmT3_T4_T5_T6_T7_T9_mT8_P12ihipStream_tbDpT10_ENKUlT_T0_E_clISt17integral_constantIbLb1EES1K_EEDaS1F_S1G_EUlS1F_E_NS1_11comp_targetILNS1_3genE0ELNS1_11target_archE4294967295ELNS1_3gpuE0ELNS1_3repE0EEENS1_30default_config_static_selectorELNS0_4arch9wavefront6targetE0EEEvT1_
; %bb.0:
	.section	.rodata,"a",@progbits
	.p2align	6, 0x0
	.amdhsa_kernel _ZN7rocprim17ROCPRIM_400000_NS6detail17trampoline_kernelINS0_14default_configENS1_25partition_config_selectorILNS1_17partition_subalgoE6EyNS0_10empty_typeEbEEZZNS1_14partition_implILS5_6ELb0ES3_mN6thrust23THRUST_200600_302600_NS6detail15normal_iteratorINSA_10device_ptrIyEEEEPS6_SG_NS0_5tupleIJSF_S6_EEENSH_IJSG_SG_EEES6_PlJNSB_9not_fun_tINSB_10functional5actorINSM_9compositeIJNSM_27transparent_binary_operatorINSA_8equal_toIvEEEENSN_INSM_8argumentILj0EEEEENSM_5valueIyEEEEEEEEEEEE10hipError_tPvRmT3_T4_T5_T6_T7_T9_mT8_P12ihipStream_tbDpT10_ENKUlT_T0_E_clISt17integral_constantIbLb1EES1K_EEDaS1F_S1G_EUlS1F_E_NS1_11comp_targetILNS1_3genE0ELNS1_11target_archE4294967295ELNS1_3gpuE0ELNS1_3repE0EEENS1_30default_config_static_selectorELNS0_4arch9wavefront6targetE0EEEvT1_
		.amdhsa_group_segment_fixed_size 0
		.amdhsa_private_segment_fixed_size 0
		.amdhsa_kernarg_size 136
		.amdhsa_user_sgpr_count 2
		.amdhsa_user_sgpr_dispatch_ptr 0
		.amdhsa_user_sgpr_queue_ptr 0
		.amdhsa_user_sgpr_kernarg_segment_ptr 1
		.amdhsa_user_sgpr_dispatch_id 0
		.amdhsa_user_sgpr_private_segment_size 0
		.amdhsa_wavefront_size32 1
		.amdhsa_uses_dynamic_stack 0
		.amdhsa_enable_private_segment 0
		.amdhsa_system_sgpr_workgroup_id_x 1
		.amdhsa_system_sgpr_workgroup_id_y 0
		.amdhsa_system_sgpr_workgroup_id_z 0
		.amdhsa_system_sgpr_workgroup_info 0
		.amdhsa_system_vgpr_workitem_id 0
		.amdhsa_next_free_vgpr 1
		.amdhsa_next_free_sgpr 1
		.amdhsa_reserve_vcc 0
		.amdhsa_float_round_mode_32 0
		.amdhsa_float_round_mode_16_64 0
		.amdhsa_float_denorm_mode_32 3
		.amdhsa_float_denorm_mode_16_64 3
		.amdhsa_fp16_overflow 0
		.amdhsa_workgroup_processor_mode 1
		.amdhsa_memory_ordered 1
		.amdhsa_forward_progress 1
		.amdhsa_inst_pref_size 0
		.amdhsa_round_robin_scheduling 0
		.amdhsa_exception_fp_ieee_invalid_op 0
		.amdhsa_exception_fp_denorm_src 0
		.amdhsa_exception_fp_ieee_div_zero 0
		.amdhsa_exception_fp_ieee_overflow 0
		.amdhsa_exception_fp_ieee_underflow 0
		.amdhsa_exception_fp_ieee_inexact 0
		.amdhsa_exception_int_div_zero 0
	.end_amdhsa_kernel
	.section	.text._ZN7rocprim17ROCPRIM_400000_NS6detail17trampoline_kernelINS0_14default_configENS1_25partition_config_selectorILNS1_17partition_subalgoE6EyNS0_10empty_typeEbEEZZNS1_14partition_implILS5_6ELb0ES3_mN6thrust23THRUST_200600_302600_NS6detail15normal_iteratorINSA_10device_ptrIyEEEEPS6_SG_NS0_5tupleIJSF_S6_EEENSH_IJSG_SG_EEES6_PlJNSB_9not_fun_tINSB_10functional5actorINSM_9compositeIJNSM_27transparent_binary_operatorINSA_8equal_toIvEEEENSN_INSM_8argumentILj0EEEEENSM_5valueIyEEEEEEEEEEEE10hipError_tPvRmT3_T4_T5_T6_T7_T9_mT8_P12ihipStream_tbDpT10_ENKUlT_T0_E_clISt17integral_constantIbLb1EES1K_EEDaS1F_S1G_EUlS1F_E_NS1_11comp_targetILNS1_3genE0ELNS1_11target_archE4294967295ELNS1_3gpuE0ELNS1_3repE0EEENS1_30default_config_static_selectorELNS0_4arch9wavefront6targetE0EEEvT1_,"axG",@progbits,_ZN7rocprim17ROCPRIM_400000_NS6detail17trampoline_kernelINS0_14default_configENS1_25partition_config_selectorILNS1_17partition_subalgoE6EyNS0_10empty_typeEbEEZZNS1_14partition_implILS5_6ELb0ES3_mN6thrust23THRUST_200600_302600_NS6detail15normal_iteratorINSA_10device_ptrIyEEEEPS6_SG_NS0_5tupleIJSF_S6_EEENSH_IJSG_SG_EEES6_PlJNSB_9not_fun_tINSB_10functional5actorINSM_9compositeIJNSM_27transparent_binary_operatorINSA_8equal_toIvEEEENSN_INSM_8argumentILj0EEEEENSM_5valueIyEEEEEEEEEEEE10hipError_tPvRmT3_T4_T5_T6_T7_T9_mT8_P12ihipStream_tbDpT10_ENKUlT_T0_E_clISt17integral_constantIbLb1EES1K_EEDaS1F_S1G_EUlS1F_E_NS1_11comp_targetILNS1_3genE0ELNS1_11target_archE4294967295ELNS1_3gpuE0ELNS1_3repE0EEENS1_30default_config_static_selectorELNS0_4arch9wavefront6targetE0EEEvT1_,comdat
.Lfunc_end88:
	.size	_ZN7rocprim17ROCPRIM_400000_NS6detail17trampoline_kernelINS0_14default_configENS1_25partition_config_selectorILNS1_17partition_subalgoE6EyNS0_10empty_typeEbEEZZNS1_14partition_implILS5_6ELb0ES3_mN6thrust23THRUST_200600_302600_NS6detail15normal_iteratorINSA_10device_ptrIyEEEEPS6_SG_NS0_5tupleIJSF_S6_EEENSH_IJSG_SG_EEES6_PlJNSB_9not_fun_tINSB_10functional5actorINSM_9compositeIJNSM_27transparent_binary_operatorINSA_8equal_toIvEEEENSN_INSM_8argumentILj0EEEEENSM_5valueIyEEEEEEEEEEEE10hipError_tPvRmT3_T4_T5_T6_T7_T9_mT8_P12ihipStream_tbDpT10_ENKUlT_T0_E_clISt17integral_constantIbLb1EES1K_EEDaS1F_S1G_EUlS1F_E_NS1_11comp_targetILNS1_3genE0ELNS1_11target_archE4294967295ELNS1_3gpuE0ELNS1_3repE0EEENS1_30default_config_static_selectorELNS0_4arch9wavefront6targetE0EEEvT1_, .Lfunc_end88-_ZN7rocprim17ROCPRIM_400000_NS6detail17trampoline_kernelINS0_14default_configENS1_25partition_config_selectorILNS1_17partition_subalgoE6EyNS0_10empty_typeEbEEZZNS1_14partition_implILS5_6ELb0ES3_mN6thrust23THRUST_200600_302600_NS6detail15normal_iteratorINSA_10device_ptrIyEEEEPS6_SG_NS0_5tupleIJSF_S6_EEENSH_IJSG_SG_EEES6_PlJNSB_9not_fun_tINSB_10functional5actorINSM_9compositeIJNSM_27transparent_binary_operatorINSA_8equal_toIvEEEENSN_INSM_8argumentILj0EEEEENSM_5valueIyEEEEEEEEEEEE10hipError_tPvRmT3_T4_T5_T6_T7_T9_mT8_P12ihipStream_tbDpT10_ENKUlT_T0_E_clISt17integral_constantIbLb1EES1K_EEDaS1F_S1G_EUlS1F_E_NS1_11comp_targetILNS1_3genE0ELNS1_11target_archE4294967295ELNS1_3gpuE0ELNS1_3repE0EEENS1_30default_config_static_selectorELNS0_4arch9wavefront6targetE0EEEvT1_
                                        ; -- End function
	.set _ZN7rocprim17ROCPRIM_400000_NS6detail17trampoline_kernelINS0_14default_configENS1_25partition_config_selectorILNS1_17partition_subalgoE6EyNS0_10empty_typeEbEEZZNS1_14partition_implILS5_6ELb0ES3_mN6thrust23THRUST_200600_302600_NS6detail15normal_iteratorINSA_10device_ptrIyEEEEPS6_SG_NS0_5tupleIJSF_S6_EEENSH_IJSG_SG_EEES6_PlJNSB_9not_fun_tINSB_10functional5actorINSM_9compositeIJNSM_27transparent_binary_operatorINSA_8equal_toIvEEEENSN_INSM_8argumentILj0EEEEENSM_5valueIyEEEEEEEEEEEE10hipError_tPvRmT3_T4_T5_T6_T7_T9_mT8_P12ihipStream_tbDpT10_ENKUlT_T0_E_clISt17integral_constantIbLb1EES1K_EEDaS1F_S1G_EUlS1F_E_NS1_11comp_targetILNS1_3genE0ELNS1_11target_archE4294967295ELNS1_3gpuE0ELNS1_3repE0EEENS1_30default_config_static_selectorELNS0_4arch9wavefront6targetE0EEEvT1_.num_vgpr, 0
	.set _ZN7rocprim17ROCPRIM_400000_NS6detail17trampoline_kernelINS0_14default_configENS1_25partition_config_selectorILNS1_17partition_subalgoE6EyNS0_10empty_typeEbEEZZNS1_14partition_implILS5_6ELb0ES3_mN6thrust23THRUST_200600_302600_NS6detail15normal_iteratorINSA_10device_ptrIyEEEEPS6_SG_NS0_5tupleIJSF_S6_EEENSH_IJSG_SG_EEES6_PlJNSB_9not_fun_tINSB_10functional5actorINSM_9compositeIJNSM_27transparent_binary_operatorINSA_8equal_toIvEEEENSN_INSM_8argumentILj0EEEEENSM_5valueIyEEEEEEEEEEEE10hipError_tPvRmT3_T4_T5_T6_T7_T9_mT8_P12ihipStream_tbDpT10_ENKUlT_T0_E_clISt17integral_constantIbLb1EES1K_EEDaS1F_S1G_EUlS1F_E_NS1_11comp_targetILNS1_3genE0ELNS1_11target_archE4294967295ELNS1_3gpuE0ELNS1_3repE0EEENS1_30default_config_static_selectorELNS0_4arch9wavefront6targetE0EEEvT1_.num_agpr, 0
	.set _ZN7rocprim17ROCPRIM_400000_NS6detail17trampoline_kernelINS0_14default_configENS1_25partition_config_selectorILNS1_17partition_subalgoE6EyNS0_10empty_typeEbEEZZNS1_14partition_implILS5_6ELb0ES3_mN6thrust23THRUST_200600_302600_NS6detail15normal_iteratorINSA_10device_ptrIyEEEEPS6_SG_NS0_5tupleIJSF_S6_EEENSH_IJSG_SG_EEES6_PlJNSB_9not_fun_tINSB_10functional5actorINSM_9compositeIJNSM_27transparent_binary_operatorINSA_8equal_toIvEEEENSN_INSM_8argumentILj0EEEEENSM_5valueIyEEEEEEEEEEEE10hipError_tPvRmT3_T4_T5_T6_T7_T9_mT8_P12ihipStream_tbDpT10_ENKUlT_T0_E_clISt17integral_constantIbLb1EES1K_EEDaS1F_S1G_EUlS1F_E_NS1_11comp_targetILNS1_3genE0ELNS1_11target_archE4294967295ELNS1_3gpuE0ELNS1_3repE0EEENS1_30default_config_static_selectorELNS0_4arch9wavefront6targetE0EEEvT1_.numbered_sgpr, 0
	.set _ZN7rocprim17ROCPRIM_400000_NS6detail17trampoline_kernelINS0_14default_configENS1_25partition_config_selectorILNS1_17partition_subalgoE6EyNS0_10empty_typeEbEEZZNS1_14partition_implILS5_6ELb0ES3_mN6thrust23THRUST_200600_302600_NS6detail15normal_iteratorINSA_10device_ptrIyEEEEPS6_SG_NS0_5tupleIJSF_S6_EEENSH_IJSG_SG_EEES6_PlJNSB_9not_fun_tINSB_10functional5actorINSM_9compositeIJNSM_27transparent_binary_operatorINSA_8equal_toIvEEEENSN_INSM_8argumentILj0EEEEENSM_5valueIyEEEEEEEEEEEE10hipError_tPvRmT3_T4_T5_T6_T7_T9_mT8_P12ihipStream_tbDpT10_ENKUlT_T0_E_clISt17integral_constantIbLb1EES1K_EEDaS1F_S1G_EUlS1F_E_NS1_11comp_targetILNS1_3genE0ELNS1_11target_archE4294967295ELNS1_3gpuE0ELNS1_3repE0EEENS1_30default_config_static_selectorELNS0_4arch9wavefront6targetE0EEEvT1_.num_named_barrier, 0
	.set _ZN7rocprim17ROCPRIM_400000_NS6detail17trampoline_kernelINS0_14default_configENS1_25partition_config_selectorILNS1_17partition_subalgoE6EyNS0_10empty_typeEbEEZZNS1_14partition_implILS5_6ELb0ES3_mN6thrust23THRUST_200600_302600_NS6detail15normal_iteratorINSA_10device_ptrIyEEEEPS6_SG_NS0_5tupleIJSF_S6_EEENSH_IJSG_SG_EEES6_PlJNSB_9not_fun_tINSB_10functional5actorINSM_9compositeIJNSM_27transparent_binary_operatorINSA_8equal_toIvEEEENSN_INSM_8argumentILj0EEEEENSM_5valueIyEEEEEEEEEEEE10hipError_tPvRmT3_T4_T5_T6_T7_T9_mT8_P12ihipStream_tbDpT10_ENKUlT_T0_E_clISt17integral_constantIbLb1EES1K_EEDaS1F_S1G_EUlS1F_E_NS1_11comp_targetILNS1_3genE0ELNS1_11target_archE4294967295ELNS1_3gpuE0ELNS1_3repE0EEENS1_30default_config_static_selectorELNS0_4arch9wavefront6targetE0EEEvT1_.private_seg_size, 0
	.set _ZN7rocprim17ROCPRIM_400000_NS6detail17trampoline_kernelINS0_14default_configENS1_25partition_config_selectorILNS1_17partition_subalgoE6EyNS0_10empty_typeEbEEZZNS1_14partition_implILS5_6ELb0ES3_mN6thrust23THRUST_200600_302600_NS6detail15normal_iteratorINSA_10device_ptrIyEEEEPS6_SG_NS0_5tupleIJSF_S6_EEENSH_IJSG_SG_EEES6_PlJNSB_9not_fun_tINSB_10functional5actorINSM_9compositeIJNSM_27transparent_binary_operatorINSA_8equal_toIvEEEENSN_INSM_8argumentILj0EEEEENSM_5valueIyEEEEEEEEEEEE10hipError_tPvRmT3_T4_T5_T6_T7_T9_mT8_P12ihipStream_tbDpT10_ENKUlT_T0_E_clISt17integral_constantIbLb1EES1K_EEDaS1F_S1G_EUlS1F_E_NS1_11comp_targetILNS1_3genE0ELNS1_11target_archE4294967295ELNS1_3gpuE0ELNS1_3repE0EEENS1_30default_config_static_selectorELNS0_4arch9wavefront6targetE0EEEvT1_.uses_vcc, 0
	.set _ZN7rocprim17ROCPRIM_400000_NS6detail17trampoline_kernelINS0_14default_configENS1_25partition_config_selectorILNS1_17partition_subalgoE6EyNS0_10empty_typeEbEEZZNS1_14partition_implILS5_6ELb0ES3_mN6thrust23THRUST_200600_302600_NS6detail15normal_iteratorINSA_10device_ptrIyEEEEPS6_SG_NS0_5tupleIJSF_S6_EEENSH_IJSG_SG_EEES6_PlJNSB_9not_fun_tINSB_10functional5actorINSM_9compositeIJNSM_27transparent_binary_operatorINSA_8equal_toIvEEEENSN_INSM_8argumentILj0EEEEENSM_5valueIyEEEEEEEEEEEE10hipError_tPvRmT3_T4_T5_T6_T7_T9_mT8_P12ihipStream_tbDpT10_ENKUlT_T0_E_clISt17integral_constantIbLb1EES1K_EEDaS1F_S1G_EUlS1F_E_NS1_11comp_targetILNS1_3genE0ELNS1_11target_archE4294967295ELNS1_3gpuE0ELNS1_3repE0EEENS1_30default_config_static_selectorELNS0_4arch9wavefront6targetE0EEEvT1_.uses_flat_scratch, 0
	.set _ZN7rocprim17ROCPRIM_400000_NS6detail17trampoline_kernelINS0_14default_configENS1_25partition_config_selectorILNS1_17partition_subalgoE6EyNS0_10empty_typeEbEEZZNS1_14partition_implILS5_6ELb0ES3_mN6thrust23THRUST_200600_302600_NS6detail15normal_iteratorINSA_10device_ptrIyEEEEPS6_SG_NS0_5tupleIJSF_S6_EEENSH_IJSG_SG_EEES6_PlJNSB_9not_fun_tINSB_10functional5actorINSM_9compositeIJNSM_27transparent_binary_operatorINSA_8equal_toIvEEEENSN_INSM_8argumentILj0EEEEENSM_5valueIyEEEEEEEEEEEE10hipError_tPvRmT3_T4_T5_T6_T7_T9_mT8_P12ihipStream_tbDpT10_ENKUlT_T0_E_clISt17integral_constantIbLb1EES1K_EEDaS1F_S1G_EUlS1F_E_NS1_11comp_targetILNS1_3genE0ELNS1_11target_archE4294967295ELNS1_3gpuE0ELNS1_3repE0EEENS1_30default_config_static_selectorELNS0_4arch9wavefront6targetE0EEEvT1_.has_dyn_sized_stack, 0
	.set _ZN7rocprim17ROCPRIM_400000_NS6detail17trampoline_kernelINS0_14default_configENS1_25partition_config_selectorILNS1_17partition_subalgoE6EyNS0_10empty_typeEbEEZZNS1_14partition_implILS5_6ELb0ES3_mN6thrust23THRUST_200600_302600_NS6detail15normal_iteratorINSA_10device_ptrIyEEEEPS6_SG_NS0_5tupleIJSF_S6_EEENSH_IJSG_SG_EEES6_PlJNSB_9not_fun_tINSB_10functional5actorINSM_9compositeIJNSM_27transparent_binary_operatorINSA_8equal_toIvEEEENSN_INSM_8argumentILj0EEEEENSM_5valueIyEEEEEEEEEEEE10hipError_tPvRmT3_T4_T5_T6_T7_T9_mT8_P12ihipStream_tbDpT10_ENKUlT_T0_E_clISt17integral_constantIbLb1EES1K_EEDaS1F_S1G_EUlS1F_E_NS1_11comp_targetILNS1_3genE0ELNS1_11target_archE4294967295ELNS1_3gpuE0ELNS1_3repE0EEENS1_30default_config_static_selectorELNS0_4arch9wavefront6targetE0EEEvT1_.has_recursion, 0
	.set _ZN7rocprim17ROCPRIM_400000_NS6detail17trampoline_kernelINS0_14default_configENS1_25partition_config_selectorILNS1_17partition_subalgoE6EyNS0_10empty_typeEbEEZZNS1_14partition_implILS5_6ELb0ES3_mN6thrust23THRUST_200600_302600_NS6detail15normal_iteratorINSA_10device_ptrIyEEEEPS6_SG_NS0_5tupleIJSF_S6_EEENSH_IJSG_SG_EEES6_PlJNSB_9not_fun_tINSB_10functional5actorINSM_9compositeIJNSM_27transparent_binary_operatorINSA_8equal_toIvEEEENSN_INSM_8argumentILj0EEEEENSM_5valueIyEEEEEEEEEEEE10hipError_tPvRmT3_T4_T5_T6_T7_T9_mT8_P12ihipStream_tbDpT10_ENKUlT_T0_E_clISt17integral_constantIbLb1EES1K_EEDaS1F_S1G_EUlS1F_E_NS1_11comp_targetILNS1_3genE0ELNS1_11target_archE4294967295ELNS1_3gpuE0ELNS1_3repE0EEENS1_30default_config_static_selectorELNS0_4arch9wavefront6targetE0EEEvT1_.has_indirect_call, 0
	.section	.AMDGPU.csdata,"",@progbits
; Kernel info:
; codeLenInByte = 0
; TotalNumSgprs: 0
; NumVgprs: 0
; ScratchSize: 0
; MemoryBound: 0
; FloatMode: 240
; IeeeMode: 1
; LDSByteSize: 0 bytes/workgroup (compile time only)
; SGPRBlocks: 0
; VGPRBlocks: 0
; NumSGPRsForWavesPerEU: 1
; NumVGPRsForWavesPerEU: 1
; Occupancy: 16
; WaveLimiterHint : 0
; COMPUTE_PGM_RSRC2:SCRATCH_EN: 0
; COMPUTE_PGM_RSRC2:USER_SGPR: 2
; COMPUTE_PGM_RSRC2:TRAP_HANDLER: 0
; COMPUTE_PGM_RSRC2:TGID_X_EN: 1
; COMPUTE_PGM_RSRC2:TGID_Y_EN: 0
; COMPUTE_PGM_RSRC2:TGID_Z_EN: 0
; COMPUTE_PGM_RSRC2:TIDIG_COMP_CNT: 0
	.section	.text._ZN7rocprim17ROCPRIM_400000_NS6detail17trampoline_kernelINS0_14default_configENS1_25partition_config_selectorILNS1_17partition_subalgoE6EyNS0_10empty_typeEbEEZZNS1_14partition_implILS5_6ELb0ES3_mN6thrust23THRUST_200600_302600_NS6detail15normal_iteratorINSA_10device_ptrIyEEEEPS6_SG_NS0_5tupleIJSF_S6_EEENSH_IJSG_SG_EEES6_PlJNSB_9not_fun_tINSB_10functional5actorINSM_9compositeIJNSM_27transparent_binary_operatorINSA_8equal_toIvEEEENSN_INSM_8argumentILj0EEEEENSM_5valueIyEEEEEEEEEEEE10hipError_tPvRmT3_T4_T5_T6_T7_T9_mT8_P12ihipStream_tbDpT10_ENKUlT_T0_E_clISt17integral_constantIbLb1EES1K_EEDaS1F_S1G_EUlS1F_E_NS1_11comp_targetILNS1_3genE5ELNS1_11target_archE942ELNS1_3gpuE9ELNS1_3repE0EEENS1_30default_config_static_selectorELNS0_4arch9wavefront6targetE0EEEvT1_,"axG",@progbits,_ZN7rocprim17ROCPRIM_400000_NS6detail17trampoline_kernelINS0_14default_configENS1_25partition_config_selectorILNS1_17partition_subalgoE6EyNS0_10empty_typeEbEEZZNS1_14partition_implILS5_6ELb0ES3_mN6thrust23THRUST_200600_302600_NS6detail15normal_iteratorINSA_10device_ptrIyEEEEPS6_SG_NS0_5tupleIJSF_S6_EEENSH_IJSG_SG_EEES6_PlJNSB_9not_fun_tINSB_10functional5actorINSM_9compositeIJNSM_27transparent_binary_operatorINSA_8equal_toIvEEEENSN_INSM_8argumentILj0EEEEENSM_5valueIyEEEEEEEEEEEE10hipError_tPvRmT3_T4_T5_T6_T7_T9_mT8_P12ihipStream_tbDpT10_ENKUlT_T0_E_clISt17integral_constantIbLb1EES1K_EEDaS1F_S1G_EUlS1F_E_NS1_11comp_targetILNS1_3genE5ELNS1_11target_archE942ELNS1_3gpuE9ELNS1_3repE0EEENS1_30default_config_static_selectorELNS0_4arch9wavefront6targetE0EEEvT1_,comdat
	.protected	_ZN7rocprim17ROCPRIM_400000_NS6detail17trampoline_kernelINS0_14default_configENS1_25partition_config_selectorILNS1_17partition_subalgoE6EyNS0_10empty_typeEbEEZZNS1_14partition_implILS5_6ELb0ES3_mN6thrust23THRUST_200600_302600_NS6detail15normal_iteratorINSA_10device_ptrIyEEEEPS6_SG_NS0_5tupleIJSF_S6_EEENSH_IJSG_SG_EEES6_PlJNSB_9not_fun_tINSB_10functional5actorINSM_9compositeIJNSM_27transparent_binary_operatorINSA_8equal_toIvEEEENSN_INSM_8argumentILj0EEEEENSM_5valueIyEEEEEEEEEEEE10hipError_tPvRmT3_T4_T5_T6_T7_T9_mT8_P12ihipStream_tbDpT10_ENKUlT_T0_E_clISt17integral_constantIbLb1EES1K_EEDaS1F_S1G_EUlS1F_E_NS1_11comp_targetILNS1_3genE5ELNS1_11target_archE942ELNS1_3gpuE9ELNS1_3repE0EEENS1_30default_config_static_selectorELNS0_4arch9wavefront6targetE0EEEvT1_ ; -- Begin function _ZN7rocprim17ROCPRIM_400000_NS6detail17trampoline_kernelINS0_14default_configENS1_25partition_config_selectorILNS1_17partition_subalgoE6EyNS0_10empty_typeEbEEZZNS1_14partition_implILS5_6ELb0ES3_mN6thrust23THRUST_200600_302600_NS6detail15normal_iteratorINSA_10device_ptrIyEEEEPS6_SG_NS0_5tupleIJSF_S6_EEENSH_IJSG_SG_EEES6_PlJNSB_9not_fun_tINSB_10functional5actorINSM_9compositeIJNSM_27transparent_binary_operatorINSA_8equal_toIvEEEENSN_INSM_8argumentILj0EEEEENSM_5valueIyEEEEEEEEEEEE10hipError_tPvRmT3_T4_T5_T6_T7_T9_mT8_P12ihipStream_tbDpT10_ENKUlT_T0_E_clISt17integral_constantIbLb1EES1K_EEDaS1F_S1G_EUlS1F_E_NS1_11comp_targetILNS1_3genE5ELNS1_11target_archE942ELNS1_3gpuE9ELNS1_3repE0EEENS1_30default_config_static_selectorELNS0_4arch9wavefront6targetE0EEEvT1_
	.globl	_ZN7rocprim17ROCPRIM_400000_NS6detail17trampoline_kernelINS0_14default_configENS1_25partition_config_selectorILNS1_17partition_subalgoE6EyNS0_10empty_typeEbEEZZNS1_14partition_implILS5_6ELb0ES3_mN6thrust23THRUST_200600_302600_NS6detail15normal_iteratorINSA_10device_ptrIyEEEEPS6_SG_NS0_5tupleIJSF_S6_EEENSH_IJSG_SG_EEES6_PlJNSB_9not_fun_tINSB_10functional5actorINSM_9compositeIJNSM_27transparent_binary_operatorINSA_8equal_toIvEEEENSN_INSM_8argumentILj0EEEEENSM_5valueIyEEEEEEEEEEEE10hipError_tPvRmT3_T4_T5_T6_T7_T9_mT8_P12ihipStream_tbDpT10_ENKUlT_T0_E_clISt17integral_constantIbLb1EES1K_EEDaS1F_S1G_EUlS1F_E_NS1_11comp_targetILNS1_3genE5ELNS1_11target_archE942ELNS1_3gpuE9ELNS1_3repE0EEENS1_30default_config_static_selectorELNS0_4arch9wavefront6targetE0EEEvT1_
	.p2align	8
	.type	_ZN7rocprim17ROCPRIM_400000_NS6detail17trampoline_kernelINS0_14default_configENS1_25partition_config_selectorILNS1_17partition_subalgoE6EyNS0_10empty_typeEbEEZZNS1_14partition_implILS5_6ELb0ES3_mN6thrust23THRUST_200600_302600_NS6detail15normal_iteratorINSA_10device_ptrIyEEEEPS6_SG_NS0_5tupleIJSF_S6_EEENSH_IJSG_SG_EEES6_PlJNSB_9not_fun_tINSB_10functional5actorINSM_9compositeIJNSM_27transparent_binary_operatorINSA_8equal_toIvEEEENSN_INSM_8argumentILj0EEEEENSM_5valueIyEEEEEEEEEEEE10hipError_tPvRmT3_T4_T5_T6_T7_T9_mT8_P12ihipStream_tbDpT10_ENKUlT_T0_E_clISt17integral_constantIbLb1EES1K_EEDaS1F_S1G_EUlS1F_E_NS1_11comp_targetILNS1_3genE5ELNS1_11target_archE942ELNS1_3gpuE9ELNS1_3repE0EEENS1_30default_config_static_selectorELNS0_4arch9wavefront6targetE0EEEvT1_,@function
_ZN7rocprim17ROCPRIM_400000_NS6detail17trampoline_kernelINS0_14default_configENS1_25partition_config_selectorILNS1_17partition_subalgoE6EyNS0_10empty_typeEbEEZZNS1_14partition_implILS5_6ELb0ES3_mN6thrust23THRUST_200600_302600_NS6detail15normal_iteratorINSA_10device_ptrIyEEEEPS6_SG_NS0_5tupleIJSF_S6_EEENSH_IJSG_SG_EEES6_PlJNSB_9not_fun_tINSB_10functional5actorINSM_9compositeIJNSM_27transparent_binary_operatorINSA_8equal_toIvEEEENSN_INSM_8argumentILj0EEEEENSM_5valueIyEEEEEEEEEEEE10hipError_tPvRmT3_T4_T5_T6_T7_T9_mT8_P12ihipStream_tbDpT10_ENKUlT_T0_E_clISt17integral_constantIbLb1EES1K_EEDaS1F_S1G_EUlS1F_E_NS1_11comp_targetILNS1_3genE5ELNS1_11target_archE942ELNS1_3gpuE9ELNS1_3repE0EEENS1_30default_config_static_selectorELNS0_4arch9wavefront6targetE0EEEvT1_: ; @_ZN7rocprim17ROCPRIM_400000_NS6detail17trampoline_kernelINS0_14default_configENS1_25partition_config_selectorILNS1_17partition_subalgoE6EyNS0_10empty_typeEbEEZZNS1_14partition_implILS5_6ELb0ES3_mN6thrust23THRUST_200600_302600_NS6detail15normal_iteratorINSA_10device_ptrIyEEEEPS6_SG_NS0_5tupleIJSF_S6_EEENSH_IJSG_SG_EEES6_PlJNSB_9not_fun_tINSB_10functional5actorINSM_9compositeIJNSM_27transparent_binary_operatorINSA_8equal_toIvEEEENSN_INSM_8argumentILj0EEEEENSM_5valueIyEEEEEEEEEEEE10hipError_tPvRmT3_T4_T5_T6_T7_T9_mT8_P12ihipStream_tbDpT10_ENKUlT_T0_E_clISt17integral_constantIbLb1EES1K_EEDaS1F_S1G_EUlS1F_E_NS1_11comp_targetILNS1_3genE5ELNS1_11target_archE942ELNS1_3gpuE9ELNS1_3repE0EEENS1_30default_config_static_selectorELNS0_4arch9wavefront6targetE0EEEvT1_
; %bb.0:
	.section	.rodata,"a",@progbits
	.p2align	6, 0x0
	.amdhsa_kernel _ZN7rocprim17ROCPRIM_400000_NS6detail17trampoline_kernelINS0_14default_configENS1_25partition_config_selectorILNS1_17partition_subalgoE6EyNS0_10empty_typeEbEEZZNS1_14partition_implILS5_6ELb0ES3_mN6thrust23THRUST_200600_302600_NS6detail15normal_iteratorINSA_10device_ptrIyEEEEPS6_SG_NS0_5tupleIJSF_S6_EEENSH_IJSG_SG_EEES6_PlJNSB_9not_fun_tINSB_10functional5actorINSM_9compositeIJNSM_27transparent_binary_operatorINSA_8equal_toIvEEEENSN_INSM_8argumentILj0EEEEENSM_5valueIyEEEEEEEEEEEE10hipError_tPvRmT3_T4_T5_T6_T7_T9_mT8_P12ihipStream_tbDpT10_ENKUlT_T0_E_clISt17integral_constantIbLb1EES1K_EEDaS1F_S1G_EUlS1F_E_NS1_11comp_targetILNS1_3genE5ELNS1_11target_archE942ELNS1_3gpuE9ELNS1_3repE0EEENS1_30default_config_static_selectorELNS0_4arch9wavefront6targetE0EEEvT1_
		.amdhsa_group_segment_fixed_size 0
		.amdhsa_private_segment_fixed_size 0
		.amdhsa_kernarg_size 136
		.amdhsa_user_sgpr_count 2
		.amdhsa_user_sgpr_dispatch_ptr 0
		.amdhsa_user_sgpr_queue_ptr 0
		.amdhsa_user_sgpr_kernarg_segment_ptr 1
		.amdhsa_user_sgpr_dispatch_id 0
		.amdhsa_user_sgpr_private_segment_size 0
		.amdhsa_wavefront_size32 1
		.amdhsa_uses_dynamic_stack 0
		.amdhsa_enable_private_segment 0
		.amdhsa_system_sgpr_workgroup_id_x 1
		.amdhsa_system_sgpr_workgroup_id_y 0
		.amdhsa_system_sgpr_workgroup_id_z 0
		.amdhsa_system_sgpr_workgroup_info 0
		.amdhsa_system_vgpr_workitem_id 0
		.amdhsa_next_free_vgpr 1
		.amdhsa_next_free_sgpr 1
		.amdhsa_reserve_vcc 0
		.amdhsa_float_round_mode_32 0
		.amdhsa_float_round_mode_16_64 0
		.amdhsa_float_denorm_mode_32 3
		.amdhsa_float_denorm_mode_16_64 3
		.amdhsa_fp16_overflow 0
		.amdhsa_workgroup_processor_mode 1
		.amdhsa_memory_ordered 1
		.amdhsa_forward_progress 1
		.amdhsa_inst_pref_size 0
		.amdhsa_round_robin_scheduling 0
		.amdhsa_exception_fp_ieee_invalid_op 0
		.amdhsa_exception_fp_denorm_src 0
		.amdhsa_exception_fp_ieee_div_zero 0
		.amdhsa_exception_fp_ieee_overflow 0
		.amdhsa_exception_fp_ieee_underflow 0
		.amdhsa_exception_fp_ieee_inexact 0
		.amdhsa_exception_int_div_zero 0
	.end_amdhsa_kernel
	.section	.text._ZN7rocprim17ROCPRIM_400000_NS6detail17trampoline_kernelINS0_14default_configENS1_25partition_config_selectorILNS1_17partition_subalgoE6EyNS0_10empty_typeEbEEZZNS1_14partition_implILS5_6ELb0ES3_mN6thrust23THRUST_200600_302600_NS6detail15normal_iteratorINSA_10device_ptrIyEEEEPS6_SG_NS0_5tupleIJSF_S6_EEENSH_IJSG_SG_EEES6_PlJNSB_9not_fun_tINSB_10functional5actorINSM_9compositeIJNSM_27transparent_binary_operatorINSA_8equal_toIvEEEENSN_INSM_8argumentILj0EEEEENSM_5valueIyEEEEEEEEEEEE10hipError_tPvRmT3_T4_T5_T6_T7_T9_mT8_P12ihipStream_tbDpT10_ENKUlT_T0_E_clISt17integral_constantIbLb1EES1K_EEDaS1F_S1G_EUlS1F_E_NS1_11comp_targetILNS1_3genE5ELNS1_11target_archE942ELNS1_3gpuE9ELNS1_3repE0EEENS1_30default_config_static_selectorELNS0_4arch9wavefront6targetE0EEEvT1_,"axG",@progbits,_ZN7rocprim17ROCPRIM_400000_NS6detail17trampoline_kernelINS0_14default_configENS1_25partition_config_selectorILNS1_17partition_subalgoE6EyNS0_10empty_typeEbEEZZNS1_14partition_implILS5_6ELb0ES3_mN6thrust23THRUST_200600_302600_NS6detail15normal_iteratorINSA_10device_ptrIyEEEEPS6_SG_NS0_5tupleIJSF_S6_EEENSH_IJSG_SG_EEES6_PlJNSB_9not_fun_tINSB_10functional5actorINSM_9compositeIJNSM_27transparent_binary_operatorINSA_8equal_toIvEEEENSN_INSM_8argumentILj0EEEEENSM_5valueIyEEEEEEEEEEEE10hipError_tPvRmT3_T4_T5_T6_T7_T9_mT8_P12ihipStream_tbDpT10_ENKUlT_T0_E_clISt17integral_constantIbLb1EES1K_EEDaS1F_S1G_EUlS1F_E_NS1_11comp_targetILNS1_3genE5ELNS1_11target_archE942ELNS1_3gpuE9ELNS1_3repE0EEENS1_30default_config_static_selectorELNS0_4arch9wavefront6targetE0EEEvT1_,comdat
.Lfunc_end89:
	.size	_ZN7rocprim17ROCPRIM_400000_NS6detail17trampoline_kernelINS0_14default_configENS1_25partition_config_selectorILNS1_17partition_subalgoE6EyNS0_10empty_typeEbEEZZNS1_14partition_implILS5_6ELb0ES3_mN6thrust23THRUST_200600_302600_NS6detail15normal_iteratorINSA_10device_ptrIyEEEEPS6_SG_NS0_5tupleIJSF_S6_EEENSH_IJSG_SG_EEES6_PlJNSB_9not_fun_tINSB_10functional5actorINSM_9compositeIJNSM_27transparent_binary_operatorINSA_8equal_toIvEEEENSN_INSM_8argumentILj0EEEEENSM_5valueIyEEEEEEEEEEEE10hipError_tPvRmT3_T4_T5_T6_T7_T9_mT8_P12ihipStream_tbDpT10_ENKUlT_T0_E_clISt17integral_constantIbLb1EES1K_EEDaS1F_S1G_EUlS1F_E_NS1_11comp_targetILNS1_3genE5ELNS1_11target_archE942ELNS1_3gpuE9ELNS1_3repE0EEENS1_30default_config_static_selectorELNS0_4arch9wavefront6targetE0EEEvT1_, .Lfunc_end89-_ZN7rocprim17ROCPRIM_400000_NS6detail17trampoline_kernelINS0_14default_configENS1_25partition_config_selectorILNS1_17partition_subalgoE6EyNS0_10empty_typeEbEEZZNS1_14partition_implILS5_6ELb0ES3_mN6thrust23THRUST_200600_302600_NS6detail15normal_iteratorINSA_10device_ptrIyEEEEPS6_SG_NS0_5tupleIJSF_S6_EEENSH_IJSG_SG_EEES6_PlJNSB_9not_fun_tINSB_10functional5actorINSM_9compositeIJNSM_27transparent_binary_operatorINSA_8equal_toIvEEEENSN_INSM_8argumentILj0EEEEENSM_5valueIyEEEEEEEEEEEE10hipError_tPvRmT3_T4_T5_T6_T7_T9_mT8_P12ihipStream_tbDpT10_ENKUlT_T0_E_clISt17integral_constantIbLb1EES1K_EEDaS1F_S1G_EUlS1F_E_NS1_11comp_targetILNS1_3genE5ELNS1_11target_archE942ELNS1_3gpuE9ELNS1_3repE0EEENS1_30default_config_static_selectorELNS0_4arch9wavefront6targetE0EEEvT1_
                                        ; -- End function
	.set _ZN7rocprim17ROCPRIM_400000_NS6detail17trampoline_kernelINS0_14default_configENS1_25partition_config_selectorILNS1_17partition_subalgoE6EyNS0_10empty_typeEbEEZZNS1_14partition_implILS5_6ELb0ES3_mN6thrust23THRUST_200600_302600_NS6detail15normal_iteratorINSA_10device_ptrIyEEEEPS6_SG_NS0_5tupleIJSF_S6_EEENSH_IJSG_SG_EEES6_PlJNSB_9not_fun_tINSB_10functional5actorINSM_9compositeIJNSM_27transparent_binary_operatorINSA_8equal_toIvEEEENSN_INSM_8argumentILj0EEEEENSM_5valueIyEEEEEEEEEEEE10hipError_tPvRmT3_T4_T5_T6_T7_T9_mT8_P12ihipStream_tbDpT10_ENKUlT_T0_E_clISt17integral_constantIbLb1EES1K_EEDaS1F_S1G_EUlS1F_E_NS1_11comp_targetILNS1_3genE5ELNS1_11target_archE942ELNS1_3gpuE9ELNS1_3repE0EEENS1_30default_config_static_selectorELNS0_4arch9wavefront6targetE0EEEvT1_.num_vgpr, 0
	.set _ZN7rocprim17ROCPRIM_400000_NS6detail17trampoline_kernelINS0_14default_configENS1_25partition_config_selectorILNS1_17partition_subalgoE6EyNS0_10empty_typeEbEEZZNS1_14partition_implILS5_6ELb0ES3_mN6thrust23THRUST_200600_302600_NS6detail15normal_iteratorINSA_10device_ptrIyEEEEPS6_SG_NS0_5tupleIJSF_S6_EEENSH_IJSG_SG_EEES6_PlJNSB_9not_fun_tINSB_10functional5actorINSM_9compositeIJNSM_27transparent_binary_operatorINSA_8equal_toIvEEEENSN_INSM_8argumentILj0EEEEENSM_5valueIyEEEEEEEEEEEE10hipError_tPvRmT3_T4_T5_T6_T7_T9_mT8_P12ihipStream_tbDpT10_ENKUlT_T0_E_clISt17integral_constantIbLb1EES1K_EEDaS1F_S1G_EUlS1F_E_NS1_11comp_targetILNS1_3genE5ELNS1_11target_archE942ELNS1_3gpuE9ELNS1_3repE0EEENS1_30default_config_static_selectorELNS0_4arch9wavefront6targetE0EEEvT1_.num_agpr, 0
	.set _ZN7rocprim17ROCPRIM_400000_NS6detail17trampoline_kernelINS0_14default_configENS1_25partition_config_selectorILNS1_17partition_subalgoE6EyNS0_10empty_typeEbEEZZNS1_14partition_implILS5_6ELb0ES3_mN6thrust23THRUST_200600_302600_NS6detail15normal_iteratorINSA_10device_ptrIyEEEEPS6_SG_NS0_5tupleIJSF_S6_EEENSH_IJSG_SG_EEES6_PlJNSB_9not_fun_tINSB_10functional5actorINSM_9compositeIJNSM_27transparent_binary_operatorINSA_8equal_toIvEEEENSN_INSM_8argumentILj0EEEEENSM_5valueIyEEEEEEEEEEEE10hipError_tPvRmT3_T4_T5_T6_T7_T9_mT8_P12ihipStream_tbDpT10_ENKUlT_T0_E_clISt17integral_constantIbLb1EES1K_EEDaS1F_S1G_EUlS1F_E_NS1_11comp_targetILNS1_3genE5ELNS1_11target_archE942ELNS1_3gpuE9ELNS1_3repE0EEENS1_30default_config_static_selectorELNS0_4arch9wavefront6targetE0EEEvT1_.numbered_sgpr, 0
	.set _ZN7rocprim17ROCPRIM_400000_NS6detail17trampoline_kernelINS0_14default_configENS1_25partition_config_selectorILNS1_17partition_subalgoE6EyNS0_10empty_typeEbEEZZNS1_14partition_implILS5_6ELb0ES3_mN6thrust23THRUST_200600_302600_NS6detail15normal_iteratorINSA_10device_ptrIyEEEEPS6_SG_NS0_5tupleIJSF_S6_EEENSH_IJSG_SG_EEES6_PlJNSB_9not_fun_tINSB_10functional5actorINSM_9compositeIJNSM_27transparent_binary_operatorINSA_8equal_toIvEEEENSN_INSM_8argumentILj0EEEEENSM_5valueIyEEEEEEEEEEEE10hipError_tPvRmT3_T4_T5_T6_T7_T9_mT8_P12ihipStream_tbDpT10_ENKUlT_T0_E_clISt17integral_constantIbLb1EES1K_EEDaS1F_S1G_EUlS1F_E_NS1_11comp_targetILNS1_3genE5ELNS1_11target_archE942ELNS1_3gpuE9ELNS1_3repE0EEENS1_30default_config_static_selectorELNS0_4arch9wavefront6targetE0EEEvT1_.num_named_barrier, 0
	.set _ZN7rocprim17ROCPRIM_400000_NS6detail17trampoline_kernelINS0_14default_configENS1_25partition_config_selectorILNS1_17partition_subalgoE6EyNS0_10empty_typeEbEEZZNS1_14partition_implILS5_6ELb0ES3_mN6thrust23THRUST_200600_302600_NS6detail15normal_iteratorINSA_10device_ptrIyEEEEPS6_SG_NS0_5tupleIJSF_S6_EEENSH_IJSG_SG_EEES6_PlJNSB_9not_fun_tINSB_10functional5actorINSM_9compositeIJNSM_27transparent_binary_operatorINSA_8equal_toIvEEEENSN_INSM_8argumentILj0EEEEENSM_5valueIyEEEEEEEEEEEE10hipError_tPvRmT3_T4_T5_T6_T7_T9_mT8_P12ihipStream_tbDpT10_ENKUlT_T0_E_clISt17integral_constantIbLb1EES1K_EEDaS1F_S1G_EUlS1F_E_NS1_11comp_targetILNS1_3genE5ELNS1_11target_archE942ELNS1_3gpuE9ELNS1_3repE0EEENS1_30default_config_static_selectorELNS0_4arch9wavefront6targetE0EEEvT1_.private_seg_size, 0
	.set _ZN7rocprim17ROCPRIM_400000_NS6detail17trampoline_kernelINS0_14default_configENS1_25partition_config_selectorILNS1_17partition_subalgoE6EyNS0_10empty_typeEbEEZZNS1_14partition_implILS5_6ELb0ES3_mN6thrust23THRUST_200600_302600_NS6detail15normal_iteratorINSA_10device_ptrIyEEEEPS6_SG_NS0_5tupleIJSF_S6_EEENSH_IJSG_SG_EEES6_PlJNSB_9not_fun_tINSB_10functional5actorINSM_9compositeIJNSM_27transparent_binary_operatorINSA_8equal_toIvEEEENSN_INSM_8argumentILj0EEEEENSM_5valueIyEEEEEEEEEEEE10hipError_tPvRmT3_T4_T5_T6_T7_T9_mT8_P12ihipStream_tbDpT10_ENKUlT_T0_E_clISt17integral_constantIbLb1EES1K_EEDaS1F_S1G_EUlS1F_E_NS1_11comp_targetILNS1_3genE5ELNS1_11target_archE942ELNS1_3gpuE9ELNS1_3repE0EEENS1_30default_config_static_selectorELNS0_4arch9wavefront6targetE0EEEvT1_.uses_vcc, 0
	.set _ZN7rocprim17ROCPRIM_400000_NS6detail17trampoline_kernelINS0_14default_configENS1_25partition_config_selectorILNS1_17partition_subalgoE6EyNS0_10empty_typeEbEEZZNS1_14partition_implILS5_6ELb0ES3_mN6thrust23THRUST_200600_302600_NS6detail15normal_iteratorINSA_10device_ptrIyEEEEPS6_SG_NS0_5tupleIJSF_S6_EEENSH_IJSG_SG_EEES6_PlJNSB_9not_fun_tINSB_10functional5actorINSM_9compositeIJNSM_27transparent_binary_operatorINSA_8equal_toIvEEEENSN_INSM_8argumentILj0EEEEENSM_5valueIyEEEEEEEEEEEE10hipError_tPvRmT3_T4_T5_T6_T7_T9_mT8_P12ihipStream_tbDpT10_ENKUlT_T0_E_clISt17integral_constantIbLb1EES1K_EEDaS1F_S1G_EUlS1F_E_NS1_11comp_targetILNS1_3genE5ELNS1_11target_archE942ELNS1_3gpuE9ELNS1_3repE0EEENS1_30default_config_static_selectorELNS0_4arch9wavefront6targetE0EEEvT1_.uses_flat_scratch, 0
	.set _ZN7rocprim17ROCPRIM_400000_NS6detail17trampoline_kernelINS0_14default_configENS1_25partition_config_selectorILNS1_17partition_subalgoE6EyNS0_10empty_typeEbEEZZNS1_14partition_implILS5_6ELb0ES3_mN6thrust23THRUST_200600_302600_NS6detail15normal_iteratorINSA_10device_ptrIyEEEEPS6_SG_NS0_5tupleIJSF_S6_EEENSH_IJSG_SG_EEES6_PlJNSB_9not_fun_tINSB_10functional5actorINSM_9compositeIJNSM_27transparent_binary_operatorINSA_8equal_toIvEEEENSN_INSM_8argumentILj0EEEEENSM_5valueIyEEEEEEEEEEEE10hipError_tPvRmT3_T4_T5_T6_T7_T9_mT8_P12ihipStream_tbDpT10_ENKUlT_T0_E_clISt17integral_constantIbLb1EES1K_EEDaS1F_S1G_EUlS1F_E_NS1_11comp_targetILNS1_3genE5ELNS1_11target_archE942ELNS1_3gpuE9ELNS1_3repE0EEENS1_30default_config_static_selectorELNS0_4arch9wavefront6targetE0EEEvT1_.has_dyn_sized_stack, 0
	.set _ZN7rocprim17ROCPRIM_400000_NS6detail17trampoline_kernelINS0_14default_configENS1_25partition_config_selectorILNS1_17partition_subalgoE6EyNS0_10empty_typeEbEEZZNS1_14partition_implILS5_6ELb0ES3_mN6thrust23THRUST_200600_302600_NS6detail15normal_iteratorINSA_10device_ptrIyEEEEPS6_SG_NS0_5tupleIJSF_S6_EEENSH_IJSG_SG_EEES6_PlJNSB_9not_fun_tINSB_10functional5actorINSM_9compositeIJNSM_27transparent_binary_operatorINSA_8equal_toIvEEEENSN_INSM_8argumentILj0EEEEENSM_5valueIyEEEEEEEEEEEE10hipError_tPvRmT3_T4_T5_T6_T7_T9_mT8_P12ihipStream_tbDpT10_ENKUlT_T0_E_clISt17integral_constantIbLb1EES1K_EEDaS1F_S1G_EUlS1F_E_NS1_11comp_targetILNS1_3genE5ELNS1_11target_archE942ELNS1_3gpuE9ELNS1_3repE0EEENS1_30default_config_static_selectorELNS0_4arch9wavefront6targetE0EEEvT1_.has_recursion, 0
	.set _ZN7rocprim17ROCPRIM_400000_NS6detail17trampoline_kernelINS0_14default_configENS1_25partition_config_selectorILNS1_17partition_subalgoE6EyNS0_10empty_typeEbEEZZNS1_14partition_implILS5_6ELb0ES3_mN6thrust23THRUST_200600_302600_NS6detail15normal_iteratorINSA_10device_ptrIyEEEEPS6_SG_NS0_5tupleIJSF_S6_EEENSH_IJSG_SG_EEES6_PlJNSB_9not_fun_tINSB_10functional5actorINSM_9compositeIJNSM_27transparent_binary_operatorINSA_8equal_toIvEEEENSN_INSM_8argumentILj0EEEEENSM_5valueIyEEEEEEEEEEEE10hipError_tPvRmT3_T4_T5_T6_T7_T9_mT8_P12ihipStream_tbDpT10_ENKUlT_T0_E_clISt17integral_constantIbLb1EES1K_EEDaS1F_S1G_EUlS1F_E_NS1_11comp_targetILNS1_3genE5ELNS1_11target_archE942ELNS1_3gpuE9ELNS1_3repE0EEENS1_30default_config_static_selectorELNS0_4arch9wavefront6targetE0EEEvT1_.has_indirect_call, 0
	.section	.AMDGPU.csdata,"",@progbits
; Kernel info:
; codeLenInByte = 0
; TotalNumSgprs: 0
; NumVgprs: 0
; ScratchSize: 0
; MemoryBound: 0
; FloatMode: 240
; IeeeMode: 1
; LDSByteSize: 0 bytes/workgroup (compile time only)
; SGPRBlocks: 0
; VGPRBlocks: 0
; NumSGPRsForWavesPerEU: 1
; NumVGPRsForWavesPerEU: 1
; Occupancy: 16
; WaveLimiterHint : 0
; COMPUTE_PGM_RSRC2:SCRATCH_EN: 0
; COMPUTE_PGM_RSRC2:USER_SGPR: 2
; COMPUTE_PGM_RSRC2:TRAP_HANDLER: 0
; COMPUTE_PGM_RSRC2:TGID_X_EN: 1
; COMPUTE_PGM_RSRC2:TGID_Y_EN: 0
; COMPUTE_PGM_RSRC2:TGID_Z_EN: 0
; COMPUTE_PGM_RSRC2:TIDIG_COMP_CNT: 0
	.section	.text._ZN7rocprim17ROCPRIM_400000_NS6detail17trampoline_kernelINS0_14default_configENS1_25partition_config_selectorILNS1_17partition_subalgoE6EyNS0_10empty_typeEbEEZZNS1_14partition_implILS5_6ELb0ES3_mN6thrust23THRUST_200600_302600_NS6detail15normal_iteratorINSA_10device_ptrIyEEEEPS6_SG_NS0_5tupleIJSF_S6_EEENSH_IJSG_SG_EEES6_PlJNSB_9not_fun_tINSB_10functional5actorINSM_9compositeIJNSM_27transparent_binary_operatorINSA_8equal_toIvEEEENSN_INSM_8argumentILj0EEEEENSM_5valueIyEEEEEEEEEEEE10hipError_tPvRmT3_T4_T5_T6_T7_T9_mT8_P12ihipStream_tbDpT10_ENKUlT_T0_E_clISt17integral_constantIbLb1EES1K_EEDaS1F_S1G_EUlS1F_E_NS1_11comp_targetILNS1_3genE4ELNS1_11target_archE910ELNS1_3gpuE8ELNS1_3repE0EEENS1_30default_config_static_selectorELNS0_4arch9wavefront6targetE0EEEvT1_,"axG",@progbits,_ZN7rocprim17ROCPRIM_400000_NS6detail17trampoline_kernelINS0_14default_configENS1_25partition_config_selectorILNS1_17partition_subalgoE6EyNS0_10empty_typeEbEEZZNS1_14partition_implILS5_6ELb0ES3_mN6thrust23THRUST_200600_302600_NS6detail15normal_iteratorINSA_10device_ptrIyEEEEPS6_SG_NS0_5tupleIJSF_S6_EEENSH_IJSG_SG_EEES6_PlJNSB_9not_fun_tINSB_10functional5actorINSM_9compositeIJNSM_27transparent_binary_operatorINSA_8equal_toIvEEEENSN_INSM_8argumentILj0EEEEENSM_5valueIyEEEEEEEEEEEE10hipError_tPvRmT3_T4_T5_T6_T7_T9_mT8_P12ihipStream_tbDpT10_ENKUlT_T0_E_clISt17integral_constantIbLb1EES1K_EEDaS1F_S1G_EUlS1F_E_NS1_11comp_targetILNS1_3genE4ELNS1_11target_archE910ELNS1_3gpuE8ELNS1_3repE0EEENS1_30default_config_static_selectorELNS0_4arch9wavefront6targetE0EEEvT1_,comdat
	.protected	_ZN7rocprim17ROCPRIM_400000_NS6detail17trampoline_kernelINS0_14default_configENS1_25partition_config_selectorILNS1_17partition_subalgoE6EyNS0_10empty_typeEbEEZZNS1_14partition_implILS5_6ELb0ES3_mN6thrust23THRUST_200600_302600_NS6detail15normal_iteratorINSA_10device_ptrIyEEEEPS6_SG_NS0_5tupleIJSF_S6_EEENSH_IJSG_SG_EEES6_PlJNSB_9not_fun_tINSB_10functional5actorINSM_9compositeIJNSM_27transparent_binary_operatorINSA_8equal_toIvEEEENSN_INSM_8argumentILj0EEEEENSM_5valueIyEEEEEEEEEEEE10hipError_tPvRmT3_T4_T5_T6_T7_T9_mT8_P12ihipStream_tbDpT10_ENKUlT_T0_E_clISt17integral_constantIbLb1EES1K_EEDaS1F_S1G_EUlS1F_E_NS1_11comp_targetILNS1_3genE4ELNS1_11target_archE910ELNS1_3gpuE8ELNS1_3repE0EEENS1_30default_config_static_selectorELNS0_4arch9wavefront6targetE0EEEvT1_ ; -- Begin function _ZN7rocprim17ROCPRIM_400000_NS6detail17trampoline_kernelINS0_14default_configENS1_25partition_config_selectorILNS1_17partition_subalgoE6EyNS0_10empty_typeEbEEZZNS1_14partition_implILS5_6ELb0ES3_mN6thrust23THRUST_200600_302600_NS6detail15normal_iteratorINSA_10device_ptrIyEEEEPS6_SG_NS0_5tupleIJSF_S6_EEENSH_IJSG_SG_EEES6_PlJNSB_9not_fun_tINSB_10functional5actorINSM_9compositeIJNSM_27transparent_binary_operatorINSA_8equal_toIvEEEENSN_INSM_8argumentILj0EEEEENSM_5valueIyEEEEEEEEEEEE10hipError_tPvRmT3_T4_T5_T6_T7_T9_mT8_P12ihipStream_tbDpT10_ENKUlT_T0_E_clISt17integral_constantIbLb1EES1K_EEDaS1F_S1G_EUlS1F_E_NS1_11comp_targetILNS1_3genE4ELNS1_11target_archE910ELNS1_3gpuE8ELNS1_3repE0EEENS1_30default_config_static_selectorELNS0_4arch9wavefront6targetE0EEEvT1_
	.globl	_ZN7rocprim17ROCPRIM_400000_NS6detail17trampoline_kernelINS0_14default_configENS1_25partition_config_selectorILNS1_17partition_subalgoE6EyNS0_10empty_typeEbEEZZNS1_14partition_implILS5_6ELb0ES3_mN6thrust23THRUST_200600_302600_NS6detail15normal_iteratorINSA_10device_ptrIyEEEEPS6_SG_NS0_5tupleIJSF_S6_EEENSH_IJSG_SG_EEES6_PlJNSB_9not_fun_tINSB_10functional5actorINSM_9compositeIJNSM_27transparent_binary_operatorINSA_8equal_toIvEEEENSN_INSM_8argumentILj0EEEEENSM_5valueIyEEEEEEEEEEEE10hipError_tPvRmT3_T4_T5_T6_T7_T9_mT8_P12ihipStream_tbDpT10_ENKUlT_T0_E_clISt17integral_constantIbLb1EES1K_EEDaS1F_S1G_EUlS1F_E_NS1_11comp_targetILNS1_3genE4ELNS1_11target_archE910ELNS1_3gpuE8ELNS1_3repE0EEENS1_30default_config_static_selectorELNS0_4arch9wavefront6targetE0EEEvT1_
	.p2align	8
	.type	_ZN7rocprim17ROCPRIM_400000_NS6detail17trampoline_kernelINS0_14default_configENS1_25partition_config_selectorILNS1_17partition_subalgoE6EyNS0_10empty_typeEbEEZZNS1_14partition_implILS5_6ELb0ES3_mN6thrust23THRUST_200600_302600_NS6detail15normal_iteratorINSA_10device_ptrIyEEEEPS6_SG_NS0_5tupleIJSF_S6_EEENSH_IJSG_SG_EEES6_PlJNSB_9not_fun_tINSB_10functional5actorINSM_9compositeIJNSM_27transparent_binary_operatorINSA_8equal_toIvEEEENSN_INSM_8argumentILj0EEEEENSM_5valueIyEEEEEEEEEEEE10hipError_tPvRmT3_T4_T5_T6_T7_T9_mT8_P12ihipStream_tbDpT10_ENKUlT_T0_E_clISt17integral_constantIbLb1EES1K_EEDaS1F_S1G_EUlS1F_E_NS1_11comp_targetILNS1_3genE4ELNS1_11target_archE910ELNS1_3gpuE8ELNS1_3repE0EEENS1_30default_config_static_selectorELNS0_4arch9wavefront6targetE0EEEvT1_,@function
_ZN7rocprim17ROCPRIM_400000_NS6detail17trampoline_kernelINS0_14default_configENS1_25partition_config_selectorILNS1_17partition_subalgoE6EyNS0_10empty_typeEbEEZZNS1_14partition_implILS5_6ELb0ES3_mN6thrust23THRUST_200600_302600_NS6detail15normal_iteratorINSA_10device_ptrIyEEEEPS6_SG_NS0_5tupleIJSF_S6_EEENSH_IJSG_SG_EEES6_PlJNSB_9not_fun_tINSB_10functional5actorINSM_9compositeIJNSM_27transparent_binary_operatorINSA_8equal_toIvEEEENSN_INSM_8argumentILj0EEEEENSM_5valueIyEEEEEEEEEEEE10hipError_tPvRmT3_T4_T5_T6_T7_T9_mT8_P12ihipStream_tbDpT10_ENKUlT_T0_E_clISt17integral_constantIbLb1EES1K_EEDaS1F_S1G_EUlS1F_E_NS1_11comp_targetILNS1_3genE4ELNS1_11target_archE910ELNS1_3gpuE8ELNS1_3repE0EEENS1_30default_config_static_selectorELNS0_4arch9wavefront6targetE0EEEvT1_: ; @_ZN7rocprim17ROCPRIM_400000_NS6detail17trampoline_kernelINS0_14default_configENS1_25partition_config_selectorILNS1_17partition_subalgoE6EyNS0_10empty_typeEbEEZZNS1_14partition_implILS5_6ELb0ES3_mN6thrust23THRUST_200600_302600_NS6detail15normal_iteratorINSA_10device_ptrIyEEEEPS6_SG_NS0_5tupleIJSF_S6_EEENSH_IJSG_SG_EEES6_PlJNSB_9not_fun_tINSB_10functional5actorINSM_9compositeIJNSM_27transparent_binary_operatorINSA_8equal_toIvEEEENSN_INSM_8argumentILj0EEEEENSM_5valueIyEEEEEEEEEEEE10hipError_tPvRmT3_T4_T5_T6_T7_T9_mT8_P12ihipStream_tbDpT10_ENKUlT_T0_E_clISt17integral_constantIbLb1EES1K_EEDaS1F_S1G_EUlS1F_E_NS1_11comp_targetILNS1_3genE4ELNS1_11target_archE910ELNS1_3gpuE8ELNS1_3repE0EEENS1_30default_config_static_selectorELNS0_4arch9wavefront6targetE0EEEvT1_
; %bb.0:
	.section	.rodata,"a",@progbits
	.p2align	6, 0x0
	.amdhsa_kernel _ZN7rocprim17ROCPRIM_400000_NS6detail17trampoline_kernelINS0_14default_configENS1_25partition_config_selectorILNS1_17partition_subalgoE6EyNS0_10empty_typeEbEEZZNS1_14partition_implILS5_6ELb0ES3_mN6thrust23THRUST_200600_302600_NS6detail15normal_iteratorINSA_10device_ptrIyEEEEPS6_SG_NS0_5tupleIJSF_S6_EEENSH_IJSG_SG_EEES6_PlJNSB_9not_fun_tINSB_10functional5actorINSM_9compositeIJNSM_27transparent_binary_operatorINSA_8equal_toIvEEEENSN_INSM_8argumentILj0EEEEENSM_5valueIyEEEEEEEEEEEE10hipError_tPvRmT3_T4_T5_T6_T7_T9_mT8_P12ihipStream_tbDpT10_ENKUlT_T0_E_clISt17integral_constantIbLb1EES1K_EEDaS1F_S1G_EUlS1F_E_NS1_11comp_targetILNS1_3genE4ELNS1_11target_archE910ELNS1_3gpuE8ELNS1_3repE0EEENS1_30default_config_static_selectorELNS0_4arch9wavefront6targetE0EEEvT1_
		.amdhsa_group_segment_fixed_size 0
		.amdhsa_private_segment_fixed_size 0
		.amdhsa_kernarg_size 136
		.amdhsa_user_sgpr_count 2
		.amdhsa_user_sgpr_dispatch_ptr 0
		.amdhsa_user_sgpr_queue_ptr 0
		.amdhsa_user_sgpr_kernarg_segment_ptr 1
		.amdhsa_user_sgpr_dispatch_id 0
		.amdhsa_user_sgpr_private_segment_size 0
		.amdhsa_wavefront_size32 1
		.amdhsa_uses_dynamic_stack 0
		.amdhsa_enable_private_segment 0
		.amdhsa_system_sgpr_workgroup_id_x 1
		.amdhsa_system_sgpr_workgroup_id_y 0
		.amdhsa_system_sgpr_workgroup_id_z 0
		.amdhsa_system_sgpr_workgroup_info 0
		.amdhsa_system_vgpr_workitem_id 0
		.amdhsa_next_free_vgpr 1
		.amdhsa_next_free_sgpr 1
		.amdhsa_reserve_vcc 0
		.amdhsa_float_round_mode_32 0
		.amdhsa_float_round_mode_16_64 0
		.amdhsa_float_denorm_mode_32 3
		.amdhsa_float_denorm_mode_16_64 3
		.amdhsa_fp16_overflow 0
		.amdhsa_workgroup_processor_mode 1
		.amdhsa_memory_ordered 1
		.amdhsa_forward_progress 1
		.amdhsa_inst_pref_size 0
		.amdhsa_round_robin_scheduling 0
		.amdhsa_exception_fp_ieee_invalid_op 0
		.amdhsa_exception_fp_denorm_src 0
		.amdhsa_exception_fp_ieee_div_zero 0
		.amdhsa_exception_fp_ieee_overflow 0
		.amdhsa_exception_fp_ieee_underflow 0
		.amdhsa_exception_fp_ieee_inexact 0
		.amdhsa_exception_int_div_zero 0
	.end_amdhsa_kernel
	.section	.text._ZN7rocprim17ROCPRIM_400000_NS6detail17trampoline_kernelINS0_14default_configENS1_25partition_config_selectorILNS1_17partition_subalgoE6EyNS0_10empty_typeEbEEZZNS1_14partition_implILS5_6ELb0ES3_mN6thrust23THRUST_200600_302600_NS6detail15normal_iteratorINSA_10device_ptrIyEEEEPS6_SG_NS0_5tupleIJSF_S6_EEENSH_IJSG_SG_EEES6_PlJNSB_9not_fun_tINSB_10functional5actorINSM_9compositeIJNSM_27transparent_binary_operatorINSA_8equal_toIvEEEENSN_INSM_8argumentILj0EEEEENSM_5valueIyEEEEEEEEEEEE10hipError_tPvRmT3_T4_T5_T6_T7_T9_mT8_P12ihipStream_tbDpT10_ENKUlT_T0_E_clISt17integral_constantIbLb1EES1K_EEDaS1F_S1G_EUlS1F_E_NS1_11comp_targetILNS1_3genE4ELNS1_11target_archE910ELNS1_3gpuE8ELNS1_3repE0EEENS1_30default_config_static_selectorELNS0_4arch9wavefront6targetE0EEEvT1_,"axG",@progbits,_ZN7rocprim17ROCPRIM_400000_NS6detail17trampoline_kernelINS0_14default_configENS1_25partition_config_selectorILNS1_17partition_subalgoE6EyNS0_10empty_typeEbEEZZNS1_14partition_implILS5_6ELb0ES3_mN6thrust23THRUST_200600_302600_NS6detail15normal_iteratorINSA_10device_ptrIyEEEEPS6_SG_NS0_5tupleIJSF_S6_EEENSH_IJSG_SG_EEES6_PlJNSB_9not_fun_tINSB_10functional5actorINSM_9compositeIJNSM_27transparent_binary_operatorINSA_8equal_toIvEEEENSN_INSM_8argumentILj0EEEEENSM_5valueIyEEEEEEEEEEEE10hipError_tPvRmT3_T4_T5_T6_T7_T9_mT8_P12ihipStream_tbDpT10_ENKUlT_T0_E_clISt17integral_constantIbLb1EES1K_EEDaS1F_S1G_EUlS1F_E_NS1_11comp_targetILNS1_3genE4ELNS1_11target_archE910ELNS1_3gpuE8ELNS1_3repE0EEENS1_30default_config_static_selectorELNS0_4arch9wavefront6targetE0EEEvT1_,comdat
.Lfunc_end90:
	.size	_ZN7rocprim17ROCPRIM_400000_NS6detail17trampoline_kernelINS0_14default_configENS1_25partition_config_selectorILNS1_17partition_subalgoE6EyNS0_10empty_typeEbEEZZNS1_14partition_implILS5_6ELb0ES3_mN6thrust23THRUST_200600_302600_NS6detail15normal_iteratorINSA_10device_ptrIyEEEEPS6_SG_NS0_5tupleIJSF_S6_EEENSH_IJSG_SG_EEES6_PlJNSB_9not_fun_tINSB_10functional5actorINSM_9compositeIJNSM_27transparent_binary_operatorINSA_8equal_toIvEEEENSN_INSM_8argumentILj0EEEEENSM_5valueIyEEEEEEEEEEEE10hipError_tPvRmT3_T4_T5_T6_T7_T9_mT8_P12ihipStream_tbDpT10_ENKUlT_T0_E_clISt17integral_constantIbLb1EES1K_EEDaS1F_S1G_EUlS1F_E_NS1_11comp_targetILNS1_3genE4ELNS1_11target_archE910ELNS1_3gpuE8ELNS1_3repE0EEENS1_30default_config_static_selectorELNS0_4arch9wavefront6targetE0EEEvT1_, .Lfunc_end90-_ZN7rocprim17ROCPRIM_400000_NS6detail17trampoline_kernelINS0_14default_configENS1_25partition_config_selectorILNS1_17partition_subalgoE6EyNS0_10empty_typeEbEEZZNS1_14partition_implILS5_6ELb0ES3_mN6thrust23THRUST_200600_302600_NS6detail15normal_iteratorINSA_10device_ptrIyEEEEPS6_SG_NS0_5tupleIJSF_S6_EEENSH_IJSG_SG_EEES6_PlJNSB_9not_fun_tINSB_10functional5actorINSM_9compositeIJNSM_27transparent_binary_operatorINSA_8equal_toIvEEEENSN_INSM_8argumentILj0EEEEENSM_5valueIyEEEEEEEEEEEE10hipError_tPvRmT3_T4_T5_T6_T7_T9_mT8_P12ihipStream_tbDpT10_ENKUlT_T0_E_clISt17integral_constantIbLb1EES1K_EEDaS1F_S1G_EUlS1F_E_NS1_11comp_targetILNS1_3genE4ELNS1_11target_archE910ELNS1_3gpuE8ELNS1_3repE0EEENS1_30default_config_static_selectorELNS0_4arch9wavefront6targetE0EEEvT1_
                                        ; -- End function
	.set _ZN7rocprim17ROCPRIM_400000_NS6detail17trampoline_kernelINS0_14default_configENS1_25partition_config_selectorILNS1_17partition_subalgoE6EyNS0_10empty_typeEbEEZZNS1_14partition_implILS5_6ELb0ES3_mN6thrust23THRUST_200600_302600_NS6detail15normal_iteratorINSA_10device_ptrIyEEEEPS6_SG_NS0_5tupleIJSF_S6_EEENSH_IJSG_SG_EEES6_PlJNSB_9not_fun_tINSB_10functional5actorINSM_9compositeIJNSM_27transparent_binary_operatorINSA_8equal_toIvEEEENSN_INSM_8argumentILj0EEEEENSM_5valueIyEEEEEEEEEEEE10hipError_tPvRmT3_T4_T5_T6_T7_T9_mT8_P12ihipStream_tbDpT10_ENKUlT_T0_E_clISt17integral_constantIbLb1EES1K_EEDaS1F_S1G_EUlS1F_E_NS1_11comp_targetILNS1_3genE4ELNS1_11target_archE910ELNS1_3gpuE8ELNS1_3repE0EEENS1_30default_config_static_selectorELNS0_4arch9wavefront6targetE0EEEvT1_.num_vgpr, 0
	.set _ZN7rocprim17ROCPRIM_400000_NS6detail17trampoline_kernelINS0_14default_configENS1_25partition_config_selectorILNS1_17partition_subalgoE6EyNS0_10empty_typeEbEEZZNS1_14partition_implILS5_6ELb0ES3_mN6thrust23THRUST_200600_302600_NS6detail15normal_iteratorINSA_10device_ptrIyEEEEPS6_SG_NS0_5tupleIJSF_S6_EEENSH_IJSG_SG_EEES6_PlJNSB_9not_fun_tINSB_10functional5actorINSM_9compositeIJNSM_27transparent_binary_operatorINSA_8equal_toIvEEEENSN_INSM_8argumentILj0EEEEENSM_5valueIyEEEEEEEEEEEE10hipError_tPvRmT3_T4_T5_T6_T7_T9_mT8_P12ihipStream_tbDpT10_ENKUlT_T0_E_clISt17integral_constantIbLb1EES1K_EEDaS1F_S1G_EUlS1F_E_NS1_11comp_targetILNS1_3genE4ELNS1_11target_archE910ELNS1_3gpuE8ELNS1_3repE0EEENS1_30default_config_static_selectorELNS0_4arch9wavefront6targetE0EEEvT1_.num_agpr, 0
	.set _ZN7rocprim17ROCPRIM_400000_NS6detail17trampoline_kernelINS0_14default_configENS1_25partition_config_selectorILNS1_17partition_subalgoE6EyNS0_10empty_typeEbEEZZNS1_14partition_implILS5_6ELb0ES3_mN6thrust23THRUST_200600_302600_NS6detail15normal_iteratorINSA_10device_ptrIyEEEEPS6_SG_NS0_5tupleIJSF_S6_EEENSH_IJSG_SG_EEES6_PlJNSB_9not_fun_tINSB_10functional5actorINSM_9compositeIJNSM_27transparent_binary_operatorINSA_8equal_toIvEEEENSN_INSM_8argumentILj0EEEEENSM_5valueIyEEEEEEEEEEEE10hipError_tPvRmT3_T4_T5_T6_T7_T9_mT8_P12ihipStream_tbDpT10_ENKUlT_T0_E_clISt17integral_constantIbLb1EES1K_EEDaS1F_S1G_EUlS1F_E_NS1_11comp_targetILNS1_3genE4ELNS1_11target_archE910ELNS1_3gpuE8ELNS1_3repE0EEENS1_30default_config_static_selectorELNS0_4arch9wavefront6targetE0EEEvT1_.numbered_sgpr, 0
	.set _ZN7rocprim17ROCPRIM_400000_NS6detail17trampoline_kernelINS0_14default_configENS1_25partition_config_selectorILNS1_17partition_subalgoE6EyNS0_10empty_typeEbEEZZNS1_14partition_implILS5_6ELb0ES3_mN6thrust23THRUST_200600_302600_NS6detail15normal_iteratorINSA_10device_ptrIyEEEEPS6_SG_NS0_5tupleIJSF_S6_EEENSH_IJSG_SG_EEES6_PlJNSB_9not_fun_tINSB_10functional5actorINSM_9compositeIJNSM_27transparent_binary_operatorINSA_8equal_toIvEEEENSN_INSM_8argumentILj0EEEEENSM_5valueIyEEEEEEEEEEEE10hipError_tPvRmT3_T4_T5_T6_T7_T9_mT8_P12ihipStream_tbDpT10_ENKUlT_T0_E_clISt17integral_constantIbLb1EES1K_EEDaS1F_S1G_EUlS1F_E_NS1_11comp_targetILNS1_3genE4ELNS1_11target_archE910ELNS1_3gpuE8ELNS1_3repE0EEENS1_30default_config_static_selectorELNS0_4arch9wavefront6targetE0EEEvT1_.num_named_barrier, 0
	.set _ZN7rocprim17ROCPRIM_400000_NS6detail17trampoline_kernelINS0_14default_configENS1_25partition_config_selectorILNS1_17partition_subalgoE6EyNS0_10empty_typeEbEEZZNS1_14partition_implILS5_6ELb0ES3_mN6thrust23THRUST_200600_302600_NS6detail15normal_iteratorINSA_10device_ptrIyEEEEPS6_SG_NS0_5tupleIJSF_S6_EEENSH_IJSG_SG_EEES6_PlJNSB_9not_fun_tINSB_10functional5actorINSM_9compositeIJNSM_27transparent_binary_operatorINSA_8equal_toIvEEEENSN_INSM_8argumentILj0EEEEENSM_5valueIyEEEEEEEEEEEE10hipError_tPvRmT3_T4_T5_T6_T7_T9_mT8_P12ihipStream_tbDpT10_ENKUlT_T0_E_clISt17integral_constantIbLb1EES1K_EEDaS1F_S1G_EUlS1F_E_NS1_11comp_targetILNS1_3genE4ELNS1_11target_archE910ELNS1_3gpuE8ELNS1_3repE0EEENS1_30default_config_static_selectorELNS0_4arch9wavefront6targetE0EEEvT1_.private_seg_size, 0
	.set _ZN7rocprim17ROCPRIM_400000_NS6detail17trampoline_kernelINS0_14default_configENS1_25partition_config_selectorILNS1_17partition_subalgoE6EyNS0_10empty_typeEbEEZZNS1_14partition_implILS5_6ELb0ES3_mN6thrust23THRUST_200600_302600_NS6detail15normal_iteratorINSA_10device_ptrIyEEEEPS6_SG_NS0_5tupleIJSF_S6_EEENSH_IJSG_SG_EEES6_PlJNSB_9not_fun_tINSB_10functional5actorINSM_9compositeIJNSM_27transparent_binary_operatorINSA_8equal_toIvEEEENSN_INSM_8argumentILj0EEEEENSM_5valueIyEEEEEEEEEEEE10hipError_tPvRmT3_T4_T5_T6_T7_T9_mT8_P12ihipStream_tbDpT10_ENKUlT_T0_E_clISt17integral_constantIbLb1EES1K_EEDaS1F_S1G_EUlS1F_E_NS1_11comp_targetILNS1_3genE4ELNS1_11target_archE910ELNS1_3gpuE8ELNS1_3repE0EEENS1_30default_config_static_selectorELNS0_4arch9wavefront6targetE0EEEvT1_.uses_vcc, 0
	.set _ZN7rocprim17ROCPRIM_400000_NS6detail17trampoline_kernelINS0_14default_configENS1_25partition_config_selectorILNS1_17partition_subalgoE6EyNS0_10empty_typeEbEEZZNS1_14partition_implILS5_6ELb0ES3_mN6thrust23THRUST_200600_302600_NS6detail15normal_iteratorINSA_10device_ptrIyEEEEPS6_SG_NS0_5tupleIJSF_S6_EEENSH_IJSG_SG_EEES6_PlJNSB_9not_fun_tINSB_10functional5actorINSM_9compositeIJNSM_27transparent_binary_operatorINSA_8equal_toIvEEEENSN_INSM_8argumentILj0EEEEENSM_5valueIyEEEEEEEEEEEE10hipError_tPvRmT3_T4_T5_T6_T7_T9_mT8_P12ihipStream_tbDpT10_ENKUlT_T0_E_clISt17integral_constantIbLb1EES1K_EEDaS1F_S1G_EUlS1F_E_NS1_11comp_targetILNS1_3genE4ELNS1_11target_archE910ELNS1_3gpuE8ELNS1_3repE0EEENS1_30default_config_static_selectorELNS0_4arch9wavefront6targetE0EEEvT1_.uses_flat_scratch, 0
	.set _ZN7rocprim17ROCPRIM_400000_NS6detail17trampoline_kernelINS0_14default_configENS1_25partition_config_selectorILNS1_17partition_subalgoE6EyNS0_10empty_typeEbEEZZNS1_14partition_implILS5_6ELb0ES3_mN6thrust23THRUST_200600_302600_NS6detail15normal_iteratorINSA_10device_ptrIyEEEEPS6_SG_NS0_5tupleIJSF_S6_EEENSH_IJSG_SG_EEES6_PlJNSB_9not_fun_tINSB_10functional5actorINSM_9compositeIJNSM_27transparent_binary_operatorINSA_8equal_toIvEEEENSN_INSM_8argumentILj0EEEEENSM_5valueIyEEEEEEEEEEEE10hipError_tPvRmT3_T4_T5_T6_T7_T9_mT8_P12ihipStream_tbDpT10_ENKUlT_T0_E_clISt17integral_constantIbLb1EES1K_EEDaS1F_S1G_EUlS1F_E_NS1_11comp_targetILNS1_3genE4ELNS1_11target_archE910ELNS1_3gpuE8ELNS1_3repE0EEENS1_30default_config_static_selectorELNS0_4arch9wavefront6targetE0EEEvT1_.has_dyn_sized_stack, 0
	.set _ZN7rocprim17ROCPRIM_400000_NS6detail17trampoline_kernelINS0_14default_configENS1_25partition_config_selectorILNS1_17partition_subalgoE6EyNS0_10empty_typeEbEEZZNS1_14partition_implILS5_6ELb0ES3_mN6thrust23THRUST_200600_302600_NS6detail15normal_iteratorINSA_10device_ptrIyEEEEPS6_SG_NS0_5tupleIJSF_S6_EEENSH_IJSG_SG_EEES6_PlJNSB_9not_fun_tINSB_10functional5actorINSM_9compositeIJNSM_27transparent_binary_operatorINSA_8equal_toIvEEEENSN_INSM_8argumentILj0EEEEENSM_5valueIyEEEEEEEEEEEE10hipError_tPvRmT3_T4_T5_T6_T7_T9_mT8_P12ihipStream_tbDpT10_ENKUlT_T0_E_clISt17integral_constantIbLb1EES1K_EEDaS1F_S1G_EUlS1F_E_NS1_11comp_targetILNS1_3genE4ELNS1_11target_archE910ELNS1_3gpuE8ELNS1_3repE0EEENS1_30default_config_static_selectorELNS0_4arch9wavefront6targetE0EEEvT1_.has_recursion, 0
	.set _ZN7rocprim17ROCPRIM_400000_NS6detail17trampoline_kernelINS0_14default_configENS1_25partition_config_selectorILNS1_17partition_subalgoE6EyNS0_10empty_typeEbEEZZNS1_14partition_implILS5_6ELb0ES3_mN6thrust23THRUST_200600_302600_NS6detail15normal_iteratorINSA_10device_ptrIyEEEEPS6_SG_NS0_5tupleIJSF_S6_EEENSH_IJSG_SG_EEES6_PlJNSB_9not_fun_tINSB_10functional5actorINSM_9compositeIJNSM_27transparent_binary_operatorINSA_8equal_toIvEEEENSN_INSM_8argumentILj0EEEEENSM_5valueIyEEEEEEEEEEEE10hipError_tPvRmT3_T4_T5_T6_T7_T9_mT8_P12ihipStream_tbDpT10_ENKUlT_T0_E_clISt17integral_constantIbLb1EES1K_EEDaS1F_S1G_EUlS1F_E_NS1_11comp_targetILNS1_3genE4ELNS1_11target_archE910ELNS1_3gpuE8ELNS1_3repE0EEENS1_30default_config_static_selectorELNS0_4arch9wavefront6targetE0EEEvT1_.has_indirect_call, 0
	.section	.AMDGPU.csdata,"",@progbits
; Kernel info:
; codeLenInByte = 0
; TotalNumSgprs: 0
; NumVgprs: 0
; ScratchSize: 0
; MemoryBound: 0
; FloatMode: 240
; IeeeMode: 1
; LDSByteSize: 0 bytes/workgroup (compile time only)
; SGPRBlocks: 0
; VGPRBlocks: 0
; NumSGPRsForWavesPerEU: 1
; NumVGPRsForWavesPerEU: 1
; Occupancy: 16
; WaveLimiterHint : 0
; COMPUTE_PGM_RSRC2:SCRATCH_EN: 0
; COMPUTE_PGM_RSRC2:USER_SGPR: 2
; COMPUTE_PGM_RSRC2:TRAP_HANDLER: 0
; COMPUTE_PGM_RSRC2:TGID_X_EN: 1
; COMPUTE_PGM_RSRC2:TGID_Y_EN: 0
; COMPUTE_PGM_RSRC2:TGID_Z_EN: 0
; COMPUTE_PGM_RSRC2:TIDIG_COMP_CNT: 0
	.section	.text._ZN7rocprim17ROCPRIM_400000_NS6detail17trampoline_kernelINS0_14default_configENS1_25partition_config_selectorILNS1_17partition_subalgoE6EyNS0_10empty_typeEbEEZZNS1_14partition_implILS5_6ELb0ES3_mN6thrust23THRUST_200600_302600_NS6detail15normal_iteratorINSA_10device_ptrIyEEEEPS6_SG_NS0_5tupleIJSF_S6_EEENSH_IJSG_SG_EEES6_PlJNSB_9not_fun_tINSB_10functional5actorINSM_9compositeIJNSM_27transparent_binary_operatorINSA_8equal_toIvEEEENSN_INSM_8argumentILj0EEEEENSM_5valueIyEEEEEEEEEEEE10hipError_tPvRmT3_T4_T5_T6_T7_T9_mT8_P12ihipStream_tbDpT10_ENKUlT_T0_E_clISt17integral_constantIbLb1EES1K_EEDaS1F_S1G_EUlS1F_E_NS1_11comp_targetILNS1_3genE3ELNS1_11target_archE908ELNS1_3gpuE7ELNS1_3repE0EEENS1_30default_config_static_selectorELNS0_4arch9wavefront6targetE0EEEvT1_,"axG",@progbits,_ZN7rocprim17ROCPRIM_400000_NS6detail17trampoline_kernelINS0_14default_configENS1_25partition_config_selectorILNS1_17partition_subalgoE6EyNS0_10empty_typeEbEEZZNS1_14partition_implILS5_6ELb0ES3_mN6thrust23THRUST_200600_302600_NS6detail15normal_iteratorINSA_10device_ptrIyEEEEPS6_SG_NS0_5tupleIJSF_S6_EEENSH_IJSG_SG_EEES6_PlJNSB_9not_fun_tINSB_10functional5actorINSM_9compositeIJNSM_27transparent_binary_operatorINSA_8equal_toIvEEEENSN_INSM_8argumentILj0EEEEENSM_5valueIyEEEEEEEEEEEE10hipError_tPvRmT3_T4_T5_T6_T7_T9_mT8_P12ihipStream_tbDpT10_ENKUlT_T0_E_clISt17integral_constantIbLb1EES1K_EEDaS1F_S1G_EUlS1F_E_NS1_11comp_targetILNS1_3genE3ELNS1_11target_archE908ELNS1_3gpuE7ELNS1_3repE0EEENS1_30default_config_static_selectorELNS0_4arch9wavefront6targetE0EEEvT1_,comdat
	.protected	_ZN7rocprim17ROCPRIM_400000_NS6detail17trampoline_kernelINS0_14default_configENS1_25partition_config_selectorILNS1_17partition_subalgoE6EyNS0_10empty_typeEbEEZZNS1_14partition_implILS5_6ELb0ES3_mN6thrust23THRUST_200600_302600_NS6detail15normal_iteratorINSA_10device_ptrIyEEEEPS6_SG_NS0_5tupleIJSF_S6_EEENSH_IJSG_SG_EEES6_PlJNSB_9not_fun_tINSB_10functional5actorINSM_9compositeIJNSM_27transparent_binary_operatorINSA_8equal_toIvEEEENSN_INSM_8argumentILj0EEEEENSM_5valueIyEEEEEEEEEEEE10hipError_tPvRmT3_T4_T5_T6_T7_T9_mT8_P12ihipStream_tbDpT10_ENKUlT_T0_E_clISt17integral_constantIbLb1EES1K_EEDaS1F_S1G_EUlS1F_E_NS1_11comp_targetILNS1_3genE3ELNS1_11target_archE908ELNS1_3gpuE7ELNS1_3repE0EEENS1_30default_config_static_selectorELNS0_4arch9wavefront6targetE0EEEvT1_ ; -- Begin function _ZN7rocprim17ROCPRIM_400000_NS6detail17trampoline_kernelINS0_14default_configENS1_25partition_config_selectorILNS1_17partition_subalgoE6EyNS0_10empty_typeEbEEZZNS1_14partition_implILS5_6ELb0ES3_mN6thrust23THRUST_200600_302600_NS6detail15normal_iteratorINSA_10device_ptrIyEEEEPS6_SG_NS0_5tupleIJSF_S6_EEENSH_IJSG_SG_EEES6_PlJNSB_9not_fun_tINSB_10functional5actorINSM_9compositeIJNSM_27transparent_binary_operatorINSA_8equal_toIvEEEENSN_INSM_8argumentILj0EEEEENSM_5valueIyEEEEEEEEEEEE10hipError_tPvRmT3_T4_T5_T6_T7_T9_mT8_P12ihipStream_tbDpT10_ENKUlT_T0_E_clISt17integral_constantIbLb1EES1K_EEDaS1F_S1G_EUlS1F_E_NS1_11comp_targetILNS1_3genE3ELNS1_11target_archE908ELNS1_3gpuE7ELNS1_3repE0EEENS1_30default_config_static_selectorELNS0_4arch9wavefront6targetE0EEEvT1_
	.globl	_ZN7rocprim17ROCPRIM_400000_NS6detail17trampoline_kernelINS0_14default_configENS1_25partition_config_selectorILNS1_17partition_subalgoE6EyNS0_10empty_typeEbEEZZNS1_14partition_implILS5_6ELb0ES3_mN6thrust23THRUST_200600_302600_NS6detail15normal_iteratorINSA_10device_ptrIyEEEEPS6_SG_NS0_5tupleIJSF_S6_EEENSH_IJSG_SG_EEES6_PlJNSB_9not_fun_tINSB_10functional5actorINSM_9compositeIJNSM_27transparent_binary_operatorINSA_8equal_toIvEEEENSN_INSM_8argumentILj0EEEEENSM_5valueIyEEEEEEEEEEEE10hipError_tPvRmT3_T4_T5_T6_T7_T9_mT8_P12ihipStream_tbDpT10_ENKUlT_T0_E_clISt17integral_constantIbLb1EES1K_EEDaS1F_S1G_EUlS1F_E_NS1_11comp_targetILNS1_3genE3ELNS1_11target_archE908ELNS1_3gpuE7ELNS1_3repE0EEENS1_30default_config_static_selectorELNS0_4arch9wavefront6targetE0EEEvT1_
	.p2align	8
	.type	_ZN7rocprim17ROCPRIM_400000_NS6detail17trampoline_kernelINS0_14default_configENS1_25partition_config_selectorILNS1_17partition_subalgoE6EyNS0_10empty_typeEbEEZZNS1_14partition_implILS5_6ELb0ES3_mN6thrust23THRUST_200600_302600_NS6detail15normal_iteratorINSA_10device_ptrIyEEEEPS6_SG_NS0_5tupleIJSF_S6_EEENSH_IJSG_SG_EEES6_PlJNSB_9not_fun_tINSB_10functional5actorINSM_9compositeIJNSM_27transparent_binary_operatorINSA_8equal_toIvEEEENSN_INSM_8argumentILj0EEEEENSM_5valueIyEEEEEEEEEEEE10hipError_tPvRmT3_T4_T5_T6_T7_T9_mT8_P12ihipStream_tbDpT10_ENKUlT_T0_E_clISt17integral_constantIbLb1EES1K_EEDaS1F_S1G_EUlS1F_E_NS1_11comp_targetILNS1_3genE3ELNS1_11target_archE908ELNS1_3gpuE7ELNS1_3repE0EEENS1_30default_config_static_selectorELNS0_4arch9wavefront6targetE0EEEvT1_,@function
_ZN7rocprim17ROCPRIM_400000_NS6detail17trampoline_kernelINS0_14default_configENS1_25partition_config_selectorILNS1_17partition_subalgoE6EyNS0_10empty_typeEbEEZZNS1_14partition_implILS5_6ELb0ES3_mN6thrust23THRUST_200600_302600_NS6detail15normal_iteratorINSA_10device_ptrIyEEEEPS6_SG_NS0_5tupleIJSF_S6_EEENSH_IJSG_SG_EEES6_PlJNSB_9not_fun_tINSB_10functional5actorINSM_9compositeIJNSM_27transparent_binary_operatorINSA_8equal_toIvEEEENSN_INSM_8argumentILj0EEEEENSM_5valueIyEEEEEEEEEEEE10hipError_tPvRmT3_T4_T5_T6_T7_T9_mT8_P12ihipStream_tbDpT10_ENKUlT_T0_E_clISt17integral_constantIbLb1EES1K_EEDaS1F_S1G_EUlS1F_E_NS1_11comp_targetILNS1_3genE3ELNS1_11target_archE908ELNS1_3gpuE7ELNS1_3repE0EEENS1_30default_config_static_selectorELNS0_4arch9wavefront6targetE0EEEvT1_: ; @_ZN7rocprim17ROCPRIM_400000_NS6detail17trampoline_kernelINS0_14default_configENS1_25partition_config_selectorILNS1_17partition_subalgoE6EyNS0_10empty_typeEbEEZZNS1_14partition_implILS5_6ELb0ES3_mN6thrust23THRUST_200600_302600_NS6detail15normal_iteratorINSA_10device_ptrIyEEEEPS6_SG_NS0_5tupleIJSF_S6_EEENSH_IJSG_SG_EEES6_PlJNSB_9not_fun_tINSB_10functional5actorINSM_9compositeIJNSM_27transparent_binary_operatorINSA_8equal_toIvEEEENSN_INSM_8argumentILj0EEEEENSM_5valueIyEEEEEEEEEEEE10hipError_tPvRmT3_T4_T5_T6_T7_T9_mT8_P12ihipStream_tbDpT10_ENKUlT_T0_E_clISt17integral_constantIbLb1EES1K_EEDaS1F_S1G_EUlS1F_E_NS1_11comp_targetILNS1_3genE3ELNS1_11target_archE908ELNS1_3gpuE7ELNS1_3repE0EEENS1_30default_config_static_selectorELNS0_4arch9wavefront6targetE0EEEvT1_
; %bb.0:
	.section	.rodata,"a",@progbits
	.p2align	6, 0x0
	.amdhsa_kernel _ZN7rocprim17ROCPRIM_400000_NS6detail17trampoline_kernelINS0_14default_configENS1_25partition_config_selectorILNS1_17partition_subalgoE6EyNS0_10empty_typeEbEEZZNS1_14partition_implILS5_6ELb0ES3_mN6thrust23THRUST_200600_302600_NS6detail15normal_iteratorINSA_10device_ptrIyEEEEPS6_SG_NS0_5tupleIJSF_S6_EEENSH_IJSG_SG_EEES6_PlJNSB_9not_fun_tINSB_10functional5actorINSM_9compositeIJNSM_27transparent_binary_operatorINSA_8equal_toIvEEEENSN_INSM_8argumentILj0EEEEENSM_5valueIyEEEEEEEEEEEE10hipError_tPvRmT3_T4_T5_T6_T7_T9_mT8_P12ihipStream_tbDpT10_ENKUlT_T0_E_clISt17integral_constantIbLb1EES1K_EEDaS1F_S1G_EUlS1F_E_NS1_11comp_targetILNS1_3genE3ELNS1_11target_archE908ELNS1_3gpuE7ELNS1_3repE0EEENS1_30default_config_static_selectorELNS0_4arch9wavefront6targetE0EEEvT1_
		.amdhsa_group_segment_fixed_size 0
		.amdhsa_private_segment_fixed_size 0
		.amdhsa_kernarg_size 136
		.amdhsa_user_sgpr_count 2
		.amdhsa_user_sgpr_dispatch_ptr 0
		.amdhsa_user_sgpr_queue_ptr 0
		.amdhsa_user_sgpr_kernarg_segment_ptr 1
		.amdhsa_user_sgpr_dispatch_id 0
		.amdhsa_user_sgpr_private_segment_size 0
		.amdhsa_wavefront_size32 1
		.amdhsa_uses_dynamic_stack 0
		.amdhsa_enable_private_segment 0
		.amdhsa_system_sgpr_workgroup_id_x 1
		.amdhsa_system_sgpr_workgroup_id_y 0
		.amdhsa_system_sgpr_workgroup_id_z 0
		.amdhsa_system_sgpr_workgroup_info 0
		.amdhsa_system_vgpr_workitem_id 0
		.amdhsa_next_free_vgpr 1
		.amdhsa_next_free_sgpr 1
		.amdhsa_reserve_vcc 0
		.amdhsa_float_round_mode_32 0
		.amdhsa_float_round_mode_16_64 0
		.amdhsa_float_denorm_mode_32 3
		.amdhsa_float_denorm_mode_16_64 3
		.amdhsa_fp16_overflow 0
		.amdhsa_workgroup_processor_mode 1
		.amdhsa_memory_ordered 1
		.amdhsa_forward_progress 1
		.amdhsa_inst_pref_size 0
		.amdhsa_round_robin_scheduling 0
		.amdhsa_exception_fp_ieee_invalid_op 0
		.amdhsa_exception_fp_denorm_src 0
		.amdhsa_exception_fp_ieee_div_zero 0
		.amdhsa_exception_fp_ieee_overflow 0
		.amdhsa_exception_fp_ieee_underflow 0
		.amdhsa_exception_fp_ieee_inexact 0
		.amdhsa_exception_int_div_zero 0
	.end_amdhsa_kernel
	.section	.text._ZN7rocprim17ROCPRIM_400000_NS6detail17trampoline_kernelINS0_14default_configENS1_25partition_config_selectorILNS1_17partition_subalgoE6EyNS0_10empty_typeEbEEZZNS1_14partition_implILS5_6ELb0ES3_mN6thrust23THRUST_200600_302600_NS6detail15normal_iteratorINSA_10device_ptrIyEEEEPS6_SG_NS0_5tupleIJSF_S6_EEENSH_IJSG_SG_EEES6_PlJNSB_9not_fun_tINSB_10functional5actorINSM_9compositeIJNSM_27transparent_binary_operatorINSA_8equal_toIvEEEENSN_INSM_8argumentILj0EEEEENSM_5valueIyEEEEEEEEEEEE10hipError_tPvRmT3_T4_T5_T6_T7_T9_mT8_P12ihipStream_tbDpT10_ENKUlT_T0_E_clISt17integral_constantIbLb1EES1K_EEDaS1F_S1G_EUlS1F_E_NS1_11comp_targetILNS1_3genE3ELNS1_11target_archE908ELNS1_3gpuE7ELNS1_3repE0EEENS1_30default_config_static_selectorELNS0_4arch9wavefront6targetE0EEEvT1_,"axG",@progbits,_ZN7rocprim17ROCPRIM_400000_NS6detail17trampoline_kernelINS0_14default_configENS1_25partition_config_selectorILNS1_17partition_subalgoE6EyNS0_10empty_typeEbEEZZNS1_14partition_implILS5_6ELb0ES3_mN6thrust23THRUST_200600_302600_NS6detail15normal_iteratorINSA_10device_ptrIyEEEEPS6_SG_NS0_5tupleIJSF_S6_EEENSH_IJSG_SG_EEES6_PlJNSB_9not_fun_tINSB_10functional5actorINSM_9compositeIJNSM_27transparent_binary_operatorINSA_8equal_toIvEEEENSN_INSM_8argumentILj0EEEEENSM_5valueIyEEEEEEEEEEEE10hipError_tPvRmT3_T4_T5_T6_T7_T9_mT8_P12ihipStream_tbDpT10_ENKUlT_T0_E_clISt17integral_constantIbLb1EES1K_EEDaS1F_S1G_EUlS1F_E_NS1_11comp_targetILNS1_3genE3ELNS1_11target_archE908ELNS1_3gpuE7ELNS1_3repE0EEENS1_30default_config_static_selectorELNS0_4arch9wavefront6targetE0EEEvT1_,comdat
.Lfunc_end91:
	.size	_ZN7rocprim17ROCPRIM_400000_NS6detail17trampoline_kernelINS0_14default_configENS1_25partition_config_selectorILNS1_17partition_subalgoE6EyNS0_10empty_typeEbEEZZNS1_14partition_implILS5_6ELb0ES3_mN6thrust23THRUST_200600_302600_NS6detail15normal_iteratorINSA_10device_ptrIyEEEEPS6_SG_NS0_5tupleIJSF_S6_EEENSH_IJSG_SG_EEES6_PlJNSB_9not_fun_tINSB_10functional5actorINSM_9compositeIJNSM_27transparent_binary_operatorINSA_8equal_toIvEEEENSN_INSM_8argumentILj0EEEEENSM_5valueIyEEEEEEEEEEEE10hipError_tPvRmT3_T4_T5_T6_T7_T9_mT8_P12ihipStream_tbDpT10_ENKUlT_T0_E_clISt17integral_constantIbLb1EES1K_EEDaS1F_S1G_EUlS1F_E_NS1_11comp_targetILNS1_3genE3ELNS1_11target_archE908ELNS1_3gpuE7ELNS1_3repE0EEENS1_30default_config_static_selectorELNS0_4arch9wavefront6targetE0EEEvT1_, .Lfunc_end91-_ZN7rocprim17ROCPRIM_400000_NS6detail17trampoline_kernelINS0_14default_configENS1_25partition_config_selectorILNS1_17partition_subalgoE6EyNS0_10empty_typeEbEEZZNS1_14partition_implILS5_6ELb0ES3_mN6thrust23THRUST_200600_302600_NS6detail15normal_iteratorINSA_10device_ptrIyEEEEPS6_SG_NS0_5tupleIJSF_S6_EEENSH_IJSG_SG_EEES6_PlJNSB_9not_fun_tINSB_10functional5actorINSM_9compositeIJNSM_27transparent_binary_operatorINSA_8equal_toIvEEEENSN_INSM_8argumentILj0EEEEENSM_5valueIyEEEEEEEEEEEE10hipError_tPvRmT3_T4_T5_T6_T7_T9_mT8_P12ihipStream_tbDpT10_ENKUlT_T0_E_clISt17integral_constantIbLb1EES1K_EEDaS1F_S1G_EUlS1F_E_NS1_11comp_targetILNS1_3genE3ELNS1_11target_archE908ELNS1_3gpuE7ELNS1_3repE0EEENS1_30default_config_static_selectorELNS0_4arch9wavefront6targetE0EEEvT1_
                                        ; -- End function
	.set _ZN7rocprim17ROCPRIM_400000_NS6detail17trampoline_kernelINS0_14default_configENS1_25partition_config_selectorILNS1_17partition_subalgoE6EyNS0_10empty_typeEbEEZZNS1_14partition_implILS5_6ELb0ES3_mN6thrust23THRUST_200600_302600_NS6detail15normal_iteratorINSA_10device_ptrIyEEEEPS6_SG_NS0_5tupleIJSF_S6_EEENSH_IJSG_SG_EEES6_PlJNSB_9not_fun_tINSB_10functional5actorINSM_9compositeIJNSM_27transparent_binary_operatorINSA_8equal_toIvEEEENSN_INSM_8argumentILj0EEEEENSM_5valueIyEEEEEEEEEEEE10hipError_tPvRmT3_T4_T5_T6_T7_T9_mT8_P12ihipStream_tbDpT10_ENKUlT_T0_E_clISt17integral_constantIbLb1EES1K_EEDaS1F_S1G_EUlS1F_E_NS1_11comp_targetILNS1_3genE3ELNS1_11target_archE908ELNS1_3gpuE7ELNS1_3repE0EEENS1_30default_config_static_selectorELNS0_4arch9wavefront6targetE0EEEvT1_.num_vgpr, 0
	.set _ZN7rocprim17ROCPRIM_400000_NS6detail17trampoline_kernelINS0_14default_configENS1_25partition_config_selectorILNS1_17partition_subalgoE6EyNS0_10empty_typeEbEEZZNS1_14partition_implILS5_6ELb0ES3_mN6thrust23THRUST_200600_302600_NS6detail15normal_iteratorINSA_10device_ptrIyEEEEPS6_SG_NS0_5tupleIJSF_S6_EEENSH_IJSG_SG_EEES6_PlJNSB_9not_fun_tINSB_10functional5actorINSM_9compositeIJNSM_27transparent_binary_operatorINSA_8equal_toIvEEEENSN_INSM_8argumentILj0EEEEENSM_5valueIyEEEEEEEEEEEE10hipError_tPvRmT3_T4_T5_T6_T7_T9_mT8_P12ihipStream_tbDpT10_ENKUlT_T0_E_clISt17integral_constantIbLb1EES1K_EEDaS1F_S1G_EUlS1F_E_NS1_11comp_targetILNS1_3genE3ELNS1_11target_archE908ELNS1_3gpuE7ELNS1_3repE0EEENS1_30default_config_static_selectorELNS0_4arch9wavefront6targetE0EEEvT1_.num_agpr, 0
	.set _ZN7rocprim17ROCPRIM_400000_NS6detail17trampoline_kernelINS0_14default_configENS1_25partition_config_selectorILNS1_17partition_subalgoE6EyNS0_10empty_typeEbEEZZNS1_14partition_implILS5_6ELb0ES3_mN6thrust23THRUST_200600_302600_NS6detail15normal_iteratorINSA_10device_ptrIyEEEEPS6_SG_NS0_5tupleIJSF_S6_EEENSH_IJSG_SG_EEES6_PlJNSB_9not_fun_tINSB_10functional5actorINSM_9compositeIJNSM_27transparent_binary_operatorINSA_8equal_toIvEEEENSN_INSM_8argumentILj0EEEEENSM_5valueIyEEEEEEEEEEEE10hipError_tPvRmT3_T4_T5_T6_T7_T9_mT8_P12ihipStream_tbDpT10_ENKUlT_T0_E_clISt17integral_constantIbLb1EES1K_EEDaS1F_S1G_EUlS1F_E_NS1_11comp_targetILNS1_3genE3ELNS1_11target_archE908ELNS1_3gpuE7ELNS1_3repE0EEENS1_30default_config_static_selectorELNS0_4arch9wavefront6targetE0EEEvT1_.numbered_sgpr, 0
	.set _ZN7rocprim17ROCPRIM_400000_NS6detail17trampoline_kernelINS0_14default_configENS1_25partition_config_selectorILNS1_17partition_subalgoE6EyNS0_10empty_typeEbEEZZNS1_14partition_implILS5_6ELb0ES3_mN6thrust23THRUST_200600_302600_NS6detail15normal_iteratorINSA_10device_ptrIyEEEEPS6_SG_NS0_5tupleIJSF_S6_EEENSH_IJSG_SG_EEES6_PlJNSB_9not_fun_tINSB_10functional5actorINSM_9compositeIJNSM_27transparent_binary_operatorINSA_8equal_toIvEEEENSN_INSM_8argumentILj0EEEEENSM_5valueIyEEEEEEEEEEEE10hipError_tPvRmT3_T4_T5_T6_T7_T9_mT8_P12ihipStream_tbDpT10_ENKUlT_T0_E_clISt17integral_constantIbLb1EES1K_EEDaS1F_S1G_EUlS1F_E_NS1_11comp_targetILNS1_3genE3ELNS1_11target_archE908ELNS1_3gpuE7ELNS1_3repE0EEENS1_30default_config_static_selectorELNS0_4arch9wavefront6targetE0EEEvT1_.num_named_barrier, 0
	.set _ZN7rocprim17ROCPRIM_400000_NS6detail17trampoline_kernelINS0_14default_configENS1_25partition_config_selectorILNS1_17partition_subalgoE6EyNS0_10empty_typeEbEEZZNS1_14partition_implILS5_6ELb0ES3_mN6thrust23THRUST_200600_302600_NS6detail15normal_iteratorINSA_10device_ptrIyEEEEPS6_SG_NS0_5tupleIJSF_S6_EEENSH_IJSG_SG_EEES6_PlJNSB_9not_fun_tINSB_10functional5actorINSM_9compositeIJNSM_27transparent_binary_operatorINSA_8equal_toIvEEEENSN_INSM_8argumentILj0EEEEENSM_5valueIyEEEEEEEEEEEE10hipError_tPvRmT3_T4_T5_T6_T7_T9_mT8_P12ihipStream_tbDpT10_ENKUlT_T0_E_clISt17integral_constantIbLb1EES1K_EEDaS1F_S1G_EUlS1F_E_NS1_11comp_targetILNS1_3genE3ELNS1_11target_archE908ELNS1_3gpuE7ELNS1_3repE0EEENS1_30default_config_static_selectorELNS0_4arch9wavefront6targetE0EEEvT1_.private_seg_size, 0
	.set _ZN7rocprim17ROCPRIM_400000_NS6detail17trampoline_kernelINS0_14default_configENS1_25partition_config_selectorILNS1_17partition_subalgoE6EyNS0_10empty_typeEbEEZZNS1_14partition_implILS5_6ELb0ES3_mN6thrust23THRUST_200600_302600_NS6detail15normal_iteratorINSA_10device_ptrIyEEEEPS6_SG_NS0_5tupleIJSF_S6_EEENSH_IJSG_SG_EEES6_PlJNSB_9not_fun_tINSB_10functional5actorINSM_9compositeIJNSM_27transparent_binary_operatorINSA_8equal_toIvEEEENSN_INSM_8argumentILj0EEEEENSM_5valueIyEEEEEEEEEEEE10hipError_tPvRmT3_T4_T5_T6_T7_T9_mT8_P12ihipStream_tbDpT10_ENKUlT_T0_E_clISt17integral_constantIbLb1EES1K_EEDaS1F_S1G_EUlS1F_E_NS1_11comp_targetILNS1_3genE3ELNS1_11target_archE908ELNS1_3gpuE7ELNS1_3repE0EEENS1_30default_config_static_selectorELNS0_4arch9wavefront6targetE0EEEvT1_.uses_vcc, 0
	.set _ZN7rocprim17ROCPRIM_400000_NS6detail17trampoline_kernelINS0_14default_configENS1_25partition_config_selectorILNS1_17partition_subalgoE6EyNS0_10empty_typeEbEEZZNS1_14partition_implILS5_6ELb0ES3_mN6thrust23THRUST_200600_302600_NS6detail15normal_iteratorINSA_10device_ptrIyEEEEPS6_SG_NS0_5tupleIJSF_S6_EEENSH_IJSG_SG_EEES6_PlJNSB_9not_fun_tINSB_10functional5actorINSM_9compositeIJNSM_27transparent_binary_operatorINSA_8equal_toIvEEEENSN_INSM_8argumentILj0EEEEENSM_5valueIyEEEEEEEEEEEE10hipError_tPvRmT3_T4_T5_T6_T7_T9_mT8_P12ihipStream_tbDpT10_ENKUlT_T0_E_clISt17integral_constantIbLb1EES1K_EEDaS1F_S1G_EUlS1F_E_NS1_11comp_targetILNS1_3genE3ELNS1_11target_archE908ELNS1_3gpuE7ELNS1_3repE0EEENS1_30default_config_static_selectorELNS0_4arch9wavefront6targetE0EEEvT1_.uses_flat_scratch, 0
	.set _ZN7rocprim17ROCPRIM_400000_NS6detail17trampoline_kernelINS0_14default_configENS1_25partition_config_selectorILNS1_17partition_subalgoE6EyNS0_10empty_typeEbEEZZNS1_14partition_implILS5_6ELb0ES3_mN6thrust23THRUST_200600_302600_NS6detail15normal_iteratorINSA_10device_ptrIyEEEEPS6_SG_NS0_5tupleIJSF_S6_EEENSH_IJSG_SG_EEES6_PlJNSB_9not_fun_tINSB_10functional5actorINSM_9compositeIJNSM_27transparent_binary_operatorINSA_8equal_toIvEEEENSN_INSM_8argumentILj0EEEEENSM_5valueIyEEEEEEEEEEEE10hipError_tPvRmT3_T4_T5_T6_T7_T9_mT8_P12ihipStream_tbDpT10_ENKUlT_T0_E_clISt17integral_constantIbLb1EES1K_EEDaS1F_S1G_EUlS1F_E_NS1_11comp_targetILNS1_3genE3ELNS1_11target_archE908ELNS1_3gpuE7ELNS1_3repE0EEENS1_30default_config_static_selectorELNS0_4arch9wavefront6targetE0EEEvT1_.has_dyn_sized_stack, 0
	.set _ZN7rocprim17ROCPRIM_400000_NS6detail17trampoline_kernelINS0_14default_configENS1_25partition_config_selectorILNS1_17partition_subalgoE6EyNS0_10empty_typeEbEEZZNS1_14partition_implILS5_6ELb0ES3_mN6thrust23THRUST_200600_302600_NS6detail15normal_iteratorINSA_10device_ptrIyEEEEPS6_SG_NS0_5tupleIJSF_S6_EEENSH_IJSG_SG_EEES6_PlJNSB_9not_fun_tINSB_10functional5actorINSM_9compositeIJNSM_27transparent_binary_operatorINSA_8equal_toIvEEEENSN_INSM_8argumentILj0EEEEENSM_5valueIyEEEEEEEEEEEE10hipError_tPvRmT3_T4_T5_T6_T7_T9_mT8_P12ihipStream_tbDpT10_ENKUlT_T0_E_clISt17integral_constantIbLb1EES1K_EEDaS1F_S1G_EUlS1F_E_NS1_11comp_targetILNS1_3genE3ELNS1_11target_archE908ELNS1_3gpuE7ELNS1_3repE0EEENS1_30default_config_static_selectorELNS0_4arch9wavefront6targetE0EEEvT1_.has_recursion, 0
	.set _ZN7rocprim17ROCPRIM_400000_NS6detail17trampoline_kernelINS0_14default_configENS1_25partition_config_selectorILNS1_17partition_subalgoE6EyNS0_10empty_typeEbEEZZNS1_14partition_implILS5_6ELb0ES3_mN6thrust23THRUST_200600_302600_NS6detail15normal_iteratorINSA_10device_ptrIyEEEEPS6_SG_NS0_5tupleIJSF_S6_EEENSH_IJSG_SG_EEES6_PlJNSB_9not_fun_tINSB_10functional5actorINSM_9compositeIJNSM_27transparent_binary_operatorINSA_8equal_toIvEEEENSN_INSM_8argumentILj0EEEEENSM_5valueIyEEEEEEEEEEEE10hipError_tPvRmT3_T4_T5_T6_T7_T9_mT8_P12ihipStream_tbDpT10_ENKUlT_T0_E_clISt17integral_constantIbLb1EES1K_EEDaS1F_S1G_EUlS1F_E_NS1_11comp_targetILNS1_3genE3ELNS1_11target_archE908ELNS1_3gpuE7ELNS1_3repE0EEENS1_30default_config_static_selectorELNS0_4arch9wavefront6targetE0EEEvT1_.has_indirect_call, 0
	.section	.AMDGPU.csdata,"",@progbits
; Kernel info:
; codeLenInByte = 0
; TotalNumSgprs: 0
; NumVgprs: 0
; ScratchSize: 0
; MemoryBound: 0
; FloatMode: 240
; IeeeMode: 1
; LDSByteSize: 0 bytes/workgroup (compile time only)
; SGPRBlocks: 0
; VGPRBlocks: 0
; NumSGPRsForWavesPerEU: 1
; NumVGPRsForWavesPerEU: 1
; Occupancy: 16
; WaveLimiterHint : 0
; COMPUTE_PGM_RSRC2:SCRATCH_EN: 0
; COMPUTE_PGM_RSRC2:USER_SGPR: 2
; COMPUTE_PGM_RSRC2:TRAP_HANDLER: 0
; COMPUTE_PGM_RSRC2:TGID_X_EN: 1
; COMPUTE_PGM_RSRC2:TGID_Y_EN: 0
; COMPUTE_PGM_RSRC2:TGID_Z_EN: 0
; COMPUTE_PGM_RSRC2:TIDIG_COMP_CNT: 0
	.section	.text._ZN7rocprim17ROCPRIM_400000_NS6detail17trampoline_kernelINS0_14default_configENS1_25partition_config_selectorILNS1_17partition_subalgoE6EyNS0_10empty_typeEbEEZZNS1_14partition_implILS5_6ELb0ES3_mN6thrust23THRUST_200600_302600_NS6detail15normal_iteratorINSA_10device_ptrIyEEEEPS6_SG_NS0_5tupleIJSF_S6_EEENSH_IJSG_SG_EEES6_PlJNSB_9not_fun_tINSB_10functional5actorINSM_9compositeIJNSM_27transparent_binary_operatorINSA_8equal_toIvEEEENSN_INSM_8argumentILj0EEEEENSM_5valueIyEEEEEEEEEEEE10hipError_tPvRmT3_T4_T5_T6_T7_T9_mT8_P12ihipStream_tbDpT10_ENKUlT_T0_E_clISt17integral_constantIbLb1EES1K_EEDaS1F_S1G_EUlS1F_E_NS1_11comp_targetILNS1_3genE2ELNS1_11target_archE906ELNS1_3gpuE6ELNS1_3repE0EEENS1_30default_config_static_selectorELNS0_4arch9wavefront6targetE0EEEvT1_,"axG",@progbits,_ZN7rocprim17ROCPRIM_400000_NS6detail17trampoline_kernelINS0_14default_configENS1_25partition_config_selectorILNS1_17partition_subalgoE6EyNS0_10empty_typeEbEEZZNS1_14partition_implILS5_6ELb0ES3_mN6thrust23THRUST_200600_302600_NS6detail15normal_iteratorINSA_10device_ptrIyEEEEPS6_SG_NS0_5tupleIJSF_S6_EEENSH_IJSG_SG_EEES6_PlJNSB_9not_fun_tINSB_10functional5actorINSM_9compositeIJNSM_27transparent_binary_operatorINSA_8equal_toIvEEEENSN_INSM_8argumentILj0EEEEENSM_5valueIyEEEEEEEEEEEE10hipError_tPvRmT3_T4_T5_T6_T7_T9_mT8_P12ihipStream_tbDpT10_ENKUlT_T0_E_clISt17integral_constantIbLb1EES1K_EEDaS1F_S1G_EUlS1F_E_NS1_11comp_targetILNS1_3genE2ELNS1_11target_archE906ELNS1_3gpuE6ELNS1_3repE0EEENS1_30default_config_static_selectorELNS0_4arch9wavefront6targetE0EEEvT1_,comdat
	.protected	_ZN7rocprim17ROCPRIM_400000_NS6detail17trampoline_kernelINS0_14default_configENS1_25partition_config_selectorILNS1_17partition_subalgoE6EyNS0_10empty_typeEbEEZZNS1_14partition_implILS5_6ELb0ES3_mN6thrust23THRUST_200600_302600_NS6detail15normal_iteratorINSA_10device_ptrIyEEEEPS6_SG_NS0_5tupleIJSF_S6_EEENSH_IJSG_SG_EEES6_PlJNSB_9not_fun_tINSB_10functional5actorINSM_9compositeIJNSM_27transparent_binary_operatorINSA_8equal_toIvEEEENSN_INSM_8argumentILj0EEEEENSM_5valueIyEEEEEEEEEEEE10hipError_tPvRmT3_T4_T5_T6_T7_T9_mT8_P12ihipStream_tbDpT10_ENKUlT_T0_E_clISt17integral_constantIbLb1EES1K_EEDaS1F_S1G_EUlS1F_E_NS1_11comp_targetILNS1_3genE2ELNS1_11target_archE906ELNS1_3gpuE6ELNS1_3repE0EEENS1_30default_config_static_selectorELNS0_4arch9wavefront6targetE0EEEvT1_ ; -- Begin function _ZN7rocprim17ROCPRIM_400000_NS6detail17trampoline_kernelINS0_14default_configENS1_25partition_config_selectorILNS1_17partition_subalgoE6EyNS0_10empty_typeEbEEZZNS1_14partition_implILS5_6ELb0ES3_mN6thrust23THRUST_200600_302600_NS6detail15normal_iteratorINSA_10device_ptrIyEEEEPS6_SG_NS0_5tupleIJSF_S6_EEENSH_IJSG_SG_EEES6_PlJNSB_9not_fun_tINSB_10functional5actorINSM_9compositeIJNSM_27transparent_binary_operatorINSA_8equal_toIvEEEENSN_INSM_8argumentILj0EEEEENSM_5valueIyEEEEEEEEEEEE10hipError_tPvRmT3_T4_T5_T6_T7_T9_mT8_P12ihipStream_tbDpT10_ENKUlT_T0_E_clISt17integral_constantIbLb1EES1K_EEDaS1F_S1G_EUlS1F_E_NS1_11comp_targetILNS1_3genE2ELNS1_11target_archE906ELNS1_3gpuE6ELNS1_3repE0EEENS1_30default_config_static_selectorELNS0_4arch9wavefront6targetE0EEEvT1_
	.globl	_ZN7rocprim17ROCPRIM_400000_NS6detail17trampoline_kernelINS0_14default_configENS1_25partition_config_selectorILNS1_17partition_subalgoE6EyNS0_10empty_typeEbEEZZNS1_14partition_implILS5_6ELb0ES3_mN6thrust23THRUST_200600_302600_NS6detail15normal_iteratorINSA_10device_ptrIyEEEEPS6_SG_NS0_5tupleIJSF_S6_EEENSH_IJSG_SG_EEES6_PlJNSB_9not_fun_tINSB_10functional5actorINSM_9compositeIJNSM_27transparent_binary_operatorINSA_8equal_toIvEEEENSN_INSM_8argumentILj0EEEEENSM_5valueIyEEEEEEEEEEEE10hipError_tPvRmT3_T4_T5_T6_T7_T9_mT8_P12ihipStream_tbDpT10_ENKUlT_T0_E_clISt17integral_constantIbLb1EES1K_EEDaS1F_S1G_EUlS1F_E_NS1_11comp_targetILNS1_3genE2ELNS1_11target_archE906ELNS1_3gpuE6ELNS1_3repE0EEENS1_30default_config_static_selectorELNS0_4arch9wavefront6targetE0EEEvT1_
	.p2align	8
	.type	_ZN7rocprim17ROCPRIM_400000_NS6detail17trampoline_kernelINS0_14default_configENS1_25partition_config_selectorILNS1_17partition_subalgoE6EyNS0_10empty_typeEbEEZZNS1_14partition_implILS5_6ELb0ES3_mN6thrust23THRUST_200600_302600_NS6detail15normal_iteratorINSA_10device_ptrIyEEEEPS6_SG_NS0_5tupleIJSF_S6_EEENSH_IJSG_SG_EEES6_PlJNSB_9not_fun_tINSB_10functional5actorINSM_9compositeIJNSM_27transparent_binary_operatorINSA_8equal_toIvEEEENSN_INSM_8argumentILj0EEEEENSM_5valueIyEEEEEEEEEEEE10hipError_tPvRmT3_T4_T5_T6_T7_T9_mT8_P12ihipStream_tbDpT10_ENKUlT_T0_E_clISt17integral_constantIbLb1EES1K_EEDaS1F_S1G_EUlS1F_E_NS1_11comp_targetILNS1_3genE2ELNS1_11target_archE906ELNS1_3gpuE6ELNS1_3repE0EEENS1_30default_config_static_selectorELNS0_4arch9wavefront6targetE0EEEvT1_,@function
_ZN7rocprim17ROCPRIM_400000_NS6detail17trampoline_kernelINS0_14default_configENS1_25partition_config_selectorILNS1_17partition_subalgoE6EyNS0_10empty_typeEbEEZZNS1_14partition_implILS5_6ELb0ES3_mN6thrust23THRUST_200600_302600_NS6detail15normal_iteratorINSA_10device_ptrIyEEEEPS6_SG_NS0_5tupleIJSF_S6_EEENSH_IJSG_SG_EEES6_PlJNSB_9not_fun_tINSB_10functional5actorINSM_9compositeIJNSM_27transparent_binary_operatorINSA_8equal_toIvEEEENSN_INSM_8argumentILj0EEEEENSM_5valueIyEEEEEEEEEEEE10hipError_tPvRmT3_T4_T5_T6_T7_T9_mT8_P12ihipStream_tbDpT10_ENKUlT_T0_E_clISt17integral_constantIbLb1EES1K_EEDaS1F_S1G_EUlS1F_E_NS1_11comp_targetILNS1_3genE2ELNS1_11target_archE906ELNS1_3gpuE6ELNS1_3repE0EEENS1_30default_config_static_selectorELNS0_4arch9wavefront6targetE0EEEvT1_: ; @_ZN7rocprim17ROCPRIM_400000_NS6detail17trampoline_kernelINS0_14default_configENS1_25partition_config_selectorILNS1_17partition_subalgoE6EyNS0_10empty_typeEbEEZZNS1_14partition_implILS5_6ELb0ES3_mN6thrust23THRUST_200600_302600_NS6detail15normal_iteratorINSA_10device_ptrIyEEEEPS6_SG_NS0_5tupleIJSF_S6_EEENSH_IJSG_SG_EEES6_PlJNSB_9not_fun_tINSB_10functional5actorINSM_9compositeIJNSM_27transparent_binary_operatorINSA_8equal_toIvEEEENSN_INSM_8argumentILj0EEEEENSM_5valueIyEEEEEEEEEEEE10hipError_tPvRmT3_T4_T5_T6_T7_T9_mT8_P12ihipStream_tbDpT10_ENKUlT_T0_E_clISt17integral_constantIbLb1EES1K_EEDaS1F_S1G_EUlS1F_E_NS1_11comp_targetILNS1_3genE2ELNS1_11target_archE906ELNS1_3gpuE6ELNS1_3repE0EEENS1_30default_config_static_selectorELNS0_4arch9wavefront6targetE0EEEvT1_
; %bb.0:
	.section	.rodata,"a",@progbits
	.p2align	6, 0x0
	.amdhsa_kernel _ZN7rocprim17ROCPRIM_400000_NS6detail17trampoline_kernelINS0_14default_configENS1_25partition_config_selectorILNS1_17partition_subalgoE6EyNS0_10empty_typeEbEEZZNS1_14partition_implILS5_6ELb0ES3_mN6thrust23THRUST_200600_302600_NS6detail15normal_iteratorINSA_10device_ptrIyEEEEPS6_SG_NS0_5tupleIJSF_S6_EEENSH_IJSG_SG_EEES6_PlJNSB_9not_fun_tINSB_10functional5actorINSM_9compositeIJNSM_27transparent_binary_operatorINSA_8equal_toIvEEEENSN_INSM_8argumentILj0EEEEENSM_5valueIyEEEEEEEEEEEE10hipError_tPvRmT3_T4_T5_T6_T7_T9_mT8_P12ihipStream_tbDpT10_ENKUlT_T0_E_clISt17integral_constantIbLb1EES1K_EEDaS1F_S1G_EUlS1F_E_NS1_11comp_targetILNS1_3genE2ELNS1_11target_archE906ELNS1_3gpuE6ELNS1_3repE0EEENS1_30default_config_static_selectorELNS0_4arch9wavefront6targetE0EEEvT1_
		.amdhsa_group_segment_fixed_size 0
		.amdhsa_private_segment_fixed_size 0
		.amdhsa_kernarg_size 136
		.amdhsa_user_sgpr_count 2
		.amdhsa_user_sgpr_dispatch_ptr 0
		.amdhsa_user_sgpr_queue_ptr 0
		.amdhsa_user_sgpr_kernarg_segment_ptr 1
		.amdhsa_user_sgpr_dispatch_id 0
		.amdhsa_user_sgpr_private_segment_size 0
		.amdhsa_wavefront_size32 1
		.amdhsa_uses_dynamic_stack 0
		.amdhsa_enable_private_segment 0
		.amdhsa_system_sgpr_workgroup_id_x 1
		.amdhsa_system_sgpr_workgroup_id_y 0
		.amdhsa_system_sgpr_workgroup_id_z 0
		.amdhsa_system_sgpr_workgroup_info 0
		.amdhsa_system_vgpr_workitem_id 0
		.amdhsa_next_free_vgpr 1
		.amdhsa_next_free_sgpr 1
		.amdhsa_reserve_vcc 0
		.amdhsa_float_round_mode_32 0
		.amdhsa_float_round_mode_16_64 0
		.amdhsa_float_denorm_mode_32 3
		.amdhsa_float_denorm_mode_16_64 3
		.amdhsa_fp16_overflow 0
		.amdhsa_workgroup_processor_mode 1
		.amdhsa_memory_ordered 1
		.amdhsa_forward_progress 1
		.amdhsa_inst_pref_size 0
		.amdhsa_round_robin_scheduling 0
		.amdhsa_exception_fp_ieee_invalid_op 0
		.amdhsa_exception_fp_denorm_src 0
		.amdhsa_exception_fp_ieee_div_zero 0
		.amdhsa_exception_fp_ieee_overflow 0
		.amdhsa_exception_fp_ieee_underflow 0
		.amdhsa_exception_fp_ieee_inexact 0
		.amdhsa_exception_int_div_zero 0
	.end_amdhsa_kernel
	.section	.text._ZN7rocprim17ROCPRIM_400000_NS6detail17trampoline_kernelINS0_14default_configENS1_25partition_config_selectorILNS1_17partition_subalgoE6EyNS0_10empty_typeEbEEZZNS1_14partition_implILS5_6ELb0ES3_mN6thrust23THRUST_200600_302600_NS6detail15normal_iteratorINSA_10device_ptrIyEEEEPS6_SG_NS0_5tupleIJSF_S6_EEENSH_IJSG_SG_EEES6_PlJNSB_9not_fun_tINSB_10functional5actorINSM_9compositeIJNSM_27transparent_binary_operatorINSA_8equal_toIvEEEENSN_INSM_8argumentILj0EEEEENSM_5valueIyEEEEEEEEEEEE10hipError_tPvRmT3_T4_T5_T6_T7_T9_mT8_P12ihipStream_tbDpT10_ENKUlT_T0_E_clISt17integral_constantIbLb1EES1K_EEDaS1F_S1G_EUlS1F_E_NS1_11comp_targetILNS1_3genE2ELNS1_11target_archE906ELNS1_3gpuE6ELNS1_3repE0EEENS1_30default_config_static_selectorELNS0_4arch9wavefront6targetE0EEEvT1_,"axG",@progbits,_ZN7rocprim17ROCPRIM_400000_NS6detail17trampoline_kernelINS0_14default_configENS1_25partition_config_selectorILNS1_17partition_subalgoE6EyNS0_10empty_typeEbEEZZNS1_14partition_implILS5_6ELb0ES3_mN6thrust23THRUST_200600_302600_NS6detail15normal_iteratorINSA_10device_ptrIyEEEEPS6_SG_NS0_5tupleIJSF_S6_EEENSH_IJSG_SG_EEES6_PlJNSB_9not_fun_tINSB_10functional5actorINSM_9compositeIJNSM_27transparent_binary_operatorINSA_8equal_toIvEEEENSN_INSM_8argumentILj0EEEEENSM_5valueIyEEEEEEEEEEEE10hipError_tPvRmT3_T4_T5_T6_T7_T9_mT8_P12ihipStream_tbDpT10_ENKUlT_T0_E_clISt17integral_constantIbLb1EES1K_EEDaS1F_S1G_EUlS1F_E_NS1_11comp_targetILNS1_3genE2ELNS1_11target_archE906ELNS1_3gpuE6ELNS1_3repE0EEENS1_30default_config_static_selectorELNS0_4arch9wavefront6targetE0EEEvT1_,comdat
.Lfunc_end92:
	.size	_ZN7rocprim17ROCPRIM_400000_NS6detail17trampoline_kernelINS0_14default_configENS1_25partition_config_selectorILNS1_17partition_subalgoE6EyNS0_10empty_typeEbEEZZNS1_14partition_implILS5_6ELb0ES3_mN6thrust23THRUST_200600_302600_NS6detail15normal_iteratorINSA_10device_ptrIyEEEEPS6_SG_NS0_5tupleIJSF_S6_EEENSH_IJSG_SG_EEES6_PlJNSB_9not_fun_tINSB_10functional5actorINSM_9compositeIJNSM_27transparent_binary_operatorINSA_8equal_toIvEEEENSN_INSM_8argumentILj0EEEEENSM_5valueIyEEEEEEEEEEEE10hipError_tPvRmT3_T4_T5_T6_T7_T9_mT8_P12ihipStream_tbDpT10_ENKUlT_T0_E_clISt17integral_constantIbLb1EES1K_EEDaS1F_S1G_EUlS1F_E_NS1_11comp_targetILNS1_3genE2ELNS1_11target_archE906ELNS1_3gpuE6ELNS1_3repE0EEENS1_30default_config_static_selectorELNS0_4arch9wavefront6targetE0EEEvT1_, .Lfunc_end92-_ZN7rocprim17ROCPRIM_400000_NS6detail17trampoline_kernelINS0_14default_configENS1_25partition_config_selectorILNS1_17partition_subalgoE6EyNS0_10empty_typeEbEEZZNS1_14partition_implILS5_6ELb0ES3_mN6thrust23THRUST_200600_302600_NS6detail15normal_iteratorINSA_10device_ptrIyEEEEPS6_SG_NS0_5tupleIJSF_S6_EEENSH_IJSG_SG_EEES6_PlJNSB_9not_fun_tINSB_10functional5actorINSM_9compositeIJNSM_27transparent_binary_operatorINSA_8equal_toIvEEEENSN_INSM_8argumentILj0EEEEENSM_5valueIyEEEEEEEEEEEE10hipError_tPvRmT3_T4_T5_T6_T7_T9_mT8_P12ihipStream_tbDpT10_ENKUlT_T0_E_clISt17integral_constantIbLb1EES1K_EEDaS1F_S1G_EUlS1F_E_NS1_11comp_targetILNS1_3genE2ELNS1_11target_archE906ELNS1_3gpuE6ELNS1_3repE0EEENS1_30default_config_static_selectorELNS0_4arch9wavefront6targetE0EEEvT1_
                                        ; -- End function
	.set _ZN7rocprim17ROCPRIM_400000_NS6detail17trampoline_kernelINS0_14default_configENS1_25partition_config_selectorILNS1_17partition_subalgoE6EyNS0_10empty_typeEbEEZZNS1_14partition_implILS5_6ELb0ES3_mN6thrust23THRUST_200600_302600_NS6detail15normal_iteratorINSA_10device_ptrIyEEEEPS6_SG_NS0_5tupleIJSF_S6_EEENSH_IJSG_SG_EEES6_PlJNSB_9not_fun_tINSB_10functional5actorINSM_9compositeIJNSM_27transparent_binary_operatorINSA_8equal_toIvEEEENSN_INSM_8argumentILj0EEEEENSM_5valueIyEEEEEEEEEEEE10hipError_tPvRmT3_T4_T5_T6_T7_T9_mT8_P12ihipStream_tbDpT10_ENKUlT_T0_E_clISt17integral_constantIbLb1EES1K_EEDaS1F_S1G_EUlS1F_E_NS1_11comp_targetILNS1_3genE2ELNS1_11target_archE906ELNS1_3gpuE6ELNS1_3repE0EEENS1_30default_config_static_selectorELNS0_4arch9wavefront6targetE0EEEvT1_.num_vgpr, 0
	.set _ZN7rocprim17ROCPRIM_400000_NS6detail17trampoline_kernelINS0_14default_configENS1_25partition_config_selectorILNS1_17partition_subalgoE6EyNS0_10empty_typeEbEEZZNS1_14partition_implILS5_6ELb0ES3_mN6thrust23THRUST_200600_302600_NS6detail15normal_iteratorINSA_10device_ptrIyEEEEPS6_SG_NS0_5tupleIJSF_S6_EEENSH_IJSG_SG_EEES6_PlJNSB_9not_fun_tINSB_10functional5actorINSM_9compositeIJNSM_27transparent_binary_operatorINSA_8equal_toIvEEEENSN_INSM_8argumentILj0EEEEENSM_5valueIyEEEEEEEEEEEE10hipError_tPvRmT3_T4_T5_T6_T7_T9_mT8_P12ihipStream_tbDpT10_ENKUlT_T0_E_clISt17integral_constantIbLb1EES1K_EEDaS1F_S1G_EUlS1F_E_NS1_11comp_targetILNS1_3genE2ELNS1_11target_archE906ELNS1_3gpuE6ELNS1_3repE0EEENS1_30default_config_static_selectorELNS0_4arch9wavefront6targetE0EEEvT1_.num_agpr, 0
	.set _ZN7rocprim17ROCPRIM_400000_NS6detail17trampoline_kernelINS0_14default_configENS1_25partition_config_selectorILNS1_17partition_subalgoE6EyNS0_10empty_typeEbEEZZNS1_14partition_implILS5_6ELb0ES3_mN6thrust23THRUST_200600_302600_NS6detail15normal_iteratorINSA_10device_ptrIyEEEEPS6_SG_NS0_5tupleIJSF_S6_EEENSH_IJSG_SG_EEES6_PlJNSB_9not_fun_tINSB_10functional5actorINSM_9compositeIJNSM_27transparent_binary_operatorINSA_8equal_toIvEEEENSN_INSM_8argumentILj0EEEEENSM_5valueIyEEEEEEEEEEEE10hipError_tPvRmT3_T4_T5_T6_T7_T9_mT8_P12ihipStream_tbDpT10_ENKUlT_T0_E_clISt17integral_constantIbLb1EES1K_EEDaS1F_S1G_EUlS1F_E_NS1_11comp_targetILNS1_3genE2ELNS1_11target_archE906ELNS1_3gpuE6ELNS1_3repE0EEENS1_30default_config_static_selectorELNS0_4arch9wavefront6targetE0EEEvT1_.numbered_sgpr, 0
	.set _ZN7rocprim17ROCPRIM_400000_NS6detail17trampoline_kernelINS0_14default_configENS1_25partition_config_selectorILNS1_17partition_subalgoE6EyNS0_10empty_typeEbEEZZNS1_14partition_implILS5_6ELb0ES3_mN6thrust23THRUST_200600_302600_NS6detail15normal_iteratorINSA_10device_ptrIyEEEEPS6_SG_NS0_5tupleIJSF_S6_EEENSH_IJSG_SG_EEES6_PlJNSB_9not_fun_tINSB_10functional5actorINSM_9compositeIJNSM_27transparent_binary_operatorINSA_8equal_toIvEEEENSN_INSM_8argumentILj0EEEEENSM_5valueIyEEEEEEEEEEEE10hipError_tPvRmT3_T4_T5_T6_T7_T9_mT8_P12ihipStream_tbDpT10_ENKUlT_T0_E_clISt17integral_constantIbLb1EES1K_EEDaS1F_S1G_EUlS1F_E_NS1_11comp_targetILNS1_3genE2ELNS1_11target_archE906ELNS1_3gpuE6ELNS1_3repE0EEENS1_30default_config_static_selectorELNS0_4arch9wavefront6targetE0EEEvT1_.num_named_barrier, 0
	.set _ZN7rocprim17ROCPRIM_400000_NS6detail17trampoline_kernelINS0_14default_configENS1_25partition_config_selectorILNS1_17partition_subalgoE6EyNS0_10empty_typeEbEEZZNS1_14partition_implILS5_6ELb0ES3_mN6thrust23THRUST_200600_302600_NS6detail15normal_iteratorINSA_10device_ptrIyEEEEPS6_SG_NS0_5tupleIJSF_S6_EEENSH_IJSG_SG_EEES6_PlJNSB_9not_fun_tINSB_10functional5actorINSM_9compositeIJNSM_27transparent_binary_operatorINSA_8equal_toIvEEEENSN_INSM_8argumentILj0EEEEENSM_5valueIyEEEEEEEEEEEE10hipError_tPvRmT3_T4_T5_T6_T7_T9_mT8_P12ihipStream_tbDpT10_ENKUlT_T0_E_clISt17integral_constantIbLb1EES1K_EEDaS1F_S1G_EUlS1F_E_NS1_11comp_targetILNS1_3genE2ELNS1_11target_archE906ELNS1_3gpuE6ELNS1_3repE0EEENS1_30default_config_static_selectorELNS0_4arch9wavefront6targetE0EEEvT1_.private_seg_size, 0
	.set _ZN7rocprim17ROCPRIM_400000_NS6detail17trampoline_kernelINS0_14default_configENS1_25partition_config_selectorILNS1_17partition_subalgoE6EyNS0_10empty_typeEbEEZZNS1_14partition_implILS5_6ELb0ES3_mN6thrust23THRUST_200600_302600_NS6detail15normal_iteratorINSA_10device_ptrIyEEEEPS6_SG_NS0_5tupleIJSF_S6_EEENSH_IJSG_SG_EEES6_PlJNSB_9not_fun_tINSB_10functional5actorINSM_9compositeIJNSM_27transparent_binary_operatorINSA_8equal_toIvEEEENSN_INSM_8argumentILj0EEEEENSM_5valueIyEEEEEEEEEEEE10hipError_tPvRmT3_T4_T5_T6_T7_T9_mT8_P12ihipStream_tbDpT10_ENKUlT_T0_E_clISt17integral_constantIbLb1EES1K_EEDaS1F_S1G_EUlS1F_E_NS1_11comp_targetILNS1_3genE2ELNS1_11target_archE906ELNS1_3gpuE6ELNS1_3repE0EEENS1_30default_config_static_selectorELNS0_4arch9wavefront6targetE0EEEvT1_.uses_vcc, 0
	.set _ZN7rocprim17ROCPRIM_400000_NS6detail17trampoline_kernelINS0_14default_configENS1_25partition_config_selectorILNS1_17partition_subalgoE6EyNS0_10empty_typeEbEEZZNS1_14partition_implILS5_6ELb0ES3_mN6thrust23THRUST_200600_302600_NS6detail15normal_iteratorINSA_10device_ptrIyEEEEPS6_SG_NS0_5tupleIJSF_S6_EEENSH_IJSG_SG_EEES6_PlJNSB_9not_fun_tINSB_10functional5actorINSM_9compositeIJNSM_27transparent_binary_operatorINSA_8equal_toIvEEEENSN_INSM_8argumentILj0EEEEENSM_5valueIyEEEEEEEEEEEE10hipError_tPvRmT3_T4_T5_T6_T7_T9_mT8_P12ihipStream_tbDpT10_ENKUlT_T0_E_clISt17integral_constantIbLb1EES1K_EEDaS1F_S1G_EUlS1F_E_NS1_11comp_targetILNS1_3genE2ELNS1_11target_archE906ELNS1_3gpuE6ELNS1_3repE0EEENS1_30default_config_static_selectorELNS0_4arch9wavefront6targetE0EEEvT1_.uses_flat_scratch, 0
	.set _ZN7rocprim17ROCPRIM_400000_NS6detail17trampoline_kernelINS0_14default_configENS1_25partition_config_selectorILNS1_17partition_subalgoE6EyNS0_10empty_typeEbEEZZNS1_14partition_implILS5_6ELb0ES3_mN6thrust23THRUST_200600_302600_NS6detail15normal_iteratorINSA_10device_ptrIyEEEEPS6_SG_NS0_5tupleIJSF_S6_EEENSH_IJSG_SG_EEES6_PlJNSB_9not_fun_tINSB_10functional5actorINSM_9compositeIJNSM_27transparent_binary_operatorINSA_8equal_toIvEEEENSN_INSM_8argumentILj0EEEEENSM_5valueIyEEEEEEEEEEEE10hipError_tPvRmT3_T4_T5_T6_T7_T9_mT8_P12ihipStream_tbDpT10_ENKUlT_T0_E_clISt17integral_constantIbLb1EES1K_EEDaS1F_S1G_EUlS1F_E_NS1_11comp_targetILNS1_3genE2ELNS1_11target_archE906ELNS1_3gpuE6ELNS1_3repE0EEENS1_30default_config_static_selectorELNS0_4arch9wavefront6targetE0EEEvT1_.has_dyn_sized_stack, 0
	.set _ZN7rocprim17ROCPRIM_400000_NS6detail17trampoline_kernelINS0_14default_configENS1_25partition_config_selectorILNS1_17partition_subalgoE6EyNS0_10empty_typeEbEEZZNS1_14partition_implILS5_6ELb0ES3_mN6thrust23THRUST_200600_302600_NS6detail15normal_iteratorINSA_10device_ptrIyEEEEPS6_SG_NS0_5tupleIJSF_S6_EEENSH_IJSG_SG_EEES6_PlJNSB_9not_fun_tINSB_10functional5actorINSM_9compositeIJNSM_27transparent_binary_operatorINSA_8equal_toIvEEEENSN_INSM_8argumentILj0EEEEENSM_5valueIyEEEEEEEEEEEE10hipError_tPvRmT3_T4_T5_T6_T7_T9_mT8_P12ihipStream_tbDpT10_ENKUlT_T0_E_clISt17integral_constantIbLb1EES1K_EEDaS1F_S1G_EUlS1F_E_NS1_11comp_targetILNS1_3genE2ELNS1_11target_archE906ELNS1_3gpuE6ELNS1_3repE0EEENS1_30default_config_static_selectorELNS0_4arch9wavefront6targetE0EEEvT1_.has_recursion, 0
	.set _ZN7rocprim17ROCPRIM_400000_NS6detail17trampoline_kernelINS0_14default_configENS1_25partition_config_selectorILNS1_17partition_subalgoE6EyNS0_10empty_typeEbEEZZNS1_14partition_implILS5_6ELb0ES3_mN6thrust23THRUST_200600_302600_NS6detail15normal_iteratorINSA_10device_ptrIyEEEEPS6_SG_NS0_5tupleIJSF_S6_EEENSH_IJSG_SG_EEES6_PlJNSB_9not_fun_tINSB_10functional5actorINSM_9compositeIJNSM_27transparent_binary_operatorINSA_8equal_toIvEEEENSN_INSM_8argumentILj0EEEEENSM_5valueIyEEEEEEEEEEEE10hipError_tPvRmT3_T4_T5_T6_T7_T9_mT8_P12ihipStream_tbDpT10_ENKUlT_T0_E_clISt17integral_constantIbLb1EES1K_EEDaS1F_S1G_EUlS1F_E_NS1_11comp_targetILNS1_3genE2ELNS1_11target_archE906ELNS1_3gpuE6ELNS1_3repE0EEENS1_30default_config_static_selectorELNS0_4arch9wavefront6targetE0EEEvT1_.has_indirect_call, 0
	.section	.AMDGPU.csdata,"",@progbits
; Kernel info:
; codeLenInByte = 0
; TotalNumSgprs: 0
; NumVgprs: 0
; ScratchSize: 0
; MemoryBound: 0
; FloatMode: 240
; IeeeMode: 1
; LDSByteSize: 0 bytes/workgroup (compile time only)
; SGPRBlocks: 0
; VGPRBlocks: 0
; NumSGPRsForWavesPerEU: 1
; NumVGPRsForWavesPerEU: 1
; Occupancy: 16
; WaveLimiterHint : 0
; COMPUTE_PGM_RSRC2:SCRATCH_EN: 0
; COMPUTE_PGM_RSRC2:USER_SGPR: 2
; COMPUTE_PGM_RSRC2:TRAP_HANDLER: 0
; COMPUTE_PGM_RSRC2:TGID_X_EN: 1
; COMPUTE_PGM_RSRC2:TGID_Y_EN: 0
; COMPUTE_PGM_RSRC2:TGID_Z_EN: 0
; COMPUTE_PGM_RSRC2:TIDIG_COMP_CNT: 0
	.section	.text._ZN7rocprim17ROCPRIM_400000_NS6detail17trampoline_kernelINS0_14default_configENS1_25partition_config_selectorILNS1_17partition_subalgoE6EyNS0_10empty_typeEbEEZZNS1_14partition_implILS5_6ELb0ES3_mN6thrust23THRUST_200600_302600_NS6detail15normal_iteratorINSA_10device_ptrIyEEEEPS6_SG_NS0_5tupleIJSF_S6_EEENSH_IJSG_SG_EEES6_PlJNSB_9not_fun_tINSB_10functional5actorINSM_9compositeIJNSM_27transparent_binary_operatorINSA_8equal_toIvEEEENSN_INSM_8argumentILj0EEEEENSM_5valueIyEEEEEEEEEEEE10hipError_tPvRmT3_T4_T5_T6_T7_T9_mT8_P12ihipStream_tbDpT10_ENKUlT_T0_E_clISt17integral_constantIbLb1EES1K_EEDaS1F_S1G_EUlS1F_E_NS1_11comp_targetILNS1_3genE10ELNS1_11target_archE1200ELNS1_3gpuE4ELNS1_3repE0EEENS1_30default_config_static_selectorELNS0_4arch9wavefront6targetE0EEEvT1_,"axG",@progbits,_ZN7rocprim17ROCPRIM_400000_NS6detail17trampoline_kernelINS0_14default_configENS1_25partition_config_selectorILNS1_17partition_subalgoE6EyNS0_10empty_typeEbEEZZNS1_14partition_implILS5_6ELb0ES3_mN6thrust23THRUST_200600_302600_NS6detail15normal_iteratorINSA_10device_ptrIyEEEEPS6_SG_NS0_5tupleIJSF_S6_EEENSH_IJSG_SG_EEES6_PlJNSB_9not_fun_tINSB_10functional5actorINSM_9compositeIJNSM_27transparent_binary_operatorINSA_8equal_toIvEEEENSN_INSM_8argumentILj0EEEEENSM_5valueIyEEEEEEEEEEEE10hipError_tPvRmT3_T4_T5_T6_T7_T9_mT8_P12ihipStream_tbDpT10_ENKUlT_T0_E_clISt17integral_constantIbLb1EES1K_EEDaS1F_S1G_EUlS1F_E_NS1_11comp_targetILNS1_3genE10ELNS1_11target_archE1200ELNS1_3gpuE4ELNS1_3repE0EEENS1_30default_config_static_selectorELNS0_4arch9wavefront6targetE0EEEvT1_,comdat
	.protected	_ZN7rocprim17ROCPRIM_400000_NS6detail17trampoline_kernelINS0_14default_configENS1_25partition_config_selectorILNS1_17partition_subalgoE6EyNS0_10empty_typeEbEEZZNS1_14partition_implILS5_6ELb0ES3_mN6thrust23THRUST_200600_302600_NS6detail15normal_iteratorINSA_10device_ptrIyEEEEPS6_SG_NS0_5tupleIJSF_S6_EEENSH_IJSG_SG_EEES6_PlJNSB_9not_fun_tINSB_10functional5actorINSM_9compositeIJNSM_27transparent_binary_operatorINSA_8equal_toIvEEEENSN_INSM_8argumentILj0EEEEENSM_5valueIyEEEEEEEEEEEE10hipError_tPvRmT3_T4_T5_T6_T7_T9_mT8_P12ihipStream_tbDpT10_ENKUlT_T0_E_clISt17integral_constantIbLb1EES1K_EEDaS1F_S1G_EUlS1F_E_NS1_11comp_targetILNS1_3genE10ELNS1_11target_archE1200ELNS1_3gpuE4ELNS1_3repE0EEENS1_30default_config_static_selectorELNS0_4arch9wavefront6targetE0EEEvT1_ ; -- Begin function _ZN7rocprim17ROCPRIM_400000_NS6detail17trampoline_kernelINS0_14default_configENS1_25partition_config_selectorILNS1_17partition_subalgoE6EyNS0_10empty_typeEbEEZZNS1_14partition_implILS5_6ELb0ES3_mN6thrust23THRUST_200600_302600_NS6detail15normal_iteratorINSA_10device_ptrIyEEEEPS6_SG_NS0_5tupleIJSF_S6_EEENSH_IJSG_SG_EEES6_PlJNSB_9not_fun_tINSB_10functional5actorINSM_9compositeIJNSM_27transparent_binary_operatorINSA_8equal_toIvEEEENSN_INSM_8argumentILj0EEEEENSM_5valueIyEEEEEEEEEEEE10hipError_tPvRmT3_T4_T5_T6_T7_T9_mT8_P12ihipStream_tbDpT10_ENKUlT_T0_E_clISt17integral_constantIbLb1EES1K_EEDaS1F_S1G_EUlS1F_E_NS1_11comp_targetILNS1_3genE10ELNS1_11target_archE1200ELNS1_3gpuE4ELNS1_3repE0EEENS1_30default_config_static_selectorELNS0_4arch9wavefront6targetE0EEEvT1_
	.globl	_ZN7rocprim17ROCPRIM_400000_NS6detail17trampoline_kernelINS0_14default_configENS1_25partition_config_selectorILNS1_17partition_subalgoE6EyNS0_10empty_typeEbEEZZNS1_14partition_implILS5_6ELb0ES3_mN6thrust23THRUST_200600_302600_NS6detail15normal_iteratorINSA_10device_ptrIyEEEEPS6_SG_NS0_5tupleIJSF_S6_EEENSH_IJSG_SG_EEES6_PlJNSB_9not_fun_tINSB_10functional5actorINSM_9compositeIJNSM_27transparent_binary_operatorINSA_8equal_toIvEEEENSN_INSM_8argumentILj0EEEEENSM_5valueIyEEEEEEEEEEEE10hipError_tPvRmT3_T4_T5_T6_T7_T9_mT8_P12ihipStream_tbDpT10_ENKUlT_T0_E_clISt17integral_constantIbLb1EES1K_EEDaS1F_S1G_EUlS1F_E_NS1_11comp_targetILNS1_3genE10ELNS1_11target_archE1200ELNS1_3gpuE4ELNS1_3repE0EEENS1_30default_config_static_selectorELNS0_4arch9wavefront6targetE0EEEvT1_
	.p2align	8
	.type	_ZN7rocprim17ROCPRIM_400000_NS6detail17trampoline_kernelINS0_14default_configENS1_25partition_config_selectorILNS1_17partition_subalgoE6EyNS0_10empty_typeEbEEZZNS1_14partition_implILS5_6ELb0ES3_mN6thrust23THRUST_200600_302600_NS6detail15normal_iteratorINSA_10device_ptrIyEEEEPS6_SG_NS0_5tupleIJSF_S6_EEENSH_IJSG_SG_EEES6_PlJNSB_9not_fun_tINSB_10functional5actorINSM_9compositeIJNSM_27transparent_binary_operatorINSA_8equal_toIvEEEENSN_INSM_8argumentILj0EEEEENSM_5valueIyEEEEEEEEEEEE10hipError_tPvRmT3_T4_T5_T6_T7_T9_mT8_P12ihipStream_tbDpT10_ENKUlT_T0_E_clISt17integral_constantIbLb1EES1K_EEDaS1F_S1G_EUlS1F_E_NS1_11comp_targetILNS1_3genE10ELNS1_11target_archE1200ELNS1_3gpuE4ELNS1_3repE0EEENS1_30default_config_static_selectorELNS0_4arch9wavefront6targetE0EEEvT1_,@function
_ZN7rocprim17ROCPRIM_400000_NS6detail17trampoline_kernelINS0_14default_configENS1_25partition_config_selectorILNS1_17partition_subalgoE6EyNS0_10empty_typeEbEEZZNS1_14partition_implILS5_6ELb0ES3_mN6thrust23THRUST_200600_302600_NS6detail15normal_iteratorINSA_10device_ptrIyEEEEPS6_SG_NS0_5tupleIJSF_S6_EEENSH_IJSG_SG_EEES6_PlJNSB_9not_fun_tINSB_10functional5actorINSM_9compositeIJNSM_27transparent_binary_operatorINSA_8equal_toIvEEEENSN_INSM_8argumentILj0EEEEENSM_5valueIyEEEEEEEEEEEE10hipError_tPvRmT3_T4_T5_T6_T7_T9_mT8_P12ihipStream_tbDpT10_ENKUlT_T0_E_clISt17integral_constantIbLb1EES1K_EEDaS1F_S1G_EUlS1F_E_NS1_11comp_targetILNS1_3genE10ELNS1_11target_archE1200ELNS1_3gpuE4ELNS1_3repE0EEENS1_30default_config_static_selectorELNS0_4arch9wavefront6targetE0EEEvT1_: ; @_ZN7rocprim17ROCPRIM_400000_NS6detail17trampoline_kernelINS0_14default_configENS1_25partition_config_selectorILNS1_17partition_subalgoE6EyNS0_10empty_typeEbEEZZNS1_14partition_implILS5_6ELb0ES3_mN6thrust23THRUST_200600_302600_NS6detail15normal_iteratorINSA_10device_ptrIyEEEEPS6_SG_NS0_5tupleIJSF_S6_EEENSH_IJSG_SG_EEES6_PlJNSB_9not_fun_tINSB_10functional5actorINSM_9compositeIJNSM_27transparent_binary_operatorINSA_8equal_toIvEEEENSN_INSM_8argumentILj0EEEEENSM_5valueIyEEEEEEEEEEEE10hipError_tPvRmT3_T4_T5_T6_T7_T9_mT8_P12ihipStream_tbDpT10_ENKUlT_T0_E_clISt17integral_constantIbLb1EES1K_EEDaS1F_S1G_EUlS1F_E_NS1_11comp_targetILNS1_3genE10ELNS1_11target_archE1200ELNS1_3gpuE4ELNS1_3repE0EEENS1_30default_config_static_selectorELNS0_4arch9wavefront6targetE0EEEvT1_
; %bb.0:
	s_endpgm
	.section	.rodata,"a",@progbits
	.p2align	6, 0x0
	.amdhsa_kernel _ZN7rocprim17ROCPRIM_400000_NS6detail17trampoline_kernelINS0_14default_configENS1_25partition_config_selectorILNS1_17partition_subalgoE6EyNS0_10empty_typeEbEEZZNS1_14partition_implILS5_6ELb0ES3_mN6thrust23THRUST_200600_302600_NS6detail15normal_iteratorINSA_10device_ptrIyEEEEPS6_SG_NS0_5tupleIJSF_S6_EEENSH_IJSG_SG_EEES6_PlJNSB_9not_fun_tINSB_10functional5actorINSM_9compositeIJNSM_27transparent_binary_operatorINSA_8equal_toIvEEEENSN_INSM_8argumentILj0EEEEENSM_5valueIyEEEEEEEEEEEE10hipError_tPvRmT3_T4_T5_T6_T7_T9_mT8_P12ihipStream_tbDpT10_ENKUlT_T0_E_clISt17integral_constantIbLb1EES1K_EEDaS1F_S1G_EUlS1F_E_NS1_11comp_targetILNS1_3genE10ELNS1_11target_archE1200ELNS1_3gpuE4ELNS1_3repE0EEENS1_30default_config_static_selectorELNS0_4arch9wavefront6targetE0EEEvT1_
		.amdhsa_group_segment_fixed_size 0
		.amdhsa_private_segment_fixed_size 0
		.amdhsa_kernarg_size 136
		.amdhsa_user_sgpr_count 2
		.amdhsa_user_sgpr_dispatch_ptr 0
		.amdhsa_user_sgpr_queue_ptr 0
		.amdhsa_user_sgpr_kernarg_segment_ptr 1
		.amdhsa_user_sgpr_dispatch_id 0
		.amdhsa_user_sgpr_private_segment_size 0
		.amdhsa_wavefront_size32 1
		.amdhsa_uses_dynamic_stack 0
		.amdhsa_enable_private_segment 0
		.amdhsa_system_sgpr_workgroup_id_x 1
		.amdhsa_system_sgpr_workgroup_id_y 0
		.amdhsa_system_sgpr_workgroup_id_z 0
		.amdhsa_system_sgpr_workgroup_info 0
		.amdhsa_system_vgpr_workitem_id 0
		.amdhsa_next_free_vgpr 1
		.amdhsa_next_free_sgpr 1
		.amdhsa_reserve_vcc 0
		.amdhsa_float_round_mode_32 0
		.amdhsa_float_round_mode_16_64 0
		.amdhsa_float_denorm_mode_32 3
		.amdhsa_float_denorm_mode_16_64 3
		.amdhsa_fp16_overflow 0
		.amdhsa_workgroup_processor_mode 1
		.amdhsa_memory_ordered 1
		.amdhsa_forward_progress 1
		.amdhsa_inst_pref_size 1
		.amdhsa_round_robin_scheduling 0
		.amdhsa_exception_fp_ieee_invalid_op 0
		.amdhsa_exception_fp_denorm_src 0
		.amdhsa_exception_fp_ieee_div_zero 0
		.amdhsa_exception_fp_ieee_overflow 0
		.amdhsa_exception_fp_ieee_underflow 0
		.amdhsa_exception_fp_ieee_inexact 0
		.amdhsa_exception_int_div_zero 0
	.end_amdhsa_kernel
	.section	.text._ZN7rocprim17ROCPRIM_400000_NS6detail17trampoline_kernelINS0_14default_configENS1_25partition_config_selectorILNS1_17partition_subalgoE6EyNS0_10empty_typeEbEEZZNS1_14partition_implILS5_6ELb0ES3_mN6thrust23THRUST_200600_302600_NS6detail15normal_iteratorINSA_10device_ptrIyEEEEPS6_SG_NS0_5tupleIJSF_S6_EEENSH_IJSG_SG_EEES6_PlJNSB_9not_fun_tINSB_10functional5actorINSM_9compositeIJNSM_27transparent_binary_operatorINSA_8equal_toIvEEEENSN_INSM_8argumentILj0EEEEENSM_5valueIyEEEEEEEEEEEE10hipError_tPvRmT3_T4_T5_T6_T7_T9_mT8_P12ihipStream_tbDpT10_ENKUlT_T0_E_clISt17integral_constantIbLb1EES1K_EEDaS1F_S1G_EUlS1F_E_NS1_11comp_targetILNS1_3genE10ELNS1_11target_archE1200ELNS1_3gpuE4ELNS1_3repE0EEENS1_30default_config_static_selectorELNS0_4arch9wavefront6targetE0EEEvT1_,"axG",@progbits,_ZN7rocprim17ROCPRIM_400000_NS6detail17trampoline_kernelINS0_14default_configENS1_25partition_config_selectorILNS1_17partition_subalgoE6EyNS0_10empty_typeEbEEZZNS1_14partition_implILS5_6ELb0ES3_mN6thrust23THRUST_200600_302600_NS6detail15normal_iteratorINSA_10device_ptrIyEEEEPS6_SG_NS0_5tupleIJSF_S6_EEENSH_IJSG_SG_EEES6_PlJNSB_9not_fun_tINSB_10functional5actorINSM_9compositeIJNSM_27transparent_binary_operatorINSA_8equal_toIvEEEENSN_INSM_8argumentILj0EEEEENSM_5valueIyEEEEEEEEEEEE10hipError_tPvRmT3_T4_T5_T6_T7_T9_mT8_P12ihipStream_tbDpT10_ENKUlT_T0_E_clISt17integral_constantIbLb1EES1K_EEDaS1F_S1G_EUlS1F_E_NS1_11comp_targetILNS1_3genE10ELNS1_11target_archE1200ELNS1_3gpuE4ELNS1_3repE0EEENS1_30default_config_static_selectorELNS0_4arch9wavefront6targetE0EEEvT1_,comdat
.Lfunc_end93:
	.size	_ZN7rocprim17ROCPRIM_400000_NS6detail17trampoline_kernelINS0_14default_configENS1_25partition_config_selectorILNS1_17partition_subalgoE6EyNS0_10empty_typeEbEEZZNS1_14partition_implILS5_6ELb0ES3_mN6thrust23THRUST_200600_302600_NS6detail15normal_iteratorINSA_10device_ptrIyEEEEPS6_SG_NS0_5tupleIJSF_S6_EEENSH_IJSG_SG_EEES6_PlJNSB_9not_fun_tINSB_10functional5actorINSM_9compositeIJNSM_27transparent_binary_operatorINSA_8equal_toIvEEEENSN_INSM_8argumentILj0EEEEENSM_5valueIyEEEEEEEEEEEE10hipError_tPvRmT3_T4_T5_T6_T7_T9_mT8_P12ihipStream_tbDpT10_ENKUlT_T0_E_clISt17integral_constantIbLb1EES1K_EEDaS1F_S1G_EUlS1F_E_NS1_11comp_targetILNS1_3genE10ELNS1_11target_archE1200ELNS1_3gpuE4ELNS1_3repE0EEENS1_30default_config_static_selectorELNS0_4arch9wavefront6targetE0EEEvT1_, .Lfunc_end93-_ZN7rocprim17ROCPRIM_400000_NS6detail17trampoline_kernelINS0_14default_configENS1_25partition_config_selectorILNS1_17partition_subalgoE6EyNS0_10empty_typeEbEEZZNS1_14partition_implILS5_6ELb0ES3_mN6thrust23THRUST_200600_302600_NS6detail15normal_iteratorINSA_10device_ptrIyEEEEPS6_SG_NS0_5tupleIJSF_S6_EEENSH_IJSG_SG_EEES6_PlJNSB_9not_fun_tINSB_10functional5actorINSM_9compositeIJNSM_27transparent_binary_operatorINSA_8equal_toIvEEEENSN_INSM_8argumentILj0EEEEENSM_5valueIyEEEEEEEEEEEE10hipError_tPvRmT3_T4_T5_T6_T7_T9_mT8_P12ihipStream_tbDpT10_ENKUlT_T0_E_clISt17integral_constantIbLb1EES1K_EEDaS1F_S1G_EUlS1F_E_NS1_11comp_targetILNS1_3genE10ELNS1_11target_archE1200ELNS1_3gpuE4ELNS1_3repE0EEENS1_30default_config_static_selectorELNS0_4arch9wavefront6targetE0EEEvT1_
                                        ; -- End function
	.set _ZN7rocprim17ROCPRIM_400000_NS6detail17trampoline_kernelINS0_14default_configENS1_25partition_config_selectorILNS1_17partition_subalgoE6EyNS0_10empty_typeEbEEZZNS1_14partition_implILS5_6ELb0ES3_mN6thrust23THRUST_200600_302600_NS6detail15normal_iteratorINSA_10device_ptrIyEEEEPS6_SG_NS0_5tupleIJSF_S6_EEENSH_IJSG_SG_EEES6_PlJNSB_9not_fun_tINSB_10functional5actorINSM_9compositeIJNSM_27transparent_binary_operatorINSA_8equal_toIvEEEENSN_INSM_8argumentILj0EEEEENSM_5valueIyEEEEEEEEEEEE10hipError_tPvRmT3_T4_T5_T6_T7_T9_mT8_P12ihipStream_tbDpT10_ENKUlT_T0_E_clISt17integral_constantIbLb1EES1K_EEDaS1F_S1G_EUlS1F_E_NS1_11comp_targetILNS1_3genE10ELNS1_11target_archE1200ELNS1_3gpuE4ELNS1_3repE0EEENS1_30default_config_static_selectorELNS0_4arch9wavefront6targetE0EEEvT1_.num_vgpr, 0
	.set _ZN7rocprim17ROCPRIM_400000_NS6detail17trampoline_kernelINS0_14default_configENS1_25partition_config_selectorILNS1_17partition_subalgoE6EyNS0_10empty_typeEbEEZZNS1_14partition_implILS5_6ELb0ES3_mN6thrust23THRUST_200600_302600_NS6detail15normal_iteratorINSA_10device_ptrIyEEEEPS6_SG_NS0_5tupleIJSF_S6_EEENSH_IJSG_SG_EEES6_PlJNSB_9not_fun_tINSB_10functional5actorINSM_9compositeIJNSM_27transparent_binary_operatorINSA_8equal_toIvEEEENSN_INSM_8argumentILj0EEEEENSM_5valueIyEEEEEEEEEEEE10hipError_tPvRmT3_T4_T5_T6_T7_T9_mT8_P12ihipStream_tbDpT10_ENKUlT_T0_E_clISt17integral_constantIbLb1EES1K_EEDaS1F_S1G_EUlS1F_E_NS1_11comp_targetILNS1_3genE10ELNS1_11target_archE1200ELNS1_3gpuE4ELNS1_3repE0EEENS1_30default_config_static_selectorELNS0_4arch9wavefront6targetE0EEEvT1_.num_agpr, 0
	.set _ZN7rocprim17ROCPRIM_400000_NS6detail17trampoline_kernelINS0_14default_configENS1_25partition_config_selectorILNS1_17partition_subalgoE6EyNS0_10empty_typeEbEEZZNS1_14partition_implILS5_6ELb0ES3_mN6thrust23THRUST_200600_302600_NS6detail15normal_iteratorINSA_10device_ptrIyEEEEPS6_SG_NS0_5tupleIJSF_S6_EEENSH_IJSG_SG_EEES6_PlJNSB_9not_fun_tINSB_10functional5actorINSM_9compositeIJNSM_27transparent_binary_operatorINSA_8equal_toIvEEEENSN_INSM_8argumentILj0EEEEENSM_5valueIyEEEEEEEEEEEE10hipError_tPvRmT3_T4_T5_T6_T7_T9_mT8_P12ihipStream_tbDpT10_ENKUlT_T0_E_clISt17integral_constantIbLb1EES1K_EEDaS1F_S1G_EUlS1F_E_NS1_11comp_targetILNS1_3genE10ELNS1_11target_archE1200ELNS1_3gpuE4ELNS1_3repE0EEENS1_30default_config_static_selectorELNS0_4arch9wavefront6targetE0EEEvT1_.numbered_sgpr, 0
	.set _ZN7rocprim17ROCPRIM_400000_NS6detail17trampoline_kernelINS0_14default_configENS1_25partition_config_selectorILNS1_17partition_subalgoE6EyNS0_10empty_typeEbEEZZNS1_14partition_implILS5_6ELb0ES3_mN6thrust23THRUST_200600_302600_NS6detail15normal_iteratorINSA_10device_ptrIyEEEEPS6_SG_NS0_5tupleIJSF_S6_EEENSH_IJSG_SG_EEES6_PlJNSB_9not_fun_tINSB_10functional5actorINSM_9compositeIJNSM_27transparent_binary_operatorINSA_8equal_toIvEEEENSN_INSM_8argumentILj0EEEEENSM_5valueIyEEEEEEEEEEEE10hipError_tPvRmT3_T4_T5_T6_T7_T9_mT8_P12ihipStream_tbDpT10_ENKUlT_T0_E_clISt17integral_constantIbLb1EES1K_EEDaS1F_S1G_EUlS1F_E_NS1_11comp_targetILNS1_3genE10ELNS1_11target_archE1200ELNS1_3gpuE4ELNS1_3repE0EEENS1_30default_config_static_selectorELNS0_4arch9wavefront6targetE0EEEvT1_.num_named_barrier, 0
	.set _ZN7rocprim17ROCPRIM_400000_NS6detail17trampoline_kernelINS0_14default_configENS1_25partition_config_selectorILNS1_17partition_subalgoE6EyNS0_10empty_typeEbEEZZNS1_14partition_implILS5_6ELb0ES3_mN6thrust23THRUST_200600_302600_NS6detail15normal_iteratorINSA_10device_ptrIyEEEEPS6_SG_NS0_5tupleIJSF_S6_EEENSH_IJSG_SG_EEES6_PlJNSB_9not_fun_tINSB_10functional5actorINSM_9compositeIJNSM_27transparent_binary_operatorINSA_8equal_toIvEEEENSN_INSM_8argumentILj0EEEEENSM_5valueIyEEEEEEEEEEEE10hipError_tPvRmT3_T4_T5_T6_T7_T9_mT8_P12ihipStream_tbDpT10_ENKUlT_T0_E_clISt17integral_constantIbLb1EES1K_EEDaS1F_S1G_EUlS1F_E_NS1_11comp_targetILNS1_3genE10ELNS1_11target_archE1200ELNS1_3gpuE4ELNS1_3repE0EEENS1_30default_config_static_selectorELNS0_4arch9wavefront6targetE0EEEvT1_.private_seg_size, 0
	.set _ZN7rocprim17ROCPRIM_400000_NS6detail17trampoline_kernelINS0_14default_configENS1_25partition_config_selectorILNS1_17partition_subalgoE6EyNS0_10empty_typeEbEEZZNS1_14partition_implILS5_6ELb0ES3_mN6thrust23THRUST_200600_302600_NS6detail15normal_iteratorINSA_10device_ptrIyEEEEPS6_SG_NS0_5tupleIJSF_S6_EEENSH_IJSG_SG_EEES6_PlJNSB_9not_fun_tINSB_10functional5actorINSM_9compositeIJNSM_27transparent_binary_operatorINSA_8equal_toIvEEEENSN_INSM_8argumentILj0EEEEENSM_5valueIyEEEEEEEEEEEE10hipError_tPvRmT3_T4_T5_T6_T7_T9_mT8_P12ihipStream_tbDpT10_ENKUlT_T0_E_clISt17integral_constantIbLb1EES1K_EEDaS1F_S1G_EUlS1F_E_NS1_11comp_targetILNS1_3genE10ELNS1_11target_archE1200ELNS1_3gpuE4ELNS1_3repE0EEENS1_30default_config_static_selectorELNS0_4arch9wavefront6targetE0EEEvT1_.uses_vcc, 0
	.set _ZN7rocprim17ROCPRIM_400000_NS6detail17trampoline_kernelINS0_14default_configENS1_25partition_config_selectorILNS1_17partition_subalgoE6EyNS0_10empty_typeEbEEZZNS1_14partition_implILS5_6ELb0ES3_mN6thrust23THRUST_200600_302600_NS6detail15normal_iteratorINSA_10device_ptrIyEEEEPS6_SG_NS0_5tupleIJSF_S6_EEENSH_IJSG_SG_EEES6_PlJNSB_9not_fun_tINSB_10functional5actorINSM_9compositeIJNSM_27transparent_binary_operatorINSA_8equal_toIvEEEENSN_INSM_8argumentILj0EEEEENSM_5valueIyEEEEEEEEEEEE10hipError_tPvRmT3_T4_T5_T6_T7_T9_mT8_P12ihipStream_tbDpT10_ENKUlT_T0_E_clISt17integral_constantIbLb1EES1K_EEDaS1F_S1G_EUlS1F_E_NS1_11comp_targetILNS1_3genE10ELNS1_11target_archE1200ELNS1_3gpuE4ELNS1_3repE0EEENS1_30default_config_static_selectorELNS0_4arch9wavefront6targetE0EEEvT1_.uses_flat_scratch, 0
	.set _ZN7rocprim17ROCPRIM_400000_NS6detail17trampoline_kernelINS0_14default_configENS1_25partition_config_selectorILNS1_17partition_subalgoE6EyNS0_10empty_typeEbEEZZNS1_14partition_implILS5_6ELb0ES3_mN6thrust23THRUST_200600_302600_NS6detail15normal_iteratorINSA_10device_ptrIyEEEEPS6_SG_NS0_5tupleIJSF_S6_EEENSH_IJSG_SG_EEES6_PlJNSB_9not_fun_tINSB_10functional5actorINSM_9compositeIJNSM_27transparent_binary_operatorINSA_8equal_toIvEEEENSN_INSM_8argumentILj0EEEEENSM_5valueIyEEEEEEEEEEEE10hipError_tPvRmT3_T4_T5_T6_T7_T9_mT8_P12ihipStream_tbDpT10_ENKUlT_T0_E_clISt17integral_constantIbLb1EES1K_EEDaS1F_S1G_EUlS1F_E_NS1_11comp_targetILNS1_3genE10ELNS1_11target_archE1200ELNS1_3gpuE4ELNS1_3repE0EEENS1_30default_config_static_selectorELNS0_4arch9wavefront6targetE0EEEvT1_.has_dyn_sized_stack, 0
	.set _ZN7rocprim17ROCPRIM_400000_NS6detail17trampoline_kernelINS0_14default_configENS1_25partition_config_selectorILNS1_17partition_subalgoE6EyNS0_10empty_typeEbEEZZNS1_14partition_implILS5_6ELb0ES3_mN6thrust23THRUST_200600_302600_NS6detail15normal_iteratorINSA_10device_ptrIyEEEEPS6_SG_NS0_5tupleIJSF_S6_EEENSH_IJSG_SG_EEES6_PlJNSB_9not_fun_tINSB_10functional5actorINSM_9compositeIJNSM_27transparent_binary_operatorINSA_8equal_toIvEEEENSN_INSM_8argumentILj0EEEEENSM_5valueIyEEEEEEEEEEEE10hipError_tPvRmT3_T4_T5_T6_T7_T9_mT8_P12ihipStream_tbDpT10_ENKUlT_T0_E_clISt17integral_constantIbLb1EES1K_EEDaS1F_S1G_EUlS1F_E_NS1_11comp_targetILNS1_3genE10ELNS1_11target_archE1200ELNS1_3gpuE4ELNS1_3repE0EEENS1_30default_config_static_selectorELNS0_4arch9wavefront6targetE0EEEvT1_.has_recursion, 0
	.set _ZN7rocprim17ROCPRIM_400000_NS6detail17trampoline_kernelINS0_14default_configENS1_25partition_config_selectorILNS1_17partition_subalgoE6EyNS0_10empty_typeEbEEZZNS1_14partition_implILS5_6ELb0ES3_mN6thrust23THRUST_200600_302600_NS6detail15normal_iteratorINSA_10device_ptrIyEEEEPS6_SG_NS0_5tupleIJSF_S6_EEENSH_IJSG_SG_EEES6_PlJNSB_9not_fun_tINSB_10functional5actorINSM_9compositeIJNSM_27transparent_binary_operatorINSA_8equal_toIvEEEENSN_INSM_8argumentILj0EEEEENSM_5valueIyEEEEEEEEEEEE10hipError_tPvRmT3_T4_T5_T6_T7_T9_mT8_P12ihipStream_tbDpT10_ENKUlT_T0_E_clISt17integral_constantIbLb1EES1K_EEDaS1F_S1G_EUlS1F_E_NS1_11comp_targetILNS1_3genE10ELNS1_11target_archE1200ELNS1_3gpuE4ELNS1_3repE0EEENS1_30default_config_static_selectorELNS0_4arch9wavefront6targetE0EEEvT1_.has_indirect_call, 0
	.section	.AMDGPU.csdata,"",@progbits
; Kernel info:
; codeLenInByte = 4
; TotalNumSgprs: 0
; NumVgprs: 0
; ScratchSize: 0
; MemoryBound: 0
; FloatMode: 240
; IeeeMode: 1
; LDSByteSize: 0 bytes/workgroup (compile time only)
; SGPRBlocks: 0
; VGPRBlocks: 0
; NumSGPRsForWavesPerEU: 1
; NumVGPRsForWavesPerEU: 1
; Occupancy: 16
; WaveLimiterHint : 0
; COMPUTE_PGM_RSRC2:SCRATCH_EN: 0
; COMPUTE_PGM_RSRC2:USER_SGPR: 2
; COMPUTE_PGM_RSRC2:TRAP_HANDLER: 0
; COMPUTE_PGM_RSRC2:TGID_X_EN: 1
; COMPUTE_PGM_RSRC2:TGID_Y_EN: 0
; COMPUTE_PGM_RSRC2:TGID_Z_EN: 0
; COMPUTE_PGM_RSRC2:TIDIG_COMP_CNT: 0
	.section	.text._ZN7rocprim17ROCPRIM_400000_NS6detail17trampoline_kernelINS0_14default_configENS1_25partition_config_selectorILNS1_17partition_subalgoE6EyNS0_10empty_typeEbEEZZNS1_14partition_implILS5_6ELb0ES3_mN6thrust23THRUST_200600_302600_NS6detail15normal_iteratorINSA_10device_ptrIyEEEEPS6_SG_NS0_5tupleIJSF_S6_EEENSH_IJSG_SG_EEES6_PlJNSB_9not_fun_tINSB_10functional5actorINSM_9compositeIJNSM_27transparent_binary_operatorINSA_8equal_toIvEEEENSN_INSM_8argumentILj0EEEEENSM_5valueIyEEEEEEEEEEEE10hipError_tPvRmT3_T4_T5_T6_T7_T9_mT8_P12ihipStream_tbDpT10_ENKUlT_T0_E_clISt17integral_constantIbLb1EES1K_EEDaS1F_S1G_EUlS1F_E_NS1_11comp_targetILNS1_3genE9ELNS1_11target_archE1100ELNS1_3gpuE3ELNS1_3repE0EEENS1_30default_config_static_selectorELNS0_4arch9wavefront6targetE0EEEvT1_,"axG",@progbits,_ZN7rocprim17ROCPRIM_400000_NS6detail17trampoline_kernelINS0_14default_configENS1_25partition_config_selectorILNS1_17partition_subalgoE6EyNS0_10empty_typeEbEEZZNS1_14partition_implILS5_6ELb0ES3_mN6thrust23THRUST_200600_302600_NS6detail15normal_iteratorINSA_10device_ptrIyEEEEPS6_SG_NS0_5tupleIJSF_S6_EEENSH_IJSG_SG_EEES6_PlJNSB_9not_fun_tINSB_10functional5actorINSM_9compositeIJNSM_27transparent_binary_operatorINSA_8equal_toIvEEEENSN_INSM_8argumentILj0EEEEENSM_5valueIyEEEEEEEEEEEE10hipError_tPvRmT3_T4_T5_T6_T7_T9_mT8_P12ihipStream_tbDpT10_ENKUlT_T0_E_clISt17integral_constantIbLb1EES1K_EEDaS1F_S1G_EUlS1F_E_NS1_11comp_targetILNS1_3genE9ELNS1_11target_archE1100ELNS1_3gpuE3ELNS1_3repE0EEENS1_30default_config_static_selectorELNS0_4arch9wavefront6targetE0EEEvT1_,comdat
	.protected	_ZN7rocprim17ROCPRIM_400000_NS6detail17trampoline_kernelINS0_14default_configENS1_25partition_config_selectorILNS1_17partition_subalgoE6EyNS0_10empty_typeEbEEZZNS1_14partition_implILS5_6ELb0ES3_mN6thrust23THRUST_200600_302600_NS6detail15normal_iteratorINSA_10device_ptrIyEEEEPS6_SG_NS0_5tupleIJSF_S6_EEENSH_IJSG_SG_EEES6_PlJNSB_9not_fun_tINSB_10functional5actorINSM_9compositeIJNSM_27transparent_binary_operatorINSA_8equal_toIvEEEENSN_INSM_8argumentILj0EEEEENSM_5valueIyEEEEEEEEEEEE10hipError_tPvRmT3_T4_T5_T6_T7_T9_mT8_P12ihipStream_tbDpT10_ENKUlT_T0_E_clISt17integral_constantIbLb1EES1K_EEDaS1F_S1G_EUlS1F_E_NS1_11comp_targetILNS1_3genE9ELNS1_11target_archE1100ELNS1_3gpuE3ELNS1_3repE0EEENS1_30default_config_static_selectorELNS0_4arch9wavefront6targetE0EEEvT1_ ; -- Begin function _ZN7rocprim17ROCPRIM_400000_NS6detail17trampoline_kernelINS0_14default_configENS1_25partition_config_selectorILNS1_17partition_subalgoE6EyNS0_10empty_typeEbEEZZNS1_14partition_implILS5_6ELb0ES3_mN6thrust23THRUST_200600_302600_NS6detail15normal_iteratorINSA_10device_ptrIyEEEEPS6_SG_NS0_5tupleIJSF_S6_EEENSH_IJSG_SG_EEES6_PlJNSB_9not_fun_tINSB_10functional5actorINSM_9compositeIJNSM_27transparent_binary_operatorINSA_8equal_toIvEEEENSN_INSM_8argumentILj0EEEEENSM_5valueIyEEEEEEEEEEEE10hipError_tPvRmT3_T4_T5_T6_T7_T9_mT8_P12ihipStream_tbDpT10_ENKUlT_T0_E_clISt17integral_constantIbLb1EES1K_EEDaS1F_S1G_EUlS1F_E_NS1_11comp_targetILNS1_3genE9ELNS1_11target_archE1100ELNS1_3gpuE3ELNS1_3repE0EEENS1_30default_config_static_selectorELNS0_4arch9wavefront6targetE0EEEvT1_
	.globl	_ZN7rocprim17ROCPRIM_400000_NS6detail17trampoline_kernelINS0_14default_configENS1_25partition_config_selectorILNS1_17partition_subalgoE6EyNS0_10empty_typeEbEEZZNS1_14partition_implILS5_6ELb0ES3_mN6thrust23THRUST_200600_302600_NS6detail15normal_iteratorINSA_10device_ptrIyEEEEPS6_SG_NS0_5tupleIJSF_S6_EEENSH_IJSG_SG_EEES6_PlJNSB_9not_fun_tINSB_10functional5actorINSM_9compositeIJNSM_27transparent_binary_operatorINSA_8equal_toIvEEEENSN_INSM_8argumentILj0EEEEENSM_5valueIyEEEEEEEEEEEE10hipError_tPvRmT3_T4_T5_T6_T7_T9_mT8_P12ihipStream_tbDpT10_ENKUlT_T0_E_clISt17integral_constantIbLb1EES1K_EEDaS1F_S1G_EUlS1F_E_NS1_11comp_targetILNS1_3genE9ELNS1_11target_archE1100ELNS1_3gpuE3ELNS1_3repE0EEENS1_30default_config_static_selectorELNS0_4arch9wavefront6targetE0EEEvT1_
	.p2align	8
	.type	_ZN7rocprim17ROCPRIM_400000_NS6detail17trampoline_kernelINS0_14default_configENS1_25partition_config_selectorILNS1_17partition_subalgoE6EyNS0_10empty_typeEbEEZZNS1_14partition_implILS5_6ELb0ES3_mN6thrust23THRUST_200600_302600_NS6detail15normal_iteratorINSA_10device_ptrIyEEEEPS6_SG_NS0_5tupleIJSF_S6_EEENSH_IJSG_SG_EEES6_PlJNSB_9not_fun_tINSB_10functional5actorINSM_9compositeIJNSM_27transparent_binary_operatorINSA_8equal_toIvEEEENSN_INSM_8argumentILj0EEEEENSM_5valueIyEEEEEEEEEEEE10hipError_tPvRmT3_T4_T5_T6_T7_T9_mT8_P12ihipStream_tbDpT10_ENKUlT_T0_E_clISt17integral_constantIbLb1EES1K_EEDaS1F_S1G_EUlS1F_E_NS1_11comp_targetILNS1_3genE9ELNS1_11target_archE1100ELNS1_3gpuE3ELNS1_3repE0EEENS1_30default_config_static_selectorELNS0_4arch9wavefront6targetE0EEEvT1_,@function
_ZN7rocprim17ROCPRIM_400000_NS6detail17trampoline_kernelINS0_14default_configENS1_25partition_config_selectorILNS1_17partition_subalgoE6EyNS0_10empty_typeEbEEZZNS1_14partition_implILS5_6ELb0ES3_mN6thrust23THRUST_200600_302600_NS6detail15normal_iteratorINSA_10device_ptrIyEEEEPS6_SG_NS0_5tupleIJSF_S6_EEENSH_IJSG_SG_EEES6_PlJNSB_9not_fun_tINSB_10functional5actorINSM_9compositeIJNSM_27transparent_binary_operatorINSA_8equal_toIvEEEENSN_INSM_8argumentILj0EEEEENSM_5valueIyEEEEEEEEEEEE10hipError_tPvRmT3_T4_T5_T6_T7_T9_mT8_P12ihipStream_tbDpT10_ENKUlT_T0_E_clISt17integral_constantIbLb1EES1K_EEDaS1F_S1G_EUlS1F_E_NS1_11comp_targetILNS1_3genE9ELNS1_11target_archE1100ELNS1_3gpuE3ELNS1_3repE0EEENS1_30default_config_static_selectorELNS0_4arch9wavefront6targetE0EEEvT1_: ; @_ZN7rocprim17ROCPRIM_400000_NS6detail17trampoline_kernelINS0_14default_configENS1_25partition_config_selectorILNS1_17partition_subalgoE6EyNS0_10empty_typeEbEEZZNS1_14partition_implILS5_6ELb0ES3_mN6thrust23THRUST_200600_302600_NS6detail15normal_iteratorINSA_10device_ptrIyEEEEPS6_SG_NS0_5tupleIJSF_S6_EEENSH_IJSG_SG_EEES6_PlJNSB_9not_fun_tINSB_10functional5actorINSM_9compositeIJNSM_27transparent_binary_operatorINSA_8equal_toIvEEEENSN_INSM_8argumentILj0EEEEENSM_5valueIyEEEEEEEEEEEE10hipError_tPvRmT3_T4_T5_T6_T7_T9_mT8_P12ihipStream_tbDpT10_ENKUlT_T0_E_clISt17integral_constantIbLb1EES1K_EEDaS1F_S1G_EUlS1F_E_NS1_11comp_targetILNS1_3genE9ELNS1_11target_archE1100ELNS1_3gpuE3ELNS1_3repE0EEENS1_30default_config_static_selectorELNS0_4arch9wavefront6targetE0EEEvT1_
; %bb.0:
	.section	.rodata,"a",@progbits
	.p2align	6, 0x0
	.amdhsa_kernel _ZN7rocprim17ROCPRIM_400000_NS6detail17trampoline_kernelINS0_14default_configENS1_25partition_config_selectorILNS1_17partition_subalgoE6EyNS0_10empty_typeEbEEZZNS1_14partition_implILS5_6ELb0ES3_mN6thrust23THRUST_200600_302600_NS6detail15normal_iteratorINSA_10device_ptrIyEEEEPS6_SG_NS0_5tupleIJSF_S6_EEENSH_IJSG_SG_EEES6_PlJNSB_9not_fun_tINSB_10functional5actorINSM_9compositeIJNSM_27transparent_binary_operatorINSA_8equal_toIvEEEENSN_INSM_8argumentILj0EEEEENSM_5valueIyEEEEEEEEEEEE10hipError_tPvRmT3_T4_T5_T6_T7_T9_mT8_P12ihipStream_tbDpT10_ENKUlT_T0_E_clISt17integral_constantIbLb1EES1K_EEDaS1F_S1G_EUlS1F_E_NS1_11comp_targetILNS1_3genE9ELNS1_11target_archE1100ELNS1_3gpuE3ELNS1_3repE0EEENS1_30default_config_static_selectorELNS0_4arch9wavefront6targetE0EEEvT1_
		.amdhsa_group_segment_fixed_size 0
		.amdhsa_private_segment_fixed_size 0
		.amdhsa_kernarg_size 136
		.amdhsa_user_sgpr_count 2
		.amdhsa_user_sgpr_dispatch_ptr 0
		.amdhsa_user_sgpr_queue_ptr 0
		.amdhsa_user_sgpr_kernarg_segment_ptr 1
		.amdhsa_user_sgpr_dispatch_id 0
		.amdhsa_user_sgpr_private_segment_size 0
		.amdhsa_wavefront_size32 1
		.amdhsa_uses_dynamic_stack 0
		.amdhsa_enable_private_segment 0
		.amdhsa_system_sgpr_workgroup_id_x 1
		.amdhsa_system_sgpr_workgroup_id_y 0
		.amdhsa_system_sgpr_workgroup_id_z 0
		.amdhsa_system_sgpr_workgroup_info 0
		.amdhsa_system_vgpr_workitem_id 0
		.amdhsa_next_free_vgpr 1
		.amdhsa_next_free_sgpr 1
		.amdhsa_reserve_vcc 0
		.amdhsa_float_round_mode_32 0
		.amdhsa_float_round_mode_16_64 0
		.amdhsa_float_denorm_mode_32 3
		.amdhsa_float_denorm_mode_16_64 3
		.amdhsa_fp16_overflow 0
		.amdhsa_workgroup_processor_mode 1
		.amdhsa_memory_ordered 1
		.amdhsa_forward_progress 1
		.amdhsa_inst_pref_size 0
		.amdhsa_round_robin_scheduling 0
		.amdhsa_exception_fp_ieee_invalid_op 0
		.amdhsa_exception_fp_denorm_src 0
		.amdhsa_exception_fp_ieee_div_zero 0
		.amdhsa_exception_fp_ieee_overflow 0
		.amdhsa_exception_fp_ieee_underflow 0
		.amdhsa_exception_fp_ieee_inexact 0
		.amdhsa_exception_int_div_zero 0
	.end_amdhsa_kernel
	.section	.text._ZN7rocprim17ROCPRIM_400000_NS6detail17trampoline_kernelINS0_14default_configENS1_25partition_config_selectorILNS1_17partition_subalgoE6EyNS0_10empty_typeEbEEZZNS1_14partition_implILS5_6ELb0ES3_mN6thrust23THRUST_200600_302600_NS6detail15normal_iteratorINSA_10device_ptrIyEEEEPS6_SG_NS0_5tupleIJSF_S6_EEENSH_IJSG_SG_EEES6_PlJNSB_9not_fun_tINSB_10functional5actorINSM_9compositeIJNSM_27transparent_binary_operatorINSA_8equal_toIvEEEENSN_INSM_8argumentILj0EEEEENSM_5valueIyEEEEEEEEEEEE10hipError_tPvRmT3_T4_T5_T6_T7_T9_mT8_P12ihipStream_tbDpT10_ENKUlT_T0_E_clISt17integral_constantIbLb1EES1K_EEDaS1F_S1G_EUlS1F_E_NS1_11comp_targetILNS1_3genE9ELNS1_11target_archE1100ELNS1_3gpuE3ELNS1_3repE0EEENS1_30default_config_static_selectorELNS0_4arch9wavefront6targetE0EEEvT1_,"axG",@progbits,_ZN7rocprim17ROCPRIM_400000_NS6detail17trampoline_kernelINS0_14default_configENS1_25partition_config_selectorILNS1_17partition_subalgoE6EyNS0_10empty_typeEbEEZZNS1_14partition_implILS5_6ELb0ES3_mN6thrust23THRUST_200600_302600_NS6detail15normal_iteratorINSA_10device_ptrIyEEEEPS6_SG_NS0_5tupleIJSF_S6_EEENSH_IJSG_SG_EEES6_PlJNSB_9not_fun_tINSB_10functional5actorINSM_9compositeIJNSM_27transparent_binary_operatorINSA_8equal_toIvEEEENSN_INSM_8argumentILj0EEEEENSM_5valueIyEEEEEEEEEEEE10hipError_tPvRmT3_T4_T5_T6_T7_T9_mT8_P12ihipStream_tbDpT10_ENKUlT_T0_E_clISt17integral_constantIbLb1EES1K_EEDaS1F_S1G_EUlS1F_E_NS1_11comp_targetILNS1_3genE9ELNS1_11target_archE1100ELNS1_3gpuE3ELNS1_3repE0EEENS1_30default_config_static_selectorELNS0_4arch9wavefront6targetE0EEEvT1_,comdat
.Lfunc_end94:
	.size	_ZN7rocprim17ROCPRIM_400000_NS6detail17trampoline_kernelINS0_14default_configENS1_25partition_config_selectorILNS1_17partition_subalgoE6EyNS0_10empty_typeEbEEZZNS1_14partition_implILS5_6ELb0ES3_mN6thrust23THRUST_200600_302600_NS6detail15normal_iteratorINSA_10device_ptrIyEEEEPS6_SG_NS0_5tupleIJSF_S6_EEENSH_IJSG_SG_EEES6_PlJNSB_9not_fun_tINSB_10functional5actorINSM_9compositeIJNSM_27transparent_binary_operatorINSA_8equal_toIvEEEENSN_INSM_8argumentILj0EEEEENSM_5valueIyEEEEEEEEEEEE10hipError_tPvRmT3_T4_T5_T6_T7_T9_mT8_P12ihipStream_tbDpT10_ENKUlT_T0_E_clISt17integral_constantIbLb1EES1K_EEDaS1F_S1G_EUlS1F_E_NS1_11comp_targetILNS1_3genE9ELNS1_11target_archE1100ELNS1_3gpuE3ELNS1_3repE0EEENS1_30default_config_static_selectorELNS0_4arch9wavefront6targetE0EEEvT1_, .Lfunc_end94-_ZN7rocprim17ROCPRIM_400000_NS6detail17trampoline_kernelINS0_14default_configENS1_25partition_config_selectorILNS1_17partition_subalgoE6EyNS0_10empty_typeEbEEZZNS1_14partition_implILS5_6ELb0ES3_mN6thrust23THRUST_200600_302600_NS6detail15normal_iteratorINSA_10device_ptrIyEEEEPS6_SG_NS0_5tupleIJSF_S6_EEENSH_IJSG_SG_EEES6_PlJNSB_9not_fun_tINSB_10functional5actorINSM_9compositeIJNSM_27transparent_binary_operatorINSA_8equal_toIvEEEENSN_INSM_8argumentILj0EEEEENSM_5valueIyEEEEEEEEEEEE10hipError_tPvRmT3_T4_T5_T6_T7_T9_mT8_P12ihipStream_tbDpT10_ENKUlT_T0_E_clISt17integral_constantIbLb1EES1K_EEDaS1F_S1G_EUlS1F_E_NS1_11comp_targetILNS1_3genE9ELNS1_11target_archE1100ELNS1_3gpuE3ELNS1_3repE0EEENS1_30default_config_static_selectorELNS0_4arch9wavefront6targetE0EEEvT1_
                                        ; -- End function
	.set _ZN7rocprim17ROCPRIM_400000_NS6detail17trampoline_kernelINS0_14default_configENS1_25partition_config_selectorILNS1_17partition_subalgoE6EyNS0_10empty_typeEbEEZZNS1_14partition_implILS5_6ELb0ES3_mN6thrust23THRUST_200600_302600_NS6detail15normal_iteratorINSA_10device_ptrIyEEEEPS6_SG_NS0_5tupleIJSF_S6_EEENSH_IJSG_SG_EEES6_PlJNSB_9not_fun_tINSB_10functional5actorINSM_9compositeIJNSM_27transparent_binary_operatorINSA_8equal_toIvEEEENSN_INSM_8argumentILj0EEEEENSM_5valueIyEEEEEEEEEEEE10hipError_tPvRmT3_T4_T5_T6_T7_T9_mT8_P12ihipStream_tbDpT10_ENKUlT_T0_E_clISt17integral_constantIbLb1EES1K_EEDaS1F_S1G_EUlS1F_E_NS1_11comp_targetILNS1_3genE9ELNS1_11target_archE1100ELNS1_3gpuE3ELNS1_3repE0EEENS1_30default_config_static_selectorELNS0_4arch9wavefront6targetE0EEEvT1_.num_vgpr, 0
	.set _ZN7rocprim17ROCPRIM_400000_NS6detail17trampoline_kernelINS0_14default_configENS1_25partition_config_selectorILNS1_17partition_subalgoE6EyNS0_10empty_typeEbEEZZNS1_14partition_implILS5_6ELb0ES3_mN6thrust23THRUST_200600_302600_NS6detail15normal_iteratorINSA_10device_ptrIyEEEEPS6_SG_NS0_5tupleIJSF_S6_EEENSH_IJSG_SG_EEES6_PlJNSB_9not_fun_tINSB_10functional5actorINSM_9compositeIJNSM_27transparent_binary_operatorINSA_8equal_toIvEEEENSN_INSM_8argumentILj0EEEEENSM_5valueIyEEEEEEEEEEEE10hipError_tPvRmT3_T4_T5_T6_T7_T9_mT8_P12ihipStream_tbDpT10_ENKUlT_T0_E_clISt17integral_constantIbLb1EES1K_EEDaS1F_S1G_EUlS1F_E_NS1_11comp_targetILNS1_3genE9ELNS1_11target_archE1100ELNS1_3gpuE3ELNS1_3repE0EEENS1_30default_config_static_selectorELNS0_4arch9wavefront6targetE0EEEvT1_.num_agpr, 0
	.set _ZN7rocprim17ROCPRIM_400000_NS6detail17trampoline_kernelINS0_14default_configENS1_25partition_config_selectorILNS1_17partition_subalgoE6EyNS0_10empty_typeEbEEZZNS1_14partition_implILS5_6ELb0ES3_mN6thrust23THRUST_200600_302600_NS6detail15normal_iteratorINSA_10device_ptrIyEEEEPS6_SG_NS0_5tupleIJSF_S6_EEENSH_IJSG_SG_EEES6_PlJNSB_9not_fun_tINSB_10functional5actorINSM_9compositeIJNSM_27transparent_binary_operatorINSA_8equal_toIvEEEENSN_INSM_8argumentILj0EEEEENSM_5valueIyEEEEEEEEEEEE10hipError_tPvRmT3_T4_T5_T6_T7_T9_mT8_P12ihipStream_tbDpT10_ENKUlT_T0_E_clISt17integral_constantIbLb1EES1K_EEDaS1F_S1G_EUlS1F_E_NS1_11comp_targetILNS1_3genE9ELNS1_11target_archE1100ELNS1_3gpuE3ELNS1_3repE0EEENS1_30default_config_static_selectorELNS0_4arch9wavefront6targetE0EEEvT1_.numbered_sgpr, 0
	.set _ZN7rocprim17ROCPRIM_400000_NS6detail17trampoline_kernelINS0_14default_configENS1_25partition_config_selectorILNS1_17partition_subalgoE6EyNS0_10empty_typeEbEEZZNS1_14partition_implILS5_6ELb0ES3_mN6thrust23THRUST_200600_302600_NS6detail15normal_iteratorINSA_10device_ptrIyEEEEPS6_SG_NS0_5tupleIJSF_S6_EEENSH_IJSG_SG_EEES6_PlJNSB_9not_fun_tINSB_10functional5actorINSM_9compositeIJNSM_27transparent_binary_operatorINSA_8equal_toIvEEEENSN_INSM_8argumentILj0EEEEENSM_5valueIyEEEEEEEEEEEE10hipError_tPvRmT3_T4_T5_T6_T7_T9_mT8_P12ihipStream_tbDpT10_ENKUlT_T0_E_clISt17integral_constantIbLb1EES1K_EEDaS1F_S1G_EUlS1F_E_NS1_11comp_targetILNS1_3genE9ELNS1_11target_archE1100ELNS1_3gpuE3ELNS1_3repE0EEENS1_30default_config_static_selectorELNS0_4arch9wavefront6targetE0EEEvT1_.num_named_barrier, 0
	.set _ZN7rocprim17ROCPRIM_400000_NS6detail17trampoline_kernelINS0_14default_configENS1_25partition_config_selectorILNS1_17partition_subalgoE6EyNS0_10empty_typeEbEEZZNS1_14partition_implILS5_6ELb0ES3_mN6thrust23THRUST_200600_302600_NS6detail15normal_iteratorINSA_10device_ptrIyEEEEPS6_SG_NS0_5tupleIJSF_S6_EEENSH_IJSG_SG_EEES6_PlJNSB_9not_fun_tINSB_10functional5actorINSM_9compositeIJNSM_27transparent_binary_operatorINSA_8equal_toIvEEEENSN_INSM_8argumentILj0EEEEENSM_5valueIyEEEEEEEEEEEE10hipError_tPvRmT3_T4_T5_T6_T7_T9_mT8_P12ihipStream_tbDpT10_ENKUlT_T0_E_clISt17integral_constantIbLb1EES1K_EEDaS1F_S1G_EUlS1F_E_NS1_11comp_targetILNS1_3genE9ELNS1_11target_archE1100ELNS1_3gpuE3ELNS1_3repE0EEENS1_30default_config_static_selectorELNS0_4arch9wavefront6targetE0EEEvT1_.private_seg_size, 0
	.set _ZN7rocprim17ROCPRIM_400000_NS6detail17trampoline_kernelINS0_14default_configENS1_25partition_config_selectorILNS1_17partition_subalgoE6EyNS0_10empty_typeEbEEZZNS1_14partition_implILS5_6ELb0ES3_mN6thrust23THRUST_200600_302600_NS6detail15normal_iteratorINSA_10device_ptrIyEEEEPS6_SG_NS0_5tupleIJSF_S6_EEENSH_IJSG_SG_EEES6_PlJNSB_9not_fun_tINSB_10functional5actorINSM_9compositeIJNSM_27transparent_binary_operatorINSA_8equal_toIvEEEENSN_INSM_8argumentILj0EEEEENSM_5valueIyEEEEEEEEEEEE10hipError_tPvRmT3_T4_T5_T6_T7_T9_mT8_P12ihipStream_tbDpT10_ENKUlT_T0_E_clISt17integral_constantIbLb1EES1K_EEDaS1F_S1G_EUlS1F_E_NS1_11comp_targetILNS1_3genE9ELNS1_11target_archE1100ELNS1_3gpuE3ELNS1_3repE0EEENS1_30default_config_static_selectorELNS0_4arch9wavefront6targetE0EEEvT1_.uses_vcc, 0
	.set _ZN7rocprim17ROCPRIM_400000_NS6detail17trampoline_kernelINS0_14default_configENS1_25partition_config_selectorILNS1_17partition_subalgoE6EyNS0_10empty_typeEbEEZZNS1_14partition_implILS5_6ELb0ES3_mN6thrust23THRUST_200600_302600_NS6detail15normal_iteratorINSA_10device_ptrIyEEEEPS6_SG_NS0_5tupleIJSF_S6_EEENSH_IJSG_SG_EEES6_PlJNSB_9not_fun_tINSB_10functional5actorINSM_9compositeIJNSM_27transparent_binary_operatorINSA_8equal_toIvEEEENSN_INSM_8argumentILj0EEEEENSM_5valueIyEEEEEEEEEEEE10hipError_tPvRmT3_T4_T5_T6_T7_T9_mT8_P12ihipStream_tbDpT10_ENKUlT_T0_E_clISt17integral_constantIbLb1EES1K_EEDaS1F_S1G_EUlS1F_E_NS1_11comp_targetILNS1_3genE9ELNS1_11target_archE1100ELNS1_3gpuE3ELNS1_3repE0EEENS1_30default_config_static_selectorELNS0_4arch9wavefront6targetE0EEEvT1_.uses_flat_scratch, 0
	.set _ZN7rocprim17ROCPRIM_400000_NS6detail17trampoline_kernelINS0_14default_configENS1_25partition_config_selectorILNS1_17partition_subalgoE6EyNS0_10empty_typeEbEEZZNS1_14partition_implILS5_6ELb0ES3_mN6thrust23THRUST_200600_302600_NS6detail15normal_iteratorINSA_10device_ptrIyEEEEPS6_SG_NS0_5tupleIJSF_S6_EEENSH_IJSG_SG_EEES6_PlJNSB_9not_fun_tINSB_10functional5actorINSM_9compositeIJNSM_27transparent_binary_operatorINSA_8equal_toIvEEEENSN_INSM_8argumentILj0EEEEENSM_5valueIyEEEEEEEEEEEE10hipError_tPvRmT3_T4_T5_T6_T7_T9_mT8_P12ihipStream_tbDpT10_ENKUlT_T0_E_clISt17integral_constantIbLb1EES1K_EEDaS1F_S1G_EUlS1F_E_NS1_11comp_targetILNS1_3genE9ELNS1_11target_archE1100ELNS1_3gpuE3ELNS1_3repE0EEENS1_30default_config_static_selectorELNS0_4arch9wavefront6targetE0EEEvT1_.has_dyn_sized_stack, 0
	.set _ZN7rocprim17ROCPRIM_400000_NS6detail17trampoline_kernelINS0_14default_configENS1_25partition_config_selectorILNS1_17partition_subalgoE6EyNS0_10empty_typeEbEEZZNS1_14partition_implILS5_6ELb0ES3_mN6thrust23THRUST_200600_302600_NS6detail15normal_iteratorINSA_10device_ptrIyEEEEPS6_SG_NS0_5tupleIJSF_S6_EEENSH_IJSG_SG_EEES6_PlJNSB_9not_fun_tINSB_10functional5actorINSM_9compositeIJNSM_27transparent_binary_operatorINSA_8equal_toIvEEEENSN_INSM_8argumentILj0EEEEENSM_5valueIyEEEEEEEEEEEE10hipError_tPvRmT3_T4_T5_T6_T7_T9_mT8_P12ihipStream_tbDpT10_ENKUlT_T0_E_clISt17integral_constantIbLb1EES1K_EEDaS1F_S1G_EUlS1F_E_NS1_11comp_targetILNS1_3genE9ELNS1_11target_archE1100ELNS1_3gpuE3ELNS1_3repE0EEENS1_30default_config_static_selectorELNS0_4arch9wavefront6targetE0EEEvT1_.has_recursion, 0
	.set _ZN7rocprim17ROCPRIM_400000_NS6detail17trampoline_kernelINS0_14default_configENS1_25partition_config_selectorILNS1_17partition_subalgoE6EyNS0_10empty_typeEbEEZZNS1_14partition_implILS5_6ELb0ES3_mN6thrust23THRUST_200600_302600_NS6detail15normal_iteratorINSA_10device_ptrIyEEEEPS6_SG_NS0_5tupleIJSF_S6_EEENSH_IJSG_SG_EEES6_PlJNSB_9not_fun_tINSB_10functional5actorINSM_9compositeIJNSM_27transparent_binary_operatorINSA_8equal_toIvEEEENSN_INSM_8argumentILj0EEEEENSM_5valueIyEEEEEEEEEEEE10hipError_tPvRmT3_T4_T5_T6_T7_T9_mT8_P12ihipStream_tbDpT10_ENKUlT_T0_E_clISt17integral_constantIbLb1EES1K_EEDaS1F_S1G_EUlS1F_E_NS1_11comp_targetILNS1_3genE9ELNS1_11target_archE1100ELNS1_3gpuE3ELNS1_3repE0EEENS1_30default_config_static_selectorELNS0_4arch9wavefront6targetE0EEEvT1_.has_indirect_call, 0
	.section	.AMDGPU.csdata,"",@progbits
; Kernel info:
; codeLenInByte = 0
; TotalNumSgprs: 0
; NumVgprs: 0
; ScratchSize: 0
; MemoryBound: 0
; FloatMode: 240
; IeeeMode: 1
; LDSByteSize: 0 bytes/workgroup (compile time only)
; SGPRBlocks: 0
; VGPRBlocks: 0
; NumSGPRsForWavesPerEU: 1
; NumVGPRsForWavesPerEU: 1
; Occupancy: 16
; WaveLimiterHint : 0
; COMPUTE_PGM_RSRC2:SCRATCH_EN: 0
; COMPUTE_PGM_RSRC2:USER_SGPR: 2
; COMPUTE_PGM_RSRC2:TRAP_HANDLER: 0
; COMPUTE_PGM_RSRC2:TGID_X_EN: 1
; COMPUTE_PGM_RSRC2:TGID_Y_EN: 0
; COMPUTE_PGM_RSRC2:TGID_Z_EN: 0
; COMPUTE_PGM_RSRC2:TIDIG_COMP_CNT: 0
	.section	.text._ZN7rocprim17ROCPRIM_400000_NS6detail17trampoline_kernelINS0_14default_configENS1_25partition_config_selectorILNS1_17partition_subalgoE6EyNS0_10empty_typeEbEEZZNS1_14partition_implILS5_6ELb0ES3_mN6thrust23THRUST_200600_302600_NS6detail15normal_iteratorINSA_10device_ptrIyEEEEPS6_SG_NS0_5tupleIJSF_S6_EEENSH_IJSG_SG_EEES6_PlJNSB_9not_fun_tINSB_10functional5actorINSM_9compositeIJNSM_27transparent_binary_operatorINSA_8equal_toIvEEEENSN_INSM_8argumentILj0EEEEENSM_5valueIyEEEEEEEEEEEE10hipError_tPvRmT3_T4_T5_T6_T7_T9_mT8_P12ihipStream_tbDpT10_ENKUlT_T0_E_clISt17integral_constantIbLb1EES1K_EEDaS1F_S1G_EUlS1F_E_NS1_11comp_targetILNS1_3genE8ELNS1_11target_archE1030ELNS1_3gpuE2ELNS1_3repE0EEENS1_30default_config_static_selectorELNS0_4arch9wavefront6targetE0EEEvT1_,"axG",@progbits,_ZN7rocprim17ROCPRIM_400000_NS6detail17trampoline_kernelINS0_14default_configENS1_25partition_config_selectorILNS1_17partition_subalgoE6EyNS0_10empty_typeEbEEZZNS1_14partition_implILS5_6ELb0ES3_mN6thrust23THRUST_200600_302600_NS6detail15normal_iteratorINSA_10device_ptrIyEEEEPS6_SG_NS0_5tupleIJSF_S6_EEENSH_IJSG_SG_EEES6_PlJNSB_9not_fun_tINSB_10functional5actorINSM_9compositeIJNSM_27transparent_binary_operatorINSA_8equal_toIvEEEENSN_INSM_8argumentILj0EEEEENSM_5valueIyEEEEEEEEEEEE10hipError_tPvRmT3_T4_T5_T6_T7_T9_mT8_P12ihipStream_tbDpT10_ENKUlT_T0_E_clISt17integral_constantIbLb1EES1K_EEDaS1F_S1G_EUlS1F_E_NS1_11comp_targetILNS1_3genE8ELNS1_11target_archE1030ELNS1_3gpuE2ELNS1_3repE0EEENS1_30default_config_static_selectorELNS0_4arch9wavefront6targetE0EEEvT1_,comdat
	.protected	_ZN7rocprim17ROCPRIM_400000_NS6detail17trampoline_kernelINS0_14default_configENS1_25partition_config_selectorILNS1_17partition_subalgoE6EyNS0_10empty_typeEbEEZZNS1_14partition_implILS5_6ELb0ES3_mN6thrust23THRUST_200600_302600_NS6detail15normal_iteratorINSA_10device_ptrIyEEEEPS6_SG_NS0_5tupleIJSF_S6_EEENSH_IJSG_SG_EEES6_PlJNSB_9not_fun_tINSB_10functional5actorINSM_9compositeIJNSM_27transparent_binary_operatorINSA_8equal_toIvEEEENSN_INSM_8argumentILj0EEEEENSM_5valueIyEEEEEEEEEEEE10hipError_tPvRmT3_T4_T5_T6_T7_T9_mT8_P12ihipStream_tbDpT10_ENKUlT_T0_E_clISt17integral_constantIbLb1EES1K_EEDaS1F_S1G_EUlS1F_E_NS1_11comp_targetILNS1_3genE8ELNS1_11target_archE1030ELNS1_3gpuE2ELNS1_3repE0EEENS1_30default_config_static_selectorELNS0_4arch9wavefront6targetE0EEEvT1_ ; -- Begin function _ZN7rocprim17ROCPRIM_400000_NS6detail17trampoline_kernelINS0_14default_configENS1_25partition_config_selectorILNS1_17partition_subalgoE6EyNS0_10empty_typeEbEEZZNS1_14partition_implILS5_6ELb0ES3_mN6thrust23THRUST_200600_302600_NS6detail15normal_iteratorINSA_10device_ptrIyEEEEPS6_SG_NS0_5tupleIJSF_S6_EEENSH_IJSG_SG_EEES6_PlJNSB_9not_fun_tINSB_10functional5actorINSM_9compositeIJNSM_27transparent_binary_operatorINSA_8equal_toIvEEEENSN_INSM_8argumentILj0EEEEENSM_5valueIyEEEEEEEEEEEE10hipError_tPvRmT3_T4_T5_T6_T7_T9_mT8_P12ihipStream_tbDpT10_ENKUlT_T0_E_clISt17integral_constantIbLb1EES1K_EEDaS1F_S1G_EUlS1F_E_NS1_11comp_targetILNS1_3genE8ELNS1_11target_archE1030ELNS1_3gpuE2ELNS1_3repE0EEENS1_30default_config_static_selectorELNS0_4arch9wavefront6targetE0EEEvT1_
	.globl	_ZN7rocprim17ROCPRIM_400000_NS6detail17trampoline_kernelINS0_14default_configENS1_25partition_config_selectorILNS1_17partition_subalgoE6EyNS0_10empty_typeEbEEZZNS1_14partition_implILS5_6ELb0ES3_mN6thrust23THRUST_200600_302600_NS6detail15normal_iteratorINSA_10device_ptrIyEEEEPS6_SG_NS0_5tupleIJSF_S6_EEENSH_IJSG_SG_EEES6_PlJNSB_9not_fun_tINSB_10functional5actorINSM_9compositeIJNSM_27transparent_binary_operatorINSA_8equal_toIvEEEENSN_INSM_8argumentILj0EEEEENSM_5valueIyEEEEEEEEEEEE10hipError_tPvRmT3_T4_T5_T6_T7_T9_mT8_P12ihipStream_tbDpT10_ENKUlT_T0_E_clISt17integral_constantIbLb1EES1K_EEDaS1F_S1G_EUlS1F_E_NS1_11comp_targetILNS1_3genE8ELNS1_11target_archE1030ELNS1_3gpuE2ELNS1_3repE0EEENS1_30default_config_static_selectorELNS0_4arch9wavefront6targetE0EEEvT1_
	.p2align	8
	.type	_ZN7rocprim17ROCPRIM_400000_NS6detail17trampoline_kernelINS0_14default_configENS1_25partition_config_selectorILNS1_17partition_subalgoE6EyNS0_10empty_typeEbEEZZNS1_14partition_implILS5_6ELb0ES3_mN6thrust23THRUST_200600_302600_NS6detail15normal_iteratorINSA_10device_ptrIyEEEEPS6_SG_NS0_5tupleIJSF_S6_EEENSH_IJSG_SG_EEES6_PlJNSB_9not_fun_tINSB_10functional5actorINSM_9compositeIJNSM_27transparent_binary_operatorINSA_8equal_toIvEEEENSN_INSM_8argumentILj0EEEEENSM_5valueIyEEEEEEEEEEEE10hipError_tPvRmT3_T4_T5_T6_T7_T9_mT8_P12ihipStream_tbDpT10_ENKUlT_T0_E_clISt17integral_constantIbLb1EES1K_EEDaS1F_S1G_EUlS1F_E_NS1_11comp_targetILNS1_3genE8ELNS1_11target_archE1030ELNS1_3gpuE2ELNS1_3repE0EEENS1_30default_config_static_selectorELNS0_4arch9wavefront6targetE0EEEvT1_,@function
_ZN7rocprim17ROCPRIM_400000_NS6detail17trampoline_kernelINS0_14default_configENS1_25partition_config_selectorILNS1_17partition_subalgoE6EyNS0_10empty_typeEbEEZZNS1_14partition_implILS5_6ELb0ES3_mN6thrust23THRUST_200600_302600_NS6detail15normal_iteratorINSA_10device_ptrIyEEEEPS6_SG_NS0_5tupleIJSF_S6_EEENSH_IJSG_SG_EEES6_PlJNSB_9not_fun_tINSB_10functional5actorINSM_9compositeIJNSM_27transparent_binary_operatorINSA_8equal_toIvEEEENSN_INSM_8argumentILj0EEEEENSM_5valueIyEEEEEEEEEEEE10hipError_tPvRmT3_T4_T5_T6_T7_T9_mT8_P12ihipStream_tbDpT10_ENKUlT_T0_E_clISt17integral_constantIbLb1EES1K_EEDaS1F_S1G_EUlS1F_E_NS1_11comp_targetILNS1_3genE8ELNS1_11target_archE1030ELNS1_3gpuE2ELNS1_3repE0EEENS1_30default_config_static_selectorELNS0_4arch9wavefront6targetE0EEEvT1_: ; @_ZN7rocprim17ROCPRIM_400000_NS6detail17trampoline_kernelINS0_14default_configENS1_25partition_config_selectorILNS1_17partition_subalgoE6EyNS0_10empty_typeEbEEZZNS1_14partition_implILS5_6ELb0ES3_mN6thrust23THRUST_200600_302600_NS6detail15normal_iteratorINSA_10device_ptrIyEEEEPS6_SG_NS0_5tupleIJSF_S6_EEENSH_IJSG_SG_EEES6_PlJNSB_9not_fun_tINSB_10functional5actorINSM_9compositeIJNSM_27transparent_binary_operatorINSA_8equal_toIvEEEENSN_INSM_8argumentILj0EEEEENSM_5valueIyEEEEEEEEEEEE10hipError_tPvRmT3_T4_T5_T6_T7_T9_mT8_P12ihipStream_tbDpT10_ENKUlT_T0_E_clISt17integral_constantIbLb1EES1K_EEDaS1F_S1G_EUlS1F_E_NS1_11comp_targetILNS1_3genE8ELNS1_11target_archE1030ELNS1_3gpuE2ELNS1_3repE0EEENS1_30default_config_static_selectorELNS0_4arch9wavefront6targetE0EEEvT1_
; %bb.0:
	.section	.rodata,"a",@progbits
	.p2align	6, 0x0
	.amdhsa_kernel _ZN7rocprim17ROCPRIM_400000_NS6detail17trampoline_kernelINS0_14default_configENS1_25partition_config_selectorILNS1_17partition_subalgoE6EyNS0_10empty_typeEbEEZZNS1_14partition_implILS5_6ELb0ES3_mN6thrust23THRUST_200600_302600_NS6detail15normal_iteratorINSA_10device_ptrIyEEEEPS6_SG_NS0_5tupleIJSF_S6_EEENSH_IJSG_SG_EEES6_PlJNSB_9not_fun_tINSB_10functional5actorINSM_9compositeIJNSM_27transparent_binary_operatorINSA_8equal_toIvEEEENSN_INSM_8argumentILj0EEEEENSM_5valueIyEEEEEEEEEEEE10hipError_tPvRmT3_T4_T5_T6_T7_T9_mT8_P12ihipStream_tbDpT10_ENKUlT_T0_E_clISt17integral_constantIbLb1EES1K_EEDaS1F_S1G_EUlS1F_E_NS1_11comp_targetILNS1_3genE8ELNS1_11target_archE1030ELNS1_3gpuE2ELNS1_3repE0EEENS1_30default_config_static_selectorELNS0_4arch9wavefront6targetE0EEEvT1_
		.amdhsa_group_segment_fixed_size 0
		.amdhsa_private_segment_fixed_size 0
		.amdhsa_kernarg_size 136
		.amdhsa_user_sgpr_count 2
		.amdhsa_user_sgpr_dispatch_ptr 0
		.amdhsa_user_sgpr_queue_ptr 0
		.amdhsa_user_sgpr_kernarg_segment_ptr 1
		.amdhsa_user_sgpr_dispatch_id 0
		.amdhsa_user_sgpr_private_segment_size 0
		.amdhsa_wavefront_size32 1
		.amdhsa_uses_dynamic_stack 0
		.amdhsa_enable_private_segment 0
		.amdhsa_system_sgpr_workgroup_id_x 1
		.amdhsa_system_sgpr_workgroup_id_y 0
		.amdhsa_system_sgpr_workgroup_id_z 0
		.amdhsa_system_sgpr_workgroup_info 0
		.amdhsa_system_vgpr_workitem_id 0
		.amdhsa_next_free_vgpr 1
		.amdhsa_next_free_sgpr 1
		.amdhsa_reserve_vcc 0
		.amdhsa_float_round_mode_32 0
		.amdhsa_float_round_mode_16_64 0
		.amdhsa_float_denorm_mode_32 3
		.amdhsa_float_denorm_mode_16_64 3
		.amdhsa_fp16_overflow 0
		.amdhsa_workgroup_processor_mode 1
		.amdhsa_memory_ordered 1
		.amdhsa_forward_progress 1
		.amdhsa_inst_pref_size 0
		.amdhsa_round_robin_scheduling 0
		.amdhsa_exception_fp_ieee_invalid_op 0
		.amdhsa_exception_fp_denorm_src 0
		.amdhsa_exception_fp_ieee_div_zero 0
		.amdhsa_exception_fp_ieee_overflow 0
		.amdhsa_exception_fp_ieee_underflow 0
		.amdhsa_exception_fp_ieee_inexact 0
		.amdhsa_exception_int_div_zero 0
	.end_amdhsa_kernel
	.section	.text._ZN7rocprim17ROCPRIM_400000_NS6detail17trampoline_kernelINS0_14default_configENS1_25partition_config_selectorILNS1_17partition_subalgoE6EyNS0_10empty_typeEbEEZZNS1_14partition_implILS5_6ELb0ES3_mN6thrust23THRUST_200600_302600_NS6detail15normal_iteratorINSA_10device_ptrIyEEEEPS6_SG_NS0_5tupleIJSF_S6_EEENSH_IJSG_SG_EEES6_PlJNSB_9not_fun_tINSB_10functional5actorINSM_9compositeIJNSM_27transparent_binary_operatorINSA_8equal_toIvEEEENSN_INSM_8argumentILj0EEEEENSM_5valueIyEEEEEEEEEEEE10hipError_tPvRmT3_T4_T5_T6_T7_T9_mT8_P12ihipStream_tbDpT10_ENKUlT_T0_E_clISt17integral_constantIbLb1EES1K_EEDaS1F_S1G_EUlS1F_E_NS1_11comp_targetILNS1_3genE8ELNS1_11target_archE1030ELNS1_3gpuE2ELNS1_3repE0EEENS1_30default_config_static_selectorELNS0_4arch9wavefront6targetE0EEEvT1_,"axG",@progbits,_ZN7rocprim17ROCPRIM_400000_NS6detail17trampoline_kernelINS0_14default_configENS1_25partition_config_selectorILNS1_17partition_subalgoE6EyNS0_10empty_typeEbEEZZNS1_14partition_implILS5_6ELb0ES3_mN6thrust23THRUST_200600_302600_NS6detail15normal_iteratorINSA_10device_ptrIyEEEEPS6_SG_NS0_5tupleIJSF_S6_EEENSH_IJSG_SG_EEES6_PlJNSB_9not_fun_tINSB_10functional5actorINSM_9compositeIJNSM_27transparent_binary_operatorINSA_8equal_toIvEEEENSN_INSM_8argumentILj0EEEEENSM_5valueIyEEEEEEEEEEEE10hipError_tPvRmT3_T4_T5_T6_T7_T9_mT8_P12ihipStream_tbDpT10_ENKUlT_T0_E_clISt17integral_constantIbLb1EES1K_EEDaS1F_S1G_EUlS1F_E_NS1_11comp_targetILNS1_3genE8ELNS1_11target_archE1030ELNS1_3gpuE2ELNS1_3repE0EEENS1_30default_config_static_selectorELNS0_4arch9wavefront6targetE0EEEvT1_,comdat
.Lfunc_end95:
	.size	_ZN7rocprim17ROCPRIM_400000_NS6detail17trampoline_kernelINS0_14default_configENS1_25partition_config_selectorILNS1_17partition_subalgoE6EyNS0_10empty_typeEbEEZZNS1_14partition_implILS5_6ELb0ES3_mN6thrust23THRUST_200600_302600_NS6detail15normal_iteratorINSA_10device_ptrIyEEEEPS6_SG_NS0_5tupleIJSF_S6_EEENSH_IJSG_SG_EEES6_PlJNSB_9not_fun_tINSB_10functional5actorINSM_9compositeIJNSM_27transparent_binary_operatorINSA_8equal_toIvEEEENSN_INSM_8argumentILj0EEEEENSM_5valueIyEEEEEEEEEEEE10hipError_tPvRmT3_T4_T5_T6_T7_T9_mT8_P12ihipStream_tbDpT10_ENKUlT_T0_E_clISt17integral_constantIbLb1EES1K_EEDaS1F_S1G_EUlS1F_E_NS1_11comp_targetILNS1_3genE8ELNS1_11target_archE1030ELNS1_3gpuE2ELNS1_3repE0EEENS1_30default_config_static_selectorELNS0_4arch9wavefront6targetE0EEEvT1_, .Lfunc_end95-_ZN7rocprim17ROCPRIM_400000_NS6detail17trampoline_kernelINS0_14default_configENS1_25partition_config_selectorILNS1_17partition_subalgoE6EyNS0_10empty_typeEbEEZZNS1_14partition_implILS5_6ELb0ES3_mN6thrust23THRUST_200600_302600_NS6detail15normal_iteratorINSA_10device_ptrIyEEEEPS6_SG_NS0_5tupleIJSF_S6_EEENSH_IJSG_SG_EEES6_PlJNSB_9not_fun_tINSB_10functional5actorINSM_9compositeIJNSM_27transparent_binary_operatorINSA_8equal_toIvEEEENSN_INSM_8argumentILj0EEEEENSM_5valueIyEEEEEEEEEEEE10hipError_tPvRmT3_T4_T5_T6_T7_T9_mT8_P12ihipStream_tbDpT10_ENKUlT_T0_E_clISt17integral_constantIbLb1EES1K_EEDaS1F_S1G_EUlS1F_E_NS1_11comp_targetILNS1_3genE8ELNS1_11target_archE1030ELNS1_3gpuE2ELNS1_3repE0EEENS1_30default_config_static_selectorELNS0_4arch9wavefront6targetE0EEEvT1_
                                        ; -- End function
	.set _ZN7rocprim17ROCPRIM_400000_NS6detail17trampoline_kernelINS0_14default_configENS1_25partition_config_selectorILNS1_17partition_subalgoE6EyNS0_10empty_typeEbEEZZNS1_14partition_implILS5_6ELb0ES3_mN6thrust23THRUST_200600_302600_NS6detail15normal_iteratorINSA_10device_ptrIyEEEEPS6_SG_NS0_5tupleIJSF_S6_EEENSH_IJSG_SG_EEES6_PlJNSB_9not_fun_tINSB_10functional5actorINSM_9compositeIJNSM_27transparent_binary_operatorINSA_8equal_toIvEEEENSN_INSM_8argumentILj0EEEEENSM_5valueIyEEEEEEEEEEEE10hipError_tPvRmT3_T4_T5_T6_T7_T9_mT8_P12ihipStream_tbDpT10_ENKUlT_T0_E_clISt17integral_constantIbLb1EES1K_EEDaS1F_S1G_EUlS1F_E_NS1_11comp_targetILNS1_3genE8ELNS1_11target_archE1030ELNS1_3gpuE2ELNS1_3repE0EEENS1_30default_config_static_selectorELNS0_4arch9wavefront6targetE0EEEvT1_.num_vgpr, 0
	.set _ZN7rocprim17ROCPRIM_400000_NS6detail17trampoline_kernelINS0_14default_configENS1_25partition_config_selectorILNS1_17partition_subalgoE6EyNS0_10empty_typeEbEEZZNS1_14partition_implILS5_6ELb0ES3_mN6thrust23THRUST_200600_302600_NS6detail15normal_iteratorINSA_10device_ptrIyEEEEPS6_SG_NS0_5tupleIJSF_S6_EEENSH_IJSG_SG_EEES6_PlJNSB_9not_fun_tINSB_10functional5actorINSM_9compositeIJNSM_27transparent_binary_operatorINSA_8equal_toIvEEEENSN_INSM_8argumentILj0EEEEENSM_5valueIyEEEEEEEEEEEE10hipError_tPvRmT3_T4_T5_T6_T7_T9_mT8_P12ihipStream_tbDpT10_ENKUlT_T0_E_clISt17integral_constantIbLb1EES1K_EEDaS1F_S1G_EUlS1F_E_NS1_11comp_targetILNS1_3genE8ELNS1_11target_archE1030ELNS1_3gpuE2ELNS1_3repE0EEENS1_30default_config_static_selectorELNS0_4arch9wavefront6targetE0EEEvT1_.num_agpr, 0
	.set _ZN7rocprim17ROCPRIM_400000_NS6detail17trampoline_kernelINS0_14default_configENS1_25partition_config_selectorILNS1_17partition_subalgoE6EyNS0_10empty_typeEbEEZZNS1_14partition_implILS5_6ELb0ES3_mN6thrust23THRUST_200600_302600_NS6detail15normal_iteratorINSA_10device_ptrIyEEEEPS6_SG_NS0_5tupleIJSF_S6_EEENSH_IJSG_SG_EEES6_PlJNSB_9not_fun_tINSB_10functional5actorINSM_9compositeIJNSM_27transparent_binary_operatorINSA_8equal_toIvEEEENSN_INSM_8argumentILj0EEEEENSM_5valueIyEEEEEEEEEEEE10hipError_tPvRmT3_T4_T5_T6_T7_T9_mT8_P12ihipStream_tbDpT10_ENKUlT_T0_E_clISt17integral_constantIbLb1EES1K_EEDaS1F_S1G_EUlS1F_E_NS1_11comp_targetILNS1_3genE8ELNS1_11target_archE1030ELNS1_3gpuE2ELNS1_3repE0EEENS1_30default_config_static_selectorELNS0_4arch9wavefront6targetE0EEEvT1_.numbered_sgpr, 0
	.set _ZN7rocprim17ROCPRIM_400000_NS6detail17trampoline_kernelINS0_14default_configENS1_25partition_config_selectorILNS1_17partition_subalgoE6EyNS0_10empty_typeEbEEZZNS1_14partition_implILS5_6ELb0ES3_mN6thrust23THRUST_200600_302600_NS6detail15normal_iteratorINSA_10device_ptrIyEEEEPS6_SG_NS0_5tupleIJSF_S6_EEENSH_IJSG_SG_EEES6_PlJNSB_9not_fun_tINSB_10functional5actorINSM_9compositeIJNSM_27transparent_binary_operatorINSA_8equal_toIvEEEENSN_INSM_8argumentILj0EEEEENSM_5valueIyEEEEEEEEEEEE10hipError_tPvRmT3_T4_T5_T6_T7_T9_mT8_P12ihipStream_tbDpT10_ENKUlT_T0_E_clISt17integral_constantIbLb1EES1K_EEDaS1F_S1G_EUlS1F_E_NS1_11comp_targetILNS1_3genE8ELNS1_11target_archE1030ELNS1_3gpuE2ELNS1_3repE0EEENS1_30default_config_static_selectorELNS0_4arch9wavefront6targetE0EEEvT1_.num_named_barrier, 0
	.set _ZN7rocprim17ROCPRIM_400000_NS6detail17trampoline_kernelINS0_14default_configENS1_25partition_config_selectorILNS1_17partition_subalgoE6EyNS0_10empty_typeEbEEZZNS1_14partition_implILS5_6ELb0ES3_mN6thrust23THRUST_200600_302600_NS6detail15normal_iteratorINSA_10device_ptrIyEEEEPS6_SG_NS0_5tupleIJSF_S6_EEENSH_IJSG_SG_EEES6_PlJNSB_9not_fun_tINSB_10functional5actorINSM_9compositeIJNSM_27transparent_binary_operatorINSA_8equal_toIvEEEENSN_INSM_8argumentILj0EEEEENSM_5valueIyEEEEEEEEEEEE10hipError_tPvRmT3_T4_T5_T6_T7_T9_mT8_P12ihipStream_tbDpT10_ENKUlT_T0_E_clISt17integral_constantIbLb1EES1K_EEDaS1F_S1G_EUlS1F_E_NS1_11comp_targetILNS1_3genE8ELNS1_11target_archE1030ELNS1_3gpuE2ELNS1_3repE0EEENS1_30default_config_static_selectorELNS0_4arch9wavefront6targetE0EEEvT1_.private_seg_size, 0
	.set _ZN7rocprim17ROCPRIM_400000_NS6detail17trampoline_kernelINS0_14default_configENS1_25partition_config_selectorILNS1_17partition_subalgoE6EyNS0_10empty_typeEbEEZZNS1_14partition_implILS5_6ELb0ES3_mN6thrust23THRUST_200600_302600_NS6detail15normal_iteratorINSA_10device_ptrIyEEEEPS6_SG_NS0_5tupleIJSF_S6_EEENSH_IJSG_SG_EEES6_PlJNSB_9not_fun_tINSB_10functional5actorINSM_9compositeIJNSM_27transparent_binary_operatorINSA_8equal_toIvEEEENSN_INSM_8argumentILj0EEEEENSM_5valueIyEEEEEEEEEEEE10hipError_tPvRmT3_T4_T5_T6_T7_T9_mT8_P12ihipStream_tbDpT10_ENKUlT_T0_E_clISt17integral_constantIbLb1EES1K_EEDaS1F_S1G_EUlS1F_E_NS1_11comp_targetILNS1_3genE8ELNS1_11target_archE1030ELNS1_3gpuE2ELNS1_3repE0EEENS1_30default_config_static_selectorELNS0_4arch9wavefront6targetE0EEEvT1_.uses_vcc, 0
	.set _ZN7rocprim17ROCPRIM_400000_NS6detail17trampoline_kernelINS0_14default_configENS1_25partition_config_selectorILNS1_17partition_subalgoE6EyNS0_10empty_typeEbEEZZNS1_14partition_implILS5_6ELb0ES3_mN6thrust23THRUST_200600_302600_NS6detail15normal_iteratorINSA_10device_ptrIyEEEEPS6_SG_NS0_5tupleIJSF_S6_EEENSH_IJSG_SG_EEES6_PlJNSB_9not_fun_tINSB_10functional5actorINSM_9compositeIJNSM_27transparent_binary_operatorINSA_8equal_toIvEEEENSN_INSM_8argumentILj0EEEEENSM_5valueIyEEEEEEEEEEEE10hipError_tPvRmT3_T4_T5_T6_T7_T9_mT8_P12ihipStream_tbDpT10_ENKUlT_T0_E_clISt17integral_constantIbLb1EES1K_EEDaS1F_S1G_EUlS1F_E_NS1_11comp_targetILNS1_3genE8ELNS1_11target_archE1030ELNS1_3gpuE2ELNS1_3repE0EEENS1_30default_config_static_selectorELNS0_4arch9wavefront6targetE0EEEvT1_.uses_flat_scratch, 0
	.set _ZN7rocprim17ROCPRIM_400000_NS6detail17trampoline_kernelINS0_14default_configENS1_25partition_config_selectorILNS1_17partition_subalgoE6EyNS0_10empty_typeEbEEZZNS1_14partition_implILS5_6ELb0ES3_mN6thrust23THRUST_200600_302600_NS6detail15normal_iteratorINSA_10device_ptrIyEEEEPS6_SG_NS0_5tupleIJSF_S6_EEENSH_IJSG_SG_EEES6_PlJNSB_9not_fun_tINSB_10functional5actorINSM_9compositeIJNSM_27transparent_binary_operatorINSA_8equal_toIvEEEENSN_INSM_8argumentILj0EEEEENSM_5valueIyEEEEEEEEEEEE10hipError_tPvRmT3_T4_T5_T6_T7_T9_mT8_P12ihipStream_tbDpT10_ENKUlT_T0_E_clISt17integral_constantIbLb1EES1K_EEDaS1F_S1G_EUlS1F_E_NS1_11comp_targetILNS1_3genE8ELNS1_11target_archE1030ELNS1_3gpuE2ELNS1_3repE0EEENS1_30default_config_static_selectorELNS0_4arch9wavefront6targetE0EEEvT1_.has_dyn_sized_stack, 0
	.set _ZN7rocprim17ROCPRIM_400000_NS6detail17trampoline_kernelINS0_14default_configENS1_25partition_config_selectorILNS1_17partition_subalgoE6EyNS0_10empty_typeEbEEZZNS1_14partition_implILS5_6ELb0ES3_mN6thrust23THRUST_200600_302600_NS6detail15normal_iteratorINSA_10device_ptrIyEEEEPS6_SG_NS0_5tupleIJSF_S6_EEENSH_IJSG_SG_EEES6_PlJNSB_9not_fun_tINSB_10functional5actorINSM_9compositeIJNSM_27transparent_binary_operatorINSA_8equal_toIvEEEENSN_INSM_8argumentILj0EEEEENSM_5valueIyEEEEEEEEEEEE10hipError_tPvRmT3_T4_T5_T6_T7_T9_mT8_P12ihipStream_tbDpT10_ENKUlT_T0_E_clISt17integral_constantIbLb1EES1K_EEDaS1F_S1G_EUlS1F_E_NS1_11comp_targetILNS1_3genE8ELNS1_11target_archE1030ELNS1_3gpuE2ELNS1_3repE0EEENS1_30default_config_static_selectorELNS0_4arch9wavefront6targetE0EEEvT1_.has_recursion, 0
	.set _ZN7rocprim17ROCPRIM_400000_NS6detail17trampoline_kernelINS0_14default_configENS1_25partition_config_selectorILNS1_17partition_subalgoE6EyNS0_10empty_typeEbEEZZNS1_14partition_implILS5_6ELb0ES3_mN6thrust23THRUST_200600_302600_NS6detail15normal_iteratorINSA_10device_ptrIyEEEEPS6_SG_NS0_5tupleIJSF_S6_EEENSH_IJSG_SG_EEES6_PlJNSB_9not_fun_tINSB_10functional5actorINSM_9compositeIJNSM_27transparent_binary_operatorINSA_8equal_toIvEEEENSN_INSM_8argumentILj0EEEEENSM_5valueIyEEEEEEEEEEEE10hipError_tPvRmT3_T4_T5_T6_T7_T9_mT8_P12ihipStream_tbDpT10_ENKUlT_T0_E_clISt17integral_constantIbLb1EES1K_EEDaS1F_S1G_EUlS1F_E_NS1_11comp_targetILNS1_3genE8ELNS1_11target_archE1030ELNS1_3gpuE2ELNS1_3repE0EEENS1_30default_config_static_selectorELNS0_4arch9wavefront6targetE0EEEvT1_.has_indirect_call, 0
	.section	.AMDGPU.csdata,"",@progbits
; Kernel info:
; codeLenInByte = 0
; TotalNumSgprs: 0
; NumVgprs: 0
; ScratchSize: 0
; MemoryBound: 0
; FloatMode: 240
; IeeeMode: 1
; LDSByteSize: 0 bytes/workgroup (compile time only)
; SGPRBlocks: 0
; VGPRBlocks: 0
; NumSGPRsForWavesPerEU: 1
; NumVGPRsForWavesPerEU: 1
; Occupancy: 16
; WaveLimiterHint : 0
; COMPUTE_PGM_RSRC2:SCRATCH_EN: 0
; COMPUTE_PGM_RSRC2:USER_SGPR: 2
; COMPUTE_PGM_RSRC2:TRAP_HANDLER: 0
; COMPUTE_PGM_RSRC2:TGID_X_EN: 1
; COMPUTE_PGM_RSRC2:TGID_Y_EN: 0
; COMPUTE_PGM_RSRC2:TGID_Z_EN: 0
; COMPUTE_PGM_RSRC2:TIDIG_COMP_CNT: 0
	.section	.text._ZN7rocprim17ROCPRIM_400000_NS6detail17trampoline_kernelINS0_14default_configENS1_25partition_config_selectorILNS1_17partition_subalgoE6EyNS0_10empty_typeEbEEZZNS1_14partition_implILS5_6ELb0ES3_mN6thrust23THRUST_200600_302600_NS6detail15normal_iteratorINSA_10device_ptrIyEEEEPS6_SG_NS0_5tupleIJSF_S6_EEENSH_IJSG_SG_EEES6_PlJNSB_9not_fun_tINSB_10functional5actorINSM_9compositeIJNSM_27transparent_binary_operatorINSA_8equal_toIvEEEENSN_INSM_8argumentILj0EEEEENSM_5valueIyEEEEEEEEEEEE10hipError_tPvRmT3_T4_T5_T6_T7_T9_mT8_P12ihipStream_tbDpT10_ENKUlT_T0_E_clISt17integral_constantIbLb1EES1J_IbLb0EEEEDaS1F_S1G_EUlS1F_E_NS1_11comp_targetILNS1_3genE0ELNS1_11target_archE4294967295ELNS1_3gpuE0ELNS1_3repE0EEENS1_30default_config_static_selectorELNS0_4arch9wavefront6targetE0EEEvT1_,"axG",@progbits,_ZN7rocprim17ROCPRIM_400000_NS6detail17trampoline_kernelINS0_14default_configENS1_25partition_config_selectorILNS1_17partition_subalgoE6EyNS0_10empty_typeEbEEZZNS1_14partition_implILS5_6ELb0ES3_mN6thrust23THRUST_200600_302600_NS6detail15normal_iteratorINSA_10device_ptrIyEEEEPS6_SG_NS0_5tupleIJSF_S6_EEENSH_IJSG_SG_EEES6_PlJNSB_9not_fun_tINSB_10functional5actorINSM_9compositeIJNSM_27transparent_binary_operatorINSA_8equal_toIvEEEENSN_INSM_8argumentILj0EEEEENSM_5valueIyEEEEEEEEEEEE10hipError_tPvRmT3_T4_T5_T6_T7_T9_mT8_P12ihipStream_tbDpT10_ENKUlT_T0_E_clISt17integral_constantIbLb1EES1J_IbLb0EEEEDaS1F_S1G_EUlS1F_E_NS1_11comp_targetILNS1_3genE0ELNS1_11target_archE4294967295ELNS1_3gpuE0ELNS1_3repE0EEENS1_30default_config_static_selectorELNS0_4arch9wavefront6targetE0EEEvT1_,comdat
	.protected	_ZN7rocprim17ROCPRIM_400000_NS6detail17trampoline_kernelINS0_14default_configENS1_25partition_config_selectorILNS1_17partition_subalgoE6EyNS0_10empty_typeEbEEZZNS1_14partition_implILS5_6ELb0ES3_mN6thrust23THRUST_200600_302600_NS6detail15normal_iteratorINSA_10device_ptrIyEEEEPS6_SG_NS0_5tupleIJSF_S6_EEENSH_IJSG_SG_EEES6_PlJNSB_9not_fun_tINSB_10functional5actorINSM_9compositeIJNSM_27transparent_binary_operatorINSA_8equal_toIvEEEENSN_INSM_8argumentILj0EEEEENSM_5valueIyEEEEEEEEEEEE10hipError_tPvRmT3_T4_T5_T6_T7_T9_mT8_P12ihipStream_tbDpT10_ENKUlT_T0_E_clISt17integral_constantIbLb1EES1J_IbLb0EEEEDaS1F_S1G_EUlS1F_E_NS1_11comp_targetILNS1_3genE0ELNS1_11target_archE4294967295ELNS1_3gpuE0ELNS1_3repE0EEENS1_30default_config_static_selectorELNS0_4arch9wavefront6targetE0EEEvT1_ ; -- Begin function _ZN7rocprim17ROCPRIM_400000_NS6detail17trampoline_kernelINS0_14default_configENS1_25partition_config_selectorILNS1_17partition_subalgoE6EyNS0_10empty_typeEbEEZZNS1_14partition_implILS5_6ELb0ES3_mN6thrust23THRUST_200600_302600_NS6detail15normal_iteratorINSA_10device_ptrIyEEEEPS6_SG_NS0_5tupleIJSF_S6_EEENSH_IJSG_SG_EEES6_PlJNSB_9not_fun_tINSB_10functional5actorINSM_9compositeIJNSM_27transparent_binary_operatorINSA_8equal_toIvEEEENSN_INSM_8argumentILj0EEEEENSM_5valueIyEEEEEEEEEEEE10hipError_tPvRmT3_T4_T5_T6_T7_T9_mT8_P12ihipStream_tbDpT10_ENKUlT_T0_E_clISt17integral_constantIbLb1EES1J_IbLb0EEEEDaS1F_S1G_EUlS1F_E_NS1_11comp_targetILNS1_3genE0ELNS1_11target_archE4294967295ELNS1_3gpuE0ELNS1_3repE0EEENS1_30default_config_static_selectorELNS0_4arch9wavefront6targetE0EEEvT1_
	.globl	_ZN7rocprim17ROCPRIM_400000_NS6detail17trampoline_kernelINS0_14default_configENS1_25partition_config_selectorILNS1_17partition_subalgoE6EyNS0_10empty_typeEbEEZZNS1_14partition_implILS5_6ELb0ES3_mN6thrust23THRUST_200600_302600_NS6detail15normal_iteratorINSA_10device_ptrIyEEEEPS6_SG_NS0_5tupleIJSF_S6_EEENSH_IJSG_SG_EEES6_PlJNSB_9not_fun_tINSB_10functional5actorINSM_9compositeIJNSM_27transparent_binary_operatorINSA_8equal_toIvEEEENSN_INSM_8argumentILj0EEEEENSM_5valueIyEEEEEEEEEEEE10hipError_tPvRmT3_T4_T5_T6_T7_T9_mT8_P12ihipStream_tbDpT10_ENKUlT_T0_E_clISt17integral_constantIbLb1EES1J_IbLb0EEEEDaS1F_S1G_EUlS1F_E_NS1_11comp_targetILNS1_3genE0ELNS1_11target_archE4294967295ELNS1_3gpuE0ELNS1_3repE0EEENS1_30default_config_static_selectorELNS0_4arch9wavefront6targetE0EEEvT1_
	.p2align	8
	.type	_ZN7rocprim17ROCPRIM_400000_NS6detail17trampoline_kernelINS0_14default_configENS1_25partition_config_selectorILNS1_17partition_subalgoE6EyNS0_10empty_typeEbEEZZNS1_14partition_implILS5_6ELb0ES3_mN6thrust23THRUST_200600_302600_NS6detail15normal_iteratorINSA_10device_ptrIyEEEEPS6_SG_NS0_5tupleIJSF_S6_EEENSH_IJSG_SG_EEES6_PlJNSB_9not_fun_tINSB_10functional5actorINSM_9compositeIJNSM_27transparent_binary_operatorINSA_8equal_toIvEEEENSN_INSM_8argumentILj0EEEEENSM_5valueIyEEEEEEEEEEEE10hipError_tPvRmT3_T4_T5_T6_T7_T9_mT8_P12ihipStream_tbDpT10_ENKUlT_T0_E_clISt17integral_constantIbLb1EES1J_IbLb0EEEEDaS1F_S1G_EUlS1F_E_NS1_11comp_targetILNS1_3genE0ELNS1_11target_archE4294967295ELNS1_3gpuE0ELNS1_3repE0EEENS1_30default_config_static_selectorELNS0_4arch9wavefront6targetE0EEEvT1_,@function
_ZN7rocprim17ROCPRIM_400000_NS6detail17trampoline_kernelINS0_14default_configENS1_25partition_config_selectorILNS1_17partition_subalgoE6EyNS0_10empty_typeEbEEZZNS1_14partition_implILS5_6ELb0ES3_mN6thrust23THRUST_200600_302600_NS6detail15normal_iteratorINSA_10device_ptrIyEEEEPS6_SG_NS0_5tupleIJSF_S6_EEENSH_IJSG_SG_EEES6_PlJNSB_9not_fun_tINSB_10functional5actorINSM_9compositeIJNSM_27transparent_binary_operatorINSA_8equal_toIvEEEENSN_INSM_8argumentILj0EEEEENSM_5valueIyEEEEEEEEEEEE10hipError_tPvRmT3_T4_T5_T6_T7_T9_mT8_P12ihipStream_tbDpT10_ENKUlT_T0_E_clISt17integral_constantIbLb1EES1J_IbLb0EEEEDaS1F_S1G_EUlS1F_E_NS1_11comp_targetILNS1_3genE0ELNS1_11target_archE4294967295ELNS1_3gpuE0ELNS1_3repE0EEENS1_30default_config_static_selectorELNS0_4arch9wavefront6targetE0EEEvT1_: ; @_ZN7rocprim17ROCPRIM_400000_NS6detail17trampoline_kernelINS0_14default_configENS1_25partition_config_selectorILNS1_17partition_subalgoE6EyNS0_10empty_typeEbEEZZNS1_14partition_implILS5_6ELb0ES3_mN6thrust23THRUST_200600_302600_NS6detail15normal_iteratorINSA_10device_ptrIyEEEEPS6_SG_NS0_5tupleIJSF_S6_EEENSH_IJSG_SG_EEES6_PlJNSB_9not_fun_tINSB_10functional5actorINSM_9compositeIJNSM_27transparent_binary_operatorINSA_8equal_toIvEEEENSN_INSM_8argumentILj0EEEEENSM_5valueIyEEEEEEEEEEEE10hipError_tPvRmT3_T4_T5_T6_T7_T9_mT8_P12ihipStream_tbDpT10_ENKUlT_T0_E_clISt17integral_constantIbLb1EES1J_IbLb0EEEEDaS1F_S1G_EUlS1F_E_NS1_11comp_targetILNS1_3genE0ELNS1_11target_archE4294967295ELNS1_3gpuE0ELNS1_3repE0EEENS1_30default_config_static_selectorELNS0_4arch9wavefront6targetE0EEEvT1_
; %bb.0:
	.section	.rodata,"a",@progbits
	.p2align	6, 0x0
	.amdhsa_kernel _ZN7rocprim17ROCPRIM_400000_NS6detail17trampoline_kernelINS0_14default_configENS1_25partition_config_selectorILNS1_17partition_subalgoE6EyNS0_10empty_typeEbEEZZNS1_14partition_implILS5_6ELb0ES3_mN6thrust23THRUST_200600_302600_NS6detail15normal_iteratorINSA_10device_ptrIyEEEEPS6_SG_NS0_5tupleIJSF_S6_EEENSH_IJSG_SG_EEES6_PlJNSB_9not_fun_tINSB_10functional5actorINSM_9compositeIJNSM_27transparent_binary_operatorINSA_8equal_toIvEEEENSN_INSM_8argumentILj0EEEEENSM_5valueIyEEEEEEEEEEEE10hipError_tPvRmT3_T4_T5_T6_T7_T9_mT8_P12ihipStream_tbDpT10_ENKUlT_T0_E_clISt17integral_constantIbLb1EES1J_IbLb0EEEEDaS1F_S1G_EUlS1F_E_NS1_11comp_targetILNS1_3genE0ELNS1_11target_archE4294967295ELNS1_3gpuE0ELNS1_3repE0EEENS1_30default_config_static_selectorELNS0_4arch9wavefront6targetE0EEEvT1_
		.amdhsa_group_segment_fixed_size 0
		.amdhsa_private_segment_fixed_size 0
		.amdhsa_kernarg_size 128
		.amdhsa_user_sgpr_count 2
		.amdhsa_user_sgpr_dispatch_ptr 0
		.amdhsa_user_sgpr_queue_ptr 0
		.amdhsa_user_sgpr_kernarg_segment_ptr 1
		.amdhsa_user_sgpr_dispatch_id 0
		.amdhsa_user_sgpr_private_segment_size 0
		.amdhsa_wavefront_size32 1
		.amdhsa_uses_dynamic_stack 0
		.amdhsa_enable_private_segment 0
		.amdhsa_system_sgpr_workgroup_id_x 1
		.amdhsa_system_sgpr_workgroup_id_y 0
		.amdhsa_system_sgpr_workgroup_id_z 0
		.amdhsa_system_sgpr_workgroup_info 0
		.amdhsa_system_vgpr_workitem_id 0
		.amdhsa_next_free_vgpr 1
		.amdhsa_next_free_sgpr 1
		.amdhsa_reserve_vcc 0
		.amdhsa_float_round_mode_32 0
		.amdhsa_float_round_mode_16_64 0
		.amdhsa_float_denorm_mode_32 3
		.amdhsa_float_denorm_mode_16_64 3
		.amdhsa_fp16_overflow 0
		.amdhsa_workgroup_processor_mode 1
		.amdhsa_memory_ordered 1
		.amdhsa_forward_progress 1
		.amdhsa_inst_pref_size 0
		.amdhsa_round_robin_scheduling 0
		.amdhsa_exception_fp_ieee_invalid_op 0
		.amdhsa_exception_fp_denorm_src 0
		.amdhsa_exception_fp_ieee_div_zero 0
		.amdhsa_exception_fp_ieee_overflow 0
		.amdhsa_exception_fp_ieee_underflow 0
		.amdhsa_exception_fp_ieee_inexact 0
		.amdhsa_exception_int_div_zero 0
	.end_amdhsa_kernel
	.section	.text._ZN7rocprim17ROCPRIM_400000_NS6detail17trampoline_kernelINS0_14default_configENS1_25partition_config_selectorILNS1_17partition_subalgoE6EyNS0_10empty_typeEbEEZZNS1_14partition_implILS5_6ELb0ES3_mN6thrust23THRUST_200600_302600_NS6detail15normal_iteratorINSA_10device_ptrIyEEEEPS6_SG_NS0_5tupleIJSF_S6_EEENSH_IJSG_SG_EEES6_PlJNSB_9not_fun_tINSB_10functional5actorINSM_9compositeIJNSM_27transparent_binary_operatorINSA_8equal_toIvEEEENSN_INSM_8argumentILj0EEEEENSM_5valueIyEEEEEEEEEEEE10hipError_tPvRmT3_T4_T5_T6_T7_T9_mT8_P12ihipStream_tbDpT10_ENKUlT_T0_E_clISt17integral_constantIbLb1EES1J_IbLb0EEEEDaS1F_S1G_EUlS1F_E_NS1_11comp_targetILNS1_3genE0ELNS1_11target_archE4294967295ELNS1_3gpuE0ELNS1_3repE0EEENS1_30default_config_static_selectorELNS0_4arch9wavefront6targetE0EEEvT1_,"axG",@progbits,_ZN7rocprim17ROCPRIM_400000_NS6detail17trampoline_kernelINS0_14default_configENS1_25partition_config_selectorILNS1_17partition_subalgoE6EyNS0_10empty_typeEbEEZZNS1_14partition_implILS5_6ELb0ES3_mN6thrust23THRUST_200600_302600_NS6detail15normal_iteratorINSA_10device_ptrIyEEEEPS6_SG_NS0_5tupleIJSF_S6_EEENSH_IJSG_SG_EEES6_PlJNSB_9not_fun_tINSB_10functional5actorINSM_9compositeIJNSM_27transparent_binary_operatorINSA_8equal_toIvEEEENSN_INSM_8argumentILj0EEEEENSM_5valueIyEEEEEEEEEEEE10hipError_tPvRmT3_T4_T5_T6_T7_T9_mT8_P12ihipStream_tbDpT10_ENKUlT_T0_E_clISt17integral_constantIbLb1EES1J_IbLb0EEEEDaS1F_S1G_EUlS1F_E_NS1_11comp_targetILNS1_3genE0ELNS1_11target_archE4294967295ELNS1_3gpuE0ELNS1_3repE0EEENS1_30default_config_static_selectorELNS0_4arch9wavefront6targetE0EEEvT1_,comdat
.Lfunc_end96:
	.size	_ZN7rocprim17ROCPRIM_400000_NS6detail17trampoline_kernelINS0_14default_configENS1_25partition_config_selectorILNS1_17partition_subalgoE6EyNS0_10empty_typeEbEEZZNS1_14partition_implILS5_6ELb0ES3_mN6thrust23THRUST_200600_302600_NS6detail15normal_iteratorINSA_10device_ptrIyEEEEPS6_SG_NS0_5tupleIJSF_S6_EEENSH_IJSG_SG_EEES6_PlJNSB_9not_fun_tINSB_10functional5actorINSM_9compositeIJNSM_27transparent_binary_operatorINSA_8equal_toIvEEEENSN_INSM_8argumentILj0EEEEENSM_5valueIyEEEEEEEEEEEE10hipError_tPvRmT3_T4_T5_T6_T7_T9_mT8_P12ihipStream_tbDpT10_ENKUlT_T0_E_clISt17integral_constantIbLb1EES1J_IbLb0EEEEDaS1F_S1G_EUlS1F_E_NS1_11comp_targetILNS1_3genE0ELNS1_11target_archE4294967295ELNS1_3gpuE0ELNS1_3repE0EEENS1_30default_config_static_selectorELNS0_4arch9wavefront6targetE0EEEvT1_, .Lfunc_end96-_ZN7rocprim17ROCPRIM_400000_NS6detail17trampoline_kernelINS0_14default_configENS1_25partition_config_selectorILNS1_17partition_subalgoE6EyNS0_10empty_typeEbEEZZNS1_14partition_implILS5_6ELb0ES3_mN6thrust23THRUST_200600_302600_NS6detail15normal_iteratorINSA_10device_ptrIyEEEEPS6_SG_NS0_5tupleIJSF_S6_EEENSH_IJSG_SG_EEES6_PlJNSB_9not_fun_tINSB_10functional5actorINSM_9compositeIJNSM_27transparent_binary_operatorINSA_8equal_toIvEEEENSN_INSM_8argumentILj0EEEEENSM_5valueIyEEEEEEEEEEEE10hipError_tPvRmT3_T4_T5_T6_T7_T9_mT8_P12ihipStream_tbDpT10_ENKUlT_T0_E_clISt17integral_constantIbLb1EES1J_IbLb0EEEEDaS1F_S1G_EUlS1F_E_NS1_11comp_targetILNS1_3genE0ELNS1_11target_archE4294967295ELNS1_3gpuE0ELNS1_3repE0EEENS1_30default_config_static_selectorELNS0_4arch9wavefront6targetE0EEEvT1_
                                        ; -- End function
	.set _ZN7rocprim17ROCPRIM_400000_NS6detail17trampoline_kernelINS0_14default_configENS1_25partition_config_selectorILNS1_17partition_subalgoE6EyNS0_10empty_typeEbEEZZNS1_14partition_implILS5_6ELb0ES3_mN6thrust23THRUST_200600_302600_NS6detail15normal_iteratorINSA_10device_ptrIyEEEEPS6_SG_NS0_5tupleIJSF_S6_EEENSH_IJSG_SG_EEES6_PlJNSB_9not_fun_tINSB_10functional5actorINSM_9compositeIJNSM_27transparent_binary_operatorINSA_8equal_toIvEEEENSN_INSM_8argumentILj0EEEEENSM_5valueIyEEEEEEEEEEEE10hipError_tPvRmT3_T4_T5_T6_T7_T9_mT8_P12ihipStream_tbDpT10_ENKUlT_T0_E_clISt17integral_constantIbLb1EES1J_IbLb0EEEEDaS1F_S1G_EUlS1F_E_NS1_11comp_targetILNS1_3genE0ELNS1_11target_archE4294967295ELNS1_3gpuE0ELNS1_3repE0EEENS1_30default_config_static_selectorELNS0_4arch9wavefront6targetE0EEEvT1_.num_vgpr, 0
	.set _ZN7rocprim17ROCPRIM_400000_NS6detail17trampoline_kernelINS0_14default_configENS1_25partition_config_selectorILNS1_17partition_subalgoE6EyNS0_10empty_typeEbEEZZNS1_14partition_implILS5_6ELb0ES3_mN6thrust23THRUST_200600_302600_NS6detail15normal_iteratorINSA_10device_ptrIyEEEEPS6_SG_NS0_5tupleIJSF_S6_EEENSH_IJSG_SG_EEES6_PlJNSB_9not_fun_tINSB_10functional5actorINSM_9compositeIJNSM_27transparent_binary_operatorINSA_8equal_toIvEEEENSN_INSM_8argumentILj0EEEEENSM_5valueIyEEEEEEEEEEEE10hipError_tPvRmT3_T4_T5_T6_T7_T9_mT8_P12ihipStream_tbDpT10_ENKUlT_T0_E_clISt17integral_constantIbLb1EES1J_IbLb0EEEEDaS1F_S1G_EUlS1F_E_NS1_11comp_targetILNS1_3genE0ELNS1_11target_archE4294967295ELNS1_3gpuE0ELNS1_3repE0EEENS1_30default_config_static_selectorELNS0_4arch9wavefront6targetE0EEEvT1_.num_agpr, 0
	.set _ZN7rocprim17ROCPRIM_400000_NS6detail17trampoline_kernelINS0_14default_configENS1_25partition_config_selectorILNS1_17partition_subalgoE6EyNS0_10empty_typeEbEEZZNS1_14partition_implILS5_6ELb0ES3_mN6thrust23THRUST_200600_302600_NS6detail15normal_iteratorINSA_10device_ptrIyEEEEPS6_SG_NS0_5tupleIJSF_S6_EEENSH_IJSG_SG_EEES6_PlJNSB_9not_fun_tINSB_10functional5actorINSM_9compositeIJNSM_27transparent_binary_operatorINSA_8equal_toIvEEEENSN_INSM_8argumentILj0EEEEENSM_5valueIyEEEEEEEEEEEE10hipError_tPvRmT3_T4_T5_T6_T7_T9_mT8_P12ihipStream_tbDpT10_ENKUlT_T0_E_clISt17integral_constantIbLb1EES1J_IbLb0EEEEDaS1F_S1G_EUlS1F_E_NS1_11comp_targetILNS1_3genE0ELNS1_11target_archE4294967295ELNS1_3gpuE0ELNS1_3repE0EEENS1_30default_config_static_selectorELNS0_4arch9wavefront6targetE0EEEvT1_.numbered_sgpr, 0
	.set _ZN7rocprim17ROCPRIM_400000_NS6detail17trampoline_kernelINS0_14default_configENS1_25partition_config_selectorILNS1_17partition_subalgoE6EyNS0_10empty_typeEbEEZZNS1_14partition_implILS5_6ELb0ES3_mN6thrust23THRUST_200600_302600_NS6detail15normal_iteratorINSA_10device_ptrIyEEEEPS6_SG_NS0_5tupleIJSF_S6_EEENSH_IJSG_SG_EEES6_PlJNSB_9not_fun_tINSB_10functional5actorINSM_9compositeIJNSM_27transparent_binary_operatorINSA_8equal_toIvEEEENSN_INSM_8argumentILj0EEEEENSM_5valueIyEEEEEEEEEEEE10hipError_tPvRmT3_T4_T5_T6_T7_T9_mT8_P12ihipStream_tbDpT10_ENKUlT_T0_E_clISt17integral_constantIbLb1EES1J_IbLb0EEEEDaS1F_S1G_EUlS1F_E_NS1_11comp_targetILNS1_3genE0ELNS1_11target_archE4294967295ELNS1_3gpuE0ELNS1_3repE0EEENS1_30default_config_static_selectorELNS0_4arch9wavefront6targetE0EEEvT1_.num_named_barrier, 0
	.set _ZN7rocprim17ROCPRIM_400000_NS6detail17trampoline_kernelINS0_14default_configENS1_25partition_config_selectorILNS1_17partition_subalgoE6EyNS0_10empty_typeEbEEZZNS1_14partition_implILS5_6ELb0ES3_mN6thrust23THRUST_200600_302600_NS6detail15normal_iteratorINSA_10device_ptrIyEEEEPS6_SG_NS0_5tupleIJSF_S6_EEENSH_IJSG_SG_EEES6_PlJNSB_9not_fun_tINSB_10functional5actorINSM_9compositeIJNSM_27transparent_binary_operatorINSA_8equal_toIvEEEENSN_INSM_8argumentILj0EEEEENSM_5valueIyEEEEEEEEEEEE10hipError_tPvRmT3_T4_T5_T6_T7_T9_mT8_P12ihipStream_tbDpT10_ENKUlT_T0_E_clISt17integral_constantIbLb1EES1J_IbLb0EEEEDaS1F_S1G_EUlS1F_E_NS1_11comp_targetILNS1_3genE0ELNS1_11target_archE4294967295ELNS1_3gpuE0ELNS1_3repE0EEENS1_30default_config_static_selectorELNS0_4arch9wavefront6targetE0EEEvT1_.private_seg_size, 0
	.set _ZN7rocprim17ROCPRIM_400000_NS6detail17trampoline_kernelINS0_14default_configENS1_25partition_config_selectorILNS1_17partition_subalgoE6EyNS0_10empty_typeEbEEZZNS1_14partition_implILS5_6ELb0ES3_mN6thrust23THRUST_200600_302600_NS6detail15normal_iteratorINSA_10device_ptrIyEEEEPS6_SG_NS0_5tupleIJSF_S6_EEENSH_IJSG_SG_EEES6_PlJNSB_9not_fun_tINSB_10functional5actorINSM_9compositeIJNSM_27transparent_binary_operatorINSA_8equal_toIvEEEENSN_INSM_8argumentILj0EEEEENSM_5valueIyEEEEEEEEEEEE10hipError_tPvRmT3_T4_T5_T6_T7_T9_mT8_P12ihipStream_tbDpT10_ENKUlT_T0_E_clISt17integral_constantIbLb1EES1J_IbLb0EEEEDaS1F_S1G_EUlS1F_E_NS1_11comp_targetILNS1_3genE0ELNS1_11target_archE4294967295ELNS1_3gpuE0ELNS1_3repE0EEENS1_30default_config_static_selectorELNS0_4arch9wavefront6targetE0EEEvT1_.uses_vcc, 0
	.set _ZN7rocprim17ROCPRIM_400000_NS6detail17trampoline_kernelINS0_14default_configENS1_25partition_config_selectorILNS1_17partition_subalgoE6EyNS0_10empty_typeEbEEZZNS1_14partition_implILS5_6ELb0ES3_mN6thrust23THRUST_200600_302600_NS6detail15normal_iteratorINSA_10device_ptrIyEEEEPS6_SG_NS0_5tupleIJSF_S6_EEENSH_IJSG_SG_EEES6_PlJNSB_9not_fun_tINSB_10functional5actorINSM_9compositeIJNSM_27transparent_binary_operatorINSA_8equal_toIvEEEENSN_INSM_8argumentILj0EEEEENSM_5valueIyEEEEEEEEEEEE10hipError_tPvRmT3_T4_T5_T6_T7_T9_mT8_P12ihipStream_tbDpT10_ENKUlT_T0_E_clISt17integral_constantIbLb1EES1J_IbLb0EEEEDaS1F_S1G_EUlS1F_E_NS1_11comp_targetILNS1_3genE0ELNS1_11target_archE4294967295ELNS1_3gpuE0ELNS1_3repE0EEENS1_30default_config_static_selectorELNS0_4arch9wavefront6targetE0EEEvT1_.uses_flat_scratch, 0
	.set _ZN7rocprim17ROCPRIM_400000_NS6detail17trampoline_kernelINS0_14default_configENS1_25partition_config_selectorILNS1_17partition_subalgoE6EyNS0_10empty_typeEbEEZZNS1_14partition_implILS5_6ELb0ES3_mN6thrust23THRUST_200600_302600_NS6detail15normal_iteratorINSA_10device_ptrIyEEEEPS6_SG_NS0_5tupleIJSF_S6_EEENSH_IJSG_SG_EEES6_PlJNSB_9not_fun_tINSB_10functional5actorINSM_9compositeIJNSM_27transparent_binary_operatorINSA_8equal_toIvEEEENSN_INSM_8argumentILj0EEEEENSM_5valueIyEEEEEEEEEEEE10hipError_tPvRmT3_T4_T5_T6_T7_T9_mT8_P12ihipStream_tbDpT10_ENKUlT_T0_E_clISt17integral_constantIbLb1EES1J_IbLb0EEEEDaS1F_S1G_EUlS1F_E_NS1_11comp_targetILNS1_3genE0ELNS1_11target_archE4294967295ELNS1_3gpuE0ELNS1_3repE0EEENS1_30default_config_static_selectorELNS0_4arch9wavefront6targetE0EEEvT1_.has_dyn_sized_stack, 0
	.set _ZN7rocprim17ROCPRIM_400000_NS6detail17trampoline_kernelINS0_14default_configENS1_25partition_config_selectorILNS1_17partition_subalgoE6EyNS0_10empty_typeEbEEZZNS1_14partition_implILS5_6ELb0ES3_mN6thrust23THRUST_200600_302600_NS6detail15normal_iteratorINSA_10device_ptrIyEEEEPS6_SG_NS0_5tupleIJSF_S6_EEENSH_IJSG_SG_EEES6_PlJNSB_9not_fun_tINSB_10functional5actorINSM_9compositeIJNSM_27transparent_binary_operatorINSA_8equal_toIvEEEENSN_INSM_8argumentILj0EEEEENSM_5valueIyEEEEEEEEEEEE10hipError_tPvRmT3_T4_T5_T6_T7_T9_mT8_P12ihipStream_tbDpT10_ENKUlT_T0_E_clISt17integral_constantIbLb1EES1J_IbLb0EEEEDaS1F_S1G_EUlS1F_E_NS1_11comp_targetILNS1_3genE0ELNS1_11target_archE4294967295ELNS1_3gpuE0ELNS1_3repE0EEENS1_30default_config_static_selectorELNS0_4arch9wavefront6targetE0EEEvT1_.has_recursion, 0
	.set _ZN7rocprim17ROCPRIM_400000_NS6detail17trampoline_kernelINS0_14default_configENS1_25partition_config_selectorILNS1_17partition_subalgoE6EyNS0_10empty_typeEbEEZZNS1_14partition_implILS5_6ELb0ES3_mN6thrust23THRUST_200600_302600_NS6detail15normal_iteratorINSA_10device_ptrIyEEEEPS6_SG_NS0_5tupleIJSF_S6_EEENSH_IJSG_SG_EEES6_PlJNSB_9not_fun_tINSB_10functional5actorINSM_9compositeIJNSM_27transparent_binary_operatorINSA_8equal_toIvEEEENSN_INSM_8argumentILj0EEEEENSM_5valueIyEEEEEEEEEEEE10hipError_tPvRmT3_T4_T5_T6_T7_T9_mT8_P12ihipStream_tbDpT10_ENKUlT_T0_E_clISt17integral_constantIbLb1EES1J_IbLb0EEEEDaS1F_S1G_EUlS1F_E_NS1_11comp_targetILNS1_3genE0ELNS1_11target_archE4294967295ELNS1_3gpuE0ELNS1_3repE0EEENS1_30default_config_static_selectorELNS0_4arch9wavefront6targetE0EEEvT1_.has_indirect_call, 0
	.section	.AMDGPU.csdata,"",@progbits
; Kernel info:
; codeLenInByte = 0
; TotalNumSgprs: 0
; NumVgprs: 0
; ScratchSize: 0
; MemoryBound: 0
; FloatMode: 240
; IeeeMode: 1
; LDSByteSize: 0 bytes/workgroup (compile time only)
; SGPRBlocks: 0
; VGPRBlocks: 0
; NumSGPRsForWavesPerEU: 1
; NumVGPRsForWavesPerEU: 1
; Occupancy: 16
; WaveLimiterHint : 0
; COMPUTE_PGM_RSRC2:SCRATCH_EN: 0
; COMPUTE_PGM_RSRC2:USER_SGPR: 2
; COMPUTE_PGM_RSRC2:TRAP_HANDLER: 0
; COMPUTE_PGM_RSRC2:TGID_X_EN: 1
; COMPUTE_PGM_RSRC2:TGID_Y_EN: 0
; COMPUTE_PGM_RSRC2:TGID_Z_EN: 0
; COMPUTE_PGM_RSRC2:TIDIG_COMP_CNT: 0
	.section	.text._ZN7rocprim17ROCPRIM_400000_NS6detail17trampoline_kernelINS0_14default_configENS1_25partition_config_selectorILNS1_17partition_subalgoE6EyNS0_10empty_typeEbEEZZNS1_14partition_implILS5_6ELb0ES3_mN6thrust23THRUST_200600_302600_NS6detail15normal_iteratorINSA_10device_ptrIyEEEEPS6_SG_NS0_5tupleIJSF_S6_EEENSH_IJSG_SG_EEES6_PlJNSB_9not_fun_tINSB_10functional5actorINSM_9compositeIJNSM_27transparent_binary_operatorINSA_8equal_toIvEEEENSN_INSM_8argumentILj0EEEEENSM_5valueIyEEEEEEEEEEEE10hipError_tPvRmT3_T4_T5_T6_T7_T9_mT8_P12ihipStream_tbDpT10_ENKUlT_T0_E_clISt17integral_constantIbLb1EES1J_IbLb0EEEEDaS1F_S1G_EUlS1F_E_NS1_11comp_targetILNS1_3genE5ELNS1_11target_archE942ELNS1_3gpuE9ELNS1_3repE0EEENS1_30default_config_static_selectorELNS0_4arch9wavefront6targetE0EEEvT1_,"axG",@progbits,_ZN7rocprim17ROCPRIM_400000_NS6detail17trampoline_kernelINS0_14default_configENS1_25partition_config_selectorILNS1_17partition_subalgoE6EyNS0_10empty_typeEbEEZZNS1_14partition_implILS5_6ELb0ES3_mN6thrust23THRUST_200600_302600_NS6detail15normal_iteratorINSA_10device_ptrIyEEEEPS6_SG_NS0_5tupleIJSF_S6_EEENSH_IJSG_SG_EEES6_PlJNSB_9not_fun_tINSB_10functional5actorINSM_9compositeIJNSM_27transparent_binary_operatorINSA_8equal_toIvEEEENSN_INSM_8argumentILj0EEEEENSM_5valueIyEEEEEEEEEEEE10hipError_tPvRmT3_T4_T5_T6_T7_T9_mT8_P12ihipStream_tbDpT10_ENKUlT_T0_E_clISt17integral_constantIbLb1EES1J_IbLb0EEEEDaS1F_S1G_EUlS1F_E_NS1_11comp_targetILNS1_3genE5ELNS1_11target_archE942ELNS1_3gpuE9ELNS1_3repE0EEENS1_30default_config_static_selectorELNS0_4arch9wavefront6targetE0EEEvT1_,comdat
	.protected	_ZN7rocprim17ROCPRIM_400000_NS6detail17trampoline_kernelINS0_14default_configENS1_25partition_config_selectorILNS1_17partition_subalgoE6EyNS0_10empty_typeEbEEZZNS1_14partition_implILS5_6ELb0ES3_mN6thrust23THRUST_200600_302600_NS6detail15normal_iteratorINSA_10device_ptrIyEEEEPS6_SG_NS0_5tupleIJSF_S6_EEENSH_IJSG_SG_EEES6_PlJNSB_9not_fun_tINSB_10functional5actorINSM_9compositeIJNSM_27transparent_binary_operatorINSA_8equal_toIvEEEENSN_INSM_8argumentILj0EEEEENSM_5valueIyEEEEEEEEEEEE10hipError_tPvRmT3_T4_T5_T6_T7_T9_mT8_P12ihipStream_tbDpT10_ENKUlT_T0_E_clISt17integral_constantIbLb1EES1J_IbLb0EEEEDaS1F_S1G_EUlS1F_E_NS1_11comp_targetILNS1_3genE5ELNS1_11target_archE942ELNS1_3gpuE9ELNS1_3repE0EEENS1_30default_config_static_selectorELNS0_4arch9wavefront6targetE0EEEvT1_ ; -- Begin function _ZN7rocprim17ROCPRIM_400000_NS6detail17trampoline_kernelINS0_14default_configENS1_25partition_config_selectorILNS1_17partition_subalgoE6EyNS0_10empty_typeEbEEZZNS1_14partition_implILS5_6ELb0ES3_mN6thrust23THRUST_200600_302600_NS6detail15normal_iteratorINSA_10device_ptrIyEEEEPS6_SG_NS0_5tupleIJSF_S6_EEENSH_IJSG_SG_EEES6_PlJNSB_9not_fun_tINSB_10functional5actorINSM_9compositeIJNSM_27transparent_binary_operatorINSA_8equal_toIvEEEENSN_INSM_8argumentILj0EEEEENSM_5valueIyEEEEEEEEEEEE10hipError_tPvRmT3_T4_T5_T6_T7_T9_mT8_P12ihipStream_tbDpT10_ENKUlT_T0_E_clISt17integral_constantIbLb1EES1J_IbLb0EEEEDaS1F_S1G_EUlS1F_E_NS1_11comp_targetILNS1_3genE5ELNS1_11target_archE942ELNS1_3gpuE9ELNS1_3repE0EEENS1_30default_config_static_selectorELNS0_4arch9wavefront6targetE0EEEvT1_
	.globl	_ZN7rocprim17ROCPRIM_400000_NS6detail17trampoline_kernelINS0_14default_configENS1_25partition_config_selectorILNS1_17partition_subalgoE6EyNS0_10empty_typeEbEEZZNS1_14partition_implILS5_6ELb0ES3_mN6thrust23THRUST_200600_302600_NS6detail15normal_iteratorINSA_10device_ptrIyEEEEPS6_SG_NS0_5tupleIJSF_S6_EEENSH_IJSG_SG_EEES6_PlJNSB_9not_fun_tINSB_10functional5actorINSM_9compositeIJNSM_27transparent_binary_operatorINSA_8equal_toIvEEEENSN_INSM_8argumentILj0EEEEENSM_5valueIyEEEEEEEEEEEE10hipError_tPvRmT3_T4_T5_T6_T7_T9_mT8_P12ihipStream_tbDpT10_ENKUlT_T0_E_clISt17integral_constantIbLb1EES1J_IbLb0EEEEDaS1F_S1G_EUlS1F_E_NS1_11comp_targetILNS1_3genE5ELNS1_11target_archE942ELNS1_3gpuE9ELNS1_3repE0EEENS1_30default_config_static_selectorELNS0_4arch9wavefront6targetE0EEEvT1_
	.p2align	8
	.type	_ZN7rocprim17ROCPRIM_400000_NS6detail17trampoline_kernelINS0_14default_configENS1_25partition_config_selectorILNS1_17partition_subalgoE6EyNS0_10empty_typeEbEEZZNS1_14partition_implILS5_6ELb0ES3_mN6thrust23THRUST_200600_302600_NS6detail15normal_iteratorINSA_10device_ptrIyEEEEPS6_SG_NS0_5tupleIJSF_S6_EEENSH_IJSG_SG_EEES6_PlJNSB_9not_fun_tINSB_10functional5actorINSM_9compositeIJNSM_27transparent_binary_operatorINSA_8equal_toIvEEEENSN_INSM_8argumentILj0EEEEENSM_5valueIyEEEEEEEEEEEE10hipError_tPvRmT3_T4_T5_T6_T7_T9_mT8_P12ihipStream_tbDpT10_ENKUlT_T0_E_clISt17integral_constantIbLb1EES1J_IbLb0EEEEDaS1F_S1G_EUlS1F_E_NS1_11comp_targetILNS1_3genE5ELNS1_11target_archE942ELNS1_3gpuE9ELNS1_3repE0EEENS1_30default_config_static_selectorELNS0_4arch9wavefront6targetE0EEEvT1_,@function
_ZN7rocprim17ROCPRIM_400000_NS6detail17trampoline_kernelINS0_14default_configENS1_25partition_config_selectorILNS1_17partition_subalgoE6EyNS0_10empty_typeEbEEZZNS1_14partition_implILS5_6ELb0ES3_mN6thrust23THRUST_200600_302600_NS6detail15normal_iteratorINSA_10device_ptrIyEEEEPS6_SG_NS0_5tupleIJSF_S6_EEENSH_IJSG_SG_EEES6_PlJNSB_9not_fun_tINSB_10functional5actorINSM_9compositeIJNSM_27transparent_binary_operatorINSA_8equal_toIvEEEENSN_INSM_8argumentILj0EEEEENSM_5valueIyEEEEEEEEEEEE10hipError_tPvRmT3_T4_T5_T6_T7_T9_mT8_P12ihipStream_tbDpT10_ENKUlT_T0_E_clISt17integral_constantIbLb1EES1J_IbLb0EEEEDaS1F_S1G_EUlS1F_E_NS1_11comp_targetILNS1_3genE5ELNS1_11target_archE942ELNS1_3gpuE9ELNS1_3repE0EEENS1_30default_config_static_selectorELNS0_4arch9wavefront6targetE0EEEvT1_: ; @_ZN7rocprim17ROCPRIM_400000_NS6detail17trampoline_kernelINS0_14default_configENS1_25partition_config_selectorILNS1_17partition_subalgoE6EyNS0_10empty_typeEbEEZZNS1_14partition_implILS5_6ELb0ES3_mN6thrust23THRUST_200600_302600_NS6detail15normal_iteratorINSA_10device_ptrIyEEEEPS6_SG_NS0_5tupleIJSF_S6_EEENSH_IJSG_SG_EEES6_PlJNSB_9not_fun_tINSB_10functional5actorINSM_9compositeIJNSM_27transparent_binary_operatorINSA_8equal_toIvEEEENSN_INSM_8argumentILj0EEEEENSM_5valueIyEEEEEEEEEEEE10hipError_tPvRmT3_T4_T5_T6_T7_T9_mT8_P12ihipStream_tbDpT10_ENKUlT_T0_E_clISt17integral_constantIbLb1EES1J_IbLb0EEEEDaS1F_S1G_EUlS1F_E_NS1_11comp_targetILNS1_3genE5ELNS1_11target_archE942ELNS1_3gpuE9ELNS1_3repE0EEENS1_30default_config_static_selectorELNS0_4arch9wavefront6targetE0EEEvT1_
; %bb.0:
	.section	.rodata,"a",@progbits
	.p2align	6, 0x0
	.amdhsa_kernel _ZN7rocprim17ROCPRIM_400000_NS6detail17trampoline_kernelINS0_14default_configENS1_25partition_config_selectorILNS1_17partition_subalgoE6EyNS0_10empty_typeEbEEZZNS1_14partition_implILS5_6ELb0ES3_mN6thrust23THRUST_200600_302600_NS6detail15normal_iteratorINSA_10device_ptrIyEEEEPS6_SG_NS0_5tupleIJSF_S6_EEENSH_IJSG_SG_EEES6_PlJNSB_9not_fun_tINSB_10functional5actorINSM_9compositeIJNSM_27transparent_binary_operatorINSA_8equal_toIvEEEENSN_INSM_8argumentILj0EEEEENSM_5valueIyEEEEEEEEEEEE10hipError_tPvRmT3_T4_T5_T6_T7_T9_mT8_P12ihipStream_tbDpT10_ENKUlT_T0_E_clISt17integral_constantIbLb1EES1J_IbLb0EEEEDaS1F_S1G_EUlS1F_E_NS1_11comp_targetILNS1_3genE5ELNS1_11target_archE942ELNS1_3gpuE9ELNS1_3repE0EEENS1_30default_config_static_selectorELNS0_4arch9wavefront6targetE0EEEvT1_
		.amdhsa_group_segment_fixed_size 0
		.amdhsa_private_segment_fixed_size 0
		.amdhsa_kernarg_size 128
		.amdhsa_user_sgpr_count 2
		.amdhsa_user_sgpr_dispatch_ptr 0
		.amdhsa_user_sgpr_queue_ptr 0
		.amdhsa_user_sgpr_kernarg_segment_ptr 1
		.amdhsa_user_sgpr_dispatch_id 0
		.amdhsa_user_sgpr_private_segment_size 0
		.amdhsa_wavefront_size32 1
		.amdhsa_uses_dynamic_stack 0
		.amdhsa_enable_private_segment 0
		.amdhsa_system_sgpr_workgroup_id_x 1
		.amdhsa_system_sgpr_workgroup_id_y 0
		.amdhsa_system_sgpr_workgroup_id_z 0
		.amdhsa_system_sgpr_workgroup_info 0
		.amdhsa_system_vgpr_workitem_id 0
		.amdhsa_next_free_vgpr 1
		.amdhsa_next_free_sgpr 1
		.amdhsa_reserve_vcc 0
		.amdhsa_float_round_mode_32 0
		.amdhsa_float_round_mode_16_64 0
		.amdhsa_float_denorm_mode_32 3
		.amdhsa_float_denorm_mode_16_64 3
		.amdhsa_fp16_overflow 0
		.amdhsa_workgroup_processor_mode 1
		.amdhsa_memory_ordered 1
		.amdhsa_forward_progress 1
		.amdhsa_inst_pref_size 0
		.amdhsa_round_robin_scheduling 0
		.amdhsa_exception_fp_ieee_invalid_op 0
		.amdhsa_exception_fp_denorm_src 0
		.amdhsa_exception_fp_ieee_div_zero 0
		.amdhsa_exception_fp_ieee_overflow 0
		.amdhsa_exception_fp_ieee_underflow 0
		.amdhsa_exception_fp_ieee_inexact 0
		.amdhsa_exception_int_div_zero 0
	.end_amdhsa_kernel
	.section	.text._ZN7rocprim17ROCPRIM_400000_NS6detail17trampoline_kernelINS0_14default_configENS1_25partition_config_selectorILNS1_17partition_subalgoE6EyNS0_10empty_typeEbEEZZNS1_14partition_implILS5_6ELb0ES3_mN6thrust23THRUST_200600_302600_NS6detail15normal_iteratorINSA_10device_ptrIyEEEEPS6_SG_NS0_5tupleIJSF_S6_EEENSH_IJSG_SG_EEES6_PlJNSB_9not_fun_tINSB_10functional5actorINSM_9compositeIJNSM_27transparent_binary_operatorINSA_8equal_toIvEEEENSN_INSM_8argumentILj0EEEEENSM_5valueIyEEEEEEEEEEEE10hipError_tPvRmT3_T4_T5_T6_T7_T9_mT8_P12ihipStream_tbDpT10_ENKUlT_T0_E_clISt17integral_constantIbLb1EES1J_IbLb0EEEEDaS1F_S1G_EUlS1F_E_NS1_11comp_targetILNS1_3genE5ELNS1_11target_archE942ELNS1_3gpuE9ELNS1_3repE0EEENS1_30default_config_static_selectorELNS0_4arch9wavefront6targetE0EEEvT1_,"axG",@progbits,_ZN7rocprim17ROCPRIM_400000_NS6detail17trampoline_kernelINS0_14default_configENS1_25partition_config_selectorILNS1_17partition_subalgoE6EyNS0_10empty_typeEbEEZZNS1_14partition_implILS5_6ELb0ES3_mN6thrust23THRUST_200600_302600_NS6detail15normal_iteratorINSA_10device_ptrIyEEEEPS6_SG_NS0_5tupleIJSF_S6_EEENSH_IJSG_SG_EEES6_PlJNSB_9not_fun_tINSB_10functional5actorINSM_9compositeIJNSM_27transparent_binary_operatorINSA_8equal_toIvEEEENSN_INSM_8argumentILj0EEEEENSM_5valueIyEEEEEEEEEEEE10hipError_tPvRmT3_T4_T5_T6_T7_T9_mT8_P12ihipStream_tbDpT10_ENKUlT_T0_E_clISt17integral_constantIbLb1EES1J_IbLb0EEEEDaS1F_S1G_EUlS1F_E_NS1_11comp_targetILNS1_3genE5ELNS1_11target_archE942ELNS1_3gpuE9ELNS1_3repE0EEENS1_30default_config_static_selectorELNS0_4arch9wavefront6targetE0EEEvT1_,comdat
.Lfunc_end97:
	.size	_ZN7rocprim17ROCPRIM_400000_NS6detail17trampoline_kernelINS0_14default_configENS1_25partition_config_selectorILNS1_17partition_subalgoE6EyNS0_10empty_typeEbEEZZNS1_14partition_implILS5_6ELb0ES3_mN6thrust23THRUST_200600_302600_NS6detail15normal_iteratorINSA_10device_ptrIyEEEEPS6_SG_NS0_5tupleIJSF_S6_EEENSH_IJSG_SG_EEES6_PlJNSB_9not_fun_tINSB_10functional5actorINSM_9compositeIJNSM_27transparent_binary_operatorINSA_8equal_toIvEEEENSN_INSM_8argumentILj0EEEEENSM_5valueIyEEEEEEEEEEEE10hipError_tPvRmT3_T4_T5_T6_T7_T9_mT8_P12ihipStream_tbDpT10_ENKUlT_T0_E_clISt17integral_constantIbLb1EES1J_IbLb0EEEEDaS1F_S1G_EUlS1F_E_NS1_11comp_targetILNS1_3genE5ELNS1_11target_archE942ELNS1_3gpuE9ELNS1_3repE0EEENS1_30default_config_static_selectorELNS0_4arch9wavefront6targetE0EEEvT1_, .Lfunc_end97-_ZN7rocprim17ROCPRIM_400000_NS6detail17trampoline_kernelINS0_14default_configENS1_25partition_config_selectorILNS1_17partition_subalgoE6EyNS0_10empty_typeEbEEZZNS1_14partition_implILS5_6ELb0ES3_mN6thrust23THRUST_200600_302600_NS6detail15normal_iteratorINSA_10device_ptrIyEEEEPS6_SG_NS0_5tupleIJSF_S6_EEENSH_IJSG_SG_EEES6_PlJNSB_9not_fun_tINSB_10functional5actorINSM_9compositeIJNSM_27transparent_binary_operatorINSA_8equal_toIvEEEENSN_INSM_8argumentILj0EEEEENSM_5valueIyEEEEEEEEEEEE10hipError_tPvRmT3_T4_T5_T6_T7_T9_mT8_P12ihipStream_tbDpT10_ENKUlT_T0_E_clISt17integral_constantIbLb1EES1J_IbLb0EEEEDaS1F_S1G_EUlS1F_E_NS1_11comp_targetILNS1_3genE5ELNS1_11target_archE942ELNS1_3gpuE9ELNS1_3repE0EEENS1_30default_config_static_selectorELNS0_4arch9wavefront6targetE0EEEvT1_
                                        ; -- End function
	.set _ZN7rocprim17ROCPRIM_400000_NS6detail17trampoline_kernelINS0_14default_configENS1_25partition_config_selectorILNS1_17partition_subalgoE6EyNS0_10empty_typeEbEEZZNS1_14partition_implILS5_6ELb0ES3_mN6thrust23THRUST_200600_302600_NS6detail15normal_iteratorINSA_10device_ptrIyEEEEPS6_SG_NS0_5tupleIJSF_S6_EEENSH_IJSG_SG_EEES6_PlJNSB_9not_fun_tINSB_10functional5actorINSM_9compositeIJNSM_27transparent_binary_operatorINSA_8equal_toIvEEEENSN_INSM_8argumentILj0EEEEENSM_5valueIyEEEEEEEEEEEE10hipError_tPvRmT3_T4_T5_T6_T7_T9_mT8_P12ihipStream_tbDpT10_ENKUlT_T0_E_clISt17integral_constantIbLb1EES1J_IbLb0EEEEDaS1F_S1G_EUlS1F_E_NS1_11comp_targetILNS1_3genE5ELNS1_11target_archE942ELNS1_3gpuE9ELNS1_3repE0EEENS1_30default_config_static_selectorELNS0_4arch9wavefront6targetE0EEEvT1_.num_vgpr, 0
	.set _ZN7rocprim17ROCPRIM_400000_NS6detail17trampoline_kernelINS0_14default_configENS1_25partition_config_selectorILNS1_17partition_subalgoE6EyNS0_10empty_typeEbEEZZNS1_14partition_implILS5_6ELb0ES3_mN6thrust23THRUST_200600_302600_NS6detail15normal_iteratorINSA_10device_ptrIyEEEEPS6_SG_NS0_5tupleIJSF_S6_EEENSH_IJSG_SG_EEES6_PlJNSB_9not_fun_tINSB_10functional5actorINSM_9compositeIJNSM_27transparent_binary_operatorINSA_8equal_toIvEEEENSN_INSM_8argumentILj0EEEEENSM_5valueIyEEEEEEEEEEEE10hipError_tPvRmT3_T4_T5_T6_T7_T9_mT8_P12ihipStream_tbDpT10_ENKUlT_T0_E_clISt17integral_constantIbLb1EES1J_IbLb0EEEEDaS1F_S1G_EUlS1F_E_NS1_11comp_targetILNS1_3genE5ELNS1_11target_archE942ELNS1_3gpuE9ELNS1_3repE0EEENS1_30default_config_static_selectorELNS0_4arch9wavefront6targetE0EEEvT1_.num_agpr, 0
	.set _ZN7rocprim17ROCPRIM_400000_NS6detail17trampoline_kernelINS0_14default_configENS1_25partition_config_selectorILNS1_17partition_subalgoE6EyNS0_10empty_typeEbEEZZNS1_14partition_implILS5_6ELb0ES3_mN6thrust23THRUST_200600_302600_NS6detail15normal_iteratorINSA_10device_ptrIyEEEEPS6_SG_NS0_5tupleIJSF_S6_EEENSH_IJSG_SG_EEES6_PlJNSB_9not_fun_tINSB_10functional5actorINSM_9compositeIJNSM_27transparent_binary_operatorINSA_8equal_toIvEEEENSN_INSM_8argumentILj0EEEEENSM_5valueIyEEEEEEEEEEEE10hipError_tPvRmT3_T4_T5_T6_T7_T9_mT8_P12ihipStream_tbDpT10_ENKUlT_T0_E_clISt17integral_constantIbLb1EES1J_IbLb0EEEEDaS1F_S1G_EUlS1F_E_NS1_11comp_targetILNS1_3genE5ELNS1_11target_archE942ELNS1_3gpuE9ELNS1_3repE0EEENS1_30default_config_static_selectorELNS0_4arch9wavefront6targetE0EEEvT1_.numbered_sgpr, 0
	.set _ZN7rocprim17ROCPRIM_400000_NS6detail17trampoline_kernelINS0_14default_configENS1_25partition_config_selectorILNS1_17partition_subalgoE6EyNS0_10empty_typeEbEEZZNS1_14partition_implILS5_6ELb0ES3_mN6thrust23THRUST_200600_302600_NS6detail15normal_iteratorINSA_10device_ptrIyEEEEPS6_SG_NS0_5tupleIJSF_S6_EEENSH_IJSG_SG_EEES6_PlJNSB_9not_fun_tINSB_10functional5actorINSM_9compositeIJNSM_27transparent_binary_operatorINSA_8equal_toIvEEEENSN_INSM_8argumentILj0EEEEENSM_5valueIyEEEEEEEEEEEE10hipError_tPvRmT3_T4_T5_T6_T7_T9_mT8_P12ihipStream_tbDpT10_ENKUlT_T0_E_clISt17integral_constantIbLb1EES1J_IbLb0EEEEDaS1F_S1G_EUlS1F_E_NS1_11comp_targetILNS1_3genE5ELNS1_11target_archE942ELNS1_3gpuE9ELNS1_3repE0EEENS1_30default_config_static_selectorELNS0_4arch9wavefront6targetE0EEEvT1_.num_named_barrier, 0
	.set _ZN7rocprim17ROCPRIM_400000_NS6detail17trampoline_kernelINS0_14default_configENS1_25partition_config_selectorILNS1_17partition_subalgoE6EyNS0_10empty_typeEbEEZZNS1_14partition_implILS5_6ELb0ES3_mN6thrust23THRUST_200600_302600_NS6detail15normal_iteratorINSA_10device_ptrIyEEEEPS6_SG_NS0_5tupleIJSF_S6_EEENSH_IJSG_SG_EEES6_PlJNSB_9not_fun_tINSB_10functional5actorINSM_9compositeIJNSM_27transparent_binary_operatorINSA_8equal_toIvEEEENSN_INSM_8argumentILj0EEEEENSM_5valueIyEEEEEEEEEEEE10hipError_tPvRmT3_T4_T5_T6_T7_T9_mT8_P12ihipStream_tbDpT10_ENKUlT_T0_E_clISt17integral_constantIbLb1EES1J_IbLb0EEEEDaS1F_S1G_EUlS1F_E_NS1_11comp_targetILNS1_3genE5ELNS1_11target_archE942ELNS1_3gpuE9ELNS1_3repE0EEENS1_30default_config_static_selectorELNS0_4arch9wavefront6targetE0EEEvT1_.private_seg_size, 0
	.set _ZN7rocprim17ROCPRIM_400000_NS6detail17trampoline_kernelINS0_14default_configENS1_25partition_config_selectorILNS1_17partition_subalgoE6EyNS0_10empty_typeEbEEZZNS1_14partition_implILS5_6ELb0ES3_mN6thrust23THRUST_200600_302600_NS6detail15normal_iteratorINSA_10device_ptrIyEEEEPS6_SG_NS0_5tupleIJSF_S6_EEENSH_IJSG_SG_EEES6_PlJNSB_9not_fun_tINSB_10functional5actorINSM_9compositeIJNSM_27transparent_binary_operatorINSA_8equal_toIvEEEENSN_INSM_8argumentILj0EEEEENSM_5valueIyEEEEEEEEEEEE10hipError_tPvRmT3_T4_T5_T6_T7_T9_mT8_P12ihipStream_tbDpT10_ENKUlT_T0_E_clISt17integral_constantIbLb1EES1J_IbLb0EEEEDaS1F_S1G_EUlS1F_E_NS1_11comp_targetILNS1_3genE5ELNS1_11target_archE942ELNS1_3gpuE9ELNS1_3repE0EEENS1_30default_config_static_selectorELNS0_4arch9wavefront6targetE0EEEvT1_.uses_vcc, 0
	.set _ZN7rocprim17ROCPRIM_400000_NS6detail17trampoline_kernelINS0_14default_configENS1_25partition_config_selectorILNS1_17partition_subalgoE6EyNS0_10empty_typeEbEEZZNS1_14partition_implILS5_6ELb0ES3_mN6thrust23THRUST_200600_302600_NS6detail15normal_iteratorINSA_10device_ptrIyEEEEPS6_SG_NS0_5tupleIJSF_S6_EEENSH_IJSG_SG_EEES6_PlJNSB_9not_fun_tINSB_10functional5actorINSM_9compositeIJNSM_27transparent_binary_operatorINSA_8equal_toIvEEEENSN_INSM_8argumentILj0EEEEENSM_5valueIyEEEEEEEEEEEE10hipError_tPvRmT3_T4_T5_T6_T7_T9_mT8_P12ihipStream_tbDpT10_ENKUlT_T0_E_clISt17integral_constantIbLb1EES1J_IbLb0EEEEDaS1F_S1G_EUlS1F_E_NS1_11comp_targetILNS1_3genE5ELNS1_11target_archE942ELNS1_3gpuE9ELNS1_3repE0EEENS1_30default_config_static_selectorELNS0_4arch9wavefront6targetE0EEEvT1_.uses_flat_scratch, 0
	.set _ZN7rocprim17ROCPRIM_400000_NS6detail17trampoline_kernelINS0_14default_configENS1_25partition_config_selectorILNS1_17partition_subalgoE6EyNS0_10empty_typeEbEEZZNS1_14partition_implILS5_6ELb0ES3_mN6thrust23THRUST_200600_302600_NS6detail15normal_iteratorINSA_10device_ptrIyEEEEPS6_SG_NS0_5tupleIJSF_S6_EEENSH_IJSG_SG_EEES6_PlJNSB_9not_fun_tINSB_10functional5actorINSM_9compositeIJNSM_27transparent_binary_operatorINSA_8equal_toIvEEEENSN_INSM_8argumentILj0EEEEENSM_5valueIyEEEEEEEEEEEE10hipError_tPvRmT3_T4_T5_T6_T7_T9_mT8_P12ihipStream_tbDpT10_ENKUlT_T0_E_clISt17integral_constantIbLb1EES1J_IbLb0EEEEDaS1F_S1G_EUlS1F_E_NS1_11comp_targetILNS1_3genE5ELNS1_11target_archE942ELNS1_3gpuE9ELNS1_3repE0EEENS1_30default_config_static_selectorELNS0_4arch9wavefront6targetE0EEEvT1_.has_dyn_sized_stack, 0
	.set _ZN7rocprim17ROCPRIM_400000_NS6detail17trampoline_kernelINS0_14default_configENS1_25partition_config_selectorILNS1_17partition_subalgoE6EyNS0_10empty_typeEbEEZZNS1_14partition_implILS5_6ELb0ES3_mN6thrust23THRUST_200600_302600_NS6detail15normal_iteratorINSA_10device_ptrIyEEEEPS6_SG_NS0_5tupleIJSF_S6_EEENSH_IJSG_SG_EEES6_PlJNSB_9not_fun_tINSB_10functional5actorINSM_9compositeIJNSM_27transparent_binary_operatorINSA_8equal_toIvEEEENSN_INSM_8argumentILj0EEEEENSM_5valueIyEEEEEEEEEEEE10hipError_tPvRmT3_T4_T5_T6_T7_T9_mT8_P12ihipStream_tbDpT10_ENKUlT_T0_E_clISt17integral_constantIbLb1EES1J_IbLb0EEEEDaS1F_S1G_EUlS1F_E_NS1_11comp_targetILNS1_3genE5ELNS1_11target_archE942ELNS1_3gpuE9ELNS1_3repE0EEENS1_30default_config_static_selectorELNS0_4arch9wavefront6targetE0EEEvT1_.has_recursion, 0
	.set _ZN7rocprim17ROCPRIM_400000_NS6detail17trampoline_kernelINS0_14default_configENS1_25partition_config_selectorILNS1_17partition_subalgoE6EyNS0_10empty_typeEbEEZZNS1_14partition_implILS5_6ELb0ES3_mN6thrust23THRUST_200600_302600_NS6detail15normal_iteratorINSA_10device_ptrIyEEEEPS6_SG_NS0_5tupleIJSF_S6_EEENSH_IJSG_SG_EEES6_PlJNSB_9not_fun_tINSB_10functional5actorINSM_9compositeIJNSM_27transparent_binary_operatorINSA_8equal_toIvEEEENSN_INSM_8argumentILj0EEEEENSM_5valueIyEEEEEEEEEEEE10hipError_tPvRmT3_T4_T5_T6_T7_T9_mT8_P12ihipStream_tbDpT10_ENKUlT_T0_E_clISt17integral_constantIbLb1EES1J_IbLb0EEEEDaS1F_S1G_EUlS1F_E_NS1_11comp_targetILNS1_3genE5ELNS1_11target_archE942ELNS1_3gpuE9ELNS1_3repE0EEENS1_30default_config_static_selectorELNS0_4arch9wavefront6targetE0EEEvT1_.has_indirect_call, 0
	.section	.AMDGPU.csdata,"",@progbits
; Kernel info:
; codeLenInByte = 0
; TotalNumSgprs: 0
; NumVgprs: 0
; ScratchSize: 0
; MemoryBound: 0
; FloatMode: 240
; IeeeMode: 1
; LDSByteSize: 0 bytes/workgroup (compile time only)
; SGPRBlocks: 0
; VGPRBlocks: 0
; NumSGPRsForWavesPerEU: 1
; NumVGPRsForWavesPerEU: 1
; Occupancy: 16
; WaveLimiterHint : 0
; COMPUTE_PGM_RSRC2:SCRATCH_EN: 0
; COMPUTE_PGM_RSRC2:USER_SGPR: 2
; COMPUTE_PGM_RSRC2:TRAP_HANDLER: 0
; COMPUTE_PGM_RSRC2:TGID_X_EN: 1
; COMPUTE_PGM_RSRC2:TGID_Y_EN: 0
; COMPUTE_PGM_RSRC2:TGID_Z_EN: 0
; COMPUTE_PGM_RSRC2:TIDIG_COMP_CNT: 0
	.section	.text._ZN7rocprim17ROCPRIM_400000_NS6detail17trampoline_kernelINS0_14default_configENS1_25partition_config_selectorILNS1_17partition_subalgoE6EyNS0_10empty_typeEbEEZZNS1_14partition_implILS5_6ELb0ES3_mN6thrust23THRUST_200600_302600_NS6detail15normal_iteratorINSA_10device_ptrIyEEEEPS6_SG_NS0_5tupleIJSF_S6_EEENSH_IJSG_SG_EEES6_PlJNSB_9not_fun_tINSB_10functional5actorINSM_9compositeIJNSM_27transparent_binary_operatorINSA_8equal_toIvEEEENSN_INSM_8argumentILj0EEEEENSM_5valueIyEEEEEEEEEEEE10hipError_tPvRmT3_T4_T5_T6_T7_T9_mT8_P12ihipStream_tbDpT10_ENKUlT_T0_E_clISt17integral_constantIbLb1EES1J_IbLb0EEEEDaS1F_S1G_EUlS1F_E_NS1_11comp_targetILNS1_3genE4ELNS1_11target_archE910ELNS1_3gpuE8ELNS1_3repE0EEENS1_30default_config_static_selectorELNS0_4arch9wavefront6targetE0EEEvT1_,"axG",@progbits,_ZN7rocprim17ROCPRIM_400000_NS6detail17trampoline_kernelINS0_14default_configENS1_25partition_config_selectorILNS1_17partition_subalgoE6EyNS0_10empty_typeEbEEZZNS1_14partition_implILS5_6ELb0ES3_mN6thrust23THRUST_200600_302600_NS6detail15normal_iteratorINSA_10device_ptrIyEEEEPS6_SG_NS0_5tupleIJSF_S6_EEENSH_IJSG_SG_EEES6_PlJNSB_9not_fun_tINSB_10functional5actorINSM_9compositeIJNSM_27transparent_binary_operatorINSA_8equal_toIvEEEENSN_INSM_8argumentILj0EEEEENSM_5valueIyEEEEEEEEEEEE10hipError_tPvRmT3_T4_T5_T6_T7_T9_mT8_P12ihipStream_tbDpT10_ENKUlT_T0_E_clISt17integral_constantIbLb1EES1J_IbLb0EEEEDaS1F_S1G_EUlS1F_E_NS1_11comp_targetILNS1_3genE4ELNS1_11target_archE910ELNS1_3gpuE8ELNS1_3repE0EEENS1_30default_config_static_selectorELNS0_4arch9wavefront6targetE0EEEvT1_,comdat
	.protected	_ZN7rocprim17ROCPRIM_400000_NS6detail17trampoline_kernelINS0_14default_configENS1_25partition_config_selectorILNS1_17partition_subalgoE6EyNS0_10empty_typeEbEEZZNS1_14partition_implILS5_6ELb0ES3_mN6thrust23THRUST_200600_302600_NS6detail15normal_iteratorINSA_10device_ptrIyEEEEPS6_SG_NS0_5tupleIJSF_S6_EEENSH_IJSG_SG_EEES6_PlJNSB_9not_fun_tINSB_10functional5actorINSM_9compositeIJNSM_27transparent_binary_operatorINSA_8equal_toIvEEEENSN_INSM_8argumentILj0EEEEENSM_5valueIyEEEEEEEEEEEE10hipError_tPvRmT3_T4_T5_T6_T7_T9_mT8_P12ihipStream_tbDpT10_ENKUlT_T0_E_clISt17integral_constantIbLb1EES1J_IbLb0EEEEDaS1F_S1G_EUlS1F_E_NS1_11comp_targetILNS1_3genE4ELNS1_11target_archE910ELNS1_3gpuE8ELNS1_3repE0EEENS1_30default_config_static_selectorELNS0_4arch9wavefront6targetE0EEEvT1_ ; -- Begin function _ZN7rocprim17ROCPRIM_400000_NS6detail17trampoline_kernelINS0_14default_configENS1_25partition_config_selectorILNS1_17partition_subalgoE6EyNS0_10empty_typeEbEEZZNS1_14partition_implILS5_6ELb0ES3_mN6thrust23THRUST_200600_302600_NS6detail15normal_iteratorINSA_10device_ptrIyEEEEPS6_SG_NS0_5tupleIJSF_S6_EEENSH_IJSG_SG_EEES6_PlJNSB_9not_fun_tINSB_10functional5actorINSM_9compositeIJNSM_27transparent_binary_operatorINSA_8equal_toIvEEEENSN_INSM_8argumentILj0EEEEENSM_5valueIyEEEEEEEEEEEE10hipError_tPvRmT3_T4_T5_T6_T7_T9_mT8_P12ihipStream_tbDpT10_ENKUlT_T0_E_clISt17integral_constantIbLb1EES1J_IbLb0EEEEDaS1F_S1G_EUlS1F_E_NS1_11comp_targetILNS1_3genE4ELNS1_11target_archE910ELNS1_3gpuE8ELNS1_3repE0EEENS1_30default_config_static_selectorELNS0_4arch9wavefront6targetE0EEEvT1_
	.globl	_ZN7rocprim17ROCPRIM_400000_NS6detail17trampoline_kernelINS0_14default_configENS1_25partition_config_selectorILNS1_17partition_subalgoE6EyNS0_10empty_typeEbEEZZNS1_14partition_implILS5_6ELb0ES3_mN6thrust23THRUST_200600_302600_NS6detail15normal_iteratorINSA_10device_ptrIyEEEEPS6_SG_NS0_5tupleIJSF_S6_EEENSH_IJSG_SG_EEES6_PlJNSB_9not_fun_tINSB_10functional5actorINSM_9compositeIJNSM_27transparent_binary_operatorINSA_8equal_toIvEEEENSN_INSM_8argumentILj0EEEEENSM_5valueIyEEEEEEEEEEEE10hipError_tPvRmT3_T4_T5_T6_T7_T9_mT8_P12ihipStream_tbDpT10_ENKUlT_T0_E_clISt17integral_constantIbLb1EES1J_IbLb0EEEEDaS1F_S1G_EUlS1F_E_NS1_11comp_targetILNS1_3genE4ELNS1_11target_archE910ELNS1_3gpuE8ELNS1_3repE0EEENS1_30default_config_static_selectorELNS0_4arch9wavefront6targetE0EEEvT1_
	.p2align	8
	.type	_ZN7rocprim17ROCPRIM_400000_NS6detail17trampoline_kernelINS0_14default_configENS1_25partition_config_selectorILNS1_17partition_subalgoE6EyNS0_10empty_typeEbEEZZNS1_14partition_implILS5_6ELb0ES3_mN6thrust23THRUST_200600_302600_NS6detail15normal_iteratorINSA_10device_ptrIyEEEEPS6_SG_NS0_5tupleIJSF_S6_EEENSH_IJSG_SG_EEES6_PlJNSB_9not_fun_tINSB_10functional5actorINSM_9compositeIJNSM_27transparent_binary_operatorINSA_8equal_toIvEEEENSN_INSM_8argumentILj0EEEEENSM_5valueIyEEEEEEEEEEEE10hipError_tPvRmT3_T4_T5_T6_T7_T9_mT8_P12ihipStream_tbDpT10_ENKUlT_T0_E_clISt17integral_constantIbLb1EES1J_IbLb0EEEEDaS1F_S1G_EUlS1F_E_NS1_11comp_targetILNS1_3genE4ELNS1_11target_archE910ELNS1_3gpuE8ELNS1_3repE0EEENS1_30default_config_static_selectorELNS0_4arch9wavefront6targetE0EEEvT1_,@function
_ZN7rocprim17ROCPRIM_400000_NS6detail17trampoline_kernelINS0_14default_configENS1_25partition_config_selectorILNS1_17partition_subalgoE6EyNS0_10empty_typeEbEEZZNS1_14partition_implILS5_6ELb0ES3_mN6thrust23THRUST_200600_302600_NS6detail15normal_iteratorINSA_10device_ptrIyEEEEPS6_SG_NS0_5tupleIJSF_S6_EEENSH_IJSG_SG_EEES6_PlJNSB_9not_fun_tINSB_10functional5actorINSM_9compositeIJNSM_27transparent_binary_operatorINSA_8equal_toIvEEEENSN_INSM_8argumentILj0EEEEENSM_5valueIyEEEEEEEEEEEE10hipError_tPvRmT3_T4_T5_T6_T7_T9_mT8_P12ihipStream_tbDpT10_ENKUlT_T0_E_clISt17integral_constantIbLb1EES1J_IbLb0EEEEDaS1F_S1G_EUlS1F_E_NS1_11comp_targetILNS1_3genE4ELNS1_11target_archE910ELNS1_3gpuE8ELNS1_3repE0EEENS1_30default_config_static_selectorELNS0_4arch9wavefront6targetE0EEEvT1_: ; @_ZN7rocprim17ROCPRIM_400000_NS6detail17trampoline_kernelINS0_14default_configENS1_25partition_config_selectorILNS1_17partition_subalgoE6EyNS0_10empty_typeEbEEZZNS1_14partition_implILS5_6ELb0ES3_mN6thrust23THRUST_200600_302600_NS6detail15normal_iteratorINSA_10device_ptrIyEEEEPS6_SG_NS0_5tupleIJSF_S6_EEENSH_IJSG_SG_EEES6_PlJNSB_9not_fun_tINSB_10functional5actorINSM_9compositeIJNSM_27transparent_binary_operatorINSA_8equal_toIvEEEENSN_INSM_8argumentILj0EEEEENSM_5valueIyEEEEEEEEEEEE10hipError_tPvRmT3_T4_T5_T6_T7_T9_mT8_P12ihipStream_tbDpT10_ENKUlT_T0_E_clISt17integral_constantIbLb1EES1J_IbLb0EEEEDaS1F_S1G_EUlS1F_E_NS1_11comp_targetILNS1_3genE4ELNS1_11target_archE910ELNS1_3gpuE8ELNS1_3repE0EEENS1_30default_config_static_selectorELNS0_4arch9wavefront6targetE0EEEvT1_
; %bb.0:
	.section	.rodata,"a",@progbits
	.p2align	6, 0x0
	.amdhsa_kernel _ZN7rocprim17ROCPRIM_400000_NS6detail17trampoline_kernelINS0_14default_configENS1_25partition_config_selectorILNS1_17partition_subalgoE6EyNS0_10empty_typeEbEEZZNS1_14partition_implILS5_6ELb0ES3_mN6thrust23THRUST_200600_302600_NS6detail15normal_iteratorINSA_10device_ptrIyEEEEPS6_SG_NS0_5tupleIJSF_S6_EEENSH_IJSG_SG_EEES6_PlJNSB_9not_fun_tINSB_10functional5actorINSM_9compositeIJNSM_27transparent_binary_operatorINSA_8equal_toIvEEEENSN_INSM_8argumentILj0EEEEENSM_5valueIyEEEEEEEEEEEE10hipError_tPvRmT3_T4_T5_T6_T7_T9_mT8_P12ihipStream_tbDpT10_ENKUlT_T0_E_clISt17integral_constantIbLb1EES1J_IbLb0EEEEDaS1F_S1G_EUlS1F_E_NS1_11comp_targetILNS1_3genE4ELNS1_11target_archE910ELNS1_3gpuE8ELNS1_3repE0EEENS1_30default_config_static_selectorELNS0_4arch9wavefront6targetE0EEEvT1_
		.amdhsa_group_segment_fixed_size 0
		.amdhsa_private_segment_fixed_size 0
		.amdhsa_kernarg_size 128
		.amdhsa_user_sgpr_count 2
		.amdhsa_user_sgpr_dispatch_ptr 0
		.amdhsa_user_sgpr_queue_ptr 0
		.amdhsa_user_sgpr_kernarg_segment_ptr 1
		.amdhsa_user_sgpr_dispatch_id 0
		.amdhsa_user_sgpr_private_segment_size 0
		.amdhsa_wavefront_size32 1
		.amdhsa_uses_dynamic_stack 0
		.amdhsa_enable_private_segment 0
		.amdhsa_system_sgpr_workgroup_id_x 1
		.amdhsa_system_sgpr_workgroup_id_y 0
		.amdhsa_system_sgpr_workgroup_id_z 0
		.amdhsa_system_sgpr_workgroup_info 0
		.amdhsa_system_vgpr_workitem_id 0
		.amdhsa_next_free_vgpr 1
		.amdhsa_next_free_sgpr 1
		.amdhsa_reserve_vcc 0
		.amdhsa_float_round_mode_32 0
		.amdhsa_float_round_mode_16_64 0
		.amdhsa_float_denorm_mode_32 3
		.amdhsa_float_denorm_mode_16_64 3
		.amdhsa_fp16_overflow 0
		.amdhsa_workgroup_processor_mode 1
		.amdhsa_memory_ordered 1
		.amdhsa_forward_progress 1
		.amdhsa_inst_pref_size 0
		.amdhsa_round_robin_scheduling 0
		.amdhsa_exception_fp_ieee_invalid_op 0
		.amdhsa_exception_fp_denorm_src 0
		.amdhsa_exception_fp_ieee_div_zero 0
		.amdhsa_exception_fp_ieee_overflow 0
		.amdhsa_exception_fp_ieee_underflow 0
		.amdhsa_exception_fp_ieee_inexact 0
		.amdhsa_exception_int_div_zero 0
	.end_amdhsa_kernel
	.section	.text._ZN7rocprim17ROCPRIM_400000_NS6detail17trampoline_kernelINS0_14default_configENS1_25partition_config_selectorILNS1_17partition_subalgoE6EyNS0_10empty_typeEbEEZZNS1_14partition_implILS5_6ELb0ES3_mN6thrust23THRUST_200600_302600_NS6detail15normal_iteratorINSA_10device_ptrIyEEEEPS6_SG_NS0_5tupleIJSF_S6_EEENSH_IJSG_SG_EEES6_PlJNSB_9not_fun_tINSB_10functional5actorINSM_9compositeIJNSM_27transparent_binary_operatorINSA_8equal_toIvEEEENSN_INSM_8argumentILj0EEEEENSM_5valueIyEEEEEEEEEEEE10hipError_tPvRmT3_T4_T5_T6_T7_T9_mT8_P12ihipStream_tbDpT10_ENKUlT_T0_E_clISt17integral_constantIbLb1EES1J_IbLb0EEEEDaS1F_S1G_EUlS1F_E_NS1_11comp_targetILNS1_3genE4ELNS1_11target_archE910ELNS1_3gpuE8ELNS1_3repE0EEENS1_30default_config_static_selectorELNS0_4arch9wavefront6targetE0EEEvT1_,"axG",@progbits,_ZN7rocprim17ROCPRIM_400000_NS6detail17trampoline_kernelINS0_14default_configENS1_25partition_config_selectorILNS1_17partition_subalgoE6EyNS0_10empty_typeEbEEZZNS1_14partition_implILS5_6ELb0ES3_mN6thrust23THRUST_200600_302600_NS6detail15normal_iteratorINSA_10device_ptrIyEEEEPS6_SG_NS0_5tupleIJSF_S6_EEENSH_IJSG_SG_EEES6_PlJNSB_9not_fun_tINSB_10functional5actorINSM_9compositeIJNSM_27transparent_binary_operatorINSA_8equal_toIvEEEENSN_INSM_8argumentILj0EEEEENSM_5valueIyEEEEEEEEEEEE10hipError_tPvRmT3_T4_T5_T6_T7_T9_mT8_P12ihipStream_tbDpT10_ENKUlT_T0_E_clISt17integral_constantIbLb1EES1J_IbLb0EEEEDaS1F_S1G_EUlS1F_E_NS1_11comp_targetILNS1_3genE4ELNS1_11target_archE910ELNS1_3gpuE8ELNS1_3repE0EEENS1_30default_config_static_selectorELNS0_4arch9wavefront6targetE0EEEvT1_,comdat
.Lfunc_end98:
	.size	_ZN7rocprim17ROCPRIM_400000_NS6detail17trampoline_kernelINS0_14default_configENS1_25partition_config_selectorILNS1_17partition_subalgoE6EyNS0_10empty_typeEbEEZZNS1_14partition_implILS5_6ELb0ES3_mN6thrust23THRUST_200600_302600_NS6detail15normal_iteratorINSA_10device_ptrIyEEEEPS6_SG_NS0_5tupleIJSF_S6_EEENSH_IJSG_SG_EEES6_PlJNSB_9not_fun_tINSB_10functional5actorINSM_9compositeIJNSM_27transparent_binary_operatorINSA_8equal_toIvEEEENSN_INSM_8argumentILj0EEEEENSM_5valueIyEEEEEEEEEEEE10hipError_tPvRmT3_T4_T5_T6_T7_T9_mT8_P12ihipStream_tbDpT10_ENKUlT_T0_E_clISt17integral_constantIbLb1EES1J_IbLb0EEEEDaS1F_S1G_EUlS1F_E_NS1_11comp_targetILNS1_3genE4ELNS1_11target_archE910ELNS1_3gpuE8ELNS1_3repE0EEENS1_30default_config_static_selectorELNS0_4arch9wavefront6targetE0EEEvT1_, .Lfunc_end98-_ZN7rocprim17ROCPRIM_400000_NS6detail17trampoline_kernelINS0_14default_configENS1_25partition_config_selectorILNS1_17partition_subalgoE6EyNS0_10empty_typeEbEEZZNS1_14partition_implILS5_6ELb0ES3_mN6thrust23THRUST_200600_302600_NS6detail15normal_iteratorINSA_10device_ptrIyEEEEPS6_SG_NS0_5tupleIJSF_S6_EEENSH_IJSG_SG_EEES6_PlJNSB_9not_fun_tINSB_10functional5actorINSM_9compositeIJNSM_27transparent_binary_operatorINSA_8equal_toIvEEEENSN_INSM_8argumentILj0EEEEENSM_5valueIyEEEEEEEEEEEE10hipError_tPvRmT3_T4_T5_T6_T7_T9_mT8_P12ihipStream_tbDpT10_ENKUlT_T0_E_clISt17integral_constantIbLb1EES1J_IbLb0EEEEDaS1F_S1G_EUlS1F_E_NS1_11comp_targetILNS1_3genE4ELNS1_11target_archE910ELNS1_3gpuE8ELNS1_3repE0EEENS1_30default_config_static_selectorELNS0_4arch9wavefront6targetE0EEEvT1_
                                        ; -- End function
	.set _ZN7rocprim17ROCPRIM_400000_NS6detail17trampoline_kernelINS0_14default_configENS1_25partition_config_selectorILNS1_17partition_subalgoE6EyNS0_10empty_typeEbEEZZNS1_14partition_implILS5_6ELb0ES3_mN6thrust23THRUST_200600_302600_NS6detail15normal_iteratorINSA_10device_ptrIyEEEEPS6_SG_NS0_5tupleIJSF_S6_EEENSH_IJSG_SG_EEES6_PlJNSB_9not_fun_tINSB_10functional5actorINSM_9compositeIJNSM_27transparent_binary_operatorINSA_8equal_toIvEEEENSN_INSM_8argumentILj0EEEEENSM_5valueIyEEEEEEEEEEEE10hipError_tPvRmT3_T4_T5_T6_T7_T9_mT8_P12ihipStream_tbDpT10_ENKUlT_T0_E_clISt17integral_constantIbLb1EES1J_IbLb0EEEEDaS1F_S1G_EUlS1F_E_NS1_11comp_targetILNS1_3genE4ELNS1_11target_archE910ELNS1_3gpuE8ELNS1_3repE0EEENS1_30default_config_static_selectorELNS0_4arch9wavefront6targetE0EEEvT1_.num_vgpr, 0
	.set _ZN7rocprim17ROCPRIM_400000_NS6detail17trampoline_kernelINS0_14default_configENS1_25partition_config_selectorILNS1_17partition_subalgoE6EyNS0_10empty_typeEbEEZZNS1_14partition_implILS5_6ELb0ES3_mN6thrust23THRUST_200600_302600_NS6detail15normal_iteratorINSA_10device_ptrIyEEEEPS6_SG_NS0_5tupleIJSF_S6_EEENSH_IJSG_SG_EEES6_PlJNSB_9not_fun_tINSB_10functional5actorINSM_9compositeIJNSM_27transparent_binary_operatorINSA_8equal_toIvEEEENSN_INSM_8argumentILj0EEEEENSM_5valueIyEEEEEEEEEEEE10hipError_tPvRmT3_T4_T5_T6_T7_T9_mT8_P12ihipStream_tbDpT10_ENKUlT_T0_E_clISt17integral_constantIbLb1EES1J_IbLb0EEEEDaS1F_S1G_EUlS1F_E_NS1_11comp_targetILNS1_3genE4ELNS1_11target_archE910ELNS1_3gpuE8ELNS1_3repE0EEENS1_30default_config_static_selectorELNS0_4arch9wavefront6targetE0EEEvT1_.num_agpr, 0
	.set _ZN7rocprim17ROCPRIM_400000_NS6detail17trampoline_kernelINS0_14default_configENS1_25partition_config_selectorILNS1_17partition_subalgoE6EyNS0_10empty_typeEbEEZZNS1_14partition_implILS5_6ELb0ES3_mN6thrust23THRUST_200600_302600_NS6detail15normal_iteratorINSA_10device_ptrIyEEEEPS6_SG_NS0_5tupleIJSF_S6_EEENSH_IJSG_SG_EEES6_PlJNSB_9not_fun_tINSB_10functional5actorINSM_9compositeIJNSM_27transparent_binary_operatorINSA_8equal_toIvEEEENSN_INSM_8argumentILj0EEEEENSM_5valueIyEEEEEEEEEEEE10hipError_tPvRmT3_T4_T5_T6_T7_T9_mT8_P12ihipStream_tbDpT10_ENKUlT_T0_E_clISt17integral_constantIbLb1EES1J_IbLb0EEEEDaS1F_S1G_EUlS1F_E_NS1_11comp_targetILNS1_3genE4ELNS1_11target_archE910ELNS1_3gpuE8ELNS1_3repE0EEENS1_30default_config_static_selectorELNS0_4arch9wavefront6targetE0EEEvT1_.numbered_sgpr, 0
	.set _ZN7rocprim17ROCPRIM_400000_NS6detail17trampoline_kernelINS0_14default_configENS1_25partition_config_selectorILNS1_17partition_subalgoE6EyNS0_10empty_typeEbEEZZNS1_14partition_implILS5_6ELb0ES3_mN6thrust23THRUST_200600_302600_NS6detail15normal_iteratorINSA_10device_ptrIyEEEEPS6_SG_NS0_5tupleIJSF_S6_EEENSH_IJSG_SG_EEES6_PlJNSB_9not_fun_tINSB_10functional5actorINSM_9compositeIJNSM_27transparent_binary_operatorINSA_8equal_toIvEEEENSN_INSM_8argumentILj0EEEEENSM_5valueIyEEEEEEEEEEEE10hipError_tPvRmT3_T4_T5_T6_T7_T9_mT8_P12ihipStream_tbDpT10_ENKUlT_T0_E_clISt17integral_constantIbLb1EES1J_IbLb0EEEEDaS1F_S1G_EUlS1F_E_NS1_11comp_targetILNS1_3genE4ELNS1_11target_archE910ELNS1_3gpuE8ELNS1_3repE0EEENS1_30default_config_static_selectorELNS0_4arch9wavefront6targetE0EEEvT1_.num_named_barrier, 0
	.set _ZN7rocprim17ROCPRIM_400000_NS6detail17trampoline_kernelINS0_14default_configENS1_25partition_config_selectorILNS1_17partition_subalgoE6EyNS0_10empty_typeEbEEZZNS1_14partition_implILS5_6ELb0ES3_mN6thrust23THRUST_200600_302600_NS6detail15normal_iteratorINSA_10device_ptrIyEEEEPS6_SG_NS0_5tupleIJSF_S6_EEENSH_IJSG_SG_EEES6_PlJNSB_9not_fun_tINSB_10functional5actorINSM_9compositeIJNSM_27transparent_binary_operatorINSA_8equal_toIvEEEENSN_INSM_8argumentILj0EEEEENSM_5valueIyEEEEEEEEEEEE10hipError_tPvRmT3_T4_T5_T6_T7_T9_mT8_P12ihipStream_tbDpT10_ENKUlT_T0_E_clISt17integral_constantIbLb1EES1J_IbLb0EEEEDaS1F_S1G_EUlS1F_E_NS1_11comp_targetILNS1_3genE4ELNS1_11target_archE910ELNS1_3gpuE8ELNS1_3repE0EEENS1_30default_config_static_selectorELNS0_4arch9wavefront6targetE0EEEvT1_.private_seg_size, 0
	.set _ZN7rocprim17ROCPRIM_400000_NS6detail17trampoline_kernelINS0_14default_configENS1_25partition_config_selectorILNS1_17partition_subalgoE6EyNS0_10empty_typeEbEEZZNS1_14partition_implILS5_6ELb0ES3_mN6thrust23THRUST_200600_302600_NS6detail15normal_iteratorINSA_10device_ptrIyEEEEPS6_SG_NS0_5tupleIJSF_S6_EEENSH_IJSG_SG_EEES6_PlJNSB_9not_fun_tINSB_10functional5actorINSM_9compositeIJNSM_27transparent_binary_operatorINSA_8equal_toIvEEEENSN_INSM_8argumentILj0EEEEENSM_5valueIyEEEEEEEEEEEE10hipError_tPvRmT3_T4_T5_T6_T7_T9_mT8_P12ihipStream_tbDpT10_ENKUlT_T0_E_clISt17integral_constantIbLb1EES1J_IbLb0EEEEDaS1F_S1G_EUlS1F_E_NS1_11comp_targetILNS1_3genE4ELNS1_11target_archE910ELNS1_3gpuE8ELNS1_3repE0EEENS1_30default_config_static_selectorELNS0_4arch9wavefront6targetE0EEEvT1_.uses_vcc, 0
	.set _ZN7rocprim17ROCPRIM_400000_NS6detail17trampoline_kernelINS0_14default_configENS1_25partition_config_selectorILNS1_17partition_subalgoE6EyNS0_10empty_typeEbEEZZNS1_14partition_implILS5_6ELb0ES3_mN6thrust23THRUST_200600_302600_NS6detail15normal_iteratorINSA_10device_ptrIyEEEEPS6_SG_NS0_5tupleIJSF_S6_EEENSH_IJSG_SG_EEES6_PlJNSB_9not_fun_tINSB_10functional5actorINSM_9compositeIJNSM_27transparent_binary_operatorINSA_8equal_toIvEEEENSN_INSM_8argumentILj0EEEEENSM_5valueIyEEEEEEEEEEEE10hipError_tPvRmT3_T4_T5_T6_T7_T9_mT8_P12ihipStream_tbDpT10_ENKUlT_T0_E_clISt17integral_constantIbLb1EES1J_IbLb0EEEEDaS1F_S1G_EUlS1F_E_NS1_11comp_targetILNS1_3genE4ELNS1_11target_archE910ELNS1_3gpuE8ELNS1_3repE0EEENS1_30default_config_static_selectorELNS0_4arch9wavefront6targetE0EEEvT1_.uses_flat_scratch, 0
	.set _ZN7rocprim17ROCPRIM_400000_NS6detail17trampoline_kernelINS0_14default_configENS1_25partition_config_selectorILNS1_17partition_subalgoE6EyNS0_10empty_typeEbEEZZNS1_14partition_implILS5_6ELb0ES3_mN6thrust23THRUST_200600_302600_NS6detail15normal_iteratorINSA_10device_ptrIyEEEEPS6_SG_NS0_5tupleIJSF_S6_EEENSH_IJSG_SG_EEES6_PlJNSB_9not_fun_tINSB_10functional5actorINSM_9compositeIJNSM_27transparent_binary_operatorINSA_8equal_toIvEEEENSN_INSM_8argumentILj0EEEEENSM_5valueIyEEEEEEEEEEEE10hipError_tPvRmT3_T4_T5_T6_T7_T9_mT8_P12ihipStream_tbDpT10_ENKUlT_T0_E_clISt17integral_constantIbLb1EES1J_IbLb0EEEEDaS1F_S1G_EUlS1F_E_NS1_11comp_targetILNS1_3genE4ELNS1_11target_archE910ELNS1_3gpuE8ELNS1_3repE0EEENS1_30default_config_static_selectorELNS0_4arch9wavefront6targetE0EEEvT1_.has_dyn_sized_stack, 0
	.set _ZN7rocprim17ROCPRIM_400000_NS6detail17trampoline_kernelINS0_14default_configENS1_25partition_config_selectorILNS1_17partition_subalgoE6EyNS0_10empty_typeEbEEZZNS1_14partition_implILS5_6ELb0ES3_mN6thrust23THRUST_200600_302600_NS6detail15normal_iteratorINSA_10device_ptrIyEEEEPS6_SG_NS0_5tupleIJSF_S6_EEENSH_IJSG_SG_EEES6_PlJNSB_9not_fun_tINSB_10functional5actorINSM_9compositeIJNSM_27transparent_binary_operatorINSA_8equal_toIvEEEENSN_INSM_8argumentILj0EEEEENSM_5valueIyEEEEEEEEEEEE10hipError_tPvRmT3_T4_T5_T6_T7_T9_mT8_P12ihipStream_tbDpT10_ENKUlT_T0_E_clISt17integral_constantIbLb1EES1J_IbLb0EEEEDaS1F_S1G_EUlS1F_E_NS1_11comp_targetILNS1_3genE4ELNS1_11target_archE910ELNS1_3gpuE8ELNS1_3repE0EEENS1_30default_config_static_selectorELNS0_4arch9wavefront6targetE0EEEvT1_.has_recursion, 0
	.set _ZN7rocprim17ROCPRIM_400000_NS6detail17trampoline_kernelINS0_14default_configENS1_25partition_config_selectorILNS1_17partition_subalgoE6EyNS0_10empty_typeEbEEZZNS1_14partition_implILS5_6ELb0ES3_mN6thrust23THRUST_200600_302600_NS6detail15normal_iteratorINSA_10device_ptrIyEEEEPS6_SG_NS0_5tupleIJSF_S6_EEENSH_IJSG_SG_EEES6_PlJNSB_9not_fun_tINSB_10functional5actorINSM_9compositeIJNSM_27transparent_binary_operatorINSA_8equal_toIvEEEENSN_INSM_8argumentILj0EEEEENSM_5valueIyEEEEEEEEEEEE10hipError_tPvRmT3_T4_T5_T6_T7_T9_mT8_P12ihipStream_tbDpT10_ENKUlT_T0_E_clISt17integral_constantIbLb1EES1J_IbLb0EEEEDaS1F_S1G_EUlS1F_E_NS1_11comp_targetILNS1_3genE4ELNS1_11target_archE910ELNS1_3gpuE8ELNS1_3repE0EEENS1_30default_config_static_selectorELNS0_4arch9wavefront6targetE0EEEvT1_.has_indirect_call, 0
	.section	.AMDGPU.csdata,"",@progbits
; Kernel info:
; codeLenInByte = 0
; TotalNumSgprs: 0
; NumVgprs: 0
; ScratchSize: 0
; MemoryBound: 0
; FloatMode: 240
; IeeeMode: 1
; LDSByteSize: 0 bytes/workgroup (compile time only)
; SGPRBlocks: 0
; VGPRBlocks: 0
; NumSGPRsForWavesPerEU: 1
; NumVGPRsForWavesPerEU: 1
; Occupancy: 16
; WaveLimiterHint : 0
; COMPUTE_PGM_RSRC2:SCRATCH_EN: 0
; COMPUTE_PGM_RSRC2:USER_SGPR: 2
; COMPUTE_PGM_RSRC2:TRAP_HANDLER: 0
; COMPUTE_PGM_RSRC2:TGID_X_EN: 1
; COMPUTE_PGM_RSRC2:TGID_Y_EN: 0
; COMPUTE_PGM_RSRC2:TGID_Z_EN: 0
; COMPUTE_PGM_RSRC2:TIDIG_COMP_CNT: 0
	.section	.text._ZN7rocprim17ROCPRIM_400000_NS6detail17trampoline_kernelINS0_14default_configENS1_25partition_config_selectorILNS1_17partition_subalgoE6EyNS0_10empty_typeEbEEZZNS1_14partition_implILS5_6ELb0ES3_mN6thrust23THRUST_200600_302600_NS6detail15normal_iteratorINSA_10device_ptrIyEEEEPS6_SG_NS0_5tupleIJSF_S6_EEENSH_IJSG_SG_EEES6_PlJNSB_9not_fun_tINSB_10functional5actorINSM_9compositeIJNSM_27transparent_binary_operatorINSA_8equal_toIvEEEENSN_INSM_8argumentILj0EEEEENSM_5valueIyEEEEEEEEEEEE10hipError_tPvRmT3_T4_T5_T6_T7_T9_mT8_P12ihipStream_tbDpT10_ENKUlT_T0_E_clISt17integral_constantIbLb1EES1J_IbLb0EEEEDaS1F_S1G_EUlS1F_E_NS1_11comp_targetILNS1_3genE3ELNS1_11target_archE908ELNS1_3gpuE7ELNS1_3repE0EEENS1_30default_config_static_selectorELNS0_4arch9wavefront6targetE0EEEvT1_,"axG",@progbits,_ZN7rocprim17ROCPRIM_400000_NS6detail17trampoline_kernelINS0_14default_configENS1_25partition_config_selectorILNS1_17partition_subalgoE6EyNS0_10empty_typeEbEEZZNS1_14partition_implILS5_6ELb0ES3_mN6thrust23THRUST_200600_302600_NS6detail15normal_iteratorINSA_10device_ptrIyEEEEPS6_SG_NS0_5tupleIJSF_S6_EEENSH_IJSG_SG_EEES6_PlJNSB_9not_fun_tINSB_10functional5actorINSM_9compositeIJNSM_27transparent_binary_operatorINSA_8equal_toIvEEEENSN_INSM_8argumentILj0EEEEENSM_5valueIyEEEEEEEEEEEE10hipError_tPvRmT3_T4_T5_T6_T7_T9_mT8_P12ihipStream_tbDpT10_ENKUlT_T0_E_clISt17integral_constantIbLb1EES1J_IbLb0EEEEDaS1F_S1G_EUlS1F_E_NS1_11comp_targetILNS1_3genE3ELNS1_11target_archE908ELNS1_3gpuE7ELNS1_3repE0EEENS1_30default_config_static_selectorELNS0_4arch9wavefront6targetE0EEEvT1_,comdat
	.protected	_ZN7rocprim17ROCPRIM_400000_NS6detail17trampoline_kernelINS0_14default_configENS1_25partition_config_selectorILNS1_17partition_subalgoE6EyNS0_10empty_typeEbEEZZNS1_14partition_implILS5_6ELb0ES3_mN6thrust23THRUST_200600_302600_NS6detail15normal_iteratorINSA_10device_ptrIyEEEEPS6_SG_NS0_5tupleIJSF_S6_EEENSH_IJSG_SG_EEES6_PlJNSB_9not_fun_tINSB_10functional5actorINSM_9compositeIJNSM_27transparent_binary_operatorINSA_8equal_toIvEEEENSN_INSM_8argumentILj0EEEEENSM_5valueIyEEEEEEEEEEEE10hipError_tPvRmT3_T4_T5_T6_T7_T9_mT8_P12ihipStream_tbDpT10_ENKUlT_T0_E_clISt17integral_constantIbLb1EES1J_IbLb0EEEEDaS1F_S1G_EUlS1F_E_NS1_11comp_targetILNS1_3genE3ELNS1_11target_archE908ELNS1_3gpuE7ELNS1_3repE0EEENS1_30default_config_static_selectorELNS0_4arch9wavefront6targetE0EEEvT1_ ; -- Begin function _ZN7rocprim17ROCPRIM_400000_NS6detail17trampoline_kernelINS0_14default_configENS1_25partition_config_selectorILNS1_17partition_subalgoE6EyNS0_10empty_typeEbEEZZNS1_14partition_implILS5_6ELb0ES3_mN6thrust23THRUST_200600_302600_NS6detail15normal_iteratorINSA_10device_ptrIyEEEEPS6_SG_NS0_5tupleIJSF_S6_EEENSH_IJSG_SG_EEES6_PlJNSB_9not_fun_tINSB_10functional5actorINSM_9compositeIJNSM_27transparent_binary_operatorINSA_8equal_toIvEEEENSN_INSM_8argumentILj0EEEEENSM_5valueIyEEEEEEEEEEEE10hipError_tPvRmT3_T4_T5_T6_T7_T9_mT8_P12ihipStream_tbDpT10_ENKUlT_T0_E_clISt17integral_constantIbLb1EES1J_IbLb0EEEEDaS1F_S1G_EUlS1F_E_NS1_11comp_targetILNS1_3genE3ELNS1_11target_archE908ELNS1_3gpuE7ELNS1_3repE0EEENS1_30default_config_static_selectorELNS0_4arch9wavefront6targetE0EEEvT1_
	.globl	_ZN7rocprim17ROCPRIM_400000_NS6detail17trampoline_kernelINS0_14default_configENS1_25partition_config_selectorILNS1_17partition_subalgoE6EyNS0_10empty_typeEbEEZZNS1_14partition_implILS5_6ELb0ES3_mN6thrust23THRUST_200600_302600_NS6detail15normal_iteratorINSA_10device_ptrIyEEEEPS6_SG_NS0_5tupleIJSF_S6_EEENSH_IJSG_SG_EEES6_PlJNSB_9not_fun_tINSB_10functional5actorINSM_9compositeIJNSM_27transparent_binary_operatorINSA_8equal_toIvEEEENSN_INSM_8argumentILj0EEEEENSM_5valueIyEEEEEEEEEEEE10hipError_tPvRmT3_T4_T5_T6_T7_T9_mT8_P12ihipStream_tbDpT10_ENKUlT_T0_E_clISt17integral_constantIbLb1EES1J_IbLb0EEEEDaS1F_S1G_EUlS1F_E_NS1_11comp_targetILNS1_3genE3ELNS1_11target_archE908ELNS1_3gpuE7ELNS1_3repE0EEENS1_30default_config_static_selectorELNS0_4arch9wavefront6targetE0EEEvT1_
	.p2align	8
	.type	_ZN7rocprim17ROCPRIM_400000_NS6detail17trampoline_kernelINS0_14default_configENS1_25partition_config_selectorILNS1_17partition_subalgoE6EyNS0_10empty_typeEbEEZZNS1_14partition_implILS5_6ELb0ES3_mN6thrust23THRUST_200600_302600_NS6detail15normal_iteratorINSA_10device_ptrIyEEEEPS6_SG_NS0_5tupleIJSF_S6_EEENSH_IJSG_SG_EEES6_PlJNSB_9not_fun_tINSB_10functional5actorINSM_9compositeIJNSM_27transparent_binary_operatorINSA_8equal_toIvEEEENSN_INSM_8argumentILj0EEEEENSM_5valueIyEEEEEEEEEEEE10hipError_tPvRmT3_T4_T5_T6_T7_T9_mT8_P12ihipStream_tbDpT10_ENKUlT_T0_E_clISt17integral_constantIbLb1EES1J_IbLb0EEEEDaS1F_S1G_EUlS1F_E_NS1_11comp_targetILNS1_3genE3ELNS1_11target_archE908ELNS1_3gpuE7ELNS1_3repE0EEENS1_30default_config_static_selectorELNS0_4arch9wavefront6targetE0EEEvT1_,@function
_ZN7rocprim17ROCPRIM_400000_NS6detail17trampoline_kernelINS0_14default_configENS1_25partition_config_selectorILNS1_17partition_subalgoE6EyNS0_10empty_typeEbEEZZNS1_14partition_implILS5_6ELb0ES3_mN6thrust23THRUST_200600_302600_NS6detail15normal_iteratorINSA_10device_ptrIyEEEEPS6_SG_NS0_5tupleIJSF_S6_EEENSH_IJSG_SG_EEES6_PlJNSB_9not_fun_tINSB_10functional5actorINSM_9compositeIJNSM_27transparent_binary_operatorINSA_8equal_toIvEEEENSN_INSM_8argumentILj0EEEEENSM_5valueIyEEEEEEEEEEEE10hipError_tPvRmT3_T4_T5_T6_T7_T9_mT8_P12ihipStream_tbDpT10_ENKUlT_T0_E_clISt17integral_constantIbLb1EES1J_IbLb0EEEEDaS1F_S1G_EUlS1F_E_NS1_11comp_targetILNS1_3genE3ELNS1_11target_archE908ELNS1_3gpuE7ELNS1_3repE0EEENS1_30default_config_static_selectorELNS0_4arch9wavefront6targetE0EEEvT1_: ; @_ZN7rocprim17ROCPRIM_400000_NS6detail17trampoline_kernelINS0_14default_configENS1_25partition_config_selectorILNS1_17partition_subalgoE6EyNS0_10empty_typeEbEEZZNS1_14partition_implILS5_6ELb0ES3_mN6thrust23THRUST_200600_302600_NS6detail15normal_iteratorINSA_10device_ptrIyEEEEPS6_SG_NS0_5tupleIJSF_S6_EEENSH_IJSG_SG_EEES6_PlJNSB_9not_fun_tINSB_10functional5actorINSM_9compositeIJNSM_27transparent_binary_operatorINSA_8equal_toIvEEEENSN_INSM_8argumentILj0EEEEENSM_5valueIyEEEEEEEEEEEE10hipError_tPvRmT3_T4_T5_T6_T7_T9_mT8_P12ihipStream_tbDpT10_ENKUlT_T0_E_clISt17integral_constantIbLb1EES1J_IbLb0EEEEDaS1F_S1G_EUlS1F_E_NS1_11comp_targetILNS1_3genE3ELNS1_11target_archE908ELNS1_3gpuE7ELNS1_3repE0EEENS1_30default_config_static_selectorELNS0_4arch9wavefront6targetE0EEEvT1_
; %bb.0:
	.section	.rodata,"a",@progbits
	.p2align	6, 0x0
	.amdhsa_kernel _ZN7rocprim17ROCPRIM_400000_NS6detail17trampoline_kernelINS0_14default_configENS1_25partition_config_selectorILNS1_17partition_subalgoE6EyNS0_10empty_typeEbEEZZNS1_14partition_implILS5_6ELb0ES3_mN6thrust23THRUST_200600_302600_NS6detail15normal_iteratorINSA_10device_ptrIyEEEEPS6_SG_NS0_5tupleIJSF_S6_EEENSH_IJSG_SG_EEES6_PlJNSB_9not_fun_tINSB_10functional5actorINSM_9compositeIJNSM_27transparent_binary_operatorINSA_8equal_toIvEEEENSN_INSM_8argumentILj0EEEEENSM_5valueIyEEEEEEEEEEEE10hipError_tPvRmT3_T4_T5_T6_T7_T9_mT8_P12ihipStream_tbDpT10_ENKUlT_T0_E_clISt17integral_constantIbLb1EES1J_IbLb0EEEEDaS1F_S1G_EUlS1F_E_NS1_11comp_targetILNS1_3genE3ELNS1_11target_archE908ELNS1_3gpuE7ELNS1_3repE0EEENS1_30default_config_static_selectorELNS0_4arch9wavefront6targetE0EEEvT1_
		.amdhsa_group_segment_fixed_size 0
		.amdhsa_private_segment_fixed_size 0
		.amdhsa_kernarg_size 128
		.amdhsa_user_sgpr_count 2
		.amdhsa_user_sgpr_dispatch_ptr 0
		.amdhsa_user_sgpr_queue_ptr 0
		.amdhsa_user_sgpr_kernarg_segment_ptr 1
		.amdhsa_user_sgpr_dispatch_id 0
		.amdhsa_user_sgpr_private_segment_size 0
		.amdhsa_wavefront_size32 1
		.amdhsa_uses_dynamic_stack 0
		.amdhsa_enable_private_segment 0
		.amdhsa_system_sgpr_workgroup_id_x 1
		.amdhsa_system_sgpr_workgroup_id_y 0
		.amdhsa_system_sgpr_workgroup_id_z 0
		.amdhsa_system_sgpr_workgroup_info 0
		.amdhsa_system_vgpr_workitem_id 0
		.amdhsa_next_free_vgpr 1
		.amdhsa_next_free_sgpr 1
		.amdhsa_reserve_vcc 0
		.amdhsa_float_round_mode_32 0
		.amdhsa_float_round_mode_16_64 0
		.amdhsa_float_denorm_mode_32 3
		.amdhsa_float_denorm_mode_16_64 3
		.amdhsa_fp16_overflow 0
		.amdhsa_workgroup_processor_mode 1
		.amdhsa_memory_ordered 1
		.amdhsa_forward_progress 1
		.amdhsa_inst_pref_size 0
		.amdhsa_round_robin_scheduling 0
		.amdhsa_exception_fp_ieee_invalid_op 0
		.amdhsa_exception_fp_denorm_src 0
		.amdhsa_exception_fp_ieee_div_zero 0
		.amdhsa_exception_fp_ieee_overflow 0
		.amdhsa_exception_fp_ieee_underflow 0
		.amdhsa_exception_fp_ieee_inexact 0
		.amdhsa_exception_int_div_zero 0
	.end_amdhsa_kernel
	.section	.text._ZN7rocprim17ROCPRIM_400000_NS6detail17trampoline_kernelINS0_14default_configENS1_25partition_config_selectorILNS1_17partition_subalgoE6EyNS0_10empty_typeEbEEZZNS1_14partition_implILS5_6ELb0ES3_mN6thrust23THRUST_200600_302600_NS6detail15normal_iteratorINSA_10device_ptrIyEEEEPS6_SG_NS0_5tupleIJSF_S6_EEENSH_IJSG_SG_EEES6_PlJNSB_9not_fun_tINSB_10functional5actorINSM_9compositeIJNSM_27transparent_binary_operatorINSA_8equal_toIvEEEENSN_INSM_8argumentILj0EEEEENSM_5valueIyEEEEEEEEEEEE10hipError_tPvRmT3_T4_T5_T6_T7_T9_mT8_P12ihipStream_tbDpT10_ENKUlT_T0_E_clISt17integral_constantIbLb1EES1J_IbLb0EEEEDaS1F_S1G_EUlS1F_E_NS1_11comp_targetILNS1_3genE3ELNS1_11target_archE908ELNS1_3gpuE7ELNS1_3repE0EEENS1_30default_config_static_selectorELNS0_4arch9wavefront6targetE0EEEvT1_,"axG",@progbits,_ZN7rocprim17ROCPRIM_400000_NS6detail17trampoline_kernelINS0_14default_configENS1_25partition_config_selectorILNS1_17partition_subalgoE6EyNS0_10empty_typeEbEEZZNS1_14partition_implILS5_6ELb0ES3_mN6thrust23THRUST_200600_302600_NS6detail15normal_iteratorINSA_10device_ptrIyEEEEPS6_SG_NS0_5tupleIJSF_S6_EEENSH_IJSG_SG_EEES6_PlJNSB_9not_fun_tINSB_10functional5actorINSM_9compositeIJNSM_27transparent_binary_operatorINSA_8equal_toIvEEEENSN_INSM_8argumentILj0EEEEENSM_5valueIyEEEEEEEEEEEE10hipError_tPvRmT3_T4_T5_T6_T7_T9_mT8_P12ihipStream_tbDpT10_ENKUlT_T0_E_clISt17integral_constantIbLb1EES1J_IbLb0EEEEDaS1F_S1G_EUlS1F_E_NS1_11comp_targetILNS1_3genE3ELNS1_11target_archE908ELNS1_3gpuE7ELNS1_3repE0EEENS1_30default_config_static_selectorELNS0_4arch9wavefront6targetE0EEEvT1_,comdat
.Lfunc_end99:
	.size	_ZN7rocprim17ROCPRIM_400000_NS6detail17trampoline_kernelINS0_14default_configENS1_25partition_config_selectorILNS1_17partition_subalgoE6EyNS0_10empty_typeEbEEZZNS1_14partition_implILS5_6ELb0ES3_mN6thrust23THRUST_200600_302600_NS6detail15normal_iteratorINSA_10device_ptrIyEEEEPS6_SG_NS0_5tupleIJSF_S6_EEENSH_IJSG_SG_EEES6_PlJNSB_9not_fun_tINSB_10functional5actorINSM_9compositeIJNSM_27transparent_binary_operatorINSA_8equal_toIvEEEENSN_INSM_8argumentILj0EEEEENSM_5valueIyEEEEEEEEEEEE10hipError_tPvRmT3_T4_T5_T6_T7_T9_mT8_P12ihipStream_tbDpT10_ENKUlT_T0_E_clISt17integral_constantIbLb1EES1J_IbLb0EEEEDaS1F_S1G_EUlS1F_E_NS1_11comp_targetILNS1_3genE3ELNS1_11target_archE908ELNS1_3gpuE7ELNS1_3repE0EEENS1_30default_config_static_selectorELNS0_4arch9wavefront6targetE0EEEvT1_, .Lfunc_end99-_ZN7rocprim17ROCPRIM_400000_NS6detail17trampoline_kernelINS0_14default_configENS1_25partition_config_selectorILNS1_17partition_subalgoE6EyNS0_10empty_typeEbEEZZNS1_14partition_implILS5_6ELb0ES3_mN6thrust23THRUST_200600_302600_NS6detail15normal_iteratorINSA_10device_ptrIyEEEEPS6_SG_NS0_5tupleIJSF_S6_EEENSH_IJSG_SG_EEES6_PlJNSB_9not_fun_tINSB_10functional5actorINSM_9compositeIJNSM_27transparent_binary_operatorINSA_8equal_toIvEEEENSN_INSM_8argumentILj0EEEEENSM_5valueIyEEEEEEEEEEEE10hipError_tPvRmT3_T4_T5_T6_T7_T9_mT8_P12ihipStream_tbDpT10_ENKUlT_T0_E_clISt17integral_constantIbLb1EES1J_IbLb0EEEEDaS1F_S1G_EUlS1F_E_NS1_11comp_targetILNS1_3genE3ELNS1_11target_archE908ELNS1_3gpuE7ELNS1_3repE0EEENS1_30default_config_static_selectorELNS0_4arch9wavefront6targetE0EEEvT1_
                                        ; -- End function
	.set _ZN7rocprim17ROCPRIM_400000_NS6detail17trampoline_kernelINS0_14default_configENS1_25partition_config_selectorILNS1_17partition_subalgoE6EyNS0_10empty_typeEbEEZZNS1_14partition_implILS5_6ELb0ES3_mN6thrust23THRUST_200600_302600_NS6detail15normal_iteratorINSA_10device_ptrIyEEEEPS6_SG_NS0_5tupleIJSF_S6_EEENSH_IJSG_SG_EEES6_PlJNSB_9not_fun_tINSB_10functional5actorINSM_9compositeIJNSM_27transparent_binary_operatorINSA_8equal_toIvEEEENSN_INSM_8argumentILj0EEEEENSM_5valueIyEEEEEEEEEEEE10hipError_tPvRmT3_T4_T5_T6_T7_T9_mT8_P12ihipStream_tbDpT10_ENKUlT_T0_E_clISt17integral_constantIbLb1EES1J_IbLb0EEEEDaS1F_S1G_EUlS1F_E_NS1_11comp_targetILNS1_3genE3ELNS1_11target_archE908ELNS1_3gpuE7ELNS1_3repE0EEENS1_30default_config_static_selectorELNS0_4arch9wavefront6targetE0EEEvT1_.num_vgpr, 0
	.set _ZN7rocprim17ROCPRIM_400000_NS6detail17trampoline_kernelINS0_14default_configENS1_25partition_config_selectorILNS1_17partition_subalgoE6EyNS0_10empty_typeEbEEZZNS1_14partition_implILS5_6ELb0ES3_mN6thrust23THRUST_200600_302600_NS6detail15normal_iteratorINSA_10device_ptrIyEEEEPS6_SG_NS0_5tupleIJSF_S6_EEENSH_IJSG_SG_EEES6_PlJNSB_9not_fun_tINSB_10functional5actorINSM_9compositeIJNSM_27transparent_binary_operatorINSA_8equal_toIvEEEENSN_INSM_8argumentILj0EEEEENSM_5valueIyEEEEEEEEEEEE10hipError_tPvRmT3_T4_T5_T6_T7_T9_mT8_P12ihipStream_tbDpT10_ENKUlT_T0_E_clISt17integral_constantIbLb1EES1J_IbLb0EEEEDaS1F_S1G_EUlS1F_E_NS1_11comp_targetILNS1_3genE3ELNS1_11target_archE908ELNS1_3gpuE7ELNS1_3repE0EEENS1_30default_config_static_selectorELNS0_4arch9wavefront6targetE0EEEvT1_.num_agpr, 0
	.set _ZN7rocprim17ROCPRIM_400000_NS6detail17trampoline_kernelINS0_14default_configENS1_25partition_config_selectorILNS1_17partition_subalgoE6EyNS0_10empty_typeEbEEZZNS1_14partition_implILS5_6ELb0ES3_mN6thrust23THRUST_200600_302600_NS6detail15normal_iteratorINSA_10device_ptrIyEEEEPS6_SG_NS0_5tupleIJSF_S6_EEENSH_IJSG_SG_EEES6_PlJNSB_9not_fun_tINSB_10functional5actorINSM_9compositeIJNSM_27transparent_binary_operatorINSA_8equal_toIvEEEENSN_INSM_8argumentILj0EEEEENSM_5valueIyEEEEEEEEEEEE10hipError_tPvRmT3_T4_T5_T6_T7_T9_mT8_P12ihipStream_tbDpT10_ENKUlT_T0_E_clISt17integral_constantIbLb1EES1J_IbLb0EEEEDaS1F_S1G_EUlS1F_E_NS1_11comp_targetILNS1_3genE3ELNS1_11target_archE908ELNS1_3gpuE7ELNS1_3repE0EEENS1_30default_config_static_selectorELNS0_4arch9wavefront6targetE0EEEvT1_.numbered_sgpr, 0
	.set _ZN7rocprim17ROCPRIM_400000_NS6detail17trampoline_kernelINS0_14default_configENS1_25partition_config_selectorILNS1_17partition_subalgoE6EyNS0_10empty_typeEbEEZZNS1_14partition_implILS5_6ELb0ES3_mN6thrust23THRUST_200600_302600_NS6detail15normal_iteratorINSA_10device_ptrIyEEEEPS6_SG_NS0_5tupleIJSF_S6_EEENSH_IJSG_SG_EEES6_PlJNSB_9not_fun_tINSB_10functional5actorINSM_9compositeIJNSM_27transparent_binary_operatorINSA_8equal_toIvEEEENSN_INSM_8argumentILj0EEEEENSM_5valueIyEEEEEEEEEEEE10hipError_tPvRmT3_T4_T5_T6_T7_T9_mT8_P12ihipStream_tbDpT10_ENKUlT_T0_E_clISt17integral_constantIbLb1EES1J_IbLb0EEEEDaS1F_S1G_EUlS1F_E_NS1_11comp_targetILNS1_3genE3ELNS1_11target_archE908ELNS1_3gpuE7ELNS1_3repE0EEENS1_30default_config_static_selectorELNS0_4arch9wavefront6targetE0EEEvT1_.num_named_barrier, 0
	.set _ZN7rocprim17ROCPRIM_400000_NS6detail17trampoline_kernelINS0_14default_configENS1_25partition_config_selectorILNS1_17partition_subalgoE6EyNS0_10empty_typeEbEEZZNS1_14partition_implILS5_6ELb0ES3_mN6thrust23THRUST_200600_302600_NS6detail15normal_iteratorINSA_10device_ptrIyEEEEPS6_SG_NS0_5tupleIJSF_S6_EEENSH_IJSG_SG_EEES6_PlJNSB_9not_fun_tINSB_10functional5actorINSM_9compositeIJNSM_27transparent_binary_operatorINSA_8equal_toIvEEEENSN_INSM_8argumentILj0EEEEENSM_5valueIyEEEEEEEEEEEE10hipError_tPvRmT3_T4_T5_T6_T7_T9_mT8_P12ihipStream_tbDpT10_ENKUlT_T0_E_clISt17integral_constantIbLb1EES1J_IbLb0EEEEDaS1F_S1G_EUlS1F_E_NS1_11comp_targetILNS1_3genE3ELNS1_11target_archE908ELNS1_3gpuE7ELNS1_3repE0EEENS1_30default_config_static_selectorELNS0_4arch9wavefront6targetE0EEEvT1_.private_seg_size, 0
	.set _ZN7rocprim17ROCPRIM_400000_NS6detail17trampoline_kernelINS0_14default_configENS1_25partition_config_selectorILNS1_17partition_subalgoE6EyNS0_10empty_typeEbEEZZNS1_14partition_implILS5_6ELb0ES3_mN6thrust23THRUST_200600_302600_NS6detail15normal_iteratorINSA_10device_ptrIyEEEEPS6_SG_NS0_5tupleIJSF_S6_EEENSH_IJSG_SG_EEES6_PlJNSB_9not_fun_tINSB_10functional5actorINSM_9compositeIJNSM_27transparent_binary_operatorINSA_8equal_toIvEEEENSN_INSM_8argumentILj0EEEEENSM_5valueIyEEEEEEEEEEEE10hipError_tPvRmT3_T4_T5_T6_T7_T9_mT8_P12ihipStream_tbDpT10_ENKUlT_T0_E_clISt17integral_constantIbLb1EES1J_IbLb0EEEEDaS1F_S1G_EUlS1F_E_NS1_11comp_targetILNS1_3genE3ELNS1_11target_archE908ELNS1_3gpuE7ELNS1_3repE0EEENS1_30default_config_static_selectorELNS0_4arch9wavefront6targetE0EEEvT1_.uses_vcc, 0
	.set _ZN7rocprim17ROCPRIM_400000_NS6detail17trampoline_kernelINS0_14default_configENS1_25partition_config_selectorILNS1_17partition_subalgoE6EyNS0_10empty_typeEbEEZZNS1_14partition_implILS5_6ELb0ES3_mN6thrust23THRUST_200600_302600_NS6detail15normal_iteratorINSA_10device_ptrIyEEEEPS6_SG_NS0_5tupleIJSF_S6_EEENSH_IJSG_SG_EEES6_PlJNSB_9not_fun_tINSB_10functional5actorINSM_9compositeIJNSM_27transparent_binary_operatorINSA_8equal_toIvEEEENSN_INSM_8argumentILj0EEEEENSM_5valueIyEEEEEEEEEEEE10hipError_tPvRmT3_T4_T5_T6_T7_T9_mT8_P12ihipStream_tbDpT10_ENKUlT_T0_E_clISt17integral_constantIbLb1EES1J_IbLb0EEEEDaS1F_S1G_EUlS1F_E_NS1_11comp_targetILNS1_3genE3ELNS1_11target_archE908ELNS1_3gpuE7ELNS1_3repE0EEENS1_30default_config_static_selectorELNS0_4arch9wavefront6targetE0EEEvT1_.uses_flat_scratch, 0
	.set _ZN7rocprim17ROCPRIM_400000_NS6detail17trampoline_kernelINS0_14default_configENS1_25partition_config_selectorILNS1_17partition_subalgoE6EyNS0_10empty_typeEbEEZZNS1_14partition_implILS5_6ELb0ES3_mN6thrust23THRUST_200600_302600_NS6detail15normal_iteratorINSA_10device_ptrIyEEEEPS6_SG_NS0_5tupleIJSF_S6_EEENSH_IJSG_SG_EEES6_PlJNSB_9not_fun_tINSB_10functional5actorINSM_9compositeIJNSM_27transparent_binary_operatorINSA_8equal_toIvEEEENSN_INSM_8argumentILj0EEEEENSM_5valueIyEEEEEEEEEEEE10hipError_tPvRmT3_T4_T5_T6_T7_T9_mT8_P12ihipStream_tbDpT10_ENKUlT_T0_E_clISt17integral_constantIbLb1EES1J_IbLb0EEEEDaS1F_S1G_EUlS1F_E_NS1_11comp_targetILNS1_3genE3ELNS1_11target_archE908ELNS1_3gpuE7ELNS1_3repE0EEENS1_30default_config_static_selectorELNS0_4arch9wavefront6targetE0EEEvT1_.has_dyn_sized_stack, 0
	.set _ZN7rocprim17ROCPRIM_400000_NS6detail17trampoline_kernelINS0_14default_configENS1_25partition_config_selectorILNS1_17partition_subalgoE6EyNS0_10empty_typeEbEEZZNS1_14partition_implILS5_6ELb0ES3_mN6thrust23THRUST_200600_302600_NS6detail15normal_iteratorINSA_10device_ptrIyEEEEPS6_SG_NS0_5tupleIJSF_S6_EEENSH_IJSG_SG_EEES6_PlJNSB_9not_fun_tINSB_10functional5actorINSM_9compositeIJNSM_27transparent_binary_operatorINSA_8equal_toIvEEEENSN_INSM_8argumentILj0EEEEENSM_5valueIyEEEEEEEEEEEE10hipError_tPvRmT3_T4_T5_T6_T7_T9_mT8_P12ihipStream_tbDpT10_ENKUlT_T0_E_clISt17integral_constantIbLb1EES1J_IbLb0EEEEDaS1F_S1G_EUlS1F_E_NS1_11comp_targetILNS1_3genE3ELNS1_11target_archE908ELNS1_3gpuE7ELNS1_3repE0EEENS1_30default_config_static_selectorELNS0_4arch9wavefront6targetE0EEEvT1_.has_recursion, 0
	.set _ZN7rocprim17ROCPRIM_400000_NS6detail17trampoline_kernelINS0_14default_configENS1_25partition_config_selectorILNS1_17partition_subalgoE6EyNS0_10empty_typeEbEEZZNS1_14partition_implILS5_6ELb0ES3_mN6thrust23THRUST_200600_302600_NS6detail15normal_iteratorINSA_10device_ptrIyEEEEPS6_SG_NS0_5tupleIJSF_S6_EEENSH_IJSG_SG_EEES6_PlJNSB_9not_fun_tINSB_10functional5actorINSM_9compositeIJNSM_27transparent_binary_operatorINSA_8equal_toIvEEEENSN_INSM_8argumentILj0EEEEENSM_5valueIyEEEEEEEEEEEE10hipError_tPvRmT3_T4_T5_T6_T7_T9_mT8_P12ihipStream_tbDpT10_ENKUlT_T0_E_clISt17integral_constantIbLb1EES1J_IbLb0EEEEDaS1F_S1G_EUlS1F_E_NS1_11comp_targetILNS1_3genE3ELNS1_11target_archE908ELNS1_3gpuE7ELNS1_3repE0EEENS1_30default_config_static_selectorELNS0_4arch9wavefront6targetE0EEEvT1_.has_indirect_call, 0
	.section	.AMDGPU.csdata,"",@progbits
; Kernel info:
; codeLenInByte = 0
; TotalNumSgprs: 0
; NumVgprs: 0
; ScratchSize: 0
; MemoryBound: 0
; FloatMode: 240
; IeeeMode: 1
; LDSByteSize: 0 bytes/workgroup (compile time only)
; SGPRBlocks: 0
; VGPRBlocks: 0
; NumSGPRsForWavesPerEU: 1
; NumVGPRsForWavesPerEU: 1
; Occupancy: 16
; WaveLimiterHint : 0
; COMPUTE_PGM_RSRC2:SCRATCH_EN: 0
; COMPUTE_PGM_RSRC2:USER_SGPR: 2
; COMPUTE_PGM_RSRC2:TRAP_HANDLER: 0
; COMPUTE_PGM_RSRC2:TGID_X_EN: 1
; COMPUTE_PGM_RSRC2:TGID_Y_EN: 0
; COMPUTE_PGM_RSRC2:TGID_Z_EN: 0
; COMPUTE_PGM_RSRC2:TIDIG_COMP_CNT: 0
	.section	.text._ZN7rocprim17ROCPRIM_400000_NS6detail17trampoline_kernelINS0_14default_configENS1_25partition_config_selectorILNS1_17partition_subalgoE6EyNS0_10empty_typeEbEEZZNS1_14partition_implILS5_6ELb0ES3_mN6thrust23THRUST_200600_302600_NS6detail15normal_iteratorINSA_10device_ptrIyEEEEPS6_SG_NS0_5tupleIJSF_S6_EEENSH_IJSG_SG_EEES6_PlJNSB_9not_fun_tINSB_10functional5actorINSM_9compositeIJNSM_27transparent_binary_operatorINSA_8equal_toIvEEEENSN_INSM_8argumentILj0EEEEENSM_5valueIyEEEEEEEEEEEE10hipError_tPvRmT3_T4_T5_T6_T7_T9_mT8_P12ihipStream_tbDpT10_ENKUlT_T0_E_clISt17integral_constantIbLb1EES1J_IbLb0EEEEDaS1F_S1G_EUlS1F_E_NS1_11comp_targetILNS1_3genE2ELNS1_11target_archE906ELNS1_3gpuE6ELNS1_3repE0EEENS1_30default_config_static_selectorELNS0_4arch9wavefront6targetE0EEEvT1_,"axG",@progbits,_ZN7rocprim17ROCPRIM_400000_NS6detail17trampoline_kernelINS0_14default_configENS1_25partition_config_selectorILNS1_17partition_subalgoE6EyNS0_10empty_typeEbEEZZNS1_14partition_implILS5_6ELb0ES3_mN6thrust23THRUST_200600_302600_NS6detail15normal_iteratorINSA_10device_ptrIyEEEEPS6_SG_NS0_5tupleIJSF_S6_EEENSH_IJSG_SG_EEES6_PlJNSB_9not_fun_tINSB_10functional5actorINSM_9compositeIJNSM_27transparent_binary_operatorINSA_8equal_toIvEEEENSN_INSM_8argumentILj0EEEEENSM_5valueIyEEEEEEEEEEEE10hipError_tPvRmT3_T4_T5_T6_T7_T9_mT8_P12ihipStream_tbDpT10_ENKUlT_T0_E_clISt17integral_constantIbLb1EES1J_IbLb0EEEEDaS1F_S1G_EUlS1F_E_NS1_11comp_targetILNS1_3genE2ELNS1_11target_archE906ELNS1_3gpuE6ELNS1_3repE0EEENS1_30default_config_static_selectorELNS0_4arch9wavefront6targetE0EEEvT1_,comdat
	.protected	_ZN7rocprim17ROCPRIM_400000_NS6detail17trampoline_kernelINS0_14default_configENS1_25partition_config_selectorILNS1_17partition_subalgoE6EyNS0_10empty_typeEbEEZZNS1_14partition_implILS5_6ELb0ES3_mN6thrust23THRUST_200600_302600_NS6detail15normal_iteratorINSA_10device_ptrIyEEEEPS6_SG_NS0_5tupleIJSF_S6_EEENSH_IJSG_SG_EEES6_PlJNSB_9not_fun_tINSB_10functional5actorINSM_9compositeIJNSM_27transparent_binary_operatorINSA_8equal_toIvEEEENSN_INSM_8argumentILj0EEEEENSM_5valueIyEEEEEEEEEEEE10hipError_tPvRmT3_T4_T5_T6_T7_T9_mT8_P12ihipStream_tbDpT10_ENKUlT_T0_E_clISt17integral_constantIbLb1EES1J_IbLb0EEEEDaS1F_S1G_EUlS1F_E_NS1_11comp_targetILNS1_3genE2ELNS1_11target_archE906ELNS1_3gpuE6ELNS1_3repE0EEENS1_30default_config_static_selectorELNS0_4arch9wavefront6targetE0EEEvT1_ ; -- Begin function _ZN7rocprim17ROCPRIM_400000_NS6detail17trampoline_kernelINS0_14default_configENS1_25partition_config_selectorILNS1_17partition_subalgoE6EyNS0_10empty_typeEbEEZZNS1_14partition_implILS5_6ELb0ES3_mN6thrust23THRUST_200600_302600_NS6detail15normal_iteratorINSA_10device_ptrIyEEEEPS6_SG_NS0_5tupleIJSF_S6_EEENSH_IJSG_SG_EEES6_PlJNSB_9not_fun_tINSB_10functional5actorINSM_9compositeIJNSM_27transparent_binary_operatorINSA_8equal_toIvEEEENSN_INSM_8argumentILj0EEEEENSM_5valueIyEEEEEEEEEEEE10hipError_tPvRmT3_T4_T5_T6_T7_T9_mT8_P12ihipStream_tbDpT10_ENKUlT_T0_E_clISt17integral_constantIbLb1EES1J_IbLb0EEEEDaS1F_S1G_EUlS1F_E_NS1_11comp_targetILNS1_3genE2ELNS1_11target_archE906ELNS1_3gpuE6ELNS1_3repE0EEENS1_30default_config_static_selectorELNS0_4arch9wavefront6targetE0EEEvT1_
	.globl	_ZN7rocprim17ROCPRIM_400000_NS6detail17trampoline_kernelINS0_14default_configENS1_25partition_config_selectorILNS1_17partition_subalgoE6EyNS0_10empty_typeEbEEZZNS1_14partition_implILS5_6ELb0ES3_mN6thrust23THRUST_200600_302600_NS6detail15normal_iteratorINSA_10device_ptrIyEEEEPS6_SG_NS0_5tupleIJSF_S6_EEENSH_IJSG_SG_EEES6_PlJNSB_9not_fun_tINSB_10functional5actorINSM_9compositeIJNSM_27transparent_binary_operatorINSA_8equal_toIvEEEENSN_INSM_8argumentILj0EEEEENSM_5valueIyEEEEEEEEEEEE10hipError_tPvRmT3_T4_T5_T6_T7_T9_mT8_P12ihipStream_tbDpT10_ENKUlT_T0_E_clISt17integral_constantIbLb1EES1J_IbLb0EEEEDaS1F_S1G_EUlS1F_E_NS1_11comp_targetILNS1_3genE2ELNS1_11target_archE906ELNS1_3gpuE6ELNS1_3repE0EEENS1_30default_config_static_selectorELNS0_4arch9wavefront6targetE0EEEvT1_
	.p2align	8
	.type	_ZN7rocprim17ROCPRIM_400000_NS6detail17trampoline_kernelINS0_14default_configENS1_25partition_config_selectorILNS1_17partition_subalgoE6EyNS0_10empty_typeEbEEZZNS1_14partition_implILS5_6ELb0ES3_mN6thrust23THRUST_200600_302600_NS6detail15normal_iteratorINSA_10device_ptrIyEEEEPS6_SG_NS0_5tupleIJSF_S6_EEENSH_IJSG_SG_EEES6_PlJNSB_9not_fun_tINSB_10functional5actorINSM_9compositeIJNSM_27transparent_binary_operatorINSA_8equal_toIvEEEENSN_INSM_8argumentILj0EEEEENSM_5valueIyEEEEEEEEEEEE10hipError_tPvRmT3_T4_T5_T6_T7_T9_mT8_P12ihipStream_tbDpT10_ENKUlT_T0_E_clISt17integral_constantIbLb1EES1J_IbLb0EEEEDaS1F_S1G_EUlS1F_E_NS1_11comp_targetILNS1_3genE2ELNS1_11target_archE906ELNS1_3gpuE6ELNS1_3repE0EEENS1_30default_config_static_selectorELNS0_4arch9wavefront6targetE0EEEvT1_,@function
_ZN7rocprim17ROCPRIM_400000_NS6detail17trampoline_kernelINS0_14default_configENS1_25partition_config_selectorILNS1_17partition_subalgoE6EyNS0_10empty_typeEbEEZZNS1_14partition_implILS5_6ELb0ES3_mN6thrust23THRUST_200600_302600_NS6detail15normal_iteratorINSA_10device_ptrIyEEEEPS6_SG_NS0_5tupleIJSF_S6_EEENSH_IJSG_SG_EEES6_PlJNSB_9not_fun_tINSB_10functional5actorINSM_9compositeIJNSM_27transparent_binary_operatorINSA_8equal_toIvEEEENSN_INSM_8argumentILj0EEEEENSM_5valueIyEEEEEEEEEEEE10hipError_tPvRmT3_T4_T5_T6_T7_T9_mT8_P12ihipStream_tbDpT10_ENKUlT_T0_E_clISt17integral_constantIbLb1EES1J_IbLb0EEEEDaS1F_S1G_EUlS1F_E_NS1_11comp_targetILNS1_3genE2ELNS1_11target_archE906ELNS1_3gpuE6ELNS1_3repE0EEENS1_30default_config_static_selectorELNS0_4arch9wavefront6targetE0EEEvT1_: ; @_ZN7rocprim17ROCPRIM_400000_NS6detail17trampoline_kernelINS0_14default_configENS1_25partition_config_selectorILNS1_17partition_subalgoE6EyNS0_10empty_typeEbEEZZNS1_14partition_implILS5_6ELb0ES3_mN6thrust23THRUST_200600_302600_NS6detail15normal_iteratorINSA_10device_ptrIyEEEEPS6_SG_NS0_5tupleIJSF_S6_EEENSH_IJSG_SG_EEES6_PlJNSB_9not_fun_tINSB_10functional5actorINSM_9compositeIJNSM_27transparent_binary_operatorINSA_8equal_toIvEEEENSN_INSM_8argumentILj0EEEEENSM_5valueIyEEEEEEEEEEEE10hipError_tPvRmT3_T4_T5_T6_T7_T9_mT8_P12ihipStream_tbDpT10_ENKUlT_T0_E_clISt17integral_constantIbLb1EES1J_IbLb0EEEEDaS1F_S1G_EUlS1F_E_NS1_11comp_targetILNS1_3genE2ELNS1_11target_archE906ELNS1_3gpuE6ELNS1_3repE0EEENS1_30default_config_static_selectorELNS0_4arch9wavefront6targetE0EEEvT1_
; %bb.0:
	.section	.rodata,"a",@progbits
	.p2align	6, 0x0
	.amdhsa_kernel _ZN7rocprim17ROCPRIM_400000_NS6detail17trampoline_kernelINS0_14default_configENS1_25partition_config_selectorILNS1_17partition_subalgoE6EyNS0_10empty_typeEbEEZZNS1_14partition_implILS5_6ELb0ES3_mN6thrust23THRUST_200600_302600_NS6detail15normal_iteratorINSA_10device_ptrIyEEEEPS6_SG_NS0_5tupleIJSF_S6_EEENSH_IJSG_SG_EEES6_PlJNSB_9not_fun_tINSB_10functional5actorINSM_9compositeIJNSM_27transparent_binary_operatorINSA_8equal_toIvEEEENSN_INSM_8argumentILj0EEEEENSM_5valueIyEEEEEEEEEEEE10hipError_tPvRmT3_T4_T5_T6_T7_T9_mT8_P12ihipStream_tbDpT10_ENKUlT_T0_E_clISt17integral_constantIbLb1EES1J_IbLb0EEEEDaS1F_S1G_EUlS1F_E_NS1_11comp_targetILNS1_3genE2ELNS1_11target_archE906ELNS1_3gpuE6ELNS1_3repE0EEENS1_30default_config_static_selectorELNS0_4arch9wavefront6targetE0EEEvT1_
		.amdhsa_group_segment_fixed_size 0
		.amdhsa_private_segment_fixed_size 0
		.amdhsa_kernarg_size 128
		.amdhsa_user_sgpr_count 2
		.amdhsa_user_sgpr_dispatch_ptr 0
		.amdhsa_user_sgpr_queue_ptr 0
		.amdhsa_user_sgpr_kernarg_segment_ptr 1
		.amdhsa_user_sgpr_dispatch_id 0
		.amdhsa_user_sgpr_private_segment_size 0
		.amdhsa_wavefront_size32 1
		.amdhsa_uses_dynamic_stack 0
		.amdhsa_enable_private_segment 0
		.amdhsa_system_sgpr_workgroup_id_x 1
		.amdhsa_system_sgpr_workgroup_id_y 0
		.amdhsa_system_sgpr_workgroup_id_z 0
		.amdhsa_system_sgpr_workgroup_info 0
		.amdhsa_system_vgpr_workitem_id 0
		.amdhsa_next_free_vgpr 1
		.amdhsa_next_free_sgpr 1
		.amdhsa_reserve_vcc 0
		.amdhsa_float_round_mode_32 0
		.amdhsa_float_round_mode_16_64 0
		.amdhsa_float_denorm_mode_32 3
		.amdhsa_float_denorm_mode_16_64 3
		.amdhsa_fp16_overflow 0
		.amdhsa_workgroup_processor_mode 1
		.amdhsa_memory_ordered 1
		.amdhsa_forward_progress 1
		.amdhsa_inst_pref_size 0
		.amdhsa_round_robin_scheduling 0
		.amdhsa_exception_fp_ieee_invalid_op 0
		.amdhsa_exception_fp_denorm_src 0
		.amdhsa_exception_fp_ieee_div_zero 0
		.amdhsa_exception_fp_ieee_overflow 0
		.amdhsa_exception_fp_ieee_underflow 0
		.amdhsa_exception_fp_ieee_inexact 0
		.amdhsa_exception_int_div_zero 0
	.end_amdhsa_kernel
	.section	.text._ZN7rocprim17ROCPRIM_400000_NS6detail17trampoline_kernelINS0_14default_configENS1_25partition_config_selectorILNS1_17partition_subalgoE6EyNS0_10empty_typeEbEEZZNS1_14partition_implILS5_6ELb0ES3_mN6thrust23THRUST_200600_302600_NS6detail15normal_iteratorINSA_10device_ptrIyEEEEPS6_SG_NS0_5tupleIJSF_S6_EEENSH_IJSG_SG_EEES6_PlJNSB_9not_fun_tINSB_10functional5actorINSM_9compositeIJNSM_27transparent_binary_operatorINSA_8equal_toIvEEEENSN_INSM_8argumentILj0EEEEENSM_5valueIyEEEEEEEEEEEE10hipError_tPvRmT3_T4_T5_T6_T7_T9_mT8_P12ihipStream_tbDpT10_ENKUlT_T0_E_clISt17integral_constantIbLb1EES1J_IbLb0EEEEDaS1F_S1G_EUlS1F_E_NS1_11comp_targetILNS1_3genE2ELNS1_11target_archE906ELNS1_3gpuE6ELNS1_3repE0EEENS1_30default_config_static_selectorELNS0_4arch9wavefront6targetE0EEEvT1_,"axG",@progbits,_ZN7rocprim17ROCPRIM_400000_NS6detail17trampoline_kernelINS0_14default_configENS1_25partition_config_selectorILNS1_17partition_subalgoE6EyNS0_10empty_typeEbEEZZNS1_14partition_implILS5_6ELb0ES3_mN6thrust23THRUST_200600_302600_NS6detail15normal_iteratorINSA_10device_ptrIyEEEEPS6_SG_NS0_5tupleIJSF_S6_EEENSH_IJSG_SG_EEES6_PlJNSB_9not_fun_tINSB_10functional5actorINSM_9compositeIJNSM_27transparent_binary_operatorINSA_8equal_toIvEEEENSN_INSM_8argumentILj0EEEEENSM_5valueIyEEEEEEEEEEEE10hipError_tPvRmT3_T4_T5_T6_T7_T9_mT8_P12ihipStream_tbDpT10_ENKUlT_T0_E_clISt17integral_constantIbLb1EES1J_IbLb0EEEEDaS1F_S1G_EUlS1F_E_NS1_11comp_targetILNS1_3genE2ELNS1_11target_archE906ELNS1_3gpuE6ELNS1_3repE0EEENS1_30default_config_static_selectorELNS0_4arch9wavefront6targetE0EEEvT1_,comdat
.Lfunc_end100:
	.size	_ZN7rocprim17ROCPRIM_400000_NS6detail17trampoline_kernelINS0_14default_configENS1_25partition_config_selectorILNS1_17partition_subalgoE6EyNS0_10empty_typeEbEEZZNS1_14partition_implILS5_6ELb0ES3_mN6thrust23THRUST_200600_302600_NS6detail15normal_iteratorINSA_10device_ptrIyEEEEPS6_SG_NS0_5tupleIJSF_S6_EEENSH_IJSG_SG_EEES6_PlJNSB_9not_fun_tINSB_10functional5actorINSM_9compositeIJNSM_27transparent_binary_operatorINSA_8equal_toIvEEEENSN_INSM_8argumentILj0EEEEENSM_5valueIyEEEEEEEEEEEE10hipError_tPvRmT3_T4_T5_T6_T7_T9_mT8_P12ihipStream_tbDpT10_ENKUlT_T0_E_clISt17integral_constantIbLb1EES1J_IbLb0EEEEDaS1F_S1G_EUlS1F_E_NS1_11comp_targetILNS1_3genE2ELNS1_11target_archE906ELNS1_3gpuE6ELNS1_3repE0EEENS1_30default_config_static_selectorELNS0_4arch9wavefront6targetE0EEEvT1_, .Lfunc_end100-_ZN7rocprim17ROCPRIM_400000_NS6detail17trampoline_kernelINS0_14default_configENS1_25partition_config_selectorILNS1_17partition_subalgoE6EyNS0_10empty_typeEbEEZZNS1_14partition_implILS5_6ELb0ES3_mN6thrust23THRUST_200600_302600_NS6detail15normal_iteratorINSA_10device_ptrIyEEEEPS6_SG_NS0_5tupleIJSF_S6_EEENSH_IJSG_SG_EEES6_PlJNSB_9not_fun_tINSB_10functional5actorINSM_9compositeIJNSM_27transparent_binary_operatorINSA_8equal_toIvEEEENSN_INSM_8argumentILj0EEEEENSM_5valueIyEEEEEEEEEEEE10hipError_tPvRmT3_T4_T5_T6_T7_T9_mT8_P12ihipStream_tbDpT10_ENKUlT_T0_E_clISt17integral_constantIbLb1EES1J_IbLb0EEEEDaS1F_S1G_EUlS1F_E_NS1_11comp_targetILNS1_3genE2ELNS1_11target_archE906ELNS1_3gpuE6ELNS1_3repE0EEENS1_30default_config_static_selectorELNS0_4arch9wavefront6targetE0EEEvT1_
                                        ; -- End function
	.set _ZN7rocprim17ROCPRIM_400000_NS6detail17trampoline_kernelINS0_14default_configENS1_25partition_config_selectorILNS1_17partition_subalgoE6EyNS0_10empty_typeEbEEZZNS1_14partition_implILS5_6ELb0ES3_mN6thrust23THRUST_200600_302600_NS6detail15normal_iteratorINSA_10device_ptrIyEEEEPS6_SG_NS0_5tupleIJSF_S6_EEENSH_IJSG_SG_EEES6_PlJNSB_9not_fun_tINSB_10functional5actorINSM_9compositeIJNSM_27transparent_binary_operatorINSA_8equal_toIvEEEENSN_INSM_8argumentILj0EEEEENSM_5valueIyEEEEEEEEEEEE10hipError_tPvRmT3_T4_T5_T6_T7_T9_mT8_P12ihipStream_tbDpT10_ENKUlT_T0_E_clISt17integral_constantIbLb1EES1J_IbLb0EEEEDaS1F_S1G_EUlS1F_E_NS1_11comp_targetILNS1_3genE2ELNS1_11target_archE906ELNS1_3gpuE6ELNS1_3repE0EEENS1_30default_config_static_selectorELNS0_4arch9wavefront6targetE0EEEvT1_.num_vgpr, 0
	.set _ZN7rocprim17ROCPRIM_400000_NS6detail17trampoline_kernelINS0_14default_configENS1_25partition_config_selectorILNS1_17partition_subalgoE6EyNS0_10empty_typeEbEEZZNS1_14partition_implILS5_6ELb0ES3_mN6thrust23THRUST_200600_302600_NS6detail15normal_iteratorINSA_10device_ptrIyEEEEPS6_SG_NS0_5tupleIJSF_S6_EEENSH_IJSG_SG_EEES6_PlJNSB_9not_fun_tINSB_10functional5actorINSM_9compositeIJNSM_27transparent_binary_operatorINSA_8equal_toIvEEEENSN_INSM_8argumentILj0EEEEENSM_5valueIyEEEEEEEEEEEE10hipError_tPvRmT3_T4_T5_T6_T7_T9_mT8_P12ihipStream_tbDpT10_ENKUlT_T0_E_clISt17integral_constantIbLb1EES1J_IbLb0EEEEDaS1F_S1G_EUlS1F_E_NS1_11comp_targetILNS1_3genE2ELNS1_11target_archE906ELNS1_3gpuE6ELNS1_3repE0EEENS1_30default_config_static_selectorELNS0_4arch9wavefront6targetE0EEEvT1_.num_agpr, 0
	.set _ZN7rocprim17ROCPRIM_400000_NS6detail17trampoline_kernelINS0_14default_configENS1_25partition_config_selectorILNS1_17partition_subalgoE6EyNS0_10empty_typeEbEEZZNS1_14partition_implILS5_6ELb0ES3_mN6thrust23THRUST_200600_302600_NS6detail15normal_iteratorINSA_10device_ptrIyEEEEPS6_SG_NS0_5tupleIJSF_S6_EEENSH_IJSG_SG_EEES6_PlJNSB_9not_fun_tINSB_10functional5actorINSM_9compositeIJNSM_27transparent_binary_operatorINSA_8equal_toIvEEEENSN_INSM_8argumentILj0EEEEENSM_5valueIyEEEEEEEEEEEE10hipError_tPvRmT3_T4_T5_T6_T7_T9_mT8_P12ihipStream_tbDpT10_ENKUlT_T0_E_clISt17integral_constantIbLb1EES1J_IbLb0EEEEDaS1F_S1G_EUlS1F_E_NS1_11comp_targetILNS1_3genE2ELNS1_11target_archE906ELNS1_3gpuE6ELNS1_3repE0EEENS1_30default_config_static_selectorELNS0_4arch9wavefront6targetE0EEEvT1_.numbered_sgpr, 0
	.set _ZN7rocprim17ROCPRIM_400000_NS6detail17trampoline_kernelINS0_14default_configENS1_25partition_config_selectorILNS1_17partition_subalgoE6EyNS0_10empty_typeEbEEZZNS1_14partition_implILS5_6ELb0ES3_mN6thrust23THRUST_200600_302600_NS6detail15normal_iteratorINSA_10device_ptrIyEEEEPS6_SG_NS0_5tupleIJSF_S6_EEENSH_IJSG_SG_EEES6_PlJNSB_9not_fun_tINSB_10functional5actorINSM_9compositeIJNSM_27transparent_binary_operatorINSA_8equal_toIvEEEENSN_INSM_8argumentILj0EEEEENSM_5valueIyEEEEEEEEEEEE10hipError_tPvRmT3_T4_T5_T6_T7_T9_mT8_P12ihipStream_tbDpT10_ENKUlT_T0_E_clISt17integral_constantIbLb1EES1J_IbLb0EEEEDaS1F_S1G_EUlS1F_E_NS1_11comp_targetILNS1_3genE2ELNS1_11target_archE906ELNS1_3gpuE6ELNS1_3repE0EEENS1_30default_config_static_selectorELNS0_4arch9wavefront6targetE0EEEvT1_.num_named_barrier, 0
	.set _ZN7rocprim17ROCPRIM_400000_NS6detail17trampoline_kernelINS0_14default_configENS1_25partition_config_selectorILNS1_17partition_subalgoE6EyNS0_10empty_typeEbEEZZNS1_14partition_implILS5_6ELb0ES3_mN6thrust23THRUST_200600_302600_NS6detail15normal_iteratorINSA_10device_ptrIyEEEEPS6_SG_NS0_5tupleIJSF_S6_EEENSH_IJSG_SG_EEES6_PlJNSB_9not_fun_tINSB_10functional5actorINSM_9compositeIJNSM_27transparent_binary_operatorINSA_8equal_toIvEEEENSN_INSM_8argumentILj0EEEEENSM_5valueIyEEEEEEEEEEEE10hipError_tPvRmT3_T4_T5_T6_T7_T9_mT8_P12ihipStream_tbDpT10_ENKUlT_T0_E_clISt17integral_constantIbLb1EES1J_IbLb0EEEEDaS1F_S1G_EUlS1F_E_NS1_11comp_targetILNS1_3genE2ELNS1_11target_archE906ELNS1_3gpuE6ELNS1_3repE0EEENS1_30default_config_static_selectorELNS0_4arch9wavefront6targetE0EEEvT1_.private_seg_size, 0
	.set _ZN7rocprim17ROCPRIM_400000_NS6detail17trampoline_kernelINS0_14default_configENS1_25partition_config_selectorILNS1_17partition_subalgoE6EyNS0_10empty_typeEbEEZZNS1_14partition_implILS5_6ELb0ES3_mN6thrust23THRUST_200600_302600_NS6detail15normal_iteratorINSA_10device_ptrIyEEEEPS6_SG_NS0_5tupleIJSF_S6_EEENSH_IJSG_SG_EEES6_PlJNSB_9not_fun_tINSB_10functional5actorINSM_9compositeIJNSM_27transparent_binary_operatorINSA_8equal_toIvEEEENSN_INSM_8argumentILj0EEEEENSM_5valueIyEEEEEEEEEEEE10hipError_tPvRmT3_T4_T5_T6_T7_T9_mT8_P12ihipStream_tbDpT10_ENKUlT_T0_E_clISt17integral_constantIbLb1EES1J_IbLb0EEEEDaS1F_S1G_EUlS1F_E_NS1_11comp_targetILNS1_3genE2ELNS1_11target_archE906ELNS1_3gpuE6ELNS1_3repE0EEENS1_30default_config_static_selectorELNS0_4arch9wavefront6targetE0EEEvT1_.uses_vcc, 0
	.set _ZN7rocprim17ROCPRIM_400000_NS6detail17trampoline_kernelINS0_14default_configENS1_25partition_config_selectorILNS1_17partition_subalgoE6EyNS0_10empty_typeEbEEZZNS1_14partition_implILS5_6ELb0ES3_mN6thrust23THRUST_200600_302600_NS6detail15normal_iteratorINSA_10device_ptrIyEEEEPS6_SG_NS0_5tupleIJSF_S6_EEENSH_IJSG_SG_EEES6_PlJNSB_9not_fun_tINSB_10functional5actorINSM_9compositeIJNSM_27transparent_binary_operatorINSA_8equal_toIvEEEENSN_INSM_8argumentILj0EEEEENSM_5valueIyEEEEEEEEEEEE10hipError_tPvRmT3_T4_T5_T6_T7_T9_mT8_P12ihipStream_tbDpT10_ENKUlT_T0_E_clISt17integral_constantIbLb1EES1J_IbLb0EEEEDaS1F_S1G_EUlS1F_E_NS1_11comp_targetILNS1_3genE2ELNS1_11target_archE906ELNS1_3gpuE6ELNS1_3repE0EEENS1_30default_config_static_selectorELNS0_4arch9wavefront6targetE0EEEvT1_.uses_flat_scratch, 0
	.set _ZN7rocprim17ROCPRIM_400000_NS6detail17trampoline_kernelINS0_14default_configENS1_25partition_config_selectorILNS1_17partition_subalgoE6EyNS0_10empty_typeEbEEZZNS1_14partition_implILS5_6ELb0ES3_mN6thrust23THRUST_200600_302600_NS6detail15normal_iteratorINSA_10device_ptrIyEEEEPS6_SG_NS0_5tupleIJSF_S6_EEENSH_IJSG_SG_EEES6_PlJNSB_9not_fun_tINSB_10functional5actorINSM_9compositeIJNSM_27transparent_binary_operatorINSA_8equal_toIvEEEENSN_INSM_8argumentILj0EEEEENSM_5valueIyEEEEEEEEEEEE10hipError_tPvRmT3_T4_T5_T6_T7_T9_mT8_P12ihipStream_tbDpT10_ENKUlT_T0_E_clISt17integral_constantIbLb1EES1J_IbLb0EEEEDaS1F_S1G_EUlS1F_E_NS1_11comp_targetILNS1_3genE2ELNS1_11target_archE906ELNS1_3gpuE6ELNS1_3repE0EEENS1_30default_config_static_selectorELNS0_4arch9wavefront6targetE0EEEvT1_.has_dyn_sized_stack, 0
	.set _ZN7rocprim17ROCPRIM_400000_NS6detail17trampoline_kernelINS0_14default_configENS1_25partition_config_selectorILNS1_17partition_subalgoE6EyNS0_10empty_typeEbEEZZNS1_14partition_implILS5_6ELb0ES3_mN6thrust23THRUST_200600_302600_NS6detail15normal_iteratorINSA_10device_ptrIyEEEEPS6_SG_NS0_5tupleIJSF_S6_EEENSH_IJSG_SG_EEES6_PlJNSB_9not_fun_tINSB_10functional5actorINSM_9compositeIJNSM_27transparent_binary_operatorINSA_8equal_toIvEEEENSN_INSM_8argumentILj0EEEEENSM_5valueIyEEEEEEEEEEEE10hipError_tPvRmT3_T4_T5_T6_T7_T9_mT8_P12ihipStream_tbDpT10_ENKUlT_T0_E_clISt17integral_constantIbLb1EES1J_IbLb0EEEEDaS1F_S1G_EUlS1F_E_NS1_11comp_targetILNS1_3genE2ELNS1_11target_archE906ELNS1_3gpuE6ELNS1_3repE0EEENS1_30default_config_static_selectorELNS0_4arch9wavefront6targetE0EEEvT1_.has_recursion, 0
	.set _ZN7rocprim17ROCPRIM_400000_NS6detail17trampoline_kernelINS0_14default_configENS1_25partition_config_selectorILNS1_17partition_subalgoE6EyNS0_10empty_typeEbEEZZNS1_14partition_implILS5_6ELb0ES3_mN6thrust23THRUST_200600_302600_NS6detail15normal_iteratorINSA_10device_ptrIyEEEEPS6_SG_NS0_5tupleIJSF_S6_EEENSH_IJSG_SG_EEES6_PlJNSB_9not_fun_tINSB_10functional5actorINSM_9compositeIJNSM_27transparent_binary_operatorINSA_8equal_toIvEEEENSN_INSM_8argumentILj0EEEEENSM_5valueIyEEEEEEEEEEEE10hipError_tPvRmT3_T4_T5_T6_T7_T9_mT8_P12ihipStream_tbDpT10_ENKUlT_T0_E_clISt17integral_constantIbLb1EES1J_IbLb0EEEEDaS1F_S1G_EUlS1F_E_NS1_11comp_targetILNS1_3genE2ELNS1_11target_archE906ELNS1_3gpuE6ELNS1_3repE0EEENS1_30default_config_static_selectorELNS0_4arch9wavefront6targetE0EEEvT1_.has_indirect_call, 0
	.section	.AMDGPU.csdata,"",@progbits
; Kernel info:
; codeLenInByte = 0
; TotalNumSgprs: 0
; NumVgprs: 0
; ScratchSize: 0
; MemoryBound: 0
; FloatMode: 240
; IeeeMode: 1
; LDSByteSize: 0 bytes/workgroup (compile time only)
; SGPRBlocks: 0
; VGPRBlocks: 0
; NumSGPRsForWavesPerEU: 1
; NumVGPRsForWavesPerEU: 1
; Occupancy: 16
; WaveLimiterHint : 0
; COMPUTE_PGM_RSRC2:SCRATCH_EN: 0
; COMPUTE_PGM_RSRC2:USER_SGPR: 2
; COMPUTE_PGM_RSRC2:TRAP_HANDLER: 0
; COMPUTE_PGM_RSRC2:TGID_X_EN: 1
; COMPUTE_PGM_RSRC2:TGID_Y_EN: 0
; COMPUTE_PGM_RSRC2:TGID_Z_EN: 0
; COMPUTE_PGM_RSRC2:TIDIG_COMP_CNT: 0
	.section	.text._ZN7rocprim17ROCPRIM_400000_NS6detail17trampoline_kernelINS0_14default_configENS1_25partition_config_selectorILNS1_17partition_subalgoE6EyNS0_10empty_typeEbEEZZNS1_14partition_implILS5_6ELb0ES3_mN6thrust23THRUST_200600_302600_NS6detail15normal_iteratorINSA_10device_ptrIyEEEEPS6_SG_NS0_5tupleIJSF_S6_EEENSH_IJSG_SG_EEES6_PlJNSB_9not_fun_tINSB_10functional5actorINSM_9compositeIJNSM_27transparent_binary_operatorINSA_8equal_toIvEEEENSN_INSM_8argumentILj0EEEEENSM_5valueIyEEEEEEEEEEEE10hipError_tPvRmT3_T4_T5_T6_T7_T9_mT8_P12ihipStream_tbDpT10_ENKUlT_T0_E_clISt17integral_constantIbLb1EES1J_IbLb0EEEEDaS1F_S1G_EUlS1F_E_NS1_11comp_targetILNS1_3genE10ELNS1_11target_archE1200ELNS1_3gpuE4ELNS1_3repE0EEENS1_30default_config_static_selectorELNS0_4arch9wavefront6targetE0EEEvT1_,"axG",@progbits,_ZN7rocprim17ROCPRIM_400000_NS6detail17trampoline_kernelINS0_14default_configENS1_25partition_config_selectorILNS1_17partition_subalgoE6EyNS0_10empty_typeEbEEZZNS1_14partition_implILS5_6ELb0ES3_mN6thrust23THRUST_200600_302600_NS6detail15normal_iteratorINSA_10device_ptrIyEEEEPS6_SG_NS0_5tupleIJSF_S6_EEENSH_IJSG_SG_EEES6_PlJNSB_9not_fun_tINSB_10functional5actorINSM_9compositeIJNSM_27transparent_binary_operatorINSA_8equal_toIvEEEENSN_INSM_8argumentILj0EEEEENSM_5valueIyEEEEEEEEEEEE10hipError_tPvRmT3_T4_T5_T6_T7_T9_mT8_P12ihipStream_tbDpT10_ENKUlT_T0_E_clISt17integral_constantIbLb1EES1J_IbLb0EEEEDaS1F_S1G_EUlS1F_E_NS1_11comp_targetILNS1_3genE10ELNS1_11target_archE1200ELNS1_3gpuE4ELNS1_3repE0EEENS1_30default_config_static_selectorELNS0_4arch9wavefront6targetE0EEEvT1_,comdat
	.protected	_ZN7rocprim17ROCPRIM_400000_NS6detail17trampoline_kernelINS0_14default_configENS1_25partition_config_selectorILNS1_17partition_subalgoE6EyNS0_10empty_typeEbEEZZNS1_14partition_implILS5_6ELb0ES3_mN6thrust23THRUST_200600_302600_NS6detail15normal_iteratorINSA_10device_ptrIyEEEEPS6_SG_NS0_5tupleIJSF_S6_EEENSH_IJSG_SG_EEES6_PlJNSB_9not_fun_tINSB_10functional5actorINSM_9compositeIJNSM_27transparent_binary_operatorINSA_8equal_toIvEEEENSN_INSM_8argumentILj0EEEEENSM_5valueIyEEEEEEEEEEEE10hipError_tPvRmT3_T4_T5_T6_T7_T9_mT8_P12ihipStream_tbDpT10_ENKUlT_T0_E_clISt17integral_constantIbLb1EES1J_IbLb0EEEEDaS1F_S1G_EUlS1F_E_NS1_11comp_targetILNS1_3genE10ELNS1_11target_archE1200ELNS1_3gpuE4ELNS1_3repE0EEENS1_30default_config_static_selectorELNS0_4arch9wavefront6targetE0EEEvT1_ ; -- Begin function _ZN7rocprim17ROCPRIM_400000_NS6detail17trampoline_kernelINS0_14default_configENS1_25partition_config_selectorILNS1_17partition_subalgoE6EyNS0_10empty_typeEbEEZZNS1_14partition_implILS5_6ELb0ES3_mN6thrust23THRUST_200600_302600_NS6detail15normal_iteratorINSA_10device_ptrIyEEEEPS6_SG_NS0_5tupleIJSF_S6_EEENSH_IJSG_SG_EEES6_PlJNSB_9not_fun_tINSB_10functional5actorINSM_9compositeIJNSM_27transparent_binary_operatorINSA_8equal_toIvEEEENSN_INSM_8argumentILj0EEEEENSM_5valueIyEEEEEEEEEEEE10hipError_tPvRmT3_T4_T5_T6_T7_T9_mT8_P12ihipStream_tbDpT10_ENKUlT_T0_E_clISt17integral_constantIbLb1EES1J_IbLb0EEEEDaS1F_S1G_EUlS1F_E_NS1_11comp_targetILNS1_3genE10ELNS1_11target_archE1200ELNS1_3gpuE4ELNS1_3repE0EEENS1_30default_config_static_selectorELNS0_4arch9wavefront6targetE0EEEvT1_
	.globl	_ZN7rocprim17ROCPRIM_400000_NS6detail17trampoline_kernelINS0_14default_configENS1_25partition_config_selectorILNS1_17partition_subalgoE6EyNS0_10empty_typeEbEEZZNS1_14partition_implILS5_6ELb0ES3_mN6thrust23THRUST_200600_302600_NS6detail15normal_iteratorINSA_10device_ptrIyEEEEPS6_SG_NS0_5tupleIJSF_S6_EEENSH_IJSG_SG_EEES6_PlJNSB_9not_fun_tINSB_10functional5actorINSM_9compositeIJNSM_27transparent_binary_operatorINSA_8equal_toIvEEEENSN_INSM_8argumentILj0EEEEENSM_5valueIyEEEEEEEEEEEE10hipError_tPvRmT3_T4_T5_T6_T7_T9_mT8_P12ihipStream_tbDpT10_ENKUlT_T0_E_clISt17integral_constantIbLb1EES1J_IbLb0EEEEDaS1F_S1G_EUlS1F_E_NS1_11comp_targetILNS1_3genE10ELNS1_11target_archE1200ELNS1_3gpuE4ELNS1_3repE0EEENS1_30default_config_static_selectorELNS0_4arch9wavefront6targetE0EEEvT1_
	.p2align	8
	.type	_ZN7rocprim17ROCPRIM_400000_NS6detail17trampoline_kernelINS0_14default_configENS1_25partition_config_selectorILNS1_17partition_subalgoE6EyNS0_10empty_typeEbEEZZNS1_14partition_implILS5_6ELb0ES3_mN6thrust23THRUST_200600_302600_NS6detail15normal_iteratorINSA_10device_ptrIyEEEEPS6_SG_NS0_5tupleIJSF_S6_EEENSH_IJSG_SG_EEES6_PlJNSB_9not_fun_tINSB_10functional5actorINSM_9compositeIJNSM_27transparent_binary_operatorINSA_8equal_toIvEEEENSN_INSM_8argumentILj0EEEEENSM_5valueIyEEEEEEEEEEEE10hipError_tPvRmT3_T4_T5_T6_T7_T9_mT8_P12ihipStream_tbDpT10_ENKUlT_T0_E_clISt17integral_constantIbLb1EES1J_IbLb0EEEEDaS1F_S1G_EUlS1F_E_NS1_11comp_targetILNS1_3genE10ELNS1_11target_archE1200ELNS1_3gpuE4ELNS1_3repE0EEENS1_30default_config_static_selectorELNS0_4arch9wavefront6targetE0EEEvT1_,@function
_ZN7rocprim17ROCPRIM_400000_NS6detail17trampoline_kernelINS0_14default_configENS1_25partition_config_selectorILNS1_17partition_subalgoE6EyNS0_10empty_typeEbEEZZNS1_14partition_implILS5_6ELb0ES3_mN6thrust23THRUST_200600_302600_NS6detail15normal_iteratorINSA_10device_ptrIyEEEEPS6_SG_NS0_5tupleIJSF_S6_EEENSH_IJSG_SG_EEES6_PlJNSB_9not_fun_tINSB_10functional5actorINSM_9compositeIJNSM_27transparent_binary_operatorINSA_8equal_toIvEEEENSN_INSM_8argumentILj0EEEEENSM_5valueIyEEEEEEEEEEEE10hipError_tPvRmT3_T4_T5_T6_T7_T9_mT8_P12ihipStream_tbDpT10_ENKUlT_T0_E_clISt17integral_constantIbLb1EES1J_IbLb0EEEEDaS1F_S1G_EUlS1F_E_NS1_11comp_targetILNS1_3genE10ELNS1_11target_archE1200ELNS1_3gpuE4ELNS1_3repE0EEENS1_30default_config_static_selectorELNS0_4arch9wavefront6targetE0EEEvT1_: ; @_ZN7rocprim17ROCPRIM_400000_NS6detail17trampoline_kernelINS0_14default_configENS1_25partition_config_selectorILNS1_17partition_subalgoE6EyNS0_10empty_typeEbEEZZNS1_14partition_implILS5_6ELb0ES3_mN6thrust23THRUST_200600_302600_NS6detail15normal_iteratorINSA_10device_ptrIyEEEEPS6_SG_NS0_5tupleIJSF_S6_EEENSH_IJSG_SG_EEES6_PlJNSB_9not_fun_tINSB_10functional5actorINSM_9compositeIJNSM_27transparent_binary_operatorINSA_8equal_toIvEEEENSN_INSM_8argumentILj0EEEEENSM_5valueIyEEEEEEEEEEEE10hipError_tPvRmT3_T4_T5_T6_T7_T9_mT8_P12ihipStream_tbDpT10_ENKUlT_T0_E_clISt17integral_constantIbLb1EES1J_IbLb0EEEEDaS1F_S1G_EUlS1F_E_NS1_11comp_targetILNS1_3genE10ELNS1_11target_archE1200ELNS1_3gpuE4ELNS1_3repE0EEENS1_30default_config_static_selectorELNS0_4arch9wavefront6targetE0EEEvT1_
; %bb.0:
	s_endpgm
	.section	.rodata,"a",@progbits
	.p2align	6, 0x0
	.amdhsa_kernel _ZN7rocprim17ROCPRIM_400000_NS6detail17trampoline_kernelINS0_14default_configENS1_25partition_config_selectorILNS1_17partition_subalgoE6EyNS0_10empty_typeEbEEZZNS1_14partition_implILS5_6ELb0ES3_mN6thrust23THRUST_200600_302600_NS6detail15normal_iteratorINSA_10device_ptrIyEEEEPS6_SG_NS0_5tupleIJSF_S6_EEENSH_IJSG_SG_EEES6_PlJNSB_9not_fun_tINSB_10functional5actorINSM_9compositeIJNSM_27transparent_binary_operatorINSA_8equal_toIvEEEENSN_INSM_8argumentILj0EEEEENSM_5valueIyEEEEEEEEEEEE10hipError_tPvRmT3_T4_T5_T6_T7_T9_mT8_P12ihipStream_tbDpT10_ENKUlT_T0_E_clISt17integral_constantIbLb1EES1J_IbLb0EEEEDaS1F_S1G_EUlS1F_E_NS1_11comp_targetILNS1_3genE10ELNS1_11target_archE1200ELNS1_3gpuE4ELNS1_3repE0EEENS1_30default_config_static_selectorELNS0_4arch9wavefront6targetE0EEEvT1_
		.amdhsa_group_segment_fixed_size 0
		.amdhsa_private_segment_fixed_size 0
		.amdhsa_kernarg_size 128
		.amdhsa_user_sgpr_count 2
		.amdhsa_user_sgpr_dispatch_ptr 0
		.amdhsa_user_sgpr_queue_ptr 0
		.amdhsa_user_sgpr_kernarg_segment_ptr 1
		.amdhsa_user_sgpr_dispatch_id 0
		.amdhsa_user_sgpr_private_segment_size 0
		.amdhsa_wavefront_size32 1
		.amdhsa_uses_dynamic_stack 0
		.amdhsa_enable_private_segment 0
		.amdhsa_system_sgpr_workgroup_id_x 1
		.amdhsa_system_sgpr_workgroup_id_y 0
		.amdhsa_system_sgpr_workgroup_id_z 0
		.amdhsa_system_sgpr_workgroup_info 0
		.amdhsa_system_vgpr_workitem_id 0
		.amdhsa_next_free_vgpr 1
		.amdhsa_next_free_sgpr 1
		.amdhsa_reserve_vcc 0
		.amdhsa_float_round_mode_32 0
		.amdhsa_float_round_mode_16_64 0
		.amdhsa_float_denorm_mode_32 3
		.amdhsa_float_denorm_mode_16_64 3
		.amdhsa_fp16_overflow 0
		.amdhsa_workgroup_processor_mode 1
		.amdhsa_memory_ordered 1
		.amdhsa_forward_progress 1
		.amdhsa_inst_pref_size 1
		.amdhsa_round_robin_scheduling 0
		.amdhsa_exception_fp_ieee_invalid_op 0
		.amdhsa_exception_fp_denorm_src 0
		.amdhsa_exception_fp_ieee_div_zero 0
		.amdhsa_exception_fp_ieee_overflow 0
		.amdhsa_exception_fp_ieee_underflow 0
		.amdhsa_exception_fp_ieee_inexact 0
		.amdhsa_exception_int_div_zero 0
	.end_amdhsa_kernel
	.section	.text._ZN7rocprim17ROCPRIM_400000_NS6detail17trampoline_kernelINS0_14default_configENS1_25partition_config_selectorILNS1_17partition_subalgoE6EyNS0_10empty_typeEbEEZZNS1_14partition_implILS5_6ELb0ES3_mN6thrust23THRUST_200600_302600_NS6detail15normal_iteratorINSA_10device_ptrIyEEEEPS6_SG_NS0_5tupleIJSF_S6_EEENSH_IJSG_SG_EEES6_PlJNSB_9not_fun_tINSB_10functional5actorINSM_9compositeIJNSM_27transparent_binary_operatorINSA_8equal_toIvEEEENSN_INSM_8argumentILj0EEEEENSM_5valueIyEEEEEEEEEEEE10hipError_tPvRmT3_T4_T5_T6_T7_T9_mT8_P12ihipStream_tbDpT10_ENKUlT_T0_E_clISt17integral_constantIbLb1EES1J_IbLb0EEEEDaS1F_S1G_EUlS1F_E_NS1_11comp_targetILNS1_3genE10ELNS1_11target_archE1200ELNS1_3gpuE4ELNS1_3repE0EEENS1_30default_config_static_selectorELNS0_4arch9wavefront6targetE0EEEvT1_,"axG",@progbits,_ZN7rocprim17ROCPRIM_400000_NS6detail17trampoline_kernelINS0_14default_configENS1_25partition_config_selectorILNS1_17partition_subalgoE6EyNS0_10empty_typeEbEEZZNS1_14partition_implILS5_6ELb0ES3_mN6thrust23THRUST_200600_302600_NS6detail15normal_iteratorINSA_10device_ptrIyEEEEPS6_SG_NS0_5tupleIJSF_S6_EEENSH_IJSG_SG_EEES6_PlJNSB_9not_fun_tINSB_10functional5actorINSM_9compositeIJNSM_27transparent_binary_operatorINSA_8equal_toIvEEEENSN_INSM_8argumentILj0EEEEENSM_5valueIyEEEEEEEEEEEE10hipError_tPvRmT3_T4_T5_T6_T7_T9_mT8_P12ihipStream_tbDpT10_ENKUlT_T0_E_clISt17integral_constantIbLb1EES1J_IbLb0EEEEDaS1F_S1G_EUlS1F_E_NS1_11comp_targetILNS1_3genE10ELNS1_11target_archE1200ELNS1_3gpuE4ELNS1_3repE0EEENS1_30default_config_static_selectorELNS0_4arch9wavefront6targetE0EEEvT1_,comdat
.Lfunc_end101:
	.size	_ZN7rocprim17ROCPRIM_400000_NS6detail17trampoline_kernelINS0_14default_configENS1_25partition_config_selectorILNS1_17partition_subalgoE6EyNS0_10empty_typeEbEEZZNS1_14partition_implILS5_6ELb0ES3_mN6thrust23THRUST_200600_302600_NS6detail15normal_iteratorINSA_10device_ptrIyEEEEPS6_SG_NS0_5tupleIJSF_S6_EEENSH_IJSG_SG_EEES6_PlJNSB_9not_fun_tINSB_10functional5actorINSM_9compositeIJNSM_27transparent_binary_operatorINSA_8equal_toIvEEEENSN_INSM_8argumentILj0EEEEENSM_5valueIyEEEEEEEEEEEE10hipError_tPvRmT3_T4_T5_T6_T7_T9_mT8_P12ihipStream_tbDpT10_ENKUlT_T0_E_clISt17integral_constantIbLb1EES1J_IbLb0EEEEDaS1F_S1G_EUlS1F_E_NS1_11comp_targetILNS1_3genE10ELNS1_11target_archE1200ELNS1_3gpuE4ELNS1_3repE0EEENS1_30default_config_static_selectorELNS0_4arch9wavefront6targetE0EEEvT1_, .Lfunc_end101-_ZN7rocprim17ROCPRIM_400000_NS6detail17trampoline_kernelINS0_14default_configENS1_25partition_config_selectorILNS1_17partition_subalgoE6EyNS0_10empty_typeEbEEZZNS1_14partition_implILS5_6ELb0ES3_mN6thrust23THRUST_200600_302600_NS6detail15normal_iteratorINSA_10device_ptrIyEEEEPS6_SG_NS0_5tupleIJSF_S6_EEENSH_IJSG_SG_EEES6_PlJNSB_9not_fun_tINSB_10functional5actorINSM_9compositeIJNSM_27transparent_binary_operatorINSA_8equal_toIvEEEENSN_INSM_8argumentILj0EEEEENSM_5valueIyEEEEEEEEEEEE10hipError_tPvRmT3_T4_T5_T6_T7_T9_mT8_P12ihipStream_tbDpT10_ENKUlT_T0_E_clISt17integral_constantIbLb1EES1J_IbLb0EEEEDaS1F_S1G_EUlS1F_E_NS1_11comp_targetILNS1_3genE10ELNS1_11target_archE1200ELNS1_3gpuE4ELNS1_3repE0EEENS1_30default_config_static_selectorELNS0_4arch9wavefront6targetE0EEEvT1_
                                        ; -- End function
	.set _ZN7rocprim17ROCPRIM_400000_NS6detail17trampoline_kernelINS0_14default_configENS1_25partition_config_selectorILNS1_17partition_subalgoE6EyNS0_10empty_typeEbEEZZNS1_14partition_implILS5_6ELb0ES3_mN6thrust23THRUST_200600_302600_NS6detail15normal_iteratorINSA_10device_ptrIyEEEEPS6_SG_NS0_5tupleIJSF_S6_EEENSH_IJSG_SG_EEES6_PlJNSB_9not_fun_tINSB_10functional5actorINSM_9compositeIJNSM_27transparent_binary_operatorINSA_8equal_toIvEEEENSN_INSM_8argumentILj0EEEEENSM_5valueIyEEEEEEEEEEEE10hipError_tPvRmT3_T4_T5_T6_T7_T9_mT8_P12ihipStream_tbDpT10_ENKUlT_T0_E_clISt17integral_constantIbLb1EES1J_IbLb0EEEEDaS1F_S1G_EUlS1F_E_NS1_11comp_targetILNS1_3genE10ELNS1_11target_archE1200ELNS1_3gpuE4ELNS1_3repE0EEENS1_30default_config_static_selectorELNS0_4arch9wavefront6targetE0EEEvT1_.num_vgpr, 0
	.set _ZN7rocprim17ROCPRIM_400000_NS6detail17trampoline_kernelINS0_14default_configENS1_25partition_config_selectorILNS1_17partition_subalgoE6EyNS0_10empty_typeEbEEZZNS1_14partition_implILS5_6ELb0ES3_mN6thrust23THRUST_200600_302600_NS6detail15normal_iteratorINSA_10device_ptrIyEEEEPS6_SG_NS0_5tupleIJSF_S6_EEENSH_IJSG_SG_EEES6_PlJNSB_9not_fun_tINSB_10functional5actorINSM_9compositeIJNSM_27transparent_binary_operatorINSA_8equal_toIvEEEENSN_INSM_8argumentILj0EEEEENSM_5valueIyEEEEEEEEEEEE10hipError_tPvRmT3_T4_T5_T6_T7_T9_mT8_P12ihipStream_tbDpT10_ENKUlT_T0_E_clISt17integral_constantIbLb1EES1J_IbLb0EEEEDaS1F_S1G_EUlS1F_E_NS1_11comp_targetILNS1_3genE10ELNS1_11target_archE1200ELNS1_3gpuE4ELNS1_3repE0EEENS1_30default_config_static_selectorELNS0_4arch9wavefront6targetE0EEEvT1_.num_agpr, 0
	.set _ZN7rocprim17ROCPRIM_400000_NS6detail17trampoline_kernelINS0_14default_configENS1_25partition_config_selectorILNS1_17partition_subalgoE6EyNS0_10empty_typeEbEEZZNS1_14partition_implILS5_6ELb0ES3_mN6thrust23THRUST_200600_302600_NS6detail15normal_iteratorINSA_10device_ptrIyEEEEPS6_SG_NS0_5tupleIJSF_S6_EEENSH_IJSG_SG_EEES6_PlJNSB_9not_fun_tINSB_10functional5actorINSM_9compositeIJNSM_27transparent_binary_operatorINSA_8equal_toIvEEEENSN_INSM_8argumentILj0EEEEENSM_5valueIyEEEEEEEEEEEE10hipError_tPvRmT3_T4_T5_T6_T7_T9_mT8_P12ihipStream_tbDpT10_ENKUlT_T0_E_clISt17integral_constantIbLb1EES1J_IbLb0EEEEDaS1F_S1G_EUlS1F_E_NS1_11comp_targetILNS1_3genE10ELNS1_11target_archE1200ELNS1_3gpuE4ELNS1_3repE0EEENS1_30default_config_static_selectorELNS0_4arch9wavefront6targetE0EEEvT1_.numbered_sgpr, 0
	.set _ZN7rocprim17ROCPRIM_400000_NS6detail17trampoline_kernelINS0_14default_configENS1_25partition_config_selectorILNS1_17partition_subalgoE6EyNS0_10empty_typeEbEEZZNS1_14partition_implILS5_6ELb0ES3_mN6thrust23THRUST_200600_302600_NS6detail15normal_iteratorINSA_10device_ptrIyEEEEPS6_SG_NS0_5tupleIJSF_S6_EEENSH_IJSG_SG_EEES6_PlJNSB_9not_fun_tINSB_10functional5actorINSM_9compositeIJNSM_27transparent_binary_operatorINSA_8equal_toIvEEEENSN_INSM_8argumentILj0EEEEENSM_5valueIyEEEEEEEEEEEE10hipError_tPvRmT3_T4_T5_T6_T7_T9_mT8_P12ihipStream_tbDpT10_ENKUlT_T0_E_clISt17integral_constantIbLb1EES1J_IbLb0EEEEDaS1F_S1G_EUlS1F_E_NS1_11comp_targetILNS1_3genE10ELNS1_11target_archE1200ELNS1_3gpuE4ELNS1_3repE0EEENS1_30default_config_static_selectorELNS0_4arch9wavefront6targetE0EEEvT1_.num_named_barrier, 0
	.set _ZN7rocprim17ROCPRIM_400000_NS6detail17trampoline_kernelINS0_14default_configENS1_25partition_config_selectorILNS1_17partition_subalgoE6EyNS0_10empty_typeEbEEZZNS1_14partition_implILS5_6ELb0ES3_mN6thrust23THRUST_200600_302600_NS6detail15normal_iteratorINSA_10device_ptrIyEEEEPS6_SG_NS0_5tupleIJSF_S6_EEENSH_IJSG_SG_EEES6_PlJNSB_9not_fun_tINSB_10functional5actorINSM_9compositeIJNSM_27transparent_binary_operatorINSA_8equal_toIvEEEENSN_INSM_8argumentILj0EEEEENSM_5valueIyEEEEEEEEEEEE10hipError_tPvRmT3_T4_T5_T6_T7_T9_mT8_P12ihipStream_tbDpT10_ENKUlT_T0_E_clISt17integral_constantIbLb1EES1J_IbLb0EEEEDaS1F_S1G_EUlS1F_E_NS1_11comp_targetILNS1_3genE10ELNS1_11target_archE1200ELNS1_3gpuE4ELNS1_3repE0EEENS1_30default_config_static_selectorELNS0_4arch9wavefront6targetE0EEEvT1_.private_seg_size, 0
	.set _ZN7rocprim17ROCPRIM_400000_NS6detail17trampoline_kernelINS0_14default_configENS1_25partition_config_selectorILNS1_17partition_subalgoE6EyNS0_10empty_typeEbEEZZNS1_14partition_implILS5_6ELb0ES3_mN6thrust23THRUST_200600_302600_NS6detail15normal_iteratorINSA_10device_ptrIyEEEEPS6_SG_NS0_5tupleIJSF_S6_EEENSH_IJSG_SG_EEES6_PlJNSB_9not_fun_tINSB_10functional5actorINSM_9compositeIJNSM_27transparent_binary_operatorINSA_8equal_toIvEEEENSN_INSM_8argumentILj0EEEEENSM_5valueIyEEEEEEEEEEEE10hipError_tPvRmT3_T4_T5_T6_T7_T9_mT8_P12ihipStream_tbDpT10_ENKUlT_T0_E_clISt17integral_constantIbLb1EES1J_IbLb0EEEEDaS1F_S1G_EUlS1F_E_NS1_11comp_targetILNS1_3genE10ELNS1_11target_archE1200ELNS1_3gpuE4ELNS1_3repE0EEENS1_30default_config_static_selectorELNS0_4arch9wavefront6targetE0EEEvT1_.uses_vcc, 0
	.set _ZN7rocprim17ROCPRIM_400000_NS6detail17trampoline_kernelINS0_14default_configENS1_25partition_config_selectorILNS1_17partition_subalgoE6EyNS0_10empty_typeEbEEZZNS1_14partition_implILS5_6ELb0ES3_mN6thrust23THRUST_200600_302600_NS6detail15normal_iteratorINSA_10device_ptrIyEEEEPS6_SG_NS0_5tupleIJSF_S6_EEENSH_IJSG_SG_EEES6_PlJNSB_9not_fun_tINSB_10functional5actorINSM_9compositeIJNSM_27transparent_binary_operatorINSA_8equal_toIvEEEENSN_INSM_8argumentILj0EEEEENSM_5valueIyEEEEEEEEEEEE10hipError_tPvRmT3_T4_T5_T6_T7_T9_mT8_P12ihipStream_tbDpT10_ENKUlT_T0_E_clISt17integral_constantIbLb1EES1J_IbLb0EEEEDaS1F_S1G_EUlS1F_E_NS1_11comp_targetILNS1_3genE10ELNS1_11target_archE1200ELNS1_3gpuE4ELNS1_3repE0EEENS1_30default_config_static_selectorELNS0_4arch9wavefront6targetE0EEEvT1_.uses_flat_scratch, 0
	.set _ZN7rocprim17ROCPRIM_400000_NS6detail17trampoline_kernelINS0_14default_configENS1_25partition_config_selectorILNS1_17partition_subalgoE6EyNS0_10empty_typeEbEEZZNS1_14partition_implILS5_6ELb0ES3_mN6thrust23THRUST_200600_302600_NS6detail15normal_iteratorINSA_10device_ptrIyEEEEPS6_SG_NS0_5tupleIJSF_S6_EEENSH_IJSG_SG_EEES6_PlJNSB_9not_fun_tINSB_10functional5actorINSM_9compositeIJNSM_27transparent_binary_operatorINSA_8equal_toIvEEEENSN_INSM_8argumentILj0EEEEENSM_5valueIyEEEEEEEEEEEE10hipError_tPvRmT3_T4_T5_T6_T7_T9_mT8_P12ihipStream_tbDpT10_ENKUlT_T0_E_clISt17integral_constantIbLb1EES1J_IbLb0EEEEDaS1F_S1G_EUlS1F_E_NS1_11comp_targetILNS1_3genE10ELNS1_11target_archE1200ELNS1_3gpuE4ELNS1_3repE0EEENS1_30default_config_static_selectorELNS0_4arch9wavefront6targetE0EEEvT1_.has_dyn_sized_stack, 0
	.set _ZN7rocprim17ROCPRIM_400000_NS6detail17trampoline_kernelINS0_14default_configENS1_25partition_config_selectorILNS1_17partition_subalgoE6EyNS0_10empty_typeEbEEZZNS1_14partition_implILS5_6ELb0ES3_mN6thrust23THRUST_200600_302600_NS6detail15normal_iteratorINSA_10device_ptrIyEEEEPS6_SG_NS0_5tupleIJSF_S6_EEENSH_IJSG_SG_EEES6_PlJNSB_9not_fun_tINSB_10functional5actorINSM_9compositeIJNSM_27transparent_binary_operatorINSA_8equal_toIvEEEENSN_INSM_8argumentILj0EEEEENSM_5valueIyEEEEEEEEEEEE10hipError_tPvRmT3_T4_T5_T6_T7_T9_mT8_P12ihipStream_tbDpT10_ENKUlT_T0_E_clISt17integral_constantIbLb1EES1J_IbLb0EEEEDaS1F_S1G_EUlS1F_E_NS1_11comp_targetILNS1_3genE10ELNS1_11target_archE1200ELNS1_3gpuE4ELNS1_3repE0EEENS1_30default_config_static_selectorELNS0_4arch9wavefront6targetE0EEEvT1_.has_recursion, 0
	.set _ZN7rocprim17ROCPRIM_400000_NS6detail17trampoline_kernelINS0_14default_configENS1_25partition_config_selectorILNS1_17partition_subalgoE6EyNS0_10empty_typeEbEEZZNS1_14partition_implILS5_6ELb0ES3_mN6thrust23THRUST_200600_302600_NS6detail15normal_iteratorINSA_10device_ptrIyEEEEPS6_SG_NS0_5tupleIJSF_S6_EEENSH_IJSG_SG_EEES6_PlJNSB_9not_fun_tINSB_10functional5actorINSM_9compositeIJNSM_27transparent_binary_operatorINSA_8equal_toIvEEEENSN_INSM_8argumentILj0EEEEENSM_5valueIyEEEEEEEEEEEE10hipError_tPvRmT3_T4_T5_T6_T7_T9_mT8_P12ihipStream_tbDpT10_ENKUlT_T0_E_clISt17integral_constantIbLb1EES1J_IbLb0EEEEDaS1F_S1G_EUlS1F_E_NS1_11comp_targetILNS1_3genE10ELNS1_11target_archE1200ELNS1_3gpuE4ELNS1_3repE0EEENS1_30default_config_static_selectorELNS0_4arch9wavefront6targetE0EEEvT1_.has_indirect_call, 0
	.section	.AMDGPU.csdata,"",@progbits
; Kernel info:
; codeLenInByte = 4
; TotalNumSgprs: 0
; NumVgprs: 0
; ScratchSize: 0
; MemoryBound: 0
; FloatMode: 240
; IeeeMode: 1
; LDSByteSize: 0 bytes/workgroup (compile time only)
; SGPRBlocks: 0
; VGPRBlocks: 0
; NumSGPRsForWavesPerEU: 1
; NumVGPRsForWavesPerEU: 1
; Occupancy: 16
; WaveLimiterHint : 0
; COMPUTE_PGM_RSRC2:SCRATCH_EN: 0
; COMPUTE_PGM_RSRC2:USER_SGPR: 2
; COMPUTE_PGM_RSRC2:TRAP_HANDLER: 0
; COMPUTE_PGM_RSRC2:TGID_X_EN: 1
; COMPUTE_PGM_RSRC2:TGID_Y_EN: 0
; COMPUTE_PGM_RSRC2:TGID_Z_EN: 0
; COMPUTE_PGM_RSRC2:TIDIG_COMP_CNT: 0
	.section	.text._ZN7rocprim17ROCPRIM_400000_NS6detail17trampoline_kernelINS0_14default_configENS1_25partition_config_selectorILNS1_17partition_subalgoE6EyNS0_10empty_typeEbEEZZNS1_14partition_implILS5_6ELb0ES3_mN6thrust23THRUST_200600_302600_NS6detail15normal_iteratorINSA_10device_ptrIyEEEEPS6_SG_NS0_5tupleIJSF_S6_EEENSH_IJSG_SG_EEES6_PlJNSB_9not_fun_tINSB_10functional5actorINSM_9compositeIJNSM_27transparent_binary_operatorINSA_8equal_toIvEEEENSN_INSM_8argumentILj0EEEEENSM_5valueIyEEEEEEEEEEEE10hipError_tPvRmT3_T4_T5_T6_T7_T9_mT8_P12ihipStream_tbDpT10_ENKUlT_T0_E_clISt17integral_constantIbLb1EES1J_IbLb0EEEEDaS1F_S1G_EUlS1F_E_NS1_11comp_targetILNS1_3genE9ELNS1_11target_archE1100ELNS1_3gpuE3ELNS1_3repE0EEENS1_30default_config_static_selectorELNS0_4arch9wavefront6targetE0EEEvT1_,"axG",@progbits,_ZN7rocprim17ROCPRIM_400000_NS6detail17trampoline_kernelINS0_14default_configENS1_25partition_config_selectorILNS1_17partition_subalgoE6EyNS0_10empty_typeEbEEZZNS1_14partition_implILS5_6ELb0ES3_mN6thrust23THRUST_200600_302600_NS6detail15normal_iteratorINSA_10device_ptrIyEEEEPS6_SG_NS0_5tupleIJSF_S6_EEENSH_IJSG_SG_EEES6_PlJNSB_9not_fun_tINSB_10functional5actorINSM_9compositeIJNSM_27transparent_binary_operatorINSA_8equal_toIvEEEENSN_INSM_8argumentILj0EEEEENSM_5valueIyEEEEEEEEEEEE10hipError_tPvRmT3_T4_T5_T6_T7_T9_mT8_P12ihipStream_tbDpT10_ENKUlT_T0_E_clISt17integral_constantIbLb1EES1J_IbLb0EEEEDaS1F_S1G_EUlS1F_E_NS1_11comp_targetILNS1_3genE9ELNS1_11target_archE1100ELNS1_3gpuE3ELNS1_3repE0EEENS1_30default_config_static_selectorELNS0_4arch9wavefront6targetE0EEEvT1_,comdat
	.protected	_ZN7rocprim17ROCPRIM_400000_NS6detail17trampoline_kernelINS0_14default_configENS1_25partition_config_selectorILNS1_17partition_subalgoE6EyNS0_10empty_typeEbEEZZNS1_14partition_implILS5_6ELb0ES3_mN6thrust23THRUST_200600_302600_NS6detail15normal_iteratorINSA_10device_ptrIyEEEEPS6_SG_NS0_5tupleIJSF_S6_EEENSH_IJSG_SG_EEES6_PlJNSB_9not_fun_tINSB_10functional5actorINSM_9compositeIJNSM_27transparent_binary_operatorINSA_8equal_toIvEEEENSN_INSM_8argumentILj0EEEEENSM_5valueIyEEEEEEEEEEEE10hipError_tPvRmT3_T4_T5_T6_T7_T9_mT8_P12ihipStream_tbDpT10_ENKUlT_T0_E_clISt17integral_constantIbLb1EES1J_IbLb0EEEEDaS1F_S1G_EUlS1F_E_NS1_11comp_targetILNS1_3genE9ELNS1_11target_archE1100ELNS1_3gpuE3ELNS1_3repE0EEENS1_30default_config_static_selectorELNS0_4arch9wavefront6targetE0EEEvT1_ ; -- Begin function _ZN7rocprim17ROCPRIM_400000_NS6detail17trampoline_kernelINS0_14default_configENS1_25partition_config_selectorILNS1_17partition_subalgoE6EyNS0_10empty_typeEbEEZZNS1_14partition_implILS5_6ELb0ES3_mN6thrust23THRUST_200600_302600_NS6detail15normal_iteratorINSA_10device_ptrIyEEEEPS6_SG_NS0_5tupleIJSF_S6_EEENSH_IJSG_SG_EEES6_PlJNSB_9not_fun_tINSB_10functional5actorINSM_9compositeIJNSM_27transparent_binary_operatorINSA_8equal_toIvEEEENSN_INSM_8argumentILj0EEEEENSM_5valueIyEEEEEEEEEEEE10hipError_tPvRmT3_T4_T5_T6_T7_T9_mT8_P12ihipStream_tbDpT10_ENKUlT_T0_E_clISt17integral_constantIbLb1EES1J_IbLb0EEEEDaS1F_S1G_EUlS1F_E_NS1_11comp_targetILNS1_3genE9ELNS1_11target_archE1100ELNS1_3gpuE3ELNS1_3repE0EEENS1_30default_config_static_selectorELNS0_4arch9wavefront6targetE0EEEvT1_
	.globl	_ZN7rocprim17ROCPRIM_400000_NS6detail17trampoline_kernelINS0_14default_configENS1_25partition_config_selectorILNS1_17partition_subalgoE6EyNS0_10empty_typeEbEEZZNS1_14partition_implILS5_6ELb0ES3_mN6thrust23THRUST_200600_302600_NS6detail15normal_iteratorINSA_10device_ptrIyEEEEPS6_SG_NS0_5tupleIJSF_S6_EEENSH_IJSG_SG_EEES6_PlJNSB_9not_fun_tINSB_10functional5actorINSM_9compositeIJNSM_27transparent_binary_operatorINSA_8equal_toIvEEEENSN_INSM_8argumentILj0EEEEENSM_5valueIyEEEEEEEEEEEE10hipError_tPvRmT3_T4_T5_T6_T7_T9_mT8_P12ihipStream_tbDpT10_ENKUlT_T0_E_clISt17integral_constantIbLb1EES1J_IbLb0EEEEDaS1F_S1G_EUlS1F_E_NS1_11comp_targetILNS1_3genE9ELNS1_11target_archE1100ELNS1_3gpuE3ELNS1_3repE0EEENS1_30default_config_static_selectorELNS0_4arch9wavefront6targetE0EEEvT1_
	.p2align	8
	.type	_ZN7rocprim17ROCPRIM_400000_NS6detail17trampoline_kernelINS0_14default_configENS1_25partition_config_selectorILNS1_17partition_subalgoE6EyNS0_10empty_typeEbEEZZNS1_14partition_implILS5_6ELb0ES3_mN6thrust23THRUST_200600_302600_NS6detail15normal_iteratorINSA_10device_ptrIyEEEEPS6_SG_NS0_5tupleIJSF_S6_EEENSH_IJSG_SG_EEES6_PlJNSB_9not_fun_tINSB_10functional5actorINSM_9compositeIJNSM_27transparent_binary_operatorINSA_8equal_toIvEEEENSN_INSM_8argumentILj0EEEEENSM_5valueIyEEEEEEEEEEEE10hipError_tPvRmT3_T4_T5_T6_T7_T9_mT8_P12ihipStream_tbDpT10_ENKUlT_T0_E_clISt17integral_constantIbLb1EES1J_IbLb0EEEEDaS1F_S1G_EUlS1F_E_NS1_11comp_targetILNS1_3genE9ELNS1_11target_archE1100ELNS1_3gpuE3ELNS1_3repE0EEENS1_30default_config_static_selectorELNS0_4arch9wavefront6targetE0EEEvT1_,@function
_ZN7rocprim17ROCPRIM_400000_NS6detail17trampoline_kernelINS0_14default_configENS1_25partition_config_selectorILNS1_17partition_subalgoE6EyNS0_10empty_typeEbEEZZNS1_14partition_implILS5_6ELb0ES3_mN6thrust23THRUST_200600_302600_NS6detail15normal_iteratorINSA_10device_ptrIyEEEEPS6_SG_NS0_5tupleIJSF_S6_EEENSH_IJSG_SG_EEES6_PlJNSB_9not_fun_tINSB_10functional5actorINSM_9compositeIJNSM_27transparent_binary_operatorINSA_8equal_toIvEEEENSN_INSM_8argumentILj0EEEEENSM_5valueIyEEEEEEEEEEEE10hipError_tPvRmT3_T4_T5_T6_T7_T9_mT8_P12ihipStream_tbDpT10_ENKUlT_T0_E_clISt17integral_constantIbLb1EES1J_IbLb0EEEEDaS1F_S1G_EUlS1F_E_NS1_11comp_targetILNS1_3genE9ELNS1_11target_archE1100ELNS1_3gpuE3ELNS1_3repE0EEENS1_30default_config_static_selectorELNS0_4arch9wavefront6targetE0EEEvT1_: ; @_ZN7rocprim17ROCPRIM_400000_NS6detail17trampoline_kernelINS0_14default_configENS1_25partition_config_selectorILNS1_17partition_subalgoE6EyNS0_10empty_typeEbEEZZNS1_14partition_implILS5_6ELb0ES3_mN6thrust23THRUST_200600_302600_NS6detail15normal_iteratorINSA_10device_ptrIyEEEEPS6_SG_NS0_5tupleIJSF_S6_EEENSH_IJSG_SG_EEES6_PlJNSB_9not_fun_tINSB_10functional5actorINSM_9compositeIJNSM_27transparent_binary_operatorINSA_8equal_toIvEEEENSN_INSM_8argumentILj0EEEEENSM_5valueIyEEEEEEEEEEEE10hipError_tPvRmT3_T4_T5_T6_T7_T9_mT8_P12ihipStream_tbDpT10_ENKUlT_T0_E_clISt17integral_constantIbLb1EES1J_IbLb0EEEEDaS1F_S1G_EUlS1F_E_NS1_11comp_targetILNS1_3genE9ELNS1_11target_archE1100ELNS1_3gpuE3ELNS1_3repE0EEENS1_30default_config_static_selectorELNS0_4arch9wavefront6targetE0EEEvT1_
; %bb.0:
	.section	.rodata,"a",@progbits
	.p2align	6, 0x0
	.amdhsa_kernel _ZN7rocprim17ROCPRIM_400000_NS6detail17trampoline_kernelINS0_14default_configENS1_25partition_config_selectorILNS1_17partition_subalgoE6EyNS0_10empty_typeEbEEZZNS1_14partition_implILS5_6ELb0ES3_mN6thrust23THRUST_200600_302600_NS6detail15normal_iteratorINSA_10device_ptrIyEEEEPS6_SG_NS0_5tupleIJSF_S6_EEENSH_IJSG_SG_EEES6_PlJNSB_9not_fun_tINSB_10functional5actorINSM_9compositeIJNSM_27transparent_binary_operatorINSA_8equal_toIvEEEENSN_INSM_8argumentILj0EEEEENSM_5valueIyEEEEEEEEEEEE10hipError_tPvRmT3_T4_T5_T6_T7_T9_mT8_P12ihipStream_tbDpT10_ENKUlT_T0_E_clISt17integral_constantIbLb1EES1J_IbLb0EEEEDaS1F_S1G_EUlS1F_E_NS1_11comp_targetILNS1_3genE9ELNS1_11target_archE1100ELNS1_3gpuE3ELNS1_3repE0EEENS1_30default_config_static_selectorELNS0_4arch9wavefront6targetE0EEEvT1_
		.amdhsa_group_segment_fixed_size 0
		.amdhsa_private_segment_fixed_size 0
		.amdhsa_kernarg_size 128
		.amdhsa_user_sgpr_count 2
		.amdhsa_user_sgpr_dispatch_ptr 0
		.amdhsa_user_sgpr_queue_ptr 0
		.amdhsa_user_sgpr_kernarg_segment_ptr 1
		.amdhsa_user_sgpr_dispatch_id 0
		.amdhsa_user_sgpr_private_segment_size 0
		.amdhsa_wavefront_size32 1
		.amdhsa_uses_dynamic_stack 0
		.amdhsa_enable_private_segment 0
		.amdhsa_system_sgpr_workgroup_id_x 1
		.amdhsa_system_sgpr_workgroup_id_y 0
		.amdhsa_system_sgpr_workgroup_id_z 0
		.amdhsa_system_sgpr_workgroup_info 0
		.amdhsa_system_vgpr_workitem_id 0
		.amdhsa_next_free_vgpr 1
		.amdhsa_next_free_sgpr 1
		.amdhsa_reserve_vcc 0
		.amdhsa_float_round_mode_32 0
		.amdhsa_float_round_mode_16_64 0
		.amdhsa_float_denorm_mode_32 3
		.amdhsa_float_denorm_mode_16_64 3
		.amdhsa_fp16_overflow 0
		.amdhsa_workgroup_processor_mode 1
		.amdhsa_memory_ordered 1
		.amdhsa_forward_progress 1
		.amdhsa_inst_pref_size 0
		.amdhsa_round_robin_scheduling 0
		.amdhsa_exception_fp_ieee_invalid_op 0
		.amdhsa_exception_fp_denorm_src 0
		.amdhsa_exception_fp_ieee_div_zero 0
		.amdhsa_exception_fp_ieee_overflow 0
		.amdhsa_exception_fp_ieee_underflow 0
		.amdhsa_exception_fp_ieee_inexact 0
		.amdhsa_exception_int_div_zero 0
	.end_amdhsa_kernel
	.section	.text._ZN7rocprim17ROCPRIM_400000_NS6detail17trampoline_kernelINS0_14default_configENS1_25partition_config_selectorILNS1_17partition_subalgoE6EyNS0_10empty_typeEbEEZZNS1_14partition_implILS5_6ELb0ES3_mN6thrust23THRUST_200600_302600_NS6detail15normal_iteratorINSA_10device_ptrIyEEEEPS6_SG_NS0_5tupleIJSF_S6_EEENSH_IJSG_SG_EEES6_PlJNSB_9not_fun_tINSB_10functional5actorINSM_9compositeIJNSM_27transparent_binary_operatorINSA_8equal_toIvEEEENSN_INSM_8argumentILj0EEEEENSM_5valueIyEEEEEEEEEEEE10hipError_tPvRmT3_T4_T5_T6_T7_T9_mT8_P12ihipStream_tbDpT10_ENKUlT_T0_E_clISt17integral_constantIbLb1EES1J_IbLb0EEEEDaS1F_S1G_EUlS1F_E_NS1_11comp_targetILNS1_3genE9ELNS1_11target_archE1100ELNS1_3gpuE3ELNS1_3repE0EEENS1_30default_config_static_selectorELNS0_4arch9wavefront6targetE0EEEvT1_,"axG",@progbits,_ZN7rocprim17ROCPRIM_400000_NS6detail17trampoline_kernelINS0_14default_configENS1_25partition_config_selectorILNS1_17partition_subalgoE6EyNS0_10empty_typeEbEEZZNS1_14partition_implILS5_6ELb0ES3_mN6thrust23THRUST_200600_302600_NS6detail15normal_iteratorINSA_10device_ptrIyEEEEPS6_SG_NS0_5tupleIJSF_S6_EEENSH_IJSG_SG_EEES6_PlJNSB_9not_fun_tINSB_10functional5actorINSM_9compositeIJNSM_27transparent_binary_operatorINSA_8equal_toIvEEEENSN_INSM_8argumentILj0EEEEENSM_5valueIyEEEEEEEEEEEE10hipError_tPvRmT3_T4_T5_T6_T7_T9_mT8_P12ihipStream_tbDpT10_ENKUlT_T0_E_clISt17integral_constantIbLb1EES1J_IbLb0EEEEDaS1F_S1G_EUlS1F_E_NS1_11comp_targetILNS1_3genE9ELNS1_11target_archE1100ELNS1_3gpuE3ELNS1_3repE0EEENS1_30default_config_static_selectorELNS0_4arch9wavefront6targetE0EEEvT1_,comdat
.Lfunc_end102:
	.size	_ZN7rocprim17ROCPRIM_400000_NS6detail17trampoline_kernelINS0_14default_configENS1_25partition_config_selectorILNS1_17partition_subalgoE6EyNS0_10empty_typeEbEEZZNS1_14partition_implILS5_6ELb0ES3_mN6thrust23THRUST_200600_302600_NS6detail15normal_iteratorINSA_10device_ptrIyEEEEPS6_SG_NS0_5tupleIJSF_S6_EEENSH_IJSG_SG_EEES6_PlJNSB_9not_fun_tINSB_10functional5actorINSM_9compositeIJNSM_27transparent_binary_operatorINSA_8equal_toIvEEEENSN_INSM_8argumentILj0EEEEENSM_5valueIyEEEEEEEEEEEE10hipError_tPvRmT3_T4_T5_T6_T7_T9_mT8_P12ihipStream_tbDpT10_ENKUlT_T0_E_clISt17integral_constantIbLb1EES1J_IbLb0EEEEDaS1F_S1G_EUlS1F_E_NS1_11comp_targetILNS1_3genE9ELNS1_11target_archE1100ELNS1_3gpuE3ELNS1_3repE0EEENS1_30default_config_static_selectorELNS0_4arch9wavefront6targetE0EEEvT1_, .Lfunc_end102-_ZN7rocprim17ROCPRIM_400000_NS6detail17trampoline_kernelINS0_14default_configENS1_25partition_config_selectorILNS1_17partition_subalgoE6EyNS0_10empty_typeEbEEZZNS1_14partition_implILS5_6ELb0ES3_mN6thrust23THRUST_200600_302600_NS6detail15normal_iteratorINSA_10device_ptrIyEEEEPS6_SG_NS0_5tupleIJSF_S6_EEENSH_IJSG_SG_EEES6_PlJNSB_9not_fun_tINSB_10functional5actorINSM_9compositeIJNSM_27transparent_binary_operatorINSA_8equal_toIvEEEENSN_INSM_8argumentILj0EEEEENSM_5valueIyEEEEEEEEEEEE10hipError_tPvRmT3_T4_T5_T6_T7_T9_mT8_P12ihipStream_tbDpT10_ENKUlT_T0_E_clISt17integral_constantIbLb1EES1J_IbLb0EEEEDaS1F_S1G_EUlS1F_E_NS1_11comp_targetILNS1_3genE9ELNS1_11target_archE1100ELNS1_3gpuE3ELNS1_3repE0EEENS1_30default_config_static_selectorELNS0_4arch9wavefront6targetE0EEEvT1_
                                        ; -- End function
	.set _ZN7rocprim17ROCPRIM_400000_NS6detail17trampoline_kernelINS0_14default_configENS1_25partition_config_selectorILNS1_17partition_subalgoE6EyNS0_10empty_typeEbEEZZNS1_14partition_implILS5_6ELb0ES3_mN6thrust23THRUST_200600_302600_NS6detail15normal_iteratorINSA_10device_ptrIyEEEEPS6_SG_NS0_5tupleIJSF_S6_EEENSH_IJSG_SG_EEES6_PlJNSB_9not_fun_tINSB_10functional5actorINSM_9compositeIJNSM_27transparent_binary_operatorINSA_8equal_toIvEEEENSN_INSM_8argumentILj0EEEEENSM_5valueIyEEEEEEEEEEEE10hipError_tPvRmT3_T4_T5_T6_T7_T9_mT8_P12ihipStream_tbDpT10_ENKUlT_T0_E_clISt17integral_constantIbLb1EES1J_IbLb0EEEEDaS1F_S1G_EUlS1F_E_NS1_11comp_targetILNS1_3genE9ELNS1_11target_archE1100ELNS1_3gpuE3ELNS1_3repE0EEENS1_30default_config_static_selectorELNS0_4arch9wavefront6targetE0EEEvT1_.num_vgpr, 0
	.set _ZN7rocprim17ROCPRIM_400000_NS6detail17trampoline_kernelINS0_14default_configENS1_25partition_config_selectorILNS1_17partition_subalgoE6EyNS0_10empty_typeEbEEZZNS1_14partition_implILS5_6ELb0ES3_mN6thrust23THRUST_200600_302600_NS6detail15normal_iteratorINSA_10device_ptrIyEEEEPS6_SG_NS0_5tupleIJSF_S6_EEENSH_IJSG_SG_EEES6_PlJNSB_9not_fun_tINSB_10functional5actorINSM_9compositeIJNSM_27transparent_binary_operatorINSA_8equal_toIvEEEENSN_INSM_8argumentILj0EEEEENSM_5valueIyEEEEEEEEEEEE10hipError_tPvRmT3_T4_T5_T6_T7_T9_mT8_P12ihipStream_tbDpT10_ENKUlT_T0_E_clISt17integral_constantIbLb1EES1J_IbLb0EEEEDaS1F_S1G_EUlS1F_E_NS1_11comp_targetILNS1_3genE9ELNS1_11target_archE1100ELNS1_3gpuE3ELNS1_3repE0EEENS1_30default_config_static_selectorELNS0_4arch9wavefront6targetE0EEEvT1_.num_agpr, 0
	.set _ZN7rocprim17ROCPRIM_400000_NS6detail17trampoline_kernelINS0_14default_configENS1_25partition_config_selectorILNS1_17partition_subalgoE6EyNS0_10empty_typeEbEEZZNS1_14partition_implILS5_6ELb0ES3_mN6thrust23THRUST_200600_302600_NS6detail15normal_iteratorINSA_10device_ptrIyEEEEPS6_SG_NS0_5tupleIJSF_S6_EEENSH_IJSG_SG_EEES6_PlJNSB_9not_fun_tINSB_10functional5actorINSM_9compositeIJNSM_27transparent_binary_operatorINSA_8equal_toIvEEEENSN_INSM_8argumentILj0EEEEENSM_5valueIyEEEEEEEEEEEE10hipError_tPvRmT3_T4_T5_T6_T7_T9_mT8_P12ihipStream_tbDpT10_ENKUlT_T0_E_clISt17integral_constantIbLb1EES1J_IbLb0EEEEDaS1F_S1G_EUlS1F_E_NS1_11comp_targetILNS1_3genE9ELNS1_11target_archE1100ELNS1_3gpuE3ELNS1_3repE0EEENS1_30default_config_static_selectorELNS0_4arch9wavefront6targetE0EEEvT1_.numbered_sgpr, 0
	.set _ZN7rocprim17ROCPRIM_400000_NS6detail17trampoline_kernelINS0_14default_configENS1_25partition_config_selectorILNS1_17partition_subalgoE6EyNS0_10empty_typeEbEEZZNS1_14partition_implILS5_6ELb0ES3_mN6thrust23THRUST_200600_302600_NS6detail15normal_iteratorINSA_10device_ptrIyEEEEPS6_SG_NS0_5tupleIJSF_S6_EEENSH_IJSG_SG_EEES6_PlJNSB_9not_fun_tINSB_10functional5actorINSM_9compositeIJNSM_27transparent_binary_operatorINSA_8equal_toIvEEEENSN_INSM_8argumentILj0EEEEENSM_5valueIyEEEEEEEEEEEE10hipError_tPvRmT3_T4_T5_T6_T7_T9_mT8_P12ihipStream_tbDpT10_ENKUlT_T0_E_clISt17integral_constantIbLb1EES1J_IbLb0EEEEDaS1F_S1G_EUlS1F_E_NS1_11comp_targetILNS1_3genE9ELNS1_11target_archE1100ELNS1_3gpuE3ELNS1_3repE0EEENS1_30default_config_static_selectorELNS0_4arch9wavefront6targetE0EEEvT1_.num_named_barrier, 0
	.set _ZN7rocprim17ROCPRIM_400000_NS6detail17trampoline_kernelINS0_14default_configENS1_25partition_config_selectorILNS1_17partition_subalgoE6EyNS0_10empty_typeEbEEZZNS1_14partition_implILS5_6ELb0ES3_mN6thrust23THRUST_200600_302600_NS6detail15normal_iteratorINSA_10device_ptrIyEEEEPS6_SG_NS0_5tupleIJSF_S6_EEENSH_IJSG_SG_EEES6_PlJNSB_9not_fun_tINSB_10functional5actorINSM_9compositeIJNSM_27transparent_binary_operatorINSA_8equal_toIvEEEENSN_INSM_8argumentILj0EEEEENSM_5valueIyEEEEEEEEEEEE10hipError_tPvRmT3_T4_T5_T6_T7_T9_mT8_P12ihipStream_tbDpT10_ENKUlT_T0_E_clISt17integral_constantIbLb1EES1J_IbLb0EEEEDaS1F_S1G_EUlS1F_E_NS1_11comp_targetILNS1_3genE9ELNS1_11target_archE1100ELNS1_3gpuE3ELNS1_3repE0EEENS1_30default_config_static_selectorELNS0_4arch9wavefront6targetE0EEEvT1_.private_seg_size, 0
	.set _ZN7rocprim17ROCPRIM_400000_NS6detail17trampoline_kernelINS0_14default_configENS1_25partition_config_selectorILNS1_17partition_subalgoE6EyNS0_10empty_typeEbEEZZNS1_14partition_implILS5_6ELb0ES3_mN6thrust23THRUST_200600_302600_NS6detail15normal_iteratorINSA_10device_ptrIyEEEEPS6_SG_NS0_5tupleIJSF_S6_EEENSH_IJSG_SG_EEES6_PlJNSB_9not_fun_tINSB_10functional5actorINSM_9compositeIJNSM_27transparent_binary_operatorINSA_8equal_toIvEEEENSN_INSM_8argumentILj0EEEEENSM_5valueIyEEEEEEEEEEEE10hipError_tPvRmT3_T4_T5_T6_T7_T9_mT8_P12ihipStream_tbDpT10_ENKUlT_T0_E_clISt17integral_constantIbLb1EES1J_IbLb0EEEEDaS1F_S1G_EUlS1F_E_NS1_11comp_targetILNS1_3genE9ELNS1_11target_archE1100ELNS1_3gpuE3ELNS1_3repE0EEENS1_30default_config_static_selectorELNS0_4arch9wavefront6targetE0EEEvT1_.uses_vcc, 0
	.set _ZN7rocprim17ROCPRIM_400000_NS6detail17trampoline_kernelINS0_14default_configENS1_25partition_config_selectorILNS1_17partition_subalgoE6EyNS0_10empty_typeEbEEZZNS1_14partition_implILS5_6ELb0ES3_mN6thrust23THRUST_200600_302600_NS6detail15normal_iteratorINSA_10device_ptrIyEEEEPS6_SG_NS0_5tupleIJSF_S6_EEENSH_IJSG_SG_EEES6_PlJNSB_9not_fun_tINSB_10functional5actorINSM_9compositeIJNSM_27transparent_binary_operatorINSA_8equal_toIvEEEENSN_INSM_8argumentILj0EEEEENSM_5valueIyEEEEEEEEEEEE10hipError_tPvRmT3_T4_T5_T6_T7_T9_mT8_P12ihipStream_tbDpT10_ENKUlT_T0_E_clISt17integral_constantIbLb1EES1J_IbLb0EEEEDaS1F_S1G_EUlS1F_E_NS1_11comp_targetILNS1_3genE9ELNS1_11target_archE1100ELNS1_3gpuE3ELNS1_3repE0EEENS1_30default_config_static_selectorELNS0_4arch9wavefront6targetE0EEEvT1_.uses_flat_scratch, 0
	.set _ZN7rocprim17ROCPRIM_400000_NS6detail17trampoline_kernelINS0_14default_configENS1_25partition_config_selectorILNS1_17partition_subalgoE6EyNS0_10empty_typeEbEEZZNS1_14partition_implILS5_6ELb0ES3_mN6thrust23THRUST_200600_302600_NS6detail15normal_iteratorINSA_10device_ptrIyEEEEPS6_SG_NS0_5tupleIJSF_S6_EEENSH_IJSG_SG_EEES6_PlJNSB_9not_fun_tINSB_10functional5actorINSM_9compositeIJNSM_27transparent_binary_operatorINSA_8equal_toIvEEEENSN_INSM_8argumentILj0EEEEENSM_5valueIyEEEEEEEEEEEE10hipError_tPvRmT3_T4_T5_T6_T7_T9_mT8_P12ihipStream_tbDpT10_ENKUlT_T0_E_clISt17integral_constantIbLb1EES1J_IbLb0EEEEDaS1F_S1G_EUlS1F_E_NS1_11comp_targetILNS1_3genE9ELNS1_11target_archE1100ELNS1_3gpuE3ELNS1_3repE0EEENS1_30default_config_static_selectorELNS0_4arch9wavefront6targetE0EEEvT1_.has_dyn_sized_stack, 0
	.set _ZN7rocprim17ROCPRIM_400000_NS6detail17trampoline_kernelINS0_14default_configENS1_25partition_config_selectorILNS1_17partition_subalgoE6EyNS0_10empty_typeEbEEZZNS1_14partition_implILS5_6ELb0ES3_mN6thrust23THRUST_200600_302600_NS6detail15normal_iteratorINSA_10device_ptrIyEEEEPS6_SG_NS0_5tupleIJSF_S6_EEENSH_IJSG_SG_EEES6_PlJNSB_9not_fun_tINSB_10functional5actorINSM_9compositeIJNSM_27transparent_binary_operatorINSA_8equal_toIvEEEENSN_INSM_8argumentILj0EEEEENSM_5valueIyEEEEEEEEEEEE10hipError_tPvRmT3_T4_T5_T6_T7_T9_mT8_P12ihipStream_tbDpT10_ENKUlT_T0_E_clISt17integral_constantIbLb1EES1J_IbLb0EEEEDaS1F_S1G_EUlS1F_E_NS1_11comp_targetILNS1_3genE9ELNS1_11target_archE1100ELNS1_3gpuE3ELNS1_3repE0EEENS1_30default_config_static_selectorELNS0_4arch9wavefront6targetE0EEEvT1_.has_recursion, 0
	.set _ZN7rocprim17ROCPRIM_400000_NS6detail17trampoline_kernelINS0_14default_configENS1_25partition_config_selectorILNS1_17partition_subalgoE6EyNS0_10empty_typeEbEEZZNS1_14partition_implILS5_6ELb0ES3_mN6thrust23THRUST_200600_302600_NS6detail15normal_iteratorINSA_10device_ptrIyEEEEPS6_SG_NS0_5tupleIJSF_S6_EEENSH_IJSG_SG_EEES6_PlJNSB_9not_fun_tINSB_10functional5actorINSM_9compositeIJNSM_27transparent_binary_operatorINSA_8equal_toIvEEEENSN_INSM_8argumentILj0EEEEENSM_5valueIyEEEEEEEEEEEE10hipError_tPvRmT3_T4_T5_T6_T7_T9_mT8_P12ihipStream_tbDpT10_ENKUlT_T0_E_clISt17integral_constantIbLb1EES1J_IbLb0EEEEDaS1F_S1G_EUlS1F_E_NS1_11comp_targetILNS1_3genE9ELNS1_11target_archE1100ELNS1_3gpuE3ELNS1_3repE0EEENS1_30default_config_static_selectorELNS0_4arch9wavefront6targetE0EEEvT1_.has_indirect_call, 0
	.section	.AMDGPU.csdata,"",@progbits
; Kernel info:
; codeLenInByte = 0
; TotalNumSgprs: 0
; NumVgprs: 0
; ScratchSize: 0
; MemoryBound: 0
; FloatMode: 240
; IeeeMode: 1
; LDSByteSize: 0 bytes/workgroup (compile time only)
; SGPRBlocks: 0
; VGPRBlocks: 0
; NumSGPRsForWavesPerEU: 1
; NumVGPRsForWavesPerEU: 1
; Occupancy: 16
; WaveLimiterHint : 0
; COMPUTE_PGM_RSRC2:SCRATCH_EN: 0
; COMPUTE_PGM_RSRC2:USER_SGPR: 2
; COMPUTE_PGM_RSRC2:TRAP_HANDLER: 0
; COMPUTE_PGM_RSRC2:TGID_X_EN: 1
; COMPUTE_PGM_RSRC2:TGID_Y_EN: 0
; COMPUTE_PGM_RSRC2:TGID_Z_EN: 0
; COMPUTE_PGM_RSRC2:TIDIG_COMP_CNT: 0
	.section	.text._ZN7rocprim17ROCPRIM_400000_NS6detail17trampoline_kernelINS0_14default_configENS1_25partition_config_selectorILNS1_17partition_subalgoE6EyNS0_10empty_typeEbEEZZNS1_14partition_implILS5_6ELb0ES3_mN6thrust23THRUST_200600_302600_NS6detail15normal_iteratorINSA_10device_ptrIyEEEEPS6_SG_NS0_5tupleIJSF_S6_EEENSH_IJSG_SG_EEES6_PlJNSB_9not_fun_tINSB_10functional5actorINSM_9compositeIJNSM_27transparent_binary_operatorINSA_8equal_toIvEEEENSN_INSM_8argumentILj0EEEEENSM_5valueIyEEEEEEEEEEEE10hipError_tPvRmT3_T4_T5_T6_T7_T9_mT8_P12ihipStream_tbDpT10_ENKUlT_T0_E_clISt17integral_constantIbLb1EES1J_IbLb0EEEEDaS1F_S1G_EUlS1F_E_NS1_11comp_targetILNS1_3genE8ELNS1_11target_archE1030ELNS1_3gpuE2ELNS1_3repE0EEENS1_30default_config_static_selectorELNS0_4arch9wavefront6targetE0EEEvT1_,"axG",@progbits,_ZN7rocprim17ROCPRIM_400000_NS6detail17trampoline_kernelINS0_14default_configENS1_25partition_config_selectorILNS1_17partition_subalgoE6EyNS0_10empty_typeEbEEZZNS1_14partition_implILS5_6ELb0ES3_mN6thrust23THRUST_200600_302600_NS6detail15normal_iteratorINSA_10device_ptrIyEEEEPS6_SG_NS0_5tupleIJSF_S6_EEENSH_IJSG_SG_EEES6_PlJNSB_9not_fun_tINSB_10functional5actorINSM_9compositeIJNSM_27transparent_binary_operatorINSA_8equal_toIvEEEENSN_INSM_8argumentILj0EEEEENSM_5valueIyEEEEEEEEEEEE10hipError_tPvRmT3_T4_T5_T6_T7_T9_mT8_P12ihipStream_tbDpT10_ENKUlT_T0_E_clISt17integral_constantIbLb1EES1J_IbLb0EEEEDaS1F_S1G_EUlS1F_E_NS1_11comp_targetILNS1_3genE8ELNS1_11target_archE1030ELNS1_3gpuE2ELNS1_3repE0EEENS1_30default_config_static_selectorELNS0_4arch9wavefront6targetE0EEEvT1_,comdat
	.protected	_ZN7rocprim17ROCPRIM_400000_NS6detail17trampoline_kernelINS0_14default_configENS1_25partition_config_selectorILNS1_17partition_subalgoE6EyNS0_10empty_typeEbEEZZNS1_14partition_implILS5_6ELb0ES3_mN6thrust23THRUST_200600_302600_NS6detail15normal_iteratorINSA_10device_ptrIyEEEEPS6_SG_NS0_5tupleIJSF_S6_EEENSH_IJSG_SG_EEES6_PlJNSB_9not_fun_tINSB_10functional5actorINSM_9compositeIJNSM_27transparent_binary_operatorINSA_8equal_toIvEEEENSN_INSM_8argumentILj0EEEEENSM_5valueIyEEEEEEEEEEEE10hipError_tPvRmT3_T4_T5_T6_T7_T9_mT8_P12ihipStream_tbDpT10_ENKUlT_T0_E_clISt17integral_constantIbLb1EES1J_IbLb0EEEEDaS1F_S1G_EUlS1F_E_NS1_11comp_targetILNS1_3genE8ELNS1_11target_archE1030ELNS1_3gpuE2ELNS1_3repE0EEENS1_30default_config_static_selectorELNS0_4arch9wavefront6targetE0EEEvT1_ ; -- Begin function _ZN7rocprim17ROCPRIM_400000_NS6detail17trampoline_kernelINS0_14default_configENS1_25partition_config_selectorILNS1_17partition_subalgoE6EyNS0_10empty_typeEbEEZZNS1_14partition_implILS5_6ELb0ES3_mN6thrust23THRUST_200600_302600_NS6detail15normal_iteratorINSA_10device_ptrIyEEEEPS6_SG_NS0_5tupleIJSF_S6_EEENSH_IJSG_SG_EEES6_PlJNSB_9not_fun_tINSB_10functional5actorINSM_9compositeIJNSM_27transparent_binary_operatorINSA_8equal_toIvEEEENSN_INSM_8argumentILj0EEEEENSM_5valueIyEEEEEEEEEEEE10hipError_tPvRmT3_T4_T5_T6_T7_T9_mT8_P12ihipStream_tbDpT10_ENKUlT_T0_E_clISt17integral_constantIbLb1EES1J_IbLb0EEEEDaS1F_S1G_EUlS1F_E_NS1_11comp_targetILNS1_3genE8ELNS1_11target_archE1030ELNS1_3gpuE2ELNS1_3repE0EEENS1_30default_config_static_selectorELNS0_4arch9wavefront6targetE0EEEvT1_
	.globl	_ZN7rocprim17ROCPRIM_400000_NS6detail17trampoline_kernelINS0_14default_configENS1_25partition_config_selectorILNS1_17partition_subalgoE6EyNS0_10empty_typeEbEEZZNS1_14partition_implILS5_6ELb0ES3_mN6thrust23THRUST_200600_302600_NS6detail15normal_iteratorINSA_10device_ptrIyEEEEPS6_SG_NS0_5tupleIJSF_S6_EEENSH_IJSG_SG_EEES6_PlJNSB_9not_fun_tINSB_10functional5actorINSM_9compositeIJNSM_27transparent_binary_operatorINSA_8equal_toIvEEEENSN_INSM_8argumentILj0EEEEENSM_5valueIyEEEEEEEEEEEE10hipError_tPvRmT3_T4_T5_T6_T7_T9_mT8_P12ihipStream_tbDpT10_ENKUlT_T0_E_clISt17integral_constantIbLb1EES1J_IbLb0EEEEDaS1F_S1G_EUlS1F_E_NS1_11comp_targetILNS1_3genE8ELNS1_11target_archE1030ELNS1_3gpuE2ELNS1_3repE0EEENS1_30default_config_static_selectorELNS0_4arch9wavefront6targetE0EEEvT1_
	.p2align	8
	.type	_ZN7rocprim17ROCPRIM_400000_NS6detail17trampoline_kernelINS0_14default_configENS1_25partition_config_selectorILNS1_17partition_subalgoE6EyNS0_10empty_typeEbEEZZNS1_14partition_implILS5_6ELb0ES3_mN6thrust23THRUST_200600_302600_NS6detail15normal_iteratorINSA_10device_ptrIyEEEEPS6_SG_NS0_5tupleIJSF_S6_EEENSH_IJSG_SG_EEES6_PlJNSB_9not_fun_tINSB_10functional5actorINSM_9compositeIJNSM_27transparent_binary_operatorINSA_8equal_toIvEEEENSN_INSM_8argumentILj0EEEEENSM_5valueIyEEEEEEEEEEEE10hipError_tPvRmT3_T4_T5_T6_T7_T9_mT8_P12ihipStream_tbDpT10_ENKUlT_T0_E_clISt17integral_constantIbLb1EES1J_IbLb0EEEEDaS1F_S1G_EUlS1F_E_NS1_11comp_targetILNS1_3genE8ELNS1_11target_archE1030ELNS1_3gpuE2ELNS1_3repE0EEENS1_30default_config_static_selectorELNS0_4arch9wavefront6targetE0EEEvT1_,@function
_ZN7rocprim17ROCPRIM_400000_NS6detail17trampoline_kernelINS0_14default_configENS1_25partition_config_selectorILNS1_17partition_subalgoE6EyNS0_10empty_typeEbEEZZNS1_14partition_implILS5_6ELb0ES3_mN6thrust23THRUST_200600_302600_NS6detail15normal_iteratorINSA_10device_ptrIyEEEEPS6_SG_NS0_5tupleIJSF_S6_EEENSH_IJSG_SG_EEES6_PlJNSB_9not_fun_tINSB_10functional5actorINSM_9compositeIJNSM_27transparent_binary_operatorINSA_8equal_toIvEEEENSN_INSM_8argumentILj0EEEEENSM_5valueIyEEEEEEEEEEEE10hipError_tPvRmT3_T4_T5_T6_T7_T9_mT8_P12ihipStream_tbDpT10_ENKUlT_T0_E_clISt17integral_constantIbLb1EES1J_IbLb0EEEEDaS1F_S1G_EUlS1F_E_NS1_11comp_targetILNS1_3genE8ELNS1_11target_archE1030ELNS1_3gpuE2ELNS1_3repE0EEENS1_30default_config_static_selectorELNS0_4arch9wavefront6targetE0EEEvT1_: ; @_ZN7rocprim17ROCPRIM_400000_NS6detail17trampoline_kernelINS0_14default_configENS1_25partition_config_selectorILNS1_17partition_subalgoE6EyNS0_10empty_typeEbEEZZNS1_14partition_implILS5_6ELb0ES3_mN6thrust23THRUST_200600_302600_NS6detail15normal_iteratorINSA_10device_ptrIyEEEEPS6_SG_NS0_5tupleIJSF_S6_EEENSH_IJSG_SG_EEES6_PlJNSB_9not_fun_tINSB_10functional5actorINSM_9compositeIJNSM_27transparent_binary_operatorINSA_8equal_toIvEEEENSN_INSM_8argumentILj0EEEEENSM_5valueIyEEEEEEEEEEEE10hipError_tPvRmT3_T4_T5_T6_T7_T9_mT8_P12ihipStream_tbDpT10_ENKUlT_T0_E_clISt17integral_constantIbLb1EES1J_IbLb0EEEEDaS1F_S1G_EUlS1F_E_NS1_11comp_targetILNS1_3genE8ELNS1_11target_archE1030ELNS1_3gpuE2ELNS1_3repE0EEENS1_30default_config_static_selectorELNS0_4arch9wavefront6targetE0EEEvT1_
; %bb.0:
	.section	.rodata,"a",@progbits
	.p2align	6, 0x0
	.amdhsa_kernel _ZN7rocprim17ROCPRIM_400000_NS6detail17trampoline_kernelINS0_14default_configENS1_25partition_config_selectorILNS1_17partition_subalgoE6EyNS0_10empty_typeEbEEZZNS1_14partition_implILS5_6ELb0ES3_mN6thrust23THRUST_200600_302600_NS6detail15normal_iteratorINSA_10device_ptrIyEEEEPS6_SG_NS0_5tupleIJSF_S6_EEENSH_IJSG_SG_EEES6_PlJNSB_9not_fun_tINSB_10functional5actorINSM_9compositeIJNSM_27transparent_binary_operatorINSA_8equal_toIvEEEENSN_INSM_8argumentILj0EEEEENSM_5valueIyEEEEEEEEEEEE10hipError_tPvRmT3_T4_T5_T6_T7_T9_mT8_P12ihipStream_tbDpT10_ENKUlT_T0_E_clISt17integral_constantIbLb1EES1J_IbLb0EEEEDaS1F_S1G_EUlS1F_E_NS1_11comp_targetILNS1_3genE8ELNS1_11target_archE1030ELNS1_3gpuE2ELNS1_3repE0EEENS1_30default_config_static_selectorELNS0_4arch9wavefront6targetE0EEEvT1_
		.amdhsa_group_segment_fixed_size 0
		.amdhsa_private_segment_fixed_size 0
		.amdhsa_kernarg_size 128
		.amdhsa_user_sgpr_count 2
		.amdhsa_user_sgpr_dispatch_ptr 0
		.amdhsa_user_sgpr_queue_ptr 0
		.amdhsa_user_sgpr_kernarg_segment_ptr 1
		.amdhsa_user_sgpr_dispatch_id 0
		.amdhsa_user_sgpr_private_segment_size 0
		.amdhsa_wavefront_size32 1
		.amdhsa_uses_dynamic_stack 0
		.amdhsa_enable_private_segment 0
		.amdhsa_system_sgpr_workgroup_id_x 1
		.amdhsa_system_sgpr_workgroup_id_y 0
		.amdhsa_system_sgpr_workgroup_id_z 0
		.amdhsa_system_sgpr_workgroup_info 0
		.amdhsa_system_vgpr_workitem_id 0
		.amdhsa_next_free_vgpr 1
		.amdhsa_next_free_sgpr 1
		.amdhsa_reserve_vcc 0
		.amdhsa_float_round_mode_32 0
		.amdhsa_float_round_mode_16_64 0
		.amdhsa_float_denorm_mode_32 3
		.amdhsa_float_denorm_mode_16_64 3
		.amdhsa_fp16_overflow 0
		.amdhsa_workgroup_processor_mode 1
		.amdhsa_memory_ordered 1
		.amdhsa_forward_progress 1
		.amdhsa_inst_pref_size 0
		.amdhsa_round_robin_scheduling 0
		.amdhsa_exception_fp_ieee_invalid_op 0
		.amdhsa_exception_fp_denorm_src 0
		.amdhsa_exception_fp_ieee_div_zero 0
		.amdhsa_exception_fp_ieee_overflow 0
		.amdhsa_exception_fp_ieee_underflow 0
		.amdhsa_exception_fp_ieee_inexact 0
		.amdhsa_exception_int_div_zero 0
	.end_amdhsa_kernel
	.section	.text._ZN7rocprim17ROCPRIM_400000_NS6detail17trampoline_kernelINS0_14default_configENS1_25partition_config_selectorILNS1_17partition_subalgoE6EyNS0_10empty_typeEbEEZZNS1_14partition_implILS5_6ELb0ES3_mN6thrust23THRUST_200600_302600_NS6detail15normal_iteratorINSA_10device_ptrIyEEEEPS6_SG_NS0_5tupleIJSF_S6_EEENSH_IJSG_SG_EEES6_PlJNSB_9not_fun_tINSB_10functional5actorINSM_9compositeIJNSM_27transparent_binary_operatorINSA_8equal_toIvEEEENSN_INSM_8argumentILj0EEEEENSM_5valueIyEEEEEEEEEEEE10hipError_tPvRmT3_T4_T5_T6_T7_T9_mT8_P12ihipStream_tbDpT10_ENKUlT_T0_E_clISt17integral_constantIbLb1EES1J_IbLb0EEEEDaS1F_S1G_EUlS1F_E_NS1_11comp_targetILNS1_3genE8ELNS1_11target_archE1030ELNS1_3gpuE2ELNS1_3repE0EEENS1_30default_config_static_selectorELNS0_4arch9wavefront6targetE0EEEvT1_,"axG",@progbits,_ZN7rocprim17ROCPRIM_400000_NS6detail17trampoline_kernelINS0_14default_configENS1_25partition_config_selectorILNS1_17partition_subalgoE6EyNS0_10empty_typeEbEEZZNS1_14partition_implILS5_6ELb0ES3_mN6thrust23THRUST_200600_302600_NS6detail15normal_iteratorINSA_10device_ptrIyEEEEPS6_SG_NS0_5tupleIJSF_S6_EEENSH_IJSG_SG_EEES6_PlJNSB_9not_fun_tINSB_10functional5actorINSM_9compositeIJNSM_27transparent_binary_operatorINSA_8equal_toIvEEEENSN_INSM_8argumentILj0EEEEENSM_5valueIyEEEEEEEEEEEE10hipError_tPvRmT3_T4_T5_T6_T7_T9_mT8_P12ihipStream_tbDpT10_ENKUlT_T0_E_clISt17integral_constantIbLb1EES1J_IbLb0EEEEDaS1F_S1G_EUlS1F_E_NS1_11comp_targetILNS1_3genE8ELNS1_11target_archE1030ELNS1_3gpuE2ELNS1_3repE0EEENS1_30default_config_static_selectorELNS0_4arch9wavefront6targetE0EEEvT1_,comdat
.Lfunc_end103:
	.size	_ZN7rocprim17ROCPRIM_400000_NS6detail17trampoline_kernelINS0_14default_configENS1_25partition_config_selectorILNS1_17partition_subalgoE6EyNS0_10empty_typeEbEEZZNS1_14partition_implILS5_6ELb0ES3_mN6thrust23THRUST_200600_302600_NS6detail15normal_iteratorINSA_10device_ptrIyEEEEPS6_SG_NS0_5tupleIJSF_S6_EEENSH_IJSG_SG_EEES6_PlJNSB_9not_fun_tINSB_10functional5actorINSM_9compositeIJNSM_27transparent_binary_operatorINSA_8equal_toIvEEEENSN_INSM_8argumentILj0EEEEENSM_5valueIyEEEEEEEEEEEE10hipError_tPvRmT3_T4_T5_T6_T7_T9_mT8_P12ihipStream_tbDpT10_ENKUlT_T0_E_clISt17integral_constantIbLb1EES1J_IbLb0EEEEDaS1F_S1G_EUlS1F_E_NS1_11comp_targetILNS1_3genE8ELNS1_11target_archE1030ELNS1_3gpuE2ELNS1_3repE0EEENS1_30default_config_static_selectorELNS0_4arch9wavefront6targetE0EEEvT1_, .Lfunc_end103-_ZN7rocprim17ROCPRIM_400000_NS6detail17trampoline_kernelINS0_14default_configENS1_25partition_config_selectorILNS1_17partition_subalgoE6EyNS0_10empty_typeEbEEZZNS1_14partition_implILS5_6ELb0ES3_mN6thrust23THRUST_200600_302600_NS6detail15normal_iteratorINSA_10device_ptrIyEEEEPS6_SG_NS0_5tupleIJSF_S6_EEENSH_IJSG_SG_EEES6_PlJNSB_9not_fun_tINSB_10functional5actorINSM_9compositeIJNSM_27transparent_binary_operatorINSA_8equal_toIvEEEENSN_INSM_8argumentILj0EEEEENSM_5valueIyEEEEEEEEEEEE10hipError_tPvRmT3_T4_T5_T6_T7_T9_mT8_P12ihipStream_tbDpT10_ENKUlT_T0_E_clISt17integral_constantIbLb1EES1J_IbLb0EEEEDaS1F_S1G_EUlS1F_E_NS1_11comp_targetILNS1_3genE8ELNS1_11target_archE1030ELNS1_3gpuE2ELNS1_3repE0EEENS1_30default_config_static_selectorELNS0_4arch9wavefront6targetE0EEEvT1_
                                        ; -- End function
	.set _ZN7rocprim17ROCPRIM_400000_NS6detail17trampoline_kernelINS0_14default_configENS1_25partition_config_selectorILNS1_17partition_subalgoE6EyNS0_10empty_typeEbEEZZNS1_14partition_implILS5_6ELb0ES3_mN6thrust23THRUST_200600_302600_NS6detail15normal_iteratorINSA_10device_ptrIyEEEEPS6_SG_NS0_5tupleIJSF_S6_EEENSH_IJSG_SG_EEES6_PlJNSB_9not_fun_tINSB_10functional5actorINSM_9compositeIJNSM_27transparent_binary_operatorINSA_8equal_toIvEEEENSN_INSM_8argumentILj0EEEEENSM_5valueIyEEEEEEEEEEEE10hipError_tPvRmT3_T4_T5_T6_T7_T9_mT8_P12ihipStream_tbDpT10_ENKUlT_T0_E_clISt17integral_constantIbLb1EES1J_IbLb0EEEEDaS1F_S1G_EUlS1F_E_NS1_11comp_targetILNS1_3genE8ELNS1_11target_archE1030ELNS1_3gpuE2ELNS1_3repE0EEENS1_30default_config_static_selectorELNS0_4arch9wavefront6targetE0EEEvT1_.num_vgpr, 0
	.set _ZN7rocprim17ROCPRIM_400000_NS6detail17trampoline_kernelINS0_14default_configENS1_25partition_config_selectorILNS1_17partition_subalgoE6EyNS0_10empty_typeEbEEZZNS1_14partition_implILS5_6ELb0ES3_mN6thrust23THRUST_200600_302600_NS6detail15normal_iteratorINSA_10device_ptrIyEEEEPS6_SG_NS0_5tupleIJSF_S6_EEENSH_IJSG_SG_EEES6_PlJNSB_9not_fun_tINSB_10functional5actorINSM_9compositeIJNSM_27transparent_binary_operatorINSA_8equal_toIvEEEENSN_INSM_8argumentILj0EEEEENSM_5valueIyEEEEEEEEEEEE10hipError_tPvRmT3_T4_T5_T6_T7_T9_mT8_P12ihipStream_tbDpT10_ENKUlT_T0_E_clISt17integral_constantIbLb1EES1J_IbLb0EEEEDaS1F_S1G_EUlS1F_E_NS1_11comp_targetILNS1_3genE8ELNS1_11target_archE1030ELNS1_3gpuE2ELNS1_3repE0EEENS1_30default_config_static_selectorELNS0_4arch9wavefront6targetE0EEEvT1_.num_agpr, 0
	.set _ZN7rocprim17ROCPRIM_400000_NS6detail17trampoline_kernelINS0_14default_configENS1_25partition_config_selectorILNS1_17partition_subalgoE6EyNS0_10empty_typeEbEEZZNS1_14partition_implILS5_6ELb0ES3_mN6thrust23THRUST_200600_302600_NS6detail15normal_iteratorINSA_10device_ptrIyEEEEPS6_SG_NS0_5tupleIJSF_S6_EEENSH_IJSG_SG_EEES6_PlJNSB_9not_fun_tINSB_10functional5actorINSM_9compositeIJNSM_27transparent_binary_operatorINSA_8equal_toIvEEEENSN_INSM_8argumentILj0EEEEENSM_5valueIyEEEEEEEEEEEE10hipError_tPvRmT3_T4_T5_T6_T7_T9_mT8_P12ihipStream_tbDpT10_ENKUlT_T0_E_clISt17integral_constantIbLb1EES1J_IbLb0EEEEDaS1F_S1G_EUlS1F_E_NS1_11comp_targetILNS1_3genE8ELNS1_11target_archE1030ELNS1_3gpuE2ELNS1_3repE0EEENS1_30default_config_static_selectorELNS0_4arch9wavefront6targetE0EEEvT1_.numbered_sgpr, 0
	.set _ZN7rocprim17ROCPRIM_400000_NS6detail17trampoline_kernelINS0_14default_configENS1_25partition_config_selectorILNS1_17partition_subalgoE6EyNS0_10empty_typeEbEEZZNS1_14partition_implILS5_6ELb0ES3_mN6thrust23THRUST_200600_302600_NS6detail15normal_iteratorINSA_10device_ptrIyEEEEPS6_SG_NS0_5tupleIJSF_S6_EEENSH_IJSG_SG_EEES6_PlJNSB_9not_fun_tINSB_10functional5actorINSM_9compositeIJNSM_27transparent_binary_operatorINSA_8equal_toIvEEEENSN_INSM_8argumentILj0EEEEENSM_5valueIyEEEEEEEEEEEE10hipError_tPvRmT3_T4_T5_T6_T7_T9_mT8_P12ihipStream_tbDpT10_ENKUlT_T0_E_clISt17integral_constantIbLb1EES1J_IbLb0EEEEDaS1F_S1G_EUlS1F_E_NS1_11comp_targetILNS1_3genE8ELNS1_11target_archE1030ELNS1_3gpuE2ELNS1_3repE0EEENS1_30default_config_static_selectorELNS0_4arch9wavefront6targetE0EEEvT1_.num_named_barrier, 0
	.set _ZN7rocprim17ROCPRIM_400000_NS6detail17trampoline_kernelINS0_14default_configENS1_25partition_config_selectorILNS1_17partition_subalgoE6EyNS0_10empty_typeEbEEZZNS1_14partition_implILS5_6ELb0ES3_mN6thrust23THRUST_200600_302600_NS6detail15normal_iteratorINSA_10device_ptrIyEEEEPS6_SG_NS0_5tupleIJSF_S6_EEENSH_IJSG_SG_EEES6_PlJNSB_9not_fun_tINSB_10functional5actorINSM_9compositeIJNSM_27transparent_binary_operatorINSA_8equal_toIvEEEENSN_INSM_8argumentILj0EEEEENSM_5valueIyEEEEEEEEEEEE10hipError_tPvRmT3_T4_T5_T6_T7_T9_mT8_P12ihipStream_tbDpT10_ENKUlT_T0_E_clISt17integral_constantIbLb1EES1J_IbLb0EEEEDaS1F_S1G_EUlS1F_E_NS1_11comp_targetILNS1_3genE8ELNS1_11target_archE1030ELNS1_3gpuE2ELNS1_3repE0EEENS1_30default_config_static_selectorELNS0_4arch9wavefront6targetE0EEEvT1_.private_seg_size, 0
	.set _ZN7rocprim17ROCPRIM_400000_NS6detail17trampoline_kernelINS0_14default_configENS1_25partition_config_selectorILNS1_17partition_subalgoE6EyNS0_10empty_typeEbEEZZNS1_14partition_implILS5_6ELb0ES3_mN6thrust23THRUST_200600_302600_NS6detail15normal_iteratorINSA_10device_ptrIyEEEEPS6_SG_NS0_5tupleIJSF_S6_EEENSH_IJSG_SG_EEES6_PlJNSB_9not_fun_tINSB_10functional5actorINSM_9compositeIJNSM_27transparent_binary_operatorINSA_8equal_toIvEEEENSN_INSM_8argumentILj0EEEEENSM_5valueIyEEEEEEEEEEEE10hipError_tPvRmT3_T4_T5_T6_T7_T9_mT8_P12ihipStream_tbDpT10_ENKUlT_T0_E_clISt17integral_constantIbLb1EES1J_IbLb0EEEEDaS1F_S1G_EUlS1F_E_NS1_11comp_targetILNS1_3genE8ELNS1_11target_archE1030ELNS1_3gpuE2ELNS1_3repE0EEENS1_30default_config_static_selectorELNS0_4arch9wavefront6targetE0EEEvT1_.uses_vcc, 0
	.set _ZN7rocprim17ROCPRIM_400000_NS6detail17trampoline_kernelINS0_14default_configENS1_25partition_config_selectorILNS1_17partition_subalgoE6EyNS0_10empty_typeEbEEZZNS1_14partition_implILS5_6ELb0ES3_mN6thrust23THRUST_200600_302600_NS6detail15normal_iteratorINSA_10device_ptrIyEEEEPS6_SG_NS0_5tupleIJSF_S6_EEENSH_IJSG_SG_EEES6_PlJNSB_9not_fun_tINSB_10functional5actorINSM_9compositeIJNSM_27transparent_binary_operatorINSA_8equal_toIvEEEENSN_INSM_8argumentILj0EEEEENSM_5valueIyEEEEEEEEEEEE10hipError_tPvRmT3_T4_T5_T6_T7_T9_mT8_P12ihipStream_tbDpT10_ENKUlT_T0_E_clISt17integral_constantIbLb1EES1J_IbLb0EEEEDaS1F_S1G_EUlS1F_E_NS1_11comp_targetILNS1_3genE8ELNS1_11target_archE1030ELNS1_3gpuE2ELNS1_3repE0EEENS1_30default_config_static_selectorELNS0_4arch9wavefront6targetE0EEEvT1_.uses_flat_scratch, 0
	.set _ZN7rocprim17ROCPRIM_400000_NS6detail17trampoline_kernelINS0_14default_configENS1_25partition_config_selectorILNS1_17partition_subalgoE6EyNS0_10empty_typeEbEEZZNS1_14partition_implILS5_6ELb0ES3_mN6thrust23THRUST_200600_302600_NS6detail15normal_iteratorINSA_10device_ptrIyEEEEPS6_SG_NS0_5tupleIJSF_S6_EEENSH_IJSG_SG_EEES6_PlJNSB_9not_fun_tINSB_10functional5actorINSM_9compositeIJNSM_27transparent_binary_operatorINSA_8equal_toIvEEEENSN_INSM_8argumentILj0EEEEENSM_5valueIyEEEEEEEEEEEE10hipError_tPvRmT3_T4_T5_T6_T7_T9_mT8_P12ihipStream_tbDpT10_ENKUlT_T0_E_clISt17integral_constantIbLb1EES1J_IbLb0EEEEDaS1F_S1G_EUlS1F_E_NS1_11comp_targetILNS1_3genE8ELNS1_11target_archE1030ELNS1_3gpuE2ELNS1_3repE0EEENS1_30default_config_static_selectorELNS0_4arch9wavefront6targetE0EEEvT1_.has_dyn_sized_stack, 0
	.set _ZN7rocprim17ROCPRIM_400000_NS6detail17trampoline_kernelINS0_14default_configENS1_25partition_config_selectorILNS1_17partition_subalgoE6EyNS0_10empty_typeEbEEZZNS1_14partition_implILS5_6ELb0ES3_mN6thrust23THRUST_200600_302600_NS6detail15normal_iteratorINSA_10device_ptrIyEEEEPS6_SG_NS0_5tupleIJSF_S6_EEENSH_IJSG_SG_EEES6_PlJNSB_9not_fun_tINSB_10functional5actorINSM_9compositeIJNSM_27transparent_binary_operatorINSA_8equal_toIvEEEENSN_INSM_8argumentILj0EEEEENSM_5valueIyEEEEEEEEEEEE10hipError_tPvRmT3_T4_T5_T6_T7_T9_mT8_P12ihipStream_tbDpT10_ENKUlT_T0_E_clISt17integral_constantIbLb1EES1J_IbLb0EEEEDaS1F_S1G_EUlS1F_E_NS1_11comp_targetILNS1_3genE8ELNS1_11target_archE1030ELNS1_3gpuE2ELNS1_3repE0EEENS1_30default_config_static_selectorELNS0_4arch9wavefront6targetE0EEEvT1_.has_recursion, 0
	.set _ZN7rocprim17ROCPRIM_400000_NS6detail17trampoline_kernelINS0_14default_configENS1_25partition_config_selectorILNS1_17partition_subalgoE6EyNS0_10empty_typeEbEEZZNS1_14partition_implILS5_6ELb0ES3_mN6thrust23THRUST_200600_302600_NS6detail15normal_iteratorINSA_10device_ptrIyEEEEPS6_SG_NS0_5tupleIJSF_S6_EEENSH_IJSG_SG_EEES6_PlJNSB_9not_fun_tINSB_10functional5actorINSM_9compositeIJNSM_27transparent_binary_operatorINSA_8equal_toIvEEEENSN_INSM_8argumentILj0EEEEENSM_5valueIyEEEEEEEEEEEE10hipError_tPvRmT3_T4_T5_T6_T7_T9_mT8_P12ihipStream_tbDpT10_ENKUlT_T0_E_clISt17integral_constantIbLb1EES1J_IbLb0EEEEDaS1F_S1G_EUlS1F_E_NS1_11comp_targetILNS1_3genE8ELNS1_11target_archE1030ELNS1_3gpuE2ELNS1_3repE0EEENS1_30default_config_static_selectorELNS0_4arch9wavefront6targetE0EEEvT1_.has_indirect_call, 0
	.section	.AMDGPU.csdata,"",@progbits
; Kernel info:
; codeLenInByte = 0
; TotalNumSgprs: 0
; NumVgprs: 0
; ScratchSize: 0
; MemoryBound: 0
; FloatMode: 240
; IeeeMode: 1
; LDSByteSize: 0 bytes/workgroup (compile time only)
; SGPRBlocks: 0
; VGPRBlocks: 0
; NumSGPRsForWavesPerEU: 1
; NumVGPRsForWavesPerEU: 1
; Occupancy: 16
; WaveLimiterHint : 0
; COMPUTE_PGM_RSRC2:SCRATCH_EN: 0
; COMPUTE_PGM_RSRC2:USER_SGPR: 2
; COMPUTE_PGM_RSRC2:TRAP_HANDLER: 0
; COMPUTE_PGM_RSRC2:TGID_X_EN: 1
; COMPUTE_PGM_RSRC2:TGID_Y_EN: 0
; COMPUTE_PGM_RSRC2:TGID_Z_EN: 0
; COMPUTE_PGM_RSRC2:TIDIG_COMP_CNT: 0
	.section	.text._ZN7rocprim17ROCPRIM_400000_NS6detail17trampoline_kernelINS0_14default_configENS1_25partition_config_selectorILNS1_17partition_subalgoE6EyNS0_10empty_typeEbEEZZNS1_14partition_implILS5_6ELb0ES3_mN6thrust23THRUST_200600_302600_NS6detail15normal_iteratorINSA_10device_ptrIyEEEEPS6_SG_NS0_5tupleIJSF_S6_EEENSH_IJSG_SG_EEES6_PlJNSB_9not_fun_tINSB_10functional5actorINSM_9compositeIJNSM_27transparent_binary_operatorINSA_8equal_toIvEEEENSN_INSM_8argumentILj0EEEEENSM_5valueIyEEEEEEEEEEEE10hipError_tPvRmT3_T4_T5_T6_T7_T9_mT8_P12ihipStream_tbDpT10_ENKUlT_T0_E_clISt17integral_constantIbLb0EES1J_IbLb1EEEEDaS1F_S1G_EUlS1F_E_NS1_11comp_targetILNS1_3genE0ELNS1_11target_archE4294967295ELNS1_3gpuE0ELNS1_3repE0EEENS1_30default_config_static_selectorELNS0_4arch9wavefront6targetE0EEEvT1_,"axG",@progbits,_ZN7rocprim17ROCPRIM_400000_NS6detail17trampoline_kernelINS0_14default_configENS1_25partition_config_selectorILNS1_17partition_subalgoE6EyNS0_10empty_typeEbEEZZNS1_14partition_implILS5_6ELb0ES3_mN6thrust23THRUST_200600_302600_NS6detail15normal_iteratorINSA_10device_ptrIyEEEEPS6_SG_NS0_5tupleIJSF_S6_EEENSH_IJSG_SG_EEES6_PlJNSB_9not_fun_tINSB_10functional5actorINSM_9compositeIJNSM_27transparent_binary_operatorINSA_8equal_toIvEEEENSN_INSM_8argumentILj0EEEEENSM_5valueIyEEEEEEEEEEEE10hipError_tPvRmT3_T4_T5_T6_T7_T9_mT8_P12ihipStream_tbDpT10_ENKUlT_T0_E_clISt17integral_constantIbLb0EES1J_IbLb1EEEEDaS1F_S1G_EUlS1F_E_NS1_11comp_targetILNS1_3genE0ELNS1_11target_archE4294967295ELNS1_3gpuE0ELNS1_3repE0EEENS1_30default_config_static_selectorELNS0_4arch9wavefront6targetE0EEEvT1_,comdat
	.protected	_ZN7rocprim17ROCPRIM_400000_NS6detail17trampoline_kernelINS0_14default_configENS1_25partition_config_selectorILNS1_17partition_subalgoE6EyNS0_10empty_typeEbEEZZNS1_14partition_implILS5_6ELb0ES3_mN6thrust23THRUST_200600_302600_NS6detail15normal_iteratorINSA_10device_ptrIyEEEEPS6_SG_NS0_5tupleIJSF_S6_EEENSH_IJSG_SG_EEES6_PlJNSB_9not_fun_tINSB_10functional5actorINSM_9compositeIJNSM_27transparent_binary_operatorINSA_8equal_toIvEEEENSN_INSM_8argumentILj0EEEEENSM_5valueIyEEEEEEEEEEEE10hipError_tPvRmT3_T4_T5_T6_T7_T9_mT8_P12ihipStream_tbDpT10_ENKUlT_T0_E_clISt17integral_constantIbLb0EES1J_IbLb1EEEEDaS1F_S1G_EUlS1F_E_NS1_11comp_targetILNS1_3genE0ELNS1_11target_archE4294967295ELNS1_3gpuE0ELNS1_3repE0EEENS1_30default_config_static_selectorELNS0_4arch9wavefront6targetE0EEEvT1_ ; -- Begin function _ZN7rocprim17ROCPRIM_400000_NS6detail17trampoline_kernelINS0_14default_configENS1_25partition_config_selectorILNS1_17partition_subalgoE6EyNS0_10empty_typeEbEEZZNS1_14partition_implILS5_6ELb0ES3_mN6thrust23THRUST_200600_302600_NS6detail15normal_iteratorINSA_10device_ptrIyEEEEPS6_SG_NS0_5tupleIJSF_S6_EEENSH_IJSG_SG_EEES6_PlJNSB_9not_fun_tINSB_10functional5actorINSM_9compositeIJNSM_27transparent_binary_operatorINSA_8equal_toIvEEEENSN_INSM_8argumentILj0EEEEENSM_5valueIyEEEEEEEEEEEE10hipError_tPvRmT3_T4_T5_T6_T7_T9_mT8_P12ihipStream_tbDpT10_ENKUlT_T0_E_clISt17integral_constantIbLb0EES1J_IbLb1EEEEDaS1F_S1G_EUlS1F_E_NS1_11comp_targetILNS1_3genE0ELNS1_11target_archE4294967295ELNS1_3gpuE0ELNS1_3repE0EEENS1_30default_config_static_selectorELNS0_4arch9wavefront6targetE0EEEvT1_
	.globl	_ZN7rocprim17ROCPRIM_400000_NS6detail17trampoline_kernelINS0_14default_configENS1_25partition_config_selectorILNS1_17partition_subalgoE6EyNS0_10empty_typeEbEEZZNS1_14partition_implILS5_6ELb0ES3_mN6thrust23THRUST_200600_302600_NS6detail15normal_iteratorINSA_10device_ptrIyEEEEPS6_SG_NS0_5tupleIJSF_S6_EEENSH_IJSG_SG_EEES6_PlJNSB_9not_fun_tINSB_10functional5actorINSM_9compositeIJNSM_27transparent_binary_operatorINSA_8equal_toIvEEEENSN_INSM_8argumentILj0EEEEENSM_5valueIyEEEEEEEEEEEE10hipError_tPvRmT3_T4_T5_T6_T7_T9_mT8_P12ihipStream_tbDpT10_ENKUlT_T0_E_clISt17integral_constantIbLb0EES1J_IbLb1EEEEDaS1F_S1G_EUlS1F_E_NS1_11comp_targetILNS1_3genE0ELNS1_11target_archE4294967295ELNS1_3gpuE0ELNS1_3repE0EEENS1_30default_config_static_selectorELNS0_4arch9wavefront6targetE0EEEvT1_
	.p2align	8
	.type	_ZN7rocprim17ROCPRIM_400000_NS6detail17trampoline_kernelINS0_14default_configENS1_25partition_config_selectorILNS1_17partition_subalgoE6EyNS0_10empty_typeEbEEZZNS1_14partition_implILS5_6ELb0ES3_mN6thrust23THRUST_200600_302600_NS6detail15normal_iteratorINSA_10device_ptrIyEEEEPS6_SG_NS0_5tupleIJSF_S6_EEENSH_IJSG_SG_EEES6_PlJNSB_9not_fun_tINSB_10functional5actorINSM_9compositeIJNSM_27transparent_binary_operatorINSA_8equal_toIvEEEENSN_INSM_8argumentILj0EEEEENSM_5valueIyEEEEEEEEEEEE10hipError_tPvRmT3_T4_T5_T6_T7_T9_mT8_P12ihipStream_tbDpT10_ENKUlT_T0_E_clISt17integral_constantIbLb0EES1J_IbLb1EEEEDaS1F_S1G_EUlS1F_E_NS1_11comp_targetILNS1_3genE0ELNS1_11target_archE4294967295ELNS1_3gpuE0ELNS1_3repE0EEENS1_30default_config_static_selectorELNS0_4arch9wavefront6targetE0EEEvT1_,@function
_ZN7rocprim17ROCPRIM_400000_NS6detail17trampoline_kernelINS0_14default_configENS1_25partition_config_selectorILNS1_17partition_subalgoE6EyNS0_10empty_typeEbEEZZNS1_14partition_implILS5_6ELb0ES3_mN6thrust23THRUST_200600_302600_NS6detail15normal_iteratorINSA_10device_ptrIyEEEEPS6_SG_NS0_5tupleIJSF_S6_EEENSH_IJSG_SG_EEES6_PlJNSB_9not_fun_tINSB_10functional5actorINSM_9compositeIJNSM_27transparent_binary_operatorINSA_8equal_toIvEEEENSN_INSM_8argumentILj0EEEEENSM_5valueIyEEEEEEEEEEEE10hipError_tPvRmT3_T4_T5_T6_T7_T9_mT8_P12ihipStream_tbDpT10_ENKUlT_T0_E_clISt17integral_constantIbLb0EES1J_IbLb1EEEEDaS1F_S1G_EUlS1F_E_NS1_11comp_targetILNS1_3genE0ELNS1_11target_archE4294967295ELNS1_3gpuE0ELNS1_3repE0EEENS1_30default_config_static_selectorELNS0_4arch9wavefront6targetE0EEEvT1_: ; @_ZN7rocprim17ROCPRIM_400000_NS6detail17trampoline_kernelINS0_14default_configENS1_25partition_config_selectorILNS1_17partition_subalgoE6EyNS0_10empty_typeEbEEZZNS1_14partition_implILS5_6ELb0ES3_mN6thrust23THRUST_200600_302600_NS6detail15normal_iteratorINSA_10device_ptrIyEEEEPS6_SG_NS0_5tupleIJSF_S6_EEENSH_IJSG_SG_EEES6_PlJNSB_9not_fun_tINSB_10functional5actorINSM_9compositeIJNSM_27transparent_binary_operatorINSA_8equal_toIvEEEENSN_INSM_8argumentILj0EEEEENSM_5valueIyEEEEEEEEEEEE10hipError_tPvRmT3_T4_T5_T6_T7_T9_mT8_P12ihipStream_tbDpT10_ENKUlT_T0_E_clISt17integral_constantIbLb0EES1J_IbLb1EEEEDaS1F_S1G_EUlS1F_E_NS1_11comp_targetILNS1_3genE0ELNS1_11target_archE4294967295ELNS1_3gpuE0ELNS1_3repE0EEENS1_30default_config_static_selectorELNS0_4arch9wavefront6targetE0EEEvT1_
; %bb.0:
	.section	.rodata,"a",@progbits
	.p2align	6, 0x0
	.amdhsa_kernel _ZN7rocprim17ROCPRIM_400000_NS6detail17trampoline_kernelINS0_14default_configENS1_25partition_config_selectorILNS1_17partition_subalgoE6EyNS0_10empty_typeEbEEZZNS1_14partition_implILS5_6ELb0ES3_mN6thrust23THRUST_200600_302600_NS6detail15normal_iteratorINSA_10device_ptrIyEEEEPS6_SG_NS0_5tupleIJSF_S6_EEENSH_IJSG_SG_EEES6_PlJNSB_9not_fun_tINSB_10functional5actorINSM_9compositeIJNSM_27transparent_binary_operatorINSA_8equal_toIvEEEENSN_INSM_8argumentILj0EEEEENSM_5valueIyEEEEEEEEEEEE10hipError_tPvRmT3_T4_T5_T6_T7_T9_mT8_P12ihipStream_tbDpT10_ENKUlT_T0_E_clISt17integral_constantIbLb0EES1J_IbLb1EEEEDaS1F_S1G_EUlS1F_E_NS1_11comp_targetILNS1_3genE0ELNS1_11target_archE4294967295ELNS1_3gpuE0ELNS1_3repE0EEENS1_30default_config_static_selectorELNS0_4arch9wavefront6targetE0EEEvT1_
		.amdhsa_group_segment_fixed_size 0
		.amdhsa_private_segment_fixed_size 0
		.amdhsa_kernarg_size 136
		.amdhsa_user_sgpr_count 2
		.amdhsa_user_sgpr_dispatch_ptr 0
		.amdhsa_user_sgpr_queue_ptr 0
		.amdhsa_user_sgpr_kernarg_segment_ptr 1
		.amdhsa_user_sgpr_dispatch_id 0
		.amdhsa_user_sgpr_private_segment_size 0
		.amdhsa_wavefront_size32 1
		.amdhsa_uses_dynamic_stack 0
		.amdhsa_enable_private_segment 0
		.amdhsa_system_sgpr_workgroup_id_x 1
		.amdhsa_system_sgpr_workgroup_id_y 0
		.amdhsa_system_sgpr_workgroup_id_z 0
		.amdhsa_system_sgpr_workgroup_info 0
		.amdhsa_system_vgpr_workitem_id 0
		.amdhsa_next_free_vgpr 1
		.amdhsa_next_free_sgpr 1
		.amdhsa_reserve_vcc 0
		.amdhsa_float_round_mode_32 0
		.amdhsa_float_round_mode_16_64 0
		.amdhsa_float_denorm_mode_32 3
		.amdhsa_float_denorm_mode_16_64 3
		.amdhsa_fp16_overflow 0
		.amdhsa_workgroup_processor_mode 1
		.amdhsa_memory_ordered 1
		.amdhsa_forward_progress 1
		.amdhsa_inst_pref_size 0
		.amdhsa_round_robin_scheduling 0
		.amdhsa_exception_fp_ieee_invalid_op 0
		.amdhsa_exception_fp_denorm_src 0
		.amdhsa_exception_fp_ieee_div_zero 0
		.amdhsa_exception_fp_ieee_overflow 0
		.amdhsa_exception_fp_ieee_underflow 0
		.amdhsa_exception_fp_ieee_inexact 0
		.amdhsa_exception_int_div_zero 0
	.end_amdhsa_kernel
	.section	.text._ZN7rocprim17ROCPRIM_400000_NS6detail17trampoline_kernelINS0_14default_configENS1_25partition_config_selectorILNS1_17partition_subalgoE6EyNS0_10empty_typeEbEEZZNS1_14partition_implILS5_6ELb0ES3_mN6thrust23THRUST_200600_302600_NS6detail15normal_iteratorINSA_10device_ptrIyEEEEPS6_SG_NS0_5tupleIJSF_S6_EEENSH_IJSG_SG_EEES6_PlJNSB_9not_fun_tINSB_10functional5actorINSM_9compositeIJNSM_27transparent_binary_operatorINSA_8equal_toIvEEEENSN_INSM_8argumentILj0EEEEENSM_5valueIyEEEEEEEEEEEE10hipError_tPvRmT3_T4_T5_T6_T7_T9_mT8_P12ihipStream_tbDpT10_ENKUlT_T0_E_clISt17integral_constantIbLb0EES1J_IbLb1EEEEDaS1F_S1G_EUlS1F_E_NS1_11comp_targetILNS1_3genE0ELNS1_11target_archE4294967295ELNS1_3gpuE0ELNS1_3repE0EEENS1_30default_config_static_selectorELNS0_4arch9wavefront6targetE0EEEvT1_,"axG",@progbits,_ZN7rocprim17ROCPRIM_400000_NS6detail17trampoline_kernelINS0_14default_configENS1_25partition_config_selectorILNS1_17partition_subalgoE6EyNS0_10empty_typeEbEEZZNS1_14partition_implILS5_6ELb0ES3_mN6thrust23THRUST_200600_302600_NS6detail15normal_iteratorINSA_10device_ptrIyEEEEPS6_SG_NS0_5tupleIJSF_S6_EEENSH_IJSG_SG_EEES6_PlJNSB_9not_fun_tINSB_10functional5actorINSM_9compositeIJNSM_27transparent_binary_operatorINSA_8equal_toIvEEEENSN_INSM_8argumentILj0EEEEENSM_5valueIyEEEEEEEEEEEE10hipError_tPvRmT3_T4_T5_T6_T7_T9_mT8_P12ihipStream_tbDpT10_ENKUlT_T0_E_clISt17integral_constantIbLb0EES1J_IbLb1EEEEDaS1F_S1G_EUlS1F_E_NS1_11comp_targetILNS1_3genE0ELNS1_11target_archE4294967295ELNS1_3gpuE0ELNS1_3repE0EEENS1_30default_config_static_selectorELNS0_4arch9wavefront6targetE0EEEvT1_,comdat
.Lfunc_end104:
	.size	_ZN7rocprim17ROCPRIM_400000_NS6detail17trampoline_kernelINS0_14default_configENS1_25partition_config_selectorILNS1_17partition_subalgoE6EyNS0_10empty_typeEbEEZZNS1_14partition_implILS5_6ELb0ES3_mN6thrust23THRUST_200600_302600_NS6detail15normal_iteratorINSA_10device_ptrIyEEEEPS6_SG_NS0_5tupleIJSF_S6_EEENSH_IJSG_SG_EEES6_PlJNSB_9not_fun_tINSB_10functional5actorINSM_9compositeIJNSM_27transparent_binary_operatorINSA_8equal_toIvEEEENSN_INSM_8argumentILj0EEEEENSM_5valueIyEEEEEEEEEEEE10hipError_tPvRmT3_T4_T5_T6_T7_T9_mT8_P12ihipStream_tbDpT10_ENKUlT_T0_E_clISt17integral_constantIbLb0EES1J_IbLb1EEEEDaS1F_S1G_EUlS1F_E_NS1_11comp_targetILNS1_3genE0ELNS1_11target_archE4294967295ELNS1_3gpuE0ELNS1_3repE0EEENS1_30default_config_static_selectorELNS0_4arch9wavefront6targetE0EEEvT1_, .Lfunc_end104-_ZN7rocprim17ROCPRIM_400000_NS6detail17trampoline_kernelINS0_14default_configENS1_25partition_config_selectorILNS1_17partition_subalgoE6EyNS0_10empty_typeEbEEZZNS1_14partition_implILS5_6ELb0ES3_mN6thrust23THRUST_200600_302600_NS6detail15normal_iteratorINSA_10device_ptrIyEEEEPS6_SG_NS0_5tupleIJSF_S6_EEENSH_IJSG_SG_EEES6_PlJNSB_9not_fun_tINSB_10functional5actorINSM_9compositeIJNSM_27transparent_binary_operatorINSA_8equal_toIvEEEENSN_INSM_8argumentILj0EEEEENSM_5valueIyEEEEEEEEEEEE10hipError_tPvRmT3_T4_T5_T6_T7_T9_mT8_P12ihipStream_tbDpT10_ENKUlT_T0_E_clISt17integral_constantIbLb0EES1J_IbLb1EEEEDaS1F_S1G_EUlS1F_E_NS1_11comp_targetILNS1_3genE0ELNS1_11target_archE4294967295ELNS1_3gpuE0ELNS1_3repE0EEENS1_30default_config_static_selectorELNS0_4arch9wavefront6targetE0EEEvT1_
                                        ; -- End function
	.set _ZN7rocprim17ROCPRIM_400000_NS6detail17trampoline_kernelINS0_14default_configENS1_25partition_config_selectorILNS1_17partition_subalgoE6EyNS0_10empty_typeEbEEZZNS1_14partition_implILS5_6ELb0ES3_mN6thrust23THRUST_200600_302600_NS6detail15normal_iteratorINSA_10device_ptrIyEEEEPS6_SG_NS0_5tupleIJSF_S6_EEENSH_IJSG_SG_EEES6_PlJNSB_9not_fun_tINSB_10functional5actorINSM_9compositeIJNSM_27transparent_binary_operatorINSA_8equal_toIvEEEENSN_INSM_8argumentILj0EEEEENSM_5valueIyEEEEEEEEEEEE10hipError_tPvRmT3_T4_T5_T6_T7_T9_mT8_P12ihipStream_tbDpT10_ENKUlT_T0_E_clISt17integral_constantIbLb0EES1J_IbLb1EEEEDaS1F_S1G_EUlS1F_E_NS1_11comp_targetILNS1_3genE0ELNS1_11target_archE4294967295ELNS1_3gpuE0ELNS1_3repE0EEENS1_30default_config_static_selectorELNS0_4arch9wavefront6targetE0EEEvT1_.num_vgpr, 0
	.set _ZN7rocprim17ROCPRIM_400000_NS6detail17trampoline_kernelINS0_14default_configENS1_25partition_config_selectorILNS1_17partition_subalgoE6EyNS0_10empty_typeEbEEZZNS1_14partition_implILS5_6ELb0ES3_mN6thrust23THRUST_200600_302600_NS6detail15normal_iteratorINSA_10device_ptrIyEEEEPS6_SG_NS0_5tupleIJSF_S6_EEENSH_IJSG_SG_EEES6_PlJNSB_9not_fun_tINSB_10functional5actorINSM_9compositeIJNSM_27transparent_binary_operatorINSA_8equal_toIvEEEENSN_INSM_8argumentILj0EEEEENSM_5valueIyEEEEEEEEEEEE10hipError_tPvRmT3_T4_T5_T6_T7_T9_mT8_P12ihipStream_tbDpT10_ENKUlT_T0_E_clISt17integral_constantIbLb0EES1J_IbLb1EEEEDaS1F_S1G_EUlS1F_E_NS1_11comp_targetILNS1_3genE0ELNS1_11target_archE4294967295ELNS1_3gpuE0ELNS1_3repE0EEENS1_30default_config_static_selectorELNS0_4arch9wavefront6targetE0EEEvT1_.num_agpr, 0
	.set _ZN7rocprim17ROCPRIM_400000_NS6detail17trampoline_kernelINS0_14default_configENS1_25partition_config_selectorILNS1_17partition_subalgoE6EyNS0_10empty_typeEbEEZZNS1_14partition_implILS5_6ELb0ES3_mN6thrust23THRUST_200600_302600_NS6detail15normal_iteratorINSA_10device_ptrIyEEEEPS6_SG_NS0_5tupleIJSF_S6_EEENSH_IJSG_SG_EEES6_PlJNSB_9not_fun_tINSB_10functional5actorINSM_9compositeIJNSM_27transparent_binary_operatorINSA_8equal_toIvEEEENSN_INSM_8argumentILj0EEEEENSM_5valueIyEEEEEEEEEEEE10hipError_tPvRmT3_T4_T5_T6_T7_T9_mT8_P12ihipStream_tbDpT10_ENKUlT_T0_E_clISt17integral_constantIbLb0EES1J_IbLb1EEEEDaS1F_S1G_EUlS1F_E_NS1_11comp_targetILNS1_3genE0ELNS1_11target_archE4294967295ELNS1_3gpuE0ELNS1_3repE0EEENS1_30default_config_static_selectorELNS0_4arch9wavefront6targetE0EEEvT1_.numbered_sgpr, 0
	.set _ZN7rocprim17ROCPRIM_400000_NS6detail17trampoline_kernelINS0_14default_configENS1_25partition_config_selectorILNS1_17partition_subalgoE6EyNS0_10empty_typeEbEEZZNS1_14partition_implILS5_6ELb0ES3_mN6thrust23THRUST_200600_302600_NS6detail15normal_iteratorINSA_10device_ptrIyEEEEPS6_SG_NS0_5tupleIJSF_S6_EEENSH_IJSG_SG_EEES6_PlJNSB_9not_fun_tINSB_10functional5actorINSM_9compositeIJNSM_27transparent_binary_operatorINSA_8equal_toIvEEEENSN_INSM_8argumentILj0EEEEENSM_5valueIyEEEEEEEEEEEE10hipError_tPvRmT3_T4_T5_T6_T7_T9_mT8_P12ihipStream_tbDpT10_ENKUlT_T0_E_clISt17integral_constantIbLb0EES1J_IbLb1EEEEDaS1F_S1G_EUlS1F_E_NS1_11comp_targetILNS1_3genE0ELNS1_11target_archE4294967295ELNS1_3gpuE0ELNS1_3repE0EEENS1_30default_config_static_selectorELNS0_4arch9wavefront6targetE0EEEvT1_.num_named_barrier, 0
	.set _ZN7rocprim17ROCPRIM_400000_NS6detail17trampoline_kernelINS0_14default_configENS1_25partition_config_selectorILNS1_17partition_subalgoE6EyNS0_10empty_typeEbEEZZNS1_14partition_implILS5_6ELb0ES3_mN6thrust23THRUST_200600_302600_NS6detail15normal_iteratorINSA_10device_ptrIyEEEEPS6_SG_NS0_5tupleIJSF_S6_EEENSH_IJSG_SG_EEES6_PlJNSB_9not_fun_tINSB_10functional5actorINSM_9compositeIJNSM_27transparent_binary_operatorINSA_8equal_toIvEEEENSN_INSM_8argumentILj0EEEEENSM_5valueIyEEEEEEEEEEEE10hipError_tPvRmT3_T4_T5_T6_T7_T9_mT8_P12ihipStream_tbDpT10_ENKUlT_T0_E_clISt17integral_constantIbLb0EES1J_IbLb1EEEEDaS1F_S1G_EUlS1F_E_NS1_11comp_targetILNS1_3genE0ELNS1_11target_archE4294967295ELNS1_3gpuE0ELNS1_3repE0EEENS1_30default_config_static_selectorELNS0_4arch9wavefront6targetE0EEEvT1_.private_seg_size, 0
	.set _ZN7rocprim17ROCPRIM_400000_NS6detail17trampoline_kernelINS0_14default_configENS1_25partition_config_selectorILNS1_17partition_subalgoE6EyNS0_10empty_typeEbEEZZNS1_14partition_implILS5_6ELb0ES3_mN6thrust23THRUST_200600_302600_NS6detail15normal_iteratorINSA_10device_ptrIyEEEEPS6_SG_NS0_5tupleIJSF_S6_EEENSH_IJSG_SG_EEES6_PlJNSB_9not_fun_tINSB_10functional5actorINSM_9compositeIJNSM_27transparent_binary_operatorINSA_8equal_toIvEEEENSN_INSM_8argumentILj0EEEEENSM_5valueIyEEEEEEEEEEEE10hipError_tPvRmT3_T4_T5_T6_T7_T9_mT8_P12ihipStream_tbDpT10_ENKUlT_T0_E_clISt17integral_constantIbLb0EES1J_IbLb1EEEEDaS1F_S1G_EUlS1F_E_NS1_11comp_targetILNS1_3genE0ELNS1_11target_archE4294967295ELNS1_3gpuE0ELNS1_3repE0EEENS1_30default_config_static_selectorELNS0_4arch9wavefront6targetE0EEEvT1_.uses_vcc, 0
	.set _ZN7rocprim17ROCPRIM_400000_NS6detail17trampoline_kernelINS0_14default_configENS1_25partition_config_selectorILNS1_17partition_subalgoE6EyNS0_10empty_typeEbEEZZNS1_14partition_implILS5_6ELb0ES3_mN6thrust23THRUST_200600_302600_NS6detail15normal_iteratorINSA_10device_ptrIyEEEEPS6_SG_NS0_5tupleIJSF_S6_EEENSH_IJSG_SG_EEES6_PlJNSB_9not_fun_tINSB_10functional5actorINSM_9compositeIJNSM_27transparent_binary_operatorINSA_8equal_toIvEEEENSN_INSM_8argumentILj0EEEEENSM_5valueIyEEEEEEEEEEEE10hipError_tPvRmT3_T4_T5_T6_T7_T9_mT8_P12ihipStream_tbDpT10_ENKUlT_T0_E_clISt17integral_constantIbLb0EES1J_IbLb1EEEEDaS1F_S1G_EUlS1F_E_NS1_11comp_targetILNS1_3genE0ELNS1_11target_archE4294967295ELNS1_3gpuE0ELNS1_3repE0EEENS1_30default_config_static_selectorELNS0_4arch9wavefront6targetE0EEEvT1_.uses_flat_scratch, 0
	.set _ZN7rocprim17ROCPRIM_400000_NS6detail17trampoline_kernelINS0_14default_configENS1_25partition_config_selectorILNS1_17partition_subalgoE6EyNS0_10empty_typeEbEEZZNS1_14partition_implILS5_6ELb0ES3_mN6thrust23THRUST_200600_302600_NS6detail15normal_iteratorINSA_10device_ptrIyEEEEPS6_SG_NS0_5tupleIJSF_S6_EEENSH_IJSG_SG_EEES6_PlJNSB_9not_fun_tINSB_10functional5actorINSM_9compositeIJNSM_27transparent_binary_operatorINSA_8equal_toIvEEEENSN_INSM_8argumentILj0EEEEENSM_5valueIyEEEEEEEEEEEE10hipError_tPvRmT3_T4_T5_T6_T7_T9_mT8_P12ihipStream_tbDpT10_ENKUlT_T0_E_clISt17integral_constantIbLb0EES1J_IbLb1EEEEDaS1F_S1G_EUlS1F_E_NS1_11comp_targetILNS1_3genE0ELNS1_11target_archE4294967295ELNS1_3gpuE0ELNS1_3repE0EEENS1_30default_config_static_selectorELNS0_4arch9wavefront6targetE0EEEvT1_.has_dyn_sized_stack, 0
	.set _ZN7rocprim17ROCPRIM_400000_NS6detail17trampoline_kernelINS0_14default_configENS1_25partition_config_selectorILNS1_17partition_subalgoE6EyNS0_10empty_typeEbEEZZNS1_14partition_implILS5_6ELb0ES3_mN6thrust23THRUST_200600_302600_NS6detail15normal_iteratorINSA_10device_ptrIyEEEEPS6_SG_NS0_5tupleIJSF_S6_EEENSH_IJSG_SG_EEES6_PlJNSB_9not_fun_tINSB_10functional5actorINSM_9compositeIJNSM_27transparent_binary_operatorINSA_8equal_toIvEEEENSN_INSM_8argumentILj0EEEEENSM_5valueIyEEEEEEEEEEEE10hipError_tPvRmT3_T4_T5_T6_T7_T9_mT8_P12ihipStream_tbDpT10_ENKUlT_T0_E_clISt17integral_constantIbLb0EES1J_IbLb1EEEEDaS1F_S1G_EUlS1F_E_NS1_11comp_targetILNS1_3genE0ELNS1_11target_archE4294967295ELNS1_3gpuE0ELNS1_3repE0EEENS1_30default_config_static_selectorELNS0_4arch9wavefront6targetE0EEEvT1_.has_recursion, 0
	.set _ZN7rocprim17ROCPRIM_400000_NS6detail17trampoline_kernelINS0_14default_configENS1_25partition_config_selectorILNS1_17partition_subalgoE6EyNS0_10empty_typeEbEEZZNS1_14partition_implILS5_6ELb0ES3_mN6thrust23THRUST_200600_302600_NS6detail15normal_iteratorINSA_10device_ptrIyEEEEPS6_SG_NS0_5tupleIJSF_S6_EEENSH_IJSG_SG_EEES6_PlJNSB_9not_fun_tINSB_10functional5actorINSM_9compositeIJNSM_27transparent_binary_operatorINSA_8equal_toIvEEEENSN_INSM_8argumentILj0EEEEENSM_5valueIyEEEEEEEEEEEE10hipError_tPvRmT3_T4_T5_T6_T7_T9_mT8_P12ihipStream_tbDpT10_ENKUlT_T0_E_clISt17integral_constantIbLb0EES1J_IbLb1EEEEDaS1F_S1G_EUlS1F_E_NS1_11comp_targetILNS1_3genE0ELNS1_11target_archE4294967295ELNS1_3gpuE0ELNS1_3repE0EEENS1_30default_config_static_selectorELNS0_4arch9wavefront6targetE0EEEvT1_.has_indirect_call, 0
	.section	.AMDGPU.csdata,"",@progbits
; Kernel info:
; codeLenInByte = 0
; TotalNumSgprs: 0
; NumVgprs: 0
; ScratchSize: 0
; MemoryBound: 0
; FloatMode: 240
; IeeeMode: 1
; LDSByteSize: 0 bytes/workgroup (compile time only)
; SGPRBlocks: 0
; VGPRBlocks: 0
; NumSGPRsForWavesPerEU: 1
; NumVGPRsForWavesPerEU: 1
; Occupancy: 16
; WaveLimiterHint : 0
; COMPUTE_PGM_RSRC2:SCRATCH_EN: 0
; COMPUTE_PGM_RSRC2:USER_SGPR: 2
; COMPUTE_PGM_RSRC2:TRAP_HANDLER: 0
; COMPUTE_PGM_RSRC2:TGID_X_EN: 1
; COMPUTE_PGM_RSRC2:TGID_Y_EN: 0
; COMPUTE_PGM_RSRC2:TGID_Z_EN: 0
; COMPUTE_PGM_RSRC2:TIDIG_COMP_CNT: 0
	.section	.text._ZN7rocprim17ROCPRIM_400000_NS6detail17trampoline_kernelINS0_14default_configENS1_25partition_config_selectorILNS1_17partition_subalgoE6EyNS0_10empty_typeEbEEZZNS1_14partition_implILS5_6ELb0ES3_mN6thrust23THRUST_200600_302600_NS6detail15normal_iteratorINSA_10device_ptrIyEEEEPS6_SG_NS0_5tupleIJSF_S6_EEENSH_IJSG_SG_EEES6_PlJNSB_9not_fun_tINSB_10functional5actorINSM_9compositeIJNSM_27transparent_binary_operatorINSA_8equal_toIvEEEENSN_INSM_8argumentILj0EEEEENSM_5valueIyEEEEEEEEEEEE10hipError_tPvRmT3_T4_T5_T6_T7_T9_mT8_P12ihipStream_tbDpT10_ENKUlT_T0_E_clISt17integral_constantIbLb0EES1J_IbLb1EEEEDaS1F_S1G_EUlS1F_E_NS1_11comp_targetILNS1_3genE5ELNS1_11target_archE942ELNS1_3gpuE9ELNS1_3repE0EEENS1_30default_config_static_selectorELNS0_4arch9wavefront6targetE0EEEvT1_,"axG",@progbits,_ZN7rocprim17ROCPRIM_400000_NS6detail17trampoline_kernelINS0_14default_configENS1_25partition_config_selectorILNS1_17partition_subalgoE6EyNS0_10empty_typeEbEEZZNS1_14partition_implILS5_6ELb0ES3_mN6thrust23THRUST_200600_302600_NS6detail15normal_iteratorINSA_10device_ptrIyEEEEPS6_SG_NS0_5tupleIJSF_S6_EEENSH_IJSG_SG_EEES6_PlJNSB_9not_fun_tINSB_10functional5actorINSM_9compositeIJNSM_27transparent_binary_operatorINSA_8equal_toIvEEEENSN_INSM_8argumentILj0EEEEENSM_5valueIyEEEEEEEEEEEE10hipError_tPvRmT3_T4_T5_T6_T7_T9_mT8_P12ihipStream_tbDpT10_ENKUlT_T0_E_clISt17integral_constantIbLb0EES1J_IbLb1EEEEDaS1F_S1G_EUlS1F_E_NS1_11comp_targetILNS1_3genE5ELNS1_11target_archE942ELNS1_3gpuE9ELNS1_3repE0EEENS1_30default_config_static_selectorELNS0_4arch9wavefront6targetE0EEEvT1_,comdat
	.protected	_ZN7rocprim17ROCPRIM_400000_NS6detail17trampoline_kernelINS0_14default_configENS1_25partition_config_selectorILNS1_17partition_subalgoE6EyNS0_10empty_typeEbEEZZNS1_14partition_implILS5_6ELb0ES3_mN6thrust23THRUST_200600_302600_NS6detail15normal_iteratorINSA_10device_ptrIyEEEEPS6_SG_NS0_5tupleIJSF_S6_EEENSH_IJSG_SG_EEES6_PlJNSB_9not_fun_tINSB_10functional5actorINSM_9compositeIJNSM_27transparent_binary_operatorINSA_8equal_toIvEEEENSN_INSM_8argumentILj0EEEEENSM_5valueIyEEEEEEEEEEEE10hipError_tPvRmT3_T4_T5_T6_T7_T9_mT8_P12ihipStream_tbDpT10_ENKUlT_T0_E_clISt17integral_constantIbLb0EES1J_IbLb1EEEEDaS1F_S1G_EUlS1F_E_NS1_11comp_targetILNS1_3genE5ELNS1_11target_archE942ELNS1_3gpuE9ELNS1_3repE0EEENS1_30default_config_static_selectorELNS0_4arch9wavefront6targetE0EEEvT1_ ; -- Begin function _ZN7rocprim17ROCPRIM_400000_NS6detail17trampoline_kernelINS0_14default_configENS1_25partition_config_selectorILNS1_17partition_subalgoE6EyNS0_10empty_typeEbEEZZNS1_14partition_implILS5_6ELb0ES3_mN6thrust23THRUST_200600_302600_NS6detail15normal_iteratorINSA_10device_ptrIyEEEEPS6_SG_NS0_5tupleIJSF_S6_EEENSH_IJSG_SG_EEES6_PlJNSB_9not_fun_tINSB_10functional5actorINSM_9compositeIJNSM_27transparent_binary_operatorINSA_8equal_toIvEEEENSN_INSM_8argumentILj0EEEEENSM_5valueIyEEEEEEEEEEEE10hipError_tPvRmT3_T4_T5_T6_T7_T9_mT8_P12ihipStream_tbDpT10_ENKUlT_T0_E_clISt17integral_constantIbLb0EES1J_IbLb1EEEEDaS1F_S1G_EUlS1F_E_NS1_11comp_targetILNS1_3genE5ELNS1_11target_archE942ELNS1_3gpuE9ELNS1_3repE0EEENS1_30default_config_static_selectorELNS0_4arch9wavefront6targetE0EEEvT1_
	.globl	_ZN7rocprim17ROCPRIM_400000_NS6detail17trampoline_kernelINS0_14default_configENS1_25partition_config_selectorILNS1_17partition_subalgoE6EyNS0_10empty_typeEbEEZZNS1_14partition_implILS5_6ELb0ES3_mN6thrust23THRUST_200600_302600_NS6detail15normal_iteratorINSA_10device_ptrIyEEEEPS6_SG_NS0_5tupleIJSF_S6_EEENSH_IJSG_SG_EEES6_PlJNSB_9not_fun_tINSB_10functional5actorINSM_9compositeIJNSM_27transparent_binary_operatorINSA_8equal_toIvEEEENSN_INSM_8argumentILj0EEEEENSM_5valueIyEEEEEEEEEEEE10hipError_tPvRmT3_T4_T5_T6_T7_T9_mT8_P12ihipStream_tbDpT10_ENKUlT_T0_E_clISt17integral_constantIbLb0EES1J_IbLb1EEEEDaS1F_S1G_EUlS1F_E_NS1_11comp_targetILNS1_3genE5ELNS1_11target_archE942ELNS1_3gpuE9ELNS1_3repE0EEENS1_30default_config_static_selectorELNS0_4arch9wavefront6targetE0EEEvT1_
	.p2align	8
	.type	_ZN7rocprim17ROCPRIM_400000_NS6detail17trampoline_kernelINS0_14default_configENS1_25partition_config_selectorILNS1_17partition_subalgoE6EyNS0_10empty_typeEbEEZZNS1_14partition_implILS5_6ELb0ES3_mN6thrust23THRUST_200600_302600_NS6detail15normal_iteratorINSA_10device_ptrIyEEEEPS6_SG_NS0_5tupleIJSF_S6_EEENSH_IJSG_SG_EEES6_PlJNSB_9not_fun_tINSB_10functional5actorINSM_9compositeIJNSM_27transparent_binary_operatorINSA_8equal_toIvEEEENSN_INSM_8argumentILj0EEEEENSM_5valueIyEEEEEEEEEEEE10hipError_tPvRmT3_T4_T5_T6_T7_T9_mT8_P12ihipStream_tbDpT10_ENKUlT_T0_E_clISt17integral_constantIbLb0EES1J_IbLb1EEEEDaS1F_S1G_EUlS1F_E_NS1_11comp_targetILNS1_3genE5ELNS1_11target_archE942ELNS1_3gpuE9ELNS1_3repE0EEENS1_30default_config_static_selectorELNS0_4arch9wavefront6targetE0EEEvT1_,@function
_ZN7rocprim17ROCPRIM_400000_NS6detail17trampoline_kernelINS0_14default_configENS1_25partition_config_selectorILNS1_17partition_subalgoE6EyNS0_10empty_typeEbEEZZNS1_14partition_implILS5_6ELb0ES3_mN6thrust23THRUST_200600_302600_NS6detail15normal_iteratorINSA_10device_ptrIyEEEEPS6_SG_NS0_5tupleIJSF_S6_EEENSH_IJSG_SG_EEES6_PlJNSB_9not_fun_tINSB_10functional5actorINSM_9compositeIJNSM_27transparent_binary_operatorINSA_8equal_toIvEEEENSN_INSM_8argumentILj0EEEEENSM_5valueIyEEEEEEEEEEEE10hipError_tPvRmT3_T4_T5_T6_T7_T9_mT8_P12ihipStream_tbDpT10_ENKUlT_T0_E_clISt17integral_constantIbLb0EES1J_IbLb1EEEEDaS1F_S1G_EUlS1F_E_NS1_11comp_targetILNS1_3genE5ELNS1_11target_archE942ELNS1_3gpuE9ELNS1_3repE0EEENS1_30default_config_static_selectorELNS0_4arch9wavefront6targetE0EEEvT1_: ; @_ZN7rocprim17ROCPRIM_400000_NS6detail17trampoline_kernelINS0_14default_configENS1_25partition_config_selectorILNS1_17partition_subalgoE6EyNS0_10empty_typeEbEEZZNS1_14partition_implILS5_6ELb0ES3_mN6thrust23THRUST_200600_302600_NS6detail15normal_iteratorINSA_10device_ptrIyEEEEPS6_SG_NS0_5tupleIJSF_S6_EEENSH_IJSG_SG_EEES6_PlJNSB_9not_fun_tINSB_10functional5actorINSM_9compositeIJNSM_27transparent_binary_operatorINSA_8equal_toIvEEEENSN_INSM_8argumentILj0EEEEENSM_5valueIyEEEEEEEEEEEE10hipError_tPvRmT3_T4_T5_T6_T7_T9_mT8_P12ihipStream_tbDpT10_ENKUlT_T0_E_clISt17integral_constantIbLb0EES1J_IbLb1EEEEDaS1F_S1G_EUlS1F_E_NS1_11comp_targetILNS1_3genE5ELNS1_11target_archE942ELNS1_3gpuE9ELNS1_3repE0EEENS1_30default_config_static_selectorELNS0_4arch9wavefront6targetE0EEEvT1_
; %bb.0:
	.section	.rodata,"a",@progbits
	.p2align	6, 0x0
	.amdhsa_kernel _ZN7rocprim17ROCPRIM_400000_NS6detail17trampoline_kernelINS0_14default_configENS1_25partition_config_selectorILNS1_17partition_subalgoE6EyNS0_10empty_typeEbEEZZNS1_14partition_implILS5_6ELb0ES3_mN6thrust23THRUST_200600_302600_NS6detail15normal_iteratorINSA_10device_ptrIyEEEEPS6_SG_NS0_5tupleIJSF_S6_EEENSH_IJSG_SG_EEES6_PlJNSB_9not_fun_tINSB_10functional5actorINSM_9compositeIJNSM_27transparent_binary_operatorINSA_8equal_toIvEEEENSN_INSM_8argumentILj0EEEEENSM_5valueIyEEEEEEEEEEEE10hipError_tPvRmT3_T4_T5_T6_T7_T9_mT8_P12ihipStream_tbDpT10_ENKUlT_T0_E_clISt17integral_constantIbLb0EES1J_IbLb1EEEEDaS1F_S1G_EUlS1F_E_NS1_11comp_targetILNS1_3genE5ELNS1_11target_archE942ELNS1_3gpuE9ELNS1_3repE0EEENS1_30default_config_static_selectorELNS0_4arch9wavefront6targetE0EEEvT1_
		.amdhsa_group_segment_fixed_size 0
		.amdhsa_private_segment_fixed_size 0
		.amdhsa_kernarg_size 136
		.amdhsa_user_sgpr_count 2
		.amdhsa_user_sgpr_dispatch_ptr 0
		.amdhsa_user_sgpr_queue_ptr 0
		.amdhsa_user_sgpr_kernarg_segment_ptr 1
		.amdhsa_user_sgpr_dispatch_id 0
		.amdhsa_user_sgpr_private_segment_size 0
		.amdhsa_wavefront_size32 1
		.amdhsa_uses_dynamic_stack 0
		.amdhsa_enable_private_segment 0
		.amdhsa_system_sgpr_workgroup_id_x 1
		.amdhsa_system_sgpr_workgroup_id_y 0
		.amdhsa_system_sgpr_workgroup_id_z 0
		.amdhsa_system_sgpr_workgroup_info 0
		.amdhsa_system_vgpr_workitem_id 0
		.amdhsa_next_free_vgpr 1
		.amdhsa_next_free_sgpr 1
		.amdhsa_reserve_vcc 0
		.amdhsa_float_round_mode_32 0
		.amdhsa_float_round_mode_16_64 0
		.amdhsa_float_denorm_mode_32 3
		.amdhsa_float_denorm_mode_16_64 3
		.amdhsa_fp16_overflow 0
		.amdhsa_workgroup_processor_mode 1
		.amdhsa_memory_ordered 1
		.amdhsa_forward_progress 1
		.amdhsa_inst_pref_size 0
		.amdhsa_round_robin_scheduling 0
		.amdhsa_exception_fp_ieee_invalid_op 0
		.amdhsa_exception_fp_denorm_src 0
		.amdhsa_exception_fp_ieee_div_zero 0
		.amdhsa_exception_fp_ieee_overflow 0
		.amdhsa_exception_fp_ieee_underflow 0
		.amdhsa_exception_fp_ieee_inexact 0
		.amdhsa_exception_int_div_zero 0
	.end_amdhsa_kernel
	.section	.text._ZN7rocprim17ROCPRIM_400000_NS6detail17trampoline_kernelINS0_14default_configENS1_25partition_config_selectorILNS1_17partition_subalgoE6EyNS0_10empty_typeEbEEZZNS1_14partition_implILS5_6ELb0ES3_mN6thrust23THRUST_200600_302600_NS6detail15normal_iteratorINSA_10device_ptrIyEEEEPS6_SG_NS0_5tupleIJSF_S6_EEENSH_IJSG_SG_EEES6_PlJNSB_9not_fun_tINSB_10functional5actorINSM_9compositeIJNSM_27transparent_binary_operatorINSA_8equal_toIvEEEENSN_INSM_8argumentILj0EEEEENSM_5valueIyEEEEEEEEEEEE10hipError_tPvRmT3_T4_T5_T6_T7_T9_mT8_P12ihipStream_tbDpT10_ENKUlT_T0_E_clISt17integral_constantIbLb0EES1J_IbLb1EEEEDaS1F_S1G_EUlS1F_E_NS1_11comp_targetILNS1_3genE5ELNS1_11target_archE942ELNS1_3gpuE9ELNS1_3repE0EEENS1_30default_config_static_selectorELNS0_4arch9wavefront6targetE0EEEvT1_,"axG",@progbits,_ZN7rocprim17ROCPRIM_400000_NS6detail17trampoline_kernelINS0_14default_configENS1_25partition_config_selectorILNS1_17partition_subalgoE6EyNS0_10empty_typeEbEEZZNS1_14partition_implILS5_6ELb0ES3_mN6thrust23THRUST_200600_302600_NS6detail15normal_iteratorINSA_10device_ptrIyEEEEPS6_SG_NS0_5tupleIJSF_S6_EEENSH_IJSG_SG_EEES6_PlJNSB_9not_fun_tINSB_10functional5actorINSM_9compositeIJNSM_27transparent_binary_operatorINSA_8equal_toIvEEEENSN_INSM_8argumentILj0EEEEENSM_5valueIyEEEEEEEEEEEE10hipError_tPvRmT3_T4_T5_T6_T7_T9_mT8_P12ihipStream_tbDpT10_ENKUlT_T0_E_clISt17integral_constantIbLb0EES1J_IbLb1EEEEDaS1F_S1G_EUlS1F_E_NS1_11comp_targetILNS1_3genE5ELNS1_11target_archE942ELNS1_3gpuE9ELNS1_3repE0EEENS1_30default_config_static_selectorELNS0_4arch9wavefront6targetE0EEEvT1_,comdat
.Lfunc_end105:
	.size	_ZN7rocprim17ROCPRIM_400000_NS6detail17trampoline_kernelINS0_14default_configENS1_25partition_config_selectorILNS1_17partition_subalgoE6EyNS0_10empty_typeEbEEZZNS1_14partition_implILS5_6ELb0ES3_mN6thrust23THRUST_200600_302600_NS6detail15normal_iteratorINSA_10device_ptrIyEEEEPS6_SG_NS0_5tupleIJSF_S6_EEENSH_IJSG_SG_EEES6_PlJNSB_9not_fun_tINSB_10functional5actorINSM_9compositeIJNSM_27transparent_binary_operatorINSA_8equal_toIvEEEENSN_INSM_8argumentILj0EEEEENSM_5valueIyEEEEEEEEEEEE10hipError_tPvRmT3_T4_T5_T6_T7_T9_mT8_P12ihipStream_tbDpT10_ENKUlT_T0_E_clISt17integral_constantIbLb0EES1J_IbLb1EEEEDaS1F_S1G_EUlS1F_E_NS1_11comp_targetILNS1_3genE5ELNS1_11target_archE942ELNS1_3gpuE9ELNS1_3repE0EEENS1_30default_config_static_selectorELNS0_4arch9wavefront6targetE0EEEvT1_, .Lfunc_end105-_ZN7rocprim17ROCPRIM_400000_NS6detail17trampoline_kernelINS0_14default_configENS1_25partition_config_selectorILNS1_17partition_subalgoE6EyNS0_10empty_typeEbEEZZNS1_14partition_implILS5_6ELb0ES3_mN6thrust23THRUST_200600_302600_NS6detail15normal_iteratorINSA_10device_ptrIyEEEEPS6_SG_NS0_5tupleIJSF_S6_EEENSH_IJSG_SG_EEES6_PlJNSB_9not_fun_tINSB_10functional5actorINSM_9compositeIJNSM_27transparent_binary_operatorINSA_8equal_toIvEEEENSN_INSM_8argumentILj0EEEEENSM_5valueIyEEEEEEEEEEEE10hipError_tPvRmT3_T4_T5_T6_T7_T9_mT8_P12ihipStream_tbDpT10_ENKUlT_T0_E_clISt17integral_constantIbLb0EES1J_IbLb1EEEEDaS1F_S1G_EUlS1F_E_NS1_11comp_targetILNS1_3genE5ELNS1_11target_archE942ELNS1_3gpuE9ELNS1_3repE0EEENS1_30default_config_static_selectorELNS0_4arch9wavefront6targetE0EEEvT1_
                                        ; -- End function
	.set _ZN7rocprim17ROCPRIM_400000_NS6detail17trampoline_kernelINS0_14default_configENS1_25partition_config_selectorILNS1_17partition_subalgoE6EyNS0_10empty_typeEbEEZZNS1_14partition_implILS5_6ELb0ES3_mN6thrust23THRUST_200600_302600_NS6detail15normal_iteratorINSA_10device_ptrIyEEEEPS6_SG_NS0_5tupleIJSF_S6_EEENSH_IJSG_SG_EEES6_PlJNSB_9not_fun_tINSB_10functional5actorINSM_9compositeIJNSM_27transparent_binary_operatorINSA_8equal_toIvEEEENSN_INSM_8argumentILj0EEEEENSM_5valueIyEEEEEEEEEEEE10hipError_tPvRmT3_T4_T5_T6_T7_T9_mT8_P12ihipStream_tbDpT10_ENKUlT_T0_E_clISt17integral_constantIbLb0EES1J_IbLb1EEEEDaS1F_S1G_EUlS1F_E_NS1_11comp_targetILNS1_3genE5ELNS1_11target_archE942ELNS1_3gpuE9ELNS1_3repE0EEENS1_30default_config_static_selectorELNS0_4arch9wavefront6targetE0EEEvT1_.num_vgpr, 0
	.set _ZN7rocprim17ROCPRIM_400000_NS6detail17trampoline_kernelINS0_14default_configENS1_25partition_config_selectorILNS1_17partition_subalgoE6EyNS0_10empty_typeEbEEZZNS1_14partition_implILS5_6ELb0ES3_mN6thrust23THRUST_200600_302600_NS6detail15normal_iteratorINSA_10device_ptrIyEEEEPS6_SG_NS0_5tupleIJSF_S6_EEENSH_IJSG_SG_EEES6_PlJNSB_9not_fun_tINSB_10functional5actorINSM_9compositeIJNSM_27transparent_binary_operatorINSA_8equal_toIvEEEENSN_INSM_8argumentILj0EEEEENSM_5valueIyEEEEEEEEEEEE10hipError_tPvRmT3_T4_T5_T6_T7_T9_mT8_P12ihipStream_tbDpT10_ENKUlT_T0_E_clISt17integral_constantIbLb0EES1J_IbLb1EEEEDaS1F_S1G_EUlS1F_E_NS1_11comp_targetILNS1_3genE5ELNS1_11target_archE942ELNS1_3gpuE9ELNS1_3repE0EEENS1_30default_config_static_selectorELNS0_4arch9wavefront6targetE0EEEvT1_.num_agpr, 0
	.set _ZN7rocprim17ROCPRIM_400000_NS6detail17trampoline_kernelINS0_14default_configENS1_25partition_config_selectorILNS1_17partition_subalgoE6EyNS0_10empty_typeEbEEZZNS1_14partition_implILS5_6ELb0ES3_mN6thrust23THRUST_200600_302600_NS6detail15normal_iteratorINSA_10device_ptrIyEEEEPS6_SG_NS0_5tupleIJSF_S6_EEENSH_IJSG_SG_EEES6_PlJNSB_9not_fun_tINSB_10functional5actorINSM_9compositeIJNSM_27transparent_binary_operatorINSA_8equal_toIvEEEENSN_INSM_8argumentILj0EEEEENSM_5valueIyEEEEEEEEEEEE10hipError_tPvRmT3_T4_T5_T6_T7_T9_mT8_P12ihipStream_tbDpT10_ENKUlT_T0_E_clISt17integral_constantIbLb0EES1J_IbLb1EEEEDaS1F_S1G_EUlS1F_E_NS1_11comp_targetILNS1_3genE5ELNS1_11target_archE942ELNS1_3gpuE9ELNS1_3repE0EEENS1_30default_config_static_selectorELNS0_4arch9wavefront6targetE0EEEvT1_.numbered_sgpr, 0
	.set _ZN7rocprim17ROCPRIM_400000_NS6detail17trampoline_kernelINS0_14default_configENS1_25partition_config_selectorILNS1_17partition_subalgoE6EyNS0_10empty_typeEbEEZZNS1_14partition_implILS5_6ELb0ES3_mN6thrust23THRUST_200600_302600_NS6detail15normal_iteratorINSA_10device_ptrIyEEEEPS6_SG_NS0_5tupleIJSF_S6_EEENSH_IJSG_SG_EEES6_PlJNSB_9not_fun_tINSB_10functional5actorINSM_9compositeIJNSM_27transparent_binary_operatorINSA_8equal_toIvEEEENSN_INSM_8argumentILj0EEEEENSM_5valueIyEEEEEEEEEEEE10hipError_tPvRmT3_T4_T5_T6_T7_T9_mT8_P12ihipStream_tbDpT10_ENKUlT_T0_E_clISt17integral_constantIbLb0EES1J_IbLb1EEEEDaS1F_S1G_EUlS1F_E_NS1_11comp_targetILNS1_3genE5ELNS1_11target_archE942ELNS1_3gpuE9ELNS1_3repE0EEENS1_30default_config_static_selectorELNS0_4arch9wavefront6targetE0EEEvT1_.num_named_barrier, 0
	.set _ZN7rocprim17ROCPRIM_400000_NS6detail17trampoline_kernelINS0_14default_configENS1_25partition_config_selectorILNS1_17partition_subalgoE6EyNS0_10empty_typeEbEEZZNS1_14partition_implILS5_6ELb0ES3_mN6thrust23THRUST_200600_302600_NS6detail15normal_iteratorINSA_10device_ptrIyEEEEPS6_SG_NS0_5tupleIJSF_S6_EEENSH_IJSG_SG_EEES6_PlJNSB_9not_fun_tINSB_10functional5actorINSM_9compositeIJNSM_27transparent_binary_operatorINSA_8equal_toIvEEEENSN_INSM_8argumentILj0EEEEENSM_5valueIyEEEEEEEEEEEE10hipError_tPvRmT3_T4_T5_T6_T7_T9_mT8_P12ihipStream_tbDpT10_ENKUlT_T0_E_clISt17integral_constantIbLb0EES1J_IbLb1EEEEDaS1F_S1G_EUlS1F_E_NS1_11comp_targetILNS1_3genE5ELNS1_11target_archE942ELNS1_3gpuE9ELNS1_3repE0EEENS1_30default_config_static_selectorELNS0_4arch9wavefront6targetE0EEEvT1_.private_seg_size, 0
	.set _ZN7rocprim17ROCPRIM_400000_NS6detail17trampoline_kernelINS0_14default_configENS1_25partition_config_selectorILNS1_17partition_subalgoE6EyNS0_10empty_typeEbEEZZNS1_14partition_implILS5_6ELb0ES3_mN6thrust23THRUST_200600_302600_NS6detail15normal_iteratorINSA_10device_ptrIyEEEEPS6_SG_NS0_5tupleIJSF_S6_EEENSH_IJSG_SG_EEES6_PlJNSB_9not_fun_tINSB_10functional5actorINSM_9compositeIJNSM_27transparent_binary_operatorINSA_8equal_toIvEEEENSN_INSM_8argumentILj0EEEEENSM_5valueIyEEEEEEEEEEEE10hipError_tPvRmT3_T4_T5_T6_T7_T9_mT8_P12ihipStream_tbDpT10_ENKUlT_T0_E_clISt17integral_constantIbLb0EES1J_IbLb1EEEEDaS1F_S1G_EUlS1F_E_NS1_11comp_targetILNS1_3genE5ELNS1_11target_archE942ELNS1_3gpuE9ELNS1_3repE0EEENS1_30default_config_static_selectorELNS0_4arch9wavefront6targetE0EEEvT1_.uses_vcc, 0
	.set _ZN7rocprim17ROCPRIM_400000_NS6detail17trampoline_kernelINS0_14default_configENS1_25partition_config_selectorILNS1_17partition_subalgoE6EyNS0_10empty_typeEbEEZZNS1_14partition_implILS5_6ELb0ES3_mN6thrust23THRUST_200600_302600_NS6detail15normal_iteratorINSA_10device_ptrIyEEEEPS6_SG_NS0_5tupleIJSF_S6_EEENSH_IJSG_SG_EEES6_PlJNSB_9not_fun_tINSB_10functional5actorINSM_9compositeIJNSM_27transparent_binary_operatorINSA_8equal_toIvEEEENSN_INSM_8argumentILj0EEEEENSM_5valueIyEEEEEEEEEEEE10hipError_tPvRmT3_T4_T5_T6_T7_T9_mT8_P12ihipStream_tbDpT10_ENKUlT_T0_E_clISt17integral_constantIbLb0EES1J_IbLb1EEEEDaS1F_S1G_EUlS1F_E_NS1_11comp_targetILNS1_3genE5ELNS1_11target_archE942ELNS1_3gpuE9ELNS1_3repE0EEENS1_30default_config_static_selectorELNS0_4arch9wavefront6targetE0EEEvT1_.uses_flat_scratch, 0
	.set _ZN7rocprim17ROCPRIM_400000_NS6detail17trampoline_kernelINS0_14default_configENS1_25partition_config_selectorILNS1_17partition_subalgoE6EyNS0_10empty_typeEbEEZZNS1_14partition_implILS5_6ELb0ES3_mN6thrust23THRUST_200600_302600_NS6detail15normal_iteratorINSA_10device_ptrIyEEEEPS6_SG_NS0_5tupleIJSF_S6_EEENSH_IJSG_SG_EEES6_PlJNSB_9not_fun_tINSB_10functional5actorINSM_9compositeIJNSM_27transparent_binary_operatorINSA_8equal_toIvEEEENSN_INSM_8argumentILj0EEEEENSM_5valueIyEEEEEEEEEEEE10hipError_tPvRmT3_T4_T5_T6_T7_T9_mT8_P12ihipStream_tbDpT10_ENKUlT_T0_E_clISt17integral_constantIbLb0EES1J_IbLb1EEEEDaS1F_S1G_EUlS1F_E_NS1_11comp_targetILNS1_3genE5ELNS1_11target_archE942ELNS1_3gpuE9ELNS1_3repE0EEENS1_30default_config_static_selectorELNS0_4arch9wavefront6targetE0EEEvT1_.has_dyn_sized_stack, 0
	.set _ZN7rocprim17ROCPRIM_400000_NS6detail17trampoline_kernelINS0_14default_configENS1_25partition_config_selectorILNS1_17partition_subalgoE6EyNS0_10empty_typeEbEEZZNS1_14partition_implILS5_6ELb0ES3_mN6thrust23THRUST_200600_302600_NS6detail15normal_iteratorINSA_10device_ptrIyEEEEPS6_SG_NS0_5tupleIJSF_S6_EEENSH_IJSG_SG_EEES6_PlJNSB_9not_fun_tINSB_10functional5actorINSM_9compositeIJNSM_27transparent_binary_operatorINSA_8equal_toIvEEEENSN_INSM_8argumentILj0EEEEENSM_5valueIyEEEEEEEEEEEE10hipError_tPvRmT3_T4_T5_T6_T7_T9_mT8_P12ihipStream_tbDpT10_ENKUlT_T0_E_clISt17integral_constantIbLb0EES1J_IbLb1EEEEDaS1F_S1G_EUlS1F_E_NS1_11comp_targetILNS1_3genE5ELNS1_11target_archE942ELNS1_3gpuE9ELNS1_3repE0EEENS1_30default_config_static_selectorELNS0_4arch9wavefront6targetE0EEEvT1_.has_recursion, 0
	.set _ZN7rocprim17ROCPRIM_400000_NS6detail17trampoline_kernelINS0_14default_configENS1_25partition_config_selectorILNS1_17partition_subalgoE6EyNS0_10empty_typeEbEEZZNS1_14partition_implILS5_6ELb0ES3_mN6thrust23THRUST_200600_302600_NS6detail15normal_iteratorINSA_10device_ptrIyEEEEPS6_SG_NS0_5tupleIJSF_S6_EEENSH_IJSG_SG_EEES6_PlJNSB_9not_fun_tINSB_10functional5actorINSM_9compositeIJNSM_27transparent_binary_operatorINSA_8equal_toIvEEEENSN_INSM_8argumentILj0EEEEENSM_5valueIyEEEEEEEEEEEE10hipError_tPvRmT3_T4_T5_T6_T7_T9_mT8_P12ihipStream_tbDpT10_ENKUlT_T0_E_clISt17integral_constantIbLb0EES1J_IbLb1EEEEDaS1F_S1G_EUlS1F_E_NS1_11comp_targetILNS1_3genE5ELNS1_11target_archE942ELNS1_3gpuE9ELNS1_3repE0EEENS1_30default_config_static_selectorELNS0_4arch9wavefront6targetE0EEEvT1_.has_indirect_call, 0
	.section	.AMDGPU.csdata,"",@progbits
; Kernel info:
; codeLenInByte = 0
; TotalNumSgprs: 0
; NumVgprs: 0
; ScratchSize: 0
; MemoryBound: 0
; FloatMode: 240
; IeeeMode: 1
; LDSByteSize: 0 bytes/workgroup (compile time only)
; SGPRBlocks: 0
; VGPRBlocks: 0
; NumSGPRsForWavesPerEU: 1
; NumVGPRsForWavesPerEU: 1
; Occupancy: 16
; WaveLimiterHint : 0
; COMPUTE_PGM_RSRC2:SCRATCH_EN: 0
; COMPUTE_PGM_RSRC2:USER_SGPR: 2
; COMPUTE_PGM_RSRC2:TRAP_HANDLER: 0
; COMPUTE_PGM_RSRC2:TGID_X_EN: 1
; COMPUTE_PGM_RSRC2:TGID_Y_EN: 0
; COMPUTE_PGM_RSRC2:TGID_Z_EN: 0
; COMPUTE_PGM_RSRC2:TIDIG_COMP_CNT: 0
	.section	.text._ZN7rocprim17ROCPRIM_400000_NS6detail17trampoline_kernelINS0_14default_configENS1_25partition_config_selectorILNS1_17partition_subalgoE6EyNS0_10empty_typeEbEEZZNS1_14partition_implILS5_6ELb0ES3_mN6thrust23THRUST_200600_302600_NS6detail15normal_iteratorINSA_10device_ptrIyEEEEPS6_SG_NS0_5tupleIJSF_S6_EEENSH_IJSG_SG_EEES6_PlJNSB_9not_fun_tINSB_10functional5actorINSM_9compositeIJNSM_27transparent_binary_operatorINSA_8equal_toIvEEEENSN_INSM_8argumentILj0EEEEENSM_5valueIyEEEEEEEEEEEE10hipError_tPvRmT3_T4_T5_T6_T7_T9_mT8_P12ihipStream_tbDpT10_ENKUlT_T0_E_clISt17integral_constantIbLb0EES1J_IbLb1EEEEDaS1F_S1G_EUlS1F_E_NS1_11comp_targetILNS1_3genE4ELNS1_11target_archE910ELNS1_3gpuE8ELNS1_3repE0EEENS1_30default_config_static_selectorELNS0_4arch9wavefront6targetE0EEEvT1_,"axG",@progbits,_ZN7rocprim17ROCPRIM_400000_NS6detail17trampoline_kernelINS0_14default_configENS1_25partition_config_selectorILNS1_17partition_subalgoE6EyNS0_10empty_typeEbEEZZNS1_14partition_implILS5_6ELb0ES3_mN6thrust23THRUST_200600_302600_NS6detail15normal_iteratorINSA_10device_ptrIyEEEEPS6_SG_NS0_5tupleIJSF_S6_EEENSH_IJSG_SG_EEES6_PlJNSB_9not_fun_tINSB_10functional5actorINSM_9compositeIJNSM_27transparent_binary_operatorINSA_8equal_toIvEEEENSN_INSM_8argumentILj0EEEEENSM_5valueIyEEEEEEEEEEEE10hipError_tPvRmT3_T4_T5_T6_T7_T9_mT8_P12ihipStream_tbDpT10_ENKUlT_T0_E_clISt17integral_constantIbLb0EES1J_IbLb1EEEEDaS1F_S1G_EUlS1F_E_NS1_11comp_targetILNS1_3genE4ELNS1_11target_archE910ELNS1_3gpuE8ELNS1_3repE0EEENS1_30default_config_static_selectorELNS0_4arch9wavefront6targetE0EEEvT1_,comdat
	.protected	_ZN7rocprim17ROCPRIM_400000_NS6detail17trampoline_kernelINS0_14default_configENS1_25partition_config_selectorILNS1_17partition_subalgoE6EyNS0_10empty_typeEbEEZZNS1_14partition_implILS5_6ELb0ES3_mN6thrust23THRUST_200600_302600_NS6detail15normal_iteratorINSA_10device_ptrIyEEEEPS6_SG_NS0_5tupleIJSF_S6_EEENSH_IJSG_SG_EEES6_PlJNSB_9not_fun_tINSB_10functional5actorINSM_9compositeIJNSM_27transparent_binary_operatorINSA_8equal_toIvEEEENSN_INSM_8argumentILj0EEEEENSM_5valueIyEEEEEEEEEEEE10hipError_tPvRmT3_T4_T5_T6_T7_T9_mT8_P12ihipStream_tbDpT10_ENKUlT_T0_E_clISt17integral_constantIbLb0EES1J_IbLb1EEEEDaS1F_S1G_EUlS1F_E_NS1_11comp_targetILNS1_3genE4ELNS1_11target_archE910ELNS1_3gpuE8ELNS1_3repE0EEENS1_30default_config_static_selectorELNS0_4arch9wavefront6targetE0EEEvT1_ ; -- Begin function _ZN7rocprim17ROCPRIM_400000_NS6detail17trampoline_kernelINS0_14default_configENS1_25partition_config_selectorILNS1_17partition_subalgoE6EyNS0_10empty_typeEbEEZZNS1_14partition_implILS5_6ELb0ES3_mN6thrust23THRUST_200600_302600_NS6detail15normal_iteratorINSA_10device_ptrIyEEEEPS6_SG_NS0_5tupleIJSF_S6_EEENSH_IJSG_SG_EEES6_PlJNSB_9not_fun_tINSB_10functional5actorINSM_9compositeIJNSM_27transparent_binary_operatorINSA_8equal_toIvEEEENSN_INSM_8argumentILj0EEEEENSM_5valueIyEEEEEEEEEEEE10hipError_tPvRmT3_T4_T5_T6_T7_T9_mT8_P12ihipStream_tbDpT10_ENKUlT_T0_E_clISt17integral_constantIbLb0EES1J_IbLb1EEEEDaS1F_S1G_EUlS1F_E_NS1_11comp_targetILNS1_3genE4ELNS1_11target_archE910ELNS1_3gpuE8ELNS1_3repE0EEENS1_30default_config_static_selectorELNS0_4arch9wavefront6targetE0EEEvT1_
	.globl	_ZN7rocprim17ROCPRIM_400000_NS6detail17trampoline_kernelINS0_14default_configENS1_25partition_config_selectorILNS1_17partition_subalgoE6EyNS0_10empty_typeEbEEZZNS1_14partition_implILS5_6ELb0ES3_mN6thrust23THRUST_200600_302600_NS6detail15normal_iteratorINSA_10device_ptrIyEEEEPS6_SG_NS0_5tupleIJSF_S6_EEENSH_IJSG_SG_EEES6_PlJNSB_9not_fun_tINSB_10functional5actorINSM_9compositeIJNSM_27transparent_binary_operatorINSA_8equal_toIvEEEENSN_INSM_8argumentILj0EEEEENSM_5valueIyEEEEEEEEEEEE10hipError_tPvRmT3_T4_T5_T6_T7_T9_mT8_P12ihipStream_tbDpT10_ENKUlT_T0_E_clISt17integral_constantIbLb0EES1J_IbLb1EEEEDaS1F_S1G_EUlS1F_E_NS1_11comp_targetILNS1_3genE4ELNS1_11target_archE910ELNS1_3gpuE8ELNS1_3repE0EEENS1_30default_config_static_selectorELNS0_4arch9wavefront6targetE0EEEvT1_
	.p2align	8
	.type	_ZN7rocprim17ROCPRIM_400000_NS6detail17trampoline_kernelINS0_14default_configENS1_25partition_config_selectorILNS1_17partition_subalgoE6EyNS0_10empty_typeEbEEZZNS1_14partition_implILS5_6ELb0ES3_mN6thrust23THRUST_200600_302600_NS6detail15normal_iteratorINSA_10device_ptrIyEEEEPS6_SG_NS0_5tupleIJSF_S6_EEENSH_IJSG_SG_EEES6_PlJNSB_9not_fun_tINSB_10functional5actorINSM_9compositeIJNSM_27transparent_binary_operatorINSA_8equal_toIvEEEENSN_INSM_8argumentILj0EEEEENSM_5valueIyEEEEEEEEEEEE10hipError_tPvRmT3_T4_T5_T6_T7_T9_mT8_P12ihipStream_tbDpT10_ENKUlT_T0_E_clISt17integral_constantIbLb0EES1J_IbLb1EEEEDaS1F_S1G_EUlS1F_E_NS1_11comp_targetILNS1_3genE4ELNS1_11target_archE910ELNS1_3gpuE8ELNS1_3repE0EEENS1_30default_config_static_selectorELNS0_4arch9wavefront6targetE0EEEvT1_,@function
_ZN7rocprim17ROCPRIM_400000_NS6detail17trampoline_kernelINS0_14default_configENS1_25partition_config_selectorILNS1_17partition_subalgoE6EyNS0_10empty_typeEbEEZZNS1_14partition_implILS5_6ELb0ES3_mN6thrust23THRUST_200600_302600_NS6detail15normal_iteratorINSA_10device_ptrIyEEEEPS6_SG_NS0_5tupleIJSF_S6_EEENSH_IJSG_SG_EEES6_PlJNSB_9not_fun_tINSB_10functional5actorINSM_9compositeIJNSM_27transparent_binary_operatorINSA_8equal_toIvEEEENSN_INSM_8argumentILj0EEEEENSM_5valueIyEEEEEEEEEEEE10hipError_tPvRmT3_T4_T5_T6_T7_T9_mT8_P12ihipStream_tbDpT10_ENKUlT_T0_E_clISt17integral_constantIbLb0EES1J_IbLb1EEEEDaS1F_S1G_EUlS1F_E_NS1_11comp_targetILNS1_3genE4ELNS1_11target_archE910ELNS1_3gpuE8ELNS1_3repE0EEENS1_30default_config_static_selectorELNS0_4arch9wavefront6targetE0EEEvT1_: ; @_ZN7rocprim17ROCPRIM_400000_NS6detail17trampoline_kernelINS0_14default_configENS1_25partition_config_selectorILNS1_17partition_subalgoE6EyNS0_10empty_typeEbEEZZNS1_14partition_implILS5_6ELb0ES3_mN6thrust23THRUST_200600_302600_NS6detail15normal_iteratorINSA_10device_ptrIyEEEEPS6_SG_NS0_5tupleIJSF_S6_EEENSH_IJSG_SG_EEES6_PlJNSB_9not_fun_tINSB_10functional5actorINSM_9compositeIJNSM_27transparent_binary_operatorINSA_8equal_toIvEEEENSN_INSM_8argumentILj0EEEEENSM_5valueIyEEEEEEEEEEEE10hipError_tPvRmT3_T4_T5_T6_T7_T9_mT8_P12ihipStream_tbDpT10_ENKUlT_T0_E_clISt17integral_constantIbLb0EES1J_IbLb1EEEEDaS1F_S1G_EUlS1F_E_NS1_11comp_targetILNS1_3genE4ELNS1_11target_archE910ELNS1_3gpuE8ELNS1_3repE0EEENS1_30default_config_static_selectorELNS0_4arch9wavefront6targetE0EEEvT1_
; %bb.0:
	.section	.rodata,"a",@progbits
	.p2align	6, 0x0
	.amdhsa_kernel _ZN7rocprim17ROCPRIM_400000_NS6detail17trampoline_kernelINS0_14default_configENS1_25partition_config_selectorILNS1_17partition_subalgoE6EyNS0_10empty_typeEbEEZZNS1_14partition_implILS5_6ELb0ES3_mN6thrust23THRUST_200600_302600_NS6detail15normal_iteratorINSA_10device_ptrIyEEEEPS6_SG_NS0_5tupleIJSF_S6_EEENSH_IJSG_SG_EEES6_PlJNSB_9not_fun_tINSB_10functional5actorINSM_9compositeIJNSM_27transparent_binary_operatorINSA_8equal_toIvEEEENSN_INSM_8argumentILj0EEEEENSM_5valueIyEEEEEEEEEEEE10hipError_tPvRmT3_T4_T5_T6_T7_T9_mT8_P12ihipStream_tbDpT10_ENKUlT_T0_E_clISt17integral_constantIbLb0EES1J_IbLb1EEEEDaS1F_S1G_EUlS1F_E_NS1_11comp_targetILNS1_3genE4ELNS1_11target_archE910ELNS1_3gpuE8ELNS1_3repE0EEENS1_30default_config_static_selectorELNS0_4arch9wavefront6targetE0EEEvT1_
		.amdhsa_group_segment_fixed_size 0
		.amdhsa_private_segment_fixed_size 0
		.amdhsa_kernarg_size 136
		.amdhsa_user_sgpr_count 2
		.amdhsa_user_sgpr_dispatch_ptr 0
		.amdhsa_user_sgpr_queue_ptr 0
		.amdhsa_user_sgpr_kernarg_segment_ptr 1
		.amdhsa_user_sgpr_dispatch_id 0
		.amdhsa_user_sgpr_private_segment_size 0
		.amdhsa_wavefront_size32 1
		.amdhsa_uses_dynamic_stack 0
		.amdhsa_enable_private_segment 0
		.amdhsa_system_sgpr_workgroup_id_x 1
		.amdhsa_system_sgpr_workgroup_id_y 0
		.amdhsa_system_sgpr_workgroup_id_z 0
		.amdhsa_system_sgpr_workgroup_info 0
		.amdhsa_system_vgpr_workitem_id 0
		.amdhsa_next_free_vgpr 1
		.amdhsa_next_free_sgpr 1
		.amdhsa_reserve_vcc 0
		.amdhsa_float_round_mode_32 0
		.amdhsa_float_round_mode_16_64 0
		.amdhsa_float_denorm_mode_32 3
		.amdhsa_float_denorm_mode_16_64 3
		.amdhsa_fp16_overflow 0
		.amdhsa_workgroup_processor_mode 1
		.amdhsa_memory_ordered 1
		.amdhsa_forward_progress 1
		.amdhsa_inst_pref_size 0
		.amdhsa_round_robin_scheduling 0
		.amdhsa_exception_fp_ieee_invalid_op 0
		.amdhsa_exception_fp_denorm_src 0
		.amdhsa_exception_fp_ieee_div_zero 0
		.amdhsa_exception_fp_ieee_overflow 0
		.amdhsa_exception_fp_ieee_underflow 0
		.amdhsa_exception_fp_ieee_inexact 0
		.amdhsa_exception_int_div_zero 0
	.end_amdhsa_kernel
	.section	.text._ZN7rocprim17ROCPRIM_400000_NS6detail17trampoline_kernelINS0_14default_configENS1_25partition_config_selectorILNS1_17partition_subalgoE6EyNS0_10empty_typeEbEEZZNS1_14partition_implILS5_6ELb0ES3_mN6thrust23THRUST_200600_302600_NS6detail15normal_iteratorINSA_10device_ptrIyEEEEPS6_SG_NS0_5tupleIJSF_S6_EEENSH_IJSG_SG_EEES6_PlJNSB_9not_fun_tINSB_10functional5actorINSM_9compositeIJNSM_27transparent_binary_operatorINSA_8equal_toIvEEEENSN_INSM_8argumentILj0EEEEENSM_5valueIyEEEEEEEEEEEE10hipError_tPvRmT3_T4_T5_T6_T7_T9_mT8_P12ihipStream_tbDpT10_ENKUlT_T0_E_clISt17integral_constantIbLb0EES1J_IbLb1EEEEDaS1F_S1G_EUlS1F_E_NS1_11comp_targetILNS1_3genE4ELNS1_11target_archE910ELNS1_3gpuE8ELNS1_3repE0EEENS1_30default_config_static_selectorELNS0_4arch9wavefront6targetE0EEEvT1_,"axG",@progbits,_ZN7rocprim17ROCPRIM_400000_NS6detail17trampoline_kernelINS0_14default_configENS1_25partition_config_selectorILNS1_17partition_subalgoE6EyNS0_10empty_typeEbEEZZNS1_14partition_implILS5_6ELb0ES3_mN6thrust23THRUST_200600_302600_NS6detail15normal_iteratorINSA_10device_ptrIyEEEEPS6_SG_NS0_5tupleIJSF_S6_EEENSH_IJSG_SG_EEES6_PlJNSB_9not_fun_tINSB_10functional5actorINSM_9compositeIJNSM_27transparent_binary_operatorINSA_8equal_toIvEEEENSN_INSM_8argumentILj0EEEEENSM_5valueIyEEEEEEEEEEEE10hipError_tPvRmT3_T4_T5_T6_T7_T9_mT8_P12ihipStream_tbDpT10_ENKUlT_T0_E_clISt17integral_constantIbLb0EES1J_IbLb1EEEEDaS1F_S1G_EUlS1F_E_NS1_11comp_targetILNS1_3genE4ELNS1_11target_archE910ELNS1_3gpuE8ELNS1_3repE0EEENS1_30default_config_static_selectorELNS0_4arch9wavefront6targetE0EEEvT1_,comdat
.Lfunc_end106:
	.size	_ZN7rocprim17ROCPRIM_400000_NS6detail17trampoline_kernelINS0_14default_configENS1_25partition_config_selectorILNS1_17partition_subalgoE6EyNS0_10empty_typeEbEEZZNS1_14partition_implILS5_6ELb0ES3_mN6thrust23THRUST_200600_302600_NS6detail15normal_iteratorINSA_10device_ptrIyEEEEPS6_SG_NS0_5tupleIJSF_S6_EEENSH_IJSG_SG_EEES6_PlJNSB_9not_fun_tINSB_10functional5actorINSM_9compositeIJNSM_27transparent_binary_operatorINSA_8equal_toIvEEEENSN_INSM_8argumentILj0EEEEENSM_5valueIyEEEEEEEEEEEE10hipError_tPvRmT3_T4_T5_T6_T7_T9_mT8_P12ihipStream_tbDpT10_ENKUlT_T0_E_clISt17integral_constantIbLb0EES1J_IbLb1EEEEDaS1F_S1G_EUlS1F_E_NS1_11comp_targetILNS1_3genE4ELNS1_11target_archE910ELNS1_3gpuE8ELNS1_3repE0EEENS1_30default_config_static_selectorELNS0_4arch9wavefront6targetE0EEEvT1_, .Lfunc_end106-_ZN7rocprim17ROCPRIM_400000_NS6detail17trampoline_kernelINS0_14default_configENS1_25partition_config_selectorILNS1_17partition_subalgoE6EyNS0_10empty_typeEbEEZZNS1_14partition_implILS5_6ELb0ES3_mN6thrust23THRUST_200600_302600_NS6detail15normal_iteratorINSA_10device_ptrIyEEEEPS6_SG_NS0_5tupleIJSF_S6_EEENSH_IJSG_SG_EEES6_PlJNSB_9not_fun_tINSB_10functional5actorINSM_9compositeIJNSM_27transparent_binary_operatorINSA_8equal_toIvEEEENSN_INSM_8argumentILj0EEEEENSM_5valueIyEEEEEEEEEEEE10hipError_tPvRmT3_T4_T5_T6_T7_T9_mT8_P12ihipStream_tbDpT10_ENKUlT_T0_E_clISt17integral_constantIbLb0EES1J_IbLb1EEEEDaS1F_S1G_EUlS1F_E_NS1_11comp_targetILNS1_3genE4ELNS1_11target_archE910ELNS1_3gpuE8ELNS1_3repE0EEENS1_30default_config_static_selectorELNS0_4arch9wavefront6targetE0EEEvT1_
                                        ; -- End function
	.set _ZN7rocprim17ROCPRIM_400000_NS6detail17trampoline_kernelINS0_14default_configENS1_25partition_config_selectorILNS1_17partition_subalgoE6EyNS0_10empty_typeEbEEZZNS1_14partition_implILS5_6ELb0ES3_mN6thrust23THRUST_200600_302600_NS6detail15normal_iteratorINSA_10device_ptrIyEEEEPS6_SG_NS0_5tupleIJSF_S6_EEENSH_IJSG_SG_EEES6_PlJNSB_9not_fun_tINSB_10functional5actorINSM_9compositeIJNSM_27transparent_binary_operatorINSA_8equal_toIvEEEENSN_INSM_8argumentILj0EEEEENSM_5valueIyEEEEEEEEEEEE10hipError_tPvRmT3_T4_T5_T6_T7_T9_mT8_P12ihipStream_tbDpT10_ENKUlT_T0_E_clISt17integral_constantIbLb0EES1J_IbLb1EEEEDaS1F_S1G_EUlS1F_E_NS1_11comp_targetILNS1_3genE4ELNS1_11target_archE910ELNS1_3gpuE8ELNS1_3repE0EEENS1_30default_config_static_selectorELNS0_4arch9wavefront6targetE0EEEvT1_.num_vgpr, 0
	.set _ZN7rocprim17ROCPRIM_400000_NS6detail17trampoline_kernelINS0_14default_configENS1_25partition_config_selectorILNS1_17partition_subalgoE6EyNS0_10empty_typeEbEEZZNS1_14partition_implILS5_6ELb0ES3_mN6thrust23THRUST_200600_302600_NS6detail15normal_iteratorINSA_10device_ptrIyEEEEPS6_SG_NS0_5tupleIJSF_S6_EEENSH_IJSG_SG_EEES6_PlJNSB_9not_fun_tINSB_10functional5actorINSM_9compositeIJNSM_27transparent_binary_operatorINSA_8equal_toIvEEEENSN_INSM_8argumentILj0EEEEENSM_5valueIyEEEEEEEEEEEE10hipError_tPvRmT3_T4_T5_T6_T7_T9_mT8_P12ihipStream_tbDpT10_ENKUlT_T0_E_clISt17integral_constantIbLb0EES1J_IbLb1EEEEDaS1F_S1G_EUlS1F_E_NS1_11comp_targetILNS1_3genE4ELNS1_11target_archE910ELNS1_3gpuE8ELNS1_3repE0EEENS1_30default_config_static_selectorELNS0_4arch9wavefront6targetE0EEEvT1_.num_agpr, 0
	.set _ZN7rocprim17ROCPRIM_400000_NS6detail17trampoline_kernelINS0_14default_configENS1_25partition_config_selectorILNS1_17partition_subalgoE6EyNS0_10empty_typeEbEEZZNS1_14partition_implILS5_6ELb0ES3_mN6thrust23THRUST_200600_302600_NS6detail15normal_iteratorINSA_10device_ptrIyEEEEPS6_SG_NS0_5tupleIJSF_S6_EEENSH_IJSG_SG_EEES6_PlJNSB_9not_fun_tINSB_10functional5actorINSM_9compositeIJNSM_27transparent_binary_operatorINSA_8equal_toIvEEEENSN_INSM_8argumentILj0EEEEENSM_5valueIyEEEEEEEEEEEE10hipError_tPvRmT3_T4_T5_T6_T7_T9_mT8_P12ihipStream_tbDpT10_ENKUlT_T0_E_clISt17integral_constantIbLb0EES1J_IbLb1EEEEDaS1F_S1G_EUlS1F_E_NS1_11comp_targetILNS1_3genE4ELNS1_11target_archE910ELNS1_3gpuE8ELNS1_3repE0EEENS1_30default_config_static_selectorELNS0_4arch9wavefront6targetE0EEEvT1_.numbered_sgpr, 0
	.set _ZN7rocprim17ROCPRIM_400000_NS6detail17trampoline_kernelINS0_14default_configENS1_25partition_config_selectorILNS1_17partition_subalgoE6EyNS0_10empty_typeEbEEZZNS1_14partition_implILS5_6ELb0ES3_mN6thrust23THRUST_200600_302600_NS6detail15normal_iteratorINSA_10device_ptrIyEEEEPS6_SG_NS0_5tupleIJSF_S6_EEENSH_IJSG_SG_EEES6_PlJNSB_9not_fun_tINSB_10functional5actorINSM_9compositeIJNSM_27transparent_binary_operatorINSA_8equal_toIvEEEENSN_INSM_8argumentILj0EEEEENSM_5valueIyEEEEEEEEEEEE10hipError_tPvRmT3_T4_T5_T6_T7_T9_mT8_P12ihipStream_tbDpT10_ENKUlT_T0_E_clISt17integral_constantIbLb0EES1J_IbLb1EEEEDaS1F_S1G_EUlS1F_E_NS1_11comp_targetILNS1_3genE4ELNS1_11target_archE910ELNS1_3gpuE8ELNS1_3repE0EEENS1_30default_config_static_selectorELNS0_4arch9wavefront6targetE0EEEvT1_.num_named_barrier, 0
	.set _ZN7rocprim17ROCPRIM_400000_NS6detail17trampoline_kernelINS0_14default_configENS1_25partition_config_selectorILNS1_17partition_subalgoE6EyNS0_10empty_typeEbEEZZNS1_14partition_implILS5_6ELb0ES3_mN6thrust23THRUST_200600_302600_NS6detail15normal_iteratorINSA_10device_ptrIyEEEEPS6_SG_NS0_5tupleIJSF_S6_EEENSH_IJSG_SG_EEES6_PlJNSB_9not_fun_tINSB_10functional5actorINSM_9compositeIJNSM_27transparent_binary_operatorINSA_8equal_toIvEEEENSN_INSM_8argumentILj0EEEEENSM_5valueIyEEEEEEEEEEEE10hipError_tPvRmT3_T4_T5_T6_T7_T9_mT8_P12ihipStream_tbDpT10_ENKUlT_T0_E_clISt17integral_constantIbLb0EES1J_IbLb1EEEEDaS1F_S1G_EUlS1F_E_NS1_11comp_targetILNS1_3genE4ELNS1_11target_archE910ELNS1_3gpuE8ELNS1_3repE0EEENS1_30default_config_static_selectorELNS0_4arch9wavefront6targetE0EEEvT1_.private_seg_size, 0
	.set _ZN7rocprim17ROCPRIM_400000_NS6detail17trampoline_kernelINS0_14default_configENS1_25partition_config_selectorILNS1_17partition_subalgoE6EyNS0_10empty_typeEbEEZZNS1_14partition_implILS5_6ELb0ES3_mN6thrust23THRUST_200600_302600_NS6detail15normal_iteratorINSA_10device_ptrIyEEEEPS6_SG_NS0_5tupleIJSF_S6_EEENSH_IJSG_SG_EEES6_PlJNSB_9not_fun_tINSB_10functional5actorINSM_9compositeIJNSM_27transparent_binary_operatorINSA_8equal_toIvEEEENSN_INSM_8argumentILj0EEEEENSM_5valueIyEEEEEEEEEEEE10hipError_tPvRmT3_T4_T5_T6_T7_T9_mT8_P12ihipStream_tbDpT10_ENKUlT_T0_E_clISt17integral_constantIbLb0EES1J_IbLb1EEEEDaS1F_S1G_EUlS1F_E_NS1_11comp_targetILNS1_3genE4ELNS1_11target_archE910ELNS1_3gpuE8ELNS1_3repE0EEENS1_30default_config_static_selectorELNS0_4arch9wavefront6targetE0EEEvT1_.uses_vcc, 0
	.set _ZN7rocprim17ROCPRIM_400000_NS6detail17trampoline_kernelINS0_14default_configENS1_25partition_config_selectorILNS1_17partition_subalgoE6EyNS0_10empty_typeEbEEZZNS1_14partition_implILS5_6ELb0ES3_mN6thrust23THRUST_200600_302600_NS6detail15normal_iteratorINSA_10device_ptrIyEEEEPS6_SG_NS0_5tupleIJSF_S6_EEENSH_IJSG_SG_EEES6_PlJNSB_9not_fun_tINSB_10functional5actorINSM_9compositeIJNSM_27transparent_binary_operatorINSA_8equal_toIvEEEENSN_INSM_8argumentILj0EEEEENSM_5valueIyEEEEEEEEEEEE10hipError_tPvRmT3_T4_T5_T6_T7_T9_mT8_P12ihipStream_tbDpT10_ENKUlT_T0_E_clISt17integral_constantIbLb0EES1J_IbLb1EEEEDaS1F_S1G_EUlS1F_E_NS1_11comp_targetILNS1_3genE4ELNS1_11target_archE910ELNS1_3gpuE8ELNS1_3repE0EEENS1_30default_config_static_selectorELNS0_4arch9wavefront6targetE0EEEvT1_.uses_flat_scratch, 0
	.set _ZN7rocprim17ROCPRIM_400000_NS6detail17trampoline_kernelINS0_14default_configENS1_25partition_config_selectorILNS1_17partition_subalgoE6EyNS0_10empty_typeEbEEZZNS1_14partition_implILS5_6ELb0ES3_mN6thrust23THRUST_200600_302600_NS6detail15normal_iteratorINSA_10device_ptrIyEEEEPS6_SG_NS0_5tupleIJSF_S6_EEENSH_IJSG_SG_EEES6_PlJNSB_9not_fun_tINSB_10functional5actorINSM_9compositeIJNSM_27transparent_binary_operatorINSA_8equal_toIvEEEENSN_INSM_8argumentILj0EEEEENSM_5valueIyEEEEEEEEEEEE10hipError_tPvRmT3_T4_T5_T6_T7_T9_mT8_P12ihipStream_tbDpT10_ENKUlT_T0_E_clISt17integral_constantIbLb0EES1J_IbLb1EEEEDaS1F_S1G_EUlS1F_E_NS1_11comp_targetILNS1_3genE4ELNS1_11target_archE910ELNS1_3gpuE8ELNS1_3repE0EEENS1_30default_config_static_selectorELNS0_4arch9wavefront6targetE0EEEvT1_.has_dyn_sized_stack, 0
	.set _ZN7rocprim17ROCPRIM_400000_NS6detail17trampoline_kernelINS0_14default_configENS1_25partition_config_selectorILNS1_17partition_subalgoE6EyNS0_10empty_typeEbEEZZNS1_14partition_implILS5_6ELb0ES3_mN6thrust23THRUST_200600_302600_NS6detail15normal_iteratorINSA_10device_ptrIyEEEEPS6_SG_NS0_5tupleIJSF_S6_EEENSH_IJSG_SG_EEES6_PlJNSB_9not_fun_tINSB_10functional5actorINSM_9compositeIJNSM_27transparent_binary_operatorINSA_8equal_toIvEEEENSN_INSM_8argumentILj0EEEEENSM_5valueIyEEEEEEEEEEEE10hipError_tPvRmT3_T4_T5_T6_T7_T9_mT8_P12ihipStream_tbDpT10_ENKUlT_T0_E_clISt17integral_constantIbLb0EES1J_IbLb1EEEEDaS1F_S1G_EUlS1F_E_NS1_11comp_targetILNS1_3genE4ELNS1_11target_archE910ELNS1_3gpuE8ELNS1_3repE0EEENS1_30default_config_static_selectorELNS0_4arch9wavefront6targetE0EEEvT1_.has_recursion, 0
	.set _ZN7rocprim17ROCPRIM_400000_NS6detail17trampoline_kernelINS0_14default_configENS1_25partition_config_selectorILNS1_17partition_subalgoE6EyNS0_10empty_typeEbEEZZNS1_14partition_implILS5_6ELb0ES3_mN6thrust23THRUST_200600_302600_NS6detail15normal_iteratorINSA_10device_ptrIyEEEEPS6_SG_NS0_5tupleIJSF_S6_EEENSH_IJSG_SG_EEES6_PlJNSB_9not_fun_tINSB_10functional5actorINSM_9compositeIJNSM_27transparent_binary_operatorINSA_8equal_toIvEEEENSN_INSM_8argumentILj0EEEEENSM_5valueIyEEEEEEEEEEEE10hipError_tPvRmT3_T4_T5_T6_T7_T9_mT8_P12ihipStream_tbDpT10_ENKUlT_T0_E_clISt17integral_constantIbLb0EES1J_IbLb1EEEEDaS1F_S1G_EUlS1F_E_NS1_11comp_targetILNS1_3genE4ELNS1_11target_archE910ELNS1_3gpuE8ELNS1_3repE0EEENS1_30default_config_static_selectorELNS0_4arch9wavefront6targetE0EEEvT1_.has_indirect_call, 0
	.section	.AMDGPU.csdata,"",@progbits
; Kernel info:
; codeLenInByte = 0
; TotalNumSgprs: 0
; NumVgprs: 0
; ScratchSize: 0
; MemoryBound: 0
; FloatMode: 240
; IeeeMode: 1
; LDSByteSize: 0 bytes/workgroup (compile time only)
; SGPRBlocks: 0
; VGPRBlocks: 0
; NumSGPRsForWavesPerEU: 1
; NumVGPRsForWavesPerEU: 1
; Occupancy: 16
; WaveLimiterHint : 0
; COMPUTE_PGM_RSRC2:SCRATCH_EN: 0
; COMPUTE_PGM_RSRC2:USER_SGPR: 2
; COMPUTE_PGM_RSRC2:TRAP_HANDLER: 0
; COMPUTE_PGM_RSRC2:TGID_X_EN: 1
; COMPUTE_PGM_RSRC2:TGID_Y_EN: 0
; COMPUTE_PGM_RSRC2:TGID_Z_EN: 0
; COMPUTE_PGM_RSRC2:TIDIG_COMP_CNT: 0
	.section	.text._ZN7rocprim17ROCPRIM_400000_NS6detail17trampoline_kernelINS0_14default_configENS1_25partition_config_selectorILNS1_17partition_subalgoE6EyNS0_10empty_typeEbEEZZNS1_14partition_implILS5_6ELb0ES3_mN6thrust23THRUST_200600_302600_NS6detail15normal_iteratorINSA_10device_ptrIyEEEEPS6_SG_NS0_5tupleIJSF_S6_EEENSH_IJSG_SG_EEES6_PlJNSB_9not_fun_tINSB_10functional5actorINSM_9compositeIJNSM_27transparent_binary_operatorINSA_8equal_toIvEEEENSN_INSM_8argumentILj0EEEEENSM_5valueIyEEEEEEEEEEEE10hipError_tPvRmT3_T4_T5_T6_T7_T9_mT8_P12ihipStream_tbDpT10_ENKUlT_T0_E_clISt17integral_constantIbLb0EES1J_IbLb1EEEEDaS1F_S1G_EUlS1F_E_NS1_11comp_targetILNS1_3genE3ELNS1_11target_archE908ELNS1_3gpuE7ELNS1_3repE0EEENS1_30default_config_static_selectorELNS0_4arch9wavefront6targetE0EEEvT1_,"axG",@progbits,_ZN7rocprim17ROCPRIM_400000_NS6detail17trampoline_kernelINS0_14default_configENS1_25partition_config_selectorILNS1_17partition_subalgoE6EyNS0_10empty_typeEbEEZZNS1_14partition_implILS5_6ELb0ES3_mN6thrust23THRUST_200600_302600_NS6detail15normal_iteratorINSA_10device_ptrIyEEEEPS6_SG_NS0_5tupleIJSF_S6_EEENSH_IJSG_SG_EEES6_PlJNSB_9not_fun_tINSB_10functional5actorINSM_9compositeIJNSM_27transparent_binary_operatorINSA_8equal_toIvEEEENSN_INSM_8argumentILj0EEEEENSM_5valueIyEEEEEEEEEEEE10hipError_tPvRmT3_T4_T5_T6_T7_T9_mT8_P12ihipStream_tbDpT10_ENKUlT_T0_E_clISt17integral_constantIbLb0EES1J_IbLb1EEEEDaS1F_S1G_EUlS1F_E_NS1_11comp_targetILNS1_3genE3ELNS1_11target_archE908ELNS1_3gpuE7ELNS1_3repE0EEENS1_30default_config_static_selectorELNS0_4arch9wavefront6targetE0EEEvT1_,comdat
	.protected	_ZN7rocprim17ROCPRIM_400000_NS6detail17trampoline_kernelINS0_14default_configENS1_25partition_config_selectorILNS1_17partition_subalgoE6EyNS0_10empty_typeEbEEZZNS1_14partition_implILS5_6ELb0ES3_mN6thrust23THRUST_200600_302600_NS6detail15normal_iteratorINSA_10device_ptrIyEEEEPS6_SG_NS0_5tupleIJSF_S6_EEENSH_IJSG_SG_EEES6_PlJNSB_9not_fun_tINSB_10functional5actorINSM_9compositeIJNSM_27transparent_binary_operatorINSA_8equal_toIvEEEENSN_INSM_8argumentILj0EEEEENSM_5valueIyEEEEEEEEEEEE10hipError_tPvRmT3_T4_T5_T6_T7_T9_mT8_P12ihipStream_tbDpT10_ENKUlT_T0_E_clISt17integral_constantIbLb0EES1J_IbLb1EEEEDaS1F_S1G_EUlS1F_E_NS1_11comp_targetILNS1_3genE3ELNS1_11target_archE908ELNS1_3gpuE7ELNS1_3repE0EEENS1_30default_config_static_selectorELNS0_4arch9wavefront6targetE0EEEvT1_ ; -- Begin function _ZN7rocprim17ROCPRIM_400000_NS6detail17trampoline_kernelINS0_14default_configENS1_25partition_config_selectorILNS1_17partition_subalgoE6EyNS0_10empty_typeEbEEZZNS1_14partition_implILS5_6ELb0ES3_mN6thrust23THRUST_200600_302600_NS6detail15normal_iteratorINSA_10device_ptrIyEEEEPS6_SG_NS0_5tupleIJSF_S6_EEENSH_IJSG_SG_EEES6_PlJNSB_9not_fun_tINSB_10functional5actorINSM_9compositeIJNSM_27transparent_binary_operatorINSA_8equal_toIvEEEENSN_INSM_8argumentILj0EEEEENSM_5valueIyEEEEEEEEEEEE10hipError_tPvRmT3_T4_T5_T6_T7_T9_mT8_P12ihipStream_tbDpT10_ENKUlT_T0_E_clISt17integral_constantIbLb0EES1J_IbLb1EEEEDaS1F_S1G_EUlS1F_E_NS1_11comp_targetILNS1_3genE3ELNS1_11target_archE908ELNS1_3gpuE7ELNS1_3repE0EEENS1_30default_config_static_selectorELNS0_4arch9wavefront6targetE0EEEvT1_
	.globl	_ZN7rocprim17ROCPRIM_400000_NS6detail17trampoline_kernelINS0_14default_configENS1_25partition_config_selectorILNS1_17partition_subalgoE6EyNS0_10empty_typeEbEEZZNS1_14partition_implILS5_6ELb0ES3_mN6thrust23THRUST_200600_302600_NS6detail15normal_iteratorINSA_10device_ptrIyEEEEPS6_SG_NS0_5tupleIJSF_S6_EEENSH_IJSG_SG_EEES6_PlJNSB_9not_fun_tINSB_10functional5actorINSM_9compositeIJNSM_27transparent_binary_operatorINSA_8equal_toIvEEEENSN_INSM_8argumentILj0EEEEENSM_5valueIyEEEEEEEEEEEE10hipError_tPvRmT3_T4_T5_T6_T7_T9_mT8_P12ihipStream_tbDpT10_ENKUlT_T0_E_clISt17integral_constantIbLb0EES1J_IbLb1EEEEDaS1F_S1G_EUlS1F_E_NS1_11comp_targetILNS1_3genE3ELNS1_11target_archE908ELNS1_3gpuE7ELNS1_3repE0EEENS1_30default_config_static_selectorELNS0_4arch9wavefront6targetE0EEEvT1_
	.p2align	8
	.type	_ZN7rocprim17ROCPRIM_400000_NS6detail17trampoline_kernelINS0_14default_configENS1_25partition_config_selectorILNS1_17partition_subalgoE6EyNS0_10empty_typeEbEEZZNS1_14partition_implILS5_6ELb0ES3_mN6thrust23THRUST_200600_302600_NS6detail15normal_iteratorINSA_10device_ptrIyEEEEPS6_SG_NS0_5tupleIJSF_S6_EEENSH_IJSG_SG_EEES6_PlJNSB_9not_fun_tINSB_10functional5actorINSM_9compositeIJNSM_27transparent_binary_operatorINSA_8equal_toIvEEEENSN_INSM_8argumentILj0EEEEENSM_5valueIyEEEEEEEEEEEE10hipError_tPvRmT3_T4_T5_T6_T7_T9_mT8_P12ihipStream_tbDpT10_ENKUlT_T0_E_clISt17integral_constantIbLb0EES1J_IbLb1EEEEDaS1F_S1G_EUlS1F_E_NS1_11comp_targetILNS1_3genE3ELNS1_11target_archE908ELNS1_3gpuE7ELNS1_3repE0EEENS1_30default_config_static_selectorELNS0_4arch9wavefront6targetE0EEEvT1_,@function
_ZN7rocprim17ROCPRIM_400000_NS6detail17trampoline_kernelINS0_14default_configENS1_25partition_config_selectorILNS1_17partition_subalgoE6EyNS0_10empty_typeEbEEZZNS1_14partition_implILS5_6ELb0ES3_mN6thrust23THRUST_200600_302600_NS6detail15normal_iteratorINSA_10device_ptrIyEEEEPS6_SG_NS0_5tupleIJSF_S6_EEENSH_IJSG_SG_EEES6_PlJNSB_9not_fun_tINSB_10functional5actorINSM_9compositeIJNSM_27transparent_binary_operatorINSA_8equal_toIvEEEENSN_INSM_8argumentILj0EEEEENSM_5valueIyEEEEEEEEEEEE10hipError_tPvRmT3_T4_T5_T6_T7_T9_mT8_P12ihipStream_tbDpT10_ENKUlT_T0_E_clISt17integral_constantIbLb0EES1J_IbLb1EEEEDaS1F_S1G_EUlS1F_E_NS1_11comp_targetILNS1_3genE3ELNS1_11target_archE908ELNS1_3gpuE7ELNS1_3repE0EEENS1_30default_config_static_selectorELNS0_4arch9wavefront6targetE0EEEvT1_: ; @_ZN7rocprim17ROCPRIM_400000_NS6detail17trampoline_kernelINS0_14default_configENS1_25partition_config_selectorILNS1_17partition_subalgoE6EyNS0_10empty_typeEbEEZZNS1_14partition_implILS5_6ELb0ES3_mN6thrust23THRUST_200600_302600_NS6detail15normal_iteratorINSA_10device_ptrIyEEEEPS6_SG_NS0_5tupleIJSF_S6_EEENSH_IJSG_SG_EEES6_PlJNSB_9not_fun_tINSB_10functional5actorINSM_9compositeIJNSM_27transparent_binary_operatorINSA_8equal_toIvEEEENSN_INSM_8argumentILj0EEEEENSM_5valueIyEEEEEEEEEEEE10hipError_tPvRmT3_T4_T5_T6_T7_T9_mT8_P12ihipStream_tbDpT10_ENKUlT_T0_E_clISt17integral_constantIbLb0EES1J_IbLb1EEEEDaS1F_S1G_EUlS1F_E_NS1_11comp_targetILNS1_3genE3ELNS1_11target_archE908ELNS1_3gpuE7ELNS1_3repE0EEENS1_30default_config_static_selectorELNS0_4arch9wavefront6targetE0EEEvT1_
; %bb.0:
	.section	.rodata,"a",@progbits
	.p2align	6, 0x0
	.amdhsa_kernel _ZN7rocprim17ROCPRIM_400000_NS6detail17trampoline_kernelINS0_14default_configENS1_25partition_config_selectorILNS1_17partition_subalgoE6EyNS0_10empty_typeEbEEZZNS1_14partition_implILS5_6ELb0ES3_mN6thrust23THRUST_200600_302600_NS6detail15normal_iteratorINSA_10device_ptrIyEEEEPS6_SG_NS0_5tupleIJSF_S6_EEENSH_IJSG_SG_EEES6_PlJNSB_9not_fun_tINSB_10functional5actorINSM_9compositeIJNSM_27transparent_binary_operatorINSA_8equal_toIvEEEENSN_INSM_8argumentILj0EEEEENSM_5valueIyEEEEEEEEEEEE10hipError_tPvRmT3_T4_T5_T6_T7_T9_mT8_P12ihipStream_tbDpT10_ENKUlT_T0_E_clISt17integral_constantIbLb0EES1J_IbLb1EEEEDaS1F_S1G_EUlS1F_E_NS1_11comp_targetILNS1_3genE3ELNS1_11target_archE908ELNS1_3gpuE7ELNS1_3repE0EEENS1_30default_config_static_selectorELNS0_4arch9wavefront6targetE0EEEvT1_
		.amdhsa_group_segment_fixed_size 0
		.amdhsa_private_segment_fixed_size 0
		.amdhsa_kernarg_size 136
		.amdhsa_user_sgpr_count 2
		.amdhsa_user_sgpr_dispatch_ptr 0
		.amdhsa_user_sgpr_queue_ptr 0
		.amdhsa_user_sgpr_kernarg_segment_ptr 1
		.amdhsa_user_sgpr_dispatch_id 0
		.amdhsa_user_sgpr_private_segment_size 0
		.amdhsa_wavefront_size32 1
		.amdhsa_uses_dynamic_stack 0
		.amdhsa_enable_private_segment 0
		.amdhsa_system_sgpr_workgroup_id_x 1
		.amdhsa_system_sgpr_workgroup_id_y 0
		.amdhsa_system_sgpr_workgroup_id_z 0
		.amdhsa_system_sgpr_workgroup_info 0
		.amdhsa_system_vgpr_workitem_id 0
		.amdhsa_next_free_vgpr 1
		.amdhsa_next_free_sgpr 1
		.amdhsa_reserve_vcc 0
		.amdhsa_float_round_mode_32 0
		.amdhsa_float_round_mode_16_64 0
		.amdhsa_float_denorm_mode_32 3
		.amdhsa_float_denorm_mode_16_64 3
		.amdhsa_fp16_overflow 0
		.amdhsa_workgroup_processor_mode 1
		.amdhsa_memory_ordered 1
		.amdhsa_forward_progress 1
		.amdhsa_inst_pref_size 0
		.amdhsa_round_robin_scheduling 0
		.amdhsa_exception_fp_ieee_invalid_op 0
		.amdhsa_exception_fp_denorm_src 0
		.amdhsa_exception_fp_ieee_div_zero 0
		.amdhsa_exception_fp_ieee_overflow 0
		.amdhsa_exception_fp_ieee_underflow 0
		.amdhsa_exception_fp_ieee_inexact 0
		.amdhsa_exception_int_div_zero 0
	.end_amdhsa_kernel
	.section	.text._ZN7rocprim17ROCPRIM_400000_NS6detail17trampoline_kernelINS0_14default_configENS1_25partition_config_selectorILNS1_17partition_subalgoE6EyNS0_10empty_typeEbEEZZNS1_14partition_implILS5_6ELb0ES3_mN6thrust23THRUST_200600_302600_NS6detail15normal_iteratorINSA_10device_ptrIyEEEEPS6_SG_NS0_5tupleIJSF_S6_EEENSH_IJSG_SG_EEES6_PlJNSB_9not_fun_tINSB_10functional5actorINSM_9compositeIJNSM_27transparent_binary_operatorINSA_8equal_toIvEEEENSN_INSM_8argumentILj0EEEEENSM_5valueIyEEEEEEEEEEEE10hipError_tPvRmT3_T4_T5_T6_T7_T9_mT8_P12ihipStream_tbDpT10_ENKUlT_T0_E_clISt17integral_constantIbLb0EES1J_IbLb1EEEEDaS1F_S1G_EUlS1F_E_NS1_11comp_targetILNS1_3genE3ELNS1_11target_archE908ELNS1_3gpuE7ELNS1_3repE0EEENS1_30default_config_static_selectorELNS0_4arch9wavefront6targetE0EEEvT1_,"axG",@progbits,_ZN7rocprim17ROCPRIM_400000_NS6detail17trampoline_kernelINS0_14default_configENS1_25partition_config_selectorILNS1_17partition_subalgoE6EyNS0_10empty_typeEbEEZZNS1_14partition_implILS5_6ELb0ES3_mN6thrust23THRUST_200600_302600_NS6detail15normal_iteratorINSA_10device_ptrIyEEEEPS6_SG_NS0_5tupleIJSF_S6_EEENSH_IJSG_SG_EEES6_PlJNSB_9not_fun_tINSB_10functional5actorINSM_9compositeIJNSM_27transparent_binary_operatorINSA_8equal_toIvEEEENSN_INSM_8argumentILj0EEEEENSM_5valueIyEEEEEEEEEEEE10hipError_tPvRmT3_T4_T5_T6_T7_T9_mT8_P12ihipStream_tbDpT10_ENKUlT_T0_E_clISt17integral_constantIbLb0EES1J_IbLb1EEEEDaS1F_S1G_EUlS1F_E_NS1_11comp_targetILNS1_3genE3ELNS1_11target_archE908ELNS1_3gpuE7ELNS1_3repE0EEENS1_30default_config_static_selectorELNS0_4arch9wavefront6targetE0EEEvT1_,comdat
.Lfunc_end107:
	.size	_ZN7rocprim17ROCPRIM_400000_NS6detail17trampoline_kernelINS0_14default_configENS1_25partition_config_selectorILNS1_17partition_subalgoE6EyNS0_10empty_typeEbEEZZNS1_14partition_implILS5_6ELb0ES3_mN6thrust23THRUST_200600_302600_NS6detail15normal_iteratorINSA_10device_ptrIyEEEEPS6_SG_NS0_5tupleIJSF_S6_EEENSH_IJSG_SG_EEES6_PlJNSB_9not_fun_tINSB_10functional5actorINSM_9compositeIJNSM_27transparent_binary_operatorINSA_8equal_toIvEEEENSN_INSM_8argumentILj0EEEEENSM_5valueIyEEEEEEEEEEEE10hipError_tPvRmT3_T4_T5_T6_T7_T9_mT8_P12ihipStream_tbDpT10_ENKUlT_T0_E_clISt17integral_constantIbLb0EES1J_IbLb1EEEEDaS1F_S1G_EUlS1F_E_NS1_11comp_targetILNS1_3genE3ELNS1_11target_archE908ELNS1_3gpuE7ELNS1_3repE0EEENS1_30default_config_static_selectorELNS0_4arch9wavefront6targetE0EEEvT1_, .Lfunc_end107-_ZN7rocprim17ROCPRIM_400000_NS6detail17trampoline_kernelINS0_14default_configENS1_25partition_config_selectorILNS1_17partition_subalgoE6EyNS0_10empty_typeEbEEZZNS1_14partition_implILS5_6ELb0ES3_mN6thrust23THRUST_200600_302600_NS6detail15normal_iteratorINSA_10device_ptrIyEEEEPS6_SG_NS0_5tupleIJSF_S6_EEENSH_IJSG_SG_EEES6_PlJNSB_9not_fun_tINSB_10functional5actorINSM_9compositeIJNSM_27transparent_binary_operatorINSA_8equal_toIvEEEENSN_INSM_8argumentILj0EEEEENSM_5valueIyEEEEEEEEEEEE10hipError_tPvRmT3_T4_T5_T6_T7_T9_mT8_P12ihipStream_tbDpT10_ENKUlT_T0_E_clISt17integral_constantIbLb0EES1J_IbLb1EEEEDaS1F_S1G_EUlS1F_E_NS1_11comp_targetILNS1_3genE3ELNS1_11target_archE908ELNS1_3gpuE7ELNS1_3repE0EEENS1_30default_config_static_selectorELNS0_4arch9wavefront6targetE0EEEvT1_
                                        ; -- End function
	.set _ZN7rocprim17ROCPRIM_400000_NS6detail17trampoline_kernelINS0_14default_configENS1_25partition_config_selectorILNS1_17partition_subalgoE6EyNS0_10empty_typeEbEEZZNS1_14partition_implILS5_6ELb0ES3_mN6thrust23THRUST_200600_302600_NS6detail15normal_iteratorINSA_10device_ptrIyEEEEPS6_SG_NS0_5tupleIJSF_S6_EEENSH_IJSG_SG_EEES6_PlJNSB_9not_fun_tINSB_10functional5actorINSM_9compositeIJNSM_27transparent_binary_operatorINSA_8equal_toIvEEEENSN_INSM_8argumentILj0EEEEENSM_5valueIyEEEEEEEEEEEE10hipError_tPvRmT3_T4_T5_T6_T7_T9_mT8_P12ihipStream_tbDpT10_ENKUlT_T0_E_clISt17integral_constantIbLb0EES1J_IbLb1EEEEDaS1F_S1G_EUlS1F_E_NS1_11comp_targetILNS1_3genE3ELNS1_11target_archE908ELNS1_3gpuE7ELNS1_3repE0EEENS1_30default_config_static_selectorELNS0_4arch9wavefront6targetE0EEEvT1_.num_vgpr, 0
	.set _ZN7rocprim17ROCPRIM_400000_NS6detail17trampoline_kernelINS0_14default_configENS1_25partition_config_selectorILNS1_17partition_subalgoE6EyNS0_10empty_typeEbEEZZNS1_14partition_implILS5_6ELb0ES3_mN6thrust23THRUST_200600_302600_NS6detail15normal_iteratorINSA_10device_ptrIyEEEEPS6_SG_NS0_5tupleIJSF_S6_EEENSH_IJSG_SG_EEES6_PlJNSB_9not_fun_tINSB_10functional5actorINSM_9compositeIJNSM_27transparent_binary_operatorINSA_8equal_toIvEEEENSN_INSM_8argumentILj0EEEEENSM_5valueIyEEEEEEEEEEEE10hipError_tPvRmT3_T4_T5_T6_T7_T9_mT8_P12ihipStream_tbDpT10_ENKUlT_T0_E_clISt17integral_constantIbLb0EES1J_IbLb1EEEEDaS1F_S1G_EUlS1F_E_NS1_11comp_targetILNS1_3genE3ELNS1_11target_archE908ELNS1_3gpuE7ELNS1_3repE0EEENS1_30default_config_static_selectorELNS0_4arch9wavefront6targetE0EEEvT1_.num_agpr, 0
	.set _ZN7rocprim17ROCPRIM_400000_NS6detail17trampoline_kernelINS0_14default_configENS1_25partition_config_selectorILNS1_17partition_subalgoE6EyNS0_10empty_typeEbEEZZNS1_14partition_implILS5_6ELb0ES3_mN6thrust23THRUST_200600_302600_NS6detail15normal_iteratorINSA_10device_ptrIyEEEEPS6_SG_NS0_5tupleIJSF_S6_EEENSH_IJSG_SG_EEES6_PlJNSB_9not_fun_tINSB_10functional5actorINSM_9compositeIJNSM_27transparent_binary_operatorINSA_8equal_toIvEEEENSN_INSM_8argumentILj0EEEEENSM_5valueIyEEEEEEEEEEEE10hipError_tPvRmT3_T4_T5_T6_T7_T9_mT8_P12ihipStream_tbDpT10_ENKUlT_T0_E_clISt17integral_constantIbLb0EES1J_IbLb1EEEEDaS1F_S1G_EUlS1F_E_NS1_11comp_targetILNS1_3genE3ELNS1_11target_archE908ELNS1_3gpuE7ELNS1_3repE0EEENS1_30default_config_static_selectorELNS0_4arch9wavefront6targetE0EEEvT1_.numbered_sgpr, 0
	.set _ZN7rocprim17ROCPRIM_400000_NS6detail17trampoline_kernelINS0_14default_configENS1_25partition_config_selectorILNS1_17partition_subalgoE6EyNS0_10empty_typeEbEEZZNS1_14partition_implILS5_6ELb0ES3_mN6thrust23THRUST_200600_302600_NS6detail15normal_iteratorINSA_10device_ptrIyEEEEPS6_SG_NS0_5tupleIJSF_S6_EEENSH_IJSG_SG_EEES6_PlJNSB_9not_fun_tINSB_10functional5actorINSM_9compositeIJNSM_27transparent_binary_operatorINSA_8equal_toIvEEEENSN_INSM_8argumentILj0EEEEENSM_5valueIyEEEEEEEEEEEE10hipError_tPvRmT3_T4_T5_T6_T7_T9_mT8_P12ihipStream_tbDpT10_ENKUlT_T0_E_clISt17integral_constantIbLb0EES1J_IbLb1EEEEDaS1F_S1G_EUlS1F_E_NS1_11comp_targetILNS1_3genE3ELNS1_11target_archE908ELNS1_3gpuE7ELNS1_3repE0EEENS1_30default_config_static_selectorELNS0_4arch9wavefront6targetE0EEEvT1_.num_named_barrier, 0
	.set _ZN7rocprim17ROCPRIM_400000_NS6detail17trampoline_kernelINS0_14default_configENS1_25partition_config_selectorILNS1_17partition_subalgoE6EyNS0_10empty_typeEbEEZZNS1_14partition_implILS5_6ELb0ES3_mN6thrust23THRUST_200600_302600_NS6detail15normal_iteratorINSA_10device_ptrIyEEEEPS6_SG_NS0_5tupleIJSF_S6_EEENSH_IJSG_SG_EEES6_PlJNSB_9not_fun_tINSB_10functional5actorINSM_9compositeIJNSM_27transparent_binary_operatorINSA_8equal_toIvEEEENSN_INSM_8argumentILj0EEEEENSM_5valueIyEEEEEEEEEEEE10hipError_tPvRmT3_T4_T5_T6_T7_T9_mT8_P12ihipStream_tbDpT10_ENKUlT_T0_E_clISt17integral_constantIbLb0EES1J_IbLb1EEEEDaS1F_S1G_EUlS1F_E_NS1_11comp_targetILNS1_3genE3ELNS1_11target_archE908ELNS1_3gpuE7ELNS1_3repE0EEENS1_30default_config_static_selectorELNS0_4arch9wavefront6targetE0EEEvT1_.private_seg_size, 0
	.set _ZN7rocprim17ROCPRIM_400000_NS6detail17trampoline_kernelINS0_14default_configENS1_25partition_config_selectorILNS1_17partition_subalgoE6EyNS0_10empty_typeEbEEZZNS1_14partition_implILS5_6ELb0ES3_mN6thrust23THRUST_200600_302600_NS6detail15normal_iteratorINSA_10device_ptrIyEEEEPS6_SG_NS0_5tupleIJSF_S6_EEENSH_IJSG_SG_EEES6_PlJNSB_9not_fun_tINSB_10functional5actorINSM_9compositeIJNSM_27transparent_binary_operatorINSA_8equal_toIvEEEENSN_INSM_8argumentILj0EEEEENSM_5valueIyEEEEEEEEEEEE10hipError_tPvRmT3_T4_T5_T6_T7_T9_mT8_P12ihipStream_tbDpT10_ENKUlT_T0_E_clISt17integral_constantIbLb0EES1J_IbLb1EEEEDaS1F_S1G_EUlS1F_E_NS1_11comp_targetILNS1_3genE3ELNS1_11target_archE908ELNS1_3gpuE7ELNS1_3repE0EEENS1_30default_config_static_selectorELNS0_4arch9wavefront6targetE0EEEvT1_.uses_vcc, 0
	.set _ZN7rocprim17ROCPRIM_400000_NS6detail17trampoline_kernelINS0_14default_configENS1_25partition_config_selectorILNS1_17partition_subalgoE6EyNS0_10empty_typeEbEEZZNS1_14partition_implILS5_6ELb0ES3_mN6thrust23THRUST_200600_302600_NS6detail15normal_iteratorINSA_10device_ptrIyEEEEPS6_SG_NS0_5tupleIJSF_S6_EEENSH_IJSG_SG_EEES6_PlJNSB_9not_fun_tINSB_10functional5actorINSM_9compositeIJNSM_27transparent_binary_operatorINSA_8equal_toIvEEEENSN_INSM_8argumentILj0EEEEENSM_5valueIyEEEEEEEEEEEE10hipError_tPvRmT3_T4_T5_T6_T7_T9_mT8_P12ihipStream_tbDpT10_ENKUlT_T0_E_clISt17integral_constantIbLb0EES1J_IbLb1EEEEDaS1F_S1G_EUlS1F_E_NS1_11comp_targetILNS1_3genE3ELNS1_11target_archE908ELNS1_3gpuE7ELNS1_3repE0EEENS1_30default_config_static_selectorELNS0_4arch9wavefront6targetE0EEEvT1_.uses_flat_scratch, 0
	.set _ZN7rocprim17ROCPRIM_400000_NS6detail17trampoline_kernelINS0_14default_configENS1_25partition_config_selectorILNS1_17partition_subalgoE6EyNS0_10empty_typeEbEEZZNS1_14partition_implILS5_6ELb0ES3_mN6thrust23THRUST_200600_302600_NS6detail15normal_iteratorINSA_10device_ptrIyEEEEPS6_SG_NS0_5tupleIJSF_S6_EEENSH_IJSG_SG_EEES6_PlJNSB_9not_fun_tINSB_10functional5actorINSM_9compositeIJNSM_27transparent_binary_operatorINSA_8equal_toIvEEEENSN_INSM_8argumentILj0EEEEENSM_5valueIyEEEEEEEEEEEE10hipError_tPvRmT3_T4_T5_T6_T7_T9_mT8_P12ihipStream_tbDpT10_ENKUlT_T0_E_clISt17integral_constantIbLb0EES1J_IbLb1EEEEDaS1F_S1G_EUlS1F_E_NS1_11comp_targetILNS1_3genE3ELNS1_11target_archE908ELNS1_3gpuE7ELNS1_3repE0EEENS1_30default_config_static_selectorELNS0_4arch9wavefront6targetE0EEEvT1_.has_dyn_sized_stack, 0
	.set _ZN7rocprim17ROCPRIM_400000_NS6detail17trampoline_kernelINS0_14default_configENS1_25partition_config_selectorILNS1_17partition_subalgoE6EyNS0_10empty_typeEbEEZZNS1_14partition_implILS5_6ELb0ES3_mN6thrust23THRUST_200600_302600_NS6detail15normal_iteratorINSA_10device_ptrIyEEEEPS6_SG_NS0_5tupleIJSF_S6_EEENSH_IJSG_SG_EEES6_PlJNSB_9not_fun_tINSB_10functional5actorINSM_9compositeIJNSM_27transparent_binary_operatorINSA_8equal_toIvEEEENSN_INSM_8argumentILj0EEEEENSM_5valueIyEEEEEEEEEEEE10hipError_tPvRmT3_T4_T5_T6_T7_T9_mT8_P12ihipStream_tbDpT10_ENKUlT_T0_E_clISt17integral_constantIbLb0EES1J_IbLb1EEEEDaS1F_S1G_EUlS1F_E_NS1_11comp_targetILNS1_3genE3ELNS1_11target_archE908ELNS1_3gpuE7ELNS1_3repE0EEENS1_30default_config_static_selectorELNS0_4arch9wavefront6targetE0EEEvT1_.has_recursion, 0
	.set _ZN7rocprim17ROCPRIM_400000_NS6detail17trampoline_kernelINS0_14default_configENS1_25partition_config_selectorILNS1_17partition_subalgoE6EyNS0_10empty_typeEbEEZZNS1_14partition_implILS5_6ELb0ES3_mN6thrust23THRUST_200600_302600_NS6detail15normal_iteratorINSA_10device_ptrIyEEEEPS6_SG_NS0_5tupleIJSF_S6_EEENSH_IJSG_SG_EEES6_PlJNSB_9not_fun_tINSB_10functional5actorINSM_9compositeIJNSM_27transparent_binary_operatorINSA_8equal_toIvEEEENSN_INSM_8argumentILj0EEEEENSM_5valueIyEEEEEEEEEEEE10hipError_tPvRmT3_T4_T5_T6_T7_T9_mT8_P12ihipStream_tbDpT10_ENKUlT_T0_E_clISt17integral_constantIbLb0EES1J_IbLb1EEEEDaS1F_S1G_EUlS1F_E_NS1_11comp_targetILNS1_3genE3ELNS1_11target_archE908ELNS1_3gpuE7ELNS1_3repE0EEENS1_30default_config_static_selectorELNS0_4arch9wavefront6targetE0EEEvT1_.has_indirect_call, 0
	.section	.AMDGPU.csdata,"",@progbits
; Kernel info:
; codeLenInByte = 0
; TotalNumSgprs: 0
; NumVgprs: 0
; ScratchSize: 0
; MemoryBound: 0
; FloatMode: 240
; IeeeMode: 1
; LDSByteSize: 0 bytes/workgroup (compile time only)
; SGPRBlocks: 0
; VGPRBlocks: 0
; NumSGPRsForWavesPerEU: 1
; NumVGPRsForWavesPerEU: 1
; Occupancy: 16
; WaveLimiterHint : 0
; COMPUTE_PGM_RSRC2:SCRATCH_EN: 0
; COMPUTE_PGM_RSRC2:USER_SGPR: 2
; COMPUTE_PGM_RSRC2:TRAP_HANDLER: 0
; COMPUTE_PGM_RSRC2:TGID_X_EN: 1
; COMPUTE_PGM_RSRC2:TGID_Y_EN: 0
; COMPUTE_PGM_RSRC2:TGID_Z_EN: 0
; COMPUTE_PGM_RSRC2:TIDIG_COMP_CNT: 0
	.section	.text._ZN7rocprim17ROCPRIM_400000_NS6detail17trampoline_kernelINS0_14default_configENS1_25partition_config_selectorILNS1_17partition_subalgoE6EyNS0_10empty_typeEbEEZZNS1_14partition_implILS5_6ELb0ES3_mN6thrust23THRUST_200600_302600_NS6detail15normal_iteratorINSA_10device_ptrIyEEEEPS6_SG_NS0_5tupleIJSF_S6_EEENSH_IJSG_SG_EEES6_PlJNSB_9not_fun_tINSB_10functional5actorINSM_9compositeIJNSM_27transparent_binary_operatorINSA_8equal_toIvEEEENSN_INSM_8argumentILj0EEEEENSM_5valueIyEEEEEEEEEEEE10hipError_tPvRmT3_T4_T5_T6_T7_T9_mT8_P12ihipStream_tbDpT10_ENKUlT_T0_E_clISt17integral_constantIbLb0EES1J_IbLb1EEEEDaS1F_S1G_EUlS1F_E_NS1_11comp_targetILNS1_3genE2ELNS1_11target_archE906ELNS1_3gpuE6ELNS1_3repE0EEENS1_30default_config_static_selectorELNS0_4arch9wavefront6targetE0EEEvT1_,"axG",@progbits,_ZN7rocprim17ROCPRIM_400000_NS6detail17trampoline_kernelINS0_14default_configENS1_25partition_config_selectorILNS1_17partition_subalgoE6EyNS0_10empty_typeEbEEZZNS1_14partition_implILS5_6ELb0ES3_mN6thrust23THRUST_200600_302600_NS6detail15normal_iteratorINSA_10device_ptrIyEEEEPS6_SG_NS0_5tupleIJSF_S6_EEENSH_IJSG_SG_EEES6_PlJNSB_9not_fun_tINSB_10functional5actorINSM_9compositeIJNSM_27transparent_binary_operatorINSA_8equal_toIvEEEENSN_INSM_8argumentILj0EEEEENSM_5valueIyEEEEEEEEEEEE10hipError_tPvRmT3_T4_T5_T6_T7_T9_mT8_P12ihipStream_tbDpT10_ENKUlT_T0_E_clISt17integral_constantIbLb0EES1J_IbLb1EEEEDaS1F_S1G_EUlS1F_E_NS1_11comp_targetILNS1_3genE2ELNS1_11target_archE906ELNS1_3gpuE6ELNS1_3repE0EEENS1_30default_config_static_selectorELNS0_4arch9wavefront6targetE0EEEvT1_,comdat
	.protected	_ZN7rocprim17ROCPRIM_400000_NS6detail17trampoline_kernelINS0_14default_configENS1_25partition_config_selectorILNS1_17partition_subalgoE6EyNS0_10empty_typeEbEEZZNS1_14partition_implILS5_6ELb0ES3_mN6thrust23THRUST_200600_302600_NS6detail15normal_iteratorINSA_10device_ptrIyEEEEPS6_SG_NS0_5tupleIJSF_S6_EEENSH_IJSG_SG_EEES6_PlJNSB_9not_fun_tINSB_10functional5actorINSM_9compositeIJNSM_27transparent_binary_operatorINSA_8equal_toIvEEEENSN_INSM_8argumentILj0EEEEENSM_5valueIyEEEEEEEEEEEE10hipError_tPvRmT3_T4_T5_T6_T7_T9_mT8_P12ihipStream_tbDpT10_ENKUlT_T0_E_clISt17integral_constantIbLb0EES1J_IbLb1EEEEDaS1F_S1G_EUlS1F_E_NS1_11comp_targetILNS1_3genE2ELNS1_11target_archE906ELNS1_3gpuE6ELNS1_3repE0EEENS1_30default_config_static_selectorELNS0_4arch9wavefront6targetE0EEEvT1_ ; -- Begin function _ZN7rocprim17ROCPRIM_400000_NS6detail17trampoline_kernelINS0_14default_configENS1_25partition_config_selectorILNS1_17partition_subalgoE6EyNS0_10empty_typeEbEEZZNS1_14partition_implILS5_6ELb0ES3_mN6thrust23THRUST_200600_302600_NS6detail15normal_iteratorINSA_10device_ptrIyEEEEPS6_SG_NS0_5tupleIJSF_S6_EEENSH_IJSG_SG_EEES6_PlJNSB_9not_fun_tINSB_10functional5actorINSM_9compositeIJNSM_27transparent_binary_operatorINSA_8equal_toIvEEEENSN_INSM_8argumentILj0EEEEENSM_5valueIyEEEEEEEEEEEE10hipError_tPvRmT3_T4_T5_T6_T7_T9_mT8_P12ihipStream_tbDpT10_ENKUlT_T0_E_clISt17integral_constantIbLb0EES1J_IbLb1EEEEDaS1F_S1G_EUlS1F_E_NS1_11comp_targetILNS1_3genE2ELNS1_11target_archE906ELNS1_3gpuE6ELNS1_3repE0EEENS1_30default_config_static_selectorELNS0_4arch9wavefront6targetE0EEEvT1_
	.globl	_ZN7rocprim17ROCPRIM_400000_NS6detail17trampoline_kernelINS0_14default_configENS1_25partition_config_selectorILNS1_17partition_subalgoE6EyNS0_10empty_typeEbEEZZNS1_14partition_implILS5_6ELb0ES3_mN6thrust23THRUST_200600_302600_NS6detail15normal_iteratorINSA_10device_ptrIyEEEEPS6_SG_NS0_5tupleIJSF_S6_EEENSH_IJSG_SG_EEES6_PlJNSB_9not_fun_tINSB_10functional5actorINSM_9compositeIJNSM_27transparent_binary_operatorINSA_8equal_toIvEEEENSN_INSM_8argumentILj0EEEEENSM_5valueIyEEEEEEEEEEEE10hipError_tPvRmT3_T4_T5_T6_T7_T9_mT8_P12ihipStream_tbDpT10_ENKUlT_T0_E_clISt17integral_constantIbLb0EES1J_IbLb1EEEEDaS1F_S1G_EUlS1F_E_NS1_11comp_targetILNS1_3genE2ELNS1_11target_archE906ELNS1_3gpuE6ELNS1_3repE0EEENS1_30default_config_static_selectorELNS0_4arch9wavefront6targetE0EEEvT1_
	.p2align	8
	.type	_ZN7rocprim17ROCPRIM_400000_NS6detail17trampoline_kernelINS0_14default_configENS1_25partition_config_selectorILNS1_17partition_subalgoE6EyNS0_10empty_typeEbEEZZNS1_14partition_implILS5_6ELb0ES3_mN6thrust23THRUST_200600_302600_NS6detail15normal_iteratorINSA_10device_ptrIyEEEEPS6_SG_NS0_5tupleIJSF_S6_EEENSH_IJSG_SG_EEES6_PlJNSB_9not_fun_tINSB_10functional5actorINSM_9compositeIJNSM_27transparent_binary_operatorINSA_8equal_toIvEEEENSN_INSM_8argumentILj0EEEEENSM_5valueIyEEEEEEEEEEEE10hipError_tPvRmT3_T4_T5_T6_T7_T9_mT8_P12ihipStream_tbDpT10_ENKUlT_T0_E_clISt17integral_constantIbLb0EES1J_IbLb1EEEEDaS1F_S1G_EUlS1F_E_NS1_11comp_targetILNS1_3genE2ELNS1_11target_archE906ELNS1_3gpuE6ELNS1_3repE0EEENS1_30default_config_static_selectorELNS0_4arch9wavefront6targetE0EEEvT1_,@function
_ZN7rocprim17ROCPRIM_400000_NS6detail17trampoline_kernelINS0_14default_configENS1_25partition_config_selectorILNS1_17partition_subalgoE6EyNS0_10empty_typeEbEEZZNS1_14partition_implILS5_6ELb0ES3_mN6thrust23THRUST_200600_302600_NS6detail15normal_iteratorINSA_10device_ptrIyEEEEPS6_SG_NS0_5tupleIJSF_S6_EEENSH_IJSG_SG_EEES6_PlJNSB_9not_fun_tINSB_10functional5actorINSM_9compositeIJNSM_27transparent_binary_operatorINSA_8equal_toIvEEEENSN_INSM_8argumentILj0EEEEENSM_5valueIyEEEEEEEEEEEE10hipError_tPvRmT3_T4_T5_T6_T7_T9_mT8_P12ihipStream_tbDpT10_ENKUlT_T0_E_clISt17integral_constantIbLb0EES1J_IbLb1EEEEDaS1F_S1G_EUlS1F_E_NS1_11comp_targetILNS1_3genE2ELNS1_11target_archE906ELNS1_3gpuE6ELNS1_3repE0EEENS1_30default_config_static_selectorELNS0_4arch9wavefront6targetE0EEEvT1_: ; @_ZN7rocprim17ROCPRIM_400000_NS6detail17trampoline_kernelINS0_14default_configENS1_25partition_config_selectorILNS1_17partition_subalgoE6EyNS0_10empty_typeEbEEZZNS1_14partition_implILS5_6ELb0ES3_mN6thrust23THRUST_200600_302600_NS6detail15normal_iteratorINSA_10device_ptrIyEEEEPS6_SG_NS0_5tupleIJSF_S6_EEENSH_IJSG_SG_EEES6_PlJNSB_9not_fun_tINSB_10functional5actorINSM_9compositeIJNSM_27transparent_binary_operatorINSA_8equal_toIvEEEENSN_INSM_8argumentILj0EEEEENSM_5valueIyEEEEEEEEEEEE10hipError_tPvRmT3_T4_T5_T6_T7_T9_mT8_P12ihipStream_tbDpT10_ENKUlT_T0_E_clISt17integral_constantIbLb0EES1J_IbLb1EEEEDaS1F_S1G_EUlS1F_E_NS1_11comp_targetILNS1_3genE2ELNS1_11target_archE906ELNS1_3gpuE6ELNS1_3repE0EEENS1_30default_config_static_selectorELNS0_4arch9wavefront6targetE0EEEvT1_
; %bb.0:
	.section	.rodata,"a",@progbits
	.p2align	6, 0x0
	.amdhsa_kernel _ZN7rocprim17ROCPRIM_400000_NS6detail17trampoline_kernelINS0_14default_configENS1_25partition_config_selectorILNS1_17partition_subalgoE6EyNS0_10empty_typeEbEEZZNS1_14partition_implILS5_6ELb0ES3_mN6thrust23THRUST_200600_302600_NS6detail15normal_iteratorINSA_10device_ptrIyEEEEPS6_SG_NS0_5tupleIJSF_S6_EEENSH_IJSG_SG_EEES6_PlJNSB_9not_fun_tINSB_10functional5actorINSM_9compositeIJNSM_27transparent_binary_operatorINSA_8equal_toIvEEEENSN_INSM_8argumentILj0EEEEENSM_5valueIyEEEEEEEEEEEE10hipError_tPvRmT3_T4_T5_T6_T7_T9_mT8_P12ihipStream_tbDpT10_ENKUlT_T0_E_clISt17integral_constantIbLb0EES1J_IbLb1EEEEDaS1F_S1G_EUlS1F_E_NS1_11comp_targetILNS1_3genE2ELNS1_11target_archE906ELNS1_3gpuE6ELNS1_3repE0EEENS1_30default_config_static_selectorELNS0_4arch9wavefront6targetE0EEEvT1_
		.amdhsa_group_segment_fixed_size 0
		.amdhsa_private_segment_fixed_size 0
		.amdhsa_kernarg_size 136
		.amdhsa_user_sgpr_count 2
		.amdhsa_user_sgpr_dispatch_ptr 0
		.amdhsa_user_sgpr_queue_ptr 0
		.amdhsa_user_sgpr_kernarg_segment_ptr 1
		.amdhsa_user_sgpr_dispatch_id 0
		.amdhsa_user_sgpr_private_segment_size 0
		.amdhsa_wavefront_size32 1
		.amdhsa_uses_dynamic_stack 0
		.amdhsa_enable_private_segment 0
		.amdhsa_system_sgpr_workgroup_id_x 1
		.amdhsa_system_sgpr_workgroup_id_y 0
		.amdhsa_system_sgpr_workgroup_id_z 0
		.amdhsa_system_sgpr_workgroup_info 0
		.amdhsa_system_vgpr_workitem_id 0
		.amdhsa_next_free_vgpr 1
		.amdhsa_next_free_sgpr 1
		.amdhsa_reserve_vcc 0
		.amdhsa_float_round_mode_32 0
		.amdhsa_float_round_mode_16_64 0
		.amdhsa_float_denorm_mode_32 3
		.amdhsa_float_denorm_mode_16_64 3
		.amdhsa_fp16_overflow 0
		.amdhsa_workgroup_processor_mode 1
		.amdhsa_memory_ordered 1
		.amdhsa_forward_progress 1
		.amdhsa_inst_pref_size 0
		.amdhsa_round_robin_scheduling 0
		.amdhsa_exception_fp_ieee_invalid_op 0
		.amdhsa_exception_fp_denorm_src 0
		.amdhsa_exception_fp_ieee_div_zero 0
		.amdhsa_exception_fp_ieee_overflow 0
		.amdhsa_exception_fp_ieee_underflow 0
		.amdhsa_exception_fp_ieee_inexact 0
		.amdhsa_exception_int_div_zero 0
	.end_amdhsa_kernel
	.section	.text._ZN7rocprim17ROCPRIM_400000_NS6detail17trampoline_kernelINS0_14default_configENS1_25partition_config_selectorILNS1_17partition_subalgoE6EyNS0_10empty_typeEbEEZZNS1_14partition_implILS5_6ELb0ES3_mN6thrust23THRUST_200600_302600_NS6detail15normal_iteratorINSA_10device_ptrIyEEEEPS6_SG_NS0_5tupleIJSF_S6_EEENSH_IJSG_SG_EEES6_PlJNSB_9not_fun_tINSB_10functional5actorINSM_9compositeIJNSM_27transparent_binary_operatorINSA_8equal_toIvEEEENSN_INSM_8argumentILj0EEEEENSM_5valueIyEEEEEEEEEEEE10hipError_tPvRmT3_T4_T5_T6_T7_T9_mT8_P12ihipStream_tbDpT10_ENKUlT_T0_E_clISt17integral_constantIbLb0EES1J_IbLb1EEEEDaS1F_S1G_EUlS1F_E_NS1_11comp_targetILNS1_3genE2ELNS1_11target_archE906ELNS1_3gpuE6ELNS1_3repE0EEENS1_30default_config_static_selectorELNS0_4arch9wavefront6targetE0EEEvT1_,"axG",@progbits,_ZN7rocprim17ROCPRIM_400000_NS6detail17trampoline_kernelINS0_14default_configENS1_25partition_config_selectorILNS1_17partition_subalgoE6EyNS0_10empty_typeEbEEZZNS1_14partition_implILS5_6ELb0ES3_mN6thrust23THRUST_200600_302600_NS6detail15normal_iteratorINSA_10device_ptrIyEEEEPS6_SG_NS0_5tupleIJSF_S6_EEENSH_IJSG_SG_EEES6_PlJNSB_9not_fun_tINSB_10functional5actorINSM_9compositeIJNSM_27transparent_binary_operatorINSA_8equal_toIvEEEENSN_INSM_8argumentILj0EEEEENSM_5valueIyEEEEEEEEEEEE10hipError_tPvRmT3_T4_T5_T6_T7_T9_mT8_P12ihipStream_tbDpT10_ENKUlT_T0_E_clISt17integral_constantIbLb0EES1J_IbLb1EEEEDaS1F_S1G_EUlS1F_E_NS1_11comp_targetILNS1_3genE2ELNS1_11target_archE906ELNS1_3gpuE6ELNS1_3repE0EEENS1_30default_config_static_selectorELNS0_4arch9wavefront6targetE0EEEvT1_,comdat
.Lfunc_end108:
	.size	_ZN7rocprim17ROCPRIM_400000_NS6detail17trampoline_kernelINS0_14default_configENS1_25partition_config_selectorILNS1_17partition_subalgoE6EyNS0_10empty_typeEbEEZZNS1_14partition_implILS5_6ELb0ES3_mN6thrust23THRUST_200600_302600_NS6detail15normal_iteratorINSA_10device_ptrIyEEEEPS6_SG_NS0_5tupleIJSF_S6_EEENSH_IJSG_SG_EEES6_PlJNSB_9not_fun_tINSB_10functional5actorINSM_9compositeIJNSM_27transparent_binary_operatorINSA_8equal_toIvEEEENSN_INSM_8argumentILj0EEEEENSM_5valueIyEEEEEEEEEEEE10hipError_tPvRmT3_T4_T5_T6_T7_T9_mT8_P12ihipStream_tbDpT10_ENKUlT_T0_E_clISt17integral_constantIbLb0EES1J_IbLb1EEEEDaS1F_S1G_EUlS1F_E_NS1_11comp_targetILNS1_3genE2ELNS1_11target_archE906ELNS1_3gpuE6ELNS1_3repE0EEENS1_30default_config_static_selectorELNS0_4arch9wavefront6targetE0EEEvT1_, .Lfunc_end108-_ZN7rocprim17ROCPRIM_400000_NS6detail17trampoline_kernelINS0_14default_configENS1_25partition_config_selectorILNS1_17partition_subalgoE6EyNS0_10empty_typeEbEEZZNS1_14partition_implILS5_6ELb0ES3_mN6thrust23THRUST_200600_302600_NS6detail15normal_iteratorINSA_10device_ptrIyEEEEPS6_SG_NS0_5tupleIJSF_S6_EEENSH_IJSG_SG_EEES6_PlJNSB_9not_fun_tINSB_10functional5actorINSM_9compositeIJNSM_27transparent_binary_operatorINSA_8equal_toIvEEEENSN_INSM_8argumentILj0EEEEENSM_5valueIyEEEEEEEEEEEE10hipError_tPvRmT3_T4_T5_T6_T7_T9_mT8_P12ihipStream_tbDpT10_ENKUlT_T0_E_clISt17integral_constantIbLb0EES1J_IbLb1EEEEDaS1F_S1G_EUlS1F_E_NS1_11comp_targetILNS1_3genE2ELNS1_11target_archE906ELNS1_3gpuE6ELNS1_3repE0EEENS1_30default_config_static_selectorELNS0_4arch9wavefront6targetE0EEEvT1_
                                        ; -- End function
	.set _ZN7rocprim17ROCPRIM_400000_NS6detail17trampoline_kernelINS0_14default_configENS1_25partition_config_selectorILNS1_17partition_subalgoE6EyNS0_10empty_typeEbEEZZNS1_14partition_implILS5_6ELb0ES3_mN6thrust23THRUST_200600_302600_NS6detail15normal_iteratorINSA_10device_ptrIyEEEEPS6_SG_NS0_5tupleIJSF_S6_EEENSH_IJSG_SG_EEES6_PlJNSB_9not_fun_tINSB_10functional5actorINSM_9compositeIJNSM_27transparent_binary_operatorINSA_8equal_toIvEEEENSN_INSM_8argumentILj0EEEEENSM_5valueIyEEEEEEEEEEEE10hipError_tPvRmT3_T4_T5_T6_T7_T9_mT8_P12ihipStream_tbDpT10_ENKUlT_T0_E_clISt17integral_constantIbLb0EES1J_IbLb1EEEEDaS1F_S1G_EUlS1F_E_NS1_11comp_targetILNS1_3genE2ELNS1_11target_archE906ELNS1_3gpuE6ELNS1_3repE0EEENS1_30default_config_static_selectorELNS0_4arch9wavefront6targetE0EEEvT1_.num_vgpr, 0
	.set _ZN7rocprim17ROCPRIM_400000_NS6detail17trampoline_kernelINS0_14default_configENS1_25partition_config_selectorILNS1_17partition_subalgoE6EyNS0_10empty_typeEbEEZZNS1_14partition_implILS5_6ELb0ES3_mN6thrust23THRUST_200600_302600_NS6detail15normal_iteratorINSA_10device_ptrIyEEEEPS6_SG_NS0_5tupleIJSF_S6_EEENSH_IJSG_SG_EEES6_PlJNSB_9not_fun_tINSB_10functional5actorINSM_9compositeIJNSM_27transparent_binary_operatorINSA_8equal_toIvEEEENSN_INSM_8argumentILj0EEEEENSM_5valueIyEEEEEEEEEEEE10hipError_tPvRmT3_T4_T5_T6_T7_T9_mT8_P12ihipStream_tbDpT10_ENKUlT_T0_E_clISt17integral_constantIbLb0EES1J_IbLb1EEEEDaS1F_S1G_EUlS1F_E_NS1_11comp_targetILNS1_3genE2ELNS1_11target_archE906ELNS1_3gpuE6ELNS1_3repE0EEENS1_30default_config_static_selectorELNS0_4arch9wavefront6targetE0EEEvT1_.num_agpr, 0
	.set _ZN7rocprim17ROCPRIM_400000_NS6detail17trampoline_kernelINS0_14default_configENS1_25partition_config_selectorILNS1_17partition_subalgoE6EyNS0_10empty_typeEbEEZZNS1_14partition_implILS5_6ELb0ES3_mN6thrust23THRUST_200600_302600_NS6detail15normal_iteratorINSA_10device_ptrIyEEEEPS6_SG_NS0_5tupleIJSF_S6_EEENSH_IJSG_SG_EEES6_PlJNSB_9not_fun_tINSB_10functional5actorINSM_9compositeIJNSM_27transparent_binary_operatorINSA_8equal_toIvEEEENSN_INSM_8argumentILj0EEEEENSM_5valueIyEEEEEEEEEEEE10hipError_tPvRmT3_T4_T5_T6_T7_T9_mT8_P12ihipStream_tbDpT10_ENKUlT_T0_E_clISt17integral_constantIbLb0EES1J_IbLb1EEEEDaS1F_S1G_EUlS1F_E_NS1_11comp_targetILNS1_3genE2ELNS1_11target_archE906ELNS1_3gpuE6ELNS1_3repE0EEENS1_30default_config_static_selectorELNS0_4arch9wavefront6targetE0EEEvT1_.numbered_sgpr, 0
	.set _ZN7rocprim17ROCPRIM_400000_NS6detail17trampoline_kernelINS0_14default_configENS1_25partition_config_selectorILNS1_17partition_subalgoE6EyNS0_10empty_typeEbEEZZNS1_14partition_implILS5_6ELb0ES3_mN6thrust23THRUST_200600_302600_NS6detail15normal_iteratorINSA_10device_ptrIyEEEEPS6_SG_NS0_5tupleIJSF_S6_EEENSH_IJSG_SG_EEES6_PlJNSB_9not_fun_tINSB_10functional5actorINSM_9compositeIJNSM_27transparent_binary_operatorINSA_8equal_toIvEEEENSN_INSM_8argumentILj0EEEEENSM_5valueIyEEEEEEEEEEEE10hipError_tPvRmT3_T4_T5_T6_T7_T9_mT8_P12ihipStream_tbDpT10_ENKUlT_T0_E_clISt17integral_constantIbLb0EES1J_IbLb1EEEEDaS1F_S1G_EUlS1F_E_NS1_11comp_targetILNS1_3genE2ELNS1_11target_archE906ELNS1_3gpuE6ELNS1_3repE0EEENS1_30default_config_static_selectorELNS0_4arch9wavefront6targetE0EEEvT1_.num_named_barrier, 0
	.set _ZN7rocprim17ROCPRIM_400000_NS6detail17trampoline_kernelINS0_14default_configENS1_25partition_config_selectorILNS1_17partition_subalgoE6EyNS0_10empty_typeEbEEZZNS1_14partition_implILS5_6ELb0ES3_mN6thrust23THRUST_200600_302600_NS6detail15normal_iteratorINSA_10device_ptrIyEEEEPS6_SG_NS0_5tupleIJSF_S6_EEENSH_IJSG_SG_EEES6_PlJNSB_9not_fun_tINSB_10functional5actorINSM_9compositeIJNSM_27transparent_binary_operatorINSA_8equal_toIvEEEENSN_INSM_8argumentILj0EEEEENSM_5valueIyEEEEEEEEEEEE10hipError_tPvRmT3_T4_T5_T6_T7_T9_mT8_P12ihipStream_tbDpT10_ENKUlT_T0_E_clISt17integral_constantIbLb0EES1J_IbLb1EEEEDaS1F_S1G_EUlS1F_E_NS1_11comp_targetILNS1_3genE2ELNS1_11target_archE906ELNS1_3gpuE6ELNS1_3repE0EEENS1_30default_config_static_selectorELNS0_4arch9wavefront6targetE0EEEvT1_.private_seg_size, 0
	.set _ZN7rocprim17ROCPRIM_400000_NS6detail17trampoline_kernelINS0_14default_configENS1_25partition_config_selectorILNS1_17partition_subalgoE6EyNS0_10empty_typeEbEEZZNS1_14partition_implILS5_6ELb0ES3_mN6thrust23THRUST_200600_302600_NS6detail15normal_iteratorINSA_10device_ptrIyEEEEPS6_SG_NS0_5tupleIJSF_S6_EEENSH_IJSG_SG_EEES6_PlJNSB_9not_fun_tINSB_10functional5actorINSM_9compositeIJNSM_27transparent_binary_operatorINSA_8equal_toIvEEEENSN_INSM_8argumentILj0EEEEENSM_5valueIyEEEEEEEEEEEE10hipError_tPvRmT3_T4_T5_T6_T7_T9_mT8_P12ihipStream_tbDpT10_ENKUlT_T0_E_clISt17integral_constantIbLb0EES1J_IbLb1EEEEDaS1F_S1G_EUlS1F_E_NS1_11comp_targetILNS1_3genE2ELNS1_11target_archE906ELNS1_3gpuE6ELNS1_3repE0EEENS1_30default_config_static_selectorELNS0_4arch9wavefront6targetE0EEEvT1_.uses_vcc, 0
	.set _ZN7rocprim17ROCPRIM_400000_NS6detail17trampoline_kernelINS0_14default_configENS1_25partition_config_selectorILNS1_17partition_subalgoE6EyNS0_10empty_typeEbEEZZNS1_14partition_implILS5_6ELb0ES3_mN6thrust23THRUST_200600_302600_NS6detail15normal_iteratorINSA_10device_ptrIyEEEEPS6_SG_NS0_5tupleIJSF_S6_EEENSH_IJSG_SG_EEES6_PlJNSB_9not_fun_tINSB_10functional5actorINSM_9compositeIJNSM_27transparent_binary_operatorINSA_8equal_toIvEEEENSN_INSM_8argumentILj0EEEEENSM_5valueIyEEEEEEEEEEEE10hipError_tPvRmT3_T4_T5_T6_T7_T9_mT8_P12ihipStream_tbDpT10_ENKUlT_T0_E_clISt17integral_constantIbLb0EES1J_IbLb1EEEEDaS1F_S1G_EUlS1F_E_NS1_11comp_targetILNS1_3genE2ELNS1_11target_archE906ELNS1_3gpuE6ELNS1_3repE0EEENS1_30default_config_static_selectorELNS0_4arch9wavefront6targetE0EEEvT1_.uses_flat_scratch, 0
	.set _ZN7rocprim17ROCPRIM_400000_NS6detail17trampoline_kernelINS0_14default_configENS1_25partition_config_selectorILNS1_17partition_subalgoE6EyNS0_10empty_typeEbEEZZNS1_14partition_implILS5_6ELb0ES3_mN6thrust23THRUST_200600_302600_NS6detail15normal_iteratorINSA_10device_ptrIyEEEEPS6_SG_NS0_5tupleIJSF_S6_EEENSH_IJSG_SG_EEES6_PlJNSB_9not_fun_tINSB_10functional5actorINSM_9compositeIJNSM_27transparent_binary_operatorINSA_8equal_toIvEEEENSN_INSM_8argumentILj0EEEEENSM_5valueIyEEEEEEEEEEEE10hipError_tPvRmT3_T4_T5_T6_T7_T9_mT8_P12ihipStream_tbDpT10_ENKUlT_T0_E_clISt17integral_constantIbLb0EES1J_IbLb1EEEEDaS1F_S1G_EUlS1F_E_NS1_11comp_targetILNS1_3genE2ELNS1_11target_archE906ELNS1_3gpuE6ELNS1_3repE0EEENS1_30default_config_static_selectorELNS0_4arch9wavefront6targetE0EEEvT1_.has_dyn_sized_stack, 0
	.set _ZN7rocprim17ROCPRIM_400000_NS6detail17trampoline_kernelINS0_14default_configENS1_25partition_config_selectorILNS1_17partition_subalgoE6EyNS0_10empty_typeEbEEZZNS1_14partition_implILS5_6ELb0ES3_mN6thrust23THRUST_200600_302600_NS6detail15normal_iteratorINSA_10device_ptrIyEEEEPS6_SG_NS0_5tupleIJSF_S6_EEENSH_IJSG_SG_EEES6_PlJNSB_9not_fun_tINSB_10functional5actorINSM_9compositeIJNSM_27transparent_binary_operatorINSA_8equal_toIvEEEENSN_INSM_8argumentILj0EEEEENSM_5valueIyEEEEEEEEEEEE10hipError_tPvRmT3_T4_T5_T6_T7_T9_mT8_P12ihipStream_tbDpT10_ENKUlT_T0_E_clISt17integral_constantIbLb0EES1J_IbLb1EEEEDaS1F_S1G_EUlS1F_E_NS1_11comp_targetILNS1_3genE2ELNS1_11target_archE906ELNS1_3gpuE6ELNS1_3repE0EEENS1_30default_config_static_selectorELNS0_4arch9wavefront6targetE0EEEvT1_.has_recursion, 0
	.set _ZN7rocprim17ROCPRIM_400000_NS6detail17trampoline_kernelINS0_14default_configENS1_25partition_config_selectorILNS1_17partition_subalgoE6EyNS0_10empty_typeEbEEZZNS1_14partition_implILS5_6ELb0ES3_mN6thrust23THRUST_200600_302600_NS6detail15normal_iteratorINSA_10device_ptrIyEEEEPS6_SG_NS0_5tupleIJSF_S6_EEENSH_IJSG_SG_EEES6_PlJNSB_9not_fun_tINSB_10functional5actorINSM_9compositeIJNSM_27transparent_binary_operatorINSA_8equal_toIvEEEENSN_INSM_8argumentILj0EEEEENSM_5valueIyEEEEEEEEEEEE10hipError_tPvRmT3_T4_T5_T6_T7_T9_mT8_P12ihipStream_tbDpT10_ENKUlT_T0_E_clISt17integral_constantIbLb0EES1J_IbLb1EEEEDaS1F_S1G_EUlS1F_E_NS1_11comp_targetILNS1_3genE2ELNS1_11target_archE906ELNS1_3gpuE6ELNS1_3repE0EEENS1_30default_config_static_selectorELNS0_4arch9wavefront6targetE0EEEvT1_.has_indirect_call, 0
	.section	.AMDGPU.csdata,"",@progbits
; Kernel info:
; codeLenInByte = 0
; TotalNumSgprs: 0
; NumVgprs: 0
; ScratchSize: 0
; MemoryBound: 0
; FloatMode: 240
; IeeeMode: 1
; LDSByteSize: 0 bytes/workgroup (compile time only)
; SGPRBlocks: 0
; VGPRBlocks: 0
; NumSGPRsForWavesPerEU: 1
; NumVGPRsForWavesPerEU: 1
; Occupancy: 16
; WaveLimiterHint : 0
; COMPUTE_PGM_RSRC2:SCRATCH_EN: 0
; COMPUTE_PGM_RSRC2:USER_SGPR: 2
; COMPUTE_PGM_RSRC2:TRAP_HANDLER: 0
; COMPUTE_PGM_RSRC2:TGID_X_EN: 1
; COMPUTE_PGM_RSRC2:TGID_Y_EN: 0
; COMPUTE_PGM_RSRC2:TGID_Z_EN: 0
; COMPUTE_PGM_RSRC2:TIDIG_COMP_CNT: 0
	.section	.text._ZN7rocprim17ROCPRIM_400000_NS6detail17trampoline_kernelINS0_14default_configENS1_25partition_config_selectorILNS1_17partition_subalgoE6EyNS0_10empty_typeEbEEZZNS1_14partition_implILS5_6ELb0ES3_mN6thrust23THRUST_200600_302600_NS6detail15normal_iteratorINSA_10device_ptrIyEEEEPS6_SG_NS0_5tupleIJSF_S6_EEENSH_IJSG_SG_EEES6_PlJNSB_9not_fun_tINSB_10functional5actorINSM_9compositeIJNSM_27transparent_binary_operatorINSA_8equal_toIvEEEENSN_INSM_8argumentILj0EEEEENSM_5valueIyEEEEEEEEEEEE10hipError_tPvRmT3_T4_T5_T6_T7_T9_mT8_P12ihipStream_tbDpT10_ENKUlT_T0_E_clISt17integral_constantIbLb0EES1J_IbLb1EEEEDaS1F_S1G_EUlS1F_E_NS1_11comp_targetILNS1_3genE10ELNS1_11target_archE1200ELNS1_3gpuE4ELNS1_3repE0EEENS1_30default_config_static_selectorELNS0_4arch9wavefront6targetE0EEEvT1_,"axG",@progbits,_ZN7rocprim17ROCPRIM_400000_NS6detail17trampoline_kernelINS0_14default_configENS1_25partition_config_selectorILNS1_17partition_subalgoE6EyNS0_10empty_typeEbEEZZNS1_14partition_implILS5_6ELb0ES3_mN6thrust23THRUST_200600_302600_NS6detail15normal_iteratorINSA_10device_ptrIyEEEEPS6_SG_NS0_5tupleIJSF_S6_EEENSH_IJSG_SG_EEES6_PlJNSB_9not_fun_tINSB_10functional5actorINSM_9compositeIJNSM_27transparent_binary_operatorINSA_8equal_toIvEEEENSN_INSM_8argumentILj0EEEEENSM_5valueIyEEEEEEEEEEEE10hipError_tPvRmT3_T4_T5_T6_T7_T9_mT8_P12ihipStream_tbDpT10_ENKUlT_T0_E_clISt17integral_constantIbLb0EES1J_IbLb1EEEEDaS1F_S1G_EUlS1F_E_NS1_11comp_targetILNS1_3genE10ELNS1_11target_archE1200ELNS1_3gpuE4ELNS1_3repE0EEENS1_30default_config_static_selectorELNS0_4arch9wavefront6targetE0EEEvT1_,comdat
	.protected	_ZN7rocprim17ROCPRIM_400000_NS6detail17trampoline_kernelINS0_14default_configENS1_25partition_config_selectorILNS1_17partition_subalgoE6EyNS0_10empty_typeEbEEZZNS1_14partition_implILS5_6ELb0ES3_mN6thrust23THRUST_200600_302600_NS6detail15normal_iteratorINSA_10device_ptrIyEEEEPS6_SG_NS0_5tupleIJSF_S6_EEENSH_IJSG_SG_EEES6_PlJNSB_9not_fun_tINSB_10functional5actorINSM_9compositeIJNSM_27transparent_binary_operatorINSA_8equal_toIvEEEENSN_INSM_8argumentILj0EEEEENSM_5valueIyEEEEEEEEEEEE10hipError_tPvRmT3_T4_T5_T6_T7_T9_mT8_P12ihipStream_tbDpT10_ENKUlT_T0_E_clISt17integral_constantIbLb0EES1J_IbLb1EEEEDaS1F_S1G_EUlS1F_E_NS1_11comp_targetILNS1_3genE10ELNS1_11target_archE1200ELNS1_3gpuE4ELNS1_3repE0EEENS1_30default_config_static_selectorELNS0_4arch9wavefront6targetE0EEEvT1_ ; -- Begin function _ZN7rocprim17ROCPRIM_400000_NS6detail17trampoline_kernelINS0_14default_configENS1_25partition_config_selectorILNS1_17partition_subalgoE6EyNS0_10empty_typeEbEEZZNS1_14partition_implILS5_6ELb0ES3_mN6thrust23THRUST_200600_302600_NS6detail15normal_iteratorINSA_10device_ptrIyEEEEPS6_SG_NS0_5tupleIJSF_S6_EEENSH_IJSG_SG_EEES6_PlJNSB_9not_fun_tINSB_10functional5actorINSM_9compositeIJNSM_27transparent_binary_operatorINSA_8equal_toIvEEEENSN_INSM_8argumentILj0EEEEENSM_5valueIyEEEEEEEEEEEE10hipError_tPvRmT3_T4_T5_T6_T7_T9_mT8_P12ihipStream_tbDpT10_ENKUlT_T0_E_clISt17integral_constantIbLb0EES1J_IbLb1EEEEDaS1F_S1G_EUlS1F_E_NS1_11comp_targetILNS1_3genE10ELNS1_11target_archE1200ELNS1_3gpuE4ELNS1_3repE0EEENS1_30default_config_static_selectorELNS0_4arch9wavefront6targetE0EEEvT1_
	.globl	_ZN7rocprim17ROCPRIM_400000_NS6detail17trampoline_kernelINS0_14default_configENS1_25partition_config_selectorILNS1_17partition_subalgoE6EyNS0_10empty_typeEbEEZZNS1_14partition_implILS5_6ELb0ES3_mN6thrust23THRUST_200600_302600_NS6detail15normal_iteratorINSA_10device_ptrIyEEEEPS6_SG_NS0_5tupleIJSF_S6_EEENSH_IJSG_SG_EEES6_PlJNSB_9not_fun_tINSB_10functional5actorINSM_9compositeIJNSM_27transparent_binary_operatorINSA_8equal_toIvEEEENSN_INSM_8argumentILj0EEEEENSM_5valueIyEEEEEEEEEEEE10hipError_tPvRmT3_T4_T5_T6_T7_T9_mT8_P12ihipStream_tbDpT10_ENKUlT_T0_E_clISt17integral_constantIbLb0EES1J_IbLb1EEEEDaS1F_S1G_EUlS1F_E_NS1_11comp_targetILNS1_3genE10ELNS1_11target_archE1200ELNS1_3gpuE4ELNS1_3repE0EEENS1_30default_config_static_selectorELNS0_4arch9wavefront6targetE0EEEvT1_
	.p2align	8
	.type	_ZN7rocprim17ROCPRIM_400000_NS6detail17trampoline_kernelINS0_14default_configENS1_25partition_config_selectorILNS1_17partition_subalgoE6EyNS0_10empty_typeEbEEZZNS1_14partition_implILS5_6ELb0ES3_mN6thrust23THRUST_200600_302600_NS6detail15normal_iteratorINSA_10device_ptrIyEEEEPS6_SG_NS0_5tupleIJSF_S6_EEENSH_IJSG_SG_EEES6_PlJNSB_9not_fun_tINSB_10functional5actorINSM_9compositeIJNSM_27transparent_binary_operatorINSA_8equal_toIvEEEENSN_INSM_8argumentILj0EEEEENSM_5valueIyEEEEEEEEEEEE10hipError_tPvRmT3_T4_T5_T6_T7_T9_mT8_P12ihipStream_tbDpT10_ENKUlT_T0_E_clISt17integral_constantIbLb0EES1J_IbLb1EEEEDaS1F_S1G_EUlS1F_E_NS1_11comp_targetILNS1_3genE10ELNS1_11target_archE1200ELNS1_3gpuE4ELNS1_3repE0EEENS1_30default_config_static_selectorELNS0_4arch9wavefront6targetE0EEEvT1_,@function
_ZN7rocprim17ROCPRIM_400000_NS6detail17trampoline_kernelINS0_14default_configENS1_25partition_config_selectorILNS1_17partition_subalgoE6EyNS0_10empty_typeEbEEZZNS1_14partition_implILS5_6ELb0ES3_mN6thrust23THRUST_200600_302600_NS6detail15normal_iteratorINSA_10device_ptrIyEEEEPS6_SG_NS0_5tupleIJSF_S6_EEENSH_IJSG_SG_EEES6_PlJNSB_9not_fun_tINSB_10functional5actorINSM_9compositeIJNSM_27transparent_binary_operatorINSA_8equal_toIvEEEENSN_INSM_8argumentILj0EEEEENSM_5valueIyEEEEEEEEEEEE10hipError_tPvRmT3_T4_T5_T6_T7_T9_mT8_P12ihipStream_tbDpT10_ENKUlT_T0_E_clISt17integral_constantIbLb0EES1J_IbLb1EEEEDaS1F_S1G_EUlS1F_E_NS1_11comp_targetILNS1_3genE10ELNS1_11target_archE1200ELNS1_3gpuE4ELNS1_3repE0EEENS1_30default_config_static_selectorELNS0_4arch9wavefront6targetE0EEEvT1_: ; @_ZN7rocprim17ROCPRIM_400000_NS6detail17trampoline_kernelINS0_14default_configENS1_25partition_config_selectorILNS1_17partition_subalgoE6EyNS0_10empty_typeEbEEZZNS1_14partition_implILS5_6ELb0ES3_mN6thrust23THRUST_200600_302600_NS6detail15normal_iteratorINSA_10device_ptrIyEEEEPS6_SG_NS0_5tupleIJSF_S6_EEENSH_IJSG_SG_EEES6_PlJNSB_9not_fun_tINSB_10functional5actorINSM_9compositeIJNSM_27transparent_binary_operatorINSA_8equal_toIvEEEENSN_INSM_8argumentILj0EEEEENSM_5valueIyEEEEEEEEEEEE10hipError_tPvRmT3_T4_T5_T6_T7_T9_mT8_P12ihipStream_tbDpT10_ENKUlT_T0_E_clISt17integral_constantIbLb0EES1J_IbLb1EEEEDaS1F_S1G_EUlS1F_E_NS1_11comp_targetILNS1_3genE10ELNS1_11target_archE1200ELNS1_3gpuE4ELNS1_3repE0EEENS1_30default_config_static_selectorELNS0_4arch9wavefront6targetE0EEEvT1_
; %bb.0:
	s_clause 0x3
	s_load_b64 s[12:13], s[0:1], 0x28
	s_load_b128 s[8:11], s[0:1], 0x40
	s_load_b64 s[18:19], s[0:1], 0x50
	s_load_b64 s[14:15], s[0:1], 0x60
	v_cmp_eq_u32_e64 s2, 0, v0
	s_and_saveexec_b32 s3, s2
	s_cbranch_execz .LBB109_4
; %bb.1:
	s_mov_b32 s5, exec_lo
	s_mov_b32 s4, exec_lo
	v_mbcnt_lo_u32_b32 v1, s5, 0
                                        ; implicit-def: $vgpr2
	s_delay_alu instid0(VALU_DEP_1)
	v_cmpx_eq_u32_e32 0, v1
	s_cbranch_execz .LBB109_3
; %bb.2:
	s_load_b64 s[6:7], s[0:1], 0x70
	s_bcnt1_i32_b32 s5, s5
	s_wait_alu 0xfffe
	v_dual_mov_b32 v2, 0 :: v_dual_mov_b32 v3, s5
	s_wait_kmcnt 0x0
	global_atomic_add_u32 v2, v2, v3, s[6:7] th:TH_ATOMIC_RETURN scope:SCOPE_DEV
.LBB109_3:
	s_or_b32 exec_lo, exec_lo, s4
	s_wait_loadcnt 0x0
	v_readfirstlane_b32 s4, v2
	s_wait_alu 0xf1ff
	s_delay_alu instid0(VALU_DEP_1)
	v_dual_mov_b32 v2, 0 :: v_dual_add_nc_u32 v1, s4, v1
	ds_store_b32 v2, v1
.LBB109_4:
	s_or_b32 exec_lo, exec_lo, s3
	v_mov_b32_e32 v2, 0
	s_clause 0x2
	s_load_b128 s[4:7], s[0:1], 0x8
	s_load_b32 s3, s[0:1], 0x68
	s_load_b64 s[16:17], s[0:1], 0x80
	s_wait_dscnt 0x0
	s_barrier_signal -1
	s_barrier_wait -1
	global_inv scope:SCOPE_SE
	ds_load_b32 v1, v2
	s_wait_loadcnt_dscnt 0x0
	s_barrier_signal -1
	s_barrier_wait -1
	global_inv scope:SCOPE_SE
	s_wait_kmcnt 0x0
	global_load_b64 v[17:18], v2, s[10:11]
	s_mov_b32 s1, 0
	v_lshrrev_b32_e32 v9, 2, v0
	v_or_b32_e32 v11, 0x200, v0
	v_or_b32_e32 v10, 0x300, v0
	s_lshl_b64 s[20:21], s[6:7], 3
	s_lshl_b32 s0, s3, 10
	s_add_co_i32 s10, s3, -1
	s_add_nc_u64 s[22:23], s[6:7], s[0:1]
	s_lshl_b32 s3, s10, 10
	v_cmp_le_u64_e64 s1, s[18:19], s[22:23]
	s_add_co_i32 s0, s6, s3
	v_readfirstlane_b32 s11, v1
	v_lshlrev_b32_e32 v1, 10, v1
	s_add_nc_u64 s[4:5], s[4:5], s[20:21]
	s_cmp_eq_u32 s11, s10
	s_delay_alu instid0(VALU_DEP_1) | instskip(SKIP_1) | instid1(SALU_CYCLE_1)
	v_lshlrev_b64_e32 v[1:2], 3, v[1:2]
	s_cselect_b32 s6, -1, 0
	s_and_b32 s1, s1, s6
	s_delay_alu instid0(SALU_CYCLE_1) | instskip(SKIP_1) | instid1(VALU_DEP_1)
	s_xor_b32 s7, s1, -1
	s_wait_alu 0xfffe
	v_add_co_u32 v12, vcc_lo, s4, v1
	s_delay_alu instid0(VALU_DEP_1)
	v_add_co_ci_u32_e64 v13, null, s5, v2, vcc_lo
	s_and_b32 vcc_lo, exec_lo, s7
	s_mov_b32 s1, -1
	s_wait_alu 0xfffe
	s_cbranch_vccz .LBB109_6
; %bb.5:
	v_lshlrev_b32_e32 v14, 3, v0
	v_or_b32_e32 v15, 0x100, v0
	v_lshrrev_b32_e32 v16, 2, v11
	v_lshrrev_b32_e32 v19, 2, v10
	v_and_b32_e32 v20, 56, v9
	v_add_co_u32 v1, vcc_lo, v12, v14
	s_wait_alu 0xfffd
	v_add_co_ci_u32_e64 v2, null, 0, v13, vcc_lo
	v_lshrrev_b32_e32 v15, 2, v15
	v_and_b32_e32 v16, 0xb8, v16
	v_and_b32_e32 v19, 0xf8, v19
	s_clause 0x3
	flat_load_b64 v[3:4], v[1:2]
	flat_load_b64 v[5:6], v[1:2] offset:2048
	flat_load_b64 v[7:8], v[1:2] offset:4096
	;; [unrolled: 1-line block ×3, first 2 shown]
	v_add_nc_u32_e32 v20, v20, v14
	v_and_b32_e32 v15, 0x78, v15
	v_add_nc_u32_e32 v16, v16, v14
	s_mov_b32 s1, 0
	s_delay_alu instid0(VALU_DEP_2)
	v_add_nc_u32_e32 v15, v15, v14
	v_add_nc_u32_e32 v14, v19, v14
	s_wait_loadcnt_dscnt 0x303
	ds_store_b64 v20, v[3:4]
	s_wait_loadcnt_dscnt 0x203
	ds_store_b64 v15, v[5:6] offset:2048
	s_wait_loadcnt_dscnt 0x103
	ds_store_b64 v16, v[7:8] offset:4096
	;; [unrolled: 2-line block ×3, first 2 shown]
	s_wait_dscnt 0x0
	s_barrier_signal -1
	s_barrier_wait -1
.LBB109_6:
	s_and_not1_b32 vcc_lo, exec_lo, s1
	s_sub_co_i32 s18, s18, s0
	s_wait_alu 0xfffe
	s_cbranch_vccnz .LBB109_14
; %bb.7:
	v_mov_b32_e32 v1, 0
	s_mov_b32 s0, exec_lo
	s_delay_alu instid0(VALU_DEP_1)
	v_dual_mov_b32 v2, v1 :: v_dual_mov_b32 v3, v1
	v_dual_mov_b32 v4, v1 :: v_dual_mov_b32 v5, v1
	;; [unrolled: 1-line block ×3, first 2 shown]
	v_mov_b32_e32 v8, v1
	v_cmpx_gt_u32_e64 s18, v0
	s_cbranch_execz .LBB109_9
; %bb.8:
	v_dual_mov_b32 v21, v1 :: v_dual_lshlrev_b32 v2, 3, v0
	v_dual_mov_b32 v22, v1 :: v_dual_mov_b32 v23, v1
	v_dual_mov_b32 v24, v1 :: v_dual_mov_b32 v25, v1
	s_delay_alu instid0(VALU_DEP_3)
	v_add_co_u32 v2, vcc_lo, v12, v2
	s_wait_alu 0xfffd
	v_add_co_ci_u32_e64 v3, null, 0, v13, vcc_lo
	v_mov_b32_e32 v26, v1
	flat_load_b64 v[19:20], v[2:3]
	s_wait_loadcnt_dscnt 0x0
	v_dual_mov_b32 v1, v19 :: v_dual_mov_b32 v2, v20
	v_dual_mov_b32 v3, v21 :: v_dual_mov_b32 v4, v22
	;; [unrolled: 1-line block ×4, first 2 shown]
.LBB109_9:
	s_or_b32 exec_lo, exec_lo, s0
	v_or_b32_e32 v14, 0x100, v0
	s_mov_b32 s0, exec_lo
	s_delay_alu instid0(VALU_DEP_1)
	v_cmpx_gt_u32_e64 s18, v14
	s_cbranch_execnz .LBB109_132
; %bb.10:
	s_or_b32 exec_lo, exec_lo, s0
	s_delay_alu instid0(SALU_CYCLE_1)
	s_mov_b32 s0, exec_lo
	v_cmpx_gt_u32_e64 s18, v11
	s_cbranch_execnz .LBB109_133
.LBB109_11:
	s_or_b32 exec_lo, exec_lo, s0
	s_delay_alu instid0(SALU_CYCLE_1)
	s_mov_b32 s0, exec_lo
	v_cmpx_gt_u32_e64 s18, v10
	s_cbranch_execz .LBB109_13
.LBB109_12:
	v_lshlrev_b32_e32 v7, 3, v0
	s_delay_alu instid0(VALU_DEP_1)
	v_add_co_u32 v7, vcc_lo, v12, v7
	s_wait_alu 0xfffd
	v_add_co_ci_u32_e64 v8, null, 0, v13, vcc_lo
	flat_load_b64 v[7:8], v[7:8] offset:6144
.LBB109_13:
	s_or_b32 exec_lo, exec_lo, s0
	v_lshrrev_b32_e32 v12, 2, v14
	v_lshrrev_b32_e32 v11, 2, v11
	;; [unrolled: 1-line block ×3, first 2 shown]
	v_and_b32_e32 v9, 56, v9
	v_lshlrev_b32_e32 v13, 3, v0
	v_and_b32_e32 v12, 0x78, v12
	v_and_b32_e32 v11, 0xf8, v11
	;; [unrolled: 1-line block ×3, first 2 shown]
	s_delay_alu instid0(VALU_DEP_4) | instskip(NEXT) | instid1(VALU_DEP_4)
	v_add_nc_u32_e32 v9, v9, v13
	v_add_nc_u32_e32 v12, v12, v13
	s_delay_alu instid0(VALU_DEP_4) | instskip(NEXT) | instid1(VALU_DEP_4)
	v_add_nc_u32_e32 v11, v11, v13
	v_add_nc_u32_e32 v10, v10, v13
	ds_store_b64 v9, v[1:2]
	s_wait_loadcnt_dscnt 0x1
	ds_store_b64 v12, v[3:4] offset:2048
	ds_store_b64 v11, v[5:6] offset:4096
	;; [unrolled: 1-line block ×3, first 2 shown]
	s_wait_dscnt 0x0
	s_barrier_signal -1
	s_barrier_wait -1
.LBB109_14:
	v_and_b32_e32 v1, 0xf8, v0
	s_wait_loadcnt 0x0
	global_inv scope:SCOPE_SE
	s_and_not1_b32 vcc_lo, exec_lo, s7
	v_lshl_add_u32 v5, v0, 5, v1
	ds_load_2addr_b64 v[1:4], v5 offset1:3
	ds_load_2addr_b64 v[5:8], v5 offset0:1 offset1:2
	s_wait_loadcnt_dscnt 0x0
	s_barrier_signal -1
	s_barrier_wait -1
	global_inv scope:SCOPE_SE
	v_cmp_ne_u64_e64 s0, s[16:17], v[1:2]
	v_cmp_ne_u64_e64 s10, s[16:17], v[3:4]
	s_wait_alu 0xfffe
	s_cbranch_vccnz .LBB109_16
; %bb.15:
	v_cmp_ne_u64_e32 vcc_lo, s[16:17], v[7:8]
	v_cndmask_b32_e64 v29, 0, 1, s0
	s_wait_alu 0xfffd
	v_cndmask_b32_e64 v27, 0, 1, vcc_lo
	v_cmp_ne_u64_e32 vcc_lo, s[16:17], v[5:6]
	s_delay_alu instid0(VALU_DEP_2) | instskip(SKIP_2) | instid1(VALU_DEP_1)
	v_lshlrev_b16 v10, 8, v27
	s_wait_alu 0xfffd
	v_cndmask_b32_e64 v9, 0, 1, vcc_lo
	v_or_b32_e32 v28, v9, v10
	s_cbranch_execz .LBB109_17
	s_branch .LBB109_18
.LBB109_16:
                                        ; implicit-def: $sgpr10
                                        ; implicit-def: $vgpr29
                                        ; implicit-def: $vgpr28
                                        ; implicit-def: $vgpr27
.LBB109_17:
	v_lshlrev_b32_e32 v9, 2, v0
	v_cmp_ne_u64_e64 s0, s[16:17], v[7:8]
	v_cmp_ne_u64_e64 s3, s[16:17], v[5:6]
	v_cmp_ne_u64_e32 vcc_lo, s[16:17], v[1:2]
	v_cmp_ne_u64_e64 s4, s[16:17], v[3:4]
	v_or_b32_e32 v10, 2, v9
	v_or_b32_e32 v11, 1, v9
	s_delay_alu instid0(VALU_DEP_2) | instskip(NEXT) | instid1(VALU_DEP_2)
	v_cmp_gt_u32_e64 s1, s18, v10
	v_cmp_gt_u32_e64 s5, s18, v11
	v_or_b32_e32 v10, 3, v9
	s_and_b32 s0, s1, s0
	s_and_b32 s3, s5, s3
	s_wait_alu 0xfffe
	v_cndmask_b32_e64 v27, 0, 1, s0
	v_cmp_gt_u32_e64 s0, s18, v9
	v_cmp_gt_u32_e64 s1, s18, v10
	v_cndmask_b32_e64 v9, 0, 1, s3
	s_delay_alu instid0(VALU_DEP_4)
	v_lshlrev_b16 v10, 8, v27
	s_and_b32 s0, s0, vcc_lo
	s_wait_alu 0xfffe
	v_cndmask_b32_e64 v29, 0, 1, s0
	s_and_b32 s0, s1, s4
	v_or_b32_e32 v28, v9, v10
	s_and_not1_b32 s1, s10, exec_lo
	s_wait_alu 0xfffe
	s_and_b32 s0, s0, exec_lo
	s_wait_alu 0xfffe
	s_or_b32 s10, s1, s0
.LBB109_18:
	v_and_b32_e32 v32, 0xff, v29
	s_delay_alu instid0(VALU_DEP_2)
	v_dual_mov_b32 v10, 0 :: v_dual_and_b32 v31, 0xff, v28
	v_cndmask_b32_e64 v9, 0, 1, s10
	v_mbcnt_lo_u32_b32 v33, -1, 0
	v_and_b32_e32 v30, 0xff, v27
	s_cmp_lg_u32 s11, 0
	s_mov_b32 s1, -1
	v_add3_u32 v9, v32, v9, v31
	v_and_b32_e32 v34, 15, v33
	s_delay_alu instid0(VALU_DEP_2) | instskip(SKIP_2) | instid1(VALU_DEP_3)
	v_add_co_u32 v19, s0, v9, v30
	s_wait_alu 0xf1ff
	v_add_co_ci_u32_e64 v20, null, 0, 0, s0
	v_cmp_ne_u32_e64 s0, 0, v34
	s_cbranch_scc0 .LBB109_75
; %bb.19:
	v_mov_b32_e32 v11, v19
	v_mov_b32_dpp v9, v19 row_shr:1 row_mask:0xf bank_mask:0xf
	v_mov_b32_dpp v14, v10 row_shr:1 row_mask:0xf bank_mask:0xf
	v_dual_mov_b32 v13, v19 :: v_dual_mov_b32 v12, v20
	s_and_saveexec_b32 s1, s0
; %bb.20:
	s_delay_alu instid0(VALU_DEP_3) | instskip(SKIP_2) | instid1(VALU_DEP_2)
	v_add_co_u32 v13, vcc_lo, v19, v9
	s_wait_alu 0xfffd
	v_add_co_ci_u32_e64 v10, null, 0, v20, vcc_lo
	v_add_co_u32 v9, vcc_lo, 0, v13
	s_wait_alu 0xfffd
	s_delay_alu instid0(VALU_DEP_2) | instskip(NEXT) | instid1(VALU_DEP_1)
	v_add_co_ci_u32_e64 v10, null, v14, v10, vcc_lo
	v_dual_mov_b32 v12, v10 :: v_dual_mov_b32 v11, v9
; %bb.21:
	s_wait_alu 0xfffe
	s_or_b32 exec_lo, exec_lo, s1
	v_mov_b32_dpp v9, v13 row_shr:2 row_mask:0xf bank_mask:0xf
	v_mov_b32_dpp v14, v10 row_shr:2 row_mask:0xf bank_mask:0xf
	s_mov_b32 s1, exec_lo
	v_cmpx_lt_u32_e32 1, v34
; %bb.22:
	s_delay_alu instid0(VALU_DEP_3) | instskip(SKIP_2) | instid1(VALU_DEP_2)
	v_add_co_u32 v13, vcc_lo, v11, v9
	s_wait_alu 0xfffd
	v_add_co_ci_u32_e64 v10, null, 0, v12, vcc_lo
	v_add_co_u32 v9, vcc_lo, 0, v13
	s_wait_alu 0xfffd
	s_delay_alu instid0(VALU_DEP_2) | instskip(NEXT) | instid1(VALU_DEP_1)
	v_add_co_ci_u32_e64 v10, null, v14, v10, vcc_lo
	v_dual_mov_b32 v12, v10 :: v_dual_mov_b32 v11, v9
; %bb.23:
	s_wait_alu 0xfffe
	s_or_b32 exec_lo, exec_lo, s1
	v_mov_b32_dpp v9, v13 row_shr:4 row_mask:0xf bank_mask:0xf
	v_mov_b32_dpp v14, v10 row_shr:4 row_mask:0xf bank_mask:0xf
	s_mov_b32 s1, exec_lo
	v_cmpx_lt_u32_e32 3, v34
	;; [unrolled: 17-line block ×3, first 2 shown]
; %bb.26:
	s_delay_alu instid0(VALU_DEP_3) | instskip(SKIP_2) | instid1(VALU_DEP_2)
	v_add_co_u32 v13, vcc_lo, v11, v14
	s_wait_alu 0xfffd
	v_add_co_ci_u32_e64 v10, null, 0, v12, vcc_lo
	v_add_co_u32 v11, vcc_lo, 0, v13
	s_wait_alu 0xfffd
	s_delay_alu instid0(VALU_DEP_2) | instskip(NEXT) | instid1(VALU_DEP_1)
	v_add_co_ci_u32_e64 v12, null, v9, v10, vcc_lo
	v_mov_b32_e32 v10, v12
; %bb.27:
	s_wait_alu 0xfffe
	s_or_b32 exec_lo, exec_lo, s1
	ds_swizzle_b32 v9, v13 offset:swizzle(BROADCAST,32,15)
	ds_swizzle_b32 v14, v10 offset:swizzle(BROADCAST,32,15)
	v_and_b32_e32 v15, 16, v33
	s_mov_b32 s1, exec_lo
	s_delay_alu instid0(VALU_DEP_1)
	v_cmpx_ne_u32_e32 0, v15
	s_cbranch_execz .LBB109_29
; %bb.28:
	s_wait_dscnt 0x1
	v_add_co_u32 v13, vcc_lo, v11, v9
	s_wait_alu 0xfffd
	v_add_co_ci_u32_e64 v10, null, 0, v12, vcc_lo
	s_delay_alu instid0(VALU_DEP_2) | instskip(SKIP_2) | instid1(VALU_DEP_2)
	v_add_co_u32 v9, vcc_lo, 0, v13
	s_wait_dscnt 0x0
	s_wait_alu 0xfffd
	v_add_co_ci_u32_e64 v10, null, v14, v10, vcc_lo
	s_delay_alu instid0(VALU_DEP_1)
	v_dual_mov_b32 v12, v10 :: v_dual_mov_b32 v11, v9
.LBB109_29:
	s_wait_alu 0xfffe
	s_or_b32 exec_lo, exec_lo, s1
	s_wait_dscnt 0x0
	v_or_b32_e32 v14, 31, v0
	v_lshrrev_b32_e32 v9, 5, v0
	s_mov_b32 s1, exec_lo
	s_delay_alu instid0(VALU_DEP_2)
	v_cmpx_eq_u32_e64 v0, v14
; %bb.30:
	s_delay_alu instid0(VALU_DEP_2)
	v_lshlrev_b32_e32 v14, 3, v9
	ds_store_b64 v14, v[11:12]
; %bb.31:
	s_wait_alu 0xfffe
	s_or_b32 exec_lo, exec_lo, s1
	s_delay_alu instid0(SALU_CYCLE_1)
	s_mov_b32 s1, exec_lo
	s_wait_loadcnt_dscnt 0x0
	s_barrier_signal -1
	s_barrier_wait -1
	global_inv scope:SCOPE_SE
	v_cmpx_gt_u32_e32 8, v0
	s_cbranch_execz .LBB109_39
; %bb.32:
	v_lshlrev_b32_e32 v14, 3, v0
	s_mov_b32 s3, exec_lo
	ds_load_b64 v[11:12], v14
	s_wait_dscnt 0x0
	v_dual_mov_b32 v16, v11 :: v_dual_and_b32 v15, 7, v33
	v_mov_b32_dpp v22, v11 row_shr:1 row_mask:0xf bank_mask:0xf
	v_mov_b32_dpp v21, v12 row_shr:1 row_mask:0xf bank_mask:0xf
	s_delay_alu instid0(VALU_DEP_3)
	v_cmpx_ne_u32_e32 0, v15
; %bb.33:
	s_delay_alu instid0(VALU_DEP_3) | instskip(SKIP_2) | instid1(VALU_DEP_2)
	v_add_co_u32 v16, vcc_lo, v11, v22
	s_wait_alu 0xfffd
	v_add_co_ci_u32_e64 v12, null, 0, v12, vcc_lo
	v_add_co_u32 v11, vcc_lo, 0, v16
	s_wait_alu 0xfffd
	s_delay_alu instid0(VALU_DEP_2)
	v_add_co_ci_u32_e64 v12, null, v21, v12, vcc_lo
; %bb.34:
	s_wait_alu 0xfffe
	s_or_b32 exec_lo, exec_lo, s3
	v_mov_b32_dpp v22, v16 row_shr:2 row_mask:0xf bank_mask:0xf
	s_delay_alu instid0(VALU_DEP_2)
	v_mov_b32_dpp v21, v12 row_shr:2 row_mask:0xf bank_mask:0xf
	s_mov_b32 s3, exec_lo
	v_cmpx_lt_u32_e32 1, v15
; %bb.35:
	s_delay_alu instid0(VALU_DEP_3) | instskip(SKIP_2) | instid1(VALU_DEP_2)
	v_add_co_u32 v16, vcc_lo, v11, v22
	s_wait_alu 0xfffd
	v_add_co_ci_u32_e64 v12, null, 0, v12, vcc_lo
	v_add_co_u32 v11, vcc_lo, 0, v16
	s_wait_alu 0xfffd
	s_delay_alu instid0(VALU_DEP_2)
	v_add_co_ci_u32_e64 v12, null, v21, v12, vcc_lo
; %bb.36:
	s_wait_alu 0xfffe
	s_or_b32 exec_lo, exec_lo, s3
	v_mov_b32_dpp v21, v16 row_shr:4 row_mask:0xf bank_mask:0xf
	s_delay_alu instid0(VALU_DEP_2)
	v_mov_b32_dpp v16, v12 row_shr:4 row_mask:0xf bank_mask:0xf
	s_mov_b32 s3, exec_lo
	v_cmpx_lt_u32_e32 3, v15
; %bb.37:
	s_delay_alu instid0(VALU_DEP_3) | instskip(SKIP_2) | instid1(VALU_DEP_2)
	v_add_co_u32 v11, vcc_lo, v11, v21
	s_wait_alu 0xfffd
	v_add_co_ci_u32_e64 v12, null, 0, v12, vcc_lo
	v_add_co_u32 v11, vcc_lo, v11, 0
	s_wait_alu 0xfffd
	s_delay_alu instid0(VALU_DEP_2)
	v_add_co_ci_u32_e64 v12, null, v12, v16, vcc_lo
; %bb.38:
	s_wait_alu 0xfffe
	s_or_b32 exec_lo, exec_lo, s3
	ds_store_b64 v14, v[11:12]
.LBB109_39:
	s_wait_alu 0xfffe
	s_or_b32 exec_lo, exec_lo, s1
	s_delay_alu instid0(SALU_CYCLE_1)
	s_mov_b32 s3, exec_lo
	v_cmp_gt_u32_e32 vcc_lo, 32, v0
	s_wait_loadcnt_dscnt 0x0
	s_barrier_signal -1
	s_barrier_wait -1
	global_inv scope:SCOPE_SE
                                        ; implicit-def: $vgpr21_vgpr22
	v_cmpx_lt_u32_e32 31, v0
	s_cbranch_execz .LBB109_41
; %bb.40:
	v_lshl_add_u32 v9, v9, 3, -8
	ds_load_b64 v[21:22], v9
	s_wait_dscnt 0x0
	v_add_co_u32 v13, s1, v13, v21
	s_wait_alu 0xf1ff
	v_add_co_ci_u32_e64 v10, null, v10, v22, s1
.LBB109_41:
	s_wait_alu 0xfffe
	s_or_b32 exec_lo, exec_lo, s3
	v_sub_co_u32 v9, s1, v33, 1
	s_delay_alu instid0(VALU_DEP_1) | instskip(SKIP_1) | instid1(VALU_DEP_1)
	v_cmp_gt_i32_e64 s3, 0, v9
	s_wait_alu 0xf1ff
	v_cndmask_b32_e64 v9, v9, v33, s3
	s_delay_alu instid0(VALU_DEP_1)
	v_lshlrev_b32_e32 v9, 2, v9
	ds_bpermute_b32 v35, v9, v13
	ds_bpermute_b32 v36, v9, v10
	s_and_saveexec_b32 s3, vcc_lo
	s_cbranch_execz .LBB109_80
; %bb.42:
	v_mov_b32_e32 v12, 0
	ds_load_b64 v[9:10], v12 offset:56
	s_and_saveexec_b32 s4, s1
	s_cbranch_execz .LBB109_44
; %bb.43:
	s_add_co_i32 s16, s11, 32
	s_mov_b32 s17, 0
	s_wait_alu 0xfffe
	s_lshl_b64 s[16:17], s[16:17], 4
	s_wait_alu 0xfffe
	s_add_nc_u64 s[16:17], s[14:15], s[16:17]
	v_mov_b32_e32 v11, 1
	s_wait_alu 0xfffe
	v_dual_mov_b32 v13, s16 :: v_dual_mov_b32 v14, s17
	s_wait_dscnt 0x0
	;;#ASMSTART
	global_store_b128 v[13:14], v[9:12] off scope:SCOPE_DEV	
s_wait_storecnt 0x0
	;;#ASMEND
.LBB109_44:
	s_wait_alu 0xfffe
	s_or_b32 exec_lo, exec_lo, s4
	v_xad_u32 v23, v33, -1, s11
	s_mov_b32 s5, 0
	s_mov_b32 s4, exec_lo
	s_delay_alu instid0(VALU_DEP_1) | instskip(NEXT) | instid1(VALU_DEP_1)
	v_add_nc_u32_e32 v11, 32, v23
	v_lshlrev_b64_e32 v[11:12], 4, v[11:12]
	s_delay_alu instid0(VALU_DEP_1) | instskip(SKIP_1) | instid1(VALU_DEP_2)
	v_add_co_u32 v11, vcc_lo, s14, v11
	s_wait_alu 0xfffd
	v_add_co_ci_u32_e64 v12, null, s15, v12, vcc_lo
	;;#ASMSTART
	global_load_b128 v[13:16], v[11:12] off scope:SCOPE_DEV	
s_wait_loadcnt 0x0
	;;#ASMEND
	v_and_b32_e32 v16, 0xff, v15
	s_delay_alu instid0(VALU_DEP_1)
	v_cmpx_eq_u16_e32 0, v16
	s_cbranch_execz .LBB109_47
.LBB109_45:                             ; =>This Inner Loop Header: Depth=1
	;;#ASMSTART
	global_load_b128 v[13:16], v[11:12] off scope:SCOPE_DEV	
s_wait_loadcnt 0x0
	;;#ASMEND
	v_and_b32_e32 v16, 0xff, v15
	s_delay_alu instid0(VALU_DEP_1)
	v_cmp_ne_u16_e32 vcc_lo, 0, v16
	s_wait_alu 0xfffe
	s_or_b32 s5, vcc_lo, s5
	s_wait_alu 0xfffe
	s_and_not1_b32 exec_lo, exec_lo, s5
	s_cbranch_execnz .LBB109_45
; %bb.46:
	s_or_b32 exec_lo, exec_lo, s5
.LBB109_47:
	s_wait_alu 0xfffe
	s_or_b32 exec_lo, exec_lo, s4
	v_cmp_ne_u32_e32 vcc_lo, 31, v33
	v_and_b32_e32 v12, 0xff, v15
	v_lshlrev_b32_e64 v38, v33, -1
	s_mov_b32 s4, exec_lo
	s_wait_alu 0xfffd
	v_add_co_ci_u32_e64 v11, null, 0, v33, vcc_lo
	v_cmp_eq_u16_e32 vcc_lo, 2, v12
	s_delay_alu instid0(VALU_DEP_2)
	v_dual_mov_b32 v12, v13 :: v_dual_lshlrev_b32 v37, 2, v11
	s_wait_alu 0xfffd
	v_and_or_b32 v11, vcc_lo, v38, 0x80000000
	ds_bpermute_b32 v24, v37, v13
	ds_bpermute_b32 v16, v37, v14
	v_ctz_i32_b32_e32 v11, v11
	s_delay_alu instid0(VALU_DEP_1)
	v_cmpx_lt_u32_e64 v33, v11
	s_cbranch_execz .LBB109_49
; %bb.48:
	s_wait_dscnt 0x1
	v_add_co_u32 v12, vcc_lo, v13, v24
	s_wait_alu 0xfffd
	v_add_co_ci_u32_e64 v14, null, 0, v14, vcc_lo
	s_delay_alu instid0(VALU_DEP_2) | instskip(SKIP_2) | instid1(VALU_DEP_2)
	v_add_co_u32 v13, vcc_lo, 0, v12
	s_wait_dscnt 0x0
	s_wait_alu 0xfffd
	v_add_co_ci_u32_e64 v14, null, v16, v14, vcc_lo
.LBB109_49:
	s_wait_alu 0xfffe
	s_or_b32 exec_lo, exec_lo, s4
	v_cmp_gt_u32_e32 vcc_lo, 30, v33
	v_add_nc_u32_e32 v40, 2, v33
	s_mov_b32 s4, exec_lo
	s_wait_dscnt 0x0
	s_wait_alu 0xfffd
	v_cndmask_b32_e64 v16, 0, 2, vcc_lo
	s_delay_alu instid0(VALU_DEP_1)
	v_add_lshl_u32 v39, v16, v33, 2
	ds_bpermute_b32 v24, v39, v12
	ds_bpermute_b32 v16, v39, v14
	v_cmpx_le_u32_e64 v40, v11
	s_cbranch_execz .LBB109_51
; %bb.50:
	s_wait_dscnt 0x1
	v_add_co_u32 v12, vcc_lo, v13, v24
	s_wait_alu 0xfffd
	v_add_co_ci_u32_e64 v14, null, 0, v14, vcc_lo
	s_delay_alu instid0(VALU_DEP_2) | instskip(SKIP_2) | instid1(VALU_DEP_2)
	v_add_co_u32 v13, vcc_lo, 0, v12
	s_wait_dscnt 0x0
	s_wait_alu 0xfffd
	v_add_co_ci_u32_e64 v14, null, v16, v14, vcc_lo
.LBB109_51:
	s_wait_alu 0xfffe
	s_or_b32 exec_lo, exec_lo, s4
	v_cmp_gt_u32_e32 vcc_lo, 28, v33
	v_add_nc_u32_e32 v42, 4, v33
	s_mov_b32 s4, exec_lo
	s_wait_dscnt 0x0
	s_wait_alu 0xfffd
	v_cndmask_b32_e64 v16, 0, 4, vcc_lo
	s_delay_alu instid0(VALU_DEP_1)
	v_add_lshl_u32 v41, v16, v33, 2
	ds_bpermute_b32 v24, v41, v12
	ds_bpermute_b32 v16, v41, v14
	v_cmpx_le_u32_e64 v42, v11
	s_cbranch_execz .LBB109_53
; %bb.52:
	s_wait_dscnt 0x1
	v_add_co_u32 v12, vcc_lo, v13, v24
	s_wait_alu 0xfffd
	v_add_co_ci_u32_e64 v14, null, 0, v14, vcc_lo
	s_delay_alu instid0(VALU_DEP_2) | instskip(SKIP_2) | instid1(VALU_DEP_2)
	v_add_co_u32 v13, vcc_lo, 0, v12
	s_wait_dscnt 0x0
	s_wait_alu 0xfffd
	v_add_co_ci_u32_e64 v14, null, v16, v14, vcc_lo
.LBB109_53:
	s_wait_alu 0xfffe
	s_or_b32 exec_lo, exec_lo, s4
	v_cmp_gt_u32_e32 vcc_lo, 24, v33
	v_add_nc_u32_e32 v44, 8, v33
	s_mov_b32 s4, exec_lo
	s_wait_dscnt 0x0
	s_wait_alu 0xfffd
	v_cndmask_b32_e64 v16, 0, 8, vcc_lo
	s_delay_alu instid0(VALU_DEP_1)
	v_add_lshl_u32 v43, v16, v33, 2
	ds_bpermute_b32 v24, v43, v12
	ds_bpermute_b32 v16, v43, v14
	v_cmpx_le_u32_e64 v44, v11
	s_cbranch_execz .LBB109_55
; %bb.54:
	s_wait_dscnt 0x1
	v_add_co_u32 v12, vcc_lo, v13, v24
	s_wait_alu 0xfffd
	v_add_co_ci_u32_e64 v14, null, 0, v14, vcc_lo
	s_delay_alu instid0(VALU_DEP_2) | instskip(SKIP_2) | instid1(VALU_DEP_2)
	v_add_co_u32 v13, vcc_lo, 0, v12
	s_wait_dscnt 0x0
	s_wait_alu 0xfffd
	v_add_co_ci_u32_e64 v14, null, v16, v14, vcc_lo
.LBB109_55:
	s_wait_alu 0xfffe
	s_or_b32 exec_lo, exec_lo, s4
	v_lshl_or_b32 v45, v33, 2, 64
	v_add_nc_u32_e32 v46, 16, v33
	s_mov_b32 s4, exec_lo
	s_wait_dscnt 0x0
	ds_bpermute_b32 v16, v45, v12
	ds_bpermute_b32 v12, v45, v14
	v_cmpx_le_u32_e64 v46, v11
	s_cbranch_execz .LBB109_57
; %bb.56:
	s_wait_dscnt 0x1
	v_add_co_u32 v11, vcc_lo, v13, v16
	s_wait_alu 0xfffd
	v_add_co_ci_u32_e64 v14, null, 0, v14, vcc_lo
	s_delay_alu instid0(VALU_DEP_2) | instskip(SKIP_2) | instid1(VALU_DEP_2)
	v_add_co_u32 v13, vcc_lo, v11, 0
	s_wait_dscnt 0x0
	s_wait_alu 0xfffd
	v_add_co_ci_u32_e64 v14, null, v14, v12, vcc_lo
.LBB109_57:
	s_wait_alu 0xfffe
	s_or_b32 exec_lo, exec_lo, s4
	v_mov_b32_e32 v24, 0
	s_branch .LBB109_60
.LBB109_58:                             ;   in Loop: Header=BB109_60 Depth=1
	s_wait_alu 0xfffe
	s_or_b32 exec_lo, exec_lo, s4
	v_add_co_u32 v13, vcc_lo, v13, v11
	v_subrev_nc_u32_e32 v23, 32, v23
	s_wait_alu 0xfffd
	v_add_co_ci_u32_e64 v14, null, v14, v12, vcc_lo
	s_mov_b32 s4, 0
.LBB109_59:                             ;   in Loop: Header=BB109_60 Depth=1
	s_wait_alu 0xfffe
	s_and_b32 vcc_lo, exec_lo, s4
	s_wait_alu 0xfffe
	s_cbranch_vccnz .LBB109_76
.LBB109_60:                             ; =>This Loop Header: Depth=1
                                        ;     Child Loop BB109_63 Depth 2
	v_and_b32_e32 v11, 0xff, v15
	s_mov_b32 s4, -1
	s_delay_alu instid0(VALU_DEP_1)
	v_cmp_ne_u16_e32 vcc_lo, 2, v11
	s_wait_dscnt 0x0
	v_dual_mov_b32 v11, v13 :: v_dual_mov_b32 v12, v14
                                        ; implicit-def: $vgpr13_vgpr14
	s_cmp_lg_u32 vcc_lo, exec_lo
	s_cbranch_scc1 .LBB109_59
; %bb.61:                               ;   in Loop: Header=BB109_60 Depth=1
	v_lshlrev_b64_e32 v[13:14], 4, v[23:24]
	s_mov_b32 s4, exec_lo
	s_delay_alu instid0(VALU_DEP_1) | instskip(SKIP_1) | instid1(VALU_DEP_2)
	v_add_co_u32 v25, vcc_lo, s14, v13
	s_wait_alu 0xfffd
	v_add_co_ci_u32_e64 v26, null, s15, v14, vcc_lo
	;;#ASMSTART
	global_load_b128 v[13:16], v[25:26] off scope:SCOPE_DEV	
s_wait_loadcnt 0x0
	;;#ASMEND
	v_and_b32_e32 v16, 0xff, v15
	s_delay_alu instid0(VALU_DEP_1)
	v_cmpx_eq_u16_e32 0, v16
	s_cbranch_execz .LBB109_65
; %bb.62:                               ;   in Loop: Header=BB109_60 Depth=1
	s_mov_b32 s5, 0
.LBB109_63:                             ;   Parent Loop BB109_60 Depth=1
                                        ; =>  This Inner Loop Header: Depth=2
	;;#ASMSTART
	global_load_b128 v[13:16], v[25:26] off scope:SCOPE_DEV	
s_wait_loadcnt 0x0
	;;#ASMEND
	v_and_b32_e32 v16, 0xff, v15
	s_delay_alu instid0(VALU_DEP_1)
	v_cmp_ne_u16_e32 vcc_lo, 0, v16
	s_wait_alu 0xfffe
	s_or_b32 s5, vcc_lo, s5
	s_wait_alu 0xfffe
	s_and_not1_b32 exec_lo, exec_lo, s5
	s_cbranch_execnz .LBB109_63
; %bb.64:                               ;   in Loop: Header=BB109_60 Depth=1
	s_or_b32 exec_lo, exec_lo, s5
.LBB109_65:                             ;   in Loop: Header=BB109_60 Depth=1
	s_wait_alu 0xfffe
	s_or_b32 exec_lo, exec_lo, s4
	v_dual_mov_b32 v25, v13 :: v_dual_and_b32 v16, 0xff, v15
	ds_bpermute_b32 v47, v37, v13
	ds_bpermute_b32 v26, v37, v14
	s_mov_b32 s4, exec_lo
	v_cmp_eq_u16_e32 vcc_lo, 2, v16
	s_wait_alu 0xfffd
	v_and_or_b32 v16, vcc_lo, v38, 0x80000000
	s_delay_alu instid0(VALU_DEP_1) | instskip(NEXT) | instid1(VALU_DEP_1)
	v_ctz_i32_b32_e32 v16, v16
	v_cmpx_lt_u32_e64 v33, v16
	s_cbranch_execz .LBB109_67
; %bb.66:                               ;   in Loop: Header=BB109_60 Depth=1
	s_wait_dscnt 0x1
	v_add_co_u32 v25, vcc_lo, v13, v47
	s_wait_alu 0xfffd
	v_add_co_ci_u32_e64 v14, null, 0, v14, vcc_lo
	s_delay_alu instid0(VALU_DEP_2) | instskip(SKIP_2) | instid1(VALU_DEP_2)
	v_add_co_u32 v13, vcc_lo, 0, v25
	s_wait_dscnt 0x0
	s_wait_alu 0xfffd
	v_add_co_ci_u32_e64 v14, null, v26, v14, vcc_lo
.LBB109_67:                             ;   in Loop: Header=BB109_60 Depth=1
	s_wait_alu 0xfffe
	s_or_b32 exec_lo, exec_lo, s4
	s_wait_dscnt 0x1
	ds_bpermute_b32 v47, v39, v25
	s_wait_dscnt 0x1
	ds_bpermute_b32 v26, v39, v14
	s_mov_b32 s4, exec_lo
	v_cmpx_le_u32_e64 v40, v16
	s_cbranch_execz .LBB109_69
; %bb.68:                               ;   in Loop: Header=BB109_60 Depth=1
	s_wait_dscnt 0x1
	v_add_co_u32 v25, vcc_lo, v13, v47
	s_wait_alu 0xfffd
	v_add_co_ci_u32_e64 v14, null, 0, v14, vcc_lo
	s_delay_alu instid0(VALU_DEP_2) | instskip(SKIP_2) | instid1(VALU_DEP_2)
	v_add_co_u32 v13, vcc_lo, 0, v25
	s_wait_dscnt 0x0
	s_wait_alu 0xfffd
	v_add_co_ci_u32_e64 v14, null, v26, v14, vcc_lo
.LBB109_69:                             ;   in Loop: Header=BB109_60 Depth=1
	s_wait_alu 0xfffe
	s_or_b32 exec_lo, exec_lo, s4
	s_wait_dscnt 0x1
	ds_bpermute_b32 v47, v41, v25
	s_wait_dscnt 0x1
	ds_bpermute_b32 v26, v41, v14
	s_mov_b32 s4, exec_lo
	v_cmpx_le_u32_e64 v42, v16
	;; [unrolled: 20-line block ×3, first 2 shown]
	s_cbranch_execz .LBB109_73
; %bb.72:                               ;   in Loop: Header=BB109_60 Depth=1
	s_wait_dscnt 0x1
	v_add_co_u32 v25, vcc_lo, v13, v47
	s_wait_alu 0xfffd
	v_add_co_ci_u32_e64 v14, null, 0, v14, vcc_lo
	s_delay_alu instid0(VALU_DEP_2) | instskip(SKIP_2) | instid1(VALU_DEP_2)
	v_add_co_u32 v13, vcc_lo, 0, v25
	s_wait_dscnt 0x0
	s_wait_alu 0xfffd
	v_add_co_ci_u32_e64 v14, null, v26, v14, vcc_lo
.LBB109_73:                             ;   in Loop: Header=BB109_60 Depth=1
	s_wait_alu 0xfffe
	s_or_b32 exec_lo, exec_lo, s4
	s_wait_dscnt 0x0
	ds_bpermute_b32 v26, v45, v25
	ds_bpermute_b32 v25, v45, v14
	s_mov_b32 s4, exec_lo
	v_cmpx_le_u32_e64 v46, v16
	s_cbranch_execz .LBB109_58
; %bb.74:                               ;   in Loop: Header=BB109_60 Depth=1
	s_wait_dscnt 0x1
	v_add_co_u32 v13, vcc_lo, v13, v26
	s_wait_alu 0xfffd
	v_add_co_ci_u32_e64 v14, null, 0, v14, vcc_lo
	s_delay_alu instid0(VALU_DEP_2) | instskip(SKIP_2) | instid1(VALU_DEP_2)
	v_add_co_u32 v13, vcc_lo, v13, 0
	s_wait_dscnt 0x0
	s_wait_alu 0xfffd
	v_add_co_ci_u32_e64 v14, null, v14, v25, vcc_lo
	s_branch .LBB109_58
.LBB109_75:
                                        ; implicit-def: $vgpr15_vgpr16
                                        ; implicit-def: $vgpr13_vgpr14
                                        ; implicit-def: $vgpr21_vgpr22
                                        ; implicit-def: $vgpr23_vgpr24
                                        ; implicit-def: $vgpr11_vgpr12
	s_wait_alu 0xfffe
	s_and_b32 vcc_lo, exec_lo, s1
	s_wait_alu 0xfffe
	s_cbranch_vccnz .LBB109_81
	s_branch .LBB109_106
.LBB109_76:
	s_and_saveexec_b32 s4, s1
	s_cbranch_execz .LBB109_78
; %bb.77:
	s_add_co_i32 s16, s11, 32
	s_mov_b32 s17, 0
	v_add_co_u32 v13, vcc_lo, v11, v9
	s_wait_alu 0xfffe
	s_lshl_b64 s[16:17], s[16:17], 4
	v_dual_mov_b32 v15, 2 :: v_dual_mov_b32 v16, 0
	s_wait_alu 0xfffe
	s_add_nc_u64 s[16:17], s[14:15], s[16:17]
	s_wait_alu 0xfffd
	v_add_co_ci_u32_e64 v14, null, v12, v10, vcc_lo
	s_wait_alu 0xfffe
	v_dual_mov_b32 v24, s17 :: v_dual_mov_b32 v23, s16
	;;#ASMSTART
	global_store_b128 v[23:24], v[13:16] off scope:SCOPE_DEV	
s_wait_storecnt 0x0
	;;#ASMEND
	ds_store_b128 v16, v[9:12] offset:8448
.LBB109_78:
	s_wait_alu 0xfffe
	s_or_b32 exec_lo, exec_lo, s4
	s_delay_alu instid0(SALU_CYCLE_1)
	s_and_b32 exec_lo, exec_lo, s2
; %bb.79:
	v_mov_b32_e32 v9, 0
	ds_store_b64 v9, v[11:12] offset:56
.LBB109_80:
	s_wait_alu 0xfffe
	s_or_b32 exec_lo, exec_lo, s3
	v_mov_b32_e32 v9, 0
	s_wait_loadcnt_dscnt 0x0
	s_barrier_signal -1
	s_barrier_wait -1
	global_inv scope:SCOPE_SE
	ds_load_b64 v[13:14], v9 offset:56
	v_cndmask_b32_e64 v11, v35, v21, s1
	v_cndmask_b32_e64 v10, v36, v22, s1
	s_wait_loadcnt_dscnt 0x0
	s_barrier_signal -1
	s_barrier_wait -1
	v_cndmask_b32_e64 v16, v11, 0, s2
	v_cndmask_b32_e64 v15, v10, 0, s2
	global_inv scope:SCOPE_SE
	ds_load_b128 v[9:12], v9 offset:8448
	v_add_co_u32 v23, vcc_lo, v13, v16
	s_wait_alu 0xfffd
	v_add_co_ci_u32_e64 v24, null, v14, v15, vcc_lo
	s_delay_alu instid0(VALU_DEP_2) | instskip(SKIP_1) | instid1(VALU_DEP_2)
	v_add_co_u32 v21, vcc_lo, v23, v32
	s_wait_alu 0xfffd
	v_add_co_ci_u32_e64 v22, null, 0, v24, vcc_lo
	s_delay_alu instid0(VALU_DEP_2) | instskip(SKIP_1) | instid1(VALU_DEP_2)
	;; [unrolled: 4-line block ×3, first 2 shown]
	v_add_co_u32 v15, vcc_lo, v13, v30
	s_wait_alu 0xfffd
	v_add_co_ci_u32_e64 v16, null, 0, v14, vcc_lo
	s_branch .LBB109_106
.LBB109_81:
	s_wait_dscnt 0x0
	v_dual_mov_b32 v10, 0 :: v_dual_mov_b32 v11, v19
	v_mov_b32_dpp v12, v19 row_shr:1 row_mask:0xf bank_mask:0xf
	s_delay_alu instid0(VALU_DEP_2)
	v_mov_b32_dpp v9, v10 row_shr:1 row_mask:0xf bank_mask:0xf
	s_and_saveexec_b32 s1, s0
; %bb.82:
	s_delay_alu instid0(VALU_DEP_2) | instskip(SKIP_2) | instid1(VALU_DEP_2)
	v_add_co_u32 v11, vcc_lo, v19, v12
	s_wait_alu 0xfffd
	v_add_co_ci_u32_e64 v10, null, 0, v20, vcc_lo
	v_add_co_u32 v19, vcc_lo, 0, v11
	s_wait_alu 0xfffd
	s_delay_alu instid0(VALU_DEP_2) | instskip(NEXT) | instid1(VALU_DEP_1)
	v_add_co_ci_u32_e64 v20, null, v9, v10, vcc_lo
	v_mov_b32_e32 v10, v20
; %bb.83:
	s_wait_alu 0xfffe
	s_or_b32 exec_lo, exec_lo, s1
	v_mov_b32_dpp v9, v11 row_shr:2 row_mask:0xf bank_mask:0xf
	s_delay_alu instid0(VALU_DEP_2)
	v_mov_b32_dpp v12, v10 row_shr:2 row_mask:0xf bank_mask:0xf
	s_mov_b32 s0, exec_lo
	v_cmpx_lt_u32_e32 1, v34
; %bb.84:
	s_delay_alu instid0(VALU_DEP_3) | instskip(SKIP_2) | instid1(VALU_DEP_2)
	v_add_co_u32 v11, vcc_lo, v19, v9
	s_wait_alu 0xfffd
	v_add_co_ci_u32_e64 v10, null, 0, v20, vcc_lo
	v_add_co_u32 v9, vcc_lo, 0, v11
	s_wait_alu 0xfffd
	s_delay_alu instid0(VALU_DEP_2) | instskip(NEXT) | instid1(VALU_DEP_1)
	v_add_co_ci_u32_e64 v10, null, v12, v10, vcc_lo
	v_dual_mov_b32 v20, v10 :: v_dual_mov_b32 v19, v9
; %bb.85:
	s_wait_alu 0xfffe
	s_or_b32 exec_lo, exec_lo, s0
	v_mov_b32_dpp v9, v11 row_shr:4 row_mask:0xf bank_mask:0xf
	v_mov_b32_dpp v12, v10 row_shr:4 row_mask:0xf bank_mask:0xf
	s_mov_b32 s0, exec_lo
	v_cmpx_lt_u32_e32 3, v34
; %bb.86:
	s_delay_alu instid0(VALU_DEP_3) | instskip(SKIP_2) | instid1(VALU_DEP_2)
	v_add_co_u32 v11, vcc_lo, v19, v9
	s_wait_alu 0xfffd
	v_add_co_ci_u32_e64 v10, null, 0, v20, vcc_lo
	v_add_co_u32 v9, vcc_lo, 0, v11
	s_wait_alu 0xfffd
	s_delay_alu instid0(VALU_DEP_2) | instskip(NEXT) | instid1(VALU_DEP_1)
	v_add_co_ci_u32_e64 v10, null, v12, v10, vcc_lo
	v_dual_mov_b32 v20, v10 :: v_dual_mov_b32 v19, v9
; %bb.87:
	s_wait_alu 0xfffe
	s_or_b32 exec_lo, exec_lo, s0
	v_mov_b32_dpp v12, v11 row_shr:8 row_mask:0xf bank_mask:0xf
	v_mov_b32_dpp v9, v10 row_shr:8 row_mask:0xf bank_mask:0xf
	s_mov_b32 s0, exec_lo
	v_cmpx_lt_u32_e32 7, v34
; %bb.88:
	s_delay_alu instid0(VALU_DEP_3) | instskip(SKIP_2) | instid1(VALU_DEP_2)
	v_add_co_u32 v11, vcc_lo, v19, v12
	s_wait_alu 0xfffd
	v_add_co_ci_u32_e64 v10, null, 0, v20, vcc_lo
	v_add_co_u32 v19, vcc_lo, 0, v11
	s_wait_alu 0xfffd
	s_delay_alu instid0(VALU_DEP_2) | instskip(NEXT) | instid1(VALU_DEP_1)
	v_add_co_ci_u32_e64 v20, null, v9, v10, vcc_lo
	v_mov_b32_e32 v10, v20
; %bb.89:
	s_wait_alu 0xfffe
	s_or_b32 exec_lo, exec_lo, s0
	ds_swizzle_b32 v11, v11 offset:swizzle(BROADCAST,32,15)
	ds_swizzle_b32 v9, v10 offset:swizzle(BROADCAST,32,15)
	v_and_b32_e32 v10, 16, v33
	s_mov_b32 s0, exec_lo
	s_delay_alu instid0(VALU_DEP_1)
	v_cmpx_ne_u32_e32 0, v10
	s_cbranch_execz .LBB109_91
; %bb.90:
	s_wait_dscnt 0x1
	v_add_co_u32 v10, vcc_lo, v19, v11
	s_wait_alu 0xfffd
	v_add_co_ci_u32_e64 v11, null, 0, v20, vcc_lo
	s_delay_alu instid0(VALU_DEP_2) | instskip(SKIP_2) | instid1(VALU_DEP_2)
	v_add_co_u32 v19, vcc_lo, v10, 0
	s_wait_dscnt 0x0
	s_wait_alu 0xfffd
	v_add_co_ci_u32_e64 v20, null, v11, v9, vcc_lo
.LBB109_91:
	s_wait_alu 0xfffe
	s_or_b32 exec_lo, exec_lo, s0
	s_wait_dscnt 0x0
	v_or_b32_e32 v9, 31, v0
	v_lshrrev_b32_e32 v11, 5, v0
	s_mov_b32 s0, exec_lo
	s_delay_alu instid0(VALU_DEP_2)
	v_cmpx_eq_u32_e64 v0, v9
; %bb.92:
	s_delay_alu instid0(VALU_DEP_2)
	v_lshlrev_b32_e32 v9, 3, v11
	ds_store_b64 v9, v[19:20]
; %bb.93:
	s_wait_alu 0xfffe
	s_or_b32 exec_lo, exec_lo, s0
	s_delay_alu instid0(SALU_CYCLE_1)
	s_mov_b32 s0, exec_lo
	s_wait_loadcnt_dscnt 0x0
	s_barrier_signal -1
	s_barrier_wait -1
	global_inv scope:SCOPE_SE
	v_cmpx_gt_u32_e32 8, v0
	s_cbranch_execz .LBB109_101
; %bb.94:
	v_lshlrev_b32_e32 v12, 3, v0
	s_mov_b32 s1, exec_lo
	ds_load_b64 v[9:10], v12
	s_wait_dscnt 0x0
	v_dual_mov_b32 v14, v9 :: v_dual_and_b32 v13, 7, v33
	v_mov_b32_dpp v16, v9 row_shr:1 row_mask:0xf bank_mask:0xf
	v_mov_b32_dpp v15, v10 row_shr:1 row_mask:0xf bank_mask:0xf
	s_delay_alu instid0(VALU_DEP_3)
	v_cmpx_ne_u32_e32 0, v13
; %bb.95:
	s_delay_alu instid0(VALU_DEP_3) | instskip(SKIP_2) | instid1(VALU_DEP_2)
	v_add_co_u32 v14, vcc_lo, v9, v16
	s_wait_alu 0xfffd
	v_add_co_ci_u32_e64 v10, null, 0, v10, vcc_lo
	v_add_co_u32 v9, vcc_lo, 0, v14
	s_wait_alu 0xfffd
	s_delay_alu instid0(VALU_DEP_2)
	v_add_co_ci_u32_e64 v10, null, v15, v10, vcc_lo
; %bb.96:
	s_wait_alu 0xfffe
	s_or_b32 exec_lo, exec_lo, s1
	v_mov_b32_dpp v16, v14 row_shr:2 row_mask:0xf bank_mask:0xf
	s_delay_alu instid0(VALU_DEP_2)
	v_mov_b32_dpp v15, v10 row_shr:2 row_mask:0xf bank_mask:0xf
	s_mov_b32 s1, exec_lo
	v_cmpx_lt_u32_e32 1, v13
; %bb.97:
	s_delay_alu instid0(VALU_DEP_3) | instskip(SKIP_2) | instid1(VALU_DEP_2)
	v_add_co_u32 v14, vcc_lo, v9, v16
	s_wait_alu 0xfffd
	v_add_co_ci_u32_e64 v10, null, 0, v10, vcc_lo
	v_add_co_u32 v9, vcc_lo, 0, v14
	s_wait_alu 0xfffd
	s_delay_alu instid0(VALU_DEP_2)
	v_add_co_ci_u32_e64 v10, null, v15, v10, vcc_lo
; %bb.98:
	s_wait_alu 0xfffe
	s_or_b32 exec_lo, exec_lo, s1
	v_mov_b32_dpp v15, v14 row_shr:4 row_mask:0xf bank_mask:0xf
	s_delay_alu instid0(VALU_DEP_2)
	v_mov_b32_dpp v14, v10 row_shr:4 row_mask:0xf bank_mask:0xf
	s_mov_b32 s1, exec_lo
	v_cmpx_lt_u32_e32 3, v13
; %bb.99:
	s_delay_alu instid0(VALU_DEP_3) | instskip(SKIP_2) | instid1(VALU_DEP_2)
	v_add_co_u32 v9, vcc_lo, v9, v15
	s_wait_alu 0xfffd
	v_add_co_ci_u32_e64 v10, null, 0, v10, vcc_lo
	v_add_co_u32 v9, vcc_lo, v9, 0
	s_wait_alu 0xfffd
	s_delay_alu instid0(VALU_DEP_2)
	v_add_co_ci_u32_e64 v10, null, v10, v14, vcc_lo
; %bb.100:
	s_wait_alu 0xfffe
	s_or_b32 exec_lo, exec_lo, s1
	ds_store_b64 v12, v[9:10]
.LBB109_101:
	s_wait_alu 0xfffe
	s_or_b32 exec_lo, exec_lo, s0
	v_mov_b32_e32 v13, 0
	v_mov_b32_e32 v14, 0
	s_mov_b32 s0, exec_lo
	s_wait_loadcnt_dscnt 0x0
	s_barrier_signal -1
	s_barrier_wait -1
	global_inv scope:SCOPE_SE
	v_cmpx_lt_u32_e32 31, v0
; %bb.102:
	v_lshl_add_u32 v9, v11, 3, -8
	ds_load_b64 v[13:14], v9
; %bb.103:
	s_wait_alu 0xfffe
	s_or_b32 exec_lo, exec_lo, s0
	v_sub_co_u32 v9, vcc_lo, v33, 1
	v_mov_b32_e32 v12, 0
	s_delay_alu instid0(VALU_DEP_2) | instskip(SKIP_1) | instid1(VALU_DEP_1)
	v_cmp_gt_i32_e64 s0, 0, v9
	s_wait_alu 0xf1ff
	v_cndmask_b32_e64 v9, v9, v33, s0
	s_wait_dscnt 0x0
	v_add_co_u32 v10, s0, v13, v19
	s_wait_alu 0xf1ff
	v_add_co_ci_u32_e64 v11, null, v14, v20, s0
	v_lshlrev_b32_e32 v9, 2, v9
	ds_bpermute_b32 v15, v9, v10
	ds_bpermute_b32 v16, v9, v11
	ds_load_b64 v[9:10], v12 offset:56
	s_and_saveexec_b32 s0, s2
	s_cbranch_execz .LBB109_105
; %bb.104:
	s_add_nc_u64 s[4:5], s[14:15], 0x200
	s_wait_alu 0xfffe
	v_dual_mov_b32 v11, 2 :: v_dual_mov_b32 v20, s5
	v_mov_b32_e32 v19, s4
	s_wait_dscnt 0x0
	;;#ASMSTART
	global_store_b128 v[19:20], v[9:12] off scope:SCOPE_DEV	
s_wait_storecnt 0x0
	;;#ASMEND
.LBB109_105:
	s_wait_alu 0xfffe
	s_or_b32 exec_lo, exec_lo, s0
	s_wait_dscnt 0x1
	s_wait_alu 0xfffd
	v_dual_cndmask_b32 v11, v15, v13 :: v_dual_cndmask_b32 v12, v16, v14
	s_wait_loadcnt_dscnt 0x0
	s_barrier_signal -1
	s_barrier_wait -1
	s_delay_alu instid0(VALU_DEP_1)
	v_cndmask_b32_e64 v23, v11, 0, s2
	v_cndmask_b32_e64 v24, v12, 0, s2
	v_mov_b32_e32 v11, 0
	v_mov_b32_e32 v12, 0
	global_inv scope:SCOPE_SE
	v_add_co_u32 v21, vcc_lo, v23, v32
	s_wait_alu 0xfffd
	v_add_co_ci_u32_e64 v22, null, 0, v24, vcc_lo
	s_delay_alu instid0(VALU_DEP_2) | instskip(SKIP_1) | instid1(VALU_DEP_2)
	v_add_co_u32 v13, vcc_lo, v21, v31
	s_wait_alu 0xfffd
	v_add_co_ci_u32_e64 v14, null, 0, v22, vcc_lo
	s_delay_alu instid0(VALU_DEP_2) | instskip(SKIP_1) | instid1(VALU_DEP_2)
	v_add_co_u32 v15, vcc_lo, v13, v30
	s_wait_alu 0xfffd
	v_add_co_ci_u32_e64 v16, null, 0, v14, vcc_lo
.LBB109_106:
	v_and_b32_e32 v25, 1, v29
	s_wait_dscnt 0x0
	v_cmp_gt_u64_e32 vcc_lo, 0x101, v[9:10]
	s_mov_b32 s1, -1
	s_delay_alu instid0(VALU_DEP_2)
	v_cmp_eq_u32_e64 s0, 1, v25
	s_cbranch_vccnz .LBB109_110
; %bb.107:
	s_wait_alu 0xfffe
	s_and_b32 vcc_lo, exec_lo, s1
	s_wait_alu 0xfffe
	s_cbranch_vccnz .LBB109_119
.LBB109_108:
	s_and_b32 s0, s2, s6
	s_wait_alu 0xfffe
	s_and_saveexec_b32 s1, s0
	s_cbranch_execnz .LBB109_131
.LBB109_109:
	s_endpgm
.LBB109_110:
	v_add_co_u32 v19, vcc_lo, v11, v9
	s_wait_alu 0xfffd
	v_add_co_ci_u32_e64 v20, null, v12, v10, vcc_lo
	v_lshlrev_b64_e32 v[29:30], 3, v[17:18]
	s_delay_alu instid0(VALU_DEP_2) | instskip(NEXT) | instid1(VALU_DEP_2)
	v_cmp_lt_u64_e32 vcc_lo, v[23:24], v[19:20]
	v_add_co_u32 v26, s1, s12, v29
	s_wait_alu 0xf1fe
	s_delay_alu instid0(VALU_DEP_3)
	v_add_co_ci_u32_e64 v29, null, s13, v30, s1
	s_or_b32 s1, s7, vcc_lo
	s_wait_alu 0xfffe
	s_and_b32 s1, s1, s0
	s_wait_alu 0xfffe
	s_and_saveexec_b32 s0, s1
	s_cbranch_execz .LBB109_112
; %bb.111:
	v_lshlrev_b64_e32 v[30:31], 3, v[23:24]
	s_delay_alu instid0(VALU_DEP_1) | instskip(SKIP_1) | instid1(VALU_DEP_2)
	v_add_co_u32 v30, vcc_lo, v26, v30
	s_wait_alu 0xfffd
	v_add_co_ci_u32_e64 v31, null, v29, v31, vcc_lo
	global_store_b64 v[30:31], v[1:2], off
.LBB109_112:
	s_wait_alu 0xfffe
	s_or_b32 exec_lo, exec_lo, s0
	v_and_b32_e32 v24, 1, v28
	v_cmp_lt_u64_e32 vcc_lo, v[21:22], v[19:20]
	s_delay_alu instid0(VALU_DEP_2)
	v_cmp_eq_u32_e64 s0, 1, v24
	s_or_b32 s1, s7, vcc_lo
	s_wait_alu 0xfffe
	s_and_b32 s1, s1, s0
	s_wait_alu 0xfffe
	s_and_saveexec_b32 s0, s1
	s_cbranch_execz .LBB109_114
; %bb.113:
	v_lshlrev_b64_e32 v[30:31], 3, v[21:22]
	s_delay_alu instid0(VALU_DEP_1) | instskip(SKIP_1) | instid1(VALU_DEP_2)
	v_add_co_u32 v30, vcc_lo, v26, v30
	s_wait_alu 0xfffd
	v_add_co_ci_u32_e64 v31, null, v29, v31, vcc_lo
	global_store_b64 v[30:31], v[5:6], off
.LBB109_114:
	s_wait_alu 0xfffe
	s_or_b32 exec_lo, exec_lo, s0
	v_and_b32_e32 v22, 1, v27
	v_cmp_lt_u64_e32 vcc_lo, v[13:14], v[19:20]
	s_delay_alu instid0(VALU_DEP_2)
	v_cmp_eq_u32_e64 s0, 1, v22
	s_or_b32 s1, s7, vcc_lo
	s_wait_alu 0xfffe
	s_and_b32 s1, s1, s0
	s_wait_alu 0xfffe
	s_and_saveexec_b32 s0, s1
	s_cbranch_execz .LBB109_116
; %bb.115:
	v_lshlrev_b64_e32 v[30:31], 3, v[13:14]
	s_delay_alu instid0(VALU_DEP_1) | instskip(SKIP_1) | instid1(VALU_DEP_2)
	v_add_co_u32 v30, vcc_lo, v26, v30
	s_wait_alu 0xfffd
	v_add_co_ci_u32_e64 v31, null, v29, v31, vcc_lo
	global_store_b64 v[30:31], v[7:8], off
.LBB109_116:
	s_wait_alu 0xfffe
	s_or_b32 exec_lo, exec_lo, s0
	v_cmp_lt_u64_e32 vcc_lo, v[15:16], v[19:20]
	s_or_b32 s0, s7, vcc_lo
	s_wait_alu 0xfffe
	s_and_b32 s1, s0, s10
	s_wait_alu 0xfffe
	s_and_saveexec_b32 s0, s1
	s_cbranch_execz .LBB109_118
; %bb.117:
	v_lshlrev_b64_e32 v[19:20], 3, v[15:16]
	s_delay_alu instid0(VALU_DEP_1) | instskip(SKIP_1) | instid1(VALU_DEP_2)
	v_add_co_u32 v19, vcc_lo, v26, v19
	s_wait_alu 0xfffd
	v_add_co_ci_u32_e64 v20, null, v29, v20, vcc_lo
	global_store_b64 v[19:20], v[3:4], off
.LBB109_118:
	s_wait_alu 0xfffe
	s_or_b32 exec_lo, exec_lo, s0
	s_branch .LBB109_108
.LBB109_119:
	s_mov_b32 s0, exec_lo
	v_cmpx_eq_u32_e32 1, v25
; %bb.120:
	v_sub_nc_u32_e32 v14, v23, v11
	s_delay_alu instid0(VALU_DEP_1)
	v_lshlrev_b32_e32 v14, 3, v14
	ds_store_b64 v14, v[1:2]
; %bb.121:
	s_wait_alu 0xfffe
	s_or_b32 exec_lo, exec_lo, s0
	v_and_b32_e32 v1, 1, v28
	s_mov_b32 s0, exec_lo
	s_delay_alu instid0(VALU_DEP_1)
	v_cmpx_eq_u32_e32 1, v1
; %bb.122:
	v_sub_nc_u32_e32 v1, v21, v11
	s_delay_alu instid0(VALU_DEP_1)
	v_lshlrev_b32_e32 v1, 3, v1
	ds_store_b64 v1, v[5:6]
; %bb.123:
	s_wait_alu 0xfffe
	s_or_b32 exec_lo, exec_lo, s0
	v_and_b32_e32 v1, 1, v27
	s_mov_b32 s0, exec_lo
	s_delay_alu instid0(VALU_DEP_1)
	v_cmpx_eq_u32_e32 1, v1
; %bb.124:
	v_sub_nc_u32_e32 v1, v13, v11
	s_delay_alu instid0(VALU_DEP_1)
	v_lshlrev_b32_e32 v1, 3, v1
	ds_store_b64 v1, v[7:8]
; %bb.125:
	s_wait_alu 0xfffe
	s_or_b32 exec_lo, exec_lo, s0
	s_and_saveexec_b32 s0, s10
; %bb.126:
	v_sub_nc_u32_e32 v1, v15, v11
	s_delay_alu instid0(VALU_DEP_1)
	v_lshlrev_b32_e32 v1, 3, v1
	ds_store_b64 v1, v[3:4]
; %bb.127:
	s_wait_alu 0xfffe
	s_or_b32 exec_lo, exec_lo, s0
	v_mov_b32_e32 v1, 0
	s_mov_b32 s1, exec_lo
	s_wait_storecnt 0x0
	s_wait_loadcnt_dscnt 0x0
	s_barrier_signal -1
	s_barrier_wait -1
	global_inv scope:SCOPE_SE
	v_cmpx_gt_u64_e64 v[9:10], v[0:1]
	s_cbranch_execz .LBB109_130
; %bb.128:
	v_lshlrev_b64_e32 v[2:3], 3, v[17:18]
	v_lshlrev_b64_e32 v[4:5], 3, v[11:12]
	s_mov_b32 s3, 0
	s_delay_alu instid0(VALU_DEP_2) | instskip(SKIP_1) | instid1(VALU_DEP_3)
	v_add_co_u32 v6, vcc_lo, s12, v2
	s_wait_alu 0xfffd
	v_add_co_ci_u32_e64 v7, null, s13, v3, vcc_lo
	v_dual_mov_b32 v3, v1 :: v_dual_mov_b32 v2, v0
	s_delay_alu instid0(VALU_DEP_3) | instskip(SKIP_1) | instid1(VALU_DEP_3)
	v_add_co_u32 v4, vcc_lo, v6, v4
	s_wait_alu 0xfffd
	v_add_co_ci_u32_e64 v5, null, v7, v5, vcc_lo
	v_or_b32_e32 v0, 0x100, v0
.LBB109_129:                            ; =>This Inner Loop Header: Depth=1
	v_lshlrev_b32_e32 v6, 3, v2
	v_lshlrev_b64_e32 v[13:14], 3, v[2:3]
	v_mov_b32_e32 v3, v1
	s_delay_alu instid0(VALU_DEP_4)
	v_cmp_le_u64_e32 vcc_lo, v[9:10], v[0:1]
	v_mov_b32_e32 v2, v0
	ds_load_b64 v[6:7], v6
	v_add_nc_u32_e32 v0, 0x100, v0
	v_add_co_u32 v13, s0, v4, v13
	s_wait_alu 0xf1ff
	v_add_co_ci_u32_e64 v14, null, v5, v14, s0
	s_wait_alu 0xfffe
	s_or_b32 s3, vcc_lo, s3
	s_wait_dscnt 0x0
	global_store_b64 v[13:14], v[6:7], off
	s_wait_alu 0xfffe
	s_and_not1_b32 exec_lo, exec_lo, s3
	s_cbranch_execnz .LBB109_129
.LBB109_130:
	s_wait_alu 0xfffe
	s_or_b32 exec_lo, exec_lo, s1
	s_and_b32 s0, s2, s6
	s_wait_alu 0xfffe
	s_and_saveexec_b32 s1, s0
	s_cbranch_execz .LBB109_109
.LBB109_131:
	v_add_co_u32 v0, vcc_lo, v11, v9
	s_wait_alu 0xfffd
	v_add_co_ci_u32_e64 v1, null, v12, v10, vcc_lo
	v_mov_b32_e32 v2, 0
	s_delay_alu instid0(VALU_DEP_3) | instskip(SKIP_1) | instid1(VALU_DEP_3)
	v_add_co_u32 v0, vcc_lo, v0, v17
	s_wait_alu 0xfffd
	v_add_co_ci_u32_e64 v1, null, v1, v18, vcc_lo
	global_store_b64 v2, v[0:1], s[8:9]
	s_endpgm
.LBB109_132:
	v_lshlrev_b32_e32 v3, 3, v0
	s_delay_alu instid0(VALU_DEP_1) | instskip(SKIP_4) | instid1(SALU_CYCLE_1)
	v_add_co_u32 v3, vcc_lo, v12, v3
	s_wait_alu 0xfffd
	v_add_co_ci_u32_e64 v4, null, 0, v13, vcc_lo
	flat_load_b64 v[3:4], v[3:4] offset:2048
	s_or_b32 exec_lo, exec_lo, s0
	s_mov_b32 s0, exec_lo
	v_cmpx_gt_u32_e64 s18, v11
	s_cbranch_execz .LBB109_11
.LBB109_133:
	v_lshlrev_b32_e32 v5, 3, v0
	s_delay_alu instid0(VALU_DEP_1) | instskip(SKIP_4) | instid1(SALU_CYCLE_1)
	v_add_co_u32 v5, vcc_lo, v12, v5
	s_wait_alu 0xfffd
	v_add_co_ci_u32_e64 v6, null, 0, v13, vcc_lo
	flat_load_b64 v[5:6], v[5:6] offset:4096
	s_or_b32 exec_lo, exec_lo, s0
	s_mov_b32 s0, exec_lo
	v_cmpx_gt_u32_e64 s18, v10
	s_cbranch_execnz .LBB109_12
	s_branch .LBB109_13
	.section	.rodata,"a",@progbits
	.p2align	6, 0x0
	.amdhsa_kernel _ZN7rocprim17ROCPRIM_400000_NS6detail17trampoline_kernelINS0_14default_configENS1_25partition_config_selectorILNS1_17partition_subalgoE6EyNS0_10empty_typeEbEEZZNS1_14partition_implILS5_6ELb0ES3_mN6thrust23THRUST_200600_302600_NS6detail15normal_iteratorINSA_10device_ptrIyEEEEPS6_SG_NS0_5tupleIJSF_S6_EEENSH_IJSG_SG_EEES6_PlJNSB_9not_fun_tINSB_10functional5actorINSM_9compositeIJNSM_27transparent_binary_operatorINSA_8equal_toIvEEEENSN_INSM_8argumentILj0EEEEENSM_5valueIyEEEEEEEEEEEE10hipError_tPvRmT3_T4_T5_T6_T7_T9_mT8_P12ihipStream_tbDpT10_ENKUlT_T0_E_clISt17integral_constantIbLb0EES1J_IbLb1EEEEDaS1F_S1G_EUlS1F_E_NS1_11comp_targetILNS1_3genE10ELNS1_11target_archE1200ELNS1_3gpuE4ELNS1_3repE0EEENS1_30default_config_static_selectorELNS0_4arch9wavefront6targetE0EEEvT1_
		.amdhsa_group_segment_fixed_size 8464
		.amdhsa_private_segment_fixed_size 0
		.amdhsa_kernarg_size 136
		.amdhsa_user_sgpr_count 2
		.amdhsa_user_sgpr_dispatch_ptr 0
		.amdhsa_user_sgpr_queue_ptr 0
		.amdhsa_user_sgpr_kernarg_segment_ptr 1
		.amdhsa_user_sgpr_dispatch_id 0
		.amdhsa_user_sgpr_private_segment_size 0
		.amdhsa_wavefront_size32 1
		.amdhsa_uses_dynamic_stack 0
		.amdhsa_enable_private_segment 0
		.amdhsa_system_sgpr_workgroup_id_x 1
		.amdhsa_system_sgpr_workgroup_id_y 0
		.amdhsa_system_sgpr_workgroup_id_z 0
		.amdhsa_system_sgpr_workgroup_info 0
		.amdhsa_system_vgpr_workitem_id 0
		.amdhsa_next_free_vgpr 48
		.amdhsa_next_free_sgpr 24
		.amdhsa_reserve_vcc 1
		.amdhsa_float_round_mode_32 0
		.amdhsa_float_round_mode_16_64 0
		.amdhsa_float_denorm_mode_32 3
		.amdhsa_float_denorm_mode_16_64 3
		.amdhsa_fp16_overflow 0
		.amdhsa_workgroup_processor_mode 1
		.amdhsa_memory_ordered 1
		.amdhsa_forward_progress 1
		.amdhsa_inst_pref_size 52
		.amdhsa_round_robin_scheduling 0
		.amdhsa_exception_fp_ieee_invalid_op 0
		.amdhsa_exception_fp_denorm_src 0
		.amdhsa_exception_fp_ieee_div_zero 0
		.amdhsa_exception_fp_ieee_overflow 0
		.amdhsa_exception_fp_ieee_underflow 0
		.amdhsa_exception_fp_ieee_inexact 0
		.amdhsa_exception_int_div_zero 0
	.end_amdhsa_kernel
	.section	.text._ZN7rocprim17ROCPRIM_400000_NS6detail17trampoline_kernelINS0_14default_configENS1_25partition_config_selectorILNS1_17partition_subalgoE6EyNS0_10empty_typeEbEEZZNS1_14partition_implILS5_6ELb0ES3_mN6thrust23THRUST_200600_302600_NS6detail15normal_iteratorINSA_10device_ptrIyEEEEPS6_SG_NS0_5tupleIJSF_S6_EEENSH_IJSG_SG_EEES6_PlJNSB_9not_fun_tINSB_10functional5actorINSM_9compositeIJNSM_27transparent_binary_operatorINSA_8equal_toIvEEEENSN_INSM_8argumentILj0EEEEENSM_5valueIyEEEEEEEEEEEE10hipError_tPvRmT3_T4_T5_T6_T7_T9_mT8_P12ihipStream_tbDpT10_ENKUlT_T0_E_clISt17integral_constantIbLb0EES1J_IbLb1EEEEDaS1F_S1G_EUlS1F_E_NS1_11comp_targetILNS1_3genE10ELNS1_11target_archE1200ELNS1_3gpuE4ELNS1_3repE0EEENS1_30default_config_static_selectorELNS0_4arch9wavefront6targetE0EEEvT1_,"axG",@progbits,_ZN7rocprim17ROCPRIM_400000_NS6detail17trampoline_kernelINS0_14default_configENS1_25partition_config_selectorILNS1_17partition_subalgoE6EyNS0_10empty_typeEbEEZZNS1_14partition_implILS5_6ELb0ES3_mN6thrust23THRUST_200600_302600_NS6detail15normal_iteratorINSA_10device_ptrIyEEEEPS6_SG_NS0_5tupleIJSF_S6_EEENSH_IJSG_SG_EEES6_PlJNSB_9not_fun_tINSB_10functional5actorINSM_9compositeIJNSM_27transparent_binary_operatorINSA_8equal_toIvEEEENSN_INSM_8argumentILj0EEEEENSM_5valueIyEEEEEEEEEEEE10hipError_tPvRmT3_T4_T5_T6_T7_T9_mT8_P12ihipStream_tbDpT10_ENKUlT_T0_E_clISt17integral_constantIbLb0EES1J_IbLb1EEEEDaS1F_S1G_EUlS1F_E_NS1_11comp_targetILNS1_3genE10ELNS1_11target_archE1200ELNS1_3gpuE4ELNS1_3repE0EEENS1_30default_config_static_selectorELNS0_4arch9wavefront6targetE0EEEvT1_,comdat
.Lfunc_end109:
	.size	_ZN7rocprim17ROCPRIM_400000_NS6detail17trampoline_kernelINS0_14default_configENS1_25partition_config_selectorILNS1_17partition_subalgoE6EyNS0_10empty_typeEbEEZZNS1_14partition_implILS5_6ELb0ES3_mN6thrust23THRUST_200600_302600_NS6detail15normal_iteratorINSA_10device_ptrIyEEEEPS6_SG_NS0_5tupleIJSF_S6_EEENSH_IJSG_SG_EEES6_PlJNSB_9not_fun_tINSB_10functional5actorINSM_9compositeIJNSM_27transparent_binary_operatorINSA_8equal_toIvEEEENSN_INSM_8argumentILj0EEEEENSM_5valueIyEEEEEEEEEEEE10hipError_tPvRmT3_T4_T5_T6_T7_T9_mT8_P12ihipStream_tbDpT10_ENKUlT_T0_E_clISt17integral_constantIbLb0EES1J_IbLb1EEEEDaS1F_S1G_EUlS1F_E_NS1_11comp_targetILNS1_3genE10ELNS1_11target_archE1200ELNS1_3gpuE4ELNS1_3repE0EEENS1_30default_config_static_selectorELNS0_4arch9wavefront6targetE0EEEvT1_, .Lfunc_end109-_ZN7rocprim17ROCPRIM_400000_NS6detail17trampoline_kernelINS0_14default_configENS1_25partition_config_selectorILNS1_17partition_subalgoE6EyNS0_10empty_typeEbEEZZNS1_14partition_implILS5_6ELb0ES3_mN6thrust23THRUST_200600_302600_NS6detail15normal_iteratorINSA_10device_ptrIyEEEEPS6_SG_NS0_5tupleIJSF_S6_EEENSH_IJSG_SG_EEES6_PlJNSB_9not_fun_tINSB_10functional5actorINSM_9compositeIJNSM_27transparent_binary_operatorINSA_8equal_toIvEEEENSN_INSM_8argumentILj0EEEEENSM_5valueIyEEEEEEEEEEEE10hipError_tPvRmT3_T4_T5_T6_T7_T9_mT8_P12ihipStream_tbDpT10_ENKUlT_T0_E_clISt17integral_constantIbLb0EES1J_IbLb1EEEEDaS1F_S1G_EUlS1F_E_NS1_11comp_targetILNS1_3genE10ELNS1_11target_archE1200ELNS1_3gpuE4ELNS1_3repE0EEENS1_30default_config_static_selectorELNS0_4arch9wavefront6targetE0EEEvT1_
                                        ; -- End function
	.set _ZN7rocprim17ROCPRIM_400000_NS6detail17trampoline_kernelINS0_14default_configENS1_25partition_config_selectorILNS1_17partition_subalgoE6EyNS0_10empty_typeEbEEZZNS1_14partition_implILS5_6ELb0ES3_mN6thrust23THRUST_200600_302600_NS6detail15normal_iteratorINSA_10device_ptrIyEEEEPS6_SG_NS0_5tupleIJSF_S6_EEENSH_IJSG_SG_EEES6_PlJNSB_9not_fun_tINSB_10functional5actorINSM_9compositeIJNSM_27transparent_binary_operatorINSA_8equal_toIvEEEENSN_INSM_8argumentILj0EEEEENSM_5valueIyEEEEEEEEEEEE10hipError_tPvRmT3_T4_T5_T6_T7_T9_mT8_P12ihipStream_tbDpT10_ENKUlT_T0_E_clISt17integral_constantIbLb0EES1J_IbLb1EEEEDaS1F_S1G_EUlS1F_E_NS1_11comp_targetILNS1_3genE10ELNS1_11target_archE1200ELNS1_3gpuE4ELNS1_3repE0EEENS1_30default_config_static_selectorELNS0_4arch9wavefront6targetE0EEEvT1_.num_vgpr, 48
	.set _ZN7rocprim17ROCPRIM_400000_NS6detail17trampoline_kernelINS0_14default_configENS1_25partition_config_selectorILNS1_17partition_subalgoE6EyNS0_10empty_typeEbEEZZNS1_14partition_implILS5_6ELb0ES3_mN6thrust23THRUST_200600_302600_NS6detail15normal_iteratorINSA_10device_ptrIyEEEEPS6_SG_NS0_5tupleIJSF_S6_EEENSH_IJSG_SG_EEES6_PlJNSB_9not_fun_tINSB_10functional5actorINSM_9compositeIJNSM_27transparent_binary_operatorINSA_8equal_toIvEEEENSN_INSM_8argumentILj0EEEEENSM_5valueIyEEEEEEEEEEEE10hipError_tPvRmT3_T4_T5_T6_T7_T9_mT8_P12ihipStream_tbDpT10_ENKUlT_T0_E_clISt17integral_constantIbLb0EES1J_IbLb1EEEEDaS1F_S1G_EUlS1F_E_NS1_11comp_targetILNS1_3genE10ELNS1_11target_archE1200ELNS1_3gpuE4ELNS1_3repE0EEENS1_30default_config_static_selectorELNS0_4arch9wavefront6targetE0EEEvT1_.num_agpr, 0
	.set _ZN7rocprim17ROCPRIM_400000_NS6detail17trampoline_kernelINS0_14default_configENS1_25partition_config_selectorILNS1_17partition_subalgoE6EyNS0_10empty_typeEbEEZZNS1_14partition_implILS5_6ELb0ES3_mN6thrust23THRUST_200600_302600_NS6detail15normal_iteratorINSA_10device_ptrIyEEEEPS6_SG_NS0_5tupleIJSF_S6_EEENSH_IJSG_SG_EEES6_PlJNSB_9not_fun_tINSB_10functional5actorINSM_9compositeIJNSM_27transparent_binary_operatorINSA_8equal_toIvEEEENSN_INSM_8argumentILj0EEEEENSM_5valueIyEEEEEEEEEEEE10hipError_tPvRmT3_T4_T5_T6_T7_T9_mT8_P12ihipStream_tbDpT10_ENKUlT_T0_E_clISt17integral_constantIbLb0EES1J_IbLb1EEEEDaS1F_S1G_EUlS1F_E_NS1_11comp_targetILNS1_3genE10ELNS1_11target_archE1200ELNS1_3gpuE4ELNS1_3repE0EEENS1_30default_config_static_selectorELNS0_4arch9wavefront6targetE0EEEvT1_.numbered_sgpr, 24
	.set _ZN7rocprim17ROCPRIM_400000_NS6detail17trampoline_kernelINS0_14default_configENS1_25partition_config_selectorILNS1_17partition_subalgoE6EyNS0_10empty_typeEbEEZZNS1_14partition_implILS5_6ELb0ES3_mN6thrust23THRUST_200600_302600_NS6detail15normal_iteratorINSA_10device_ptrIyEEEEPS6_SG_NS0_5tupleIJSF_S6_EEENSH_IJSG_SG_EEES6_PlJNSB_9not_fun_tINSB_10functional5actorINSM_9compositeIJNSM_27transparent_binary_operatorINSA_8equal_toIvEEEENSN_INSM_8argumentILj0EEEEENSM_5valueIyEEEEEEEEEEEE10hipError_tPvRmT3_T4_T5_T6_T7_T9_mT8_P12ihipStream_tbDpT10_ENKUlT_T0_E_clISt17integral_constantIbLb0EES1J_IbLb1EEEEDaS1F_S1G_EUlS1F_E_NS1_11comp_targetILNS1_3genE10ELNS1_11target_archE1200ELNS1_3gpuE4ELNS1_3repE0EEENS1_30default_config_static_selectorELNS0_4arch9wavefront6targetE0EEEvT1_.num_named_barrier, 0
	.set _ZN7rocprim17ROCPRIM_400000_NS6detail17trampoline_kernelINS0_14default_configENS1_25partition_config_selectorILNS1_17partition_subalgoE6EyNS0_10empty_typeEbEEZZNS1_14partition_implILS5_6ELb0ES3_mN6thrust23THRUST_200600_302600_NS6detail15normal_iteratorINSA_10device_ptrIyEEEEPS6_SG_NS0_5tupleIJSF_S6_EEENSH_IJSG_SG_EEES6_PlJNSB_9not_fun_tINSB_10functional5actorINSM_9compositeIJNSM_27transparent_binary_operatorINSA_8equal_toIvEEEENSN_INSM_8argumentILj0EEEEENSM_5valueIyEEEEEEEEEEEE10hipError_tPvRmT3_T4_T5_T6_T7_T9_mT8_P12ihipStream_tbDpT10_ENKUlT_T0_E_clISt17integral_constantIbLb0EES1J_IbLb1EEEEDaS1F_S1G_EUlS1F_E_NS1_11comp_targetILNS1_3genE10ELNS1_11target_archE1200ELNS1_3gpuE4ELNS1_3repE0EEENS1_30default_config_static_selectorELNS0_4arch9wavefront6targetE0EEEvT1_.private_seg_size, 0
	.set _ZN7rocprim17ROCPRIM_400000_NS6detail17trampoline_kernelINS0_14default_configENS1_25partition_config_selectorILNS1_17partition_subalgoE6EyNS0_10empty_typeEbEEZZNS1_14partition_implILS5_6ELb0ES3_mN6thrust23THRUST_200600_302600_NS6detail15normal_iteratorINSA_10device_ptrIyEEEEPS6_SG_NS0_5tupleIJSF_S6_EEENSH_IJSG_SG_EEES6_PlJNSB_9not_fun_tINSB_10functional5actorINSM_9compositeIJNSM_27transparent_binary_operatorINSA_8equal_toIvEEEENSN_INSM_8argumentILj0EEEEENSM_5valueIyEEEEEEEEEEEE10hipError_tPvRmT3_T4_T5_T6_T7_T9_mT8_P12ihipStream_tbDpT10_ENKUlT_T0_E_clISt17integral_constantIbLb0EES1J_IbLb1EEEEDaS1F_S1G_EUlS1F_E_NS1_11comp_targetILNS1_3genE10ELNS1_11target_archE1200ELNS1_3gpuE4ELNS1_3repE0EEENS1_30default_config_static_selectorELNS0_4arch9wavefront6targetE0EEEvT1_.uses_vcc, 1
	.set _ZN7rocprim17ROCPRIM_400000_NS6detail17trampoline_kernelINS0_14default_configENS1_25partition_config_selectorILNS1_17partition_subalgoE6EyNS0_10empty_typeEbEEZZNS1_14partition_implILS5_6ELb0ES3_mN6thrust23THRUST_200600_302600_NS6detail15normal_iteratorINSA_10device_ptrIyEEEEPS6_SG_NS0_5tupleIJSF_S6_EEENSH_IJSG_SG_EEES6_PlJNSB_9not_fun_tINSB_10functional5actorINSM_9compositeIJNSM_27transparent_binary_operatorINSA_8equal_toIvEEEENSN_INSM_8argumentILj0EEEEENSM_5valueIyEEEEEEEEEEEE10hipError_tPvRmT3_T4_T5_T6_T7_T9_mT8_P12ihipStream_tbDpT10_ENKUlT_T0_E_clISt17integral_constantIbLb0EES1J_IbLb1EEEEDaS1F_S1G_EUlS1F_E_NS1_11comp_targetILNS1_3genE10ELNS1_11target_archE1200ELNS1_3gpuE4ELNS1_3repE0EEENS1_30default_config_static_selectorELNS0_4arch9wavefront6targetE0EEEvT1_.uses_flat_scratch, 1
	.set _ZN7rocprim17ROCPRIM_400000_NS6detail17trampoline_kernelINS0_14default_configENS1_25partition_config_selectorILNS1_17partition_subalgoE6EyNS0_10empty_typeEbEEZZNS1_14partition_implILS5_6ELb0ES3_mN6thrust23THRUST_200600_302600_NS6detail15normal_iteratorINSA_10device_ptrIyEEEEPS6_SG_NS0_5tupleIJSF_S6_EEENSH_IJSG_SG_EEES6_PlJNSB_9not_fun_tINSB_10functional5actorINSM_9compositeIJNSM_27transparent_binary_operatorINSA_8equal_toIvEEEENSN_INSM_8argumentILj0EEEEENSM_5valueIyEEEEEEEEEEEE10hipError_tPvRmT3_T4_T5_T6_T7_T9_mT8_P12ihipStream_tbDpT10_ENKUlT_T0_E_clISt17integral_constantIbLb0EES1J_IbLb1EEEEDaS1F_S1G_EUlS1F_E_NS1_11comp_targetILNS1_3genE10ELNS1_11target_archE1200ELNS1_3gpuE4ELNS1_3repE0EEENS1_30default_config_static_selectorELNS0_4arch9wavefront6targetE0EEEvT1_.has_dyn_sized_stack, 0
	.set _ZN7rocprim17ROCPRIM_400000_NS6detail17trampoline_kernelINS0_14default_configENS1_25partition_config_selectorILNS1_17partition_subalgoE6EyNS0_10empty_typeEbEEZZNS1_14partition_implILS5_6ELb0ES3_mN6thrust23THRUST_200600_302600_NS6detail15normal_iteratorINSA_10device_ptrIyEEEEPS6_SG_NS0_5tupleIJSF_S6_EEENSH_IJSG_SG_EEES6_PlJNSB_9not_fun_tINSB_10functional5actorINSM_9compositeIJNSM_27transparent_binary_operatorINSA_8equal_toIvEEEENSN_INSM_8argumentILj0EEEEENSM_5valueIyEEEEEEEEEEEE10hipError_tPvRmT3_T4_T5_T6_T7_T9_mT8_P12ihipStream_tbDpT10_ENKUlT_T0_E_clISt17integral_constantIbLb0EES1J_IbLb1EEEEDaS1F_S1G_EUlS1F_E_NS1_11comp_targetILNS1_3genE10ELNS1_11target_archE1200ELNS1_3gpuE4ELNS1_3repE0EEENS1_30default_config_static_selectorELNS0_4arch9wavefront6targetE0EEEvT1_.has_recursion, 0
	.set _ZN7rocprim17ROCPRIM_400000_NS6detail17trampoline_kernelINS0_14default_configENS1_25partition_config_selectorILNS1_17partition_subalgoE6EyNS0_10empty_typeEbEEZZNS1_14partition_implILS5_6ELb0ES3_mN6thrust23THRUST_200600_302600_NS6detail15normal_iteratorINSA_10device_ptrIyEEEEPS6_SG_NS0_5tupleIJSF_S6_EEENSH_IJSG_SG_EEES6_PlJNSB_9not_fun_tINSB_10functional5actorINSM_9compositeIJNSM_27transparent_binary_operatorINSA_8equal_toIvEEEENSN_INSM_8argumentILj0EEEEENSM_5valueIyEEEEEEEEEEEE10hipError_tPvRmT3_T4_T5_T6_T7_T9_mT8_P12ihipStream_tbDpT10_ENKUlT_T0_E_clISt17integral_constantIbLb0EES1J_IbLb1EEEEDaS1F_S1G_EUlS1F_E_NS1_11comp_targetILNS1_3genE10ELNS1_11target_archE1200ELNS1_3gpuE4ELNS1_3repE0EEENS1_30default_config_static_selectorELNS0_4arch9wavefront6targetE0EEEvT1_.has_indirect_call, 0
	.section	.AMDGPU.csdata,"",@progbits
; Kernel info:
; codeLenInByte = 6584
; TotalNumSgprs: 26
; NumVgprs: 48
; ScratchSize: 0
; MemoryBound: 0
; FloatMode: 240
; IeeeMode: 1
; LDSByteSize: 8464 bytes/workgroup (compile time only)
; SGPRBlocks: 0
; VGPRBlocks: 5
; NumSGPRsForWavesPerEU: 26
; NumVGPRsForWavesPerEU: 48
; Occupancy: 16
; WaveLimiterHint : 1
; COMPUTE_PGM_RSRC2:SCRATCH_EN: 0
; COMPUTE_PGM_RSRC2:USER_SGPR: 2
; COMPUTE_PGM_RSRC2:TRAP_HANDLER: 0
; COMPUTE_PGM_RSRC2:TGID_X_EN: 1
; COMPUTE_PGM_RSRC2:TGID_Y_EN: 0
; COMPUTE_PGM_RSRC2:TGID_Z_EN: 0
; COMPUTE_PGM_RSRC2:TIDIG_COMP_CNT: 0
	.section	.text._ZN7rocprim17ROCPRIM_400000_NS6detail17trampoline_kernelINS0_14default_configENS1_25partition_config_selectorILNS1_17partition_subalgoE6EyNS0_10empty_typeEbEEZZNS1_14partition_implILS5_6ELb0ES3_mN6thrust23THRUST_200600_302600_NS6detail15normal_iteratorINSA_10device_ptrIyEEEEPS6_SG_NS0_5tupleIJSF_S6_EEENSH_IJSG_SG_EEES6_PlJNSB_9not_fun_tINSB_10functional5actorINSM_9compositeIJNSM_27transparent_binary_operatorINSA_8equal_toIvEEEENSN_INSM_8argumentILj0EEEEENSM_5valueIyEEEEEEEEEEEE10hipError_tPvRmT3_T4_T5_T6_T7_T9_mT8_P12ihipStream_tbDpT10_ENKUlT_T0_E_clISt17integral_constantIbLb0EES1J_IbLb1EEEEDaS1F_S1G_EUlS1F_E_NS1_11comp_targetILNS1_3genE9ELNS1_11target_archE1100ELNS1_3gpuE3ELNS1_3repE0EEENS1_30default_config_static_selectorELNS0_4arch9wavefront6targetE0EEEvT1_,"axG",@progbits,_ZN7rocprim17ROCPRIM_400000_NS6detail17trampoline_kernelINS0_14default_configENS1_25partition_config_selectorILNS1_17partition_subalgoE6EyNS0_10empty_typeEbEEZZNS1_14partition_implILS5_6ELb0ES3_mN6thrust23THRUST_200600_302600_NS6detail15normal_iteratorINSA_10device_ptrIyEEEEPS6_SG_NS0_5tupleIJSF_S6_EEENSH_IJSG_SG_EEES6_PlJNSB_9not_fun_tINSB_10functional5actorINSM_9compositeIJNSM_27transparent_binary_operatorINSA_8equal_toIvEEEENSN_INSM_8argumentILj0EEEEENSM_5valueIyEEEEEEEEEEEE10hipError_tPvRmT3_T4_T5_T6_T7_T9_mT8_P12ihipStream_tbDpT10_ENKUlT_T0_E_clISt17integral_constantIbLb0EES1J_IbLb1EEEEDaS1F_S1G_EUlS1F_E_NS1_11comp_targetILNS1_3genE9ELNS1_11target_archE1100ELNS1_3gpuE3ELNS1_3repE0EEENS1_30default_config_static_selectorELNS0_4arch9wavefront6targetE0EEEvT1_,comdat
	.protected	_ZN7rocprim17ROCPRIM_400000_NS6detail17trampoline_kernelINS0_14default_configENS1_25partition_config_selectorILNS1_17partition_subalgoE6EyNS0_10empty_typeEbEEZZNS1_14partition_implILS5_6ELb0ES3_mN6thrust23THRUST_200600_302600_NS6detail15normal_iteratorINSA_10device_ptrIyEEEEPS6_SG_NS0_5tupleIJSF_S6_EEENSH_IJSG_SG_EEES6_PlJNSB_9not_fun_tINSB_10functional5actorINSM_9compositeIJNSM_27transparent_binary_operatorINSA_8equal_toIvEEEENSN_INSM_8argumentILj0EEEEENSM_5valueIyEEEEEEEEEEEE10hipError_tPvRmT3_T4_T5_T6_T7_T9_mT8_P12ihipStream_tbDpT10_ENKUlT_T0_E_clISt17integral_constantIbLb0EES1J_IbLb1EEEEDaS1F_S1G_EUlS1F_E_NS1_11comp_targetILNS1_3genE9ELNS1_11target_archE1100ELNS1_3gpuE3ELNS1_3repE0EEENS1_30default_config_static_selectorELNS0_4arch9wavefront6targetE0EEEvT1_ ; -- Begin function _ZN7rocprim17ROCPRIM_400000_NS6detail17trampoline_kernelINS0_14default_configENS1_25partition_config_selectorILNS1_17partition_subalgoE6EyNS0_10empty_typeEbEEZZNS1_14partition_implILS5_6ELb0ES3_mN6thrust23THRUST_200600_302600_NS6detail15normal_iteratorINSA_10device_ptrIyEEEEPS6_SG_NS0_5tupleIJSF_S6_EEENSH_IJSG_SG_EEES6_PlJNSB_9not_fun_tINSB_10functional5actorINSM_9compositeIJNSM_27transparent_binary_operatorINSA_8equal_toIvEEEENSN_INSM_8argumentILj0EEEEENSM_5valueIyEEEEEEEEEEEE10hipError_tPvRmT3_T4_T5_T6_T7_T9_mT8_P12ihipStream_tbDpT10_ENKUlT_T0_E_clISt17integral_constantIbLb0EES1J_IbLb1EEEEDaS1F_S1G_EUlS1F_E_NS1_11comp_targetILNS1_3genE9ELNS1_11target_archE1100ELNS1_3gpuE3ELNS1_3repE0EEENS1_30default_config_static_selectorELNS0_4arch9wavefront6targetE0EEEvT1_
	.globl	_ZN7rocprim17ROCPRIM_400000_NS6detail17trampoline_kernelINS0_14default_configENS1_25partition_config_selectorILNS1_17partition_subalgoE6EyNS0_10empty_typeEbEEZZNS1_14partition_implILS5_6ELb0ES3_mN6thrust23THRUST_200600_302600_NS6detail15normal_iteratorINSA_10device_ptrIyEEEEPS6_SG_NS0_5tupleIJSF_S6_EEENSH_IJSG_SG_EEES6_PlJNSB_9not_fun_tINSB_10functional5actorINSM_9compositeIJNSM_27transparent_binary_operatorINSA_8equal_toIvEEEENSN_INSM_8argumentILj0EEEEENSM_5valueIyEEEEEEEEEEEE10hipError_tPvRmT3_T4_T5_T6_T7_T9_mT8_P12ihipStream_tbDpT10_ENKUlT_T0_E_clISt17integral_constantIbLb0EES1J_IbLb1EEEEDaS1F_S1G_EUlS1F_E_NS1_11comp_targetILNS1_3genE9ELNS1_11target_archE1100ELNS1_3gpuE3ELNS1_3repE0EEENS1_30default_config_static_selectorELNS0_4arch9wavefront6targetE0EEEvT1_
	.p2align	8
	.type	_ZN7rocprim17ROCPRIM_400000_NS6detail17trampoline_kernelINS0_14default_configENS1_25partition_config_selectorILNS1_17partition_subalgoE6EyNS0_10empty_typeEbEEZZNS1_14partition_implILS5_6ELb0ES3_mN6thrust23THRUST_200600_302600_NS6detail15normal_iteratorINSA_10device_ptrIyEEEEPS6_SG_NS0_5tupleIJSF_S6_EEENSH_IJSG_SG_EEES6_PlJNSB_9not_fun_tINSB_10functional5actorINSM_9compositeIJNSM_27transparent_binary_operatorINSA_8equal_toIvEEEENSN_INSM_8argumentILj0EEEEENSM_5valueIyEEEEEEEEEEEE10hipError_tPvRmT3_T4_T5_T6_T7_T9_mT8_P12ihipStream_tbDpT10_ENKUlT_T0_E_clISt17integral_constantIbLb0EES1J_IbLb1EEEEDaS1F_S1G_EUlS1F_E_NS1_11comp_targetILNS1_3genE9ELNS1_11target_archE1100ELNS1_3gpuE3ELNS1_3repE0EEENS1_30default_config_static_selectorELNS0_4arch9wavefront6targetE0EEEvT1_,@function
_ZN7rocprim17ROCPRIM_400000_NS6detail17trampoline_kernelINS0_14default_configENS1_25partition_config_selectorILNS1_17partition_subalgoE6EyNS0_10empty_typeEbEEZZNS1_14partition_implILS5_6ELb0ES3_mN6thrust23THRUST_200600_302600_NS6detail15normal_iteratorINSA_10device_ptrIyEEEEPS6_SG_NS0_5tupleIJSF_S6_EEENSH_IJSG_SG_EEES6_PlJNSB_9not_fun_tINSB_10functional5actorINSM_9compositeIJNSM_27transparent_binary_operatorINSA_8equal_toIvEEEENSN_INSM_8argumentILj0EEEEENSM_5valueIyEEEEEEEEEEEE10hipError_tPvRmT3_T4_T5_T6_T7_T9_mT8_P12ihipStream_tbDpT10_ENKUlT_T0_E_clISt17integral_constantIbLb0EES1J_IbLb1EEEEDaS1F_S1G_EUlS1F_E_NS1_11comp_targetILNS1_3genE9ELNS1_11target_archE1100ELNS1_3gpuE3ELNS1_3repE0EEENS1_30default_config_static_selectorELNS0_4arch9wavefront6targetE0EEEvT1_: ; @_ZN7rocprim17ROCPRIM_400000_NS6detail17trampoline_kernelINS0_14default_configENS1_25partition_config_selectorILNS1_17partition_subalgoE6EyNS0_10empty_typeEbEEZZNS1_14partition_implILS5_6ELb0ES3_mN6thrust23THRUST_200600_302600_NS6detail15normal_iteratorINSA_10device_ptrIyEEEEPS6_SG_NS0_5tupleIJSF_S6_EEENSH_IJSG_SG_EEES6_PlJNSB_9not_fun_tINSB_10functional5actorINSM_9compositeIJNSM_27transparent_binary_operatorINSA_8equal_toIvEEEENSN_INSM_8argumentILj0EEEEENSM_5valueIyEEEEEEEEEEEE10hipError_tPvRmT3_T4_T5_T6_T7_T9_mT8_P12ihipStream_tbDpT10_ENKUlT_T0_E_clISt17integral_constantIbLb0EES1J_IbLb1EEEEDaS1F_S1G_EUlS1F_E_NS1_11comp_targetILNS1_3genE9ELNS1_11target_archE1100ELNS1_3gpuE3ELNS1_3repE0EEENS1_30default_config_static_selectorELNS0_4arch9wavefront6targetE0EEEvT1_
; %bb.0:
	.section	.rodata,"a",@progbits
	.p2align	6, 0x0
	.amdhsa_kernel _ZN7rocprim17ROCPRIM_400000_NS6detail17trampoline_kernelINS0_14default_configENS1_25partition_config_selectorILNS1_17partition_subalgoE6EyNS0_10empty_typeEbEEZZNS1_14partition_implILS5_6ELb0ES3_mN6thrust23THRUST_200600_302600_NS6detail15normal_iteratorINSA_10device_ptrIyEEEEPS6_SG_NS0_5tupleIJSF_S6_EEENSH_IJSG_SG_EEES6_PlJNSB_9not_fun_tINSB_10functional5actorINSM_9compositeIJNSM_27transparent_binary_operatorINSA_8equal_toIvEEEENSN_INSM_8argumentILj0EEEEENSM_5valueIyEEEEEEEEEEEE10hipError_tPvRmT3_T4_T5_T6_T7_T9_mT8_P12ihipStream_tbDpT10_ENKUlT_T0_E_clISt17integral_constantIbLb0EES1J_IbLb1EEEEDaS1F_S1G_EUlS1F_E_NS1_11comp_targetILNS1_3genE9ELNS1_11target_archE1100ELNS1_3gpuE3ELNS1_3repE0EEENS1_30default_config_static_selectorELNS0_4arch9wavefront6targetE0EEEvT1_
		.amdhsa_group_segment_fixed_size 0
		.amdhsa_private_segment_fixed_size 0
		.amdhsa_kernarg_size 136
		.amdhsa_user_sgpr_count 2
		.amdhsa_user_sgpr_dispatch_ptr 0
		.amdhsa_user_sgpr_queue_ptr 0
		.amdhsa_user_sgpr_kernarg_segment_ptr 1
		.amdhsa_user_sgpr_dispatch_id 0
		.amdhsa_user_sgpr_private_segment_size 0
		.amdhsa_wavefront_size32 1
		.amdhsa_uses_dynamic_stack 0
		.amdhsa_enable_private_segment 0
		.amdhsa_system_sgpr_workgroup_id_x 1
		.amdhsa_system_sgpr_workgroup_id_y 0
		.amdhsa_system_sgpr_workgroup_id_z 0
		.amdhsa_system_sgpr_workgroup_info 0
		.amdhsa_system_vgpr_workitem_id 0
		.amdhsa_next_free_vgpr 1
		.amdhsa_next_free_sgpr 1
		.amdhsa_reserve_vcc 0
		.amdhsa_float_round_mode_32 0
		.amdhsa_float_round_mode_16_64 0
		.amdhsa_float_denorm_mode_32 3
		.amdhsa_float_denorm_mode_16_64 3
		.amdhsa_fp16_overflow 0
		.amdhsa_workgroup_processor_mode 1
		.amdhsa_memory_ordered 1
		.amdhsa_forward_progress 1
		.amdhsa_inst_pref_size 0
		.amdhsa_round_robin_scheduling 0
		.amdhsa_exception_fp_ieee_invalid_op 0
		.amdhsa_exception_fp_denorm_src 0
		.amdhsa_exception_fp_ieee_div_zero 0
		.amdhsa_exception_fp_ieee_overflow 0
		.amdhsa_exception_fp_ieee_underflow 0
		.amdhsa_exception_fp_ieee_inexact 0
		.amdhsa_exception_int_div_zero 0
	.end_amdhsa_kernel
	.section	.text._ZN7rocprim17ROCPRIM_400000_NS6detail17trampoline_kernelINS0_14default_configENS1_25partition_config_selectorILNS1_17partition_subalgoE6EyNS0_10empty_typeEbEEZZNS1_14partition_implILS5_6ELb0ES3_mN6thrust23THRUST_200600_302600_NS6detail15normal_iteratorINSA_10device_ptrIyEEEEPS6_SG_NS0_5tupleIJSF_S6_EEENSH_IJSG_SG_EEES6_PlJNSB_9not_fun_tINSB_10functional5actorINSM_9compositeIJNSM_27transparent_binary_operatorINSA_8equal_toIvEEEENSN_INSM_8argumentILj0EEEEENSM_5valueIyEEEEEEEEEEEE10hipError_tPvRmT3_T4_T5_T6_T7_T9_mT8_P12ihipStream_tbDpT10_ENKUlT_T0_E_clISt17integral_constantIbLb0EES1J_IbLb1EEEEDaS1F_S1G_EUlS1F_E_NS1_11comp_targetILNS1_3genE9ELNS1_11target_archE1100ELNS1_3gpuE3ELNS1_3repE0EEENS1_30default_config_static_selectorELNS0_4arch9wavefront6targetE0EEEvT1_,"axG",@progbits,_ZN7rocprim17ROCPRIM_400000_NS6detail17trampoline_kernelINS0_14default_configENS1_25partition_config_selectorILNS1_17partition_subalgoE6EyNS0_10empty_typeEbEEZZNS1_14partition_implILS5_6ELb0ES3_mN6thrust23THRUST_200600_302600_NS6detail15normal_iteratorINSA_10device_ptrIyEEEEPS6_SG_NS0_5tupleIJSF_S6_EEENSH_IJSG_SG_EEES6_PlJNSB_9not_fun_tINSB_10functional5actorINSM_9compositeIJNSM_27transparent_binary_operatorINSA_8equal_toIvEEEENSN_INSM_8argumentILj0EEEEENSM_5valueIyEEEEEEEEEEEE10hipError_tPvRmT3_T4_T5_T6_T7_T9_mT8_P12ihipStream_tbDpT10_ENKUlT_T0_E_clISt17integral_constantIbLb0EES1J_IbLb1EEEEDaS1F_S1G_EUlS1F_E_NS1_11comp_targetILNS1_3genE9ELNS1_11target_archE1100ELNS1_3gpuE3ELNS1_3repE0EEENS1_30default_config_static_selectorELNS0_4arch9wavefront6targetE0EEEvT1_,comdat
.Lfunc_end110:
	.size	_ZN7rocprim17ROCPRIM_400000_NS6detail17trampoline_kernelINS0_14default_configENS1_25partition_config_selectorILNS1_17partition_subalgoE6EyNS0_10empty_typeEbEEZZNS1_14partition_implILS5_6ELb0ES3_mN6thrust23THRUST_200600_302600_NS6detail15normal_iteratorINSA_10device_ptrIyEEEEPS6_SG_NS0_5tupleIJSF_S6_EEENSH_IJSG_SG_EEES6_PlJNSB_9not_fun_tINSB_10functional5actorINSM_9compositeIJNSM_27transparent_binary_operatorINSA_8equal_toIvEEEENSN_INSM_8argumentILj0EEEEENSM_5valueIyEEEEEEEEEEEE10hipError_tPvRmT3_T4_T5_T6_T7_T9_mT8_P12ihipStream_tbDpT10_ENKUlT_T0_E_clISt17integral_constantIbLb0EES1J_IbLb1EEEEDaS1F_S1G_EUlS1F_E_NS1_11comp_targetILNS1_3genE9ELNS1_11target_archE1100ELNS1_3gpuE3ELNS1_3repE0EEENS1_30default_config_static_selectorELNS0_4arch9wavefront6targetE0EEEvT1_, .Lfunc_end110-_ZN7rocprim17ROCPRIM_400000_NS6detail17trampoline_kernelINS0_14default_configENS1_25partition_config_selectorILNS1_17partition_subalgoE6EyNS0_10empty_typeEbEEZZNS1_14partition_implILS5_6ELb0ES3_mN6thrust23THRUST_200600_302600_NS6detail15normal_iteratorINSA_10device_ptrIyEEEEPS6_SG_NS0_5tupleIJSF_S6_EEENSH_IJSG_SG_EEES6_PlJNSB_9not_fun_tINSB_10functional5actorINSM_9compositeIJNSM_27transparent_binary_operatorINSA_8equal_toIvEEEENSN_INSM_8argumentILj0EEEEENSM_5valueIyEEEEEEEEEEEE10hipError_tPvRmT3_T4_T5_T6_T7_T9_mT8_P12ihipStream_tbDpT10_ENKUlT_T0_E_clISt17integral_constantIbLb0EES1J_IbLb1EEEEDaS1F_S1G_EUlS1F_E_NS1_11comp_targetILNS1_3genE9ELNS1_11target_archE1100ELNS1_3gpuE3ELNS1_3repE0EEENS1_30default_config_static_selectorELNS0_4arch9wavefront6targetE0EEEvT1_
                                        ; -- End function
	.set _ZN7rocprim17ROCPRIM_400000_NS6detail17trampoline_kernelINS0_14default_configENS1_25partition_config_selectorILNS1_17partition_subalgoE6EyNS0_10empty_typeEbEEZZNS1_14partition_implILS5_6ELb0ES3_mN6thrust23THRUST_200600_302600_NS6detail15normal_iteratorINSA_10device_ptrIyEEEEPS6_SG_NS0_5tupleIJSF_S6_EEENSH_IJSG_SG_EEES6_PlJNSB_9not_fun_tINSB_10functional5actorINSM_9compositeIJNSM_27transparent_binary_operatorINSA_8equal_toIvEEEENSN_INSM_8argumentILj0EEEEENSM_5valueIyEEEEEEEEEEEE10hipError_tPvRmT3_T4_T5_T6_T7_T9_mT8_P12ihipStream_tbDpT10_ENKUlT_T0_E_clISt17integral_constantIbLb0EES1J_IbLb1EEEEDaS1F_S1G_EUlS1F_E_NS1_11comp_targetILNS1_3genE9ELNS1_11target_archE1100ELNS1_3gpuE3ELNS1_3repE0EEENS1_30default_config_static_selectorELNS0_4arch9wavefront6targetE0EEEvT1_.num_vgpr, 0
	.set _ZN7rocprim17ROCPRIM_400000_NS6detail17trampoline_kernelINS0_14default_configENS1_25partition_config_selectorILNS1_17partition_subalgoE6EyNS0_10empty_typeEbEEZZNS1_14partition_implILS5_6ELb0ES3_mN6thrust23THRUST_200600_302600_NS6detail15normal_iteratorINSA_10device_ptrIyEEEEPS6_SG_NS0_5tupleIJSF_S6_EEENSH_IJSG_SG_EEES6_PlJNSB_9not_fun_tINSB_10functional5actorINSM_9compositeIJNSM_27transparent_binary_operatorINSA_8equal_toIvEEEENSN_INSM_8argumentILj0EEEEENSM_5valueIyEEEEEEEEEEEE10hipError_tPvRmT3_T4_T5_T6_T7_T9_mT8_P12ihipStream_tbDpT10_ENKUlT_T0_E_clISt17integral_constantIbLb0EES1J_IbLb1EEEEDaS1F_S1G_EUlS1F_E_NS1_11comp_targetILNS1_3genE9ELNS1_11target_archE1100ELNS1_3gpuE3ELNS1_3repE0EEENS1_30default_config_static_selectorELNS0_4arch9wavefront6targetE0EEEvT1_.num_agpr, 0
	.set _ZN7rocprim17ROCPRIM_400000_NS6detail17trampoline_kernelINS0_14default_configENS1_25partition_config_selectorILNS1_17partition_subalgoE6EyNS0_10empty_typeEbEEZZNS1_14partition_implILS5_6ELb0ES3_mN6thrust23THRUST_200600_302600_NS6detail15normal_iteratorINSA_10device_ptrIyEEEEPS6_SG_NS0_5tupleIJSF_S6_EEENSH_IJSG_SG_EEES6_PlJNSB_9not_fun_tINSB_10functional5actorINSM_9compositeIJNSM_27transparent_binary_operatorINSA_8equal_toIvEEEENSN_INSM_8argumentILj0EEEEENSM_5valueIyEEEEEEEEEEEE10hipError_tPvRmT3_T4_T5_T6_T7_T9_mT8_P12ihipStream_tbDpT10_ENKUlT_T0_E_clISt17integral_constantIbLb0EES1J_IbLb1EEEEDaS1F_S1G_EUlS1F_E_NS1_11comp_targetILNS1_3genE9ELNS1_11target_archE1100ELNS1_3gpuE3ELNS1_3repE0EEENS1_30default_config_static_selectorELNS0_4arch9wavefront6targetE0EEEvT1_.numbered_sgpr, 0
	.set _ZN7rocprim17ROCPRIM_400000_NS6detail17trampoline_kernelINS0_14default_configENS1_25partition_config_selectorILNS1_17partition_subalgoE6EyNS0_10empty_typeEbEEZZNS1_14partition_implILS5_6ELb0ES3_mN6thrust23THRUST_200600_302600_NS6detail15normal_iteratorINSA_10device_ptrIyEEEEPS6_SG_NS0_5tupleIJSF_S6_EEENSH_IJSG_SG_EEES6_PlJNSB_9not_fun_tINSB_10functional5actorINSM_9compositeIJNSM_27transparent_binary_operatorINSA_8equal_toIvEEEENSN_INSM_8argumentILj0EEEEENSM_5valueIyEEEEEEEEEEEE10hipError_tPvRmT3_T4_T5_T6_T7_T9_mT8_P12ihipStream_tbDpT10_ENKUlT_T0_E_clISt17integral_constantIbLb0EES1J_IbLb1EEEEDaS1F_S1G_EUlS1F_E_NS1_11comp_targetILNS1_3genE9ELNS1_11target_archE1100ELNS1_3gpuE3ELNS1_3repE0EEENS1_30default_config_static_selectorELNS0_4arch9wavefront6targetE0EEEvT1_.num_named_barrier, 0
	.set _ZN7rocprim17ROCPRIM_400000_NS6detail17trampoline_kernelINS0_14default_configENS1_25partition_config_selectorILNS1_17partition_subalgoE6EyNS0_10empty_typeEbEEZZNS1_14partition_implILS5_6ELb0ES3_mN6thrust23THRUST_200600_302600_NS6detail15normal_iteratorINSA_10device_ptrIyEEEEPS6_SG_NS0_5tupleIJSF_S6_EEENSH_IJSG_SG_EEES6_PlJNSB_9not_fun_tINSB_10functional5actorINSM_9compositeIJNSM_27transparent_binary_operatorINSA_8equal_toIvEEEENSN_INSM_8argumentILj0EEEEENSM_5valueIyEEEEEEEEEEEE10hipError_tPvRmT3_T4_T5_T6_T7_T9_mT8_P12ihipStream_tbDpT10_ENKUlT_T0_E_clISt17integral_constantIbLb0EES1J_IbLb1EEEEDaS1F_S1G_EUlS1F_E_NS1_11comp_targetILNS1_3genE9ELNS1_11target_archE1100ELNS1_3gpuE3ELNS1_3repE0EEENS1_30default_config_static_selectorELNS0_4arch9wavefront6targetE0EEEvT1_.private_seg_size, 0
	.set _ZN7rocprim17ROCPRIM_400000_NS6detail17trampoline_kernelINS0_14default_configENS1_25partition_config_selectorILNS1_17partition_subalgoE6EyNS0_10empty_typeEbEEZZNS1_14partition_implILS5_6ELb0ES3_mN6thrust23THRUST_200600_302600_NS6detail15normal_iteratorINSA_10device_ptrIyEEEEPS6_SG_NS0_5tupleIJSF_S6_EEENSH_IJSG_SG_EEES6_PlJNSB_9not_fun_tINSB_10functional5actorINSM_9compositeIJNSM_27transparent_binary_operatorINSA_8equal_toIvEEEENSN_INSM_8argumentILj0EEEEENSM_5valueIyEEEEEEEEEEEE10hipError_tPvRmT3_T4_T5_T6_T7_T9_mT8_P12ihipStream_tbDpT10_ENKUlT_T0_E_clISt17integral_constantIbLb0EES1J_IbLb1EEEEDaS1F_S1G_EUlS1F_E_NS1_11comp_targetILNS1_3genE9ELNS1_11target_archE1100ELNS1_3gpuE3ELNS1_3repE0EEENS1_30default_config_static_selectorELNS0_4arch9wavefront6targetE0EEEvT1_.uses_vcc, 0
	.set _ZN7rocprim17ROCPRIM_400000_NS6detail17trampoline_kernelINS0_14default_configENS1_25partition_config_selectorILNS1_17partition_subalgoE6EyNS0_10empty_typeEbEEZZNS1_14partition_implILS5_6ELb0ES3_mN6thrust23THRUST_200600_302600_NS6detail15normal_iteratorINSA_10device_ptrIyEEEEPS6_SG_NS0_5tupleIJSF_S6_EEENSH_IJSG_SG_EEES6_PlJNSB_9not_fun_tINSB_10functional5actorINSM_9compositeIJNSM_27transparent_binary_operatorINSA_8equal_toIvEEEENSN_INSM_8argumentILj0EEEEENSM_5valueIyEEEEEEEEEEEE10hipError_tPvRmT3_T4_T5_T6_T7_T9_mT8_P12ihipStream_tbDpT10_ENKUlT_T0_E_clISt17integral_constantIbLb0EES1J_IbLb1EEEEDaS1F_S1G_EUlS1F_E_NS1_11comp_targetILNS1_3genE9ELNS1_11target_archE1100ELNS1_3gpuE3ELNS1_3repE0EEENS1_30default_config_static_selectorELNS0_4arch9wavefront6targetE0EEEvT1_.uses_flat_scratch, 0
	.set _ZN7rocprim17ROCPRIM_400000_NS6detail17trampoline_kernelINS0_14default_configENS1_25partition_config_selectorILNS1_17partition_subalgoE6EyNS0_10empty_typeEbEEZZNS1_14partition_implILS5_6ELb0ES3_mN6thrust23THRUST_200600_302600_NS6detail15normal_iteratorINSA_10device_ptrIyEEEEPS6_SG_NS0_5tupleIJSF_S6_EEENSH_IJSG_SG_EEES6_PlJNSB_9not_fun_tINSB_10functional5actorINSM_9compositeIJNSM_27transparent_binary_operatorINSA_8equal_toIvEEEENSN_INSM_8argumentILj0EEEEENSM_5valueIyEEEEEEEEEEEE10hipError_tPvRmT3_T4_T5_T6_T7_T9_mT8_P12ihipStream_tbDpT10_ENKUlT_T0_E_clISt17integral_constantIbLb0EES1J_IbLb1EEEEDaS1F_S1G_EUlS1F_E_NS1_11comp_targetILNS1_3genE9ELNS1_11target_archE1100ELNS1_3gpuE3ELNS1_3repE0EEENS1_30default_config_static_selectorELNS0_4arch9wavefront6targetE0EEEvT1_.has_dyn_sized_stack, 0
	.set _ZN7rocprim17ROCPRIM_400000_NS6detail17trampoline_kernelINS0_14default_configENS1_25partition_config_selectorILNS1_17partition_subalgoE6EyNS0_10empty_typeEbEEZZNS1_14partition_implILS5_6ELb0ES3_mN6thrust23THRUST_200600_302600_NS6detail15normal_iteratorINSA_10device_ptrIyEEEEPS6_SG_NS0_5tupleIJSF_S6_EEENSH_IJSG_SG_EEES6_PlJNSB_9not_fun_tINSB_10functional5actorINSM_9compositeIJNSM_27transparent_binary_operatorINSA_8equal_toIvEEEENSN_INSM_8argumentILj0EEEEENSM_5valueIyEEEEEEEEEEEE10hipError_tPvRmT3_T4_T5_T6_T7_T9_mT8_P12ihipStream_tbDpT10_ENKUlT_T0_E_clISt17integral_constantIbLb0EES1J_IbLb1EEEEDaS1F_S1G_EUlS1F_E_NS1_11comp_targetILNS1_3genE9ELNS1_11target_archE1100ELNS1_3gpuE3ELNS1_3repE0EEENS1_30default_config_static_selectorELNS0_4arch9wavefront6targetE0EEEvT1_.has_recursion, 0
	.set _ZN7rocprim17ROCPRIM_400000_NS6detail17trampoline_kernelINS0_14default_configENS1_25partition_config_selectorILNS1_17partition_subalgoE6EyNS0_10empty_typeEbEEZZNS1_14partition_implILS5_6ELb0ES3_mN6thrust23THRUST_200600_302600_NS6detail15normal_iteratorINSA_10device_ptrIyEEEEPS6_SG_NS0_5tupleIJSF_S6_EEENSH_IJSG_SG_EEES6_PlJNSB_9not_fun_tINSB_10functional5actorINSM_9compositeIJNSM_27transparent_binary_operatorINSA_8equal_toIvEEEENSN_INSM_8argumentILj0EEEEENSM_5valueIyEEEEEEEEEEEE10hipError_tPvRmT3_T4_T5_T6_T7_T9_mT8_P12ihipStream_tbDpT10_ENKUlT_T0_E_clISt17integral_constantIbLb0EES1J_IbLb1EEEEDaS1F_S1G_EUlS1F_E_NS1_11comp_targetILNS1_3genE9ELNS1_11target_archE1100ELNS1_3gpuE3ELNS1_3repE0EEENS1_30default_config_static_selectorELNS0_4arch9wavefront6targetE0EEEvT1_.has_indirect_call, 0
	.section	.AMDGPU.csdata,"",@progbits
; Kernel info:
; codeLenInByte = 0
; TotalNumSgprs: 0
; NumVgprs: 0
; ScratchSize: 0
; MemoryBound: 0
; FloatMode: 240
; IeeeMode: 1
; LDSByteSize: 0 bytes/workgroup (compile time only)
; SGPRBlocks: 0
; VGPRBlocks: 0
; NumSGPRsForWavesPerEU: 1
; NumVGPRsForWavesPerEU: 1
; Occupancy: 16
; WaveLimiterHint : 0
; COMPUTE_PGM_RSRC2:SCRATCH_EN: 0
; COMPUTE_PGM_RSRC2:USER_SGPR: 2
; COMPUTE_PGM_RSRC2:TRAP_HANDLER: 0
; COMPUTE_PGM_RSRC2:TGID_X_EN: 1
; COMPUTE_PGM_RSRC2:TGID_Y_EN: 0
; COMPUTE_PGM_RSRC2:TGID_Z_EN: 0
; COMPUTE_PGM_RSRC2:TIDIG_COMP_CNT: 0
	.section	.text._ZN7rocprim17ROCPRIM_400000_NS6detail17trampoline_kernelINS0_14default_configENS1_25partition_config_selectorILNS1_17partition_subalgoE6EyNS0_10empty_typeEbEEZZNS1_14partition_implILS5_6ELb0ES3_mN6thrust23THRUST_200600_302600_NS6detail15normal_iteratorINSA_10device_ptrIyEEEEPS6_SG_NS0_5tupleIJSF_S6_EEENSH_IJSG_SG_EEES6_PlJNSB_9not_fun_tINSB_10functional5actorINSM_9compositeIJNSM_27transparent_binary_operatorINSA_8equal_toIvEEEENSN_INSM_8argumentILj0EEEEENSM_5valueIyEEEEEEEEEEEE10hipError_tPvRmT3_T4_T5_T6_T7_T9_mT8_P12ihipStream_tbDpT10_ENKUlT_T0_E_clISt17integral_constantIbLb0EES1J_IbLb1EEEEDaS1F_S1G_EUlS1F_E_NS1_11comp_targetILNS1_3genE8ELNS1_11target_archE1030ELNS1_3gpuE2ELNS1_3repE0EEENS1_30default_config_static_selectorELNS0_4arch9wavefront6targetE0EEEvT1_,"axG",@progbits,_ZN7rocprim17ROCPRIM_400000_NS6detail17trampoline_kernelINS0_14default_configENS1_25partition_config_selectorILNS1_17partition_subalgoE6EyNS0_10empty_typeEbEEZZNS1_14partition_implILS5_6ELb0ES3_mN6thrust23THRUST_200600_302600_NS6detail15normal_iteratorINSA_10device_ptrIyEEEEPS6_SG_NS0_5tupleIJSF_S6_EEENSH_IJSG_SG_EEES6_PlJNSB_9not_fun_tINSB_10functional5actorINSM_9compositeIJNSM_27transparent_binary_operatorINSA_8equal_toIvEEEENSN_INSM_8argumentILj0EEEEENSM_5valueIyEEEEEEEEEEEE10hipError_tPvRmT3_T4_T5_T6_T7_T9_mT8_P12ihipStream_tbDpT10_ENKUlT_T0_E_clISt17integral_constantIbLb0EES1J_IbLb1EEEEDaS1F_S1G_EUlS1F_E_NS1_11comp_targetILNS1_3genE8ELNS1_11target_archE1030ELNS1_3gpuE2ELNS1_3repE0EEENS1_30default_config_static_selectorELNS0_4arch9wavefront6targetE0EEEvT1_,comdat
	.protected	_ZN7rocprim17ROCPRIM_400000_NS6detail17trampoline_kernelINS0_14default_configENS1_25partition_config_selectorILNS1_17partition_subalgoE6EyNS0_10empty_typeEbEEZZNS1_14partition_implILS5_6ELb0ES3_mN6thrust23THRUST_200600_302600_NS6detail15normal_iteratorINSA_10device_ptrIyEEEEPS6_SG_NS0_5tupleIJSF_S6_EEENSH_IJSG_SG_EEES6_PlJNSB_9not_fun_tINSB_10functional5actorINSM_9compositeIJNSM_27transparent_binary_operatorINSA_8equal_toIvEEEENSN_INSM_8argumentILj0EEEEENSM_5valueIyEEEEEEEEEEEE10hipError_tPvRmT3_T4_T5_T6_T7_T9_mT8_P12ihipStream_tbDpT10_ENKUlT_T0_E_clISt17integral_constantIbLb0EES1J_IbLb1EEEEDaS1F_S1G_EUlS1F_E_NS1_11comp_targetILNS1_3genE8ELNS1_11target_archE1030ELNS1_3gpuE2ELNS1_3repE0EEENS1_30default_config_static_selectorELNS0_4arch9wavefront6targetE0EEEvT1_ ; -- Begin function _ZN7rocprim17ROCPRIM_400000_NS6detail17trampoline_kernelINS0_14default_configENS1_25partition_config_selectorILNS1_17partition_subalgoE6EyNS0_10empty_typeEbEEZZNS1_14partition_implILS5_6ELb0ES3_mN6thrust23THRUST_200600_302600_NS6detail15normal_iteratorINSA_10device_ptrIyEEEEPS6_SG_NS0_5tupleIJSF_S6_EEENSH_IJSG_SG_EEES6_PlJNSB_9not_fun_tINSB_10functional5actorINSM_9compositeIJNSM_27transparent_binary_operatorINSA_8equal_toIvEEEENSN_INSM_8argumentILj0EEEEENSM_5valueIyEEEEEEEEEEEE10hipError_tPvRmT3_T4_T5_T6_T7_T9_mT8_P12ihipStream_tbDpT10_ENKUlT_T0_E_clISt17integral_constantIbLb0EES1J_IbLb1EEEEDaS1F_S1G_EUlS1F_E_NS1_11comp_targetILNS1_3genE8ELNS1_11target_archE1030ELNS1_3gpuE2ELNS1_3repE0EEENS1_30default_config_static_selectorELNS0_4arch9wavefront6targetE0EEEvT1_
	.globl	_ZN7rocprim17ROCPRIM_400000_NS6detail17trampoline_kernelINS0_14default_configENS1_25partition_config_selectorILNS1_17partition_subalgoE6EyNS0_10empty_typeEbEEZZNS1_14partition_implILS5_6ELb0ES3_mN6thrust23THRUST_200600_302600_NS6detail15normal_iteratorINSA_10device_ptrIyEEEEPS6_SG_NS0_5tupleIJSF_S6_EEENSH_IJSG_SG_EEES6_PlJNSB_9not_fun_tINSB_10functional5actorINSM_9compositeIJNSM_27transparent_binary_operatorINSA_8equal_toIvEEEENSN_INSM_8argumentILj0EEEEENSM_5valueIyEEEEEEEEEEEE10hipError_tPvRmT3_T4_T5_T6_T7_T9_mT8_P12ihipStream_tbDpT10_ENKUlT_T0_E_clISt17integral_constantIbLb0EES1J_IbLb1EEEEDaS1F_S1G_EUlS1F_E_NS1_11comp_targetILNS1_3genE8ELNS1_11target_archE1030ELNS1_3gpuE2ELNS1_3repE0EEENS1_30default_config_static_selectorELNS0_4arch9wavefront6targetE0EEEvT1_
	.p2align	8
	.type	_ZN7rocprim17ROCPRIM_400000_NS6detail17trampoline_kernelINS0_14default_configENS1_25partition_config_selectorILNS1_17partition_subalgoE6EyNS0_10empty_typeEbEEZZNS1_14partition_implILS5_6ELb0ES3_mN6thrust23THRUST_200600_302600_NS6detail15normal_iteratorINSA_10device_ptrIyEEEEPS6_SG_NS0_5tupleIJSF_S6_EEENSH_IJSG_SG_EEES6_PlJNSB_9not_fun_tINSB_10functional5actorINSM_9compositeIJNSM_27transparent_binary_operatorINSA_8equal_toIvEEEENSN_INSM_8argumentILj0EEEEENSM_5valueIyEEEEEEEEEEEE10hipError_tPvRmT3_T4_T5_T6_T7_T9_mT8_P12ihipStream_tbDpT10_ENKUlT_T0_E_clISt17integral_constantIbLb0EES1J_IbLb1EEEEDaS1F_S1G_EUlS1F_E_NS1_11comp_targetILNS1_3genE8ELNS1_11target_archE1030ELNS1_3gpuE2ELNS1_3repE0EEENS1_30default_config_static_selectorELNS0_4arch9wavefront6targetE0EEEvT1_,@function
_ZN7rocprim17ROCPRIM_400000_NS6detail17trampoline_kernelINS0_14default_configENS1_25partition_config_selectorILNS1_17partition_subalgoE6EyNS0_10empty_typeEbEEZZNS1_14partition_implILS5_6ELb0ES3_mN6thrust23THRUST_200600_302600_NS6detail15normal_iteratorINSA_10device_ptrIyEEEEPS6_SG_NS0_5tupleIJSF_S6_EEENSH_IJSG_SG_EEES6_PlJNSB_9not_fun_tINSB_10functional5actorINSM_9compositeIJNSM_27transparent_binary_operatorINSA_8equal_toIvEEEENSN_INSM_8argumentILj0EEEEENSM_5valueIyEEEEEEEEEEEE10hipError_tPvRmT3_T4_T5_T6_T7_T9_mT8_P12ihipStream_tbDpT10_ENKUlT_T0_E_clISt17integral_constantIbLb0EES1J_IbLb1EEEEDaS1F_S1G_EUlS1F_E_NS1_11comp_targetILNS1_3genE8ELNS1_11target_archE1030ELNS1_3gpuE2ELNS1_3repE0EEENS1_30default_config_static_selectorELNS0_4arch9wavefront6targetE0EEEvT1_: ; @_ZN7rocprim17ROCPRIM_400000_NS6detail17trampoline_kernelINS0_14default_configENS1_25partition_config_selectorILNS1_17partition_subalgoE6EyNS0_10empty_typeEbEEZZNS1_14partition_implILS5_6ELb0ES3_mN6thrust23THRUST_200600_302600_NS6detail15normal_iteratorINSA_10device_ptrIyEEEEPS6_SG_NS0_5tupleIJSF_S6_EEENSH_IJSG_SG_EEES6_PlJNSB_9not_fun_tINSB_10functional5actorINSM_9compositeIJNSM_27transparent_binary_operatorINSA_8equal_toIvEEEENSN_INSM_8argumentILj0EEEEENSM_5valueIyEEEEEEEEEEEE10hipError_tPvRmT3_T4_T5_T6_T7_T9_mT8_P12ihipStream_tbDpT10_ENKUlT_T0_E_clISt17integral_constantIbLb0EES1J_IbLb1EEEEDaS1F_S1G_EUlS1F_E_NS1_11comp_targetILNS1_3genE8ELNS1_11target_archE1030ELNS1_3gpuE2ELNS1_3repE0EEENS1_30default_config_static_selectorELNS0_4arch9wavefront6targetE0EEEvT1_
; %bb.0:
	.section	.rodata,"a",@progbits
	.p2align	6, 0x0
	.amdhsa_kernel _ZN7rocprim17ROCPRIM_400000_NS6detail17trampoline_kernelINS0_14default_configENS1_25partition_config_selectorILNS1_17partition_subalgoE6EyNS0_10empty_typeEbEEZZNS1_14partition_implILS5_6ELb0ES3_mN6thrust23THRUST_200600_302600_NS6detail15normal_iteratorINSA_10device_ptrIyEEEEPS6_SG_NS0_5tupleIJSF_S6_EEENSH_IJSG_SG_EEES6_PlJNSB_9not_fun_tINSB_10functional5actorINSM_9compositeIJNSM_27transparent_binary_operatorINSA_8equal_toIvEEEENSN_INSM_8argumentILj0EEEEENSM_5valueIyEEEEEEEEEEEE10hipError_tPvRmT3_T4_T5_T6_T7_T9_mT8_P12ihipStream_tbDpT10_ENKUlT_T0_E_clISt17integral_constantIbLb0EES1J_IbLb1EEEEDaS1F_S1G_EUlS1F_E_NS1_11comp_targetILNS1_3genE8ELNS1_11target_archE1030ELNS1_3gpuE2ELNS1_3repE0EEENS1_30default_config_static_selectorELNS0_4arch9wavefront6targetE0EEEvT1_
		.amdhsa_group_segment_fixed_size 0
		.amdhsa_private_segment_fixed_size 0
		.amdhsa_kernarg_size 136
		.amdhsa_user_sgpr_count 2
		.amdhsa_user_sgpr_dispatch_ptr 0
		.amdhsa_user_sgpr_queue_ptr 0
		.amdhsa_user_sgpr_kernarg_segment_ptr 1
		.amdhsa_user_sgpr_dispatch_id 0
		.amdhsa_user_sgpr_private_segment_size 0
		.amdhsa_wavefront_size32 1
		.amdhsa_uses_dynamic_stack 0
		.amdhsa_enable_private_segment 0
		.amdhsa_system_sgpr_workgroup_id_x 1
		.amdhsa_system_sgpr_workgroup_id_y 0
		.amdhsa_system_sgpr_workgroup_id_z 0
		.amdhsa_system_sgpr_workgroup_info 0
		.amdhsa_system_vgpr_workitem_id 0
		.amdhsa_next_free_vgpr 1
		.amdhsa_next_free_sgpr 1
		.amdhsa_reserve_vcc 0
		.amdhsa_float_round_mode_32 0
		.amdhsa_float_round_mode_16_64 0
		.amdhsa_float_denorm_mode_32 3
		.amdhsa_float_denorm_mode_16_64 3
		.amdhsa_fp16_overflow 0
		.amdhsa_workgroup_processor_mode 1
		.amdhsa_memory_ordered 1
		.amdhsa_forward_progress 1
		.amdhsa_inst_pref_size 0
		.amdhsa_round_robin_scheduling 0
		.amdhsa_exception_fp_ieee_invalid_op 0
		.amdhsa_exception_fp_denorm_src 0
		.amdhsa_exception_fp_ieee_div_zero 0
		.amdhsa_exception_fp_ieee_overflow 0
		.amdhsa_exception_fp_ieee_underflow 0
		.amdhsa_exception_fp_ieee_inexact 0
		.amdhsa_exception_int_div_zero 0
	.end_amdhsa_kernel
	.section	.text._ZN7rocprim17ROCPRIM_400000_NS6detail17trampoline_kernelINS0_14default_configENS1_25partition_config_selectorILNS1_17partition_subalgoE6EyNS0_10empty_typeEbEEZZNS1_14partition_implILS5_6ELb0ES3_mN6thrust23THRUST_200600_302600_NS6detail15normal_iteratorINSA_10device_ptrIyEEEEPS6_SG_NS0_5tupleIJSF_S6_EEENSH_IJSG_SG_EEES6_PlJNSB_9not_fun_tINSB_10functional5actorINSM_9compositeIJNSM_27transparent_binary_operatorINSA_8equal_toIvEEEENSN_INSM_8argumentILj0EEEEENSM_5valueIyEEEEEEEEEEEE10hipError_tPvRmT3_T4_T5_T6_T7_T9_mT8_P12ihipStream_tbDpT10_ENKUlT_T0_E_clISt17integral_constantIbLb0EES1J_IbLb1EEEEDaS1F_S1G_EUlS1F_E_NS1_11comp_targetILNS1_3genE8ELNS1_11target_archE1030ELNS1_3gpuE2ELNS1_3repE0EEENS1_30default_config_static_selectorELNS0_4arch9wavefront6targetE0EEEvT1_,"axG",@progbits,_ZN7rocprim17ROCPRIM_400000_NS6detail17trampoline_kernelINS0_14default_configENS1_25partition_config_selectorILNS1_17partition_subalgoE6EyNS0_10empty_typeEbEEZZNS1_14partition_implILS5_6ELb0ES3_mN6thrust23THRUST_200600_302600_NS6detail15normal_iteratorINSA_10device_ptrIyEEEEPS6_SG_NS0_5tupleIJSF_S6_EEENSH_IJSG_SG_EEES6_PlJNSB_9not_fun_tINSB_10functional5actorINSM_9compositeIJNSM_27transparent_binary_operatorINSA_8equal_toIvEEEENSN_INSM_8argumentILj0EEEEENSM_5valueIyEEEEEEEEEEEE10hipError_tPvRmT3_T4_T5_T6_T7_T9_mT8_P12ihipStream_tbDpT10_ENKUlT_T0_E_clISt17integral_constantIbLb0EES1J_IbLb1EEEEDaS1F_S1G_EUlS1F_E_NS1_11comp_targetILNS1_3genE8ELNS1_11target_archE1030ELNS1_3gpuE2ELNS1_3repE0EEENS1_30default_config_static_selectorELNS0_4arch9wavefront6targetE0EEEvT1_,comdat
.Lfunc_end111:
	.size	_ZN7rocprim17ROCPRIM_400000_NS6detail17trampoline_kernelINS0_14default_configENS1_25partition_config_selectorILNS1_17partition_subalgoE6EyNS0_10empty_typeEbEEZZNS1_14partition_implILS5_6ELb0ES3_mN6thrust23THRUST_200600_302600_NS6detail15normal_iteratorINSA_10device_ptrIyEEEEPS6_SG_NS0_5tupleIJSF_S6_EEENSH_IJSG_SG_EEES6_PlJNSB_9not_fun_tINSB_10functional5actorINSM_9compositeIJNSM_27transparent_binary_operatorINSA_8equal_toIvEEEENSN_INSM_8argumentILj0EEEEENSM_5valueIyEEEEEEEEEEEE10hipError_tPvRmT3_T4_T5_T6_T7_T9_mT8_P12ihipStream_tbDpT10_ENKUlT_T0_E_clISt17integral_constantIbLb0EES1J_IbLb1EEEEDaS1F_S1G_EUlS1F_E_NS1_11comp_targetILNS1_3genE8ELNS1_11target_archE1030ELNS1_3gpuE2ELNS1_3repE0EEENS1_30default_config_static_selectorELNS0_4arch9wavefront6targetE0EEEvT1_, .Lfunc_end111-_ZN7rocprim17ROCPRIM_400000_NS6detail17trampoline_kernelINS0_14default_configENS1_25partition_config_selectorILNS1_17partition_subalgoE6EyNS0_10empty_typeEbEEZZNS1_14partition_implILS5_6ELb0ES3_mN6thrust23THRUST_200600_302600_NS6detail15normal_iteratorINSA_10device_ptrIyEEEEPS6_SG_NS0_5tupleIJSF_S6_EEENSH_IJSG_SG_EEES6_PlJNSB_9not_fun_tINSB_10functional5actorINSM_9compositeIJNSM_27transparent_binary_operatorINSA_8equal_toIvEEEENSN_INSM_8argumentILj0EEEEENSM_5valueIyEEEEEEEEEEEE10hipError_tPvRmT3_T4_T5_T6_T7_T9_mT8_P12ihipStream_tbDpT10_ENKUlT_T0_E_clISt17integral_constantIbLb0EES1J_IbLb1EEEEDaS1F_S1G_EUlS1F_E_NS1_11comp_targetILNS1_3genE8ELNS1_11target_archE1030ELNS1_3gpuE2ELNS1_3repE0EEENS1_30default_config_static_selectorELNS0_4arch9wavefront6targetE0EEEvT1_
                                        ; -- End function
	.set _ZN7rocprim17ROCPRIM_400000_NS6detail17trampoline_kernelINS0_14default_configENS1_25partition_config_selectorILNS1_17partition_subalgoE6EyNS0_10empty_typeEbEEZZNS1_14partition_implILS5_6ELb0ES3_mN6thrust23THRUST_200600_302600_NS6detail15normal_iteratorINSA_10device_ptrIyEEEEPS6_SG_NS0_5tupleIJSF_S6_EEENSH_IJSG_SG_EEES6_PlJNSB_9not_fun_tINSB_10functional5actorINSM_9compositeIJNSM_27transparent_binary_operatorINSA_8equal_toIvEEEENSN_INSM_8argumentILj0EEEEENSM_5valueIyEEEEEEEEEEEE10hipError_tPvRmT3_T4_T5_T6_T7_T9_mT8_P12ihipStream_tbDpT10_ENKUlT_T0_E_clISt17integral_constantIbLb0EES1J_IbLb1EEEEDaS1F_S1G_EUlS1F_E_NS1_11comp_targetILNS1_3genE8ELNS1_11target_archE1030ELNS1_3gpuE2ELNS1_3repE0EEENS1_30default_config_static_selectorELNS0_4arch9wavefront6targetE0EEEvT1_.num_vgpr, 0
	.set _ZN7rocprim17ROCPRIM_400000_NS6detail17trampoline_kernelINS0_14default_configENS1_25partition_config_selectorILNS1_17partition_subalgoE6EyNS0_10empty_typeEbEEZZNS1_14partition_implILS5_6ELb0ES3_mN6thrust23THRUST_200600_302600_NS6detail15normal_iteratorINSA_10device_ptrIyEEEEPS6_SG_NS0_5tupleIJSF_S6_EEENSH_IJSG_SG_EEES6_PlJNSB_9not_fun_tINSB_10functional5actorINSM_9compositeIJNSM_27transparent_binary_operatorINSA_8equal_toIvEEEENSN_INSM_8argumentILj0EEEEENSM_5valueIyEEEEEEEEEEEE10hipError_tPvRmT3_T4_T5_T6_T7_T9_mT8_P12ihipStream_tbDpT10_ENKUlT_T0_E_clISt17integral_constantIbLb0EES1J_IbLb1EEEEDaS1F_S1G_EUlS1F_E_NS1_11comp_targetILNS1_3genE8ELNS1_11target_archE1030ELNS1_3gpuE2ELNS1_3repE0EEENS1_30default_config_static_selectorELNS0_4arch9wavefront6targetE0EEEvT1_.num_agpr, 0
	.set _ZN7rocprim17ROCPRIM_400000_NS6detail17trampoline_kernelINS0_14default_configENS1_25partition_config_selectorILNS1_17partition_subalgoE6EyNS0_10empty_typeEbEEZZNS1_14partition_implILS5_6ELb0ES3_mN6thrust23THRUST_200600_302600_NS6detail15normal_iteratorINSA_10device_ptrIyEEEEPS6_SG_NS0_5tupleIJSF_S6_EEENSH_IJSG_SG_EEES6_PlJNSB_9not_fun_tINSB_10functional5actorINSM_9compositeIJNSM_27transparent_binary_operatorINSA_8equal_toIvEEEENSN_INSM_8argumentILj0EEEEENSM_5valueIyEEEEEEEEEEEE10hipError_tPvRmT3_T4_T5_T6_T7_T9_mT8_P12ihipStream_tbDpT10_ENKUlT_T0_E_clISt17integral_constantIbLb0EES1J_IbLb1EEEEDaS1F_S1G_EUlS1F_E_NS1_11comp_targetILNS1_3genE8ELNS1_11target_archE1030ELNS1_3gpuE2ELNS1_3repE0EEENS1_30default_config_static_selectorELNS0_4arch9wavefront6targetE0EEEvT1_.numbered_sgpr, 0
	.set _ZN7rocprim17ROCPRIM_400000_NS6detail17trampoline_kernelINS0_14default_configENS1_25partition_config_selectorILNS1_17partition_subalgoE6EyNS0_10empty_typeEbEEZZNS1_14partition_implILS5_6ELb0ES3_mN6thrust23THRUST_200600_302600_NS6detail15normal_iteratorINSA_10device_ptrIyEEEEPS6_SG_NS0_5tupleIJSF_S6_EEENSH_IJSG_SG_EEES6_PlJNSB_9not_fun_tINSB_10functional5actorINSM_9compositeIJNSM_27transparent_binary_operatorINSA_8equal_toIvEEEENSN_INSM_8argumentILj0EEEEENSM_5valueIyEEEEEEEEEEEE10hipError_tPvRmT3_T4_T5_T6_T7_T9_mT8_P12ihipStream_tbDpT10_ENKUlT_T0_E_clISt17integral_constantIbLb0EES1J_IbLb1EEEEDaS1F_S1G_EUlS1F_E_NS1_11comp_targetILNS1_3genE8ELNS1_11target_archE1030ELNS1_3gpuE2ELNS1_3repE0EEENS1_30default_config_static_selectorELNS0_4arch9wavefront6targetE0EEEvT1_.num_named_barrier, 0
	.set _ZN7rocprim17ROCPRIM_400000_NS6detail17trampoline_kernelINS0_14default_configENS1_25partition_config_selectorILNS1_17partition_subalgoE6EyNS0_10empty_typeEbEEZZNS1_14partition_implILS5_6ELb0ES3_mN6thrust23THRUST_200600_302600_NS6detail15normal_iteratorINSA_10device_ptrIyEEEEPS6_SG_NS0_5tupleIJSF_S6_EEENSH_IJSG_SG_EEES6_PlJNSB_9not_fun_tINSB_10functional5actorINSM_9compositeIJNSM_27transparent_binary_operatorINSA_8equal_toIvEEEENSN_INSM_8argumentILj0EEEEENSM_5valueIyEEEEEEEEEEEE10hipError_tPvRmT3_T4_T5_T6_T7_T9_mT8_P12ihipStream_tbDpT10_ENKUlT_T0_E_clISt17integral_constantIbLb0EES1J_IbLb1EEEEDaS1F_S1G_EUlS1F_E_NS1_11comp_targetILNS1_3genE8ELNS1_11target_archE1030ELNS1_3gpuE2ELNS1_3repE0EEENS1_30default_config_static_selectorELNS0_4arch9wavefront6targetE0EEEvT1_.private_seg_size, 0
	.set _ZN7rocprim17ROCPRIM_400000_NS6detail17trampoline_kernelINS0_14default_configENS1_25partition_config_selectorILNS1_17partition_subalgoE6EyNS0_10empty_typeEbEEZZNS1_14partition_implILS5_6ELb0ES3_mN6thrust23THRUST_200600_302600_NS6detail15normal_iteratorINSA_10device_ptrIyEEEEPS6_SG_NS0_5tupleIJSF_S6_EEENSH_IJSG_SG_EEES6_PlJNSB_9not_fun_tINSB_10functional5actorINSM_9compositeIJNSM_27transparent_binary_operatorINSA_8equal_toIvEEEENSN_INSM_8argumentILj0EEEEENSM_5valueIyEEEEEEEEEEEE10hipError_tPvRmT3_T4_T5_T6_T7_T9_mT8_P12ihipStream_tbDpT10_ENKUlT_T0_E_clISt17integral_constantIbLb0EES1J_IbLb1EEEEDaS1F_S1G_EUlS1F_E_NS1_11comp_targetILNS1_3genE8ELNS1_11target_archE1030ELNS1_3gpuE2ELNS1_3repE0EEENS1_30default_config_static_selectorELNS0_4arch9wavefront6targetE0EEEvT1_.uses_vcc, 0
	.set _ZN7rocprim17ROCPRIM_400000_NS6detail17trampoline_kernelINS0_14default_configENS1_25partition_config_selectorILNS1_17partition_subalgoE6EyNS0_10empty_typeEbEEZZNS1_14partition_implILS5_6ELb0ES3_mN6thrust23THRUST_200600_302600_NS6detail15normal_iteratorINSA_10device_ptrIyEEEEPS6_SG_NS0_5tupleIJSF_S6_EEENSH_IJSG_SG_EEES6_PlJNSB_9not_fun_tINSB_10functional5actorINSM_9compositeIJNSM_27transparent_binary_operatorINSA_8equal_toIvEEEENSN_INSM_8argumentILj0EEEEENSM_5valueIyEEEEEEEEEEEE10hipError_tPvRmT3_T4_T5_T6_T7_T9_mT8_P12ihipStream_tbDpT10_ENKUlT_T0_E_clISt17integral_constantIbLb0EES1J_IbLb1EEEEDaS1F_S1G_EUlS1F_E_NS1_11comp_targetILNS1_3genE8ELNS1_11target_archE1030ELNS1_3gpuE2ELNS1_3repE0EEENS1_30default_config_static_selectorELNS0_4arch9wavefront6targetE0EEEvT1_.uses_flat_scratch, 0
	.set _ZN7rocprim17ROCPRIM_400000_NS6detail17trampoline_kernelINS0_14default_configENS1_25partition_config_selectorILNS1_17partition_subalgoE6EyNS0_10empty_typeEbEEZZNS1_14partition_implILS5_6ELb0ES3_mN6thrust23THRUST_200600_302600_NS6detail15normal_iteratorINSA_10device_ptrIyEEEEPS6_SG_NS0_5tupleIJSF_S6_EEENSH_IJSG_SG_EEES6_PlJNSB_9not_fun_tINSB_10functional5actorINSM_9compositeIJNSM_27transparent_binary_operatorINSA_8equal_toIvEEEENSN_INSM_8argumentILj0EEEEENSM_5valueIyEEEEEEEEEEEE10hipError_tPvRmT3_T4_T5_T6_T7_T9_mT8_P12ihipStream_tbDpT10_ENKUlT_T0_E_clISt17integral_constantIbLb0EES1J_IbLb1EEEEDaS1F_S1G_EUlS1F_E_NS1_11comp_targetILNS1_3genE8ELNS1_11target_archE1030ELNS1_3gpuE2ELNS1_3repE0EEENS1_30default_config_static_selectorELNS0_4arch9wavefront6targetE0EEEvT1_.has_dyn_sized_stack, 0
	.set _ZN7rocprim17ROCPRIM_400000_NS6detail17trampoline_kernelINS0_14default_configENS1_25partition_config_selectorILNS1_17partition_subalgoE6EyNS0_10empty_typeEbEEZZNS1_14partition_implILS5_6ELb0ES3_mN6thrust23THRUST_200600_302600_NS6detail15normal_iteratorINSA_10device_ptrIyEEEEPS6_SG_NS0_5tupleIJSF_S6_EEENSH_IJSG_SG_EEES6_PlJNSB_9not_fun_tINSB_10functional5actorINSM_9compositeIJNSM_27transparent_binary_operatorINSA_8equal_toIvEEEENSN_INSM_8argumentILj0EEEEENSM_5valueIyEEEEEEEEEEEE10hipError_tPvRmT3_T4_T5_T6_T7_T9_mT8_P12ihipStream_tbDpT10_ENKUlT_T0_E_clISt17integral_constantIbLb0EES1J_IbLb1EEEEDaS1F_S1G_EUlS1F_E_NS1_11comp_targetILNS1_3genE8ELNS1_11target_archE1030ELNS1_3gpuE2ELNS1_3repE0EEENS1_30default_config_static_selectorELNS0_4arch9wavefront6targetE0EEEvT1_.has_recursion, 0
	.set _ZN7rocprim17ROCPRIM_400000_NS6detail17trampoline_kernelINS0_14default_configENS1_25partition_config_selectorILNS1_17partition_subalgoE6EyNS0_10empty_typeEbEEZZNS1_14partition_implILS5_6ELb0ES3_mN6thrust23THRUST_200600_302600_NS6detail15normal_iteratorINSA_10device_ptrIyEEEEPS6_SG_NS0_5tupleIJSF_S6_EEENSH_IJSG_SG_EEES6_PlJNSB_9not_fun_tINSB_10functional5actorINSM_9compositeIJNSM_27transparent_binary_operatorINSA_8equal_toIvEEEENSN_INSM_8argumentILj0EEEEENSM_5valueIyEEEEEEEEEEEE10hipError_tPvRmT3_T4_T5_T6_T7_T9_mT8_P12ihipStream_tbDpT10_ENKUlT_T0_E_clISt17integral_constantIbLb0EES1J_IbLb1EEEEDaS1F_S1G_EUlS1F_E_NS1_11comp_targetILNS1_3genE8ELNS1_11target_archE1030ELNS1_3gpuE2ELNS1_3repE0EEENS1_30default_config_static_selectorELNS0_4arch9wavefront6targetE0EEEvT1_.has_indirect_call, 0
	.section	.AMDGPU.csdata,"",@progbits
; Kernel info:
; codeLenInByte = 0
; TotalNumSgprs: 0
; NumVgprs: 0
; ScratchSize: 0
; MemoryBound: 0
; FloatMode: 240
; IeeeMode: 1
; LDSByteSize: 0 bytes/workgroup (compile time only)
; SGPRBlocks: 0
; VGPRBlocks: 0
; NumSGPRsForWavesPerEU: 1
; NumVGPRsForWavesPerEU: 1
; Occupancy: 16
; WaveLimiterHint : 0
; COMPUTE_PGM_RSRC2:SCRATCH_EN: 0
; COMPUTE_PGM_RSRC2:USER_SGPR: 2
; COMPUTE_PGM_RSRC2:TRAP_HANDLER: 0
; COMPUTE_PGM_RSRC2:TGID_X_EN: 1
; COMPUTE_PGM_RSRC2:TGID_Y_EN: 0
; COMPUTE_PGM_RSRC2:TGID_Z_EN: 0
; COMPUTE_PGM_RSRC2:TIDIG_COMP_CNT: 0
	.section	.text._ZN6thrust23THRUST_200600_302600_NS11hip_rocprim14__parallel_for6kernelILj256ENS1_20__uninitialized_fill7functorINS0_10device_ptrIjEEjEEmLj1EEEvT0_T1_SA_,"axG",@progbits,_ZN6thrust23THRUST_200600_302600_NS11hip_rocprim14__parallel_for6kernelILj256ENS1_20__uninitialized_fill7functorINS0_10device_ptrIjEEjEEmLj1EEEvT0_T1_SA_,comdat
	.protected	_ZN6thrust23THRUST_200600_302600_NS11hip_rocprim14__parallel_for6kernelILj256ENS1_20__uninitialized_fill7functorINS0_10device_ptrIjEEjEEmLj1EEEvT0_T1_SA_ ; -- Begin function _ZN6thrust23THRUST_200600_302600_NS11hip_rocprim14__parallel_for6kernelILj256ENS1_20__uninitialized_fill7functorINS0_10device_ptrIjEEjEEmLj1EEEvT0_T1_SA_
	.globl	_ZN6thrust23THRUST_200600_302600_NS11hip_rocprim14__parallel_for6kernelILj256ENS1_20__uninitialized_fill7functorINS0_10device_ptrIjEEjEEmLj1EEEvT0_T1_SA_
	.p2align	8
	.type	_ZN6thrust23THRUST_200600_302600_NS11hip_rocprim14__parallel_for6kernelILj256ENS1_20__uninitialized_fill7functorINS0_10device_ptrIjEEjEEmLj1EEEvT0_T1_SA_,@function
_ZN6thrust23THRUST_200600_302600_NS11hip_rocprim14__parallel_for6kernelILj256ENS1_20__uninitialized_fill7functorINS0_10device_ptrIjEEjEEmLj1EEEvT0_T1_SA_: ; @_ZN6thrust23THRUST_200600_302600_NS11hip_rocprim14__parallel_for6kernelILj256ENS1_20__uninitialized_fill7functorINS0_10device_ptrIjEEjEEmLj1EEEvT0_T1_SA_
; %bb.0:
	s_clause 0x1
	s_load_b128 s[8:11], s[0:1], 0x10
	s_load_b96 s[0:2], s[0:1], 0x0
	s_lshl_b32 s4, ttmp9, 8
	s_mov_b32 s5, 0
	s_wait_kmcnt 0x0
	s_add_nc_u64 s[4:5], s[10:11], s[4:5]
	s_delay_alu instid0(SALU_CYCLE_1) | instskip(NEXT) | instid1(SALU_CYCLE_1)
	s_sub_nc_u64 s[6:7], s[8:9], s[4:5]
	v_cmp_lt_u64_e64 s3, 0xff, s[6:7]
	s_and_b32 vcc_lo, exec_lo, s3
	s_mov_b32 s3, -1
	s_cbranch_vccz .LBB112_3
; %bb.1:
	s_and_not1_b32 vcc_lo, exec_lo, s3
	s_cbranch_vccz .LBB112_6
.LBB112_2:
	s_endpgm
.LBB112_3:
	s_mov_b32 s3, exec_lo
	v_cmpx_gt_u32_e64 s6, v0
	s_cbranch_execz .LBB112_5
; %bb.4:
	v_lshlrev_b32_e32 v1, 2, v0
	s_lshl_b64 s[6:7], s[4:5], 2
	v_mov_b32_e32 v3, s2
	s_wait_alu 0xfffe
	s_add_nc_u64 s[6:7], s[0:1], s[6:7]
	s_wait_alu 0xfffe
	v_add_co_u32 v1, s6, s6, v1
	s_wait_alu 0xf1ff
	v_add_co_ci_u32_e64 v2, null, s7, 0, s6
	flat_store_b32 v[1:2], v3
.LBB112_5:
	s_or_b32 exec_lo, exec_lo, s3
	s_cbranch_execnz .LBB112_2
.LBB112_6:
	v_lshlrev_b32_e32 v0, 2, v0
	s_lshl_b64 s[4:5], s[4:5], 2
	v_mov_b32_e32 v2, s2
	s_add_nc_u64 s[0:1], s[0:1], s[4:5]
	s_delay_alu instid0(VALU_DEP_2) | instid1(SALU_CYCLE_1)
	v_add_co_u32 v0, s0, s0, v0
	s_wait_alu 0xf1ff
	v_add_co_ci_u32_e64 v1, null, s1, 0, s0
	flat_store_b32 v[0:1], v2
	s_endpgm
	.section	.rodata,"a",@progbits
	.p2align	6, 0x0
	.amdhsa_kernel _ZN6thrust23THRUST_200600_302600_NS11hip_rocprim14__parallel_for6kernelILj256ENS1_20__uninitialized_fill7functorINS0_10device_ptrIjEEjEEmLj1EEEvT0_T1_SA_
		.amdhsa_group_segment_fixed_size 0
		.amdhsa_private_segment_fixed_size 0
		.amdhsa_kernarg_size 32
		.amdhsa_user_sgpr_count 2
		.amdhsa_user_sgpr_dispatch_ptr 0
		.amdhsa_user_sgpr_queue_ptr 0
		.amdhsa_user_sgpr_kernarg_segment_ptr 1
		.amdhsa_user_sgpr_dispatch_id 0
		.amdhsa_user_sgpr_private_segment_size 0
		.amdhsa_wavefront_size32 1
		.amdhsa_uses_dynamic_stack 0
		.amdhsa_enable_private_segment 0
		.amdhsa_system_sgpr_workgroup_id_x 1
		.amdhsa_system_sgpr_workgroup_id_y 0
		.amdhsa_system_sgpr_workgroup_id_z 0
		.amdhsa_system_sgpr_workgroup_info 0
		.amdhsa_system_vgpr_workitem_id 0
		.amdhsa_next_free_vgpr 4
		.amdhsa_next_free_sgpr 12
		.amdhsa_reserve_vcc 1
		.amdhsa_float_round_mode_32 0
		.amdhsa_float_round_mode_16_64 0
		.amdhsa_float_denorm_mode_32 3
		.amdhsa_float_denorm_mode_16_64 3
		.amdhsa_fp16_overflow 0
		.amdhsa_workgroup_processor_mode 1
		.amdhsa_memory_ordered 1
		.amdhsa_forward_progress 1
		.amdhsa_inst_pref_size 2
		.amdhsa_round_robin_scheduling 0
		.amdhsa_exception_fp_ieee_invalid_op 0
		.amdhsa_exception_fp_denorm_src 0
		.amdhsa_exception_fp_ieee_div_zero 0
		.amdhsa_exception_fp_ieee_overflow 0
		.amdhsa_exception_fp_ieee_underflow 0
		.amdhsa_exception_fp_ieee_inexact 0
		.amdhsa_exception_int_div_zero 0
	.end_amdhsa_kernel
	.section	.text._ZN6thrust23THRUST_200600_302600_NS11hip_rocprim14__parallel_for6kernelILj256ENS1_20__uninitialized_fill7functorINS0_10device_ptrIjEEjEEmLj1EEEvT0_T1_SA_,"axG",@progbits,_ZN6thrust23THRUST_200600_302600_NS11hip_rocprim14__parallel_for6kernelILj256ENS1_20__uninitialized_fill7functorINS0_10device_ptrIjEEjEEmLj1EEEvT0_T1_SA_,comdat
.Lfunc_end112:
	.size	_ZN6thrust23THRUST_200600_302600_NS11hip_rocprim14__parallel_for6kernelILj256ENS1_20__uninitialized_fill7functorINS0_10device_ptrIjEEjEEmLj1EEEvT0_T1_SA_, .Lfunc_end112-_ZN6thrust23THRUST_200600_302600_NS11hip_rocprim14__parallel_for6kernelILj256ENS1_20__uninitialized_fill7functorINS0_10device_ptrIjEEjEEmLj1EEEvT0_T1_SA_
                                        ; -- End function
	.set _ZN6thrust23THRUST_200600_302600_NS11hip_rocprim14__parallel_for6kernelILj256ENS1_20__uninitialized_fill7functorINS0_10device_ptrIjEEjEEmLj1EEEvT0_T1_SA_.num_vgpr, 4
	.set _ZN6thrust23THRUST_200600_302600_NS11hip_rocprim14__parallel_for6kernelILj256ENS1_20__uninitialized_fill7functorINS0_10device_ptrIjEEjEEmLj1EEEvT0_T1_SA_.num_agpr, 0
	.set _ZN6thrust23THRUST_200600_302600_NS11hip_rocprim14__parallel_for6kernelILj256ENS1_20__uninitialized_fill7functorINS0_10device_ptrIjEEjEEmLj1EEEvT0_T1_SA_.numbered_sgpr, 12
	.set _ZN6thrust23THRUST_200600_302600_NS11hip_rocprim14__parallel_for6kernelILj256ENS1_20__uninitialized_fill7functorINS0_10device_ptrIjEEjEEmLj1EEEvT0_T1_SA_.num_named_barrier, 0
	.set _ZN6thrust23THRUST_200600_302600_NS11hip_rocprim14__parallel_for6kernelILj256ENS1_20__uninitialized_fill7functorINS0_10device_ptrIjEEjEEmLj1EEEvT0_T1_SA_.private_seg_size, 0
	.set _ZN6thrust23THRUST_200600_302600_NS11hip_rocprim14__parallel_for6kernelILj256ENS1_20__uninitialized_fill7functorINS0_10device_ptrIjEEjEEmLj1EEEvT0_T1_SA_.uses_vcc, 1
	.set _ZN6thrust23THRUST_200600_302600_NS11hip_rocprim14__parallel_for6kernelILj256ENS1_20__uninitialized_fill7functorINS0_10device_ptrIjEEjEEmLj1EEEvT0_T1_SA_.uses_flat_scratch, 0
	.set _ZN6thrust23THRUST_200600_302600_NS11hip_rocprim14__parallel_for6kernelILj256ENS1_20__uninitialized_fill7functorINS0_10device_ptrIjEEjEEmLj1EEEvT0_T1_SA_.has_dyn_sized_stack, 0
	.set _ZN6thrust23THRUST_200600_302600_NS11hip_rocprim14__parallel_for6kernelILj256ENS1_20__uninitialized_fill7functorINS0_10device_ptrIjEEjEEmLj1EEEvT0_T1_SA_.has_recursion, 0
	.set _ZN6thrust23THRUST_200600_302600_NS11hip_rocprim14__parallel_for6kernelILj256ENS1_20__uninitialized_fill7functorINS0_10device_ptrIjEEjEEmLj1EEEvT0_T1_SA_.has_indirect_call, 0
	.section	.AMDGPU.csdata,"",@progbits
; Kernel info:
; codeLenInByte = 216
; TotalNumSgprs: 14
; NumVgprs: 4
; ScratchSize: 0
; MemoryBound: 0
; FloatMode: 240
; IeeeMode: 1
; LDSByteSize: 0 bytes/workgroup (compile time only)
; SGPRBlocks: 0
; VGPRBlocks: 0
; NumSGPRsForWavesPerEU: 14
; NumVGPRsForWavesPerEU: 4
; Occupancy: 16
; WaveLimiterHint : 0
; COMPUTE_PGM_RSRC2:SCRATCH_EN: 0
; COMPUTE_PGM_RSRC2:USER_SGPR: 2
; COMPUTE_PGM_RSRC2:TRAP_HANDLER: 0
; COMPUTE_PGM_RSRC2:TGID_X_EN: 1
; COMPUTE_PGM_RSRC2:TGID_Y_EN: 0
; COMPUTE_PGM_RSRC2:TGID_Z_EN: 0
; COMPUTE_PGM_RSRC2:TIDIG_COMP_CNT: 0
	.section	.text._ZN7rocprim17ROCPRIM_400000_NS6detail17trampoline_kernelINS0_14default_configENS1_25partition_config_selectorILNS1_17partition_subalgoE6EjNS0_10empty_typeEbEEZZNS1_14partition_implILS5_6ELb0ES3_mN6thrust23THRUST_200600_302600_NS6detail15normal_iteratorINSA_10device_ptrIjEEEEPS6_SG_NS0_5tupleIJSF_S6_EEENSH_IJSG_SG_EEES6_PlJNSB_9not_fun_tINSB_10functional5actorINSM_9compositeIJNSM_27transparent_binary_operatorINSA_8equal_toIvEEEENSN_INSM_8argumentILj0EEEEENSM_5valueIjEEEEEEEEEEEE10hipError_tPvRmT3_T4_T5_T6_T7_T9_mT8_P12ihipStream_tbDpT10_ENKUlT_T0_E_clISt17integral_constantIbLb0EES1K_EEDaS1F_S1G_EUlS1F_E_NS1_11comp_targetILNS1_3genE0ELNS1_11target_archE4294967295ELNS1_3gpuE0ELNS1_3repE0EEENS1_30default_config_static_selectorELNS0_4arch9wavefront6targetE0EEEvT1_,"axG",@progbits,_ZN7rocprim17ROCPRIM_400000_NS6detail17trampoline_kernelINS0_14default_configENS1_25partition_config_selectorILNS1_17partition_subalgoE6EjNS0_10empty_typeEbEEZZNS1_14partition_implILS5_6ELb0ES3_mN6thrust23THRUST_200600_302600_NS6detail15normal_iteratorINSA_10device_ptrIjEEEEPS6_SG_NS0_5tupleIJSF_S6_EEENSH_IJSG_SG_EEES6_PlJNSB_9not_fun_tINSB_10functional5actorINSM_9compositeIJNSM_27transparent_binary_operatorINSA_8equal_toIvEEEENSN_INSM_8argumentILj0EEEEENSM_5valueIjEEEEEEEEEEEE10hipError_tPvRmT3_T4_T5_T6_T7_T9_mT8_P12ihipStream_tbDpT10_ENKUlT_T0_E_clISt17integral_constantIbLb0EES1K_EEDaS1F_S1G_EUlS1F_E_NS1_11comp_targetILNS1_3genE0ELNS1_11target_archE4294967295ELNS1_3gpuE0ELNS1_3repE0EEENS1_30default_config_static_selectorELNS0_4arch9wavefront6targetE0EEEvT1_,comdat
	.protected	_ZN7rocprim17ROCPRIM_400000_NS6detail17trampoline_kernelINS0_14default_configENS1_25partition_config_selectorILNS1_17partition_subalgoE6EjNS0_10empty_typeEbEEZZNS1_14partition_implILS5_6ELb0ES3_mN6thrust23THRUST_200600_302600_NS6detail15normal_iteratorINSA_10device_ptrIjEEEEPS6_SG_NS0_5tupleIJSF_S6_EEENSH_IJSG_SG_EEES6_PlJNSB_9not_fun_tINSB_10functional5actorINSM_9compositeIJNSM_27transparent_binary_operatorINSA_8equal_toIvEEEENSN_INSM_8argumentILj0EEEEENSM_5valueIjEEEEEEEEEEEE10hipError_tPvRmT3_T4_T5_T6_T7_T9_mT8_P12ihipStream_tbDpT10_ENKUlT_T0_E_clISt17integral_constantIbLb0EES1K_EEDaS1F_S1G_EUlS1F_E_NS1_11comp_targetILNS1_3genE0ELNS1_11target_archE4294967295ELNS1_3gpuE0ELNS1_3repE0EEENS1_30default_config_static_selectorELNS0_4arch9wavefront6targetE0EEEvT1_ ; -- Begin function _ZN7rocprim17ROCPRIM_400000_NS6detail17trampoline_kernelINS0_14default_configENS1_25partition_config_selectorILNS1_17partition_subalgoE6EjNS0_10empty_typeEbEEZZNS1_14partition_implILS5_6ELb0ES3_mN6thrust23THRUST_200600_302600_NS6detail15normal_iteratorINSA_10device_ptrIjEEEEPS6_SG_NS0_5tupleIJSF_S6_EEENSH_IJSG_SG_EEES6_PlJNSB_9not_fun_tINSB_10functional5actorINSM_9compositeIJNSM_27transparent_binary_operatorINSA_8equal_toIvEEEENSN_INSM_8argumentILj0EEEEENSM_5valueIjEEEEEEEEEEEE10hipError_tPvRmT3_T4_T5_T6_T7_T9_mT8_P12ihipStream_tbDpT10_ENKUlT_T0_E_clISt17integral_constantIbLb0EES1K_EEDaS1F_S1G_EUlS1F_E_NS1_11comp_targetILNS1_3genE0ELNS1_11target_archE4294967295ELNS1_3gpuE0ELNS1_3repE0EEENS1_30default_config_static_selectorELNS0_4arch9wavefront6targetE0EEEvT1_
	.globl	_ZN7rocprim17ROCPRIM_400000_NS6detail17trampoline_kernelINS0_14default_configENS1_25partition_config_selectorILNS1_17partition_subalgoE6EjNS0_10empty_typeEbEEZZNS1_14partition_implILS5_6ELb0ES3_mN6thrust23THRUST_200600_302600_NS6detail15normal_iteratorINSA_10device_ptrIjEEEEPS6_SG_NS0_5tupleIJSF_S6_EEENSH_IJSG_SG_EEES6_PlJNSB_9not_fun_tINSB_10functional5actorINSM_9compositeIJNSM_27transparent_binary_operatorINSA_8equal_toIvEEEENSN_INSM_8argumentILj0EEEEENSM_5valueIjEEEEEEEEEEEE10hipError_tPvRmT3_T4_T5_T6_T7_T9_mT8_P12ihipStream_tbDpT10_ENKUlT_T0_E_clISt17integral_constantIbLb0EES1K_EEDaS1F_S1G_EUlS1F_E_NS1_11comp_targetILNS1_3genE0ELNS1_11target_archE4294967295ELNS1_3gpuE0ELNS1_3repE0EEENS1_30default_config_static_selectorELNS0_4arch9wavefront6targetE0EEEvT1_
	.p2align	8
	.type	_ZN7rocprim17ROCPRIM_400000_NS6detail17trampoline_kernelINS0_14default_configENS1_25partition_config_selectorILNS1_17partition_subalgoE6EjNS0_10empty_typeEbEEZZNS1_14partition_implILS5_6ELb0ES3_mN6thrust23THRUST_200600_302600_NS6detail15normal_iteratorINSA_10device_ptrIjEEEEPS6_SG_NS0_5tupleIJSF_S6_EEENSH_IJSG_SG_EEES6_PlJNSB_9not_fun_tINSB_10functional5actorINSM_9compositeIJNSM_27transparent_binary_operatorINSA_8equal_toIvEEEENSN_INSM_8argumentILj0EEEEENSM_5valueIjEEEEEEEEEEEE10hipError_tPvRmT3_T4_T5_T6_T7_T9_mT8_P12ihipStream_tbDpT10_ENKUlT_T0_E_clISt17integral_constantIbLb0EES1K_EEDaS1F_S1G_EUlS1F_E_NS1_11comp_targetILNS1_3genE0ELNS1_11target_archE4294967295ELNS1_3gpuE0ELNS1_3repE0EEENS1_30default_config_static_selectorELNS0_4arch9wavefront6targetE0EEEvT1_,@function
_ZN7rocprim17ROCPRIM_400000_NS6detail17trampoline_kernelINS0_14default_configENS1_25partition_config_selectorILNS1_17partition_subalgoE6EjNS0_10empty_typeEbEEZZNS1_14partition_implILS5_6ELb0ES3_mN6thrust23THRUST_200600_302600_NS6detail15normal_iteratorINSA_10device_ptrIjEEEEPS6_SG_NS0_5tupleIJSF_S6_EEENSH_IJSG_SG_EEES6_PlJNSB_9not_fun_tINSB_10functional5actorINSM_9compositeIJNSM_27transparent_binary_operatorINSA_8equal_toIvEEEENSN_INSM_8argumentILj0EEEEENSM_5valueIjEEEEEEEEEEEE10hipError_tPvRmT3_T4_T5_T6_T7_T9_mT8_P12ihipStream_tbDpT10_ENKUlT_T0_E_clISt17integral_constantIbLb0EES1K_EEDaS1F_S1G_EUlS1F_E_NS1_11comp_targetILNS1_3genE0ELNS1_11target_archE4294967295ELNS1_3gpuE0ELNS1_3repE0EEENS1_30default_config_static_selectorELNS0_4arch9wavefront6targetE0EEEvT1_: ; @_ZN7rocprim17ROCPRIM_400000_NS6detail17trampoline_kernelINS0_14default_configENS1_25partition_config_selectorILNS1_17partition_subalgoE6EjNS0_10empty_typeEbEEZZNS1_14partition_implILS5_6ELb0ES3_mN6thrust23THRUST_200600_302600_NS6detail15normal_iteratorINSA_10device_ptrIjEEEEPS6_SG_NS0_5tupleIJSF_S6_EEENSH_IJSG_SG_EEES6_PlJNSB_9not_fun_tINSB_10functional5actorINSM_9compositeIJNSM_27transparent_binary_operatorINSA_8equal_toIvEEEENSN_INSM_8argumentILj0EEEEENSM_5valueIjEEEEEEEEEEEE10hipError_tPvRmT3_T4_T5_T6_T7_T9_mT8_P12ihipStream_tbDpT10_ENKUlT_T0_E_clISt17integral_constantIbLb0EES1K_EEDaS1F_S1G_EUlS1F_E_NS1_11comp_targetILNS1_3genE0ELNS1_11target_archE4294967295ELNS1_3gpuE0ELNS1_3repE0EEENS1_30default_config_static_selectorELNS0_4arch9wavefront6targetE0EEEvT1_
; %bb.0:
	.section	.rodata,"a",@progbits
	.p2align	6, 0x0
	.amdhsa_kernel _ZN7rocprim17ROCPRIM_400000_NS6detail17trampoline_kernelINS0_14default_configENS1_25partition_config_selectorILNS1_17partition_subalgoE6EjNS0_10empty_typeEbEEZZNS1_14partition_implILS5_6ELb0ES3_mN6thrust23THRUST_200600_302600_NS6detail15normal_iteratorINSA_10device_ptrIjEEEEPS6_SG_NS0_5tupleIJSF_S6_EEENSH_IJSG_SG_EEES6_PlJNSB_9not_fun_tINSB_10functional5actorINSM_9compositeIJNSM_27transparent_binary_operatorINSA_8equal_toIvEEEENSN_INSM_8argumentILj0EEEEENSM_5valueIjEEEEEEEEEEEE10hipError_tPvRmT3_T4_T5_T6_T7_T9_mT8_P12ihipStream_tbDpT10_ENKUlT_T0_E_clISt17integral_constantIbLb0EES1K_EEDaS1F_S1G_EUlS1F_E_NS1_11comp_targetILNS1_3genE0ELNS1_11target_archE4294967295ELNS1_3gpuE0ELNS1_3repE0EEENS1_30default_config_static_selectorELNS0_4arch9wavefront6targetE0EEEvT1_
		.amdhsa_group_segment_fixed_size 0
		.amdhsa_private_segment_fixed_size 0
		.amdhsa_kernarg_size 120
		.amdhsa_user_sgpr_count 2
		.amdhsa_user_sgpr_dispatch_ptr 0
		.amdhsa_user_sgpr_queue_ptr 0
		.amdhsa_user_sgpr_kernarg_segment_ptr 1
		.amdhsa_user_sgpr_dispatch_id 0
		.amdhsa_user_sgpr_private_segment_size 0
		.amdhsa_wavefront_size32 1
		.amdhsa_uses_dynamic_stack 0
		.amdhsa_enable_private_segment 0
		.amdhsa_system_sgpr_workgroup_id_x 1
		.amdhsa_system_sgpr_workgroup_id_y 0
		.amdhsa_system_sgpr_workgroup_id_z 0
		.amdhsa_system_sgpr_workgroup_info 0
		.amdhsa_system_vgpr_workitem_id 0
		.amdhsa_next_free_vgpr 1
		.amdhsa_next_free_sgpr 1
		.amdhsa_reserve_vcc 0
		.amdhsa_float_round_mode_32 0
		.amdhsa_float_round_mode_16_64 0
		.amdhsa_float_denorm_mode_32 3
		.amdhsa_float_denorm_mode_16_64 3
		.amdhsa_fp16_overflow 0
		.amdhsa_workgroup_processor_mode 1
		.amdhsa_memory_ordered 1
		.amdhsa_forward_progress 1
		.amdhsa_inst_pref_size 0
		.amdhsa_round_robin_scheduling 0
		.amdhsa_exception_fp_ieee_invalid_op 0
		.amdhsa_exception_fp_denorm_src 0
		.amdhsa_exception_fp_ieee_div_zero 0
		.amdhsa_exception_fp_ieee_overflow 0
		.amdhsa_exception_fp_ieee_underflow 0
		.amdhsa_exception_fp_ieee_inexact 0
		.amdhsa_exception_int_div_zero 0
	.end_amdhsa_kernel
	.section	.text._ZN7rocprim17ROCPRIM_400000_NS6detail17trampoline_kernelINS0_14default_configENS1_25partition_config_selectorILNS1_17partition_subalgoE6EjNS0_10empty_typeEbEEZZNS1_14partition_implILS5_6ELb0ES3_mN6thrust23THRUST_200600_302600_NS6detail15normal_iteratorINSA_10device_ptrIjEEEEPS6_SG_NS0_5tupleIJSF_S6_EEENSH_IJSG_SG_EEES6_PlJNSB_9not_fun_tINSB_10functional5actorINSM_9compositeIJNSM_27transparent_binary_operatorINSA_8equal_toIvEEEENSN_INSM_8argumentILj0EEEEENSM_5valueIjEEEEEEEEEEEE10hipError_tPvRmT3_T4_T5_T6_T7_T9_mT8_P12ihipStream_tbDpT10_ENKUlT_T0_E_clISt17integral_constantIbLb0EES1K_EEDaS1F_S1G_EUlS1F_E_NS1_11comp_targetILNS1_3genE0ELNS1_11target_archE4294967295ELNS1_3gpuE0ELNS1_3repE0EEENS1_30default_config_static_selectorELNS0_4arch9wavefront6targetE0EEEvT1_,"axG",@progbits,_ZN7rocprim17ROCPRIM_400000_NS6detail17trampoline_kernelINS0_14default_configENS1_25partition_config_selectorILNS1_17partition_subalgoE6EjNS0_10empty_typeEbEEZZNS1_14partition_implILS5_6ELb0ES3_mN6thrust23THRUST_200600_302600_NS6detail15normal_iteratorINSA_10device_ptrIjEEEEPS6_SG_NS0_5tupleIJSF_S6_EEENSH_IJSG_SG_EEES6_PlJNSB_9not_fun_tINSB_10functional5actorINSM_9compositeIJNSM_27transparent_binary_operatorINSA_8equal_toIvEEEENSN_INSM_8argumentILj0EEEEENSM_5valueIjEEEEEEEEEEEE10hipError_tPvRmT3_T4_T5_T6_T7_T9_mT8_P12ihipStream_tbDpT10_ENKUlT_T0_E_clISt17integral_constantIbLb0EES1K_EEDaS1F_S1G_EUlS1F_E_NS1_11comp_targetILNS1_3genE0ELNS1_11target_archE4294967295ELNS1_3gpuE0ELNS1_3repE0EEENS1_30default_config_static_selectorELNS0_4arch9wavefront6targetE0EEEvT1_,comdat
.Lfunc_end113:
	.size	_ZN7rocprim17ROCPRIM_400000_NS6detail17trampoline_kernelINS0_14default_configENS1_25partition_config_selectorILNS1_17partition_subalgoE6EjNS0_10empty_typeEbEEZZNS1_14partition_implILS5_6ELb0ES3_mN6thrust23THRUST_200600_302600_NS6detail15normal_iteratorINSA_10device_ptrIjEEEEPS6_SG_NS0_5tupleIJSF_S6_EEENSH_IJSG_SG_EEES6_PlJNSB_9not_fun_tINSB_10functional5actorINSM_9compositeIJNSM_27transparent_binary_operatorINSA_8equal_toIvEEEENSN_INSM_8argumentILj0EEEEENSM_5valueIjEEEEEEEEEEEE10hipError_tPvRmT3_T4_T5_T6_T7_T9_mT8_P12ihipStream_tbDpT10_ENKUlT_T0_E_clISt17integral_constantIbLb0EES1K_EEDaS1F_S1G_EUlS1F_E_NS1_11comp_targetILNS1_3genE0ELNS1_11target_archE4294967295ELNS1_3gpuE0ELNS1_3repE0EEENS1_30default_config_static_selectorELNS0_4arch9wavefront6targetE0EEEvT1_, .Lfunc_end113-_ZN7rocprim17ROCPRIM_400000_NS6detail17trampoline_kernelINS0_14default_configENS1_25partition_config_selectorILNS1_17partition_subalgoE6EjNS0_10empty_typeEbEEZZNS1_14partition_implILS5_6ELb0ES3_mN6thrust23THRUST_200600_302600_NS6detail15normal_iteratorINSA_10device_ptrIjEEEEPS6_SG_NS0_5tupleIJSF_S6_EEENSH_IJSG_SG_EEES6_PlJNSB_9not_fun_tINSB_10functional5actorINSM_9compositeIJNSM_27transparent_binary_operatorINSA_8equal_toIvEEEENSN_INSM_8argumentILj0EEEEENSM_5valueIjEEEEEEEEEEEE10hipError_tPvRmT3_T4_T5_T6_T7_T9_mT8_P12ihipStream_tbDpT10_ENKUlT_T0_E_clISt17integral_constantIbLb0EES1K_EEDaS1F_S1G_EUlS1F_E_NS1_11comp_targetILNS1_3genE0ELNS1_11target_archE4294967295ELNS1_3gpuE0ELNS1_3repE0EEENS1_30default_config_static_selectorELNS0_4arch9wavefront6targetE0EEEvT1_
                                        ; -- End function
	.set _ZN7rocprim17ROCPRIM_400000_NS6detail17trampoline_kernelINS0_14default_configENS1_25partition_config_selectorILNS1_17partition_subalgoE6EjNS0_10empty_typeEbEEZZNS1_14partition_implILS5_6ELb0ES3_mN6thrust23THRUST_200600_302600_NS6detail15normal_iteratorINSA_10device_ptrIjEEEEPS6_SG_NS0_5tupleIJSF_S6_EEENSH_IJSG_SG_EEES6_PlJNSB_9not_fun_tINSB_10functional5actorINSM_9compositeIJNSM_27transparent_binary_operatorINSA_8equal_toIvEEEENSN_INSM_8argumentILj0EEEEENSM_5valueIjEEEEEEEEEEEE10hipError_tPvRmT3_T4_T5_T6_T7_T9_mT8_P12ihipStream_tbDpT10_ENKUlT_T0_E_clISt17integral_constantIbLb0EES1K_EEDaS1F_S1G_EUlS1F_E_NS1_11comp_targetILNS1_3genE0ELNS1_11target_archE4294967295ELNS1_3gpuE0ELNS1_3repE0EEENS1_30default_config_static_selectorELNS0_4arch9wavefront6targetE0EEEvT1_.num_vgpr, 0
	.set _ZN7rocprim17ROCPRIM_400000_NS6detail17trampoline_kernelINS0_14default_configENS1_25partition_config_selectorILNS1_17partition_subalgoE6EjNS0_10empty_typeEbEEZZNS1_14partition_implILS5_6ELb0ES3_mN6thrust23THRUST_200600_302600_NS6detail15normal_iteratorINSA_10device_ptrIjEEEEPS6_SG_NS0_5tupleIJSF_S6_EEENSH_IJSG_SG_EEES6_PlJNSB_9not_fun_tINSB_10functional5actorINSM_9compositeIJNSM_27transparent_binary_operatorINSA_8equal_toIvEEEENSN_INSM_8argumentILj0EEEEENSM_5valueIjEEEEEEEEEEEE10hipError_tPvRmT3_T4_T5_T6_T7_T9_mT8_P12ihipStream_tbDpT10_ENKUlT_T0_E_clISt17integral_constantIbLb0EES1K_EEDaS1F_S1G_EUlS1F_E_NS1_11comp_targetILNS1_3genE0ELNS1_11target_archE4294967295ELNS1_3gpuE0ELNS1_3repE0EEENS1_30default_config_static_selectorELNS0_4arch9wavefront6targetE0EEEvT1_.num_agpr, 0
	.set _ZN7rocprim17ROCPRIM_400000_NS6detail17trampoline_kernelINS0_14default_configENS1_25partition_config_selectorILNS1_17partition_subalgoE6EjNS0_10empty_typeEbEEZZNS1_14partition_implILS5_6ELb0ES3_mN6thrust23THRUST_200600_302600_NS6detail15normal_iteratorINSA_10device_ptrIjEEEEPS6_SG_NS0_5tupleIJSF_S6_EEENSH_IJSG_SG_EEES6_PlJNSB_9not_fun_tINSB_10functional5actorINSM_9compositeIJNSM_27transparent_binary_operatorINSA_8equal_toIvEEEENSN_INSM_8argumentILj0EEEEENSM_5valueIjEEEEEEEEEEEE10hipError_tPvRmT3_T4_T5_T6_T7_T9_mT8_P12ihipStream_tbDpT10_ENKUlT_T0_E_clISt17integral_constantIbLb0EES1K_EEDaS1F_S1G_EUlS1F_E_NS1_11comp_targetILNS1_3genE0ELNS1_11target_archE4294967295ELNS1_3gpuE0ELNS1_3repE0EEENS1_30default_config_static_selectorELNS0_4arch9wavefront6targetE0EEEvT1_.numbered_sgpr, 0
	.set _ZN7rocprim17ROCPRIM_400000_NS6detail17trampoline_kernelINS0_14default_configENS1_25partition_config_selectorILNS1_17partition_subalgoE6EjNS0_10empty_typeEbEEZZNS1_14partition_implILS5_6ELb0ES3_mN6thrust23THRUST_200600_302600_NS6detail15normal_iteratorINSA_10device_ptrIjEEEEPS6_SG_NS0_5tupleIJSF_S6_EEENSH_IJSG_SG_EEES6_PlJNSB_9not_fun_tINSB_10functional5actorINSM_9compositeIJNSM_27transparent_binary_operatorINSA_8equal_toIvEEEENSN_INSM_8argumentILj0EEEEENSM_5valueIjEEEEEEEEEEEE10hipError_tPvRmT3_T4_T5_T6_T7_T9_mT8_P12ihipStream_tbDpT10_ENKUlT_T0_E_clISt17integral_constantIbLb0EES1K_EEDaS1F_S1G_EUlS1F_E_NS1_11comp_targetILNS1_3genE0ELNS1_11target_archE4294967295ELNS1_3gpuE0ELNS1_3repE0EEENS1_30default_config_static_selectorELNS0_4arch9wavefront6targetE0EEEvT1_.num_named_barrier, 0
	.set _ZN7rocprim17ROCPRIM_400000_NS6detail17trampoline_kernelINS0_14default_configENS1_25partition_config_selectorILNS1_17partition_subalgoE6EjNS0_10empty_typeEbEEZZNS1_14partition_implILS5_6ELb0ES3_mN6thrust23THRUST_200600_302600_NS6detail15normal_iteratorINSA_10device_ptrIjEEEEPS6_SG_NS0_5tupleIJSF_S6_EEENSH_IJSG_SG_EEES6_PlJNSB_9not_fun_tINSB_10functional5actorINSM_9compositeIJNSM_27transparent_binary_operatorINSA_8equal_toIvEEEENSN_INSM_8argumentILj0EEEEENSM_5valueIjEEEEEEEEEEEE10hipError_tPvRmT3_T4_T5_T6_T7_T9_mT8_P12ihipStream_tbDpT10_ENKUlT_T0_E_clISt17integral_constantIbLb0EES1K_EEDaS1F_S1G_EUlS1F_E_NS1_11comp_targetILNS1_3genE0ELNS1_11target_archE4294967295ELNS1_3gpuE0ELNS1_3repE0EEENS1_30default_config_static_selectorELNS0_4arch9wavefront6targetE0EEEvT1_.private_seg_size, 0
	.set _ZN7rocprim17ROCPRIM_400000_NS6detail17trampoline_kernelINS0_14default_configENS1_25partition_config_selectorILNS1_17partition_subalgoE6EjNS0_10empty_typeEbEEZZNS1_14partition_implILS5_6ELb0ES3_mN6thrust23THRUST_200600_302600_NS6detail15normal_iteratorINSA_10device_ptrIjEEEEPS6_SG_NS0_5tupleIJSF_S6_EEENSH_IJSG_SG_EEES6_PlJNSB_9not_fun_tINSB_10functional5actorINSM_9compositeIJNSM_27transparent_binary_operatorINSA_8equal_toIvEEEENSN_INSM_8argumentILj0EEEEENSM_5valueIjEEEEEEEEEEEE10hipError_tPvRmT3_T4_T5_T6_T7_T9_mT8_P12ihipStream_tbDpT10_ENKUlT_T0_E_clISt17integral_constantIbLb0EES1K_EEDaS1F_S1G_EUlS1F_E_NS1_11comp_targetILNS1_3genE0ELNS1_11target_archE4294967295ELNS1_3gpuE0ELNS1_3repE0EEENS1_30default_config_static_selectorELNS0_4arch9wavefront6targetE0EEEvT1_.uses_vcc, 0
	.set _ZN7rocprim17ROCPRIM_400000_NS6detail17trampoline_kernelINS0_14default_configENS1_25partition_config_selectorILNS1_17partition_subalgoE6EjNS0_10empty_typeEbEEZZNS1_14partition_implILS5_6ELb0ES3_mN6thrust23THRUST_200600_302600_NS6detail15normal_iteratorINSA_10device_ptrIjEEEEPS6_SG_NS0_5tupleIJSF_S6_EEENSH_IJSG_SG_EEES6_PlJNSB_9not_fun_tINSB_10functional5actorINSM_9compositeIJNSM_27transparent_binary_operatorINSA_8equal_toIvEEEENSN_INSM_8argumentILj0EEEEENSM_5valueIjEEEEEEEEEEEE10hipError_tPvRmT3_T4_T5_T6_T7_T9_mT8_P12ihipStream_tbDpT10_ENKUlT_T0_E_clISt17integral_constantIbLb0EES1K_EEDaS1F_S1G_EUlS1F_E_NS1_11comp_targetILNS1_3genE0ELNS1_11target_archE4294967295ELNS1_3gpuE0ELNS1_3repE0EEENS1_30default_config_static_selectorELNS0_4arch9wavefront6targetE0EEEvT1_.uses_flat_scratch, 0
	.set _ZN7rocprim17ROCPRIM_400000_NS6detail17trampoline_kernelINS0_14default_configENS1_25partition_config_selectorILNS1_17partition_subalgoE6EjNS0_10empty_typeEbEEZZNS1_14partition_implILS5_6ELb0ES3_mN6thrust23THRUST_200600_302600_NS6detail15normal_iteratorINSA_10device_ptrIjEEEEPS6_SG_NS0_5tupleIJSF_S6_EEENSH_IJSG_SG_EEES6_PlJNSB_9not_fun_tINSB_10functional5actorINSM_9compositeIJNSM_27transparent_binary_operatorINSA_8equal_toIvEEEENSN_INSM_8argumentILj0EEEEENSM_5valueIjEEEEEEEEEEEE10hipError_tPvRmT3_T4_T5_T6_T7_T9_mT8_P12ihipStream_tbDpT10_ENKUlT_T0_E_clISt17integral_constantIbLb0EES1K_EEDaS1F_S1G_EUlS1F_E_NS1_11comp_targetILNS1_3genE0ELNS1_11target_archE4294967295ELNS1_3gpuE0ELNS1_3repE0EEENS1_30default_config_static_selectorELNS0_4arch9wavefront6targetE0EEEvT1_.has_dyn_sized_stack, 0
	.set _ZN7rocprim17ROCPRIM_400000_NS6detail17trampoline_kernelINS0_14default_configENS1_25partition_config_selectorILNS1_17partition_subalgoE6EjNS0_10empty_typeEbEEZZNS1_14partition_implILS5_6ELb0ES3_mN6thrust23THRUST_200600_302600_NS6detail15normal_iteratorINSA_10device_ptrIjEEEEPS6_SG_NS0_5tupleIJSF_S6_EEENSH_IJSG_SG_EEES6_PlJNSB_9not_fun_tINSB_10functional5actorINSM_9compositeIJNSM_27transparent_binary_operatorINSA_8equal_toIvEEEENSN_INSM_8argumentILj0EEEEENSM_5valueIjEEEEEEEEEEEE10hipError_tPvRmT3_T4_T5_T6_T7_T9_mT8_P12ihipStream_tbDpT10_ENKUlT_T0_E_clISt17integral_constantIbLb0EES1K_EEDaS1F_S1G_EUlS1F_E_NS1_11comp_targetILNS1_3genE0ELNS1_11target_archE4294967295ELNS1_3gpuE0ELNS1_3repE0EEENS1_30default_config_static_selectorELNS0_4arch9wavefront6targetE0EEEvT1_.has_recursion, 0
	.set _ZN7rocprim17ROCPRIM_400000_NS6detail17trampoline_kernelINS0_14default_configENS1_25partition_config_selectorILNS1_17partition_subalgoE6EjNS0_10empty_typeEbEEZZNS1_14partition_implILS5_6ELb0ES3_mN6thrust23THRUST_200600_302600_NS6detail15normal_iteratorINSA_10device_ptrIjEEEEPS6_SG_NS0_5tupleIJSF_S6_EEENSH_IJSG_SG_EEES6_PlJNSB_9not_fun_tINSB_10functional5actorINSM_9compositeIJNSM_27transparent_binary_operatorINSA_8equal_toIvEEEENSN_INSM_8argumentILj0EEEEENSM_5valueIjEEEEEEEEEEEE10hipError_tPvRmT3_T4_T5_T6_T7_T9_mT8_P12ihipStream_tbDpT10_ENKUlT_T0_E_clISt17integral_constantIbLb0EES1K_EEDaS1F_S1G_EUlS1F_E_NS1_11comp_targetILNS1_3genE0ELNS1_11target_archE4294967295ELNS1_3gpuE0ELNS1_3repE0EEENS1_30default_config_static_selectorELNS0_4arch9wavefront6targetE0EEEvT1_.has_indirect_call, 0
	.section	.AMDGPU.csdata,"",@progbits
; Kernel info:
; codeLenInByte = 0
; TotalNumSgprs: 0
; NumVgprs: 0
; ScratchSize: 0
; MemoryBound: 0
; FloatMode: 240
; IeeeMode: 1
; LDSByteSize: 0 bytes/workgroup (compile time only)
; SGPRBlocks: 0
; VGPRBlocks: 0
; NumSGPRsForWavesPerEU: 1
; NumVGPRsForWavesPerEU: 1
; Occupancy: 16
; WaveLimiterHint : 0
; COMPUTE_PGM_RSRC2:SCRATCH_EN: 0
; COMPUTE_PGM_RSRC2:USER_SGPR: 2
; COMPUTE_PGM_RSRC2:TRAP_HANDLER: 0
; COMPUTE_PGM_RSRC2:TGID_X_EN: 1
; COMPUTE_PGM_RSRC2:TGID_Y_EN: 0
; COMPUTE_PGM_RSRC2:TGID_Z_EN: 0
; COMPUTE_PGM_RSRC2:TIDIG_COMP_CNT: 0
	.section	.text._ZN7rocprim17ROCPRIM_400000_NS6detail17trampoline_kernelINS0_14default_configENS1_25partition_config_selectorILNS1_17partition_subalgoE6EjNS0_10empty_typeEbEEZZNS1_14partition_implILS5_6ELb0ES3_mN6thrust23THRUST_200600_302600_NS6detail15normal_iteratorINSA_10device_ptrIjEEEEPS6_SG_NS0_5tupleIJSF_S6_EEENSH_IJSG_SG_EEES6_PlJNSB_9not_fun_tINSB_10functional5actorINSM_9compositeIJNSM_27transparent_binary_operatorINSA_8equal_toIvEEEENSN_INSM_8argumentILj0EEEEENSM_5valueIjEEEEEEEEEEEE10hipError_tPvRmT3_T4_T5_T6_T7_T9_mT8_P12ihipStream_tbDpT10_ENKUlT_T0_E_clISt17integral_constantIbLb0EES1K_EEDaS1F_S1G_EUlS1F_E_NS1_11comp_targetILNS1_3genE5ELNS1_11target_archE942ELNS1_3gpuE9ELNS1_3repE0EEENS1_30default_config_static_selectorELNS0_4arch9wavefront6targetE0EEEvT1_,"axG",@progbits,_ZN7rocprim17ROCPRIM_400000_NS6detail17trampoline_kernelINS0_14default_configENS1_25partition_config_selectorILNS1_17partition_subalgoE6EjNS0_10empty_typeEbEEZZNS1_14partition_implILS5_6ELb0ES3_mN6thrust23THRUST_200600_302600_NS6detail15normal_iteratorINSA_10device_ptrIjEEEEPS6_SG_NS0_5tupleIJSF_S6_EEENSH_IJSG_SG_EEES6_PlJNSB_9not_fun_tINSB_10functional5actorINSM_9compositeIJNSM_27transparent_binary_operatorINSA_8equal_toIvEEEENSN_INSM_8argumentILj0EEEEENSM_5valueIjEEEEEEEEEEEE10hipError_tPvRmT3_T4_T5_T6_T7_T9_mT8_P12ihipStream_tbDpT10_ENKUlT_T0_E_clISt17integral_constantIbLb0EES1K_EEDaS1F_S1G_EUlS1F_E_NS1_11comp_targetILNS1_3genE5ELNS1_11target_archE942ELNS1_3gpuE9ELNS1_3repE0EEENS1_30default_config_static_selectorELNS0_4arch9wavefront6targetE0EEEvT1_,comdat
	.protected	_ZN7rocprim17ROCPRIM_400000_NS6detail17trampoline_kernelINS0_14default_configENS1_25partition_config_selectorILNS1_17partition_subalgoE6EjNS0_10empty_typeEbEEZZNS1_14partition_implILS5_6ELb0ES3_mN6thrust23THRUST_200600_302600_NS6detail15normal_iteratorINSA_10device_ptrIjEEEEPS6_SG_NS0_5tupleIJSF_S6_EEENSH_IJSG_SG_EEES6_PlJNSB_9not_fun_tINSB_10functional5actorINSM_9compositeIJNSM_27transparent_binary_operatorINSA_8equal_toIvEEEENSN_INSM_8argumentILj0EEEEENSM_5valueIjEEEEEEEEEEEE10hipError_tPvRmT3_T4_T5_T6_T7_T9_mT8_P12ihipStream_tbDpT10_ENKUlT_T0_E_clISt17integral_constantIbLb0EES1K_EEDaS1F_S1G_EUlS1F_E_NS1_11comp_targetILNS1_3genE5ELNS1_11target_archE942ELNS1_3gpuE9ELNS1_3repE0EEENS1_30default_config_static_selectorELNS0_4arch9wavefront6targetE0EEEvT1_ ; -- Begin function _ZN7rocprim17ROCPRIM_400000_NS6detail17trampoline_kernelINS0_14default_configENS1_25partition_config_selectorILNS1_17partition_subalgoE6EjNS0_10empty_typeEbEEZZNS1_14partition_implILS5_6ELb0ES3_mN6thrust23THRUST_200600_302600_NS6detail15normal_iteratorINSA_10device_ptrIjEEEEPS6_SG_NS0_5tupleIJSF_S6_EEENSH_IJSG_SG_EEES6_PlJNSB_9not_fun_tINSB_10functional5actorINSM_9compositeIJNSM_27transparent_binary_operatorINSA_8equal_toIvEEEENSN_INSM_8argumentILj0EEEEENSM_5valueIjEEEEEEEEEEEE10hipError_tPvRmT3_T4_T5_T6_T7_T9_mT8_P12ihipStream_tbDpT10_ENKUlT_T0_E_clISt17integral_constantIbLb0EES1K_EEDaS1F_S1G_EUlS1F_E_NS1_11comp_targetILNS1_3genE5ELNS1_11target_archE942ELNS1_3gpuE9ELNS1_3repE0EEENS1_30default_config_static_selectorELNS0_4arch9wavefront6targetE0EEEvT1_
	.globl	_ZN7rocprim17ROCPRIM_400000_NS6detail17trampoline_kernelINS0_14default_configENS1_25partition_config_selectorILNS1_17partition_subalgoE6EjNS0_10empty_typeEbEEZZNS1_14partition_implILS5_6ELb0ES3_mN6thrust23THRUST_200600_302600_NS6detail15normal_iteratorINSA_10device_ptrIjEEEEPS6_SG_NS0_5tupleIJSF_S6_EEENSH_IJSG_SG_EEES6_PlJNSB_9not_fun_tINSB_10functional5actorINSM_9compositeIJNSM_27transparent_binary_operatorINSA_8equal_toIvEEEENSN_INSM_8argumentILj0EEEEENSM_5valueIjEEEEEEEEEEEE10hipError_tPvRmT3_T4_T5_T6_T7_T9_mT8_P12ihipStream_tbDpT10_ENKUlT_T0_E_clISt17integral_constantIbLb0EES1K_EEDaS1F_S1G_EUlS1F_E_NS1_11comp_targetILNS1_3genE5ELNS1_11target_archE942ELNS1_3gpuE9ELNS1_3repE0EEENS1_30default_config_static_selectorELNS0_4arch9wavefront6targetE0EEEvT1_
	.p2align	8
	.type	_ZN7rocprim17ROCPRIM_400000_NS6detail17trampoline_kernelINS0_14default_configENS1_25partition_config_selectorILNS1_17partition_subalgoE6EjNS0_10empty_typeEbEEZZNS1_14partition_implILS5_6ELb0ES3_mN6thrust23THRUST_200600_302600_NS6detail15normal_iteratorINSA_10device_ptrIjEEEEPS6_SG_NS0_5tupleIJSF_S6_EEENSH_IJSG_SG_EEES6_PlJNSB_9not_fun_tINSB_10functional5actorINSM_9compositeIJNSM_27transparent_binary_operatorINSA_8equal_toIvEEEENSN_INSM_8argumentILj0EEEEENSM_5valueIjEEEEEEEEEEEE10hipError_tPvRmT3_T4_T5_T6_T7_T9_mT8_P12ihipStream_tbDpT10_ENKUlT_T0_E_clISt17integral_constantIbLb0EES1K_EEDaS1F_S1G_EUlS1F_E_NS1_11comp_targetILNS1_3genE5ELNS1_11target_archE942ELNS1_3gpuE9ELNS1_3repE0EEENS1_30default_config_static_selectorELNS0_4arch9wavefront6targetE0EEEvT1_,@function
_ZN7rocprim17ROCPRIM_400000_NS6detail17trampoline_kernelINS0_14default_configENS1_25partition_config_selectorILNS1_17partition_subalgoE6EjNS0_10empty_typeEbEEZZNS1_14partition_implILS5_6ELb0ES3_mN6thrust23THRUST_200600_302600_NS6detail15normal_iteratorINSA_10device_ptrIjEEEEPS6_SG_NS0_5tupleIJSF_S6_EEENSH_IJSG_SG_EEES6_PlJNSB_9not_fun_tINSB_10functional5actorINSM_9compositeIJNSM_27transparent_binary_operatorINSA_8equal_toIvEEEENSN_INSM_8argumentILj0EEEEENSM_5valueIjEEEEEEEEEEEE10hipError_tPvRmT3_T4_T5_T6_T7_T9_mT8_P12ihipStream_tbDpT10_ENKUlT_T0_E_clISt17integral_constantIbLb0EES1K_EEDaS1F_S1G_EUlS1F_E_NS1_11comp_targetILNS1_3genE5ELNS1_11target_archE942ELNS1_3gpuE9ELNS1_3repE0EEENS1_30default_config_static_selectorELNS0_4arch9wavefront6targetE0EEEvT1_: ; @_ZN7rocprim17ROCPRIM_400000_NS6detail17trampoline_kernelINS0_14default_configENS1_25partition_config_selectorILNS1_17partition_subalgoE6EjNS0_10empty_typeEbEEZZNS1_14partition_implILS5_6ELb0ES3_mN6thrust23THRUST_200600_302600_NS6detail15normal_iteratorINSA_10device_ptrIjEEEEPS6_SG_NS0_5tupleIJSF_S6_EEENSH_IJSG_SG_EEES6_PlJNSB_9not_fun_tINSB_10functional5actorINSM_9compositeIJNSM_27transparent_binary_operatorINSA_8equal_toIvEEEENSN_INSM_8argumentILj0EEEEENSM_5valueIjEEEEEEEEEEEE10hipError_tPvRmT3_T4_T5_T6_T7_T9_mT8_P12ihipStream_tbDpT10_ENKUlT_T0_E_clISt17integral_constantIbLb0EES1K_EEDaS1F_S1G_EUlS1F_E_NS1_11comp_targetILNS1_3genE5ELNS1_11target_archE942ELNS1_3gpuE9ELNS1_3repE0EEENS1_30default_config_static_selectorELNS0_4arch9wavefront6targetE0EEEvT1_
; %bb.0:
	.section	.rodata,"a",@progbits
	.p2align	6, 0x0
	.amdhsa_kernel _ZN7rocprim17ROCPRIM_400000_NS6detail17trampoline_kernelINS0_14default_configENS1_25partition_config_selectorILNS1_17partition_subalgoE6EjNS0_10empty_typeEbEEZZNS1_14partition_implILS5_6ELb0ES3_mN6thrust23THRUST_200600_302600_NS6detail15normal_iteratorINSA_10device_ptrIjEEEEPS6_SG_NS0_5tupleIJSF_S6_EEENSH_IJSG_SG_EEES6_PlJNSB_9not_fun_tINSB_10functional5actorINSM_9compositeIJNSM_27transparent_binary_operatorINSA_8equal_toIvEEEENSN_INSM_8argumentILj0EEEEENSM_5valueIjEEEEEEEEEEEE10hipError_tPvRmT3_T4_T5_T6_T7_T9_mT8_P12ihipStream_tbDpT10_ENKUlT_T0_E_clISt17integral_constantIbLb0EES1K_EEDaS1F_S1G_EUlS1F_E_NS1_11comp_targetILNS1_3genE5ELNS1_11target_archE942ELNS1_3gpuE9ELNS1_3repE0EEENS1_30default_config_static_selectorELNS0_4arch9wavefront6targetE0EEEvT1_
		.amdhsa_group_segment_fixed_size 0
		.amdhsa_private_segment_fixed_size 0
		.amdhsa_kernarg_size 120
		.amdhsa_user_sgpr_count 2
		.amdhsa_user_sgpr_dispatch_ptr 0
		.amdhsa_user_sgpr_queue_ptr 0
		.amdhsa_user_sgpr_kernarg_segment_ptr 1
		.amdhsa_user_sgpr_dispatch_id 0
		.amdhsa_user_sgpr_private_segment_size 0
		.amdhsa_wavefront_size32 1
		.amdhsa_uses_dynamic_stack 0
		.amdhsa_enable_private_segment 0
		.amdhsa_system_sgpr_workgroup_id_x 1
		.amdhsa_system_sgpr_workgroup_id_y 0
		.amdhsa_system_sgpr_workgroup_id_z 0
		.amdhsa_system_sgpr_workgroup_info 0
		.amdhsa_system_vgpr_workitem_id 0
		.amdhsa_next_free_vgpr 1
		.amdhsa_next_free_sgpr 1
		.amdhsa_reserve_vcc 0
		.amdhsa_float_round_mode_32 0
		.amdhsa_float_round_mode_16_64 0
		.amdhsa_float_denorm_mode_32 3
		.amdhsa_float_denorm_mode_16_64 3
		.amdhsa_fp16_overflow 0
		.amdhsa_workgroup_processor_mode 1
		.amdhsa_memory_ordered 1
		.amdhsa_forward_progress 1
		.amdhsa_inst_pref_size 0
		.amdhsa_round_robin_scheduling 0
		.amdhsa_exception_fp_ieee_invalid_op 0
		.amdhsa_exception_fp_denorm_src 0
		.amdhsa_exception_fp_ieee_div_zero 0
		.amdhsa_exception_fp_ieee_overflow 0
		.amdhsa_exception_fp_ieee_underflow 0
		.amdhsa_exception_fp_ieee_inexact 0
		.amdhsa_exception_int_div_zero 0
	.end_amdhsa_kernel
	.section	.text._ZN7rocprim17ROCPRIM_400000_NS6detail17trampoline_kernelINS0_14default_configENS1_25partition_config_selectorILNS1_17partition_subalgoE6EjNS0_10empty_typeEbEEZZNS1_14partition_implILS5_6ELb0ES3_mN6thrust23THRUST_200600_302600_NS6detail15normal_iteratorINSA_10device_ptrIjEEEEPS6_SG_NS0_5tupleIJSF_S6_EEENSH_IJSG_SG_EEES6_PlJNSB_9not_fun_tINSB_10functional5actorINSM_9compositeIJNSM_27transparent_binary_operatorINSA_8equal_toIvEEEENSN_INSM_8argumentILj0EEEEENSM_5valueIjEEEEEEEEEEEE10hipError_tPvRmT3_T4_T5_T6_T7_T9_mT8_P12ihipStream_tbDpT10_ENKUlT_T0_E_clISt17integral_constantIbLb0EES1K_EEDaS1F_S1G_EUlS1F_E_NS1_11comp_targetILNS1_3genE5ELNS1_11target_archE942ELNS1_3gpuE9ELNS1_3repE0EEENS1_30default_config_static_selectorELNS0_4arch9wavefront6targetE0EEEvT1_,"axG",@progbits,_ZN7rocprim17ROCPRIM_400000_NS6detail17trampoline_kernelINS0_14default_configENS1_25partition_config_selectorILNS1_17partition_subalgoE6EjNS0_10empty_typeEbEEZZNS1_14partition_implILS5_6ELb0ES3_mN6thrust23THRUST_200600_302600_NS6detail15normal_iteratorINSA_10device_ptrIjEEEEPS6_SG_NS0_5tupleIJSF_S6_EEENSH_IJSG_SG_EEES6_PlJNSB_9not_fun_tINSB_10functional5actorINSM_9compositeIJNSM_27transparent_binary_operatorINSA_8equal_toIvEEEENSN_INSM_8argumentILj0EEEEENSM_5valueIjEEEEEEEEEEEE10hipError_tPvRmT3_T4_T5_T6_T7_T9_mT8_P12ihipStream_tbDpT10_ENKUlT_T0_E_clISt17integral_constantIbLb0EES1K_EEDaS1F_S1G_EUlS1F_E_NS1_11comp_targetILNS1_3genE5ELNS1_11target_archE942ELNS1_3gpuE9ELNS1_3repE0EEENS1_30default_config_static_selectorELNS0_4arch9wavefront6targetE0EEEvT1_,comdat
.Lfunc_end114:
	.size	_ZN7rocprim17ROCPRIM_400000_NS6detail17trampoline_kernelINS0_14default_configENS1_25partition_config_selectorILNS1_17partition_subalgoE6EjNS0_10empty_typeEbEEZZNS1_14partition_implILS5_6ELb0ES3_mN6thrust23THRUST_200600_302600_NS6detail15normal_iteratorINSA_10device_ptrIjEEEEPS6_SG_NS0_5tupleIJSF_S6_EEENSH_IJSG_SG_EEES6_PlJNSB_9not_fun_tINSB_10functional5actorINSM_9compositeIJNSM_27transparent_binary_operatorINSA_8equal_toIvEEEENSN_INSM_8argumentILj0EEEEENSM_5valueIjEEEEEEEEEEEE10hipError_tPvRmT3_T4_T5_T6_T7_T9_mT8_P12ihipStream_tbDpT10_ENKUlT_T0_E_clISt17integral_constantIbLb0EES1K_EEDaS1F_S1G_EUlS1F_E_NS1_11comp_targetILNS1_3genE5ELNS1_11target_archE942ELNS1_3gpuE9ELNS1_3repE0EEENS1_30default_config_static_selectorELNS0_4arch9wavefront6targetE0EEEvT1_, .Lfunc_end114-_ZN7rocprim17ROCPRIM_400000_NS6detail17trampoline_kernelINS0_14default_configENS1_25partition_config_selectorILNS1_17partition_subalgoE6EjNS0_10empty_typeEbEEZZNS1_14partition_implILS5_6ELb0ES3_mN6thrust23THRUST_200600_302600_NS6detail15normal_iteratorINSA_10device_ptrIjEEEEPS6_SG_NS0_5tupleIJSF_S6_EEENSH_IJSG_SG_EEES6_PlJNSB_9not_fun_tINSB_10functional5actorINSM_9compositeIJNSM_27transparent_binary_operatorINSA_8equal_toIvEEEENSN_INSM_8argumentILj0EEEEENSM_5valueIjEEEEEEEEEEEE10hipError_tPvRmT3_T4_T5_T6_T7_T9_mT8_P12ihipStream_tbDpT10_ENKUlT_T0_E_clISt17integral_constantIbLb0EES1K_EEDaS1F_S1G_EUlS1F_E_NS1_11comp_targetILNS1_3genE5ELNS1_11target_archE942ELNS1_3gpuE9ELNS1_3repE0EEENS1_30default_config_static_selectorELNS0_4arch9wavefront6targetE0EEEvT1_
                                        ; -- End function
	.set _ZN7rocprim17ROCPRIM_400000_NS6detail17trampoline_kernelINS0_14default_configENS1_25partition_config_selectorILNS1_17partition_subalgoE6EjNS0_10empty_typeEbEEZZNS1_14partition_implILS5_6ELb0ES3_mN6thrust23THRUST_200600_302600_NS6detail15normal_iteratorINSA_10device_ptrIjEEEEPS6_SG_NS0_5tupleIJSF_S6_EEENSH_IJSG_SG_EEES6_PlJNSB_9not_fun_tINSB_10functional5actorINSM_9compositeIJNSM_27transparent_binary_operatorINSA_8equal_toIvEEEENSN_INSM_8argumentILj0EEEEENSM_5valueIjEEEEEEEEEEEE10hipError_tPvRmT3_T4_T5_T6_T7_T9_mT8_P12ihipStream_tbDpT10_ENKUlT_T0_E_clISt17integral_constantIbLb0EES1K_EEDaS1F_S1G_EUlS1F_E_NS1_11comp_targetILNS1_3genE5ELNS1_11target_archE942ELNS1_3gpuE9ELNS1_3repE0EEENS1_30default_config_static_selectorELNS0_4arch9wavefront6targetE0EEEvT1_.num_vgpr, 0
	.set _ZN7rocprim17ROCPRIM_400000_NS6detail17trampoline_kernelINS0_14default_configENS1_25partition_config_selectorILNS1_17partition_subalgoE6EjNS0_10empty_typeEbEEZZNS1_14partition_implILS5_6ELb0ES3_mN6thrust23THRUST_200600_302600_NS6detail15normal_iteratorINSA_10device_ptrIjEEEEPS6_SG_NS0_5tupleIJSF_S6_EEENSH_IJSG_SG_EEES6_PlJNSB_9not_fun_tINSB_10functional5actorINSM_9compositeIJNSM_27transparent_binary_operatorINSA_8equal_toIvEEEENSN_INSM_8argumentILj0EEEEENSM_5valueIjEEEEEEEEEEEE10hipError_tPvRmT3_T4_T5_T6_T7_T9_mT8_P12ihipStream_tbDpT10_ENKUlT_T0_E_clISt17integral_constantIbLb0EES1K_EEDaS1F_S1G_EUlS1F_E_NS1_11comp_targetILNS1_3genE5ELNS1_11target_archE942ELNS1_3gpuE9ELNS1_3repE0EEENS1_30default_config_static_selectorELNS0_4arch9wavefront6targetE0EEEvT1_.num_agpr, 0
	.set _ZN7rocprim17ROCPRIM_400000_NS6detail17trampoline_kernelINS0_14default_configENS1_25partition_config_selectorILNS1_17partition_subalgoE6EjNS0_10empty_typeEbEEZZNS1_14partition_implILS5_6ELb0ES3_mN6thrust23THRUST_200600_302600_NS6detail15normal_iteratorINSA_10device_ptrIjEEEEPS6_SG_NS0_5tupleIJSF_S6_EEENSH_IJSG_SG_EEES6_PlJNSB_9not_fun_tINSB_10functional5actorINSM_9compositeIJNSM_27transparent_binary_operatorINSA_8equal_toIvEEEENSN_INSM_8argumentILj0EEEEENSM_5valueIjEEEEEEEEEEEE10hipError_tPvRmT3_T4_T5_T6_T7_T9_mT8_P12ihipStream_tbDpT10_ENKUlT_T0_E_clISt17integral_constantIbLb0EES1K_EEDaS1F_S1G_EUlS1F_E_NS1_11comp_targetILNS1_3genE5ELNS1_11target_archE942ELNS1_3gpuE9ELNS1_3repE0EEENS1_30default_config_static_selectorELNS0_4arch9wavefront6targetE0EEEvT1_.numbered_sgpr, 0
	.set _ZN7rocprim17ROCPRIM_400000_NS6detail17trampoline_kernelINS0_14default_configENS1_25partition_config_selectorILNS1_17partition_subalgoE6EjNS0_10empty_typeEbEEZZNS1_14partition_implILS5_6ELb0ES3_mN6thrust23THRUST_200600_302600_NS6detail15normal_iteratorINSA_10device_ptrIjEEEEPS6_SG_NS0_5tupleIJSF_S6_EEENSH_IJSG_SG_EEES6_PlJNSB_9not_fun_tINSB_10functional5actorINSM_9compositeIJNSM_27transparent_binary_operatorINSA_8equal_toIvEEEENSN_INSM_8argumentILj0EEEEENSM_5valueIjEEEEEEEEEEEE10hipError_tPvRmT3_T4_T5_T6_T7_T9_mT8_P12ihipStream_tbDpT10_ENKUlT_T0_E_clISt17integral_constantIbLb0EES1K_EEDaS1F_S1G_EUlS1F_E_NS1_11comp_targetILNS1_3genE5ELNS1_11target_archE942ELNS1_3gpuE9ELNS1_3repE0EEENS1_30default_config_static_selectorELNS0_4arch9wavefront6targetE0EEEvT1_.num_named_barrier, 0
	.set _ZN7rocprim17ROCPRIM_400000_NS6detail17trampoline_kernelINS0_14default_configENS1_25partition_config_selectorILNS1_17partition_subalgoE6EjNS0_10empty_typeEbEEZZNS1_14partition_implILS5_6ELb0ES3_mN6thrust23THRUST_200600_302600_NS6detail15normal_iteratorINSA_10device_ptrIjEEEEPS6_SG_NS0_5tupleIJSF_S6_EEENSH_IJSG_SG_EEES6_PlJNSB_9not_fun_tINSB_10functional5actorINSM_9compositeIJNSM_27transparent_binary_operatorINSA_8equal_toIvEEEENSN_INSM_8argumentILj0EEEEENSM_5valueIjEEEEEEEEEEEE10hipError_tPvRmT3_T4_T5_T6_T7_T9_mT8_P12ihipStream_tbDpT10_ENKUlT_T0_E_clISt17integral_constantIbLb0EES1K_EEDaS1F_S1G_EUlS1F_E_NS1_11comp_targetILNS1_3genE5ELNS1_11target_archE942ELNS1_3gpuE9ELNS1_3repE0EEENS1_30default_config_static_selectorELNS0_4arch9wavefront6targetE0EEEvT1_.private_seg_size, 0
	.set _ZN7rocprim17ROCPRIM_400000_NS6detail17trampoline_kernelINS0_14default_configENS1_25partition_config_selectorILNS1_17partition_subalgoE6EjNS0_10empty_typeEbEEZZNS1_14partition_implILS5_6ELb0ES3_mN6thrust23THRUST_200600_302600_NS6detail15normal_iteratorINSA_10device_ptrIjEEEEPS6_SG_NS0_5tupleIJSF_S6_EEENSH_IJSG_SG_EEES6_PlJNSB_9not_fun_tINSB_10functional5actorINSM_9compositeIJNSM_27transparent_binary_operatorINSA_8equal_toIvEEEENSN_INSM_8argumentILj0EEEEENSM_5valueIjEEEEEEEEEEEE10hipError_tPvRmT3_T4_T5_T6_T7_T9_mT8_P12ihipStream_tbDpT10_ENKUlT_T0_E_clISt17integral_constantIbLb0EES1K_EEDaS1F_S1G_EUlS1F_E_NS1_11comp_targetILNS1_3genE5ELNS1_11target_archE942ELNS1_3gpuE9ELNS1_3repE0EEENS1_30default_config_static_selectorELNS0_4arch9wavefront6targetE0EEEvT1_.uses_vcc, 0
	.set _ZN7rocprim17ROCPRIM_400000_NS6detail17trampoline_kernelINS0_14default_configENS1_25partition_config_selectorILNS1_17partition_subalgoE6EjNS0_10empty_typeEbEEZZNS1_14partition_implILS5_6ELb0ES3_mN6thrust23THRUST_200600_302600_NS6detail15normal_iteratorINSA_10device_ptrIjEEEEPS6_SG_NS0_5tupleIJSF_S6_EEENSH_IJSG_SG_EEES6_PlJNSB_9not_fun_tINSB_10functional5actorINSM_9compositeIJNSM_27transparent_binary_operatorINSA_8equal_toIvEEEENSN_INSM_8argumentILj0EEEEENSM_5valueIjEEEEEEEEEEEE10hipError_tPvRmT3_T4_T5_T6_T7_T9_mT8_P12ihipStream_tbDpT10_ENKUlT_T0_E_clISt17integral_constantIbLb0EES1K_EEDaS1F_S1G_EUlS1F_E_NS1_11comp_targetILNS1_3genE5ELNS1_11target_archE942ELNS1_3gpuE9ELNS1_3repE0EEENS1_30default_config_static_selectorELNS0_4arch9wavefront6targetE0EEEvT1_.uses_flat_scratch, 0
	.set _ZN7rocprim17ROCPRIM_400000_NS6detail17trampoline_kernelINS0_14default_configENS1_25partition_config_selectorILNS1_17partition_subalgoE6EjNS0_10empty_typeEbEEZZNS1_14partition_implILS5_6ELb0ES3_mN6thrust23THRUST_200600_302600_NS6detail15normal_iteratorINSA_10device_ptrIjEEEEPS6_SG_NS0_5tupleIJSF_S6_EEENSH_IJSG_SG_EEES6_PlJNSB_9not_fun_tINSB_10functional5actorINSM_9compositeIJNSM_27transparent_binary_operatorINSA_8equal_toIvEEEENSN_INSM_8argumentILj0EEEEENSM_5valueIjEEEEEEEEEEEE10hipError_tPvRmT3_T4_T5_T6_T7_T9_mT8_P12ihipStream_tbDpT10_ENKUlT_T0_E_clISt17integral_constantIbLb0EES1K_EEDaS1F_S1G_EUlS1F_E_NS1_11comp_targetILNS1_3genE5ELNS1_11target_archE942ELNS1_3gpuE9ELNS1_3repE0EEENS1_30default_config_static_selectorELNS0_4arch9wavefront6targetE0EEEvT1_.has_dyn_sized_stack, 0
	.set _ZN7rocprim17ROCPRIM_400000_NS6detail17trampoline_kernelINS0_14default_configENS1_25partition_config_selectorILNS1_17partition_subalgoE6EjNS0_10empty_typeEbEEZZNS1_14partition_implILS5_6ELb0ES3_mN6thrust23THRUST_200600_302600_NS6detail15normal_iteratorINSA_10device_ptrIjEEEEPS6_SG_NS0_5tupleIJSF_S6_EEENSH_IJSG_SG_EEES6_PlJNSB_9not_fun_tINSB_10functional5actorINSM_9compositeIJNSM_27transparent_binary_operatorINSA_8equal_toIvEEEENSN_INSM_8argumentILj0EEEEENSM_5valueIjEEEEEEEEEEEE10hipError_tPvRmT3_T4_T5_T6_T7_T9_mT8_P12ihipStream_tbDpT10_ENKUlT_T0_E_clISt17integral_constantIbLb0EES1K_EEDaS1F_S1G_EUlS1F_E_NS1_11comp_targetILNS1_3genE5ELNS1_11target_archE942ELNS1_3gpuE9ELNS1_3repE0EEENS1_30default_config_static_selectorELNS0_4arch9wavefront6targetE0EEEvT1_.has_recursion, 0
	.set _ZN7rocprim17ROCPRIM_400000_NS6detail17trampoline_kernelINS0_14default_configENS1_25partition_config_selectorILNS1_17partition_subalgoE6EjNS0_10empty_typeEbEEZZNS1_14partition_implILS5_6ELb0ES3_mN6thrust23THRUST_200600_302600_NS6detail15normal_iteratorINSA_10device_ptrIjEEEEPS6_SG_NS0_5tupleIJSF_S6_EEENSH_IJSG_SG_EEES6_PlJNSB_9not_fun_tINSB_10functional5actorINSM_9compositeIJNSM_27transparent_binary_operatorINSA_8equal_toIvEEEENSN_INSM_8argumentILj0EEEEENSM_5valueIjEEEEEEEEEEEE10hipError_tPvRmT3_T4_T5_T6_T7_T9_mT8_P12ihipStream_tbDpT10_ENKUlT_T0_E_clISt17integral_constantIbLb0EES1K_EEDaS1F_S1G_EUlS1F_E_NS1_11comp_targetILNS1_3genE5ELNS1_11target_archE942ELNS1_3gpuE9ELNS1_3repE0EEENS1_30default_config_static_selectorELNS0_4arch9wavefront6targetE0EEEvT1_.has_indirect_call, 0
	.section	.AMDGPU.csdata,"",@progbits
; Kernel info:
; codeLenInByte = 0
; TotalNumSgprs: 0
; NumVgprs: 0
; ScratchSize: 0
; MemoryBound: 0
; FloatMode: 240
; IeeeMode: 1
; LDSByteSize: 0 bytes/workgroup (compile time only)
; SGPRBlocks: 0
; VGPRBlocks: 0
; NumSGPRsForWavesPerEU: 1
; NumVGPRsForWavesPerEU: 1
; Occupancy: 16
; WaveLimiterHint : 0
; COMPUTE_PGM_RSRC2:SCRATCH_EN: 0
; COMPUTE_PGM_RSRC2:USER_SGPR: 2
; COMPUTE_PGM_RSRC2:TRAP_HANDLER: 0
; COMPUTE_PGM_RSRC2:TGID_X_EN: 1
; COMPUTE_PGM_RSRC2:TGID_Y_EN: 0
; COMPUTE_PGM_RSRC2:TGID_Z_EN: 0
; COMPUTE_PGM_RSRC2:TIDIG_COMP_CNT: 0
	.section	.text._ZN7rocprim17ROCPRIM_400000_NS6detail17trampoline_kernelINS0_14default_configENS1_25partition_config_selectorILNS1_17partition_subalgoE6EjNS0_10empty_typeEbEEZZNS1_14partition_implILS5_6ELb0ES3_mN6thrust23THRUST_200600_302600_NS6detail15normal_iteratorINSA_10device_ptrIjEEEEPS6_SG_NS0_5tupleIJSF_S6_EEENSH_IJSG_SG_EEES6_PlJNSB_9not_fun_tINSB_10functional5actorINSM_9compositeIJNSM_27transparent_binary_operatorINSA_8equal_toIvEEEENSN_INSM_8argumentILj0EEEEENSM_5valueIjEEEEEEEEEEEE10hipError_tPvRmT3_T4_T5_T6_T7_T9_mT8_P12ihipStream_tbDpT10_ENKUlT_T0_E_clISt17integral_constantIbLb0EES1K_EEDaS1F_S1G_EUlS1F_E_NS1_11comp_targetILNS1_3genE4ELNS1_11target_archE910ELNS1_3gpuE8ELNS1_3repE0EEENS1_30default_config_static_selectorELNS0_4arch9wavefront6targetE0EEEvT1_,"axG",@progbits,_ZN7rocprim17ROCPRIM_400000_NS6detail17trampoline_kernelINS0_14default_configENS1_25partition_config_selectorILNS1_17partition_subalgoE6EjNS0_10empty_typeEbEEZZNS1_14partition_implILS5_6ELb0ES3_mN6thrust23THRUST_200600_302600_NS6detail15normal_iteratorINSA_10device_ptrIjEEEEPS6_SG_NS0_5tupleIJSF_S6_EEENSH_IJSG_SG_EEES6_PlJNSB_9not_fun_tINSB_10functional5actorINSM_9compositeIJNSM_27transparent_binary_operatorINSA_8equal_toIvEEEENSN_INSM_8argumentILj0EEEEENSM_5valueIjEEEEEEEEEEEE10hipError_tPvRmT3_T4_T5_T6_T7_T9_mT8_P12ihipStream_tbDpT10_ENKUlT_T0_E_clISt17integral_constantIbLb0EES1K_EEDaS1F_S1G_EUlS1F_E_NS1_11comp_targetILNS1_3genE4ELNS1_11target_archE910ELNS1_3gpuE8ELNS1_3repE0EEENS1_30default_config_static_selectorELNS0_4arch9wavefront6targetE0EEEvT1_,comdat
	.protected	_ZN7rocprim17ROCPRIM_400000_NS6detail17trampoline_kernelINS0_14default_configENS1_25partition_config_selectorILNS1_17partition_subalgoE6EjNS0_10empty_typeEbEEZZNS1_14partition_implILS5_6ELb0ES3_mN6thrust23THRUST_200600_302600_NS6detail15normal_iteratorINSA_10device_ptrIjEEEEPS6_SG_NS0_5tupleIJSF_S6_EEENSH_IJSG_SG_EEES6_PlJNSB_9not_fun_tINSB_10functional5actorINSM_9compositeIJNSM_27transparent_binary_operatorINSA_8equal_toIvEEEENSN_INSM_8argumentILj0EEEEENSM_5valueIjEEEEEEEEEEEE10hipError_tPvRmT3_T4_T5_T6_T7_T9_mT8_P12ihipStream_tbDpT10_ENKUlT_T0_E_clISt17integral_constantIbLb0EES1K_EEDaS1F_S1G_EUlS1F_E_NS1_11comp_targetILNS1_3genE4ELNS1_11target_archE910ELNS1_3gpuE8ELNS1_3repE0EEENS1_30default_config_static_selectorELNS0_4arch9wavefront6targetE0EEEvT1_ ; -- Begin function _ZN7rocprim17ROCPRIM_400000_NS6detail17trampoline_kernelINS0_14default_configENS1_25partition_config_selectorILNS1_17partition_subalgoE6EjNS0_10empty_typeEbEEZZNS1_14partition_implILS5_6ELb0ES3_mN6thrust23THRUST_200600_302600_NS6detail15normal_iteratorINSA_10device_ptrIjEEEEPS6_SG_NS0_5tupleIJSF_S6_EEENSH_IJSG_SG_EEES6_PlJNSB_9not_fun_tINSB_10functional5actorINSM_9compositeIJNSM_27transparent_binary_operatorINSA_8equal_toIvEEEENSN_INSM_8argumentILj0EEEEENSM_5valueIjEEEEEEEEEEEE10hipError_tPvRmT3_T4_T5_T6_T7_T9_mT8_P12ihipStream_tbDpT10_ENKUlT_T0_E_clISt17integral_constantIbLb0EES1K_EEDaS1F_S1G_EUlS1F_E_NS1_11comp_targetILNS1_3genE4ELNS1_11target_archE910ELNS1_3gpuE8ELNS1_3repE0EEENS1_30default_config_static_selectorELNS0_4arch9wavefront6targetE0EEEvT1_
	.globl	_ZN7rocprim17ROCPRIM_400000_NS6detail17trampoline_kernelINS0_14default_configENS1_25partition_config_selectorILNS1_17partition_subalgoE6EjNS0_10empty_typeEbEEZZNS1_14partition_implILS5_6ELb0ES3_mN6thrust23THRUST_200600_302600_NS6detail15normal_iteratorINSA_10device_ptrIjEEEEPS6_SG_NS0_5tupleIJSF_S6_EEENSH_IJSG_SG_EEES6_PlJNSB_9not_fun_tINSB_10functional5actorINSM_9compositeIJNSM_27transparent_binary_operatorINSA_8equal_toIvEEEENSN_INSM_8argumentILj0EEEEENSM_5valueIjEEEEEEEEEEEE10hipError_tPvRmT3_T4_T5_T6_T7_T9_mT8_P12ihipStream_tbDpT10_ENKUlT_T0_E_clISt17integral_constantIbLb0EES1K_EEDaS1F_S1G_EUlS1F_E_NS1_11comp_targetILNS1_3genE4ELNS1_11target_archE910ELNS1_3gpuE8ELNS1_3repE0EEENS1_30default_config_static_selectorELNS0_4arch9wavefront6targetE0EEEvT1_
	.p2align	8
	.type	_ZN7rocprim17ROCPRIM_400000_NS6detail17trampoline_kernelINS0_14default_configENS1_25partition_config_selectorILNS1_17partition_subalgoE6EjNS0_10empty_typeEbEEZZNS1_14partition_implILS5_6ELb0ES3_mN6thrust23THRUST_200600_302600_NS6detail15normal_iteratorINSA_10device_ptrIjEEEEPS6_SG_NS0_5tupleIJSF_S6_EEENSH_IJSG_SG_EEES6_PlJNSB_9not_fun_tINSB_10functional5actorINSM_9compositeIJNSM_27transparent_binary_operatorINSA_8equal_toIvEEEENSN_INSM_8argumentILj0EEEEENSM_5valueIjEEEEEEEEEEEE10hipError_tPvRmT3_T4_T5_T6_T7_T9_mT8_P12ihipStream_tbDpT10_ENKUlT_T0_E_clISt17integral_constantIbLb0EES1K_EEDaS1F_S1G_EUlS1F_E_NS1_11comp_targetILNS1_3genE4ELNS1_11target_archE910ELNS1_3gpuE8ELNS1_3repE0EEENS1_30default_config_static_selectorELNS0_4arch9wavefront6targetE0EEEvT1_,@function
_ZN7rocprim17ROCPRIM_400000_NS6detail17trampoline_kernelINS0_14default_configENS1_25partition_config_selectorILNS1_17partition_subalgoE6EjNS0_10empty_typeEbEEZZNS1_14partition_implILS5_6ELb0ES3_mN6thrust23THRUST_200600_302600_NS6detail15normal_iteratorINSA_10device_ptrIjEEEEPS6_SG_NS0_5tupleIJSF_S6_EEENSH_IJSG_SG_EEES6_PlJNSB_9not_fun_tINSB_10functional5actorINSM_9compositeIJNSM_27transparent_binary_operatorINSA_8equal_toIvEEEENSN_INSM_8argumentILj0EEEEENSM_5valueIjEEEEEEEEEEEE10hipError_tPvRmT3_T4_T5_T6_T7_T9_mT8_P12ihipStream_tbDpT10_ENKUlT_T0_E_clISt17integral_constantIbLb0EES1K_EEDaS1F_S1G_EUlS1F_E_NS1_11comp_targetILNS1_3genE4ELNS1_11target_archE910ELNS1_3gpuE8ELNS1_3repE0EEENS1_30default_config_static_selectorELNS0_4arch9wavefront6targetE0EEEvT1_: ; @_ZN7rocprim17ROCPRIM_400000_NS6detail17trampoline_kernelINS0_14default_configENS1_25partition_config_selectorILNS1_17partition_subalgoE6EjNS0_10empty_typeEbEEZZNS1_14partition_implILS5_6ELb0ES3_mN6thrust23THRUST_200600_302600_NS6detail15normal_iteratorINSA_10device_ptrIjEEEEPS6_SG_NS0_5tupleIJSF_S6_EEENSH_IJSG_SG_EEES6_PlJNSB_9not_fun_tINSB_10functional5actorINSM_9compositeIJNSM_27transparent_binary_operatorINSA_8equal_toIvEEEENSN_INSM_8argumentILj0EEEEENSM_5valueIjEEEEEEEEEEEE10hipError_tPvRmT3_T4_T5_T6_T7_T9_mT8_P12ihipStream_tbDpT10_ENKUlT_T0_E_clISt17integral_constantIbLb0EES1K_EEDaS1F_S1G_EUlS1F_E_NS1_11comp_targetILNS1_3genE4ELNS1_11target_archE910ELNS1_3gpuE8ELNS1_3repE0EEENS1_30default_config_static_selectorELNS0_4arch9wavefront6targetE0EEEvT1_
; %bb.0:
	.section	.rodata,"a",@progbits
	.p2align	6, 0x0
	.amdhsa_kernel _ZN7rocprim17ROCPRIM_400000_NS6detail17trampoline_kernelINS0_14default_configENS1_25partition_config_selectorILNS1_17partition_subalgoE6EjNS0_10empty_typeEbEEZZNS1_14partition_implILS5_6ELb0ES3_mN6thrust23THRUST_200600_302600_NS6detail15normal_iteratorINSA_10device_ptrIjEEEEPS6_SG_NS0_5tupleIJSF_S6_EEENSH_IJSG_SG_EEES6_PlJNSB_9not_fun_tINSB_10functional5actorINSM_9compositeIJNSM_27transparent_binary_operatorINSA_8equal_toIvEEEENSN_INSM_8argumentILj0EEEEENSM_5valueIjEEEEEEEEEEEE10hipError_tPvRmT3_T4_T5_T6_T7_T9_mT8_P12ihipStream_tbDpT10_ENKUlT_T0_E_clISt17integral_constantIbLb0EES1K_EEDaS1F_S1G_EUlS1F_E_NS1_11comp_targetILNS1_3genE4ELNS1_11target_archE910ELNS1_3gpuE8ELNS1_3repE0EEENS1_30default_config_static_selectorELNS0_4arch9wavefront6targetE0EEEvT1_
		.amdhsa_group_segment_fixed_size 0
		.amdhsa_private_segment_fixed_size 0
		.amdhsa_kernarg_size 120
		.amdhsa_user_sgpr_count 2
		.amdhsa_user_sgpr_dispatch_ptr 0
		.amdhsa_user_sgpr_queue_ptr 0
		.amdhsa_user_sgpr_kernarg_segment_ptr 1
		.amdhsa_user_sgpr_dispatch_id 0
		.amdhsa_user_sgpr_private_segment_size 0
		.amdhsa_wavefront_size32 1
		.amdhsa_uses_dynamic_stack 0
		.amdhsa_enable_private_segment 0
		.amdhsa_system_sgpr_workgroup_id_x 1
		.amdhsa_system_sgpr_workgroup_id_y 0
		.amdhsa_system_sgpr_workgroup_id_z 0
		.amdhsa_system_sgpr_workgroup_info 0
		.amdhsa_system_vgpr_workitem_id 0
		.amdhsa_next_free_vgpr 1
		.amdhsa_next_free_sgpr 1
		.amdhsa_reserve_vcc 0
		.amdhsa_float_round_mode_32 0
		.amdhsa_float_round_mode_16_64 0
		.amdhsa_float_denorm_mode_32 3
		.amdhsa_float_denorm_mode_16_64 3
		.amdhsa_fp16_overflow 0
		.amdhsa_workgroup_processor_mode 1
		.amdhsa_memory_ordered 1
		.amdhsa_forward_progress 1
		.amdhsa_inst_pref_size 0
		.amdhsa_round_robin_scheduling 0
		.amdhsa_exception_fp_ieee_invalid_op 0
		.amdhsa_exception_fp_denorm_src 0
		.amdhsa_exception_fp_ieee_div_zero 0
		.amdhsa_exception_fp_ieee_overflow 0
		.amdhsa_exception_fp_ieee_underflow 0
		.amdhsa_exception_fp_ieee_inexact 0
		.amdhsa_exception_int_div_zero 0
	.end_amdhsa_kernel
	.section	.text._ZN7rocprim17ROCPRIM_400000_NS6detail17trampoline_kernelINS0_14default_configENS1_25partition_config_selectorILNS1_17partition_subalgoE6EjNS0_10empty_typeEbEEZZNS1_14partition_implILS5_6ELb0ES3_mN6thrust23THRUST_200600_302600_NS6detail15normal_iteratorINSA_10device_ptrIjEEEEPS6_SG_NS0_5tupleIJSF_S6_EEENSH_IJSG_SG_EEES6_PlJNSB_9not_fun_tINSB_10functional5actorINSM_9compositeIJNSM_27transparent_binary_operatorINSA_8equal_toIvEEEENSN_INSM_8argumentILj0EEEEENSM_5valueIjEEEEEEEEEEEE10hipError_tPvRmT3_T4_T5_T6_T7_T9_mT8_P12ihipStream_tbDpT10_ENKUlT_T0_E_clISt17integral_constantIbLb0EES1K_EEDaS1F_S1G_EUlS1F_E_NS1_11comp_targetILNS1_3genE4ELNS1_11target_archE910ELNS1_3gpuE8ELNS1_3repE0EEENS1_30default_config_static_selectorELNS0_4arch9wavefront6targetE0EEEvT1_,"axG",@progbits,_ZN7rocprim17ROCPRIM_400000_NS6detail17trampoline_kernelINS0_14default_configENS1_25partition_config_selectorILNS1_17partition_subalgoE6EjNS0_10empty_typeEbEEZZNS1_14partition_implILS5_6ELb0ES3_mN6thrust23THRUST_200600_302600_NS6detail15normal_iteratorINSA_10device_ptrIjEEEEPS6_SG_NS0_5tupleIJSF_S6_EEENSH_IJSG_SG_EEES6_PlJNSB_9not_fun_tINSB_10functional5actorINSM_9compositeIJNSM_27transparent_binary_operatorINSA_8equal_toIvEEEENSN_INSM_8argumentILj0EEEEENSM_5valueIjEEEEEEEEEEEE10hipError_tPvRmT3_T4_T5_T6_T7_T9_mT8_P12ihipStream_tbDpT10_ENKUlT_T0_E_clISt17integral_constantIbLb0EES1K_EEDaS1F_S1G_EUlS1F_E_NS1_11comp_targetILNS1_3genE4ELNS1_11target_archE910ELNS1_3gpuE8ELNS1_3repE0EEENS1_30default_config_static_selectorELNS0_4arch9wavefront6targetE0EEEvT1_,comdat
.Lfunc_end115:
	.size	_ZN7rocprim17ROCPRIM_400000_NS6detail17trampoline_kernelINS0_14default_configENS1_25partition_config_selectorILNS1_17partition_subalgoE6EjNS0_10empty_typeEbEEZZNS1_14partition_implILS5_6ELb0ES3_mN6thrust23THRUST_200600_302600_NS6detail15normal_iteratorINSA_10device_ptrIjEEEEPS6_SG_NS0_5tupleIJSF_S6_EEENSH_IJSG_SG_EEES6_PlJNSB_9not_fun_tINSB_10functional5actorINSM_9compositeIJNSM_27transparent_binary_operatorINSA_8equal_toIvEEEENSN_INSM_8argumentILj0EEEEENSM_5valueIjEEEEEEEEEEEE10hipError_tPvRmT3_T4_T5_T6_T7_T9_mT8_P12ihipStream_tbDpT10_ENKUlT_T0_E_clISt17integral_constantIbLb0EES1K_EEDaS1F_S1G_EUlS1F_E_NS1_11comp_targetILNS1_3genE4ELNS1_11target_archE910ELNS1_3gpuE8ELNS1_3repE0EEENS1_30default_config_static_selectorELNS0_4arch9wavefront6targetE0EEEvT1_, .Lfunc_end115-_ZN7rocprim17ROCPRIM_400000_NS6detail17trampoline_kernelINS0_14default_configENS1_25partition_config_selectorILNS1_17partition_subalgoE6EjNS0_10empty_typeEbEEZZNS1_14partition_implILS5_6ELb0ES3_mN6thrust23THRUST_200600_302600_NS6detail15normal_iteratorINSA_10device_ptrIjEEEEPS6_SG_NS0_5tupleIJSF_S6_EEENSH_IJSG_SG_EEES6_PlJNSB_9not_fun_tINSB_10functional5actorINSM_9compositeIJNSM_27transparent_binary_operatorINSA_8equal_toIvEEEENSN_INSM_8argumentILj0EEEEENSM_5valueIjEEEEEEEEEEEE10hipError_tPvRmT3_T4_T5_T6_T7_T9_mT8_P12ihipStream_tbDpT10_ENKUlT_T0_E_clISt17integral_constantIbLb0EES1K_EEDaS1F_S1G_EUlS1F_E_NS1_11comp_targetILNS1_3genE4ELNS1_11target_archE910ELNS1_3gpuE8ELNS1_3repE0EEENS1_30default_config_static_selectorELNS0_4arch9wavefront6targetE0EEEvT1_
                                        ; -- End function
	.set _ZN7rocprim17ROCPRIM_400000_NS6detail17trampoline_kernelINS0_14default_configENS1_25partition_config_selectorILNS1_17partition_subalgoE6EjNS0_10empty_typeEbEEZZNS1_14partition_implILS5_6ELb0ES3_mN6thrust23THRUST_200600_302600_NS6detail15normal_iteratorINSA_10device_ptrIjEEEEPS6_SG_NS0_5tupleIJSF_S6_EEENSH_IJSG_SG_EEES6_PlJNSB_9not_fun_tINSB_10functional5actorINSM_9compositeIJNSM_27transparent_binary_operatorINSA_8equal_toIvEEEENSN_INSM_8argumentILj0EEEEENSM_5valueIjEEEEEEEEEEEE10hipError_tPvRmT3_T4_T5_T6_T7_T9_mT8_P12ihipStream_tbDpT10_ENKUlT_T0_E_clISt17integral_constantIbLb0EES1K_EEDaS1F_S1G_EUlS1F_E_NS1_11comp_targetILNS1_3genE4ELNS1_11target_archE910ELNS1_3gpuE8ELNS1_3repE0EEENS1_30default_config_static_selectorELNS0_4arch9wavefront6targetE0EEEvT1_.num_vgpr, 0
	.set _ZN7rocprim17ROCPRIM_400000_NS6detail17trampoline_kernelINS0_14default_configENS1_25partition_config_selectorILNS1_17partition_subalgoE6EjNS0_10empty_typeEbEEZZNS1_14partition_implILS5_6ELb0ES3_mN6thrust23THRUST_200600_302600_NS6detail15normal_iteratorINSA_10device_ptrIjEEEEPS6_SG_NS0_5tupleIJSF_S6_EEENSH_IJSG_SG_EEES6_PlJNSB_9not_fun_tINSB_10functional5actorINSM_9compositeIJNSM_27transparent_binary_operatorINSA_8equal_toIvEEEENSN_INSM_8argumentILj0EEEEENSM_5valueIjEEEEEEEEEEEE10hipError_tPvRmT3_T4_T5_T6_T7_T9_mT8_P12ihipStream_tbDpT10_ENKUlT_T0_E_clISt17integral_constantIbLb0EES1K_EEDaS1F_S1G_EUlS1F_E_NS1_11comp_targetILNS1_3genE4ELNS1_11target_archE910ELNS1_3gpuE8ELNS1_3repE0EEENS1_30default_config_static_selectorELNS0_4arch9wavefront6targetE0EEEvT1_.num_agpr, 0
	.set _ZN7rocprim17ROCPRIM_400000_NS6detail17trampoline_kernelINS0_14default_configENS1_25partition_config_selectorILNS1_17partition_subalgoE6EjNS0_10empty_typeEbEEZZNS1_14partition_implILS5_6ELb0ES3_mN6thrust23THRUST_200600_302600_NS6detail15normal_iteratorINSA_10device_ptrIjEEEEPS6_SG_NS0_5tupleIJSF_S6_EEENSH_IJSG_SG_EEES6_PlJNSB_9not_fun_tINSB_10functional5actorINSM_9compositeIJNSM_27transparent_binary_operatorINSA_8equal_toIvEEEENSN_INSM_8argumentILj0EEEEENSM_5valueIjEEEEEEEEEEEE10hipError_tPvRmT3_T4_T5_T6_T7_T9_mT8_P12ihipStream_tbDpT10_ENKUlT_T0_E_clISt17integral_constantIbLb0EES1K_EEDaS1F_S1G_EUlS1F_E_NS1_11comp_targetILNS1_3genE4ELNS1_11target_archE910ELNS1_3gpuE8ELNS1_3repE0EEENS1_30default_config_static_selectorELNS0_4arch9wavefront6targetE0EEEvT1_.numbered_sgpr, 0
	.set _ZN7rocprim17ROCPRIM_400000_NS6detail17trampoline_kernelINS0_14default_configENS1_25partition_config_selectorILNS1_17partition_subalgoE6EjNS0_10empty_typeEbEEZZNS1_14partition_implILS5_6ELb0ES3_mN6thrust23THRUST_200600_302600_NS6detail15normal_iteratorINSA_10device_ptrIjEEEEPS6_SG_NS0_5tupleIJSF_S6_EEENSH_IJSG_SG_EEES6_PlJNSB_9not_fun_tINSB_10functional5actorINSM_9compositeIJNSM_27transparent_binary_operatorINSA_8equal_toIvEEEENSN_INSM_8argumentILj0EEEEENSM_5valueIjEEEEEEEEEEEE10hipError_tPvRmT3_T4_T5_T6_T7_T9_mT8_P12ihipStream_tbDpT10_ENKUlT_T0_E_clISt17integral_constantIbLb0EES1K_EEDaS1F_S1G_EUlS1F_E_NS1_11comp_targetILNS1_3genE4ELNS1_11target_archE910ELNS1_3gpuE8ELNS1_3repE0EEENS1_30default_config_static_selectorELNS0_4arch9wavefront6targetE0EEEvT1_.num_named_barrier, 0
	.set _ZN7rocprim17ROCPRIM_400000_NS6detail17trampoline_kernelINS0_14default_configENS1_25partition_config_selectorILNS1_17partition_subalgoE6EjNS0_10empty_typeEbEEZZNS1_14partition_implILS5_6ELb0ES3_mN6thrust23THRUST_200600_302600_NS6detail15normal_iteratorINSA_10device_ptrIjEEEEPS6_SG_NS0_5tupleIJSF_S6_EEENSH_IJSG_SG_EEES6_PlJNSB_9not_fun_tINSB_10functional5actorINSM_9compositeIJNSM_27transparent_binary_operatorINSA_8equal_toIvEEEENSN_INSM_8argumentILj0EEEEENSM_5valueIjEEEEEEEEEEEE10hipError_tPvRmT3_T4_T5_T6_T7_T9_mT8_P12ihipStream_tbDpT10_ENKUlT_T0_E_clISt17integral_constantIbLb0EES1K_EEDaS1F_S1G_EUlS1F_E_NS1_11comp_targetILNS1_3genE4ELNS1_11target_archE910ELNS1_3gpuE8ELNS1_3repE0EEENS1_30default_config_static_selectorELNS0_4arch9wavefront6targetE0EEEvT1_.private_seg_size, 0
	.set _ZN7rocprim17ROCPRIM_400000_NS6detail17trampoline_kernelINS0_14default_configENS1_25partition_config_selectorILNS1_17partition_subalgoE6EjNS0_10empty_typeEbEEZZNS1_14partition_implILS5_6ELb0ES3_mN6thrust23THRUST_200600_302600_NS6detail15normal_iteratorINSA_10device_ptrIjEEEEPS6_SG_NS0_5tupleIJSF_S6_EEENSH_IJSG_SG_EEES6_PlJNSB_9not_fun_tINSB_10functional5actorINSM_9compositeIJNSM_27transparent_binary_operatorINSA_8equal_toIvEEEENSN_INSM_8argumentILj0EEEEENSM_5valueIjEEEEEEEEEEEE10hipError_tPvRmT3_T4_T5_T6_T7_T9_mT8_P12ihipStream_tbDpT10_ENKUlT_T0_E_clISt17integral_constantIbLb0EES1K_EEDaS1F_S1G_EUlS1F_E_NS1_11comp_targetILNS1_3genE4ELNS1_11target_archE910ELNS1_3gpuE8ELNS1_3repE0EEENS1_30default_config_static_selectorELNS0_4arch9wavefront6targetE0EEEvT1_.uses_vcc, 0
	.set _ZN7rocprim17ROCPRIM_400000_NS6detail17trampoline_kernelINS0_14default_configENS1_25partition_config_selectorILNS1_17partition_subalgoE6EjNS0_10empty_typeEbEEZZNS1_14partition_implILS5_6ELb0ES3_mN6thrust23THRUST_200600_302600_NS6detail15normal_iteratorINSA_10device_ptrIjEEEEPS6_SG_NS0_5tupleIJSF_S6_EEENSH_IJSG_SG_EEES6_PlJNSB_9not_fun_tINSB_10functional5actorINSM_9compositeIJNSM_27transparent_binary_operatorINSA_8equal_toIvEEEENSN_INSM_8argumentILj0EEEEENSM_5valueIjEEEEEEEEEEEE10hipError_tPvRmT3_T4_T5_T6_T7_T9_mT8_P12ihipStream_tbDpT10_ENKUlT_T0_E_clISt17integral_constantIbLb0EES1K_EEDaS1F_S1G_EUlS1F_E_NS1_11comp_targetILNS1_3genE4ELNS1_11target_archE910ELNS1_3gpuE8ELNS1_3repE0EEENS1_30default_config_static_selectorELNS0_4arch9wavefront6targetE0EEEvT1_.uses_flat_scratch, 0
	.set _ZN7rocprim17ROCPRIM_400000_NS6detail17trampoline_kernelINS0_14default_configENS1_25partition_config_selectorILNS1_17partition_subalgoE6EjNS0_10empty_typeEbEEZZNS1_14partition_implILS5_6ELb0ES3_mN6thrust23THRUST_200600_302600_NS6detail15normal_iteratorINSA_10device_ptrIjEEEEPS6_SG_NS0_5tupleIJSF_S6_EEENSH_IJSG_SG_EEES6_PlJNSB_9not_fun_tINSB_10functional5actorINSM_9compositeIJNSM_27transparent_binary_operatorINSA_8equal_toIvEEEENSN_INSM_8argumentILj0EEEEENSM_5valueIjEEEEEEEEEEEE10hipError_tPvRmT3_T4_T5_T6_T7_T9_mT8_P12ihipStream_tbDpT10_ENKUlT_T0_E_clISt17integral_constantIbLb0EES1K_EEDaS1F_S1G_EUlS1F_E_NS1_11comp_targetILNS1_3genE4ELNS1_11target_archE910ELNS1_3gpuE8ELNS1_3repE0EEENS1_30default_config_static_selectorELNS0_4arch9wavefront6targetE0EEEvT1_.has_dyn_sized_stack, 0
	.set _ZN7rocprim17ROCPRIM_400000_NS6detail17trampoline_kernelINS0_14default_configENS1_25partition_config_selectorILNS1_17partition_subalgoE6EjNS0_10empty_typeEbEEZZNS1_14partition_implILS5_6ELb0ES3_mN6thrust23THRUST_200600_302600_NS6detail15normal_iteratorINSA_10device_ptrIjEEEEPS6_SG_NS0_5tupleIJSF_S6_EEENSH_IJSG_SG_EEES6_PlJNSB_9not_fun_tINSB_10functional5actorINSM_9compositeIJNSM_27transparent_binary_operatorINSA_8equal_toIvEEEENSN_INSM_8argumentILj0EEEEENSM_5valueIjEEEEEEEEEEEE10hipError_tPvRmT3_T4_T5_T6_T7_T9_mT8_P12ihipStream_tbDpT10_ENKUlT_T0_E_clISt17integral_constantIbLb0EES1K_EEDaS1F_S1G_EUlS1F_E_NS1_11comp_targetILNS1_3genE4ELNS1_11target_archE910ELNS1_3gpuE8ELNS1_3repE0EEENS1_30default_config_static_selectorELNS0_4arch9wavefront6targetE0EEEvT1_.has_recursion, 0
	.set _ZN7rocprim17ROCPRIM_400000_NS6detail17trampoline_kernelINS0_14default_configENS1_25partition_config_selectorILNS1_17partition_subalgoE6EjNS0_10empty_typeEbEEZZNS1_14partition_implILS5_6ELb0ES3_mN6thrust23THRUST_200600_302600_NS6detail15normal_iteratorINSA_10device_ptrIjEEEEPS6_SG_NS0_5tupleIJSF_S6_EEENSH_IJSG_SG_EEES6_PlJNSB_9not_fun_tINSB_10functional5actorINSM_9compositeIJNSM_27transparent_binary_operatorINSA_8equal_toIvEEEENSN_INSM_8argumentILj0EEEEENSM_5valueIjEEEEEEEEEEEE10hipError_tPvRmT3_T4_T5_T6_T7_T9_mT8_P12ihipStream_tbDpT10_ENKUlT_T0_E_clISt17integral_constantIbLb0EES1K_EEDaS1F_S1G_EUlS1F_E_NS1_11comp_targetILNS1_3genE4ELNS1_11target_archE910ELNS1_3gpuE8ELNS1_3repE0EEENS1_30default_config_static_selectorELNS0_4arch9wavefront6targetE0EEEvT1_.has_indirect_call, 0
	.section	.AMDGPU.csdata,"",@progbits
; Kernel info:
; codeLenInByte = 0
; TotalNumSgprs: 0
; NumVgprs: 0
; ScratchSize: 0
; MemoryBound: 0
; FloatMode: 240
; IeeeMode: 1
; LDSByteSize: 0 bytes/workgroup (compile time only)
; SGPRBlocks: 0
; VGPRBlocks: 0
; NumSGPRsForWavesPerEU: 1
; NumVGPRsForWavesPerEU: 1
; Occupancy: 16
; WaveLimiterHint : 0
; COMPUTE_PGM_RSRC2:SCRATCH_EN: 0
; COMPUTE_PGM_RSRC2:USER_SGPR: 2
; COMPUTE_PGM_RSRC2:TRAP_HANDLER: 0
; COMPUTE_PGM_RSRC2:TGID_X_EN: 1
; COMPUTE_PGM_RSRC2:TGID_Y_EN: 0
; COMPUTE_PGM_RSRC2:TGID_Z_EN: 0
; COMPUTE_PGM_RSRC2:TIDIG_COMP_CNT: 0
	.section	.text._ZN7rocprim17ROCPRIM_400000_NS6detail17trampoline_kernelINS0_14default_configENS1_25partition_config_selectorILNS1_17partition_subalgoE6EjNS0_10empty_typeEbEEZZNS1_14partition_implILS5_6ELb0ES3_mN6thrust23THRUST_200600_302600_NS6detail15normal_iteratorINSA_10device_ptrIjEEEEPS6_SG_NS0_5tupleIJSF_S6_EEENSH_IJSG_SG_EEES6_PlJNSB_9not_fun_tINSB_10functional5actorINSM_9compositeIJNSM_27transparent_binary_operatorINSA_8equal_toIvEEEENSN_INSM_8argumentILj0EEEEENSM_5valueIjEEEEEEEEEEEE10hipError_tPvRmT3_T4_T5_T6_T7_T9_mT8_P12ihipStream_tbDpT10_ENKUlT_T0_E_clISt17integral_constantIbLb0EES1K_EEDaS1F_S1G_EUlS1F_E_NS1_11comp_targetILNS1_3genE3ELNS1_11target_archE908ELNS1_3gpuE7ELNS1_3repE0EEENS1_30default_config_static_selectorELNS0_4arch9wavefront6targetE0EEEvT1_,"axG",@progbits,_ZN7rocprim17ROCPRIM_400000_NS6detail17trampoline_kernelINS0_14default_configENS1_25partition_config_selectorILNS1_17partition_subalgoE6EjNS0_10empty_typeEbEEZZNS1_14partition_implILS5_6ELb0ES3_mN6thrust23THRUST_200600_302600_NS6detail15normal_iteratorINSA_10device_ptrIjEEEEPS6_SG_NS0_5tupleIJSF_S6_EEENSH_IJSG_SG_EEES6_PlJNSB_9not_fun_tINSB_10functional5actorINSM_9compositeIJNSM_27transparent_binary_operatorINSA_8equal_toIvEEEENSN_INSM_8argumentILj0EEEEENSM_5valueIjEEEEEEEEEEEE10hipError_tPvRmT3_T4_T5_T6_T7_T9_mT8_P12ihipStream_tbDpT10_ENKUlT_T0_E_clISt17integral_constantIbLb0EES1K_EEDaS1F_S1G_EUlS1F_E_NS1_11comp_targetILNS1_3genE3ELNS1_11target_archE908ELNS1_3gpuE7ELNS1_3repE0EEENS1_30default_config_static_selectorELNS0_4arch9wavefront6targetE0EEEvT1_,comdat
	.protected	_ZN7rocprim17ROCPRIM_400000_NS6detail17trampoline_kernelINS0_14default_configENS1_25partition_config_selectorILNS1_17partition_subalgoE6EjNS0_10empty_typeEbEEZZNS1_14partition_implILS5_6ELb0ES3_mN6thrust23THRUST_200600_302600_NS6detail15normal_iteratorINSA_10device_ptrIjEEEEPS6_SG_NS0_5tupleIJSF_S6_EEENSH_IJSG_SG_EEES6_PlJNSB_9not_fun_tINSB_10functional5actorINSM_9compositeIJNSM_27transparent_binary_operatorINSA_8equal_toIvEEEENSN_INSM_8argumentILj0EEEEENSM_5valueIjEEEEEEEEEEEE10hipError_tPvRmT3_T4_T5_T6_T7_T9_mT8_P12ihipStream_tbDpT10_ENKUlT_T0_E_clISt17integral_constantIbLb0EES1K_EEDaS1F_S1G_EUlS1F_E_NS1_11comp_targetILNS1_3genE3ELNS1_11target_archE908ELNS1_3gpuE7ELNS1_3repE0EEENS1_30default_config_static_selectorELNS0_4arch9wavefront6targetE0EEEvT1_ ; -- Begin function _ZN7rocprim17ROCPRIM_400000_NS6detail17trampoline_kernelINS0_14default_configENS1_25partition_config_selectorILNS1_17partition_subalgoE6EjNS0_10empty_typeEbEEZZNS1_14partition_implILS5_6ELb0ES3_mN6thrust23THRUST_200600_302600_NS6detail15normal_iteratorINSA_10device_ptrIjEEEEPS6_SG_NS0_5tupleIJSF_S6_EEENSH_IJSG_SG_EEES6_PlJNSB_9not_fun_tINSB_10functional5actorINSM_9compositeIJNSM_27transparent_binary_operatorINSA_8equal_toIvEEEENSN_INSM_8argumentILj0EEEEENSM_5valueIjEEEEEEEEEEEE10hipError_tPvRmT3_T4_T5_T6_T7_T9_mT8_P12ihipStream_tbDpT10_ENKUlT_T0_E_clISt17integral_constantIbLb0EES1K_EEDaS1F_S1G_EUlS1F_E_NS1_11comp_targetILNS1_3genE3ELNS1_11target_archE908ELNS1_3gpuE7ELNS1_3repE0EEENS1_30default_config_static_selectorELNS0_4arch9wavefront6targetE0EEEvT1_
	.globl	_ZN7rocprim17ROCPRIM_400000_NS6detail17trampoline_kernelINS0_14default_configENS1_25partition_config_selectorILNS1_17partition_subalgoE6EjNS0_10empty_typeEbEEZZNS1_14partition_implILS5_6ELb0ES3_mN6thrust23THRUST_200600_302600_NS6detail15normal_iteratorINSA_10device_ptrIjEEEEPS6_SG_NS0_5tupleIJSF_S6_EEENSH_IJSG_SG_EEES6_PlJNSB_9not_fun_tINSB_10functional5actorINSM_9compositeIJNSM_27transparent_binary_operatorINSA_8equal_toIvEEEENSN_INSM_8argumentILj0EEEEENSM_5valueIjEEEEEEEEEEEE10hipError_tPvRmT3_T4_T5_T6_T7_T9_mT8_P12ihipStream_tbDpT10_ENKUlT_T0_E_clISt17integral_constantIbLb0EES1K_EEDaS1F_S1G_EUlS1F_E_NS1_11comp_targetILNS1_3genE3ELNS1_11target_archE908ELNS1_3gpuE7ELNS1_3repE0EEENS1_30default_config_static_selectorELNS0_4arch9wavefront6targetE0EEEvT1_
	.p2align	8
	.type	_ZN7rocprim17ROCPRIM_400000_NS6detail17trampoline_kernelINS0_14default_configENS1_25partition_config_selectorILNS1_17partition_subalgoE6EjNS0_10empty_typeEbEEZZNS1_14partition_implILS5_6ELb0ES3_mN6thrust23THRUST_200600_302600_NS6detail15normal_iteratorINSA_10device_ptrIjEEEEPS6_SG_NS0_5tupleIJSF_S6_EEENSH_IJSG_SG_EEES6_PlJNSB_9not_fun_tINSB_10functional5actorINSM_9compositeIJNSM_27transparent_binary_operatorINSA_8equal_toIvEEEENSN_INSM_8argumentILj0EEEEENSM_5valueIjEEEEEEEEEEEE10hipError_tPvRmT3_T4_T5_T6_T7_T9_mT8_P12ihipStream_tbDpT10_ENKUlT_T0_E_clISt17integral_constantIbLb0EES1K_EEDaS1F_S1G_EUlS1F_E_NS1_11comp_targetILNS1_3genE3ELNS1_11target_archE908ELNS1_3gpuE7ELNS1_3repE0EEENS1_30default_config_static_selectorELNS0_4arch9wavefront6targetE0EEEvT1_,@function
_ZN7rocprim17ROCPRIM_400000_NS6detail17trampoline_kernelINS0_14default_configENS1_25partition_config_selectorILNS1_17partition_subalgoE6EjNS0_10empty_typeEbEEZZNS1_14partition_implILS5_6ELb0ES3_mN6thrust23THRUST_200600_302600_NS6detail15normal_iteratorINSA_10device_ptrIjEEEEPS6_SG_NS0_5tupleIJSF_S6_EEENSH_IJSG_SG_EEES6_PlJNSB_9not_fun_tINSB_10functional5actorINSM_9compositeIJNSM_27transparent_binary_operatorINSA_8equal_toIvEEEENSN_INSM_8argumentILj0EEEEENSM_5valueIjEEEEEEEEEEEE10hipError_tPvRmT3_T4_T5_T6_T7_T9_mT8_P12ihipStream_tbDpT10_ENKUlT_T0_E_clISt17integral_constantIbLb0EES1K_EEDaS1F_S1G_EUlS1F_E_NS1_11comp_targetILNS1_3genE3ELNS1_11target_archE908ELNS1_3gpuE7ELNS1_3repE0EEENS1_30default_config_static_selectorELNS0_4arch9wavefront6targetE0EEEvT1_: ; @_ZN7rocprim17ROCPRIM_400000_NS6detail17trampoline_kernelINS0_14default_configENS1_25partition_config_selectorILNS1_17partition_subalgoE6EjNS0_10empty_typeEbEEZZNS1_14partition_implILS5_6ELb0ES3_mN6thrust23THRUST_200600_302600_NS6detail15normal_iteratorINSA_10device_ptrIjEEEEPS6_SG_NS0_5tupleIJSF_S6_EEENSH_IJSG_SG_EEES6_PlJNSB_9not_fun_tINSB_10functional5actorINSM_9compositeIJNSM_27transparent_binary_operatorINSA_8equal_toIvEEEENSN_INSM_8argumentILj0EEEEENSM_5valueIjEEEEEEEEEEEE10hipError_tPvRmT3_T4_T5_T6_T7_T9_mT8_P12ihipStream_tbDpT10_ENKUlT_T0_E_clISt17integral_constantIbLb0EES1K_EEDaS1F_S1G_EUlS1F_E_NS1_11comp_targetILNS1_3genE3ELNS1_11target_archE908ELNS1_3gpuE7ELNS1_3repE0EEENS1_30default_config_static_selectorELNS0_4arch9wavefront6targetE0EEEvT1_
; %bb.0:
	.section	.rodata,"a",@progbits
	.p2align	6, 0x0
	.amdhsa_kernel _ZN7rocprim17ROCPRIM_400000_NS6detail17trampoline_kernelINS0_14default_configENS1_25partition_config_selectorILNS1_17partition_subalgoE6EjNS0_10empty_typeEbEEZZNS1_14partition_implILS5_6ELb0ES3_mN6thrust23THRUST_200600_302600_NS6detail15normal_iteratorINSA_10device_ptrIjEEEEPS6_SG_NS0_5tupleIJSF_S6_EEENSH_IJSG_SG_EEES6_PlJNSB_9not_fun_tINSB_10functional5actorINSM_9compositeIJNSM_27transparent_binary_operatorINSA_8equal_toIvEEEENSN_INSM_8argumentILj0EEEEENSM_5valueIjEEEEEEEEEEEE10hipError_tPvRmT3_T4_T5_T6_T7_T9_mT8_P12ihipStream_tbDpT10_ENKUlT_T0_E_clISt17integral_constantIbLb0EES1K_EEDaS1F_S1G_EUlS1F_E_NS1_11comp_targetILNS1_3genE3ELNS1_11target_archE908ELNS1_3gpuE7ELNS1_3repE0EEENS1_30default_config_static_selectorELNS0_4arch9wavefront6targetE0EEEvT1_
		.amdhsa_group_segment_fixed_size 0
		.amdhsa_private_segment_fixed_size 0
		.amdhsa_kernarg_size 120
		.amdhsa_user_sgpr_count 2
		.amdhsa_user_sgpr_dispatch_ptr 0
		.amdhsa_user_sgpr_queue_ptr 0
		.amdhsa_user_sgpr_kernarg_segment_ptr 1
		.amdhsa_user_sgpr_dispatch_id 0
		.amdhsa_user_sgpr_private_segment_size 0
		.amdhsa_wavefront_size32 1
		.amdhsa_uses_dynamic_stack 0
		.amdhsa_enable_private_segment 0
		.amdhsa_system_sgpr_workgroup_id_x 1
		.amdhsa_system_sgpr_workgroup_id_y 0
		.amdhsa_system_sgpr_workgroup_id_z 0
		.amdhsa_system_sgpr_workgroup_info 0
		.amdhsa_system_vgpr_workitem_id 0
		.amdhsa_next_free_vgpr 1
		.amdhsa_next_free_sgpr 1
		.amdhsa_reserve_vcc 0
		.amdhsa_float_round_mode_32 0
		.amdhsa_float_round_mode_16_64 0
		.amdhsa_float_denorm_mode_32 3
		.amdhsa_float_denorm_mode_16_64 3
		.amdhsa_fp16_overflow 0
		.amdhsa_workgroup_processor_mode 1
		.amdhsa_memory_ordered 1
		.amdhsa_forward_progress 1
		.amdhsa_inst_pref_size 0
		.amdhsa_round_robin_scheduling 0
		.amdhsa_exception_fp_ieee_invalid_op 0
		.amdhsa_exception_fp_denorm_src 0
		.amdhsa_exception_fp_ieee_div_zero 0
		.amdhsa_exception_fp_ieee_overflow 0
		.amdhsa_exception_fp_ieee_underflow 0
		.amdhsa_exception_fp_ieee_inexact 0
		.amdhsa_exception_int_div_zero 0
	.end_amdhsa_kernel
	.section	.text._ZN7rocprim17ROCPRIM_400000_NS6detail17trampoline_kernelINS0_14default_configENS1_25partition_config_selectorILNS1_17partition_subalgoE6EjNS0_10empty_typeEbEEZZNS1_14partition_implILS5_6ELb0ES3_mN6thrust23THRUST_200600_302600_NS6detail15normal_iteratorINSA_10device_ptrIjEEEEPS6_SG_NS0_5tupleIJSF_S6_EEENSH_IJSG_SG_EEES6_PlJNSB_9not_fun_tINSB_10functional5actorINSM_9compositeIJNSM_27transparent_binary_operatorINSA_8equal_toIvEEEENSN_INSM_8argumentILj0EEEEENSM_5valueIjEEEEEEEEEEEE10hipError_tPvRmT3_T4_T5_T6_T7_T9_mT8_P12ihipStream_tbDpT10_ENKUlT_T0_E_clISt17integral_constantIbLb0EES1K_EEDaS1F_S1G_EUlS1F_E_NS1_11comp_targetILNS1_3genE3ELNS1_11target_archE908ELNS1_3gpuE7ELNS1_3repE0EEENS1_30default_config_static_selectorELNS0_4arch9wavefront6targetE0EEEvT1_,"axG",@progbits,_ZN7rocprim17ROCPRIM_400000_NS6detail17trampoline_kernelINS0_14default_configENS1_25partition_config_selectorILNS1_17partition_subalgoE6EjNS0_10empty_typeEbEEZZNS1_14partition_implILS5_6ELb0ES3_mN6thrust23THRUST_200600_302600_NS6detail15normal_iteratorINSA_10device_ptrIjEEEEPS6_SG_NS0_5tupleIJSF_S6_EEENSH_IJSG_SG_EEES6_PlJNSB_9not_fun_tINSB_10functional5actorINSM_9compositeIJNSM_27transparent_binary_operatorINSA_8equal_toIvEEEENSN_INSM_8argumentILj0EEEEENSM_5valueIjEEEEEEEEEEEE10hipError_tPvRmT3_T4_T5_T6_T7_T9_mT8_P12ihipStream_tbDpT10_ENKUlT_T0_E_clISt17integral_constantIbLb0EES1K_EEDaS1F_S1G_EUlS1F_E_NS1_11comp_targetILNS1_3genE3ELNS1_11target_archE908ELNS1_3gpuE7ELNS1_3repE0EEENS1_30default_config_static_selectorELNS0_4arch9wavefront6targetE0EEEvT1_,comdat
.Lfunc_end116:
	.size	_ZN7rocprim17ROCPRIM_400000_NS6detail17trampoline_kernelINS0_14default_configENS1_25partition_config_selectorILNS1_17partition_subalgoE6EjNS0_10empty_typeEbEEZZNS1_14partition_implILS5_6ELb0ES3_mN6thrust23THRUST_200600_302600_NS6detail15normal_iteratorINSA_10device_ptrIjEEEEPS6_SG_NS0_5tupleIJSF_S6_EEENSH_IJSG_SG_EEES6_PlJNSB_9not_fun_tINSB_10functional5actorINSM_9compositeIJNSM_27transparent_binary_operatorINSA_8equal_toIvEEEENSN_INSM_8argumentILj0EEEEENSM_5valueIjEEEEEEEEEEEE10hipError_tPvRmT3_T4_T5_T6_T7_T9_mT8_P12ihipStream_tbDpT10_ENKUlT_T0_E_clISt17integral_constantIbLb0EES1K_EEDaS1F_S1G_EUlS1F_E_NS1_11comp_targetILNS1_3genE3ELNS1_11target_archE908ELNS1_3gpuE7ELNS1_3repE0EEENS1_30default_config_static_selectorELNS0_4arch9wavefront6targetE0EEEvT1_, .Lfunc_end116-_ZN7rocprim17ROCPRIM_400000_NS6detail17trampoline_kernelINS0_14default_configENS1_25partition_config_selectorILNS1_17partition_subalgoE6EjNS0_10empty_typeEbEEZZNS1_14partition_implILS5_6ELb0ES3_mN6thrust23THRUST_200600_302600_NS6detail15normal_iteratorINSA_10device_ptrIjEEEEPS6_SG_NS0_5tupleIJSF_S6_EEENSH_IJSG_SG_EEES6_PlJNSB_9not_fun_tINSB_10functional5actorINSM_9compositeIJNSM_27transparent_binary_operatorINSA_8equal_toIvEEEENSN_INSM_8argumentILj0EEEEENSM_5valueIjEEEEEEEEEEEE10hipError_tPvRmT3_T4_T5_T6_T7_T9_mT8_P12ihipStream_tbDpT10_ENKUlT_T0_E_clISt17integral_constantIbLb0EES1K_EEDaS1F_S1G_EUlS1F_E_NS1_11comp_targetILNS1_3genE3ELNS1_11target_archE908ELNS1_3gpuE7ELNS1_3repE0EEENS1_30default_config_static_selectorELNS0_4arch9wavefront6targetE0EEEvT1_
                                        ; -- End function
	.set _ZN7rocprim17ROCPRIM_400000_NS6detail17trampoline_kernelINS0_14default_configENS1_25partition_config_selectorILNS1_17partition_subalgoE6EjNS0_10empty_typeEbEEZZNS1_14partition_implILS5_6ELb0ES3_mN6thrust23THRUST_200600_302600_NS6detail15normal_iteratorINSA_10device_ptrIjEEEEPS6_SG_NS0_5tupleIJSF_S6_EEENSH_IJSG_SG_EEES6_PlJNSB_9not_fun_tINSB_10functional5actorINSM_9compositeIJNSM_27transparent_binary_operatorINSA_8equal_toIvEEEENSN_INSM_8argumentILj0EEEEENSM_5valueIjEEEEEEEEEEEE10hipError_tPvRmT3_T4_T5_T6_T7_T9_mT8_P12ihipStream_tbDpT10_ENKUlT_T0_E_clISt17integral_constantIbLb0EES1K_EEDaS1F_S1G_EUlS1F_E_NS1_11comp_targetILNS1_3genE3ELNS1_11target_archE908ELNS1_3gpuE7ELNS1_3repE0EEENS1_30default_config_static_selectorELNS0_4arch9wavefront6targetE0EEEvT1_.num_vgpr, 0
	.set _ZN7rocprim17ROCPRIM_400000_NS6detail17trampoline_kernelINS0_14default_configENS1_25partition_config_selectorILNS1_17partition_subalgoE6EjNS0_10empty_typeEbEEZZNS1_14partition_implILS5_6ELb0ES3_mN6thrust23THRUST_200600_302600_NS6detail15normal_iteratorINSA_10device_ptrIjEEEEPS6_SG_NS0_5tupleIJSF_S6_EEENSH_IJSG_SG_EEES6_PlJNSB_9not_fun_tINSB_10functional5actorINSM_9compositeIJNSM_27transparent_binary_operatorINSA_8equal_toIvEEEENSN_INSM_8argumentILj0EEEEENSM_5valueIjEEEEEEEEEEEE10hipError_tPvRmT3_T4_T5_T6_T7_T9_mT8_P12ihipStream_tbDpT10_ENKUlT_T0_E_clISt17integral_constantIbLb0EES1K_EEDaS1F_S1G_EUlS1F_E_NS1_11comp_targetILNS1_3genE3ELNS1_11target_archE908ELNS1_3gpuE7ELNS1_3repE0EEENS1_30default_config_static_selectorELNS0_4arch9wavefront6targetE0EEEvT1_.num_agpr, 0
	.set _ZN7rocprim17ROCPRIM_400000_NS6detail17trampoline_kernelINS0_14default_configENS1_25partition_config_selectorILNS1_17partition_subalgoE6EjNS0_10empty_typeEbEEZZNS1_14partition_implILS5_6ELb0ES3_mN6thrust23THRUST_200600_302600_NS6detail15normal_iteratorINSA_10device_ptrIjEEEEPS6_SG_NS0_5tupleIJSF_S6_EEENSH_IJSG_SG_EEES6_PlJNSB_9not_fun_tINSB_10functional5actorINSM_9compositeIJNSM_27transparent_binary_operatorINSA_8equal_toIvEEEENSN_INSM_8argumentILj0EEEEENSM_5valueIjEEEEEEEEEEEE10hipError_tPvRmT3_T4_T5_T6_T7_T9_mT8_P12ihipStream_tbDpT10_ENKUlT_T0_E_clISt17integral_constantIbLb0EES1K_EEDaS1F_S1G_EUlS1F_E_NS1_11comp_targetILNS1_3genE3ELNS1_11target_archE908ELNS1_3gpuE7ELNS1_3repE0EEENS1_30default_config_static_selectorELNS0_4arch9wavefront6targetE0EEEvT1_.numbered_sgpr, 0
	.set _ZN7rocprim17ROCPRIM_400000_NS6detail17trampoline_kernelINS0_14default_configENS1_25partition_config_selectorILNS1_17partition_subalgoE6EjNS0_10empty_typeEbEEZZNS1_14partition_implILS5_6ELb0ES3_mN6thrust23THRUST_200600_302600_NS6detail15normal_iteratorINSA_10device_ptrIjEEEEPS6_SG_NS0_5tupleIJSF_S6_EEENSH_IJSG_SG_EEES6_PlJNSB_9not_fun_tINSB_10functional5actorINSM_9compositeIJNSM_27transparent_binary_operatorINSA_8equal_toIvEEEENSN_INSM_8argumentILj0EEEEENSM_5valueIjEEEEEEEEEEEE10hipError_tPvRmT3_T4_T5_T6_T7_T9_mT8_P12ihipStream_tbDpT10_ENKUlT_T0_E_clISt17integral_constantIbLb0EES1K_EEDaS1F_S1G_EUlS1F_E_NS1_11comp_targetILNS1_3genE3ELNS1_11target_archE908ELNS1_3gpuE7ELNS1_3repE0EEENS1_30default_config_static_selectorELNS0_4arch9wavefront6targetE0EEEvT1_.num_named_barrier, 0
	.set _ZN7rocprim17ROCPRIM_400000_NS6detail17trampoline_kernelINS0_14default_configENS1_25partition_config_selectorILNS1_17partition_subalgoE6EjNS0_10empty_typeEbEEZZNS1_14partition_implILS5_6ELb0ES3_mN6thrust23THRUST_200600_302600_NS6detail15normal_iteratorINSA_10device_ptrIjEEEEPS6_SG_NS0_5tupleIJSF_S6_EEENSH_IJSG_SG_EEES6_PlJNSB_9not_fun_tINSB_10functional5actorINSM_9compositeIJNSM_27transparent_binary_operatorINSA_8equal_toIvEEEENSN_INSM_8argumentILj0EEEEENSM_5valueIjEEEEEEEEEEEE10hipError_tPvRmT3_T4_T5_T6_T7_T9_mT8_P12ihipStream_tbDpT10_ENKUlT_T0_E_clISt17integral_constantIbLb0EES1K_EEDaS1F_S1G_EUlS1F_E_NS1_11comp_targetILNS1_3genE3ELNS1_11target_archE908ELNS1_3gpuE7ELNS1_3repE0EEENS1_30default_config_static_selectorELNS0_4arch9wavefront6targetE0EEEvT1_.private_seg_size, 0
	.set _ZN7rocprim17ROCPRIM_400000_NS6detail17trampoline_kernelINS0_14default_configENS1_25partition_config_selectorILNS1_17partition_subalgoE6EjNS0_10empty_typeEbEEZZNS1_14partition_implILS5_6ELb0ES3_mN6thrust23THRUST_200600_302600_NS6detail15normal_iteratorINSA_10device_ptrIjEEEEPS6_SG_NS0_5tupleIJSF_S6_EEENSH_IJSG_SG_EEES6_PlJNSB_9not_fun_tINSB_10functional5actorINSM_9compositeIJNSM_27transparent_binary_operatorINSA_8equal_toIvEEEENSN_INSM_8argumentILj0EEEEENSM_5valueIjEEEEEEEEEEEE10hipError_tPvRmT3_T4_T5_T6_T7_T9_mT8_P12ihipStream_tbDpT10_ENKUlT_T0_E_clISt17integral_constantIbLb0EES1K_EEDaS1F_S1G_EUlS1F_E_NS1_11comp_targetILNS1_3genE3ELNS1_11target_archE908ELNS1_3gpuE7ELNS1_3repE0EEENS1_30default_config_static_selectorELNS0_4arch9wavefront6targetE0EEEvT1_.uses_vcc, 0
	.set _ZN7rocprim17ROCPRIM_400000_NS6detail17trampoline_kernelINS0_14default_configENS1_25partition_config_selectorILNS1_17partition_subalgoE6EjNS0_10empty_typeEbEEZZNS1_14partition_implILS5_6ELb0ES3_mN6thrust23THRUST_200600_302600_NS6detail15normal_iteratorINSA_10device_ptrIjEEEEPS6_SG_NS0_5tupleIJSF_S6_EEENSH_IJSG_SG_EEES6_PlJNSB_9not_fun_tINSB_10functional5actorINSM_9compositeIJNSM_27transparent_binary_operatorINSA_8equal_toIvEEEENSN_INSM_8argumentILj0EEEEENSM_5valueIjEEEEEEEEEEEE10hipError_tPvRmT3_T4_T5_T6_T7_T9_mT8_P12ihipStream_tbDpT10_ENKUlT_T0_E_clISt17integral_constantIbLb0EES1K_EEDaS1F_S1G_EUlS1F_E_NS1_11comp_targetILNS1_3genE3ELNS1_11target_archE908ELNS1_3gpuE7ELNS1_3repE0EEENS1_30default_config_static_selectorELNS0_4arch9wavefront6targetE0EEEvT1_.uses_flat_scratch, 0
	.set _ZN7rocprim17ROCPRIM_400000_NS6detail17trampoline_kernelINS0_14default_configENS1_25partition_config_selectorILNS1_17partition_subalgoE6EjNS0_10empty_typeEbEEZZNS1_14partition_implILS5_6ELb0ES3_mN6thrust23THRUST_200600_302600_NS6detail15normal_iteratorINSA_10device_ptrIjEEEEPS6_SG_NS0_5tupleIJSF_S6_EEENSH_IJSG_SG_EEES6_PlJNSB_9not_fun_tINSB_10functional5actorINSM_9compositeIJNSM_27transparent_binary_operatorINSA_8equal_toIvEEEENSN_INSM_8argumentILj0EEEEENSM_5valueIjEEEEEEEEEEEE10hipError_tPvRmT3_T4_T5_T6_T7_T9_mT8_P12ihipStream_tbDpT10_ENKUlT_T0_E_clISt17integral_constantIbLb0EES1K_EEDaS1F_S1G_EUlS1F_E_NS1_11comp_targetILNS1_3genE3ELNS1_11target_archE908ELNS1_3gpuE7ELNS1_3repE0EEENS1_30default_config_static_selectorELNS0_4arch9wavefront6targetE0EEEvT1_.has_dyn_sized_stack, 0
	.set _ZN7rocprim17ROCPRIM_400000_NS6detail17trampoline_kernelINS0_14default_configENS1_25partition_config_selectorILNS1_17partition_subalgoE6EjNS0_10empty_typeEbEEZZNS1_14partition_implILS5_6ELb0ES3_mN6thrust23THRUST_200600_302600_NS6detail15normal_iteratorINSA_10device_ptrIjEEEEPS6_SG_NS0_5tupleIJSF_S6_EEENSH_IJSG_SG_EEES6_PlJNSB_9not_fun_tINSB_10functional5actorINSM_9compositeIJNSM_27transparent_binary_operatorINSA_8equal_toIvEEEENSN_INSM_8argumentILj0EEEEENSM_5valueIjEEEEEEEEEEEE10hipError_tPvRmT3_T4_T5_T6_T7_T9_mT8_P12ihipStream_tbDpT10_ENKUlT_T0_E_clISt17integral_constantIbLb0EES1K_EEDaS1F_S1G_EUlS1F_E_NS1_11comp_targetILNS1_3genE3ELNS1_11target_archE908ELNS1_3gpuE7ELNS1_3repE0EEENS1_30default_config_static_selectorELNS0_4arch9wavefront6targetE0EEEvT1_.has_recursion, 0
	.set _ZN7rocprim17ROCPRIM_400000_NS6detail17trampoline_kernelINS0_14default_configENS1_25partition_config_selectorILNS1_17partition_subalgoE6EjNS0_10empty_typeEbEEZZNS1_14partition_implILS5_6ELb0ES3_mN6thrust23THRUST_200600_302600_NS6detail15normal_iteratorINSA_10device_ptrIjEEEEPS6_SG_NS0_5tupleIJSF_S6_EEENSH_IJSG_SG_EEES6_PlJNSB_9not_fun_tINSB_10functional5actorINSM_9compositeIJNSM_27transparent_binary_operatorINSA_8equal_toIvEEEENSN_INSM_8argumentILj0EEEEENSM_5valueIjEEEEEEEEEEEE10hipError_tPvRmT3_T4_T5_T6_T7_T9_mT8_P12ihipStream_tbDpT10_ENKUlT_T0_E_clISt17integral_constantIbLb0EES1K_EEDaS1F_S1G_EUlS1F_E_NS1_11comp_targetILNS1_3genE3ELNS1_11target_archE908ELNS1_3gpuE7ELNS1_3repE0EEENS1_30default_config_static_selectorELNS0_4arch9wavefront6targetE0EEEvT1_.has_indirect_call, 0
	.section	.AMDGPU.csdata,"",@progbits
; Kernel info:
; codeLenInByte = 0
; TotalNumSgprs: 0
; NumVgprs: 0
; ScratchSize: 0
; MemoryBound: 0
; FloatMode: 240
; IeeeMode: 1
; LDSByteSize: 0 bytes/workgroup (compile time only)
; SGPRBlocks: 0
; VGPRBlocks: 0
; NumSGPRsForWavesPerEU: 1
; NumVGPRsForWavesPerEU: 1
; Occupancy: 16
; WaveLimiterHint : 0
; COMPUTE_PGM_RSRC2:SCRATCH_EN: 0
; COMPUTE_PGM_RSRC2:USER_SGPR: 2
; COMPUTE_PGM_RSRC2:TRAP_HANDLER: 0
; COMPUTE_PGM_RSRC2:TGID_X_EN: 1
; COMPUTE_PGM_RSRC2:TGID_Y_EN: 0
; COMPUTE_PGM_RSRC2:TGID_Z_EN: 0
; COMPUTE_PGM_RSRC2:TIDIG_COMP_CNT: 0
	.section	.text._ZN7rocprim17ROCPRIM_400000_NS6detail17trampoline_kernelINS0_14default_configENS1_25partition_config_selectorILNS1_17partition_subalgoE6EjNS0_10empty_typeEbEEZZNS1_14partition_implILS5_6ELb0ES3_mN6thrust23THRUST_200600_302600_NS6detail15normal_iteratorINSA_10device_ptrIjEEEEPS6_SG_NS0_5tupleIJSF_S6_EEENSH_IJSG_SG_EEES6_PlJNSB_9not_fun_tINSB_10functional5actorINSM_9compositeIJNSM_27transparent_binary_operatorINSA_8equal_toIvEEEENSN_INSM_8argumentILj0EEEEENSM_5valueIjEEEEEEEEEEEE10hipError_tPvRmT3_T4_T5_T6_T7_T9_mT8_P12ihipStream_tbDpT10_ENKUlT_T0_E_clISt17integral_constantIbLb0EES1K_EEDaS1F_S1G_EUlS1F_E_NS1_11comp_targetILNS1_3genE2ELNS1_11target_archE906ELNS1_3gpuE6ELNS1_3repE0EEENS1_30default_config_static_selectorELNS0_4arch9wavefront6targetE0EEEvT1_,"axG",@progbits,_ZN7rocprim17ROCPRIM_400000_NS6detail17trampoline_kernelINS0_14default_configENS1_25partition_config_selectorILNS1_17partition_subalgoE6EjNS0_10empty_typeEbEEZZNS1_14partition_implILS5_6ELb0ES3_mN6thrust23THRUST_200600_302600_NS6detail15normal_iteratorINSA_10device_ptrIjEEEEPS6_SG_NS0_5tupleIJSF_S6_EEENSH_IJSG_SG_EEES6_PlJNSB_9not_fun_tINSB_10functional5actorINSM_9compositeIJNSM_27transparent_binary_operatorINSA_8equal_toIvEEEENSN_INSM_8argumentILj0EEEEENSM_5valueIjEEEEEEEEEEEE10hipError_tPvRmT3_T4_T5_T6_T7_T9_mT8_P12ihipStream_tbDpT10_ENKUlT_T0_E_clISt17integral_constantIbLb0EES1K_EEDaS1F_S1G_EUlS1F_E_NS1_11comp_targetILNS1_3genE2ELNS1_11target_archE906ELNS1_3gpuE6ELNS1_3repE0EEENS1_30default_config_static_selectorELNS0_4arch9wavefront6targetE0EEEvT1_,comdat
	.protected	_ZN7rocprim17ROCPRIM_400000_NS6detail17trampoline_kernelINS0_14default_configENS1_25partition_config_selectorILNS1_17partition_subalgoE6EjNS0_10empty_typeEbEEZZNS1_14partition_implILS5_6ELb0ES3_mN6thrust23THRUST_200600_302600_NS6detail15normal_iteratorINSA_10device_ptrIjEEEEPS6_SG_NS0_5tupleIJSF_S6_EEENSH_IJSG_SG_EEES6_PlJNSB_9not_fun_tINSB_10functional5actorINSM_9compositeIJNSM_27transparent_binary_operatorINSA_8equal_toIvEEEENSN_INSM_8argumentILj0EEEEENSM_5valueIjEEEEEEEEEEEE10hipError_tPvRmT3_T4_T5_T6_T7_T9_mT8_P12ihipStream_tbDpT10_ENKUlT_T0_E_clISt17integral_constantIbLb0EES1K_EEDaS1F_S1G_EUlS1F_E_NS1_11comp_targetILNS1_3genE2ELNS1_11target_archE906ELNS1_3gpuE6ELNS1_3repE0EEENS1_30default_config_static_selectorELNS0_4arch9wavefront6targetE0EEEvT1_ ; -- Begin function _ZN7rocprim17ROCPRIM_400000_NS6detail17trampoline_kernelINS0_14default_configENS1_25partition_config_selectorILNS1_17partition_subalgoE6EjNS0_10empty_typeEbEEZZNS1_14partition_implILS5_6ELb0ES3_mN6thrust23THRUST_200600_302600_NS6detail15normal_iteratorINSA_10device_ptrIjEEEEPS6_SG_NS0_5tupleIJSF_S6_EEENSH_IJSG_SG_EEES6_PlJNSB_9not_fun_tINSB_10functional5actorINSM_9compositeIJNSM_27transparent_binary_operatorINSA_8equal_toIvEEEENSN_INSM_8argumentILj0EEEEENSM_5valueIjEEEEEEEEEEEE10hipError_tPvRmT3_T4_T5_T6_T7_T9_mT8_P12ihipStream_tbDpT10_ENKUlT_T0_E_clISt17integral_constantIbLb0EES1K_EEDaS1F_S1G_EUlS1F_E_NS1_11comp_targetILNS1_3genE2ELNS1_11target_archE906ELNS1_3gpuE6ELNS1_3repE0EEENS1_30default_config_static_selectorELNS0_4arch9wavefront6targetE0EEEvT1_
	.globl	_ZN7rocprim17ROCPRIM_400000_NS6detail17trampoline_kernelINS0_14default_configENS1_25partition_config_selectorILNS1_17partition_subalgoE6EjNS0_10empty_typeEbEEZZNS1_14partition_implILS5_6ELb0ES3_mN6thrust23THRUST_200600_302600_NS6detail15normal_iteratorINSA_10device_ptrIjEEEEPS6_SG_NS0_5tupleIJSF_S6_EEENSH_IJSG_SG_EEES6_PlJNSB_9not_fun_tINSB_10functional5actorINSM_9compositeIJNSM_27transparent_binary_operatorINSA_8equal_toIvEEEENSN_INSM_8argumentILj0EEEEENSM_5valueIjEEEEEEEEEEEE10hipError_tPvRmT3_T4_T5_T6_T7_T9_mT8_P12ihipStream_tbDpT10_ENKUlT_T0_E_clISt17integral_constantIbLb0EES1K_EEDaS1F_S1G_EUlS1F_E_NS1_11comp_targetILNS1_3genE2ELNS1_11target_archE906ELNS1_3gpuE6ELNS1_3repE0EEENS1_30default_config_static_selectorELNS0_4arch9wavefront6targetE0EEEvT1_
	.p2align	8
	.type	_ZN7rocprim17ROCPRIM_400000_NS6detail17trampoline_kernelINS0_14default_configENS1_25partition_config_selectorILNS1_17partition_subalgoE6EjNS0_10empty_typeEbEEZZNS1_14partition_implILS5_6ELb0ES3_mN6thrust23THRUST_200600_302600_NS6detail15normal_iteratorINSA_10device_ptrIjEEEEPS6_SG_NS0_5tupleIJSF_S6_EEENSH_IJSG_SG_EEES6_PlJNSB_9not_fun_tINSB_10functional5actorINSM_9compositeIJNSM_27transparent_binary_operatorINSA_8equal_toIvEEEENSN_INSM_8argumentILj0EEEEENSM_5valueIjEEEEEEEEEEEE10hipError_tPvRmT3_T4_T5_T6_T7_T9_mT8_P12ihipStream_tbDpT10_ENKUlT_T0_E_clISt17integral_constantIbLb0EES1K_EEDaS1F_S1G_EUlS1F_E_NS1_11comp_targetILNS1_3genE2ELNS1_11target_archE906ELNS1_3gpuE6ELNS1_3repE0EEENS1_30default_config_static_selectorELNS0_4arch9wavefront6targetE0EEEvT1_,@function
_ZN7rocprim17ROCPRIM_400000_NS6detail17trampoline_kernelINS0_14default_configENS1_25partition_config_selectorILNS1_17partition_subalgoE6EjNS0_10empty_typeEbEEZZNS1_14partition_implILS5_6ELb0ES3_mN6thrust23THRUST_200600_302600_NS6detail15normal_iteratorINSA_10device_ptrIjEEEEPS6_SG_NS0_5tupleIJSF_S6_EEENSH_IJSG_SG_EEES6_PlJNSB_9not_fun_tINSB_10functional5actorINSM_9compositeIJNSM_27transparent_binary_operatorINSA_8equal_toIvEEEENSN_INSM_8argumentILj0EEEEENSM_5valueIjEEEEEEEEEEEE10hipError_tPvRmT3_T4_T5_T6_T7_T9_mT8_P12ihipStream_tbDpT10_ENKUlT_T0_E_clISt17integral_constantIbLb0EES1K_EEDaS1F_S1G_EUlS1F_E_NS1_11comp_targetILNS1_3genE2ELNS1_11target_archE906ELNS1_3gpuE6ELNS1_3repE0EEENS1_30default_config_static_selectorELNS0_4arch9wavefront6targetE0EEEvT1_: ; @_ZN7rocprim17ROCPRIM_400000_NS6detail17trampoline_kernelINS0_14default_configENS1_25partition_config_selectorILNS1_17partition_subalgoE6EjNS0_10empty_typeEbEEZZNS1_14partition_implILS5_6ELb0ES3_mN6thrust23THRUST_200600_302600_NS6detail15normal_iteratorINSA_10device_ptrIjEEEEPS6_SG_NS0_5tupleIJSF_S6_EEENSH_IJSG_SG_EEES6_PlJNSB_9not_fun_tINSB_10functional5actorINSM_9compositeIJNSM_27transparent_binary_operatorINSA_8equal_toIvEEEENSN_INSM_8argumentILj0EEEEENSM_5valueIjEEEEEEEEEEEE10hipError_tPvRmT3_T4_T5_T6_T7_T9_mT8_P12ihipStream_tbDpT10_ENKUlT_T0_E_clISt17integral_constantIbLb0EES1K_EEDaS1F_S1G_EUlS1F_E_NS1_11comp_targetILNS1_3genE2ELNS1_11target_archE906ELNS1_3gpuE6ELNS1_3repE0EEENS1_30default_config_static_selectorELNS0_4arch9wavefront6targetE0EEEvT1_
; %bb.0:
	.section	.rodata,"a",@progbits
	.p2align	6, 0x0
	.amdhsa_kernel _ZN7rocprim17ROCPRIM_400000_NS6detail17trampoline_kernelINS0_14default_configENS1_25partition_config_selectorILNS1_17partition_subalgoE6EjNS0_10empty_typeEbEEZZNS1_14partition_implILS5_6ELb0ES3_mN6thrust23THRUST_200600_302600_NS6detail15normal_iteratorINSA_10device_ptrIjEEEEPS6_SG_NS0_5tupleIJSF_S6_EEENSH_IJSG_SG_EEES6_PlJNSB_9not_fun_tINSB_10functional5actorINSM_9compositeIJNSM_27transparent_binary_operatorINSA_8equal_toIvEEEENSN_INSM_8argumentILj0EEEEENSM_5valueIjEEEEEEEEEEEE10hipError_tPvRmT3_T4_T5_T6_T7_T9_mT8_P12ihipStream_tbDpT10_ENKUlT_T0_E_clISt17integral_constantIbLb0EES1K_EEDaS1F_S1G_EUlS1F_E_NS1_11comp_targetILNS1_3genE2ELNS1_11target_archE906ELNS1_3gpuE6ELNS1_3repE0EEENS1_30default_config_static_selectorELNS0_4arch9wavefront6targetE0EEEvT1_
		.amdhsa_group_segment_fixed_size 0
		.amdhsa_private_segment_fixed_size 0
		.amdhsa_kernarg_size 120
		.amdhsa_user_sgpr_count 2
		.amdhsa_user_sgpr_dispatch_ptr 0
		.amdhsa_user_sgpr_queue_ptr 0
		.amdhsa_user_sgpr_kernarg_segment_ptr 1
		.amdhsa_user_sgpr_dispatch_id 0
		.amdhsa_user_sgpr_private_segment_size 0
		.amdhsa_wavefront_size32 1
		.amdhsa_uses_dynamic_stack 0
		.amdhsa_enable_private_segment 0
		.amdhsa_system_sgpr_workgroup_id_x 1
		.amdhsa_system_sgpr_workgroup_id_y 0
		.amdhsa_system_sgpr_workgroup_id_z 0
		.amdhsa_system_sgpr_workgroup_info 0
		.amdhsa_system_vgpr_workitem_id 0
		.amdhsa_next_free_vgpr 1
		.amdhsa_next_free_sgpr 1
		.amdhsa_reserve_vcc 0
		.amdhsa_float_round_mode_32 0
		.amdhsa_float_round_mode_16_64 0
		.amdhsa_float_denorm_mode_32 3
		.amdhsa_float_denorm_mode_16_64 3
		.amdhsa_fp16_overflow 0
		.amdhsa_workgroup_processor_mode 1
		.amdhsa_memory_ordered 1
		.amdhsa_forward_progress 1
		.amdhsa_inst_pref_size 0
		.amdhsa_round_robin_scheduling 0
		.amdhsa_exception_fp_ieee_invalid_op 0
		.amdhsa_exception_fp_denorm_src 0
		.amdhsa_exception_fp_ieee_div_zero 0
		.amdhsa_exception_fp_ieee_overflow 0
		.amdhsa_exception_fp_ieee_underflow 0
		.amdhsa_exception_fp_ieee_inexact 0
		.amdhsa_exception_int_div_zero 0
	.end_amdhsa_kernel
	.section	.text._ZN7rocprim17ROCPRIM_400000_NS6detail17trampoline_kernelINS0_14default_configENS1_25partition_config_selectorILNS1_17partition_subalgoE6EjNS0_10empty_typeEbEEZZNS1_14partition_implILS5_6ELb0ES3_mN6thrust23THRUST_200600_302600_NS6detail15normal_iteratorINSA_10device_ptrIjEEEEPS6_SG_NS0_5tupleIJSF_S6_EEENSH_IJSG_SG_EEES6_PlJNSB_9not_fun_tINSB_10functional5actorINSM_9compositeIJNSM_27transparent_binary_operatorINSA_8equal_toIvEEEENSN_INSM_8argumentILj0EEEEENSM_5valueIjEEEEEEEEEEEE10hipError_tPvRmT3_T4_T5_T6_T7_T9_mT8_P12ihipStream_tbDpT10_ENKUlT_T0_E_clISt17integral_constantIbLb0EES1K_EEDaS1F_S1G_EUlS1F_E_NS1_11comp_targetILNS1_3genE2ELNS1_11target_archE906ELNS1_3gpuE6ELNS1_3repE0EEENS1_30default_config_static_selectorELNS0_4arch9wavefront6targetE0EEEvT1_,"axG",@progbits,_ZN7rocprim17ROCPRIM_400000_NS6detail17trampoline_kernelINS0_14default_configENS1_25partition_config_selectorILNS1_17partition_subalgoE6EjNS0_10empty_typeEbEEZZNS1_14partition_implILS5_6ELb0ES3_mN6thrust23THRUST_200600_302600_NS6detail15normal_iteratorINSA_10device_ptrIjEEEEPS6_SG_NS0_5tupleIJSF_S6_EEENSH_IJSG_SG_EEES6_PlJNSB_9not_fun_tINSB_10functional5actorINSM_9compositeIJNSM_27transparent_binary_operatorINSA_8equal_toIvEEEENSN_INSM_8argumentILj0EEEEENSM_5valueIjEEEEEEEEEEEE10hipError_tPvRmT3_T4_T5_T6_T7_T9_mT8_P12ihipStream_tbDpT10_ENKUlT_T0_E_clISt17integral_constantIbLb0EES1K_EEDaS1F_S1G_EUlS1F_E_NS1_11comp_targetILNS1_3genE2ELNS1_11target_archE906ELNS1_3gpuE6ELNS1_3repE0EEENS1_30default_config_static_selectorELNS0_4arch9wavefront6targetE0EEEvT1_,comdat
.Lfunc_end117:
	.size	_ZN7rocprim17ROCPRIM_400000_NS6detail17trampoline_kernelINS0_14default_configENS1_25partition_config_selectorILNS1_17partition_subalgoE6EjNS0_10empty_typeEbEEZZNS1_14partition_implILS5_6ELb0ES3_mN6thrust23THRUST_200600_302600_NS6detail15normal_iteratorINSA_10device_ptrIjEEEEPS6_SG_NS0_5tupleIJSF_S6_EEENSH_IJSG_SG_EEES6_PlJNSB_9not_fun_tINSB_10functional5actorINSM_9compositeIJNSM_27transparent_binary_operatorINSA_8equal_toIvEEEENSN_INSM_8argumentILj0EEEEENSM_5valueIjEEEEEEEEEEEE10hipError_tPvRmT3_T4_T5_T6_T7_T9_mT8_P12ihipStream_tbDpT10_ENKUlT_T0_E_clISt17integral_constantIbLb0EES1K_EEDaS1F_S1G_EUlS1F_E_NS1_11comp_targetILNS1_3genE2ELNS1_11target_archE906ELNS1_3gpuE6ELNS1_3repE0EEENS1_30default_config_static_selectorELNS0_4arch9wavefront6targetE0EEEvT1_, .Lfunc_end117-_ZN7rocprim17ROCPRIM_400000_NS6detail17trampoline_kernelINS0_14default_configENS1_25partition_config_selectorILNS1_17partition_subalgoE6EjNS0_10empty_typeEbEEZZNS1_14partition_implILS5_6ELb0ES3_mN6thrust23THRUST_200600_302600_NS6detail15normal_iteratorINSA_10device_ptrIjEEEEPS6_SG_NS0_5tupleIJSF_S6_EEENSH_IJSG_SG_EEES6_PlJNSB_9not_fun_tINSB_10functional5actorINSM_9compositeIJNSM_27transparent_binary_operatorINSA_8equal_toIvEEEENSN_INSM_8argumentILj0EEEEENSM_5valueIjEEEEEEEEEEEE10hipError_tPvRmT3_T4_T5_T6_T7_T9_mT8_P12ihipStream_tbDpT10_ENKUlT_T0_E_clISt17integral_constantIbLb0EES1K_EEDaS1F_S1G_EUlS1F_E_NS1_11comp_targetILNS1_3genE2ELNS1_11target_archE906ELNS1_3gpuE6ELNS1_3repE0EEENS1_30default_config_static_selectorELNS0_4arch9wavefront6targetE0EEEvT1_
                                        ; -- End function
	.set _ZN7rocprim17ROCPRIM_400000_NS6detail17trampoline_kernelINS0_14default_configENS1_25partition_config_selectorILNS1_17partition_subalgoE6EjNS0_10empty_typeEbEEZZNS1_14partition_implILS5_6ELb0ES3_mN6thrust23THRUST_200600_302600_NS6detail15normal_iteratorINSA_10device_ptrIjEEEEPS6_SG_NS0_5tupleIJSF_S6_EEENSH_IJSG_SG_EEES6_PlJNSB_9not_fun_tINSB_10functional5actorINSM_9compositeIJNSM_27transparent_binary_operatorINSA_8equal_toIvEEEENSN_INSM_8argumentILj0EEEEENSM_5valueIjEEEEEEEEEEEE10hipError_tPvRmT3_T4_T5_T6_T7_T9_mT8_P12ihipStream_tbDpT10_ENKUlT_T0_E_clISt17integral_constantIbLb0EES1K_EEDaS1F_S1G_EUlS1F_E_NS1_11comp_targetILNS1_3genE2ELNS1_11target_archE906ELNS1_3gpuE6ELNS1_3repE0EEENS1_30default_config_static_selectorELNS0_4arch9wavefront6targetE0EEEvT1_.num_vgpr, 0
	.set _ZN7rocprim17ROCPRIM_400000_NS6detail17trampoline_kernelINS0_14default_configENS1_25partition_config_selectorILNS1_17partition_subalgoE6EjNS0_10empty_typeEbEEZZNS1_14partition_implILS5_6ELb0ES3_mN6thrust23THRUST_200600_302600_NS6detail15normal_iteratorINSA_10device_ptrIjEEEEPS6_SG_NS0_5tupleIJSF_S6_EEENSH_IJSG_SG_EEES6_PlJNSB_9not_fun_tINSB_10functional5actorINSM_9compositeIJNSM_27transparent_binary_operatorINSA_8equal_toIvEEEENSN_INSM_8argumentILj0EEEEENSM_5valueIjEEEEEEEEEEEE10hipError_tPvRmT3_T4_T5_T6_T7_T9_mT8_P12ihipStream_tbDpT10_ENKUlT_T0_E_clISt17integral_constantIbLb0EES1K_EEDaS1F_S1G_EUlS1F_E_NS1_11comp_targetILNS1_3genE2ELNS1_11target_archE906ELNS1_3gpuE6ELNS1_3repE0EEENS1_30default_config_static_selectorELNS0_4arch9wavefront6targetE0EEEvT1_.num_agpr, 0
	.set _ZN7rocprim17ROCPRIM_400000_NS6detail17trampoline_kernelINS0_14default_configENS1_25partition_config_selectorILNS1_17partition_subalgoE6EjNS0_10empty_typeEbEEZZNS1_14partition_implILS5_6ELb0ES3_mN6thrust23THRUST_200600_302600_NS6detail15normal_iteratorINSA_10device_ptrIjEEEEPS6_SG_NS0_5tupleIJSF_S6_EEENSH_IJSG_SG_EEES6_PlJNSB_9not_fun_tINSB_10functional5actorINSM_9compositeIJNSM_27transparent_binary_operatorINSA_8equal_toIvEEEENSN_INSM_8argumentILj0EEEEENSM_5valueIjEEEEEEEEEEEE10hipError_tPvRmT3_T4_T5_T6_T7_T9_mT8_P12ihipStream_tbDpT10_ENKUlT_T0_E_clISt17integral_constantIbLb0EES1K_EEDaS1F_S1G_EUlS1F_E_NS1_11comp_targetILNS1_3genE2ELNS1_11target_archE906ELNS1_3gpuE6ELNS1_3repE0EEENS1_30default_config_static_selectorELNS0_4arch9wavefront6targetE0EEEvT1_.numbered_sgpr, 0
	.set _ZN7rocprim17ROCPRIM_400000_NS6detail17trampoline_kernelINS0_14default_configENS1_25partition_config_selectorILNS1_17partition_subalgoE6EjNS0_10empty_typeEbEEZZNS1_14partition_implILS5_6ELb0ES3_mN6thrust23THRUST_200600_302600_NS6detail15normal_iteratorINSA_10device_ptrIjEEEEPS6_SG_NS0_5tupleIJSF_S6_EEENSH_IJSG_SG_EEES6_PlJNSB_9not_fun_tINSB_10functional5actorINSM_9compositeIJNSM_27transparent_binary_operatorINSA_8equal_toIvEEEENSN_INSM_8argumentILj0EEEEENSM_5valueIjEEEEEEEEEEEE10hipError_tPvRmT3_T4_T5_T6_T7_T9_mT8_P12ihipStream_tbDpT10_ENKUlT_T0_E_clISt17integral_constantIbLb0EES1K_EEDaS1F_S1G_EUlS1F_E_NS1_11comp_targetILNS1_3genE2ELNS1_11target_archE906ELNS1_3gpuE6ELNS1_3repE0EEENS1_30default_config_static_selectorELNS0_4arch9wavefront6targetE0EEEvT1_.num_named_barrier, 0
	.set _ZN7rocprim17ROCPRIM_400000_NS6detail17trampoline_kernelINS0_14default_configENS1_25partition_config_selectorILNS1_17partition_subalgoE6EjNS0_10empty_typeEbEEZZNS1_14partition_implILS5_6ELb0ES3_mN6thrust23THRUST_200600_302600_NS6detail15normal_iteratorINSA_10device_ptrIjEEEEPS6_SG_NS0_5tupleIJSF_S6_EEENSH_IJSG_SG_EEES6_PlJNSB_9not_fun_tINSB_10functional5actorINSM_9compositeIJNSM_27transparent_binary_operatorINSA_8equal_toIvEEEENSN_INSM_8argumentILj0EEEEENSM_5valueIjEEEEEEEEEEEE10hipError_tPvRmT3_T4_T5_T6_T7_T9_mT8_P12ihipStream_tbDpT10_ENKUlT_T0_E_clISt17integral_constantIbLb0EES1K_EEDaS1F_S1G_EUlS1F_E_NS1_11comp_targetILNS1_3genE2ELNS1_11target_archE906ELNS1_3gpuE6ELNS1_3repE0EEENS1_30default_config_static_selectorELNS0_4arch9wavefront6targetE0EEEvT1_.private_seg_size, 0
	.set _ZN7rocprim17ROCPRIM_400000_NS6detail17trampoline_kernelINS0_14default_configENS1_25partition_config_selectorILNS1_17partition_subalgoE6EjNS0_10empty_typeEbEEZZNS1_14partition_implILS5_6ELb0ES3_mN6thrust23THRUST_200600_302600_NS6detail15normal_iteratorINSA_10device_ptrIjEEEEPS6_SG_NS0_5tupleIJSF_S6_EEENSH_IJSG_SG_EEES6_PlJNSB_9not_fun_tINSB_10functional5actorINSM_9compositeIJNSM_27transparent_binary_operatorINSA_8equal_toIvEEEENSN_INSM_8argumentILj0EEEEENSM_5valueIjEEEEEEEEEEEE10hipError_tPvRmT3_T4_T5_T6_T7_T9_mT8_P12ihipStream_tbDpT10_ENKUlT_T0_E_clISt17integral_constantIbLb0EES1K_EEDaS1F_S1G_EUlS1F_E_NS1_11comp_targetILNS1_3genE2ELNS1_11target_archE906ELNS1_3gpuE6ELNS1_3repE0EEENS1_30default_config_static_selectorELNS0_4arch9wavefront6targetE0EEEvT1_.uses_vcc, 0
	.set _ZN7rocprim17ROCPRIM_400000_NS6detail17trampoline_kernelINS0_14default_configENS1_25partition_config_selectorILNS1_17partition_subalgoE6EjNS0_10empty_typeEbEEZZNS1_14partition_implILS5_6ELb0ES3_mN6thrust23THRUST_200600_302600_NS6detail15normal_iteratorINSA_10device_ptrIjEEEEPS6_SG_NS0_5tupleIJSF_S6_EEENSH_IJSG_SG_EEES6_PlJNSB_9not_fun_tINSB_10functional5actorINSM_9compositeIJNSM_27transparent_binary_operatorINSA_8equal_toIvEEEENSN_INSM_8argumentILj0EEEEENSM_5valueIjEEEEEEEEEEEE10hipError_tPvRmT3_T4_T5_T6_T7_T9_mT8_P12ihipStream_tbDpT10_ENKUlT_T0_E_clISt17integral_constantIbLb0EES1K_EEDaS1F_S1G_EUlS1F_E_NS1_11comp_targetILNS1_3genE2ELNS1_11target_archE906ELNS1_3gpuE6ELNS1_3repE0EEENS1_30default_config_static_selectorELNS0_4arch9wavefront6targetE0EEEvT1_.uses_flat_scratch, 0
	.set _ZN7rocprim17ROCPRIM_400000_NS6detail17trampoline_kernelINS0_14default_configENS1_25partition_config_selectorILNS1_17partition_subalgoE6EjNS0_10empty_typeEbEEZZNS1_14partition_implILS5_6ELb0ES3_mN6thrust23THRUST_200600_302600_NS6detail15normal_iteratorINSA_10device_ptrIjEEEEPS6_SG_NS0_5tupleIJSF_S6_EEENSH_IJSG_SG_EEES6_PlJNSB_9not_fun_tINSB_10functional5actorINSM_9compositeIJNSM_27transparent_binary_operatorINSA_8equal_toIvEEEENSN_INSM_8argumentILj0EEEEENSM_5valueIjEEEEEEEEEEEE10hipError_tPvRmT3_T4_T5_T6_T7_T9_mT8_P12ihipStream_tbDpT10_ENKUlT_T0_E_clISt17integral_constantIbLb0EES1K_EEDaS1F_S1G_EUlS1F_E_NS1_11comp_targetILNS1_3genE2ELNS1_11target_archE906ELNS1_3gpuE6ELNS1_3repE0EEENS1_30default_config_static_selectorELNS0_4arch9wavefront6targetE0EEEvT1_.has_dyn_sized_stack, 0
	.set _ZN7rocprim17ROCPRIM_400000_NS6detail17trampoline_kernelINS0_14default_configENS1_25partition_config_selectorILNS1_17partition_subalgoE6EjNS0_10empty_typeEbEEZZNS1_14partition_implILS5_6ELb0ES3_mN6thrust23THRUST_200600_302600_NS6detail15normal_iteratorINSA_10device_ptrIjEEEEPS6_SG_NS0_5tupleIJSF_S6_EEENSH_IJSG_SG_EEES6_PlJNSB_9not_fun_tINSB_10functional5actorINSM_9compositeIJNSM_27transparent_binary_operatorINSA_8equal_toIvEEEENSN_INSM_8argumentILj0EEEEENSM_5valueIjEEEEEEEEEEEE10hipError_tPvRmT3_T4_T5_T6_T7_T9_mT8_P12ihipStream_tbDpT10_ENKUlT_T0_E_clISt17integral_constantIbLb0EES1K_EEDaS1F_S1G_EUlS1F_E_NS1_11comp_targetILNS1_3genE2ELNS1_11target_archE906ELNS1_3gpuE6ELNS1_3repE0EEENS1_30default_config_static_selectorELNS0_4arch9wavefront6targetE0EEEvT1_.has_recursion, 0
	.set _ZN7rocprim17ROCPRIM_400000_NS6detail17trampoline_kernelINS0_14default_configENS1_25partition_config_selectorILNS1_17partition_subalgoE6EjNS0_10empty_typeEbEEZZNS1_14partition_implILS5_6ELb0ES3_mN6thrust23THRUST_200600_302600_NS6detail15normal_iteratorINSA_10device_ptrIjEEEEPS6_SG_NS0_5tupleIJSF_S6_EEENSH_IJSG_SG_EEES6_PlJNSB_9not_fun_tINSB_10functional5actorINSM_9compositeIJNSM_27transparent_binary_operatorINSA_8equal_toIvEEEENSN_INSM_8argumentILj0EEEEENSM_5valueIjEEEEEEEEEEEE10hipError_tPvRmT3_T4_T5_T6_T7_T9_mT8_P12ihipStream_tbDpT10_ENKUlT_T0_E_clISt17integral_constantIbLb0EES1K_EEDaS1F_S1G_EUlS1F_E_NS1_11comp_targetILNS1_3genE2ELNS1_11target_archE906ELNS1_3gpuE6ELNS1_3repE0EEENS1_30default_config_static_selectorELNS0_4arch9wavefront6targetE0EEEvT1_.has_indirect_call, 0
	.section	.AMDGPU.csdata,"",@progbits
; Kernel info:
; codeLenInByte = 0
; TotalNumSgprs: 0
; NumVgprs: 0
; ScratchSize: 0
; MemoryBound: 0
; FloatMode: 240
; IeeeMode: 1
; LDSByteSize: 0 bytes/workgroup (compile time only)
; SGPRBlocks: 0
; VGPRBlocks: 0
; NumSGPRsForWavesPerEU: 1
; NumVGPRsForWavesPerEU: 1
; Occupancy: 16
; WaveLimiterHint : 0
; COMPUTE_PGM_RSRC2:SCRATCH_EN: 0
; COMPUTE_PGM_RSRC2:USER_SGPR: 2
; COMPUTE_PGM_RSRC2:TRAP_HANDLER: 0
; COMPUTE_PGM_RSRC2:TGID_X_EN: 1
; COMPUTE_PGM_RSRC2:TGID_Y_EN: 0
; COMPUTE_PGM_RSRC2:TGID_Z_EN: 0
; COMPUTE_PGM_RSRC2:TIDIG_COMP_CNT: 0
	.section	.text._ZN7rocprim17ROCPRIM_400000_NS6detail17trampoline_kernelINS0_14default_configENS1_25partition_config_selectorILNS1_17partition_subalgoE6EjNS0_10empty_typeEbEEZZNS1_14partition_implILS5_6ELb0ES3_mN6thrust23THRUST_200600_302600_NS6detail15normal_iteratorINSA_10device_ptrIjEEEEPS6_SG_NS0_5tupleIJSF_S6_EEENSH_IJSG_SG_EEES6_PlJNSB_9not_fun_tINSB_10functional5actorINSM_9compositeIJNSM_27transparent_binary_operatorINSA_8equal_toIvEEEENSN_INSM_8argumentILj0EEEEENSM_5valueIjEEEEEEEEEEEE10hipError_tPvRmT3_T4_T5_T6_T7_T9_mT8_P12ihipStream_tbDpT10_ENKUlT_T0_E_clISt17integral_constantIbLb0EES1K_EEDaS1F_S1G_EUlS1F_E_NS1_11comp_targetILNS1_3genE10ELNS1_11target_archE1200ELNS1_3gpuE4ELNS1_3repE0EEENS1_30default_config_static_selectorELNS0_4arch9wavefront6targetE0EEEvT1_,"axG",@progbits,_ZN7rocprim17ROCPRIM_400000_NS6detail17trampoline_kernelINS0_14default_configENS1_25partition_config_selectorILNS1_17partition_subalgoE6EjNS0_10empty_typeEbEEZZNS1_14partition_implILS5_6ELb0ES3_mN6thrust23THRUST_200600_302600_NS6detail15normal_iteratorINSA_10device_ptrIjEEEEPS6_SG_NS0_5tupleIJSF_S6_EEENSH_IJSG_SG_EEES6_PlJNSB_9not_fun_tINSB_10functional5actorINSM_9compositeIJNSM_27transparent_binary_operatorINSA_8equal_toIvEEEENSN_INSM_8argumentILj0EEEEENSM_5valueIjEEEEEEEEEEEE10hipError_tPvRmT3_T4_T5_T6_T7_T9_mT8_P12ihipStream_tbDpT10_ENKUlT_T0_E_clISt17integral_constantIbLb0EES1K_EEDaS1F_S1G_EUlS1F_E_NS1_11comp_targetILNS1_3genE10ELNS1_11target_archE1200ELNS1_3gpuE4ELNS1_3repE0EEENS1_30default_config_static_selectorELNS0_4arch9wavefront6targetE0EEEvT1_,comdat
	.protected	_ZN7rocprim17ROCPRIM_400000_NS6detail17trampoline_kernelINS0_14default_configENS1_25partition_config_selectorILNS1_17partition_subalgoE6EjNS0_10empty_typeEbEEZZNS1_14partition_implILS5_6ELb0ES3_mN6thrust23THRUST_200600_302600_NS6detail15normal_iteratorINSA_10device_ptrIjEEEEPS6_SG_NS0_5tupleIJSF_S6_EEENSH_IJSG_SG_EEES6_PlJNSB_9not_fun_tINSB_10functional5actorINSM_9compositeIJNSM_27transparent_binary_operatorINSA_8equal_toIvEEEENSN_INSM_8argumentILj0EEEEENSM_5valueIjEEEEEEEEEEEE10hipError_tPvRmT3_T4_T5_T6_T7_T9_mT8_P12ihipStream_tbDpT10_ENKUlT_T0_E_clISt17integral_constantIbLb0EES1K_EEDaS1F_S1G_EUlS1F_E_NS1_11comp_targetILNS1_3genE10ELNS1_11target_archE1200ELNS1_3gpuE4ELNS1_3repE0EEENS1_30default_config_static_selectorELNS0_4arch9wavefront6targetE0EEEvT1_ ; -- Begin function _ZN7rocprim17ROCPRIM_400000_NS6detail17trampoline_kernelINS0_14default_configENS1_25partition_config_selectorILNS1_17partition_subalgoE6EjNS0_10empty_typeEbEEZZNS1_14partition_implILS5_6ELb0ES3_mN6thrust23THRUST_200600_302600_NS6detail15normal_iteratorINSA_10device_ptrIjEEEEPS6_SG_NS0_5tupleIJSF_S6_EEENSH_IJSG_SG_EEES6_PlJNSB_9not_fun_tINSB_10functional5actorINSM_9compositeIJNSM_27transparent_binary_operatorINSA_8equal_toIvEEEENSN_INSM_8argumentILj0EEEEENSM_5valueIjEEEEEEEEEEEE10hipError_tPvRmT3_T4_T5_T6_T7_T9_mT8_P12ihipStream_tbDpT10_ENKUlT_T0_E_clISt17integral_constantIbLb0EES1K_EEDaS1F_S1G_EUlS1F_E_NS1_11comp_targetILNS1_3genE10ELNS1_11target_archE1200ELNS1_3gpuE4ELNS1_3repE0EEENS1_30default_config_static_selectorELNS0_4arch9wavefront6targetE0EEEvT1_
	.globl	_ZN7rocprim17ROCPRIM_400000_NS6detail17trampoline_kernelINS0_14default_configENS1_25partition_config_selectorILNS1_17partition_subalgoE6EjNS0_10empty_typeEbEEZZNS1_14partition_implILS5_6ELb0ES3_mN6thrust23THRUST_200600_302600_NS6detail15normal_iteratorINSA_10device_ptrIjEEEEPS6_SG_NS0_5tupleIJSF_S6_EEENSH_IJSG_SG_EEES6_PlJNSB_9not_fun_tINSB_10functional5actorINSM_9compositeIJNSM_27transparent_binary_operatorINSA_8equal_toIvEEEENSN_INSM_8argumentILj0EEEEENSM_5valueIjEEEEEEEEEEEE10hipError_tPvRmT3_T4_T5_T6_T7_T9_mT8_P12ihipStream_tbDpT10_ENKUlT_T0_E_clISt17integral_constantIbLb0EES1K_EEDaS1F_S1G_EUlS1F_E_NS1_11comp_targetILNS1_3genE10ELNS1_11target_archE1200ELNS1_3gpuE4ELNS1_3repE0EEENS1_30default_config_static_selectorELNS0_4arch9wavefront6targetE0EEEvT1_
	.p2align	8
	.type	_ZN7rocprim17ROCPRIM_400000_NS6detail17trampoline_kernelINS0_14default_configENS1_25partition_config_selectorILNS1_17partition_subalgoE6EjNS0_10empty_typeEbEEZZNS1_14partition_implILS5_6ELb0ES3_mN6thrust23THRUST_200600_302600_NS6detail15normal_iteratorINSA_10device_ptrIjEEEEPS6_SG_NS0_5tupleIJSF_S6_EEENSH_IJSG_SG_EEES6_PlJNSB_9not_fun_tINSB_10functional5actorINSM_9compositeIJNSM_27transparent_binary_operatorINSA_8equal_toIvEEEENSN_INSM_8argumentILj0EEEEENSM_5valueIjEEEEEEEEEEEE10hipError_tPvRmT3_T4_T5_T6_T7_T9_mT8_P12ihipStream_tbDpT10_ENKUlT_T0_E_clISt17integral_constantIbLb0EES1K_EEDaS1F_S1G_EUlS1F_E_NS1_11comp_targetILNS1_3genE10ELNS1_11target_archE1200ELNS1_3gpuE4ELNS1_3repE0EEENS1_30default_config_static_selectorELNS0_4arch9wavefront6targetE0EEEvT1_,@function
_ZN7rocprim17ROCPRIM_400000_NS6detail17trampoline_kernelINS0_14default_configENS1_25partition_config_selectorILNS1_17partition_subalgoE6EjNS0_10empty_typeEbEEZZNS1_14partition_implILS5_6ELb0ES3_mN6thrust23THRUST_200600_302600_NS6detail15normal_iteratorINSA_10device_ptrIjEEEEPS6_SG_NS0_5tupleIJSF_S6_EEENSH_IJSG_SG_EEES6_PlJNSB_9not_fun_tINSB_10functional5actorINSM_9compositeIJNSM_27transparent_binary_operatorINSA_8equal_toIvEEEENSN_INSM_8argumentILj0EEEEENSM_5valueIjEEEEEEEEEEEE10hipError_tPvRmT3_T4_T5_T6_T7_T9_mT8_P12ihipStream_tbDpT10_ENKUlT_T0_E_clISt17integral_constantIbLb0EES1K_EEDaS1F_S1G_EUlS1F_E_NS1_11comp_targetILNS1_3genE10ELNS1_11target_archE1200ELNS1_3gpuE4ELNS1_3repE0EEENS1_30default_config_static_selectorELNS0_4arch9wavefront6targetE0EEEvT1_: ; @_ZN7rocprim17ROCPRIM_400000_NS6detail17trampoline_kernelINS0_14default_configENS1_25partition_config_selectorILNS1_17partition_subalgoE6EjNS0_10empty_typeEbEEZZNS1_14partition_implILS5_6ELb0ES3_mN6thrust23THRUST_200600_302600_NS6detail15normal_iteratorINSA_10device_ptrIjEEEEPS6_SG_NS0_5tupleIJSF_S6_EEENSH_IJSG_SG_EEES6_PlJNSB_9not_fun_tINSB_10functional5actorINSM_9compositeIJNSM_27transparent_binary_operatorINSA_8equal_toIvEEEENSN_INSM_8argumentILj0EEEEENSM_5valueIjEEEEEEEEEEEE10hipError_tPvRmT3_T4_T5_T6_T7_T9_mT8_P12ihipStream_tbDpT10_ENKUlT_T0_E_clISt17integral_constantIbLb0EES1K_EEDaS1F_S1G_EUlS1F_E_NS1_11comp_targetILNS1_3genE10ELNS1_11target_archE1200ELNS1_3gpuE4ELNS1_3repE0EEENS1_30default_config_static_selectorELNS0_4arch9wavefront6targetE0EEEvT1_
; %bb.0:
	s_clause 0x3
	s_load_b128 s[4:7], s[0:1], 0x8
	s_load_b128 s[8:11], s[0:1], 0x40
	s_load_b32 s12, s[0:1], 0x68
	s_load_b64 s[2:3], s[0:1], 0x50
	s_mov_b32 s13, 0
	v_lshlrev_b32_e32 v8, 2, v0
	s_wait_kmcnt 0x0
	s_lshl_b64 s[14:15], s[6:7], 2
	s_load_b64 s[10:11], s[10:11], 0x0
	s_add_co_i32 s17, s12, -1
	s_mulk_i32 s12, 0xa80
	s_add_nc_u64 s[14:15], s[4:5], s[14:15]
	s_add_nc_u64 s[4:5], s[6:7], s[12:13]
	s_add_co_i32 s6, s12, s6
	v_cmp_le_u64_e64 s3, s[2:3], s[4:5]
	s_sub_co_i32 s16, s2, s6
	s_cmp_eq_u32 ttmp9, s17
	s_mul_i32 s2, ttmp9, 0xa80
	s_cselect_b32 s12, -1, 0
	s_mov_b32 s4, -1
	s_and_b32 s5, s12, s3
	s_mov_b32 s3, s13
	s_wait_alu 0xfffe
	s_xor_b32 s13, s5, -1
	s_lshl_b64 s[2:3], s[2:3], 2
	s_and_b32 vcc_lo, exec_lo, s13
	s_wait_alu 0xfffe
	s_add_nc_u64 s[2:3], s[14:15], s[2:3]
	s_cbranch_vccz .LBB118_2
; %bb.1:
	s_wait_alu 0xfffe
	v_add_co_u32 v1, s4, s2, v8
	s_wait_alu 0xf1ff
	v_add_co_ci_u32_e64 v2, null, s3, 0, s4
	s_mov_b32 s4, 0
	s_clause 0x6
	flat_load_b32 v3, v[1:2]
	flat_load_b32 v4, v[1:2] offset:1536
	flat_load_b32 v5, v[1:2] offset:3072
	;; [unrolled: 1-line block ×6, first 2 shown]
	s_wait_loadcnt_dscnt 0x505
	ds_store_2addr_stride64_b32 v8, v3, v4 offset1:6
	s_wait_loadcnt_dscnt 0x304
	ds_store_2addr_stride64_b32 v8, v5, v6 offset0:12 offset1:18
	s_wait_loadcnt_dscnt 0x103
	ds_store_2addr_stride64_b32 v8, v7, v9 offset0:24 offset1:30
	s_wait_loadcnt_dscnt 0x3
	ds_store_b32 v8, v1 offset:9216
	s_wait_dscnt 0x0
	s_barrier_signal -1
	s_barrier_wait -1
.LBB118_2:
	s_load_b32 s15, s[0:1], 0x74
	s_and_not1_b32 vcc_lo, exec_lo, s4
	s_addk_co_i32 s16, 0xa80
	s_cbranch_vccnz .LBB118_18
; %bb.3:
	v_mov_b32_e32 v1, 0
	s_mov_b32 s4, exec_lo
	s_delay_alu instid0(VALU_DEP_1)
	v_dual_mov_b32 v2, v1 :: v_dual_mov_b32 v3, v1
	v_dual_mov_b32 v4, v1 :: v_dual_mov_b32 v5, v1
	;; [unrolled: 1-line block ×3, first 2 shown]
	v_cmpx_gt_u32_e64 s16, v0
	s_cbranch_execz .LBB118_5
; %bb.4:
	v_add_co_u32 v2, s5, s2, v8
	s_wait_alu 0xf1ff
	v_add_co_ci_u32_e64 v3, null, s3, 0, s5
	v_dual_mov_b32 v10, v1 :: v_dual_mov_b32 v11, v1
	v_dual_mov_b32 v12, v1 :: v_dual_mov_b32 v13, v1
	flat_load_b32 v9, v[2:3]
	v_dual_mov_b32 v14, v1 :: v_dual_mov_b32 v15, v1
	s_wait_loadcnt_dscnt 0x0
	v_dual_mov_b32 v1, v9 :: v_dual_mov_b32 v2, v10
	v_dual_mov_b32 v3, v11 :: v_dual_mov_b32 v4, v12
	s_delay_alu instid0(VALU_DEP_3)
	v_dual_mov_b32 v5, v13 :: v_dual_mov_b32 v6, v14
	v_mov_b32_e32 v7, v15
.LBB118_5:
	s_wait_alu 0xfffe
	s_or_b32 exec_lo, exec_lo, s4
	v_add_nc_u32_e32 v9, 0x180, v0
	s_mov_b32 s4, exec_lo
	s_delay_alu instid0(VALU_DEP_1)
	v_cmpx_gt_u32_e64 s16, v9
	s_cbranch_execz .LBB118_7
; %bb.6:
	v_add_co_u32 v9, s5, s2, v8
	s_wait_alu 0xf1ff
	v_add_co_ci_u32_e64 v10, null, s3, 0, s5
	flat_load_b32 v2, v[9:10] offset:1536
.LBB118_7:
	s_wait_alu 0xfffe
	s_or_b32 exec_lo, exec_lo, s4
	v_add_nc_u32_e32 v9, 0x300, v0
	s_mov_b32 s4, exec_lo
	s_delay_alu instid0(VALU_DEP_1)
	v_cmpx_gt_u32_e64 s16, v9
	s_cbranch_execz .LBB118_9
; %bb.8:
	v_add_co_u32 v9, s5, s2, v8
	s_wait_alu 0xf1ff
	v_add_co_ci_u32_e64 v10, null, s3, 0, s5
	flat_load_b32 v3, v[9:10] offset:3072
.LBB118_9:
	;; [unrolled: 13-line block ×3, first 2 shown]
	s_wait_alu 0xfffe
	s_or_b32 exec_lo, exec_lo, s4
	v_or_b32_e32 v9, 0x600, v0
	s_mov_b32 s4, exec_lo
	s_delay_alu instid0(VALU_DEP_1)
	v_cmpx_gt_u32_e64 s16, v9
	s_cbranch_execz .LBB118_13
; %bb.12:
	v_add_co_u32 v9, s5, s2, v8
	s_wait_alu 0xf1ff
	v_add_co_ci_u32_e64 v10, null, s3, 0, s5
	flat_load_b32 v5, v[9:10] offset:6144
.LBB118_13:
	s_wait_alu 0xfffe
	s_or_b32 exec_lo, exec_lo, s4
	v_add_nc_u32_e32 v9, 0x780, v0
	s_mov_b32 s4, exec_lo
	s_delay_alu instid0(VALU_DEP_1)
	v_cmpx_gt_u32_e64 s16, v9
	s_cbranch_execz .LBB118_15
; %bb.14:
	v_add_co_u32 v9, s5, s2, v8
	s_wait_alu 0xf1ff
	v_add_co_ci_u32_e64 v10, null, s3, 0, s5
	flat_load_b32 v6, v[9:10] offset:7680
.LBB118_15:
	s_wait_alu 0xfffe
	s_or_b32 exec_lo, exec_lo, s4
	v_add_nc_u32_e32 v9, 0x900, v0
	s_mov_b32 s4, exec_lo
	s_delay_alu instid0(VALU_DEP_1)
	v_cmpx_gt_u32_e64 s16, v9
	s_cbranch_execz .LBB118_17
; %bb.16:
	v_add_co_u32 v9, s2, s2, v8
	s_wait_alu 0xf1ff
	v_add_co_ci_u32_e64 v10, null, s3, 0, s2
	flat_load_b32 v7, v[9:10] offset:9216
.LBB118_17:
	s_wait_alu 0xfffe
	s_or_b32 exec_lo, exec_lo, s4
	s_wait_loadcnt_dscnt 0x0
	ds_store_2addr_stride64_b32 v8, v1, v2 offset1:6
	ds_store_2addr_stride64_b32 v8, v3, v4 offset0:12 offset1:18
	ds_store_2addr_stride64_b32 v8, v5, v6 offset0:24 offset1:30
	ds_store_b32 v8, v7 offset:9216
	s_wait_dscnt 0x0
	s_barrier_signal -1
	s_barrier_wait -1
.LBB118_18:
	v_mul_u32_u24_e32 v1, 7, v0
	global_inv scope:SCOPE_SE
	s_and_not1_b32 vcc_lo, exec_lo, s13
	v_lshlrev_b32_e32 v34, 2, v1
	ds_load_2addr_b32 v[9:10], v34 offset0:4 offset1:5
	ds_load_b32 v29, v34 offset:24
	ds_load_2addr_b32 v[13:14], v34 offset1:1
	ds_load_2addr_b32 v[11:12], v34 offset0:2 offset1:3
	s_wait_loadcnt_dscnt 0x0
	s_barrier_signal -1
	s_barrier_wait -1
	global_inv scope:SCOPE_SE
	s_wait_kmcnt 0x0
	v_cmp_ne_u32_e64 s2, s15, v9
	v_cmp_ne_u32_e64 s14, s15, v29
	v_cmp_ne_u32_e64 s4, s15, v13
	v_cmp_ne_u32_e64 s6, s15, v14
	v_cmp_ne_u32_e64 s5, s15, v11
	v_cmp_ne_u32_e64 s7, s15, v12
	v_cmp_ne_u32_e64 s3, s15, v10
	s_cbranch_vccnz .LBB118_20
; %bb.19:
	v_cndmask_b32_e64 v2, 0, 1, s6
	v_cndmask_b32_e64 v3, 0, 1, s7
	s_wait_alu 0xf1ff
	v_cndmask_b32_e64 v4, 0, 1, s4
	v_cndmask_b32_e64 v5, 0, 1, s5
	;; [unrolled: 1-line block ×3, first 2 shown]
	v_lshlrev_b16 v2, 8, v2
	v_lshlrev_b16 v3, 8, v3
	v_cndmask_b32_e64 v30, 0, 1, s3
	s_delay_alu instid0(VALU_DEP_3) | instskip(NEXT) | instid1(VALU_DEP_3)
	v_or_b32_e32 v2, v4, v2
	v_or_b32_e32 v3, v5, v3
	s_delay_alu instid0(VALU_DEP_2) | instskip(NEXT) | instid1(VALU_DEP_2)
	v_and_b32_e32 v2, 0xffff, v2
	v_lshlrev_b32_e32 v3, 16, v3
	s_delay_alu instid0(VALU_DEP_1)
	v_or_b32_e32 v33, v2, v3
	s_cbranch_execz .LBB118_21
	s_branch .LBB118_22
.LBB118_20:
                                        ; implicit-def: $sgpr14
                                        ; implicit-def: $vgpr30
                                        ; implicit-def: $vgpr31
                                        ; implicit-def: $vgpr33
.LBB118_21:
	v_add_nc_u32_e32 v2, 1, v1
	v_cmp_ne_u32_e32 vcc_lo, s15, v14
	v_add_nc_u32_e32 v3, 3, v1
	v_cmp_ne_u32_e64 s2, s15, v13
	v_cmp_ne_u32_e64 s4, s15, v12
	v_cmp_gt_u32_e64 s3, s16, v2
	v_add_nc_u32_e32 v2, 2, v1
	v_cmp_gt_u32_e64 s6, s16, v3
	v_cmp_ne_u32_e64 s5, s15, v11
	v_add_nc_u32_e32 v5, 5, v1
	s_and_b32 s3, s3, vcc_lo
	v_cmp_gt_u32_e32 vcc_lo, s16, v1
	s_wait_alu 0xfffe
	v_cndmask_b32_e64 v3, 0, 1, s3
	v_cmp_gt_u32_e64 s3, s16, v2
	s_and_b32 s4, s6, s4
	s_and_b32 s2, vcc_lo, s2
	v_lshlrev_b16 v3, 8, v3
	s_wait_alu 0xfffe
	v_cndmask_b32_e64 v4, 0, 1, s2
	v_cndmask_b32_e64 v2, 0, 1, s4
	s_and_b32 s2, s3, s5
	v_cmp_ne_u32_e32 vcc_lo, s15, v10
	s_wait_alu 0xfffe
	v_cndmask_b32_e64 v6, 0, 1, s2
	v_cmp_gt_u32_e64 s2, s16, v5
	v_or_b32_e32 v3, v4, v3
	v_add_nc_u32_e32 v4, 4, v1
	v_lshlrev_b16 v2, 8, v2
	v_cmp_ne_u32_e64 s3, s15, v9
	s_and_b32 s2, s2, vcc_lo
	v_add_nc_u32_e32 v1, 6, v1
	v_cmp_gt_u32_e32 vcc_lo, s16, v4
	v_or_b32_e32 v2, v6, v2
	s_wait_alu 0xfffe
	v_cndmask_b32_e64 v30, 0, 1, s2
	v_and_b32_e32 v3, 0xffff, v3
	s_and_b32 s2, vcc_lo, s3
	v_cmp_gt_u32_e32 vcc_lo, s16, v1
	s_wait_alu 0xfffe
	v_cndmask_b32_e64 v5, 0, 1, s2
	v_cmp_ne_u32_e64 s2, s15, v29
	v_lshlrev_b32_e32 v2, 16, v2
	v_lshlrev_b16 v4, 8, v30
	s_and_not1_b32 s3, s14, exec_lo
	s_and_b32 s2, vcc_lo, s2
	s_delay_alu instid0(VALU_DEP_2) | instskip(NEXT) | instid1(VALU_DEP_2)
	v_or_b32_e32 v33, v3, v2
	v_or_b32_e32 v31, v5, v4
	s_wait_alu 0xfffe
	s_and_b32 s2, s2, exec_lo
	s_wait_alu 0xfffe
	s_or_b32 s14, s3, s2
.LBB118_22:
	s_delay_alu instid0(VALU_DEP_1)
	v_dual_mov_b32 v2, 0 :: v_dual_and_b32 v37, 0xff, v33
	v_bfe_u32 v36, v33, 8, 8
	s_wait_alu 0xfffe
	v_cndmask_b32_e64 v1, 0, 1, s14
	v_bfe_u32 v39, v33, 16, 8
	v_lshrrev_b32_e32 v32, 24, v33
	s_load_b64 s[6:7], s[0:1], 0x60
	v_and_b32_e32 v38, 0xff, v31
	v_add3_u32 v1, v37, v1, v36
	v_mbcnt_lo_u32_b32 v40, -1, 0
	v_and_b32_e32 v35, 0xff, v30
	s_cmp_lg_u32 ttmp9, 0
	s_mov_b32 s3, -1
	v_add_co_u32 v1, s2, v1, v39
	s_wait_alu 0xf1ff
	v_add_co_ci_u32_e64 v3, null, 0, 0, s2
	v_and_b32_e32 v41, 15, v40
	s_delay_alu instid0(VALU_DEP_3) | instskip(NEXT) | instid1(VALU_DEP_1)
	v_add_co_u32 v1, vcc_lo, v1, v32
	v_add_co_ci_u32_e64 v3, null, 0, v3, vcc_lo
	s_delay_alu instid0(VALU_DEP_3) | instskip(NEXT) | instid1(VALU_DEP_3)
	v_cmp_ne_u32_e64 s2, 0, v41
	v_add_co_u32 v1, vcc_lo, v1, v38
	s_wait_alu 0xfffd
	s_delay_alu instid0(VALU_DEP_3) | instskip(NEXT) | instid1(VALU_DEP_2)
	v_add_co_ci_u32_e64 v3, null, 0, v3, vcc_lo
	v_add_co_u32 v15, vcc_lo, v1, v35
	s_wait_alu 0xfffd
	s_delay_alu instid0(VALU_DEP_2)
	v_add_co_ci_u32_e64 v16, null, 0, v3, vcc_lo
	s_cbranch_scc0 .LBB118_81
; %bb.23:
	v_mov_b32_e32 v3, v15
	v_mov_b32_dpp v1, v15 row_shr:1 row_mask:0xf bank_mask:0xf
	v_mov_b32_dpp v6, v2 row_shr:1 row_mask:0xf bank_mask:0xf
	v_dual_mov_b32 v5, v15 :: v_dual_mov_b32 v4, v16
	s_and_saveexec_b32 s3, s2
; %bb.24:
	s_delay_alu instid0(VALU_DEP_3) | instskip(SKIP_2) | instid1(VALU_DEP_2)
	v_add_co_u32 v5, vcc_lo, v15, v1
	s_wait_alu 0xfffd
	v_add_co_ci_u32_e64 v2, null, 0, v16, vcc_lo
	v_add_co_u32 v1, vcc_lo, 0, v5
	s_wait_alu 0xfffd
	s_delay_alu instid0(VALU_DEP_2) | instskip(NEXT) | instid1(VALU_DEP_1)
	v_add_co_ci_u32_e64 v2, null, v6, v2, vcc_lo
	v_dual_mov_b32 v4, v2 :: v_dual_mov_b32 v3, v1
; %bb.25:
	s_wait_alu 0xfffe
	s_or_b32 exec_lo, exec_lo, s3
	v_mov_b32_dpp v1, v5 row_shr:2 row_mask:0xf bank_mask:0xf
	v_mov_b32_dpp v6, v2 row_shr:2 row_mask:0xf bank_mask:0xf
	v_cmp_lt_u32_e32 vcc_lo, 1, v41
	s_and_saveexec_b32 s4, vcc_lo
; %bb.26:
	s_delay_alu instid0(VALU_DEP_3) | instskip(SKIP_2) | instid1(VALU_DEP_2)
	v_add_co_u32 v5, s3, v3, v1
	s_wait_alu 0xf1ff
	v_add_co_ci_u32_e64 v2, null, 0, v4, s3
	v_add_co_u32 v1, s3, 0, v5
	s_wait_alu 0xf1ff
	s_delay_alu instid0(VALU_DEP_2) | instskip(NEXT) | instid1(VALU_DEP_1)
	v_add_co_ci_u32_e64 v2, null, v6, v2, s3
	v_dual_mov_b32 v4, v2 :: v_dual_mov_b32 v3, v1
; %bb.27:
	s_wait_alu 0xfffe
	s_or_b32 exec_lo, exec_lo, s4
	v_mov_b32_dpp v1, v5 row_shr:4 row_mask:0xf bank_mask:0xf
	v_mov_b32_dpp v6, v2 row_shr:4 row_mask:0xf bank_mask:0xf
	v_cmp_lt_u32_e64 s3, 3, v41
	s_and_saveexec_b32 s5, s3
; %bb.28:
	v_add_co_u32 v5, s4, v3, v1
	s_wait_alu 0xf1ff
	v_add_co_ci_u32_e64 v2, null, 0, v4, s4
	s_delay_alu instid0(VALU_DEP_2) | instskip(SKIP_1) | instid1(VALU_DEP_2)
	v_add_co_u32 v1, s4, 0, v5
	s_wait_alu 0xf1ff
	v_add_co_ci_u32_e64 v2, null, v6, v2, s4
	s_delay_alu instid0(VALU_DEP_1)
	v_dual_mov_b32 v4, v2 :: v_dual_mov_b32 v3, v1
; %bb.29:
	s_wait_alu 0xfffe
	s_or_b32 exec_lo, exec_lo, s5
	v_mov_b32_dpp v6, v5 row_shr:8 row_mask:0xf bank_mask:0xf
	v_mov_b32_dpp v1, v2 row_shr:8 row_mask:0xf bank_mask:0xf
	v_cmp_lt_u32_e64 s4, 7, v41
	s_and_saveexec_b32 s15, s4
; %bb.30:
	v_add_co_u32 v5, s5, v3, v6
	s_wait_alu 0xf1ff
	v_add_co_ci_u32_e64 v2, null, 0, v4, s5
	s_delay_alu instid0(VALU_DEP_2) | instskip(SKIP_1) | instid1(VALU_DEP_2)
	v_add_co_u32 v3, s5, 0, v5
	s_wait_alu 0xf1ff
	v_add_co_ci_u32_e64 v4, null, v1, v2, s5
	s_delay_alu instid0(VALU_DEP_1)
	v_mov_b32_e32 v2, v4
; %bb.31:
	s_wait_alu 0xfffe
	s_or_b32 exec_lo, exec_lo, s15
	ds_swizzle_b32 v1, v5 offset:swizzle(BROADCAST,32,15)
	ds_swizzle_b32 v6, v2 offset:swizzle(BROADCAST,32,15)
	v_and_b32_e32 v7, 16, v40
	s_mov_b32 s15, exec_lo
	s_delay_alu instid0(VALU_DEP_1)
	v_cmpx_ne_u32_e32 0, v7
	s_cbranch_execz .LBB118_33
; %bb.32:
	s_wait_dscnt 0x1
	v_add_co_u32 v5, s5, v3, v1
	s_wait_alu 0xf1ff
	v_add_co_ci_u32_e64 v2, null, 0, v4, s5
	s_delay_alu instid0(VALU_DEP_2) | instskip(SKIP_2) | instid1(VALU_DEP_2)
	v_add_co_u32 v1, s5, 0, v5
	s_wait_dscnt 0x0
	s_wait_alu 0xf1ff
	v_add_co_ci_u32_e64 v2, null, v6, v2, s5
	s_delay_alu instid0(VALU_DEP_1)
	v_dual_mov_b32 v4, v2 :: v_dual_mov_b32 v3, v1
.LBB118_33:
	s_wait_alu 0xfffe
	s_or_b32 exec_lo, exec_lo, s15
	s_wait_dscnt 0x1
	v_and_b32_e32 v1, 0x1e0, v0
	s_mov_b32 s15, exec_lo
	s_delay_alu instid0(VALU_DEP_1) | instskip(SKIP_1) | instid1(VALU_DEP_1)
	v_min_u32_e32 v1, 0x160, v1
	s_wait_dscnt 0x0
	v_or_b32_e32 v6, 31, v1
	v_lshrrev_b32_e32 v1, 5, v0
	s_delay_alu instid0(VALU_DEP_2)
	v_cmpx_eq_u32_e64 v0, v6
; %bb.34:
	s_delay_alu instid0(VALU_DEP_2)
	v_lshlrev_b32_e32 v6, 3, v1
	ds_store_b64 v6, v[3:4]
; %bb.35:
	s_wait_alu 0xfffe
	s_or_b32 exec_lo, exec_lo, s15
	s_delay_alu instid0(SALU_CYCLE_1)
	s_mov_b32 s15, exec_lo
	s_wait_loadcnt_dscnt 0x0
	s_barrier_signal -1
	s_barrier_wait -1
	global_inv scope:SCOPE_SE
	v_cmpx_gt_u32_e32 12, v0
	s_cbranch_execz .LBB118_45
; %bb.36:
	v_lshlrev_b32_e32 v6, 3, v0
	ds_load_b64 v[3:4], v6
	s_wait_dscnt 0x0
	v_mov_b32_dpp v17, v3 row_shr:1 row_mask:0xf bank_mask:0xf
	v_mov_b32_dpp v8, v4 row_shr:1 row_mask:0xf bank_mask:0xf
	v_mov_b32_e32 v7, v3
	s_and_saveexec_b32 s16, s2
; %bb.37:
	s_delay_alu instid0(VALU_DEP_3) | instskip(SKIP_2) | instid1(VALU_DEP_2)
	v_add_co_u32 v7, s5, v3, v17
	s_wait_alu 0xf1ff
	v_add_co_ci_u32_e64 v4, null, 0, v4, s5
	v_add_co_u32 v3, s5, 0, v7
	s_wait_alu 0xf1ff
	s_delay_alu instid0(VALU_DEP_2)
	v_add_co_ci_u32_e64 v4, null, v8, v4, s5
; %bb.38:
	s_wait_alu 0xfffe
	s_or_b32 exec_lo, exec_lo, s16
	v_mov_b32_dpp v17, v7 row_shr:2 row_mask:0xf bank_mask:0xf
	s_delay_alu instid0(VALU_DEP_2)
	v_mov_b32_dpp v8, v4 row_shr:2 row_mask:0xf bank_mask:0xf
	s_and_saveexec_b32 s5, vcc_lo
; %bb.39:
	s_delay_alu instid0(VALU_DEP_2) | instskip(SKIP_2) | instid1(VALU_DEP_2)
	v_add_co_u32 v7, vcc_lo, v3, v17
	s_wait_alu 0xfffd
	v_add_co_ci_u32_e64 v4, null, 0, v4, vcc_lo
	v_add_co_u32 v3, vcc_lo, 0, v7
	s_wait_alu 0xfffd
	s_delay_alu instid0(VALU_DEP_2)
	v_add_co_ci_u32_e64 v4, null, v8, v4, vcc_lo
; %bb.40:
	s_wait_alu 0xfffe
	s_or_b32 exec_lo, exec_lo, s5
	v_mov_b32_dpp v17, v7 row_shr:4 row_mask:0xf bank_mask:0xf
	s_delay_alu instid0(VALU_DEP_2)
	v_mov_b32_dpp v8, v4 row_shr:4 row_mask:0xf bank_mask:0xf
	s_and_saveexec_b32 s5, s3
; %bb.41:
	s_delay_alu instid0(VALU_DEP_2) | instskip(SKIP_2) | instid1(VALU_DEP_2)
	v_add_co_u32 v7, vcc_lo, v3, v17
	s_wait_alu 0xfffd
	v_add_co_ci_u32_e64 v4, null, 0, v4, vcc_lo
	v_add_co_u32 v3, vcc_lo, 0, v7
	s_wait_alu 0xfffd
	s_delay_alu instid0(VALU_DEP_2)
	v_add_co_ci_u32_e64 v4, null, v8, v4, vcc_lo
; %bb.42:
	s_wait_alu 0xfffe
	s_or_b32 exec_lo, exec_lo, s5
	v_mov_b32_dpp v8, v7 row_shr:8 row_mask:0xf bank_mask:0xf
	s_delay_alu instid0(VALU_DEP_2)
	v_mov_b32_dpp v7, v4 row_shr:8 row_mask:0xf bank_mask:0xf
	s_and_saveexec_b32 s3, s4
; %bb.43:
	s_delay_alu instid0(VALU_DEP_2) | instskip(SKIP_2) | instid1(VALU_DEP_2)
	v_add_co_u32 v3, vcc_lo, v3, v8
	s_wait_alu 0xfffd
	v_add_co_ci_u32_e64 v4, null, 0, v4, vcc_lo
	v_add_co_u32 v3, vcc_lo, v3, 0
	s_wait_alu 0xfffd
	s_delay_alu instid0(VALU_DEP_2)
	v_add_co_ci_u32_e64 v4, null, v4, v7, vcc_lo
; %bb.44:
	s_wait_alu 0xfffe
	s_or_b32 exec_lo, exec_lo, s3
	ds_store_b64 v6, v[3:4]
.LBB118_45:
	s_wait_alu 0xfffe
	s_or_b32 exec_lo, exec_lo, s15
	s_delay_alu instid0(SALU_CYCLE_1)
	s_mov_b32 s4, exec_lo
	v_cmp_gt_u32_e32 vcc_lo, 32, v0
	s_wait_loadcnt_dscnt 0x0
	s_barrier_signal -1
	s_barrier_wait -1
	global_inv scope:SCOPE_SE
                                        ; implicit-def: $vgpr17_vgpr18
	v_cmpx_lt_u32_e32 31, v0
	s_cbranch_execz .LBB118_47
; %bb.46:
	v_lshl_add_u32 v1, v1, 3, -8
	ds_load_b64 v[17:18], v1
	s_wait_dscnt 0x0
	v_add_co_u32 v5, s3, v5, v17
	s_wait_alu 0xf1ff
	v_add_co_ci_u32_e64 v2, null, v2, v18, s3
.LBB118_47:
	s_wait_alu 0xfffe
	s_or_b32 exec_lo, exec_lo, s4
	v_sub_co_u32 v1, s3, v40, 1
	s_delay_alu instid0(VALU_DEP_1) | instskip(SKIP_1) | instid1(VALU_DEP_1)
	v_cmp_gt_i32_e64 s4, 0, v1
	s_wait_alu 0xf1ff
	v_cndmask_b32_e64 v1, v1, v40, s4
	s_delay_alu instid0(VALU_DEP_1)
	v_lshlrev_b32_e32 v1, 2, v1
	ds_bpermute_b32 v23, v1, v5
	ds_bpermute_b32 v24, v1, v2
	s_and_saveexec_b32 s4, vcc_lo
	s_cbranch_execz .LBB118_86
; %bb.48:
	v_mov_b32_e32 v4, 0
	ds_load_b64 v[1:2], v4 offset:88
	s_and_saveexec_b32 s5, s3
	s_cbranch_execz .LBB118_50
; %bb.49:
	s_add_co_i32 s16, ttmp9, 32
	s_mov_b32 s17, 0
	s_wait_alu 0xfffe
	s_lshl_b64 s[16:17], s[16:17], 4
	s_wait_kmcnt 0x0
	s_wait_alu 0xfffe
	s_add_nc_u64 s[16:17], s[6:7], s[16:17]
	v_mov_b32_e32 v3, 1
	s_wait_alu 0xfffe
	v_dual_mov_b32 v5, s16 :: v_dual_mov_b32 v6, s17
	s_wait_dscnt 0x0
	;;#ASMSTART
	global_store_b128 v[5:6], v[1:4] off scope:SCOPE_DEV	
s_wait_storecnt 0x0
	;;#ASMEND
.LBB118_50:
	s_wait_alu 0xfffe
	s_or_b32 exec_lo, exec_lo, s5
	v_xad_u32 v19, v40, -1, ttmp9
	s_mov_b32 s15, 0
	s_mov_b32 s5, exec_lo
	s_delay_alu instid0(VALU_DEP_1) | instskip(NEXT) | instid1(VALU_DEP_1)
	v_add_nc_u32_e32 v3, 32, v19
	v_lshlrev_b64_e32 v[3:4], 4, v[3:4]
	s_wait_kmcnt 0x0
	s_delay_alu instid0(VALU_DEP_1) | instskip(SKIP_1) | instid1(VALU_DEP_2)
	v_add_co_u32 v3, vcc_lo, s6, v3
	s_wait_alu 0xfffd
	v_add_co_ci_u32_e64 v4, null, s7, v4, vcc_lo
	;;#ASMSTART
	global_load_b128 v[5:8], v[3:4] off scope:SCOPE_DEV	
s_wait_loadcnt 0x0
	;;#ASMEND
	v_and_b32_e32 v8, 0xff, v7
	s_delay_alu instid0(VALU_DEP_1)
	v_cmpx_eq_u16_e32 0, v8
	s_cbranch_execz .LBB118_53
.LBB118_51:                             ; =>This Inner Loop Header: Depth=1
	;;#ASMSTART
	global_load_b128 v[5:8], v[3:4] off scope:SCOPE_DEV	
s_wait_loadcnt 0x0
	;;#ASMEND
	v_and_b32_e32 v8, 0xff, v7
	s_delay_alu instid0(VALU_DEP_1)
	v_cmp_ne_u16_e32 vcc_lo, 0, v8
	s_wait_alu 0xfffe
	s_or_b32 s15, vcc_lo, s15
	s_wait_alu 0xfffe
	s_and_not1_b32 exec_lo, exec_lo, s15
	s_cbranch_execnz .LBB118_51
; %bb.52:
	s_or_b32 exec_lo, exec_lo, s15
.LBB118_53:
	s_wait_alu 0xfffe
	s_or_b32 exec_lo, exec_lo, s5
	v_cmp_ne_u32_e32 vcc_lo, 31, v40
	v_and_b32_e32 v4, 0xff, v7
	v_lshlrev_b32_e64 v26, v40, -1
	s_mov_b32 s5, exec_lo
	s_wait_alu 0xfffd
	v_add_co_ci_u32_e64 v3, null, 0, v40, vcc_lo
	v_cmp_eq_u16_e32 vcc_lo, 2, v4
	s_delay_alu instid0(VALU_DEP_2)
	v_dual_mov_b32 v4, v5 :: v_dual_lshlrev_b32 v25, 2, v3
	s_wait_alu 0xfffd
	v_and_or_b32 v3, vcc_lo, v26, 0x80000000
	ds_bpermute_b32 v20, v25, v5
	ds_bpermute_b32 v8, v25, v6
	v_ctz_i32_b32_e32 v3, v3
	s_delay_alu instid0(VALU_DEP_1)
	v_cmpx_lt_u32_e64 v40, v3
	s_cbranch_execz .LBB118_55
; %bb.54:
	s_wait_dscnt 0x1
	v_add_co_u32 v4, vcc_lo, v5, v20
	s_wait_alu 0xfffd
	v_add_co_ci_u32_e64 v6, null, 0, v6, vcc_lo
	s_delay_alu instid0(VALU_DEP_2) | instskip(SKIP_2) | instid1(VALU_DEP_2)
	v_add_co_u32 v5, vcc_lo, 0, v4
	s_wait_dscnt 0x0
	s_wait_alu 0xfffd
	v_add_co_ci_u32_e64 v6, null, v8, v6, vcc_lo
.LBB118_55:
	s_wait_alu 0xfffe
	s_or_b32 exec_lo, exec_lo, s5
	v_cmp_gt_u32_e32 vcc_lo, 30, v40
	v_add_nc_u32_e32 v28, 2, v40
	s_mov_b32 s5, exec_lo
	s_wait_dscnt 0x0
	s_wait_alu 0xfffd
	v_cndmask_b32_e64 v8, 0, 2, vcc_lo
	s_delay_alu instid0(VALU_DEP_1)
	v_add_lshl_u32 v27, v8, v40, 2
	ds_bpermute_b32 v20, v27, v4
	ds_bpermute_b32 v8, v27, v6
	v_cmpx_le_u32_e64 v28, v3
	s_cbranch_execz .LBB118_57
; %bb.56:
	s_wait_dscnt 0x1
	v_add_co_u32 v4, vcc_lo, v5, v20
	s_wait_alu 0xfffd
	v_add_co_ci_u32_e64 v6, null, 0, v6, vcc_lo
	s_delay_alu instid0(VALU_DEP_2) | instskip(SKIP_2) | instid1(VALU_DEP_2)
	v_add_co_u32 v5, vcc_lo, 0, v4
	s_wait_dscnt 0x0
	s_wait_alu 0xfffd
	v_add_co_ci_u32_e64 v6, null, v8, v6, vcc_lo
.LBB118_57:
	s_wait_alu 0xfffe
	s_or_b32 exec_lo, exec_lo, s5
	v_cmp_gt_u32_e32 vcc_lo, 28, v40
	v_add_nc_u32_e32 v43, 4, v40
	s_mov_b32 s5, exec_lo
	s_wait_dscnt 0x0
	s_wait_alu 0xfffd
	v_cndmask_b32_e64 v8, 0, 4, vcc_lo
	s_delay_alu instid0(VALU_DEP_1)
	v_add_lshl_u32 v42, v8, v40, 2
	ds_bpermute_b32 v20, v42, v4
	ds_bpermute_b32 v8, v42, v6
	v_cmpx_le_u32_e64 v43, v3
	;; [unrolled: 25-line block ×3, first 2 shown]
	s_cbranch_execz .LBB118_61
; %bb.60:
	s_wait_dscnt 0x1
	v_add_co_u32 v4, vcc_lo, v5, v20
	s_wait_alu 0xfffd
	v_add_co_ci_u32_e64 v6, null, 0, v6, vcc_lo
	s_delay_alu instid0(VALU_DEP_2) | instskip(SKIP_2) | instid1(VALU_DEP_2)
	v_add_co_u32 v5, vcc_lo, 0, v4
	s_wait_dscnt 0x0
	s_wait_alu 0xfffd
	v_add_co_ci_u32_e64 v6, null, v8, v6, vcc_lo
.LBB118_61:
	s_wait_alu 0xfffe
	s_or_b32 exec_lo, exec_lo, s5
	v_lshl_or_b32 v46, v40, 2, 64
	v_add_nc_u32_e32 v47, 16, v40
	s_mov_b32 s5, exec_lo
	s_wait_dscnt 0x0
	ds_bpermute_b32 v8, v46, v4
	ds_bpermute_b32 v4, v46, v6
	v_cmpx_le_u32_e64 v47, v3
	s_cbranch_execz .LBB118_63
; %bb.62:
	s_wait_dscnt 0x1
	v_add_co_u32 v3, vcc_lo, v5, v8
	s_wait_alu 0xfffd
	v_add_co_ci_u32_e64 v6, null, 0, v6, vcc_lo
	s_delay_alu instid0(VALU_DEP_2) | instskip(SKIP_2) | instid1(VALU_DEP_2)
	v_add_co_u32 v5, vcc_lo, v3, 0
	s_wait_dscnt 0x0
	s_wait_alu 0xfffd
	v_add_co_ci_u32_e64 v6, null, v6, v4, vcc_lo
.LBB118_63:
	s_wait_alu 0xfffe
	s_or_b32 exec_lo, exec_lo, s5
	v_mov_b32_e32 v20, 0
	s_branch .LBB118_66
.LBB118_64:                             ;   in Loop: Header=BB118_66 Depth=1
	s_wait_alu 0xfffe
	s_or_b32 exec_lo, exec_lo, s5
	v_add_co_u32 v5, vcc_lo, v5, v3
	v_subrev_nc_u32_e32 v19, 32, v19
	s_wait_alu 0xfffd
	v_add_co_ci_u32_e64 v6, null, v6, v4, vcc_lo
	s_mov_b32 s5, 0
.LBB118_65:                             ;   in Loop: Header=BB118_66 Depth=1
	s_wait_alu 0xfffe
	s_and_b32 vcc_lo, exec_lo, s5
	s_wait_alu 0xfffe
	s_cbranch_vccnz .LBB118_82
.LBB118_66:                             ; =>This Loop Header: Depth=1
                                        ;     Child Loop BB118_69 Depth 2
	v_and_b32_e32 v3, 0xff, v7
	s_mov_b32 s5, -1
	s_delay_alu instid0(VALU_DEP_1)
	v_cmp_ne_u16_e32 vcc_lo, 2, v3
	s_wait_dscnt 0x0
	v_dual_mov_b32 v3, v5 :: v_dual_mov_b32 v4, v6
                                        ; implicit-def: $vgpr5_vgpr6
	s_cmp_lg_u32 vcc_lo, exec_lo
	s_cbranch_scc1 .LBB118_65
; %bb.67:                               ;   in Loop: Header=BB118_66 Depth=1
	v_lshlrev_b64_e32 v[5:6], 4, v[19:20]
	s_mov_b32 s5, exec_lo
	s_delay_alu instid0(VALU_DEP_1) | instskip(SKIP_1) | instid1(VALU_DEP_2)
	v_add_co_u32 v21, vcc_lo, s6, v5
	s_wait_alu 0xfffd
	v_add_co_ci_u32_e64 v22, null, s7, v6, vcc_lo
	;;#ASMSTART
	global_load_b128 v[5:8], v[21:22] off scope:SCOPE_DEV	
s_wait_loadcnt 0x0
	;;#ASMEND
	v_and_b32_e32 v8, 0xff, v7
	s_delay_alu instid0(VALU_DEP_1)
	v_cmpx_eq_u16_e32 0, v8
	s_cbranch_execz .LBB118_71
; %bb.68:                               ;   in Loop: Header=BB118_66 Depth=1
	s_mov_b32 s15, 0
.LBB118_69:                             ;   Parent Loop BB118_66 Depth=1
                                        ; =>  This Inner Loop Header: Depth=2
	;;#ASMSTART
	global_load_b128 v[5:8], v[21:22] off scope:SCOPE_DEV	
s_wait_loadcnt 0x0
	;;#ASMEND
	v_and_b32_e32 v8, 0xff, v7
	s_delay_alu instid0(VALU_DEP_1)
	v_cmp_ne_u16_e32 vcc_lo, 0, v8
	s_wait_alu 0xfffe
	s_or_b32 s15, vcc_lo, s15
	s_wait_alu 0xfffe
	s_and_not1_b32 exec_lo, exec_lo, s15
	s_cbranch_execnz .LBB118_69
; %bb.70:                               ;   in Loop: Header=BB118_66 Depth=1
	s_or_b32 exec_lo, exec_lo, s15
.LBB118_71:                             ;   in Loop: Header=BB118_66 Depth=1
	s_wait_alu 0xfffe
	s_or_b32 exec_lo, exec_lo, s5
	v_dual_mov_b32 v21, v5 :: v_dual_and_b32 v8, 0xff, v7
	ds_bpermute_b32 v48, v25, v5
	ds_bpermute_b32 v22, v25, v6
	s_mov_b32 s5, exec_lo
	v_cmp_eq_u16_e32 vcc_lo, 2, v8
	s_wait_alu 0xfffd
	v_and_or_b32 v8, vcc_lo, v26, 0x80000000
	s_delay_alu instid0(VALU_DEP_1) | instskip(NEXT) | instid1(VALU_DEP_1)
	v_ctz_i32_b32_e32 v8, v8
	v_cmpx_lt_u32_e64 v40, v8
	s_cbranch_execz .LBB118_73
; %bb.72:                               ;   in Loop: Header=BB118_66 Depth=1
	s_wait_dscnt 0x1
	v_add_co_u32 v21, vcc_lo, v5, v48
	s_wait_alu 0xfffd
	v_add_co_ci_u32_e64 v6, null, 0, v6, vcc_lo
	s_delay_alu instid0(VALU_DEP_2) | instskip(SKIP_2) | instid1(VALU_DEP_2)
	v_add_co_u32 v5, vcc_lo, 0, v21
	s_wait_dscnt 0x0
	s_wait_alu 0xfffd
	v_add_co_ci_u32_e64 v6, null, v22, v6, vcc_lo
.LBB118_73:                             ;   in Loop: Header=BB118_66 Depth=1
	s_wait_alu 0xfffe
	s_or_b32 exec_lo, exec_lo, s5
	s_wait_dscnt 0x1
	ds_bpermute_b32 v48, v27, v21
	s_wait_dscnt 0x1
	ds_bpermute_b32 v22, v27, v6
	s_mov_b32 s5, exec_lo
	v_cmpx_le_u32_e64 v28, v8
	s_cbranch_execz .LBB118_75
; %bb.74:                               ;   in Loop: Header=BB118_66 Depth=1
	s_wait_dscnt 0x1
	v_add_co_u32 v21, vcc_lo, v5, v48
	s_wait_alu 0xfffd
	v_add_co_ci_u32_e64 v6, null, 0, v6, vcc_lo
	s_delay_alu instid0(VALU_DEP_2) | instskip(SKIP_2) | instid1(VALU_DEP_2)
	v_add_co_u32 v5, vcc_lo, 0, v21
	s_wait_dscnt 0x0
	s_wait_alu 0xfffd
	v_add_co_ci_u32_e64 v6, null, v22, v6, vcc_lo
.LBB118_75:                             ;   in Loop: Header=BB118_66 Depth=1
	s_wait_alu 0xfffe
	s_or_b32 exec_lo, exec_lo, s5
	s_wait_dscnt 0x1
	ds_bpermute_b32 v48, v42, v21
	s_wait_dscnt 0x1
	ds_bpermute_b32 v22, v42, v6
	s_mov_b32 s5, exec_lo
	v_cmpx_le_u32_e64 v43, v8
	s_cbranch_execz .LBB118_77
; %bb.76:                               ;   in Loop: Header=BB118_66 Depth=1
	s_wait_dscnt 0x1
	v_add_co_u32 v21, vcc_lo, v5, v48
	s_wait_alu 0xfffd
	v_add_co_ci_u32_e64 v6, null, 0, v6, vcc_lo
	s_delay_alu instid0(VALU_DEP_2) | instskip(SKIP_2) | instid1(VALU_DEP_2)
	v_add_co_u32 v5, vcc_lo, 0, v21
	s_wait_dscnt 0x0
	s_wait_alu 0xfffd
	v_add_co_ci_u32_e64 v6, null, v22, v6, vcc_lo
.LBB118_77:                             ;   in Loop: Header=BB118_66 Depth=1
	s_wait_alu 0xfffe
	s_or_b32 exec_lo, exec_lo, s5
	s_wait_dscnt 0x1
	ds_bpermute_b32 v48, v44, v21
	s_wait_dscnt 0x1
	ds_bpermute_b32 v22, v44, v6
	s_mov_b32 s5, exec_lo
	v_cmpx_le_u32_e64 v45, v8
	s_cbranch_execz .LBB118_79
; %bb.78:                               ;   in Loop: Header=BB118_66 Depth=1
	s_wait_dscnt 0x1
	v_add_co_u32 v21, vcc_lo, v5, v48
	s_wait_alu 0xfffd
	v_add_co_ci_u32_e64 v6, null, 0, v6, vcc_lo
	s_delay_alu instid0(VALU_DEP_2) | instskip(SKIP_2) | instid1(VALU_DEP_2)
	v_add_co_u32 v5, vcc_lo, 0, v21
	s_wait_dscnt 0x0
	s_wait_alu 0xfffd
	v_add_co_ci_u32_e64 v6, null, v22, v6, vcc_lo
.LBB118_79:                             ;   in Loop: Header=BB118_66 Depth=1
	s_wait_alu 0xfffe
	s_or_b32 exec_lo, exec_lo, s5
	s_wait_dscnt 0x0
	ds_bpermute_b32 v22, v46, v21
	ds_bpermute_b32 v21, v46, v6
	s_mov_b32 s5, exec_lo
	v_cmpx_le_u32_e64 v47, v8
	s_cbranch_execz .LBB118_64
; %bb.80:                               ;   in Loop: Header=BB118_66 Depth=1
	s_wait_dscnt 0x1
	v_add_co_u32 v5, vcc_lo, v5, v22
	s_wait_alu 0xfffd
	v_add_co_ci_u32_e64 v6, null, 0, v6, vcc_lo
	s_delay_alu instid0(VALU_DEP_2) | instskip(SKIP_2) | instid1(VALU_DEP_2)
	v_add_co_u32 v5, vcc_lo, v5, 0
	s_wait_dscnt 0x0
	s_wait_alu 0xfffd
	v_add_co_ci_u32_e64 v6, null, v6, v21, vcc_lo
	s_branch .LBB118_64
.LBB118_81:
                                        ; implicit-def: $vgpr17_vgpr18
                                        ; implicit-def: $vgpr6_vgpr7
                                        ; implicit-def: $vgpr19_vgpr20
                                        ; implicit-def: $vgpr21_vgpr22
                                        ; implicit-def: $vgpr23_vgpr24
                                        ; implicit-def: $vgpr25_vgpr26
                                        ; implicit-def: $vgpr27_vgpr28
                                        ; implicit-def: $vgpr4_vgpr5
	s_wait_alu 0xfffe
	s_and_b32 vcc_lo, exec_lo, s3
	s_wait_alu 0xfffe
	s_cbranch_vccnz .LBB118_87
	s_branch .LBB118_114
.LBB118_82:
	s_and_saveexec_b32 s5, s3
	s_cbranch_execz .LBB118_84
; %bb.83:
	s_add_co_i32 s16, ttmp9, 32
	s_mov_b32 s17, 0
	v_add_co_u32 v5, vcc_lo, v3, v1
	s_wait_alu 0xfffe
	s_lshl_b64 s[16:17], s[16:17], 4
	v_dual_mov_b32 v7, 2 :: v_dual_mov_b32 v8, 0
	s_wait_alu 0xfffe
	s_add_nc_u64 s[16:17], s[6:7], s[16:17]
	s_wait_alu 0xfffd
	v_add_co_ci_u32_e64 v6, null, v4, v2, vcc_lo
	s_wait_alu 0xfffe
	v_dual_mov_b32 v20, s17 :: v_dual_mov_b32 v19, s16
	;;#ASMSTART
	global_store_b128 v[19:20], v[5:8] off scope:SCOPE_DEV	
s_wait_storecnt 0x0
	;;#ASMEND
	ds_store_b128 v8, v[1:4] offset:10752
.LBB118_84:
	s_wait_alu 0xfffe
	s_or_b32 exec_lo, exec_lo, s5
	v_cmp_eq_u32_e32 vcc_lo, 0, v0
	s_and_b32 exec_lo, exec_lo, vcc_lo
; %bb.85:
	v_mov_b32_e32 v1, 0
	ds_store_b64 v1, v[3:4] offset:88
.LBB118_86:
	s_wait_alu 0xfffe
	s_or_b32 exec_lo, exec_lo, s4
	s_wait_dscnt 0x1
	v_cndmask_b32_e64 v4, v23, v17, s3
	v_cmp_ne_u32_e32 vcc_lo, 0, v0
	v_mov_b32_e32 v3, 0
	s_wait_loadcnt_dscnt 0x0
	s_barrier_signal -1
	s_barrier_wait -1
	global_inv scope:SCOPE_SE
	s_wait_alu 0xfffd
	v_cndmask_b32_e32 v4, 0, v4, vcc_lo
	ds_load_b64 v[1:2], v3 offset:88
	v_cndmask_b32_e64 v5, v24, v18, s3
	s_wait_loadcnt_dscnt 0x0
	s_barrier_signal -1
	s_barrier_wait -1
	global_inv scope:SCOPE_SE
	v_cndmask_b32_e32 v5, 0, v5, vcc_lo
	v_add_co_u32 v27, vcc_lo, v1, v4
	s_wait_alu 0xfffd
	s_delay_alu instid0(VALU_DEP_2) | instskip(SKIP_4) | instid1(VALU_DEP_2)
	v_add_co_ci_u32_e64 v28, null, v2, v5, vcc_lo
	ds_load_b128 v[2:5], v3 offset:10752
	v_add_co_u32 v25, vcc_lo, v27, v37
	s_wait_alu 0xfffd
	v_add_co_ci_u32_e64 v26, null, 0, v28, vcc_lo
	v_add_co_u32 v23, vcc_lo, v25, v36
	s_wait_alu 0xfffd
	s_delay_alu instid0(VALU_DEP_2) | instskip(NEXT) | instid1(VALU_DEP_2)
	v_add_co_ci_u32_e64 v24, null, 0, v26, vcc_lo
	v_add_co_u32 v21, vcc_lo, v23, v39
	s_wait_alu 0xfffd
	s_delay_alu instid0(VALU_DEP_2) | instskip(NEXT) | instid1(VALU_DEP_2)
	;; [unrolled: 4-line block ×4, first 2 shown]
	v_add_co_ci_u32_e64 v7, null, 0, v20, vcc_lo
	v_add_co_u32 v17, vcc_lo, v6, v35
	s_wait_alu 0xfffd
	s_delay_alu instid0(VALU_DEP_2)
	v_add_co_ci_u32_e64 v18, null, 0, v7, vcc_lo
	s_branch .LBB118_114
.LBB118_87:
	s_wait_dscnt 0x0
	v_dual_mov_b32 v2, 0 :: v_dual_mov_b32 v3, v15
	v_mov_b32_dpp v4, v15 row_shr:1 row_mask:0xf bank_mask:0xf
	s_delay_alu instid0(VALU_DEP_2)
	v_mov_b32_dpp v1, v2 row_shr:1 row_mask:0xf bank_mask:0xf
	s_and_saveexec_b32 s3, s2
; %bb.88:
	s_delay_alu instid0(VALU_DEP_2) | instskip(SKIP_2) | instid1(VALU_DEP_2)
	v_add_co_u32 v3, vcc_lo, v15, v4
	s_wait_alu 0xfffd
	v_add_co_ci_u32_e64 v2, null, 0, v16, vcc_lo
	v_add_co_u32 v15, vcc_lo, 0, v3
	s_wait_alu 0xfffd
	s_delay_alu instid0(VALU_DEP_2) | instskip(NEXT) | instid1(VALU_DEP_1)
	v_add_co_ci_u32_e64 v16, null, v1, v2, vcc_lo
	v_mov_b32_e32 v2, v16
; %bb.89:
	s_wait_alu 0xfffe
	s_or_b32 exec_lo, exec_lo, s3
	v_mov_b32_dpp v1, v3 row_shr:2 row_mask:0xf bank_mask:0xf
	s_delay_alu instid0(VALU_DEP_2)
	v_mov_b32_dpp v4, v2 row_shr:2 row_mask:0xf bank_mask:0xf
	v_cmp_lt_u32_e32 vcc_lo, 1, v41
	s_and_saveexec_b32 s4, vcc_lo
; %bb.90:
	s_delay_alu instid0(VALU_DEP_3) | instskip(SKIP_2) | instid1(VALU_DEP_2)
	v_add_co_u32 v3, s3, v15, v1
	s_wait_alu 0xf1ff
	v_add_co_ci_u32_e64 v2, null, 0, v16, s3
	v_add_co_u32 v1, s3, 0, v3
	s_wait_alu 0xf1ff
	s_delay_alu instid0(VALU_DEP_2) | instskip(NEXT) | instid1(VALU_DEP_1)
	v_add_co_ci_u32_e64 v2, null, v4, v2, s3
	v_dual_mov_b32 v16, v2 :: v_dual_mov_b32 v15, v1
; %bb.91:
	s_wait_alu 0xfffe
	s_or_b32 exec_lo, exec_lo, s4
	v_mov_b32_dpp v1, v3 row_shr:4 row_mask:0xf bank_mask:0xf
	v_mov_b32_dpp v4, v2 row_shr:4 row_mask:0xf bank_mask:0xf
	v_cmp_lt_u32_e64 s3, 3, v41
	s_and_saveexec_b32 s5, s3
; %bb.92:
	v_add_co_u32 v3, s4, v15, v1
	s_wait_alu 0xf1ff
	v_add_co_ci_u32_e64 v2, null, 0, v16, s4
	s_delay_alu instid0(VALU_DEP_2) | instskip(SKIP_1) | instid1(VALU_DEP_2)
	v_add_co_u32 v1, s4, 0, v3
	s_wait_alu 0xf1ff
	v_add_co_ci_u32_e64 v2, null, v4, v2, s4
	s_delay_alu instid0(VALU_DEP_1)
	v_dual_mov_b32 v16, v2 :: v_dual_mov_b32 v15, v1
; %bb.93:
	s_wait_alu 0xfffe
	s_or_b32 exec_lo, exec_lo, s5
	v_mov_b32_dpp v4, v3 row_shr:8 row_mask:0xf bank_mask:0xf
	v_mov_b32_dpp v1, v2 row_shr:8 row_mask:0xf bank_mask:0xf
	v_cmp_lt_u32_e64 s4, 7, v41
	s_and_saveexec_b32 s15, s4
; %bb.94:
	v_add_co_u32 v3, s5, v15, v4
	s_wait_alu 0xf1ff
	v_add_co_ci_u32_e64 v2, null, 0, v16, s5
	s_delay_alu instid0(VALU_DEP_2) | instskip(SKIP_1) | instid1(VALU_DEP_2)
	v_add_co_u32 v15, s5, 0, v3
	s_wait_alu 0xf1ff
	v_add_co_ci_u32_e64 v16, null, v1, v2, s5
	s_delay_alu instid0(VALU_DEP_1)
	v_mov_b32_e32 v2, v16
; %bb.95:
	s_wait_alu 0xfffe
	s_or_b32 exec_lo, exec_lo, s15
	ds_swizzle_b32 v3, v3 offset:swizzle(BROADCAST,32,15)
	ds_swizzle_b32 v1, v2 offset:swizzle(BROADCAST,32,15)
	v_and_b32_e32 v2, 16, v40
	s_mov_b32 s15, exec_lo
	s_delay_alu instid0(VALU_DEP_1)
	v_cmpx_ne_u32_e32 0, v2
	s_cbranch_execz .LBB118_97
; %bb.96:
	s_wait_dscnt 0x1
	v_add_co_u32 v2, s5, v15, v3
	s_wait_alu 0xf1ff
	v_add_co_ci_u32_e64 v3, null, 0, v16, s5
	s_delay_alu instid0(VALU_DEP_2) | instskip(SKIP_2) | instid1(VALU_DEP_2)
	v_add_co_u32 v15, s5, v2, 0
	s_wait_dscnt 0x0
	s_wait_alu 0xf1ff
	v_add_co_ci_u32_e64 v16, null, v3, v1, s5
.LBB118_97:
	s_wait_alu 0xfffe
	s_or_b32 exec_lo, exec_lo, s15
	s_wait_dscnt 0x0
	v_and_b32_e32 v1, 0x1e0, v0
	v_lshrrev_b32_e32 v3, 5, v0
	s_mov_b32 s15, exec_lo
	s_delay_alu instid0(VALU_DEP_2) | instskip(NEXT) | instid1(VALU_DEP_1)
	v_min_u32_e32 v1, 0x160, v1
	v_or_b32_e32 v1, 31, v1
	s_delay_alu instid0(VALU_DEP_1)
	v_cmpx_eq_u32_e64 v0, v1
; %bb.98:
	v_lshlrev_b32_e32 v1, 3, v3
	ds_store_b64 v1, v[15:16]
; %bb.99:
	s_wait_alu 0xfffe
	s_or_b32 exec_lo, exec_lo, s15
	s_delay_alu instid0(SALU_CYCLE_1)
	s_mov_b32 s15, exec_lo
	s_wait_loadcnt_dscnt 0x0
	s_barrier_signal -1
	s_barrier_wait -1
	global_inv scope:SCOPE_SE
	v_cmpx_gt_u32_e32 12, v0
	s_cbranch_execz .LBB118_109
; %bb.100:
	v_mad_i32_i24 v1, 0xffffffec, v0, v34
	ds_load_b64 v[1:2], v1
	s_wait_dscnt 0x0
	v_mov_b32_dpp v6, v1 row_shr:1 row_mask:0xf bank_mask:0xf
	v_mov_b32_dpp v5, v2 row_shr:1 row_mask:0xf bank_mask:0xf
	v_mov_b32_e32 v4, v1
	s_and_saveexec_b32 s5, s2
; %bb.101:
	s_delay_alu instid0(VALU_DEP_3) | instskip(SKIP_2) | instid1(VALU_DEP_2)
	v_add_co_u32 v4, s2, v1, v6
	s_wait_alu 0xf1ff
	v_add_co_ci_u32_e64 v2, null, 0, v2, s2
	v_add_co_u32 v1, s2, 0, v4
	s_wait_alu 0xf1ff
	s_delay_alu instid0(VALU_DEP_2)
	v_add_co_ci_u32_e64 v2, null, v5, v2, s2
; %bb.102:
	s_wait_alu 0xfffe
	s_or_b32 exec_lo, exec_lo, s5
	v_mov_b32_dpp v6, v4 row_shr:2 row_mask:0xf bank_mask:0xf
	s_delay_alu instid0(VALU_DEP_2)
	v_mov_b32_dpp v5, v2 row_shr:2 row_mask:0xf bank_mask:0xf
	s_and_saveexec_b32 s2, vcc_lo
; %bb.103:
	s_delay_alu instid0(VALU_DEP_2) | instskip(SKIP_2) | instid1(VALU_DEP_2)
	v_add_co_u32 v4, vcc_lo, v1, v6
	s_wait_alu 0xfffd
	v_add_co_ci_u32_e64 v2, null, 0, v2, vcc_lo
	v_add_co_u32 v1, vcc_lo, 0, v4
	s_wait_alu 0xfffd
	s_delay_alu instid0(VALU_DEP_2)
	v_add_co_ci_u32_e64 v2, null, v5, v2, vcc_lo
; %bb.104:
	s_wait_alu 0xfffe
	s_or_b32 exec_lo, exec_lo, s2
	v_mov_b32_dpp v6, v4 row_shr:4 row_mask:0xf bank_mask:0xf
	s_delay_alu instid0(VALU_DEP_2)
	v_mov_b32_dpp v5, v2 row_shr:4 row_mask:0xf bank_mask:0xf
	s_and_saveexec_b32 s2, s3
; %bb.105:
	s_delay_alu instid0(VALU_DEP_2) | instskip(SKIP_2) | instid1(VALU_DEP_2)
	v_add_co_u32 v4, vcc_lo, v1, v6
	s_wait_alu 0xfffd
	v_add_co_ci_u32_e64 v2, null, 0, v2, vcc_lo
	v_add_co_u32 v1, vcc_lo, 0, v4
	s_wait_alu 0xfffd
	s_delay_alu instid0(VALU_DEP_2)
	v_add_co_ci_u32_e64 v2, null, v5, v2, vcc_lo
; %bb.106:
	s_wait_alu 0xfffe
	s_or_b32 exec_lo, exec_lo, s2
	v_mul_i32_i24_e32 v5, 0xffffffec, v0
	v_mov_b32_dpp v6, v4 row_shr:8 row_mask:0xf bank_mask:0xf
	v_mov_b32_dpp v4, v2 row_shr:8 row_mask:0xf bank_mask:0xf
	s_and_saveexec_b32 s2, s4
; %bb.107:
	s_delay_alu instid0(VALU_DEP_2) | instskip(SKIP_2) | instid1(VALU_DEP_2)
	v_add_co_u32 v1, vcc_lo, v1, v6
	s_wait_alu 0xfffd
	v_add_co_ci_u32_e64 v2, null, 0, v2, vcc_lo
	v_add_co_u32 v1, vcc_lo, v1, 0
	s_wait_alu 0xfffd
	s_delay_alu instid0(VALU_DEP_2)
	v_add_co_ci_u32_e64 v2, null, v2, v4, vcc_lo
; %bb.108:
	s_wait_alu 0xfffe
	s_or_b32 exec_lo, exec_lo, s2
	v_add_nc_u32_e32 v4, v34, v5
	ds_store_b64 v4, v[1:2]
.LBB118_109:
	s_wait_alu 0xfffe
	s_or_b32 exec_lo, exec_lo, s15
	v_mov_b32_e32 v6, 0
	v_mov_b32_e32 v7, 0
	s_mov_b32 s2, exec_lo
	s_wait_loadcnt_dscnt 0x0
	s_barrier_signal -1
	s_barrier_wait -1
	global_inv scope:SCOPE_SE
	v_cmpx_lt_u32_e32 31, v0
; %bb.110:
	v_lshl_add_u32 v1, v3, 3, -8
	ds_load_b64 v[6:7], v1
; %bb.111:
	s_wait_alu 0xfffe
	s_or_b32 exec_lo, exec_lo, s2
	v_sub_co_u32 v1, vcc_lo, v40, 1
	v_mov_b32_e32 v5, 0
	s_delay_alu instid0(VALU_DEP_2) | instskip(SKIP_1) | instid1(VALU_DEP_1)
	v_cmp_gt_i32_e64 s2, 0, v1
	s_wait_alu 0xf1ff
	v_cndmask_b32_e64 v1, v1, v40, s2
	s_delay_alu instid0(VALU_DEP_1)
	v_lshlrev_b32_e32 v2, 2, v1
	s_wait_dscnt 0x0
	v_add_co_u32 v1, s2, v6, v15
	s_wait_alu 0xf1ff
	v_add_co_ci_u32_e64 v3, null, v7, v16, s2
	v_cmp_eq_u32_e64 s2, 0, v0
	ds_bpermute_b32 v1, v2, v1
	ds_bpermute_b32 v8, v2, v3
	ds_load_b64 v[2:3], v5 offset:88
	s_and_saveexec_b32 s3, s2
	s_cbranch_execz .LBB118_113
; %bb.112:
	s_wait_kmcnt 0x0
	s_add_nc_u64 s[4:5], s[6:7], 0x200
	v_mov_b32_e32 v4, 2
	s_wait_alu 0xfffe
	v_dual_mov_b32 v16, s5 :: v_dual_mov_b32 v15, s4
	s_wait_dscnt 0x0
	;;#ASMSTART
	global_store_b128 v[15:16], v[2:5] off scope:SCOPE_DEV	
s_wait_storecnt 0x0
	;;#ASMEND
.LBB118_113:
	s_wait_alu 0xfffe
	s_or_b32 exec_lo, exec_lo, s3
	s_wait_dscnt 0x1
	s_wait_alu 0xfffd
	v_dual_cndmask_b32 v1, v1, v6 :: v_dual_cndmask_b32 v4, v8, v7
	s_wait_loadcnt_dscnt 0x0
	s_barrier_signal -1
	s_barrier_wait -1
	s_delay_alu instid0(VALU_DEP_1)
	v_cndmask_b32_e64 v27, v1, 0, s2
	v_cndmask_b32_e64 v28, v4, 0, s2
	v_mov_b32_e32 v4, 0
	v_mov_b32_e32 v5, 0
	global_inv scope:SCOPE_SE
	v_add_co_u32 v25, vcc_lo, v27, v37
	s_wait_alu 0xfffd
	v_add_co_ci_u32_e64 v26, null, 0, v28, vcc_lo
	s_delay_alu instid0(VALU_DEP_2) | instskip(SKIP_1) | instid1(VALU_DEP_2)
	v_add_co_u32 v23, vcc_lo, v25, v36
	s_wait_alu 0xfffd
	v_add_co_ci_u32_e64 v24, null, 0, v26, vcc_lo
	s_delay_alu instid0(VALU_DEP_2) | instskip(SKIP_1) | instid1(VALU_DEP_2)
	;; [unrolled: 4-line block ×5, first 2 shown]
	v_add_co_u32 v17, vcc_lo, v6, v35
	s_wait_alu 0xfffd
	v_add_co_ci_u32_e64 v18, null, 0, v7, vcc_lo
.LBB118_114:
	s_load_b64 s[2:3], s[0:1], 0x28
	v_lshrrev_b32_e32 v8, 8, v33
	v_lshrrev_b32_e32 v1, 16, v33
	v_and_b32_e32 v33, 1, v33
	s_wait_dscnt 0x0
	v_cmp_gt_u64_e32 vcc_lo, 0x181, v[2:3]
	s_mov_b32 s1, -1
	s_delay_alu instid0(VALU_DEP_2)
	v_cmp_eq_u32_e64 s0, 1, v33
	s_cbranch_vccnz .LBB118_118
; %bb.115:
	s_wait_alu 0xfffe
	s_and_b32 vcc_lo, exec_lo, s1
	s_wait_alu 0xfffe
	s_cbranch_vccnz .LBB118_133
.LBB118_116:
	v_cmp_eq_u32_e32 vcc_lo, 0, v0
	s_and_b32 s0, vcc_lo, s12
	s_wait_alu 0xfffe
	s_and_saveexec_b32 s1, s0
	s_cbranch_execnz .LBB118_150
.LBB118_117:
	s_endpgm
.LBB118_118:
	v_add_co_u32 v15, vcc_lo, v4, v2
	s_wait_alu 0xfffd
	v_add_co_ci_u32_e64 v16, null, v5, v3, vcc_lo
	s_lshl_b64 s[4:5], s[10:11], 2
	s_wait_kmcnt 0x0
	s_wait_alu 0xfffe
	s_add_nc_u64 s[4:5], s[2:3], s[4:5]
	v_cmp_lt_u64_e32 vcc_lo, v[27:28], v[15:16]
	s_or_b32 s1, s13, vcc_lo
	s_wait_alu 0xfffe
	s_and_b32 s1, s1, s0
	s_wait_alu 0xfffe
	s_and_saveexec_b32 s0, s1
	s_cbranch_execz .LBB118_120
; %bb.119:
	v_lshlrev_b64_e32 v[34:35], 2, v[27:28]
	s_delay_alu instid0(VALU_DEP_1) | instskip(SKIP_1) | instid1(VALU_DEP_2)
	v_add_co_u32 v34, vcc_lo, s4, v34
	s_wait_alu 0xfffd
	v_add_co_ci_u32_e64 v35, null, s5, v35, vcc_lo
	global_store_b32 v[34:35], v13, off
.LBB118_120:
	s_wait_alu 0xfffe
	s_or_b32 exec_lo, exec_lo, s0
	v_and_b32_e32 v28, 1, v8
	v_cmp_lt_u64_e32 vcc_lo, v[25:26], v[15:16]
	s_delay_alu instid0(VALU_DEP_2)
	v_cmp_eq_u32_e64 s0, 1, v28
	s_or_b32 s1, s13, vcc_lo
	s_wait_alu 0xfffe
	s_and_b32 s1, s1, s0
	s_wait_alu 0xfffe
	s_and_saveexec_b32 s0, s1
	s_cbranch_execz .LBB118_122
; %bb.121:
	v_lshlrev_b64_e32 v[34:35], 2, v[25:26]
	s_delay_alu instid0(VALU_DEP_1) | instskip(SKIP_1) | instid1(VALU_DEP_2)
	v_add_co_u32 v34, vcc_lo, s4, v34
	s_wait_alu 0xfffd
	v_add_co_ci_u32_e64 v35, null, s5, v35, vcc_lo
	global_store_b32 v[34:35], v14, off
.LBB118_122:
	s_wait_alu 0xfffe
	s_or_b32 exec_lo, exec_lo, s0
	v_and_b32_e32 v26, 1, v1
	v_cmp_lt_u64_e32 vcc_lo, v[23:24], v[15:16]
	s_delay_alu instid0(VALU_DEP_2)
	v_cmp_eq_u32_e64 s0, 1, v26
	;; [unrolled: 20-line block ×5, first 2 shown]
	s_or_b32 s1, s13, vcc_lo
	s_wait_alu 0xfffe
	s_and_b32 s1, s1, s0
	s_wait_alu 0xfffe
	s_and_saveexec_b32 s0, s1
	s_cbranch_execz .LBB118_130
; %bb.129:
	v_lshlrev_b64_e32 v[34:35], 2, v[6:7]
	s_delay_alu instid0(VALU_DEP_1) | instskip(SKIP_1) | instid1(VALU_DEP_2)
	v_add_co_u32 v34, vcc_lo, s4, v34
	s_wait_alu 0xfffd
	v_add_co_ci_u32_e64 v35, null, s5, v35, vcc_lo
	global_store_b32 v[34:35], v10, off
.LBB118_130:
	s_wait_alu 0xfffe
	s_or_b32 exec_lo, exec_lo, s0
	v_cmp_lt_u64_e32 vcc_lo, v[17:18], v[15:16]
	s_or_b32 s0, s13, vcc_lo
	s_wait_alu 0xfffe
	s_and_b32 s1, s0, s14
	s_wait_alu 0xfffe
	s_and_saveexec_b32 s0, s1
	s_cbranch_execz .LBB118_132
; %bb.131:
	v_lshlrev_b64_e32 v[15:16], 2, v[17:18]
	s_delay_alu instid0(VALU_DEP_1) | instskip(SKIP_1) | instid1(VALU_DEP_2)
	v_add_co_u32 v15, vcc_lo, s4, v15
	s_wait_alu 0xfffd
	v_add_co_ci_u32_e64 v16, null, s5, v16, vcc_lo
	global_store_b32 v[15:16], v29, off
.LBB118_132:
	s_wait_alu 0xfffe
	s_or_b32 exec_lo, exec_lo, s0
	s_branch .LBB118_116
.LBB118_133:
	s_mov_b32 s0, exec_lo
	v_cmpx_eq_u32_e32 1, v33
; %bb.134:
	v_sub_nc_u32_e32 v7, v27, v4
	s_delay_alu instid0(VALU_DEP_1)
	v_lshlrev_b32_e32 v7, 2, v7
	ds_store_b32 v7, v13
; %bb.135:
	s_wait_alu 0xfffe
	s_or_b32 exec_lo, exec_lo, s0
	v_and_b32_e32 v7, 1, v8
	s_mov_b32 s0, exec_lo
	s_delay_alu instid0(VALU_DEP_1)
	v_cmpx_eq_u32_e32 1, v7
; %bb.136:
	v_sub_nc_u32_e32 v7, v25, v4
	s_delay_alu instid0(VALU_DEP_1)
	v_lshlrev_b32_e32 v7, 2, v7
	ds_store_b32 v7, v14
; %bb.137:
	s_wait_alu 0xfffe
	s_or_b32 exec_lo, exec_lo, s0
	v_and_b32_e32 v1, 1, v1
	s_mov_b32 s0, exec_lo
	s_delay_alu instid0(VALU_DEP_1)
	;; [unrolled: 12-line block ×5, first 2 shown]
	v_cmpx_eq_u32_e32 1, v1
; %bb.144:
	v_sub_nc_u32_e32 v1, v6, v4
	s_delay_alu instid0(VALU_DEP_1)
	v_lshlrev_b32_e32 v1, 2, v1
	ds_store_b32 v1, v10
; %bb.145:
	s_wait_alu 0xfffe
	s_or_b32 exec_lo, exec_lo, s0
	s_and_saveexec_b32 s0, s14
; %bb.146:
	v_sub_nc_u32_e32 v1, v17, v4
	s_delay_alu instid0(VALU_DEP_1)
	v_lshlrev_b32_e32 v1, 2, v1
	ds_store_b32 v1, v29
; %bb.147:
	s_wait_alu 0xfffe
	s_or_b32 exec_lo, exec_lo, s0
	v_dual_mov_b32 v7, 0 :: v_dual_add_nc_u32 v6, 0x180, v0
	v_lshlrev_b64_e32 v[8:9], 2, v[4:5]
	s_lshl_b64 s[0:1], s[10:11], 2
	s_wait_storecnt 0x0
	s_wait_loadcnt_dscnt 0x0
	v_mov_b32_e32 v1, v7
	s_wait_kmcnt 0x0
	s_wait_alu 0xfffe
	s_add_nc_u64 s[0:1], s[2:3], s[0:1]
	s_barrier_signal -1
	s_wait_alu 0xfffe
	v_add_co_u32 v10, vcc_lo, s0, v8
	s_wait_alu 0xfffd
	v_add_co_ci_u32_e64 v11, null, s1, v9, vcc_lo
	v_dual_mov_b32 v9, v1 :: v_dual_mov_b32 v8, v0
	s_mov_b32 s1, 0
	s_barrier_wait -1
	global_inv scope:SCOPE_SE
.LBB118_148:                            ; =>This Inner Loop Header: Depth=1
	v_lshlrev_b32_e32 v1, 2, v8
	v_lshlrev_b64_e32 v[12:13], 2, v[8:9]
	v_dual_mov_b32 v9, v7 :: v_dual_mov_b32 v8, v6
	v_cmp_le_u64_e32 vcc_lo, v[2:3], v[6:7]
	ds_load_b32 v1, v1
	v_add_nc_u32_e32 v6, 0x180, v6
	v_add_co_u32 v12, s0, v10, v12
	s_wait_alu 0xf1ff
	v_add_co_ci_u32_e64 v13, null, v11, v13, s0
	s_wait_alu 0xfffe
	s_or_b32 s1, vcc_lo, s1
	s_wait_dscnt 0x0
	global_store_b32 v[12:13], v1, off
	s_wait_alu 0xfffe
	s_and_not1_b32 exec_lo, exec_lo, s1
	s_cbranch_execnz .LBB118_148
; %bb.149:
	s_or_b32 exec_lo, exec_lo, s1
	v_cmp_eq_u32_e32 vcc_lo, 0, v0
	s_and_b32 s0, vcc_lo, s12
	s_wait_alu 0xfffe
	s_and_saveexec_b32 s1, s0
	s_cbranch_execz .LBB118_117
.LBB118_150:
	v_add_co_u32 v0, vcc_lo, v4, v2
	s_wait_alu 0xfffd
	v_add_co_ci_u32_e64 v1, null, v5, v3, vcc_lo
	v_mov_b32_e32 v2, 0
	s_delay_alu instid0(VALU_DEP_3) | instskip(SKIP_1) | instid1(VALU_DEP_3)
	v_add_co_u32 v0, vcc_lo, v0, s10
	s_wait_alu 0xfffd
	v_add_co_ci_u32_e64 v1, null, s11, v1, vcc_lo
	global_store_b64 v2, v[0:1], s[8:9]
	s_endpgm
	.section	.rodata,"a",@progbits
	.p2align	6, 0x0
	.amdhsa_kernel _ZN7rocprim17ROCPRIM_400000_NS6detail17trampoline_kernelINS0_14default_configENS1_25partition_config_selectorILNS1_17partition_subalgoE6EjNS0_10empty_typeEbEEZZNS1_14partition_implILS5_6ELb0ES3_mN6thrust23THRUST_200600_302600_NS6detail15normal_iteratorINSA_10device_ptrIjEEEEPS6_SG_NS0_5tupleIJSF_S6_EEENSH_IJSG_SG_EEES6_PlJNSB_9not_fun_tINSB_10functional5actorINSM_9compositeIJNSM_27transparent_binary_operatorINSA_8equal_toIvEEEENSN_INSM_8argumentILj0EEEEENSM_5valueIjEEEEEEEEEEEE10hipError_tPvRmT3_T4_T5_T6_T7_T9_mT8_P12ihipStream_tbDpT10_ENKUlT_T0_E_clISt17integral_constantIbLb0EES1K_EEDaS1F_S1G_EUlS1F_E_NS1_11comp_targetILNS1_3genE10ELNS1_11target_archE1200ELNS1_3gpuE4ELNS1_3repE0EEENS1_30default_config_static_selectorELNS0_4arch9wavefront6targetE0EEEvT1_
		.amdhsa_group_segment_fixed_size 10768
		.amdhsa_private_segment_fixed_size 0
		.amdhsa_kernarg_size 120
		.amdhsa_user_sgpr_count 2
		.amdhsa_user_sgpr_dispatch_ptr 0
		.amdhsa_user_sgpr_queue_ptr 0
		.amdhsa_user_sgpr_kernarg_segment_ptr 1
		.amdhsa_user_sgpr_dispatch_id 0
		.amdhsa_user_sgpr_private_segment_size 0
		.amdhsa_wavefront_size32 1
		.amdhsa_uses_dynamic_stack 0
		.amdhsa_enable_private_segment 0
		.amdhsa_system_sgpr_workgroup_id_x 1
		.amdhsa_system_sgpr_workgroup_id_y 0
		.amdhsa_system_sgpr_workgroup_id_z 0
		.amdhsa_system_sgpr_workgroup_info 0
		.amdhsa_system_vgpr_workitem_id 0
		.amdhsa_next_free_vgpr 49
		.amdhsa_next_free_sgpr 18
		.amdhsa_reserve_vcc 1
		.amdhsa_float_round_mode_32 0
		.amdhsa_float_round_mode_16_64 0
		.amdhsa_float_denorm_mode_32 3
		.amdhsa_float_denorm_mode_16_64 3
		.amdhsa_fp16_overflow 0
		.amdhsa_workgroup_processor_mode 1
		.amdhsa_memory_ordered 1
		.amdhsa_forward_progress 1
		.amdhsa_inst_pref_size 59
		.amdhsa_round_robin_scheduling 0
		.amdhsa_exception_fp_ieee_invalid_op 0
		.amdhsa_exception_fp_denorm_src 0
		.amdhsa_exception_fp_ieee_div_zero 0
		.amdhsa_exception_fp_ieee_overflow 0
		.amdhsa_exception_fp_ieee_underflow 0
		.amdhsa_exception_fp_ieee_inexact 0
		.amdhsa_exception_int_div_zero 0
	.end_amdhsa_kernel
	.section	.text._ZN7rocprim17ROCPRIM_400000_NS6detail17trampoline_kernelINS0_14default_configENS1_25partition_config_selectorILNS1_17partition_subalgoE6EjNS0_10empty_typeEbEEZZNS1_14partition_implILS5_6ELb0ES3_mN6thrust23THRUST_200600_302600_NS6detail15normal_iteratorINSA_10device_ptrIjEEEEPS6_SG_NS0_5tupleIJSF_S6_EEENSH_IJSG_SG_EEES6_PlJNSB_9not_fun_tINSB_10functional5actorINSM_9compositeIJNSM_27transparent_binary_operatorINSA_8equal_toIvEEEENSN_INSM_8argumentILj0EEEEENSM_5valueIjEEEEEEEEEEEE10hipError_tPvRmT3_T4_T5_T6_T7_T9_mT8_P12ihipStream_tbDpT10_ENKUlT_T0_E_clISt17integral_constantIbLb0EES1K_EEDaS1F_S1G_EUlS1F_E_NS1_11comp_targetILNS1_3genE10ELNS1_11target_archE1200ELNS1_3gpuE4ELNS1_3repE0EEENS1_30default_config_static_selectorELNS0_4arch9wavefront6targetE0EEEvT1_,"axG",@progbits,_ZN7rocprim17ROCPRIM_400000_NS6detail17trampoline_kernelINS0_14default_configENS1_25partition_config_selectorILNS1_17partition_subalgoE6EjNS0_10empty_typeEbEEZZNS1_14partition_implILS5_6ELb0ES3_mN6thrust23THRUST_200600_302600_NS6detail15normal_iteratorINSA_10device_ptrIjEEEEPS6_SG_NS0_5tupleIJSF_S6_EEENSH_IJSG_SG_EEES6_PlJNSB_9not_fun_tINSB_10functional5actorINSM_9compositeIJNSM_27transparent_binary_operatorINSA_8equal_toIvEEEENSN_INSM_8argumentILj0EEEEENSM_5valueIjEEEEEEEEEEEE10hipError_tPvRmT3_T4_T5_T6_T7_T9_mT8_P12ihipStream_tbDpT10_ENKUlT_T0_E_clISt17integral_constantIbLb0EES1K_EEDaS1F_S1G_EUlS1F_E_NS1_11comp_targetILNS1_3genE10ELNS1_11target_archE1200ELNS1_3gpuE4ELNS1_3repE0EEENS1_30default_config_static_selectorELNS0_4arch9wavefront6targetE0EEEvT1_,comdat
.Lfunc_end118:
	.size	_ZN7rocprim17ROCPRIM_400000_NS6detail17trampoline_kernelINS0_14default_configENS1_25partition_config_selectorILNS1_17partition_subalgoE6EjNS0_10empty_typeEbEEZZNS1_14partition_implILS5_6ELb0ES3_mN6thrust23THRUST_200600_302600_NS6detail15normal_iteratorINSA_10device_ptrIjEEEEPS6_SG_NS0_5tupleIJSF_S6_EEENSH_IJSG_SG_EEES6_PlJNSB_9not_fun_tINSB_10functional5actorINSM_9compositeIJNSM_27transparent_binary_operatorINSA_8equal_toIvEEEENSN_INSM_8argumentILj0EEEEENSM_5valueIjEEEEEEEEEEEE10hipError_tPvRmT3_T4_T5_T6_T7_T9_mT8_P12ihipStream_tbDpT10_ENKUlT_T0_E_clISt17integral_constantIbLb0EES1K_EEDaS1F_S1G_EUlS1F_E_NS1_11comp_targetILNS1_3genE10ELNS1_11target_archE1200ELNS1_3gpuE4ELNS1_3repE0EEENS1_30default_config_static_selectorELNS0_4arch9wavefront6targetE0EEEvT1_, .Lfunc_end118-_ZN7rocprim17ROCPRIM_400000_NS6detail17trampoline_kernelINS0_14default_configENS1_25partition_config_selectorILNS1_17partition_subalgoE6EjNS0_10empty_typeEbEEZZNS1_14partition_implILS5_6ELb0ES3_mN6thrust23THRUST_200600_302600_NS6detail15normal_iteratorINSA_10device_ptrIjEEEEPS6_SG_NS0_5tupleIJSF_S6_EEENSH_IJSG_SG_EEES6_PlJNSB_9not_fun_tINSB_10functional5actorINSM_9compositeIJNSM_27transparent_binary_operatorINSA_8equal_toIvEEEENSN_INSM_8argumentILj0EEEEENSM_5valueIjEEEEEEEEEEEE10hipError_tPvRmT3_T4_T5_T6_T7_T9_mT8_P12ihipStream_tbDpT10_ENKUlT_T0_E_clISt17integral_constantIbLb0EES1K_EEDaS1F_S1G_EUlS1F_E_NS1_11comp_targetILNS1_3genE10ELNS1_11target_archE1200ELNS1_3gpuE4ELNS1_3repE0EEENS1_30default_config_static_selectorELNS0_4arch9wavefront6targetE0EEEvT1_
                                        ; -- End function
	.set _ZN7rocprim17ROCPRIM_400000_NS6detail17trampoline_kernelINS0_14default_configENS1_25partition_config_selectorILNS1_17partition_subalgoE6EjNS0_10empty_typeEbEEZZNS1_14partition_implILS5_6ELb0ES3_mN6thrust23THRUST_200600_302600_NS6detail15normal_iteratorINSA_10device_ptrIjEEEEPS6_SG_NS0_5tupleIJSF_S6_EEENSH_IJSG_SG_EEES6_PlJNSB_9not_fun_tINSB_10functional5actorINSM_9compositeIJNSM_27transparent_binary_operatorINSA_8equal_toIvEEEENSN_INSM_8argumentILj0EEEEENSM_5valueIjEEEEEEEEEEEE10hipError_tPvRmT3_T4_T5_T6_T7_T9_mT8_P12ihipStream_tbDpT10_ENKUlT_T0_E_clISt17integral_constantIbLb0EES1K_EEDaS1F_S1G_EUlS1F_E_NS1_11comp_targetILNS1_3genE10ELNS1_11target_archE1200ELNS1_3gpuE4ELNS1_3repE0EEENS1_30default_config_static_selectorELNS0_4arch9wavefront6targetE0EEEvT1_.num_vgpr, 49
	.set _ZN7rocprim17ROCPRIM_400000_NS6detail17trampoline_kernelINS0_14default_configENS1_25partition_config_selectorILNS1_17partition_subalgoE6EjNS0_10empty_typeEbEEZZNS1_14partition_implILS5_6ELb0ES3_mN6thrust23THRUST_200600_302600_NS6detail15normal_iteratorINSA_10device_ptrIjEEEEPS6_SG_NS0_5tupleIJSF_S6_EEENSH_IJSG_SG_EEES6_PlJNSB_9not_fun_tINSB_10functional5actorINSM_9compositeIJNSM_27transparent_binary_operatorINSA_8equal_toIvEEEENSN_INSM_8argumentILj0EEEEENSM_5valueIjEEEEEEEEEEEE10hipError_tPvRmT3_T4_T5_T6_T7_T9_mT8_P12ihipStream_tbDpT10_ENKUlT_T0_E_clISt17integral_constantIbLb0EES1K_EEDaS1F_S1G_EUlS1F_E_NS1_11comp_targetILNS1_3genE10ELNS1_11target_archE1200ELNS1_3gpuE4ELNS1_3repE0EEENS1_30default_config_static_selectorELNS0_4arch9wavefront6targetE0EEEvT1_.num_agpr, 0
	.set _ZN7rocprim17ROCPRIM_400000_NS6detail17trampoline_kernelINS0_14default_configENS1_25partition_config_selectorILNS1_17partition_subalgoE6EjNS0_10empty_typeEbEEZZNS1_14partition_implILS5_6ELb0ES3_mN6thrust23THRUST_200600_302600_NS6detail15normal_iteratorINSA_10device_ptrIjEEEEPS6_SG_NS0_5tupleIJSF_S6_EEENSH_IJSG_SG_EEES6_PlJNSB_9not_fun_tINSB_10functional5actorINSM_9compositeIJNSM_27transparent_binary_operatorINSA_8equal_toIvEEEENSN_INSM_8argumentILj0EEEEENSM_5valueIjEEEEEEEEEEEE10hipError_tPvRmT3_T4_T5_T6_T7_T9_mT8_P12ihipStream_tbDpT10_ENKUlT_T0_E_clISt17integral_constantIbLb0EES1K_EEDaS1F_S1G_EUlS1F_E_NS1_11comp_targetILNS1_3genE10ELNS1_11target_archE1200ELNS1_3gpuE4ELNS1_3repE0EEENS1_30default_config_static_selectorELNS0_4arch9wavefront6targetE0EEEvT1_.numbered_sgpr, 18
	.set _ZN7rocprim17ROCPRIM_400000_NS6detail17trampoline_kernelINS0_14default_configENS1_25partition_config_selectorILNS1_17partition_subalgoE6EjNS0_10empty_typeEbEEZZNS1_14partition_implILS5_6ELb0ES3_mN6thrust23THRUST_200600_302600_NS6detail15normal_iteratorINSA_10device_ptrIjEEEEPS6_SG_NS0_5tupleIJSF_S6_EEENSH_IJSG_SG_EEES6_PlJNSB_9not_fun_tINSB_10functional5actorINSM_9compositeIJNSM_27transparent_binary_operatorINSA_8equal_toIvEEEENSN_INSM_8argumentILj0EEEEENSM_5valueIjEEEEEEEEEEEE10hipError_tPvRmT3_T4_T5_T6_T7_T9_mT8_P12ihipStream_tbDpT10_ENKUlT_T0_E_clISt17integral_constantIbLb0EES1K_EEDaS1F_S1G_EUlS1F_E_NS1_11comp_targetILNS1_3genE10ELNS1_11target_archE1200ELNS1_3gpuE4ELNS1_3repE0EEENS1_30default_config_static_selectorELNS0_4arch9wavefront6targetE0EEEvT1_.num_named_barrier, 0
	.set _ZN7rocprim17ROCPRIM_400000_NS6detail17trampoline_kernelINS0_14default_configENS1_25partition_config_selectorILNS1_17partition_subalgoE6EjNS0_10empty_typeEbEEZZNS1_14partition_implILS5_6ELb0ES3_mN6thrust23THRUST_200600_302600_NS6detail15normal_iteratorINSA_10device_ptrIjEEEEPS6_SG_NS0_5tupleIJSF_S6_EEENSH_IJSG_SG_EEES6_PlJNSB_9not_fun_tINSB_10functional5actorINSM_9compositeIJNSM_27transparent_binary_operatorINSA_8equal_toIvEEEENSN_INSM_8argumentILj0EEEEENSM_5valueIjEEEEEEEEEEEE10hipError_tPvRmT3_T4_T5_T6_T7_T9_mT8_P12ihipStream_tbDpT10_ENKUlT_T0_E_clISt17integral_constantIbLb0EES1K_EEDaS1F_S1G_EUlS1F_E_NS1_11comp_targetILNS1_3genE10ELNS1_11target_archE1200ELNS1_3gpuE4ELNS1_3repE0EEENS1_30default_config_static_selectorELNS0_4arch9wavefront6targetE0EEEvT1_.private_seg_size, 0
	.set _ZN7rocprim17ROCPRIM_400000_NS6detail17trampoline_kernelINS0_14default_configENS1_25partition_config_selectorILNS1_17partition_subalgoE6EjNS0_10empty_typeEbEEZZNS1_14partition_implILS5_6ELb0ES3_mN6thrust23THRUST_200600_302600_NS6detail15normal_iteratorINSA_10device_ptrIjEEEEPS6_SG_NS0_5tupleIJSF_S6_EEENSH_IJSG_SG_EEES6_PlJNSB_9not_fun_tINSB_10functional5actorINSM_9compositeIJNSM_27transparent_binary_operatorINSA_8equal_toIvEEEENSN_INSM_8argumentILj0EEEEENSM_5valueIjEEEEEEEEEEEE10hipError_tPvRmT3_T4_T5_T6_T7_T9_mT8_P12ihipStream_tbDpT10_ENKUlT_T0_E_clISt17integral_constantIbLb0EES1K_EEDaS1F_S1G_EUlS1F_E_NS1_11comp_targetILNS1_3genE10ELNS1_11target_archE1200ELNS1_3gpuE4ELNS1_3repE0EEENS1_30default_config_static_selectorELNS0_4arch9wavefront6targetE0EEEvT1_.uses_vcc, 1
	.set _ZN7rocprim17ROCPRIM_400000_NS6detail17trampoline_kernelINS0_14default_configENS1_25partition_config_selectorILNS1_17partition_subalgoE6EjNS0_10empty_typeEbEEZZNS1_14partition_implILS5_6ELb0ES3_mN6thrust23THRUST_200600_302600_NS6detail15normal_iteratorINSA_10device_ptrIjEEEEPS6_SG_NS0_5tupleIJSF_S6_EEENSH_IJSG_SG_EEES6_PlJNSB_9not_fun_tINSB_10functional5actorINSM_9compositeIJNSM_27transparent_binary_operatorINSA_8equal_toIvEEEENSN_INSM_8argumentILj0EEEEENSM_5valueIjEEEEEEEEEEEE10hipError_tPvRmT3_T4_T5_T6_T7_T9_mT8_P12ihipStream_tbDpT10_ENKUlT_T0_E_clISt17integral_constantIbLb0EES1K_EEDaS1F_S1G_EUlS1F_E_NS1_11comp_targetILNS1_3genE10ELNS1_11target_archE1200ELNS1_3gpuE4ELNS1_3repE0EEENS1_30default_config_static_selectorELNS0_4arch9wavefront6targetE0EEEvT1_.uses_flat_scratch, 1
	.set _ZN7rocprim17ROCPRIM_400000_NS6detail17trampoline_kernelINS0_14default_configENS1_25partition_config_selectorILNS1_17partition_subalgoE6EjNS0_10empty_typeEbEEZZNS1_14partition_implILS5_6ELb0ES3_mN6thrust23THRUST_200600_302600_NS6detail15normal_iteratorINSA_10device_ptrIjEEEEPS6_SG_NS0_5tupleIJSF_S6_EEENSH_IJSG_SG_EEES6_PlJNSB_9not_fun_tINSB_10functional5actorINSM_9compositeIJNSM_27transparent_binary_operatorINSA_8equal_toIvEEEENSN_INSM_8argumentILj0EEEEENSM_5valueIjEEEEEEEEEEEE10hipError_tPvRmT3_T4_T5_T6_T7_T9_mT8_P12ihipStream_tbDpT10_ENKUlT_T0_E_clISt17integral_constantIbLb0EES1K_EEDaS1F_S1G_EUlS1F_E_NS1_11comp_targetILNS1_3genE10ELNS1_11target_archE1200ELNS1_3gpuE4ELNS1_3repE0EEENS1_30default_config_static_selectorELNS0_4arch9wavefront6targetE0EEEvT1_.has_dyn_sized_stack, 0
	.set _ZN7rocprim17ROCPRIM_400000_NS6detail17trampoline_kernelINS0_14default_configENS1_25partition_config_selectorILNS1_17partition_subalgoE6EjNS0_10empty_typeEbEEZZNS1_14partition_implILS5_6ELb0ES3_mN6thrust23THRUST_200600_302600_NS6detail15normal_iteratorINSA_10device_ptrIjEEEEPS6_SG_NS0_5tupleIJSF_S6_EEENSH_IJSG_SG_EEES6_PlJNSB_9not_fun_tINSB_10functional5actorINSM_9compositeIJNSM_27transparent_binary_operatorINSA_8equal_toIvEEEENSN_INSM_8argumentILj0EEEEENSM_5valueIjEEEEEEEEEEEE10hipError_tPvRmT3_T4_T5_T6_T7_T9_mT8_P12ihipStream_tbDpT10_ENKUlT_T0_E_clISt17integral_constantIbLb0EES1K_EEDaS1F_S1G_EUlS1F_E_NS1_11comp_targetILNS1_3genE10ELNS1_11target_archE1200ELNS1_3gpuE4ELNS1_3repE0EEENS1_30default_config_static_selectorELNS0_4arch9wavefront6targetE0EEEvT1_.has_recursion, 0
	.set _ZN7rocprim17ROCPRIM_400000_NS6detail17trampoline_kernelINS0_14default_configENS1_25partition_config_selectorILNS1_17partition_subalgoE6EjNS0_10empty_typeEbEEZZNS1_14partition_implILS5_6ELb0ES3_mN6thrust23THRUST_200600_302600_NS6detail15normal_iteratorINSA_10device_ptrIjEEEEPS6_SG_NS0_5tupleIJSF_S6_EEENSH_IJSG_SG_EEES6_PlJNSB_9not_fun_tINSB_10functional5actorINSM_9compositeIJNSM_27transparent_binary_operatorINSA_8equal_toIvEEEENSN_INSM_8argumentILj0EEEEENSM_5valueIjEEEEEEEEEEEE10hipError_tPvRmT3_T4_T5_T6_T7_T9_mT8_P12ihipStream_tbDpT10_ENKUlT_T0_E_clISt17integral_constantIbLb0EES1K_EEDaS1F_S1G_EUlS1F_E_NS1_11comp_targetILNS1_3genE10ELNS1_11target_archE1200ELNS1_3gpuE4ELNS1_3repE0EEENS1_30default_config_static_selectorELNS0_4arch9wavefront6targetE0EEEvT1_.has_indirect_call, 0
	.section	.AMDGPU.csdata,"",@progbits
; Kernel info:
; codeLenInByte = 7456
; TotalNumSgprs: 20
; NumVgprs: 49
; ScratchSize: 0
; MemoryBound: 0
; FloatMode: 240
; IeeeMode: 1
; LDSByteSize: 10768 bytes/workgroup (compile time only)
; SGPRBlocks: 0
; VGPRBlocks: 6
; NumSGPRsForWavesPerEU: 20
; NumVGPRsForWavesPerEU: 49
; Occupancy: 15
; WaveLimiterHint : 1
; COMPUTE_PGM_RSRC2:SCRATCH_EN: 0
; COMPUTE_PGM_RSRC2:USER_SGPR: 2
; COMPUTE_PGM_RSRC2:TRAP_HANDLER: 0
; COMPUTE_PGM_RSRC2:TGID_X_EN: 1
; COMPUTE_PGM_RSRC2:TGID_Y_EN: 0
; COMPUTE_PGM_RSRC2:TGID_Z_EN: 0
; COMPUTE_PGM_RSRC2:TIDIG_COMP_CNT: 0
	.section	.text._ZN7rocprim17ROCPRIM_400000_NS6detail17trampoline_kernelINS0_14default_configENS1_25partition_config_selectorILNS1_17partition_subalgoE6EjNS0_10empty_typeEbEEZZNS1_14partition_implILS5_6ELb0ES3_mN6thrust23THRUST_200600_302600_NS6detail15normal_iteratorINSA_10device_ptrIjEEEEPS6_SG_NS0_5tupleIJSF_S6_EEENSH_IJSG_SG_EEES6_PlJNSB_9not_fun_tINSB_10functional5actorINSM_9compositeIJNSM_27transparent_binary_operatorINSA_8equal_toIvEEEENSN_INSM_8argumentILj0EEEEENSM_5valueIjEEEEEEEEEEEE10hipError_tPvRmT3_T4_T5_T6_T7_T9_mT8_P12ihipStream_tbDpT10_ENKUlT_T0_E_clISt17integral_constantIbLb0EES1K_EEDaS1F_S1G_EUlS1F_E_NS1_11comp_targetILNS1_3genE9ELNS1_11target_archE1100ELNS1_3gpuE3ELNS1_3repE0EEENS1_30default_config_static_selectorELNS0_4arch9wavefront6targetE0EEEvT1_,"axG",@progbits,_ZN7rocprim17ROCPRIM_400000_NS6detail17trampoline_kernelINS0_14default_configENS1_25partition_config_selectorILNS1_17partition_subalgoE6EjNS0_10empty_typeEbEEZZNS1_14partition_implILS5_6ELb0ES3_mN6thrust23THRUST_200600_302600_NS6detail15normal_iteratorINSA_10device_ptrIjEEEEPS6_SG_NS0_5tupleIJSF_S6_EEENSH_IJSG_SG_EEES6_PlJNSB_9not_fun_tINSB_10functional5actorINSM_9compositeIJNSM_27transparent_binary_operatorINSA_8equal_toIvEEEENSN_INSM_8argumentILj0EEEEENSM_5valueIjEEEEEEEEEEEE10hipError_tPvRmT3_T4_T5_T6_T7_T9_mT8_P12ihipStream_tbDpT10_ENKUlT_T0_E_clISt17integral_constantIbLb0EES1K_EEDaS1F_S1G_EUlS1F_E_NS1_11comp_targetILNS1_3genE9ELNS1_11target_archE1100ELNS1_3gpuE3ELNS1_3repE0EEENS1_30default_config_static_selectorELNS0_4arch9wavefront6targetE0EEEvT1_,comdat
	.protected	_ZN7rocprim17ROCPRIM_400000_NS6detail17trampoline_kernelINS0_14default_configENS1_25partition_config_selectorILNS1_17partition_subalgoE6EjNS0_10empty_typeEbEEZZNS1_14partition_implILS5_6ELb0ES3_mN6thrust23THRUST_200600_302600_NS6detail15normal_iteratorINSA_10device_ptrIjEEEEPS6_SG_NS0_5tupleIJSF_S6_EEENSH_IJSG_SG_EEES6_PlJNSB_9not_fun_tINSB_10functional5actorINSM_9compositeIJNSM_27transparent_binary_operatorINSA_8equal_toIvEEEENSN_INSM_8argumentILj0EEEEENSM_5valueIjEEEEEEEEEEEE10hipError_tPvRmT3_T4_T5_T6_T7_T9_mT8_P12ihipStream_tbDpT10_ENKUlT_T0_E_clISt17integral_constantIbLb0EES1K_EEDaS1F_S1G_EUlS1F_E_NS1_11comp_targetILNS1_3genE9ELNS1_11target_archE1100ELNS1_3gpuE3ELNS1_3repE0EEENS1_30default_config_static_selectorELNS0_4arch9wavefront6targetE0EEEvT1_ ; -- Begin function _ZN7rocprim17ROCPRIM_400000_NS6detail17trampoline_kernelINS0_14default_configENS1_25partition_config_selectorILNS1_17partition_subalgoE6EjNS0_10empty_typeEbEEZZNS1_14partition_implILS5_6ELb0ES3_mN6thrust23THRUST_200600_302600_NS6detail15normal_iteratorINSA_10device_ptrIjEEEEPS6_SG_NS0_5tupleIJSF_S6_EEENSH_IJSG_SG_EEES6_PlJNSB_9not_fun_tINSB_10functional5actorINSM_9compositeIJNSM_27transparent_binary_operatorINSA_8equal_toIvEEEENSN_INSM_8argumentILj0EEEEENSM_5valueIjEEEEEEEEEEEE10hipError_tPvRmT3_T4_T5_T6_T7_T9_mT8_P12ihipStream_tbDpT10_ENKUlT_T0_E_clISt17integral_constantIbLb0EES1K_EEDaS1F_S1G_EUlS1F_E_NS1_11comp_targetILNS1_3genE9ELNS1_11target_archE1100ELNS1_3gpuE3ELNS1_3repE0EEENS1_30default_config_static_selectorELNS0_4arch9wavefront6targetE0EEEvT1_
	.globl	_ZN7rocprim17ROCPRIM_400000_NS6detail17trampoline_kernelINS0_14default_configENS1_25partition_config_selectorILNS1_17partition_subalgoE6EjNS0_10empty_typeEbEEZZNS1_14partition_implILS5_6ELb0ES3_mN6thrust23THRUST_200600_302600_NS6detail15normal_iteratorINSA_10device_ptrIjEEEEPS6_SG_NS0_5tupleIJSF_S6_EEENSH_IJSG_SG_EEES6_PlJNSB_9not_fun_tINSB_10functional5actorINSM_9compositeIJNSM_27transparent_binary_operatorINSA_8equal_toIvEEEENSN_INSM_8argumentILj0EEEEENSM_5valueIjEEEEEEEEEEEE10hipError_tPvRmT3_T4_T5_T6_T7_T9_mT8_P12ihipStream_tbDpT10_ENKUlT_T0_E_clISt17integral_constantIbLb0EES1K_EEDaS1F_S1G_EUlS1F_E_NS1_11comp_targetILNS1_3genE9ELNS1_11target_archE1100ELNS1_3gpuE3ELNS1_3repE0EEENS1_30default_config_static_selectorELNS0_4arch9wavefront6targetE0EEEvT1_
	.p2align	8
	.type	_ZN7rocprim17ROCPRIM_400000_NS6detail17trampoline_kernelINS0_14default_configENS1_25partition_config_selectorILNS1_17partition_subalgoE6EjNS0_10empty_typeEbEEZZNS1_14partition_implILS5_6ELb0ES3_mN6thrust23THRUST_200600_302600_NS6detail15normal_iteratorINSA_10device_ptrIjEEEEPS6_SG_NS0_5tupleIJSF_S6_EEENSH_IJSG_SG_EEES6_PlJNSB_9not_fun_tINSB_10functional5actorINSM_9compositeIJNSM_27transparent_binary_operatorINSA_8equal_toIvEEEENSN_INSM_8argumentILj0EEEEENSM_5valueIjEEEEEEEEEEEE10hipError_tPvRmT3_T4_T5_T6_T7_T9_mT8_P12ihipStream_tbDpT10_ENKUlT_T0_E_clISt17integral_constantIbLb0EES1K_EEDaS1F_S1G_EUlS1F_E_NS1_11comp_targetILNS1_3genE9ELNS1_11target_archE1100ELNS1_3gpuE3ELNS1_3repE0EEENS1_30default_config_static_selectorELNS0_4arch9wavefront6targetE0EEEvT1_,@function
_ZN7rocprim17ROCPRIM_400000_NS6detail17trampoline_kernelINS0_14default_configENS1_25partition_config_selectorILNS1_17partition_subalgoE6EjNS0_10empty_typeEbEEZZNS1_14partition_implILS5_6ELb0ES3_mN6thrust23THRUST_200600_302600_NS6detail15normal_iteratorINSA_10device_ptrIjEEEEPS6_SG_NS0_5tupleIJSF_S6_EEENSH_IJSG_SG_EEES6_PlJNSB_9not_fun_tINSB_10functional5actorINSM_9compositeIJNSM_27transparent_binary_operatorINSA_8equal_toIvEEEENSN_INSM_8argumentILj0EEEEENSM_5valueIjEEEEEEEEEEEE10hipError_tPvRmT3_T4_T5_T6_T7_T9_mT8_P12ihipStream_tbDpT10_ENKUlT_T0_E_clISt17integral_constantIbLb0EES1K_EEDaS1F_S1G_EUlS1F_E_NS1_11comp_targetILNS1_3genE9ELNS1_11target_archE1100ELNS1_3gpuE3ELNS1_3repE0EEENS1_30default_config_static_selectorELNS0_4arch9wavefront6targetE0EEEvT1_: ; @_ZN7rocprim17ROCPRIM_400000_NS6detail17trampoline_kernelINS0_14default_configENS1_25partition_config_selectorILNS1_17partition_subalgoE6EjNS0_10empty_typeEbEEZZNS1_14partition_implILS5_6ELb0ES3_mN6thrust23THRUST_200600_302600_NS6detail15normal_iteratorINSA_10device_ptrIjEEEEPS6_SG_NS0_5tupleIJSF_S6_EEENSH_IJSG_SG_EEES6_PlJNSB_9not_fun_tINSB_10functional5actorINSM_9compositeIJNSM_27transparent_binary_operatorINSA_8equal_toIvEEEENSN_INSM_8argumentILj0EEEEENSM_5valueIjEEEEEEEEEEEE10hipError_tPvRmT3_T4_T5_T6_T7_T9_mT8_P12ihipStream_tbDpT10_ENKUlT_T0_E_clISt17integral_constantIbLb0EES1K_EEDaS1F_S1G_EUlS1F_E_NS1_11comp_targetILNS1_3genE9ELNS1_11target_archE1100ELNS1_3gpuE3ELNS1_3repE0EEENS1_30default_config_static_selectorELNS0_4arch9wavefront6targetE0EEEvT1_
; %bb.0:
	.section	.rodata,"a",@progbits
	.p2align	6, 0x0
	.amdhsa_kernel _ZN7rocprim17ROCPRIM_400000_NS6detail17trampoline_kernelINS0_14default_configENS1_25partition_config_selectorILNS1_17partition_subalgoE6EjNS0_10empty_typeEbEEZZNS1_14partition_implILS5_6ELb0ES3_mN6thrust23THRUST_200600_302600_NS6detail15normal_iteratorINSA_10device_ptrIjEEEEPS6_SG_NS0_5tupleIJSF_S6_EEENSH_IJSG_SG_EEES6_PlJNSB_9not_fun_tINSB_10functional5actorINSM_9compositeIJNSM_27transparent_binary_operatorINSA_8equal_toIvEEEENSN_INSM_8argumentILj0EEEEENSM_5valueIjEEEEEEEEEEEE10hipError_tPvRmT3_T4_T5_T6_T7_T9_mT8_P12ihipStream_tbDpT10_ENKUlT_T0_E_clISt17integral_constantIbLb0EES1K_EEDaS1F_S1G_EUlS1F_E_NS1_11comp_targetILNS1_3genE9ELNS1_11target_archE1100ELNS1_3gpuE3ELNS1_3repE0EEENS1_30default_config_static_selectorELNS0_4arch9wavefront6targetE0EEEvT1_
		.amdhsa_group_segment_fixed_size 0
		.amdhsa_private_segment_fixed_size 0
		.amdhsa_kernarg_size 120
		.amdhsa_user_sgpr_count 2
		.amdhsa_user_sgpr_dispatch_ptr 0
		.amdhsa_user_sgpr_queue_ptr 0
		.amdhsa_user_sgpr_kernarg_segment_ptr 1
		.amdhsa_user_sgpr_dispatch_id 0
		.amdhsa_user_sgpr_private_segment_size 0
		.amdhsa_wavefront_size32 1
		.amdhsa_uses_dynamic_stack 0
		.amdhsa_enable_private_segment 0
		.amdhsa_system_sgpr_workgroup_id_x 1
		.amdhsa_system_sgpr_workgroup_id_y 0
		.amdhsa_system_sgpr_workgroup_id_z 0
		.amdhsa_system_sgpr_workgroup_info 0
		.amdhsa_system_vgpr_workitem_id 0
		.amdhsa_next_free_vgpr 1
		.amdhsa_next_free_sgpr 1
		.amdhsa_reserve_vcc 0
		.amdhsa_float_round_mode_32 0
		.amdhsa_float_round_mode_16_64 0
		.amdhsa_float_denorm_mode_32 3
		.amdhsa_float_denorm_mode_16_64 3
		.amdhsa_fp16_overflow 0
		.amdhsa_workgroup_processor_mode 1
		.amdhsa_memory_ordered 1
		.amdhsa_forward_progress 1
		.amdhsa_inst_pref_size 0
		.amdhsa_round_robin_scheduling 0
		.amdhsa_exception_fp_ieee_invalid_op 0
		.amdhsa_exception_fp_denorm_src 0
		.amdhsa_exception_fp_ieee_div_zero 0
		.amdhsa_exception_fp_ieee_overflow 0
		.amdhsa_exception_fp_ieee_underflow 0
		.amdhsa_exception_fp_ieee_inexact 0
		.amdhsa_exception_int_div_zero 0
	.end_amdhsa_kernel
	.section	.text._ZN7rocprim17ROCPRIM_400000_NS6detail17trampoline_kernelINS0_14default_configENS1_25partition_config_selectorILNS1_17partition_subalgoE6EjNS0_10empty_typeEbEEZZNS1_14partition_implILS5_6ELb0ES3_mN6thrust23THRUST_200600_302600_NS6detail15normal_iteratorINSA_10device_ptrIjEEEEPS6_SG_NS0_5tupleIJSF_S6_EEENSH_IJSG_SG_EEES6_PlJNSB_9not_fun_tINSB_10functional5actorINSM_9compositeIJNSM_27transparent_binary_operatorINSA_8equal_toIvEEEENSN_INSM_8argumentILj0EEEEENSM_5valueIjEEEEEEEEEEEE10hipError_tPvRmT3_T4_T5_T6_T7_T9_mT8_P12ihipStream_tbDpT10_ENKUlT_T0_E_clISt17integral_constantIbLb0EES1K_EEDaS1F_S1G_EUlS1F_E_NS1_11comp_targetILNS1_3genE9ELNS1_11target_archE1100ELNS1_3gpuE3ELNS1_3repE0EEENS1_30default_config_static_selectorELNS0_4arch9wavefront6targetE0EEEvT1_,"axG",@progbits,_ZN7rocprim17ROCPRIM_400000_NS6detail17trampoline_kernelINS0_14default_configENS1_25partition_config_selectorILNS1_17partition_subalgoE6EjNS0_10empty_typeEbEEZZNS1_14partition_implILS5_6ELb0ES3_mN6thrust23THRUST_200600_302600_NS6detail15normal_iteratorINSA_10device_ptrIjEEEEPS6_SG_NS0_5tupleIJSF_S6_EEENSH_IJSG_SG_EEES6_PlJNSB_9not_fun_tINSB_10functional5actorINSM_9compositeIJNSM_27transparent_binary_operatorINSA_8equal_toIvEEEENSN_INSM_8argumentILj0EEEEENSM_5valueIjEEEEEEEEEEEE10hipError_tPvRmT3_T4_T5_T6_T7_T9_mT8_P12ihipStream_tbDpT10_ENKUlT_T0_E_clISt17integral_constantIbLb0EES1K_EEDaS1F_S1G_EUlS1F_E_NS1_11comp_targetILNS1_3genE9ELNS1_11target_archE1100ELNS1_3gpuE3ELNS1_3repE0EEENS1_30default_config_static_selectorELNS0_4arch9wavefront6targetE0EEEvT1_,comdat
.Lfunc_end119:
	.size	_ZN7rocprim17ROCPRIM_400000_NS6detail17trampoline_kernelINS0_14default_configENS1_25partition_config_selectorILNS1_17partition_subalgoE6EjNS0_10empty_typeEbEEZZNS1_14partition_implILS5_6ELb0ES3_mN6thrust23THRUST_200600_302600_NS6detail15normal_iteratorINSA_10device_ptrIjEEEEPS6_SG_NS0_5tupleIJSF_S6_EEENSH_IJSG_SG_EEES6_PlJNSB_9not_fun_tINSB_10functional5actorINSM_9compositeIJNSM_27transparent_binary_operatorINSA_8equal_toIvEEEENSN_INSM_8argumentILj0EEEEENSM_5valueIjEEEEEEEEEEEE10hipError_tPvRmT3_T4_T5_T6_T7_T9_mT8_P12ihipStream_tbDpT10_ENKUlT_T0_E_clISt17integral_constantIbLb0EES1K_EEDaS1F_S1G_EUlS1F_E_NS1_11comp_targetILNS1_3genE9ELNS1_11target_archE1100ELNS1_3gpuE3ELNS1_3repE0EEENS1_30default_config_static_selectorELNS0_4arch9wavefront6targetE0EEEvT1_, .Lfunc_end119-_ZN7rocprim17ROCPRIM_400000_NS6detail17trampoline_kernelINS0_14default_configENS1_25partition_config_selectorILNS1_17partition_subalgoE6EjNS0_10empty_typeEbEEZZNS1_14partition_implILS5_6ELb0ES3_mN6thrust23THRUST_200600_302600_NS6detail15normal_iteratorINSA_10device_ptrIjEEEEPS6_SG_NS0_5tupleIJSF_S6_EEENSH_IJSG_SG_EEES6_PlJNSB_9not_fun_tINSB_10functional5actorINSM_9compositeIJNSM_27transparent_binary_operatorINSA_8equal_toIvEEEENSN_INSM_8argumentILj0EEEEENSM_5valueIjEEEEEEEEEEEE10hipError_tPvRmT3_T4_T5_T6_T7_T9_mT8_P12ihipStream_tbDpT10_ENKUlT_T0_E_clISt17integral_constantIbLb0EES1K_EEDaS1F_S1G_EUlS1F_E_NS1_11comp_targetILNS1_3genE9ELNS1_11target_archE1100ELNS1_3gpuE3ELNS1_3repE0EEENS1_30default_config_static_selectorELNS0_4arch9wavefront6targetE0EEEvT1_
                                        ; -- End function
	.set _ZN7rocprim17ROCPRIM_400000_NS6detail17trampoline_kernelINS0_14default_configENS1_25partition_config_selectorILNS1_17partition_subalgoE6EjNS0_10empty_typeEbEEZZNS1_14partition_implILS5_6ELb0ES3_mN6thrust23THRUST_200600_302600_NS6detail15normal_iteratorINSA_10device_ptrIjEEEEPS6_SG_NS0_5tupleIJSF_S6_EEENSH_IJSG_SG_EEES6_PlJNSB_9not_fun_tINSB_10functional5actorINSM_9compositeIJNSM_27transparent_binary_operatorINSA_8equal_toIvEEEENSN_INSM_8argumentILj0EEEEENSM_5valueIjEEEEEEEEEEEE10hipError_tPvRmT3_T4_T5_T6_T7_T9_mT8_P12ihipStream_tbDpT10_ENKUlT_T0_E_clISt17integral_constantIbLb0EES1K_EEDaS1F_S1G_EUlS1F_E_NS1_11comp_targetILNS1_3genE9ELNS1_11target_archE1100ELNS1_3gpuE3ELNS1_3repE0EEENS1_30default_config_static_selectorELNS0_4arch9wavefront6targetE0EEEvT1_.num_vgpr, 0
	.set _ZN7rocprim17ROCPRIM_400000_NS6detail17trampoline_kernelINS0_14default_configENS1_25partition_config_selectorILNS1_17partition_subalgoE6EjNS0_10empty_typeEbEEZZNS1_14partition_implILS5_6ELb0ES3_mN6thrust23THRUST_200600_302600_NS6detail15normal_iteratorINSA_10device_ptrIjEEEEPS6_SG_NS0_5tupleIJSF_S6_EEENSH_IJSG_SG_EEES6_PlJNSB_9not_fun_tINSB_10functional5actorINSM_9compositeIJNSM_27transparent_binary_operatorINSA_8equal_toIvEEEENSN_INSM_8argumentILj0EEEEENSM_5valueIjEEEEEEEEEEEE10hipError_tPvRmT3_T4_T5_T6_T7_T9_mT8_P12ihipStream_tbDpT10_ENKUlT_T0_E_clISt17integral_constantIbLb0EES1K_EEDaS1F_S1G_EUlS1F_E_NS1_11comp_targetILNS1_3genE9ELNS1_11target_archE1100ELNS1_3gpuE3ELNS1_3repE0EEENS1_30default_config_static_selectorELNS0_4arch9wavefront6targetE0EEEvT1_.num_agpr, 0
	.set _ZN7rocprim17ROCPRIM_400000_NS6detail17trampoline_kernelINS0_14default_configENS1_25partition_config_selectorILNS1_17partition_subalgoE6EjNS0_10empty_typeEbEEZZNS1_14partition_implILS5_6ELb0ES3_mN6thrust23THRUST_200600_302600_NS6detail15normal_iteratorINSA_10device_ptrIjEEEEPS6_SG_NS0_5tupleIJSF_S6_EEENSH_IJSG_SG_EEES6_PlJNSB_9not_fun_tINSB_10functional5actorINSM_9compositeIJNSM_27transparent_binary_operatorINSA_8equal_toIvEEEENSN_INSM_8argumentILj0EEEEENSM_5valueIjEEEEEEEEEEEE10hipError_tPvRmT3_T4_T5_T6_T7_T9_mT8_P12ihipStream_tbDpT10_ENKUlT_T0_E_clISt17integral_constantIbLb0EES1K_EEDaS1F_S1G_EUlS1F_E_NS1_11comp_targetILNS1_3genE9ELNS1_11target_archE1100ELNS1_3gpuE3ELNS1_3repE0EEENS1_30default_config_static_selectorELNS0_4arch9wavefront6targetE0EEEvT1_.numbered_sgpr, 0
	.set _ZN7rocprim17ROCPRIM_400000_NS6detail17trampoline_kernelINS0_14default_configENS1_25partition_config_selectorILNS1_17partition_subalgoE6EjNS0_10empty_typeEbEEZZNS1_14partition_implILS5_6ELb0ES3_mN6thrust23THRUST_200600_302600_NS6detail15normal_iteratorINSA_10device_ptrIjEEEEPS6_SG_NS0_5tupleIJSF_S6_EEENSH_IJSG_SG_EEES6_PlJNSB_9not_fun_tINSB_10functional5actorINSM_9compositeIJNSM_27transparent_binary_operatorINSA_8equal_toIvEEEENSN_INSM_8argumentILj0EEEEENSM_5valueIjEEEEEEEEEEEE10hipError_tPvRmT3_T4_T5_T6_T7_T9_mT8_P12ihipStream_tbDpT10_ENKUlT_T0_E_clISt17integral_constantIbLb0EES1K_EEDaS1F_S1G_EUlS1F_E_NS1_11comp_targetILNS1_3genE9ELNS1_11target_archE1100ELNS1_3gpuE3ELNS1_3repE0EEENS1_30default_config_static_selectorELNS0_4arch9wavefront6targetE0EEEvT1_.num_named_barrier, 0
	.set _ZN7rocprim17ROCPRIM_400000_NS6detail17trampoline_kernelINS0_14default_configENS1_25partition_config_selectorILNS1_17partition_subalgoE6EjNS0_10empty_typeEbEEZZNS1_14partition_implILS5_6ELb0ES3_mN6thrust23THRUST_200600_302600_NS6detail15normal_iteratorINSA_10device_ptrIjEEEEPS6_SG_NS0_5tupleIJSF_S6_EEENSH_IJSG_SG_EEES6_PlJNSB_9not_fun_tINSB_10functional5actorINSM_9compositeIJNSM_27transparent_binary_operatorINSA_8equal_toIvEEEENSN_INSM_8argumentILj0EEEEENSM_5valueIjEEEEEEEEEEEE10hipError_tPvRmT3_T4_T5_T6_T7_T9_mT8_P12ihipStream_tbDpT10_ENKUlT_T0_E_clISt17integral_constantIbLb0EES1K_EEDaS1F_S1G_EUlS1F_E_NS1_11comp_targetILNS1_3genE9ELNS1_11target_archE1100ELNS1_3gpuE3ELNS1_3repE0EEENS1_30default_config_static_selectorELNS0_4arch9wavefront6targetE0EEEvT1_.private_seg_size, 0
	.set _ZN7rocprim17ROCPRIM_400000_NS6detail17trampoline_kernelINS0_14default_configENS1_25partition_config_selectorILNS1_17partition_subalgoE6EjNS0_10empty_typeEbEEZZNS1_14partition_implILS5_6ELb0ES3_mN6thrust23THRUST_200600_302600_NS6detail15normal_iteratorINSA_10device_ptrIjEEEEPS6_SG_NS0_5tupleIJSF_S6_EEENSH_IJSG_SG_EEES6_PlJNSB_9not_fun_tINSB_10functional5actorINSM_9compositeIJNSM_27transparent_binary_operatorINSA_8equal_toIvEEEENSN_INSM_8argumentILj0EEEEENSM_5valueIjEEEEEEEEEEEE10hipError_tPvRmT3_T4_T5_T6_T7_T9_mT8_P12ihipStream_tbDpT10_ENKUlT_T0_E_clISt17integral_constantIbLb0EES1K_EEDaS1F_S1G_EUlS1F_E_NS1_11comp_targetILNS1_3genE9ELNS1_11target_archE1100ELNS1_3gpuE3ELNS1_3repE0EEENS1_30default_config_static_selectorELNS0_4arch9wavefront6targetE0EEEvT1_.uses_vcc, 0
	.set _ZN7rocprim17ROCPRIM_400000_NS6detail17trampoline_kernelINS0_14default_configENS1_25partition_config_selectorILNS1_17partition_subalgoE6EjNS0_10empty_typeEbEEZZNS1_14partition_implILS5_6ELb0ES3_mN6thrust23THRUST_200600_302600_NS6detail15normal_iteratorINSA_10device_ptrIjEEEEPS6_SG_NS0_5tupleIJSF_S6_EEENSH_IJSG_SG_EEES6_PlJNSB_9not_fun_tINSB_10functional5actorINSM_9compositeIJNSM_27transparent_binary_operatorINSA_8equal_toIvEEEENSN_INSM_8argumentILj0EEEEENSM_5valueIjEEEEEEEEEEEE10hipError_tPvRmT3_T4_T5_T6_T7_T9_mT8_P12ihipStream_tbDpT10_ENKUlT_T0_E_clISt17integral_constantIbLb0EES1K_EEDaS1F_S1G_EUlS1F_E_NS1_11comp_targetILNS1_3genE9ELNS1_11target_archE1100ELNS1_3gpuE3ELNS1_3repE0EEENS1_30default_config_static_selectorELNS0_4arch9wavefront6targetE0EEEvT1_.uses_flat_scratch, 0
	.set _ZN7rocprim17ROCPRIM_400000_NS6detail17trampoline_kernelINS0_14default_configENS1_25partition_config_selectorILNS1_17partition_subalgoE6EjNS0_10empty_typeEbEEZZNS1_14partition_implILS5_6ELb0ES3_mN6thrust23THRUST_200600_302600_NS6detail15normal_iteratorINSA_10device_ptrIjEEEEPS6_SG_NS0_5tupleIJSF_S6_EEENSH_IJSG_SG_EEES6_PlJNSB_9not_fun_tINSB_10functional5actorINSM_9compositeIJNSM_27transparent_binary_operatorINSA_8equal_toIvEEEENSN_INSM_8argumentILj0EEEEENSM_5valueIjEEEEEEEEEEEE10hipError_tPvRmT3_T4_T5_T6_T7_T9_mT8_P12ihipStream_tbDpT10_ENKUlT_T0_E_clISt17integral_constantIbLb0EES1K_EEDaS1F_S1G_EUlS1F_E_NS1_11comp_targetILNS1_3genE9ELNS1_11target_archE1100ELNS1_3gpuE3ELNS1_3repE0EEENS1_30default_config_static_selectorELNS0_4arch9wavefront6targetE0EEEvT1_.has_dyn_sized_stack, 0
	.set _ZN7rocprim17ROCPRIM_400000_NS6detail17trampoline_kernelINS0_14default_configENS1_25partition_config_selectorILNS1_17partition_subalgoE6EjNS0_10empty_typeEbEEZZNS1_14partition_implILS5_6ELb0ES3_mN6thrust23THRUST_200600_302600_NS6detail15normal_iteratorINSA_10device_ptrIjEEEEPS6_SG_NS0_5tupleIJSF_S6_EEENSH_IJSG_SG_EEES6_PlJNSB_9not_fun_tINSB_10functional5actorINSM_9compositeIJNSM_27transparent_binary_operatorINSA_8equal_toIvEEEENSN_INSM_8argumentILj0EEEEENSM_5valueIjEEEEEEEEEEEE10hipError_tPvRmT3_T4_T5_T6_T7_T9_mT8_P12ihipStream_tbDpT10_ENKUlT_T0_E_clISt17integral_constantIbLb0EES1K_EEDaS1F_S1G_EUlS1F_E_NS1_11comp_targetILNS1_3genE9ELNS1_11target_archE1100ELNS1_3gpuE3ELNS1_3repE0EEENS1_30default_config_static_selectorELNS0_4arch9wavefront6targetE0EEEvT1_.has_recursion, 0
	.set _ZN7rocprim17ROCPRIM_400000_NS6detail17trampoline_kernelINS0_14default_configENS1_25partition_config_selectorILNS1_17partition_subalgoE6EjNS0_10empty_typeEbEEZZNS1_14partition_implILS5_6ELb0ES3_mN6thrust23THRUST_200600_302600_NS6detail15normal_iteratorINSA_10device_ptrIjEEEEPS6_SG_NS0_5tupleIJSF_S6_EEENSH_IJSG_SG_EEES6_PlJNSB_9not_fun_tINSB_10functional5actorINSM_9compositeIJNSM_27transparent_binary_operatorINSA_8equal_toIvEEEENSN_INSM_8argumentILj0EEEEENSM_5valueIjEEEEEEEEEEEE10hipError_tPvRmT3_T4_T5_T6_T7_T9_mT8_P12ihipStream_tbDpT10_ENKUlT_T0_E_clISt17integral_constantIbLb0EES1K_EEDaS1F_S1G_EUlS1F_E_NS1_11comp_targetILNS1_3genE9ELNS1_11target_archE1100ELNS1_3gpuE3ELNS1_3repE0EEENS1_30default_config_static_selectorELNS0_4arch9wavefront6targetE0EEEvT1_.has_indirect_call, 0
	.section	.AMDGPU.csdata,"",@progbits
; Kernel info:
; codeLenInByte = 0
; TotalNumSgprs: 0
; NumVgprs: 0
; ScratchSize: 0
; MemoryBound: 0
; FloatMode: 240
; IeeeMode: 1
; LDSByteSize: 0 bytes/workgroup (compile time only)
; SGPRBlocks: 0
; VGPRBlocks: 0
; NumSGPRsForWavesPerEU: 1
; NumVGPRsForWavesPerEU: 1
; Occupancy: 16
; WaveLimiterHint : 0
; COMPUTE_PGM_RSRC2:SCRATCH_EN: 0
; COMPUTE_PGM_RSRC2:USER_SGPR: 2
; COMPUTE_PGM_RSRC2:TRAP_HANDLER: 0
; COMPUTE_PGM_RSRC2:TGID_X_EN: 1
; COMPUTE_PGM_RSRC2:TGID_Y_EN: 0
; COMPUTE_PGM_RSRC2:TGID_Z_EN: 0
; COMPUTE_PGM_RSRC2:TIDIG_COMP_CNT: 0
	.section	.text._ZN7rocprim17ROCPRIM_400000_NS6detail17trampoline_kernelINS0_14default_configENS1_25partition_config_selectorILNS1_17partition_subalgoE6EjNS0_10empty_typeEbEEZZNS1_14partition_implILS5_6ELb0ES3_mN6thrust23THRUST_200600_302600_NS6detail15normal_iteratorINSA_10device_ptrIjEEEEPS6_SG_NS0_5tupleIJSF_S6_EEENSH_IJSG_SG_EEES6_PlJNSB_9not_fun_tINSB_10functional5actorINSM_9compositeIJNSM_27transparent_binary_operatorINSA_8equal_toIvEEEENSN_INSM_8argumentILj0EEEEENSM_5valueIjEEEEEEEEEEEE10hipError_tPvRmT3_T4_T5_T6_T7_T9_mT8_P12ihipStream_tbDpT10_ENKUlT_T0_E_clISt17integral_constantIbLb0EES1K_EEDaS1F_S1G_EUlS1F_E_NS1_11comp_targetILNS1_3genE8ELNS1_11target_archE1030ELNS1_3gpuE2ELNS1_3repE0EEENS1_30default_config_static_selectorELNS0_4arch9wavefront6targetE0EEEvT1_,"axG",@progbits,_ZN7rocprim17ROCPRIM_400000_NS6detail17trampoline_kernelINS0_14default_configENS1_25partition_config_selectorILNS1_17partition_subalgoE6EjNS0_10empty_typeEbEEZZNS1_14partition_implILS5_6ELb0ES3_mN6thrust23THRUST_200600_302600_NS6detail15normal_iteratorINSA_10device_ptrIjEEEEPS6_SG_NS0_5tupleIJSF_S6_EEENSH_IJSG_SG_EEES6_PlJNSB_9not_fun_tINSB_10functional5actorINSM_9compositeIJNSM_27transparent_binary_operatorINSA_8equal_toIvEEEENSN_INSM_8argumentILj0EEEEENSM_5valueIjEEEEEEEEEEEE10hipError_tPvRmT3_T4_T5_T6_T7_T9_mT8_P12ihipStream_tbDpT10_ENKUlT_T0_E_clISt17integral_constantIbLb0EES1K_EEDaS1F_S1G_EUlS1F_E_NS1_11comp_targetILNS1_3genE8ELNS1_11target_archE1030ELNS1_3gpuE2ELNS1_3repE0EEENS1_30default_config_static_selectorELNS0_4arch9wavefront6targetE0EEEvT1_,comdat
	.protected	_ZN7rocprim17ROCPRIM_400000_NS6detail17trampoline_kernelINS0_14default_configENS1_25partition_config_selectorILNS1_17partition_subalgoE6EjNS0_10empty_typeEbEEZZNS1_14partition_implILS5_6ELb0ES3_mN6thrust23THRUST_200600_302600_NS6detail15normal_iteratorINSA_10device_ptrIjEEEEPS6_SG_NS0_5tupleIJSF_S6_EEENSH_IJSG_SG_EEES6_PlJNSB_9not_fun_tINSB_10functional5actorINSM_9compositeIJNSM_27transparent_binary_operatorINSA_8equal_toIvEEEENSN_INSM_8argumentILj0EEEEENSM_5valueIjEEEEEEEEEEEE10hipError_tPvRmT3_T4_T5_T6_T7_T9_mT8_P12ihipStream_tbDpT10_ENKUlT_T0_E_clISt17integral_constantIbLb0EES1K_EEDaS1F_S1G_EUlS1F_E_NS1_11comp_targetILNS1_3genE8ELNS1_11target_archE1030ELNS1_3gpuE2ELNS1_3repE0EEENS1_30default_config_static_selectorELNS0_4arch9wavefront6targetE0EEEvT1_ ; -- Begin function _ZN7rocprim17ROCPRIM_400000_NS6detail17trampoline_kernelINS0_14default_configENS1_25partition_config_selectorILNS1_17partition_subalgoE6EjNS0_10empty_typeEbEEZZNS1_14partition_implILS5_6ELb0ES3_mN6thrust23THRUST_200600_302600_NS6detail15normal_iteratorINSA_10device_ptrIjEEEEPS6_SG_NS0_5tupleIJSF_S6_EEENSH_IJSG_SG_EEES6_PlJNSB_9not_fun_tINSB_10functional5actorINSM_9compositeIJNSM_27transparent_binary_operatorINSA_8equal_toIvEEEENSN_INSM_8argumentILj0EEEEENSM_5valueIjEEEEEEEEEEEE10hipError_tPvRmT3_T4_T5_T6_T7_T9_mT8_P12ihipStream_tbDpT10_ENKUlT_T0_E_clISt17integral_constantIbLb0EES1K_EEDaS1F_S1G_EUlS1F_E_NS1_11comp_targetILNS1_3genE8ELNS1_11target_archE1030ELNS1_3gpuE2ELNS1_3repE0EEENS1_30default_config_static_selectorELNS0_4arch9wavefront6targetE0EEEvT1_
	.globl	_ZN7rocprim17ROCPRIM_400000_NS6detail17trampoline_kernelINS0_14default_configENS1_25partition_config_selectorILNS1_17partition_subalgoE6EjNS0_10empty_typeEbEEZZNS1_14partition_implILS5_6ELb0ES3_mN6thrust23THRUST_200600_302600_NS6detail15normal_iteratorINSA_10device_ptrIjEEEEPS6_SG_NS0_5tupleIJSF_S6_EEENSH_IJSG_SG_EEES6_PlJNSB_9not_fun_tINSB_10functional5actorINSM_9compositeIJNSM_27transparent_binary_operatorINSA_8equal_toIvEEEENSN_INSM_8argumentILj0EEEEENSM_5valueIjEEEEEEEEEEEE10hipError_tPvRmT3_T4_T5_T6_T7_T9_mT8_P12ihipStream_tbDpT10_ENKUlT_T0_E_clISt17integral_constantIbLb0EES1K_EEDaS1F_S1G_EUlS1F_E_NS1_11comp_targetILNS1_3genE8ELNS1_11target_archE1030ELNS1_3gpuE2ELNS1_3repE0EEENS1_30default_config_static_selectorELNS0_4arch9wavefront6targetE0EEEvT1_
	.p2align	8
	.type	_ZN7rocprim17ROCPRIM_400000_NS6detail17trampoline_kernelINS0_14default_configENS1_25partition_config_selectorILNS1_17partition_subalgoE6EjNS0_10empty_typeEbEEZZNS1_14partition_implILS5_6ELb0ES3_mN6thrust23THRUST_200600_302600_NS6detail15normal_iteratorINSA_10device_ptrIjEEEEPS6_SG_NS0_5tupleIJSF_S6_EEENSH_IJSG_SG_EEES6_PlJNSB_9not_fun_tINSB_10functional5actorINSM_9compositeIJNSM_27transparent_binary_operatorINSA_8equal_toIvEEEENSN_INSM_8argumentILj0EEEEENSM_5valueIjEEEEEEEEEEEE10hipError_tPvRmT3_T4_T5_T6_T7_T9_mT8_P12ihipStream_tbDpT10_ENKUlT_T0_E_clISt17integral_constantIbLb0EES1K_EEDaS1F_S1G_EUlS1F_E_NS1_11comp_targetILNS1_3genE8ELNS1_11target_archE1030ELNS1_3gpuE2ELNS1_3repE0EEENS1_30default_config_static_selectorELNS0_4arch9wavefront6targetE0EEEvT1_,@function
_ZN7rocprim17ROCPRIM_400000_NS6detail17trampoline_kernelINS0_14default_configENS1_25partition_config_selectorILNS1_17partition_subalgoE6EjNS0_10empty_typeEbEEZZNS1_14partition_implILS5_6ELb0ES3_mN6thrust23THRUST_200600_302600_NS6detail15normal_iteratorINSA_10device_ptrIjEEEEPS6_SG_NS0_5tupleIJSF_S6_EEENSH_IJSG_SG_EEES6_PlJNSB_9not_fun_tINSB_10functional5actorINSM_9compositeIJNSM_27transparent_binary_operatorINSA_8equal_toIvEEEENSN_INSM_8argumentILj0EEEEENSM_5valueIjEEEEEEEEEEEE10hipError_tPvRmT3_T4_T5_T6_T7_T9_mT8_P12ihipStream_tbDpT10_ENKUlT_T0_E_clISt17integral_constantIbLb0EES1K_EEDaS1F_S1G_EUlS1F_E_NS1_11comp_targetILNS1_3genE8ELNS1_11target_archE1030ELNS1_3gpuE2ELNS1_3repE0EEENS1_30default_config_static_selectorELNS0_4arch9wavefront6targetE0EEEvT1_: ; @_ZN7rocprim17ROCPRIM_400000_NS6detail17trampoline_kernelINS0_14default_configENS1_25partition_config_selectorILNS1_17partition_subalgoE6EjNS0_10empty_typeEbEEZZNS1_14partition_implILS5_6ELb0ES3_mN6thrust23THRUST_200600_302600_NS6detail15normal_iteratorINSA_10device_ptrIjEEEEPS6_SG_NS0_5tupleIJSF_S6_EEENSH_IJSG_SG_EEES6_PlJNSB_9not_fun_tINSB_10functional5actorINSM_9compositeIJNSM_27transparent_binary_operatorINSA_8equal_toIvEEEENSN_INSM_8argumentILj0EEEEENSM_5valueIjEEEEEEEEEEEE10hipError_tPvRmT3_T4_T5_T6_T7_T9_mT8_P12ihipStream_tbDpT10_ENKUlT_T0_E_clISt17integral_constantIbLb0EES1K_EEDaS1F_S1G_EUlS1F_E_NS1_11comp_targetILNS1_3genE8ELNS1_11target_archE1030ELNS1_3gpuE2ELNS1_3repE0EEENS1_30default_config_static_selectorELNS0_4arch9wavefront6targetE0EEEvT1_
; %bb.0:
	.section	.rodata,"a",@progbits
	.p2align	6, 0x0
	.amdhsa_kernel _ZN7rocprim17ROCPRIM_400000_NS6detail17trampoline_kernelINS0_14default_configENS1_25partition_config_selectorILNS1_17partition_subalgoE6EjNS0_10empty_typeEbEEZZNS1_14partition_implILS5_6ELb0ES3_mN6thrust23THRUST_200600_302600_NS6detail15normal_iteratorINSA_10device_ptrIjEEEEPS6_SG_NS0_5tupleIJSF_S6_EEENSH_IJSG_SG_EEES6_PlJNSB_9not_fun_tINSB_10functional5actorINSM_9compositeIJNSM_27transparent_binary_operatorINSA_8equal_toIvEEEENSN_INSM_8argumentILj0EEEEENSM_5valueIjEEEEEEEEEEEE10hipError_tPvRmT3_T4_T5_T6_T7_T9_mT8_P12ihipStream_tbDpT10_ENKUlT_T0_E_clISt17integral_constantIbLb0EES1K_EEDaS1F_S1G_EUlS1F_E_NS1_11comp_targetILNS1_3genE8ELNS1_11target_archE1030ELNS1_3gpuE2ELNS1_3repE0EEENS1_30default_config_static_selectorELNS0_4arch9wavefront6targetE0EEEvT1_
		.amdhsa_group_segment_fixed_size 0
		.amdhsa_private_segment_fixed_size 0
		.amdhsa_kernarg_size 120
		.amdhsa_user_sgpr_count 2
		.amdhsa_user_sgpr_dispatch_ptr 0
		.amdhsa_user_sgpr_queue_ptr 0
		.amdhsa_user_sgpr_kernarg_segment_ptr 1
		.amdhsa_user_sgpr_dispatch_id 0
		.amdhsa_user_sgpr_private_segment_size 0
		.amdhsa_wavefront_size32 1
		.amdhsa_uses_dynamic_stack 0
		.amdhsa_enable_private_segment 0
		.amdhsa_system_sgpr_workgroup_id_x 1
		.amdhsa_system_sgpr_workgroup_id_y 0
		.amdhsa_system_sgpr_workgroup_id_z 0
		.amdhsa_system_sgpr_workgroup_info 0
		.amdhsa_system_vgpr_workitem_id 0
		.amdhsa_next_free_vgpr 1
		.amdhsa_next_free_sgpr 1
		.amdhsa_reserve_vcc 0
		.amdhsa_float_round_mode_32 0
		.amdhsa_float_round_mode_16_64 0
		.amdhsa_float_denorm_mode_32 3
		.amdhsa_float_denorm_mode_16_64 3
		.amdhsa_fp16_overflow 0
		.amdhsa_workgroup_processor_mode 1
		.amdhsa_memory_ordered 1
		.amdhsa_forward_progress 1
		.amdhsa_inst_pref_size 0
		.amdhsa_round_robin_scheduling 0
		.amdhsa_exception_fp_ieee_invalid_op 0
		.amdhsa_exception_fp_denorm_src 0
		.amdhsa_exception_fp_ieee_div_zero 0
		.amdhsa_exception_fp_ieee_overflow 0
		.amdhsa_exception_fp_ieee_underflow 0
		.amdhsa_exception_fp_ieee_inexact 0
		.amdhsa_exception_int_div_zero 0
	.end_amdhsa_kernel
	.section	.text._ZN7rocprim17ROCPRIM_400000_NS6detail17trampoline_kernelINS0_14default_configENS1_25partition_config_selectorILNS1_17partition_subalgoE6EjNS0_10empty_typeEbEEZZNS1_14partition_implILS5_6ELb0ES3_mN6thrust23THRUST_200600_302600_NS6detail15normal_iteratorINSA_10device_ptrIjEEEEPS6_SG_NS0_5tupleIJSF_S6_EEENSH_IJSG_SG_EEES6_PlJNSB_9not_fun_tINSB_10functional5actorINSM_9compositeIJNSM_27transparent_binary_operatorINSA_8equal_toIvEEEENSN_INSM_8argumentILj0EEEEENSM_5valueIjEEEEEEEEEEEE10hipError_tPvRmT3_T4_T5_T6_T7_T9_mT8_P12ihipStream_tbDpT10_ENKUlT_T0_E_clISt17integral_constantIbLb0EES1K_EEDaS1F_S1G_EUlS1F_E_NS1_11comp_targetILNS1_3genE8ELNS1_11target_archE1030ELNS1_3gpuE2ELNS1_3repE0EEENS1_30default_config_static_selectorELNS0_4arch9wavefront6targetE0EEEvT1_,"axG",@progbits,_ZN7rocprim17ROCPRIM_400000_NS6detail17trampoline_kernelINS0_14default_configENS1_25partition_config_selectorILNS1_17partition_subalgoE6EjNS0_10empty_typeEbEEZZNS1_14partition_implILS5_6ELb0ES3_mN6thrust23THRUST_200600_302600_NS6detail15normal_iteratorINSA_10device_ptrIjEEEEPS6_SG_NS0_5tupleIJSF_S6_EEENSH_IJSG_SG_EEES6_PlJNSB_9not_fun_tINSB_10functional5actorINSM_9compositeIJNSM_27transparent_binary_operatorINSA_8equal_toIvEEEENSN_INSM_8argumentILj0EEEEENSM_5valueIjEEEEEEEEEEEE10hipError_tPvRmT3_T4_T5_T6_T7_T9_mT8_P12ihipStream_tbDpT10_ENKUlT_T0_E_clISt17integral_constantIbLb0EES1K_EEDaS1F_S1G_EUlS1F_E_NS1_11comp_targetILNS1_3genE8ELNS1_11target_archE1030ELNS1_3gpuE2ELNS1_3repE0EEENS1_30default_config_static_selectorELNS0_4arch9wavefront6targetE0EEEvT1_,comdat
.Lfunc_end120:
	.size	_ZN7rocprim17ROCPRIM_400000_NS6detail17trampoline_kernelINS0_14default_configENS1_25partition_config_selectorILNS1_17partition_subalgoE6EjNS0_10empty_typeEbEEZZNS1_14partition_implILS5_6ELb0ES3_mN6thrust23THRUST_200600_302600_NS6detail15normal_iteratorINSA_10device_ptrIjEEEEPS6_SG_NS0_5tupleIJSF_S6_EEENSH_IJSG_SG_EEES6_PlJNSB_9not_fun_tINSB_10functional5actorINSM_9compositeIJNSM_27transparent_binary_operatorINSA_8equal_toIvEEEENSN_INSM_8argumentILj0EEEEENSM_5valueIjEEEEEEEEEEEE10hipError_tPvRmT3_T4_T5_T6_T7_T9_mT8_P12ihipStream_tbDpT10_ENKUlT_T0_E_clISt17integral_constantIbLb0EES1K_EEDaS1F_S1G_EUlS1F_E_NS1_11comp_targetILNS1_3genE8ELNS1_11target_archE1030ELNS1_3gpuE2ELNS1_3repE0EEENS1_30default_config_static_selectorELNS0_4arch9wavefront6targetE0EEEvT1_, .Lfunc_end120-_ZN7rocprim17ROCPRIM_400000_NS6detail17trampoline_kernelINS0_14default_configENS1_25partition_config_selectorILNS1_17partition_subalgoE6EjNS0_10empty_typeEbEEZZNS1_14partition_implILS5_6ELb0ES3_mN6thrust23THRUST_200600_302600_NS6detail15normal_iteratorINSA_10device_ptrIjEEEEPS6_SG_NS0_5tupleIJSF_S6_EEENSH_IJSG_SG_EEES6_PlJNSB_9not_fun_tINSB_10functional5actorINSM_9compositeIJNSM_27transparent_binary_operatorINSA_8equal_toIvEEEENSN_INSM_8argumentILj0EEEEENSM_5valueIjEEEEEEEEEEEE10hipError_tPvRmT3_T4_T5_T6_T7_T9_mT8_P12ihipStream_tbDpT10_ENKUlT_T0_E_clISt17integral_constantIbLb0EES1K_EEDaS1F_S1G_EUlS1F_E_NS1_11comp_targetILNS1_3genE8ELNS1_11target_archE1030ELNS1_3gpuE2ELNS1_3repE0EEENS1_30default_config_static_selectorELNS0_4arch9wavefront6targetE0EEEvT1_
                                        ; -- End function
	.set _ZN7rocprim17ROCPRIM_400000_NS6detail17trampoline_kernelINS0_14default_configENS1_25partition_config_selectorILNS1_17partition_subalgoE6EjNS0_10empty_typeEbEEZZNS1_14partition_implILS5_6ELb0ES3_mN6thrust23THRUST_200600_302600_NS6detail15normal_iteratorINSA_10device_ptrIjEEEEPS6_SG_NS0_5tupleIJSF_S6_EEENSH_IJSG_SG_EEES6_PlJNSB_9not_fun_tINSB_10functional5actorINSM_9compositeIJNSM_27transparent_binary_operatorINSA_8equal_toIvEEEENSN_INSM_8argumentILj0EEEEENSM_5valueIjEEEEEEEEEEEE10hipError_tPvRmT3_T4_T5_T6_T7_T9_mT8_P12ihipStream_tbDpT10_ENKUlT_T0_E_clISt17integral_constantIbLb0EES1K_EEDaS1F_S1G_EUlS1F_E_NS1_11comp_targetILNS1_3genE8ELNS1_11target_archE1030ELNS1_3gpuE2ELNS1_3repE0EEENS1_30default_config_static_selectorELNS0_4arch9wavefront6targetE0EEEvT1_.num_vgpr, 0
	.set _ZN7rocprim17ROCPRIM_400000_NS6detail17trampoline_kernelINS0_14default_configENS1_25partition_config_selectorILNS1_17partition_subalgoE6EjNS0_10empty_typeEbEEZZNS1_14partition_implILS5_6ELb0ES3_mN6thrust23THRUST_200600_302600_NS6detail15normal_iteratorINSA_10device_ptrIjEEEEPS6_SG_NS0_5tupleIJSF_S6_EEENSH_IJSG_SG_EEES6_PlJNSB_9not_fun_tINSB_10functional5actorINSM_9compositeIJNSM_27transparent_binary_operatorINSA_8equal_toIvEEEENSN_INSM_8argumentILj0EEEEENSM_5valueIjEEEEEEEEEEEE10hipError_tPvRmT3_T4_T5_T6_T7_T9_mT8_P12ihipStream_tbDpT10_ENKUlT_T0_E_clISt17integral_constantIbLb0EES1K_EEDaS1F_S1G_EUlS1F_E_NS1_11comp_targetILNS1_3genE8ELNS1_11target_archE1030ELNS1_3gpuE2ELNS1_3repE0EEENS1_30default_config_static_selectorELNS0_4arch9wavefront6targetE0EEEvT1_.num_agpr, 0
	.set _ZN7rocprim17ROCPRIM_400000_NS6detail17trampoline_kernelINS0_14default_configENS1_25partition_config_selectorILNS1_17partition_subalgoE6EjNS0_10empty_typeEbEEZZNS1_14partition_implILS5_6ELb0ES3_mN6thrust23THRUST_200600_302600_NS6detail15normal_iteratorINSA_10device_ptrIjEEEEPS6_SG_NS0_5tupleIJSF_S6_EEENSH_IJSG_SG_EEES6_PlJNSB_9not_fun_tINSB_10functional5actorINSM_9compositeIJNSM_27transparent_binary_operatorINSA_8equal_toIvEEEENSN_INSM_8argumentILj0EEEEENSM_5valueIjEEEEEEEEEEEE10hipError_tPvRmT3_T4_T5_T6_T7_T9_mT8_P12ihipStream_tbDpT10_ENKUlT_T0_E_clISt17integral_constantIbLb0EES1K_EEDaS1F_S1G_EUlS1F_E_NS1_11comp_targetILNS1_3genE8ELNS1_11target_archE1030ELNS1_3gpuE2ELNS1_3repE0EEENS1_30default_config_static_selectorELNS0_4arch9wavefront6targetE0EEEvT1_.numbered_sgpr, 0
	.set _ZN7rocprim17ROCPRIM_400000_NS6detail17trampoline_kernelINS0_14default_configENS1_25partition_config_selectorILNS1_17partition_subalgoE6EjNS0_10empty_typeEbEEZZNS1_14partition_implILS5_6ELb0ES3_mN6thrust23THRUST_200600_302600_NS6detail15normal_iteratorINSA_10device_ptrIjEEEEPS6_SG_NS0_5tupleIJSF_S6_EEENSH_IJSG_SG_EEES6_PlJNSB_9not_fun_tINSB_10functional5actorINSM_9compositeIJNSM_27transparent_binary_operatorINSA_8equal_toIvEEEENSN_INSM_8argumentILj0EEEEENSM_5valueIjEEEEEEEEEEEE10hipError_tPvRmT3_T4_T5_T6_T7_T9_mT8_P12ihipStream_tbDpT10_ENKUlT_T0_E_clISt17integral_constantIbLb0EES1K_EEDaS1F_S1G_EUlS1F_E_NS1_11comp_targetILNS1_3genE8ELNS1_11target_archE1030ELNS1_3gpuE2ELNS1_3repE0EEENS1_30default_config_static_selectorELNS0_4arch9wavefront6targetE0EEEvT1_.num_named_barrier, 0
	.set _ZN7rocprim17ROCPRIM_400000_NS6detail17trampoline_kernelINS0_14default_configENS1_25partition_config_selectorILNS1_17partition_subalgoE6EjNS0_10empty_typeEbEEZZNS1_14partition_implILS5_6ELb0ES3_mN6thrust23THRUST_200600_302600_NS6detail15normal_iteratorINSA_10device_ptrIjEEEEPS6_SG_NS0_5tupleIJSF_S6_EEENSH_IJSG_SG_EEES6_PlJNSB_9not_fun_tINSB_10functional5actorINSM_9compositeIJNSM_27transparent_binary_operatorINSA_8equal_toIvEEEENSN_INSM_8argumentILj0EEEEENSM_5valueIjEEEEEEEEEEEE10hipError_tPvRmT3_T4_T5_T6_T7_T9_mT8_P12ihipStream_tbDpT10_ENKUlT_T0_E_clISt17integral_constantIbLb0EES1K_EEDaS1F_S1G_EUlS1F_E_NS1_11comp_targetILNS1_3genE8ELNS1_11target_archE1030ELNS1_3gpuE2ELNS1_3repE0EEENS1_30default_config_static_selectorELNS0_4arch9wavefront6targetE0EEEvT1_.private_seg_size, 0
	.set _ZN7rocprim17ROCPRIM_400000_NS6detail17trampoline_kernelINS0_14default_configENS1_25partition_config_selectorILNS1_17partition_subalgoE6EjNS0_10empty_typeEbEEZZNS1_14partition_implILS5_6ELb0ES3_mN6thrust23THRUST_200600_302600_NS6detail15normal_iteratorINSA_10device_ptrIjEEEEPS6_SG_NS0_5tupleIJSF_S6_EEENSH_IJSG_SG_EEES6_PlJNSB_9not_fun_tINSB_10functional5actorINSM_9compositeIJNSM_27transparent_binary_operatorINSA_8equal_toIvEEEENSN_INSM_8argumentILj0EEEEENSM_5valueIjEEEEEEEEEEEE10hipError_tPvRmT3_T4_T5_T6_T7_T9_mT8_P12ihipStream_tbDpT10_ENKUlT_T0_E_clISt17integral_constantIbLb0EES1K_EEDaS1F_S1G_EUlS1F_E_NS1_11comp_targetILNS1_3genE8ELNS1_11target_archE1030ELNS1_3gpuE2ELNS1_3repE0EEENS1_30default_config_static_selectorELNS0_4arch9wavefront6targetE0EEEvT1_.uses_vcc, 0
	.set _ZN7rocprim17ROCPRIM_400000_NS6detail17trampoline_kernelINS0_14default_configENS1_25partition_config_selectorILNS1_17partition_subalgoE6EjNS0_10empty_typeEbEEZZNS1_14partition_implILS5_6ELb0ES3_mN6thrust23THRUST_200600_302600_NS6detail15normal_iteratorINSA_10device_ptrIjEEEEPS6_SG_NS0_5tupleIJSF_S6_EEENSH_IJSG_SG_EEES6_PlJNSB_9not_fun_tINSB_10functional5actorINSM_9compositeIJNSM_27transparent_binary_operatorINSA_8equal_toIvEEEENSN_INSM_8argumentILj0EEEEENSM_5valueIjEEEEEEEEEEEE10hipError_tPvRmT3_T4_T5_T6_T7_T9_mT8_P12ihipStream_tbDpT10_ENKUlT_T0_E_clISt17integral_constantIbLb0EES1K_EEDaS1F_S1G_EUlS1F_E_NS1_11comp_targetILNS1_3genE8ELNS1_11target_archE1030ELNS1_3gpuE2ELNS1_3repE0EEENS1_30default_config_static_selectorELNS0_4arch9wavefront6targetE0EEEvT1_.uses_flat_scratch, 0
	.set _ZN7rocprim17ROCPRIM_400000_NS6detail17trampoline_kernelINS0_14default_configENS1_25partition_config_selectorILNS1_17partition_subalgoE6EjNS0_10empty_typeEbEEZZNS1_14partition_implILS5_6ELb0ES3_mN6thrust23THRUST_200600_302600_NS6detail15normal_iteratorINSA_10device_ptrIjEEEEPS6_SG_NS0_5tupleIJSF_S6_EEENSH_IJSG_SG_EEES6_PlJNSB_9not_fun_tINSB_10functional5actorINSM_9compositeIJNSM_27transparent_binary_operatorINSA_8equal_toIvEEEENSN_INSM_8argumentILj0EEEEENSM_5valueIjEEEEEEEEEEEE10hipError_tPvRmT3_T4_T5_T6_T7_T9_mT8_P12ihipStream_tbDpT10_ENKUlT_T0_E_clISt17integral_constantIbLb0EES1K_EEDaS1F_S1G_EUlS1F_E_NS1_11comp_targetILNS1_3genE8ELNS1_11target_archE1030ELNS1_3gpuE2ELNS1_3repE0EEENS1_30default_config_static_selectorELNS0_4arch9wavefront6targetE0EEEvT1_.has_dyn_sized_stack, 0
	.set _ZN7rocprim17ROCPRIM_400000_NS6detail17trampoline_kernelINS0_14default_configENS1_25partition_config_selectorILNS1_17partition_subalgoE6EjNS0_10empty_typeEbEEZZNS1_14partition_implILS5_6ELb0ES3_mN6thrust23THRUST_200600_302600_NS6detail15normal_iteratorINSA_10device_ptrIjEEEEPS6_SG_NS0_5tupleIJSF_S6_EEENSH_IJSG_SG_EEES6_PlJNSB_9not_fun_tINSB_10functional5actorINSM_9compositeIJNSM_27transparent_binary_operatorINSA_8equal_toIvEEEENSN_INSM_8argumentILj0EEEEENSM_5valueIjEEEEEEEEEEEE10hipError_tPvRmT3_T4_T5_T6_T7_T9_mT8_P12ihipStream_tbDpT10_ENKUlT_T0_E_clISt17integral_constantIbLb0EES1K_EEDaS1F_S1G_EUlS1F_E_NS1_11comp_targetILNS1_3genE8ELNS1_11target_archE1030ELNS1_3gpuE2ELNS1_3repE0EEENS1_30default_config_static_selectorELNS0_4arch9wavefront6targetE0EEEvT1_.has_recursion, 0
	.set _ZN7rocprim17ROCPRIM_400000_NS6detail17trampoline_kernelINS0_14default_configENS1_25partition_config_selectorILNS1_17partition_subalgoE6EjNS0_10empty_typeEbEEZZNS1_14partition_implILS5_6ELb0ES3_mN6thrust23THRUST_200600_302600_NS6detail15normal_iteratorINSA_10device_ptrIjEEEEPS6_SG_NS0_5tupleIJSF_S6_EEENSH_IJSG_SG_EEES6_PlJNSB_9not_fun_tINSB_10functional5actorINSM_9compositeIJNSM_27transparent_binary_operatorINSA_8equal_toIvEEEENSN_INSM_8argumentILj0EEEEENSM_5valueIjEEEEEEEEEEEE10hipError_tPvRmT3_T4_T5_T6_T7_T9_mT8_P12ihipStream_tbDpT10_ENKUlT_T0_E_clISt17integral_constantIbLb0EES1K_EEDaS1F_S1G_EUlS1F_E_NS1_11comp_targetILNS1_3genE8ELNS1_11target_archE1030ELNS1_3gpuE2ELNS1_3repE0EEENS1_30default_config_static_selectorELNS0_4arch9wavefront6targetE0EEEvT1_.has_indirect_call, 0
	.section	.AMDGPU.csdata,"",@progbits
; Kernel info:
; codeLenInByte = 0
; TotalNumSgprs: 0
; NumVgprs: 0
; ScratchSize: 0
; MemoryBound: 0
; FloatMode: 240
; IeeeMode: 1
; LDSByteSize: 0 bytes/workgroup (compile time only)
; SGPRBlocks: 0
; VGPRBlocks: 0
; NumSGPRsForWavesPerEU: 1
; NumVGPRsForWavesPerEU: 1
; Occupancy: 16
; WaveLimiterHint : 0
; COMPUTE_PGM_RSRC2:SCRATCH_EN: 0
; COMPUTE_PGM_RSRC2:USER_SGPR: 2
; COMPUTE_PGM_RSRC2:TRAP_HANDLER: 0
; COMPUTE_PGM_RSRC2:TGID_X_EN: 1
; COMPUTE_PGM_RSRC2:TGID_Y_EN: 0
; COMPUTE_PGM_RSRC2:TGID_Z_EN: 0
; COMPUTE_PGM_RSRC2:TIDIG_COMP_CNT: 0
	.section	.text._ZN7rocprim17ROCPRIM_400000_NS6detail17trampoline_kernelINS0_14default_configENS1_25partition_config_selectorILNS1_17partition_subalgoE6EjNS0_10empty_typeEbEEZZNS1_14partition_implILS5_6ELb0ES3_mN6thrust23THRUST_200600_302600_NS6detail15normal_iteratorINSA_10device_ptrIjEEEEPS6_SG_NS0_5tupleIJSF_S6_EEENSH_IJSG_SG_EEES6_PlJNSB_9not_fun_tINSB_10functional5actorINSM_9compositeIJNSM_27transparent_binary_operatorINSA_8equal_toIvEEEENSN_INSM_8argumentILj0EEEEENSM_5valueIjEEEEEEEEEEEE10hipError_tPvRmT3_T4_T5_T6_T7_T9_mT8_P12ihipStream_tbDpT10_ENKUlT_T0_E_clISt17integral_constantIbLb1EES1K_EEDaS1F_S1G_EUlS1F_E_NS1_11comp_targetILNS1_3genE0ELNS1_11target_archE4294967295ELNS1_3gpuE0ELNS1_3repE0EEENS1_30default_config_static_selectorELNS0_4arch9wavefront6targetE0EEEvT1_,"axG",@progbits,_ZN7rocprim17ROCPRIM_400000_NS6detail17trampoline_kernelINS0_14default_configENS1_25partition_config_selectorILNS1_17partition_subalgoE6EjNS0_10empty_typeEbEEZZNS1_14partition_implILS5_6ELb0ES3_mN6thrust23THRUST_200600_302600_NS6detail15normal_iteratorINSA_10device_ptrIjEEEEPS6_SG_NS0_5tupleIJSF_S6_EEENSH_IJSG_SG_EEES6_PlJNSB_9not_fun_tINSB_10functional5actorINSM_9compositeIJNSM_27transparent_binary_operatorINSA_8equal_toIvEEEENSN_INSM_8argumentILj0EEEEENSM_5valueIjEEEEEEEEEEEE10hipError_tPvRmT3_T4_T5_T6_T7_T9_mT8_P12ihipStream_tbDpT10_ENKUlT_T0_E_clISt17integral_constantIbLb1EES1K_EEDaS1F_S1G_EUlS1F_E_NS1_11comp_targetILNS1_3genE0ELNS1_11target_archE4294967295ELNS1_3gpuE0ELNS1_3repE0EEENS1_30default_config_static_selectorELNS0_4arch9wavefront6targetE0EEEvT1_,comdat
	.protected	_ZN7rocprim17ROCPRIM_400000_NS6detail17trampoline_kernelINS0_14default_configENS1_25partition_config_selectorILNS1_17partition_subalgoE6EjNS0_10empty_typeEbEEZZNS1_14partition_implILS5_6ELb0ES3_mN6thrust23THRUST_200600_302600_NS6detail15normal_iteratorINSA_10device_ptrIjEEEEPS6_SG_NS0_5tupleIJSF_S6_EEENSH_IJSG_SG_EEES6_PlJNSB_9not_fun_tINSB_10functional5actorINSM_9compositeIJNSM_27transparent_binary_operatorINSA_8equal_toIvEEEENSN_INSM_8argumentILj0EEEEENSM_5valueIjEEEEEEEEEEEE10hipError_tPvRmT3_T4_T5_T6_T7_T9_mT8_P12ihipStream_tbDpT10_ENKUlT_T0_E_clISt17integral_constantIbLb1EES1K_EEDaS1F_S1G_EUlS1F_E_NS1_11comp_targetILNS1_3genE0ELNS1_11target_archE4294967295ELNS1_3gpuE0ELNS1_3repE0EEENS1_30default_config_static_selectorELNS0_4arch9wavefront6targetE0EEEvT1_ ; -- Begin function _ZN7rocprim17ROCPRIM_400000_NS6detail17trampoline_kernelINS0_14default_configENS1_25partition_config_selectorILNS1_17partition_subalgoE6EjNS0_10empty_typeEbEEZZNS1_14partition_implILS5_6ELb0ES3_mN6thrust23THRUST_200600_302600_NS6detail15normal_iteratorINSA_10device_ptrIjEEEEPS6_SG_NS0_5tupleIJSF_S6_EEENSH_IJSG_SG_EEES6_PlJNSB_9not_fun_tINSB_10functional5actorINSM_9compositeIJNSM_27transparent_binary_operatorINSA_8equal_toIvEEEENSN_INSM_8argumentILj0EEEEENSM_5valueIjEEEEEEEEEEEE10hipError_tPvRmT3_T4_T5_T6_T7_T9_mT8_P12ihipStream_tbDpT10_ENKUlT_T0_E_clISt17integral_constantIbLb1EES1K_EEDaS1F_S1G_EUlS1F_E_NS1_11comp_targetILNS1_3genE0ELNS1_11target_archE4294967295ELNS1_3gpuE0ELNS1_3repE0EEENS1_30default_config_static_selectorELNS0_4arch9wavefront6targetE0EEEvT1_
	.globl	_ZN7rocprim17ROCPRIM_400000_NS6detail17trampoline_kernelINS0_14default_configENS1_25partition_config_selectorILNS1_17partition_subalgoE6EjNS0_10empty_typeEbEEZZNS1_14partition_implILS5_6ELb0ES3_mN6thrust23THRUST_200600_302600_NS6detail15normal_iteratorINSA_10device_ptrIjEEEEPS6_SG_NS0_5tupleIJSF_S6_EEENSH_IJSG_SG_EEES6_PlJNSB_9not_fun_tINSB_10functional5actorINSM_9compositeIJNSM_27transparent_binary_operatorINSA_8equal_toIvEEEENSN_INSM_8argumentILj0EEEEENSM_5valueIjEEEEEEEEEEEE10hipError_tPvRmT3_T4_T5_T6_T7_T9_mT8_P12ihipStream_tbDpT10_ENKUlT_T0_E_clISt17integral_constantIbLb1EES1K_EEDaS1F_S1G_EUlS1F_E_NS1_11comp_targetILNS1_3genE0ELNS1_11target_archE4294967295ELNS1_3gpuE0ELNS1_3repE0EEENS1_30default_config_static_selectorELNS0_4arch9wavefront6targetE0EEEvT1_
	.p2align	8
	.type	_ZN7rocprim17ROCPRIM_400000_NS6detail17trampoline_kernelINS0_14default_configENS1_25partition_config_selectorILNS1_17partition_subalgoE6EjNS0_10empty_typeEbEEZZNS1_14partition_implILS5_6ELb0ES3_mN6thrust23THRUST_200600_302600_NS6detail15normal_iteratorINSA_10device_ptrIjEEEEPS6_SG_NS0_5tupleIJSF_S6_EEENSH_IJSG_SG_EEES6_PlJNSB_9not_fun_tINSB_10functional5actorINSM_9compositeIJNSM_27transparent_binary_operatorINSA_8equal_toIvEEEENSN_INSM_8argumentILj0EEEEENSM_5valueIjEEEEEEEEEEEE10hipError_tPvRmT3_T4_T5_T6_T7_T9_mT8_P12ihipStream_tbDpT10_ENKUlT_T0_E_clISt17integral_constantIbLb1EES1K_EEDaS1F_S1G_EUlS1F_E_NS1_11comp_targetILNS1_3genE0ELNS1_11target_archE4294967295ELNS1_3gpuE0ELNS1_3repE0EEENS1_30default_config_static_selectorELNS0_4arch9wavefront6targetE0EEEvT1_,@function
_ZN7rocprim17ROCPRIM_400000_NS6detail17trampoline_kernelINS0_14default_configENS1_25partition_config_selectorILNS1_17partition_subalgoE6EjNS0_10empty_typeEbEEZZNS1_14partition_implILS5_6ELb0ES3_mN6thrust23THRUST_200600_302600_NS6detail15normal_iteratorINSA_10device_ptrIjEEEEPS6_SG_NS0_5tupleIJSF_S6_EEENSH_IJSG_SG_EEES6_PlJNSB_9not_fun_tINSB_10functional5actorINSM_9compositeIJNSM_27transparent_binary_operatorINSA_8equal_toIvEEEENSN_INSM_8argumentILj0EEEEENSM_5valueIjEEEEEEEEEEEE10hipError_tPvRmT3_T4_T5_T6_T7_T9_mT8_P12ihipStream_tbDpT10_ENKUlT_T0_E_clISt17integral_constantIbLb1EES1K_EEDaS1F_S1G_EUlS1F_E_NS1_11comp_targetILNS1_3genE0ELNS1_11target_archE4294967295ELNS1_3gpuE0ELNS1_3repE0EEENS1_30default_config_static_selectorELNS0_4arch9wavefront6targetE0EEEvT1_: ; @_ZN7rocprim17ROCPRIM_400000_NS6detail17trampoline_kernelINS0_14default_configENS1_25partition_config_selectorILNS1_17partition_subalgoE6EjNS0_10empty_typeEbEEZZNS1_14partition_implILS5_6ELb0ES3_mN6thrust23THRUST_200600_302600_NS6detail15normal_iteratorINSA_10device_ptrIjEEEEPS6_SG_NS0_5tupleIJSF_S6_EEENSH_IJSG_SG_EEES6_PlJNSB_9not_fun_tINSB_10functional5actorINSM_9compositeIJNSM_27transparent_binary_operatorINSA_8equal_toIvEEEENSN_INSM_8argumentILj0EEEEENSM_5valueIjEEEEEEEEEEEE10hipError_tPvRmT3_T4_T5_T6_T7_T9_mT8_P12ihipStream_tbDpT10_ENKUlT_T0_E_clISt17integral_constantIbLb1EES1K_EEDaS1F_S1G_EUlS1F_E_NS1_11comp_targetILNS1_3genE0ELNS1_11target_archE4294967295ELNS1_3gpuE0ELNS1_3repE0EEENS1_30default_config_static_selectorELNS0_4arch9wavefront6targetE0EEEvT1_
; %bb.0:
	.section	.rodata,"a",@progbits
	.p2align	6, 0x0
	.amdhsa_kernel _ZN7rocprim17ROCPRIM_400000_NS6detail17trampoline_kernelINS0_14default_configENS1_25partition_config_selectorILNS1_17partition_subalgoE6EjNS0_10empty_typeEbEEZZNS1_14partition_implILS5_6ELb0ES3_mN6thrust23THRUST_200600_302600_NS6detail15normal_iteratorINSA_10device_ptrIjEEEEPS6_SG_NS0_5tupleIJSF_S6_EEENSH_IJSG_SG_EEES6_PlJNSB_9not_fun_tINSB_10functional5actorINSM_9compositeIJNSM_27transparent_binary_operatorINSA_8equal_toIvEEEENSN_INSM_8argumentILj0EEEEENSM_5valueIjEEEEEEEEEEEE10hipError_tPvRmT3_T4_T5_T6_T7_T9_mT8_P12ihipStream_tbDpT10_ENKUlT_T0_E_clISt17integral_constantIbLb1EES1K_EEDaS1F_S1G_EUlS1F_E_NS1_11comp_targetILNS1_3genE0ELNS1_11target_archE4294967295ELNS1_3gpuE0ELNS1_3repE0EEENS1_30default_config_static_selectorELNS0_4arch9wavefront6targetE0EEEvT1_
		.amdhsa_group_segment_fixed_size 0
		.amdhsa_private_segment_fixed_size 0
		.amdhsa_kernarg_size 128
		.amdhsa_user_sgpr_count 2
		.amdhsa_user_sgpr_dispatch_ptr 0
		.amdhsa_user_sgpr_queue_ptr 0
		.amdhsa_user_sgpr_kernarg_segment_ptr 1
		.amdhsa_user_sgpr_dispatch_id 0
		.amdhsa_user_sgpr_private_segment_size 0
		.amdhsa_wavefront_size32 1
		.amdhsa_uses_dynamic_stack 0
		.amdhsa_enable_private_segment 0
		.amdhsa_system_sgpr_workgroup_id_x 1
		.amdhsa_system_sgpr_workgroup_id_y 0
		.amdhsa_system_sgpr_workgroup_id_z 0
		.amdhsa_system_sgpr_workgroup_info 0
		.amdhsa_system_vgpr_workitem_id 0
		.amdhsa_next_free_vgpr 1
		.amdhsa_next_free_sgpr 1
		.amdhsa_reserve_vcc 0
		.amdhsa_float_round_mode_32 0
		.amdhsa_float_round_mode_16_64 0
		.amdhsa_float_denorm_mode_32 3
		.amdhsa_float_denorm_mode_16_64 3
		.amdhsa_fp16_overflow 0
		.amdhsa_workgroup_processor_mode 1
		.amdhsa_memory_ordered 1
		.amdhsa_forward_progress 1
		.amdhsa_inst_pref_size 0
		.amdhsa_round_robin_scheduling 0
		.amdhsa_exception_fp_ieee_invalid_op 0
		.amdhsa_exception_fp_denorm_src 0
		.amdhsa_exception_fp_ieee_div_zero 0
		.amdhsa_exception_fp_ieee_overflow 0
		.amdhsa_exception_fp_ieee_underflow 0
		.amdhsa_exception_fp_ieee_inexact 0
		.amdhsa_exception_int_div_zero 0
	.end_amdhsa_kernel
	.section	.text._ZN7rocprim17ROCPRIM_400000_NS6detail17trampoline_kernelINS0_14default_configENS1_25partition_config_selectorILNS1_17partition_subalgoE6EjNS0_10empty_typeEbEEZZNS1_14partition_implILS5_6ELb0ES3_mN6thrust23THRUST_200600_302600_NS6detail15normal_iteratorINSA_10device_ptrIjEEEEPS6_SG_NS0_5tupleIJSF_S6_EEENSH_IJSG_SG_EEES6_PlJNSB_9not_fun_tINSB_10functional5actorINSM_9compositeIJNSM_27transparent_binary_operatorINSA_8equal_toIvEEEENSN_INSM_8argumentILj0EEEEENSM_5valueIjEEEEEEEEEEEE10hipError_tPvRmT3_T4_T5_T6_T7_T9_mT8_P12ihipStream_tbDpT10_ENKUlT_T0_E_clISt17integral_constantIbLb1EES1K_EEDaS1F_S1G_EUlS1F_E_NS1_11comp_targetILNS1_3genE0ELNS1_11target_archE4294967295ELNS1_3gpuE0ELNS1_3repE0EEENS1_30default_config_static_selectorELNS0_4arch9wavefront6targetE0EEEvT1_,"axG",@progbits,_ZN7rocprim17ROCPRIM_400000_NS6detail17trampoline_kernelINS0_14default_configENS1_25partition_config_selectorILNS1_17partition_subalgoE6EjNS0_10empty_typeEbEEZZNS1_14partition_implILS5_6ELb0ES3_mN6thrust23THRUST_200600_302600_NS6detail15normal_iteratorINSA_10device_ptrIjEEEEPS6_SG_NS0_5tupleIJSF_S6_EEENSH_IJSG_SG_EEES6_PlJNSB_9not_fun_tINSB_10functional5actorINSM_9compositeIJNSM_27transparent_binary_operatorINSA_8equal_toIvEEEENSN_INSM_8argumentILj0EEEEENSM_5valueIjEEEEEEEEEEEE10hipError_tPvRmT3_T4_T5_T6_T7_T9_mT8_P12ihipStream_tbDpT10_ENKUlT_T0_E_clISt17integral_constantIbLb1EES1K_EEDaS1F_S1G_EUlS1F_E_NS1_11comp_targetILNS1_3genE0ELNS1_11target_archE4294967295ELNS1_3gpuE0ELNS1_3repE0EEENS1_30default_config_static_selectorELNS0_4arch9wavefront6targetE0EEEvT1_,comdat
.Lfunc_end121:
	.size	_ZN7rocprim17ROCPRIM_400000_NS6detail17trampoline_kernelINS0_14default_configENS1_25partition_config_selectorILNS1_17partition_subalgoE6EjNS0_10empty_typeEbEEZZNS1_14partition_implILS5_6ELb0ES3_mN6thrust23THRUST_200600_302600_NS6detail15normal_iteratorINSA_10device_ptrIjEEEEPS6_SG_NS0_5tupleIJSF_S6_EEENSH_IJSG_SG_EEES6_PlJNSB_9not_fun_tINSB_10functional5actorINSM_9compositeIJNSM_27transparent_binary_operatorINSA_8equal_toIvEEEENSN_INSM_8argumentILj0EEEEENSM_5valueIjEEEEEEEEEEEE10hipError_tPvRmT3_T4_T5_T6_T7_T9_mT8_P12ihipStream_tbDpT10_ENKUlT_T0_E_clISt17integral_constantIbLb1EES1K_EEDaS1F_S1G_EUlS1F_E_NS1_11comp_targetILNS1_3genE0ELNS1_11target_archE4294967295ELNS1_3gpuE0ELNS1_3repE0EEENS1_30default_config_static_selectorELNS0_4arch9wavefront6targetE0EEEvT1_, .Lfunc_end121-_ZN7rocprim17ROCPRIM_400000_NS6detail17trampoline_kernelINS0_14default_configENS1_25partition_config_selectorILNS1_17partition_subalgoE6EjNS0_10empty_typeEbEEZZNS1_14partition_implILS5_6ELb0ES3_mN6thrust23THRUST_200600_302600_NS6detail15normal_iteratorINSA_10device_ptrIjEEEEPS6_SG_NS0_5tupleIJSF_S6_EEENSH_IJSG_SG_EEES6_PlJNSB_9not_fun_tINSB_10functional5actorINSM_9compositeIJNSM_27transparent_binary_operatorINSA_8equal_toIvEEEENSN_INSM_8argumentILj0EEEEENSM_5valueIjEEEEEEEEEEEE10hipError_tPvRmT3_T4_T5_T6_T7_T9_mT8_P12ihipStream_tbDpT10_ENKUlT_T0_E_clISt17integral_constantIbLb1EES1K_EEDaS1F_S1G_EUlS1F_E_NS1_11comp_targetILNS1_3genE0ELNS1_11target_archE4294967295ELNS1_3gpuE0ELNS1_3repE0EEENS1_30default_config_static_selectorELNS0_4arch9wavefront6targetE0EEEvT1_
                                        ; -- End function
	.set _ZN7rocprim17ROCPRIM_400000_NS6detail17trampoline_kernelINS0_14default_configENS1_25partition_config_selectorILNS1_17partition_subalgoE6EjNS0_10empty_typeEbEEZZNS1_14partition_implILS5_6ELb0ES3_mN6thrust23THRUST_200600_302600_NS6detail15normal_iteratorINSA_10device_ptrIjEEEEPS6_SG_NS0_5tupleIJSF_S6_EEENSH_IJSG_SG_EEES6_PlJNSB_9not_fun_tINSB_10functional5actorINSM_9compositeIJNSM_27transparent_binary_operatorINSA_8equal_toIvEEEENSN_INSM_8argumentILj0EEEEENSM_5valueIjEEEEEEEEEEEE10hipError_tPvRmT3_T4_T5_T6_T7_T9_mT8_P12ihipStream_tbDpT10_ENKUlT_T0_E_clISt17integral_constantIbLb1EES1K_EEDaS1F_S1G_EUlS1F_E_NS1_11comp_targetILNS1_3genE0ELNS1_11target_archE4294967295ELNS1_3gpuE0ELNS1_3repE0EEENS1_30default_config_static_selectorELNS0_4arch9wavefront6targetE0EEEvT1_.num_vgpr, 0
	.set _ZN7rocprim17ROCPRIM_400000_NS6detail17trampoline_kernelINS0_14default_configENS1_25partition_config_selectorILNS1_17partition_subalgoE6EjNS0_10empty_typeEbEEZZNS1_14partition_implILS5_6ELb0ES3_mN6thrust23THRUST_200600_302600_NS6detail15normal_iteratorINSA_10device_ptrIjEEEEPS6_SG_NS0_5tupleIJSF_S6_EEENSH_IJSG_SG_EEES6_PlJNSB_9not_fun_tINSB_10functional5actorINSM_9compositeIJNSM_27transparent_binary_operatorINSA_8equal_toIvEEEENSN_INSM_8argumentILj0EEEEENSM_5valueIjEEEEEEEEEEEE10hipError_tPvRmT3_T4_T5_T6_T7_T9_mT8_P12ihipStream_tbDpT10_ENKUlT_T0_E_clISt17integral_constantIbLb1EES1K_EEDaS1F_S1G_EUlS1F_E_NS1_11comp_targetILNS1_3genE0ELNS1_11target_archE4294967295ELNS1_3gpuE0ELNS1_3repE0EEENS1_30default_config_static_selectorELNS0_4arch9wavefront6targetE0EEEvT1_.num_agpr, 0
	.set _ZN7rocprim17ROCPRIM_400000_NS6detail17trampoline_kernelINS0_14default_configENS1_25partition_config_selectorILNS1_17partition_subalgoE6EjNS0_10empty_typeEbEEZZNS1_14partition_implILS5_6ELb0ES3_mN6thrust23THRUST_200600_302600_NS6detail15normal_iteratorINSA_10device_ptrIjEEEEPS6_SG_NS0_5tupleIJSF_S6_EEENSH_IJSG_SG_EEES6_PlJNSB_9not_fun_tINSB_10functional5actorINSM_9compositeIJNSM_27transparent_binary_operatorINSA_8equal_toIvEEEENSN_INSM_8argumentILj0EEEEENSM_5valueIjEEEEEEEEEEEE10hipError_tPvRmT3_T4_T5_T6_T7_T9_mT8_P12ihipStream_tbDpT10_ENKUlT_T0_E_clISt17integral_constantIbLb1EES1K_EEDaS1F_S1G_EUlS1F_E_NS1_11comp_targetILNS1_3genE0ELNS1_11target_archE4294967295ELNS1_3gpuE0ELNS1_3repE0EEENS1_30default_config_static_selectorELNS0_4arch9wavefront6targetE0EEEvT1_.numbered_sgpr, 0
	.set _ZN7rocprim17ROCPRIM_400000_NS6detail17trampoline_kernelINS0_14default_configENS1_25partition_config_selectorILNS1_17partition_subalgoE6EjNS0_10empty_typeEbEEZZNS1_14partition_implILS5_6ELb0ES3_mN6thrust23THRUST_200600_302600_NS6detail15normal_iteratorINSA_10device_ptrIjEEEEPS6_SG_NS0_5tupleIJSF_S6_EEENSH_IJSG_SG_EEES6_PlJNSB_9not_fun_tINSB_10functional5actorINSM_9compositeIJNSM_27transparent_binary_operatorINSA_8equal_toIvEEEENSN_INSM_8argumentILj0EEEEENSM_5valueIjEEEEEEEEEEEE10hipError_tPvRmT3_T4_T5_T6_T7_T9_mT8_P12ihipStream_tbDpT10_ENKUlT_T0_E_clISt17integral_constantIbLb1EES1K_EEDaS1F_S1G_EUlS1F_E_NS1_11comp_targetILNS1_3genE0ELNS1_11target_archE4294967295ELNS1_3gpuE0ELNS1_3repE0EEENS1_30default_config_static_selectorELNS0_4arch9wavefront6targetE0EEEvT1_.num_named_barrier, 0
	.set _ZN7rocprim17ROCPRIM_400000_NS6detail17trampoline_kernelINS0_14default_configENS1_25partition_config_selectorILNS1_17partition_subalgoE6EjNS0_10empty_typeEbEEZZNS1_14partition_implILS5_6ELb0ES3_mN6thrust23THRUST_200600_302600_NS6detail15normal_iteratorINSA_10device_ptrIjEEEEPS6_SG_NS0_5tupleIJSF_S6_EEENSH_IJSG_SG_EEES6_PlJNSB_9not_fun_tINSB_10functional5actorINSM_9compositeIJNSM_27transparent_binary_operatorINSA_8equal_toIvEEEENSN_INSM_8argumentILj0EEEEENSM_5valueIjEEEEEEEEEEEE10hipError_tPvRmT3_T4_T5_T6_T7_T9_mT8_P12ihipStream_tbDpT10_ENKUlT_T0_E_clISt17integral_constantIbLb1EES1K_EEDaS1F_S1G_EUlS1F_E_NS1_11comp_targetILNS1_3genE0ELNS1_11target_archE4294967295ELNS1_3gpuE0ELNS1_3repE0EEENS1_30default_config_static_selectorELNS0_4arch9wavefront6targetE0EEEvT1_.private_seg_size, 0
	.set _ZN7rocprim17ROCPRIM_400000_NS6detail17trampoline_kernelINS0_14default_configENS1_25partition_config_selectorILNS1_17partition_subalgoE6EjNS0_10empty_typeEbEEZZNS1_14partition_implILS5_6ELb0ES3_mN6thrust23THRUST_200600_302600_NS6detail15normal_iteratorINSA_10device_ptrIjEEEEPS6_SG_NS0_5tupleIJSF_S6_EEENSH_IJSG_SG_EEES6_PlJNSB_9not_fun_tINSB_10functional5actorINSM_9compositeIJNSM_27transparent_binary_operatorINSA_8equal_toIvEEEENSN_INSM_8argumentILj0EEEEENSM_5valueIjEEEEEEEEEEEE10hipError_tPvRmT3_T4_T5_T6_T7_T9_mT8_P12ihipStream_tbDpT10_ENKUlT_T0_E_clISt17integral_constantIbLb1EES1K_EEDaS1F_S1G_EUlS1F_E_NS1_11comp_targetILNS1_3genE0ELNS1_11target_archE4294967295ELNS1_3gpuE0ELNS1_3repE0EEENS1_30default_config_static_selectorELNS0_4arch9wavefront6targetE0EEEvT1_.uses_vcc, 0
	.set _ZN7rocprim17ROCPRIM_400000_NS6detail17trampoline_kernelINS0_14default_configENS1_25partition_config_selectorILNS1_17partition_subalgoE6EjNS0_10empty_typeEbEEZZNS1_14partition_implILS5_6ELb0ES3_mN6thrust23THRUST_200600_302600_NS6detail15normal_iteratorINSA_10device_ptrIjEEEEPS6_SG_NS0_5tupleIJSF_S6_EEENSH_IJSG_SG_EEES6_PlJNSB_9not_fun_tINSB_10functional5actorINSM_9compositeIJNSM_27transparent_binary_operatorINSA_8equal_toIvEEEENSN_INSM_8argumentILj0EEEEENSM_5valueIjEEEEEEEEEEEE10hipError_tPvRmT3_T4_T5_T6_T7_T9_mT8_P12ihipStream_tbDpT10_ENKUlT_T0_E_clISt17integral_constantIbLb1EES1K_EEDaS1F_S1G_EUlS1F_E_NS1_11comp_targetILNS1_3genE0ELNS1_11target_archE4294967295ELNS1_3gpuE0ELNS1_3repE0EEENS1_30default_config_static_selectorELNS0_4arch9wavefront6targetE0EEEvT1_.uses_flat_scratch, 0
	.set _ZN7rocprim17ROCPRIM_400000_NS6detail17trampoline_kernelINS0_14default_configENS1_25partition_config_selectorILNS1_17partition_subalgoE6EjNS0_10empty_typeEbEEZZNS1_14partition_implILS5_6ELb0ES3_mN6thrust23THRUST_200600_302600_NS6detail15normal_iteratorINSA_10device_ptrIjEEEEPS6_SG_NS0_5tupleIJSF_S6_EEENSH_IJSG_SG_EEES6_PlJNSB_9not_fun_tINSB_10functional5actorINSM_9compositeIJNSM_27transparent_binary_operatorINSA_8equal_toIvEEEENSN_INSM_8argumentILj0EEEEENSM_5valueIjEEEEEEEEEEEE10hipError_tPvRmT3_T4_T5_T6_T7_T9_mT8_P12ihipStream_tbDpT10_ENKUlT_T0_E_clISt17integral_constantIbLb1EES1K_EEDaS1F_S1G_EUlS1F_E_NS1_11comp_targetILNS1_3genE0ELNS1_11target_archE4294967295ELNS1_3gpuE0ELNS1_3repE0EEENS1_30default_config_static_selectorELNS0_4arch9wavefront6targetE0EEEvT1_.has_dyn_sized_stack, 0
	.set _ZN7rocprim17ROCPRIM_400000_NS6detail17trampoline_kernelINS0_14default_configENS1_25partition_config_selectorILNS1_17partition_subalgoE6EjNS0_10empty_typeEbEEZZNS1_14partition_implILS5_6ELb0ES3_mN6thrust23THRUST_200600_302600_NS6detail15normal_iteratorINSA_10device_ptrIjEEEEPS6_SG_NS0_5tupleIJSF_S6_EEENSH_IJSG_SG_EEES6_PlJNSB_9not_fun_tINSB_10functional5actorINSM_9compositeIJNSM_27transparent_binary_operatorINSA_8equal_toIvEEEENSN_INSM_8argumentILj0EEEEENSM_5valueIjEEEEEEEEEEEE10hipError_tPvRmT3_T4_T5_T6_T7_T9_mT8_P12ihipStream_tbDpT10_ENKUlT_T0_E_clISt17integral_constantIbLb1EES1K_EEDaS1F_S1G_EUlS1F_E_NS1_11comp_targetILNS1_3genE0ELNS1_11target_archE4294967295ELNS1_3gpuE0ELNS1_3repE0EEENS1_30default_config_static_selectorELNS0_4arch9wavefront6targetE0EEEvT1_.has_recursion, 0
	.set _ZN7rocprim17ROCPRIM_400000_NS6detail17trampoline_kernelINS0_14default_configENS1_25partition_config_selectorILNS1_17partition_subalgoE6EjNS0_10empty_typeEbEEZZNS1_14partition_implILS5_6ELb0ES3_mN6thrust23THRUST_200600_302600_NS6detail15normal_iteratorINSA_10device_ptrIjEEEEPS6_SG_NS0_5tupleIJSF_S6_EEENSH_IJSG_SG_EEES6_PlJNSB_9not_fun_tINSB_10functional5actorINSM_9compositeIJNSM_27transparent_binary_operatorINSA_8equal_toIvEEEENSN_INSM_8argumentILj0EEEEENSM_5valueIjEEEEEEEEEEEE10hipError_tPvRmT3_T4_T5_T6_T7_T9_mT8_P12ihipStream_tbDpT10_ENKUlT_T0_E_clISt17integral_constantIbLb1EES1K_EEDaS1F_S1G_EUlS1F_E_NS1_11comp_targetILNS1_3genE0ELNS1_11target_archE4294967295ELNS1_3gpuE0ELNS1_3repE0EEENS1_30default_config_static_selectorELNS0_4arch9wavefront6targetE0EEEvT1_.has_indirect_call, 0
	.section	.AMDGPU.csdata,"",@progbits
; Kernel info:
; codeLenInByte = 0
; TotalNumSgprs: 0
; NumVgprs: 0
; ScratchSize: 0
; MemoryBound: 0
; FloatMode: 240
; IeeeMode: 1
; LDSByteSize: 0 bytes/workgroup (compile time only)
; SGPRBlocks: 0
; VGPRBlocks: 0
; NumSGPRsForWavesPerEU: 1
; NumVGPRsForWavesPerEU: 1
; Occupancy: 16
; WaveLimiterHint : 0
; COMPUTE_PGM_RSRC2:SCRATCH_EN: 0
; COMPUTE_PGM_RSRC2:USER_SGPR: 2
; COMPUTE_PGM_RSRC2:TRAP_HANDLER: 0
; COMPUTE_PGM_RSRC2:TGID_X_EN: 1
; COMPUTE_PGM_RSRC2:TGID_Y_EN: 0
; COMPUTE_PGM_RSRC2:TGID_Z_EN: 0
; COMPUTE_PGM_RSRC2:TIDIG_COMP_CNT: 0
	.section	.text._ZN7rocprim17ROCPRIM_400000_NS6detail17trampoline_kernelINS0_14default_configENS1_25partition_config_selectorILNS1_17partition_subalgoE6EjNS0_10empty_typeEbEEZZNS1_14partition_implILS5_6ELb0ES3_mN6thrust23THRUST_200600_302600_NS6detail15normal_iteratorINSA_10device_ptrIjEEEEPS6_SG_NS0_5tupleIJSF_S6_EEENSH_IJSG_SG_EEES6_PlJNSB_9not_fun_tINSB_10functional5actorINSM_9compositeIJNSM_27transparent_binary_operatorINSA_8equal_toIvEEEENSN_INSM_8argumentILj0EEEEENSM_5valueIjEEEEEEEEEEEE10hipError_tPvRmT3_T4_T5_T6_T7_T9_mT8_P12ihipStream_tbDpT10_ENKUlT_T0_E_clISt17integral_constantIbLb1EES1K_EEDaS1F_S1G_EUlS1F_E_NS1_11comp_targetILNS1_3genE5ELNS1_11target_archE942ELNS1_3gpuE9ELNS1_3repE0EEENS1_30default_config_static_selectorELNS0_4arch9wavefront6targetE0EEEvT1_,"axG",@progbits,_ZN7rocprim17ROCPRIM_400000_NS6detail17trampoline_kernelINS0_14default_configENS1_25partition_config_selectorILNS1_17partition_subalgoE6EjNS0_10empty_typeEbEEZZNS1_14partition_implILS5_6ELb0ES3_mN6thrust23THRUST_200600_302600_NS6detail15normal_iteratorINSA_10device_ptrIjEEEEPS6_SG_NS0_5tupleIJSF_S6_EEENSH_IJSG_SG_EEES6_PlJNSB_9not_fun_tINSB_10functional5actorINSM_9compositeIJNSM_27transparent_binary_operatorINSA_8equal_toIvEEEENSN_INSM_8argumentILj0EEEEENSM_5valueIjEEEEEEEEEEEE10hipError_tPvRmT3_T4_T5_T6_T7_T9_mT8_P12ihipStream_tbDpT10_ENKUlT_T0_E_clISt17integral_constantIbLb1EES1K_EEDaS1F_S1G_EUlS1F_E_NS1_11comp_targetILNS1_3genE5ELNS1_11target_archE942ELNS1_3gpuE9ELNS1_3repE0EEENS1_30default_config_static_selectorELNS0_4arch9wavefront6targetE0EEEvT1_,comdat
	.protected	_ZN7rocprim17ROCPRIM_400000_NS6detail17trampoline_kernelINS0_14default_configENS1_25partition_config_selectorILNS1_17partition_subalgoE6EjNS0_10empty_typeEbEEZZNS1_14partition_implILS5_6ELb0ES3_mN6thrust23THRUST_200600_302600_NS6detail15normal_iteratorINSA_10device_ptrIjEEEEPS6_SG_NS0_5tupleIJSF_S6_EEENSH_IJSG_SG_EEES6_PlJNSB_9not_fun_tINSB_10functional5actorINSM_9compositeIJNSM_27transparent_binary_operatorINSA_8equal_toIvEEEENSN_INSM_8argumentILj0EEEEENSM_5valueIjEEEEEEEEEEEE10hipError_tPvRmT3_T4_T5_T6_T7_T9_mT8_P12ihipStream_tbDpT10_ENKUlT_T0_E_clISt17integral_constantIbLb1EES1K_EEDaS1F_S1G_EUlS1F_E_NS1_11comp_targetILNS1_3genE5ELNS1_11target_archE942ELNS1_3gpuE9ELNS1_3repE0EEENS1_30default_config_static_selectorELNS0_4arch9wavefront6targetE0EEEvT1_ ; -- Begin function _ZN7rocprim17ROCPRIM_400000_NS6detail17trampoline_kernelINS0_14default_configENS1_25partition_config_selectorILNS1_17partition_subalgoE6EjNS0_10empty_typeEbEEZZNS1_14partition_implILS5_6ELb0ES3_mN6thrust23THRUST_200600_302600_NS6detail15normal_iteratorINSA_10device_ptrIjEEEEPS6_SG_NS0_5tupleIJSF_S6_EEENSH_IJSG_SG_EEES6_PlJNSB_9not_fun_tINSB_10functional5actorINSM_9compositeIJNSM_27transparent_binary_operatorINSA_8equal_toIvEEEENSN_INSM_8argumentILj0EEEEENSM_5valueIjEEEEEEEEEEEE10hipError_tPvRmT3_T4_T5_T6_T7_T9_mT8_P12ihipStream_tbDpT10_ENKUlT_T0_E_clISt17integral_constantIbLb1EES1K_EEDaS1F_S1G_EUlS1F_E_NS1_11comp_targetILNS1_3genE5ELNS1_11target_archE942ELNS1_3gpuE9ELNS1_3repE0EEENS1_30default_config_static_selectorELNS0_4arch9wavefront6targetE0EEEvT1_
	.globl	_ZN7rocprim17ROCPRIM_400000_NS6detail17trampoline_kernelINS0_14default_configENS1_25partition_config_selectorILNS1_17partition_subalgoE6EjNS0_10empty_typeEbEEZZNS1_14partition_implILS5_6ELb0ES3_mN6thrust23THRUST_200600_302600_NS6detail15normal_iteratorINSA_10device_ptrIjEEEEPS6_SG_NS0_5tupleIJSF_S6_EEENSH_IJSG_SG_EEES6_PlJNSB_9not_fun_tINSB_10functional5actorINSM_9compositeIJNSM_27transparent_binary_operatorINSA_8equal_toIvEEEENSN_INSM_8argumentILj0EEEEENSM_5valueIjEEEEEEEEEEEE10hipError_tPvRmT3_T4_T5_T6_T7_T9_mT8_P12ihipStream_tbDpT10_ENKUlT_T0_E_clISt17integral_constantIbLb1EES1K_EEDaS1F_S1G_EUlS1F_E_NS1_11comp_targetILNS1_3genE5ELNS1_11target_archE942ELNS1_3gpuE9ELNS1_3repE0EEENS1_30default_config_static_selectorELNS0_4arch9wavefront6targetE0EEEvT1_
	.p2align	8
	.type	_ZN7rocprim17ROCPRIM_400000_NS6detail17trampoline_kernelINS0_14default_configENS1_25partition_config_selectorILNS1_17partition_subalgoE6EjNS0_10empty_typeEbEEZZNS1_14partition_implILS5_6ELb0ES3_mN6thrust23THRUST_200600_302600_NS6detail15normal_iteratorINSA_10device_ptrIjEEEEPS6_SG_NS0_5tupleIJSF_S6_EEENSH_IJSG_SG_EEES6_PlJNSB_9not_fun_tINSB_10functional5actorINSM_9compositeIJNSM_27transparent_binary_operatorINSA_8equal_toIvEEEENSN_INSM_8argumentILj0EEEEENSM_5valueIjEEEEEEEEEEEE10hipError_tPvRmT3_T4_T5_T6_T7_T9_mT8_P12ihipStream_tbDpT10_ENKUlT_T0_E_clISt17integral_constantIbLb1EES1K_EEDaS1F_S1G_EUlS1F_E_NS1_11comp_targetILNS1_3genE5ELNS1_11target_archE942ELNS1_3gpuE9ELNS1_3repE0EEENS1_30default_config_static_selectorELNS0_4arch9wavefront6targetE0EEEvT1_,@function
_ZN7rocprim17ROCPRIM_400000_NS6detail17trampoline_kernelINS0_14default_configENS1_25partition_config_selectorILNS1_17partition_subalgoE6EjNS0_10empty_typeEbEEZZNS1_14partition_implILS5_6ELb0ES3_mN6thrust23THRUST_200600_302600_NS6detail15normal_iteratorINSA_10device_ptrIjEEEEPS6_SG_NS0_5tupleIJSF_S6_EEENSH_IJSG_SG_EEES6_PlJNSB_9not_fun_tINSB_10functional5actorINSM_9compositeIJNSM_27transparent_binary_operatorINSA_8equal_toIvEEEENSN_INSM_8argumentILj0EEEEENSM_5valueIjEEEEEEEEEEEE10hipError_tPvRmT3_T4_T5_T6_T7_T9_mT8_P12ihipStream_tbDpT10_ENKUlT_T0_E_clISt17integral_constantIbLb1EES1K_EEDaS1F_S1G_EUlS1F_E_NS1_11comp_targetILNS1_3genE5ELNS1_11target_archE942ELNS1_3gpuE9ELNS1_3repE0EEENS1_30default_config_static_selectorELNS0_4arch9wavefront6targetE0EEEvT1_: ; @_ZN7rocprim17ROCPRIM_400000_NS6detail17trampoline_kernelINS0_14default_configENS1_25partition_config_selectorILNS1_17partition_subalgoE6EjNS0_10empty_typeEbEEZZNS1_14partition_implILS5_6ELb0ES3_mN6thrust23THRUST_200600_302600_NS6detail15normal_iteratorINSA_10device_ptrIjEEEEPS6_SG_NS0_5tupleIJSF_S6_EEENSH_IJSG_SG_EEES6_PlJNSB_9not_fun_tINSB_10functional5actorINSM_9compositeIJNSM_27transparent_binary_operatorINSA_8equal_toIvEEEENSN_INSM_8argumentILj0EEEEENSM_5valueIjEEEEEEEEEEEE10hipError_tPvRmT3_T4_T5_T6_T7_T9_mT8_P12ihipStream_tbDpT10_ENKUlT_T0_E_clISt17integral_constantIbLb1EES1K_EEDaS1F_S1G_EUlS1F_E_NS1_11comp_targetILNS1_3genE5ELNS1_11target_archE942ELNS1_3gpuE9ELNS1_3repE0EEENS1_30default_config_static_selectorELNS0_4arch9wavefront6targetE0EEEvT1_
; %bb.0:
	.section	.rodata,"a",@progbits
	.p2align	6, 0x0
	.amdhsa_kernel _ZN7rocprim17ROCPRIM_400000_NS6detail17trampoline_kernelINS0_14default_configENS1_25partition_config_selectorILNS1_17partition_subalgoE6EjNS0_10empty_typeEbEEZZNS1_14partition_implILS5_6ELb0ES3_mN6thrust23THRUST_200600_302600_NS6detail15normal_iteratorINSA_10device_ptrIjEEEEPS6_SG_NS0_5tupleIJSF_S6_EEENSH_IJSG_SG_EEES6_PlJNSB_9not_fun_tINSB_10functional5actorINSM_9compositeIJNSM_27transparent_binary_operatorINSA_8equal_toIvEEEENSN_INSM_8argumentILj0EEEEENSM_5valueIjEEEEEEEEEEEE10hipError_tPvRmT3_T4_T5_T6_T7_T9_mT8_P12ihipStream_tbDpT10_ENKUlT_T0_E_clISt17integral_constantIbLb1EES1K_EEDaS1F_S1G_EUlS1F_E_NS1_11comp_targetILNS1_3genE5ELNS1_11target_archE942ELNS1_3gpuE9ELNS1_3repE0EEENS1_30default_config_static_selectorELNS0_4arch9wavefront6targetE0EEEvT1_
		.amdhsa_group_segment_fixed_size 0
		.amdhsa_private_segment_fixed_size 0
		.amdhsa_kernarg_size 128
		.amdhsa_user_sgpr_count 2
		.amdhsa_user_sgpr_dispatch_ptr 0
		.amdhsa_user_sgpr_queue_ptr 0
		.amdhsa_user_sgpr_kernarg_segment_ptr 1
		.amdhsa_user_sgpr_dispatch_id 0
		.amdhsa_user_sgpr_private_segment_size 0
		.amdhsa_wavefront_size32 1
		.amdhsa_uses_dynamic_stack 0
		.amdhsa_enable_private_segment 0
		.amdhsa_system_sgpr_workgroup_id_x 1
		.amdhsa_system_sgpr_workgroup_id_y 0
		.amdhsa_system_sgpr_workgroup_id_z 0
		.amdhsa_system_sgpr_workgroup_info 0
		.amdhsa_system_vgpr_workitem_id 0
		.amdhsa_next_free_vgpr 1
		.amdhsa_next_free_sgpr 1
		.amdhsa_reserve_vcc 0
		.amdhsa_float_round_mode_32 0
		.amdhsa_float_round_mode_16_64 0
		.amdhsa_float_denorm_mode_32 3
		.amdhsa_float_denorm_mode_16_64 3
		.amdhsa_fp16_overflow 0
		.amdhsa_workgroup_processor_mode 1
		.amdhsa_memory_ordered 1
		.amdhsa_forward_progress 1
		.amdhsa_inst_pref_size 0
		.amdhsa_round_robin_scheduling 0
		.amdhsa_exception_fp_ieee_invalid_op 0
		.amdhsa_exception_fp_denorm_src 0
		.amdhsa_exception_fp_ieee_div_zero 0
		.amdhsa_exception_fp_ieee_overflow 0
		.amdhsa_exception_fp_ieee_underflow 0
		.amdhsa_exception_fp_ieee_inexact 0
		.amdhsa_exception_int_div_zero 0
	.end_amdhsa_kernel
	.section	.text._ZN7rocprim17ROCPRIM_400000_NS6detail17trampoline_kernelINS0_14default_configENS1_25partition_config_selectorILNS1_17partition_subalgoE6EjNS0_10empty_typeEbEEZZNS1_14partition_implILS5_6ELb0ES3_mN6thrust23THRUST_200600_302600_NS6detail15normal_iteratorINSA_10device_ptrIjEEEEPS6_SG_NS0_5tupleIJSF_S6_EEENSH_IJSG_SG_EEES6_PlJNSB_9not_fun_tINSB_10functional5actorINSM_9compositeIJNSM_27transparent_binary_operatorINSA_8equal_toIvEEEENSN_INSM_8argumentILj0EEEEENSM_5valueIjEEEEEEEEEEEE10hipError_tPvRmT3_T4_T5_T6_T7_T9_mT8_P12ihipStream_tbDpT10_ENKUlT_T0_E_clISt17integral_constantIbLb1EES1K_EEDaS1F_S1G_EUlS1F_E_NS1_11comp_targetILNS1_3genE5ELNS1_11target_archE942ELNS1_3gpuE9ELNS1_3repE0EEENS1_30default_config_static_selectorELNS0_4arch9wavefront6targetE0EEEvT1_,"axG",@progbits,_ZN7rocprim17ROCPRIM_400000_NS6detail17trampoline_kernelINS0_14default_configENS1_25partition_config_selectorILNS1_17partition_subalgoE6EjNS0_10empty_typeEbEEZZNS1_14partition_implILS5_6ELb0ES3_mN6thrust23THRUST_200600_302600_NS6detail15normal_iteratorINSA_10device_ptrIjEEEEPS6_SG_NS0_5tupleIJSF_S6_EEENSH_IJSG_SG_EEES6_PlJNSB_9not_fun_tINSB_10functional5actorINSM_9compositeIJNSM_27transparent_binary_operatorINSA_8equal_toIvEEEENSN_INSM_8argumentILj0EEEEENSM_5valueIjEEEEEEEEEEEE10hipError_tPvRmT3_T4_T5_T6_T7_T9_mT8_P12ihipStream_tbDpT10_ENKUlT_T0_E_clISt17integral_constantIbLb1EES1K_EEDaS1F_S1G_EUlS1F_E_NS1_11comp_targetILNS1_3genE5ELNS1_11target_archE942ELNS1_3gpuE9ELNS1_3repE0EEENS1_30default_config_static_selectorELNS0_4arch9wavefront6targetE0EEEvT1_,comdat
.Lfunc_end122:
	.size	_ZN7rocprim17ROCPRIM_400000_NS6detail17trampoline_kernelINS0_14default_configENS1_25partition_config_selectorILNS1_17partition_subalgoE6EjNS0_10empty_typeEbEEZZNS1_14partition_implILS5_6ELb0ES3_mN6thrust23THRUST_200600_302600_NS6detail15normal_iteratorINSA_10device_ptrIjEEEEPS6_SG_NS0_5tupleIJSF_S6_EEENSH_IJSG_SG_EEES6_PlJNSB_9not_fun_tINSB_10functional5actorINSM_9compositeIJNSM_27transparent_binary_operatorINSA_8equal_toIvEEEENSN_INSM_8argumentILj0EEEEENSM_5valueIjEEEEEEEEEEEE10hipError_tPvRmT3_T4_T5_T6_T7_T9_mT8_P12ihipStream_tbDpT10_ENKUlT_T0_E_clISt17integral_constantIbLb1EES1K_EEDaS1F_S1G_EUlS1F_E_NS1_11comp_targetILNS1_3genE5ELNS1_11target_archE942ELNS1_3gpuE9ELNS1_3repE0EEENS1_30default_config_static_selectorELNS0_4arch9wavefront6targetE0EEEvT1_, .Lfunc_end122-_ZN7rocprim17ROCPRIM_400000_NS6detail17trampoline_kernelINS0_14default_configENS1_25partition_config_selectorILNS1_17partition_subalgoE6EjNS0_10empty_typeEbEEZZNS1_14partition_implILS5_6ELb0ES3_mN6thrust23THRUST_200600_302600_NS6detail15normal_iteratorINSA_10device_ptrIjEEEEPS6_SG_NS0_5tupleIJSF_S6_EEENSH_IJSG_SG_EEES6_PlJNSB_9not_fun_tINSB_10functional5actorINSM_9compositeIJNSM_27transparent_binary_operatorINSA_8equal_toIvEEEENSN_INSM_8argumentILj0EEEEENSM_5valueIjEEEEEEEEEEEE10hipError_tPvRmT3_T4_T5_T6_T7_T9_mT8_P12ihipStream_tbDpT10_ENKUlT_T0_E_clISt17integral_constantIbLb1EES1K_EEDaS1F_S1G_EUlS1F_E_NS1_11comp_targetILNS1_3genE5ELNS1_11target_archE942ELNS1_3gpuE9ELNS1_3repE0EEENS1_30default_config_static_selectorELNS0_4arch9wavefront6targetE0EEEvT1_
                                        ; -- End function
	.set _ZN7rocprim17ROCPRIM_400000_NS6detail17trampoline_kernelINS0_14default_configENS1_25partition_config_selectorILNS1_17partition_subalgoE6EjNS0_10empty_typeEbEEZZNS1_14partition_implILS5_6ELb0ES3_mN6thrust23THRUST_200600_302600_NS6detail15normal_iteratorINSA_10device_ptrIjEEEEPS6_SG_NS0_5tupleIJSF_S6_EEENSH_IJSG_SG_EEES6_PlJNSB_9not_fun_tINSB_10functional5actorINSM_9compositeIJNSM_27transparent_binary_operatorINSA_8equal_toIvEEEENSN_INSM_8argumentILj0EEEEENSM_5valueIjEEEEEEEEEEEE10hipError_tPvRmT3_T4_T5_T6_T7_T9_mT8_P12ihipStream_tbDpT10_ENKUlT_T0_E_clISt17integral_constantIbLb1EES1K_EEDaS1F_S1G_EUlS1F_E_NS1_11comp_targetILNS1_3genE5ELNS1_11target_archE942ELNS1_3gpuE9ELNS1_3repE0EEENS1_30default_config_static_selectorELNS0_4arch9wavefront6targetE0EEEvT1_.num_vgpr, 0
	.set _ZN7rocprim17ROCPRIM_400000_NS6detail17trampoline_kernelINS0_14default_configENS1_25partition_config_selectorILNS1_17partition_subalgoE6EjNS0_10empty_typeEbEEZZNS1_14partition_implILS5_6ELb0ES3_mN6thrust23THRUST_200600_302600_NS6detail15normal_iteratorINSA_10device_ptrIjEEEEPS6_SG_NS0_5tupleIJSF_S6_EEENSH_IJSG_SG_EEES6_PlJNSB_9not_fun_tINSB_10functional5actorINSM_9compositeIJNSM_27transparent_binary_operatorINSA_8equal_toIvEEEENSN_INSM_8argumentILj0EEEEENSM_5valueIjEEEEEEEEEEEE10hipError_tPvRmT3_T4_T5_T6_T7_T9_mT8_P12ihipStream_tbDpT10_ENKUlT_T0_E_clISt17integral_constantIbLb1EES1K_EEDaS1F_S1G_EUlS1F_E_NS1_11comp_targetILNS1_3genE5ELNS1_11target_archE942ELNS1_3gpuE9ELNS1_3repE0EEENS1_30default_config_static_selectorELNS0_4arch9wavefront6targetE0EEEvT1_.num_agpr, 0
	.set _ZN7rocprim17ROCPRIM_400000_NS6detail17trampoline_kernelINS0_14default_configENS1_25partition_config_selectorILNS1_17partition_subalgoE6EjNS0_10empty_typeEbEEZZNS1_14partition_implILS5_6ELb0ES3_mN6thrust23THRUST_200600_302600_NS6detail15normal_iteratorINSA_10device_ptrIjEEEEPS6_SG_NS0_5tupleIJSF_S6_EEENSH_IJSG_SG_EEES6_PlJNSB_9not_fun_tINSB_10functional5actorINSM_9compositeIJNSM_27transparent_binary_operatorINSA_8equal_toIvEEEENSN_INSM_8argumentILj0EEEEENSM_5valueIjEEEEEEEEEEEE10hipError_tPvRmT3_T4_T5_T6_T7_T9_mT8_P12ihipStream_tbDpT10_ENKUlT_T0_E_clISt17integral_constantIbLb1EES1K_EEDaS1F_S1G_EUlS1F_E_NS1_11comp_targetILNS1_3genE5ELNS1_11target_archE942ELNS1_3gpuE9ELNS1_3repE0EEENS1_30default_config_static_selectorELNS0_4arch9wavefront6targetE0EEEvT1_.numbered_sgpr, 0
	.set _ZN7rocprim17ROCPRIM_400000_NS6detail17trampoline_kernelINS0_14default_configENS1_25partition_config_selectorILNS1_17partition_subalgoE6EjNS0_10empty_typeEbEEZZNS1_14partition_implILS5_6ELb0ES3_mN6thrust23THRUST_200600_302600_NS6detail15normal_iteratorINSA_10device_ptrIjEEEEPS6_SG_NS0_5tupleIJSF_S6_EEENSH_IJSG_SG_EEES6_PlJNSB_9not_fun_tINSB_10functional5actorINSM_9compositeIJNSM_27transparent_binary_operatorINSA_8equal_toIvEEEENSN_INSM_8argumentILj0EEEEENSM_5valueIjEEEEEEEEEEEE10hipError_tPvRmT3_T4_T5_T6_T7_T9_mT8_P12ihipStream_tbDpT10_ENKUlT_T0_E_clISt17integral_constantIbLb1EES1K_EEDaS1F_S1G_EUlS1F_E_NS1_11comp_targetILNS1_3genE5ELNS1_11target_archE942ELNS1_3gpuE9ELNS1_3repE0EEENS1_30default_config_static_selectorELNS0_4arch9wavefront6targetE0EEEvT1_.num_named_barrier, 0
	.set _ZN7rocprim17ROCPRIM_400000_NS6detail17trampoline_kernelINS0_14default_configENS1_25partition_config_selectorILNS1_17partition_subalgoE6EjNS0_10empty_typeEbEEZZNS1_14partition_implILS5_6ELb0ES3_mN6thrust23THRUST_200600_302600_NS6detail15normal_iteratorINSA_10device_ptrIjEEEEPS6_SG_NS0_5tupleIJSF_S6_EEENSH_IJSG_SG_EEES6_PlJNSB_9not_fun_tINSB_10functional5actorINSM_9compositeIJNSM_27transparent_binary_operatorINSA_8equal_toIvEEEENSN_INSM_8argumentILj0EEEEENSM_5valueIjEEEEEEEEEEEE10hipError_tPvRmT3_T4_T5_T6_T7_T9_mT8_P12ihipStream_tbDpT10_ENKUlT_T0_E_clISt17integral_constantIbLb1EES1K_EEDaS1F_S1G_EUlS1F_E_NS1_11comp_targetILNS1_3genE5ELNS1_11target_archE942ELNS1_3gpuE9ELNS1_3repE0EEENS1_30default_config_static_selectorELNS0_4arch9wavefront6targetE0EEEvT1_.private_seg_size, 0
	.set _ZN7rocprim17ROCPRIM_400000_NS6detail17trampoline_kernelINS0_14default_configENS1_25partition_config_selectorILNS1_17partition_subalgoE6EjNS0_10empty_typeEbEEZZNS1_14partition_implILS5_6ELb0ES3_mN6thrust23THRUST_200600_302600_NS6detail15normal_iteratorINSA_10device_ptrIjEEEEPS6_SG_NS0_5tupleIJSF_S6_EEENSH_IJSG_SG_EEES6_PlJNSB_9not_fun_tINSB_10functional5actorINSM_9compositeIJNSM_27transparent_binary_operatorINSA_8equal_toIvEEEENSN_INSM_8argumentILj0EEEEENSM_5valueIjEEEEEEEEEEEE10hipError_tPvRmT3_T4_T5_T6_T7_T9_mT8_P12ihipStream_tbDpT10_ENKUlT_T0_E_clISt17integral_constantIbLb1EES1K_EEDaS1F_S1G_EUlS1F_E_NS1_11comp_targetILNS1_3genE5ELNS1_11target_archE942ELNS1_3gpuE9ELNS1_3repE0EEENS1_30default_config_static_selectorELNS0_4arch9wavefront6targetE0EEEvT1_.uses_vcc, 0
	.set _ZN7rocprim17ROCPRIM_400000_NS6detail17trampoline_kernelINS0_14default_configENS1_25partition_config_selectorILNS1_17partition_subalgoE6EjNS0_10empty_typeEbEEZZNS1_14partition_implILS5_6ELb0ES3_mN6thrust23THRUST_200600_302600_NS6detail15normal_iteratorINSA_10device_ptrIjEEEEPS6_SG_NS0_5tupleIJSF_S6_EEENSH_IJSG_SG_EEES6_PlJNSB_9not_fun_tINSB_10functional5actorINSM_9compositeIJNSM_27transparent_binary_operatorINSA_8equal_toIvEEEENSN_INSM_8argumentILj0EEEEENSM_5valueIjEEEEEEEEEEEE10hipError_tPvRmT3_T4_T5_T6_T7_T9_mT8_P12ihipStream_tbDpT10_ENKUlT_T0_E_clISt17integral_constantIbLb1EES1K_EEDaS1F_S1G_EUlS1F_E_NS1_11comp_targetILNS1_3genE5ELNS1_11target_archE942ELNS1_3gpuE9ELNS1_3repE0EEENS1_30default_config_static_selectorELNS0_4arch9wavefront6targetE0EEEvT1_.uses_flat_scratch, 0
	.set _ZN7rocprim17ROCPRIM_400000_NS6detail17trampoline_kernelINS0_14default_configENS1_25partition_config_selectorILNS1_17partition_subalgoE6EjNS0_10empty_typeEbEEZZNS1_14partition_implILS5_6ELb0ES3_mN6thrust23THRUST_200600_302600_NS6detail15normal_iteratorINSA_10device_ptrIjEEEEPS6_SG_NS0_5tupleIJSF_S6_EEENSH_IJSG_SG_EEES6_PlJNSB_9not_fun_tINSB_10functional5actorINSM_9compositeIJNSM_27transparent_binary_operatorINSA_8equal_toIvEEEENSN_INSM_8argumentILj0EEEEENSM_5valueIjEEEEEEEEEEEE10hipError_tPvRmT3_T4_T5_T6_T7_T9_mT8_P12ihipStream_tbDpT10_ENKUlT_T0_E_clISt17integral_constantIbLb1EES1K_EEDaS1F_S1G_EUlS1F_E_NS1_11comp_targetILNS1_3genE5ELNS1_11target_archE942ELNS1_3gpuE9ELNS1_3repE0EEENS1_30default_config_static_selectorELNS0_4arch9wavefront6targetE0EEEvT1_.has_dyn_sized_stack, 0
	.set _ZN7rocprim17ROCPRIM_400000_NS6detail17trampoline_kernelINS0_14default_configENS1_25partition_config_selectorILNS1_17partition_subalgoE6EjNS0_10empty_typeEbEEZZNS1_14partition_implILS5_6ELb0ES3_mN6thrust23THRUST_200600_302600_NS6detail15normal_iteratorINSA_10device_ptrIjEEEEPS6_SG_NS0_5tupleIJSF_S6_EEENSH_IJSG_SG_EEES6_PlJNSB_9not_fun_tINSB_10functional5actorINSM_9compositeIJNSM_27transparent_binary_operatorINSA_8equal_toIvEEEENSN_INSM_8argumentILj0EEEEENSM_5valueIjEEEEEEEEEEEE10hipError_tPvRmT3_T4_T5_T6_T7_T9_mT8_P12ihipStream_tbDpT10_ENKUlT_T0_E_clISt17integral_constantIbLb1EES1K_EEDaS1F_S1G_EUlS1F_E_NS1_11comp_targetILNS1_3genE5ELNS1_11target_archE942ELNS1_3gpuE9ELNS1_3repE0EEENS1_30default_config_static_selectorELNS0_4arch9wavefront6targetE0EEEvT1_.has_recursion, 0
	.set _ZN7rocprim17ROCPRIM_400000_NS6detail17trampoline_kernelINS0_14default_configENS1_25partition_config_selectorILNS1_17partition_subalgoE6EjNS0_10empty_typeEbEEZZNS1_14partition_implILS5_6ELb0ES3_mN6thrust23THRUST_200600_302600_NS6detail15normal_iteratorINSA_10device_ptrIjEEEEPS6_SG_NS0_5tupleIJSF_S6_EEENSH_IJSG_SG_EEES6_PlJNSB_9not_fun_tINSB_10functional5actorINSM_9compositeIJNSM_27transparent_binary_operatorINSA_8equal_toIvEEEENSN_INSM_8argumentILj0EEEEENSM_5valueIjEEEEEEEEEEEE10hipError_tPvRmT3_T4_T5_T6_T7_T9_mT8_P12ihipStream_tbDpT10_ENKUlT_T0_E_clISt17integral_constantIbLb1EES1K_EEDaS1F_S1G_EUlS1F_E_NS1_11comp_targetILNS1_3genE5ELNS1_11target_archE942ELNS1_3gpuE9ELNS1_3repE0EEENS1_30default_config_static_selectorELNS0_4arch9wavefront6targetE0EEEvT1_.has_indirect_call, 0
	.section	.AMDGPU.csdata,"",@progbits
; Kernel info:
; codeLenInByte = 0
; TotalNumSgprs: 0
; NumVgprs: 0
; ScratchSize: 0
; MemoryBound: 0
; FloatMode: 240
; IeeeMode: 1
; LDSByteSize: 0 bytes/workgroup (compile time only)
; SGPRBlocks: 0
; VGPRBlocks: 0
; NumSGPRsForWavesPerEU: 1
; NumVGPRsForWavesPerEU: 1
; Occupancy: 16
; WaveLimiterHint : 0
; COMPUTE_PGM_RSRC2:SCRATCH_EN: 0
; COMPUTE_PGM_RSRC2:USER_SGPR: 2
; COMPUTE_PGM_RSRC2:TRAP_HANDLER: 0
; COMPUTE_PGM_RSRC2:TGID_X_EN: 1
; COMPUTE_PGM_RSRC2:TGID_Y_EN: 0
; COMPUTE_PGM_RSRC2:TGID_Z_EN: 0
; COMPUTE_PGM_RSRC2:TIDIG_COMP_CNT: 0
	.section	.text._ZN7rocprim17ROCPRIM_400000_NS6detail17trampoline_kernelINS0_14default_configENS1_25partition_config_selectorILNS1_17partition_subalgoE6EjNS0_10empty_typeEbEEZZNS1_14partition_implILS5_6ELb0ES3_mN6thrust23THRUST_200600_302600_NS6detail15normal_iteratorINSA_10device_ptrIjEEEEPS6_SG_NS0_5tupleIJSF_S6_EEENSH_IJSG_SG_EEES6_PlJNSB_9not_fun_tINSB_10functional5actorINSM_9compositeIJNSM_27transparent_binary_operatorINSA_8equal_toIvEEEENSN_INSM_8argumentILj0EEEEENSM_5valueIjEEEEEEEEEEEE10hipError_tPvRmT3_T4_T5_T6_T7_T9_mT8_P12ihipStream_tbDpT10_ENKUlT_T0_E_clISt17integral_constantIbLb1EES1K_EEDaS1F_S1G_EUlS1F_E_NS1_11comp_targetILNS1_3genE4ELNS1_11target_archE910ELNS1_3gpuE8ELNS1_3repE0EEENS1_30default_config_static_selectorELNS0_4arch9wavefront6targetE0EEEvT1_,"axG",@progbits,_ZN7rocprim17ROCPRIM_400000_NS6detail17trampoline_kernelINS0_14default_configENS1_25partition_config_selectorILNS1_17partition_subalgoE6EjNS0_10empty_typeEbEEZZNS1_14partition_implILS5_6ELb0ES3_mN6thrust23THRUST_200600_302600_NS6detail15normal_iteratorINSA_10device_ptrIjEEEEPS6_SG_NS0_5tupleIJSF_S6_EEENSH_IJSG_SG_EEES6_PlJNSB_9not_fun_tINSB_10functional5actorINSM_9compositeIJNSM_27transparent_binary_operatorINSA_8equal_toIvEEEENSN_INSM_8argumentILj0EEEEENSM_5valueIjEEEEEEEEEEEE10hipError_tPvRmT3_T4_T5_T6_T7_T9_mT8_P12ihipStream_tbDpT10_ENKUlT_T0_E_clISt17integral_constantIbLb1EES1K_EEDaS1F_S1G_EUlS1F_E_NS1_11comp_targetILNS1_3genE4ELNS1_11target_archE910ELNS1_3gpuE8ELNS1_3repE0EEENS1_30default_config_static_selectorELNS0_4arch9wavefront6targetE0EEEvT1_,comdat
	.protected	_ZN7rocprim17ROCPRIM_400000_NS6detail17trampoline_kernelINS0_14default_configENS1_25partition_config_selectorILNS1_17partition_subalgoE6EjNS0_10empty_typeEbEEZZNS1_14partition_implILS5_6ELb0ES3_mN6thrust23THRUST_200600_302600_NS6detail15normal_iteratorINSA_10device_ptrIjEEEEPS6_SG_NS0_5tupleIJSF_S6_EEENSH_IJSG_SG_EEES6_PlJNSB_9not_fun_tINSB_10functional5actorINSM_9compositeIJNSM_27transparent_binary_operatorINSA_8equal_toIvEEEENSN_INSM_8argumentILj0EEEEENSM_5valueIjEEEEEEEEEEEE10hipError_tPvRmT3_T4_T5_T6_T7_T9_mT8_P12ihipStream_tbDpT10_ENKUlT_T0_E_clISt17integral_constantIbLb1EES1K_EEDaS1F_S1G_EUlS1F_E_NS1_11comp_targetILNS1_3genE4ELNS1_11target_archE910ELNS1_3gpuE8ELNS1_3repE0EEENS1_30default_config_static_selectorELNS0_4arch9wavefront6targetE0EEEvT1_ ; -- Begin function _ZN7rocprim17ROCPRIM_400000_NS6detail17trampoline_kernelINS0_14default_configENS1_25partition_config_selectorILNS1_17partition_subalgoE6EjNS0_10empty_typeEbEEZZNS1_14partition_implILS5_6ELb0ES3_mN6thrust23THRUST_200600_302600_NS6detail15normal_iteratorINSA_10device_ptrIjEEEEPS6_SG_NS0_5tupleIJSF_S6_EEENSH_IJSG_SG_EEES6_PlJNSB_9not_fun_tINSB_10functional5actorINSM_9compositeIJNSM_27transparent_binary_operatorINSA_8equal_toIvEEEENSN_INSM_8argumentILj0EEEEENSM_5valueIjEEEEEEEEEEEE10hipError_tPvRmT3_T4_T5_T6_T7_T9_mT8_P12ihipStream_tbDpT10_ENKUlT_T0_E_clISt17integral_constantIbLb1EES1K_EEDaS1F_S1G_EUlS1F_E_NS1_11comp_targetILNS1_3genE4ELNS1_11target_archE910ELNS1_3gpuE8ELNS1_3repE0EEENS1_30default_config_static_selectorELNS0_4arch9wavefront6targetE0EEEvT1_
	.globl	_ZN7rocprim17ROCPRIM_400000_NS6detail17trampoline_kernelINS0_14default_configENS1_25partition_config_selectorILNS1_17partition_subalgoE6EjNS0_10empty_typeEbEEZZNS1_14partition_implILS5_6ELb0ES3_mN6thrust23THRUST_200600_302600_NS6detail15normal_iteratorINSA_10device_ptrIjEEEEPS6_SG_NS0_5tupleIJSF_S6_EEENSH_IJSG_SG_EEES6_PlJNSB_9not_fun_tINSB_10functional5actorINSM_9compositeIJNSM_27transparent_binary_operatorINSA_8equal_toIvEEEENSN_INSM_8argumentILj0EEEEENSM_5valueIjEEEEEEEEEEEE10hipError_tPvRmT3_T4_T5_T6_T7_T9_mT8_P12ihipStream_tbDpT10_ENKUlT_T0_E_clISt17integral_constantIbLb1EES1K_EEDaS1F_S1G_EUlS1F_E_NS1_11comp_targetILNS1_3genE4ELNS1_11target_archE910ELNS1_3gpuE8ELNS1_3repE0EEENS1_30default_config_static_selectorELNS0_4arch9wavefront6targetE0EEEvT1_
	.p2align	8
	.type	_ZN7rocprim17ROCPRIM_400000_NS6detail17trampoline_kernelINS0_14default_configENS1_25partition_config_selectorILNS1_17partition_subalgoE6EjNS0_10empty_typeEbEEZZNS1_14partition_implILS5_6ELb0ES3_mN6thrust23THRUST_200600_302600_NS6detail15normal_iteratorINSA_10device_ptrIjEEEEPS6_SG_NS0_5tupleIJSF_S6_EEENSH_IJSG_SG_EEES6_PlJNSB_9not_fun_tINSB_10functional5actorINSM_9compositeIJNSM_27transparent_binary_operatorINSA_8equal_toIvEEEENSN_INSM_8argumentILj0EEEEENSM_5valueIjEEEEEEEEEEEE10hipError_tPvRmT3_T4_T5_T6_T7_T9_mT8_P12ihipStream_tbDpT10_ENKUlT_T0_E_clISt17integral_constantIbLb1EES1K_EEDaS1F_S1G_EUlS1F_E_NS1_11comp_targetILNS1_3genE4ELNS1_11target_archE910ELNS1_3gpuE8ELNS1_3repE0EEENS1_30default_config_static_selectorELNS0_4arch9wavefront6targetE0EEEvT1_,@function
_ZN7rocprim17ROCPRIM_400000_NS6detail17trampoline_kernelINS0_14default_configENS1_25partition_config_selectorILNS1_17partition_subalgoE6EjNS0_10empty_typeEbEEZZNS1_14partition_implILS5_6ELb0ES3_mN6thrust23THRUST_200600_302600_NS6detail15normal_iteratorINSA_10device_ptrIjEEEEPS6_SG_NS0_5tupleIJSF_S6_EEENSH_IJSG_SG_EEES6_PlJNSB_9not_fun_tINSB_10functional5actorINSM_9compositeIJNSM_27transparent_binary_operatorINSA_8equal_toIvEEEENSN_INSM_8argumentILj0EEEEENSM_5valueIjEEEEEEEEEEEE10hipError_tPvRmT3_T4_T5_T6_T7_T9_mT8_P12ihipStream_tbDpT10_ENKUlT_T0_E_clISt17integral_constantIbLb1EES1K_EEDaS1F_S1G_EUlS1F_E_NS1_11comp_targetILNS1_3genE4ELNS1_11target_archE910ELNS1_3gpuE8ELNS1_3repE0EEENS1_30default_config_static_selectorELNS0_4arch9wavefront6targetE0EEEvT1_: ; @_ZN7rocprim17ROCPRIM_400000_NS6detail17trampoline_kernelINS0_14default_configENS1_25partition_config_selectorILNS1_17partition_subalgoE6EjNS0_10empty_typeEbEEZZNS1_14partition_implILS5_6ELb0ES3_mN6thrust23THRUST_200600_302600_NS6detail15normal_iteratorINSA_10device_ptrIjEEEEPS6_SG_NS0_5tupleIJSF_S6_EEENSH_IJSG_SG_EEES6_PlJNSB_9not_fun_tINSB_10functional5actorINSM_9compositeIJNSM_27transparent_binary_operatorINSA_8equal_toIvEEEENSN_INSM_8argumentILj0EEEEENSM_5valueIjEEEEEEEEEEEE10hipError_tPvRmT3_T4_T5_T6_T7_T9_mT8_P12ihipStream_tbDpT10_ENKUlT_T0_E_clISt17integral_constantIbLb1EES1K_EEDaS1F_S1G_EUlS1F_E_NS1_11comp_targetILNS1_3genE4ELNS1_11target_archE910ELNS1_3gpuE8ELNS1_3repE0EEENS1_30default_config_static_selectorELNS0_4arch9wavefront6targetE0EEEvT1_
; %bb.0:
	.section	.rodata,"a",@progbits
	.p2align	6, 0x0
	.amdhsa_kernel _ZN7rocprim17ROCPRIM_400000_NS6detail17trampoline_kernelINS0_14default_configENS1_25partition_config_selectorILNS1_17partition_subalgoE6EjNS0_10empty_typeEbEEZZNS1_14partition_implILS5_6ELb0ES3_mN6thrust23THRUST_200600_302600_NS6detail15normal_iteratorINSA_10device_ptrIjEEEEPS6_SG_NS0_5tupleIJSF_S6_EEENSH_IJSG_SG_EEES6_PlJNSB_9not_fun_tINSB_10functional5actorINSM_9compositeIJNSM_27transparent_binary_operatorINSA_8equal_toIvEEEENSN_INSM_8argumentILj0EEEEENSM_5valueIjEEEEEEEEEEEE10hipError_tPvRmT3_T4_T5_T6_T7_T9_mT8_P12ihipStream_tbDpT10_ENKUlT_T0_E_clISt17integral_constantIbLb1EES1K_EEDaS1F_S1G_EUlS1F_E_NS1_11comp_targetILNS1_3genE4ELNS1_11target_archE910ELNS1_3gpuE8ELNS1_3repE0EEENS1_30default_config_static_selectorELNS0_4arch9wavefront6targetE0EEEvT1_
		.amdhsa_group_segment_fixed_size 0
		.amdhsa_private_segment_fixed_size 0
		.amdhsa_kernarg_size 128
		.amdhsa_user_sgpr_count 2
		.amdhsa_user_sgpr_dispatch_ptr 0
		.amdhsa_user_sgpr_queue_ptr 0
		.amdhsa_user_sgpr_kernarg_segment_ptr 1
		.amdhsa_user_sgpr_dispatch_id 0
		.amdhsa_user_sgpr_private_segment_size 0
		.amdhsa_wavefront_size32 1
		.amdhsa_uses_dynamic_stack 0
		.amdhsa_enable_private_segment 0
		.amdhsa_system_sgpr_workgroup_id_x 1
		.amdhsa_system_sgpr_workgroup_id_y 0
		.amdhsa_system_sgpr_workgroup_id_z 0
		.amdhsa_system_sgpr_workgroup_info 0
		.amdhsa_system_vgpr_workitem_id 0
		.amdhsa_next_free_vgpr 1
		.amdhsa_next_free_sgpr 1
		.amdhsa_reserve_vcc 0
		.amdhsa_float_round_mode_32 0
		.amdhsa_float_round_mode_16_64 0
		.amdhsa_float_denorm_mode_32 3
		.amdhsa_float_denorm_mode_16_64 3
		.amdhsa_fp16_overflow 0
		.amdhsa_workgroup_processor_mode 1
		.amdhsa_memory_ordered 1
		.amdhsa_forward_progress 1
		.amdhsa_inst_pref_size 0
		.amdhsa_round_robin_scheduling 0
		.amdhsa_exception_fp_ieee_invalid_op 0
		.amdhsa_exception_fp_denorm_src 0
		.amdhsa_exception_fp_ieee_div_zero 0
		.amdhsa_exception_fp_ieee_overflow 0
		.amdhsa_exception_fp_ieee_underflow 0
		.amdhsa_exception_fp_ieee_inexact 0
		.amdhsa_exception_int_div_zero 0
	.end_amdhsa_kernel
	.section	.text._ZN7rocprim17ROCPRIM_400000_NS6detail17trampoline_kernelINS0_14default_configENS1_25partition_config_selectorILNS1_17partition_subalgoE6EjNS0_10empty_typeEbEEZZNS1_14partition_implILS5_6ELb0ES3_mN6thrust23THRUST_200600_302600_NS6detail15normal_iteratorINSA_10device_ptrIjEEEEPS6_SG_NS0_5tupleIJSF_S6_EEENSH_IJSG_SG_EEES6_PlJNSB_9not_fun_tINSB_10functional5actorINSM_9compositeIJNSM_27transparent_binary_operatorINSA_8equal_toIvEEEENSN_INSM_8argumentILj0EEEEENSM_5valueIjEEEEEEEEEEEE10hipError_tPvRmT3_T4_T5_T6_T7_T9_mT8_P12ihipStream_tbDpT10_ENKUlT_T0_E_clISt17integral_constantIbLb1EES1K_EEDaS1F_S1G_EUlS1F_E_NS1_11comp_targetILNS1_3genE4ELNS1_11target_archE910ELNS1_3gpuE8ELNS1_3repE0EEENS1_30default_config_static_selectorELNS0_4arch9wavefront6targetE0EEEvT1_,"axG",@progbits,_ZN7rocprim17ROCPRIM_400000_NS6detail17trampoline_kernelINS0_14default_configENS1_25partition_config_selectorILNS1_17partition_subalgoE6EjNS0_10empty_typeEbEEZZNS1_14partition_implILS5_6ELb0ES3_mN6thrust23THRUST_200600_302600_NS6detail15normal_iteratorINSA_10device_ptrIjEEEEPS6_SG_NS0_5tupleIJSF_S6_EEENSH_IJSG_SG_EEES6_PlJNSB_9not_fun_tINSB_10functional5actorINSM_9compositeIJNSM_27transparent_binary_operatorINSA_8equal_toIvEEEENSN_INSM_8argumentILj0EEEEENSM_5valueIjEEEEEEEEEEEE10hipError_tPvRmT3_T4_T5_T6_T7_T9_mT8_P12ihipStream_tbDpT10_ENKUlT_T0_E_clISt17integral_constantIbLb1EES1K_EEDaS1F_S1G_EUlS1F_E_NS1_11comp_targetILNS1_3genE4ELNS1_11target_archE910ELNS1_3gpuE8ELNS1_3repE0EEENS1_30default_config_static_selectorELNS0_4arch9wavefront6targetE0EEEvT1_,comdat
.Lfunc_end123:
	.size	_ZN7rocprim17ROCPRIM_400000_NS6detail17trampoline_kernelINS0_14default_configENS1_25partition_config_selectorILNS1_17partition_subalgoE6EjNS0_10empty_typeEbEEZZNS1_14partition_implILS5_6ELb0ES3_mN6thrust23THRUST_200600_302600_NS6detail15normal_iteratorINSA_10device_ptrIjEEEEPS6_SG_NS0_5tupleIJSF_S6_EEENSH_IJSG_SG_EEES6_PlJNSB_9not_fun_tINSB_10functional5actorINSM_9compositeIJNSM_27transparent_binary_operatorINSA_8equal_toIvEEEENSN_INSM_8argumentILj0EEEEENSM_5valueIjEEEEEEEEEEEE10hipError_tPvRmT3_T4_T5_T6_T7_T9_mT8_P12ihipStream_tbDpT10_ENKUlT_T0_E_clISt17integral_constantIbLb1EES1K_EEDaS1F_S1G_EUlS1F_E_NS1_11comp_targetILNS1_3genE4ELNS1_11target_archE910ELNS1_3gpuE8ELNS1_3repE0EEENS1_30default_config_static_selectorELNS0_4arch9wavefront6targetE0EEEvT1_, .Lfunc_end123-_ZN7rocprim17ROCPRIM_400000_NS6detail17trampoline_kernelINS0_14default_configENS1_25partition_config_selectorILNS1_17partition_subalgoE6EjNS0_10empty_typeEbEEZZNS1_14partition_implILS5_6ELb0ES3_mN6thrust23THRUST_200600_302600_NS6detail15normal_iteratorINSA_10device_ptrIjEEEEPS6_SG_NS0_5tupleIJSF_S6_EEENSH_IJSG_SG_EEES6_PlJNSB_9not_fun_tINSB_10functional5actorINSM_9compositeIJNSM_27transparent_binary_operatorINSA_8equal_toIvEEEENSN_INSM_8argumentILj0EEEEENSM_5valueIjEEEEEEEEEEEE10hipError_tPvRmT3_T4_T5_T6_T7_T9_mT8_P12ihipStream_tbDpT10_ENKUlT_T0_E_clISt17integral_constantIbLb1EES1K_EEDaS1F_S1G_EUlS1F_E_NS1_11comp_targetILNS1_3genE4ELNS1_11target_archE910ELNS1_3gpuE8ELNS1_3repE0EEENS1_30default_config_static_selectorELNS0_4arch9wavefront6targetE0EEEvT1_
                                        ; -- End function
	.set _ZN7rocprim17ROCPRIM_400000_NS6detail17trampoline_kernelINS0_14default_configENS1_25partition_config_selectorILNS1_17partition_subalgoE6EjNS0_10empty_typeEbEEZZNS1_14partition_implILS5_6ELb0ES3_mN6thrust23THRUST_200600_302600_NS6detail15normal_iteratorINSA_10device_ptrIjEEEEPS6_SG_NS0_5tupleIJSF_S6_EEENSH_IJSG_SG_EEES6_PlJNSB_9not_fun_tINSB_10functional5actorINSM_9compositeIJNSM_27transparent_binary_operatorINSA_8equal_toIvEEEENSN_INSM_8argumentILj0EEEEENSM_5valueIjEEEEEEEEEEEE10hipError_tPvRmT3_T4_T5_T6_T7_T9_mT8_P12ihipStream_tbDpT10_ENKUlT_T0_E_clISt17integral_constantIbLb1EES1K_EEDaS1F_S1G_EUlS1F_E_NS1_11comp_targetILNS1_3genE4ELNS1_11target_archE910ELNS1_3gpuE8ELNS1_3repE0EEENS1_30default_config_static_selectorELNS0_4arch9wavefront6targetE0EEEvT1_.num_vgpr, 0
	.set _ZN7rocprim17ROCPRIM_400000_NS6detail17trampoline_kernelINS0_14default_configENS1_25partition_config_selectorILNS1_17partition_subalgoE6EjNS0_10empty_typeEbEEZZNS1_14partition_implILS5_6ELb0ES3_mN6thrust23THRUST_200600_302600_NS6detail15normal_iteratorINSA_10device_ptrIjEEEEPS6_SG_NS0_5tupleIJSF_S6_EEENSH_IJSG_SG_EEES6_PlJNSB_9not_fun_tINSB_10functional5actorINSM_9compositeIJNSM_27transparent_binary_operatorINSA_8equal_toIvEEEENSN_INSM_8argumentILj0EEEEENSM_5valueIjEEEEEEEEEEEE10hipError_tPvRmT3_T4_T5_T6_T7_T9_mT8_P12ihipStream_tbDpT10_ENKUlT_T0_E_clISt17integral_constantIbLb1EES1K_EEDaS1F_S1G_EUlS1F_E_NS1_11comp_targetILNS1_3genE4ELNS1_11target_archE910ELNS1_3gpuE8ELNS1_3repE0EEENS1_30default_config_static_selectorELNS0_4arch9wavefront6targetE0EEEvT1_.num_agpr, 0
	.set _ZN7rocprim17ROCPRIM_400000_NS6detail17trampoline_kernelINS0_14default_configENS1_25partition_config_selectorILNS1_17partition_subalgoE6EjNS0_10empty_typeEbEEZZNS1_14partition_implILS5_6ELb0ES3_mN6thrust23THRUST_200600_302600_NS6detail15normal_iteratorINSA_10device_ptrIjEEEEPS6_SG_NS0_5tupleIJSF_S6_EEENSH_IJSG_SG_EEES6_PlJNSB_9not_fun_tINSB_10functional5actorINSM_9compositeIJNSM_27transparent_binary_operatorINSA_8equal_toIvEEEENSN_INSM_8argumentILj0EEEEENSM_5valueIjEEEEEEEEEEEE10hipError_tPvRmT3_T4_T5_T6_T7_T9_mT8_P12ihipStream_tbDpT10_ENKUlT_T0_E_clISt17integral_constantIbLb1EES1K_EEDaS1F_S1G_EUlS1F_E_NS1_11comp_targetILNS1_3genE4ELNS1_11target_archE910ELNS1_3gpuE8ELNS1_3repE0EEENS1_30default_config_static_selectorELNS0_4arch9wavefront6targetE0EEEvT1_.numbered_sgpr, 0
	.set _ZN7rocprim17ROCPRIM_400000_NS6detail17trampoline_kernelINS0_14default_configENS1_25partition_config_selectorILNS1_17partition_subalgoE6EjNS0_10empty_typeEbEEZZNS1_14partition_implILS5_6ELb0ES3_mN6thrust23THRUST_200600_302600_NS6detail15normal_iteratorINSA_10device_ptrIjEEEEPS6_SG_NS0_5tupleIJSF_S6_EEENSH_IJSG_SG_EEES6_PlJNSB_9not_fun_tINSB_10functional5actorINSM_9compositeIJNSM_27transparent_binary_operatorINSA_8equal_toIvEEEENSN_INSM_8argumentILj0EEEEENSM_5valueIjEEEEEEEEEEEE10hipError_tPvRmT3_T4_T5_T6_T7_T9_mT8_P12ihipStream_tbDpT10_ENKUlT_T0_E_clISt17integral_constantIbLb1EES1K_EEDaS1F_S1G_EUlS1F_E_NS1_11comp_targetILNS1_3genE4ELNS1_11target_archE910ELNS1_3gpuE8ELNS1_3repE0EEENS1_30default_config_static_selectorELNS0_4arch9wavefront6targetE0EEEvT1_.num_named_barrier, 0
	.set _ZN7rocprim17ROCPRIM_400000_NS6detail17trampoline_kernelINS0_14default_configENS1_25partition_config_selectorILNS1_17partition_subalgoE6EjNS0_10empty_typeEbEEZZNS1_14partition_implILS5_6ELb0ES3_mN6thrust23THRUST_200600_302600_NS6detail15normal_iteratorINSA_10device_ptrIjEEEEPS6_SG_NS0_5tupleIJSF_S6_EEENSH_IJSG_SG_EEES6_PlJNSB_9not_fun_tINSB_10functional5actorINSM_9compositeIJNSM_27transparent_binary_operatorINSA_8equal_toIvEEEENSN_INSM_8argumentILj0EEEEENSM_5valueIjEEEEEEEEEEEE10hipError_tPvRmT3_T4_T5_T6_T7_T9_mT8_P12ihipStream_tbDpT10_ENKUlT_T0_E_clISt17integral_constantIbLb1EES1K_EEDaS1F_S1G_EUlS1F_E_NS1_11comp_targetILNS1_3genE4ELNS1_11target_archE910ELNS1_3gpuE8ELNS1_3repE0EEENS1_30default_config_static_selectorELNS0_4arch9wavefront6targetE0EEEvT1_.private_seg_size, 0
	.set _ZN7rocprim17ROCPRIM_400000_NS6detail17trampoline_kernelINS0_14default_configENS1_25partition_config_selectorILNS1_17partition_subalgoE6EjNS0_10empty_typeEbEEZZNS1_14partition_implILS5_6ELb0ES3_mN6thrust23THRUST_200600_302600_NS6detail15normal_iteratorINSA_10device_ptrIjEEEEPS6_SG_NS0_5tupleIJSF_S6_EEENSH_IJSG_SG_EEES6_PlJNSB_9not_fun_tINSB_10functional5actorINSM_9compositeIJNSM_27transparent_binary_operatorINSA_8equal_toIvEEEENSN_INSM_8argumentILj0EEEEENSM_5valueIjEEEEEEEEEEEE10hipError_tPvRmT3_T4_T5_T6_T7_T9_mT8_P12ihipStream_tbDpT10_ENKUlT_T0_E_clISt17integral_constantIbLb1EES1K_EEDaS1F_S1G_EUlS1F_E_NS1_11comp_targetILNS1_3genE4ELNS1_11target_archE910ELNS1_3gpuE8ELNS1_3repE0EEENS1_30default_config_static_selectorELNS0_4arch9wavefront6targetE0EEEvT1_.uses_vcc, 0
	.set _ZN7rocprim17ROCPRIM_400000_NS6detail17trampoline_kernelINS0_14default_configENS1_25partition_config_selectorILNS1_17partition_subalgoE6EjNS0_10empty_typeEbEEZZNS1_14partition_implILS5_6ELb0ES3_mN6thrust23THRUST_200600_302600_NS6detail15normal_iteratorINSA_10device_ptrIjEEEEPS6_SG_NS0_5tupleIJSF_S6_EEENSH_IJSG_SG_EEES6_PlJNSB_9not_fun_tINSB_10functional5actorINSM_9compositeIJNSM_27transparent_binary_operatorINSA_8equal_toIvEEEENSN_INSM_8argumentILj0EEEEENSM_5valueIjEEEEEEEEEEEE10hipError_tPvRmT3_T4_T5_T6_T7_T9_mT8_P12ihipStream_tbDpT10_ENKUlT_T0_E_clISt17integral_constantIbLb1EES1K_EEDaS1F_S1G_EUlS1F_E_NS1_11comp_targetILNS1_3genE4ELNS1_11target_archE910ELNS1_3gpuE8ELNS1_3repE0EEENS1_30default_config_static_selectorELNS0_4arch9wavefront6targetE0EEEvT1_.uses_flat_scratch, 0
	.set _ZN7rocprim17ROCPRIM_400000_NS6detail17trampoline_kernelINS0_14default_configENS1_25partition_config_selectorILNS1_17partition_subalgoE6EjNS0_10empty_typeEbEEZZNS1_14partition_implILS5_6ELb0ES3_mN6thrust23THRUST_200600_302600_NS6detail15normal_iteratorINSA_10device_ptrIjEEEEPS6_SG_NS0_5tupleIJSF_S6_EEENSH_IJSG_SG_EEES6_PlJNSB_9not_fun_tINSB_10functional5actorINSM_9compositeIJNSM_27transparent_binary_operatorINSA_8equal_toIvEEEENSN_INSM_8argumentILj0EEEEENSM_5valueIjEEEEEEEEEEEE10hipError_tPvRmT3_T4_T5_T6_T7_T9_mT8_P12ihipStream_tbDpT10_ENKUlT_T0_E_clISt17integral_constantIbLb1EES1K_EEDaS1F_S1G_EUlS1F_E_NS1_11comp_targetILNS1_3genE4ELNS1_11target_archE910ELNS1_3gpuE8ELNS1_3repE0EEENS1_30default_config_static_selectorELNS0_4arch9wavefront6targetE0EEEvT1_.has_dyn_sized_stack, 0
	.set _ZN7rocprim17ROCPRIM_400000_NS6detail17trampoline_kernelINS0_14default_configENS1_25partition_config_selectorILNS1_17partition_subalgoE6EjNS0_10empty_typeEbEEZZNS1_14partition_implILS5_6ELb0ES3_mN6thrust23THRUST_200600_302600_NS6detail15normal_iteratorINSA_10device_ptrIjEEEEPS6_SG_NS0_5tupleIJSF_S6_EEENSH_IJSG_SG_EEES6_PlJNSB_9not_fun_tINSB_10functional5actorINSM_9compositeIJNSM_27transparent_binary_operatorINSA_8equal_toIvEEEENSN_INSM_8argumentILj0EEEEENSM_5valueIjEEEEEEEEEEEE10hipError_tPvRmT3_T4_T5_T6_T7_T9_mT8_P12ihipStream_tbDpT10_ENKUlT_T0_E_clISt17integral_constantIbLb1EES1K_EEDaS1F_S1G_EUlS1F_E_NS1_11comp_targetILNS1_3genE4ELNS1_11target_archE910ELNS1_3gpuE8ELNS1_3repE0EEENS1_30default_config_static_selectorELNS0_4arch9wavefront6targetE0EEEvT1_.has_recursion, 0
	.set _ZN7rocprim17ROCPRIM_400000_NS6detail17trampoline_kernelINS0_14default_configENS1_25partition_config_selectorILNS1_17partition_subalgoE6EjNS0_10empty_typeEbEEZZNS1_14partition_implILS5_6ELb0ES3_mN6thrust23THRUST_200600_302600_NS6detail15normal_iteratorINSA_10device_ptrIjEEEEPS6_SG_NS0_5tupleIJSF_S6_EEENSH_IJSG_SG_EEES6_PlJNSB_9not_fun_tINSB_10functional5actorINSM_9compositeIJNSM_27transparent_binary_operatorINSA_8equal_toIvEEEENSN_INSM_8argumentILj0EEEEENSM_5valueIjEEEEEEEEEEEE10hipError_tPvRmT3_T4_T5_T6_T7_T9_mT8_P12ihipStream_tbDpT10_ENKUlT_T0_E_clISt17integral_constantIbLb1EES1K_EEDaS1F_S1G_EUlS1F_E_NS1_11comp_targetILNS1_3genE4ELNS1_11target_archE910ELNS1_3gpuE8ELNS1_3repE0EEENS1_30default_config_static_selectorELNS0_4arch9wavefront6targetE0EEEvT1_.has_indirect_call, 0
	.section	.AMDGPU.csdata,"",@progbits
; Kernel info:
; codeLenInByte = 0
; TotalNumSgprs: 0
; NumVgprs: 0
; ScratchSize: 0
; MemoryBound: 0
; FloatMode: 240
; IeeeMode: 1
; LDSByteSize: 0 bytes/workgroup (compile time only)
; SGPRBlocks: 0
; VGPRBlocks: 0
; NumSGPRsForWavesPerEU: 1
; NumVGPRsForWavesPerEU: 1
; Occupancy: 16
; WaveLimiterHint : 0
; COMPUTE_PGM_RSRC2:SCRATCH_EN: 0
; COMPUTE_PGM_RSRC2:USER_SGPR: 2
; COMPUTE_PGM_RSRC2:TRAP_HANDLER: 0
; COMPUTE_PGM_RSRC2:TGID_X_EN: 1
; COMPUTE_PGM_RSRC2:TGID_Y_EN: 0
; COMPUTE_PGM_RSRC2:TGID_Z_EN: 0
; COMPUTE_PGM_RSRC2:TIDIG_COMP_CNT: 0
	.section	.text._ZN7rocprim17ROCPRIM_400000_NS6detail17trampoline_kernelINS0_14default_configENS1_25partition_config_selectorILNS1_17partition_subalgoE6EjNS0_10empty_typeEbEEZZNS1_14partition_implILS5_6ELb0ES3_mN6thrust23THRUST_200600_302600_NS6detail15normal_iteratorINSA_10device_ptrIjEEEEPS6_SG_NS0_5tupleIJSF_S6_EEENSH_IJSG_SG_EEES6_PlJNSB_9not_fun_tINSB_10functional5actorINSM_9compositeIJNSM_27transparent_binary_operatorINSA_8equal_toIvEEEENSN_INSM_8argumentILj0EEEEENSM_5valueIjEEEEEEEEEEEE10hipError_tPvRmT3_T4_T5_T6_T7_T9_mT8_P12ihipStream_tbDpT10_ENKUlT_T0_E_clISt17integral_constantIbLb1EES1K_EEDaS1F_S1G_EUlS1F_E_NS1_11comp_targetILNS1_3genE3ELNS1_11target_archE908ELNS1_3gpuE7ELNS1_3repE0EEENS1_30default_config_static_selectorELNS0_4arch9wavefront6targetE0EEEvT1_,"axG",@progbits,_ZN7rocprim17ROCPRIM_400000_NS6detail17trampoline_kernelINS0_14default_configENS1_25partition_config_selectorILNS1_17partition_subalgoE6EjNS0_10empty_typeEbEEZZNS1_14partition_implILS5_6ELb0ES3_mN6thrust23THRUST_200600_302600_NS6detail15normal_iteratorINSA_10device_ptrIjEEEEPS6_SG_NS0_5tupleIJSF_S6_EEENSH_IJSG_SG_EEES6_PlJNSB_9not_fun_tINSB_10functional5actorINSM_9compositeIJNSM_27transparent_binary_operatorINSA_8equal_toIvEEEENSN_INSM_8argumentILj0EEEEENSM_5valueIjEEEEEEEEEEEE10hipError_tPvRmT3_T4_T5_T6_T7_T9_mT8_P12ihipStream_tbDpT10_ENKUlT_T0_E_clISt17integral_constantIbLb1EES1K_EEDaS1F_S1G_EUlS1F_E_NS1_11comp_targetILNS1_3genE3ELNS1_11target_archE908ELNS1_3gpuE7ELNS1_3repE0EEENS1_30default_config_static_selectorELNS0_4arch9wavefront6targetE0EEEvT1_,comdat
	.protected	_ZN7rocprim17ROCPRIM_400000_NS6detail17trampoline_kernelINS0_14default_configENS1_25partition_config_selectorILNS1_17partition_subalgoE6EjNS0_10empty_typeEbEEZZNS1_14partition_implILS5_6ELb0ES3_mN6thrust23THRUST_200600_302600_NS6detail15normal_iteratorINSA_10device_ptrIjEEEEPS6_SG_NS0_5tupleIJSF_S6_EEENSH_IJSG_SG_EEES6_PlJNSB_9not_fun_tINSB_10functional5actorINSM_9compositeIJNSM_27transparent_binary_operatorINSA_8equal_toIvEEEENSN_INSM_8argumentILj0EEEEENSM_5valueIjEEEEEEEEEEEE10hipError_tPvRmT3_T4_T5_T6_T7_T9_mT8_P12ihipStream_tbDpT10_ENKUlT_T0_E_clISt17integral_constantIbLb1EES1K_EEDaS1F_S1G_EUlS1F_E_NS1_11comp_targetILNS1_3genE3ELNS1_11target_archE908ELNS1_3gpuE7ELNS1_3repE0EEENS1_30default_config_static_selectorELNS0_4arch9wavefront6targetE0EEEvT1_ ; -- Begin function _ZN7rocprim17ROCPRIM_400000_NS6detail17trampoline_kernelINS0_14default_configENS1_25partition_config_selectorILNS1_17partition_subalgoE6EjNS0_10empty_typeEbEEZZNS1_14partition_implILS5_6ELb0ES3_mN6thrust23THRUST_200600_302600_NS6detail15normal_iteratorINSA_10device_ptrIjEEEEPS6_SG_NS0_5tupleIJSF_S6_EEENSH_IJSG_SG_EEES6_PlJNSB_9not_fun_tINSB_10functional5actorINSM_9compositeIJNSM_27transparent_binary_operatorINSA_8equal_toIvEEEENSN_INSM_8argumentILj0EEEEENSM_5valueIjEEEEEEEEEEEE10hipError_tPvRmT3_T4_T5_T6_T7_T9_mT8_P12ihipStream_tbDpT10_ENKUlT_T0_E_clISt17integral_constantIbLb1EES1K_EEDaS1F_S1G_EUlS1F_E_NS1_11comp_targetILNS1_3genE3ELNS1_11target_archE908ELNS1_3gpuE7ELNS1_3repE0EEENS1_30default_config_static_selectorELNS0_4arch9wavefront6targetE0EEEvT1_
	.globl	_ZN7rocprim17ROCPRIM_400000_NS6detail17trampoline_kernelINS0_14default_configENS1_25partition_config_selectorILNS1_17partition_subalgoE6EjNS0_10empty_typeEbEEZZNS1_14partition_implILS5_6ELb0ES3_mN6thrust23THRUST_200600_302600_NS6detail15normal_iteratorINSA_10device_ptrIjEEEEPS6_SG_NS0_5tupleIJSF_S6_EEENSH_IJSG_SG_EEES6_PlJNSB_9not_fun_tINSB_10functional5actorINSM_9compositeIJNSM_27transparent_binary_operatorINSA_8equal_toIvEEEENSN_INSM_8argumentILj0EEEEENSM_5valueIjEEEEEEEEEEEE10hipError_tPvRmT3_T4_T5_T6_T7_T9_mT8_P12ihipStream_tbDpT10_ENKUlT_T0_E_clISt17integral_constantIbLb1EES1K_EEDaS1F_S1G_EUlS1F_E_NS1_11comp_targetILNS1_3genE3ELNS1_11target_archE908ELNS1_3gpuE7ELNS1_3repE0EEENS1_30default_config_static_selectorELNS0_4arch9wavefront6targetE0EEEvT1_
	.p2align	8
	.type	_ZN7rocprim17ROCPRIM_400000_NS6detail17trampoline_kernelINS0_14default_configENS1_25partition_config_selectorILNS1_17partition_subalgoE6EjNS0_10empty_typeEbEEZZNS1_14partition_implILS5_6ELb0ES3_mN6thrust23THRUST_200600_302600_NS6detail15normal_iteratorINSA_10device_ptrIjEEEEPS6_SG_NS0_5tupleIJSF_S6_EEENSH_IJSG_SG_EEES6_PlJNSB_9not_fun_tINSB_10functional5actorINSM_9compositeIJNSM_27transparent_binary_operatorINSA_8equal_toIvEEEENSN_INSM_8argumentILj0EEEEENSM_5valueIjEEEEEEEEEEEE10hipError_tPvRmT3_T4_T5_T6_T7_T9_mT8_P12ihipStream_tbDpT10_ENKUlT_T0_E_clISt17integral_constantIbLb1EES1K_EEDaS1F_S1G_EUlS1F_E_NS1_11comp_targetILNS1_3genE3ELNS1_11target_archE908ELNS1_3gpuE7ELNS1_3repE0EEENS1_30default_config_static_selectorELNS0_4arch9wavefront6targetE0EEEvT1_,@function
_ZN7rocprim17ROCPRIM_400000_NS6detail17trampoline_kernelINS0_14default_configENS1_25partition_config_selectorILNS1_17partition_subalgoE6EjNS0_10empty_typeEbEEZZNS1_14partition_implILS5_6ELb0ES3_mN6thrust23THRUST_200600_302600_NS6detail15normal_iteratorINSA_10device_ptrIjEEEEPS6_SG_NS0_5tupleIJSF_S6_EEENSH_IJSG_SG_EEES6_PlJNSB_9not_fun_tINSB_10functional5actorINSM_9compositeIJNSM_27transparent_binary_operatorINSA_8equal_toIvEEEENSN_INSM_8argumentILj0EEEEENSM_5valueIjEEEEEEEEEEEE10hipError_tPvRmT3_T4_T5_T6_T7_T9_mT8_P12ihipStream_tbDpT10_ENKUlT_T0_E_clISt17integral_constantIbLb1EES1K_EEDaS1F_S1G_EUlS1F_E_NS1_11comp_targetILNS1_3genE3ELNS1_11target_archE908ELNS1_3gpuE7ELNS1_3repE0EEENS1_30default_config_static_selectorELNS0_4arch9wavefront6targetE0EEEvT1_: ; @_ZN7rocprim17ROCPRIM_400000_NS6detail17trampoline_kernelINS0_14default_configENS1_25partition_config_selectorILNS1_17partition_subalgoE6EjNS0_10empty_typeEbEEZZNS1_14partition_implILS5_6ELb0ES3_mN6thrust23THRUST_200600_302600_NS6detail15normal_iteratorINSA_10device_ptrIjEEEEPS6_SG_NS0_5tupleIJSF_S6_EEENSH_IJSG_SG_EEES6_PlJNSB_9not_fun_tINSB_10functional5actorINSM_9compositeIJNSM_27transparent_binary_operatorINSA_8equal_toIvEEEENSN_INSM_8argumentILj0EEEEENSM_5valueIjEEEEEEEEEEEE10hipError_tPvRmT3_T4_T5_T6_T7_T9_mT8_P12ihipStream_tbDpT10_ENKUlT_T0_E_clISt17integral_constantIbLb1EES1K_EEDaS1F_S1G_EUlS1F_E_NS1_11comp_targetILNS1_3genE3ELNS1_11target_archE908ELNS1_3gpuE7ELNS1_3repE0EEENS1_30default_config_static_selectorELNS0_4arch9wavefront6targetE0EEEvT1_
; %bb.0:
	.section	.rodata,"a",@progbits
	.p2align	6, 0x0
	.amdhsa_kernel _ZN7rocprim17ROCPRIM_400000_NS6detail17trampoline_kernelINS0_14default_configENS1_25partition_config_selectorILNS1_17partition_subalgoE6EjNS0_10empty_typeEbEEZZNS1_14partition_implILS5_6ELb0ES3_mN6thrust23THRUST_200600_302600_NS6detail15normal_iteratorINSA_10device_ptrIjEEEEPS6_SG_NS0_5tupleIJSF_S6_EEENSH_IJSG_SG_EEES6_PlJNSB_9not_fun_tINSB_10functional5actorINSM_9compositeIJNSM_27transparent_binary_operatorINSA_8equal_toIvEEEENSN_INSM_8argumentILj0EEEEENSM_5valueIjEEEEEEEEEEEE10hipError_tPvRmT3_T4_T5_T6_T7_T9_mT8_P12ihipStream_tbDpT10_ENKUlT_T0_E_clISt17integral_constantIbLb1EES1K_EEDaS1F_S1G_EUlS1F_E_NS1_11comp_targetILNS1_3genE3ELNS1_11target_archE908ELNS1_3gpuE7ELNS1_3repE0EEENS1_30default_config_static_selectorELNS0_4arch9wavefront6targetE0EEEvT1_
		.amdhsa_group_segment_fixed_size 0
		.amdhsa_private_segment_fixed_size 0
		.amdhsa_kernarg_size 128
		.amdhsa_user_sgpr_count 2
		.amdhsa_user_sgpr_dispatch_ptr 0
		.amdhsa_user_sgpr_queue_ptr 0
		.amdhsa_user_sgpr_kernarg_segment_ptr 1
		.amdhsa_user_sgpr_dispatch_id 0
		.amdhsa_user_sgpr_private_segment_size 0
		.amdhsa_wavefront_size32 1
		.amdhsa_uses_dynamic_stack 0
		.amdhsa_enable_private_segment 0
		.amdhsa_system_sgpr_workgroup_id_x 1
		.amdhsa_system_sgpr_workgroup_id_y 0
		.amdhsa_system_sgpr_workgroup_id_z 0
		.amdhsa_system_sgpr_workgroup_info 0
		.amdhsa_system_vgpr_workitem_id 0
		.amdhsa_next_free_vgpr 1
		.amdhsa_next_free_sgpr 1
		.amdhsa_reserve_vcc 0
		.amdhsa_float_round_mode_32 0
		.amdhsa_float_round_mode_16_64 0
		.amdhsa_float_denorm_mode_32 3
		.amdhsa_float_denorm_mode_16_64 3
		.amdhsa_fp16_overflow 0
		.amdhsa_workgroup_processor_mode 1
		.amdhsa_memory_ordered 1
		.amdhsa_forward_progress 1
		.amdhsa_inst_pref_size 0
		.amdhsa_round_robin_scheduling 0
		.amdhsa_exception_fp_ieee_invalid_op 0
		.amdhsa_exception_fp_denorm_src 0
		.amdhsa_exception_fp_ieee_div_zero 0
		.amdhsa_exception_fp_ieee_overflow 0
		.amdhsa_exception_fp_ieee_underflow 0
		.amdhsa_exception_fp_ieee_inexact 0
		.amdhsa_exception_int_div_zero 0
	.end_amdhsa_kernel
	.section	.text._ZN7rocprim17ROCPRIM_400000_NS6detail17trampoline_kernelINS0_14default_configENS1_25partition_config_selectorILNS1_17partition_subalgoE6EjNS0_10empty_typeEbEEZZNS1_14partition_implILS5_6ELb0ES3_mN6thrust23THRUST_200600_302600_NS6detail15normal_iteratorINSA_10device_ptrIjEEEEPS6_SG_NS0_5tupleIJSF_S6_EEENSH_IJSG_SG_EEES6_PlJNSB_9not_fun_tINSB_10functional5actorINSM_9compositeIJNSM_27transparent_binary_operatorINSA_8equal_toIvEEEENSN_INSM_8argumentILj0EEEEENSM_5valueIjEEEEEEEEEEEE10hipError_tPvRmT3_T4_T5_T6_T7_T9_mT8_P12ihipStream_tbDpT10_ENKUlT_T0_E_clISt17integral_constantIbLb1EES1K_EEDaS1F_S1G_EUlS1F_E_NS1_11comp_targetILNS1_3genE3ELNS1_11target_archE908ELNS1_3gpuE7ELNS1_3repE0EEENS1_30default_config_static_selectorELNS0_4arch9wavefront6targetE0EEEvT1_,"axG",@progbits,_ZN7rocprim17ROCPRIM_400000_NS6detail17trampoline_kernelINS0_14default_configENS1_25partition_config_selectorILNS1_17partition_subalgoE6EjNS0_10empty_typeEbEEZZNS1_14partition_implILS5_6ELb0ES3_mN6thrust23THRUST_200600_302600_NS6detail15normal_iteratorINSA_10device_ptrIjEEEEPS6_SG_NS0_5tupleIJSF_S6_EEENSH_IJSG_SG_EEES6_PlJNSB_9not_fun_tINSB_10functional5actorINSM_9compositeIJNSM_27transparent_binary_operatorINSA_8equal_toIvEEEENSN_INSM_8argumentILj0EEEEENSM_5valueIjEEEEEEEEEEEE10hipError_tPvRmT3_T4_T5_T6_T7_T9_mT8_P12ihipStream_tbDpT10_ENKUlT_T0_E_clISt17integral_constantIbLb1EES1K_EEDaS1F_S1G_EUlS1F_E_NS1_11comp_targetILNS1_3genE3ELNS1_11target_archE908ELNS1_3gpuE7ELNS1_3repE0EEENS1_30default_config_static_selectorELNS0_4arch9wavefront6targetE0EEEvT1_,comdat
.Lfunc_end124:
	.size	_ZN7rocprim17ROCPRIM_400000_NS6detail17trampoline_kernelINS0_14default_configENS1_25partition_config_selectorILNS1_17partition_subalgoE6EjNS0_10empty_typeEbEEZZNS1_14partition_implILS5_6ELb0ES3_mN6thrust23THRUST_200600_302600_NS6detail15normal_iteratorINSA_10device_ptrIjEEEEPS6_SG_NS0_5tupleIJSF_S6_EEENSH_IJSG_SG_EEES6_PlJNSB_9not_fun_tINSB_10functional5actorINSM_9compositeIJNSM_27transparent_binary_operatorINSA_8equal_toIvEEEENSN_INSM_8argumentILj0EEEEENSM_5valueIjEEEEEEEEEEEE10hipError_tPvRmT3_T4_T5_T6_T7_T9_mT8_P12ihipStream_tbDpT10_ENKUlT_T0_E_clISt17integral_constantIbLb1EES1K_EEDaS1F_S1G_EUlS1F_E_NS1_11comp_targetILNS1_3genE3ELNS1_11target_archE908ELNS1_3gpuE7ELNS1_3repE0EEENS1_30default_config_static_selectorELNS0_4arch9wavefront6targetE0EEEvT1_, .Lfunc_end124-_ZN7rocprim17ROCPRIM_400000_NS6detail17trampoline_kernelINS0_14default_configENS1_25partition_config_selectorILNS1_17partition_subalgoE6EjNS0_10empty_typeEbEEZZNS1_14partition_implILS5_6ELb0ES3_mN6thrust23THRUST_200600_302600_NS6detail15normal_iteratorINSA_10device_ptrIjEEEEPS6_SG_NS0_5tupleIJSF_S6_EEENSH_IJSG_SG_EEES6_PlJNSB_9not_fun_tINSB_10functional5actorINSM_9compositeIJNSM_27transparent_binary_operatorINSA_8equal_toIvEEEENSN_INSM_8argumentILj0EEEEENSM_5valueIjEEEEEEEEEEEE10hipError_tPvRmT3_T4_T5_T6_T7_T9_mT8_P12ihipStream_tbDpT10_ENKUlT_T0_E_clISt17integral_constantIbLb1EES1K_EEDaS1F_S1G_EUlS1F_E_NS1_11comp_targetILNS1_3genE3ELNS1_11target_archE908ELNS1_3gpuE7ELNS1_3repE0EEENS1_30default_config_static_selectorELNS0_4arch9wavefront6targetE0EEEvT1_
                                        ; -- End function
	.set _ZN7rocprim17ROCPRIM_400000_NS6detail17trampoline_kernelINS0_14default_configENS1_25partition_config_selectorILNS1_17partition_subalgoE6EjNS0_10empty_typeEbEEZZNS1_14partition_implILS5_6ELb0ES3_mN6thrust23THRUST_200600_302600_NS6detail15normal_iteratorINSA_10device_ptrIjEEEEPS6_SG_NS0_5tupleIJSF_S6_EEENSH_IJSG_SG_EEES6_PlJNSB_9not_fun_tINSB_10functional5actorINSM_9compositeIJNSM_27transparent_binary_operatorINSA_8equal_toIvEEEENSN_INSM_8argumentILj0EEEEENSM_5valueIjEEEEEEEEEEEE10hipError_tPvRmT3_T4_T5_T6_T7_T9_mT8_P12ihipStream_tbDpT10_ENKUlT_T0_E_clISt17integral_constantIbLb1EES1K_EEDaS1F_S1G_EUlS1F_E_NS1_11comp_targetILNS1_3genE3ELNS1_11target_archE908ELNS1_3gpuE7ELNS1_3repE0EEENS1_30default_config_static_selectorELNS0_4arch9wavefront6targetE0EEEvT1_.num_vgpr, 0
	.set _ZN7rocprim17ROCPRIM_400000_NS6detail17trampoline_kernelINS0_14default_configENS1_25partition_config_selectorILNS1_17partition_subalgoE6EjNS0_10empty_typeEbEEZZNS1_14partition_implILS5_6ELb0ES3_mN6thrust23THRUST_200600_302600_NS6detail15normal_iteratorINSA_10device_ptrIjEEEEPS6_SG_NS0_5tupleIJSF_S6_EEENSH_IJSG_SG_EEES6_PlJNSB_9not_fun_tINSB_10functional5actorINSM_9compositeIJNSM_27transparent_binary_operatorINSA_8equal_toIvEEEENSN_INSM_8argumentILj0EEEEENSM_5valueIjEEEEEEEEEEEE10hipError_tPvRmT3_T4_T5_T6_T7_T9_mT8_P12ihipStream_tbDpT10_ENKUlT_T0_E_clISt17integral_constantIbLb1EES1K_EEDaS1F_S1G_EUlS1F_E_NS1_11comp_targetILNS1_3genE3ELNS1_11target_archE908ELNS1_3gpuE7ELNS1_3repE0EEENS1_30default_config_static_selectorELNS0_4arch9wavefront6targetE0EEEvT1_.num_agpr, 0
	.set _ZN7rocprim17ROCPRIM_400000_NS6detail17trampoline_kernelINS0_14default_configENS1_25partition_config_selectorILNS1_17partition_subalgoE6EjNS0_10empty_typeEbEEZZNS1_14partition_implILS5_6ELb0ES3_mN6thrust23THRUST_200600_302600_NS6detail15normal_iteratorINSA_10device_ptrIjEEEEPS6_SG_NS0_5tupleIJSF_S6_EEENSH_IJSG_SG_EEES6_PlJNSB_9not_fun_tINSB_10functional5actorINSM_9compositeIJNSM_27transparent_binary_operatorINSA_8equal_toIvEEEENSN_INSM_8argumentILj0EEEEENSM_5valueIjEEEEEEEEEEEE10hipError_tPvRmT3_T4_T5_T6_T7_T9_mT8_P12ihipStream_tbDpT10_ENKUlT_T0_E_clISt17integral_constantIbLb1EES1K_EEDaS1F_S1G_EUlS1F_E_NS1_11comp_targetILNS1_3genE3ELNS1_11target_archE908ELNS1_3gpuE7ELNS1_3repE0EEENS1_30default_config_static_selectorELNS0_4arch9wavefront6targetE0EEEvT1_.numbered_sgpr, 0
	.set _ZN7rocprim17ROCPRIM_400000_NS6detail17trampoline_kernelINS0_14default_configENS1_25partition_config_selectorILNS1_17partition_subalgoE6EjNS0_10empty_typeEbEEZZNS1_14partition_implILS5_6ELb0ES3_mN6thrust23THRUST_200600_302600_NS6detail15normal_iteratorINSA_10device_ptrIjEEEEPS6_SG_NS0_5tupleIJSF_S6_EEENSH_IJSG_SG_EEES6_PlJNSB_9not_fun_tINSB_10functional5actorINSM_9compositeIJNSM_27transparent_binary_operatorINSA_8equal_toIvEEEENSN_INSM_8argumentILj0EEEEENSM_5valueIjEEEEEEEEEEEE10hipError_tPvRmT3_T4_T5_T6_T7_T9_mT8_P12ihipStream_tbDpT10_ENKUlT_T0_E_clISt17integral_constantIbLb1EES1K_EEDaS1F_S1G_EUlS1F_E_NS1_11comp_targetILNS1_3genE3ELNS1_11target_archE908ELNS1_3gpuE7ELNS1_3repE0EEENS1_30default_config_static_selectorELNS0_4arch9wavefront6targetE0EEEvT1_.num_named_barrier, 0
	.set _ZN7rocprim17ROCPRIM_400000_NS6detail17trampoline_kernelINS0_14default_configENS1_25partition_config_selectorILNS1_17partition_subalgoE6EjNS0_10empty_typeEbEEZZNS1_14partition_implILS5_6ELb0ES3_mN6thrust23THRUST_200600_302600_NS6detail15normal_iteratorINSA_10device_ptrIjEEEEPS6_SG_NS0_5tupleIJSF_S6_EEENSH_IJSG_SG_EEES6_PlJNSB_9not_fun_tINSB_10functional5actorINSM_9compositeIJNSM_27transparent_binary_operatorINSA_8equal_toIvEEEENSN_INSM_8argumentILj0EEEEENSM_5valueIjEEEEEEEEEEEE10hipError_tPvRmT3_T4_T5_T6_T7_T9_mT8_P12ihipStream_tbDpT10_ENKUlT_T0_E_clISt17integral_constantIbLb1EES1K_EEDaS1F_S1G_EUlS1F_E_NS1_11comp_targetILNS1_3genE3ELNS1_11target_archE908ELNS1_3gpuE7ELNS1_3repE0EEENS1_30default_config_static_selectorELNS0_4arch9wavefront6targetE0EEEvT1_.private_seg_size, 0
	.set _ZN7rocprim17ROCPRIM_400000_NS6detail17trampoline_kernelINS0_14default_configENS1_25partition_config_selectorILNS1_17partition_subalgoE6EjNS0_10empty_typeEbEEZZNS1_14partition_implILS5_6ELb0ES3_mN6thrust23THRUST_200600_302600_NS6detail15normal_iteratorINSA_10device_ptrIjEEEEPS6_SG_NS0_5tupleIJSF_S6_EEENSH_IJSG_SG_EEES6_PlJNSB_9not_fun_tINSB_10functional5actorINSM_9compositeIJNSM_27transparent_binary_operatorINSA_8equal_toIvEEEENSN_INSM_8argumentILj0EEEEENSM_5valueIjEEEEEEEEEEEE10hipError_tPvRmT3_T4_T5_T6_T7_T9_mT8_P12ihipStream_tbDpT10_ENKUlT_T0_E_clISt17integral_constantIbLb1EES1K_EEDaS1F_S1G_EUlS1F_E_NS1_11comp_targetILNS1_3genE3ELNS1_11target_archE908ELNS1_3gpuE7ELNS1_3repE0EEENS1_30default_config_static_selectorELNS0_4arch9wavefront6targetE0EEEvT1_.uses_vcc, 0
	.set _ZN7rocprim17ROCPRIM_400000_NS6detail17trampoline_kernelINS0_14default_configENS1_25partition_config_selectorILNS1_17partition_subalgoE6EjNS0_10empty_typeEbEEZZNS1_14partition_implILS5_6ELb0ES3_mN6thrust23THRUST_200600_302600_NS6detail15normal_iteratorINSA_10device_ptrIjEEEEPS6_SG_NS0_5tupleIJSF_S6_EEENSH_IJSG_SG_EEES6_PlJNSB_9not_fun_tINSB_10functional5actorINSM_9compositeIJNSM_27transparent_binary_operatorINSA_8equal_toIvEEEENSN_INSM_8argumentILj0EEEEENSM_5valueIjEEEEEEEEEEEE10hipError_tPvRmT3_T4_T5_T6_T7_T9_mT8_P12ihipStream_tbDpT10_ENKUlT_T0_E_clISt17integral_constantIbLb1EES1K_EEDaS1F_S1G_EUlS1F_E_NS1_11comp_targetILNS1_3genE3ELNS1_11target_archE908ELNS1_3gpuE7ELNS1_3repE0EEENS1_30default_config_static_selectorELNS0_4arch9wavefront6targetE0EEEvT1_.uses_flat_scratch, 0
	.set _ZN7rocprim17ROCPRIM_400000_NS6detail17trampoline_kernelINS0_14default_configENS1_25partition_config_selectorILNS1_17partition_subalgoE6EjNS0_10empty_typeEbEEZZNS1_14partition_implILS5_6ELb0ES3_mN6thrust23THRUST_200600_302600_NS6detail15normal_iteratorINSA_10device_ptrIjEEEEPS6_SG_NS0_5tupleIJSF_S6_EEENSH_IJSG_SG_EEES6_PlJNSB_9not_fun_tINSB_10functional5actorINSM_9compositeIJNSM_27transparent_binary_operatorINSA_8equal_toIvEEEENSN_INSM_8argumentILj0EEEEENSM_5valueIjEEEEEEEEEEEE10hipError_tPvRmT3_T4_T5_T6_T7_T9_mT8_P12ihipStream_tbDpT10_ENKUlT_T0_E_clISt17integral_constantIbLb1EES1K_EEDaS1F_S1G_EUlS1F_E_NS1_11comp_targetILNS1_3genE3ELNS1_11target_archE908ELNS1_3gpuE7ELNS1_3repE0EEENS1_30default_config_static_selectorELNS0_4arch9wavefront6targetE0EEEvT1_.has_dyn_sized_stack, 0
	.set _ZN7rocprim17ROCPRIM_400000_NS6detail17trampoline_kernelINS0_14default_configENS1_25partition_config_selectorILNS1_17partition_subalgoE6EjNS0_10empty_typeEbEEZZNS1_14partition_implILS5_6ELb0ES3_mN6thrust23THRUST_200600_302600_NS6detail15normal_iteratorINSA_10device_ptrIjEEEEPS6_SG_NS0_5tupleIJSF_S6_EEENSH_IJSG_SG_EEES6_PlJNSB_9not_fun_tINSB_10functional5actorINSM_9compositeIJNSM_27transparent_binary_operatorINSA_8equal_toIvEEEENSN_INSM_8argumentILj0EEEEENSM_5valueIjEEEEEEEEEEEE10hipError_tPvRmT3_T4_T5_T6_T7_T9_mT8_P12ihipStream_tbDpT10_ENKUlT_T0_E_clISt17integral_constantIbLb1EES1K_EEDaS1F_S1G_EUlS1F_E_NS1_11comp_targetILNS1_3genE3ELNS1_11target_archE908ELNS1_3gpuE7ELNS1_3repE0EEENS1_30default_config_static_selectorELNS0_4arch9wavefront6targetE0EEEvT1_.has_recursion, 0
	.set _ZN7rocprim17ROCPRIM_400000_NS6detail17trampoline_kernelINS0_14default_configENS1_25partition_config_selectorILNS1_17partition_subalgoE6EjNS0_10empty_typeEbEEZZNS1_14partition_implILS5_6ELb0ES3_mN6thrust23THRUST_200600_302600_NS6detail15normal_iteratorINSA_10device_ptrIjEEEEPS6_SG_NS0_5tupleIJSF_S6_EEENSH_IJSG_SG_EEES6_PlJNSB_9not_fun_tINSB_10functional5actorINSM_9compositeIJNSM_27transparent_binary_operatorINSA_8equal_toIvEEEENSN_INSM_8argumentILj0EEEEENSM_5valueIjEEEEEEEEEEEE10hipError_tPvRmT3_T4_T5_T6_T7_T9_mT8_P12ihipStream_tbDpT10_ENKUlT_T0_E_clISt17integral_constantIbLb1EES1K_EEDaS1F_S1G_EUlS1F_E_NS1_11comp_targetILNS1_3genE3ELNS1_11target_archE908ELNS1_3gpuE7ELNS1_3repE0EEENS1_30default_config_static_selectorELNS0_4arch9wavefront6targetE0EEEvT1_.has_indirect_call, 0
	.section	.AMDGPU.csdata,"",@progbits
; Kernel info:
; codeLenInByte = 0
; TotalNumSgprs: 0
; NumVgprs: 0
; ScratchSize: 0
; MemoryBound: 0
; FloatMode: 240
; IeeeMode: 1
; LDSByteSize: 0 bytes/workgroup (compile time only)
; SGPRBlocks: 0
; VGPRBlocks: 0
; NumSGPRsForWavesPerEU: 1
; NumVGPRsForWavesPerEU: 1
; Occupancy: 16
; WaveLimiterHint : 0
; COMPUTE_PGM_RSRC2:SCRATCH_EN: 0
; COMPUTE_PGM_RSRC2:USER_SGPR: 2
; COMPUTE_PGM_RSRC2:TRAP_HANDLER: 0
; COMPUTE_PGM_RSRC2:TGID_X_EN: 1
; COMPUTE_PGM_RSRC2:TGID_Y_EN: 0
; COMPUTE_PGM_RSRC2:TGID_Z_EN: 0
; COMPUTE_PGM_RSRC2:TIDIG_COMP_CNT: 0
	.section	.text._ZN7rocprim17ROCPRIM_400000_NS6detail17trampoline_kernelINS0_14default_configENS1_25partition_config_selectorILNS1_17partition_subalgoE6EjNS0_10empty_typeEbEEZZNS1_14partition_implILS5_6ELb0ES3_mN6thrust23THRUST_200600_302600_NS6detail15normal_iteratorINSA_10device_ptrIjEEEEPS6_SG_NS0_5tupleIJSF_S6_EEENSH_IJSG_SG_EEES6_PlJNSB_9not_fun_tINSB_10functional5actorINSM_9compositeIJNSM_27transparent_binary_operatorINSA_8equal_toIvEEEENSN_INSM_8argumentILj0EEEEENSM_5valueIjEEEEEEEEEEEE10hipError_tPvRmT3_T4_T5_T6_T7_T9_mT8_P12ihipStream_tbDpT10_ENKUlT_T0_E_clISt17integral_constantIbLb1EES1K_EEDaS1F_S1G_EUlS1F_E_NS1_11comp_targetILNS1_3genE2ELNS1_11target_archE906ELNS1_3gpuE6ELNS1_3repE0EEENS1_30default_config_static_selectorELNS0_4arch9wavefront6targetE0EEEvT1_,"axG",@progbits,_ZN7rocprim17ROCPRIM_400000_NS6detail17trampoline_kernelINS0_14default_configENS1_25partition_config_selectorILNS1_17partition_subalgoE6EjNS0_10empty_typeEbEEZZNS1_14partition_implILS5_6ELb0ES3_mN6thrust23THRUST_200600_302600_NS6detail15normal_iteratorINSA_10device_ptrIjEEEEPS6_SG_NS0_5tupleIJSF_S6_EEENSH_IJSG_SG_EEES6_PlJNSB_9not_fun_tINSB_10functional5actorINSM_9compositeIJNSM_27transparent_binary_operatorINSA_8equal_toIvEEEENSN_INSM_8argumentILj0EEEEENSM_5valueIjEEEEEEEEEEEE10hipError_tPvRmT3_T4_T5_T6_T7_T9_mT8_P12ihipStream_tbDpT10_ENKUlT_T0_E_clISt17integral_constantIbLb1EES1K_EEDaS1F_S1G_EUlS1F_E_NS1_11comp_targetILNS1_3genE2ELNS1_11target_archE906ELNS1_3gpuE6ELNS1_3repE0EEENS1_30default_config_static_selectorELNS0_4arch9wavefront6targetE0EEEvT1_,comdat
	.protected	_ZN7rocprim17ROCPRIM_400000_NS6detail17trampoline_kernelINS0_14default_configENS1_25partition_config_selectorILNS1_17partition_subalgoE6EjNS0_10empty_typeEbEEZZNS1_14partition_implILS5_6ELb0ES3_mN6thrust23THRUST_200600_302600_NS6detail15normal_iteratorINSA_10device_ptrIjEEEEPS6_SG_NS0_5tupleIJSF_S6_EEENSH_IJSG_SG_EEES6_PlJNSB_9not_fun_tINSB_10functional5actorINSM_9compositeIJNSM_27transparent_binary_operatorINSA_8equal_toIvEEEENSN_INSM_8argumentILj0EEEEENSM_5valueIjEEEEEEEEEEEE10hipError_tPvRmT3_T4_T5_T6_T7_T9_mT8_P12ihipStream_tbDpT10_ENKUlT_T0_E_clISt17integral_constantIbLb1EES1K_EEDaS1F_S1G_EUlS1F_E_NS1_11comp_targetILNS1_3genE2ELNS1_11target_archE906ELNS1_3gpuE6ELNS1_3repE0EEENS1_30default_config_static_selectorELNS0_4arch9wavefront6targetE0EEEvT1_ ; -- Begin function _ZN7rocprim17ROCPRIM_400000_NS6detail17trampoline_kernelINS0_14default_configENS1_25partition_config_selectorILNS1_17partition_subalgoE6EjNS0_10empty_typeEbEEZZNS1_14partition_implILS5_6ELb0ES3_mN6thrust23THRUST_200600_302600_NS6detail15normal_iteratorINSA_10device_ptrIjEEEEPS6_SG_NS0_5tupleIJSF_S6_EEENSH_IJSG_SG_EEES6_PlJNSB_9not_fun_tINSB_10functional5actorINSM_9compositeIJNSM_27transparent_binary_operatorINSA_8equal_toIvEEEENSN_INSM_8argumentILj0EEEEENSM_5valueIjEEEEEEEEEEEE10hipError_tPvRmT3_T4_T5_T6_T7_T9_mT8_P12ihipStream_tbDpT10_ENKUlT_T0_E_clISt17integral_constantIbLb1EES1K_EEDaS1F_S1G_EUlS1F_E_NS1_11comp_targetILNS1_3genE2ELNS1_11target_archE906ELNS1_3gpuE6ELNS1_3repE0EEENS1_30default_config_static_selectorELNS0_4arch9wavefront6targetE0EEEvT1_
	.globl	_ZN7rocprim17ROCPRIM_400000_NS6detail17trampoline_kernelINS0_14default_configENS1_25partition_config_selectorILNS1_17partition_subalgoE6EjNS0_10empty_typeEbEEZZNS1_14partition_implILS5_6ELb0ES3_mN6thrust23THRUST_200600_302600_NS6detail15normal_iteratorINSA_10device_ptrIjEEEEPS6_SG_NS0_5tupleIJSF_S6_EEENSH_IJSG_SG_EEES6_PlJNSB_9not_fun_tINSB_10functional5actorINSM_9compositeIJNSM_27transparent_binary_operatorINSA_8equal_toIvEEEENSN_INSM_8argumentILj0EEEEENSM_5valueIjEEEEEEEEEEEE10hipError_tPvRmT3_T4_T5_T6_T7_T9_mT8_P12ihipStream_tbDpT10_ENKUlT_T0_E_clISt17integral_constantIbLb1EES1K_EEDaS1F_S1G_EUlS1F_E_NS1_11comp_targetILNS1_3genE2ELNS1_11target_archE906ELNS1_3gpuE6ELNS1_3repE0EEENS1_30default_config_static_selectorELNS0_4arch9wavefront6targetE0EEEvT1_
	.p2align	8
	.type	_ZN7rocprim17ROCPRIM_400000_NS6detail17trampoline_kernelINS0_14default_configENS1_25partition_config_selectorILNS1_17partition_subalgoE6EjNS0_10empty_typeEbEEZZNS1_14partition_implILS5_6ELb0ES3_mN6thrust23THRUST_200600_302600_NS6detail15normal_iteratorINSA_10device_ptrIjEEEEPS6_SG_NS0_5tupleIJSF_S6_EEENSH_IJSG_SG_EEES6_PlJNSB_9not_fun_tINSB_10functional5actorINSM_9compositeIJNSM_27transparent_binary_operatorINSA_8equal_toIvEEEENSN_INSM_8argumentILj0EEEEENSM_5valueIjEEEEEEEEEEEE10hipError_tPvRmT3_T4_T5_T6_T7_T9_mT8_P12ihipStream_tbDpT10_ENKUlT_T0_E_clISt17integral_constantIbLb1EES1K_EEDaS1F_S1G_EUlS1F_E_NS1_11comp_targetILNS1_3genE2ELNS1_11target_archE906ELNS1_3gpuE6ELNS1_3repE0EEENS1_30default_config_static_selectorELNS0_4arch9wavefront6targetE0EEEvT1_,@function
_ZN7rocprim17ROCPRIM_400000_NS6detail17trampoline_kernelINS0_14default_configENS1_25partition_config_selectorILNS1_17partition_subalgoE6EjNS0_10empty_typeEbEEZZNS1_14partition_implILS5_6ELb0ES3_mN6thrust23THRUST_200600_302600_NS6detail15normal_iteratorINSA_10device_ptrIjEEEEPS6_SG_NS0_5tupleIJSF_S6_EEENSH_IJSG_SG_EEES6_PlJNSB_9not_fun_tINSB_10functional5actorINSM_9compositeIJNSM_27transparent_binary_operatorINSA_8equal_toIvEEEENSN_INSM_8argumentILj0EEEEENSM_5valueIjEEEEEEEEEEEE10hipError_tPvRmT3_T4_T5_T6_T7_T9_mT8_P12ihipStream_tbDpT10_ENKUlT_T0_E_clISt17integral_constantIbLb1EES1K_EEDaS1F_S1G_EUlS1F_E_NS1_11comp_targetILNS1_3genE2ELNS1_11target_archE906ELNS1_3gpuE6ELNS1_3repE0EEENS1_30default_config_static_selectorELNS0_4arch9wavefront6targetE0EEEvT1_: ; @_ZN7rocprim17ROCPRIM_400000_NS6detail17trampoline_kernelINS0_14default_configENS1_25partition_config_selectorILNS1_17partition_subalgoE6EjNS0_10empty_typeEbEEZZNS1_14partition_implILS5_6ELb0ES3_mN6thrust23THRUST_200600_302600_NS6detail15normal_iteratorINSA_10device_ptrIjEEEEPS6_SG_NS0_5tupleIJSF_S6_EEENSH_IJSG_SG_EEES6_PlJNSB_9not_fun_tINSB_10functional5actorINSM_9compositeIJNSM_27transparent_binary_operatorINSA_8equal_toIvEEEENSN_INSM_8argumentILj0EEEEENSM_5valueIjEEEEEEEEEEEE10hipError_tPvRmT3_T4_T5_T6_T7_T9_mT8_P12ihipStream_tbDpT10_ENKUlT_T0_E_clISt17integral_constantIbLb1EES1K_EEDaS1F_S1G_EUlS1F_E_NS1_11comp_targetILNS1_3genE2ELNS1_11target_archE906ELNS1_3gpuE6ELNS1_3repE0EEENS1_30default_config_static_selectorELNS0_4arch9wavefront6targetE0EEEvT1_
; %bb.0:
	.section	.rodata,"a",@progbits
	.p2align	6, 0x0
	.amdhsa_kernel _ZN7rocprim17ROCPRIM_400000_NS6detail17trampoline_kernelINS0_14default_configENS1_25partition_config_selectorILNS1_17partition_subalgoE6EjNS0_10empty_typeEbEEZZNS1_14partition_implILS5_6ELb0ES3_mN6thrust23THRUST_200600_302600_NS6detail15normal_iteratorINSA_10device_ptrIjEEEEPS6_SG_NS0_5tupleIJSF_S6_EEENSH_IJSG_SG_EEES6_PlJNSB_9not_fun_tINSB_10functional5actorINSM_9compositeIJNSM_27transparent_binary_operatorINSA_8equal_toIvEEEENSN_INSM_8argumentILj0EEEEENSM_5valueIjEEEEEEEEEEEE10hipError_tPvRmT3_T4_T5_T6_T7_T9_mT8_P12ihipStream_tbDpT10_ENKUlT_T0_E_clISt17integral_constantIbLb1EES1K_EEDaS1F_S1G_EUlS1F_E_NS1_11comp_targetILNS1_3genE2ELNS1_11target_archE906ELNS1_3gpuE6ELNS1_3repE0EEENS1_30default_config_static_selectorELNS0_4arch9wavefront6targetE0EEEvT1_
		.amdhsa_group_segment_fixed_size 0
		.amdhsa_private_segment_fixed_size 0
		.amdhsa_kernarg_size 128
		.amdhsa_user_sgpr_count 2
		.amdhsa_user_sgpr_dispatch_ptr 0
		.amdhsa_user_sgpr_queue_ptr 0
		.amdhsa_user_sgpr_kernarg_segment_ptr 1
		.amdhsa_user_sgpr_dispatch_id 0
		.amdhsa_user_sgpr_private_segment_size 0
		.amdhsa_wavefront_size32 1
		.amdhsa_uses_dynamic_stack 0
		.amdhsa_enable_private_segment 0
		.amdhsa_system_sgpr_workgroup_id_x 1
		.amdhsa_system_sgpr_workgroup_id_y 0
		.amdhsa_system_sgpr_workgroup_id_z 0
		.amdhsa_system_sgpr_workgroup_info 0
		.amdhsa_system_vgpr_workitem_id 0
		.amdhsa_next_free_vgpr 1
		.amdhsa_next_free_sgpr 1
		.amdhsa_reserve_vcc 0
		.amdhsa_float_round_mode_32 0
		.amdhsa_float_round_mode_16_64 0
		.amdhsa_float_denorm_mode_32 3
		.amdhsa_float_denorm_mode_16_64 3
		.amdhsa_fp16_overflow 0
		.amdhsa_workgroup_processor_mode 1
		.amdhsa_memory_ordered 1
		.amdhsa_forward_progress 1
		.amdhsa_inst_pref_size 0
		.amdhsa_round_robin_scheduling 0
		.amdhsa_exception_fp_ieee_invalid_op 0
		.amdhsa_exception_fp_denorm_src 0
		.amdhsa_exception_fp_ieee_div_zero 0
		.amdhsa_exception_fp_ieee_overflow 0
		.amdhsa_exception_fp_ieee_underflow 0
		.amdhsa_exception_fp_ieee_inexact 0
		.amdhsa_exception_int_div_zero 0
	.end_amdhsa_kernel
	.section	.text._ZN7rocprim17ROCPRIM_400000_NS6detail17trampoline_kernelINS0_14default_configENS1_25partition_config_selectorILNS1_17partition_subalgoE6EjNS0_10empty_typeEbEEZZNS1_14partition_implILS5_6ELb0ES3_mN6thrust23THRUST_200600_302600_NS6detail15normal_iteratorINSA_10device_ptrIjEEEEPS6_SG_NS0_5tupleIJSF_S6_EEENSH_IJSG_SG_EEES6_PlJNSB_9not_fun_tINSB_10functional5actorINSM_9compositeIJNSM_27transparent_binary_operatorINSA_8equal_toIvEEEENSN_INSM_8argumentILj0EEEEENSM_5valueIjEEEEEEEEEEEE10hipError_tPvRmT3_T4_T5_T6_T7_T9_mT8_P12ihipStream_tbDpT10_ENKUlT_T0_E_clISt17integral_constantIbLb1EES1K_EEDaS1F_S1G_EUlS1F_E_NS1_11comp_targetILNS1_3genE2ELNS1_11target_archE906ELNS1_3gpuE6ELNS1_3repE0EEENS1_30default_config_static_selectorELNS0_4arch9wavefront6targetE0EEEvT1_,"axG",@progbits,_ZN7rocprim17ROCPRIM_400000_NS6detail17trampoline_kernelINS0_14default_configENS1_25partition_config_selectorILNS1_17partition_subalgoE6EjNS0_10empty_typeEbEEZZNS1_14partition_implILS5_6ELb0ES3_mN6thrust23THRUST_200600_302600_NS6detail15normal_iteratorINSA_10device_ptrIjEEEEPS6_SG_NS0_5tupleIJSF_S6_EEENSH_IJSG_SG_EEES6_PlJNSB_9not_fun_tINSB_10functional5actorINSM_9compositeIJNSM_27transparent_binary_operatorINSA_8equal_toIvEEEENSN_INSM_8argumentILj0EEEEENSM_5valueIjEEEEEEEEEEEE10hipError_tPvRmT3_T4_T5_T6_T7_T9_mT8_P12ihipStream_tbDpT10_ENKUlT_T0_E_clISt17integral_constantIbLb1EES1K_EEDaS1F_S1G_EUlS1F_E_NS1_11comp_targetILNS1_3genE2ELNS1_11target_archE906ELNS1_3gpuE6ELNS1_3repE0EEENS1_30default_config_static_selectorELNS0_4arch9wavefront6targetE0EEEvT1_,comdat
.Lfunc_end125:
	.size	_ZN7rocprim17ROCPRIM_400000_NS6detail17trampoline_kernelINS0_14default_configENS1_25partition_config_selectorILNS1_17partition_subalgoE6EjNS0_10empty_typeEbEEZZNS1_14partition_implILS5_6ELb0ES3_mN6thrust23THRUST_200600_302600_NS6detail15normal_iteratorINSA_10device_ptrIjEEEEPS6_SG_NS0_5tupleIJSF_S6_EEENSH_IJSG_SG_EEES6_PlJNSB_9not_fun_tINSB_10functional5actorINSM_9compositeIJNSM_27transparent_binary_operatorINSA_8equal_toIvEEEENSN_INSM_8argumentILj0EEEEENSM_5valueIjEEEEEEEEEEEE10hipError_tPvRmT3_T4_T5_T6_T7_T9_mT8_P12ihipStream_tbDpT10_ENKUlT_T0_E_clISt17integral_constantIbLb1EES1K_EEDaS1F_S1G_EUlS1F_E_NS1_11comp_targetILNS1_3genE2ELNS1_11target_archE906ELNS1_3gpuE6ELNS1_3repE0EEENS1_30default_config_static_selectorELNS0_4arch9wavefront6targetE0EEEvT1_, .Lfunc_end125-_ZN7rocprim17ROCPRIM_400000_NS6detail17trampoline_kernelINS0_14default_configENS1_25partition_config_selectorILNS1_17partition_subalgoE6EjNS0_10empty_typeEbEEZZNS1_14partition_implILS5_6ELb0ES3_mN6thrust23THRUST_200600_302600_NS6detail15normal_iteratorINSA_10device_ptrIjEEEEPS6_SG_NS0_5tupleIJSF_S6_EEENSH_IJSG_SG_EEES6_PlJNSB_9not_fun_tINSB_10functional5actorINSM_9compositeIJNSM_27transparent_binary_operatorINSA_8equal_toIvEEEENSN_INSM_8argumentILj0EEEEENSM_5valueIjEEEEEEEEEEEE10hipError_tPvRmT3_T4_T5_T6_T7_T9_mT8_P12ihipStream_tbDpT10_ENKUlT_T0_E_clISt17integral_constantIbLb1EES1K_EEDaS1F_S1G_EUlS1F_E_NS1_11comp_targetILNS1_3genE2ELNS1_11target_archE906ELNS1_3gpuE6ELNS1_3repE0EEENS1_30default_config_static_selectorELNS0_4arch9wavefront6targetE0EEEvT1_
                                        ; -- End function
	.set _ZN7rocprim17ROCPRIM_400000_NS6detail17trampoline_kernelINS0_14default_configENS1_25partition_config_selectorILNS1_17partition_subalgoE6EjNS0_10empty_typeEbEEZZNS1_14partition_implILS5_6ELb0ES3_mN6thrust23THRUST_200600_302600_NS6detail15normal_iteratorINSA_10device_ptrIjEEEEPS6_SG_NS0_5tupleIJSF_S6_EEENSH_IJSG_SG_EEES6_PlJNSB_9not_fun_tINSB_10functional5actorINSM_9compositeIJNSM_27transparent_binary_operatorINSA_8equal_toIvEEEENSN_INSM_8argumentILj0EEEEENSM_5valueIjEEEEEEEEEEEE10hipError_tPvRmT3_T4_T5_T6_T7_T9_mT8_P12ihipStream_tbDpT10_ENKUlT_T0_E_clISt17integral_constantIbLb1EES1K_EEDaS1F_S1G_EUlS1F_E_NS1_11comp_targetILNS1_3genE2ELNS1_11target_archE906ELNS1_3gpuE6ELNS1_3repE0EEENS1_30default_config_static_selectorELNS0_4arch9wavefront6targetE0EEEvT1_.num_vgpr, 0
	.set _ZN7rocprim17ROCPRIM_400000_NS6detail17trampoline_kernelINS0_14default_configENS1_25partition_config_selectorILNS1_17partition_subalgoE6EjNS0_10empty_typeEbEEZZNS1_14partition_implILS5_6ELb0ES3_mN6thrust23THRUST_200600_302600_NS6detail15normal_iteratorINSA_10device_ptrIjEEEEPS6_SG_NS0_5tupleIJSF_S6_EEENSH_IJSG_SG_EEES6_PlJNSB_9not_fun_tINSB_10functional5actorINSM_9compositeIJNSM_27transparent_binary_operatorINSA_8equal_toIvEEEENSN_INSM_8argumentILj0EEEEENSM_5valueIjEEEEEEEEEEEE10hipError_tPvRmT3_T4_T5_T6_T7_T9_mT8_P12ihipStream_tbDpT10_ENKUlT_T0_E_clISt17integral_constantIbLb1EES1K_EEDaS1F_S1G_EUlS1F_E_NS1_11comp_targetILNS1_3genE2ELNS1_11target_archE906ELNS1_3gpuE6ELNS1_3repE0EEENS1_30default_config_static_selectorELNS0_4arch9wavefront6targetE0EEEvT1_.num_agpr, 0
	.set _ZN7rocprim17ROCPRIM_400000_NS6detail17trampoline_kernelINS0_14default_configENS1_25partition_config_selectorILNS1_17partition_subalgoE6EjNS0_10empty_typeEbEEZZNS1_14partition_implILS5_6ELb0ES3_mN6thrust23THRUST_200600_302600_NS6detail15normal_iteratorINSA_10device_ptrIjEEEEPS6_SG_NS0_5tupleIJSF_S6_EEENSH_IJSG_SG_EEES6_PlJNSB_9not_fun_tINSB_10functional5actorINSM_9compositeIJNSM_27transparent_binary_operatorINSA_8equal_toIvEEEENSN_INSM_8argumentILj0EEEEENSM_5valueIjEEEEEEEEEEEE10hipError_tPvRmT3_T4_T5_T6_T7_T9_mT8_P12ihipStream_tbDpT10_ENKUlT_T0_E_clISt17integral_constantIbLb1EES1K_EEDaS1F_S1G_EUlS1F_E_NS1_11comp_targetILNS1_3genE2ELNS1_11target_archE906ELNS1_3gpuE6ELNS1_3repE0EEENS1_30default_config_static_selectorELNS0_4arch9wavefront6targetE0EEEvT1_.numbered_sgpr, 0
	.set _ZN7rocprim17ROCPRIM_400000_NS6detail17trampoline_kernelINS0_14default_configENS1_25partition_config_selectorILNS1_17partition_subalgoE6EjNS0_10empty_typeEbEEZZNS1_14partition_implILS5_6ELb0ES3_mN6thrust23THRUST_200600_302600_NS6detail15normal_iteratorINSA_10device_ptrIjEEEEPS6_SG_NS0_5tupleIJSF_S6_EEENSH_IJSG_SG_EEES6_PlJNSB_9not_fun_tINSB_10functional5actorINSM_9compositeIJNSM_27transparent_binary_operatorINSA_8equal_toIvEEEENSN_INSM_8argumentILj0EEEEENSM_5valueIjEEEEEEEEEEEE10hipError_tPvRmT3_T4_T5_T6_T7_T9_mT8_P12ihipStream_tbDpT10_ENKUlT_T0_E_clISt17integral_constantIbLb1EES1K_EEDaS1F_S1G_EUlS1F_E_NS1_11comp_targetILNS1_3genE2ELNS1_11target_archE906ELNS1_3gpuE6ELNS1_3repE0EEENS1_30default_config_static_selectorELNS0_4arch9wavefront6targetE0EEEvT1_.num_named_barrier, 0
	.set _ZN7rocprim17ROCPRIM_400000_NS6detail17trampoline_kernelINS0_14default_configENS1_25partition_config_selectorILNS1_17partition_subalgoE6EjNS0_10empty_typeEbEEZZNS1_14partition_implILS5_6ELb0ES3_mN6thrust23THRUST_200600_302600_NS6detail15normal_iteratorINSA_10device_ptrIjEEEEPS6_SG_NS0_5tupleIJSF_S6_EEENSH_IJSG_SG_EEES6_PlJNSB_9not_fun_tINSB_10functional5actorINSM_9compositeIJNSM_27transparent_binary_operatorINSA_8equal_toIvEEEENSN_INSM_8argumentILj0EEEEENSM_5valueIjEEEEEEEEEEEE10hipError_tPvRmT3_T4_T5_T6_T7_T9_mT8_P12ihipStream_tbDpT10_ENKUlT_T0_E_clISt17integral_constantIbLb1EES1K_EEDaS1F_S1G_EUlS1F_E_NS1_11comp_targetILNS1_3genE2ELNS1_11target_archE906ELNS1_3gpuE6ELNS1_3repE0EEENS1_30default_config_static_selectorELNS0_4arch9wavefront6targetE0EEEvT1_.private_seg_size, 0
	.set _ZN7rocprim17ROCPRIM_400000_NS6detail17trampoline_kernelINS0_14default_configENS1_25partition_config_selectorILNS1_17partition_subalgoE6EjNS0_10empty_typeEbEEZZNS1_14partition_implILS5_6ELb0ES3_mN6thrust23THRUST_200600_302600_NS6detail15normal_iteratorINSA_10device_ptrIjEEEEPS6_SG_NS0_5tupleIJSF_S6_EEENSH_IJSG_SG_EEES6_PlJNSB_9not_fun_tINSB_10functional5actorINSM_9compositeIJNSM_27transparent_binary_operatorINSA_8equal_toIvEEEENSN_INSM_8argumentILj0EEEEENSM_5valueIjEEEEEEEEEEEE10hipError_tPvRmT3_T4_T5_T6_T7_T9_mT8_P12ihipStream_tbDpT10_ENKUlT_T0_E_clISt17integral_constantIbLb1EES1K_EEDaS1F_S1G_EUlS1F_E_NS1_11comp_targetILNS1_3genE2ELNS1_11target_archE906ELNS1_3gpuE6ELNS1_3repE0EEENS1_30default_config_static_selectorELNS0_4arch9wavefront6targetE0EEEvT1_.uses_vcc, 0
	.set _ZN7rocprim17ROCPRIM_400000_NS6detail17trampoline_kernelINS0_14default_configENS1_25partition_config_selectorILNS1_17partition_subalgoE6EjNS0_10empty_typeEbEEZZNS1_14partition_implILS5_6ELb0ES3_mN6thrust23THRUST_200600_302600_NS6detail15normal_iteratorINSA_10device_ptrIjEEEEPS6_SG_NS0_5tupleIJSF_S6_EEENSH_IJSG_SG_EEES6_PlJNSB_9not_fun_tINSB_10functional5actorINSM_9compositeIJNSM_27transparent_binary_operatorINSA_8equal_toIvEEEENSN_INSM_8argumentILj0EEEEENSM_5valueIjEEEEEEEEEEEE10hipError_tPvRmT3_T4_T5_T6_T7_T9_mT8_P12ihipStream_tbDpT10_ENKUlT_T0_E_clISt17integral_constantIbLb1EES1K_EEDaS1F_S1G_EUlS1F_E_NS1_11comp_targetILNS1_3genE2ELNS1_11target_archE906ELNS1_3gpuE6ELNS1_3repE0EEENS1_30default_config_static_selectorELNS0_4arch9wavefront6targetE0EEEvT1_.uses_flat_scratch, 0
	.set _ZN7rocprim17ROCPRIM_400000_NS6detail17trampoline_kernelINS0_14default_configENS1_25partition_config_selectorILNS1_17partition_subalgoE6EjNS0_10empty_typeEbEEZZNS1_14partition_implILS5_6ELb0ES3_mN6thrust23THRUST_200600_302600_NS6detail15normal_iteratorINSA_10device_ptrIjEEEEPS6_SG_NS0_5tupleIJSF_S6_EEENSH_IJSG_SG_EEES6_PlJNSB_9not_fun_tINSB_10functional5actorINSM_9compositeIJNSM_27transparent_binary_operatorINSA_8equal_toIvEEEENSN_INSM_8argumentILj0EEEEENSM_5valueIjEEEEEEEEEEEE10hipError_tPvRmT3_T4_T5_T6_T7_T9_mT8_P12ihipStream_tbDpT10_ENKUlT_T0_E_clISt17integral_constantIbLb1EES1K_EEDaS1F_S1G_EUlS1F_E_NS1_11comp_targetILNS1_3genE2ELNS1_11target_archE906ELNS1_3gpuE6ELNS1_3repE0EEENS1_30default_config_static_selectorELNS0_4arch9wavefront6targetE0EEEvT1_.has_dyn_sized_stack, 0
	.set _ZN7rocprim17ROCPRIM_400000_NS6detail17trampoline_kernelINS0_14default_configENS1_25partition_config_selectorILNS1_17partition_subalgoE6EjNS0_10empty_typeEbEEZZNS1_14partition_implILS5_6ELb0ES3_mN6thrust23THRUST_200600_302600_NS6detail15normal_iteratorINSA_10device_ptrIjEEEEPS6_SG_NS0_5tupleIJSF_S6_EEENSH_IJSG_SG_EEES6_PlJNSB_9not_fun_tINSB_10functional5actorINSM_9compositeIJNSM_27transparent_binary_operatorINSA_8equal_toIvEEEENSN_INSM_8argumentILj0EEEEENSM_5valueIjEEEEEEEEEEEE10hipError_tPvRmT3_T4_T5_T6_T7_T9_mT8_P12ihipStream_tbDpT10_ENKUlT_T0_E_clISt17integral_constantIbLb1EES1K_EEDaS1F_S1G_EUlS1F_E_NS1_11comp_targetILNS1_3genE2ELNS1_11target_archE906ELNS1_3gpuE6ELNS1_3repE0EEENS1_30default_config_static_selectorELNS0_4arch9wavefront6targetE0EEEvT1_.has_recursion, 0
	.set _ZN7rocprim17ROCPRIM_400000_NS6detail17trampoline_kernelINS0_14default_configENS1_25partition_config_selectorILNS1_17partition_subalgoE6EjNS0_10empty_typeEbEEZZNS1_14partition_implILS5_6ELb0ES3_mN6thrust23THRUST_200600_302600_NS6detail15normal_iteratorINSA_10device_ptrIjEEEEPS6_SG_NS0_5tupleIJSF_S6_EEENSH_IJSG_SG_EEES6_PlJNSB_9not_fun_tINSB_10functional5actorINSM_9compositeIJNSM_27transparent_binary_operatorINSA_8equal_toIvEEEENSN_INSM_8argumentILj0EEEEENSM_5valueIjEEEEEEEEEEEE10hipError_tPvRmT3_T4_T5_T6_T7_T9_mT8_P12ihipStream_tbDpT10_ENKUlT_T0_E_clISt17integral_constantIbLb1EES1K_EEDaS1F_S1G_EUlS1F_E_NS1_11comp_targetILNS1_3genE2ELNS1_11target_archE906ELNS1_3gpuE6ELNS1_3repE0EEENS1_30default_config_static_selectorELNS0_4arch9wavefront6targetE0EEEvT1_.has_indirect_call, 0
	.section	.AMDGPU.csdata,"",@progbits
; Kernel info:
; codeLenInByte = 0
; TotalNumSgprs: 0
; NumVgprs: 0
; ScratchSize: 0
; MemoryBound: 0
; FloatMode: 240
; IeeeMode: 1
; LDSByteSize: 0 bytes/workgroup (compile time only)
; SGPRBlocks: 0
; VGPRBlocks: 0
; NumSGPRsForWavesPerEU: 1
; NumVGPRsForWavesPerEU: 1
; Occupancy: 16
; WaveLimiterHint : 0
; COMPUTE_PGM_RSRC2:SCRATCH_EN: 0
; COMPUTE_PGM_RSRC2:USER_SGPR: 2
; COMPUTE_PGM_RSRC2:TRAP_HANDLER: 0
; COMPUTE_PGM_RSRC2:TGID_X_EN: 1
; COMPUTE_PGM_RSRC2:TGID_Y_EN: 0
; COMPUTE_PGM_RSRC2:TGID_Z_EN: 0
; COMPUTE_PGM_RSRC2:TIDIG_COMP_CNT: 0
	.section	.text._ZN7rocprim17ROCPRIM_400000_NS6detail17trampoline_kernelINS0_14default_configENS1_25partition_config_selectorILNS1_17partition_subalgoE6EjNS0_10empty_typeEbEEZZNS1_14partition_implILS5_6ELb0ES3_mN6thrust23THRUST_200600_302600_NS6detail15normal_iteratorINSA_10device_ptrIjEEEEPS6_SG_NS0_5tupleIJSF_S6_EEENSH_IJSG_SG_EEES6_PlJNSB_9not_fun_tINSB_10functional5actorINSM_9compositeIJNSM_27transparent_binary_operatorINSA_8equal_toIvEEEENSN_INSM_8argumentILj0EEEEENSM_5valueIjEEEEEEEEEEEE10hipError_tPvRmT3_T4_T5_T6_T7_T9_mT8_P12ihipStream_tbDpT10_ENKUlT_T0_E_clISt17integral_constantIbLb1EES1K_EEDaS1F_S1G_EUlS1F_E_NS1_11comp_targetILNS1_3genE10ELNS1_11target_archE1200ELNS1_3gpuE4ELNS1_3repE0EEENS1_30default_config_static_selectorELNS0_4arch9wavefront6targetE0EEEvT1_,"axG",@progbits,_ZN7rocprim17ROCPRIM_400000_NS6detail17trampoline_kernelINS0_14default_configENS1_25partition_config_selectorILNS1_17partition_subalgoE6EjNS0_10empty_typeEbEEZZNS1_14partition_implILS5_6ELb0ES3_mN6thrust23THRUST_200600_302600_NS6detail15normal_iteratorINSA_10device_ptrIjEEEEPS6_SG_NS0_5tupleIJSF_S6_EEENSH_IJSG_SG_EEES6_PlJNSB_9not_fun_tINSB_10functional5actorINSM_9compositeIJNSM_27transparent_binary_operatorINSA_8equal_toIvEEEENSN_INSM_8argumentILj0EEEEENSM_5valueIjEEEEEEEEEEEE10hipError_tPvRmT3_T4_T5_T6_T7_T9_mT8_P12ihipStream_tbDpT10_ENKUlT_T0_E_clISt17integral_constantIbLb1EES1K_EEDaS1F_S1G_EUlS1F_E_NS1_11comp_targetILNS1_3genE10ELNS1_11target_archE1200ELNS1_3gpuE4ELNS1_3repE0EEENS1_30default_config_static_selectorELNS0_4arch9wavefront6targetE0EEEvT1_,comdat
	.protected	_ZN7rocprim17ROCPRIM_400000_NS6detail17trampoline_kernelINS0_14default_configENS1_25partition_config_selectorILNS1_17partition_subalgoE6EjNS0_10empty_typeEbEEZZNS1_14partition_implILS5_6ELb0ES3_mN6thrust23THRUST_200600_302600_NS6detail15normal_iteratorINSA_10device_ptrIjEEEEPS6_SG_NS0_5tupleIJSF_S6_EEENSH_IJSG_SG_EEES6_PlJNSB_9not_fun_tINSB_10functional5actorINSM_9compositeIJNSM_27transparent_binary_operatorINSA_8equal_toIvEEEENSN_INSM_8argumentILj0EEEEENSM_5valueIjEEEEEEEEEEEE10hipError_tPvRmT3_T4_T5_T6_T7_T9_mT8_P12ihipStream_tbDpT10_ENKUlT_T0_E_clISt17integral_constantIbLb1EES1K_EEDaS1F_S1G_EUlS1F_E_NS1_11comp_targetILNS1_3genE10ELNS1_11target_archE1200ELNS1_3gpuE4ELNS1_3repE0EEENS1_30default_config_static_selectorELNS0_4arch9wavefront6targetE0EEEvT1_ ; -- Begin function _ZN7rocprim17ROCPRIM_400000_NS6detail17trampoline_kernelINS0_14default_configENS1_25partition_config_selectorILNS1_17partition_subalgoE6EjNS0_10empty_typeEbEEZZNS1_14partition_implILS5_6ELb0ES3_mN6thrust23THRUST_200600_302600_NS6detail15normal_iteratorINSA_10device_ptrIjEEEEPS6_SG_NS0_5tupleIJSF_S6_EEENSH_IJSG_SG_EEES6_PlJNSB_9not_fun_tINSB_10functional5actorINSM_9compositeIJNSM_27transparent_binary_operatorINSA_8equal_toIvEEEENSN_INSM_8argumentILj0EEEEENSM_5valueIjEEEEEEEEEEEE10hipError_tPvRmT3_T4_T5_T6_T7_T9_mT8_P12ihipStream_tbDpT10_ENKUlT_T0_E_clISt17integral_constantIbLb1EES1K_EEDaS1F_S1G_EUlS1F_E_NS1_11comp_targetILNS1_3genE10ELNS1_11target_archE1200ELNS1_3gpuE4ELNS1_3repE0EEENS1_30default_config_static_selectorELNS0_4arch9wavefront6targetE0EEEvT1_
	.globl	_ZN7rocprim17ROCPRIM_400000_NS6detail17trampoline_kernelINS0_14default_configENS1_25partition_config_selectorILNS1_17partition_subalgoE6EjNS0_10empty_typeEbEEZZNS1_14partition_implILS5_6ELb0ES3_mN6thrust23THRUST_200600_302600_NS6detail15normal_iteratorINSA_10device_ptrIjEEEEPS6_SG_NS0_5tupleIJSF_S6_EEENSH_IJSG_SG_EEES6_PlJNSB_9not_fun_tINSB_10functional5actorINSM_9compositeIJNSM_27transparent_binary_operatorINSA_8equal_toIvEEEENSN_INSM_8argumentILj0EEEEENSM_5valueIjEEEEEEEEEEEE10hipError_tPvRmT3_T4_T5_T6_T7_T9_mT8_P12ihipStream_tbDpT10_ENKUlT_T0_E_clISt17integral_constantIbLb1EES1K_EEDaS1F_S1G_EUlS1F_E_NS1_11comp_targetILNS1_3genE10ELNS1_11target_archE1200ELNS1_3gpuE4ELNS1_3repE0EEENS1_30default_config_static_selectorELNS0_4arch9wavefront6targetE0EEEvT1_
	.p2align	8
	.type	_ZN7rocprim17ROCPRIM_400000_NS6detail17trampoline_kernelINS0_14default_configENS1_25partition_config_selectorILNS1_17partition_subalgoE6EjNS0_10empty_typeEbEEZZNS1_14partition_implILS5_6ELb0ES3_mN6thrust23THRUST_200600_302600_NS6detail15normal_iteratorINSA_10device_ptrIjEEEEPS6_SG_NS0_5tupleIJSF_S6_EEENSH_IJSG_SG_EEES6_PlJNSB_9not_fun_tINSB_10functional5actorINSM_9compositeIJNSM_27transparent_binary_operatorINSA_8equal_toIvEEEENSN_INSM_8argumentILj0EEEEENSM_5valueIjEEEEEEEEEEEE10hipError_tPvRmT3_T4_T5_T6_T7_T9_mT8_P12ihipStream_tbDpT10_ENKUlT_T0_E_clISt17integral_constantIbLb1EES1K_EEDaS1F_S1G_EUlS1F_E_NS1_11comp_targetILNS1_3genE10ELNS1_11target_archE1200ELNS1_3gpuE4ELNS1_3repE0EEENS1_30default_config_static_selectorELNS0_4arch9wavefront6targetE0EEEvT1_,@function
_ZN7rocprim17ROCPRIM_400000_NS6detail17trampoline_kernelINS0_14default_configENS1_25partition_config_selectorILNS1_17partition_subalgoE6EjNS0_10empty_typeEbEEZZNS1_14partition_implILS5_6ELb0ES3_mN6thrust23THRUST_200600_302600_NS6detail15normal_iteratorINSA_10device_ptrIjEEEEPS6_SG_NS0_5tupleIJSF_S6_EEENSH_IJSG_SG_EEES6_PlJNSB_9not_fun_tINSB_10functional5actorINSM_9compositeIJNSM_27transparent_binary_operatorINSA_8equal_toIvEEEENSN_INSM_8argumentILj0EEEEENSM_5valueIjEEEEEEEEEEEE10hipError_tPvRmT3_T4_T5_T6_T7_T9_mT8_P12ihipStream_tbDpT10_ENKUlT_T0_E_clISt17integral_constantIbLb1EES1K_EEDaS1F_S1G_EUlS1F_E_NS1_11comp_targetILNS1_3genE10ELNS1_11target_archE1200ELNS1_3gpuE4ELNS1_3repE0EEENS1_30default_config_static_selectorELNS0_4arch9wavefront6targetE0EEEvT1_: ; @_ZN7rocprim17ROCPRIM_400000_NS6detail17trampoline_kernelINS0_14default_configENS1_25partition_config_selectorILNS1_17partition_subalgoE6EjNS0_10empty_typeEbEEZZNS1_14partition_implILS5_6ELb0ES3_mN6thrust23THRUST_200600_302600_NS6detail15normal_iteratorINSA_10device_ptrIjEEEEPS6_SG_NS0_5tupleIJSF_S6_EEENSH_IJSG_SG_EEES6_PlJNSB_9not_fun_tINSB_10functional5actorINSM_9compositeIJNSM_27transparent_binary_operatorINSA_8equal_toIvEEEENSN_INSM_8argumentILj0EEEEENSM_5valueIjEEEEEEEEEEEE10hipError_tPvRmT3_T4_T5_T6_T7_T9_mT8_P12ihipStream_tbDpT10_ENKUlT_T0_E_clISt17integral_constantIbLb1EES1K_EEDaS1F_S1G_EUlS1F_E_NS1_11comp_targetILNS1_3genE10ELNS1_11target_archE1200ELNS1_3gpuE4ELNS1_3repE0EEENS1_30default_config_static_selectorELNS0_4arch9wavefront6targetE0EEEvT1_
; %bb.0:
	s_endpgm
	.section	.rodata,"a",@progbits
	.p2align	6, 0x0
	.amdhsa_kernel _ZN7rocprim17ROCPRIM_400000_NS6detail17trampoline_kernelINS0_14default_configENS1_25partition_config_selectorILNS1_17partition_subalgoE6EjNS0_10empty_typeEbEEZZNS1_14partition_implILS5_6ELb0ES3_mN6thrust23THRUST_200600_302600_NS6detail15normal_iteratorINSA_10device_ptrIjEEEEPS6_SG_NS0_5tupleIJSF_S6_EEENSH_IJSG_SG_EEES6_PlJNSB_9not_fun_tINSB_10functional5actorINSM_9compositeIJNSM_27transparent_binary_operatorINSA_8equal_toIvEEEENSN_INSM_8argumentILj0EEEEENSM_5valueIjEEEEEEEEEEEE10hipError_tPvRmT3_T4_T5_T6_T7_T9_mT8_P12ihipStream_tbDpT10_ENKUlT_T0_E_clISt17integral_constantIbLb1EES1K_EEDaS1F_S1G_EUlS1F_E_NS1_11comp_targetILNS1_3genE10ELNS1_11target_archE1200ELNS1_3gpuE4ELNS1_3repE0EEENS1_30default_config_static_selectorELNS0_4arch9wavefront6targetE0EEEvT1_
		.amdhsa_group_segment_fixed_size 0
		.amdhsa_private_segment_fixed_size 0
		.amdhsa_kernarg_size 128
		.amdhsa_user_sgpr_count 2
		.amdhsa_user_sgpr_dispatch_ptr 0
		.amdhsa_user_sgpr_queue_ptr 0
		.amdhsa_user_sgpr_kernarg_segment_ptr 1
		.amdhsa_user_sgpr_dispatch_id 0
		.amdhsa_user_sgpr_private_segment_size 0
		.amdhsa_wavefront_size32 1
		.amdhsa_uses_dynamic_stack 0
		.amdhsa_enable_private_segment 0
		.amdhsa_system_sgpr_workgroup_id_x 1
		.amdhsa_system_sgpr_workgroup_id_y 0
		.amdhsa_system_sgpr_workgroup_id_z 0
		.amdhsa_system_sgpr_workgroup_info 0
		.amdhsa_system_vgpr_workitem_id 0
		.amdhsa_next_free_vgpr 1
		.amdhsa_next_free_sgpr 1
		.amdhsa_reserve_vcc 0
		.amdhsa_float_round_mode_32 0
		.amdhsa_float_round_mode_16_64 0
		.amdhsa_float_denorm_mode_32 3
		.amdhsa_float_denorm_mode_16_64 3
		.amdhsa_fp16_overflow 0
		.amdhsa_workgroup_processor_mode 1
		.amdhsa_memory_ordered 1
		.amdhsa_forward_progress 1
		.amdhsa_inst_pref_size 1
		.amdhsa_round_robin_scheduling 0
		.amdhsa_exception_fp_ieee_invalid_op 0
		.amdhsa_exception_fp_denorm_src 0
		.amdhsa_exception_fp_ieee_div_zero 0
		.amdhsa_exception_fp_ieee_overflow 0
		.amdhsa_exception_fp_ieee_underflow 0
		.amdhsa_exception_fp_ieee_inexact 0
		.amdhsa_exception_int_div_zero 0
	.end_amdhsa_kernel
	.section	.text._ZN7rocprim17ROCPRIM_400000_NS6detail17trampoline_kernelINS0_14default_configENS1_25partition_config_selectorILNS1_17partition_subalgoE6EjNS0_10empty_typeEbEEZZNS1_14partition_implILS5_6ELb0ES3_mN6thrust23THRUST_200600_302600_NS6detail15normal_iteratorINSA_10device_ptrIjEEEEPS6_SG_NS0_5tupleIJSF_S6_EEENSH_IJSG_SG_EEES6_PlJNSB_9not_fun_tINSB_10functional5actorINSM_9compositeIJNSM_27transparent_binary_operatorINSA_8equal_toIvEEEENSN_INSM_8argumentILj0EEEEENSM_5valueIjEEEEEEEEEEEE10hipError_tPvRmT3_T4_T5_T6_T7_T9_mT8_P12ihipStream_tbDpT10_ENKUlT_T0_E_clISt17integral_constantIbLb1EES1K_EEDaS1F_S1G_EUlS1F_E_NS1_11comp_targetILNS1_3genE10ELNS1_11target_archE1200ELNS1_3gpuE4ELNS1_3repE0EEENS1_30default_config_static_selectorELNS0_4arch9wavefront6targetE0EEEvT1_,"axG",@progbits,_ZN7rocprim17ROCPRIM_400000_NS6detail17trampoline_kernelINS0_14default_configENS1_25partition_config_selectorILNS1_17partition_subalgoE6EjNS0_10empty_typeEbEEZZNS1_14partition_implILS5_6ELb0ES3_mN6thrust23THRUST_200600_302600_NS6detail15normal_iteratorINSA_10device_ptrIjEEEEPS6_SG_NS0_5tupleIJSF_S6_EEENSH_IJSG_SG_EEES6_PlJNSB_9not_fun_tINSB_10functional5actorINSM_9compositeIJNSM_27transparent_binary_operatorINSA_8equal_toIvEEEENSN_INSM_8argumentILj0EEEEENSM_5valueIjEEEEEEEEEEEE10hipError_tPvRmT3_T4_T5_T6_T7_T9_mT8_P12ihipStream_tbDpT10_ENKUlT_T0_E_clISt17integral_constantIbLb1EES1K_EEDaS1F_S1G_EUlS1F_E_NS1_11comp_targetILNS1_3genE10ELNS1_11target_archE1200ELNS1_3gpuE4ELNS1_3repE0EEENS1_30default_config_static_selectorELNS0_4arch9wavefront6targetE0EEEvT1_,comdat
.Lfunc_end126:
	.size	_ZN7rocprim17ROCPRIM_400000_NS6detail17trampoline_kernelINS0_14default_configENS1_25partition_config_selectorILNS1_17partition_subalgoE6EjNS0_10empty_typeEbEEZZNS1_14partition_implILS5_6ELb0ES3_mN6thrust23THRUST_200600_302600_NS6detail15normal_iteratorINSA_10device_ptrIjEEEEPS6_SG_NS0_5tupleIJSF_S6_EEENSH_IJSG_SG_EEES6_PlJNSB_9not_fun_tINSB_10functional5actorINSM_9compositeIJNSM_27transparent_binary_operatorINSA_8equal_toIvEEEENSN_INSM_8argumentILj0EEEEENSM_5valueIjEEEEEEEEEEEE10hipError_tPvRmT3_T4_T5_T6_T7_T9_mT8_P12ihipStream_tbDpT10_ENKUlT_T0_E_clISt17integral_constantIbLb1EES1K_EEDaS1F_S1G_EUlS1F_E_NS1_11comp_targetILNS1_3genE10ELNS1_11target_archE1200ELNS1_3gpuE4ELNS1_3repE0EEENS1_30default_config_static_selectorELNS0_4arch9wavefront6targetE0EEEvT1_, .Lfunc_end126-_ZN7rocprim17ROCPRIM_400000_NS6detail17trampoline_kernelINS0_14default_configENS1_25partition_config_selectorILNS1_17partition_subalgoE6EjNS0_10empty_typeEbEEZZNS1_14partition_implILS5_6ELb0ES3_mN6thrust23THRUST_200600_302600_NS6detail15normal_iteratorINSA_10device_ptrIjEEEEPS6_SG_NS0_5tupleIJSF_S6_EEENSH_IJSG_SG_EEES6_PlJNSB_9not_fun_tINSB_10functional5actorINSM_9compositeIJNSM_27transparent_binary_operatorINSA_8equal_toIvEEEENSN_INSM_8argumentILj0EEEEENSM_5valueIjEEEEEEEEEEEE10hipError_tPvRmT3_T4_T5_T6_T7_T9_mT8_P12ihipStream_tbDpT10_ENKUlT_T0_E_clISt17integral_constantIbLb1EES1K_EEDaS1F_S1G_EUlS1F_E_NS1_11comp_targetILNS1_3genE10ELNS1_11target_archE1200ELNS1_3gpuE4ELNS1_3repE0EEENS1_30default_config_static_selectorELNS0_4arch9wavefront6targetE0EEEvT1_
                                        ; -- End function
	.set _ZN7rocprim17ROCPRIM_400000_NS6detail17trampoline_kernelINS0_14default_configENS1_25partition_config_selectorILNS1_17partition_subalgoE6EjNS0_10empty_typeEbEEZZNS1_14partition_implILS5_6ELb0ES3_mN6thrust23THRUST_200600_302600_NS6detail15normal_iteratorINSA_10device_ptrIjEEEEPS6_SG_NS0_5tupleIJSF_S6_EEENSH_IJSG_SG_EEES6_PlJNSB_9not_fun_tINSB_10functional5actorINSM_9compositeIJNSM_27transparent_binary_operatorINSA_8equal_toIvEEEENSN_INSM_8argumentILj0EEEEENSM_5valueIjEEEEEEEEEEEE10hipError_tPvRmT3_T4_T5_T6_T7_T9_mT8_P12ihipStream_tbDpT10_ENKUlT_T0_E_clISt17integral_constantIbLb1EES1K_EEDaS1F_S1G_EUlS1F_E_NS1_11comp_targetILNS1_3genE10ELNS1_11target_archE1200ELNS1_3gpuE4ELNS1_3repE0EEENS1_30default_config_static_selectorELNS0_4arch9wavefront6targetE0EEEvT1_.num_vgpr, 0
	.set _ZN7rocprim17ROCPRIM_400000_NS6detail17trampoline_kernelINS0_14default_configENS1_25partition_config_selectorILNS1_17partition_subalgoE6EjNS0_10empty_typeEbEEZZNS1_14partition_implILS5_6ELb0ES3_mN6thrust23THRUST_200600_302600_NS6detail15normal_iteratorINSA_10device_ptrIjEEEEPS6_SG_NS0_5tupleIJSF_S6_EEENSH_IJSG_SG_EEES6_PlJNSB_9not_fun_tINSB_10functional5actorINSM_9compositeIJNSM_27transparent_binary_operatorINSA_8equal_toIvEEEENSN_INSM_8argumentILj0EEEEENSM_5valueIjEEEEEEEEEEEE10hipError_tPvRmT3_T4_T5_T6_T7_T9_mT8_P12ihipStream_tbDpT10_ENKUlT_T0_E_clISt17integral_constantIbLb1EES1K_EEDaS1F_S1G_EUlS1F_E_NS1_11comp_targetILNS1_3genE10ELNS1_11target_archE1200ELNS1_3gpuE4ELNS1_3repE0EEENS1_30default_config_static_selectorELNS0_4arch9wavefront6targetE0EEEvT1_.num_agpr, 0
	.set _ZN7rocprim17ROCPRIM_400000_NS6detail17trampoline_kernelINS0_14default_configENS1_25partition_config_selectorILNS1_17partition_subalgoE6EjNS0_10empty_typeEbEEZZNS1_14partition_implILS5_6ELb0ES3_mN6thrust23THRUST_200600_302600_NS6detail15normal_iteratorINSA_10device_ptrIjEEEEPS6_SG_NS0_5tupleIJSF_S6_EEENSH_IJSG_SG_EEES6_PlJNSB_9not_fun_tINSB_10functional5actorINSM_9compositeIJNSM_27transparent_binary_operatorINSA_8equal_toIvEEEENSN_INSM_8argumentILj0EEEEENSM_5valueIjEEEEEEEEEEEE10hipError_tPvRmT3_T4_T5_T6_T7_T9_mT8_P12ihipStream_tbDpT10_ENKUlT_T0_E_clISt17integral_constantIbLb1EES1K_EEDaS1F_S1G_EUlS1F_E_NS1_11comp_targetILNS1_3genE10ELNS1_11target_archE1200ELNS1_3gpuE4ELNS1_3repE0EEENS1_30default_config_static_selectorELNS0_4arch9wavefront6targetE0EEEvT1_.numbered_sgpr, 0
	.set _ZN7rocprim17ROCPRIM_400000_NS6detail17trampoline_kernelINS0_14default_configENS1_25partition_config_selectorILNS1_17partition_subalgoE6EjNS0_10empty_typeEbEEZZNS1_14partition_implILS5_6ELb0ES3_mN6thrust23THRUST_200600_302600_NS6detail15normal_iteratorINSA_10device_ptrIjEEEEPS6_SG_NS0_5tupleIJSF_S6_EEENSH_IJSG_SG_EEES6_PlJNSB_9not_fun_tINSB_10functional5actorINSM_9compositeIJNSM_27transparent_binary_operatorINSA_8equal_toIvEEEENSN_INSM_8argumentILj0EEEEENSM_5valueIjEEEEEEEEEEEE10hipError_tPvRmT3_T4_T5_T6_T7_T9_mT8_P12ihipStream_tbDpT10_ENKUlT_T0_E_clISt17integral_constantIbLb1EES1K_EEDaS1F_S1G_EUlS1F_E_NS1_11comp_targetILNS1_3genE10ELNS1_11target_archE1200ELNS1_3gpuE4ELNS1_3repE0EEENS1_30default_config_static_selectorELNS0_4arch9wavefront6targetE0EEEvT1_.num_named_barrier, 0
	.set _ZN7rocprim17ROCPRIM_400000_NS6detail17trampoline_kernelINS0_14default_configENS1_25partition_config_selectorILNS1_17partition_subalgoE6EjNS0_10empty_typeEbEEZZNS1_14partition_implILS5_6ELb0ES3_mN6thrust23THRUST_200600_302600_NS6detail15normal_iteratorINSA_10device_ptrIjEEEEPS6_SG_NS0_5tupleIJSF_S6_EEENSH_IJSG_SG_EEES6_PlJNSB_9not_fun_tINSB_10functional5actorINSM_9compositeIJNSM_27transparent_binary_operatorINSA_8equal_toIvEEEENSN_INSM_8argumentILj0EEEEENSM_5valueIjEEEEEEEEEEEE10hipError_tPvRmT3_T4_T5_T6_T7_T9_mT8_P12ihipStream_tbDpT10_ENKUlT_T0_E_clISt17integral_constantIbLb1EES1K_EEDaS1F_S1G_EUlS1F_E_NS1_11comp_targetILNS1_3genE10ELNS1_11target_archE1200ELNS1_3gpuE4ELNS1_3repE0EEENS1_30default_config_static_selectorELNS0_4arch9wavefront6targetE0EEEvT1_.private_seg_size, 0
	.set _ZN7rocprim17ROCPRIM_400000_NS6detail17trampoline_kernelINS0_14default_configENS1_25partition_config_selectorILNS1_17partition_subalgoE6EjNS0_10empty_typeEbEEZZNS1_14partition_implILS5_6ELb0ES3_mN6thrust23THRUST_200600_302600_NS6detail15normal_iteratorINSA_10device_ptrIjEEEEPS6_SG_NS0_5tupleIJSF_S6_EEENSH_IJSG_SG_EEES6_PlJNSB_9not_fun_tINSB_10functional5actorINSM_9compositeIJNSM_27transparent_binary_operatorINSA_8equal_toIvEEEENSN_INSM_8argumentILj0EEEEENSM_5valueIjEEEEEEEEEEEE10hipError_tPvRmT3_T4_T5_T6_T7_T9_mT8_P12ihipStream_tbDpT10_ENKUlT_T0_E_clISt17integral_constantIbLb1EES1K_EEDaS1F_S1G_EUlS1F_E_NS1_11comp_targetILNS1_3genE10ELNS1_11target_archE1200ELNS1_3gpuE4ELNS1_3repE0EEENS1_30default_config_static_selectorELNS0_4arch9wavefront6targetE0EEEvT1_.uses_vcc, 0
	.set _ZN7rocprim17ROCPRIM_400000_NS6detail17trampoline_kernelINS0_14default_configENS1_25partition_config_selectorILNS1_17partition_subalgoE6EjNS0_10empty_typeEbEEZZNS1_14partition_implILS5_6ELb0ES3_mN6thrust23THRUST_200600_302600_NS6detail15normal_iteratorINSA_10device_ptrIjEEEEPS6_SG_NS0_5tupleIJSF_S6_EEENSH_IJSG_SG_EEES6_PlJNSB_9not_fun_tINSB_10functional5actorINSM_9compositeIJNSM_27transparent_binary_operatorINSA_8equal_toIvEEEENSN_INSM_8argumentILj0EEEEENSM_5valueIjEEEEEEEEEEEE10hipError_tPvRmT3_T4_T5_T6_T7_T9_mT8_P12ihipStream_tbDpT10_ENKUlT_T0_E_clISt17integral_constantIbLb1EES1K_EEDaS1F_S1G_EUlS1F_E_NS1_11comp_targetILNS1_3genE10ELNS1_11target_archE1200ELNS1_3gpuE4ELNS1_3repE0EEENS1_30default_config_static_selectorELNS0_4arch9wavefront6targetE0EEEvT1_.uses_flat_scratch, 0
	.set _ZN7rocprim17ROCPRIM_400000_NS6detail17trampoline_kernelINS0_14default_configENS1_25partition_config_selectorILNS1_17partition_subalgoE6EjNS0_10empty_typeEbEEZZNS1_14partition_implILS5_6ELb0ES3_mN6thrust23THRUST_200600_302600_NS6detail15normal_iteratorINSA_10device_ptrIjEEEEPS6_SG_NS0_5tupleIJSF_S6_EEENSH_IJSG_SG_EEES6_PlJNSB_9not_fun_tINSB_10functional5actorINSM_9compositeIJNSM_27transparent_binary_operatorINSA_8equal_toIvEEEENSN_INSM_8argumentILj0EEEEENSM_5valueIjEEEEEEEEEEEE10hipError_tPvRmT3_T4_T5_T6_T7_T9_mT8_P12ihipStream_tbDpT10_ENKUlT_T0_E_clISt17integral_constantIbLb1EES1K_EEDaS1F_S1G_EUlS1F_E_NS1_11comp_targetILNS1_3genE10ELNS1_11target_archE1200ELNS1_3gpuE4ELNS1_3repE0EEENS1_30default_config_static_selectorELNS0_4arch9wavefront6targetE0EEEvT1_.has_dyn_sized_stack, 0
	.set _ZN7rocprim17ROCPRIM_400000_NS6detail17trampoline_kernelINS0_14default_configENS1_25partition_config_selectorILNS1_17partition_subalgoE6EjNS0_10empty_typeEbEEZZNS1_14partition_implILS5_6ELb0ES3_mN6thrust23THRUST_200600_302600_NS6detail15normal_iteratorINSA_10device_ptrIjEEEEPS6_SG_NS0_5tupleIJSF_S6_EEENSH_IJSG_SG_EEES6_PlJNSB_9not_fun_tINSB_10functional5actorINSM_9compositeIJNSM_27transparent_binary_operatorINSA_8equal_toIvEEEENSN_INSM_8argumentILj0EEEEENSM_5valueIjEEEEEEEEEEEE10hipError_tPvRmT3_T4_T5_T6_T7_T9_mT8_P12ihipStream_tbDpT10_ENKUlT_T0_E_clISt17integral_constantIbLb1EES1K_EEDaS1F_S1G_EUlS1F_E_NS1_11comp_targetILNS1_3genE10ELNS1_11target_archE1200ELNS1_3gpuE4ELNS1_3repE0EEENS1_30default_config_static_selectorELNS0_4arch9wavefront6targetE0EEEvT1_.has_recursion, 0
	.set _ZN7rocprim17ROCPRIM_400000_NS6detail17trampoline_kernelINS0_14default_configENS1_25partition_config_selectorILNS1_17partition_subalgoE6EjNS0_10empty_typeEbEEZZNS1_14partition_implILS5_6ELb0ES3_mN6thrust23THRUST_200600_302600_NS6detail15normal_iteratorINSA_10device_ptrIjEEEEPS6_SG_NS0_5tupleIJSF_S6_EEENSH_IJSG_SG_EEES6_PlJNSB_9not_fun_tINSB_10functional5actorINSM_9compositeIJNSM_27transparent_binary_operatorINSA_8equal_toIvEEEENSN_INSM_8argumentILj0EEEEENSM_5valueIjEEEEEEEEEEEE10hipError_tPvRmT3_T4_T5_T6_T7_T9_mT8_P12ihipStream_tbDpT10_ENKUlT_T0_E_clISt17integral_constantIbLb1EES1K_EEDaS1F_S1G_EUlS1F_E_NS1_11comp_targetILNS1_3genE10ELNS1_11target_archE1200ELNS1_3gpuE4ELNS1_3repE0EEENS1_30default_config_static_selectorELNS0_4arch9wavefront6targetE0EEEvT1_.has_indirect_call, 0
	.section	.AMDGPU.csdata,"",@progbits
; Kernel info:
; codeLenInByte = 4
; TotalNumSgprs: 0
; NumVgprs: 0
; ScratchSize: 0
; MemoryBound: 0
; FloatMode: 240
; IeeeMode: 1
; LDSByteSize: 0 bytes/workgroup (compile time only)
; SGPRBlocks: 0
; VGPRBlocks: 0
; NumSGPRsForWavesPerEU: 1
; NumVGPRsForWavesPerEU: 1
; Occupancy: 16
; WaveLimiterHint : 0
; COMPUTE_PGM_RSRC2:SCRATCH_EN: 0
; COMPUTE_PGM_RSRC2:USER_SGPR: 2
; COMPUTE_PGM_RSRC2:TRAP_HANDLER: 0
; COMPUTE_PGM_RSRC2:TGID_X_EN: 1
; COMPUTE_PGM_RSRC2:TGID_Y_EN: 0
; COMPUTE_PGM_RSRC2:TGID_Z_EN: 0
; COMPUTE_PGM_RSRC2:TIDIG_COMP_CNT: 0
	.section	.text._ZN7rocprim17ROCPRIM_400000_NS6detail17trampoline_kernelINS0_14default_configENS1_25partition_config_selectorILNS1_17partition_subalgoE6EjNS0_10empty_typeEbEEZZNS1_14partition_implILS5_6ELb0ES3_mN6thrust23THRUST_200600_302600_NS6detail15normal_iteratorINSA_10device_ptrIjEEEEPS6_SG_NS0_5tupleIJSF_S6_EEENSH_IJSG_SG_EEES6_PlJNSB_9not_fun_tINSB_10functional5actorINSM_9compositeIJNSM_27transparent_binary_operatorINSA_8equal_toIvEEEENSN_INSM_8argumentILj0EEEEENSM_5valueIjEEEEEEEEEEEE10hipError_tPvRmT3_T4_T5_T6_T7_T9_mT8_P12ihipStream_tbDpT10_ENKUlT_T0_E_clISt17integral_constantIbLb1EES1K_EEDaS1F_S1G_EUlS1F_E_NS1_11comp_targetILNS1_3genE9ELNS1_11target_archE1100ELNS1_3gpuE3ELNS1_3repE0EEENS1_30default_config_static_selectorELNS0_4arch9wavefront6targetE0EEEvT1_,"axG",@progbits,_ZN7rocprim17ROCPRIM_400000_NS6detail17trampoline_kernelINS0_14default_configENS1_25partition_config_selectorILNS1_17partition_subalgoE6EjNS0_10empty_typeEbEEZZNS1_14partition_implILS5_6ELb0ES3_mN6thrust23THRUST_200600_302600_NS6detail15normal_iteratorINSA_10device_ptrIjEEEEPS6_SG_NS0_5tupleIJSF_S6_EEENSH_IJSG_SG_EEES6_PlJNSB_9not_fun_tINSB_10functional5actorINSM_9compositeIJNSM_27transparent_binary_operatorINSA_8equal_toIvEEEENSN_INSM_8argumentILj0EEEEENSM_5valueIjEEEEEEEEEEEE10hipError_tPvRmT3_T4_T5_T6_T7_T9_mT8_P12ihipStream_tbDpT10_ENKUlT_T0_E_clISt17integral_constantIbLb1EES1K_EEDaS1F_S1G_EUlS1F_E_NS1_11comp_targetILNS1_3genE9ELNS1_11target_archE1100ELNS1_3gpuE3ELNS1_3repE0EEENS1_30default_config_static_selectorELNS0_4arch9wavefront6targetE0EEEvT1_,comdat
	.protected	_ZN7rocprim17ROCPRIM_400000_NS6detail17trampoline_kernelINS0_14default_configENS1_25partition_config_selectorILNS1_17partition_subalgoE6EjNS0_10empty_typeEbEEZZNS1_14partition_implILS5_6ELb0ES3_mN6thrust23THRUST_200600_302600_NS6detail15normal_iteratorINSA_10device_ptrIjEEEEPS6_SG_NS0_5tupleIJSF_S6_EEENSH_IJSG_SG_EEES6_PlJNSB_9not_fun_tINSB_10functional5actorINSM_9compositeIJNSM_27transparent_binary_operatorINSA_8equal_toIvEEEENSN_INSM_8argumentILj0EEEEENSM_5valueIjEEEEEEEEEEEE10hipError_tPvRmT3_T4_T5_T6_T7_T9_mT8_P12ihipStream_tbDpT10_ENKUlT_T0_E_clISt17integral_constantIbLb1EES1K_EEDaS1F_S1G_EUlS1F_E_NS1_11comp_targetILNS1_3genE9ELNS1_11target_archE1100ELNS1_3gpuE3ELNS1_3repE0EEENS1_30default_config_static_selectorELNS0_4arch9wavefront6targetE0EEEvT1_ ; -- Begin function _ZN7rocprim17ROCPRIM_400000_NS6detail17trampoline_kernelINS0_14default_configENS1_25partition_config_selectorILNS1_17partition_subalgoE6EjNS0_10empty_typeEbEEZZNS1_14partition_implILS5_6ELb0ES3_mN6thrust23THRUST_200600_302600_NS6detail15normal_iteratorINSA_10device_ptrIjEEEEPS6_SG_NS0_5tupleIJSF_S6_EEENSH_IJSG_SG_EEES6_PlJNSB_9not_fun_tINSB_10functional5actorINSM_9compositeIJNSM_27transparent_binary_operatorINSA_8equal_toIvEEEENSN_INSM_8argumentILj0EEEEENSM_5valueIjEEEEEEEEEEEE10hipError_tPvRmT3_T4_T5_T6_T7_T9_mT8_P12ihipStream_tbDpT10_ENKUlT_T0_E_clISt17integral_constantIbLb1EES1K_EEDaS1F_S1G_EUlS1F_E_NS1_11comp_targetILNS1_3genE9ELNS1_11target_archE1100ELNS1_3gpuE3ELNS1_3repE0EEENS1_30default_config_static_selectorELNS0_4arch9wavefront6targetE0EEEvT1_
	.globl	_ZN7rocprim17ROCPRIM_400000_NS6detail17trampoline_kernelINS0_14default_configENS1_25partition_config_selectorILNS1_17partition_subalgoE6EjNS0_10empty_typeEbEEZZNS1_14partition_implILS5_6ELb0ES3_mN6thrust23THRUST_200600_302600_NS6detail15normal_iteratorINSA_10device_ptrIjEEEEPS6_SG_NS0_5tupleIJSF_S6_EEENSH_IJSG_SG_EEES6_PlJNSB_9not_fun_tINSB_10functional5actorINSM_9compositeIJNSM_27transparent_binary_operatorINSA_8equal_toIvEEEENSN_INSM_8argumentILj0EEEEENSM_5valueIjEEEEEEEEEEEE10hipError_tPvRmT3_T4_T5_T6_T7_T9_mT8_P12ihipStream_tbDpT10_ENKUlT_T0_E_clISt17integral_constantIbLb1EES1K_EEDaS1F_S1G_EUlS1F_E_NS1_11comp_targetILNS1_3genE9ELNS1_11target_archE1100ELNS1_3gpuE3ELNS1_3repE0EEENS1_30default_config_static_selectorELNS0_4arch9wavefront6targetE0EEEvT1_
	.p2align	8
	.type	_ZN7rocprim17ROCPRIM_400000_NS6detail17trampoline_kernelINS0_14default_configENS1_25partition_config_selectorILNS1_17partition_subalgoE6EjNS0_10empty_typeEbEEZZNS1_14partition_implILS5_6ELb0ES3_mN6thrust23THRUST_200600_302600_NS6detail15normal_iteratorINSA_10device_ptrIjEEEEPS6_SG_NS0_5tupleIJSF_S6_EEENSH_IJSG_SG_EEES6_PlJNSB_9not_fun_tINSB_10functional5actorINSM_9compositeIJNSM_27transparent_binary_operatorINSA_8equal_toIvEEEENSN_INSM_8argumentILj0EEEEENSM_5valueIjEEEEEEEEEEEE10hipError_tPvRmT3_T4_T5_T6_T7_T9_mT8_P12ihipStream_tbDpT10_ENKUlT_T0_E_clISt17integral_constantIbLb1EES1K_EEDaS1F_S1G_EUlS1F_E_NS1_11comp_targetILNS1_3genE9ELNS1_11target_archE1100ELNS1_3gpuE3ELNS1_3repE0EEENS1_30default_config_static_selectorELNS0_4arch9wavefront6targetE0EEEvT1_,@function
_ZN7rocprim17ROCPRIM_400000_NS6detail17trampoline_kernelINS0_14default_configENS1_25partition_config_selectorILNS1_17partition_subalgoE6EjNS0_10empty_typeEbEEZZNS1_14partition_implILS5_6ELb0ES3_mN6thrust23THRUST_200600_302600_NS6detail15normal_iteratorINSA_10device_ptrIjEEEEPS6_SG_NS0_5tupleIJSF_S6_EEENSH_IJSG_SG_EEES6_PlJNSB_9not_fun_tINSB_10functional5actorINSM_9compositeIJNSM_27transparent_binary_operatorINSA_8equal_toIvEEEENSN_INSM_8argumentILj0EEEEENSM_5valueIjEEEEEEEEEEEE10hipError_tPvRmT3_T4_T5_T6_T7_T9_mT8_P12ihipStream_tbDpT10_ENKUlT_T0_E_clISt17integral_constantIbLb1EES1K_EEDaS1F_S1G_EUlS1F_E_NS1_11comp_targetILNS1_3genE9ELNS1_11target_archE1100ELNS1_3gpuE3ELNS1_3repE0EEENS1_30default_config_static_selectorELNS0_4arch9wavefront6targetE0EEEvT1_: ; @_ZN7rocprim17ROCPRIM_400000_NS6detail17trampoline_kernelINS0_14default_configENS1_25partition_config_selectorILNS1_17partition_subalgoE6EjNS0_10empty_typeEbEEZZNS1_14partition_implILS5_6ELb0ES3_mN6thrust23THRUST_200600_302600_NS6detail15normal_iteratorINSA_10device_ptrIjEEEEPS6_SG_NS0_5tupleIJSF_S6_EEENSH_IJSG_SG_EEES6_PlJNSB_9not_fun_tINSB_10functional5actorINSM_9compositeIJNSM_27transparent_binary_operatorINSA_8equal_toIvEEEENSN_INSM_8argumentILj0EEEEENSM_5valueIjEEEEEEEEEEEE10hipError_tPvRmT3_T4_T5_T6_T7_T9_mT8_P12ihipStream_tbDpT10_ENKUlT_T0_E_clISt17integral_constantIbLb1EES1K_EEDaS1F_S1G_EUlS1F_E_NS1_11comp_targetILNS1_3genE9ELNS1_11target_archE1100ELNS1_3gpuE3ELNS1_3repE0EEENS1_30default_config_static_selectorELNS0_4arch9wavefront6targetE0EEEvT1_
; %bb.0:
	.section	.rodata,"a",@progbits
	.p2align	6, 0x0
	.amdhsa_kernel _ZN7rocprim17ROCPRIM_400000_NS6detail17trampoline_kernelINS0_14default_configENS1_25partition_config_selectorILNS1_17partition_subalgoE6EjNS0_10empty_typeEbEEZZNS1_14partition_implILS5_6ELb0ES3_mN6thrust23THRUST_200600_302600_NS6detail15normal_iteratorINSA_10device_ptrIjEEEEPS6_SG_NS0_5tupleIJSF_S6_EEENSH_IJSG_SG_EEES6_PlJNSB_9not_fun_tINSB_10functional5actorINSM_9compositeIJNSM_27transparent_binary_operatorINSA_8equal_toIvEEEENSN_INSM_8argumentILj0EEEEENSM_5valueIjEEEEEEEEEEEE10hipError_tPvRmT3_T4_T5_T6_T7_T9_mT8_P12ihipStream_tbDpT10_ENKUlT_T0_E_clISt17integral_constantIbLb1EES1K_EEDaS1F_S1G_EUlS1F_E_NS1_11comp_targetILNS1_3genE9ELNS1_11target_archE1100ELNS1_3gpuE3ELNS1_3repE0EEENS1_30default_config_static_selectorELNS0_4arch9wavefront6targetE0EEEvT1_
		.amdhsa_group_segment_fixed_size 0
		.amdhsa_private_segment_fixed_size 0
		.amdhsa_kernarg_size 128
		.amdhsa_user_sgpr_count 2
		.amdhsa_user_sgpr_dispatch_ptr 0
		.amdhsa_user_sgpr_queue_ptr 0
		.amdhsa_user_sgpr_kernarg_segment_ptr 1
		.amdhsa_user_sgpr_dispatch_id 0
		.amdhsa_user_sgpr_private_segment_size 0
		.amdhsa_wavefront_size32 1
		.amdhsa_uses_dynamic_stack 0
		.amdhsa_enable_private_segment 0
		.amdhsa_system_sgpr_workgroup_id_x 1
		.amdhsa_system_sgpr_workgroup_id_y 0
		.amdhsa_system_sgpr_workgroup_id_z 0
		.amdhsa_system_sgpr_workgroup_info 0
		.amdhsa_system_vgpr_workitem_id 0
		.amdhsa_next_free_vgpr 1
		.amdhsa_next_free_sgpr 1
		.amdhsa_reserve_vcc 0
		.amdhsa_float_round_mode_32 0
		.amdhsa_float_round_mode_16_64 0
		.amdhsa_float_denorm_mode_32 3
		.amdhsa_float_denorm_mode_16_64 3
		.amdhsa_fp16_overflow 0
		.amdhsa_workgroup_processor_mode 1
		.amdhsa_memory_ordered 1
		.amdhsa_forward_progress 1
		.amdhsa_inst_pref_size 0
		.amdhsa_round_robin_scheduling 0
		.amdhsa_exception_fp_ieee_invalid_op 0
		.amdhsa_exception_fp_denorm_src 0
		.amdhsa_exception_fp_ieee_div_zero 0
		.amdhsa_exception_fp_ieee_overflow 0
		.amdhsa_exception_fp_ieee_underflow 0
		.amdhsa_exception_fp_ieee_inexact 0
		.amdhsa_exception_int_div_zero 0
	.end_amdhsa_kernel
	.section	.text._ZN7rocprim17ROCPRIM_400000_NS6detail17trampoline_kernelINS0_14default_configENS1_25partition_config_selectorILNS1_17partition_subalgoE6EjNS0_10empty_typeEbEEZZNS1_14partition_implILS5_6ELb0ES3_mN6thrust23THRUST_200600_302600_NS6detail15normal_iteratorINSA_10device_ptrIjEEEEPS6_SG_NS0_5tupleIJSF_S6_EEENSH_IJSG_SG_EEES6_PlJNSB_9not_fun_tINSB_10functional5actorINSM_9compositeIJNSM_27transparent_binary_operatorINSA_8equal_toIvEEEENSN_INSM_8argumentILj0EEEEENSM_5valueIjEEEEEEEEEEEE10hipError_tPvRmT3_T4_T5_T6_T7_T9_mT8_P12ihipStream_tbDpT10_ENKUlT_T0_E_clISt17integral_constantIbLb1EES1K_EEDaS1F_S1G_EUlS1F_E_NS1_11comp_targetILNS1_3genE9ELNS1_11target_archE1100ELNS1_3gpuE3ELNS1_3repE0EEENS1_30default_config_static_selectorELNS0_4arch9wavefront6targetE0EEEvT1_,"axG",@progbits,_ZN7rocprim17ROCPRIM_400000_NS6detail17trampoline_kernelINS0_14default_configENS1_25partition_config_selectorILNS1_17partition_subalgoE6EjNS0_10empty_typeEbEEZZNS1_14partition_implILS5_6ELb0ES3_mN6thrust23THRUST_200600_302600_NS6detail15normal_iteratorINSA_10device_ptrIjEEEEPS6_SG_NS0_5tupleIJSF_S6_EEENSH_IJSG_SG_EEES6_PlJNSB_9not_fun_tINSB_10functional5actorINSM_9compositeIJNSM_27transparent_binary_operatorINSA_8equal_toIvEEEENSN_INSM_8argumentILj0EEEEENSM_5valueIjEEEEEEEEEEEE10hipError_tPvRmT3_T4_T5_T6_T7_T9_mT8_P12ihipStream_tbDpT10_ENKUlT_T0_E_clISt17integral_constantIbLb1EES1K_EEDaS1F_S1G_EUlS1F_E_NS1_11comp_targetILNS1_3genE9ELNS1_11target_archE1100ELNS1_3gpuE3ELNS1_3repE0EEENS1_30default_config_static_selectorELNS0_4arch9wavefront6targetE0EEEvT1_,comdat
.Lfunc_end127:
	.size	_ZN7rocprim17ROCPRIM_400000_NS6detail17trampoline_kernelINS0_14default_configENS1_25partition_config_selectorILNS1_17partition_subalgoE6EjNS0_10empty_typeEbEEZZNS1_14partition_implILS5_6ELb0ES3_mN6thrust23THRUST_200600_302600_NS6detail15normal_iteratorINSA_10device_ptrIjEEEEPS6_SG_NS0_5tupleIJSF_S6_EEENSH_IJSG_SG_EEES6_PlJNSB_9not_fun_tINSB_10functional5actorINSM_9compositeIJNSM_27transparent_binary_operatorINSA_8equal_toIvEEEENSN_INSM_8argumentILj0EEEEENSM_5valueIjEEEEEEEEEEEE10hipError_tPvRmT3_T4_T5_T6_T7_T9_mT8_P12ihipStream_tbDpT10_ENKUlT_T0_E_clISt17integral_constantIbLb1EES1K_EEDaS1F_S1G_EUlS1F_E_NS1_11comp_targetILNS1_3genE9ELNS1_11target_archE1100ELNS1_3gpuE3ELNS1_3repE0EEENS1_30default_config_static_selectorELNS0_4arch9wavefront6targetE0EEEvT1_, .Lfunc_end127-_ZN7rocprim17ROCPRIM_400000_NS6detail17trampoline_kernelINS0_14default_configENS1_25partition_config_selectorILNS1_17partition_subalgoE6EjNS0_10empty_typeEbEEZZNS1_14partition_implILS5_6ELb0ES3_mN6thrust23THRUST_200600_302600_NS6detail15normal_iteratorINSA_10device_ptrIjEEEEPS6_SG_NS0_5tupleIJSF_S6_EEENSH_IJSG_SG_EEES6_PlJNSB_9not_fun_tINSB_10functional5actorINSM_9compositeIJNSM_27transparent_binary_operatorINSA_8equal_toIvEEEENSN_INSM_8argumentILj0EEEEENSM_5valueIjEEEEEEEEEEEE10hipError_tPvRmT3_T4_T5_T6_T7_T9_mT8_P12ihipStream_tbDpT10_ENKUlT_T0_E_clISt17integral_constantIbLb1EES1K_EEDaS1F_S1G_EUlS1F_E_NS1_11comp_targetILNS1_3genE9ELNS1_11target_archE1100ELNS1_3gpuE3ELNS1_3repE0EEENS1_30default_config_static_selectorELNS0_4arch9wavefront6targetE0EEEvT1_
                                        ; -- End function
	.set _ZN7rocprim17ROCPRIM_400000_NS6detail17trampoline_kernelINS0_14default_configENS1_25partition_config_selectorILNS1_17partition_subalgoE6EjNS0_10empty_typeEbEEZZNS1_14partition_implILS5_6ELb0ES3_mN6thrust23THRUST_200600_302600_NS6detail15normal_iteratorINSA_10device_ptrIjEEEEPS6_SG_NS0_5tupleIJSF_S6_EEENSH_IJSG_SG_EEES6_PlJNSB_9not_fun_tINSB_10functional5actorINSM_9compositeIJNSM_27transparent_binary_operatorINSA_8equal_toIvEEEENSN_INSM_8argumentILj0EEEEENSM_5valueIjEEEEEEEEEEEE10hipError_tPvRmT3_T4_T5_T6_T7_T9_mT8_P12ihipStream_tbDpT10_ENKUlT_T0_E_clISt17integral_constantIbLb1EES1K_EEDaS1F_S1G_EUlS1F_E_NS1_11comp_targetILNS1_3genE9ELNS1_11target_archE1100ELNS1_3gpuE3ELNS1_3repE0EEENS1_30default_config_static_selectorELNS0_4arch9wavefront6targetE0EEEvT1_.num_vgpr, 0
	.set _ZN7rocprim17ROCPRIM_400000_NS6detail17trampoline_kernelINS0_14default_configENS1_25partition_config_selectorILNS1_17partition_subalgoE6EjNS0_10empty_typeEbEEZZNS1_14partition_implILS5_6ELb0ES3_mN6thrust23THRUST_200600_302600_NS6detail15normal_iteratorINSA_10device_ptrIjEEEEPS6_SG_NS0_5tupleIJSF_S6_EEENSH_IJSG_SG_EEES6_PlJNSB_9not_fun_tINSB_10functional5actorINSM_9compositeIJNSM_27transparent_binary_operatorINSA_8equal_toIvEEEENSN_INSM_8argumentILj0EEEEENSM_5valueIjEEEEEEEEEEEE10hipError_tPvRmT3_T4_T5_T6_T7_T9_mT8_P12ihipStream_tbDpT10_ENKUlT_T0_E_clISt17integral_constantIbLb1EES1K_EEDaS1F_S1G_EUlS1F_E_NS1_11comp_targetILNS1_3genE9ELNS1_11target_archE1100ELNS1_3gpuE3ELNS1_3repE0EEENS1_30default_config_static_selectorELNS0_4arch9wavefront6targetE0EEEvT1_.num_agpr, 0
	.set _ZN7rocprim17ROCPRIM_400000_NS6detail17trampoline_kernelINS0_14default_configENS1_25partition_config_selectorILNS1_17partition_subalgoE6EjNS0_10empty_typeEbEEZZNS1_14partition_implILS5_6ELb0ES3_mN6thrust23THRUST_200600_302600_NS6detail15normal_iteratorINSA_10device_ptrIjEEEEPS6_SG_NS0_5tupleIJSF_S6_EEENSH_IJSG_SG_EEES6_PlJNSB_9not_fun_tINSB_10functional5actorINSM_9compositeIJNSM_27transparent_binary_operatorINSA_8equal_toIvEEEENSN_INSM_8argumentILj0EEEEENSM_5valueIjEEEEEEEEEEEE10hipError_tPvRmT3_T4_T5_T6_T7_T9_mT8_P12ihipStream_tbDpT10_ENKUlT_T0_E_clISt17integral_constantIbLb1EES1K_EEDaS1F_S1G_EUlS1F_E_NS1_11comp_targetILNS1_3genE9ELNS1_11target_archE1100ELNS1_3gpuE3ELNS1_3repE0EEENS1_30default_config_static_selectorELNS0_4arch9wavefront6targetE0EEEvT1_.numbered_sgpr, 0
	.set _ZN7rocprim17ROCPRIM_400000_NS6detail17trampoline_kernelINS0_14default_configENS1_25partition_config_selectorILNS1_17partition_subalgoE6EjNS0_10empty_typeEbEEZZNS1_14partition_implILS5_6ELb0ES3_mN6thrust23THRUST_200600_302600_NS6detail15normal_iteratorINSA_10device_ptrIjEEEEPS6_SG_NS0_5tupleIJSF_S6_EEENSH_IJSG_SG_EEES6_PlJNSB_9not_fun_tINSB_10functional5actorINSM_9compositeIJNSM_27transparent_binary_operatorINSA_8equal_toIvEEEENSN_INSM_8argumentILj0EEEEENSM_5valueIjEEEEEEEEEEEE10hipError_tPvRmT3_T4_T5_T6_T7_T9_mT8_P12ihipStream_tbDpT10_ENKUlT_T0_E_clISt17integral_constantIbLb1EES1K_EEDaS1F_S1G_EUlS1F_E_NS1_11comp_targetILNS1_3genE9ELNS1_11target_archE1100ELNS1_3gpuE3ELNS1_3repE0EEENS1_30default_config_static_selectorELNS0_4arch9wavefront6targetE0EEEvT1_.num_named_barrier, 0
	.set _ZN7rocprim17ROCPRIM_400000_NS6detail17trampoline_kernelINS0_14default_configENS1_25partition_config_selectorILNS1_17partition_subalgoE6EjNS0_10empty_typeEbEEZZNS1_14partition_implILS5_6ELb0ES3_mN6thrust23THRUST_200600_302600_NS6detail15normal_iteratorINSA_10device_ptrIjEEEEPS6_SG_NS0_5tupleIJSF_S6_EEENSH_IJSG_SG_EEES6_PlJNSB_9not_fun_tINSB_10functional5actorINSM_9compositeIJNSM_27transparent_binary_operatorINSA_8equal_toIvEEEENSN_INSM_8argumentILj0EEEEENSM_5valueIjEEEEEEEEEEEE10hipError_tPvRmT3_T4_T5_T6_T7_T9_mT8_P12ihipStream_tbDpT10_ENKUlT_T0_E_clISt17integral_constantIbLb1EES1K_EEDaS1F_S1G_EUlS1F_E_NS1_11comp_targetILNS1_3genE9ELNS1_11target_archE1100ELNS1_3gpuE3ELNS1_3repE0EEENS1_30default_config_static_selectorELNS0_4arch9wavefront6targetE0EEEvT1_.private_seg_size, 0
	.set _ZN7rocprim17ROCPRIM_400000_NS6detail17trampoline_kernelINS0_14default_configENS1_25partition_config_selectorILNS1_17partition_subalgoE6EjNS0_10empty_typeEbEEZZNS1_14partition_implILS5_6ELb0ES3_mN6thrust23THRUST_200600_302600_NS6detail15normal_iteratorINSA_10device_ptrIjEEEEPS6_SG_NS0_5tupleIJSF_S6_EEENSH_IJSG_SG_EEES6_PlJNSB_9not_fun_tINSB_10functional5actorINSM_9compositeIJNSM_27transparent_binary_operatorINSA_8equal_toIvEEEENSN_INSM_8argumentILj0EEEEENSM_5valueIjEEEEEEEEEEEE10hipError_tPvRmT3_T4_T5_T6_T7_T9_mT8_P12ihipStream_tbDpT10_ENKUlT_T0_E_clISt17integral_constantIbLb1EES1K_EEDaS1F_S1G_EUlS1F_E_NS1_11comp_targetILNS1_3genE9ELNS1_11target_archE1100ELNS1_3gpuE3ELNS1_3repE0EEENS1_30default_config_static_selectorELNS0_4arch9wavefront6targetE0EEEvT1_.uses_vcc, 0
	.set _ZN7rocprim17ROCPRIM_400000_NS6detail17trampoline_kernelINS0_14default_configENS1_25partition_config_selectorILNS1_17partition_subalgoE6EjNS0_10empty_typeEbEEZZNS1_14partition_implILS5_6ELb0ES3_mN6thrust23THRUST_200600_302600_NS6detail15normal_iteratorINSA_10device_ptrIjEEEEPS6_SG_NS0_5tupleIJSF_S6_EEENSH_IJSG_SG_EEES6_PlJNSB_9not_fun_tINSB_10functional5actorINSM_9compositeIJNSM_27transparent_binary_operatorINSA_8equal_toIvEEEENSN_INSM_8argumentILj0EEEEENSM_5valueIjEEEEEEEEEEEE10hipError_tPvRmT3_T4_T5_T6_T7_T9_mT8_P12ihipStream_tbDpT10_ENKUlT_T0_E_clISt17integral_constantIbLb1EES1K_EEDaS1F_S1G_EUlS1F_E_NS1_11comp_targetILNS1_3genE9ELNS1_11target_archE1100ELNS1_3gpuE3ELNS1_3repE0EEENS1_30default_config_static_selectorELNS0_4arch9wavefront6targetE0EEEvT1_.uses_flat_scratch, 0
	.set _ZN7rocprim17ROCPRIM_400000_NS6detail17trampoline_kernelINS0_14default_configENS1_25partition_config_selectorILNS1_17partition_subalgoE6EjNS0_10empty_typeEbEEZZNS1_14partition_implILS5_6ELb0ES3_mN6thrust23THRUST_200600_302600_NS6detail15normal_iteratorINSA_10device_ptrIjEEEEPS6_SG_NS0_5tupleIJSF_S6_EEENSH_IJSG_SG_EEES6_PlJNSB_9not_fun_tINSB_10functional5actorINSM_9compositeIJNSM_27transparent_binary_operatorINSA_8equal_toIvEEEENSN_INSM_8argumentILj0EEEEENSM_5valueIjEEEEEEEEEEEE10hipError_tPvRmT3_T4_T5_T6_T7_T9_mT8_P12ihipStream_tbDpT10_ENKUlT_T0_E_clISt17integral_constantIbLb1EES1K_EEDaS1F_S1G_EUlS1F_E_NS1_11comp_targetILNS1_3genE9ELNS1_11target_archE1100ELNS1_3gpuE3ELNS1_3repE0EEENS1_30default_config_static_selectorELNS0_4arch9wavefront6targetE0EEEvT1_.has_dyn_sized_stack, 0
	.set _ZN7rocprim17ROCPRIM_400000_NS6detail17trampoline_kernelINS0_14default_configENS1_25partition_config_selectorILNS1_17partition_subalgoE6EjNS0_10empty_typeEbEEZZNS1_14partition_implILS5_6ELb0ES3_mN6thrust23THRUST_200600_302600_NS6detail15normal_iteratorINSA_10device_ptrIjEEEEPS6_SG_NS0_5tupleIJSF_S6_EEENSH_IJSG_SG_EEES6_PlJNSB_9not_fun_tINSB_10functional5actorINSM_9compositeIJNSM_27transparent_binary_operatorINSA_8equal_toIvEEEENSN_INSM_8argumentILj0EEEEENSM_5valueIjEEEEEEEEEEEE10hipError_tPvRmT3_T4_T5_T6_T7_T9_mT8_P12ihipStream_tbDpT10_ENKUlT_T0_E_clISt17integral_constantIbLb1EES1K_EEDaS1F_S1G_EUlS1F_E_NS1_11comp_targetILNS1_3genE9ELNS1_11target_archE1100ELNS1_3gpuE3ELNS1_3repE0EEENS1_30default_config_static_selectorELNS0_4arch9wavefront6targetE0EEEvT1_.has_recursion, 0
	.set _ZN7rocprim17ROCPRIM_400000_NS6detail17trampoline_kernelINS0_14default_configENS1_25partition_config_selectorILNS1_17partition_subalgoE6EjNS0_10empty_typeEbEEZZNS1_14partition_implILS5_6ELb0ES3_mN6thrust23THRUST_200600_302600_NS6detail15normal_iteratorINSA_10device_ptrIjEEEEPS6_SG_NS0_5tupleIJSF_S6_EEENSH_IJSG_SG_EEES6_PlJNSB_9not_fun_tINSB_10functional5actorINSM_9compositeIJNSM_27transparent_binary_operatorINSA_8equal_toIvEEEENSN_INSM_8argumentILj0EEEEENSM_5valueIjEEEEEEEEEEEE10hipError_tPvRmT3_T4_T5_T6_T7_T9_mT8_P12ihipStream_tbDpT10_ENKUlT_T0_E_clISt17integral_constantIbLb1EES1K_EEDaS1F_S1G_EUlS1F_E_NS1_11comp_targetILNS1_3genE9ELNS1_11target_archE1100ELNS1_3gpuE3ELNS1_3repE0EEENS1_30default_config_static_selectorELNS0_4arch9wavefront6targetE0EEEvT1_.has_indirect_call, 0
	.section	.AMDGPU.csdata,"",@progbits
; Kernel info:
; codeLenInByte = 0
; TotalNumSgprs: 0
; NumVgprs: 0
; ScratchSize: 0
; MemoryBound: 0
; FloatMode: 240
; IeeeMode: 1
; LDSByteSize: 0 bytes/workgroup (compile time only)
; SGPRBlocks: 0
; VGPRBlocks: 0
; NumSGPRsForWavesPerEU: 1
; NumVGPRsForWavesPerEU: 1
; Occupancy: 16
; WaveLimiterHint : 0
; COMPUTE_PGM_RSRC2:SCRATCH_EN: 0
; COMPUTE_PGM_RSRC2:USER_SGPR: 2
; COMPUTE_PGM_RSRC2:TRAP_HANDLER: 0
; COMPUTE_PGM_RSRC2:TGID_X_EN: 1
; COMPUTE_PGM_RSRC2:TGID_Y_EN: 0
; COMPUTE_PGM_RSRC2:TGID_Z_EN: 0
; COMPUTE_PGM_RSRC2:TIDIG_COMP_CNT: 0
	.section	.text._ZN7rocprim17ROCPRIM_400000_NS6detail17trampoline_kernelINS0_14default_configENS1_25partition_config_selectorILNS1_17partition_subalgoE6EjNS0_10empty_typeEbEEZZNS1_14partition_implILS5_6ELb0ES3_mN6thrust23THRUST_200600_302600_NS6detail15normal_iteratorINSA_10device_ptrIjEEEEPS6_SG_NS0_5tupleIJSF_S6_EEENSH_IJSG_SG_EEES6_PlJNSB_9not_fun_tINSB_10functional5actorINSM_9compositeIJNSM_27transparent_binary_operatorINSA_8equal_toIvEEEENSN_INSM_8argumentILj0EEEEENSM_5valueIjEEEEEEEEEEEE10hipError_tPvRmT3_T4_T5_T6_T7_T9_mT8_P12ihipStream_tbDpT10_ENKUlT_T0_E_clISt17integral_constantIbLb1EES1K_EEDaS1F_S1G_EUlS1F_E_NS1_11comp_targetILNS1_3genE8ELNS1_11target_archE1030ELNS1_3gpuE2ELNS1_3repE0EEENS1_30default_config_static_selectorELNS0_4arch9wavefront6targetE0EEEvT1_,"axG",@progbits,_ZN7rocprim17ROCPRIM_400000_NS6detail17trampoline_kernelINS0_14default_configENS1_25partition_config_selectorILNS1_17partition_subalgoE6EjNS0_10empty_typeEbEEZZNS1_14partition_implILS5_6ELb0ES3_mN6thrust23THRUST_200600_302600_NS6detail15normal_iteratorINSA_10device_ptrIjEEEEPS6_SG_NS0_5tupleIJSF_S6_EEENSH_IJSG_SG_EEES6_PlJNSB_9not_fun_tINSB_10functional5actorINSM_9compositeIJNSM_27transparent_binary_operatorINSA_8equal_toIvEEEENSN_INSM_8argumentILj0EEEEENSM_5valueIjEEEEEEEEEEEE10hipError_tPvRmT3_T4_T5_T6_T7_T9_mT8_P12ihipStream_tbDpT10_ENKUlT_T0_E_clISt17integral_constantIbLb1EES1K_EEDaS1F_S1G_EUlS1F_E_NS1_11comp_targetILNS1_3genE8ELNS1_11target_archE1030ELNS1_3gpuE2ELNS1_3repE0EEENS1_30default_config_static_selectorELNS0_4arch9wavefront6targetE0EEEvT1_,comdat
	.protected	_ZN7rocprim17ROCPRIM_400000_NS6detail17trampoline_kernelINS0_14default_configENS1_25partition_config_selectorILNS1_17partition_subalgoE6EjNS0_10empty_typeEbEEZZNS1_14partition_implILS5_6ELb0ES3_mN6thrust23THRUST_200600_302600_NS6detail15normal_iteratorINSA_10device_ptrIjEEEEPS6_SG_NS0_5tupleIJSF_S6_EEENSH_IJSG_SG_EEES6_PlJNSB_9not_fun_tINSB_10functional5actorINSM_9compositeIJNSM_27transparent_binary_operatorINSA_8equal_toIvEEEENSN_INSM_8argumentILj0EEEEENSM_5valueIjEEEEEEEEEEEE10hipError_tPvRmT3_T4_T5_T6_T7_T9_mT8_P12ihipStream_tbDpT10_ENKUlT_T0_E_clISt17integral_constantIbLb1EES1K_EEDaS1F_S1G_EUlS1F_E_NS1_11comp_targetILNS1_3genE8ELNS1_11target_archE1030ELNS1_3gpuE2ELNS1_3repE0EEENS1_30default_config_static_selectorELNS0_4arch9wavefront6targetE0EEEvT1_ ; -- Begin function _ZN7rocprim17ROCPRIM_400000_NS6detail17trampoline_kernelINS0_14default_configENS1_25partition_config_selectorILNS1_17partition_subalgoE6EjNS0_10empty_typeEbEEZZNS1_14partition_implILS5_6ELb0ES3_mN6thrust23THRUST_200600_302600_NS6detail15normal_iteratorINSA_10device_ptrIjEEEEPS6_SG_NS0_5tupleIJSF_S6_EEENSH_IJSG_SG_EEES6_PlJNSB_9not_fun_tINSB_10functional5actorINSM_9compositeIJNSM_27transparent_binary_operatorINSA_8equal_toIvEEEENSN_INSM_8argumentILj0EEEEENSM_5valueIjEEEEEEEEEEEE10hipError_tPvRmT3_T4_T5_T6_T7_T9_mT8_P12ihipStream_tbDpT10_ENKUlT_T0_E_clISt17integral_constantIbLb1EES1K_EEDaS1F_S1G_EUlS1F_E_NS1_11comp_targetILNS1_3genE8ELNS1_11target_archE1030ELNS1_3gpuE2ELNS1_3repE0EEENS1_30default_config_static_selectorELNS0_4arch9wavefront6targetE0EEEvT1_
	.globl	_ZN7rocprim17ROCPRIM_400000_NS6detail17trampoline_kernelINS0_14default_configENS1_25partition_config_selectorILNS1_17partition_subalgoE6EjNS0_10empty_typeEbEEZZNS1_14partition_implILS5_6ELb0ES3_mN6thrust23THRUST_200600_302600_NS6detail15normal_iteratorINSA_10device_ptrIjEEEEPS6_SG_NS0_5tupleIJSF_S6_EEENSH_IJSG_SG_EEES6_PlJNSB_9not_fun_tINSB_10functional5actorINSM_9compositeIJNSM_27transparent_binary_operatorINSA_8equal_toIvEEEENSN_INSM_8argumentILj0EEEEENSM_5valueIjEEEEEEEEEEEE10hipError_tPvRmT3_T4_T5_T6_T7_T9_mT8_P12ihipStream_tbDpT10_ENKUlT_T0_E_clISt17integral_constantIbLb1EES1K_EEDaS1F_S1G_EUlS1F_E_NS1_11comp_targetILNS1_3genE8ELNS1_11target_archE1030ELNS1_3gpuE2ELNS1_3repE0EEENS1_30default_config_static_selectorELNS0_4arch9wavefront6targetE0EEEvT1_
	.p2align	8
	.type	_ZN7rocprim17ROCPRIM_400000_NS6detail17trampoline_kernelINS0_14default_configENS1_25partition_config_selectorILNS1_17partition_subalgoE6EjNS0_10empty_typeEbEEZZNS1_14partition_implILS5_6ELb0ES3_mN6thrust23THRUST_200600_302600_NS6detail15normal_iteratorINSA_10device_ptrIjEEEEPS6_SG_NS0_5tupleIJSF_S6_EEENSH_IJSG_SG_EEES6_PlJNSB_9not_fun_tINSB_10functional5actorINSM_9compositeIJNSM_27transparent_binary_operatorINSA_8equal_toIvEEEENSN_INSM_8argumentILj0EEEEENSM_5valueIjEEEEEEEEEEEE10hipError_tPvRmT3_T4_T5_T6_T7_T9_mT8_P12ihipStream_tbDpT10_ENKUlT_T0_E_clISt17integral_constantIbLb1EES1K_EEDaS1F_S1G_EUlS1F_E_NS1_11comp_targetILNS1_3genE8ELNS1_11target_archE1030ELNS1_3gpuE2ELNS1_3repE0EEENS1_30default_config_static_selectorELNS0_4arch9wavefront6targetE0EEEvT1_,@function
_ZN7rocprim17ROCPRIM_400000_NS6detail17trampoline_kernelINS0_14default_configENS1_25partition_config_selectorILNS1_17partition_subalgoE6EjNS0_10empty_typeEbEEZZNS1_14partition_implILS5_6ELb0ES3_mN6thrust23THRUST_200600_302600_NS6detail15normal_iteratorINSA_10device_ptrIjEEEEPS6_SG_NS0_5tupleIJSF_S6_EEENSH_IJSG_SG_EEES6_PlJNSB_9not_fun_tINSB_10functional5actorINSM_9compositeIJNSM_27transparent_binary_operatorINSA_8equal_toIvEEEENSN_INSM_8argumentILj0EEEEENSM_5valueIjEEEEEEEEEEEE10hipError_tPvRmT3_T4_T5_T6_T7_T9_mT8_P12ihipStream_tbDpT10_ENKUlT_T0_E_clISt17integral_constantIbLb1EES1K_EEDaS1F_S1G_EUlS1F_E_NS1_11comp_targetILNS1_3genE8ELNS1_11target_archE1030ELNS1_3gpuE2ELNS1_3repE0EEENS1_30default_config_static_selectorELNS0_4arch9wavefront6targetE0EEEvT1_: ; @_ZN7rocprim17ROCPRIM_400000_NS6detail17trampoline_kernelINS0_14default_configENS1_25partition_config_selectorILNS1_17partition_subalgoE6EjNS0_10empty_typeEbEEZZNS1_14partition_implILS5_6ELb0ES3_mN6thrust23THRUST_200600_302600_NS6detail15normal_iteratorINSA_10device_ptrIjEEEEPS6_SG_NS0_5tupleIJSF_S6_EEENSH_IJSG_SG_EEES6_PlJNSB_9not_fun_tINSB_10functional5actorINSM_9compositeIJNSM_27transparent_binary_operatorINSA_8equal_toIvEEEENSN_INSM_8argumentILj0EEEEENSM_5valueIjEEEEEEEEEEEE10hipError_tPvRmT3_T4_T5_T6_T7_T9_mT8_P12ihipStream_tbDpT10_ENKUlT_T0_E_clISt17integral_constantIbLb1EES1K_EEDaS1F_S1G_EUlS1F_E_NS1_11comp_targetILNS1_3genE8ELNS1_11target_archE1030ELNS1_3gpuE2ELNS1_3repE0EEENS1_30default_config_static_selectorELNS0_4arch9wavefront6targetE0EEEvT1_
; %bb.0:
	.section	.rodata,"a",@progbits
	.p2align	6, 0x0
	.amdhsa_kernel _ZN7rocprim17ROCPRIM_400000_NS6detail17trampoline_kernelINS0_14default_configENS1_25partition_config_selectorILNS1_17partition_subalgoE6EjNS0_10empty_typeEbEEZZNS1_14partition_implILS5_6ELb0ES3_mN6thrust23THRUST_200600_302600_NS6detail15normal_iteratorINSA_10device_ptrIjEEEEPS6_SG_NS0_5tupleIJSF_S6_EEENSH_IJSG_SG_EEES6_PlJNSB_9not_fun_tINSB_10functional5actorINSM_9compositeIJNSM_27transparent_binary_operatorINSA_8equal_toIvEEEENSN_INSM_8argumentILj0EEEEENSM_5valueIjEEEEEEEEEEEE10hipError_tPvRmT3_T4_T5_T6_T7_T9_mT8_P12ihipStream_tbDpT10_ENKUlT_T0_E_clISt17integral_constantIbLb1EES1K_EEDaS1F_S1G_EUlS1F_E_NS1_11comp_targetILNS1_3genE8ELNS1_11target_archE1030ELNS1_3gpuE2ELNS1_3repE0EEENS1_30default_config_static_selectorELNS0_4arch9wavefront6targetE0EEEvT1_
		.amdhsa_group_segment_fixed_size 0
		.amdhsa_private_segment_fixed_size 0
		.amdhsa_kernarg_size 128
		.amdhsa_user_sgpr_count 2
		.amdhsa_user_sgpr_dispatch_ptr 0
		.amdhsa_user_sgpr_queue_ptr 0
		.amdhsa_user_sgpr_kernarg_segment_ptr 1
		.amdhsa_user_sgpr_dispatch_id 0
		.amdhsa_user_sgpr_private_segment_size 0
		.amdhsa_wavefront_size32 1
		.amdhsa_uses_dynamic_stack 0
		.amdhsa_enable_private_segment 0
		.amdhsa_system_sgpr_workgroup_id_x 1
		.amdhsa_system_sgpr_workgroup_id_y 0
		.amdhsa_system_sgpr_workgroup_id_z 0
		.amdhsa_system_sgpr_workgroup_info 0
		.amdhsa_system_vgpr_workitem_id 0
		.amdhsa_next_free_vgpr 1
		.amdhsa_next_free_sgpr 1
		.amdhsa_reserve_vcc 0
		.amdhsa_float_round_mode_32 0
		.amdhsa_float_round_mode_16_64 0
		.amdhsa_float_denorm_mode_32 3
		.amdhsa_float_denorm_mode_16_64 3
		.amdhsa_fp16_overflow 0
		.amdhsa_workgroup_processor_mode 1
		.amdhsa_memory_ordered 1
		.amdhsa_forward_progress 1
		.amdhsa_inst_pref_size 0
		.amdhsa_round_robin_scheduling 0
		.amdhsa_exception_fp_ieee_invalid_op 0
		.amdhsa_exception_fp_denorm_src 0
		.amdhsa_exception_fp_ieee_div_zero 0
		.amdhsa_exception_fp_ieee_overflow 0
		.amdhsa_exception_fp_ieee_underflow 0
		.amdhsa_exception_fp_ieee_inexact 0
		.amdhsa_exception_int_div_zero 0
	.end_amdhsa_kernel
	.section	.text._ZN7rocprim17ROCPRIM_400000_NS6detail17trampoline_kernelINS0_14default_configENS1_25partition_config_selectorILNS1_17partition_subalgoE6EjNS0_10empty_typeEbEEZZNS1_14partition_implILS5_6ELb0ES3_mN6thrust23THRUST_200600_302600_NS6detail15normal_iteratorINSA_10device_ptrIjEEEEPS6_SG_NS0_5tupleIJSF_S6_EEENSH_IJSG_SG_EEES6_PlJNSB_9not_fun_tINSB_10functional5actorINSM_9compositeIJNSM_27transparent_binary_operatorINSA_8equal_toIvEEEENSN_INSM_8argumentILj0EEEEENSM_5valueIjEEEEEEEEEEEE10hipError_tPvRmT3_T4_T5_T6_T7_T9_mT8_P12ihipStream_tbDpT10_ENKUlT_T0_E_clISt17integral_constantIbLb1EES1K_EEDaS1F_S1G_EUlS1F_E_NS1_11comp_targetILNS1_3genE8ELNS1_11target_archE1030ELNS1_3gpuE2ELNS1_3repE0EEENS1_30default_config_static_selectorELNS0_4arch9wavefront6targetE0EEEvT1_,"axG",@progbits,_ZN7rocprim17ROCPRIM_400000_NS6detail17trampoline_kernelINS0_14default_configENS1_25partition_config_selectorILNS1_17partition_subalgoE6EjNS0_10empty_typeEbEEZZNS1_14partition_implILS5_6ELb0ES3_mN6thrust23THRUST_200600_302600_NS6detail15normal_iteratorINSA_10device_ptrIjEEEEPS6_SG_NS0_5tupleIJSF_S6_EEENSH_IJSG_SG_EEES6_PlJNSB_9not_fun_tINSB_10functional5actorINSM_9compositeIJNSM_27transparent_binary_operatorINSA_8equal_toIvEEEENSN_INSM_8argumentILj0EEEEENSM_5valueIjEEEEEEEEEEEE10hipError_tPvRmT3_T4_T5_T6_T7_T9_mT8_P12ihipStream_tbDpT10_ENKUlT_T0_E_clISt17integral_constantIbLb1EES1K_EEDaS1F_S1G_EUlS1F_E_NS1_11comp_targetILNS1_3genE8ELNS1_11target_archE1030ELNS1_3gpuE2ELNS1_3repE0EEENS1_30default_config_static_selectorELNS0_4arch9wavefront6targetE0EEEvT1_,comdat
.Lfunc_end128:
	.size	_ZN7rocprim17ROCPRIM_400000_NS6detail17trampoline_kernelINS0_14default_configENS1_25partition_config_selectorILNS1_17partition_subalgoE6EjNS0_10empty_typeEbEEZZNS1_14partition_implILS5_6ELb0ES3_mN6thrust23THRUST_200600_302600_NS6detail15normal_iteratorINSA_10device_ptrIjEEEEPS6_SG_NS0_5tupleIJSF_S6_EEENSH_IJSG_SG_EEES6_PlJNSB_9not_fun_tINSB_10functional5actorINSM_9compositeIJNSM_27transparent_binary_operatorINSA_8equal_toIvEEEENSN_INSM_8argumentILj0EEEEENSM_5valueIjEEEEEEEEEEEE10hipError_tPvRmT3_T4_T5_T6_T7_T9_mT8_P12ihipStream_tbDpT10_ENKUlT_T0_E_clISt17integral_constantIbLb1EES1K_EEDaS1F_S1G_EUlS1F_E_NS1_11comp_targetILNS1_3genE8ELNS1_11target_archE1030ELNS1_3gpuE2ELNS1_3repE0EEENS1_30default_config_static_selectorELNS0_4arch9wavefront6targetE0EEEvT1_, .Lfunc_end128-_ZN7rocprim17ROCPRIM_400000_NS6detail17trampoline_kernelINS0_14default_configENS1_25partition_config_selectorILNS1_17partition_subalgoE6EjNS0_10empty_typeEbEEZZNS1_14partition_implILS5_6ELb0ES3_mN6thrust23THRUST_200600_302600_NS6detail15normal_iteratorINSA_10device_ptrIjEEEEPS6_SG_NS0_5tupleIJSF_S6_EEENSH_IJSG_SG_EEES6_PlJNSB_9not_fun_tINSB_10functional5actorINSM_9compositeIJNSM_27transparent_binary_operatorINSA_8equal_toIvEEEENSN_INSM_8argumentILj0EEEEENSM_5valueIjEEEEEEEEEEEE10hipError_tPvRmT3_T4_T5_T6_T7_T9_mT8_P12ihipStream_tbDpT10_ENKUlT_T0_E_clISt17integral_constantIbLb1EES1K_EEDaS1F_S1G_EUlS1F_E_NS1_11comp_targetILNS1_3genE8ELNS1_11target_archE1030ELNS1_3gpuE2ELNS1_3repE0EEENS1_30default_config_static_selectorELNS0_4arch9wavefront6targetE0EEEvT1_
                                        ; -- End function
	.set _ZN7rocprim17ROCPRIM_400000_NS6detail17trampoline_kernelINS0_14default_configENS1_25partition_config_selectorILNS1_17partition_subalgoE6EjNS0_10empty_typeEbEEZZNS1_14partition_implILS5_6ELb0ES3_mN6thrust23THRUST_200600_302600_NS6detail15normal_iteratorINSA_10device_ptrIjEEEEPS6_SG_NS0_5tupleIJSF_S6_EEENSH_IJSG_SG_EEES6_PlJNSB_9not_fun_tINSB_10functional5actorINSM_9compositeIJNSM_27transparent_binary_operatorINSA_8equal_toIvEEEENSN_INSM_8argumentILj0EEEEENSM_5valueIjEEEEEEEEEEEE10hipError_tPvRmT3_T4_T5_T6_T7_T9_mT8_P12ihipStream_tbDpT10_ENKUlT_T0_E_clISt17integral_constantIbLb1EES1K_EEDaS1F_S1G_EUlS1F_E_NS1_11comp_targetILNS1_3genE8ELNS1_11target_archE1030ELNS1_3gpuE2ELNS1_3repE0EEENS1_30default_config_static_selectorELNS0_4arch9wavefront6targetE0EEEvT1_.num_vgpr, 0
	.set _ZN7rocprim17ROCPRIM_400000_NS6detail17trampoline_kernelINS0_14default_configENS1_25partition_config_selectorILNS1_17partition_subalgoE6EjNS0_10empty_typeEbEEZZNS1_14partition_implILS5_6ELb0ES3_mN6thrust23THRUST_200600_302600_NS6detail15normal_iteratorINSA_10device_ptrIjEEEEPS6_SG_NS0_5tupleIJSF_S6_EEENSH_IJSG_SG_EEES6_PlJNSB_9not_fun_tINSB_10functional5actorINSM_9compositeIJNSM_27transparent_binary_operatorINSA_8equal_toIvEEEENSN_INSM_8argumentILj0EEEEENSM_5valueIjEEEEEEEEEEEE10hipError_tPvRmT3_T4_T5_T6_T7_T9_mT8_P12ihipStream_tbDpT10_ENKUlT_T0_E_clISt17integral_constantIbLb1EES1K_EEDaS1F_S1G_EUlS1F_E_NS1_11comp_targetILNS1_3genE8ELNS1_11target_archE1030ELNS1_3gpuE2ELNS1_3repE0EEENS1_30default_config_static_selectorELNS0_4arch9wavefront6targetE0EEEvT1_.num_agpr, 0
	.set _ZN7rocprim17ROCPRIM_400000_NS6detail17trampoline_kernelINS0_14default_configENS1_25partition_config_selectorILNS1_17partition_subalgoE6EjNS0_10empty_typeEbEEZZNS1_14partition_implILS5_6ELb0ES3_mN6thrust23THRUST_200600_302600_NS6detail15normal_iteratorINSA_10device_ptrIjEEEEPS6_SG_NS0_5tupleIJSF_S6_EEENSH_IJSG_SG_EEES6_PlJNSB_9not_fun_tINSB_10functional5actorINSM_9compositeIJNSM_27transparent_binary_operatorINSA_8equal_toIvEEEENSN_INSM_8argumentILj0EEEEENSM_5valueIjEEEEEEEEEEEE10hipError_tPvRmT3_T4_T5_T6_T7_T9_mT8_P12ihipStream_tbDpT10_ENKUlT_T0_E_clISt17integral_constantIbLb1EES1K_EEDaS1F_S1G_EUlS1F_E_NS1_11comp_targetILNS1_3genE8ELNS1_11target_archE1030ELNS1_3gpuE2ELNS1_3repE0EEENS1_30default_config_static_selectorELNS0_4arch9wavefront6targetE0EEEvT1_.numbered_sgpr, 0
	.set _ZN7rocprim17ROCPRIM_400000_NS6detail17trampoline_kernelINS0_14default_configENS1_25partition_config_selectorILNS1_17partition_subalgoE6EjNS0_10empty_typeEbEEZZNS1_14partition_implILS5_6ELb0ES3_mN6thrust23THRUST_200600_302600_NS6detail15normal_iteratorINSA_10device_ptrIjEEEEPS6_SG_NS0_5tupleIJSF_S6_EEENSH_IJSG_SG_EEES6_PlJNSB_9not_fun_tINSB_10functional5actorINSM_9compositeIJNSM_27transparent_binary_operatorINSA_8equal_toIvEEEENSN_INSM_8argumentILj0EEEEENSM_5valueIjEEEEEEEEEEEE10hipError_tPvRmT3_T4_T5_T6_T7_T9_mT8_P12ihipStream_tbDpT10_ENKUlT_T0_E_clISt17integral_constantIbLb1EES1K_EEDaS1F_S1G_EUlS1F_E_NS1_11comp_targetILNS1_3genE8ELNS1_11target_archE1030ELNS1_3gpuE2ELNS1_3repE0EEENS1_30default_config_static_selectorELNS0_4arch9wavefront6targetE0EEEvT1_.num_named_barrier, 0
	.set _ZN7rocprim17ROCPRIM_400000_NS6detail17trampoline_kernelINS0_14default_configENS1_25partition_config_selectorILNS1_17partition_subalgoE6EjNS0_10empty_typeEbEEZZNS1_14partition_implILS5_6ELb0ES3_mN6thrust23THRUST_200600_302600_NS6detail15normal_iteratorINSA_10device_ptrIjEEEEPS6_SG_NS0_5tupleIJSF_S6_EEENSH_IJSG_SG_EEES6_PlJNSB_9not_fun_tINSB_10functional5actorINSM_9compositeIJNSM_27transparent_binary_operatorINSA_8equal_toIvEEEENSN_INSM_8argumentILj0EEEEENSM_5valueIjEEEEEEEEEEEE10hipError_tPvRmT3_T4_T5_T6_T7_T9_mT8_P12ihipStream_tbDpT10_ENKUlT_T0_E_clISt17integral_constantIbLb1EES1K_EEDaS1F_S1G_EUlS1F_E_NS1_11comp_targetILNS1_3genE8ELNS1_11target_archE1030ELNS1_3gpuE2ELNS1_3repE0EEENS1_30default_config_static_selectorELNS0_4arch9wavefront6targetE0EEEvT1_.private_seg_size, 0
	.set _ZN7rocprim17ROCPRIM_400000_NS6detail17trampoline_kernelINS0_14default_configENS1_25partition_config_selectorILNS1_17partition_subalgoE6EjNS0_10empty_typeEbEEZZNS1_14partition_implILS5_6ELb0ES3_mN6thrust23THRUST_200600_302600_NS6detail15normal_iteratorINSA_10device_ptrIjEEEEPS6_SG_NS0_5tupleIJSF_S6_EEENSH_IJSG_SG_EEES6_PlJNSB_9not_fun_tINSB_10functional5actorINSM_9compositeIJNSM_27transparent_binary_operatorINSA_8equal_toIvEEEENSN_INSM_8argumentILj0EEEEENSM_5valueIjEEEEEEEEEEEE10hipError_tPvRmT3_T4_T5_T6_T7_T9_mT8_P12ihipStream_tbDpT10_ENKUlT_T0_E_clISt17integral_constantIbLb1EES1K_EEDaS1F_S1G_EUlS1F_E_NS1_11comp_targetILNS1_3genE8ELNS1_11target_archE1030ELNS1_3gpuE2ELNS1_3repE0EEENS1_30default_config_static_selectorELNS0_4arch9wavefront6targetE0EEEvT1_.uses_vcc, 0
	.set _ZN7rocprim17ROCPRIM_400000_NS6detail17trampoline_kernelINS0_14default_configENS1_25partition_config_selectorILNS1_17partition_subalgoE6EjNS0_10empty_typeEbEEZZNS1_14partition_implILS5_6ELb0ES3_mN6thrust23THRUST_200600_302600_NS6detail15normal_iteratorINSA_10device_ptrIjEEEEPS6_SG_NS0_5tupleIJSF_S6_EEENSH_IJSG_SG_EEES6_PlJNSB_9not_fun_tINSB_10functional5actorINSM_9compositeIJNSM_27transparent_binary_operatorINSA_8equal_toIvEEEENSN_INSM_8argumentILj0EEEEENSM_5valueIjEEEEEEEEEEEE10hipError_tPvRmT3_T4_T5_T6_T7_T9_mT8_P12ihipStream_tbDpT10_ENKUlT_T0_E_clISt17integral_constantIbLb1EES1K_EEDaS1F_S1G_EUlS1F_E_NS1_11comp_targetILNS1_3genE8ELNS1_11target_archE1030ELNS1_3gpuE2ELNS1_3repE0EEENS1_30default_config_static_selectorELNS0_4arch9wavefront6targetE0EEEvT1_.uses_flat_scratch, 0
	.set _ZN7rocprim17ROCPRIM_400000_NS6detail17trampoline_kernelINS0_14default_configENS1_25partition_config_selectorILNS1_17partition_subalgoE6EjNS0_10empty_typeEbEEZZNS1_14partition_implILS5_6ELb0ES3_mN6thrust23THRUST_200600_302600_NS6detail15normal_iteratorINSA_10device_ptrIjEEEEPS6_SG_NS0_5tupleIJSF_S6_EEENSH_IJSG_SG_EEES6_PlJNSB_9not_fun_tINSB_10functional5actorINSM_9compositeIJNSM_27transparent_binary_operatorINSA_8equal_toIvEEEENSN_INSM_8argumentILj0EEEEENSM_5valueIjEEEEEEEEEEEE10hipError_tPvRmT3_T4_T5_T6_T7_T9_mT8_P12ihipStream_tbDpT10_ENKUlT_T0_E_clISt17integral_constantIbLb1EES1K_EEDaS1F_S1G_EUlS1F_E_NS1_11comp_targetILNS1_3genE8ELNS1_11target_archE1030ELNS1_3gpuE2ELNS1_3repE0EEENS1_30default_config_static_selectorELNS0_4arch9wavefront6targetE0EEEvT1_.has_dyn_sized_stack, 0
	.set _ZN7rocprim17ROCPRIM_400000_NS6detail17trampoline_kernelINS0_14default_configENS1_25partition_config_selectorILNS1_17partition_subalgoE6EjNS0_10empty_typeEbEEZZNS1_14partition_implILS5_6ELb0ES3_mN6thrust23THRUST_200600_302600_NS6detail15normal_iteratorINSA_10device_ptrIjEEEEPS6_SG_NS0_5tupleIJSF_S6_EEENSH_IJSG_SG_EEES6_PlJNSB_9not_fun_tINSB_10functional5actorINSM_9compositeIJNSM_27transparent_binary_operatorINSA_8equal_toIvEEEENSN_INSM_8argumentILj0EEEEENSM_5valueIjEEEEEEEEEEEE10hipError_tPvRmT3_T4_T5_T6_T7_T9_mT8_P12ihipStream_tbDpT10_ENKUlT_T0_E_clISt17integral_constantIbLb1EES1K_EEDaS1F_S1G_EUlS1F_E_NS1_11comp_targetILNS1_3genE8ELNS1_11target_archE1030ELNS1_3gpuE2ELNS1_3repE0EEENS1_30default_config_static_selectorELNS0_4arch9wavefront6targetE0EEEvT1_.has_recursion, 0
	.set _ZN7rocprim17ROCPRIM_400000_NS6detail17trampoline_kernelINS0_14default_configENS1_25partition_config_selectorILNS1_17partition_subalgoE6EjNS0_10empty_typeEbEEZZNS1_14partition_implILS5_6ELb0ES3_mN6thrust23THRUST_200600_302600_NS6detail15normal_iteratorINSA_10device_ptrIjEEEEPS6_SG_NS0_5tupleIJSF_S6_EEENSH_IJSG_SG_EEES6_PlJNSB_9not_fun_tINSB_10functional5actorINSM_9compositeIJNSM_27transparent_binary_operatorINSA_8equal_toIvEEEENSN_INSM_8argumentILj0EEEEENSM_5valueIjEEEEEEEEEEEE10hipError_tPvRmT3_T4_T5_T6_T7_T9_mT8_P12ihipStream_tbDpT10_ENKUlT_T0_E_clISt17integral_constantIbLb1EES1K_EEDaS1F_S1G_EUlS1F_E_NS1_11comp_targetILNS1_3genE8ELNS1_11target_archE1030ELNS1_3gpuE2ELNS1_3repE0EEENS1_30default_config_static_selectorELNS0_4arch9wavefront6targetE0EEEvT1_.has_indirect_call, 0
	.section	.AMDGPU.csdata,"",@progbits
; Kernel info:
; codeLenInByte = 0
; TotalNumSgprs: 0
; NumVgprs: 0
; ScratchSize: 0
; MemoryBound: 0
; FloatMode: 240
; IeeeMode: 1
; LDSByteSize: 0 bytes/workgroup (compile time only)
; SGPRBlocks: 0
; VGPRBlocks: 0
; NumSGPRsForWavesPerEU: 1
; NumVGPRsForWavesPerEU: 1
; Occupancy: 16
; WaveLimiterHint : 0
; COMPUTE_PGM_RSRC2:SCRATCH_EN: 0
; COMPUTE_PGM_RSRC2:USER_SGPR: 2
; COMPUTE_PGM_RSRC2:TRAP_HANDLER: 0
; COMPUTE_PGM_RSRC2:TGID_X_EN: 1
; COMPUTE_PGM_RSRC2:TGID_Y_EN: 0
; COMPUTE_PGM_RSRC2:TGID_Z_EN: 0
; COMPUTE_PGM_RSRC2:TIDIG_COMP_CNT: 0
	.section	.text._ZN7rocprim17ROCPRIM_400000_NS6detail17trampoline_kernelINS0_14default_configENS1_25partition_config_selectorILNS1_17partition_subalgoE6EjNS0_10empty_typeEbEEZZNS1_14partition_implILS5_6ELb0ES3_mN6thrust23THRUST_200600_302600_NS6detail15normal_iteratorINSA_10device_ptrIjEEEEPS6_SG_NS0_5tupleIJSF_S6_EEENSH_IJSG_SG_EEES6_PlJNSB_9not_fun_tINSB_10functional5actorINSM_9compositeIJNSM_27transparent_binary_operatorINSA_8equal_toIvEEEENSN_INSM_8argumentILj0EEEEENSM_5valueIjEEEEEEEEEEEE10hipError_tPvRmT3_T4_T5_T6_T7_T9_mT8_P12ihipStream_tbDpT10_ENKUlT_T0_E_clISt17integral_constantIbLb1EES1J_IbLb0EEEEDaS1F_S1G_EUlS1F_E_NS1_11comp_targetILNS1_3genE0ELNS1_11target_archE4294967295ELNS1_3gpuE0ELNS1_3repE0EEENS1_30default_config_static_selectorELNS0_4arch9wavefront6targetE0EEEvT1_,"axG",@progbits,_ZN7rocprim17ROCPRIM_400000_NS6detail17trampoline_kernelINS0_14default_configENS1_25partition_config_selectorILNS1_17partition_subalgoE6EjNS0_10empty_typeEbEEZZNS1_14partition_implILS5_6ELb0ES3_mN6thrust23THRUST_200600_302600_NS6detail15normal_iteratorINSA_10device_ptrIjEEEEPS6_SG_NS0_5tupleIJSF_S6_EEENSH_IJSG_SG_EEES6_PlJNSB_9not_fun_tINSB_10functional5actorINSM_9compositeIJNSM_27transparent_binary_operatorINSA_8equal_toIvEEEENSN_INSM_8argumentILj0EEEEENSM_5valueIjEEEEEEEEEEEE10hipError_tPvRmT3_T4_T5_T6_T7_T9_mT8_P12ihipStream_tbDpT10_ENKUlT_T0_E_clISt17integral_constantIbLb1EES1J_IbLb0EEEEDaS1F_S1G_EUlS1F_E_NS1_11comp_targetILNS1_3genE0ELNS1_11target_archE4294967295ELNS1_3gpuE0ELNS1_3repE0EEENS1_30default_config_static_selectorELNS0_4arch9wavefront6targetE0EEEvT1_,comdat
	.protected	_ZN7rocprim17ROCPRIM_400000_NS6detail17trampoline_kernelINS0_14default_configENS1_25partition_config_selectorILNS1_17partition_subalgoE6EjNS0_10empty_typeEbEEZZNS1_14partition_implILS5_6ELb0ES3_mN6thrust23THRUST_200600_302600_NS6detail15normal_iteratorINSA_10device_ptrIjEEEEPS6_SG_NS0_5tupleIJSF_S6_EEENSH_IJSG_SG_EEES6_PlJNSB_9not_fun_tINSB_10functional5actorINSM_9compositeIJNSM_27transparent_binary_operatorINSA_8equal_toIvEEEENSN_INSM_8argumentILj0EEEEENSM_5valueIjEEEEEEEEEEEE10hipError_tPvRmT3_T4_T5_T6_T7_T9_mT8_P12ihipStream_tbDpT10_ENKUlT_T0_E_clISt17integral_constantIbLb1EES1J_IbLb0EEEEDaS1F_S1G_EUlS1F_E_NS1_11comp_targetILNS1_3genE0ELNS1_11target_archE4294967295ELNS1_3gpuE0ELNS1_3repE0EEENS1_30default_config_static_selectorELNS0_4arch9wavefront6targetE0EEEvT1_ ; -- Begin function _ZN7rocprim17ROCPRIM_400000_NS6detail17trampoline_kernelINS0_14default_configENS1_25partition_config_selectorILNS1_17partition_subalgoE6EjNS0_10empty_typeEbEEZZNS1_14partition_implILS5_6ELb0ES3_mN6thrust23THRUST_200600_302600_NS6detail15normal_iteratorINSA_10device_ptrIjEEEEPS6_SG_NS0_5tupleIJSF_S6_EEENSH_IJSG_SG_EEES6_PlJNSB_9not_fun_tINSB_10functional5actorINSM_9compositeIJNSM_27transparent_binary_operatorINSA_8equal_toIvEEEENSN_INSM_8argumentILj0EEEEENSM_5valueIjEEEEEEEEEEEE10hipError_tPvRmT3_T4_T5_T6_T7_T9_mT8_P12ihipStream_tbDpT10_ENKUlT_T0_E_clISt17integral_constantIbLb1EES1J_IbLb0EEEEDaS1F_S1G_EUlS1F_E_NS1_11comp_targetILNS1_3genE0ELNS1_11target_archE4294967295ELNS1_3gpuE0ELNS1_3repE0EEENS1_30default_config_static_selectorELNS0_4arch9wavefront6targetE0EEEvT1_
	.globl	_ZN7rocprim17ROCPRIM_400000_NS6detail17trampoline_kernelINS0_14default_configENS1_25partition_config_selectorILNS1_17partition_subalgoE6EjNS0_10empty_typeEbEEZZNS1_14partition_implILS5_6ELb0ES3_mN6thrust23THRUST_200600_302600_NS6detail15normal_iteratorINSA_10device_ptrIjEEEEPS6_SG_NS0_5tupleIJSF_S6_EEENSH_IJSG_SG_EEES6_PlJNSB_9not_fun_tINSB_10functional5actorINSM_9compositeIJNSM_27transparent_binary_operatorINSA_8equal_toIvEEEENSN_INSM_8argumentILj0EEEEENSM_5valueIjEEEEEEEEEEEE10hipError_tPvRmT3_T4_T5_T6_T7_T9_mT8_P12ihipStream_tbDpT10_ENKUlT_T0_E_clISt17integral_constantIbLb1EES1J_IbLb0EEEEDaS1F_S1G_EUlS1F_E_NS1_11comp_targetILNS1_3genE0ELNS1_11target_archE4294967295ELNS1_3gpuE0ELNS1_3repE0EEENS1_30default_config_static_selectorELNS0_4arch9wavefront6targetE0EEEvT1_
	.p2align	8
	.type	_ZN7rocprim17ROCPRIM_400000_NS6detail17trampoline_kernelINS0_14default_configENS1_25partition_config_selectorILNS1_17partition_subalgoE6EjNS0_10empty_typeEbEEZZNS1_14partition_implILS5_6ELb0ES3_mN6thrust23THRUST_200600_302600_NS6detail15normal_iteratorINSA_10device_ptrIjEEEEPS6_SG_NS0_5tupleIJSF_S6_EEENSH_IJSG_SG_EEES6_PlJNSB_9not_fun_tINSB_10functional5actorINSM_9compositeIJNSM_27transparent_binary_operatorINSA_8equal_toIvEEEENSN_INSM_8argumentILj0EEEEENSM_5valueIjEEEEEEEEEEEE10hipError_tPvRmT3_T4_T5_T6_T7_T9_mT8_P12ihipStream_tbDpT10_ENKUlT_T0_E_clISt17integral_constantIbLb1EES1J_IbLb0EEEEDaS1F_S1G_EUlS1F_E_NS1_11comp_targetILNS1_3genE0ELNS1_11target_archE4294967295ELNS1_3gpuE0ELNS1_3repE0EEENS1_30default_config_static_selectorELNS0_4arch9wavefront6targetE0EEEvT1_,@function
_ZN7rocprim17ROCPRIM_400000_NS6detail17trampoline_kernelINS0_14default_configENS1_25partition_config_selectorILNS1_17partition_subalgoE6EjNS0_10empty_typeEbEEZZNS1_14partition_implILS5_6ELb0ES3_mN6thrust23THRUST_200600_302600_NS6detail15normal_iteratorINSA_10device_ptrIjEEEEPS6_SG_NS0_5tupleIJSF_S6_EEENSH_IJSG_SG_EEES6_PlJNSB_9not_fun_tINSB_10functional5actorINSM_9compositeIJNSM_27transparent_binary_operatorINSA_8equal_toIvEEEENSN_INSM_8argumentILj0EEEEENSM_5valueIjEEEEEEEEEEEE10hipError_tPvRmT3_T4_T5_T6_T7_T9_mT8_P12ihipStream_tbDpT10_ENKUlT_T0_E_clISt17integral_constantIbLb1EES1J_IbLb0EEEEDaS1F_S1G_EUlS1F_E_NS1_11comp_targetILNS1_3genE0ELNS1_11target_archE4294967295ELNS1_3gpuE0ELNS1_3repE0EEENS1_30default_config_static_selectorELNS0_4arch9wavefront6targetE0EEEvT1_: ; @_ZN7rocprim17ROCPRIM_400000_NS6detail17trampoline_kernelINS0_14default_configENS1_25partition_config_selectorILNS1_17partition_subalgoE6EjNS0_10empty_typeEbEEZZNS1_14partition_implILS5_6ELb0ES3_mN6thrust23THRUST_200600_302600_NS6detail15normal_iteratorINSA_10device_ptrIjEEEEPS6_SG_NS0_5tupleIJSF_S6_EEENSH_IJSG_SG_EEES6_PlJNSB_9not_fun_tINSB_10functional5actorINSM_9compositeIJNSM_27transparent_binary_operatorINSA_8equal_toIvEEEENSN_INSM_8argumentILj0EEEEENSM_5valueIjEEEEEEEEEEEE10hipError_tPvRmT3_T4_T5_T6_T7_T9_mT8_P12ihipStream_tbDpT10_ENKUlT_T0_E_clISt17integral_constantIbLb1EES1J_IbLb0EEEEDaS1F_S1G_EUlS1F_E_NS1_11comp_targetILNS1_3genE0ELNS1_11target_archE4294967295ELNS1_3gpuE0ELNS1_3repE0EEENS1_30default_config_static_selectorELNS0_4arch9wavefront6targetE0EEEvT1_
; %bb.0:
	.section	.rodata,"a",@progbits
	.p2align	6, 0x0
	.amdhsa_kernel _ZN7rocprim17ROCPRIM_400000_NS6detail17trampoline_kernelINS0_14default_configENS1_25partition_config_selectorILNS1_17partition_subalgoE6EjNS0_10empty_typeEbEEZZNS1_14partition_implILS5_6ELb0ES3_mN6thrust23THRUST_200600_302600_NS6detail15normal_iteratorINSA_10device_ptrIjEEEEPS6_SG_NS0_5tupleIJSF_S6_EEENSH_IJSG_SG_EEES6_PlJNSB_9not_fun_tINSB_10functional5actorINSM_9compositeIJNSM_27transparent_binary_operatorINSA_8equal_toIvEEEENSN_INSM_8argumentILj0EEEEENSM_5valueIjEEEEEEEEEEEE10hipError_tPvRmT3_T4_T5_T6_T7_T9_mT8_P12ihipStream_tbDpT10_ENKUlT_T0_E_clISt17integral_constantIbLb1EES1J_IbLb0EEEEDaS1F_S1G_EUlS1F_E_NS1_11comp_targetILNS1_3genE0ELNS1_11target_archE4294967295ELNS1_3gpuE0ELNS1_3repE0EEENS1_30default_config_static_selectorELNS0_4arch9wavefront6targetE0EEEvT1_
		.amdhsa_group_segment_fixed_size 0
		.amdhsa_private_segment_fixed_size 0
		.amdhsa_kernarg_size 120
		.amdhsa_user_sgpr_count 2
		.amdhsa_user_sgpr_dispatch_ptr 0
		.amdhsa_user_sgpr_queue_ptr 0
		.amdhsa_user_sgpr_kernarg_segment_ptr 1
		.amdhsa_user_sgpr_dispatch_id 0
		.amdhsa_user_sgpr_private_segment_size 0
		.amdhsa_wavefront_size32 1
		.amdhsa_uses_dynamic_stack 0
		.amdhsa_enable_private_segment 0
		.amdhsa_system_sgpr_workgroup_id_x 1
		.amdhsa_system_sgpr_workgroup_id_y 0
		.amdhsa_system_sgpr_workgroup_id_z 0
		.amdhsa_system_sgpr_workgroup_info 0
		.amdhsa_system_vgpr_workitem_id 0
		.amdhsa_next_free_vgpr 1
		.amdhsa_next_free_sgpr 1
		.amdhsa_reserve_vcc 0
		.amdhsa_float_round_mode_32 0
		.amdhsa_float_round_mode_16_64 0
		.amdhsa_float_denorm_mode_32 3
		.amdhsa_float_denorm_mode_16_64 3
		.amdhsa_fp16_overflow 0
		.amdhsa_workgroup_processor_mode 1
		.amdhsa_memory_ordered 1
		.amdhsa_forward_progress 1
		.amdhsa_inst_pref_size 0
		.amdhsa_round_robin_scheduling 0
		.amdhsa_exception_fp_ieee_invalid_op 0
		.amdhsa_exception_fp_denorm_src 0
		.amdhsa_exception_fp_ieee_div_zero 0
		.amdhsa_exception_fp_ieee_overflow 0
		.amdhsa_exception_fp_ieee_underflow 0
		.amdhsa_exception_fp_ieee_inexact 0
		.amdhsa_exception_int_div_zero 0
	.end_amdhsa_kernel
	.section	.text._ZN7rocprim17ROCPRIM_400000_NS6detail17trampoline_kernelINS0_14default_configENS1_25partition_config_selectorILNS1_17partition_subalgoE6EjNS0_10empty_typeEbEEZZNS1_14partition_implILS5_6ELb0ES3_mN6thrust23THRUST_200600_302600_NS6detail15normal_iteratorINSA_10device_ptrIjEEEEPS6_SG_NS0_5tupleIJSF_S6_EEENSH_IJSG_SG_EEES6_PlJNSB_9not_fun_tINSB_10functional5actorINSM_9compositeIJNSM_27transparent_binary_operatorINSA_8equal_toIvEEEENSN_INSM_8argumentILj0EEEEENSM_5valueIjEEEEEEEEEEEE10hipError_tPvRmT3_T4_T5_T6_T7_T9_mT8_P12ihipStream_tbDpT10_ENKUlT_T0_E_clISt17integral_constantIbLb1EES1J_IbLb0EEEEDaS1F_S1G_EUlS1F_E_NS1_11comp_targetILNS1_3genE0ELNS1_11target_archE4294967295ELNS1_3gpuE0ELNS1_3repE0EEENS1_30default_config_static_selectorELNS0_4arch9wavefront6targetE0EEEvT1_,"axG",@progbits,_ZN7rocprim17ROCPRIM_400000_NS6detail17trampoline_kernelINS0_14default_configENS1_25partition_config_selectorILNS1_17partition_subalgoE6EjNS0_10empty_typeEbEEZZNS1_14partition_implILS5_6ELb0ES3_mN6thrust23THRUST_200600_302600_NS6detail15normal_iteratorINSA_10device_ptrIjEEEEPS6_SG_NS0_5tupleIJSF_S6_EEENSH_IJSG_SG_EEES6_PlJNSB_9not_fun_tINSB_10functional5actorINSM_9compositeIJNSM_27transparent_binary_operatorINSA_8equal_toIvEEEENSN_INSM_8argumentILj0EEEEENSM_5valueIjEEEEEEEEEEEE10hipError_tPvRmT3_T4_T5_T6_T7_T9_mT8_P12ihipStream_tbDpT10_ENKUlT_T0_E_clISt17integral_constantIbLb1EES1J_IbLb0EEEEDaS1F_S1G_EUlS1F_E_NS1_11comp_targetILNS1_3genE0ELNS1_11target_archE4294967295ELNS1_3gpuE0ELNS1_3repE0EEENS1_30default_config_static_selectorELNS0_4arch9wavefront6targetE0EEEvT1_,comdat
.Lfunc_end129:
	.size	_ZN7rocprim17ROCPRIM_400000_NS6detail17trampoline_kernelINS0_14default_configENS1_25partition_config_selectorILNS1_17partition_subalgoE6EjNS0_10empty_typeEbEEZZNS1_14partition_implILS5_6ELb0ES3_mN6thrust23THRUST_200600_302600_NS6detail15normal_iteratorINSA_10device_ptrIjEEEEPS6_SG_NS0_5tupleIJSF_S6_EEENSH_IJSG_SG_EEES6_PlJNSB_9not_fun_tINSB_10functional5actorINSM_9compositeIJNSM_27transparent_binary_operatorINSA_8equal_toIvEEEENSN_INSM_8argumentILj0EEEEENSM_5valueIjEEEEEEEEEEEE10hipError_tPvRmT3_T4_T5_T6_T7_T9_mT8_P12ihipStream_tbDpT10_ENKUlT_T0_E_clISt17integral_constantIbLb1EES1J_IbLb0EEEEDaS1F_S1G_EUlS1F_E_NS1_11comp_targetILNS1_3genE0ELNS1_11target_archE4294967295ELNS1_3gpuE0ELNS1_3repE0EEENS1_30default_config_static_selectorELNS0_4arch9wavefront6targetE0EEEvT1_, .Lfunc_end129-_ZN7rocprim17ROCPRIM_400000_NS6detail17trampoline_kernelINS0_14default_configENS1_25partition_config_selectorILNS1_17partition_subalgoE6EjNS0_10empty_typeEbEEZZNS1_14partition_implILS5_6ELb0ES3_mN6thrust23THRUST_200600_302600_NS6detail15normal_iteratorINSA_10device_ptrIjEEEEPS6_SG_NS0_5tupleIJSF_S6_EEENSH_IJSG_SG_EEES6_PlJNSB_9not_fun_tINSB_10functional5actorINSM_9compositeIJNSM_27transparent_binary_operatorINSA_8equal_toIvEEEENSN_INSM_8argumentILj0EEEEENSM_5valueIjEEEEEEEEEEEE10hipError_tPvRmT3_T4_T5_T6_T7_T9_mT8_P12ihipStream_tbDpT10_ENKUlT_T0_E_clISt17integral_constantIbLb1EES1J_IbLb0EEEEDaS1F_S1G_EUlS1F_E_NS1_11comp_targetILNS1_3genE0ELNS1_11target_archE4294967295ELNS1_3gpuE0ELNS1_3repE0EEENS1_30default_config_static_selectorELNS0_4arch9wavefront6targetE0EEEvT1_
                                        ; -- End function
	.set _ZN7rocprim17ROCPRIM_400000_NS6detail17trampoline_kernelINS0_14default_configENS1_25partition_config_selectorILNS1_17partition_subalgoE6EjNS0_10empty_typeEbEEZZNS1_14partition_implILS5_6ELb0ES3_mN6thrust23THRUST_200600_302600_NS6detail15normal_iteratorINSA_10device_ptrIjEEEEPS6_SG_NS0_5tupleIJSF_S6_EEENSH_IJSG_SG_EEES6_PlJNSB_9not_fun_tINSB_10functional5actorINSM_9compositeIJNSM_27transparent_binary_operatorINSA_8equal_toIvEEEENSN_INSM_8argumentILj0EEEEENSM_5valueIjEEEEEEEEEEEE10hipError_tPvRmT3_T4_T5_T6_T7_T9_mT8_P12ihipStream_tbDpT10_ENKUlT_T0_E_clISt17integral_constantIbLb1EES1J_IbLb0EEEEDaS1F_S1G_EUlS1F_E_NS1_11comp_targetILNS1_3genE0ELNS1_11target_archE4294967295ELNS1_3gpuE0ELNS1_3repE0EEENS1_30default_config_static_selectorELNS0_4arch9wavefront6targetE0EEEvT1_.num_vgpr, 0
	.set _ZN7rocprim17ROCPRIM_400000_NS6detail17trampoline_kernelINS0_14default_configENS1_25partition_config_selectorILNS1_17partition_subalgoE6EjNS0_10empty_typeEbEEZZNS1_14partition_implILS5_6ELb0ES3_mN6thrust23THRUST_200600_302600_NS6detail15normal_iteratorINSA_10device_ptrIjEEEEPS6_SG_NS0_5tupleIJSF_S6_EEENSH_IJSG_SG_EEES6_PlJNSB_9not_fun_tINSB_10functional5actorINSM_9compositeIJNSM_27transparent_binary_operatorINSA_8equal_toIvEEEENSN_INSM_8argumentILj0EEEEENSM_5valueIjEEEEEEEEEEEE10hipError_tPvRmT3_T4_T5_T6_T7_T9_mT8_P12ihipStream_tbDpT10_ENKUlT_T0_E_clISt17integral_constantIbLb1EES1J_IbLb0EEEEDaS1F_S1G_EUlS1F_E_NS1_11comp_targetILNS1_3genE0ELNS1_11target_archE4294967295ELNS1_3gpuE0ELNS1_3repE0EEENS1_30default_config_static_selectorELNS0_4arch9wavefront6targetE0EEEvT1_.num_agpr, 0
	.set _ZN7rocprim17ROCPRIM_400000_NS6detail17trampoline_kernelINS0_14default_configENS1_25partition_config_selectorILNS1_17partition_subalgoE6EjNS0_10empty_typeEbEEZZNS1_14partition_implILS5_6ELb0ES3_mN6thrust23THRUST_200600_302600_NS6detail15normal_iteratorINSA_10device_ptrIjEEEEPS6_SG_NS0_5tupleIJSF_S6_EEENSH_IJSG_SG_EEES6_PlJNSB_9not_fun_tINSB_10functional5actorINSM_9compositeIJNSM_27transparent_binary_operatorINSA_8equal_toIvEEEENSN_INSM_8argumentILj0EEEEENSM_5valueIjEEEEEEEEEEEE10hipError_tPvRmT3_T4_T5_T6_T7_T9_mT8_P12ihipStream_tbDpT10_ENKUlT_T0_E_clISt17integral_constantIbLb1EES1J_IbLb0EEEEDaS1F_S1G_EUlS1F_E_NS1_11comp_targetILNS1_3genE0ELNS1_11target_archE4294967295ELNS1_3gpuE0ELNS1_3repE0EEENS1_30default_config_static_selectorELNS0_4arch9wavefront6targetE0EEEvT1_.numbered_sgpr, 0
	.set _ZN7rocprim17ROCPRIM_400000_NS6detail17trampoline_kernelINS0_14default_configENS1_25partition_config_selectorILNS1_17partition_subalgoE6EjNS0_10empty_typeEbEEZZNS1_14partition_implILS5_6ELb0ES3_mN6thrust23THRUST_200600_302600_NS6detail15normal_iteratorINSA_10device_ptrIjEEEEPS6_SG_NS0_5tupleIJSF_S6_EEENSH_IJSG_SG_EEES6_PlJNSB_9not_fun_tINSB_10functional5actorINSM_9compositeIJNSM_27transparent_binary_operatorINSA_8equal_toIvEEEENSN_INSM_8argumentILj0EEEEENSM_5valueIjEEEEEEEEEEEE10hipError_tPvRmT3_T4_T5_T6_T7_T9_mT8_P12ihipStream_tbDpT10_ENKUlT_T0_E_clISt17integral_constantIbLb1EES1J_IbLb0EEEEDaS1F_S1G_EUlS1F_E_NS1_11comp_targetILNS1_3genE0ELNS1_11target_archE4294967295ELNS1_3gpuE0ELNS1_3repE0EEENS1_30default_config_static_selectorELNS0_4arch9wavefront6targetE0EEEvT1_.num_named_barrier, 0
	.set _ZN7rocprim17ROCPRIM_400000_NS6detail17trampoline_kernelINS0_14default_configENS1_25partition_config_selectorILNS1_17partition_subalgoE6EjNS0_10empty_typeEbEEZZNS1_14partition_implILS5_6ELb0ES3_mN6thrust23THRUST_200600_302600_NS6detail15normal_iteratorINSA_10device_ptrIjEEEEPS6_SG_NS0_5tupleIJSF_S6_EEENSH_IJSG_SG_EEES6_PlJNSB_9not_fun_tINSB_10functional5actorINSM_9compositeIJNSM_27transparent_binary_operatorINSA_8equal_toIvEEEENSN_INSM_8argumentILj0EEEEENSM_5valueIjEEEEEEEEEEEE10hipError_tPvRmT3_T4_T5_T6_T7_T9_mT8_P12ihipStream_tbDpT10_ENKUlT_T0_E_clISt17integral_constantIbLb1EES1J_IbLb0EEEEDaS1F_S1G_EUlS1F_E_NS1_11comp_targetILNS1_3genE0ELNS1_11target_archE4294967295ELNS1_3gpuE0ELNS1_3repE0EEENS1_30default_config_static_selectorELNS0_4arch9wavefront6targetE0EEEvT1_.private_seg_size, 0
	.set _ZN7rocprim17ROCPRIM_400000_NS6detail17trampoline_kernelINS0_14default_configENS1_25partition_config_selectorILNS1_17partition_subalgoE6EjNS0_10empty_typeEbEEZZNS1_14partition_implILS5_6ELb0ES3_mN6thrust23THRUST_200600_302600_NS6detail15normal_iteratorINSA_10device_ptrIjEEEEPS6_SG_NS0_5tupleIJSF_S6_EEENSH_IJSG_SG_EEES6_PlJNSB_9not_fun_tINSB_10functional5actorINSM_9compositeIJNSM_27transparent_binary_operatorINSA_8equal_toIvEEEENSN_INSM_8argumentILj0EEEEENSM_5valueIjEEEEEEEEEEEE10hipError_tPvRmT3_T4_T5_T6_T7_T9_mT8_P12ihipStream_tbDpT10_ENKUlT_T0_E_clISt17integral_constantIbLb1EES1J_IbLb0EEEEDaS1F_S1G_EUlS1F_E_NS1_11comp_targetILNS1_3genE0ELNS1_11target_archE4294967295ELNS1_3gpuE0ELNS1_3repE0EEENS1_30default_config_static_selectorELNS0_4arch9wavefront6targetE0EEEvT1_.uses_vcc, 0
	.set _ZN7rocprim17ROCPRIM_400000_NS6detail17trampoline_kernelINS0_14default_configENS1_25partition_config_selectorILNS1_17partition_subalgoE6EjNS0_10empty_typeEbEEZZNS1_14partition_implILS5_6ELb0ES3_mN6thrust23THRUST_200600_302600_NS6detail15normal_iteratorINSA_10device_ptrIjEEEEPS6_SG_NS0_5tupleIJSF_S6_EEENSH_IJSG_SG_EEES6_PlJNSB_9not_fun_tINSB_10functional5actorINSM_9compositeIJNSM_27transparent_binary_operatorINSA_8equal_toIvEEEENSN_INSM_8argumentILj0EEEEENSM_5valueIjEEEEEEEEEEEE10hipError_tPvRmT3_T4_T5_T6_T7_T9_mT8_P12ihipStream_tbDpT10_ENKUlT_T0_E_clISt17integral_constantIbLb1EES1J_IbLb0EEEEDaS1F_S1G_EUlS1F_E_NS1_11comp_targetILNS1_3genE0ELNS1_11target_archE4294967295ELNS1_3gpuE0ELNS1_3repE0EEENS1_30default_config_static_selectorELNS0_4arch9wavefront6targetE0EEEvT1_.uses_flat_scratch, 0
	.set _ZN7rocprim17ROCPRIM_400000_NS6detail17trampoline_kernelINS0_14default_configENS1_25partition_config_selectorILNS1_17partition_subalgoE6EjNS0_10empty_typeEbEEZZNS1_14partition_implILS5_6ELb0ES3_mN6thrust23THRUST_200600_302600_NS6detail15normal_iteratorINSA_10device_ptrIjEEEEPS6_SG_NS0_5tupleIJSF_S6_EEENSH_IJSG_SG_EEES6_PlJNSB_9not_fun_tINSB_10functional5actorINSM_9compositeIJNSM_27transparent_binary_operatorINSA_8equal_toIvEEEENSN_INSM_8argumentILj0EEEEENSM_5valueIjEEEEEEEEEEEE10hipError_tPvRmT3_T4_T5_T6_T7_T9_mT8_P12ihipStream_tbDpT10_ENKUlT_T0_E_clISt17integral_constantIbLb1EES1J_IbLb0EEEEDaS1F_S1G_EUlS1F_E_NS1_11comp_targetILNS1_3genE0ELNS1_11target_archE4294967295ELNS1_3gpuE0ELNS1_3repE0EEENS1_30default_config_static_selectorELNS0_4arch9wavefront6targetE0EEEvT1_.has_dyn_sized_stack, 0
	.set _ZN7rocprim17ROCPRIM_400000_NS6detail17trampoline_kernelINS0_14default_configENS1_25partition_config_selectorILNS1_17partition_subalgoE6EjNS0_10empty_typeEbEEZZNS1_14partition_implILS5_6ELb0ES3_mN6thrust23THRUST_200600_302600_NS6detail15normal_iteratorINSA_10device_ptrIjEEEEPS6_SG_NS0_5tupleIJSF_S6_EEENSH_IJSG_SG_EEES6_PlJNSB_9not_fun_tINSB_10functional5actorINSM_9compositeIJNSM_27transparent_binary_operatorINSA_8equal_toIvEEEENSN_INSM_8argumentILj0EEEEENSM_5valueIjEEEEEEEEEEEE10hipError_tPvRmT3_T4_T5_T6_T7_T9_mT8_P12ihipStream_tbDpT10_ENKUlT_T0_E_clISt17integral_constantIbLb1EES1J_IbLb0EEEEDaS1F_S1G_EUlS1F_E_NS1_11comp_targetILNS1_3genE0ELNS1_11target_archE4294967295ELNS1_3gpuE0ELNS1_3repE0EEENS1_30default_config_static_selectorELNS0_4arch9wavefront6targetE0EEEvT1_.has_recursion, 0
	.set _ZN7rocprim17ROCPRIM_400000_NS6detail17trampoline_kernelINS0_14default_configENS1_25partition_config_selectorILNS1_17partition_subalgoE6EjNS0_10empty_typeEbEEZZNS1_14partition_implILS5_6ELb0ES3_mN6thrust23THRUST_200600_302600_NS6detail15normal_iteratorINSA_10device_ptrIjEEEEPS6_SG_NS0_5tupleIJSF_S6_EEENSH_IJSG_SG_EEES6_PlJNSB_9not_fun_tINSB_10functional5actorINSM_9compositeIJNSM_27transparent_binary_operatorINSA_8equal_toIvEEEENSN_INSM_8argumentILj0EEEEENSM_5valueIjEEEEEEEEEEEE10hipError_tPvRmT3_T4_T5_T6_T7_T9_mT8_P12ihipStream_tbDpT10_ENKUlT_T0_E_clISt17integral_constantIbLb1EES1J_IbLb0EEEEDaS1F_S1G_EUlS1F_E_NS1_11comp_targetILNS1_3genE0ELNS1_11target_archE4294967295ELNS1_3gpuE0ELNS1_3repE0EEENS1_30default_config_static_selectorELNS0_4arch9wavefront6targetE0EEEvT1_.has_indirect_call, 0
	.section	.AMDGPU.csdata,"",@progbits
; Kernel info:
; codeLenInByte = 0
; TotalNumSgprs: 0
; NumVgprs: 0
; ScratchSize: 0
; MemoryBound: 0
; FloatMode: 240
; IeeeMode: 1
; LDSByteSize: 0 bytes/workgroup (compile time only)
; SGPRBlocks: 0
; VGPRBlocks: 0
; NumSGPRsForWavesPerEU: 1
; NumVGPRsForWavesPerEU: 1
; Occupancy: 16
; WaveLimiterHint : 0
; COMPUTE_PGM_RSRC2:SCRATCH_EN: 0
; COMPUTE_PGM_RSRC2:USER_SGPR: 2
; COMPUTE_PGM_RSRC2:TRAP_HANDLER: 0
; COMPUTE_PGM_RSRC2:TGID_X_EN: 1
; COMPUTE_PGM_RSRC2:TGID_Y_EN: 0
; COMPUTE_PGM_RSRC2:TGID_Z_EN: 0
; COMPUTE_PGM_RSRC2:TIDIG_COMP_CNT: 0
	.section	.text._ZN7rocprim17ROCPRIM_400000_NS6detail17trampoline_kernelINS0_14default_configENS1_25partition_config_selectorILNS1_17partition_subalgoE6EjNS0_10empty_typeEbEEZZNS1_14partition_implILS5_6ELb0ES3_mN6thrust23THRUST_200600_302600_NS6detail15normal_iteratorINSA_10device_ptrIjEEEEPS6_SG_NS0_5tupleIJSF_S6_EEENSH_IJSG_SG_EEES6_PlJNSB_9not_fun_tINSB_10functional5actorINSM_9compositeIJNSM_27transparent_binary_operatorINSA_8equal_toIvEEEENSN_INSM_8argumentILj0EEEEENSM_5valueIjEEEEEEEEEEEE10hipError_tPvRmT3_T4_T5_T6_T7_T9_mT8_P12ihipStream_tbDpT10_ENKUlT_T0_E_clISt17integral_constantIbLb1EES1J_IbLb0EEEEDaS1F_S1G_EUlS1F_E_NS1_11comp_targetILNS1_3genE5ELNS1_11target_archE942ELNS1_3gpuE9ELNS1_3repE0EEENS1_30default_config_static_selectorELNS0_4arch9wavefront6targetE0EEEvT1_,"axG",@progbits,_ZN7rocprim17ROCPRIM_400000_NS6detail17trampoline_kernelINS0_14default_configENS1_25partition_config_selectorILNS1_17partition_subalgoE6EjNS0_10empty_typeEbEEZZNS1_14partition_implILS5_6ELb0ES3_mN6thrust23THRUST_200600_302600_NS6detail15normal_iteratorINSA_10device_ptrIjEEEEPS6_SG_NS0_5tupleIJSF_S6_EEENSH_IJSG_SG_EEES6_PlJNSB_9not_fun_tINSB_10functional5actorINSM_9compositeIJNSM_27transparent_binary_operatorINSA_8equal_toIvEEEENSN_INSM_8argumentILj0EEEEENSM_5valueIjEEEEEEEEEEEE10hipError_tPvRmT3_T4_T5_T6_T7_T9_mT8_P12ihipStream_tbDpT10_ENKUlT_T0_E_clISt17integral_constantIbLb1EES1J_IbLb0EEEEDaS1F_S1G_EUlS1F_E_NS1_11comp_targetILNS1_3genE5ELNS1_11target_archE942ELNS1_3gpuE9ELNS1_3repE0EEENS1_30default_config_static_selectorELNS0_4arch9wavefront6targetE0EEEvT1_,comdat
	.protected	_ZN7rocprim17ROCPRIM_400000_NS6detail17trampoline_kernelINS0_14default_configENS1_25partition_config_selectorILNS1_17partition_subalgoE6EjNS0_10empty_typeEbEEZZNS1_14partition_implILS5_6ELb0ES3_mN6thrust23THRUST_200600_302600_NS6detail15normal_iteratorINSA_10device_ptrIjEEEEPS6_SG_NS0_5tupleIJSF_S6_EEENSH_IJSG_SG_EEES6_PlJNSB_9not_fun_tINSB_10functional5actorINSM_9compositeIJNSM_27transparent_binary_operatorINSA_8equal_toIvEEEENSN_INSM_8argumentILj0EEEEENSM_5valueIjEEEEEEEEEEEE10hipError_tPvRmT3_T4_T5_T6_T7_T9_mT8_P12ihipStream_tbDpT10_ENKUlT_T0_E_clISt17integral_constantIbLb1EES1J_IbLb0EEEEDaS1F_S1G_EUlS1F_E_NS1_11comp_targetILNS1_3genE5ELNS1_11target_archE942ELNS1_3gpuE9ELNS1_3repE0EEENS1_30default_config_static_selectorELNS0_4arch9wavefront6targetE0EEEvT1_ ; -- Begin function _ZN7rocprim17ROCPRIM_400000_NS6detail17trampoline_kernelINS0_14default_configENS1_25partition_config_selectorILNS1_17partition_subalgoE6EjNS0_10empty_typeEbEEZZNS1_14partition_implILS5_6ELb0ES3_mN6thrust23THRUST_200600_302600_NS6detail15normal_iteratorINSA_10device_ptrIjEEEEPS6_SG_NS0_5tupleIJSF_S6_EEENSH_IJSG_SG_EEES6_PlJNSB_9not_fun_tINSB_10functional5actorINSM_9compositeIJNSM_27transparent_binary_operatorINSA_8equal_toIvEEEENSN_INSM_8argumentILj0EEEEENSM_5valueIjEEEEEEEEEEEE10hipError_tPvRmT3_T4_T5_T6_T7_T9_mT8_P12ihipStream_tbDpT10_ENKUlT_T0_E_clISt17integral_constantIbLb1EES1J_IbLb0EEEEDaS1F_S1G_EUlS1F_E_NS1_11comp_targetILNS1_3genE5ELNS1_11target_archE942ELNS1_3gpuE9ELNS1_3repE0EEENS1_30default_config_static_selectorELNS0_4arch9wavefront6targetE0EEEvT1_
	.globl	_ZN7rocprim17ROCPRIM_400000_NS6detail17trampoline_kernelINS0_14default_configENS1_25partition_config_selectorILNS1_17partition_subalgoE6EjNS0_10empty_typeEbEEZZNS1_14partition_implILS5_6ELb0ES3_mN6thrust23THRUST_200600_302600_NS6detail15normal_iteratorINSA_10device_ptrIjEEEEPS6_SG_NS0_5tupleIJSF_S6_EEENSH_IJSG_SG_EEES6_PlJNSB_9not_fun_tINSB_10functional5actorINSM_9compositeIJNSM_27transparent_binary_operatorINSA_8equal_toIvEEEENSN_INSM_8argumentILj0EEEEENSM_5valueIjEEEEEEEEEEEE10hipError_tPvRmT3_T4_T5_T6_T7_T9_mT8_P12ihipStream_tbDpT10_ENKUlT_T0_E_clISt17integral_constantIbLb1EES1J_IbLb0EEEEDaS1F_S1G_EUlS1F_E_NS1_11comp_targetILNS1_3genE5ELNS1_11target_archE942ELNS1_3gpuE9ELNS1_3repE0EEENS1_30default_config_static_selectorELNS0_4arch9wavefront6targetE0EEEvT1_
	.p2align	8
	.type	_ZN7rocprim17ROCPRIM_400000_NS6detail17trampoline_kernelINS0_14default_configENS1_25partition_config_selectorILNS1_17partition_subalgoE6EjNS0_10empty_typeEbEEZZNS1_14partition_implILS5_6ELb0ES3_mN6thrust23THRUST_200600_302600_NS6detail15normal_iteratorINSA_10device_ptrIjEEEEPS6_SG_NS0_5tupleIJSF_S6_EEENSH_IJSG_SG_EEES6_PlJNSB_9not_fun_tINSB_10functional5actorINSM_9compositeIJNSM_27transparent_binary_operatorINSA_8equal_toIvEEEENSN_INSM_8argumentILj0EEEEENSM_5valueIjEEEEEEEEEEEE10hipError_tPvRmT3_T4_T5_T6_T7_T9_mT8_P12ihipStream_tbDpT10_ENKUlT_T0_E_clISt17integral_constantIbLb1EES1J_IbLb0EEEEDaS1F_S1G_EUlS1F_E_NS1_11comp_targetILNS1_3genE5ELNS1_11target_archE942ELNS1_3gpuE9ELNS1_3repE0EEENS1_30default_config_static_selectorELNS0_4arch9wavefront6targetE0EEEvT1_,@function
_ZN7rocprim17ROCPRIM_400000_NS6detail17trampoline_kernelINS0_14default_configENS1_25partition_config_selectorILNS1_17partition_subalgoE6EjNS0_10empty_typeEbEEZZNS1_14partition_implILS5_6ELb0ES3_mN6thrust23THRUST_200600_302600_NS6detail15normal_iteratorINSA_10device_ptrIjEEEEPS6_SG_NS0_5tupleIJSF_S6_EEENSH_IJSG_SG_EEES6_PlJNSB_9not_fun_tINSB_10functional5actorINSM_9compositeIJNSM_27transparent_binary_operatorINSA_8equal_toIvEEEENSN_INSM_8argumentILj0EEEEENSM_5valueIjEEEEEEEEEEEE10hipError_tPvRmT3_T4_T5_T6_T7_T9_mT8_P12ihipStream_tbDpT10_ENKUlT_T0_E_clISt17integral_constantIbLb1EES1J_IbLb0EEEEDaS1F_S1G_EUlS1F_E_NS1_11comp_targetILNS1_3genE5ELNS1_11target_archE942ELNS1_3gpuE9ELNS1_3repE0EEENS1_30default_config_static_selectorELNS0_4arch9wavefront6targetE0EEEvT1_: ; @_ZN7rocprim17ROCPRIM_400000_NS6detail17trampoline_kernelINS0_14default_configENS1_25partition_config_selectorILNS1_17partition_subalgoE6EjNS0_10empty_typeEbEEZZNS1_14partition_implILS5_6ELb0ES3_mN6thrust23THRUST_200600_302600_NS6detail15normal_iteratorINSA_10device_ptrIjEEEEPS6_SG_NS0_5tupleIJSF_S6_EEENSH_IJSG_SG_EEES6_PlJNSB_9not_fun_tINSB_10functional5actorINSM_9compositeIJNSM_27transparent_binary_operatorINSA_8equal_toIvEEEENSN_INSM_8argumentILj0EEEEENSM_5valueIjEEEEEEEEEEEE10hipError_tPvRmT3_T4_T5_T6_T7_T9_mT8_P12ihipStream_tbDpT10_ENKUlT_T0_E_clISt17integral_constantIbLb1EES1J_IbLb0EEEEDaS1F_S1G_EUlS1F_E_NS1_11comp_targetILNS1_3genE5ELNS1_11target_archE942ELNS1_3gpuE9ELNS1_3repE0EEENS1_30default_config_static_selectorELNS0_4arch9wavefront6targetE0EEEvT1_
; %bb.0:
	.section	.rodata,"a",@progbits
	.p2align	6, 0x0
	.amdhsa_kernel _ZN7rocprim17ROCPRIM_400000_NS6detail17trampoline_kernelINS0_14default_configENS1_25partition_config_selectorILNS1_17partition_subalgoE6EjNS0_10empty_typeEbEEZZNS1_14partition_implILS5_6ELb0ES3_mN6thrust23THRUST_200600_302600_NS6detail15normal_iteratorINSA_10device_ptrIjEEEEPS6_SG_NS0_5tupleIJSF_S6_EEENSH_IJSG_SG_EEES6_PlJNSB_9not_fun_tINSB_10functional5actorINSM_9compositeIJNSM_27transparent_binary_operatorINSA_8equal_toIvEEEENSN_INSM_8argumentILj0EEEEENSM_5valueIjEEEEEEEEEEEE10hipError_tPvRmT3_T4_T5_T6_T7_T9_mT8_P12ihipStream_tbDpT10_ENKUlT_T0_E_clISt17integral_constantIbLb1EES1J_IbLb0EEEEDaS1F_S1G_EUlS1F_E_NS1_11comp_targetILNS1_3genE5ELNS1_11target_archE942ELNS1_3gpuE9ELNS1_3repE0EEENS1_30default_config_static_selectorELNS0_4arch9wavefront6targetE0EEEvT1_
		.amdhsa_group_segment_fixed_size 0
		.amdhsa_private_segment_fixed_size 0
		.amdhsa_kernarg_size 120
		.amdhsa_user_sgpr_count 2
		.amdhsa_user_sgpr_dispatch_ptr 0
		.amdhsa_user_sgpr_queue_ptr 0
		.amdhsa_user_sgpr_kernarg_segment_ptr 1
		.amdhsa_user_sgpr_dispatch_id 0
		.amdhsa_user_sgpr_private_segment_size 0
		.amdhsa_wavefront_size32 1
		.amdhsa_uses_dynamic_stack 0
		.amdhsa_enable_private_segment 0
		.amdhsa_system_sgpr_workgroup_id_x 1
		.amdhsa_system_sgpr_workgroup_id_y 0
		.amdhsa_system_sgpr_workgroup_id_z 0
		.amdhsa_system_sgpr_workgroup_info 0
		.amdhsa_system_vgpr_workitem_id 0
		.amdhsa_next_free_vgpr 1
		.amdhsa_next_free_sgpr 1
		.amdhsa_reserve_vcc 0
		.amdhsa_float_round_mode_32 0
		.amdhsa_float_round_mode_16_64 0
		.amdhsa_float_denorm_mode_32 3
		.amdhsa_float_denorm_mode_16_64 3
		.amdhsa_fp16_overflow 0
		.amdhsa_workgroup_processor_mode 1
		.amdhsa_memory_ordered 1
		.amdhsa_forward_progress 1
		.amdhsa_inst_pref_size 0
		.amdhsa_round_robin_scheduling 0
		.amdhsa_exception_fp_ieee_invalid_op 0
		.amdhsa_exception_fp_denorm_src 0
		.amdhsa_exception_fp_ieee_div_zero 0
		.amdhsa_exception_fp_ieee_overflow 0
		.amdhsa_exception_fp_ieee_underflow 0
		.amdhsa_exception_fp_ieee_inexact 0
		.amdhsa_exception_int_div_zero 0
	.end_amdhsa_kernel
	.section	.text._ZN7rocprim17ROCPRIM_400000_NS6detail17trampoline_kernelINS0_14default_configENS1_25partition_config_selectorILNS1_17partition_subalgoE6EjNS0_10empty_typeEbEEZZNS1_14partition_implILS5_6ELb0ES3_mN6thrust23THRUST_200600_302600_NS6detail15normal_iteratorINSA_10device_ptrIjEEEEPS6_SG_NS0_5tupleIJSF_S6_EEENSH_IJSG_SG_EEES6_PlJNSB_9not_fun_tINSB_10functional5actorINSM_9compositeIJNSM_27transparent_binary_operatorINSA_8equal_toIvEEEENSN_INSM_8argumentILj0EEEEENSM_5valueIjEEEEEEEEEEEE10hipError_tPvRmT3_T4_T5_T6_T7_T9_mT8_P12ihipStream_tbDpT10_ENKUlT_T0_E_clISt17integral_constantIbLb1EES1J_IbLb0EEEEDaS1F_S1G_EUlS1F_E_NS1_11comp_targetILNS1_3genE5ELNS1_11target_archE942ELNS1_3gpuE9ELNS1_3repE0EEENS1_30default_config_static_selectorELNS0_4arch9wavefront6targetE0EEEvT1_,"axG",@progbits,_ZN7rocprim17ROCPRIM_400000_NS6detail17trampoline_kernelINS0_14default_configENS1_25partition_config_selectorILNS1_17partition_subalgoE6EjNS0_10empty_typeEbEEZZNS1_14partition_implILS5_6ELb0ES3_mN6thrust23THRUST_200600_302600_NS6detail15normal_iteratorINSA_10device_ptrIjEEEEPS6_SG_NS0_5tupleIJSF_S6_EEENSH_IJSG_SG_EEES6_PlJNSB_9not_fun_tINSB_10functional5actorINSM_9compositeIJNSM_27transparent_binary_operatorINSA_8equal_toIvEEEENSN_INSM_8argumentILj0EEEEENSM_5valueIjEEEEEEEEEEEE10hipError_tPvRmT3_T4_T5_T6_T7_T9_mT8_P12ihipStream_tbDpT10_ENKUlT_T0_E_clISt17integral_constantIbLb1EES1J_IbLb0EEEEDaS1F_S1G_EUlS1F_E_NS1_11comp_targetILNS1_3genE5ELNS1_11target_archE942ELNS1_3gpuE9ELNS1_3repE0EEENS1_30default_config_static_selectorELNS0_4arch9wavefront6targetE0EEEvT1_,comdat
.Lfunc_end130:
	.size	_ZN7rocprim17ROCPRIM_400000_NS6detail17trampoline_kernelINS0_14default_configENS1_25partition_config_selectorILNS1_17partition_subalgoE6EjNS0_10empty_typeEbEEZZNS1_14partition_implILS5_6ELb0ES3_mN6thrust23THRUST_200600_302600_NS6detail15normal_iteratorINSA_10device_ptrIjEEEEPS6_SG_NS0_5tupleIJSF_S6_EEENSH_IJSG_SG_EEES6_PlJNSB_9not_fun_tINSB_10functional5actorINSM_9compositeIJNSM_27transparent_binary_operatorINSA_8equal_toIvEEEENSN_INSM_8argumentILj0EEEEENSM_5valueIjEEEEEEEEEEEE10hipError_tPvRmT3_T4_T5_T6_T7_T9_mT8_P12ihipStream_tbDpT10_ENKUlT_T0_E_clISt17integral_constantIbLb1EES1J_IbLb0EEEEDaS1F_S1G_EUlS1F_E_NS1_11comp_targetILNS1_3genE5ELNS1_11target_archE942ELNS1_3gpuE9ELNS1_3repE0EEENS1_30default_config_static_selectorELNS0_4arch9wavefront6targetE0EEEvT1_, .Lfunc_end130-_ZN7rocprim17ROCPRIM_400000_NS6detail17trampoline_kernelINS0_14default_configENS1_25partition_config_selectorILNS1_17partition_subalgoE6EjNS0_10empty_typeEbEEZZNS1_14partition_implILS5_6ELb0ES3_mN6thrust23THRUST_200600_302600_NS6detail15normal_iteratorINSA_10device_ptrIjEEEEPS6_SG_NS0_5tupleIJSF_S6_EEENSH_IJSG_SG_EEES6_PlJNSB_9not_fun_tINSB_10functional5actorINSM_9compositeIJNSM_27transparent_binary_operatorINSA_8equal_toIvEEEENSN_INSM_8argumentILj0EEEEENSM_5valueIjEEEEEEEEEEEE10hipError_tPvRmT3_T4_T5_T6_T7_T9_mT8_P12ihipStream_tbDpT10_ENKUlT_T0_E_clISt17integral_constantIbLb1EES1J_IbLb0EEEEDaS1F_S1G_EUlS1F_E_NS1_11comp_targetILNS1_3genE5ELNS1_11target_archE942ELNS1_3gpuE9ELNS1_3repE0EEENS1_30default_config_static_selectorELNS0_4arch9wavefront6targetE0EEEvT1_
                                        ; -- End function
	.set _ZN7rocprim17ROCPRIM_400000_NS6detail17trampoline_kernelINS0_14default_configENS1_25partition_config_selectorILNS1_17partition_subalgoE6EjNS0_10empty_typeEbEEZZNS1_14partition_implILS5_6ELb0ES3_mN6thrust23THRUST_200600_302600_NS6detail15normal_iteratorINSA_10device_ptrIjEEEEPS6_SG_NS0_5tupleIJSF_S6_EEENSH_IJSG_SG_EEES6_PlJNSB_9not_fun_tINSB_10functional5actorINSM_9compositeIJNSM_27transparent_binary_operatorINSA_8equal_toIvEEEENSN_INSM_8argumentILj0EEEEENSM_5valueIjEEEEEEEEEEEE10hipError_tPvRmT3_T4_T5_T6_T7_T9_mT8_P12ihipStream_tbDpT10_ENKUlT_T0_E_clISt17integral_constantIbLb1EES1J_IbLb0EEEEDaS1F_S1G_EUlS1F_E_NS1_11comp_targetILNS1_3genE5ELNS1_11target_archE942ELNS1_3gpuE9ELNS1_3repE0EEENS1_30default_config_static_selectorELNS0_4arch9wavefront6targetE0EEEvT1_.num_vgpr, 0
	.set _ZN7rocprim17ROCPRIM_400000_NS6detail17trampoline_kernelINS0_14default_configENS1_25partition_config_selectorILNS1_17partition_subalgoE6EjNS0_10empty_typeEbEEZZNS1_14partition_implILS5_6ELb0ES3_mN6thrust23THRUST_200600_302600_NS6detail15normal_iteratorINSA_10device_ptrIjEEEEPS6_SG_NS0_5tupleIJSF_S6_EEENSH_IJSG_SG_EEES6_PlJNSB_9not_fun_tINSB_10functional5actorINSM_9compositeIJNSM_27transparent_binary_operatorINSA_8equal_toIvEEEENSN_INSM_8argumentILj0EEEEENSM_5valueIjEEEEEEEEEEEE10hipError_tPvRmT3_T4_T5_T6_T7_T9_mT8_P12ihipStream_tbDpT10_ENKUlT_T0_E_clISt17integral_constantIbLb1EES1J_IbLb0EEEEDaS1F_S1G_EUlS1F_E_NS1_11comp_targetILNS1_3genE5ELNS1_11target_archE942ELNS1_3gpuE9ELNS1_3repE0EEENS1_30default_config_static_selectorELNS0_4arch9wavefront6targetE0EEEvT1_.num_agpr, 0
	.set _ZN7rocprim17ROCPRIM_400000_NS6detail17trampoline_kernelINS0_14default_configENS1_25partition_config_selectorILNS1_17partition_subalgoE6EjNS0_10empty_typeEbEEZZNS1_14partition_implILS5_6ELb0ES3_mN6thrust23THRUST_200600_302600_NS6detail15normal_iteratorINSA_10device_ptrIjEEEEPS6_SG_NS0_5tupleIJSF_S6_EEENSH_IJSG_SG_EEES6_PlJNSB_9not_fun_tINSB_10functional5actorINSM_9compositeIJNSM_27transparent_binary_operatorINSA_8equal_toIvEEEENSN_INSM_8argumentILj0EEEEENSM_5valueIjEEEEEEEEEEEE10hipError_tPvRmT3_T4_T5_T6_T7_T9_mT8_P12ihipStream_tbDpT10_ENKUlT_T0_E_clISt17integral_constantIbLb1EES1J_IbLb0EEEEDaS1F_S1G_EUlS1F_E_NS1_11comp_targetILNS1_3genE5ELNS1_11target_archE942ELNS1_3gpuE9ELNS1_3repE0EEENS1_30default_config_static_selectorELNS0_4arch9wavefront6targetE0EEEvT1_.numbered_sgpr, 0
	.set _ZN7rocprim17ROCPRIM_400000_NS6detail17trampoline_kernelINS0_14default_configENS1_25partition_config_selectorILNS1_17partition_subalgoE6EjNS0_10empty_typeEbEEZZNS1_14partition_implILS5_6ELb0ES3_mN6thrust23THRUST_200600_302600_NS6detail15normal_iteratorINSA_10device_ptrIjEEEEPS6_SG_NS0_5tupleIJSF_S6_EEENSH_IJSG_SG_EEES6_PlJNSB_9not_fun_tINSB_10functional5actorINSM_9compositeIJNSM_27transparent_binary_operatorINSA_8equal_toIvEEEENSN_INSM_8argumentILj0EEEEENSM_5valueIjEEEEEEEEEEEE10hipError_tPvRmT3_T4_T5_T6_T7_T9_mT8_P12ihipStream_tbDpT10_ENKUlT_T0_E_clISt17integral_constantIbLb1EES1J_IbLb0EEEEDaS1F_S1G_EUlS1F_E_NS1_11comp_targetILNS1_3genE5ELNS1_11target_archE942ELNS1_3gpuE9ELNS1_3repE0EEENS1_30default_config_static_selectorELNS0_4arch9wavefront6targetE0EEEvT1_.num_named_barrier, 0
	.set _ZN7rocprim17ROCPRIM_400000_NS6detail17trampoline_kernelINS0_14default_configENS1_25partition_config_selectorILNS1_17partition_subalgoE6EjNS0_10empty_typeEbEEZZNS1_14partition_implILS5_6ELb0ES3_mN6thrust23THRUST_200600_302600_NS6detail15normal_iteratorINSA_10device_ptrIjEEEEPS6_SG_NS0_5tupleIJSF_S6_EEENSH_IJSG_SG_EEES6_PlJNSB_9not_fun_tINSB_10functional5actorINSM_9compositeIJNSM_27transparent_binary_operatorINSA_8equal_toIvEEEENSN_INSM_8argumentILj0EEEEENSM_5valueIjEEEEEEEEEEEE10hipError_tPvRmT3_T4_T5_T6_T7_T9_mT8_P12ihipStream_tbDpT10_ENKUlT_T0_E_clISt17integral_constantIbLb1EES1J_IbLb0EEEEDaS1F_S1G_EUlS1F_E_NS1_11comp_targetILNS1_3genE5ELNS1_11target_archE942ELNS1_3gpuE9ELNS1_3repE0EEENS1_30default_config_static_selectorELNS0_4arch9wavefront6targetE0EEEvT1_.private_seg_size, 0
	.set _ZN7rocprim17ROCPRIM_400000_NS6detail17trampoline_kernelINS0_14default_configENS1_25partition_config_selectorILNS1_17partition_subalgoE6EjNS0_10empty_typeEbEEZZNS1_14partition_implILS5_6ELb0ES3_mN6thrust23THRUST_200600_302600_NS6detail15normal_iteratorINSA_10device_ptrIjEEEEPS6_SG_NS0_5tupleIJSF_S6_EEENSH_IJSG_SG_EEES6_PlJNSB_9not_fun_tINSB_10functional5actorINSM_9compositeIJNSM_27transparent_binary_operatorINSA_8equal_toIvEEEENSN_INSM_8argumentILj0EEEEENSM_5valueIjEEEEEEEEEEEE10hipError_tPvRmT3_T4_T5_T6_T7_T9_mT8_P12ihipStream_tbDpT10_ENKUlT_T0_E_clISt17integral_constantIbLb1EES1J_IbLb0EEEEDaS1F_S1G_EUlS1F_E_NS1_11comp_targetILNS1_3genE5ELNS1_11target_archE942ELNS1_3gpuE9ELNS1_3repE0EEENS1_30default_config_static_selectorELNS0_4arch9wavefront6targetE0EEEvT1_.uses_vcc, 0
	.set _ZN7rocprim17ROCPRIM_400000_NS6detail17trampoline_kernelINS0_14default_configENS1_25partition_config_selectorILNS1_17partition_subalgoE6EjNS0_10empty_typeEbEEZZNS1_14partition_implILS5_6ELb0ES3_mN6thrust23THRUST_200600_302600_NS6detail15normal_iteratorINSA_10device_ptrIjEEEEPS6_SG_NS0_5tupleIJSF_S6_EEENSH_IJSG_SG_EEES6_PlJNSB_9not_fun_tINSB_10functional5actorINSM_9compositeIJNSM_27transparent_binary_operatorINSA_8equal_toIvEEEENSN_INSM_8argumentILj0EEEEENSM_5valueIjEEEEEEEEEEEE10hipError_tPvRmT3_T4_T5_T6_T7_T9_mT8_P12ihipStream_tbDpT10_ENKUlT_T0_E_clISt17integral_constantIbLb1EES1J_IbLb0EEEEDaS1F_S1G_EUlS1F_E_NS1_11comp_targetILNS1_3genE5ELNS1_11target_archE942ELNS1_3gpuE9ELNS1_3repE0EEENS1_30default_config_static_selectorELNS0_4arch9wavefront6targetE0EEEvT1_.uses_flat_scratch, 0
	.set _ZN7rocprim17ROCPRIM_400000_NS6detail17trampoline_kernelINS0_14default_configENS1_25partition_config_selectorILNS1_17partition_subalgoE6EjNS0_10empty_typeEbEEZZNS1_14partition_implILS5_6ELb0ES3_mN6thrust23THRUST_200600_302600_NS6detail15normal_iteratorINSA_10device_ptrIjEEEEPS6_SG_NS0_5tupleIJSF_S6_EEENSH_IJSG_SG_EEES6_PlJNSB_9not_fun_tINSB_10functional5actorINSM_9compositeIJNSM_27transparent_binary_operatorINSA_8equal_toIvEEEENSN_INSM_8argumentILj0EEEEENSM_5valueIjEEEEEEEEEEEE10hipError_tPvRmT3_T4_T5_T6_T7_T9_mT8_P12ihipStream_tbDpT10_ENKUlT_T0_E_clISt17integral_constantIbLb1EES1J_IbLb0EEEEDaS1F_S1G_EUlS1F_E_NS1_11comp_targetILNS1_3genE5ELNS1_11target_archE942ELNS1_3gpuE9ELNS1_3repE0EEENS1_30default_config_static_selectorELNS0_4arch9wavefront6targetE0EEEvT1_.has_dyn_sized_stack, 0
	.set _ZN7rocprim17ROCPRIM_400000_NS6detail17trampoline_kernelINS0_14default_configENS1_25partition_config_selectorILNS1_17partition_subalgoE6EjNS0_10empty_typeEbEEZZNS1_14partition_implILS5_6ELb0ES3_mN6thrust23THRUST_200600_302600_NS6detail15normal_iteratorINSA_10device_ptrIjEEEEPS6_SG_NS0_5tupleIJSF_S6_EEENSH_IJSG_SG_EEES6_PlJNSB_9not_fun_tINSB_10functional5actorINSM_9compositeIJNSM_27transparent_binary_operatorINSA_8equal_toIvEEEENSN_INSM_8argumentILj0EEEEENSM_5valueIjEEEEEEEEEEEE10hipError_tPvRmT3_T4_T5_T6_T7_T9_mT8_P12ihipStream_tbDpT10_ENKUlT_T0_E_clISt17integral_constantIbLb1EES1J_IbLb0EEEEDaS1F_S1G_EUlS1F_E_NS1_11comp_targetILNS1_3genE5ELNS1_11target_archE942ELNS1_3gpuE9ELNS1_3repE0EEENS1_30default_config_static_selectorELNS0_4arch9wavefront6targetE0EEEvT1_.has_recursion, 0
	.set _ZN7rocprim17ROCPRIM_400000_NS6detail17trampoline_kernelINS0_14default_configENS1_25partition_config_selectorILNS1_17partition_subalgoE6EjNS0_10empty_typeEbEEZZNS1_14partition_implILS5_6ELb0ES3_mN6thrust23THRUST_200600_302600_NS6detail15normal_iteratorINSA_10device_ptrIjEEEEPS6_SG_NS0_5tupleIJSF_S6_EEENSH_IJSG_SG_EEES6_PlJNSB_9not_fun_tINSB_10functional5actorINSM_9compositeIJNSM_27transparent_binary_operatorINSA_8equal_toIvEEEENSN_INSM_8argumentILj0EEEEENSM_5valueIjEEEEEEEEEEEE10hipError_tPvRmT3_T4_T5_T6_T7_T9_mT8_P12ihipStream_tbDpT10_ENKUlT_T0_E_clISt17integral_constantIbLb1EES1J_IbLb0EEEEDaS1F_S1G_EUlS1F_E_NS1_11comp_targetILNS1_3genE5ELNS1_11target_archE942ELNS1_3gpuE9ELNS1_3repE0EEENS1_30default_config_static_selectorELNS0_4arch9wavefront6targetE0EEEvT1_.has_indirect_call, 0
	.section	.AMDGPU.csdata,"",@progbits
; Kernel info:
; codeLenInByte = 0
; TotalNumSgprs: 0
; NumVgprs: 0
; ScratchSize: 0
; MemoryBound: 0
; FloatMode: 240
; IeeeMode: 1
; LDSByteSize: 0 bytes/workgroup (compile time only)
; SGPRBlocks: 0
; VGPRBlocks: 0
; NumSGPRsForWavesPerEU: 1
; NumVGPRsForWavesPerEU: 1
; Occupancy: 16
; WaveLimiterHint : 0
; COMPUTE_PGM_RSRC2:SCRATCH_EN: 0
; COMPUTE_PGM_RSRC2:USER_SGPR: 2
; COMPUTE_PGM_RSRC2:TRAP_HANDLER: 0
; COMPUTE_PGM_RSRC2:TGID_X_EN: 1
; COMPUTE_PGM_RSRC2:TGID_Y_EN: 0
; COMPUTE_PGM_RSRC2:TGID_Z_EN: 0
; COMPUTE_PGM_RSRC2:TIDIG_COMP_CNT: 0
	.section	.text._ZN7rocprim17ROCPRIM_400000_NS6detail17trampoline_kernelINS0_14default_configENS1_25partition_config_selectorILNS1_17partition_subalgoE6EjNS0_10empty_typeEbEEZZNS1_14partition_implILS5_6ELb0ES3_mN6thrust23THRUST_200600_302600_NS6detail15normal_iteratorINSA_10device_ptrIjEEEEPS6_SG_NS0_5tupleIJSF_S6_EEENSH_IJSG_SG_EEES6_PlJNSB_9not_fun_tINSB_10functional5actorINSM_9compositeIJNSM_27transparent_binary_operatorINSA_8equal_toIvEEEENSN_INSM_8argumentILj0EEEEENSM_5valueIjEEEEEEEEEEEE10hipError_tPvRmT3_T4_T5_T6_T7_T9_mT8_P12ihipStream_tbDpT10_ENKUlT_T0_E_clISt17integral_constantIbLb1EES1J_IbLb0EEEEDaS1F_S1G_EUlS1F_E_NS1_11comp_targetILNS1_3genE4ELNS1_11target_archE910ELNS1_3gpuE8ELNS1_3repE0EEENS1_30default_config_static_selectorELNS0_4arch9wavefront6targetE0EEEvT1_,"axG",@progbits,_ZN7rocprim17ROCPRIM_400000_NS6detail17trampoline_kernelINS0_14default_configENS1_25partition_config_selectorILNS1_17partition_subalgoE6EjNS0_10empty_typeEbEEZZNS1_14partition_implILS5_6ELb0ES3_mN6thrust23THRUST_200600_302600_NS6detail15normal_iteratorINSA_10device_ptrIjEEEEPS6_SG_NS0_5tupleIJSF_S6_EEENSH_IJSG_SG_EEES6_PlJNSB_9not_fun_tINSB_10functional5actorINSM_9compositeIJNSM_27transparent_binary_operatorINSA_8equal_toIvEEEENSN_INSM_8argumentILj0EEEEENSM_5valueIjEEEEEEEEEEEE10hipError_tPvRmT3_T4_T5_T6_T7_T9_mT8_P12ihipStream_tbDpT10_ENKUlT_T0_E_clISt17integral_constantIbLb1EES1J_IbLb0EEEEDaS1F_S1G_EUlS1F_E_NS1_11comp_targetILNS1_3genE4ELNS1_11target_archE910ELNS1_3gpuE8ELNS1_3repE0EEENS1_30default_config_static_selectorELNS0_4arch9wavefront6targetE0EEEvT1_,comdat
	.protected	_ZN7rocprim17ROCPRIM_400000_NS6detail17trampoline_kernelINS0_14default_configENS1_25partition_config_selectorILNS1_17partition_subalgoE6EjNS0_10empty_typeEbEEZZNS1_14partition_implILS5_6ELb0ES3_mN6thrust23THRUST_200600_302600_NS6detail15normal_iteratorINSA_10device_ptrIjEEEEPS6_SG_NS0_5tupleIJSF_S6_EEENSH_IJSG_SG_EEES6_PlJNSB_9not_fun_tINSB_10functional5actorINSM_9compositeIJNSM_27transparent_binary_operatorINSA_8equal_toIvEEEENSN_INSM_8argumentILj0EEEEENSM_5valueIjEEEEEEEEEEEE10hipError_tPvRmT3_T4_T5_T6_T7_T9_mT8_P12ihipStream_tbDpT10_ENKUlT_T0_E_clISt17integral_constantIbLb1EES1J_IbLb0EEEEDaS1F_S1G_EUlS1F_E_NS1_11comp_targetILNS1_3genE4ELNS1_11target_archE910ELNS1_3gpuE8ELNS1_3repE0EEENS1_30default_config_static_selectorELNS0_4arch9wavefront6targetE0EEEvT1_ ; -- Begin function _ZN7rocprim17ROCPRIM_400000_NS6detail17trampoline_kernelINS0_14default_configENS1_25partition_config_selectorILNS1_17partition_subalgoE6EjNS0_10empty_typeEbEEZZNS1_14partition_implILS5_6ELb0ES3_mN6thrust23THRUST_200600_302600_NS6detail15normal_iteratorINSA_10device_ptrIjEEEEPS6_SG_NS0_5tupleIJSF_S6_EEENSH_IJSG_SG_EEES6_PlJNSB_9not_fun_tINSB_10functional5actorINSM_9compositeIJNSM_27transparent_binary_operatorINSA_8equal_toIvEEEENSN_INSM_8argumentILj0EEEEENSM_5valueIjEEEEEEEEEEEE10hipError_tPvRmT3_T4_T5_T6_T7_T9_mT8_P12ihipStream_tbDpT10_ENKUlT_T0_E_clISt17integral_constantIbLb1EES1J_IbLb0EEEEDaS1F_S1G_EUlS1F_E_NS1_11comp_targetILNS1_3genE4ELNS1_11target_archE910ELNS1_3gpuE8ELNS1_3repE0EEENS1_30default_config_static_selectorELNS0_4arch9wavefront6targetE0EEEvT1_
	.globl	_ZN7rocprim17ROCPRIM_400000_NS6detail17trampoline_kernelINS0_14default_configENS1_25partition_config_selectorILNS1_17partition_subalgoE6EjNS0_10empty_typeEbEEZZNS1_14partition_implILS5_6ELb0ES3_mN6thrust23THRUST_200600_302600_NS6detail15normal_iteratorINSA_10device_ptrIjEEEEPS6_SG_NS0_5tupleIJSF_S6_EEENSH_IJSG_SG_EEES6_PlJNSB_9not_fun_tINSB_10functional5actorINSM_9compositeIJNSM_27transparent_binary_operatorINSA_8equal_toIvEEEENSN_INSM_8argumentILj0EEEEENSM_5valueIjEEEEEEEEEEEE10hipError_tPvRmT3_T4_T5_T6_T7_T9_mT8_P12ihipStream_tbDpT10_ENKUlT_T0_E_clISt17integral_constantIbLb1EES1J_IbLb0EEEEDaS1F_S1G_EUlS1F_E_NS1_11comp_targetILNS1_3genE4ELNS1_11target_archE910ELNS1_3gpuE8ELNS1_3repE0EEENS1_30default_config_static_selectorELNS0_4arch9wavefront6targetE0EEEvT1_
	.p2align	8
	.type	_ZN7rocprim17ROCPRIM_400000_NS6detail17trampoline_kernelINS0_14default_configENS1_25partition_config_selectorILNS1_17partition_subalgoE6EjNS0_10empty_typeEbEEZZNS1_14partition_implILS5_6ELb0ES3_mN6thrust23THRUST_200600_302600_NS6detail15normal_iteratorINSA_10device_ptrIjEEEEPS6_SG_NS0_5tupleIJSF_S6_EEENSH_IJSG_SG_EEES6_PlJNSB_9not_fun_tINSB_10functional5actorINSM_9compositeIJNSM_27transparent_binary_operatorINSA_8equal_toIvEEEENSN_INSM_8argumentILj0EEEEENSM_5valueIjEEEEEEEEEEEE10hipError_tPvRmT3_T4_T5_T6_T7_T9_mT8_P12ihipStream_tbDpT10_ENKUlT_T0_E_clISt17integral_constantIbLb1EES1J_IbLb0EEEEDaS1F_S1G_EUlS1F_E_NS1_11comp_targetILNS1_3genE4ELNS1_11target_archE910ELNS1_3gpuE8ELNS1_3repE0EEENS1_30default_config_static_selectorELNS0_4arch9wavefront6targetE0EEEvT1_,@function
_ZN7rocprim17ROCPRIM_400000_NS6detail17trampoline_kernelINS0_14default_configENS1_25partition_config_selectorILNS1_17partition_subalgoE6EjNS0_10empty_typeEbEEZZNS1_14partition_implILS5_6ELb0ES3_mN6thrust23THRUST_200600_302600_NS6detail15normal_iteratorINSA_10device_ptrIjEEEEPS6_SG_NS0_5tupleIJSF_S6_EEENSH_IJSG_SG_EEES6_PlJNSB_9not_fun_tINSB_10functional5actorINSM_9compositeIJNSM_27transparent_binary_operatorINSA_8equal_toIvEEEENSN_INSM_8argumentILj0EEEEENSM_5valueIjEEEEEEEEEEEE10hipError_tPvRmT3_T4_T5_T6_T7_T9_mT8_P12ihipStream_tbDpT10_ENKUlT_T0_E_clISt17integral_constantIbLb1EES1J_IbLb0EEEEDaS1F_S1G_EUlS1F_E_NS1_11comp_targetILNS1_3genE4ELNS1_11target_archE910ELNS1_3gpuE8ELNS1_3repE0EEENS1_30default_config_static_selectorELNS0_4arch9wavefront6targetE0EEEvT1_: ; @_ZN7rocprim17ROCPRIM_400000_NS6detail17trampoline_kernelINS0_14default_configENS1_25partition_config_selectorILNS1_17partition_subalgoE6EjNS0_10empty_typeEbEEZZNS1_14partition_implILS5_6ELb0ES3_mN6thrust23THRUST_200600_302600_NS6detail15normal_iteratorINSA_10device_ptrIjEEEEPS6_SG_NS0_5tupleIJSF_S6_EEENSH_IJSG_SG_EEES6_PlJNSB_9not_fun_tINSB_10functional5actorINSM_9compositeIJNSM_27transparent_binary_operatorINSA_8equal_toIvEEEENSN_INSM_8argumentILj0EEEEENSM_5valueIjEEEEEEEEEEEE10hipError_tPvRmT3_T4_T5_T6_T7_T9_mT8_P12ihipStream_tbDpT10_ENKUlT_T0_E_clISt17integral_constantIbLb1EES1J_IbLb0EEEEDaS1F_S1G_EUlS1F_E_NS1_11comp_targetILNS1_3genE4ELNS1_11target_archE910ELNS1_3gpuE8ELNS1_3repE0EEENS1_30default_config_static_selectorELNS0_4arch9wavefront6targetE0EEEvT1_
; %bb.0:
	.section	.rodata,"a",@progbits
	.p2align	6, 0x0
	.amdhsa_kernel _ZN7rocprim17ROCPRIM_400000_NS6detail17trampoline_kernelINS0_14default_configENS1_25partition_config_selectorILNS1_17partition_subalgoE6EjNS0_10empty_typeEbEEZZNS1_14partition_implILS5_6ELb0ES3_mN6thrust23THRUST_200600_302600_NS6detail15normal_iteratorINSA_10device_ptrIjEEEEPS6_SG_NS0_5tupleIJSF_S6_EEENSH_IJSG_SG_EEES6_PlJNSB_9not_fun_tINSB_10functional5actorINSM_9compositeIJNSM_27transparent_binary_operatorINSA_8equal_toIvEEEENSN_INSM_8argumentILj0EEEEENSM_5valueIjEEEEEEEEEEEE10hipError_tPvRmT3_T4_T5_T6_T7_T9_mT8_P12ihipStream_tbDpT10_ENKUlT_T0_E_clISt17integral_constantIbLb1EES1J_IbLb0EEEEDaS1F_S1G_EUlS1F_E_NS1_11comp_targetILNS1_3genE4ELNS1_11target_archE910ELNS1_3gpuE8ELNS1_3repE0EEENS1_30default_config_static_selectorELNS0_4arch9wavefront6targetE0EEEvT1_
		.amdhsa_group_segment_fixed_size 0
		.amdhsa_private_segment_fixed_size 0
		.amdhsa_kernarg_size 120
		.amdhsa_user_sgpr_count 2
		.amdhsa_user_sgpr_dispatch_ptr 0
		.amdhsa_user_sgpr_queue_ptr 0
		.amdhsa_user_sgpr_kernarg_segment_ptr 1
		.amdhsa_user_sgpr_dispatch_id 0
		.amdhsa_user_sgpr_private_segment_size 0
		.amdhsa_wavefront_size32 1
		.amdhsa_uses_dynamic_stack 0
		.amdhsa_enable_private_segment 0
		.amdhsa_system_sgpr_workgroup_id_x 1
		.amdhsa_system_sgpr_workgroup_id_y 0
		.amdhsa_system_sgpr_workgroup_id_z 0
		.amdhsa_system_sgpr_workgroup_info 0
		.amdhsa_system_vgpr_workitem_id 0
		.amdhsa_next_free_vgpr 1
		.amdhsa_next_free_sgpr 1
		.amdhsa_reserve_vcc 0
		.amdhsa_float_round_mode_32 0
		.amdhsa_float_round_mode_16_64 0
		.amdhsa_float_denorm_mode_32 3
		.amdhsa_float_denorm_mode_16_64 3
		.amdhsa_fp16_overflow 0
		.amdhsa_workgroup_processor_mode 1
		.amdhsa_memory_ordered 1
		.amdhsa_forward_progress 1
		.amdhsa_inst_pref_size 0
		.amdhsa_round_robin_scheduling 0
		.amdhsa_exception_fp_ieee_invalid_op 0
		.amdhsa_exception_fp_denorm_src 0
		.amdhsa_exception_fp_ieee_div_zero 0
		.amdhsa_exception_fp_ieee_overflow 0
		.amdhsa_exception_fp_ieee_underflow 0
		.amdhsa_exception_fp_ieee_inexact 0
		.amdhsa_exception_int_div_zero 0
	.end_amdhsa_kernel
	.section	.text._ZN7rocprim17ROCPRIM_400000_NS6detail17trampoline_kernelINS0_14default_configENS1_25partition_config_selectorILNS1_17partition_subalgoE6EjNS0_10empty_typeEbEEZZNS1_14partition_implILS5_6ELb0ES3_mN6thrust23THRUST_200600_302600_NS6detail15normal_iteratorINSA_10device_ptrIjEEEEPS6_SG_NS0_5tupleIJSF_S6_EEENSH_IJSG_SG_EEES6_PlJNSB_9not_fun_tINSB_10functional5actorINSM_9compositeIJNSM_27transparent_binary_operatorINSA_8equal_toIvEEEENSN_INSM_8argumentILj0EEEEENSM_5valueIjEEEEEEEEEEEE10hipError_tPvRmT3_T4_T5_T6_T7_T9_mT8_P12ihipStream_tbDpT10_ENKUlT_T0_E_clISt17integral_constantIbLb1EES1J_IbLb0EEEEDaS1F_S1G_EUlS1F_E_NS1_11comp_targetILNS1_3genE4ELNS1_11target_archE910ELNS1_3gpuE8ELNS1_3repE0EEENS1_30default_config_static_selectorELNS0_4arch9wavefront6targetE0EEEvT1_,"axG",@progbits,_ZN7rocprim17ROCPRIM_400000_NS6detail17trampoline_kernelINS0_14default_configENS1_25partition_config_selectorILNS1_17partition_subalgoE6EjNS0_10empty_typeEbEEZZNS1_14partition_implILS5_6ELb0ES3_mN6thrust23THRUST_200600_302600_NS6detail15normal_iteratorINSA_10device_ptrIjEEEEPS6_SG_NS0_5tupleIJSF_S6_EEENSH_IJSG_SG_EEES6_PlJNSB_9not_fun_tINSB_10functional5actorINSM_9compositeIJNSM_27transparent_binary_operatorINSA_8equal_toIvEEEENSN_INSM_8argumentILj0EEEEENSM_5valueIjEEEEEEEEEEEE10hipError_tPvRmT3_T4_T5_T6_T7_T9_mT8_P12ihipStream_tbDpT10_ENKUlT_T0_E_clISt17integral_constantIbLb1EES1J_IbLb0EEEEDaS1F_S1G_EUlS1F_E_NS1_11comp_targetILNS1_3genE4ELNS1_11target_archE910ELNS1_3gpuE8ELNS1_3repE0EEENS1_30default_config_static_selectorELNS0_4arch9wavefront6targetE0EEEvT1_,comdat
.Lfunc_end131:
	.size	_ZN7rocprim17ROCPRIM_400000_NS6detail17trampoline_kernelINS0_14default_configENS1_25partition_config_selectorILNS1_17partition_subalgoE6EjNS0_10empty_typeEbEEZZNS1_14partition_implILS5_6ELb0ES3_mN6thrust23THRUST_200600_302600_NS6detail15normal_iteratorINSA_10device_ptrIjEEEEPS6_SG_NS0_5tupleIJSF_S6_EEENSH_IJSG_SG_EEES6_PlJNSB_9not_fun_tINSB_10functional5actorINSM_9compositeIJNSM_27transparent_binary_operatorINSA_8equal_toIvEEEENSN_INSM_8argumentILj0EEEEENSM_5valueIjEEEEEEEEEEEE10hipError_tPvRmT3_T4_T5_T6_T7_T9_mT8_P12ihipStream_tbDpT10_ENKUlT_T0_E_clISt17integral_constantIbLb1EES1J_IbLb0EEEEDaS1F_S1G_EUlS1F_E_NS1_11comp_targetILNS1_3genE4ELNS1_11target_archE910ELNS1_3gpuE8ELNS1_3repE0EEENS1_30default_config_static_selectorELNS0_4arch9wavefront6targetE0EEEvT1_, .Lfunc_end131-_ZN7rocprim17ROCPRIM_400000_NS6detail17trampoline_kernelINS0_14default_configENS1_25partition_config_selectorILNS1_17partition_subalgoE6EjNS0_10empty_typeEbEEZZNS1_14partition_implILS5_6ELb0ES3_mN6thrust23THRUST_200600_302600_NS6detail15normal_iteratorINSA_10device_ptrIjEEEEPS6_SG_NS0_5tupleIJSF_S6_EEENSH_IJSG_SG_EEES6_PlJNSB_9not_fun_tINSB_10functional5actorINSM_9compositeIJNSM_27transparent_binary_operatorINSA_8equal_toIvEEEENSN_INSM_8argumentILj0EEEEENSM_5valueIjEEEEEEEEEEEE10hipError_tPvRmT3_T4_T5_T6_T7_T9_mT8_P12ihipStream_tbDpT10_ENKUlT_T0_E_clISt17integral_constantIbLb1EES1J_IbLb0EEEEDaS1F_S1G_EUlS1F_E_NS1_11comp_targetILNS1_3genE4ELNS1_11target_archE910ELNS1_3gpuE8ELNS1_3repE0EEENS1_30default_config_static_selectorELNS0_4arch9wavefront6targetE0EEEvT1_
                                        ; -- End function
	.set _ZN7rocprim17ROCPRIM_400000_NS6detail17trampoline_kernelINS0_14default_configENS1_25partition_config_selectorILNS1_17partition_subalgoE6EjNS0_10empty_typeEbEEZZNS1_14partition_implILS5_6ELb0ES3_mN6thrust23THRUST_200600_302600_NS6detail15normal_iteratorINSA_10device_ptrIjEEEEPS6_SG_NS0_5tupleIJSF_S6_EEENSH_IJSG_SG_EEES6_PlJNSB_9not_fun_tINSB_10functional5actorINSM_9compositeIJNSM_27transparent_binary_operatorINSA_8equal_toIvEEEENSN_INSM_8argumentILj0EEEEENSM_5valueIjEEEEEEEEEEEE10hipError_tPvRmT3_T4_T5_T6_T7_T9_mT8_P12ihipStream_tbDpT10_ENKUlT_T0_E_clISt17integral_constantIbLb1EES1J_IbLb0EEEEDaS1F_S1G_EUlS1F_E_NS1_11comp_targetILNS1_3genE4ELNS1_11target_archE910ELNS1_3gpuE8ELNS1_3repE0EEENS1_30default_config_static_selectorELNS0_4arch9wavefront6targetE0EEEvT1_.num_vgpr, 0
	.set _ZN7rocprim17ROCPRIM_400000_NS6detail17trampoline_kernelINS0_14default_configENS1_25partition_config_selectorILNS1_17partition_subalgoE6EjNS0_10empty_typeEbEEZZNS1_14partition_implILS5_6ELb0ES3_mN6thrust23THRUST_200600_302600_NS6detail15normal_iteratorINSA_10device_ptrIjEEEEPS6_SG_NS0_5tupleIJSF_S6_EEENSH_IJSG_SG_EEES6_PlJNSB_9not_fun_tINSB_10functional5actorINSM_9compositeIJNSM_27transparent_binary_operatorINSA_8equal_toIvEEEENSN_INSM_8argumentILj0EEEEENSM_5valueIjEEEEEEEEEEEE10hipError_tPvRmT3_T4_T5_T6_T7_T9_mT8_P12ihipStream_tbDpT10_ENKUlT_T0_E_clISt17integral_constantIbLb1EES1J_IbLb0EEEEDaS1F_S1G_EUlS1F_E_NS1_11comp_targetILNS1_3genE4ELNS1_11target_archE910ELNS1_3gpuE8ELNS1_3repE0EEENS1_30default_config_static_selectorELNS0_4arch9wavefront6targetE0EEEvT1_.num_agpr, 0
	.set _ZN7rocprim17ROCPRIM_400000_NS6detail17trampoline_kernelINS0_14default_configENS1_25partition_config_selectorILNS1_17partition_subalgoE6EjNS0_10empty_typeEbEEZZNS1_14partition_implILS5_6ELb0ES3_mN6thrust23THRUST_200600_302600_NS6detail15normal_iteratorINSA_10device_ptrIjEEEEPS6_SG_NS0_5tupleIJSF_S6_EEENSH_IJSG_SG_EEES6_PlJNSB_9not_fun_tINSB_10functional5actorINSM_9compositeIJNSM_27transparent_binary_operatorINSA_8equal_toIvEEEENSN_INSM_8argumentILj0EEEEENSM_5valueIjEEEEEEEEEEEE10hipError_tPvRmT3_T4_T5_T6_T7_T9_mT8_P12ihipStream_tbDpT10_ENKUlT_T0_E_clISt17integral_constantIbLb1EES1J_IbLb0EEEEDaS1F_S1G_EUlS1F_E_NS1_11comp_targetILNS1_3genE4ELNS1_11target_archE910ELNS1_3gpuE8ELNS1_3repE0EEENS1_30default_config_static_selectorELNS0_4arch9wavefront6targetE0EEEvT1_.numbered_sgpr, 0
	.set _ZN7rocprim17ROCPRIM_400000_NS6detail17trampoline_kernelINS0_14default_configENS1_25partition_config_selectorILNS1_17partition_subalgoE6EjNS0_10empty_typeEbEEZZNS1_14partition_implILS5_6ELb0ES3_mN6thrust23THRUST_200600_302600_NS6detail15normal_iteratorINSA_10device_ptrIjEEEEPS6_SG_NS0_5tupleIJSF_S6_EEENSH_IJSG_SG_EEES6_PlJNSB_9not_fun_tINSB_10functional5actorINSM_9compositeIJNSM_27transparent_binary_operatorINSA_8equal_toIvEEEENSN_INSM_8argumentILj0EEEEENSM_5valueIjEEEEEEEEEEEE10hipError_tPvRmT3_T4_T5_T6_T7_T9_mT8_P12ihipStream_tbDpT10_ENKUlT_T0_E_clISt17integral_constantIbLb1EES1J_IbLb0EEEEDaS1F_S1G_EUlS1F_E_NS1_11comp_targetILNS1_3genE4ELNS1_11target_archE910ELNS1_3gpuE8ELNS1_3repE0EEENS1_30default_config_static_selectorELNS0_4arch9wavefront6targetE0EEEvT1_.num_named_barrier, 0
	.set _ZN7rocprim17ROCPRIM_400000_NS6detail17trampoline_kernelINS0_14default_configENS1_25partition_config_selectorILNS1_17partition_subalgoE6EjNS0_10empty_typeEbEEZZNS1_14partition_implILS5_6ELb0ES3_mN6thrust23THRUST_200600_302600_NS6detail15normal_iteratorINSA_10device_ptrIjEEEEPS6_SG_NS0_5tupleIJSF_S6_EEENSH_IJSG_SG_EEES6_PlJNSB_9not_fun_tINSB_10functional5actorINSM_9compositeIJNSM_27transparent_binary_operatorINSA_8equal_toIvEEEENSN_INSM_8argumentILj0EEEEENSM_5valueIjEEEEEEEEEEEE10hipError_tPvRmT3_T4_T5_T6_T7_T9_mT8_P12ihipStream_tbDpT10_ENKUlT_T0_E_clISt17integral_constantIbLb1EES1J_IbLb0EEEEDaS1F_S1G_EUlS1F_E_NS1_11comp_targetILNS1_3genE4ELNS1_11target_archE910ELNS1_3gpuE8ELNS1_3repE0EEENS1_30default_config_static_selectorELNS0_4arch9wavefront6targetE0EEEvT1_.private_seg_size, 0
	.set _ZN7rocprim17ROCPRIM_400000_NS6detail17trampoline_kernelINS0_14default_configENS1_25partition_config_selectorILNS1_17partition_subalgoE6EjNS0_10empty_typeEbEEZZNS1_14partition_implILS5_6ELb0ES3_mN6thrust23THRUST_200600_302600_NS6detail15normal_iteratorINSA_10device_ptrIjEEEEPS6_SG_NS0_5tupleIJSF_S6_EEENSH_IJSG_SG_EEES6_PlJNSB_9not_fun_tINSB_10functional5actorINSM_9compositeIJNSM_27transparent_binary_operatorINSA_8equal_toIvEEEENSN_INSM_8argumentILj0EEEEENSM_5valueIjEEEEEEEEEEEE10hipError_tPvRmT3_T4_T5_T6_T7_T9_mT8_P12ihipStream_tbDpT10_ENKUlT_T0_E_clISt17integral_constantIbLb1EES1J_IbLb0EEEEDaS1F_S1G_EUlS1F_E_NS1_11comp_targetILNS1_3genE4ELNS1_11target_archE910ELNS1_3gpuE8ELNS1_3repE0EEENS1_30default_config_static_selectorELNS0_4arch9wavefront6targetE0EEEvT1_.uses_vcc, 0
	.set _ZN7rocprim17ROCPRIM_400000_NS6detail17trampoline_kernelINS0_14default_configENS1_25partition_config_selectorILNS1_17partition_subalgoE6EjNS0_10empty_typeEbEEZZNS1_14partition_implILS5_6ELb0ES3_mN6thrust23THRUST_200600_302600_NS6detail15normal_iteratorINSA_10device_ptrIjEEEEPS6_SG_NS0_5tupleIJSF_S6_EEENSH_IJSG_SG_EEES6_PlJNSB_9not_fun_tINSB_10functional5actorINSM_9compositeIJNSM_27transparent_binary_operatorINSA_8equal_toIvEEEENSN_INSM_8argumentILj0EEEEENSM_5valueIjEEEEEEEEEEEE10hipError_tPvRmT3_T4_T5_T6_T7_T9_mT8_P12ihipStream_tbDpT10_ENKUlT_T0_E_clISt17integral_constantIbLb1EES1J_IbLb0EEEEDaS1F_S1G_EUlS1F_E_NS1_11comp_targetILNS1_3genE4ELNS1_11target_archE910ELNS1_3gpuE8ELNS1_3repE0EEENS1_30default_config_static_selectorELNS0_4arch9wavefront6targetE0EEEvT1_.uses_flat_scratch, 0
	.set _ZN7rocprim17ROCPRIM_400000_NS6detail17trampoline_kernelINS0_14default_configENS1_25partition_config_selectorILNS1_17partition_subalgoE6EjNS0_10empty_typeEbEEZZNS1_14partition_implILS5_6ELb0ES3_mN6thrust23THRUST_200600_302600_NS6detail15normal_iteratorINSA_10device_ptrIjEEEEPS6_SG_NS0_5tupleIJSF_S6_EEENSH_IJSG_SG_EEES6_PlJNSB_9not_fun_tINSB_10functional5actorINSM_9compositeIJNSM_27transparent_binary_operatorINSA_8equal_toIvEEEENSN_INSM_8argumentILj0EEEEENSM_5valueIjEEEEEEEEEEEE10hipError_tPvRmT3_T4_T5_T6_T7_T9_mT8_P12ihipStream_tbDpT10_ENKUlT_T0_E_clISt17integral_constantIbLb1EES1J_IbLb0EEEEDaS1F_S1G_EUlS1F_E_NS1_11comp_targetILNS1_3genE4ELNS1_11target_archE910ELNS1_3gpuE8ELNS1_3repE0EEENS1_30default_config_static_selectorELNS0_4arch9wavefront6targetE0EEEvT1_.has_dyn_sized_stack, 0
	.set _ZN7rocprim17ROCPRIM_400000_NS6detail17trampoline_kernelINS0_14default_configENS1_25partition_config_selectorILNS1_17partition_subalgoE6EjNS0_10empty_typeEbEEZZNS1_14partition_implILS5_6ELb0ES3_mN6thrust23THRUST_200600_302600_NS6detail15normal_iteratorINSA_10device_ptrIjEEEEPS6_SG_NS0_5tupleIJSF_S6_EEENSH_IJSG_SG_EEES6_PlJNSB_9not_fun_tINSB_10functional5actorINSM_9compositeIJNSM_27transparent_binary_operatorINSA_8equal_toIvEEEENSN_INSM_8argumentILj0EEEEENSM_5valueIjEEEEEEEEEEEE10hipError_tPvRmT3_T4_T5_T6_T7_T9_mT8_P12ihipStream_tbDpT10_ENKUlT_T0_E_clISt17integral_constantIbLb1EES1J_IbLb0EEEEDaS1F_S1G_EUlS1F_E_NS1_11comp_targetILNS1_3genE4ELNS1_11target_archE910ELNS1_3gpuE8ELNS1_3repE0EEENS1_30default_config_static_selectorELNS0_4arch9wavefront6targetE0EEEvT1_.has_recursion, 0
	.set _ZN7rocprim17ROCPRIM_400000_NS6detail17trampoline_kernelINS0_14default_configENS1_25partition_config_selectorILNS1_17partition_subalgoE6EjNS0_10empty_typeEbEEZZNS1_14partition_implILS5_6ELb0ES3_mN6thrust23THRUST_200600_302600_NS6detail15normal_iteratorINSA_10device_ptrIjEEEEPS6_SG_NS0_5tupleIJSF_S6_EEENSH_IJSG_SG_EEES6_PlJNSB_9not_fun_tINSB_10functional5actorINSM_9compositeIJNSM_27transparent_binary_operatorINSA_8equal_toIvEEEENSN_INSM_8argumentILj0EEEEENSM_5valueIjEEEEEEEEEEEE10hipError_tPvRmT3_T4_T5_T6_T7_T9_mT8_P12ihipStream_tbDpT10_ENKUlT_T0_E_clISt17integral_constantIbLb1EES1J_IbLb0EEEEDaS1F_S1G_EUlS1F_E_NS1_11comp_targetILNS1_3genE4ELNS1_11target_archE910ELNS1_3gpuE8ELNS1_3repE0EEENS1_30default_config_static_selectorELNS0_4arch9wavefront6targetE0EEEvT1_.has_indirect_call, 0
	.section	.AMDGPU.csdata,"",@progbits
; Kernel info:
; codeLenInByte = 0
; TotalNumSgprs: 0
; NumVgprs: 0
; ScratchSize: 0
; MemoryBound: 0
; FloatMode: 240
; IeeeMode: 1
; LDSByteSize: 0 bytes/workgroup (compile time only)
; SGPRBlocks: 0
; VGPRBlocks: 0
; NumSGPRsForWavesPerEU: 1
; NumVGPRsForWavesPerEU: 1
; Occupancy: 16
; WaveLimiterHint : 0
; COMPUTE_PGM_RSRC2:SCRATCH_EN: 0
; COMPUTE_PGM_RSRC2:USER_SGPR: 2
; COMPUTE_PGM_RSRC2:TRAP_HANDLER: 0
; COMPUTE_PGM_RSRC2:TGID_X_EN: 1
; COMPUTE_PGM_RSRC2:TGID_Y_EN: 0
; COMPUTE_PGM_RSRC2:TGID_Z_EN: 0
; COMPUTE_PGM_RSRC2:TIDIG_COMP_CNT: 0
	.section	.text._ZN7rocprim17ROCPRIM_400000_NS6detail17trampoline_kernelINS0_14default_configENS1_25partition_config_selectorILNS1_17partition_subalgoE6EjNS0_10empty_typeEbEEZZNS1_14partition_implILS5_6ELb0ES3_mN6thrust23THRUST_200600_302600_NS6detail15normal_iteratorINSA_10device_ptrIjEEEEPS6_SG_NS0_5tupleIJSF_S6_EEENSH_IJSG_SG_EEES6_PlJNSB_9not_fun_tINSB_10functional5actorINSM_9compositeIJNSM_27transparent_binary_operatorINSA_8equal_toIvEEEENSN_INSM_8argumentILj0EEEEENSM_5valueIjEEEEEEEEEEEE10hipError_tPvRmT3_T4_T5_T6_T7_T9_mT8_P12ihipStream_tbDpT10_ENKUlT_T0_E_clISt17integral_constantIbLb1EES1J_IbLb0EEEEDaS1F_S1G_EUlS1F_E_NS1_11comp_targetILNS1_3genE3ELNS1_11target_archE908ELNS1_3gpuE7ELNS1_3repE0EEENS1_30default_config_static_selectorELNS0_4arch9wavefront6targetE0EEEvT1_,"axG",@progbits,_ZN7rocprim17ROCPRIM_400000_NS6detail17trampoline_kernelINS0_14default_configENS1_25partition_config_selectorILNS1_17partition_subalgoE6EjNS0_10empty_typeEbEEZZNS1_14partition_implILS5_6ELb0ES3_mN6thrust23THRUST_200600_302600_NS6detail15normal_iteratorINSA_10device_ptrIjEEEEPS6_SG_NS0_5tupleIJSF_S6_EEENSH_IJSG_SG_EEES6_PlJNSB_9not_fun_tINSB_10functional5actorINSM_9compositeIJNSM_27transparent_binary_operatorINSA_8equal_toIvEEEENSN_INSM_8argumentILj0EEEEENSM_5valueIjEEEEEEEEEEEE10hipError_tPvRmT3_T4_T5_T6_T7_T9_mT8_P12ihipStream_tbDpT10_ENKUlT_T0_E_clISt17integral_constantIbLb1EES1J_IbLb0EEEEDaS1F_S1G_EUlS1F_E_NS1_11comp_targetILNS1_3genE3ELNS1_11target_archE908ELNS1_3gpuE7ELNS1_3repE0EEENS1_30default_config_static_selectorELNS0_4arch9wavefront6targetE0EEEvT1_,comdat
	.protected	_ZN7rocprim17ROCPRIM_400000_NS6detail17trampoline_kernelINS0_14default_configENS1_25partition_config_selectorILNS1_17partition_subalgoE6EjNS0_10empty_typeEbEEZZNS1_14partition_implILS5_6ELb0ES3_mN6thrust23THRUST_200600_302600_NS6detail15normal_iteratorINSA_10device_ptrIjEEEEPS6_SG_NS0_5tupleIJSF_S6_EEENSH_IJSG_SG_EEES6_PlJNSB_9not_fun_tINSB_10functional5actorINSM_9compositeIJNSM_27transparent_binary_operatorINSA_8equal_toIvEEEENSN_INSM_8argumentILj0EEEEENSM_5valueIjEEEEEEEEEEEE10hipError_tPvRmT3_T4_T5_T6_T7_T9_mT8_P12ihipStream_tbDpT10_ENKUlT_T0_E_clISt17integral_constantIbLb1EES1J_IbLb0EEEEDaS1F_S1G_EUlS1F_E_NS1_11comp_targetILNS1_3genE3ELNS1_11target_archE908ELNS1_3gpuE7ELNS1_3repE0EEENS1_30default_config_static_selectorELNS0_4arch9wavefront6targetE0EEEvT1_ ; -- Begin function _ZN7rocprim17ROCPRIM_400000_NS6detail17trampoline_kernelINS0_14default_configENS1_25partition_config_selectorILNS1_17partition_subalgoE6EjNS0_10empty_typeEbEEZZNS1_14partition_implILS5_6ELb0ES3_mN6thrust23THRUST_200600_302600_NS6detail15normal_iteratorINSA_10device_ptrIjEEEEPS6_SG_NS0_5tupleIJSF_S6_EEENSH_IJSG_SG_EEES6_PlJNSB_9not_fun_tINSB_10functional5actorINSM_9compositeIJNSM_27transparent_binary_operatorINSA_8equal_toIvEEEENSN_INSM_8argumentILj0EEEEENSM_5valueIjEEEEEEEEEEEE10hipError_tPvRmT3_T4_T5_T6_T7_T9_mT8_P12ihipStream_tbDpT10_ENKUlT_T0_E_clISt17integral_constantIbLb1EES1J_IbLb0EEEEDaS1F_S1G_EUlS1F_E_NS1_11comp_targetILNS1_3genE3ELNS1_11target_archE908ELNS1_3gpuE7ELNS1_3repE0EEENS1_30default_config_static_selectorELNS0_4arch9wavefront6targetE0EEEvT1_
	.globl	_ZN7rocprim17ROCPRIM_400000_NS6detail17trampoline_kernelINS0_14default_configENS1_25partition_config_selectorILNS1_17partition_subalgoE6EjNS0_10empty_typeEbEEZZNS1_14partition_implILS5_6ELb0ES3_mN6thrust23THRUST_200600_302600_NS6detail15normal_iteratorINSA_10device_ptrIjEEEEPS6_SG_NS0_5tupleIJSF_S6_EEENSH_IJSG_SG_EEES6_PlJNSB_9not_fun_tINSB_10functional5actorINSM_9compositeIJNSM_27transparent_binary_operatorINSA_8equal_toIvEEEENSN_INSM_8argumentILj0EEEEENSM_5valueIjEEEEEEEEEEEE10hipError_tPvRmT3_T4_T5_T6_T7_T9_mT8_P12ihipStream_tbDpT10_ENKUlT_T0_E_clISt17integral_constantIbLb1EES1J_IbLb0EEEEDaS1F_S1G_EUlS1F_E_NS1_11comp_targetILNS1_3genE3ELNS1_11target_archE908ELNS1_3gpuE7ELNS1_3repE0EEENS1_30default_config_static_selectorELNS0_4arch9wavefront6targetE0EEEvT1_
	.p2align	8
	.type	_ZN7rocprim17ROCPRIM_400000_NS6detail17trampoline_kernelINS0_14default_configENS1_25partition_config_selectorILNS1_17partition_subalgoE6EjNS0_10empty_typeEbEEZZNS1_14partition_implILS5_6ELb0ES3_mN6thrust23THRUST_200600_302600_NS6detail15normal_iteratorINSA_10device_ptrIjEEEEPS6_SG_NS0_5tupleIJSF_S6_EEENSH_IJSG_SG_EEES6_PlJNSB_9not_fun_tINSB_10functional5actorINSM_9compositeIJNSM_27transparent_binary_operatorINSA_8equal_toIvEEEENSN_INSM_8argumentILj0EEEEENSM_5valueIjEEEEEEEEEEEE10hipError_tPvRmT3_T4_T5_T6_T7_T9_mT8_P12ihipStream_tbDpT10_ENKUlT_T0_E_clISt17integral_constantIbLb1EES1J_IbLb0EEEEDaS1F_S1G_EUlS1F_E_NS1_11comp_targetILNS1_3genE3ELNS1_11target_archE908ELNS1_3gpuE7ELNS1_3repE0EEENS1_30default_config_static_selectorELNS0_4arch9wavefront6targetE0EEEvT1_,@function
_ZN7rocprim17ROCPRIM_400000_NS6detail17trampoline_kernelINS0_14default_configENS1_25partition_config_selectorILNS1_17partition_subalgoE6EjNS0_10empty_typeEbEEZZNS1_14partition_implILS5_6ELb0ES3_mN6thrust23THRUST_200600_302600_NS6detail15normal_iteratorINSA_10device_ptrIjEEEEPS6_SG_NS0_5tupleIJSF_S6_EEENSH_IJSG_SG_EEES6_PlJNSB_9not_fun_tINSB_10functional5actorINSM_9compositeIJNSM_27transparent_binary_operatorINSA_8equal_toIvEEEENSN_INSM_8argumentILj0EEEEENSM_5valueIjEEEEEEEEEEEE10hipError_tPvRmT3_T4_T5_T6_T7_T9_mT8_P12ihipStream_tbDpT10_ENKUlT_T0_E_clISt17integral_constantIbLb1EES1J_IbLb0EEEEDaS1F_S1G_EUlS1F_E_NS1_11comp_targetILNS1_3genE3ELNS1_11target_archE908ELNS1_3gpuE7ELNS1_3repE0EEENS1_30default_config_static_selectorELNS0_4arch9wavefront6targetE0EEEvT1_: ; @_ZN7rocprim17ROCPRIM_400000_NS6detail17trampoline_kernelINS0_14default_configENS1_25partition_config_selectorILNS1_17partition_subalgoE6EjNS0_10empty_typeEbEEZZNS1_14partition_implILS5_6ELb0ES3_mN6thrust23THRUST_200600_302600_NS6detail15normal_iteratorINSA_10device_ptrIjEEEEPS6_SG_NS0_5tupleIJSF_S6_EEENSH_IJSG_SG_EEES6_PlJNSB_9not_fun_tINSB_10functional5actorINSM_9compositeIJNSM_27transparent_binary_operatorINSA_8equal_toIvEEEENSN_INSM_8argumentILj0EEEEENSM_5valueIjEEEEEEEEEEEE10hipError_tPvRmT3_T4_T5_T6_T7_T9_mT8_P12ihipStream_tbDpT10_ENKUlT_T0_E_clISt17integral_constantIbLb1EES1J_IbLb0EEEEDaS1F_S1G_EUlS1F_E_NS1_11comp_targetILNS1_3genE3ELNS1_11target_archE908ELNS1_3gpuE7ELNS1_3repE0EEENS1_30default_config_static_selectorELNS0_4arch9wavefront6targetE0EEEvT1_
; %bb.0:
	.section	.rodata,"a",@progbits
	.p2align	6, 0x0
	.amdhsa_kernel _ZN7rocprim17ROCPRIM_400000_NS6detail17trampoline_kernelINS0_14default_configENS1_25partition_config_selectorILNS1_17partition_subalgoE6EjNS0_10empty_typeEbEEZZNS1_14partition_implILS5_6ELb0ES3_mN6thrust23THRUST_200600_302600_NS6detail15normal_iteratorINSA_10device_ptrIjEEEEPS6_SG_NS0_5tupleIJSF_S6_EEENSH_IJSG_SG_EEES6_PlJNSB_9not_fun_tINSB_10functional5actorINSM_9compositeIJNSM_27transparent_binary_operatorINSA_8equal_toIvEEEENSN_INSM_8argumentILj0EEEEENSM_5valueIjEEEEEEEEEEEE10hipError_tPvRmT3_T4_T5_T6_T7_T9_mT8_P12ihipStream_tbDpT10_ENKUlT_T0_E_clISt17integral_constantIbLb1EES1J_IbLb0EEEEDaS1F_S1G_EUlS1F_E_NS1_11comp_targetILNS1_3genE3ELNS1_11target_archE908ELNS1_3gpuE7ELNS1_3repE0EEENS1_30default_config_static_selectorELNS0_4arch9wavefront6targetE0EEEvT1_
		.amdhsa_group_segment_fixed_size 0
		.amdhsa_private_segment_fixed_size 0
		.amdhsa_kernarg_size 120
		.amdhsa_user_sgpr_count 2
		.amdhsa_user_sgpr_dispatch_ptr 0
		.amdhsa_user_sgpr_queue_ptr 0
		.amdhsa_user_sgpr_kernarg_segment_ptr 1
		.amdhsa_user_sgpr_dispatch_id 0
		.amdhsa_user_sgpr_private_segment_size 0
		.amdhsa_wavefront_size32 1
		.amdhsa_uses_dynamic_stack 0
		.amdhsa_enable_private_segment 0
		.amdhsa_system_sgpr_workgroup_id_x 1
		.amdhsa_system_sgpr_workgroup_id_y 0
		.amdhsa_system_sgpr_workgroup_id_z 0
		.amdhsa_system_sgpr_workgroup_info 0
		.amdhsa_system_vgpr_workitem_id 0
		.amdhsa_next_free_vgpr 1
		.amdhsa_next_free_sgpr 1
		.amdhsa_reserve_vcc 0
		.amdhsa_float_round_mode_32 0
		.amdhsa_float_round_mode_16_64 0
		.amdhsa_float_denorm_mode_32 3
		.amdhsa_float_denorm_mode_16_64 3
		.amdhsa_fp16_overflow 0
		.amdhsa_workgroup_processor_mode 1
		.amdhsa_memory_ordered 1
		.amdhsa_forward_progress 1
		.amdhsa_inst_pref_size 0
		.amdhsa_round_robin_scheduling 0
		.amdhsa_exception_fp_ieee_invalid_op 0
		.amdhsa_exception_fp_denorm_src 0
		.amdhsa_exception_fp_ieee_div_zero 0
		.amdhsa_exception_fp_ieee_overflow 0
		.amdhsa_exception_fp_ieee_underflow 0
		.amdhsa_exception_fp_ieee_inexact 0
		.amdhsa_exception_int_div_zero 0
	.end_amdhsa_kernel
	.section	.text._ZN7rocprim17ROCPRIM_400000_NS6detail17trampoline_kernelINS0_14default_configENS1_25partition_config_selectorILNS1_17partition_subalgoE6EjNS0_10empty_typeEbEEZZNS1_14partition_implILS5_6ELb0ES3_mN6thrust23THRUST_200600_302600_NS6detail15normal_iteratorINSA_10device_ptrIjEEEEPS6_SG_NS0_5tupleIJSF_S6_EEENSH_IJSG_SG_EEES6_PlJNSB_9not_fun_tINSB_10functional5actorINSM_9compositeIJNSM_27transparent_binary_operatorINSA_8equal_toIvEEEENSN_INSM_8argumentILj0EEEEENSM_5valueIjEEEEEEEEEEEE10hipError_tPvRmT3_T4_T5_T6_T7_T9_mT8_P12ihipStream_tbDpT10_ENKUlT_T0_E_clISt17integral_constantIbLb1EES1J_IbLb0EEEEDaS1F_S1G_EUlS1F_E_NS1_11comp_targetILNS1_3genE3ELNS1_11target_archE908ELNS1_3gpuE7ELNS1_3repE0EEENS1_30default_config_static_selectorELNS0_4arch9wavefront6targetE0EEEvT1_,"axG",@progbits,_ZN7rocprim17ROCPRIM_400000_NS6detail17trampoline_kernelINS0_14default_configENS1_25partition_config_selectorILNS1_17partition_subalgoE6EjNS0_10empty_typeEbEEZZNS1_14partition_implILS5_6ELb0ES3_mN6thrust23THRUST_200600_302600_NS6detail15normal_iteratorINSA_10device_ptrIjEEEEPS6_SG_NS0_5tupleIJSF_S6_EEENSH_IJSG_SG_EEES6_PlJNSB_9not_fun_tINSB_10functional5actorINSM_9compositeIJNSM_27transparent_binary_operatorINSA_8equal_toIvEEEENSN_INSM_8argumentILj0EEEEENSM_5valueIjEEEEEEEEEEEE10hipError_tPvRmT3_T4_T5_T6_T7_T9_mT8_P12ihipStream_tbDpT10_ENKUlT_T0_E_clISt17integral_constantIbLb1EES1J_IbLb0EEEEDaS1F_S1G_EUlS1F_E_NS1_11comp_targetILNS1_3genE3ELNS1_11target_archE908ELNS1_3gpuE7ELNS1_3repE0EEENS1_30default_config_static_selectorELNS0_4arch9wavefront6targetE0EEEvT1_,comdat
.Lfunc_end132:
	.size	_ZN7rocprim17ROCPRIM_400000_NS6detail17trampoline_kernelINS0_14default_configENS1_25partition_config_selectorILNS1_17partition_subalgoE6EjNS0_10empty_typeEbEEZZNS1_14partition_implILS5_6ELb0ES3_mN6thrust23THRUST_200600_302600_NS6detail15normal_iteratorINSA_10device_ptrIjEEEEPS6_SG_NS0_5tupleIJSF_S6_EEENSH_IJSG_SG_EEES6_PlJNSB_9not_fun_tINSB_10functional5actorINSM_9compositeIJNSM_27transparent_binary_operatorINSA_8equal_toIvEEEENSN_INSM_8argumentILj0EEEEENSM_5valueIjEEEEEEEEEEEE10hipError_tPvRmT3_T4_T5_T6_T7_T9_mT8_P12ihipStream_tbDpT10_ENKUlT_T0_E_clISt17integral_constantIbLb1EES1J_IbLb0EEEEDaS1F_S1G_EUlS1F_E_NS1_11comp_targetILNS1_3genE3ELNS1_11target_archE908ELNS1_3gpuE7ELNS1_3repE0EEENS1_30default_config_static_selectorELNS0_4arch9wavefront6targetE0EEEvT1_, .Lfunc_end132-_ZN7rocprim17ROCPRIM_400000_NS6detail17trampoline_kernelINS0_14default_configENS1_25partition_config_selectorILNS1_17partition_subalgoE6EjNS0_10empty_typeEbEEZZNS1_14partition_implILS5_6ELb0ES3_mN6thrust23THRUST_200600_302600_NS6detail15normal_iteratorINSA_10device_ptrIjEEEEPS6_SG_NS0_5tupleIJSF_S6_EEENSH_IJSG_SG_EEES6_PlJNSB_9not_fun_tINSB_10functional5actorINSM_9compositeIJNSM_27transparent_binary_operatorINSA_8equal_toIvEEEENSN_INSM_8argumentILj0EEEEENSM_5valueIjEEEEEEEEEEEE10hipError_tPvRmT3_T4_T5_T6_T7_T9_mT8_P12ihipStream_tbDpT10_ENKUlT_T0_E_clISt17integral_constantIbLb1EES1J_IbLb0EEEEDaS1F_S1G_EUlS1F_E_NS1_11comp_targetILNS1_3genE3ELNS1_11target_archE908ELNS1_3gpuE7ELNS1_3repE0EEENS1_30default_config_static_selectorELNS0_4arch9wavefront6targetE0EEEvT1_
                                        ; -- End function
	.set _ZN7rocprim17ROCPRIM_400000_NS6detail17trampoline_kernelINS0_14default_configENS1_25partition_config_selectorILNS1_17partition_subalgoE6EjNS0_10empty_typeEbEEZZNS1_14partition_implILS5_6ELb0ES3_mN6thrust23THRUST_200600_302600_NS6detail15normal_iteratorINSA_10device_ptrIjEEEEPS6_SG_NS0_5tupleIJSF_S6_EEENSH_IJSG_SG_EEES6_PlJNSB_9not_fun_tINSB_10functional5actorINSM_9compositeIJNSM_27transparent_binary_operatorINSA_8equal_toIvEEEENSN_INSM_8argumentILj0EEEEENSM_5valueIjEEEEEEEEEEEE10hipError_tPvRmT3_T4_T5_T6_T7_T9_mT8_P12ihipStream_tbDpT10_ENKUlT_T0_E_clISt17integral_constantIbLb1EES1J_IbLb0EEEEDaS1F_S1G_EUlS1F_E_NS1_11comp_targetILNS1_3genE3ELNS1_11target_archE908ELNS1_3gpuE7ELNS1_3repE0EEENS1_30default_config_static_selectorELNS0_4arch9wavefront6targetE0EEEvT1_.num_vgpr, 0
	.set _ZN7rocprim17ROCPRIM_400000_NS6detail17trampoline_kernelINS0_14default_configENS1_25partition_config_selectorILNS1_17partition_subalgoE6EjNS0_10empty_typeEbEEZZNS1_14partition_implILS5_6ELb0ES3_mN6thrust23THRUST_200600_302600_NS6detail15normal_iteratorINSA_10device_ptrIjEEEEPS6_SG_NS0_5tupleIJSF_S6_EEENSH_IJSG_SG_EEES6_PlJNSB_9not_fun_tINSB_10functional5actorINSM_9compositeIJNSM_27transparent_binary_operatorINSA_8equal_toIvEEEENSN_INSM_8argumentILj0EEEEENSM_5valueIjEEEEEEEEEEEE10hipError_tPvRmT3_T4_T5_T6_T7_T9_mT8_P12ihipStream_tbDpT10_ENKUlT_T0_E_clISt17integral_constantIbLb1EES1J_IbLb0EEEEDaS1F_S1G_EUlS1F_E_NS1_11comp_targetILNS1_3genE3ELNS1_11target_archE908ELNS1_3gpuE7ELNS1_3repE0EEENS1_30default_config_static_selectorELNS0_4arch9wavefront6targetE0EEEvT1_.num_agpr, 0
	.set _ZN7rocprim17ROCPRIM_400000_NS6detail17trampoline_kernelINS0_14default_configENS1_25partition_config_selectorILNS1_17partition_subalgoE6EjNS0_10empty_typeEbEEZZNS1_14partition_implILS5_6ELb0ES3_mN6thrust23THRUST_200600_302600_NS6detail15normal_iteratorINSA_10device_ptrIjEEEEPS6_SG_NS0_5tupleIJSF_S6_EEENSH_IJSG_SG_EEES6_PlJNSB_9not_fun_tINSB_10functional5actorINSM_9compositeIJNSM_27transparent_binary_operatorINSA_8equal_toIvEEEENSN_INSM_8argumentILj0EEEEENSM_5valueIjEEEEEEEEEEEE10hipError_tPvRmT3_T4_T5_T6_T7_T9_mT8_P12ihipStream_tbDpT10_ENKUlT_T0_E_clISt17integral_constantIbLb1EES1J_IbLb0EEEEDaS1F_S1G_EUlS1F_E_NS1_11comp_targetILNS1_3genE3ELNS1_11target_archE908ELNS1_3gpuE7ELNS1_3repE0EEENS1_30default_config_static_selectorELNS0_4arch9wavefront6targetE0EEEvT1_.numbered_sgpr, 0
	.set _ZN7rocprim17ROCPRIM_400000_NS6detail17trampoline_kernelINS0_14default_configENS1_25partition_config_selectorILNS1_17partition_subalgoE6EjNS0_10empty_typeEbEEZZNS1_14partition_implILS5_6ELb0ES3_mN6thrust23THRUST_200600_302600_NS6detail15normal_iteratorINSA_10device_ptrIjEEEEPS6_SG_NS0_5tupleIJSF_S6_EEENSH_IJSG_SG_EEES6_PlJNSB_9not_fun_tINSB_10functional5actorINSM_9compositeIJNSM_27transparent_binary_operatorINSA_8equal_toIvEEEENSN_INSM_8argumentILj0EEEEENSM_5valueIjEEEEEEEEEEEE10hipError_tPvRmT3_T4_T5_T6_T7_T9_mT8_P12ihipStream_tbDpT10_ENKUlT_T0_E_clISt17integral_constantIbLb1EES1J_IbLb0EEEEDaS1F_S1G_EUlS1F_E_NS1_11comp_targetILNS1_3genE3ELNS1_11target_archE908ELNS1_3gpuE7ELNS1_3repE0EEENS1_30default_config_static_selectorELNS0_4arch9wavefront6targetE0EEEvT1_.num_named_barrier, 0
	.set _ZN7rocprim17ROCPRIM_400000_NS6detail17trampoline_kernelINS0_14default_configENS1_25partition_config_selectorILNS1_17partition_subalgoE6EjNS0_10empty_typeEbEEZZNS1_14partition_implILS5_6ELb0ES3_mN6thrust23THRUST_200600_302600_NS6detail15normal_iteratorINSA_10device_ptrIjEEEEPS6_SG_NS0_5tupleIJSF_S6_EEENSH_IJSG_SG_EEES6_PlJNSB_9not_fun_tINSB_10functional5actorINSM_9compositeIJNSM_27transparent_binary_operatorINSA_8equal_toIvEEEENSN_INSM_8argumentILj0EEEEENSM_5valueIjEEEEEEEEEEEE10hipError_tPvRmT3_T4_T5_T6_T7_T9_mT8_P12ihipStream_tbDpT10_ENKUlT_T0_E_clISt17integral_constantIbLb1EES1J_IbLb0EEEEDaS1F_S1G_EUlS1F_E_NS1_11comp_targetILNS1_3genE3ELNS1_11target_archE908ELNS1_3gpuE7ELNS1_3repE0EEENS1_30default_config_static_selectorELNS0_4arch9wavefront6targetE0EEEvT1_.private_seg_size, 0
	.set _ZN7rocprim17ROCPRIM_400000_NS6detail17trampoline_kernelINS0_14default_configENS1_25partition_config_selectorILNS1_17partition_subalgoE6EjNS0_10empty_typeEbEEZZNS1_14partition_implILS5_6ELb0ES3_mN6thrust23THRUST_200600_302600_NS6detail15normal_iteratorINSA_10device_ptrIjEEEEPS6_SG_NS0_5tupleIJSF_S6_EEENSH_IJSG_SG_EEES6_PlJNSB_9not_fun_tINSB_10functional5actorINSM_9compositeIJNSM_27transparent_binary_operatorINSA_8equal_toIvEEEENSN_INSM_8argumentILj0EEEEENSM_5valueIjEEEEEEEEEEEE10hipError_tPvRmT3_T4_T5_T6_T7_T9_mT8_P12ihipStream_tbDpT10_ENKUlT_T0_E_clISt17integral_constantIbLb1EES1J_IbLb0EEEEDaS1F_S1G_EUlS1F_E_NS1_11comp_targetILNS1_3genE3ELNS1_11target_archE908ELNS1_3gpuE7ELNS1_3repE0EEENS1_30default_config_static_selectorELNS0_4arch9wavefront6targetE0EEEvT1_.uses_vcc, 0
	.set _ZN7rocprim17ROCPRIM_400000_NS6detail17trampoline_kernelINS0_14default_configENS1_25partition_config_selectorILNS1_17partition_subalgoE6EjNS0_10empty_typeEbEEZZNS1_14partition_implILS5_6ELb0ES3_mN6thrust23THRUST_200600_302600_NS6detail15normal_iteratorINSA_10device_ptrIjEEEEPS6_SG_NS0_5tupleIJSF_S6_EEENSH_IJSG_SG_EEES6_PlJNSB_9not_fun_tINSB_10functional5actorINSM_9compositeIJNSM_27transparent_binary_operatorINSA_8equal_toIvEEEENSN_INSM_8argumentILj0EEEEENSM_5valueIjEEEEEEEEEEEE10hipError_tPvRmT3_T4_T5_T6_T7_T9_mT8_P12ihipStream_tbDpT10_ENKUlT_T0_E_clISt17integral_constantIbLb1EES1J_IbLb0EEEEDaS1F_S1G_EUlS1F_E_NS1_11comp_targetILNS1_3genE3ELNS1_11target_archE908ELNS1_3gpuE7ELNS1_3repE0EEENS1_30default_config_static_selectorELNS0_4arch9wavefront6targetE0EEEvT1_.uses_flat_scratch, 0
	.set _ZN7rocprim17ROCPRIM_400000_NS6detail17trampoline_kernelINS0_14default_configENS1_25partition_config_selectorILNS1_17partition_subalgoE6EjNS0_10empty_typeEbEEZZNS1_14partition_implILS5_6ELb0ES3_mN6thrust23THRUST_200600_302600_NS6detail15normal_iteratorINSA_10device_ptrIjEEEEPS6_SG_NS0_5tupleIJSF_S6_EEENSH_IJSG_SG_EEES6_PlJNSB_9not_fun_tINSB_10functional5actorINSM_9compositeIJNSM_27transparent_binary_operatorINSA_8equal_toIvEEEENSN_INSM_8argumentILj0EEEEENSM_5valueIjEEEEEEEEEEEE10hipError_tPvRmT3_T4_T5_T6_T7_T9_mT8_P12ihipStream_tbDpT10_ENKUlT_T0_E_clISt17integral_constantIbLb1EES1J_IbLb0EEEEDaS1F_S1G_EUlS1F_E_NS1_11comp_targetILNS1_3genE3ELNS1_11target_archE908ELNS1_3gpuE7ELNS1_3repE0EEENS1_30default_config_static_selectorELNS0_4arch9wavefront6targetE0EEEvT1_.has_dyn_sized_stack, 0
	.set _ZN7rocprim17ROCPRIM_400000_NS6detail17trampoline_kernelINS0_14default_configENS1_25partition_config_selectorILNS1_17partition_subalgoE6EjNS0_10empty_typeEbEEZZNS1_14partition_implILS5_6ELb0ES3_mN6thrust23THRUST_200600_302600_NS6detail15normal_iteratorINSA_10device_ptrIjEEEEPS6_SG_NS0_5tupleIJSF_S6_EEENSH_IJSG_SG_EEES6_PlJNSB_9not_fun_tINSB_10functional5actorINSM_9compositeIJNSM_27transparent_binary_operatorINSA_8equal_toIvEEEENSN_INSM_8argumentILj0EEEEENSM_5valueIjEEEEEEEEEEEE10hipError_tPvRmT3_T4_T5_T6_T7_T9_mT8_P12ihipStream_tbDpT10_ENKUlT_T0_E_clISt17integral_constantIbLb1EES1J_IbLb0EEEEDaS1F_S1G_EUlS1F_E_NS1_11comp_targetILNS1_3genE3ELNS1_11target_archE908ELNS1_3gpuE7ELNS1_3repE0EEENS1_30default_config_static_selectorELNS0_4arch9wavefront6targetE0EEEvT1_.has_recursion, 0
	.set _ZN7rocprim17ROCPRIM_400000_NS6detail17trampoline_kernelINS0_14default_configENS1_25partition_config_selectorILNS1_17partition_subalgoE6EjNS0_10empty_typeEbEEZZNS1_14partition_implILS5_6ELb0ES3_mN6thrust23THRUST_200600_302600_NS6detail15normal_iteratorINSA_10device_ptrIjEEEEPS6_SG_NS0_5tupleIJSF_S6_EEENSH_IJSG_SG_EEES6_PlJNSB_9not_fun_tINSB_10functional5actorINSM_9compositeIJNSM_27transparent_binary_operatorINSA_8equal_toIvEEEENSN_INSM_8argumentILj0EEEEENSM_5valueIjEEEEEEEEEEEE10hipError_tPvRmT3_T4_T5_T6_T7_T9_mT8_P12ihipStream_tbDpT10_ENKUlT_T0_E_clISt17integral_constantIbLb1EES1J_IbLb0EEEEDaS1F_S1G_EUlS1F_E_NS1_11comp_targetILNS1_3genE3ELNS1_11target_archE908ELNS1_3gpuE7ELNS1_3repE0EEENS1_30default_config_static_selectorELNS0_4arch9wavefront6targetE0EEEvT1_.has_indirect_call, 0
	.section	.AMDGPU.csdata,"",@progbits
; Kernel info:
; codeLenInByte = 0
; TotalNumSgprs: 0
; NumVgprs: 0
; ScratchSize: 0
; MemoryBound: 0
; FloatMode: 240
; IeeeMode: 1
; LDSByteSize: 0 bytes/workgroup (compile time only)
; SGPRBlocks: 0
; VGPRBlocks: 0
; NumSGPRsForWavesPerEU: 1
; NumVGPRsForWavesPerEU: 1
; Occupancy: 16
; WaveLimiterHint : 0
; COMPUTE_PGM_RSRC2:SCRATCH_EN: 0
; COMPUTE_PGM_RSRC2:USER_SGPR: 2
; COMPUTE_PGM_RSRC2:TRAP_HANDLER: 0
; COMPUTE_PGM_RSRC2:TGID_X_EN: 1
; COMPUTE_PGM_RSRC2:TGID_Y_EN: 0
; COMPUTE_PGM_RSRC2:TGID_Z_EN: 0
; COMPUTE_PGM_RSRC2:TIDIG_COMP_CNT: 0
	.section	.text._ZN7rocprim17ROCPRIM_400000_NS6detail17trampoline_kernelINS0_14default_configENS1_25partition_config_selectorILNS1_17partition_subalgoE6EjNS0_10empty_typeEbEEZZNS1_14partition_implILS5_6ELb0ES3_mN6thrust23THRUST_200600_302600_NS6detail15normal_iteratorINSA_10device_ptrIjEEEEPS6_SG_NS0_5tupleIJSF_S6_EEENSH_IJSG_SG_EEES6_PlJNSB_9not_fun_tINSB_10functional5actorINSM_9compositeIJNSM_27transparent_binary_operatorINSA_8equal_toIvEEEENSN_INSM_8argumentILj0EEEEENSM_5valueIjEEEEEEEEEEEE10hipError_tPvRmT3_T4_T5_T6_T7_T9_mT8_P12ihipStream_tbDpT10_ENKUlT_T0_E_clISt17integral_constantIbLb1EES1J_IbLb0EEEEDaS1F_S1G_EUlS1F_E_NS1_11comp_targetILNS1_3genE2ELNS1_11target_archE906ELNS1_3gpuE6ELNS1_3repE0EEENS1_30default_config_static_selectorELNS0_4arch9wavefront6targetE0EEEvT1_,"axG",@progbits,_ZN7rocprim17ROCPRIM_400000_NS6detail17trampoline_kernelINS0_14default_configENS1_25partition_config_selectorILNS1_17partition_subalgoE6EjNS0_10empty_typeEbEEZZNS1_14partition_implILS5_6ELb0ES3_mN6thrust23THRUST_200600_302600_NS6detail15normal_iteratorINSA_10device_ptrIjEEEEPS6_SG_NS0_5tupleIJSF_S6_EEENSH_IJSG_SG_EEES6_PlJNSB_9not_fun_tINSB_10functional5actorINSM_9compositeIJNSM_27transparent_binary_operatorINSA_8equal_toIvEEEENSN_INSM_8argumentILj0EEEEENSM_5valueIjEEEEEEEEEEEE10hipError_tPvRmT3_T4_T5_T6_T7_T9_mT8_P12ihipStream_tbDpT10_ENKUlT_T0_E_clISt17integral_constantIbLb1EES1J_IbLb0EEEEDaS1F_S1G_EUlS1F_E_NS1_11comp_targetILNS1_3genE2ELNS1_11target_archE906ELNS1_3gpuE6ELNS1_3repE0EEENS1_30default_config_static_selectorELNS0_4arch9wavefront6targetE0EEEvT1_,comdat
	.protected	_ZN7rocprim17ROCPRIM_400000_NS6detail17trampoline_kernelINS0_14default_configENS1_25partition_config_selectorILNS1_17partition_subalgoE6EjNS0_10empty_typeEbEEZZNS1_14partition_implILS5_6ELb0ES3_mN6thrust23THRUST_200600_302600_NS6detail15normal_iteratorINSA_10device_ptrIjEEEEPS6_SG_NS0_5tupleIJSF_S6_EEENSH_IJSG_SG_EEES6_PlJNSB_9not_fun_tINSB_10functional5actorINSM_9compositeIJNSM_27transparent_binary_operatorINSA_8equal_toIvEEEENSN_INSM_8argumentILj0EEEEENSM_5valueIjEEEEEEEEEEEE10hipError_tPvRmT3_T4_T5_T6_T7_T9_mT8_P12ihipStream_tbDpT10_ENKUlT_T0_E_clISt17integral_constantIbLb1EES1J_IbLb0EEEEDaS1F_S1G_EUlS1F_E_NS1_11comp_targetILNS1_3genE2ELNS1_11target_archE906ELNS1_3gpuE6ELNS1_3repE0EEENS1_30default_config_static_selectorELNS0_4arch9wavefront6targetE0EEEvT1_ ; -- Begin function _ZN7rocprim17ROCPRIM_400000_NS6detail17trampoline_kernelINS0_14default_configENS1_25partition_config_selectorILNS1_17partition_subalgoE6EjNS0_10empty_typeEbEEZZNS1_14partition_implILS5_6ELb0ES3_mN6thrust23THRUST_200600_302600_NS6detail15normal_iteratorINSA_10device_ptrIjEEEEPS6_SG_NS0_5tupleIJSF_S6_EEENSH_IJSG_SG_EEES6_PlJNSB_9not_fun_tINSB_10functional5actorINSM_9compositeIJNSM_27transparent_binary_operatorINSA_8equal_toIvEEEENSN_INSM_8argumentILj0EEEEENSM_5valueIjEEEEEEEEEEEE10hipError_tPvRmT3_T4_T5_T6_T7_T9_mT8_P12ihipStream_tbDpT10_ENKUlT_T0_E_clISt17integral_constantIbLb1EES1J_IbLb0EEEEDaS1F_S1G_EUlS1F_E_NS1_11comp_targetILNS1_3genE2ELNS1_11target_archE906ELNS1_3gpuE6ELNS1_3repE0EEENS1_30default_config_static_selectorELNS0_4arch9wavefront6targetE0EEEvT1_
	.globl	_ZN7rocprim17ROCPRIM_400000_NS6detail17trampoline_kernelINS0_14default_configENS1_25partition_config_selectorILNS1_17partition_subalgoE6EjNS0_10empty_typeEbEEZZNS1_14partition_implILS5_6ELb0ES3_mN6thrust23THRUST_200600_302600_NS6detail15normal_iteratorINSA_10device_ptrIjEEEEPS6_SG_NS0_5tupleIJSF_S6_EEENSH_IJSG_SG_EEES6_PlJNSB_9not_fun_tINSB_10functional5actorINSM_9compositeIJNSM_27transparent_binary_operatorINSA_8equal_toIvEEEENSN_INSM_8argumentILj0EEEEENSM_5valueIjEEEEEEEEEEEE10hipError_tPvRmT3_T4_T5_T6_T7_T9_mT8_P12ihipStream_tbDpT10_ENKUlT_T0_E_clISt17integral_constantIbLb1EES1J_IbLb0EEEEDaS1F_S1G_EUlS1F_E_NS1_11comp_targetILNS1_3genE2ELNS1_11target_archE906ELNS1_3gpuE6ELNS1_3repE0EEENS1_30default_config_static_selectorELNS0_4arch9wavefront6targetE0EEEvT1_
	.p2align	8
	.type	_ZN7rocprim17ROCPRIM_400000_NS6detail17trampoline_kernelINS0_14default_configENS1_25partition_config_selectorILNS1_17partition_subalgoE6EjNS0_10empty_typeEbEEZZNS1_14partition_implILS5_6ELb0ES3_mN6thrust23THRUST_200600_302600_NS6detail15normal_iteratorINSA_10device_ptrIjEEEEPS6_SG_NS0_5tupleIJSF_S6_EEENSH_IJSG_SG_EEES6_PlJNSB_9not_fun_tINSB_10functional5actorINSM_9compositeIJNSM_27transparent_binary_operatorINSA_8equal_toIvEEEENSN_INSM_8argumentILj0EEEEENSM_5valueIjEEEEEEEEEEEE10hipError_tPvRmT3_T4_T5_T6_T7_T9_mT8_P12ihipStream_tbDpT10_ENKUlT_T0_E_clISt17integral_constantIbLb1EES1J_IbLb0EEEEDaS1F_S1G_EUlS1F_E_NS1_11comp_targetILNS1_3genE2ELNS1_11target_archE906ELNS1_3gpuE6ELNS1_3repE0EEENS1_30default_config_static_selectorELNS0_4arch9wavefront6targetE0EEEvT1_,@function
_ZN7rocprim17ROCPRIM_400000_NS6detail17trampoline_kernelINS0_14default_configENS1_25partition_config_selectorILNS1_17partition_subalgoE6EjNS0_10empty_typeEbEEZZNS1_14partition_implILS5_6ELb0ES3_mN6thrust23THRUST_200600_302600_NS6detail15normal_iteratorINSA_10device_ptrIjEEEEPS6_SG_NS0_5tupleIJSF_S6_EEENSH_IJSG_SG_EEES6_PlJNSB_9not_fun_tINSB_10functional5actorINSM_9compositeIJNSM_27transparent_binary_operatorINSA_8equal_toIvEEEENSN_INSM_8argumentILj0EEEEENSM_5valueIjEEEEEEEEEEEE10hipError_tPvRmT3_T4_T5_T6_T7_T9_mT8_P12ihipStream_tbDpT10_ENKUlT_T0_E_clISt17integral_constantIbLb1EES1J_IbLb0EEEEDaS1F_S1G_EUlS1F_E_NS1_11comp_targetILNS1_3genE2ELNS1_11target_archE906ELNS1_3gpuE6ELNS1_3repE0EEENS1_30default_config_static_selectorELNS0_4arch9wavefront6targetE0EEEvT1_: ; @_ZN7rocprim17ROCPRIM_400000_NS6detail17trampoline_kernelINS0_14default_configENS1_25partition_config_selectorILNS1_17partition_subalgoE6EjNS0_10empty_typeEbEEZZNS1_14partition_implILS5_6ELb0ES3_mN6thrust23THRUST_200600_302600_NS6detail15normal_iteratorINSA_10device_ptrIjEEEEPS6_SG_NS0_5tupleIJSF_S6_EEENSH_IJSG_SG_EEES6_PlJNSB_9not_fun_tINSB_10functional5actorINSM_9compositeIJNSM_27transparent_binary_operatorINSA_8equal_toIvEEEENSN_INSM_8argumentILj0EEEEENSM_5valueIjEEEEEEEEEEEE10hipError_tPvRmT3_T4_T5_T6_T7_T9_mT8_P12ihipStream_tbDpT10_ENKUlT_T0_E_clISt17integral_constantIbLb1EES1J_IbLb0EEEEDaS1F_S1G_EUlS1F_E_NS1_11comp_targetILNS1_3genE2ELNS1_11target_archE906ELNS1_3gpuE6ELNS1_3repE0EEENS1_30default_config_static_selectorELNS0_4arch9wavefront6targetE0EEEvT1_
; %bb.0:
	.section	.rodata,"a",@progbits
	.p2align	6, 0x0
	.amdhsa_kernel _ZN7rocprim17ROCPRIM_400000_NS6detail17trampoline_kernelINS0_14default_configENS1_25partition_config_selectorILNS1_17partition_subalgoE6EjNS0_10empty_typeEbEEZZNS1_14partition_implILS5_6ELb0ES3_mN6thrust23THRUST_200600_302600_NS6detail15normal_iteratorINSA_10device_ptrIjEEEEPS6_SG_NS0_5tupleIJSF_S6_EEENSH_IJSG_SG_EEES6_PlJNSB_9not_fun_tINSB_10functional5actorINSM_9compositeIJNSM_27transparent_binary_operatorINSA_8equal_toIvEEEENSN_INSM_8argumentILj0EEEEENSM_5valueIjEEEEEEEEEEEE10hipError_tPvRmT3_T4_T5_T6_T7_T9_mT8_P12ihipStream_tbDpT10_ENKUlT_T0_E_clISt17integral_constantIbLb1EES1J_IbLb0EEEEDaS1F_S1G_EUlS1F_E_NS1_11comp_targetILNS1_3genE2ELNS1_11target_archE906ELNS1_3gpuE6ELNS1_3repE0EEENS1_30default_config_static_selectorELNS0_4arch9wavefront6targetE0EEEvT1_
		.amdhsa_group_segment_fixed_size 0
		.amdhsa_private_segment_fixed_size 0
		.amdhsa_kernarg_size 120
		.amdhsa_user_sgpr_count 2
		.amdhsa_user_sgpr_dispatch_ptr 0
		.amdhsa_user_sgpr_queue_ptr 0
		.amdhsa_user_sgpr_kernarg_segment_ptr 1
		.amdhsa_user_sgpr_dispatch_id 0
		.amdhsa_user_sgpr_private_segment_size 0
		.amdhsa_wavefront_size32 1
		.amdhsa_uses_dynamic_stack 0
		.amdhsa_enable_private_segment 0
		.amdhsa_system_sgpr_workgroup_id_x 1
		.amdhsa_system_sgpr_workgroup_id_y 0
		.amdhsa_system_sgpr_workgroup_id_z 0
		.amdhsa_system_sgpr_workgroup_info 0
		.amdhsa_system_vgpr_workitem_id 0
		.amdhsa_next_free_vgpr 1
		.amdhsa_next_free_sgpr 1
		.amdhsa_reserve_vcc 0
		.amdhsa_float_round_mode_32 0
		.amdhsa_float_round_mode_16_64 0
		.amdhsa_float_denorm_mode_32 3
		.amdhsa_float_denorm_mode_16_64 3
		.amdhsa_fp16_overflow 0
		.amdhsa_workgroup_processor_mode 1
		.amdhsa_memory_ordered 1
		.amdhsa_forward_progress 1
		.amdhsa_inst_pref_size 0
		.amdhsa_round_robin_scheduling 0
		.amdhsa_exception_fp_ieee_invalid_op 0
		.amdhsa_exception_fp_denorm_src 0
		.amdhsa_exception_fp_ieee_div_zero 0
		.amdhsa_exception_fp_ieee_overflow 0
		.amdhsa_exception_fp_ieee_underflow 0
		.amdhsa_exception_fp_ieee_inexact 0
		.amdhsa_exception_int_div_zero 0
	.end_amdhsa_kernel
	.section	.text._ZN7rocprim17ROCPRIM_400000_NS6detail17trampoline_kernelINS0_14default_configENS1_25partition_config_selectorILNS1_17partition_subalgoE6EjNS0_10empty_typeEbEEZZNS1_14partition_implILS5_6ELb0ES3_mN6thrust23THRUST_200600_302600_NS6detail15normal_iteratorINSA_10device_ptrIjEEEEPS6_SG_NS0_5tupleIJSF_S6_EEENSH_IJSG_SG_EEES6_PlJNSB_9not_fun_tINSB_10functional5actorINSM_9compositeIJNSM_27transparent_binary_operatorINSA_8equal_toIvEEEENSN_INSM_8argumentILj0EEEEENSM_5valueIjEEEEEEEEEEEE10hipError_tPvRmT3_T4_T5_T6_T7_T9_mT8_P12ihipStream_tbDpT10_ENKUlT_T0_E_clISt17integral_constantIbLb1EES1J_IbLb0EEEEDaS1F_S1G_EUlS1F_E_NS1_11comp_targetILNS1_3genE2ELNS1_11target_archE906ELNS1_3gpuE6ELNS1_3repE0EEENS1_30default_config_static_selectorELNS0_4arch9wavefront6targetE0EEEvT1_,"axG",@progbits,_ZN7rocprim17ROCPRIM_400000_NS6detail17trampoline_kernelINS0_14default_configENS1_25partition_config_selectorILNS1_17partition_subalgoE6EjNS0_10empty_typeEbEEZZNS1_14partition_implILS5_6ELb0ES3_mN6thrust23THRUST_200600_302600_NS6detail15normal_iteratorINSA_10device_ptrIjEEEEPS6_SG_NS0_5tupleIJSF_S6_EEENSH_IJSG_SG_EEES6_PlJNSB_9not_fun_tINSB_10functional5actorINSM_9compositeIJNSM_27transparent_binary_operatorINSA_8equal_toIvEEEENSN_INSM_8argumentILj0EEEEENSM_5valueIjEEEEEEEEEEEE10hipError_tPvRmT3_T4_T5_T6_T7_T9_mT8_P12ihipStream_tbDpT10_ENKUlT_T0_E_clISt17integral_constantIbLb1EES1J_IbLb0EEEEDaS1F_S1G_EUlS1F_E_NS1_11comp_targetILNS1_3genE2ELNS1_11target_archE906ELNS1_3gpuE6ELNS1_3repE0EEENS1_30default_config_static_selectorELNS0_4arch9wavefront6targetE0EEEvT1_,comdat
.Lfunc_end133:
	.size	_ZN7rocprim17ROCPRIM_400000_NS6detail17trampoline_kernelINS0_14default_configENS1_25partition_config_selectorILNS1_17partition_subalgoE6EjNS0_10empty_typeEbEEZZNS1_14partition_implILS5_6ELb0ES3_mN6thrust23THRUST_200600_302600_NS6detail15normal_iteratorINSA_10device_ptrIjEEEEPS6_SG_NS0_5tupleIJSF_S6_EEENSH_IJSG_SG_EEES6_PlJNSB_9not_fun_tINSB_10functional5actorINSM_9compositeIJNSM_27transparent_binary_operatorINSA_8equal_toIvEEEENSN_INSM_8argumentILj0EEEEENSM_5valueIjEEEEEEEEEEEE10hipError_tPvRmT3_T4_T5_T6_T7_T9_mT8_P12ihipStream_tbDpT10_ENKUlT_T0_E_clISt17integral_constantIbLb1EES1J_IbLb0EEEEDaS1F_S1G_EUlS1F_E_NS1_11comp_targetILNS1_3genE2ELNS1_11target_archE906ELNS1_3gpuE6ELNS1_3repE0EEENS1_30default_config_static_selectorELNS0_4arch9wavefront6targetE0EEEvT1_, .Lfunc_end133-_ZN7rocprim17ROCPRIM_400000_NS6detail17trampoline_kernelINS0_14default_configENS1_25partition_config_selectorILNS1_17partition_subalgoE6EjNS0_10empty_typeEbEEZZNS1_14partition_implILS5_6ELb0ES3_mN6thrust23THRUST_200600_302600_NS6detail15normal_iteratorINSA_10device_ptrIjEEEEPS6_SG_NS0_5tupleIJSF_S6_EEENSH_IJSG_SG_EEES6_PlJNSB_9not_fun_tINSB_10functional5actorINSM_9compositeIJNSM_27transparent_binary_operatorINSA_8equal_toIvEEEENSN_INSM_8argumentILj0EEEEENSM_5valueIjEEEEEEEEEEEE10hipError_tPvRmT3_T4_T5_T6_T7_T9_mT8_P12ihipStream_tbDpT10_ENKUlT_T0_E_clISt17integral_constantIbLb1EES1J_IbLb0EEEEDaS1F_S1G_EUlS1F_E_NS1_11comp_targetILNS1_3genE2ELNS1_11target_archE906ELNS1_3gpuE6ELNS1_3repE0EEENS1_30default_config_static_selectorELNS0_4arch9wavefront6targetE0EEEvT1_
                                        ; -- End function
	.set _ZN7rocprim17ROCPRIM_400000_NS6detail17trampoline_kernelINS0_14default_configENS1_25partition_config_selectorILNS1_17partition_subalgoE6EjNS0_10empty_typeEbEEZZNS1_14partition_implILS5_6ELb0ES3_mN6thrust23THRUST_200600_302600_NS6detail15normal_iteratorINSA_10device_ptrIjEEEEPS6_SG_NS0_5tupleIJSF_S6_EEENSH_IJSG_SG_EEES6_PlJNSB_9not_fun_tINSB_10functional5actorINSM_9compositeIJNSM_27transparent_binary_operatorINSA_8equal_toIvEEEENSN_INSM_8argumentILj0EEEEENSM_5valueIjEEEEEEEEEEEE10hipError_tPvRmT3_T4_T5_T6_T7_T9_mT8_P12ihipStream_tbDpT10_ENKUlT_T0_E_clISt17integral_constantIbLb1EES1J_IbLb0EEEEDaS1F_S1G_EUlS1F_E_NS1_11comp_targetILNS1_3genE2ELNS1_11target_archE906ELNS1_3gpuE6ELNS1_3repE0EEENS1_30default_config_static_selectorELNS0_4arch9wavefront6targetE0EEEvT1_.num_vgpr, 0
	.set _ZN7rocprim17ROCPRIM_400000_NS6detail17trampoline_kernelINS0_14default_configENS1_25partition_config_selectorILNS1_17partition_subalgoE6EjNS0_10empty_typeEbEEZZNS1_14partition_implILS5_6ELb0ES3_mN6thrust23THRUST_200600_302600_NS6detail15normal_iteratorINSA_10device_ptrIjEEEEPS6_SG_NS0_5tupleIJSF_S6_EEENSH_IJSG_SG_EEES6_PlJNSB_9not_fun_tINSB_10functional5actorINSM_9compositeIJNSM_27transparent_binary_operatorINSA_8equal_toIvEEEENSN_INSM_8argumentILj0EEEEENSM_5valueIjEEEEEEEEEEEE10hipError_tPvRmT3_T4_T5_T6_T7_T9_mT8_P12ihipStream_tbDpT10_ENKUlT_T0_E_clISt17integral_constantIbLb1EES1J_IbLb0EEEEDaS1F_S1G_EUlS1F_E_NS1_11comp_targetILNS1_3genE2ELNS1_11target_archE906ELNS1_3gpuE6ELNS1_3repE0EEENS1_30default_config_static_selectorELNS0_4arch9wavefront6targetE0EEEvT1_.num_agpr, 0
	.set _ZN7rocprim17ROCPRIM_400000_NS6detail17trampoline_kernelINS0_14default_configENS1_25partition_config_selectorILNS1_17partition_subalgoE6EjNS0_10empty_typeEbEEZZNS1_14partition_implILS5_6ELb0ES3_mN6thrust23THRUST_200600_302600_NS6detail15normal_iteratorINSA_10device_ptrIjEEEEPS6_SG_NS0_5tupleIJSF_S6_EEENSH_IJSG_SG_EEES6_PlJNSB_9not_fun_tINSB_10functional5actorINSM_9compositeIJNSM_27transparent_binary_operatorINSA_8equal_toIvEEEENSN_INSM_8argumentILj0EEEEENSM_5valueIjEEEEEEEEEEEE10hipError_tPvRmT3_T4_T5_T6_T7_T9_mT8_P12ihipStream_tbDpT10_ENKUlT_T0_E_clISt17integral_constantIbLb1EES1J_IbLb0EEEEDaS1F_S1G_EUlS1F_E_NS1_11comp_targetILNS1_3genE2ELNS1_11target_archE906ELNS1_3gpuE6ELNS1_3repE0EEENS1_30default_config_static_selectorELNS0_4arch9wavefront6targetE0EEEvT1_.numbered_sgpr, 0
	.set _ZN7rocprim17ROCPRIM_400000_NS6detail17trampoline_kernelINS0_14default_configENS1_25partition_config_selectorILNS1_17partition_subalgoE6EjNS0_10empty_typeEbEEZZNS1_14partition_implILS5_6ELb0ES3_mN6thrust23THRUST_200600_302600_NS6detail15normal_iteratorINSA_10device_ptrIjEEEEPS6_SG_NS0_5tupleIJSF_S6_EEENSH_IJSG_SG_EEES6_PlJNSB_9not_fun_tINSB_10functional5actorINSM_9compositeIJNSM_27transparent_binary_operatorINSA_8equal_toIvEEEENSN_INSM_8argumentILj0EEEEENSM_5valueIjEEEEEEEEEEEE10hipError_tPvRmT3_T4_T5_T6_T7_T9_mT8_P12ihipStream_tbDpT10_ENKUlT_T0_E_clISt17integral_constantIbLb1EES1J_IbLb0EEEEDaS1F_S1G_EUlS1F_E_NS1_11comp_targetILNS1_3genE2ELNS1_11target_archE906ELNS1_3gpuE6ELNS1_3repE0EEENS1_30default_config_static_selectorELNS0_4arch9wavefront6targetE0EEEvT1_.num_named_barrier, 0
	.set _ZN7rocprim17ROCPRIM_400000_NS6detail17trampoline_kernelINS0_14default_configENS1_25partition_config_selectorILNS1_17partition_subalgoE6EjNS0_10empty_typeEbEEZZNS1_14partition_implILS5_6ELb0ES3_mN6thrust23THRUST_200600_302600_NS6detail15normal_iteratorINSA_10device_ptrIjEEEEPS6_SG_NS0_5tupleIJSF_S6_EEENSH_IJSG_SG_EEES6_PlJNSB_9not_fun_tINSB_10functional5actorINSM_9compositeIJNSM_27transparent_binary_operatorINSA_8equal_toIvEEEENSN_INSM_8argumentILj0EEEEENSM_5valueIjEEEEEEEEEEEE10hipError_tPvRmT3_T4_T5_T6_T7_T9_mT8_P12ihipStream_tbDpT10_ENKUlT_T0_E_clISt17integral_constantIbLb1EES1J_IbLb0EEEEDaS1F_S1G_EUlS1F_E_NS1_11comp_targetILNS1_3genE2ELNS1_11target_archE906ELNS1_3gpuE6ELNS1_3repE0EEENS1_30default_config_static_selectorELNS0_4arch9wavefront6targetE0EEEvT1_.private_seg_size, 0
	.set _ZN7rocprim17ROCPRIM_400000_NS6detail17trampoline_kernelINS0_14default_configENS1_25partition_config_selectorILNS1_17partition_subalgoE6EjNS0_10empty_typeEbEEZZNS1_14partition_implILS5_6ELb0ES3_mN6thrust23THRUST_200600_302600_NS6detail15normal_iteratorINSA_10device_ptrIjEEEEPS6_SG_NS0_5tupleIJSF_S6_EEENSH_IJSG_SG_EEES6_PlJNSB_9not_fun_tINSB_10functional5actorINSM_9compositeIJNSM_27transparent_binary_operatorINSA_8equal_toIvEEEENSN_INSM_8argumentILj0EEEEENSM_5valueIjEEEEEEEEEEEE10hipError_tPvRmT3_T4_T5_T6_T7_T9_mT8_P12ihipStream_tbDpT10_ENKUlT_T0_E_clISt17integral_constantIbLb1EES1J_IbLb0EEEEDaS1F_S1G_EUlS1F_E_NS1_11comp_targetILNS1_3genE2ELNS1_11target_archE906ELNS1_3gpuE6ELNS1_3repE0EEENS1_30default_config_static_selectorELNS0_4arch9wavefront6targetE0EEEvT1_.uses_vcc, 0
	.set _ZN7rocprim17ROCPRIM_400000_NS6detail17trampoline_kernelINS0_14default_configENS1_25partition_config_selectorILNS1_17partition_subalgoE6EjNS0_10empty_typeEbEEZZNS1_14partition_implILS5_6ELb0ES3_mN6thrust23THRUST_200600_302600_NS6detail15normal_iteratorINSA_10device_ptrIjEEEEPS6_SG_NS0_5tupleIJSF_S6_EEENSH_IJSG_SG_EEES6_PlJNSB_9not_fun_tINSB_10functional5actorINSM_9compositeIJNSM_27transparent_binary_operatorINSA_8equal_toIvEEEENSN_INSM_8argumentILj0EEEEENSM_5valueIjEEEEEEEEEEEE10hipError_tPvRmT3_T4_T5_T6_T7_T9_mT8_P12ihipStream_tbDpT10_ENKUlT_T0_E_clISt17integral_constantIbLb1EES1J_IbLb0EEEEDaS1F_S1G_EUlS1F_E_NS1_11comp_targetILNS1_3genE2ELNS1_11target_archE906ELNS1_3gpuE6ELNS1_3repE0EEENS1_30default_config_static_selectorELNS0_4arch9wavefront6targetE0EEEvT1_.uses_flat_scratch, 0
	.set _ZN7rocprim17ROCPRIM_400000_NS6detail17trampoline_kernelINS0_14default_configENS1_25partition_config_selectorILNS1_17partition_subalgoE6EjNS0_10empty_typeEbEEZZNS1_14partition_implILS5_6ELb0ES3_mN6thrust23THRUST_200600_302600_NS6detail15normal_iteratorINSA_10device_ptrIjEEEEPS6_SG_NS0_5tupleIJSF_S6_EEENSH_IJSG_SG_EEES6_PlJNSB_9not_fun_tINSB_10functional5actorINSM_9compositeIJNSM_27transparent_binary_operatorINSA_8equal_toIvEEEENSN_INSM_8argumentILj0EEEEENSM_5valueIjEEEEEEEEEEEE10hipError_tPvRmT3_T4_T5_T6_T7_T9_mT8_P12ihipStream_tbDpT10_ENKUlT_T0_E_clISt17integral_constantIbLb1EES1J_IbLb0EEEEDaS1F_S1G_EUlS1F_E_NS1_11comp_targetILNS1_3genE2ELNS1_11target_archE906ELNS1_3gpuE6ELNS1_3repE0EEENS1_30default_config_static_selectorELNS0_4arch9wavefront6targetE0EEEvT1_.has_dyn_sized_stack, 0
	.set _ZN7rocprim17ROCPRIM_400000_NS6detail17trampoline_kernelINS0_14default_configENS1_25partition_config_selectorILNS1_17partition_subalgoE6EjNS0_10empty_typeEbEEZZNS1_14partition_implILS5_6ELb0ES3_mN6thrust23THRUST_200600_302600_NS6detail15normal_iteratorINSA_10device_ptrIjEEEEPS6_SG_NS0_5tupleIJSF_S6_EEENSH_IJSG_SG_EEES6_PlJNSB_9not_fun_tINSB_10functional5actorINSM_9compositeIJNSM_27transparent_binary_operatorINSA_8equal_toIvEEEENSN_INSM_8argumentILj0EEEEENSM_5valueIjEEEEEEEEEEEE10hipError_tPvRmT3_T4_T5_T6_T7_T9_mT8_P12ihipStream_tbDpT10_ENKUlT_T0_E_clISt17integral_constantIbLb1EES1J_IbLb0EEEEDaS1F_S1G_EUlS1F_E_NS1_11comp_targetILNS1_3genE2ELNS1_11target_archE906ELNS1_3gpuE6ELNS1_3repE0EEENS1_30default_config_static_selectorELNS0_4arch9wavefront6targetE0EEEvT1_.has_recursion, 0
	.set _ZN7rocprim17ROCPRIM_400000_NS6detail17trampoline_kernelINS0_14default_configENS1_25partition_config_selectorILNS1_17partition_subalgoE6EjNS0_10empty_typeEbEEZZNS1_14partition_implILS5_6ELb0ES3_mN6thrust23THRUST_200600_302600_NS6detail15normal_iteratorINSA_10device_ptrIjEEEEPS6_SG_NS0_5tupleIJSF_S6_EEENSH_IJSG_SG_EEES6_PlJNSB_9not_fun_tINSB_10functional5actorINSM_9compositeIJNSM_27transparent_binary_operatorINSA_8equal_toIvEEEENSN_INSM_8argumentILj0EEEEENSM_5valueIjEEEEEEEEEEEE10hipError_tPvRmT3_T4_T5_T6_T7_T9_mT8_P12ihipStream_tbDpT10_ENKUlT_T0_E_clISt17integral_constantIbLb1EES1J_IbLb0EEEEDaS1F_S1G_EUlS1F_E_NS1_11comp_targetILNS1_3genE2ELNS1_11target_archE906ELNS1_3gpuE6ELNS1_3repE0EEENS1_30default_config_static_selectorELNS0_4arch9wavefront6targetE0EEEvT1_.has_indirect_call, 0
	.section	.AMDGPU.csdata,"",@progbits
; Kernel info:
; codeLenInByte = 0
; TotalNumSgprs: 0
; NumVgprs: 0
; ScratchSize: 0
; MemoryBound: 0
; FloatMode: 240
; IeeeMode: 1
; LDSByteSize: 0 bytes/workgroup (compile time only)
; SGPRBlocks: 0
; VGPRBlocks: 0
; NumSGPRsForWavesPerEU: 1
; NumVGPRsForWavesPerEU: 1
; Occupancy: 16
; WaveLimiterHint : 0
; COMPUTE_PGM_RSRC2:SCRATCH_EN: 0
; COMPUTE_PGM_RSRC2:USER_SGPR: 2
; COMPUTE_PGM_RSRC2:TRAP_HANDLER: 0
; COMPUTE_PGM_RSRC2:TGID_X_EN: 1
; COMPUTE_PGM_RSRC2:TGID_Y_EN: 0
; COMPUTE_PGM_RSRC2:TGID_Z_EN: 0
; COMPUTE_PGM_RSRC2:TIDIG_COMP_CNT: 0
	.section	.text._ZN7rocprim17ROCPRIM_400000_NS6detail17trampoline_kernelINS0_14default_configENS1_25partition_config_selectorILNS1_17partition_subalgoE6EjNS0_10empty_typeEbEEZZNS1_14partition_implILS5_6ELb0ES3_mN6thrust23THRUST_200600_302600_NS6detail15normal_iteratorINSA_10device_ptrIjEEEEPS6_SG_NS0_5tupleIJSF_S6_EEENSH_IJSG_SG_EEES6_PlJNSB_9not_fun_tINSB_10functional5actorINSM_9compositeIJNSM_27transparent_binary_operatorINSA_8equal_toIvEEEENSN_INSM_8argumentILj0EEEEENSM_5valueIjEEEEEEEEEEEE10hipError_tPvRmT3_T4_T5_T6_T7_T9_mT8_P12ihipStream_tbDpT10_ENKUlT_T0_E_clISt17integral_constantIbLb1EES1J_IbLb0EEEEDaS1F_S1G_EUlS1F_E_NS1_11comp_targetILNS1_3genE10ELNS1_11target_archE1200ELNS1_3gpuE4ELNS1_3repE0EEENS1_30default_config_static_selectorELNS0_4arch9wavefront6targetE0EEEvT1_,"axG",@progbits,_ZN7rocprim17ROCPRIM_400000_NS6detail17trampoline_kernelINS0_14default_configENS1_25partition_config_selectorILNS1_17partition_subalgoE6EjNS0_10empty_typeEbEEZZNS1_14partition_implILS5_6ELb0ES3_mN6thrust23THRUST_200600_302600_NS6detail15normal_iteratorINSA_10device_ptrIjEEEEPS6_SG_NS0_5tupleIJSF_S6_EEENSH_IJSG_SG_EEES6_PlJNSB_9not_fun_tINSB_10functional5actorINSM_9compositeIJNSM_27transparent_binary_operatorINSA_8equal_toIvEEEENSN_INSM_8argumentILj0EEEEENSM_5valueIjEEEEEEEEEEEE10hipError_tPvRmT3_T4_T5_T6_T7_T9_mT8_P12ihipStream_tbDpT10_ENKUlT_T0_E_clISt17integral_constantIbLb1EES1J_IbLb0EEEEDaS1F_S1G_EUlS1F_E_NS1_11comp_targetILNS1_3genE10ELNS1_11target_archE1200ELNS1_3gpuE4ELNS1_3repE0EEENS1_30default_config_static_selectorELNS0_4arch9wavefront6targetE0EEEvT1_,comdat
	.protected	_ZN7rocprim17ROCPRIM_400000_NS6detail17trampoline_kernelINS0_14default_configENS1_25partition_config_selectorILNS1_17partition_subalgoE6EjNS0_10empty_typeEbEEZZNS1_14partition_implILS5_6ELb0ES3_mN6thrust23THRUST_200600_302600_NS6detail15normal_iteratorINSA_10device_ptrIjEEEEPS6_SG_NS0_5tupleIJSF_S6_EEENSH_IJSG_SG_EEES6_PlJNSB_9not_fun_tINSB_10functional5actorINSM_9compositeIJNSM_27transparent_binary_operatorINSA_8equal_toIvEEEENSN_INSM_8argumentILj0EEEEENSM_5valueIjEEEEEEEEEEEE10hipError_tPvRmT3_T4_T5_T6_T7_T9_mT8_P12ihipStream_tbDpT10_ENKUlT_T0_E_clISt17integral_constantIbLb1EES1J_IbLb0EEEEDaS1F_S1G_EUlS1F_E_NS1_11comp_targetILNS1_3genE10ELNS1_11target_archE1200ELNS1_3gpuE4ELNS1_3repE0EEENS1_30default_config_static_selectorELNS0_4arch9wavefront6targetE0EEEvT1_ ; -- Begin function _ZN7rocprim17ROCPRIM_400000_NS6detail17trampoline_kernelINS0_14default_configENS1_25partition_config_selectorILNS1_17partition_subalgoE6EjNS0_10empty_typeEbEEZZNS1_14partition_implILS5_6ELb0ES3_mN6thrust23THRUST_200600_302600_NS6detail15normal_iteratorINSA_10device_ptrIjEEEEPS6_SG_NS0_5tupleIJSF_S6_EEENSH_IJSG_SG_EEES6_PlJNSB_9not_fun_tINSB_10functional5actorINSM_9compositeIJNSM_27transparent_binary_operatorINSA_8equal_toIvEEEENSN_INSM_8argumentILj0EEEEENSM_5valueIjEEEEEEEEEEEE10hipError_tPvRmT3_T4_T5_T6_T7_T9_mT8_P12ihipStream_tbDpT10_ENKUlT_T0_E_clISt17integral_constantIbLb1EES1J_IbLb0EEEEDaS1F_S1G_EUlS1F_E_NS1_11comp_targetILNS1_3genE10ELNS1_11target_archE1200ELNS1_3gpuE4ELNS1_3repE0EEENS1_30default_config_static_selectorELNS0_4arch9wavefront6targetE0EEEvT1_
	.globl	_ZN7rocprim17ROCPRIM_400000_NS6detail17trampoline_kernelINS0_14default_configENS1_25partition_config_selectorILNS1_17partition_subalgoE6EjNS0_10empty_typeEbEEZZNS1_14partition_implILS5_6ELb0ES3_mN6thrust23THRUST_200600_302600_NS6detail15normal_iteratorINSA_10device_ptrIjEEEEPS6_SG_NS0_5tupleIJSF_S6_EEENSH_IJSG_SG_EEES6_PlJNSB_9not_fun_tINSB_10functional5actorINSM_9compositeIJNSM_27transparent_binary_operatorINSA_8equal_toIvEEEENSN_INSM_8argumentILj0EEEEENSM_5valueIjEEEEEEEEEEEE10hipError_tPvRmT3_T4_T5_T6_T7_T9_mT8_P12ihipStream_tbDpT10_ENKUlT_T0_E_clISt17integral_constantIbLb1EES1J_IbLb0EEEEDaS1F_S1G_EUlS1F_E_NS1_11comp_targetILNS1_3genE10ELNS1_11target_archE1200ELNS1_3gpuE4ELNS1_3repE0EEENS1_30default_config_static_selectorELNS0_4arch9wavefront6targetE0EEEvT1_
	.p2align	8
	.type	_ZN7rocprim17ROCPRIM_400000_NS6detail17trampoline_kernelINS0_14default_configENS1_25partition_config_selectorILNS1_17partition_subalgoE6EjNS0_10empty_typeEbEEZZNS1_14partition_implILS5_6ELb0ES3_mN6thrust23THRUST_200600_302600_NS6detail15normal_iteratorINSA_10device_ptrIjEEEEPS6_SG_NS0_5tupleIJSF_S6_EEENSH_IJSG_SG_EEES6_PlJNSB_9not_fun_tINSB_10functional5actorINSM_9compositeIJNSM_27transparent_binary_operatorINSA_8equal_toIvEEEENSN_INSM_8argumentILj0EEEEENSM_5valueIjEEEEEEEEEEEE10hipError_tPvRmT3_T4_T5_T6_T7_T9_mT8_P12ihipStream_tbDpT10_ENKUlT_T0_E_clISt17integral_constantIbLb1EES1J_IbLb0EEEEDaS1F_S1G_EUlS1F_E_NS1_11comp_targetILNS1_3genE10ELNS1_11target_archE1200ELNS1_3gpuE4ELNS1_3repE0EEENS1_30default_config_static_selectorELNS0_4arch9wavefront6targetE0EEEvT1_,@function
_ZN7rocprim17ROCPRIM_400000_NS6detail17trampoline_kernelINS0_14default_configENS1_25partition_config_selectorILNS1_17partition_subalgoE6EjNS0_10empty_typeEbEEZZNS1_14partition_implILS5_6ELb0ES3_mN6thrust23THRUST_200600_302600_NS6detail15normal_iteratorINSA_10device_ptrIjEEEEPS6_SG_NS0_5tupleIJSF_S6_EEENSH_IJSG_SG_EEES6_PlJNSB_9not_fun_tINSB_10functional5actorINSM_9compositeIJNSM_27transparent_binary_operatorINSA_8equal_toIvEEEENSN_INSM_8argumentILj0EEEEENSM_5valueIjEEEEEEEEEEEE10hipError_tPvRmT3_T4_T5_T6_T7_T9_mT8_P12ihipStream_tbDpT10_ENKUlT_T0_E_clISt17integral_constantIbLb1EES1J_IbLb0EEEEDaS1F_S1G_EUlS1F_E_NS1_11comp_targetILNS1_3genE10ELNS1_11target_archE1200ELNS1_3gpuE4ELNS1_3repE0EEENS1_30default_config_static_selectorELNS0_4arch9wavefront6targetE0EEEvT1_: ; @_ZN7rocprim17ROCPRIM_400000_NS6detail17trampoline_kernelINS0_14default_configENS1_25partition_config_selectorILNS1_17partition_subalgoE6EjNS0_10empty_typeEbEEZZNS1_14partition_implILS5_6ELb0ES3_mN6thrust23THRUST_200600_302600_NS6detail15normal_iteratorINSA_10device_ptrIjEEEEPS6_SG_NS0_5tupleIJSF_S6_EEENSH_IJSG_SG_EEES6_PlJNSB_9not_fun_tINSB_10functional5actorINSM_9compositeIJNSM_27transparent_binary_operatorINSA_8equal_toIvEEEENSN_INSM_8argumentILj0EEEEENSM_5valueIjEEEEEEEEEEEE10hipError_tPvRmT3_T4_T5_T6_T7_T9_mT8_P12ihipStream_tbDpT10_ENKUlT_T0_E_clISt17integral_constantIbLb1EES1J_IbLb0EEEEDaS1F_S1G_EUlS1F_E_NS1_11comp_targetILNS1_3genE10ELNS1_11target_archE1200ELNS1_3gpuE4ELNS1_3repE0EEENS1_30default_config_static_selectorELNS0_4arch9wavefront6targetE0EEEvT1_
; %bb.0:
	s_endpgm
	.section	.rodata,"a",@progbits
	.p2align	6, 0x0
	.amdhsa_kernel _ZN7rocprim17ROCPRIM_400000_NS6detail17trampoline_kernelINS0_14default_configENS1_25partition_config_selectorILNS1_17partition_subalgoE6EjNS0_10empty_typeEbEEZZNS1_14partition_implILS5_6ELb0ES3_mN6thrust23THRUST_200600_302600_NS6detail15normal_iteratorINSA_10device_ptrIjEEEEPS6_SG_NS0_5tupleIJSF_S6_EEENSH_IJSG_SG_EEES6_PlJNSB_9not_fun_tINSB_10functional5actorINSM_9compositeIJNSM_27transparent_binary_operatorINSA_8equal_toIvEEEENSN_INSM_8argumentILj0EEEEENSM_5valueIjEEEEEEEEEEEE10hipError_tPvRmT3_T4_T5_T6_T7_T9_mT8_P12ihipStream_tbDpT10_ENKUlT_T0_E_clISt17integral_constantIbLb1EES1J_IbLb0EEEEDaS1F_S1G_EUlS1F_E_NS1_11comp_targetILNS1_3genE10ELNS1_11target_archE1200ELNS1_3gpuE4ELNS1_3repE0EEENS1_30default_config_static_selectorELNS0_4arch9wavefront6targetE0EEEvT1_
		.amdhsa_group_segment_fixed_size 0
		.amdhsa_private_segment_fixed_size 0
		.amdhsa_kernarg_size 120
		.amdhsa_user_sgpr_count 2
		.amdhsa_user_sgpr_dispatch_ptr 0
		.amdhsa_user_sgpr_queue_ptr 0
		.amdhsa_user_sgpr_kernarg_segment_ptr 1
		.amdhsa_user_sgpr_dispatch_id 0
		.amdhsa_user_sgpr_private_segment_size 0
		.amdhsa_wavefront_size32 1
		.amdhsa_uses_dynamic_stack 0
		.amdhsa_enable_private_segment 0
		.amdhsa_system_sgpr_workgroup_id_x 1
		.amdhsa_system_sgpr_workgroup_id_y 0
		.amdhsa_system_sgpr_workgroup_id_z 0
		.amdhsa_system_sgpr_workgroup_info 0
		.amdhsa_system_vgpr_workitem_id 0
		.amdhsa_next_free_vgpr 1
		.amdhsa_next_free_sgpr 1
		.amdhsa_reserve_vcc 0
		.amdhsa_float_round_mode_32 0
		.amdhsa_float_round_mode_16_64 0
		.amdhsa_float_denorm_mode_32 3
		.amdhsa_float_denorm_mode_16_64 3
		.amdhsa_fp16_overflow 0
		.amdhsa_workgroup_processor_mode 1
		.amdhsa_memory_ordered 1
		.amdhsa_forward_progress 1
		.amdhsa_inst_pref_size 1
		.amdhsa_round_robin_scheduling 0
		.amdhsa_exception_fp_ieee_invalid_op 0
		.amdhsa_exception_fp_denorm_src 0
		.amdhsa_exception_fp_ieee_div_zero 0
		.amdhsa_exception_fp_ieee_overflow 0
		.amdhsa_exception_fp_ieee_underflow 0
		.amdhsa_exception_fp_ieee_inexact 0
		.amdhsa_exception_int_div_zero 0
	.end_amdhsa_kernel
	.section	.text._ZN7rocprim17ROCPRIM_400000_NS6detail17trampoline_kernelINS0_14default_configENS1_25partition_config_selectorILNS1_17partition_subalgoE6EjNS0_10empty_typeEbEEZZNS1_14partition_implILS5_6ELb0ES3_mN6thrust23THRUST_200600_302600_NS6detail15normal_iteratorINSA_10device_ptrIjEEEEPS6_SG_NS0_5tupleIJSF_S6_EEENSH_IJSG_SG_EEES6_PlJNSB_9not_fun_tINSB_10functional5actorINSM_9compositeIJNSM_27transparent_binary_operatorINSA_8equal_toIvEEEENSN_INSM_8argumentILj0EEEEENSM_5valueIjEEEEEEEEEEEE10hipError_tPvRmT3_T4_T5_T6_T7_T9_mT8_P12ihipStream_tbDpT10_ENKUlT_T0_E_clISt17integral_constantIbLb1EES1J_IbLb0EEEEDaS1F_S1G_EUlS1F_E_NS1_11comp_targetILNS1_3genE10ELNS1_11target_archE1200ELNS1_3gpuE4ELNS1_3repE0EEENS1_30default_config_static_selectorELNS0_4arch9wavefront6targetE0EEEvT1_,"axG",@progbits,_ZN7rocprim17ROCPRIM_400000_NS6detail17trampoline_kernelINS0_14default_configENS1_25partition_config_selectorILNS1_17partition_subalgoE6EjNS0_10empty_typeEbEEZZNS1_14partition_implILS5_6ELb0ES3_mN6thrust23THRUST_200600_302600_NS6detail15normal_iteratorINSA_10device_ptrIjEEEEPS6_SG_NS0_5tupleIJSF_S6_EEENSH_IJSG_SG_EEES6_PlJNSB_9not_fun_tINSB_10functional5actorINSM_9compositeIJNSM_27transparent_binary_operatorINSA_8equal_toIvEEEENSN_INSM_8argumentILj0EEEEENSM_5valueIjEEEEEEEEEEEE10hipError_tPvRmT3_T4_T5_T6_T7_T9_mT8_P12ihipStream_tbDpT10_ENKUlT_T0_E_clISt17integral_constantIbLb1EES1J_IbLb0EEEEDaS1F_S1G_EUlS1F_E_NS1_11comp_targetILNS1_3genE10ELNS1_11target_archE1200ELNS1_3gpuE4ELNS1_3repE0EEENS1_30default_config_static_selectorELNS0_4arch9wavefront6targetE0EEEvT1_,comdat
.Lfunc_end134:
	.size	_ZN7rocprim17ROCPRIM_400000_NS6detail17trampoline_kernelINS0_14default_configENS1_25partition_config_selectorILNS1_17partition_subalgoE6EjNS0_10empty_typeEbEEZZNS1_14partition_implILS5_6ELb0ES3_mN6thrust23THRUST_200600_302600_NS6detail15normal_iteratorINSA_10device_ptrIjEEEEPS6_SG_NS0_5tupleIJSF_S6_EEENSH_IJSG_SG_EEES6_PlJNSB_9not_fun_tINSB_10functional5actorINSM_9compositeIJNSM_27transparent_binary_operatorINSA_8equal_toIvEEEENSN_INSM_8argumentILj0EEEEENSM_5valueIjEEEEEEEEEEEE10hipError_tPvRmT3_T4_T5_T6_T7_T9_mT8_P12ihipStream_tbDpT10_ENKUlT_T0_E_clISt17integral_constantIbLb1EES1J_IbLb0EEEEDaS1F_S1G_EUlS1F_E_NS1_11comp_targetILNS1_3genE10ELNS1_11target_archE1200ELNS1_3gpuE4ELNS1_3repE0EEENS1_30default_config_static_selectorELNS0_4arch9wavefront6targetE0EEEvT1_, .Lfunc_end134-_ZN7rocprim17ROCPRIM_400000_NS6detail17trampoline_kernelINS0_14default_configENS1_25partition_config_selectorILNS1_17partition_subalgoE6EjNS0_10empty_typeEbEEZZNS1_14partition_implILS5_6ELb0ES3_mN6thrust23THRUST_200600_302600_NS6detail15normal_iteratorINSA_10device_ptrIjEEEEPS6_SG_NS0_5tupleIJSF_S6_EEENSH_IJSG_SG_EEES6_PlJNSB_9not_fun_tINSB_10functional5actorINSM_9compositeIJNSM_27transparent_binary_operatorINSA_8equal_toIvEEEENSN_INSM_8argumentILj0EEEEENSM_5valueIjEEEEEEEEEEEE10hipError_tPvRmT3_T4_T5_T6_T7_T9_mT8_P12ihipStream_tbDpT10_ENKUlT_T0_E_clISt17integral_constantIbLb1EES1J_IbLb0EEEEDaS1F_S1G_EUlS1F_E_NS1_11comp_targetILNS1_3genE10ELNS1_11target_archE1200ELNS1_3gpuE4ELNS1_3repE0EEENS1_30default_config_static_selectorELNS0_4arch9wavefront6targetE0EEEvT1_
                                        ; -- End function
	.set _ZN7rocprim17ROCPRIM_400000_NS6detail17trampoline_kernelINS0_14default_configENS1_25partition_config_selectorILNS1_17partition_subalgoE6EjNS0_10empty_typeEbEEZZNS1_14partition_implILS5_6ELb0ES3_mN6thrust23THRUST_200600_302600_NS6detail15normal_iteratorINSA_10device_ptrIjEEEEPS6_SG_NS0_5tupleIJSF_S6_EEENSH_IJSG_SG_EEES6_PlJNSB_9not_fun_tINSB_10functional5actorINSM_9compositeIJNSM_27transparent_binary_operatorINSA_8equal_toIvEEEENSN_INSM_8argumentILj0EEEEENSM_5valueIjEEEEEEEEEEEE10hipError_tPvRmT3_T4_T5_T6_T7_T9_mT8_P12ihipStream_tbDpT10_ENKUlT_T0_E_clISt17integral_constantIbLb1EES1J_IbLb0EEEEDaS1F_S1G_EUlS1F_E_NS1_11comp_targetILNS1_3genE10ELNS1_11target_archE1200ELNS1_3gpuE4ELNS1_3repE0EEENS1_30default_config_static_selectorELNS0_4arch9wavefront6targetE0EEEvT1_.num_vgpr, 0
	.set _ZN7rocprim17ROCPRIM_400000_NS6detail17trampoline_kernelINS0_14default_configENS1_25partition_config_selectorILNS1_17partition_subalgoE6EjNS0_10empty_typeEbEEZZNS1_14partition_implILS5_6ELb0ES3_mN6thrust23THRUST_200600_302600_NS6detail15normal_iteratorINSA_10device_ptrIjEEEEPS6_SG_NS0_5tupleIJSF_S6_EEENSH_IJSG_SG_EEES6_PlJNSB_9not_fun_tINSB_10functional5actorINSM_9compositeIJNSM_27transparent_binary_operatorINSA_8equal_toIvEEEENSN_INSM_8argumentILj0EEEEENSM_5valueIjEEEEEEEEEEEE10hipError_tPvRmT3_T4_T5_T6_T7_T9_mT8_P12ihipStream_tbDpT10_ENKUlT_T0_E_clISt17integral_constantIbLb1EES1J_IbLb0EEEEDaS1F_S1G_EUlS1F_E_NS1_11comp_targetILNS1_3genE10ELNS1_11target_archE1200ELNS1_3gpuE4ELNS1_3repE0EEENS1_30default_config_static_selectorELNS0_4arch9wavefront6targetE0EEEvT1_.num_agpr, 0
	.set _ZN7rocprim17ROCPRIM_400000_NS6detail17trampoline_kernelINS0_14default_configENS1_25partition_config_selectorILNS1_17partition_subalgoE6EjNS0_10empty_typeEbEEZZNS1_14partition_implILS5_6ELb0ES3_mN6thrust23THRUST_200600_302600_NS6detail15normal_iteratorINSA_10device_ptrIjEEEEPS6_SG_NS0_5tupleIJSF_S6_EEENSH_IJSG_SG_EEES6_PlJNSB_9not_fun_tINSB_10functional5actorINSM_9compositeIJNSM_27transparent_binary_operatorINSA_8equal_toIvEEEENSN_INSM_8argumentILj0EEEEENSM_5valueIjEEEEEEEEEEEE10hipError_tPvRmT3_T4_T5_T6_T7_T9_mT8_P12ihipStream_tbDpT10_ENKUlT_T0_E_clISt17integral_constantIbLb1EES1J_IbLb0EEEEDaS1F_S1G_EUlS1F_E_NS1_11comp_targetILNS1_3genE10ELNS1_11target_archE1200ELNS1_3gpuE4ELNS1_3repE0EEENS1_30default_config_static_selectorELNS0_4arch9wavefront6targetE0EEEvT1_.numbered_sgpr, 0
	.set _ZN7rocprim17ROCPRIM_400000_NS6detail17trampoline_kernelINS0_14default_configENS1_25partition_config_selectorILNS1_17partition_subalgoE6EjNS0_10empty_typeEbEEZZNS1_14partition_implILS5_6ELb0ES3_mN6thrust23THRUST_200600_302600_NS6detail15normal_iteratorINSA_10device_ptrIjEEEEPS6_SG_NS0_5tupleIJSF_S6_EEENSH_IJSG_SG_EEES6_PlJNSB_9not_fun_tINSB_10functional5actorINSM_9compositeIJNSM_27transparent_binary_operatorINSA_8equal_toIvEEEENSN_INSM_8argumentILj0EEEEENSM_5valueIjEEEEEEEEEEEE10hipError_tPvRmT3_T4_T5_T6_T7_T9_mT8_P12ihipStream_tbDpT10_ENKUlT_T0_E_clISt17integral_constantIbLb1EES1J_IbLb0EEEEDaS1F_S1G_EUlS1F_E_NS1_11comp_targetILNS1_3genE10ELNS1_11target_archE1200ELNS1_3gpuE4ELNS1_3repE0EEENS1_30default_config_static_selectorELNS0_4arch9wavefront6targetE0EEEvT1_.num_named_barrier, 0
	.set _ZN7rocprim17ROCPRIM_400000_NS6detail17trampoline_kernelINS0_14default_configENS1_25partition_config_selectorILNS1_17partition_subalgoE6EjNS0_10empty_typeEbEEZZNS1_14partition_implILS5_6ELb0ES3_mN6thrust23THRUST_200600_302600_NS6detail15normal_iteratorINSA_10device_ptrIjEEEEPS6_SG_NS0_5tupleIJSF_S6_EEENSH_IJSG_SG_EEES6_PlJNSB_9not_fun_tINSB_10functional5actorINSM_9compositeIJNSM_27transparent_binary_operatorINSA_8equal_toIvEEEENSN_INSM_8argumentILj0EEEEENSM_5valueIjEEEEEEEEEEEE10hipError_tPvRmT3_T4_T5_T6_T7_T9_mT8_P12ihipStream_tbDpT10_ENKUlT_T0_E_clISt17integral_constantIbLb1EES1J_IbLb0EEEEDaS1F_S1G_EUlS1F_E_NS1_11comp_targetILNS1_3genE10ELNS1_11target_archE1200ELNS1_3gpuE4ELNS1_3repE0EEENS1_30default_config_static_selectorELNS0_4arch9wavefront6targetE0EEEvT1_.private_seg_size, 0
	.set _ZN7rocprim17ROCPRIM_400000_NS6detail17trampoline_kernelINS0_14default_configENS1_25partition_config_selectorILNS1_17partition_subalgoE6EjNS0_10empty_typeEbEEZZNS1_14partition_implILS5_6ELb0ES3_mN6thrust23THRUST_200600_302600_NS6detail15normal_iteratorINSA_10device_ptrIjEEEEPS6_SG_NS0_5tupleIJSF_S6_EEENSH_IJSG_SG_EEES6_PlJNSB_9not_fun_tINSB_10functional5actorINSM_9compositeIJNSM_27transparent_binary_operatorINSA_8equal_toIvEEEENSN_INSM_8argumentILj0EEEEENSM_5valueIjEEEEEEEEEEEE10hipError_tPvRmT3_T4_T5_T6_T7_T9_mT8_P12ihipStream_tbDpT10_ENKUlT_T0_E_clISt17integral_constantIbLb1EES1J_IbLb0EEEEDaS1F_S1G_EUlS1F_E_NS1_11comp_targetILNS1_3genE10ELNS1_11target_archE1200ELNS1_3gpuE4ELNS1_3repE0EEENS1_30default_config_static_selectorELNS0_4arch9wavefront6targetE0EEEvT1_.uses_vcc, 0
	.set _ZN7rocprim17ROCPRIM_400000_NS6detail17trampoline_kernelINS0_14default_configENS1_25partition_config_selectorILNS1_17partition_subalgoE6EjNS0_10empty_typeEbEEZZNS1_14partition_implILS5_6ELb0ES3_mN6thrust23THRUST_200600_302600_NS6detail15normal_iteratorINSA_10device_ptrIjEEEEPS6_SG_NS0_5tupleIJSF_S6_EEENSH_IJSG_SG_EEES6_PlJNSB_9not_fun_tINSB_10functional5actorINSM_9compositeIJNSM_27transparent_binary_operatorINSA_8equal_toIvEEEENSN_INSM_8argumentILj0EEEEENSM_5valueIjEEEEEEEEEEEE10hipError_tPvRmT3_T4_T5_T6_T7_T9_mT8_P12ihipStream_tbDpT10_ENKUlT_T0_E_clISt17integral_constantIbLb1EES1J_IbLb0EEEEDaS1F_S1G_EUlS1F_E_NS1_11comp_targetILNS1_3genE10ELNS1_11target_archE1200ELNS1_3gpuE4ELNS1_3repE0EEENS1_30default_config_static_selectorELNS0_4arch9wavefront6targetE0EEEvT1_.uses_flat_scratch, 0
	.set _ZN7rocprim17ROCPRIM_400000_NS6detail17trampoline_kernelINS0_14default_configENS1_25partition_config_selectorILNS1_17partition_subalgoE6EjNS0_10empty_typeEbEEZZNS1_14partition_implILS5_6ELb0ES3_mN6thrust23THRUST_200600_302600_NS6detail15normal_iteratorINSA_10device_ptrIjEEEEPS6_SG_NS0_5tupleIJSF_S6_EEENSH_IJSG_SG_EEES6_PlJNSB_9not_fun_tINSB_10functional5actorINSM_9compositeIJNSM_27transparent_binary_operatorINSA_8equal_toIvEEEENSN_INSM_8argumentILj0EEEEENSM_5valueIjEEEEEEEEEEEE10hipError_tPvRmT3_T4_T5_T6_T7_T9_mT8_P12ihipStream_tbDpT10_ENKUlT_T0_E_clISt17integral_constantIbLb1EES1J_IbLb0EEEEDaS1F_S1G_EUlS1F_E_NS1_11comp_targetILNS1_3genE10ELNS1_11target_archE1200ELNS1_3gpuE4ELNS1_3repE0EEENS1_30default_config_static_selectorELNS0_4arch9wavefront6targetE0EEEvT1_.has_dyn_sized_stack, 0
	.set _ZN7rocprim17ROCPRIM_400000_NS6detail17trampoline_kernelINS0_14default_configENS1_25partition_config_selectorILNS1_17partition_subalgoE6EjNS0_10empty_typeEbEEZZNS1_14partition_implILS5_6ELb0ES3_mN6thrust23THRUST_200600_302600_NS6detail15normal_iteratorINSA_10device_ptrIjEEEEPS6_SG_NS0_5tupleIJSF_S6_EEENSH_IJSG_SG_EEES6_PlJNSB_9not_fun_tINSB_10functional5actorINSM_9compositeIJNSM_27transparent_binary_operatorINSA_8equal_toIvEEEENSN_INSM_8argumentILj0EEEEENSM_5valueIjEEEEEEEEEEEE10hipError_tPvRmT3_T4_T5_T6_T7_T9_mT8_P12ihipStream_tbDpT10_ENKUlT_T0_E_clISt17integral_constantIbLb1EES1J_IbLb0EEEEDaS1F_S1G_EUlS1F_E_NS1_11comp_targetILNS1_3genE10ELNS1_11target_archE1200ELNS1_3gpuE4ELNS1_3repE0EEENS1_30default_config_static_selectorELNS0_4arch9wavefront6targetE0EEEvT1_.has_recursion, 0
	.set _ZN7rocprim17ROCPRIM_400000_NS6detail17trampoline_kernelINS0_14default_configENS1_25partition_config_selectorILNS1_17partition_subalgoE6EjNS0_10empty_typeEbEEZZNS1_14partition_implILS5_6ELb0ES3_mN6thrust23THRUST_200600_302600_NS6detail15normal_iteratorINSA_10device_ptrIjEEEEPS6_SG_NS0_5tupleIJSF_S6_EEENSH_IJSG_SG_EEES6_PlJNSB_9not_fun_tINSB_10functional5actorINSM_9compositeIJNSM_27transparent_binary_operatorINSA_8equal_toIvEEEENSN_INSM_8argumentILj0EEEEENSM_5valueIjEEEEEEEEEEEE10hipError_tPvRmT3_T4_T5_T6_T7_T9_mT8_P12ihipStream_tbDpT10_ENKUlT_T0_E_clISt17integral_constantIbLb1EES1J_IbLb0EEEEDaS1F_S1G_EUlS1F_E_NS1_11comp_targetILNS1_3genE10ELNS1_11target_archE1200ELNS1_3gpuE4ELNS1_3repE0EEENS1_30default_config_static_selectorELNS0_4arch9wavefront6targetE0EEEvT1_.has_indirect_call, 0
	.section	.AMDGPU.csdata,"",@progbits
; Kernel info:
; codeLenInByte = 4
; TotalNumSgprs: 0
; NumVgprs: 0
; ScratchSize: 0
; MemoryBound: 0
; FloatMode: 240
; IeeeMode: 1
; LDSByteSize: 0 bytes/workgroup (compile time only)
; SGPRBlocks: 0
; VGPRBlocks: 0
; NumSGPRsForWavesPerEU: 1
; NumVGPRsForWavesPerEU: 1
; Occupancy: 16
; WaveLimiterHint : 0
; COMPUTE_PGM_RSRC2:SCRATCH_EN: 0
; COMPUTE_PGM_RSRC2:USER_SGPR: 2
; COMPUTE_PGM_RSRC2:TRAP_HANDLER: 0
; COMPUTE_PGM_RSRC2:TGID_X_EN: 1
; COMPUTE_PGM_RSRC2:TGID_Y_EN: 0
; COMPUTE_PGM_RSRC2:TGID_Z_EN: 0
; COMPUTE_PGM_RSRC2:TIDIG_COMP_CNT: 0
	.section	.text._ZN7rocprim17ROCPRIM_400000_NS6detail17trampoline_kernelINS0_14default_configENS1_25partition_config_selectorILNS1_17partition_subalgoE6EjNS0_10empty_typeEbEEZZNS1_14partition_implILS5_6ELb0ES3_mN6thrust23THRUST_200600_302600_NS6detail15normal_iteratorINSA_10device_ptrIjEEEEPS6_SG_NS0_5tupleIJSF_S6_EEENSH_IJSG_SG_EEES6_PlJNSB_9not_fun_tINSB_10functional5actorINSM_9compositeIJNSM_27transparent_binary_operatorINSA_8equal_toIvEEEENSN_INSM_8argumentILj0EEEEENSM_5valueIjEEEEEEEEEEEE10hipError_tPvRmT3_T4_T5_T6_T7_T9_mT8_P12ihipStream_tbDpT10_ENKUlT_T0_E_clISt17integral_constantIbLb1EES1J_IbLb0EEEEDaS1F_S1G_EUlS1F_E_NS1_11comp_targetILNS1_3genE9ELNS1_11target_archE1100ELNS1_3gpuE3ELNS1_3repE0EEENS1_30default_config_static_selectorELNS0_4arch9wavefront6targetE0EEEvT1_,"axG",@progbits,_ZN7rocprim17ROCPRIM_400000_NS6detail17trampoline_kernelINS0_14default_configENS1_25partition_config_selectorILNS1_17partition_subalgoE6EjNS0_10empty_typeEbEEZZNS1_14partition_implILS5_6ELb0ES3_mN6thrust23THRUST_200600_302600_NS6detail15normal_iteratorINSA_10device_ptrIjEEEEPS6_SG_NS0_5tupleIJSF_S6_EEENSH_IJSG_SG_EEES6_PlJNSB_9not_fun_tINSB_10functional5actorINSM_9compositeIJNSM_27transparent_binary_operatorINSA_8equal_toIvEEEENSN_INSM_8argumentILj0EEEEENSM_5valueIjEEEEEEEEEEEE10hipError_tPvRmT3_T4_T5_T6_T7_T9_mT8_P12ihipStream_tbDpT10_ENKUlT_T0_E_clISt17integral_constantIbLb1EES1J_IbLb0EEEEDaS1F_S1G_EUlS1F_E_NS1_11comp_targetILNS1_3genE9ELNS1_11target_archE1100ELNS1_3gpuE3ELNS1_3repE0EEENS1_30default_config_static_selectorELNS0_4arch9wavefront6targetE0EEEvT1_,comdat
	.protected	_ZN7rocprim17ROCPRIM_400000_NS6detail17trampoline_kernelINS0_14default_configENS1_25partition_config_selectorILNS1_17partition_subalgoE6EjNS0_10empty_typeEbEEZZNS1_14partition_implILS5_6ELb0ES3_mN6thrust23THRUST_200600_302600_NS6detail15normal_iteratorINSA_10device_ptrIjEEEEPS6_SG_NS0_5tupleIJSF_S6_EEENSH_IJSG_SG_EEES6_PlJNSB_9not_fun_tINSB_10functional5actorINSM_9compositeIJNSM_27transparent_binary_operatorINSA_8equal_toIvEEEENSN_INSM_8argumentILj0EEEEENSM_5valueIjEEEEEEEEEEEE10hipError_tPvRmT3_T4_T5_T6_T7_T9_mT8_P12ihipStream_tbDpT10_ENKUlT_T0_E_clISt17integral_constantIbLb1EES1J_IbLb0EEEEDaS1F_S1G_EUlS1F_E_NS1_11comp_targetILNS1_3genE9ELNS1_11target_archE1100ELNS1_3gpuE3ELNS1_3repE0EEENS1_30default_config_static_selectorELNS0_4arch9wavefront6targetE0EEEvT1_ ; -- Begin function _ZN7rocprim17ROCPRIM_400000_NS6detail17trampoline_kernelINS0_14default_configENS1_25partition_config_selectorILNS1_17partition_subalgoE6EjNS0_10empty_typeEbEEZZNS1_14partition_implILS5_6ELb0ES3_mN6thrust23THRUST_200600_302600_NS6detail15normal_iteratorINSA_10device_ptrIjEEEEPS6_SG_NS0_5tupleIJSF_S6_EEENSH_IJSG_SG_EEES6_PlJNSB_9not_fun_tINSB_10functional5actorINSM_9compositeIJNSM_27transparent_binary_operatorINSA_8equal_toIvEEEENSN_INSM_8argumentILj0EEEEENSM_5valueIjEEEEEEEEEEEE10hipError_tPvRmT3_T4_T5_T6_T7_T9_mT8_P12ihipStream_tbDpT10_ENKUlT_T0_E_clISt17integral_constantIbLb1EES1J_IbLb0EEEEDaS1F_S1G_EUlS1F_E_NS1_11comp_targetILNS1_3genE9ELNS1_11target_archE1100ELNS1_3gpuE3ELNS1_3repE0EEENS1_30default_config_static_selectorELNS0_4arch9wavefront6targetE0EEEvT1_
	.globl	_ZN7rocprim17ROCPRIM_400000_NS6detail17trampoline_kernelINS0_14default_configENS1_25partition_config_selectorILNS1_17partition_subalgoE6EjNS0_10empty_typeEbEEZZNS1_14partition_implILS5_6ELb0ES3_mN6thrust23THRUST_200600_302600_NS6detail15normal_iteratorINSA_10device_ptrIjEEEEPS6_SG_NS0_5tupleIJSF_S6_EEENSH_IJSG_SG_EEES6_PlJNSB_9not_fun_tINSB_10functional5actorINSM_9compositeIJNSM_27transparent_binary_operatorINSA_8equal_toIvEEEENSN_INSM_8argumentILj0EEEEENSM_5valueIjEEEEEEEEEEEE10hipError_tPvRmT3_T4_T5_T6_T7_T9_mT8_P12ihipStream_tbDpT10_ENKUlT_T0_E_clISt17integral_constantIbLb1EES1J_IbLb0EEEEDaS1F_S1G_EUlS1F_E_NS1_11comp_targetILNS1_3genE9ELNS1_11target_archE1100ELNS1_3gpuE3ELNS1_3repE0EEENS1_30default_config_static_selectorELNS0_4arch9wavefront6targetE0EEEvT1_
	.p2align	8
	.type	_ZN7rocprim17ROCPRIM_400000_NS6detail17trampoline_kernelINS0_14default_configENS1_25partition_config_selectorILNS1_17partition_subalgoE6EjNS0_10empty_typeEbEEZZNS1_14partition_implILS5_6ELb0ES3_mN6thrust23THRUST_200600_302600_NS6detail15normal_iteratorINSA_10device_ptrIjEEEEPS6_SG_NS0_5tupleIJSF_S6_EEENSH_IJSG_SG_EEES6_PlJNSB_9not_fun_tINSB_10functional5actorINSM_9compositeIJNSM_27transparent_binary_operatorINSA_8equal_toIvEEEENSN_INSM_8argumentILj0EEEEENSM_5valueIjEEEEEEEEEEEE10hipError_tPvRmT3_T4_T5_T6_T7_T9_mT8_P12ihipStream_tbDpT10_ENKUlT_T0_E_clISt17integral_constantIbLb1EES1J_IbLb0EEEEDaS1F_S1G_EUlS1F_E_NS1_11comp_targetILNS1_3genE9ELNS1_11target_archE1100ELNS1_3gpuE3ELNS1_3repE0EEENS1_30default_config_static_selectorELNS0_4arch9wavefront6targetE0EEEvT1_,@function
_ZN7rocprim17ROCPRIM_400000_NS6detail17trampoline_kernelINS0_14default_configENS1_25partition_config_selectorILNS1_17partition_subalgoE6EjNS0_10empty_typeEbEEZZNS1_14partition_implILS5_6ELb0ES3_mN6thrust23THRUST_200600_302600_NS6detail15normal_iteratorINSA_10device_ptrIjEEEEPS6_SG_NS0_5tupleIJSF_S6_EEENSH_IJSG_SG_EEES6_PlJNSB_9not_fun_tINSB_10functional5actorINSM_9compositeIJNSM_27transparent_binary_operatorINSA_8equal_toIvEEEENSN_INSM_8argumentILj0EEEEENSM_5valueIjEEEEEEEEEEEE10hipError_tPvRmT3_T4_T5_T6_T7_T9_mT8_P12ihipStream_tbDpT10_ENKUlT_T0_E_clISt17integral_constantIbLb1EES1J_IbLb0EEEEDaS1F_S1G_EUlS1F_E_NS1_11comp_targetILNS1_3genE9ELNS1_11target_archE1100ELNS1_3gpuE3ELNS1_3repE0EEENS1_30default_config_static_selectorELNS0_4arch9wavefront6targetE0EEEvT1_: ; @_ZN7rocprim17ROCPRIM_400000_NS6detail17trampoline_kernelINS0_14default_configENS1_25partition_config_selectorILNS1_17partition_subalgoE6EjNS0_10empty_typeEbEEZZNS1_14partition_implILS5_6ELb0ES3_mN6thrust23THRUST_200600_302600_NS6detail15normal_iteratorINSA_10device_ptrIjEEEEPS6_SG_NS0_5tupleIJSF_S6_EEENSH_IJSG_SG_EEES6_PlJNSB_9not_fun_tINSB_10functional5actorINSM_9compositeIJNSM_27transparent_binary_operatorINSA_8equal_toIvEEEENSN_INSM_8argumentILj0EEEEENSM_5valueIjEEEEEEEEEEEE10hipError_tPvRmT3_T4_T5_T6_T7_T9_mT8_P12ihipStream_tbDpT10_ENKUlT_T0_E_clISt17integral_constantIbLb1EES1J_IbLb0EEEEDaS1F_S1G_EUlS1F_E_NS1_11comp_targetILNS1_3genE9ELNS1_11target_archE1100ELNS1_3gpuE3ELNS1_3repE0EEENS1_30default_config_static_selectorELNS0_4arch9wavefront6targetE0EEEvT1_
; %bb.0:
	.section	.rodata,"a",@progbits
	.p2align	6, 0x0
	.amdhsa_kernel _ZN7rocprim17ROCPRIM_400000_NS6detail17trampoline_kernelINS0_14default_configENS1_25partition_config_selectorILNS1_17partition_subalgoE6EjNS0_10empty_typeEbEEZZNS1_14partition_implILS5_6ELb0ES3_mN6thrust23THRUST_200600_302600_NS6detail15normal_iteratorINSA_10device_ptrIjEEEEPS6_SG_NS0_5tupleIJSF_S6_EEENSH_IJSG_SG_EEES6_PlJNSB_9not_fun_tINSB_10functional5actorINSM_9compositeIJNSM_27transparent_binary_operatorINSA_8equal_toIvEEEENSN_INSM_8argumentILj0EEEEENSM_5valueIjEEEEEEEEEEEE10hipError_tPvRmT3_T4_T5_T6_T7_T9_mT8_P12ihipStream_tbDpT10_ENKUlT_T0_E_clISt17integral_constantIbLb1EES1J_IbLb0EEEEDaS1F_S1G_EUlS1F_E_NS1_11comp_targetILNS1_3genE9ELNS1_11target_archE1100ELNS1_3gpuE3ELNS1_3repE0EEENS1_30default_config_static_selectorELNS0_4arch9wavefront6targetE0EEEvT1_
		.amdhsa_group_segment_fixed_size 0
		.amdhsa_private_segment_fixed_size 0
		.amdhsa_kernarg_size 120
		.amdhsa_user_sgpr_count 2
		.amdhsa_user_sgpr_dispatch_ptr 0
		.amdhsa_user_sgpr_queue_ptr 0
		.amdhsa_user_sgpr_kernarg_segment_ptr 1
		.amdhsa_user_sgpr_dispatch_id 0
		.amdhsa_user_sgpr_private_segment_size 0
		.amdhsa_wavefront_size32 1
		.amdhsa_uses_dynamic_stack 0
		.amdhsa_enable_private_segment 0
		.amdhsa_system_sgpr_workgroup_id_x 1
		.amdhsa_system_sgpr_workgroup_id_y 0
		.amdhsa_system_sgpr_workgroup_id_z 0
		.amdhsa_system_sgpr_workgroup_info 0
		.amdhsa_system_vgpr_workitem_id 0
		.amdhsa_next_free_vgpr 1
		.amdhsa_next_free_sgpr 1
		.amdhsa_reserve_vcc 0
		.amdhsa_float_round_mode_32 0
		.amdhsa_float_round_mode_16_64 0
		.amdhsa_float_denorm_mode_32 3
		.amdhsa_float_denorm_mode_16_64 3
		.amdhsa_fp16_overflow 0
		.amdhsa_workgroup_processor_mode 1
		.amdhsa_memory_ordered 1
		.amdhsa_forward_progress 1
		.amdhsa_inst_pref_size 0
		.amdhsa_round_robin_scheduling 0
		.amdhsa_exception_fp_ieee_invalid_op 0
		.amdhsa_exception_fp_denorm_src 0
		.amdhsa_exception_fp_ieee_div_zero 0
		.amdhsa_exception_fp_ieee_overflow 0
		.amdhsa_exception_fp_ieee_underflow 0
		.amdhsa_exception_fp_ieee_inexact 0
		.amdhsa_exception_int_div_zero 0
	.end_amdhsa_kernel
	.section	.text._ZN7rocprim17ROCPRIM_400000_NS6detail17trampoline_kernelINS0_14default_configENS1_25partition_config_selectorILNS1_17partition_subalgoE6EjNS0_10empty_typeEbEEZZNS1_14partition_implILS5_6ELb0ES3_mN6thrust23THRUST_200600_302600_NS6detail15normal_iteratorINSA_10device_ptrIjEEEEPS6_SG_NS0_5tupleIJSF_S6_EEENSH_IJSG_SG_EEES6_PlJNSB_9not_fun_tINSB_10functional5actorINSM_9compositeIJNSM_27transparent_binary_operatorINSA_8equal_toIvEEEENSN_INSM_8argumentILj0EEEEENSM_5valueIjEEEEEEEEEEEE10hipError_tPvRmT3_T4_T5_T6_T7_T9_mT8_P12ihipStream_tbDpT10_ENKUlT_T0_E_clISt17integral_constantIbLb1EES1J_IbLb0EEEEDaS1F_S1G_EUlS1F_E_NS1_11comp_targetILNS1_3genE9ELNS1_11target_archE1100ELNS1_3gpuE3ELNS1_3repE0EEENS1_30default_config_static_selectorELNS0_4arch9wavefront6targetE0EEEvT1_,"axG",@progbits,_ZN7rocprim17ROCPRIM_400000_NS6detail17trampoline_kernelINS0_14default_configENS1_25partition_config_selectorILNS1_17partition_subalgoE6EjNS0_10empty_typeEbEEZZNS1_14partition_implILS5_6ELb0ES3_mN6thrust23THRUST_200600_302600_NS6detail15normal_iteratorINSA_10device_ptrIjEEEEPS6_SG_NS0_5tupleIJSF_S6_EEENSH_IJSG_SG_EEES6_PlJNSB_9not_fun_tINSB_10functional5actorINSM_9compositeIJNSM_27transparent_binary_operatorINSA_8equal_toIvEEEENSN_INSM_8argumentILj0EEEEENSM_5valueIjEEEEEEEEEEEE10hipError_tPvRmT3_T4_T5_T6_T7_T9_mT8_P12ihipStream_tbDpT10_ENKUlT_T0_E_clISt17integral_constantIbLb1EES1J_IbLb0EEEEDaS1F_S1G_EUlS1F_E_NS1_11comp_targetILNS1_3genE9ELNS1_11target_archE1100ELNS1_3gpuE3ELNS1_3repE0EEENS1_30default_config_static_selectorELNS0_4arch9wavefront6targetE0EEEvT1_,comdat
.Lfunc_end135:
	.size	_ZN7rocprim17ROCPRIM_400000_NS6detail17trampoline_kernelINS0_14default_configENS1_25partition_config_selectorILNS1_17partition_subalgoE6EjNS0_10empty_typeEbEEZZNS1_14partition_implILS5_6ELb0ES3_mN6thrust23THRUST_200600_302600_NS6detail15normal_iteratorINSA_10device_ptrIjEEEEPS6_SG_NS0_5tupleIJSF_S6_EEENSH_IJSG_SG_EEES6_PlJNSB_9not_fun_tINSB_10functional5actorINSM_9compositeIJNSM_27transparent_binary_operatorINSA_8equal_toIvEEEENSN_INSM_8argumentILj0EEEEENSM_5valueIjEEEEEEEEEEEE10hipError_tPvRmT3_T4_T5_T6_T7_T9_mT8_P12ihipStream_tbDpT10_ENKUlT_T0_E_clISt17integral_constantIbLb1EES1J_IbLb0EEEEDaS1F_S1G_EUlS1F_E_NS1_11comp_targetILNS1_3genE9ELNS1_11target_archE1100ELNS1_3gpuE3ELNS1_3repE0EEENS1_30default_config_static_selectorELNS0_4arch9wavefront6targetE0EEEvT1_, .Lfunc_end135-_ZN7rocprim17ROCPRIM_400000_NS6detail17trampoline_kernelINS0_14default_configENS1_25partition_config_selectorILNS1_17partition_subalgoE6EjNS0_10empty_typeEbEEZZNS1_14partition_implILS5_6ELb0ES3_mN6thrust23THRUST_200600_302600_NS6detail15normal_iteratorINSA_10device_ptrIjEEEEPS6_SG_NS0_5tupleIJSF_S6_EEENSH_IJSG_SG_EEES6_PlJNSB_9not_fun_tINSB_10functional5actorINSM_9compositeIJNSM_27transparent_binary_operatorINSA_8equal_toIvEEEENSN_INSM_8argumentILj0EEEEENSM_5valueIjEEEEEEEEEEEE10hipError_tPvRmT3_T4_T5_T6_T7_T9_mT8_P12ihipStream_tbDpT10_ENKUlT_T0_E_clISt17integral_constantIbLb1EES1J_IbLb0EEEEDaS1F_S1G_EUlS1F_E_NS1_11comp_targetILNS1_3genE9ELNS1_11target_archE1100ELNS1_3gpuE3ELNS1_3repE0EEENS1_30default_config_static_selectorELNS0_4arch9wavefront6targetE0EEEvT1_
                                        ; -- End function
	.set _ZN7rocprim17ROCPRIM_400000_NS6detail17trampoline_kernelINS0_14default_configENS1_25partition_config_selectorILNS1_17partition_subalgoE6EjNS0_10empty_typeEbEEZZNS1_14partition_implILS5_6ELb0ES3_mN6thrust23THRUST_200600_302600_NS6detail15normal_iteratorINSA_10device_ptrIjEEEEPS6_SG_NS0_5tupleIJSF_S6_EEENSH_IJSG_SG_EEES6_PlJNSB_9not_fun_tINSB_10functional5actorINSM_9compositeIJNSM_27transparent_binary_operatorINSA_8equal_toIvEEEENSN_INSM_8argumentILj0EEEEENSM_5valueIjEEEEEEEEEEEE10hipError_tPvRmT3_T4_T5_T6_T7_T9_mT8_P12ihipStream_tbDpT10_ENKUlT_T0_E_clISt17integral_constantIbLb1EES1J_IbLb0EEEEDaS1F_S1G_EUlS1F_E_NS1_11comp_targetILNS1_3genE9ELNS1_11target_archE1100ELNS1_3gpuE3ELNS1_3repE0EEENS1_30default_config_static_selectorELNS0_4arch9wavefront6targetE0EEEvT1_.num_vgpr, 0
	.set _ZN7rocprim17ROCPRIM_400000_NS6detail17trampoline_kernelINS0_14default_configENS1_25partition_config_selectorILNS1_17partition_subalgoE6EjNS0_10empty_typeEbEEZZNS1_14partition_implILS5_6ELb0ES3_mN6thrust23THRUST_200600_302600_NS6detail15normal_iteratorINSA_10device_ptrIjEEEEPS6_SG_NS0_5tupleIJSF_S6_EEENSH_IJSG_SG_EEES6_PlJNSB_9not_fun_tINSB_10functional5actorINSM_9compositeIJNSM_27transparent_binary_operatorINSA_8equal_toIvEEEENSN_INSM_8argumentILj0EEEEENSM_5valueIjEEEEEEEEEEEE10hipError_tPvRmT3_T4_T5_T6_T7_T9_mT8_P12ihipStream_tbDpT10_ENKUlT_T0_E_clISt17integral_constantIbLb1EES1J_IbLb0EEEEDaS1F_S1G_EUlS1F_E_NS1_11comp_targetILNS1_3genE9ELNS1_11target_archE1100ELNS1_3gpuE3ELNS1_3repE0EEENS1_30default_config_static_selectorELNS0_4arch9wavefront6targetE0EEEvT1_.num_agpr, 0
	.set _ZN7rocprim17ROCPRIM_400000_NS6detail17trampoline_kernelINS0_14default_configENS1_25partition_config_selectorILNS1_17partition_subalgoE6EjNS0_10empty_typeEbEEZZNS1_14partition_implILS5_6ELb0ES3_mN6thrust23THRUST_200600_302600_NS6detail15normal_iteratorINSA_10device_ptrIjEEEEPS6_SG_NS0_5tupleIJSF_S6_EEENSH_IJSG_SG_EEES6_PlJNSB_9not_fun_tINSB_10functional5actorINSM_9compositeIJNSM_27transparent_binary_operatorINSA_8equal_toIvEEEENSN_INSM_8argumentILj0EEEEENSM_5valueIjEEEEEEEEEEEE10hipError_tPvRmT3_T4_T5_T6_T7_T9_mT8_P12ihipStream_tbDpT10_ENKUlT_T0_E_clISt17integral_constantIbLb1EES1J_IbLb0EEEEDaS1F_S1G_EUlS1F_E_NS1_11comp_targetILNS1_3genE9ELNS1_11target_archE1100ELNS1_3gpuE3ELNS1_3repE0EEENS1_30default_config_static_selectorELNS0_4arch9wavefront6targetE0EEEvT1_.numbered_sgpr, 0
	.set _ZN7rocprim17ROCPRIM_400000_NS6detail17trampoline_kernelINS0_14default_configENS1_25partition_config_selectorILNS1_17partition_subalgoE6EjNS0_10empty_typeEbEEZZNS1_14partition_implILS5_6ELb0ES3_mN6thrust23THRUST_200600_302600_NS6detail15normal_iteratorINSA_10device_ptrIjEEEEPS6_SG_NS0_5tupleIJSF_S6_EEENSH_IJSG_SG_EEES6_PlJNSB_9not_fun_tINSB_10functional5actorINSM_9compositeIJNSM_27transparent_binary_operatorINSA_8equal_toIvEEEENSN_INSM_8argumentILj0EEEEENSM_5valueIjEEEEEEEEEEEE10hipError_tPvRmT3_T4_T5_T6_T7_T9_mT8_P12ihipStream_tbDpT10_ENKUlT_T0_E_clISt17integral_constantIbLb1EES1J_IbLb0EEEEDaS1F_S1G_EUlS1F_E_NS1_11comp_targetILNS1_3genE9ELNS1_11target_archE1100ELNS1_3gpuE3ELNS1_3repE0EEENS1_30default_config_static_selectorELNS0_4arch9wavefront6targetE0EEEvT1_.num_named_barrier, 0
	.set _ZN7rocprim17ROCPRIM_400000_NS6detail17trampoline_kernelINS0_14default_configENS1_25partition_config_selectorILNS1_17partition_subalgoE6EjNS0_10empty_typeEbEEZZNS1_14partition_implILS5_6ELb0ES3_mN6thrust23THRUST_200600_302600_NS6detail15normal_iteratorINSA_10device_ptrIjEEEEPS6_SG_NS0_5tupleIJSF_S6_EEENSH_IJSG_SG_EEES6_PlJNSB_9not_fun_tINSB_10functional5actorINSM_9compositeIJNSM_27transparent_binary_operatorINSA_8equal_toIvEEEENSN_INSM_8argumentILj0EEEEENSM_5valueIjEEEEEEEEEEEE10hipError_tPvRmT3_T4_T5_T6_T7_T9_mT8_P12ihipStream_tbDpT10_ENKUlT_T0_E_clISt17integral_constantIbLb1EES1J_IbLb0EEEEDaS1F_S1G_EUlS1F_E_NS1_11comp_targetILNS1_3genE9ELNS1_11target_archE1100ELNS1_3gpuE3ELNS1_3repE0EEENS1_30default_config_static_selectorELNS0_4arch9wavefront6targetE0EEEvT1_.private_seg_size, 0
	.set _ZN7rocprim17ROCPRIM_400000_NS6detail17trampoline_kernelINS0_14default_configENS1_25partition_config_selectorILNS1_17partition_subalgoE6EjNS0_10empty_typeEbEEZZNS1_14partition_implILS5_6ELb0ES3_mN6thrust23THRUST_200600_302600_NS6detail15normal_iteratorINSA_10device_ptrIjEEEEPS6_SG_NS0_5tupleIJSF_S6_EEENSH_IJSG_SG_EEES6_PlJNSB_9not_fun_tINSB_10functional5actorINSM_9compositeIJNSM_27transparent_binary_operatorINSA_8equal_toIvEEEENSN_INSM_8argumentILj0EEEEENSM_5valueIjEEEEEEEEEEEE10hipError_tPvRmT3_T4_T5_T6_T7_T9_mT8_P12ihipStream_tbDpT10_ENKUlT_T0_E_clISt17integral_constantIbLb1EES1J_IbLb0EEEEDaS1F_S1G_EUlS1F_E_NS1_11comp_targetILNS1_3genE9ELNS1_11target_archE1100ELNS1_3gpuE3ELNS1_3repE0EEENS1_30default_config_static_selectorELNS0_4arch9wavefront6targetE0EEEvT1_.uses_vcc, 0
	.set _ZN7rocprim17ROCPRIM_400000_NS6detail17trampoline_kernelINS0_14default_configENS1_25partition_config_selectorILNS1_17partition_subalgoE6EjNS0_10empty_typeEbEEZZNS1_14partition_implILS5_6ELb0ES3_mN6thrust23THRUST_200600_302600_NS6detail15normal_iteratorINSA_10device_ptrIjEEEEPS6_SG_NS0_5tupleIJSF_S6_EEENSH_IJSG_SG_EEES6_PlJNSB_9not_fun_tINSB_10functional5actorINSM_9compositeIJNSM_27transparent_binary_operatorINSA_8equal_toIvEEEENSN_INSM_8argumentILj0EEEEENSM_5valueIjEEEEEEEEEEEE10hipError_tPvRmT3_T4_T5_T6_T7_T9_mT8_P12ihipStream_tbDpT10_ENKUlT_T0_E_clISt17integral_constantIbLb1EES1J_IbLb0EEEEDaS1F_S1G_EUlS1F_E_NS1_11comp_targetILNS1_3genE9ELNS1_11target_archE1100ELNS1_3gpuE3ELNS1_3repE0EEENS1_30default_config_static_selectorELNS0_4arch9wavefront6targetE0EEEvT1_.uses_flat_scratch, 0
	.set _ZN7rocprim17ROCPRIM_400000_NS6detail17trampoline_kernelINS0_14default_configENS1_25partition_config_selectorILNS1_17partition_subalgoE6EjNS0_10empty_typeEbEEZZNS1_14partition_implILS5_6ELb0ES3_mN6thrust23THRUST_200600_302600_NS6detail15normal_iteratorINSA_10device_ptrIjEEEEPS6_SG_NS0_5tupleIJSF_S6_EEENSH_IJSG_SG_EEES6_PlJNSB_9not_fun_tINSB_10functional5actorINSM_9compositeIJNSM_27transparent_binary_operatorINSA_8equal_toIvEEEENSN_INSM_8argumentILj0EEEEENSM_5valueIjEEEEEEEEEEEE10hipError_tPvRmT3_T4_T5_T6_T7_T9_mT8_P12ihipStream_tbDpT10_ENKUlT_T0_E_clISt17integral_constantIbLb1EES1J_IbLb0EEEEDaS1F_S1G_EUlS1F_E_NS1_11comp_targetILNS1_3genE9ELNS1_11target_archE1100ELNS1_3gpuE3ELNS1_3repE0EEENS1_30default_config_static_selectorELNS0_4arch9wavefront6targetE0EEEvT1_.has_dyn_sized_stack, 0
	.set _ZN7rocprim17ROCPRIM_400000_NS6detail17trampoline_kernelINS0_14default_configENS1_25partition_config_selectorILNS1_17partition_subalgoE6EjNS0_10empty_typeEbEEZZNS1_14partition_implILS5_6ELb0ES3_mN6thrust23THRUST_200600_302600_NS6detail15normal_iteratorINSA_10device_ptrIjEEEEPS6_SG_NS0_5tupleIJSF_S6_EEENSH_IJSG_SG_EEES6_PlJNSB_9not_fun_tINSB_10functional5actorINSM_9compositeIJNSM_27transparent_binary_operatorINSA_8equal_toIvEEEENSN_INSM_8argumentILj0EEEEENSM_5valueIjEEEEEEEEEEEE10hipError_tPvRmT3_T4_T5_T6_T7_T9_mT8_P12ihipStream_tbDpT10_ENKUlT_T0_E_clISt17integral_constantIbLb1EES1J_IbLb0EEEEDaS1F_S1G_EUlS1F_E_NS1_11comp_targetILNS1_3genE9ELNS1_11target_archE1100ELNS1_3gpuE3ELNS1_3repE0EEENS1_30default_config_static_selectorELNS0_4arch9wavefront6targetE0EEEvT1_.has_recursion, 0
	.set _ZN7rocprim17ROCPRIM_400000_NS6detail17trampoline_kernelINS0_14default_configENS1_25partition_config_selectorILNS1_17partition_subalgoE6EjNS0_10empty_typeEbEEZZNS1_14partition_implILS5_6ELb0ES3_mN6thrust23THRUST_200600_302600_NS6detail15normal_iteratorINSA_10device_ptrIjEEEEPS6_SG_NS0_5tupleIJSF_S6_EEENSH_IJSG_SG_EEES6_PlJNSB_9not_fun_tINSB_10functional5actorINSM_9compositeIJNSM_27transparent_binary_operatorINSA_8equal_toIvEEEENSN_INSM_8argumentILj0EEEEENSM_5valueIjEEEEEEEEEEEE10hipError_tPvRmT3_T4_T5_T6_T7_T9_mT8_P12ihipStream_tbDpT10_ENKUlT_T0_E_clISt17integral_constantIbLb1EES1J_IbLb0EEEEDaS1F_S1G_EUlS1F_E_NS1_11comp_targetILNS1_3genE9ELNS1_11target_archE1100ELNS1_3gpuE3ELNS1_3repE0EEENS1_30default_config_static_selectorELNS0_4arch9wavefront6targetE0EEEvT1_.has_indirect_call, 0
	.section	.AMDGPU.csdata,"",@progbits
; Kernel info:
; codeLenInByte = 0
; TotalNumSgprs: 0
; NumVgprs: 0
; ScratchSize: 0
; MemoryBound: 0
; FloatMode: 240
; IeeeMode: 1
; LDSByteSize: 0 bytes/workgroup (compile time only)
; SGPRBlocks: 0
; VGPRBlocks: 0
; NumSGPRsForWavesPerEU: 1
; NumVGPRsForWavesPerEU: 1
; Occupancy: 16
; WaveLimiterHint : 0
; COMPUTE_PGM_RSRC2:SCRATCH_EN: 0
; COMPUTE_PGM_RSRC2:USER_SGPR: 2
; COMPUTE_PGM_RSRC2:TRAP_HANDLER: 0
; COMPUTE_PGM_RSRC2:TGID_X_EN: 1
; COMPUTE_PGM_RSRC2:TGID_Y_EN: 0
; COMPUTE_PGM_RSRC2:TGID_Z_EN: 0
; COMPUTE_PGM_RSRC2:TIDIG_COMP_CNT: 0
	.section	.text._ZN7rocprim17ROCPRIM_400000_NS6detail17trampoline_kernelINS0_14default_configENS1_25partition_config_selectorILNS1_17partition_subalgoE6EjNS0_10empty_typeEbEEZZNS1_14partition_implILS5_6ELb0ES3_mN6thrust23THRUST_200600_302600_NS6detail15normal_iteratorINSA_10device_ptrIjEEEEPS6_SG_NS0_5tupleIJSF_S6_EEENSH_IJSG_SG_EEES6_PlJNSB_9not_fun_tINSB_10functional5actorINSM_9compositeIJNSM_27transparent_binary_operatorINSA_8equal_toIvEEEENSN_INSM_8argumentILj0EEEEENSM_5valueIjEEEEEEEEEEEE10hipError_tPvRmT3_T4_T5_T6_T7_T9_mT8_P12ihipStream_tbDpT10_ENKUlT_T0_E_clISt17integral_constantIbLb1EES1J_IbLb0EEEEDaS1F_S1G_EUlS1F_E_NS1_11comp_targetILNS1_3genE8ELNS1_11target_archE1030ELNS1_3gpuE2ELNS1_3repE0EEENS1_30default_config_static_selectorELNS0_4arch9wavefront6targetE0EEEvT1_,"axG",@progbits,_ZN7rocprim17ROCPRIM_400000_NS6detail17trampoline_kernelINS0_14default_configENS1_25partition_config_selectorILNS1_17partition_subalgoE6EjNS0_10empty_typeEbEEZZNS1_14partition_implILS5_6ELb0ES3_mN6thrust23THRUST_200600_302600_NS6detail15normal_iteratorINSA_10device_ptrIjEEEEPS6_SG_NS0_5tupleIJSF_S6_EEENSH_IJSG_SG_EEES6_PlJNSB_9not_fun_tINSB_10functional5actorINSM_9compositeIJNSM_27transparent_binary_operatorINSA_8equal_toIvEEEENSN_INSM_8argumentILj0EEEEENSM_5valueIjEEEEEEEEEEEE10hipError_tPvRmT3_T4_T5_T6_T7_T9_mT8_P12ihipStream_tbDpT10_ENKUlT_T0_E_clISt17integral_constantIbLb1EES1J_IbLb0EEEEDaS1F_S1G_EUlS1F_E_NS1_11comp_targetILNS1_3genE8ELNS1_11target_archE1030ELNS1_3gpuE2ELNS1_3repE0EEENS1_30default_config_static_selectorELNS0_4arch9wavefront6targetE0EEEvT1_,comdat
	.protected	_ZN7rocprim17ROCPRIM_400000_NS6detail17trampoline_kernelINS0_14default_configENS1_25partition_config_selectorILNS1_17partition_subalgoE6EjNS0_10empty_typeEbEEZZNS1_14partition_implILS5_6ELb0ES3_mN6thrust23THRUST_200600_302600_NS6detail15normal_iteratorINSA_10device_ptrIjEEEEPS6_SG_NS0_5tupleIJSF_S6_EEENSH_IJSG_SG_EEES6_PlJNSB_9not_fun_tINSB_10functional5actorINSM_9compositeIJNSM_27transparent_binary_operatorINSA_8equal_toIvEEEENSN_INSM_8argumentILj0EEEEENSM_5valueIjEEEEEEEEEEEE10hipError_tPvRmT3_T4_T5_T6_T7_T9_mT8_P12ihipStream_tbDpT10_ENKUlT_T0_E_clISt17integral_constantIbLb1EES1J_IbLb0EEEEDaS1F_S1G_EUlS1F_E_NS1_11comp_targetILNS1_3genE8ELNS1_11target_archE1030ELNS1_3gpuE2ELNS1_3repE0EEENS1_30default_config_static_selectorELNS0_4arch9wavefront6targetE0EEEvT1_ ; -- Begin function _ZN7rocprim17ROCPRIM_400000_NS6detail17trampoline_kernelINS0_14default_configENS1_25partition_config_selectorILNS1_17partition_subalgoE6EjNS0_10empty_typeEbEEZZNS1_14partition_implILS5_6ELb0ES3_mN6thrust23THRUST_200600_302600_NS6detail15normal_iteratorINSA_10device_ptrIjEEEEPS6_SG_NS0_5tupleIJSF_S6_EEENSH_IJSG_SG_EEES6_PlJNSB_9not_fun_tINSB_10functional5actorINSM_9compositeIJNSM_27transparent_binary_operatorINSA_8equal_toIvEEEENSN_INSM_8argumentILj0EEEEENSM_5valueIjEEEEEEEEEEEE10hipError_tPvRmT3_T4_T5_T6_T7_T9_mT8_P12ihipStream_tbDpT10_ENKUlT_T0_E_clISt17integral_constantIbLb1EES1J_IbLb0EEEEDaS1F_S1G_EUlS1F_E_NS1_11comp_targetILNS1_3genE8ELNS1_11target_archE1030ELNS1_3gpuE2ELNS1_3repE0EEENS1_30default_config_static_selectorELNS0_4arch9wavefront6targetE0EEEvT1_
	.globl	_ZN7rocprim17ROCPRIM_400000_NS6detail17trampoline_kernelINS0_14default_configENS1_25partition_config_selectorILNS1_17partition_subalgoE6EjNS0_10empty_typeEbEEZZNS1_14partition_implILS5_6ELb0ES3_mN6thrust23THRUST_200600_302600_NS6detail15normal_iteratorINSA_10device_ptrIjEEEEPS6_SG_NS0_5tupleIJSF_S6_EEENSH_IJSG_SG_EEES6_PlJNSB_9not_fun_tINSB_10functional5actorINSM_9compositeIJNSM_27transparent_binary_operatorINSA_8equal_toIvEEEENSN_INSM_8argumentILj0EEEEENSM_5valueIjEEEEEEEEEEEE10hipError_tPvRmT3_T4_T5_T6_T7_T9_mT8_P12ihipStream_tbDpT10_ENKUlT_T0_E_clISt17integral_constantIbLb1EES1J_IbLb0EEEEDaS1F_S1G_EUlS1F_E_NS1_11comp_targetILNS1_3genE8ELNS1_11target_archE1030ELNS1_3gpuE2ELNS1_3repE0EEENS1_30default_config_static_selectorELNS0_4arch9wavefront6targetE0EEEvT1_
	.p2align	8
	.type	_ZN7rocprim17ROCPRIM_400000_NS6detail17trampoline_kernelINS0_14default_configENS1_25partition_config_selectorILNS1_17partition_subalgoE6EjNS0_10empty_typeEbEEZZNS1_14partition_implILS5_6ELb0ES3_mN6thrust23THRUST_200600_302600_NS6detail15normal_iteratorINSA_10device_ptrIjEEEEPS6_SG_NS0_5tupleIJSF_S6_EEENSH_IJSG_SG_EEES6_PlJNSB_9not_fun_tINSB_10functional5actorINSM_9compositeIJNSM_27transparent_binary_operatorINSA_8equal_toIvEEEENSN_INSM_8argumentILj0EEEEENSM_5valueIjEEEEEEEEEEEE10hipError_tPvRmT3_T4_T5_T6_T7_T9_mT8_P12ihipStream_tbDpT10_ENKUlT_T0_E_clISt17integral_constantIbLb1EES1J_IbLb0EEEEDaS1F_S1G_EUlS1F_E_NS1_11comp_targetILNS1_3genE8ELNS1_11target_archE1030ELNS1_3gpuE2ELNS1_3repE0EEENS1_30default_config_static_selectorELNS0_4arch9wavefront6targetE0EEEvT1_,@function
_ZN7rocprim17ROCPRIM_400000_NS6detail17trampoline_kernelINS0_14default_configENS1_25partition_config_selectorILNS1_17partition_subalgoE6EjNS0_10empty_typeEbEEZZNS1_14partition_implILS5_6ELb0ES3_mN6thrust23THRUST_200600_302600_NS6detail15normal_iteratorINSA_10device_ptrIjEEEEPS6_SG_NS0_5tupleIJSF_S6_EEENSH_IJSG_SG_EEES6_PlJNSB_9not_fun_tINSB_10functional5actorINSM_9compositeIJNSM_27transparent_binary_operatorINSA_8equal_toIvEEEENSN_INSM_8argumentILj0EEEEENSM_5valueIjEEEEEEEEEEEE10hipError_tPvRmT3_T4_T5_T6_T7_T9_mT8_P12ihipStream_tbDpT10_ENKUlT_T0_E_clISt17integral_constantIbLb1EES1J_IbLb0EEEEDaS1F_S1G_EUlS1F_E_NS1_11comp_targetILNS1_3genE8ELNS1_11target_archE1030ELNS1_3gpuE2ELNS1_3repE0EEENS1_30default_config_static_selectorELNS0_4arch9wavefront6targetE0EEEvT1_: ; @_ZN7rocprim17ROCPRIM_400000_NS6detail17trampoline_kernelINS0_14default_configENS1_25partition_config_selectorILNS1_17partition_subalgoE6EjNS0_10empty_typeEbEEZZNS1_14partition_implILS5_6ELb0ES3_mN6thrust23THRUST_200600_302600_NS6detail15normal_iteratorINSA_10device_ptrIjEEEEPS6_SG_NS0_5tupleIJSF_S6_EEENSH_IJSG_SG_EEES6_PlJNSB_9not_fun_tINSB_10functional5actorINSM_9compositeIJNSM_27transparent_binary_operatorINSA_8equal_toIvEEEENSN_INSM_8argumentILj0EEEEENSM_5valueIjEEEEEEEEEEEE10hipError_tPvRmT3_T4_T5_T6_T7_T9_mT8_P12ihipStream_tbDpT10_ENKUlT_T0_E_clISt17integral_constantIbLb1EES1J_IbLb0EEEEDaS1F_S1G_EUlS1F_E_NS1_11comp_targetILNS1_3genE8ELNS1_11target_archE1030ELNS1_3gpuE2ELNS1_3repE0EEENS1_30default_config_static_selectorELNS0_4arch9wavefront6targetE0EEEvT1_
; %bb.0:
	.section	.rodata,"a",@progbits
	.p2align	6, 0x0
	.amdhsa_kernel _ZN7rocprim17ROCPRIM_400000_NS6detail17trampoline_kernelINS0_14default_configENS1_25partition_config_selectorILNS1_17partition_subalgoE6EjNS0_10empty_typeEbEEZZNS1_14partition_implILS5_6ELb0ES3_mN6thrust23THRUST_200600_302600_NS6detail15normal_iteratorINSA_10device_ptrIjEEEEPS6_SG_NS0_5tupleIJSF_S6_EEENSH_IJSG_SG_EEES6_PlJNSB_9not_fun_tINSB_10functional5actorINSM_9compositeIJNSM_27transparent_binary_operatorINSA_8equal_toIvEEEENSN_INSM_8argumentILj0EEEEENSM_5valueIjEEEEEEEEEEEE10hipError_tPvRmT3_T4_T5_T6_T7_T9_mT8_P12ihipStream_tbDpT10_ENKUlT_T0_E_clISt17integral_constantIbLb1EES1J_IbLb0EEEEDaS1F_S1G_EUlS1F_E_NS1_11comp_targetILNS1_3genE8ELNS1_11target_archE1030ELNS1_3gpuE2ELNS1_3repE0EEENS1_30default_config_static_selectorELNS0_4arch9wavefront6targetE0EEEvT1_
		.amdhsa_group_segment_fixed_size 0
		.amdhsa_private_segment_fixed_size 0
		.amdhsa_kernarg_size 120
		.amdhsa_user_sgpr_count 2
		.amdhsa_user_sgpr_dispatch_ptr 0
		.amdhsa_user_sgpr_queue_ptr 0
		.amdhsa_user_sgpr_kernarg_segment_ptr 1
		.amdhsa_user_sgpr_dispatch_id 0
		.amdhsa_user_sgpr_private_segment_size 0
		.amdhsa_wavefront_size32 1
		.amdhsa_uses_dynamic_stack 0
		.amdhsa_enable_private_segment 0
		.amdhsa_system_sgpr_workgroup_id_x 1
		.amdhsa_system_sgpr_workgroup_id_y 0
		.amdhsa_system_sgpr_workgroup_id_z 0
		.amdhsa_system_sgpr_workgroup_info 0
		.amdhsa_system_vgpr_workitem_id 0
		.amdhsa_next_free_vgpr 1
		.amdhsa_next_free_sgpr 1
		.amdhsa_reserve_vcc 0
		.amdhsa_float_round_mode_32 0
		.amdhsa_float_round_mode_16_64 0
		.amdhsa_float_denorm_mode_32 3
		.amdhsa_float_denorm_mode_16_64 3
		.amdhsa_fp16_overflow 0
		.amdhsa_workgroup_processor_mode 1
		.amdhsa_memory_ordered 1
		.amdhsa_forward_progress 1
		.amdhsa_inst_pref_size 0
		.amdhsa_round_robin_scheduling 0
		.amdhsa_exception_fp_ieee_invalid_op 0
		.amdhsa_exception_fp_denorm_src 0
		.amdhsa_exception_fp_ieee_div_zero 0
		.amdhsa_exception_fp_ieee_overflow 0
		.amdhsa_exception_fp_ieee_underflow 0
		.amdhsa_exception_fp_ieee_inexact 0
		.amdhsa_exception_int_div_zero 0
	.end_amdhsa_kernel
	.section	.text._ZN7rocprim17ROCPRIM_400000_NS6detail17trampoline_kernelINS0_14default_configENS1_25partition_config_selectorILNS1_17partition_subalgoE6EjNS0_10empty_typeEbEEZZNS1_14partition_implILS5_6ELb0ES3_mN6thrust23THRUST_200600_302600_NS6detail15normal_iteratorINSA_10device_ptrIjEEEEPS6_SG_NS0_5tupleIJSF_S6_EEENSH_IJSG_SG_EEES6_PlJNSB_9not_fun_tINSB_10functional5actorINSM_9compositeIJNSM_27transparent_binary_operatorINSA_8equal_toIvEEEENSN_INSM_8argumentILj0EEEEENSM_5valueIjEEEEEEEEEEEE10hipError_tPvRmT3_T4_T5_T6_T7_T9_mT8_P12ihipStream_tbDpT10_ENKUlT_T0_E_clISt17integral_constantIbLb1EES1J_IbLb0EEEEDaS1F_S1G_EUlS1F_E_NS1_11comp_targetILNS1_3genE8ELNS1_11target_archE1030ELNS1_3gpuE2ELNS1_3repE0EEENS1_30default_config_static_selectorELNS0_4arch9wavefront6targetE0EEEvT1_,"axG",@progbits,_ZN7rocprim17ROCPRIM_400000_NS6detail17trampoline_kernelINS0_14default_configENS1_25partition_config_selectorILNS1_17partition_subalgoE6EjNS0_10empty_typeEbEEZZNS1_14partition_implILS5_6ELb0ES3_mN6thrust23THRUST_200600_302600_NS6detail15normal_iteratorINSA_10device_ptrIjEEEEPS6_SG_NS0_5tupleIJSF_S6_EEENSH_IJSG_SG_EEES6_PlJNSB_9not_fun_tINSB_10functional5actorINSM_9compositeIJNSM_27transparent_binary_operatorINSA_8equal_toIvEEEENSN_INSM_8argumentILj0EEEEENSM_5valueIjEEEEEEEEEEEE10hipError_tPvRmT3_T4_T5_T6_T7_T9_mT8_P12ihipStream_tbDpT10_ENKUlT_T0_E_clISt17integral_constantIbLb1EES1J_IbLb0EEEEDaS1F_S1G_EUlS1F_E_NS1_11comp_targetILNS1_3genE8ELNS1_11target_archE1030ELNS1_3gpuE2ELNS1_3repE0EEENS1_30default_config_static_selectorELNS0_4arch9wavefront6targetE0EEEvT1_,comdat
.Lfunc_end136:
	.size	_ZN7rocprim17ROCPRIM_400000_NS6detail17trampoline_kernelINS0_14default_configENS1_25partition_config_selectorILNS1_17partition_subalgoE6EjNS0_10empty_typeEbEEZZNS1_14partition_implILS5_6ELb0ES3_mN6thrust23THRUST_200600_302600_NS6detail15normal_iteratorINSA_10device_ptrIjEEEEPS6_SG_NS0_5tupleIJSF_S6_EEENSH_IJSG_SG_EEES6_PlJNSB_9not_fun_tINSB_10functional5actorINSM_9compositeIJNSM_27transparent_binary_operatorINSA_8equal_toIvEEEENSN_INSM_8argumentILj0EEEEENSM_5valueIjEEEEEEEEEEEE10hipError_tPvRmT3_T4_T5_T6_T7_T9_mT8_P12ihipStream_tbDpT10_ENKUlT_T0_E_clISt17integral_constantIbLb1EES1J_IbLb0EEEEDaS1F_S1G_EUlS1F_E_NS1_11comp_targetILNS1_3genE8ELNS1_11target_archE1030ELNS1_3gpuE2ELNS1_3repE0EEENS1_30default_config_static_selectorELNS0_4arch9wavefront6targetE0EEEvT1_, .Lfunc_end136-_ZN7rocprim17ROCPRIM_400000_NS6detail17trampoline_kernelINS0_14default_configENS1_25partition_config_selectorILNS1_17partition_subalgoE6EjNS0_10empty_typeEbEEZZNS1_14partition_implILS5_6ELb0ES3_mN6thrust23THRUST_200600_302600_NS6detail15normal_iteratorINSA_10device_ptrIjEEEEPS6_SG_NS0_5tupleIJSF_S6_EEENSH_IJSG_SG_EEES6_PlJNSB_9not_fun_tINSB_10functional5actorINSM_9compositeIJNSM_27transparent_binary_operatorINSA_8equal_toIvEEEENSN_INSM_8argumentILj0EEEEENSM_5valueIjEEEEEEEEEEEE10hipError_tPvRmT3_T4_T5_T6_T7_T9_mT8_P12ihipStream_tbDpT10_ENKUlT_T0_E_clISt17integral_constantIbLb1EES1J_IbLb0EEEEDaS1F_S1G_EUlS1F_E_NS1_11comp_targetILNS1_3genE8ELNS1_11target_archE1030ELNS1_3gpuE2ELNS1_3repE0EEENS1_30default_config_static_selectorELNS0_4arch9wavefront6targetE0EEEvT1_
                                        ; -- End function
	.set _ZN7rocprim17ROCPRIM_400000_NS6detail17trampoline_kernelINS0_14default_configENS1_25partition_config_selectorILNS1_17partition_subalgoE6EjNS0_10empty_typeEbEEZZNS1_14partition_implILS5_6ELb0ES3_mN6thrust23THRUST_200600_302600_NS6detail15normal_iteratorINSA_10device_ptrIjEEEEPS6_SG_NS0_5tupleIJSF_S6_EEENSH_IJSG_SG_EEES6_PlJNSB_9not_fun_tINSB_10functional5actorINSM_9compositeIJNSM_27transparent_binary_operatorINSA_8equal_toIvEEEENSN_INSM_8argumentILj0EEEEENSM_5valueIjEEEEEEEEEEEE10hipError_tPvRmT3_T4_T5_T6_T7_T9_mT8_P12ihipStream_tbDpT10_ENKUlT_T0_E_clISt17integral_constantIbLb1EES1J_IbLb0EEEEDaS1F_S1G_EUlS1F_E_NS1_11comp_targetILNS1_3genE8ELNS1_11target_archE1030ELNS1_3gpuE2ELNS1_3repE0EEENS1_30default_config_static_selectorELNS0_4arch9wavefront6targetE0EEEvT1_.num_vgpr, 0
	.set _ZN7rocprim17ROCPRIM_400000_NS6detail17trampoline_kernelINS0_14default_configENS1_25partition_config_selectorILNS1_17partition_subalgoE6EjNS0_10empty_typeEbEEZZNS1_14partition_implILS5_6ELb0ES3_mN6thrust23THRUST_200600_302600_NS6detail15normal_iteratorINSA_10device_ptrIjEEEEPS6_SG_NS0_5tupleIJSF_S6_EEENSH_IJSG_SG_EEES6_PlJNSB_9not_fun_tINSB_10functional5actorINSM_9compositeIJNSM_27transparent_binary_operatorINSA_8equal_toIvEEEENSN_INSM_8argumentILj0EEEEENSM_5valueIjEEEEEEEEEEEE10hipError_tPvRmT3_T4_T5_T6_T7_T9_mT8_P12ihipStream_tbDpT10_ENKUlT_T0_E_clISt17integral_constantIbLb1EES1J_IbLb0EEEEDaS1F_S1G_EUlS1F_E_NS1_11comp_targetILNS1_3genE8ELNS1_11target_archE1030ELNS1_3gpuE2ELNS1_3repE0EEENS1_30default_config_static_selectorELNS0_4arch9wavefront6targetE0EEEvT1_.num_agpr, 0
	.set _ZN7rocprim17ROCPRIM_400000_NS6detail17trampoline_kernelINS0_14default_configENS1_25partition_config_selectorILNS1_17partition_subalgoE6EjNS0_10empty_typeEbEEZZNS1_14partition_implILS5_6ELb0ES3_mN6thrust23THRUST_200600_302600_NS6detail15normal_iteratorINSA_10device_ptrIjEEEEPS6_SG_NS0_5tupleIJSF_S6_EEENSH_IJSG_SG_EEES6_PlJNSB_9not_fun_tINSB_10functional5actorINSM_9compositeIJNSM_27transparent_binary_operatorINSA_8equal_toIvEEEENSN_INSM_8argumentILj0EEEEENSM_5valueIjEEEEEEEEEEEE10hipError_tPvRmT3_T4_T5_T6_T7_T9_mT8_P12ihipStream_tbDpT10_ENKUlT_T0_E_clISt17integral_constantIbLb1EES1J_IbLb0EEEEDaS1F_S1G_EUlS1F_E_NS1_11comp_targetILNS1_3genE8ELNS1_11target_archE1030ELNS1_3gpuE2ELNS1_3repE0EEENS1_30default_config_static_selectorELNS0_4arch9wavefront6targetE0EEEvT1_.numbered_sgpr, 0
	.set _ZN7rocprim17ROCPRIM_400000_NS6detail17trampoline_kernelINS0_14default_configENS1_25partition_config_selectorILNS1_17partition_subalgoE6EjNS0_10empty_typeEbEEZZNS1_14partition_implILS5_6ELb0ES3_mN6thrust23THRUST_200600_302600_NS6detail15normal_iteratorINSA_10device_ptrIjEEEEPS6_SG_NS0_5tupleIJSF_S6_EEENSH_IJSG_SG_EEES6_PlJNSB_9not_fun_tINSB_10functional5actorINSM_9compositeIJNSM_27transparent_binary_operatorINSA_8equal_toIvEEEENSN_INSM_8argumentILj0EEEEENSM_5valueIjEEEEEEEEEEEE10hipError_tPvRmT3_T4_T5_T6_T7_T9_mT8_P12ihipStream_tbDpT10_ENKUlT_T0_E_clISt17integral_constantIbLb1EES1J_IbLb0EEEEDaS1F_S1G_EUlS1F_E_NS1_11comp_targetILNS1_3genE8ELNS1_11target_archE1030ELNS1_3gpuE2ELNS1_3repE0EEENS1_30default_config_static_selectorELNS0_4arch9wavefront6targetE0EEEvT1_.num_named_barrier, 0
	.set _ZN7rocprim17ROCPRIM_400000_NS6detail17trampoline_kernelINS0_14default_configENS1_25partition_config_selectorILNS1_17partition_subalgoE6EjNS0_10empty_typeEbEEZZNS1_14partition_implILS5_6ELb0ES3_mN6thrust23THRUST_200600_302600_NS6detail15normal_iteratorINSA_10device_ptrIjEEEEPS6_SG_NS0_5tupleIJSF_S6_EEENSH_IJSG_SG_EEES6_PlJNSB_9not_fun_tINSB_10functional5actorINSM_9compositeIJNSM_27transparent_binary_operatorINSA_8equal_toIvEEEENSN_INSM_8argumentILj0EEEEENSM_5valueIjEEEEEEEEEEEE10hipError_tPvRmT3_T4_T5_T6_T7_T9_mT8_P12ihipStream_tbDpT10_ENKUlT_T0_E_clISt17integral_constantIbLb1EES1J_IbLb0EEEEDaS1F_S1G_EUlS1F_E_NS1_11comp_targetILNS1_3genE8ELNS1_11target_archE1030ELNS1_3gpuE2ELNS1_3repE0EEENS1_30default_config_static_selectorELNS0_4arch9wavefront6targetE0EEEvT1_.private_seg_size, 0
	.set _ZN7rocprim17ROCPRIM_400000_NS6detail17trampoline_kernelINS0_14default_configENS1_25partition_config_selectorILNS1_17partition_subalgoE6EjNS0_10empty_typeEbEEZZNS1_14partition_implILS5_6ELb0ES3_mN6thrust23THRUST_200600_302600_NS6detail15normal_iteratorINSA_10device_ptrIjEEEEPS6_SG_NS0_5tupleIJSF_S6_EEENSH_IJSG_SG_EEES6_PlJNSB_9not_fun_tINSB_10functional5actorINSM_9compositeIJNSM_27transparent_binary_operatorINSA_8equal_toIvEEEENSN_INSM_8argumentILj0EEEEENSM_5valueIjEEEEEEEEEEEE10hipError_tPvRmT3_T4_T5_T6_T7_T9_mT8_P12ihipStream_tbDpT10_ENKUlT_T0_E_clISt17integral_constantIbLb1EES1J_IbLb0EEEEDaS1F_S1G_EUlS1F_E_NS1_11comp_targetILNS1_3genE8ELNS1_11target_archE1030ELNS1_3gpuE2ELNS1_3repE0EEENS1_30default_config_static_selectorELNS0_4arch9wavefront6targetE0EEEvT1_.uses_vcc, 0
	.set _ZN7rocprim17ROCPRIM_400000_NS6detail17trampoline_kernelINS0_14default_configENS1_25partition_config_selectorILNS1_17partition_subalgoE6EjNS0_10empty_typeEbEEZZNS1_14partition_implILS5_6ELb0ES3_mN6thrust23THRUST_200600_302600_NS6detail15normal_iteratorINSA_10device_ptrIjEEEEPS6_SG_NS0_5tupleIJSF_S6_EEENSH_IJSG_SG_EEES6_PlJNSB_9not_fun_tINSB_10functional5actorINSM_9compositeIJNSM_27transparent_binary_operatorINSA_8equal_toIvEEEENSN_INSM_8argumentILj0EEEEENSM_5valueIjEEEEEEEEEEEE10hipError_tPvRmT3_T4_T5_T6_T7_T9_mT8_P12ihipStream_tbDpT10_ENKUlT_T0_E_clISt17integral_constantIbLb1EES1J_IbLb0EEEEDaS1F_S1G_EUlS1F_E_NS1_11comp_targetILNS1_3genE8ELNS1_11target_archE1030ELNS1_3gpuE2ELNS1_3repE0EEENS1_30default_config_static_selectorELNS0_4arch9wavefront6targetE0EEEvT1_.uses_flat_scratch, 0
	.set _ZN7rocprim17ROCPRIM_400000_NS6detail17trampoline_kernelINS0_14default_configENS1_25partition_config_selectorILNS1_17partition_subalgoE6EjNS0_10empty_typeEbEEZZNS1_14partition_implILS5_6ELb0ES3_mN6thrust23THRUST_200600_302600_NS6detail15normal_iteratorINSA_10device_ptrIjEEEEPS6_SG_NS0_5tupleIJSF_S6_EEENSH_IJSG_SG_EEES6_PlJNSB_9not_fun_tINSB_10functional5actorINSM_9compositeIJNSM_27transparent_binary_operatorINSA_8equal_toIvEEEENSN_INSM_8argumentILj0EEEEENSM_5valueIjEEEEEEEEEEEE10hipError_tPvRmT3_T4_T5_T6_T7_T9_mT8_P12ihipStream_tbDpT10_ENKUlT_T0_E_clISt17integral_constantIbLb1EES1J_IbLb0EEEEDaS1F_S1G_EUlS1F_E_NS1_11comp_targetILNS1_3genE8ELNS1_11target_archE1030ELNS1_3gpuE2ELNS1_3repE0EEENS1_30default_config_static_selectorELNS0_4arch9wavefront6targetE0EEEvT1_.has_dyn_sized_stack, 0
	.set _ZN7rocprim17ROCPRIM_400000_NS6detail17trampoline_kernelINS0_14default_configENS1_25partition_config_selectorILNS1_17partition_subalgoE6EjNS0_10empty_typeEbEEZZNS1_14partition_implILS5_6ELb0ES3_mN6thrust23THRUST_200600_302600_NS6detail15normal_iteratorINSA_10device_ptrIjEEEEPS6_SG_NS0_5tupleIJSF_S6_EEENSH_IJSG_SG_EEES6_PlJNSB_9not_fun_tINSB_10functional5actorINSM_9compositeIJNSM_27transparent_binary_operatorINSA_8equal_toIvEEEENSN_INSM_8argumentILj0EEEEENSM_5valueIjEEEEEEEEEEEE10hipError_tPvRmT3_T4_T5_T6_T7_T9_mT8_P12ihipStream_tbDpT10_ENKUlT_T0_E_clISt17integral_constantIbLb1EES1J_IbLb0EEEEDaS1F_S1G_EUlS1F_E_NS1_11comp_targetILNS1_3genE8ELNS1_11target_archE1030ELNS1_3gpuE2ELNS1_3repE0EEENS1_30default_config_static_selectorELNS0_4arch9wavefront6targetE0EEEvT1_.has_recursion, 0
	.set _ZN7rocprim17ROCPRIM_400000_NS6detail17trampoline_kernelINS0_14default_configENS1_25partition_config_selectorILNS1_17partition_subalgoE6EjNS0_10empty_typeEbEEZZNS1_14partition_implILS5_6ELb0ES3_mN6thrust23THRUST_200600_302600_NS6detail15normal_iteratorINSA_10device_ptrIjEEEEPS6_SG_NS0_5tupleIJSF_S6_EEENSH_IJSG_SG_EEES6_PlJNSB_9not_fun_tINSB_10functional5actorINSM_9compositeIJNSM_27transparent_binary_operatorINSA_8equal_toIvEEEENSN_INSM_8argumentILj0EEEEENSM_5valueIjEEEEEEEEEEEE10hipError_tPvRmT3_T4_T5_T6_T7_T9_mT8_P12ihipStream_tbDpT10_ENKUlT_T0_E_clISt17integral_constantIbLb1EES1J_IbLb0EEEEDaS1F_S1G_EUlS1F_E_NS1_11comp_targetILNS1_3genE8ELNS1_11target_archE1030ELNS1_3gpuE2ELNS1_3repE0EEENS1_30default_config_static_selectorELNS0_4arch9wavefront6targetE0EEEvT1_.has_indirect_call, 0
	.section	.AMDGPU.csdata,"",@progbits
; Kernel info:
; codeLenInByte = 0
; TotalNumSgprs: 0
; NumVgprs: 0
; ScratchSize: 0
; MemoryBound: 0
; FloatMode: 240
; IeeeMode: 1
; LDSByteSize: 0 bytes/workgroup (compile time only)
; SGPRBlocks: 0
; VGPRBlocks: 0
; NumSGPRsForWavesPerEU: 1
; NumVGPRsForWavesPerEU: 1
; Occupancy: 16
; WaveLimiterHint : 0
; COMPUTE_PGM_RSRC2:SCRATCH_EN: 0
; COMPUTE_PGM_RSRC2:USER_SGPR: 2
; COMPUTE_PGM_RSRC2:TRAP_HANDLER: 0
; COMPUTE_PGM_RSRC2:TGID_X_EN: 1
; COMPUTE_PGM_RSRC2:TGID_Y_EN: 0
; COMPUTE_PGM_RSRC2:TGID_Z_EN: 0
; COMPUTE_PGM_RSRC2:TIDIG_COMP_CNT: 0
	.section	.text._ZN7rocprim17ROCPRIM_400000_NS6detail17trampoline_kernelINS0_14default_configENS1_25partition_config_selectorILNS1_17partition_subalgoE6EjNS0_10empty_typeEbEEZZNS1_14partition_implILS5_6ELb0ES3_mN6thrust23THRUST_200600_302600_NS6detail15normal_iteratorINSA_10device_ptrIjEEEEPS6_SG_NS0_5tupleIJSF_S6_EEENSH_IJSG_SG_EEES6_PlJNSB_9not_fun_tINSB_10functional5actorINSM_9compositeIJNSM_27transparent_binary_operatorINSA_8equal_toIvEEEENSN_INSM_8argumentILj0EEEEENSM_5valueIjEEEEEEEEEEEE10hipError_tPvRmT3_T4_T5_T6_T7_T9_mT8_P12ihipStream_tbDpT10_ENKUlT_T0_E_clISt17integral_constantIbLb0EES1J_IbLb1EEEEDaS1F_S1G_EUlS1F_E_NS1_11comp_targetILNS1_3genE0ELNS1_11target_archE4294967295ELNS1_3gpuE0ELNS1_3repE0EEENS1_30default_config_static_selectorELNS0_4arch9wavefront6targetE0EEEvT1_,"axG",@progbits,_ZN7rocprim17ROCPRIM_400000_NS6detail17trampoline_kernelINS0_14default_configENS1_25partition_config_selectorILNS1_17partition_subalgoE6EjNS0_10empty_typeEbEEZZNS1_14partition_implILS5_6ELb0ES3_mN6thrust23THRUST_200600_302600_NS6detail15normal_iteratorINSA_10device_ptrIjEEEEPS6_SG_NS0_5tupleIJSF_S6_EEENSH_IJSG_SG_EEES6_PlJNSB_9not_fun_tINSB_10functional5actorINSM_9compositeIJNSM_27transparent_binary_operatorINSA_8equal_toIvEEEENSN_INSM_8argumentILj0EEEEENSM_5valueIjEEEEEEEEEEEE10hipError_tPvRmT3_T4_T5_T6_T7_T9_mT8_P12ihipStream_tbDpT10_ENKUlT_T0_E_clISt17integral_constantIbLb0EES1J_IbLb1EEEEDaS1F_S1G_EUlS1F_E_NS1_11comp_targetILNS1_3genE0ELNS1_11target_archE4294967295ELNS1_3gpuE0ELNS1_3repE0EEENS1_30default_config_static_selectorELNS0_4arch9wavefront6targetE0EEEvT1_,comdat
	.protected	_ZN7rocprim17ROCPRIM_400000_NS6detail17trampoline_kernelINS0_14default_configENS1_25partition_config_selectorILNS1_17partition_subalgoE6EjNS0_10empty_typeEbEEZZNS1_14partition_implILS5_6ELb0ES3_mN6thrust23THRUST_200600_302600_NS6detail15normal_iteratorINSA_10device_ptrIjEEEEPS6_SG_NS0_5tupleIJSF_S6_EEENSH_IJSG_SG_EEES6_PlJNSB_9not_fun_tINSB_10functional5actorINSM_9compositeIJNSM_27transparent_binary_operatorINSA_8equal_toIvEEEENSN_INSM_8argumentILj0EEEEENSM_5valueIjEEEEEEEEEEEE10hipError_tPvRmT3_T4_T5_T6_T7_T9_mT8_P12ihipStream_tbDpT10_ENKUlT_T0_E_clISt17integral_constantIbLb0EES1J_IbLb1EEEEDaS1F_S1G_EUlS1F_E_NS1_11comp_targetILNS1_3genE0ELNS1_11target_archE4294967295ELNS1_3gpuE0ELNS1_3repE0EEENS1_30default_config_static_selectorELNS0_4arch9wavefront6targetE0EEEvT1_ ; -- Begin function _ZN7rocprim17ROCPRIM_400000_NS6detail17trampoline_kernelINS0_14default_configENS1_25partition_config_selectorILNS1_17partition_subalgoE6EjNS0_10empty_typeEbEEZZNS1_14partition_implILS5_6ELb0ES3_mN6thrust23THRUST_200600_302600_NS6detail15normal_iteratorINSA_10device_ptrIjEEEEPS6_SG_NS0_5tupleIJSF_S6_EEENSH_IJSG_SG_EEES6_PlJNSB_9not_fun_tINSB_10functional5actorINSM_9compositeIJNSM_27transparent_binary_operatorINSA_8equal_toIvEEEENSN_INSM_8argumentILj0EEEEENSM_5valueIjEEEEEEEEEEEE10hipError_tPvRmT3_T4_T5_T6_T7_T9_mT8_P12ihipStream_tbDpT10_ENKUlT_T0_E_clISt17integral_constantIbLb0EES1J_IbLb1EEEEDaS1F_S1G_EUlS1F_E_NS1_11comp_targetILNS1_3genE0ELNS1_11target_archE4294967295ELNS1_3gpuE0ELNS1_3repE0EEENS1_30default_config_static_selectorELNS0_4arch9wavefront6targetE0EEEvT1_
	.globl	_ZN7rocprim17ROCPRIM_400000_NS6detail17trampoline_kernelINS0_14default_configENS1_25partition_config_selectorILNS1_17partition_subalgoE6EjNS0_10empty_typeEbEEZZNS1_14partition_implILS5_6ELb0ES3_mN6thrust23THRUST_200600_302600_NS6detail15normal_iteratorINSA_10device_ptrIjEEEEPS6_SG_NS0_5tupleIJSF_S6_EEENSH_IJSG_SG_EEES6_PlJNSB_9not_fun_tINSB_10functional5actorINSM_9compositeIJNSM_27transparent_binary_operatorINSA_8equal_toIvEEEENSN_INSM_8argumentILj0EEEEENSM_5valueIjEEEEEEEEEEEE10hipError_tPvRmT3_T4_T5_T6_T7_T9_mT8_P12ihipStream_tbDpT10_ENKUlT_T0_E_clISt17integral_constantIbLb0EES1J_IbLb1EEEEDaS1F_S1G_EUlS1F_E_NS1_11comp_targetILNS1_3genE0ELNS1_11target_archE4294967295ELNS1_3gpuE0ELNS1_3repE0EEENS1_30default_config_static_selectorELNS0_4arch9wavefront6targetE0EEEvT1_
	.p2align	8
	.type	_ZN7rocprim17ROCPRIM_400000_NS6detail17trampoline_kernelINS0_14default_configENS1_25partition_config_selectorILNS1_17partition_subalgoE6EjNS0_10empty_typeEbEEZZNS1_14partition_implILS5_6ELb0ES3_mN6thrust23THRUST_200600_302600_NS6detail15normal_iteratorINSA_10device_ptrIjEEEEPS6_SG_NS0_5tupleIJSF_S6_EEENSH_IJSG_SG_EEES6_PlJNSB_9not_fun_tINSB_10functional5actorINSM_9compositeIJNSM_27transparent_binary_operatorINSA_8equal_toIvEEEENSN_INSM_8argumentILj0EEEEENSM_5valueIjEEEEEEEEEEEE10hipError_tPvRmT3_T4_T5_T6_T7_T9_mT8_P12ihipStream_tbDpT10_ENKUlT_T0_E_clISt17integral_constantIbLb0EES1J_IbLb1EEEEDaS1F_S1G_EUlS1F_E_NS1_11comp_targetILNS1_3genE0ELNS1_11target_archE4294967295ELNS1_3gpuE0ELNS1_3repE0EEENS1_30default_config_static_selectorELNS0_4arch9wavefront6targetE0EEEvT1_,@function
_ZN7rocprim17ROCPRIM_400000_NS6detail17trampoline_kernelINS0_14default_configENS1_25partition_config_selectorILNS1_17partition_subalgoE6EjNS0_10empty_typeEbEEZZNS1_14partition_implILS5_6ELb0ES3_mN6thrust23THRUST_200600_302600_NS6detail15normal_iteratorINSA_10device_ptrIjEEEEPS6_SG_NS0_5tupleIJSF_S6_EEENSH_IJSG_SG_EEES6_PlJNSB_9not_fun_tINSB_10functional5actorINSM_9compositeIJNSM_27transparent_binary_operatorINSA_8equal_toIvEEEENSN_INSM_8argumentILj0EEEEENSM_5valueIjEEEEEEEEEEEE10hipError_tPvRmT3_T4_T5_T6_T7_T9_mT8_P12ihipStream_tbDpT10_ENKUlT_T0_E_clISt17integral_constantIbLb0EES1J_IbLb1EEEEDaS1F_S1G_EUlS1F_E_NS1_11comp_targetILNS1_3genE0ELNS1_11target_archE4294967295ELNS1_3gpuE0ELNS1_3repE0EEENS1_30default_config_static_selectorELNS0_4arch9wavefront6targetE0EEEvT1_: ; @_ZN7rocprim17ROCPRIM_400000_NS6detail17trampoline_kernelINS0_14default_configENS1_25partition_config_selectorILNS1_17partition_subalgoE6EjNS0_10empty_typeEbEEZZNS1_14partition_implILS5_6ELb0ES3_mN6thrust23THRUST_200600_302600_NS6detail15normal_iteratorINSA_10device_ptrIjEEEEPS6_SG_NS0_5tupleIJSF_S6_EEENSH_IJSG_SG_EEES6_PlJNSB_9not_fun_tINSB_10functional5actorINSM_9compositeIJNSM_27transparent_binary_operatorINSA_8equal_toIvEEEENSN_INSM_8argumentILj0EEEEENSM_5valueIjEEEEEEEEEEEE10hipError_tPvRmT3_T4_T5_T6_T7_T9_mT8_P12ihipStream_tbDpT10_ENKUlT_T0_E_clISt17integral_constantIbLb0EES1J_IbLb1EEEEDaS1F_S1G_EUlS1F_E_NS1_11comp_targetILNS1_3genE0ELNS1_11target_archE4294967295ELNS1_3gpuE0ELNS1_3repE0EEENS1_30default_config_static_selectorELNS0_4arch9wavefront6targetE0EEEvT1_
; %bb.0:
	.section	.rodata,"a",@progbits
	.p2align	6, 0x0
	.amdhsa_kernel _ZN7rocprim17ROCPRIM_400000_NS6detail17trampoline_kernelINS0_14default_configENS1_25partition_config_selectorILNS1_17partition_subalgoE6EjNS0_10empty_typeEbEEZZNS1_14partition_implILS5_6ELb0ES3_mN6thrust23THRUST_200600_302600_NS6detail15normal_iteratorINSA_10device_ptrIjEEEEPS6_SG_NS0_5tupleIJSF_S6_EEENSH_IJSG_SG_EEES6_PlJNSB_9not_fun_tINSB_10functional5actorINSM_9compositeIJNSM_27transparent_binary_operatorINSA_8equal_toIvEEEENSN_INSM_8argumentILj0EEEEENSM_5valueIjEEEEEEEEEEEE10hipError_tPvRmT3_T4_T5_T6_T7_T9_mT8_P12ihipStream_tbDpT10_ENKUlT_T0_E_clISt17integral_constantIbLb0EES1J_IbLb1EEEEDaS1F_S1G_EUlS1F_E_NS1_11comp_targetILNS1_3genE0ELNS1_11target_archE4294967295ELNS1_3gpuE0ELNS1_3repE0EEENS1_30default_config_static_selectorELNS0_4arch9wavefront6targetE0EEEvT1_
		.amdhsa_group_segment_fixed_size 0
		.amdhsa_private_segment_fixed_size 0
		.amdhsa_kernarg_size 128
		.amdhsa_user_sgpr_count 2
		.amdhsa_user_sgpr_dispatch_ptr 0
		.amdhsa_user_sgpr_queue_ptr 0
		.amdhsa_user_sgpr_kernarg_segment_ptr 1
		.amdhsa_user_sgpr_dispatch_id 0
		.amdhsa_user_sgpr_private_segment_size 0
		.amdhsa_wavefront_size32 1
		.amdhsa_uses_dynamic_stack 0
		.amdhsa_enable_private_segment 0
		.amdhsa_system_sgpr_workgroup_id_x 1
		.amdhsa_system_sgpr_workgroup_id_y 0
		.amdhsa_system_sgpr_workgroup_id_z 0
		.amdhsa_system_sgpr_workgroup_info 0
		.amdhsa_system_vgpr_workitem_id 0
		.amdhsa_next_free_vgpr 1
		.amdhsa_next_free_sgpr 1
		.amdhsa_reserve_vcc 0
		.amdhsa_float_round_mode_32 0
		.amdhsa_float_round_mode_16_64 0
		.amdhsa_float_denorm_mode_32 3
		.amdhsa_float_denorm_mode_16_64 3
		.amdhsa_fp16_overflow 0
		.amdhsa_workgroup_processor_mode 1
		.amdhsa_memory_ordered 1
		.amdhsa_forward_progress 1
		.amdhsa_inst_pref_size 0
		.amdhsa_round_robin_scheduling 0
		.amdhsa_exception_fp_ieee_invalid_op 0
		.amdhsa_exception_fp_denorm_src 0
		.amdhsa_exception_fp_ieee_div_zero 0
		.amdhsa_exception_fp_ieee_overflow 0
		.amdhsa_exception_fp_ieee_underflow 0
		.amdhsa_exception_fp_ieee_inexact 0
		.amdhsa_exception_int_div_zero 0
	.end_amdhsa_kernel
	.section	.text._ZN7rocprim17ROCPRIM_400000_NS6detail17trampoline_kernelINS0_14default_configENS1_25partition_config_selectorILNS1_17partition_subalgoE6EjNS0_10empty_typeEbEEZZNS1_14partition_implILS5_6ELb0ES3_mN6thrust23THRUST_200600_302600_NS6detail15normal_iteratorINSA_10device_ptrIjEEEEPS6_SG_NS0_5tupleIJSF_S6_EEENSH_IJSG_SG_EEES6_PlJNSB_9not_fun_tINSB_10functional5actorINSM_9compositeIJNSM_27transparent_binary_operatorINSA_8equal_toIvEEEENSN_INSM_8argumentILj0EEEEENSM_5valueIjEEEEEEEEEEEE10hipError_tPvRmT3_T4_T5_T6_T7_T9_mT8_P12ihipStream_tbDpT10_ENKUlT_T0_E_clISt17integral_constantIbLb0EES1J_IbLb1EEEEDaS1F_S1G_EUlS1F_E_NS1_11comp_targetILNS1_3genE0ELNS1_11target_archE4294967295ELNS1_3gpuE0ELNS1_3repE0EEENS1_30default_config_static_selectorELNS0_4arch9wavefront6targetE0EEEvT1_,"axG",@progbits,_ZN7rocprim17ROCPRIM_400000_NS6detail17trampoline_kernelINS0_14default_configENS1_25partition_config_selectorILNS1_17partition_subalgoE6EjNS0_10empty_typeEbEEZZNS1_14partition_implILS5_6ELb0ES3_mN6thrust23THRUST_200600_302600_NS6detail15normal_iteratorINSA_10device_ptrIjEEEEPS6_SG_NS0_5tupleIJSF_S6_EEENSH_IJSG_SG_EEES6_PlJNSB_9not_fun_tINSB_10functional5actorINSM_9compositeIJNSM_27transparent_binary_operatorINSA_8equal_toIvEEEENSN_INSM_8argumentILj0EEEEENSM_5valueIjEEEEEEEEEEEE10hipError_tPvRmT3_T4_T5_T6_T7_T9_mT8_P12ihipStream_tbDpT10_ENKUlT_T0_E_clISt17integral_constantIbLb0EES1J_IbLb1EEEEDaS1F_S1G_EUlS1F_E_NS1_11comp_targetILNS1_3genE0ELNS1_11target_archE4294967295ELNS1_3gpuE0ELNS1_3repE0EEENS1_30default_config_static_selectorELNS0_4arch9wavefront6targetE0EEEvT1_,comdat
.Lfunc_end137:
	.size	_ZN7rocprim17ROCPRIM_400000_NS6detail17trampoline_kernelINS0_14default_configENS1_25partition_config_selectorILNS1_17partition_subalgoE6EjNS0_10empty_typeEbEEZZNS1_14partition_implILS5_6ELb0ES3_mN6thrust23THRUST_200600_302600_NS6detail15normal_iteratorINSA_10device_ptrIjEEEEPS6_SG_NS0_5tupleIJSF_S6_EEENSH_IJSG_SG_EEES6_PlJNSB_9not_fun_tINSB_10functional5actorINSM_9compositeIJNSM_27transparent_binary_operatorINSA_8equal_toIvEEEENSN_INSM_8argumentILj0EEEEENSM_5valueIjEEEEEEEEEEEE10hipError_tPvRmT3_T4_T5_T6_T7_T9_mT8_P12ihipStream_tbDpT10_ENKUlT_T0_E_clISt17integral_constantIbLb0EES1J_IbLb1EEEEDaS1F_S1G_EUlS1F_E_NS1_11comp_targetILNS1_3genE0ELNS1_11target_archE4294967295ELNS1_3gpuE0ELNS1_3repE0EEENS1_30default_config_static_selectorELNS0_4arch9wavefront6targetE0EEEvT1_, .Lfunc_end137-_ZN7rocprim17ROCPRIM_400000_NS6detail17trampoline_kernelINS0_14default_configENS1_25partition_config_selectorILNS1_17partition_subalgoE6EjNS0_10empty_typeEbEEZZNS1_14partition_implILS5_6ELb0ES3_mN6thrust23THRUST_200600_302600_NS6detail15normal_iteratorINSA_10device_ptrIjEEEEPS6_SG_NS0_5tupleIJSF_S6_EEENSH_IJSG_SG_EEES6_PlJNSB_9not_fun_tINSB_10functional5actorINSM_9compositeIJNSM_27transparent_binary_operatorINSA_8equal_toIvEEEENSN_INSM_8argumentILj0EEEEENSM_5valueIjEEEEEEEEEEEE10hipError_tPvRmT3_T4_T5_T6_T7_T9_mT8_P12ihipStream_tbDpT10_ENKUlT_T0_E_clISt17integral_constantIbLb0EES1J_IbLb1EEEEDaS1F_S1G_EUlS1F_E_NS1_11comp_targetILNS1_3genE0ELNS1_11target_archE4294967295ELNS1_3gpuE0ELNS1_3repE0EEENS1_30default_config_static_selectorELNS0_4arch9wavefront6targetE0EEEvT1_
                                        ; -- End function
	.set _ZN7rocprim17ROCPRIM_400000_NS6detail17trampoline_kernelINS0_14default_configENS1_25partition_config_selectorILNS1_17partition_subalgoE6EjNS0_10empty_typeEbEEZZNS1_14partition_implILS5_6ELb0ES3_mN6thrust23THRUST_200600_302600_NS6detail15normal_iteratorINSA_10device_ptrIjEEEEPS6_SG_NS0_5tupleIJSF_S6_EEENSH_IJSG_SG_EEES6_PlJNSB_9not_fun_tINSB_10functional5actorINSM_9compositeIJNSM_27transparent_binary_operatorINSA_8equal_toIvEEEENSN_INSM_8argumentILj0EEEEENSM_5valueIjEEEEEEEEEEEE10hipError_tPvRmT3_T4_T5_T6_T7_T9_mT8_P12ihipStream_tbDpT10_ENKUlT_T0_E_clISt17integral_constantIbLb0EES1J_IbLb1EEEEDaS1F_S1G_EUlS1F_E_NS1_11comp_targetILNS1_3genE0ELNS1_11target_archE4294967295ELNS1_3gpuE0ELNS1_3repE0EEENS1_30default_config_static_selectorELNS0_4arch9wavefront6targetE0EEEvT1_.num_vgpr, 0
	.set _ZN7rocprim17ROCPRIM_400000_NS6detail17trampoline_kernelINS0_14default_configENS1_25partition_config_selectorILNS1_17partition_subalgoE6EjNS0_10empty_typeEbEEZZNS1_14partition_implILS5_6ELb0ES3_mN6thrust23THRUST_200600_302600_NS6detail15normal_iteratorINSA_10device_ptrIjEEEEPS6_SG_NS0_5tupleIJSF_S6_EEENSH_IJSG_SG_EEES6_PlJNSB_9not_fun_tINSB_10functional5actorINSM_9compositeIJNSM_27transparent_binary_operatorINSA_8equal_toIvEEEENSN_INSM_8argumentILj0EEEEENSM_5valueIjEEEEEEEEEEEE10hipError_tPvRmT3_T4_T5_T6_T7_T9_mT8_P12ihipStream_tbDpT10_ENKUlT_T0_E_clISt17integral_constantIbLb0EES1J_IbLb1EEEEDaS1F_S1G_EUlS1F_E_NS1_11comp_targetILNS1_3genE0ELNS1_11target_archE4294967295ELNS1_3gpuE0ELNS1_3repE0EEENS1_30default_config_static_selectorELNS0_4arch9wavefront6targetE0EEEvT1_.num_agpr, 0
	.set _ZN7rocprim17ROCPRIM_400000_NS6detail17trampoline_kernelINS0_14default_configENS1_25partition_config_selectorILNS1_17partition_subalgoE6EjNS0_10empty_typeEbEEZZNS1_14partition_implILS5_6ELb0ES3_mN6thrust23THRUST_200600_302600_NS6detail15normal_iteratorINSA_10device_ptrIjEEEEPS6_SG_NS0_5tupleIJSF_S6_EEENSH_IJSG_SG_EEES6_PlJNSB_9not_fun_tINSB_10functional5actorINSM_9compositeIJNSM_27transparent_binary_operatorINSA_8equal_toIvEEEENSN_INSM_8argumentILj0EEEEENSM_5valueIjEEEEEEEEEEEE10hipError_tPvRmT3_T4_T5_T6_T7_T9_mT8_P12ihipStream_tbDpT10_ENKUlT_T0_E_clISt17integral_constantIbLb0EES1J_IbLb1EEEEDaS1F_S1G_EUlS1F_E_NS1_11comp_targetILNS1_3genE0ELNS1_11target_archE4294967295ELNS1_3gpuE0ELNS1_3repE0EEENS1_30default_config_static_selectorELNS0_4arch9wavefront6targetE0EEEvT1_.numbered_sgpr, 0
	.set _ZN7rocprim17ROCPRIM_400000_NS6detail17trampoline_kernelINS0_14default_configENS1_25partition_config_selectorILNS1_17partition_subalgoE6EjNS0_10empty_typeEbEEZZNS1_14partition_implILS5_6ELb0ES3_mN6thrust23THRUST_200600_302600_NS6detail15normal_iteratorINSA_10device_ptrIjEEEEPS6_SG_NS0_5tupleIJSF_S6_EEENSH_IJSG_SG_EEES6_PlJNSB_9not_fun_tINSB_10functional5actorINSM_9compositeIJNSM_27transparent_binary_operatorINSA_8equal_toIvEEEENSN_INSM_8argumentILj0EEEEENSM_5valueIjEEEEEEEEEEEE10hipError_tPvRmT3_T4_T5_T6_T7_T9_mT8_P12ihipStream_tbDpT10_ENKUlT_T0_E_clISt17integral_constantIbLb0EES1J_IbLb1EEEEDaS1F_S1G_EUlS1F_E_NS1_11comp_targetILNS1_3genE0ELNS1_11target_archE4294967295ELNS1_3gpuE0ELNS1_3repE0EEENS1_30default_config_static_selectorELNS0_4arch9wavefront6targetE0EEEvT1_.num_named_barrier, 0
	.set _ZN7rocprim17ROCPRIM_400000_NS6detail17trampoline_kernelINS0_14default_configENS1_25partition_config_selectorILNS1_17partition_subalgoE6EjNS0_10empty_typeEbEEZZNS1_14partition_implILS5_6ELb0ES3_mN6thrust23THRUST_200600_302600_NS6detail15normal_iteratorINSA_10device_ptrIjEEEEPS6_SG_NS0_5tupleIJSF_S6_EEENSH_IJSG_SG_EEES6_PlJNSB_9not_fun_tINSB_10functional5actorINSM_9compositeIJNSM_27transparent_binary_operatorINSA_8equal_toIvEEEENSN_INSM_8argumentILj0EEEEENSM_5valueIjEEEEEEEEEEEE10hipError_tPvRmT3_T4_T5_T6_T7_T9_mT8_P12ihipStream_tbDpT10_ENKUlT_T0_E_clISt17integral_constantIbLb0EES1J_IbLb1EEEEDaS1F_S1G_EUlS1F_E_NS1_11comp_targetILNS1_3genE0ELNS1_11target_archE4294967295ELNS1_3gpuE0ELNS1_3repE0EEENS1_30default_config_static_selectorELNS0_4arch9wavefront6targetE0EEEvT1_.private_seg_size, 0
	.set _ZN7rocprim17ROCPRIM_400000_NS6detail17trampoline_kernelINS0_14default_configENS1_25partition_config_selectorILNS1_17partition_subalgoE6EjNS0_10empty_typeEbEEZZNS1_14partition_implILS5_6ELb0ES3_mN6thrust23THRUST_200600_302600_NS6detail15normal_iteratorINSA_10device_ptrIjEEEEPS6_SG_NS0_5tupleIJSF_S6_EEENSH_IJSG_SG_EEES6_PlJNSB_9not_fun_tINSB_10functional5actorINSM_9compositeIJNSM_27transparent_binary_operatorINSA_8equal_toIvEEEENSN_INSM_8argumentILj0EEEEENSM_5valueIjEEEEEEEEEEEE10hipError_tPvRmT3_T4_T5_T6_T7_T9_mT8_P12ihipStream_tbDpT10_ENKUlT_T0_E_clISt17integral_constantIbLb0EES1J_IbLb1EEEEDaS1F_S1G_EUlS1F_E_NS1_11comp_targetILNS1_3genE0ELNS1_11target_archE4294967295ELNS1_3gpuE0ELNS1_3repE0EEENS1_30default_config_static_selectorELNS0_4arch9wavefront6targetE0EEEvT1_.uses_vcc, 0
	.set _ZN7rocprim17ROCPRIM_400000_NS6detail17trampoline_kernelINS0_14default_configENS1_25partition_config_selectorILNS1_17partition_subalgoE6EjNS0_10empty_typeEbEEZZNS1_14partition_implILS5_6ELb0ES3_mN6thrust23THRUST_200600_302600_NS6detail15normal_iteratorINSA_10device_ptrIjEEEEPS6_SG_NS0_5tupleIJSF_S6_EEENSH_IJSG_SG_EEES6_PlJNSB_9not_fun_tINSB_10functional5actorINSM_9compositeIJNSM_27transparent_binary_operatorINSA_8equal_toIvEEEENSN_INSM_8argumentILj0EEEEENSM_5valueIjEEEEEEEEEEEE10hipError_tPvRmT3_T4_T5_T6_T7_T9_mT8_P12ihipStream_tbDpT10_ENKUlT_T0_E_clISt17integral_constantIbLb0EES1J_IbLb1EEEEDaS1F_S1G_EUlS1F_E_NS1_11comp_targetILNS1_3genE0ELNS1_11target_archE4294967295ELNS1_3gpuE0ELNS1_3repE0EEENS1_30default_config_static_selectorELNS0_4arch9wavefront6targetE0EEEvT1_.uses_flat_scratch, 0
	.set _ZN7rocprim17ROCPRIM_400000_NS6detail17trampoline_kernelINS0_14default_configENS1_25partition_config_selectorILNS1_17partition_subalgoE6EjNS0_10empty_typeEbEEZZNS1_14partition_implILS5_6ELb0ES3_mN6thrust23THRUST_200600_302600_NS6detail15normal_iteratorINSA_10device_ptrIjEEEEPS6_SG_NS0_5tupleIJSF_S6_EEENSH_IJSG_SG_EEES6_PlJNSB_9not_fun_tINSB_10functional5actorINSM_9compositeIJNSM_27transparent_binary_operatorINSA_8equal_toIvEEEENSN_INSM_8argumentILj0EEEEENSM_5valueIjEEEEEEEEEEEE10hipError_tPvRmT3_T4_T5_T6_T7_T9_mT8_P12ihipStream_tbDpT10_ENKUlT_T0_E_clISt17integral_constantIbLb0EES1J_IbLb1EEEEDaS1F_S1G_EUlS1F_E_NS1_11comp_targetILNS1_3genE0ELNS1_11target_archE4294967295ELNS1_3gpuE0ELNS1_3repE0EEENS1_30default_config_static_selectorELNS0_4arch9wavefront6targetE0EEEvT1_.has_dyn_sized_stack, 0
	.set _ZN7rocprim17ROCPRIM_400000_NS6detail17trampoline_kernelINS0_14default_configENS1_25partition_config_selectorILNS1_17partition_subalgoE6EjNS0_10empty_typeEbEEZZNS1_14partition_implILS5_6ELb0ES3_mN6thrust23THRUST_200600_302600_NS6detail15normal_iteratorINSA_10device_ptrIjEEEEPS6_SG_NS0_5tupleIJSF_S6_EEENSH_IJSG_SG_EEES6_PlJNSB_9not_fun_tINSB_10functional5actorINSM_9compositeIJNSM_27transparent_binary_operatorINSA_8equal_toIvEEEENSN_INSM_8argumentILj0EEEEENSM_5valueIjEEEEEEEEEEEE10hipError_tPvRmT3_T4_T5_T6_T7_T9_mT8_P12ihipStream_tbDpT10_ENKUlT_T0_E_clISt17integral_constantIbLb0EES1J_IbLb1EEEEDaS1F_S1G_EUlS1F_E_NS1_11comp_targetILNS1_3genE0ELNS1_11target_archE4294967295ELNS1_3gpuE0ELNS1_3repE0EEENS1_30default_config_static_selectorELNS0_4arch9wavefront6targetE0EEEvT1_.has_recursion, 0
	.set _ZN7rocprim17ROCPRIM_400000_NS6detail17trampoline_kernelINS0_14default_configENS1_25partition_config_selectorILNS1_17partition_subalgoE6EjNS0_10empty_typeEbEEZZNS1_14partition_implILS5_6ELb0ES3_mN6thrust23THRUST_200600_302600_NS6detail15normal_iteratorINSA_10device_ptrIjEEEEPS6_SG_NS0_5tupleIJSF_S6_EEENSH_IJSG_SG_EEES6_PlJNSB_9not_fun_tINSB_10functional5actorINSM_9compositeIJNSM_27transparent_binary_operatorINSA_8equal_toIvEEEENSN_INSM_8argumentILj0EEEEENSM_5valueIjEEEEEEEEEEEE10hipError_tPvRmT3_T4_T5_T6_T7_T9_mT8_P12ihipStream_tbDpT10_ENKUlT_T0_E_clISt17integral_constantIbLb0EES1J_IbLb1EEEEDaS1F_S1G_EUlS1F_E_NS1_11comp_targetILNS1_3genE0ELNS1_11target_archE4294967295ELNS1_3gpuE0ELNS1_3repE0EEENS1_30default_config_static_selectorELNS0_4arch9wavefront6targetE0EEEvT1_.has_indirect_call, 0
	.section	.AMDGPU.csdata,"",@progbits
; Kernel info:
; codeLenInByte = 0
; TotalNumSgprs: 0
; NumVgprs: 0
; ScratchSize: 0
; MemoryBound: 0
; FloatMode: 240
; IeeeMode: 1
; LDSByteSize: 0 bytes/workgroup (compile time only)
; SGPRBlocks: 0
; VGPRBlocks: 0
; NumSGPRsForWavesPerEU: 1
; NumVGPRsForWavesPerEU: 1
; Occupancy: 16
; WaveLimiterHint : 0
; COMPUTE_PGM_RSRC2:SCRATCH_EN: 0
; COMPUTE_PGM_RSRC2:USER_SGPR: 2
; COMPUTE_PGM_RSRC2:TRAP_HANDLER: 0
; COMPUTE_PGM_RSRC2:TGID_X_EN: 1
; COMPUTE_PGM_RSRC2:TGID_Y_EN: 0
; COMPUTE_PGM_RSRC2:TGID_Z_EN: 0
; COMPUTE_PGM_RSRC2:TIDIG_COMP_CNT: 0
	.section	.text._ZN7rocprim17ROCPRIM_400000_NS6detail17trampoline_kernelINS0_14default_configENS1_25partition_config_selectorILNS1_17partition_subalgoE6EjNS0_10empty_typeEbEEZZNS1_14partition_implILS5_6ELb0ES3_mN6thrust23THRUST_200600_302600_NS6detail15normal_iteratorINSA_10device_ptrIjEEEEPS6_SG_NS0_5tupleIJSF_S6_EEENSH_IJSG_SG_EEES6_PlJNSB_9not_fun_tINSB_10functional5actorINSM_9compositeIJNSM_27transparent_binary_operatorINSA_8equal_toIvEEEENSN_INSM_8argumentILj0EEEEENSM_5valueIjEEEEEEEEEEEE10hipError_tPvRmT3_T4_T5_T6_T7_T9_mT8_P12ihipStream_tbDpT10_ENKUlT_T0_E_clISt17integral_constantIbLb0EES1J_IbLb1EEEEDaS1F_S1G_EUlS1F_E_NS1_11comp_targetILNS1_3genE5ELNS1_11target_archE942ELNS1_3gpuE9ELNS1_3repE0EEENS1_30default_config_static_selectorELNS0_4arch9wavefront6targetE0EEEvT1_,"axG",@progbits,_ZN7rocprim17ROCPRIM_400000_NS6detail17trampoline_kernelINS0_14default_configENS1_25partition_config_selectorILNS1_17partition_subalgoE6EjNS0_10empty_typeEbEEZZNS1_14partition_implILS5_6ELb0ES3_mN6thrust23THRUST_200600_302600_NS6detail15normal_iteratorINSA_10device_ptrIjEEEEPS6_SG_NS0_5tupleIJSF_S6_EEENSH_IJSG_SG_EEES6_PlJNSB_9not_fun_tINSB_10functional5actorINSM_9compositeIJNSM_27transparent_binary_operatorINSA_8equal_toIvEEEENSN_INSM_8argumentILj0EEEEENSM_5valueIjEEEEEEEEEEEE10hipError_tPvRmT3_T4_T5_T6_T7_T9_mT8_P12ihipStream_tbDpT10_ENKUlT_T0_E_clISt17integral_constantIbLb0EES1J_IbLb1EEEEDaS1F_S1G_EUlS1F_E_NS1_11comp_targetILNS1_3genE5ELNS1_11target_archE942ELNS1_3gpuE9ELNS1_3repE0EEENS1_30default_config_static_selectorELNS0_4arch9wavefront6targetE0EEEvT1_,comdat
	.protected	_ZN7rocprim17ROCPRIM_400000_NS6detail17trampoline_kernelINS0_14default_configENS1_25partition_config_selectorILNS1_17partition_subalgoE6EjNS0_10empty_typeEbEEZZNS1_14partition_implILS5_6ELb0ES3_mN6thrust23THRUST_200600_302600_NS6detail15normal_iteratorINSA_10device_ptrIjEEEEPS6_SG_NS0_5tupleIJSF_S6_EEENSH_IJSG_SG_EEES6_PlJNSB_9not_fun_tINSB_10functional5actorINSM_9compositeIJNSM_27transparent_binary_operatorINSA_8equal_toIvEEEENSN_INSM_8argumentILj0EEEEENSM_5valueIjEEEEEEEEEEEE10hipError_tPvRmT3_T4_T5_T6_T7_T9_mT8_P12ihipStream_tbDpT10_ENKUlT_T0_E_clISt17integral_constantIbLb0EES1J_IbLb1EEEEDaS1F_S1G_EUlS1F_E_NS1_11comp_targetILNS1_3genE5ELNS1_11target_archE942ELNS1_3gpuE9ELNS1_3repE0EEENS1_30default_config_static_selectorELNS0_4arch9wavefront6targetE0EEEvT1_ ; -- Begin function _ZN7rocprim17ROCPRIM_400000_NS6detail17trampoline_kernelINS0_14default_configENS1_25partition_config_selectorILNS1_17partition_subalgoE6EjNS0_10empty_typeEbEEZZNS1_14partition_implILS5_6ELb0ES3_mN6thrust23THRUST_200600_302600_NS6detail15normal_iteratorINSA_10device_ptrIjEEEEPS6_SG_NS0_5tupleIJSF_S6_EEENSH_IJSG_SG_EEES6_PlJNSB_9not_fun_tINSB_10functional5actorINSM_9compositeIJNSM_27transparent_binary_operatorINSA_8equal_toIvEEEENSN_INSM_8argumentILj0EEEEENSM_5valueIjEEEEEEEEEEEE10hipError_tPvRmT3_T4_T5_T6_T7_T9_mT8_P12ihipStream_tbDpT10_ENKUlT_T0_E_clISt17integral_constantIbLb0EES1J_IbLb1EEEEDaS1F_S1G_EUlS1F_E_NS1_11comp_targetILNS1_3genE5ELNS1_11target_archE942ELNS1_3gpuE9ELNS1_3repE0EEENS1_30default_config_static_selectorELNS0_4arch9wavefront6targetE0EEEvT1_
	.globl	_ZN7rocprim17ROCPRIM_400000_NS6detail17trampoline_kernelINS0_14default_configENS1_25partition_config_selectorILNS1_17partition_subalgoE6EjNS0_10empty_typeEbEEZZNS1_14partition_implILS5_6ELb0ES3_mN6thrust23THRUST_200600_302600_NS6detail15normal_iteratorINSA_10device_ptrIjEEEEPS6_SG_NS0_5tupleIJSF_S6_EEENSH_IJSG_SG_EEES6_PlJNSB_9not_fun_tINSB_10functional5actorINSM_9compositeIJNSM_27transparent_binary_operatorINSA_8equal_toIvEEEENSN_INSM_8argumentILj0EEEEENSM_5valueIjEEEEEEEEEEEE10hipError_tPvRmT3_T4_T5_T6_T7_T9_mT8_P12ihipStream_tbDpT10_ENKUlT_T0_E_clISt17integral_constantIbLb0EES1J_IbLb1EEEEDaS1F_S1G_EUlS1F_E_NS1_11comp_targetILNS1_3genE5ELNS1_11target_archE942ELNS1_3gpuE9ELNS1_3repE0EEENS1_30default_config_static_selectorELNS0_4arch9wavefront6targetE0EEEvT1_
	.p2align	8
	.type	_ZN7rocprim17ROCPRIM_400000_NS6detail17trampoline_kernelINS0_14default_configENS1_25partition_config_selectorILNS1_17partition_subalgoE6EjNS0_10empty_typeEbEEZZNS1_14partition_implILS5_6ELb0ES3_mN6thrust23THRUST_200600_302600_NS6detail15normal_iteratorINSA_10device_ptrIjEEEEPS6_SG_NS0_5tupleIJSF_S6_EEENSH_IJSG_SG_EEES6_PlJNSB_9not_fun_tINSB_10functional5actorINSM_9compositeIJNSM_27transparent_binary_operatorINSA_8equal_toIvEEEENSN_INSM_8argumentILj0EEEEENSM_5valueIjEEEEEEEEEEEE10hipError_tPvRmT3_T4_T5_T6_T7_T9_mT8_P12ihipStream_tbDpT10_ENKUlT_T0_E_clISt17integral_constantIbLb0EES1J_IbLb1EEEEDaS1F_S1G_EUlS1F_E_NS1_11comp_targetILNS1_3genE5ELNS1_11target_archE942ELNS1_3gpuE9ELNS1_3repE0EEENS1_30default_config_static_selectorELNS0_4arch9wavefront6targetE0EEEvT1_,@function
_ZN7rocprim17ROCPRIM_400000_NS6detail17trampoline_kernelINS0_14default_configENS1_25partition_config_selectorILNS1_17partition_subalgoE6EjNS0_10empty_typeEbEEZZNS1_14partition_implILS5_6ELb0ES3_mN6thrust23THRUST_200600_302600_NS6detail15normal_iteratorINSA_10device_ptrIjEEEEPS6_SG_NS0_5tupleIJSF_S6_EEENSH_IJSG_SG_EEES6_PlJNSB_9not_fun_tINSB_10functional5actorINSM_9compositeIJNSM_27transparent_binary_operatorINSA_8equal_toIvEEEENSN_INSM_8argumentILj0EEEEENSM_5valueIjEEEEEEEEEEEE10hipError_tPvRmT3_T4_T5_T6_T7_T9_mT8_P12ihipStream_tbDpT10_ENKUlT_T0_E_clISt17integral_constantIbLb0EES1J_IbLb1EEEEDaS1F_S1G_EUlS1F_E_NS1_11comp_targetILNS1_3genE5ELNS1_11target_archE942ELNS1_3gpuE9ELNS1_3repE0EEENS1_30default_config_static_selectorELNS0_4arch9wavefront6targetE0EEEvT1_: ; @_ZN7rocprim17ROCPRIM_400000_NS6detail17trampoline_kernelINS0_14default_configENS1_25partition_config_selectorILNS1_17partition_subalgoE6EjNS0_10empty_typeEbEEZZNS1_14partition_implILS5_6ELb0ES3_mN6thrust23THRUST_200600_302600_NS6detail15normal_iteratorINSA_10device_ptrIjEEEEPS6_SG_NS0_5tupleIJSF_S6_EEENSH_IJSG_SG_EEES6_PlJNSB_9not_fun_tINSB_10functional5actorINSM_9compositeIJNSM_27transparent_binary_operatorINSA_8equal_toIvEEEENSN_INSM_8argumentILj0EEEEENSM_5valueIjEEEEEEEEEEEE10hipError_tPvRmT3_T4_T5_T6_T7_T9_mT8_P12ihipStream_tbDpT10_ENKUlT_T0_E_clISt17integral_constantIbLb0EES1J_IbLb1EEEEDaS1F_S1G_EUlS1F_E_NS1_11comp_targetILNS1_3genE5ELNS1_11target_archE942ELNS1_3gpuE9ELNS1_3repE0EEENS1_30default_config_static_selectorELNS0_4arch9wavefront6targetE0EEEvT1_
; %bb.0:
	.section	.rodata,"a",@progbits
	.p2align	6, 0x0
	.amdhsa_kernel _ZN7rocprim17ROCPRIM_400000_NS6detail17trampoline_kernelINS0_14default_configENS1_25partition_config_selectorILNS1_17partition_subalgoE6EjNS0_10empty_typeEbEEZZNS1_14partition_implILS5_6ELb0ES3_mN6thrust23THRUST_200600_302600_NS6detail15normal_iteratorINSA_10device_ptrIjEEEEPS6_SG_NS0_5tupleIJSF_S6_EEENSH_IJSG_SG_EEES6_PlJNSB_9not_fun_tINSB_10functional5actorINSM_9compositeIJNSM_27transparent_binary_operatorINSA_8equal_toIvEEEENSN_INSM_8argumentILj0EEEEENSM_5valueIjEEEEEEEEEEEE10hipError_tPvRmT3_T4_T5_T6_T7_T9_mT8_P12ihipStream_tbDpT10_ENKUlT_T0_E_clISt17integral_constantIbLb0EES1J_IbLb1EEEEDaS1F_S1G_EUlS1F_E_NS1_11comp_targetILNS1_3genE5ELNS1_11target_archE942ELNS1_3gpuE9ELNS1_3repE0EEENS1_30default_config_static_selectorELNS0_4arch9wavefront6targetE0EEEvT1_
		.amdhsa_group_segment_fixed_size 0
		.amdhsa_private_segment_fixed_size 0
		.amdhsa_kernarg_size 128
		.amdhsa_user_sgpr_count 2
		.amdhsa_user_sgpr_dispatch_ptr 0
		.amdhsa_user_sgpr_queue_ptr 0
		.amdhsa_user_sgpr_kernarg_segment_ptr 1
		.amdhsa_user_sgpr_dispatch_id 0
		.amdhsa_user_sgpr_private_segment_size 0
		.amdhsa_wavefront_size32 1
		.amdhsa_uses_dynamic_stack 0
		.amdhsa_enable_private_segment 0
		.amdhsa_system_sgpr_workgroup_id_x 1
		.amdhsa_system_sgpr_workgroup_id_y 0
		.amdhsa_system_sgpr_workgroup_id_z 0
		.amdhsa_system_sgpr_workgroup_info 0
		.amdhsa_system_vgpr_workitem_id 0
		.amdhsa_next_free_vgpr 1
		.amdhsa_next_free_sgpr 1
		.amdhsa_reserve_vcc 0
		.amdhsa_float_round_mode_32 0
		.amdhsa_float_round_mode_16_64 0
		.amdhsa_float_denorm_mode_32 3
		.amdhsa_float_denorm_mode_16_64 3
		.amdhsa_fp16_overflow 0
		.amdhsa_workgroup_processor_mode 1
		.amdhsa_memory_ordered 1
		.amdhsa_forward_progress 1
		.amdhsa_inst_pref_size 0
		.amdhsa_round_robin_scheduling 0
		.amdhsa_exception_fp_ieee_invalid_op 0
		.amdhsa_exception_fp_denorm_src 0
		.amdhsa_exception_fp_ieee_div_zero 0
		.amdhsa_exception_fp_ieee_overflow 0
		.amdhsa_exception_fp_ieee_underflow 0
		.amdhsa_exception_fp_ieee_inexact 0
		.amdhsa_exception_int_div_zero 0
	.end_amdhsa_kernel
	.section	.text._ZN7rocprim17ROCPRIM_400000_NS6detail17trampoline_kernelINS0_14default_configENS1_25partition_config_selectorILNS1_17partition_subalgoE6EjNS0_10empty_typeEbEEZZNS1_14partition_implILS5_6ELb0ES3_mN6thrust23THRUST_200600_302600_NS6detail15normal_iteratorINSA_10device_ptrIjEEEEPS6_SG_NS0_5tupleIJSF_S6_EEENSH_IJSG_SG_EEES6_PlJNSB_9not_fun_tINSB_10functional5actorINSM_9compositeIJNSM_27transparent_binary_operatorINSA_8equal_toIvEEEENSN_INSM_8argumentILj0EEEEENSM_5valueIjEEEEEEEEEEEE10hipError_tPvRmT3_T4_T5_T6_T7_T9_mT8_P12ihipStream_tbDpT10_ENKUlT_T0_E_clISt17integral_constantIbLb0EES1J_IbLb1EEEEDaS1F_S1G_EUlS1F_E_NS1_11comp_targetILNS1_3genE5ELNS1_11target_archE942ELNS1_3gpuE9ELNS1_3repE0EEENS1_30default_config_static_selectorELNS0_4arch9wavefront6targetE0EEEvT1_,"axG",@progbits,_ZN7rocprim17ROCPRIM_400000_NS6detail17trampoline_kernelINS0_14default_configENS1_25partition_config_selectorILNS1_17partition_subalgoE6EjNS0_10empty_typeEbEEZZNS1_14partition_implILS5_6ELb0ES3_mN6thrust23THRUST_200600_302600_NS6detail15normal_iteratorINSA_10device_ptrIjEEEEPS6_SG_NS0_5tupleIJSF_S6_EEENSH_IJSG_SG_EEES6_PlJNSB_9not_fun_tINSB_10functional5actorINSM_9compositeIJNSM_27transparent_binary_operatorINSA_8equal_toIvEEEENSN_INSM_8argumentILj0EEEEENSM_5valueIjEEEEEEEEEEEE10hipError_tPvRmT3_T4_T5_T6_T7_T9_mT8_P12ihipStream_tbDpT10_ENKUlT_T0_E_clISt17integral_constantIbLb0EES1J_IbLb1EEEEDaS1F_S1G_EUlS1F_E_NS1_11comp_targetILNS1_3genE5ELNS1_11target_archE942ELNS1_3gpuE9ELNS1_3repE0EEENS1_30default_config_static_selectorELNS0_4arch9wavefront6targetE0EEEvT1_,comdat
.Lfunc_end138:
	.size	_ZN7rocprim17ROCPRIM_400000_NS6detail17trampoline_kernelINS0_14default_configENS1_25partition_config_selectorILNS1_17partition_subalgoE6EjNS0_10empty_typeEbEEZZNS1_14partition_implILS5_6ELb0ES3_mN6thrust23THRUST_200600_302600_NS6detail15normal_iteratorINSA_10device_ptrIjEEEEPS6_SG_NS0_5tupleIJSF_S6_EEENSH_IJSG_SG_EEES6_PlJNSB_9not_fun_tINSB_10functional5actorINSM_9compositeIJNSM_27transparent_binary_operatorINSA_8equal_toIvEEEENSN_INSM_8argumentILj0EEEEENSM_5valueIjEEEEEEEEEEEE10hipError_tPvRmT3_T4_T5_T6_T7_T9_mT8_P12ihipStream_tbDpT10_ENKUlT_T0_E_clISt17integral_constantIbLb0EES1J_IbLb1EEEEDaS1F_S1G_EUlS1F_E_NS1_11comp_targetILNS1_3genE5ELNS1_11target_archE942ELNS1_3gpuE9ELNS1_3repE0EEENS1_30default_config_static_selectorELNS0_4arch9wavefront6targetE0EEEvT1_, .Lfunc_end138-_ZN7rocprim17ROCPRIM_400000_NS6detail17trampoline_kernelINS0_14default_configENS1_25partition_config_selectorILNS1_17partition_subalgoE6EjNS0_10empty_typeEbEEZZNS1_14partition_implILS5_6ELb0ES3_mN6thrust23THRUST_200600_302600_NS6detail15normal_iteratorINSA_10device_ptrIjEEEEPS6_SG_NS0_5tupleIJSF_S6_EEENSH_IJSG_SG_EEES6_PlJNSB_9not_fun_tINSB_10functional5actorINSM_9compositeIJNSM_27transparent_binary_operatorINSA_8equal_toIvEEEENSN_INSM_8argumentILj0EEEEENSM_5valueIjEEEEEEEEEEEE10hipError_tPvRmT3_T4_T5_T6_T7_T9_mT8_P12ihipStream_tbDpT10_ENKUlT_T0_E_clISt17integral_constantIbLb0EES1J_IbLb1EEEEDaS1F_S1G_EUlS1F_E_NS1_11comp_targetILNS1_3genE5ELNS1_11target_archE942ELNS1_3gpuE9ELNS1_3repE0EEENS1_30default_config_static_selectorELNS0_4arch9wavefront6targetE0EEEvT1_
                                        ; -- End function
	.set _ZN7rocprim17ROCPRIM_400000_NS6detail17trampoline_kernelINS0_14default_configENS1_25partition_config_selectorILNS1_17partition_subalgoE6EjNS0_10empty_typeEbEEZZNS1_14partition_implILS5_6ELb0ES3_mN6thrust23THRUST_200600_302600_NS6detail15normal_iteratorINSA_10device_ptrIjEEEEPS6_SG_NS0_5tupleIJSF_S6_EEENSH_IJSG_SG_EEES6_PlJNSB_9not_fun_tINSB_10functional5actorINSM_9compositeIJNSM_27transparent_binary_operatorINSA_8equal_toIvEEEENSN_INSM_8argumentILj0EEEEENSM_5valueIjEEEEEEEEEEEE10hipError_tPvRmT3_T4_T5_T6_T7_T9_mT8_P12ihipStream_tbDpT10_ENKUlT_T0_E_clISt17integral_constantIbLb0EES1J_IbLb1EEEEDaS1F_S1G_EUlS1F_E_NS1_11comp_targetILNS1_3genE5ELNS1_11target_archE942ELNS1_3gpuE9ELNS1_3repE0EEENS1_30default_config_static_selectorELNS0_4arch9wavefront6targetE0EEEvT1_.num_vgpr, 0
	.set _ZN7rocprim17ROCPRIM_400000_NS6detail17trampoline_kernelINS0_14default_configENS1_25partition_config_selectorILNS1_17partition_subalgoE6EjNS0_10empty_typeEbEEZZNS1_14partition_implILS5_6ELb0ES3_mN6thrust23THRUST_200600_302600_NS6detail15normal_iteratorINSA_10device_ptrIjEEEEPS6_SG_NS0_5tupleIJSF_S6_EEENSH_IJSG_SG_EEES6_PlJNSB_9not_fun_tINSB_10functional5actorINSM_9compositeIJNSM_27transparent_binary_operatorINSA_8equal_toIvEEEENSN_INSM_8argumentILj0EEEEENSM_5valueIjEEEEEEEEEEEE10hipError_tPvRmT3_T4_T5_T6_T7_T9_mT8_P12ihipStream_tbDpT10_ENKUlT_T0_E_clISt17integral_constantIbLb0EES1J_IbLb1EEEEDaS1F_S1G_EUlS1F_E_NS1_11comp_targetILNS1_3genE5ELNS1_11target_archE942ELNS1_3gpuE9ELNS1_3repE0EEENS1_30default_config_static_selectorELNS0_4arch9wavefront6targetE0EEEvT1_.num_agpr, 0
	.set _ZN7rocprim17ROCPRIM_400000_NS6detail17trampoline_kernelINS0_14default_configENS1_25partition_config_selectorILNS1_17partition_subalgoE6EjNS0_10empty_typeEbEEZZNS1_14partition_implILS5_6ELb0ES3_mN6thrust23THRUST_200600_302600_NS6detail15normal_iteratorINSA_10device_ptrIjEEEEPS6_SG_NS0_5tupleIJSF_S6_EEENSH_IJSG_SG_EEES6_PlJNSB_9not_fun_tINSB_10functional5actorINSM_9compositeIJNSM_27transparent_binary_operatorINSA_8equal_toIvEEEENSN_INSM_8argumentILj0EEEEENSM_5valueIjEEEEEEEEEEEE10hipError_tPvRmT3_T4_T5_T6_T7_T9_mT8_P12ihipStream_tbDpT10_ENKUlT_T0_E_clISt17integral_constantIbLb0EES1J_IbLb1EEEEDaS1F_S1G_EUlS1F_E_NS1_11comp_targetILNS1_3genE5ELNS1_11target_archE942ELNS1_3gpuE9ELNS1_3repE0EEENS1_30default_config_static_selectorELNS0_4arch9wavefront6targetE0EEEvT1_.numbered_sgpr, 0
	.set _ZN7rocprim17ROCPRIM_400000_NS6detail17trampoline_kernelINS0_14default_configENS1_25partition_config_selectorILNS1_17partition_subalgoE6EjNS0_10empty_typeEbEEZZNS1_14partition_implILS5_6ELb0ES3_mN6thrust23THRUST_200600_302600_NS6detail15normal_iteratorINSA_10device_ptrIjEEEEPS6_SG_NS0_5tupleIJSF_S6_EEENSH_IJSG_SG_EEES6_PlJNSB_9not_fun_tINSB_10functional5actorINSM_9compositeIJNSM_27transparent_binary_operatorINSA_8equal_toIvEEEENSN_INSM_8argumentILj0EEEEENSM_5valueIjEEEEEEEEEEEE10hipError_tPvRmT3_T4_T5_T6_T7_T9_mT8_P12ihipStream_tbDpT10_ENKUlT_T0_E_clISt17integral_constantIbLb0EES1J_IbLb1EEEEDaS1F_S1G_EUlS1F_E_NS1_11comp_targetILNS1_3genE5ELNS1_11target_archE942ELNS1_3gpuE9ELNS1_3repE0EEENS1_30default_config_static_selectorELNS0_4arch9wavefront6targetE0EEEvT1_.num_named_barrier, 0
	.set _ZN7rocprim17ROCPRIM_400000_NS6detail17trampoline_kernelINS0_14default_configENS1_25partition_config_selectorILNS1_17partition_subalgoE6EjNS0_10empty_typeEbEEZZNS1_14partition_implILS5_6ELb0ES3_mN6thrust23THRUST_200600_302600_NS6detail15normal_iteratorINSA_10device_ptrIjEEEEPS6_SG_NS0_5tupleIJSF_S6_EEENSH_IJSG_SG_EEES6_PlJNSB_9not_fun_tINSB_10functional5actorINSM_9compositeIJNSM_27transparent_binary_operatorINSA_8equal_toIvEEEENSN_INSM_8argumentILj0EEEEENSM_5valueIjEEEEEEEEEEEE10hipError_tPvRmT3_T4_T5_T6_T7_T9_mT8_P12ihipStream_tbDpT10_ENKUlT_T0_E_clISt17integral_constantIbLb0EES1J_IbLb1EEEEDaS1F_S1G_EUlS1F_E_NS1_11comp_targetILNS1_3genE5ELNS1_11target_archE942ELNS1_3gpuE9ELNS1_3repE0EEENS1_30default_config_static_selectorELNS0_4arch9wavefront6targetE0EEEvT1_.private_seg_size, 0
	.set _ZN7rocprim17ROCPRIM_400000_NS6detail17trampoline_kernelINS0_14default_configENS1_25partition_config_selectorILNS1_17partition_subalgoE6EjNS0_10empty_typeEbEEZZNS1_14partition_implILS5_6ELb0ES3_mN6thrust23THRUST_200600_302600_NS6detail15normal_iteratorINSA_10device_ptrIjEEEEPS6_SG_NS0_5tupleIJSF_S6_EEENSH_IJSG_SG_EEES6_PlJNSB_9not_fun_tINSB_10functional5actorINSM_9compositeIJNSM_27transparent_binary_operatorINSA_8equal_toIvEEEENSN_INSM_8argumentILj0EEEEENSM_5valueIjEEEEEEEEEEEE10hipError_tPvRmT3_T4_T5_T6_T7_T9_mT8_P12ihipStream_tbDpT10_ENKUlT_T0_E_clISt17integral_constantIbLb0EES1J_IbLb1EEEEDaS1F_S1G_EUlS1F_E_NS1_11comp_targetILNS1_3genE5ELNS1_11target_archE942ELNS1_3gpuE9ELNS1_3repE0EEENS1_30default_config_static_selectorELNS0_4arch9wavefront6targetE0EEEvT1_.uses_vcc, 0
	.set _ZN7rocprim17ROCPRIM_400000_NS6detail17trampoline_kernelINS0_14default_configENS1_25partition_config_selectorILNS1_17partition_subalgoE6EjNS0_10empty_typeEbEEZZNS1_14partition_implILS5_6ELb0ES3_mN6thrust23THRUST_200600_302600_NS6detail15normal_iteratorINSA_10device_ptrIjEEEEPS6_SG_NS0_5tupleIJSF_S6_EEENSH_IJSG_SG_EEES6_PlJNSB_9not_fun_tINSB_10functional5actorINSM_9compositeIJNSM_27transparent_binary_operatorINSA_8equal_toIvEEEENSN_INSM_8argumentILj0EEEEENSM_5valueIjEEEEEEEEEEEE10hipError_tPvRmT3_T4_T5_T6_T7_T9_mT8_P12ihipStream_tbDpT10_ENKUlT_T0_E_clISt17integral_constantIbLb0EES1J_IbLb1EEEEDaS1F_S1G_EUlS1F_E_NS1_11comp_targetILNS1_3genE5ELNS1_11target_archE942ELNS1_3gpuE9ELNS1_3repE0EEENS1_30default_config_static_selectorELNS0_4arch9wavefront6targetE0EEEvT1_.uses_flat_scratch, 0
	.set _ZN7rocprim17ROCPRIM_400000_NS6detail17trampoline_kernelINS0_14default_configENS1_25partition_config_selectorILNS1_17partition_subalgoE6EjNS0_10empty_typeEbEEZZNS1_14partition_implILS5_6ELb0ES3_mN6thrust23THRUST_200600_302600_NS6detail15normal_iteratorINSA_10device_ptrIjEEEEPS6_SG_NS0_5tupleIJSF_S6_EEENSH_IJSG_SG_EEES6_PlJNSB_9not_fun_tINSB_10functional5actorINSM_9compositeIJNSM_27transparent_binary_operatorINSA_8equal_toIvEEEENSN_INSM_8argumentILj0EEEEENSM_5valueIjEEEEEEEEEEEE10hipError_tPvRmT3_T4_T5_T6_T7_T9_mT8_P12ihipStream_tbDpT10_ENKUlT_T0_E_clISt17integral_constantIbLb0EES1J_IbLb1EEEEDaS1F_S1G_EUlS1F_E_NS1_11comp_targetILNS1_3genE5ELNS1_11target_archE942ELNS1_3gpuE9ELNS1_3repE0EEENS1_30default_config_static_selectorELNS0_4arch9wavefront6targetE0EEEvT1_.has_dyn_sized_stack, 0
	.set _ZN7rocprim17ROCPRIM_400000_NS6detail17trampoline_kernelINS0_14default_configENS1_25partition_config_selectorILNS1_17partition_subalgoE6EjNS0_10empty_typeEbEEZZNS1_14partition_implILS5_6ELb0ES3_mN6thrust23THRUST_200600_302600_NS6detail15normal_iteratorINSA_10device_ptrIjEEEEPS6_SG_NS0_5tupleIJSF_S6_EEENSH_IJSG_SG_EEES6_PlJNSB_9not_fun_tINSB_10functional5actorINSM_9compositeIJNSM_27transparent_binary_operatorINSA_8equal_toIvEEEENSN_INSM_8argumentILj0EEEEENSM_5valueIjEEEEEEEEEEEE10hipError_tPvRmT3_T4_T5_T6_T7_T9_mT8_P12ihipStream_tbDpT10_ENKUlT_T0_E_clISt17integral_constantIbLb0EES1J_IbLb1EEEEDaS1F_S1G_EUlS1F_E_NS1_11comp_targetILNS1_3genE5ELNS1_11target_archE942ELNS1_3gpuE9ELNS1_3repE0EEENS1_30default_config_static_selectorELNS0_4arch9wavefront6targetE0EEEvT1_.has_recursion, 0
	.set _ZN7rocprim17ROCPRIM_400000_NS6detail17trampoline_kernelINS0_14default_configENS1_25partition_config_selectorILNS1_17partition_subalgoE6EjNS0_10empty_typeEbEEZZNS1_14partition_implILS5_6ELb0ES3_mN6thrust23THRUST_200600_302600_NS6detail15normal_iteratorINSA_10device_ptrIjEEEEPS6_SG_NS0_5tupleIJSF_S6_EEENSH_IJSG_SG_EEES6_PlJNSB_9not_fun_tINSB_10functional5actorINSM_9compositeIJNSM_27transparent_binary_operatorINSA_8equal_toIvEEEENSN_INSM_8argumentILj0EEEEENSM_5valueIjEEEEEEEEEEEE10hipError_tPvRmT3_T4_T5_T6_T7_T9_mT8_P12ihipStream_tbDpT10_ENKUlT_T0_E_clISt17integral_constantIbLb0EES1J_IbLb1EEEEDaS1F_S1G_EUlS1F_E_NS1_11comp_targetILNS1_3genE5ELNS1_11target_archE942ELNS1_3gpuE9ELNS1_3repE0EEENS1_30default_config_static_selectorELNS0_4arch9wavefront6targetE0EEEvT1_.has_indirect_call, 0
	.section	.AMDGPU.csdata,"",@progbits
; Kernel info:
; codeLenInByte = 0
; TotalNumSgprs: 0
; NumVgprs: 0
; ScratchSize: 0
; MemoryBound: 0
; FloatMode: 240
; IeeeMode: 1
; LDSByteSize: 0 bytes/workgroup (compile time only)
; SGPRBlocks: 0
; VGPRBlocks: 0
; NumSGPRsForWavesPerEU: 1
; NumVGPRsForWavesPerEU: 1
; Occupancy: 16
; WaveLimiterHint : 0
; COMPUTE_PGM_RSRC2:SCRATCH_EN: 0
; COMPUTE_PGM_RSRC2:USER_SGPR: 2
; COMPUTE_PGM_RSRC2:TRAP_HANDLER: 0
; COMPUTE_PGM_RSRC2:TGID_X_EN: 1
; COMPUTE_PGM_RSRC2:TGID_Y_EN: 0
; COMPUTE_PGM_RSRC2:TGID_Z_EN: 0
; COMPUTE_PGM_RSRC2:TIDIG_COMP_CNT: 0
	.section	.text._ZN7rocprim17ROCPRIM_400000_NS6detail17trampoline_kernelINS0_14default_configENS1_25partition_config_selectorILNS1_17partition_subalgoE6EjNS0_10empty_typeEbEEZZNS1_14partition_implILS5_6ELb0ES3_mN6thrust23THRUST_200600_302600_NS6detail15normal_iteratorINSA_10device_ptrIjEEEEPS6_SG_NS0_5tupleIJSF_S6_EEENSH_IJSG_SG_EEES6_PlJNSB_9not_fun_tINSB_10functional5actorINSM_9compositeIJNSM_27transparent_binary_operatorINSA_8equal_toIvEEEENSN_INSM_8argumentILj0EEEEENSM_5valueIjEEEEEEEEEEEE10hipError_tPvRmT3_T4_T5_T6_T7_T9_mT8_P12ihipStream_tbDpT10_ENKUlT_T0_E_clISt17integral_constantIbLb0EES1J_IbLb1EEEEDaS1F_S1G_EUlS1F_E_NS1_11comp_targetILNS1_3genE4ELNS1_11target_archE910ELNS1_3gpuE8ELNS1_3repE0EEENS1_30default_config_static_selectorELNS0_4arch9wavefront6targetE0EEEvT1_,"axG",@progbits,_ZN7rocprim17ROCPRIM_400000_NS6detail17trampoline_kernelINS0_14default_configENS1_25partition_config_selectorILNS1_17partition_subalgoE6EjNS0_10empty_typeEbEEZZNS1_14partition_implILS5_6ELb0ES3_mN6thrust23THRUST_200600_302600_NS6detail15normal_iteratorINSA_10device_ptrIjEEEEPS6_SG_NS0_5tupleIJSF_S6_EEENSH_IJSG_SG_EEES6_PlJNSB_9not_fun_tINSB_10functional5actorINSM_9compositeIJNSM_27transparent_binary_operatorINSA_8equal_toIvEEEENSN_INSM_8argumentILj0EEEEENSM_5valueIjEEEEEEEEEEEE10hipError_tPvRmT3_T4_T5_T6_T7_T9_mT8_P12ihipStream_tbDpT10_ENKUlT_T0_E_clISt17integral_constantIbLb0EES1J_IbLb1EEEEDaS1F_S1G_EUlS1F_E_NS1_11comp_targetILNS1_3genE4ELNS1_11target_archE910ELNS1_3gpuE8ELNS1_3repE0EEENS1_30default_config_static_selectorELNS0_4arch9wavefront6targetE0EEEvT1_,comdat
	.protected	_ZN7rocprim17ROCPRIM_400000_NS6detail17trampoline_kernelINS0_14default_configENS1_25partition_config_selectorILNS1_17partition_subalgoE6EjNS0_10empty_typeEbEEZZNS1_14partition_implILS5_6ELb0ES3_mN6thrust23THRUST_200600_302600_NS6detail15normal_iteratorINSA_10device_ptrIjEEEEPS6_SG_NS0_5tupleIJSF_S6_EEENSH_IJSG_SG_EEES6_PlJNSB_9not_fun_tINSB_10functional5actorINSM_9compositeIJNSM_27transparent_binary_operatorINSA_8equal_toIvEEEENSN_INSM_8argumentILj0EEEEENSM_5valueIjEEEEEEEEEEEE10hipError_tPvRmT3_T4_T5_T6_T7_T9_mT8_P12ihipStream_tbDpT10_ENKUlT_T0_E_clISt17integral_constantIbLb0EES1J_IbLb1EEEEDaS1F_S1G_EUlS1F_E_NS1_11comp_targetILNS1_3genE4ELNS1_11target_archE910ELNS1_3gpuE8ELNS1_3repE0EEENS1_30default_config_static_selectorELNS0_4arch9wavefront6targetE0EEEvT1_ ; -- Begin function _ZN7rocprim17ROCPRIM_400000_NS6detail17trampoline_kernelINS0_14default_configENS1_25partition_config_selectorILNS1_17partition_subalgoE6EjNS0_10empty_typeEbEEZZNS1_14partition_implILS5_6ELb0ES3_mN6thrust23THRUST_200600_302600_NS6detail15normal_iteratorINSA_10device_ptrIjEEEEPS6_SG_NS0_5tupleIJSF_S6_EEENSH_IJSG_SG_EEES6_PlJNSB_9not_fun_tINSB_10functional5actorINSM_9compositeIJNSM_27transparent_binary_operatorINSA_8equal_toIvEEEENSN_INSM_8argumentILj0EEEEENSM_5valueIjEEEEEEEEEEEE10hipError_tPvRmT3_T4_T5_T6_T7_T9_mT8_P12ihipStream_tbDpT10_ENKUlT_T0_E_clISt17integral_constantIbLb0EES1J_IbLb1EEEEDaS1F_S1G_EUlS1F_E_NS1_11comp_targetILNS1_3genE4ELNS1_11target_archE910ELNS1_3gpuE8ELNS1_3repE0EEENS1_30default_config_static_selectorELNS0_4arch9wavefront6targetE0EEEvT1_
	.globl	_ZN7rocprim17ROCPRIM_400000_NS6detail17trampoline_kernelINS0_14default_configENS1_25partition_config_selectorILNS1_17partition_subalgoE6EjNS0_10empty_typeEbEEZZNS1_14partition_implILS5_6ELb0ES3_mN6thrust23THRUST_200600_302600_NS6detail15normal_iteratorINSA_10device_ptrIjEEEEPS6_SG_NS0_5tupleIJSF_S6_EEENSH_IJSG_SG_EEES6_PlJNSB_9not_fun_tINSB_10functional5actorINSM_9compositeIJNSM_27transparent_binary_operatorINSA_8equal_toIvEEEENSN_INSM_8argumentILj0EEEEENSM_5valueIjEEEEEEEEEEEE10hipError_tPvRmT3_T4_T5_T6_T7_T9_mT8_P12ihipStream_tbDpT10_ENKUlT_T0_E_clISt17integral_constantIbLb0EES1J_IbLb1EEEEDaS1F_S1G_EUlS1F_E_NS1_11comp_targetILNS1_3genE4ELNS1_11target_archE910ELNS1_3gpuE8ELNS1_3repE0EEENS1_30default_config_static_selectorELNS0_4arch9wavefront6targetE0EEEvT1_
	.p2align	8
	.type	_ZN7rocprim17ROCPRIM_400000_NS6detail17trampoline_kernelINS0_14default_configENS1_25partition_config_selectorILNS1_17partition_subalgoE6EjNS0_10empty_typeEbEEZZNS1_14partition_implILS5_6ELb0ES3_mN6thrust23THRUST_200600_302600_NS6detail15normal_iteratorINSA_10device_ptrIjEEEEPS6_SG_NS0_5tupleIJSF_S6_EEENSH_IJSG_SG_EEES6_PlJNSB_9not_fun_tINSB_10functional5actorINSM_9compositeIJNSM_27transparent_binary_operatorINSA_8equal_toIvEEEENSN_INSM_8argumentILj0EEEEENSM_5valueIjEEEEEEEEEEEE10hipError_tPvRmT3_T4_T5_T6_T7_T9_mT8_P12ihipStream_tbDpT10_ENKUlT_T0_E_clISt17integral_constantIbLb0EES1J_IbLb1EEEEDaS1F_S1G_EUlS1F_E_NS1_11comp_targetILNS1_3genE4ELNS1_11target_archE910ELNS1_3gpuE8ELNS1_3repE0EEENS1_30default_config_static_selectorELNS0_4arch9wavefront6targetE0EEEvT1_,@function
_ZN7rocprim17ROCPRIM_400000_NS6detail17trampoline_kernelINS0_14default_configENS1_25partition_config_selectorILNS1_17partition_subalgoE6EjNS0_10empty_typeEbEEZZNS1_14partition_implILS5_6ELb0ES3_mN6thrust23THRUST_200600_302600_NS6detail15normal_iteratorINSA_10device_ptrIjEEEEPS6_SG_NS0_5tupleIJSF_S6_EEENSH_IJSG_SG_EEES6_PlJNSB_9not_fun_tINSB_10functional5actorINSM_9compositeIJNSM_27transparent_binary_operatorINSA_8equal_toIvEEEENSN_INSM_8argumentILj0EEEEENSM_5valueIjEEEEEEEEEEEE10hipError_tPvRmT3_T4_T5_T6_T7_T9_mT8_P12ihipStream_tbDpT10_ENKUlT_T0_E_clISt17integral_constantIbLb0EES1J_IbLb1EEEEDaS1F_S1G_EUlS1F_E_NS1_11comp_targetILNS1_3genE4ELNS1_11target_archE910ELNS1_3gpuE8ELNS1_3repE0EEENS1_30default_config_static_selectorELNS0_4arch9wavefront6targetE0EEEvT1_: ; @_ZN7rocprim17ROCPRIM_400000_NS6detail17trampoline_kernelINS0_14default_configENS1_25partition_config_selectorILNS1_17partition_subalgoE6EjNS0_10empty_typeEbEEZZNS1_14partition_implILS5_6ELb0ES3_mN6thrust23THRUST_200600_302600_NS6detail15normal_iteratorINSA_10device_ptrIjEEEEPS6_SG_NS0_5tupleIJSF_S6_EEENSH_IJSG_SG_EEES6_PlJNSB_9not_fun_tINSB_10functional5actorINSM_9compositeIJNSM_27transparent_binary_operatorINSA_8equal_toIvEEEENSN_INSM_8argumentILj0EEEEENSM_5valueIjEEEEEEEEEEEE10hipError_tPvRmT3_T4_T5_T6_T7_T9_mT8_P12ihipStream_tbDpT10_ENKUlT_T0_E_clISt17integral_constantIbLb0EES1J_IbLb1EEEEDaS1F_S1G_EUlS1F_E_NS1_11comp_targetILNS1_3genE4ELNS1_11target_archE910ELNS1_3gpuE8ELNS1_3repE0EEENS1_30default_config_static_selectorELNS0_4arch9wavefront6targetE0EEEvT1_
; %bb.0:
	.section	.rodata,"a",@progbits
	.p2align	6, 0x0
	.amdhsa_kernel _ZN7rocprim17ROCPRIM_400000_NS6detail17trampoline_kernelINS0_14default_configENS1_25partition_config_selectorILNS1_17partition_subalgoE6EjNS0_10empty_typeEbEEZZNS1_14partition_implILS5_6ELb0ES3_mN6thrust23THRUST_200600_302600_NS6detail15normal_iteratorINSA_10device_ptrIjEEEEPS6_SG_NS0_5tupleIJSF_S6_EEENSH_IJSG_SG_EEES6_PlJNSB_9not_fun_tINSB_10functional5actorINSM_9compositeIJNSM_27transparent_binary_operatorINSA_8equal_toIvEEEENSN_INSM_8argumentILj0EEEEENSM_5valueIjEEEEEEEEEEEE10hipError_tPvRmT3_T4_T5_T6_T7_T9_mT8_P12ihipStream_tbDpT10_ENKUlT_T0_E_clISt17integral_constantIbLb0EES1J_IbLb1EEEEDaS1F_S1G_EUlS1F_E_NS1_11comp_targetILNS1_3genE4ELNS1_11target_archE910ELNS1_3gpuE8ELNS1_3repE0EEENS1_30default_config_static_selectorELNS0_4arch9wavefront6targetE0EEEvT1_
		.amdhsa_group_segment_fixed_size 0
		.amdhsa_private_segment_fixed_size 0
		.amdhsa_kernarg_size 128
		.amdhsa_user_sgpr_count 2
		.amdhsa_user_sgpr_dispatch_ptr 0
		.amdhsa_user_sgpr_queue_ptr 0
		.amdhsa_user_sgpr_kernarg_segment_ptr 1
		.amdhsa_user_sgpr_dispatch_id 0
		.amdhsa_user_sgpr_private_segment_size 0
		.amdhsa_wavefront_size32 1
		.amdhsa_uses_dynamic_stack 0
		.amdhsa_enable_private_segment 0
		.amdhsa_system_sgpr_workgroup_id_x 1
		.amdhsa_system_sgpr_workgroup_id_y 0
		.amdhsa_system_sgpr_workgroup_id_z 0
		.amdhsa_system_sgpr_workgroup_info 0
		.amdhsa_system_vgpr_workitem_id 0
		.amdhsa_next_free_vgpr 1
		.amdhsa_next_free_sgpr 1
		.amdhsa_reserve_vcc 0
		.amdhsa_float_round_mode_32 0
		.amdhsa_float_round_mode_16_64 0
		.amdhsa_float_denorm_mode_32 3
		.amdhsa_float_denorm_mode_16_64 3
		.amdhsa_fp16_overflow 0
		.amdhsa_workgroup_processor_mode 1
		.amdhsa_memory_ordered 1
		.amdhsa_forward_progress 1
		.amdhsa_inst_pref_size 0
		.amdhsa_round_robin_scheduling 0
		.amdhsa_exception_fp_ieee_invalid_op 0
		.amdhsa_exception_fp_denorm_src 0
		.amdhsa_exception_fp_ieee_div_zero 0
		.amdhsa_exception_fp_ieee_overflow 0
		.amdhsa_exception_fp_ieee_underflow 0
		.amdhsa_exception_fp_ieee_inexact 0
		.amdhsa_exception_int_div_zero 0
	.end_amdhsa_kernel
	.section	.text._ZN7rocprim17ROCPRIM_400000_NS6detail17trampoline_kernelINS0_14default_configENS1_25partition_config_selectorILNS1_17partition_subalgoE6EjNS0_10empty_typeEbEEZZNS1_14partition_implILS5_6ELb0ES3_mN6thrust23THRUST_200600_302600_NS6detail15normal_iteratorINSA_10device_ptrIjEEEEPS6_SG_NS0_5tupleIJSF_S6_EEENSH_IJSG_SG_EEES6_PlJNSB_9not_fun_tINSB_10functional5actorINSM_9compositeIJNSM_27transparent_binary_operatorINSA_8equal_toIvEEEENSN_INSM_8argumentILj0EEEEENSM_5valueIjEEEEEEEEEEEE10hipError_tPvRmT3_T4_T5_T6_T7_T9_mT8_P12ihipStream_tbDpT10_ENKUlT_T0_E_clISt17integral_constantIbLb0EES1J_IbLb1EEEEDaS1F_S1G_EUlS1F_E_NS1_11comp_targetILNS1_3genE4ELNS1_11target_archE910ELNS1_3gpuE8ELNS1_3repE0EEENS1_30default_config_static_selectorELNS0_4arch9wavefront6targetE0EEEvT1_,"axG",@progbits,_ZN7rocprim17ROCPRIM_400000_NS6detail17trampoline_kernelINS0_14default_configENS1_25partition_config_selectorILNS1_17partition_subalgoE6EjNS0_10empty_typeEbEEZZNS1_14partition_implILS5_6ELb0ES3_mN6thrust23THRUST_200600_302600_NS6detail15normal_iteratorINSA_10device_ptrIjEEEEPS6_SG_NS0_5tupleIJSF_S6_EEENSH_IJSG_SG_EEES6_PlJNSB_9not_fun_tINSB_10functional5actorINSM_9compositeIJNSM_27transparent_binary_operatorINSA_8equal_toIvEEEENSN_INSM_8argumentILj0EEEEENSM_5valueIjEEEEEEEEEEEE10hipError_tPvRmT3_T4_T5_T6_T7_T9_mT8_P12ihipStream_tbDpT10_ENKUlT_T0_E_clISt17integral_constantIbLb0EES1J_IbLb1EEEEDaS1F_S1G_EUlS1F_E_NS1_11comp_targetILNS1_3genE4ELNS1_11target_archE910ELNS1_3gpuE8ELNS1_3repE0EEENS1_30default_config_static_selectorELNS0_4arch9wavefront6targetE0EEEvT1_,comdat
.Lfunc_end139:
	.size	_ZN7rocprim17ROCPRIM_400000_NS6detail17trampoline_kernelINS0_14default_configENS1_25partition_config_selectorILNS1_17partition_subalgoE6EjNS0_10empty_typeEbEEZZNS1_14partition_implILS5_6ELb0ES3_mN6thrust23THRUST_200600_302600_NS6detail15normal_iteratorINSA_10device_ptrIjEEEEPS6_SG_NS0_5tupleIJSF_S6_EEENSH_IJSG_SG_EEES6_PlJNSB_9not_fun_tINSB_10functional5actorINSM_9compositeIJNSM_27transparent_binary_operatorINSA_8equal_toIvEEEENSN_INSM_8argumentILj0EEEEENSM_5valueIjEEEEEEEEEEEE10hipError_tPvRmT3_T4_T5_T6_T7_T9_mT8_P12ihipStream_tbDpT10_ENKUlT_T0_E_clISt17integral_constantIbLb0EES1J_IbLb1EEEEDaS1F_S1G_EUlS1F_E_NS1_11comp_targetILNS1_3genE4ELNS1_11target_archE910ELNS1_3gpuE8ELNS1_3repE0EEENS1_30default_config_static_selectorELNS0_4arch9wavefront6targetE0EEEvT1_, .Lfunc_end139-_ZN7rocprim17ROCPRIM_400000_NS6detail17trampoline_kernelINS0_14default_configENS1_25partition_config_selectorILNS1_17partition_subalgoE6EjNS0_10empty_typeEbEEZZNS1_14partition_implILS5_6ELb0ES3_mN6thrust23THRUST_200600_302600_NS6detail15normal_iteratorINSA_10device_ptrIjEEEEPS6_SG_NS0_5tupleIJSF_S6_EEENSH_IJSG_SG_EEES6_PlJNSB_9not_fun_tINSB_10functional5actorINSM_9compositeIJNSM_27transparent_binary_operatorINSA_8equal_toIvEEEENSN_INSM_8argumentILj0EEEEENSM_5valueIjEEEEEEEEEEEE10hipError_tPvRmT3_T4_T5_T6_T7_T9_mT8_P12ihipStream_tbDpT10_ENKUlT_T0_E_clISt17integral_constantIbLb0EES1J_IbLb1EEEEDaS1F_S1G_EUlS1F_E_NS1_11comp_targetILNS1_3genE4ELNS1_11target_archE910ELNS1_3gpuE8ELNS1_3repE0EEENS1_30default_config_static_selectorELNS0_4arch9wavefront6targetE0EEEvT1_
                                        ; -- End function
	.set _ZN7rocprim17ROCPRIM_400000_NS6detail17trampoline_kernelINS0_14default_configENS1_25partition_config_selectorILNS1_17partition_subalgoE6EjNS0_10empty_typeEbEEZZNS1_14partition_implILS5_6ELb0ES3_mN6thrust23THRUST_200600_302600_NS6detail15normal_iteratorINSA_10device_ptrIjEEEEPS6_SG_NS0_5tupleIJSF_S6_EEENSH_IJSG_SG_EEES6_PlJNSB_9not_fun_tINSB_10functional5actorINSM_9compositeIJNSM_27transparent_binary_operatorINSA_8equal_toIvEEEENSN_INSM_8argumentILj0EEEEENSM_5valueIjEEEEEEEEEEEE10hipError_tPvRmT3_T4_T5_T6_T7_T9_mT8_P12ihipStream_tbDpT10_ENKUlT_T0_E_clISt17integral_constantIbLb0EES1J_IbLb1EEEEDaS1F_S1G_EUlS1F_E_NS1_11comp_targetILNS1_3genE4ELNS1_11target_archE910ELNS1_3gpuE8ELNS1_3repE0EEENS1_30default_config_static_selectorELNS0_4arch9wavefront6targetE0EEEvT1_.num_vgpr, 0
	.set _ZN7rocprim17ROCPRIM_400000_NS6detail17trampoline_kernelINS0_14default_configENS1_25partition_config_selectorILNS1_17partition_subalgoE6EjNS0_10empty_typeEbEEZZNS1_14partition_implILS5_6ELb0ES3_mN6thrust23THRUST_200600_302600_NS6detail15normal_iteratorINSA_10device_ptrIjEEEEPS6_SG_NS0_5tupleIJSF_S6_EEENSH_IJSG_SG_EEES6_PlJNSB_9not_fun_tINSB_10functional5actorINSM_9compositeIJNSM_27transparent_binary_operatorINSA_8equal_toIvEEEENSN_INSM_8argumentILj0EEEEENSM_5valueIjEEEEEEEEEEEE10hipError_tPvRmT3_T4_T5_T6_T7_T9_mT8_P12ihipStream_tbDpT10_ENKUlT_T0_E_clISt17integral_constantIbLb0EES1J_IbLb1EEEEDaS1F_S1G_EUlS1F_E_NS1_11comp_targetILNS1_3genE4ELNS1_11target_archE910ELNS1_3gpuE8ELNS1_3repE0EEENS1_30default_config_static_selectorELNS0_4arch9wavefront6targetE0EEEvT1_.num_agpr, 0
	.set _ZN7rocprim17ROCPRIM_400000_NS6detail17trampoline_kernelINS0_14default_configENS1_25partition_config_selectorILNS1_17partition_subalgoE6EjNS0_10empty_typeEbEEZZNS1_14partition_implILS5_6ELb0ES3_mN6thrust23THRUST_200600_302600_NS6detail15normal_iteratorINSA_10device_ptrIjEEEEPS6_SG_NS0_5tupleIJSF_S6_EEENSH_IJSG_SG_EEES6_PlJNSB_9not_fun_tINSB_10functional5actorINSM_9compositeIJNSM_27transparent_binary_operatorINSA_8equal_toIvEEEENSN_INSM_8argumentILj0EEEEENSM_5valueIjEEEEEEEEEEEE10hipError_tPvRmT3_T4_T5_T6_T7_T9_mT8_P12ihipStream_tbDpT10_ENKUlT_T0_E_clISt17integral_constantIbLb0EES1J_IbLb1EEEEDaS1F_S1G_EUlS1F_E_NS1_11comp_targetILNS1_3genE4ELNS1_11target_archE910ELNS1_3gpuE8ELNS1_3repE0EEENS1_30default_config_static_selectorELNS0_4arch9wavefront6targetE0EEEvT1_.numbered_sgpr, 0
	.set _ZN7rocprim17ROCPRIM_400000_NS6detail17trampoline_kernelINS0_14default_configENS1_25partition_config_selectorILNS1_17partition_subalgoE6EjNS0_10empty_typeEbEEZZNS1_14partition_implILS5_6ELb0ES3_mN6thrust23THRUST_200600_302600_NS6detail15normal_iteratorINSA_10device_ptrIjEEEEPS6_SG_NS0_5tupleIJSF_S6_EEENSH_IJSG_SG_EEES6_PlJNSB_9not_fun_tINSB_10functional5actorINSM_9compositeIJNSM_27transparent_binary_operatorINSA_8equal_toIvEEEENSN_INSM_8argumentILj0EEEEENSM_5valueIjEEEEEEEEEEEE10hipError_tPvRmT3_T4_T5_T6_T7_T9_mT8_P12ihipStream_tbDpT10_ENKUlT_T0_E_clISt17integral_constantIbLb0EES1J_IbLb1EEEEDaS1F_S1G_EUlS1F_E_NS1_11comp_targetILNS1_3genE4ELNS1_11target_archE910ELNS1_3gpuE8ELNS1_3repE0EEENS1_30default_config_static_selectorELNS0_4arch9wavefront6targetE0EEEvT1_.num_named_barrier, 0
	.set _ZN7rocprim17ROCPRIM_400000_NS6detail17trampoline_kernelINS0_14default_configENS1_25partition_config_selectorILNS1_17partition_subalgoE6EjNS0_10empty_typeEbEEZZNS1_14partition_implILS5_6ELb0ES3_mN6thrust23THRUST_200600_302600_NS6detail15normal_iteratorINSA_10device_ptrIjEEEEPS6_SG_NS0_5tupleIJSF_S6_EEENSH_IJSG_SG_EEES6_PlJNSB_9not_fun_tINSB_10functional5actorINSM_9compositeIJNSM_27transparent_binary_operatorINSA_8equal_toIvEEEENSN_INSM_8argumentILj0EEEEENSM_5valueIjEEEEEEEEEEEE10hipError_tPvRmT3_T4_T5_T6_T7_T9_mT8_P12ihipStream_tbDpT10_ENKUlT_T0_E_clISt17integral_constantIbLb0EES1J_IbLb1EEEEDaS1F_S1G_EUlS1F_E_NS1_11comp_targetILNS1_3genE4ELNS1_11target_archE910ELNS1_3gpuE8ELNS1_3repE0EEENS1_30default_config_static_selectorELNS0_4arch9wavefront6targetE0EEEvT1_.private_seg_size, 0
	.set _ZN7rocprim17ROCPRIM_400000_NS6detail17trampoline_kernelINS0_14default_configENS1_25partition_config_selectorILNS1_17partition_subalgoE6EjNS0_10empty_typeEbEEZZNS1_14partition_implILS5_6ELb0ES3_mN6thrust23THRUST_200600_302600_NS6detail15normal_iteratorINSA_10device_ptrIjEEEEPS6_SG_NS0_5tupleIJSF_S6_EEENSH_IJSG_SG_EEES6_PlJNSB_9not_fun_tINSB_10functional5actorINSM_9compositeIJNSM_27transparent_binary_operatorINSA_8equal_toIvEEEENSN_INSM_8argumentILj0EEEEENSM_5valueIjEEEEEEEEEEEE10hipError_tPvRmT3_T4_T5_T6_T7_T9_mT8_P12ihipStream_tbDpT10_ENKUlT_T0_E_clISt17integral_constantIbLb0EES1J_IbLb1EEEEDaS1F_S1G_EUlS1F_E_NS1_11comp_targetILNS1_3genE4ELNS1_11target_archE910ELNS1_3gpuE8ELNS1_3repE0EEENS1_30default_config_static_selectorELNS0_4arch9wavefront6targetE0EEEvT1_.uses_vcc, 0
	.set _ZN7rocprim17ROCPRIM_400000_NS6detail17trampoline_kernelINS0_14default_configENS1_25partition_config_selectorILNS1_17partition_subalgoE6EjNS0_10empty_typeEbEEZZNS1_14partition_implILS5_6ELb0ES3_mN6thrust23THRUST_200600_302600_NS6detail15normal_iteratorINSA_10device_ptrIjEEEEPS6_SG_NS0_5tupleIJSF_S6_EEENSH_IJSG_SG_EEES6_PlJNSB_9not_fun_tINSB_10functional5actorINSM_9compositeIJNSM_27transparent_binary_operatorINSA_8equal_toIvEEEENSN_INSM_8argumentILj0EEEEENSM_5valueIjEEEEEEEEEEEE10hipError_tPvRmT3_T4_T5_T6_T7_T9_mT8_P12ihipStream_tbDpT10_ENKUlT_T0_E_clISt17integral_constantIbLb0EES1J_IbLb1EEEEDaS1F_S1G_EUlS1F_E_NS1_11comp_targetILNS1_3genE4ELNS1_11target_archE910ELNS1_3gpuE8ELNS1_3repE0EEENS1_30default_config_static_selectorELNS0_4arch9wavefront6targetE0EEEvT1_.uses_flat_scratch, 0
	.set _ZN7rocprim17ROCPRIM_400000_NS6detail17trampoline_kernelINS0_14default_configENS1_25partition_config_selectorILNS1_17partition_subalgoE6EjNS0_10empty_typeEbEEZZNS1_14partition_implILS5_6ELb0ES3_mN6thrust23THRUST_200600_302600_NS6detail15normal_iteratorINSA_10device_ptrIjEEEEPS6_SG_NS0_5tupleIJSF_S6_EEENSH_IJSG_SG_EEES6_PlJNSB_9not_fun_tINSB_10functional5actorINSM_9compositeIJNSM_27transparent_binary_operatorINSA_8equal_toIvEEEENSN_INSM_8argumentILj0EEEEENSM_5valueIjEEEEEEEEEEEE10hipError_tPvRmT3_T4_T5_T6_T7_T9_mT8_P12ihipStream_tbDpT10_ENKUlT_T0_E_clISt17integral_constantIbLb0EES1J_IbLb1EEEEDaS1F_S1G_EUlS1F_E_NS1_11comp_targetILNS1_3genE4ELNS1_11target_archE910ELNS1_3gpuE8ELNS1_3repE0EEENS1_30default_config_static_selectorELNS0_4arch9wavefront6targetE0EEEvT1_.has_dyn_sized_stack, 0
	.set _ZN7rocprim17ROCPRIM_400000_NS6detail17trampoline_kernelINS0_14default_configENS1_25partition_config_selectorILNS1_17partition_subalgoE6EjNS0_10empty_typeEbEEZZNS1_14partition_implILS5_6ELb0ES3_mN6thrust23THRUST_200600_302600_NS6detail15normal_iteratorINSA_10device_ptrIjEEEEPS6_SG_NS0_5tupleIJSF_S6_EEENSH_IJSG_SG_EEES6_PlJNSB_9not_fun_tINSB_10functional5actorINSM_9compositeIJNSM_27transparent_binary_operatorINSA_8equal_toIvEEEENSN_INSM_8argumentILj0EEEEENSM_5valueIjEEEEEEEEEEEE10hipError_tPvRmT3_T4_T5_T6_T7_T9_mT8_P12ihipStream_tbDpT10_ENKUlT_T0_E_clISt17integral_constantIbLb0EES1J_IbLb1EEEEDaS1F_S1G_EUlS1F_E_NS1_11comp_targetILNS1_3genE4ELNS1_11target_archE910ELNS1_3gpuE8ELNS1_3repE0EEENS1_30default_config_static_selectorELNS0_4arch9wavefront6targetE0EEEvT1_.has_recursion, 0
	.set _ZN7rocprim17ROCPRIM_400000_NS6detail17trampoline_kernelINS0_14default_configENS1_25partition_config_selectorILNS1_17partition_subalgoE6EjNS0_10empty_typeEbEEZZNS1_14partition_implILS5_6ELb0ES3_mN6thrust23THRUST_200600_302600_NS6detail15normal_iteratorINSA_10device_ptrIjEEEEPS6_SG_NS0_5tupleIJSF_S6_EEENSH_IJSG_SG_EEES6_PlJNSB_9not_fun_tINSB_10functional5actorINSM_9compositeIJNSM_27transparent_binary_operatorINSA_8equal_toIvEEEENSN_INSM_8argumentILj0EEEEENSM_5valueIjEEEEEEEEEEEE10hipError_tPvRmT3_T4_T5_T6_T7_T9_mT8_P12ihipStream_tbDpT10_ENKUlT_T0_E_clISt17integral_constantIbLb0EES1J_IbLb1EEEEDaS1F_S1G_EUlS1F_E_NS1_11comp_targetILNS1_3genE4ELNS1_11target_archE910ELNS1_3gpuE8ELNS1_3repE0EEENS1_30default_config_static_selectorELNS0_4arch9wavefront6targetE0EEEvT1_.has_indirect_call, 0
	.section	.AMDGPU.csdata,"",@progbits
; Kernel info:
; codeLenInByte = 0
; TotalNumSgprs: 0
; NumVgprs: 0
; ScratchSize: 0
; MemoryBound: 0
; FloatMode: 240
; IeeeMode: 1
; LDSByteSize: 0 bytes/workgroup (compile time only)
; SGPRBlocks: 0
; VGPRBlocks: 0
; NumSGPRsForWavesPerEU: 1
; NumVGPRsForWavesPerEU: 1
; Occupancy: 16
; WaveLimiterHint : 0
; COMPUTE_PGM_RSRC2:SCRATCH_EN: 0
; COMPUTE_PGM_RSRC2:USER_SGPR: 2
; COMPUTE_PGM_RSRC2:TRAP_HANDLER: 0
; COMPUTE_PGM_RSRC2:TGID_X_EN: 1
; COMPUTE_PGM_RSRC2:TGID_Y_EN: 0
; COMPUTE_PGM_RSRC2:TGID_Z_EN: 0
; COMPUTE_PGM_RSRC2:TIDIG_COMP_CNT: 0
	.section	.text._ZN7rocprim17ROCPRIM_400000_NS6detail17trampoline_kernelINS0_14default_configENS1_25partition_config_selectorILNS1_17partition_subalgoE6EjNS0_10empty_typeEbEEZZNS1_14partition_implILS5_6ELb0ES3_mN6thrust23THRUST_200600_302600_NS6detail15normal_iteratorINSA_10device_ptrIjEEEEPS6_SG_NS0_5tupleIJSF_S6_EEENSH_IJSG_SG_EEES6_PlJNSB_9not_fun_tINSB_10functional5actorINSM_9compositeIJNSM_27transparent_binary_operatorINSA_8equal_toIvEEEENSN_INSM_8argumentILj0EEEEENSM_5valueIjEEEEEEEEEEEE10hipError_tPvRmT3_T4_T5_T6_T7_T9_mT8_P12ihipStream_tbDpT10_ENKUlT_T0_E_clISt17integral_constantIbLb0EES1J_IbLb1EEEEDaS1F_S1G_EUlS1F_E_NS1_11comp_targetILNS1_3genE3ELNS1_11target_archE908ELNS1_3gpuE7ELNS1_3repE0EEENS1_30default_config_static_selectorELNS0_4arch9wavefront6targetE0EEEvT1_,"axG",@progbits,_ZN7rocprim17ROCPRIM_400000_NS6detail17trampoline_kernelINS0_14default_configENS1_25partition_config_selectorILNS1_17partition_subalgoE6EjNS0_10empty_typeEbEEZZNS1_14partition_implILS5_6ELb0ES3_mN6thrust23THRUST_200600_302600_NS6detail15normal_iteratorINSA_10device_ptrIjEEEEPS6_SG_NS0_5tupleIJSF_S6_EEENSH_IJSG_SG_EEES6_PlJNSB_9not_fun_tINSB_10functional5actorINSM_9compositeIJNSM_27transparent_binary_operatorINSA_8equal_toIvEEEENSN_INSM_8argumentILj0EEEEENSM_5valueIjEEEEEEEEEEEE10hipError_tPvRmT3_T4_T5_T6_T7_T9_mT8_P12ihipStream_tbDpT10_ENKUlT_T0_E_clISt17integral_constantIbLb0EES1J_IbLb1EEEEDaS1F_S1G_EUlS1F_E_NS1_11comp_targetILNS1_3genE3ELNS1_11target_archE908ELNS1_3gpuE7ELNS1_3repE0EEENS1_30default_config_static_selectorELNS0_4arch9wavefront6targetE0EEEvT1_,comdat
	.protected	_ZN7rocprim17ROCPRIM_400000_NS6detail17trampoline_kernelINS0_14default_configENS1_25partition_config_selectorILNS1_17partition_subalgoE6EjNS0_10empty_typeEbEEZZNS1_14partition_implILS5_6ELb0ES3_mN6thrust23THRUST_200600_302600_NS6detail15normal_iteratorINSA_10device_ptrIjEEEEPS6_SG_NS0_5tupleIJSF_S6_EEENSH_IJSG_SG_EEES6_PlJNSB_9not_fun_tINSB_10functional5actorINSM_9compositeIJNSM_27transparent_binary_operatorINSA_8equal_toIvEEEENSN_INSM_8argumentILj0EEEEENSM_5valueIjEEEEEEEEEEEE10hipError_tPvRmT3_T4_T5_T6_T7_T9_mT8_P12ihipStream_tbDpT10_ENKUlT_T0_E_clISt17integral_constantIbLb0EES1J_IbLb1EEEEDaS1F_S1G_EUlS1F_E_NS1_11comp_targetILNS1_3genE3ELNS1_11target_archE908ELNS1_3gpuE7ELNS1_3repE0EEENS1_30default_config_static_selectorELNS0_4arch9wavefront6targetE0EEEvT1_ ; -- Begin function _ZN7rocprim17ROCPRIM_400000_NS6detail17trampoline_kernelINS0_14default_configENS1_25partition_config_selectorILNS1_17partition_subalgoE6EjNS0_10empty_typeEbEEZZNS1_14partition_implILS5_6ELb0ES3_mN6thrust23THRUST_200600_302600_NS6detail15normal_iteratorINSA_10device_ptrIjEEEEPS6_SG_NS0_5tupleIJSF_S6_EEENSH_IJSG_SG_EEES6_PlJNSB_9not_fun_tINSB_10functional5actorINSM_9compositeIJNSM_27transparent_binary_operatorINSA_8equal_toIvEEEENSN_INSM_8argumentILj0EEEEENSM_5valueIjEEEEEEEEEEEE10hipError_tPvRmT3_T4_T5_T6_T7_T9_mT8_P12ihipStream_tbDpT10_ENKUlT_T0_E_clISt17integral_constantIbLb0EES1J_IbLb1EEEEDaS1F_S1G_EUlS1F_E_NS1_11comp_targetILNS1_3genE3ELNS1_11target_archE908ELNS1_3gpuE7ELNS1_3repE0EEENS1_30default_config_static_selectorELNS0_4arch9wavefront6targetE0EEEvT1_
	.globl	_ZN7rocprim17ROCPRIM_400000_NS6detail17trampoline_kernelINS0_14default_configENS1_25partition_config_selectorILNS1_17partition_subalgoE6EjNS0_10empty_typeEbEEZZNS1_14partition_implILS5_6ELb0ES3_mN6thrust23THRUST_200600_302600_NS6detail15normal_iteratorINSA_10device_ptrIjEEEEPS6_SG_NS0_5tupleIJSF_S6_EEENSH_IJSG_SG_EEES6_PlJNSB_9not_fun_tINSB_10functional5actorINSM_9compositeIJNSM_27transparent_binary_operatorINSA_8equal_toIvEEEENSN_INSM_8argumentILj0EEEEENSM_5valueIjEEEEEEEEEEEE10hipError_tPvRmT3_T4_T5_T6_T7_T9_mT8_P12ihipStream_tbDpT10_ENKUlT_T0_E_clISt17integral_constantIbLb0EES1J_IbLb1EEEEDaS1F_S1G_EUlS1F_E_NS1_11comp_targetILNS1_3genE3ELNS1_11target_archE908ELNS1_3gpuE7ELNS1_3repE0EEENS1_30default_config_static_selectorELNS0_4arch9wavefront6targetE0EEEvT1_
	.p2align	8
	.type	_ZN7rocprim17ROCPRIM_400000_NS6detail17trampoline_kernelINS0_14default_configENS1_25partition_config_selectorILNS1_17partition_subalgoE6EjNS0_10empty_typeEbEEZZNS1_14partition_implILS5_6ELb0ES3_mN6thrust23THRUST_200600_302600_NS6detail15normal_iteratorINSA_10device_ptrIjEEEEPS6_SG_NS0_5tupleIJSF_S6_EEENSH_IJSG_SG_EEES6_PlJNSB_9not_fun_tINSB_10functional5actorINSM_9compositeIJNSM_27transparent_binary_operatorINSA_8equal_toIvEEEENSN_INSM_8argumentILj0EEEEENSM_5valueIjEEEEEEEEEEEE10hipError_tPvRmT3_T4_T5_T6_T7_T9_mT8_P12ihipStream_tbDpT10_ENKUlT_T0_E_clISt17integral_constantIbLb0EES1J_IbLb1EEEEDaS1F_S1G_EUlS1F_E_NS1_11comp_targetILNS1_3genE3ELNS1_11target_archE908ELNS1_3gpuE7ELNS1_3repE0EEENS1_30default_config_static_selectorELNS0_4arch9wavefront6targetE0EEEvT1_,@function
_ZN7rocprim17ROCPRIM_400000_NS6detail17trampoline_kernelINS0_14default_configENS1_25partition_config_selectorILNS1_17partition_subalgoE6EjNS0_10empty_typeEbEEZZNS1_14partition_implILS5_6ELb0ES3_mN6thrust23THRUST_200600_302600_NS6detail15normal_iteratorINSA_10device_ptrIjEEEEPS6_SG_NS0_5tupleIJSF_S6_EEENSH_IJSG_SG_EEES6_PlJNSB_9not_fun_tINSB_10functional5actorINSM_9compositeIJNSM_27transparent_binary_operatorINSA_8equal_toIvEEEENSN_INSM_8argumentILj0EEEEENSM_5valueIjEEEEEEEEEEEE10hipError_tPvRmT3_T4_T5_T6_T7_T9_mT8_P12ihipStream_tbDpT10_ENKUlT_T0_E_clISt17integral_constantIbLb0EES1J_IbLb1EEEEDaS1F_S1G_EUlS1F_E_NS1_11comp_targetILNS1_3genE3ELNS1_11target_archE908ELNS1_3gpuE7ELNS1_3repE0EEENS1_30default_config_static_selectorELNS0_4arch9wavefront6targetE0EEEvT1_: ; @_ZN7rocprim17ROCPRIM_400000_NS6detail17trampoline_kernelINS0_14default_configENS1_25partition_config_selectorILNS1_17partition_subalgoE6EjNS0_10empty_typeEbEEZZNS1_14partition_implILS5_6ELb0ES3_mN6thrust23THRUST_200600_302600_NS6detail15normal_iteratorINSA_10device_ptrIjEEEEPS6_SG_NS0_5tupleIJSF_S6_EEENSH_IJSG_SG_EEES6_PlJNSB_9not_fun_tINSB_10functional5actorINSM_9compositeIJNSM_27transparent_binary_operatorINSA_8equal_toIvEEEENSN_INSM_8argumentILj0EEEEENSM_5valueIjEEEEEEEEEEEE10hipError_tPvRmT3_T4_T5_T6_T7_T9_mT8_P12ihipStream_tbDpT10_ENKUlT_T0_E_clISt17integral_constantIbLb0EES1J_IbLb1EEEEDaS1F_S1G_EUlS1F_E_NS1_11comp_targetILNS1_3genE3ELNS1_11target_archE908ELNS1_3gpuE7ELNS1_3repE0EEENS1_30default_config_static_selectorELNS0_4arch9wavefront6targetE0EEEvT1_
; %bb.0:
	.section	.rodata,"a",@progbits
	.p2align	6, 0x0
	.amdhsa_kernel _ZN7rocprim17ROCPRIM_400000_NS6detail17trampoline_kernelINS0_14default_configENS1_25partition_config_selectorILNS1_17partition_subalgoE6EjNS0_10empty_typeEbEEZZNS1_14partition_implILS5_6ELb0ES3_mN6thrust23THRUST_200600_302600_NS6detail15normal_iteratorINSA_10device_ptrIjEEEEPS6_SG_NS0_5tupleIJSF_S6_EEENSH_IJSG_SG_EEES6_PlJNSB_9not_fun_tINSB_10functional5actorINSM_9compositeIJNSM_27transparent_binary_operatorINSA_8equal_toIvEEEENSN_INSM_8argumentILj0EEEEENSM_5valueIjEEEEEEEEEEEE10hipError_tPvRmT3_T4_T5_T6_T7_T9_mT8_P12ihipStream_tbDpT10_ENKUlT_T0_E_clISt17integral_constantIbLb0EES1J_IbLb1EEEEDaS1F_S1G_EUlS1F_E_NS1_11comp_targetILNS1_3genE3ELNS1_11target_archE908ELNS1_3gpuE7ELNS1_3repE0EEENS1_30default_config_static_selectorELNS0_4arch9wavefront6targetE0EEEvT1_
		.amdhsa_group_segment_fixed_size 0
		.amdhsa_private_segment_fixed_size 0
		.amdhsa_kernarg_size 128
		.amdhsa_user_sgpr_count 2
		.amdhsa_user_sgpr_dispatch_ptr 0
		.amdhsa_user_sgpr_queue_ptr 0
		.amdhsa_user_sgpr_kernarg_segment_ptr 1
		.amdhsa_user_sgpr_dispatch_id 0
		.amdhsa_user_sgpr_private_segment_size 0
		.amdhsa_wavefront_size32 1
		.amdhsa_uses_dynamic_stack 0
		.amdhsa_enable_private_segment 0
		.amdhsa_system_sgpr_workgroup_id_x 1
		.amdhsa_system_sgpr_workgroup_id_y 0
		.amdhsa_system_sgpr_workgroup_id_z 0
		.amdhsa_system_sgpr_workgroup_info 0
		.amdhsa_system_vgpr_workitem_id 0
		.amdhsa_next_free_vgpr 1
		.amdhsa_next_free_sgpr 1
		.amdhsa_reserve_vcc 0
		.amdhsa_float_round_mode_32 0
		.amdhsa_float_round_mode_16_64 0
		.amdhsa_float_denorm_mode_32 3
		.amdhsa_float_denorm_mode_16_64 3
		.amdhsa_fp16_overflow 0
		.amdhsa_workgroup_processor_mode 1
		.amdhsa_memory_ordered 1
		.amdhsa_forward_progress 1
		.amdhsa_inst_pref_size 0
		.amdhsa_round_robin_scheduling 0
		.amdhsa_exception_fp_ieee_invalid_op 0
		.amdhsa_exception_fp_denorm_src 0
		.amdhsa_exception_fp_ieee_div_zero 0
		.amdhsa_exception_fp_ieee_overflow 0
		.amdhsa_exception_fp_ieee_underflow 0
		.amdhsa_exception_fp_ieee_inexact 0
		.amdhsa_exception_int_div_zero 0
	.end_amdhsa_kernel
	.section	.text._ZN7rocprim17ROCPRIM_400000_NS6detail17trampoline_kernelINS0_14default_configENS1_25partition_config_selectorILNS1_17partition_subalgoE6EjNS0_10empty_typeEbEEZZNS1_14partition_implILS5_6ELb0ES3_mN6thrust23THRUST_200600_302600_NS6detail15normal_iteratorINSA_10device_ptrIjEEEEPS6_SG_NS0_5tupleIJSF_S6_EEENSH_IJSG_SG_EEES6_PlJNSB_9not_fun_tINSB_10functional5actorINSM_9compositeIJNSM_27transparent_binary_operatorINSA_8equal_toIvEEEENSN_INSM_8argumentILj0EEEEENSM_5valueIjEEEEEEEEEEEE10hipError_tPvRmT3_T4_T5_T6_T7_T9_mT8_P12ihipStream_tbDpT10_ENKUlT_T0_E_clISt17integral_constantIbLb0EES1J_IbLb1EEEEDaS1F_S1G_EUlS1F_E_NS1_11comp_targetILNS1_3genE3ELNS1_11target_archE908ELNS1_3gpuE7ELNS1_3repE0EEENS1_30default_config_static_selectorELNS0_4arch9wavefront6targetE0EEEvT1_,"axG",@progbits,_ZN7rocprim17ROCPRIM_400000_NS6detail17trampoline_kernelINS0_14default_configENS1_25partition_config_selectorILNS1_17partition_subalgoE6EjNS0_10empty_typeEbEEZZNS1_14partition_implILS5_6ELb0ES3_mN6thrust23THRUST_200600_302600_NS6detail15normal_iteratorINSA_10device_ptrIjEEEEPS6_SG_NS0_5tupleIJSF_S6_EEENSH_IJSG_SG_EEES6_PlJNSB_9not_fun_tINSB_10functional5actorINSM_9compositeIJNSM_27transparent_binary_operatorINSA_8equal_toIvEEEENSN_INSM_8argumentILj0EEEEENSM_5valueIjEEEEEEEEEEEE10hipError_tPvRmT3_T4_T5_T6_T7_T9_mT8_P12ihipStream_tbDpT10_ENKUlT_T0_E_clISt17integral_constantIbLb0EES1J_IbLb1EEEEDaS1F_S1G_EUlS1F_E_NS1_11comp_targetILNS1_3genE3ELNS1_11target_archE908ELNS1_3gpuE7ELNS1_3repE0EEENS1_30default_config_static_selectorELNS0_4arch9wavefront6targetE0EEEvT1_,comdat
.Lfunc_end140:
	.size	_ZN7rocprim17ROCPRIM_400000_NS6detail17trampoline_kernelINS0_14default_configENS1_25partition_config_selectorILNS1_17partition_subalgoE6EjNS0_10empty_typeEbEEZZNS1_14partition_implILS5_6ELb0ES3_mN6thrust23THRUST_200600_302600_NS6detail15normal_iteratorINSA_10device_ptrIjEEEEPS6_SG_NS0_5tupleIJSF_S6_EEENSH_IJSG_SG_EEES6_PlJNSB_9not_fun_tINSB_10functional5actorINSM_9compositeIJNSM_27transparent_binary_operatorINSA_8equal_toIvEEEENSN_INSM_8argumentILj0EEEEENSM_5valueIjEEEEEEEEEEEE10hipError_tPvRmT3_T4_T5_T6_T7_T9_mT8_P12ihipStream_tbDpT10_ENKUlT_T0_E_clISt17integral_constantIbLb0EES1J_IbLb1EEEEDaS1F_S1G_EUlS1F_E_NS1_11comp_targetILNS1_3genE3ELNS1_11target_archE908ELNS1_3gpuE7ELNS1_3repE0EEENS1_30default_config_static_selectorELNS0_4arch9wavefront6targetE0EEEvT1_, .Lfunc_end140-_ZN7rocprim17ROCPRIM_400000_NS6detail17trampoline_kernelINS0_14default_configENS1_25partition_config_selectorILNS1_17partition_subalgoE6EjNS0_10empty_typeEbEEZZNS1_14partition_implILS5_6ELb0ES3_mN6thrust23THRUST_200600_302600_NS6detail15normal_iteratorINSA_10device_ptrIjEEEEPS6_SG_NS0_5tupleIJSF_S6_EEENSH_IJSG_SG_EEES6_PlJNSB_9not_fun_tINSB_10functional5actorINSM_9compositeIJNSM_27transparent_binary_operatorINSA_8equal_toIvEEEENSN_INSM_8argumentILj0EEEEENSM_5valueIjEEEEEEEEEEEE10hipError_tPvRmT3_T4_T5_T6_T7_T9_mT8_P12ihipStream_tbDpT10_ENKUlT_T0_E_clISt17integral_constantIbLb0EES1J_IbLb1EEEEDaS1F_S1G_EUlS1F_E_NS1_11comp_targetILNS1_3genE3ELNS1_11target_archE908ELNS1_3gpuE7ELNS1_3repE0EEENS1_30default_config_static_selectorELNS0_4arch9wavefront6targetE0EEEvT1_
                                        ; -- End function
	.set _ZN7rocprim17ROCPRIM_400000_NS6detail17trampoline_kernelINS0_14default_configENS1_25partition_config_selectorILNS1_17partition_subalgoE6EjNS0_10empty_typeEbEEZZNS1_14partition_implILS5_6ELb0ES3_mN6thrust23THRUST_200600_302600_NS6detail15normal_iteratorINSA_10device_ptrIjEEEEPS6_SG_NS0_5tupleIJSF_S6_EEENSH_IJSG_SG_EEES6_PlJNSB_9not_fun_tINSB_10functional5actorINSM_9compositeIJNSM_27transparent_binary_operatorINSA_8equal_toIvEEEENSN_INSM_8argumentILj0EEEEENSM_5valueIjEEEEEEEEEEEE10hipError_tPvRmT3_T4_T5_T6_T7_T9_mT8_P12ihipStream_tbDpT10_ENKUlT_T0_E_clISt17integral_constantIbLb0EES1J_IbLb1EEEEDaS1F_S1G_EUlS1F_E_NS1_11comp_targetILNS1_3genE3ELNS1_11target_archE908ELNS1_3gpuE7ELNS1_3repE0EEENS1_30default_config_static_selectorELNS0_4arch9wavefront6targetE0EEEvT1_.num_vgpr, 0
	.set _ZN7rocprim17ROCPRIM_400000_NS6detail17trampoline_kernelINS0_14default_configENS1_25partition_config_selectorILNS1_17partition_subalgoE6EjNS0_10empty_typeEbEEZZNS1_14partition_implILS5_6ELb0ES3_mN6thrust23THRUST_200600_302600_NS6detail15normal_iteratorINSA_10device_ptrIjEEEEPS6_SG_NS0_5tupleIJSF_S6_EEENSH_IJSG_SG_EEES6_PlJNSB_9not_fun_tINSB_10functional5actorINSM_9compositeIJNSM_27transparent_binary_operatorINSA_8equal_toIvEEEENSN_INSM_8argumentILj0EEEEENSM_5valueIjEEEEEEEEEEEE10hipError_tPvRmT3_T4_T5_T6_T7_T9_mT8_P12ihipStream_tbDpT10_ENKUlT_T0_E_clISt17integral_constantIbLb0EES1J_IbLb1EEEEDaS1F_S1G_EUlS1F_E_NS1_11comp_targetILNS1_3genE3ELNS1_11target_archE908ELNS1_3gpuE7ELNS1_3repE0EEENS1_30default_config_static_selectorELNS0_4arch9wavefront6targetE0EEEvT1_.num_agpr, 0
	.set _ZN7rocprim17ROCPRIM_400000_NS6detail17trampoline_kernelINS0_14default_configENS1_25partition_config_selectorILNS1_17partition_subalgoE6EjNS0_10empty_typeEbEEZZNS1_14partition_implILS5_6ELb0ES3_mN6thrust23THRUST_200600_302600_NS6detail15normal_iteratorINSA_10device_ptrIjEEEEPS6_SG_NS0_5tupleIJSF_S6_EEENSH_IJSG_SG_EEES6_PlJNSB_9not_fun_tINSB_10functional5actorINSM_9compositeIJNSM_27transparent_binary_operatorINSA_8equal_toIvEEEENSN_INSM_8argumentILj0EEEEENSM_5valueIjEEEEEEEEEEEE10hipError_tPvRmT3_T4_T5_T6_T7_T9_mT8_P12ihipStream_tbDpT10_ENKUlT_T0_E_clISt17integral_constantIbLb0EES1J_IbLb1EEEEDaS1F_S1G_EUlS1F_E_NS1_11comp_targetILNS1_3genE3ELNS1_11target_archE908ELNS1_3gpuE7ELNS1_3repE0EEENS1_30default_config_static_selectorELNS0_4arch9wavefront6targetE0EEEvT1_.numbered_sgpr, 0
	.set _ZN7rocprim17ROCPRIM_400000_NS6detail17trampoline_kernelINS0_14default_configENS1_25partition_config_selectorILNS1_17partition_subalgoE6EjNS0_10empty_typeEbEEZZNS1_14partition_implILS5_6ELb0ES3_mN6thrust23THRUST_200600_302600_NS6detail15normal_iteratorINSA_10device_ptrIjEEEEPS6_SG_NS0_5tupleIJSF_S6_EEENSH_IJSG_SG_EEES6_PlJNSB_9not_fun_tINSB_10functional5actorINSM_9compositeIJNSM_27transparent_binary_operatorINSA_8equal_toIvEEEENSN_INSM_8argumentILj0EEEEENSM_5valueIjEEEEEEEEEEEE10hipError_tPvRmT3_T4_T5_T6_T7_T9_mT8_P12ihipStream_tbDpT10_ENKUlT_T0_E_clISt17integral_constantIbLb0EES1J_IbLb1EEEEDaS1F_S1G_EUlS1F_E_NS1_11comp_targetILNS1_3genE3ELNS1_11target_archE908ELNS1_3gpuE7ELNS1_3repE0EEENS1_30default_config_static_selectorELNS0_4arch9wavefront6targetE0EEEvT1_.num_named_barrier, 0
	.set _ZN7rocprim17ROCPRIM_400000_NS6detail17trampoline_kernelINS0_14default_configENS1_25partition_config_selectorILNS1_17partition_subalgoE6EjNS0_10empty_typeEbEEZZNS1_14partition_implILS5_6ELb0ES3_mN6thrust23THRUST_200600_302600_NS6detail15normal_iteratorINSA_10device_ptrIjEEEEPS6_SG_NS0_5tupleIJSF_S6_EEENSH_IJSG_SG_EEES6_PlJNSB_9not_fun_tINSB_10functional5actorINSM_9compositeIJNSM_27transparent_binary_operatorINSA_8equal_toIvEEEENSN_INSM_8argumentILj0EEEEENSM_5valueIjEEEEEEEEEEEE10hipError_tPvRmT3_T4_T5_T6_T7_T9_mT8_P12ihipStream_tbDpT10_ENKUlT_T0_E_clISt17integral_constantIbLb0EES1J_IbLb1EEEEDaS1F_S1G_EUlS1F_E_NS1_11comp_targetILNS1_3genE3ELNS1_11target_archE908ELNS1_3gpuE7ELNS1_3repE0EEENS1_30default_config_static_selectorELNS0_4arch9wavefront6targetE0EEEvT1_.private_seg_size, 0
	.set _ZN7rocprim17ROCPRIM_400000_NS6detail17trampoline_kernelINS0_14default_configENS1_25partition_config_selectorILNS1_17partition_subalgoE6EjNS0_10empty_typeEbEEZZNS1_14partition_implILS5_6ELb0ES3_mN6thrust23THRUST_200600_302600_NS6detail15normal_iteratorINSA_10device_ptrIjEEEEPS6_SG_NS0_5tupleIJSF_S6_EEENSH_IJSG_SG_EEES6_PlJNSB_9not_fun_tINSB_10functional5actorINSM_9compositeIJNSM_27transparent_binary_operatorINSA_8equal_toIvEEEENSN_INSM_8argumentILj0EEEEENSM_5valueIjEEEEEEEEEEEE10hipError_tPvRmT3_T4_T5_T6_T7_T9_mT8_P12ihipStream_tbDpT10_ENKUlT_T0_E_clISt17integral_constantIbLb0EES1J_IbLb1EEEEDaS1F_S1G_EUlS1F_E_NS1_11comp_targetILNS1_3genE3ELNS1_11target_archE908ELNS1_3gpuE7ELNS1_3repE0EEENS1_30default_config_static_selectorELNS0_4arch9wavefront6targetE0EEEvT1_.uses_vcc, 0
	.set _ZN7rocprim17ROCPRIM_400000_NS6detail17trampoline_kernelINS0_14default_configENS1_25partition_config_selectorILNS1_17partition_subalgoE6EjNS0_10empty_typeEbEEZZNS1_14partition_implILS5_6ELb0ES3_mN6thrust23THRUST_200600_302600_NS6detail15normal_iteratorINSA_10device_ptrIjEEEEPS6_SG_NS0_5tupleIJSF_S6_EEENSH_IJSG_SG_EEES6_PlJNSB_9not_fun_tINSB_10functional5actorINSM_9compositeIJNSM_27transparent_binary_operatorINSA_8equal_toIvEEEENSN_INSM_8argumentILj0EEEEENSM_5valueIjEEEEEEEEEEEE10hipError_tPvRmT3_T4_T5_T6_T7_T9_mT8_P12ihipStream_tbDpT10_ENKUlT_T0_E_clISt17integral_constantIbLb0EES1J_IbLb1EEEEDaS1F_S1G_EUlS1F_E_NS1_11comp_targetILNS1_3genE3ELNS1_11target_archE908ELNS1_3gpuE7ELNS1_3repE0EEENS1_30default_config_static_selectorELNS0_4arch9wavefront6targetE0EEEvT1_.uses_flat_scratch, 0
	.set _ZN7rocprim17ROCPRIM_400000_NS6detail17trampoline_kernelINS0_14default_configENS1_25partition_config_selectorILNS1_17partition_subalgoE6EjNS0_10empty_typeEbEEZZNS1_14partition_implILS5_6ELb0ES3_mN6thrust23THRUST_200600_302600_NS6detail15normal_iteratorINSA_10device_ptrIjEEEEPS6_SG_NS0_5tupleIJSF_S6_EEENSH_IJSG_SG_EEES6_PlJNSB_9not_fun_tINSB_10functional5actorINSM_9compositeIJNSM_27transparent_binary_operatorINSA_8equal_toIvEEEENSN_INSM_8argumentILj0EEEEENSM_5valueIjEEEEEEEEEEEE10hipError_tPvRmT3_T4_T5_T6_T7_T9_mT8_P12ihipStream_tbDpT10_ENKUlT_T0_E_clISt17integral_constantIbLb0EES1J_IbLb1EEEEDaS1F_S1G_EUlS1F_E_NS1_11comp_targetILNS1_3genE3ELNS1_11target_archE908ELNS1_3gpuE7ELNS1_3repE0EEENS1_30default_config_static_selectorELNS0_4arch9wavefront6targetE0EEEvT1_.has_dyn_sized_stack, 0
	.set _ZN7rocprim17ROCPRIM_400000_NS6detail17trampoline_kernelINS0_14default_configENS1_25partition_config_selectorILNS1_17partition_subalgoE6EjNS0_10empty_typeEbEEZZNS1_14partition_implILS5_6ELb0ES3_mN6thrust23THRUST_200600_302600_NS6detail15normal_iteratorINSA_10device_ptrIjEEEEPS6_SG_NS0_5tupleIJSF_S6_EEENSH_IJSG_SG_EEES6_PlJNSB_9not_fun_tINSB_10functional5actorINSM_9compositeIJNSM_27transparent_binary_operatorINSA_8equal_toIvEEEENSN_INSM_8argumentILj0EEEEENSM_5valueIjEEEEEEEEEEEE10hipError_tPvRmT3_T4_T5_T6_T7_T9_mT8_P12ihipStream_tbDpT10_ENKUlT_T0_E_clISt17integral_constantIbLb0EES1J_IbLb1EEEEDaS1F_S1G_EUlS1F_E_NS1_11comp_targetILNS1_3genE3ELNS1_11target_archE908ELNS1_3gpuE7ELNS1_3repE0EEENS1_30default_config_static_selectorELNS0_4arch9wavefront6targetE0EEEvT1_.has_recursion, 0
	.set _ZN7rocprim17ROCPRIM_400000_NS6detail17trampoline_kernelINS0_14default_configENS1_25partition_config_selectorILNS1_17partition_subalgoE6EjNS0_10empty_typeEbEEZZNS1_14partition_implILS5_6ELb0ES3_mN6thrust23THRUST_200600_302600_NS6detail15normal_iteratorINSA_10device_ptrIjEEEEPS6_SG_NS0_5tupleIJSF_S6_EEENSH_IJSG_SG_EEES6_PlJNSB_9not_fun_tINSB_10functional5actorINSM_9compositeIJNSM_27transparent_binary_operatorINSA_8equal_toIvEEEENSN_INSM_8argumentILj0EEEEENSM_5valueIjEEEEEEEEEEEE10hipError_tPvRmT3_T4_T5_T6_T7_T9_mT8_P12ihipStream_tbDpT10_ENKUlT_T0_E_clISt17integral_constantIbLb0EES1J_IbLb1EEEEDaS1F_S1G_EUlS1F_E_NS1_11comp_targetILNS1_3genE3ELNS1_11target_archE908ELNS1_3gpuE7ELNS1_3repE0EEENS1_30default_config_static_selectorELNS0_4arch9wavefront6targetE0EEEvT1_.has_indirect_call, 0
	.section	.AMDGPU.csdata,"",@progbits
; Kernel info:
; codeLenInByte = 0
; TotalNumSgprs: 0
; NumVgprs: 0
; ScratchSize: 0
; MemoryBound: 0
; FloatMode: 240
; IeeeMode: 1
; LDSByteSize: 0 bytes/workgroup (compile time only)
; SGPRBlocks: 0
; VGPRBlocks: 0
; NumSGPRsForWavesPerEU: 1
; NumVGPRsForWavesPerEU: 1
; Occupancy: 16
; WaveLimiterHint : 0
; COMPUTE_PGM_RSRC2:SCRATCH_EN: 0
; COMPUTE_PGM_RSRC2:USER_SGPR: 2
; COMPUTE_PGM_RSRC2:TRAP_HANDLER: 0
; COMPUTE_PGM_RSRC2:TGID_X_EN: 1
; COMPUTE_PGM_RSRC2:TGID_Y_EN: 0
; COMPUTE_PGM_RSRC2:TGID_Z_EN: 0
; COMPUTE_PGM_RSRC2:TIDIG_COMP_CNT: 0
	.section	.text._ZN7rocprim17ROCPRIM_400000_NS6detail17trampoline_kernelINS0_14default_configENS1_25partition_config_selectorILNS1_17partition_subalgoE6EjNS0_10empty_typeEbEEZZNS1_14partition_implILS5_6ELb0ES3_mN6thrust23THRUST_200600_302600_NS6detail15normal_iteratorINSA_10device_ptrIjEEEEPS6_SG_NS0_5tupleIJSF_S6_EEENSH_IJSG_SG_EEES6_PlJNSB_9not_fun_tINSB_10functional5actorINSM_9compositeIJNSM_27transparent_binary_operatorINSA_8equal_toIvEEEENSN_INSM_8argumentILj0EEEEENSM_5valueIjEEEEEEEEEEEE10hipError_tPvRmT3_T4_T5_T6_T7_T9_mT8_P12ihipStream_tbDpT10_ENKUlT_T0_E_clISt17integral_constantIbLb0EES1J_IbLb1EEEEDaS1F_S1G_EUlS1F_E_NS1_11comp_targetILNS1_3genE2ELNS1_11target_archE906ELNS1_3gpuE6ELNS1_3repE0EEENS1_30default_config_static_selectorELNS0_4arch9wavefront6targetE0EEEvT1_,"axG",@progbits,_ZN7rocprim17ROCPRIM_400000_NS6detail17trampoline_kernelINS0_14default_configENS1_25partition_config_selectorILNS1_17partition_subalgoE6EjNS0_10empty_typeEbEEZZNS1_14partition_implILS5_6ELb0ES3_mN6thrust23THRUST_200600_302600_NS6detail15normal_iteratorINSA_10device_ptrIjEEEEPS6_SG_NS0_5tupleIJSF_S6_EEENSH_IJSG_SG_EEES6_PlJNSB_9not_fun_tINSB_10functional5actorINSM_9compositeIJNSM_27transparent_binary_operatorINSA_8equal_toIvEEEENSN_INSM_8argumentILj0EEEEENSM_5valueIjEEEEEEEEEEEE10hipError_tPvRmT3_T4_T5_T6_T7_T9_mT8_P12ihipStream_tbDpT10_ENKUlT_T0_E_clISt17integral_constantIbLb0EES1J_IbLb1EEEEDaS1F_S1G_EUlS1F_E_NS1_11comp_targetILNS1_3genE2ELNS1_11target_archE906ELNS1_3gpuE6ELNS1_3repE0EEENS1_30default_config_static_selectorELNS0_4arch9wavefront6targetE0EEEvT1_,comdat
	.protected	_ZN7rocprim17ROCPRIM_400000_NS6detail17trampoline_kernelINS0_14default_configENS1_25partition_config_selectorILNS1_17partition_subalgoE6EjNS0_10empty_typeEbEEZZNS1_14partition_implILS5_6ELb0ES3_mN6thrust23THRUST_200600_302600_NS6detail15normal_iteratorINSA_10device_ptrIjEEEEPS6_SG_NS0_5tupleIJSF_S6_EEENSH_IJSG_SG_EEES6_PlJNSB_9not_fun_tINSB_10functional5actorINSM_9compositeIJNSM_27transparent_binary_operatorINSA_8equal_toIvEEEENSN_INSM_8argumentILj0EEEEENSM_5valueIjEEEEEEEEEEEE10hipError_tPvRmT3_T4_T5_T6_T7_T9_mT8_P12ihipStream_tbDpT10_ENKUlT_T0_E_clISt17integral_constantIbLb0EES1J_IbLb1EEEEDaS1F_S1G_EUlS1F_E_NS1_11comp_targetILNS1_3genE2ELNS1_11target_archE906ELNS1_3gpuE6ELNS1_3repE0EEENS1_30default_config_static_selectorELNS0_4arch9wavefront6targetE0EEEvT1_ ; -- Begin function _ZN7rocprim17ROCPRIM_400000_NS6detail17trampoline_kernelINS0_14default_configENS1_25partition_config_selectorILNS1_17partition_subalgoE6EjNS0_10empty_typeEbEEZZNS1_14partition_implILS5_6ELb0ES3_mN6thrust23THRUST_200600_302600_NS6detail15normal_iteratorINSA_10device_ptrIjEEEEPS6_SG_NS0_5tupleIJSF_S6_EEENSH_IJSG_SG_EEES6_PlJNSB_9not_fun_tINSB_10functional5actorINSM_9compositeIJNSM_27transparent_binary_operatorINSA_8equal_toIvEEEENSN_INSM_8argumentILj0EEEEENSM_5valueIjEEEEEEEEEEEE10hipError_tPvRmT3_T4_T5_T6_T7_T9_mT8_P12ihipStream_tbDpT10_ENKUlT_T0_E_clISt17integral_constantIbLb0EES1J_IbLb1EEEEDaS1F_S1G_EUlS1F_E_NS1_11comp_targetILNS1_3genE2ELNS1_11target_archE906ELNS1_3gpuE6ELNS1_3repE0EEENS1_30default_config_static_selectorELNS0_4arch9wavefront6targetE0EEEvT1_
	.globl	_ZN7rocprim17ROCPRIM_400000_NS6detail17trampoline_kernelINS0_14default_configENS1_25partition_config_selectorILNS1_17partition_subalgoE6EjNS0_10empty_typeEbEEZZNS1_14partition_implILS5_6ELb0ES3_mN6thrust23THRUST_200600_302600_NS6detail15normal_iteratorINSA_10device_ptrIjEEEEPS6_SG_NS0_5tupleIJSF_S6_EEENSH_IJSG_SG_EEES6_PlJNSB_9not_fun_tINSB_10functional5actorINSM_9compositeIJNSM_27transparent_binary_operatorINSA_8equal_toIvEEEENSN_INSM_8argumentILj0EEEEENSM_5valueIjEEEEEEEEEEEE10hipError_tPvRmT3_T4_T5_T6_T7_T9_mT8_P12ihipStream_tbDpT10_ENKUlT_T0_E_clISt17integral_constantIbLb0EES1J_IbLb1EEEEDaS1F_S1G_EUlS1F_E_NS1_11comp_targetILNS1_3genE2ELNS1_11target_archE906ELNS1_3gpuE6ELNS1_3repE0EEENS1_30default_config_static_selectorELNS0_4arch9wavefront6targetE0EEEvT1_
	.p2align	8
	.type	_ZN7rocprim17ROCPRIM_400000_NS6detail17trampoline_kernelINS0_14default_configENS1_25partition_config_selectorILNS1_17partition_subalgoE6EjNS0_10empty_typeEbEEZZNS1_14partition_implILS5_6ELb0ES3_mN6thrust23THRUST_200600_302600_NS6detail15normal_iteratorINSA_10device_ptrIjEEEEPS6_SG_NS0_5tupleIJSF_S6_EEENSH_IJSG_SG_EEES6_PlJNSB_9not_fun_tINSB_10functional5actorINSM_9compositeIJNSM_27transparent_binary_operatorINSA_8equal_toIvEEEENSN_INSM_8argumentILj0EEEEENSM_5valueIjEEEEEEEEEEEE10hipError_tPvRmT3_T4_T5_T6_T7_T9_mT8_P12ihipStream_tbDpT10_ENKUlT_T0_E_clISt17integral_constantIbLb0EES1J_IbLb1EEEEDaS1F_S1G_EUlS1F_E_NS1_11comp_targetILNS1_3genE2ELNS1_11target_archE906ELNS1_3gpuE6ELNS1_3repE0EEENS1_30default_config_static_selectorELNS0_4arch9wavefront6targetE0EEEvT1_,@function
_ZN7rocprim17ROCPRIM_400000_NS6detail17trampoline_kernelINS0_14default_configENS1_25partition_config_selectorILNS1_17partition_subalgoE6EjNS0_10empty_typeEbEEZZNS1_14partition_implILS5_6ELb0ES3_mN6thrust23THRUST_200600_302600_NS6detail15normal_iteratorINSA_10device_ptrIjEEEEPS6_SG_NS0_5tupleIJSF_S6_EEENSH_IJSG_SG_EEES6_PlJNSB_9not_fun_tINSB_10functional5actorINSM_9compositeIJNSM_27transparent_binary_operatorINSA_8equal_toIvEEEENSN_INSM_8argumentILj0EEEEENSM_5valueIjEEEEEEEEEEEE10hipError_tPvRmT3_T4_T5_T6_T7_T9_mT8_P12ihipStream_tbDpT10_ENKUlT_T0_E_clISt17integral_constantIbLb0EES1J_IbLb1EEEEDaS1F_S1G_EUlS1F_E_NS1_11comp_targetILNS1_3genE2ELNS1_11target_archE906ELNS1_3gpuE6ELNS1_3repE0EEENS1_30default_config_static_selectorELNS0_4arch9wavefront6targetE0EEEvT1_: ; @_ZN7rocprim17ROCPRIM_400000_NS6detail17trampoline_kernelINS0_14default_configENS1_25partition_config_selectorILNS1_17partition_subalgoE6EjNS0_10empty_typeEbEEZZNS1_14partition_implILS5_6ELb0ES3_mN6thrust23THRUST_200600_302600_NS6detail15normal_iteratorINSA_10device_ptrIjEEEEPS6_SG_NS0_5tupleIJSF_S6_EEENSH_IJSG_SG_EEES6_PlJNSB_9not_fun_tINSB_10functional5actorINSM_9compositeIJNSM_27transparent_binary_operatorINSA_8equal_toIvEEEENSN_INSM_8argumentILj0EEEEENSM_5valueIjEEEEEEEEEEEE10hipError_tPvRmT3_T4_T5_T6_T7_T9_mT8_P12ihipStream_tbDpT10_ENKUlT_T0_E_clISt17integral_constantIbLb0EES1J_IbLb1EEEEDaS1F_S1G_EUlS1F_E_NS1_11comp_targetILNS1_3genE2ELNS1_11target_archE906ELNS1_3gpuE6ELNS1_3repE0EEENS1_30default_config_static_selectorELNS0_4arch9wavefront6targetE0EEEvT1_
; %bb.0:
	.section	.rodata,"a",@progbits
	.p2align	6, 0x0
	.amdhsa_kernel _ZN7rocprim17ROCPRIM_400000_NS6detail17trampoline_kernelINS0_14default_configENS1_25partition_config_selectorILNS1_17partition_subalgoE6EjNS0_10empty_typeEbEEZZNS1_14partition_implILS5_6ELb0ES3_mN6thrust23THRUST_200600_302600_NS6detail15normal_iteratorINSA_10device_ptrIjEEEEPS6_SG_NS0_5tupleIJSF_S6_EEENSH_IJSG_SG_EEES6_PlJNSB_9not_fun_tINSB_10functional5actorINSM_9compositeIJNSM_27transparent_binary_operatorINSA_8equal_toIvEEEENSN_INSM_8argumentILj0EEEEENSM_5valueIjEEEEEEEEEEEE10hipError_tPvRmT3_T4_T5_T6_T7_T9_mT8_P12ihipStream_tbDpT10_ENKUlT_T0_E_clISt17integral_constantIbLb0EES1J_IbLb1EEEEDaS1F_S1G_EUlS1F_E_NS1_11comp_targetILNS1_3genE2ELNS1_11target_archE906ELNS1_3gpuE6ELNS1_3repE0EEENS1_30default_config_static_selectorELNS0_4arch9wavefront6targetE0EEEvT1_
		.amdhsa_group_segment_fixed_size 0
		.amdhsa_private_segment_fixed_size 0
		.amdhsa_kernarg_size 128
		.amdhsa_user_sgpr_count 2
		.amdhsa_user_sgpr_dispatch_ptr 0
		.amdhsa_user_sgpr_queue_ptr 0
		.amdhsa_user_sgpr_kernarg_segment_ptr 1
		.amdhsa_user_sgpr_dispatch_id 0
		.amdhsa_user_sgpr_private_segment_size 0
		.amdhsa_wavefront_size32 1
		.amdhsa_uses_dynamic_stack 0
		.amdhsa_enable_private_segment 0
		.amdhsa_system_sgpr_workgroup_id_x 1
		.amdhsa_system_sgpr_workgroup_id_y 0
		.amdhsa_system_sgpr_workgroup_id_z 0
		.amdhsa_system_sgpr_workgroup_info 0
		.amdhsa_system_vgpr_workitem_id 0
		.amdhsa_next_free_vgpr 1
		.amdhsa_next_free_sgpr 1
		.amdhsa_reserve_vcc 0
		.amdhsa_float_round_mode_32 0
		.amdhsa_float_round_mode_16_64 0
		.amdhsa_float_denorm_mode_32 3
		.amdhsa_float_denorm_mode_16_64 3
		.amdhsa_fp16_overflow 0
		.amdhsa_workgroup_processor_mode 1
		.amdhsa_memory_ordered 1
		.amdhsa_forward_progress 1
		.amdhsa_inst_pref_size 0
		.amdhsa_round_robin_scheduling 0
		.amdhsa_exception_fp_ieee_invalid_op 0
		.amdhsa_exception_fp_denorm_src 0
		.amdhsa_exception_fp_ieee_div_zero 0
		.amdhsa_exception_fp_ieee_overflow 0
		.amdhsa_exception_fp_ieee_underflow 0
		.amdhsa_exception_fp_ieee_inexact 0
		.amdhsa_exception_int_div_zero 0
	.end_amdhsa_kernel
	.section	.text._ZN7rocprim17ROCPRIM_400000_NS6detail17trampoline_kernelINS0_14default_configENS1_25partition_config_selectorILNS1_17partition_subalgoE6EjNS0_10empty_typeEbEEZZNS1_14partition_implILS5_6ELb0ES3_mN6thrust23THRUST_200600_302600_NS6detail15normal_iteratorINSA_10device_ptrIjEEEEPS6_SG_NS0_5tupleIJSF_S6_EEENSH_IJSG_SG_EEES6_PlJNSB_9not_fun_tINSB_10functional5actorINSM_9compositeIJNSM_27transparent_binary_operatorINSA_8equal_toIvEEEENSN_INSM_8argumentILj0EEEEENSM_5valueIjEEEEEEEEEEEE10hipError_tPvRmT3_T4_T5_T6_T7_T9_mT8_P12ihipStream_tbDpT10_ENKUlT_T0_E_clISt17integral_constantIbLb0EES1J_IbLb1EEEEDaS1F_S1G_EUlS1F_E_NS1_11comp_targetILNS1_3genE2ELNS1_11target_archE906ELNS1_3gpuE6ELNS1_3repE0EEENS1_30default_config_static_selectorELNS0_4arch9wavefront6targetE0EEEvT1_,"axG",@progbits,_ZN7rocprim17ROCPRIM_400000_NS6detail17trampoline_kernelINS0_14default_configENS1_25partition_config_selectorILNS1_17partition_subalgoE6EjNS0_10empty_typeEbEEZZNS1_14partition_implILS5_6ELb0ES3_mN6thrust23THRUST_200600_302600_NS6detail15normal_iteratorINSA_10device_ptrIjEEEEPS6_SG_NS0_5tupleIJSF_S6_EEENSH_IJSG_SG_EEES6_PlJNSB_9not_fun_tINSB_10functional5actorINSM_9compositeIJNSM_27transparent_binary_operatorINSA_8equal_toIvEEEENSN_INSM_8argumentILj0EEEEENSM_5valueIjEEEEEEEEEEEE10hipError_tPvRmT3_T4_T5_T6_T7_T9_mT8_P12ihipStream_tbDpT10_ENKUlT_T0_E_clISt17integral_constantIbLb0EES1J_IbLb1EEEEDaS1F_S1G_EUlS1F_E_NS1_11comp_targetILNS1_3genE2ELNS1_11target_archE906ELNS1_3gpuE6ELNS1_3repE0EEENS1_30default_config_static_selectorELNS0_4arch9wavefront6targetE0EEEvT1_,comdat
.Lfunc_end141:
	.size	_ZN7rocprim17ROCPRIM_400000_NS6detail17trampoline_kernelINS0_14default_configENS1_25partition_config_selectorILNS1_17partition_subalgoE6EjNS0_10empty_typeEbEEZZNS1_14partition_implILS5_6ELb0ES3_mN6thrust23THRUST_200600_302600_NS6detail15normal_iteratorINSA_10device_ptrIjEEEEPS6_SG_NS0_5tupleIJSF_S6_EEENSH_IJSG_SG_EEES6_PlJNSB_9not_fun_tINSB_10functional5actorINSM_9compositeIJNSM_27transparent_binary_operatorINSA_8equal_toIvEEEENSN_INSM_8argumentILj0EEEEENSM_5valueIjEEEEEEEEEEEE10hipError_tPvRmT3_T4_T5_T6_T7_T9_mT8_P12ihipStream_tbDpT10_ENKUlT_T0_E_clISt17integral_constantIbLb0EES1J_IbLb1EEEEDaS1F_S1G_EUlS1F_E_NS1_11comp_targetILNS1_3genE2ELNS1_11target_archE906ELNS1_3gpuE6ELNS1_3repE0EEENS1_30default_config_static_selectorELNS0_4arch9wavefront6targetE0EEEvT1_, .Lfunc_end141-_ZN7rocprim17ROCPRIM_400000_NS6detail17trampoline_kernelINS0_14default_configENS1_25partition_config_selectorILNS1_17partition_subalgoE6EjNS0_10empty_typeEbEEZZNS1_14partition_implILS5_6ELb0ES3_mN6thrust23THRUST_200600_302600_NS6detail15normal_iteratorINSA_10device_ptrIjEEEEPS6_SG_NS0_5tupleIJSF_S6_EEENSH_IJSG_SG_EEES6_PlJNSB_9not_fun_tINSB_10functional5actorINSM_9compositeIJNSM_27transparent_binary_operatorINSA_8equal_toIvEEEENSN_INSM_8argumentILj0EEEEENSM_5valueIjEEEEEEEEEEEE10hipError_tPvRmT3_T4_T5_T6_T7_T9_mT8_P12ihipStream_tbDpT10_ENKUlT_T0_E_clISt17integral_constantIbLb0EES1J_IbLb1EEEEDaS1F_S1G_EUlS1F_E_NS1_11comp_targetILNS1_3genE2ELNS1_11target_archE906ELNS1_3gpuE6ELNS1_3repE0EEENS1_30default_config_static_selectorELNS0_4arch9wavefront6targetE0EEEvT1_
                                        ; -- End function
	.set _ZN7rocprim17ROCPRIM_400000_NS6detail17trampoline_kernelINS0_14default_configENS1_25partition_config_selectorILNS1_17partition_subalgoE6EjNS0_10empty_typeEbEEZZNS1_14partition_implILS5_6ELb0ES3_mN6thrust23THRUST_200600_302600_NS6detail15normal_iteratorINSA_10device_ptrIjEEEEPS6_SG_NS0_5tupleIJSF_S6_EEENSH_IJSG_SG_EEES6_PlJNSB_9not_fun_tINSB_10functional5actorINSM_9compositeIJNSM_27transparent_binary_operatorINSA_8equal_toIvEEEENSN_INSM_8argumentILj0EEEEENSM_5valueIjEEEEEEEEEEEE10hipError_tPvRmT3_T4_T5_T6_T7_T9_mT8_P12ihipStream_tbDpT10_ENKUlT_T0_E_clISt17integral_constantIbLb0EES1J_IbLb1EEEEDaS1F_S1G_EUlS1F_E_NS1_11comp_targetILNS1_3genE2ELNS1_11target_archE906ELNS1_3gpuE6ELNS1_3repE0EEENS1_30default_config_static_selectorELNS0_4arch9wavefront6targetE0EEEvT1_.num_vgpr, 0
	.set _ZN7rocprim17ROCPRIM_400000_NS6detail17trampoline_kernelINS0_14default_configENS1_25partition_config_selectorILNS1_17partition_subalgoE6EjNS0_10empty_typeEbEEZZNS1_14partition_implILS5_6ELb0ES3_mN6thrust23THRUST_200600_302600_NS6detail15normal_iteratorINSA_10device_ptrIjEEEEPS6_SG_NS0_5tupleIJSF_S6_EEENSH_IJSG_SG_EEES6_PlJNSB_9not_fun_tINSB_10functional5actorINSM_9compositeIJNSM_27transparent_binary_operatorINSA_8equal_toIvEEEENSN_INSM_8argumentILj0EEEEENSM_5valueIjEEEEEEEEEEEE10hipError_tPvRmT3_T4_T5_T6_T7_T9_mT8_P12ihipStream_tbDpT10_ENKUlT_T0_E_clISt17integral_constantIbLb0EES1J_IbLb1EEEEDaS1F_S1G_EUlS1F_E_NS1_11comp_targetILNS1_3genE2ELNS1_11target_archE906ELNS1_3gpuE6ELNS1_3repE0EEENS1_30default_config_static_selectorELNS0_4arch9wavefront6targetE0EEEvT1_.num_agpr, 0
	.set _ZN7rocprim17ROCPRIM_400000_NS6detail17trampoline_kernelINS0_14default_configENS1_25partition_config_selectorILNS1_17partition_subalgoE6EjNS0_10empty_typeEbEEZZNS1_14partition_implILS5_6ELb0ES3_mN6thrust23THRUST_200600_302600_NS6detail15normal_iteratorINSA_10device_ptrIjEEEEPS6_SG_NS0_5tupleIJSF_S6_EEENSH_IJSG_SG_EEES6_PlJNSB_9not_fun_tINSB_10functional5actorINSM_9compositeIJNSM_27transparent_binary_operatorINSA_8equal_toIvEEEENSN_INSM_8argumentILj0EEEEENSM_5valueIjEEEEEEEEEEEE10hipError_tPvRmT3_T4_T5_T6_T7_T9_mT8_P12ihipStream_tbDpT10_ENKUlT_T0_E_clISt17integral_constantIbLb0EES1J_IbLb1EEEEDaS1F_S1G_EUlS1F_E_NS1_11comp_targetILNS1_3genE2ELNS1_11target_archE906ELNS1_3gpuE6ELNS1_3repE0EEENS1_30default_config_static_selectorELNS0_4arch9wavefront6targetE0EEEvT1_.numbered_sgpr, 0
	.set _ZN7rocprim17ROCPRIM_400000_NS6detail17trampoline_kernelINS0_14default_configENS1_25partition_config_selectorILNS1_17partition_subalgoE6EjNS0_10empty_typeEbEEZZNS1_14partition_implILS5_6ELb0ES3_mN6thrust23THRUST_200600_302600_NS6detail15normal_iteratorINSA_10device_ptrIjEEEEPS6_SG_NS0_5tupleIJSF_S6_EEENSH_IJSG_SG_EEES6_PlJNSB_9not_fun_tINSB_10functional5actorINSM_9compositeIJNSM_27transparent_binary_operatorINSA_8equal_toIvEEEENSN_INSM_8argumentILj0EEEEENSM_5valueIjEEEEEEEEEEEE10hipError_tPvRmT3_T4_T5_T6_T7_T9_mT8_P12ihipStream_tbDpT10_ENKUlT_T0_E_clISt17integral_constantIbLb0EES1J_IbLb1EEEEDaS1F_S1G_EUlS1F_E_NS1_11comp_targetILNS1_3genE2ELNS1_11target_archE906ELNS1_3gpuE6ELNS1_3repE0EEENS1_30default_config_static_selectorELNS0_4arch9wavefront6targetE0EEEvT1_.num_named_barrier, 0
	.set _ZN7rocprim17ROCPRIM_400000_NS6detail17trampoline_kernelINS0_14default_configENS1_25partition_config_selectorILNS1_17partition_subalgoE6EjNS0_10empty_typeEbEEZZNS1_14partition_implILS5_6ELb0ES3_mN6thrust23THRUST_200600_302600_NS6detail15normal_iteratorINSA_10device_ptrIjEEEEPS6_SG_NS0_5tupleIJSF_S6_EEENSH_IJSG_SG_EEES6_PlJNSB_9not_fun_tINSB_10functional5actorINSM_9compositeIJNSM_27transparent_binary_operatorINSA_8equal_toIvEEEENSN_INSM_8argumentILj0EEEEENSM_5valueIjEEEEEEEEEEEE10hipError_tPvRmT3_T4_T5_T6_T7_T9_mT8_P12ihipStream_tbDpT10_ENKUlT_T0_E_clISt17integral_constantIbLb0EES1J_IbLb1EEEEDaS1F_S1G_EUlS1F_E_NS1_11comp_targetILNS1_3genE2ELNS1_11target_archE906ELNS1_3gpuE6ELNS1_3repE0EEENS1_30default_config_static_selectorELNS0_4arch9wavefront6targetE0EEEvT1_.private_seg_size, 0
	.set _ZN7rocprim17ROCPRIM_400000_NS6detail17trampoline_kernelINS0_14default_configENS1_25partition_config_selectorILNS1_17partition_subalgoE6EjNS0_10empty_typeEbEEZZNS1_14partition_implILS5_6ELb0ES3_mN6thrust23THRUST_200600_302600_NS6detail15normal_iteratorINSA_10device_ptrIjEEEEPS6_SG_NS0_5tupleIJSF_S6_EEENSH_IJSG_SG_EEES6_PlJNSB_9not_fun_tINSB_10functional5actorINSM_9compositeIJNSM_27transparent_binary_operatorINSA_8equal_toIvEEEENSN_INSM_8argumentILj0EEEEENSM_5valueIjEEEEEEEEEEEE10hipError_tPvRmT3_T4_T5_T6_T7_T9_mT8_P12ihipStream_tbDpT10_ENKUlT_T0_E_clISt17integral_constantIbLb0EES1J_IbLb1EEEEDaS1F_S1G_EUlS1F_E_NS1_11comp_targetILNS1_3genE2ELNS1_11target_archE906ELNS1_3gpuE6ELNS1_3repE0EEENS1_30default_config_static_selectorELNS0_4arch9wavefront6targetE0EEEvT1_.uses_vcc, 0
	.set _ZN7rocprim17ROCPRIM_400000_NS6detail17trampoline_kernelINS0_14default_configENS1_25partition_config_selectorILNS1_17partition_subalgoE6EjNS0_10empty_typeEbEEZZNS1_14partition_implILS5_6ELb0ES3_mN6thrust23THRUST_200600_302600_NS6detail15normal_iteratorINSA_10device_ptrIjEEEEPS6_SG_NS0_5tupleIJSF_S6_EEENSH_IJSG_SG_EEES6_PlJNSB_9not_fun_tINSB_10functional5actorINSM_9compositeIJNSM_27transparent_binary_operatorINSA_8equal_toIvEEEENSN_INSM_8argumentILj0EEEEENSM_5valueIjEEEEEEEEEEEE10hipError_tPvRmT3_T4_T5_T6_T7_T9_mT8_P12ihipStream_tbDpT10_ENKUlT_T0_E_clISt17integral_constantIbLb0EES1J_IbLb1EEEEDaS1F_S1G_EUlS1F_E_NS1_11comp_targetILNS1_3genE2ELNS1_11target_archE906ELNS1_3gpuE6ELNS1_3repE0EEENS1_30default_config_static_selectorELNS0_4arch9wavefront6targetE0EEEvT1_.uses_flat_scratch, 0
	.set _ZN7rocprim17ROCPRIM_400000_NS6detail17trampoline_kernelINS0_14default_configENS1_25partition_config_selectorILNS1_17partition_subalgoE6EjNS0_10empty_typeEbEEZZNS1_14partition_implILS5_6ELb0ES3_mN6thrust23THRUST_200600_302600_NS6detail15normal_iteratorINSA_10device_ptrIjEEEEPS6_SG_NS0_5tupleIJSF_S6_EEENSH_IJSG_SG_EEES6_PlJNSB_9not_fun_tINSB_10functional5actorINSM_9compositeIJNSM_27transparent_binary_operatorINSA_8equal_toIvEEEENSN_INSM_8argumentILj0EEEEENSM_5valueIjEEEEEEEEEEEE10hipError_tPvRmT3_T4_T5_T6_T7_T9_mT8_P12ihipStream_tbDpT10_ENKUlT_T0_E_clISt17integral_constantIbLb0EES1J_IbLb1EEEEDaS1F_S1G_EUlS1F_E_NS1_11comp_targetILNS1_3genE2ELNS1_11target_archE906ELNS1_3gpuE6ELNS1_3repE0EEENS1_30default_config_static_selectorELNS0_4arch9wavefront6targetE0EEEvT1_.has_dyn_sized_stack, 0
	.set _ZN7rocprim17ROCPRIM_400000_NS6detail17trampoline_kernelINS0_14default_configENS1_25partition_config_selectorILNS1_17partition_subalgoE6EjNS0_10empty_typeEbEEZZNS1_14partition_implILS5_6ELb0ES3_mN6thrust23THRUST_200600_302600_NS6detail15normal_iteratorINSA_10device_ptrIjEEEEPS6_SG_NS0_5tupleIJSF_S6_EEENSH_IJSG_SG_EEES6_PlJNSB_9not_fun_tINSB_10functional5actorINSM_9compositeIJNSM_27transparent_binary_operatorINSA_8equal_toIvEEEENSN_INSM_8argumentILj0EEEEENSM_5valueIjEEEEEEEEEEEE10hipError_tPvRmT3_T4_T5_T6_T7_T9_mT8_P12ihipStream_tbDpT10_ENKUlT_T0_E_clISt17integral_constantIbLb0EES1J_IbLb1EEEEDaS1F_S1G_EUlS1F_E_NS1_11comp_targetILNS1_3genE2ELNS1_11target_archE906ELNS1_3gpuE6ELNS1_3repE0EEENS1_30default_config_static_selectorELNS0_4arch9wavefront6targetE0EEEvT1_.has_recursion, 0
	.set _ZN7rocprim17ROCPRIM_400000_NS6detail17trampoline_kernelINS0_14default_configENS1_25partition_config_selectorILNS1_17partition_subalgoE6EjNS0_10empty_typeEbEEZZNS1_14partition_implILS5_6ELb0ES3_mN6thrust23THRUST_200600_302600_NS6detail15normal_iteratorINSA_10device_ptrIjEEEEPS6_SG_NS0_5tupleIJSF_S6_EEENSH_IJSG_SG_EEES6_PlJNSB_9not_fun_tINSB_10functional5actorINSM_9compositeIJNSM_27transparent_binary_operatorINSA_8equal_toIvEEEENSN_INSM_8argumentILj0EEEEENSM_5valueIjEEEEEEEEEEEE10hipError_tPvRmT3_T4_T5_T6_T7_T9_mT8_P12ihipStream_tbDpT10_ENKUlT_T0_E_clISt17integral_constantIbLb0EES1J_IbLb1EEEEDaS1F_S1G_EUlS1F_E_NS1_11comp_targetILNS1_3genE2ELNS1_11target_archE906ELNS1_3gpuE6ELNS1_3repE0EEENS1_30default_config_static_selectorELNS0_4arch9wavefront6targetE0EEEvT1_.has_indirect_call, 0
	.section	.AMDGPU.csdata,"",@progbits
; Kernel info:
; codeLenInByte = 0
; TotalNumSgprs: 0
; NumVgprs: 0
; ScratchSize: 0
; MemoryBound: 0
; FloatMode: 240
; IeeeMode: 1
; LDSByteSize: 0 bytes/workgroup (compile time only)
; SGPRBlocks: 0
; VGPRBlocks: 0
; NumSGPRsForWavesPerEU: 1
; NumVGPRsForWavesPerEU: 1
; Occupancy: 16
; WaveLimiterHint : 0
; COMPUTE_PGM_RSRC2:SCRATCH_EN: 0
; COMPUTE_PGM_RSRC2:USER_SGPR: 2
; COMPUTE_PGM_RSRC2:TRAP_HANDLER: 0
; COMPUTE_PGM_RSRC2:TGID_X_EN: 1
; COMPUTE_PGM_RSRC2:TGID_Y_EN: 0
; COMPUTE_PGM_RSRC2:TGID_Z_EN: 0
; COMPUTE_PGM_RSRC2:TIDIG_COMP_CNT: 0
	.section	.text._ZN7rocprim17ROCPRIM_400000_NS6detail17trampoline_kernelINS0_14default_configENS1_25partition_config_selectorILNS1_17partition_subalgoE6EjNS0_10empty_typeEbEEZZNS1_14partition_implILS5_6ELb0ES3_mN6thrust23THRUST_200600_302600_NS6detail15normal_iteratorINSA_10device_ptrIjEEEEPS6_SG_NS0_5tupleIJSF_S6_EEENSH_IJSG_SG_EEES6_PlJNSB_9not_fun_tINSB_10functional5actorINSM_9compositeIJNSM_27transparent_binary_operatorINSA_8equal_toIvEEEENSN_INSM_8argumentILj0EEEEENSM_5valueIjEEEEEEEEEEEE10hipError_tPvRmT3_T4_T5_T6_T7_T9_mT8_P12ihipStream_tbDpT10_ENKUlT_T0_E_clISt17integral_constantIbLb0EES1J_IbLb1EEEEDaS1F_S1G_EUlS1F_E_NS1_11comp_targetILNS1_3genE10ELNS1_11target_archE1200ELNS1_3gpuE4ELNS1_3repE0EEENS1_30default_config_static_selectorELNS0_4arch9wavefront6targetE0EEEvT1_,"axG",@progbits,_ZN7rocprim17ROCPRIM_400000_NS6detail17trampoline_kernelINS0_14default_configENS1_25partition_config_selectorILNS1_17partition_subalgoE6EjNS0_10empty_typeEbEEZZNS1_14partition_implILS5_6ELb0ES3_mN6thrust23THRUST_200600_302600_NS6detail15normal_iteratorINSA_10device_ptrIjEEEEPS6_SG_NS0_5tupleIJSF_S6_EEENSH_IJSG_SG_EEES6_PlJNSB_9not_fun_tINSB_10functional5actorINSM_9compositeIJNSM_27transparent_binary_operatorINSA_8equal_toIvEEEENSN_INSM_8argumentILj0EEEEENSM_5valueIjEEEEEEEEEEEE10hipError_tPvRmT3_T4_T5_T6_T7_T9_mT8_P12ihipStream_tbDpT10_ENKUlT_T0_E_clISt17integral_constantIbLb0EES1J_IbLb1EEEEDaS1F_S1G_EUlS1F_E_NS1_11comp_targetILNS1_3genE10ELNS1_11target_archE1200ELNS1_3gpuE4ELNS1_3repE0EEENS1_30default_config_static_selectorELNS0_4arch9wavefront6targetE0EEEvT1_,comdat
	.protected	_ZN7rocprim17ROCPRIM_400000_NS6detail17trampoline_kernelINS0_14default_configENS1_25partition_config_selectorILNS1_17partition_subalgoE6EjNS0_10empty_typeEbEEZZNS1_14partition_implILS5_6ELb0ES3_mN6thrust23THRUST_200600_302600_NS6detail15normal_iteratorINSA_10device_ptrIjEEEEPS6_SG_NS0_5tupleIJSF_S6_EEENSH_IJSG_SG_EEES6_PlJNSB_9not_fun_tINSB_10functional5actorINSM_9compositeIJNSM_27transparent_binary_operatorINSA_8equal_toIvEEEENSN_INSM_8argumentILj0EEEEENSM_5valueIjEEEEEEEEEEEE10hipError_tPvRmT3_T4_T5_T6_T7_T9_mT8_P12ihipStream_tbDpT10_ENKUlT_T0_E_clISt17integral_constantIbLb0EES1J_IbLb1EEEEDaS1F_S1G_EUlS1F_E_NS1_11comp_targetILNS1_3genE10ELNS1_11target_archE1200ELNS1_3gpuE4ELNS1_3repE0EEENS1_30default_config_static_selectorELNS0_4arch9wavefront6targetE0EEEvT1_ ; -- Begin function _ZN7rocprim17ROCPRIM_400000_NS6detail17trampoline_kernelINS0_14default_configENS1_25partition_config_selectorILNS1_17partition_subalgoE6EjNS0_10empty_typeEbEEZZNS1_14partition_implILS5_6ELb0ES3_mN6thrust23THRUST_200600_302600_NS6detail15normal_iteratorINSA_10device_ptrIjEEEEPS6_SG_NS0_5tupleIJSF_S6_EEENSH_IJSG_SG_EEES6_PlJNSB_9not_fun_tINSB_10functional5actorINSM_9compositeIJNSM_27transparent_binary_operatorINSA_8equal_toIvEEEENSN_INSM_8argumentILj0EEEEENSM_5valueIjEEEEEEEEEEEE10hipError_tPvRmT3_T4_T5_T6_T7_T9_mT8_P12ihipStream_tbDpT10_ENKUlT_T0_E_clISt17integral_constantIbLb0EES1J_IbLb1EEEEDaS1F_S1G_EUlS1F_E_NS1_11comp_targetILNS1_3genE10ELNS1_11target_archE1200ELNS1_3gpuE4ELNS1_3repE0EEENS1_30default_config_static_selectorELNS0_4arch9wavefront6targetE0EEEvT1_
	.globl	_ZN7rocprim17ROCPRIM_400000_NS6detail17trampoline_kernelINS0_14default_configENS1_25partition_config_selectorILNS1_17partition_subalgoE6EjNS0_10empty_typeEbEEZZNS1_14partition_implILS5_6ELb0ES3_mN6thrust23THRUST_200600_302600_NS6detail15normal_iteratorINSA_10device_ptrIjEEEEPS6_SG_NS0_5tupleIJSF_S6_EEENSH_IJSG_SG_EEES6_PlJNSB_9not_fun_tINSB_10functional5actorINSM_9compositeIJNSM_27transparent_binary_operatorINSA_8equal_toIvEEEENSN_INSM_8argumentILj0EEEEENSM_5valueIjEEEEEEEEEEEE10hipError_tPvRmT3_T4_T5_T6_T7_T9_mT8_P12ihipStream_tbDpT10_ENKUlT_T0_E_clISt17integral_constantIbLb0EES1J_IbLb1EEEEDaS1F_S1G_EUlS1F_E_NS1_11comp_targetILNS1_3genE10ELNS1_11target_archE1200ELNS1_3gpuE4ELNS1_3repE0EEENS1_30default_config_static_selectorELNS0_4arch9wavefront6targetE0EEEvT1_
	.p2align	8
	.type	_ZN7rocprim17ROCPRIM_400000_NS6detail17trampoline_kernelINS0_14default_configENS1_25partition_config_selectorILNS1_17partition_subalgoE6EjNS0_10empty_typeEbEEZZNS1_14partition_implILS5_6ELb0ES3_mN6thrust23THRUST_200600_302600_NS6detail15normal_iteratorINSA_10device_ptrIjEEEEPS6_SG_NS0_5tupleIJSF_S6_EEENSH_IJSG_SG_EEES6_PlJNSB_9not_fun_tINSB_10functional5actorINSM_9compositeIJNSM_27transparent_binary_operatorINSA_8equal_toIvEEEENSN_INSM_8argumentILj0EEEEENSM_5valueIjEEEEEEEEEEEE10hipError_tPvRmT3_T4_T5_T6_T7_T9_mT8_P12ihipStream_tbDpT10_ENKUlT_T0_E_clISt17integral_constantIbLb0EES1J_IbLb1EEEEDaS1F_S1G_EUlS1F_E_NS1_11comp_targetILNS1_3genE10ELNS1_11target_archE1200ELNS1_3gpuE4ELNS1_3repE0EEENS1_30default_config_static_selectorELNS0_4arch9wavefront6targetE0EEEvT1_,@function
_ZN7rocprim17ROCPRIM_400000_NS6detail17trampoline_kernelINS0_14default_configENS1_25partition_config_selectorILNS1_17partition_subalgoE6EjNS0_10empty_typeEbEEZZNS1_14partition_implILS5_6ELb0ES3_mN6thrust23THRUST_200600_302600_NS6detail15normal_iteratorINSA_10device_ptrIjEEEEPS6_SG_NS0_5tupleIJSF_S6_EEENSH_IJSG_SG_EEES6_PlJNSB_9not_fun_tINSB_10functional5actorINSM_9compositeIJNSM_27transparent_binary_operatorINSA_8equal_toIvEEEENSN_INSM_8argumentILj0EEEEENSM_5valueIjEEEEEEEEEEEE10hipError_tPvRmT3_T4_T5_T6_T7_T9_mT8_P12ihipStream_tbDpT10_ENKUlT_T0_E_clISt17integral_constantIbLb0EES1J_IbLb1EEEEDaS1F_S1G_EUlS1F_E_NS1_11comp_targetILNS1_3genE10ELNS1_11target_archE1200ELNS1_3gpuE4ELNS1_3repE0EEENS1_30default_config_static_selectorELNS0_4arch9wavefront6targetE0EEEvT1_: ; @_ZN7rocprim17ROCPRIM_400000_NS6detail17trampoline_kernelINS0_14default_configENS1_25partition_config_selectorILNS1_17partition_subalgoE6EjNS0_10empty_typeEbEEZZNS1_14partition_implILS5_6ELb0ES3_mN6thrust23THRUST_200600_302600_NS6detail15normal_iteratorINSA_10device_ptrIjEEEEPS6_SG_NS0_5tupleIJSF_S6_EEENSH_IJSG_SG_EEES6_PlJNSB_9not_fun_tINSB_10functional5actorINSM_9compositeIJNSM_27transparent_binary_operatorINSA_8equal_toIvEEEENSN_INSM_8argumentILj0EEEEENSM_5valueIjEEEEEEEEEEEE10hipError_tPvRmT3_T4_T5_T6_T7_T9_mT8_P12ihipStream_tbDpT10_ENKUlT_T0_E_clISt17integral_constantIbLb0EES1J_IbLb1EEEEDaS1F_S1G_EUlS1F_E_NS1_11comp_targetILNS1_3genE10ELNS1_11target_archE1200ELNS1_3gpuE4ELNS1_3repE0EEENS1_30default_config_static_selectorELNS0_4arch9wavefront6targetE0EEEvT1_
; %bb.0:
	s_clause 0x3
	s_load_b64 s[12:13], s[0:1], 0x28
	s_load_b128 s[8:11], s[0:1], 0x40
	s_load_b64 s[16:17], s[0:1], 0x50
	s_load_b64 s[14:15], s[0:1], 0x60
	v_cmp_eq_u32_e64 s2, 0, v0
	s_and_saveexec_b32 s3, s2
	s_cbranch_execz .LBB142_4
; %bb.1:
	s_mov_b32 s5, exec_lo
	s_mov_b32 s4, exec_lo
	v_mbcnt_lo_u32_b32 v1, s5, 0
                                        ; implicit-def: $vgpr2
	s_delay_alu instid0(VALU_DEP_1)
	v_cmpx_eq_u32_e32 0, v1
	s_cbranch_execz .LBB142_3
; %bb.2:
	s_load_b64 s[6:7], s[0:1], 0x70
	s_bcnt1_i32_b32 s5, s5
	s_wait_alu 0xfffe
	v_dual_mov_b32 v2, 0 :: v_dual_mov_b32 v3, s5
	s_wait_kmcnt 0x0
	global_atomic_add_u32 v2, v2, v3, s[6:7] th:TH_ATOMIC_RETURN scope:SCOPE_DEV
.LBB142_3:
	s_or_b32 exec_lo, exec_lo, s4
	s_wait_loadcnt 0x0
	v_readfirstlane_b32 s4, v2
	s_wait_alu 0xf1ff
	s_delay_alu instid0(VALU_DEP_1)
	v_dual_mov_b32 v2, 0 :: v_dual_add_nc_u32 v1, s4, v1
	ds_store_b32 v2, v1
.LBB142_4:
	s_or_b32 exec_lo, exec_lo, s3
	v_mov_b32_e32 v2, 0
	s_clause 0x2
	s_load_b128 s[4:7], s[0:1], 0x8
	s_load_b32 s3, s[0:1], 0x68
	s_load_b32 s19, s[0:1], 0x7c
	s_wait_dscnt 0x0
	s_barrier_signal -1
	s_barrier_wait -1
	global_inv scope:SCOPE_SE
	ds_load_b32 v1, v2
	s_wait_loadcnt_dscnt 0x0
	s_barrier_signal -1
	s_barrier_wait -1
	global_inv scope:SCOPE_SE
	s_wait_kmcnt 0x0
	global_load_b64 v[9:10], v2, s[10:11]
	s_mov_b32 s1, 0
	v_lshlrev_b32_e32 v8, 2, v0
	s_lshl_b64 s[10:11], s[6:7], 2
	s_mul_i32 s0, s3, 0xa80
	s_add_co_i32 s20, s3, -1
	s_add_co_i32 s3, s0, s6
	s_add_nc_u64 s[6:7], s[6:7], s[0:1]
	s_sub_co_i32 s0, s16, s3
	v_cmp_le_u64_e64 s1, s[16:17], s[6:7]
	v_readfirstlane_b32 s18, v1
	v_mul_lo_u32 v1, 0xa80, v1
	s_add_nc_u64 s[4:5], s[4:5], s[10:11]
	s_cmp_eq_u32 s18, s20
	s_cselect_b32 s7, -1, 0
	s_delay_alu instid0(VALU_DEP_1) | instskip(SKIP_2) | instid1(SALU_CYCLE_1)
	v_lshlrev_b64_e32 v[1:2], 2, v[1:2]
	s_wait_alu 0xfffe
	s_and_b32 s1, s1, s7
	s_xor_b32 s10, s1, -1
	s_mov_b32 s1, -1
	s_delay_alu instid0(VALU_DEP_1) | instskip(NEXT) | instid1(VALU_DEP_1)
	v_add_co_u32 v11, vcc_lo, s4, v1
	v_add_co_ci_u32_e64 v12, null, s5, v2, vcc_lo
	s_and_b32 vcc_lo, exec_lo, s10
	s_wait_alu 0xfffe
	s_cbranch_vccz .LBB142_6
; %bb.5:
	v_add_co_u32 v1, vcc_lo, v11, v8
	s_wait_alu 0xfffd
	v_add_co_ci_u32_e64 v2, null, 0, v12, vcc_lo
	s_mov_b32 s1, 0
	s_clause 0x6
	flat_load_b32 v3, v[1:2]
	flat_load_b32 v4, v[1:2] offset:1536
	flat_load_b32 v5, v[1:2] offset:3072
	;; [unrolled: 1-line block ×6, first 2 shown]
	s_wait_loadcnt_dscnt 0x505
	ds_store_2addr_stride64_b32 v8, v3, v4 offset1:6
	s_wait_loadcnt_dscnt 0x304
	ds_store_2addr_stride64_b32 v8, v5, v6 offset0:12 offset1:18
	s_wait_loadcnt_dscnt 0x103
	ds_store_2addr_stride64_b32 v8, v7, v13 offset0:24 offset1:30
	s_wait_loadcnt_dscnt 0x3
	ds_store_b32 v8, v1 offset:9216
	s_wait_dscnt 0x0
	s_barrier_signal -1
	s_barrier_wait -1
.LBB142_6:
	s_and_not1_b32 vcc_lo, exec_lo, s1
	s_add_co_i32 s16, s0, 0xa80
	s_wait_alu 0xfffe
	s_cbranch_vccnz .LBB142_22
; %bb.7:
	v_mov_b32_e32 v1, 0
	s_mov_b32 s0, exec_lo
	s_delay_alu instid0(VALU_DEP_1)
	v_dual_mov_b32 v2, v1 :: v_dual_mov_b32 v3, v1
	v_dual_mov_b32 v4, v1 :: v_dual_mov_b32 v5, v1
	;; [unrolled: 1-line block ×3, first 2 shown]
	v_cmpx_gt_u32_e64 s16, v0
	s_cbranch_execz .LBB142_9
; %bb.8:
	v_add_co_u32 v2, vcc_lo, v11, v8
	s_wait_alu 0xfffd
	v_add_co_ci_u32_e64 v3, null, 0, v12, vcc_lo
	v_dual_mov_b32 v14, v1 :: v_dual_mov_b32 v15, v1
	v_dual_mov_b32 v16, v1 :: v_dual_mov_b32 v17, v1
	flat_load_b32 v13, v[2:3]
	v_dual_mov_b32 v18, v1 :: v_dual_mov_b32 v19, v1
	s_wait_loadcnt_dscnt 0x0
	v_dual_mov_b32 v1, v13 :: v_dual_mov_b32 v2, v14
	v_dual_mov_b32 v3, v15 :: v_dual_mov_b32 v4, v16
	s_delay_alu instid0(VALU_DEP_3)
	v_dual_mov_b32 v5, v17 :: v_dual_mov_b32 v6, v18
	v_mov_b32_e32 v7, v19
.LBB142_9:
	s_or_b32 exec_lo, exec_lo, s0
	v_add_nc_u32_e32 v13, 0x180, v0
	s_mov_b32 s0, exec_lo
	s_delay_alu instid0(VALU_DEP_1)
	v_cmpx_gt_u32_e64 s16, v13
	s_cbranch_execz .LBB142_11
; %bb.10:
	v_add_co_u32 v13, vcc_lo, v11, v8
	s_wait_alu 0xfffd
	v_add_co_ci_u32_e64 v14, null, 0, v12, vcc_lo
	flat_load_b32 v2, v[13:14] offset:1536
.LBB142_11:
	s_or_b32 exec_lo, exec_lo, s0
	v_add_nc_u32_e32 v13, 0x300, v0
	s_mov_b32 s0, exec_lo
	s_delay_alu instid0(VALU_DEP_1)
	v_cmpx_gt_u32_e64 s16, v13
	s_cbranch_execz .LBB142_13
; %bb.12:
	v_add_co_u32 v13, vcc_lo, v11, v8
	s_wait_alu 0xfffd
	v_add_co_ci_u32_e64 v14, null, 0, v12, vcc_lo
	flat_load_b32 v3, v[13:14] offset:3072
.LBB142_13:
	;; [unrolled: 12-line block ×3, first 2 shown]
	s_or_b32 exec_lo, exec_lo, s0
	v_or_b32_e32 v13, 0x600, v0
	s_mov_b32 s0, exec_lo
	s_delay_alu instid0(VALU_DEP_1)
	v_cmpx_gt_u32_e64 s16, v13
	s_cbranch_execz .LBB142_17
; %bb.16:
	v_add_co_u32 v13, vcc_lo, v11, v8
	s_wait_alu 0xfffd
	v_add_co_ci_u32_e64 v14, null, 0, v12, vcc_lo
	flat_load_b32 v5, v[13:14] offset:6144
.LBB142_17:
	s_or_b32 exec_lo, exec_lo, s0
	v_add_nc_u32_e32 v13, 0x780, v0
	s_mov_b32 s0, exec_lo
	s_delay_alu instid0(VALU_DEP_1)
	v_cmpx_gt_u32_e64 s16, v13
	s_cbranch_execz .LBB142_19
; %bb.18:
	v_add_co_u32 v13, vcc_lo, v11, v8
	s_wait_alu 0xfffd
	v_add_co_ci_u32_e64 v14, null, 0, v12, vcc_lo
	flat_load_b32 v6, v[13:14] offset:7680
.LBB142_19:
	s_or_b32 exec_lo, exec_lo, s0
	v_add_nc_u32_e32 v13, 0x900, v0
	s_mov_b32 s0, exec_lo
	s_delay_alu instid0(VALU_DEP_1)
	v_cmpx_gt_u32_e64 s16, v13
	s_cbranch_execz .LBB142_21
; %bb.20:
	v_add_co_u32 v11, vcc_lo, v11, v8
	s_wait_alu 0xfffd
	v_add_co_ci_u32_e64 v12, null, 0, v12, vcc_lo
	flat_load_b32 v7, v[11:12] offset:9216
.LBB142_21:
	s_or_b32 exec_lo, exec_lo, s0
	s_wait_loadcnt_dscnt 0x0
	ds_store_2addr_stride64_b32 v8, v1, v2 offset1:6
	ds_store_2addr_stride64_b32 v8, v3, v4 offset0:12 offset1:18
	ds_store_2addr_stride64_b32 v8, v5, v6 offset0:24 offset1:30
	ds_store_b32 v8, v7 offset:9216
	s_wait_dscnt 0x0
	s_barrier_signal -1
	s_barrier_wait -1
.LBB142_22:
	v_mul_u32_u24_e32 v1, 7, v0
	s_wait_loadcnt 0x0
	global_inv scope:SCOPE_SE
	s_and_not1_b32 vcc_lo, exec_lo, s10
	v_lshlrev_b32_e32 v32, 2, v1
	ds_load_2addr_b32 v[11:12], v32 offset0:4 offset1:5
	ds_load_b32 v33, v32 offset:24
	ds_load_2addr_b32 v[15:16], v32 offset1:1
	ds_load_2addr_b32 v[13:14], v32 offset0:2 offset1:3
	s_wait_loadcnt_dscnt 0x0
	s_barrier_signal -1
	s_barrier_wait -1
	global_inv scope:SCOPE_SE
	v_cmp_ne_u32_e64 s0, s19, v11
	v_cmp_ne_u32_e64 s11, s19, v33
	;; [unrolled: 1-line block ×7, first 2 shown]
	s_wait_alu 0xfffe
	s_cbranch_vccnz .LBB142_24
; %bb.23:
	s_wait_alu 0xf1ff
	v_cndmask_b32_e64 v2, 0, 1, s5
	v_cndmask_b32_e64 v3, 0, 1, s6
	v_cndmask_b32_e64 v4, 0, 1, s3
	v_cndmask_b32_e64 v5, 0, 1, s4
	v_cndmask_b32_e64 v35, 0, 1, s0
	v_lshlrev_b16 v2, 8, v2
	v_lshlrev_b16 v3, 8, v3
	v_cndmask_b32_e64 v34, 0, 1, s1
	s_delay_alu instid0(VALU_DEP_3) | instskip(NEXT) | instid1(VALU_DEP_3)
	v_or_b32_e32 v2, v4, v2
	v_or_b32_e32 v3, v5, v3
	s_delay_alu instid0(VALU_DEP_2) | instskip(NEXT) | instid1(VALU_DEP_2)
	v_and_b32_e32 v2, 0xffff, v2
	v_lshlrev_b32_e32 v3, 16, v3
	s_delay_alu instid0(VALU_DEP_1)
	v_or_b32_e32 v31, v2, v3
	s_cbranch_execz .LBB142_25
	s_branch .LBB142_26
.LBB142_24:
                                        ; implicit-def: $sgpr11
                                        ; implicit-def: $vgpr34
                                        ; implicit-def: $vgpr35
                                        ; implicit-def: $vgpr31
.LBB142_25:
	v_add_nc_u32_e32 v2, 1, v1
	v_cmp_ne_u32_e32 vcc_lo, s19, v16
	v_add_nc_u32_e32 v3, 3, v1
	v_cmp_ne_u32_e64 s0, s19, v15
	v_cmp_ne_u32_e64 s3, s19, v14
	v_cmp_gt_u32_e64 s1, s16, v2
	v_add_nc_u32_e32 v2, 2, v1
	v_cmp_gt_u32_e64 s5, s16, v3
	v_cmp_ne_u32_e64 s4, s19, v13
	v_add_nc_u32_e32 v5, 5, v1
	s_and_b32 s1, s1, vcc_lo
	v_cmp_gt_u32_e32 vcc_lo, s16, v1
	s_wait_alu 0xfffe
	v_cndmask_b32_e64 v3, 0, 1, s1
	v_cmp_gt_u32_e64 s1, s16, v2
	s_and_b32 s3, s5, s3
	s_and_b32 s0, vcc_lo, s0
	v_lshlrev_b16 v3, 8, v3
	s_wait_alu 0xfffe
	v_cndmask_b32_e64 v4, 0, 1, s0
	v_cndmask_b32_e64 v2, 0, 1, s3
	s_and_b32 s0, s1, s4
	v_cmp_ne_u32_e32 vcc_lo, s19, v12
	s_wait_alu 0xfffe
	v_cndmask_b32_e64 v6, 0, 1, s0
	v_cmp_gt_u32_e64 s0, s16, v5
	v_or_b32_e32 v3, v4, v3
	v_add_nc_u32_e32 v4, 4, v1
	v_lshlrev_b16 v2, 8, v2
	v_cmp_ne_u32_e64 s1, s19, v11
	s_and_b32 s0, s0, vcc_lo
	v_add_nc_u32_e32 v1, 6, v1
	v_cmp_gt_u32_e32 vcc_lo, s16, v4
	v_or_b32_e32 v2, v6, v2
	s_wait_alu 0xfffe
	v_cndmask_b32_e64 v34, 0, 1, s0
	v_and_b32_e32 v3, 0xffff, v3
	s_and_b32 s0, vcc_lo, s1
	v_cmp_gt_u32_e32 vcc_lo, s16, v1
	s_wait_alu 0xfffe
	v_cndmask_b32_e64 v5, 0, 1, s0
	v_cmp_ne_u32_e64 s0, s19, v33
	v_lshlrev_b32_e32 v2, 16, v2
	v_lshlrev_b16 v4, 8, v34
	s_and_not1_b32 s1, s11, exec_lo
	s_and_b32 s0, vcc_lo, s0
	s_delay_alu instid0(VALU_DEP_2) | instskip(NEXT) | instid1(VALU_DEP_2)
	v_or_b32_e32 v31, v3, v2
	v_or_b32_e32 v35, v5, v4
	s_wait_alu 0xfffe
	s_and_b32 s0, s0, exec_lo
	s_wait_alu 0xfffe
	s_or_b32 s11, s1, s0
.LBB142_26:
	s_delay_alu instid0(VALU_DEP_1)
	v_dual_mov_b32 v2, 0 :: v_dual_and_b32 v39, 0xff, v31
	v_bfe_u32 v38, v31, 8, 8
	v_cndmask_b32_e64 v1, 0, 1, s11
	v_bfe_u32 v41, v31, 16, 8
	v_lshrrev_b32_e32 v36, 24, v31
	v_and_b32_e32 v40, 0xff, v35
	v_mbcnt_lo_u32_b32 v42, -1, 0
	v_add3_u32 v1, v39, v1, v38
	v_and_b32_e32 v37, 0xff, v34
	s_cmp_lg_u32 s18, 0
	s_mov_b32 s1, -1
	v_and_b32_e32 v43, 15, v42
	v_add_co_u32 v1, s0, v1, v41
	s_wait_alu 0xf1ff
	v_add_co_ci_u32_e64 v3, null, 0, 0, s0
	s_delay_alu instid0(VALU_DEP_3) | instskip(NEXT) | instid1(VALU_DEP_3)
	v_cmp_ne_u32_e64 s0, 0, v43
	v_add_co_u32 v1, vcc_lo, v1, v36
	s_wait_alu 0xfffd
	s_delay_alu instid0(VALU_DEP_3) | instskip(NEXT) | instid1(VALU_DEP_2)
	v_add_co_ci_u32_e64 v3, null, 0, v3, vcc_lo
	v_add_co_u32 v1, vcc_lo, v1, v40
	s_wait_alu 0xfffd
	s_delay_alu instid0(VALU_DEP_2) | instskip(NEXT) | instid1(VALU_DEP_2)
	v_add_co_ci_u32_e64 v3, null, 0, v3, vcc_lo
	v_add_co_u32 v17, vcc_lo, v1, v37
	s_wait_alu 0xfffd
	s_delay_alu instid0(VALU_DEP_2)
	v_add_co_ci_u32_e64 v18, null, 0, v3, vcc_lo
	s_cbranch_scc0 .LBB142_85
; %bb.27:
	v_mov_b32_e32 v3, v17
	v_mov_b32_dpp v1, v17 row_shr:1 row_mask:0xf bank_mask:0xf
	v_mov_b32_dpp v6, v2 row_shr:1 row_mask:0xf bank_mask:0xf
	v_dual_mov_b32 v5, v17 :: v_dual_mov_b32 v4, v18
	s_and_saveexec_b32 s1, s0
; %bb.28:
	s_delay_alu instid0(VALU_DEP_3) | instskip(SKIP_2) | instid1(VALU_DEP_2)
	v_add_co_u32 v5, vcc_lo, v17, v1
	s_wait_alu 0xfffd
	v_add_co_ci_u32_e64 v2, null, 0, v18, vcc_lo
	v_add_co_u32 v1, vcc_lo, 0, v5
	s_wait_alu 0xfffd
	s_delay_alu instid0(VALU_DEP_2) | instskip(NEXT) | instid1(VALU_DEP_1)
	v_add_co_ci_u32_e64 v2, null, v6, v2, vcc_lo
	v_dual_mov_b32 v4, v2 :: v_dual_mov_b32 v3, v1
; %bb.29:
	s_wait_alu 0xfffe
	s_or_b32 exec_lo, exec_lo, s1
	v_mov_b32_dpp v1, v5 row_shr:2 row_mask:0xf bank_mask:0xf
	v_mov_b32_dpp v6, v2 row_shr:2 row_mask:0xf bank_mask:0xf
	v_cmp_lt_u32_e32 vcc_lo, 1, v43
	s_and_saveexec_b32 s3, vcc_lo
; %bb.30:
	s_delay_alu instid0(VALU_DEP_3) | instskip(SKIP_2) | instid1(VALU_DEP_2)
	v_add_co_u32 v5, s1, v3, v1
	s_wait_alu 0xf1ff
	v_add_co_ci_u32_e64 v2, null, 0, v4, s1
	v_add_co_u32 v1, s1, 0, v5
	s_wait_alu 0xf1ff
	s_delay_alu instid0(VALU_DEP_2) | instskip(NEXT) | instid1(VALU_DEP_1)
	v_add_co_ci_u32_e64 v2, null, v6, v2, s1
	v_dual_mov_b32 v4, v2 :: v_dual_mov_b32 v3, v1
; %bb.31:
	s_wait_alu 0xfffe
	s_or_b32 exec_lo, exec_lo, s3
	v_mov_b32_dpp v1, v5 row_shr:4 row_mask:0xf bank_mask:0xf
	v_mov_b32_dpp v6, v2 row_shr:4 row_mask:0xf bank_mask:0xf
	v_cmp_lt_u32_e64 s1, 3, v43
	s_and_saveexec_b32 s4, s1
; %bb.32:
	v_add_co_u32 v5, s3, v3, v1
	s_wait_alu 0xf1ff
	v_add_co_ci_u32_e64 v2, null, 0, v4, s3
	s_delay_alu instid0(VALU_DEP_2) | instskip(SKIP_1) | instid1(VALU_DEP_2)
	v_add_co_u32 v1, s3, 0, v5
	s_wait_alu 0xf1ff
	v_add_co_ci_u32_e64 v2, null, v6, v2, s3
	s_delay_alu instid0(VALU_DEP_1)
	v_dual_mov_b32 v4, v2 :: v_dual_mov_b32 v3, v1
; %bb.33:
	s_wait_alu 0xfffe
	s_or_b32 exec_lo, exec_lo, s4
	v_mov_b32_dpp v6, v5 row_shr:8 row_mask:0xf bank_mask:0xf
	v_mov_b32_dpp v1, v2 row_shr:8 row_mask:0xf bank_mask:0xf
	v_cmp_lt_u32_e64 s3, 7, v43
	s_and_saveexec_b32 s5, s3
; %bb.34:
	v_add_co_u32 v5, s4, v3, v6
	s_wait_alu 0xf1ff
	v_add_co_ci_u32_e64 v2, null, 0, v4, s4
	s_delay_alu instid0(VALU_DEP_2) | instskip(SKIP_1) | instid1(VALU_DEP_2)
	v_add_co_u32 v3, s4, 0, v5
	s_wait_alu 0xf1ff
	v_add_co_ci_u32_e64 v4, null, v1, v2, s4
	s_delay_alu instid0(VALU_DEP_1)
	v_mov_b32_e32 v2, v4
; %bb.35:
	s_wait_alu 0xfffe
	s_or_b32 exec_lo, exec_lo, s5
	ds_swizzle_b32 v1, v5 offset:swizzle(BROADCAST,32,15)
	ds_swizzle_b32 v6, v2 offset:swizzle(BROADCAST,32,15)
	v_and_b32_e32 v7, 16, v42
	s_mov_b32 s5, exec_lo
	s_delay_alu instid0(VALU_DEP_1)
	v_cmpx_ne_u32_e32 0, v7
	s_cbranch_execz .LBB142_37
; %bb.36:
	s_wait_dscnt 0x1
	v_add_co_u32 v5, s4, v3, v1
	s_wait_alu 0xf1ff
	v_add_co_ci_u32_e64 v2, null, 0, v4, s4
	s_delay_alu instid0(VALU_DEP_2) | instskip(SKIP_2) | instid1(VALU_DEP_2)
	v_add_co_u32 v1, s4, 0, v5
	s_wait_dscnt 0x0
	s_wait_alu 0xf1ff
	v_add_co_ci_u32_e64 v2, null, v6, v2, s4
	s_delay_alu instid0(VALU_DEP_1)
	v_dual_mov_b32 v4, v2 :: v_dual_mov_b32 v3, v1
.LBB142_37:
	s_wait_alu 0xfffe
	s_or_b32 exec_lo, exec_lo, s5
	s_wait_dscnt 0x1
	v_and_b32_e32 v1, 0x1e0, v0
	s_mov_b32 s5, exec_lo
	s_delay_alu instid0(VALU_DEP_1) | instskip(SKIP_1) | instid1(VALU_DEP_1)
	v_min_u32_e32 v1, 0x160, v1
	s_wait_dscnt 0x0
	v_or_b32_e32 v6, 31, v1
	v_lshrrev_b32_e32 v1, 5, v0
	s_delay_alu instid0(VALU_DEP_2)
	v_cmpx_eq_u32_e64 v0, v6
; %bb.38:
	s_delay_alu instid0(VALU_DEP_2)
	v_lshlrev_b32_e32 v6, 3, v1
	ds_store_b64 v6, v[3:4]
; %bb.39:
	s_wait_alu 0xfffe
	s_or_b32 exec_lo, exec_lo, s5
	s_delay_alu instid0(SALU_CYCLE_1)
	s_mov_b32 s5, exec_lo
	s_wait_loadcnt_dscnt 0x0
	s_barrier_signal -1
	s_barrier_wait -1
	global_inv scope:SCOPE_SE
	v_cmpx_gt_u32_e32 12, v0
	s_cbranch_execz .LBB142_49
; %bb.40:
	v_lshlrev_b32_e32 v6, 3, v0
	ds_load_b64 v[3:4], v6
	s_wait_dscnt 0x0
	v_mov_b32_dpp v19, v3 row_shr:1 row_mask:0xf bank_mask:0xf
	v_mov_b32_dpp v8, v4 row_shr:1 row_mask:0xf bank_mask:0xf
	v_mov_b32_e32 v7, v3
	s_and_saveexec_b32 s6, s0
; %bb.41:
	s_delay_alu instid0(VALU_DEP_3) | instskip(SKIP_2) | instid1(VALU_DEP_2)
	v_add_co_u32 v7, s4, v3, v19
	s_wait_alu 0xf1ff
	v_add_co_ci_u32_e64 v4, null, 0, v4, s4
	v_add_co_u32 v3, s4, 0, v7
	s_wait_alu 0xf1ff
	s_delay_alu instid0(VALU_DEP_2)
	v_add_co_ci_u32_e64 v4, null, v8, v4, s4
; %bb.42:
	s_wait_alu 0xfffe
	s_or_b32 exec_lo, exec_lo, s6
	v_mov_b32_dpp v19, v7 row_shr:2 row_mask:0xf bank_mask:0xf
	s_delay_alu instid0(VALU_DEP_2)
	v_mov_b32_dpp v8, v4 row_shr:2 row_mask:0xf bank_mask:0xf
	s_and_saveexec_b32 s4, vcc_lo
; %bb.43:
	s_delay_alu instid0(VALU_DEP_2) | instskip(SKIP_2) | instid1(VALU_DEP_2)
	v_add_co_u32 v7, vcc_lo, v3, v19
	s_wait_alu 0xfffd
	v_add_co_ci_u32_e64 v4, null, 0, v4, vcc_lo
	v_add_co_u32 v3, vcc_lo, 0, v7
	s_wait_alu 0xfffd
	s_delay_alu instid0(VALU_DEP_2)
	v_add_co_ci_u32_e64 v4, null, v8, v4, vcc_lo
; %bb.44:
	s_wait_alu 0xfffe
	s_or_b32 exec_lo, exec_lo, s4
	v_mov_b32_dpp v19, v7 row_shr:4 row_mask:0xf bank_mask:0xf
	s_delay_alu instid0(VALU_DEP_2)
	v_mov_b32_dpp v8, v4 row_shr:4 row_mask:0xf bank_mask:0xf
	s_and_saveexec_b32 s4, s1
; %bb.45:
	s_delay_alu instid0(VALU_DEP_2) | instskip(SKIP_2) | instid1(VALU_DEP_2)
	v_add_co_u32 v7, vcc_lo, v3, v19
	s_wait_alu 0xfffd
	v_add_co_ci_u32_e64 v4, null, 0, v4, vcc_lo
	v_add_co_u32 v3, vcc_lo, 0, v7
	s_wait_alu 0xfffd
	s_delay_alu instid0(VALU_DEP_2)
	v_add_co_ci_u32_e64 v4, null, v8, v4, vcc_lo
; %bb.46:
	s_wait_alu 0xfffe
	s_or_b32 exec_lo, exec_lo, s4
	v_mov_b32_dpp v8, v7 row_shr:8 row_mask:0xf bank_mask:0xf
	s_delay_alu instid0(VALU_DEP_2)
	v_mov_b32_dpp v7, v4 row_shr:8 row_mask:0xf bank_mask:0xf
	s_and_saveexec_b32 s1, s3
; %bb.47:
	s_delay_alu instid0(VALU_DEP_2) | instskip(SKIP_2) | instid1(VALU_DEP_2)
	v_add_co_u32 v3, vcc_lo, v3, v8
	s_wait_alu 0xfffd
	v_add_co_ci_u32_e64 v4, null, 0, v4, vcc_lo
	v_add_co_u32 v3, vcc_lo, v3, 0
	s_wait_alu 0xfffd
	s_delay_alu instid0(VALU_DEP_2)
	v_add_co_ci_u32_e64 v4, null, v4, v7, vcc_lo
; %bb.48:
	s_wait_alu 0xfffe
	s_or_b32 exec_lo, exec_lo, s1
	ds_store_b64 v6, v[3:4]
.LBB142_49:
	s_wait_alu 0xfffe
	s_or_b32 exec_lo, exec_lo, s5
	s_delay_alu instid0(SALU_CYCLE_1)
	s_mov_b32 s3, exec_lo
	v_cmp_gt_u32_e32 vcc_lo, 32, v0
	s_wait_loadcnt_dscnt 0x0
	s_barrier_signal -1
	s_barrier_wait -1
	global_inv scope:SCOPE_SE
                                        ; implicit-def: $vgpr19_vgpr20
	v_cmpx_lt_u32_e32 31, v0
	s_cbranch_execz .LBB142_51
; %bb.50:
	v_lshl_add_u32 v1, v1, 3, -8
	ds_load_b64 v[19:20], v1
	s_wait_dscnt 0x0
	v_add_co_u32 v5, s1, v5, v19
	s_wait_alu 0xf1ff
	v_add_co_ci_u32_e64 v2, null, v2, v20, s1
.LBB142_51:
	s_wait_alu 0xfffe
	s_or_b32 exec_lo, exec_lo, s3
	v_sub_co_u32 v1, s1, v42, 1
	s_delay_alu instid0(VALU_DEP_1) | instskip(SKIP_1) | instid1(VALU_DEP_1)
	v_cmp_gt_i32_e64 s3, 0, v1
	s_wait_alu 0xf1ff
	v_cndmask_b32_e64 v1, v1, v42, s3
	s_delay_alu instid0(VALU_DEP_1)
	v_lshlrev_b32_e32 v1, 2, v1
	ds_bpermute_b32 v25, v1, v5
	ds_bpermute_b32 v26, v1, v2
	s_and_saveexec_b32 s3, vcc_lo
	s_cbranch_execz .LBB142_90
; %bb.52:
	v_mov_b32_e32 v4, 0
	ds_load_b64 v[1:2], v4 offset:88
	s_and_saveexec_b32 s4, s1
	s_cbranch_execz .LBB142_54
; %bb.53:
	s_add_co_i32 s16, s18, 32
	s_mov_b32 s17, 0
	s_wait_alu 0xfffe
	s_lshl_b64 s[16:17], s[16:17], 4
	s_wait_alu 0xfffe
	s_add_nc_u64 s[16:17], s[14:15], s[16:17]
	v_mov_b32_e32 v3, 1
	s_wait_alu 0xfffe
	v_dual_mov_b32 v5, s16 :: v_dual_mov_b32 v6, s17
	s_wait_dscnt 0x0
	;;#ASMSTART
	global_store_b128 v[5:6], v[1:4] off scope:SCOPE_DEV	
s_wait_storecnt 0x0
	;;#ASMEND
.LBB142_54:
	s_wait_alu 0xfffe
	s_or_b32 exec_lo, exec_lo, s4
	v_xad_u32 v21, v42, -1, s18
	s_mov_b32 s5, 0
	s_mov_b32 s4, exec_lo
	s_delay_alu instid0(VALU_DEP_1) | instskip(NEXT) | instid1(VALU_DEP_1)
	v_add_nc_u32_e32 v3, 32, v21
	v_lshlrev_b64_e32 v[3:4], 4, v[3:4]
	s_delay_alu instid0(VALU_DEP_1) | instskip(SKIP_1) | instid1(VALU_DEP_2)
	v_add_co_u32 v3, vcc_lo, s14, v3
	s_wait_alu 0xfffd
	v_add_co_ci_u32_e64 v4, null, s15, v4, vcc_lo
	;;#ASMSTART
	global_load_b128 v[5:8], v[3:4] off scope:SCOPE_DEV	
s_wait_loadcnt 0x0
	;;#ASMEND
	v_and_b32_e32 v8, 0xff, v7
	s_delay_alu instid0(VALU_DEP_1)
	v_cmpx_eq_u16_e32 0, v8
	s_cbranch_execz .LBB142_57
.LBB142_55:                             ; =>This Inner Loop Header: Depth=1
	;;#ASMSTART
	global_load_b128 v[5:8], v[3:4] off scope:SCOPE_DEV	
s_wait_loadcnt 0x0
	;;#ASMEND
	v_and_b32_e32 v8, 0xff, v7
	s_delay_alu instid0(VALU_DEP_1)
	v_cmp_ne_u16_e32 vcc_lo, 0, v8
	s_wait_alu 0xfffe
	s_or_b32 s5, vcc_lo, s5
	s_wait_alu 0xfffe
	s_and_not1_b32 exec_lo, exec_lo, s5
	s_cbranch_execnz .LBB142_55
; %bb.56:
	s_or_b32 exec_lo, exec_lo, s5
.LBB142_57:
	s_wait_alu 0xfffe
	s_or_b32 exec_lo, exec_lo, s4
	v_cmp_ne_u32_e32 vcc_lo, 31, v42
	v_and_b32_e32 v4, 0xff, v7
	v_lshlrev_b32_e64 v28, v42, -1
	s_mov_b32 s4, exec_lo
	s_wait_alu 0xfffd
	v_add_co_ci_u32_e64 v3, null, 0, v42, vcc_lo
	v_cmp_eq_u16_e32 vcc_lo, 2, v4
	s_delay_alu instid0(VALU_DEP_2)
	v_dual_mov_b32 v4, v5 :: v_dual_lshlrev_b32 v27, 2, v3
	s_wait_alu 0xfffd
	v_and_or_b32 v3, vcc_lo, v28, 0x80000000
	ds_bpermute_b32 v22, v27, v5
	ds_bpermute_b32 v8, v27, v6
	v_ctz_i32_b32_e32 v3, v3
	s_delay_alu instid0(VALU_DEP_1)
	v_cmpx_lt_u32_e64 v42, v3
	s_cbranch_execz .LBB142_59
; %bb.58:
	s_wait_dscnt 0x1
	v_add_co_u32 v4, vcc_lo, v5, v22
	s_wait_alu 0xfffd
	v_add_co_ci_u32_e64 v6, null, 0, v6, vcc_lo
	s_delay_alu instid0(VALU_DEP_2) | instskip(SKIP_2) | instid1(VALU_DEP_2)
	v_add_co_u32 v5, vcc_lo, 0, v4
	s_wait_dscnt 0x0
	s_wait_alu 0xfffd
	v_add_co_ci_u32_e64 v6, null, v8, v6, vcc_lo
.LBB142_59:
	s_wait_alu 0xfffe
	s_or_b32 exec_lo, exec_lo, s4
	v_cmp_gt_u32_e32 vcc_lo, 30, v42
	v_add_nc_u32_e32 v30, 2, v42
	s_mov_b32 s4, exec_lo
	s_wait_dscnt 0x0
	s_wait_alu 0xfffd
	v_cndmask_b32_e64 v8, 0, 2, vcc_lo
	s_delay_alu instid0(VALU_DEP_1)
	v_add_lshl_u32 v29, v8, v42, 2
	ds_bpermute_b32 v22, v29, v4
	ds_bpermute_b32 v8, v29, v6
	v_cmpx_le_u32_e64 v30, v3
	s_cbranch_execz .LBB142_61
; %bb.60:
	s_wait_dscnt 0x1
	v_add_co_u32 v4, vcc_lo, v5, v22
	s_wait_alu 0xfffd
	v_add_co_ci_u32_e64 v6, null, 0, v6, vcc_lo
	s_delay_alu instid0(VALU_DEP_2) | instskip(SKIP_2) | instid1(VALU_DEP_2)
	v_add_co_u32 v5, vcc_lo, 0, v4
	s_wait_dscnt 0x0
	s_wait_alu 0xfffd
	v_add_co_ci_u32_e64 v6, null, v8, v6, vcc_lo
.LBB142_61:
	s_wait_alu 0xfffe
	s_or_b32 exec_lo, exec_lo, s4
	v_cmp_gt_u32_e32 vcc_lo, 28, v42
	v_add_nc_u32_e32 v45, 4, v42
	s_mov_b32 s4, exec_lo
	s_wait_dscnt 0x0
	s_wait_alu 0xfffd
	v_cndmask_b32_e64 v8, 0, 4, vcc_lo
	s_delay_alu instid0(VALU_DEP_1)
	v_add_lshl_u32 v44, v8, v42, 2
	ds_bpermute_b32 v22, v44, v4
	ds_bpermute_b32 v8, v44, v6
	v_cmpx_le_u32_e64 v45, v3
	;; [unrolled: 25-line block ×3, first 2 shown]
	s_cbranch_execz .LBB142_65
; %bb.64:
	s_wait_dscnt 0x1
	v_add_co_u32 v4, vcc_lo, v5, v22
	s_wait_alu 0xfffd
	v_add_co_ci_u32_e64 v6, null, 0, v6, vcc_lo
	s_delay_alu instid0(VALU_DEP_2) | instskip(SKIP_2) | instid1(VALU_DEP_2)
	v_add_co_u32 v5, vcc_lo, 0, v4
	s_wait_dscnt 0x0
	s_wait_alu 0xfffd
	v_add_co_ci_u32_e64 v6, null, v8, v6, vcc_lo
.LBB142_65:
	s_wait_alu 0xfffe
	s_or_b32 exec_lo, exec_lo, s4
	v_lshl_or_b32 v48, v42, 2, 64
	v_add_nc_u32_e32 v49, 16, v42
	s_mov_b32 s4, exec_lo
	s_wait_dscnt 0x0
	ds_bpermute_b32 v8, v48, v4
	ds_bpermute_b32 v4, v48, v6
	v_cmpx_le_u32_e64 v49, v3
	s_cbranch_execz .LBB142_67
; %bb.66:
	s_wait_dscnt 0x1
	v_add_co_u32 v3, vcc_lo, v5, v8
	s_wait_alu 0xfffd
	v_add_co_ci_u32_e64 v6, null, 0, v6, vcc_lo
	s_delay_alu instid0(VALU_DEP_2) | instskip(SKIP_2) | instid1(VALU_DEP_2)
	v_add_co_u32 v5, vcc_lo, v3, 0
	s_wait_dscnt 0x0
	s_wait_alu 0xfffd
	v_add_co_ci_u32_e64 v6, null, v6, v4, vcc_lo
.LBB142_67:
	s_wait_alu 0xfffe
	s_or_b32 exec_lo, exec_lo, s4
	v_mov_b32_e32 v22, 0
	s_branch .LBB142_70
.LBB142_68:                             ;   in Loop: Header=BB142_70 Depth=1
	s_wait_alu 0xfffe
	s_or_b32 exec_lo, exec_lo, s4
	v_add_co_u32 v5, vcc_lo, v5, v3
	v_subrev_nc_u32_e32 v21, 32, v21
	s_wait_alu 0xfffd
	v_add_co_ci_u32_e64 v6, null, v6, v4, vcc_lo
	s_mov_b32 s4, 0
.LBB142_69:                             ;   in Loop: Header=BB142_70 Depth=1
	s_wait_alu 0xfffe
	s_and_b32 vcc_lo, exec_lo, s4
	s_wait_alu 0xfffe
	s_cbranch_vccnz .LBB142_86
.LBB142_70:                             ; =>This Loop Header: Depth=1
                                        ;     Child Loop BB142_73 Depth 2
	v_and_b32_e32 v3, 0xff, v7
	s_mov_b32 s4, -1
	s_delay_alu instid0(VALU_DEP_1)
	v_cmp_ne_u16_e32 vcc_lo, 2, v3
	s_wait_dscnt 0x0
	v_dual_mov_b32 v3, v5 :: v_dual_mov_b32 v4, v6
                                        ; implicit-def: $vgpr5_vgpr6
	s_cmp_lg_u32 vcc_lo, exec_lo
	s_cbranch_scc1 .LBB142_69
; %bb.71:                               ;   in Loop: Header=BB142_70 Depth=1
	v_lshlrev_b64_e32 v[5:6], 4, v[21:22]
	s_mov_b32 s4, exec_lo
	s_delay_alu instid0(VALU_DEP_1) | instskip(SKIP_1) | instid1(VALU_DEP_2)
	v_add_co_u32 v23, vcc_lo, s14, v5
	s_wait_alu 0xfffd
	v_add_co_ci_u32_e64 v24, null, s15, v6, vcc_lo
	;;#ASMSTART
	global_load_b128 v[5:8], v[23:24] off scope:SCOPE_DEV	
s_wait_loadcnt 0x0
	;;#ASMEND
	v_and_b32_e32 v8, 0xff, v7
	s_delay_alu instid0(VALU_DEP_1)
	v_cmpx_eq_u16_e32 0, v8
	s_cbranch_execz .LBB142_75
; %bb.72:                               ;   in Loop: Header=BB142_70 Depth=1
	s_mov_b32 s5, 0
.LBB142_73:                             ;   Parent Loop BB142_70 Depth=1
                                        ; =>  This Inner Loop Header: Depth=2
	;;#ASMSTART
	global_load_b128 v[5:8], v[23:24] off scope:SCOPE_DEV	
s_wait_loadcnt 0x0
	;;#ASMEND
	v_and_b32_e32 v8, 0xff, v7
	s_delay_alu instid0(VALU_DEP_1)
	v_cmp_ne_u16_e32 vcc_lo, 0, v8
	s_wait_alu 0xfffe
	s_or_b32 s5, vcc_lo, s5
	s_wait_alu 0xfffe
	s_and_not1_b32 exec_lo, exec_lo, s5
	s_cbranch_execnz .LBB142_73
; %bb.74:                               ;   in Loop: Header=BB142_70 Depth=1
	s_or_b32 exec_lo, exec_lo, s5
.LBB142_75:                             ;   in Loop: Header=BB142_70 Depth=1
	s_wait_alu 0xfffe
	s_or_b32 exec_lo, exec_lo, s4
	v_dual_mov_b32 v23, v5 :: v_dual_and_b32 v8, 0xff, v7
	ds_bpermute_b32 v50, v27, v5
	ds_bpermute_b32 v24, v27, v6
	s_mov_b32 s4, exec_lo
	v_cmp_eq_u16_e32 vcc_lo, 2, v8
	s_wait_alu 0xfffd
	v_and_or_b32 v8, vcc_lo, v28, 0x80000000
	s_delay_alu instid0(VALU_DEP_1) | instskip(NEXT) | instid1(VALU_DEP_1)
	v_ctz_i32_b32_e32 v8, v8
	v_cmpx_lt_u32_e64 v42, v8
	s_cbranch_execz .LBB142_77
; %bb.76:                               ;   in Loop: Header=BB142_70 Depth=1
	s_wait_dscnt 0x1
	v_add_co_u32 v23, vcc_lo, v5, v50
	s_wait_alu 0xfffd
	v_add_co_ci_u32_e64 v6, null, 0, v6, vcc_lo
	s_delay_alu instid0(VALU_DEP_2) | instskip(SKIP_2) | instid1(VALU_DEP_2)
	v_add_co_u32 v5, vcc_lo, 0, v23
	s_wait_dscnt 0x0
	s_wait_alu 0xfffd
	v_add_co_ci_u32_e64 v6, null, v24, v6, vcc_lo
.LBB142_77:                             ;   in Loop: Header=BB142_70 Depth=1
	s_wait_alu 0xfffe
	s_or_b32 exec_lo, exec_lo, s4
	s_wait_dscnt 0x1
	ds_bpermute_b32 v50, v29, v23
	s_wait_dscnt 0x1
	ds_bpermute_b32 v24, v29, v6
	s_mov_b32 s4, exec_lo
	v_cmpx_le_u32_e64 v30, v8
	s_cbranch_execz .LBB142_79
; %bb.78:                               ;   in Loop: Header=BB142_70 Depth=1
	s_wait_dscnt 0x1
	v_add_co_u32 v23, vcc_lo, v5, v50
	s_wait_alu 0xfffd
	v_add_co_ci_u32_e64 v6, null, 0, v6, vcc_lo
	s_delay_alu instid0(VALU_DEP_2) | instskip(SKIP_2) | instid1(VALU_DEP_2)
	v_add_co_u32 v5, vcc_lo, 0, v23
	s_wait_dscnt 0x0
	s_wait_alu 0xfffd
	v_add_co_ci_u32_e64 v6, null, v24, v6, vcc_lo
.LBB142_79:                             ;   in Loop: Header=BB142_70 Depth=1
	s_wait_alu 0xfffe
	s_or_b32 exec_lo, exec_lo, s4
	s_wait_dscnt 0x1
	ds_bpermute_b32 v50, v44, v23
	s_wait_dscnt 0x1
	ds_bpermute_b32 v24, v44, v6
	s_mov_b32 s4, exec_lo
	v_cmpx_le_u32_e64 v45, v8
	;; [unrolled: 20-line block ×3, first 2 shown]
	s_cbranch_execz .LBB142_83
; %bb.82:                               ;   in Loop: Header=BB142_70 Depth=1
	s_wait_dscnt 0x1
	v_add_co_u32 v23, vcc_lo, v5, v50
	s_wait_alu 0xfffd
	v_add_co_ci_u32_e64 v6, null, 0, v6, vcc_lo
	s_delay_alu instid0(VALU_DEP_2) | instskip(SKIP_2) | instid1(VALU_DEP_2)
	v_add_co_u32 v5, vcc_lo, 0, v23
	s_wait_dscnt 0x0
	s_wait_alu 0xfffd
	v_add_co_ci_u32_e64 v6, null, v24, v6, vcc_lo
.LBB142_83:                             ;   in Loop: Header=BB142_70 Depth=1
	s_wait_alu 0xfffe
	s_or_b32 exec_lo, exec_lo, s4
	s_wait_dscnt 0x0
	ds_bpermute_b32 v24, v48, v23
	ds_bpermute_b32 v23, v48, v6
	s_mov_b32 s4, exec_lo
	v_cmpx_le_u32_e64 v49, v8
	s_cbranch_execz .LBB142_68
; %bb.84:                               ;   in Loop: Header=BB142_70 Depth=1
	s_wait_dscnt 0x1
	v_add_co_u32 v5, vcc_lo, v5, v24
	s_wait_alu 0xfffd
	v_add_co_ci_u32_e64 v6, null, 0, v6, vcc_lo
	s_delay_alu instid0(VALU_DEP_2) | instskip(SKIP_2) | instid1(VALU_DEP_2)
	v_add_co_u32 v5, vcc_lo, v5, 0
	s_wait_dscnt 0x0
	s_wait_alu 0xfffd
	v_add_co_ci_u32_e64 v6, null, v6, v23, vcc_lo
	s_branch .LBB142_68
.LBB142_85:
                                        ; implicit-def: $vgpr19_vgpr20
                                        ; implicit-def: $vgpr6_vgpr7
                                        ; implicit-def: $vgpr21_vgpr22
                                        ; implicit-def: $vgpr23_vgpr24
                                        ; implicit-def: $vgpr25_vgpr26
                                        ; implicit-def: $vgpr27_vgpr28
                                        ; implicit-def: $vgpr29_vgpr30
                                        ; implicit-def: $vgpr4_vgpr5
	s_wait_alu 0xfffe
	s_and_b32 vcc_lo, exec_lo, s1
	s_wait_alu 0xfffe
	s_cbranch_vccnz .LBB142_91
	s_branch .LBB142_118
.LBB142_86:
	s_and_saveexec_b32 s4, s1
	s_cbranch_execz .LBB142_88
; %bb.87:
	s_add_co_i32 s16, s18, 32
	s_mov_b32 s17, 0
	v_add_co_u32 v5, vcc_lo, v3, v1
	s_wait_alu 0xfffe
	s_lshl_b64 s[16:17], s[16:17], 4
	v_dual_mov_b32 v7, 2 :: v_dual_mov_b32 v8, 0
	s_wait_alu 0xfffe
	s_add_nc_u64 s[16:17], s[14:15], s[16:17]
	s_wait_alu 0xfffd
	v_add_co_ci_u32_e64 v6, null, v4, v2, vcc_lo
	s_wait_alu 0xfffe
	v_dual_mov_b32 v22, s17 :: v_dual_mov_b32 v21, s16
	;;#ASMSTART
	global_store_b128 v[21:22], v[5:8] off scope:SCOPE_DEV	
s_wait_storecnt 0x0
	;;#ASMEND
	ds_store_b128 v8, v[1:4] offset:10752
.LBB142_88:
	s_wait_alu 0xfffe
	s_or_b32 exec_lo, exec_lo, s4
	s_delay_alu instid0(SALU_CYCLE_1)
	s_and_b32 exec_lo, exec_lo, s2
; %bb.89:
	v_mov_b32_e32 v1, 0
	ds_store_b64 v1, v[3:4] offset:88
.LBB142_90:
	s_wait_alu 0xfffe
	s_or_b32 exec_lo, exec_lo, s3
	v_mov_b32_e32 v3, 0
	s_wait_loadcnt_dscnt 0x0
	s_barrier_signal -1
	s_barrier_wait -1
	global_inv scope:SCOPE_SE
	ds_load_b64 v[1:2], v3 offset:88
	v_cndmask_b32_e64 v4, v25, v19, s1
	v_cndmask_b32_e64 v5, v26, v20, s1
	s_wait_loadcnt_dscnt 0x0
	s_barrier_signal -1
	s_barrier_wait -1
	v_cndmask_b32_e64 v4, v4, 0, s2
	v_cndmask_b32_e64 v5, v5, 0, s2
	global_inv scope:SCOPE_SE
	v_add_co_u32 v29, vcc_lo, v1, v4
	s_wait_alu 0xfffd
	v_add_co_ci_u32_e64 v30, null, v2, v5, vcc_lo
	ds_load_b128 v[2:5], v3 offset:10752
	v_add_co_u32 v27, vcc_lo, v29, v39
	s_wait_alu 0xfffd
	v_add_co_ci_u32_e64 v28, null, 0, v30, vcc_lo
	s_delay_alu instid0(VALU_DEP_2) | instskip(SKIP_1) | instid1(VALU_DEP_2)
	v_add_co_u32 v25, vcc_lo, v27, v38
	s_wait_alu 0xfffd
	v_add_co_ci_u32_e64 v26, null, 0, v28, vcc_lo
	s_delay_alu instid0(VALU_DEP_2) | instskip(SKIP_1) | instid1(VALU_DEP_2)
	;; [unrolled: 4-line block ×5, first 2 shown]
	v_add_co_u32 v19, vcc_lo, v6, v37
	s_wait_alu 0xfffd
	v_add_co_ci_u32_e64 v20, null, 0, v7, vcc_lo
	s_branch .LBB142_118
.LBB142_91:
	s_wait_dscnt 0x0
	v_dual_mov_b32 v2, 0 :: v_dual_mov_b32 v3, v17
	v_mov_b32_dpp v4, v17 row_shr:1 row_mask:0xf bank_mask:0xf
	s_delay_alu instid0(VALU_DEP_2)
	v_mov_b32_dpp v1, v2 row_shr:1 row_mask:0xf bank_mask:0xf
	s_and_saveexec_b32 s1, s0
; %bb.92:
	s_delay_alu instid0(VALU_DEP_2) | instskip(SKIP_2) | instid1(VALU_DEP_2)
	v_add_co_u32 v3, vcc_lo, v17, v4
	s_wait_alu 0xfffd
	v_add_co_ci_u32_e64 v2, null, 0, v18, vcc_lo
	v_add_co_u32 v17, vcc_lo, 0, v3
	s_wait_alu 0xfffd
	s_delay_alu instid0(VALU_DEP_2) | instskip(NEXT) | instid1(VALU_DEP_1)
	v_add_co_ci_u32_e64 v18, null, v1, v2, vcc_lo
	v_mov_b32_e32 v2, v18
; %bb.93:
	s_wait_alu 0xfffe
	s_or_b32 exec_lo, exec_lo, s1
	v_mov_b32_dpp v1, v3 row_shr:2 row_mask:0xf bank_mask:0xf
	s_delay_alu instid0(VALU_DEP_2)
	v_mov_b32_dpp v4, v2 row_shr:2 row_mask:0xf bank_mask:0xf
	v_cmp_lt_u32_e32 vcc_lo, 1, v43
	s_and_saveexec_b32 s3, vcc_lo
; %bb.94:
	s_delay_alu instid0(VALU_DEP_3) | instskip(SKIP_2) | instid1(VALU_DEP_2)
	v_add_co_u32 v3, s1, v17, v1
	s_wait_alu 0xf1ff
	v_add_co_ci_u32_e64 v2, null, 0, v18, s1
	v_add_co_u32 v1, s1, 0, v3
	s_wait_alu 0xf1ff
	s_delay_alu instid0(VALU_DEP_2) | instskip(NEXT) | instid1(VALU_DEP_1)
	v_add_co_ci_u32_e64 v2, null, v4, v2, s1
	v_dual_mov_b32 v18, v2 :: v_dual_mov_b32 v17, v1
; %bb.95:
	s_wait_alu 0xfffe
	s_or_b32 exec_lo, exec_lo, s3
	v_mov_b32_dpp v1, v3 row_shr:4 row_mask:0xf bank_mask:0xf
	v_mov_b32_dpp v4, v2 row_shr:4 row_mask:0xf bank_mask:0xf
	v_cmp_lt_u32_e64 s1, 3, v43
	s_and_saveexec_b32 s4, s1
; %bb.96:
	v_add_co_u32 v3, s3, v17, v1
	s_wait_alu 0xf1ff
	v_add_co_ci_u32_e64 v2, null, 0, v18, s3
	s_delay_alu instid0(VALU_DEP_2) | instskip(SKIP_1) | instid1(VALU_DEP_2)
	v_add_co_u32 v1, s3, 0, v3
	s_wait_alu 0xf1ff
	v_add_co_ci_u32_e64 v2, null, v4, v2, s3
	s_delay_alu instid0(VALU_DEP_1)
	v_dual_mov_b32 v18, v2 :: v_dual_mov_b32 v17, v1
; %bb.97:
	s_wait_alu 0xfffe
	s_or_b32 exec_lo, exec_lo, s4
	v_mov_b32_dpp v4, v3 row_shr:8 row_mask:0xf bank_mask:0xf
	v_mov_b32_dpp v1, v2 row_shr:8 row_mask:0xf bank_mask:0xf
	v_cmp_lt_u32_e64 s3, 7, v43
	s_and_saveexec_b32 s5, s3
; %bb.98:
	v_add_co_u32 v3, s4, v17, v4
	s_wait_alu 0xf1ff
	v_add_co_ci_u32_e64 v2, null, 0, v18, s4
	s_delay_alu instid0(VALU_DEP_2) | instskip(SKIP_1) | instid1(VALU_DEP_2)
	v_add_co_u32 v17, s4, 0, v3
	s_wait_alu 0xf1ff
	v_add_co_ci_u32_e64 v18, null, v1, v2, s4
	s_delay_alu instid0(VALU_DEP_1)
	v_mov_b32_e32 v2, v18
; %bb.99:
	s_wait_alu 0xfffe
	s_or_b32 exec_lo, exec_lo, s5
	ds_swizzle_b32 v3, v3 offset:swizzle(BROADCAST,32,15)
	ds_swizzle_b32 v1, v2 offset:swizzle(BROADCAST,32,15)
	v_and_b32_e32 v2, 16, v42
	s_mov_b32 s5, exec_lo
	s_delay_alu instid0(VALU_DEP_1)
	v_cmpx_ne_u32_e32 0, v2
	s_cbranch_execz .LBB142_101
; %bb.100:
	s_wait_dscnt 0x1
	v_add_co_u32 v2, s4, v17, v3
	s_wait_alu 0xf1ff
	v_add_co_ci_u32_e64 v3, null, 0, v18, s4
	s_delay_alu instid0(VALU_DEP_2) | instskip(SKIP_2) | instid1(VALU_DEP_2)
	v_add_co_u32 v17, s4, v2, 0
	s_wait_dscnt 0x0
	s_wait_alu 0xf1ff
	v_add_co_ci_u32_e64 v18, null, v3, v1, s4
.LBB142_101:
	s_wait_alu 0xfffe
	s_or_b32 exec_lo, exec_lo, s5
	s_wait_dscnt 0x0
	v_and_b32_e32 v1, 0x1e0, v0
	v_lshrrev_b32_e32 v3, 5, v0
	s_mov_b32 s5, exec_lo
	s_delay_alu instid0(VALU_DEP_2) | instskip(NEXT) | instid1(VALU_DEP_1)
	v_min_u32_e32 v1, 0x160, v1
	v_or_b32_e32 v1, 31, v1
	s_delay_alu instid0(VALU_DEP_1)
	v_cmpx_eq_u32_e64 v0, v1
; %bb.102:
	v_lshlrev_b32_e32 v1, 3, v3
	ds_store_b64 v1, v[17:18]
; %bb.103:
	s_wait_alu 0xfffe
	s_or_b32 exec_lo, exec_lo, s5
	s_delay_alu instid0(SALU_CYCLE_1)
	s_mov_b32 s5, exec_lo
	s_wait_loadcnt_dscnt 0x0
	s_barrier_signal -1
	s_barrier_wait -1
	global_inv scope:SCOPE_SE
	v_cmpx_gt_u32_e32 12, v0
	s_cbranch_execz .LBB142_113
; %bb.104:
	v_mad_i32_i24 v1, 0xffffffec, v0, v32
	ds_load_b64 v[1:2], v1
	s_wait_dscnt 0x0
	v_mov_b32_dpp v6, v1 row_shr:1 row_mask:0xf bank_mask:0xf
	v_mov_b32_dpp v5, v2 row_shr:1 row_mask:0xf bank_mask:0xf
	v_mov_b32_e32 v4, v1
	s_and_saveexec_b32 s4, s0
; %bb.105:
	s_delay_alu instid0(VALU_DEP_3) | instskip(SKIP_2) | instid1(VALU_DEP_2)
	v_add_co_u32 v4, s0, v1, v6
	s_wait_alu 0xf1ff
	v_add_co_ci_u32_e64 v2, null, 0, v2, s0
	v_add_co_u32 v1, s0, 0, v4
	s_wait_alu 0xf1ff
	s_delay_alu instid0(VALU_DEP_2)
	v_add_co_ci_u32_e64 v2, null, v5, v2, s0
; %bb.106:
	s_wait_alu 0xfffe
	s_or_b32 exec_lo, exec_lo, s4
	v_mov_b32_dpp v6, v4 row_shr:2 row_mask:0xf bank_mask:0xf
	s_delay_alu instid0(VALU_DEP_2)
	v_mov_b32_dpp v5, v2 row_shr:2 row_mask:0xf bank_mask:0xf
	s_and_saveexec_b32 s0, vcc_lo
; %bb.107:
	s_delay_alu instid0(VALU_DEP_2) | instskip(SKIP_2) | instid1(VALU_DEP_2)
	v_add_co_u32 v4, vcc_lo, v1, v6
	s_wait_alu 0xfffd
	v_add_co_ci_u32_e64 v2, null, 0, v2, vcc_lo
	v_add_co_u32 v1, vcc_lo, 0, v4
	s_wait_alu 0xfffd
	s_delay_alu instid0(VALU_DEP_2)
	v_add_co_ci_u32_e64 v2, null, v5, v2, vcc_lo
; %bb.108:
	s_wait_alu 0xfffe
	s_or_b32 exec_lo, exec_lo, s0
	v_mov_b32_dpp v6, v4 row_shr:4 row_mask:0xf bank_mask:0xf
	s_delay_alu instid0(VALU_DEP_2)
	v_mov_b32_dpp v5, v2 row_shr:4 row_mask:0xf bank_mask:0xf
	s_and_saveexec_b32 s0, s1
; %bb.109:
	s_delay_alu instid0(VALU_DEP_2) | instskip(SKIP_2) | instid1(VALU_DEP_2)
	v_add_co_u32 v4, vcc_lo, v1, v6
	s_wait_alu 0xfffd
	v_add_co_ci_u32_e64 v2, null, 0, v2, vcc_lo
	v_add_co_u32 v1, vcc_lo, 0, v4
	s_wait_alu 0xfffd
	s_delay_alu instid0(VALU_DEP_2)
	v_add_co_ci_u32_e64 v2, null, v5, v2, vcc_lo
; %bb.110:
	s_wait_alu 0xfffe
	s_or_b32 exec_lo, exec_lo, s0
	v_mul_i32_i24_e32 v5, 0xffffffec, v0
	v_mov_b32_dpp v6, v4 row_shr:8 row_mask:0xf bank_mask:0xf
	v_mov_b32_dpp v4, v2 row_shr:8 row_mask:0xf bank_mask:0xf
	s_and_saveexec_b32 s0, s3
; %bb.111:
	s_delay_alu instid0(VALU_DEP_2) | instskip(SKIP_2) | instid1(VALU_DEP_2)
	v_add_co_u32 v1, vcc_lo, v1, v6
	s_wait_alu 0xfffd
	v_add_co_ci_u32_e64 v2, null, 0, v2, vcc_lo
	v_add_co_u32 v1, vcc_lo, v1, 0
	s_wait_alu 0xfffd
	s_delay_alu instid0(VALU_DEP_2)
	v_add_co_ci_u32_e64 v2, null, v2, v4, vcc_lo
; %bb.112:
	s_wait_alu 0xfffe
	s_or_b32 exec_lo, exec_lo, s0
	v_add_nc_u32_e32 v4, v32, v5
	ds_store_b64 v4, v[1:2]
.LBB142_113:
	s_wait_alu 0xfffe
	s_or_b32 exec_lo, exec_lo, s5
	v_mov_b32_e32 v6, 0
	v_mov_b32_e32 v7, 0
	s_mov_b32 s0, exec_lo
	s_wait_loadcnt_dscnt 0x0
	s_barrier_signal -1
	s_barrier_wait -1
	global_inv scope:SCOPE_SE
	v_cmpx_lt_u32_e32 31, v0
; %bb.114:
	v_lshl_add_u32 v1, v3, 3, -8
	ds_load_b64 v[6:7], v1
; %bb.115:
	s_wait_alu 0xfffe
	s_or_b32 exec_lo, exec_lo, s0
	v_sub_co_u32 v1, vcc_lo, v42, 1
	v_mov_b32_e32 v5, 0
	s_delay_alu instid0(VALU_DEP_2) | instskip(SKIP_1) | instid1(VALU_DEP_1)
	v_cmp_gt_i32_e64 s0, 0, v1
	s_wait_alu 0xf1ff
	v_cndmask_b32_e64 v1, v1, v42, s0
	s_delay_alu instid0(VALU_DEP_1)
	v_lshlrev_b32_e32 v2, 2, v1
	s_wait_dscnt 0x0
	v_add_co_u32 v1, s0, v6, v17
	s_wait_alu 0xf1ff
	v_add_co_ci_u32_e64 v3, null, v7, v18, s0
	ds_bpermute_b32 v1, v2, v1
	ds_bpermute_b32 v8, v2, v3
	ds_load_b64 v[2:3], v5 offset:88
	s_and_saveexec_b32 s0, s2
	s_cbranch_execz .LBB142_117
; %bb.116:
	s_add_nc_u64 s[4:5], s[14:15], 0x200
	v_mov_b32_e32 v4, 2
	s_wait_alu 0xfffe
	v_dual_mov_b32 v18, s5 :: v_dual_mov_b32 v17, s4
	s_wait_dscnt 0x0
	;;#ASMSTART
	global_store_b128 v[17:18], v[2:5] off scope:SCOPE_DEV	
s_wait_storecnt 0x0
	;;#ASMEND
.LBB142_117:
	s_wait_alu 0xfffe
	s_or_b32 exec_lo, exec_lo, s0
	s_wait_dscnt 0x1
	s_wait_alu 0xfffd
	v_dual_cndmask_b32 v1, v1, v6 :: v_dual_cndmask_b32 v4, v8, v7
	s_wait_loadcnt_dscnt 0x0
	s_barrier_signal -1
	s_barrier_wait -1
	s_delay_alu instid0(VALU_DEP_1)
	v_cndmask_b32_e64 v29, v1, 0, s2
	v_cndmask_b32_e64 v30, v4, 0, s2
	v_mov_b32_e32 v4, 0
	v_mov_b32_e32 v5, 0
	global_inv scope:SCOPE_SE
	v_add_co_u32 v27, vcc_lo, v29, v39
	s_wait_alu 0xfffd
	v_add_co_ci_u32_e64 v28, null, 0, v30, vcc_lo
	s_delay_alu instid0(VALU_DEP_2) | instskip(SKIP_1) | instid1(VALU_DEP_2)
	v_add_co_u32 v25, vcc_lo, v27, v38
	s_wait_alu 0xfffd
	v_add_co_ci_u32_e64 v26, null, 0, v28, vcc_lo
	s_delay_alu instid0(VALU_DEP_2) | instskip(SKIP_1) | instid1(VALU_DEP_2)
	;; [unrolled: 4-line block ×5, first 2 shown]
	v_add_co_u32 v19, vcc_lo, v6, v37
	s_wait_alu 0xfffd
	v_add_co_ci_u32_e64 v20, null, 0, v7, vcc_lo
.LBB142_118:
	v_and_b32_e32 v37, 1, v31
	s_wait_dscnt 0x0
	v_cmp_gt_u64_e32 vcc_lo, 0x181, v[2:3]
	v_lshlrev_b64_e32 v[17:18], 2, v[9:10]
	v_lshrrev_b32_e32 v8, 8, v31
	v_lshrrev_b32_e32 v1, 16, v31
	v_cmp_eq_u32_e64 s0, 1, v37
	s_mov_b32 s1, -1
	s_cbranch_vccnz .LBB142_122
; %bb.119:
	s_wait_alu 0xfffe
	s_and_b32 vcc_lo, exec_lo, s1
	s_wait_alu 0xfffe
	s_cbranch_vccnz .LBB142_137
.LBB142_120:
	s_and_b32 s0, s2, s7
	s_wait_alu 0xfffe
	s_and_saveexec_b32 s1, s0
	s_cbranch_execnz .LBB142_154
.LBB142_121:
	s_endpgm
.LBB142_122:
	v_add_co_u32 v31, vcc_lo, v4, v2
	s_wait_alu 0xfffd
	v_add_co_ci_u32_e64 v32, null, v5, v3, vcc_lo
	v_add_co_u32 v38, s1, s12, v17
	s_wait_alu 0xf1fe
	v_add_co_ci_u32_e64 v39, null, s13, v18, s1
	s_delay_alu instid0(VALU_DEP_3)
	v_cmp_lt_u64_e32 vcc_lo, v[29:30], v[31:32]
	s_or_b32 s1, s10, vcc_lo
	s_wait_alu 0xfffe
	s_and_b32 s1, s1, s0
	s_wait_alu 0xfffe
	s_and_saveexec_b32 s0, s1
	s_cbranch_execz .LBB142_124
; %bb.123:
	v_lshlrev_b64_e32 v[40:41], 2, v[29:30]
	s_delay_alu instid0(VALU_DEP_1) | instskip(SKIP_1) | instid1(VALU_DEP_2)
	v_add_co_u32 v40, vcc_lo, v38, v40
	s_wait_alu 0xfffd
	v_add_co_ci_u32_e64 v41, null, v39, v41, vcc_lo
	global_store_b32 v[40:41], v15, off
.LBB142_124:
	s_wait_alu 0xfffe
	s_or_b32 exec_lo, exec_lo, s0
	v_and_b32_e32 v30, 1, v8
	v_cmp_lt_u64_e32 vcc_lo, v[27:28], v[31:32]
	s_delay_alu instid0(VALU_DEP_2)
	v_cmp_eq_u32_e64 s0, 1, v30
	s_or_b32 s1, s10, vcc_lo
	s_wait_alu 0xfffe
	s_and_b32 s1, s1, s0
	s_wait_alu 0xfffe
	s_and_saveexec_b32 s0, s1
	s_cbranch_execz .LBB142_126
; %bb.125:
	v_lshlrev_b64_e32 v[40:41], 2, v[27:28]
	s_delay_alu instid0(VALU_DEP_1) | instskip(SKIP_1) | instid1(VALU_DEP_2)
	v_add_co_u32 v40, vcc_lo, v38, v40
	s_wait_alu 0xfffd
	v_add_co_ci_u32_e64 v41, null, v39, v41, vcc_lo
	global_store_b32 v[40:41], v16, off
.LBB142_126:
	s_wait_alu 0xfffe
	s_or_b32 exec_lo, exec_lo, s0
	v_and_b32_e32 v28, 1, v1
	v_cmp_lt_u64_e32 vcc_lo, v[25:26], v[31:32]
	s_delay_alu instid0(VALU_DEP_2)
	v_cmp_eq_u32_e64 s0, 1, v28
	;; [unrolled: 20-line block ×5, first 2 shown]
	s_or_b32 s1, s10, vcc_lo
	s_wait_alu 0xfffe
	s_and_b32 s1, s1, s0
	s_wait_alu 0xfffe
	s_and_saveexec_b32 s0, s1
	s_cbranch_execz .LBB142_134
; %bb.133:
	v_lshlrev_b64_e32 v[40:41], 2, v[6:7]
	s_delay_alu instid0(VALU_DEP_1) | instskip(SKIP_1) | instid1(VALU_DEP_2)
	v_add_co_u32 v40, vcc_lo, v38, v40
	s_wait_alu 0xfffd
	v_add_co_ci_u32_e64 v41, null, v39, v41, vcc_lo
	global_store_b32 v[40:41], v12, off
.LBB142_134:
	s_wait_alu 0xfffe
	s_or_b32 exec_lo, exec_lo, s0
	v_cmp_lt_u64_e32 vcc_lo, v[19:20], v[31:32]
	s_or_b32 s0, s10, vcc_lo
	s_wait_alu 0xfffe
	s_and_b32 s1, s0, s11
	s_wait_alu 0xfffe
	s_and_saveexec_b32 s0, s1
	s_cbranch_execz .LBB142_136
; %bb.135:
	v_lshlrev_b64_e32 v[30:31], 2, v[19:20]
	s_delay_alu instid0(VALU_DEP_1) | instskip(SKIP_1) | instid1(VALU_DEP_2)
	v_add_co_u32 v30, vcc_lo, v38, v30
	s_wait_alu 0xfffd
	v_add_co_ci_u32_e64 v31, null, v39, v31, vcc_lo
	global_store_b32 v[30:31], v33, off
.LBB142_136:
	s_wait_alu 0xfffe
	s_or_b32 exec_lo, exec_lo, s0
	s_branch .LBB142_120
.LBB142_137:
	s_mov_b32 s0, exec_lo
	v_cmpx_eq_u32_e32 1, v37
; %bb.138:
	v_sub_nc_u32_e32 v7, v29, v4
	s_delay_alu instid0(VALU_DEP_1)
	v_lshlrev_b32_e32 v7, 2, v7
	ds_store_b32 v7, v15
; %bb.139:
	s_wait_alu 0xfffe
	s_or_b32 exec_lo, exec_lo, s0
	v_and_b32_e32 v7, 1, v8
	s_mov_b32 s0, exec_lo
	s_delay_alu instid0(VALU_DEP_1)
	v_cmpx_eq_u32_e32 1, v7
; %bb.140:
	v_sub_nc_u32_e32 v7, v27, v4
	s_delay_alu instid0(VALU_DEP_1)
	v_lshlrev_b32_e32 v7, 2, v7
	ds_store_b32 v7, v16
; %bb.141:
	s_wait_alu 0xfffe
	s_or_b32 exec_lo, exec_lo, s0
	v_and_b32_e32 v1, 1, v1
	s_mov_b32 s0, exec_lo
	s_delay_alu instid0(VALU_DEP_1)
	;; [unrolled: 12-line block ×5, first 2 shown]
	v_cmpx_eq_u32_e32 1, v1
; %bb.148:
	v_sub_nc_u32_e32 v1, v6, v4
	s_delay_alu instid0(VALU_DEP_1)
	v_lshlrev_b32_e32 v1, 2, v1
	ds_store_b32 v1, v12
; %bb.149:
	s_wait_alu 0xfffe
	s_or_b32 exec_lo, exec_lo, s0
	s_and_saveexec_b32 s0, s11
; %bb.150:
	v_sub_nc_u32_e32 v1, v19, v4
	s_delay_alu instid0(VALU_DEP_1)
	v_lshlrev_b32_e32 v1, 2, v1
	ds_store_b32 v1, v33
; %bb.151:
	s_wait_alu 0xfffe
	s_or_b32 exec_lo, exec_lo, s0
	v_lshlrev_b64_e32 v[11:12], 2, v[4:5]
	v_add_co_u32 v8, vcc_lo, s12, v17
	v_mov_b32_e32 v1, 0
	s_wait_alu 0xfffd
	v_add_co_ci_u32_e64 v13, null, s13, v18, vcc_lo
	s_delay_alu instid0(VALU_DEP_3) | instskip(NEXT) | instid1(VALU_DEP_3)
	v_add_co_u32 v8, vcc_lo, v8, v11
	v_dual_mov_b32 v7, v1 :: v_dual_mov_b32 v6, v0
	s_wait_alu 0xfffd
	s_delay_alu instid0(VALU_DEP_3)
	v_add_co_ci_u32_e64 v11, null, v13, v12, vcc_lo
	v_add_nc_u32_e32 v0, 0x180, v0
	s_mov_b32 s1, 0
	s_wait_storecnt 0x0
	s_wait_loadcnt_dscnt 0x0
	s_barrier_signal -1
	s_barrier_wait -1
	global_inv scope:SCOPE_SE
.LBB142_152:                            ; =>This Inner Loop Header: Depth=1
	v_lshlrev_b32_e32 v12, 2, v6
	v_cmp_le_u64_e32 vcc_lo, v[2:3], v[0:1]
	ds_load_b32 v14, v12
	v_lshlrev_b64_e32 v[12:13], 2, v[6:7]
	v_dual_mov_b32 v7, v1 :: v_dual_mov_b32 v6, v0
	v_add_nc_u32_e32 v0, 0x180, v0
	s_wait_alu 0xfffe
	s_or_b32 s1, vcc_lo, s1
	s_delay_alu instid0(VALU_DEP_3)
	v_add_co_u32 v12, s0, v8, v12
	s_wait_alu 0xf1ff
	v_add_co_ci_u32_e64 v13, null, v11, v13, s0
	s_wait_dscnt 0x0
	global_store_b32 v[12:13], v14, off
	s_wait_alu 0xfffe
	s_and_not1_b32 exec_lo, exec_lo, s1
	s_cbranch_execnz .LBB142_152
; %bb.153:
	s_or_b32 exec_lo, exec_lo, s1
	s_and_b32 s0, s2, s7
	s_wait_alu 0xfffe
	s_and_saveexec_b32 s1, s0
	s_cbranch_execz .LBB142_121
.LBB142_154:
	v_add_co_u32 v0, vcc_lo, v4, v2
	s_wait_alu 0xfffd
	v_add_co_ci_u32_e64 v1, null, v5, v3, vcc_lo
	v_mov_b32_e32 v2, 0
	s_delay_alu instid0(VALU_DEP_3) | instskip(SKIP_1) | instid1(VALU_DEP_3)
	v_add_co_u32 v0, vcc_lo, v0, v9
	s_wait_alu 0xfffd
	v_add_co_ci_u32_e64 v1, null, v1, v10, vcc_lo
	global_store_b64 v2, v[0:1], s[8:9]
	s_endpgm
	.section	.rodata,"a",@progbits
	.p2align	6, 0x0
	.amdhsa_kernel _ZN7rocprim17ROCPRIM_400000_NS6detail17trampoline_kernelINS0_14default_configENS1_25partition_config_selectorILNS1_17partition_subalgoE6EjNS0_10empty_typeEbEEZZNS1_14partition_implILS5_6ELb0ES3_mN6thrust23THRUST_200600_302600_NS6detail15normal_iteratorINSA_10device_ptrIjEEEEPS6_SG_NS0_5tupleIJSF_S6_EEENSH_IJSG_SG_EEES6_PlJNSB_9not_fun_tINSB_10functional5actorINSM_9compositeIJNSM_27transparent_binary_operatorINSA_8equal_toIvEEEENSN_INSM_8argumentILj0EEEEENSM_5valueIjEEEEEEEEEEEE10hipError_tPvRmT3_T4_T5_T6_T7_T9_mT8_P12ihipStream_tbDpT10_ENKUlT_T0_E_clISt17integral_constantIbLb0EES1J_IbLb1EEEEDaS1F_S1G_EUlS1F_E_NS1_11comp_targetILNS1_3genE10ELNS1_11target_archE1200ELNS1_3gpuE4ELNS1_3repE0EEENS1_30default_config_static_selectorELNS0_4arch9wavefront6targetE0EEEvT1_
		.amdhsa_group_segment_fixed_size 10768
		.amdhsa_private_segment_fixed_size 0
		.amdhsa_kernarg_size 128
		.amdhsa_user_sgpr_count 2
		.amdhsa_user_sgpr_dispatch_ptr 0
		.amdhsa_user_sgpr_queue_ptr 0
		.amdhsa_user_sgpr_kernarg_segment_ptr 1
		.amdhsa_user_sgpr_dispatch_id 0
		.amdhsa_user_sgpr_private_segment_size 0
		.amdhsa_wavefront_size32 1
		.amdhsa_uses_dynamic_stack 0
		.amdhsa_enable_private_segment 0
		.amdhsa_system_sgpr_workgroup_id_x 1
		.amdhsa_system_sgpr_workgroup_id_y 0
		.amdhsa_system_sgpr_workgroup_id_z 0
		.amdhsa_system_sgpr_workgroup_info 0
		.amdhsa_system_vgpr_workitem_id 0
		.amdhsa_next_free_vgpr 51
		.amdhsa_next_free_sgpr 21
		.amdhsa_reserve_vcc 1
		.amdhsa_float_round_mode_32 0
		.amdhsa_float_round_mode_16_64 0
		.amdhsa_float_denorm_mode_32 3
		.amdhsa_float_denorm_mode_16_64 3
		.amdhsa_fp16_overflow 0
		.amdhsa_workgroup_processor_mode 1
		.amdhsa_memory_ordered 1
		.amdhsa_forward_progress 1
		.amdhsa_inst_pref_size 60
		.amdhsa_round_robin_scheduling 0
		.amdhsa_exception_fp_ieee_invalid_op 0
		.amdhsa_exception_fp_denorm_src 0
		.amdhsa_exception_fp_ieee_div_zero 0
		.amdhsa_exception_fp_ieee_overflow 0
		.amdhsa_exception_fp_ieee_underflow 0
		.amdhsa_exception_fp_ieee_inexact 0
		.amdhsa_exception_int_div_zero 0
	.end_amdhsa_kernel
	.section	.text._ZN7rocprim17ROCPRIM_400000_NS6detail17trampoline_kernelINS0_14default_configENS1_25partition_config_selectorILNS1_17partition_subalgoE6EjNS0_10empty_typeEbEEZZNS1_14partition_implILS5_6ELb0ES3_mN6thrust23THRUST_200600_302600_NS6detail15normal_iteratorINSA_10device_ptrIjEEEEPS6_SG_NS0_5tupleIJSF_S6_EEENSH_IJSG_SG_EEES6_PlJNSB_9not_fun_tINSB_10functional5actorINSM_9compositeIJNSM_27transparent_binary_operatorINSA_8equal_toIvEEEENSN_INSM_8argumentILj0EEEEENSM_5valueIjEEEEEEEEEEEE10hipError_tPvRmT3_T4_T5_T6_T7_T9_mT8_P12ihipStream_tbDpT10_ENKUlT_T0_E_clISt17integral_constantIbLb0EES1J_IbLb1EEEEDaS1F_S1G_EUlS1F_E_NS1_11comp_targetILNS1_3genE10ELNS1_11target_archE1200ELNS1_3gpuE4ELNS1_3repE0EEENS1_30default_config_static_selectorELNS0_4arch9wavefront6targetE0EEEvT1_,"axG",@progbits,_ZN7rocprim17ROCPRIM_400000_NS6detail17trampoline_kernelINS0_14default_configENS1_25partition_config_selectorILNS1_17partition_subalgoE6EjNS0_10empty_typeEbEEZZNS1_14partition_implILS5_6ELb0ES3_mN6thrust23THRUST_200600_302600_NS6detail15normal_iteratorINSA_10device_ptrIjEEEEPS6_SG_NS0_5tupleIJSF_S6_EEENSH_IJSG_SG_EEES6_PlJNSB_9not_fun_tINSB_10functional5actorINSM_9compositeIJNSM_27transparent_binary_operatorINSA_8equal_toIvEEEENSN_INSM_8argumentILj0EEEEENSM_5valueIjEEEEEEEEEEEE10hipError_tPvRmT3_T4_T5_T6_T7_T9_mT8_P12ihipStream_tbDpT10_ENKUlT_T0_E_clISt17integral_constantIbLb0EES1J_IbLb1EEEEDaS1F_S1G_EUlS1F_E_NS1_11comp_targetILNS1_3genE10ELNS1_11target_archE1200ELNS1_3gpuE4ELNS1_3repE0EEENS1_30default_config_static_selectorELNS0_4arch9wavefront6targetE0EEEvT1_,comdat
.Lfunc_end142:
	.size	_ZN7rocprim17ROCPRIM_400000_NS6detail17trampoline_kernelINS0_14default_configENS1_25partition_config_selectorILNS1_17partition_subalgoE6EjNS0_10empty_typeEbEEZZNS1_14partition_implILS5_6ELb0ES3_mN6thrust23THRUST_200600_302600_NS6detail15normal_iteratorINSA_10device_ptrIjEEEEPS6_SG_NS0_5tupleIJSF_S6_EEENSH_IJSG_SG_EEES6_PlJNSB_9not_fun_tINSB_10functional5actorINSM_9compositeIJNSM_27transparent_binary_operatorINSA_8equal_toIvEEEENSN_INSM_8argumentILj0EEEEENSM_5valueIjEEEEEEEEEEEE10hipError_tPvRmT3_T4_T5_T6_T7_T9_mT8_P12ihipStream_tbDpT10_ENKUlT_T0_E_clISt17integral_constantIbLb0EES1J_IbLb1EEEEDaS1F_S1G_EUlS1F_E_NS1_11comp_targetILNS1_3genE10ELNS1_11target_archE1200ELNS1_3gpuE4ELNS1_3repE0EEENS1_30default_config_static_selectorELNS0_4arch9wavefront6targetE0EEEvT1_, .Lfunc_end142-_ZN7rocprim17ROCPRIM_400000_NS6detail17trampoline_kernelINS0_14default_configENS1_25partition_config_selectorILNS1_17partition_subalgoE6EjNS0_10empty_typeEbEEZZNS1_14partition_implILS5_6ELb0ES3_mN6thrust23THRUST_200600_302600_NS6detail15normal_iteratorINSA_10device_ptrIjEEEEPS6_SG_NS0_5tupleIJSF_S6_EEENSH_IJSG_SG_EEES6_PlJNSB_9not_fun_tINSB_10functional5actorINSM_9compositeIJNSM_27transparent_binary_operatorINSA_8equal_toIvEEEENSN_INSM_8argumentILj0EEEEENSM_5valueIjEEEEEEEEEEEE10hipError_tPvRmT3_T4_T5_T6_T7_T9_mT8_P12ihipStream_tbDpT10_ENKUlT_T0_E_clISt17integral_constantIbLb0EES1J_IbLb1EEEEDaS1F_S1G_EUlS1F_E_NS1_11comp_targetILNS1_3genE10ELNS1_11target_archE1200ELNS1_3gpuE4ELNS1_3repE0EEENS1_30default_config_static_selectorELNS0_4arch9wavefront6targetE0EEEvT1_
                                        ; -- End function
	.set _ZN7rocprim17ROCPRIM_400000_NS6detail17trampoline_kernelINS0_14default_configENS1_25partition_config_selectorILNS1_17partition_subalgoE6EjNS0_10empty_typeEbEEZZNS1_14partition_implILS5_6ELb0ES3_mN6thrust23THRUST_200600_302600_NS6detail15normal_iteratorINSA_10device_ptrIjEEEEPS6_SG_NS0_5tupleIJSF_S6_EEENSH_IJSG_SG_EEES6_PlJNSB_9not_fun_tINSB_10functional5actorINSM_9compositeIJNSM_27transparent_binary_operatorINSA_8equal_toIvEEEENSN_INSM_8argumentILj0EEEEENSM_5valueIjEEEEEEEEEEEE10hipError_tPvRmT3_T4_T5_T6_T7_T9_mT8_P12ihipStream_tbDpT10_ENKUlT_T0_E_clISt17integral_constantIbLb0EES1J_IbLb1EEEEDaS1F_S1G_EUlS1F_E_NS1_11comp_targetILNS1_3genE10ELNS1_11target_archE1200ELNS1_3gpuE4ELNS1_3repE0EEENS1_30default_config_static_selectorELNS0_4arch9wavefront6targetE0EEEvT1_.num_vgpr, 51
	.set _ZN7rocprim17ROCPRIM_400000_NS6detail17trampoline_kernelINS0_14default_configENS1_25partition_config_selectorILNS1_17partition_subalgoE6EjNS0_10empty_typeEbEEZZNS1_14partition_implILS5_6ELb0ES3_mN6thrust23THRUST_200600_302600_NS6detail15normal_iteratorINSA_10device_ptrIjEEEEPS6_SG_NS0_5tupleIJSF_S6_EEENSH_IJSG_SG_EEES6_PlJNSB_9not_fun_tINSB_10functional5actorINSM_9compositeIJNSM_27transparent_binary_operatorINSA_8equal_toIvEEEENSN_INSM_8argumentILj0EEEEENSM_5valueIjEEEEEEEEEEEE10hipError_tPvRmT3_T4_T5_T6_T7_T9_mT8_P12ihipStream_tbDpT10_ENKUlT_T0_E_clISt17integral_constantIbLb0EES1J_IbLb1EEEEDaS1F_S1G_EUlS1F_E_NS1_11comp_targetILNS1_3genE10ELNS1_11target_archE1200ELNS1_3gpuE4ELNS1_3repE0EEENS1_30default_config_static_selectorELNS0_4arch9wavefront6targetE0EEEvT1_.num_agpr, 0
	.set _ZN7rocprim17ROCPRIM_400000_NS6detail17trampoline_kernelINS0_14default_configENS1_25partition_config_selectorILNS1_17partition_subalgoE6EjNS0_10empty_typeEbEEZZNS1_14partition_implILS5_6ELb0ES3_mN6thrust23THRUST_200600_302600_NS6detail15normal_iteratorINSA_10device_ptrIjEEEEPS6_SG_NS0_5tupleIJSF_S6_EEENSH_IJSG_SG_EEES6_PlJNSB_9not_fun_tINSB_10functional5actorINSM_9compositeIJNSM_27transparent_binary_operatorINSA_8equal_toIvEEEENSN_INSM_8argumentILj0EEEEENSM_5valueIjEEEEEEEEEEEE10hipError_tPvRmT3_T4_T5_T6_T7_T9_mT8_P12ihipStream_tbDpT10_ENKUlT_T0_E_clISt17integral_constantIbLb0EES1J_IbLb1EEEEDaS1F_S1G_EUlS1F_E_NS1_11comp_targetILNS1_3genE10ELNS1_11target_archE1200ELNS1_3gpuE4ELNS1_3repE0EEENS1_30default_config_static_selectorELNS0_4arch9wavefront6targetE0EEEvT1_.numbered_sgpr, 21
	.set _ZN7rocprim17ROCPRIM_400000_NS6detail17trampoline_kernelINS0_14default_configENS1_25partition_config_selectorILNS1_17partition_subalgoE6EjNS0_10empty_typeEbEEZZNS1_14partition_implILS5_6ELb0ES3_mN6thrust23THRUST_200600_302600_NS6detail15normal_iteratorINSA_10device_ptrIjEEEEPS6_SG_NS0_5tupleIJSF_S6_EEENSH_IJSG_SG_EEES6_PlJNSB_9not_fun_tINSB_10functional5actorINSM_9compositeIJNSM_27transparent_binary_operatorINSA_8equal_toIvEEEENSN_INSM_8argumentILj0EEEEENSM_5valueIjEEEEEEEEEEEE10hipError_tPvRmT3_T4_T5_T6_T7_T9_mT8_P12ihipStream_tbDpT10_ENKUlT_T0_E_clISt17integral_constantIbLb0EES1J_IbLb1EEEEDaS1F_S1G_EUlS1F_E_NS1_11comp_targetILNS1_3genE10ELNS1_11target_archE1200ELNS1_3gpuE4ELNS1_3repE0EEENS1_30default_config_static_selectorELNS0_4arch9wavefront6targetE0EEEvT1_.num_named_barrier, 0
	.set _ZN7rocprim17ROCPRIM_400000_NS6detail17trampoline_kernelINS0_14default_configENS1_25partition_config_selectorILNS1_17partition_subalgoE6EjNS0_10empty_typeEbEEZZNS1_14partition_implILS5_6ELb0ES3_mN6thrust23THRUST_200600_302600_NS6detail15normal_iteratorINSA_10device_ptrIjEEEEPS6_SG_NS0_5tupleIJSF_S6_EEENSH_IJSG_SG_EEES6_PlJNSB_9not_fun_tINSB_10functional5actorINSM_9compositeIJNSM_27transparent_binary_operatorINSA_8equal_toIvEEEENSN_INSM_8argumentILj0EEEEENSM_5valueIjEEEEEEEEEEEE10hipError_tPvRmT3_T4_T5_T6_T7_T9_mT8_P12ihipStream_tbDpT10_ENKUlT_T0_E_clISt17integral_constantIbLb0EES1J_IbLb1EEEEDaS1F_S1G_EUlS1F_E_NS1_11comp_targetILNS1_3genE10ELNS1_11target_archE1200ELNS1_3gpuE4ELNS1_3repE0EEENS1_30default_config_static_selectorELNS0_4arch9wavefront6targetE0EEEvT1_.private_seg_size, 0
	.set _ZN7rocprim17ROCPRIM_400000_NS6detail17trampoline_kernelINS0_14default_configENS1_25partition_config_selectorILNS1_17partition_subalgoE6EjNS0_10empty_typeEbEEZZNS1_14partition_implILS5_6ELb0ES3_mN6thrust23THRUST_200600_302600_NS6detail15normal_iteratorINSA_10device_ptrIjEEEEPS6_SG_NS0_5tupleIJSF_S6_EEENSH_IJSG_SG_EEES6_PlJNSB_9not_fun_tINSB_10functional5actorINSM_9compositeIJNSM_27transparent_binary_operatorINSA_8equal_toIvEEEENSN_INSM_8argumentILj0EEEEENSM_5valueIjEEEEEEEEEEEE10hipError_tPvRmT3_T4_T5_T6_T7_T9_mT8_P12ihipStream_tbDpT10_ENKUlT_T0_E_clISt17integral_constantIbLb0EES1J_IbLb1EEEEDaS1F_S1G_EUlS1F_E_NS1_11comp_targetILNS1_3genE10ELNS1_11target_archE1200ELNS1_3gpuE4ELNS1_3repE0EEENS1_30default_config_static_selectorELNS0_4arch9wavefront6targetE0EEEvT1_.uses_vcc, 1
	.set _ZN7rocprim17ROCPRIM_400000_NS6detail17trampoline_kernelINS0_14default_configENS1_25partition_config_selectorILNS1_17partition_subalgoE6EjNS0_10empty_typeEbEEZZNS1_14partition_implILS5_6ELb0ES3_mN6thrust23THRUST_200600_302600_NS6detail15normal_iteratorINSA_10device_ptrIjEEEEPS6_SG_NS0_5tupleIJSF_S6_EEENSH_IJSG_SG_EEES6_PlJNSB_9not_fun_tINSB_10functional5actorINSM_9compositeIJNSM_27transparent_binary_operatorINSA_8equal_toIvEEEENSN_INSM_8argumentILj0EEEEENSM_5valueIjEEEEEEEEEEEE10hipError_tPvRmT3_T4_T5_T6_T7_T9_mT8_P12ihipStream_tbDpT10_ENKUlT_T0_E_clISt17integral_constantIbLb0EES1J_IbLb1EEEEDaS1F_S1G_EUlS1F_E_NS1_11comp_targetILNS1_3genE10ELNS1_11target_archE1200ELNS1_3gpuE4ELNS1_3repE0EEENS1_30default_config_static_selectorELNS0_4arch9wavefront6targetE0EEEvT1_.uses_flat_scratch, 1
	.set _ZN7rocprim17ROCPRIM_400000_NS6detail17trampoline_kernelINS0_14default_configENS1_25partition_config_selectorILNS1_17partition_subalgoE6EjNS0_10empty_typeEbEEZZNS1_14partition_implILS5_6ELb0ES3_mN6thrust23THRUST_200600_302600_NS6detail15normal_iteratorINSA_10device_ptrIjEEEEPS6_SG_NS0_5tupleIJSF_S6_EEENSH_IJSG_SG_EEES6_PlJNSB_9not_fun_tINSB_10functional5actorINSM_9compositeIJNSM_27transparent_binary_operatorINSA_8equal_toIvEEEENSN_INSM_8argumentILj0EEEEENSM_5valueIjEEEEEEEEEEEE10hipError_tPvRmT3_T4_T5_T6_T7_T9_mT8_P12ihipStream_tbDpT10_ENKUlT_T0_E_clISt17integral_constantIbLb0EES1J_IbLb1EEEEDaS1F_S1G_EUlS1F_E_NS1_11comp_targetILNS1_3genE10ELNS1_11target_archE1200ELNS1_3gpuE4ELNS1_3repE0EEENS1_30default_config_static_selectorELNS0_4arch9wavefront6targetE0EEEvT1_.has_dyn_sized_stack, 0
	.set _ZN7rocprim17ROCPRIM_400000_NS6detail17trampoline_kernelINS0_14default_configENS1_25partition_config_selectorILNS1_17partition_subalgoE6EjNS0_10empty_typeEbEEZZNS1_14partition_implILS5_6ELb0ES3_mN6thrust23THRUST_200600_302600_NS6detail15normal_iteratorINSA_10device_ptrIjEEEEPS6_SG_NS0_5tupleIJSF_S6_EEENSH_IJSG_SG_EEES6_PlJNSB_9not_fun_tINSB_10functional5actorINSM_9compositeIJNSM_27transparent_binary_operatorINSA_8equal_toIvEEEENSN_INSM_8argumentILj0EEEEENSM_5valueIjEEEEEEEEEEEE10hipError_tPvRmT3_T4_T5_T6_T7_T9_mT8_P12ihipStream_tbDpT10_ENKUlT_T0_E_clISt17integral_constantIbLb0EES1J_IbLb1EEEEDaS1F_S1G_EUlS1F_E_NS1_11comp_targetILNS1_3genE10ELNS1_11target_archE1200ELNS1_3gpuE4ELNS1_3repE0EEENS1_30default_config_static_selectorELNS0_4arch9wavefront6targetE0EEEvT1_.has_recursion, 0
	.set _ZN7rocprim17ROCPRIM_400000_NS6detail17trampoline_kernelINS0_14default_configENS1_25partition_config_selectorILNS1_17partition_subalgoE6EjNS0_10empty_typeEbEEZZNS1_14partition_implILS5_6ELb0ES3_mN6thrust23THRUST_200600_302600_NS6detail15normal_iteratorINSA_10device_ptrIjEEEEPS6_SG_NS0_5tupleIJSF_S6_EEENSH_IJSG_SG_EEES6_PlJNSB_9not_fun_tINSB_10functional5actorINSM_9compositeIJNSM_27transparent_binary_operatorINSA_8equal_toIvEEEENSN_INSM_8argumentILj0EEEEENSM_5valueIjEEEEEEEEEEEE10hipError_tPvRmT3_T4_T5_T6_T7_T9_mT8_P12ihipStream_tbDpT10_ENKUlT_T0_E_clISt17integral_constantIbLb0EES1J_IbLb1EEEEDaS1F_S1G_EUlS1F_E_NS1_11comp_targetILNS1_3genE10ELNS1_11target_archE1200ELNS1_3gpuE4ELNS1_3repE0EEENS1_30default_config_static_selectorELNS0_4arch9wavefront6targetE0EEEvT1_.has_indirect_call, 0
	.section	.AMDGPU.csdata,"",@progbits
; Kernel info:
; codeLenInByte = 7636
; TotalNumSgprs: 23
; NumVgprs: 51
; ScratchSize: 0
; MemoryBound: 0
; FloatMode: 240
; IeeeMode: 1
; LDSByteSize: 10768 bytes/workgroup (compile time only)
; SGPRBlocks: 0
; VGPRBlocks: 6
; NumSGPRsForWavesPerEU: 23
; NumVGPRsForWavesPerEU: 51
; Occupancy: 15
; WaveLimiterHint : 1
; COMPUTE_PGM_RSRC2:SCRATCH_EN: 0
; COMPUTE_PGM_RSRC2:USER_SGPR: 2
; COMPUTE_PGM_RSRC2:TRAP_HANDLER: 0
; COMPUTE_PGM_RSRC2:TGID_X_EN: 1
; COMPUTE_PGM_RSRC2:TGID_Y_EN: 0
; COMPUTE_PGM_RSRC2:TGID_Z_EN: 0
; COMPUTE_PGM_RSRC2:TIDIG_COMP_CNT: 0
	.section	.text._ZN7rocprim17ROCPRIM_400000_NS6detail17trampoline_kernelINS0_14default_configENS1_25partition_config_selectorILNS1_17partition_subalgoE6EjNS0_10empty_typeEbEEZZNS1_14partition_implILS5_6ELb0ES3_mN6thrust23THRUST_200600_302600_NS6detail15normal_iteratorINSA_10device_ptrIjEEEEPS6_SG_NS0_5tupleIJSF_S6_EEENSH_IJSG_SG_EEES6_PlJNSB_9not_fun_tINSB_10functional5actorINSM_9compositeIJNSM_27transparent_binary_operatorINSA_8equal_toIvEEEENSN_INSM_8argumentILj0EEEEENSM_5valueIjEEEEEEEEEEEE10hipError_tPvRmT3_T4_T5_T6_T7_T9_mT8_P12ihipStream_tbDpT10_ENKUlT_T0_E_clISt17integral_constantIbLb0EES1J_IbLb1EEEEDaS1F_S1G_EUlS1F_E_NS1_11comp_targetILNS1_3genE9ELNS1_11target_archE1100ELNS1_3gpuE3ELNS1_3repE0EEENS1_30default_config_static_selectorELNS0_4arch9wavefront6targetE0EEEvT1_,"axG",@progbits,_ZN7rocprim17ROCPRIM_400000_NS6detail17trampoline_kernelINS0_14default_configENS1_25partition_config_selectorILNS1_17partition_subalgoE6EjNS0_10empty_typeEbEEZZNS1_14partition_implILS5_6ELb0ES3_mN6thrust23THRUST_200600_302600_NS6detail15normal_iteratorINSA_10device_ptrIjEEEEPS6_SG_NS0_5tupleIJSF_S6_EEENSH_IJSG_SG_EEES6_PlJNSB_9not_fun_tINSB_10functional5actorINSM_9compositeIJNSM_27transparent_binary_operatorINSA_8equal_toIvEEEENSN_INSM_8argumentILj0EEEEENSM_5valueIjEEEEEEEEEEEE10hipError_tPvRmT3_T4_T5_T6_T7_T9_mT8_P12ihipStream_tbDpT10_ENKUlT_T0_E_clISt17integral_constantIbLb0EES1J_IbLb1EEEEDaS1F_S1G_EUlS1F_E_NS1_11comp_targetILNS1_3genE9ELNS1_11target_archE1100ELNS1_3gpuE3ELNS1_3repE0EEENS1_30default_config_static_selectorELNS0_4arch9wavefront6targetE0EEEvT1_,comdat
	.protected	_ZN7rocprim17ROCPRIM_400000_NS6detail17trampoline_kernelINS0_14default_configENS1_25partition_config_selectorILNS1_17partition_subalgoE6EjNS0_10empty_typeEbEEZZNS1_14partition_implILS5_6ELb0ES3_mN6thrust23THRUST_200600_302600_NS6detail15normal_iteratorINSA_10device_ptrIjEEEEPS6_SG_NS0_5tupleIJSF_S6_EEENSH_IJSG_SG_EEES6_PlJNSB_9not_fun_tINSB_10functional5actorINSM_9compositeIJNSM_27transparent_binary_operatorINSA_8equal_toIvEEEENSN_INSM_8argumentILj0EEEEENSM_5valueIjEEEEEEEEEEEE10hipError_tPvRmT3_T4_T5_T6_T7_T9_mT8_P12ihipStream_tbDpT10_ENKUlT_T0_E_clISt17integral_constantIbLb0EES1J_IbLb1EEEEDaS1F_S1G_EUlS1F_E_NS1_11comp_targetILNS1_3genE9ELNS1_11target_archE1100ELNS1_3gpuE3ELNS1_3repE0EEENS1_30default_config_static_selectorELNS0_4arch9wavefront6targetE0EEEvT1_ ; -- Begin function _ZN7rocprim17ROCPRIM_400000_NS6detail17trampoline_kernelINS0_14default_configENS1_25partition_config_selectorILNS1_17partition_subalgoE6EjNS0_10empty_typeEbEEZZNS1_14partition_implILS5_6ELb0ES3_mN6thrust23THRUST_200600_302600_NS6detail15normal_iteratorINSA_10device_ptrIjEEEEPS6_SG_NS0_5tupleIJSF_S6_EEENSH_IJSG_SG_EEES6_PlJNSB_9not_fun_tINSB_10functional5actorINSM_9compositeIJNSM_27transparent_binary_operatorINSA_8equal_toIvEEEENSN_INSM_8argumentILj0EEEEENSM_5valueIjEEEEEEEEEEEE10hipError_tPvRmT3_T4_T5_T6_T7_T9_mT8_P12ihipStream_tbDpT10_ENKUlT_T0_E_clISt17integral_constantIbLb0EES1J_IbLb1EEEEDaS1F_S1G_EUlS1F_E_NS1_11comp_targetILNS1_3genE9ELNS1_11target_archE1100ELNS1_3gpuE3ELNS1_3repE0EEENS1_30default_config_static_selectorELNS0_4arch9wavefront6targetE0EEEvT1_
	.globl	_ZN7rocprim17ROCPRIM_400000_NS6detail17trampoline_kernelINS0_14default_configENS1_25partition_config_selectorILNS1_17partition_subalgoE6EjNS0_10empty_typeEbEEZZNS1_14partition_implILS5_6ELb0ES3_mN6thrust23THRUST_200600_302600_NS6detail15normal_iteratorINSA_10device_ptrIjEEEEPS6_SG_NS0_5tupleIJSF_S6_EEENSH_IJSG_SG_EEES6_PlJNSB_9not_fun_tINSB_10functional5actorINSM_9compositeIJNSM_27transparent_binary_operatorINSA_8equal_toIvEEEENSN_INSM_8argumentILj0EEEEENSM_5valueIjEEEEEEEEEEEE10hipError_tPvRmT3_T4_T5_T6_T7_T9_mT8_P12ihipStream_tbDpT10_ENKUlT_T0_E_clISt17integral_constantIbLb0EES1J_IbLb1EEEEDaS1F_S1G_EUlS1F_E_NS1_11comp_targetILNS1_3genE9ELNS1_11target_archE1100ELNS1_3gpuE3ELNS1_3repE0EEENS1_30default_config_static_selectorELNS0_4arch9wavefront6targetE0EEEvT1_
	.p2align	8
	.type	_ZN7rocprim17ROCPRIM_400000_NS6detail17trampoline_kernelINS0_14default_configENS1_25partition_config_selectorILNS1_17partition_subalgoE6EjNS0_10empty_typeEbEEZZNS1_14partition_implILS5_6ELb0ES3_mN6thrust23THRUST_200600_302600_NS6detail15normal_iteratorINSA_10device_ptrIjEEEEPS6_SG_NS0_5tupleIJSF_S6_EEENSH_IJSG_SG_EEES6_PlJNSB_9not_fun_tINSB_10functional5actorINSM_9compositeIJNSM_27transparent_binary_operatorINSA_8equal_toIvEEEENSN_INSM_8argumentILj0EEEEENSM_5valueIjEEEEEEEEEEEE10hipError_tPvRmT3_T4_T5_T6_T7_T9_mT8_P12ihipStream_tbDpT10_ENKUlT_T0_E_clISt17integral_constantIbLb0EES1J_IbLb1EEEEDaS1F_S1G_EUlS1F_E_NS1_11comp_targetILNS1_3genE9ELNS1_11target_archE1100ELNS1_3gpuE3ELNS1_3repE0EEENS1_30default_config_static_selectorELNS0_4arch9wavefront6targetE0EEEvT1_,@function
_ZN7rocprim17ROCPRIM_400000_NS6detail17trampoline_kernelINS0_14default_configENS1_25partition_config_selectorILNS1_17partition_subalgoE6EjNS0_10empty_typeEbEEZZNS1_14partition_implILS5_6ELb0ES3_mN6thrust23THRUST_200600_302600_NS6detail15normal_iteratorINSA_10device_ptrIjEEEEPS6_SG_NS0_5tupleIJSF_S6_EEENSH_IJSG_SG_EEES6_PlJNSB_9not_fun_tINSB_10functional5actorINSM_9compositeIJNSM_27transparent_binary_operatorINSA_8equal_toIvEEEENSN_INSM_8argumentILj0EEEEENSM_5valueIjEEEEEEEEEEEE10hipError_tPvRmT3_T4_T5_T6_T7_T9_mT8_P12ihipStream_tbDpT10_ENKUlT_T0_E_clISt17integral_constantIbLb0EES1J_IbLb1EEEEDaS1F_S1G_EUlS1F_E_NS1_11comp_targetILNS1_3genE9ELNS1_11target_archE1100ELNS1_3gpuE3ELNS1_3repE0EEENS1_30default_config_static_selectorELNS0_4arch9wavefront6targetE0EEEvT1_: ; @_ZN7rocprim17ROCPRIM_400000_NS6detail17trampoline_kernelINS0_14default_configENS1_25partition_config_selectorILNS1_17partition_subalgoE6EjNS0_10empty_typeEbEEZZNS1_14partition_implILS5_6ELb0ES3_mN6thrust23THRUST_200600_302600_NS6detail15normal_iteratorINSA_10device_ptrIjEEEEPS6_SG_NS0_5tupleIJSF_S6_EEENSH_IJSG_SG_EEES6_PlJNSB_9not_fun_tINSB_10functional5actorINSM_9compositeIJNSM_27transparent_binary_operatorINSA_8equal_toIvEEEENSN_INSM_8argumentILj0EEEEENSM_5valueIjEEEEEEEEEEEE10hipError_tPvRmT3_T4_T5_T6_T7_T9_mT8_P12ihipStream_tbDpT10_ENKUlT_T0_E_clISt17integral_constantIbLb0EES1J_IbLb1EEEEDaS1F_S1G_EUlS1F_E_NS1_11comp_targetILNS1_3genE9ELNS1_11target_archE1100ELNS1_3gpuE3ELNS1_3repE0EEENS1_30default_config_static_selectorELNS0_4arch9wavefront6targetE0EEEvT1_
; %bb.0:
	.section	.rodata,"a",@progbits
	.p2align	6, 0x0
	.amdhsa_kernel _ZN7rocprim17ROCPRIM_400000_NS6detail17trampoline_kernelINS0_14default_configENS1_25partition_config_selectorILNS1_17partition_subalgoE6EjNS0_10empty_typeEbEEZZNS1_14partition_implILS5_6ELb0ES3_mN6thrust23THRUST_200600_302600_NS6detail15normal_iteratorINSA_10device_ptrIjEEEEPS6_SG_NS0_5tupleIJSF_S6_EEENSH_IJSG_SG_EEES6_PlJNSB_9not_fun_tINSB_10functional5actorINSM_9compositeIJNSM_27transparent_binary_operatorINSA_8equal_toIvEEEENSN_INSM_8argumentILj0EEEEENSM_5valueIjEEEEEEEEEEEE10hipError_tPvRmT3_T4_T5_T6_T7_T9_mT8_P12ihipStream_tbDpT10_ENKUlT_T0_E_clISt17integral_constantIbLb0EES1J_IbLb1EEEEDaS1F_S1G_EUlS1F_E_NS1_11comp_targetILNS1_3genE9ELNS1_11target_archE1100ELNS1_3gpuE3ELNS1_3repE0EEENS1_30default_config_static_selectorELNS0_4arch9wavefront6targetE0EEEvT1_
		.amdhsa_group_segment_fixed_size 0
		.amdhsa_private_segment_fixed_size 0
		.amdhsa_kernarg_size 128
		.amdhsa_user_sgpr_count 2
		.amdhsa_user_sgpr_dispatch_ptr 0
		.amdhsa_user_sgpr_queue_ptr 0
		.amdhsa_user_sgpr_kernarg_segment_ptr 1
		.amdhsa_user_sgpr_dispatch_id 0
		.amdhsa_user_sgpr_private_segment_size 0
		.amdhsa_wavefront_size32 1
		.amdhsa_uses_dynamic_stack 0
		.amdhsa_enable_private_segment 0
		.amdhsa_system_sgpr_workgroup_id_x 1
		.amdhsa_system_sgpr_workgroup_id_y 0
		.amdhsa_system_sgpr_workgroup_id_z 0
		.amdhsa_system_sgpr_workgroup_info 0
		.amdhsa_system_vgpr_workitem_id 0
		.amdhsa_next_free_vgpr 1
		.amdhsa_next_free_sgpr 1
		.amdhsa_reserve_vcc 0
		.amdhsa_float_round_mode_32 0
		.amdhsa_float_round_mode_16_64 0
		.amdhsa_float_denorm_mode_32 3
		.amdhsa_float_denorm_mode_16_64 3
		.amdhsa_fp16_overflow 0
		.amdhsa_workgroup_processor_mode 1
		.amdhsa_memory_ordered 1
		.amdhsa_forward_progress 1
		.amdhsa_inst_pref_size 0
		.amdhsa_round_robin_scheduling 0
		.amdhsa_exception_fp_ieee_invalid_op 0
		.amdhsa_exception_fp_denorm_src 0
		.amdhsa_exception_fp_ieee_div_zero 0
		.amdhsa_exception_fp_ieee_overflow 0
		.amdhsa_exception_fp_ieee_underflow 0
		.amdhsa_exception_fp_ieee_inexact 0
		.amdhsa_exception_int_div_zero 0
	.end_amdhsa_kernel
	.section	.text._ZN7rocprim17ROCPRIM_400000_NS6detail17trampoline_kernelINS0_14default_configENS1_25partition_config_selectorILNS1_17partition_subalgoE6EjNS0_10empty_typeEbEEZZNS1_14partition_implILS5_6ELb0ES3_mN6thrust23THRUST_200600_302600_NS6detail15normal_iteratorINSA_10device_ptrIjEEEEPS6_SG_NS0_5tupleIJSF_S6_EEENSH_IJSG_SG_EEES6_PlJNSB_9not_fun_tINSB_10functional5actorINSM_9compositeIJNSM_27transparent_binary_operatorINSA_8equal_toIvEEEENSN_INSM_8argumentILj0EEEEENSM_5valueIjEEEEEEEEEEEE10hipError_tPvRmT3_T4_T5_T6_T7_T9_mT8_P12ihipStream_tbDpT10_ENKUlT_T0_E_clISt17integral_constantIbLb0EES1J_IbLb1EEEEDaS1F_S1G_EUlS1F_E_NS1_11comp_targetILNS1_3genE9ELNS1_11target_archE1100ELNS1_3gpuE3ELNS1_3repE0EEENS1_30default_config_static_selectorELNS0_4arch9wavefront6targetE0EEEvT1_,"axG",@progbits,_ZN7rocprim17ROCPRIM_400000_NS6detail17trampoline_kernelINS0_14default_configENS1_25partition_config_selectorILNS1_17partition_subalgoE6EjNS0_10empty_typeEbEEZZNS1_14partition_implILS5_6ELb0ES3_mN6thrust23THRUST_200600_302600_NS6detail15normal_iteratorINSA_10device_ptrIjEEEEPS6_SG_NS0_5tupleIJSF_S6_EEENSH_IJSG_SG_EEES6_PlJNSB_9not_fun_tINSB_10functional5actorINSM_9compositeIJNSM_27transparent_binary_operatorINSA_8equal_toIvEEEENSN_INSM_8argumentILj0EEEEENSM_5valueIjEEEEEEEEEEEE10hipError_tPvRmT3_T4_T5_T6_T7_T9_mT8_P12ihipStream_tbDpT10_ENKUlT_T0_E_clISt17integral_constantIbLb0EES1J_IbLb1EEEEDaS1F_S1G_EUlS1F_E_NS1_11comp_targetILNS1_3genE9ELNS1_11target_archE1100ELNS1_3gpuE3ELNS1_3repE0EEENS1_30default_config_static_selectorELNS0_4arch9wavefront6targetE0EEEvT1_,comdat
.Lfunc_end143:
	.size	_ZN7rocprim17ROCPRIM_400000_NS6detail17trampoline_kernelINS0_14default_configENS1_25partition_config_selectorILNS1_17partition_subalgoE6EjNS0_10empty_typeEbEEZZNS1_14partition_implILS5_6ELb0ES3_mN6thrust23THRUST_200600_302600_NS6detail15normal_iteratorINSA_10device_ptrIjEEEEPS6_SG_NS0_5tupleIJSF_S6_EEENSH_IJSG_SG_EEES6_PlJNSB_9not_fun_tINSB_10functional5actorINSM_9compositeIJNSM_27transparent_binary_operatorINSA_8equal_toIvEEEENSN_INSM_8argumentILj0EEEEENSM_5valueIjEEEEEEEEEEEE10hipError_tPvRmT3_T4_T5_T6_T7_T9_mT8_P12ihipStream_tbDpT10_ENKUlT_T0_E_clISt17integral_constantIbLb0EES1J_IbLb1EEEEDaS1F_S1G_EUlS1F_E_NS1_11comp_targetILNS1_3genE9ELNS1_11target_archE1100ELNS1_3gpuE3ELNS1_3repE0EEENS1_30default_config_static_selectorELNS0_4arch9wavefront6targetE0EEEvT1_, .Lfunc_end143-_ZN7rocprim17ROCPRIM_400000_NS6detail17trampoline_kernelINS0_14default_configENS1_25partition_config_selectorILNS1_17partition_subalgoE6EjNS0_10empty_typeEbEEZZNS1_14partition_implILS5_6ELb0ES3_mN6thrust23THRUST_200600_302600_NS6detail15normal_iteratorINSA_10device_ptrIjEEEEPS6_SG_NS0_5tupleIJSF_S6_EEENSH_IJSG_SG_EEES6_PlJNSB_9not_fun_tINSB_10functional5actorINSM_9compositeIJNSM_27transparent_binary_operatorINSA_8equal_toIvEEEENSN_INSM_8argumentILj0EEEEENSM_5valueIjEEEEEEEEEEEE10hipError_tPvRmT3_T4_T5_T6_T7_T9_mT8_P12ihipStream_tbDpT10_ENKUlT_T0_E_clISt17integral_constantIbLb0EES1J_IbLb1EEEEDaS1F_S1G_EUlS1F_E_NS1_11comp_targetILNS1_3genE9ELNS1_11target_archE1100ELNS1_3gpuE3ELNS1_3repE0EEENS1_30default_config_static_selectorELNS0_4arch9wavefront6targetE0EEEvT1_
                                        ; -- End function
	.set _ZN7rocprim17ROCPRIM_400000_NS6detail17trampoline_kernelINS0_14default_configENS1_25partition_config_selectorILNS1_17partition_subalgoE6EjNS0_10empty_typeEbEEZZNS1_14partition_implILS5_6ELb0ES3_mN6thrust23THRUST_200600_302600_NS6detail15normal_iteratorINSA_10device_ptrIjEEEEPS6_SG_NS0_5tupleIJSF_S6_EEENSH_IJSG_SG_EEES6_PlJNSB_9not_fun_tINSB_10functional5actorINSM_9compositeIJNSM_27transparent_binary_operatorINSA_8equal_toIvEEEENSN_INSM_8argumentILj0EEEEENSM_5valueIjEEEEEEEEEEEE10hipError_tPvRmT3_T4_T5_T6_T7_T9_mT8_P12ihipStream_tbDpT10_ENKUlT_T0_E_clISt17integral_constantIbLb0EES1J_IbLb1EEEEDaS1F_S1G_EUlS1F_E_NS1_11comp_targetILNS1_3genE9ELNS1_11target_archE1100ELNS1_3gpuE3ELNS1_3repE0EEENS1_30default_config_static_selectorELNS0_4arch9wavefront6targetE0EEEvT1_.num_vgpr, 0
	.set _ZN7rocprim17ROCPRIM_400000_NS6detail17trampoline_kernelINS0_14default_configENS1_25partition_config_selectorILNS1_17partition_subalgoE6EjNS0_10empty_typeEbEEZZNS1_14partition_implILS5_6ELb0ES3_mN6thrust23THRUST_200600_302600_NS6detail15normal_iteratorINSA_10device_ptrIjEEEEPS6_SG_NS0_5tupleIJSF_S6_EEENSH_IJSG_SG_EEES6_PlJNSB_9not_fun_tINSB_10functional5actorINSM_9compositeIJNSM_27transparent_binary_operatorINSA_8equal_toIvEEEENSN_INSM_8argumentILj0EEEEENSM_5valueIjEEEEEEEEEEEE10hipError_tPvRmT3_T4_T5_T6_T7_T9_mT8_P12ihipStream_tbDpT10_ENKUlT_T0_E_clISt17integral_constantIbLb0EES1J_IbLb1EEEEDaS1F_S1G_EUlS1F_E_NS1_11comp_targetILNS1_3genE9ELNS1_11target_archE1100ELNS1_3gpuE3ELNS1_3repE0EEENS1_30default_config_static_selectorELNS0_4arch9wavefront6targetE0EEEvT1_.num_agpr, 0
	.set _ZN7rocprim17ROCPRIM_400000_NS6detail17trampoline_kernelINS0_14default_configENS1_25partition_config_selectorILNS1_17partition_subalgoE6EjNS0_10empty_typeEbEEZZNS1_14partition_implILS5_6ELb0ES3_mN6thrust23THRUST_200600_302600_NS6detail15normal_iteratorINSA_10device_ptrIjEEEEPS6_SG_NS0_5tupleIJSF_S6_EEENSH_IJSG_SG_EEES6_PlJNSB_9not_fun_tINSB_10functional5actorINSM_9compositeIJNSM_27transparent_binary_operatorINSA_8equal_toIvEEEENSN_INSM_8argumentILj0EEEEENSM_5valueIjEEEEEEEEEEEE10hipError_tPvRmT3_T4_T5_T6_T7_T9_mT8_P12ihipStream_tbDpT10_ENKUlT_T0_E_clISt17integral_constantIbLb0EES1J_IbLb1EEEEDaS1F_S1G_EUlS1F_E_NS1_11comp_targetILNS1_3genE9ELNS1_11target_archE1100ELNS1_3gpuE3ELNS1_3repE0EEENS1_30default_config_static_selectorELNS0_4arch9wavefront6targetE0EEEvT1_.numbered_sgpr, 0
	.set _ZN7rocprim17ROCPRIM_400000_NS6detail17trampoline_kernelINS0_14default_configENS1_25partition_config_selectorILNS1_17partition_subalgoE6EjNS0_10empty_typeEbEEZZNS1_14partition_implILS5_6ELb0ES3_mN6thrust23THRUST_200600_302600_NS6detail15normal_iteratorINSA_10device_ptrIjEEEEPS6_SG_NS0_5tupleIJSF_S6_EEENSH_IJSG_SG_EEES6_PlJNSB_9not_fun_tINSB_10functional5actorINSM_9compositeIJNSM_27transparent_binary_operatorINSA_8equal_toIvEEEENSN_INSM_8argumentILj0EEEEENSM_5valueIjEEEEEEEEEEEE10hipError_tPvRmT3_T4_T5_T6_T7_T9_mT8_P12ihipStream_tbDpT10_ENKUlT_T0_E_clISt17integral_constantIbLb0EES1J_IbLb1EEEEDaS1F_S1G_EUlS1F_E_NS1_11comp_targetILNS1_3genE9ELNS1_11target_archE1100ELNS1_3gpuE3ELNS1_3repE0EEENS1_30default_config_static_selectorELNS0_4arch9wavefront6targetE0EEEvT1_.num_named_barrier, 0
	.set _ZN7rocprim17ROCPRIM_400000_NS6detail17trampoline_kernelINS0_14default_configENS1_25partition_config_selectorILNS1_17partition_subalgoE6EjNS0_10empty_typeEbEEZZNS1_14partition_implILS5_6ELb0ES3_mN6thrust23THRUST_200600_302600_NS6detail15normal_iteratorINSA_10device_ptrIjEEEEPS6_SG_NS0_5tupleIJSF_S6_EEENSH_IJSG_SG_EEES6_PlJNSB_9not_fun_tINSB_10functional5actorINSM_9compositeIJNSM_27transparent_binary_operatorINSA_8equal_toIvEEEENSN_INSM_8argumentILj0EEEEENSM_5valueIjEEEEEEEEEEEE10hipError_tPvRmT3_T4_T5_T6_T7_T9_mT8_P12ihipStream_tbDpT10_ENKUlT_T0_E_clISt17integral_constantIbLb0EES1J_IbLb1EEEEDaS1F_S1G_EUlS1F_E_NS1_11comp_targetILNS1_3genE9ELNS1_11target_archE1100ELNS1_3gpuE3ELNS1_3repE0EEENS1_30default_config_static_selectorELNS0_4arch9wavefront6targetE0EEEvT1_.private_seg_size, 0
	.set _ZN7rocprim17ROCPRIM_400000_NS6detail17trampoline_kernelINS0_14default_configENS1_25partition_config_selectorILNS1_17partition_subalgoE6EjNS0_10empty_typeEbEEZZNS1_14partition_implILS5_6ELb0ES3_mN6thrust23THRUST_200600_302600_NS6detail15normal_iteratorINSA_10device_ptrIjEEEEPS6_SG_NS0_5tupleIJSF_S6_EEENSH_IJSG_SG_EEES6_PlJNSB_9not_fun_tINSB_10functional5actorINSM_9compositeIJNSM_27transparent_binary_operatorINSA_8equal_toIvEEEENSN_INSM_8argumentILj0EEEEENSM_5valueIjEEEEEEEEEEEE10hipError_tPvRmT3_T4_T5_T6_T7_T9_mT8_P12ihipStream_tbDpT10_ENKUlT_T0_E_clISt17integral_constantIbLb0EES1J_IbLb1EEEEDaS1F_S1G_EUlS1F_E_NS1_11comp_targetILNS1_3genE9ELNS1_11target_archE1100ELNS1_3gpuE3ELNS1_3repE0EEENS1_30default_config_static_selectorELNS0_4arch9wavefront6targetE0EEEvT1_.uses_vcc, 0
	.set _ZN7rocprim17ROCPRIM_400000_NS6detail17trampoline_kernelINS0_14default_configENS1_25partition_config_selectorILNS1_17partition_subalgoE6EjNS0_10empty_typeEbEEZZNS1_14partition_implILS5_6ELb0ES3_mN6thrust23THRUST_200600_302600_NS6detail15normal_iteratorINSA_10device_ptrIjEEEEPS6_SG_NS0_5tupleIJSF_S6_EEENSH_IJSG_SG_EEES6_PlJNSB_9not_fun_tINSB_10functional5actorINSM_9compositeIJNSM_27transparent_binary_operatorINSA_8equal_toIvEEEENSN_INSM_8argumentILj0EEEEENSM_5valueIjEEEEEEEEEEEE10hipError_tPvRmT3_T4_T5_T6_T7_T9_mT8_P12ihipStream_tbDpT10_ENKUlT_T0_E_clISt17integral_constantIbLb0EES1J_IbLb1EEEEDaS1F_S1G_EUlS1F_E_NS1_11comp_targetILNS1_3genE9ELNS1_11target_archE1100ELNS1_3gpuE3ELNS1_3repE0EEENS1_30default_config_static_selectorELNS0_4arch9wavefront6targetE0EEEvT1_.uses_flat_scratch, 0
	.set _ZN7rocprim17ROCPRIM_400000_NS6detail17trampoline_kernelINS0_14default_configENS1_25partition_config_selectorILNS1_17partition_subalgoE6EjNS0_10empty_typeEbEEZZNS1_14partition_implILS5_6ELb0ES3_mN6thrust23THRUST_200600_302600_NS6detail15normal_iteratorINSA_10device_ptrIjEEEEPS6_SG_NS0_5tupleIJSF_S6_EEENSH_IJSG_SG_EEES6_PlJNSB_9not_fun_tINSB_10functional5actorINSM_9compositeIJNSM_27transparent_binary_operatorINSA_8equal_toIvEEEENSN_INSM_8argumentILj0EEEEENSM_5valueIjEEEEEEEEEEEE10hipError_tPvRmT3_T4_T5_T6_T7_T9_mT8_P12ihipStream_tbDpT10_ENKUlT_T0_E_clISt17integral_constantIbLb0EES1J_IbLb1EEEEDaS1F_S1G_EUlS1F_E_NS1_11comp_targetILNS1_3genE9ELNS1_11target_archE1100ELNS1_3gpuE3ELNS1_3repE0EEENS1_30default_config_static_selectorELNS0_4arch9wavefront6targetE0EEEvT1_.has_dyn_sized_stack, 0
	.set _ZN7rocprim17ROCPRIM_400000_NS6detail17trampoline_kernelINS0_14default_configENS1_25partition_config_selectorILNS1_17partition_subalgoE6EjNS0_10empty_typeEbEEZZNS1_14partition_implILS5_6ELb0ES3_mN6thrust23THRUST_200600_302600_NS6detail15normal_iteratorINSA_10device_ptrIjEEEEPS6_SG_NS0_5tupleIJSF_S6_EEENSH_IJSG_SG_EEES6_PlJNSB_9not_fun_tINSB_10functional5actorINSM_9compositeIJNSM_27transparent_binary_operatorINSA_8equal_toIvEEEENSN_INSM_8argumentILj0EEEEENSM_5valueIjEEEEEEEEEEEE10hipError_tPvRmT3_T4_T5_T6_T7_T9_mT8_P12ihipStream_tbDpT10_ENKUlT_T0_E_clISt17integral_constantIbLb0EES1J_IbLb1EEEEDaS1F_S1G_EUlS1F_E_NS1_11comp_targetILNS1_3genE9ELNS1_11target_archE1100ELNS1_3gpuE3ELNS1_3repE0EEENS1_30default_config_static_selectorELNS0_4arch9wavefront6targetE0EEEvT1_.has_recursion, 0
	.set _ZN7rocprim17ROCPRIM_400000_NS6detail17trampoline_kernelINS0_14default_configENS1_25partition_config_selectorILNS1_17partition_subalgoE6EjNS0_10empty_typeEbEEZZNS1_14partition_implILS5_6ELb0ES3_mN6thrust23THRUST_200600_302600_NS6detail15normal_iteratorINSA_10device_ptrIjEEEEPS6_SG_NS0_5tupleIJSF_S6_EEENSH_IJSG_SG_EEES6_PlJNSB_9not_fun_tINSB_10functional5actorINSM_9compositeIJNSM_27transparent_binary_operatorINSA_8equal_toIvEEEENSN_INSM_8argumentILj0EEEEENSM_5valueIjEEEEEEEEEEEE10hipError_tPvRmT3_T4_T5_T6_T7_T9_mT8_P12ihipStream_tbDpT10_ENKUlT_T0_E_clISt17integral_constantIbLb0EES1J_IbLb1EEEEDaS1F_S1G_EUlS1F_E_NS1_11comp_targetILNS1_3genE9ELNS1_11target_archE1100ELNS1_3gpuE3ELNS1_3repE0EEENS1_30default_config_static_selectorELNS0_4arch9wavefront6targetE0EEEvT1_.has_indirect_call, 0
	.section	.AMDGPU.csdata,"",@progbits
; Kernel info:
; codeLenInByte = 0
; TotalNumSgprs: 0
; NumVgprs: 0
; ScratchSize: 0
; MemoryBound: 0
; FloatMode: 240
; IeeeMode: 1
; LDSByteSize: 0 bytes/workgroup (compile time only)
; SGPRBlocks: 0
; VGPRBlocks: 0
; NumSGPRsForWavesPerEU: 1
; NumVGPRsForWavesPerEU: 1
; Occupancy: 16
; WaveLimiterHint : 0
; COMPUTE_PGM_RSRC2:SCRATCH_EN: 0
; COMPUTE_PGM_RSRC2:USER_SGPR: 2
; COMPUTE_PGM_RSRC2:TRAP_HANDLER: 0
; COMPUTE_PGM_RSRC2:TGID_X_EN: 1
; COMPUTE_PGM_RSRC2:TGID_Y_EN: 0
; COMPUTE_PGM_RSRC2:TGID_Z_EN: 0
; COMPUTE_PGM_RSRC2:TIDIG_COMP_CNT: 0
	.section	.text._ZN7rocprim17ROCPRIM_400000_NS6detail17trampoline_kernelINS0_14default_configENS1_25partition_config_selectorILNS1_17partition_subalgoE6EjNS0_10empty_typeEbEEZZNS1_14partition_implILS5_6ELb0ES3_mN6thrust23THRUST_200600_302600_NS6detail15normal_iteratorINSA_10device_ptrIjEEEEPS6_SG_NS0_5tupleIJSF_S6_EEENSH_IJSG_SG_EEES6_PlJNSB_9not_fun_tINSB_10functional5actorINSM_9compositeIJNSM_27transparent_binary_operatorINSA_8equal_toIvEEEENSN_INSM_8argumentILj0EEEEENSM_5valueIjEEEEEEEEEEEE10hipError_tPvRmT3_T4_T5_T6_T7_T9_mT8_P12ihipStream_tbDpT10_ENKUlT_T0_E_clISt17integral_constantIbLb0EES1J_IbLb1EEEEDaS1F_S1G_EUlS1F_E_NS1_11comp_targetILNS1_3genE8ELNS1_11target_archE1030ELNS1_3gpuE2ELNS1_3repE0EEENS1_30default_config_static_selectorELNS0_4arch9wavefront6targetE0EEEvT1_,"axG",@progbits,_ZN7rocprim17ROCPRIM_400000_NS6detail17trampoline_kernelINS0_14default_configENS1_25partition_config_selectorILNS1_17partition_subalgoE6EjNS0_10empty_typeEbEEZZNS1_14partition_implILS5_6ELb0ES3_mN6thrust23THRUST_200600_302600_NS6detail15normal_iteratorINSA_10device_ptrIjEEEEPS6_SG_NS0_5tupleIJSF_S6_EEENSH_IJSG_SG_EEES6_PlJNSB_9not_fun_tINSB_10functional5actorINSM_9compositeIJNSM_27transparent_binary_operatorINSA_8equal_toIvEEEENSN_INSM_8argumentILj0EEEEENSM_5valueIjEEEEEEEEEEEE10hipError_tPvRmT3_T4_T5_T6_T7_T9_mT8_P12ihipStream_tbDpT10_ENKUlT_T0_E_clISt17integral_constantIbLb0EES1J_IbLb1EEEEDaS1F_S1G_EUlS1F_E_NS1_11comp_targetILNS1_3genE8ELNS1_11target_archE1030ELNS1_3gpuE2ELNS1_3repE0EEENS1_30default_config_static_selectorELNS0_4arch9wavefront6targetE0EEEvT1_,comdat
	.protected	_ZN7rocprim17ROCPRIM_400000_NS6detail17trampoline_kernelINS0_14default_configENS1_25partition_config_selectorILNS1_17partition_subalgoE6EjNS0_10empty_typeEbEEZZNS1_14partition_implILS5_6ELb0ES3_mN6thrust23THRUST_200600_302600_NS6detail15normal_iteratorINSA_10device_ptrIjEEEEPS6_SG_NS0_5tupleIJSF_S6_EEENSH_IJSG_SG_EEES6_PlJNSB_9not_fun_tINSB_10functional5actorINSM_9compositeIJNSM_27transparent_binary_operatorINSA_8equal_toIvEEEENSN_INSM_8argumentILj0EEEEENSM_5valueIjEEEEEEEEEEEE10hipError_tPvRmT3_T4_T5_T6_T7_T9_mT8_P12ihipStream_tbDpT10_ENKUlT_T0_E_clISt17integral_constantIbLb0EES1J_IbLb1EEEEDaS1F_S1G_EUlS1F_E_NS1_11comp_targetILNS1_3genE8ELNS1_11target_archE1030ELNS1_3gpuE2ELNS1_3repE0EEENS1_30default_config_static_selectorELNS0_4arch9wavefront6targetE0EEEvT1_ ; -- Begin function _ZN7rocprim17ROCPRIM_400000_NS6detail17trampoline_kernelINS0_14default_configENS1_25partition_config_selectorILNS1_17partition_subalgoE6EjNS0_10empty_typeEbEEZZNS1_14partition_implILS5_6ELb0ES3_mN6thrust23THRUST_200600_302600_NS6detail15normal_iteratorINSA_10device_ptrIjEEEEPS6_SG_NS0_5tupleIJSF_S6_EEENSH_IJSG_SG_EEES6_PlJNSB_9not_fun_tINSB_10functional5actorINSM_9compositeIJNSM_27transparent_binary_operatorINSA_8equal_toIvEEEENSN_INSM_8argumentILj0EEEEENSM_5valueIjEEEEEEEEEEEE10hipError_tPvRmT3_T4_T5_T6_T7_T9_mT8_P12ihipStream_tbDpT10_ENKUlT_T0_E_clISt17integral_constantIbLb0EES1J_IbLb1EEEEDaS1F_S1G_EUlS1F_E_NS1_11comp_targetILNS1_3genE8ELNS1_11target_archE1030ELNS1_3gpuE2ELNS1_3repE0EEENS1_30default_config_static_selectorELNS0_4arch9wavefront6targetE0EEEvT1_
	.globl	_ZN7rocprim17ROCPRIM_400000_NS6detail17trampoline_kernelINS0_14default_configENS1_25partition_config_selectorILNS1_17partition_subalgoE6EjNS0_10empty_typeEbEEZZNS1_14partition_implILS5_6ELb0ES3_mN6thrust23THRUST_200600_302600_NS6detail15normal_iteratorINSA_10device_ptrIjEEEEPS6_SG_NS0_5tupleIJSF_S6_EEENSH_IJSG_SG_EEES6_PlJNSB_9not_fun_tINSB_10functional5actorINSM_9compositeIJNSM_27transparent_binary_operatorINSA_8equal_toIvEEEENSN_INSM_8argumentILj0EEEEENSM_5valueIjEEEEEEEEEEEE10hipError_tPvRmT3_T4_T5_T6_T7_T9_mT8_P12ihipStream_tbDpT10_ENKUlT_T0_E_clISt17integral_constantIbLb0EES1J_IbLb1EEEEDaS1F_S1G_EUlS1F_E_NS1_11comp_targetILNS1_3genE8ELNS1_11target_archE1030ELNS1_3gpuE2ELNS1_3repE0EEENS1_30default_config_static_selectorELNS0_4arch9wavefront6targetE0EEEvT1_
	.p2align	8
	.type	_ZN7rocprim17ROCPRIM_400000_NS6detail17trampoline_kernelINS0_14default_configENS1_25partition_config_selectorILNS1_17partition_subalgoE6EjNS0_10empty_typeEbEEZZNS1_14partition_implILS5_6ELb0ES3_mN6thrust23THRUST_200600_302600_NS6detail15normal_iteratorINSA_10device_ptrIjEEEEPS6_SG_NS0_5tupleIJSF_S6_EEENSH_IJSG_SG_EEES6_PlJNSB_9not_fun_tINSB_10functional5actorINSM_9compositeIJNSM_27transparent_binary_operatorINSA_8equal_toIvEEEENSN_INSM_8argumentILj0EEEEENSM_5valueIjEEEEEEEEEEEE10hipError_tPvRmT3_T4_T5_T6_T7_T9_mT8_P12ihipStream_tbDpT10_ENKUlT_T0_E_clISt17integral_constantIbLb0EES1J_IbLb1EEEEDaS1F_S1G_EUlS1F_E_NS1_11comp_targetILNS1_3genE8ELNS1_11target_archE1030ELNS1_3gpuE2ELNS1_3repE0EEENS1_30default_config_static_selectorELNS0_4arch9wavefront6targetE0EEEvT1_,@function
_ZN7rocprim17ROCPRIM_400000_NS6detail17trampoline_kernelINS0_14default_configENS1_25partition_config_selectorILNS1_17partition_subalgoE6EjNS0_10empty_typeEbEEZZNS1_14partition_implILS5_6ELb0ES3_mN6thrust23THRUST_200600_302600_NS6detail15normal_iteratorINSA_10device_ptrIjEEEEPS6_SG_NS0_5tupleIJSF_S6_EEENSH_IJSG_SG_EEES6_PlJNSB_9not_fun_tINSB_10functional5actorINSM_9compositeIJNSM_27transparent_binary_operatorINSA_8equal_toIvEEEENSN_INSM_8argumentILj0EEEEENSM_5valueIjEEEEEEEEEEEE10hipError_tPvRmT3_T4_T5_T6_T7_T9_mT8_P12ihipStream_tbDpT10_ENKUlT_T0_E_clISt17integral_constantIbLb0EES1J_IbLb1EEEEDaS1F_S1G_EUlS1F_E_NS1_11comp_targetILNS1_3genE8ELNS1_11target_archE1030ELNS1_3gpuE2ELNS1_3repE0EEENS1_30default_config_static_selectorELNS0_4arch9wavefront6targetE0EEEvT1_: ; @_ZN7rocprim17ROCPRIM_400000_NS6detail17trampoline_kernelINS0_14default_configENS1_25partition_config_selectorILNS1_17partition_subalgoE6EjNS0_10empty_typeEbEEZZNS1_14partition_implILS5_6ELb0ES3_mN6thrust23THRUST_200600_302600_NS6detail15normal_iteratorINSA_10device_ptrIjEEEEPS6_SG_NS0_5tupleIJSF_S6_EEENSH_IJSG_SG_EEES6_PlJNSB_9not_fun_tINSB_10functional5actorINSM_9compositeIJNSM_27transparent_binary_operatorINSA_8equal_toIvEEEENSN_INSM_8argumentILj0EEEEENSM_5valueIjEEEEEEEEEEEE10hipError_tPvRmT3_T4_T5_T6_T7_T9_mT8_P12ihipStream_tbDpT10_ENKUlT_T0_E_clISt17integral_constantIbLb0EES1J_IbLb1EEEEDaS1F_S1G_EUlS1F_E_NS1_11comp_targetILNS1_3genE8ELNS1_11target_archE1030ELNS1_3gpuE2ELNS1_3repE0EEENS1_30default_config_static_selectorELNS0_4arch9wavefront6targetE0EEEvT1_
; %bb.0:
	.section	.rodata,"a",@progbits
	.p2align	6, 0x0
	.amdhsa_kernel _ZN7rocprim17ROCPRIM_400000_NS6detail17trampoline_kernelINS0_14default_configENS1_25partition_config_selectorILNS1_17partition_subalgoE6EjNS0_10empty_typeEbEEZZNS1_14partition_implILS5_6ELb0ES3_mN6thrust23THRUST_200600_302600_NS6detail15normal_iteratorINSA_10device_ptrIjEEEEPS6_SG_NS0_5tupleIJSF_S6_EEENSH_IJSG_SG_EEES6_PlJNSB_9not_fun_tINSB_10functional5actorINSM_9compositeIJNSM_27transparent_binary_operatorINSA_8equal_toIvEEEENSN_INSM_8argumentILj0EEEEENSM_5valueIjEEEEEEEEEEEE10hipError_tPvRmT3_T4_T5_T6_T7_T9_mT8_P12ihipStream_tbDpT10_ENKUlT_T0_E_clISt17integral_constantIbLb0EES1J_IbLb1EEEEDaS1F_S1G_EUlS1F_E_NS1_11comp_targetILNS1_3genE8ELNS1_11target_archE1030ELNS1_3gpuE2ELNS1_3repE0EEENS1_30default_config_static_selectorELNS0_4arch9wavefront6targetE0EEEvT1_
		.amdhsa_group_segment_fixed_size 0
		.amdhsa_private_segment_fixed_size 0
		.amdhsa_kernarg_size 128
		.amdhsa_user_sgpr_count 2
		.amdhsa_user_sgpr_dispatch_ptr 0
		.amdhsa_user_sgpr_queue_ptr 0
		.amdhsa_user_sgpr_kernarg_segment_ptr 1
		.amdhsa_user_sgpr_dispatch_id 0
		.amdhsa_user_sgpr_private_segment_size 0
		.amdhsa_wavefront_size32 1
		.amdhsa_uses_dynamic_stack 0
		.amdhsa_enable_private_segment 0
		.amdhsa_system_sgpr_workgroup_id_x 1
		.amdhsa_system_sgpr_workgroup_id_y 0
		.amdhsa_system_sgpr_workgroup_id_z 0
		.amdhsa_system_sgpr_workgroup_info 0
		.amdhsa_system_vgpr_workitem_id 0
		.amdhsa_next_free_vgpr 1
		.amdhsa_next_free_sgpr 1
		.amdhsa_reserve_vcc 0
		.amdhsa_float_round_mode_32 0
		.amdhsa_float_round_mode_16_64 0
		.amdhsa_float_denorm_mode_32 3
		.amdhsa_float_denorm_mode_16_64 3
		.amdhsa_fp16_overflow 0
		.amdhsa_workgroup_processor_mode 1
		.amdhsa_memory_ordered 1
		.amdhsa_forward_progress 1
		.amdhsa_inst_pref_size 0
		.amdhsa_round_robin_scheduling 0
		.amdhsa_exception_fp_ieee_invalid_op 0
		.amdhsa_exception_fp_denorm_src 0
		.amdhsa_exception_fp_ieee_div_zero 0
		.amdhsa_exception_fp_ieee_overflow 0
		.amdhsa_exception_fp_ieee_underflow 0
		.amdhsa_exception_fp_ieee_inexact 0
		.amdhsa_exception_int_div_zero 0
	.end_amdhsa_kernel
	.section	.text._ZN7rocprim17ROCPRIM_400000_NS6detail17trampoline_kernelINS0_14default_configENS1_25partition_config_selectorILNS1_17partition_subalgoE6EjNS0_10empty_typeEbEEZZNS1_14partition_implILS5_6ELb0ES3_mN6thrust23THRUST_200600_302600_NS6detail15normal_iteratorINSA_10device_ptrIjEEEEPS6_SG_NS0_5tupleIJSF_S6_EEENSH_IJSG_SG_EEES6_PlJNSB_9not_fun_tINSB_10functional5actorINSM_9compositeIJNSM_27transparent_binary_operatorINSA_8equal_toIvEEEENSN_INSM_8argumentILj0EEEEENSM_5valueIjEEEEEEEEEEEE10hipError_tPvRmT3_T4_T5_T6_T7_T9_mT8_P12ihipStream_tbDpT10_ENKUlT_T0_E_clISt17integral_constantIbLb0EES1J_IbLb1EEEEDaS1F_S1G_EUlS1F_E_NS1_11comp_targetILNS1_3genE8ELNS1_11target_archE1030ELNS1_3gpuE2ELNS1_3repE0EEENS1_30default_config_static_selectorELNS0_4arch9wavefront6targetE0EEEvT1_,"axG",@progbits,_ZN7rocprim17ROCPRIM_400000_NS6detail17trampoline_kernelINS0_14default_configENS1_25partition_config_selectorILNS1_17partition_subalgoE6EjNS0_10empty_typeEbEEZZNS1_14partition_implILS5_6ELb0ES3_mN6thrust23THRUST_200600_302600_NS6detail15normal_iteratorINSA_10device_ptrIjEEEEPS6_SG_NS0_5tupleIJSF_S6_EEENSH_IJSG_SG_EEES6_PlJNSB_9not_fun_tINSB_10functional5actorINSM_9compositeIJNSM_27transparent_binary_operatorINSA_8equal_toIvEEEENSN_INSM_8argumentILj0EEEEENSM_5valueIjEEEEEEEEEEEE10hipError_tPvRmT3_T4_T5_T6_T7_T9_mT8_P12ihipStream_tbDpT10_ENKUlT_T0_E_clISt17integral_constantIbLb0EES1J_IbLb1EEEEDaS1F_S1G_EUlS1F_E_NS1_11comp_targetILNS1_3genE8ELNS1_11target_archE1030ELNS1_3gpuE2ELNS1_3repE0EEENS1_30default_config_static_selectorELNS0_4arch9wavefront6targetE0EEEvT1_,comdat
.Lfunc_end144:
	.size	_ZN7rocprim17ROCPRIM_400000_NS6detail17trampoline_kernelINS0_14default_configENS1_25partition_config_selectorILNS1_17partition_subalgoE6EjNS0_10empty_typeEbEEZZNS1_14partition_implILS5_6ELb0ES3_mN6thrust23THRUST_200600_302600_NS6detail15normal_iteratorINSA_10device_ptrIjEEEEPS6_SG_NS0_5tupleIJSF_S6_EEENSH_IJSG_SG_EEES6_PlJNSB_9not_fun_tINSB_10functional5actorINSM_9compositeIJNSM_27transparent_binary_operatorINSA_8equal_toIvEEEENSN_INSM_8argumentILj0EEEEENSM_5valueIjEEEEEEEEEEEE10hipError_tPvRmT3_T4_T5_T6_T7_T9_mT8_P12ihipStream_tbDpT10_ENKUlT_T0_E_clISt17integral_constantIbLb0EES1J_IbLb1EEEEDaS1F_S1G_EUlS1F_E_NS1_11comp_targetILNS1_3genE8ELNS1_11target_archE1030ELNS1_3gpuE2ELNS1_3repE0EEENS1_30default_config_static_selectorELNS0_4arch9wavefront6targetE0EEEvT1_, .Lfunc_end144-_ZN7rocprim17ROCPRIM_400000_NS6detail17trampoline_kernelINS0_14default_configENS1_25partition_config_selectorILNS1_17partition_subalgoE6EjNS0_10empty_typeEbEEZZNS1_14partition_implILS5_6ELb0ES3_mN6thrust23THRUST_200600_302600_NS6detail15normal_iteratorINSA_10device_ptrIjEEEEPS6_SG_NS0_5tupleIJSF_S6_EEENSH_IJSG_SG_EEES6_PlJNSB_9not_fun_tINSB_10functional5actorINSM_9compositeIJNSM_27transparent_binary_operatorINSA_8equal_toIvEEEENSN_INSM_8argumentILj0EEEEENSM_5valueIjEEEEEEEEEEEE10hipError_tPvRmT3_T4_T5_T6_T7_T9_mT8_P12ihipStream_tbDpT10_ENKUlT_T0_E_clISt17integral_constantIbLb0EES1J_IbLb1EEEEDaS1F_S1G_EUlS1F_E_NS1_11comp_targetILNS1_3genE8ELNS1_11target_archE1030ELNS1_3gpuE2ELNS1_3repE0EEENS1_30default_config_static_selectorELNS0_4arch9wavefront6targetE0EEEvT1_
                                        ; -- End function
	.set _ZN7rocprim17ROCPRIM_400000_NS6detail17trampoline_kernelINS0_14default_configENS1_25partition_config_selectorILNS1_17partition_subalgoE6EjNS0_10empty_typeEbEEZZNS1_14partition_implILS5_6ELb0ES3_mN6thrust23THRUST_200600_302600_NS6detail15normal_iteratorINSA_10device_ptrIjEEEEPS6_SG_NS0_5tupleIJSF_S6_EEENSH_IJSG_SG_EEES6_PlJNSB_9not_fun_tINSB_10functional5actorINSM_9compositeIJNSM_27transparent_binary_operatorINSA_8equal_toIvEEEENSN_INSM_8argumentILj0EEEEENSM_5valueIjEEEEEEEEEEEE10hipError_tPvRmT3_T4_T5_T6_T7_T9_mT8_P12ihipStream_tbDpT10_ENKUlT_T0_E_clISt17integral_constantIbLb0EES1J_IbLb1EEEEDaS1F_S1G_EUlS1F_E_NS1_11comp_targetILNS1_3genE8ELNS1_11target_archE1030ELNS1_3gpuE2ELNS1_3repE0EEENS1_30default_config_static_selectorELNS0_4arch9wavefront6targetE0EEEvT1_.num_vgpr, 0
	.set _ZN7rocprim17ROCPRIM_400000_NS6detail17trampoline_kernelINS0_14default_configENS1_25partition_config_selectorILNS1_17partition_subalgoE6EjNS0_10empty_typeEbEEZZNS1_14partition_implILS5_6ELb0ES3_mN6thrust23THRUST_200600_302600_NS6detail15normal_iteratorINSA_10device_ptrIjEEEEPS6_SG_NS0_5tupleIJSF_S6_EEENSH_IJSG_SG_EEES6_PlJNSB_9not_fun_tINSB_10functional5actorINSM_9compositeIJNSM_27transparent_binary_operatorINSA_8equal_toIvEEEENSN_INSM_8argumentILj0EEEEENSM_5valueIjEEEEEEEEEEEE10hipError_tPvRmT3_T4_T5_T6_T7_T9_mT8_P12ihipStream_tbDpT10_ENKUlT_T0_E_clISt17integral_constantIbLb0EES1J_IbLb1EEEEDaS1F_S1G_EUlS1F_E_NS1_11comp_targetILNS1_3genE8ELNS1_11target_archE1030ELNS1_3gpuE2ELNS1_3repE0EEENS1_30default_config_static_selectorELNS0_4arch9wavefront6targetE0EEEvT1_.num_agpr, 0
	.set _ZN7rocprim17ROCPRIM_400000_NS6detail17trampoline_kernelINS0_14default_configENS1_25partition_config_selectorILNS1_17partition_subalgoE6EjNS0_10empty_typeEbEEZZNS1_14partition_implILS5_6ELb0ES3_mN6thrust23THRUST_200600_302600_NS6detail15normal_iteratorINSA_10device_ptrIjEEEEPS6_SG_NS0_5tupleIJSF_S6_EEENSH_IJSG_SG_EEES6_PlJNSB_9not_fun_tINSB_10functional5actorINSM_9compositeIJNSM_27transparent_binary_operatorINSA_8equal_toIvEEEENSN_INSM_8argumentILj0EEEEENSM_5valueIjEEEEEEEEEEEE10hipError_tPvRmT3_T4_T5_T6_T7_T9_mT8_P12ihipStream_tbDpT10_ENKUlT_T0_E_clISt17integral_constantIbLb0EES1J_IbLb1EEEEDaS1F_S1G_EUlS1F_E_NS1_11comp_targetILNS1_3genE8ELNS1_11target_archE1030ELNS1_3gpuE2ELNS1_3repE0EEENS1_30default_config_static_selectorELNS0_4arch9wavefront6targetE0EEEvT1_.numbered_sgpr, 0
	.set _ZN7rocprim17ROCPRIM_400000_NS6detail17trampoline_kernelINS0_14default_configENS1_25partition_config_selectorILNS1_17partition_subalgoE6EjNS0_10empty_typeEbEEZZNS1_14partition_implILS5_6ELb0ES3_mN6thrust23THRUST_200600_302600_NS6detail15normal_iteratorINSA_10device_ptrIjEEEEPS6_SG_NS0_5tupleIJSF_S6_EEENSH_IJSG_SG_EEES6_PlJNSB_9not_fun_tINSB_10functional5actorINSM_9compositeIJNSM_27transparent_binary_operatorINSA_8equal_toIvEEEENSN_INSM_8argumentILj0EEEEENSM_5valueIjEEEEEEEEEEEE10hipError_tPvRmT3_T4_T5_T6_T7_T9_mT8_P12ihipStream_tbDpT10_ENKUlT_T0_E_clISt17integral_constantIbLb0EES1J_IbLb1EEEEDaS1F_S1G_EUlS1F_E_NS1_11comp_targetILNS1_3genE8ELNS1_11target_archE1030ELNS1_3gpuE2ELNS1_3repE0EEENS1_30default_config_static_selectorELNS0_4arch9wavefront6targetE0EEEvT1_.num_named_barrier, 0
	.set _ZN7rocprim17ROCPRIM_400000_NS6detail17trampoline_kernelINS0_14default_configENS1_25partition_config_selectorILNS1_17partition_subalgoE6EjNS0_10empty_typeEbEEZZNS1_14partition_implILS5_6ELb0ES3_mN6thrust23THRUST_200600_302600_NS6detail15normal_iteratorINSA_10device_ptrIjEEEEPS6_SG_NS0_5tupleIJSF_S6_EEENSH_IJSG_SG_EEES6_PlJNSB_9not_fun_tINSB_10functional5actorINSM_9compositeIJNSM_27transparent_binary_operatorINSA_8equal_toIvEEEENSN_INSM_8argumentILj0EEEEENSM_5valueIjEEEEEEEEEEEE10hipError_tPvRmT3_T4_T5_T6_T7_T9_mT8_P12ihipStream_tbDpT10_ENKUlT_T0_E_clISt17integral_constantIbLb0EES1J_IbLb1EEEEDaS1F_S1G_EUlS1F_E_NS1_11comp_targetILNS1_3genE8ELNS1_11target_archE1030ELNS1_3gpuE2ELNS1_3repE0EEENS1_30default_config_static_selectorELNS0_4arch9wavefront6targetE0EEEvT1_.private_seg_size, 0
	.set _ZN7rocprim17ROCPRIM_400000_NS6detail17trampoline_kernelINS0_14default_configENS1_25partition_config_selectorILNS1_17partition_subalgoE6EjNS0_10empty_typeEbEEZZNS1_14partition_implILS5_6ELb0ES3_mN6thrust23THRUST_200600_302600_NS6detail15normal_iteratorINSA_10device_ptrIjEEEEPS6_SG_NS0_5tupleIJSF_S6_EEENSH_IJSG_SG_EEES6_PlJNSB_9not_fun_tINSB_10functional5actorINSM_9compositeIJNSM_27transparent_binary_operatorINSA_8equal_toIvEEEENSN_INSM_8argumentILj0EEEEENSM_5valueIjEEEEEEEEEEEE10hipError_tPvRmT3_T4_T5_T6_T7_T9_mT8_P12ihipStream_tbDpT10_ENKUlT_T0_E_clISt17integral_constantIbLb0EES1J_IbLb1EEEEDaS1F_S1G_EUlS1F_E_NS1_11comp_targetILNS1_3genE8ELNS1_11target_archE1030ELNS1_3gpuE2ELNS1_3repE0EEENS1_30default_config_static_selectorELNS0_4arch9wavefront6targetE0EEEvT1_.uses_vcc, 0
	.set _ZN7rocprim17ROCPRIM_400000_NS6detail17trampoline_kernelINS0_14default_configENS1_25partition_config_selectorILNS1_17partition_subalgoE6EjNS0_10empty_typeEbEEZZNS1_14partition_implILS5_6ELb0ES3_mN6thrust23THRUST_200600_302600_NS6detail15normal_iteratorINSA_10device_ptrIjEEEEPS6_SG_NS0_5tupleIJSF_S6_EEENSH_IJSG_SG_EEES6_PlJNSB_9not_fun_tINSB_10functional5actorINSM_9compositeIJNSM_27transparent_binary_operatorINSA_8equal_toIvEEEENSN_INSM_8argumentILj0EEEEENSM_5valueIjEEEEEEEEEEEE10hipError_tPvRmT3_T4_T5_T6_T7_T9_mT8_P12ihipStream_tbDpT10_ENKUlT_T0_E_clISt17integral_constantIbLb0EES1J_IbLb1EEEEDaS1F_S1G_EUlS1F_E_NS1_11comp_targetILNS1_3genE8ELNS1_11target_archE1030ELNS1_3gpuE2ELNS1_3repE0EEENS1_30default_config_static_selectorELNS0_4arch9wavefront6targetE0EEEvT1_.uses_flat_scratch, 0
	.set _ZN7rocprim17ROCPRIM_400000_NS6detail17trampoline_kernelINS0_14default_configENS1_25partition_config_selectorILNS1_17partition_subalgoE6EjNS0_10empty_typeEbEEZZNS1_14partition_implILS5_6ELb0ES3_mN6thrust23THRUST_200600_302600_NS6detail15normal_iteratorINSA_10device_ptrIjEEEEPS6_SG_NS0_5tupleIJSF_S6_EEENSH_IJSG_SG_EEES6_PlJNSB_9not_fun_tINSB_10functional5actorINSM_9compositeIJNSM_27transparent_binary_operatorINSA_8equal_toIvEEEENSN_INSM_8argumentILj0EEEEENSM_5valueIjEEEEEEEEEEEE10hipError_tPvRmT3_T4_T5_T6_T7_T9_mT8_P12ihipStream_tbDpT10_ENKUlT_T0_E_clISt17integral_constantIbLb0EES1J_IbLb1EEEEDaS1F_S1G_EUlS1F_E_NS1_11comp_targetILNS1_3genE8ELNS1_11target_archE1030ELNS1_3gpuE2ELNS1_3repE0EEENS1_30default_config_static_selectorELNS0_4arch9wavefront6targetE0EEEvT1_.has_dyn_sized_stack, 0
	.set _ZN7rocprim17ROCPRIM_400000_NS6detail17trampoline_kernelINS0_14default_configENS1_25partition_config_selectorILNS1_17partition_subalgoE6EjNS0_10empty_typeEbEEZZNS1_14partition_implILS5_6ELb0ES3_mN6thrust23THRUST_200600_302600_NS6detail15normal_iteratorINSA_10device_ptrIjEEEEPS6_SG_NS0_5tupleIJSF_S6_EEENSH_IJSG_SG_EEES6_PlJNSB_9not_fun_tINSB_10functional5actorINSM_9compositeIJNSM_27transparent_binary_operatorINSA_8equal_toIvEEEENSN_INSM_8argumentILj0EEEEENSM_5valueIjEEEEEEEEEEEE10hipError_tPvRmT3_T4_T5_T6_T7_T9_mT8_P12ihipStream_tbDpT10_ENKUlT_T0_E_clISt17integral_constantIbLb0EES1J_IbLb1EEEEDaS1F_S1G_EUlS1F_E_NS1_11comp_targetILNS1_3genE8ELNS1_11target_archE1030ELNS1_3gpuE2ELNS1_3repE0EEENS1_30default_config_static_selectorELNS0_4arch9wavefront6targetE0EEEvT1_.has_recursion, 0
	.set _ZN7rocprim17ROCPRIM_400000_NS6detail17trampoline_kernelINS0_14default_configENS1_25partition_config_selectorILNS1_17partition_subalgoE6EjNS0_10empty_typeEbEEZZNS1_14partition_implILS5_6ELb0ES3_mN6thrust23THRUST_200600_302600_NS6detail15normal_iteratorINSA_10device_ptrIjEEEEPS6_SG_NS0_5tupleIJSF_S6_EEENSH_IJSG_SG_EEES6_PlJNSB_9not_fun_tINSB_10functional5actorINSM_9compositeIJNSM_27transparent_binary_operatorINSA_8equal_toIvEEEENSN_INSM_8argumentILj0EEEEENSM_5valueIjEEEEEEEEEEEE10hipError_tPvRmT3_T4_T5_T6_T7_T9_mT8_P12ihipStream_tbDpT10_ENKUlT_T0_E_clISt17integral_constantIbLb0EES1J_IbLb1EEEEDaS1F_S1G_EUlS1F_E_NS1_11comp_targetILNS1_3genE8ELNS1_11target_archE1030ELNS1_3gpuE2ELNS1_3repE0EEENS1_30default_config_static_selectorELNS0_4arch9wavefront6targetE0EEEvT1_.has_indirect_call, 0
	.section	.AMDGPU.csdata,"",@progbits
; Kernel info:
; codeLenInByte = 0
; TotalNumSgprs: 0
; NumVgprs: 0
; ScratchSize: 0
; MemoryBound: 0
; FloatMode: 240
; IeeeMode: 1
; LDSByteSize: 0 bytes/workgroup (compile time only)
; SGPRBlocks: 0
; VGPRBlocks: 0
; NumSGPRsForWavesPerEU: 1
; NumVGPRsForWavesPerEU: 1
; Occupancy: 16
; WaveLimiterHint : 0
; COMPUTE_PGM_RSRC2:SCRATCH_EN: 0
; COMPUTE_PGM_RSRC2:USER_SGPR: 2
; COMPUTE_PGM_RSRC2:TRAP_HANDLER: 0
; COMPUTE_PGM_RSRC2:TGID_X_EN: 1
; COMPUTE_PGM_RSRC2:TGID_Y_EN: 0
; COMPUTE_PGM_RSRC2:TGID_Z_EN: 0
; COMPUTE_PGM_RSRC2:TIDIG_COMP_CNT: 0
	.section	.text._ZN6thrust23THRUST_200600_302600_NS11hip_rocprim14__parallel_for6kernelILj256ENS1_20__uninitialized_fill7functorINS0_10device_ptrItEEtEEmLj1EEEvT0_T1_SA_,"axG",@progbits,_ZN6thrust23THRUST_200600_302600_NS11hip_rocprim14__parallel_for6kernelILj256ENS1_20__uninitialized_fill7functorINS0_10device_ptrItEEtEEmLj1EEEvT0_T1_SA_,comdat
	.protected	_ZN6thrust23THRUST_200600_302600_NS11hip_rocprim14__parallel_for6kernelILj256ENS1_20__uninitialized_fill7functorINS0_10device_ptrItEEtEEmLj1EEEvT0_T1_SA_ ; -- Begin function _ZN6thrust23THRUST_200600_302600_NS11hip_rocprim14__parallel_for6kernelILj256ENS1_20__uninitialized_fill7functorINS0_10device_ptrItEEtEEmLj1EEEvT0_T1_SA_
	.globl	_ZN6thrust23THRUST_200600_302600_NS11hip_rocprim14__parallel_for6kernelILj256ENS1_20__uninitialized_fill7functorINS0_10device_ptrItEEtEEmLj1EEEvT0_T1_SA_
	.p2align	8
	.type	_ZN6thrust23THRUST_200600_302600_NS11hip_rocprim14__parallel_for6kernelILj256ENS1_20__uninitialized_fill7functorINS0_10device_ptrItEEtEEmLj1EEEvT0_T1_SA_,@function
_ZN6thrust23THRUST_200600_302600_NS11hip_rocprim14__parallel_for6kernelILj256ENS1_20__uninitialized_fill7functorINS0_10device_ptrItEEtEEmLj1EEEvT0_T1_SA_: ; @_ZN6thrust23THRUST_200600_302600_NS11hip_rocprim14__parallel_for6kernelILj256ENS1_20__uninitialized_fill7functorINS0_10device_ptrItEEtEEmLj1EEEvT0_T1_SA_
; %bb.0:
	s_clause 0x1
	s_load_b128 s[8:11], s[0:1], 0x10
	s_load_b96 s[0:2], s[0:1], 0x0
	s_lshl_b32 s4, ttmp9, 8
	s_mov_b32 s5, 0
	s_wait_kmcnt 0x0
	s_add_nc_u64 s[4:5], s[10:11], s[4:5]
	s_delay_alu instid0(SALU_CYCLE_1) | instskip(NEXT) | instid1(SALU_CYCLE_1)
	s_sub_nc_u64 s[6:7], s[8:9], s[4:5]
	v_cmp_lt_u64_e64 s3, 0xff, s[6:7]
	s_and_b32 vcc_lo, exec_lo, s3
	s_mov_b32 s3, -1
	s_cbranch_vccz .LBB145_3
; %bb.1:
	s_and_not1_b32 vcc_lo, exec_lo, s3
	s_cbranch_vccz .LBB145_6
.LBB145_2:
	s_endpgm
.LBB145_3:
	s_mov_b32 s3, exec_lo
	v_cmpx_gt_u32_e64 s6, v0
	s_cbranch_execz .LBB145_5
; %bb.4:
	v_lshlrev_b32_e32 v1, 1, v0
	s_lshl_b64 s[6:7], s[4:5], 1
	v_mov_b32_e32 v3, s2
	s_wait_alu 0xfffe
	s_add_nc_u64 s[6:7], s[0:1], s[6:7]
	s_wait_alu 0xfffe
	v_add_co_u32 v1, s6, s6, v1
	s_wait_alu 0xf1ff
	v_add_co_ci_u32_e64 v2, null, s7, 0, s6
	flat_store_b16 v[1:2], v3
.LBB145_5:
	s_or_b32 exec_lo, exec_lo, s3
	s_cbranch_execnz .LBB145_2
.LBB145_6:
	v_lshlrev_b32_e32 v0, 1, v0
	s_lshl_b64 s[4:5], s[4:5], 1
	v_mov_b32_e32 v2, s2
	s_add_nc_u64 s[0:1], s[0:1], s[4:5]
	s_delay_alu instid0(VALU_DEP_2) | instid1(SALU_CYCLE_1)
	v_add_co_u32 v0, s0, s0, v0
	s_wait_alu 0xf1ff
	v_add_co_ci_u32_e64 v1, null, s1, 0, s0
	flat_store_b16 v[0:1], v2
	s_endpgm
	.section	.rodata,"a",@progbits
	.p2align	6, 0x0
	.amdhsa_kernel _ZN6thrust23THRUST_200600_302600_NS11hip_rocprim14__parallel_for6kernelILj256ENS1_20__uninitialized_fill7functorINS0_10device_ptrItEEtEEmLj1EEEvT0_T1_SA_
		.amdhsa_group_segment_fixed_size 0
		.amdhsa_private_segment_fixed_size 0
		.amdhsa_kernarg_size 32
		.amdhsa_user_sgpr_count 2
		.amdhsa_user_sgpr_dispatch_ptr 0
		.amdhsa_user_sgpr_queue_ptr 0
		.amdhsa_user_sgpr_kernarg_segment_ptr 1
		.amdhsa_user_sgpr_dispatch_id 0
		.amdhsa_user_sgpr_private_segment_size 0
		.amdhsa_wavefront_size32 1
		.amdhsa_uses_dynamic_stack 0
		.amdhsa_enable_private_segment 0
		.amdhsa_system_sgpr_workgroup_id_x 1
		.amdhsa_system_sgpr_workgroup_id_y 0
		.amdhsa_system_sgpr_workgroup_id_z 0
		.amdhsa_system_sgpr_workgroup_info 0
		.amdhsa_system_vgpr_workitem_id 0
		.amdhsa_next_free_vgpr 4
		.amdhsa_next_free_sgpr 12
		.amdhsa_reserve_vcc 1
		.amdhsa_float_round_mode_32 0
		.amdhsa_float_round_mode_16_64 0
		.amdhsa_float_denorm_mode_32 3
		.amdhsa_float_denorm_mode_16_64 3
		.amdhsa_fp16_overflow 0
		.amdhsa_workgroup_processor_mode 1
		.amdhsa_memory_ordered 1
		.amdhsa_forward_progress 1
		.amdhsa_inst_pref_size 2
		.amdhsa_round_robin_scheduling 0
		.amdhsa_exception_fp_ieee_invalid_op 0
		.amdhsa_exception_fp_denorm_src 0
		.amdhsa_exception_fp_ieee_div_zero 0
		.amdhsa_exception_fp_ieee_overflow 0
		.amdhsa_exception_fp_ieee_underflow 0
		.amdhsa_exception_fp_ieee_inexact 0
		.amdhsa_exception_int_div_zero 0
	.end_amdhsa_kernel
	.section	.text._ZN6thrust23THRUST_200600_302600_NS11hip_rocprim14__parallel_for6kernelILj256ENS1_20__uninitialized_fill7functorINS0_10device_ptrItEEtEEmLj1EEEvT0_T1_SA_,"axG",@progbits,_ZN6thrust23THRUST_200600_302600_NS11hip_rocprim14__parallel_for6kernelILj256ENS1_20__uninitialized_fill7functorINS0_10device_ptrItEEtEEmLj1EEEvT0_T1_SA_,comdat
.Lfunc_end145:
	.size	_ZN6thrust23THRUST_200600_302600_NS11hip_rocprim14__parallel_for6kernelILj256ENS1_20__uninitialized_fill7functorINS0_10device_ptrItEEtEEmLj1EEEvT0_T1_SA_, .Lfunc_end145-_ZN6thrust23THRUST_200600_302600_NS11hip_rocprim14__parallel_for6kernelILj256ENS1_20__uninitialized_fill7functorINS0_10device_ptrItEEtEEmLj1EEEvT0_T1_SA_
                                        ; -- End function
	.set _ZN6thrust23THRUST_200600_302600_NS11hip_rocprim14__parallel_for6kernelILj256ENS1_20__uninitialized_fill7functorINS0_10device_ptrItEEtEEmLj1EEEvT0_T1_SA_.num_vgpr, 4
	.set _ZN6thrust23THRUST_200600_302600_NS11hip_rocprim14__parallel_for6kernelILj256ENS1_20__uninitialized_fill7functorINS0_10device_ptrItEEtEEmLj1EEEvT0_T1_SA_.num_agpr, 0
	.set _ZN6thrust23THRUST_200600_302600_NS11hip_rocprim14__parallel_for6kernelILj256ENS1_20__uninitialized_fill7functorINS0_10device_ptrItEEtEEmLj1EEEvT0_T1_SA_.numbered_sgpr, 12
	.set _ZN6thrust23THRUST_200600_302600_NS11hip_rocprim14__parallel_for6kernelILj256ENS1_20__uninitialized_fill7functorINS0_10device_ptrItEEtEEmLj1EEEvT0_T1_SA_.num_named_barrier, 0
	.set _ZN6thrust23THRUST_200600_302600_NS11hip_rocprim14__parallel_for6kernelILj256ENS1_20__uninitialized_fill7functorINS0_10device_ptrItEEtEEmLj1EEEvT0_T1_SA_.private_seg_size, 0
	.set _ZN6thrust23THRUST_200600_302600_NS11hip_rocprim14__parallel_for6kernelILj256ENS1_20__uninitialized_fill7functorINS0_10device_ptrItEEtEEmLj1EEEvT0_T1_SA_.uses_vcc, 1
	.set _ZN6thrust23THRUST_200600_302600_NS11hip_rocprim14__parallel_for6kernelILj256ENS1_20__uninitialized_fill7functorINS0_10device_ptrItEEtEEmLj1EEEvT0_T1_SA_.uses_flat_scratch, 0
	.set _ZN6thrust23THRUST_200600_302600_NS11hip_rocprim14__parallel_for6kernelILj256ENS1_20__uninitialized_fill7functorINS0_10device_ptrItEEtEEmLj1EEEvT0_T1_SA_.has_dyn_sized_stack, 0
	.set _ZN6thrust23THRUST_200600_302600_NS11hip_rocprim14__parallel_for6kernelILj256ENS1_20__uninitialized_fill7functorINS0_10device_ptrItEEtEEmLj1EEEvT0_T1_SA_.has_recursion, 0
	.set _ZN6thrust23THRUST_200600_302600_NS11hip_rocprim14__parallel_for6kernelILj256ENS1_20__uninitialized_fill7functorINS0_10device_ptrItEEtEEmLj1EEEvT0_T1_SA_.has_indirect_call, 0
	.section	.AMDGPU.csdata,"",@progbits
; Kernel info:
; codeLenInByte = 216
; TotalNumSgprs: 14
; NumVgprs: 4
; ScratchSize: 0
; MemoryBound: 0
; FloatMode: 240
; IeeeMode: 1
; LDSByteSize: 0 bytes/workgroup (compile time only)
; SGPRBlocks: 0
; VGPRBlocks: 0
; NumSGPRsForWavesPerEU: 14
; NumVGPRsForWavesPerEU: 4
; Occupancy: 16
; WaveLimiterHint : 0
; COMPUTE_PGM_RSRC2:SCRATCH_EN: 0
; COMPUTE_PGM_RSRC2:USER_SGPR: 2
; COMPUTE_PGM_RSRC2:TRAP_HANDLER: 0
; COMPUTE_PGM_RSRC2:TGID_X_EN: 1
; COMPUTE_PGM_RSRC2:TGID_Y_EN: 0
; COMPUTE_PGM_RSRC2:TGID_Z_EN: 0
; COMPUTE_PGM_RSRC2:TIDIG_COMP_CNT: 0
	.section	.text._ZN7rocprim17ROCPRIM_400000_NS6detail17trampoline_kernelINS0_14default_configENS1_25partition_config_selectorILNS1_17partition_subalgoE6EtNS0_10empty_typeEbEEZZNS1_14partition_implILS5_6ELb0ES3_mN6thrust23THRUST_200600_302600_NS6detail15normal_iteratorINSA_10device_ptrItEEEEPS6_SG_NS0_5tupleIJSF_S6_EEENSH_IJSG_SG_EEES6_PlJNSB_9not_fun_tINSB_10functional5actorINSM_9compositeIJNSM_27transparent_binary_operatorINSA_8equal_toIvEEEENSN_INSM_8argumentILj0EEEEENSM_5valueItEEEEEEEEEEEE10hipError_tPvRmT3_T4_T5_T6_T7_T9_mT8_P12ihipStream_tbDpT10_ENKUlT_T0_E_clISt17integral_constantIbLb0EES1K_EEDaS1F_S1G_EUlS1F_E_NS1_11comp_targetILNS1_3genE0ELNS1_11target_archE4294967295ELNS1_3gpuE0ELNS1_3repE0EEENS1_30default_config_static_selectorELNS0_4arch9wavefront6targetE0EEEvT1_,"axG",@progbits,_ZN7rocprim17ROCPRIM_400000_NS6detail17trampoline_kernelINS0_14default_configENS1_25partition_config_selectorILNS1_17partition_subalgoE6EtNS0_10empty_typeEbEEZZNS1_14partition_implILS5_6ELb0ES3_mN6thrust23THRUST_200600_302600_NS6detail15normal_iteratorINSA_10device_ptrItEEEEPS6_SG_NS0_5tupleIJSF_S6_EEENSH_IJSG_SG_EEES6_PlJNSB_9not_fun_tINSB_10functional5actorINSM_9compositeIJNSM_27transparent_binary_operatorINSA_8equal_toIvEEEENSN_INSM_8argumentILj0EEEEENSM_5valueItEEEEEEEEEEEE10hipError_tPvRmT3_T4_T5_T6_T7_T9_mT8_P12ihipStream_tbDpT10_ENKUlT_T0_E_clISt17integral_constantIbLb0EES1K_EEDaS1F_S1G_EUlS1F_E_NS1_11comp_targetILNS1_3genE0ELNS1_11target_archE4294967295ELNS1_3gpuE0ELNS1_3repE0EEENS1_30default_config_static_selectorELNS0_4arch9wavefront6targetE0EEEvT1_,comdat
	.protected	_ZN7rocprim17ROCPRIM_400000_NS6detail17trampoline_kernelINS0_14default_configENS1_25partition_config_selectorILNS1_17partition_subalgoE6EtNS0_10empty_typeEbEEZZNS1_14partition_implILS5_6ELb0ES3_mN6thrust23THRUST_200600_302600_NS6detail15normal_iteratorINSA_10device_ptrItEEEEPS6_SG_NS0_5tupleIJSF_S6_EEENSH_IJSG_SG_EEES6_PlJNSB_9not_fun_tINSB_10functional5actorINSM_9compositeIJNSM_27transparent_binary_operatorINSA_8equal_toIvEEEENSN_INSM_8argumentILj0EEEEENSM_5valueItEEEEEEEEEEEE10hipError_tPvRmT3_T4_T5_T6_T7_T9_mT8_P12ihipStream_tbDpT10_ENKUlT_T0_E_clISt17integral_constantIbLb0EES1K_EEDaS1F_S1G_EUlS1F_E_NS1_11comp_targetILNS1_3genE0ELNS1_11target_archE4294967295ELNS1_3gpuE0ELNS1_3repE0EEENS1_30default_config_static_selectorELNS0_4arch9wavefront6targetE0EEEvT1_ ; -- Begin function _ZN7rocprim17ROCPRIM_400000_NS6detail17trampoline_kernelINS0_14default_configENS1_25partition_config_selectorILNS1_17partition_subalgoE6EtNS0_10empty_typeEbEEZZNS1_14partition_implILS5_6ELb0ES3_mN6thrust23THRUST_200600_302600_NS6detail15normal_iteratorINSA_10device_ptrItEEEEPS6_SG_NS0_5tupleIJSF_S6_EEENSH_IJSG_SG_EEES6_PlJNSB_9not_fun_tINSB_10functional5actorINSM_9compositeIJNSM_27transparent_binary_operatorINSA_8equal_toIvEEEENSN_INSM_8argumentILj0EEEEENSM_5valueItEEEEEEEEEEEE10hipError_tPvRmT3_T4_T5_T6_T7_T9_mT8_P12ihipStream_tbDpT10_ENKUlT_T0_E_clISt17integral_constantIbLb0EES1K_EEDaS1F_S1G_EUlS1F_E_NS1_11comp_targetILNS1_3genE0ELNS1_11target_archE4294967295ELNS1_3gpuE0ELNS1_3repE0EEENS1_30default_config_static_selectorELNS0_4arch9wavefront6targetE0EEEvT1_
	.globl	_ZN7rocprim17ROCPRIM_400000_NS6detail17trampoline_kernelINS0_14default_configENS1_25partition_config_selectorILNS1_17partition_subalgoE6EtNS0_10empty_typeEbEEZZNS1_14partition_implILS5_6ELb0ES3_mN6thrust23THRUST_200600_302600_NS6detail15normal_iteratorINSA_10device_ptrItEEEEPS6_SG_NS0_5tupleIJSF_S6_EEENSH_IJSG_SG_EEES6_PlJNSB_9not_fun_tINSB_10functional5actorINSM_9compositeIJNSM_27transparent_binary_operatorINSA_8equal_toIvEEEENSN_INSM_8argumentILj0EEEEENSM_5valueItEEEEEEEEEEEE10hipError_tPvRmT3_T4_T5_T6_T7_T9_mT8_P12ihipStream_tbDpT10_ENKUlT_T0_E_clISt17integral_constantIbLb0EES1K_EEDaS1F_S1G_EUlS1F_E_NS1_11comp_targetILNS1_3genE0ELNS1_11target_archE4294967295ELNS1_3gpuE0ELNS1_3repE0EEENS1_30default_config_static_selectorELNS0_4arch9wavefront6targetE0EEEvT1_
	.p2align	8
	.type	_ZN7rocprim17ROCPRIM_400000_NS6detail17trampoline_kernelINS0_14default_configENS1_25partition_config_selectorILNS1_17partition_subalgoE6EtNS0_10empty_typeEbEEZZNS1_14partition_implILS5_6ELb0ES3_mN6thrust23THRUST_200600_302600_NS6detail15normal_iteratorINSA_10device_ptrItEEEEPS6_SG_NS0_5tupleIJSF_S6_EEENSH_IJSG_SG_EEES6_PlJNSB_9not_fun_tINSB_10functional5actorINSM_9compositeIJNSM_27transparent_binary_operatorINSA_8equal_toIvEEEENSN_INSM_8argumentILj0EEEEENSM_5valueItEEEEEEEEEEEE10hipError_tPvRmT3_T4_T5_T6_T7_T9_mT8_P12ihipStream_tbDpT10_ENKUlT_T0_E_clISt17integral_constantIbLb0EES1K_EEDaS1F_S1G_EUlS1F_E_NS1_11comp_targetILNS1_3genE0ELNS1_11target_archE4294967295ELNS1_3gpuE0ELNS1_3repE0EEENS1_30default_config_static_selectorELNS0_4arch9wavefront6targetE0EEEvT1_,@function
_ZN7rocprim17ROCPRIM_400000_NS6detail17trampoline_kernelINS0_14default_configENS1_25partition_config_selectorILNS1_17partition_subalgoE6EtNS0_10empty_typeEbEEZZNS1_14partition_implILS5_6ELb0ES3_mN6thrust23THRUST_200600_302600_NS6detail15normal_iteratorINSA_10device_ptrItEEEEPS6_SG_NS0_5tupleIJSF_S6_EEENSH_IJSG_SG_EEES6_PlJNSB_9not_fun_tINSB_10functional5actorINSM_9compositeIJNSM_27transparent_binary_operatorINSA_8equal_toIvEEEENSN_INSM_8argumentILj0EEEEENSM_5valueItEEEEEEEEEEEE10hipError_tPvRmT3_T4_T5_T6_T7_T9_mT8_P12ihipStream_tbDpT10_ENKUlT_T0_E_clISt17integral_constantIbLb0EES1K_EEDaS1F_S1G_EUlS1F_E_NS1_11comp_targetILNS1_3genE0ELNS1_11target_archE4294967295ELNS1_3gpuE0ELNS1_3repE0EEENS1_30default_config_static_selectorELNS0_4arch9wavefront6targetE0EEEvT1_: ; @_ZN7rocprim17ROCPRIM_400000_NS6detail17trampoline_kernelINS0_14default_configENS1_25partition_config_selectorILNS1_17partition_subalgoE6EtNS0_10empty_typeEbEEZZNS1_14partition_implILS5_6ELb0ES3_mN6thrust23THRUST_200600_302600_NS6detail15normal_iteratorINSA_10device_ptrItEEEEPS6_SG_NS0_5tupleIJSF_S6_EEENSH_IJSG_SG_EEES6_PlJNSB_9not_fun_tINSB_10functional5actorINSM_9compositeIJNSM_27transparent_binary_operatorINSA_8equal_toIvEEEENSN_INSM_8argumentILj0EEEEENSM_5valueItEEEEEEEEEEEE10hipError_tPvRmT3_T4_T5_T6_T7_T9_mT8_P12ihipStream_tbDpT10_ENKUlT_T0_E_clISt17integral_constantIbLb0EES1K_EEDaS1F_S1G_EUlS1F_E_NS1_11comp_targetILNS1_3genE0ELNS1_11target_archE4294967295ELNS1_3gpuE0ELNS1_3repE0EEENS1_30default_config_static_selectorELNS0_4arch9wavefront6targetE0EEEvT1_
; %bb.0:
	.section	.rodata,"a",@progbits
	.p2align	6, 0x0
	.amdhsa_kernel _ZN7rocprim17ROCPRIM_400000_NS6detail17trampoline_kernelINS0_14default_configENS1_25partition_config_selectorILNS1_17partition_subalgoE6EtNS0_10empty_typeEbEEZZNS1_14partition_implILS5_6ELb0ES3_mN6thrust23THRUST_200600_302600_NS6detail15normal_iteratorINSA_10device_ptrItEEEEPS6_SG_NS0_5tupleIJSF_S6_EEENSH_IJSG_SG_EEES6_PlJNSB_9not_fun_tINSB_10functional5actorINSM_9compositeIJNSM_27transparent_binary_operatorINSA_8equal_toIvEEEENSN_INSM_8argumentILj0EEEEENSM_5valueItEEEEEEEEEEEE10hipError_tPvRmT3_T4_T5_T6_T7_T9_mT8_P12ihipStream_tbDpT10_ENKUlT_T0_E_clISt17integral_constantIbLb0EES1K_EEDaS1F_S1G_EUlS1F_E_NS1_11comp_targetILNS1_3genE0ELNS1_11target_archE4294967295ELNS1_3gpuE0ELNS1_3repE0EEENS1_30default_config_static_selectorELNS0_4arch9wavefront6targetE0EEEvT1_
		.amdhsa_group_segment_fixed_size 0
		.amdhsa_private_segment_fixed_size 0
		.amdhsa_kernarg_size 120
		.amdhsa_user_sgpr_count 2
		.amdhsa_user_sgpr_dispatch_ptr 0
		.amdhsa_user_sgpr_queue_ptr 0
		.amdhsa_user_sgpr_kernarg_segment_ptr 1
		.amdhsa_user_sgpr_dispatch_id 0
		.amdhsa_user_sgpr_private_segment_size 0
		.amdhsa_wavefront_size32 1
		.amdhsa_uses_dynamic_stack 0
		.amdhsa_enable_private_segment 0
		.amdhsa_system_sgpr_workgroup_id_x 1
		.amdhsa_system_sgpr_workgroup_id_y 0
		.amdhsa_system_sgpr_workgroup_id_z 0
		.amdhsa_system_sgpr_workgroup_info 0
		.amdhsa_system_vgpr_workitem_id 0
		.amdhsa_next_free_vgpr 1
		.amdhsa_next_free_sgpr 1
		.amdhsa_reserve_vcc 0
		.amdhsa_float_round_mode_32 0
		.amdhsa_float_round_mode_16_64 0
		.amdhsa_float_denorm_mode_32 3
		.amdhsa_float_denorm_mode_16_64 3
		.amdhsa_fp16_overflow 0
		.amdhsa_workgroup_processor_mode 1
		.amdhsa_memory_ordered 1
		.amdhsa_forward_progress 1
		.amdhsa_inst_pref_size 0
		.amdhsa_round_robin_scheduling 0
		.amdhsa_exception_fp_ieee_invalid_op 0
		.amdhsa_exception_fp_denorm_src 0
		.amdhsa_exception_fp_ieee_div_zero 0
		.amdhsa_exception_fp_ieee_overflow 0
		.amdhsa_exception_fp_ieee_underflow 0
		.amdhsa_exception_fp_ieee_inexact 0
		.amdhsa_exception_int_div_zero 0
	.end_amdhsa_kernel
	.section	.text._ZN7rocprim17ROCPRIM_400000_NS6detail17trampoline_kernelINS0_14default_configENS1_25partition_config_selectorILNS1_17partition_subalgoE6EtNS0_10empty_typeEbEEZZNS1_14partition_implILS5_6ELb0ES3_mN6thrust23THRUST_200600_302600_NS6detail15normal_iteratorINSA_10device_ptrItEEEEPS6_SG_NS0_5tupleIJSF_S6_EEENSH_IJSG_SG_EEES6_PlJNSB_9not_fun_tINSB_10functional5actorINSM_9compositeIJNSM_27transparent_binary_operatorINSA_8equal_toIvEEEENSN_INSM_8argumentILj0EEEEENSM_5valueItEEEEEEEEEEEE10hipError_tPvRmT3_T4_T5_T6_T7_T9_mT8_P12ihipStream_tbDpT10_ENKUlT_T0_E_clISt17integral_constantIbLb0EES1K_EEDaS1F_S1G_EUlS1F_E_NS1_11comp_targetILNS1_3genE0ELNS1_11target_archE4294967295ELNS1_3gpuE0ELNS1_3repE0EEENS1_30default_config_static_selectorELNS0_4arch9wavefront6targetE0EEEvT1_,"axG",@progbits,_ZN7rocprim17ROCPRIM_400000_NS6detail17trampoline_kernelINS0_14default_configENS1_25partition_config_selectorILNS1_17partition_subalgoE6EtNS0_10empty_typeEbEEZZNS1_14partition_implILS5_6ELb0ES3_mN6thrust23THRUST_200600_302600_NS6detail15normal_iteratorINSA_10device_ptrItEEEEPS6_SG_NS0_5tupleIJSF_S6_EEENSH_IJSG_SG_EEES6_PlJNSB_9not_fun_tINSB_10functional5actorINSM_9compositeIJNSM_27transparent_binary_operatorINSA_8equal_toIvEEEENSN_INSM_8argumentILj0EEEEENSM_5valueItEEEEEEEEEEEE10hipError_tPvRmT3_T4_T5_T6_T7_T9_mT8_P12ihipStream_tbDpT10_ENKUlT_T0_E_clISt17integral_constantIbLb0EES1K_EEDaS1F_S1G_EUlS1F_E_NS1_11comp_targetILNS1_3genE0ELNS1_11target_archE4294967295ELNS1_3gpuE0ELNS1_3repE0EEENS1_30default_config_static_selectorELNS0_4arch9wavefront6targetE0EEEvT1_,comdat
.Lfunc_end146:
	.size	_ZN7rocprim17ROCPRIM_400000_NS6detail17trampoline_kernelINS0_14default_configENS1_25partition_config_selectorILNS1_17partition_subalgoE6EtNS0_10empty_typeEbEEZZNS1_14partition_implILS5_6ELb0ES3_mN6thrust23THRUST_200600_302600_NS6detail15normal_iteratorINSA_10device_ptrItEEEEPS6_SG_NS0_5tupleIJSF_S6_EEENSH_IJSG_SG_EEES6_PlJNSB_9not_fun_tINSB_10functional5actorINSM_9compositeIJNSM_27transparent_binary_operatorINSA_8equal_toIvEEEENSN_INSM_8argumentILj0EEEEENSM_5valueItEEEEEEEEEEEE10hipError_tPvRmT3_T4_T5_T6_T7_T9_mT8_P12ihipStream_tbDpT10_ENKUlT_T0_E_clISt17integral_constantIbLb0EES1K_EEDaS1F_S1G_EUlS1F_E_NS1_11comp_targetILNS1_3genE0ELNS1_11target_archE4294967295ELNS1_3gpuE0ELNS1_3repE0EEENS1_30default_config_static_selectorELNS0_4arch9wavefront6targetE0EEEvT1_, .Lfunc_end146-_ZN7rocprim17ROCPRIM_400000_NS6detail17trampoline_kernelINS0_14default_configENS1_25partition_config_selectorILNS1_17partition_subalgoE6EtNS0_10empty_typeEbEEZZNS1_14partition_implILS5_6ELb0ES3_mN6thrust23THRUST_200600_302600_NS6detail15normal_iteratorINSA_10device_ptrItEEEEPS6_SG_NS0_5tupleIJSF_S6_EEENSH_IJSG_SG_EEES6_PlJNSB_9not_fun_tINSB_10functional5actorINSM_9compositeIJNSM_27transparent_binary_operatorINSA_8equal_toIvEEEENSN_INSM_8argumentILj0EEEEENSM_5valueItEEEEEEEEEEEE10hipError_tPvRmT3_T4_T5_T6_T7_T9_mT8_P12ihipStream_tbDpT10_ENKUlT_T0_E_clISt17integral_constantIbLb0EES1K_EEDaS1F_S1G_EUlS1F_E_NS1_11comp_targetILNS1_3genE0ELNS1_11target_archE4294967295ELNS1_3gpuE0ELNS1_3repE0EEENS1_30default_config_static_selectorELNS0_4arch9wavefront6targetE0EEEvT1_
                                        ; -- End function
	.set _ZN7rocprim17ROCPRIM_400000_NS6detail17trampoline_kernelINS0_14default_configENS1_25partition_config_selectorILNS1_17partition_subalgoE6EtNS0_10empty_typeEbEEZZNS1_14partition_implILS5_6ELb0ES3_mN6thrust23THRUST_200600_302600_NS6detail15normal_iteratorINSA_10device_ptrItEEEEPS6_SG_NS0_5tupleIJSF_S6_EEENSH_IJSG_SG_EEES6_PlJNSB_9not_fun_tINSB_10functional5actorINSM_9compositeIJNSM_27transparent_binary_operatorINSA_8equal_toIvEEEENSN_INSM_8argumentILj0EEEEENSM_5valueItEEEEEEEEEEEE10hipError_tPvRmT3_T4_T5_T6_T7_T9_mT8_P12ihipStream_tbDpT10_ENKUlT_T0_E_clISt17integral_constantIbLb0EES1K_EEDaS1F_S1G_EUlS1F_E_NS1_11comp_targetILNS1_3genE0ELNS1_11target_archE4294967295ELNS1_3gpuE0ELNS1_3repE0EEENS1_30default_config_static_selectorELNS0_4arch9wavefront6targetE0EEEvT1_.num_vgpr, 0
	.set _ZN7rocprim17ROCPRIM_400000_NS6detail17trampoline_kernelINS0_14default_configENS1_25partition_config_selectorILNS1_17partition_subalgoE6EtNS0_10empty_typeEbEEZZNS1_14partition_implILS5_6ELb0ES3_mN6thrust23THRUST_200600_302600_NS6detail15normal_iteratorINSA_10device_ptrItEEEEPS6_SG_NS0_5tupleIJSF_S6_EEENSH_IJSG_SG_EEES6_PlJNSB_9not_fun_tINSB_10functional5actorINSM_9compositeIJNSM_27transparent_binary_operatorINSA_8equal_toIvEEEENSN_INSM_8argumentILj0EEEEENSM_5valueItEEEEEEEEEEEE10hipError_tPvRmT3_T4_T5_T6_T7_T9_mT8_P12ihipStream_tbDpT10_ENKUlT_T0_E_clISt17integral_constantIbLb0EES1K_EEDaS1F_S1G_EUlS1F_E_NS1_11comp_targetILNS1_3genE0ELNS1_11target_archE4294967295ELNS1_3gpuE0ELNS1_3repE0EEENS1_30default_config_static_selectorELNS0_4arch9wavefront6targetE0EEEvT1_.num_agpr, 0
	.set _ZN7rocprim17ROCPRIM_400000_NS6detail17trampoline_kernelINS0_14default_configENS1_25partition_config_selectorILNS1_17partition_subalgoE6EtNS0_10empty_typeEbEEZZNS1_14partition_implILS5_6ELb0ES3_mN6thrust23THRUST_200600_302600_NS6detail15normal_iteratorINSA_10device_ptrItEEEEPS6_SG_NS0_5tupleIJSF_S6_EEENSH_IJSG_SG_EEES6_PlJNSB_9not_fun_tINSB_10functional5actorINSM_9compositeIJNSM_27transparent_binary_operatorINSA_8equal_toIvEEEENSN_INSM_8argumentILj0EEEEENSM_5valueItEEEEEEEEEEEE10hipError_tPvRmT3_T4_T5_T6_T7_T9_mT8_P12ihipStream_tbDpT10_ENKUlT_T0_E_clISt17integral_constantIbLb0EES1K_EEDaS1F_S1G_EUlS1F_E_NS1_11comp_targetILNS1_3genE0ELNS1_11target_archE4294967295ELNS1_3gpuE0ELNS1_3repE0EEENS1_30default_config_static_selectorELNS0_4arch9wavefront6targetE0EEEvT1_.numbered_sgpr, 0
	.set _ZN7rocprim17ROCPRIM_400000_NS6detail17trampoline_kernelINS0_14default_configENS1_25partition_config_selectorILNS1_17partition_subalgoE6EtNS0_10empty_typeEbEEZZNS1_14partition_implILS5_6ELb0ES3_mN6thrust23THRUST_200600_302600_NS6detail15normal_iteratorINSA_10device_ptrItEEEEPS6_SG_NS0_5tupleIJSF_S6_EEENSH_IJSG_SG_EEES6_PlJNSB_9not_fun_tINSB_10functional5actorINSM_9compositeIJNSM_27transparent_binary_operatorINSA_8equal_toIvEEEENSN_INSM_8argumentILj0EEEEENSM_5valueItEEEEEEEEEEEE10hipError_tPvRmT3_T4_T5_T6_T7_T9_mT8_P12ihipStream_tbDpT10_ENKUlT_T0_E_clISt17integral_constantIbLb0EES1K_EEDaS1F_S1G_EUlS1F_E_NS1_11comp_targetILNS1_3genE0ELNS1_11target_archE4294967295ELNS1_3gpuE0ELNS1_3repE0EEENS1_30default_config_static_selectorELNS0_4arch9wavefront6targetE0EEEvT1_.num_named_barrier, 0
	.set _ZN7rocprim17ROCPRIM_400000_NS6detail17trampoline_kernelINS0_14default_configENS1_25partition_config_selectorILNS1_17partition_subalgoE6EtNS0_10empty_typeEbEEZZNS1_14partition_implILS5_6ELb0ES3_mN6thrust23THRUST_200600_302600_NS6detail15normal_iteratorINSA_10device_ptrItEEEEPS6_SG_NS0_5tupleIJSF_S6_EEENSH_IJSG_SG_EEES6_PlJNSB_9not_fun_tINSB_10functional5actorINSM_9compositeIJNSM_27transparent_binary_operatorINSA_8equal_toIvEEEENSN_INSM_8argumentILj0EEEEENSM_5valueItEEEEEEEEEEEE10hipError_tPvRmT3_T4_T5_T6_T7_T9_mT8_P12ihipStream_tbDpT10_ENKUlT_T0_E_clISt17integral_constantIbLb0EES1K_EEDaS1F_S1G_EUlS1F_E_NS1_11comp_targetILNS1_3genE0ELNS1_11target_archE4294967295ELNS1_3gpuE0ELNS1_3repE0EEENS1_30default_config_static_selectorELNS0_4arch9wavefront6targetE0EEEvT1_.private_seg_size, 0
	.set _ZN7rocprim17ROCPRIM_400000_NS6detail17trampoline_kernelINS0_14default_configENS1_25partition_config_selectorILNS1_17partition_subalgoE6EtNS0_10empty_typeEbEEZZNS1_14partition_implILS5_6ELb0ES3_mN6thrust23THRUST_200600_302600_NS6detail15normal_iteratorINSA_10device_ptrItEEEEPS6_SG_NS0_5tupleIJSF_S6_EEENSH_IJSG_SG_EEES6_PlJNSB_9not_fun_tINSB_10functional5actorINSM_9compositeIJNSM_27transparent_binary_operatorINSA_8equal_toIvEEEENSN_INSM_8argumentILj0EEEEENSM_5valueItEEEEEEEEEEEE10hipError_tPvRmT3_T4_T5_T6_T7_T9_mT8_P12ihipStream_tbDpT10_ENKUlT_T0_E_clISt17integral_constantIbLb0EES1K_EEDaS1F_S1G_EUlS1F_E_NS1_11comp_targetILNS1_3genE0ELNS1_11target_archE4294967295ELNS1_3gpuE0ELNS1_3repE0EEENS1_30default_config_static_selectorELNS0_4arch9wavefront6targetE0EEEvT1_.uses_vcc, 0
	.set _ZN7rocprim17ROCPRIM_400000_NS6detail17trampoline_kernelINS0_14default_configENS1_25partition_config_selectorILNS1_17partition_subalgoE6EtNS0_10empty_typeEbEEZZNS1_14partition_implILS5_6ELb0ES3_mN6thrust23THRUST_200600_302600_NS6detail15normal_iteratorINSA_10device_ptrItEEEEPS6_SG_NS0_5tupleIJSF_S6_EEENSH_IJSG_SG_EEES6_PlJNSB_9not_fun_tINSB_10functional5actorINSM_9compositeIJNSM_27transparent_binary_operatorINSA_8equal_toIvEEEENSN_INSM_8argumentILj0EEEEENSM_5valueItEEEEEEEEEEEE10hipError_tPvRmT3_T4_T5_T6_T7_T9_mT8_P12ihipStream_tbDpT10_ENKUlT_T0_E_clISt17integral_constantIbLb0EES1K_EEDaS1F_S1G_EUlS1F_E_NS1_11comp_targetILNS1_3genE0ELNS1_11target_archE4294967295ELNS1_3gpuE0ELNS1_3repE0EEENS1_30default_config_static_selectorELNS0_4arch9wavefront6targetE0EEEvT1_.uses_flat_scratch, 0
	.set _ZN7rocprim17ROCPRIM_400000_NS6detail17trampoline_kernelINS0_14default_configENS1_25partition_config_selectorILNS1_17partition_subalgoE6EtNS0_10empty_typeEbEEZZNS1_14partition_implILS5_6ELb0ES3_mN6thrust23THRUST_200600_302600_NS6detail15normal_iteratorINSA_10device_ptrItEEEEPS6_SG_NS0_5tupleIJSF_S6_EEENSH_IJSG_SG_EEES6_PlJNSB_9not_fun_tINSB_10functional5actorINSM_9compositeIJNSM_27transparent_binary_operatorINSA_8equal_toIvEEEENSN_INSM_8argumentILj0EEEEENSM_5valueItEEEEEEEEEEEE10hipError_tPvRmT3_T4_T5_T6_T7_T9_mT8_P12ihipStream_tbDpT10_ENKUlT_T0_E_clISt17integral_constantIbLb0EES1K_EEDaS1F_S1G_EUlS1F_E_NS1_11comp_targetILNS1_3genE0ELNS1_11target_archE4294967295ELNS1_3gpuE0ELNS1_3repE0EEENS1_30default_config_static_selectorELNS0_4arch9wavefront6targetE0EEEvT1_.has_dyn_sized_stack, 0
	.set _ZN7rocprim17ROCPRIM_400000_NS6detail17trampoline_kernelINS0_14default_configENS1_25partition_config_selectorILNS1_17partition_subalgoE6EtNS0_10empty_typeEbEEZZNS1_14partition_implILS5_6ELb0ES3_mN6thrust23THRUST_200600_302600_NS6detail15normal_iteratorINSA_10device_ptrItEEEEPS6_SG_NS0_5tupleIJSF_S6_EEENSH_IJSG_SG_EEES6_PlJNSB_9not_fun_tINSB_10functional5actorINSM_9compositeIJNSM_27transparent_binary_operatorINSA_8equal_toIvEEEENSN_INSM_8argumentILj0EEEEENSM_5valueItEEEEEEEEEEEE10hipError_tPvRmT3_T4_T5_T6_T7_T9_mT8_P12ihipStream_tbDpT10_ENKUlT_T0_E_clISt17integral_constantIbLb0EES1K_EEDaS1F_S1G_EUlS1F_E_NS1_11comp_targetILNS1_3genE0ELNS1_11target_archE4294967295ELNS1_3gpuE0ELNS1_3repE0EEENS1_30default_config_static_selectorELNS0_4arch9wavefront6targetE0EEEvT1_.has_recursion, 0
	.set _ZN7rocprim17ROCPRIM_400000_NS6detail17trampoline_kernelINS0_14default_configENS1_25partition_config_selectorILNS1_17partition_subalgoE6EtNS0_10empty_typeEbEEZZNS1_14partition_implILS5_6ELb0ES3_mN6thrust23THRUST_200600_302600_NS6detail15normal_iteratorINSA_10device_ptrItEEEEPS6_SG_NS0_5tupleIJSF_S6_EEENSH_IJSG_SG_EEES6_PlJNSB_9not_fun_tINSB_10functional5actorINSM_9compositeIJNSM_27transparent_binary_operatorINSA_8equal_toIvEEEENSN_INSM_8argumentILj0EEEEENSM_5valueItEEEEEEEEEEEE10hipError_tPvRmT3_T4_T5_T6_T7_T9_mT8_P12ihipStream_tbDpT10_ENKUlT_T0_E_clISt17integral_constantIbLb0EES1K_EEDaS1F_S1G_EUlS1F_E_NS1_11comp_targetILNS1_3genE0ELNS1_11target_archE4294967295ELNS1_3gpuE0ELNS1_3repE0EEENS1_30default_config_static_selectorELNS0_4arch9wavefront6targetE0EEEvT1_.has_indirect_call, 0
	.section	.AMDGPU.csdata,"",@progbits
; Kernel info:
; codeLenInByte = 0
; TotalNumSgprs: 0
; NumVgprs: 0
; ScratchSize: 0
; MemoryBound: 0
; FloatMode: 240
; IeeeMode: 1
; LDSByteSize: 0 bytes/workgroup (compile time only)
; SGPRBlocks: 0
; VGPRBlocks: 0
; NumSGPRsForWavesPerEU: 1
; NumVGPRsForWavesPerEU: 1
; Occupancy: 16
; WaveLimiterHint : 0
; COMPUTE_PGM_RSRC2:SCRATCH_EN: 0
; COMPUTE_PGM_RSRC2:USER_SGPR: 2
; COMPUTE_PGM_RSRC2:TRAP_HANDLER: 0
; COMPUTE_PGM_RSRC2:TGID_X_EN: 1
; COMPUTE_PGM_RSRC2:TGID_Y_EN: 0
; COMPUTE_PGM_RSRC2:TGID_Z_EN: 0
; COMPUTE_PGM_RSRC2:TIDIG_COMP_CNT: 0
	.section	.text._ZN7rocprim17ROCPRIM_400000_NS6detail17trampoline_kernelINS0_14default_configENS1_25partition_config_selectorILNS1_17partition_subalgoE6EtNS0_10empty_typeEbEEZZNS1_14partition_implILS5_6ELb0ES3_mN6thrust23THRUST_200600_302600_NS6detail15normal_iteratorINSA_10device_ptrItEEEEPS6_SG_NS0_5tupleIJSF_S6_EEENSH_IJSG_SG_EEES6_PlJNSB_9not_fun_tINSB_10functional5actorINSM_9compositeIJNSM_27transparent_binary_operatorINSA_8equal_toIvEEEENSN_INSM_8argumentILj0EEEEENSM_5valueItEEEEEEEEEEEE10hipError_tPvRmT3_T4_T5_T6_T7_T9_mT8_P12ihipStream_tbDpT10_ENKUlT_T0_E_clISt17integral_constantIbLb0EES1K_EEDaS1F_S1G_EUlS1F_E_NS1_11comp_targetILNS1_3genE5ELNS1_11target_archE942ELNS1_3gpuE9ELNS1_3repE0EEENS1_30default_config_static_selectorELNS0_4arch9wavefront6targetE0EEEvT1_,"axG",@progbits,_ZN7rocprim17ROCPRIM_400000_NS6detail17trampoline_kernelINS0_14default_configENS1_25partition_config_selectorILNS1_17partition_subalgoE6EtNS0_10empty_typeEbEEZZNS1_14partition_implILS5_6ELb0ES3_mN6thrust23THRUST_200600_302600_NS6detail15normal_iteratorINSA_10device_ptrItEEEEPS6_SG_NS0_5tupleIJSF_S6_EEENSH_IJSG_SG_EEES6_PlJNSB_9not_fun_tINSB_10functional5actorINSM_9compositeIJNSM_27transparent_binary_operatorINSA_8equal_toIvEEEENSN_INSM_8argumentILj0EEEEENSM_5valueItEEEEEEEEEEEE10hipError_tPvRmT3_T4_T5_T6_T7_T9_mT8_P12ihipStream_tbDpT10_ENKUlT_T0_E_clISt17integral_constantIbLb0EES1K_EEDaS1F_S1G_EUlS1F_E_NS1_11comp_targetILNS1_3genE5ELNS1_11target_archE942ELNS1_3gpuE9ELNS1_3repE0EEENS1_30default_config_static_selectorELNS0_4arch9wavefront6targetE0EEEvT1_,comdat
	.protected	_ZN7rocprim17ROCPRIM_400000_NS6detail17trampoline_kernelINS0_14default_configENS1_25partition_config_selectorILNS1_17partition_subalgoE6EtNS0_10empty_typeEbEEZZNS1_14partition_implILS5_6ELb0ES3_mN6thrust23THRUST_200600_302600_NS6detail15normal_iteratorINSA_10device_ptrItEEEEPS6_SG_NS0_5tupleIJSF_S6_EEENSH_IJSG_SG_EEES6_PlJNSB_9not_fun_tINSB_10functional5actorINSM_9compositeIJNSM_27transparent_binary_operatorINSA_8equal_toIvEEEENSN_INSM_8argumentILj0EEEEENSM_5valueItEEEEEEEEEEEE10hipError_tPvRmT3_T4_T5_T6_T7_T9_mT8_P12ihipStream_tbDpT10_ENKUlT_T0_E_clISt17integral_constantIbLb0EES1K_EEDaS1F_S1G_EUlS1F_E_NS1_11comp_targetILNS1_3genE5ELNS1_11target_archE942ELNS1_3gpuE9ELNS1_3repE0EEENS1_30default_config_static_selectorELNS0_4arch9wavefront6targetE0EEEvT1_ ; -- Begin function _ZN7rocprim17ROCPRIM_400000_NS6detail17trampoline_kernelINS0_14default_configENS1_25partition_config_selectorILNS1_17partition_subalgoE6EtNS0_10empty_typeEbEEZZNS1_14partition_implILS5_6ELb0ES3_mN6thrust23THRUST_200600_302600_NS6detail15normal_iteratorINSA_10device_ptrItEEEEPS6_SG_NS0_5tupleIJSF_S6_EEENSH_IJSG_SG_EEES6_PlJNSB_9not_fun_tINSB_10functional5actorINSM_9compositeIJNSM_27transparent_binary_operatorINSA_8equal_toIvEEEENSN_INSM_8argumentILj0EEEEENSM_5valueItEEEEEEEEEEEE10hipError_tPvRmT3_T4_T5_T6_T7_T9_mT8_P12ihipStream_tbDpT10_ENKUlT_T0_E_clISt17integral_constantIbLb0EES1K_EEDaS1F_S1G_EUlS1F_E_NS1_11comp_targetILNS1_3genE5ELNS1_11target_archE942ELNS1_3gpuE9ELNS1_3repE0EEENS1_30default_config_static_selectorELNS0_4arch9wavefront6targetE0EEEvT1_
	.globl	_ZN7rocprim17ROCPRIM_400000_NS6detail17trampoline_kernelINS0_14default_configENS1_25partition_config_selectorILNS1_17partition_subalgoE6EtNS0_10empty_typeEbEEZZNS1_14partition_implILS5_6ELb0ES3_mN6thrust23THRUST_200600_302600_NS6detail15normal_iteratorINSA_10device_ptrItEEEEPS6_SG_NS0_5tupleIJSF_S6_EEENSH_IJSG_SG_EEES6_PlJNSB_9not_fun_tINSB_10functional5actorINSM_9compositeIJNSM_27transparent_binary_operatorINSA_8equal_toIvEEEENSN_INSM_8argumentILj0EEEEENSM_5valueItEEEEEEEEEEEE10hipError_tPvRmT3_T4_T5_T6_T7_T9_mT8_P12ihipStream_tbDpT10_ENKUlT_T0_E_clISt17integral_constantIbLb0EES1K_EEDaS1F_S1G_EUlS1F_E_NS1_11comp_targetILNS1_3genE5ELNS1_11target_archE942ELNS1_3gpuE9ELNS1_3repE0EEENS1_30default_config_static_selectorELNS0_4arch9wavefront6targetE0EEEvT1_
	.p2align	8
	.type	_ZN7rocprim17ROCPRIM_400000_NS6detail17trampoline_kernelINS0_14default_configENS1_25partition_config_selectorILNS1_17partition_subalgoE6EtNS0_10empty_typeEbEEZZNS1_14partition_implILS5_6ELb0ES3_mN6thrust23THRUST_200600_302600_NS6detail15normal_iteratorINSA_10device_ptrItEEEEPS6_SG_NS0_5tupleIJSF_S6_EEENSH_IJSG_SG_EEES6_PlJNSB_9not_fun_tINSB_10functional5actorINSM_9compositeIJNSM_27transparent_binary_operatorINSA_8equal_toIvEEEENSN_INSM_8argumentILj0EEEEENSM_5valueItEEEEEEEEEEEE10hipError_tPvRmT3_T4_T5_T6_T7_T9_mT8_P12ihipStream_tbDpT10_ENKUlT_T0_E_clISt17integral_constantIbLb0EES1K_EEDaS1F_S1G_EUlS1F_E_NS1_11comp_targetILNS1_3genE5ELNS1_11target_archE942ELNS1_3gpuE9ELNS1_3repE0EEENS1_30default_config_static_selectorELNS0_4arch9wavefront6targetE0EEEvT1_,@function
_ZN7rocprim17ROCPRIM_400000_NS6detail17trampoline_kernelINS0_14default_configENS1_25partition_config_selectorILNS1_17partition_subalgoE6EtNS0_10empty_typeEbEEZZNS1_14partition_implILS5_6ELb0ES3_mN6thrust23THRUST_200600_302600_NS6detail15normal_iteratorINSA_10device_ptrItEEEEPS6_SG_NS0_5tupleIJSF_S6_EEENSH_IJSG_SG_EEES6_PlJNSB_9not_fun_tINSB_10functional5actorINSM_9compositeIJNSM_27transparent_binary_operatorINSA_8equal_toIvEEEENSN_INSM_8argumentILj0EEEEENSM_5valueItEEEEEEEEEEEE10hipError_tPvRmT3_T4_T5_T6_T7_T9_mT8_P12ihipStream_tbDpT10_ENKUlT_T0_E_clISt17integral_constantIbLb0EES1K_EEDaS1F_S1G_EUlS1F_E_NS1_11comp_targetILNS1_3genE5ELNS1_11target_archE942ELNS1_3gpuE9ELNS1_3repE0EEENS1_30default_config_static_selectorELNS0_4arch9wavefront6targetE0EEEvT1_: ; @_ZN7rocprim17ROCPRIM_400000_NS6detail17trampoline_kernelINS0_14default_configENS1_25partition_config_selectorILNS1_17partition_subalgoE6EtNS0_10empty_typeEbEEZZNS1_14partition_implILS5_6ELb0ES3_mN6thrust23THRUST_200600_302600_NS6detail15normal_iteratorINSA_10device_ptrItEEEEPS6_SG_NS0_5tupleIJSF_S6_EEENSH_IJSG_SG_EEES6_PlJNSB_9not_fun_tINSB_10functional5actorINSM_9compositeIJNSM_27transparent_binary_operatorINSA_8equal_toIvEEEENSN_INSM_8argumentILj0EEEEENSM_5valueItEEEEEEEEEEEE10hipError_tPvRmT3_T4_T5_T6_T7_T9_mT8_P12ihipStream_tbDpT10_ENKUlT_T0_E_clISt17integral_constantIbLb0EES1K_EEDaS1F_S1G_EUlS1F_E_NS1_11comp_targetILNS1_3genE5ELNS1_11target_archE942ELNS1_3gpuE9ELNS1_3repE0EEENS1_30default_config_static_selectorELNS0_4arch9wavefront6targetE0EEEvT1_
; %bb.0:
	.section	.rodata,"a",@progbits
	.p2align	6, 0x0
	.amdhsa_kernel _ZN7rocprim17ROCPRIM_400000_NS6detail17trampoline_kernelINS0_14default_configENS1_25partition_config_selectorILNS1_17partition_subalgoE6EtNS0_10empty_typeEbEEZZNS1_14partition_implILS5_6ELb0ES3_mN6thrust23THRUST_200600_302600_NS6detail15normal_iteratorINSA_10device_ptrItEEEEPS6_SG_NS0_5tupleIJSF_S6_EEENSH_IJSG_SG_EEES6_PlJNSB_9not_fun_tINSB_10functional5actorINSM_9compositeIJNSM_27transparent_binary_operatorINSA_8equal_toIvEEEENSN_INSM_8argumentILj0EEEEENSM_5valueItEEEEEEEEEEEE10hipError_tPvRmT3_T4_T5_T6_T7_T9_mT8_P12ihipStream_tbDpT10_ENKUlT_T0_E_clISt17integral_constantIbLb0EES1K_EEDaS1F_S1G_EUlS1F_E_NS1_11comp_targetILNS1_3genE5ELNS1_11target_archE942ELNS1_3gpuE9ELNS1_3repE0EEENS1_30default_config_static_selectorELNS0_4arch9wavefront6targetE0EEEvT1_
		.amdhsa_group_segment_fixed_size 0
		.amdhsa_private_segment_fixed_size 0
		.amdhsa_kernarg_size 120
		.amdhsa_user_sgpr_count 2
		.amdhsa_user_sgpr_dispatch_ptr 0
		.amdhsa_user_sgpr_queue_ptr 0
		.amdhsa_user_sgpr_kernarg_segment_ptr 1
		.amdhsa_user_sgpr_dispatch_id 0
		.amdhsa_user_sgpr_private_segment_size 0
		.amdhsa_wavefront_size32 1
		.amdhsa_uses_dynamic_stack 0
		.amdhsa_enable_private_segment 0
		.amdhsa_system_sgpr_workgroup_id_x 1
		.amdhsa_system_sgpr_workgroup_id_y 0
		.amdhsa_system_sgpr_workgroup_id_z 0
		.amdhsa_system_sgpr_workgroup_info 0
		.amdhsa_system_vgpr_workitem_id 0
		.amdhsa_next_free_vgpr 1
		.amdhsa_next_free_sgpr 1
		.amdhsa_reserve_vcc 0
		.amdhsa_float_round_mode_32 0
		.amdhsa_float_round_mode_16_64 0
		.amdhsa_float_denorm_mode_32 3
		.amdhsa_float_denorm_mode_16_64 3
		.amdhsa_fp16_overflow 0
		.amdhsa_workgroup_processor_mode 1
		.amdhsa_memory_ordered 1
		.amdhsa_forward_progress 1
		.amdhsa_inst_pref_size 0
		.amdhsa_round_robin_scheduling 0
		.amdhsa_exception_fp_ieee_invalid_op 0
		.amdhsa_exception_fp_denorm_src 0
		.amdhsa_exception_fp_ieee_div_zero 0
		.amdhsa_exception_fp_ieee_overflow 0
		.amdhsa_exception_fp_ieee_underflow 0
		.amdhsa_exception_fp_ieee_inexact 0
		.amdhsa_exception_int_div_zero 0
	.end_amdhsa_kernel
	.section	.text._ZN7rocprim17ROCPRIM_400000_NS6detail17trampoline_kernelINS0_14default_configENS1_25partition_config_selectorILNS1_17partition_subalgoE6EtNS0_10empty_typeEbEEZZNS1_14partition_implILS5_6ELb0ES3_mN6thrust23THRUST_200600_302600_NS6detail15normal_iteratorINSA_10device_ptrItEEEEPS6_SG_NS0_5tupleIJSF_S6_EEENSH_IJSG_SG_EEES6_PlJNSB_9not_fun_tINSB_10functional5actorINSM_9compositeIJNSM_27transparent_binary_operatorINSA_8equal_toIvEEEENSN_INSM_8argumentILj0EEEEENSM_5valueItEEEEEEEEEEEE10hipError_tPvRmT3_T4_T5_T6_T7_T9_mT8_P12ihipStream_tbDpT10_ENKUlT_T0_E_clISt17integral_constantIbLb0EES1K_EEDaS1F_S1G_EUlS1F_E_NS1_11comp_targetILNS1_3genE5ELNS1_11target_archE942ELNS1_3gpuE9ELNS1_3repE0EEENS1_30default_config_static_selectorELNS0_4arch9wavefront6targetE0EEEvT1_,"axG",@progbits,_ZN7rocprim17ROCPRIM_400000_NS6detail17trampoline_kernelINS0_14default_configENS1_25partition_config_selectorILNS1_17partition_subalgoE6EtNS0_10empty_typeEbEEZZNS1_14partition_implILS5_6ELb0ES3_mN6thrust23THRUST_200600_302600_NS6detail15normal_iteratorINSA_10device_ptrItEEEEPS6_SG_NS0_5tupleIJSF_S6_EEENSH_IJSG_SG_EEES6_PlJNSB_9not_fun_tINSB_10functional5actorINSM_9compositeIJNSM_27transparent_binary_operatorINSA_8equal_toIvEEEENSN_INSM_8argumentILj0EEEEENSM_5valueItEEEEEEEEEEEE10hipError_tPvRmT3_T4_T5_T6_T7_T9_mT8_P12ihipStream_tbDpT10_ENKUlT_T0_E_clISt17integral_constantIbLb0EES1K_EEDaS1F_S1G_EUlS1F_E_NS1_11comp_targetILNS1_3genE5ELNS1_11target_archE942ELNS1_3gpuE9ELNS1_3repE0EEENS1_30default_config_static_selectorELNS0_4arch9wavefront6targetE0EEEvT1_,comdat
.Lfunc_end147:
	.size	_ZN7rocprim17ROCPRIM_400000_NS6detail17trampoline_kernelINS0_14default_configENS1_25partition_config_selectorILNS1_17partition_subalgoE6EtNS0_10empty_typeEbEEZZNS1_14partition_implILS5_6ELb0ES3_mN6thrust23THRUST_200600_302600_NS6detail15normal_iteratorINSA_10device_ptrItEEEEPS6_SG_NS0_5tupleIJSF_S6_EEENSH_IJSG_SG_EEES6_PlJNSB_9not_fun_tINSB_10functional5actorINSM_9compositeIJNSM_27transparent_binary_operatorINSA_8equal_toIvEEEENSN_INSM_8argumentILj0EEEEENSM_5valueItEEEEEEEEEEEE10hipError_tPvRmT3_T4_T5_T6_T7_T9_mT8_P12ihipStream_tbDpT10_ENKUlT_T0_E_clISt17integral_constantIbLb0EES1K_EEDaS1F_S1G_EUlS1F_E_NS1_11comp_targetILNS1_3genE5ELNS1_11target_archE942ELNS1_3gpuE9ELNS1_3repE0EEENS1_30default_config_static_selectorELNS0_4arch9wavefront6targetE0EEEvT1_, .Lfunc_end147-_ZN7rocprim17ROCPRIM_400000_NS6detail17trampoline_kernelINS0_14default_configENS1_25partition_config_selectorILNS1_17partition_subalgoE6EtNS0_10empty_typeEbEEZZNS1_14partition_implILS5_6ELb0ES3_mN6thrust23THRUST_200600_302600_NS6detail15normal_iteratorINSA_10device_ptrItEEEEPS6_SG_NS0_5tupleIJSF_S6_EEENSH_IJSG_SG_EEES6_PlJNSB_9not_fun_tINSB_10functional5actorINSM_9compositeIJNSM_27transparent_binary_operatorINSA_8equal_toIvEEEENSN_INSM_8argumentILj0EEEEENSM_5valueItEEEEEEEEEEEE10hipError_tPvRmT3_T4_T5_T6_T7_T9_mT8_P12ihipStream_tbDpT10_ENKUlT_T0_E_clISt17integral_constantIbLb0EES1K_EEDaS1F_S1G_EUlS1F_E_NS1_11comp_targetILNS1_3genE5ELNS1_11target_archE942ELNS1_3gpuE9ELNS1_3repE0EEENS1_30default_config_static_selectorELNS0_4arch9wavefront6targetE0EEEvT1_
                                        ; -- End function
	.set _ZN7rocprim17ROCPRIM_400000_NS6detail17trampoline_kernelINS0_14default_configENS1_25partition_config_selectorILNS1_17partition_subalgoE6EtNS0_10empty_typeEbEEZZNS1_14partition_implILS5_6ELb0ES3_mN6thrust23THRUST_200600_302600_NS6detail15normal_iteratorINSA_10device_ptrItEEEEPS6_SG_NS0_5tupleIJSF_S6_EEENSH_IJSG_SG_EEES6_PlJNSB_9not_fun_tINSB_10functional5actorINSM_9compositeIJNSM_27transparent_binary_operatorINSA_8equal_toIvEEEENSN_INSM_8argumentILj0EEEEENSM_5valueItEEEEEEEEEEEE10hipError_tPvRmT3_T4_T5_T6_T7_T9_mT8_P12ihipStream_tbDpT10_ENKUlT_T0_E_clISt17integral_constantIbLb0EES1K_EEDaS1F_S1G_EUlS1F_E_NS1_11comp_targetILNS1_3genE5ELNS1_11target_archE942ELNS1_3gpuE9ELNS1_3repE0EEENS1_30default_config_static_selectorELNS0_4arch9wavefront6targetE0EEEvT1_.num_vgpr, 0
	.set _ZN7rocprim17ROCPRIM_400000_NS6detail17trampoline_kernelINS0_14default_configENS1_25partition_config_selectorILNS1_17partition_subalgoE6EtNS0_10empty_typeEbEEZZNS1_14partition_implILS5_6ELb0ES3_mN6thrust23THRUST_200600_302600_NS6detail15normal_iteratorINSA_10device_ptrItEEEEPS6_SG_NS0_5tupleIJSF_S6_EEENSH_IJSG_SG_EEES6_PlJNSB_9not_fun_tINSB_10functional5actorINSM_9compositeIJNSM_27transparent_binary_operatorINSA_8equal_toIvEEEENSN_INSM_8argumentILj0EEEEENSM_5valueItEEEEEEEEEEEE10hipError_tPvRmT3_T4_T5_T6_T7_T9_mT8_P12ihipStream_tbDpT10_ENKUlT_T0_E_clISt17integral_constantIbLb0EES1K_EEDaS1F_S1G_EUlS1F_E_NS1_11comp_targetILNS1_3genE5ELNS1_11target_archE942ELNS1_3gpuE9ELNS1_3repE0EEENS1_30default_config_static_selectorELNS0_4arch9wavefront6targetE0EEEvT1_.num_agpr, 0
	.set _ZN7rocprim17ROCPRIM_400000_NS6detail17trampoline_kernelINS0_14default_configENS1_25partition_config_selectorILNS1_17partition_subalgoE6EtNS0_10empty_typeEbEEZZNS1_14partition_implILS5_6ELb0ES3_mN6thrust23THRUST_200600_302600_NS6detail15normal_iteratorINSA_10device_ptrItEEEEPS6_SG_NS0_5tupleIJSF_S6_EEENSH_IJSG_SG_EEES6_PlJNSB_9not_fun_tINSB_10functional5actorINSM_9compositeIJNSM_27transparent_binary_operatorINSA_8equal_toIvEEEENSN_INSM_8argumentILj0EEEEENSM_5valueItEEEEEEEEEEEE10hipError_tPvRmT3_T4_T5_T6_T7_T9_mT8_P12ihipStream_tbDpT10_ENKUlT_T0_E_clISt17integral_constantIbLb0EES1K_EEDaS1F_S1G_EUlS1F_E_NS1_11comp_targetILNS1_3genE5ELNS1_11target_archE942ELNS1_3gpuE9ELNS1_3repE0EEENS1_30default_config_static_selectorELNS0_4arch9wavefront6targetE0EEEvT1_.numbered_sgpr, 0
	.set _ZN7rocprim17ROCPRIM_400000_NS6detail17trampoline_kernelINS0_14default_configENS1_25partition_config_selectorILNS1_17partition_subalgoE6EtNS0_10empty_typeEbEEZZNS1_14partition_implILS5_6ELb0ES3_mN6thrust23THRUST_200600_302600_NS6detail15normal_iteratorINSA_10device_ptrItEEEEPS6_SG_NS0_5tupleIJSF_S6_EEENSH_IJSG_SG_EEES6_PlJNSB_9not_fun_tINSB_10functional5actorINSM_9compositeIJNSM_27transparent_binary_operatorINSA_8equal_toIvEEEENSN_INSM_8argumentILj0EEEEENSM_5valueItEEEEEEEEEEEE10hipError_tPvRmT3_T4_T5_T6_T7_T9_mT8_P12ihipStream_tbDpT10_ENKUlT_T0_E_clISt17integral_constantIbLb0EES1K_EEDaS1F_S1G_EUlS1F_E_NS1_11comp_targetILNS1_3genE5ELNS1_11target_archE942ELNS1_3gpuE9ELNS1_3repE0EEENS1_30default_config_static_selectorELNS0_4arch9wavefront6targetE0EEEvT1_.num_named_barrier, 0
	.set _ZN7rocprim17ROCPRIM_400000_NS6detail17trampoline_kernelINS0_14default_configENS1_25partition_config_selectorILNS1_17partition_subalgoE6EtNS0_10empty_typeEbEEZZNS1_14partition_implILS5_6ELb0ES3_mN6thrust23THRUST_200600_302600_NS6detail15normal_iteratorINSA_10device_ptrItEEEEPS6_SG_NS0_5tupleIJSF_S6_EEENSH_IJSG_SG_EEES6_PlJNSB_9not_fun_tINSB_10functional5actorINSM_9compositeIJNSM_27transparent_binary_operatorINSA_8equal_toIvEEEENSN_INSM_8argumentILj0EEEEENSM_5valueItEEEEEEEEEEEE10hipError_tPvRmT3_T4_T5_T6_T7_T9_mT8_P12ihipStream_tbDpT10_ENKUlT_T0_E_clISt17integral_constantIbLb0EES1K_EEDaS1F_S1G_EUlS1F_E_NS1_11comp_targetILNS1_3genE5ELNS1_11target_archE942ELNS1_3gpuE9ELNS1_3repE0EEENS1_30default_config_static_selectorELNS0_4arch9wavefront6targetE0EEEvT1_.private_seg_size, 0
	.set _ZN7rocprim17ROCPRIM_400000_NS6detail17trampoline_kernelINS0_14default_configENS1_25partition_config_selectorILNS1_17partition_subalgoE6EtNS0_10empty_typeEbEEZZNS1_14partition_implILS5_6ELb0ES3_mN6thrust23THRUST_200600_302600_NS6detail15normal_iteratorINSA_10device_ptrItEEEEPS6_SG_NS0_5tupleIJSF_S6_EEENSH_IJSG_SG_EEES6_PlJNSB_9not_fun_tINSB_10functional5actorINSM_9compositeIJNSM_27transparent_binary_operatorINSA_8equal_toIvEEEENSN_INSM_8argumentILj0EEEEENSM_5valueItEEEEEEEEEEEE10hipError_tPvRmT3_T4_T5_T6_T7_T9_mT8_P12ihipStream_tbDpT10_ENKUlT_T0_E_clISt17integral_constantIbLb0EES1K_EEDaS1F_S1G_EUlS1F_E_NS1_11comp_targetILNS1_3genE5ELNS1_11target_archE942ELNS1_3gpuE9ELNS1_3repE0EEENS1_30default_config_static_selectorELNS0_4arch9wavefront6targetE0EEEvT1_.uses_vcc, 0
	.set _ZN7rocprim17ROCPRIM_400000_NS6detail17trampoline_kernelINS0_14default_configENS1_25partition_config_selectorILNS1_17partition_subalgoE6EtNS0_10empty_typeEbEEZZNS1_14partition_implILS5_6ELb0ES3_mN6thrust23THRUST_200600_302600_NS6detail15normal_iteratorINSA_10device_ptrItEEEEPS6_SG_NS0_5tupleIJSF_S6_EEENSH_IJSG_SG_EEES6_PlJNSB_9not_fun_tINSB_10functional5actorINSM_9compositeIJNSM_27transparent_binary_operatorINSA_8equal_toIvEEEENSN_INSM_8argumentILj0EEEEENSM_5valueItEEEEEEEEEEEE10hipError_tPvRmT3_T4_T5_T6_T7_T9_mT8_P12ihipStream_tbDpT10_ENKUlT_T0_E_clISt17integral_constantIbLb0EES1K_EEDaS1F_S1G_EUlS1F_E_NS1_11comp_targetILNS1_3genE5ELNS1_11target_archE942ELNS1_3gpuE9ELNS1_3repE0EEENS1_30default_config_static_selectorELNS0_4arch9wavefront6targetE0EEEvT1_.uses_flat_scratch, 0
	.set _ZN7rocprim17ROCPRIM_400000_NS6detail17trampoline_kernelINS0_14default_configENS1_25partition_config_selectorILNS1_17partition_subalgoE6EtNS0_10empty_typeEbEEZZNS1_14partition_implILS5_6ELb0ES3_mN6thrust23THRUST_200600_302600_NS6detail15normal_iteratorINSA_10device_ptrItEEEEPS6_SG_NS0_5tupleIJSF_S6_EEENSH_IJSG_SG_EEES6_PlJNSB_9not_fun_tINSB_10functional5actorINSM_9compositeIJNSM_27transparent_binary_operatorINSA_8equal_toIvEEEENSN_INSM_8argumentILj0EEEEENSM_5valueItEEEEEEEEEEEE10hipError_tPvRmT3_T4_T5_T6_T7_T9_mT8_P12ihipStream_tbDpT10_ENKUlT_T0_E_clISt17integral_constantIbLb0EES1K_EEDaS1F_S1G_EUlS1F_E_NS1_11comp_targetILNS1_3genE5ELNS1_11target_archE942ELNS1_3gpuE9ELNS1_3repE0EEENS1_30default_config_static_selectorELNS0_4arch9wavefront6targetE0EEEvT1_.has_dyn_sized_stack, 0
	.set _ZN7rocprim17ROCPRIM_400000_NS6detail17trampoline_kernelINS0_14default_configENS1_25partition_config_selectorILNS1_17partition_subalgoE6EtNS0_10empty_typeEbEEZZNS1_14partition_implILS5_6ELb0ES3_mN6thrust23THRUST_200600_302600_NS6detail15normal_iteratorINSA_10device_ptrItEEEEPS6_SG_NS0_5tupleIJSF_S6_EEENSH_IJSG_SG_EEES6_PlJNSB_9not_fun_tINSB_10functional5actorINSM_9compositeIJNSM_27transparent_binary_operatorINSA_8equal_toIvEEEENSN_INSM_8argumentILj0EEEEENSM_5valueItEEEEEEEEEEEE10hipError_tPvRmT3_T4_T5_T6_T7_T9_mT8_P12ihipStream_tbDpT10_ENKUlT_T0_E_clISt17integral_constantIbLb0EES1K_EEDaS1F_S1G_EUlS1F_E_NS1_11comp_targetILNS1_3genE5ELNS1_11target_archE942ELNS1_3gpuE9ELNS1_3repE0EEENS1_30default_config_static_selectorELNS0_4arch9wavefront6targetE0EEEvT1_.has_recursion, 0
	.set _ZN7rocprim17ROCPRIM_400000_NS6detail17trampoline_kernelINS0_14default_configENS1_25partition_config_selectorILNS1_17partition_subalgoE6EtNS0_10empty_typeEbEEZZNS1_14partition_implILS5_6ELb0ES3_mN6thrust23THRUST_200600_302600_NS6detail15normal_iteratorINSA_10device_ptrItEEEEPS6_SG_NS0_5tupleIJSF_S6_EEENSH_IJSG_SG_EEES6_PlJNSB_9not_fun_tINSB_10functional5actorINSM_9compositeIJNSM_27transparent_binary_operatorINSA_8equal_toIvEEEENSN_INSM_8argumentILj0EEEEENSM_5valueItEEEEEEEEEEEE10hipError_tPvRmT3_T4_T5_T6_T7_T9_mT8_P12ihipStream_tbDpT10_ENKUlT_T0_E_clISt17integral_constantIbLb0EES1K_EEDaS1F_S1G_EUlS1F_E_NS1_11comp_targetILNS1_3genE5ELNS1_11target_archE942ELNS1_3gpuE9ELNS1_3repE0EEENS1_30default_config_static_selectorELNS0_4arch9wavefront6targetE0EEEvT1_.has_indirect_call, 0
	.section	.AMDGPU.csdata,"",@progbits
; Kernel info:
; codeLenInByte = 0
; TotalNumSgprs: 0
; NumVgprs: 0
; ScratchSize: 0
; MemoryBound: 0
; FloatMode: 240
; IeeeMode: 1
; LDSByteSize: 0 bytes/workgroup (compile time only)
; SGPRBlocks: 0
; VGPRBlocks: 0
; NumSGPRsForWavesPerEU: 1
; NumVGPRsForWavesPerEU: 1
; Occupancy: 16
; WaveLimiterHint : 0
; COMPUTE_PGM_RSRC2:SCRATCH_EN: 0
; COMPUTE_PGM_RSRC2:USER_SGPR: 2
; COMPUTE_PGM_RSRC2:TRAP_HANDLER: 0
; COMPUTE_PGM_RSRC2:TGID_X_EN: 1
; COMPUTE_PGM_RSRC2:TGID_Y_EN: 0
; COMPUTE_PGM_RSRC2:TGID_Z_EN: 0
; COMPUTE_PGM_RSRC2:TIDIG_COMP_CNT: 0
	.section	.text._ZN7rocprim17ROCPRIM_400000_NS6detail17trampoline_kernelINS0_14default_configENS1_25partition_config_selectorILNS1_17partition_subalgoE6EtNS0_10empty_typeEbEEZZNS1_14partition_implILS5_6ELb0ES3_mN6thrust23THRUST_200600_302600_NS6detail15normal_iteratorINSA_10device_ptrItEEEEPS6_SG_NS0_5tupleIJSF_S6_EEENSH_IJSG_SG_EEES6_PlJNSB_9not_fun_tINSB_10functional5actorINSM_9compositeIJNSM_27transparent_binary_operatorINSA_8equal_toIvEEEENSN_INSM_8argumentILj0EEEEENSM_5valueItEEEEEEEEEEEE10hipError_tPvRmT3_T4_T5_T6_T7_T9_mT8_P12ihipStream_tbDpT10_ENKUlT_T0_E_clISt17integral_constantIbLb0EES1K_EEDaS1F_S1G_EUlS1F_E_NS1_11comp_targetILNS1_3genE4ELNS1_11target_archE910ELNS1_3gpuE8ELNS1_3repE0EEENS1_30default_config_static_selectorELNS0_4arch9wavefront6targetE0EEEvT1_,"axG",@progbits,_ZN7rocprim17ROCPRIM_400000_NS6detail17trampoline_kernelINS0_14default_configENS1_25partition_config_selectorILNS1_17partition_subalgoE6EtNS0_10empty_typeEbEEZZNS1_14partition_implILS5_6ELb0ES3_mN6thrust23THRUST_200600_302600_NS6detail15normal_iteratorINSA_10device_ptrItEEEEPS6_SG_NS0_5tupleIJSF_S6_EEENSH_IJSG_SG_EEES6_PlJNSB_9not_fun_tINSB_10functional5actorINSM_9compositeIJNSM_27transparent_binary_operatorINSA_8equal_toIvEEEENSN_INSM_8argumentILj0EEEEENSM_5valueItEEEEEEEEEEEE10hipError_tPvRmT3_T4_T5_T6_T7_T9_mT8_P12ihipStream_tbDpT10_ENKUlT_T0_E_clISt17integral_constantIbLb0EES1K_EEDaS1F_S1G_EUlS1F_E_NS1_11comp_targetILNS1_3genE4ELNS1_11target_archE910ELNS1_3gpuE8ELNS1_3repE0EEENS1_30default_config_static_selectorELNS0_4arch9wavefront6targetE0EEEvT1_,comdat
	.protected	_ZN7rocprim17ROCPRIM_400000_NS6detail17trampoline_kernelINS0_14default_configENS1_25partition_config_selectorILNS1_17partition_subalgoE6EtNS0_10empty_typeEbEEZZNS1_14partition_implILS5_6ELb0ES3_mN6thrust23THRUST_200600_302600_NS6detail15normal_iteratorINSA_10device_ptrItEEEEPS6_SG_NS0_5tupleIJSF_S6_EEENSH_IJSG_SG_EEES6_PlJNSB_9not_fun_tINSB_10functional5actorINSM_9compositeIJNSM_27transparent_binary_operatorINSA_8equal_toIvEEEENSN_INSM_8argumentILj0EEEEENSM_5valueItEEEEEEEEEEEE10hipError_tPvRmT3_T4_T5_T6_T7_T9_mT8_P12ihipStream_tbDpT10_ENKUlT_T0_E_clISt17integral_constantIbLb0EES1K_EEDaS1F_S1G_EUlS1F_E_NS1_11comp_targetILNS1_3genE4ELNS1_11target_archE910ELNS1_3gpuE8ELNS1_3repE0EEENS1_30default_config_static_selectorELNS0_4arch9wavefront6targetE0EEEvT1_ ; -- Begin function _ZN7rocprim17ROCPRIM_400000_NS6detail17trampoline_kernelINS0_14default_configENS1_25partition_config_selectorILNS1_17partition_subalgoE6EtNS0_10empty_typeEbEEZZNS1_14partition_implILS5_6ELb0ES3_mN6thrust23THRUST_200600_302600_NS6detail15normal_iteratorINSA_10device_ptrItEEEEPS6_SG_NS0_5tupleIJSF_S6_EEENSH_IJSG_SG_EEES6_PlJNSB_9not_fun_tINSB_10functional5actorINSM_9compositeIJNSM_27transparent_binary_operatorINSA_8equal_toIvEEEENSN_INSM_8argumentILj0EEEEENSM_5valueItEEEEEEEEEEEE10hipError_tPvRmT3_T4_T5_T6_T7_T9_mT8_P12ihipStream_tbDpT10_ENKUlT_T0_E_clISt17integral_constantIbLb0EES1K_EEDaS1F_S1G_EUlS1F_E_NS1_11comp_targetILNS1_3genE4ELNS1_11target_archE910ELNS1_3gpuE8ELNS1_3repE0EEENS1_30default_config_static_selectorELNS0_4arch9wavefront6targetE0EEEvT1_
	.globl	_ZN7rocprim17ROCPRIM_400000_NS6detail17trampoline_kernelINS0_14default_configENS1_25partition_config_selectorILNS1_17partition_subalgoE6EtNS0_10empty_typeEbEEZZNS1_14partition_implILS5_6ELb0ES3_mN6thrust23THRUST_200600_302600_NS6detail15normal_iteratorINSA_10device_ptrItEEEEPS6_SG_NS0_5tupleIJSF_S6_EEENSH_IJSG_SG_EEES6_PlJNSB_9not_fun_tINSB_10functional5actorINSM_9compositeIJNSM_27transparent_binary_operatorINSA_8equal_toIvEEEENSN_INSM_8argumentILj0EEEEENSM_5valueItEEEEEEEEEEEE10hipError_tPvRmT3_T4_T5_T6_T7_T9_mT8_P12ihipStream_tbDpT10_ENKUlT_T0_E_clISt17integral_constantIbLb0EES1K_EEDaS1F_S1G_EUlS1F_E_NS1_11comp_targetILNS1_3genE4ELNS1_11target_archE910ELNS1_3gpuE8ELNS1_3repE0EEENS1_30default_config_static_selectorELNS0_4arch9wavefront6targetE0EEEvT1_
	.p2align	8
	.type	_ZN7rocprim17ROCPRIM_400000_NS6detail17trampoline_kernelINS0_14default_configENS1_25partition_config_selectorILNS1_17partition_subalgoE6EtNS0_10empty_typeEbEEZZNS1_14partition_implILS5_6ELb0ES3_mN6thrust23THRUST_200600_302600_NS6detail15normal_iteratorINSA_10device_ptrItEEEEPS6_SG_NS0_5tupleIJSF_S6_EEENSH_IJSG_SG_EEES6_PlJNSB_9not_fun_tINSB_10functional5actorINSM_9compositeIJNSM_27transparent_binary_operatorINSA_8equal_toIvEEEENSN_INSM_8argumentILj0EEEEENSM_5valueItEEEEEEEEEEEE10hipError_tPvRmT3_T4_T5_T6_T7_T9_mT8_P12ihipStream_tbDpT10_ENKUlT_T0_E_clISt17integral_constantIbLb0EES1K_EEDaS1F_S1G_EUlS1F_E_NS1_11comp_targetILNS1_3genE4ELNS1_11target_archE910ELNS1_3gpuE8ELNS1_3repE0EEENS1_30default_config_static_selectorELNS0_4arch9wavefront6targetE0EEEvT1_,@function
_ZN7rocprim17ROCPRIM_400000_NS6detail17trampoline_kernelINS0_14default_configENS1_25partition_config_selectorILNS1_17partition_subalgoE6EtNS0_10empty_typeEbEEZZNS1_14partition_implILS5_6ELb0ES3_mN6thrust23THRUST_200600_302600_NS6detail15normal_iteratorINSA_10device_ptrItEEEEPS6_SG_NS0_5tupleIJSF_S6_EEENSH_IJSG_SG_EEES6_PlJNSB_9not_fun_tINSB_10functional5actorINSM_9compositeIJNSM_27transparent_binary_operatorINSA_8equal_toIvEEEENSN_INSM_8argumentILj0EEEEENSM_5valueItEEEEEEEEEEEE10hipError_tPvRmT3_T4_T5_T6_T7_T9_mT8_P12ihipStream_tbDpT10_ENKUlT_T0_E_clISt17integral_constantIbLb0EES1K_EEDaS1F_S1G_EUlS1F_E_NS1_11comp_targetILNS1_3genE4ELNS1_11target_archE910ELNS1_3gpuE8ELNS1_3repE0EEENS1_30default_config_static_selectorELNS0_4arch9wavefront6targetE0EEEvT1_: ; @_ZN7rocprim17ROCPRIM_400000_NS6detail17trampoline_kernelINS0_14default_configENS1_25partition_config_selectorILNS1_17partition_subalgoE6EtNS0_10empty_typeEbEEZZNS1_14partition_implILS5_6ELb0ES3_mN6thrust23THRUST_200600_302600_NS6detail15normal_iteratorINSA_10device_ptrItEEEEPS6_SG_NS0_5tupleIJSF_S6_EEENSH_IJSG_SG_EEES6_PlJNSB_9not_fun_tINSB_10functional5actorINSM_9compositeIJNSM_27transparent_binary_operatorINSA_8equal_toIvEEEENSN_INSM_8argumentILj0EEEEENSM_5valueItEEEEEEEEEEEE10hipError_tPvRmT3_T4_T5_T6_T7_T9_mT8_P12ihipStream_tbDpT10_ENKUlT_T0_E_clISt17integral_constantIbLb0EES1K_EEDaS1F_S1G_EUlS1F_E_NS1_11comp_targetILNS1_3genE4ELNS1_11target_archE910ELNS1_3gpuE8ELNS1_3repE0EEENS1_30default_config_static_selectorELNS0_4arch9wavefront6targetE0EEEvT1_
; %bb.0:
	.section	.rodata,"a",@progbits
	.p2align	6, 0x0
	.amdhsa_kernel _ZN7rocprim17ROCPRIM_400000_NS6detail17trampoline_kernelINS0_14default_configENS1_25partition_config_selectorILNS1_17partition_subalgoE6EtNS0_10empty_typeEbEEZZNS1_14partition_implILS5_6ELb0ES3_mN6thrust23THRUST_200600_302600_NS6detail15normal_iteratorINSA_10device_ptrItEEEEPS6_SG_NS0_5tupleIJSF_S6_EEENSH_IJSG_SG_EEES6_PlJNSB_9not_fun_tINSB_10functional5actorINSM_9compositeIJNSM_27transparent_binary_operatorINSA_8equal_toIvEEEENSN_INSM_8argumentILj0EEEEENSM_5valueItEEEEEEEEEEEE10hipError_tPvRmT3_T4_T5_T6_T7_T9_mT8_P12ihipStream_tbDpT10_ENKUlT_T0_E_clISt17integral_constantIbLb0EES1K_EEDaS1F_S1G_EUlS1F_E_NS1_11comp_targetILNS1_3genE4ELNS1_11target_archE910ELNS1_3gpuE8ELNS1_3repE0EEENS1_30default_config_static_selectorELNS0_4arch9wavefront6targetE0EEEvT1_
		.amdhsa_group_segment_fixed_size 0
		.amdhsa_private_segment_fixed_size 0
		.amdhsa_kernarg_size 120
		.amdhsa_user_sgpr_count 2
		.amdhsa_user_sgpr_dispatch_ptr 0
		.amdhsa_user_sgpr_queue_ptr 0
		.amdhsa_user_sgpr_kernarg_segment_ptr 1
		.amdhsa_user_sgpr_dispatch_id 0
		.amdhsa_user_sgpr_private_segment_size 0
		.amdhsa_wavefront_size32 1
		.amdhsa_uses_dynamic_stack 0
		.amdhsa_enable_private_segment 0
		.amdhsa_system_sgpr_workgroup_id_x 1
		.amdhsa_system_sgpr_workgroup_id_y 0
		.amdhsa_system_sgpr_workgroup_id_z 0
		.amdhsa_system_sgpr_workgroup_info 0
		.amdhsa_system_vgpr_workitem_id 0
		.amdhsa_next_free_vgpr 1
		.amdhsa_next_free_sgpr 1
		.amdhsa_reserve_vcc 0
		.amdhsa_float_round_mode_32 0
		.amdhsa_float_round_mode_16_64 0
		.amdhsa_float_denorm_mode_32 3
		.amdhsa_float_denorm_mode_16_64 3
		.amdhsa_fp16_overflow 0
		.amdhsa_workgroup_processor_mode 1
		.amdhsa_memory_ordered 1
		.amdhsa_forward_progress 1
		.amdhsa_inst_pref_size 0
		.amdhsa_round_robin_scheduling 0
		.amdhsa_exception_fp_ieee_invalid_op 0
		.amdhsa_exception_fp_denorm_src 0
		.amdhsa_exception_fp_ieee_div_zero 0
		.amdhsa_exception_fp_ieee_overflow 0
		.amdhsa_exception_fp_ieee_underflow 0
		.amdhsa_exception_fp_ieee_inexact 0
		.amdhsa_exception_int_div_zero 0
	.end_amdhsa_kernel
	.section	.text._ZN7rocprim17ROCPRIM_400000_NS6detail17trampoline_kernelINS0_14default_configENS1_25partition_config_selectorILNS1_17partition_subalgoE6EtNS0_10empty_typeEbEEZZNS1_14partition_implILS5_6ELb0ES3_mN6thrust23THRUST_200600_302600_NS6detail15normal_iteratorINSA_10device_ptrItEEEEPS6_SG_NS0_5tupleIJSF_S6_EEENSH_IJSG_SG_EEES6_PlJNSB_9not_fun_tINSB_10functional5actorINSM_9compositeIJNSM_27transparent_binary_operatorINSA_8equal_toIvEEEENSN_INSM_8argumentILj0EEEEENSM_5valueItEEEEEEEEEEEE10hipError_tPvRmT3_T4_T5_T6_T7_T9_mT8_P12ihipStream_tbDpT10_ENKUlT_T0_E_clISt17integral_constantIbLb0EES1K_EEDaS1F_S1G_EUlS1F_E_NS1_11comp_targetILNS1_3genE4ELNS1_11target_archE910ELNS1_3gpuE8ELNS1_3repE0EEENS1_30default_config_static_selectorELNS0_4arch9wavefront6targetE0EEEvT1_,"axG",@progbits,_ZN7rocprim17ROCPRIM_400000_NS6detail17trampoline_kernelINS0_14default_configENS1_25partition_config_selectorILNS1_17partition_subalgoE6EtNS0_10empty_typeEbEEZZNS1_14partition_implILS5_6ELb0ES3_mN6thrust23THRUST_200600_302600_NS6detail15normal_iteratorINSA_10device_ptrItEEEEPS6_SG_NS0_5tupleIJSF_S6_EEENSH_IJSG_SG_EEES6_PlJNSB_9not_fun_tINSB_10functional5actorINSM_9compositeIJNSM_27transparent_binary_operatorINSA_8equal_toIvEEEENSN_INSM_8argumentILj0EEEEENSM_5valueItEEEEEEEEEEEE10hipError_tPvRmT3_T4_T5_T6_T7_T9_mT8_P12ihipStream_tbDpT10_ENKUlT_T0_E_clISt17integral_constantIbLb0EES1K_EEDaS1F_S1G_EUlS1F_E_NS1_11comp_targetILNS1_3genE4ELNS1_11target_archE910ELNS1_3gpuE8ELNS1_3repE0EEENS1_30default_config_static_selectorELNS0_4arch9wavefront6targetE0EEEvT1_,comdat
.Lfunc_end148:
	.size	_ZN7rocprim17ROCPRIM_400000_NS6detail17trampoline_kernelINS0_14default_configENS1_25partition_config_selectorILNS1_17partition_subalgoE6EtNS0_10empty_typeEbEEZZNS1_14partition_implILS5_6ELb0ES3_mN6thrust23THRUST_200600_302600_NS6detail15normal_iteratorINSA_10device_ptrItEEEEPS6_SG_NS0_5tupleIJSF_S6_EEENSH_IJSG_SG_EEES6_PlJNSB_9not_fun_tINSB_10functional5actorINSM_9compositeIJNSM_27transparent_binary_operatorINSA_8equal_toIvEEEENSN_INSM_8argumentILj0EEEEENSM_5valueItEEEEEEEEEEEE10hipError_tPvRmT3_T4_T5_T6_T7_T9_mT8_P12ihipStream_tbDpT10_ENKUlT_T0_E_clISt17integral_constantIbLb0EES1K_EEDaS1F_S1G_EUlS1F_E_NS1_11comp_targetILNS1_3genE4ELNS1_11target_archE910ELNS1_3gpuE8ELNS1_3repE0EEENS1_30default_config_static_selectorELNS0_4arch9wavefront6targetE0EEEvT1_, .Lfunc_end148-_ZN7rocprim17ROCPRIM_400000_NS6detail17trampoline_kernelINS0_14default_configENS1_25partition_config_selectorILNS1_17partition_subalgoE6EtNS0_10empty_typeEbEEZZNS1_14partition_implILS5_6ELb0ES3_mN6thrust23THRUST_200600_302600_NS6detail15normal_iteratorINSA_10device_ptrItEEEEPS6_SG_NS0_5tupleIJSF_S6_EEENSH_IJSG_SG_EEES6_PlJNSB_9not_fun_tINSB_10functional5actorINSM_9compositeIJNSM_27transparent_binary_operatorINSA_8equal_toIvEEEENSN_INSM_8argumentILj0EEEEENSM_5valueItEEEEEEEEEEEE10hipError_tPvRmT3_T4_T5_T6_T7_T9_mT8_P12ihipStream_tbDpT10_ENKUlT_T0_E_clISt17integral_constantIbLb0EES1K_EEDaS1F_S1G_EUlS1F_E_NS1_11comp_targetILNS1_3genE4ELNS1_11target_archE910ELNS1_3gpuE8ELNS1_3repE0EEENS1_30default_config_static_selectorELNS0_4arch9wavefront6targetE0EEEvT1_
                                        ; -- End function
	.set _ZN7rocprim17ROCPRIM_400000_NS6detail17trampoline_kernelINS0_14default_configENS1_25partition_config_selectorILNS1_17partition_subalgoE6EtNS0_10empty_typeEbEEZZNS1_14partition_implILS5_6ELb0ES3_mN6thrust23THRUST_200600_302600_NS6detail15normal_iteratorINSA_10device_ptrItEEEEPS6_SG_NS0_5tupleIJSF_S6_EEENSH_IJSG_SG_EEES6_PlJNSB_9not_fun_tINSB_10functional5actorINSM_9compositeIJNSM_27transparent_binary_operatorINSA_8equal_toIvEEEENSN_INSM_8argumentILj0EEEEENSM_5valueItEEEEEEEEEEEE10hipError_tPvRmT3_T4_T5_T6_T7_T9_mT8_P12ihipStream_tbDpT10_ENKUlT_T0_E_clISt17integral_constantIbLb0EES1K_EEDaS1F_S1G_EUlS1F_E_NS1_11comp_targetILNS1_3genE4ELNS1_11target_archE910ELNS1_3gpuE8ELNS1_3repE0EEENS1_30default_config_static_selectorELNS0_4arch9wavefront6targetE0EEEvT1_.num_vgpr, 0
	.set _ZN7rocprim17ROCPRIM_400000_NS6detail17trampoline_kernelINS0_14default_configENS1_25partition_config_selectorILNS1_17partition_subalgoE6EtNS0_10empty_typeEbEEZZNS1_14partition_implILS5_6ELb0ES3_mN6thrust23THRUST_200600_302600_NS6detail15normal_iteratorINSA_10device_ptrItEEEEPS6_SG_NS0_5tupleIJSF_S6_EEENSH_IJSG_SG_EEES6_PlJNSB_9not_fun_tINSB_10functional5actorINSM_9compositeIJNSM_27transparent_binary_operatorINSA_8equal_toIvEEEENSN_INSM_8argumentILj0EEEEENSM_5valueItEEEEEEEEEEEE10hipError_tPvRmT3_T4_T5_T6_T7_T9_mT8_P12ihipStream_tbDpT10_ENKUlT_T0_E_clISt17integral_constantIbLb0EES1K_EEDaS1F_S1G_EUlS1F_E_NS1_11comp_targetILNS1_3genE4ELNS1_11target_archE910ELNS1_3gpuE8ELNS1_3repE0EEENS1_30default_config_static_selectorELNS0_4arch9wavefront6targetE0EEEvT1_.num_agpr, 0
	.set _ZN7rocprim17ROCPRIM_400000_NS6detail17trampoline_kernelINS0_14default_configENS1_25partition_config_selectorILNS1_17partition_subalgoE6EtNS0_10empty_typeEbEEZZNS1_14partition_implILS5_6ELb0ES3_mN6thrust23THRUST_200600_302600_NS6detail15normal_iteratorINSA_10device_ptrItEEEEPS6_SG_NS0_5tupleIJSF_S6_EEENSH_IJSG_SG_EEES6_PlJNSB_9not_fun_tINSB_10functional5actorINSM_9compositeIJNSM_27transparent_binary_operatorINSA_8equal_toIvEEEENSN_INSM_8argumentILj0EEEEENSM_5valueItEEEEEEEEEEEE10hipError_tPvRmT3_T4_T5_T6_T7_T9_mT8_P12ihipStream_tbDpT10_ENKUlT_T0_E_clISt17integral_constantIbLb0EES1K_EEDaS1F_S1G_EUlS1F_E_NS1_11comp_targetILNS1_3genE4ELNS1_11target_archE910ELNS1_3gpuE8ELNS1_3repE0EEENS1_30default_config_static_selectorELNS0_4arch9wavefront6targetE0EEEvT1_.numbered_sgpr, 0
	.set _ZN7rocprim17ROCPRIM_400000_NS6detail17trampoline_kernelINS0_14default_configENS1_25partition_config_selectorILNS1_17partition_subalgoE6EtNS0_10empty_typeEbEEZZNS1_14partition_implILS5_6ELb0ES3_mN6thrust23THRUST_200600_302600_NS6detail15normal_iteratorINSA_10device_ptrItEEEEPS6_SG_NS0_5tupleIJSF_S6_EEENSH_IJSG_SG_EEES6_PlJNSB_9not_fun_tINSB_10functional5actorINSM_9compositeIJNSM_27transparent_binary_operatorINSA_8equal_toIvEEEENSN_INSM_8argumentILj0EEEEENSM_5valueItEEEEEEEEEEEE10hipError_tPvRmT3_T4_T5_T6_T7_T9_mT8_P12ihipStream_tbDpT10_ENKUlT_T0_E_clISt17integral_constantIbLb0EES1K_EEDaS1F_S1G_EUlS1F_E_NS1_11comp_targetILNS1_3genE4ELNS1_11target_archE910ELNS1_3gpuE8ELNS1_3repE0EEENS1_30default_config_static_selectorELNS0_4arch9wavefront6targetE0EEEvT1_.num_named_barrier, 0
	.set _ZN7rocprim17ROCPRIM_400000_NS6detail17trampoline_kernelINS0_14default_configENS1_25partition_config_selectorILNS1_17partition_subalgoE6EtNS0_10empty_typeEbEEZZNS1_14partition_implILS5_6ELb0ES3_mN6thrust23THRUST_200600_302600_NS6detail15normal_iteratorINSA_10device_ptrItEEEEPS6_SG_NS0_5tupleIJSF_S6_EEENSH_IJSG_SG_EEES6_PlJNSB_9not_fun_tINSB_10functional5actorINSM_9compositeIJNSM_27transparent_binary_operatorINSA_8equal_toIvEEEENSN_INSM_8argumentILj0EEEEENSM_5valueItEEEEEEEEEEEE10hipError_tPvRmT3_T4_T5_T6_T7_T9_mT8_P12ihipStream_tbDpT10_ENKUlT_T0_E_clISt17integral_constantIbLb0EES1K_EEDaS1F_S1G_EUlS1F_E_NS1_11comp_targetILNS1_3genE4ELNS1_11target_archE910ELNS1_3gpuE8ELNS1_3repE0EEENS1_30default_config_static_selectorELNS0_4arch9wavefront6targetE0EEEvT1_.private_seg_size, 0
	.set _ZN7rocprim17ROCPRIM_400000_NS6detail17trampoline_kernelINS0_14default_configENS1_25partition_config_selectorILNS1_17partition_subalgoE6EtNS0_10empty_typeEbEEZZNS1_14partition_implILS5_6ELb0ES3_mN6thrust23THRUST_200600_302600_NS6detail15normal_iteratorINSA_10device_ptrItEEEEPS6_SG_NS0_5tupleIJSF_S6_EEENSH_IJSG_SG_EEES6_PlJNSB_9not_fun_tINSB_10functional5actorINSM_9compositeIJNSM_27transparent_binary_operatorINSA_8equal_toIvEEEENSN_INSM_8argumentILj0EEEEENSM_5valueItEEEEEEEEEEEE10hipError_tPvRmT3_T4_T5_T6_T7_T9_mT8_P12ihipStream_tbDpT10_ENKUlT_T0_E_clISt17integral_constantIbLb0EES1K_EEDaS1F_S1G_EUlS1F_E_NS1_11comp_targetILNS1_3genE4ELNS1_11target_archE910ELNS1_3gpuE8ELNS1_3repE0EEENS1_30default_config_static_selectorELNS0_4arch9wavefront6targetE0EEEvT1_.uses_vcc, 0
	.set _ZN7rocprim17ROCPRIM_400000_NS6detail17trampoline_kernelINS0_14default_configENS1_25partition_config_selectorILNS1_17partition_subalgoE6EtNS0_10empty_typeEbEEZZNS1_14partition_implILS5_6ELb0ES3_mN6thrust23THRUST_200600_302600_NS6detail15normal_iteratorINSA_10device_ptrItEEEEPS6_SG_NS0_5tupleIJSF_S6_EEENSH_IJSG_SG_EEES6_PlJNSB_9not_fun_tINSB_10functional5actorINSM_9compositeIJNSM_27transparent_binary_operatorINSA_8equal_toIvEEEENSN_INSM_8argumentILj0EEEEENSM_5valueItEEEEEEEEEEEE10hipError_tPvRmT3_T4_T5_T6_T7_T9_mT8_P12ihipStream_tbDpT10_ENKUlT_T0_E_clISt17integral_constantIbLb0EES1K_EEDaS1F_S1G_EUlS1F_E_NS1_11comp_targetILNS1_3genE4ELNS1_11target_archE910ELNS1_3gpuE8ELNS1_3repE0EEENS1_30default_config_static_selectorELNS0_4arch9wavefront6targetE0EEEvT1_.uses_flat_scratch, 0
	.set _ZN7rocprim17ROCPRIM_400000_NS6detail17trampoline_kernelINS0_14default_configENS1_25partition_config_selectorILNS1_17partition_subalgoE6EtNS0_10empty_typeEbEEZZNS1_14partition_implILS5_6ELb0ES3_mN6thrust23THRUST_200600_302600_NS6detail15normal_iteratorINSA_10device_ptrItEEEEPS6_SG_NS0_5tupleIJSF_S6_EEENSH_IJSG_SG_EEES6_PlJNSB_9not_fun_tINSB_10functional5actorINSM_9compositeIJNSM_27transparent_binary_operatorINSA_8equal_toIvEEEENSN_INSM_8argumentILj0EEEEENSM_5valueItEEEEEEEEEEEE10hipError_tPvRmT3_T4_T5_T6_T7_T9_mT8_P12ihipStream_tbDpT10_ENKUlT_T0_E_clISt17integral_constantIbLb0EES1K_EEDaS1F_S1G_EUlS1F_E_NS1_11comp_targetILNS1_3genE4ELNS1_11target_archE910ELNS1_3gpuE8ELNS1_3repE0EEENS1_30default_config_static_selectorELNS0_4arch9wavefront6targetE0EEEvT1_.has_dyn_sized_stack, 0
	.set _ZN7rocprim17ROCPRIM_400000_NS6detail17trampoline_kernelINS0_14default_configENS1_25partition_config_selectorILNS1_17partition_subalgoE6EtNS0_10empty_typeEbEEZZNS1_14partition_implILS5_6ELb0ES3_mN6thrust23THRUST_200600_302600_NS6detail15normal_iteratorINSA_10device_ptrItEEEEPS6_SG_NS0_5tupleIJSF_S6_EEENSH_IJSG_SG_EEES6_PlJNSB_9not_fun_tINSB_10functional5actorINSM_9compositeIJNSM_27transparent_binary_operatorINSA_8equal_toIvEEEENSN_INSM_8argumentILj0EEEEENSM_5valueItEEEEEEEEEEEE10hipError_tPvRmT3_T4_T5_T6_T7_T9_mT8_P12ihipStream_tbDpT10_ENKUlT_T0_E_clISt17integral_constantIbLb0EES1K_EEDaS1F_S1G_EUlS1F_E_NS1_11comp_targetILNS1_3genE4ELNS1_11target_archE910ELNS1_3gpuE8ELNS1_3repE0EEENS1_30default_config_static_selectorELNS0_4arch9wavefront6targetE0EEEvT1_.has_recursion, 0
	.set _ZN7rocprim17ROCPRIM_400000_NS6detail17trampoline_kernelINS0_14default_configENS1_25partition_config_selectorILNS1_17partition_subalgoE6EtNS0_10empty_typeEbEEZZNS1_14partition_implILS5_6ELb0ES3_mN6thrust23THRUST_200600_302600_NS6detail15normal_iteratorINSA_10device_ptrItEEEEPS6_SG_NS0_5tupleIJSF_S6_EEENSH_IJSG_SG_EEES6_PlJNSB_9not_fun_tINSB_10functional5actorINSM_9compositeIJNSM_27transparent_binary_operatorINSA_8equal_toIvEEEENSN_INSM_8argumentILj0EEEEENSM_5valueItEEEEEEEEEEEE10hipError_tPvRmT3_T4_T5_T6_T7_T9_mT8_P12ihipStream_tbDpT10_ENKUlT_T0_E_clISt17integral_constantIbLb0EES1K_EEDaS1F_S1G_EUlS1F_E_NS1_11comp_targetILNS1_3genE4ELNS1_11target_archE910ELNS1_3gpuE8ELNS1_3repE0EEENS1_30default_config_static_selectorELNS0_4arch9wavefront6targetE0EEEvT1_.has_indirect_call, 0
	.section	.AMDGPU.csdata,"",@progbits
; Kernel info:
; codeLenInByte = 0
; TotalNumSgprs: 0
; NumVgprs: 0
; ScratchSize: 0
; MemoryBound: 0
; FloatMode: 240
; IeeeMode: 1
; LDSByteSize: 0 bytes/workgroup (compile time only)
; SGPRBlocks: 0
; VGPRBlocks: 0
; NumSGPRsForWavesPerEU: 1
; NumVGPRsForWavesPerEU: 1
; Occupancy: 16
; WaveLimiterHint : 0
; COMPUTE_PGM_RSRC2:SCRATCH_EN: 0
; COMPUTE_PGM_RSRC2:USER_SGPR: 2
; COMPUTE_PGM_RSRC2:TRAP_HANDLER: 0
; COMPUTE_PGM_RSRC2:TGID_X_EN: 1
; COMPUTE_PGM_RSRC2:TGID_Y_EN: 0
; COMPUTE_PGM_RSRC2:TGID_Z_EN: 0
; COMPUTE_PGM_RSRC2:TIDIG_COMP_CNT: 0
	.section	.text._ZN7rocprim17ROCPRIM_400000_NS6detail17trampoline_kernelINS0_14default_configENS1_25partition_config_selectorILNS1_17partition_subalgoE6EtNS0_10empty_typeEbEEZZNS1_14partition_implILS5_6ELb0ES3_mN6thrust23THRUST_200600_302600_NS6detail15normal_iteratorINSA_10device_ptrItEEEEPS6_SG_NS0_5tupleIJSF_S6_EEENSH_IJSG_SG_EEES6_PlJNSB_9not_fun_tINSB_10functional5actorINSM_9compositeIJNSM_27transparent_binary_operatorINSA_8equal_toIvEEEENSN_INSM_8argumentILj0EEEEENSM_5valueItEEEEEEEEEEEE10hipError_tPvRmT3_T4_T5_T6_T7_T9_mT8_P12ihipStream_tbDpT10_ENKUlT_T0_E_clISt17integral_constantIbLb0EES1K_EEDaS1F_S1G_EUlS1F_E_NS1_11comp_targetILNS1_3genE3ELNS1_11target_archE908ELNS1_3gpuE7ELNS1_3repE0EEENS1_30default_config_static_selectorELNS0_4arch9wavefront6targetE0EEEvT1_,"axG",@progbits,_ZN7rocprim17ROCPRIM_400000_NS6detail17trampoline_kernelINS0_14default_configENS1_25partition_config_selectorILNS1_17partition_subalgoE6EtNS0_10empty_typeEbEEZZNS1_14partition_implILS5_6ELb0ES3_mN6thrust23THRUST_200600_302600_NS6detail15normal_iteratorINSA_10device_ptrItEEEEPS6_SG_NS0_5tupleIJSF_S6_EEENSH_IJSG_SG_EEES6_PlJNSB_9not_fun_tINSB_10functional5actorINSM_9compositeIJNSM_27transparent_binary_operatorINSA_8equal_toIvEEEENSN_INSM_8argumentILj0EEEEENSM_5valueItEEEEEEEEEEEE10hipError_tPvRmT3_T4_T5_T6_T7_T9_mT8_P12ihipStream_tbDpT10_ENKUlT_T0_E_clISt17integral_constantIbLb0EES1K_EEDaS1F_S1G_EUlS1F_E_NS1_11comp_targetILNS1_3genE3ELNS1_11target_archE908ELNS1_3gpuE7ELNS1_3repE0EEENS1_30default_config_static_selectorELNS0_4arch9wavefront6targetE0EEEvT1_,comdat
	.protected	_ZN7rocprim17ROCPRIM_400000_NS6detail17trampoline_kernelINS0_14default_configENS1_25partition_config_selectorILNS1_17partition_subalgoE6EtNS0_10empty_typeEbEEZZNS1_14partition_implILS5_6ELb0ES3_mN6thrust23THRUST_200600_302600_NS6detail15normal_iteratorINSA_10device_ptrItEEEEPS6_SG_NS0_5tupleIJSF_S6_EEENSH_IJSG_SG_EEES6_PlJNSB_9not_fun_tINSB_10functional5actorINSM_9compositeIJNSM_27transparent_binary_operatorINSA_8equal_toIvEEEENSN_INSM_8argumentILj0EEEEENSM_5valueItEEEEEEEEEEEE10hipError_tPvRmT3_T4_T5_T6_T7_T9_mT8_P12ihipStream_tbDpT10_ENKUlT_T0_E_clISt17integral_constantIbLb0EES1K_EEDaS1F_S1G_EUlS1F_E_NS1_11comp_targetILNS1_3genE3ELNS1_11target_archE908ELNS1_3gpuE7ELNS1_3repE0EEENS1_30default_config_static_selectorELNS0_4arch9wavefront6targetE0EEEvT1_ ; -- Begin function _ZN7rocprim17ROCPRIM_400000_NS6detail17trampoline_kernelINS0_14default_configENS1_25partition_config_selectorILNS1_17partition_subalgoE6EtNS0_10empty_typeEbEEZZNS1_14partition_implILS5_6ELb0ES3_mN6thrust23THRUST_200600_302600_NS6detail15normal_iteratorINSA_10device_ptrItEEEEPS6_SG_NS0_5tupleIJSF_S6_EEENSH_IJSG_SG_EEES6_PlJNSB_9not_fun_tINSB_10functional5actorINSM_9compositeIJNSM_27transparent_binary_operatorINSA_8equal_toIvEEEENSN_INSM_8argumentILj0EEEEENSM_5valueItEEEEEEEEEEEE10hipError_tPvRmT3_T4_T5_T6_T7_T9_mT8_P12ihipStream_tbDpT10_ENKUlT_T0_E_clISt17integral_constantIbLb0EES1K_EEDaS1F_S1G_EUlS1F_E_NS1_11comp_targetILNS1_3genE3ELNS1_11target_archE908ELNS1_3gpuE7ELNS1_3repE0EEENS1_30default_config_static_selectorELNS0_4arch9wavefront6targetE0EEEvT1_
	.globl	_ZN7rocprim17ROCPRIM_400000_NS6detail17trampoline_kernelINS0_14default_configENS1_25partition_config_selectorILNS1_17partition_subalgoE6EtNS0_10empty_typeEbEEZZNS1_14partition_implILS5_6ELb0ES3_mN6thrust23THRUST_200600_302600_NS6detail15normal_iteratorINSA_10device_ptrItEEEEPS6_SG_NS0_5tupleIJSF_S6_EEENSH_IJSG_SG_EEES6_PlJNSB_9not_fun_tINSB_10functional5actorINSM_9compositeIJNSM_27transparent_binary_operatorINSA_8equal_toIvEEEENSN_INSM_8argumentILj0EEEEENSM_5valueItEEEEEEEEEEEE10hipError_tPvRmT3_T4_T5_T6_T7_T9_mT8_P12ihipStream_tbDpT10_ENKUlT_T0_E_clISt17integral_constantIbLb0EES1K_EEDaS1F_S1G_EUlS1F_E_NS1_11comp_targetILNS1_3genE3ELNS1_11target_archE908ELNS1_3gpuE7ELNS1_3repE0EEENS1_30default_config_static_selectorELNS0_4arch9wavefront6targetE0EEEvT1_
	.p2align	8
	.type	_ZN7rocprim17ROCPRIM_400000_NS6detail17trampoline_kernelINS0_14default_configENS1_25partition_config_selectorILNS1_17partition_subalgoE6EtNS0_10empty_typeEbEEZZNS1_14partition_implILS5_6ELb0ES3_mN6thrust23THRUST_200600_302600_NS6detail15normal_iteratorINSA_10device_ptrItEEEEPS6_SG_NS0_5tupleIJSF_S6_EEENSH_IJSG_SG_EEES6_PlJNSB_9not_fun_tINSB_10functional5actorINSM_9compositeIJNSM_27transparent_binary_operatorINSA_8equal_toIvEEEENSN_INSM_8argumentILj0EEEEENSM_5valueItEEEEEEEEEEEE10hipError_tPvRmT3_T4_T5_T6_T7_T9_mT8_P12ihipStream_tbDpT10_ENKUlT_T0_E_clISt17integral_constantIbLb0EES1K_EEDaS1F_S1G_EUlS1F_E_NS1_11comp_targetILNS1_3genE3ELNS1_11target_archE908ELNS1_3gpuE7ELNS1_3repE0EEENS1_30default_config_static_selectorELNS0_4arch9wavefront6targetE0EEEvT1_,@function
_ZN7rocprim17ROCPRIM_400000_NS6detail17trampoline_kernelINS0_14default_configENS1_25partition_config_selectorILNS1_17partition_subalgoE6EtNS0_10empty_typeEbEEZZNS1_14partition_implILS5_6ELb0ES3_mN6thrust23THRUST_200600_302600_NS6detail15normal_iteratorINSA_10device_ptrItEEEEPS6_SG_NS0_5tupleIJSF_S6_EEENSH_IJSG_SG_EEES6_PlJNSB_9not_fun_tINSB_10functional5actorINSM_9compositeIJNSM_27transparent_binary_operatorINSA_8equal_toIvEEEENSN_INSM_8argumentILj0EEEEENSM_5valueItEEEEEEEEEEEE10hipError_tPvRmT3_T4_T5_T6_T7_T9_mT8_P12ihipStream_tbDpT10_ENKUlT_T0_E_clISt17integral_constantIbLb0EES1K_EEDaS1F_S1G_EUlS1F_E_NS1_11comp_targetILNS1_3genE3ELNS1_11target_archE908ELNS1_3gpuE7ELNS1_3repE0EEENS1_30default_config_static_selectorELNS0_4arch9wavefront6targetE0EEEvT1_: ; @_ZN7rocprim17ROCPRIM_400000_NS6detail17trampoline_kernelINS0_14default_configENS1_25partition_config_selectorILNS1_17partition_subalgoE6EtNS0_10empty_typeEbEEZZNS1_14partition_implILS5_6ELb0ES3_mN6thrust23THRUST_200600_302600_NS6detail15normal_iteratorINSA_10device_ptrItEEEEPS6_SG_NS0_5tupleIJSF_S6_EEENSH_IJSG_SG_EEES6_PlJNSB_9not_fun_tINSB_10functional5actorINSM_9compositeIJNSM_27transparent_binary_operatorINSA_8equal_toIvEEEENSN_INSM_8argumentILj0EEEEENSM_5valueItEEEEEEEEEEEE10hipError_tPvRmT3_T4_T5_T6_T7_T9_mT8_P12ihipStream_tbDpT10_ENKUlT_T0_E_clISt17integral_constantIbLb0EES1K_EEDaS1F_S1G_EUlS1F_E_NS1_11comp_targetILNS1_3genE3ELNS1_11target_archE908ELNS1_3gpuE7ELNS1_3repE0EEENS1_30default_config_static_selectorELNS0_4arch9wavefront6targetE0EEEvT1_
; %bb.0:
	.section	.rodata,"a",@progbits
	.p2align	6, 0x0
	.amdhsa_kernel _ZN7rocprim17ROCPRIM_400000_NS6detail17trampoline_kernelINS0_14default_configENS1_25partition_config_selectorILNS1_17partition_subalgoE6EtNS0_10empty_typeEbEEZZNS1_14partition_implILS5_6ELb0ES3_mN6thrust23THRUST_200600_302600_NS6detail15normal_iteratorINSA_10device_ptrItEEEEPS6_SG_NS0_5tupleIJSF_S6_EEENSH_IJSG_SG_EEES6_PlJNSB_9not_fun_tINSB_10functional5actorINSM_9compositeIJNSM_27transparent_binary_operatorINSA_8equal_toIvEEEENSN_INSM_8argumentILj0EEEEENSM_5valueItEEEEEEEEEEEE10hipError_tPvRmT3_T4_T5_T6_T7_T9_mT8_P12ihipStream_tbDpT10_ENKUlT_T0_E_clISt17integral_constantIbLb0EES1K_EEDaS1F_S1G_EUlS1F_E_NS1_11comp_targetILNS1_3genE3ELNS1_11target_archE908ELNS1_3gpuE7ELNS1_3repE0EEENS1_30default_config_static_selectorELNS0_4arch9wavefront6targetE0EEEvT1_
		.amdhsa_group_segment_fixed_size 0
		.amdhsa_private_segment_fixed_size 0
		.amdhsa_kernarg_size 120
		.amdhsa_user_sgpr_count 2
		.amdhsa_user_sgpr_dispatch_ptr 0
		.amdhsa_user_sgpr_queue_ptr 0
		.amdhsa_user_sgpr_kernarg_segment_ptr 1
		.amdhsa_user_sgpr_dispatch_id 0
		.amdhsa_user_sgpr_private_segment_size 0
		.amdhsa_wavefront_size32 1
		.amdhsa_uses_dynamic_stack 0
		.amdhsa_enable_private_segment 0
		.amdhsa_system_sgpr_workgroup_id_x 1
		.amdhsa_system_sgpr_workgroup_id_y 0
		.amdhsa_system_sgpr_workgroup_id_z 0
		.amdhsa_system_sgpr_workgroup_info 0
		.amdhsa_system_vgpr_workitem_id 0
		.amdhsa_next_free_vgpr 1
		.amdhsa_next_free_sgpr 1
		.amdhsa_reserve_vcc 0
		.amdhsa_float_round_mode_32 0
		.amdhsa_float_round_mode_16_64 0
		.amdhsa_float_denorm_mode_32 3
		.amdhsa_float_denorm_mode_16_64 3
		.amdhsa_fp16_overflow 0
		.amdhsa_workgroup_processor_mode 1
		.amdhsa_memory_ordered 1
		.amdhsa_forward_progress 1
		.amdhsa_inst_pref_size 0
		.amdhsa_round_robin_scheduling 0
		.amdhsa_exception_fp_ieee_invalid_op 0
		.amdhsa_exception_fp_denorm_src 0
		.amdhsa_exception_fp_ieee_div_zero 0
		.amdhsa_exception_fp_ieee_overflow 0
		.amdhsa_exception_fp_ieee_underflow 0
		.amdhsa_exception_fp_ieee_inexact 0
		.amdhsa_exception_int_div_zero 0
	.end_amdhsa_kernel
	.section	.text._ZN7rocprim17ROCPRIM_400000_NS6detail17trampoline_kernelINS0_14default_configENS1_25partition_config_selectorILNS1_17partition_subalgoE6EtNS0_10empty_typeEbEEZZNS1_14partition_implILS5_6ELb0ES3_mN6thrust23THRUST_200600_302600_NS6detail15normal_iteratorINSA_10device_ptrItEEEEPS6_SG_NS0_5tupleIJSF_S6_EEENSH_IJSG_SG_EEES6_PlJNSB_9not_fun_tINSB_10functional5actorINSM_9compositeIJNSM_27transparent_binary_operatorINSA_8equal_toIvEEEENSN_INSM_8argumentILj0EEEEENSM_5valueItEEEEEEEEEEEE10hipError_tPvRmT3_T4_T5_T6_T7_T9_mT8_P12ihipStream_tbDpT10_ENKUlT_T0_E_clISt17integral_constantIbLb0EES1K_EEDaS1F_S1G_EUlS1F_E_NS1_11comp_targetILNS1_3genE3ELNS1_11target_archE908ELNS1_3gpuE7ELNS1_3repE0EEENS1_30default_config_static_selectorELNS0_4arch9wavefront6targetE0EEEvT1_,"axG",@progbits,_ZN7rocprim17ROCPRIM_400000_NS6detail17trampoline_kernelINS0_14default_configENS1_25partition_config_selectorILNS1_17partition_subalgoE6EtNS0_10empty_typeEbEEZZNS1_14partition_implILS5_6ELb0ES3_mN6thrust23THRUST_200600_302600_NS6detail15normal_iteratorINSA_10device_ptrItEEEEPS6_SG_NS0_5tupleIJSF_S6_EEENSH_IJSG_SG_EEES6_PlJNSB_9not_fun_tINSB_10functional5actorINSM_9compositeIJNSM_27transparent_binary_operatorINSA_8equal_toIvEEEENSN_INSM_8argumentILj0EEEEENSM_5valueItEEEEEEEEEEEE10hipError_tPvRmT3_T4_T5_T6_T7_T9_mT8_P12ihipStream_tbDpT10_ENKUlT_T0_E_clISt17integral_constantIbLb0EES1K_EEDaS1F_S1G_EUlS1F_E_NS1_11comp_targetILNS1_3genE3ELNS1_11target_archE908ELNS1_3gpuE7ELNS1_3repE0EEENS1_30default_config_static_selectorELNS0_4arch9wavefront6targetE0EEEvT1_,comdat
.Lfunc_end149:
	.size	_ZN7rocprim17ROCPRIM_400000_NS6detail17trampoline_kernelINS0_14default_configENS1_25partition_config_selectorILNS1_17partition_subalgoE6EtNS0_10empty_typeEbEEZZNS1_14partition_implILS5_6ELb0ES3_mN6thrust23THRUST_200600_302600_NS6detail15normal_iteratorINSA_10device_ptrItEEEEPS6_SG_NS0_5tupleIJSF_S6_EEENSH_IJSG_SG_EEES6_PlJNSB_9not_fun_tINSB_10functional5actorINSM_9compositeIJNSM_27transparent_binary_operatorINSA_8equal_toIvEEEENSN_INSM_8argumentILj0EEEEENSM_5valueItEEEEEEEEEEEE10hipError_tPvRmT3_T4_T5_T6_T7_T9_mT8_P12ihipStream_tbDpT10_ENKUlT_T0_E_clISt17integral_constantIbLb0EES1K_EEDaS1F_S1G_EUlS1F_E_NS1_11comp_targetILNS1_3genE3ELNS1_11target_archE908ELNS1_3gpuE7ELNS1_3repE0EEENS1_30default_config_static_selectorELNS0_4arch9wavefront6targetE0EEEvT1_, .Lfunc_end149-_ZN7rocprim17ROCPRIM_400000_NS6detail17trampoline_kernelINS0_14default_configENS1_25partition_config_selectorILNS1_17partition_subalgoE6EtNS0_10empty_typeEbEEZZNS1_14partition_implILS5_6ELb0ES3_mN6thrust23THRUST_200600_302600_NS6detail15normal_iteratorINSA_10device_ptrItEEEEPS6_SG_NS0_5tupleIJSF_S6_EEENSH_IJSG_SG_EEES6_PlJNSB_9not_fun_tINSB_10functional5actorINSM_9compositeIJNSM_27transparent_binary_operatorINSA_8equal_toIvEEEENSN_INSM_8argumentILj0EEEEENSM_5valueItEEEEEEEEEEEE10hipError_tPvRmT3_T4_T5_T6_T7_T9_mT8_P12ihipStream_tbDpT10_ENKUlT_T0_E_clISt17integral_constantIbLb0EES1K_EEDaS1F_S1G_EUlS1F_E_NS1_11comp_targetILNS1_3genE3ELNS1_11target_archE908ELNS1_3gpuE7ELNS1_3repE0EEENS1_30default_config_static_selectorELNS0_4arch9wavefront6targetE0EEEvT1_
                                        ; -- End function
	.set _ZN7rocprim17ROCPRIM_400000_NS6detail17trampoline_kernelINS0_14default_configENS1_25partition_config_selectorILNS1_17partition_subalgoE6EtNS0_10empty_typeEbEEZZNS1_14partition_implILS5_6ELb0ES3_mN6thrust23THRUST_200600_302600_NS6detail15normal_iteratorINSA_10device_ptrItEEEEPS6_SG_NS0_5tupleIJSF_S6_EEENSH_IJSG_SG_EEES6_PlJNSB_9not_fun_tINSB_10functional5actorINSM_9compositeIJNSM_27transparent_binary_operatorINSA_8equal_toIvEEEENSN_INSM_8argumentILj0EEEEENSM_5valueItEEEEEEEEEEEE10hipError_tPvRmT3_T4_T5_T6_T7_T9_mT8_P12ihipStream_tbDpT10_ENKUlT_T0_E_clISt17integral_constantIbLb0EES1K_EEDaS1F_S1G_EUlS1F_E_NS1_11comp_targetILNS1_3genE3ELNS1_11target_archE908ELNS1_3gpuE7ELNS1_3repE0EEENS1_30default_config_static_selectorELNS0_4arch9wavefront6targetE0EEEvT1_.num_vgpr, 0
	.set _ZN7rocprim17ROCPRIM_400000_NS6detail17trampoline_kernelINS0_14default_configENS1_25partition_config_selectorILNS1_17partition_subalgoE6EtNS0_10empty_typeEbEEZZNS1_14partition_implILS5_6ELb0ES3_mN6thrust23THRUST_200600_302600_NS6detail15normal_iteratorINSA_10device_ptrItEEEEPS6_SG_NS0_5tupleIJSF_S6_EEENSH_IJSG_SG_EEES6_PlJNSB_9not_fun_tINSB_10functional5actorINSM_9compositeIJNSM_27transparent_binary_operatorINSA_8equal_toIvEEEENSN_INSM_8argumentILj0EEEEENSM_5valueItEEEEEEEEEEEE10hipError_tPvRmT3_T4_T5_T6_T7_T9_mT8_P12ihipStream_tbDpT10_ENKUlT_T0_E_clISt17integral_constantIbLb0EES1K_EEDaS1F_S1G_EUlS1F_E_NS1_11comp_targetILNS1_3genE3ELNS1_11target_archE908ELNS1_3gpuE7ELNS1_3repE0EEENS1_30default_config_static_selectorELNS0_4arch9wavefront6targetE0EEEvT1_.num_agpr, 0
	.set _ZN7rocprim17ROCPRIM_400000_NS6detail17trampoline_kernelINS0_14default_configENS1_25partition_config_selectorILNS1_17partition_subalgoE6EtNS0_10empty_typeEbEEZZNS1_14partition_implILS5_6ELb0ES3_mN6thrust23THRUST_200600_302600_NS6detail15normal_iteratorINSA_10device_ptrItEEEEPS6_SG_NS0_5tupleIJSF_S6_EEENSH_IJSG_SG_EEES6_PlJNSB_9not_fun_tINSB_10functional5actorINSM_9compositeIJNSM_27transparent_binary_operatorINSA_8equal_toIvEEEENSN_INSM_8argumentILj0EEEEENSM_5valueItEEEEEEEEEEEE10hipError_tPvRmT3_T4_T5_T6_T7_T9_mT8_P12ihipStream_tbDpT10_ENKUlT_T0_E_clISt17integral_constantIbLb0EES1K_EEDaS1F_S1G_EUlS1F_E_NS1_11comp_targetILNS1_3genE3ELNS1_11target_archE908ELNS1_3gpuE7ELNS1_3repE0EEENS1_30default_config_static_selectorELNS0_4arch9wavefront6targetE0EEEvT1_.numbered_sgpr, 0
	.set _ZN7rocprim17ROCPRIM_400000_NS6detail17trampoline_kernelINS0_14default_configENS1_25partition_config_selectorILNS1_17partition_subalgoE6EtNS0_10empty_typeEbEEZZNS1_14partition_implILS5_6ELb0ES3_mN6thrust23THRUST_200600_302600_NS6detail15normal_iteratorINSA_10device_ptrItEEEEPS6_SG_NS0_5tupleIJSF_S6_EEENSH_IJSG_SG_EEES6_PlJNSB_9not_fun_tINSB_10functional5actorINSM_9compositeIJNSM_27transparent_binary_operatorINSA_8equal_toIvEEEENSN_INSM_8argumentILj0EEEEENSM_5valueItEEEEEEEEEEEE10hipError_tPvRmT3_T4_T5_T6_T7_T9_mT8_P12ihipStream_tbDpT10_ENKUlT_T0_E_clISt17integral_constantIbLb0EES1K_EEDaS1F_S1G_EUlS1F_E_NS1_11comp_targetILNS1_3genE3ELNS1_11target_archE908ELNS1_3gpuE7ELNS1_3repE0EEENS1_30default_config_static_selectorELNS0_4arch9wavefront6targetE0EEEvT1_.num_named_barrier, 0
	.set _ZN7rocprim17ROCPRIM_400000_NS6detail17trampoline_kernelINS0_14default_configENS1_25partition_config_selectorILNS1_17partition_subalgoE6EtNS0_10empty_typeEbEEZZNS1_14partition_implILS5_6ELb0ES3_mN6thrust23THRUST_200600_302600_NS6detail15normal_iteratorINSA_10device_ptrItEEEEPS6_SG_NS0_5tupleIJSF_S6_EEENSH_IJSG_SG_EEES6_PlJNSB_9not_fun_tINSB_10functional5actorINSM_9compositeIJNSM_27transparent_binary_operatorINSA_8equal_toIvEEEENSN_INSM_8argumentILj0EEEEENSM_5valueItEEEEEEEEEEEE10hipError_tPvRmT3_T4_T5_T6_T7_T9_mT8_P12ihipStream_tbDpT10_ENKUlT_T0_E_clISt17integral_constantIbLb0EES1K_EEDaS1F_S1G_EUlS1F_E_NS1_11comp_targetILNS1_3genE3ELNS1_11target_archE908ELNS1_3gpuE7ELNS1_3repE0EEENS1_30default_config_static_selectorELNS0_4arch9wavefront6targetE0EEEvT1_.private_seg_size, 0
	.set _ZN7rocprim17ROCPRIM_400000_NS6detail17trampoline_kernelINS0_14default_configENS1_25partition_config_selectorILNS1_17partition_subalgoE6EtNS0_10empty_typeEbEEZZNS1_14partition_implILS5_6ELb0ES3_mN6thrust23THRUST_200600_302600_NS6detail15normal_iteratorINSA_10device_ptrItEEEEPS6_SG_NS0_5tupleIJSF_S6_EEENSH_IJSG_SG_EEES6_PlJNSB_9not_fun_tINSB_10functional5actorINSM_9compositeIJNSM_27transparent_binary_operatorINSA_8equal_toIvEEEENSN_INSM_8argumentILj0EEEEENSM_5valueItEEEEEEEEEEEE10hipError_tPvRmT3_T4_T5_T6_T7_T9_mT8_P12ihipStream_tbDpT10_ENKUlT_T0_E_clISt17integral_constantIbLb0EES1K_EEDaS1F_S1G_EUlS1F_E_NS1_11comp_targetILNS1_3genE3ELNS1_11target_archE908ELNS1_3gpuE7ELNS1_3repE0EEENS1_30default_config_static_selectorELNS0_4arch9wavefront6targetE0EEEvT1_.uses_vcc, 0
	.set _ZN7rocprim17ROCPRIM_400000_NS6detail17trampoline_kernelINS0_14default_configENS1_25partition_config_selectorILNS1_17partition_subalgoE6EtNS0_10empty_typeEbEEZZNS1_14partition_implILS5_6ELb0ES3_mN6thrust23THRUST_200600_302600_NS6detail15normal_iteratorINSA_10device_ptrItEEEEPS6_SG_NS0_5tupleIJSF_S6_EEENSH_IJSG_SG_EEES6_PlJNSB_9not_fun_tINSB_10functional5actorINSM_9compositeIJNSM_27transparent_binary_operatorINSA_8equal_toIvEEEENSN_INSM_8argumentILj0EEEEENSM_5valueItEEEEEEEEEEEE10hipError_tPvRmT3_T4_T5_T6_T7_T9_mT8_P12ihipStream_tbDpT10_ENKUlT_T0_E_clISt17integral_constantIbLb0EES1K_EEDaS1F_S1G_EUlS1F_E_NS1_11comp_targetILNS1_3genE3ELNS1_11target_archE908ELNS1_3gpuE7ELNS1_3repE0EEENS1_30default_config_static_selectorELNS0_4arch9wavefront6targetE0EEEvT1_.uses_flat_scratch, 0
	.set _ZN7rocprim17ROCPRIM_400000_NS6detail17trampoline_kernelINS0_14default_configENS1_25partition_config_selectorILNS1_17partition_subalgoE6EtNS0_10empty_typeEbEEZZNS1_14partition_implILS5_6ELb0ES3_mN6thrust23THRUST_200600_302600_NS6detail15normal_iteratorINSA_10device_ptrItEEEEPS6_SG_NS0_5tupleIJSF_S6_EEENSH_IJSG_SG_EEES6_PlJNSB_9not_fun_tINSB_10functional5actorINSM_9compositeIJNSM_27transparent_binary_operatorINSA_8equal_toIvEEEENSN_INSM_8argumentILj0EEEEENSM_5valueItEEEEEEEEEEEE10hipError_tPvRmT3_T4_T5_T6_T7_T9_mT8_P12ihipStream_tbDpT10_ENKUlT_T0_E_clISt17integral_constantIbLb0EES1K_EEDaS1F_S1G_EUlS1F_E_NS1_11comp_targetILNS1_3genE3ELNS1_11target_archE908ELNS1_3gpuE7ELNS1_3repE0EEENS1_30default_config_static_selectorELNS0_4arch9wavefront6targetE0EEEvT1_.has_dyn_sized_stack, 0
	.set _ZN7rocprim17ROCPRIM_400000_NS6detail17trampoline_kernelINS0_14default_configENS1_25partition_config_selectorILNS1_17partition_subalgoE6EtNS0_10empty_typeEbEEZZNS1_14partition_implILS5_6ELb0ES3_mN6thrust23THRUST_200600_302600_NS6detail15normal_iteratorINSA_10device_ptrItEEEEPS6_SG_NS0_5tupleIJSF_S6_EEENSH_IJSG_SG_EEES6_PlJNSB_9not_fun_tINSB_10functional5actorINSM_9compositeIJNSM_27transparent_binary_operatorINSA_8equal_toIvEEEENSN_INSM_8argumentILj0EEEEENSM_5valueItEEEEEEEEEEEE10hipError_tPvRmT3_T4_T5_T6_T7_T9_mT8_P12ihipStream_tbDpT10_ENKUlT_T0_E_clISt17integral_constantIbLb0EES1K_EEDaS1F_S1G_EUlS1F_E_NS1_11comp_targetILNS1_3genE3ELNS1_11target_archE908ELNS1_3gpuE7ELNS1_3repE0EEENS1_30default_config_static_selectorELNS0_4arch9wavefront6targetE0EEEvT1_.has_recursion, 0
	.set _ZN7rocprim17ROCPRIM_400000_NS6detail17trampoline_kernelINS0_14default_configENS1_25partition_config_selectorILNS1_17partition_subalgoE6EtNS0_10empty_typeEbEEZZNS1_14partition_implILS5_6ELb0ES3_mN6thrust23THRUST_200600_302600_NS6detail15normal_iteratorINSA_10device_ptrItEEEEPS6_SG_NS0_5tupleIJSF_S6_EEENSH_IJSG_SG_EEES6_PlJNSB_9not_fun_tINSB_10functional5actorINSM_9compositeIJNSM_27transparent_binary_operatorINSA_8equal_toIvEEEENSN_INSM_8argumentILj0EEEEENSM_5valueItEEEEEEEEEEEE10hipError_tPvRmT3_T4_T5_T6_T7_T9_mT8_P12ihipStream_tbDpT10_ENKUlT_T0_E_clISt17integral_constantIbLb0EES1K_EEDaS1F_S1G_EUlS1F_E_NS1_11comp_targetILNS1_3genE3ELNS1_11target_archE908ELNS1_3gpuE7ELNS1_3repE0EEENS1_30default_config_static_selectorELNS0_4arch9wavefront6targetE0EEEvT1_.has_indirect_call, 0
	.section	.AMDGPU.csdata,"",@progbits
; Kernel info:
; codeLenInByte = 0
; TotalNumSgprs: 0
; NumVgprs: 0
; ScratchSize: 0
; MemoryBound: 0
; FloatMode: 240
; IeeeMode: 1
; LDSByteSize: 0 bytes/workgroup (compile time only)
; SGPRBlocks: 0
; VGPRBlocks: 0
; NumSGPRsForWavesPerEU: 1
; NumVGPRsForWavesPerEU: 1
; Occupancy: 16
; WaveLimiterHint : 0
; COMPUTE_PGM_RSRC2:SCRATCH_EN: 0
; COMPUTE_PGM_RSRC2:USER_SGPR: 2
; COMPUTE_PGM_RSRC2:TRAP_HANDLER: 0
; COMPUTE_PGM_RSRC2:TGID_X_EN: 1
; COMPUTE_PGM_RSRC2:TGID_Y_EN: 0
; COMPUTE_PGM_RSRC2:TGID_Z_EN: 0
; COMPUTE_PGM_RSRC2:TIDIG_COMP_CNT: 0
	.section	.text._ZN7rocprim17ROCPRIM_400000_NS6detail17trampoline_kernelINS0_14default_configENS1_25partition_config_selectorILNS1_17partition_subalgoE6EtNS0_10empty_typeEbEEZZNS1_14partition_implILS5_6ELb0ES3_mN6thrust23THRUST_200600_302600_NS6detail15normal_iteratorINSA_10device_ptrItEEEEPS6_SG_NS0_5tupleIJSF_S6_EEENSH_IJSG_SG_EEES6_PlJNSB_9not_fun_tINSB_10functional5actorINSM_9compositeIJNSM_27transparent_binary_operatorINSA_8equal_toIvEEEENSN_INSM_8argumentILj0EEEEENSM_5valueItEEEEEEEEEEEE10hipError_tPvRmT3_T4_T5_T6_T7_T9_mT8_P12ihipStream_tbDpT10_ENKUlT_T0_E_clISt17integral_constantIbLb0EES1K_EEDaS1F_S1G_EUlS1F_E_NS1_11comp_targetILNS1_3genE2ELNS1_11target_archE906ELNS1_3gpuE6ELNS1_3repE0EEENS1_30default_config_static_selectorELNS0_4arch9wavefront6targetE0EEEvT1_,"axG",@progbits,_ZN7rocprim17ROCPRIM_400000_NS6detail17trampoline_kernelINS0_14default_configENS1_25partition_config_selectorILNS1_17partition_subalgoE6EtNS0_10empty_typeEbEEZZNS1_14partition_implILS5_6ELb0ES3_mN6thrust23THRUST_200600_302600_NS6detail15normal_iteratorINSA_10device_ptrItEEEEPS6_SG_NS0_5tupleIJSF_S6_EEENSH_IJSG_SG_EEES6_PlJNSB_9not_fun_tINSB_10functional5actorINSM_9compositeIJNSM_27transparent_binary_operatorINSA_8equal_toIvEEEENSN_INSM_8argumentILj0EEEEENSM_5valueItEEEEEEEEEEEE10hipError_tPvRmT3_T4_T5_T6_T7_T9_mT8_P12ihipStream_tbDpT10_ENKUlT_T0_E_clISt17integral_constantIbLb0EES1K_EEDaS1F_S1G_EUlS1F_E_NS1_11comp_targetILNS1_3genE2ELNS1_11target_archE906ELNS1_3gpuE6ELNS1_3repE0EEENS1_30default_config_static_selectorELNS0_4arch9wavefront6targetE0EEEvT1_,comdat
	.protected	_ZN7rocprim17ROCPRIM_400000_NS6detail17trampoline_kernelINS0_14default_configENS1_25partition_config_selectorILNS1_17partition_subalgoE6EtNS0_10empty_typeEbEEZZNS1_14partition_implILS5_6ELb0ES3_mN6thrust23THRUST_200600_302600_NS6detail15normal_iteratorINSA_10device_ptrItEEEEPS6_SG_NS0_5tupleIJSF_S6_EEENSH_IJSG_SG_EEES6_PlJNSB_9not_fun_tINSB_10functional5actorINSM_9compositeIJNSM_27transparent_binary_operatorINSA_8equal_toIvEEEENSN_INSM_8argumentILj0EEEEENSM_5valueItEEEEEEEEEEEE10hipError_tPvRmT3_T4_T5_T6_T7_T9_mT8_P12ihipStream_tbDpT10_ENKUlT_T0_E_clISt17integral_constantIbLb0EES1K_EEDaS1F_S1G_EUlS1F_E_NS1_11comp_targetILNS1_3genE2ELNS1_11target_archE906ELNS1_3gpuE6ELNS1_3repE0EEENS1_30default_config_static_selectorELNS0_4arch9wavefront6targetE0EEEvT1_ ; -- Begin function _ZN7rocprim17ROCPRIM_400000_NS6detail17trampoline_kernelINS0_14default_configENS1_25partition_config_selectorILNS1_17partition_subalgoE6EtNS0_10empty_typeEbEEZZNS1_14partition_implILS5_6ELb0ES3_mN6thrust23THRUST_200600_302600_NS6detail15normal_iteratorINSA_10device_ptrItEEEEPS6_SG_NS0_5tupleIJSF_S6_EEENSH_IJSG_SG_EEES6_PlJNSB_9not_fun_tINSB_10functional5actorINSM_9compositeIJNSM_27transparent_binary_operatorINSA_8equal_toIvEEEENSN_INSM_8argumentILj0EEEEENSM_5valueItEEEEEEEEEEEE10hipError_tPvRmT3_T4_T5_T6_T7_T9_mT8_P12ihipStream_tbDpT10_ENKUlT_T0_E_clISt17integral_constantIbLb0EES1K_EEDaS1F_S1G_EUlS1F_E_NS1_11comp_targetILNS1_3genE2ELNS1_11target_archE906ELNS1_3gpuE6ELNS1_3repE0EEENS1_30default_config_static_selectorELNS0_4arch9wavefront6targetE0EEEvT1_
	.globl	_ZN7rocprim17ROCPRIM_400000_NS6detail17trampoline_kernelINS0_14default_configENS1_25partition_config_selectorILNS1_17partition_subalgoE6EtNS0_10empty_typeEbEEZZNS1_14partition_implILS5_6ELb0ES3_mN6thrust23THRUST_200600_302600_NS6detail15normal_iteratorINSA_10device_ptrItEEEEPS6_SG_NS0_5tupleIJSF_S6_EEENSH_IJSG_SG_EEES6_PlJNSB_9not_fun_tINSB_10functional5actorINSM_9compositeIJNSM_27transparent_binary_operatorINSA_8equal_toIvEEEENSN_INSM_8argumentILj0EEEEENSM_5valueItEEEEEEEEEEEE10hipError_tPvRmT3_T4_T5_T6_T7_T9_mT8_P12ihipStream_tbDpT10_ENKUlT_T0_E_clISt17integral_constantIbLb0EES1K_EEDaS1F_S1G_EUlS1F_E_NS1_11comp_targetILNS1_3genE2ELNS1_11target_archE906ELNS1_3gpuE6ELNS1_3repE0EEENS1_30default_config_static_selectorELNS0_4arch9wavefront6targetE0EEEvT1_
	.p2align	8
	.type	_ZN7rocprim17ROCPRIM_400000_NS6detail17trampoline_kernelINS0_14default_configENS1_25partition_config_selectorILNS1_17partition_subalgoE6EtNS0_10empty_typeEbEEZZNS1_14partition_implILS5_6ELb0ES3_mN6thrust23THRUST_200600_302600_NS6detail15normal_iteratorINSA_10device_ptrItEEEEPS6_SG_NS0_5tupleIJSF_S6_EEENSH_IJSG_SG_EEES6_PlJNSB_9not_fun_tINSB_10functional5actorINSM_9compositeIJNSM_27transparent_binary_operatorINSA_8equal_toIvEEEENSN_INSM_8argumentILj0EEEEENSM_5valueItEEEEEEEEEEEE10hipError_tPvRmT3_T4_T5_T6_T7_T9_mT8_P12ihipStream_tbDpT10_ENKUlT_T0_E_clISt17integral_constantIbLb0EES1K_EEDaS1F_S1G_EUlS1F_E_NS1_11comp_targetILNS1_3genE2ELNS1_11target_archE906ELNS1_3gpuE6ELNS1_3repE0EEENS1_30default_config_static_selectorELNS0_4arch9wavefront6targetE0EEEvT1_,@function
_ZN7rocprim17ROCPRIM_400000_NS6detail17trampoline_kernelINS0_14default_configENS1_25partition_config_selectorILNS1_17partition_subalgoE6EtNS0_10empty_typeEbEEZZNS1_14partition_implILS5_6ELb0ES3_mN6thrust23THRUST_200600_302600_NS6detail15normal_iteratorINSA_10device_ptrItEEEEPS6_SG_NS0_5tupleIJSF_S6_EEENSH_IJSG_SG_EEES6_PlJNSB_9not_fun_tINSB_10functional5actorINSM_9compositeIJNSM_27transparent_binary_operatorINSA_8equal_toIvEEEENSN_INSM_8argumentILj0EEEEENSM_5valueItEEEEEEEEEEEE10hipError_tPvRmT3_T4_T5_T6_T7_T9_mT8_P12ihipStream_tbDpT10_ENKUlT_T0_E_clISt17integral_constantIbLb0EES1K_EEDaS1F_S1G_EUlS1F_E_NS1_11comp_targetILNS1_3genE2ELNS1_11target_archE906ELNS1_3gpuE6ELNS1_3repE0EEENS1_30default_config_static_selectorELNS0_4arch9wavefront6targetE0EEEvT1_: ; @_ZN7rocprim17ROCPRIM_400000_NS6detail17trampoline_kernelINS0_14default_configENS1_25partition_config_selectorILNS1_17partition_subalgoE6EtNS0_10empty_typeEbEEZZNS1_14partition_implILS5_6ELb0ES3_mN6thrust23THRUST_200600_302600_NS6detail15normal_iteratorINSA_10device_ptrItEEEEPS6_SG_NS0_5tupleIJSF_S6_EEENSH_IJSG_SG_EEES6_PlJNSB_9not_fun_tINSB_10functional5actorINSM_9compositeIJNSM_27transparent_binary_operatorINSA_8equal_toIvEEEENSN_INSM_8argumentILj0EEEEENSM_5valueItEEEEEEEEEEEE10hipError_tPvRmT3_T4_T5_T6_T7_T9_mT8_P12ihipStream_tbDpT10_ENKUlT_T0_E_clISt17integral_constantIbLb0EES1K_EEDaS1F_S1G_EUlS1F_E_NS1_11comp_targetILNS1_3genE2ELNS1_11target_archE906ELNS1_3gpuE6ELNS1_3repE0EEENS1_30default_config_static_selectorELNS0_4arch9wavefront6targetE0EEEvT1_
; %bb.0:
	.section	.rodata,"a",@progbits
	.p2align	6, 0x0
	.amdhsa_kernel _ZN7rocprim17ROCPRIM_400000_NS6detail17trampoline_kernelINS0_14default_configENS1_25partition_config_selectorILNS1_17partition_subalgoE6EtNS0_10empty_typeEbEEZZNS1_14partition_implILS5_6ELb0ES3_mN6thrust23THRUST_200600_302600_NS6detail15normal_iteratorINSA_10device_ptrItEEEEPS6_SG_NS0_5tupleIJSF_S6_EEENSH_IJSG_SG_EEES6_PlJNSB_9not_fun_tINSB_10functional5actorINSM_9compositeIJNSM_27transparent_binary_operatorINSA_8equal_toIvEEEENSN_INSM_8argumentILj0EEEEENSM_5valueItEEEEEEEEEEEE10hipError_tPvRmT3_T4_T5_T6_T7_T9_mT8_P12ihipStream_tbDpT10_ENKUlT_T0_E_clISt17integral_constantIbLb0EES1K_EEDaS1F_S1G_EUlS1F_E_NS1_11comp_targetILNS1_3genE2ELNS1_11target_archE906ELNS1_3gpuE6ELNS1_3repE0EEENS1_30default_config_static_selectorELNS0_4arch9wavefront6targetE0EEEvT1_
		.amdhsa_group_segment_fixed_size 0
		.amdhsa_private_segment_fixed_size 0
		.amdhsa_kernarg_size 120
		.amdhsa_user_sgpr_count 2
		.amdhsa_user_sgpr_dispatch_ptr 0
		.amdhsa_user_sgpr_queue_ptr 0
		.amdhsa_user_sgpr_kernarg_segment_ptr 1
		.amdhsa_user_sgpr_dispatch_id 0
		.amdhsa_user_sgpr_private_segment_size 0
		.amdhsa_wavefront_size32 1
		.amdhsa_uses_dynamic_stack 0
		.amdhsa_enable_private_segment 0
		.amdhsa_system_sgpr_workgroup_id_x 1
		.amdhsa_system_sgpr_workgroup_id_y 0
		.amdhsa_system_sgpr_workgroup_id_z 0
		.amdhsa_system_sgpr_workgroup_info 0
		.amdhsa_system_vgpr_workitem_id 0
		.amdhsa_next_free_vgpr 1
		.amdhsa_next_free_sgpr 1
		.amdhsa_reserve_vcc 0
		.amdhsa_float_round_mode_32 0
		.amdhsa_float_round_mode_16_64 0
		.amdhsa_float_denorm_mode_32 3
		.amdhsa_float_denorm_mode_16_64 3
		.amdhsa_fp16_overflow 0
		.amdhsa_workgroup_processor_mode 1
		.amdhsa_memory_ordered 1
		.amdhsa_forward_progress 1
		.amdhsa_inst_pref_size 0
		.amdhsa_round_robin_scheduling 0
		.amdhsa_exception_fp_ieee_invalid_op 0
		.amdhsa_exception_fp_denorm_src 0
		.amdhsa_exception_fp_ieee_div_zero 0
		.amdhsa_exception_fp_ieee_overflow 0
		.amdhsa_exception_fp_ieee_underflow 0
		.amdhsa_exception_fp_ieee_inexact 0
		.amdhsa_exception_int_div_zero 0
	.end_amdhsa_kernel
	.section	.text._ZN7rocprim17ROCPRIM_400000_NS6detail17trampoline_kernelINS0_14default_configENS1_25partition_config_selectorILNS1_17partition_subalgoE6EtNS0_10empty_typeEbEEZZNS1_14partition_implILS5_6ELb0ES3_mN6thrust23THRUST_200600_302600_NS6detail15normal_iteratorINSA_10device_ptrItEEEEPS6_SG_NS0_5tupleIJSF_S6_EEENSH_IJSG_SG_EEES6_PlJNSB_9not_fun_tINSB_10functional5actorINSM_9compositeIJNSM_27transparent_binary_operatorINSA_8equal_toIvEEEENSN_INSM_8argumentILj0EEEEENSM_5valueItEEEEEEEEEEEE10hipError_tPvRmT3_T4_T5_T6_T7_T9_mT8_P12ihipStream_tbDpT10_ENKUlT_T0_E_clISt17integral_constantIbLb0EES1K_EEDaS1F_S1G_EUlS1F_E_NS1_11comp_targetILNS1_3genE2ELNS1_11target_archE906ELNS1_3gpuE6ELNS1_3repE0EEENS1_30default_config_static_selectorELNS0_4arch9wavefront6targetE0EEEvT1_,"axG",@progbits,_ZN7rocprim17ROCPRIM_400000_NS6detail17trampoline_kernelINS0_14default_configENS1_25partition_config_selectorILNS1_17partition_subalgoE6EtNS0_10empty_typeEbEEZZNS1_14partition_implILS5_6ELb0ES3_mN6thrust23THRUST_200600_302600_NS6detail15normal_iteratorINSA_10device_ptrItEEEEPS6_SG_NS0_5tupleIJSF_S6_EEENSH_IJSG_SG_EEES6_PlJNSB_9not_fun_tINSB_10functional5actorINSM_9compositeIJNSM_27transparent_binary_operatorINSA_8equal_toIvEEEENSN_INSM_8argumentILj0EEEEENSM_5valueItEEEEEEEEEEEE10hipError_tPvRmT3_T4_T5_T6_T7_T9_mT8_P12ihipStream_tbDpT10_ENKUlT_T0_E_clISt17integral_constantIbLb0EES1K_EEDaS1F_S1G_EUlS1F_E_NS1_11comp_targetILNS1_3genE2ELNS1_11target_archE906ELNS1_3gpuE6ELNS1_3repE0EEENS1_30default_config_static_selectorELNS0_4arch9wavefront6targetE0EEEvT1_,comdat
.Lfunc_end150:
	.size	_ZN7rocprim17ROCPRIM_400000_NS6detail17trampoline_kernelINS0_14default_configENS1_25partition_config_selectorILNS1_17partition_subalgoE6EtNS0_10empty_typeEbEEZZNS1_14partition_implILS5_6ELb0ES3_mN6thrust23THRUST_200600_302600_NS6detail15normal_iteratorINSA_10device_ptrItEEEEPS6_SG_NS0_5tupleIJSF_S6_EEENSH_IJSG_SG_EEES6_PlJNSB_9not_fun_tINSB_10functional5actorINSM_9compositeIJNSM_27transparent_binary_operatorINSA_8equal_toIvEEEENSN_INSM_8argumentILj0EEEEENSM_5valueItEEEEEEEEEEEE10hipError_tPvRmT3_T4_T5_T6_T7_T9_mT8_P12ihipStream_tbDpT10_ENKUlT_T0_E_clISt17integral_constantIbLb0EES1K_EEDaS1F_S1G_EUlS1F_E_NS1_11comp_targetILNS1_3genE2ELNS1_11target_archE906ELNS1_3gpuE6ELNS1_3repE0EEENS1_30default_config_static_selectorELNS0_4arch9wavefront6targetE0EEEvT1_, .Lfunc_end150-_ZN7rocprim17ROCPRIM_400000_NS6detail17trampoline_kernelINS0_14default_configENS1_25partition_config_selectorILNS1_17partition_subalgoE6EtNS0_10empty_typeEbEEZZNS1_14partition_implILS5_6ELb0ES3_mN6thrust23THRUST_200600_302600_NS6detail15normal_iteratorINSA_10device_ptrItEEEEPS6_SG_NS0_5tupleIJSF_S6_EEENSH_IJSG_SG_EEES6_PlJNSB_9not_fun_tINSB_10functional5actorINSM_9compositeIJNSM_27transparent_binary_operatorINSA_8equal_toIvEEEENSN_INSM_8argumentILj0EEEEENSM_5valueItEEEEEEEEEEEE10hipError_tPvRmT3_T4_T5_T6_T7_T9_mT8_P12ihipStream_tbDpT10_ENKUlT_T0_E_clISt17integral_constantIbLb0EES1K_EEDaS1F_S1G_EUlS1F_E_NS1_11comp_targetILNS1_3genE2ELNS1_11target_archE906ELNS1_3gpuE6ELNS1_3repE0EEENS1_30default_config_static_selectorELNS0_4arch9wavefront6targetE0EEEvT1_
                                        ; -- End function
	.set _ZN7rocprim17ROCPRIM_400000_NS6detail17trampoline_kernelINS0_14default_configENS1_25partition_config_selectorILNS1_17partition_subalgoE6EtNS0_10empty_typeEbEEZZNS1_14partition_implILS5_6ELb0ES3_mN6thrust23THRUST_200600_302600_NS6detail15normal_iteratorINSA_10device_ptrItEEEEPS6_SG_NS0_5tupleIJSF_S6_EEENSH_IJSG_SG_EEES6_PlJNSB_9not_fun_tINSB_10functional5actorINSM_9compositeIJNSM_27transparent_binary_operatorINSA_8equal_toIvEEEENSN_INSM_8argumentILj0EEEEENSM_5valueItEEEEEEEEEEEE10hipError_tPvRmT3_T4_T5_T6_T7_T9_mT8_P12ihipStream_tbDpT10_ENKUlT_T0_E_clISt17integral_constantIbLb0EES1K_EEDaS1F_S1G_EUlS1F_E_NS1_11comp_targetILNS1_3genE2ELNS1_11target_archE906ELNS1_3gpuE6ELNS1_3repE0EEENS1_30default_config_static_selectorELNS0_4arch9wavefront6targetE0EEEvT1_.num_vgpr, 0
	.set _ZN7rocprim17ROCPRIM_400000_NS6detail17trampoline_kernelINS0_14default_configENS1_25partition_config_selectorILNS1_17partition_subalgoE6EtNS0_10empty_typeEbEEZZNS1_14partition_implILS5_6ELb0ES3_mN6thrust23THRUST_200600_302600_NS6detail15normal_iteratorINSA_10device_ptrItEEEEPS6_SG_NS0_5tupleIJSF_S6_EEENSH_IJSG_SG_EEES6_PlJNSB_9not_fun_tINSB_10functional5actorINSM_9compositeIJNSM_27transparent_binary_operatorINSA_8equal_toIvEEEENSN_INSM_8argumentILj0EEEEENSM_5valueItEEEEEEEEEEEE10hipError_tPvRmT3_T4_T5_T6_T7_T9_mT8_P12ihipStream_tbDpT10_ENKUlT_T0_E_clISt17integral_constantIbLb0EES1K_EEDaS1F_S1G_EUlS1F_E_NS1_11comp_targetILNS1_3genE2ELNS1_11target_archE906ELNS1_3gpuE6ELNS1_3repE0EEENS1_30default_config_static_selectorELNS0_4arch9wavefront6targetE0EEEvT1_.num_agpr, 0
	.set _ZN7rocprim17ROCPRIM_400000_NS6detail17trampoline_kernelINS0_14default_configENS1_25partition_config_selectorILNS1_17partition_subalgoE6EtNS0_10empty_typeEbEEZZNS1_14partition_implILS5_6ELb0ES3_mN6thrust23THRUST_200600_302600_NS6detail15normal_iteratorINSA_10device_ptrItEEEEPS6_SG_NS0_5tupleIJSF_S6_EEENSH_IJSG_SG_EEES6_PlJNSB_9not_fun_tINSB_10functional5actorINSM_9compositeIJNSM_27transparent_binary_operatorINSA_8equal_toIvEEEENSN_INSM_8argumentILj0EEEEENSM_5valueItEEEEEEEEEEEE10hipError_tPvRmT3_T4_T5_T6_T7_T9_mT8_P12ihipStream_tbDpT10_ENKUlT_T0_E_clISt17integral_constantIbLb0EES1K_EEDaS1F_S1G_EUlS1F_E_NS1_11comp_targetILNS1_3genE2ELNS1_11target_archE906ELNS1_3gpuE6ELNS1_3repE0EEENS1_30default_config_static_selectorELNS0_4arch9wavefront6targetE0EEEvT1_.numbered_sgpr, 0
	.set _ZN7rocprim17ROCPRIM_400000_NS6detail17trampoline_kernelINS0_14default_configENS1_25partition_config_selectorILNS1_17partition_subalgoE6EtNS0_10empty_typeEbEEZZNS1_14partition_implILS5_6ELb0ES3_mN6thrust23THRUST_200600_302600_NS6detail15normal_iteratorINSA_10device_ptrItEEEEPS6_SG_NS0_5tupleIJSF_S6_EEENSH_IJSG_SG_EEES6_PlJNSB_9not_fun_tINSB_10functional5actorINSM_9compositeIJNSM_27transparent_binary_operatorINSA_8equal_toIvEEEENSN_INSM_8argumentILj0EEEEENSM_5valueItEEEEEEEEEEEE10hipError_tPvRmT3_T4_T5_T6_T7_T9_mT8_P12ihipStream_tbDpT10_ENKUlT_T0_E_clISt17integral_constantIbLb0EES1K_EEDaS1F_S1G_EUlS1F_E_NS1_11comp_targetILNS1_3genE2ELNS1_11target_archE906ELNS1_3gpuE6ELNS1_3repE0EEENS1_30default_config_static_selectorELNS0_4arch9wavefront6targetE0EEEvT1_.num_named_barrier, 0
	.set _ZN7rocprim17ROCPRIM_400000_NS6detail17trampoline_kernelINS0_14default_configENS1_25partition_config_selectorILNS1_17partition_subalgoE6EtNS0_10empty_typeEbEEZZNS1_14partition_implILS5_6ELb0ES3_mN6thrust23THRUST_200600_302600_NS6detail15normal_iteratorINSA_10device_ptrItEEEEPS6_SG_NS0_5tupleIJSF_S6_EEENSH_IJSG_SG_EEES6_PlJNSB_9not_fun_tINSB_10functional5actorINSM_9compositeIJNSM_27transparent_binary_operatorINSA_8equal_toIvEEEENSN_INSM_8argumentILj0EEEEENSM_5valueItEEEEEEEEEEEE10hipError_tPvRmT3_T4_T5_T6_T7_T9_mT8_P12ihipStream_tbDpT10_ENKUlT_T0_E_clISt17integral_constantIbLb0EES1K_EEDaS1F_S1G_EUlS1F_E_NS1_11comp_targetILNS1_3genE2ELNS1_11target_archE906ELNS1_3gpuE6ELNS1_3repE0EEENS1_30default_config_static_selectorELNS0_4arch9wavefront6targetE0EEEvT1_.private_seg_size, 0
	.set _ZN7rocprim17ROCPRIM_400000_NS6detail17trampoline_kernelINS0_14default_configENS1_25partition_config_selectorILNS1_17partition_subalgoE6EtNS0_10empty_typeEbEEZZNS1_14partition_implILS5_6ELb0ES3_mN6thrust23THRUST_200600_302600_NS6detail15normal_iteratorINSA_10device_ptrItEEEEPS6_SG_NS0_5tupleIJSF_S6_EEENSH_IJSG_SG_EEES6_PlJNSB_9not_fun_tINSB_10functional5actorINSM_9compositeIJNSM_27transparent_binary_operatorINSA_8equal_toIvEEEENSN_INSM_8argumentILj0EEEEENSM_5valueItEEEEEEEEEEEE10hipError_tPvRmT3_T4_T5_T6_T7_T9_mT8_P12ihipStream_tbDpT10_ENKUlT_T0_E_clISt17integral_constantIbLb0EES1K_EEDaS1F_S1G_EUlS1F_E_NS1_11comp_targetILNS1_3genE2ELNS1_11target_archE906ELNS1_3gpuE6ELNS1_3repE0EEENS1_30default_config_static_selectorELNS0_4arch9wavefront6targetE0EEEvT1_.uses_vcc, 0
	.set _ZN7rocprim17ROCPRIM_400000_NS6detail17trampoline_kernelINS0_14default_configENS1_25partition_config_selectorILNS1_17partition_subalgoE6EtNS0_10empty_typeEbEEZZNS1_14partition_implILS5_6ELb0ES3_mN6thrust23THRUST_200600_302600_NS6detail15normal_iteratorINSA_10device_ptrItEEEEPS6_SG_NS0_5tupleIJSF_S6_EEENSH_IJSG_SG_EEES6_PlJNSB_9not_fun_tINSB_10functional5actorINSM_9compositeIJNSM_27transparent_binary_operatorINSA_8equal_toIvEEEENSN_INSM_8argumentILj0EEEEENSM_5valueItEEEEEEEEEEEE10hipError_tPvRmT3_T4_T5_T6_T7_T9_mT8_P12ihipStream_tbDpT10_ENKUlT_T0_E_clISt17integral_constantIbLb0EES1K_EEDaS1F_S1G_EUlS1F_E_NS1_11comp_targetILNS1_3genE2ELNS1_11target_archE906ELNS1_3gpuE6ELNS1_3repE0EEENS1_30default_config_static_selectorELNS0_4arch9wavefront6targetE0EEEvT1_.uses_flat_scratch, 0
	.set _ZN7rocprim17ROCPRIM_400000_NS6detail17trampoline_kernelINS0_14default_configENS1_25partition_config_selectorILNS1_17partition_subalgoE6EtNS0_10empty_typeEbEEZZNS1_14partition_implILS5_6ELb0ES3_mN6thrust23THRUST_200600_302600_NS6detail15normal_iteratorINSA_10device_ptrItEEEEPS6_SG_NS0_5tupleIJSF_S6_EEENSH_IJSG_SG_EEES6_PlJNSB_9not_fun_tINSB_10functional5actorINSM_9compositeIJNSM_27transparent_binary_operatorINSA_8equal_toIvEEEENSN_INSM_8argumentILj0EEEEENSM_5valueItEEEEEEEEEEEE10hipError_tPvRmT3_T4_T5_T6_T7_T9_mT8_P12ihipStream_tbDpT10_ENKUlT_T0_E_clISt17integral_constantIbLb0EES1K_EEDaS1F_S1G_EUlS1F_E_NS1_11comp_targetILNS1_3genE2ELNS1_11target_archE906ELNS1_3gpuE6ELNS1_3repE0EEENS1_30default_config_static_selectorELNS0_4arch9wavefront6targetE0EEEvT1_.has_dyn_sized_stack, 0
	.set _ZN7rocprim17ROCPRIM_400000_NS6detail17trampoline_kernelINS0_14default_configENS1_25partition_config_selectorILNS1_17partition_subalgoE6EtNS0_10empty_typeEbEEZZNS1_14partition_implILS5_6ELb0ES3_mN6thrust23THRUST_200600_302600_NS6detail15normal_iteratorINSA_10device_ptrItEEEEPS6_SG_NS0_5tupleIJSF_S6_EEENSH_IJSG_SG_EEES6_PlJNSB_9not_fun_tINSB_10functional5actorINSM_9compositeIJNSM_27transparent_binary_operatorINSA_8equal_toIvEEEENSN_INSM_8argumentILj0EEEEENSM_5valueItEEEEEEEEEEEE10hipError_tPvRmT3_T4_T5_T6_T7_T9_mT8_P12ihipStream_tbDpT10_ENKUlT_T0_E_clISt17integral_constantIbLb0EES1K_EEDaS1F_S1G_EUlS1F_E_NS1_11comp_targetILNS1_3genE2ELNS1_11target_archE906ELNS1_3gpuE6ELNS1_3repE0EEENS1_30default_config_static_selectorELNS0_4arch9wavefront6targetE0EEEvT1_.has_recursion, 0
	.set _ZN7rocprim17ROCPRIM_400000_NS6detail17trampoline_kernelINS0_14default_configENS1_25partition_config_selectorILNS1_17partition_subalgoE6EtNS0_10empty_typeEbEEZZNS1_14partition_implILS5_6ELb0ES3_mN6thrust23THRUST_200600_302600_NS6detail15normal_iteratorINSA_10device_ptrItEEEEPS6_SG_NS0_5tupleIJSF_S6_EEENSH_IJSG_SG_EEES6_PlJNSB_9not_fun_tINSB_10functional5actorINSM_9compositeIJNSM_27transparent_binary_operatorINSA_8equal_toIvEEEENSN_INSM_8argumentILj0EEEEENSM_5valueItEEEEEEEEEEEE10hipError_tPvRmT3_T4_T5_T6_T7_T9_mT8_P12ihipStream_tbDpT10_ENKUlT_T0_E_clISt17integral_constantIbLb0EES1K_EEDaS1F_S1G_EUlS1F_E_NS1_11comp_targetILNS1_3genE2ELNS1_11target_archE906ELNS1_3gpuE6ELNS1_3repE0EEENS1_30default_config_static_selectorELNS0_4arch9wavefront6targetE0EEEvT1_.has_indirect_call, 0
	.section	.AMDGPU.csdata,"",@progbits
; Kernel info:
; codeLenInByte = 0
; TotalNumSgprs: 0
; NumVgprs: 0
; ScratchSize: 0
; MemoryBound: 0
; FloatMode: 240
; IeeeMode: 1
; LDSByteSize: 0 bytes/workgroup (compile time only)
; SGPRBlocks: 0
; VGPRBlocks: 0
; NumSGPRsForWavesPerEU: 1
; NumVGPRsForWavesPerEU: 1
; Occupancy: 16
; WaveLimiterHint : 0
; COMPUTE_PGM_RSRC2:SCRATCH_EN: 0
; COMPUTE_PGM_RSRC2:USER_SGPR: 2
; COMPUTE_PGM_RSRC2:TRAP_HANDLER: 0
; COMPUTE_PGM_RSRC2:TGID_X_EN: 1
; COMPUTE_PGM_RSRC2:TGID_Y_EN: 0
; COMPUTE_PGM_RSRC2:TGID_Z_EN: 0
; COMPUTE_PGM_RSRC2:TIDIG_COMP_CNT: 0
	.section	.text._ZN7rocprim17ROCPRIM_400000_NS6detail17trampoline_kernelINS0_14default_configENS1_25partition_config_selectorILNS1_17partition_subalgoE6EtNS0_10empty_typeEbEEZZNS1_14partition_implILS5_6ELb0ES3_mN6thrust23THRUST_200600_302600_NS6detail15normal_iteratorINSA_10device_ptrItEEEEPS6_SG_NS0_5tupleIJSF_S6_EEENSH_IJSG_SG_EEES6_PlJNSB_9not_fun_tINSB_10functional5actorINSM_9compositeIJNSM_27transparent_binary_operatorINSA_8equal_toIvEEEENSN_INSM_8argumentILj0EEEEENSM_5valueItEEEEEEEEEEEE10hipError_tPvRmT3_T4_T5_T6_T7_T9_mT8_P12ihipStream_tbDpT10_ENKUlT_T0_E_clISt17integral_constantIbLb0EES1K_EEDaS1F_S1G_EUlS1F_E_NS1_11comp_targetILNS1_3genE10ELNS1_11target_archE1200ELNS1_3gpuE4ELNS1_3repE0EEENS1_30default_config_static_selectorELNS0_4arch9wavefront6targetE0EEEvT1_,"axG",@progbits,_ZN7rocprim17ROCPRIM_400000_NS6detail17trampoline_kernelINS0_14default_configENS1_25partition_config_selectorILNS1_17partition_subalgoE6EtNS0_10empty_typeEbEEZZNS1_14partition_implILS5_6ELb0ES3_mN6thrust23THRUST_200600_302600_NS6detail15normal_iteratorINSA_10device_ptrItEEEEPS6_SG_NS0_5tupleIJSF_S6_EEENSH_IJSG_SG_EEES6_PlJNSB_9not_fun_tINSB_10functional5actorINSM_9compositeIJNSM_27transparent_binary_operatorINSA_8equal_toIvEEEENSN_INSM_8argumentILj0EEEEENSM_5valueItEEEEEEEEEEEE10hipError_tPvRmT3_T4_T5_T6_T7_T9_mT8_P12ihipStream_tbDpT10_ENKUlT_T0_E_clISt17integral_constantIbLb0EES1K_EEDaS1F_S1G_EUlS1F_E_NS1_11comp_targetILNS1_3genE10ELNS1_11target_archE1200ELNS1_3gpuE4ELNS1_3repE0EEENS1_30default_config_static_selectorELNS0_4arch9wavefront6targetE0EEEvT1_,comdat
	.protected	_ZN7rocprim17ROCPRIM_400000_NS6detail17trampoline_kernelINS0_14default_configENS1_25partition_config_selectorILNS1_17partition_subalgoE6EtNS0_10empty_typeEbEEZZNS1_14partition_implILS5_6ELb0ES3_mN6thrust23THRUST_200600_302600_NS6detail15normal_iteratorINSA_10device_ptrItEEEEPS6_SG_NS0_5tupleIJSF_S6_EEENSH_IJSG_SG_EEES6_PlJNSB_9not_fun_tINSB_10functional5actorINSM_9compositeIJNSM_27transparent_binary_operatorINSA_8equal_toIvEEEENSN_INSM_8argumentILj0EEEEENSM_5valueItEEEEEEEEEEEE10hipError_tPvRmT3_T4_T5_T6_T7_T9_mT8_P12ihipStream_tbDpT10_ENKUlT_T0_E_clISt17integral_constantIbLb0EES1K_EEDaS1F_S1G_EUlS1F_E_NS1_11comp_targetILNS1_3genE10ELNS1_11target_archE1200ELNS1_3gpuE4ELNS1_3repE0EEENS1_30default_config_static_selectorELNS0_4arch9wavefront6targetE0EEEvT1_ ; -- Begin function _ZN7rocprim17ROCPRIM_400000_NS6detail17trampoline_kernelINS0_14default_configENS1_25partition_config_selectorILNS1_17partition_subalgoE6EtNS0_10empty_typeEbEEZZNS1_14partition_implILS5_6ELb0ES3_mN6thrust23THRUST_200600_302600_NS6detail15normal_iteratorINSA_10device_ptrItEEEEPS6_SG_NS0_5tupleIJSF_S6_EEENSH_IJSG_SG_EEES6_PlJNSB_9not_fun_tINSB_10functional5actorINSM_9compositeIJNSM_27transparent_binary_operatorINSA_8equal_toIvEEEENSN_INSM_8argumentILj0EEEEENSM_5valueItEEEEEEEEEEEE10hipError_tPvRmT3_T4_T5_T6_T7_T9_mT8_P12ihipStream_tbDpT10_ENKUlT_T0_E_clISt17integral_constantIbLb0EES1K_EEDaS1F_S1G_EUlS1F_E_NS1_11comp_targetILNS1_3genE10ELNS1_11target_archE1200ELNS1_3gpuE4ELNS1_3repE0EEENS1_30default_config_static_selectorELNS0_4arch9wavefront6targetE0EEEvT1_
	.globl	_ZN7rocprim17ROCPRIM_400000_NS6detail17trampoline_kernelINS0_14default_configENS1_25partition_config_selectorILNS1_17partition_subalgoE6EtNS0_10empty_typeEbEEZZNS1_14partition_implILS5_6ELb0ES3_mN6thrust23THRUST_200600_302600_NS6detail15normal_iteratorINSA_10device_ptrItEEEEPS6_SG_NS0_5tupleIJSF_S6_EEENSH_IJSG_SG_EEES6_PlJNSB_9not_fun_tINSB_10functional5actorINSM_9compositeIJNSM_27transparent_binary_operatorINSA_8equal_toIvEEEENSN_INSM_8argumentILj0EEEEENSM_5valueItEEEEEEEEEEEE10hipError_tPvRmT3_T4_T5_T6_T7_T9_mT8_P12ihipStream_tbDpT10_ENKUlT_T0_E_clISt17integral_constantIbLb0EES1K_EEDaS1F_S1G_EUlS1F_E_NS1_11comp_targetILNS1_3genE10ELNS1_11target_archE1200ELNS1_3gpuE4ELNS1_3repE0EEENS1_30default_config_static_selectorELNS0_4arch9wavefront6targetE0EEEvT1_
	.p2align	8
	.type	_ZN7rocprim17ROCPRIM_400000_NS6detail17trampoline_kernelINS0_14default_configENS1_25partition_config_selectorILNS1_17partition_subalgoE6EtNS0_10empty_typeEbEEZZNS1_14partition_implILS5_6ELb0ES3_mN6thrust23THRUST_200600_302600_NS6detail15normal_iteratorINSA_10device_ptrItEEEEPS6_SG_NS0_5tupleIJSF_S6_EEENSH_IJSG_SG_EEES6_PlJNSB_9not_fun_tINSB_10functional5actorINSM_9compositeIJNSM_27transparent_binary_operatorINSA_8equal_toIvEEEENSN_INSM_8argumentILj0EEEEENSM_5valueItEEEEEEEEEEEE10hipError_tPvRmT3_T4_T5_T6_T7_T9_mT8_P12ihipStream_tbDpT10_ENKUlT_T0_E_clISt17integral_constantIbLb0EES1K_EEDaS1F_S1G_EUlS1F_E_NS1_11comp_targetILNS1_3genE10ELNS1_11target_archE1200ELNS1_3gpuE4ELNS1_3repE0EEENS1_30default_config_static_selectorELNS0_4arch9wavefront6targetE0EEEvT1_,@function
_ZN7rocprim17ROCPRIM_400000_NS6detail17trampoline_kernelINS0_14default_configENS1_25partition_config_selectorILNS1_17partition_subalgoE6EtNS0_10empty_typeEbEEZZNS1_14partition_implILS5_6ELb0ES3_mN6thrust23THRUST_200600_302600_NS6detail15normal_iteratorINSA_10device_ptrItEEEEPS6_SG_NS0_5tupleIJSF_S6_EEENSH_IJSG_SG_EEES6_PlJNSB_9not_fun_tINSB_10functional5actorINSM_9compositeIJNSM_27transparent_binary_operatorINSA_8equal_toIvEEEENSN_INSM_8argumentILj0EEEEENSM_5valueItEEEEEEEEEEEE10hipError_tPvRmT3_T4_T5_T6_T7_T9_mT8_P12ihipStream_tbDpT10_ENKUlT_T0_E_clISt17integral_constantIbLb0EES1K_EEDaS1F_S1G_EUlS1F_E_NS1_11comp_targetILNS1_3genE10ELNS1_11target_archE1200ELNS1_3gpuE4ELNS1_3repE0EEENS1_30default_config_static_selectorELNS0_4arch9wavefront6targetE0EEEvT1_: ; @_ZN7rocprim17ROCPRIM_400000_NS6detail17trampoline_kernelINS0_14default_configENS1_25partition_config_selectorILNS1_17partition_subalgoE6EtNS0_10empty_typeEbEEZZNS1_14partition_implILS5_6ELb0ES3_mN6thrust23THRUST_200600_302600_NS6detail15normal_iteratorINSA_10device_ptrItEEEEPS6_SG_NS0_5tupleIJSF_S6_EEENSH_IJSG_SG_EEES6_PlJNSB_9not_fun_tINSB_10functional5actorINSM_9compositeIJNSM_27transparent_binary_operatorINSA_8equal_toIvEEEENSN_INSM_8argumentILj0EEEEENSM_5valueItEEEEEEEEEEEE10hipError_tPvRmT3_T4_T5_T6_T7_T9_mT8_P12ihipStream_tbDpT10_ENKUlT_T0_E_clISt17integral_constantIbLb0EES1K_EEDaS1F_S1G_EUlS1F_E_NS1_11comp_targetILNS1_3genE10ELNS1_11target_archE1200ELNS1_3gpuE4ELNS1_3repE0EEENS1_30default_config_static_selectorELNS0_4arch9wavefront6targetE0EEEvT1_
; %bb.0:
	v_dual_mov_b32 v1, 0 :: v_dual_lshlrev_b32 v18, 1, v0
	s_clause 0x3
	s_load_b128 s[4:7], s[0:1], 0x8
	s_load_b128 s[20:23], s[0:1], 0x40
	s_load_b32 s10, s[0:1], 0x68
	s_load_b64 s[2:3], s[0:1], 0x50
	global_load_b32 v17, v1, s[0:1] offset:110
	s_wait_kmcnt 0x0
	s_lshl_b64 s[8:9], s[6:7], 1
	s_load_b64 s[22:23], s[22:23], 0x0
	s_add_nc_u64 s[8:9], s[4:5], s[8:9]
	s_mul_i32 s4, s10, 0x1b00
	s_mov_b32 s5, 0
	s_add_co_i32 s12, s10, -1
	s_add_nc_u64 s[10:11], s[6:7], s[4:5]
	s_add_co_i32 s4, s4, s6
	v_cmp_le_u64_e64 s3, s[2:3], s[10:11]
	s_sub_co_i32 s27, s2, s4
	s_cmp_eq_u32 ttmp9, s12
	s_mul_i32 s2, ttmp9, 0x1b00
	s_cselect_b32 s24, -1, 0
	s_mov_b32 s4, -1
	s_and_b32 s6, s24, s3
	s_mov_b32 s3, s5
	s_xor_b32 s25, s6, -1
	s_wait_alu 0xfffe
	s_lshl_b64 s[2:3], s[2:3], 1
	s_and_b32 vcc_lo, exec_lo, s25
	s_wait_alu 0xfffe
	s_add_nc_u64 s[2:3], s[8:9], s[2:3]
	s_cbranch_vccz .LBB151_2
; %bb.1:
	s_wait_alu 0xfffe
	v_add_co_u32 v1, s4, s2, v18
	s_delay_alu instid0(VALU_DEP_1)
	v_add_co_ci_u32_e64 v2, null, s3, 0, s4
	s_mov_b32 s4, 0
	s_clause 0x11
	flat_load_u16 v3, v[1:2]
	flat_load_u16 v4, v[1:2] offset:768
	flat_load_u16 v5, v[1:2] offset:1536
	;; [unrolled: 1-line block ×17, first 2 shown]
	s_wait_loadcnt_dscnt 0x1111
	ds_store_b16 v18, v3
	s_wait_loadcnt_dscnt 0x1011
	ds_store_b16 v18, v4 offset:768
	s_wait_loadcnt_dscnt 0xf11
	ds_store_b16 v18, v5 offset:1536
	;; [unrolled: 2-line block ×17, first 2 shown]
	s_wait_dscnt 0x0
	s_barrier_signal -1
	s_barrier_wait -1
.LBB151_2:
	s_wait_alu 0xfffe
	s_and_not1_b32 vcc_lo, exec_lo, s4
	s_addk_co_i32 s27, 0x1b00
	s_cbranch_vccnz .LBB151_40
; %bb.3:
	v_mov_b32_e32 v1, 0
	s_mov_b32 s4, exec_lo
	s_delay_alu instid0(VALU_DEP_1)
	v_dual_mov_b32 v2, v1 :: v_dual_mov_b32 v3, v1
	v_dual_mov_b32 v4, v1 :: v_dual_mov_b32 v5, v1
	;; [unrolled: 1-line block ×4, first 2 shown]
	v_cmpx_gt_u32_e64 s27, v0
	s_cbranch_execz .LBB151_5
; %bb.4:
	v_add_co_u32 v3, s5, s2, v18
	s_wait_alu 0xf1ff
	v_add_co_ci_u32_e64 v4, null, s3, 0, s5
	v_mov_b32_e32 v2, v1
	v_dual_mov_b32 v6, v1 :: v_dual_mov_b32 v7, v1
	v_dual_mov_b32 v5, v1 :: v_dual_mov_b32 v8, v1
	v_mov_b32_e32 v9, v1
	flat_load_d16_b16 v2, v[3:4]
	v_dual_mov_b32 v3, v1 :: v_dual_mov_b32 v4, v1
	v_mov_b32_e32 v10, v1
	s_wait_loadcnt_dscnt 0x0
	v_mov_b32_e32 v1, v2
	s_delay_alu instid0(VALU_DEP_3)
	v_mov_b32_e32 v2, v3
	v_mov_b32_e32 v3, v4
	;; [unrolled: 1-line block ×15, first 2 shown]
.LBB151_5:
	s_wait_alu 0xfffe
	s_or_b32 exec_lo, exec_lo, s4
	v_add_nc_u32_e32 v10, 0x180, v0
	s_mov_b32 s4, exec_lo
	s_delay_alu instid0(VALU_DEP_1)
	v_cmpx_gt_u32_e64 s27, v10
	s_cbranch_execz .LBB151_7
; %bb.6:
	v_add_co_u32 v10, s5, s2, v18
	s_wait_alu 0xf1ff
	v_add_co_ci_u32_e64 v11, null, s3, 0, s5
	flat_load_d16_hi_b16 v1, v[10:11] offset:768
.LBB151_7:
	s_wait_alu 0xfffe
	s_or_b32 exec_lo, exec_lo, s4
	v_add_nc_u32_e32 v10, 0x300, v0
	s_mov_b32 s4, exec_lo
	s_delay_alu instid0(VALU_DEP_1)
	v_cmpx_gt_u32_e64 s27, v10
	s_cbranch_execz .LBB151_9
; %bb.8:
	v_add_co_u32 v10, s5, s2, v18
	s_wait_alu 0xf1ff
	v_add_co_ci_u32_e64 v11, null, s3, 0, s5
	flat_load_d16_b16 v2, v[10:11] offset:1536
.LBB151_9:
	s_wait_alu 0xfffe
	s_or_b32 exec_lo, exec_lo, s4
	v_add_nc_u32_e32 v10, 0x480, v0
	s_mov_b32 s4, exec_lo
	s_delay_alu instid0(VALU_DEP_1)
	v_cmpx_gt_u32_e64 s27, v10
	s_cbranch_execz .LBB151_11
; %bb.10:
	v_add_co_u32 v10, s5, s2, v18
	s_wait_alu 0xf1ff
	v_add_co_ci_u32_e64 v11, null, s3, 0, s5
	s_wait_loadcnt_dscnt 0x0
	flat_load_d16_hi_b16 v2, v[10:11] offset:2304
.LBB151_11:
	s_wait_alu 0xfffe
	s_or_b32 exec_lo, exec_lo, s4
	v_or_b32_e32 v10, 0x600, v0
	s_mov_b32 s4, exec_lo
	s_delay_alu instid0(VALU_DEP_1)
	v_cmpx_gt_u32_e64 s27, v10
	s_cbranch_execz .LBB151_13
; %bb.12:
	v_add_co_u32 v10, s5, s2, v18
	s_wait_alu 0xf1ff
	v_add_co_ci_u32_e64 v11, null, s3, 0, s5
	flat_load_d16_b16 v3, v[10:11] offset:3072
.LBB151_13:
	s_wait_alu 0xfffe
	s_or_b32 exec_lo, exec_lo, s4
	v_add_nc_u32_e32 v10, 0x780, v0
	s_mov_b32 s4, exec_lo
	s_delay_alu instid0(VALU_DEP_1)
	v_cmpx_gt_u32_e64 s27, v10
	s_cbranch_execz .LBB151_15
; %bb.14:
	v_add_co_u32 v10, s5, s2, v18
	s_wait_alu 0xf1ff
	v_add_co_ci_u32_e64 v11, null, s3, 0, s5
	s_wait_loadcnt_dscnt 0x0
	flat_load_d16_hi_b16 v3, v[10:11] offset:3840
.LBB151_15:
	s_wait_alu 0xfffe
	s_or_b32 exec_lo, exec_lo, s4
	v_add_nc_u32_e32 v10, 0x900, v0
	s_mov_b32 s4, exec_lo
	s_delay_alu instid0(VALU_DEP_1)
	v_cmpx_gt_u32_e64 s27, v10
	s_cbranch_execz .LBB151_17
; %bb.16:
	v_add_co_u32 v10, s5, s2, v18
	s_wait_alu 0xf1ff
	v_add_co_ci_u32_e64 v11, null, s3, 0, s5
	flat_load_d16_b16 v4, v[10:11] offset:4608
.LBB151_17:
	s_wait_alu 0xfffe
	s_or_b32 exec_lo, exec_lo, s4
	v_add_nc_u32_e32 v10, 0xa80, v0
	s_mov_b32 s4, exec_lo
	s_delay_alu instid0(VALU_DEP_1)
	v_cmpx_gt_u32_e64 s27, v10
	s_cbranch_execz .LBB151_19
; %bb.18:
	v_add_co_u32 v10, s5, s2, v18
	s_wait_alu 0xf1ff
	v_add_co_ci_u32_e64 v11, null, s3, 0, s5
	s_wait_loadcnt_dscnt 0x0
	flat_load_d16_hi_b16 v4, v[10:11] offset:5376
.LBB151_19:
	s_wait_alu 0xfffe
	s_or_b32 exec_lo, exec_lo, s4
	v_or_b32_e32 v10, 0xc00, v0
	s_mov_b32 s4, exec_lo
	s_delay_alu instid0(VALU_DEP_1)
	v_cmpx_gt_u32_e64 s27, v10
	s_cbranch_execz .LBB151_21
; %bb.20:
	v_add_co_u32 v10, s5, s2, v18
	s_wait_alu 0xf1ff
	v_add_co_ci_u32_e64 v11, null, s3, 0, s5
	flat_load_d16_b16 v5, v[10:11] offset:6144
.LBB151_21:
	s_wait_alu 0xfffe
	s_or_b32 exec_lo, exec_lo, s4
	v_add_nc_u32_e32 v10, 0xd80, v0
	s_mov_b32 s4, exec_lo
	s_delay_alu instid0(VALU_DEP_1)
	v_cmpx_gt_u32_e64 s27, v10
	s_cbranch_execz .LBB151_23
; %bb.22:
	v_add_co_u32 v10, s5, s2, v18
	s_wait_alu 0xf1ff
	v_add_co_ci_u32_e64 v11, null, s3, 0, s5
	s_wait_loadcnt_dscnt 0x0
	flat_load_d16_hi_b16 v5, v[10:11] offset:6912
.LBB151_23:
	;; [unrolled: 54-line block ×4, first 2 shown]
	s_wait_alu 0xfffe
	s_or_b32 exec_lo, exec_lo, s4
	s_wait_loadcnt_dscnt 0x0
	ds_store_b16 v18, v1
	ds_store_b16_d16_hi v18, v1 offset:768
	ds_store_b16 v18, v2 offset:1536
	ds_store_b16_d16_hi v18, v2 offset:2304
	ds_store_b16 v18, v3 offset:3072
	;; [unrolled: 2-line block ×8, first 2 shown]
	ds_store_b16_d16_hi v18, v9 offset:13056
	s_wait_dscnt 0x0
	s_barrier_signal -1
	s_barrier_wait -1
.LBB151_40:
	v_mul_u32_u24_e32 v5, 18, v0
	s_wait_loadcnt 0x0
	global_inv scope:SCOPE_SE
	s_and_not1_b32 vcc_lo, exec_lo, s25
	v_lshlrev_b32_e32 v6, 1, v5
	ds_load_u16 v51, v6 offset:4
	ds_load_u16 v50, v6 offset:34
	ds_load_b32 v52, v6
	ds_load_b128 v[1:4], v6 offset:6
	ds_load_b96 v[13:15], v6 offset:22
	v_lshrrev_b32_e32 v6, 16, v17
	s_wait_loadcnt_dscnt 0x0
	s_barrier_signal -1
	s_barrier_wait -1
	global_inv scope:SCOPE_SE
	v_cmp_ne_u16_e64 s2, v51, v6
	v_cmp_ne_u16_e64 s26, v50, v6
	;; [unrolled: 1-line block ×3, first 2 shown]
	v_lshrrev_b32_e32 v17, 16, v52
	v_cmp_ne_u16_e64 s8, v1, v6
	v_lshrrev_b32_e32 v16, 16, v1
	v_cmp_ne_u16_e64 s10, v2, v6
	;; [unrolled: 2-line block ×7, first 2 shown]
	v_lshrrev_b32_e32 v7, 16, v15
	s_cbranch_vccnz .LBB151_42
; %bb.41:
	v_cmp_ne_u16_e32 vcc_lo, v17, v6
	v_cndmask_b32_e64 v20, 0, 1, s8
	s_wait_alu 0xf1ff
	v_cndmask_b32_e64 v19, 0, 1, s10
	v_cndmask_b32_e64 v26, 0, 1, s3
	;; [unrolled: 1-line block ×3, first 2 shown]
	v_cndmask_b32_e64 v18, 0, 1, vcc_lo
	v_lshlrev_b16 v20, 8, v20
	v_cmp_ne_u16_e32 vcc_lo, v16, v6
	v_lshlrev_b16 v19, 8, v19
	v_cndmask_b32_e64 v22, 0, 1, s7
	v_lshlrev_b16 v18, 8, v18
	v_lshrrev_b32_e32 v20, 8, v20
	s_wait_alu 0xfffd
	v_cndmask_b32_e64 v28, 0, 1, vcc_lo
	v_cmp_ne_u16_e32 vcc_lo, v12, v6
	v_lshrrev_b32_e32 v19, 8, v19
	v_lshrrev_b32_e32 v18, 8, v18
	v_lshlrev_b16 v20, 8, v20
	v_cndmask_b32_e64 v23, 0, 1, s6
	v_cndmask_b32_e64 v24, 0, 1, s4
	v_lshlrev_b16 v19, 8, v19
	v_lshlrev_b16 v18, 8, v18
	v_or_b32_e32 v20, v27, v20
	v_lshlrev_b16 v22, 8, v22
	v_lshlrev_b16 v23, 8, v23
	;; [unrolled: 1-line block ×3, first 2 shown]
	v_or_b32_e32 v18, v26, v18
	s_wait_alu 0xfffd
	v_cndmask_b32_e64 v26, 0, 1, vcc_lo
	v_cmp_ne_u16_e32 vcc_lo, v11, v6
	v_or_b32_e32 v19, v28, v19
	v_cndmask_b32_e64 v21, 0, 1, s9
	v_cndmask_b32_e64 v25, 0, 1, s5
	v_lshrrev_b32_e32 v24, 8, v24
	s_wait_alu 0xfffd
	v_cndmask_b32_e64 v27, 0, 1, vcc_lo
	v_cmp_ne_u16_e32 vcc_lo, v10, v6
	v_lshrrev_b32_e32 v22, 8, v22
	v_lshrrev_b32_e32 v23, 8, v23
	v_lshlrev_b16 v21, 8, v21
	v_lshlrev_b16 v25, 8, v25
	s_wait_alu 0xfffd
	v_cndmask_b32_e64 v28, 0, 1, vcc_lo
	v_cmp_ne_u16_e32 vcc_lo, v9, v6
	v_lshlrev_b16 v22, 8, v22
	v_lshlrev_b16 v23, 8, v23
	;; [unrolled: 1-line block ×3, first 2 shown]
	v_or_b32_e32 v21, v26, v21
	s_wait_alu 0xfffd
	v_cndmask_b32_e64 v29, 0, 1, vcc_lo
	v_cmp_ne_u16_e32 vcc_lo, v8, v6
	v_or_b32_e32 v22, v27, v22
	v_or_b32_e32 v23, v28, v23
	v_and_b32_e32 v18, 0xffff, v18
	v_or_b32_e32 v24, v29, v24
	s_wait_alu 0xfffd
	v_cndmask_b32_e64 v30, 0, 1, vcc_lo
	v_lshlrev_b32_e32 v20, 16, v20
	v_and_b32_e32 v19, 0xffff, v19
	v_lshlrev_b32_e32 v21, 16, v21
	v_and_b32_e32 v22, 0xffff, v22
	v_or_b32_e32 v25, v30, v25
	v_lshlrev_b32_e32 v23, 16, v23
	v_and_b32_e32 v24, 0xffff, v24
	v_cmp_ne_u16_e32 vcc_lo, v7, v6
	v_or_b32_e32 v48, v18, v20
	v_lshlrev_b32_e32 v25, 16, v25
	v_or_b32_e32 v57, v19, v21
	v_or_b32_e32 v55, v22, v23
	s_wait_alu 0xfffd
	v_cndmask_b32_e64 v53, 0, 1, vcc_lo
	v_or_b32_e32 v54, v24, v25
	s_cbranch_execz .LBB151_43
	s_branch .LBB151_44
.LBB151_42:
                                        ; implicit-def: $sgpr26
                                        ; implicit-def: $vgpr53
                                        ; implicit-def: $vgpr54
                                        ; implicit-def: $vgpr55
                                        ; implicit-def: $vgpr57
                                        ; implicit-def: $vgpr48
.LBB151_43:
	v_or_b32_e32 v18, 1, v5
	v_cmp_ne_u16_e32 vcc_lo, v17, v6
	v_add_nc_u32_e32 v19, 3, v5
	v_add_nc_u32_e32 v17, 2, v5
	v_cmp_ne_u16_e64 s9, v2, v6
	v_cmp_gt_u32_e64 s4, s27, v18
	v_add_nc_u32_e32 v18, 4, v5
	v_cmp_gt_u32_e64 s7, s27, v19
	v_cmp_gt_u32_e64 s6, s27, v17
	v_add_nc_u32_e32 v17, 7, v5
	s_and_b32 s4, s4, vcc_lo
	v_cmp_ne_u16_e32 vcc_lo, v1, v6
	v_cmp_gt_u32_e64 s8, s27, v18
	v_add_nc_u32_e32 v18, 5, v5
	s_wait_alu 0xfffe
	v_cndmask_b32_e64 v20, 0, 1, s4
	v_cmp_ne_u16_e64 s4, v16, v6
	s_and_b32 s7, s7, vcc_lo
	v_cmp_ne_u16_e32 vcc_lo, v3, v6
	s_wait_alu 0xfffe
	v_cndmask_b32_e64 v19, 0, 1, s7
	v_cmp_gt_u32_e64 s7, s27, v17
	v_cmp_gt_u32_e64 s10, s27, v18
	v_lshlrev_b16 v16, 8, v20
	v_add_nc_u32_e32 v18, 6, v5
	v_lshlrev_b16 v17, 8, v19
	s_and_b32 s7, s7, vcc_lo
	v_cmp_ne_u16_e32 vcc_lo, v12, v6
	s_wait_alu 0xfffe
	v_cndmask_b32_e64 v19, 0, 1, s7
	s_and_b32 s7, s10, s9
	v_add_nc_u32_e32 v12, 8, v5
	s_wait_alu 0xfffe
	v_cndmask_b32_e64 v20, 0, 1, s7
	v_cmp_gt_u32_e64 s7, s27, v18
	v_lshlrev_b16 v18, 8, v19
	v_cmp_ne_u16_e64 s9, v11, v6
	v_cmp_gt_u32_e64 s10, s27, v12
	v_lshlrev_b16 v19, 8, v20
	v_add_nc_u32_e32 v11, 9, v5
	v_lshrrev_b32_e32 v12, 8, v18
	v_cmp_ne_u16_e64 s11, v4, v6
	v_cmp_ne_u16_e64 s14, v13, v6
	v_lshrrev_b32_e32 v18, 8, v19
	v_add_nc_u32_e32 v19, 11, v5
	v_cmp_gt_u32_e64 s12, s27, v11
	v_add_nc_u32_e32 v11, 10, v5
	v_cmp_ne_u16_e64 s13, v10, v6
	v_cmp_ne_u16_e64 s17, v15, v6
	v_cmp_gt_u32_e64 s15, s27, v19
	s_and_b32 s11, s12, s11
	v_cmp_ne_u16_e64 s2, v52, v6
	s_wait_alu 0xfffe
	v_cndmask_b32_e64 v10, 0, 1, s11
	v_cmp_gt_u32_e64 s11, s27, v11
	s_and_b32 s12, s15, s14
	v_add_nc_u32_e32 v11, 12, v5
	v_cndmask_b32_e64 v19, 0, 1, s12
	v_cmp_ne_u16_e64 s12, v9, v6
	v_add_nc_u32_e32 v9, 13, v5
	v_cmp_ne_u16_e64 s15, v14, v6
	v_cmp_gt_u32_e64 s14, s27, v11
	v_lshlrev_b16 v11, 8, v19
	v_add_nc_u32_e32 v19, 15, v5
	v_cmp_gt_u32_e64 s16, s27, v9
	v_cmp_gt_u32_e64 s3, s27, v5
	v_cmp_ne_u16_e64 s5, v51, v6
	v_cmp_ne_u16_e64 s19, v8, v6
	v_cmp_gt_u32_e64 s18, s27, v19
	s_and_b32 s15, s16, s15
	v_add_nc_u32_e32 v8, 16, v5
	v_cndmask_b32_e64 v9, 0, 1, s15
	s_and_b32 s2, s3, s2
	s_and_b32 s15, s18, s17
	v_add_nc_u32_e32 v20, 14, v5
	s_wait_alu 0xfffe
	v_cndmask_b32_e64 v19, 0, 1, s15
	v_cmp_ne_u16_e64 s15, v7, v6
	v_lshlrev_b16 v7, 8, v9
	v_lshrrev_b32_e32 v9, 8, v16
	v_lshrrev_b32_e32 v16, 8, v17
	v_cndmask_b32_e64 v17, 0, 1, s2
	s_and_b32 s2, s6, s5
	v_cmp_gt_u32_e64 s16, s27, v8
	v_lshlrev_b16 v8, 8, v19
	v_lshlrev_b16 v16, 8, v16
	s_wait_alu 0xfffe
	v_cndmask_b32_e64 v19, 0, 1, s2
	s_and_b32 s2, s8, s4
	v_cmp_gt_u32_e64 s17, s27, v20
	v_lshlrev_b16 v9, 8, v9
	v_lshlrev_b16 v18, 8, v18
	s_wait_alu 0xfffe
	v_cndmask_b32_e64 v20, 0, 1, s2
	v_or_b32_e32 v16, v19, v16
	v_add_nc_u32_e32 v5, 17, v5
	v_or_b32_e32 v9, v17, v9
	v_lshlrev_b16 v10, 8, v10
	v_or_b32_e32 v17, v20, v18
	s_and_b32 s4, s7, vcc_lo
	v_cmp_ne_u16_e64 s3, v50, v6
	v_lshlrev_b32_e32 v6, 16, v16
	s_wait_alu 0xfffe
	v_cndmask_b32_e64 v16, 0, 1, s4
	s_and_b32 s4, s10, s9
	v_cmp_gt_u32_e64 s2, s27, v5
	v_and_b32_e32 v5, 0xffff, v9
	v_and_b32_e32 v9, 0xffff, v17
	s_wait_alu 0xfffe
	v_cndmask_b32_e64 v17, 0, 1, s4
	s_and_b32 s4, s11, s13
	v_lshrrev_b32_e32 v8, 8, v8
	v_lshrrev_b32_e32 v7, 8, v7
	;; [unrolled: 1-line block ×4, first 2 shown]
	s_wait_alu 0xfffe
	v_cndmask_b32_e64 v18, 0, 1, s4
	s_and_b32 s4, s14, s12
	v_lshlrev_b16 v12, 8, v12
	s_wait_alu 0xfffe
	v_cndmask_b32_e64 v19, 0, 1, s4
	s_and_b32 s4, s17, s19
	v_lshlrev_b16 v10, 8, v10
	v_lshlrev_b16 v11, 8, v11
	;; [unrolled: 1-line block ×4, first 2 shown]
	s_wait_alu 0xfffe
	v_cndmask_b32_e64 v20, 0, 1, s4
	v_or_b32_e32 v12, v16, v12
	v_or_b32_e32 v10, v17, v10
	;; [unrolled: 1-line block ×5, first 2 shown]
	v_lshlrev_b32_e32 v12, 16, v12
	v_and_b32_e32 v10, 0xffff, v10
	v_lshlrev_b32_e32 v11, 16, v11
	v_and_b32_e32 v7, 0xffff, v7
	v_lshlrev_b32_e32 v8, 16, v8
	s_and_b32 s15, s16, s15
	s_and_b32 s2, s2, s3
	s_wait_alu 0xfffe
	v_cndmask_b32_e64 v53, 0, 1, s15
	v_or_b32_e32 v48, v5, v6
	v_or_b32_e32 v57, v9, v12
	;; [unrolled: 1-line block ×4, first 2 shown]
	s_and_not1_b32 s3, s26, exec_lo
	s_and_b32 s2, s2, exec_lo
	s_wait_alu 0xfffe
	s_or_b32 s26, s3, s2
.LBB151_44:
	v_dual_mov_b32 v6, 0 :: v_dual_and_b32 v25, 0xff, v48
	v_bfe_u32 v24, v48, 8, 8
	s_wait_alu 0xfffe
	v_cndmask_b32_e64 v5, 0, 1, s26
	v_bfe_u32 v31, v48, 16, 8
	v_lshrrev_b32_e32 v60, 24, v48
	v_and_b32_e32 v30, 0xff, v57
	v_bfe_u32 v29, v57, 8, 8
	v_add3_u32 v5, v25, v5, v24
	v_bfe_u32 v28, v57, 16, 8
	v_lshrrev_b32_e32 v59, 24, v57
	v_and_b32_e32 v27, 0xff, v55
	v_bfe_u32 v26, v55, 8, 8
	v_add_co_u32 v5, s2, v5, v31
	s_wait_alu 0xf1ff
	v_add_co_ci_u32_e64 v7, null, 0, 0, s2
	v_bfe_u32 v64, v55, 16, 8
	s_delay_alu instid0(VALU_DEP_3) | instskip(SKIP_1) | instid1(VALU_DEP_3)
	v_add_co_u32 v5, vcc_lo, v5, v60
	s_wait_alu 0xfffd
	v_add_co_ci_u32_e64 v7, null, 0, v7, vcc_lo
	v_lshrrev_b32_e32 v58, 24, v55
	s_delay_alu instid0(VALU_DEP_3) | instskip(SKIP_1) | instid1(VALU_DEP_3)
	v_add_co_u32 v5, vcc_lo, v5, v30
	s_wait_alu 0xfffd
	v_add_co_ci_u32_e64 v7, null, 0, v7, vcc_lo
	v_and_b32_e32 v63, 0xff, v54
	s_delay_alu instid0(VALU_DEP_3) | instskip(SKIP_1) | instid1(VALU_DEP_3)
	v_add_co_u32 v5, vcc_lo, v5, v29
	s_wait_alu 0xfffd
	v_add_co_ci_u32_e64 v7, null, 0, v7, vcc_lo
	v_bfe_u32 v62, v54, 8, 8
	s_delay_alu instid0(VALU_DEP_3) | instskip(SKIP_1) | instid1(VALU_DEP_3)
	v_add_co_u32 v5, vcc_lo, v5, v28
	s_wait_alu 0xfffd
	v_add_co_ci_u32_e64 v7, null, 0, v7, vcc_lo
	v_bfe_u32 v61, v54, 16, 8
	s_delay_alu instid0(VALU_DEP_3) | instskip(SKIP_1) | instid1(VALU_DEP_3)
	v_add_co_u32 v5, vcc_lo, v5, v59
	s_wait_alu 0xfffd
	v_add_co_ci_u32_e64 v7, null, 0, v7, vcc_lo
	s_load_b64 s[6:7], s[0:1], 0x60
	v_add_co_u32 v5, vcc_lo, v5, v27
	s_wait_alu 0xfffd
	v_add_co_ci_u32_e64 v7, null, 0, v7, vcc_lo
	v_lshrrev_b32_e32 v56, 24, v54
	s_delay_alu instid0(VALU_DEP_3) | instskip(SKIP_1) | instid1(VALU_DEP_3)
	v_add_co_u32 v5, vcc_lo, v5, v26
	s_wait_alu 0xfffd
	v_add_co_ci_u32_e64 v7, null, 0, v7, vcc_lo
	v_mbcnt_lo_u32_b32 v32, -1, 0
	s_delay_alu instid0(VALU_DEP_3) | instskip(SKIP_1) | instid1(VALU_DEP_3)
	v_add_co_u32 v5, vcc_lo, v5, v64
	s_wait_alu 0xfffd
	v_add_co_ci_u32_e64 v7, null, 0, v7, vcc_lo
	v_and_b32_e32 v49, 0xff, v53
	s_delay_alu instid0(VALU_DEP_3) | instskip(SKIP_1) | instid1(VALU_DEP_3)
	v_add_co_u32 v5, vcc_lo, v5, v58
	s_wait_alu 0xfffd
	v_add_co_ci_u32_e64 v7, null, 0, v7, vcc_lo
	v_and_b32_e32 v33, 15, v32
	s_delay_alu instid0(VALU_DEP_3) | instskip(SKIP_1) | instid1(VALU_DEP_3)
	v_add_co_u32 v5, vcc_lo, v5, v63
	s_wait_alu 0xfffd
	v_add_co_ci_u32_e64 v7, null, 0, v7, vcc_lo
	s_delay_alu instid0(VALU_DEP_3) | instskip(NEXT) | instid1(VALU_DEP_3)
	v_cmp_ne_u32_e64 s2, 0, v33
	v_add_co_u32 v5, vcc_lo, v5, v62
	s_wait_alu 0xfffd
	s_delay_alu instid0(VALU_DEP_3)
	v_add_co_ci_u32_e64 v7, null, 0, v7, vcc_lo
	s_cmp_lg_u32 ttmp9, 0
	v_add_co_u32 v5, vcc_lo, v5, v61
	s_wait_alu 0xfffd
	v_add_co_ci_u32_e64 v7, null, 0, v7, vcc_lo
	s_mov_b32 s3, -1
	v_add_co_u32 v5, vcc_lo, v5, v56
	s_wait_alu 0xfffd
	v_add_co_ci_u32_e64 v7, null, 0, v7, vcc_lo
	s_delay_alu instid0(VALU_DEP_2) | instskip(SKIP_1) | instid1(VALU_DEP_2)
	v_add_co_u32 v16, vcc_lo, v5, v49
	s_wait_alu 0xfffd
	v_add_co_ci_u32_e64 v17, null, 0, v7, vcc_lo
	s_cbranch_scc0 .LBB151_103
; %bb.45:
	v_mov_b32_e32 v7, v16
	v_mov_b32_dpp v5, v16 row_shr:1 row_mask:0xf bank_mask:0xf
	v_mov_b32_dpp v10, v6 row_shr:1 row_mask:0xf bank_mask:0xf
	v_dual_mov_b32 v9, v16 :: v_dual_mov_b32 v8, v17
	s_and_saveexec_b32 s3, s2
; %bb.46:
	s_delay_alu instid0(VALU_DEP_3) | instskip(SKIP_2) | instid1(VALU_DEP_2)
	v_add_co_u32 v9, vcc_lo, v16, v5
	s_wait_alu 0xfffd
	v_add_co_ci_u32_e64 v6, null, 0, v17, vcc_lo
	v_add_co_u32 v5, vcc_lo, 0, v9
	s_wait_alu 0xfffd
	s_delay_alu instid0(VALU_DEP_2) | instskip(NEXT) | instid1(VALU_DEP_1)
	v_add_co_ci_u32_e64 v6, null, v10, v6, vcc_lo
	v_dual_mov_b32 v8, v6 :: v_dual_mov_b32 v7, v5
; %bb.47:
	s_wait_alu 0xfffe
	s_or_b32 exec_lo, exec_lo, s3
	v_mov_b32_dpp v5, v9 row_shr:2 row_mask:0xf bank_mask:0xf
	v_mov_b32_dpp v10, v6 row_shr:2 row_mask:0xf bank_mask:0xf
	v_cmp_lt_u32_e32 vcc_lo, 1, v33
	s_and_saveexec_b32 s4, vcc_lo
; %bb.48:
	s_delay_alu instid0(VALU_DEP_3) | instskip(SKIP_2) | instid1(VALU_DEP_2)
	v_add_co_u32 v9, s3, v7, v5
	s_wait_alu 0xf1ff
	v_add_co_ci_u32_e64 v6, null, 0, v8, s3
	v_add_co_u32 v5, s3, 0, v9
	s_wait_alu 0xf1ff
	s_delay_alu instid0(VALU_DEP_2) | instskip(NEXT) | instid1(VALU_DEP_1)
	v_add_co_ci_u32_e64 v6, null, v10, v6, s3
	v_dual_mov_b32 v8, v6 :: v_dual_mov_b32 v7, v5
; %bb.49:
	s_wait_alu 0xfffe
	s_or_b32 exec_lo, exec_lo, s4
	v_mov_b32_dpp v5, v9 row_shr:4 row_mask:0xf bank_mask:0xf
	v_mov_b32_dpp v10, v6 row_shr:4 row_mask:0xf bank_mask:0xf
	v_cmp_lt_u32_e64 s3, 3, v33
	s_and_saveexec_b32 s5, s3
; %bb.50:
	v_add_co_u32 v9, s4, v7, v5
	s_wait_alu 0xf1ff
	v_add_co_ci_u32_e64 v6, null, 0, v8, s4
	s_delay_alu instid0(VALU_DEP_2) | instskip(SKIP_1) | instid1(VALU_DEP_2)
	v_add_co_u32 v5, s4, 0, v9
	s_wait_alu 0xf1ff
	v_add_co_ci_u32_e64 v6, null, v10, v6, s4
	s_delay_alu instid0(VALU_DEP_1)
	v_dual_mov_b32 v8, v6 :: v_dual_mov_b32 v7, v5
; %bb.51:
	s_wait_alu 0xfffe
	s_or_b32 exec_lo, exec_lo, s5
	v_mov_b32_dpp v10, v9 row_shr:8 row_mask:0xf bank_mask:0xf
	v_mov_b32_dpp v5, v6 row_shr:8 row_mask:0xf bank_mask:0xf
	v_cmp_lt_u32_e64 s4, 7, v33
	s_and_saveexec_b32 s8, s4
; %bb.52:
	v_add_co_u32 v9, s5, v7, v10
	s_wait_alu 0xf1ff
	v_add_co_ci_u32_e64 v6, null, 0, v8, s5
	s_delay_alu instid0(VALU_DEP_2) | instskip(SKIP_1) | instid1(VALU_DEP_2)
	v_add_co_u32 v7, s5, 0, v9
	s_wait_alu 0xf1ff
	v_add_co_ci_u32_e64 v8, null, v5, v6, s5
	s_delay_alu instid0(VALU_DEP_1)
	v_mov_b32_e32 v6, v8
; %bb.53:
	s_wait_alu 0xfffe
	s_or_b32 exec_lo, exec_lo, s8
	ds_swizzle_b32 v5, v9 offset:swizzle(BROADCAST,32,15)
	ds_swizzle_b32 v10, v6 offset:swizzle(BROADCAST,32,15)
	v_and_b32_e32 v11, 16, v32
	s_mov_b32 s8, exec_lo
	s_delay_alu instid0(VALU_DEP_1)
	v_cmpx_ne_u32_e32 0, v11
	s_cbranch_execz .LBB151_55
; %bb.54:
	s_wait_dscnt 0x1
	v_add_co_u32 v9, s5, v7, v5
	s_wait_alu 0xf1ff
	v_add_co_ci_u32_e64 v6, null, 0, v8, s5
	s_delay_alu instid0(VALU_DEP_2) | instskip(SKIP_2) | instid1(VALU_DEP_2)
	v_add_co_u32 v5, s5, 0, v9
	s_wait_dscnt 0x0
	s_wait_alu 0xf1ff
	v_add_co_ci_u32_e64 v6, null, v10, v6, s5
	s_delay_alu instid0(VALU_DEP_1)
	v_dual_mov_b32 v8, v6 :: v_dual_mov_b32 v7, v5
.LBB151_55:
	s_wait_alu 0xfffe
	s_or_b32 exec_lo, exec_lo, s8
	s_wait_dscnt 0x1
	v_and_b32_e32 v5, 0x1e0, v0
	s_mov_b32 s8, exec_lo
	s_delay_alu instid0(VALU_DEP_1) | instskip(SKIP_1) | instid1(VALU_DEP_1)
	v_min_u32_e32 v5, 0x160, v5
	s_wait_dscnt 0x0
	v_or_b32_e32 v10, 31, v5
	v_lshrrev_b32_e32 v5, 5, v0
	s_delay_alu instid0(VALU_DEP_2)
	v_cmpx_eq_u32_e64 v0, v10
; %bb.56:
	s_delay_alu instid0(VALU_DEP_2)
	v_lshlrev_b32_e32 v10, 3, v5
	ds_store_b64 v10, v[7:8]
; %bb.57:
	s_wait_alu 0xfffe
	s_or_b32 exec_lo, exec_lo, s8
	s_delay_alu instid0(SALU_CYCLE_1)
	s_mov_b32 s8, exec_lo
	s_wait_loadcnt_dscnt 0x0
	s_barrier_signal -1
	s_barrier_wait -1
	global_inv scope:SCOPE_SE
	v_cmpx_gt_u32_e32 12, v0
	s_cbranch_execz .LBB151_67
; %bb.58:
	v_lshlrev_b32_e32 v10, 3, v0
	ds_load_b64 v[7:8], v10
	s_wait_dscnt 0x0
	v_mov_b32_dpp v18, v7 row_shr:1 row_mask:0xf bank_mask:0xf
	v_mov_b32_dpp v12, v8 row_shr:1 row_mask:0xf bank_mask:0xf
	v_mov_b32_e32 v11, v7
	s_and_saveexec_b32 s9, s2
; %bb.59:
	s_delay_alu instid0(VALU_DEP_3) | instskip(SKIP_2) | instid1(VALU_DEP_2)
	v_add_co_u32 v11, s5, v7, v18
	s_wait_alu 0xf1ff
	v_add_co_ci_u32_e64 v8, null, 0, v8, s5
	v_add_co_u32 v7, s5, 0, v11
	s_wait_alu 0xf1ff
	s_delay_alu instid0(VALU_DEP_2)
	v_add_co_ci_u32_e64 v8, null, v12, v8, s5
; %bb.60:
	s_wait_alu 0xfffe
	s_or_b32 exec_lo, exec_lo, s9
	v_mov_b32_dpp v18, v11 row_shr:2 row_mask:0xf bank_mask:0xf
	s_delay_alu instid0(VALU_DEP_2)
	v_mov_b32_dpp v12, v8 row_shr:2 row_mask:0xf bank_mask:0xf
	s_and_saveexec_b32 s5, vcc_lo
; %bb.61:
	s_delay_alu instid0(VALU_DEP_2) | instskip(SKIP_2) | instid1(VALU_DEP_2)
	v_add_co_u32 v11, vcc_lo, v7, v18
	s_wait_alu 0xfffd
	v_add_co_ci_u32_e64 v8, null, 0, v8, vcc_lo
	v_add_co_u32 v7, vcc_lo, 0, v11
	s_wait_alu 0xfffd
	s_delay_alu instid0(VALU_DEP_2)
	v_add_co_ci_u32_e64 v8, null, v12, v8, vcc_lo
; %bb.62:
	s_wait_alu 0xfffe
	s_or_b32 exec_lo, exec_lo, s5
	v_mov_b32_dpp v18, v11 row_shr:4 row_mask:0xf bank_mask:0xf
	s_delay_alu instid0(VALU_DEP_2)
	v_mov_b32_dpp v12, v8 row_shr:4 row_mask:0xf bank_mask:0xf
	s_and_saveexec_b32 s5, s3
; %bb.63:
	s_delay_alu instid0(VALU_DEP_2) | instskip(SKIP_2) | instid1(VALU_DEP_2)
	v_add_co_u32 v11, vcc_lo, v7, v18
	s_wait_alu 0xfffd
	v_add_co_ci_u32_e64 v8, null, 0, v8, vcc_lo
	v_add_co_u32 v7, vcc_lo, 0, v11
	s_wait_alu 0xfffd
	s_delay_alu instid0(VALU_DEP_2)
	v_add_co_ci_u32_e64 v8, null, v12, v8, vcc_lo
; %bb.64:
	s_wait_alu 0xfffe
	s_or_b32 exec_lo, exec_lo, s5
	v_mov_b32_dpp v12, v11 row_shr:8 row_mask:0xf bank_mask:0xf
	s_delay_alu instid0(VALU_DEP_2)
	v_mov_b32_dpp v11, v8 row_shr:8 row_mask:0xf bank_mask:0xf
	s_and_saveexec_b32 s3, s4
; %bb.65:
	s_delay_alu instid0(VALU_DEP_2) | instskip(SKIP_2) | instid1(VALU_DEP_2)
	v_add_co_u32 v7, vcc_lo, v7, v12
	s_wait_alu 0xfffd
	v_add_co_ci_u32_e64 v8, null, 0, v8, vcc_lo
	v_add_co_u32 v7, vcc_lo, v7, 0
	s_wait_alu 0xfffd
	s_delay_alu instid0(VALU_DEP_2)
	v_add_co_ci_u32_e64 v8, null, v8, v11, vcc_lo
; %bb.66:
	s_wait_alu 0xfffe
	s_or_b32 exec_lo, exec_lo, s3
	ds_store_b64 v10, v[7:8]
.LBB151_67:
	s_wait_alu 0xfffe
	s_or_b32 exec_lo, exec_lo, s8
	s_delay_alu instid0(SALU_CYCLE_1)
	s_mov_b32 s4, exec_lo
	v_cmp_gt_u32_e32 vcc_lo, 32, v0
	s_wait_loadcnt_dscnt 0x0
	s_barrier_signal -1
	s_barrier_wait -1
	global_inv scope:SCOPE_SE
                                        ; implicit-def: $vgpr18_vgpr19
	v_cmpx_lt_u32_e32 31, v0
	s_cbranch_execz .LBB151_69
; %bb.68:
	v_lshl_add_u32 v5, v5, 3, -8
	ds_load_b64 v[18:19], v5
	s_wait_dscnt 0x0
	v_add_co_u32 v9, s3, v9, v18
	s_wait_alu 0xf1ff
	v_add_co_ci_u32_e64 v6, null, v6, v19, s3
.LBB151_69:
	s_wait_alu 0xfffe
	s_or_b32 exec_lo, exec_lo, s4
	v_sub_co_u32 v5, s3, v32, 1
	s_delay_alu instid0(VALU_DEP_1) | instskip(SKIP_1) | instid1(VALU_DEP_1)
	v_cmp_gt_i32_e64 s4, 0, v5
	s_wait_alu 0xf1ff
	v_cndmask_b32_e64 v5, v5, v32, s4
	s_delay_alu instid0(VALU_DEP_1)
	v_lshlrev_b32_e32 v5, 2, v5
	ds_bpermute_b32 v34, v5, v9
	ds_bpermute_b32 v35, v5, v6
	s_and_saveexec_b32 s4, vcc_lo
	s_cbranch_execz .LBB151_108
; %bb.70:
	v_mov_b32_e32 v8, 0
	ds_load_b64 v[5:6], v8 offset:88
	s_and_saveexec_b32 s5, s3
	s_cbranch_execz .LBB151_72
; %bb.71:
	s_add_co_i32 s8, ttmp9, 32
	s_mov_b32 s9, 0
	s_wait_alu 0xfffe
	s_lshl_b64 s[8:9], s[8:9], 4
	s_wait_kmcnt 0x0
	s_wait_alu 0xfffe
	s_add_nc_u64 s[8:9], s[6:7], s[8:9]
	s_wait_alu 0xfffe
	v_dual_mov_b32 v7, 1 :: v_dual_mov_b32 v10, s9
	v_mov_b32_e32 v9, s8
	s_wait_dscnt 0x0
	;;#ASMSTART
	global_store_b128 v[9:10], v[5:8] off scope:SCOPE_DEV	
s_wait_storecnt 0x0
	;;#ASMEND
.LBB151_72:
	s_wait_alu 0xfffe
	s_or_b32 exec_lo, exec_lo, s5
	v_xad_u32 v20, v32, -1, ttmp9
	s_mov_b32 s8, 0
	s_mov_b32 s5, exec_lo
	s_delay_alu instid0(VALU_DEP_1) | instskip(NEXT) | instid1(VALU_DEP_1)
	v_add_nc_u32_e32 v7, 32, v20
	v_lshlrev_b64_e32 v[7:8], 4, v[7:8]
	s_wait_kmcnt 0x0
	s_delay_alu instid0(VALU_DEP_1) | instskip(SKIP_1) | instid1(VALU_DEP_2)
	v_add_co_u32 v7, vcc_lo, s6, v7
	s_wait_alu 0xfffd
	v_add_co_ci_u32_e64 v8, null, s7, v8, vcc_lo
	;;#ASMSTART
	global_load_b128 v[9:12], v[7:8] off scope:SCOPE_DEV	
s_wait_loadcnt 0x0
	;;#ASMEND
	v_and_b32_e32 v12, 0xff, v11
	s_delay_alu instid0(VALU_DEP_1)
	v_cmpx_eq_u16_e32 0, v12
	s_cbranch_execz .LBB151_75
.LBB151_73:                             ; =>This Inner Loop Header: Depth=1
	;;#ASMSTART
	global_load_b128 v[9:12], v[7:8] off scope:SCOPE_DEV	
s_wait_loadcnt 0x0
	;;#ASMEND
	v_and_b32_e32 v12, 0xff, v11
	s_delay_alu instid0(VALU_DEP_1)
	v_cmp_ne_u16_e32 vcc_lo, 0, v12
	s_wait_alu 0xfffe
	s_or_b32 s8, vcc_lo, s8
	s_wait_alu 0xfffe
	s_and_not1_b32 exec_lo, exec_lo, s8
	s_cbranch_execnz .LBB151_73
; %bb.74:
	s_or_b32 exec_lo, exec_lo, s8
.LBB151_75:
	s_wait_alu 0xfffe
	s_or_b32 exec_lo, exec_lo, s5
	v_cmp_ne_u32_e32 vcc_lo, 31, v32
	v_and_b32_e32 v8, 0xff, v11
	v_lshlrev_b32_e64 v37, v32, -1
	s_mov_b32 s5, exec_lo
	s_wait_alu 0xfffd
	v_add_co_ci_u32_e64 v7, null, 0, v32, vcc_lo
	v_cmp_eq_u16_e32 vcc_lo, 2, v8
	v_mov_b32_e32 v8, v9
	s_delay_alu instid0(VALU_DEP_3)
	v_lshlrev_b32_e32 v36, 2, v7
	s_wait_alu 0xfffd
	v_and_or_b32 v7, vcc_lo, v37, 0x80000000
	ds_bpermute_b32 v21, v36, v9
	ds_bpermute_b32 v12, v36, v10
	v_ctz_i32_b32_e32 v7, v7
	s_delay_alu instid0(VALU_DEP_1)
	v_cmpx_lt_u32_e64 v32, v7
	s_cbranch_execz .LBB151_77
; %bb.76:
	s_wait_dscnt 0x1
	v_add_co_u32 v8, vcc_lo, v9, v21
	s_wait_alu 0xfffd
	v_add_co_ci_u32_e64 v10, null, 0, v10, vcc_lo
	s_delay_alu instid0(VALU_DEP_2) | instskip(SKIP_2) | instid1(VALU_DEP_2)
	v_add_co_u32 v9, vcc_lo, 0, v8
	s_wait_dscnt 0x0
	s_wait_alu 0xfffd
	v_add_co_ci_u32_e64 v10, null, v12, v10, vcc_lo
.LBB151_77:
	s_wait_alu 0xfffe
	s_or_b32 exec_lo, exec_lo, s5
	v_cmp_gt_u32_e32 vcc_lo, 30, v32
	v_add_nc_u32_e32 v39, 2, v32
	s_mov_b32 s5, exec_lo
	s_wait_dscnt 0x0
	s_wait_alu 0xfffd
	v_cndmask_b32_e64 v12, 0, 2, vcc_lo
	s_delay_alu instid0(VALU_DEP_1)
	v_add_lshl_u32 v38, v12, v32, 2
	ds_bpermute_b32 v21, v38, v8
	ds_bpermute_b32 v12, v38, v10
	v_cmpx_le_u32_e64 v39, v7
	s_cbranch_execz .LBB151_79
; %bb.78:
	s_wait_dscnt 0x1
	v_add_co_u32 v8, vcc_lo, v9, v21
	s_wait_alu 0xfffd
	v_add_co_ci_u32_e64 v10, null, 0, v10, vcc_lo
	s_delay_alu instid0(VALU_DEP_2) | instskip(SKIP_2) | instid1(VALU_DEP_2)
	v_add_co_u32 v9, vcc_lo, 0, v8
	s_wait_dscnt 0x0
	s_wait_alu 0xfffd
	v_add_co_ci_u32_e64 v10, null, v12, v10, vcc_lo
.LBB151_79:
	s_wait_alu 0xfffe
	s_or_b32 exec_lo, exec_lo, s5
	v_cmp_gt_u32_e32 vcc_lo, 28, v32
	v_add_nc_u32_e32 v41, 4, v32
	s_mov_b32 s5, exec_lo
	s_wait_dscnt 0x0
	s_wait_alu 0xfffd
	v_cndmask_b32_e64 v12, 0, 4, vcc_lo
	s_delay_alu instid0(VALU_DEP_1)
	v_add_lshl_u32 v40, v12, v32, 2
	ds_bpermute_b32 v21, v40, v8
	ds_bpermute_b32 v12, v40, v10
	v_cmpx_le_u32_e64 v41, v7
	;; [unrolled: 25-line block ×3, first 2 shown]
	s_cbranch_execz .LBB151_83
; %bb.82:
	s_wait_dscnt 0x1
	v_add_co_u32 v8, vcc_lo, v9, v21
	s_wait_alu 0xfffd
	v_add_co_ci_u32_e64 v10, null, 0, v10, vcc_lo
	s_delay_alu instid0(VALU_DEP_2) | instskip(SKIP_2) | instid1(VALU_DEP_2)
	v_add_co_u32 v9, vcc_lo, 0, v8
	s_wait_dscnt 0x0
	s_wait_alu 0xfffd
	v_add_co_ci_u32_e64 v10, null, v12, v10, vcc_lo
.LBB151_83:
	s_wait_alu 0xfffe
	s_or_b32 exec_lo, exec_lo, s5
	v_lshl_or_b32 v44, v32, 2, 64
	v_add_nc_u32_e32 v45, 16, v32
	s_mov_b32 s5, exec_lo
	s_wait_dscnt 0x0
	ds_bpermute_b32 v12, v44, v8
	ds_bpermute_b32 v8, v44, v10
	v_cmpx_le_u32_e64 v45, v7
	s_cbranch_execz .LBB151_85
; %bb.84:
	s_wait_dscnt 0x1
	v_add_co_u32 v7, vcc_lo, v9, v12
	s_wait_alu 0xfffd
	v_add_co_ci_u32_e64 v10, null, 0, v10, vcc_lo
	s_delay_alu instid0(VALU_DEP_2) | instskip(SKIP_2) | instid1(VALU_DEP_2)
	v_add_co_u32 v9, vcc_lo, v7, 0
	s_wait_dscnt 0x0
	s_wait_alu 0xfffd
	v_add_co_ci_u32_e64 v10, null, v10, v8, vcc_lo
.LBB151_85:
	s_wait_alu 0xfffe
	s_or_b32 exec_lo, exec_lo, s5
	v_mov_b32_e32 v21, 0
	s_branch .LBB151_88
.LBB151_86:                             ;   in Loop: Header=BB151_88 Depth=1
	s_wait_alu 0xfffe
	s_or_b32 exec_lo, exec_lo, s5
	v_add_co_u32 v9, vcc_lo, v9, v7
	v_subrev_nc_u32_e32 v20, 32, v20
	s_wait_alu 0xfffd
	v_add_co_ci_u32_e64 v10, null, v10, v8, vcc_lo
	s_mov_b32 s5, 0
.LBB151_87:                             ;   in Loop: Header=BB151_88 Depth=1
	s_wait_alu 0xfffe
	s_and_b32 vcc_lo, exec_lo, s5
	s_wait_alu 0xfffe
	s_cbranch_vccnz .LBB151_104
.LBB151_88:                             ; =>This Loop Header: Depth=1
                                        ;     Child Loop BB151_91 Depth 2
	v_and_b32_e32 v7, 0xff, v11
	s_mov_b32 s5, -1
	s_delay_alu instid0(VALU_DEP_1)
	v_cmp_ne_u16_e32 vcc_lo, 2, v7
	s_wait_dscnt 0x0
	v_dual_mov_b32 v7, v9 :: v_dual_mov_b32 v8, v10
                                        ; implicit-def: $vgpr9_vgpr10
	s_cmp_lg_u32 vcc_lo, exec_lo
	s_cbranch_scc1 .LBB151_87
; %bb.89:                               ;   in Loop: Header=BB151_88 Depth=1
	v_lshlrev_b64_e32 v[9:10], 4, v[20:21]
	s_mov_b32 s5, exec_lo
	s_delay_alu instid0(VALU_DEP_1) | instskip(SKIP_1) | instid1(VALU_DEP_2)
	v_add_co_u32 v22, vcc_lo, s6, v9
	s_wait_alu 0xfffd
	v_add_co_ci_u32_e64 v23, null, s7, v10, vcc_lo
	;;#ASMSTART
	global_load_b128 v[9:12], v[22:23] off scope:SCOPE_DEV	
s_wait_loadcnt 0x0
	;;#ASMEND
	v_and_b32_e32 v12, 0xff, v11
	s_delay_alu instid0(VALU_DEP_1)
	v_cmpx_eq_u16_e32 0, v12
	s_cbranch_execz .LBB151_93
; %bb.90:                               ;   in Loop: Header=BB151_88 Depth=1
	s_mov_b32 s8, 0
.LBB151_91:                             ;   Parent Loop BB151_88 Depth=1
                                        ; =>  This Inner Loop Header: Depth=2
	;;#ASMSTART
	global_load_b128 v[9:12], v[22:23] off scope:SCOPE_DEV	
s_wait_loadcnt 0x0
	;;#ASMEND
	v_and_b32_e32 v12, 0xff, v11
	s_delay_alu instid0(VALU_DEP_1)
	v_cmp_ne_u16_e32 vcc_lo, 0, v12
	s_wait_alu 0xfffe
	s_or_b32 s8, vcc_lo, s8
	s_wait_alu 0xfffe
	s_and_not1_b32 exec_lo, exec_lo, s8
	s_cbranch_execnz .LBB151_91
; %bb.92:                               ;   in Loop: Header=BB151_88 Depth=1
	s_or_b32 exec_lo, exec_lo, s8
.LBB151_93:                             ;   in Loop: Header=BB151_88 Depth=1
	s_wait_alu 0xfffe
	s_or_b32 exec_lo, exec_lo, s5
	v_and_b32_e32 v12, 0xff, v11
	ds_bpermute_b32 v46, v36, v9
	ds_bpermute_b32 v23, v36, v10
	v_mov_b32_e32 v22, v9
	s_mov_b32 s5, exec_lo
	v_cmp_eq_u16_e32 vcc_lo, 2, v12
	s_wait_alu 0xfffd
	v_and_or_b32 v12, vcc_lo, v37, 0x80000000
	s_delay_alu instid0(VALU_DEP_1) | instskip(NEXT) | instid1(VALU_DEP_1)
	v_ctz_i32_b32_e32 v12, v12
	v_cmpx_lt_u32_e64 v32, v12
	s_cbranch_execz .LBB151_95
; %bb.94:                               ;   in Loop: Header=BB151_88 Depth=1
	s_wait_dscnt 0x1
	v_add_co_u32 v22, vcc_lo, v9, v46
	s_wait_alu 0xfffd
	v_add_co_ci_u32_e64 v10, null, 0, v10, vcc_lo
	s_delay_alu instid0(VALU_DEP_2) | instskip(SKIP_2) | instid1(VALU_DEP_2)
	v_add_co_u32 v9, vcc_lo, 0, v22
	s_wait_dscnt 0x0
	s_wait_alu 0xfffd
	v_add_co_ci_u32_e64 v10, null, v23, v10, vcc_lo
.LBB151_95:                             ;   in Loop: Header=BB151_88 Depth=1
	s_wait_alu 0xfffe
	s_or_b32 exec_lo, exec_lo, s5
	s_wait_dscnt 0x1
	ds_bpermute_b32 v46, v38, v22
	s_wait_dscnt 0x1
	ds_bpermute_b32 v23, v38, v10
	s_mov_b32 s5, exec_lo
	v_cmpx_le_u32_e64 v39, v12
	s_cbranch_execz .LBB151_97
; %bb.96:                               ;   in Loop: Header=BB151_88 Depth=1
	s_wait_dscnt 0x1
	v_add_co_u32 v22, vcc_lo, v9, v46
	s_wait_alu 0xfffd
	v_add_co_ci_u32_e64 v10, null, 0, v10, vcc_lo
	s_delay_alu instid0(VALU_DEP_2) | instskip(SKIP_2) | instid1(VALU_DEP_2)
	v_add_co_u32 v9, vcc_lo, 0, v22
	s_wait_dscnt 0x0
	s_wait_alu 0xfffd
	v_add_co_ci_u32_e64 v10, null, v23, v10, vcc_lo
.LBB151_97:                             ;   in Loop: Header=BB151_88 Depth=1
	s_wait_alu 0xfffe
	s_or_b32 exec_lo, exec_lo, s5
	s_wait_dscnt 0x1
	ds_bpermute_b32 v46, v40, v22
	s_wait_dscnt 0x1
	ds_bpermute_b32 v23, v40, v10
	s_mov_b32 s5, exec_lo
	v_cmpx_le_u32_e64 v41, v12
	;; [unrolled: 20-line block ×3, first 2 shown]
	s_cbranch_execz .LBB151_101
; %bb.100:                              ;   in Loop: Header=BB151_88 Depth=1
	s_wait_dscnt 0x1
	v_add_co_u32 v22, vcc_lo, v9, v46
	s_wait_alu 0xfffd
	v_add_co_ci_u32_e64 v10, null, 0, v10, vcc_lo
	s_delay_alu instid0(VALU_DEP_2) | instskip(SKIP_2) | instid1(VALU_DEP_2)
	v_add_co_u32 v9, vcc_lo, 0, v22
	s_wait_dscnt 0x0
	s_wait_alu 0xfffd
	v_add_co_ci_u32_e64 v10, null, v23, v10, vcc_lo
.LBB151_101:                            ;   in Loop: Header=BB151_88 Depth=1
	s_wait_alu 0xfffe
	s_or_b32 exec_lo, exec_lo, s5
	s_wait_dscnt 0x0
	ds_bpermute_b32 v23, v44, v22
	ds_bpermute_b32 v22, v44, v10
	s_mov_b32 s5, exec_lo
	v_cmpx_le_u32_e64 v45, v12
	s_cbranch_execz .LBB151_86
; %bb.102:                              ;   in Loop: Header=BB151_88 Depth=1
	s_wait_dscnt 0x1
	v_add_co_u32 v9, vcc_lo, v9, v23
	s_wait_alu 0xfffd
	v_add_co_ci_u32_e64 v10, null, 0, v10, vcc_lo
	s_delay_alu instid0(VALU_DEP_2) | instskip(SKIP_2) | instid1(VALU_DEP_2)
	v_add_co_u32 v9, vcc_lo, v9, 0
	s_wait_dscnt 0x0
	s_wait_alu 0xfffd
	v_add_co_ci_u32_e64 v10, null, v10, v22, vcc_lo
	s_branch .LBB151_86
.LBB151_103:
                                        ; implicit-def: $vgpr7_vgpr8
                                        ; implicit-def: $vgpr36_vgpr37
	s_load_b64 s[4:5], s[0:1], 0x28
	s_and_b32 vcc_lo, exec_lo, s3
	s_wait_alu 0xfffe
	s_cbranch_vccnz .LBB151_109
	s_branch .LBB151_136
.LBB151_104:
	s_and_saveexec_b32 s5, s3
	s_cbranch_execz .LBB151_106
; %bb.105:
	s_add_co_i32 s8, ttmp9, 32
	s_mov_b32 s9, 0
	v_add_co_u32 v9, vcc_lo, v7, v5
	s_wait_alu 0xfffe
	s_lshl_b64 s[8:9], s[8:9], 4
	v_dual_mov_b32 v11, 2 :: v_dual_mov_b32 v12, 0
	s_wait_alu 0xfffe
	s_add_nc_u64 s[8:9], s[6:7], s[8:9]
	s_wait_alu 0xfffd
	v_add_co_ci_u32_e64 v10, null, v8, v6, vcc_lo
	s_wait_alu 0xfffe
	v_dual_mov_b32 v21, s9 :: v_dual_mov_b32 v20, s8
	;;#ASMSTART
	global_store_b128 v[20:21], v[9:12] off scope:SCOPE_DEV	
s_wait_storecnt 0x0
	;;#ASMEND
	ds_store_b128 v12, v[5:8] offset:13824
.LBB151_106:
	s_wait_alu 0xfffe
	s_or_b32 exec_lo, exec_lo, s5
	v_cmp_eq_u32_e32 vcc_lo, 0, v0
	s_and_b32 exec_lo, exec_lo, vcc_lo
; %bb.107:
	v_mov_b32_e32 v5, 0
	ds_store_b64 v5, v[7:8] offset:88
.LBB151_108:
	s_wait_alu 0xfffe
	s_or_b32 exec_lo, exec_lo, s4
	s_wait_dscnt 0x0
	v_cndmask_b32_e64 v12, v35, v19, s3
	v_cmp_ne_u32_e32 vcc_lo, 0, v0
	v_mov_b32_e32 v5, 0
	s_wait_loadcnt 0x0
	s_barrier_signal -1
	s_barrier_wait -1
	global_inv scope:SCOPE_SE
	s_wait_alu 0xfffd
	v_cndmask_b32_e32 v12, 0, v12, vcc_lo
	ds_load_b64 v[9:10], v5 offset:88
	s_wait_loadcnt_dscnt 0x0
	s_barrier_signal -1
	s_barrier_wait -1
	global_inv scope:SCOPE_SE
	ds_load_b128 v[5:8], v5 offset:13824
	v_cndmask_b32_e64 v11, v34, v18, s3
	s_delay_alu instid0(VALU_DEP_1) | instskip(NEXT) | instid1(VALU_DEP_1)
	v_cndmask_b32_e32 v11, 0, v11, vcc_lo
	v_add_co_u32 v36, vcc_lo, v9, v11
	s_wait_alu 0xfffd
	v_add_co_ci_u32_e64 v37, null, v10, v12, vcc_lo
	s_load_b64 s[4:5], s[0:1], 0x28
	s_branch .LBB151_136
.LBB151_109:
	s_wait_dscnt 0x0
	v_dual_mov_b32 v6, 0 :: v_dual_mov_b32 v7, v16
	v_mov_b32_dpp v8, v16 row_shr:1 row_mask:0xf bank_mask:0xf
	s_delay_alu instid0(VALU_DEP_2)
	v_mov_b32_dpp v5, v6 row_shr:1 row_mask:0xf bank_mask:0xf
	s_and_saveexec_b32 s0, s2
; %bb.110:
	s_delay_alu instid0(VALU_DEP_2) | instskip(SKIP_2) | instid1(VALU_DEP_2)
	v_add_co_u32 v7, vcc_lo, v16, v8
	s_wait_alu 0xfffd
	v_add_co_ci_u32_e64 v6, null, 0, v17, vcc_lo
	v_add_co_u32 v16, vcc_lo, 0, v7
	s_wait_alu 0xfffd
	s_delay_alu instid0(VALU_DEP_2) | instskip(NEXT) | instid1(VALU_DEP_1)
	v_add_co_ci_u32_e64 v17, null, v5, v6, vcc_lo
	v_mov_b32_e32 v6, v17
; %bb.111:
	s_or_b32 exec_lo, exec_lo, s0
	v_mov_b32_dpp v5, v7 row_shr:2 row_mask:0xf bank_mask:0xf
	s_delay_alu instid0(VALU_DEP_2)
	v_mov_b32_dpp v8, v6 row_shr:2 row_mask:0xf bank_mask:0xf
	v_cmp_lt_u32_e32 vcc_lo, 1, v33
	s_and_saveexec_b32 s1, vcc_lo
; %bb.112:
	s_delay_alu instid0(VALU_DEP_3) | instskip(NEXT) | instid1(VALU_DEP_1)
	v_add_co_u32 v7, s0, v16, v5
	v_add_co_ci_u32_e64 v6, null, 0, v17, s0
	s_delay_alu instid0(VALU_DEP_2) | instskip(SKIP_1) | instid1(VALU_DEP_2)
	v_add_co_u32 v5, s0, 0, v7
	s_wait_alu 0xf1ff
	v_add_co_ci_u32_e64 v6, null, v8, v6, s0
	s_delay_alu instid0(VALU_DEP_1)
	v_dual_mov_b32 v17, v6 :: v_dual_mov_b32 v16, v5
; %bb.113:
	s_or_b32 exec_lo, exec_lo, s1
	v_mov_b32_dpp v5, v7 row_shr:4 row_mask:0xf bank_mask:0xf
	v_mov_b32_dpp v8, v6 row_shr:4 row_mask:0xf bank_mask:0xf
	v_cmp_lt_u32_e64 s0, 3, v33
	s_and_saveexec_b32 s3, s0
; %bb.114:
	v_add_co_u32 v7, s1, v16, v5
	s_wait_alu 0xf1ff
	v_add_co_ci_u32_e64 v6, null, 0, v17, s1
	s_delay_alu instid0(VALU_DEP_2) | instskip(SKIP_1) | instid1(VALU_DEP_2)
	v_add_co_u32 v5, s1, 0, v7
	s_wait_alu 0xf1ff
	v_add_co_ci_u32_e64 v6, null, v8, v6, s1
	s_delay_alu instid0(VALU_DEP_1)
	v_dual_mov_b32 v17, v6 :: v_dual_mov_b32 v16, v5
; %bb.115:
	s_wait_alu 0xfffe
	s_or_b32 exec_lo, exec_lo, s3
	v_mov_b32_dpp v8, v7 row_shr:8 row_mask:0xf bank_mask:0xf
	v_mov_b32_dpp v5, v6 row_shr:8 row_mask:0xf bank_mask:0xf
	v_cmp_lt_u32_e64 s1, 7, v33
	s_and_saveexec_b32 s8, s1
; %bb.116:
	v_add_co_u32 v7, s3, v16, v8
	s_wait_alu 0xf1ff
	v_add_co_ci_u32_e64 v6, null, 0, v17, s3
	s_delay_alu instid0(VALU_DEP_2) | instskip(SKIP_1) | instid1(VALU_DEP_2)
	v_add_co_u32 v16, s3, 0, v7
	s_wait_alu 0xf1ff
	v_add_co_ci_u32_e64 v17, null, v5, v6, s3
	s_delay_alu instid0(VALU_DEP_1)
	v_mov_b32_e32 v6, v17
; %bb.117:
	s_wait_alu 0xfffe
	s_or_b32 exec_lo, exec_lo, s8
	ds_swizzle_b32 v7, v7 offset:swizzle(BROADCAST,32,15)
	ds_swizzle_b32 v5, v6 offset:swizzle(BROADCAST,32,15)
	v_and_b32_e32 v6, 16, v32
	s_mov_b32 s8, exec_lo
	s_delay_alu instid0(VALU_DEP_1)
	v_cmpx_ne_u32_e32 0, v6
	s_cbranch_execz .LBB151_119
; %bb.118:
	s_wait_dscnt 0x1
	v_add_co_u32 v6, s3, v16, v7
	s_wait_alu 0xf1ff
	v_add_co_ci_u32_e64 v7, null, 0, v17, s3
	s_delay_alu instid0(VALU_DEP_2) | instskip(SKIP_2) | instid1(VALU_DEP_2)
	v_add_co_u32 v16, s3, v6, 0
	s_wait_dscnt 0x0
	s_wait_alu 0xf1ff
	v_add_co_ci_u32_e64 v17, null, v7, v5, s3
.LBB151_119:
	s_wait_alu 0xfffe
	s_or_b32 exec_lo, exec_lo, s8
	s_wait_dscnt 0x0
	v_and_b32_e32 v5, 0x1e0, v0
	v_lshrrev_b32_e32 v7, 5, v0
	s_mov_b32 s8, exec_lo
	s_delay_alu instid0(VALU_DEP_2) | instskip(NEXT) | instid1(VALU_DEP_1)
	v_min_u32_e32 v5, 0x160, v5
	v_or_b32_e32 v5, 31, v5
	s_delay_alu instid0(VALU_DEP_1)
	v_cmpx_eq_u32_e64 v0, v5
; %bb.120:
	v_lshlrev_b32_e32 v5, 3, v7
	ds_store_b64 v5, v[16:17]
; %bb.121:
	s_wait_alu 0xfffe
	s_or_b32 exec_lo, exec_lo, s8
	s_delay_alu instid0(SALU_CYCLE_1)
	s_mov_b32 s8, exec_lo
	s_wait_loadcnt_dscnt 0x0
	s_barrier_signal -1
	s_barrier_wait -1
	global_inv scope:SCOPE_SE
	v_cmpx_gt_u32_e32 12, v0
	s_cbranch_execz .LBB151_131
; %bb.122:
	v_lshlrev_b32_e32 v8, 3, v0
	ds_load_b64 v[5:6], v8
	s_wait_dscnt 0x0
	v_mov_b32_dpp v11, v5 row_shr:1 row_mask:0xf bank_mask:0xf
	v_mov_b32_dpp v10, v6 row_shr:1 row_mask:0xf bank_mask:0xf
	v_mov_b32_e32 v9, v5
	s_and_saveexec_b32 s3, s2
; %bb.123:
	s_delay_alu instid0(VALU_DEP_3) | instskip(SKIP_2) | instid1(VALU_DEP_2)
	v_add_co_u32 v9, s2, v5, v11
	s_wait_alu 0xf1ff
	v_add_co_ci_u32_e64 v6, null, 0, v6, s2
	v_add_co_u32 v5, s2, 0, v9
	s_wait_alu 0xf1ff
	s_delay_alu instid0(VALU_DEP_2)
	v_add_co_ci_u32_e64 v6, null, v10, v6, s2
; %bb.124:
	s_wait_alu 0xfffe
	s_or_b32 exec_lo, exec_lo, s3
	v_mov_b32_dpp v11, v9 row_shr:2 row_mask:0xf bank_mask:0xf
	s_delay_alu instid0(VALU_DEP_2)
	v_mov_b32_dpp v10, v6 row_shr:2 row_mask:0xf bank_mask:0xf
	s_and_saveexec_b32 s2, vcc_lo
; %bb.125:
	s_delay_alu instid0(VALU_DEP_2) | instskip(SKIP_2) | instid1(VALU_DEP_2)
	v_add_co_u32 v9, vcc_lo, v5, v11
	s_wait_alu 0xfffd
	v_add_co_ci_u32_e64 v6, null, 0, v6, vcc_lo
	v_add_co_u32 v5, vcc_lo, 0, v9
	s_wait_alu 0xfffd
	s_delay_alu instid0(VALU_DEP_2)
	v_add_co_ci_u32_e64 v6, null, v10, v6, vcc_lo
; %bb.126:
	s_wait_alu 0xfffe
	s_or_b32 exec_lo, exec_lo, s2
	v_mov_b32_dpp v11, v9 row_shr:4 row_mask:0xf bank_mask:0xf
	s_delay_alu instid0(VALU_DEP_2)
	v_mov_b32_dpp v10, v6 row_shr:4 row_mask:0xf bank_mask:0xf
	s_and_saveexec_b32 s2, s0
; %bb.127:
	s_delay_alu instid0(VALU_DEP_2) | instskip(SKIP_2) | instid1(VALU_DEP_2)
	v_add_co_u32 v9, vcc_lo, v5, v11
	s_wait_alu 0xfffd
	v_add_co_ci_u32_e64 v6, null, 0, v6, vcc_lo
	v_add_co_u32 v5, vcc_lo, 0, v9
	s_wait_alu 0xfffd
	s_delay_alu instid0(VALU_DEP_2)
	v_add_co_ci_u32_e64 v6, null, v10, v6, vcc_lo
; %bb.128:
	s_wait_alu 0xfffe
	s_or_b32 exec_lo, exec_lo, s2
	v_mov_b32_dpp v10, v9 row_shr:8 row_mask:0xf bank_mask:0xf
	s_delay_alu instid0(VALU_DEP_2)
	v_mov_b32_dpp v9, v6 row_shr:8 row_mask:0xf bank_mask:0xf
	s_and_saveexec_b32 s0, s1
; %bb.129:
	s_delay_alu instid0(VALU_DEP_2) | instskip(SKIP_2) | instid1(VALU_DEP_2)
	v_add_co_u32 v5, vcc_lo, v5, v10
	s_wait_alu 0xfffd
	v_add_co_ci_u32_e64 v6, null, 0, v6, vcc_lo
	v_add_co_u32 v5, vcc_lo, v5, 0
	s_wait_alu 0xfffd
	s_delay_alu instid0(VALU_DEP_2)
	v_add_co_ci_u32_e64 v6, null, v6, v9, vcc_lo
; %bb.130:
	s_wait_alu 0xfffe
	s_or_b32 exec_lo, exec_lo, s0
	ds_store_b64 v8, v[5:6]
.LBB151_131:
	s_wait_alu 0xfffe
	s_or_b32 exec_lo, exec_lo, s8
	v_mov_b32_e32 v9, 0
	v_mov_b32_e32 v10, 0
	s_mov_b32 s0, exec_lo
	s_wait_loadcnt_dscnt 0x0
	s_barrier_signal -1
	s_barrier_wait -1
	global_inv scope:SCOPE_SE
	v_cmpx_lt_u32_e32 31, v0
; %bb.132:
	v_lshl_add_u32 v5, v7, 3, -8
	ds_load_b64 v[9:10], v5
; %bb.133:
	s_wait_alu 0xfffe
	s_or_b32 exec_lo, exec_lo, s0
	v_sub_co_u32 v5, vcc_lo, v32, 1
	v_mov_b32_e32 v8, 0
	s_delay_alu instid0(VALU_DEP_2) | instskip(SKIP_1) | instid1(VALU_DEP_1)
	v_cmp_gt_i32_e64 s0, 0, v5
	s_wait_alu 0xf1ff
	v_cndmask_b32_e64 v5, v5, v32, s0
	s_wait_dscnt 0x0
	v_add_co_u32 v6, s0, v9, v16
	s_wait_alu 0xf1ff
	v_add_co_ci_u32_e64 v7, null, v10, v17, s0
	v_lshlrev_b32_e32 v5, 2, v5
	v_cmp_eq_u32_e64 s0, 0, v0
	ds_bpermute_b32 v11, v5, v6
	ds_bpermute_b32 v12, v5, v7
	ds_load_b64 v[5:6], v8 offset:88
	s_and_saveexec_b32 s1, s0
	s_cbranch_execz .LBB151_135
; %bb.134:
	s_wait_kmcnt 0x0
	s_add_nc_u64 s[2:3], s[6:7], 0x200
	v_mov_b32_e32 v7, 2
	s_wait_alu 0xfffe
	v_dual_mov_b32 v17, s3 :: v_dual_mov_b32 v16, s2
	s_wait_dscnt 0x0
	;;#ASMSTART
	global_store_b128 v[16:17], v[5:8] off scope:SCOPE_DEV	
s_wait_storecnt 0x0
	;;#ASMEND
.LBB151_135:
	s_wait_alu 0xfffe
	s_or_b32 exec_lo, exec_lo, s1
	s_wait_dscnt 0x1
	s_wait_alu 0xfffd
	v_dual_cndmask_b32 v10, v12, v10 :: v_dual_cndmask_b32 v9, v11, v9
	v_mov_b32_e32 v7, 0
	v_mov_b32_e32 v8, 0
	s_wait_loadcnt_dscnt 0x0
	s_delay_alu instid0(VALU_DEP_3)
	v_cndmask_b32_e64 v37, v10, 0, s0
	v_cndmask_b32_e64 v36, v9, 0, s0
	s_barrier_signal -1
	s_barrier_wait -1
	global_inv scope:SCOPE_SE
.LBB151_136:
	v_add_co_u32 v46, vcc_lo, v36, v25
	s_wait_alu 0xfffd
	v_add_co_ci_u32_e64 v47, null, 0, v37, vcc_lo
	v_lshrrev_b32_e32 v69, 16, v57
	s_delay_alu instid0(VALU_DEP_3) | instskip(SKIP_1) | instid1(VALU_DEP_3)
	v_add_co_u32 v44, vcc_lo, v46, v24
	s_wait_alu 0xfffd
	v_add_co_ci_u32_e64 v45, null, 0, v47, vcc_lo
	v_lshrrev_b32_e32 v70, 8, v57
	s_delay_alu instid0(VALU_DEP_3) | instskip(SKIP_1) | instid1(VALU_DEP_3)
	;; [unrolled: 5-line block ×8, first 2 shown]
	v_add_co_u32 v28, vcc_lo, v30, v27
	s_wait_alu 0xfffd
	v_add_co_ci_u32_e64 v29, null, 0, v31, vcc_lo
	s_mov_b32 s1, -1
	v_add_co_u32 v26, vcc_lo, v28, v26
	s_wait_alu 0xfffd
	v_add_co_ci_u32_e64 v27, null, 0, v29, vcc_lo
	s_delay_alu instid0(VALU_DEP_2) | instskip(SKIP_1) | instid1(VALU_DEP_2)
	v_add_co_u32 v24, vcc_lo, v26, v64
	s_wait_alu 0xfffd
	v_add_co_ci_u32_e64 v25, null, 0, v27, vcc_lo
	s_delay_alu instid0(VALU_DEP_2) | instskip(SKIP_1) | instid1(VALU_DEP_2)
	v_add_co_u32 v22, vcc_lo, v24, v58
	s_wait_alu 0xfffd
	v_add_co_ci_u32_e64 v23, null, 0, v25, vcc_lo
	s_delay_alu instid0(VALU_DEP_2) | instskip(SKIP_1) | instid1(VALU_DEP_2)
	v_add_co_u32 v20, vcc_lo, v22, v63
	s_wait_alu 0xfffd
	v_add_co_ci_u32_e64 v21, null, 0, v23, vcc_lo
	s_delay_alu instid0(VALU_DEP_2) | instskip(SKIP_1) | instid1(VALU_DEP_2)
	v_add_co_u32 v16, vcc_lo, v20, v62
	s_wait_alu 0xfffd
	v_add_co_ci_u32_e64 v17, null, 0, v21, vcc_lo
	s_wait_dscnt 0x0
	v_cmp_gt_u64_e32 vcc_lo, 0x181, v[5:6]
	v_add_co_u32 v18, s0, v16, v61
	s_wait_alu 0xf1ff
	v_add_co_ci_u32_e64 v19, null, 0, v17, s0
	v_and_b32_e32 v61, 1, v48
	s_delay_alu instid0(VALU_DEP_3) | instskip(SKIP_1) | instid1(VALU_DEP_3)
	v_add_co_u32 v11, s0, v18, v56
	s_wait_alu 0xf1ff
	v_add_co_ci_u32_e64 v12, null, 0, v19, s0
	s_delay_alu instid0(VALU_DEP_2) | instskip(SKIP_1) | instid1(VALU_DEP_2)
	v_add_co_u32 v9, s0, v11, v49
	s_wait_alu 0xf1ff
	v_add_co_ci_u32_e64 v10, null, 0, v12, s0
	v_cmp_eq_u32_e64 s0, 1, v61
	s_cbranch_vccnz .LBB151_140
; %bb.137:
	s_wait_alu 0xfffe
	s_and_b32 vcc_lo, exec_lo, s1
	s_wait_alu 0xfffe
	s_cbranch_vccnz .LBB151_177
.LBB151_138:
	v_cmp_eq_u32_e32 vcc_lo, 0, v0
	s_and_b32 s0, vcc_lo, s24
	s_wait_alu 0xfffe
	s_and_saveexec_b32 s1, s0
	s_cbranch_execnz .LBB151_216
.LBB151_139:
	s_endpgm
.LBB151_140:
	v_add_co_u32 v48, vcc_lo, v7, v5
	s_wait_alu 0xfffd
	v_add_co_ci_u32_e64 v49, null, v8, v6, vcc_lo
	s_wait_kmcnt 0x0
	s_lshl_b64 s[2:3], s[22:23], 1
	s_wait_alu 0xfffe
	s_add_nc_u64 s[2:3], s[4:5], s[2:3]
	v_cmp_lt_u64_e32 vcc_lo, v[36:37], v[48:49]
	s_or_b32 s1, s25, vcc_lo
	s_wait_alu 0xfffe
	s_and_b32 s1, s1, s0
	s_wait_alu 0xfffe
	s_and_saveexec_b32 s0, s1
	s_cbranch_execz .LBB151_142
; %bb.141:
	v_lshlrev_b64_e32 v[62:63], 1, v[36:37]
	s_delay_alu instid0(VALU_DEP_1) | instskip(SKIP_1) | instid1(VALU_DEP_2)
	v_add_co_u32 v62, vcc_lo, s2, v62
	s_wait_alu 0xfffd
	v_add_co_ci_u32_e64 v63, null, s3, v63, vcc_lo
	global_store_b16 v[62:63], v52, off
.LBB151_142:
	s_wait_alu 0xfffe
	s_or_b32 exec_lo, exec_lo, s0
	v_and_b32_e32 v37, 1, v72
	v_cmp_lt_u64_e32 vcc_lo, v[46:47], v[48:49]
	s_delay_alu instid0(VALU_DEP_2)
	v_cmp_eq_u32_e64 s0, 1, v37
	s_or_b32 s1, s25, vcc_lo
	s_wait_alu 0xfffe
	s_and_b32 s1, s1, s0
	s_wait_alu 0xfffe
	s_and_saveexec_b32 s0, s1
	s_cbranch_execz .LBB151_144
; %bb.143:
	v_lshlrev_b64_e32 v[62:63], 1, v[46:47]
	s_delay_alu instid0(VALU_DEP_1) | instskip(SKIP_1) | instid1(VALU_DEP_2)
	v_add_co_u32 v62, vcc_lo, s2, v62
	s_wait_alu 0xfffd
	v_add_co_ci_u32_e64 v63, null, s3, v63, vcc_lo
	global_store_d16_hi_b16 v[62:63], v52, off
.LBB151_144:
	s_wait_alu 0xfffe
	s_or_b32 exec_lo, exec_lo, s0
	v_and_b32_e32 v37, 1, v71
	v_cmp_lt_u64_e32 vcc_lo, v[44:45], v[48:49]
	s_delay_alu instid0(VALU_DEP_2)
	v_cmp_eq_u32_e64 s0, 1, v37
	s_or_b32 s1, s25, vcc_lo
	s_wait_alu 0xfffe
	s_and_b32 s1, s1, s0
	s_wait_alu 0xfffe
	s_and_saveexec_b32 s0, s1
	s_cbranch_execz .LBB151_146
; %bb.145:
	v_lshlrev_b64_e32 v[62:63], 1, v[44:45]
	s_delay_alu instid0(VALU_DEP_1) | instskip(SKIP_1) | instid1(VALU_DEP_2)
	v_add_co_u32 v62, vcc_lo, s2, v62
	s_wait_alu 0xfffd
	v_add_co_ci_u32_e64 v63, null, s3, v63, vcc_lo
	global_store_b16 v[62:63], v51, off
.LBB151_146:
	s_wait_alu 0xfffe
	s_or_b32 exec_lo, exec_lo, s0
	v_and_b32_e32 v37, 1, v60
	v_cmp_lt_u64_e32 vcc_lo, v[42:43], v[48:49]
	s_delay_alu instid0(VALU_DEP_2)
	v_cmp_eq_u32_e64 s0, 1, v37
	s_or_b32 s1, s25, vcc_lo
	s_wait_alu 0xfffe
	s_and_b32 s1, s1, s0
	s_wait_alu 0xfffe
	s_and_saveexec_b32 s0, s1
	s_cbranch_execz .LBB151_148
; %bb.147:
	v_lshlrev_b64_e32 v[62:63], 1, v[42:43]
	s_delay_alu instid0(VALU_DEP_1) | instskip(SKIP_1) | instid1(VALU_DEP_2)
	v_add_co_u32 v62, vcc_lo, s2, v62
	s_wait_alu 0xfffd
	v_add_co_ci_u32_e64 v63, null, s3, v63, vcc_lo
	global_store_b16 v[62:63], v1, off
.LBB151_148:
	s_wait_alu 0xfffe
	s_or_b32 exec_lo, exec_lo, s0
	v_and_b32_e32 v37, 1, v57
	v_cmp_lt_u64_e32 vcc_lo, v[40:41], v[48:49]
	s_delay_alu instid0(VALU_DEP_2)
	v_cmp_eq_u32_e64 s0, 1, v37
	s_or_b32 s1, s25, vcc_lo
	s_wait_alu 0xfffe
	s_and_b32 s1, s1, s0
	s_wait_alu 0xfffe
	s_and_saveexec_b32 s0, s1
	s_cbranch_execz .LBB151_150
; %bb.149:
	v_lshlrev_b64_e32 v[62:63], 1, v[40:41]
	s_delay_alu instid0(VALU_DEP_1) | instskip(SKIP_1) | instid1(VALU_DEP_2)
	v_add_co_u32 v62, vcc_lo, s2, v62
	s_wait_alu 0xfffd
	v_add_co_ci_u32_e64 v63, null, s3, v63, vcc_lo
	global_store_d16_hi_b16 v[62:63], v1, off
.LBB151_150:
	s_wait_alu 0xfffe
	s_or_b32 exec_lo, exec_lo, s0
	v_and_b32_e32 v37, 1, v70
	v_cmp_lt_u64_e32 vcc_lo, v[38:39], v[48:49]
	s_delay_alu instid0(VALU_DEP_2)
	v_cmp_eq_u32_e64 s0, 1, v37
	s_or_b32 s1, s25, vcc_lo
	s_wait_alu 0xfffe
	s_and_b32 s1, s1, s0
	s_wait_alu 0xfffe
	s_and_saveexec_b32 s0, s1
	s_cbranch_execz .LBB151_152
; %bb.151:
	v_lshlrev_b64_e32 v[62:63], 1, v[38:39]
	s_delay_alu instid0(VALU_DEP_1) | instskip(SKIP_1) | instid1(VALU_DEP_2)
	v_add_co_u32 v62, vcc_lo, s2, v62
	s_wait_alu 0xfffd
	v_add_co_ci_u32_e64 v63, null, s3, v63, vcc_lo
	global_store_b16 v[62:63], v2, off
.LBB151_152:
	s_wait_alu 0xfffe
	s_or_b32 exec_lo, exec_lo, s0
	v_and_b32_e32 v37, 1, v69
	v_cmp_lt_u64_e32 vcc_lo, v[34:35], v[48:49]
	s_delay_alu instid0(VALU_DEP_2)
	v_cmp_eq_u32_e64 s0, 1, v37
	s_or_b32 s1, s25, vcc_lo
	s_wait_alu 0xfffe
	s_and_b32 s1, s1, s0
	s_wait_alu 0xfffe
	s_and_saveexec_b32 s0, s1
	s_cbranch_execz .LBB151_154
; %bb.153:
	v_lshlrev_b64_e32 v[62:63], 1, v[34:35]
	s_delay_alu instid0(VALU_DEP_1) | instskip(SKIP_1) | instid1(VALU_DEP_2)
	v_add_co_u32 v62, vcc_lo, s2, v62
	s_wait_alu 0xfffd
	v_add_co_ci_u32_e64 v63, null, s3, v63, vcc_lo
	global_store_d16_hi_b16 v[62:63], v2, off
.LBB151_154:
	;; [unrolled: 40-line block ×7, first 2 shown]
	s_wait_alu 0xfffe
	s_or_b32 exec_lo, exec_lo, s0
	v_cmp_lt_u64_e32 vcc_lo, v[9:10], v[48:49]
	s_or_b32 s0, s25, vcc_lo
	s_wait_alu 0xfffe
	s_and_b32 s1, s0, s26
	s_wait_alu 0xfffe
	s_and_saveexec_b32 s0, s1
	s_cbranch_execz .LBB151_176
; %bb.175:
	v_lshlrev_b64_e32 v[47:48], 1, v[9:10]
	s_delay_alu instid0(VALU_DEP_1) | instskip(SKIP_1) | instid1(VALU_DEP_2)
	v_add_co_u32 v47, vcc_lo, s2, v47
	s_wait_alu 0xfffd
	v_add_co_ci_u32_e64 v48, null, s3, v48, vcc_lo
	global_store_b16 v[47:48], v50, off
.LBB151_176:
	s_wait_alu 0xfffe
	s_or_b32 exec_lo, exec_lo, s0
	s_branch .LBB151_138
.LBB151_177:
	s_mov_b32 s0, exec_lo
	v_cmpx_eq_u32_e32 1, v61
; %bb.178:
	v_sub_nc_u32_e32 v10, v36, v7
	s_delay_alu instid0(VALU_DEP_1)
	v_lshlrev_b32_e32 v10, 1, v10
	ds_store_b16 v10, v52
; %bb.179:
	s_wait_alu 0xfffe
	s_or_b32 exec_lo, exec_lo, s0
	v_and_b32_e32 v10, 1, v72
	s_mov_b32 s0, exec_lo
	s_delay_alu instid0(VALU_DEP_1)
	v_cmpx_eq_u32_e32 1, v10
; %bb.180:
	v_sub_nc_u32_e32 v10, v46, v7
	s_delay_alu instid0(VALU_DEP_1)
	v_lshlrev_b32_e32 v10, 1, v10
	ds_store_b16_d16_hi v10, v52
; %bb.181:
	s_wait_alu 0xfffe
	s_or_b32 exec_lo, exec_lo, s0
	v_and_b32_e32 v10, 1, v71
	s_mov_b32 s0, exec_lo
	s_delay_alu instid0(VALU_DEP_1)
	v_cmpx_eq_u32_e32 1, v10
; %bb.182:
	v_sub_nc_u32_e32 v10, v44, v7
	s_delay_alu instid0(VALU_DEP_1)
	v_lshlrev_b32_e32 v10, 1, v10
	ds_store_b16 v10, v51
; %bb.183:
	s_wait_alu 0xfffe
	s_or_b32 exec_lo, exec_lo, s0
	v_and_b32_e32 v10, 1, v60
	s_mov_b32 s0, exec_lo
	s_delay_alu instid0(VALU_DEP_1)
	v_cmpx_eq_u32_e32 1, v10
; %bb.184:
	v_sub_nc_u32_e32 v10, v42, v7
	s_delay_alu instid0(VALU_DEP_1)
	v_lshlrev_b32_e32 v10, 1, v10
	ds_store_b16 v10, v1
; %bb.185:
	s_wait_alu 0xfffe
	s_or_b32 exec_lo, exec_lo, s0
	v_and_b32_e32 v10, 1, v57
	s_mov_b32 s0, exec_lo
	s_delay_alu instid0(VALU_DEP_1)
	v_cmpx_eq_u32_e32 1, v10
; %bb.186:
	v_sub_nc_u32_e32 v10, v40, v7
	s_delay_alu instid0(VALU_DEP_1)
	v_lshlrev_b32_e32 v10, 1, v10
	ds_store_b16_d16_hi v10, v1
; %bb.187:
	s_wait_alu 0xfffe
	s_or_b32 exec_lo, exec_lo, s0
	v_and_b32_e32 v1, 1, v70
	s_mov_b32 s0, exec_lo
	s_delay_alu instid0(VALU_DEP_1)
	v_cmpx_eq_u32_e32 1, v1
; %bb.188:
	v_sub_nc_u32_e32 v1, v38, v7
	s_delay_alu instid0(VALU_DEP_1)
	v_lshlrev_b32_e32 v1, 1, v1
	ds_store_b16 v1, v2
; %bb.189:
	s_wait_alu 0xfffe
	s_or_b32 exec_lo, exec_lo, s0
	v_and_b32_e32 v1, 1, v69
	s_mov_b32 s0, exec_lo
	s_delay_alu instid0(VALU_DEP_1)
	v_cmpx_eq_u32_e32 1, v1
; %bb.190:
	v_sub_nc_u32_e32 v1, v34, v7
	s_delay_alu instid0(VALU_DEP_1)
	v_lshlrev_b32_e32 v1, 1, v1
	ds_store_b16_d16_hi v1, v2
	;; [unrolled: 24-line block ×7, first 2 shown]
; %bb.211:
	s_wait_alu 0xfffe
	s_or_b32 exec_lo, exec_lo, s0
	s_and_saveexec_b32 s0, s26
; %bb.212:
	v_sub_nc_u32_e32 v1, v9, v7
	s_delay_alu instid0(VALU_DEP_1)
	v_lshlrev_b32_e32 v1, 1, v1
	ds_store_b16 v1, v50
; %bb.213:
	s_wait_alu 0xfffe
	s_or_b32 exec_lo, exec_lo, s0
	v_lshlrev_b64_e32 v[1:2], 1, v[7:8]
	v_mov_b32_e32 v3, 0
	s_wait_kmcnt 0x0
	s_lshl_b64 s[0:1], s[22:23], 1
	s_wait_storecnt 0x0
	s_wait_loadcnt_dscnt 0x0
	s_barrier_signal -1
	s_barrier_wait -1
	v_add_co_u32 v4, vcc_lo, s4, v1
	s_wait_alu 0xfffd
	v_add_co_ci_u32_e64 v2, null, s5, v2, vcc_lo
	global_inv scope:SCOPE_SE
	s_wait_alu 0xfffe
	v_add_co_u32 v4, vcc_lo, v4, s0
	s_wait_alu 0xfffd
	v_add_co_ci_u32_e64 v11, null, s1, v2, vcc_lo
	v_dual_mov_b32 v1, v3 :: v_dual_add_nc_u32 v2, 0x180, v0
	s_mov_b32 s1, 0
	s_delay_alu instid0(VALU_DEP_1)
	v_dual_mov_b32 v10, v1 :: v_dual_mov_b32 v9, v0
.LBB151_214:                            ; =>This Inner Loop Header: Depth=1
	s_delay_alu instid0(VALU_DEP_1) | instskip(NEXT) | instid1(VALU_DEP_2)
	v_lshlrev_b32_e32 v1, 1, v9
	v_lshlrev_b64_e32 v[12:13], 1, v[9:10]
	v_mov_b32_e32 v10, v3
	v_cmp_le_u64_e32 vcc_lo, v[5:6], v[2:3]
	v_dual_mov_b32 v9, v2 :: v_dual_add_nc_u32 v2, 0x180, v2
	ds_load_u16 v1, v1
	v_add_co_u32 v12, s0, v4, v12
	s_wait_alu 0xf1ff
	v_add_co_ci_u32_e64 v13, null, v11, v13, s0
	s_wait_alu 0xfffe
	s_or_b32 s1, vcc_lo, s1
	s_wait_dscnt 0x0
	global_store_b16 v[12:13], v1, off
	s_wait_alu 0xfffe
	s_and_not1_b32 exec_lo, exec_lo, s1
	s_cbranch_execnz .LBB151_214
; %bb.215:
	s_or_b32 exec_lo, exec_lo, s1
	v_cmp_eq_u32_e32 vcc_lo, 0, v0
	s_and_b32 s0, vcc_lo, s24
	s_wait_alu 0xfffe
	s_and_saveexec_b32 s1, s0
	s_cbranch_execz .LBB151_139
.LBB151_216:
	v_add_co_u32 v0, vcc_lo, v7, v5
	s_wait_alu 0xfffd
	v_add_co_ci_u32_e64 v1, null, v8, v6, vcc_lo
	v_mov_b32_e32 v2, 0
	s_wait_kmcnt 0x0
	v_add_co_u32 v0, vcc_lo, v0, s22
	s_wait_alu 0xfffd
	v_add_co_ci_u32_e64 v1, null, s23, v1, vcc_lo
	global_store_b64 v2, v[0:1], s[20:21]
	s_endpgm
	.section	.rodata,"a",@progbits
	.p2align	6, 0x0
	.amdhsa_kernel _ZN7rocprim17ROCPRIM_400000_NS6detail17trampoline_kernelINS0_14default_configENS1_25partition_config_selectorILNS1_17partition_subalgoE6EtNS0_10empty_typeEbEEZZNS1_14partition_implILS5_6ELb0ES3_mN6thrust23THRUST_200600_302600_NS6detail15normal_iteratorINSA_10device_ptrItEEEEPS6_SG_NS0_5tupleIJSF_S6_EEENSH_IJSG_SG_EEES6_PlJNSB_9not_fun_tINSB_10functional5actorINSM_9compositeIJNSM_27transparent_binary_operatorINSA_8equal_toIvEEEENSN_INSM_8argumentILj0EEEEENSM_5valueItEEEEEEEEEEEE10hipError_tPvRmT3_T4_T5_T6_T7_T9_mT8_P12ihipStream_tbDpT10_ENKUlT_T0_E_clISt17integral_constantIbLb0EES1K_EEDaS1F_S1G_EUlS1F_E_NS1_11comp_targetILNS1_3genE10ELNS1_11target_archE1200ELNS1_3gpuE4ELNS1_3repE0EEENS1_30default_config_static_selectorELNS0_4arch9wavefront6targetE0EEEvT1_
		.amdhsa_group_segment_fixed_size 13840
		.amdhsa_private_segment_fixed_size 0
		.amdhsa_kernarg_size 120
		.amdhsa_user_sgpr_count 2
		.amdhsa_user_sgpr_dispatch_ptr 0
		.amdhsa_user_sgpr_queue_ptr 0
		.amdhsa_user_sgpr_kernarg_segment_ptr 1
		.amdhsa_user_sgpr_dispatch_id 0
		.amdhsa_user_sgpr_private_segment_size 0
		.amdhsa_wavefront_size32 1
		.amdhsa_uses_dynamic_stack 0
		.amdhsa_enable_private_segment 0
		.amdhsa_system_sgpr_workgroup_id_x 1
		.amdhsa_system_sgpr_workgroup_id_y 0
		.amdhsa_system_sgpr_workgroup_id_z 0
		.amdhsa_system_sgpr_workgroup_info 0
		.amdhsa_system_vgpr_workitem_id 0
		.amdhsa_next_free_vgpr 73
		.amdhsa_next_free_sgpr 28
		.amdhsa_reserve_vcc 1
		.amdhsa_float_round_mode_32 0
		.amdhsa_float_round_mode_16_64 0
		.amdhsa_float_denorm_mode_32 3
		.amdhsa_float_denorm_mode_16_64 3
		.amdhsa_fp16_overflow 0
		.amdhsa_workgroup_processor_mode 1
		.amdhsa_memory_ordered 1
		.amdhsa_forward_progress 1
		.amdhsa_inst_pref_size 92
		.amdhsa_round_robin_scheduling 0
		.amdhsa_exception_fp_ieee_invalid_op 0
		.amdhsa_exception_fp_denorm_src 0
		.amdhsa_exception_fp_ieee_div_zero 0
		.amdhsa_exception_fp_ieee_overflow 0
		.amdhsa_exception_fp_ieee_underflow 0
		.amdhsa_exception_fp_ieee_inexact 0
		.amdhsa_exception_int_div_zero 0
	.end_amdhsa_kernel
	.section	.text._ZN7rocprim17ROCPRIM_400000_NS6detail17trampoline_kernelINS0_14default_configENS1_25partition_config_selectorILNS1_17partition_subalgoE6EtNS0_10empty_typeEbEEZZNS1_14partition_implILS5_6ELb0ES3_mN6thrust23THRUST_200600_302600_NS6detail15normal_iteratorINSA_10device_ptrItEEEEPS6_SG_NS0_5tupleIJSF_S6_EEENSH_IJSG_SG_EEES6_PlJNSB_9not_fun_tINSB_10functional5actorINSM_9compositeIJNSM_27transparent_binary_operatorINSA_8equal_toIvEEEENSN_INSM_8argumentILj0EEEEENSM_5valueItEEEEEEEEEEEE10hipError_tPvRmT3_T4_T5_T6_T7_T9_mT8_P12ihipStream_tbDpT10_ENKUlT_T0_E_clISt17integral_constantIbLb0EES1K_EEDaS1F_S1G_EUlS1F_E_NS1_11comp_targetILNS1_3genE10ELNS1_11target_archE1200ELNS1_3gpuE4ELNS1_3repE0EEENS1_30default_config_static_selectorELNS0_4arch9wavefront6targetE0EEEvT1_,"axG",@progbits,_ZN7rocprim17ROCPRIM_400000_NS6detail17trampoline_kernelINS0_14default_configENS1_25partition_config_selectorILNS1_17partition_subalgoE6EtNS0_10empty_typeEbEEZZNS1_14partition_implILS5_6ELb0ES3_mN6thrust23THRUST_200600_302600_NS6detail15normal_iteratorINSA_10device_ptrItEEEEPS6_SG_NS0_5tupleIJSF_S6_EEENSH_IJSG_SG_EEES6_PlJNSB_9not_fun_tINSB_10functional5actorINSM_9compositeIJNSM_27transparent_binary_operatorINSA_8equal_toIvEEEENSN_INSM_8argumentILj0EEEEENSM_5valueItEEEEEEEEEEEE10hipError_tPvRmT3_T4_T5_T6_T7_T9_mT8_P12ihipStream_tbDpT10_ENKUlT_T0_E_clISt17integral_constantIbLb0EES1K_EEDaS1F_S1G_EUlS1F_E_NS1_11comp_targetILNS1_3genE10ELNS1_11target_archE1200ELNS1_3gpuE4ELNS1_3repE0EEENS1_30default_config_static_selectorELNS0_4arch9wavefront6targetE0EEEvT1_,comdat
.Lfunc_end151:
	.size	_ZN7rocprim17ROCPRIM_400000_NS6detail17trampoline_kernelINS0_14default_configENS1_25partition_config_selectorILNS1_17partition_subalgoE6EtNS0_10empty_typeEbEEZZNS1_14partition_implILS5_6ELb0ES3_mN6thrust23THRUST_200600_302600_NS6detail15normal_iteratorINSA_10device_ptrItEEEEPS6_SG_NS0_5tupleIJSF_S6_EEENSH_IJSG_SG_EEES6_PlJNSB_9not_fun_tINSB_10functional5actorINSM_9compositeIJNSM_27transparent_binary_operatorINSA_8equal_toIvEEEENSN_INSM_8argumentILj0EEEEENSM_5valueItEEEEEEEEEEEE10hipError_tPvRmT3_T4_T5_T6_T7_T9_mT8_P12ihipStream_tbDpT10_ENKUlT_T0_E_clISt17integral_constantIbLb0EES1K_EEDaS1F_S1G_EUlS1F_E_NS1_11comp_targetILNS1_3genE10ELNS1_11target_archE1200ELNS1_3gpuE4ELNS1_3repE0EEENS1_30default_config_static_selectorELNS0_4arch9wavefront6targetE0EEEvT1_, .Lfunc_end151-_ZN7rocprim17ROCPRIM_400000_NS6detail17trampoline_kernelINS0_14default_configENS1_25partition_config_selectorILNS1_17partition_subalgoE6EtNS0_10empty_typeEbEEZZNS1_14partition_implILS5_6ELb0ES3_mN6thrust23THRUST_200600_302600_NS6detail15normal_iteratorINSA_10device_ptrItEEEEPS6_SG_NS0_5tupleIJSF_S6_EEENSH_IJSG_SG_EEES6_PlJNSB_9not_fun_tINSB_10functional5actorINSM_9compositeIJNSM_27transparent_binary_operatorINSA_8equal_toIvEEEENSN_INSM_8argumentILj0EEEEENSM_5valueItEEEEEEEEEEEE10hipError_tPvRmT3_T4_T5_T6_T7_T9_mT8_P12ihipStream_tbDpT10_ENKUlT_T0_E_clISt17integral_constantIbLb0EES1K_EEDaS1F_S1G_EUlS1F_E_NS1_11comp_targetILNS1_3genE10ELNS1_11target_archE1200ELNS1_3gpuE4ELNS1_3repE0EEENS1_30default_config_static_selectorELNS0_4arch9wavefront6targetE0EEEvT1_
                                        ; -- End function
	.set _ZN7rocprim17ROCPRIM_400000_NS6detail17trampoline_kernelINS0_14default_configENS1_25partition_config_selectorILNS1_17partition_subalgoE6EtNS0_10empty_typeEbEEZZNS1_14partition_implILS5_6ELb0ES3_mN6thrust23THRUST_200600_302600_NS6detail15normal_iteratorINSA_10device_ptrItEEEEPS6_SG_NS0_5tupleIJSF_S6_EEENSH_IJSG_SG_EEES6_PlJNSB_9not_fun_tINSB_10functional5actorINSM_9compositeIJNSM_27transparent_binary_operatorINSA_8equal_toIvEEEENSN_INSM_8argumentILj0EEEEENSM_5valueItEEEEEEEEEEEE10hipError_tPvRmT3_T4_T5_T6_T7_T9_mT8_P12ihipStream_tbDpT10_ENKUlT_T0_E_clISt17integral_constantIbLb0EES1K_EEDaS1F_S1G_EUlS1F_E_NS1_11comp_targetILNS1_3genE10ELNS1_11target_archE1200ELNS1_3gpuE4ELNS1_3repE0EEENS1_30default_config_static_selectorELNS0_4arch9wavefront6targetE0EEEvT1_.num_vgpr, 73
	.set _ZN7rocprim17ROCPRIM_400000_NS6detail17trampoline_kernelINS0_14default_configENS1_25partition_config_selectorILNS1_17partition_subalgoE6EtNS0_10empty_typeEbEEZZNS1_14partition_implILS5_6ELb0ES3_mN6thrust23THRUST_200600_302600_NS6detail15normal_iteratorINSA_10device_ptrItEEEEPS6_SG_NS0_5tupleIJSF_S6_EEENSH_IJSG_SG_EEES6_PlJNSB_9not_fun_tINSB_10functional5actorINSM_9compositeIJNSM_27transparent_binary_operatorINSA_8equal_toIvEEEENSN_INSM_8argumentILj0EEEEENSM_5valueItEEEEEEEEEEEE10hipError_tPvRmT3_T4_T5_T6_T7_T9_mT8_P12ihipStream_tbDpT10_ENKUlT_T0_E_clISt17integral_constantIbLb0EES1K_EEDaS1F_S1G_EUlS1F_E_NS1_11comp_targetILNS1_3genE10ELNS1_11target_archE1200ELNS1_3gpuE4ELNS1_3repE0EEENS1_30default_config_static_selectorELNS0_4arch9wavefront6targetE0EEEvT1_.num_agpr, 0
	.set _ZN7rocprim17ROCPRIM_400000_NS6detail17trampoline_kernelINS0_14default_configENS1_25partition_config_selectorILNS1_17partition_subalgoE6EtNS0_10empty_typeEbEEZZNS1_14partition_implILS5_6ELb0ES3_mN6thrust23THRUST_200600_302600_NS6detail15normal_iteratorINSA_10device_ptrItEEEEPS6_SG_NS0_5tupleIJSF_S6_EEENSH_IJSG_SG_EEES6_PlJNSB_9not_fun_tINSB_10functional5actorINSM_9compositeIJNSM_27transparent_binary_operatorINSA_8equal_toIvEEEENSN_INSM_8argumentILj0EEEEENSM_5valueItEEEEEEEEEEEE10hipError_tPvRmT3_T4_T5_T6_T7_T9_mT8_P12ihipStream_tbDpT10_ENKUlT_T0_E_clISt17integral_constantIbLb0EES1K_EEDaS1F_S1G_EUlS1F_E_NS1_11comp_targetILNS1_3genE10ELNS1_11target_archE1200ELNS1_3gpuE4ELNS1_3repE0EEENS1_30default_config_static_selectorELNS0_4arch9wavefront6targetE0EEEvT1_.numbered_sgpr, 28
	.set _ZN7rocprim17ROCPRIM_400000_NS6detail17trampoline_kernelINS0_14default_configENS1_25partition_config_selectorILNS1_17partition_subalgoE6EtNS0_10empty_typeEbEEZZNS1_14partition_implILS5_6ELb0ES3_mN6thrust23THRUST_200600_302600_NS6detail15normal_iteratorINSA_10device_ptrItEEEEPS6_SG_NS0_5tupleIJSF_S6_EEENSH_IJSG_SG_EEES6_PlJNSB_9not_fun_tINSB_10functional5actorINSM_9compositeIJNSM_27transparent_binary_operatorINSA_8equal_toIvEEEENSN_INSM_8argumentILj0EEEEENSM_5valueItEEEEEEEEEEEE10hipError_tPvRmT3_T4_T5_T6_T7_T9_mT8_P12ihipStream_tbDpT10_ENKUlT_T0_E_clISt17integral_constantIbLb0EES1K_EEDaS1F_S1G_EUlS1F_E_NS1_11comp_targetILNS1_3genE10ELNS1_11target_archE1200ELNS1_3gpuE4ELNS1_3repE0EEENS1_30default_config_static_selectorELNS0_4arch9wavefront6targetE0EEEvT1_.num_named_barrier, 0
	.set _ZN7rocprim17ROCPRIM_400000_NS6detail17trampoline_kernelINS0_14default_configENS1_25partition_config_selectorILNS1_17partition_subalgoE6EtNS0_10empty_typeEbEEZZNS1_14partition_implILS5_6ELb0ES3_mN6thrust23THRUST_200600_302600_NS6detail15normal_iteratorINSA_10device_ptrItEEEEPS6_SG_NS0_5tupleIJSF_S6_EEENSH_IJSG_SG_EEES6_PlJNSB_9not_fun_tINSB_10functional5actorINSM_9compositeIJNSM_27transparent_binary_operatorINSA_8equal_toIvEEEENSN_INSM_8argumentILj0EEEEENSM_5valueItEEEEEEEEEEEE10hipError_tPvRmT3_T4_T5_T6_T7_T9_mT8_P12ihipStream_tbDpT10_ENKUlT_T0_E_clISt17integral_constantIbLb0EES1K_EEDaS1F_S1G_EUlS1F_E_NS1_11comp_targetILNS1_3genE10ELNS1_11target_archE1200ELNS1_3gpuE4ELNS1_3repE0EEENS1_30default_config_static_selectorELNS0_4arch9wavefront6targetE0EEEvT1_.private_seg_size, 0
	.set _ZN7rocprim17ROCPRIM_400000_NS6detail17trampoline_kernelINS0_14default_configENS1_25partition_config_selectorILNS1_17partition_subalgoE6EtNS0_10empty_typeEbEEZZNS1_14partition_implILS5_6ELb0ES3_mN6thrust23THRUST_200600_302600_NS6detail15normal_iteratorINSA_10device_ptrItEEEEPS6_SG_NS0_5tupleIJSF_S6_EEENSH_IJSG_SG_EEES6_PlJNSB_9not_fun_tINSB_10functional5actorINSM_9compositeIJNSM_27transparent_binary_operatorINSA_8equal_toIvEEEENSN_INSM_8argumentILj0EEEEENSM_5valueItEEEEEEEEEEEE10hipError_tPvRmT3_T4_T5_T6_T7_T9_mT8_P12ihipStream_tbDpT10_ENKUlT_T0_E_clISt17integral_constantIbLb0EES1K_EEDaS1F_S1G_EUlS1F_E_NS1_11comp_targetILNS1_3genE10ELNS1_11target_archE1200ELNS1_3gpuE4ELNS1_3repE0EEENS1_30default_config_static_selectorELNS0_4arch9wavefront6targetE0EEEvT1_.uses_vcc, 1
	.set _ZN7rocprim17ROCPRIM_400000_NS6detail17trampoline_kernelINS0_14default_configENS1_25partition_config_selectorILNS1_17partition_subalgoE6EtNS0_10empty_typeEbEEZZNS1_14partition_implILS5_6ELb0ES3_mN6thrust23THRUST_200600_302600_NS6detail15normal_iteratorINSA_10device_ptrItEEEEPS6_SG_NS0_5tupleIJSF_S6_EEENSH_IJSG_SG_EEES6_PlJNSB_9not_fun_tINSB_10functional5actorINSM_9compositeIJNSM_27transparent_binary_operatorINSA_8equal_toIvEEEENSN_INSM_8argumentILj0EEEEENSM_5valueItEEEEEEEEEEEE10hipError_tPvRmT3_T4_T5_T6_T7_T9_mT8_P12ihipStream_tbDpT10_ENKUlT_T0_E_clISt17integral_constantIbLb0EES1K_EEDaS1F_S1G_EUlS1F_E_NS1_11comp_targetILNS1_3genE10ELNS1_11target_archE1200ELNS1_3gpuE4ELNS1_3repE0EEENS1_30default_config_static_selectorELNS0_4arch9wavefront6targetE0EEEvT1_.uses_flat_scratch, 1
	.set _ZN7rocprim17ROCPRIM_400000_NS6detail17trampoline_kernelINS0_14default_configENS1_25partition_config_selectorILNS1_17partition_subalgoE6EtNS0_10empty_typeEbEEZZNS1_14partition_implILS5_6ELb0ES3_mN6thrust23THRUST_200600_302600_NS6detail15normal_iteratorINSA_10device_ptrItEEEEPS6_SG_NS0_5tupleIJSF_S6_EEENSH_IJSG_SG_EEES6_PlJNSB_9not_fun_tINSB_10functional5actorINSM_9compositeIJNSM_27transparent_binary_operatorINSA_8equal_toIvEEEENSN_INSM_8argumentILj0EEEEENSM_5valueItEEEEEEEEEEEE10hipError_tPvRmT3_T4_T5_T6_T7_T9_mT8_P12ihipStream_tbDpT10_ENKUlT_T0_E_clISt17integral_constantIbLb0EES1K_EEDaS1F_S1G_EUlS1F_E_NS1_11comp_targetILNS1_3genE10ELNS1_11target_archE1200ELNS1_3gpuE4ELNS1_3repE0EEENS1_30default_config_static_selectorELNS0_4arch9wavefront6targetE0EEEvT1_.has_dyn_sized_stack, 0
	.set _ZN7rocprim17ROCPRIM_400000_NS6detail17trampoline_kernelINS0_14default_configENS1_25partition_config_selectorILNS1_17partition_subalgoE6EtNS0_10empty_typeEbEEZZNS1_14partition_implILS5_6ELb0ES3_mN6thrust23THRUST_200600_302600_NS6detail15normal_iteratorINSA_10device_ptrItEEEEPS6_SG_NS0_5tupleIJSF_S6_EEENSH_IJSG_SG_EEES6_PlJNSB_9not_fun_tINSB_10functional5actorINSM_9compositeIJNSM_27transparent_binary_operatorINSA_8equal_toIvEEEENSN_INSM_8argumentILj0EEEEENSM_5valueItEEEEEEEEEEEE10hipError_tPvRmT3_T4_T5_T6_T7_T9_mT8_P12ihipStream_tbDpT10_ENKUlT_T0_E_clISt17integral_constantIbLb0EES1K_EEDaS1F_S1G_EUlS1F_E_NS1_11comp_targetILNS1_3genE10ELNS1_11target_archE1200ELNS1_3gpuE4ELNS1_3repE0EEENS1_30default_config_static_selectorELNS0_4arch9wavefront6targetE0EEEvT1_.has_recursion, 0
	.set _ZN7rocprim17ROCPRIM_400000_NS6detail17trampoline_kernelINS0_14default_configENS1_25partition_config_selectorILNS1_17partition_subalgoE6EtNS0_10empty_typeEbEEZZNS1_14partition_implILS5_6ELb0ES3_mN6thrust23THRUST_200600_302600_NS6detail15normal_iteratorINSA_10device_ptrItEEEEPS6_SG_NS0_5tupleIJSF_S6_EEENSH_IJSG_SG_EEES6_PlJNSB_9not_fun_tINSB_10functional5actorINSM_9compositeIJNSM_27transparent_binary_operatorINSA_8equal_toIvEEEENSN_INSM_8argumentILj0EEEEENSM_5valueItEEEEEEEEEEEE10hipError_tPvRmT3_T4_T5_T6_T7_T9_mT8_P12ihipStream_tbDpT10_ENKUlT_T0_E_clISt17integral_constantIbLb0EES1K_EEDaS1F_S1G_EUlS1F_E_NS1_11comp_targetILNS1_3genE10ELNS1_11target_archE1200ELNS1_3gpuE4ELNS1_3repE0EEENS1_30default_config_static_selectorELNS0_4arch9wavefront6targetE0EEEvT1_.has_indirect_call, 0
	.section	.AMDGPU.csdata,"",@progbits
; Kernel info:
; codeLenInByte = 11660
; TotalNumSgprs: 30
; NumVgprs: 73
; ScratchSize: 0
; MemoryBound: 0
; FloatMode: 240
; IeeeMode: 1
; LDSByteSize: 13840 bytes/workgroup (compile time only)
; SGPRBlocks: 0
; VGPRBlocks: 9
; NumSGPRsForWavesPerEU: 30
; NumVGPRsForWavesPerEU: 73
; Occupancy: 15
; WaveLimiterHint : 1
; COMPUTE_PGM_RSRC2:SCRATCH_EN: 0
; COMPUTE_PGM_RSRC2:USER_SGPR: 2
; COMPUTE_PGM_RSRC2:TRAP_HANDLER: 0
; COMPUTE_PGM_RSRC2:TGID_X_EN: 1
; COMPUTE_PGM_RSRC2:TGID_Y_EN: 0
; COMPUTE_PGM_RSRC2:TGID_Z_EN: 0
; COMPUTE_PGM_RSRC2:TIDIG_COMP_CNT: 0
	.section	.text._ZN7rocprim17ROCPRIM_400000_NS6detail17trampoline_kernelINS0_14default_configENS1_25partition_config_selectorILNS1_17partition_subalgoE6EtNS0_10empty_typeEbEEZZNS1_14partition_implILS5_6ELb0ES3_mN6thrust23THRUST_200600_302600_NS6detail15normal_iteratorINSA_10device_ptrItEEEEPS6_SG_NS0_5tupleIJSF_S6_EEENSH_IJSG_SG_EEES6_PlJNSB_9not_fun_tINSB_10functional5actorINSM_9compositeIJNSM_27transparent_binary_operatorINSA_8equal_toIvEEEENSN_INSM_8argumentILj0EEEEENSM_5valueItEEEEEEEEEEEE10hipError_tPvRmT3_T4_T5_T6_T7_T9_mT8_P12ihipStream_tbDpT10_ENKUlT_T0_E_clISt17integral_constantIbLb0EES1K_EEDaS1F_S1G_EUlS1F_E_NS1_11comp_targetILNS1_3genE9ELNS1_11target_archE1100ELNS1_3gpuE3ELNS1_3repE0EEENS1_30default_config_static_selectorELNS0_4arch9wavefront6targetE0EEEvT1_,"axG",@progbits,_ZN7rocprim17ROCPRIM_400000_NS6detail17trampoline_kernelINS0_14default_configENS1_25partition_config_selectorILNS1_17partition_subalgoE6EtNS0_10empty_typeEbEEZZNS1_14partition_implILS5_6ELb0ES3_mN6thrust23THRUST_200600_302600_NS6detail15normal_iteratorINSA_10device_ptrItEEEEPS6_SG_NS0_5tupleIJSF_S6_EEENSH_IJSG_SG_EEES6_PlJNSB_9not_fun_tINSB_10functional5actorINSM_9compositeIJNSM_27transparent_binary_operatorINSA_8equal_toIvEEEENSN_INSM_8argumentILj0EEEEENSM_5valueItEEEEEEEEEEEE10hipError_tPvRmT3_T4_T5_T6_T7_T9_mT8_P12ihipStream_tbDpT10_ENKUlT_T0_E_clISt17integral_constantIbLb0EES1K_EEDaS1F_S1G_EUlS1F_E_NS1_11comp_targetILNS1_3genE9ELNS1_11target_archE1100ELNS1_3gpuE3ELNS1_3repE0EEENS1_30default_config_static_selectorELNS0_4arch9wavefront6targetE0EEEvT1_,comdat
	.protected	_ZN7rocprim17ROCPRIM_400000_NS6detail17trampoline_kernelINS0_14default_configENS1_25partition_config_selectorILNS1_17partition_subalgoE6EtNS0_10empty_typeEbEEZZNS1_14partition_implILS5_6ELb0ES3_mN6thrust23THRUST_200600_302600_NS6detail15normal_iteratorINSA_10device_ptrItEEEEPS6_SG_NS0_5tupleIJSF_S6_EEENSH_IJSG_SG_EEES6_PlJNSB_9not_fun_tINSB_10functional5actorINSM_9compositeIJNSM_27transparent_binary_operatorINSA_8equal_toIvEEEENSN_INSM_8argumentILj0EEEEENSM_5valueItEEEEEEEEEEEE10hipError_tPvRmT3_T4_T5_T6_T7_T9_mT8_P12ihipStream_tbDpT10_ENKUlT_T0_E_clISt17integral_constantIbLb0EES1K_EEDaS1F_S1G_EUlS1F_E_NS1_11comp_targetILNS1_3genE9ELNS1_11target_archE1100ELNS1_3gpuE3ELNS1_3repE0EEENS1_30default_config_static_selectorELNS0_4arch9wavefront6targetE0EEEvT1_ ; -- Begin function _ZN7rocprim17ROCPRIM_400000_NS6detail17trampoline_kernelINS0_14default_configENS1_25partition_config_selectorILNS1_17partition_subalgoE6EtNS0_10empty_typeEbEEZZNS1_14partition_implILS5_6ELb0ES3_mN6thrust23THRUST_200600_302600_NS6detail15normal_iteratorINSA_10device_ptrItEEEEPS6_SG_NS0_5tupleIJSF_S6_EEENSH_IJSG_SG_EEES6_PlJNSB_9not_fun_tINSB_10functional5actorINSM_9compositeIJNSM_27transparent_binary_operatorINSA_8equal_toIvEEEENSN_INSM_8argumentILj0EEEEENSM_5valueItEEEEEEEEEEEE10hipError_tPvRmT3_T4_T5_T6_T7_T9_mT8_P12ihipStream_tbDpT10_ENKUlT_T0_E_clISt17integral_constantIbLb0EES1K_EEDaS1F_S1G_EUlS1F_E_NS1_11comp_targetILNS1_3genE9ELNS1_11target_archE1100ELNS1_3gpuE3ELNS1_3repE0EEENS1_30default_config_static_selectorELNS0_4arch9wavefront6targetE0EEEvT1_
	.globl	_ZN7rocprim17ROCPRIM_400000_NS6detail17trampoline_kernelINS0_14default_configENS1_25partition_config_selectorILNS1_17partition_subalgoE6EtNS0_10empty_typeEbEEZZNS1_14partition_implILS5_6ELb0ES3_mN6thrust23THRUST_200600_302600_NS6detail15normal_iteratorINSA_10device_ptrItEEEEPS6_SG_NS0_5tupleIJSF_S6_EEENSH_IJSG_SG_EEES6_PlJNSB_9not_fun_tINSB_10functional5actorINSM_9compositeIJNSM_27transparent_binary_operatorINSA_8equal_toIvEEEENSN_INSM_8argumentILj0EEEEENSM_5valueItEEEEEEEEEEEE10hipError_tPvRmT3_T4_T5_T6_T7_T9_mT8_P12ihipStream_tbDpT10_ENKUlT_T0_E_clISt17integral_constantIbLb0EES1K_EEDaS1F_S1G_EUlS1F_E_NS1_11comp_targetILNS1_3genE9ELNS1_11target_archE1100ELNS1_3gpuE3ELNS1_3repE0EEENS1_30default_config_static_selectorELNS0_4arch9wavefront6targetE0EEEvT1_
	.p2align	8
	.type	_ZN7rocprim17ROCPRIM_400000_NS6detail17trampoline_kernelINS0_14default_configENS1_25partition_config_selectorILNS1_17partition_subalgoE6EtNS0_10empty_typeEbEEZZNS1_14partition_implILS5_6ELb0ES3_mN6thrust23THRUST_200600_302600_NS6detail15normal_iteratorINSA_10device_ptrItEEEEPS6_SG_NS0_5tupleIJSF_S6_EEENSH_IJSG_SG_EEES6_PlJNSB_9not_fun_tINSB_10functional5actorINSM_9compositeIJNSM_27transparent_binary_operatorINSA_8equal_toIvEEEENSN_INSM_8argumentILj0EEEEENSM_5valueItEEEEEEEEEEEE10hipError_tPvRmT3_T4_T5_T6_T7_T9_mT8_P12ihipStream_tbDpT10_ENKUlT_T0_E_clISt17integral_constantIbLb0EES1K_EEDaS1F_S1G_EUlS1F_E_NS1_11comp_targetILNS1_3genE9ELNS1_11target_archE1100ELNS1_3gpuE3ELNS1_3repE0EEENS1_30default_config_static_selectorELNS0_4arch9wavefront6targetE0EEEvT1_,@function
_ZN7rocprim17ROCPRIM_400000_NS6detail17trampoline_kernelINS0_14default_configENS1_25partition_config_selectorILNS1_17partition_subalgoE6EtNS0_10empty_typeEbEEZZNS1_14partition_implILS5_6ELb0ES3_mN6thrust23THRUST_200600_302600_NS6detail15normal_iteratorINSA_10device_ptrItEEEEPS6_SG_NS0_5tupleIJSF_S6_EEENSH_IJSG_SG_EEES6_PlJNSB_9not_fun_tINSB_10functional5actorINSM_9compositeIJNSM_27transparent_binary_operatorINSA_8equal_toIvEEEENSN_INSM_8argumentILj0EEEEENSM_5valueItEEEEEEEEEEEE10hipError_tPvRmT3_T4_T5_T6_T7_T9_mT8_P12ihipStream_tbDpT10_ENKUlT_T0_E_clISt17integral_constantIbLb0EES1K_EEDaS1F_S1G_EUlS1F_E_NS1_11comp_targetILNS1_3genE9ELNS1_11target_archE1100ELNS1_3gpuE3ELNS1_3repE0EEENS1_30default_config_static_selectorELNS0_4arch9wavefront6targetE0EEEvT1_: ; @_ZN7rocprim17ROCPRIM_400000_NS6detail17trampoline_kernelINS0_14default_configENS1_25partition_config_selectorILNS1_17partition_subalgoE6EtNS0_10empty_typeEbEEZZNS1_14partition_implILS5_6ELb0ES3_mN6thrust23THRUST_200600_302600_NS6detail15normal_iteratorINSA_10device_ptrItEEEEPS6_SG_NS0_5tupleIJSF_S6_EEENSH_IJSG_SG_EEES6_PlJNSB_9not_fun_tINSB_10functional5actorINSM_9compositeIJNSM_27transparent_binary_operatorINSA_8equal_toIvEEEENSN_INSM_8argumentILj0EEEEENSM_5valueItEEEEEEEEEEEE10hipError_tPvRmT3_T4_T5_T6_T7_T9_mT8_P12ihipStream_tbDpT10_ENKUlT_T0_E_clISt17integral_constantIbLb0EES1K_EEDaS1F_S1G_EUlS1F_E_NS1_11comp_targetILNS1_3genE9ELNS1_11target_archE1100ELNS1_3gpuE3ELNS1_3repE0EEENS1_30default_config_static_selectorELNS0_4arch9wavefront6targetE0EEEvT1_
; %bb.0:
	.section	.rodata,"a",@progbits
	.p2align	6, 0x0
	.amdhsa_kernel _ZN7rocprim17ROCPRIM_400000_NS6detail17trampoline_kernelINS0_14default_configENS1_25partition_config_selectorILNS1_17partition_subalgoE6EtNS0_10empty_typeEbEEZZNS1_14partition_implILS5_6ELb0ES3_mN6thrust23THRUST_200600_302600_NS6detail15normal_iteratorINSA_10device_ptrItEEEEPS6_SG_NS0_5tupleIJSF_S6_EEENSH_IJSG_SG_EEES6_PlJNSB_9not_fun_tINSB_10functional5actorINSM_9compositeIJNSM_27transparent_binary_operatorINSA_8equal_toIvEEEENSN_INSM_8argumentILj0EEEEENSM_5valueItEEEEEEEEEEEE10hipError_tPvRmT3_T4_T5_T6_T7_T9_mT8_P12ihipStream_tbDpT10_ENKUlT_T0_E_clISt17integral_constantIbLb0EES1K_EEDaS1F_S1G_EUlS1F_E_NS1_11comp_targetILNS1_3genE9ELNS1_11target_archE1100ELNS1_3gpuE3ELNS1_3repE0EEENS1_30default_config_static_selectorELNS0_4arch9wavefront6targetE0EEEvT1_
		.amdhsa_group_segment_fixed_size 0
		.amdhsa_private_segment_fixed_size 0
		.amdhsa_kernarg_size 120
		.amdhsa_user_sgpr_count 2
		.amdhsa_user_sgpr_dispatch_ptr 0
		.amdhsa_user_sgpr_queue_ptr 0
		.amdhsa_user_sgpr_kernarg_segment_ptr 1
		.amdhsa_user_sgpr_dispatch_id 0
		.amdhsa_user_sgpr_private_segment_size 0
		.amdhsa_wavefront_size32 1
		.amdhsa_uses_dynamic_stack 0
		.amdhsa_enable_private_segment 0
		.amdhsa_system_sgpr_workgroup_id_x 1
		.amdhsa_system_sgpr_workgroup_id_y 0
		.amdhsa_system_sgpr_workgroup_id_z 0
		.amdhsa_system_sgpr_workgroup_info 0
		.amdhsa_system_vgpr_workitem_id 0
		.amdhsa_next_free_vgpr 1
		.amdhsa_next_free_sgpr 1
		.amdhsa_reserve_vcc 0
		.amdhsa_float_round_mode_32 0
		.amdhsa_float_round_mode_16_64 0
		.amdhsa_float_denorm_mode_32 3
		.amdhsa_float_denorm_mode_16_64 3
		.amdhsa_fp16_overflow 0
		.amdhsa_workgroup_processor_mode 1
		.amdhsa_memory_ordered 1
		.amdhsa_forward_progress 1
		.amdhsa_inst_pref_size 0
		.amdhsa_round_robin_scheduling 0
		.amdhsa_exception_fp_ieee_invalid_op 0
		.amdhsa_exception_fp_denorm_src 0
		.amdhsa_exception_fp_ieee_div_zero 0
		.amdhsa_exception_fp_ieee_overflow 0
		.amdhsa_exception_fp_ieee_underflow 0
		.amdhsa_exception_fp_ieee_inexact 0
		.amdhsa_exception_int_div_zero 0
	.end_amdhsa_kernel
	.section	.text._ZN7rocprim17ROCPRIM_400000_NS6detail17trampoline_kernelINS0_14default_configENS1_25partition_config_selectorILNS1_17partition_subalgoE6EtNS0_10empty_typeEbEEZZNS1_14partition_implILS5_6ELb0ES3_mN6thrust23THRUST_200600_302600_NS6detail15normal_iteratorINSA_10device_ptrItEEEEPS6_SG_NS0_5tupleIJSF_S6_EEENSH_IJSG_SG_EEES6_PlJNSB_9not_fun_tINSB_10functional5actorINSM_9compositeIJNSM_27transparent_binary_operatorINSA_8equal_toIvEEEENSN_INSM_8argumentILj0EEEEENSM_5valueItEEEEEEEEEEEE10hipError_tPvRmT3_T4_T5_T6_T7_T9_mT8_P12ihipStream_tbDpT10_ENKUlT_T0_E_clISt17integral_constantIbLb0EES1K_EEDaS1F_S1G_EUlS1F_E_NS1_11comp_targetILNS1_3genE9ELNS1_11target_archE1100ELNS1_3gpuE3ELNS1_3repE0EEENS1_30default_config_static_selectorELNS0_4arch9wavefront6targetE0EEEvT1_,"axG",@progbits,_ZN7rocprim17ROCPRIM_400000_NS6detail17trampoline_kernelINS0_14default_configENS1_25partition_config_selectorILNS1_17partition_subalgoE6EtNS0_10empty_typeEbEEZZNS1_14partition_implILS5_6ELb0ES3_mN6thrust23THRUST_200600_302600_NS6detail15normal_iteratorINSA_10device_ptrItEEEEPS6_SG_NS0_5tupleIJSF_S6_EEENSH_IJSG_SG_EEES6_PlJNSB_9not_fun_tINSB_10functional5actorINSM_9compositeIJNSM_27transparent_binary_operatorINSA_8equal_toIvEEEENSN_INSM_8argumentILj0EEEEENSM_5valueItEEEEEEEEEEEE10hipError_tPvRmT3_T4_T5_T6_T7_T9_mT8_P12ihipStream_tbDpT10_ENKUlT_T0_E_clISt17integral_constantIbLb0EES1K_EEDaS1F_S1G_EUlS1F_E_NS1_11comp_targetILNS1_3genE9ELNS1_11target_archE1100ELNS1_3gpuE3ELNS1_3repE0EEENS1_30default_config_static_selectorELNS0_4arch9wavefront6targetE0EEEvT1_,comdat
.Lfunc_end152:
	.size	_ZN7rocprim17ROCPRIM_400000_NS6detail17trampoline_kernelINS0_14default_configENS1_25partition_config_selectorILNS1_17partition_subalgoE6EtNS0_10empty_typeEbEEZZNS1_14partition_implILS5_6ELb0ES3_mN6thrust23THRUST_200600_302600_NS6detail15normal_iteratorINSA_10device_ptrItEEEEPS6_SG_NS0_5tupleIJSF_S6_EEENSH_IJSG_SG_EEES6_PlJNSB_9not_fun_tINSB_10functional5actorINSM_9compositeIJNSM_27transparent_binary_operatorINSA_8equal_toIvEEEENSN_INSM_8argumentILj0EEEEENSM_5valueItEEEEEEEEEEEE10hipError_tPvRmT3_T4_T5_T6_T7_T9_mT8_P12ihipStream_tbDpT10_ENKUlT_T0_E_clISt17integral_constantIbLb0EES1K_EEDaS1F_S1G_EUlS1F_E_NS1_11comp_targetILNS1_3genE9ELNS1_11target_archE1100ELNS1_3gpuE3ELNS1_3repE0EEENS1_30default_config_static_selectorELNS0_4arch9wavefront6targetE0EEEvT1_, .Lfunc_end152-_ZN7rocprim17ROCPRIM_400000_NS6detail17trampoline_kernelINS0_14default_configENS1_25partition_config_selectorILNS1_17partition_subalgoE6EtNS0_10empty_typeEbEEZZNS1_14partition_implILS5_6ELb0ES3_mN6thrust23THRUST_200600_302600_NS6detail15normal_iteratorINSA_10device_ptrItEEEEPS6_SG_NS0_5tupleIJSF_S6_EEENSH_IJSG_SG_EEES6_PlJNSB_9not_fun_tINSB_10functional5actorINSM_9compositeIJNSM_27transparent_binary_operatorINSA_8equal_toIvEEEENSN_INSM_8argumentILj0EEEEENSM_5valueItEEEEEEEEEEEE10hipError_tPvRmT3_T4_T5_T6_T7_T9_mT8_P12ihipStream_tbDpT10_ENKUlT_T0_E_clISt17integral_constantIbLb0EES1K_EEDaS1F_S1G_EUlS1F_E_NS1_11comp_targetILNS1_3genE9ELNS1_11target_archE1100ELNS1_3gpuE3ELNS1_3repE0EEENS1_30default_config_static_selectorELNS0_4arch9wavefront6targetE0EEEvT1_
                                        ; -- End function
	.set _ZN7rocprim17ROCPRIM_400000_NS6detail17trampoline_kernelINS0_14default_configENS1_25partition_config_selectorILNS1_17partition_subalgoE6EtNS0_10empty_typeEbEEZZNS1_14partition_implILS5_6ELb0ES3_mN6thrust23THRUST_200600_302600_NS6detail15normal_iteratorINSA_10device_ptrItEEEEPS6_SG_NS0_5tupleIJSF_S6_EEENSH_IJSG_SG_EEES6_PlJNSB_9not_fun_tINSB_10functional5actorINSM_9compositeIJNSM_27transparent_binary_operatorINSA_8equal_toIvEEEENSN_INSM_8argumentILj0EEEEENSM_5valueItEEEEEEEEEEEE10hipError_tPvRmT3_T4_T5_T6_T7_T9_mT8_P12ihipStream_tbDpT10_ENKUlT_T0_E_clISt17integral_constantIbLb0EES1K_EEDaS1F_S1G_EUlS1F_E_NS1_11comp_targetILNS1_3genE9ELNS1_11target_archE1100ELNS1_3gpuE3ELNS1_3repE0EEENS1_30default_config_static_selectorELNS0_4arch9wavefront6targetE0EEEvT1_.num_vgpr, 0
	.set _ZN7rocprim17ROCPRIM_400000_NS6detail17trampoline_kernelINS0_14default_configENS1_25partition_config_selectorILNS1_17partition_subalgoE6EtNS0_10empty_typeEbEEZZNS1_14partition_implILS5_6ELb0ES3_mN6thrust23THRUST_200600_302600_NS6detail15normal_iteratorINSA_10device_ptrItEEEEPS6_SG_NS0_5tupleIJSF_S6_EEENSH_IJSG_SG_EEES6_PlJNSB_9not_fun_tINSB_10functional5actorINSM_9compositeIJNSM_27transparent_binary_operatorINSA_8equal_toIvEEEENSN_INSM_8argumentILj0EEEEENSM_5valueItEEEEEEEEEEEE10hipError_tPvRmT3_T4_T5_T6_T7_T9_mT8_P12ihipStream_tbDpT10_ENKUlT_T0_E_clISt17integral_constantIbLb0EES1K_EEDaS1F_S1G_EUlS1F_E_NS1_11comp_targetILNS1_3genE9ELNS1_11target_archE1100ELNS1_3gpuE3ELNS1_3repE0EEENS1_30default_config_static_selectorELNS0_4arch9wavefront6targetE0EEEvT1_.num_agpr, 0
	.set _ZN7rocprim17ROCPRIM_400000_NS6detail17trampoline_kernelINS0_14default_configENS1_25partition_config_selectorILNS1_17partition_subalgoE6EtNS0_10empty_typeEbEEZZNS1_14partition_implILS5_6ELb0ES3_mN6thrust23THRUST_200600_302600_NS6detail15normal_iteratorINSA_10device_ptrItEEEEPS6_SG_NS0_5tupleIJSF_S6_EEENSH_IJSG_SG_EEES6_PlJNSB_9not_fun_tINSB_10functional5actorINSM_9compositeIJNSM_27transparent_binary_operatorINSA_8equal_toIvEEEENSN_INSM_8argumentILj0EEEEENSM_5valueItEEEEEEEEEEEE10hipError_tPvRmT3_T4_T5_T6_T7_T9_mT8_P12ihipStream_tbDpT10_ENKUlT_T0_E_clISt17integral_constantIbLb0EES1K_EEDaS1F_S1G_EUlS1F_E_NS1_11comp_targetILNS1_3genE9ELNS1_11target_archE1100ELNS1_3gpuE3ELNS1_3repE0EEENS1_30default_config_static_selectorELNS0_4arch9wavefront6targetE0EEEvT1_.numbered_sgpr, 0
	.set _ZN7rocprim17ROCPRIM_400000_NS6detail17trampoline_kernelINS0_14default_configENS1_25partition_config_selectorILNS1_17partition_subalgoE6EtNS0_10empty_typeEbEEZZNS1_14partition_implILS5_6ELb0ES3_mN6thrust23THRUST_200600_302600_NS6detail15normal_iteratorINSA_10device_ptrItEEEEPS6_SG_NS0_5tupleIJSF_S6_EEENSH_IJSG_SG_EEES6_PlJNSB_9not_fun_tINSB_10functional5actorINSM_9compositeIJNSM_27transparent_binary_operatorINSA_8equal_toIvEEEENSN_INSM_8argumentILj0EEEEENSM_5valueItEEEEEEEEEEEE10hipError_tPvRmT3_T4_T5_T6_T7_T9_mT8_P12ihipStream_tbDpT10_ENKUlT_T0_E_clISt17integral_constantIbLb0EES1K_EEDaS1F_S1G_EUlS1F_E_NS1_11comp_targetILNS1_3genE9ELNS1_11target_archE1100ELNS1_3gpuE3ELNS1_3repE0EEENS1_30default_config_static_selectorELNS0_4arch9wavefront6targetE0EEEvT1_.num_named_barrier, 0
	.set _ZN7rocprim17ROCPRIM_400000_NS6detail17trampoline_kernelINS0_14default_configENS1_25partition_config_selectorILNS1_17partition_subalgoE6EtNS0_10empty_typeEbEEZZNS1_14partition_implILS5_6ELb0ES3_mN6thrust23THRUST_200600_302600_NS6detail15normal_iteratorINSA_10device_ptrItEEEEPS6_SG_NS0_5tupleIJSF_S6_EEENSH_IJSG_SG_EEES6_PlJNSB_9not_fun_tINSB_10functional5actorINSM_9compositeIJNSM_27transparent_binary_operatorINSA_8equal_toIvEEEENSN_INSM_8argumentILj0EEEEENSM_5valueItEEEEEEEEEEEE10hipError_tPvRmT3_T4_T5_T6_T7_T9_mT8_P12ihipStream_tbDpT10_ENKUlT_T0_E_clISt17integral_constantIbLb0EES1K_EEDaS1F_S1G_EUlS1F_E_NS1_11comp_targetILNS1_3genE9ELNS1_11target_archE1100ELNS1_3gpuE3ELNS1_3repE0EEENS1_30default_config_static_selectorELNS0_4arch9wavefront6targetE0EEEvT1_.private_seg_size, 0
	.set _ZN7rocprim17ROCPRIM_400000_NS6detail17trampoline_kernelINS0_14default_configENS1_25partition_config_selectorILNS1_17partition_subalgoE6EtNS0_10empty_typeEbEEZZNS1_14partition_implILS5_6ELb0ES3_mN6thrust23THRUST_200600_302600_NS6detail15normal_iteratorINSA_10device_ptrItEEEEPS6_SG_NS0_5tupleIJSF_S6_EEENSH_IJSG_SG_EEES6_PlJNSB_9not_fun_tINSB_10functional5actorINSM_9compositeIJNSM_27transparent_binary_operatorINSA_8equal_toIvEEEENSN_INSM_8argumentILj0EEEEENSM_5valueItEEEEEEEEEEEE10hipError_tPvRmT3_T4_T5_T6_T7_T9_mT8_P12ihipStream_tbDpT10_ENKUlT_T0_E_clISt17integral_constantIbLb0EES1K_EEDaS1F_S1G_EUlS1F_E_NS1_11comp_targetILNS1_3genE9ELNS1_11target_archE1100ELNS1_3gpuE3ELNS1_3repE0EEENS1_30default_config_static_selectorELNS0_4arch9wavefront6targetE0EEEvT1_.uses_vcc, 0
	.set _ZN7rocprim17ROCPRIM_400000_NS6detail17trampoline_kernelINS0_14default_configENS1_25partition_config_selectorILNS1_17partition_subalgoE6EtNS0_10empty_typeEbEEZZNS1_14partition_implILS5_6ELb0ES3_mN6thrust23THRUST_200600_302600_NS6detail15normal_iteratorINSA_10device_ptrItEEEEPS6_SG_NS0_5tupleIJSF_S6_EEENSH_IJSG_SG_EEES6_PlJNSB_9not_fun_tINSB_10functional5actorINSM_9compositeIJNSM_27transparent_binary_operatorINSA_8equal_toIvEEEENSN_INSM_8argumentILj0EEEEENSM_5valueItEEEEEEEEEEEE10hipError_tPvRmT3_T4_T5_T6_T7_T9_mT8_P12ihipStream_tbDpT10_ENKUlT_T0_E_clISt17integral_constantIbLb0EES1K_EEDaS1F_S1G_EUlS1F_E_NS1_11comp_targetILNS1_3genE9ELNS1_11target_archE1100ELNS1_3gpuE3ELNS1_3repE0EEENS1_30default_config_static_selectorELNS0_4arch9wavefront6targetE0EEEvT1_.uses_flat_scratch, 0
	.set _ZN7rocprim17ROCPRIM_400000_NS6detail17trampoline_kernelINS0_14default_configENS1_25partition_config_selectorILNS1_17partition_subalgoE6EtNS0_10empty_typeEbEEZZNS1_14partition_implILS5_6ELb0ES3_mN6thrust23THRUST_200600_302600_NS6detail15normal_iteratorINSA_10device_ptrItEEEEPS6_SG_NS0_5tupleIJSF_S6_EEENSH_IJSG_SG_EEES6_PlJNSB_9not_fun_tINSB_10functional5actorINSM_9compositeIJNSM_27transparent_binary_operatorINSA_8equal_toIvEEEENSN_INSM_8argumentILj0EEEEENSM_5valueItEEEEEEEEEEEE10hipError_tPvRmT3_T4_T5_T6_T7_T9_mT8_P12ihipStream_tbDpT10_ENKUlT_T0_E_clISt17integral_constantIbLb0EES1K_EEDaS1F_S1G_EUlS1F_E_NS1_11comp_targetILNS1_3genE9ELNS1_11target_archE1100ELNS1_3gpuE3ELNS1_3repE0EEENS1_30default_config_static_selectorELNS0_4arch9wavefront6targetE0EEEvT1_.has_dyn_sized_stack, 0
	.set _ZN7rocprim17ROCPRIM_400000_NS6detail17trampoline_kernelINS0_14default_configENS1_25partition_config_selectorILNS1_17partition_subalgoE6EtNS0_10empty_typeEbEEZZNS1_14partition_implILS5_6ELb0ES3_mN6thrust23THRUST_200600_302600_NS6detail15normal_iteratorINSA_10device_ptrItEEEEPS6_SG_NS0_5tupleIJSF_S6_EEENSH_IJSG_SG_EEES6_PlJNSB_9not_fun_tINSB_10functional5actorINSM_9compositeIJNSM_27transparent_binary_operatorINSA_8equal_toIvEEEENSN_INSM_8argumentILj0EEEEENSM_5valueItEEEEEEEEEEEE10hipError_tPvRmT3_T4_T5_T6_T7_T9_mT8_P12ihipStream_tbDpT10_ENKUlT_T0_E_clISt17integral_constantIbLb0EES1K_EEDaS1F_S1G_EUlS1F_E_NS1_11comp_targetILNS1_3genE9ELNS1_11target_archE1100ELNS1_3gpuE3ELNS1_3repE0EEENS1_30default_config_static_selectorELNS0_4arch9wavefront6targetE0EEEvT1_.has_recursion, 0
	.set _ZN7rocprim17ROCPRIM_400000_NS6detail17trampoline_kernelINS0_14default_configENS1_25partition_config_selectorILNS1_17partition_subalgoE6EtNS0_10empty_typeEbEEZZNS1_14partition_implILS5_6ELb0ES3_mN6thrust23THRUST_200600_302600_NS6detail15normal_iteratorINSA_10device_ptrItEEEEPS6_SG_NS0_5tupleIJSF_S6_EEENSH_IJSG_SG_EEES6_PlJNSB_9not_fun_tINSB_10functional5actorINSM_9compositeIJNSM_27transparent_binary_operatorINSA_8equal_toIvEEEENSN_INSM_8argumentILj0EEEEENSM_5valueItEEEEEEEEEEEE10hipError_tPvRmT3_T4_T5_T6_T7_T9_mT8_P12ihipStream_tbDpT10_ENKUlT_T0_E_clISt17integral_constantIbLb0EES1K_EEDaS1F_S1G_EUlS1F_E_NS1_11comp_targetILNS1_3genE9ELNS1_11target_archE1100ELNS1_3gpuE3ELNS1_3repE0EEENS1_30default_config_static_selectorELNS0_4arch9wavefront6targetE0EEEvT1_.has_indirect_call, 0
	.section	.AMDGPU.csdata,"",@progbits
; Kernel info:
; codeLenInByte = 0
; TotalNumSgprs: 0
; NumVgprs: 0
; ScratchSize: 0
; MemoryBound: 0
; FloatMode: 240
; IeeeMode: 1
; LDSByteSize: 0 bytes/workgroup (compile time only)
; SGPRBlocks: 0
; VGPRBlocks: 0
; NumSGPRsForWavesPerEU: 1
; NumVGPRsForWavesPerEU: 1
; Occupancy: 16
; WaveLimiterHint : 0
; COMPUTE_PGM_RSRC2:SCRATCH_EN: 0
; COMPUTE_PGM_RSRC2:USER_SGPR: 2
; COMPUTE_PGM_RSRC2:TRAP_HANDLER: 0
; COMPUTE_PGM_RSRC2:TGID_X_EN: 1
; COMPUTE_PGM_RSRC2:TGID_Y_EN: 0
; COMPUTE_PGM_RSRC2:TGID_Z_EN: 0
; COMPUTE_PGM_RSRC2:TIDIG_COMP_CNT: 0
	.section	.text._ZN7rocprim17ROCPRIM_400000_NS6detail17trampoline_kernelINS0_14default_configENS1_25partition_config_selectorILNS1_17partition_subalgoE6EtNS0_10empty_typeEbEEZZNS1_14partition_implILS5_6ELb0ES3_mN6thrust23THRUST_200600_302600_NS6detail15normal_iteratorINSA_10device_ptrItEEEEPS6_SG_NS0_5tupleIJSF_S6_EEENSH_IJSG_SG_EEES6_PlJNSB_9not_fun_tINSB_10functional5actorINSM_9compositeIJNSM_27transparent_binary_operatorINSA_8equal_toIvEEEENSN_INSM_8argumentILj0EEEEENSM_5valueItEEEEEEEEEEEE10hipError_tPvRmT3_T4_T5_T6_T7_T9_mT8_P12ihipStream_tbDpT10_ENKUlT_T0_E_clISt17integral_constantIbLb0EES1K_EEDaS1F_S1G_EUlS1F_E_NS1_11comp_targetILNS1_3genE8ELNS1_11target_archE1030ELNS1_3gpuE2ELNS1_3repE0EEENS1_30default_config_static_selectorELNS0_4arch9wavefront6targetE0EEEvT1_,"axG",@progbits,_ZN7rocprim17ROCPRIM_400000_NS6detail17trampoline_kernelINS0_14default_configENS1_25partition_config_selectorILNS1_17partition_subalgoE6EtNS0_10empty_typeEbEEZZNS1_14partition_implILS5_6ELb0ES3_mN6thrust23THRUST_200600_302600_NS6detail15normal_iteratorINSA_10device_ptrItEEEEPS6_SG_NS0_5tupleIJSF_S6_EEENSH_IJSG_SG_EEES6_PlJNSB_9not_fun_tINSB_10functional5actorINSM_9compositeIJNSM_27transparent_binary_operatorINSA_8equal_toIvEEEENSN_INSM_8argumentILj0EEEEENSM_5valueItEEEEEEEEEEEE10hipError_tPvRmT3_T4_T5_T6_T7_T9_mT8_P12ihipStream_tbDpT10_ENKUlT_T0_E_clISt17integral_constantIbLb0EES1K_EEDaS1F_S1G_EUlS1F_E_NS1_11comp_targetILNS1_3genE8ELNS1_11target_archE1030ELNS1_3gpuE2ELNS1_3repE0EEENS1_30default_config_static_selectorELNS0_4arch9wavefront6targetE0EEEvT1_,comdat
	.protected	_ZN7rocprim17ROCPRIM_400000_NS6detail17trampoline_kernelINS0_14default_configENS1_25partition_config_selectorILNS1_17partition_subalgoE6EtNS0_10empty_typeEbEEZZNS1_14partition_implILS5_6ELb0ES3_mN6thrust23THRUST_200600_302600_NS6detail15normal_iteratorINSA_10device_ptrItEEEEPS6_SG_NS0_5tupleIJSF_S6_EEENSH_IJSG_SG_EEES6_PlJNSB_9not_fun_tINSB_10functional5actorINSM_9compositeIJNSM_27transparent_binary_operatorINSA_8equal_toIvEEEENSN_INSM_8argumentILj0EEEEENSM_5valueItEEEEEEEEEEEE10hipError_tPvRmT3_T4_T5_T6_T7_T9_mT8_P12ihipStream_tbDpT10_ENKUlT_T0_E_clISt17integral_constantIbLb0EES1K_EEDaS1F_S1G_EUlS1F_E_NS1_11comp_targetILNS1_3genE8ELNS1_11target_archE1030ELNS1_3gpuE2ELNS1_3repE0EEENS1_30default_config_static_selectorELNS0_4arch9wavefront6targetE0EEEvT1_ ; -- Begin function _ZN7rocprim17ROCPRIM_400000_NS6detail17trampoline_kernelINS0_14default_configENS1_25partition_config_selectorILNS1_17partition_subalgoE6EtNS0_10empty_typeEbEEZZNS1_14partition_implILS5_6ELb0ES3_mN6thrust23THRUST_200600_302600_NS6detail15normal_iteratorINSA_10device_ptrItEEEEPS6_SG_NS0_5tupleIJSF_S6_EEENSH_IJSG_SG_EEES6_PlJNSB_9not_fun_tINSB_10functional5actorINSM_9compositeIJNSM_27transparent_binary_operatorINSA_8equal_toIvEEEENSN_INSM_8argumentILj0EEEEENSM_5valueItEEEEEEEEEEEE10hipError_tPvRmT3_T4_T5_T6_T7_T9_mT8_P12ihipStream_tbDpT10_ENKUlT_T0_E_clISt17integral_constantIbLb0EES1K_EEDaS1F_S1G_EUlS1F_E_NS1_11comp_targetILNS1_3genE8ELNS1_11target_archE1030ELNS1_3gpuE2ELNS1_3repE0EEENS1_30default_config_static_selectorELNS0_4arch9wavefront6targetE0EEEvT1_
	.globl	_ZN7rocprim17ROCPRIM_400000_NS6detail17trampoline_kernelINS0_14default_configENS1_25partition_config_selectorILNS1_17partition_subalgoE6EtNS0_10empty_typeEbEEZZNS1_14partition_implILS5_6ELb0ES3_mN6thrust23THRUST_200600_302600_NS6detail15normal_iteratorINSA_10device_ptrItEEEEPS6_SG_NS0_5tupleIJSF_S6_EEENSH_IJSG_SG_EEES6_PlJNSB_9not_fun_tINSB_10functional5actorINSM_9compositeIJNSM_27transparent_binary_operatorINSA_8equal_toIvEEEENSN_INSM_8argumentILj0EEEEENSM_5valueItEEEEEEEEEEEE10hipError_tPvRmT3_T4_T5_T6_T7_T9_mT8_P12ihipStream_tbDpT10_ENKUlT_T0_E_clISt17integral_constantIbLb0EES1K_EEDaS1F_S1G_EUlS1F_E_NS1_11comp_targetILNS1_3genE8ELNS1_11target_archE1030ELNS1_3gpuE2ELNS1_3repE0EEENS1_30default_config_static_selectorELNS0_4arch9wavefront6targetE0EEEvT1_
	.p2align	8
	.type	_ZN7rocprim17ROCPRIM_400000_NS6detail17trampoline_kernelINS0_14default_configENS1_25partition_config_selectorILNS1_17partition_subalgoE6EtNS0_10empty_typeEbEEZZNS1_14partition_implILS5_6ELb0ES3_mN6thrust23THRUST_200600_302600_NS6detail15normal_iteratorINSA_10device_ptrItEEEEPS6_SG_NS0_5tupleIJSF_S6_EEENSH_IJSG_SG_EEES6_PlJNSB_9not_fun_tINSB_10functional5actorINSM_9compositeIJNSM_27transparent_binary_operatorINSA_8equal_toIvEEEENSN_INSM_8argumentILj0EEEEENSM_5valueItEEEEEEEEEEEE10hipError_tPvRmT3_T4_T5_T6_T7_T9_mT8_P12ihipStream_tbDpT10_ENKUlT_T0_E_clISt17integral_constantIbLb0EES1K_EEDaS1F_S1G_EUlS1F_E_NS1_11comp_targetILNS1_3genE8ELNS1_11target_archE1030ELNS1_3gpuE2ELNS1_3repE0EEENS1_30default_config_static_selectorELNS0_4arch9wavefront6targetE0EEEvT1_,@function
_ZN7rocprim17ROCPRIM_400000_NS6detail17trampoline_kernelINS0_14default_configENS1_25partition_config_selectorILNS1_17partition_subalgoE6EtNS0_10empty_typeEbEEZZNS1_14partition_implILS5_6ELb0ES3_mN6thrust23THRUST_200600_302600_NS6detail15normal_iteratorINSA_10device_ptrItEEEEPS6_SG_NS0_5tupleIJSF_S6_EEENSH_IJSG_SG_EEES6_PlJNSB_9not_fun_tINSB_10functional5actorINSM_9compositeIJNSM_27transparent_binary_operatorINSA_8equal_toIvEEEENSN_INSM_8argumentILj0EEEEENSM_5valueItEEEEEEEEEEEE10hipError_tPvRmT3_T4_T5_T6_T7_T9_mT8_P12ihipStream_tbDpT10_ENKUlT_T0_E_clISt17integral_constantIbLb0EES1K_EEDaS1F_S1G_EUlS1F_E_NS1_11comp_targetILNS1_3genE8ELNS1_11target_archE1030ELNS1_3gpuE2ELNS1_3repE0EEENS1_30default_config_static_selectorELNS0_4arch9wavefront6targetE0EEEvT1_: ; @_ZN7rocprim17ROCPRIM_400000_NS6detail17trampoline_kernelINS0_14default_configENS1_25partition_config_selectorILNS1_17partition_subalgoE6EtNS0_10empty_typeEbEEZZNS1_14partition_implILS5_6ELb0ES3_mN6thrust23THRUST_200600_302600_NS6detail15normal_iteratorINSA_10device_ptrItEEEEPS6_SG_NS0_5tupleIJSF_S6_EEENSH_IJSG_SG_EEES6_PlJNSB_9not_fun_tINSB_10functional5actorINSM_9compositeIJNSM_27transparent_binary_operatorINSA_8equal_toIvEEEENSN_INSM_8argumentILj0EEEEENSM_5valueItEEEEEEEEEEEE10hipError_tPvRmT3_T4_T5_T6_T7_T9_mT8_P12ihipStream_tbDpT10_ENKUlT_T0_E_clISt17integral_constantIbLb0EES1K_EEDaS1F_S1G_EUlS1F_E_NS1_11comp_targetILNS1_3genE8ELNS1_11target_archE1030ELNS1_3gpuE2ELNS1_3repE0EEENS1_30default_config_static_selectorELNS0_4arch9wavefront6targetE0EEEvT1_
; %bb.0:
	.section	.rodata,"a",@progbits
	.p2align	6, 0x0
	.amdhsa_kernel _ZN7rocprim17ROCPRIM_400000_NS6detail17trampoline_kernelINS0_14default_configENS1_25partition_config_selectorILNS1_17partition_subalgoE6EtNS0_10empty_typeEbEEZZNS1_14partition_implILS5_6ELb0ES3_mN6thrust23THRUST_200600_302600_NS6detail15normal_iteratorINSA_10device_ptrItEEEEPS6_SG_NS0_5tupleIJSF_S6_EEENSH_IJSG_SG_EEES6_PlJNSB_9not_fun_tINSB_10functional5actorINSM_9compositeIJNSM_27transparent_binary_operatorINSA_8equal_toIvEEEENSN_INSM_8argumentILj0EEEEENSM_5valueItEEEEEEEEEEEE10hipError_tPvRmT3_T4_T5_T6_T7_T9_mT8_P12ihipStream_tbDpT10_ENKUlT_T0_E_clISt17integral_constantIbLb0EES1K_EEDaS1F_S1G_EUlS1F_E_NS1_11comp_targetILNS1_3genE8ELNS1_11target_archE1030ELNS1_3gpuE2ELNS1_3repE0EEENS1_30default_config_static_selectorELNS0_4arch9wavefront6targetE0EEEvT1_
		.amdhsa_group_segment_fixed_size 0
		.amdhsa_private_segment_fixed_size 0
		.amdhsa_kernarg_size 120
		.amdhsa_user_sgpr_count 2
		.amdhsa_user_sgpr_dispatch_ptr 0
		.amdhsa_user_sgpr_queue_ptr 0
		.amdhsa_user_sgpr_kernarg_segment_ptr 1
		.amdhsa_user_sgpr_dispatch_id 0
		.amdhsa_user_sgpr_private_segment_size 0
		.amdhsa_wavefront_size32 1
		.amdhsa_uses_dynamic_stack 0
		.amdhsa_enable_private_segment 0
		.amdhsa_system_sgpr_workgroup_id_x 1
		.amdhsa_system_sgpr_workgroup_id_y 0
		.amdhsa_system_sgpr_workgroup_id_z 0
		.amdhsa_system_sgpr_workgroup_info 0
		.amdhsa_system_vgpr_workitem_id 0
		.amdhsa_next_free_vgpr 1
		.amdhsa_next_free_sgpr 1
		.amdhsa_reserve_vcc 0
		.amdhsa_float_round_mode_32 0
		.amdhsa_float_round_mode_16_64 0
		.amdhsa_float_denorm_mode_32 3
		.amdhsa_float_denorm_mode_16_64 3
		.amdhsa_fp16_overflow 0
		.amdhsa_workgroup_processor_mode 1
		.amdhsa_memory_ordered 1
		.amdhsa_forward_progress 1
		.amdhsa_inst_pref_size 0
		.amdhsa_round_robin_scheduling 0
		.amdhsa_exception_fp_ieee_invalid_op 0
		.amdhsa_exception_fp_denorm_src 0
		.amdhsa_exception_fp_ieee_div_zero 0
		.amdhsa_exception_fp_ieee_overflow 0
		.amdhsa_exception_fp_ieee_underflow 0
		.amdhsa_exception_fp_ieee_inexact 0
		.amdhsa_exception_int_div_zero 0
	.end_amdhsa_kernel
	.section	.text._ZN7rocprim17ROCPRIM_400000_NS6detail17trampoline_kernelINS0_14default_configENS1_25partition_config_selectorILNS1_17partition_subalgoE6EtNS0_10empty_typeEbEEZZNS1_14partition_implILS5_6ELb0ES3_mN6thrust23THRUST_200600_302600_NS6detail15normal_iteratorINSA_10device_ptrItEEEEPS6_SG_NS0_5tupleIJSF_S6_EEENSH_IJSG_SG_EEES6_PlJNSB_9not_fun_tINSB_10functional5actorINSM_9compositeIJNSM_27transparent_binary_operatorINSA_8equal_toIvEEEENSN_INSM_8argumentILj0EEEEENSM_5valueItEEEEEEEEEEEE10hipError_tPvRmT3_T4_T5_T6_T7_T9_mT8_P12ihipStream_tbDpT10_ENKUlT_T0_E_clISt17integral_constantIbLb0EES1K_EEDaS1F_S1G_EUlS1F_E_NS1_11comp_targetILNS1_3genE8ELNS1_11target_archE1030ELNS1_3gpuE2ELNS1_3repE0EEENS1_30default_config_static_selectorELNS0_4arch9wavefront6targetE0EEEvT1_,"axG",@progbits,_ZN7rocprim17ROCPRIM_400000_NS6detail17trampoline_kernelINS0_14default_configENS1_25partition_config_selectorILNS1_17partition_subalgoE6EtNS0_10empty_typeEbEEZZNS1_14partition_implILS5_6ELb0ES3_mN6thrust23THRUST_200600_302600_NS6detail15normal_iteratorINSA_10device_ptrItEEEEPS6_SG_NS0_5tupleIJSF_S6_EEENSH_IJSG_SG_EEES6_PlJNSB_9not_fun_tINSB_10functional5actorINSM_9compositeIJNSM_27transparent_binary_operatorINSA_8equal_toIvEEEENSN_INSM_8argumentILj0EEEEENSM_5valueItEEEEEEEEEEEE10hipError_tPvRmT3_T4_T5_T6_T7_T9_mT8_P12ihipStream_tbDpT10_ENKUlT_T0_E_clISt17integral_constantIbLb0EES1K_EEDaS1F_S1G_EUlS1F_E_NS1_11comp_targetILNS1_3genE8ELNS1_11target_archE1030ELNS1_3gpuE2ELNS1_3repE0EEENS1_30default_config_static_selectorELNS0_4arch9wavefront6targetE0EEEvT1_,comdat
.Lfunc_end153:
	.size	_ZN7rocprim17ROCPRIM_400000_NS6detail17trampoline_kernelINS0_14default_configENS1_25partition_config_selectorILNS1_17partition_subalgoE6EtNS0_10empty_typeEbEEZZNS1_14partition_implILS5_6ELb0ES3_mN6thrust23THRUST_200600_302600_NS6detail15normal_iteratorINSA_10device_ptrItEEEEPS6_SG_NS0_5tupleIJSF_S6_EEENSH_IJSG_SG_EEES6_PlJNSB_9not_fun_tINSB_10functional5actorINSM_9compositeIJNSM_27transparent_binary_operatorINSA_8equal_toIvEEEENSN_INSM_8argumentILj0EEEEENSM_5valueItEEEEEEEEEEEE10hipError_tPvRmT3_T4_T5_T6_T7_T9_mT8_P12ihipStream_tbDpT10_ENKUlT_T0_E_clISt17integral_constantIbLb0EES1K_EEDaS1F_S1G_EUlS1F_E_NS1_11comp_targetILNS1_3genE8ELNS1_11target_archE1030ELNS1_3gpuE2ELNS1_3repE0EEENS1_30default_config_static_selectorELNS0_4arch9wavefront6targetE0EEEvT1_, .Lfunc_end153-_ZN7rocprim17ROCPRIM_400000_NS6detail17trampoline_kernelINS0_14default_configENS1_25partition_config_selectorILNS1_17partition_subalgoE6EtNS0_10empty_typeEbEEZZNS1_14partition_implILS5_6ELb0ES3_mN6thrust23THRUST_200600_302600_NS6detail15normal_iteratorINSA_10device_ptrItEEEEPS6_SG_NS0_5tupleIJSF_S6_EEENSH_IJSG_SG_EEES6_PlJNSB_9not_fun_tINSB_10functional5actorINSM_9compositeIJNSM_27transparent_binary_operatorINSA_8equal_toIvEEEENSN_INSM_8argumentILj0EEEEENSM_5valueItEEEEEEEEEEEE10hipError_tPvRmT3_T4_T5_T6_T7_T9_mT8_P12ihipStream_tbDpT10_ENKUlT_T0_E_clISt17integral_constantIbLb0EES1K_EEDaS1F_S1G_EUlS1F_E_NS1_11comp_targetILNS1_3genE8ELNS1_11target_archE1030ELNS1_3gpuE2ELNS1_3repE0EEENS1_30default_config_static_selectorELNS0_4arch9wavefront6targetE0EEEvT1_
                                        ; -- End function
	.set _ZN7rocprim17ROCPRIM_400000_NS6detail17trampoline_kernelINS0_14default_configENS1_25partition_config_selectorILNS1_17partition_subalgoE6EtNS0_10empty_typeEbEEZZNS1_14partition_implILS5_6ELb0ES3_mN6thrust23THRUST_200600_302600_NS6detail15normal_iteratorINSA_10device_ptrItEEEEPS6_SG_NS0_5tupleIJSF_S6_EEENSH_IJSG_SG_EEES6_PlJNSB_9not_fun_tINSB_10functional5actorINSM_9compositeIJNSM_27transparent_binary_operatorINSA_8equal_toIvEEEENSN_INSM_8argumentILj0EEEEENSM_5valueItEEEEEEEEEEEE10hipError_tPvRmT3_T4_T5_T6_T7_T9_mT8_P12ihipStream_tbDpT10_ENKUlT_T0_E_clISt17integral_constantIbLb0EES1K_EEDaS1F_S1G_EUlS1F_E_NS1_11comp_targetILNS1_3genE8ELNS1_11target_archE1030ELNS1_3gpuE2ELNS1_3repE0EEENS1_30default_config_static_selectorELNS0_4arch9wavefront6targetE0EEEvT1_.num_vgpr, 0
	.set _ZN7rocprim17ROCPRIM_400000_NS6detail17trampoline_kernelINS0_14default_configENS1_25partition_config_selectorILNS1_17partition_subalgoE6EtNS0_10empty_typeEbEEZZNS1_14partition_implILS5_6ELb0ES3_mN6thrust23THRUST_200600_302600_NS6detail15normal_iteratorINSA_10device_ptrItEEEEPS6_SG_NS0_5tupleIJSF_S6_EEENSH_IJSG_SG_EEES6_PlJNSB_9not_fun_tINSB_10functional5actorINSM_9compositeIJNSM_27transparent_binary_operatorINSA_8equal_toIvEEEENSN_INSM_8argumentILj0EEEEENSM_5valueItEEEEEEEEEEEE10hipError_tPvRmT3_T4_T5_T6_T7_T9_mT8_P12ihipStream_tbDpT10_ENKUlT_T0_E_clISt17integral_constantIbLb0EES1K_EEDaS1F_S1G_EUlS1F_E_NS1_11comp_targetILNS1_3genE8ELNS1_11target_archE1030ELNS1_3gpuE2ELNS1_3repE0EEENS1_30default_config_static_selectorELNS0_4arch9wavefront6targetE0EEEvT1_.num_agpr, 0
	.set _ZN7rocprim17ROCPRIM_400000_NS6detail17trampoline_kernelINS0_14default_configENS1_25partition_config_selectorILNS1_17partition_subalgoE6EtNS0_10empty_typeEbEEZZNS1_14partition_implILS5_6ELb0ES3_mN6thrust23THRUST_200600_302600_NS6detail15normal_iteratorINSA_10device_ptrItEEEEPS6_SG_NS0_5tupleIJSF_S6_EEENSH_IJSG_SG_EEES6_PlJNSB_9not_fun_tINSB_10functional5actorINSM_9compositeIJNSM_27transparent_binary_operatorINSA_8equal_toIvEEEENSN_INSM_8argumentILj0EEEEENSM_5valueItEEEEEEEEEEEE10hipError_tPvRmT3_T4_T5_T6_T7_T9_mT8_P12ihipStream_tbDpT10_ENKUlT_T0_E_clISt17integral_constantIbLb0EES1K_EEDaS1F_S1G_EUlS1F_E_NS1_11comp_targetILNS1_3genE8ELNS1_11target_archE1030ELNS1_3gpuE2ELNS1_3repE0EEENS1_30default_config_static_selectorELNS0_4arch9wavefront6targetE0EEEvT1_.numbered_sgpr, 0
	.set _ZN7rocprim17ROCPRIM_400000_NS6detail17trampoline_kernelINS0_14default_configENS1_25partition_config_selectorILNS1_17partition_subalgoE6EtNS0_10empty_typeEbEEZZNS1_14partition_implILS5_6ELb0ES3_mN6thrust23THRUST_200600_302600_NS6detail15normal_iteratorINSA_10device_ptrItEEEEPS6_SG_NS0_5tupleIJSF_S6_EEENSH_IJSG_SG_EEES6_PlJNSB_9not_fun_tINSB_10functional5actorINSM_9compositeIJNSM_27transparent_binary_operatorINSA_8equal_toIvEEEENSN_INSM_8argumentILj0EEEEENSM_5valueItEEEEEEEEEEEE10hipError_tPvRmT3_T4_T5_T6_T7_T9_mT8_P12ihipStream_tbDpT10_ENKUlT_T0_E_clISt17integral_constantIbLb0EES1K_EEDaS1F_S1G_EUlS1F_E_NS1_11comp_targetILNS1_3genE8ELNS1_11target_archE1030ELNS1_3gpuE2ELNS1_3repE0EEENS1_30default_config_static_selectorELNS0_4arch9wavefront6targetE0EEEvT1_.num_named_barrier, 0
	.set _ZN7rocprim17ROCPRIM_400000_NS6detail17trampoline_kernelINS0_14default_configENS1_25partition_config_selectorILNS1_17partition_subalgoE6EtNS0_10empty_typeEbEEZZNS1_14partition_implILS5_6ELb0ES3_mN6thrust23THRUST_200600_302600_NS6detail15normal_iteratorINSA_10device_ptrItEEEEPS6_SG_NS0_5tupleIJSF_S6_EEENSH_IJSG_SG_EEES6_PlJNSB_9not_fun_tINSB_10functional5actorINSM_9compositeIJNSM_27transparent_binary_operatorINSA_8equal_toIvEEEENSN_INSM_8argumentILj0EEEEENSM_5valueItEEEEEEEEEEEE10hipError_tPvRmT3_T4_T5_T6_T7_T9_mT8_P12ihipStream_tbDpT10_ENKUlT_T0_E_clISt17integral_constantIbLb0EES1K_EEDaS1F_S1G_EUlS1F_E_NS1_11comp_targetILNS1_3genE8ELNS1_11target_archE1030ELNS1_3gpuE2ELNS1_3repE0EEENS1_30default_config_static_selectorELNS0_4arch9wavefront6targetE0EEEvT1_.private_seg_size, 0
	.set _ZN7rocprim17ROCPRIM_400000_NS6detail17trampoline_kernelINS0_14default_configENS1_25partition_config_selectorILNS1_17partition_subalgoE6EtNS0_10empty_typeEbEEZZNS1_14partition_implILS5_6ELb0ES3_mN6thrust23THRUST_200600_302600_NS6detail15normal_iteratorINSA_10device_ptrItEEEEPS6_SG_NS0_5tupleIJSF_S6_EEENSH_IJSG_SG_EEES6_PlJNSB_9not_fun_tINSB_10functional5actorINSM_9compositeIJNSM_27transparent_binary_operatorINSA_8equal_toIvEEEENSN_INSM_8argumentILj0EEEEENSM_5valueItEEEEEEEEEEEE10hipError_tPvRmT3_T4_T5_T6_T7_T9_mT8_P12ihipStream_tbDpT10_ENKUlT_T0_E_clISt17integral_constantIbLb0EES1K_EEDaS1F_S1G_EUlS1F_E_NS1_11comp_targetILNS1_3genE8ELNS1_11target_archE1030ELNS1_3gpuE2ELNS1_3repE0EEENS1_30default_config_static_selectorELNS0_4arch9wavefront6targetE0EEEvT1_.uses_vcc, 0
	.set _ZN7rocprim17ROCPRIM_400000_NS6detail17trampoline_kernelINS0_14default_configENS1_25partition_config_selectorILNS1_17partition_subalgoE6EtNS0_10empty_typeEbEEZZNS1_14partition_implILS5_6ELb0ES3_mN6thrust23THRUST_200600_302600_NS6detail15normal_iteratorINSA_10device_ptrItEEEEPS6_SG_NS0_5tupleIJSF_S6_EEENSH_IJSG_SG_EEES6_PlJNSB_9not_fun_tINSB_10functional5actorINSM_9compositeIJNSM_27transparent_binary_operatorINSA_8equal_toIvEEEENSN_INSM_8argumentILj0EEEEENSM_5valueItEEEEEEEEEEEE10hipError_tPvRmT3_T4_T5_T6_T7_T9_mT8_P12ihipStream_tbDpT10_ENKUlT_T0_E_clISt17integral_constantIbLb0EES1K_EEDaS1F_S1G_EUlS1F_E_NS1_11comp_targetILNS1_3genE8ELNS1_11target_archE1030ELNS1_3gpuE2ELNS1_3repE0EEENS1_30default_config_static_selectorELNS0_4arch9wavefront6targetE0EEEvT1_.uses_flat_scratch, 0
	.set _ZN7rocprim17ROCPRIM_400000_NS6detail17trampoline_kernelINS0_14default_configENS1_25partition_config_selectorILNS1_17partition_subalgoE6EtNS0_10empty_typeEbEEZZNS1_14partition_implILS5_6ELb0ES3_mN6thrust23THRUST_200600_302600_NS6detail15normal_iteratorINSA_10device_ptrItEEEEPS6_SG_NS0_5tupleIJSF_S6_EEENSH_IJSG_SG_EEES6_PlJNSB_9not_fun_tINSB_10functional5actorINSM_9compositeIJNSM_27transparent_binary_operatorINSA_8equal_toIvEEEENSN_INSM_8argumentILj0EEEEENSM_5valueItEEEEEEEEEEEE10hipError_tPvRmT3_T4_T5_T6_T7_T9_mT8_P12ihipStream_tbDpT10_ENKUlT_T0_E_clISt17integral_constantIbLb0EES1K_EEDaS1F_S1G_EUlS1F_E_NS1_11comp_targetILNS1_3genE8ELNS1_11target_archE1030ELNS1_3gpuE2ELNS1_3repE0EEENS1_30default_config_static_selectorELNS0_4arch9wavefront6targetE0EEEvT1_.has_dyn_sized_stack, 0
	.set _ZN7rocprim17ROCPRIM_400000_NS6detail17trampoline_kernelINS0_14default_configENS1_25partition_config_selectorILNS1_17partition_subalgoE6EtNS0_10empty_typeEbEEZZNS1_14partition_implILS5_6ELb0ES3_mN6thrust23THRUST_200600_302600_NS6detail15normal_iteratorINSA_10device_ptrItEEEEPS6_SG_NS0_5tupleIJSF_S6_EEENSH_IJSG_SG_EEES6_PlJNSB_9not_fun_tINSB_10functional5actorINSM_9compositeIJNSM_27transparent_binary_operatorINSA_8equal_toIvEEEENSN_INSM_8argumentILj0EEEEENSM_5valueItEEEEEEEEEEEE10hipError_tPvRmT3_T4_T5_T6_T7_T9_mT8_P12ihipStream_tbDpT10_ENKUlT_T0_E_clISt17integral_constantIbLb0EES1K_EEDaS1F_S1G_EUlS1F_E_NS1_11comp_targetILNS1_3genE8ELNS1_11target_archE1030ELNS1_3gpuE2ELNS1_3repE0EEENS1_30default_config_static_selectorELNS0_4arch9wavefront6targetE0EEEvT1_.has_recursion, 0
	.set _ZN7rocprim17ROCPRIM_400000_NS6detail17trampoline_kernelINS0_14default_configENS1_25partition_config_selectorILNS1_17partition_subalgoE6EtNS0_10empty_typeEbEEZZNS1_14partition_implILS5_6ELb0ES3_mN6thrust23THRUST_200600_302600_NS6detail15normal_iteratorINSA_10device_ptrItEEEEPS6_SG_NS0_5tupleIJSF_S6_EEENSH_IJSG_SG_EEES6_PlJNSB_9not_fun_tINSB_10functional5actorINSM_9compositeIJNSM_27transparent_binary_operatorINSA_8equal_toIvEEEENSN_INSM_8argumentILj0EEEEENSM_5valueItEEEEEEEEEEEE10hipError_tPvRmT3_T4_T5_T6_T7_T9_mT8_P12ihipStream_tbDpT10_ENKUlT_T0_E_clISt17integral_constantIbLb0EES1K_EEDaS1F_S1G_EUlS1F_E_NS1_11comp_targetILNS1_3genE8ELNS1_11target_archE1030ELNS1_3gpuE2ELNS1_3repE0EEENS1_30default_config_static_selectorELNS0_4arch9wavefront6targetE0EEEvT1_.has_indirect_call, 0
	.section	.AMDGPU.csdata,"",@progbits
; Kernel info:
; codeLenInByte = 0
; TotalNumSgprs: 0
; NumVgprs: 0
; ScratchSize: 0
; MemoryBound: 0
; FloatMode: 240
; IeeeMode: 1
; LDSByteSize: 0 bytes/workgroup (compile time only)
; SGPRBlocks: 0
; VGPRBlocks: 0
; NumSGPRsForWavesPerEU: 1
; NumVGPRsForWavesPerEU: 1
; Occupancy: 16
; WaveLimiterHint : 0
; COMPUTE_PGM_RSRC2:SCRATCH_EN: 0
; COMPUTE_PGM_RSRC2:USER_SGPR: 2
; COMPUTE_PGM_RSRC2:TRAP_HANDLER: 0
; COMPUTE_PGM_RSRC2:TGID_X_EN: 1
; COMPUTE_PGM_RSRC2:TGID_Y_EN: 0
; COMPUTE_PGM_RSRC2:TGID_Z_EN: 0
; COMPUTE_PGM_RSRC2:TIDIG_COMP_CNT: 0
	.section	.text._ZN7rocprim17ROCPRIM_400000_NS6detail17trampoline_kernelINS0_14default_configENS1_25partition_config_selectorILNS1_17partition_subalgoE6EtNS0_10empty_typeEbEEZZNS1_14partition_implILS5_6ELb0ES3_mN6thrust23THRUST_200600_302600_NS6detail15normal_iteratorINSA_10device_ptrItEEEEPS6_SG_NS0_5tupleIJSF_S6_EEENSH_IJSG_SG_EEES6_PlJNSB_9not_fun_tINSB_10functional5actorINSM_9compositeIJNSM_27transparent_binary_operatorINSA_8equal_toIvEEEENSN_INSM_8argumentILj0EEEEENSM_5valueItEEEEEEEEEEEE10hipError_tPvRmT3_T4_T5_T6_T7_T9_mT8_P12ihipStream_tbDpT10_ENKUlT_T0_E_clISt17integral_constantIbLb1EES1K_EEDaS1F_S1G_EUlS1F_E_NS1_11comp_targetILNS1_3genE0ELNS1_11target_archE4294967295ELNS1_3gpuE0ELNS1_3repE0EEENS1_30default_config_static_selectorELNS0_4arch9wavefront6targetE0EEEvT1_,"axG",@progbits,_ZN7rocprim17ROCPRIM_400000_NS6detail17trampoline_kernelINS0_14default_configENS1_25partition_config_selectorILNS1_17partition_subalgoE6EtNS0_10empty_typeEbEEZZNS1_14partition_implILS5_6ELb0ES3_mN6thrust23THRUST_200600_302600_NS6detail15normal_iteratorINSA_10device_ptrItEEEEPS6_SG_NS0_5tupleIJSF_S6_EEENSH_IJSG_SG_EEES6_PlJNSB_9not_fun_tINSB_10functional5actorINSM_9compositeIJNSM_27transparent_binary_operatorINSA_8equal_toIvEEEENSN_INSM_8argumentILj0EEEEENSM_5valueItEEEEEEEEEEEE10hipError_tPvRmT3_T4_T5_T6_T7_T9_mT8_P12ihipStream_tbDpT10_ENKUlT_T0_E_clISt17integral_constantIbLb1EES1K_EEDaS1F_S1G_EUlS1F_E_NS1_11comp_targetILNS1_3genE0ELNS1_11target_archE4294967295ELNS1_3gpuE0ELNS1_3repE0EEENS1_30default_config_static_selectorELNS0_4arch9wavefront6targetE0EEEvT1_,comdat
	.protected	_ZN7rocprim17ROCPRIM_400000_NS6detail17trampoline_kernelINS0_14default_configENS1_25partition_config_selectorILNS1_17partition_subalgoE6EtNS0_10empty_typeEbEEZZNS1_14partition_implILS5_6ELb0ES3_mN6thrust23THRUST_200600_302600_NS6detail15normal_iteratorINSA_10device_ptrItEEEEPS6_SG_NS0_5tupleIJSF_S6_EEENSH_IJSG_SG_EEES6_PlJNSB_9not_fun_tINSB_10functional5actorINSM_9compositeIJNSM_27transparent_binary_operatorINSA_8equal_toIvEEEENSN_INSM_8argumentILj0EEEEENSM_5valueItEEEEEEEEEEEE10hipError_tPvRmT3_T4_T5_T6_T7_T9_mT8_P12ihipStream_tbDpT10_ENKUlT_T0_E_clISt17integral_constantIbLb1EES1K_EEDaS1F_S1G_EUlS1F_E_NS1_11comp_targetILNS1_3genE0ELNS1_11target_archE4294967295ELNS1_3gpuE0ELNS1_3repE0EEENS1_30default_config_static_selectorELNS0_4arch9wavefront6targetE0EEEvT1_ ; -- Begin function _ZN7rocprim17ROCPRIM_400000_NS6detail17trampoline_kernelINS0_14default_configENS1_25partition_config_selectorILNS1_17partition_subalgoE6EtNS0_10empty_typeEbEEZZNS1_14partition_implILS5_6ELb0ES3_mN6thrust23THRUST_200600_302600_NS6detail15normal_iteratorINSA_10device_ptrItEEEEPS6_SG_NS0_5tupleIJSF_S6_EEENSH_IJSG_SG_EEES6_PlJNSB_9not_fun_tINSB_10functional5actorINSM_9compositeIJNSM_27transparent_binary_operatorINSA_8equal_toIvEEEENSN_INSM_8argumentILj0EEEEENSM_5valueItEEEEEEEEEEEE10hipError_tPvRmT3_T4_T5_T6_T7_T9_mT8_P12ihipStream_tbDpT10_ENKUlT_T0_E_clISt17integral_constantIbLb1EES1K_EEDaS1F_S1G_EUlS1F_E_NS1_11comp_targetILNS1_3genE0ELNS1_11target_archE4294967295ELNS1_3gpuE0ELNS1_3repE0EEENS1_30default_config_static_selectorELNS0_4arch9wavefront6targetE0EEEvT1_
	.globl	_ZN7rocprim17ROCPRIM_400000_NS6detail17trampoline_kernelINS0_14default_configENS1_25partition_config_selectorILNS1_17partition_subalgoE6EtNS0_10empty_typeEbEEZZNS1_14partition_implILS5_6ELb0ES3_mN6thrust23THRUST_200600_302600_NS6detail15normal_iteratorINSA_10device_ptrItEEEEPS6_SG_NS0_5tupleIJSF_S6_EEENSH_IJSG_SG_EEES6_PlJNSB_9not_fun_tINSB_10functional5actorINSM_9compositeIJNSM_27transparent_binary_operatorINSA_8equal_toIvEEEENSN_INSM_8argumentILj0EEEEENSM_5valueItEEEEEEEEEEEE10hipError_tPvRmT3_T4_T5_T6_T7_T9_mT8_P12ihipStream_tbDpT10_ENKUlT_T0_E_clISt17integral_constantIbLb1EES1K_EEDaS1F_S1G_EUlS1F_E_NS1_11comp_targetILNS1_3genE0ELNS1_11target_archE4294967295ELNS1_3gpuE0ELNS1_3repE0EEENS1_30default_config_static_selectorELNS0_4arch9wavefront6targetE0EEEvT1_
	.p2align	8
	.type	_ZN7rocprim17ROCPRIM_400000_NS6detail17trampoline_kernelINS0_14default_configENS1_25partition_config_selectorILNS1_17partition_subalgoE6EtNS0_10empty_typeEbEEZZNS1_14partition_implILS5_6ELb0ES3_mN6thrust23THRUST_200600_302600_NS6detail15normal_iteratorINSA_10device_ptrItEEEEPS6_SG_NS0_5tupleIJSF_S6_EEENSH_IJSG_SG_EEES6_PlJNSB_9not_fun_tINSB_10functional5actorINSM_9compositeIJNSM_27transparent_binary_operatorINSA_8equal_toIvEEEENSN_INSM_8argumentILj0EEEEENSM_5valueItEEEEEEEEEEEE10hipError_tPvRmT3_T4_T5_T6_T7_T9_mT8_P12ihipStream_tbDpT10_ENKUlT_T0_E_clISt17integral_constantIbLb1EES1K_EEDaS1F_S1G_EUlS1F_E_NS1_11comp_targetILNS1_3genE0ELNS1_11target_archE4294967295ELNS1_3gpuE0ELNS1_3repE0EEENS1_30default_config_static_selectorELNS0_4arch9wavefront6targetE0EEEvT1_,@function
_ZN7rocprim17ROCPRIM_400000_NS6detail17trampoline_kernelINS0_14default_configENS1_25partition_config_selectorILNS1_17partition_subalgoE6EtNS0_10empty_typeEbEEZZNS1_14partition_implILS5_6ELb0ES3_mN6thrust23THRUST_200600_302600_NS6detail15normal_iteratorINSA_10device_ptrItEEEEPS6_SG_NS0_5tupleIJSF_S6_EEENSH_IJSG_SG_EEES6_PlJNSB_9not_fun_tINSB_10functional5actorINSM_9compositeIJNSM_27transparent_binary_operatorINSA_8equal_toIvEEEENSN_INSM_8argumentILj0EEEEENSM_5valueItEEEEEEEEEEEE10hipError_tPvRmT3_T4_T5_T6_T7_T9_mT8_P12ihipStream_tbDpT10_ENKUlT_T0_E_clISt17integral_constantIbLb1EES1K_EEDaS1F_S1G_EUlS1F_E_NS1_11comp_targetILNS1_3genE0ELNS1_11target_archE4294967295ELNS1_3gpuE0ELNS1_3repE0EEENS1_30default_config_static_selectorELNS0_4arch9wavefront6targetE0EEEvT1_: ; @_ZN7rocprim17ROCPRIM_400000_NS6detail17trampoline_kernelINS0_14default_configENS1_25partition_config_selectorILNS1_17partition_subalgoE6EtNS0_10empty_typeEbEEZZNS1_14partition_implILS5_6ELb0ES3_mN6thrust23THRUST_200600_302600_NS6detail15normal_iteratorINSA_10device_ptrItEEEEPS6_SG_NS0_5tupleIJSF_S6_EEENSH_IJSG_SG_EEES6_PlJNSB_9not_fun_tINSB_10functional5actorINSM_9compositeIJNSM_27transparent_binary_operatorINSA_8equal_toIvEEEENSN_INSM_8argumentILj0EEEEENSM_5valueItEEEEEEEEEEEE10hipError_tPvRmT3_T4_T5_T6_T7_T9_mT8_P12ihipStream_tbDpT10_ENKUlT_T0_E_clISt17integral_constantIbLb1EES1K_EEDaS1F_S1G_EUlS1F_E_NS1_11comp_targetILNS1_3genE0ELNS1_11target_archE4294967295ELNS1_3gpuE0ELNS1_3repE0EEENS1_30default_config_static_selectorELNS0_4arch9wavefront6targetE0EEEvT1_
; %bb.0:
	.section	.rodata,"a",@progbits
	.p2align	6, 0x0
	.amdhsa_kernel _ZN7rocprim17ROCPRIM_400000_NS6detail17trampoline_kernelINS0_14default_configENS1_25partition_config_selectorILNS1_17partition_subalgoE6EtNS0_10empty_typeEbEEZZNS1_14partition_implILS5_6ELb0ES3_mN6thrust23THRUST_200600_302600_NS6detail15normal_iteratorINSA_10device_ptrItEEEEPS6_SG_NS0_5tupleIJSF_S6_EEENSH_IJSG_SG_EEES6_PlJNSB_9not_fun_tINSB_10functional5actorINSM_9compositeIJNSM_27transparent_binary_operatorINSA_8equal_toIvEEEENSN_INSM_8argumentILj0EEEEENSM_5valueItEEEEEEEEEEEE10hipError_tPvRmT3_T4_T5_T6_T7_T9_mT8_P12ihipStream_tbDpT10_ENKUlT_T0_E_clISt17integral_constantIbLb1EES1K_EEDaS1F_S1G_EUlS1F_E_NS1_11comp_targetILNS1_3genE0ELNS1_11target_archE4294967295ELNS1_3gpuE0ELNS1_3repE0EEENS1_30default_config_static_selectorELNS0_4arch9wavefront6targetE0EEEvT1_
		.amdhsa_group_segment_fixed_size 0
		.amdhsa_private_segment_fixed_size 0
		.amdhsa_kernarg_size 128
		.amdhsa_user_sgpr_count 2
		.amdhsa_user_sgpr_dispatch_ptr 0
		.amdhsa_user_sgpr_queue_ptr 0
		.amdhsa_user_sgpr_kernarg_segment_ptr 1
		.amdhsa_user_sgpr_dispatch_id 0
		.amdhsa_user_sgpr_private_segment_size 0
		.amdhsa_wavefront_size32 1
		.amdhsa_uses_dynamic_stack 0
		.amdhsa_enable_private_segment 0
		.amdhsa_system_sgpr_workgroup_id_x 1
		.amdhsa_system_sgpr_workgroup_id_y 0
		.amdhsa_system_sgpr_workgroup_id_z 0
		.amdhsa_system_sgpr_workgroup_info 0
		.amdhsa_system_vgpr_workitem_id 0
		.amdhsa_next_free_vgpr 1
		.amdhsa_next_free_sgpr 1
		.amdhsa_reserve_vcc 0
		.amdhsa_float_round_mode_32 0
		.amdhsa_float_round_mode_16_64 0
		.amdhsa_float_denorm_mode_32 3
		.amdhsa_float_denorm_mode_16_64 3
		.amdhsa_fp16_overflow 0
		.amdhsa_workgroup_processor_mode 1
		.amdhsa_memory_ordered 1
		.amdhsa_forward_progress 1
		.amdhsa_inst_pref_size 0
		.amdhsa_round_robin_scheduling 0
		.amdhsa_exception_fp_ieee_invalid_op 0
		.amdhsa_exception_fp_denorm_src 0
		.amdhsa_exception_fp_ieee_div_zero 0
		.amdhsa_exception_fp_ieee_overflow 0
		.amdhsa_exception_fp_ieee_underflow 0
		.amdhsa_exception_fp_ieee_inexact 0
		.amdhsa_exception_int_div_zero 0
	.end_amdhsa_kernel
	.section	.text._ZN7rocprim17ROCPRIM_400000_NS6detail17trampoline_kernelINS0_14default_configENS1_25partition_config_selectorILNS1_17partition_subalgoE6EtNS0_10empty_typeEbEEZZNS1_14partition_implILS5_6ELb0ES3_mN6thrust23THRUST_200600_302600_NS6detail15normal_iteratorINSA_10device_ptrItEEEEPS6_SG_NS0_5tupleIJSF_S6_EEENSH_IJSG_SG_EEES6_PlJNSB_9not_fun_tINSB_10functional5actorINSM_9compositeIJNSM_27transparent_binary_operatorINSA_8equal_toIvEEEENSN_INSM_8argumentILj0EEEEENSM_5valueItEEEEEEEEEEEE10hipError_tPvRmT3_T4_T5_T6_T7_T9_mT8_P12ihipStream_tbDpT10_ENKUlT_T0_E_clISt17integral_constantIbLb1EES1K_EEDaS1F_S1G_EUlS1F_E_NS1_11comp_targetILNS1_3genE0ELNS1_11target_archE4294967295ELNS1_3gpuE0ELNS1_3repE0EEENS1_30default_config_static_selectorELNS0_4arch9wavefront6targetE0EEEvT1_,"axG",@progbits,_ZN7rocprim17ROCPRIM_400000_NS6detail17trampoline_kernelINS0_14default_configENS1_25partition_config_selectorILNS1_17partition_subalgoE6EtNS0_10empty_typeEbEEZZNS1_14partition_implILS5_6ELb0ES3_mN6thrust23THRUST_200600_302600_NS6detail15normal_iteratorINSA_10device_ptrItEEEEPS6_SG_NS0_5tupleIJSF_S6_EEENSH_IJSG_SG_EEES6_PlJNSB_9not_fun_tINSB_10functional5actorINSM_9compositeIJNSM_27transparent_binary_operatorINSA_8equal_toIvEEEENSN_INSM_8argumentILj0EEEEENSM_5valueItEEEEEEEEEEEE10hipError_tPvRmT3_T4_T5_T6_T7_T9_mT8_P12ihipStream_tbDpT10_ENKUlT_T0_E_clISt17integral_constantIbLb1EES1K_EEDaS1F_S1G_EUlS1F_E_NS1_11comp_targetILNS1_3genE0ELNS1_11target_archE4294967295ELNS1_3gpuE0ELNS1_3repE0EEENS1_30default_config_static_selectorELNS0_4arch9wavefront6targetE0EEEvT1_,comdat
.Lfunc_end154:
	.size	_ZN7rocprim17ROCPRIM_400000_NS6detail17trampoline_kernelINS0_14default_configENS1_25partition_config_selectorILNS1_17partition_subalgoE6EtNS0_10empty_typeEbEEZZNS1_14partition_implILS5_6ELb0ES3_mN6thrust23THRUST_200600_302600_NS6detail15normal_iteratorINSA_10device_ptrItEEEEPS6_SG_NS0_5tupleIJSF_S6_EEENSH_IJSG_SG_EEES6_PlJNSB_9not_fun_tINSB_10functional5actorINSM_9compositeIJNSM_27transparent_binary_operatorINSA_8equal_toIvEEEENSN_INSM_8argumentILj0EEEEENSM_5valueItEEEEEEEEEEEE10hipError_tPvRmT3_T4_T5_T6_T7_T9_mT8_P12ihipStream_tbDpT10_ENKUlT_T0_E_clISt17integral_constantIbLb1EES1K_EEDaS1F_S1G_EUlS1F_E_NS1_11comp_targetILNS1_3genE0ELNS1_11target_archE4294967295ELNS1_3gpuE0ELNS1_3repE0EEENS1_30default_config_static_selectorELNS0_4arch9wavefront6targetE0EEEvT1_, .Lfunc_end154-_ZN7rocprim17ROCPRIM_400000_NS6detail17trampoline_kernelINS0_14default_configENS1_25partition_config_selectorILNS1_17partition_subalgoE6EtNS0_10empty_typeEbEEZZNS1_14partition_implILS5_6ELb0ES3_mN6thrust23THRUST_200600_302600_NS6detail15normal_iteratorINSA_10device_ptrItEEEEPS6_SG_NS0_5tupleIJSF_S6_EEENSH_IJSG_SG_EEES6_PlJNSB_9not_fun_tINSB_10functional5actorINSM_9compositeIJNSM_27transparent_binary_operatorINSA_8equal_toIvEEEENSN_INSM_8argumentILj0EEEEENSM_5valueItEEEEEEEEEEEE10hipError_tPvRmT3_T4_T5_T6_T7_T9_mT8_P12ihipStream_tbDpT10_ENKUlT_T0_E_clISt17integral_constantIbLb1EES1K_EEDaS1F_S1G_EUlS1F_E_NS1_11comp_targetILNS1_3genE0ELNS1_11target_archE4294967295ELNS1_3gpuE0ELNS1_3repE0EEENS1_30default_config_static_selectorELNS0_4arch9wavefront6targetE0EEEvT1_
                                        ; -- End function
	.set _ZN7rocprim17ROCPRIM_400000_NS6detail17trampoline_kernelINS0_14default_configENS1_25partition_config_selectorILNS1_17partition_subalgoE6EtNS0_10empty_typeEbEEZZNS1_14partition_implILS5_6ELb0ES3_mN6thrust23THRUST_200600_302600_NS6detail15normal_iteratorINSA_10device_ptrItEEEEPS6_SG_NS0_5tupleIJSF_S6_EEENSH_IJSG_SG_EEES6_PlJNSB_9not_fun_tINSB_10functional5actorINSM_9compositeIJNSM_27transparent_binary_operatorINSA_8equal_toIvEEEENSN_INSM_8argumentILj0EEEEENSM_5valueItEEEEEEEEEEEE10hipError_tPvRmT3_T4_T5_T6_T7_T9_mT8_P12ihipStream_tbDpT10_ENKUlT_T0_E_clISt17integral_constantIbLb1EES1K_EEDaS1F_S1G_EUlS1F_E_NS1_11comp_targetILNS1_3genE0ELNS1_11target_archE4294967295ELNS1_3gpuE0ELNS1_3repE0EEENS1_30default_config_static_selectorELNS0_4arch9wavefront6targetE0EEEvT1_.num_vgpr, 0
	.set _ZN7rocprim17ROCPRIM_400000_NS6detail17trampoline_kernelINS0_14default_configENS1_25partition_config_selectorILNS1_17partition_subalgoE6EtNS0_10empty_typeEbEEZZNS1_14partition_implILS5_6ELb0ES3_mN6thrust23THRUST_200600_302600_NS6detail15normal_iteratorINSA_10device_ptrItEEEEPS6_SG_NS0_5tupleIJSF_S6_EEENSH_IJSG_SG_EEES6_PlJNSB_9not_fun_tINSB_10functional5actorINSM_9compositeIJNSM_27transparent_binary_operatorINSA_8equal_toIvEEEENSN_INSM_8argumentILj0EEEEENSM_5valueItEEEEEEEEEEEE10hipError_tPvRmT3_T4_T5_T6_T7_T9_mT8_P12ihipStream_tbDpT10_ENKUlT_T0_E_clISt17integral_constantIbLb1EES1K_EEDaS1F_S1G_EUlS1F_E_NS1_11comp_targetILNS1_3genE0ELNS1_11target_archE4294967295ELNS1_3gpuE0ELNS1_3repE0EEENS1_30default_config_static_selectorELNS0_4arch9wavefront6targetE0EEEvT1_.num_agpr, 0
	.set _ZN7rocprim17ROCPRIM_400000_NS6detail17trampoline_kernelINS0_14default_configENS1_25partition_config_selectorILNS1_17partition_subalgoE6EtNS0_10empty_typeEbEEZZNS1_14partition_implILS5_6ELb0ES3_mN6thrust23THRUST_200600_302600_NS6detail15normal_iteratorINSA_10device_ptrItEEEEPS6_SG_NS0_5tupleIJSF_S6_EEENSH_IJSG_SG_EEES6_PlJNSB_9not_fun_tINSB_10functional5actorINSM_9compositeIJNSM_27transparent_binary_operatorINSA_8equal_toIvEEEENSN_INSM_8argumentILj0EEEEENSM_5valueItEEEEEEEEEEEE10hipError_tPvRmT3_T4_T5_T6_T7_T9_mT8_P12ihipStream_tbDpT10_ENKUlT_T0_E_clISt17integral_constantIbLb1EES1K_EEDaS1F_S1G_EUlS1F_E_NS1_11comp_targetILNS1_3genE0ELNS1_11target_archE4294967295ELNS1_3gpuE0ELNS1_3repE0EEENS1_30default_config_static_selectorELNS0_4arch9wavefront6targetE0EEEvT1_.numbered_sgpr, 0
	.set _ZN7rocprim17ROCPRIM_400000_NS6detail17trampoline_kernelINS0_14default_configENS1_25partition_config_selectorILNS1_17partition_subalgoE6EtNS0_10empty_typeEbEEZZNS1_14partition_implILS5_6ELb0ES3_mN6thrust23THRUST_200600_302600_NS6detail15normal_iteratorINSA_10device_ptrItEEEEPS6_SG_NS0_5tupleIJSF_S6_EEENSH_IJSG_SG_EEES6_PlJNSB_9not_fun_tINSB_10functional5actorINSM_9compositeIJNSM_27transparent_binary_operatorINSA_8equal_toIvEEEENSN_INSM_8argumentILj0EEEEENSM_5valueItEEEEEEEEEEEE10hipError_tPvRmT3_T4_T5_T6_T7_T9_mT8_P12ihipStream_tbDpT10_ENKUlT_T0_E_clISt17integral_constantIbLb1EES1K_EEDaS1F_S1G_EUlS1F_E_NS1_11comp_targetILNS1_3genE0ELNS1_11target_archE4294967295ELNS1_3gpuE0ELNS1_3repE0EEENS1_30default_config_static_selectorELNS0_4arch9wavefront6targetE0EEEvT1_.num_named_barrier, 0
	.set _ZN7rocprim17ROCPRIM_400000_NS6detail17trampoline_kernelINS0_14default_configENS1_25partition_config_selectorILNS1_17partition_subalgoE6EtNS0_10empty_typeEbEEZZNS1_14partition_implILS5_6ELb0ES3_mN6thrust23THRUST_200600_302600_NS6detail15normal_iteratorINSA_10device_ptrItEEEEPS6_SG_NS0_5tupleIJSF_S6_EEENSH_IJSG_SG_EEES6_PlJNSB_9not_fun_tINSB_10functional5actorINSM_9compositeIJNSM_27transparent_binary_operatorINSA_8equal_toIvEEEENSN_INSM_8argumentILj0EEEEENSM_5valueItEEEEEEEEEEEE10hipError_tPvRmT3_T4_T5_T6_T7_T9_mT8_P12ihipStream_tbDpT10_ENKUlT_T0_E_clISt17integral_constantIbLb1EES1K_EEDaS1F_S1G_EUlS1F_E_NS1_11comp_targetILNS1_3genE0ELNS1_11target_archE4294967295ELNS1_3gpuE0ELNS1_3repE0EEENS1_30default_config_static_selectorELNS0_4arch9wavefront6targetE0EEEvT1_.private_seg_size, 0
	.set _ZN7rocprim17ROCPRIM_400000_NS6detail17trampoline_kernelINS0_14default_configENS1_25partition_config_selectorILNS1_17partition_subalgoE6EtNS0_10empty_typeEbEEZZNS1_14partition_implILS5_6ELb0ES3_mN6thrust23THRUST_200600_302600_NS6detail15normal_iteratorINSA_10device_ptrItEEEEPS6_SG_NS0_5tupleIJSF_S6_EEENSH_IJSG_SG_EEES6_PlJNSB_9not_fun_tINSB_10functional5actorINSM_9compositeIJNSM_27transparent_binary_operatorINSA_8equal_toIvEEEENSN_INSM_8argumentILj0EEEEENSM_5valueItEEEEEEEEEEEE10hipError_tPvRmT3_T4_T5_T6_T7_T9_mT8_P12ihipStream_tbDpT10_ENKUlT_T0_E_clISt17integral_constantIbLb1EES1K_EEDaS1F_S1G_EUlS1F_E_NS1_11comp_targetILNS1_3genE0ELNS1_11target_archE4294967295ELNS1_3gpuE0ELNS1_3repE0EEENS1_30default_config_static_selectorELNS0_4arch9wavefront6targetE0EEEvT1_.uses_vcc, 0
	.set _ZN7rocprim17ROCPRIM_400000_NS6detail17trampoline_kernelINS0_14default_configENS1_25partition_config_selectorILNS1_17partition_subalgoE6EtNS0_10empty_typeEbEEZZNS1_14partition_implILS5_6ELb0ES3_mN6thrust23THRUST_200600_302600_NS6detail15normal_iteratorINSA_10device_ptrItEEEEPS6_SG_NS0_5tupleIJSF_S6_EEENSH_IJSG_SG_EEES6_PlJNSB_9not_fun_tINSB_10functional5actorINSM_9compositeIJNSM_27transparent_binary_operatorINSA_8equal_toIvEEEENSN_INSM_8argumentILj0EEEEENSM_5valueItEEEEEEEEEEEE10hipError_tPvRmT3_T4_T5_T6_T7_T9_mT8_P12ihipStream_tbDpT10_ENKUlT_T0_E_clISt17integral_constantIbLb1EES1K_EEDaS1F_S1G_EUlS1F_E_NS1_11comp_targetILNS1_3genE0ELNS1_11target_archE4294967295ELNS1_3gpuE0ELNS1_3repE0EEENS1_30default_config_static_selectorELNS0_4arch9wavefront6targetE0EEEvT1_.uses_flat_scratch, 0
	.set _ZN7rocprim17ROCPRIM_400000_NS6detail17trampoline_kernelINS0_14default_configENS1_25partition_config_selectorILNS1_17partition_subalgoE6EtNS0_10empty_typeEbEEZZNS1_14partition_implILS5_6ELb0ES3_mN6thrust23THRUST_200600_302600_NS6detail15normal_iteratorINSA_10device_ptrItEEEEPS6_SG_NS0_5tupleIJSF_S6_EEENSH_IJSG_SG_EEES6_PlJNSB_9not_fun_tINSB_10functional5actorINSM_9compositeIJNSM_27transparent_binary_operatorINSA_8equal_toIvEEEENSN_INSM_8argumentILj0EEEEENSM_5valueItEEEEEEEEEEEE10hipError_tPvRmT3_T4_T5_T6_T7_T9_mT8_P12ihipStream_tbDpT10_ENKUlT_T0_E_clISt17integral_constantIbLb1EES1K_EEDaS1F_S1G_EUlS1F_E_NS1_11comp_targetILNS1_3genE0ELNS1_11target_archE4294967295ELNS1_3gpuE0ELNS1_3repE0EEENS1_30default_config_static_selectorELNS0_4arch9wavefront6targetE0EEEvT1_.has_dyn_sized_stack, 0
	.set _ZN7rocprim17ROCPRIM_400000_NS6detail17trampoline_kernelINS0_14default_configENS1_25partition_config_selectorILNS1_17partition_subalgoE6EtNS0_10empty_typeEbEEZZNS1_14partition_implILS5_6ELb0ES3_mN6thrust23THRUST_200600_302600_NS6detail15normal_iteratorINSA_10device_ptrItEEEEPS6_SG_NS0_5tupleIJSF_S6_EEENSH_IJSG_SG_EEES6_PlJNSB_9not_fun_tINSB_10functional5actorINSM_9compositeIJNSM_27transparent_binary_operatorINSA_8equal_toIvEEEENSN_INSM_8argumentILj0EEEEENSM_5valueItEEEEEEEEEEEE10hipError_tPvRmT3_T4_T5_T6_T7_T9_mT8_P12ihipStream_tbDpT10_ENKUlT_T0_E_clISt17integral_constantIbLb1EES1K_EEDaS1F_S1G_EUlS1F_E_NS1_11comp_targetILNS1_3genE0ELNS1_11target_archE4294967295ELNS1_3gpuE0ELNS1_3repE0EEENS1_30default_config_static_selectorELNS0_4arch9wavefront6targetE0EEEvT1_.has_recursion, 0
	.set _ZN7rocprim17ROCPRIM_400000_NS6detail17trampoline_kernelINS0_14default_configENS1_25partition_config_selectorILNS1_17partition_subalgoE6EtNS0_10empty_typeEbEEZZNS1_14partition_implILS5_6ELb0ES3_mN6thrust23THRUST_200600_302600_NS6detail15normal_iteratorINSA_10device_ptrItEEEEPS6_SG_NS0_5tupleIJSF_S6_EEENSH_IJSG_SG_EEES6_PlJNSB_9not_fun_tINSB_10functional5actorINSM_9compositeIJNSM_27transparent_binary_operatorINSA_8equal_toIvEEEENSN_INSM_8argumentILj0EEEEENSM_5valueItEEEEEEEEEEEE10hipError_tPvRmT3_T4_T5_T6_T7_T9_mT8_P12ihipStream_tbDpT10_ENKUlT_T0_E_clISt17integral_constantIbLb1EES1K_EEDaS1F_S1G_EUlS1F_E_NS1_11comp_targetILNS1_3genE0ELNS1_11target_archE4294967295ELNS1_3gpuE0ELNS1_3repE0EEENS1_30default_config_static_selectorELNS0_4arch9wavefront6targetE0EEEvT1_.has_indirect_call, 0
	.section	.AMDGPU.csdata,"",@progbits
; Kernel info:
; codeLenInByte = 0
; TotalNumSgprs: 0
; NumVgprs: 0
; ScratchSize: 0
; MemoryBound: 0
; FloatMode: 240
; IeeeMode: 1
; LDSByteSize: 0 bytes/workgroup (compile time only)
; SGPRBlocks: 0
; VGPRBlocks: 0
; NumSGPRsForWavesPerEU: 1
; NumVGPRsForWavesPerEU: 1
; Occupancy: 16
; WaveLimiterHint : 0
; COMPUTE_PGM_RSRC2:SCRATCH_EN: 0
; COMPUTE_PGM_RSRC2:USER_SGPR: 2
; COMPUTE_PGM_RSRC2:TRAP_HANDLER: 0
; COMPUTE_PGM_RSRC2:TGID_X_EN: 1
; COMPUTE_PGM_RSRC2:TGID_Y_EN: 0
; COMPUTE_PGM_RSRC2:TGID_Z_EN: 0
; COMPUTE_PGM_RSRC2:TIDIG_COMP_CNT: 0
	.section	.text._ZN7rocprim17ROCPRIM_400000_NS6detail17trampoline_kernelINS0_14default_configENS1_25partition_config_selectorILNS1_17partition_subalgoE6EtNS0_10empty_typeEbEEZZNS1_14partition_implILS5_6ELb0ES3_mN6thrust23THRUST_200600_302600_NS6detail15normal_iteratorINSA_10device_ptrItEEEEPS6_SG_NS0_5tupleIJSF_S6_EEENSH_IJSG_SG_EEES6_PlJNSB_9not_fun_tINSB_10functional5actorINSM_9compositeIJNSM_27transparent_binary_operatorINSA_8equal_toIvEEEENSN_INSM_8argumentILj0EEEEENSM_5valueItEEEEEEEEEEEE10hipError_tPvRmT3_T4_T5_T6_T7_T9_mT8_P12ihipStream_tbDpT10_ENKUlT_T0_E_clISt17integral_constantIbLb1EES1K_EEDaS1F_S1G_EUlS1F_E_NS1_11comp_targetILNS1_3genE5ELNS1_11target_archE942ELNS1_3gpuE9ELNS1_3repE0EEENS1_30default_config_static_selectorELNS0_4arch9wavefront6targetE0EEEvT1_,"axG",@progbits,_ZN7rocprim17ROCPRIM_400000_NS6detail17trampoline_kernelINS0_14default_configENS1_25partition_config_selectorILNS1_17partition_subalgoE6EtNS0_10empty_typeEbEEZZNS1_14partition_implILS5_6ELb0ES3_mN6thrust23THRUST_200600_302600_NS6detail15normal_iteratorINSA_10device_ptrItEEEEPS6_SG_NS0_5tupleIJSF_S6_EEENSH_IJSG_SG_EEES6_PlJNSB_9not_fun_tINSB_10functional5actorINSM_9compositeIJNSM_27transparent_binary_operatorINSA_8equal_toIvEEEENSN_INSM_8argumentILj0EEEEENSM_5valueItEEEEEEEEEEEE10hipError_tPvRmT3_T4_T5_T6_T7_T9_mT8_P12ihipStream_tbDpT10_ENKUlT_T0_E_clISt17integral_constantIbLb1EES1K_EEDaS1F_S1G_EUlS1F_E_NS1_11comp_targetILNS1_3genE5ELNS1_11target_archE942ELNS1_3gpuE9ELNS1_3repE0EEENS1_30default_config_static_selectorELNS0_4arch9wavefront6targetE0EEEvT1_,comdat
	.protected	_ZN7rocprim17ROCPRIM_400000_NS6detail17trampoline_kernelINS0_14default_configENS1_25partition_config_selectorILNS1_17partition_subalgoE6EtNS0_10empty_typeEbEEZZNS1_14partition_implILS5_6ELb0ES3_mN6thrust23THRUST_200600_302600_NS6detail15normal_iteratorINSA_10device_ptrItEEEEPS6_SG_NS0_5tupleIJSF_S6_EEENSH_IJSG_SG_EEES6_PlJNSB_9not_fun_tINSB_10functional5actorINSM_9compositeIJNSM_27transparent_binary_operatorINSA_8equal_toIvEEEENSN_INSM_8argumentILj0EEEEENSM_5valueItEEEEEEEEEEEE10hipError_tPvRmT3_T4_T5_T6_T7_T9_mT8_P12ihipStream_tbDpT10_ENKUlT_T0_E_clISt17integral_constantIbLb1EES1K_EEDaS1F_S1G_EUlS1F_E_NS1_11comp_targetILNS1_3genE5ELNS1_11target_archE942ELNS1_3gpuE9ELNS1_3repE0EEENS1_30default_config_static_selectorELNS0_4arch9wavefront6targetE0EEEvT1_ ; -- Begin function _ZN7rocprim17ROCPRIM_400000_NS6detail17trampoline_kernelINS0_14default_configENS1_25partition_config_selectorILNS1_17partition_subalgoE6EtNS0_10empty_typeEbEEZZNS1_14partition_implILS5_6ELb0ES3_mN6thrust23THRUST_200600_302600_NS6detail15normal_iteratorINSA_10device_ptrItEEEEPS6_SG_NS0_5tupleIJSF_S6_EEENSH_IJSG_SG_EEES6_PlJNSB_9not_fun_tINSB_10functional5actorINSM_9compositeIJNSM_27transparent_binary_operatorINSA_8equal_toIvEEEENSN_INSM_8argumentILj0EEEEENSM_5valueItEEEEEEEEEEEE10hipError_tPvRmT3_T4_T5_T6_T7_T9_mT8_P12ihipStream_tbDpT10_ENKUlT_T0_E_clISt17integral_constantIbLb1EES1K_EEDaS1F_S1G_EUlS1F_E_NS1_11comp_targetILNS1_3genE5ELNS1_11target_archE942ELNS1_3gpuE9ELNS1_3repE0EEENS1_30default_config_static_selectorELNS0_4arch9wavefront6targetE0EEEvT1_
	.globl	_ZN7rocprim17ROCPRIM_400000_NS6detail17trampoline_kernelINS0_14default_configENS1_25partition_config_selectorILNS1_17partition_subalgoE6EtNS0_10empty_typeEbEEZZNS1_14partition_implILS5_6ELb0ES3_mN6thrust23THRUST_200600_302600_NS6detail15normal_iteratorINSA_10device_ptrItEEEEPS6_SG_NS0_5tupleIJSF_S6_EEENSH_IJSG_SG_EEES6_PlJNSB_9not_fun_tINSB_10functional5actorINSM_9compositeIJNSM_27transparent_binary_operatorINSA_8equal_toIvEEEENSN_INSM_8argumentILj0EEEEENSM_5valueItEEEEEEEEEEEE10hipError_tPvRmT3_T4_T5_T6_T7_T9_mT8_P12ihipStream_tbDpT10_ENKUlT_T0_E_clISt17integral_constantIbLb1EES1K_EEDaS1F_S1G_EUlS1F_E_NS1_11comp_targetILNS1_3genE5ELNS1_11target_archE942ELNS1_3gpuE9ELNS1_3repE0EEENS1_30default_config_static_selectorELNS0_4arch9wavefront6targetE0EEEvT1_
	.p2align	8
	.type	_ZN7rocprim17ROCPRIM_400000_NS6detail17trampoline_kernelINS0_14default_configENS1_25partition_config_selectorILNS1_17partition_subalgoE6EtNS0_10empty_typeEbEEZZNS1_14partition_implILS5_6ELb0ES3_mN6thrust23THRUST_200600_302600_NS6detail15normal_iteratorINSA_10device_ptrItEEEEPS6_SG_NS0_5tupleIJSF_S6_EEENSH_IJSG_SG_EEES6_PlJNSB_9not_fun_tINSB_10functional5actorINSM_9compositeIJNSM_27transparent_binary_operatorINSA_8equal_toIvEEEENSN_INSM_8argumentILj0EEEEENSM_5valueItEEEEEEEEEEEE10hipError_tPvRmT3_T4_T5_T6_T7_T9_mT8_P12ihipStream_tbDpT10_ENKUlT_T0_E_clISt17integral_constantIbLb1EES1K_EEDaS1F_S1G_EUlS1F_E_NS1_11comp_targetILNS1_3genE5ELNS1_11target_archE942ELNS1_3gpuE9ELNS1_3repE0EEENS1_30default_config_static_selectorELNS0_4arch9wavefront6targetE0EEEvT1_,@function
_ZN7rocprim17ROCPRIM_400000_NS6detail17trampoline_kernelINS0_14default_configENS1_25partition_config_selectorILNS1_17partition_subalgoE6EtNS0_10empty_typeEbEEZZNS1_14partition_implILS5_6ELb0ES3_mN6thrust23THRUST_200600_302600_NS6detail15normal_iteratorINSA_10device_ptrItEEEEPS6_SG_NS0_5tupleIJSF_S6_EEENSH_IJSG_SG_EEES6_PlJNSB_9not_fun_tINSB_10functional5actorINSM_9compositeIJNSM_27transparent_binary_operatorINSA_8equal_toIvEEEENSN_INSM_8argumentILj0EEEEENSM_5valueItEEEEEEEEEEEE10hipError_tPvRmT3_T4_T5_T6_T7_T9_mT8_P12ihipStream_tbDpT10_ENKUlT_T0_E_clISt17integral_constantIbLb1EES1K_EEDaS1F_S1G_EUlS1F_E_NS1_11comp_targetILNS1_3genE5ELNS1_11target_archE942ELNS1_3gpuE9ELNS1_3repE0EEENS1_30default_config_static_selectorELNS0_4arch9wavefront6targetE0EEEvT1_: ; @_ZN7rocprim17ROCPRIM_400000_NS6detail17trampoline_kernelINS0_14default_configENS1_25partition_config_selectorILNS1_17partition_subalgoE6EtNS0_10empty_typeEbEEZZNS1_14partition_implILS5_6ELb0ES3_mN6thrust23THRUST_200600_302600_NS6detail15normal_iteratorINSA_10device_ptrItEEEEPS6_SG_NS0_5tupleIJSF_S6_EEENSH_IJSG_SG_EEES6_PlJNSB_9not_fun_tINSB_10functional5actorINSM_9compositeIJNSM_27transparent_binary_operatorINSA_8equal_toIvEEEENSN_INSM_8argumentILj0EEEEENSM_5valueItEEEEEEEEEEEE10hipError_tPvRmT3_T4_T5_T6_T7_T9_mT8_P12ihipStream_tbDpT10_ENKUlT_T0_E_clISt17integral_constantIbLb1EES1K_EEDaS1F_S1G_EUlS1F_E_NS1_11comp_targetILNS1_3genE5ELNS1_11target_archE942ELNS1_3gpuE9ELNS1_3repE0EEENS1_30default_config_static_selectorELNS0_4arch9wavefront6targetE0EEEvT1_
; %bb.0:
	.section	.rodata,"a",@progbits
	.p2align	6, 0x0
	.amdhsa_kernel _ZN7rocprim17ROCPRIM_400000_NS6detail17trampoline_kernelINS0_14default_configENS1_25partition_config_selectorILNS1_17partition_subalgoE6EtNS0_10empty_typeEbEEZZNS1_14partition_implILS5_6ELb0ES3_mN6thrust23THRUST_200600_302600_NS6detail15normal_iteratorINSA_10device_ptrItEEEEPS6_SG_NS0_5tupleIJSF_S6_EEENSH_IJSG_SG_EEES6_PlJNSB_9not_fun_tINSB_10functional5actorINSM_9compositeIJNSM_27transparent_binary_operatorINSA_8equal_toIvEEEENSN_INSM_8argumentILj0EEEEENSM_5valueItEEEEEEEEEEEE10hipError_tPvRmT3_T4_T5_T6_T7_T9_mT8_P12ihipStream_tbDpT10_ENKUlT_T0_E_clISt17integral_constantIbLb1EES1K_EEDaS1F_S1G_EUlS1F_E_NS1_11comp_targetILNS1_3genE5ELNS1_11target_archE942ELNS1_3gpuE9ELNS1_3repE0EEENS1_30default_config_static_selectorELNS0_4arch9wavefront6targetE0EEEvT1_
		.amdhsa_group_segment_fixed_size 0
		.amdhsa_private_segment_fixed_size 0
		.amdhsa_kernarg_size 128
		.amdhsa_user_sgpr_count 2
		.amdhsa_user_sgpr_dispatch_ptr 0
		.amdhsa_user_sgpr_queue_ptr 0
		.amdhsa_user_sgpr_kernarg_segment_ptr 1
		.amdhsa_user_sgpr_dispatch_id 0
		.amdhsa_user_sgpr_private_segment_size 0
		.amdhsa_wavefront_size32 1
		.amdhsa_uses_dynamic_stack 0
		.amdhsa_enable_private_segment 0
		.amdhsa_system_sgpr_workgroup_id_x 1
		.amdhsa_system_sgpr_workgroup_id_y 0
		.amdhsa_system_sgpr_workgroup_id_z 0
		.amdhsa_system_sgpr_workgroup_info 0
		.amdhsa_system_vgpr_workitem_id 0
		.amdhsa_next_free_vgpr 1
		.amdhsa_next_free_sgpr 1
		.amdhsa_reserve_vcc 0
		.amdhsa_float_round_mode_32 0
		.amdhsa_float_round_mode_16_64 0
		.amdhsa_float_denorm_mode_32 3
		.amdhsa_float_denorm_mode_16_64 3
		.amdhsa_fp16_overflow 0
		.amdhsa_workgroup_processor_mode 1
		.amdhsa_memory_ordered 1
		.amdhsa_forward_progress 1
		.amdhsa_inst_pref_size 0
		.amdhsa_round_robin_scheduling 0
		.amdhsa_exception_fp_ieee_invalid_op 0
		.amdhsa_exception_fp_denorm_src 0
		.amdhsa_exception_fp_ieee_div_zero 0
		.amdhsa_exception_fp_ieee_overflow 0
		.amdhsa_exception_fp_ieee_underflow 0
		.amdhsa_exception_fp_ieee_inexact 0
		.amdhsa_exception_int_div_zero 0
	.end_amdhsa_kernel
	.section	.text._ZN7rocprim17ROCPRIM_400000_NS6detail17trampoline_kernelINS0_14default_configENS1_25partition_config_selectorILNS1_17partition_subalgoE6EtNS0_10empty_typeEbEEZZNS1_14partition_implILS5_6ELb0ES3_mN6thrust23THRUST_200600_302600_NS6detail15normal_iteratorINSA_10device_ptrItEEEEPS6_SG_NS0_5tupleIJSF_S6_EEENSH_IJSG_SG_EEES6_PlJNSB_9not_fun_tINSB_10functional5actorINSM_9compositeIJNSM_27transparent_binary_operatorINSA_8equal_toIvEEEENSN_INSM_8argumentILj0EEEEENSM_5valueItEEEEEEEEEEEE10hipError_tPvRmT3_T4_T5_T6_T7_T9_mT8_P12ihipStream_tbDpT10_ENKUlT_T0_E_clISt17integral_constantIbLb1EES1K_EEDaS1F_S1G_EUlS1F_E_NS1_11comp_targetILNS1_3genE5ELNS1_11target_archE942ELNS1_3gpuE9ELNS1_3repE0EEENS1_30default_config_static_selectorELNS0_4arch9wavefront6targetE0EEEvT1_,"axG",@progbits,_ZN7rocprim17ROCPRIM_400000_NS6detail17trampoline_kernelINS0_14default_configENS1_25partition_config_selectorILNS1_17partition_subalgoE6EtNS0_10empty_typeEbEEZZNS1_14partition_implILS5_6ELb0ES3_mN6thrust23THRUST_200600_302600_NS6detail15normal_iteratorINSA_10device_ptrItEEEEPS6_SG_NS0_5tupleIJSF_S6_EEENSH_IJSG_SG_EEES6_PlJNSB_9not_fun_tINSB_10functional5actorINSM_9compositeIJNSM_27transparent_binary_operatorINSA_8equal_toIvEEEENSN_INSM_8argumentILj0EEEEENSM_5valueItEEEEEEEEEEEE10hipError_tPvRmT3_T4_T5_T6_T7_T9_mT8_P12ihipStream_tbDpT10_ENKUlT_T0_E_clISt17integral_constantIbLb1EES1K_EEDaS1F_S1G_EUlS1F_E_NS1_11comp_targetILNS1_3genE5ELNS1_11target_archE942ELNS1_3gpuE9ELNS1_3repE0EEENS1_30default_config_static_selectorELNS0_4arch9wavefront6targetE0EEEvT1_,comdat
.Lfunc_end155:
	.size	_ZN7rocprim17ROCPRIM_400000_NS6detail17trampoline_kernelINS0_14default_configENS1_25partition_config_selectorILNS1_17partition_subalgoE6EtNS0_10empty_typeEbEEZZNS1_14partition_implILS5_6ELb0ES3_mN6thrust23THRUST_200600_302600_NS6detail15normal_iteratorINSA_10device_ptrItEEEEPS6_SG_NS0_5tupleIJSF_S6_EEENSH_IJSG_SG_EEES6_PlJNSB_9not_fun_tINSB_10functional5actorINSM_9compositeIJNSM_27transparent_binary_operatorINSA_8equal_toIvEEEENSN_INSM_8argumentILj0EEEEENSM_5valueItEEEEEEEEEEEE10hipError_tPvRmT3_T4_T5_T6_T7_T9_mT8_P12ihipStream_tbDpT10_ENKUlT_T0_E_clISt17integral_constantIbLb1EES1K_EEDaS1F_S1G_EUlS1F_E_NS1_11comp_targetILNS1_3genE5ELNS1_11target_archE942ELNS1_3gpuE9ELNS1_3repE0EEENS1_30default_config_static_selectorELNS0_4arch9wavefront6targetE0EEEvT1_, .Lfunc_end155-_ZN7rocprim17ROCPRIM_400000_NS6detail17trampoline_kernelINS0_14default_configENS1_25partition_config_selectorILNS1_17partition_subalgoE6EtNS0_10empty_typeEbEEZZNS1_14partition_implILS5_6ELb0ES3_mN6thrust23THRUST_200600_302600_NS6detail15normal_iteratorINSA_10device_ptrItEEEEPS6_SG_NS0_5tupleIJSF_S6_EEENSH_IJSG_SG_EEES6_PlJNSB_9not_fun_tINSB_10functional5actorINSM_9compositeIJNSM_27transparent_binary_operatorINSA_8equal_toIvEEEENSN_INSM_8argumentILj0EEEEENSM_5valueItEEEEEEEEEEEE10hipError_tPvRmT3_T4_T5_T6_T7_T9_mT8_P12ihipStream_tbDpT10_ENKUlT_T0_E_clISt17integral_constantIbLb1EES1K_EEDaS1F_S1G_EUlS1F_E_NS1_11comp_targetILNS1_3genE5ELNS1_11target_archE942ELNS1_3gpuE9ELNS1_3repE0EEENS1_30default_config_static_selectorELNS0_4arch9wavefront6targetE0EEEvT1_
                                        ; -- End function
	.set _ZN7rocprim17ROCPRIM_400000_NS6detail17trampoline_kernelINS0_14default_configENS1_25partition_config_selectorILNS1_17partition_subalgoE6EtNS0_10empty_typeEbEEZZNS1_14partition_implILS5_6ELb0ES3_mN6thrust23THRUST_200600_302600_NS6detail15normal_iteratorINSA_10device_ptrItEEEEPS6_SG_NS0_5tupleIJSF_S6_EEENSH_IJSG_SG_EEES6_PlJNSB_9not_fun_tINSB_10functional5actorINSM_9compositeIJNSM_27transparent_binary_operatorINSA_8equal_toIvEEEENSN_INSM_8argumentILj0EEEEENSM_5valueItEEEEEEEEEEEE10hipError_tPvRmT3_T4_T5_T6_T7_T9_mT8_P12ihipStream_tbDpT10_ENKUlT_T0_E_clISt17integral_constantIbLb1EES1K_EEDaS1F_S1G_EUlS1F_E_NS1_11comp_targetILNS1_3genE5ELNS1_11target_archE942ELNS1_3gpuE9ELNS1_3repE0EEENS1_30default_config_static_selectorELNS0_4arch9wavefront6targetE0EEEvT1_.num_vgpr, 0
	.set _ZN7rocprim17ROCPRIM_400000_NS6detail17trampoline_kernelINS0_14default_configENS1_25partition_config_selectorILNS1_17partition_subalgoE6EtNS0_10empty_typeEbEEZZNS1_14partition_implILS5_6ELb0ES3_mN6thrust23THRUST_200600_302600_NS6detail15normal_iteratorINSA_10device_ptrItEEEEPS6_SG_NS0_5tupleIJSF_S6_EEENSH_IJSG_SG_EEES6_PlJNSB_9not_fun_tINSB_10functional5actorINSM_9compositeIJNSM_27transparent_binary_operatorINSA_8equal_toIvEEEENSN_INSM_8argumentILj0EEEEENSM_5valueItEEEEEEEEEEEE10hipError_tPvRmT3_T4_T5_T6_T7_T9_mT8_P12ihipStream_tbDpT10_ENKUlT_T0_E_clISt17integral_constantIbLb1EES1K_EEDaS1F_S1G_EUlS1F_E_NS1_11comp_targetILNS1_3genE5ELNS1_11target_archE942ELNS1_3gpuE9ELNS1_3repE0EEENS1_30default_config_static_selectorELNS0_4arch9wavefront6targetE0EEEvT1_.num_agpr, 0
	.set _ZN7rocprim17ROCPRIM_400000_NS6detail17trampoline_kernelINS0_14default_configENS1_25partition_config_selectorILNS1_17partition_subalgoE6EtNS0_10empty_typeEbEEZZNS1_14partition_implILS5_6ELb0ES3_mN6thrust23THRUST_200600_302600_NS6detail15normal_iteratorINSA_10device_ptrItEEEEPS6_SG_NS0_5tupleIJSF_S6_EEENSH_IJSG_SG_EEES6_PlJNSB_9not_fun_tINSB_10functional5actorINSM_9compositeIJNSM_27transparent_binary_operatorINSA_8equal_toIvEEEENSN_INSM_8argumentILj0EEEEENSM_5valueItEEEEEEEEEEEE10hipError_tPvRmT3_T4_T5_T6_T7_T9_mT8_P12ihipStream_tbDpT10_ENKUlT_T0_E_clISt17integral_constantIbLb1EES1K_EEDaS1F_S1G_EUlS1F_E_NS1_11comp_targetILNS1_3genE5ELNS1_11target_archE942ELNS1_3gpuE9ELNS1_3repE0EEENS1_30default_config_static_selectorELNS0_4arch9wavefront6targetE0EEEvT1_.numbered_sgpr, 0
	.set _ZN7rocprim17ROCPRIM_400000_NS6detail17trampoline_kernelINS0_14default_configENS1_25partition_config_selectorILNS1_17partition_subalgoE6EtNS0_10empty_typeEbEEZZNS1_14partition_implILS5_6ELb0ES3_mN6thrust23THRUST_200600_302600_NS6detail15normal_iteratorINSA_10device_ptrItEEEEPS6_SG_NS0_5tupleIJSF_S6_EEENSH_IJSG_SG_EEES6_PlJNSB_9not_fun_tINSB_10functional5actorINSM_9compositeIJNSM_27transparent_binary_operatorINSA_8equal_toIvEEEENSN_INSM_8argumentILj0EEEEENSM_5valueItEEEEEEEEEEEE10hipError_tPvRmT3_T4_T5_T6_T7_T9_mT8_P12ihipStream_tbDpT10_ENKUlT_T0_E_clISt17integral_constantIbLb1EES1K_EEDaS1F_S1G_EUlS1F_E_NS1_11comp_targetILNS1_3genE5ELNS1_11target_archE942ELNS1_3gpuE9ELNS1_3repE0EEENS1_30default_config_static_selectorELNS0_4arch9wavefront6targetE0EEEvT1_.num_named_barrier, 0
	.set _ZN7rocprim17ROCPRIM_400000_NS6detail17trampoline_kernelINS0_14default_configENS1_25partition_config_selectorILNS1_17partition_subalgoE6EtNS0_10empty_typeEbEEZZNS1_14partition_implILS5_6ELb0ES3_mN6thrust23THRUST_200600_302600_NS6detail15normal_iteratorINSA_10device_ptrItEEEEPS6_SG_NS0_5tupleIJSF_S6_EEENSH_IJSG_SG_EEES6_PlJNSB_9not_fun_tINSB_10functional5actorINSM_9compositeIJNSM_27transparent_binary_operatorINSA_8equal_toIvEEEENSN_INSM_8argumentILj0EEEEENSM_5valueItEEEEEEEEEEEE10hipError_tPvRmT3_T4_T5_T6_T7_T9_mT8_P12ihipStream_tbDpT10_ENKUlT_T0_E_clISt17integral_constantIbLb1EES1K_EEDaS1F_S1G_EUlS1F_E_NS1_11comp_targetILNS1_3genE5ELNS1_11target_archE942ELNS1_3gpuE9ELNS1_3repE0EEENS1_30default_config_static_selectorELNS0_4arch9wavefront6targetE0EEEvT1_.private_seg_size, 0
	.set _ZN7rocprim17ROCPRIM_400000_NS6detail17trampoline_kernelINS0_14default_configENS1_25partition_config_selectorILNS1_17partition_subalgoE6EtNS0_10empty_typeEbEEZZNS1_14partition_implILS5_6ELb0ES3_mN6thrust23THRUST_200600_302600_NS6detail15normal_iteratorINSA_10device_ptrItEEEEPS6_SG_NS0_5tupleIJSF_S6_EEENSH_IJSG_SG_EEES6_PlJNSB_9not_fun_tINSB_10functional5actorINSM_9compositeIJNSM_27transparent_binary_operatorINSA_8equal_toIvEEEENSN_INSM_8argumentILj0EEEEENSM_5valueItEEEEEEEEEEEE10hipError_tPvRmT3_T4_T5_T6_T7_T9_mT8_P12ihipStream_tbDpT10_ENKUlT_T0_E_clISt17integral_constantIbLb1EES1K_EEDaS1F_S1G_EUlS1F_E_NS1_11comp_targetILNS1_3genE5ELNS1_11target_archE942ELNS1_3gpuE9ELNS1_3repE0EEENS1_30default_config_static_selectorELNS0_4arch9wavefront6targetE0EEEvT1_.uses_vcc, 0
	.set _ZN7rocprim17ROCPRIM_400000_NS6detail17trampoline_kernelINS0_14default_configENS1_25partition_config_selectorILNS1_17partition_subalgoE6EtNS0_10empty_typeEbEEZZNS1_14partition_implILS5_6ELb0ES3_mN6thrust23THRUST_200600_302600_NS6detail15normal_iteratorINSA_10device_ptrItEEEEPS6_SG_NS0_5tupleIJSF_S6_EEENSH_IJSG_SG_EEES6_PlJNSB_9not_fun_tINSB_10functional5actorINSM_9compositeIJNSM_27transparent_binary_operatorINSA_8equal_toIvEEEENSN_INSM_8argumentILj0EEEEENSM_5valueItEEEEEEEEEEEE10hipError_tPvRmT3_T4_T5_T6_T7_T9_mT8_P12ihipStream_tbDpT10_ENKUlT_T0_E_clISt17integral_constantIbLb1EES1K_EEDaS1F_S1G_EUlS1F_E_NS1_11comp_targetILNS1_3genE5ELNS1_11target_archE942ELNS1_3gpuE9ELNS1_3repE0EEENS1_30default_config_static_selectorELNS0_4arch9wavefront6targetE0EEEvT1_.uses_flat_scratch, 0
	.set _ZN7rocprim17ROCPRIM_400000_NS6detail17trampoline_kernelINS0_14default_configENS1_25partition_config_selectorILNS1_17partition_subalgoE6EtNS0_10empty_typeEbEEZZNS1_14partition_implILS5_6ELb0ES3_mN6thrust23THRUST_200600_302600_NS6detail15normal_iteratorINSA_10device_ptrItEEEEPS6_SG_NS0_5tupleIJSF_S6_EEENSH_IJSG_SG_EEES6_PlJNSB_9not_fun_tINSB_10functional5actorINSM_9compositeIJNSM_27transparent_binary_operatorINSA_8equal_toIvEEEENSN_INSM_8argumentILj0EEEEENSM_5valueItEEEEEEEEEEEE10hipError_tPvRmT3_T4_T5_T6_T7_T9_mT8_P12ihipStream_tbDpT10_ENKUlT_T0_E_clISt17integral_constantIbLb1EES1K_EEDaS1F_S1G_EUlS1F_E_NS1_11comp_targetILNS1_3genE5ELNS1_11target_archE942ELNS1_3gpuE9ELNS1_3repE0EEENS1_30default_config_static_selectorELNS0_4arch9wavefront6targetE0EEEvT1_.has_dyn_sized_stack, 0
	.set _ZN7rocprim17ROCPRIM_400000_NS6detail17trampoline_kernelINS0_14default_configENS1_25partition_config_selectorILNS1_17partition_subalgoE6EtNS0_10empty_typeEbEEZZNS1_14partition_implILS5_6ELb0ES3_mN6thrust23THRUST_200600_302600_NS6detail15normal_iteratorINSA_10device_ptrItEEEEPS6_SG_NS0_5tupleIJSF_S6_EEENSH_IJSG_SG_EEES6_PlJNSB_9not_fun_tINSB_10functional5actorINSM_9compositeIJNSM_27transparent_binary_operatorINSA_8equal_toIvEEEENSN_INSM_8argumentILj0EEEEENSM_5valueItEEEEEEEEEEEE10hipError_tPvRmT3_T4_T5_T6_T7_T9_mT8_P12ihipStream_tbDpT10_ENKUlT_T0_E_clISt17integral_constantIbLb1EES1K_EEDaS1F_S1G_EUlS1F_E_NS1_11comp_targetILNS1_3genE5ELNS1_11target_archE942ELNS1_3gpuE9ELNS1_3repE0EEENS1_30default_config_static_selectorELNS0_4arch9wavefront6targetE0EEEvT1_.has_recursion, 0
	.set _ZN7rocprim17ROCPRIM_400000_NS6detail17trampoline_kernelINS0_14default_configENS1_25partition_config_selectorILNS1_17partition_subalgoE6EtNS0_10empty_typeEbEEZZNS1_14partition_implILS5_6ELb0ES3_mN6thrust23THRUST_200600_302600_NS6detail15normal_iteratorINSA_10device_ptrItEEEEPS6_SG_NS0_5tupleIJSF_S6_EEENSH_IJSG_SG_EEES6_PlJNSB_9not_fun_tINSB_10functional5actorINSM_9compositeIJNSM_27transparent_binary_operatorINSA_8equal_toIvEEEENSN_INSM_8argumentILj0EEEEENSM_5valueItEEEEEEEEEEEE10hipError_tPvRmT3_T4_T5_T6_T7_T9_mT8_P12ihipStream_tbDpT10_ENKUlT_T0_E_clISt17integral_constantIbLb1EES1K_EEDaS1F_S1G_EUlS1F_E_NS1_11comp_targetILNS1_3genE5ELNS1_11target_archE942ELNS1_3gpuE9ELNS1_3repE0EEENS1_30default_config_static_selectorELNS0_4arch9wavefront6targetE0EEEvT1_.has_indirect_call, 0
	.section	.AMDGPU.csdata,"",@progbits
; Kernel info:
; codeLenInByte = 0
; TotalNumSgprs: 0
; NumVgprs: 0
; ScratchSize: 0
; MemoryBound: 0
; FloatMode: 240
; IeeeMode: 1
; LDSByteSize: 0 bytes/workgroup (compile time only)
; SGPRBlocks: 0
; VGPRBlocks: 0
; NumSGPRsForWavesPerEU: 1
; NumVGPRsForWavesPerEU: 1
; Occupancy: 16
; WaveLimiterHint : 0
; COMPUTE_PGM_RSRC2:SCRATCH_EN: 0
; COMPUTE_PGM_RSRC2:USER_SGPR: 2
; COMPUTE_PGM_RSRC2:TRAP_HANDLER: 0
; COMPUTE_PGM_RSRC2:TGID_X_EN: 1
; COMPUTE_PGM_RSRC2:TGID_Y_EN: 0
; COMPUTE_PGM_RSRC2:TGID_Z_EN: 0
; COMPUTE_PGM_RSRC2:TIDIG_COMP_CNT: 0
	.section	.text._ZN7rocprim17ROCPRIM_400000_NS6detail17trampoline_kernelINS0_14default_configENS1_25partition_config_selectorILNS1_17partition_subalgoE6EtNS0_10empty_typeEbEEZZNS1_14partition_implILS5_6ELb0ES3_mN6thrust23THRUST_200600_302600_NS6detail15normal_iteratorINSA_10device_ptrItEEEEPS6_SG_NS0_5tupleIJSF_S6_EEENSH_IJSG_SG_EEES6_PlJNSB_9not_fun_tINSB_10functional5actorINSM_9compositeIJNSM_27transparent_binary_operatorINSA_8equal_toIvEEEENSN_INSM_8argumentILj0EEEEENSM_5valueItEEEEEEEEEEEE10hipError_tPvRmT3_T4_T5_T6_T7_T9_mT8_P12ihipStream_tbDpT10_ENKUlT_T0_E_clISt17integral_constantIbLb1EES1K_EEDaS1F_S1G_EUlS1F_E_NS1_11comp_targetILNS1_3genE4ELNS1_11target_archE910ELNS1_3gpuE8ELNS1_3repE0EEENS1_30default_config_static_selectorELNS0_4arch9wavefront6targetE0EEEvT1_,"axG",@progbits,_ZN7rocprim17ROCPRIM_400000_NS6detail17trampoline_kernelINS0_14default_configENS1_25partition_config_selectorILNS1_17partition_subalgoE6EtNS0_10empty_typeEbEEZZNS1_14partition_implILS5_6ELb0ES3_mN6thrust23THRUST_200600_302600_NS6detail15normal_iteratorINSA_10device_ptrItEEEEPS6_SG_NS0_5tupleIJSF_S6_EEENSH_IJSG_SG_EEES6_PlJNSB_9not_fun_tINSB_10functional5actorINSM_9compositeIJNSM_27transparent_binary_operatorINSA_8equal_toIvEEEENSN_INSM_8argumentILj0EEEEENSM_5valueItEEEEEEEEEEEE10hipError_tPvRmT3_T4_T5_T6_T7_T9_mT8_P12ihipStream_tbDpT10_ENKUlT_T0_E_clISt17integral_constantIbLb1EES1K_EEDaS1F_S1G_EUlS1F_E_NS1_11comp_targetILNS1_3genE4ELNS1_11target_archE910ELNS1_3gpuE8ELNS1_3repE0EEENS1_30default_config_static_selectorELNS0_4arch9wavefront6targetE0EEEvT1_,comdat
	.protected	_ZN7rocprim17ROCPRIM_400000_NS6detail17trampoline_kernelINS0_14default_configENS1_25partition_config_selectorILNS1_17partition_subalgoE6EtNS0_10empty_typeEbEEZZNS1_14partition_implILS5_6ELb0ES3_mN6thrust23THRUST_200600_302600_NS6detail15normal_iteratorINSA_10device_ptrItEEEEPS6_SG_NS0_5tupleIJSF_S6_EEENSH_IJSG_SG_EEES6_PlJNSB_9not_fun_tINSB_10functional5actorINSM_9compositeIJNSM_27transparent_binary_operatorINSA_8equal_toIvEEEENSN_INSM_8argumentILj0EEEEENSM_5valueItEEEEEEEEEEEE10hipError_tPvRmT3_T4_T5_T6_T7_T9_mT8_P12ihipStream_tbDpT10_ENKUlT_T0_E_clISt17integral_constantIbLb1EES1K_EEDaS1F_S1G_EUlS1F_E_NS1_11comp_targetILNS1_3genE4ELNS1_11target_archE910ELNS1_3gpuE8ELNS1_3repE0EEENS1_30default_config_static_selectorELNS0_4arch9wavefront6targetE0EEEvT1_ ; -- Begin function _ZN7rocprim17ROCPRIM_400000_NS6detail17trampoline_kernelINS0_14default_configENS1_25partition_config_selectorILNS1_17partition_subalgoE6EtNS0_10empty_typeEbEEZZNS1_14partition_implILS5_6ELb0ES3_mN6thrust23THRUST_200600_302600_NS6detail15normal_iteratorINSA_10device_ptrItEEEEPS6_SG_NS0_5tupleIJSF_S6_EEENSH_IJSG_SG_EEES6_PlJNSB_9not_fun_tINSB_10functional5actorINSM_9compositeIJNSM_27transparent_binary_operatorINSA_8equal_toIvEEEENSN_INSM_8argumentILj0EEEEENSM_5valueItEEEEEEEEEEEE10hipError_tPvRmT3_T4_T5_T6_T7_T9_mT8_P12ihipStream_tbDpT10_ENKUlT_T0_E_clISt17integral_constantIbLb1EES1K_EEDaS1F_S1G_EUlS1F_E_NS1_11comp_targetILNS1_3genE4ELNS1_11target_archE910ELNS1_3gpuE8ELNS1_3repE0EEENS1_30default_config_static_selectorELNS0_4arch9wavefront6targetE0EEEvT1_
	.globl	_ZN7rocprim17ROCPRIM_400000_NS6detail17trampoline_kernelINS0_14default_configENS1_25partition_config_selectorILNS1_17partition_subalgoE6EtNS0_10empty_typeEbEEZZNS1_14partition_implILS5_6ELb0ES3_mN6thrust23THRUST_200600_302600_NS6detail15normal_iteratorINSA_10device_ptrItEEEEPS6_SG_NS0_5tupleIJSF_S6_EEENSH_IJSG_SG_EEES6_PlJNSB_9not_fun_tINSB_10functional5actorINSM_9compositeIJNSM_27transparent_binary_operatorINSA_8equal_toIvEEEENSN_INSM_8argumentILj0EEEEENSM_5valueItEEEEEEEEEEEE10hipError_tPvRmT3_T4_T5_T6_T7_T9_mT8_P12ihipStream_tbDpT10_ENKUlT_T0_E_clISt17integral_constantIbLb1EES1K_EEDaS1F_S1G_EUlS1F_E_NS1_11comp_targetILNS1_3genE4ELNS1_11target_archE910ELNS1_3gpuE8ELNS1_3repE0EEENS1_30default_config_static_selectorELNS0_4arch9wavefront6targetE0EEEvT1_
	.p2align	8
	.type	_ZN7rocprim17ROCPRIM_400000_NS6detail17trampoline_kernelINS0_14default_configENS1_25partition_config_selectorILNS1_17partition_subalgoE6EtNS0_10empty_typeEbEEZZNS1_14partition_implILS5_6ELb0ES3_mN6thrust23THRUST_200600_302600_NS6detail15normal_iteratorINSA_10device_ptrItEEEEPS6_SG_NS0_5tupleIJSF_S6_EEENSH_IJSG_SG_EEES6_PlJNSB_9not_fun_tINSB_10functional5actorINSM_9compositeIJNSM_27transparent_binary_operatorINSA_8equal_toIvEEEENSN_INSM_8argumentILj0EEEEENSM_5valueItEEEEEEEEEEEE10hipError_tPvRmT3_T4_T5_T6_T7_T9_mT8_P12ihipStream_tbDpT10_ENKUlT_T0_E_clISt17integral_constantIbLb1EES1K_EEDaS1F_S1G_EUlS1F_E_NS1_11comp_targetILNS1_3genE4ELNS1_11target_archE910ELNS1_3gpuE8ELNS1_3repE0EEENS1_30default_config_static_selectorELNS0_4arch9wavefront6targetE0EEEvT1_,@function
_ZN7rocprim17ROCPRIM_400000_NS6detail17trampoline_kernelINS0_14default_configENS1_25partition_config_selectorILNS1_17partition_subalgoE6EtNS0_10empty_typeEbEEZZNS1_14partition_implILS5_6ELb0ES3_mN6thrust23THRUST_200600_302600_NS6detail15normal_iteratorINSA_10device_ptrItEEEEPS6_SG_NS0_5tupleIJSF_S6_EEENSH_IJSG_SG_EEES6_PlJNSB_9not_fun_tINSB_10functional5actorINSM_9compositeIJNSM_27transparent_binary_operatorINSA_8equal_toIvEEEENSN_INSM_8argumentILj0EEEEENSM_5valueItEEEEEEEEEEEE10hipError_tPvRmT3_T4_T5_T6_T7_T9_mT8_P12ihipStream_tbDpT10_ENKUlT_T0_E_clISt17integral_constantIbLb1EES1K_EEDaS1F_S1G_EUlS1F_E_NS1_11comp_targetILNS1_3genE4ELNS1_11target_archE910ELNS1_3gpuE8ELNS1_3repE0EEENS1_30default_config_static_selectorELNS0_4arch9wavefront6targetE0EEEvT1_: ; @_ZN7rocprim17ROCPRIM_400000_NS6detail17trampoline_kernelINS0_14default_configENS1_25partition_config_selectorILNS1_17partition_subalgoE6EtNS0_10empty_typeEbEEZZNS1_14partition_implILS5_6ELb0ES3_mN6thrust23THRUST_200600_302600_NS6detail15normal_iteratorINSA_10device_ptrItEEEEPS6_SG_NS0_5tupleIJSF_S6_EEENSH_IJSG_SG_EEES6_PlJNSB_9not_fun_tINSB_10functional5actorINSM_9compositeIJNSM_27transparent_binary_operatorINSA_8equal_toIvEEEENSN_INSM_8argumentILj0EEEEENSM_5valueItEEEEEEEEEEEE10hipError_tPvRmT3_T4_T5_T6_T7_T9_mT8_P12ihipStream_tbDpT10_ENKUlT_T0_E_clISt17integral_constantIbLb1EES1K_EEDaS1F_S1G_EUlS1F_E_NS1_11comp_targetILNS1_3genE4ELNS1_11target_archE910ELNS1_3gpuE8ELNS1_3repE0EEENS1_30default_config_static_selectorELNS0_4arch9wavefront6targetE0EEEvT1_
; %bb.0:
	.section	.rodata,"a",@progbits
	.p2align	6, 0x0
	.amdhsa_kernel _ZN7rocprim17ROCPRIM_400000_NS6detail17trampoline_kernelINS0_14default_configENS1_25partition_config_selectorILNS1_17partition_subalgoE6EtNS0_10empty_typeEbEEZZNS1_14partition_implILS5_6ELb0ES3_mN6thrust23THRUST_200600_302600_NS6detail15normal_iteratorINSA_10device_ptrItEEEEPS6_SG_NS0_5tupleIJSF_S6_EEENSH_IJSG_SG_EEES6_PlJNSB_9not_fun_tINSB_10functional5actorINSM_9compositeIJNSM_27transparent_binary_operatorINSA_8equal_toIvEEEENSN_INSM_8argumentILj0EEEEENSM_5valueItEEEEEEEEEEEE10hipError_tPvRmT3_T4_T5_T6_T7_T9_mT8_P12ihipStream_tbDpT10_ENKUlT_T0_E_clISt17integral_constantIbLb1EES1K_EEDaS1F_S1G_EUlS1F_E_NS1_11comp_targetILNS1_3genE4ELNS1_11target_archE910ELNS1_3gpuE8ELNS1_3repE0EEENS1_30default_config_static_selectorELNS0_4arch9wavefront6targetE0EEEvT1_
		.amdhsa_group_segment_fixed_size 0
		.amdhsa_private_segment_fixed_size 0
		.amdhsa_kernarg_size 128
		.amdhsa_user_sgpr_count 2
		.amdhsa_user_sgpr_dispatch_ptr 0
		.amdhsa_user_sgpr_queue_ptr 0
		.amdhsa_user_sgpr_kernarg_segment_ptr 1
		.amdhsa_user_sgpr_dispatch_id 0
		.amdhsa_user_sgpr_private_segment_size 0
		.amdhsa_wavefront_size32 1
		.amdhsa_uses_dynamic_stack 0
		.amdhsa_enable_private_segment 0
		.amdhsa_system_sgpr_workgroup_id_x 1
		.amdhsa_system_sgpr_workgroup_id_y 0
		.amdhsa_system_sgpr_workgroup_id_z 0
		.amdhsa_system_sgpr_workgroup_info 0
		.amdhsa_system_vgpr_workitem_id 0
		.amdhsa_next_free_vgpr 1
		.amdhsa_next_free_sgpr 1
		.amdhsa_reserve_vcc 0
		.amdhsa_float_round_mode_32 0
		.amdhsa_float_round_mode_16_64 0
		.amdhsa_float_denorm_mode_32 3
		.amdhsa_float_denorm_mode_16_64 3
		.amdhsa_fp16_overflow 0
		.amdhsa_workgroup_processor_mode 1
		.amdhsa_memory_ordered 1
		.amdhsa_forward_progress 1
		.amdhsa_inst_pref_size 0
		.amdhsa_round_robin_scheduling 0
		.amdhsa_exception_fp_ieee_invalid_op 0
		.amdhsa_exception_fp_denorm_src 0
		.amdhsa_exception_fp_ieee_div_zero 0
		.amdhsa_exception_fp_ieee_overflow 0
		.amdhsa_exception_fp_ieee_underflow 0
		.amdhsa_exception_fp_ieee_inexact 0
		.amdhsa_exception_int_div_zero 0
	.end_amdhsa_kernel
	.section	.text._ZN7rocprim17ROCPRIM_400000_NS6detail17trampoline_kernelINS0_14default_configENS1_25partition_config_selectorILNS1_17partition_subalgoE6EtNS0_10empty_typeEbEEZZNS1_14partition_implILS5_6ELb0ES3_mN6thrust23THRUST_200600_302600_NS6detail15normal_iteratorINSA_10device_ptrItEEEEPS6_SG_NS0_5tupleIJSF_S6_EEENSH_IJSG_SG_EEES6_PlJNSB_9not_fun_tINSB_10functional5actorINSM_9compositeIJNSM_27transparent_binary_operatorINSA_8equal_toIvEEEENSN_INSM_8argumentILj0EEEEENSM_5valueItEEEEEEEEEEEE10hipError_tPvRmT3_T4_T5_T6_T7_T9_mT8_P12ihipStream_tbDpT10_ENKUlT_T0_E_clISt17integral_constantIbLb1EES1K_EEDaS1F_S1G_EUlS1F_E_NS1_11comp_targetILNS1_3genE4ELNS1_11target_archE910ELNS1_3gpuE8ELNS1_3repE0EEENS1_30default_config_static_selectorELNS0_4arch9wavefront6targetE0EEEvT1_,"axG",@progbits,_ZN7rocprim17ROCPRIM_400000_NS6detail17trampoline_kernelINS0_14default_configENS1_25partition_config_selectorILNS1_17partition_subalgoE6EtNS0_10empty_typeEbEEZZNS1_14partition_implILS5_6ELb0ES3_mN6thrust23THRUST_200600_302600_NS6detail15normal_iteratorINSA_10device_ptrItEEEEPS6_SG_NS0_5tupleIJSF_S6_EEENSH_IJSG_SG_EEES6_PlJNSB_9not_fun_tINSB_10functional5actorINSM_9compositeIJNSM_27transparent_binary_operatorINSA_8equal_toIvEEEENSN_INSM_8argumentILj0EEEEENSM_5valueItEEEEEEEEEEEE10hipError_tPvRmT3_T4_T5_T6_T7_T9_mT8_P12ihipStream_tbDpT10_ENKUlT_T0_E_clISt17integral_constantIbLb1EES1K_EEDaS1F_S1G_EUlS1F_E_NS1_11comp_targetILNS1_3genE4ELNS1_11target_archE910ELNS1_3gpuE8ELNS1_3repE0EEENS1_30default_config_static_selectorELNS0_4arch9wavefront6targetE0EEEvT1_,comdat
.Lfunc_end156:
	.size	_ZN7rocprim17ROCPRIM_400000_NS6detail17trampoline_kernelINS0_14default_configENS1_25partition_config_selectorILNS1_17partition_subalgoE6EtNS0_10empty_typeEbEEZZNS1_14partition_implILS5_6ELb0ES3_mN6thrust23THRUST_200600_302600_NS6detail15normal_iteratorINSA_10device_ptrItEEEEPS6_SG_NS0_5tupleIJSF_S6_EEENSH_IJSG_SG_EEES6_PlJNSB_9not_fun_tINSB_10functional5actorINSM_9compositeIJNSM_27transparent_binary_operatorINSA_8equal_toIvEEEENSN_INSM_8argumentILj0EEEEENSM_5valueItEEEEEEEEEEEE10hipError_tPvRmT3_T4_T5_T6_T7_T9_mT8_P12ihipStream_tbDpT10_ENKUlT_T0_E_clISt17integral_constantIbLb1EES1K_EEDaS1F_S1G_EUlS1F_E_NS1_11comp_targetILNS1_3genE4ELNS1_11target_archE910ELNS1_3gpuE8ELNS1_3repE0EEENS1_30default_config_static_selectorELNS0_4arch9wavefront6targetE0EEEvT1_, .Lfunc_end156-_ZN7rocprim17ROCPRIM_400000_NS6detail17trampoline_kernelINS0_14default_configENS1_25partition_config_selectorILNS1_17partition_subalgoE6EtNS0_10empty_typeEbEEZZNS1_14partition_implILS5_6ELb0ES3_mN6thrust23THRUST_200600_302600_NS6detail15normal_iteratorINSA_10device_ptrItEEEEPS6_SG_NS0_5tupleIJSF_S6_EEENSH_IJSG_SG_EEES6_PlJNSB_9not_fun_tINSB_10functional5actorINSM_9compositeIJNSM_27transparent_binary_operatorINSA_8equal_toIvEEEENSN_INSM_8argumentILj0EEEEENSM_5valueItEEEEEEEEEEEE10hipError_tPvRmT3_T4_T5_T6_T7_T9_mT8_P12ihipStream_tbDpT10_ENKUlT_T0_E_clISt17integral_constantIbLb1EES1K_EEDaS1F_S1G_EUlS1F_E_NS1_11comp_targetILNS1_3genE4ELNS1_11target_archE910ELNS1_3gpuE8ELNS1_3repE0EEENS1_30default_config_static_selectorELNS0_4arch9wavefront6targetE0EEEvT1_
                                        ; -- End function
	.set _ZN7rocprim17ROCPRIM_400000_NS6detail17trampoline_kernelINS0_14default_configENS1_25partition_config_selectorILNS1_17partition_subalgoE6EtNS0_10empty_typeEbEEZZNS1_14partition_implILS5_6ELb0ES3_mN6thrust23THRUST_200600_302600_NS6detail15normal_iteratorINSA_10device_ptrItEEEEPS6_SG_NS0_5tupleIJSF_S6_EEENSH_IJSG_SG_EEES6_PlJNSB_9not_fun_tINSB_10functional5actorINSM_9compositeIJNSM_27transparent_binary_operatorINSA_8equal_toIvEEEENSN_INSM_8argumentILj0EEEEENSM_5valueItEEEEEEEEEEEE10hipError_tPvRmT3_T4_T5_T6_T7_T9_mT8_P12ihipStream_tbDpT10_ENKUlT_T0_E_clISt17integral_constantIbLb1EES1K_EEDaS1F_S1G_EUlS1F_E_NS1_11comp_targetILNS1_3genE4ELNS1_11target_archE910ELNS1_3gpuE8ELNS1_3repE0EEENS1_30default_config_static_selectorELNS0_4arch9wavefront6targetE0EEEvT1_.num_vgpr, 0
	.set _ZN7rocprim17ROCPRIM_400000_NS6detail17trampoline_kernelINS0_14default_configENS1_25partition_config_selectorILNS1_17partition_subalgoE6EtNS0_10empty_typeEbEEZZNS1_14partition_implILS5_6ELb0ES3_mN6thrust23THRUST_200600_302600_NS6detail15normal_iteratorINSA_10device_ptrItEEEEPS6_SG_NS0_5tupleIJSF_S6_EEENSH_IJSG_SG_EEES6_PlJNSB_9not_fun_tINSB_10functional5actorINSM_9compositeIJNSM_27transparent_binary_operatorINSA_8equal_toIvEEEENSN_INSM_8argumentILj0EEEEENSM_5valueItEEEEEEEEEEEE10hipError_tPvRmT3_T4_T5_T6_T7_T9_mT8_P12ihipStream_tbDpT10_ENKUlT_T0_E_clISt17integral_constantIbLb1EES1K_EEDaS1F_S1G_EUlS1F_E_NS1_11comp_targetILNS1_3genE4ELNS1_11target_archE910ELNS1_3gpuE8ELNS1_3repE0EEENS1_30default_config_static_selectorELNS0_4arch9wavefront6targetE0EEEvT1_.num_agpr, 0
	.set _ZN7rocprim17ROCPRIM_400000_NS6detail17trampoline_kernelINS0_14default_configENS1_25partition_config_selectorILNS1_17partition_subalgoE6EtNS0_10empty_typeEbEEZZNS1_14partition_implILS5_6ELb0ES3_mN6thrust23THRUST_200600_302600_NS6detail15normal_iteratorINSA_10device_ptrItEEEEPS6_SG_NS0_5tupleIJSF_S6_EEENSH_IJSG_SG_EEES6_PlJNSB_9not_fun_tINSB_10functional5actorINSM_9compositeIJNSM_27transparent_binary_operatorINSA_8equal_toIvEEEENSN_INSM_8argumentILj0EEEEENSM_5valueItEEEEEEEEEEEE10hipError_tPvRmT3_T4_T5_T6_T7_T9_mT8_P12ihipStream_tbDpT10_ENKUlT_T0_E_clISt17integral_constantIbLb1EES1K_EEDaS1F_S1G_EUlS1F_E_NS1_11comp_targetILNS1_3genE4ELNS1_11target_archE910ELNS1_3gpuE8ELNS1_3repE0EEENS1_30default_config_static_selectorELNS0_4arch9wavefront6targetE0EEEvT1_.numbered_sgpr, 0
	.set _ZN7rocprim17ROCPRIM_400000_NS6detail17trampoline_kernelINS0_14default_configENS1_25partition_config_selectorILNS1_17partition_subalgoE6EtNS0_10empty_typeEbEEZZNS1_14partition_implILS5_6ELb0ES3_mN6thrust23THRUST_200600_302600_NS6detail15normal_iteratorINSA_10device_ptrItEEEEPS6_SG_NS0_5tupleIJSF_S6_EEENSH_IJSG_SG_EEES6_PlJNSB_9not_fun_tINSB_10functional5actorINSM_9compositeIJNSM_27transparent_binary_operatorINSA_8equal_toIvEEEENSN_INSM_8argumentILj0EEEEENSM_5valueItEEEEEEEEEEEE10hipError_tPvRmT3_T4_T5_T6_T7_T9_mT8_P12ihipStream_tbDpT10_ENKUlT_T0_E_clISt17integral_constantIbLb1EES1K_EEDaS1F_S1G_EUlS1F_E_NS1_11comp_targetILNS1_3genE4ELNS1_11target_archE910ELNS1_3gpuE8ELNS1_3repE0EEENS1_30default_config_static_selectorELNS0_4arch9wavefront6targetE0EEEvT1_.num_named_barrier, 0
	.set _ZN7rocprim17ROCPRIM_400000_NS6detail17trampoline_kernelINS0_14default_configENS1_25partition_config_selectorILNS1_17partition_subalgoE6EtNS0_10empty_typeEbEEZZNS1_14partition_implILS5_6ELb0ES3_mN6thrust23THRUST_200600_302600_NS6detail15normal_iteratorINSA_10device_ptrItEEEEPS6_SG_NS0_5tupleIJSF_S6_EEENSH_IJSG_SG_EEES6_PlJNSB_9not_fun_tINSB_10functional5actorINSM_9compositeIJNSM_27transparent_binary_operatorINSA_8equal_toIvEEEENSN_INSM_8argumentILj0EEEEENSM_5valueItEEEEEEEEEEEE10hipError_tPvRmT3_T4_T5_T6_T7_T9_mT8_P12ihipStream_tbDpT10_ENKUlT_T0_E_clISt17integral_constantIbLb1EES1K_EEDaS1F_S1G_EUlS1F_E_NS1_11comp_targetILNS1_3genE4ELNS1_11target_archE910ELNS1_3gpuE8ELNS1_3repE0EEENS1_30default_config_static_selectorELNS0_4arch9wavefront6targetE0EEEvT1_.private_seg_size, 0
	.set _ZN7rocprim17ROCPRIM_400000_NS6detail17trampoline_kernelINS0_14default_configENS1_25partition_config_selectorILNS1_17partition_subalgoE6EtNS0_10empty_typeEbEEZZNS1_14partition_implILS5_6ELb0ES3_mN6thrust23THRUST_200600_302600_NS6detail15normal_iteratorINSA_10device_ptrItEEEEPS6_SG_NS0_5tupleIJSF_S6_EEENSH_IJSG_SG_EEES6_PlJNSB_9not_fun_tINSB_10functional5actorINSM_9compositeIJNSM_27transparent_binary_operatorINSA_8equal_toIvEEEENSN_INSM_8argumentILj0EEEEENSM_5valueItEEEEEEEEEEEE10hipError_tPvRmT3_T4_T5_T6_T7_T9_mT8_P12ihipStream_tbDpT10_ENKUlT_T0_E_clISt17integral_constantIbLb1EES1K_EEDaS1F_S1G_EUlS1F_E_NS1_11comp_targetILNS1_3genE4ELNS1_11target_archE910ELNS1_3gpuE8ELNS1_3repE0EEENS1_30default_config_static_selectorELNS0_4arch9wavefront6targetE0EEEvT1_.uses_vcc, 0
	.set _ZN7rocprim17ROCPRIM_400000_NS6detail17trampoline_kernelINS0_14default_configENS1_25partition_config_selectorILNS1_17partition_subalgoE6EtNS0_10empty_typeEbEEZZNS1_14partition_implILS5_6ELb0ES3_mN6thrust23THRUST_200600_302600_NS6detail15normal_iteratorINSA_10device_ptrItEEEEPS6_SG_NS0_5tupleIJSF_S6_EEENSH_IJSG_SG_EEES6_PlJNSB_9not_fun_tINSB_10functional5actorINSM_9compositeIJNSM_27transparent_binary_operatorINSA_8equal_toIvEEEENSN_INSM_8argumentILj0EEEEENSM_5valueItEEEEEEEEEEEE10hipError_tPvRmT3_T4_T5_T6_T7_T9_mT8_P12ihipStream_tbDpT10_ENKUlT_T0_E_clISt17integral_constantIbLb1EES1K_EEDaS1F_S1G_EUlS1F_E_NS1_11comp_targetILNS1_3genE4ELNS1_11target_archE910ELNS1_3gpuE8ELNS1_3repE0EEENS1_30default_config_static_selectorELNS0_4arch9wavefront6targetE0EEEvT1_.uses_flat_scratch, 0
	.set _ZN7rocprim17ROCPRIM_400000_NS6detail17trampoline_kernelINS0_14default_configENS1_25partition_config_selectorILNS1_17partition_subalgoE6EtNS0_10empty_typeEbEEZZNS1_14partition_implILS5_6ELb0ES3_mN6thrust23THRUST_200600_302600_NS6detail15normal_iteratorINSA_10device_ptrItEEEEPS6_SG_NS0_5tupleIJSF_S6_EEENSH_IJSG_SG_EEES6_PlJNSB_9not_fun_tINSB_10functional5actorINSM_9compositeIJNSM_27transparent_binary_operatorINSA_8equal_toIvEEEENSN_INSM_8argumentILj0EEEEENSM_5valueItEEEEEEEEEEEE10hipError_tPvRmT3_T4_T5_T6_T7_T9_mT8_P12ihipStream_tbDpT10_ENKUlT_T0_E_clISt17integral_constantIbLb1EES1K_EEDaS1F_S1G_EUlS1F_E_NS1_11comp_targetILNS1_3genE4ELNS1_11target_archE910ELNS1_3gpuE8ELNS1_3repE0EEENS1_30default_config_static_selectorELNS0_4arch9wavefront6targetE0EEEvT1_.has_dyn_sized_stack, 0
	.set _ZN7rocprim17ROCPRIM_400000_NS6detail17trampoline_kernelINS0_14default_configENS1_25partition_config_selectorILNS1_17partition_subalgoE6EtNS0_10empty_typeEbEEZZNS1_14partition_implILS5_6ELb0ES3_mN6thrust23THRUST_200600_302600_NS6detail15normal_iteratorINSA_10device_ptrItEEEEPS6_SG_NS0_5tupleIJSF_S6_EEENSH_IJSG_SG_EEES6_PlJNSB_9not_fun_tINSB_10functional5actorINSM_9compositeIJNSM_27transparent_binary_operatorINSA_8equal_toIvEEEENSN_INSM_8argumentILj0EEEEENSM_5valueItEEEEEEEEEEEE10hipError_tPvRmT3_T4_T5_T6_T7_T9_mT8_P12ihipStream_tbDpT10_ENKUlT_T0_E_clISt17integral_constantIbLb1EES1K_EEDaS1F_S1G_EUlS1F_E_NS1_11comp_targetILNS1_3genE4ELNS1_11target_archE910ELNS1_3gpuE8ELNS1_3repE0EEENS1_30default_config_static_selectorELNS0_4arch9wavefront6targetE0EEEvT1_.has_recursion, 0
	.set _ZN7rocprim17ROCPRIM_400000_NS6detail17trampoline_kernelINS0_14default_configENS1_25partition_config_selectorILNS1_17partition_subalgoE6EtNS0_10empty_typeEbEEZZNS1_14partition_implILS5_6ELb0ES3_mN6thrust23THRUST_200600_302600_NS6detail15normal_iteratorINSA_10device_ptrItEEEEPS6_SG_NS0_5tupleIJSF_S6_EEENSH_IJSG_SG_EEES6_PlJNSB_9not_fun_tINSB_10functional5actorINSM_9compositeIJNSM_27transparent_binary_operatorINSA_8equal_toIvEEEENSN_INSM_8argumentILj0EEEEENSM_5valueItEEEEEEEEEEEE10hipError_tPvRmT3_T4_T5_T6_T7_T9_mT8_P12ihipStream_tbDpT10_ENKUlT_T0_E_clISt17integral_constantIbLb1EES1K_EEDaS1F_S1G_EUlS1F_E_NS1_11comp_targetILNS1_3genE4ELNS1_11target_archE910ELNS1_3gpuE8ELNS1_3repE0EEENS1_30default_config_static_selectorELNS0_4arch9wavefront6targetE0EEEvT1_.has_indirect_call, 0
	.section	.AMDGPU.csdata,"",@progbits
; Kernel info:
; codeLenInByte = 0
; TotalNumSgprs: 0
; NumVgprs: 0
; ScratchSize: 0
; MemoryBound: 0
; FloatMode: 240
; IeeeMode: 1
; LDSByteSize: 0 bytes/workgroup (compile time only)
; SGPRBlocks: 0
; VGPRBlocks: 0
; NumSGPRsForWavesPerEU: 1
; NumVGPRsForWavesPerEU: 1
; Occupancy: 16
; WaveLimiterHint : 0
; COMPUTE_PGM_RSRC2:SCRATCH_EN: 0
; COMPUTE_PGM_RSRC2:USER_SGPR: 2
; COMPUTE_PGM_RSRC2:TRAP_HANDLER: 0
; COMPUTE_PGM_RSRC2:TGID_X_EN: 1
; COMPUTE_PGM_RSRC2:TGID_Y_EN: 0
; COMPUTE_PGM_RSRC2:TGID_Z_EN: 0
; COMPUTE_PGM_RSRC2:TIDIG_COMP_CNT: 0
	.section	.text._ZN7rocprim17ROCPRIM_400000_NS6detail17trampoline_kernelINS0_14default_configENS1_25partition_config_selectorILNS1_17partition_subalgoE6EtNS0_10empty_typeEbEEZZNS1_14partition_implILS5_6ELb0ES3_mN6thrust23THRUST_200600_302600_NS6detail15normal_iteratorINSA_10device_ptrItEEEEPS6_SG_NS0_5tupleIJSF_S6_EEENSH_IJSG_SG_EEES6_PlJNSB_9not_fun_tINSB_10functional5actorINSM_9compositeIJNSM_27transparent_binary_operatorINSA_8equal_toIvEEEENSN_INSM_8argumentILj0EEEEENSM_5valueItEEEEEEEEEEEE10hipError_tPvRmT3_T4_T5_T6_T7_T9_mT8_P12ihipStream_tbDpT10_ENKUlT_T0_E_clISt17integral_constantIbLb1EES1K_EEDaS1F_S1G_EUlS1F_E_NS1_11comp_targetILNS1_3genE3ELNS1_11target_archE908ELNS1_3gpuE7ELNS1_3repE0EEENS1_30default_config_static_selectorELNS0_4arch9wavefront6targetE0EEEvT1_,"axG",@progbits,_ZN7rocprim17ROCPRIM_400000_NS6detail17trampoline_kernelINS0_14default_configENS1_25partition_config_selectorILNS1_17partition_subalgoE6EtNS0_10empty_typeEbEEZZNS1_14partition_implILS5_6ELb0ES3_mN6thrust23THRUST_200600_302600_NS6detail15normal_iteratorINSA_10device_ptrItEEEEPS6_SG_NS0_5tupleIJSF_S6_EEENSH_IJSG_SG_EEES6_PlJNSB_9not_fun_tINSB_10functional5actorINSM_9compositeIJNSM_27transparent_binary_operatorINSA_8equal_toIvEEEENSN_INSM_8argumentILj0EEEEENSM_5valueItEEEEEEEEEEEE10hipError_tPvRmT3_T4_T5_T6_T7_T9_mT8_P12ihipStream_tbDpT10_ENKUlT_T0_E_clISt17integral_constantIbLb1EES1K_EEDaS1F_S1G_EUlS1F_E_NS1_11comp_targetILNS1_3genE3ELNS1_11target_archE908ELNS1_3gpuE7ELNS1_3repE0EEENS1_30default_config_static_selectorELNS0_4arch9wavefront6targetE0EEEvT1_,comdat
	.protected	_ZN7rocprim17ROCPRIM_400000_NS6detail17trampoline_kernelINS0_14default_configENS1_25partition_config_selectorILNS1_17partition_subalgoE6EtNS0_10empty_typeEbEEZZNS1_14partition_implILS5_6ELb0ES3_mN6thrust23THRUST_200600_302600_NS6detail15normal_iteratorINSA_10device_ptrItEEEEPS6_SG_NS0_5tupleIJSF_S6_EEENSH_IJSG_SG_EEES6_PlJNSB_9not_fun_tINSB_10functional5actorINSM_9compositeIJNSM_27transparent_binary_operatorINSA_8equal_toIvEEEENSN_INSM_8argumentILj0EEEEENSM_5valueItEEEEEEEEEEEE10hipError_tPvRmT3_T4_T5_T6_T7_T9_mT8_P12ihipStream_tbDpT10_ENKUlT_T0_E_clISt17integral_constantIbLb1EES1K_EEDaS1F_S1G_EUlS1F_E_NS1_11comp_targetILNS1_3genE3ELNS1_11target_archE908ELNS1_3gpuE7ELNS1_3repE0EEENS1_30default_config_static_selectorELNS0_4arch9wavefront6targetE0EEEvT1_ ; -- Begin function _ZN7rocprim17ROCPRIM_400000_NS6detail17trampoline_kernelINS0_14default_configENS1_25partition_config_selectorILNS1_17partition_subalgoE6EtNS0_10empty_typeEbEEZZNS1_14partition_implILS5_6ELb0ES3_mN6thrust23THRUST_200600_302600_NS6detail15normal_iteratorINSA_10device_ptrItEEEEPS6_SG_NS0_5tupleIJSF_S6_EEENSH_IJSG_SG_EEES6_PlJNSB_9not_fun_tINSB_10functional5actorINSM_9compositeIJNSM_27transparent_binary_operatorINSA_8equal_toIvEEEENSN_INSM_8argumentILj0EEEEENSM_5valueItEEEEEEEEEEEE10hipError_tPvRmT3_T4_T5_T6_T7_T9_mT8_P12ihipStream_tbDpT10_ENKUlT_T0_E_clISt17integral_constantIbLb1EES1K_EEDaS1F_S1G_EUlS1F_E_NS1_11comp_targetILNS1_3genE3ELNS1_11target_archE908ELNS1_3gpuE7ELNS1_3repE0EEENS1_30default_config_static_selectorELNS0_4arch9wavefront6targetE0EEEvT1_
	.globl	_ZN7rocprim17ROCPRIM_400000_NS6detail17trampoline_kernelINS0_14default_configENS1_25partition_config_selectorILNS1_17partition_subalgoE6EtNS0_10empty_typeEbEEZZNS1_14partition_implILS5_6ELb0ES3_mN6thrust23THRUST_200600_302600_NS6detail15normal_iteratorINSA_10device_ptrItEEEEPS6_SG_NS0_5tupleIJSF_S6_EEENSH_IJSG_SG_EEES6_PlJNSB_9not_fun_tINSB_10functional5actorINSM_9compositeIJNSM_27transparent_binary_operatorINSA_8equal_toIvEEEENSN_INSM_8argumentILj0EEEEENSM_5valueItEEEEEEEEEEEE10hipError_tPvRmT3_T4_T5_T6_T7_T9_mT8_P12ihipStream_tbDpT10_ENKUlT_T0_E_clISt17integral_constantIbLb1EES1K_EEDaS1F_S1G_EUlS1F_E_NS1_11comp_targetILNS1_3genE3ELNS1_11target_archE908ELNS1_3gpuE7ELNS1_3repE0EEENS1_30default_config_static_selectorELNS0_4arch9wavefront6targetE0EEEvT1_
	.p2align	8
	.type	_ZN7rocprim17ROCPRIM_400000_NS6detail17trampoline_kernelINS0_14default_configENS1_25partition_config_selectorILNS1_17partition_subalgoE6EtNS0_10empty_typeEbEEZZNS1_14partition_implILS5_6ELb0ES3_mN6thrust23THRUST_200600_302600_NS6detail15normal_iteratorINSA_10device_ptrItEEEEPS6_SG_NS0_5tupleIJSF_S6_EEENSH_IJSG_SG_EEES6_PlJNSB_9not_fun_tINSB_10functional5actorINSM_9compositeIJNSM_27transparent_binary_operatorINSA_8equal_toIvEEEENSN_INSM_8argumentILj0EEEEENSM_5valueItEEEEEEEEEEEE10hipError_tPvRmT3_T4_T5_T6_T7_T9_mT8_P12ihipStream_tbDpT10_ENKUlT_T0_E_clISt17integral_constantIbLb1EES1K_EEDaS1F_S1G_EUlS1F_E_NS1_11comp_targetILNS1_3genE3ELNS1_11target_archE908ELNS1_3gpuE7ELNS1_3repE0EEENS1_30default_config_static_selectorELNS0_4arch9wavefront6targetE0EEEvT1_,@function
_ZN7rocprim17ROCPRIM_400000_NS6detail17trampoline_kernelINS0_14default_configENS1_25partition_config_selectorILNS1_17partition_subalgoE6EtNS0_10empty_typeEbEEZZNS1_14partition_implILS5_6ELb0ES3_mN6thrust23THRUST_200600_302600_NS6detail15normal_iteratorINSA_10device_ptrItEEEEPS6_SG_NS0_5tupleIJSF_S6_EEENSH_IJSG_SG_EEES6_PlJNSB_9not_fun_tINSB_10functional5actorINSM_9compositeIJNSM_27transparent_binary_operatorINSA_8equal_toIvEEEENSN_INSM_8argumentILj0EEEEENSM_5valueItEEEEEEEEEEEE10hipError_tPvRmT3_T4_T5_T6_T7_T9_mT8_P12ihipStream_tbDpT10_ENKUlT_T0_E_clISt17integral_constantIbLb1EES1K_EEDaS1F_S1G_EUlS1F_E_NS1_11comp_targetILNS1_3genE3ELNS1_11target_archE908ELNS1_3gpuE7ELNS1_3repE0EEENS1_30default_config_static_selectorELNS0_4arch9wavefront6targetE0EEEvT1_: ; @_ZN7rocprim17ROCPRIM_400000_NS6detail17trampoline_kernelINS0_14default_configENS1_25partition_config_selectorILNS1_17partition_subalgoE6EtNS0_10empty_typeEbEEZZNS1_14partition_implILS5_6ELb0ES3_mN6thrust23THRUST_200600_302600_NS6detail15normal_iteratorINSA_10device_ptrItEEEEPS6_SG_NS0_5tupleIJSF_S6_EEENSH_IJSG_SG_EEES6_PlJNSB_9not_fun_tINSB_10functional5actorINSM_9compositeIJNSM_27transparent_binary_operatorINSA_8equal_toIvEEEENSN_INSM_8argumentILj0EEEEENSM_5valueItEEEEEEEEEEEE10hipError_tPvRmT3_T4_T5_T6_T7_T9_mT8_P12ihipStream_tbDpT10_ENKUlT_T0_E_clISt17integral_constantIbLb1EES1K_EEDaS1F_S1G_EUlS1F_E_NS1_11comp_targetILNS1_3genE3ELNS1_11target_archE908ELNS1_3gpuE7ELNS1_3repE0EEENS1_30default_config_static_selectorELNS0_4arch9wavefront6targetE0EEEvT1_
; %bb.0:
	.section	.rodata,"a",@progbits
	.p2align	6, 0x0
	.amdhsa_kernel _ZN7rocprim17ROCPRIM_400000_NS6detail17trampoline_kernelINS0_14default_configENS1_25partition_config_selectorILNS1_17partition_subalgoE6EtNS0_10empty_typeEbEEZZNS1_14partition_implILS5_6ELb0ES3_mN6thrust23THRUST_200600_302600_NS6detail15normal_iteratorINSA_10device_ptrItEEEEPS6_SG_NS0_5tupleIJSF_S6_EEENSH_IJSG_SG_EEES6_PlJNSB_9not_fun_tINSB_10functional5actorINSM_9compositeIJNSM_27transparent_binary_operatorINSA_8equal_toIvEEEENSN_INSM_8argumentILj0EEEEENSM_5valueItEEEEEEEEEEEE10hipError_tPvRmT3_T4_T5_T6_T7_T9_mT8_P12ihipStream_tbDpT10_ENKUlT_T0_E_clISt17integral_constantIbLb1EES1K_EEDaS1F_S1G_EUlS1F_E_NS1_11comp_targetILNS1_3genE3ELNS1_11target_archE908ELNS1_3gpuE7ELNS1_3repE0EEENS1_30default_config_static_selectorELNS0_4arch9wavefront6targetE0EEEvT1_
		.amdhsa_group_segment_fixed_size 0
		.amdhsa_private_segment_fixed_size 0
		.amdhsa_kernarg_size 128
		.amdhsa_user_sgpr_count 2
		.amdhsa_user_sgpr_dispatch_ptr 0
		.amdhsa_user_sgpr_queue_ptr 0
		.amdhsa_user_sgpr_kernarg_segment_ptr 1
		.amdhsa_user_sgpr_dispatch_id 0
		.amdhsa_user_sgpr_private_segment_size 0
		.amdhsa_wavefront_size32 1
		.amdhsa_uses_dynamic_stack 0
		.amdhsa_enable_private_segment 0
		.amdhsa_system_sgpr_workgroup_id_x 1
		.amdhsa_system_sgpr_workgroup_id_y 0
		.amdhsa_system_sgpr_workgroup_id_z 0
		.amdhsa_system_sgpr_workgroup_info 0
		.amdhsa_system_vgpr_workitem_id 0
		.amdhsa_next_free_vgpr 1
		.amdhsa_next_free_sgpr 1
		.amdhsa_reserve_vcc 0
		.amdhsa_float_round_mode_32 0
		.amdhsa_float_round_mode_16_64 0
		.amdhsa_float_denorm_mode_32 3
		.amdhsa_float_denorm_mode_16_64 3
		.amdhsa_fp16_overflow 0
		.amdhsa_workgroup_processor_mode 1
		.amdhsa_memory_ordered 1
		.amdhsa_forward_progress 1
		.amdhsa_inst_pref_size 0
		.amdhsa_round_robin_scheduling 0
		.amdhsa_exception_fp_ieee_invalid_op 0
		.amdhsa_exception_fp_denorm_src 0
		.amdhsa_exception_fp_ieee_div_zero 0
		.amdhsa_exception_fp_ieee_overflow 0
		.amdhsa_exception_fp_ieee_underflow 0
		.amdhsa_exception_fp_ieee_inexact 0
		.amdhsa_exception_int_div_zero 0
	.end_amdhsa_kernel
	.section	.text._ZN7rocprim17ROCPRIM_400000_NS6detail17trampoline_kernelINS0_14default_configENS1_25partition_config_selectorILNS1_17partition_subalgoE6EtNS0_10empty_typeEbEEZZNS1_14partition_implILS5_6ELb0ES3_mN6thrust23THRUST_200600_302600_NS6detail15normal_iteratorINSA_10device_ptrItEEEEPS6_SG_NS0_5tupleIJSF_S6_EEENSH_IJSG_SG_EEES6_PlJNSB_9not_fun_tINSB_10functional5actorINSM_9compositeIJNSM_27transparent_binary_operatorINSA_8equal_toIvEEEENSN_INSM_8argumentILj0EEEEENSM_5valueItEEEEEEEEEEEE10hipError_tPvRmT3_T4_T5_T6_T7_T9_mT8_P12ihipStream_tbDpT10_ENKUlT_T0_E_clISt17integral_constantIbLb1EES1K_EEDaS1F_S1G_EUlS1F_E_NS1_11comp_targetILNS1_3genE3ELNS1_11target_archE908ELNS1_3gpuE7ELNS1_3repE0EEENS1_30default_config_static_selectorELNS0_4arch9wavefront6targetE0EEEvT1_,"axG",@progbits,_ZN7rocprim17ROCPRIM_400000_NS6detail17trampoline_kernelINS0_14default_configENS1_25partition_config_selectorILNS1_17partition_subalgoE6EtNS0_10empty_typeEbEEZZNS1_14partition_implILS5_6ELb0ES3_mN6thrust23THRUST_200600_302600_NS6detail15normal_iteratorINSA_10device_ptrItEEEEPS6_SG_NS0_5tupleIJSF_S6_EEENSH_IJSG_SG_EEES6_PlJNSB_9not_fun_tINSB_10functional5actorINSM_9compositeIJNSM_27transparent_binary_operatorINSA_8equal_toIvEEEENSN_INSM_8argumentILj0EEEEENSM_5valueItEEEEEEEEEEEE10hipError_tPvRmT3_T4_T5_T6_T7_T9_mT8_P12ihipStream_tbDpT10_ENKUlT_T0_E_clISt17integral_constantIbLb1EES1K_EEDaS1F_S1G_EUlS1F_E_NS1_11comp_targetILNS1_3genE3ELNS1_11target_archE908ELNS1_3gpuE7ELNS1_3repE0EEENS1_30default_config_static_selectorELNS0_4arch9wavefront6targetE0EEEvT1_,comdat
.Lfunc_end157:
	.size	_ZN7rocprim17ROCPRIM_400000_NS6detail17trampoline_kernelINS0_14default_configENS1_25partition_config_selectorILNS1_17partition_subalgoE6EtNS0_10empty_typeEbEEZZNS1_14partition_implILS5_6ELb0ES3_mN6thrust23THRUST_200600_302600_NS6detail15normal_iteratorINSA_10device_ptrItEEEEPS6_SG_NS0_5tupleIJSF_S6_EEENSH_IJSG_SG_EEES6_PlJNSB_9not_fun_tINSB_10functional5actorINSM_9compositeIJNSM_27transparent_binary_operatorINSA_8equal_toIvEEEENSN_INSM_8argumentILj0EEEEENSM_5valueItEEEEEEEEEEEE10hipError_tPvRmT3_T4_T5_T6_T7_T9_mT8_P12ihipStream_tbDpT10_ENKUlT_T0_E_clISt17integral_constantIbLb1EES1K_EEDaS1F_S1G_EUlS1F_E_NS1_11comp_targetILNS1_3genE3ELNS1_11target_archE908ELNS1_3gpuE7ELNS1_3repE0EEENS1_30default_config_static_selectorELNS0_4arch9wavefront6targetE0EEEvT1_, .Lfunc_end157-_ZN7rocprim17ROCPRIM_400000_NS6detail17trampoline_kernelINS0_14default_configENS1_25partition_config_selectorILNS1_17partition_subalgoE6EtNS0_10empty_typeEbEEZZNS1_14partition_implILS5_6ELb0ES3_mN6thrust23THRUST_200600_302600_NS6detail15normal_iteratorINSA_10device_ptrItEEEEPS6_SG_NS0_5tupleIJSF_S6_EEENSH_IJSG_SG_EEES6_PlJNSB_9not_fun_tINSB_10functional5actorINSM_9compositeIJNSM_27transparent_binary_operatorINSA_8equal_toIvEEEENSN_INSM_8argumentILj0EEEEENSM_5valueItEEEEEEEEEEEE10hipError_tPvRmT3_T4_T5_T6_T7_T9_mT8_P12ihipStream_tbDpT10_ENKUlT_T0_E_clISt17integral_constantIbLb1EES1K_EEDaS1F_S1G_EUlS1F_E_NS1_11comp_targetILNS1_3genE3ELNS1_11target_archE908ELNS1_3gpuE7ELNS1_3repE0EEENS1_30default_config_static_selectorELNS0_4arch9wavefront6targetE0EEEvT1_
                                        ; -- End function
	.set _ZN7rocprim17ROCPRIM_400000_NS6detail17trampoline_kernelINS0_14default_configENS1_25partition_config_selectorILNS1_17partition_subalgoE6EtNS0_10empty_typeEbEEZZNS1_14partition_implILS5_6ELb0ES3_mN6thrust23THRUST_200600_302600_NS6detail15normal_iteratorINSA_10device_ptrItEEEEPS6_SG_NS0_5tupleIJSF_S6_EEENSH_IJSG_SG_EEES6_PlJNSB_9not_fun_tINSB_10functional5actorINSM_9compositeIJNSM_27transparent_binary_operatorINSA_8equal_toIvEEEENSN_INSM_8argumentILj0EEEEENSM_5valueItEEEEEEEEEEEE10hipError_tPvRmT3_T4_T5_T6_T7_T9_mT8_P12ihipStream_tbDpT10_ENKUlT_T0_E_clISt17integral_constantIbLb1EES1K_EEDaS1F_S1G_EUlS1F_E_NS1_11comp_targetILNS1_3genE3ELNS1_11target_archE908ELNS1_3gpuE7ELNS1_3repE0EEENS1_30default_config_static_selectorELNS0_4arch9wavefront6targetE0EEEvT1_.num_vgpr, 0
	.set _ZN7rocprim17ROCPRIM_400000_NS6detail17trampoline_kernelINS0_14default_configENS1_25partition_config_selectorILNS1_17partition_subalgoE6EtNS0_10empty_typeEbEEZZNS1_14partition_implILS5_6ELb0ES3_mN6thrust23THRUST_200600_302600_NS6detail15normal_iteratorINSA_10device_ptrItEEEEPS6_SG_NS0_5tupleIJSF_S6_EEENSH_IJSG_SG_EEES6_PlJNSB_9not_fun_tINSB_10functional5actorINSM_9compositeIJNSM_27transparent_binary_operatorINSA_8equal_toIvEEEENSN_INSM_8argumentILj0EEEEENSM_5valueItEEEEEEEEEEEE10hipError_tPvRmT3_T4_T5_T6_T7_T9_mT8_P12ihipStream_tbDpT10_ENKUlT_T0_E_clISt17integral_constantIbLb1EES1K_EEDaS1F_S1G_EUlS1F_E_NS1_11comp_targetILNS1_3genE3ELNS1_11target_archE908ELNS1_3gpuE7ELNS1_3repE0EEENS1_30default_config_static_selectorELNS0_4arch9wavefront6targetE0EEEvT1_.num_agpr, 0
	.set _ZN7rocprim17ROCPRIM_400000_NS6detail17trampoline_kernelINS0_14default_configENS1_25partition_config_selectorILNS1_17partition_subalgoE6EtNS0_10empty_typeEbEEZZNS1_14partition_implILS5_6ELb0ES3_mN6thrust23THRUST_200600_302600_NS6detail15normal_iteratorINSA_10device_ptrItEEEEPS6_SG_NS0_5tupleIJSF_S6_EEENSH_IJSG_SG_EEES6_PlJNSB_9not_fun_tINSB_10functional5actorINSM_9compositeIJNSM_27transparent_binary_operatorINSA_8equal_toIvEEEENSN_INSM_8argumentILj0EEEEENSM_5valueItEEEEEEEEEEEE10hipError_tPvRmT3_T4_T5_T6_T7_T9_mT8_P12ihipStream_tbDpT10_ENKUlT_T0_E_clISt17integral_constantIbLb1EES1K_EEDaS1F_S1G_EUlS1F_E_NS1_11comp_targetILNS1_3genE3ELNS1_11target_archE908ELNS1_3gpuE7ELNS1_3repE0EEENS1_30default_config_static_selectorELNS0_4arch9wavefront6targetE0EEEvT1_.numbered_sgpr, 0
	.set _ZN7rocprim17ROCPRIM_400000_NS6detail17trampoline_kernelINS0_14default_configENS1_25partition_config_selectorILNS1_17partition_subalgoE6EtNS0_10empty_typeEbEEZZNS1_14partition_implILS5_6ELb0ES3_mN6thrust23THRUST_200600_302600_NS6detail15normal_iteratorINSA_10device_ptrItEEEEPS6_SG_NS0_5tupleIJSF_S6_EEENSH_IJSG_SG_EEES6_PlJNSB_9not_fun_tINSB_10functional5actorINSM_9compositeIJNSM_27transparent_binary_operatorINSA_8equal_toIvEEEENSN_INSM_8argumentILj0EEEEENSM_5valueItEEEEEEEEEEEE10hipError_tPvRmT3_T4_T5_T6_T7_T9_mT8_P12ihipStream_tbDpT10_ENKUlT_T0_E_clISt17integral_constantIbLb1EES1K_EEDaS1F_S1G_EUlS1F_E_NS1_11comp_targetILNS1_3genE3ELNS1_11target_archE908ELNS1_3gpuE7ELNS1_3repE0EEENS1_30default_config_static_selectorELNS0_4arch9wavefront6targetE0EEEvT1_.num_named_barrier, 0
	.set _ZN7rocprim17ROCPRIM_400000_NS6detail17trampoline_kernelINS0_14default_configENS1_25partition_config_selectorILNS1_17partition_subalgoE6EtNS0_10empty_typeEbEEZZNS1_14partition_implILS5_6ELb0ES3_mN6thrust23THRUST_200600_302600_NS6detail15normal_iteratorINSA_10device_ptrItEEEEPS6_SG_NS0_5tupleIJSF_S6_EEENSH_IJSG_SG_EEES6_PlJNSB_9not_fun_tINSB_10functional5actorINSM_9compositeIJNSM_27transparent_binary_operatorINSA_8equal_toIvEEEENSN_INSM_8argumentILj0EEEEENSM_5valueItEEEEEEEEEEEE10hipError_tPvRmT3_T4_T5_T6_T7_T9_mT8_P12ihipStream_tbDpT10_ENKUlT_T0_E_clISt17integral_constantIbLb1EES1K_EEDaS1F_S1G_EUlS1F_E_NS1_11comp_targetILNS1_3genE3ELNS1_11target_archE908ELNS1_3gpuE7ELNS1_3repE0EEENS1_30default_config_static_selectorELNS0_4arch9wavefront6targetE0EEEvT1_.private_seg_size, 0
	.set _ZN7rocprim17ROCPRIM_400000_NS6detail17trampoline_kernelINS0_14default_configENS1_25partition_config_selectorILNS1_17partition_subalgoE6EtNS0_10empty_typeEbEEZZNS1_14partition_implILS5_6ELb0ES3_mN6thrust23THRUST_200600_302600_NS6detail15normal_iteratorINSA_10device_ptrItEEEEPS6_SG_NS0_5tupleIJSF_S6_EEENSH_IJSG_SG_EEES6_PlJNSB_9not_fun_tINSB_10functional5actorINSM_9compositeIJNSM_27transparent_binary_operatorINSA_8equal_toIvEEEENSN_INSM_8argumentILj0EEEEENSM_5valueItEEEEEEEEEEEE10hipError_tPvRmT3_T4_T5_T6_T7_T9_mT8_P12ihipStream_tbDpT10_ENKUlT_T0_E_clISt17integral_constantIbLb1EES1K_EEDaS1F_S1G_EUlS1F_E_NS1_11comp_targetILNS1_3genE3ELNS1_11target_archE908ELNS1_3gpuE7ELNS1_3repE0EEENS1_30default_config_static_selectorELNS0_4arch9wavefront6targetE0EEEvT1_.uses_vcc, 0
	.set _ZN7rocprim17ROCPRIM_400000_NS6detail17trampoline_kernelINS0_14default_configENS1_25partition_config_selectorILNS1_17partition_subalgoE6EtNS0_10empty_typeEbEEZZNS1_14partition_implILS5_6ELb0ES3_mN6thrust23THRUST_200600_302600_NS6detail15normal_iteratorINSA_10device_ptrItEEEEPS6_SG_NS0_5tupleIJSF_S6_EEENSH_IJSG_SG_EEES6_PlJNSB_9not_fun_tINSB_10functional5actorINSM_9compositeIJNSM_27transparent_binary_operatorINSA_8equal_toIvEEEENSN_INSM_8argumentILj0EEEEENSM_5valueItEEEEEEEEEEEE10hipError_tPvRmT3_T4_T5_T6_T7_T9_mT8_P12ihipStream_tbDpT10_ENKUlT_T0_E_clISt17integral_constantIbLb1EES1K_EEDaS1F_S1G_EUlS1F_E_NS1_11comp_targetILNS1_3genE3ELNS1_11target_archE908ELNS1_3gpuE7ELNS1_3repE0EEENS1_30default_config_static_selectorELNS0_4arch9wavefront6targetE0EEEvT1_.uses_flat_scratch, 0
	.set _ZN7rocprim17ROCPRIM_400000_NS6detail17trampoline_kernelINS0_14default_configENS1_25partition_config_selectorILNS1_17partition_subalgoE6EtNS0_10empty_typeEbEEZZNS1_14partition_implILS5_6ELb0ES3_mN6thrust23THRUST_200600_302600_NS6detail15normal_iteratorINSA_10device_ptrItEEEEPS6_SG_NS0_5tupleIJSF_S6_EEENSH_IJSG_SG_EEES6_PlJNSB_9not_fun_tINSB_10functional5actorINSM_9compositeIJNSM_27transparent_binary_operatorINSA_8equal_toIvEEEENSN_INSM_8argumentILj0EEEEENSM_5valueItEEEEEEEEEEEE10hipError_tPvRmT3_T4_T5_T6_T7_T9_mT8_P12ihipStream_tbDpT10_ENKUlT_T0_E_clISt17integral_constantIbLb1EES1K_EEDaS1F_S1G_EUlS1F_E_NS1_11comp_targetILNS1_3genE3ELNS1_11target_archE908ELNS1_3gpuE7ELNS1_3repE0EEENS1_30default_config_static_selectorELNS0_4arch9wavefront6targetE0EEEvT1_.has_dyn_sized_stack, 0
	.set _ZN7rocprim17ROCPRIM_400000_NS6detail17trampoline_kernelINS0_14default_configENS1_25partition_config_selectorILNS1_17partition_subalgoE6EtNS0_10empty_typeEbEEZZNS1_14partition_implILS5_6ELb0ES3_mN6thrust23THRUST_200600_302600_NS6detail15normal_iteratorINSA_10device_ptrItEEEEPS6_SG_NS0_5tupleIJSF_S6_EEENSH_IJSG_SG_EEES6_PlJNSB_9not_fun_tINSB_10functional5actorINSM_9compositeIJNSM_27transparent_binary_operatorINSA_8equal_toIvEEEENSN_INSM_8argumentILj0EEEEENSM_5valueItEEEEEEEEEEEE10hipError_tPvRmT3_T4_T5_T6_T7_T9_mT8_P12ihipStream_tbDpT10_ENKUlT_T0_E_clISt17integral_constantIbLb1EES1K_EEDaS1F_S1G_EUlS1F_E_NS1_11comp_targetILNS1_3genE3ELNS1_11target_archE908ELNS1_3gpuE7ELNS1_3repE0EEENS1_30default_config_static_selectorELNS0_4arch9wavefront6targetE0EEEvT1_.has_recursion, 0
	.set _ZN7rocprim17ROCPRIM_400000_NS6detail17trampoline_kernelINS0_14default_configENS1_25partition_config_selectorILNS1_17partition_subalgoE6EtNS0_10empty_typeEbEEZZNS1_14partition_implILS5_6ELb0ES3_mN6thrust23THRUST_200600_302600_NS6detail15normal_iteratorINSA_10device_ptrItEEEEPS6_SG_NS0_5tupleIJSF_S6_EEENSH_IJSG_SG_EEES6_PlJNSB_9not_fun_tINSB_10functional5actorINSM_9compositeIJNSM_27transparent_binary_operatorINSA_8equal_toIvEEEENSN_INSM_8argumentILj0EEEEENSM_5valueItEEEEEEEEEEEE10hipError_tPvRmT3_T4_T5_T6_T7_T9_mT8_P12ihipStream_tbDpT10_ENKUlT_T0_E_clISt17integral_constantIbLb1EES1K_EEDaS1F_S1G_EUlS1F_E_NS1_11comp_targetILNS1_3genE3ELNS1_11target_archE908ELNS1_3gpuE7ELNS1_3repE0EEENS1_30default_config_static_selectorELNS0_4arch9wavefront6targetE0EEEvT1_.has_indirect_call, 0
	.section	.AMDGPU.csdata,"",@progbits
; Kernel info:
; codeLenInByte = 0
; TotalNumSgprs: 0
; NumVgprs: 0
; ScratchSize: 0
; MemoryBound: 0
; FloatMode: 240
; IeeeMode: 1
; LDSByteSize: 0 bytes/workgroup (compile time only)
; SGPRBlocks: 0
; VGPRBlocks: 0
; NumSGPRsForWavesPerEU: 1
; NumVGPRsForWavesPerEU: 1
; Occupancy: 16
; WaveLimiterHint : 0
; COMPUTE_PGM_RSRC2:SCRATCH_EN: 0
; COMPUTE_PGM_RSRC2:USER_SGPR: 2
; COMPUTE_PGM_RSRC2:TRAP_HANDLER: 0
; COMPUTE_PGM_RSRC2:TGID_X_EN: 1
; COMPUTE_PGM_RSRC2:TGID_Y_EN: 0
; COMPUTE_PGM_RSRC2:TGID_Z_EN: 0
; COMPUTE_PGM_RSRC2:TIDIG_COMP_CNT: 0
	.section	.text._ZN7rocprim17ROCPRIM_400000_NS6detail17trampoline_kernelINS0_14default_configENS1_25partition_config_selectorILNS1_17partition_subalgoE6EtNS0_10empty_typeEbEEZZNS1_14partition_implILS5_6ELb0ES3_mN6thrust23THRUST_200600_302600_NS6detail15normal_iteratorINSA_10device_ptrItEEEEPS6_SG_NS0_5tupleIJSF_S6_EEENSH_IJSG_SG_EEES6_PlJNSB_9not_fun_tINSB_10functional5actorINSM_9compositeIJNSM_27transparent_binary_operatorINSA_8equal_toIvEEEENSN_INSM_8argumentILj0EEEEENSM_5valueItEEEEEEEEEEEE10hipError_tPvRmT3_T4_T5_T6_T7_T9_mT8_P12ihipStream_tbDpT10_ENKUlT_T0_E_clISt17integral_constantIbLb1EES1K_EEDaS1F_S1G_EUlS1F_E_NS1_11comp_targetILNS1_3genE2ELNS1_11target_archE906ELNS1_3gpuE6ELNS1_3repE0EEENS1_30default_config_static_selectorELNS0_4arch9wavefront6targetE0EEEvT1_,"axG",@progbits,_ZN7rocprim17ROCPRIM_400000_NS6detail17trampoline_kernelINS0_14default_configENS1_25partition_config_selectorILNS1_17partition_subalgoE6EtNS0_10empty_typeEbEEZZNS1_14partition_implILS5_6ELb0ES3_mN6thrust23THRUST_200600_302600_NS6detail15normal_iteratorINSA_10device_ptrItEEEEPS6_SG_NS0_5tupleIJSF_S6_EEENSH_IJSG_SG_EEES6_PlJNSB_9not_fun_tINSB_10functional5actorINSM_9compositeIJNSM_27transparent_binary_operatorINSA_8equal_toIvEEEENSN_INSM_8argumentILj0EEEEENSM_5valueItEEEEEEEEEEEE10hipError_tPvRmT3_T4_T5_T6_T7_T9_mT8_P12ihipStream_tbDpT10_ENKUlT_T0_E_clISt17integral_constantIbLb1EES1K_EEDaS1F_S1G_EUlS1F_E_NS1_11comp_targetILNS1_3genE2ELNS1_11target_archE906ELNS1_3gpuE6ELNS1_3repE0EEENS1_30default_config_static_selectorELNS0_4arch9wavefront6targetE0EEEvT1_,comdat
	.protected	_ZN7rocprim17ROCPRIM_400000_NS6detail17trampoline_kernelINS0_14default_configENS1_25partition_config_selectorILNS1_17partition_subalgoE6EtNS0_10empty_typeEbEEZZNS1_14partition_implILS5_6ELb0ES3_mN6thrust23THRUST_200600_302600_NS6detail15normal_iteratorINSA_10device_ptrItEEEEPS6_SG_NS0_5tupleIJSF_S6_EEENSH_IJSG_SG_EEES6_PlJNSB_9not_fun_tINSB_10functional5actorINSM_9compositeIJNSM_27transparent_binary_operatorINSA_8equal_toIvEEEENSN_INSM_8argumentILj0EEEEENSM_5valueItEEEEEEEEEEEE10hipError_tPvRmT3_T4_T5_T6_T7_T9_mT8_P12ihipStream_tbDpT10_ENKUlT_T0_E_clISt17integral_constantIbLb1EES1K_EEDaS1F_S1G_EUlS1F_E_NS1_11comp_targetILNS1_3genE2ELNS1_11target_archE906ELNS1_3gpuE6ELNS1_3repE0EEENS1_30default_config_static_selectorELNS0_4arch9wavefront6targetE0EEEvT1_ ; -- Begin function _ZN7rocprim17ROCPRIM_400000_NS6detail17trampoline_kernelINS0_14default_configENS1_25partition_config_selectorILNS1_17partition_subalgoE6EtNS0_10empty_typeEbEEZZNS1_14partition_implILS5_6ELb0ES3_mN6thrust23THRUST_200600_302600_NS6detail15normal_iteratorINSA_10device_ptrItEEEEPS6_SG_NS0_5tupleIJSF_S6_EEENSH_IJSG_SG_EEES6_PlJNSB_9not_fun_tINSB_10functional5actorINSM_9compositeIJNSM_27transparent_binary_operatorINSA_8equal_toIvEEEENSN_INSM_8argumentILj0EEEEENSM_5valueItEEEEEEEEEEEE10hipError_tPvRmT3_T4_T5_T6_T7_T9_mT8_P12ihipStream_tbDpT10_ENKUlT_T0_E_clISt17integral_constantIbLb1EES1K_EEDaS1F_S1G_EUlS1F_E_NS1_11comp_targetILNS1_3genE2ELNS1_11target_archE906ELNS1_3gpuE6ELNS1_3repE0EEENS1_30default_config_static_selectorELNS0_4arch9wavefront6targetE0EEEvT1_
	.globl	_ZN7rocprim17ROCPRIM_400000_NS6detail17trampoline_kernelINS0_14default_configENS1_25partition_config_selectorILNS1_17partition_subalgoE6EtNS0_10empty_typeEbEEZZNS1_14partition_implILS5_6ELb0ES3_mN6thrust23THRUST_200600_302600_NS6detail15normal_iteratorINSA_10device_ptrItEEEEPS6_SG_NS0_5tupleIJSF_S6_EEENSH_IJSG_SG_EEES6_PlJNSB_9not_fun_tINSB_10functional5actorINSM_9compositeIJNSM_27transparent_binary_operatorINSA_8equal_toIvEEEENSN_INSM_8argumentILj0EEEEENSM_5valueItEEEEEEEEEEEE10hipError_tPvRmT3_T4_T5_T6_T7_T9_mT8_P12ihipStream_tbDpT10_ENKUlT_T0_E_clISt17integral_constantIbLb1EES1K_EEDaS1F_S1G_EUlS1F_E_NS1_11comp_targetILNS1_3genE2ELNS1_11target_archE906ELNS1_3gpuE6ELNS1_3repE0EEENS1_30default_config_static_selectorELNS0_4arch9wavefront6targetE0EEEvT1_
	.p2align	8
	.type	_ZN7rocprim17ROCPRIM_400000_NS6detail17trampoline_kernelINS0_14default_configENS1_25partition_config_selectorILNS1_17partition_subalgoE6EtNS0_10empty_typeEbEEZZNS1_14partition_implILS5_6ELb0ES3_mN6thrust23THRUST_200600_302600_NS6detail15normal_iteratorINSA_10device_ptrItEEEEPS6_SG_NS0_5tupleIJSF_S6_EEENSH_IJSG_SG_EEES6_PlJNSB_9not_fun_tINSB_10functional5actorINSM_9compositeIJNSM_27transparent_binary_operatorINSA_8equal_toIvEEEENSN_INSM_8argumentILj0EEEEENSM_5valueItEEEEEEEEEEEE10hipError_tPvRmT3_T4_T5_T6_T7_T9_mT8_P12ihipStream_tbDpT10_ENKUlT_T0_E_clISt17integral_constantIbLb1EES1K_EEDaS1F_S1G_EUlS1F_E_NS1_11comp_targetILNS1_3genE2ELNS1_11target_archE906ELNS1_3gpuE6ELNS1_3repE0EEENS1_30default_config_static_selectorELNS0_4arch9wavefront6targetE0EEEvT1_,@function
_ZN7rocprim17ROCPRIM_400000_NS6detail17trampoline_kernelINS0_14default_configENS1_25partition_config_selectorILNS1_17partition_subalgoE6EtNS0_10empty_typeEbEEZZNS1_14partition_implILS5_6ELb0ES3_mN6thrust23THRUST_200600_302600_NS6detail15normal_iteratorINSA_10device_ptrItEEEEPS6_SG_NS0_5tupleIJSF_S6_EEENSH_IJSG_SG_EEES6_PlJNSB_9not_fun_tINSB_10functional5actorINSM_9compositeIJNSM_27transparent_binary_operatorINSA_8equal_toIvEEEENSN_INSM_8argumentILj0EEEEENSM_5valueItEEEEEEEEEEEE10hipError_tPvRmT3_T4_T5_T6_T7_T9_mT8_P12ihipStream_tbDpT10_ENKUlT_T0_E_clISt17integral_constantIbLb1EES1K_EEDaS1F_S1G_EUlS1F_E_NS1_11comp_targetILNS1_3genE2ELNS1_11target_archE906ELNS1_3gpuE6ELNS1_3repE0EEENS1_30default_config_static_selectorELNS0_4arch9wavefront6targetE0EEEvT1_: ; @_ZN7rocprim17ROCPRIM_400000_NS6detail17trampoline_kernelINS0_14default_configENS1_25partition_config_selectorILNS1_17partition_subalgoE6EtNS0_10empty_typeEbEEZZNS1_14partition_implILS5_6ELb0ES3_mN6thrust23THRUST_200600_302600_NS6detail15normal_iteratorINSA_10device_ptrItEEEEPS6_SG_NS0_5tupleIJSF_S6_EEENSH_IJSG_SG_EEES6_PlJNSB_9not_fun_tINSB_10functional5actorINSM_9compositeIJNSM_27transparent_binary_operatorINSA_8equal_toIvEEEENSN_INSM_8argumentILj0EEEEENSM_5valueItEEEEEEEEEEEE10hipError_tPvRmT3_T4_T5_T6_T7_T9_mT8_P12ihipStream_tbDpT10_ENKUlT_T0_E_clISt17integral_constantIbLb1EES1K_EEDaS1F_S1G_EUlS1F_E_NS1_11comp_targetILNS1_3genE2ELNS1_11target_archE906ELNS1_3gpuE6ELNS1_3repE0EEENS1_30default_config_static_selectorELNS0_4arch9wavefront6targetE0EEEvT1_
; %bb.0:
	.section	.rodata,"a",@progbits
	.p2align	6, 0x0
	.amdhsa_kernel _ZN7rocprim17ROCPRIM_400000_NS6detail17trampoline_kernelINS0_14default_configENS1_25partition_config_selectorILNS1_17partition_subalgoE6EtNS0_10empty_typeEbEEZZNS1_14partition_implILS5_6ELb0ES3_mN6thrust23THRUST_200600_302600_NS6detail15normal_iteratorINSA_10device_ptrItEEEEPS6_SG_NS0_5tupleIJSF_S6_EEENSH_IJSG_SG_EEES6_PlJNSB_9not_fun_tINSB_10functional5actorINSM_9compositeIJNSM_27transparent_binary_operatorINSA_8equal_toIvEEEENSN_INSM_8argumentILj0EEEEENSM_5valueItEEEEEEEEEEEE10hipError_tPvRmT3_T4_T5_T6_T7_T9_mT8_P12ihipStream_tbDpT10_ENKUlT_T0_E_clISt17integral_constantIbLb1EES1K_EEDaS1F_S1G_EUlS1F_E_NS1_11comp_targetILNS1_3genE2ELNS1_11target_archE906ELNS1_3gpuE6ELNS1_3repE0EEENS1_30default_config_static_selectorELNS0_4arch9wavefront6targetE0EEEvT1_
		.amdhsa_group_segment_fixed_size 0
		.amdhsa_private_segment_fixed_size 0
		.amdhsa_kernarg_size 128
		.amdhsa_user_sgpr_count 2
		.amdhsa_user_sgpr_dispatch_ptr 0
		.amdhsa_user_sgpr_queue_ptr 0
		.amdhsa_user_sgpr_kernarg_segment_ptr 1
		.amdhsa_user_sgpr_dispatch_id 0
		.amdhsa_user_sgpr_private_segment_size 0
		.amdhsa_wavefront_size32 1
		.amdhsa_uses_dynamic_stack 0
		.amdhsa_enable_private_segment 0
		.amdhsa_system_sgpr_workgroup_id_x 1
		.amdhsa_system_sgpr_workgroup_id_y 0
		.amdhsa_system_sgpr_workgroup_id_z 0
		.amdhsa_system_sgpr_workgroup_info 0
		.amdhsa_system_vgpr_workitem_id 0
		.amdhsa_next_free_vgpr 1
		.amdhsa_next_free_sgpr 1
		.amdhsa_reserve_vcc 0
		.amdhsa_float_round_mode_32 0
		.amdhsa_float_round_mode_16_64 0
		.amdhsa_float_denorm_mode_32 3
		.amdhsa_float_denorm_mode_16_64 3
		.amdhsa_fp16_overflow 0
		.amdhsa_workgroup_processor_mode 1
		.amdhsa_memory_ordered 1
		.amdhsa_forward_progress 1
		.amdhsa_inst_pref_size 0
		.amdhsa_round_robin_scheduling 0
		.amdhsa_exception_fp_ieee_invalid_op 0
		.amdhsa_exception_fp_denorm_src 0
		.amdhsa_exception_fp_ieee_div_zero 0
		.amdhsa_exception_fp_ieee_overflow 0
		.amdhsa_exception_fp_ieee_underflow 0
		.amdhsa_exception_fp_ieee_inexact 0
		.amdhsa_exception_int_div_zero 0
	.end_amdhsa_kernel
	.section	.text._ZN7rocprim17ROCPRIM_400000_NS6detail17trampoline_kernelINS0_14default_configENS1_25partition_config_selectorILNS1_17partition_subalgoE6EtNS0_10empty_typeEbEEZZNS1_14partition_implILS5_6ELb0ES3_mN6thrust23THRUST_200600_302600_NS6detail15normal_iteratorINSA_10device_ptrItEEEEPS6_SG_NS0_5tupleIJSF_S6_EEENSH_IJSG_SG_EEES6_PlJNSB_9not_fun_tINSB_10functional5actorINSM_9compositeIJNSM_27transparent_binary_operatorINSA_8equal_toIvEEEENSN_INSM_8argumentILj0EEEEENSM_5valueItEEEEEEEEEEEE10hipError_tPvRmT3_T4_T5_T6_T7_T9_mT8_P12ihipStream_tbDpT10_ENKUlT_T0_E_clISt17integral_constantIbLb1EES1K_EEDaS1F_S1G_EUlS1F_E_NS1_11comp_targetILNS1_3genE2ELNS1_11target_archE906ELNS1_3gpuE6ELNS1_3repE0EEENS1_30default_config_static_selectorELNS0_4arch9wavefront6targetE0EEEvT1_,"axG",@progbits,_ZN7rocprim17ROCPRIM_400000_NS6detail17trampoline_kernelINS0_14default_configENS1_25partition_config_selectorILNS1_17partition_subalgoE6EtNS0_10empty_typeEbEEZZNS1_14partition_implILS5_6ELb0ES3_mN6thrust23THRUST_200600_302600_NS6detail15normal_iteratorINSA_10device_ptrItEEEEPS6_SG_NS0_5tupleIJSF_S6_EEENSH_IJSG_SG_EEES6_PlJNSB_9not_fun_tINSB_10functional5actorINSM_9compositeIJNSM_27transparent_binary_operatorINSA_8equal_toIvEEEENSN_INSM_8argumentILj0EEEEENSM_5valueItEEEEEEEEEEEE10hipError_tPvRmT3_T4_T5_T6_T7_T9_mT8_P12ihipStream_tbDpT10_ENKUlT_T0_E_clISt17integral_constantIbLb1EES1K_EEDaS1F_S1G_EUlS1F_E_NS1_11comp_targetILNS1_3genE2ELNS1_11target_archE906ELNS1_3gpuE6ELNS1_3repE0EEENS1_30default_config_static_selectorELNS0_4arch9wavefront6targetE0EEEvT1_,comdat
.Lfunc_end158:
	.size	_ZN7rocprim17ROCPRIM_400000_NS6detail17trampoline_kernelINS0_14default_configENS1_25partition_config_selectorILNS1_17partition_subalgoE6EtNS0_10empty_typeEbEEZZNS1_14partition_implILS5_6ELb0ES3_mN6thrust23THRUST_200600_302600_NS6detail15normal_iteratorINSA_10device_ptrItEEEEPS6_SG_NS0_5tupleIJSF_S6_EEENSH_IJSG_SG_EEES6_PlJNSB_9not_fun_tINSB_10functional5actorINSM_9compositeIJNSM_27transparent_binary_operatorINSA_8equal_toIvEEEENSN_INSM_8argumentILj0EEEEENSM_5valueItEEEEEEEEEEEE10hipError_tPvRmT3_T4_T5_T6_T7_T9_mT8_P12ihipStream_tbDpT10_ENKUlT_T0_E_clISt17integral_constantIbLb1EES1K_EEDaS1F_S1G_EUlS1F_E_NS1_11comp_targetILNS1_3genE2ELNS1_11target_archE906ELNS1_3gpuE6ELNS1_3repE0EEENS1_30default_config_static_selectorELNS0_4arch9wavefront6targetE0EEEvT1_, .Lfunc_end158-_ZN7rocprim17ROCPRIM_400000_NS6detail17trampoline_kernelINS0_14default_configENS1_25partition_config_selectorILNS1_17partition_subalgoE6EtNS0_10empty_typeEbEEZZNS1_14partition_implILS5_6ELb0ES3_mN6thrust23THRUST_200600_302600_NS6detail15normal_iteratorINSA_10device_ptrItEEEEPS6_SG_NS0_5tupleIJSF_S6_EEENSH_IJSG_SG_EEES6_PlJNSB_9not_fun_tINSB_10functional5actorINSM_9compositeIJNSM_27transparent_binary_operatorINSA_8equal_toIvEEEENSN_INSM_8argumentILj0EEEEENSM_5valueItEEEEEEEEEEEE10hipError_tPvRmT3_T4_T5_T6_T7_T9_mT8_P12ihipStream_tbDpT10_ENKUlT_T0_E_clISt17integral_constantIbLb1EES1K_EEDaS1F_S1G_EUlS1F_E_NS1_11comp_targetILNS1_3genE2ELNS1_11target_archE906ELNS1_3gpuE6ELNS1_3repE0EEENS1_30default_config_static_selectorELNS0_4arch9wavefront6targetE0EEEvT1_
                                        ; -- End function
	.set _ZN7rocprim17ROCPRIM_400000_NS6detail17trampoline_kernelINS0_14default_configENS1_25partition_config_selectorILNS1_17partition_subalgoE6EtNS0_10empty_typeEbEEZZNS1_14partition_implILS5_6ELb0ES3_mN6thrust23THRUST_200600_302600_NS6detail15normal_iteratorINSA_10device_ptrItEEEEPS6_SG_NS0_5tupleIJSF_S6_EEENSH_IJSG_SG_EEES6_PlJNSB_9not_fun_tINSB_10functional5actorINSM_9compositeIJNSM_27transparent_binary_operatorINSA_8equal_toIvEEEENSN_INSM_8argumentILj0EEEEENSM_5valueItEEEEEEEEEEEE10hipError_tPvRmT3_T4_T5_T6_T7_T9_mT8_P12ihipStream_tbDpT10_ENKUlT_T0_E_clISt17integral_constantIbLb1EES1K_EEDaS1F_S1G_EUlS1F_E_NS1_11comp_targetILNS1_3genE2ELNS1_11target_archE906ELNS1_3gpuE6ELNS1_3repE0EEENS1_30default_config_static_selectorELNS0_4arch9wavefront6targetE0EEEvT1_.num_vgpr, 0
	.set _ZN7rocprim17ROCPRIM_400000_NS6detail17trampoline_kernelINS0_14default_configENS1_25partition_config_selectorILNS1_17partition_subalgoE6EtNS0_10empty_typeEbEEZZNS1_14partition_implILS5_6ELb0ES3_mN6thrust23THRUST_200600_302600_NS6detail15normal_iteratorINSA_10device_ptrItEEEEPS6_SG_NS0_5tupleIJSF_S6_EEENSH_IJSG_SG_EEES6_PlJNSB_9not_fun_tINSB_10functional5actorINSM_9compositeIJNSM_27transparent_binary_operatorINSA_8equal_toIvEEEENSN_INSM_8argumentILj0EEEEENSM_5valueItEEEEEEEEEEEE10hipError_tPvRmT3_T4_T5_T6_T7_T9_mT8_P12ihipStream_tbDpT10_ENKUlT_T0_E_clISt17integral_constantIbLb1EES1K_EEDaS1F_S1G_EUlS1F_E_NS1_11comp_targetILNS1_3genE2ELNS1_11target_archE906ELNS1_3gpuE6ELNS1_3repE0EEENS1_30default_config_static_selectorELNS0_4arch9wavefront6targetE0EEEvT1_.num_agpr, 0
	.set _ZN7rocprim17ROCPRIM_400000_NS6detail17trampoline_kernelINS0_14default_configENS1_25partition_config_selectorILNS1_17partition_subalgoE6EtNS0_10empty_typeEbEEZZNS1_14partition_implILS5_6ELb0ES3_mN6thrust23THRUST_200600_302600_NS6detail15normal_iteratorINSA_10device_ptrItEEEEPS6_SG_NS0_5tupleIJSF_S6_EEENSH_IJSG_SG_EEES6_PlJNSB_9not_fun_tINSB_10functional5actorINSM_9compositeIJNSM_27transparent_binary_operatorINSA_8equal_toIvEEEENSN_INSM_8argumentILj0EEEEENSM_5valueItEEEEEEEEEEEE10hipError_tPvRmT3_T4_T5_T6_T7_T9_mT8_P12ihipStream_tbDpT10_ENKUlT_T0_E_clISt17integral_constantIbLb1EES1K_EEDaS1F_S1G_EUlS1F_E_NS1_11comp_targetILNS1_3genE2ELNS1_11target_archE906ELNS1_3gpuE6ELNS1_3repE0EEENS1_30default_config_static_selectorELNS0_4arch9wavefront6targetE0EEEvT1_.numbered_sgpr, 0
	.set _ZN7rocprim17ROCPRIM_400000_NS6detail17trampoline_kernelINS0_14default_configENS1_25partition_config_selectorILNS1_17partition_subalgoE6EtNS0_10empty_typeEbEEZZNS1_14partition_implILS5_6ELb0ES3_mN6thrust23THRUST_200600_302600_NS6detail15normal_iteratorINSA_10device_ptrItEEEEPS6_SG_NS0_5tupleIJSF_S6_EEENSH_IJSG_SG_EEES6_PlJNSB_9not_fun_tINSB_10functional5actorINSM_9compositeIJNSM_27transparent_binary_operatorINSA_8equal_toIvEEEENSN_INSM_8argumentILj0EEEEENSM_5valueItEEEEEEEEEEEE10hipError_tPvRmT3_T4_T5_T6_T7_T9_mT8_P12ihipStream_tbDpT10_ENKUlT_T0_E_clISt17integral_constantIbLb1EES1K_EEDaS1F_S1G_EUlS1F_E_NS1_11comp_targetILNS1_3genE2ELNS1_11target_archE906ELNS1_3gpuE6ELNS1_3repE0EEENS1_30default_config_static_selectorELNS0_4arch9wavefront6targetE0EEEvT1_.num_named_barrier, 0
	.set _ZN7rocprim17ROCPRIM_400000_NS6detail17trampoline_kernelINS0_14default_configENS1_25partition_config_selectorILNS1_17partition_subalgoE6EtNS0_10empty_typeEbEEZZNS1_14partition_implILS5_6ELb0ES3_mN6thrust23THRUST_200600_302600_NS6detail15normal_iteratorINSA_10device_ptrItEEEEPS6_SG_NS0_5tupleIJSF_S6_EEENSH_IJSG_SG_EEES6_PlJNSB_9not_fun_tINSB_10functional5actorINSM_9compositeIJNSM_27transparent_binary_operatorINSA_8equal_toIvEEEENSN_INSM_8argumentILj0EEEEENSM_5valueItEEEEEEEEEEEE10hipError_tPvRmT3_T4_T5_T6_T7_T9_mT8_P12ihipStream_tbDpT10_ENKUlT_T0_E_clISt17integral_constantIbLb1EES1K_EEDaS1F_S1G_EUlS1F_E_NS1_11comp_targetILNS1_3genE2ELNS1_11target_archE906ELNS1_3gpuE6ELNS1_3repE0EEENS1_30default_config_static_selectorELNS0_4arch9wavefront6targetE0EEEvT1_.private_seg_size, 0
	.set _ZN7rocprim17ROCPRIM_400000_NS6detail17trampoline_kernelINS0_14default_configENS1_25partition_config_selectorILNS1_17partition_subalgoE6EtNS0_10empty_typeEbEEZZNS1_14partition_implILS5_6ELb0ES3_mN6thrust23THRUST_200600_302600_NS6detail15normal_iteratorINSA_10device_ptrItEEEEPS6_SG_NS0_5tupleIJSF_S6_EEENSH_IJSG_SG_EEES6_PlJNSB_9not_fun_tINSB_10functional5actorINSM_9compositeIJNSM_27transparent_binary_operatorINSA_8equal_toIvEEEENSN_INSM_8argumentILj0EEEEENSM_5valueItEEEEEEEEEEEE10hipError_tPvRmT3_T4_T5_T6_T7_T9_mT8_P12ihipStream_tbDpT10_ENKUlT_T0_E_clISt17integral_constantIbLb1EES1K_EEDaS1F_S1G_EUlS1F_E_NS1_11comp_targetILNS1_3genE2ELNS1_11target_archE906ELNS1_3gpuE6ELNS1_3repE0EEENS1_30default_config_static_selectorELNS0_4arch9wavefront6targetE0EEEvT1_.uses_vcc, 0
	.set _ZN7rocprim17ROCPRIM_400000_NS6detail17trampoline_kernelINS0_14default_configENS1_25partition_config_selectorILNS1_17partition_subalgoE6EtNS0_10empty_typeEbEEZZNS1_14partition_implILS5_6ELb0ES3_mN6thrust23THRUST_200600_302600_NS6detail15normal_iteratorINSA_10device_ptrItEEEEPS6_SG_NS0_5tupleIJSF_S6_EEENSH_IJSG_SG_EEES6_PlJNSB_9not_fun_tINSB_10functional5actorINSM_9compositeIJNSM_27transparent_binary_operatorINSA_8equal_toIvEEEENSN_INSM_8argumentILj0EEEEENSM_5valueItEEEEEEEEEEEE10hipError_tPvRmT3_T4_T5_T6_T7_T9_mT8_P12ihipStream_tbDpT10_ENKUlT_T0_E_clISt17integral_constantIbLb1EES1K_EEDaS1F_S1G_EUlS1F_E_NS1_11comp_targetILNS1_3genE2ELNS1_11target_archE906ELNS1_3gpuE6ELNS1_3repE0EEENS1_30default_config_static_selectorELNS0_4arch9wavefront6targetE0EEEvT1_.uses_flat_scratch, 0
	.set _ZN7rocprim17ROCPRIM_400000_NS6detail17trampoline_kernelINS0_14default_configENS1_25partition_config_selectorILNS1_17partition_subalgoE6EtNS0_10empty_typeEbEEZZNS1_14partition_implILS5_6ELb0ES3_mN6thrust23THRUST_200600_302600_NS6detail15normal_iteratorINSA_10device_ptrItEEEEPS6_SG_NS0_5tupleIJSF_S6_EEENSH_IJSG_SG_EEES6_PlJNSB_9not_fun_tINSB_10functional5actorINSM_9compositeIJNSM_27transparent_binary_operatorINSA_8equal_toIvEEEENSN_INSM_8argumentILj0EEEEENSM_5valueItEEEEEEEEEEEE10hipError_tPvRmT3_T4_T5_T6_T7_T9_mT8_P12ihipStream_tbDpT10_ENKUlT_T0_E_clISt17integral_constantIbLb1EES1K_EEDaS1F_S1G_EUlS1F_E_NS1_11comp_targetILNS1_3genE2ELNS1_11target_archE906ELNS1_3gpuE6ELNS1_3repE0EEENS1_30default_config_static_selectorELNS0_4arch9wavefront6targetE0EEEvT1_.has_dyn_sized_stack, 0
	.set _ZN7rocprim17ROCPRIM_400000_NS6detail17trampoline_kernelINS0_14default_configENS1_25partition_config_selectorILNS1_17partition_subalgoE6EtNS0_10empty_typeEbEEZZNS1_14partition_implILS5_6ELb0ES3_mN6thrust23THRUST_200600_302600_NS6detail15normal_iteratorINSA_10device_ptrItEEEEPS6_SG_NS0_5tupleIJSF_S6_EEENSH_IJSG_SG_EEES6_PlJNSB_9not_fun_tINSB_10functional5actorINSM_9compositeIJNSM_27transparent_binary_operatorINSA_8equal_toIvEEEENSN_INSM_8argumentILj0EEEEENSM_5valueItEEEEEEEEEEEE10hipError_tPvRmT3_T4_T5_T6_T7_T9_mT8_P12ihipStream_tbDpT10_ENKUlT_T0_E_clISt17integral_constantIbLb1EES1K_EEDaS1F_S1G_EUlS1F_E_NS1_11comp_targetILNS1_3genE2ELNS1_11target_archE906ELNS1_3gpuE6ELNS1_3repE0EEENS1_30default_config_static_selectorELNS0_4arch9wavefront6targetE0EEEvT1_.has_recursion, 0
	.set _ZN7rocprim17ROCPRIM_400000_NS6detail17trampoline_kernelINS0_14default_configENS1_25partition_config_selectorILNS1_17partition_subalgoE6EtNS0_10empty_typeEbEEZZNS1_14partition_implILS5_6ELb0ES3_mN6thrust23THRUST_200600_302600_NS6detail15normal_iteratorINSA_10device_ptrItEEEEPS6_SG_NS0_5tupleIJSF_S6_EEENSH_IJSG_SG_EEES6_PlJNSB_9not_fun_tINSB_10functional5actorINSM_9compositeIJNSM_27transparent_binary_operatorINSA_8equal_toIvEEEENSN_INSM_8argumentILj0EEEEENSM_5valueItEEEEEEEEEEEE10hipError_tPvRmT3_T4_T5_T6_T7_T9_mT8_P12ihipStream_tbDpT10_ENKUlT_T0_E_clISt17integral_constantIbLb1EES1K_EEDaS1F_S1G_EUlS1F_E_NS1_11comp_targetILNS1_3genE2ELNS1_11target_archE906ELNS1_3gpuE6ELNS1_3repE0EEENS1_30default_config_static_selectorELNS0_4arch9wavefront6targetE0EEEvT1_.has_indirect_call, 0
	.section	.AMDGPU.csdata,"",@progbits
; Kernel info:
; codeLenInByte = 0
; TotalNumSgprs: 0
; NumVgprs: 0
; ScratchSize: 0
; MemoryBound: 0
; FloatMode: 240
; IeeeMode: 1
; LDSByteSize: 0 bytes/workgroup (compile time only)
; SGPRBlocks: 0
; VGPRBlocks: 0
; NumSGPRsForWavesPerEU: 1
; NumVGPRsForWavesPerEU: 1
; Occupancy: 16
; WaveLimiterHint : 0
; COMPUTE_PGM_RSRC2:SCRATCH_EN: 0
; COMPUTE_PGM_RSRC2:USER_SGPR: 2
; COMPUTE_PGM_RSRC2:TRAP_HANDLER: 0
; COMPUTE_PGM_RSRC2:TGID_X_EN: 1
; COMPUTE_PGM_RSRC2:TGID_Y_EN: 0
; COMPUTE_PGM_RSRC2:TGID_Z_EN: 0
; COMPUTE_PGM_RSRC2:TIDIG_COMP_CNT: 0
	.section	.text._ZN7rocprim17ROCPRIM_400000_NS6detail17trampoline_kernelINS0_14default_configENS1_25partition_config_selectorILNS1_17partition_subalgoE6EtNS0_10empty_typeEbEEZZNS1_14partition_implILS5_6ELb0ES3_mN6thrust23THRUST_200600_302600_NS6detail15normal_iteratorINSA_10device_ptrItEEEEPS6_SG_NS0_5tupleIJSF_S6_EEENSH_IJSG_SG_EEES6_PlJNSB_9not_fun_tINSB_10functional5actorINSM_9compositeIJNSM_27transparent_binary_operatorINSA_8equal_toIvEEEENSN_INSM_8argumentILj0EEEEENSM_5valueItEEEEEEEEEEEE10hipError_tPvRmT3_T4_T5_T6_T7_T9_mT8_P12ihipStream_tbDpT10_ENKUlT_T0_E_clISt17integral_constantIbLb1EES1K_EEDaS1F_S1G_EUlS1F_E_NS1_11comp_targetILNS1_3genE10ELNS1_11target_archE1200ELNS1_3gpuE4ELNS1_3repE0EEENS1_30default_config_static_selectorELNS0_4arch9wavefront6targetE0EEEvT1_,"axG",@progbits,_ZN7rocprim17ROCPRIM_400000_NS6detail17trampoline_kernelINS0_14default_configENS1_25partition_config_selectorILNS1_17partition_subalgoE6EtNS0_10empty_typeEbEEZZNS1_14partition_implILS5_6ELb0ES3_mN6thrust23THRUST_200600_302600_NS6detail15normal_iteratorINSA_10device_ptrItEEEEPS6_SG_NS0_5tupleIJSF_S6_EEENSH_IJSG_SG_EEES6_PlJNSB_9not_fun_tINSB_10functional5actorINSM_9compositeIJNSM_27transparent_binary_operatorINSA_8equal_toIvEEEENSN_INSM_8argumentILj0EEEEENSM_5valueItEEEEEEEEEEEE10hipError_tPvRmT3_T4_T5_T6_T7_T9_mT8_P12ihipStream_tbDpT10_ENKUlT_T0_E_clISt17integral_constantIbLb1EES1K_EEDaS1F_S1G_EUlS1F_E_NS1_11comp_targetILNS1_3genE10ELNS1_11target_archE1200ELNS1_3gpuE4ELNS1_3repE0EEENS1_30default_config_static_selectorELNS0_4arch9wavefront6targetE0EEEvT1_,comdat
	.protected	_ZN7rocprim17ROCPRIM_400000_NS6detail17trampoline_kernelINS0_14default_configENS1_25partition_config_selectorILNS1_17partition_subalgoE6EtNS0_10empty_typeEbEEZZNS1_14partition_implILS5_6ELb0ES3_mN6thrust23THRUST_200600_302600_NS6detail15normal_iteratorINSA_10device_ptrItEEEEPS6_SG_NS0_5tupleIJSF_S6_EEENSH_IJSG_SG_EEES6_PlJNSB_9not_fun_tINSB_10functional5actorINSM_9compositeIJNSM_27transparent_binary_operatorINSA_8equal_toIvEEEENSN_INSM_8argumentILj0EEEEENSM_5valueItEEEEEEEEEEEE10hipError_tPvRmT3_T4_T5_T6_T7_T9_mT8_P12ihipStream_tbDpT10_ENKUlT_T0_E_clISt17integral_constantIbLb1EES1K_EEDaS1F_S1G_EUlS1F_E_NS1_11comp_targetILNS1_3genE10ELNS1_11target_archE1200ELNS1_3gpuE4ELNS1_3repE0EEENS1_30default_config_static_selectorELNS0_4arch9wavefront6targetE0EEEvT1_ ; -- Begin function _ZN7rocprim17ROCPRIM_400000_NS6detail17trampoline_kernelINS0_14default_configENS1_25partition_config_selectorILNS1_17partition_subalgoE6EtNS0_10empty_typeEbEEZZNS1_14partition_implILS5_6ELb0ES3_mN6thrust23THRUST_200600_302600_NS6detail15normal_iteratorINSA_10device_ptrItEEEEPS6_SG_NS0_5tupleIJSF_S6_EEENSH_IJSG_SG_EEES6_PlJNSB_9not_fun_tINSB_10functional5actorINSM_9compositeIJNSM_27transparent_binary_operatorINSA_8equal_toIvEEEENSN_INSM_8argumentILj0EEEEENSM_5valueItEEEEEEEEEEEE10hipError_tPvRmT3_T4_T5_T6_T7_T9_mT8_P12ihipStream_tbDpT10_ENKUlT_T0_E_clISt17integral_constantIbLb1EES1K_EEDaS1F_S1G_EUlS1F_E_NS1_11comp_targetILNS1_3genE10ELNS1_11target_archE1200ELNS1_3gpuE4ELNS1_3repE0EEENS1_30default_config_static_selectorELNS0_4arch9wavefront6targetE0EEEvT1_
	.globl	_ZN7rocprim17ROCPRIM_400000_NS6detail17trampoline_kernelINS0_14default_configENS1_25partition_config_selectorILNS1_17partition_subalgoE6EtNS0_10empty_typeEbEEZZNS1_14partition_implILS5_6ELb0ES3_mN6thrust23THRUST_200600_302600_NS6detail15normal_iteratorINSA_10device_ptrItEEEEPS6_SG_NS0_5tupleIJSF_S6_EEENSH_IJSG_SG_EEES6_PlJNSB_9not_fun_tINSB_10functional5actorINSM_9compositeIJNSM_27transparent_binary_operatorINSA_8equal_toIvEEEENSN_INSM_8argumentILj0EEEEENSM_5valueItEEEEEEEEEEEE10hipError_tPvRmT3_T4_T5_T6_T7_T9_mT8_P12ihipStream_tbDpT10_ENKUlT_T0_E_clISt17integral_constantIbLb1EES1K_EEDaS1F_S1G_EUlS1F_E_NS1_11comp_targetILNS1_3genE10ELNS1_11target_archE1200ELNS1_3gpuE4ELNS1_3repE0EEENS1_30default_config_static_selectorELNS0_4arch9wavefront6targetE0EEEvT1_
	.p2align	8
	.type	_ZN7rocprim17ROCPRIM_400000_NS6detail17trampoline_kernelINS0_14default_configENS1_25partition_config_selectorILNS1_17partition_subalgoE6EtNS0_10empty_typeEbEEZZNS1_14partition_implILS5_6ELb0ES3_mN6thrust23THRUST_200600_302600_NS6detail15normal_iteratorINSA_10device_ptrItEEEEPS6_SG_NS0_5tupleIJSF_S6_EEENSH_IJSG_SG_EEES6_PlJNSB_9not_fun_tINSB_10functional5actorINSM_9compositeIJNSM_27transparent_binary_operatorINSA_8equal_toIvEEEENSN_INSM_8argumentILj0EEEEENSM_5valueItEEEEEEEEEEEE10hipError_tPvRmT3_T4_T5_T6_T7_T9_mT8_P12ihipStream_tbDpT10_ENKUlT_T0_E_clISt17integral_constantIbLb1EES1K_EEDaS1F_S1G_EUlS1F_E_NS1_11comp_targetILNS1_3genE10ELNS1_11target_archE1200ELNS1_3gpuE4ELNS1_3repE0EEENS1_30default_config_static_selectorELNS0_4arch9wavefront6targetE0EEEvT1_,@function
_ZN7rocprim17ROCPRIM_400000_NS6detail17trampoline_kernelINS0_14default_configENS1_25partition_config_selectorILNS1_17partition_subalgoE6EtNS0_10empty_typeEbEEZZNS1_14partition_implILS5_6ELb0ES3_mN6thrust23THRUST_200600_302600_NS6detail15normal_iteratorINSA_10device_ptrItEEEEPS6_SG_NS0_5tupleIJSF_S6_EEENSH_IJSG_SG_EEES6_PlJNSB_9not_fun_tINSB_10functional5actorINSM_9compositeIJNSM_27transparent_binary_operatorINSA_8equal_toIvEEEENSN_INSM_8argumentILj0EEEEENSM_5valueItEEEEEEEEEEEE10hipError_tPvRmT3_T4_T5_T6_T7_T9_mT8_P12ihipStream_tbDpT10_ENKUlT_T0_E_clISt17integral_constantIbLb1EES1K_EEDaS1F_S1G_EUlS1F_E_NS1_11comp_targetILNS1_3genE10ELNS1_11target_archE1200ELNS1_3gpuE4ELNS1_3repE0EEENS1_30default_config_static_selectorELNS0_4arch9wavefront6targetE0EEEvT1_: ; @_ZN7rocprim17ROCPRIM_400000_NS6detail17trampoline_kernelINS0_14default_configENS1_25partition_config_selectorILNS1_17partition_subalgoE6EtNS0_10empty_typeEbEEZZNS1_14partition_implILS5_6ELb0ES3_mN6thrust23THRUST_200600_302600_NS6detail15normal_iteratorINSA_10device_ptrItEEEEPS6_SG_NS0_5tupleIJSF_S6_EEENSH_IJSG_SG_EEES6_PlJNSB_9not_fun_tINSB_10functional5actorINSM_9compositeIJNSM_27transparent_binary_operatorINSA_8equal_toIvEEEENSN_INSM_8argumentILj0EEEEENSM_5valueItEEEEEEEEEEEE10hipError_tPvRmT3_T4_T5_T6_T7_T9_mT8_P12ihipStream_tbDpT10_ENKUlT_T0_E_clISt17integral_constantIbLb1EES1K_EEDaS1F_S1G_EUlS1F_E_NS1_11comp_targetILNS1_3genE10ELNS1_11target_archE1200ELNS1_3gpuE4ELNS1_3repE0EEENS1_30default_config_static_selectorELNS0_4arch9wavefront6targetE0EEEvT1_
; %bb.0:
	s_endpgm
	.section	.rodata,"a",@progbits
	.p2align	6, 0x0
	.amdhsa_kernel _ZN7rocprim17ROCPRIM_400000_NS6detail17trampoline_kernelINS0_14default_configENS1_25partition_config_selectorILNS1_17partition_subalgoE6EtNS0_10empty_typeEbEEZZNS1_14partition_implILS5_6ELb0ES3_mN6thrust23THRUST_200600_302600_NS6detail15normal_iteratorINSA_10device_ptrItEEEEPS6_SG_NS0_5tupleIJSF_S6_EEENSH_IJSG_SG_EEES6_PlJNSB_9not_fun_tINSB_10functional5actorINSM_9compositeIJNSM_27transparent_binary_operatorINSA_8equal_toIvEEEENSN_INSM_8argumentILj0EEEEENSM_5valueItEEEEEEEEEEEE10hipError_tPvRmT3_T4_T5_T6_T7_T9_mT8_P12ihipStream_tbDpT10_ENKUlT_T0_E_clISt17integral_constantIbLb1EES1K_EEDaS1F_S1G_EUlS1F_E_NS1_11comp_targetILNS1_3genE10ELNS1_11target_archE1200ELNS1_3gpuE4ELNS1_3repE0EEENS1_30default_config_static_selectorELNS0_4arch9wavefront6targetE0EEEvT1_
		.amdhsa_group_segment_fixed_size 0
		.amdhsa_private_segment_fixed_size 0
		.amdhsa_kernarg_size 128
		.amdhsa_user_sgpr_count 2
		.amdhsa_user_sgpr_dispatch_ptr 0
		.amdhsa_user_sgpr_queue_ptr 0
		.amdhsa_user_sgpr_kernarg_segment_ptr 1
		.amdhsa_user_sgpr_dispatch_id 0
		.amdhsa_user_sgpr_private_segment_size 0
		.amdhsa_wavefront_size32 1
		.amdhsa_uses_dynamic_stack 0
		.amdhsa_enable_private_segment 0
		.amdhsa_system_sgpr_workgroup_id_x 1
		.amdhsa_system_sgpr_workgroup_id_y 0
		.amdhsa_system_sgpr_workgroup_id_z 0
		.amdhsa_system_sgpr_workgroup_info 0
		.amdhsa_system_vgpr_workitem_id 0
		.amdhsa_next_free_vgpr 1
		.amdhsa_next_free_sgpr 1
		.amdhsa_reserve_vcc 0
		.amdhsa_float_round_mode_32 0
		.amdhsa_float_round_mode_16_64 0
		.amdhsa_float_denorm_mode_32 3
		.amdhsa_float_denorm_mode_16_64 3
		.amdhsa_fp16_overflow 0
		.amdhsa_workgroup_processor_mode 1
		.amdhsa_memory_ordered 1
		.amdhsa_forward_progress 1
		.amdhsa_inst_pref_size 1
		.amdhsa_round_robin_scheduling 0
		.amdhsa_exception_fp_ieee_invalid_op 0
		.amdhsa_exception_fp_denorm_src 0
		.amdhsa_exception_fp_ieee_div_zero 0
		.amdhsa_exception_fp_ieee_overflow 0
		.amdhsa_exception_fp_ieee_underflow 0
		.amdhsa_exception_fp_ieee_inexact 0
		.amdhsa_exception_int_div_zero 0
	.end_amdhsa_kernel
	.section	.text._ZN7rocprim17ROCPRIM_400000_NS6detail17trampoline_kernelINS0_14default_configENS1_25partition_config_selectorILNS1_17partition_subalgoE6EtNS0_10empty_typeEbEEZZNS1_14partition_implILS5_6ELb0ES3_mN6thrust23THRUST_200600_302600_NS6detail15normal_iteratorINSA_10device_ptrItEEEEPS6_SG_NS0_5tupleIJSF_S6_EEENSH_IJSG_SG_EEES6_PlJNSB_9not_fun_tINSB_10functional5actorINSM_9compositeIJNSM_27transparent_binary_operatorINSA_8equal_toIvEEEENSN_INSM_8argumentILj0EEEEENSM_5valueItEEEEEEEEEEEE10hipError_tPvRmT3_T4_T5_T6_T7_T9_mT8_P12ihipStream_tbDpT10_ENKUlT_T0_E_clISt17integral_constantIbLb1EES1K_EEDaS1F_S1G_EUlS1F_E_NS1_11comp_targetILNS1_3genE10ELNS1_11target_archE1200ELNS1_3gpuE4ELNS1_3repE0EEENS1_30default_config_static_selectorELNS0_4arch9wavefront6targetE0EEEvT1_,"axG",@progbits,_ZN7rocprim17ROCPRIM_400000_NS6detail17trampoline_kernelINS0_14default_configENS1_25partition_config_selectorILNS1_17partition_subalgoE6EtNS0_10empty_typeEbEEZZNS1_14partition_implILS5_6ELb0ES3_mN6thrust23THRUST_200600_302600_NS6detail15normal_iteratorINSA_10device_ptrItEEEEPS6_SG_NS0_5tupleIJSF_S6_EEENSH_IJSG_SG_EEES6_PlJNSB_9not_fun_tINSB_10functional5actorINSM_9compositeIJNSM_27transparent_binary_operatorINSA_8equal_toIvEEEENSN_INSM_8argumentILj0EEEEENSM_5valueItEEEEEEEEEEEE10hipError_tPvRmT3_T4_T5_T6_T7_T9_mT8_P12ihipStream_tbDpT10_ENKUlT_T0_E_clISt17integral_constantIbLb1EES1K_EEDaS1F_S1G_EUlS1F_E_NS1_11comp_targetILNS1_3genE10ELNS1_11target_archE1200ELNS1_3gpuE4ELNS1_3repE0EEENS1_30default_config_static_selectorELNS0_4arch9wavefront6targetE0EEEvT1_,comdat
.Lfunc_end159:
	.size	_ZN7rocprim17ROCPRIM_400000_NS6detail17trampoline_kernelINS0_14default_configENS1_25partition_config_selectorILNS1_17partition_subalgoE6EtNS0_10empty_typeEbEEZZNS1_14partition_implILS5_6ELb0ES3_mN6thrust23THRUST_200600_302600_NS6detail15normal_iteratorINSA_10device_ptrItEEEEPS6_SG_NS0_5tupleIJSF_S6_EEENSH_IJSG_SG_EEES6_PlJNSB_9not_fun_tINSB_10functional5actorINSM_9compositeIJNSM_27transparent_binary_operatorINSA_8equal_toIvEEEENSN_INSM_8argumentILj0EEEEENSM_5valueItEEEEEEEEEEEE10hipError_tPvRmT3_T4_T5_T6_T7_T9_mT8_P12ihipStream_tbDpT10_ENKUlT_T0_E_clISt17integral_constantIbLb1EES1K_EEDaS1F_S1G_EUlS1F_E_NS1_11comp_targetILNS1_3genE10ELNS1_11target_archE1200ELNS1_3gpuE4ELNS1_3repE0EEENS1_30default_config_static_selectorELNS0_4arch9wavefront6targetE0EEEvT1_, .Lfunc_end159-_ZN7rocprim17ROCPRIM_400000_NS6detail17trampoline_kernelINS0_14default_configENS1_25partition_config_selectorILNS1_17partition_subalgoE6EtNS0_10empty_typeEbEEZZNS1_14partition_implILS5_6ELb0ES3_mN6thrust23THRUST_200600_302600_NS6detail15normal_iteratorINSA_10device_ptrItEEEEPS6_SG_NS0_5tupleIJSF_S6_EEENSH_IJSG_SG_EEES6_PlJNSB_9not_fun_tINSB_10functional5actorINSM_9compositeIJNSM_27transparent_binary_operatorINSA_8equal_toIvEEEENSN_INSM_8argumentILj0EEEEENSM_5valueItEEEEEEEEEEEE10hipError_tPvRmT3_T4_T5_T6_T7_T9_mT8_P12ihipStream_tbDpT10_ENKUlT_T0_E_clISt17integral_constantIbLb1EES1K_EEDaS1F_S1G_EUlS1F_E_NS1_11comp_targetILNS1_3genE10ELNS1_11target_archE1200ELNS1_3gpuE4ELNS1_3repE0EEENS1_30default_config_static_selectorELNS0_4arch9wavefront6targetE0EEEvT1_
                                        ; -- End function
	.set _ZN7rocprim17ROCPRIM_400000_NS6detail17trampoline_kernelINS0_14default_configENS1_25partition_config_selectorILNS1_17partition_subalgoE6EtNS0_10empty_typeEbEEZZNS1_14partition_implILS5_6ELb0ES3_mN6thrust23THRUST_200600_302600_NS6detail15normal_iteratorINSA_10device_ptrItEEEEPS6_SG_NS0_5tupleIJSF_S6_EEENSH_IJSG_SG_EEES6_PlJNSB_9not_fun_tINSB_10functional5actorINSM_9compositeIJNSM_27transparent_binary_operatorINSA_8equal_toIvEEEENSN_INSM_8argumentILj0EEEEENSM_5valueItEEEEEEEEEEEE10hipError_tPvRmT3_T4_T5_T6_T7_T9_mT8_P12ihipStream_tbDpT10_ENKUlT_T0_E_clISt17integral_constantIbLb1EES1K_EEDaS1F_S1G_EUlS1F_E_NS1_11comp_targetILNS1_3genE10ELNS1_11target_archE1200ELNS1_3gpuE4ELNS1_3repE0EEENS1_30default_config_static_selectorELNS0_4arch9wavefront6targetE0EEEvT1_.num_vgpr, 0
	.set _ZN7rocprim17ROCPRIM_400000_NS6detail17trampoline_kernelINS0_14default_configENS1_25partition_config_selectorILNS1_17partition_subalgoE6EtNS0_10empty_typeEbEEZZNS1_14partition_implILS5_6ELb0ES3_mN6thrust23THRUST_200600_302600_NS6detail15normal_iteratorINSA_10device_ptrItEEEEPS6_SG_NS0_5tupleIJSF_S6_EEENSH_IJSG_SG_EEES6_PlJNSB_9not_fun_tINSB_10functional5actorINSM_9compositeIJNSM_27transparent_binary_operatorINSA_8equal_toIvEEEENSN_INSM_8argumentILj0EEEEENSM_5valueItEEEEEEEEEEEE10hipError_tPvRmT3_T4_T5_T6_T7_T9_mT8_P12ihipStream_tbDpT10_ENKUlT_T0_E_clISt17integral_constantIbLb1EES1K_EEDaS1F_S1G_EUlS1F_E_NS1_11comp_targetILNS1_3genE10ELNS1_11target_archE1200ELNS1_3gpuE4ELNS1_3repE0EEENS1_30default_config_static_selectorELNS0_4arch9wavefront6targetE0EEEvT1_.num_agpr, 0
	.set _ZN7rocprim17ROCPRIM_400000_NS6detail17trampoline_kernelINS0_14default_configENS1_25partition_config_selectorILNS1_17partition_subalgoE6EtNS0_10empty_typeEbEEZZNS1_14partition_implILS5_6ELb0ES3_mN6thrust23THRUST_200600_302600_NS6detail15normal_iteratorINSA_10device_ptrItEEEEPS6_SG_NS0_5tupleIJSF_S6_EEENSH_IJSG_SG_EEES6_PlJNSB_9not_fun_tINSB_10functional5actorINSM_9compositeIJNSM_27transparent_binary_operatorINSA_8equal_toIvEEEENSN_INSM_8argumentILj0EEEEENSM_5valueItEEEEEEEEEEEE10hipError_tPvRmT3_T4_T5_T6_T7_T9_mT8_P12ihipStream_tbDpT10_ENKUlT_T0_E_clISt17integral_constantIbLb1EES1K_EEDaS1F_S1G_EUlS1F_E_NS1_11comp_targetILNS1_3genE10ELNS1_11target_archE1200ELNS1_3gpuE4ELNS1_3repE0EEENS1_30default_config_static_selectorELNS0_4arch9wavefront6targetE0EEEvT1_.numbered_sgpr, 0
	.set _ZN7rocprim17ROCPRIM_400000_NS6detail17trampoline_kernelINS0_14default_configENS1_25partition_config_selectorILNS1_17partition_subalgoE6EtNS0_10empty_typeEbEEZZNS1_14partition_implILS5_6ELb0ES3_mN6thrust23THRUST_200600_302600_NS6detail15normal_iteratorINSA_10device_ptrItEEEEPS6_SG_NS0_5tupleIJSF_S6_EEENSH_IJSG_SG_EEES6_PlJNSB_9not_fun_tINSB_10functional5actorINSM_9compositeIJNSM_27transparent_binary_operatorINSA_8equal_toIvEEEENSN_INSM_8argumentILj0EEEEENSM_5valueItEEEEEEEEEEEE10hipError_tPvRmT3_T4_T5_T6_T7_T9_mT8_P12ihipStream_tbDpT10_ENKUlT_T0_E_clISt17integral_constantIbLb1EES1K_EEDaS1F_S1G_EUlS1F_E_NS1_11comp_targetILNS1_3genE10ELNS1_11target_archE1200ELNS1_3gpuE4ELNS1_3repE0EEENS1_30default_config_static_selectorELNS0_4arch9wavefront6targetE0EEEvT1_.num_named_barrier, 0
	.set _ZN7rocprim17ROCPRIM_400000_NS6detail17trampoline_kernelINS0_14default_configENS1_25partition_config_selectorILNS1_17partition_subalgoE6EtNS0_10empty_typeEbEEZZNS1_14partition_implILS5_6ELb0ES3_mN6thrust23THRUST_200600_302600_NS6detail15normal_iteratorINSA_10device_ptrItEEEEPS6_SG_NS0_5tupleIJSF_S6_EEENSH_IJSG_SG_EEES6_PlJNSB_9not_fun_tINSB_10functional5actorINSM_9compositeIJNSM_27transparent_binary_operatorINSA_8equal_toIvEEEENSN_INSM_8argumentILj0EEEEENSM_5valueItEEEEEEEEEEEE10hipError_tPvRmT3_T4_T5_T6_T7_T9_mT8_P12ihipStream_tbDpT10_ENKUlT_T0_E_clISt17integral_constantIbLb1EES1K_EEDaS1F_S1G_EUlS1F_E_NS1_11comp_targetILNS1_3genE10ELNS1_11target_archE1200ELNS1_3gpuE4ELNS1_3repE0EEENS1_30default_config_static_selectorELNS0_4arch9wavefront6targetE0EEEvT1_.private_seg_size, 0
	.set _ZN7rocprim17ROCPRIM_400000_NS6detail17trampoline_kernelINS0_14default_configENS1_25partition_config_selectorILNS1_17partition_subalgoE6EtNS0_10empty_typeEbEEZZNS1_14partition_implILS5_6ELb0ES3_mN6thrust23THRUST_200600_302600_NS6detail15normal_iteratorINSA_10device_ptrItEEEEPS6_SG_NS0_5tupleIJSF_S6_EEENSH_IJSG_SG_EEES6_PlJNSB_9not_fun_tINSB_10functional5actorINSM_9compositeIJNSM_27transparent_binary_operatorINSA_8equal_toIvEEEENSN_INSM_8argumentILj0EEEEENSM_5valueItEEEEEEEEEEEE10hipError_tPvRmT3_T4_T5_T6_T7_T9_mT8_P12ihipStream_tbDpT10_ENKUlT_T0_E_clISt17integral_constantIbLb1EES1K_EEDaS1F_S1G_EUlS1F_E_NS1_11comp_targetILNS1_3genE10ELNS1_11target_archE1200ELNS1_3gpuE4ELNS1_3repE0EEENS1_30default_config_static_selectorELNS0_4arch9wavefront6targetE0EEEvT1_.uses_vcc, 0
	.set _ZN7rocprim17ROCPRIM_400000_NS6detail17trampoline_kernelINS0_14default_configENS1_25partition_config_selectorILNS1_17partition_subalgoE6EtNS0_10empty_typeEbEEZZNS1_14partition_implILS5_6ELb0ES3_mN6thrust23THRUST_200600_302600_NS6detail15normal_iteratorINSA_10device_ptrItEEEEPS6_SG_NS0_5tupleIJSF_S6_EEENSH_IJSG_SG_EEES6_PlJNSB_9not_fun_tINSB_10functional5actorINSM_9compositeIJNSM_27transparent_binary_operatorINSA_8equal_toIvEEEENSN_INSM_8argumentILj0EEEEENSM_5valueItEEEEEEEEEEEE10hipError_tPvRmT3_T4_T5_T6_T7_T9_mT8_P12ihipStream_tbDpT10_ENKUlT_T0_E_clISt17integral_constantIbLb1EES1K_EEDaS1F_S1G_EUlS1F_E_NS1_11comp_targetILNS1_3genE10ELNS1_11target_archE1200ELNS1_3gpuE4ELNS1_3repE0EEENS1_30default_config_static_selectorELNS0_4arch9wavefront6targetE0EEEvT1_.uses_flat_scratch, 0
	.set _ZN7rocprim17ROCPRIM_400000_NS6detail17trampoline_kernelINS0_14default_configENS1_25partition_config_selectorILNS1_17partition_subalgoE6EtNS0_10empty_typeEbEEZZNS1_14partition_implILS5_6ELb0ES3_mN6thrust23THRUST_200600_302600_NS6detail15normal_iteratorINSA_10device_ptrItEEEEPS6_SG_NS0_5tupleIJSF_S6_EEENSH_IJSG_SG_EEES6_PlJNSB_9not_fun_tINSB_10functional5actorINSM_9compositeIJNSM_27transparent_binary_operatorINSA_8equal_toIvEEEENSN_INSM_8argumentILj0EEEEENSM_5valueItEEEEEEEEEEEE10hipError_tPvRmT3_T4_T5_T6_T7_T9_mT8_P12ihipStream_tbDpT10_ENKUlT_T0_E_clISt17integral_constantIbLb1EES1K_EEDaS1F_S1G_EUlS1F_E_NS1_11comp_targetILNS1_3genE10ELNS1_11target_archE1200ELNS1_3gpuE4ELNS1_3repE0EEENS1_30default_config_static_selectorELNS0_4arch9wavefront6targetE0EEEvT1_.has_dyn_sized_stack, 0
	.set _ZN7rocprim17ROCPRIM_400000_NS6detail17trampoline_kernelINS0_14default_configENS1_25partition_config_selectorILNS1_17partition_subalgoE6EtNS0_10empty_typeEbEEZZNS1_14partition_implILS5_6ELb0ES3_mN6thrust23THRUST_200600_302600_NS6detail15normal_iteratorINSA_10device_ptrItEEEEPS6_SG_NS0_5tupleIJSF_S6_EEENSH_IJSG_SG_EEES6_PlJNSB_9not_fun_tINSB_10functional5actorINSM_9compositeIJNSM_27transparent_binary_operatorINSA_8equal_toIvEEEENSN_INSM_8argumentILj0EEEEENSM_5valueItEEEEEEEEEEEE10hipError_tPvRmT3_T4_T5_T6_T7_T9_mT8_P12ihipStream_tbDpT10_ENKUlT_T0_E_clISt17integral_constantIbLb1EES1K_EEDaS1F_S1G_EUlS1F_E_NS1_11comp_targetILNS1_3genE10ELNS1_11target_archE1200ELNS1_3gpuE4ELNS1_3repE0EEENS1_30default_config_static_selectorELNS0_4arch9wavefront6targetE0EEEvT1_.has_recursion, 0
	.set _ZN7rocprim17ROCPRIM_400000_NS6detail17trampoline_kernelINS0_14default_configENS1_25partition_config_selectorILNS1_17partition_subalgoE6EtNS0_10empty_typeEbEEZZNS1_14partition_implILS5_6ELb0ES3_mN6thrust23THRUST_200600_302600_NS6detail15normal_iteratorINSA_10device_ptrItEEEEPS6_SG_NS0_5tupleIJSF_S6_EEENSH_IJSG_SG_EEES6_PlJNSB_9not_fun_tINSB_10functional5actorINSM_9compositeIJNSM_27transparent_binary_operatorINSA_8equal_toIvEEEENSN_INSM_8argumentILj0EEEEENSM_5valueItEEEEEEEEEEEE10hipError_tPvRmT3_T4_T5_T6_T7_T9_mT8_P12ihipStream_tbDpT10_ENKUlT_T0_E_clISt17integral_constantIbLb1EES1K_EEDaS1F_S1G_EUlS1F_E_NS1_11comp_targetILNS1_3genE10ELNS1_11target_archE1200ELNS1_3gpuE4ELNS1_3repE0EEENS1_30default_config_static_selectorELNS0_4arch9wavefront6targetE0EEEvT1_.has_indirect_call, 0
	.section	.AMDGPU.csdata,"",@progbits
; Kernel info:
; codeLenInByte = 4
; TotalNumSgprs: 0
; NumVgprs: 0
; ScratchSize: 0
; MemoryBound: 0
; FloatMode: 240
; IeeeMode: 1
; LDSByteSize: 0 bytes/workgroup (compile time only)
; SGPRBlocks: 0
; VGPRBlocks: 0
; NumSGPRsForWavesPerEU: 1
; NumVGPRsForWavesPerEU: 1
; Occupancy: 16
; WaveLimiterHint : 0
; COMPUTE_PGM_RSRC2:SCRATCH_EN: 0
; COMPUTE_PGM_RSRC2:USER_SGPR: 2
; COMPUTE_PGM_RSRC2:TRAP_HANDLER: 0
; COMPUTE_PGM_RSRC2:TGID_X_EN: 1
; COMPUTE_PGM_RSRC2:TGID_Y_EN: 0
; COMPUTE_PGM_RSRC2:TGID_Z_EN: 0
; COMPUTE_PGM_RSRC2:TIDIG_COMP_CNT: 0
	.section	.text._ZN7rocprim17ROCPRIM_400000_NS6detail17trampoline_kernelINS0_14default_configENS1_25partition_config_selectorILNS1_17partition_subalgoE6EtNS0_10empty_typeEbEEZZNS1_14partition_implILS5_6ELb0ES3_mN6thrust23THRUST_200600_302600_NS6detail15normal_iteratorINSA_10device_ptrItEEEEPS6_SG_NS0_5tupleIJSF_S6_EEENSH_IJSG_SG_EEES6_PlJNSB_9not_fun_tINSB_10functional5actorINSM_9compositeIJNSM_27transparent_binary_operatorINSA_8equal_toIvEEEENSN_INSM_8argumentILj0EEEEENSM_5valueItEEEEEEEEEEEE10hipError_tPvRmT3_T4_T5_T6_T7_T9_mT8_P12ihipStream_tbDpT10_ENKUlT_T0_E_clISt17integral_constantIbLb1EES1K_EEDaS1F_S1G_EUlS1F_E_NS1_11comp_targetILNS1_3genE9ELNS1_11target_archE1100ELNS1_3gpuE3ELNS1_3repE0EEENS1_30default_config_static_selectorELNS0_4arch9wavefront6targetE0EEEvT1_,"axG",@progbits,_ZN7rocprim17ROCPRIM_400000_NS6detail17trampoline_kernelINS0_14default_configENS1_25partition_config_selectorILNS1_17partition_subalgoE6EtNS0_10empty_typeEbEEZZNS1_14partition_implILS5_6ELb0ES3_mN6thrust23THRUST_200600_302600_NS6detail15normal_iteratorINSA_10device_ptrItEEEEPS6_SG_NS0_5tupleIJSF_S6_EEENSH_IJSG_SG_EEES6_PlJNSB_9not_fun_tINSB_10functional5actorINSM_9compositeIJNSM_27transparent_binary_operatorINSA_8equal_toIvEEEENSN_INSM_8argumentILj0EEEEENSM_5valueItEEEEEEEEEEEE10hipError_tPvRmT3_T4_T5_T6_T7_T9_mT8_P12ihipStream_tbDpT10_ENKUlT_T0_E_clISt17integral_constantIbLb1EES1K_EEDaS1F_S1G_EUlS1F_E_NS1_11comp_targetILNS1_3genE9ELNS1_11target_archE1100ELNS1_3gpuE3ELNS1_3repE0EEENS1_30default_config_static_selectorELNS0_4arch9wavefront6targetE0EEEvT1_,comdat
	.protected	_ZN7rocprim17ROCPRIM_400000_NS6detail17trampoline_kernelINS0_14default_configENS1_25partition_config_selectorILNS1_17partition_subalgoE6EtNS0_10empty_typeEbEEZZNS1_14partition_implILS5_6ELb0ES3_mN6thrust23THRUST_200600_302600_NS6detail15normal_iteratorINSA_10device_ptrItEEEEPS6_SG_NS0_5tupleIJSF_S6_EEENSH_IJSG_SG_EEES6_PlJNSB_9not_fun_tINSB_10functional5actorINSM_9compositeIJNSM_27transparent_binary_operatorINSA_8equal_toIvEEEENSN_INSM_8argumentILj0EEEEENSM_5valueItEEEEEEEEEEEE10hipError_tPvRmT3_T4_T5_T6_T7_T9_mT8_P12ihipStream_tbDpT10_ENKUlT_T0_E_clISt17integral_constantIbLb1EES1K_EEDaS1F_S1G_EUlS1F_E_NS1_11comp_targetILNS1_3genE9ELNS1_11target_archE1100ELNS1_3gpuE3ELNS1_3repE0EEENS1_30default_config_static_selectorELNS0_4arch9wavefront6targetE0EEEvT1_ ; -- Begin function _ZN7rocprim17ROCPRIM_400000_NS6detail17trampoline_kernelINS0_14default_configENS1_25partition_config_selectorILNS1_17partition_subalgoE6EtNS0_10empty_typeEbEEZZNS1_14partition_implILS5_6ELb0ES3_mN6thrust23THRUST_200600_302600_NS6detail15normal_iteratorINSA_10device_ptrItEEEEPS6_SG_NS0_5tupleIJSF_S6_EEENSH_IJSG_SG_EEES6_PlJNSB_9not_fun_tINSB_10functional5actorINSM_9compositeIJNSM_27transparent_binary_operatorINSA_8equal_toIvEEEENSN_INSM_8argumentILj0EEEEENSM_5valueItEEEEEEEEEEEE10hipError_tPvRmT3_T4_T5_T6_T7_T9_mT8_P12ihipStream_tbDpT10_ENKUlT_T0_E_clISt17integral_constantIbLb1EES1K_EEDaS1F_S1G_EUlS1F_E_NS1_11comp_targetILNS1_3genE9ELNS1_11target_archE1100ELNS1_3gpuE3ELNS1_3repE0EEENS1_30default_config_static_selectorELNS0_4arch9wavefront6targetE0EEEvT1_
	.globl	_ZN7rocprim17ROCPRIM_400000_NS6detail17trampoline_kernelINS0_14default_configENS1_25partition_config_selectorILNS1_17partition_subalgoE6EtNS0_10empty_typeEbEEZZNS1_14partition_implILS5_6ELb0ES3_mN6thrust23THRUST_200600_302600_NS6detail15normal_iteratorINSA_10device_ptrItEEEEPS6_SG_NS0_5tupleIJSF_S6_EEENSH_IJSG_SG_EEES6_PlJNSB_9not_fun_tINSB_10functional5actorINSM_9compositeIJNSM_27transparent_binary_operatorINSA_8equal_toIvEEEENSN_INSM_8argumentILj0EEEEENSM_5valueItEEEEEEEEEEEE10hipError_tPvRmT3_T4_T5_T6_T7_T9_mT8_P12ihipStream_tbDpT10_ENKUlT_T0_E_clISt17integral_constantIbLb1EES1K_EEDaS1F_S1G_EUlS1F_E_NS1_11comp_targetILNS1_3genE9ELNS1_11target_archE1100ELNS1_3gpuE3ELNS1_3repE0EEENS1_30default_config_static_selectorELNS0_4arch9wavefront6targetE0EEEvT1_
	.p2align	8
	.type	_ZN7rocprim17ROCPRIM_400000_NS6detail17trampoline_kernelINS0_14default_configENS1_25partition_config_selectorILNS1_17partition_subalgoE6EtNS0_10empty_typeEbEEZZNS1_14partition_implILS5_6ELb0ES3_mN6thrust23THRUST_200600_302600_NS6detail15normal_iteratorINSA_10device_ptrItEEEEPS6_SG_NS0_5tupleIJSF_S6_EEENSH_IJSG_SG_EEES6_PlJNSB_9not_fun_tINSB_10functional5actorINSM_9compositeIJNSM_27transparent_binary_operatorINSA_8equal_toIvEEEENSN_INSM_8argumentILj0EEEEENSM_5valueItEEEEEEEEEEEE10hipError_tPvRmT3_T4_T5_T6_T7_T9_mT8_P12ihipStream_tbDpT10_ENKUlT_T0_E_clISt17integral_constantIbLb1EES1K_EEDaS1F_S1G_EUlS1F_E_NS1_11comp_targetILNS1_3genE9ELNS1_11target_archE1100ELNS1_3gpuE3ELNS1_3repE0EEENS1_30default_config_static_selectorELNS0_4arch9wavefront6targetE0EEEvT1_,@function
_ZN7rocprim17ROCPRIM_400000_NS6detail17trampoline_kernelINS0_14default_configENS1_25partition_config_selectorILNS1_17partition_subalgoE6EtNS0_10empty_typeEbEEZZNS1_14partition_implILS5_6ELb0ES3_mN6thrust23THRUST_200600_302600_NS6detail15normal_iteratorINSA_10device_ptrItEEEEPS6_SG_NS0_5tupleIJSF_S6_EEENSH_IJSG_SG_EEES6_PlJNSB_9not_fun_tINSB_10functional5actorINSM_9compositeIJNSM_27transparent_binary_operatorINSA_8equal_toIvEEEENSN_INSM_8argumentILj0EEEEENSM_5valueItEEEEEEEEEEEE10hipError_tPvRmT3_T4_T5_T6_T7_T9_mT8_P12ihipStream_tbDpT10_ENKUlT_T0_E_clISt17integral_constantIbLb1EES1K_EEDaS1F_S1G_EUlS1F_E_NS1_11comp_targetILNS1_3genE9ELNS1_11target_archE1100ELNS1_3gpuE3ELNS1_3repE0EEENS1_30default_config_static_selectorELNS0_4arch9wavefront6targetE0EEEvT1_: ; @_ZN7rocprim17ROCPRIM_400000_NS6detail17trampoline_kernelINS0_14default_configENS1_25partition_config_selectorILNS1_17partition_subalgoE6EtNS0_10empty_typeEbEEZZNS1_14partition_implILS5_6ELb0ES3_mN6thrust23THRUST_200600_302600_NS6detail15normal_iteratorINSA_10device_ptrItEEEEPS6_SG_NS0_5tupleIJSF_S6_EEENSH_IJSG_SG_EEES6_PlJNSB_9not_fun_tINSB_10functional5actorINSM_9compositeIJNSM_27transparent_binary_operatorINSA_8equal_toIvEEEENSN_INSM_8argumentILj0EEEEENSM_5valueItEEEEEEEEEEEE10hipError_tPvRmT3_T4_T5_T6_T7_T9_mT8_P12ihipStream_tbDpT10_ENKUlT_T0_E_clISt17integral_constantIbLb1EES1K_EEDaS1F_S1G_EUlS1F_E_NS1_11comp_targetILNS1_3genE9ELNS1_11target_archE1100ELNS1_3gpuE3ELNS1_3repE0EEENS1_30default_config_static_selectorELNS0_4arch9wavefront6targetE0EEEvT1_
; %bb.0:
	.section	.rodata,"a",@progbits
	.p2align	6, 0x0
	.amdhsa_kernel _ZN7rocprim17ROCPRIM_400000_NS6detail17trampoline_kernelINS0_14default_configENS1_25partition_config_selectorILNS1_17partition_subalgoE6EtNS0_10empty_typeEbEEZZNS1_14partition_implILS5_6ELb0ES3_mN6thrust23THRUST_200600_302600_NS6detail15normal_iteratorINSA_10device_ptrItEEEEPS6_SG_NS0_5tupleIJSF_S6_EEENSH_IJSG_SG_EEES6_PlJNSB_9not_fun_tINSB_10functional5actorINSM_9compositeIJNSM_27transparent_binary_operatorINSA_8equal_toIvEEEENSN_INSM_8argumentILj0EEEEENSM_5valueItEEEEEEEEEEEE10hipError_tPvRmT3_T4_T5_T6_T7_T9_mT8_P12ihipStream_tbDpT10_ENKUlT_T0_E_clISt17integral_constantIbLb1EES1K_EEDaS1F_S1G_EUlS1F_E_NS1_11comp_targetILNS1_3genE9ELNS1_11target_archE1100ELNS1_3gpuE3ELNS1_3repE0EEENS1_30default_config_static_selectorELNS0_4arch9wavefront6targetE0EEEvT1_
		.amdhsa_group_segment_fixed_size 0
		.amdhsa_private_segment_fixed_size 0
		.amdhsa_kernarg_size 128
		.amdhsa_user_sgpr_count 2
		.amdhsa_user_sgpr_dispatch_ptr 0
		.amdhsa_user_sgpr_queue_ptr 0
		.amdhsa_user_sgpr_kernarg_segment_ptr 1
		.amdhsa_user_sgpr_dispatch_id 0
		.amdhsa_user_sgpr_private_segment_size 0
		.amdhsa_wavefront_size32 1
		.amdhsa_uses_dynamic_stack 0
		.amdhsa_enable_private_segment 0
		.amdhsa_system_sgpr_workgroup_id_x 1
		.amdhsa_system_sgpr_workgroup_id_y 0
		.amdhsa_system_sgpr_workgroup_id_z 0
		.amdhsa_system_sgpr_workgroup_info 0
		.amdhsa_system_vgpr_workitem_id 0
		.amdhsa_next_free_vgpr 1
		.amdhsa_next_free_sgpr 1
		.amdhsa_reserve_vcc 0
		.amdhsa_float_round_mode_32 0
		.amdhsa_float_round_mode_16_64 0
		.amdhsa_float_denorm_mode_32 3
		.amdhsa_float_denorm_mode_16_64 3
		.amdhsa_fp16_overflow 0
		.amdhsa_workgroup_processor_mode 1
		.amdhsa_memory_ordered 1
		.amdhsa_forward_progress 1
		.amdhsa_inst_pref_size 0
		.amdhsa_round_robin_scheduling 0
		.amdhsa_exception_fp_ieee_invalid_op 0
		.amdhsa_exception_fp_denorm_src 0
		.amdhsa_exception_fp_ieee_div_zero 0
		.amdhsa_exception_fp_ieee_overflow 0
		.amdhsa_exception_fp_ieee_underflow 0
		.amdhsa_exception_fp_ieee_inexact 0
		.amdhsa_exception_int_div_zero 0
	.end_amdhsa_kernel
	.section	.text._ZN7rocprim17ROCPRIM_400000_NS6detail17trampoline_kernelINS0_14default_configENS1_25partition_config_selectorILNS1_17partition_subalgoE6EtNS0_10empty_typeEbEEZZNS1_14partition_implILS5_6ELb0ES3_mN6thrust23THRUST_200600_302600_NS6detail15normal_iteratorINSA_10device_ptrItEEEEPS6_SG_NS0_5tupleIJSF_S6_EEENSH_IJSG_SG_EEES6_PlJNSB_9not_fun_tINSB_10functional5actorINSM_9compositeIJNSM_27transparent_binary_operatorINSA_8equal_toIvEEEENSN_INSM_8argumentILj0EEEEENSM_5valueItEEEEEEEEEEEE10hipError_tPvRmT3_T4_T5_T6_T7_T9_mT8_P12ihipStream_tbDpT10_ENKUlT_T0_E_clISt17integral_constantIbLb1EES1K_EEDaS1F_S1G_EUlS1F_E_NS1_11comp_targetILNS1_3genE9ELNS1_11target_archE1100ELNS1_3gpuE3ELNS1_3repE0EEENS1_30default_config_static_selectorELNS0_4arch9wavefront6targetE0EEEvT1_,"axG",@progbits,_ZN7rocprim17ROCPRIM_400000_NS6detail17trampoline_kernelINS0_14default_configENS1_25partition_config_selectorILNS1_17partition_subalgoE6EtNS0_10empty_typeEbEEZZNS1_14partition_implILS5_6ELb0ES3_mN6thrust23THRUST_200600_302600_NS6detail15normal_iteratorINSA_10device_ptrItEEEEPS6_SG_NS0_5tupleIJSF_S6_EEENSH_IJSG_SG_EEES6_PlJNSB_9not_fun_tINSB_10functional5actorINSM_9compositeIJNSM_27transparent_binary_operatorINSA_8equal_toIvEEEENSN_INSM_8argumentILj0EEEEENSM_5valueItEEEEEEEEEEEE10hipError_tPvRmT3_T4_T5_T6_T7_T9_mT8_P12ihipStream_tbDpT10_ENKUlT_T0_E_clISt17integral_constantIbLb1EES1K_EEDaS1F_S1G_EUlS1F_E_NS1_11comp_targetILNS1_3genE9ELNS1_11target_archE1100ELNS1_3gpuE3ELNS1_3repE0EEENS1_30default_config_static_selectorELNS0_4arch9wavefront6targetE0EEEvT1_,comdat
.Lfunc_end160:
	.size	_ZN7rocprim17ROCPRIM_400000_NS6detail17trampoline_kernelINS0_14default_configENS1_25partition_config_selectorILNS1_17partition_subalgoE6EtNS0_10empty_typeEbEEZZNS1_14partition_implILS5_6ELb0ES3_mN6thrust23THRUST_200600_302600_NS6detail15normal_iteratorINSA_10device_ptrItEEEEPS6_SG_NS0_5tupleIJSF_S6_EEENSH_IJSG_SG_EEES6_PlJNSB_9not_fun_tINSB_10functional5actorINSM_9compositeIJNSM_27transparent_binary_operatorINSA_8equal_toIvEEEENSN_INSM_8argumentILj0EEEEENSM_5valueItEEEEEEEEEEEE10hipError_tPvRmT3_T4_T5_T6_T7_T9_mT8_P12ihipStream_tbDpT10_ENKUlT_T0_E_clISt17integral_constantIbLb1EES1K_EEDaS1F_S1G_EUlS1F_E_NS1_11comp_targetILNS1_3genE9ELNS1_11target_archE1100ELNS1_3gpuE3ELNS1_3repE0EEENS1_30default_config_static_selectorELNS0_4arch9wavefront6targetE0EEEvT1_, .Lfunc_end160-_ZN7rocprim17ROCPRIM_400000_NS6detail17trampoline_kernelINS0_14default_configENS1_25partition_config_selectorILNS1_17partition_subalgoE6EtNS0_10empty_typeEbEEZZNS1_14partition_implILS5_6ELb0ES3_mN6thrust23THRUST_200600_302600_NS6detail15normal_iteratorINSA_10device_ptrItEEEEPS6_SG_NS0_5tupleIJSF_S6_EEENSH_IJSG_SG_EEES6_PlJNSB_9not_fun_tINSB_10functional5actorINSM_9compositeIJNSM_27transparent_binary_operatorINSA_8equal_toIvEEEENSN_INSM_8argumentILj0EEEEENSM_5valueItEEEEEEEEEEEE10hipError_tPvRmT3_T4_T5_T6_T7_T9_mT8_P12ihipStream_tbDpT10_ENKUlT_T0_E_clISt17integral_constantIbLb1EES1K_EEDaS1F_S1G_EUlS1F_E_NS1_11comp_targetILNS1_3genE9ELNS1_11target_archE1100ELNS1_3gpuE3ELNS1_3repE0EEENS1_30default_config_static_selectorELNS0_4arch9wavefront6targetE0EEEvT1_
                                        ; -- End function
	.set _ZN7rocprim17ROCPRIM_400000_NS6detail17trampoline_kernelINS0_14default_configENS1_25partition_config_selectorILNS1_17partition_subalgoE6EtNS0_10empty_typeEbEEZZNS1_14partition_implILS5_6ELb0ES3_mN6thrust23THRUST_200600_302600_NS6detail15normal_iteratorINSA_10device_ptrItEEEEPS6_SG_NS0_5tupleIJSF_S6_EEENSH_IJSG_SG_EEES6_PlJNSB_9not_fun_tINSB_10functional5actorINSM_9compositeIJNSM_27transparent_binary_operatorINSA_8equal_toIvEEEENSN_INSM_8argumentILj0EEEEENSM_5valueItEEEEEEEEEEEE10hipError_tPvRmT3_T4_T5_T6_T7_T9_mT8_P12ihipStream_tbDpT10_ENKUlT_T0_E_clISt17integral_constantIbLb1EES1K_EEDaS1F_S1G_EUlS1F_E_NS1_11comp_targetILNS1_3genE9ELNS1_11target_archE1100ELNS1_3gpuE3ELNS1_3repE0EEENS1_30default_config_static_selectorELNS0_4arch9wavefront6targetE0EEEvT1_.num_vgpr, 0
	.set _ZN7rocprim17ROCPRIM_400000_NS6detail17trampoline_kernelINS0_14default_configENS1_25partition_config_selectorILNS1_17partition_subalgoE6EtNS0_10empty_typeEbEEZZNS1_14partition_implILS5_6ELb0ES3_mN6thrust23THRUST_200600_302600_NS6detail15normal_iteratorINSA_10device_ptrItEEEEPS6_SG_NS0_5tupleIJSF_S6_EEENSH_IJSG_SG_EEES6_PlJNSB_9not_fun_tINSB_10functional5actorINSM_9compositeIJNSM_27transparent_binary_operatorINSA_8equal_toIvEEEENSN_INSM_8argumentILj0EEEEENSM_5valueItEEEEEEEEEEEE10hipError_tPvRmT3_T4_T5_T6_T7_T9_mT8_P12ihipStream_tbDpT10_ENKUlT_T0_E_clISt17integral_constantIbLb1EES1K_EEDaS1F_S1G_EUlS1F_E_NS1_11comp_targetILNS1_3genE9ELNS1_11target_archE1100ELNS1_3gpuE3ELNS1_3repE0EEENS1_30default_config_static_selectorELNS0_4arch9wavefront6targetE0EEEvT1_.num_agpr, 0
	.set _ZN7rocprim17ROCPRIM_400000_NS6detail17trampoline_kernelINS0_14default_configENS1_25partition_config_selectorILNS1_17partition_subalgoE6EtNS0_10empty_typeEbEEZZNS1_14partition_implILS5_6ELb0ES3_mN6thrust23THRUST_200600_302600_NS6detail15normal_iteratorINSA_10device_ptrItEEEEPS6_SG_NS0_5tupleIJSF_S6_EEENSH_IJSG_SG_EEES6_PlJNSB_9not_fun_tINSB_10functional5actorINSM_9compositeIJNSM_27transparent_binary_operatorINSA_8equal_toIvEEEENSN_INSM_8argumentILj0EEEEENSM_5valueItEEEEEEEEEEEE10hipError_tPvRmT3_T4_T5_T6_T7_T9_mT8_P12ihipStream_tbDpT10_ENKUlT_T0_E_clISt17integral_constantIbLb1EES1K_EEDaS1F_S1G_EUlS1F_E_NS1_11comp_targetILNS1_3genE9ELNS1_11target_archE1100ELNS1_3gpuE3ELNS1_3repE0EEENS1_30default_config_static_selectorELNS0_4arch9wavefront6targetE0EEEvT1_.numbered_sgpr, 0
	.set _ZN7rocprim17ROCPRIM_400000_NS6detail17trampoline_kernelINS0_14default_configENS1_25partition_config_selectorILNS1_17partition_subalgoE6EtNS0_10empty_typeEbEEZZNS1_14partition_implILS5_6ELb0ES3_mN6thrust23THRUST_200600_302600_NS6detail15normal_iteratorINSA_10device_ptrItEEEEPS6_SG_NS0_5tupleIJSF_S6_EEENSH_IJSG_SG_EEES6_PlJNSB_9not_fun_tINSB_10functional5actorINSM_9compositeIJNSM_27transparent_binary_operatorINSA_8equal_toIvEEEENSN_INSM_8argumentILj0EEEEENSM_5valueItEEEEEEEEEEEE10hipError_tPvRmT3_T4_T5_T6_T7_T9_mT8_P12ihipStream_tbDpT10_ENKUlT_T0_E_clISt17integral_constantIbLb1EES1K_EEDaS1F_S1G_EUlS1F_E_NS1_11comp_targetILNS1_3genE9ELNS1_11target_archE1100ELNS1_3gpuE3ELNS1_3repE0EEENS1_30default_config_static_selectorELNS0_4arch9wavefront6targetE0EEEvT1_.num_named_barrier, 0
	.set _ZN7rocprim17ROCPRIM_400000_NS6detail17trampoline_kernelINS0_14default_configENS1_25partition_config_selectorILNS1_17partition_subalgoE6EtNS0_10empty_typeEbEEZZNS1_14partition_implILS5_6ELb0ES3_mN6thrust23THRUST_200600_302600_NS6detail15normal_iteratorINSA_10device_ptrItEEEEPS6_SG_NS0_5tupleIJSF_S6_EEENSH_IJSG_SG_EEES6_PlJNSB_9not_fun_tINSB_10functional5actorINSM_9compositeIJNSM_27transparent_binary_operatorINSA_8equal_toIvEEEENSN_INSM_8argumentILj0EEEEENSM_5valueItEEEEEEEEEEEE10hipError_tPvRmT3_T4_T5_T6_T7_T9_mT8_P12ihipStream_tbDpT10_ENKUlT_T0_E_clISt17integral_constantIbLb1EES1K_EEDaS1F_S1G_EUlS1F_E_NS1_11comp_targetILNS1_3genE9ELNS1_11target_archE1100ELNS1_3gpuE3ELNS1_3repE0EEENS1_30default_config_static_selectorELNS0_4arch9wavefront6targetE0EEEvT1_.private_seg_size, 0
	.set _ZN7rocprim17ROCPRIM_400000_NS6detail17trampoline_kernelINS0_14default_configENS1_25partition_config_selectorILNS1_17partition_subalgoE6EtNS0_10empty_typeEbEEZZNS1_14partition_implILS5_6ELb0ES3_mN6thrust23THRUST_200600_302600_NS6detail15normal_iteratorINSA_10device_ptrItEEEEPS6_SG_NS0_5tupleIJSF_S6_EEENSH_IJSG_SG_EEES6_PlJNSB_9not_fun_tINSB_10functional5actorINSM_9compositeIJNSM_27transparent_binary_operatorINSA_8equal_toIvEEEENSN_INSM_8argumentILj0EEEEENSM_5valueItEEEEEEEEEEEE10hipError_tPvRmT3_T4_T5_T6_T7_T9_mT8_P12ihipStream_tbDpT10_ENKUlT_T0_E_clISt17integral_constantIbLb1EES1K_EEDaS1F_S1G_EUlS1F_E_NS1_11comp_targetILNS1_3genE9ELNS1_11target_archE1100ELNS1_3gpuE3ELNS1_3repE0EEENS1_30default_config_static_selectorELNS0_4arch9wavefront6targetE0EEEvT1_.uses_vcc, 0
	.set _ZN7rocprim17ROCPRIM_400000_NS6detail17trampoline_kernelINS0_14default_configENS1_25partition_config_selectorILNS1_17partition_subalgoE6EtNS0_10empty_typeEbEEZZNS1_14partition_implILS5_6ELb0ES3_mN6thrust23THRUST_200600_302600_NS6detail15normal_iteratorINSA_10device_ptrItEEEEPS6_SG_NS0_5tupleIJSF_S6_EEENSH_IJSG_SG_EEES6_PlJNSB_9not_fun_tINSB_10functional5actorINSM_9compositeIJNSM_27transparent_binary_operatorINSA_8equal_toIvEEEENSN_INSM_8argumentILj0EEEEENSM_5valueItEEEEEEEEEEEE10hipError_tPvRmT3_T4_T5_T6_T7_T9_mT8_P12ihipStream_tbDpT10_ENKUlT_T0_E_clISt17integral_constantIbLb1EES1K_EEDaS1F_S1G_EUlS1F_E_NS1_11comp_targetILNS1_3genE9ELNS1_11target_archE1100ELNS1_3gpuE3ELNS1_3repE0EEENS1_30default_config_static_selectorELNS0_4arch9wavefront6targetE0EEEvT1_.uses_flat_scratch, 0
	.set _ZN7rocprim17ROCPRIM_400000_NS6detail17trampoline_kernelINS0_14default_configENS1_25partition_config_selectorILNS1_17partition_subalgoE6EtNS0_10empty_typeEbEEZZNS1_14partition_implILS5_6ELb0ES3_mN6thrust23THRUST_200600_302600_NS6detail15normal_iteratorINSA_10device_ptrItEEEEPS6_SG_NS0_5tupleIJSF_S6_EEENSH_IJSG_SG_EEES6_PlJNSB_9not_fun_tINSB_10functional5actorINSM_9compositeIJNSM_27transparent_binary_operatorINSA_8equal_toIvEEEENSN_INSM_8argumentILj0EEEEENSM_5valueItEEEEEEEEEEEE10hipError_tPvRmT3_T4_T5_T6_T7_T9_mT8_P12ihipStream_tbDpT10_ENKUlT_T0_E_clISt17integral_constantIbLb1EES1K_EEDaS1F_S1G_EUlS1F_E_NS1_11comp_targetILNS1_3genE9ELNS1_11target_archE1100ELNS1_3gpuE3ELNS1_3repE0EEENS1_30default_config_static_selectorELNS0_4arch9wavefront6targetE0EEEvT1_.has_dyn_sized_stack, 0
	.set _ZN7rocprim17ROCPRIM_400000_NS6detail17trampoline_kernelINS0_14default_configENS1_25partition_config_selectorILNS1_17partition_subalgoE6EtNS0_10empty_typeEbEEZZNS1_14partition_implILS5_6ELb0ES3_mN6thrust23THRUST_200600_302600_NS6detail15normal_iteratorINSA_10device_ptrItEEEEPS6_SG_NS0_5tupleIJSF_S6_EEENSH_IJSG_SG_EEES6_PlJNSB_9not_fun_tINSB_10functional5actorINSM_9compositeIJNSM_27transparent_binary_operatorINSA_8equal_toIvEEEENSN_INSM_8argumentILj0EEEEENSM_5valueItEEEEEEEEEEEE10hipError_tPvRmT3_T4_T5_T6_T7_T9_mT8_P12ihipStream_tbDpT10_ENKUlT_T0_E_clISt17integral_constantIbLb1EES1K_EEDaS1F_S1G_EUlS1F_E_NS1_11comp_targetILNS1_3genE9ELNS1_11target_archE1100ELNS1_3gpuE3ELNS1_3repE0EEENS1_30default_config_static_selectorELNS0_4arch9wavefront6targetE0EEEvT1_.has_recursion, 0
	.set _ZN7rocprim17ROCPRIM_400000_NS6detail17trampoline_kernelINS0_14default_configENS1_25partition_config_selectorILNS1_17partition_subalgoE6EtNS0_10empty_typeEbEEZZNS1_14partition_implILS5_6ELb0ES3_mN6thrust23THRUST_200600_302600_NS6detail15normal_iteratorINSA_10device_ptrItEEEEPS6_SG_NS0_5tupleIJSF_S6_EEENSH_IJSG_SG_EEES6_PlJNSB_9not_fun_tINSB_10functional5actorINSM_9compositeIJNSM_27transparent_binary_operatorINSA_8equal_toIvEEEENSN_INSM_8argumentILj0EEEEENSM_5valueItEEEEEEEEEEEE10hipError_tPvRmT3_T4_T5_T6_T7_T9_mT8_P12ihipStream_tbDpT10_ENKUlT_T0_E_clISt17integral_constantIbLb1EES1K_EEDaS1F_S1G_EUlS1F_E_NS1_11comp_targetILNS1_3genE9ELNS1_11target_archE1100ELNS1_3gpuE3ELNS1_3repE0EEENS1_30default_config_static_selectorELNS0_4arch9wavefront6targetE0EEEvT1_.has_indirect_call, 0
	.section	.AMDGPU.csdata,"",@progbits
; Kernel info:
; codeLenInByte = 0
; TotalNumSgprs: 0
; NumVgprs: 0
; ScratchSize: 0
; MemoryBound: 0
; FloatMode: 240
; IeeeMode: 1
; LDSByteSize: 0 bytes/workgroup (compile time only)
; SGPRBlocks: 0
; VGPRBlocks: 0
; NumSGPRsForWavesPerEU: 1
; NumVGPRsForWavesPerEU: 1
; Occupancy: 16
; WaveLimiterHint : 0
; COMPUTE_PGM_RSRC2:SCRATCH_EN: 0
; COMPUTE_PGM_RSRC2:USER_SGPR: 2
; COMPUTE_PGM_RSRC2:TRAP_HANDLER: 0
; COMPUTE_PGM_RSRC2:TGID_X_EN: 1
; COMPUTE_PGM_RSRC2:TGID_Y_EN: 0
; COMPUTE_PGM_RSRC2:TGID_Z_EN: 0
; COMPUTE_PGM_RSRC2:TIDIG_COMP_CNT: 0
	.section	.text._ZN7rocprim17ROCPRIM_400000_NS6detail17trampoline_kernelINS0_14default_configENS1_25partition_config_selectorILNS1_17partition_subalgoE6EtNS0_10empty_typeEbEEZZNS1_14partition_implILS5_6ELb0ES3_mN6thrust23THRUST_200600_302600_NS6detail15normal_iteratorINSA_10device_ptrItEEEEPS6_SG_NS0_5tupleIJSF_S6_EEENSH_IJSG_SG_EEES6_PlJNSB_9not_fun_tINSB_10functional5actorINSM_9compositeIJNSM_27transparent_binary_operatorINSA_8equal_toIvEEEENSN_INSM_8argumentILj0EEEEENSM_5valueItEEEEEEEEEEEE10hipError_tPvRmT3_T4_T5_T6_T7_T9_mT8_P12ihipStream_tbDpT10_ENKUlT_T0_E_clISt17integral_constantIbLb1EES1K_EEDaS1F_S1G_EUlS1F_E_NS1_11comp_targetILNS1_3genE8ELNS1_11target_archE1030ELNS1_3gpuE2ELNS1_3repE0EEENS1_30default_config_static_selectorELNS0_4arch9wavefront6targetE0EEEvT1_,"axG",@progbits,_ZN7rocprim17ROCPRIM_400000_NS6detail17trampoline_kernelINS0_14default_configENS1_25partition_config_selectorILNS1_17partition_subalgoE6EtNS0_10empty_typeEbEEZZNS1_14partition_implILS5_6ELb0ES3_mN6thrust23THRUST_200600_302600_NS6detail15normal_iteratorINSA_10device_ptrItEEEEPS6_SG_NS0_5tupleIJSF_S6_EEENSH_IJSG_SG_EEES6_PlJNSB_9not_fun_tINSB_10functional5actorINSM_9compositeIJNSM_27transparent_binary_operatorINSA_8equal_toIvEEEENSN_INSM_8argumentILj0EEEEENSM_5valueItEEEEEEEEEEEE10hipError_tPvRmT3_T4_T5_T6_T7_T9_mT8_P12ihipStream_tbDpT10_ENKUlT_T0_E_clISt17integral_constantIbLb1EES1K_EEDaS1F_S1G_EUlS1F_E_NS1_11comp_targetILNS1_3genE8ELNS1_11target_archE1030ELNS1_3gpuE2ELNS1_3repE0EEENS1_30default_config_static_selectorELNS0_4arch9wavefront6targetE0EEEvT1_,comdat
	.protected	_ZN7rocprim17ROCPRIM_400000_NS6detail17trampoline_kernelINS0_14default_configENS1_25partition_config_selectorILNS1_17partition_subalgoE6EtNS0_10empty_typeEbEEZZNS1_14partition_implILS5_6ELb0ES3_mN6thrust23THRUST_200600_302600_NS6detail15normal_iteratorINSA_10device_ptrItEEEEPS6_SG_NS0_5tupleIJSF_S6_EEENSH_IJSG_SG_EEES6_PlJNSB_9not_fun_tINSB_10functional5actorINSM_9compositeIJNSM_27transparent_binary_operatorINSA_8equal_toIvEEEENSN_INSM_8argumentILj0EEEEENSM_5valueItEEEEEEEEEEEE10hipError_tPvRmT3_T4_T5_T6_T7_T9_mT8_P12ihipStream_tbDpT10_ENKUlT_T0_E_clISt17integral_constantIbLb1EES1K_EEDaS1F_S1G_EUlS1F_E_NS1_11comp_targetILNS1_3genE8ELNS1_11target_archE1030ELNS1_3gpuE2ELNS1_3repE0EEENS1_30default_config_static_selectorELNS0_4arch9wavefront6targetE0EEEvT1_ ; -- Begin function _ZN7rocprim17ROCPRIM_400000_NS6detail17trampoline_kernelINS0_14default_configENS1_25partition_config_selectorILNS1_17partition_subalgoE6EtNS0_10empty_typeEbEEZZNS1_14partition_implILS5_6ELb0ES3_mN6thrust23THRUST_200600_302600_NS6detail15normal_iteratorINSA_10device_ptrItEEEEPS6_SG_NS0_5tupleIJSF_S6_EEENSH_IJSG_SG_EEES6_PlJNSB_9not_fun_tINSB_10functional5actorINSM_9compositeIJNSM_27transparent_binary_operatorINSA_8equal_toIvEEEENSN_INSM_8argumentILj0EEEEENSM_5valueItEEEEEEEEEEEE10hipError_tPvRmT3_T4_T5_T6_T7_T9_mT8_P12ihipStream_tbDpT10_ENKUlT_T0_E_clISt17integral_constantIbLb1EES1K_EEDaS1F_S1G_EUlS1F_E_NS1_11comp_targetILNS1_3genE8ELNS1_11target_archE1030ELNS1_3gpuE2ELNS1_3repE0EEENS1_30default_config_static_selectorELNS0_4arch9wavefront6targetE0EEEvT1_
	.globl	_ZN7rocprim17ROCPRIM_400000_NS6detail17trampoline_kernelINS0_14default_configENS1_25partition_config_selectorILNS1_17partition_subalgoE6EtNS0_10empty_typeEbEEZZNS1_14partition_implILS5_6ELb0ES3_mN6thrust23THRUST_200600_302600_NS6detail15normal_iteratorINSA_10device_ptrItEEEEPS6_SG_NS0_5tupleIJSF_S6_EEENSH_IJSG_SG_EEES6_PlJNSB_9not_fun_tINSB_10functional5actorINSM_9compositeIJNSM_27transparent_binary_operatorINSA_8equal_toIvEEEENSN_INSM_8argumentILj0EEEEENSM_5valueItEEEEEEEEEEEE10hipError_tPvRmT3_T4_T5_T6_T7_T9_mT8_P12ihipStream_tbDpT10_ENKUlT_T0_E_clISt17integral_constantIbLb1EES1K_EEDaS1F_S1G_EUlS1F_E_NS1_11comp_targetILNS1_3genE8ELNS1_11target_archE1030ELNS1_3gpuE2ELNS1_3repE0EEENS1_30default_config_static_selectorELNS0_4arch9wavefront6targetE0EEEvT1_
	.p2align	8
	.type	_ZN7rocprim17ROCPRIM_400000_NS6detail17trampoline_kernelINS0_14default_configENS1_25partition_config_selectorILNS1_17partition_subalgoE6EtNS0_10empty_typeEbEEZZNS1_14partition_implILS5_6ELb0ES3_mN6thrust23THRUST_200600_302600_NS6detail15normal_iteratorINSA_10device_ptrItEEEEPS6_SG_NS0_5tupleIJSF_S6_EEENSH_IJSG_SG_EEES6_PlJNSB_9not_fun_tINSB_10functional5actorINSM_9compositeIJNSM_27transparent_binary_operatorINSA_8equal_toIvEEEENSN_INSM_8argumentILj0EEEEENSM_5valueItEEEEEEEEEEEE10hipError_tPvRmT3_T4_T5_T6_T7_T9_mT8_P12ihipStream_tbDpT10_ENKUlT_T0_E_clISt17integral_constantIbLb1EES1K_EEDaS1F_S1G_EUlS1F_E_NS1_11comp_targetILNS1_3genE8ELNS1_11target_archE1030ELNS1_3gpuE2ELNS1_3repE0EEENS1_30default_config_static_selectorELNS0_4arch9wavefront6targetE0EEEvT1_,@function
_ZN7rocprim17ROCPRIM_400000_NS6detail17trampoline_kernelINS0_14default_configENS1_25partition_config_selectorILNS1_17partition_subalgoE6EtNS0_10empty_typeEbEEZZNS1_14partition_implILS5_6ELb0ES3_mN6thrust23THRUST_200600_302600_NS6detail15normal_iteratorINSA_10device_ptrItEEEEPS6_SG_NS0_5tupleIJSF_S6_EEENSH_IJSG_SG_EEES6_PlJNSB_9not_fun_tINSB_10functional5actorINSM_9compositeIJNSM_27transparent_binary_operatorINSA_8equal_toIvEEEENSN_INSM_8argumentILj0EEEEENSM_5valueItEEEEEEEEEEEE10hipError_tPvRmT3_T4_T5_T6_T7_T9_mT8_P12ihipStream_tbDpT10_ENKUlT_T0_E_clISt17integral_constantIbLb1EES1K_EEDaS1F_S1G_EUlS1F_E_NS1_11comp_targetILNS1_3genE8ELNS1_11target_archE1030ELNS1_3gpuE2ELNS1_3repE0EEENS1_30default_config_static_selectorELNS0_4arch9wavefront6targetE0EEEvT1_: ; @_ZN7rocprim17ROCPRIM_400000_NS6detail17trampoline_kernelINS0_14default_configENS1_25partition_config_selectorILNS1_17partition_subalgoE6EtNS0_10empty_typeEbEEZZNS1_14partition_implILS5_6ELb0ES3_mN6thrust23THRUST_200600_302600_NS6detail15normal_iteratorINSA_10device_ptrItEEEEPS6_SG_NS0_5tupleIJSF_S6_EEENSH_IJSG_SG_EEES6_PlJNSB_9not_fun_tINSB_10functional5actorINSM_9compositeIJNSM_27transparent_binary_operatorINSA_8equal_toIvEEEENSN_INSM_8argumentILj0EEEEENSM_5valueItEEEEEEEEEEEE10hipError_tPvRmT3_T4_T5_T6_T7_T9_mT8_P12ihipStream_tbDpT10_ENKUlT_T0_E_clISt17integral_constantIbLb1EES1K_EEDaS1F_S1G_EUlS1F_E_NS1_11comp_targetILNS1_3genE8ELNS1_11target_archE1030ELNS1_3gpuE2ELNS1_3repE0EEENS1_30default_config_static_selectorELNS0_4arch9wavefront6targetE0EEEvT1_
; %bb.0:
	.section	.rodata,"a",@progbits
	.p2align	6, 0x0
	.amdhsa_kernel _ZN7rocprim17ROCPRIM_400000_NS6detail17trampoline_kernelINS0_14default_configENS1_25partition_config_selectorILNS1_17partition_subalgoE6EtNS0_10empty_typeEbEEZZNS1_14partition_implILS5_6ELb0ES3_mN6thrust23THRUST_200600_302600_NS6detail15normal_iteratorINSA_10device_ptrItEEEEPS6_SG_NS0_5tupleIJSF_S6_EEENSH_IJSG_SG_EEES6_PlJNSB_9not_fun_tINSB_10functional5actorINSM_9compositeIJNSM_27transparent_binary_operatorINSA_8equal_toIvEEEENSN_INSM_8argumentILj0EEEEENSM_5valueItEEEEEEEEEEEE10hipError_tPvRmT3_T4_T5_T6_T7_T9_mT8_P12ihipStream_tbDpT10_ENKUlT_T0_E_clISt17integral_constantIbLb1EES1K_EEDaS1F_S1G_EUlS1F_E_NS1_11comp_targetILNS1_3genE8ELNS1_11target_archE1030ELNS1_3gpuE2ELNS1_3repE0EEENS1_30default_config_static_selectorELNS0_4arch9wavefront6targetE0EEEvT1_
		.amdhsa_group_segment_fixed_size 0
		.amdhsa_private_segment_fixed_size 0
		.amdhsa_kernarg_size 128
		.amdhsa_user_sgpr_count 2
		.amdhsa_user_sgpr_dispatch_ptr 0
		.amdhsa_user_sgpr_queue_ptr 0
		.amdhsa_user_sgpr_kernarg_segment_ptr 1
		.amdhsa_user_sgpr_dispatch_id 0
		.amdhsa_user_sgpr_private_segment_size 0
		.amdhsa_wavefront_size32 1
		.amdhsa_uses_dynamic_stack 0
		.amdhsa_enable_private_segment 0
		.amdhsa_system_sgpr_workgroup_id_x 1
		.amdhsa_system_sgpr_workgroup_id_y 0
		.amdhsa_system_sgpr_workgroup_id_z 0
		.amdhsa_system_sgpr_workgroup_info 0
		.amdhsa_system_vgpr_workitem_id 0
		.amdhsa_next_free_vgpr 1
		.amdhsa_next_free_sgpr 1
		.amdhsa_reserve_vcc 0
		.amdhsa_float_round_mode_32 0
		.amdhsa_float_round_mode_16_64 0
		.amdhsa_float_denorm_mode_32 3
		.amdhsa_float_denorm_mode_16_64 3
		.amdhsa_fp16_overflow 0
		.amdhsa_workgroup_processor_mode 1
		.amdhsa_memory_ordered 1
		.amdhsa_forward_progress 1
		.amdhsa_inst_pref_size 0
		.amdhsa_round_robin_scheduling 0
		.amdhsa_exception_fp_ieee_invalid_op 0
		.amdhsa_exception_fp_denorm_src 0
		.amdhsa_exception_fp_ieee_div_zero 0
		.amdhsa_exception_fp_ieee_overflow 0
		.amdhsa_exception_fp_ieee_underflow 0
		.amdhsa_exception_fp_ieee_inexact 0
		.amdhsa_exception_int_div_zero 0
	.end_amdhsa_kernel
	.section	.text._ZN7rocprim17ROCPRIM_400000_NS6detail17trampoline_kernelINS0_14default_configENS1_25partition_config_selectorILNS1_17partition_subalgoE6EtNS0_10empty_typeEbEEZZNS1_14partition_implILS5_6ELb0ES3_mN6thrust23THRUST_200600_302600_NS6detail15normal_iteratorINSA_10device_ptrItEEEEPS6_SG_NS0_5tupleIJSF_S6_EEENSH_IJSG_SG_EEES6_PlJNSB_9not_fun_tINSB_10functional5actorINSM_9compositeIJNSM_27transparent_binary_operatorINSA_8equal_toIvEEEENSN_INSM_8argumentILj0EEEEENSM_5valueItEEEEEEEEEEEE10hipError_tPvRmT3_T4_T5_T6_T7_T9_mT8_P12ihipStream_tbDpT10_ENKUlT_T0_E_clISt17integral_constantIbLb1EES1K_EEDaS1F_S1G_EUlS1F_E_NS1_11comp_targetILNS1_3genE8ELNS1_11target_archE1030ELNS1_3gpuE2ELNS1_3repE0EEENS1_30default_config_static_selectorELNS0_4arch9wavefront6targetE0EEEvT1_,"axG",@progbits,_ZN7rocprim17ROCPRIM_400000_NS6detail17trampoline_kernelINS0_14default_configENS1_25partition_config_selectorILNS1_17partition_subalgoE6EtNS0_10empty_typeEbEEZZNS1_14partition_implILS5_6ELb0ES3_mN6thrust23THRUST_200600_302600_NS6detail15normal_iteratorINSA_10device_ptrItEEEEPS6_SG_NS0_5tupleIJSF_S6_EEENSH_IJSG_SG_EEES6_PlJNSB_9not_fun_tINSB_10functional5actorINSM_9compositeIJNSM_27transparent_binary_operatorINSA_8equal_toIvEEEENSN_INSM_8argumentILj0EEEEENSM_5valueItEEEEEEEEEEEE10hipError_tPvRmT3_T4_T5_T6_T7_T9_mT8_P12ihipStream_tbDpT10_ENKUlT_T0_E_clISt17integral_constantIbLb1EES1K_EEDaS1F_S1G_EUlS1F_E_NS1_11comp_targetILNS1_3genE8ELNS1_11target_archE1030ELNS1_3gpuE2ELNS1_3repE0EEENS1_30default_config_static_selectorELNS0_4arch9wavefront6targetE0EEEvT1_,comdat
.Lfunc_end161:
	.size	_ZN7rocprim17ROCPRIM_400000_NS6detail17trampoline_kernelINS0_14default_configENS1_25partition_config_selectorILNS1_17partition_subalgoE6EtNS0_10empty_typeEbEEZZNS1_14partition_implILS5_6ELb0ES3_mN6thrust23THRUST_200600_302600_NS6detail15normal_iteratorINSA_10device_ptrItEEEEPS6_SG_NS0_5tupleIJSF_S6_EEENSH_IJSG_SG_EEES6_PlJNSB_9not_fun_tINSB_10functional5actorINSM_9compositeIJNSM_27transparent_binary_operatorINSA_8equal_toIvEEEENSN_INSM_8argumentILj0EEEEENSM_5valueItEEEEEEEEEEEE10hipError_tPvRmT3_T4_T5_T6_T7_T9_mT8_P12ihipStream_tbDpT10_ENKUlT_T0_E_clISt17integral_constantIbLb1EES1K_EEDaS1F_S1G_EUlS1F_E_NS1_11comp_targetILNS1_3genE8ELNS1_11target_archE1030ELNS1_3gpuE2ELNS1_3repE0EEENS1_30default_config_static_selectorELNS0_4arch9wavefront6targetE0EEEvT1_, .Lfunc_end161-_ZN7rocprim17ROCPRIM_400000_NS6detail17trampoline_kernelINS0_14default_configENS1_25partition_config_selectorILNS1_17partition_subalgoE6EtNS0_10empty_typeEbEEZZNS1_14partition_implILS5_6ELb0ES3_mN6thrust23THRUST_200600_302600_NS6detail15normal_iteratorINSA_10device_ptrItEEEEPS6_SG_NS0_5tupleIJSF_S6_EEENSH_IJSG_SG_EEES6_PlJNSB_9not_fun_tINSB_10functional5actorINSM_9compositeIJNSM_27transparent_binary_operatorINSA_8equal_toIvEEEENSN_INSM_8argumentILj0EEEEENSM_5valueItEEEEEEEEEEEE10hipError_tPvRmT3_T4_T5_T6_T7_T9_mT8_P12ihipStream_tbDpT10_ENKUlT_T0_E_clISt17integral_constantIbLb1EES1K_EEDaS1F_S1G_EUlS1F_E_NS1_11comp_targetILNS1_3genE8ELNS1_11target_archE1030ELNS1_3gpuE2ELNS1_3repE0EEENS1_30default_config_static_selectorELNS0_4arch9wavefront6targetE0EEEvT1_
                                        ; -- End function
	.set _ZN7rocprim17ROCPRIM_400000_NS6detail17trampoline_kernelINS0_14default_configENS1_25partition_config_selectorILNS1_17partition_subalgoE6EtNS0_10empty_typeEbEEZZNS1_14partition_implILS5_6ELb0ES3_mN6thrust23THRUST_200600_302600_NS6detail15normal_iteratorINSA_10device_ptrItEEEEPS6_SG_NS0_5tupleIJSF_S6_EEENSH_IJSG_SG_EEES6_PlJNSB_9not_fun_tINSB_10functional5actorINSM_9compositeIJNSM_27transparent_binary_operatorINSA_8equal_toIvEEEENSN_INSM_8argumentILj0EEEEENSM_5valueItEEEEEEEEEEEE10hipError_tPvRmT3_T4_T5_T6_T7_T9_mT8_P12ihipStream_tbDpT10_ENKUlT_T0_E_clISt17integral_constantIbLb1EES1K_EEDaS1F_S1G_EUlS1F_E_NS1_11comp_targetILNS1_3genE8ELNS1_11target_archE1030ELNS1_3gpuE2ELNS1_3repE0EEENS1_30default_config_static_selectorELNS0_4arch9wavefront6targetE0EEEvT1_.num_vgpr, 0
	.set _ZN7rocprim17ROCPRIM_400000_NS6detail17trampoline_kernelINS0_14default_configENS1_25partition_config_selectorILNS1_17partition_subalgoE6EtNS0_10empty_typeEbEEZZNS1_14partition_implILS5_6ELb0ES3_mN6thrust23THRUST_200600_302600_NS6detail15normal_iteratorINSA_10device_ptrItEEEEPS6_SG_NS0_5tupleIJSF_S6_EEENSH_IJSG_SG_EEES6_PlJNSB_9not_fun_tINSB_10functional5actorINSM_9compositeIJNSM_27transparent_binary_operatorINSA_8equal_toIvEEEENSN_INSM_8argumentILj0EEEEENSM_5valueItEEEEEEEEEEEE10hipError_tPvRmT3_T4_T5_T6_T7_T9_mT8_P12ihipStream_tbDpT10_ENKUlT_T0_E_clISt17integral_constantIbLb1EES1K_EEDaS1F_S1G_EUlS1F_E_NS1_11comp_targetILNS1_3genE8ELNS1_11target_archE1030ELNS1_3gpuE2ELNS1_3repE0EEENS1_30default_config_static_selectorELNS0_4arch9wavefront6targetE0EEEvT1_.num_agpr, 0
	.set _ZN7rocprim17ROCPRIM_400000_NS6detail17trampoline_kernelINS0_14default_configENS1_25partition_config_selectorILNS1_17partition_subalgoE6EtNS0_10empty_typeEbEEZZNS1_14partition_implILS5_6ELb0ES3_mN6thrust23THRUST_200600_302600_NS6detail15normal_iteratorINSA_10device_ptrItEEEEPS6_SG_NS0_5tupleIJSF_S6_EEENSH_IJSG_SG_EEES6_PlJNSB_9not_fun_tINSB_10functional5actorINSM_9compositeIJNSM_27transparent_binary_operatorINSA_8equal_toIvEEEENSN_INSM_8argumentILj0EEEEENSM_5valueItEEEEEEEEEEEE10hipError_tPvRmT3_T4_T5_T6_T7_T9_mT8_P12ihipStream_tbDpT10_ENKUlT_T0_E_clISt17integral_constantIbLb1EES1K_EEDaS1F_S1G_EUlS1F_E_NS1_11comp_targetILNS1_3genE8ELNS1_11target_archE1030ELNS1_3gpuE2ELNS1_3repE0EEENS1_30default_config_static_selectorELNS0_4arch9wavefront6targetE0EEEvT1_.numbered_sgpr, 0
	.set _ZN7rocprim17ROCPRIM_400000_NS6detail17trampoline_kernelINS0_14default_configENS1_25partition_config_selectorILNS1_17partition_subalgoE6EtNS0_10empty_typeEbEEZZNS1_14partition_implILS5_6ELb0ES3_mN6thrust23THRUST_200600_302600_NS6detail15normal_iteratorINSA_10device_ptrItEEEEPS6_SG_NS0_5tupleIJSF_S6_EEENSH_IJSG_SG_EEES6_PlJNSB_9not_fun_tINSB_10functional5actorINSM_9compositeIJNSM_27transparent_binary_operatorINSA_8equal_toIvEEEENSN_INSM_8argumentILj0EEEEENSM_5valueItEEEEEEEEEEEE10hipError_tPvRmT3_T4_T5_T6_T7_T9_mT8_P12ihipStream_tbDpT10_ENKUlT_T0_E_clISt17integral_constantIbLb1EES1K_EEDaS1F_S1G_EUlS1F_E_NS1_11comp_targetILNS1_3genE8ELNS1_11target_archE1030ELNS1_3gpuE2ELNS1_3repE0EEENS1_30default_config_static_selectorELNS0_4arch9wavefront6targetE0EEEvT1_.num_named_barrier, 0
	.set _ZN7rocprim17ROCPRIM_400000_NS6detail17trampoline_kernelINS0_14default_configENS1_25partition_config_selectorILNS1_17partition_subalgoE6EtNS0_10empty_typeEbEEZZNS1_14partition_implILS5_6ELb0ES3_mN6thrust23THRUST_200600_302600_NS6detail15normal_iteratorINSA_10device_ptrItEEEEPS6_SG_NS0_5tupleIJSF_S6_EEENSH_IJSG_SG_EEES6_PlJNSB_9not_fun_tINSB_10functional5actorINSM_9compositeIJNSM_27transparent_binary_operatorINSA_8equal_toIvEEEENSN_INSM_8argumentILj0EEEEENSM_5valueItEEEEEEEEEEEE10hipError_tPvRmT3_T4_T5_T6_T7_T9_mT8_P12ihipStream_tbDpT10_ENKUlT_T0_E_clISt17integral_constantIbLb1EES1K_EEDaS1F_S1G_EUlS1F_E_NS1_11comp_targetILNS1_3genE8ELNS1_11target_archE1030ELNS1_3gpuE2ELNS1_3repE0EEENS1_30default_config_static_selectorELNS0_4arch9wavefront6targetE0EEEvT1_.private_seg_size, 0
	.set _ZN7rocprim17ROCPRIM_400000_NS6detail17trampoline_kernelINS0_14default_configENS1_25partition_config_selectorILNS1_17partition_subalgoE6EtNS0_10empty_typeEbEEZZNS1_14partition_implILS5_6ELb0ES3_mN6thrust23THRUST_200600_302600_NS6detail15normal_iteratorINSA_10device_ptrItEEEEPS6_SG_NS0_5tupleIJSF_S6_EEENSH_IJSG_SG_EEES6_PlJNSB_9not_fun_tINSB_10functional5actorINSM_9compositeIJNSM_27transparent_binary_operatorINSA_8equal_toIvEEEENSN_INSM_8argumentILj0EEEEENSM_5valueItEEEEEEEEEEEE10hipError_tPvRmT3_T4_T5_T6_T7_T9_mT8_P12ihipStream_tbDpT10_ENKUlT_T0_E_clISt17integral_constantIbLb1EES1K_EEDaS1F_S1G_EUlS1F_E_NS1_11comp_targetILNS1_3genE8ELNS1_11target_archE1030ELNS1_3gpuE2ELNS1_3repE0EEENS1_30default_config_static_selectorELNS0_4arch9wavefront6targetE0EEEvT1_.uses_vcc, 0
	.set _ZN7rocprim17ROCPRIM_400000_NS6detail17trampoline_kernelINS0_14default_configENS1_25partition_config_selectorILNS1_17partition_subalgoE6EtNS0_10empty_typeEbEEZZNS1_14partition_implILS5_6ELb0ES3_mN6thrust23THRUST_200600_302600_NS6detail15normal_iteratorINSA_10device_ptrItEEEEPS6_SG_NS0_5tupleIJSF_S6_EEENSH_IJSG_SG_EEES6_PlJNSB_9not_fun_tINSB_10functional5actorINSM_9compositeIJNSM_27transparent_binary_operatorINSA_8equal_toIvEEEENSN_INSM_8argumentILj0EEEEENSM_5valueItEEEEEEEEEEEE10hipError_tPvRmT3_T4_T5_T6_T7_T9_mT8_P12ihipStream_tbDpT10_ENKUlT_T0_E_clISt17integral_constantIbLb1EES1K_EEDaS1F_S1G_EUlS1F_E_NS1_11comp_targetILNS1_3genE8ELNS1_11target_archE1030ELNS1_3gpuE2ELNS1_3repE0EEENS1_30default_config_static_selectorELNS0_4arch9wavefront6targetE0EEEvT1_.uses_flat_scratch, 0
	.set _ZN7rocprim17ROCPRIM_400000_NS6detail17trampoline_kernelINS0_14default_configENS1_25partition_config_selectorILNS1_17partition_subalgoE6EtNS0_10empty_typeEbEEZZNS1_14partition_implILS5_6ELb0ES3_mN6thrust23THRUST_200600_302600_NS6detail15normal_iteratorINSA_10device_ptrItEEEEPS6_SG_NS0_5tupleIJSF_S6_EEENSH_IJSG_SG_EEES6_PlJNSB_9not_fun_tINSB_10functional5actorINSM_9compositeIJNSM_27transparent_binary_operatorINSA_8equal_toIvEEEENSN_INSM_8argumentILj0EEEEENSM_5valueItEEEEEEEEEEEE10hipError_tPvRmT3_T4_T5_T6_T7_T9_mT8_P12ihipStream_tbDpT10_ENKUlT_T0_E_clISt17integral_constantIbLb1EES1K_EEDaS1F_S1G_EUlS1F_E_NS1_11comp_targetILNS1_3genE8ELNS1_11target_archE1030ELNS1_3gpuE2ELNS1_3repE0EEENS1_30default_config_static_selectorELNS0_4arch9wavefront6targetE0EEEvT1_.has_dyn_sized_stack, 0
	.set _ZN7rocprim17ROCPRIM_400000_NS6detail17trampoline_kernelINS0_14default_configENS1_25partition_config_selectorILNS1_17partition_subalgoE6EtNS0_10empty_typeEbEEZZNS1_14partition_implILS5_6ELb0ES3_mN6thrust23THRUST_200600_302600_NS6detail15normal_iteratorINSA_10device_ptrItEEEEPS6_SG_NS0_5tupleIJSF_S6_EEENSH_IJSG_SG_EEES6_PlJNSB_9not_fun_tINSB_10functional5actorINSM_9compositeIJNSM_27transparent_binary_operatorINSA_8equal_toIvEEEENSN_INSM_8argumentILj0EEEEENSM_5valueItEEEEEEEEEEEE10hipError_tPvRmT3_T4_T5_T6_T7_T9_mT8_P12ihipStream_tbDpT10_ENKUlT_T0_E_clISt17integral_constantIbLb1EES1K_EEDaS1F_S1G_EUlS1F_E_NS1_11comp_targetILNS1_3genE8ELNS1_11target_archE1030ELNS1_3gpuE2ELNS1_3repE0EEENS1_30default_config_static_selectorELNS0_4arch9wavefront6targetE0EEEvT1_.has_recursion, 0
	.set _ZN7rocprim17ROCPRIM_400000_NS6detail17trampoline_kernelINS0_14default_configENS1_25partition_config_selectorILNS1_17partition_subalgoE6EtNS0_10empty_typeEbEEZZNS1_14partition_implILS5_6ELb0ES3_mN6thrust23THRUST_200600_302600_NS6detail15normal_iteratorINSA_10device_ptrItEEEEPS6_SG_NS0_5tupleIJSF_S6_EEENSH_IJSG_SG_EEES6_PlJNSB_9not_fun_tINSB_10functional5actorINSM_9compositeIJNSM_27transparent_binary_operatorINSA_8equal_toIvEEEENSN_INSM_8argumentILj0EEEEENSM_5valueItEEEEEEEEEEEE10hipError_tPvRmT3_T4_T5_T6_T7_T9_mT8_P12ihipStream_tbDpT10_ENKUlT_T0_E_clISt17integral_constantIbLb1EES1K_EEDaS1F_S1G_EUlS1F_E_NS1_11comp_targetILNS1_3genE8ELNS1_11target_archE1030ELNS1_3gpuE2ELNS1_3repE0EEENS1_30default_config_static_selectorELNS0_4arch9wavefront6targetE0EEEvT1_.has_indirect_call, 0
	.section	.AMDGPU.csdata,"",@progbits
; Kernel info:
; codeLenInByte = 0
; TotalNumSgprs: 0
; NumVgprs: 0
; ScratchSize: 0
; MemoryBound: 0
; FloatMode: 240
; IeeeMode: 1
; LDSByteSize: 0 bytes/workgroup (compile time only)
; SGPRBlocks: 0
; VGPRBlocks: 0
; NumSGPRsForWavesPerEU: 1
; NumVGPRsForWavesPerEU: 1
; Occupancy: 16
; WaveLimiterHint : 0
; COMPUTE_PGM_RSRC2:SCRATCH_EN: 0
; COMPUTE_PGM_RSRC2:USER_SGPR: 2
; COMPUTE_PGM_RSRC2:TRAP_HANDLER: 0
; COMPUTE_PGM_RSRC2:TGID_X_EN: 1
; COMPUTE_PGM_RSRC2:TGID_Y_EN: 0
; COMPUTE_PGM_RSRC2:TGID_Z_EN: 0
; COMPUTE_PGM_RSRC2:TIDIG_COMP_CNT: 0
	.section	.text._ZN7rocprim17ROCPRIM_400000_NS6detail17trampoline_kernelINS0_14default_configENS1_25partition_config_selectorILNS1_17partition_subalgoE6EtNS0_10empty_typeEbEEZZNS1_14partition_implILS5_6ELb0ES3_mN6thrust23THRUST_200600_302600_NS6detail15normal_iteratorINSA_10device_ptrItEEEEPS6_SG_NS0_5tupleIJSF_S6_EEENSH_IJSG_SG_EEES6_PlJNSB_9not_fun_tINSB_10functional5actorINSM_9compositeIJNSM_27transparent_binary_operatorINSA_8equal_toIvEEEENSN_INSM_8argumentILj0EEEEENSM_5valueItEEEEEEEEEEEE10hipError_tPvRmT3_T4_T5_T6_T7_T9_mT8_P12ihipStream_tbDpT10_ENKUlT_T0_E_clISt17integral_constantIbLb1EES1J_IbLb0EEEEDaS1F_S1G_EUlS1F_E_NS1_11comp_targetILNS1_3genE0ELNS1_11target_archE4294967295ELNS1_3gpuE0ELNS1_3repE0EEENS1_30default_config_static_selectorELNS0_4arch9wavefront6targetE0EEEvT1_,"axG",@progbits,_ZN7rocprim17ROCPRIM_400000_NS6detail17trampoline_kernelINS0_14default_configENS1_25partition_config_selectorILNS1_17partition_subalgoE6EtNS0_10empty_typeEbEEZZNS1_14partition_implILS5_6ELb0ES3_mN6thrust23THRUST_200600_302600_NS6detail15normal_iteratorINSA_10device_ptrItEEEEPS6_SG_NS0_5tupleIJSF_S6_EEENSH_IJSG_SG_EEES6_PlJNSB_9not_fun_tINSB_10functional5actorINSM_9compositeIJNSM_27transparent_binary_operatorINSA_8equal_toIvEEEENSN_INSM_8argumentILj0EEEEENSM_5valueItEEEEEEEEEEEE10hipError_tPvRmT3_T4_T5_T6_T7_T9_mT8_P12ihipStream_tbDpT10_ENKUlT_T0_E_clISt17integral_constantIbLb1EES1J_IbLb0EEEEDaS1F_S1G_EUlS1F_E_NS1_11comp_targetILNS1_3genE0ELNS1_11target_archE4294967295ELNS1_3gpuE0ELNS1_3repE0EEENS1_30default_config_static_selectorELNS0_4arch9wavefront6targetE0EEEvT1_,comdat
	.protected	_ZN7rocprim17ROCPRIM_400000_NS6detail17trampoline_kernelINS0_14default_configENS1_25partition_config_selectorILNS1_17partition_subalgoE6EtNS0_10empty_typeEbEEZZNS1_14partition_implILS5_6ELb0ES3_mN6thrust23THRUST_200600_302600_NS6detail15normal_iteratorINSA_10device_ptrItEEEEPS6_SG_NS0_5tupleIJSF_S6_EEENSH_IJSG_SG_EEES6_PlJNSB_9not_fun_tINSB_10functional5actorINSM_9compositeIJNSM_27transparent_binary_operatorINSA_8equal_toIvEEEENSN_INSM_8argumentILj0EEEEENSM_5valueItEEEEEEEEEEEE10hipError_tPvRmT3_T4_T5_T6_T7_T9_mT8_P12ihipStream_tbDpT10_ENKUlT_T0_E_clISt17integral_constantIbLb1EES1J_IbLb0EEEEDaS1F_S1G_EUlS1F_E_NS1_11comp_targetILNS1_3genE0ELNS1_11target_archE4294967295ELNS1_3gpuE0ELNS1_3repE0EEENS1_30default_config_static_selectorELNS0_4arch9wavefront6targetE0EEEvT1_ ; -- Begin function _ZN7rocprim17ROCPRIM_400000_NS6detail17trampoline_kernelINS0_14default_configENS1_25partition_config_selectorILNS1_17partition_subalgoE6EtNS0_10empty_typeEbEEZZNS1_14partition_implILS5_6ELb0ES3_mN6thrust23THRUST_200600_302600_NS6detail15normal_iteratorINSA_10device_ptrItEEEEPS6_SG_NS0_5tupleIJSF_S6_EEENSH_IJSG_SG_EEES6_PlJNSB_9not_fun_tINSB_10functional5actorINSM_9compositeIJNSM_27transparent_binary_operatorINSA_8equal_toIvEEEENSN_INSM_8argumentILj0EEEEENSM_5valueItEEEEEEEEEEEE10hipError_tPvRmT3_T4_T5_T6_T7_T9_mT8_P12ihipStream_tbDpT10_ENKUlT_T0_E_clISt17integral_constantIbLb1EES1J_IbLb0EEEEDaS1F_S1G_EUlS1F_E_NS1_11comp_targetILNS1_3genE0ELNS1_11target_archE4294967295ELNS1_3gpuE0ELNS1_3repE0EEENS1_30default_config_static_selectorELNS0_4arch9wavefront6targetE0EEEvT1_
	.globl	_ZN7rocprim17ROCPRIM_400000_NS6detail17trampoline_kernelINS0_14default_configENS1_25partition_config_selectorILNS1_17partition_subalgoE6EtNS0_10empty_typeEbEEZZNS1_14partition_implILS5_6ELb0ES3_mN6thrust23THRUST_200600_302600_NS6detail15normal_iteratorINSA_10device_ptrItEEEEPS6_SG_NS0_5tupleIJSF_S6_EEENSH_IJSG_SG_EEES6_PlJNSB_9not_fun_tINSB_10functional5actorINSM_9compositeIJNSM_27transparent_binary_operatorINSA_8equal_toIvEEEENSN_INSM_8argumentILj0EEEEENSM_5valueItEEEEEEEEEEEE10hipError_tPvRmT3_T4_T5_T6_T7_T9_mT8_P12ihipStream_tbDpT10_ENKUlT_T0_E_clISt17integral_constantIbLb1EES1J_IbLb0EEEEDaS1F_S1G_EUlS1F_E_NS1_11comp_targetILNS1_3genE0ELNS1_11target_archE4294967295ELNS1_3gpuE0ELNS1_3repE0EEENS1_30default_config_static_selectorELNS0_4arch9wavefront6targetE0EEEvT1_
	.p2align	8
	.type	_ZN7rocprim17ROCPRIM_400000_NS6detail17trampoline_kernelINS0_14default_configENS1_25partition_config_selectorILNS1_17partition_subalgoE6EtNS0_10empty_typeEbEEZZNS1_14partition_implILS5_6ELb0ES3_mN6thrust23THRUST_200600_302600_NS6detail15normal_iteratorINSA_10device_ptrItEEEEPS6_SG_NS0_5tupleIJSF_S6_EEENSH_IJSG_SG_EEES6_PlJNSB_9not_fun_tINSB_10functional5actorINSM_9compositeIJNSM_27transparent_binary_operatorINSA_8equal_toIvEEEENSN_INSM_8argumentILj0EEEEENSM_5valueItEEEEEEEEEEEE10hipError_tPvRmT3_T4_T5_T6_T7_T9_mT8_P12ihipStream_tbDpT10_ENKUlT_T0_E_clISt17integral_constantIbLb1EES1J_IbLb0EEEEDaS1F_S1G_EUlS1F_E_NS1_11comp_targetILNS1_3genE0ELNS1_11target_archE4294967295ELNS1_3gpuE0ELNS1_3repE0EEENS1_30default_config_static_selectorELNS0_4arch9wavefront6targetE0EEEvT1_,@function
_ZN7rocprim17ROCPRIM_400000_NS6detail17trampoline_kernelINS0_14default_configENS1_25partition_config_selectorILNS1_17partition_subalgoE6EtNS0_10empty_typeEbEEZZNS1_14partition_implILS5_6ELb0ES3_mN6thrust23THRUST_200600_302600_NS6detail15normal_iteratorINSA_10device_ptrItEEEEPS6_SG_NS0_5tupleIJSF_S6_EEENSH_IJSG_SG_EEES6_PlJNSB_9not_fun_tINSB_10functional5actorINSM_9compositeIJNSM_27transparent_binary_operatorINSA_8equal_toIvEEEENSN_INSM_8argumentILj0EEEEENSM_5valueItEEEEEEEEEEEE10hipError_tPvRmT3_T4_T5_T6_T7_T9_mT8_P12ihipStream_tbDpT10_ENKUlT_T0_E_clISt17integral_constantIbLb1EES1J_IbLb0EEEEDaS1F_S1G_EUlS1F_E_NS1_11comp_targetILNS1_3genE0ELNS1_11target_archE4294967295ELNS1_3gpuE0ELNS1_3repE0EEENS1_30default_config_static_selectorELNS0_4arch9wavefront6targetE0EEEvT1_: ; @_ZN7rocprim17ROCPRIM_400000_NS6detail17trampoline_kernelINS0_14default_configENS1_25partition_config_selectorILNS1_17partition_subalgoE6EtNS0_10empty_typeEbEEZZNS1_14partition_implILS5_6ELb0ES3_mN6thrust23THRUST_200600_302600_NS6detail15normal_iteratorINSA_10device_ptrItEEEEPS6_SG_NS0_5tupleIJSF_S6_EEENSH_IJSG_SG_EEES6_PlJNSB_9not_fun_tINSB_10functional5actorINSM_9compositeIJNSM_27transparent_binary_operatorINSA_8equal_toIvEEEENSN_INSM_8argumentILj0EEEEENSM_5valueItEEEEEEEEEEEE10hipError_tPvRmT3_T4_T5_T6_T7_T9_mT8_P12ihipStream_tbDpT10_ENKUlT_T0_E_clISt17integral_constantIbLb1EES1J_IbLb0EEEEDaS1F_S1G_EUlS1F_E_NS1_11comp_targetILNS1_3genE0ELNS1_11target_archE4294967295ELNS1_3gpuE0ELNS1_3repE0EEENS1_30default_config_static_selectorELNS0_4arch9wavefront6targetE0EEEvT1_
; %bb.0:
	.section	.rodata,"a",@progbits
	.p2align	6, 0x0
	.amdhsa_kernel _ZN7rocprim17ROCPRIM_400000_NS6detail17trampoline_kernelINS0_14default_configENS1_25partition_config_selectorILNS1_17partition_subalgoE6EtNS0_10empty_typeEbEEZZNS1_14partition_implILS5_6ELb0ES3_mN6thrust23THRUST_200600_302600_NS6detail15normal_iteratorINSA_10device_ptrItEEEEPS6_SG_NS0_5tupleIJSF_S6_EEENSH_IJSG_SG_EEES6_PlJNSB_9not_fun_tINSB_10functional5actorINSM_9compositeIJNSM_27transparent_binary_operatorINSA_8equal_toIvEEEENSN_INSM_8argumentILj0EEEEENSM_5valueItEEEEEEEEEEEE10hipError_tPvRmT3_T4_T5_T6_T7_T9_mT8_P12ihipStream_tbDpT10_ENKUlT_T0_E_clISt17integral_constantIbLb1EES1J_IbLb0EEEEDaS1F_S1G_EUlS1F_E_NS1_11comp_targetILNS1_3genE0ELNS1_11target_archE4294967295ELNS1_3gpuE0ELNS1_3repE0EEENS1_30default_config_static_selectorELNS0_4arch9wavefront6targetE0EEEvT1_
		.amdhsa_group_segment_fixed_size 0
		.amdhsa_private_segment_fixed_size 0
		.amdhsa_kernarg_size 120
		.amdhsa_user_sgpr_count 2
		.amdhsa_user_sgpr_dispatch_ptr 0
		.amdhsa_user_sgpr_queue_ptr 0
		.amdhsa_user_sgpr_kernarg_segment_ptr 1
		.amdhsa_user_sgpr_dispatch_id 0
		.amdhsa_user_sgpr_private_segment_size 0
		.amdhsa_wavefront_size32 1
		.amdhsa_uses_dynamic_stack 0
		.amdhsa_enable_private_segment 0
		.amdhsa_system_sgpr_workgroup_id_x 1
		.amdhsa_system_sgpr_workgroup_id_y 0
		.amdhsa_system_sgpr_workgroup_id_z 0
		.amdhsa_system_sgpr_workgroup_info 0
		.amdhsa_system_vgpr_workitem_id 0
		.amdhsa_next_free_vgpr 1
		.amdhsa_next_free_sgpr 1
		.amdhsa_reserve_vcc 0
		.amdhsa_float_round_mode_32 0
		.amdhsa_float_round_mode_16_64 0
		.amdhsa_float_denorm_mode_32 3
		.amdhsa_float_denorm_mode_16_64 3
		.amdhsa_fp16_overflow 0
		.amdhsa_workgroup_processor_mode 1
		.amdhsa_memory_ordered 1
		.amdhsa_forward_progress 1
		.amdhsa_inst_pref_size 0
		.amdhsa_round_robin_scheduling 0
		.amdhsa_exception_fp_ieee_invalid_op 0
		.amdhsa_exception_fp_denorm_src 0
		.amdhsa_exception_fp_ieee_div_zero 0
		.amdhsa_exception_fp_ieee_overflow 0
		.amdhsa_exception_fp_ieee_underflow 0
		.amdhsa_exception_fp_ieee_inexact 0
		.amdhsa_exception_int_div_zero 0
	.end_amdhsa_kernel
	.section	.text._ZN7rocprim17ROCPRIM_400000_NS6detail17trampoline_kernelINS0_14default_configENS1_25partition_config_selectorILNS1_17partition_subalgoE6EtNS0_10empty_typeEbEEZZNS1_14partition_implILS5_6ELb0ES3_mN6thrust23THRUST_200600_302600_NS6detail15normal_iteratorINSA_10device_ptrItEEEEPS6_SG_NS0_5tupleIJSF_S6_EEENSH_IJSG_SG_EEES6_PlJNSB_9not_fun_tINSB_10functional5actorINSM_9compositeIJNSM_27transparent_binary_operatorINSA_8equal_toIvEEEENSN_INSM_8argumentILj0EEEEENSM_5valueItEEEEEEEEEEEE10hipError_tPvRmT3_T4_T5_T6_T7_T9_mT8_P12ihipStream_tbDpT10_ENKUlT_T0_E_clISt17integral_constantIbLb1EES1J_IbLb0EEEEDaS1F_S1G_EUlS1F_E_NS1_11comp_targetILNS1_3genE0ELNS1_11target_archE4294967295ELNS1_3gpuE0ELNS1_3repE0EEENS1_30default_config_static_selectorELNS0_4arch9wavefront6targetE0EEEvT1_,"axG",@progbits,_ZN7rocprim17ROCPRIM_400000_NS6detail17trampoline_kernelINS0_14default_configENS1_25partition_config_selectorILNS1_17partition_subalgoE6EtNS0_10empty_typeEbEEZZNS1_14partition_implILS5_6ELb0ES3_mN6thrust23THRUST_200600_302600_NS6detail15normal_iteratorINSA_10device_ptrItEEEEPS6_SG_NS0_5tupleIJSF_S6_EEENSH_IJSG_SG_EEES6_PlJNSB_9not_fun_tINSB_10functional5actorINSM_9compositeIJNSM_27transparent_binary_operatorINSA_8equal_toIvEEEENSN_INSM_8argumentILj0EEEEENSM_5valueItEEEEEEEEEEEE10hipError_tPvRmT3_T4_T5_T6_T7_T9_mT8_P12ihipStream_tbDpT10_ENKUlT_T0_E_clISt17integral_constantIbLb1EES1J_IbLb0EEEEDaS1F_S1G_EUlS1F_E_NS1_11comp_targetILNS1_3genE0ELNS1_11target_archE4294967295ELNS1_3gpuE0ELNS1_3repE0EEENS1_30default_config_static_selectorELNS0_4arch9wavefront6targetE0EEEvT1_,comdat
.Lfunc_end162:
	.size	_ZN7rocprim17ROCPRIM_400000_NS6detail17trampoline_kernelINS0_14default_configENS1_25partition_config_selectorILNS1_17partition_subalgoE6EtNS0_10empty_typeEbEEZZNS1_14partition_implILS5_6ELb0ES3_mN6thrust23THRUST_200600_302600_NS6detail15normal_iteratorINSA_10device_ptrItEEEEPS6_SG_NS0_5tupleIJSF_S6_EEENSH_IJSG_SG_EEES6_PlJNSB_9not_fun_tINSB_10functional5actorINSM_9compositeIJNSM_27transparent_binary_operatorINSA_8equal_toIvEEEENSN_INSM_8argumentILj0EEEEENSM_5valueItEEEEEEEEEEEE10hipError_tPvRmT3_T4_T5_T6_T7_T9_mT8_P12ihipStream_tbDpT10_ENKUlT_T0_E_clISt17integral_constantIbLb1EES1J_IbLb0EEEEDaS1F_S1G_EUlS1F_E_NS1_11comp_targetILNS1_3genE0ELNS1_11target_archE4294967295ELNS1_3gpuE0ELNS1_3repE0EEENS1_30default_config_static_selectorELNS0_4arch9wavefront6targetE0EEEvT1_, .Lfunc_end162-_ZN7rocprim17ROCPRIM_400000_NS6detail17trampoline_kernelINS0_14default_configENS1_25partition_config_selectorILNS1_17partition_subalgoE6EtNS0_10empty_typeEbEEZZNS1_14partition_implILS5_6ELb0ES3_mN6thrust23THRUST_200600_302600_NS6detail15normal_iteratorINSA_10device_ptrItEEEEPS6_SG_NS0_5tupleIJSF_S6_EEENSH_IJSG_SG_EEES6_PlJNSB_9not_fun_tINSB_10functional5actorINSM_9compositeIJNSM_27transparent_binary_operatorINSA_8equal_toIvEEEENSN_INSM_8argumentILj0EEEEENSM_5valueItEEEEEEEEEEEE10hipError_tPvRmT3_T4_T5_T6_T7_T9_mT8_P12ihipStream_tbDpT10_ENKUlT_T0_E_clISt17integral_constantIbLb1EES1J_IbLb0EEEEDaS1F_S1G_EUlS1F_E_NS1_11comp_targetILNS1_3genE0ELNS1_11target_archE4294967295ELNS1_3gpuE0ELNS1_3repE0EEENS1_30default_config_static_selectorELNS0_4arch9wavefront6targetE0EEEvT1_
                                        ; -- End function
	.set _ZN7rocprim17ROCPRIM_400000_NS6detail17trampoline_kernelINS0_14default_configENS1_25partition_config_selectorILNS1_17partition_subalgoE6EtNS0_10empty_typeEbEEZZNS1_14partition_implILS5_6ELb0ES3_mN6thrust23THRUST_200600_302600_NS6detail15normal_iteratorINSA_10device_ptrItEEEEPS6_SG_NS0_5tupleIJSF_S6_EEENSH_IJSG_SG_EEES6_PlJNSB_9not_fun_tINSB_10functional5actorINSM_9compositeIJNSM_27transparent_binary_operatorINSA_8equal_toIvEEEENSN_INSM_8argumentILj0EEEEENSM_5valueItEEEEEEEEEEEE10hipError_tPvRmT3_T4_T5_T6_T7_T9_mT8_P12ihipStream_tbDpT10_ENKUlT_T0_E_clISt17integral_constantIbLb1EES1J_IbLb0EEEEDaS1F_S1G_EUlS1F_E_NS1_11comp_targetILNS1_3genE0ELNS1_11target_archE4294967295ELNS1_3gpuE0ELNS1_3repE0EEENS1_30default_config_static_selectorELNS0_4arch9wavefront6targetE0EEEvT1_.num_vgpr, 0
	.set _ZN7rocprim17ROCPRIM_400000_NS6detail17trampoline_kernelINS0_14default_configENS1_25partition_config_selectorILNS1_17partition_subalgoE6EtNS0_10empty_typeEbEEZZNS1_14partition_implILS5_6ELb0ES3_mN6thrust23THRUST_200600_302600_NS6detail15normal_iteratorINSA_10device_ptrItEEEEPS6_SG_NS0_5tupleIJSF_S6_EEENSH_IJSG_SG_EEES6_PlJNSB_9not_fun_tINSB_10functional5actorINSM_9compositeIJNSM_27transparent_binary_operatorINSA_8equal_toIvEEEENSN_INSM_8argumentILj0EEEEENSM_5valueItEEEEEEEEEEEE10hipError_tPvRmT3_T4_T5_T6_T7_T9_mT8_P12ihipStream_tbDpT10_ENKUlT_T0_E_clISt17integral_constantIbLb1EES1J_IbLb0EEEEDaS1F_S1G_EUlS1F_E_NS1_11comp_targetILNS1_3genE0ELNS1_11target_archE4294967295ELNS1_3gpuE0ELNS1_3repE0EEENS1_30default_config_static_selectorELNS0_4arch9wavefront6targetE0EEEvT1_.num_agpr, 0
	.set _ZN7rocprim17ROCPRIM_400000_NS6detail17trampoline_kernelINS0_14default_configENS1_25partition_config_selectorILNS1_17partition_subalgoE6EtNS0_10empty_typeEbEEZZNS1_14partition_implILS5_6ELb0ES3_mN6thrust23THRUST_200600_302600_NS6detail15normal_iteratorINSA_10device_ptrItEEEEPS6_SG_NS0_5tupleIJSF_S6_EEENSH_IJSG_SG_EEES6_PlJNSB_9not_fun_tINSB_10functional5actorINSM_9compositeIJNSM_27transparent_binary_operatorINSA_8equal_toIvEEEENSN_INSM_8argumentILj0EEEEENSM_5valueItEEEEEEEEEEEE10hipError_tPvRmT3_T4_T5_T6_T7_T9_mT8_P12ihipStream_tbDpT10_ENKUlT_T0_E_clISt17integral_constantIbLb1EES1J_IbLb0EEEEDaS1F_S1G_EUlS1F_E_NS1_11comp_targetILNS1_3genE0ELNS1_11target_archE4294967295ELNS1_3gpuE0ELNS1_3repE0EEENS1_30default_config_static_selectorELNS0_4arch9wavefront6targetE0EEEvT1_.numbered_sgpr, 0
	.set _ZN7rocprim17ROCPRIM_400000_NS6detail17trampoline_kernelINS0_14default_configENS1_25partition_config_selectorILNS1_17partition_subalgoE6EtNS0_10empty_typeEbEEZZNS1_14partition_implILS5_6ELb0ES3_mN6thrust23THRUST_200600_302600_NS6detail15normal_iteratorINSA_10device_ptrItEEEEPS6_SG_NS0_5tupleIJSF_S6_EEENSH_IJSG_SG_EEES6_PlJNSB_9not_fun_tINSB_10functional5actorINSM_9compositeIJNSM_27transparent_binary_operatorINSA_8equal_toIvEEEENSN_INSM_8argumentILj0EEEEENSM_5valueItEEEEEEEEEEEE10hipError_tPvRmT3_T4_T5_T6_T7_T9_mT8_P12ihipStream_tbDpT10_ENKUlT_T0_E_clISt17integral_constantIbLb1EES1J_IbLb0EEEEDaS1F_S1G_EUlS1F_E_NS1_11comp_targetILNS1_3genE0ELNS1_11target_archE4294967295ELNS1_3gpuE0ELNS1_3repE0EEENS1_30default_config_static_selectorELNS0_4arch9wavefront6targetE0EEEvT1_.num_named_barrier, 0
	.set _ZN7rocprim17ROCPRIM_400000_NS6detail17trampoline_kernelINS0_14default_configENS1_25partition_config_selectorILNS1_17partition_subalgoE6EtNS0_10empty_typeEbEEZZNS1_14partition_implILS5_6ELb0ES3_mN6thrust23THRUST_200600_302600_NS6detail15normal_iteratorINSA_10device_ptrItEEEEPS6_SG_NS0_5tupleIJSF_S6_EEENSH_IJSG_SG_EEES6_PlJNSB_9not_fun_tINSB_10functional5actorINSM_9compositeIJNSM_27transparent_binary_operatorINSA_8equal_toIvEEEENSN_INSM_8argumentILj0EEEEENSM_5valueItEEEEEEEEEEEE10hipError_tPvRmT3_T4_T5_T6_T7_T9_mT8_P12ihipStream_tbDpT10_ENKUlT_T0_E_clISt17integral_constantIbLb1EES1J_IbLb0EEEEDaS1F_S1G_EUlS1F_E_NS1_11comp_targetILNS1_3genE0ELNS1_11target_archE4294967295ELNS1_3gpuE0ELNS1_3repE0EEENS1_30default_config_static_selectorELNS0_4arch9wavefront6targetE0EEEvT1_.private_seg_size, 0
	.set _ZN7rocprim17ROCPRIM_400000_NS6detail17trampoline_kernelINS0_14default_configENS1_25partition_config_selectorILNS1_17partition_subalgoE6EtNS0_10empty_typeEbEEZZNS1_14partition_implILS5_6ELb0ES3_mN6thrust23THRUST_200600_302600_NS6detail15normal_iteratorINSA_10device_ptrItEEEEPS6_SG_NS0_5tupleIJSF_S6_EEENSH_IJSG_SG_EEES6_PlJNSB_9not_fun_tINSB_10functional5actorINSM_9compositeIJNSM_27transparent_binary_operatorINSA_8equal_toIvEEEENSN_INSM_8argumentILj0EEEEENSM_5valueItEEEEEEEEEEEE10hipError_tPvRmT3_T4_T5_T6_T7_T9_mT8_P12ihipStream_tbDpT10_ENKUlT_T0_E_clISt17integral_constantIbLb1EES1J_IbLb0EEEEDaS1F_S1G_EUlS1F_E_NS1_11comp_targetILNS1_3genE0ELNS1_11target_archE4294967295ELNS1_3gpuE0ELNS1_3repE0EEENS1_30default_config_static_selectorELNS0_4arch9wavefront6targetE0EEEvT1_.uses_vcc, 0
	.set _ZN7rocprim17ROCPRIM_400000_NS6detail17trampoline_kernelINS0_14default_configENS1_25partition_config_selectorILNS1_17partition_subalgoE6EtNS0_10empty_typeEbEEZZNS1_14partition_implILS5_6ELb0ES3_mN6thrust23THRUST_200600_302600_NS6detail15normal_iteratorINSA_10device_ptrItEEEEPS6_SG_NS0_5tupleIJSF_S6_EEENSH_IJSG_SG_EEES6_PlJNSB_9not_fun_tINSB_10functional5actorINSM_9compositeIJNSM_27transparent_binary_operatorINSA_8equal_toIvEEEENSN_INSM_8argumentILj0EEEEENSM_5valueItEEEEEEEEEEEE10hipError_tPvRmT3_T4_T5_T6_T7_T9_mT8_P12ihipStream_tbDpT10_ENKUlT_T0_E_clISt17integral_constantIbLb1EES1J_IbLb0EEEEDaS1F_S1G_EUlS1F_E_NS1_11comp_targetILNS1_3genE0ELNS1_11target_archE4294967295ELNS1_3gpuE0ELNS1_3repE0EEENS1_30default_config_static_selectorELNS0_4arch9wavefront6targetE0EEEvT1_.uses_flat_scratch, 0
	.set _ZN7rocprim17ROCPRIM_400000_NS6detail17trampoline_kernelINS0_14default_configENS1_25partition_config_selectorILNS1_17partition_subalgoE6EtNS0_10empty_typeEbEEZZNS1_14partition_implILS5_6ELb0ES3_mN6thrust23THRUST_200600_302600_NS6detail15normal_iteratorINSA_10device_ptrItEEEEPS6_SG_NS0_5tupleIJSF_S6_EEENSH_IJSG_SG_EEES6_PlJNSB_9not_fun_tINSB_10functional5actorINSM_9compositeIJNSM_27transparent_binary_operatorINSA_8equal_toIvEEEENSN_INSM_8argumentILj0EEEEENSM_5valueItEEEEEEEEEEEE10hipError_tPvRmT3_T4_T5_T6_T7_T9_mT8_P12ihipStream_tbDpT10_ENKUlT_T0_E_clISt17integral_constantIbLb1EES1J_IbLb0EEEEDaS1F_S1G_EUlS1F_E_NS1_11comp_targetILNS1_3genE0ELNS1_11target_archE4294967295ELNS1_3gpuE0ELNS1_3repE0EEENS1_30default_config_static_selectorELNS0_4arch9wavefront6targetE0EEEvT1_.has_dyn_sized_stack, 0
	.set _ZN7rocprim17ROCPRIM_400000_NS6detail17trampoline_kernelINS0_14default_configENS1_25partition_config_selectorILNS1_17partition_subalgoE6EtNS0_10empty_typeEbEEZZNS1_14partition_implILS5_6ELb0ES3_mN6thrust23THRUST_200600_302600_NS6detail15normal_iteratorINSA_10device_ptrItEEEEPS6_SG_NS0_5tupleIJSF_S6_EEENSH_IJSG_SG_EEES6_PlJNSB_9not_fun_tINSB_10functional5actorINSM_9compositeIJNSM_27transparent_binary_operatorINSA_8equal_toIvEEEENSN_INSM_8argumentILj0EEEEENSM_5valueItEEEEEEEEEEEE10hipError_tPvRmT3_T4_T5_T6_T7_T9_mT8_P12ihipStream_tbDpT10_ENKUlT_T0_E_clISt17integral_constantIbLb1EES1J_IbLb0EEEEDaS1F_S1G_EUlS1F_E_NS1_11comp_targetILNS1_3genE0ELNS1_11target_archE4294967295ELNS1_3gpuE0ELNS1_3repE0EEENS1_30default_config_static_selectorELNS0_4arch9wavefront6targetE0EEEvT1_.has_recursion, 0
	.set _ZN7rocprim17ROCPRIM_400000_NS6detail17trampoline_kernelINS0_14default_configENS1_25partition_config_selectorILNS1_17partition_subalgoE6EtNS0_10empty_typeEbEEZZNS1_14partition_implILS5_6ELb0ES3_mN6thrust23THRUST_200600_302600_NS6detail15normal_iteratorINSA_10device_ptrItEEEEPS6_SG_NS0_5tupleIJSF_S6_EEENSH_IJSG_SG_EEES6_PlJNSB_9not_fun_tINSB_10functional5actorINSM_9compositeIJNSM_27transparent_binary_operatorINSA_8equal_toIvEEEENSN_INSM_8argumentILj0EEEEENSM_5valueItEEEEEEEEEEEE10hipError_tPvRmT3_T4_T5_T6_T7_T9_mT8_P12ihipStream_tbDpT10_ENKUlT_T0_E_clISt17integral_constantIbLb1EES1J_IbLb0EEEEDaS1F_S1G_EUlS1F_E_NS1_11comp_targetILNS1_3genE0ELNS1_11target_archE4294967295ELNS1_3gpuE0ELNS1_3repE0EEENS1_30default_config_static_selectorELNS0_4arch9wavefront6targetE0EEEvT1_.has_indirect_call, 0
	.section	.AMDGPU.csdata,"",@progbits
; Kernel info:
; codeLenInByte = 0
; TotalNumSgprs: 0
; NumVgprs: 0
; ScratchSize: 0
; MemoryBound: 0
; FloatMode: 240
; IeeeMode: 1
; LDSByteSize: 0 bytes/workgroup (compile time only)
; SGPRBlocks: 0
; VGPRBlocks: 0
; NumSGPRsForWavesPerEU: 1
; NumVGPRsForWavesPerEU: 1
; Occupancy: 16
; WaveLimiterHint : 0
; COMPUTE_PGM_RSRC2:SCRATCH_EN: 0
; COMPUTE_PGM_RSRC2:USER_SGPR: 2
; COMPUTE_PGM_RSRC2:TRAP_HANDLER: 0
; COMPUTE_PGM_RSRC2:TGID_X_EN: 1
; COMPUTE_PGM_RSRC2:TGID_Y_EN: 0
; COMPUTE_PGM_RSRC2:TGID_Z_EN: 0
; COMPUTE_PGM_RSRC2:TIDIG_COMP_CNT: 0
	.section	.text._ZN7rocprim17ROCPRIM_400000_NS6detail17trampoline_kernelINS0_14default_configENS1_25partition_config_selectorILNS1_17partition_subalgoE6EtNS0_10empty_typeEbEEZZNS1_14partition_implILS5_6ELb0ES3_mN6thrust23THRUST_200600_302600_NS6detail15normal_iteratorINSA_10device_ptrItEEEEPS6_SG_NS0_5tupleIJSF_S6_EEENSH_IJSG_SG_EEES6_PlJNSB_9not_fun_tINSB_10functional5actorINSM_9compositeIJNSM_27transparent_binary_operatorINSA_8equal_toIvEEEENSN_INSM_8argumentILj0EEEEENSM_5valueItEEEEEEEEEEEE10hipError_tPvRmT3_T4_T5_T6_T7_T9_mT8_P12ihipStream_tbDpT10_ENKUlT_T0_E_clISt17integral_constantIbLb1EES1J_IbLb0EEEEDaS1F_S1G_EUlS1F_E_NS1_11comp_targetILNS1_3genE5ELNS1_11target_archE942ELNS1_3gpuE9ELNS1_3repE0EEENS1_30default_config_static_selectorELNS0_4arch9wavefront6targetE0EEEvT1_,"axG",@progbits,_ZN7rocprim17ROCPRIM_400000_NS6detail17trampoline_kernelINS0_14default_configENS1_25partition_config_selectorILNS1_17partition_subalgoE6EtNS0_10empty_typeEbEEZZNS1_14partition_implILS5_6ELb0ES3_mN6thrust23THRUST_200600_302600_NS6detail15normal_iteratorINSA_10device_ptrItEEEEPS6_SG_NS0_5tupleIJSF_S6_EEENSH_IJSG_SG_EEES6_PlJNSB_9not_fun_tINSB_10functional5actorINSM_9compositeIJNSM_27transparent_binary_operatorINSA_8equal_toIvEEEENSN_INSM_8argumentILj0EEEEENSM_5valueItEEEEEEEEEEEE10hipError_tPvRmT3_T4_T5_T6_T7_T9_mT8_P12ihipStream_tbDpT10_ENKUlT_T0_E_clISt17integral_constantIbLb1EES1J_IbLb0EEEEDaS1F_S1G_EUlS1F_E_NS1_11comp_targetILNS1_3genE5ELNS1_11target_archE942ELNS1_3gpuE9ELNS1_3repE0EEENS1_30default_config_static_selectorELNS0_4arch9wavefront6targetE0EEEvT1_,comdat
	.protected	_ZN7rocprim17ROCPRIM_400000_NS6detail17trampoline_kernelINS0_14default_configENS1_25partition_config_selectorILNS1_17partition_subalgoE6EtNS0_10empty_typeEbEEZZNS1_14partition_implILS5_6ELb0ES3_mN6thrust23THRUST_200600_302600_NS6detail15normal_iteratorINSA_10device_ptrItEEEEPS6_SG_NS0_5tupleIJSF_S6_EEENSH_IJSG_SG_EEES6_PlJNSB_9not_fun_tINSB_10functional5actorINSM_9compositeIJNSM_27transparent_binary_operatorINSA_8equal_toIvEEEENSN_INSM_8argumentILj0EEEEENSM_5valueItEEEEEEEEEEEE10hipError_tPvRmT3_T4_T5_T6_T7_T9_mT8_P12ihipStream_tbDpT10_ENKUlT_T0_E_clISt17integral_constantIbLb1EES1J_IbLb0EEEEDaS1F_S1G_EUlS1F_E_NS1_11comp_targetILNS1_3genE5ELNS1_11target_archE942ELNS1_3gpuE9ELNS1_3repE0EEENS1_30default_config_static_selectorELNS0_4arch9wavefront6targetE0EEEvT1_ ; -- Begin function _ZN7rocprim17ROCPRIM_400000_NS6detail17trampoline_kernelINS0_14default_configENS1_25partition_config_selectorILNS1_17partition_subalgoE6EtNS0_10empty_typeEbEEZZNS1_14partition_implILS5_6ELb0ES3_mN6thrust23THRUST_200600_302600_NS6detail15normal_iteratorINSA_10device_ptrItEEEEPS6_SG_NS0_5tupleIJSF_S6_EEENSH_IJSG_SG_EEES6_PlJNSB_9not_fun_tINSB_10functional5actorINSM_9compositeIJNSM_27transparent_binary_operatorINSA_8equal_toIvEEEENSN_INSM_8argumentILj0EEEEENSM_5valueItEEEEEEEEEEEE10hipError_tPvRmT3_T4_T5_T6_T7_T9_mT8_P12ihipStream_tbDpT10_ENKUlT_T0_E_clISt17integral_constantIbLb1EES1J_IbLb0EEEEDaS1F_S1G_EUlS1F_E_NS1_11comp_targetILNS1_3genE5ELNS1_11target_archE942ELNS1_3gpuE9ELNS1_3repE0EEENS1_30default_config_static_selectorELNS0_4arch9wavefront6targetE0EEEvT1_
	.globl	_ZN7rocprim17ROCPRIM_400000_NS6detail17trampoline_kernelINS0_14default_configENS1_25partition_config_selectorILNS1_17partition_subalgoE6EtNS0_10empty_typeEbEEZZNS1_14partition_implILS5_6ELb0ES3_mN6thrust23THRUST_200600_302600_NS6detail15normal_iteratorINSA_10device_ptrItEEEEPS6_SG_NS0_5tupleIJSF_S6_EEENSH_IJSG_SG_EEES6_PlJNSB_9not_fun_tINSB_10functional5actorINSM_9compositeIJNSM_27transparent_binary_operatorINSA_8equal_toIvEEEENSN_INSM_8argumentILj0EEEEENSM_5valueItEEEEEEEEEEEE10hipError_tPvRmT3_T4_T5_T6_T7_T9_mT8_P12ihipStream_tbDpT10_ENKUlT_T0_E_clISt17integral_constantIbLb1EES1J_IbLb0EEEEDaS1F_S1G_EUlS1F_E_NS1_11comp_targetILNS1_3genE5ELNS1_11target_archE942ELNS1_3gpuE9ELNS1_3repE0EEENS1_30default_config_static_selectorELNS0_4arch9wavefront6targetE0EEEvT1_
	.p2align	8
	.type	_ZN7rocprim17ROCPRIM_400000_NS6detail17trampoline_kernelINS0_14default_configENS1_25partition_config_selectorILNS1_17partition_subalgoE6EtNS0_10empty_typeEbEEZZNS1_14partition_implILS5_6ELb0ES3_mN6thrust23THRUST_200600_302600_NS6detail15normal_iteratorINSA_10device_ptrItEEEEPS6_SG_NS0_5tupleIJSF_S6_EEENSH_IJSG_SG_EEES6_PlJNSB_9not_fun_tINSB_10functional5actorINSM_9compositeIJNSM_27transparent_binary_operatorINSA_8equal_toIvEEEENSN_INSM_8argumentILj0EEEEENSM_5valueItEEEEEEEEEEEE10hipError_tPvRmT3_T4_T5_T6_T7_T9_mT8_P12ihipStream_tbDpT10_ENKUlT_T0_E_clISt17integral_constantIbLb1EES1J_IbLb0EEEEDaS1F_S1G_EUlS1F_E_NS1_11comp_targetILNS1_3genE5ELNS1_11target_archE942ELNS1_3gpuE9ELNS1_3repE0EEENS1_30default_config_static_selectorELNS0_4arch9wavefront6targetE0EEEvT1_,@function
_ZN7rocprim17ROCPRIM_400000_NS6detail17trampoline_kernelINS0_14default_configENS1_25partition_config_selectorILNS1_17partition_subalgoE6EtNS0_10empty_typeEbEEZZNS1_14partition_implILS5_6ELb0ES3_mN6thrust23THRUST_200600_302600_NS6detail15normal_iteratorINSA_10device_ptrItEEEEPS6_SG_NS0_5tupleIJSF_S6_EEENSH_IJSG_SG_EEES6_PlJNSB_9not_fun_tINSB_10functional5actorINSM_9compositeIJNSM_27transparent_binary_operatorINSA_8equal_toIvEEEENSN_INSM_8argumentILj0EEEEENSM_5valueItEEEEEEEEEEEE10hipError_tPvRmT3_T4_T5_T6_T7_T9_mT8_P12ihipStream_tbDpT10_ENKUlT_T0_E_clISt17integral_constantIbLb1EES1J_IbLb0EEEEDaS1F_S1G_EUlS1F_E_NS1_11comp_targetILNS1_3genE5ELNS1_11target_archE942ELNS1_3gpuE9ELNS1_3repE0EEENS1_30default_config_static_selectorELNS0_4arch9wavefront6targetE0EEEvT1_: ; @_ZN7rocprim17ROCPRIM_400000_NS6detail17trampoline_kernelINS0_14default_configENS1_25partition_config_selectorILNS1_17partition_subalgoE6EtNS0_10empty_typeEbEEZZNS1_14partition_implILS5_6ELb0ES3_mN6thrust23THRUST_200600_302600_NS6detail15normal_iteratorINSA_10device_ptrItEEEEPS6_SG_NS0_5tupleIJSF_S6_EEENSH_IJSG_SG_EEES6_PlJNSB_9not_fun_tINSB_10functional5actorINSM_9compositeIJNSM_27transparent_binary_operatorINSA_8equal_toIvEEEENSN_INSM_8argumentILj0EEEEENSM_5valueItEEEEEEEEEEEE10hipError_tPvRmT3_T4_T5_T6_T7_T9_mT8_P12ihipStream_tbDpT10_ENKUlT_T0_E_clISt17integral_constantIbLb1EES1J_IbLb0EEEEDaS1F_S1G_EUlS1F_E_NS1_11comp_targetILNS1_3genE5ELNS1_11target_archE942ELNS1_3gpuE9ELNS1_3repE0EEENS1_30default_config_static_selectorELNS0_4arch9wavefront6targetE0EEEvT1_
; %bb.0:
	.section	.rodata,"a",@progbits
	.p2align	6, 0x0
	.amdhsa_kernel _ZN7rocprim17ROCPRIM_400000_NS6detail17trampoline_kernelINS0_14default_configENS1_25partition_config_selectorILNS1_17partition_subalgoE6EtNS0_10empty_typeEbEEZZNS1_14partition_implILS5_6ELb0ES3_mN6thrust23THRUST_200600_302600_NS6detail15normal_iteratorINSA_10device_ptrItEEEEPS6_SG_NS0_5tupleIJSF_S6_EEENSH_IJSG_SG_EEES6_PlJNSB_9not_fun_tINSB_10functional5actorINSM_9compositeIJNSM_27transparent_binary_operatorINSA_8equal_toIvEEEENSN_INSM_8argumentILj0EEEEENSM_5valueItEEEEEEEEEEEE10hipError_tPvRmT3_T4_T5_T6_T7_T9_mT8_P12ihipStream_tbDpT10_ENKUlT_T0_E_clISt17integral_constantIbLb1EES1J_IbLb0EEEEDaS1F_S1G_EUlS1F_E_NS1_11comp_targetILNS1_3genE5ELNS1_11target_archE942ELNS1_3gpuE9ELNS1_3repE0EEENS1_30default_config_static_selectorELNS0_4arch9wavefront6targetE0EEEvT1_
		.amdhsa_group_segment_fixed_size 0
		.amdhsa_private_segment_fixed_size 0
		.amdhsa_kernarg_size 120
		.amdhsa_user_sgpr_count 2
		.amdhsa_user_sgpr_dispatch_ptr 0
		.amdhsa_user_sgpr_queue_ptr 0
		.amdhsa_user_sgpr_kernarg_segment_ptr 1
		.amdhsa_user_sgpr_dispatch_id 0
		.amdhsa_user_sgpr_private_segment_size 0
		.amdhsa_wavefront_size32 1
		.amdhsa_uses_dynamic_stack 0
		.amdhsa_enable_private_segment 0
		.amdhsa_system_sgpr_workgroup_id_x 1
		.amdhsa_system_sgpr_workgroup_id_y 0
		.amdhsa_system_sgpr_workgroup_id_z 0
		.amdhsa_system_sgpr_workgroup_info 0
		.amdhsa_system_vgpr_workitem_id 0
		.amdhsa_next_free_vgpr 1
		.amdhsa_next_free_sgpr 1
		.amdhsa_reserve_vcc 0
		.amdhsa_float_round_mode_32 0
		.amdhsa_float_round_mode_16_64 0
		.amdhsa_float_denorm_mode_32 3
		.amdhsa_float_denorm_mode_16_64 3
		.amdhsa_fp16_overflow 0
		.amdhsa_workgroup_processor_mode 1
		.amdhsa_memory_ordered 1
		.amdhsa_forward_progress 1
		.amdhsa_inst_pref_size 0
		.amdhsa_round_robin_scheduling 0
		.amdhsa_exception_fp_ieee_invalid_op 0
		.amdhsa_exception_fp_denorm_src 0
		.amdhsa_exception_fp_ieee_div_zero 0
		.amdhsa_exception_fp_ieee_overflow 0
		.amdhsa_exception_fp_ieee_underflow 0
		.amdhsa_exception_fp_ieee_inexact 0
		.amdhsa_exception_int_div_zero 0
	.end_amdhsa_kernel
	.section	.text._ZN7rocprim17ROCPRIM_400000_NS6detail17trampoline_kernelINS0_14default_configENS1_25partition_config_selectorILNS1_17partition_subalgoE6EtNS0_10empty_typeEbEEZZNS1_14partition_implILS5_6ELb0ES3_mN6thrust23THRUST_200600_302600_NS6detail15normal_iteratorINSA_10device_ptrItEEEEPS6_SG_NS0_5tupleIJSF_S6_EEENSH_IJSG_SG_EEES6_PlJNSB_9not_fun_tINSB_10functional5actorINSM_9compositeIJNSM_27transparent_binary_operatorINSA_8equal_toIvEEEENSN_INSM_8argumentILj0EEEEENSM_5valueItEEEEEEEEEEEE10hipError_tPvRmT3_T4_T5_T6_T7_T9_mT8_P12ihipStream_tbDpT10_ENKUlT_T0_E_clISt17integral_constantIbLb1EES1J_IbLb0EEEEDaS1F_S1G_EUlS1F_E_NS1_11comp_targetILNS1_3genE5ELNS1_11target_archE942ELNS1_3gpuE9ELNS1_3repE0EEENS1_30default_config_static_selectorELNS0_4arch9wavefront6targetE0EEEvT1_,"axG",@progbits,_ZN7rocprim17ROCPRIM_400000_NS6detail17trampoline_kernelINS0_14default_configENS1_25partition_config_selectorILNS1_17partition_subalgoE6EtNS0_10empty_typeEbEEZZNS1_14partition_implILS5_6ELb0ES3_mN6thrust23THRUST_200600_302600_NS6detail15normal_iteratorINSA_10device_ptrItEEEEPS6_SG_NS0_5tupleIJSF_S6_EEENSH_IJSG_SG_EEES6_PlJNSB_9not_fun_tINSB_10functional5actorINSM_9compositeIJNSM_27transparent_binary_operatorINSA_8equal_toIvEEEENSN_INSM_8argumentILj0EEEEENSM_5valueItEEEEEEEEEEEE10hipError_tPvRmT3_T4_T5_T6_T7_T9_mT8_P12ihipStream_tbDpT10_ENKUlT_T0_E_clISt17integral_constantIbLb1EES1J_IbLb0EEEEDaS1F_S1G_EUlS1F_E_NS1_11comp_targetILNS1_3genE5ELNS1_11target_archE942ELNS1_3gpuE9ELNS1_3repE0EEENS1_30default_config_static_selectorELNS0_4arch9wavefront6targetE0EEEvT1_,comdat
.Lfunc_end163:
	.size	_ZN7rocprim17ROCPRIM_400000_NS6detail17trampoline_kernelINS0_14default_configENS1_25partition_config_selectorILNS1_17partition_subalgoE6EtNS0_10empty_typeEbEEZZNS1_14partition_implILS5_6ELb0ES3_mN6thrust23THRUST_200600_302600_NS6detail15normal_iteratorINSA_10device_ptrItEEEEPS6_SG_NS0_5tupleIJSF_S6_EEENSH_IJSG_SG_EEES6_PlJNSB_9not_fun_tINSB_10functional5actorINSM_9compositeIJNSM_27transparent_binary_operatorINSA_8equal_toIvEEEENSN_INSM_8argumentILj0EEEEENSM_5valueItEEEEEEEEEEEE10hipError_tPvRmT3_T4_T5_T6_T7_T9_mT8_P12ihipStream_tbDpT10_ENKUlT_T0_E_clISt17integral_constantIbLb1EES1J_IbLb0EEEEDaS1F_S1G_EUlS1F_E_NS1_11comp_targetILNS1_3genE5ELNS1_11target_archE942ELNS1_3gpuE9ELNS1_3repE0EEENS1_30default_config_static_selectorELNS0_4arch9wavefront6targetE0EEEvT1_, .Lfunc_end163-_ZN7rocprim17ROCPRIM_400000_NS6detail17trampoline_kernelINS0_14default_configENS1_25partition_config_selectorILNS1_17partition_subalgoE6EtNS0_10empty_typeEbEEZZNS1_14partition_implILS5_6ELb0ES3_mN6thrust23THRUST_200600_302600_NS6detail15normal_iteratorINSA_10device_ptrItEEEEPS6_SG_NS0_5tupleIJSF_S6_EEENSH_IJSG_SG_EEES6_PlJNSB_9not_fun_tINSB_10functional5actorINSM_9compositeIJNSM_27transparent_binary_operatorINSA_8equal_toIvEEEENSN_INSM_8argumentILj0EEEEENSM_5valueItEEEEEEEEEEEE10hipError_tPvRmT3_T4_T5_T6_T7_T9_mT8_P12ihipStream_tbDpT10_ENKUlT_T0_E_clISt17integral_constantIbLb1EES1J_IbLb0EEEEDaS1F_S1G_EUlS1F_E_NS1_11comp_targetILNS1_3genE5ELNS1_11target_archE942ELNS1_3gpuE9ELNS1_3repE0EEENS1_30default_config_static_selectorELNS0_4arch9wavefront6targetE0EEEvT1_
                                        ; -- End function
	.set _ZN7rocprim17ROCPRIM_400000_NS6detail17trampoline_kernelINS0_14default_configENS1_25partition_config_selectorILNS1_17partition_subalgoE6EtNS0_10empty_typeEbEEZZNS1_14partition_implILS5_6ELb0ES3_mN6thrust23THRUST_200600_302600_NS6detail15normal_iteratorINSA_10device_ptrItEEEEPS6_SG_NS0_5tupleIJSF_S6_EEENSH_IJSG_SG_EEES6_PlJNSB_9not_fun_tINSB_10functional5actorINSM_9compositeIJNSM_27transparent_binary_operatorINSA_8equal_toIvEEEENSN_INSM_8argumentILj0EEEEENSM_5valueItEEEEEEEEEEEE10hipError_tPvRmT3_T4_T5_T6_T7_T9_mT8_P12ihipStream_tbDpT10_ENKUlT_T0_E_clISt17integral_constantIbLb1EES1J_IbLb0EEEEDaS1F_S1G_EUlS1F_E_NS1_11comp_targetILNS1_3genE5ELNS1_11target_archE942ELNS1_3gpuE9ELNS1_3repE0EEENS1_30default_config_static_selectorELNS0_4arch9wavefront6targetE0EEEvT1_.num_vgpr, 0
	.set _ZN7rocprim17ROCPRIM_400000_NS6detail17trampoline_kernelINS0_14default_configENS1_25partition_config_selectorILNS1_17partition_subalgoE6EtNS0_10empty_typeEbEEZZNS1_14partition_implILS5_6ELb0ES3_mN6thrust23THRUST_200600_302600_NS6detail15normal_iteratorINSA_10device_ptrItEEEEPS6_SG_NS0_5tupleIJSF_S6_EEENSH_IJSG_SG_EEES6_PlJNSB_9not_fun_tINSB_10functional5actorINSM_9compositeIJNSM_27transparent_binary_operatorINSA_8equal_toIvEEEENSN_INSM_8argumentILj0EEEEENSM_5valueItEEEEEEEEEEEE10hipError_tPvRmT3_T4_T5_T6_T7_T9_mT8_P12ihipStream_tbDpT10_ENKUlT_T0_E_clISt17integral_constantIbLb1EES1J_IbLb0EEEEDaS1F_S1G_EUlS1F_E_NS1_11comp_targetILNS1_3genE5ELNS1_11target_archE942ELNS1_3gpuE9ELNS1_3repE0EEENS1_30default_config_static_selectorELNS0_4arch9wavefront6targetE0EEEvT1_.num_agpr, 0
	.set _ZN7rocprim17ROCPRIM_400000_NS6detail17trampoline_kernelINS0_14default_configENS1_25partition_config_selectorILNS1_17partition_subalgoE6EtNS0_10empty_typeEbEEZZNS1_14partition_implILS5_6ELb0ES3_mN6thrust23THRUST_200600_302600_NS6detail15normal_iteratorINSA_10device_ptrItEEEEPS6_SG_NS0_5tupleIJSF_S6_EEENSH_IJSG_SG_EEES6_PlJNSB_9not_fun_tINSB_10functional5actorINSM_9compositeIJNSM_27transparent_binary_operatorINSA_8equal_toIvEEEENSN_INSM_8argumentILj0EEEEENSM_5valueItEEEEEEEEEEEE10hipError_tPvRmT3_T4_T5_T6_T7_T9_mT8_P12ihipStream_tbDpT10_ENKUlT_T0_E_clISt17integral_constantIbLb1EES1J_IbLb0EEEEDaS1F_S1G_EUlS1F_E_NS1_11comp_targetILNS1_3genE5ELNS1_11target_archE942ELNS1_3gpuE9ELNS1_3repE0EEENS1_30default_config_static_selectorELNS0_4arch9wavefront6targetE0EEEvT1_.numbered_sgpr, 0
	.set _ZN7rocprim17ROCPRIM_400000_NS6detail17trampoline_kernelINS0_14default_configENS1_25partition_config_selectorILNS1_17partition_subalgoE6EtNS0_10empty_typeEbEEZZNS1_14partition_implILS5_6ELb0ES3_mN6thrust23THRUST_200600_302600_NS6detail15normal_iteratorINSA_10device_ptrItEEEEPS6_SG_NS0_5tupleIJSF_S6_EEENSH_IJSG_SG_EEES6_PlJNSB_9not_fun_tINSB_10functional5actorINSM_9compositeIJNSM_27transparent_binary_operatorINSA_8equal_toIvEEEENSN_INSM_8argumentILj0EEEEENSM_5valueItEEEEEEEEEEEE10hipError_tPvRmT3_T4_T5_T6_T7_T9_mT8_P12ihipStream_tbDpT10_ENKUlT_T0_E_clISt17integral_constantIbLb1EES1J_IbLb0EEEEDaS1F_S1G_EUlS1F_E_NS1_11comp_targetILNS1_3genE5ELNS1_11target_archE942ELNS1_3gpuE9ELNS1_3repE0EEENS1_30default_config_static_selectorELNS0_4arch9wavefront6targetE0EEEvT1_.num_named_barrier, 0
	.set _ZN7rocprim17ROCPRIM_400000_NS6detail17trampoline_kernelINS0_14default_configENS1_25partition_config_selectorILNS1_17partition_subalgoE6EtNS0_10empty_typeEbEEZZNS1_14partition_implILS5_6ELb0ES3_mN6thrust23THRUST_200600_302600_NS6detail15normal_iteratorINSA_10device_ptrItEEEEPS6_SG_NS0_5tupleIJSF_S6_EEENSH_IJSG_SG_EEES6_PlJNSB_9not_fun_tINSB_10functional5actorINSM_9compositeIJNSM_27transparent_binary_operatorINSA_8equal_toIvEEEENSN_INSM_8argumentILj0EEEEENSM_5valueItEEEEEEEEEEEE10hipError_tPvRmT3_T4_T5_T6_T7_T9_mT8_P12ihipStream_tbDpT10_ENKUlT_T0_E_clISt17integral_constantIbLb1EES1J_IbLb0EEEEDaS1F_S1G_EUlS1F_E_NS1_11comp_targetILNS1_3genE5ELNS1_11target_archE942ELNS1_3gpuE9ELNS1_3repE0EEENS1_30default_config_static_selectorELNS0_4arch9wavefront6targetE0EEEvT1_.private_seg_size, 0
	.set _ZN7rocprim17ROCPRIM_400000_NS6detail17trampoline_kernelINS0_14default_configENS1_25partition_config_selectorILNS1_17partition_subalgoE6EtNS0_10empty_typeEbEEZZNS1_14partition_implILS5_6ELb0ES3_mN6thrust23THRUST_200600_302600_NS6detail15normal_iteratorINSA_10device_ptrItEEEEPS6_SG_NS0_5tupleIJSF_S6_EEENSH_IJSG_SG_EEES6_PlJNSB_9not_fun_tINSB_10functional5actorINSM_9compositeIJNSM_27transparent_binary_operatorINSA_8equal_toIvEEEENSN_INSM_8argumentILj0EEEEENSM_5valueItEEEEEEEEEEEE10hipError_tPvRmT3_T4_T5_T6_T7_T9_mT8_P12ihipStream_tbDpT10_ENKUlT_T0_E_clISt17integral_constantIbLb1EES1J_IbLb0EEEEDaS1F_S1G_EUlS1F_E_NS1_11comp_targetILNS1_3genE5ELNS1_11target_archE942ELNS1_3gpuE9ELNS1_3repE0EEENS1_30default_config_static_selectorELNS0_4arch9wavefront6targetE0EEEvT1_.uses_vcc, 0
	.set _ZN7rocprim17ROCPRIM_400000_NS6detail17trampoline_kernelINS0_14default_configENS1_25partition_config_selectorILNS1_17partition_subalgoE6EtNS0_10empty_typeEbEEZZNS1_14partition_implILS5_6ELb0ES3_mN6thrust23THRUST_200600_302600_NS6detail15normal_iteratorINSA_10device_ptrItEEEEPS6_SG_NS0_5tupleIJSF_S6_EEENSH_IJSG_SG_EEES6_PlJNSB_9not_fun_tINSB_10functional5actorINSM_9compositeIJNSM_27transparent_binary_operatorINSA_8equal_toIvEEEENSN_INSM_8argumentILj0EEEEENSM_5valueItEEEEEEEEEEEE10hipError_tPvRmT3_T4_T5_T6_T7_T9_mT8_P12ihipStream_tbDpT10_ENKUlT_T0_E_clISt17integral_constantIbLb1EES1J_IbLb0EEEEDaS1F_S1G_EUlS1F_E_NS1_11comp_targetILNS1_3genE5ELNS1_11target_archE942ELNS1_3gpuE9ELNS1_3repE0EEENS1_30default_config_static_selectorELNS0_4arch9wavefront6targetE0EEEvT1_.uses_flat_scratch, 0
	.set _ZN7rocprim17ROCPRIM_400000_NS6detail17trampoline_kernelINS0_14default_configENS1_25partition_config_selectorILNS1_17partition_subalgoE6EtNS0_10empty_typeEbEEZZNS1_14partition_implILS5_6ELb0ES3_mN6thrust23THRUST_200600_302600_NS6detail15normal_iteratorINSA_10device_ptrItEEEEPS6_SG_NS0_5tupleIJSF_S6_EEENSH_IJSG_SG_EEES6_PlJNSB_9not_fun_tINSB_10functional5actorINSM_9compositeIJNSM_27transparent_binary_operatorINSA_8equal_toIvEEEENSN_INSM_8argumentILj0EEEEENSM_5valueItEEEEEEEEEEEE10hipError_tPvRmT3_T4_T5_T6_T7_T9_mT8_P12ihipStream_tbDpT10_ENKUlT_T0_E_clISt17integral_constantIbLb1EES1J_IbLb0EEEEDaS1F_S1G_EUlS1F_E_NS1_11comp_targetILNS1_3genE5ELNS1_11target_archE942ELNS1_3gpuE9ELNS1_3repE0EEENS1_30default_config_static_selectorELNS0_4arch9wavefront6targetE0EEEvT1_.has_dyn_sized_stack, 0
	.set _ZN7rocprim17ROCPRIM_400000_NS6detail17trampoline_kernelINS0_14default_configENS1_25partition_config_selectorILNS1_17partition_subalgoE6EtNS0_10empty_typeEbEEZZNS1_14partition_implILS5_6ELb0ES3_mN6thrust23THRUST_200600_302600_NS6detail15normal_iteratorINSA_10device_ptrItEEEEPS6_SG_NS0_5tupleIJSF_S6_EEENSH_IJSG_SG_EEES6_PlJNSB_9not_fun_tINSB_10functional5actorINSM_9compositeIJNSM_27transparent_binary_operatorINSA_8equal_toIvEEEENSN_INSM_8argumentILj0EEEEENSM_5valueItEEEEEEEEEEEE10hipError_tPvRmT3_T4_T5_T6_T7_T9_mT8_P12ihipStream_tbDpT10_ENKUlT_T0_E_clISt17integral_constantIbLb1EES1J_IbLb0EEEEDaS1F_S1G_EUlS1F_E_NS1_11comp_targetILNS1_3genE5ELNS1_11target_archE942ELNS1_3gpuE9ELNS1_3repE0EEENS1_30default_config_static_selectorELNS0_4arch9wavefront6targetE0EEEvT1_.has_recursion, 0
	.set _ZN7rocprim17ROCPRIM_400000_NS6detail17trampoline_kernelINS0_14default_configENS1_25partition_config_selectorILNS1_17partition_subalgoE6EtNS0_10empty_typeEbEEZZNS1_14partition_implILS5_6ELb0ES3_mN6thrust23THRUST_200600_302600_NS6detail15normal_iteratorINSA_10device_ptrItEEEEPS6_SG_NS0_5tupleIJSF_S6_EEENSH_IJSG_SG_EEES6_PlJNSB_9not_fun_tINSB_10functional5actorINSM_9compositeIJNSM_27transparent_binary_operatorINSA_8equal_toIvEEEENSN_INSM_8argumentILj0EEEEENSM_5valueItEEEEEEEEEEEE10hipError_tPvRmT3_T4_T5_T6_T7_T9_mT8_P12ihipStream_tbDpT10_ENKUlT_T0_E_clISt17integral_constantIbLb1EES1J_IbLb0EEEEDaS1F_S1G_EUlS1F_E_NS1_11comp_targetILNS1_3genE5ELNS1_11target_archE942ELNS1_3gpuE9ELNS1_3repE0EEENS1_30default_config_static_selectorELNS0_4arch9wavefront6targetE0EEEvT1_.has_indirect_call, 0
	.section	.AMDGPU.csdata,"",@progbits
; Kernel info:
; codeLenInByte = 0
; TotalNumSgprs: 0
; NumVgprs: 0
; ScratchSize: 0
; MemoryBound: 0
; FloatMode: 240
; IeeeMode: 1
; LDSByteSize: 0 bytes/workgroup (compile time only)
; SGPRBlocks: 0
; VGPRBlocks: 0
; NumSGPRsForWavesPerEU: 1
; NumVGPRsForWavesPerEU: 1
; Occupancy: 16
; WaveLimiterHint : 0
; COMPUTE_PGM_RSRC2:SCRATCH_EN: 0
; COMPUTE_PGM_RSRC2:USER_SGPR: 2
; COMPUTE_PGM_RSRC2:TRAP_HANDLER: 0
; COMPUTE_PGM_RSRC2:TGID_X_EN: 1
; COMPUTE_PGM_RSRC2:TGID_Y_EN: 0
; COMPUTE_PGM_RSRC2:TGID_Z_EN: 0
; COMPUTE_PGM_RSRC2:TIDIG_COMP_CNT: 0
	.section	.text._ZN7rocprim17ROCPRIM_400000_NS6detail17trampoline_kernelINS0_14default_configENS1_25partition_config_selectorILNS1_17partition_subalgoE6EtNS0_10empty_typeEbEEZZNS1_14partition_implILS5_6ELb0ES3_mN6thrust23THRUST_200600_302600_NS6detail15normal_iteratorINSA_10device_ptrItEEEEPS6_SG_NS0_5tupleIJSF_S6_EEENSH_IJSG_SG_EEES6_PlJNSB_9not_fun_tINSB_10functional5actorINSM_9compositeIJNSM_27transparent_binary_operatorINSA_8equal_toIvEEEENSN_INSM_8argumentILj0EEEEENSM_5valueItEEEEEEEEEEEE10hipError_tPvRmT3_T4_T5_T6_T7_T9_mT8_P12ihipStream_tbDpT10_ENKUlT_T0_E_clISt17integral_constantIbLb1EES1J_IbLb0EEEEDaS1F_S1G_EUlS1F_E_NS1_11comp_targetILNS1_3genE4ELNS1_11target_archE910ELNS1_3gpuE8ELNS1_3repE0EEENS1_30default_config_static_selectorELNS0_4arch9wavefront6targetE0EEEvT1_,"axG",@progbits,_ZN7rocprim17ROCPRIM_400000_NS6detail17trampoline_kernelINS0_14default_configENS1_25partition_config_selectorILNS1_17partition_subalgoE6EtNS0_10empty_typeEbEEZZNS1_14partition_implILS5_6ELb0ES3_mN6thrust23THRUST_200600_302600_NS6detail15normal_iteratorINSA_10device_ptrItEEEEPS6_SG_NS0_5tupleIJSF_S6_EEENSH_IJSG_SG_EEES6_PlJNSB_9not_fun_tINSB_10functional5actorINSM_9compositeIJNSM_27transparent_binary_operatorINSA_8equal_toIvEEEENSN_INSM_8argumentILj0EEEEENSM_5valueItEEEEEEEEEEEE10hipError_tPvRmT3_T4_T5_T6_T7_T9_mT8_P12ihipStream_tbDpT10_ENKUlT_T0_E_clISt17integral_constantIbLb1EES1J_IbLb0EEEEDaS1F_S1G_EUlS1F_E_NS1_11comp_targetILNS1_3genE4ELNS1_11target_archE910ELNS1_3gpuE8ELNS1_3repE0EEENS1_30default_config_static_selectorELNS0_4arch9wavefront6targetE0EEEvT1_,comdat
	.protected	_ZN7rocprim17ROCPRIM_400000_NS6detail17trampoline_kernelINS0_14default_configENS1_25partition_config_selectorILNS1_17partition_subalgoE6EtNS0_10empty_typeEbEEZZNS1_14partition_implILS5_6ELb0ES3_mN6thrust23THRUST_200600_302600_NS6detail15normal_iteratorINSA_10device_ptrItEEEEPS6_SG_NS0_5tupleIJSF_S6_EEENSH_IJSG_SG_EEES6_PlJNSB_9not_fun_tINSB_10functional5actorINSM_9compositeIJNSM_27transparent_binary_operatorINSA_8equal_toIvEEEENSN_INSM_8argumentILj0EEEEENSM_5valueItEEEEEEEEEEEE10hipError_tPvRmT3_T4_T5_T6_T7_T9_mT8_P12ihipStream_tbDpT10_ENKUlT_T0_E_clISt17integral_constantIbLb1EES1J_IbLb0EEEEDaS1F_S1G_EUlS1F_E_NS1_11comp_targetILNS1_3genE4ELNS1_11target_archE910ELNS1_3gpuE8ELNS1_3repE0EEENS1_30default_config_static_selectorELNS0_4arch9wavefront6targetE0EEEvT1_ ; -- Begin function _ZN7rocprim17ROCPRIM_400000_NS6detail17trampoline_kernelINS0_14default_configENS1_25partition_config_selectorILNS1_17partition_subalgoE6EtNS0_10empty_typeEbEEZZNS1_14partition_implILS5_6ELb0ES3_mN6thrust23THRUST_200600_302600_NS6detail15normal_iteratorINSA_10device_ptrItEEEEPS6_SG_NS0_5tupleIJSF_S6_EEENSH_IJSG_SG_EEES6_PlJNSB_9not_fun_tINSB_10functional5actorINSM_9compositeIJNSM_27transparent_binary_operatorINSA_8equal_toIvEEEENSN_INSM_8argumentILj0EEEEENSM_5valueItEEEEEEEEEEEE10hipError_tPvRmT3_T4_T5_T6_T7_T9_mT8_P12ihipStream_tbDpT10_ENKUlT_T0_E_clISt17integral_constantIbLb1EES1J_IbLb0EEEEDaS1F_S1G_EUlS1F_E_NS1_11comp_targetILNS1_3genE4ELNS1_11target_archE910ELNS1_3gpuE8ELNS1_3repE0EEENS1_30default_config_static_selectorELNS0_4arch9wavefront6targetE0EEEvT1_
	.globl	_ZN7rocprim17ROCPRIM_400000_NS6detail17trampoline_kernelINS0_14default_configENS1_25partition_config_selectorILNS1_17partition_subalgoE6EtNS0_10empty_typeEbEEZZNS1_14partition_implILS5_6ELb0ES3_mN6thrust23THRUST_200600_302600_NS6detail15normal_iteratorINSA_10device_ptrItEEEEPS6_SG_NS0_5tupleIJSF_S6_EEENSH_IJSG_SG_EEES6_PlJNSB_9not_fun_tINSB_10functional5actorINSM_9compositeIJNSM_27transparent_binary_operatorINSA_8equal_toIvEEEENSN_INSM_8argumentILj0EEEEENSM_5valueItEEEEEEEEEEEE10hipError_tPvRmT3_T4_T5_T6_T7_T9_mT8_P12ihipStream_tbDpT10_ENKUlT_T0_E_clISt17integral_constantIbLb1EES1J_IbLb0EEEEDaS1F_S1G_EUlS1F_E_NS1_11comp_targetILNS1_3genE4ELNS1_11target_archE910ELNS1_3gpuE8ELNS1_3repE0EEENS1_30default_config_static_selectorELNS0_4arch9wavefront6targetE0EEEvT1_
	.p2align	8
	.type	_ZN7rocprim17ROCPRIM_400000_NS6detail17trampoline_kernelINS0_14default_configENS1_25partition_config_selectorILNS1_17partition_subalgoE6EtNS0_10empty_typeEbEEZZNS1_14partition_implILS5_6ELb0ES3_mN6thrust23THRUST_200600_302600_NS6detail15normal_iteratorINSA_10device_ptrItEEEEPS6_SG_NS0_5tupleIJSF_S6_EEENSH_IJSG_SG_EEES6_PlJNSB_9not_fun_tINSB_10functional5actorINSM_9compositeIJNSM_27transparent_binary_operatorINSA_8equal_toIvEEEENSN_INSM_8argumentILj0EEEEENSM_5valueItEEEEEEEEEEEE10hipError_tPvRmT3_T4_T5_T6_T7_T9_mT8_P12ihipStream_tbDpT10_ENKUlT_T0_E_clISt17integral_constantIbLb1EES1J_IbLb0EEEEDaS1F_S1G_EUlS1F_E_NS1_11comp_targetILNS1_3genE4ELNS1_11target_archE910ELNS1_3gpuE8ELNS1_3repE0EEENS1_30default_config_static_selectorELNS0_4arch9wavefront6targetE0EEEvT1_,@function
_ZN7rocprim17ROCPRIM_400000_NS6detail17trampoline_kernelINS0_14default_configENS1_25partition_config_selectorILNS1_17partition_subalgoE6EtNS0_10empty_typeEbEEZZNS1_14partition_implILS5_6ELb0ES3_mN6thrust23THRUST_200600_302600_NS6detail15normal_iteratorINSA_10device_ptrItEEEEPS6_SG_NS0_5tupleIJSF_S6_EEENSH_IJSG_SG_EEES6_PlJNSB_9not_fun_tINSB_10functional5actorINSM_9compositeIJNSM_27transparent_binary_operatorINSA_8equal_toIvEEEENSN_INSM_8argumentILj0EEEEENSM_5valueItEEEEEEEEEEEE10hipError_tPvRmT3_T4_T5_T6_T7_T9_mT8_P12ihipStream_tbDpT10_ENKUlT_T0_E_clISt17integral_constantIbLb1EES1J_IbLb0EEEEDaS1F_S1G_EUlS1F_E_NS1_11comp_targetILNS1_3genE4ELNS1_11target_archE910ELNS1_3gpuE8ELNS1_3repE0EEENS1_30default_config_static_selectorELNS0_4arch9wavefront6targetE0EEEvT1_: ; @_ZN7rocprim17ROCPRIM_400000_NS6detail17trampoline_kernelINS0_14default_configENS1_25partition_config_selectorILNS1_17partition_subalgoE6EtNS0_10empty_typeEbEEZZNS1_14partition_implILS5_6ELb0ES3_mN6thrust23THRUST_200600_302600_NS6detail15normal_iteratorINSA_10device_ptrItEEEEPS6_SG_NS0_5tupleIJSF_S6_EEENSH_IJSG_SG_EEES6_PlJNSB_9not_fun_tINSB_10functional5actorINSM_9compositeIJNSM_27transparent_binary_operatorINSA_8equal_toIvEEEENSN_INSM_8argumentILj0EEEEENSM_5valueItEEEEEEEEEEEE10hipError_tPvRmT3_T4_T5_T6_T7_T9_mT8_P12ihipStream_tbDpT10_ENKUlT_T0_E_clISt17integral_constantIbLb1EES1J_IbLb0EEEEDaS1F_S1G_EUlS1F_E_NS1_11comp_targetILNS1_3genE4ELNS1_11target_archE910ELNS1_3gpuE8ELNS1_3repE0EEENS1_30default_config_static_selectorELNS0_4arch9wavefront6targetE0EEEvT1_
; %bb.0:
	.section	.rodata,"a",@progbits
	.p2align	6, 0x0
	.amdhsa_kernel _ZN7rocprim17ROCPRIM_400000_NS6detail17trampoline_kernelINS0_14default_configENS1_25partition_config_selectorILNS1_17partition_subalgoE6EtNS0_10empty_typeEbEEZZNS1_14partition_implILS5_6ELb0ES3_mN6thrust23THRUST_200600_302600_NS6detail15normal_iteratorINSA_10device_ptrItEEEEPS6_SG_NS0_5tupleIJSF_S6_EEENSH_IJSG_SG_EEES6_PlJNSB_9not_fun_tINSB_10functional5actorINSM_9compositeIJNSM_27transparent_binary_operatorINSA_8equal_toIvEEEENSN_INSM_8argumentILj0EEEEENSM_5valueItEEEEEEEEEEEE10hipError_tPvRmT3_T4_T5_T6_T7_T9_mT8_P12ihipStream_tbDpT10_ENKUlT_T0_E_clISt17integral_constantIbLb1EES1J_IbLb0EEEEDaS1F_S1G_EUlS1F_E_NS1_11comp_targetILNS1_3genE4ELNS1_11target_archE910ELNS1_3gpuE8ELNS1_3repE0EEENS1_30default_config_static_selectorELNS0_4arch9wavefront6targetE0EEEvT1_
		.amdhsa_group_segment_fixed_size 0
		.amdhsa_private_segment_fixed_size 0
		.amdhsa_kernarg_size 120
		.amdhsa_user_sgpr_count 2
		.amdhsa_user_sgpr_dispatch_ptr 0
		.amdhsa_user_sgpr_queue_ptr 0
		.amdhsa_user_sgpr_kernarg_segment_ptr 1
		.amdhsa_user_sgpr_dispatch_id 0
		.amdhsa_user_sgpr_private_segment_size 0
		.amdhsa_wavefront_size32 1
		.amdhsa_uses_dynamic_stack 0
		.amdhsa_enable_private_segment 0
		.amdhsa_system_sgpr_workgroup_id_x 1
		.amdhsa_system_sgpr_workgroup_id_y 0
		.amdhsa_system_sgpr_workgroup_id_z 0
		.amdhsa_system_sgpr_workgroup_info 0
		.amdhsa_system_vgpr_workitem_id 0
		.amdhsa_next_free_vgpr 1
		.amdhsa_next_free_sgpr 1
		.amdhsa_reserve_vcc 0
		.amdhsa_float_round_mode_32 0
		.amdhsa_float_round_mode_16_64 0
		.amdhsa_float_denorm_mode_32 3
		.amdhsa_float_denorm_mode_16_64 3
		.amdhsa_fp16_overflow 0
		.amdhsa_workgroup_processor_mode 1
		.amdhsa_memory_ordered 1
		.amdhsa_forward_progress 1
		.amdhsa_inst_pref_size 0
		.amdhsa_round_robin_scheduling 0
		.amdhsa_exception_fp_ieee_invalid_op 0
		.amdhsa_exception_fp_denorm_src 0
		.amdhsa_exception_fp_ieee_div_zero 0
		.amdhsa_exception_fp_ieee_overflow 0
		.amdhsa_exception_fp_ieee_underflow 0
		.amdhsa_exception_fp_ieee_inexact 0
		.amdhsa_exception_int_div_zero 0
	.end_amdhsa_kernel
	.section	.text._ZN7rocprim17ROCPRIM_400000_NS6detail17trampoline_kernelINS0_14default_configENS1_25partition_config_selectorILNS1_17partition_subalgoE6EtNS0_10empty_typeEbEEZZNS1_14partition_implILS5_6ELb0ES3_mN6thrust23THRUST_200600_302600_NS6detail15normal_iteratorINSA_10device_ptrItEEEEPS6_SG_NS0_5tupleIJSF_S6_EEENSH_IJSG_SG_EEES6_PlJNSB_9not_fun_tINSB_10functional5actorINSM_9compositeIJNSM_27transparent_binary_operatorINSA_8equal_toIvEEEENSN_INSM_8argumentILj0EEEEENSM_5valueItEEEEEEEEEEEE10hipError_tPvRmT3_T4_T5_T6_T7_T9_mT8_P12ihipStream_tbDpT10_ENKUlT_T0_E_clISt17integral_constantIbLb1EES1J_IbLb0EEEEDaS1F_S1G_EUlS1F_E_NS1_11comp_targetILNS1_3genE4ELNS1_11target_archE910ELNS1_3gpuE8ELNS1_3repE0EEENS1_30default_config_static_selectorELNS0_4arch9wavefront6targetE0EEEvT1_,"axG",@progbits,_ZN7rocprim17ROCPRIM_400000_NS6detail17trampoline_kernelINS0_14default_configENS1_25partition_config_selectorILNS1_17partition_subalgoE6EtNS0_10empty_typeEbEEZZNS1_14partition_implILS5_6ELb0ES3_mN6thrust23THRUST_200600_302600_NS6detail15normal_iteratorINSA_10device_ptrItEEEEPS6_SG_NS0_5tupleIJSF_S6_EEENSH_IJSG_SG_EEES6_PlJNSB_9not_fun_tINSB_10functional5actorINSM_9compositeIJNSM_27transparent_binary_operatorINSA_8equal_toIvEEEENSN_INSM_8argumentILj0EEEEENSM_5valueItEEEEEEEEEEEE10hipError_tPvRmT3_T4_T5_T6_T7_T9_mT8_P12ihipStream_tbDpT10_ENKUlT_T0_E_clISt17integral_constantIbLb1EES1J_IbLb0EEEEDaS1F_S1G_EUlS1F_E_NS1_11comp_targetILNS1_3genE4ELNS1_11target_archE910ELNS1_3gpuE8ELNS1_3repE0EEENS1_30default_config_static_selectorELNS0_4arch9wavefront6targetE0EEEvT1_,comdat
.Lfunc_end164:
	.size	_ZN7rocprim17ROCPRIM_400000_NS6detail17trampoline_kernelINS0_14default_configENS1_25partition_config_selectorILNS1_17partition_subalgoE6EtNS0_10empty_typeEbEEZZNS1_14partition_implILS5_6ELb0ES3_mN6thrust23THRUST_200600_302600_NS6detail15normal_iteratorINSA_10device_ptrItEEEEPS6_SG_NS0_5tupleIJSF_S6_EEENSH_IJSG_SG_EEES6_PlJNSB_9not_fun_tINSB_10functional5actorINSM_9compositeIJNSM_27transparent_binary_operatorINSA_8equal_toIvEEEENSN_INSM_8argumentILj0EEEEENSM_5valueItEEEEEEEEEEEE10hipError_tPvRmT3_T4_T5_T6_T7_T9_mT8_P12ihipStream_tbDpT10_ENKUlT_T0_E_clISt17integral_constantIbLb1EES1J_IbLb0EEEEDaS1F_S1G_EUlS1F_E_NS1_11comp_targetILNS1_3genE4ELNS1_11target_archE910ELNS1_3gpuE8ELNS1_3repE0EEENS1_30default_config_static_selectorELNS0_4arch9wavefront6targetE0EEEvT1_, .Lfunc_end164-_ZN7rocprim17ROCPRIM_400000_NS6detail17trampoline_kernelINS0_14default_configENS1_25partition_config_selectorILNS1_17partition_subalgoE6EtNS0_10empty_typeEbEEZZNS1_14partition_implILS5_6ELb0ES3_mN6thrust23THRUST_200600_302600_NS6detail15normal_iteratorINSA_10device_ptrItEEEEPS6_SG_NS0_5tupleIJSF_S6_EEENSH_IJSG_SG_EEES6_PlJNSB_9not_fun_tINSB_10functional5actorINSM_9compositeIJNSM_27transparent_binary_operatorINSA_8equal_toIvEEEENSN_INSM_8argumentILj0EEEEENSM_5valueItEEEEEEEEEEEE10hipError_tPvRmT3_T4_T5_T6_T7_T9_mT8_P12ihipStream_tbDpT10_ENKUlT_T0_E_clISt17integral_constantIbLb1EES1J_IbLb0EEEEDaS1F_S1G_EUlS1F_E_NS1_11comp_targetILNS1_3genE4ELNS1_11target_archE910ELNS1_3gpuE8ELNS1_3repE0EEENS1_30default_config_static_selectorELNS0_4arch9wavefront6targetE0EEEvT1_
                                        ; -- End function
	.set _ZN7rocprim17ROCPRIM_400000_NS6detail17trampoline_kernelINS0_14default_configENS1_25partition_config_selectorILNS1_17partition_subalgoE6EtNS0_10empty_typeEbEEZZNS1_14partition_implILS5_6ELb0ES3_mN6thrust23THRUST_200600_302600_NS6detail15normal_iteratorINSA_10device_ptrItEEEEPS6_SG_NS0_5tupleIJSF_S6_EEENSH_IJSG_SG_EEES6_PlJNSB_9not_fun_tINSB_10functional5actorINSM_9compositeIJNSM_27transparent_binary_operatorINSA_8equal_toIvEEEENSN_INSM_8argumentILj0EEEEENSM_5valueItEEEEEEEEEEEE10hipError_tPvRmT3_T4_T5_T6_T7_T9_mT8_P12ihipStream_tbDpT10_ENKUlT_T0_E_clISt17integral_constantIbLb1EES1J_IbLb0EEEEDaS1F_S1G_EUlS1F_E_NS1_11comp_targetILNS1_3genE4ELNS1_11target_archE910ELNS1_3gpuE8ELNS1_3repE0EEENS1_30default_config_static_selectorELNS0_4arch9wavefront6targetE0EEEvT1_.num_vgpr, 0
	.set _ZN7rocprim17ROCPRIM_400000_NS6detail17trampoline_kernelINS0_14default_configENS1_25partition_config_selectorILNS1_17partition_subalgoE6EtNS0_10empty_typeEbEEZZNS1_14partition_implILS5_6ELb0ES3_mN6thrust23THRUST_200600_302600_NS6detail15normal_iteratorINSA_10device_ptrItEEEEPS6_SG_NS0_5tupleIJSF_S6_EEENSH_IJSG_SG_EEES6_PlJNSB_9not_fun_tINSB_10functional5actorINSM_9compositeIJNSM_27transparent_binary_operatorINSA_8equal_toIvEEEENSN_INSM_8argumentILj0EEEEENSM_5valueItEEEEEEEEEEEE10hipError_tPvRmT3_T4_T5_T6_T7_T9_mT8_P12ihipStream_tbDpT10_ENKUlT_T0_E_clISt17integral_constantIbLb1EES1J_IbLb0EEEEDaS1F_S1G_EUlS1F_E_NS1_11comp_targetILNS1_3genE4ELNS1_11target_archE910ELNS1_3gpuE8ELNS1_3repE0EEENS1_30default_config_static_selectorELNS0_4arch9wavefront6targetE0EEEvT1_.num_agpr, 0
	.set _ZN7rocprim17ROCPRIM_400000_NS6detail17trampoline_kernelINS0_14default_configENS1_25partition_config_selectorILNS1_17partition_subalgoE6EtNS0_10empty_typeEbEEZZNS1_14partition_implILS5_6ELb0ES3_mN6thrust23THRUST_200600_302600_NS6detail15normal_iteratorINSA_10device_ptrItEEEEPS6_SG_NS0_5tupleIJSF_S6_EEENSH_IJSG_SG_EEES6_PlJNSB_9not_fun_tINSB_10functional5actorINSM_9compositeIJNSM_27transparent_binary_operatorINSA_8equal_toIvEEEENSN_INSM_8argumentILj0EEEEENSM_5valueItEEEEEEEEEEEE10hipError_tPvRmT3_T4_T5_T6_T7_T9_mT8_P12ihipStream_tbDpT10_ENKUlT_T0_E_clISt17integral_constantIbLb1EES1J_IbLb0EEEEDaS1F_S1G_EUlS1F_E_NS1_11comp_targetILNS1_3genE4ELNS1_11target_archE910ELNS1_3gpuE8ELNS1_3repE0EEENS1_30default_config_static_selectorELNS0_4arch9wavefront6targetE0EEEvT1_.numbered_sgpr, 0
	.set _ZN7rocprim17ROCPRIM_400000_NS6detail17trampoline_kernelINS0_14default_configENS1_25partition_config_selectorILNS1_17partition_subalgoE6EtNS0_10empty_typeEbEEZZNS1_14partition_implILS5_6ELb0ES3_mN6thrust23THRUST_200600_302600_NS6detail15normal_iteratorINSA_10device_ptrItEEEEPS6_SG_NS0_5tupleIJSF_S6_EEENSH_IJSG_SG_EEES6_PlJNSB_9not_fun_tINSB_10functional5actorINSM_9compositeIJNSM_27transparent_binary_operatorINSA_8equal_toIvEEEENSN_INSM_8argumentILj0EEEEENSM_5valueItEEEEEEEEEEEE10hipError_tPvRmT3_T4_T5_T6_T7_T9_mT8_P12ihipStream_tbDpT10_ENKUlT_T0_E_clISt17integral_constantIbLb1EES1J_IbLb0EEEEDaS1F_S1G_EUlS1F_E_NS1_11comp_targetILNS1_3genE4ELNS1_11target_archE910ELNS1_3gpuE8ELNS1_3repE0EEENS1_30default_config_static_selectorELNS0_4arch9wavefront6targetE0EEEvT1_.num_named_barrier, 0
	.set _ZN7rocprim17ROCPRIM_400000_NS6detail17trampoline_kernelINS0_14default_configENS1_25partition_config_selectorILNS1_17partition_subalgoE6EtNS0_10empty_typeEbEEZZNS1_14partition_implILS5_6ELb0ES3_mN6thrust23THRUST_200600_302600_NS6detail15normal_iteratorINSA_10device_ptrItEEEEPS6_SG_NS0_5tupleIJSF_S6_EEENSH_IJSG_SG_EEES6_PlJNSB_9not_fun_tINSB_10functional5actorINSM_9compositeIJNSM_27transparent_binary_operatorINSA_8equal_toIvEEEENSN_INSM_8argumentILj0EEEEENSM_5valueItEEEEEEEEEEEE10hipError_tPvRmT3_T4_T5_T6_T7_T9_mT8_P12ihipStream_tbDpT10_ENKUlT_T0_E_clISt17integral_constantIbLb1EES1J_IbLb0EEEEDaS1F_S1G_EUlS1F_E_NS1_11comp_targetILNS1_3genE4ELNS1_11target_archE910ELNS1_3gpuE8ELNS1_3repE0EEENS1_30default_config_static_selectorELNS0_4arch9wavefront6targetE0EEEvT1_.private_seg_size, 0
	.set _ZN7rocprim17ROCPRIM_400000_NS6detail17trampoline_kernelINS0_14default_configENS1_25partition_config_selectorILNS1_17partition_subalgoE6EtNS0_10empty_typeEbEEZZNS1_14partition_implILS5_6ELb0ES3_mN6thrust23THRUST_200600_302600_NS6detail15normal_iteratorINSA_10device_ptrItEEEEPS6_SG_NS0_5tupleIJSF_S6_EEENSH_IJSG_SG_EEES6_PlJNSB_9not_fun_tINSB_10functional5actorINSM_9compositeIJNSM_27transparent_binary_operatorINSA_8equal_toIvEEEENSN_INSM_8argumentILj0EEEEENSM_5valueItEEEEEEEEEEEE10hipError_tPvRmT3_T4_T5_T6_T7_T9_mT8_P12ihipStream_tbDpT10_ENKUlT_T0_E_clISt17integral_constantIbLb1EES1J_IbLb0EEEEDaS1F_S1G_EUlS1F_E_NS1_11comp_targetILNS1_3genE4ELNS1_11target_archE910ELNS1_3gpuE8ELNS1_3repE0EEENS1_30default_config_static_selectorELNS0_4arch9wavefront6targetE0EEEvT1_.uses_vcc, 0
	.set _ZN7rocprim17ROCPRIM_400000_NS6detail17trampoline_kernelINS0_14default_configENS1_25partition_config_selectorILNS1_17partition_subalgoE6EtNS0_10empty_typeEbEEZZNS1_14partition_implILS5_6ELb0ES3_mN6thrust23THRUST_200600_302600_NS6detail15normal_iteratorINSA_10device_ptrItEEEEPS6_SG_NS0_5tupleIJSF_S6_EEENSH_IJSG_SG_EEES6_PlJNSB_9not_fun_tINSB_10functional5actorINSM_9compositeIJNSM_27transparent_binary_operatorINSA_8equal_toIvEEEENSN_INSM_8argumentILj0EEEEENSM_5valueItEEEEEEEEEEEE10hipError_tPvRmT3_T4_T5_T6_T7_T9_mT8_P12ihipStream_tbDpT10_ENKUlT_T0_E_clISt17integral_constantIbLb1EES1J_IbLb0EEEEDaS1F_S1G_EUlS1F_E_NS1_11comp_targetILNS1_3genE4ELNS1_11target_archE910ELNS1_3gpuE8ELNS1_3repE0EEENS1_30default_config_static_selectorELNS0_4arch9wavefront6targetE0EEEvT1_.uses_flat_scratch, 0
	.set _ZN7rocprim17ROCPRIM_400000_NS6detail17trampoline_kernelINS0_14default_configENS1_25partition_config_selectorILNS1_17partition_subalgoE6EtNS0_10empty_typeEbEEZZNS1_14partition_implILS5_6ELb0ES3_mN6thrust23THRUST_200600_302600_NS6detail15normal_iteratorINSA_10device_ptrItEEEEPS6_SG_NS0_5tupleIJSF_S6_EEENSH_IJSG_SG_EEES6_PlJNSB_9not_fun_tINSB_10functional5actorINSM_9compositeIJNSM_27transparent_binary_operatorINSA_8equal_toIvEEEENSN_INSM_8argumentILj0EEEEENSM_5valueItEEEEEEEEEEEE10hipError_tPvRmT3_T4_T5_T6_T7_T9_mT8_P12ihipStream_tbDpT10_ENKUlT_T0_E_clISt17integral_constantIbLb1EES1J_IbLb0EEEEDaS1F_S1G_EUlS1F_E_NS1_11comp_targetILNS1_3genE4ELNS1_11target_archE910ELNS1_3gpuE8ELNS1_3repE0EEENS1_30default_config_static_selectorELNS0_4arch9wavefront6targetE0EEEvT1_.has_dyn_sized_stack, 0
	.set _ZN7rocprim17ROCPRIM_400000_NS6detail17trampoline_kernelINS0_14default_configENS1_25partition_config_selectorILNS1_17partition_subalgoE6EtNS0_10empty_typeEbEEZZNS1_14partition_implILS5_6ELb0ES3_mN6thrust23THRUST_200600_302600_NS6detail15normal_iteratorINSA_10device_ptrItEEEEPS6_SG_NS0_5tupleIJSF_S6_EEENSH_IJSG_SG_EEES6_PlJNSB_9not_fun_tINSB_10functional5actorINSM_9compositeIJNSM_27transparent_binary_operatorINSA_8equal_toIvEEEENSN_INSM_8argumentILj0EEEEENSM_5valueItEEEEEEEEEEEE10hipError_tPvRmT3_T4_T5_T6_T7_T9_mT8_P12ihipStream_tbDpT10_ENKUlT_T0_E_clISt17integral_constantIbLb1EES1J_IbLb0EEEEDaS1F_S1G_EUlS1F_E_NS1_11comp_targetILNS1_3genE4ELNS1_11target_archE910ELNS1_3gpuE8ELNS1_3repE0EEENS1_30default_config_static_selectorELNS0_4arch9wavefront6targetE0EEEvT1_.has_recursion, 0
	.set _ZN7rocprim17ROCPRIM_400000_NS6detail17trampoline_kernelINS0_14default_configENS1_25partition_config_selectorILNS1_17partition_subalgoE6EtNS0_10empty_typeEbEEZZNS1_14partition_implILS5_6ELb0ES3_mN6thrust23THRUST_200600_302600_NS6detail15normal_iteratorINSA_10device_ptrItEEEEPS6_SG_NS0_5tupleIJSF_S6_EEENSH_IJSG_SG_EEES6_PlJNSB_9not_fun_tINSB_10functional5actorINSM_9compositeIJNSM_27transparent_binary_operatorINSA_8equal_toIvEEEENSN_INSM_8argumentILj0EEEEENSM_5valueItEEEEEEEEEEEE10hipError_tPvRmT3_T4_T5_T6_T7_T9_mT8_P12ihipStream_tbDpT10_ENKUlT_T0_E_clISt17integral_constantIbLb1EES1J_IbLb0EEEEDaS1F_S1G_EUlS1F_E_NS1_11comp_targetILNS1_3genE4ELNS1_11target_archE910ELNS1_3gpuE8ELNS1_3repE0EEENS1_30default_config_static_selectorELNS0_4arch9wavefront6targetE0EEEvT1_.has_indirect_call, 0
	.section	.AMDGPU.csdata,"",@progbits
; Kernel info:
; codeLenInByte = 0
; TotalNumSgprs: 0
; NumVgprs: 0
; ScratchSize: 0
; MemoryBound: 0
; FloatMode: 240
; IeeeMode: 1
; LDSByteSize: 0 bytes/workgroup (compile time only)
; SGPRBlocks: 0
; VGPRBlocks: 0
; NumSGPRsForWavesPerEU: 1
; NumVGPRsForWavesPerEU: 1
; Occupancy: 16
; WaveLimiterHint : 0
; COMPUTE_PGM_RSRC2:SCRATCH_EN: 0
; COMPUTE_PGM_RSRC2:USER_SGPR: 2
; COMPUTE_PGM_RSRC2:TRAP_HANDLER: 0
; COMPUTE_PGM_RSRC2:TGID_X_EN: 1
; COMPUTE_PGM_RSRC2:TGID_Y_EN: 0
; COMPUTE_PGM_RSRC2:TGID_Z_EN: 0
; COMPUTE_PGM_RSRC2:TIDIG_COMP_CNT: 0
	.section	.text._ZN7rocprim17ROCPRIM_400000_NS6detail17trampoline_kernelINS0_14default_configENS1_25partition_config_selectorILNS1_17partition_subalgoE6EtNS0_10empty_typeEbEEZZNS1_14partition_implILS5_6ELb0ES3_mN6thrust23THRUST_200600_302600_NS6detail15normal_iteratorINSA_10device_ptrItEEEEPS6_SG_NS0_5tupleIJSF_S6_EEENSH_IJSG_SG_EEES6_PlJNSB_9not_fun_tINSB_10functional5actorINSM_9compositeIJNSM_27transparent_binary_operatorINSA_8equal_toIvEEEENSN_INSM_8argumentILj0EEEEENSM_5valueItEEEEEEEEEEEE10hipError_tPvRmT3_T4_T5_T6_T7_T9_mT8_P12ihipStream_tbDpT10_ENKUlT_T0_E_clISt17integral_constantIbLb1EES1J_IbLb0EEEEDaS1F_S1G_EUlS1F_E_NS1_11comp_targetILNS1_3genE3ELNS1_11target_archE908ELNS1_3gpuE7ELNS1_3repE0EEENS1_30default_config_static_selectorELNS0_4arch9wavefront6targetE0EEEvT1_,"axG",@progbits,_ZN7rocprim17ROCPRIM_400000_NS6detail17trampoline_kernelINS0_14default_configENS1_25partition_config_selectorILNS1_17partition_subalgoE6EtNS0_10empty_typeEbEEZZNS1_14partition_implILS5_6ELb0ES3_mN6thrust23THRUST_200600_302600_NS6detail15normal_iteratorINSA_10device_ptrItEEEEPS6_SG_NS0_5tupleIJSF_S6_EEENSH_IJSG_SG_EEES6_PlJNSB_9not_fun_tINSB_10functional5actorINSM_9compositeIJNSM_27transparent_binary_operatorINSA_8equal_toIvEEEENSN_INSM_8argumentILj0EEEEENSM_5valueItEEEEEEEEEEEE10hipError_tPvRmT3_T4_T5_T6_T7_T9_mT8_P12ihipStream_tbDpT10_ENKUlT_T0_E_clISt17integral_constantIbLb1EES1J_IbLb0EEEEDaS1F_S1G_EUlS1F_E_NS1_11comp_targetILNS1_3genE3ELNS1_11target_archE908ELNS1_3gpuE7ELNS1_3repE0EEENS1_30default_config_static_selectorELNS0_4arch9wavefront6targetE0EEEvT1_,comdat
	.protected	_ZN7rocprim17ROCPRIM_400000_NS6detail17trampoline_kernelINS0_14default_configENS1_25partition_config_selectorILNS1_17partition_subalgoE6EtNS0_10empty_typeEbEEZZNS1_14partition_implILS5_6ELb0ES3_mN6thrust23THRUST_200600_302600_NS6detail15normal_iteratorINSA_10device_ptrItEEEEPS6_SG_NS0_5tupleIJSF_S6_EEENSH_IJSG_SG_EEES6_PlJNSB_9not_fun_tINSB_10functional5actorINSM_9compositeIJNSM_27transparent_binary_operatorINSA_8equal_toIvEEEENSN_INSM_8argumentILj0EEEEENSM_5valueItEEEEEEEEEEEE10hipError_tPvRmT3_T4_T5_T6_T7_T9_mT8_P12ihipStream_tbDpT10_ENKUlT_T0_E_clISt17integral_constantIbLb1EES1J_IbLb0EEEEDaS1F_S1G_EUlS1F_E_NS1_11comp_targetILNS1_3genE3ELNS1_11target_archE908ELNS1_3gpuE7ELNS1_3repE0EEENS1_30default_config_static_selectorELNS0_4arch9wavefront6targetE0EEEvT1_ ; -- Begin function _ZN7rocprim17ROCPRIM_400000_NS6detail17trampoline_kernelINS0_14default_configENS1_25partition_config_selectorILNS1_17partition_subalgoE6EtNS0_10empty_typeEbEEZZNS1_14partition_implILS5_6ELb0ES3_mN6thrust23THRUST_200600_302600_NS6detail15normal_iteratorINSA_10device_ptrItEEEEPS6_SG_NS0_5tupleIJSF_S6_EEENSH_IJSG_SG_EEES6_PlJNSB_9not_fun_tINSB_10functional5actorINSM_9compositeIJNSM_27transparent_binary_operatorINSA_8equal_toIvEEEENSN_INSM_8argumentILj0EEEEENSM_5valueItEEEEEEEEEEEE10hipError_tPvRmT3_T4_T5_T6_T7_T9_mT8_P12ihipStream_tbDpT10_ENKUlT_T0_E_clISt17integral_constantIbLb1EES1J_IbLb0EEEEDaS1F_S1G_EUlS1F_E_NS1_11comp_targetILNS1_3genE3ELNS1_11target_archE908ELNS1_3gpuE7ELNS1_3repE0EEENS1_30default_config_static_selectorELNS0_4arch9wavefront6targetE0EEEvT1_
	.globl	_ZN7rocprim17ROCPRIM_400000_NS6detail17trampoline_kernelINS0_14default_configENS1_25partition_config_selectorILNS1_17partition_subalgoE6EtNS0_10empty_typeEbEEZZNS1_14partition_implILS5_6ELb0ES3_mN6thrust23THRUST_200600_302600_NS6detail15normal_iteratorINSA_10device_ptrItEEEEPS6_SG_NS0_5tupleIJSF_S6_EEENSH_IJSG_SG_EEES6_PlJNSB_9not_fun_tINSB_10functional5actorINSM_9compositeIJNSM_27transparent_binary_operatorINSA_8equal_toIvEEEENSN_INSM_8argumentILj0EEEEENSM_5valueItEEEEEEEEEEEE10hipError_tPvRmT3_T4_T5_T6_T7_T9_mT8_P12ihipStream_tbDpT10_ENKUlT_T0_E_clISt17integral_constantIbLb1EES1J_IbLb0EEEEDaS1F_S1G_EUlS1F_E_NS1_11comp_targetILNS1_3genE3ELNS1_11target_archE908ELNS1_3gpuE7ELNS1_3repE0EEENS1_30default_config_static_selectorELNS0_4arch9wavefront6targetE0EEEvT1_
	.p2align	8
	.type	_ZN7rocprim17ROCPRIM_400000_NS6detail17trampoline_kernelINS0_14default_configENS1_25partition_config_selectorILNS1_17partition_subalgoE6EtNS0_10empty_typeEbEEZZNS1_14partition_implILS5_6ELb0ES3_mN6thrust23THRUST_200600_302600_NS6detail15normal_iteratorINSA_10device_ptrItEEEEPS6_SG_NS0_5tupleIJSF_S6_EEENSH_IJSG_SG_EEES6_PlJNSB_9not_fun_tINSB_10functional5actorINSM_9compositeIJNSM_27transparent_binary_operatorINSA_8equal_toIvEEEENSN_INSM_8argumentILj0EEEEENSM_5valueItEEEEEEEEEEEE10hipError_tPvRmT3_T4_T5_T6_T7_T9_mT8_P12ihipStream_tbDpT10_ENKUlT_T0_E_clISt17integral_constantIbLb1EES1J_IbLb0EEEEDaS1F_S1G_EUlS1F_E_NS1_11comp_targetILNS1_3genE3ELNS1_11target_archE908ELNS1_3gpuE7ELNS1_3repE0EEENS1_30default_config_static_selectorELNS0_4arch9wavefront6targetE0EEEvT1_,@function
_ZN7rocprim17ROCPRIM_400000_NS6detail17trampoline_kernelINS0_14default_configENS1_25partition_config_selectorILNS1_17partition_subalgoE6EtNS0_10empty_typeEbEEZZNS1_14partition_implILS5_6ELb0ES3_mN6thrust23THRUST_200600_302600_NS6detail15normal_iteratorINSA_10device_ptrItEEEEPS6_SG_NS0_5tupleIJSF_S6_EEENSH_IJSG_SG_EEES6_PlJNSB_9not_fun_tINSB_10functional5actorINSM_9compositeIJNSM_27transparent_binary_operatorINSA_8equal_toIvEEEENSN_INSM_8argumentILj0EEEEENSM_5valueItEEEEEEEEEEEE10hipError_tPvRmT3_T4_T5_T6_T7_T9_mT8_P12ihipStream_tbDpT10_ENKUlT_T0_E_clISt17integral_constantIbLb1EES1J_IbLb0EEEEDaS1F_S1G_EUlS1F_E_NS1_11comp_targetILNS1_3genE3ELNS1_11target_archE908ELNS1_3gpuE7ELNS1_3repE0EEENS1_30default_config_static_selectorELNS0_4arch9wavefront6targetE0EEEvT1_: ; @_ZN7rocprim17ROCPRIM_400000_NS6detail17trampoline_kernelINS0_14default_configENS1_25partition_config_selectorILNS1_17partition_subalgoE6EtNS0_10empty_typeEbEEZZNS1_14partition_implILS5_6ELb0ES3_mN6thrust23THRUST_200600_302600_NS6detail15normal_iteratorINSA_10device_ptrItEEEEPS6_SG_NS0_5tupleIJSF_S6_EEENSH_IJSG_SG_EEES6_PlJNSB_9not_fun_tINSB_10functional5actorINSM_9compositeIJNSM_27transparent_binary_operatorINSA_8equal_toIvEEEENSN_INSM_8argumentILj0EEEEENSM_5valueItEEEEEEEEEEEE10hipError_tPvRmT3_T4_T5_T6_T7_T9_mT8_P12ihipStream_tbDpT10_ENKUlT_T0_E_clISt17integral_constantIbLb1EES1J_IbLb0EEEEDaS1F_S1G_EUlS1F_E_NS1_11comp_targetILNS1_3genE3ELNS1_11target_archE908ELNS1_3gpuE7ELNS1_3repE0EEENS1_30default_config_static_selectorELNS0_4arch9wavefront6targetE0EEEvT1_
; %bb.0:
	.section	.rodata,"a",@progbits
	.p2align	6, 0x0
	.amdhsa_kernel _ZN7rocprim17ROCPRIM_400000_NS6detail17trampoline_kernelINS0_14default_configENS1_25partition_config_selectorILNS1_17partition_subalgoE6EtNS0_10empty_typeEbEEZZNS1_14partition_implILS5_6ELb0ES3_mN6thrust23THRUST_200600_302600_NS6detail15normal_iteratorINSA_10device_ptrItEEEEPS6_SG_NS0_5tupleIJSF_S6_EEENSH_IJSG_SG_EEES6_PlJNSB_9not_fun_tINSB_10functional5actorINSM_9compositeIJNSM_27transparent_binary_operatorINSA_8equal_toIvEEEENSN_INSM_8argumentILj0EEEEENSM_5valueItEEEEEEEEEEEE10hipError_tPvRmT3_T4_T5_T6_T7_T9_mT8_P12ihipStream_tbDpT10_ENKUlT_T0_E_clISt17integral_constantIbLb1EES1J_IbLb0EEEEDaS1F_S1G_EUlS1F_E_NS1_11comp_targetILNS1_3genE3ELNS1_11target_archE908ELNS1_3gpuE7ELNS1_3repE0EEENS1_30default_config_static_selectorELNS0_4arch9wavefront6targetE0EEEvT1_
		.amdhsa_group_segment_fixed_size 0
		.amdhsa_private_segment_fixed_size 0
		.amdhsa_kernarg_size 120
		.amdhsa_user_sgpr_count 2
		.amdhsa_user_sgpr_dispatch_ptr 0
		.amdhsa_user_sgpr_queue_ptr 0
		.amdhsa_user_sgpr_kernarg_segment_ptr 1
		.amdhsa_user_sgpr_dispatch_id 0
		.amdhsa_user_sgpr_private_segment_size 0
		.amdhsa_wavefront_size32 1
		.amdhsa_uses_dynamic_stack 0
		.amdhsa_enable_private_segment 0
		.amdhsa_system_sgpr_workgroup_id_x 1
		.amdhsa_system_sgpr_workgroup_id_y 0
		.amdhsa_system_sgpr_workgroup_id_z 0
		.amdhsa_system_sgpr_workgroup_info 0
		.amdhsa_system_vgpr_workitem_id 0
		.amdhsa_next_free_vgpr 1
		.amdhsa_next_free_sgpr 1
		.amdhsa_reserve_vcc 0
		.amdhsa_float_round_mode_32 0
		.amdhsa_float_round_mode_16_64 0
		.amdhsa_float_denorm_mode_32 3
		.amdhsa_float_denorm_mode_16_64 3
		.amdhsa_fp16_overflow 0
		.amdhsa_workgroup_processor_mode 1
		.amdhsa_memory_ordered 1
		.amdhsa_forward_progress 1
		.amdhsa_inst_pref_size 0
		.amdhsa_round_robin_scheduling 0
		.amdhsa_exception_fp_ieee_invalid_op 0
		.amdhsa_exception_fp_denorm_src 0
		.amdhsa_exception_fp_ieee_div_zero 0
		.amdhsa_exception_fp_ieee_overflow 0
		.amdhsa_exception_fp_ieee_underflow 0
		.amdhsa_exception_fp_ieee_inexact 0
		.amdhsa_exception_int_div_zero 0
	.end_amdhsa_kernel
	.section	.text._ZN7rocprim17ROCPRIM_400000_NS6detail17trampoline_kernelINS0_14default_configENS1_25partition_config_selectorILNS1_17partition_subalgoE6EtNS0_10empty_typeEbEEZZNS1_14partition_implILS5_6ELb0ES3_mN6thrust23THRUST_200600_302600_NS6detail15normal_iteratorINSA_10device_ptrItEEEEPS6_SG_NS0_5tupleIJSF_S6_EEENSH_IJSG_SG_EEES6_PlJNSB_9not_fun_tINSB_10functional5actorINSM_9compositeIJNSM_27transparent_binary_operatorINSA_8equal_toIvEEEENSN_INSM_8argumentILj0EEEEENSM_5valueItEEEEEEEEEEEE10hipError_tPvRmT3_T4_T5_T6_T7_T9_mT8_P12ihipStream_tbDpT10_ENKUlT_T0_E_clISt17integral_constantIbLb1EES1J_IbLb0EEEEDaS1F_S1G_EUlS1F_E_NS1_11comp_targetILNS1_3genE3ELNS1_11target_archE908ELNS1_3gpuE7ELNS1_3repE0EEENS1_30default_config_static_selectorELNS0_4arch9wavefront6targetE0EEEvT1_,"axG",@progbits,_ZN7rocprim17ROCPRIM_400000_NS6detail17trampoline_kernelINS0_14default_configENS1_25partition_config_selectorILNS1_17partition_subalgoE6EtNS0_10empty_typeEbEEZZNS1_14partition_implILS5_6ELb0ES3_mN6thrust23THRUST_200600_302600_NS6detail15normal_iteratorINSA_10device_ptrItEEEEPS6_SG_NS0_5tupleIJSF_S6_EEENSH_IJSG_SG_EEES6_PlJNSB_9not_fun_tINSB_10functional5actorINSM_9compositeIJNSM_27transparent_binary_operatorINSA_8equal_toIvEEEENSN_INSM_8argumentILj0EEEEENSM_5valueItEEEEEEEEEEEE10hipError_tPvRmT3_T4_T5_T6_T7_T9_mT8_P12ihipStream_tbDpT10_ENKUlT_T0_E_clISt17integral_constantIbLb1EES1J_IbLb0EEEEDaS1F_S1G_EUlS1F_E_NS1_11comp_targetILNS1_3genE3ELNS1_11target_archE908ELNS1_3gpuE7ELNS1_3repE0EEENS1_30default_config_static_selectorELNS0_4arch9wavefront6targetE0EEEvT1_,comdat
.Lfunc_end165:
	.size	_ZN7rocprim17ROCPRIM_400000_NS6detail17trampoline_kernelINS0_14default_configENS1_25partition_config_selectorILNS1_17partition_subalgoE6EtNS0_10empty_typeEbEEZZNS1_14partition_implILS5_6ELb0ES3_mN6thrust23THRUST_200600_302600_NS6detail15normal_iteratorINSA_10device_ptrItEEEEPS6_SG_NS0_5tupleIJSF_S6_EEENSH_IJSG_SG_EEES6_PlJNSB_9not_fun_tINSB_10functional5actorINSM_9compositeIJNSM_27transparent_binary_operatorINSA_8equal_toIvEEEENSN_INSM_8argumentILj0EEEEENSM_5valueItEEEEEEEEEEEE10hipError_tPvRmT3_T4_T5_T6_T7_T9_mT8_P12ihipStream_tbDpT10_ENKUlT_T0_E_clISt17integral_constantIbLb1EES1J_IbLb0EEEEDaS1F_S1G_EUlS1F_E_NS1_11comp_targetILNS1_3genE3ELNS1_11target_archE908ELNS1_3gpuE7ELNS1_3repE0EEENS1_30default_config_static_selectorELNS0_4arch9wavefront6targetE0EEEvT1_, .Lfunc_end165-_ZN7rocprim17ROCPRIM_400000_NS6detail17trampoline_kernelINS0_14default_configENS1_25partition_config_selectorILNS1_17partition_subalgoE6EtNS0_10empty_typeEbEEZZNS1_14partition_implILS5_6ELb0ES3_mN6thrust23THRUST_200600_302600_NS6detail15normal_iteratorINSA_10device_ptrItEEEEPS6_SG_NS0_5tupleIJSF_S6_EEENSH_IJSG_SG_EEES6_PlJNSB_9not_fun_tINSB_10functional5actorINSM_9compositeIJNSM_27transparent_binary_operatorINSA_8equal_toIvEEEENSN_INSM_8argumentILj0EEEEENSM_5valueItEEEEEEEEEEEE10hipError_tPvRmT3_T4_T5_T6_T7_T9_mT8_P12ihipStream_tbDpT10_ENKUlT_T0_E_clISt17integral_constantIbLb1EES1J_IbLb0EEEEDaS1F_S1G_EUlS1F_E_NS1_11comp_targetILNS1_3genE3ELNS1_11target_archE908ELNS1_3gpuE7ELNS1_3repE0EEENS1_30default_config_static_selectorELNS0_4arch9wavefront6targetE0EEEvT1_
                                        ; -- End function
	.set _ZN7rocprim17ROCPRIM_400000_NS6detail17trampoline_kernelINS0_14default_configENS1_25partition_config_selectorILNS1_17partition_subalgoE6EtNS0_10empty_typeEbEEZZNS1_14partition_implILS5_6ELb0ES3_mN6thrust23THRUST_200600_302600_NS6detail15normal_iteratorINSA_10device_ptrItEEEEPS6_SG_NS0_5tupleIJSF_S6_EEENSH_IJSG_SG_EEES6_PlJNSB_9not_fun_tINSB_10functional5actorINSM_9compositeIJNSM_27transparent_binary_operatorINSA_8equal_toIvEEEENSN_INSM_8argumentILj0EEEEENSM_5valueItEEEEEEEEEEEE10hipError_tPvRmT3_T4_T5_T6_T7_T9_mT8_P12ihipStream_tbDpT10_ENKUlT_T0_E_clISt17integral_constantIbLb1EES1J_IbLb0EEEEDaS1F_S1G_EUlS1F_E_NS1_11comp_targetILNS1_3genE3ELNS1_11target_archE908ELNS1_3gpuE7ELNS1_3repE0EEENS1_30default_config_static_selectorELNS0_4arch9wavefront6targetE0EEEvT1_.num_vgpr, 0
	.set _ZN7rocprim17ROCPRIM_400000_NS6detail17trampoline_kernelINS0_14default_configENS1_25partition_config_selectorILNS1_17partition_subalgoE6EtNS0_10empty_typeEbEEZZNS1_14partition_implILS5_6ELb0ES3_mN6thrust23THRUST_200600_302600_NS6detail15normal_iteratorINSA_10device_ptrItEEEEPS6_SG_NS0_5tupleIJSF_S6_EEENSH_IJSG_SG_EEES6_PlJNSB_9not_fun_tINSB_10functional5actorINSM_9compositeIJNSM_27transparent_binary_operatorINSA_8equal_toIvEEEENSN_INSM_8argumentILj0EEEEENSM_5valueItEEEEEEEEEEEE10hipError_tPvRmT3_T4_T5_T6_T7_T9_mT8_P12ihipStream_tbDpT10_ENKUlT_T0_E_clISt17integral_constantIbLb1EES1J_IbLb0EEEEDaS1F_S1G_EUlS1F_E_NS1_11comp_targetILNS1_3genE3ELNS1_11target_archE908ELNS1_3gpuE7ELNS1_3repE0EEENS1_30default_config_static_selectorELNS0_4arch9wavefront6targetE0EEEvT1_.num_agpr, 0
	.set _ZN7rocprim17ROCPRIM_400000_NS6detail17trampoline_kernelINS0_14default_configENS1_25partition_config_selectorILNS1_17partition_subalgoE6EtNS0_10empty_typeEbEEZZNS1_14partition_implILS5_6ELb0ES3_mN6thrust23THRUST_200600_302600_NS6detail15normal_iteratorINSA_10device_ptrItEEEEPS6_SG_NS0_5tupleIJSF_S6_EEENSH_IJSG_SG_EEES6_PlJNSB_9not_fun_tINSB_10functional5actorINSM_9compositeIJNSM_27transparent_binary_operatorINSA_8equal_toIvEEEENSN_INSM_8argumentILj0EEEEENSM_5valueItEEEEEEEEEEEE10hipError_tPvRmT3_T4_T5_T6_T7_T9_mT8_P12ihipStream_tbDpT10_ENKUlT_T0_E_clISt17integral_constantIbLb1EES1J_IbLb0EEEEDaS1F_S1G_EUlS1F_E_NS1_11comp_targetILNS1_3genE3ELNS1_11target_archE908ELNS1_3gpuE7ELNS1_3repE0EEENS1_30default_config_static_selectorELNS0_4arch9wavefront6targetE0EEEvT1_.numbered_sgpr, 0
	.set _ZN7rocprim17ROCPRIM_400000_NS6detail17trampoline_kernelINS0_14default_configENS1_25partition_config_selectorILNS1_17partition_subalgoE6EtNS0_10empty_typeEbEEZZNS1_14partition_implILS5_6ELb0ES3_mN6thrust23THRUST_200600_302600_NS6detail15normal_iteratorINSA_10device_ptrItEEEEPS6_SG_NS0_5tupleIJSF_S6_EEENSH_IJSG_SG_EEES6_PlJNSB_9not_fun_tINSB_10functional5actorINSM_9compositeIJNSM_27transparent_binary_operatorINSA_8equal_toIvEEEENSN_INSM_8argumentILj0EEEEENSM_5valueItEEEEEEEEEEEE10hipError_tPvRmT3_T4_T5_T6_T7_T9_mT8_P12ihipStream_tbDpT10_ENKUlT_T0_E_clISt17integral_constantIbLb1EES1J_IbLb0EEEEDaS1F_S1G_EUlS1F_E_NS1_11comp_targetILNS1_3genE3ELNS1_11target_archE908ELNS1_3gpuE7ELNS1_3repE0EEENS1_30default_config_static_selectorELNS0_4arch9wavefront6targetE0EEEvT1_.num_named_barrier, 0
	.set _ZN7rocprim17ROCPRIM_400000_NS6detail17trampoline_kernelINS0_14default_configENS1_25partition_config_selectorILNS1_17partition_subalgoE6EtNS0_10empty_typeEbEEZZNS1_14partition_implILS5_6ELb0ES3_mN6thrust23THRUST_200600_302600_NS6detail15normal_iteratorINSA_10device_ptrItEEEEPS6_SG_NS0_5tupleIJSF_S6_EEENSH_IJSG_SG_EEES6_PlJNSB_9not_fun_tINSB_10functional5actorINSM_9compositeIJNSM_27transparent_binary_operatorINSA_8equal_toIvEEEENSN_INSM_8argumentILj0EEEEENSM_5valueItEEEEEEEEEEEE10hipError_tPvRmT3_T4_T5_T6_T7_T9_mT8_P12ihipStream_tbDpT10_ENKUlT_T0_E_clISt17integral_constantIbLb1EES1J_IbLb0EEEEDaS1F_S1G_EUlS1F_E_NS1_11comp_targetILNS1_3genE3ELNS1_11target_archE908ELNS1_3gpuE7ELNS1_3repE0EEENS1_30default_config_static_selectorELNS0_4arch9wavefront6targetE0EEEvT1_.private_seg_size, 0
	.set _ZN7rocprim17ROCPRIM_400000_NS6detail17trampoline_kernelINS0_14default_configENS1_25partition_config_selectorILNS1_17partition_subalgoE6EtNS0_10empty_typeEbEEZZNS1_14partition_implILS5_6ELb0ES3_mN6thrust23THRUST_200600_302600_NS6detail15normal_iteratorINSA_10device_ptrItEEEEPS6_SG_NS0_5tupleIJSF_S6_EEENSH_IJSG_SG_EEES6_PlJNSB_9not_fun_tINSB_10functional5actorINSM_9compositeIJNSM_27transparent_binary_operatorINSA_8equal_toIvEEEENSN_INSM_8argumentILj0EEEEENSM_5valueItEEEEEEEEEEEE10hipError_tPvRmT3_T4_T5_T6_T7_T9_mT8_P12ihipStream_tbDpT10_ENKUlT_T0_E_clISt17integral_constantIbLb1EES1J_IbLb0EEEEDaS1F_S1G_EUlS1F_E_NS1_11comp_targetILNS1_3genE3ELNS1_11target_archE908ELNS1_3gpuE7ELNS1_3repE0EEENS1_30default_config_static_selectorELNS0_4arch9wavefront6targetE0EEEvT1_.uses_vcc, 0
	.set _ZN7rocprim17ROCPRIM_400000_NS6detail17trampoline_kernelINS0_14default_configENS1_25partition_config_selectorILNS1_17partition_subalgoE6EtNS0_10empty_typeEbEEZZNS1_14partition_implILS5_6ELb0ES3_mN6thrust23THRUST_200600_302600_NS6detail15normal_iteratorINSA_10device_ptrItEEEEPS6_SG_NS0_5tupleIJSF_S6_EEENSH_IJSG_SG_EEES6_PlJNSB_9not_fun_tINSB_10functional5actorINSM_9compositeIJNSM_27transparent_binary_operatorINSA_8equal_toIvEEEENSN_INSM_8argumentILj0EEEEENSM_5valueItEEEEEEEEEEEE10hipError_tPvRmT3_T4_T5_T6_T7_T9_mT8_P12ihipStream_tbDpT10_ENKUlT_T0_E_clISt17integral_constantIbLb1EES1J_IbLb0EEEEDaS1F_S1G_EUlS1F_E_NS1_11comp_targetILNS1_3genE3ELNS1_11target_archE908ELNS1_3gpuE7ELNS1_3repE0EEENS1_30default_config_static_selectorELNS0_4arch9wavefront6targetE0EEEvT1_.uses_flat_scratch, 0
	.set _ZN7rocprim17ROCPRIM_400000_NS6detail17trampoline_kernelINS0_14default_configENS1_25partition_config_selectorILNS1_17partition_subalgoE6EtNS0_10empty_typeEbEEZZNS1_14partition_implILS5_6ELb0ES3_mN6thrust23THRUST_200600_302600_NS6detail15normal_iteratorINSA_10device_ptrItEEEEPS6_SG_NS0_5tupleIJSF_S6_EEENSH_IJSG_SG_EEES6_PlJNSB_9not_fun_tINSB_10functional5actorINSM_9compositeIJNSM_27transparent_binary_operatorINSA_8equal_toIvEEEENSN_INSM_8argumentILj0EEEEENSM_5valueItEEEEEEEEEEEE10hipError_tPvRmT3_T4_T5_T6_T7_T9_mT8_P12ihipStream_tbDpT10_ENKUlT_T0_E_clISt17integral_constantIbLb1EES1J_IbLb0EEEEDaS1F_S1G_EUlS1F_E_NS1_11comp_targetILNS1_3genE3ELNS1_11target_archE908ELNS1_3gpuE7ELNS1_3repE0EEENS1_30default_config_static_selectorELNS0_4arch9wavefront6targetE0EEEvT1_.has_dyn_sized_stack, 0
	.set _ZN7rocprim17ROCPRIM_400000_NS6detail17trampoline_kernelINS0_14default_configENS1_25partition_config_selectorILNS1_17partition_subalgoE6EtNS0_10empty_typeEbEEZZNS1_14partition_implILS5_6ELb0ES3_mN6thrust23THRUST_200600_302600_NS6detail15normal_iteratorINSA_10device_ptrItEEEEPS6_SG_NS0_5tupleIJSF_S6_EEENSH_IJSG_SG_EEES6_PlJNSB_9not_fun_tINSB_10functional5actorINSM_9compositeIJNSM_27transparent_binary_operatorINSA_8equal_toIvEEEENSN_INSM_8argumentILj0EEEEENSM_5valueItEEEEEEEEEEEE10hipError_tPvRmT3_T4_T5_T6_T7_T9_mT8_P12ihipStream_tbDpT10_ENKUlT_T0_E_clISt17integral_constantIbLb1EES1J_IbLb0EEEEDaS1F_S1G_EUlS1F_E_NS1_11comp_targetILNS1_3genE3ELNS1_11target_archE908ELNS1_3gpuE7ELNS1_3repE0EEENS1_30default_config_static_selectorELNS0_4arch9wavefront6targetE0EEEvT1_.has_recursion, 0
	.set _ZN7rocprim17ROCPRIM_400000_NS6detail17trampoline_kernelINS0_14default_configENS1_25partition_config_selectorILNS1_17partition_subalgoE6EtNS0_10empty_typeEbEEZZNS1_14partition_implILS5_6ELb0ES3_mN6thrust23THRUST_200600_302600_NS6detail15normal_iteratorINSA_10device_ptrItEEEEPS6_SG_NS0_5tupleIJSF_S6_EEENSH_IJSG_SG_EEES6_PlJNSB_9not_fun_tINSB_10functional5actorINSM_9compositeIJNSM_27transparent_binary_operatorINSA_8equal_toIvEEEENSN_INSM_8argumentILj0EEEEENSM_5valueItEEEEEEEEEEEE10hipError_tPvRmT3_T4_T5_T6_T7_T9_mT8_P12ihipStream_tbDpT10_ENKUlT_T0_E_clISt17integral_constantIbLb1EES1J_IbLb0EEEEDaS1F_S1G_EUlS1F_E_NS1_11comp_targetILNS1_3genE3ELNS1_11target_archE908ELNS1_3gpuE7ELNS1_3repE0EEENS1_30default_config_static_selectorELNS0_4arch9wavefront6targetE0EEEvT1_.has_indirect_call, 0
	.section	.AMDGPU.csdata,"",@progbits
; Kernel info:
; codeLenInByte = 0
; TotalNumSgprs: 0
; NumVgprs: 0
; ScratchSize: 0
; MemoryBound: 0
; FloatMode: 240
; IeeeMode: 1
; LDSByteSize: 0 bytes/workgroup (compile time only)
; SGPRBlocks: 0
; VGPRBlocks: 0
; NumSGPRsForWavesPerEU: 1
; NumVGPRsForWavesPerEU: 1
; Occupancy: 16
; WaveLimiterHint : 0
; COMPUTE_PGM_RSRC2:SCRATCH_EN: 0
; COMPUTE_PGM_RSRC2:USER_SGPR: 2
; COMPUTE_PGM_RSRC2:TRAP_HANDLER: 0
; COMPUTE_PGM_RSRC2:TGID_X_EN: 1
; COMPUTE_PGM_RSRC2:TGID_Y_EN: 0
; COMPUTE_PGM_RSRC2:TGID_Z_EN: 0
; COMPUTE_PGM_RSRC2:TIDIG_COMP_CNT: 0
	.section	.text._ZN7rocprim17ROCPRIM_400000_NS6detail17trampoline_kernelINS0_14default_configENS1_25partition_config_selectorILNS1_17partition_subalgoE6EtNS0_10empty_typeEbEEZZNS1_14partition_implILS5_6ELb0ES3_mN6thrust23THRUST_200600_302600_NS6detail15normal_iteratorINSA_10device_ptrItEEEEPS6_SG_NS0_5tupleIJSF_S6_EEENSH_IJSG_SG_EEES6_PlJNSB_9not_fun_tINSB_10functional5actorINSM_9compositeIJNSM_27transparent_binary_operatorINSA_8equal_toIvEEEENSN_INSM_8argumentILj0EEEEENSM_5valueItEEEEEEEEEEEE10hipError_tPvRmT3_T4_T5_T6_T7_T9_mT8_P12ihipStream_tbDpT10_ENKUlT_T0_E_clISt17integral_constantIbLb1EES1J_IbLb0EEEEDaS1F_S1G_EUlS1F_E_NS1_11comp_targetILNS1_3genE2ELNS1_11target_archE906ELNS1_3gpuE6ELNS1_3repE0EEENS1_30default_config_static_selectorELNS0_4arch9wavefront6targetE0EEEvT1_,"axG",@progbits,_ZN7rocprim17ROCPRIM_400000_NS6detail17trampoline_kernelINS0_14default_configENS1_25partition_config_selectorILNS1_17partition_subalgoE6EtNS0_10empty_typeEbEEZZNS1_14partition_implILS5_6ELb0ES3_mN6thrust23THRUST_200600_302600_NS6detail15normal_iteratorINSA_10device_ptrItEEEEPS6_SG_NS0_5tupleIJSF_S6_EEENSH_IJSG_SG_EEES6_PlJNSB_9not_fun_tINSB_10functional5actorINSM_9compositeIJNSM_27transparent_binary_operatorINSA_8equal_toIvEEEENSN_INSM_8argumentILj0EEEEENSM_5valueItEEEEEEEEEEEE10hipError_tPvRmT3_T4_T5_T6_T7_T9_mT8_P12ihipStream_tbDpT10_ENKUlT_T0_E_clISt17integral_constantIbLb1EES1J_IbLb0EEEEDaS1F_S1G_EUlS1F_E_NS1_11comp_targetILNS1_3genE2ELNS1_11target_archE906ELNS1_3gpuE6ELNS1_3repE0EEENS1_30default_config_static_selectorELNS0_4arch9wavefront6targetE0EEEvT1_,comdat
	.protected	_ZN7rocprim17ROCPRIM_400000_NS6detail17trampoline_kernelINS0_14default_configENS1_25partition_config_selectorILNS1_17partition_subalgoE6EtNS0_10empty_typeEbEEZZNS1_14partition_implILS5_6ELb0ES3_mN6thrust23THRUST_200600_302600_NS6detail15normal_iteratorINSA_10device_ptrItEEEEPS6_SG_NS0_5tupleIJSF_S6_EEENSH_IJSG_SG_EEES6_PlJNSB_9not_fun_tINSB_10functional5actorINSM_9compositeIJNSM_27transparent_binary_operatorINSA_8equal_toIvEEEENSN_INSM_8argumentILj0EEEEENSM_5valueItEEEEEEEEEEEE10hipError_tPvRmT3_T4_T5_T6_T7_T9_mT8_P12ihipStream_tbDpT10_ENKUlT_T0_E_clISt17integral_constantIbLb1EES1J_IbLb0EEEEDaS1F_S1G_EUlS1F_E_NS1_11comp_targetILNS1_3genE2ELNS1_11target_archE906ELNS1_3gpuE6ELNS1_3repE0EEENS1_30default_config_static_selectorELNS0_4arch9wavefront6targetE0EEEvT1_ ; -- Begin function _ZN7rocprim17ROCPRIM_400000_NS6detail17trampoline_kernelINS0_14default_configENS1_25partition_config_selectorILNS1_17partition_subalgoE6EtNS0_10empty_typeEbEEZZNS1_14partition_implILS5_6ELb0ES3_mN6thrust23THRUST_200600_302600_NS6detail15normal_iteratorINSA_10device_ptrItEEEEPS6_SG_NS0_5tupleIJSF_S6_EEENSH_IJSG_SG_EEES6_PlJNSB_9not_fun_tINSB_10functional5actorINSM_9compositeIJNSM_27transparent_binary_operatorINSA_8equal_toIvEEEENSN_INSM_8argumentILj0EEEEENSM_5valueItEEEEEEEEEEEE10hipError_tPvRmT3_T4_T5_T6_T7_T9_mT8_P12ihipStream_tbDpT10_ENKUlT_T0_E_clISt17integral_constantIbLb1EES1J_IbLb0EEEEDaS1F_S1G_EUlS1F_E_NS1_11comp_targetILNS1_3genE2ELNS1_11target_archE906ELNS1_3gpuE6ELNS1_3repE0EEENS1_30default_config_static_selectorELNS0_4arch9wavefront6targetE0EEEvT1_
	.globl	_ZN7rocprim17ROCPRIM_400000_NS6detail17trampoline_kernelINS0_14default_configENS1_25partition_config_selectorILNS1_17partition_subalgoE6EtNS0_10empty_typeEbEEZZNS1_14partition_implILS5_6ELb0ES3_mN6thrust23THRUST_200600_302600_NS6detail15normal_iteratorINSA_10device_ptrItEEEEPS6_SG_NS0_5tupleIJSF_S6_EEENSH_IJSG_SG_EEES6_PlJNSB_9not_fun_tINSB_10functional5actorINSM_9compositeIJNSM_27transparent_binary_operatorINSA_8equal_toIvEEEENSN_INSM_8argumentILj0EEEEENSM_5valueItEEEEEEEEEEEE10hipError_tPvRmT3_T4_T5_T6_T7_T9_mT8_P12ihipStream_tbDpT10_ENKUlT_T0_E_clISt17integral_constantIbLb1EES1J_IbLb0EEEEDaS1F_S1G_EUlS1F_E_NS1_11comp_targetILNS1_3genE2ELNS1_11target_archE906ELNS1_3gpuE6ELNS1_3repE0EEENS1_30default_config_static_selectorELNS0_4arch9wavefront6targetE0EEEvT1_
	.p2align	8
	.type	_ZN7rocprim17ROCPRIM_400000_NS6detail17trampoline_kernelINS0_14default_configENS1_25partition_config_selectorILNS1_17partition_subalgoE6EtNS0_10empty_typeEbEEZZNS1_14partition_implILS5_6ELb0ES3_mN6thrust23THRUST_200600_302600_NS6detail15normal_iteratorINSA_10device_ptrItEEEEPS6_SG_NS0_5tupleIJSF_S6_EEENSH_IJSG_SG_EEES6_PlJNSB_9not_fun_tINSB_10functional5actorINSM_9compositeIJNSM_27transparent_binary_operatorINSA_8equal_toIvEEEENSN_INSM_8argumentILj0EEEEENSM_5valueItEEEEEEEEEEEE10hipError_tPvRmT3_T4_T5_T6_T7_T9_mT8_P12ihipStream_tbDpT10_ENKUlT_T0_E_clISt17integral_constantIbLb1EES1J_IbLb0EEEEDaS1F_S1G_EUlS1F_E_NS1_11comp_targetILNS1_3genE2ELNS1_11target_archE906ELNS1_3gpuE6ELNS1_3repE0EEENS1_30default_config_static_selectorELNS0_4arch9wavefront6targetE0EEEvT1_,@function
_ZN7rocprim17ROCPRIM_400000_NS6detail17trampoline_kernelINS0_14default_configENS1_25partition_config_selectorILNS1_17partition_subalgoE6EtNS0_10empty_typeEbEEZZNS1_14partition_implILS5_6ELb0ES3_mN6thrust23THRUST_200600_302600_NS6detail15normal_iteratorINSA_10device_ptrItEEEEPS6_SG_NS0_5tupleIJSF_S6_EEENSH_IJSG_SG_EEES6_PlJNSB_9not_fun_tINSB_10functional5actorINSM_9compositeIJNSM_27transparent_binary_operatorINSA_8equal_toIvEEEENSN_INSM_8argumentILj0EEEEENSM_5valueItEEEEEEEEEEEE10hipError_tPvRmT3_T4_T5_T6_T7_T9_mT8_P12ihipStream_tbDpT10_ENKUlT_T0_E_clISt17integral_constantIbLb1EES1J_IbLb0EEEEDaS1F_S1G_EUlS1F_E_NS1_11comp_targetILNS1_3genE2ELNS1_11target_archE906ELNS1_3gpuE6ELNS1_3repE0EEENS1_30default_config_static_selectorELNS0_4arch9wavefront6targetE0EEEvT1_: ; @_ZN7rocprim17ROCPRIM_400000_NS6detail17trampoline_kernelINS0_14default_configENS1_25partition_config_selectorILNS1_17partition_subalgoE6EtNS0_10empty_typeEbEEZZNS1_14partition_implILS5_6ELb0ES3_mN6thrust23THRUST_200600_302600_NS6detail15normal_iteratorINSA_10device_ptrItEEEEPS6_SG_NS0_5tupleIJSF_S6_EEENSH_IJSG_SG_EEES6_PlJNSB_9not_fun_tINSB_10functional5actorINSM_9compositeIJNSM_27transparent_binary_operatorINSA_8equal_toIvEEEENSN_INSM_8argumentILj0EEEEENSM_5valueItEEEEEEEEEEEE10hipError_tPvRmT3_T4_T5_T6_T7_T9_mT8_P12ihipStream_tbDpT10_ENKUlT_T0_E_clISt17integral_constantIbLb1EES1J_IbLb0EEEEDaS1F_S1G_EUlS1F_E_NS1_11comp_targetILNS1_3genE2ELNS1_11target_archE906ELNS1_3gpuE6ELNS1_3repE0EEENS1_30default_config_static_selectorELNS0_4arch9wavefront6targetE0EEEvT1_
; %bb.0:
	.section	.rodata,"a",@progbits
	.p2align	6, 0x0
	.amdhsa_kernel _ZN7rocprim17ROCPRIM_400000_NS6detail17trampoline_kernelINS0_14default_configENS1_25partition_config_selectorILNS1_17partition_subalgoE6EtNS0_10empty_typeEbEEZZNS1_14partition_implILS5_6ELb0ES3_mN6thrust23THRUST_200600_302600_NS6detail15normal_iteratorINSA_10device_ptrItEEEEPS6_SG_NS0_5tupleIJSF_S6_EEENSH_IJSG_SG_EEES6_PlJNSB_9not_fun_tINSB_10functional5actorINSM_9compositeIJNSM_27transparent_binary_operatorINSA_8equal_toIvEEEENSN_INSM_8argumentILj0EEEEENSM_5valueItEEEEEEEEEEEE10hipError_tPvRmT3_T4_T5_T6_T7_T9_mT8_P12ihipStream_tbDpT10_ENKUlT_T0_E_clISt17integral_constantIbLb1EES1J_IbLb0EEEEDaS1F_S1G_EUlS1F_E_NS1_11comp_targetILNS1_3genE2ELNS1_11target_archE906ELNS1_3gpuE6ELNS1_3repE0EEENS1_30default_config_static_selectorELNS0_4arch9wavefront6targetE0EEEvT1_
		.amdhsa_group_segment_fixed_size 0
		.amdhsa_private_segment_fixed_size 0
		.amdhsa_kernarg_size 120
		.amdhsa_user_sgpr_count 2
		.amdhsa_user_sgpr_dispatch_ptr 0
		.amdhsa_user_sgpr_queue_ptr 0
		.amdhsa_user_sgpr_kernarg_segment_ptr 1
		.amdhsa_user_sgpr_dispatch_id 0
		.amdhsa_user_sgpr_private_segment_size 0
		.amdhsa_wavefront_size32 1
		.amdhsa_uses_dynamic_stack 0
		.amdhsa_enable_private_segment 0
		.amdhsa_system_sgpr_workgroup_id_x 1
		.amdhsa_system_sgpr_workgroup_id_y 0
		.amdhsa_system_sgpr_workgroup_id_z 0
		.amdhsa_system_sgpr_workgroup_info 0
		.amdhsa_system_vgpr_workitem_id 0
		.amdhsa_next_free_vgpr 1
		.amdhsa_next_free_sgpr 1
		.amdhsa_reserve_vcc 0
		.amdhsa_float_round_mode_32 0
		.amdhsa_float_round_mode_16_64 0
		.amdhsa_float_denorm_mode_32 3
		.amdhsa_float_denorm_mode_16_64 3
		.amdhsa_fp16_overflow 0
		.amdhsa_workgroup_processor_mode 1
		.amdhsa_memory_ordered 1
		.amdhsa_forward_progress 1
		.amdhsa_inst_pref_size 0
		.amdhsa_round_robin_scheduling 0
		.amdhsa_exception_fp_ieee_invalid_op 0
		.amdhsa_exception_fp_denorm_src 0
		.amdhsa_exception_fp_ieee_div_zero 0
		.amdhsa_exception_fp_ieee_overflow 0
		.amdhsa_exception_fp_ieee_underflow 0
		.amdhsa_exception_fp_ieee_inexact 0
		.amdhsa_exception_int_div_zero 0
	.end_amdhsa_kernel
	.section	.text._ZN7rocprim17ROCPRIM_400000_NS6detail17trampoline_kernelINS0_14default_configENS1_25partition_config_selectorILNS1_17partition_subalgoE6EtNS0_10empty_typeEbEEZZNS1_14partition_implILS5_6ELb0ES3_mN6thrust23THRUST_200600_302600_NS6detail15normal_iteratorINSA_10device_ptrItEEEEPS6_SG_NS0_5tupleIJSF_S6_EEENSH_IJSG_SG_EEES6_PlJNSB_9not_fun_tINSB_10functional5actorINSM_9compositeIJNSM_27transparent_binary_operatorINSA_8equal_toIvEEEENSN_INSM_8argumentILj0EEEEENSM_5valueItEEEEEEEEEEEE10hipError_tPvRmT3_T4_T5_T6_T7_T9_mT8_P12ihipStream_tbDpT10_ENKUlT_T0_E_clISt17integral_constantIbLb1EES1J_IbLb0EEEEDaS1F_S1G_EUlS1F_E_NS1_11comp_targetILNS1_3genE2ELNS1_11target_archE906ELNS1_3gpuE6ELNS1_3repE0EEENS1_30default_config_static_selectorELNS0_4arch9wavefront6targetE0EEEvT1_,"axG",@progbits,_ZN7rocprim17ROCPRIM_400000_NS6detail17trampoline_kernelINS0_14default_configENS1_25partition_config_selectorILNS1_17partition_subalgoE6EtNS0_10empty_typeEbEEZZNS1_14partition_implILS5_6ELb0ES3_mN6thrust23THRUST_200600_302600_NS6detail15normal_iteratorINSA_10device_ptrItEEEEPS6_SG_NS0_5tupleIJSF_S6_EEENSH_IJSG_SG_EEES6_PlJNSB_9not_fun_tINSB_10functional5actorINSM_9compositeIJNSM_27transparent_binary_operatorINSA_8equal_toIvEEEENSN_INSM_8argumentILj0EEEEENSM_5valueItEEEEEEEEEEEE10hipError_tPvRmT3_T4_T5_T6_T7_T9_mT8_P12ihipStream_tbDpT10_ENKUlT_T0_E_clISt17integral_constantIbLb1EES1J_IbLb0EEEEDaS1F_S1G_EUlS1F_E_NS1_11comp_targetILNS1_3genE2ELNS1_11target_archE906ELNS1_3gpuE6ELNS1_3repE0EEENS1_30default_config_static_selectorELNS0_4arch9wavefront6targetE0EEEvT1_,comdat
.Lfunc_end166:
	.size	_ZN7rocprim17ROCPRIM_400000_NS6detail17trampoline_kernelINS0_14default_configENS1_25partition_config_selectorILNS1_17partition_subalgoE6EtNS0_10empty_typeEbEEZZNS1_14partition_implILS5_6ELb0ES3_mN6thrust23THRUST_200600_302600_NS6detail15normal_iteratorINSA_10device_ptrItEEEEPS6_SG_NS0_5tupleIJSF_S6_EEENSH_IJSG_SG_EEES6_PlJNSB_9not_fun_tINSB_10functional5actorINSM_9compositeIJNSM_27transparent_binary_operatorINSA_8equal_toIvEEEENSN_INSM_8argumentILj0EEEEENSM_5valueItEEEEEEEEEEEE10hipError_tPvRmT3_T4_T5_T6_T7_T9_mT8_P12ihipStream_tbDpT10_ENKUlT_T0_E_clISt17integral_constantIbLb1EES1J_IbLb0EEEEDaS1F_S1G_EUlS1F_E_NS1_11comp_targetILNS1_3genE2ELNS1_11target_archE906ELNS1_3gpuE6ELNS1_3repE0EEENS1_30default_config_static_selectorELNS0_4arch9wavefront6targetE0EEEvT1_, .Lfunc_end166-_ZN7rocprim17ROCPRIM_400000_NS6detail17trampoline_kernelINS0_14default_configENS1_25partition_config_selectorILNS1_17partition_subalgoE6EtNS0_10empty_typeEbEEZZNS1_14partition_implILS5_6ELb0ES3_mN6thrust23THRUST_200600_302600_NS6detail15normal_iteratorINSA_10device_ptrItEEEEPS6_SG_NS0_5tupleIJSF_S6_EEENSH_IJSG_SG_EEES6_PlJNSB_9not_fun_tINSB_10functional5actorINSM_9compositeIJNSM_27transparent_binary_operatorINSA_8equal_toIvEEEENSN_INSM_8argumentILj0EEEEENSM_5valueItEEEEEEEEEEEE10hipError_tPvRmT3_T4_T5_T6_T7_T9_mT8_P12ihipStream_tbDpT10_ENKUlT_T0_E_clISt17integral_constantIbLb1EES1J_IbLb0EEEEDaS1F_S1G_EUlS1F_E_NS1_11comp_targetILNS1_3genE2ELNS1_11target_archE906ELNS1_3gpuE6ELNS1_3repE0EEENS1_30default_config_static_selectorELNS0_4arch9wavefront6targetE0EEEvT1_
                                        ; -- End function
	.set _ZN7rocprim17ROCPRIM_400000_NS6detail17trampoline_kernelINS0_14default_configENS1_25partition_config_selectorILNS1_17partition_subalgoE6EtNS0_10empty_typeEbEEZZNS1_14partition_implILS5_6ELb0ES3_mN6thrust23THRUST_200600_302600_NS6detail15normal_iteratorINSA_10device_ptrItEEEEPS6_SG_NS0_5tupleIJSF_S6_EEENSH_IJSG_SG_EEES6_PlJNSB_9not_fun_tINSB_10functional5actorINSM_9compositeIJNSM_27transparent_binary_operatorINSA_8equal_toIvEEEENSN_INSM_8argumentILj0EEEEENSM_5valueItEEEEEEEEEEEE10hipError_tPvRmT3_T4_T5_T6_T7_T9_mT8_P12ihipStream_tbDpT10_ENKUlT_T0_E_clISt17integral_constantIbLb1EES1J_IbLb0EEEEDaS1F_S1G_EUlS1F_E_NS1_11comp_targetILNS1_3genE2ELNS1_11target_archE906ELNS1_3gpuE6ELNS1_3repE0EEENS1_30default_config_static_selectorELNS0_4arch9wavefront6targetE0EEEvT1_.num_vgpr, 0
	.set _ZN7rocprim17ROCPRIM_400000_NS6detail17trampoline_kernelINS0_14default_configENS1_25partition_config_selectorILNS1_17partition_subalgoE6EtNS0_10empty_typeEbEEZZNS1_14partition_implILS5_6ELb0ES3_mN6thrust23THRUST_200600_302600_NS6detail15normal_iteratorINSA_10device_ptrItEEEEPS6_SG_NS0_5tupleIJSF_S6_EEENSH_IJSG_SG_EEES6_PlJNSB_9not_fun_tINSB_10functional5actorINSM_9compositeIJNSM_27transparent_binary_operatorINSA_8equal_toIvEEEENSN_INSM_8argumentILj0EEEEENSM_5valueItEEEEEEEEEEEE10hipError_tPvRmT3_T4_T5_T6_T7_T9_mT8_P12ihipStream_tbDpT10_ENKUlT_T0_E_clISt17integral_constantIbLb1EES1J_IbLb0EEEEDaS1F_S1G_EUlS1F_E_NS1_11comp_targetILNS1_3genE2ELNS1_11target_archE906ELNS1_3gpuE6ELNS1_3repE0EEENS1_30default_config_static_selectorELNS0_4arch9wavefront6targetE0EEEvT1_.num_agpr, 0
	.set _ZN7rocprim17ROCPRIM_400000_NS6detail17trampoline_kernelINS0_14default_configENS1_25partition_config_selectorILNS1_17partition_subalgoE6EtNS0_10empty_typeEbEEZZNS1_14partition_implILS5_6ELb0ES3_mN6thrust23THRUST_200600_302600_NS6detail15normal_iteratorINSA_10device_ptrItEEEEPS6_SG_NS0_5tupleIJSF_S6_EEENSH_IJSG_SG_EEES6_PlJNSB_9not_fun_tINSB_10functional5actorINSM_9compositeIJNSM_27transparent_binary_operatorINSA_8equal_toIvEEEENSN_INSM_8argumentILj0EEEEENSM_5valueItEEEEEEEEEEEE10hipError_tPvRmT3_T4_T5_T6_T7_T9_mT8_P12ihipStream_tbDpT10_ENKUlT_T0_E_clISt17integral_constantIbLb1EES1J_IbLb0EEEEDaS1F_S1G_EUlS1F_E_NS1_11comp_targetILNS1_3genE2ELNS1_11target_archE906ELNS1_3gpuE6ELNS1_3repE0EEENS1_30default_config_static_selectorELNS0_4arch9wavefront6targetE0EEEvT1_.numbered_sgpr, 0
	.set _ZN7rocprim17ROCPRIM_400000_NS6detail17trampoline_kernelINS0_14default_configENS1_25partition_config_selectorILNS1_17partition_subalgoE6EtNS0_10empty_typeEbEEZZNS1_14partition_implILS5_6ELb0ES3_mN6thrust23THRUST_200600_302600_NS6detail15normal_iteratorINSA_10device_ptrItEEEEPS6_SG_NS0_5tupleIJSF_S6_EEENSH_IJSG_SG_EEES6_PlJNSB_9not_fun_tINSB_10functional5actorINSM_9compositeIJNSM_27transparent_binary_operatorINSA_8equal_toIvEEEENSN_INSM_8argumentILj0EEEEENSM_5valueItEEEEEEEEEEEE10hipError_tPvRmT3_T4_T5_T6_T7_T9_mT8_P12ihipStream_tbDpT10_ENKUlT_T0_E_clISt17integral_constantIbLb1EES1J_IbLb0EEEEDaS1F_S1G_EUlS1F_E_NS1_11comp_targetILNS1_3genE2ELNS1_11target_archE906ELNS1_3gpuE6ELNS1_3repE0EEENS1_30default_config_static_selectorELNS0_4arch9wavefront6targetE0EEEvT1_.num_named_barrier, 0
	.set _ZN7rocprim17ROCPRIM_400000_NS6detail17trampoline_kernelINS0_14default_configENS1_25partition_config_selectorILNS1_17partition_subalgoE6EtNS0_10empty_typeEbEEZZNS1_14partition_implILS5_6ELb0ES3_mN6thrust23THRUST_200600_302600_NS6detail15normal_iteratorINSA_10device_ptrItEEEEPS6_SG_NS0_5tupleIJSF_S6_EEENSH_IJSG_SG_EEES6_PlJNSB_9not_fun_tINSB_10functional5actorINSM_9compositeIJNSM_27transparent_binary_operatorINSA_8equal_toIvEEEENSN_INSM_8argumentILj0EEEEENSM_5valueItEEEEEEEEEEEE10hipError_tPvRmT3_T4_T5_T6_T7_T9_mT8_P12ihipStream_tbDpT10_ENKUlT_T0_E_clISt17integral_constantIbLb1EES1J_IbLb0EEEEDaS1F_S1G_EUlS1F_E_NS1_11comp_targetILNS1_3genE2ELNS1_11target_archE906ELNS1_3gpuE6ELNS1_3repE0EEENS1_30default_config_static_selectorELNS0_4arch9wavefront6targetE0EEEvT1_.private_seg_size, 0
	.set _ZN7rocprim17ROCPRIM_400000_NS6detail17trampoline_kernelINS0_14default_configENS1_25partition_config_selectorILNS1_17partition_subalgoE6EtNS0_10empty_typeEbEEZZNS1_14partition_implILS5_6ELb0ES3_mN6thrust23THRUST_200600_302600_NS6detail15normal_iteratorINSA_10device_ptrItEEEEPS6_SG_NS0_5tupleIJSF_S6_EEENSH_IJSG_SG_EEES6_PlJNSB_9not_fun_tINSB_10functional5actorINSM_9compositeIJNSM_27transparent_binary_operatorINSA_8equal_toIvEEEENSN_INSM_8argumentILj0EEEEENSM_5valueItEEEEEEEEEEEE10hipError_tPvRmT3_T4_T5_T6_T7_T9_mT8_P12ihipStream_tbDpT10_ENKUlT_T0_E_clISt17integral_constantIbLb1EES1J_IbLb0EEEEDaS1F_S1G_EUlS1F_E_NS1_11comp_targetILNS1_3genE2ELNS1_11target_archE906ELNS1_3gpuE6ELNS1_3repE0EEENS1_30default_config_static_selectorELNS0_4arch9wavefront6targetE0EEEvT1_.uses_vcc, 0
	.set _ZN7rocprim17ROCPRIM_400000_NS6detail17trampoline_kernelINS0_14default_configENS1_25partition_config_selectorILNS1_17partition_subalgoE6EtNS0_10empty_typeEbEEZZNS1_14partition_implILS5_6ELb0ES3_mN6thrust23THRUST_200600_302600_NS6detail15normal_iteratorINSA_10device_ptrItEEEEPS6_SG_NS0_5tupleIJSF_S6_EEENSH_IJSG_SG_EEES6_PlJNSB_9not_fun_tINSB_10functional5actorINSM_9compositeIJNSM_27transparent_binary_operatorINSA_8equal_toIvEEEENSN_INSM_8argumentILj0EEEEENSM_5valueItEEEEEEEEEEEE10hipError_tPvRmT3_T4_T5_T6_T7_T9_mT8_P12ihipStream_tbDpT10_ENKUlT_T0_E_clISt17integral_constantIbLb1EES1J_IbLb0EEEEDaS1F_S1G_EUlS1F_E_NS1_11comp_targetILNS1_3genE2ELNS1_11target_archE906ELNS1_3gpuE6ELNS1_3repE0EEENS1_30default_config_static_selectorELNS0_4arch9wavefront6targetE0EEEvT1_.uses_flat_scratch, 0
	.set _ZN7rocprim17ROCPRIM_400000_NS6detail17trampoline_kernelINS0_14default_configENS1_25partition_config_selectorILNS1_17partition_subalgoE6EtNS0_10empty_typeEbEEZZNS1_14partition_implILS5_6ELb0ES3_mN6thrust23THRUST_200600_302600_NS6detail15normal_iteratorINSA_10device_ptrItEEEEPS6_SG_NS0_5tupleIJSF_S6_EEENSH_IJSG_SG_EEES6_PlJNSB_9not_fun_tINSB_10functional5actorINSM_9compositeIJNSM_27transparent_binary_operatorINSA_8equal_toIvEEEENSN_INSM_8argumentILj0EEEEENSM_5valueItEEEEEEEEEEEE10hipError_tPvRmT3_T4_T5_T6_T7_T9_mT8_P12ihipStream_tbDpT10_ENKUlT_T0_E_clISt17integral_constantIbLb1EES1J_IbLb0EEEEDaS1F_S1G_EUlS1F_E_NS1_11comp_targetILNS1_3genE2ELNS1_11target_archE906ELNS1_3gpuE6ELNS1_3repE0EEENS1_30default_config_static_selectorELNS0_4arch9wavefront6targetE0EEEvT1_.has_dyn_sized_stack, 0
	.set _ZN7rocprim17ROCPRIM_400000_NS6detail17trampoline_kernelINS0_14default_configENS1_25partition_config_selectorILNS1_17partition_subalgoE6EtNS0_10empty_typeEbEEZZNS1_14partition_implILS5_6ELb0ES3_mN6thrust23THRUST_200600_302600_NS6detail15normal_iteratorINSA_10device_ptrItEEEEPS6_SG_NS0_5tupleIJSF_S6_EEENSH_IJSG_SG_EEES6_PlJNSB_9not_fun_tINSB_10functional5actorINSM_9compositeIJNSM_27transparent_binary_operatorINSA_8equal_toIvEEEENSN_INSM_8argumentILj0EEEEENSM_5valueItEEEEEEEEEEEE10hipError_tPvRmT3_T4_T5_T6_T7_T9_mT8_P12ihipStream_tbDpT10_ENKUlT_T0_E_clISt17integral_constantIbLb1EES1J_IbLb0EEEEDaS1F_S1G_EUlS1F_E_NS1_11comp_targetILNS1_3genE2ELNS1_11target_archE906ELNS1_3gpuE6ELNS1_3repE0EEENS1_30default_config_static_selectorELNS0_4arch9wavefront6targetE0EEEvT1_.has_recursion, 0
	.set _ZN7rocprim17ROCPRIM_400000_NS6detail17trampoline_kernelINS0_14default_configENS1_25partition_config_selectorILNS1_17partition_subalgoE6EtNS0_10empty_typeEbEEZZNS1_14partition_implILS5_6ELb0ES3_mN6thrust23THRUST_200600_302600_NS6detail15normal_iteratorINSA_10device_ptrItEEEEPS6_SG_NS0_5tupleIJSF_S6_EEENSH_IJSG_SG_EEES6_PlJNSB_9not_fun_tINSB_10functional5actorINSM_9compositeIJNSM_27transparent_binary_operatorINSA_8equal_toIvEEEENSN_INSM_8argumentILj0EEEEENSM_5valueItEEEEEEEEEEEE10hipError_tPvRmT3_T4_T5_T6_T7_T9_mT8_P12ihipStream_tbDpT10_ENKUlT_T0_E_clISt17integral_constantIbLb1EES1J_IbLb0EEEEDaS1F_S1G_EUlS1F_E_NS1_11comp_targetILNS1_3genE2ELNS1_11target_archE906ELNS1_3gpuE6ELNS1_3repE0EEENS1_30default_config_static_selectorELNS0_4arch9wavefront6targetE0EEEvT1_.has_indirect_call, 0
	.section	.AMDGPU.csdata,"",@progbits
; Kernel info:
; codeLenInByte = 0
; TotalNumSgprs: 0
; NumVgprs: 0
; ScratchSize: 0
; MemoryBound: 0
; FloatMode: 240
; IeeeMode: 1
; LDSByteSize: 0 bytes/workgroup (compile time only)
; SGPRBlocks: 0
; VGPRBlocks: 0
; NumSGPRsForWavesPerEU: 1
; NumVGPRsForWavesPerEU: 1
; Occupancy: 16
; WaveLimiterHint : 0
; COMPUTE_PGM_RSRC2:SCRATCH_EN: 0
; COMPUTE_PGM_RSRC2:USER_SGPR: 2
; COMPUTE_PGM_RSRC2:TRAP_HANDLER: 0
; COMPUTE_PGM_RSRC2:TGID_X_EN: 1
; COMPUTE_PGM_RSRC2:TGID_Y_EN: 0
; COMPUTE_PGM_RSRC2:TGID_Z_EN: 0
; COMPUTE_PGM_RSRC2:TIDIG_COMP_CNT: 0
	.section	.text._ZN7rocprim17ROCPRIM_400000_NS6detail17trampoline_kernelINS0_14default_configENS1_25partition_config_selectorILNS1_17partition_subalgoE6EtNS0_10empty_typeEbEEZZNS1_14partition_implILS5_6ELb0ES3_mN6thrust23THRUST_200600_302600_NS6detail15normal_iteratorINSA_10device_ptrItEEEEPS6_SG_NS0_5tupleIJSF_S6_EEENSH_IJSG_SG_EEES6_PlJNSB_9not_fun_tINSB_10functional5actorINSM_9compositeIJNSM_27transparent_binary_operatorINSA_8equal_toIvEEEENSN_INSM_8argumentILj0EEEEENSM_5valueItEEEEEEEEEEEE10hipError_tPvRmT3_T4_T5_T6_T7_T9_mT8_P12ihipStream_tbDpT10_ENKUlT_T0_E_clISt17integral_constantIbLb1EES1J_IbLb0EEEEDaS1F_S1G_EUlS1F_E_NS1_11comp_targetILNS1_3genE10ELNS1_11target_archE1200ELNS1_3gpuE4ELNS1_3repE0EEENS1_30default_config_static_selectorELNS0_4arch9wavefront6targetE0EEEvT1_,"axG",@progbits,_ZN7rocprim17ROCPRIM_400000_NS6detail17trampoline_kernelINS0_14default_configENS1_25partition_config_selectorILNS1_17partition_subalgoE6EtNS0_10empty_typeEbEEZZNS1_14partition_implILS5_6ELb0ES3_mN6thrust23THRUST_200600_302600_NS6detail15normal_iteratorINSA_10device_ptrItEEEEPS6_SG_NS0_5tupleIJSF_S6_EEENSH_IJSG_SG_EEES6_PlJNSB_9not_fun_tINSB_10functional5actorINSM_9compositeIJNSM_27transparent_binary_operatorINSA_8equal_toIvEEEENSN_INSM_8argumentILj0EEEEENSM_5valueItEEEEEEEEEEEE10hipError_tPvRmT3_T4_T5_T6_T7_T9_mT8_P12ihipStream_tbDpT10_ENKUlT_T0_E_clISt17integral_constantIbLb1EES1J_IbLb0EEEEDaS1F_S1G_EUlS1F_E_NS1_11comp_targetILNS1_3genE10ELNS1_11target_archE1200ELNS1_3gpuE4ELNS1_3repE0EEENS1_30default_config_static_selectorELNS0_4arch9wavefront6targetE0EEEvT1_,comdat
	.protected	_ZN7rocprim17ROCPRIM_400000_NS6detail17trampoline_kernelINS0_14default_configENS1_25partition_config_selectorILNS1_17partition_subalgoE6EtNS0_10empty_typeEbEEZZNS1_14partition_implILS5_6ELb0ES3_mN6thrust23THRUST_200600_302600_NS6detail15normal_iteratorINSA_10device_ptrItEEEEPS6_SG_NS0_5tupleIJSF_S6_EEENSH_IJSG_SG_EEES6_PlJNSB_9not_fun_tINSB_10functional5actorINSM_9compositeIJNSM_27transparent_binary_operatorINSA_8equal_toIvEEEENSN_INSM_8argumentILj0EEEEENSM_5valueItEEEEEEEEEEEE10hipError_tPvRmT3_T4_T5_T6_T7_T9_mT8_P12ihipStream_tbDpT10_ENKUlT_T0_E_clISt17integral_constantIbLb1EES1J_IbLb0EEEEDaS1F_S1G_EUlS1F_E_NS1_11comp_targetILNS1_3genE10ELNS1_11target_archE1200ELNS1_3gpuE4ELNS1_3repE0EEENS1_30default_config_static_selectorELNS0_4arch9wavefront6targetE0EEEvT1_ ; -- Begin function _ZN7rocprim17ROCPRIM_400000_NS6detail17trampoline_kernelINS0_14default_configENS1_25partition_config_selectorILNS1_17partition_subalgoE6EtNS0_10empty_typeEbEEZZNS1_14partition_implILS5_6ELb0ES3_mN6thrust23THRUST_200600_302600_NS6detail15normal_iteratorINSA_10device_ptrItEEEEPS6_SG_NS0_5tupleIJSF_S6_EEENSH_IJSG_SG_EEES6_PlJNSB_9not_fun_tINSB_10functional5actorINSM_9compositeIJNSM_27transparent_binary_operatorINSA_8equal_toIvEEEENSN_INSM_8argumentILj0EEEEENSM_5valueItEEEEEEEEEEEE10hipError_tPvRmT3_T4_T5_T6_T7_T9_mT8_P12ihipStream_tbDpT10_ENKUlT_T0_E_clISt17integral_constantIbLb1EES1J_IbLb0EEEEDaS1F_S1G_EUlS1F_E_NS1_11comp_targetILNS1_3genE10ELNS1_11target_archE1200ELNS1_3gpuE4ELNS1_3repE0EEENS1_30default_config_static_selectorELNS0_4arch9wavefront6targetE0EEEvT1_
	.globl	_ZN7rocprim17ROCPRIM_400000_NS6detail17trampoline_kernelINS0_14default_configENS1_25partition_config_selectorILNS1_17partition_subalgoE6EtNS0_10empty_typeEbEEZZNS1_14partition_implILS5_6ELb0ES3_mN6thrust23THRUST_200600_302600_NS6detail15normal_iteratorINSA_10device_ptrItEEEEPS6_SG_NS0_5tupleIJSF_S6_EEENSH_IJSG_SG_EEES6_PlJNSB_9not_fun_tINSB_10functional5actorINSM_9compositeIJNSM_27transparent_binary_operatorINSA_8equal_toIvEEEENSN_INSM_8argumentILj0EEEEENSM_5valueItEEEEEEEEEEEE10hipError_tPvRmT3_T4_T5_T6_T7_T9_mT8_P12ihipStream_tbDpT10_ENKUlT_T0_E_clISt17integral_constantIbLb1EES1J_IbLb0EEEEDaS1F_S1G_EUlS1F_E_NS1_11comp_targetILNS1_3genE10ELNS1_11target_archE1200ELNS1_3gpuE4ELNS1_3repE0EEENS1_30default_config_static_selectorELNS0_4arch9wavefront6targetE0EEEvT1_
	.p2align	8
	.type	_ZN7rocprim17ROCPRIM_400000_NS6detail17trampoline_kernelINS0_14default_configENS1_25partition_config_selectorILNS1_17partition_subalgoE6EtNS0_10empty_typeEbEEZZNS1_14partition_implILS5_6ELb0ES3_mN6thrust23THRUST_200600_302600_NS6detail15normal_iteratorINSA_10device_ptrItEEEEPS6_SG_NS0_5tupleIJSF_S6_EEENSH_IJSG_SG_EEES6_PlJNSB_9not_fun_tINSB_10functional5actorINSM_9compositeIJNSM_27transparent_binary_operatorINSA_8equal_toIvEEEENSN_INSM_8argumentILj0EEEEENSM_5valueItEEEEEEEEEEEE10hipError_tPvRmT3_T4_T5_T6_T7_T9_mT8_P12ihipStream_tbDpT10_ENKUlT_T0_E_clISt17integral_constantIbLb1EES1J_IbLb0EEEEDaS1F_S1G_EUlS1F_E_NS1_11comp_targetILNS1_3genE10ELNS1_11target_archE1200ELNS1_3gpuE4ELNS1_3repE0EEENS1_30default_config_static_selectorELNS0_4arch9wavefront6targetE0EEEvT1_,@function
_ZN7rocprim17ROCPRIM_400000_NS6detail17trampoline_kernelINS0_14default_configENS1_25partition_config_selectorILNS1_17partition_subalgoE6EtNS0_10empty_typeEbEEZZNS1_14partition_implILS5_6ELb0ES3_mN6thrust23THRUST_200600_302600_NS6detail15normal_iteratorINSA_10device_ptrItEEEEPS6_SG_NS0_5tupleIJSF_S6_EEENSH_IJSG_SG_EEES6_PlJNSB_9not_fun_tINSB_10functional5actorINSM_9compositeIJNSM_27transparent_binary_operatorINSA_8equal_toIvEEEENSN_INSM_8argumentILj0EEEEENSM_5valueItEEEEEEEEEEEE10hipError_tPvRmT3_T4_T5_T6_T7_T9_mT8_P12ihipStream_tbDpT10_ENKUlT_T0_E_clISt17integral_constantIbLb1EES1J_IbLb0EEEEDaS1F_S1G_EUlS1F_E_NS1_11comp_targetILNS1_3genE10ELNS1_11target_archE1200ELNS1_3gpuE4ELNS1_3repE0EEENS1_30default_config_static_selectorELNS0_4arch9wavefront6targetE0EEEvT1_: ; @_ZN7rocprim17ROCPRIM_400000_NS6detail17trampoline_kernelINS0_14default_configENS1_25partition_config_selectorILNS1_17partition_subalgoE6EtNS0_10empty_typeEbEEZZNS1_14partition_implILS5_6ELb0ES3_mN6thrust23THRUST_200600_302600_NS6detail15normal_iteratorINSA_10device_ptrItEEEEPS6_SG_NS0_5tupleIJSF_S6_EEENSH_IJSG_SG_EEES6_PlJNSB_9not_fun_tINSB_10functional5actorINSM_9compositeIJNSM_27transparent_binary_operatorINSA_8equal_toIvEEEENSN_INSM_8argumentILj0EEEEENSM_5valueItEEEEEEEEEEEE10hipError_tPvRmT3_T4_T5_T6_T7_T9_mT8_P12ihipStream_tbDpT10_ENKUlT_T0_E_clISt17integral_constantIbLb1EES1J_IbLb0EEEEDaS1F_S1G_EUlS1F_E_NS1_11comp_targetILNS1_3genE10ELNS1_11target_archE1200ELNS1_3gpuE4ELNS1_3repE0EEENS1_30default_config_static_selectorELNS0_4arch9wavefront6targetE0EEEvT1_
; %bb.0:
	s_endpgm
	.section	.rodata,"a",@progbits
	.p2align	6, 0x0
	.amdhsa_kernel _ZN7rocprim17ROCPRIM_400000_NS6detail17trampoline_kernelINS0_14default_configENS1_25partition_config_selectorILNS1_17partition_subalgoE6EtNS0_10empty_typeEbEEZZNS1_14partition_implILS5_6ELb0ES3_mN6thrust23THRUST_200600_302600_NS6detail15normal_iteratorINSA_10device_ptrItEEEEPS6_SG_NS0_5tupleIJSF_S6_EEENSH_IJSG_SG_EEES6_PlJNSB_9not_fun_tINSB_10functional5actorINSM_9compositeIJNSM_27transparent_binary_operatorINSA_8equal_toIvEEEENSN_INSM_8argumentILj0EEEEENSM_5valueItEEEEEEEEEEEE10hipError_tPvRmT3_T4_T5_T6_T7_T9_mT8_P12ihipStream_tbDpT10_ENKUlT_T0_E_clISt17integral_constantIbLb1EES1J_IbLb0EEEEDaS1F_S1G_EUlS1F_E_NS1_11comp_targetILNS1_3genE10ELNS1_11target_archE1200ELNS1_3gpuE4ELNS1_3repE0EEENS1_30default_config_static_selectorELNS0_4arch9wavefront6targetE0EEEvT1_
		.amdhsa_group_segment_fixed_size 0
		.amdhsa_private_segment_fixed_size 0
		.amdhsa_kernarg_size 120
		.amdhsa_user_sgpr_count 2
		.amdhsa_user_sgpr_dispatch_ptr 0
		.amdhsa_user_sgpr_queue_ptr 0
		.amdhsa_user_sgpr_kernarg_segment_ptr 1
		.amdhsa_user_sgpr_dispatch_id 0
		.amdhsa_user_sgpr_private_segment_size 0
		.amdhsa_wavefront_size32 1
		.amdhsa_uses_dynamic_stack 0
		.amdhsa_enable_private_segment 0
		.amdhsa_system_sgpr_workgroup_id_x 1
		.amdhsa_system_sgpr_workgroup_id_y 0
		.amdhsa_system_sgpr_workgroup_id_z 0
		.amdhsa_system_sgpr_workgroup_info 0
		.amdhsa_system_vgpr_workitem_id 0
		.amdhsa_next_free_vgpr 1
		.amdhsa_next_free_sgpr 1
		.amdhsa_reserve_vcc 0
		.amdhsa_float_round_mode_32 0
		.amdhsa_float_round_mode_16_64 0
		.amdhsa_float_denorm_mode_32 3
		.amdhsa_float_denorm_mode_16_64 3
		.amdhsa_fp16_overflow 0
		.amdhsa_workgroup_processor_mode 1
		.amdhsa_memory_ordered 1
		.amdhsa_forward_progress 1
		.amdhsa_inst_pref_size 1
		.amdhsa_round_robin_scheduling 0
		.amdhsa_exception_fp_ieee_invalid_op 0
		.amdhsa_exception_fp_denorm_src 0
		.amdhsa_exception_fp_ieee_div_zero 0
		.amdhsa_exception_fp_ieee_overflow 0
		.amdhsa_exception_fp_ieee_underflow 0
		.amdhsa_exception_fp_ieee_inexact 0
		.amdhsa_exception_int_div_zero 0
	.end_amdhsa_kernel
	.section	.text._ZN7rocprim17ROCPRIM_400000_NS6detail17trampoline_kernelINS0_14default_configENS1_25partition_config_selectorILNS1_17partition_subalgoE6EtNS0_10empty_typeEbEEZZNS1_14partition_implILS5_6ELb0ES3_mN6thrust23THRUST_200600_302600_NS6detail15normal_iteratorINSA_10device_ptrItEEEEPS6_SG_NS0_5tupleIJSF_S6_EEENSH_IJSG_SG_EEES6_PlJNSB_9not_fun_tINSB_10functional5actorINSM_9compositeIJNSM_27transparent_binary_operatorINSA_8equal_toIvEEEENSN_INSM_8argumentILj0EEEEENSM_5valueItEEEEEEEEEEEE10hipError_tPvRmT3_T4_T5_T6_T7_T9_mT8_P12ihipStream_tbDpT10_ENKUlT_T0_E_clISt17integral_constantIbLb1EES1J_IbLb0EEEEDaS1F_S1G_EUlS1F_E_NS1_11comp_targetILNS1_3genE10ELNS1_11target_archE1200ELNS1_3gpuE4ELNS1_3repE0EEENS1_30default_config_static_selectorELNS0_4arch9wavefront6targetE0EEEvT1_,"axG",@progbits,_ZN7rocprim17ROCPRIM_400000_NS6detail17trampoline_kernelINS0_14default_configENS1_25partition_config_selectorILNS1_17partition_subalgoE6EtNS0_10empty_typeEbEEZZNS1_14partition_implILS5_6ELb0ES3_mN6thrust23THRUST_200600_302600_NS6detail15normal_iteratorINSA_10device_ptrItEEEEPS6_SG_NS0_5tupleIJSF_S6_EEENSH_IJSG_SG_EEES6_PlJNSB_9not_fun_tINSB_10functional5actorINSM_9compositeIJNSM_27transparent_binary_operatorINSA_8equal_toIvEEEENSN_INSM_8argumentILj0EEEEENSM_5valueItEEEEEEEEEEEE10hipError_tPvRmT3_T4_T5_T6_T7_T9_mT8_P12ihipStream_tbDpT10_ENKUlT_T0_E_clISt17integral_constantIbLb1EES1J_IbLb0EEEEDaS1F_S1G_EUlS1F_E_NS1_11comp_targetILNS1_3genE10ELNS1_11target_archE1200ELNS1_3gpuE4ELNS1_3repE0EEENS1_30default_config_static_selectorELNS0_4arch9wavefront6targetE0EEEvT1_,comdat
.Lfunc_end167:
	.size	_ZN7rocprim17ROCPRIM_400000_NS6detail17trampoline_kernelINS0_14default_configENS1_25partition_config_selectorILNS1_17partition_subalgoE6EtNS0_10empty_typeEbEEZZNS1_14partition_implILS5_6ELb0ES3_mN6thrust23THRUST_200600_302600_NS6detail15normal_iteratorINSA_10device_ptrItEEEEPS6_SG_NS0_5tupleIJSF_S6_EEENSH_IJSG_SG_EEES6_PlJNSB_9not_fun_tINSB_10functional5actorINSM_9compositeIJNSM_27transparent_binary_operatorINSA_8equal_toIvEEEENSN_INSM_8argumentILj0EEEEENSM_5valueItEEEEEEEEEEEE10hipError_tPvRmT3_T4_T5_T6_T7_T9_mT8_P12ihipStream_tbDpT10_ENKUlT_T0_E_clISt17integral_constantIbLb1EES1J_IbLb0EEEEDaS1F_S1G_EUlS1F_E_NS1_11comp_targetILNS1_3genE10ELNS1_11target_archE1200ELNS1_3gpuE4ELNS1_3repE0EEENS1_30default_config_static_selectorELNS0_4arch9wavefront6targetE0EEEvT1_, .Lfunc_end167-_ZN7rocprim17ROCPRIM_400000_NS6detail17trampoline_kernelINS0_14default_configENS1_25partition_config_selectorILNS1_17partition_subalgoE6EtNS0_10empty_typeEbEEZZNS1_14partition_implILS5_6ELb0ES3_mN6thrust23THRUST_200600_302600_NS6detail15normal_iteratorINSA_10device_ptrItEEEEPS6_SG_NS0_5tupleIJSF_S6_EEENSH_IJSG_SG_EEES6_PlJNSB_9not_fun_tINSB_10functional5actorINSM_9compositeIJNSM_27transparent_binary_operatorINSA_8equal_toIvEEEENSN_INSM_8argumentILj0EEEEENSM_5valueItEEEEEEEEEEEE10hipError_tPvRmT3_T4_T5_T6_T7_T9_mT8_P12ihipStream_tbDpT10_ENKUlT_T0_E_clISt17integral_constantIbLb1EES1J_IbLb0EEEEDaS1F_S1G_EUlS1F_E_NS1_11comp_targetILNS1_3genE10ELNS1_11target_archE1200ELNS1_3gpuE4ELNS1_3repE0EEENS1_30default_config_static_selectorELNS0_4arch9wavefront6targetE0EEEvT1_
                                        ; -- End function
	.set _ZN7rocprim17ROCPRIM_400000_NS6detail17trampoline_kernelINS0_14default_configENS1_25partition_config_selectorILNS1_17partition_subalgoE6EtNS0_10empty_typeEbEEZZNS1_14partition_implILS5_6ELb0ES3_mN6thrust23THRUST_200600_302600_NS6detail15normal_iteratorINSA_10device_ptrItEEEEPS6_SG_NS0_5tupleIJSF_S6_EEENSH_IJSG_SG_EEES6_PlJNSB_9not_fun_tINSB_10functional5actorINSM_9compositeIJNSM_27transparent_binary_operatorINSA_8equal_toIvEEEENSN_INSM_8argumentILj0EEEEENSM_5valueItEEEEEEEEEEEE10hipError_tPvRmT3_T4_T5_T6_T7_T9_mT8_P12ihipStream_tbDpT10_ENKUlT_T0_E_clISt17integral_constantIbLb1EES1J_IbLb0EEEEDaS1F_S1G_EUlS1F_E_NS1_11comp_targetILNS1_3genE10ELNS1_11target_archE1200ELNS1_3gpuE4ELNS1_3repE0EEENS1_30default_config_static_selectorELNS0_4arch9wavefront6targetE0EEEvT1_.num_vgpr, 0
	.set _ZN7rocprim17ROCPRIM_400000_NS6detail17trampoline_kernelINS0_14default_configENS1_25partition_config_selectorILNS1_17partition_subalgoE6EtNS0_10empty_typeEbEEZZNS1_14partition_implILS5_6ELb0ES3_mN6thrust23THRUST_200600_302600_NS6detail15normal_iteratorINSA_10device_ptrItEEEEPS6_SG_NS0_5tupleIJSF_S6_EEENSH_IJSG_SG_EEES6_PlJNSB_9not_fun_tINSB_10functional5actorINSM_9compositeIJNSM_27transparent_binary_operatorINSA_8equal_toIvEEEENSN_INSM_8argumentILj0EEEEENSM_5valueItEEEEEEEEEEEE10hipError_tPvRmT3_T4_T5_T6_T7_T9_mT8_P12ihipStream_tbDpT10_ENKUlT_T0_E_clISt17integral_constantIbLb1EES1J_IbLb0EEEEDaS1F_S1G_EUlS1F_E_NS1_11comp_targetILNS1_3genE10ELNS1_11target_archE1200ELNS1_3gpuE4ELNS1_3repE0EEENS1_30default_config_static_selectorELNS0_4arch9wavefront6targetE0EEEvT1_.num_agpr, 0
	.set _ZN7rocprim17ROCPRIM_400000_NS6detail17trampoline_kernelINS0_14default_configENS1_25partition_config_selectorILNS1_17partition_subalgoE6EtNS0_10empty_typeEbEEZZNS1_14partition_implILS5_6ELb0ES3_mN6thrust23THRUST_200600_302600_NS6detail15normal_iteratorINSA_10device_ptrItEEEEPS6_SG_NS0_5tupleIJSF_S6_EEENSH_IJSG_SG_EEES6_PlJNSB_9not_fun_tINSB_10functional5actorINSM_9compositeIJNSM_27transparent_binary_operatorINSA_8equal_toIvEEEENSN_INSM_8argumentILj0EEEEENSM_5valueItEEEEEEEEEEEE10hipError_tPvRmT3_T4_T5_T6_T7_T9_mT8_P12ihipStream_tbDpT10_ENKUlT_T0_E_clISt17integral_constantIbLb1EES1J_IbLb0EEEEDaS1F_S1G_EUlS1F_E_NS1_11comp_targetILNS1_3genE10ELNS1_11target_archE1200ELNS1_3gpuE4ELNS1_3repE0EEENS1_30default_config_static_selectorELNS0_4arch9wavefront6targetE0EEEvT1_.numbered_sgpr, 0
	.set _ZN7rocprim17ROCPRIM_400000_NS6detail17trampoline_kernelINS0_14default_configENS1_25partition_config_selectorILNS1_17partition_subalgoE6EtNS0_10empty_typeEbEEZZNS1_14partition_implILS5_6ELb0ES3_mN6thrust23THRUST_200600_302600_NS6detail15normal_iteratorINSA_10device_ptrItEEEEPS6_SG_NS0_5tupleIJSF_S6_EEENSH_IJSG_SG_EEES6_PlJNSB_9not_fun_tINSB_10functional5actorINSM_9compositeIJNSM_27transparent_binary_operatorINSA_8equal_toIvEEEENSN_INSM_8argumentILj0EEEEENSM_5valueItEEEEEEEEEEEE10hipError_tPvRmT3_T4_T5_T6_T7_T9_mT8_P12ihipStream_tbDpT10_ENKUlT_T0_E_clISt17integral_constantIbLb1EES1J_IbLb0EEEEDaS1F_S1G_EUlS1F_E_NS1_11comp_targetILNS1_3genE10ELNS1_11target_archE1200ELNS1_3gpuE4ELNS1_3repE0EEENS1_30default_config_static_selectorELNS0_4arch9wavefront6targetE0EEEvT1_.num_named_barrier, 0
	.set _ZN7rocprim17ROCPRIM_400000_NS6detail17trampoline_kernelINS0_14default_configENS1_25partition_config_selectorILNS1_17partition_subalgoE6EtNS0_10empty_typeEbEEZZNS1_14partition_implILS5_6ELb0ES3_mN6thrust23THRUST_200600_302600_NS6detail15normal_iteratorINSA_10device_ptrItEEEEPS6_SG_NS0_5tupleIJSF_S6_EEENSH_IJSG_SG_EEES6_PlJNSB_9not_fun_tINSB_10functional5actorINSM_9compositeIJNSM_27transparent_binary_operatorINSA_8equal_toIvEEEENSN_INSM_8argumentILj0EEEEENSM_5valueItEEEEEEEEEEEE10hipError_tPvRmT3_T4_T5_T6_T7_T9_mT8_P12ihipStream_tbDpT10_ENKUlT_T0_E_clISt17integral_constantIbLb1EES1J_IbLb0EEEEDaS1F_S1G_EUlS1F_E_NS1_11comp_targetILNS1_3genE10ELNS1_11target_archE1200ELNS1_3gpuE4ELNS1_3repE0EEENS1_30default_config_static_selectorELNS0_4arch9wavefront6targetE0EEEvT1_.private_seg_size, 0
	.set _ZN7rocprim17ROCPRIM_400000_NS6detail17trampoline_kernelINS0_14default_configENS1_25partition_config_selectorILNS1_17partition_subalgoE6EtNS0_10empty_typeEbEEZZNS1_14partition_implILS5_6ELb0ES3_mN6thrust23THRUST_200600_302600_NS6detail15normal_iteratorINSA_10device_ptrItEEEEPS6_SG_NS0_5tupleIJSF_S6_EEENSH_IJSG_SG_EEES6_PlJNSB_9not_fun_tINSB_10functional5actorINSM_9compositeIJNSM_27transparent_binary_operatorINSA_8equal_toIvEEEENSN_INSM_8argumentILj0EEEEENSM_5valueItEEEEEEEEEEEE10hipError_tPvRmT3_T4_T5_T6_T7_T9_mT8_P12ihipStream_tbDpT10_ENKUlT_T0_E_clISt17integral_constantIbLb1EES1J_IbLb0EEEEDaS1F_S1G_EUlS1F_E_NS1_11comp_targetILNS1_3genE10ELNS1_11target_archE1200ELNS1_3gpuE4ELNS1_3repE0EEENS1_30default_config_static_selectorELNS0_4arch9wavefront6targetE0EEEvT1_.uses_vcc, 0
	.set _ZN7rocprim17ROCPRIM_400000_NS6detail17trampoline_kernelINS0_14default_configENS1_25partition_config_selectorILNS1_17partition_subalgoE6EtNS0_10empty_typeEbEEZZNS1_14partition_implILS5_6ELb0ES3_mN6thrust23THRUST_200600_302600_NS6detail15normal_iteratorINSA_10device_ptrItEEEEPS6_SG_NS0_5tupleIJSF_S6_EEENSH_IJSG_SG_EEES6_PlJNSB_9not_fun_tINSB_10functional5actorINSM_9compositeIJNSM_27transparent_binary_operatorINSA_8equal_toIvEEEENSN_INSM_8argumentILj0EEEEENSM_5valueItEEEEEEEEEEEE10hipError_tPvRmT3_T4_T5_T6_T7_T9_mT8_P12ihipStream_tbDpT10_ENKUlT_T0_E_clISt17integral_constantIbLb1EES1J_IbLb0EEEEDaS1F_S1G_EUlS1F_E_NS1_11comp_targetILNS1_3genE10ELNS1_11target_archE1200ELNS1_3gpuE4ELNS1_3repE0EEENS1_30default_config_static_selectorELNS0_4arch9wavefront6targetE0EEEvT1_.uses_flat_scratch, 0
	.set _ZN7rocprim17ROCPRIM_400000_NS6detail17trampoline_kernelINS0_14default_configENS1_25partition_config_selectorILNS1_17partition_subalgoE6EtNS0_10empty_typeEbEEZZNS1_14partition_implILS5_6ELb0ES3_mN6thrust23THRUST_200600_302600_NS6detail15normal_iteratorINSA_10device_ptrItEEEEPS6_SG_NS0_5tupleIJSF_S6_EEENSH_IJSG_SG_EEES6_PlJNSB_9not_fun_tINSB_10functional5actorINSM_9compositeIJNSM_27transparent_binary_operatorINSA_8equal_toIvEEEENSN_INSM_8argumentILj0EEEEENSM_5valueItEEEEEEEEEEEE10hipError_tPvRmT3_T4_T5_T6_T7_T9_mT8_P12ihipStream_tbDpT10_ENKUlT_T0_E_clISt17integral_constantIbLb1EES1J_IbLb0EEEEDaS1F_S1G_EUlS1F_E_NS1_11comp_targetILNS1_3genE10ELNS1_11target_archE1200ELNS1_3gpuE4ELNS1_3repE0EEENS1_30default_config_static_selectorELNS0_4arch9wavefront6targetE0EEEvT1_.has_dyn_sized_stack, 0
	.set _ZN7rocprim17ROCPRIM_400000_NS6detail17trampoline_kernelINS0_14default_configENS1_25partition_config_selectorILNS1_17partition_subalgoE6EtNS0_10empty_typeEbEEZZNS1_14partition_implILS5_6ELb0ES3_mN6thrust23THRUST_200600_302600_NS6detail15normal_iteratorINSA_10device_ptrItEEEEPS6_SG_NS0_5tupleIJSF_S6_EEENSH_IJSG_SG_EEES6_PlJNSB_9not_fun_tINSB_10functional5actorINSM_9compositeIJNSM_27transparent_binary_operatorINSA_8equal_toIvEEEENSN_INSM_8argumentILj0EEEEENSM_5valueItEEEEEEEEEEEE10hipError_tPvRmT3_T4_T5_T6_T7_T9_mT8_P12ihipStream_tbDpT10_ENKUlT_T0_E_clISt17integral_constantIbLb1EES1J_IbLb0EEEEDaS1F_S1G_EUlS1F_E_NS1_11comp_targetILNS1_3genE10ELNS1_11target_archE1200ELNS1_3gpuE4ELNS1_3repE0EEENS1_30default_config_static_selectorELNS0_4arch9wavefront6targetE0EEEvT1_.has_recursion, 0
	.set _ZN7rocprim17ROCPRIM_400000_NS6detail17trampoline_kernelINS0_14default_configENS1_25partition_config_selectorILNS1_17partition_subalgoE6EtNS0_10empty_typeEbEEZZNS1_14partition_implILS5_6ELb0ES3_mN6thrust23THRUST_200600_302600_NS6detail15normal_iteratorINSA_10device_ptrItEEEEPS6_SG_NS0_5tupleIJSF_S6_EEENSH_IJSG_SG_EEES6_PlJNSB_9not_fun_tINSB_10functional5actorINSM_9compositeIJNSM_27transparent_binary_operatorINSA_8equal_toIvEEEENSN_INSM_8argumentILj0EEEEENSM_5valueItEEEEEEEEEEEE10hipError_tPvRmT3_T4_T5_T6_T7_T9_mT8_P12ihipStream_tbDpT10_ENKUlT_T0_E_clISt17integral_constantIbLb1EES1J_IbLb0EEEEDaS1F_S1G_EUlS1F_E_NS1_11comp_targetILNS1_3genE10ELNS1_11target_archE1200ELNS1_3gpuE4ELNS1_3repE0EEENS1_30default_config_static_selectorELNS0_4arch9wavefront6targetE0EEEvT1_.has_indirect_call, 0
	.section	.AMDGPU.csdata,"",@progbits
; Kernel info:
; codeLenInByte = 4
; TotalNumSgprs: 0
; NumVgprs: 0
; ScratchSize: 0
; MemoryBound: 0
; FloatMode: 240
; IeeeMode: 1
; LDSByteSize: 0 bytes/workgroup (compile time only)
; SGPRBlocks: 0
; VGPRBlocks: 0
; NumSGPRsForWavesPerEU: 1
; NumVGPRsForWavesPerEU: 1
; Occupancy: 16
; WaveLimiterHint : 0
; COMPUTE_PGM_RSRC2:SCRATCH_EN: 0
; COMPUTE_PGM_RSRC2:USER_SGPR: 2
; COMPUTE_PGM_RSRC2:TRAP_HANDLER: 0
; COMPUTE_PGM_RSRC2:TGID_X_EN: 1
; COMPUTE_PGM_RSRC2:TGID_Y_EN: 0
; COMPUTE_PGM_RSRC2:TGID_Z_EN: 0
; COMPUTE_PGM_RSRC2:TIDIG_COMP_CNT: 0
	.section	.text._ZN7rocprim17ROCPRIM_400000_NS6detail17trampoline_kernelINS0_14default_configENS1_25partition_config_selectorILNS1_17partition_subalgoE6EtNS0_10empty_typeEbEEZZNS1_14partition_implILS5_6ELb0ES3_mN6thrust23THRUST_200600_302600_NS6detail15normal_iteratorINSA_10device_ptrItEEEEPS6_SG_NS0_5tupleIJSF_S6_EEENSH_IJSG_SG_EEES6_PlJNSB_9not_fun_tINSB_10functional5actorINSM_9compositeIJNSM_27transparent_binary_operatorINSA_8equal_toIvEEEENSN_INSM_8argumentILj0EEEEENSM_5valueItEEEEEEEEEEEE10hipError_tPvRmT3_T4_T5_T6_T7_T9_mT8_P12ihipStream_tbDpT10_ENKUlT_T0_E_clISt17integral_constantIbLb1EES1J_IbLb0EEEEDaS1F_S1G_EUlS1F_E_NS1_11comp_targetILNS1_3genE9ELNS1_11target_archE1100ELNS1_3gpuE3ELNS1_3repE0EEENS1_30default_config_static_selectorELNS0_4arch9wavefront6targetE0EEEvT1_,"axG",@progbits,_ZN7rocprim17ROCPRIM_400000_NS6detail17trampoline_kernelINS0_14default_configENS1_25partition_config_selectorILNS1_17partition_subalgoE6EtNS0_10empty_typeEbEEZZNS1_14partition_implILS5_6ELb0ES3_mN6thrust23THRUST_200600_302600_NS6detail15normal_iteratorINSA_10device_ptrItEEEEPS6_SG_NS0_5tupleIJSF_S6_EEENSH_IJSG_SG_EEES6_PlJNSB_9not_fun_tINSB_10functional5actorINSM_9compositeIJNSM_27transparent_binary_operatorINSA_8equal_toIvEEEENSN_INSM_8argumentILj0EEEEENSM_5valueItEEEEEEEEEEEE10hipError_tPvRmT3_T4_T5_T6_T7_T9_mT8_P12ihipStream_tbDpT10_ENKUlT_T0_E_clISt17integral_constantIbLb1EES1J_IbLb0EEEEDaS1F_S1G_EUlS1F_E_NS1_11comp_targetILNS1_3genE9ELNS1_11target_archE1100ELNS1_3gpuE3ELNS1_3repE0EEENS1_30default_config_static_selectorELNS0_4arch9wavefront6targetE0EEEvT1_,comdat
	.protected	_ZN7rocprim17ROCPRIM_400000_NS6detail17trampoline_kernelINS0_14default_configENS1_25partition_config_selectorILNS1_17partition_subalgoE6EtNS0_10empty_typeEbEEZZNS1_14partition_implILS5_6ELb0ES3_mN6thrust23THRUST_200600_302600_NS6detail15normal_iteratorINSA_10device_ptrItEEEEPS6_SG_NS0_5tupleIJSF_S6_EEENSH_IJSG_SG_EEES6_PlJNSB_9not_fun_tINSB_10functional5actorINSM_9compositeIJNSM_27transparent_binary_operatorINSA_8equal_toIvEEEENSN_INSM_8argumentILj0EEEEENSM_5valueItEEEEEEEEEEEE10hipError_tPvRmT3_T4_T5_T6_T7_T9_mT8_P12ihipStream_tbDpT10_ENKUlT_T0_E_clISt17integral_constantIbLb1EES1J_IbLb0EEEEDaS1F_S1G_EUlS1F_E_NS1_11comp_targetILNS1_3genE9ELNS1_11target_archE1100ELNS1_3gpuE3ELNS1_3repE0EEENS1_30default_config_static_selectorELNS0_4arch9wavefront6targetE0EEEvT1_ ; -- Begin function _ZN7rocprim17ROCPRIM_400000_NS6detail17trampoline_kernelINS0_14default_configENS1_25partition_config_selectorILNS1_17partition_subalgoE6EtNS0_10empty_typeEbEEZZNS1_14partition_implILS5_6ELb0ES3_mN6thrust23THRUST_200600_302600_NS6detail15normal_iteratorINSA_10device_ptrItEEEEPS6_SG_NS0_5tupleIJSF_S6_EEENSH_IJSG_SG_EEES6_PlJNSB_9not_fun_tINSB_10functional5actorINSM_9compositeIJNSM_27transparent_binary_operatorINSA_8equal_toIvEEEENSN_INSM_8argumentILj0EEEEENSM_5valueItEEEEEEEEEEEE10hipError_tPvRmT3_T4_T5_T6_T7_T9_mT8_P12ihipStream_tbDpT10_ENKUlT_T0_E_clISt17integral_constantIbLb1EES1J_IbLb0EEEEDaS1F_S1G_EUlS1F_E_NS1_11comp_targetILNS1_3genE9ELNS1_11target_archE1100ELNS1_3gpuE3ELNS1_3repE0EEENS1_30default_config_static_selectorELNS0_4arch9wavefront6targetE0EEEvT1_
	.globl	_ZN7rocprim17ROCPRIM_400000_NS6detail17trampoline_kernelINS0_14default_configENS1_25partition_config_selectorILNS1_17partition_subalgoE6EtNS0_10empty_typeEbEEZZNS1_14partition_implILS5_6ELb0ES3_mN6thrust23THRUST_200600_302600_NS6detail15normal_iteratorINSA_10device_ptrItEEEEPS6_SG_NS0_5tupleIJSF_S6_EEENSH_IJSG_SG_EEES6_PlJNSB_9not_fun_tINSB_10functional5actorINSM_9compositeIJNSM_27transparent_binary_operatorINSA_8equal_toIvEEEENSN_INSM_8argumentILj0EEEEENSM_5valueItEEEEEEEEEEEE10hipError_tPvRmT3_T4_T5_T6_T7_T9_mT8_P12ihipStream_tbDpT10_ENKUlT_T0_E_clISt17integral_constantIbLb1EES1J_IbLb0EEEEDaS1F_S1G_EUlS1F_E_NS1_11comp_targetILNS1_3genE9ELNS1_11target_archE1100ELNS1_3gpuE3ELNS1_3repE0EEENS1_30default_config_static_selectorELNS0_4arch9wavefront6targetE0EEEvT1_
	.p2align	8
	.type	_ZN7rocprim17ROCPRIM_400000_NS6detail17trampoline_kernelINS0_14default_configENS1_25partition_config_selectorILNS1_17partition_subalgoE6EtNS0_10empty_typeEbEEZZNS1_14partition_implILS5_6ELb0ES3_mN6thrust23THRUST_200600_302600_NS6detail15normal_iteratorINSA_10device_ptrItEEEEPS6_SG_NS0_5tupleIJSF_S6_EEENSH_IJSG_SG_EEES6_PlJNSB_9not_fun_tINSB_10functional5actorINSM_9compositeIJNSM_27transparent_binary_operatorINSA_8equal_toIvEEEENSN_INSM_8argumentILj0EEEEENSM_5valueItEEEEEEEEEEEE10hipError_tPvRmT3_T4_T5_T6_T7_T9_mT8_P12ihipStream_tbDpT10_ENKUlT_T0_E_clISt17integral_constantIbLb1EES1J_IbLb0EEEEDaS1F_S1G_EUlS1F_E_NS1_11comp_targetILNS1_3genE9ELNS1_11target_archE1100ELNS1_3gpuE3ELNS1_3repE0EEENS1_30default_config_static_selectorELNS0_4arch9wavefront6targetE0EEEvT1_,@function
_ZN7rocprim17ROCPRIM_400000_NS6detail17trampoline_kernelINS0_14default_configENS1_25partition_config_selectorILNS1_17partition_subalgoE6EtNS0_10empty_typeEbEEZZNS1_14partition_implILS5_6ELb0ES3_mN6thrust23THRUST_200600_302600_NS6detail15normal_iteratorINSA_10device_ptrItEEEEPS6_SG_NS0_5tupleIJSF_S6_EEENSH_IJSG_SG_EEES6_PlJNSB_9not_fun_tINSB_10functional5actorINSM_9compositeIJNSM_27transparent_binary_operatorINSA_8equal_toIvEEEENSN_INSM_8argumentILj0EEEEENSM_5valueItEEEEEEEEEEEE10hipError_tPvRmT3_T4_T5_T6_T7_T9_mT8_P12ihipStream_tbDpT10_ENKUlT_T0_E_clISt17integral_constantIbLb1EES1J_IbLb0EEEEDaS1F_S1G_EUlS1F_E_NS1_11comp_targetILNS1_3genE9ELNS1_11target_archE1100ELNS1_3gpuE3ELNS1_3repE0EEENS1_30default_config_static_selectorELNS0_4arch9wavefront6targetE0EEEvT1_: ; @_ZN7rocprim17ROCPRIM_400000_NS6detail17trampoline_kernelINS0_14default_configENS1_25partition_config_selectorILNS1_17partition_subalgoE6EtNS0_10empty_typeEbEEZZNS1_14partition_implILS5_6ELb0ES3_mN6thrust23THRUST_200600_302600_NS6detail15normal_iteratorINSA_10device_ptrItEEEEPS6_SG_NS0_5tupleIJSF_S6_EEENSH_IJSG_SG_EEES6_PlJNSB_9not_fun_tINSB_10functional5actorINSM_9compositeIJNSM_27transparent_binary_operatorINSA_8equal_toIvEEEENSN_INSM_8argumentILj0EEEEENSM_5valueItEEEEEEEEEEEE10hipError_tPvRmT3_T4_T5_T6_T7_T9_mT8_P12ihipStream_tbDpT10_ENKUlT_T0_E_clISt17integral_constantIbLb1EES1J_IbLb0EEEEDaS1F_S1G_EUlS1F_E_NS1_11comp_targetILNS1_3genE9ELNS1_11target_archE1100ELNS1_3gpuE3ELNS1_3repE0EEENS1_30default_config_static_selectorELNS0_4arch9wavefront6targetE0EEEvT1_
; %bb.0:
	.section	.rodata,"a",@progbits
	.p2align	6, 0x0
	.amdhsa_kernel _ZN7rocprim17ROCPRIM_400000_NS6detail17trampoline_kernelINS0_14default_configENS1_25partition_config_selectorILNS1_17partition_subalgoE6EtNS0_10empty_typeEbEEZZNS1_14partition_implILS5_6ELb0ES3_mN6thrust23THRUST_200600_302600_NS6detail15normal_iteratorINSA_10device_ptrItEEEEPS6_SG_NS0_5tupleIJSF_S6_EEENSH_IJSG_SG_EEES6_PlJNSB_9not_fun_tINSB_10functional5actorINSM_9compositeIJNSM_27transparent_binary_operatorINSA_8equal_toIvEEEENSN_INSM_8argumentILj0EEEEENSM_5valueItEEEEEEEEEEEE10hipError_tPvRmT3_T4_T5_T6_T7_T9_mT8_P12ihipStream_tbDpT10_ENKUlT_T0_E_clISt17integral_constantIbLb1EES1J_IbLb0EEEEDaS1F_S1G_EUlS1F_E_NS1_11comp_targetILNS1_3genE9ELNS1_11target_archE1100ELNS1_3gpuE3ELNS1_3repE0EEENS1_30default_config_static_selectorELNS0_4arch9wavefront6targetE0EEEvT1_
		.amdhsa_group_segment_fixed_size 0
		.amdhsa_private_segment_fixed_size 0
		.amdhsa_kernarg_size 120
		.amdhsa_user_sgpr_count 2
		.amdhsa_user_sgpr_dispatch_ptr 0
		.amdhsa_user_sgpr_queue_ptr 0
		.amdhsa_user_sgpr_kernarg_segment_ptr 1
		.amdhsa_user_sgpr_dispatch_id 0
		.amdhsa_user_sgpr_private_segment_size 0
		.amdhsa_wavefront_size32 1
		.amdhsa_uses_dynamic_stack 0
		.amdhsa_enable_private_segment 0
		.amdhsa_system_sgpr_workgroup_id_x 1
		.amdhsa_system_sgpr_workgroup_id_y 0
		.amdhsa_system_sgpr_workgroup_id_z 0
		.amdhsa_system_sgpr_workgroup_info 0
		.amdhsa_system_vgpr_workitem_id 0
		.amdhsa_next_free_vgpr 1
		.amdhsa_next_free_sgpr 1
		.amdhsa_reserve_vcc 0
		.amdhsa_float_round_mode_32 0
		.amdhsa_float_round_mode_16_64 0
		.amdhsa_float_denorm_mode_32 3
		.amdhsa_float_denorm_mode_16_64 3
		.amdhsa_fp16_overflow 0
		.amdhsa_workgroup_processor_mode 1
		.amdhsa_memory_ordered 1
		.amdhsa_forward_progress 1
		.amdhsa_inst_pref_size 0
		.amdhsa_round_robin_scheduling 0
		.amdhsa_exception_fp_ieee_invalid_op 0
		.amdhsa_exception_fp_denorm_src 0
		.amdhsa_exception_fp_ieee_div_zero 0
		.amdhsa_exception_fp_ieee_overflow 0
		.amdhsa_exception_fp_ieee_underflow 0
		.amdhsa_exception_fp_ieee_inexact 0
		.amdhsa_exception_int_div_zero 0
	.end_amdhsa_kernel
	.section	.text._ZN7rocprim17ROCPRIM_400000_NS6detail17trampoline_kernelINS0_14default_configENS1_25partition_config_selectorILNS1_17partition_subalgoE6EtNS0_10empty_typeEbEEZZNS1_14partition_implILS5_6ELb0ES3_mN6thrust23THRUST_200600_302600_NS6detail15normal_iteratorINSA_10device_ptrItEEEEPS6_SG_NS0_5tupleIJSF_S6_EEENSH_IJSG_SG_EEES6_PlJNSB_9not_fun_tINSB_10functional5actorINSM_9compositeIJNSM_27transparent_binary_operatorINSA_8equal_toIvEEEENSN_INSM_8argumentILj0EEEEENSM_5valueItEEEEEEEEEEEE10hipError_tPvRmT3_T4_T5_T6_T7_T9_mT8_P12ihipStream_tbDpT10_ENKUlT_T0_E_clISt17integral_constantIbLb1EES1J_IbLb0EEEEDaS1F_S1G_EUlS1F_E_NS1_11comp_targetILNS1_3genE9ELNS1_11target_archE1100ELNS1_3gpuE3ELNS1_3repE0EEENS1_30default_config_static_selectorELNS0_4arch9wavefront6targetE0EEEvT1_,"axG",@progbits,_ZN7rocprim17ROCPRIM_400000_NS6detail17trampoline_kernelINS0_14default_configENS1_25partition_config_selectorILNS1_17partition_subalgoE6EtNS0_10empty_typeEbEEZZNS1_14partition_implILS5_6ELb0ES3_mN6thrust23THRUST_200600_302600_NS6detail15normal_iteratorINSA_10device_ptrItEEEEPS6_SG_NS0_5tupleIJSF_S6_EEENSH_IJSG_SG_EEES6_PlJNSB_9not_fun_tINSB_10functional5actorINSM_9compositeIJNSM_27transparent_binary_operatorINSA_8equal_toIvEEEENSN_INSM_8argumentILj0EEEEENSM_5valueItEEEEEEEEEEEE10hipError_tPvRmT3_T4_T5_T6_T7_T9_mT8_P12ihipStream_tbDpT10_ENKUlT_T0_E_clISt17integral_constantIbLb1EES1J_IbLb0EEEEDaS1F_S1G_EUlS1F_E_NS1_11comp_targetILNS1_3genE9ELNS1_11target_archE1100ELNS1_3gpuE3ELNS1_3repE0EEENS1_30default_config_static_selectorELNS0_4arch9wavefront6targetE0EEEvT1_,comdat
.Lfunc_end168:
	.size	_ZN7rocprim17ROCPRIM_400000_NS6detail17trampoline_kernelINS0_14default_configENS1_25partition_config_selectorILNS1_17partition_subalgoE6EtNS0_10empty_typeEbEEZZNS1_14partition_implILS5_6ELb0ES3_mN6thrust23THRUST_200600_302600_NS6detail15normal_iteratorINSA_10device_ptrItEEEEPS6_SG_NS0_5tupleIJSF_S6_EEENSH_IJSG_SG_EEES6_PlJNSB_9not_fun_tINSB_10functional5actorINSM_9compositeIJNSM_27transparent_binary_operatorINSA_8equal_toIvEEEENSN_INSM_8argumentILj0EEEEENSM_5valueItEEEEEEEEEEEE10hipError_tPvRmT3_T4_T5_T6_T7_T9_mT8_P12ihipStream_tbDpT10_ENKUlT_T0_E_clISt17integral_constantIbLb1EES1J_IbLb0EEEEDaS1F_S1G_EUlS1F_E_NS1_11comp_targetILNS1_3genE9ELNS1_11target_archE1100ELNS1_3gpuE3ELNS1_3repE0EEENS1_30default_config_static_selectorELNS0_4arch9wavefront6targetE0EEEvT1_, .Lfunc_end168-_ZN7rocprim17ROCPRIM_400000_NS6detail17trampoline_kernelINS0_14default_configENS1_25partition_config_selectorILNS1_17partition_subalgoE6EtNS0_10empty_typeEbEEZZNS1_14partition_implILS5_6ELb0ES3_mN6thrust23THRUST_200600_302600_NS6detail15normal_iteratorINSA_10device_ptrItEEEEPS6_SG_NS0_5tupleIJSF_S6_EEENSH_IJSG_SG_EEES6_PlJNSB_9not_fun_tINSB_10functional5actorINSM_9compositeIJNSM_27transparent_binary_operatorINSA_8equal_toIvEEEENSN_INSM_8argumentILj0EEEEENSM_5valueItEEEEEEEEEEEE10hipError_tPvRmT3_T4_T5_T6_T7_T9_mT8_P12ihipStream_tbDpT10_ENKUlT_T0_E_clISt17integral_constantIbLb1EES1J_IbLb0EEEEDaS1F_S1G_EUlS1F_E_NS1_11comp_targetILNS1_3genE9ELNS1_11target_archE1100ELNS1_3gpuE3ELNS1_3repE0EEENS1_30default_config_static_selectorELNS0_4arch9wavefront6targetE0EEEvT1_
                                        ; -- End function
	.set _ZN7rocprim17ROCPRIM_400000_NS6detail17trampoline_kernelINS0_14default_configENS1_25partition_config_selectorILNS1_17partition_subalgoE6EtNS0_10empty_typeEbEEZZNS1_14partition_implILS5_6ELb0ES3_mN6thrust23THRUST_200600_302600_NS6detail15normal_iteratorINSA_10device_ptrItEEEEPS6_SG_NS0_5tupleIJSF_S6_EEENSH_IJSG_SG_EEES6_PlJNSB_9not_fun_tINSB_10functional5actorINSM_9compositeIJNSM_27transparent_binary_operatorINSA_8equal_toIvEEEENSN_INSM_8argumentILj0EEEEENSM_5valueItEEEEEEEEEEEE10hipError_tPvRmT3_T4_T5_T6_T7_T9_mT8_P12ihipStream_tbDpT10_ENKUlT_T0_E_clISt17integral_constantIbLb1EES1J_IbLb0EEEEDaS1F_S1G_EUlS1F_E_NS1_11comp_targetILNS1_3genE9ELNS1_11target_archE1100ELNS1_3gpuE3ELNS1_3repE0EEENS1_30default_config_static_selectorELNS0_4arch9wavefront6targetE0EEEvT1_.num_vgpr, 0
	.set _ZN7rocprim17ROCPRIM_400000_NS6detail17trampoline_kernelINS0_14default_configENS1_25partition_config_selectorILNS1_17partition_subalgoE6EtNS0_10empty_typeEbEEZZNS1_14partition_implILS5_6ELb0ES3_mN6thrust23THRUST_200600_302600_NS6detail15normal_iteratorINSA_10device_ptrItEEEEPS6_SG_NS0_5tupleIJSF_S6_EEENSH_IJSG_SG_EEES6_PlJNSB_9not_fun_tINSB_10functional5actorINSM_9compositeIJNSM_27transparent_binary_operatorINSA_8equal_toIvEEEENSN_INSM_8argumentILj0EEEEENSM_5valueItEEEEEEEEEEEE10hipError_tPvRmT3_T4_T5_T6_T7_T9_mT8_P12ihipStream_tbDpT10_ENKUlT_T0_E_clISt17integral_constantIbLb1EES1J_IbLb0EEEEDaS1F_S1G_EUlS1F_E_NS1_11comp_targetILNS1_3genE9ELNS1_11target_archE1100ELNS1_3gpuE3ELNS1_3repE0EEENS1_30default_config_static_selectorELNS0_4arch9wavefront6targetE0EEEvT1_.num_agpr, 0
	.set _ZN7rocprim17ROCPRIM_400000_NS6detail17trampoline_kernelINS0_14default_configENS1_25partition_config_selectorILNS1_17partition_subalgoE6EtNS0_10empty_typeEbEEZZNS1_14partition_implILS5_6ELb0ES3_mN6thrust23THRUST_200600_302600_NS6detail15normal_iteratorINSA_10device_ptrItEEEEPS6_SG_NS0_5tupleIJSF_S6_EEENSH_IJSG_SG_EEES6_PlJNSB_9not_fun_tINSB_10functional5actorINSM_9compositeIJNSM_27transparent_binary_operatorINSA_8equal_toIvEEEENSN_INSM_8argumentILj0EEEEENSM_5valueItEEEEEEEEEEEE10hipError_tPvRmT3_T4_T5_T6_T7_T9_mT8_P12ihipStream_tbDpT10_ENKUlT_T0_E_clISt17integral_constantIbLb1EES1J_IbLb0EEEEDaS1F_S1G_EUlS1F_E_NS1_11comp_targetILNS1_3genE9ELNS1_11target_archE1100ELNS1_3gpuE3ELNS1_3repE0EEENS1_30default_config_static_selectorELNS0_4arch9wavefront6targetE0EEEvT1_.numbered_sgpr, 0
	.set _ZN7rocprim17ROCPRIM_400000_NS6detail17trampoline_kernelINS0_14default_configENS1_25partition_config_selectorILNS1_17partition_subalgoE6EtNS0_10empty_typeEbEEZZNS1_14partition_implILS5_6ELb0ES3_mN6thrust23THRUST_200600_302600_NS6detail15normal_iteratorINSA_10device_ptrItEEEEPS6_SG_NS0_5tupleIJSF_S6_EEENSH_IJSG_SG_EEES6_PlJNSB_9not_fun_tINSB_10functional5actorINSM_9compositeIJNSM_27transparent_binary_operatorINSA_8equal_toIvEEEENSN_INSM_8argumentILj0EEEEENSM_5valueItEEEEEEEEEEEE10hipError_tPvRmT3_T4_T5_T6_T7_T9_mT8_P12ihipStream_tbDpT10_ENKUlT_T0_E_clISt17integral_constantIbLb1EES1J_IbLb0EEEEDaS1F_S1G_EUlS1F_E_NS1_11comp_targetILNS1_3genE9ELNS1_11target_archE1100ELNS1_3gpuE3ELNS1_3repE0EEENS1_30default_config_static_selectorELNS0_4arch9wavefront6targetE0EEEvT1_.num_named_barrier, 0
	.set _ZN7rocprim17ROCPRIM_400000_NS6detail17trampoline_kernelINS0_14default_configENS1_25partition_config_selectorILNS1_17partition_subalgoE6EtNS0_10empty_typeEbEEZZNS1_14partition_implILS5_6ELb0ES3_mN6thrust23THRUST_200600_302600_NS6detail15normal_iteratorINSA_10device_ptrItEEEEPS6_SG_NS0_5tupleIJSF_S6_EEENSH_IJSG_SG_EEES6_PlJNSB_9not_fun_tINSB_10functional5actorINSM_9compositeIJNSM_27transparent_binary_operatorINSA_8equal_toIvEEEENSN_INSM_8argumentILj0EEEEENSM_5valueItEEEEEEEEEEEE10hipError_tPvRmT3_T4_T5_T6_T7_T9_mT8_P12ihipStream_tbDpT10_ENKUlT_T0_E_clISt17integral_constantIbLb1EES1J_IbLb0EEEEDaS1F_S1G_EUlS1F_E_NS1_11comp_targetILNS1_3genE9ELNS1_11target_archE1100ELNS1_3gpuE3ELNS1_3repE0EEENS1_30default_config_static_selectorELNS0_4arch9wavefront6targetE0EEEvT1_.private_seg_size, 0
	.set _ZN7rocprim17ROCPRIM_400000_NS6detail17trampoline_kernelINS0_14default_configENS1_25partition_config_selectorILNS1_17partition_subalgoE6EtNS0_10empty_typeEbEEZZNS1_14partition_implILS5_6ELb0ES3_mN6thrust23THRUST_200600_302600_NS6detail15normal_iteratorINSA_10device_ptrItEEEEPS6_SG_NS0_5tupleIJSF_S6_EEENSH_IJSG_SG_EEES6_PlJNSB_9not_fun_tINSB_10functional5actorINSM_9compositeIJNSM_27transparent_binary_operatorINSA_8equal_toIvEEEENSN_INSM_8argumentILj0EEEEENSM_5valueItEEEEEEEEEEEE10hipError_tPvRmT3_T4_T5_T6_T7_T9_mT8_P12ihipStream_tbDpT10_ENKUlT_T0_E_clISt17integral_constantIbLb1EES1J_IbLb0EEEEDaS1F_S1G_EUlS1F_E_NS1_11comp_targetILNS1_3genE9ELNS1_11target_archE1100ELNS1_3gpuE3ELNS1_3repE0EEENS1_30default_config_static_selectorELNS0_4arch9wavefront6targetE0EEEvT1_.uses_vcc, 0
	.set _ZN7rocprim17ROCPRIM_400000_NS6detail17trampoline_kernelINS0_14default_configENS1_25partition_config_selectorILNS1_17partition_subalgoE6EtNS0_10empty_typeEbEEZZNS1_14partition_implILS5_6ELb0ES3_mN6thrust23THRUST_200600_302600_NS6detail15normal_iteratorINSA_10device_ptrItEEEEPS6_SG_NS0_5tupleIJSF_S6_EEENSH_IJSG_SG_EEES6_PlJNSB_9not_fun_tINSB_10functional5actorINSM_9compositeIJNSM_27transparent_binary_operatorINSA_8equal_toIvEEEENSN_INSM_8argumentILj0EEEEENSM_5valueItEEEEEEEEEEEE10hipError_tPvRmT3_T4_T5_T6_T7_T9_mT8_P12ihipStream_tbDpT10_ENKUlT_T0_E_clISt17integral_constantIbLb1EES1J_IbLb0EEEEDaS1F_S1G_EUlS1F_E_NS1_11comp_targetILNS1_3genE9ELNS1_11target_archE1100ELNS1_3gpuE3ELNS1_3repE0EEENS1_30default_config_static_selectorELNS0_4arch9wavefront6targetE0EEEvT1_.uses_flat_scratch, 0
	.set _ZN7rocprim17ROCPRIM_400000_NS6detail17trampoline_kernelINS0_14default_configENS1_25partition_config_selectorILNS1_17partition_subalgoE6EtNS0_10empty_typeEbEEZZNS1_14partition_implILS5_6ELb0ES3_mN6thrust23THRUST_200600_302600_NS6detail15normal_iteratorINSA_10device_ptrItEEEEPS6_SG_NS0_5tupleIJSF_S6_EEENSH_IJSG_SG_EEES6_PlJNSB_9not_fun_tINSB_10functional5actorINSM_9compositeIJNSM_27transparent_binary_operatorINSA_8equal_toIvEEEENSN_INSM_8argumentILj0EEEEENSM_5valueItEEEEEEEEEEEE10hipError_tPvRmT3_T4_T5_T6_T7_T9_mT8_P12ihipStream_tbDpT10_ENKUlT_T0_E_clISt17integral_constantIbLb1EES1J_IbLb0EEEEDaS1F_S1G_EUlS1F_E_NS1_11comp_targetILNS1_3genE9ELNS1_11target_archE1100ELNS1_3gpuE3ELNS1_3repE0EEENS1_30default_config_static_selectorELNS0_4arch9wavefront6targetE0EEEvT1_.has_dyn_sized_stack, 0
	.set _ZN7rocprim17ROCPRIM_400000_NS6detail17trampoline_kernelINS0_14default_configENS1_25partition_config_selectorILNS1_17partition_subalgoE6EtNS0_10empty_typeEbEEZZNS1_14partition_implILS5_6ELb0ES3_mN6thrust23THRUST_200600_302600_NS6detail15normal_iteratorINSA_10device_ptrItEEEEPS6_SG_NS0_5tupleIJSF_S6_EEENSH_IJSG_SG_EEES6_PlJNSB_9not_fun_tINSB_10functional5actorINSM_9compositeIJNSM_27transparent_binary_operatorINSA_8equal_toIvEEEENSN_INSM_8argumentILj0EEEEENSM_5valueItEEEEEEEEEEEE10hipError_tPvRmT3_T4_T5_T6_T7_T9_mT8_P12ihipStream_tbDpT10_ENKUlT_T0_E_clISt17integral_constantIbLb1EES1J_IbLb0EEEEDaS1F_S1G_EUlS1F_E_NS1_11comp_targetILNS1_3genE9ELNS1_11target_archE1100ELNS1_3gpuE3ELNS1_3repE0EEENS1_30default_config_static_selectorELNS0_4arch9wavefront6targetE0EEEvT1_.has_recursion, 0
	.set _ZN7rocprim17ROCPRIM_400000_NS6detail17trampoline_kernelINS0_14default_configENS1_25partition_config_selectorILNS1_17partition_subalgoE6EtNS0_10empty_typeEbEEZZNS1_14partition_implILS5_6ELb0ES3_mN6thrust23THRUST_200600_302600_NS6detail15normal_iteratorINSA_10device_ptrItEEEEPS6_SG_NS0_5tupleIJSF_S6_EEENSH_IJSG_SG_EEES6_PlJNSB_9not_fun_tINSB_10functional5actorINSM_9compositeIJNSM_27transparent_binary_operatorINSA_8equal_toIvEEEENSN_INSM_8argumentILj0EEEEENSM_5valueItEEEEEEEEEEEE10hipError_tPvRmT3_T4_T5_T6_T7_T9_mT8_P12ihipStream_tbDpT10_ENKUlT_T0_E_clISt17integral_constantIbLb1EES1J_IbLb0EEEEDaS1F_S1G_EUlS1F_E_NS1_11comp_targetILNS1_3genE9ELNS1_11target_archE1100ELNS1_3gpuE3ELNS1_3repE0EEENS1_30default_config_static_selectorELNS0_4arch9wavefront6targetE0EEEvT1_.has_indirect_call, 0
	.section	.AMDGPU.csdata,"",@progbits
; Kernel info:
; codeLenInByte = 0
; TotalNumSgprs: 0
; NumVgprs: 0
; ScratchSize: 0
; MemoryBound: 0
; FloatMode: 240
; IeeeMode: 1
; LDSByteSize: 0 bytes/workgroup (compile time only)
; SGPRBlocks: 0
; VGPRBlocks: 0
; NumSGPRsForWavesPerEU: 1
; NumVGPRsForWavesPerEU: 1
; Occupancy: 16
; WaveLimiterHint : 0
; COMPUTE_PGM_RSRC2:SCRATCH_EN: 0
; COMPUTE_PGM_RSRC2:USER_SGPR: 2
; COMPUTE_PGM_RSRC2:TRAP_HANDLER: 0
; COMPUTE_PGM_RSRC2:TGID_X_EN: 1
; COMPUTE_PGM_RSRC2:TGID_Y_EN: 0
; COMPUTE_PGM_RSRC2:TGID_Z_EN: 0
; COMPUTE_PGM_RSRC2:TIDIG_COMP_CNT: 0
	.section	.text._ZN7rocprim17ROCPRIM_400000_NS6detail17trampoline_kernelINS0_14default_configENS1_25partition_config_selectorILNS1_17partition_subalgoE6EtNS0_10empty_typeEbEEZZNS1_14partition_implILS5_6ELb0ES3_mN6thrust23THRUST_200600_302600_NS6detail15normal_iteratorINSA_10device_ptrItEEEEPS6_SG_NS0_5tupleIJSF_S6_EEENSH_IJSG_SG_EEES6_PlJNSB_9not_fun_tINSB_10functional5actorINSM_9compositeIJNSM_27transparent_binary_operatorINSA_8equal_toIvEEEENSN_INSM_8argumentILj0EEEEENSM_5valueItEEEEEEEEEEEE10hipError_tPvRmT3_T4_T5_T6_T7_T9_mT8_P12ihipStream_tbDpT10_ENKUlT_T0_E_clISt17integral_constantIbLb1EES1J_IbLb0EEEEDaS1F_S1G_EUlS1F_E_NS1_11comp_targetILNS1_3genE8ELNS1_11target_archE1030ELNS1_3gpuE2ELNS1_3repE0EEENS1_30default_config_static_selectorELNS0_4arch9wavefront6targetE0EEEvT1_,"axG",@progbits,_ZN7rocprim17ROCPRIM_400000_NS6detail17trampoline_kernelINS0_14default_configENS1_25partition_config_selectorILNS1_17partition_subalgoE6EtNS0_10empty_typeEbEEZZNS1_14partition_implILS5_6ELb0ES3_mN6thrust23THRUST_200600_302600_NS6detail15normal_iteratorINSA_10device_ptrItEEEEPS6_SG_NS0_5tupleIJSF_S6_EEENSH_IJSG_SG_EEES6_PlJNSB_9not_fun_tINSB_10functional5actorINSM_9compositeIJNSM_27transparent_binary_operatorINSA_8equal_toIvEEEENSN_INSM_8argumentILj0EEEEENSM_5valueItEEEEEEEEEEEE10hipError_tPvRmT3_T4_T5_T6_T7_T9_mT8_P12ihipStream_tbDpT10_ENKUlT_T0_E_clISt17integral_constantIbLb1EES1J_IbLb0EEEEDaS1F_S1G_EUlS1F_E_NS1_11comp_targetILNS1_3genE8ELNS1_11target_archE1030ELNS1_3gpuE2ELNS1_3repE0EEENS1_30default_config_static_selectorELNS0_4arch9wavefront6targetE0EEEvT1_,comdat
	.protected	_ZN7rocprim17ROCPRIM_400000_NS6detail17trampoline_kernelINS0_14default_configENS1_25partition_config_selectorILNS1_17partition_subalgoE6EtNS0_10empty_typeEbEEZZNS1_14partition_implILS5_6ELb0ES3_mN6thrust23THRUST_200600_302600_NS6detail15normal_iteratorINSA_10device_ptrItEEEEPS6_SG_NS0_5tupleIJSF_S6_EEENSH_IJSG_SG_EEES6_PlJNSB_9not_fun_tINSB_10functional5actorINSM_9compositeIJNSM_27transparent_binary_operatorINSA_8equal_toIvEEEENSN_INSM_8argumentILj0EEEEENSM_5valueItEEEEEEEEEEEE10hipError_tPvRmT3_T4_T5_T6_T7_T9_mT8_P12ihipStream_tbDpT10_ENKUlT_T0_E_clISt17integral_constantIbLb1EES1J_IbLb0EEEEDaS1F_S1G_EUlS1F_E_NS1_11comp_targetILNS1_3genE8ELNS1_11target_archE1030ELNS1_3gpuE2ELNS1_3repE0EEENS1_30default_config_static_selectorELNS0_4arch9wavefront6targetE0EEEvT1_ ; -- Begin function _ZN7rocprim17ROCPRIM_400000_NS6detail17trampoline_kernelINS0_14default_configENS1_25partition_config_selectorILNS1_17partition_subalgoE6EtNS0_10empty_typeEbEEZZNS1_14partition_implILS5_6ELb0ES3_mN6thrust23THRUST_200600_302600_NS6detail15normal_iteratorINSA_10device_ptrItEEEEPS6_SG_NS0_5tupleIJSF_S6_EEENSH_IJSG_SG_EEES6_PlJNSB_9not_fun_tINSB_10functional5actorINSM_9compositeIJNSM_27transparent_binary_operatorINSA_8equal_toIvEEEENSN_INSM_8argumentILj0EEEEENSM_5valueItEEEEEEEEEEEE10hipError_tPvRmT3_T4_T5_T6_T7_T9_mT8_P12ihipStream_tbDpT10_ENKUlT_T0_E_clISt17integral_constantIbLb1EES1J_IbLb0EEEEDaS1F_S1G_EUlS1F_E_NS1_11comp_targetILNS1_3genE8ELNS1_11target_archE1030ELNS1_3gpuE2ELNS1_3repE0EEENS1_30default_config_static_selectorELNS0_4arch9wavefront6targetE0EEEvT1_
	.globl	_ZN7rocprim17ROCPRIM_400000_NS6detail17trampoline_kernelINS0_14default_configENS1_25partition_config_selectorILNS1_17partition_subalgoE6EtNS0_10empty_typeEbEEZZNS1_14partition_implILS5_6ELb0ES3_mN6thrust23THRUST_200600_302600_NS6detail15normal_iteratorINSA_10device_ptrItEEEEPS6_SG_NS0_5tupleIJSF_S6_EEENSH_IJSG_SG_EEES6_PlJNSB_9not_fun_tINSB_10functional5actorINSM_9compositeIJNSM_27transparent_binary_operatorINSA_8equal_toIvEEEENSN_INSM_8argumentILj0EEEEENSM_5valueItEEEEEEEEEEEE10hipError_tPvRmT3_T4_T5_T6_T7_T9_mT8_P12ihipStream_tbDpT10_ENKUlT_T0_E_clISt17integral_constantIbLb1EES1J_IbLb0EEEEDaS1F_S1G_EUlS1F_E_NS1_11comp_targetILNS1_3genE8ELNS1_11target_archE1030ELNS1_3gpuE2ELNS1_3repE0EEENS1_30default_config_static_selectorELNS0_4arch9wavefront6targetE0EEEvT1_
	.p2align	8
	.type	_ZN7rocprim17ROCPRIM_400000_NS6detail17trampoline_kernelINS0_14default_configENS1_25partition_config_selectorILNS1_17partition_subalgoE6EtNS0_10empty_typeEbEEZZNS1_14partition_implILS5_6ELb0ES3_mN6thrust23THRUST_200600_302600_NS6detail15normal_iteratorINSA_10device_ptrItEEEEPS6_SG_NS0_5tupleIJSF_S6_EEENSH_IJSG_SG_EEES6_PlJNSB_9not_fun_tINSB_10functional5actorINSM_9compositeIJNSM_27transparent_binary_operatorINSA_8equal_toIvEEEENSN_INSM_8argumentILj0EEEEENSM_5valueItEEEEEEEEEEEE10hipError_tPvRmT3_T4_T5_T6_T7_T9_mT8_P12ihipStream_tbDpT10_ENKUlT_T0_E_clISt17integral_constantIbLb1EES1J_IbLb0EEEEDaS1F_S1G_EUlS1F_E_NS1_11comp_targetILNS1_3genE8ELNS1_11target_archE1030ELNS1_3gpuE2ELNS1_3repE0EEENS1_30default_config_static_selectorELNS0_4arch9wavefront6targetE0EEEvT1_,@function
_ZN7rocprim17ROCPRIM_400000_NS6detail17trampoline_kernelINS0_14default_configENS1_25partition_config_selectorILNS1_17partition_subalgoE6EtNS0_10empty_typeEbEEZZNS1_14partition_implILS5_6ELb0ES3_mN6thrust23THRUST_200600_302600_NS6detail15normal_iteratorINSA_10device_ptrItEEEEPS6_SG_NS0_5tupleIJSF_S6_EEENSH_IJSG_SG_EEES6_PlJNSB_9not_fun_tINSB_10functional5actorINSM_9compositeIJNSM_27transparent_binary_operatorINSA_8equal_toIvEEEENSN_INSM_8argumentILj0EEEEENSM_5valueItEEEEEEEEEEEE10hipError_tPvRmT3_T4_T5_T6_T7_T9_mT8_P12ihipStream_tbDpT10_ENKUlT_T0_E_clISt17integral_constantIbLb1EES1J_IbLb0EEEEDaS1F_S1G_EUlS1F_E_NS1_11comp_targetILNS1_3genE8ELNS1_11target_archE1030ELNS1_3gpuE2ELNS1_3repE0EEENS1_30default_config_static_selectorELNS0_4arch9wavefront6targetE0EEEvT1_: ; @_ZN7rocprim17ROCPRIM_400000_NS6detail17trampoline_kernelINS0_14default_configENS1_25partition_config_selectorILNS1_17partition_subalgoE6EtNS0_10empty_typeEbEEZZNS1_14partition_implILS5_6ELb0ES3_mN6thrust23THRUST_200600_302600_NS6detail15normal_iteratorINSA_10device_ptrItEEEEPS6_SG_NS0_5tupleIJSF_S6_EEENSH_IJSG_SG_EEES6_PlJNSB_9not_fun_tINSB_10functional5actorINSM_9compositeIJNSM_27transparent_binary_operatorINSA_8equal_toIvEEEENSN_INSM_8argumentILj0EEEEENSM_5valueItEEEEEEEEEEEE10hipError_tPvRmT3_T4_T5_T6_T7_T9_mT8_P12ihipStream_tbDpT10_ENKUlT_T0_E_clISt17integral_constantIbLb1EES1J_IbLb0EEEEDaS1F_S1G_EUlS1F_E_NS1_11comp_targetILNS1_3genE8ELNS1_11target_archE1030ELNS1_3gpuE2ELNS1_3repE0EEENS1_30default_config_static_selectorELNS0_4arch9wavefront6targetE0EEEvT1_
; %bb.0:
	.section	.rodata,"a",@progbits
	.p2align	6, 0x0
	.amdhsa_kernel _ZN7rocprim17ROCPRIM_400000_NS6detail17trampoline_kernelINS0_14default_configENS1_25partition_config_selectorILNS1_17partition_subalgoE6EtNS0_10empty_typeEbEEZZNS1_14partition_implILS5_6ELb0ES3_mN6thrust23THRUST_200600_302600_NS6detail15normal_iteratorINSA_10device_ptrItEEEEPS6_SG_NS0_5tupleIJSF_S6_EEENSH_IJSG_SG_EEES6_PlJNSB_9not_fun_tINSB_10functional5actorINSM_9compositeIJNSM_27transparent_binary_operatorINSA_8equal_toIvEEEENSN_INSM_8argumentILj0EEEEENSM_5valueItEEEEEEEEEEEE10hipError_tPvRmT3_T4_T5_T6_T7_T9_mT8_P12ihipStream_tbDpT10_ENKUlT_T0_E_clISt17integral_constantIbLb1EES1J_IbLb0EEEEDaS1F_S1G_EUlS1F_E_NS1_11comp_targetILNS1_3genE8ELNS1_11target_archE1030ELNS1_3gpuE2ELNS1_3repE0EEENS1_30default_config_static_selectorELNS0_4arch9wavefront6targetE0EEEvT1_
		.amdhsa_group_segment_fixed_size 0
		.amdhsa_private_segment_fixed_size 0
		.amdhsa_kernarg_size 120
		.amdhsa_user_sgpr_count 2
		.amdhsa_user_sgpr_dispatch_ptr 0
		.amdhsa_user_sgpr_queue_ptr 0
		.amdhsa_user_sgpr_kernarg_segment_ptr 1
		.amdhsa_user_sgpr_dispatch_id 0
		.amdhsa_user_sgpr_private_segment_size 0
		.amdhsa_wavefront_size32 1
		.amdhsa_uses_dynamic_stack 0
		.amdhsa_enable_private_segment 0
		.amdhsa_system_sgpr_workgroup_id_x 1
		.amdhsa_system_sgpr_workgroup_id_y 0
		.amdhsa_system_sgpr_workgroup_id_z 0
		.amdhsa_system_sgpr_workgroup_info 0
		.amdhsa_system_vgpr_workitem_id 0
		.amdhsa_next_free_vgpr 1
		.amdhsa_next_free_sgpr 1
		.amdhsa_reserve_vcc 0
		.amdhsa_float_round_mode_32 0
		.amdhsa_float_round_mode_16_64 0
		.amdhsa_float_denorm_mode_32 3
		.amdhsa_float_denorm_mode_16_64 3
		.amdhsa_fp16_overflow 0
		.amdhsa_workgroup_processor_mode 1
		.amdhsa_memory_ordered 1
		.amdhsa_forward_progress 1
		.amdhsa_inst_pref_size 0
		.amdhsa_round_robin_scheduling 0
		.amdhsa_exception_fp_ieee_invalid_op 0
		.amdhsa_exception_fp_denorm_src 0
		.amdhsa_exception_fp_ieee_div_zero 0
		.amdhsa_exception_fp_ieee_overflow 0
		.amdhsa_exception_fp_ieee_underflow 0
		.amdhsa_exception_fp_ieee_inexact 0
		.amdhsa_exception_int_div_zero 0
	.end_amdhsa_kernel
	.section	.text._ZN7rocprim17ROCPRIM_400000_NS6detail17trampoline_kernelINS0_14default_configENS1_25partition_config_selectorILNS1_17partition_subalgoE6EtNS0_10empty_typeEbEEZZNS1_14partition_implILS5_6ELb0ES3_mN6thrust23THRUST_200600_302600_NS6detail15normal_iteratorINSA_10device_ptrItEEEEPS6_SG_NS0_5tupleIJSF_S6_EEENSH_IJSG_SG_EEES6_PlJNSB_9not_fun_tINSB_10functional5actorINSM_9compositeIJNSM_27transparent_binary_operatorINSA_8equal_toIvEEEENSN_INSM_8argumentILj0EEEEENSM_5valueItEEEEEEEEEEEE10hipError_tPvRmT3_T4_T5_T6_T7_T9_mT8_P12ihipStream_tbDpT10_ENKUlT_T0_E_clISt17integral_constantIbLb1EES1J_IbLb0EEEEDaS1F_S1G_EUlS1F_E_NS1_11comp_targetILNS1_3genE8ELNS1_11target_archE1030ELNS1_3gpuE2ELNS1_3repE0EEENS1_30default_config_static_selectorELNS0_4arch9wavefront6targetE0EEEvT1_,"axG",@progbits,_ZN7rocprim17ROCPRIM_400000_NS6detail17trampoline_kernelINS0_14default_configENS1_25partition_config_selectorILNS1_17partition_subalgoE6EtNS0_10empty_typeEbEEZZNS1_14partition_implILS5_6ELb0ES3_mN6thrust23THRUST_200600_302600_NS6detail15normal_iteratorINSA_10device_ptrItEEEEPS6_SG_NS0_5tupleIJSF_S6_EEENSH_IJSG_SG_EEES6_PlJNSB_9not_fun_tINSB_10functional5actorINSM_9compositeIJNSM_27transparent_binary_operatorINSA_8equal_toIvEEEENSN_INSM_8argumentILj0EEEEENSM_5valueItEEEEEEEEEEEE10hipError_tPvRmT3_T4_T5_T6_T7_T9_mT8_P12ihipStream_tbDpT10_ENKUlT_T0_E_clISt17integral_constantIbLb1EES1J_IbLb0EEEEDaS1F_S1G_EUlS1F_E_NS1_11comp_targetILNS1_3genE8ELNS1_11target_archE1030ELNS1_3gpuE2ELNS1_3repE0EEENS1_30default_config_static_selectorELNS0_4arch9wavefront6targetE0EEEvT1_,comdat
.Lfunc_end169:
	.size	_ZN7rocprim17ROCPRIM_400000_NS6detail17trampoline_kernelINS0_14default_configENS1_25partition_config_selectorILNS1_17partition_subalgoE6EtNS0_10empty_typeEbEEZZNS1_14partition_implILS5_6ELb0ES3_mN6thrust23THRUST_200600_302600_NS6detail15normal_iteratorINSA_10device_ptrItEEEEPS6_SG_NS0_5tupleIJSF_S6_EEENSH_IJSG_SG_EEES6_PlJNSB_9not_fun_tINSB_10functional5actorINSM_9compositeIJNSM_27transparent_binary_operatorINSA_8equal_toIvEEEENSN_INSM_8argumentILj0EEEEENSM_5valueItEEEEEEEEEEEE10hipError_tPvRmT3_T4_T5_T6_T7_T9_mT8_P12ihipStream_tbDpT10_ENKUlT_T0_E_clISt17integral_constantIbLb1EES1J_IbLb0EEEEDaS1F_S1G_EUlS1F_E_NS1_11comp_targetILNS1_3genE8ELNS1_11target_archE1030ELNS1_3gpuE2ELNS1_3repE0EEENS1_30default_config_static_selectorELNS0_4arch9wavefront6targetE0EEEvT1_, .Lfunc_end169-_ZN7rocprim17ROCPRIM_400000_NS6detail17trampoline_kernelINS0_14default_configENS1_25partition_config_selectorILNS1_17partition_subalgoE6EtNS0_10empty_typeEbEEZZNS1_14partition_implILS5_6ELb0ES3_mN6thrust23THRUST_200600_302600_NS6detail15normal_iteratorINSA_10device_ptrItEEEEPS6_SG_NS0_5tupleIJSF_S6_EEENSH_IJSG_SG_EEES6_PlJNSB_9not_fun_tINSB_10functional5actorINSM_9compositeIJNSM_27transparent_binary_operatorINSA_8equal_toIvEEEENSN_INSM_8argumentILj0EEEEENSM_5valueItEEEEEEEEEEEE10hipError_tPvRmT3_T4_T5_T6_T7_T9_mT8_P12ihipStream_tbDpT10_ENKUlT_T0_E_clISt17integral_constantIbLb1EES1J_IbLb0EEEEDaS1F_S1G_EUlS1F_E_NS1_11comp_targetILNS1_3genE8ELNS1_11target_archE1030ELNS1_3gpuE2ELNS1_3repE0EEENS1_30default_config_static_selectorELNS0_4arch9wavefront6targetE0EEEvT1_
                                        ; -- End function
	.set _ZN7rocprim17ROCPRIM_400000_NS6detail17trampoline_kernelINS0_14default_configENS1_25partition_config_selectorILNS1_17partition_subalgoE6EtNS0_10empty_typeEbEEZZNS1_14partition_implILS5_6ELb0ES3_mN6thrust23THRUST_200600_302600_NS6detail15normal_iteratorINSA_10device_ptrItEEEEPS6_SG_NS0_5tupleIJSF_S6_EEENSH_IJSG_SG_EEES6_PlJNSB_9not_fun_tINSB_10functional5actorINSM_9compositeIJNSM_27transparent_binary_operatorINSA_8equal_toIvEEEENSN_INSM_8argumentILj0EEEEENSM_5valueItEEEEEEEEEEEE10hipError_tPvRmT3_T4_T5_T6_T7_T9_mT8_P12ihipStream_tbDpT10_ENKUlT_T0_E_clISt17integral_constantIbLb1EES1J_IbLb0EEEEDaS1F_S1G_EUlS1F_E_NS1_11comp_targetILNS1_3genE8ELNS1_11target_archE1030ELNS1_3gpuE2ELNS1_3repE0EEENS1_30default_config_static_selectorELNS0_4arch9wavefront6targetE0EEEvT1_.num_vgpr, 0
	.set _ZN7rocprim17ROCPRIM_400000_NS6detail17trampoline_kernelINS0_14default_configENS1_25partition_config_selectorILNS1_17partition_subalgoE6EtNS0_10empty_typeEbEEZZNS1_14partition_implILS5_6ELb0ES3_mN6thrust23THRUST_200600_302600_NS6detail15normal_iteratorINSA_10device_ptrItEEEEPS6_SG_NS0_5tupleIJSF_S6_EEENSH_IJSG_SG_EEES6_PlJNSB_9not_fun_tINSB_10functional5actorINSM_9compositeIJNSM_27transparent_binary_operatorINSA_8equal_toIvEEEENSN_INSM_8argumentILj0EEEEENSM_5valueItEEEEEEEEEEEE10hipError_tPvRmT3_T4_T5_T6_T7_T9_mT8_P12ihipStream_tbDpT10_ENKUlT_T0_E_clISt17integral_constantIbLb1EES1J_IbLb0EEEEDaS1F_S1G_EUlS1F_E_NS1_11comp_targetILNS1_3genE8ELNS1_11target_archE1030ELNS1_3gpuE2ELNS1_3repE0EEENS1_30default_config_static_selectorELNS0_4arch9wavefront6targetE0EEEvT1_.num_agpr, 0
	.set _ZN7rocprim17ROCPRIM_400000_NS6detail17trampoline_kernelINS0_14default_configENS1_25partition_config_selectorILNS1_17partition_subalgoE6EtNS0_10empty_typeEbEEZZNS1_14partition_implILS5_6ELb0ES3_mN6thrust23THRUST_200600_302600_NS6detail15normal_iteratorINSA_10device_ptrItEEEEPS6_SG_NS0_5tupleIJSF_S6_EEENSH_IJSG_SG_EEES6_PlJNSB_9not_fun_tINSB_10functional5actorINSM_9compositeIJNSM_27transparent_binary_operatorINSA_8equal_toIvEEEENSN_INSM_8argumentILj0EEEEENSM_5valueItEEEEEEEEEEEE10hipError_tPvRmT3_T4_T5_T6_T7_T9_mT8_P12ihipStream_tbDpT10_ENKUlT_T0_E_clISt17integral_constantIbLb1EES1J_IbLb0EEEEDaS1F_S1G_EUlS1F_E_NS1_11comp_targetILNS1_3genE8ELNS1_11target_archE1030ELNS1_3gpuE2ELNS1_3repE0EEENS1_30default_config_static_selectorELNS0_4arch9wavefront6targetE0EEEvT1_.numbered_sgpr, 0
	.set _ZN7rocprim17ROCPRIM_400000_NS6detail17trampoline_kernelINS0_14default_configENS1_25partition_config_selectorILNS1_17partition_subalgoE6EtNS0_10empty_typeEbEEZZNS1_14partition_implILS5_6ELb0ES3_mN6thrust23THRUST_200600_302600_NS6detail15normal_iteratorINSA_10device_ptrItEEEEPS6_SG_NS0_5tupleIJSF_S6_EEENSH_IJSG_SG_EEES6_PlJNSB_9not_fun_tINSB_10functional5actorINSM_9compositeIJNSM_27transparent_binary_operatorINSA_8equal_toIvEEEENSN_INSM_8argumentILj0EEEEENSM_5valueItEEEEEEEEEEEE10hipError_tPvRmT3_T4_T5_T6_T7_T9_mT8_P12ihipStream_tbDpT10_ENKUlT_T0_E_clISt17integral_constantIbLb1EES1J_IbLb0EEEEDaS1F_S1G_EUlS1F_E_NS1_11comp_targetILNS1_3genE8ELNS1_11target_archE1030ELNS1_3gpuE2ELNS1_3repE0EEENS1_30default_config_static_selectorELNS0_4arch9wavefront6targetE0EEEvT1_.num_named_barrier, 0
	.set _ZN7rocprim17ROCPRIM_400000_NS6detail17trampoline_kernelINS0_14default_configENS1_25partition_config_selectorILNS1_17partition_subalgoE6EtNS0_10empty_typeEbEEZZNS1_14partition_implILS5_6ELb0ES3_mN6thrust23THRUST_200600_302600_NS6detail15normal_iteratorINSA_10device_ptrItEEEEPS6_SG_NS0_5tupleIJSF_S6_EEENSH_IJSG_SG_EEES6_PlJNSB_9not_fun_tINSB_10functional5actorINSM_9compositeIJNSM_27transparent_binary_operatorINSA_8equal_toIvEEEENSN_INSM_8argumentILj0EEEEENSM_5valueItEEEEEEEEEEEE10hipError_tPvRmT3_T4_T5_T6_T7_T9_mT8_P12ihipStream_tbDpT10_ENKUlT_T0_E_clISt17integral_constantIbLb1EES1J_IbLb0EEEEDaS1F_S1G_EUlS1F_E_NS1_11comp_targetILNS1_3genE8ELNS1_11target_archE1030ELNS1_3gpuE2ELNS1_3repE0EEENS1_30default_config_static_selectorELNS0_4arch9wavefront6targetE0EEEvT1_.private_seg_size, 0
	.set _ZN7rocprim17ROCPRIM_400000_NS6detail17trampoline_kernelINS0_14default_configENS1_25partition_config_selectorILNS1_17partition_subalgoE6EtNS0_10empty_typeEbEEZZNS1_14partition_implILS5_6ELb0ES3_mN6thrust23THRUST_200600_302600_NS6detail15normal_iteratorINSA_10device_ptrItEEEEPS6_SG_NS0_5tupleIJSF_S6_EEENSH_IJSG_SG_EEES6_PlJNSB_9not_fun_tINSB_10functional5actorINSM_9compositeIJNSM_27transparent_binary_operatorINSA_8equal_toIvEEEENSN_INSM_8argumentILj0EEEEENSM_5valueItEEEEEEEEEEEE10hipError_tPvRmT3_T4_T5_T6_T7_T9_mT8_P12ihipStream_tbDpT10_ENKUlT_T0_E_clISt17integral_constantIbLb1EES1J_IbLb0EEEEDaS1F_S1G_EUlS1F_E_NS1_11comp_targetILNS1_3genE8ELNS1_11target_archE1030ELNS1_3gpuE2ELNS1_3repE0EEENS1_30default_config_static_selectorELNS0_4arch9wavefront6targetE0EEEvT1_.uses_vcc, 0
	.set _ZN7rocprim17ROCPRIM_400000_NS6detail17trampoline_kernelINS0_14default_configENS1_25partition_config_selectorILNS1_17partition_subalgoE6EtNS0_10empty_typeEbEEZZNS1_14partition_implILS5_6ELb0ES3_mN6thrust23THRUST_200600_302600_NS6detail15normal_iteratorINSA_10device_ptrItEEEEPS6_SG_NS0_5tupleIJSF_S6_EEENSH_IJSG_SG_EEES6_PlJNSB_9not_fun_tINSB_10functional5actorINSM_9compositeIJNSM_27transparent_binary_operatorINSA_8equal_toIvEEEENSN_INSM_8argumentILj0EEEEENSM_5valueItEEEEEEEEEEEE10hipError_tPvRmT3_T4_T5_T6_T7_T9_mT8_P12ihipStream_tbDpT10_ENKUlT_T0_E_clISt17integral_constantIbLb1EES1J_IbLb0EEEEDaS1F_S1G_EUlS1F_E_NS1_11comp_targetILNS1_3genE8ELNS1_11target_archE1030ELNS1_3gpuE2ELNS1_3repE0EEENS1_30default_config_static_selectorELNS0_4arch9wavefront6targetE0EEEvT1_.uses_flat_scratch, 0
	.set _ZN7rocprim17ROCPRIM_400000_NS6detail17trampoline_kernelINS0_14default_configENS1_25partition_config_selectorILNS1_17partition_subalgoE6EtNS0_10empty_typeEbEEZZNS1_14partition_implILS5_6ELb0ES3_mN6thrust23THRUST_200600_302600_NS6detail15normal_iteratorINSA_10device_ptrItEEEEPS6_SG_NS0_5tupleIJSF_S6_EEENSH_IJSG_SG_EEES6_PlJNSB_9not_fun_tINSB_10functional5actorINSM_9compositeIJNSM_27transparent_binary_operatorINSA_8equal_toIvEEEENSN_INSM_8argumentILj0EEEEENSM_5valueItEEEEEEEEEEEE10hipError_tPvRmT3_T4_T5_T6_T7_T9_mT8_P12ihipStream_tbDpT10_ENKUlT_T0_E_clISt17integral_constantIbLb1EES1J_IbLb0EEEEDaS1F_S1G_EUlS1F_E_NS1_11comp_targetILNS1_3genE8ELNS1_11target_archE1030ELNS1_3gpuE2ELNS1_3repE0EEENS1_30default_config_static_selectorELNS0_4arch9wavefront6targetE0EEEvT1_.has_dyn_sized_stack, 0
	.set _ZN7rocprim17ROCPRIM_400000_NS6detail17trampoline_kernelINS0_14default_configENS1_25partition_config_selectorILNS1_17partition_subalgoE6EtNS0_10empty_typeEbEEZZNS1_14partition_implILS5_6ELb0ES3_mN6thrust23THRUST_200600_302600_NS6detail15normal_iteratorINSA_10device_ptrItEEEEPS6_SG_NS0_5tupleIJSF_S6_EEENSH_IJSG_SG_EEES6_PlJNSB_9not_fun_tINSB_10functional5actorINSM_9compositeIJNSM_27transparent_binary_operatorINSA_8equal_toIvEEEENSN_INSM_8argumentILj0EEEEENSM_5valueItEEEEEEEEEEEE10hipError_tPvRmT3_T4_T5_T6_T7_T9_mT8_P12ihipStream_tbDpT10_ENKUlT_T0_E_clISt17integral_constantIbLb1EES1J_IbLb0EEEEDaS1F_S1G_EUlS1F_E_NS1_11comp_targetILNS1_3genE8ELNS1_11target_archE1030ELNS1_3gpuE2ELNS1_3repE0EEENS1_30default_config_static_selectorELNS0_4arch9wavefront6targetE0EEEvT1_.has_recursion, 0
	.set _ZN7rocprim17ROCPRIM_400000_NS6detail17trampoline_kernelINS0_14default_configENS1_25partition_config_selectorILNS1_17partition_subalgoE6EtNS0_10empty_typeEbEEZZNS1_14partition_implILS5_6ELb0ES3_mN6thrust23THRUST_200600_302600_NS6detail15normal_iteratorINSA_10device_ptrItEEEEPS6_SG_NS0_5tupleIJSF_S6_EEENSH_IJSG_SG_EEES6_PlJNSB_9not_fun_tINSB_10functional5actorINSM_9compositeIJNSM_27transparent_binary_operatorINSA_8equal_toIvEEEENSN_INSM_8argumentILj0EEEEENSM_5valueItEEEEEEEEEEEE10hipError_tPvRmT3_T4_T5_T6_T7_T9_mT8_P12ihipStream_tbDpT10_ENKUlT_T0_E_clISt17integral_constantIbLb1EES1J_IbLb0EEEEDaS1F_S1G_EUlS1F_E_NS1_11comp_targetILNS1_3genE8ELNS1_11target_archE1030ELNS1_3gpuE2ELNS1_3repE0EEENS1_30default_config_static_selectorELNS0_4arch9wavefront6targetE0EEEvT1_.has_indirect_call, 0
	.section	.AMDGPU.csdata,"",@progbits
; Kernel info:
; codeLenInByte = 0
; TotalNumSgprs: 0
; NumVgprs: 0
; ScratchSize: 0
; MemoryBound: 0
; FloatMode: 240
; IeeeMode: 1
; LDSByteSize: 0 bytes/workgroup (compile time only)
; SGPRBlocks: 0
; VGPRBlocks: 0
; NumSGPRsForWavesPerEU: 1
; NumVGPRsForWavesPerEU: 1
; Occupancy: 16
; WaveLimiterHint : 0
; COMPUTE_PGM_RSRC2:SCRATCH_EN: 0
; COMPUTE_PGM_RSRC2:USER_SGPR: 2
; COMPUTE_PGM_RSRC2:TRAP_HANDLER: 0
; COMPUTE_PGM_RSRC2:TGID_X_EN: 1
; COMPUTE_PGM_RSRC2:TGID_Y_EN: 0
; COMPUTE_PGM_RSRC2:TGID_Z_EN: 0
; COMPUTE_PGM_RSRC2:TIDIG_COMP_CNT: 0
	.section	.text._ZN7rocprim17ROCPRIM_400000_NS6detail17trampoline_kernelINS0_14default_configENS1_25partition_config_selectorILNS1_17partition_subalgoE6EtNS0_10empty_typeEbEEZZNS1_14partition_implILS5_6ELb0ES3_mN6thrust23THRUST_200600_302600_NS6detail15normal_iteratorINSA_10device_ptrItEEEEPS6_SG_NS0_5tupleIJSF_S6_EEENSH_IJSG_SG_EEES6_PlJNSB_9not_fun_tINSB_10functional5actorINSM_9compositeIJNSM_27transparent_binary_operatorINSA_8equal_toIvEEEENSN_INSM_8argumentILj0EEEEENSM_5valueItEEEEEEEEEEEE10hipError_tPvRmT3_T4_T5_T6_T7_T9_mT8_P12ihipStream_tbDpT10_ENKUlT_T0_E_clISt17integral_constantIbLb0EES1J_IbLb1EEEEDaS1F_S1G_EUlS1F_E_NS1_11comp_targetILNS1_3genE0ELNS1_11target_archE4294967295ELNS1_3gpuE0ELNS1_3repE0EEENS1_30default_config_static_selectorELNS0_4arch9wavefront6targetE0EEEvT1_,"axG",@progbits,_ZN7rocprim17ROCPRIM_400000_NS6detail17trampoline_kernelINS0_14default_configENS1_25partition_config_selectorILNS1_17partition_subalgoE6EtNS0_10empty_typeEbEEZZNS1_14partition_implILS5_6ELb0ES3_mN6thrust23THRUST_200600_302600_NS6detail15normal_iteratorINSA_10device_ptrItEEEEPS6_SG_NS0_5tupleIJSF_S6_EEENSH_IJSG_SG_EEES6_PlJNSB_9not_fun_tINSB_10functional5actorINSM_9compositeIJNSM_27transparent_binary_operatorINSA_8equal_toIvEEEENSN_INSM_8argumentILj0EEEEENSM_5valueItEEEEEEEEEEEE10hipError_tPvRmT3_T4_T5_T6_T7_T9_mT8_P12ihipStream_tbDpT10_ENKUlT_T0_E_clISt17integral_constantIbLb0EES1J_IbLb1EEEEDaS1F_S1G_EUlS1F_E_NS1_11comp_targetILNS1_3genE0ELNS1_11target_archE4294967295ELNS1_3gpuE0ELNS1_3repE0EEENS1_30default_config_static_selectorELNS0_4arch9wavefront6targetE0EEEvT1_,comdat
	.protected	_ZN7rocprim17ROCPRIM_400000_NS6detail17trampoline_kernelINS0_14default_configENS1_25partition_config_selectorILNS1_17partition_subalgoE6EtNS0_10empty_typeEbEEZZNS1_14partition_implILS5_6ELb0ES3_mN6thrust23THRUST_200600_302600_NS6detail15normal_iteratorINSA_10device_ptrItEEEEPS6_SG_NS0_5tupleIJSF_S6_EEENSH_IJSG_SG_EEES6_PlJNSB_9not_fun_tINSB_10functional5actorINSM_9compositeIJNSM_27transparent_binary_operatorINSA_8equal_toIvEEEENSN_INSM_8argumentILj0EEEEENSM_5valueItEEEEEEEEEEEE10hipError_tPvRmT3_T4_T5_T6_T7_T9_mT8_P12ihipStream_tbDpT10_ENKUlT_T0_E_clISt17integral_constantIbLb0EES1J_IbLb1EEEEDaS1F_S1G_EUlS1F_E_NS1_11comp_targetILNS1_3genE0ELNS1_11target_archE4294967295ELNS1_3gpuE0ELNS1_3repE0EEENS1_30default_config_static_selectorELNS0_4arch9wavefront6targetE0EEEvT1_ ; -- Begin function _ZN7rocprim17ROCPRIM_400000_NS6detail17trampoline_kernelINS0_14default_configENS1_25partition_config_selectorILNS1_17partition_subalgoE6EtNS0_10empty_typeEbEEZZNS1_14partition_implILS5_6ELb0ES3_mN6thrust23THRUST_200600_302600_NS6detail15normal_iteratorINSA_10device_ptrItEEEEPS6_SG_NS0_5tupleIJSF_S6_EEENSH_IJSG_SG_EEES6_PlJNSB_9not_fun_tINSB_10functional5actorINSM_9compositeIJNSM_27transparent_binary_operatorINSA_8equal_toIvEEEENSN_INSM_8argumentILj0EEEEENSM_5valueItEEEEEEEEEEEE10hipError_tPvRmT3_T4_T5_T6_T7_T9_mT8_P12ihipStream_tbDpT10_ENKUlT_T0_E_clISt17integral_constantIbLb0EES1J_IbLb1EEEEDaS1F_S1G_EUlS1F_E_NS1_11comp_targetILNS1_3genE0ELNS1_11target_archE4294967295ELNS1_3gpuE0ELNS1_3repE0EEENS1_30default_config_static_selectorELNS0_4arch9wavefront6targetE0EEEvT1_
	.globl	_ZN7rocprim17ROCPRIM_400000_NS6detail17trampoline_kernelINS0_14default_configENS1_25partition_config_selectorILNS1_17partition_subalgoE6EtNS0_10empty_typeEbEEZZNS1_14partition_implILS5_6ELb0ES3_mN6thrust23THRUST_200600_302600_NS6detail15normal_iteratorINSA_10device_ptrItEEEEPS6_SG_NS0_5tupleIJSF_S6_EEENSH_IJSG_SG_EEES6_PlJNSB_9not_fun_tINSB_10functional5actorINSM_9compositeIJNSM_27transparent_binary_operatorINSA_8equal_toIvEEEENSN_INSM_8argumentILj0EEEEENSM_5valueItEEEEEEEEEEEE10hipError_tPvRmT3_T4_T5_T6_T7_T9_mT8_P12ihipStream_tbDpT10_ENKUlT_T0_E_clISt17integral_constantIbLb0EES1J_IbLb1EEEEDaS1F_S1G_EUlS1F_E_NS1_11comp_targetILNS1_3genE0ELNS1_11target_archE4294967295ELNS1_3gpuE0ELNS1_3repE0EEENS1_30default_config_static_selectorELNS0_4arch9wavefront6targetE0EEEvT1_
	.p2align	8
	.type	_ZN7rocprim17ROCPRIM_400000_NS6detail17trampoline_kernelINS0_14default_configENS1_25partition_config_selectorILNS1_17partition_subalgoE6EtNS0_10empty_typeEbEEZZNS1_14partition_implILS5_6ELb0ES3_mN6thrust23THRUST_200600_302600_NS6detail15normal_iteratorINSA_10device_ptrItEEEEPS6_SG_NS0_5tupleIJSF_S6_EEENSH_IJSG_SG_EEES6_PlJNSB_9not_fun_tINSB_10functional5actorINSM_9compositeIJNSM_27transparent_binary_operatorINSA_8equal_toIvEEEENSN_INSM_8argumentILj0EEEEENSM_5valueItEEEEEEEEEEEE10hipError_tPvRmT3_T4_T5_T6_T7_T9_mT8_P12ihipStream_tbDpT10_ENKUlT_T0_E_clISt17integral_constantIbLb0EES1J_IbLb1EEEEDaS1F_S1G_EUlS1F_E_NS1_11comp_targetILNS1_3genE0ELNS1_11target_archE4294967295ELNS1_3gpuE0ELNS1_3repE0EEENS1_30default_config_static_selectorELNS0_4arch9wavefront6targetE0EEEvT1_,@function
_ZN7rocprim17ROCPRIM_400000_NS6detail17trampoline_kernelINS0_14default_configENS1_25partition_config_selectorILNS1_17partition_subalgoE6EtNS0_10empty_typeEbEEZZNS1_14partition_implILS5_6ELb0ES3_mN6thrust23THRUST_200600_302600_NS6detail15normal_iteratorINSA_10device_ptrItEEEEPS6_SG_NS0_5tupleIJSF_S6_EEENSH_IJSG_SG_EEES6_PlJNSB_9not_fun_tINSB_10functional5actorINSM_9compositeIJNSM_27transparent_binary_operatorINSA_8equal_toIvEEEENSN_INSM_8argumentILj0EEEEENSM_5valueItEEEEEEEEEEEE10hipError_tPvRmT3_T4_T5_T6_T7_T9_mT8_P12ihipStream_tbDpT10_ENKUlT_T0_E_clISt17integral_constantIbLb0EES1J_IbLb1EEEEDaS1F_S1G_EUlS1F_E_NS1_11comp_targetILNS1_3genE0ELNS1_11target_archE4294967295ELNS1_3gpuE0ELNS1_3repE0EEENS1_30default_config_static_selectorELNS0_4arch9wavefront6targetE0EEEvT1_: ; @_ZN7rocprim17ROCPRIM_400000_NS6detail17trampoline_kernelINS0_14default_configENS1_25partition_config_selectorILNS1_17partition_subalgoE6EtNS0_10empty_typeEbEEZZNS1_14partition_implILS5_6ELb0ES3_mN6thrust23THRUST_200600_302600_NS6detail15normal_iteratorINSA_10device_ptrItEEEEPS6_SG_NS0_5tupleIJSF_S6_EEENSH_IJSG_SG_EEES6_PlJNSB_9not_fun_tINSB_10functional5actorINSM_9compositeIJNSM_27transparent_binary_operatorINSA_8equal_toIvEEEENSN_INSM_8argumentILj0EEEEENSM_5valueItEEEEEEEEEEEE10hipError_tPvRmT3_T4_T5_T6_T7_T9_mT8_P12ihipStream_tbDpT10_ENKUlT_T0_E_clISt17integral_constantIbLb0EES1J_IbLb1EEEEDaS1F_S1G_EUlS1F_E_NS1_11comp_targetILNS1_3genE0ELNS1_11target_archE4294967295ELNS1_3gpuE0ELNS1_3repE0EEENS1_30default_config_static_selectorELNS0_4arch9wavefront6targetE0EEEvT1_
; %bb.0:
	.section	.rodata,"a",@progbits
	.p2align	6, 0x0
	.amdhsa_kernel _ZN7rocprim17ROCPRIM_400000_NS6detail17trampoline_kernelINS0_14default_configENS1_25partition_config_selectorILNS1_17partition_subalgoE6EtNS0_10empty_typeEbEEZZNS1_14partition_implILS5_6ELb0ES3_mN6thrust23THRUST_200600_302600_NS6detail15normal_iteratorINSA_10device_ptrItEEEEPS6_SG_NS0_5tupleIJSF_S6_EEENSH_IJSG_SG_EEES6_PlJNSB_9not_fun_tINSB_10functional5actorINSM_9compositeIJNSM_27transparent_binary_operatorINSA_8equal_toIvEEEENSN_INSM_8argumentILj0EEEEENSM_5valueItEEEEEEEEEEEE10hipError_tPvRmT3_T4_T5_T6_T7_T9_mT8_P12ihipStream_tbDpT10_ENKUlT_T0_E_clISt17integral_constantIbLb0EES1J_IbLb1EEEEDaS1F_S1G_EUlS1F_E_NS1_11comp_targetILNS1_3genE0ELNS1_11target_archE4294967295ELNS1_3gpuE0ELNS1_3repE0EEENS1_30default_config_static_selectorELNS0_4arch9wavefront6targetE0EEEvT1_
		.amdhsa_group_segment_fixed_size 0
		.amdhsa_private_segment_fixed_size 0
		.amdhsa_kernarg_size 128
		.amdhsa_user_sgpr_count 2
		.amdhsa_user_sgpr_dispatch_ptr 0
		.amdhsa_user_sgpr_queue_ptr 0
		.amdhsa_user_sgpr_kernarg_segment_ptr 1
		.amdhsa_user_sgpr_dispatch_id 0
		.amdhsa_user_sgpr_private_segment_size 0
		.amdhsa_wavefront_size32 1
		.amdhsa_uses_dynamic_stack 0
		.amdhsa_enable_private_segment 0
		.amdhsa_system_sgpr_workgroup_id_x 1
		.amdhsa_system_sgpr_workgroup_id_y 0
		.amdhsa_system_sgpr_workgroup_id_z 0
		.amdhsa_system_sgpr_workgroup_info 0
		.amdhsa_system_vgpr_workitem_id 0
		.amdhsa_next_free_vgpr 1
		.amdhsa_next_free_sgpr 1
		.amdhsa_reserve_vcc 0
		.amdhsa_float_round_mode_32 0
		.amdhsa_float_round_mode_16_64 0
		.amdhsa_float_denorm_mode_32 3
		.amdhsa_float_denorm_mode_16_64 3
		.amdhsa_fp16_overflow 0
		.amdhsa_workgroup_processor_mode 1
		.amdhsa_memory_ordered 1
		.amdhsa_forward_progress 1
		.amdhsa_inst_pref_size 0
		.amdhsa_round_robin_scheduling 0
		.amdhsa_exception_fp_ieee_invalid_op 0
		.amdhsa_exception_fp_denorm_src 0
		.amdhsa_exception_fp_ieee_div_zero 0
		.amdhsa_exception_fp_ieee_overflow 0
		.amdhsa_exception_fp_ieee_underflow 0
		.amdhsa_exception_fp_ieee_inexact 0
		.amdhsa_exception_int_div_zero 0
	.end_amdhsa_kernel
	.section	.text._ZN7rocprim17ROCPRIM_400000_NS6detail17trampoline_kernelINS0_14default_configENS1_25partition_config_selectorILNS1_17partition_subalgoE6EtNS0_10empty_typeEbEEZZNS1_14partition_implILS5_6ELb0ES3_mN6thrust23THRUST_200600_302600_NS6detail15normal_iteratorINSA_10device_ptrItEEEEPS6_SG_NS0_5tupleIJSF_S6_EEENSH_IJSG_SG_EEES6_PlJNSB_9not_fun_tINSB_10functional5actorINSM_9compositeIJNSM_27transparent_binary_operatorINSA_8equal_toIvEEEENSN_INSM_8argumentILj0EEEEENSM_5valueItEEEEEEEEEEEE10hipError_tPvRmT3_T4_T5_T6_T7_T9_mT8_P12ihipStream_tbDpT10_ENKUlT_T0_E_clISt17integral_constantIbLb0EES1J_IbLb1EEEEDaS1F_S1G_EUlS1F_E_NS1_11comp_targetILNS1_3genE0ELNS1_11target_archE4294967295ELNS1_3gpuE0ELNS1_3repE0EEENS1_30default_config_static_selectorELNS0_4arch9wavefront6targetE0EEEvT1_,"axG",@progbits,_ZN7rocprim17ROCPRIM_400000_NS6detail17trampoline_kernelINS0_14default_configENS1_25partition_config_selectorILNS1_17partition_subalgoE6EtNS0_10empty_typeEbEEZZNS1_14partition_implILS5_6ELb0ES3_mN6thrust23THRUST_200600_302600_NS6detail15normal_iteratorINSA_10device_ptrItEEEEPS6_SG_NS0_5tupleIJSF_S6_EEENSH_IJSG_SG_EEES6_PlJNSB_9not_fun_tINSB_10functional5actorINSM_9compositeIJNSM_27transparent_binary_operatorINSA_8equal_toIvEEEENSN_INSM_8argumentILj0EEEEENSM_5valueItEEEEEEEEEEEE10hipError_tPvRmT3_T4_T5_T6_T7_T9_mT8_P12ihipStream_tbDpT10_ENKUlT_T0_E_clISt17integral_constantIbLb0EES1J_IbLb1EEEEDaS1F_S1G_EUlS1F_E_NS1_11comp_targetILNS1_3genE0ELNS1_11target_archE4294967295ELNS1_3gpuE0ELNS1_3repE0EEENS1_30default_config_static_selectorELNS0_4arch9wavefront6targetE0EEEvT1_,comdat
.Lfunc_end170:
	.size	_ZN7rocprim17ROCPRIM_400000_NS6detail17trampoline_kernelINS0_14default_configENS1_25partition_config_selectorILNS1_17partition_subalgoE6EtNS0_10empty_typeEbEEZZNS1_14partition_implILS5_6ELb0ES3_mN6thrust23THRUST_200600_302600_NS6detail15normal_iteratorINSA_10device_ptrItEEEEPS6_SG_NS0_5tupleIJSF_S6_EEENSH_IJSG_SG_EEES6_PlJNSB_9not_fun_tINSB_10functional5actorINSM_9compositeIJNSM_27transparent_binary_operatorINSA_8equal_toIvEEEENSN_INSM_8argumentILj0EEEEENSM_5valueItEEEEEEEEEEEE10hipError_tPvRmT3_T4_T5_T6_T7_T9_mT8_P12ihipStream_tbDpT10_ENKUlT_T0_E_clISt17integral_constantIbLb0EES1J_IbLb1EEEEDaS1F_S1G_EUlS1F_E_NS1_11comp_targetILNS1_3genE0ELNS1_11target_archE4294967295ELNS1_3gpuE0ELNS1_3repE0EEENS1_30default_config_static_selectorELNS0_4arch9wavefront6targetE0EEEvT1_, .Lfunc_end170-_ZN7rocprim17ROCPRIM_400000_NS6detail17trampoline_kernelINS0_14default_configENS1_25partition_config_selectorILNS1_17partition_subalgoE6EtNS0_10empty_typeEbEEZZNS1_14partition_implILS5_6ELb0ES3_mN6thrust23THRUST_200600_302600_NS6detail15normal_iteratorINSA_10device_ptrItEEEEPS6_SG_NS0_5tupleIJSF_S6_EEENSH_IJSG_SG_EEES6_PlJNSB_9not_fun_tINSB_10functional5actorINSM_9compositeIJNSM_27transparent_binary_operatorINSA_8equal_toIvEEEENSN_INSM_8argumentILj0EEEEENSM_5valueItEEEEEEEEEEEE10hipError_tPvRmT3_T4_T5_T6_T7_T9_mT8_P12ihipStream_tbDpT10_ENKUlT_T0_E_clISt17integral_constantIbLb0EES1J_IbLb1EEEEDaS1F_S1G_EUlS1F_E_NS1_11comp_targetILNS1_3genE0ELNS1_11target_archE4294967295ELNS1_3gpuE0ELNS1_3repE0EEENS1_30default_config_static_selectorELNS0_4arch9wavefront6targetE0EEEvT1_
                                        ; -- End function
	.set _ZN7rocprim17ROCPRIM_400000_NS6detail17trampoline_kernelINS0_14default_configENS1_25partition_config_selectorILNS1_17partition_subalgoE6EtNS0_10empty_typeEbEEZZNS1_14partition_implILS5_6ELb0ES3_mN6thrust23THRUST_200600_302600_NS6detail15normal_iteratorINSA_10device_ptrItEEEEPS6_SG_NS0_5tupleIJSF_S6_EEENSH_IJSG_SG_EEES6_PlJNSB_9not_fun_tINSB_10functional5actorINSM_9compositeIJNSM_27transparent_binary_operatorINSA_8equal_toIvEEEENSN_INSM_8argumentILj0EEEEENSM_5valueItEEEEEEEEEEEE10hipError_tPvRmT3_T4_T5_T6_T7_T9_mT8_P12ihipStream_tbDpT10_ENKUlT_T0_E_clISt17integral_constantIbLb0EES1J_IbLb1EEEEDaS1F_S1G_EUlS1F_E_NS1_11comp_targetILNS1_3genE0ELNS1_11target_archE4294967295ELNS1_3gpuE0ELNS1_3repE0EEENS1_30default_config_static_selectorELNS0_4arch9wavefront6targetE0EEEvT1_.num_vgpr, 0
	.set _ZN7rocprim17ROCPRIM_400000_NS6detail17trampoline_kernelINS0_14default_configENS1_25partition_config_selectorILNS1_17partition_subalgoE6EtNS0_10empty_typeEbEEZZNS1_14partition_implILS5_6ELb0ES3_mN6thrust23THRUST_200600_302600_NS6detail15normal_iteratorINSA_10device_ptrItEEEEPS6_SG_NS0_5tupleIJSF_S6_EEENSH_IJSG_SG_EEES6_PlJNSB_9not_fun_tINSB_10functional5actorINSM_9compositeIJNSM_27transparent_binary_operatorINSA_8equal_toIvEEEENSN_INSM_8argumentILj0EEEEENSM_5valueItEEEEEEEEEEEE10hipError_tPvRmT3_T4_T5_T6_T7_T9_mT8_P12ihipStream_tbDpT10_ENKUlT_T0_E_clISt17integral_constantIbLb0EES1J_IbLb1EEEEDaS1F_S1G_EUlS1F_E_NS1_11comp_targetILNS1_3genE0ELNS1_11target_archE4294967295ELNS1_3gpuE0ELNS1_3repE0EEENS1_30default_config_static_selectorELNS0_4arch9wavefront6targetE0EEEvT1_.num_agpr, 0
	.set _ZN7rocprim17ROCPRIM_400000_NS6detail17trampoline_kernelINS0_14default_configENS1_25partition_config_selectorILNS1_17partition_subalgoE6EtNS0_10empty_typeEbEEZZNS1_14partition_implILS5_6ELb0ES3_mN6thrust23THRUST_200600_302600_NS6detail15normal_iteratorINSA_10device_ptrItEEEEPS6_SG_NS0_5tupleIJSF_S6_EEENSH_IJSG_SG_EEES6_PlJNSB_9not_fun_tINSB_10functional5actorINSM_9compositeIJNSM_27transparent_binary_operatorINSA_8equal_toIvEEEENSN_INSM_8argumentILj0EEEEENSM_5valueItEEEEEEEEEEEE10hipError_tPvRmT3_T4_T5_T6_T7_T9_mT8_P12ihipStream_tbDpT10_ENKUlT_T0_E_clISt17integral_constantIbLb0EES1J_IbLb1EEEEDaS1F_S1G_EUlS1F_E_NS1_11comp_targetILNS1_3genE0ELNS1_11target_archE4294967295ELNS1_3gpuE0ELNS1_3repE0EEENS1_30default_config_static_selectorELNS0_4arch9wavefront6targetE0EEEvT1_.numbered_sgpr, 0
	.set _ZN7rocprim17ROCPRIM_400000_NS6detail17trampoline_kernelINS0_14default_configENS1_25partition_config_selectorILNS1_17partition_subalgoE6EtNS0_10empty_typeEbEEZZNS1_14partition_implILS5_6ELb0ES3_mN6thrust23THRUST_200600_302600_NS6detail15normal_iteratorINSA_10device_ptrItEEEEPS6_SG_NS0_5tupleIJSF_S6_EEENSH_IJSG_SG_EEES6_PlJNSB_9not_fun_tINSB_10functional5actorINSM_9compositeIJNSM_27transparent_binary_operatorINSA_8equal_toIvEEEENSN_INSM_8argumentILj0EEEEENSM_5valueItEEEEEEEEEEEE10hipError_tPvRmT3_T4_T5_T6_T7_T9_mT8_P12ihipStream_tbDpT10_ENKUlT_T0_E_clISt17integral_constantIbLb0EES1J_IbLb1EEEEDaS1F_S1G_EUlS1F_E_NS1_11comp_targetILNS1_3genE0ELNS1_11target_archE4294967295ELNS1_3gpuE0ELNS1_3repE0EEENS1_30default_config_static_selectorELNS0_4arch9wavefront6targetE0EEEvT1_.num_named_barrier, 0
	.set _ZN7rocprim17ROCPRIM_400000_NS6detail17trampoline_kernelINS0_14default_configENS1_25partition_config_selectorILNS1_17partition_subalgoE6EtNS0_10empty_typeEbEEZZNS1_14partition_implILS5_6ELb0ES3_mN6thrust23THRUST_200600_302600_NS6detail15normal_iteratorINSA_10device_ptrItEEEEPS6_SG_NS0_5tupleIJSF_S6_EEENSH_IJSG_SG_EEES6_PlJNSB_9not_fun_tINSB_10functional5actorINSM_9compositeIJNSM_27transparent_binary_operatorINSA_8equal_toIvEEEENSN_INSM_8argumentILj0EEEEENSM_5valueItEEEEEEEEEEEE10hipError_tPvRmT3_T4_T5_T6_T7_T9_mT8_P12ihipStream_tbDpT10_ENKUlT_T0_E_clISt17integral_constantIbLb0EES1J_IbLb1EEEEDaS1F_S1G_EUlS1F_E_NS1_11comp_targetILNS1_3genE0ELNS1_11target_archE4294967295ELNS1_3gpuE0ELNS1_3repE0EEENS1_30default_config_static_selectorELNS0_4arch9wavefront6targetE0EEEvT1_.private_seg_size, 0
	.set _ZN7rocprim17ROCPRIM_400000_NS6detail17trampoline_kernelINS0_14default_configENS1_25partition_config_selectorILNS1_17partition_subalgoE6EtNS0_10empty_typeEbEEZZNS1_14partition_implILS5_6ELb0ES3_mN6thrust23THRUST_200600_302600_NS6detail15normal_iteratorINSA_10device_ptrItEEEEPS6_SG_NS0_5tupleIJSF_S6_EEENSH_IJSG_SG_EEES6_PlJNSB_9not_fun_tINSB_10functional5actorINSM_9compositeIJNSM_27transparent_binary_operatorINSA_8equal_toIvEEEENSN_INSM_8argumentILj0EEEEENSM_5valueItEEEEEEEEEEEE10hipError_tPvRmT3_T4_T5_T6_T7_T9_mT8_P12ihipStream_tbDpT10_ENKUlT_T0_E_clISt17integral_constantIbLb0EES1J_IbLb1EEEEDaS1F_S1G_EUlS1F_E_NS1_11comp_targetILNS1_3genE0ELNS1_11target_archE4294967295ELNS1_3gpuE0ELNS1_3repE0EEENS1_30default_config_static_selectorELNS0_4arch9wavefront6targetE0EEEvT1_.uses_vcc, 0
	.set _ZN7rocprim17ROCPRIM_400000_NS6detail17trampoline_kernelINS0_14default_configENS1_25partition_config_selectorILNS1_17partition_subalgoE6EtNS0_10empty_typeEbEEZZNS1_14partition_implILS5_6ELb0ES3_mN6thrust23THRUST_200600_302600_NS6detail15normal_iteratorINSA_10device_ptrItEEEEPS6_SG_NS0_5tupleIJSF_S6_EEENSH_IJSG_SG_EEES6_PlJNSB_9not_fun_tINSB_10functional5actorINSM_9compositeIJNSM_27transparent_binary_operatorINSA_8equal_toIvEEEENSN_INSM_8argumentILj0EEEEENSM_5valueItEEEEEEEEEEEE10hipError_tPvRmT3_T4_T5_T6_T7_T9_mT8_P12ihipStream_tbDpT10_ENKUlT_T0_E_clISt17integral_constantIbLb0EES1J_IbLb1EEEEDaS1F_S1G_EUlS1F_E_NS1_11comp_targetILNS1_3genE0ELNS1_11target_archE4294967295ELNS1_3gpuE0ELNS1_3repE0EEENS1_30default_config_static_selectorELNS0_4arch9wavefront6targetE0EEEvT1_.uses_flat_scratch, 0
	.set _ZN7rocprim17ROCPRIM_400000_NS6detail17trampoline_kernelINS0_14default_configENS1_25partition_config_selectorILNS1_17partition_subalgoE6EtNS0_10empty_typeEbEEZZNS1_14partition_implILS5_6ELb0ES3_mN6thrust23THRUST_200600_302600_NS6detail15normal_iteratorINSA_10device_ptrItEEEEPS6_SG_NS0_5tupleIJSF_S6_EEENSH_IJSG_SG_EEES6_PlJNSB_9not_fun_tINSB_10functional5actorINSM_9compositeIJNSM_27transparent_binary_operatorINSA_8equal_toIvEEEENSN_INSM_8argumentILj0EEEEENSM_5valueItEEEEEEEEEEEE10hipError_tPvRmT3_T4_T5_T6_T7_T9_mT8_P12ihipStream_tbDpT10_ENKUlT_T0_E_clISt17integral_constantIbLb0EES1J_IbLb1EEEEDaS1F_S1G_EUlS1F_E_NS1_11comp_targetILNS1_3genE0ELNS1_11target_archE4294967295ELNS1_3gpuE0ELNS1_3repE0EEENS1_30default_config_static_selectorELNS0_4arch9wavefront6targetE0EEEvT1_.has_dyn_sized_stack, 0
	.set _ZN7rocprim17ROCPRIM_400000_NS6detail17trampoline_kernelINS0_14default_configENS1_25partition_config_selectorILNS1_17partition_subalgoE6EtNS0_10empty_typeEbEEZZNS1_14partition_implILS5_6ELb0ES3_mN6thrust23THRUST_200600_302600_NS6detail15normal_iteratorINSA_10device_ptrItEEEEPS6_SG_NS0_5tupleIJSF_S6_EEENSH_IJSG_SG_EEES6_PlJNSB_9not_fun_tINSB_10functional5actorINSM_9compositeIJNSM_27transparent_binary_operatorINSA_8equal_toIvEEEENSN_INSM_8argumentILj0EEEEENSM_5valueItEEEEEEEEEEEE10hipError_tPvRmT3_T4_T5_T6_T7_T9_mT8_P12ihipStream_tbDpT10_ENKUlT_T0_E_clISt17integral_constantIbLb0EES1J_IbLb1EEEEDaS1F_S1G_EUlS1F_E_NS1_11comp_targetILNS1_3genE0ELNS1_11target_archE4294967295ELNS1_3gpuE0ELNS1_3repE0EEENS1_30default_config_static_selectorELNS0_4arch9wavefront6targetE0EEEvT1_.has_recursion, 0
	.set _ZN7rocprim17ROCPRIM_400000_NS6detail17trampoline_kernelINS0_14default_configENS1_25partition_config_selectorILNS1_17partition_subalgoE6EtNS0_10empty_typeEbEEZZNS1_14partition_implILS5_6ELb0ES3_mN6thrust23THRUST_200600_302600_NS6detail15normal_iteratorINSA_10device_ptrItEEEEPS6_SG_NS0_5tupleIJSF_S6_EEENSH_IJSG_SG_EEES6_PlJNSB_9not_fun_tINSB_10functional5actorINSM_9compositeIJNSM_27transparent_binary_operatorINSA_8equal_toIvEEEENSN_INSM_8argumentILj0EEEEENSM_5valueItEEEEEEEEEEEE10hipError_tPvRmT3_T4_T5_T6_T7_T9_mT8_P12ihipStream_tbDpT10_ENKUlT_T0_E_clISt17integral_constantIbLb0EES1J_IbLb1EEEEDaS1F_S1G_EUlS1F_E_NS1_11comp_targetILNS1_3genE0ELNS1_11target_archE4294967295ELNS1_3gpuE0ELNS1_3repE0EEENS1_30default_config_static_selectorELNS0_4arch9wavefront6targetE0EEEvT1_.has_indirect_call, 0
	.section	.AMDGPU.csdata,"",@progbits
; Kernel info:
; codeLenInByte = 0
; TotalNumSgprs: 0
; NumVgprs: 0
; ScratchSize: 0
; MemoryBound: 0
; FloatMode: 240
; IeeeMode: 1
; LDSByteSize: 0 bytes/workgroup (compile time only)
; SGPRBlocks: 0
; VGPRBlocks: 0
; NumSGPRsForWavesPerEU: 1
; NumVGPRsForWavesPerEU: 1
; Occupancy: 16
; WaveLimiterHint : 0
; COMPUTE_PGM_RSRC2:SCRATCH_EN: 0
; COMPUTE_PGM_RSRC2:USER_SGPR: 2
; COMPUTE_PGM_RSRC2:TRAP_HANDLER: 0
; COMPUTE_PGM_RSRC2:TGID_X_EN: 1
; COMPUTE_PGM_RSRC2:TGID_Y_EN: 0
; COMPUTE_PGM_RSRC2:TGID_Z_EN: 0
; COMPUTE_PGM_RSRC2:TIDIG_COMP_CNT: 0
	.section	.text._ZN7rocprim17ROCPRIM_400000_NS6detail17trampoline_kernelINS0_14default_configENS1_25partition_config_selectorILNS1_17partition_subalgoE6EtNS0_10empty_typeEbEEZZNS1_14partition_implILS5_6ELb0ES3_mN6thrust23THRUST_200600_302600_NS6detail15normal_iteratorINSA_10device_ptrItEEEEPS6_SG_NS0_5tupleIJSF_S6_EEENSH_IJSG_SG_EEES6_PlJNSB_9not_fun_tINSB_10functional5actorINSM_9compositeIJNSM_27transparent_binary_operatorINSA_8equal_toIvEEEENSN_INSM_8argumentILj0EEEEENSM_5valueItEEEEEEEEEEEE10hipError_tPvRmT3_T4_T5_T6_T7_T9_mT8_P12ihipStream_tbDpT10_ENKUlT_T0_E_clISt17integral_constantIbLb0EES1J_IbLb1EEEEDaS1F_S1G_EUlS1F_E_NS1_11comp_targetILNS1_3genE5ELNS1_11target_archE942ELNS1_3gpuE9ELNS1_3repE0EEENS1_30default_config_static_selectorELNS0_4arch9wavefront6targetE0EEEvT1_,"axG",@progbits,_ZN7rocprim17ROCPRIM_400000_NS6detail17trampoline_kernelINS0_14default_configENS1_25partition_config_selectorILNS1_17partition_subalgoE6EtNS0_10empty_typeEbEEZZNS1_14partition_implILS5_6ELb0ES3_mN6thrust23THRUST_200600_302600_NS6detail15normal_iteratorINSA_10device_ptrItEEEEPS6_SG_NS0_5tupleIJSF_S6_EEENSH_IJSG_SG_EEES6_PlJNSB_9not_fun_tINSB_10functional5actorINSM_9compositeIJNSM_27transparent_binary_operatorINSA_8equal_toIvEEEENSN_INSM_8argumentILj0EEEEENSM_5valueItEEEEEEEEEEEE10hipError_tPvRmT3_T4_T5_T6_T7_T9_mT8_P12ihipStream_tbDpT10_ENKUlT_T0_E_clISt17integral_constantIbLb0EES1J_IbLb1EEEEDaS1F_S1G_EUlS1F_E_NS1_11comp_targetILNS1_3genE5ELNS1_11target_archE942ELNS1_3gpuE9ELNS1_3repE0EEENS1_30default_config_static_selectorELNS0_4arch9wavefront6targetE0EEEvT1_,comdat
	.protected	_ZN7rocprim17ROCPRIM_400000_NS6detail17trampoline_kernelINS0_14default_configENS1_25partition_config_selectorILNS1_17partition_subalgoE6EtNS0_10empty_typeEbEEZZNS1_14partition_implILS5_6ELb0ES3_mN6thrust23THRUST_200600_302600_NS6detail15normal_iteratorINSA_10device_ptrItEEEEPS6_SG_NS0_5tupleIJSF_S6_EEENSH_IJSG_SG_EEES6_PlJNSB_9not_fun_tINSB_10functional5actorINSM_9compositeIJNSM_27transparent_binary_operatorINSA_8equal_toIvEEEENSN_INSM_8argumentILj0EEEEENSM_5valueItEEEEEEEEEEEE10hipError_tPvRmT3_T4_T5_T6_T7_T9_mT8_P12ihipStream_tbDpT10_ENKUlT_T0_E_clISt17integral_constantIbLb0EES1J_IbLb1EEEEDaS1F_S1G_EUlS1F_E_NS1_11comp_targetILNS1_3genE5ELNS1_11target_archE942ELNS1_3gpuE9ELNS1_3repE0EEENS1_30default_config_static_selectorELNS0_4arch9wavefront6targetE0EEEvT1_ ; -- Begin function _ZN7rocprim17ROCPRIM_400000_NS6detail17trampoline_kernelINS0_14default_configENS1_25partition_config_selectorILNS1_17partition_subalgoE6EtNS0_10empty_typeEbEEZZNS1_14partition_implILS5_6ELb0ES3_mN6thrust23THRUST_200600_302600_NS6detail15normal_iteratorINSA_10device_ptrItEEEEPS6_SG_NS0_5tupleIJSF_S6_EEENSH_IJSG_SG_EEES6_PlJNSB_9not_fun_tINSB_10functional5actorINSM_9compositeIJNSM_27transparent_binary_operatorINSA_8equal_toIvEEEENSN_INSM_8argumentILj0EEEEENSM_5valueItEEEEEEEEEEEE10hipError_tPvRmT3_T4_T5_T6_T7_T9_mT8_P12ihipStream_tbDpT10_ENKUlT_T0_E_clISt17integral_constantIbLb0EES1J_IbLb1EEEEDaS1F_S1G_EUlS1F_E_NS1_11comp_targetILNS1_3genE5ELNS1_11target_archE942ELNS1_3gpuE9ELNS1_3repE0EEENS1_30default_config_static_selectorELNS0_4arch9wavefront6targetE0EEEvT1_
	.globl	_ZN7rocprim17ROCPRIM_400000_NS6detail17trampoline_kernelINS0_14default_configENS1_25partition_config_selectorILNS1_17partition_subalgoE6EtNS0_10empty_typeEbEEZZNS1_14partition_implILS5_6ELb0ES3_mN6thrust23THRUST_200600_302600_NS6detail15normal_iteratorINSA_10device_ptrItEEEEPS6_SG_NS0_5tupleIJSF_S6_EEENSH_IJSG_SG_EEES6_PlJNSB_9not_fun_tINSB_10functional5actorINSM_9compositeIJNSM_27transparent_binary_operatorINSA_8equal_toIvEEEENSN_INSM_8argumentILj0EEEEENSM_5valueItEEEEEEEEEEEE10hipError_tPvRmT3_T4_T5_T6_T7_T9_mT8_P12ihipStream_tbDpT10_ENKUlT_T0_E_clISt17integral_constantIbLb0EES1J_IbLb1EEEEDaS1F_S1G_EUlS1F_E_NS1_11comp_targetILNS1_3genE5ELNS1_11target_archE942ELNS1_3gpuE9ELNS1_3repE0EEENS1_30default_config_static_selectorELNS0_4arch9wavefront6targetE0EEEvT1_
	.p2align	8
	.type	_ZN7rocprim17ROCPRIM_400000_NS6detail17trampoline_kernelINS0_14default_configENS1_25partition_config_selectorILNS1_17partition_subalgoE6EtNS0_10empty_typeEbEEZZNS1_14partition_implILS5_6ELb0ES3_mN6thrust23THRUST_200600_302600_NS6detail15normal_iteratorINSA_10device_ptrItEEEEPS6_SG_NS0_5tupleIJSF_S6_EEENSH_IJSG_SG_EEES6_PlJNSB_9not_fun_tINSB_10functional5actorINSM_9compositeIJNSM_27transparent_binary_operatorINSA_8equal_toIvEEEENSN_INSM_8argumentILj0EEEEENSM_5valueItEEEEEEEEEEEE10hipError_tPvRmT3_T4_T5_T6_T7_T9_mT8_P12ihipStream_tbDpT10_ENKUlT_T0_E_clISt17integral_constantIbLb0EES1J_IbLb1EEEEDaS1F_S1G_EUlS1F_E_NS1_11comp_targetILNS1_3genE5ELNS1_11target_archE942ELNS1_3gpuE9ELNS1_3repE0EEENS1_30default_config_static_selectorELNS0_4arch9wavefront6targetE0EEEvT1_,@function
_ZN7rocprim17ROCPRIM_400000_NS6detail17trampoline_kernelINS0_14default_configENS1_25partition_config_selectorILNS1_17partition_subalgoE6EtNS0_10empty_typeEbEEZZNS1_14partition_implILS5_6ELb0ES3_mN6thrust23THRUST_200600_302600_NS6detail15normal_iteratorINSA_10device_ptrItEEEEPS6_SG_NS0_5tupleIJSF_S6_EEENSH_IJSG_SG_EEES6_PlJNSB_9not_fun_tINSB_10functional5actorINSM_9compositeIJNSM_27transparent_binary_operatorINSA_8equal_toIvEEEENSN_INSM_8argumentILj0EEEEENSM_5valueItEEEEEEEEEEEE10hipError_tPvRmT3_T4_T5_T6_T7_T9_mT8_P12ihipStream_tbDpT10_ENKUlT_T0_E_clISt17integral_constantIbLb0EES1J_IbLb1EEEEDaS1F_S1G_EUlS1F_E_NS1_11comp_targetILNS1_3genE5ELNS1_11target_archE942ELNS1_3gpuE9ELNS1_3repE0EEENS1_30default_config_static_selectorELNS0_4arch9wavefront6targetE0EEEvT1_: ; @_ZN7rocprim17ROCPRIM_400000_NS6detail17trampoline_kernelINS0_14default_configENS1_25partition_config_selectorILNS1_17partition_subalgoE6EtNS0_10empty_typeEbEEZZNS1_14partition_implILS5_6ELb0ES3_mN6thrust23THRUST_200600_302600_NS6detail15normal_iteratorINSA_10device_ptrItEEEEPS6_SG_NS0_5tupleIJSF_S6_EEENSH_IJSG_SG_EEES6_PlJNSB_9not_fun_tINSB_10functional5actorINSM_9compositeIJNSM_27transparent_binary_operatorINSA_8equal_toIvEEEENSN_INSM_8argumentILj0EEEEENSM_5valueItEEEEEEEEEEEE10hipError_tPvRmT3_T4_T5_T6_T7_T9_mT8_P12ihipStream_tbDpT10_ENKUlT_T0_E_clISt17integral_constantIbLb0EES1J_IbLb1EEEEDaS1F_S1G_EUlS1F_E_NS1_11comp_targetILNS1_3genE5ELNS1_11target_archE942ELNS1_3gpuE9ELNS1_3repE0EEENS1_30default_config_static_selectorELNS0_4arch9wavefront6targetE0EEEvT1_
; %bb.0:
	.section	.rodata,"a",@progbits
	.p2align	6, 0x0
	.amdhsa_kernel _ZN7rocprim17ROCPRIM_400000_NS6detail17trampoline_kernelINS0_14default_configENS1_25partition_config_selectorILNS1_17partition_subalgoE6EtNS0_10empty_typeEbEEZZNS1_14partition_implILS5_6ELb0ES3_mN6thrust23THRUST_200600_302600_NS6detail15normal_iteratorINSA_10device_ptrItEEEEPS6_SG_NS0_5tupleIJSF_S6_EEENSH_IJSG_SG_EEES6_PlJNSB_9not_fun_tINSB_10functional5actorINSM_9compositeIJNSM_27transparent_binary_operatorINSA_8equal_toIvEEEENSN_INSM_8argumentILj0EEEEENSM_5valueItEEEEEEEEEEEE10hipError_tPvRmT3_T4_T5_T6_T7_T9_mT8_P12ihipStream_tbDpT10_ENKUlT_T0_E_clISt17integral_constantIbLb0EES1J_IbLb1EEEEDaS1F_S1G_EUlS1F_E_NS1_11comp_targetILNS1_3genE5ELNS1_11target_archE942ELNS1_3gpuE9ELNS1_3repE0EEENS1_30default_config_static_selectorELNS0_4arch9wavefront6targetE0EEEvT1_
		.amdhsa_group_segment_fixed_size 0
		.amdhsa_private_segment_fixed_size 0
		.amdhsa_kernarg_size 128
		.amdhsa_user_sgpr_count 2
		.amdhsa_user_sgpr_dispatch_ptr 0
		.amdhsa_user_sgpr_queue_ptr 0
		.amdhsa_user_sgpr_kernarg_segment_ptr 1
		.amdhsa_user_sgpr_dispatch_id 0
		.amdhsa_user_sgpr_private_segment_size 0
		.amdhsa_wavefront_size32 1
		.amdhsa_uses_dynamic_stack 0
		.amdhsa_enable_private_segment 0
		.amdhsa_system_sgpr_workgroup_id_x 1
		.amdhsa_system_sgpr_workgroup_id_y 0
		.amdhsa_system_sgpr_workgroup_id_z 0
		.amdhsa_system_sgpr_workgroup_info 0
		.amdhsa_system_vgpr_workitem_id 0
		.amdhsa_next_free_vgpr 1
		.amdhsa_next_free_sgpr 1
		.amdhsa_reserve_vcc 0
		.amdhsa_float_round_mode_32 0
		.amdhsa_float_round_mode_16_64 0
		.amdhsa_float_denorm_mode_32 3
		.amdhsa_float_denorm_mode_16_64 3
		.amdhsa_fp16_overflow 0
		.amdhsa_workgroup_processor_mode 1
		.amdhsa_memory_ordered 1
		.amdhsa_forward_progress 1
		.amdhsa_inst_pref_size 0
		.amdhsa_round_robin_scheduling 0
		.amdhsa_exception_fp_ieee_invalid_op 0
		.amdhsa_exception_fp_denorm_src 0
		.amdhsa_exception_fp_ieee_div_zero 0
		.amdhsa_exception_fp_ieee_overflow 0
		.amdhsa_exception_fp_ieee_underflow 0
		.amdhsa_exception_fp_ieee_inexact 0
		.amdhsa_exception_int_div_zero 0
	.end_amdhsa_kernel
	.section	.text._ZN7rocprim17ROCPRIM_400000_NS6detail17trampoline_kernelINS0_14default_configENS1_25partition_config_selectorILNS1_17partition_subalgoE6EtNS0_10empty_typeEbEEZZNS1_14partition_implILS5_6ELb0ES3_mN6thrust23THRUST_200600_302600_NS6detail15normal_iteratorINSA_10device_ptrItEEEEPS6_SG_NS0_5tupleIJSF_S6_EEENSH_IJSG_SG_EEES6_PlJNSB_9not_fun_tINSB_10functional5actorINSM_9compositeIJNSM_27transparent_binary_operatorINSA_8equal_toIvEEEENSN_INSM_8argumentILj0EEEEENSM_5valueItEEEEEEEEEEEE10hipError_tPvRmT3_T4_T5_T6_T7_T9_mT8_P12ihipStream_tbDpT10_ENKUlT_T0_E_clISt17integral_constantIbLb0EES1J_IbLb1EEEEDaS1F_S1G_EUlS1F_E_NS1_11comp_targetILNS1_3genE5ELNS1_11target_archE942ELNS1_3gpuE9ELNS1_3repE0EEENS1_30default_config_static_selectorELNS0_4arch9wavefront6targetE0EEEvT1_,"axG",@progbits,_ZN7rocprim17ROCPRIM_400000_NS6detail17trampoline_kernelINS0_14default_configENS1_25partition_config_selectorILNS1_17partition_subalgoE6EtNS0_10empty_typeEbEEZZNS1_14partition_implILS5_6ELb0ES3_mN6thrust23THRUST_200600_302600_NS6detail15normal_iteratorINSA_10device_ptrItEEEEPS6_SG_NS0_5tupleIJSF_S6_EEENSH_IJSG_SG_EEES6_PlJNSB_9not_fun_tINSB_10functional5actorINSM_9compositeIJNSM_27transparent_binary_operatorINSA_8equal_toIvEEEENSN_INSM_8argumentILj0EEEEENSM_5valueItEEEEEEEEEEEE10hipError_tPvRmT3_T4_T5_T6_T7_T9_mT8_P12ihipStream_tbDpT10_ENKUlT_T0_E_clISt17integral_constantIbLb0EES1J_IbLb1EEEEDaS1F_S1G_EUlS1F_E_NS1_11comp_targetILNS1_3genE5ELNS1_11target_archE942ELNS1_3gpuE9ELNS1_3repE0EEENS1_30default_config_static_selectorELNS0_4arch9wavefront6targetE0EEEvT1_,comdat
.Lfunc_end171:
	.size	_ZN7rocprim17ROCPRIM_400000_NS6detail17trampoline_kernelINS0_14default_configENS1_25partition_config_selectorILNS1_17partition_subalgoE6EtNS0_10empty_typeEbEEZZNS1_14partition_implILS5_6ELb0ES3_mN6thrust23THRUST_200600_302600_NS6detail15normal_iteratorINSA_10device_ptrItEEEEPS6_SG_NS0_5tupleIJSF_S6_EEENSH_IJSG_SG_EEES6_PlJNSB_9not_fun_tINSB_10functional5actorINSM_9compositeIJNSM_27transparent_binary_operatorINSA_8equal_toIvEEEENSN_INSM_8argumentILj0EEEEENSM_5valueItEEEEEEEEEEEE10hipError_tPvRmT3_T4_T5_T6_T7_T9_mT8_P12ihipStream_tbDpT10_ENKUlT_T0_E_clISt17integral_constantIbLb0EES1J_IbLb1EEEEDaS1F_S1G_EUlS1F_E_NS1_11comp_targetILNS1_3genE5ELNS1_11target_archE942ELNS1_3gpuE9ELNS1_3repE0EEENS1_30default_config_static_selectorELNS0_4arch9wavefront6targetE0EEEvT1_, .Lfunc_end171-_ZN7rocprim17ROCPRIM_400000_NS6detail17trampoline_kernelINS0_14default_configENS1_25partition_config_selectorILNS1_17partition_subalgoE6EtNS0_10empty_typeEbEEZZNS1_14partition_implILS5_6ELb0ES3_mN6thrust23THRUST_200600_302600_NS6detail15normal_iteratorINSA_10device_ptrItEEEEPS6_SG_NS0_5tupleIJSF_S6_EEENSH_IJSG_SG_EEES6_PlJNSB_9not_fun_tINSB_10functional5actorINSM_9compositeIJNSM_27transparent_binary_operatorINSA_8equal_toIvEEEENSN_INSM_8argumentILj0EEEEENSM_5valueItEEEEEEEEEEEE10hipError_tPvRmT3_T4_T5_T6_T7_T9_mT8_P12ihipStream_tbDpT10_ENKUlT_T0_E_clISt17integral_constantIbLb0EES1J_IbLb1EEEEDaS1F_S1G_EUlS1F_E_NS1_11comp_targetILNS1_3genE5ELNS1_11target_archE942ELNS1_3gpuE9ELNS1_3repE0EEENS1_30default_config_static_selectorELNS0_4arch9wavefront6targetE0EEEvT1_
                                        ; -- End function
	.set _ZN7rocprim17ROCPRIM_400000_NS6detail17trampoline_kernelINS0_14default_configENS1_25partition_config_selectorILNS1_17partition_subalgoE6EtNS0_10empty_typeEbEEZZNS1_14partition_implILS5_6ELb0ES3_mN6thrust23THRUST_200600_302600_NS6detail15normal_iteratorINSA_10device_ptrItEEEEPS6_SG_NS0_5tupleIJSF_S6_EEENSH_IJSG_SG_EEES6_PlJNSB_9not_fun_tINSB_10functional5actorINSM_9compositeIJNSM_27transparent_binary_operatorINSA_8equal_toIvEEEENSN_INSM_8argumentILj0EEEEENSM_5valueItEEEEEEEEEEEE10hipError_tPvRmT3_T4_T5_T6_T7_T9_mT8_P12ihipStream_tbDpT10_ENKUlT_T0_E_clISt17integral_constantIbLb0EES1J_IbLb1EEEEDaS1F_S1G_EUlS1F_E_NS1_11comp_targetILNS1_3genE5ELNS1_11target_archE942ELNS1_3gpuE9ELNS1_3repE0EEENS1_30default_config_static_selectorELNS0_4arch9wavefront6targetE0EEEvT1_.num_vgpr, 0
	.set _ZN7rocprim17ROCPRIM_400000_NS6detail17trampoline_kernelINS0_14default_configENS1_25partition_config_selectorILNS1_17partition_subalgoE6EtNS0_10empty_typeEbEEZZNS1_14partition_implILS5_6ELb0ES3_mN6thrust23THRUST_200600_302600_NS6detail15normal_iteratorINSA_10device_ptrItEEEEPS6_SG_NS0_5tupleIJSF_S6_EEENSH_IJSG_SG_EEES6_PlJNSB_9not_fun_tINSB_10functional5actorINSM_9compositeIJNSM_27transparent_binary_operatorINSA_8equal_toIvEEEENSN_INSM_8argumentILj0EEEEENSM_5valueItEEEEEEEEEEEE10hipError_tPvRmT3_T4_T5_T6_T7_T9_mT8_P12ihipStream_tbDpT10_ENKUlT_T0_E_clISt17integral_constantIbLb0EES1J_IbLb1EEEEDaS1F_S1G_EUlS1F_E_NS1_11comp_targetILNS1_3genE5ELNS1_11target_archE942ELNS1_3gpuE9ELNS1_3repE0EEENS1_30default_config_static_selectorELNS0_4arch9wavefront6targetE0EEEvT1_.num_agpr, 0
	.set _ZN7rocprim17ROCPRIM_400000_NS6detail17trampoline_kernelINS0_14default_configENS1_25partition_config_selectorILNS1_17partition_subalgoE6EtNS0_10empty_typeEbEEZZNS1_14partition_implILS5_6ELb0ES3_mN6thrust23THRUST_200600_302600_NS6detail15normal_iteratorINSA_10device_ptrItEEEEPS6_SG_NS0_5tupleIJSF_S6_EEENSH_IJSG_SG_EEES6_PlJNSB_9not_fun_tINSB_10functional5actorINSM_9compositeIJNSM_27transparent_binary_operatorINSA_8equal_toIvEEEENSN_INSM_8argumentILj0EEEEENSM_5valueItEEEEEEEEEEEE10hipError_tPvRmT3_T4_T5_T6_T7_T9_mT8_P12ihipStream_tbDpT10_ENKUlT_T0_E_clISt17integral_constantIbLb0EES1J_IbLb1EEEEDaS1F_S1G_EUlS1F_E_NS1_11comp_targetILNS1_3genE5ELNS1_11target_archE942ELNS1_3gpuE9ELNS1_3repE0EEENS1_30default_config_static_selectorELNS0_4arch9wavefront6targetE0EEEvT1_.numbered_sgpr, 0
	.set _ZN7rocprim17ROCPRIM_400000_NS6detail17trampoline_kernelINS0_14default_configENS1_25partition_config_selectorILNS1_17partition_subalgoE6EtNS0_10empty_typeEbEEZZNS1_14partition_implILS5_6ELb0ES3_mN6thrust23THRUST_200600_302600_NS6detail15normal_iteratorINSA_10device_ptrItEEEEPS6_SG_NS0_5tupleIJSF_S6_EEENSH_IJSG_SG_EEES6_PlJNSB_9not_fun_tINSB_10functional5actorINSM_9compositeIJNSM_27transparent_binary_operatorINSA_8equal_toIvEEEENSN_INSM_8argumentILj0EEEEENSM_5valueItEEEEEEEEEEEE10hipError_tPvRmT3_T4_T5_T6_T7_T9_mT8_P12ihipStream_tbDpT10_ENKUlT_T0_E_clISt17integral_constantIbLb0EES1J_IbLb1EEEEDaS1F_S1G_EUlS1F_E_NS1_11comp_targetILNS1_3genE5ELNS1_11target_archE942ELNS1_3gpuE9ELNS1_3repE0EEENS1_30default_config_static_selectorELNS0_4arch9wavefront6targetE0EEEvT1_.num_named_barrier, 0
	.set _ZN7rocprim17ROCPRIM_400000_NS6detail17trampoline_kernelINS0_14default_configENS1_25partition_config_selectorILNS1_17partition_subalgoE6EtNS0_10empty_typeEbEEZZNS1_14partition_implILS5_6ELb0ES3_mN6thrust23THRUST_200600_302600_NS6detail15normal_iteratorINSA_10device_ptrItEEEEPS6_SG_NS0_5tupleIJSF_S6_EEENSH_IJSG_SG_EEES6_PlJNSB_9not_fun_tINSB_10functional5actorINSM_9compositeIJNSM_27transparent_binary_operatorINSA_8equal_toIvEEEENSN_INSM_8argumentILj0EEEEENSM_5valueItEEEEEEEEEEEE10hipError_tPvRmT3_T4_T5_T6_T7_T9_mT8_P12ihipStream_tbDpT10_ENKUlT_T0_E_clISt17integral_constantIbLb0EES1J_IbLb1EEEEDaS1F_S1G_EUlS1F_E_NS1_11comp_targetILNS1_3genE5ELNS1_11target_archE942ELNS1_3gpuE9ELNS1_3repE0EEENS1_30default_config_static_selectorELNS0_4arch9wavefront6targetE0EEEvT1_.private_seg_size, 0
	.set _ZN7rocprim17ROCPRIM_400000_NS6detail17trampoline_kernelINS0_14default_configENS1_25partition_config_selectorILNS1_17partition_subalgoE6EtNS0_10empty_typeEbEEZZNS1_14partition_implILS5_6ELb0ES3_mN6thrust23THRUST_200600_302600_NS6detail15normal_iteratorINSA_10device_ptrItEEEEPS6_SG_NS0_5tupleIJSF_S6_EEENSH_IJSG_SG_EEES6_PlJNSB_9not_fun_tINSB_10functional5actorINSM_9compositeIJNSM_27transparent_binary_operatorINSA_8equal_toIvEEEENSN_INSM_8argumentILj0EEEEENSM_5valueItEEEEEEEEEEEE10hipError_tPvRmT3_T4_T5_T6_T7_T9_mT8_P12ihipStream_tbDpT10_ENKUlT_T0_E_clISt17integral_constantIbLb0EES1J_IbLb1EEEEDaS1F_S1G_EUlS1F_E_NS1_11comp_targetILNS1_3genE5ELNS1_11target_archE942ELNS1_3gpuE9ELNS1_3repE0EEENS1_30default_config_static_selectorELNS0_4arch9wavefront6targetE0EEEvT1_.uses_vcc, 0
	.set _ZN7rocprim17ROCPRIM_400000_NS6detail17trampoline_kernelINS0_14default_configENS1_25partition_config_selectorILNS1_17partition_subalgoE6EtNS0_10empty_typeEbEEZZNS1_14partition_implILS5_6ELb0ES3_mN6thrust23THRUST_200600_302600_NS6detail15normal_iteratorINSA_10device_ptrItEEEEPS6_SG_NS0_5tupleIJSF_S6_EEENSH_IJSG_SG_EEES6_PlJNSB_9not_fun_tINSB_10functional5actorINSM_9compositeIJNSM_27transparent_binary_operatorINSA_8equal_toIvEEEENSN_INSM_8argumentILj0EEEEENSM_5valueItEEEEEEEEEEEE10hipError_tPvRmT3_T4_T5_T6_T7_T9_mT8_P12ihipStream_tbDpT10_ENKUlT_T0_E_clISt17integral_constantIbLb0EES1J_IbLb1EEEEDaS1F_S1G_EUlS1F_E_NS1_11comp_targetILNS1_3genE5ELNS1_11target_archE942ELNS1_3gpuE9ELNS1_3repE0EEENS1_30default_config_static_selectorELNS0_4arch9wavefront6targetE0EEEvT1_.uses_flat_scratch, 0
	.set _ZN7rocprim17ROCPRIM_400000_NS6detail17trampoline_kernelINS0_14default_configENS1_25partition_config_selectorILNS1_17partition_subalgoE6EtNS0_10empty_typeEbEEZZNS1_14partition_implILS5_6ELb0ES3_mN6thrust23THRUST_200600_302600_NS6detail15normal_iteratorINSA_10device_ptrItEEEEPS6_SG_NS0_5tupleIJSF_S6_EEENSH_IJSG_SG_EEES6_PlJNSB_9not_fun_tINSB_10functional5actorINSM_9compositeIJNSM_27transparent_binary_operatorINSA_8equal_toIvEEEENSN_INSM_8argumentILj0EEEEENSM_5valueItEEEEEEEEEEEE10hipError_tPvRmT3_T4_T5_T6_T7_T9_mT8_P12ihipStream_tbDpT10_ENKUlT_T0_E_clISt17integral_constantIbLb0EES1J_IbLb1EEEEDaS1F_S1G_EUlS1F_E_NS1_11comp_targetILNS1_3genE5ELNS1_11target_archE942ELNS1_3gpuE9ELNS1_3repE0EEENS1_30default_config_static_selectorELNS0_4arch9wavefront6targetE0EEEvT1_.has_dyn_sized_stack, 0
	.set _ZN7rocprim17ROCPRIM_400000_NS6detail17trampoline_kernelINS0_14default_configENS1_25partition_config_selectorILNS1_17partition_subalgoE6EtNS0_10empty_typeEbEEZZNS1_14partition_implILS5_6ELb0ES3_mN6thrust23THRUST_200600_302600_NS6detail15normal_iteratorINSA_10device_ptrItEEEEPS6_SG_NS0_5tupleIJSF_S6_EEENSH_IJSG_SG_EEES6_PlJNSB_9not_fun_tINSB_10functional5actorINSM_9compositeIJNSM_27transparent_binary_operatorINSA_8equal_toIvEEEENSN_INSM_8argumentILj0EEEEENSM_5valueItEEEEEEEEEEEE10hipError_tPvRmT3_T4_T5_T6_T7_T9_mT8_P12ihipStream_tbDpT10_ENKUlT_T0_E_clISt17integral_constantIbLb0EES1J_IbLb1EEEEDaS1F_S1G_EUlS1F_E_NS1_11comp_targetILNS1_3genE5ELNS1_11target_archE942ELNS1_3gpuE9ELNS1_3repE0EEENS1_30default_config_static_selectorELNS0_4arch9wavefront6targetE0EEEvT1_.has_recursion, 0
	.set _ZN7rocprim17ROCPRIM_400000_NS6detail17trampoline_kernelINS0_14default_configENS1_25partition_config_selectorILNS1_17partition_subalgoE6EtNS0_10empty_typeEbEEZZNS1_14partition_implILS5_6ELb0ES3_mN6thrust23THRUST_200600_302600_NS6detail15normal_iteratorINSA_10device_ptrItEEEEPS6_SG_NS0_5tupleIJSF_S6_EEENSH_IJSG_SG_EEES6_PlJNSB_9not_fun_tINSB_10functional5actorINSM_9compositeIJNSM_27transparent_binary_operatorINSA_8equal_toIvEEEENSN_INSM_8argumentILj0EEEEENSM_5valueItEEEEEEEEEEEE10hipError_tPvRmT3_T4_T5_T6_T7_T9_mT8_P12ihipStream_tbDpT10_ENKUlT_T0_E_clISt17integral_constantIbLb0EES1J_IbLb1EEEEDaS1F_S1G_EUlS1F_E_NS1_11comp_targetILNS1_3genE5ELNS1_11target_archE942ELNS1_3gpuE9ELNS1_3repE0EEENS1_30default_config_static_selectorELNS0_4arch9wavefront6targetE0EEEvT1_.has_indirect_call, 0
	.section	.AMDGPU.csdata,"",@progbits
; Kernel info:
; codeLenInByte = 0
; TotalNumSgprs: 0
; NumVgprs: 0
; ScratchSize: 0
; MemoryBound: 0
; FloatMode: 240
; IeeeMode: 1
; LDSByteSize: 0 bytes/workgroup (compile time only)
; SGPRBlocks: 0
; VGPRBlocks: 0
; NumSGPRsForWavesPerEU: 1
; NumVGPRsForWavesPerEU: 1
; Occupancy: 16
; WaveLimiterHint : 0
; COMPUTE_PGM_RSRC2:SCRATCH_EN: 0
; COMPUTE_PGM_RSRC2:USER_SGPR: 2
; COMPUTE_PGM_RSRC2:TRAP_HANDLER: 0
; COMPUTE_PGM_RSRC2:TGID_X_EN: 1
; COMPUTE_PGM_RSRC2:TGID_Y_EN: 0
; COMPUTE_PGM_RSRC2:TGID_Z_EN: 0
; COMPUTE_PGM_RSRC2:TIDIG_COMP_CNT: 0
	.section	.text._ZN7rocprim17ROCPRIM_400000_NS6detail17trampoline_kernelINS0_14default_configENS1_25partition_config_selectorILNS1_17partition_subalgoE6EtNS0_10empty_typeEbEEZZNS1_14partition_implILS5_6ELb0ES3_mN6thrust23THRUST_200600_302600_NS6detail15normal_iteratorINSA_10device_ptrItEEEEPS6_SG_NS0_5tupleIJSF_S6_EEENSH_IJSG_SG_EEES6_PlJNSB_9not_fun_tINSB_10functional5actorINSM_9compositeIJNSM_27transparent_binary_operatorINSA_8equal_toIvEEEENSN_INSM_8argumentILj0EEEEENSM_5valueItEEEEEEEEEEEE10hipError_tPvRmT3_T4_T5_T6_T7_T9_mT8_P12ihipStream_tbDpT10_ENKUlT_T0_E_clISt17integral_constantIbLb0EES1J_IbLb1EEEEDaS1F_S1G_EUlS1F_E_NS1_11comp_targetILNS1_3genE4ELNS1_11target_archE910ELNS1_3gpuE8ELNS1_3repE0EEENS1_30default_config_static_selectorELNS0_4arch9wavefront6targetE0EEEvT1_,"axG",@progbits,_ZN7rocprim17ROCPRIM_400000_NS6detail17trampoline_kernelINS0_14default_configENS1_25partition_config_selectorILNS1_17partition_subalgoE6EtNS0_10empty_typeEbEEZZNS1_14partition_implILS5_6ELb0ES3_mN6thrust23THRUST_200600_302600_NS6detail15normal_iteratorINSA_10device_ptrItEEEEPS6_SG_NS0_5tupleIJSF_S6_EEENSH_IJSG_SG_EEES6_PlJNSB_9not_fun_tINSB_10functional5actorINSM_9compositeIJNSM_27transparent_binary_operatorINSA_8equal_toIvEEEENSN_INSM_8argumentILj0EEEEENSM_5valueItEEEEEEEEEEEE10hipError_tPvRmT3_T4_T5_T6_T7_T9_mT8_P12ihipStream_tbDpT10_ENKUlT_T0_E_clISt17integral_constantIbLb0EES1J_IbLb1EEEEDaS1F_S1G_EUlS1F_E_NS1_11comp_targetILNS1_3genE4ELNS1_11target_archE910ELNS1_3gpuE8ELNS1_3repE0EEENS1_30default_config_static_selectorELNS0_4arch9wavefront6targetE0EEEvT1_,comdat
	.protected	_ZN7rocprim17ROCPRIM_400000_NS6detail17trampoline_kernelINS0_14default_configENS1_25partition_config_selectorILNS1_17partition_subalgoE6EtNS0_10empty_typeEbEEZZNS1_14partition_implILS5_6ELb0ES3_mN6thrust23THRUST_200600_302600_NS6detail15normal_iteratorINSA_10device_ptrItEEEEPS6_SG_NS0_5tupleIJSF_S6_EEENSH_IJSG_SG_EEES6_PlJNSB_9not_fun_tINSB_10functional5actorINSM_9compositeIJNSM_27transparent_binary_operatorINSA_8equal_toIvEEEENSN_INSM_8argumentILj0EEEEENSM_5valueItEEEEEEEEEEEE10hipError_tPvRmT3_T4_T5_T6_T7_T9_mT8_P12ihipStream_tbDpT10_ENKUlT_T0_E_clISt17integral_constantIbLb0EES1J_IbLb1EEEEDaS1F_S1G_EUlS1F_E_NS1_11comp_targetILNS1_3genE4ELNS1_11target_archE910ELNS1_3gpuE8ELNS1_3repE0EEENS1_30default_config_static_selectorELNS0_4arch9wavefront6targetE0EEEvT1_ ; -- Begin function _ZN7rocprim17ROCPRIM_400000_NS6detail17trampoline_kernelINS0_14default_configENS1_25partition_config_selectorILNS1_17partition_subalgoE6EtNS0_10empty_typeEbEEZZNS1_14partition_implILS5_6ELb0ES3_mN6thrust23THRUST_200600_302600_NS6detail15normal_iteratorINSA_10device_ptrItEEEEPS6_SG_NS0_5tupleIJSF_S6_EEENSH_IJSG_SG_EEES6_PlJNSB_9not_fun_tINSB_10functional5actorINSM_9compositeIJNSM_27transparent_binary_operatorINSA_8equal_toIvEEEENSN_INSM_8argumentILj0EEEEENSM_5valueItEEEEEEEEEEEE10hipError_tPvRmT3_T4_T5_T6_T7_T9_mT8_P12ihipStream_tbDpT10_ENKUlT_T0_E_clISt17integral_constantIbLb0EES1J_IbLb1EEEEDaS1F_S1G_EUlS1F_E_NS1_11comp_targetILNS1_3genE4ELNS1_11target_archE910ELNS1_3gpuE8ELNS1_3repE0EEENS1_30default_config_static_selectorELNS0_4arch9wavefront6targetE0EEEvT1_
	.globl	_ZN7rocprim17ROCPRIM_400000_NS6detail17trampoline_kernelINS0_14default_configENS1_25partition_config_selectorILNS1_17partition_subalgoE6EtNS0_10empty_typeEbEEZZNS1_14partition_implILS5_6ELb0ES3_mN6thrust23THRUST_200600_302600_NS6detail15normal_iteratorINSA_10device_ptrItEEEEPS6_SG_NS0_5tupleIJSF_S6_EEENSH_IJSG_SG_EEES6_PlJNSB_9not_fun_tINSB_10functional5actorINSM_9compositeIJNSM_27transparent_binary_operatorINSA_8equal_toIvEEEENSN_INSM_8argumentILj0EEEEENSM_5valueItEEEEEEEEEEEE10hipError_tPvRmT3_T4_T5_T6_T7_T9_mT8_P12ihipStream_tbDpT10_ENKUlT_T0_E_clISt17integral_constantIbLb0EES1J_IbLb1EEEEDaS1F_S1G_EUlS1F_E_NS1_11comp_targetILNS1_3genE4ELNS1_11target_archE910ELNS1_3gpuE8ELNS1_3repE0EEENS1_30default_config_static_selectorELNS0_4arch9wavefront6targetE0EEEvT1_
	.p2align	8
	.type	_ZN7rocprim17ROCPRIM_400000_NS6detail17trampoline_kernelINS0_14default_configENS1_25partition_config_selectorILNS1_17partition_subalgoE6EtNS0_10empty_typeEbEEZZNS1_14partition_implILS5_6ELb0ES3_mN6thrust23THRUST_200600_302600_NS6detail15normal_iteratorINSA_10device_ptrItEEEEPS6_SG_NS0_5tupleIJSF_S6_EEENSH_IJSG_SG_EEES6_PlJNSB_9not_fun_tINSB_10functional5actorINSM_9compositeIJNSM_27transparent_binary_operatorINSA_8equal_toIvEEEENSN_INSM_8argumentILj0EEEEENSM_5valueItEEEEEEEEEEEE10hipError_tPvRmT3_T4_T5_T6_T7_T9_mT8_P12ihipStream_tbDpT10_ENKUlT_T0_E_clISt17integral_constantIbLb0EES1J_IbLb1EEEEDaS1F_S1G_EUlS1F_E_NS1_11comp_targetILNS1_3genE4ELNS1_11target_archE910ELNS1_3gpuE8ELNS1_3repE0EEENS1_30default_config_static_selectorELNS0_4arch9wavefront6targetE0EEEvT1_,@function
_ZN7rocprim17ROCPRIM_400000_NS6detail17trampoline_kernelINS0_14default_configENS1_25partition_config_selectorILNS1_17partition_subalgoE6EtNS0_10empty_typeEbEEZZNS1_14partition_implILS5_6ELb0ES3_mN6thrust23THRUST_200600_302600_NS6detail15normal_iteratorINSA_10device_ptrItEEEEPS6_SG_NS0_5tupleIJSF_S6_EEENSH_IJSG_SG_EEES6_PlJNSB_9not_fun_tINSB_10functional5actorINSM_9compositeIJNSM_27transparent_binary_operatorINSA_8equal_toIvEEEENSN_INSM_8argumentILj0EEEEENSM_5valueItEEEEEEEEEEEE10hipError_tPvRmT3_T4_T5_T6_T7_T9_mT8_P12ihipStream_tbDpT10_ENKUlT_T0_E_clISt17integral_constantIbLb0EES1J_IbLb1EEEEDaS1F_S1G_EUlS1F_E_NS1_11comp_targetILNS1_3genE4ELNS1_11target_archE910ELNS1_3gpuE8ELNS1_3repE0EEENS1_30default_config_static_selectorELNS0_4arch9wavefront6targetE0EEEvT1_: ; @_ZN7rocprim17ROCPRIM_400000_NS6detail17trampoline_kernelINS0_14default_configENS1_25partition_config_selectorILNS1_17partition_subalgoE6EtNS0_10empty_typeEbEEZZNS1_14partition_implILS5_6ELb0ES3_mN6thrust23THRUST_200600_302600_NS6detail15normal_iteratorINSA_10device_ptrItEEEEPS6_SG_NS0_5tupleIJSF_S6_EEENSH_IJSG_SG_EEES6_PlJNSB_9not_fun_tINSB_10functional5actorINSM_9compositeIJNSM_27transparent_binary_operatorINSA_8equal_toIvEEEENSN_INSM_8argumentILj0EEEEENSM_5valueItEEEEEEEEEEEE10hipError_tPvRmT3_T4_T5_T6_T7_T9_mT8_P12ihipStream_tbDpT10_ENKUlT_T0_E_clISt17integral_constantIbLb0EES1J_IbLb1EEEEDaS1F_S1G_EUlS1F_E_NS1_11comp_targetILNS1_3genE4ELNS1_11target_archE910ELNS1_3gpuE8ELNS1_3repE0EEENS1_30default_config_static_selectorELNS0_4arch9wavefront6targetE0EEEvT1_
; %bb.0:
	.section	.rodata,"a",@progbits
	.p2align	6, 0x0
	.amdhsa_kernel _ZN7rocprim17ROCPRIM_400000_NS6detail17trampoline_kernelINS0_14default_configENS1_25partition_config_selectorILNS1_17partition_subalgoE6EtNS0_10empty_typeEbEEZZNS1_14partition_implILS5_6ELb0ES3_mN6thrust23THRUST_200600_302600_NS6detail15normal_iteratorINSA_10device_ptrItEEEEPS6_SG_NS0_5tupleIJSF_S6_EEENSH_IJSG_SG_EEES6_PlJNSB_9not_fun_tINSB_10functional5actorINSM_9compositeIJNSM_27transparent_binary_operatorINSA_8equal_toIvEEEENSN_INSM_8argumentILj0EEEEENSM_5valueItEEEEEEEEEEEE10hipError_tPvRmT3_T4_T5_T6_T7_T9_mT8_P12ihipStream_tbDpT10_ENKUlT_T0_E_clISt17integral_constantIbLb0EES1J_IbLb1EEEEDaS1F_S1G_EUlS1F_E_NS1_11comp_targetILNS1_3genE4ELNS1_11target_archE910ELNS1_3gpuE8ELNS1_3repE0EEENS1_30default_config_static_selectorELNS0_4arch9wavefront6targetE0EEEvT1_
		.amdhsa_group_segment_fixed_size 0
		.amdhsa_private_segment_fixed_size 0
		.amdhsa_kernarg_size 128
		.amdhsa_user_sgpr_count 2
		.amdhsa_user_sgpr_dispatch_ptr 0
		.amdhsa_user_sgpr_queue_ptr 0
		.amdhsa_user_sgpr_kernarg_segment_ptr 1
		.amdhsa_user_sgpr_dispatch_id 0
		.amdhsa_user_sgpr_private_segment_size 0
		.amdhsa_wavefront_size32 1
		.amdhsa_uses_dynamic_stack 0
		.amdhsa_enable_private_segment 0
		.amdhsa_system_sgpr_workgroup_id_x 1
		.amdhsa_system_sgpr_workgroup_id_y 0
		.amdhsa_system_sgpr_workgroup_id_z 0
		.amdhsa_system_sgpr_workgroup_info 0
		.amdhsa_system_vgpr_workitem_id 0
		.amdhsa_next_free_vgpr 1
		.amdhsa_next_free_sgpr 1
		.amdhsa_reserve_vcc 0
		.amdhsa_float_round_mode_32 0
		.amdhsa_float_round_mode_16_64 0
		.amdhsa_float_denorm_mode_32 3
		.amdhsa_float_denorm_mode_16_64 3
		.amdhsa_fp16_overflow 0
		.amdhsa_workgroup_processor_mode 1
		.amdhsa_memory_ordered 1
		.amdhsa_forward_progress 1
		.amdhsa_inst_pref_size 0
		.amdhsa_round_robin_scheduling 0
		.amdhsa_exception_fp_ieee_invalid_op 0
		.amdhsa_exception_fp_denorm_src 0
		.amdhsa_exception_fp_ieee_div_zero 0
		.amdhsa_exception_fp_ieee_overflow 0
		.amdhsa_exception_fp_ieee_underflow 0
		.amdhsa_exception_fp_ieee_inexact 0
		.amdhsa_exception_int_div_zero 0
	.end_amdhsa_kernel
	.section	.text._ZN7rocprim17ROCPRIM_400000_NS6detail17trampoline_kernelINS0_14default_configENS1_25partition_config_selectorILNS1_17partition_subalgoE6EtNS0_10empty_typeEbEEZZNS1_14partition_implILS5_6ELb0ES3_mN6thrust23THRUST_200600_302600_NS6detail15normal_iteratorINSA_10device_ptrItEEEEPS6_SG_NS0_5tupleIJSF_S6_EEENSH_IJSG_SG_EEES6_PlJNSB_9not_fun_tINSB_10functional5actorINSM_9compositeIJNSM_27transparent_binary_operatorINSA_8equal_toIvEEEENSN_INSM_8argumentILj0EEEEENSM_5valueItEEEEEEEEEEEE10hipError_tPvRmT3_T4_T5_T6_T7_T9_mT8_P12ihipStream_tbDpT10_ENKUlT_T0_E_clISt17integral_constantIbLb0EES1J_IbLb1EEEEDaS1F_S1G_EUlS1F_E_NS1_11comp_targetILNS1_3genE4ELNS1_11target_archE910ELNS1_3gpuE8ELNS1_3repE0EEENS1_30default_config_static_selectorELNS0_4arch9wavefront6targetE0EEEvT1_,"axG",@progbits,_ZN7rocprim17ROCPRIM_400000_NS6detail17trampoline_kernelINS0_14default_configENS1_25partition_config_selectorILNS1_17partition_subalgoE6EtNS0_10empty_typeEbEEZZNS1_14partition_implILS5_6ELb0ES3_mN6thrust23THRUST_200600_302600_NS6detail15normal_iteratorINSA_10device_ptrItEEEEPS6_SG_NS0_5tupleIJSF_S6_EEENSH_IJSG_SG_EEES6_PlJNSB_9not_fun_tINSB_10functional5actorINSM_9compositeIJNSM_27transparent_binary_operatorINSA_8equal_toIvEEEENSN_INSM_8argumentILj0EEEEENSM_5valueItEEEEEEEEEEEE10hipError_tPvRmT3_T4_T5_T6_T7_T9_mT8_P12ihipStream_tbDpT10_ENKUlT_T0_E_clISt17integral_constantIbLb0EES1J_IbLb1EEEEDaS1F_S1G_EUlS1F_E_NS1_11comp_targetILNS1_3genE4ELNS1_11target_archE910ELNS1_3gpuE8ELNS1_3repE0EEENS1_30default_config_static_selectorELNS0_4arch9wavefront6targetE0EEEvT1_,comdat
.Lfunc_end172:
	.size	_ZN7rocprim17ROCPRIM_400000_NS6detail17trampoline_kernelINS0_14default_configENS1_25partition_config_selectorILNS1_17partition_subalgoE6EtNS0_10empty_typeEbEEZZNS1_14partition_implILS5_6ELb0ES3_mN6thrust23THRUST_200600_302600_NS6detail15normal_iteratorINSA_10device_ptrItEEEEPS6_SG_NS0_5tupleIJSF_S6_EEENSH_IJSG_SG_EEES6_PlJNSB_9not_fun_tINSB_10functional5actorINSM_9compositeIJNSM_27transparent_binary_operatorINSA_8equal_toIvEEEENSN_INSM_8argumentILj0EEEEENSM_5valueItEEEEEEEEEEEE10hipError_tPvRmT3_T4_T5_T6_T7_T9_mT8_P12ihipStream_tbDpT10_ENKUlT_T0_E_clISt17integral_constantIbLb0EES1J_IbLb1EEEEDaS1F_S1G_EUlS1F_E_NS1_11comp_targetILNS1_3genE4ELNS1_11target_archE910ELNS1_3gpuE8ELNS1_3repE0EEENS1_30default_config_static_selectorELNS0_4arch9wavefront6targetE0EEEvT1_, .Lfunc_end172-_ZN7rocprim17ROCPRIM_400000_NS6detail17trampoline_kernelINS0_14default_configENS1_25partition_config_selectorILNS1_17partition_subalgoE6EtNS0_10empty_typeEbEEZZNS1_14partition_implILS5_6ELb0ES3_mN6thrust23THRUST_200600_302600_NS6detail15normal_iteratorINSA_10device_ptrItEEEEPS6_SG_NS0_5tupleIJSF_S6_EEENSH_IJSG_SG_EEES6_PlJNSB_9not_fun_tINSB_10functional5actorINSM_9compositeIJNSM_27transparent_binary_operatorINSA_8equal_toIvEEEENSN_INSM_8argumentILj0EEEEENSM_5valueItEEEEEEEEEEEE10hipError_tPvRmT3_T4_T5_T6_T7_T9_mT8_P12ihipStream_tbDpT10_ENKUlT_T0_E_clISt17integral_constantIbLb0EES1J_IbLb1EEEEDaS1F_S1G_EUlS1F_E_NS1_11comp_targetILNS1_3genE4ELNS1_11target_archE910ELNS1_3gpuE8ELNS1_3repE0EEENS1_30default_config_static_selectorELNS0_4arch9wavefront6targetE0EEEvT1_
                                        ; -- End function
	.set _ZN7rocprim17ROCPRIM_400000_NS6detail17trampoline_kernelINS0_14default_configENS1_25partition_config_selectorILNS1_17partition_subalgoE6EtNS0_10empty_typeEbEEZZNS1_14partition_implILS5_6ELb0ES3_mN6thrust23THRUST_200600_302600_NS6detail15normal_iteratorINSA_10device_ptrItEEEEPS6_SG_NS0_5tupleIJSF_S6_EEENSH_IJSG_SG_EEES6_PlJNSB_9not_fun_tINSB_10functional5actorINSM_9compositeIJNSM_27transparent_binary_operatorINSA_8equal_toIvEEEENSN_INSM_8argumentILj0EEEEENSM_5valueItEEEEEEEEEEEE10hipError_tPvRmT3_T4_T5_T6_T7_T9_mT8_P12ihipStream_tbDpT10_ENKUlT_T0_E_clISt17integral_constantIbLb0EES1J_IbLb1EEEEDaS1F_S1G_EUlS1F_E_NS1_11comp_targetILNS1_3genE4ELNS1_11target_archE910ELNS1_3gpuE8ELNS1_3repE0EEENS1_30default_config_static_selectorELNS0_4arch9wavefront6targetE0EEEvT1_.num_vgpr, 0
	.set _ZN7rocprim17ROCPRIM_400000_NS6detail17trampoline_kernelINS0_14default_configENS1_25partition_config_selectorILNS1_17partition_subalgoE6EtNS0_10empty_typeEbEEZZNS1_14partition_implILS5_6ELb0ES3_mN6thrust23THRUST_200600_302600_NS6detail15normal_iteratorINSA_10device_ptrItEEEEPS6_SG_NS0_5tupleIJSF_S6_EEENSH_IJSG_SG_EEES6_PlJNSB_9not_fun_tINSB_10functional5actorINSM_9compositeIJNSM_27transparent_binary_operatorINSA_8equal_toIvEEEENSN_INSM_8argumentILj0EEEEENSM_5valueItEEEEEEEEEEEE10hipError_tPvRmT3_T4_T5_T6_T7_T9_mT8_P12ihipStream_tbDpT10_ENKUlT_T0_E_clISt17integral_constantIbLb0EES1J_IbLb1EEEEDaS1F_S1G_EUlS1F_E_NS1_11comp_targetILNS1_3genE4ELNS1_11target_archE910ELNS1_3gpuE8ELNS1_3repE0EEENS1_30default_config_static_selectorELNS0_4arch9wavefront6targetE0EEEvT1_.num_agpr, 0
	.set _ZN7rocprim17ROCPRIM_400000_NS6detail17trampoline_kernelINS0_14default_configENS1_25partition_config_selectorILNS1_17partition_subalgoE6EtNS0_10empty_typeEbEEZZNS1_14partition_implILS5_6ELb0ES3_mN6thrust23THRUST_200600_302600_NS6detail15normal_iteratorINSA_10device_ptrItEEEEPS6_SG_NS0_5tupleIJSF_S6_EEENSH_IJSG_SG_EEES6_PlJNSB_9not_fun_tINSB_10functional5actorINSM_9compositeIJNSM_27transparent_binary_operatorINSA_8equal_toIvEEEENSN_INSM_8argumentILj0EEEEENSM_5valueItEEEEEEEEEEEE10hipError_tPvRmT3_T4_T5_T6_T7_T9_mT8_P12ihipStream_tbDpT10_ENKUlT_T0_E_clISt17integral_constantIbLb0EES1J_IbLb1EEEEDaS1F_S1G_EUlS1F_E_NS1_11comp_targetILNS1_3genE4ELNS1_11target_archE910ELNS1_3gpuE8ELNS1_3repE0EEENS1_30default_config_static_selectorELNS0_4arch9wavefront6targetE0EEEvT1_.numbered_sgpr, 0
	.set _ZN7rocprim17ROCPRIM_400000_NS6detail17trampoline_kernelINS0_14default_configENS1_25partition_config_selectorILNS1_17partition_subalgoE6EtNS0_10empty_typeEbEEZZNS1_14partition_implILS5_6ELb0ES3_mN6thrust23THRUST_200600_302600_NS6detail15normal_iteratorINSA_10device_ptrItEEEEPS6_SG_NS0_5tupleIJSF_S6_EEENSH_IJSG_SG_EEES6_PlJNSB_9not_fun_tINSB_10functional5actorINSM_9compositeIJNSM_27transparent_binary_operatorINSA_8equal_toIvEEEENSN_INSM_8argumentILj0EEEEENSM_5valueItEEEEEEEEEEEE10hipError_tPvRmT3_T4_T5_T6_T7_T9_mT8_P12ihipStream_tbDpT10_ENKUlT_T0_E_clISt17integral_constantIbLb0EES1J_IbLb1EEEEDaS1F_S1G_EUlS1F_E_NS1_11comp_targetILNS1_3genE4ELNS1_11target_archE910ELNS1_3gpuE8ELNS1_3repE0EEENS1_30default_config_static_selectorELNS0_4arch9wavefront6targetE0EEEvT1_.num_named_barrier, 0
	.set _ZN7rocprim17ROCPRIM_400000_NS6detail17trampoline_kernelINS0_14default_configENS1_25partition_config_selectorILNS1_17partition_subalgoE6EtNS0_10empty_typeEbEEZZNS1_14partition_implILS5_6ELb0ES3_mN6thrust23THRUST_200600_302600_NS6detail15normal_iteratorINSA_10device_ptrItEEEEPS6_SG_NS0_5tupleIJSF_S6_EEENSH_IJSG_SG_EEES6_PlJNSB_9not_fun_tINSB_10functional5actorINSM_9compositeIJNSM_27transparent_binary_operatorINSA_8equal_toIvEEEENSN_INSM_8argumentILj0EEEEENSM_5valueItEEEEEEEEEEEE10hipError_tPvRmT3_T4_T5_T6_T7_T9_mT8_P12ihipStream_tbDpT10_ENKUlT_T0_E_clISt17integral_constantIbLb0EES1J_IbLb1EEEEDaS1F_S1G_EUlS1F_E_NS1_11comp_targetILNS1_3genE4ELNS1_11target_archE910ELNS1_3gpuE8ELNS1_3repE0EEENS1_30default_config_static_selectorELNS0_4arch9wavefront6targetE0EEEvT1_.private_seg_size, 0
	.set _ZN7rocprim17ROCPRIM_400000_NS6detail17trampoline_kernelINS0_14default_configENS1_25partition_config_selectorILNS1_17partition_subalgoE6EtNS0_10empty_typeEbEEZZNS1_14partition_implILS5_6ELb0ES3_mN6thrust23THRUST_200600_302600_NS6detail15normal_iteratorINSA_10device_ptrItEEEEPS6_SG_NS0_5tupleIJSF_S6_EEENSH_IJSG_SG_EEES6_PlJNSB_9not_fun_tINSB_10functional5actorINSM_9compositeIJNSM_27transparent_binary_operatorINSA_8equal_toIvEEEENSN_INSM_8argumentILj0EEEEENSM_5valueItEEEEEEEEEEEE10hipError_tPvRmT3_T4_T5_T6_T7_T9_mT8_P12ihipStream_tbDpT10_ENKUlT_T0_E_clISt17integral_constantIbLb0EES1J_IbLb1EEEEDaS1F_S1G_EUlS1F_E_NS1_11comp_targetILNS1_3genE4ELNS1_11target_archE910ELNS1_3gpuE8ELNS1_3repE0EEENS1_30default_config_static_selectorELNS0_4arch9wavefront6targetE0EEEvT1_.uses_vcc, 0
	.set _ZN7rocprim17ROCPRIM_400000_NS6detail17trampoline_kernelINS0_14default_configENS1_25partition_config_selectorILNS1_17partition_subalgoE6EtNS0_10empty_typeEbEEZZNS1_14partition_implILS5_6ELb0ES3_mN6thrust23THRUST_200600_302600_NS6detail15normal_iteratorINSA_10device_ptrItEEEEPS6_SG_NS0_5tupleIJSF_S6_EEENSH_IJSG_SG_EEES6_PlJNSB_9not_fun_tINSB_10functional5actorINSM_9compositeIJNSM_27transparent_binary_operatorINSA_8equal_toIvEEEENSN_INSM_8argumentILj0EEEEENSM_5valueItEEEEEEEEEEEE10hipError_tPvRmT3_T4_T5_T6_T7_T9_mT8_P12ihipStream_tbDpT10_ENKUlT_T0_E_clISt17integral_constantIbLb0EES1J_IbLb1EEEEDaS1F_S1G_EUlS1F_E_NS1_11comp_targetILNS1_3genE4ELNS1_11target_archE910ELNS1_3gpuE8ELNS1_3repE0EEENS1_30default_config_static_selectorELNS0_4arch9wavefront6targetE0EEEvT1_.uses_flat_scratch, 0
	.set _ZN7rocprim17ROCPRIM_400000_NS6detail17trampoline_kernelINS0_14default_configENS1_25partition_config_selectorILNS1_17partition_subalgoE6EtNS0_10empty_typeEbEEZZNS1_14partition_implILS5_6ELb0ES3_mN6thrust23THRUST_200600_302600_NS6detail15normal_iteratorINSA_10device_ptrItEEEEPS6_SG_NS0_5tupleIJSF_S6_EEENSH_IJSG_SG_EEES6_PlJNSB_9not_fun_tINSB_10functional5actorINSM_9compositeIJNSM_27transparent_binary_operatorINSA_8equal_toIvEEEENSN_INSM_8argumentILj0EEEEENSM_5valueItEEEEEEEEEEEE10hipError_tPvRmT3_T4_T5_T6_T7_T9_mT8_P12ihipStream_tbDpT10_ENKUlT_T0_E_clISt17integral_constantIbLb0EES1J_IbLb1EEEEDaS1F_S1G_EUlS1F_E_NS1_11comp_targetILNS1_3genE4ELNS1_11target_archE910ELNS1_3gpuE8ELNS1_3repE0EEENS1_30default_config_static_selectorELNS0_4arch9wavefront6targetE0EEEvT1_.has_dyn_sized_stack, 0
	.set _ZN7rocprim17ROCPRIM_400000_NS6detail17trampoline_kernelINS0_14default_configENS1_25partition_config_selectorILNS1_17partition_subalgoE6EtNS0_10empty_typeEbEEZZNS1_14partition_implILS5_6ELb0ES3_mN6thrust23THRUST_200600_302600_NS6detail15normal_iteratorINSA_10device_ptrItEEEEPS6_SG_NS0_5tupleIJSF_S6_EEENSH_IJSG_SG_EEES6_PlJNSB_9not_fun_tINSB_10functional5actorINSM_9compositeIJNSM_27transparent_binary_operatorINSA_8equal_toIvEEEENSN_INSM_8argumentILj0EEEEENSM_5valueItEEEEEEEEEEEE10hipError_tPvRmT3_T4_T5_T6_T7_T9_mT8_P12ihipStream_tbDpT10_ENKUlT_T0_E_clISt17integral_constantIbLb0EES1J_IbLb1EEEEDaS1F_S1G_EUlS1F_E_NS1_11comp_targetILNS1_3genE4ELNS1_11target_archE910ELNS1_3gpuE8ELNS1_3repE0EEENS1_30default_config_static_selectorELNS0_4arch9wavefront6targetE0EEEvT1_.has_recursion, 0
	.set _ZN7rocprim17ROCPRIM_400000_NS6detail17trampoline_kernelINS0_14default_configENS1_25partition_config_selectorILNS1_17partition_subalgoE6EtNS0_10empty_typeEbEEZZNS1_14partition_implILS5_6ELb0ES3_mN6thrust23THRUST_200600_302600_NS6detail15normal_iteratorINSA_10device_ptrItEEEEPS6_SG_NS0_5tupleIJSF_S6_EEENSH_IJSG_SG_EEES6_PlJNSB_9not_fun_tINSB_10functional5actorINSM_9compositeIJNSM_27transparent_binary_operatorINSA_8equal_toIvEEEENSN_INSM_8argumentILj0EEEEENSM_5valueItEEEEEEEEEEEE10hipError_tPvRmT3_T4_T5_T6_T7_T9_mT8_P12ihipStream_tbDpT10_ENKUlT_T0_E_clISt17integral_constantIbLb0EES1J_IbLb1EEEEDaS1F_S1G_EUlS1F_E_NS1_11comp_targetILNS1_3genE4ELNS1_11target_archE910ELNS1_3gpuE8ELNS1_3repE0EEENS1_30default_config_static_selectorELNS0_4arch9wavefront6targetE0EEEvT1_.has_indirect_call, 0
	.section	.AMDGPU.csdata,"",@progbits
; Kernel info:
; codeLenInByte = 0
; TotalNumSgprs: 0
; NumVgprs: 0
; ScratchSize: 0
; MemoryBound: 0
; FloatMode: 240
; IeeeMode: 1
; LDSByteSize: 0 bytes/workgroup (compile time only)
; SGPRBlocks: 0
; VGPRBlocks: 0
; NumSGPRsForWavesPerEU: 1
; NumVGPRsForWavesPerEU: 1
; Occupancy: 16
; WaveLimiterHint : 0
; COMPUTE_PGM_RSRC2:SCRATCH_EN: 0
; COMPUTE_PGM_RSRC2:USER_SGPR: 2
; COMPUTE_PGM_RSRC2:TRAP_HANDLER: 0
; COMPUTE_PGM_RSRC2:TGID_X_EN: 1
; COMPUTE_PGM_RSRC2:TGID_Y_EN: 0
; COMPUTE_PGM_RSRC2:TGID_Z_EN: 0
; COMPUTE_PGM_RSRC2:TIDIG_COMP_CNT: 0
	.section	.text._ZN7rocprim17ROCPRIM_400000_NS6detail17trampoline_kernelINS0_14default_configENS1_25partition_config_selectorILNS1_17partition_subalgoE6EtNS0_10empty_typeEbEEZZNS1_14partition_implILS5_6ELb0ES3_mN6thrust23THRUST_200600_302600_NS6detail15normal_iteratorINSA_10device_ptrItEEEEPS6_SG_NS0_5tupleIJSF_S6_EEENSH_IJSG_SG_EEES6_PlJNSB_9not_fun_tINSB_10functional5actorINSM_9compositeIJNSM_27transparent_binary_operatorINSA_8equal_toIvEEEENSN_INSM_8argumentILj0EEEEENSM_5valueItEEEEEEEEEEEE10hipError_tPvRmT3_T4_T5_T6_T7_T9_mT8_P12ihipStream_tbDpT10_ENKUlT_T0_E_clISt17integral_constantIbLb0EES1J_IbLb1EEEEDaS1F_S1G_EUlS1F_E_NS1_11comp_targetILNS1_3genE3ELNS1_11target_archE908ELNS1_3gpuE7ELNS1_3repE0EEENS1_30default_config_static_selectorELNS0_4arch9wavefront6targetE0EEEvT1_,"axG",@progbits,_ZN7rocprim17ROCPRIM_400000_NS6detail17trampoline_kernelINS0_14default_configENS1_25partition_config_selectorILNS1_17partition_subalgoE6EtNS0_10empty_typeEbEEZZNS1_14partition_implILS5_6ELb0ES3_mN6thrust23THRUST_200600_302600_NS6detail15normal_iteratorINSA_10device_ptrItEEEEPS6_SG_NS0_5tupleIJSF_S6_EEENSH_IJSG_SG_EEES6_PlJNSB_9not_fun_tINSB_10functional5actorINSM_9compositeIJNSM_27transparent_binary_operatorINSA_8equal_toIvEEEENSN_INSM_8argumentILj0EEEEENSM_5valueItEEEEEEEEEEEE10hipError_tPvRmT3_T4_T5_T6_T7_T9_mT8_P12ihipStream_tbDpT10_ENKUlT_T0_E_clISt17integral_constantIbLb0EES1J_IbLb1EEEEDaS1F_S1G_EUlS1F_E_NS1_11comp_targetILNS1_3genE3ELNS1_11target_archE908ELNS1_3gpuE7ELNS1_3repE0EEENS1_30default_config_static_selectorELNS0_4arch9wavefront6targetE0EEEvT1_,comdat
	.protected	_ZN7rocprim17ROCPRIM_400000_NS6detail17trampoline_kernelINS0_14default_configENS1_25partition_config_selectorILNS1_17partition_subalgoE6EtNS0_10empty_typeEbEEZZNS1_14partition_implILS5_6ELb0ES3_mN6thrust23THRUST_200600_302600_NS6detail15normal_iteratorINSA_10device_ptrItEEEEPS6_SG_NS0_5tupleIJSF_S6_EEENSH_IJSG_SG_EEES6_PlJNSB_9not_fun_tINSB_10functional5actorINSM_9compositeIJNSM_27transparent_binary_operatorINSA_8equal_toIvEEEENSN_INSM_8argumentILj0EEEEENSM_5valueItEEEEEEEEEEEE10hipError_tPvRmT3_T4_T5_T6_T7_T9_mT8_P12ihipStream_tbDpT10_ENKUlT_T0_E_clISt17integral_constantIbLb0EES1J_IbLb1EEEEDaS1F_S1G_EUlS1F_E_NS1_11comp_targetILNS1_3genE3ELNS1_11target_archE908ELNS1_3gpuE7ELNS1_3repE0EEENS1_30default_config_static_selectorELNS0_4arch9wavefront6targetE0EEEvT1_ ; -- Begin function _ZN7rocprim17ROCPRIM_400000_NS6detail17trampoline_kernelINS0_14default_configENS1_25partition_config_selectorILNS1_17partition_subalgoE6EtNS0_10empty_typeEbEEZZNS1_14partition_implILS5_6ELb0ES3_mN6thrust23THRUST_200600_302600_NS6detail15normal_iteratorINSA_10device_ptrItEEEEPS6_SG_NS0_5tupleIJSF_S6_EEENSH_IJSG_SG_EEES6_PlJNSB_9not_fun_tINSB_10functional5actorINSM_9compositeIJNSM_27transparent_binary_operatorINSA_8equal_toIvEEEENSN_INSM_8argumentILj0EEEEENSM_5valueItEEEEEEEEEEEE10hipError_tPvRmT3_T4_T5_T6_T7_T9_mT8_P12ihipStream_tbDpT10_ENKUlT_T0_E_clISt17integral_constantIbLb0EES1J_IbLb1EEEEDaS1F_S1G_EUlS1F_E_NS1_11comp_targetILNS1_3genE3ELNS1_11target_archE908ELNS1_3gpuE7ELNS1_3repE0EEENS1_30default_config_static_selectorELNS0_4arch9wavefront6targetE0EEEvT1_
	.globl	_ZN7rocprim17ROCPRIM_400000_NS6detail17trampoline_kernelINS0_14default_configENS1_25partition_config_selectorILNS1_17partition_subalgoE6EtNS0_10empty_typeEbEEZZNS1_14partition_implILS5_6ELb0ES3_mN6thrust23THRUST_200600_302600_NS6detail15normal_iteratorINSA_10device_ptrItEEEEPS6_SG_NS0_5tupleIJSF_S6_EEENSH_IJSG_SG_EEES6_PlJNSB_9not_fun_tINSB_10functional5actorINSM_9compositeIJNSM_27transparent_binary_operatorINSA_8equal_toIvEEEENSN_INSM_8argumentILj0EEEEENSM_5valueItEEEEEEEEEEEE10hipError_tPvRmT3_T4_T5_T6_T7_T9_mT8_P12ihipStream_tbDpT10_ENKUlT_T0_E_clISt17integral_constantIbLb0EES1J_IbLb1EEEEDaS1F_S1G_EUlS1F_E_NS1_11comp_targetILNS1_3genE3ELNS1_11target_archE908ELNS1_3gpuE7ELNS1_3repE0EEENS1_30default_config_static_selectorELNS0_4arch9wavefront6targetE0EEEvT1_
	.p2align	8
	.type	_ZN7rocprim17ROCPRIM_400000_NS6detail17trampoline_kernelINS0_14default_configENS1_25partition_config_selectorILNS1_17partition_subalgoE6EtNS0_10empty_typeEbEEZZNS1_14partition_implILS5_6ELb0ES3_mN6thrust23THRUST_200600_302600_NS6detail15normal_iteratorINSA_10device_ptrItEEEEPS6_SG_NS0_5tupleIJSF_S6_EEENSH_IJSG_SG_EEES6_PlJNSB_9not_fun_tINSB_10functional5actorINSM_9compositeIJNSM_27transparent_binary_operatorINSA_8equal_toIvEEEENSN_INSM_8argumentILj0EEEEENSM_5valueItEEEEEEEEEEEE10hipError_tPvRmT3_T4_T5_T6_T7_T9_mT8_P12ihipStream_tbDpT10_ENKUlT_T0_E_clISt17integral_constantIbLb0EES1J_IbLb1EEEEDaS1F_S1G_EUlS1F_E_NS1_11comp_targetILNS1_3genE3ELNS1_11target_archE908ELNS1_3gpuE7ELNS1_3repE0EEENS1_30default_config_static_selectorELNS0_4arch9wavefront6targetE0EEEvT1_,@function
_ZN7rocprim17ROCPRIM_400000_NS6detail17trampoline_kernelINS0_14default_configENS1_25partition_config_selectorILNS1_17partition_subalgoE6EtNS0_10empty_typeEbEEZZNS1_14partition_implILS5_6ELb0ES3_mN6thrust23THRUST_200600_302600_NS6detail15normal_iteratorINSA_10device_ptrItEEEEPS6_SG_NS0_5tupleIJSF_S6_EEENSH_IJSG_SG_EEES6_PlJNSB_9not_fun_tINSB_10functional5actorINSM_9compositeIJNSM_27transparent_binary_operatorINSA_8equal_toIvEEEENSN_INSM_8argumentILj0EEEEENSM_5valueItEEEEEEEEEEEE10hipError_tPvRmT3_T4_T5_T6_T7_T9_mT8_P12ihipStream_tbDpT10_ENKUlT_T0_E_clISt17integral_constantIbLb0EES1J_IbLb1EEEEDaS1F_S1G_EUlS1F_E_NS1_11comp_targetILNS1_3genE3ELNS1_11target_archE908ELNS1_3gpuE7ELNS1_3repE0EEENS1_30default_config_static_selectorELNS0_4arch9wavefront6targetE0EEEvT1_: ; @_ZN7rocprim17ROCPRIM_400000_NS6detail17trampoline_kernelINS0_14default_configENS1_25partition_config_selectorILNS1_17partition_subalgoE6EtNS0_10empty_typeEbEEZZNS1_14partition_implILS5_6ELb0ES3_mN6thrust23THRUST_200600_302600_NS6detail15normal_iteratorINSA_10device_ptrItEEEEPS6_SG_NS0_5tupleIJSF_S6_EEENSH_IJSG_SG_EEES6_PlJNSB_9not_fun_tINSB_10functional5actorINSM_9compositeIJNSM_27transparent_binary_operatorINSA_8equal_toIvEEEENSN_INSM_8argumentILj0EEEEENSM_5valueItEEEEEEEEEEEE10hipError_tPvRmT3_T4_T5_T6_T7_T9_mT8_P12ihipStream_tbDpT10_ENKUlT_T0_E_clISt17integral_constantIbLb0EES1J_IbLb1EEEEDaS1F_S1G_EUlS1F_E_NS1_11comp_targetILNS1_3genE3ELNS1_11target_archE908ELNS1_3gpuE7ELNS1_3repE0EEENS1_30default_config_static_selectorELNS0_4arch9wavefront6targetE0EEEvT1_
; %bb.0:
	.section	.rodata,"a",@progbits
	.p2align	6, 0x0
	.amdhsa_kernel _ZN7rocprim17ROCPRIM_400000_NS6detail17trampoline_kernelINS0_14default_configENS1_25partition_config_selectorILNS1_17partition_subalgoE6EtNS0_10empty_typeEbEEZZNS1_14partition_implILS5_6ELb0ES3_mN6thrust23THRUST_200600_302600_NS6detail15normal_iteratorINSA_10device_ptrItEEEEPS6_SG_NS0_5tupleIJSF_S6_EEENSH_IJSG_SG_EEES6_PlJNSB_9not_fun_tINSB_10functional5actorINSM_9compositeIJNSM_27transparent_binary_operatorINSA_8equal_toIvEEEENSN_INSM_8argumentILj0EEEEENSM_5valueItEEEEEEEEEEEE10hipError_tPvRmT3_T4_T5_T6_T7_T9_mT8_P12ihipStream_tbDpT10_ENKUlT_T0_E_clISt17integral_constantIbLb0EES1J_IbLb1EEEEDaS1F_S1G_EUlS1F_E_NS1_11comp_targetILNS1_3genE3ELNS1_11target_archE908ELNS1_3gpuE7ELNS1_3repE0EEENS1_30default_config_static_selectorELNS0_4arch9wavefront6targetE0EEEvT1_
		.amdhsa_group_segment_fixed_size 0
		.amdhsa_private_segment_fixed_size 0
		.amdhsa_kernarg_size 128
		.amdhsa_user_sgpr_count 2
		.amdhsa_user_sgpr_dispatch_ptr 0
		.amdhsa_user_sgpr_queue_ptr 0
		.amdhsa_user_sgpr_kernarg_segment_ptr 1
		.amdhsa_user_sgpr_dispatch_id 0
		.amdhsa_user_sgpr_private_segment_size 0
		.amdhsa_wavefront_size32 1
		.amdhsa_uses_dynamic_stack 0
		.amdhsa_enable_private_segment 0
		.amdhsa_system_sgpr_workgroup_id_x 1
		.amdhsa_system_sgpr_workgroup_id_y 0
		.amdhsa_system_sgpr_workgroup_id_z 0
		.amdhsa_system_sgpr_workgroup_info 0
		.amdhsa_system_vgpr_workitem_id 0
		.amdhsa_next_free_vgpr 1
		.amdhsa_next_free_sgpr 1
		.amdhsa_reserve_vcc 0
		.amdhsa_float_round_mode_32 0
		.amdhsa_float_round_mode_16_64 0
		.amdhsa_float_denorm_mode_32 3
		.amdhsa_float_denorm_mode_16_64 3
		.amdhsa_fp16_overflow 0
		.amdhsa_workgroup_processor_mode 1
		.amdhsa_memory_ordered 1
		.amdhsa_forward_progress 1
		.amdhsa_inst_pref_size 0
		.amdhsa_round_robin_scheduling 0
		.amdhsa_exception_fp_ieee_invalid_op 0
		.amdhsa_exception_fp_denorm_src 0
		.amdhsa_exception_fp_ieee_div_zero 0
		.amdhsa_exception_fp_ieee_overflow 0
		.amdhsa_exception_fp_ieee_underflow 0
		.amdhsa_exception_fp_ieee_inexact 0
		.amdhsa_exception_int_div_zero 0
	.end_amdhsa_kernel
	.section	.text._ZN7rocprim17ROCPRIM_400000_NS6detail17trampoline_kernelINS0_14default_configENS1_25partition_config_selectorILNS1_17partition_subalgoE6EtNS0_10empty_typeEbEEZZNS1_14partition_implILS5_6ELb0ES3_mN6thrust23THRUST_200600_302600_NS6detail15normal_iteratorINSA_10device_ptrItEEEEPS6_SG_NS0_5tupleIJSF_S6_EEENSH_IJSG_SG_EEES6_PlJNSB_9not_fun_tINSB_10functional5actorINSM_9compositeIJNSM_27transparent_binary_operatorINSA_8equal_toIvEEEENSN_INSM_8argumentILj0EEEEENSM_5valueItEEEEEEEEEEEE10hipError_tPvRmT3_T4_T5_T6_T7_T9_mT8_P12ihipStream_tbDpT10_ENKUlT_T0_E_clISt17integral_constantIbLb0EES1J_IbLb1EEEEDaS1F_S1G_EUlS1F_E_NS1_11comp_targetILNS1_3genE3ELNS1_11target_archE908ELNS1_3gpuE7ELNS1_3repE0EEENS1_30default_config_static_selectorELNS0_4arch9wavefront6targetE0EEEvT1_,"axG",@progbits,_ZN7rocprim17ROCPRIM_400000_NS6detail17trampoline_kernelINS0_14default_configENS1_25partition_config_selectorILNS1_17partition_subalgoE6EtNS0_10empty_typeEbEEZZNS1_14partition_implILS5_6ELb0ES3_mN6thrust23THRUST_200600_302600_NS6detail15normal_iteratorINSA_10device_ptrItEEEEPS6_SG_NS0_5tupleIJSF_S6_EEENSH_IJSG_SG_EEES6_PlJNSB_9not_fun_tINSB_10functional5actorINSM_9compositeIJNSM_27transparent_binary_operatorINSA_8equal_toIvEEEENSN_INSM_8argumentILj0EEEEENSM_5valueItEEEEEEEEEEEE10hipError_tPvRmT3_T4_T5_T6_T7_T9_mT8_P12ihipStream_tbDpT10_ENKUlT_T0_E_clISt17integral_constantIbLb0EES1J_IbLb1EEEEDaS1F_S1G_EUlS1F_E_NS1_11comp_targetILNS1_3genE3ELNS1_11target_archE908ELNS1_3gpuE7ELNS1_3repE0EEENS1_30default_config_static_selectorELNS0_4arch9wavefront6targetE0EEEvT1_,comdat
.Lfunc_end173:
	.size	_ZN7rocprim17ROCPRIM_400000_NS6detail17trampoline_kernelINS0_14default_configENS1_25partition_config_selectorILNS1_17partition_subalgoE6EtNS0_10empty_typeEbEEZZNS1_14partition_implILS5_6ELb0ES3_mN6thrust23THRUST_200600_302600_NS6detail15normal_iteratorINSA_10device_ptrItEEEEPS6_SG_NS0_5tupleIJSF_S6_EEENSH_IJSG_SG_EEES6_PlJNSB_9not_fun_tINSB_10functional5actorINSM_9compositeIJNSM_27transparent_binary_operatorINSA_8equal_toIvEEEENSN_INSM_8argumentILj0EEEEENSM_5valueItEEEEEEEEEEEE10hipError_tPvRmT3_T4_T5_T6_T7_T9_mT8_P12ihipStream_tbDpT10_ENKUlT_T0_E_clISt17integral_constantIbLb0EES1J_IbLb1EEEEDaS1F_S1G_EUlS1F_E_NS1_11comp_targetILNS1_3genE3ELNS1_11target_archE908ELNS1_3gpuE7ELNS1_3repE0EEENS1_30default_config_static_selectorELNS0_4arch9wavefront6targetE0EEEvT1_, .Lfunc_end173-_ZN7rocprim17ROCPRIM_400000_NS6detail17trampoline_kernelINS0_14default_configENS1_25partition_config_selectorILNS1_17partition_subalgoE6EtNS0_10empty_typeEbEEZZNS1_14partition_implILS5_6ELb0ES3_mN6thrust23THRUST_200600_302600_NS6detail15normal_iteratorINSA_10device_ptrItEEEEPS6_SG_NS0_5tupleIJSF_S6_EEENSH_IJSG_SG_EEES6_PlJNSB_9not_fun_tINSB_10functional5actorINSM_9compositeIJNSM_27transparent_binary_operatorINSA_8equal_toIvEEEENSN_INSM_8argumentILj0EEEEENSM_5valueItEEEEEEEEEEEE10hipError_tPvRmT3_T4_T5_T6_T7_T9_mT8_P12ihipStream_tbDpT10_ENKUlT_T0_E_clISt17integral_constantIbLb0EES1J_IbLb1EEEEDaS1F_S1G_EUlS1F_E_NS1_11comp_targetILNS1_3genE3ELNS1_11target_archE908ELNS1_3gpuE7ELNS1_3repE0EEENS1_30default_config_static_selectorELNS0_4arch9wavefront6targetE0EEEvT1_
                                        ; -- End function
	.set _ZN7rocprim17ROCPRIM_400000_NS6detail17trampoline_kernelINS0_14default_configENS1_25partition_config_selectorILNS1_17partition_subalgoE6EtNS0_10empty_typeEbEEZZNS1_14partition_implILS5_6ELb0ES3_mN6thrust23THRUST_200600_302600_NS6detail15normal_iteratorINSA_10device_ptrItEEEEPS6_SG_NS0_5tupleIJSF_S6_EEENSH_IJSG_SG_EEES6_PlJNSB_9not_fun_tINSB_10functional5actorINSM_9compositeIJNSM_27transparent_binary_operatorINSA_8equal_toIvEEEENSN_INSM_8argumentILj0EEEEENSM_5valueItEEEEEEEEEEEE10hipError_tPvRmT3_T4_T5_T6_T7_T9_mT8_P12ihipStream_tbDpT10_ENKUlT_T0_E_clISt17integral_constantIbLb0EES1J_IbLb1EEEEDaS1F_S1G_EUlS1F_E_NS1_11comp_targetILNS1_3genE3ELNS1_11target_archE908ELNS1_3gpuE7ELNS1_3repE0EEENS1_30default_config_static_selectorELNS0_4arch9wavefront6targetE0EEEvT1_.num_vgpr, 0
	.set _ZN7rocprim17ROCPRIM_400000_NS6detail17trampoline_kernelINS0_14default_configENS1_25partition_config_selectorILNS1_17partition_subalgoE6EtNS0_10empty_typeEbEEZZNS1_14partition_implILS5_6ELb0ES3_mN6thrust23THRUST_200600_302600_NS6detail15normal_iteratorINSA_10device_ptrItEEEEPS6_SG_NS0_5tupleIJSF_S6_EEENSH_IJSG_SG_EEES6_PlJNSB_9not_fun_tINSB_10functional5actorINSM_9compositeIJNSM_27transparent_binary_operatorINSA_8equal_toIvEEEENSN_INSM_8argumentILj0EEEEENSM_5valueItEEEEEEEEEEEE10hipError_tPvRmT3_T4_T5_T6_T7_T9_mT8_P12ihipStream_tbDpT10_ENKUlT_T0_E_clISt17integral_constantIbLb0EES1J_IbLb1EEEEDaS1F_S1G_EUlS1F_E_NS1_11comp_targetILNS1_3genE3ELNS1_11target_archE908ELNS1_3gpuE7ELNS1_3repE0EEENS1_30default_config_static_selectorELNS0_4arch9wavefront6targetE0EEEvT1_.num_agpr, 0
	.set _ZN7rocprim17ROCPRIM_400000_NS6detail17trampoline_kernelINS0_14default_configENS1_25partition_config_selectorILNS1_17partition_subalgoE6EtNS0_10empty_typeEbEEZZNS1_14partition_implILS5_6ELb0ES3_mN6thrust23THRUST_200600_302600_NS6detail15normal_iteratorINSA_10device_ptrItEEEEPS6_SG_NS0_5tupleIJSF_S6_EEENSH_IJSG_SG_EEES6_PlJNSB_9not_fun_tINSB_10functional5actorINSM_9compositeIJNSM_27transparent_binary_operatorINSA_8equal_toIvEEEENSN_INSM_8argumentILj0EEEEENSM_5valueItEEEEEEEEEEEE10hipError_tPvRmT3_T4_T5_T6_T7_T9_mT8_P12ihipStream_tbDpT10_ENKUlT_T0_E_clISt17integral_constantIbLb0EES1J_IbLb1EEEEDaS1F_S1G_EUlS1F_E_NS1_11comp_targetILNS1_3genE3ELNS1_11target_archE908ELNS1_3gpuE7ELNS1_3repE0EEENS1_30default_config_static_selectorELNS0_4arch9wavefront6targetE0EEEvT1_.numbered_sgpr, 0
	.set _ZN7rocprim17ROCPRIM_400000_NS6detail17trampoline_kernelINS0_14default_configENS1_25partition_config_selectorILNS1_17partition_subalgoE6EtNS0_10empty_typeEbEEZZNS1_14partition_implILS5_6ELb0ES3_mN6thrust23THRUST_200600_302600_NS6detail15normal_iteratorINSA_10device_ptrItEEEEPS6_SG_NS0_5tupleIJSF_S6_EEENSH_IJSG_SG_EEES6_PlJNSB_9not_fun_tINSB_10functional5actorINSM_9compositeIJNSM_27transparent_binary_operatorINSA_8equal_toIvEEEENSN_INSM_8argumentILj0EEEEENSM_5valueItEEEEEEEEEEEE10hipError_tPvRmT3_T4_T5_T6_T7_T9_mT8_P12ihipStream_tbDpT10_ENKUlT_T0_E_clISt17integral_constantIbLb0EES1J_IbLb1EEEEDaS1F_S1G_EUlS1F_E_NS1_11comp_targetILNS1_3genE3ELNS1_11target_archE908ELNS1_3gpuE7ELNS1_3repE0EEENS1_30default_config_static_selectorELNS0_4arch9wavefront6targetE0EEEvT1_.num_named_barrier, 0
	.set _ZN7rocprim17ROCPRIM_400000_NS6detail17trampoline_kernelINS0_14default_configENS1_25partition_config_selectorILNS1_17partition_subalgoE6EtNS0_10empty_typeEbEEZZNS1_14partition_implILS5_6ELb0ES3_mN6thrust23THRUST_200600_302600_NS6detail15normal_iteratorINSA_10device_ptrItEEEEPS6_SG_NS0_5tupleIJSF_S6_EEENSH_IJSG_SG_EEES6_PlJNSB_9not_fun_tINSB_10functional5actorINSM_9compositeIJNSM_27transparent_binary_operatorINSA_8equal_toIvEEEENSN_INSM_8argumentILj0EEEEENSM_5valueItEEEEEEEEEEEE10hipError_tPvRmT3_T4_T5_T6_T7_T9_mT8_P12ihipStream_tbDpT10_ENKUlT_T0_E_clISt17integral_constantIbLb0EES1J_IbLb1EEEEDaS1F_S1G_EUlS1F_E_NS1_11comp_targetILNS1_3genE3ELNS1_11target_archE908ELNS1_3gpuE7ELNS1_3repE0EEENS1_30default_config_static_selectorELNS0_4arch9wavefront6targetE0EEEvT1_.private_seg_size, 0
	.set _ZN7rocprim17ROCPRIM_400000_NS6detail17trampoline_kernelINS0_14default_configENS1_25partition_config_selectorILNS1_17partition_subalgoE6EtNS0_10empty_typeEbEEZZNS1_14partition_implILS5_6ELb0ES3_mN6thrust23THRUST_200600_302600_NS6detail15normal_iteratorINSA_10device_ptrItEEEEPS6_SG_NS0_5tupleIJSF_S6_EEENSH_IJSG_SG_EEES6_PlJNSB_9not_fun_tINSB_10functional5actorINSM_9compositeIJNSM_27transparent_binary_operatorINSA_8equal_toIvEEEENSN_INSM_8argumentILj0EEEEENSM_5valueItEEEEEEEEEEEE10hipError_tPvRmT3_T4_T5_T6_T7_T9_mT8_P12ihipStream_tbDpT10_ENKUlT_T0_E_clISt17integral_constantIbLb0EES1J_IbLb1EEEEDaS1F_S1G_EUlS1F_E_NS1_11comp_targetILNS1_3genE3ELNS1_11target_archE908ELNS1_3gpuE7ELNS1_3repE0EEENS1_30default_config_static_selectorELNS0_4arch9wavefront6targetE0EEEvT1_.uses_vcc, 0
	.set _ZN7rocprim17ROCPRIM_400000_NS6detail17trampoline_kernelINS0_14default_configENS1_25partition_config_selectorILNS1_17partition_subalgoE6EtNS0_10empty_typeEbEEZZNS1_14partition_implILS5_6ELb0ES3_mN6thrust23THRUST_200600_302600_NS6detail15normal_iteratorINSA_10device_ptrItEEEEPS6_SG_NS0_5tupleIJSF_S6_EEENSH_IJSG_SG_EEES6_PlJNSB_9not_fun_tINSB_10functional5actorINSM_9compositeIJNSM_27transparent_binary_operatorINSA_8equal_toIvEEEENSN_INSM_8argumentILj0EEEEENSM_5valueItEEEEEEEEEEEE10hipError_tPvRmT3_T4_T5_T6_T7_T9_mT8_P12ihipStream_tbDpT10_ENKUlT_T0_E_clISt17integral_constantIbLb0EES1J_IbLb1EEEEDaS1F_S1G_EUlS1F_E_NS1_11comp_targetILNS1_3genE3ELNS1_11target_archE908ELNS1_3gpuE7ELNS1_3repE0EEENS1_30default_config_static_selectorELNS0_4arch9wavefront6targetE0EEEvT1_.uses_flat_scratch, 0
	.set _ZN7rocprim17ROCPRIM_400000_NS6detail17trampoline_kernelINS0_14default_configENS1_25partition_config_selectorILNS1_17partition_subalgoE6EtNS0_10empty_typeEbEEZZNS1_14partition_implILS5_6ELb0ES3_mN6thrust23THRUST_200600_302600_NS6detail15normal_iteratorINSA_10device_ptrItEEEEPS6_SG_NS0_5tupleIJSF_S6_EEENSH_IJSG_SG_EEES6_PlJNSB_9not_fun_tINSB_10functional5actorINSM_9compositeIJNSM_27transparent_binary_operatorINSA_8equal_toIvEEEENSN_INSM_8argumentILj0EEEEENSM_5valueItEEEEEEEEEEEE10hipError_tPvRmT3_T4_T5_T6_T7_T9_mT8_P12ihipStream_tbDpT10_ENKUlT_T0_E_clISt17integral_constantIbLb0EES1J_IbLb1EEEEDaS1F_S1G_EUlS1F_E_NS1_11comp_targetILNS1_3genE3ELNS1_11target_archE908ELNS1_3gpuE7ELNS1_3repE0EEENS1_30default_config_static_selectorELNS0_4arch9wavefront6targetE0EEEvT1_.has_dyn_sized_stack, 0
	.set _ZN7rocprim17ROCPRIM_400000_NS6detail17trampoline_kernelINS0_14default_configENS1_25partition_config_selectorILNS1_17partition_subalgoE6EtNS0_10empty_typeEbEEZZNS1_14partition_implILS5_6ELb0ES3_mN6thrust23THRUST_200600_302600_NS6detail15normal_iteratorINSA_10device_ptrItEEEEPS6_SG_NS0_5tupleIJSF_S6_EEENSH_IJSG_SG_EEES6_PlJNSB_9not_fun_tINSB_10functional5actorINSM_9compositeIJNSM_27transparent_binary_operatorINSA_8equal_toIvEEEENSN_INSM_8argumentILj0EEEEENSM_5valueItEEEEEEEEEEEE10hipError_tPvRmT3_T4_T5_T6_T7_T9_mT8_P12ihipStream_tbDpT10_ENKUlT_T0_E_clISt17integral_constantIbLb0EES1J_IbLb1EEEEDaS1F_S1G_EUlS1F_E_NS1_11comp_targetILNS1_3genE3ELNS1_11target_archE908ELNS1_3gpuE7ELNS1_3repE0EEENS1_30default_config_static_selectorELNS0_4arch9wavefront6targetE0EEEvT1_.has_recursion, 0
	.set _ZN7rocprim17ROCPRIM_400000_NS6detail17trampoline_kernelINS0_14default_configENS1_25partition_config_selectorILNS1_17partition_subalgoE6EtNS0_10empty_typeEbEEZZNS1_14partition_implILS5_6ELb0ES3_mN6thrust23THRUST_200600_302600_NS6detail15normal_iteratorINSA_10device_ptrItEEEEPS6_SG_NS0_5tupleIJSF_S6_EEENSH_IJSG_SG_EEES6_PlJNSB_9not_fun_tINSB_10functional5actorINSM_9compositeIJNSM_27transparent_binary_operatorINSA_8equal_toIvEEEENSN_INSM_8argumentILj0EEEEENSM_5valueItEEEEEEEEEEEE10hipError_tPvRmT3_T4_T5_T6_T7_T9_mT8_P12ihipStream_tbDpT10_ENKUlT_T0_E_clISt17integral_constantIbLb0EES1J_IbLb1EEEEDaS1F_S1G_EUlS1F_E_NS1_11comp_targetILNS1_3genE3ELNS1_11target_archE908ELNS1_3gpuE7ELNS1_3repE0EEENS1_30default_config_static_selectorELNS0_4arch9wavefront6targetE0EEEvT1_.has_indirect_call, 0
	.section	.AMDGPU.csdata,"",@progbits
; Kernel info:
; codeLenInByte = 0
; TotalNumSgprs: 0
; NumVgprs: 0
; ScratchSize: 0
; MemoryBound: 0
; FloatMode: 240
; IeeeMode: 1
; LDSByteSize: 0 bytes/workgroup (compile time only)
; SGPRBlocks: 0
; VGPRBlocks: 0
; NumSGPRsForWavesPerEU: 1
; NumVGPRsForWavesPerEU: 1
; Occupancy: 16
; WaveLimiterHint : 0
; COMPUTE_PGM_RSRC2:SCRATCH_EN: 0
; COMPUTE_PGM_RSRC2:USER_SGPR: 2
; COMPUTE_PGM_RSRC2:TRAP_HANDLER: 0
; COMPUTE_PGM_RSRC2:TGID_X_EN: 1
; COMPUTE_PGM_RSRC2:TGID_Y_EN: 0
; COMPUTE_PGM_RSRC2:TGID_Z_EN: 0
; COMPUTE_PGM_RSRC2:TIDIG_COMP_CNT: 0
	.section	.text._ZN7rocprim17ROCPRIM_400000_NS6detail17trampoline_kernelINS0_14default_configENS1_25partition_config_selectorILNS1_17partition_subalgoE6EtNS0_10empty_typeEbEEZZNS1_14partition_implILS5_6ELb0ES3_mN6thrust23THRUST_200600_302600_NS6detail15normal_iteratorINSA_10device_ptrItEEEEPS6_SG_NS0_5tupleIJSF_S6_EEENSH_IJSG_SG_EEES6_PlJNSB_9not_fun_tINSB_10functional5actorINSM_9compositeIJNSM_27transparent_binary_operatorINSA_8equal_toIvEEEENSN_INSM_8argumentILj0EEEEENSM_5valueItEEEEEEEEEEEE10hipError_tPvRmT3_T4_T5_T6_T7_T9_mT8_P12ihipStream_tbDpT10_ENKUlT_T0_E_clISt17integral_constantIbLb0EES1J_IbLb1EEEEDaS1F_S1G_EUlS1F_E_NS1_11comp_targetILNS1_3genE2ELNS1_11target_archE906ELNS1_3gpuE6ELNS1_3repE0EEENS1_30default_config_static_selectorELNS0_4arch9wavefront6targetE0EEEvT1_,"axG",@progbits,_ZN7rocprim17ROCPRIM_400000_NS6detail17trampoline_kernelINS0_14default_configENS1_25partition_config_selectorILNS1_17partition_subalgoE6EtNS0_10empty_typeEbEEZZNS1_14partition_implILS5_6ELb0ES3_mN6thrust23THRUST_200600_302600_NS6detail15normal_iteratorINSA_10device_ptrItEEEEPS6_SG_NS0_5tupleIJSF_S6_EEENSH_IJSG_SG_EEES6_PlJNSB_9not_fun_tINSB_10functional5actorINSM_9compositeIJNSM_27transparent_binary_operatorINSA_8equal_toIvEEEENSN_INSM_8argumentILj0EEEEENSM_5valueItEEEEEEEEEEEE10hipError_tPvRmT3_T4_T5_T6_T7_T9_mT8_P12ihipStream_tbDpT10_ENKUlT_T0_E_clISt17integral_constantIbLb0EES1J_IbLb1EEEEDaS1F_S1G_EUlS1F_E_NS1_11comp_targetILNS1_3genE2ELNS1_11target_archE906ELNS1_3gpuE6ELNS1_3repE0EEENS1_30default_config_static_selectorELNS0_4arch9wavefront6targetE0EEEvT1_,comdat
	.protected	_ZN7rocprim17ROCPRIM_400000_NS6detail17trampoline_kernelINS0_14default_configENS1_25partition_config_selectorILNS1_17partition_subalgoE6EtNS0_10empty_typeEbEEZZNS1_14partition_implILS5_6ELb0ES3_mN6thrust23THRUST_200600_302600_NS6detail15normal_iteratorINSA_10device_ptrItEEEEPS6_SG_NS0_5tupleIJSF_S6_EEENSH_IJSG_SG_EEES6_PlJNSB_9not_fun_tINSB_10functional5actorINSM_9compositeIJNSM_27transparent_binary_operatorINSA_8equal_toIvEEEENSN_INSM_8argumentILj0EEEEENSM_5valueItEEEEEEEEEEEE10hipError_tPvRmT3_T4_T5_T6_T7_T9_mT8_P12ihipStream_tbDpT10_ENKUlT_T0_E_clISt17integral_constantIbLb0EES1J_IbLb1EEEEDaS1F_S1G_EUlS1F_E_NS1_11comp_targetILNS1_3genE2ELNS1_11target_archE906ELNS1_3gpuE6ELNS1_3repE0EEENS1_30default_config_static_selectorELNS0_4arch9wavefront6targetE0EEEvT1_ ; -- Begin function _ZN7rocprim17ROCPRIM_400000_NS6detail17trampoline_kernelINS0_14default_configENS1_25partition_config_selectorILNS1_17partition_subalgoE6EtNS0_10empty_typeEbEEZZNS1_14partition_implILS5_6ELb0ES3_mN6thrust23THRUST_200600_302600_NS6detail15normal_iteratorINSA_10device_ptrItEEEEPS6_SG_NS0_5tupleIJSF_S6_EEENSH_IJSG_SG_EEES6_PlJNSB_9not_fun_tINSB_10functional5actorINSM_9compositeIJNSM_27transparent_binary_operatorINSA_8equal_toIvEEEENSN_INSM_8argumentILj0EEEEENSM_5valueItEEEEEEEEEEEE10hipError_tPvRmT3_T4_T5_T6_T7_T9_mT8_P12ihipStream_tbDpT10_ENKUlT_T0_E_clISt17integral_constantIbLb0EES1J_IbLb1EEEEDaS1F_S1G_EUlS1F_E_NS1_11comp_targetILNS1_3genE2ELNS1_11target_archE906ELNS1_3gpuE6ELNS1_3repE0EEENS1_30default_config_static_selectorELNS0_4arch9wavefront6targetE0EEEvT1_
	.globl	_ZN7rocprim17ROCPRIM_400000_NS6detail17trampoline_kernelINS0_14default_configENS1_25partition_config_selectorILNS1_17partition_subalgoE6EtNS0_10empty_typeEbEEZZNS1_14partition_implILS5_6ELb0ES3_mN6thrust23THRUST_200600_302600_NS6detail15normal_iteratorINSA_10device_ptrItEEEEPS6_SG_NS0_5tupleIJSF_S6_EEENSH_IJSG_SG_EEES6_PlJNSB_9not_fun_tINSB_10functional5actorINSM_9compositeIJNSM_27transparent_binary_operatorINSA_8equal_toIvEEEENSN_INSM_8argumentILj0EEEEENSM_5valueItEEEEEEEEEEEE10hipError_tPvRmT3_T4_T5_T6_T7_T9_mT8_P12ihipStream_tbDpT10_ENKUlT_T0_E_clISt17integral_constantIbLb0EES1J_IbLb1EEEEDaS1F_S1G_EUlS1F_E_NS1_11comp_targetILNS1_3genE2ELNS1_11target_archE906ELNS1_3gpuE6ELNS1_3repE0EEENS1_30default_config_static_selectorELNS0_4arch9wavefront6targetE0EEEvT1_
	.p2align	8
	.type	_ZN7rocprim17ROCPRIM_400000_NS6detail17trampoline_kernelINS0_14default_configENS1_25partition_config_selectorILNS1_17partition_subalgoE6EtNS0_10empty_typeEbEEZZNS1_14partition_implILS5_6ELb0ES3_mN6thrust23THRUST_200600_302600_NS6detail15normal_iteratorINSA_10device_ptrItEEEEPS6_SG_NS0_5tupleIJSF_S6_EEENSH_IJSG_SG_EEES6_PlJNSB_9not_fun_tINSB_10functional5actorINSM_9compositeIJNSM_27transparent_binary_operatorINSA_8equal_toIvEEEENSN_INSM_8argumentILj0EEEEENSM_5valueItEEEEEEEEEEEE10hipError_tPvRmT3_T4_T5_T6_T7_T9_mT8_P12ihipStream_tbDpT10_ENKUlT_T0_E_clISt17integral_constantIbLb0EES1J_IbLb1EEEEDaS1F_S1G_EUlS1F_E_NS1_11comp_targetILNS1_3genE2ELNS1_11target_archE906ELNS1_3gpuE6ELNS1_3repE0EEENS1_30default_config_static_selectorELNS0_4arch9wavefront6targetE0EEEvT1_,@function
_ZN7rocprim17ROCPRIM_400000_NS6detail17trampoline_kernelINS0_14default_configENS1_25partition_config_selectorILNS1_17partition_subalgoE6EtNS0_10empty_typeEbEEZZNS1_14partition_implILS5_6ELb0ES3_mN6thrust23THRUST_200600_302600_NS6detail15normal_iteratorINSA_10device_ptrItEEEEPS6_SG_NS0_5tupleIJSF_S6_EEENSH_IJSG_SG_EEES6_PlJNSB_9not_fun_tINSB_10functional5actorINSM_9compositeIJNSM_27transparent_binary_operatorINSA_8equal_toIvEEEENSN_INSM_8argumentILj0EEEEENSM_5valueItEEEEEEEEEEEE10hipError_tPvRmT3_T4_T5_T6_T7_T9_mT8_P12ihipStream_tbDpT10_ENKUlT_T0_E_clISt17integral_constantIbLb0EES1J_IbLb1EEEEDaS1F_S1G_EUlS1F_E_NS1_11comp_targetILNS1_3genE2ELNS1_11target_archE906ELNS1_3gpuE6ELNS1_3repE0EEENS1_30default_config_static_selectorELNS0_4arch9wavefront6targetE0EEEvT1_: ; @_ZN7rocprim17ROCPRIM_400000_NS6detail17trampoline_kernelINS0_14default_configENS1_25partition_config_selectorILNS1_17partition_subalgoE6EtNS0_10empty_typeEbEEZZNS1_14partition_implILS5_6ELb0ES3_mN6thrust23THRUST_200600_302600_NS6detail15normal_iteratorINSA_10device_ptrItEEEEPS6_SG_NS0_5tupleIJSF_S6_EEENSH_IJSG_SG_EEES6_PlJNSB_9not_fun_tINSB_10functional5actorINSM_9compositeIJNSM_27transparent_binary_operatorINSA_8equal_toIvEEEENSN_INSM_8argumentILj0EEEEENSM_5valueItEEEEEEEEEEEE10hipError_tPvRmT3_T4_T5_T6_T7_T9_mT8_P12ihipStream_tbDpT10_ENKUlT_T0_E_clISt17integral_constantIbLb0EES1J_IbLb1EEEEDaS1F_S1G_EUlS1F_E_NS1_11comp_targetILNS1_3genE2ELNS1_11target_archE906ELNS1_3gpuE6ELNS1_3repE0EEENS1_30default_config_static_selectorELNS0_4arch9wavefront6targetE0EEEvT1_
; %bb.0:
	.section	.rodata,"a",@progbits
	.p2align	6, 0x0
	.amdhsa_kernel _ZN7rocprim17ROCPRIM_400000_NS6detail17trampoline_kernelINS0_14default_configENS1_25partition_config_selectorILNS1_17partition_subalgoE6EtNS0_10empty_typeEbEEZZNS1_14partition_implILS5_6ELb0ES3_mN6thrust23THRUST_200600_302600_NS6detail15normal_iteratorINSA_10device_ptrItEEEEPS6_SG_NS0_5tupleIJSF_S6_EEENSH_IJSG_SG_EEES6_PlJNSB_9not_fun_tINSB_10functional5actorINSM_9compositeIJNSM_27transparent_binary_operatorINSA_8equal_toIvEEEENSN_INSM_8argumentILj0EEEEENSM_5valueItEEEEEEEEEEEE10hipError_tPvRmT3_T4_T5_T6_T7_T9_mT8_P12ihipStream_tbDpT10_ENKUlT_T0_E_clISt17integral_constantIbLb0EES1J_IbLb1EEEEDaS1F_S1G_EUlS1F_E_NS1_11comp_targetILNS1_3genE2ELNS1_11target_archE906ELNS1_3gpuE6ELNS1_3repE0EEENS1_30default_config_static_selectorELNS0_4arch9wavefront6targetE0EEEvT1_
		.amdhsa_group_segment_fixed_size 0
		.amdhsa_private_segment_fixed_size 0
		.amdhsa_kernarg_size 128
		.amdhsa_user_sgpr_count 2
		.amdhsa_user_sgpr_dispatch_ptr 0
		.amdhsa_user_sgpr_queue_ptr 0
		.amdhsa_user_sgpr_kernarg_segment_ptr 1
		.amdhsa_user_sgpr_dispatch_id 0
		.amdhsa_user_sgpr_private_segment_size 0
		.amdhsa_wavefront_size32 1
		.amdhsa_uses_dynamic_stack 0
		.amdhsa_enable_private_segment 0
		.amdhsa_system_sgpr_workgroup_id_x 1
		.amdhsa_system_sgpr_workgroup_id_y 0
		.amdhsa_system_sgpr_workgroup_id_z 0
		.amdhsa_system_sgpr_workgroup_info 0
		.amdhsa_system_vgpr_workitem_id 0
		.amdhsa_next_free_vgpr 1
		.amdhsa_next_free_sgpr 1
		.amdhsa_reserve_vcc 0
		.amdhsa_float_round_mode_32 0
		.amdhsa_float_round_mode_16_64 0
		.amdhsa_float_denorm_mode_32 3
		.amdhsa_float_denorm_mode_16_64 3
		.amdhsa_fp16_overflow 0
		.amdhsa_workgroup_processor_mode 1
		.amdhsa_memory_ordered 1
		.amdhsa_forward_progress 1
		.amdhsa_inst_pref_size 0
		.amdhsa_round_robin_scheduling 0
		.amdhsa_exception_fp_ieee_invalid_op 0
		.amdhsa_exception_fp_denorm_src 0
		.amdhsa_exception_fp_ieee_div_zero 0
		.amdhsa_exception_fp_ieee_overflow 0
		.amdhsa_exception_fp_ieee_underflow 0
		.amdhsa_exception_fp_ieee_inexact 0
		.amdhsa_exception_int_div_zero 0
	.end_amdhsa_kernel
	.section	.text._ZN7rocprim17ROCPRIM_400000_NS6detail17trampoline_kernelINS0_14default_configENS1_25partition_config_selectorILNS1_17partition_subalgoE6EtNS0_10empty_typeEbEEZZNS1_14partition_implILS5_6ELb0ES3_mN6thrust23THRUST_200600_302600_NS6detail15normal_iteratorINSA_10device_ptrItEEEEPS6_SG_NS0_5tupleIJSF_S6_EEENSH_IJSG_SG_EEES6_PlJNSB_9not_fun_tINSB_10functional5actorINSM_9compositeIJNSM_27transparent_binary_operatorINSA_8equal_toIvEEEENSN_INSM_8argumentILj0EEEEENSM_5valueItEEEEEEEEEEEE10hipError_tPvRmT3_T4_T5_T6_T7_T9_mT8_P12ihipStream_tbDpT10_ENKUlT_T0_E_clISt17integral_constantIbLb0EES1J_IbLb1EEEEDaS1F_S1G_EUlS1F_E_NS1_11comp_targetILNS1_3genE2ELNS1_11target_archE906ELNS1_3gpuE6ELNS1_3repE0EEENS1_30default_config_static_selectorELNS0_4arch9wavefront6targetE0EEEvT1_,"axG",@progbits,_ZN7rocprim17ROCPRIM_400000_NS6detail17trampoline_kernelINS0_14default_configENS1_25partition_config_selectorILNS1_17partition_subalgoE6EtNS0_10empty_typeEbEEZZNS1_14partition_implILS5_6ELb0ES3_mN6thrust23THRUST_200600_302600_NS6detail15normal_iteratorINSA_10device_ptrItEEEEPS6_SG_NS0_5tupleIJSF_S6_EEENSH_IJSG_SG_EEES6_PlJNSB_9not_fun_tINSB_10functional5actorINSM_9compositeIJNSM_27transparent_binary_operatorINSA_8equal_toIvEEEENSN_INSM_8argumentILj0EEEEENSM_5valueItEEEEEEEEEEEE10hipError_tPvRmT3_T4_T5_T6_T7_T9_mT8_P12ihipStream_tbDpT10_ENKUlT_T0_E_clISt17integral_constantIbLb0EES1J_IbLb1EEEEDaS1F_S1G_EUlS1F_E_NS1_11comp_targetILNS1_3genE2ELNS1_11target_archE906ELNS1_3gpuE6ELNS1_3repE0EEENS1_30default_config_static_selectorELNS0_4arch9wavefront6targetE0EEEvT1_,comdat
.Lfunc_end174:
	.size	_ZN7rocprim17ROCPRIM_400000_NS6detail17trampoline_kernelINS0_14default_configENS1_25partition_config_selectorILNS1_17partition_subalgoE6EtNS0_10empty_typeEbEEZZNS1_14partition_implILS5_6ELb0ES3_mN6thrust23THRUST_200600_302600_NS6detail15normal_iteratorINSA_10device_ptrItEEEEPS6_SG_NS0_5tupleIJSF_S6_EEENSH_IJSG_SG_EEES6_PlJNSB_9not_fun_tINSB_10functional5actorINSM_9compositeIJNSM_27transparent_binary_operatorINSA_8equal_toIvEEEENSN_INSM_8argumentILj0EEEEENSM_5valueItEEEEEEEEEEEE10hipError_tPvRmT3_T4_T5_T6_T7_T9_mT8_P12ihipStream_tbDpT10_ENKUlT_T0_E_clISt17integral_constantIbLb0EES1J_IbLb1EEEEDaS1F_S1G_EUlS1F_E_NS1_11comp_targetILNS1_3genE2ELNS1_11target_archE906ELNS1_3gpuE6ELNS1_3repE0EEENS1_30default_config_static_selectorELNS0_4arch9wavefront6targetE0EEEvT1_, .Lfunc_end174-_ZN7rocprim17ROCPRIM_400000_NS6detail17trampoline_kernelINS0_14default_configENS1_25partition_config_selectorILNS1_17partition_subalgoE6EtNS0_10empty_typeEbEEZZNS1_14partition_implILS5_6ELb0ES3_mN6thrust23THRUST_200600_302600_NS6detail15normal_iteratorINSA_10device_ptrItEEEEPS6_SG_NS0_5tupleIJSF_S6_EEENSH_IJSG_SG_EEES6_PlJNSB_9not_fun_tINSB_10functional5actorINSM_9compositeIJNSM_27transparent_binary_operatorINSA_8equal_toIvEEEENSN_INSM_8argumentILj0EEEEENSM_5valueItEEEEEEEEEEEE10hipError_tPvRmT3_T4_T5_T6_T7_T9_mT8_P12ihipStream_tbDpT10_ENKUlT_T0_E_clISt17integral_constantIbLb0EES1J_IbLb1EEEEDaS1F_S1G_EUlS1F_E_NS1_11comp_targetILNS1_3genE2ELNS1_11target_archE906ELNS1_3gpuE6ELNS1_3repE0EEENS1_30default_config_static_selectorELNS0_4arch9wavefront6targetE0EEEvT1_
                                        ; -- End function
	.set _ZN7rocprim17ROCPRIM_400000_NS6detail17trampoline_kernelINS0_14default_configENS1_25partition_config_selectorILNS1_17partition_subalgoE6EtNS0_10empty_typeEbEEZZNS1_14partition_implILS5_6ELb0ES3_mN6thrust23THRUST_200600_302600_NS6detail15normal_iteratorINSA_10device_ptrItEEEEPS6_SG_NS0_5tupleIJSF_S6_EEENSH_IJSG_SG_EEES6_PlJNSB_9not_fun_tINSB_10functional5actorINSM_9compositeIJNSM_27transparent_binary_operatorINSA_8equal_toIvEEEENSN_INSM_8argumentILj0EEEEENSM_5valueItEEEEEEEEEEEE10hipError_tPvRmT3_T4_T5_T6_T7_T9_mT8_P12ihipStream_tbDpT10_ENKUlT_T0_E_clISt17integral_constantIbLb0EES1J_IbLb1EEEEDaS1F_S1G_EUlS1F_E_NS1_11comp_targetILNS1_3genE2ELNS1_11target_archE906ELNS1_3gpuE6ELNS1_3repE0EEENS1_30default_config_static_selectorELNS0_4arch9wavefront6targetE0EEEvT1_.num_vgpr, 0
	.set _ZN7rocprim17ROCPRIM_400000_NS6detail17trampoline_kernelINS0_14default_configENS1_25partition_config_selectorILNS1_17partition_subalgoE6EtNS0_10empty_typeEbEEZZNS1_14partition_implILS5_6ELb0ES3_mN6thrust23THRUST_200600_302600_NS6detail15normal_iteratorINSA_10device_ptrItEEEEPS6_SG_NS0_5tupleIJSF_S6_EEENSH_IJSG_SG_EEES6_PlJNSB_9not_fun_tINSB_10functional5actorINSM_9compositeIJNSM_27transparent_binary_operatorINSA_8equal_toIvEEEENSN_INSM_8argumentILj0EEEEENSM_5valueItEEEEEEEEEEEE10hipError_tPvRmT3_T4_T5_T6_T7_T9_mT8_P12ihipStream_tbDpT10_ENKUlT_T0_E_clISt17integral_constantIbLb0EES1J_IbLb1EEEEDaS1F_S1G_EUlS1F_E_NS1_11comp_targetILNS1_3genE2ELNS1_11target_archE906ELNS1_3gpuE6ELNS1_3repE0EEENS1_30default_config_static_selectorELNS0_4arch9wavefront6targetE0EEEvT1_.num_agpr, 0
	.set _ZN7rocprim17ROCPRIM_400000_NS6detail17trampoline_kernelINS0_14default_configENS1_25partition_config_selectorILNS1_17partition_subalgoE6EtNS0_10empty_typeEbEEZZNS1_14partition_implILS5_6ELb0ES3_mN6thrust23THRUST_200600_302600_NS6detail15normal_iteratorINSA_10device_ptrItEEEEPS6_SG_NS0_5tupleIJSF_S6_EEENSH_IJSG_SG_EEES6_PlJNSB_9not_fun_tINSB_10functional5actorINSM_9compositeIJNSM_27transparent_binary_operatorINSA_8equal_toIvEEEENSN_INSM_8argumentILj0EEEEENSM_5valueItEEEEEEEEEEEE10hipError_tPvRmT3_T4_T5_T6_T7_T9_mT8_P12ihipStream_tbDpT10_ENKUlT_T0_E_clISt17integral_constantIbLb0EES1J_IbLb1EEEEDaS1F_S1G_EUlS1F_E_NS1_11comp_targetILNS1_3genE2ELNS1_11target_archE906ELNS1_3gpuE6ELNS1_3repE0EEENS1_30default_config_static_selectorELNS0_4arch9wavefront6targetE0EEEvT1_.numbered_sgpr, 0
	.set _ZN7rocprim17ROCPRIM_400000_NS6detail17trampoline_kernelINS0_14default_configENS1_25partition_config_selectorILNS1_17partition_subalgoE6EtNS0_10empty_typeEbEEZZNS1_14partition_implILS5_6ELb0ES3_mN6thrust23THRUST_200600_302600_NS6detail15normal_iteratorINSA_10device_ptrItEEEEPS6_SG_NS0_5tupleIJSF_S6_EEENSH_IJSG_SG_EEES6_PlJNSB_9not_fun_tINSB_10functional5actorINSM_9compositeIJNSM_27transparent_binary_operatorINSA_8equal_toIvEEEENSN_INSM_8argumentILj0EEEEENSM_5valueItEEEEEEEEEEEE10hipError_tPvRmT3_T4_T5_T6_T7_T9_mT8_P12ihipStream_tbDpT10_ENKUlT_T0_E_clISt17integral_constantIbLb0EES1J_IbLb1EEEEDaS1F_S1G_EUlS1F_E_NS1_11comp_targetILNS1_3genE2ELNS1_11target_archE906ELNS1_3gpuE6ELNS1_3repE0EEENS1_30default_config_static_selectorELNS0_4arch9wavefront6targetE0EEEvT1_.num_named_barrier, 0
	.set _ZN7rocprim17ROCPRIM_400000_NS6detail17trampoline_kernelINS0_14default_configENS1_25partition_config_selectorILNS1_17partition_subalgoE6EtNS0_10empty_typeEbEEZZNS1_14partition_implILS5_6ELb0ES3_mN6thrust23THRUST_200600_302600_NS6detail15normal_iteratorINSA_10device_ptrItEEEEPS6_SG_NS0_5tupleIJSF_S6_EEENSH_IJSG_SG_EEES6_PlJNSB_9not_fun_tINSB_10functional5actorINSM_9compositeIJNSM_27transparent_binary_operatorINSA_8equal_toIvEEEENSN_INSM_8argumentILj0EEEEENSM_5valueItEEEEEEEEEEEE10hipError_tPvRmT3_T4_T5_T6_T7_T9_mT8_P12ihipStream_tbDpT10_ENKUlT_T0_E_clISt17integral_constantIbLb0EES1J_IbLb1EEEEDaS1F_S1G_EUlS1F_E_NS1_11comp_targetILNS1_3genE2ELNS1_11target_archE906ELNS1_3gpuE6ELNS1_3repE0EEENS1_30default_config_static_selectorELNS0_4arch9wavefront6targetE0EEEvT1_.private_seg_size, 0
	.set _ZN7rocprim17ROCPRIM_400000_NS6detail17trampoline_kernelINS0_14default_configENS1_25partition_config_selectorILNS1_17partition_subalgoE6EtNS0_10empty_typeEbEEZZNS1_14partition_implILS5_6ELb0ES3_mN6thrust23THRUST_200600_302600_NS6detail15normal_iteratorINSA_10device_ptrItEEEEPS6_SG_NS0_5tupleIJSF_S6_EEENSH_IJSG_SG_EEES6_PlJNSB_9not_fun_tINSB_10functional5actorINSM_9compositeIJNSM_27transparent_binary_operatorINSA_8equal_toIvEEEENSN_INSM_8argumentILj0EEEEENSM_5valueItEEEEEEEEEEEE10hipError_tPvRmT3_T4_T5_T6_T7_T9_mT8_P12ihipStream_tbDpT10_ENKUlT_T0_E_clISt17integral_constantIbLb0EES1J_IbLb1EEEEDaS1F_S1G_EUlS1F_E_NS1_11comp_targetILNS1_3genE2ELNS1_11target_archE906ELNS1_3gpuE6ELNS1_3repE0EEENS1_30default_config_static_selectorELNS0_4arch9wavefront6targetE0EEEvT1_.uses_vcc, 0
	.set _ZN7rocprim17ROCPRIM_400000_NS6detail17trampoline_kernelINS0_14default_configENS1_25partition_config_selectorILNS1_17partition_subalgoE6EtNS0_10empty_typeEbEEZZNS1_14partition_implILS5_6ELb0ES3_mN6thrust23THRUST_200600_302600_NS6detail15normal_iteratorINSA_10device_ptrItEEEEPS6_SG_NS0_5tupleIJSF_S6_EEENSH_IJSG_SG_EEES6_PlJNSB_9not_fun_tINSB_10functional5actorINSM_9compositeIJNSM_27transparent_binary_operatorINSA_8equal_toIvEEEENSN_INSM_8argumentILj0EEEEENSM_5valueItEEEEEEEEEEEE10hipError_tPvRmT3_T4_T5_T6_T7_T9_mT8_P12ihipStream_tbDpT10_ENKUlT_T0_E_clISt17integral_constantIbLb0EES1J_IbLb1EEEEDaS1F_S1G_EUlS1F_E_NS1_11comp_targetILNS1_3genE2ELNS1_11target_archE906ELNS1_3gpuE6ELNS1_3repE0EEENS1_30default_config_static_selectorELNS0_4arch9wavefront6targetE0EEEvT1_.uses_flat_scratch, 0
	.set _ZN7rocprim17ROCPRIM_400000_NS6detail17trampoline_kernelINS0_14default_configENS1_25partition_config_selectorILNS1_17partition_subalgoE6EtNS0_10empty_typeEbEEZZNS1_14partition_implILS5_6ELb0ES3_mN6thrust23THRUST_200600_302600_NS6detail15normal_iteratorINSA_10device_ptrItEEEEPS6_SG_NS0_5tupleIJSF_S6_EEENSH_IJSG_SG_EEES6_PlJNSB_9not_fun_tINSB_10functional5actorINSM_9compositeIJNSM_27transparent_binary_operatorINSA_8equal_toIvEEEENSN_INSM_8argumentILj0EEEEENSM_5valueItEEEEEEEEEEEE10hipError_tPvRmT3_T4_T5_T6_T7_T9_mT8_P12ihipStream_tbDpT10_ENKUlT_T0_E_clISt17integral_constantIbLb0EES1J_IbLb1EEEEDaS1F_S1G_EUlS1F_E_NS1_11comp_targetILNS1_3genE2ELNS1_11target_archE906ELNS1_3gpuE6ELNS1_3repE0EEENS1_30default_config_static_selectorELNS0_4arch9wavefront6targetE0EEEvT1_.has_dyn_sized_stack, 0
	.set _ZN7rocprim17ROCPRIM_400000_NS6detail17trampoline_kernelINS0_14default_configENS1_25partition_config_selectorILNS1_17partition_subalgoE6EtNS0_10empty_typeEbEEZZNS1_14partition_implILS5_6ELb0ES3_mN6thrust23THRUST_200600_302600_NS6detail15normal_iteratorINSA_10device_ptrItEEEEPS6_SG_NS0_5tupleIJSF_S6_EEENSH_IJSG_SG_EEES6_PlJNSB_9not_fun_tINSB_10functional5actorINSM_9compositeIJNSM_27transparent_binary_operatorINSA_8equal_toIvEEEENSN_INSM_8argumentILj0EEEEENSM_5valueItEEEEEEEEEEEE10hipError_tPvRmT3_T4_T5_T6_T7_T9_mT8_P12ihipStream_tbDpT10_ENKUlT_T0_E_clISt17integral_constantIbLb0EES1J_IbLb1EEEEDaS1F_S1G_EUlS1F_E_NS1_11comp_targetILNS1_3genE2ELNS1_11target_archE906ELNS1_3gpuE6ELNS1_3repE0EEENS1_30default_config_static_selectorELNS0_4arch9wavefront6targetE0EEEvT1_.has_recursion, 0
	.set _ZN7rocprim17ROCPRIM_400000_NS6detail17trampoline_kernelINS0_14default_configENS1_25partition_config_selectorILNS1_17partition_subalgoE6EtNS0_10empty_typeEbEEZZNS1_14partition_implILS5_6ELb0ES3_mN6thrust23THRUST_200600_302600_NS6detail15normal_iteratorINSA_10device_ptrItEEEEPS6_SG_NS0_5tupleIJSF_S6_EEENSH_IJSG_SG_EEES6_PlJNSB_9not_fun_tINSB_10functional5actorINSM_9compositeIJNSM_27transparent_binary_operatorINSA_8equal_toIvEEEENSN_INSM_8argumentILj0EEEEENSM_5valueItEEEEEEEEEEEE10hipError_tPvRmT3_T4_T5_T6_T7_T9_mT8_P12ihipStream_tbDpT10_ENKUlT_T0_E_clISt17integral_constantIbLb0EES1J_IbLb1EEEEDaS1F_S1G_EUlS1F_E_NS1_11comp_targetILNS1_3genE2ELNS1_11target_archE906ELNS1_3gpuE6ELNS1_3repE0EEENS1_30default_config_static_selectorELNS0_4arch9wavefront6targetE0EEEvT1_.has_indirect_call, 0
	.section	.AMDGPU.csdata,"",@progbits
; Kernel info:
; codeLenInByte = 0
; TotalNumSgprs: 0
; NumVgprs: 0
; ScratchSize: 0
; MemoryBound: 0
; FloatMode: 240
; IeeeMode: 1
; LDSByteSize: 0 bytes/workgroup (compile time only)
; SGPRBlocks: 0
; VGPRBlocks: 0
; NumSGPRsForWavesPerEU: 1
; NumVGPRsForWavesPerEU: 1
; Occupancy: 16
; WaveLimiterHint : 0
; COMPUTE_PGM_RSRC2:SCRATCH_EN: 0
; COMPUTE_PGM_RSRC2:USER_SGPR: 2
; COMPUTE_PGM_RSRC2:TRAP_HANDLER: 0
; COMPUTE_PGM_RSRC2:TGID_X_EN: 1
; COMPUTE_PGM_RSRC2:TGID_Y_EN: 0
; COMPUTE_PGM_RSRC2:TGID_Z_EN: 0
; COMPUTE_PGM_RSRC2:TIDIG_COMP_CNT: 0
	.section	.text._ZN7rocprim17ROCPRIM_400000_NS6detail17trampoline_kernelINS0_14default_configENS1_25partition_config_selectorILNS1_17partition_subalgoE6EtNS0_10empty_typeEbEEZZNS1_14partition_implILS5_6ELb0ES3_mN6thrust23THRUST_200600_302600_NS6detail15normal_iteratorINSA_10device_ptrItEEEEPS6_SG_NS0_5tupleIJSF_S6_EEENSH_IJSG_SG_EEES6_PlJNSB_9not_fun_tINSB_10functional5actorINSM_9compositeIJNSM_27transparent_binary_operatorINSA_8equal_toIvEEEENSN_INSM_8argumentILj0EEEEENSM_5valueItEEEEEEEEEEEE10hipError_tPvRmT3_T4_T5_T6_T7_T9_mT8_P12ihipStream_tbDpT10_ENKUlT_T0_E_clISt17integral_constantIbLb0EES1J_IbLb1EEEEDaS1F_S1G_EUlS1F_E_NS1_11comp_targetILNS1_3genE10ELNS1_11target_archE1200ELNS1_3gpuE4ELNS1_3repE0EEENS1_30default_config_static_selectorELNS0_4arch9wavefront6targetE0EEEvT1_,"axG",@progbits,_ZN7rocprim17ROCPRIM_400000_NS6detail17trampoline_kernelINS0_14default_configENS1_25partition_config_selectorILNS1_17partition_subalgoE6EtNS0_10empty_typeEbEEZZNS1_14partition_implILS5_6ELb0ES3_mN6thrust23THRUST_200600_302600_NS6detail15normal_iteratorINSA_10device_ptrItEEEEPS6_SG_NS0_5tupleIJSF_S6_EEENSH_IJSG_SG_EEES6_PlJNSB_9not_fun_tINSB_10functional5actorINSM_9compositeIJNSM_27transparent_binary_operatorINSA_8equal_toIvEEEENSN_INSM_8argumentILj0EEEEENSM_5valueItEEEEEEEEEEEE10hipError_tPvRmT3_T4_T5_T6_T7_T9_mT8_P12ihipStream_tbDpT10_ENKUlT_T0_E_clISt17integral_constantIbLb0EES1J_IbLb1EEEEDaS1F_S1G_EUlS1F_E_NS1_11comp_targetILNS1_3genE10ELNS1_11target_archE1200ELNS1_3gpuE4ELNS1_3repE0EEENS1_30default_config_static_selectorELNS0_4arch9wavefront6targetE0EEEvT1_,comdat
	.protected	_ZN7rocprim17ROCPRIM_400000_NS6detail17trampoline_kernelINS0_14default_configENS1_25partition_config_selectorILNS1_17partition_subalgoE6EtNS0_10empty_typeEbEEZZNS1_14partition_implILS5_6ELb0ES3_mN6thrust23THRUST_200600_302600_NS6detail15normal_iteratorINSA_10device_ptrItEEEEPS6_SG_NS0_5tupleIJSF_S6_EEENSH_IJSG_SG_EEES6_PlJNSB_9not_fun_tINSB_10functional5actorINSM_9compositeIJNSM_27transparent_binary_operatorINSA_8equal_toIvEEEENSN_INSM_8argumentILj0EEEEENSM_5valueItEEEEEEEEEEEE10hipError_tPvRmT3_T4_T5_T6_T7_T9_mT8_P12ihipStream_tbDpT10_ENKUlT_T0_E_clISt17integral_constantIbLb0EES1J_IbLb1EEEEDaS1F_S1G_EUlS1F_E_NS1_11comp_targetILNS1_3genE10ELNS1_11target_archE1200ELNS1_3gpuE4ELNS1_3repE0EEENS1_30default_config_static_selectorELNS0_4arch9wavefront6targetE0EEEvT1_ ; -- Begin function _ZN7rocprim17ROCPRIM_400000_NS6detail17trampoline_kernelINS0_14default_configENS1_25partition_config_selectorILNS1_17partition_subalgoE6EtNS0_10empty_typeEbEEZZNS1_14partition_implILS5_6ELb0ES3_mN6thrust23THRUST_200600_302600_NS6detail15normal_iteratorINSA_10device_ptrItEEEEPS6_SG_NS0_5tupleIJSF_S6_EEENSH_IJSG_SG_EEES6_PlJNSB_9not_fun_tINSB_10functional5actorINSM_9compositeIJNSM_27transparent_binary_operatorINSA_8equal_toIvEEEENSN_INSM_8argumentILj0EEEEENSM_5valueItEEEEEEEEEEEE10hipError_tPvRmT3_T4_T5_T6_T7_T9_mT8_P12ihipStream_tbDpT10_ENKUlT_T0_E_clISt17integral_constantIbLb0EES1J_IbLb1EEEEDaS1F_S1G_EUlS1F_E_NS1_11comp_targetILNS1_3genE10ELNS1_11target_archE1200ELNS1_3gpuE4ELNS1_3repE0EEENS1_30default_config_static_selectorELNS0_4arch9wavefront6targetE0EEEvT1_
	.globl	_ZN7rocprim17ROCPRIM_400000_NS6detail17trampoline_kernelINS0_14default_configENS1_25partition_config_selectorILNS1_17partition_subalgoE6EtNS0_10empty_typeEbEEZZNS1_14partition_implILS5_6ELb0ES3_mN6thrust23THRUST_200600_302600_NS6detail15normal_iteratorINSA_10device_ptrItEEEEPS6_SG_NS0_5tupleIJSF_S6_EEENSH_IJSG_SG_EEES6_PlJNSB_9not_fun_tINSB_10functional5actorINSM_9compositeIJNSM_27transparent_binary_operatorINSA_8equal_toIvEEEENSN_INSM_8argumentILj0EEEEENSM_5valueItEEEEEEEEEEEE10hipError_tPvRmT3_T4_T5_T6_T7_T9_mT8_P12ihipStream_tbDpT10_ENKUlT_T0_E_clISt17integral_constantIbLb0EES1J_IbLb1EEEEDaS1F_S1G_EUlS1F_E_NS1_11comp_targetILNS1_3genE10ELNS1_11target_archE1200ELNS1_3gpuE4ELNS1_3repE0EEENS1_30default_config_static_selectorELNS0_4arch9wavefront6targetE0EEEvT1_
	.p2align	8
	.type	_ZN7rocprim17ROCPRIM_400000_NS6detail17trampoline_kernelINS0_14default_configENS1_25partition_config_selectorILNS1_17partition_subalgoE6EtNS0_10empty_typeEbEEZZNS1_14partition_implILS5_6ELb0ES3_mN6thrust23THRUST_200600_302600_NS6detail15normal_iteratorINSA_10device_ptrItEEEEPS6_SG_NS0_5tupleIJSF_S6_EEENSH_IJSG_SG_EEES6_PlJNSB_9not_fun_tINSB_10functional5actorINSM_9compositeIJNSM_27transparent_binary_operatorINSA_8equal_toIvEEEENSN_INSM_8argumentILj0EEEEENSM_5valueItEEEEEEEEEEEE10hipError_tPvRmT3_T4_T5_T6_T7_T9_mT8_P12ihipStream_tbDpT10_ENKUlT_T0_E_clISt17integral_constantIbLb0EES1J_IbLb1EEEEDaS1F_S1G_EUlS1F_E_NS1_11comp_targetILNS1_3genE10ELNS1_11target_archE1200ELNS1_3gpuE4ELNS1_3repE0EEENS1_30default_config_static_selectorELNS0_4arch9wavefront6targetE0EEEvT1_,@function
_ZN7rocprim17ROCPRIM_400000_NS6detail17trampoline_kernelINS0_14default_configENS1_25partition_config_selectorILNS1_17partition_subalgoE6EtNS0_10empty_typeEbEEZZNS1_14partition_implILS5_6ELb0ES3_mN6thrust23THRUST_200600_302600_NS6detail15normal_iteratorINSA_10device_ptrItEEEEPS6_SG_NS0_5tupleIJSF_S6_EEENSH_IJSG_SG_EEES6_PlJNSB_9not_fun_tINSB_10functional5actorINSM_9compositeIJNSM_27transparent_binary_operatorINSA_8equal_toIvEEEENSN_INSM_8argumentILj0EEEEENSM_5valueItEEEEEEEEEEEE10hipError_tPvRmT3_T4_T5_T6_T7_T9_mT8_P12ihipStream_tbDpT10_ENKUlT_T0_E_clISt17integral_constantIbLb0EES1J_IbLb1EEEEDaS1F_S1G_EUlS1F_E_NS1_11comp_targetILNS1_3genE10ELNS1_11target_archE1200ELNS1_3gpuE4ELNS1_3repE0EEENS1_30default_config_static_selectorELNS0_4arch9wavefront6targetE0EEEvT1_: ; @_ZN7rocprim17ROCPRIM_400000_NS6detail17trampoline_kernelINS0_14default_configENS1_25partition_config_selectorILNS1_17partition_subalgoE6EtNS0_10empty_typeEbEEZZNS1_14partition_implILS5_6ELb0ES3_mN6thrust23THRUST_200600_302600_NS6detail15normal_iteratorINSA_10device_ptrItEEEEPS6_SG_NS0_5tupleIJSF_S6_EEENSH_IJSG_SG_EEES6_PlJNSB_9not_fun_tINSB_10functional5actorINSM_9compositeIJNSM_27transparent_binary_operatorINSA_8equal_toIvEEEENSN_INSM_8argumentILj0EEEEENSM_5valueItEEEEEEEEEEEE10hipError_tPvRmT3_T4_T5_T6_T7_T9_mT8_P12ihipStream_tbDpT10_ENKUlT_T0_E_clISt17integral_constantIbLb0EES1J_IbLb1EEEEDaS1F_S1G_EUlS1F_E_NS1_11comp_targetILNS1_3genE10ELNS1_11target_archE1200ELNS1_3gpuE4ELNS1_3repE0EEENS1_30default_config_static_selectorELNS0_4arch9wavefront6targetE0EEEvT1_
; %bb.0:
	s_clause 0x3
	s_load_b64 s[24:25], s[0:1], 0x28
	s_load_b128 s[20:23], s[0:1], 0x40
	s_load_b64 s[8:9], s[0:1], 0x50
	s_load_b64 s[26:27], s[0:1], 0x60
	v_cmp_eq_u32_e64 s2, 0, v0
	s_and_saveexec_b32 s3, s2
	s_cbranch_execz .LBB175_4
; %bb.1:
	s_mov_b32 s5, exec_lo
	s_mov_b32 s4, exec_lo
	v_mbcnt_lo_u32_b32 v1, s5, 0
                                        ; implicit-def: $vgpr2
	s_delay_alu instid0(VALU_DEP_1)
	v_cmpx_eq_u32_e32 0, v1
	s_cbranch_execz .LBB175_3
; %bb.2:
	s_load_b64 s[6:7], s[0:1], 0x70
	s_bcnt1_i32_b32 s5, s5
	s_wait_alu 0xfffe
	v_dual_mov_b32 v2, 0 :: v_dual_mov_b32 v3, s5
	s_wait_kmcnt 0x0
	global_atomic_add_u32 v2, v2, v3, s[6:7] th:TH_ATOMIC_RETURN scope:SCOPE_DEV
.LBB175_3:
	s_or_b32 exec_lo, exec_lo, s4
	s_wait_loadcnt 0x0
	v_readfirstlane_b32 s4, v2
	s_wait_alu 0xf1ff
	s_delay_alu instid0(VALU_DEP_1)
	v_dual_mov_b32 v2, 0 :: v_dual_add_nc_u32 v1, s4, v1
	ds_store_b32 v2, v1
.LBB175_4:
	s_or_b32 exec_lo, exec_lo, s3
	v_dual_mov_b32 v2, 0 :: v_dual_lshlrev_b32 v19, 1, v0
	s_clause 0x2
	s_load_b128 s[4:7], s[0:1], 0x8
	s_load_b32 s3, s[0:1], 0x68
	s_load_b32 s0, s[0:1], 0x78
	s_wait_dscnt 0x0
	s_barrier_signal -1
	s_barrier_wait -1
	global_inv scope:SCOPE_SE
	ds_load_b32 v1, v2
	s_wait_loadcnt_dscnt 0x0
	s_barrier_signal -1
	s_barrier_wait -1
	global_inv scope:SCOPE_SE
	s_wait_kmcnt 0x0
	global_load_b64 v[17:18], v2, s[22:23]
	s_mov_b32 s13, 0
	s_lshl_b64 s[10:11], s[6:7], 1
	s_mul_i32 s12, s3, 0x1b00
	s_add_co_i32 s1, s3, -1
	s_add_co_i32 s3, s12, s6
	s_add_nc_u64 s[6:7], s[6:7], s[12:13]
	s_sub_co_i32 s29, s8, s3
	v_cmp_le_u64_e64 s3, s[8:9], s[6:7]
	v_readfirstlane_b32 s28, v1
	v_mul_lo_u32 v1, 0x1b00, v1
	s_add_nc_u64 s[4:5], s[4:5], s[10:11]
	s_cmp_eq_u32 s28, s1
	s_cselect_b32 s19, -1, 0
	s_delay_alu instid0(VALU_DEP_1) | instskip(SKIP_1) | instid1(SALU_CYCLE_1)
	v_lshlrev_b64_e32 v[1:2], 1, v[1:2]
	s_and_b32 s1, s3, s19
	s_xor_b32 s22, s1, -1
	s_mov_b32 s1, -1
	s_wait_alu 0xfffe
	s_delay_alu instid0(VALU_DEP_1) | instskip(NEXT) | instid1(VALU_DEP_1)
	v_add_co_u32 v20, vcc_lo, s4, v1
	v_add_co_ci_u32_e64 v21, null, s5, v2, vcc_lo
	s_and_b32 vcc_lo, exec_lo, s22
	s_wait_alu 0xfffe
	s_cbranch_vccz .LBB175_6
; %bb.5:
	v_add_co_u32 v1, vcc_lo, v20, v19
	s_wait_alu 0xfffd
	v_add_co_ci_u32_e64 v2, null, 0, v21, vcc_lo
	s_mov_b32 s1, 0
	s_clause 0x11
	flat_load_u16 v3, v[1:2]
	flat_load_u16 v4, v[1:2] offset:768
	flat_load_u16 v5, v[1:2] offset:1536
	;; [unrolled: 1-line block ×17, first 2 shown]
	s_wait_loadcnt_dscnt 0x1111
	ds_store_b16 v19, v3
	s_wait_loadcnt_dscnt 0x1011
	ds_store_b16 v19, v4 offset:768
	s_wait_loadcnt_dscnt 0xf11
	ds_store_b16 v19, v5 offset:1536
	;; [unrolled: 2-line block ×17, first 2 shown]
	s_wait_dscnt 0x0
	s_barrier_signal -1
	s_barrier_wait -1
.LBB175_6:
	s_and_not1_b32 vcc_lo, exec_lo, s1
	s_addk_co_i32 s29, 0x1b00
	s_wait_alu 0xfffe
	s_cbranch_vccnz .LBB175_44
; %bb.7:
	v_mov_b32_e32 v1, 0
	s_mov_b32 s1, exec_lo
	s_delay_alu instid0(VALU_DEP_1)
	v_dual_mov_b32 v2, v1 :: v_dual_mov_b32 v3, v1
	v_dual_mov_b32 v4, v1 :: v_dual_mov_b32 v5, v1
	;; [unrolled: 1-line block ×4, first 2 shown]
	v_cmpx_gt_u32_e64 s29, v0
	s_cbranch_execz .LBB175_9
; %bb.8:
	v_add_co_u32 v3, vcc_lo, v20, v19
	s_wait_alu 0xfffd
	v_add_co_ci_u32_e64 v4, null, 0, v21, vcc_lo
	v_mov_b32_e32 v2, v1
	v_dual_mov_b32 v6, v1 :: v_dual_mov_b32 v7, v1
	v_dual_mov_b32 v5, v1 :: v_dual_mov_b32 v8, v1
	v_mov_b32_e32 v9, v1
	flat_load_d16_b16 v2, v[3:4]
	v_dual_mov_b32 v3, v1 :: v_dual_mov_b32 v4, v1
	v_mov_b32_e32 v10, v1
	s_wait_loadcnt_dscnt 0x0
	v_mov_b32_e32 v1, v2
	s_delay_alu instid0(VALU_DEP_3)
	v_mov_b32_e32 v2, v3
	v_mov_b32_e32 v3, v4
	;; [unrolled: 1-line block ×15, first 2 shown]
.LBB175_9:
	s_or_b32 exec_lo, exec_lo, s1
	v_add_nc_u32_e32 v10, 0x180, v0
	s_mov_b32 s1, exec_lo
	s_delay_alu instid0(VALU_DEP_1)
	v_cmpx_gt_u32_e64 s29, v10
	s_cbranch_execz .LBB175_11
; %bb.10:
	v_add_co_u32 v10, vcc_lo, v20, v19
	s_wait_alu 0xfffd
	v_add_co_ci_u32_e64 v11, null, 0, v21, vcc_lo
	flat_load_d16_hi_b16 v1, v[10:11] offset:768
.LBB175_11:
	s_or_b32 exec_lo, exec_lo, s1
	v_add_nc_u32_e32 v10, 0x300, v0
	s_mov_b32 s1, exec_lo
	s_delay_alu instid0(VALU_DEP_1)
	v_cmpx_gt_u32_e64 s29, v10
	s_cbranch_execz .LBB175_13
; %bb.12:
	v_add_co_u32 v10, vcc_lo, v20, v19
	s_wait_alu 0xfffd
	v_add_co_ci_u32_e64 v11, null, 0, v21, vcc_lo
	flat_load_d16_b16 v2, v[10:11] offset:1536
.LBB175_13:
	s_or_b32 exec_lo, exec_lo, s1
	v_add_nc_u32_e32 v10, 0x480, v0
	s_mov_b32 s1, exec_lo
	s_delay_alu instid0(VALU_DEP_1)
	v_cmpx_gt_u32_e64 s29, v10
	s_cbranch_execz .LBB175_15
; %bb.14:
	v_add_co_u32 v10, vcc_lo, v20, v19
	s_wait_alu 0xfffd
	v_add_co_ci_u32_e64 v11, null, 0, v21, vcc_lo
	s_wait_loadcnt_dscnt 0x0
	flat_load_d16_hi_b16 v2, v[10:11] offset:2304
.LBB175_15:
	s_or_b32 exec_lo, exec_lo, s1
	v_or_b32_e32 v10, 0x600, v0
	s_mov_b32 s1, exec_lo
	s_delay_alu instid0(VALU_DEP_1)
	v_cmpx_gt_u32_e64 s29, v10
	s_cbranch_execz .LBB175_17
; %bb.16:
	v_add_co_u32 v10, vcc_lo, v20, v19
	s_wait_alu 0xfffd
	v_add_co_ci_u32_e64 v11, null, 0, v21, vcc_lo
	flat_load_d16_b16 v3, v[10:11] offset:3072
.LBB175_17:
	s_or_b32 exec_lo, exec_lo, s1
	v_add_nc_u32_e32 v10, 0x780, v0
	s_mov_b32 s1, exec_lo
	s_delay_alu instid0(VALU_DEP_1)
	v_cmpx_gt_u32_e64 s29, v10
	s_cbranch_execz .LBB175_19
; %bb.18:
	v_add_co_u32 v10, vcc_lo, v20, v19
	s_wait_alu 0xfffd
	v_add_co_ci_u32_e64 v11, null, 0, v21, vcc_lo
	s_wait_loadcnt_dscnt 0x0
	flat_load_d16_hi_b16 v3, v[10:11] offset:3840
.LBB175_19:
	s_or_b32 exec_lo, exec_lo, s1
	v_add_nc_u32_e32 v10, 0x900, v0
	s_mov_b32 s1, exec_lo
	s_delay_alu instid0(VALU_DEP_1)
	v_cmpx_gt_u32_e64 s29, v10
	s_cbranch_execz .LBB175_21
; %bb.20:
	v_add_co_u32 v10, vcc_lo, v20, v19
	s_wait_alu 0xfffd
	v_add_co_ci_u32_e64 v11, null, 0, v21, vcc_lo
	flat_load_d16_b16 v4, v[10:11] offset:4608
.LBB175_21:
	s_or_b32 exec_lo, exec_lo, s1
	v_add_nc_u32_e32 v10, 0xa80, v0
	s_mov_b32 s1, exec_lo
	s_delay_alu instid0(VALU_DEP_1)
	v_cmpx_gt_u32_e64 s29, v10
	s_cbranch_execz .LBB175_23
; %bb.22:
	v_add_co_u32 v10, vcc_lo, v20, v19
	s_wait_alu 0xfffd
	v_add_co_ci_u32_e64 v11, null, 0, v21, vcc_lo
	s_wait_loadcnt_dscnt 0x0
	flat_load_d16_hi_b16 v4, v[10:11] offset:5376
.LBB175_23:
	s_or_b32 exec_lo, exec_lo, s1
	v_or_b32_e32 v10, 0xc00, v0
	s_mov_b32 s1, exec_lo
	s_delay_alu instid0(VALU_DEP_1)
	v_cmpx_gt_u32_e64 s29, v10
	s_cbranch_execz .LBB175_25
; %bb.24:
	v_add_co_u32 v10, vcc_lo, v20, v19
	s_wait_alu 0xfffd
	v_add_co_ci_u32_e64 v11, null, 0, v21, vcc_lo
	flat_load_d16_b16 v5, v[10:11] offset:6144
.LBB175_25:
	s_or_b32 exec_lo, exec_lo, s1
	v_add_nc_u32_e32 v10, 0xd80, v0
	s_mov_b32 s1, exec_lo
	s_delay_alu instid0(VALU_DEP_1)
	v_cmpx_gt_u32_e64 s29, v10
	s_cbranch_execz .LBB175_27
; %bb.26:
	v_add_co_u32 v10, vcc_lo, v20, v19
	s_wait_alu 0xfffd
	v_add_co_ci_u32_e64 v11, null, 0, v21, vcc_lo
	s_wait_loadcnt_dscnt 0x0
	flat_load_d16_hi_b16 v5, v[10:11] offset:6912
.LBB175_27:
	;; [unrolled: 50-line block ×4, first 2 shown]
	s_or_b32 exec_lo, exec_lo, s1
	s_wait_loadcnt_dscnt 0x0
	ds_store_b16 v19, v1
	ds_store_b16_d16_hi v19, v1 offset:768
	ds_store_b16 v19, v2 offset:1536
	ds_store_b16_d16_hi v19, v2 offset:2304
	ds_store_b16 v19, v3 offset:3072
	;; [unrolled: 2-line block ×8, first 2 shown]
	ds_store_b16_d16_hi v19, v9 offset:13056
	s_wait_dscnt 0x0
	s_barrier_signal -1
	s_barrier_wait -1
.LBB175_44:
	v_mul_u32_u24_e32 v5, 18, v0
	s_wait_loadcnt 0x0
	global_inv scope:SCOPE_SE
	s_lshr_b32 s30, s0, 16
	s_and_not1_b32 vcc_lo, exec_lo, s22
	v_lshlrev_b32_e32 v6, 1, v5
	ds_load_u16 v55, v6 offset:4
	ds_load_u16 v16, v6 offset:34
	ds_load_b32 v56, v6
	ds_load_b128 v[1:4], v6 offset:6
	ds_load_b96 v[13:15], v6 offset:22
	s_wait_loadcnt_dscnt 0x0
	s_barrier_signal -1
	s_barrier_wait -1
	global_inv scope:SCOPE_SE
	v_cmp_ne_u16_e64 s0, s30, v55
	v_cmp_ne_u16_e64 s23, s30, v16
	;; [unrolled: 1-line block ×3, first 2 shown]
	v_lshrrev_b32_e32 v19, 16, v56
	v_cmp_ne_u16_e64 s7, s30, v1
	v_lshrrev_b32_e32 v12, 16, v1
	v_cmp_ne_u16_e64 s9, s30, v2
	;; [unrolled: 2-line block ×7, first 2 shown]
	v_lshrrev_b32_e32 v6, 16, v15
	s_wait_alu 0xfffe
	s_cbranch_vccnz .LBB175_46
; %bb.45:
	v_cmp_ne_u16_e32 vcc_lo, s30, v19
	s_wait_alu 0xf1ff
	v_cndmask_b32_e64 v22, 0, 1, s7
	v_cndmask_b32_e64 v21, 0, 1, s9
	;; [unrolled: 1-line block ×4, first 2 shown]
	s_wait_alu 0xfffd
	v_cndmask_b32_e64 v20, 0, 1, vcc_lo
	v_lshlrev_b16 v22, 8, v22
	v_cmp_ne_u16_e32 vcc_lo, s30, v12
	v_lshlrev_b16 v21, 8, v21
	v_cndmask_b32_e64 v24, 0, 1, s6
	v_lshlrev_b16 v20, 8, v20
	v_lshrrev_b32_e32 v22, 8, v22
	s_wait_alu 0xfffd
	v_cndmask_b32_e64 v30, 0, 1, vcc_lo
	v_cmp_ne_u16_e32 vcc_lo, s30, v11
	v_lshrrev_b32_e32 v21, 8, v21
	v_lshrrev_b32_e32 v20, 8, v20
	v_lshlrev_b16 v22, 8, v22
	v_cndmask_b32_e64 v25, 0, 1, s5
	v_cndmask_b32_e64 v26, 0, 1, s3
	v_lshlrev_b16 v21, 8, v21
	v_lshlrev_b16 v20, 8, v20
	v_or_b32_e32 v22, v29, v22
	v_lshlrev_b16 v24, 8, v24
	v_lshlrev_b16 v25, 8, v25
	;; [unrolled: 1-line block ×3, first 2 shown]
	v_or_b32_e32 v20, v28, v20
	s_wait_alu 0xfffd
	v_cndmask_b32_e64 v28, 0, 1, vcc_lo
	v_cmp_ne_u16_e32 vcc_lo, s30, v10
	v_or_b32_e32 v21, v30, v21
	v_cndmask_b32_e64 v23, 0, 1, s8
	v_cndmask_b32_e64 v27, 0, 1, s4
	v_lshrrev_b32_e32 v26, 8, v26
	s_wait_alu 0xfffd
	v_cndmask_b32_e64 v29, 0, 1, vcc_lo
	v_cmp_ne_u16_e32 vcc_lo, s30, v9
	v_lshrrev_b32_e32 v24, 8, v24
	v_lshrrev_b32_e32 v25, 8, v25
	v_lshlrev_b16 v23, 8, v23
	v_lshlrev_b16 v27, 8, v27
	s_wait_alu 0xfffd
	v_cndmask_b32_e64 v30, 0, 1, vcc_lo
	v_cmp_ne_u16_e32 vcc_lo, s30, v8
	v_lshlrev_b16 v24, 8, v24
	v_lshlrev_b16 v25, 8, v25
	;; [unrolled: 1-line block ×3, first 2 shown]
	v_or_b32_e32 v23, v28, v23
	s_wait_alu 0xfffd
	v_cndmask_b32_e64 v31, 0, 1, vcc_lo
	v_cmp_ne_u16_e32 vcc_lo, s30, v7
	v_or_b32_e32 v24, v29, v24
	v_or_b32_e32 v25, v30, v25
	v_and_b32_e32 v20, 0xffff, v20
	v_or_b32_e32 v26, v31, v26
	s_wait_alu 0xfffd
	v_cndmask_b32_e64 v32, 0, 1, vcc_lo
	v_lshlrev_b32_e32 v22, 16, v22
	v_and_b32_e32 v21, 0xffff, v21
	v_lshlrev_b32_e32 v23, 16, v23
	v_and_b32_e32 v24, 0xffff, v24
	v_or_b32_e32 v27, v32, v27
	v_lshlrev_b32_e32 v25, 16, v25
	v_and_b32_e32 v26, 0xffff, v26
	v_cmp_ne_u16_e32 vcc_lo, s30, v6
	v_or_b32_e32 v53, v20, v22
	v_lshlrev_b32_e32 v27, 16, v27
	v_or_b32_e32 v61, v21, v23
	v_or_b32_e32 v59, v24, v25
	s_wait_alu 0xfffd
	v_cndmask_b32_e64 v57, 0, 1, vcc_lo
	v_or_b32_e32 v58, v26, v27
	s_cbranch_execz .LBB175_47
	s_branch .LBB175_48
.LBB175_46:
                                        ; implicit-def: $sgpr23
                                        ; implicit-def: $vgpr57
                                        ; implicit-def: $vgpr58
                                        ; implicit-def: $vgpr59
                                        ; implicit-def: $vgpr61
                                        ; implicit-def: $vgpr53
.LBB175_47:
	v_or_b32_e32 v20, 1, v5
	v_cmp_ne_u16_e32 vcc_lo, s30, v19
	v_add_nc_u32_e32 v21, 3, v5
	v_add_nc_u32_e32 v19, 2, v5
	v_cmp_ne_u16_e64 s8, s30, v2
	v_cmp_gt_u32_e64 s3, s29, v20
	v_add_nc_u32_e32 v20, 4, v5
	v_cmp_gt_u32_e64 s6, s29, v21
	v_cmp_gt_u32_e64 s5, s29, v19
	v_add_nc_u32_e32 v19, 7, v5
	s_and_b32 s3, s3, vcc_lo
	v_cmp_ne_u16_e32 vcc_lo, s30, v1
	v_cmp_gt_u32_e64 s7, s29, v20
	v_add_nc_u32_e32 v20, 5, v5
	s_wait_alu 0xfffe
	v_cndmask_b32_e64 v22, 0, 1, s3
	v_cmp_ne_u16_e64 s3, s30, v12
	s_and_b32 s6, s6, vcc_lo
	v_cmp_ne_u16_e32 vcc_lo, s30, v3
	s_wait_alu 0xfffe
	v_cndmask_b32_e64 v21, 0, 1, s6
	v_cmp_gt_u32_e64 s6, s29, v19
	v_cmp_gt_u32_e64 s9, s29, v20
	v_lshlrev_b16 v12, 8, v22
	v_add_nc_u32_e32 v20, 6, v5
	v_lshlrev_b16 v19, 8, v21
	s_and_b32 s6, s6, vcc_lo
	v_cmp_ne_u16_e32 vcc_lo, s30, v11
	s_wait_alu 0xfffe
	v_cndmask_b32_e64 v21, 0, 1, s6
	s_and_b32 s6, s9, s8
	v_add_nc_u32_e32 v11, 8, v5
	s_wait_alu 0xfffe
	v_cndmask_b32_e64 v22, 0, 1, s6
	v_cmp_gt_u32_e64 s6, s29, v20
	v_lshlrev_b16 v20, 8, v21
	v_cmp_ne_u16_e64 s8, s30, v10
	v_cmp_gt_u32_e64 s9, s29, v11
	v_lshlrev_b16 v21, 8, v22
	v_add_nc_u32_e32 v10, 9, v5
	v_lshrrev_b32_e32 v11, 8, v20
	v_cmp_ne_u16_e64 s10, s30, v4
	v_cmp_ne_u16_e64 s13, s30, v13
	v_lshrrev_b32_e32 v20, 8, v21
	v_add_nc_u32_e32 v21, 11, v5
	v_cmp_gt_u32_e64 s11, s29, v10
	v_add_nc_u32_e32 v10, 10, v5
	v_cmp_ne_u16_e64 s12, s30, v9
	v_cmp_ne_u16_e64 s16, s30, v15
	v_cmp_gt_u32_e64 s14, s29, v21
	s_and_b32 s10, s11, s10
	v_cmp_ne_u16_e64 s0, s30, v56
	v_cndmask_b32_e64 v9, 0, 1, s10
	v_cmp_gt_u32_e64 s10, s29, v10
	s_and_b32 s11, s14, s13
	v_add_nc_u32_e32 v10, 12, v5
	s_wait_alu 0xfffe
	v_cndmask_b32_e64 v21, 0, 1, s11
	v_cmp_ne_u16_e64 s11, s30, v8
	v_add_nc_u32_e32 v8, 13, v5
	v_cmp_ne_u16_e64 s14, s30, v14
	v_cmp_gt_u32_e64 s13, s29, v10
	v_lshlrev_b16 v10, 8, v21
	v_add_nc_u32_e32 v21, 15, v5
	v_cmp_gt_u32_e64 s15, s29, v8
	v_cmp_gt_u32_e64 s1, s29, v5
	v_cmp_ne_u16_e64 s4, s30, v55
	v_cmp_ne_u16_e64 s18, s30, v7
	v_cmp_gt_u32_e64 s17, s29, v21
	s_and_b32 s14, s15, s14
	v_add_nc_u32_e32 v7, 16, v5
	v_cndmask_b32_e64 v8, 0, 1, s14
	s_and_b32 s0, s1, s0
	s_and_b32 s14, s17, s16
	v_add_nc_u32_e32 v22, 14, v5
	s_wait_alu 0xfffe
	v_cndmask_b32_e64 v21, 0, 1, s14
	v_cmp_ne_u16_e64 s14, s30, v6
	v_lshlrev_b16 v6, 8, v8
	v_lshrrev_b32_e32 v8, 8, v12
	v_lshrrev_b32_e32 v12, 8, v19
	v_cndmask_b32_e64 v19, 0, 1, s0
	s_and_b32 s0, s5, s4
	v_cmp_gt_u32_e64 s15, s29, v7
	v_lshlrev_b16 v7, 8, v21
	s_wait_alu 0xfffe
	v_cndmask_b32_e64 v21, 0, 1, s0
	s_and_b32 s0, s7, s3
	v_cmp_gt_u32_e64 s16, s29, v22
	v_lshlrev_b16 v8, 8, v8
	v_lshlrev_b16 v12, 8, v12
	;; [unrolled: 1-line block ×3, first 2 shown]
	s_wait_alu 0xfffe
	v_cndmask_b32_e64 v22, 0, 1, s0
	v_add_nc_u32_e32 v5, 17, v5
	v_or_b32_e32 v8, v19, v8
	v_or_b32_e32 v12, v21, v12
	v_lshlrev_b16 v9, 8, v9
	v_or_b32_e32 v19, v22, v20
	s_and_b32 s3, s6, vcc_lo
	v_cmp_gt_u32_e64 s0, s29, v5
	v_and_b32_e32 v5, 0xffff, v8
	v_lshlrev_b32_e32 v8, 16, v12
	v_and_b32_e32 v12, 0xffff, v19
	s_wait_alu 0xfffe
	v_cndmask_b32_e64 v19, 0, 1, s3
	s_and_b32 s3, s9, s8
	v_lshrrev_b32_e32 v7, 8, v7
	s_wait_alu 0xfffe
	v_cndmask_b32_e64 v20, 0, 1, s3
	s_and_b32 s3, s10, s12
	v_lshrrev_b32_e32 v6, 8, v6
	v_lshrrev_b32_e32 v9, 8, v9
	;; [unrolled: 1-line block ×3, first 2 shown]
	s_wait_alu 0xfffe
	v_cndmask_b32_e64 v21, 0, 1, s3
	s_and_b32 s3, s13, s11
	v_lshlrev_b16 v11, 8, v11
	s_wait_alu 0xfffe
	v_cndmask_b32_e64 v22, 0, 1, s3
	s_and_b32 s3, s16, s18
	v_lshlrev_b16 v9, 8, v9
	v_lshlrev_b16 v10, 8, v10
	;; [unrolled: 1-line block ×4, first 2 shown]
	s_wait_alu 0xfffe
	v_cndmask_b32_e64 v23, 0, 1, s3
	v_or_b32_e32 v11, v19, v11
	v_or_b32_e32 v9, v20, v9
	;; [unrolled: 1-line block ×5, first 2 shown]
	v_cmp_ne_u16_e64 s1, s30, v16
	v_lshlrev_b32_e32 v11, 16, v11
	v_and_b32_e32 v9, 0xffff, v9
	v_lshlrev_b32_e32 v10, 16, v10
	v_and_b32_e32 v6, 0xffff, v6
	v_lshlrev_b32_e32 v7, 16, v7
	s_and_b32 s14, s15, s14
	s_and_b32 s0, s0, s1
	s_wait_alu 0xfffe
	v_cndmask_b32_e64 v57, 0, 1, s14
	v_or_b32_e32 v53, v5, v8
	v_or_b32_e32 v61, v12, v11
	;; [unrolled: 1-line block ×4, first 2 shown]
	s_and_not1_b32 s1, s23, exec_lo
	s_and_b32 s0, s0, exec_lo
	s_wait_alu 0xfffe
	s_or_b32 s23, s1, s0
.LBB175_48:
	v_and_b32_e32 v28, 0xff, v53
	v_bfe_u32 v27, v53, 8, 8
	v_cndmask_b32_e64 v5, 0, 1, s23
	v_bfe_u32 v35, v53, 16, 8
	v_lshrrev_b32_e32 v64, 24, v53
	v_and_b32_e32 v34, 0xff, v61
	v_bfe_u32 v33, v61, 8, 8
	v_add3_u32 v5, v28, v5, v27
	v_bfe_u32 v32, v61, 16, 8
	v_lshrrev_b32_e32 v63, 24, v61
	v_dual_mov_b32 v6, 0 :: v_dual_and_b32 v31, 0xff, v59
	s_delay_alu instid0(VALU_DEP_4) | instskip(SKIP_3) | instid1(VALU_DEP_3)
	v_add_co_u32 v5, s0, v5, v35
	s_wait_alu 0xf1ff
	v_add_co_ci_u32_e64 v7, null, 0, 0, s0
	v_bfe_u32 v30, v59, 8, 8
	v_add_co_u32 v5, vcc_lo, v5, v64
	s_wait_alu 0xfffd
	s_delay_alu instid0(VALU_DEP_3) | instskip(SKIP_1) | instid1(VALU_DEP_3)
	v_add_co_ci_u32_e64 v7, null, 0, v7, vcc_lo
	v_bfe_u32 v29, v59, 16, 8
	v_add_co_u32 v5, vcc_lo, v5, v34
	s_wait_alu 0xfffd
	s_delay_alu instid0(VALU_DEP_3) | instskip(SKIP_1) | instid1(VALU_DEP_3)
	v_add_co_ci_u32_e64 v7, null, 0, v7, vcc_lo
	v_lshrrev_b32_e32 v62, 24, v59
	v_add_co_u32 v5, vcc_lo, v5, v33
	s_wait_alu 0xfffd
	s_delay_alu instid0(VALU_DEP_3) | instskip(SKIP_1) | instid1(VALU_DEP_3)
	v_add_co_ci_u32_e64 v7, null, 0, v7, vcc_lo
	v_and_b32_e32 v67, 0xff, v58
	v_add_co_u32 v5, vcc_lo, v5, v32
	s_wait_alu 0xfffd
	s_delay_alu instid0(VALU_DEP_3) | instskip(SKIP_1) | instid1(VALU_DEP_3)
	v_add_co_ci_u32_e64 v7, null, 0, v7, vcc_lo
	v_bfe_u32 v66, v58, 8, 8
	v_add_co_u32 v5, vcc_lo, v5, v63
	s_wait_alu 0xfffd
	s_delay_alu instid0(VALU_DEP_3) | instskip(SKIP_1) | instid1(VALU_DEP_3)
	v_add_co_ci_u32_e64 v7, null, 0, v7, vcc_lo
	v_bfe_u32 v65, v58, 16, 8
	v_add_co_u32 v5, vcc_lo, v5, v31
	s_wait_alu 0xfffd
	s_delay_alu instid0(VALU_DEP_3) | instskip(SKIP_1) | instid1(VALU_DEP_3)
	v_add_co_ci_u32_e64 v7, null, 0, v7, vcc_lo
	v_lshrrev_b32_e32 v60, 24, v58
	v_add_co_u32 v5, vcc_lo, v5, v30
	s_wait_alu 0xfffd
	s_delay_alu instid0(VALU_DEP_3) | instskip(SKIP_1) | instid1(VALU_DEP_3)
	v_add_co_ci_u32_e64 v7, null, 0, v7, vcc_lo
	v_mbcnt_lo_u32_b32 v36, -1, 0
	v_add_co_u32 v5, vcc_lo, v5, v29
	s_wait_alu 0xfffd
	s_delay_alu instid0(VALU_DEP_3) | instskip(SKIP_1) | instid1(VALU_DEP_3)
	v_add_co_ci_u32_e64 v7, null, 0, v7, vcc_lo
	v_and_b32_e32 v54, 0xff, v57
	v_add_co_u32 v5, vcc_lo, v5, v62
	s_wait_alu 0xfffd
	s_delay_alu instid0(VALU_DEP_3) | instskip(SKIP_1) | instid1(VALU_DEP_3)
	v_add_co_ci_u32_e64 v7, null, 0, v7, vcc_lo
	v_and_b32_e32 v37, 15, v36
	v_add_co_u32 v5, vcc_lo, v5, v67
	s_wait_alu 0xfffd
	s_delay_alu instid0(VALU_DEP_3) | instskip(NEXT) | instid1(VALU_DEP_3)
	v_add_co_ci_u32_e64 v7, null, 0, v7, vcc_lo
	v_cmp_ne_u32_e64 s0, 0, v37
	s_delay_alu instid0(VALU_DEP_3) | instskip(SKIP_1) | instid1(VALU_DEP_3)
	v_add_co_u32 v5, vcc_lo, v5, v66
	s_wait_alu 0xfffd
	v_add_co_ci_u32_e64 v7, null, 0, v7, vcc_lo
	s_cmp_lg_u32 s28, 0
	v_add_co_u32 v5, vcc_lo, v5, v65
	s_wait_alu 0xfffd
	v_add_co_ci_u32_e64 v7, null, 0, v7, vcc_lo
	s_mov_b32 s1, -1
	v_add_co_u32 v5, vcc_lo, v5, v60
	s_wait_alu 0xfffd
	v_add_co_ci_u32_e64 v7, null, 0, v7, vcc_lo
	s_delay_alu instid0(VALU_DEP_2) | instskip(SKIP_1) | instid1(VALU_DEP_2)
	v_add_co_u32 v19, vcc_lo, v5, v54
	s_wait_alu 0xfffd
	v_add_co_ci_u32_e64 v20, null, 0, v7, vcc_lo
	s_cbranch_scc0 .LBB175_107
; %bb.49:
	v_mov_b32_e32 v7, v19
	v_mov_b32_dpp v5, v19 row_shr:1 row_mask:0xf bank_mask:0xf
	v_mov_b32_dpp v10, v6 row_shr:1 row_mask:0xf bank_mask:0xf
	v_dual_mov_b32 v9, v19 :: v_dual_mov_b32 v8, v20
	s_and_saveexec_b32 s1, s0
; %bb.50:
	s_delay_alu instid0(VALU_DEP_3) | instskip(SKIP_2) | instid1(VALU_DEP_2)
	v_add_co_u32 v9, vcc_lo, v19, v5
	s_wait_alu 0xfffd
	v_add_co_ci_u32_e64 v6, null, 0, v20, vcc_lo
	v_add_co_u32 v5, vcc_lo, 0, v9
	s_wait_alu 0xfffd
	s_delay_alu instid0(VALU_DEP_2) | instskip(NEXT) | instid1(VALU_DEP_1)
	v_add_co_ci_u32_e64 v6, null, v10, v6, vcc_lo
	v_dual_mov_b32 v8, v6 :: v_dual_mov_b32 v7, v5
; %bb.51:
	s_wait_alu 0xfffe
	s_or_b32 exec_lo, exec_lo, s1
	v_mov_b32_dpp v5, v9 row_shr:2 row_mask:0xf bank_mask:0xf
	v_mov_b32_dpp v10, v6 row_shr:2 row_mask:0xf bank_mask:0xf
	v_cmp_lt_u32_e32 vcc_lo, 1, v37
	s_and_saveexec_b32 s3, vcc_lo
; %bb.52:
	s_delay_alu instid0(VALU_DEP_3) | instskip(SKIP_2) | instid1(VALU_DEP_2)
	v_add_co_u32 v9, s1, v7, v5
	s_wait_alu 0xf1ff
	v_add_co_ci_u32_e64 v6, null, 0, v8, s1
	v_add_co_u32 v5, s1, 0, v9
	s_wait_alu 0xf1ff
	s_delay_alu instid0(VALU_DEP_2) | instskip(NEXT) | instid1(VALU_DEP_1)
	v_add_co_ci_u32_e64 v6, null, v10, v6, s1
	v_dual_mov_b32 v8, v6 :: v_dual_mov_b32 v7, v5
; %bb.53:
	s_wait_alu 0xfffe
	s_or_b32 exec_lo, exec_lo, s3
	v_mov_b32_dpp v5, v9 row_shr:4 row_mask:0xf bank_mask:0xf
	v_mov_b32_dpp v10, v6 row_shr:4 row_mask:0xf bank_mask:0xf
	v_cmp_lt_u32_e64 s1, 3, v37
	s_and_saveexec_b32 s4, s1
; %bb.54:
	v_add_co_u32 v9, s3, v7, v5
	s_wait_alu 0xf1ff
	v_add_co_ci_u32_e64 v6, null, 0, v8, s3
	s_delay_alu instid0(VALU_DEP_2) | instskip(SKIP_1) | instid1(VALU_DEP_2)
	v_add_co_u32 v5, s3, 0, v9
	s_wait_alu 0xf1ff
	v_add_co_ci_u32_e64 v6, null, v10, v6, s3
	s_delay_alu instid0(VALU_DEP_1)
	v_dual_mov_b32 v8, v6 :: v_dual_mov_b32 v7, v5
; %bb.55:
	s_wait_alu 0xfffe
	s_or_b32 exec_lo, exec_lo, s4
	v_mov_b32_dpp v10, v9 row_shr:8 row_mask:0xf bank_mask:0xf
	v_mov_b32_dpp v5, v6 row_shr:8 row_mask:0xf bank_mask:0xf
	v_cmp_lt_u32_e64 s3, 7, v37
	s_and_saveexec_b32 s5, s3
; %bb.56:
	v_add_co_u32 v9, s4, v7, v10
	s_wait_alu 0xf1ff
	v_add_co_ci_u32_e64 v6, null, 0, v8, s4
	s_delay_alu instid0(VALU_DEP_2) | instskip(SKIP_1) | instid1(VALU_DEP_2)
	v_add_co_u32 v7, s4, 0, v9
	s_wait_alu 0xf1ff
	v_add_co_ci_u32_e64 v8, null, v5, v6, s4
	s_delay_alu instid0(VALU_DEP_1)
	v_mov_b32_e32 v6, v8
; %bb.57:
	s_wait_alu 0xfffe
	s_or_b32 exec_lo, exec_lo, s5
	ds_swizzle_b32 v5, v9 offset:swizzle(BROADCAST,32,15)
	ds_swizzle_b32 v10, v6 offset:swizzle(BROADCAST,32,15)
	v_and_b32_e32 v11, 16, v36
	s_mov_b32 s5, exec_lo
	s_delay_alu instid0(VALU_DEP_1)
	v_cmpx_ne_u32_e32 0, v11
	s_cbranch_execz .LBB175_59
; %bb.58:
	s_wait_dscnt 0x1
	v_add_co_u32 v9, s4, v7, v5
	s_wait_alu 0xf1ff
	v_add_co_ci_u32_e64 v6, null, 0, v8, s4
	s_delay_alu instid0(VALU_DEP_2) | instskip(SKIP_2) | instid1(VALU_DEP_2)
	v_add_co_u32 v5, s4, 0, v9
	s_wait_dscnt 0x0
	s_wait_alu 0xf1ff
	v_add_co_ci_u32_e64 v6, null, v10, v6, s4
	s_delay_alu instid0(VALU_DEP_1)
	v_dual_mov_b32 v8, v6 :: v_dual_mov_b32 v7, v5
.LBB175_59:
	s_wait_alu 0xfffe
	s_or_b32 exec_lo, exec_lo, s5
	s_wait_dscnt 0x1
	v_and_b32_e32 v5, 0x1e0, v0
	s_mov_b32 s5, exec_lo
	s_delay_alu instid0(VALU_DEP_1) | instskip(SKIP_1) | instid1(VALU_DEP_1)
	v_min_u32_e32 v5, 0x160, v5
	s_wait_dscnt 0x0
	v_or_b32_e32 v10, 31, v5
	v_lshrrev_b32_e32 v5, 5, v0
	s_delay_alu instid0(VALU_DEP_2)
	v_cmpx_eq_u32_e64 v0, v10
; %bb.60:
	s_delay_alu instid0(VALU_DEP_2)
	v_lshlrev_b32_e32 v10, 3, v5
	ds_store_b64 v10, v[7:8]
; %bb.61:
	s_wait_alu 0xfffe
	s_or_b32 exec_lo, exec_lo, s5
	s_delay_alu instid0(SALU_CYCLE_1)
	s_mov_b32 s5, exec_lo
	s_wait_loadcnt_dscnt 0x0
	s_barrier_signal -1
	s_barrier_wait -1
	global_inv scope:SCOPE_SE
	v_cmpx_gt_u32_e32 12, v0
	s_cbranch_execz .LBB175_71
; %bb.62:
	v_lshlrev_b32_e32 v10, 3, v0
	ds_load_b64 v[7:8], v10
	s_wait_dscnt 0x0
	v_mov_b32_dpp v21, v7 row_shr:1 row_mask:0xf bank_mask:0xf
	v_mov_b32_dpp v12, v8 row_shr:1 row_mask:0xf bank_mask:0xf
	v_mov_b32_e32 v11, v7
	s_and_saveexec_b32 s6, s0
; %bb.63:
	s_delay_alu instid0(VALU_DEP_3) | instskip(SKIP_2) | instid1(VALU_DEP_2)
	v_add_co_u32 v11, s4, v7, v21
	s_wait_alu 0xf1ff
	v_add_co_ci_u32_e64 v8, null, 0, v8, s4
	v_add_co_u32 v7, s4, 0, v11
	s_wait_alu 0xf1ff
	s_delay_alu instid0(VALU_DEP_2)
	v_add_co_ci_u32_e64 v8, null, v12, v8, s4
; %bb.64:
	s_wait_alu 0xfffe
	s_or_b32 exec_lo, exec_lo, s6
	v_mov_b32_dpp v21, v11 row_shr:2 row_mask:0xf bank_mask:0xf
	s_delay_alu instid0(VALU_DEP_2)
	v_mov_b32_dpp v12, v8 row_shr:2 row_mask:0xf bank_mask:0xf
	s_and_saveexec_b32 s4, vcc_lo
; %bb.65:
	s_delay_alu instid0(VALU_DEP_2) | instskip(SKIP_2) | instid1(VALU_DEP_2)
	v_add_co_u32 v11, vcc_lo, v7, v21
	s_wait_alu 0xfffd
	v_add_co_ci_u32_e64 v8, null, 0, v8, vcc_lo
	v_add_co_u32 v7, vcc_lo, 0, v11
	s_wait_alu 0xfffd
	s_delay_alu instid0(VALU_DEP_2)
	v_add_co_ci_u32_e64 v8, null, v12, v8, vcc_lo
; %bb.66:
	s_wait_alu 0xfffe
	s_or_b32 exec_lo, exec_lo, s4
	v_mov_b32_dpp v21, v11 row_shr:4 row_mask:0xf bank_mask:0xf
	s_delay_alu instid0(VALU_DEP_2)
	v_mov_b32_dpp v12, v8 row_shr:4 row_mask:0xf bank_mask:0xf
	s_and_saveexec_b32 s4, s1
; %bb.67:
	s_delay_alu instid0(VALU_DEP_2) | instskip(SKIP_2) | instid1(VALU_DEP_2)
	v_add_co_u32 v11, vcc_lo, v7, v21
	s_wait_alu 0xfffd
	v_add_co_ci_u32_e64 v8, null, 0, v8, vcc_lo
	v_add_co_u32 v7, vcc_lo, 0, v11
	s_wait_alu 0xfffd
	s_delay_alu instid0(VALU_DEP_2)
	v_add_co_ci_u32_e64 v8, null, v12, v8, vcc_lo
; %bb.68:
	s_wait_alu 0xfffe
	s_or_b32 exec_lo, exec_lo, s4
	v_mov_b32_dpp v12, v11 row_shr:8 row_mask:0xf bank_mask:0xf
	s_delay_alu instid0(VALU_DEP_2)
	v_mov_b32_dpp v11, v8 row_shr:8 row_mask:0xf bank_mask:0xf
	s_and_saveexec_b32 s1, s3
; %bb.69:
	s_delay_alu instid0(VALU_DEP_2) | instskip(SKIP_2) | instid1(VALU_DEP_2)
	v_add_co_u32 v7, vcc_lo, v7, v12
	s_wait_alu 0xfffd
	v_add_co_ci_u32_e64 v8, null, 0, v8, vcc_lo
	v_add_co_u32 v7, vcc_lo, v7, 0
	s_wait_alu 0xfffd
	s_delay_alu instid0(VALU_DEP_2)
	v_add_co_ci_u32_e64 v8, null, v8, v11, vcc_lo
; %bb.70:
	s_wait_alu 0xfffe
	s_or_b32 exec_lo, exec_lo, s1
	ds_store_b64 v10, v[7:8]
.LBB175_71:
	s_wait_alu 0xfffe
	s_or_b32 exec_lo, exec_lo, s5
	s_delay_alu instid0(SALU_CYCLE_1)
	s_mov_b32 s3, exec_lo
	v_cmp_gt_u32_e32 vcc_lo, 32, v0
	s_wait_loadcnt_dscnt 0x0
	s_barrier_signal -1
	s_barrier_wait -1
	global_inv scope:SCOPE_SE
                                        ; implicit-def: $vgpr21_vgpr22
	v_cmpx_lt_u32_e32 31, v0
	s_cbranch_execz .LBB175_73
; %bb.72:
	v_lshl_add_u32 v5, v5, 3, -8
	ds_load_b64 v[21:22], v5
	s_wait_dscnt 0x0
	v_add_co_u32 v9, s1, v9, v21
	s_wait_alu 0xf1ff
	v_add_co_ci_u32_e64 v6, null, v6, v22, s1
.LBB175_73:
	s_wait_alu 0xfffe
	s_or_b32 exec_lo, exec_lo, s3
	v_sub_co_u32 v5, s1, v36, 1
	s_delay_alu instid0(VALU_DEP_1) | instskip(SKIP_1) | instid1(VALU_DEP_1)
	v_cmp_gt_i32_e64 s3, 0, v5
	s_wait_alu 0xf1ff
	v_cndmask_b32_e64 v5, v5, v36, s3
	s_delay_alu instid0(VALU_DEP_1)
	v_lshlrev_b32_e32 v5, 2, v5
	ds_bpermute_b32 v38, v5, v9
	ds_bpermute_b32 v39, v5, v6
	s_and_saveexec_b32 s3, vcc_lo
	s_cbranch_execz .LBB175_112
; %bb.74:
	v_mov_b32_e32 v8, 0
	ds_load_b64 v[5:6], v8 offset:88
	s_and_saveexec_b32 s4, s1
	s_cbranch_execz .LBB175_76
; %bb.75:
	s_add_co_i32 s6, s28, 32
	s_mov_b32 s7, 0
	s_wait_alu 0xfffe
	s_lshl_b64 s[6:7], s[6:7], 4
	s_wait_alu 0xfffe
	s_add_nc_u64 s[6:7], s[26:27], s[6:7]
	s_wait_alu 0xfffe
	v_dual_mov_b32 v7, 1 :: v_dual_mov_b32 v10, s7
	v_mov_b32_e32 v9, s6
	s_wait_dscnt 0x0
	;;#ASMSTART
	global_store_b128 v[9:10], v[5:8] off scope:SCOPE_DEV	
s_wait_storecnt 0x0
	;;#ASMEND
.LBB175_76:
	s_wait_alu 0xfffe
	s_or_b32 exec_lo, exec_lo, s4
	v_xad_u32 v23, v36, -1, s28
	s_mov_b32 s5, 0
	s_mov_b32 s4, exec_lo
	s_delay_alu instid0(VALU_DEP_1) | instskip(NEXT) | instid1(VALU_DEP_1)
	v_add_nc_u32_e32 v7, 32, v23
	v_lshlrev_b64_e32 v[7:8], 4, v[7:8]
	s_delay_alu instid0(VALU_DEP_1) | instskip(SKIP_1) | instid1(VALU_DEP_2)
	v_add_co_u32 v7, vcc_lo, s26, v7
	s_wait_alu 0xfffd
	v_add_co_ci_u32_e64 v8, null, s27, v8, vcc_lo
	;;#ASMSTART
	global_load_b128 v[9:12], v[7:8] off scope:SCOPE_DEV	
s_wait_loadcnt 0x0
	;;#ASMEND
	v_and_b32_e32 v12, 0xff, v11
	s_delay_alu instid0(VALU_DEP_1)
	v_cmpx_eq_u16_e32 0, v12
	s_cbranch_execz .LBB175_79
.LBB175_77:                             ; =>This Inner Loop Header: Depth=1
	;;#ASMSTART
	global_load_b128 v[9:12], v[7:8] off scope:SCOPE_DEV	
s_wait_loadcnt 0x0
	;;#ASMEND
	v_and_b32_e32 v12, 0xff, v11
	s_delay_alu instid0(VALU_DEP_1)
	v_cmp_ne_u16_e32 vcc_lo, 0, v12
	s_wait_alu 0xfffe
	s_or_b32 s5, vcc_lo, s5
	s_wait_alu 0xfffe
	s_and_not1_b32 exec_lo, exec_lo, s5
	s_cbranch_execnz .LBB175_77
; %bb.78:
	s_or_b32 exec_lo, exec_lo, s5
.LBB175_79:
	s_wait_alu 0xfffe
	s_or_b32 exec_lo, exec_lo, s4
	v_cmp_ne_u32_e32 vcc_lo, 31, v36
	v_and_b32_e32 v8, 0xff, v11
	v_lshlrev_b32_e64 v41, v36, -1
	s_mov_b32 s4, exec_lo
	s_wait_alu 0xfffd
	v_add_co_ci_u32_e64 v7, null, 0, v36, vcc_lo
	v_cmp_eq_u16_e32 vcc_lo, 2, v8
	v_mov_b32_e32 v8, v9
	s_delay_alu instid0(VALU_DEP_3)
	v_lshlrev_b32_e32 v40, 2, v7
	s_wait_alu 0xfffd
	v_and_or_b32 v7, vcc_lo, v41, 0x80000000
	ds_bpermute_b32 v24, v40, v9
	ds_bpermute_b32 v12, v40, v10
	v_ctz_i32_b32_e32 v7, v7
	s_delay_alu instid0(VALU_DEP_1)
	v_cmpx_lt_u32_e64 v36, v7
	s_cbranch_execz .LBB175_81
; %bb.80:
	s_wait_dscnt 0x1
	v_add_co_u32 v8, vcc_lo, v9, v24
	s_wait_alu 0xfffd
	v_add_co_ci_u32_e64 v10, null, 0, v10, vcc_lo
	s_delay_alu instid0(VALU_DEP_2) | instskip(SKIP_2) | instid1(VALU_DEP_2)
	v_add_co_u32 v9, vcc_lo, 0, v8
	s_wait_dscnt 0x0
	s_wait_alu 0xfffd
	v_add_co_ci_u32_e64 v10, null, v12, v10, vcc_lo
.LBB175_81:
	s_wait_alu 0xfffe
	s_or_b32 exec_lo, exec_lo, s4
	v_cmp_gt_u32_e32 vcc_lo, 30, v36
	v_add_nc_u32_e32 v43, 2, v36
	s_mov_b32 s4, exec_lo
	s_wait_dscnt 0x0
	s_wait_alu 0xfffd
	v_cndmask_b32_e64 v12, 0, 2, vcc_lo
	s_delay_alu instid0(VALU_DEP_1)
	v_add_lshl_u32 v42, v12, v36, 2
	ds_bpermute_b32 v24, v42, v8
	ds_bpermute_b32 v12, v42, v10
	v_cmpx_le_u32_e64 v43, v7
	s_cbranch_execz .LBB175_83
; %bb.82:
	s_wait_dscnt 0x1
	v_add_co_u32 v8, vcc_lo, v9, v24
	s_wait_alu 0xfffd
	v_add_co_ci_u32_e64 v10, null, 0, v10, vcc_lo
	s_delay_alu instid0(VALU_DEP_2) | instskip(SKIP_2) | instid1(VALU_DEP_2)
	v_add_co_u32 v9, vcc_lo, 0, v8
	s_wait_dscnt 0x0
	s_wait_alu 0xfffd
	v_add_co_ci_u32_e64 v10, null, v12, v10, vcc_lo
.LBB175_83:
	s_wait_alu 0xfffe
	s_or_b32 exec_lo, exec_lo, s4
	v_cmp_gt_u32_e32 vcc_lo, 28, v36
	v_add_nc_u32_e32 v45, 4, v36
	s_mov_b32 s4, exec_lo
	s_wait_dscnt 0x0
	s_wait_alu 0xfffd
	v_cndmask_b32_e64 v12, 0, 4, vcc_lo
	s_delay_alu instid0(VALU_DEP_1)
	v_add_lshl_u32 v44, v12, v36, 2
	ds_bpermute_b32 v24, v44, v8
	ds_bpermute_b32 v12, v44, v10
	v_cmpx_le_u32_e64 v45, v7
	;; [unrolled: 25-line block ×3, first 2 shown]
	s_cbranch_execz .LBB175_87
; %bb.86:
	s_wait_dscnt 0x1
	v_add_co_u32 v8, vcc_lo, v9, v24
	s_wait_alu 0xfffd
	v_add_co_ci_u32_e64 v10, null, 0, v10, vcc_lo
	s_delay_alu instid0(VALU_DEP_2) | instskip(SKIP_2) | instid1(VALU_DEP_2)
	v_add_co_u32 v9, vcc_lo, 0, v8
	s_wait_dscnt 0x0
	s_wait_alu 0xfffd
	v_add_co_ci_u32_e64 v10, null, v12, v10, vcc_lo
.LBB175_87:
	s_wait_alu 0xfffe
	s_or_b32 exec_lo, exec_lo, s4
	v_lshl_or_b32 v48, v36, 2, 64
	v_add_nc_u32_e32 v49, 16, v36
	s_mov_b32 s4, exec_lo
	s_wait_dscnt 0x0
	ds_bpermute_b32 v12, v48, v8
	ds_bpermute_b32 v8, v48, v10
	v_cmpx_le_u32_e64 v49, v7
	s_cbranch_execz .LBB175_89
; %bb.88:
	s_wait_dscnt 0x1
	v_add_co_u32 v7, vcc_lo, v9, v12
	s_wait_alu 0xfffd
	v_add_co_ci_u32_e64 v10, null, 0, v10, vcc_lo
	s_delay_alu instid0(VALU_DEP_2) | instskip(SKIP_2) | instid1(VALU_DEP_2)
	v_add_co_u32 v9, vcc_lo, v7, 0
	s_wait_dscnt 0x0
	s_wait_alu 0xfffd
	v_add_co_ci_u32_e64 v10, null, v10, v8, vcc_lo
.LBB175_89:
	s_wait_alu 0xfffe
	s_or_b32 exec_lo, exec_lo, s4
	v_mov_b32_e32 v24, 0
	s_branch .LBB175_92
.LBB175_90:                             ;   in Loop: Header=BB175_92 Depth=1
	s_wait_alu 0xfffe
	s_or_b32 exec_lo, exec_lo, s4
	v_add_co_u32 v9, vcc_lo, v9, v7
	v_subrev_nc_u32_e32 v23, 32, v23
	s_wait_alu 0xfffd
	v_add_co_ci_u32_e64 v10, null, v10, v8, vcc_lo
	s_mov_b32 s4, 0
.LBB175_91:                             ;   in Loop: Header=BB175_92 Depth=1
	s_wait_alu 0xfffe
	s_and_b32 vcc_lo, exec_lo, s4
	s_wait_alu 0xfffe
	s_cbranch_vccnz .LBB175_108
.LBB175_92:                             ; =>This Loop Header: Depth=1
                                        ;     Child Loop BB175_95 Depth 2
	v_and_b32_e32 v7, 0xff, v11
	s_mov_b32 s4, -1
	s_delay_alu instid0(VALU_DEP_1)
	v_cmp_ne_u16_e32 vcc_lo, 2, v7
	s_wait_dscnt 0x0
	v_dual_mov_b32 v7, v9 :: v_dual_mov_b32 v8, v10
                                        ; implicit-def: $vgpr9_vgpr10
	s_cmp_lg_u32 vcc_lo, exec_lo
	s_cbranch_scc1 .LBB175_91
; %bb.93:                               ;   in Loop: Header=BB175_92 Depth=1
	v_lshlrev_b64_e32 v[9:10], 4, v[23:24]
	s_mov_b32 s4, exec_lo
	s_delay_alu instid0(VALU_DEP_1) | instskip(SKIP_1) | instid1(VALU_DEP_2)
	v_add_co_u32 v25, vcc_lo, s26, v9
	s_wait_alu 0xfffd
	v_add_co_ci_u32_e64 v26, null, s27, v10, vcc_lo
	;;#ASMSTART
	global_load_b128 v[9:12], v[25:26] off scope:SCOPE_DEV	
s_wait_loadcnt 0x0
	;;#ASMEND
	v_and_b32_e32 v12, 0xff, v11
	s_delay_alu instid0(VALU_DEP_1)
	v_cmpx_eq_u16_e32 0, v12
	s_cbranch_execz .LBB175_97
; %bb.94:                               ;   in Loop: Header=BB175_92 Depth=1
	s_mov_b32 s5, 0
.LBB175_95:                             ;   Parent Loop BB175_92 Depth=1
                                        ; =>  This Inner Loop Header: Depth=2
	;;#ASMSTART
	global_load_b128 v[9:12], v[25:26] off scope:SCOPE_DEV	
s_wait_loadcnt 0x0
	;;#ASMEND
	v_and_b32_e32 v12, 0xff, v11
	s_delay_alu instid0(VALU_DEP_1)
	v_cmp_ne_u16_e32 vcc_lo, 0, v12
	s_wait_alu 0xfffe
	s_or_b32 s5, vcc_lo, s5
	s_wait_alu 0xfffe
	s_and_not1_b32 exec_lo, exec_lo, s5
	s_cbranch_execnz .LBB175_95
; %bb.96:                               ;   in Loop: Header=BB175_92 Depth=1
	s_or_b32 exec_lo, exec_lo, s5
.LBB175_97:                             ;   in Loop: Header=BB175_92 Depth=1
	s_wait_alu 0xfffe
	s_or_b32 exec_lo, exec_lo, s4
	v_dual_mov_b32 v25, v9 :: v_dual_and_b32 v12, 0xff, v11
	ds_bpermute_b32 v50, v40, v9
	ds_bpermute_b32 v26, v40, v10
	s_mov_b32 s4, exec_lo
	v_cmp_eq_u16_e32 vcc_lo, 2, v12
	s_wait_alu 0xfffd
	v_and_or_b32 v12, vcc_lo, v41, 0x80000000
	s_delay_alu instid0(VALU_DEP_1) | instskip(NEXT) | instid1(VALU_DEP_1)
	v_ctz_i32_b32_e32 v12, v12
	v_cmpx_lt_u32_e64 v36, v12
	s_cbranch_execz .LBB175_99
; %bb.98:                               ;   in Loop: Header=BB175_92 Depth=1
	s_wait_dscnt 0x1
	v_add_co_u32 v25, vcc_lo, v9, v50
	s_wait_alu 0xfffd
	v_add_co_ci_u32_e64 v10, null, 0, v10, vcc_lo
	s_delay_alu instid0(VALU_DEP_2) | instskip(SKIP_2) | instid1(VALU_DEP_2)
	v_add_co_u32 v9, vcc_lo, 0, v25
	s_wait_dscnt 0x0
	s_wait_alu 0xfffd
	v_add_co_ci_u32_e64 v10, null, v26, v10, vcc_lo
.LBB175_99:                             ;   in Loop: Header=BB175_92 Depth=1
	s_wait_alu 0xfffe
	s_or_b32 exec_lo, exec_lo, s4
	s_wait_dscnt 0x1
	ds_bpermute_b32 v50, v42, v25
	s_wait_dscnt 0x1
	ds_bpermute_b32 v26, v42, v10
	s_mov_b32 s4, exec_lo
	v_cmpx_le_u32_e64 v43, v12
	s_cbranch_execz .LBB175_101
; %bb.100:                              ;   in Loop: Header=BB175_92 Depth=1
	s_wait_dscnt 0x1
	v_add_co_u32 v25, vcc_lo, v9, v50
	s_wait_alu 0xfffd
	v_add_co_ci_u32_e64 v10, null, 0, v10, vcc_lo
	s_delay_alu instid0(VALU_DEP_2) | instskip(SKIP_2) | instid1(VALU_DEP_2)
	v_add_co_u32 v9, vcc_lo, 0, v25
	s_wait_dscnt 0x0
	s_wait_alu 0xfffd
	v_add_co_ci_u32_e64 v10, null, v26, v10, vcc_lo
.LBB175_101:                            ;   in Loop: Header=BB175_92 Depth=1
	s_wait_alu 0xfffe
	s_or_b32 exec_lo, exec_lo, s4
	s_wait_dscnt 0x1
	ds_bpermute_b32 v50, v44, v25
	s_wait_dscnt 0x1
	ds_bpermute_b32 v26, v44, v10
	s_mov_b32 s4, exec_lo
	v_cmpx_le_u32_e64 v45, v12
	s_cbranch_execz .LBB175_103
; %bb.102:                              ;   in Loop: Header=BB175_92 Depth=1
	s_wait_dscnt 0x1
	v_add_co_u32 v25, vcc_lo, v9, v50
	s_wait_alu 0xfffd
	v_add_co_ci_u32_e64 v10, null, 0, v10, vcc_lo
	s_delay_alu instid0(VALU_DEP_2) | instskip(SKIP_2) | instid1(VALU_DEP_2)
	v_add_co_u32 v9, vcc_lo, 0, v25
	s_wait_dscnt 0x0
	s_wait_alu 0xfffd
	v_add_co_ci_u32_e64 v10, null, v26, v10, vcc_lo
.LBB175_103:                            ;   in Loop: Header=BB175_92 Depth=1
	;; [unrolled: 20-line block ×3, first 2 shown]
	s_wait_alu 0xfffe
	s_or_b32 exec_lo, exec_lo, s4
	s_wait_dscnt 0x0
	ds_bpermute_b32 v26, v48, v25
	ds_bpermute_b32 v25, v48, v10
	s_mov_b32 s4, exec_lo
	v_cmpx_le_u32_e64 v49, v12
	s_cbranch_execz .LBB175_90
; %bb.106:                              ;   in Loop: Header=BB175_92 Depth=1
	s_wait_dscnt 0x1
	v_add_co_u32 v9, vcc_lo, v9, v26
	s_wait_alu 0xfffd
	v_add_co_ci_u32_e64 v10, null, 0, v10, vcc_lo
	s_delay_alu instid0(VALU_DEP_2) | instskip(SKIP_2) | instid1(VALU_DEP_2)
	v_add_co_u32 v9, vcc_lo, v9, 0
	s_wait_dscnt 0x0
	s_wait_alu 0xfffd
	v_add_co_ci_u32_e64 v10, null, v10, v25, vcc_lo
	s_branch .LBB175_90
.LBB175_107:
                                        ; implicit-def: $vgpr7_vgpr8
                                        ; implicit-def: $vgpr41_vgpr42
	s_wait_alu 0xfffe
	s_and_b32 vcc_lo, exec_lo, s1
	s_wait_alu 0xfffe
	s_cbranch_vccnz .LBB175_113
	s_branch .LBB175_140
.LBB175_108:
	s_and_saveexec_b32 s4, s1
	s_cbranch_execz .LBB175_110
; %bb.109:
	s_add_co_i32 s6, s28, 32
	s_mov_b32 s7, 0
	v_add_co_u32 v9, vcc_lo, v7, v5
	s_wait_alu 0xfffe
	s_lshl_b64 s[6:7], s[6:7], 4
	v_dual_mov_b32 v11, 2 :: v_dual_mov_b32 v12, 0
	s_wait_alu 0xfffe
	s_add_nc_u64 s[6:7], s[26:27], s[6:7]
	s_wait_alu 0xfffd
	v_add_co_ci_u32_e64 v10, null, v8, v6, vcc_lo
	s_wait_alu 0xfffe
	v_dual_mov_b32 v24, s7 :: v_dual_mov_b32 v23, s6
	;;#ASMSTART
	global_store_b128 v[23:24], v[9:12] off scope:SCOPE_DEV	
s_wait_storecnt 0x0
	;;#ASMEND
	ds_store_b128 v12, v[5:8] offset:13824
.LBB175_110:
	s_wait_alu 0xfffe
	s_or_b32 exec_lo, exec_lo, s4
	s_delay_alu instid0(SALU_CYCLE_1)
	s_and_b32 exec_lo, exec_lo, s2
; %bb.111:
	v_mov_b32_e32 v5, 0
	ds_store_b64 v5, v[7:8] offset:88
.LBB175_112:
	s_wait_alu 0xfffe
	s_or_b32 exec_lo, exec_lo, s3
	v_mov_b32_e32 v5, 0
	s_wait_loadcnt_dscnt 0x0
	s_barrier_signal -1
	s_barrier_wait -1
	global_inv scope:SCOPE_SE
	ds_load_b64 v[9:10], v5 offset:88
	s_wait_loadcnt_dscnt 0x0
	s_barrier_signal -1
	s_barrier_wait -1
	global_inv scope:SCOPE_SE
	ds_load_b128 v[5:8], v5 offset:13824
	v_cndmask_b32_e64 v11, v38, v21, s1
	v_cndmask_b32_e64 v12, v39, v22, s1
	s_delay_alu instid0(VALU_DEP_2) | instskip(NEXT) | instid1(VALU_DEP_2)
	v_cndmask_b32_e64 v11, v11, 0, s2
	v_cndmask_b32_e64 v12, v12, 0, s2
	s_delay_alu instid0(VALU_DEP_2) | instskip(SKIP_1) | instid1(VALU_DEP_2)
	v_add_co_u32 v41, vcc_lo, v9, v11
	s_wait_alu 0xfffd
	v_add_co_ci_u32_e64 v42, null, v10, v12, vcc_lo
	s_branch .LBB175_140
.LBB175_113:
	s_wait_dscnt 0x0
	v_dual_mov_b32 v6, 0 :: v_dual_mov_b32 v7, v19
	v_mov_b32_dpp v8, v19 row_shr:1 row_mask:0xf bank_mask:0xf
	s_delay_alu instid0(VALU_DEP_2)
	v_mov_b32_dpp v5, v6 row_shr:1 row_mask:0xf bank_mask:0xf
	s_and_saveexec_b32 s1, s0
; %bb.114:
	s_delay_alu instid0(VALU_DEP_2) | instskip(SKIP_2) | instid1(VALU_DEP_2)
	v_add_co_u32 v7, vcc_lo, v19, v8
	s_wait_alu 0xfffd
	v_add_co_ci_u32_e64 v6, null, 0, v20, vcc_lo
	v_add_co_u32 v19, vcc_lo, 0, v7
	s_wait_alu 0xfffd
	s_delay_alu instid0(VALU_DEP_2) | instskip(NEXT) | instid1(VALU_DEP_1)
	v_add_co_ci_u32_e64 v20, null, v5, v6, vcc_lo
	v_mov_b32_e32 v6, v20
; %bb.115:
	s_wait_alu 0xfffe
	s_or_b32 exec_lo, exec_lo, s1
	v_mov_b32_dpp v5, v7 row_shr:2 row_mask:0xf bank_mask:0xf
	s_delay_alu instid0(VALU_DEP_2)
	v_mov_b32_dpp v8, v6 row_shr:2 row_mask:0xf bank_mask:0xf
	v_cmp_lt_u32_e32 vcc_lo, 1, v37
	s_and_saveexec_b32 s3, vcc_lo
; %bb.116:
	s_delay_alu instid0(VALU_DEP_3) | instskip(SKIP_2) | instid1(VALU_DEP_2)
	v_add_co_u32 v7, s1, v19, v5
	s_wait_alu 0xf1ff
	v_add_co_ci_u32_e64 v6, null, 0, v20, s1
	v_add_co_u32 v5, s1, 0, v7
	s_wait_alu 0xf1ff
	s_delay_alu instid0(VALU_DEP_2) | instskip(NEXT) | instid1(VALU_DEP_1)
	v_add_co_ci_u32_e64 v6, null, v8, v6, s1
	v_dual_mov_b32 v20, v6 :: v_dual_mov_b32 v19, v5
; %bb.117:
	s_wait_alu 0xfffe
	s_or_b32 exec_lo, exec_lo, s3
	v_mov_b32_dpp v5, v7 row_shr:4 row_mask:0xf bank_mask:0xf
	v_mov_b32_dpp v8, v6 row_shr:4 row_mask:0xf bank_mask:0xf
	v_cmp_lt_u32_e64 s1, 3, v37
	s_and_saveexec_b32 s4, s1
; %bb.118:
	v_add_co_u32 v7, s3, v19, v5
	s_wait_alu 0xf1ff
	v_add_co_ci_u32_e64 v6, null, 0, v20, s3
	s_delay_alu instid0(VALU_DEP_2) | instskip(SKIP_1) | instid1(VALU_DEP_2)
	v_add_co_u32 v5, s3, 0, v7
	s_wait_alu 0xf1ff
	v_add_co_ci_u32_e64 v6, null, v8, v6, s3
	s_delay_alu instid0(VALU_DEP_1)
	v_dual_mov_b32 v20, v6 :: v_dual_mov_b32 v19, v5
; %bb.119:
	s_wait_alu 0xfffe
	s_or_b32 exec_lo, exec_lo, s4
	v_mov_b32_dpp v8, v7 row_shr:8 row_mask:0xf bank_mask:0xf
	v_mov_b32_dpp v5, v6 row_shr:8 row_mask:0xf bank_mask:0xf
	v_cmp_lt_u32_e64 s3, 7, v37
	s_and_saveexec_b32 s5, s3
; %bb.120:
	v_add_co_u32 v7, s4, v19, v8
	s_wait_alu 0xf1ff
	v_add_co_ci_u32_e64 v6, null, 0, v20, s4
	s_delay_alu instid0(VALU_DEP_2) | instskip(SKIP_1) | instid1(VALU_DEP_2)
	v_add_co_u32 v19, s4, 0, v7
	s_wait_alu 0xf1ff
	v_add_co_ci_u32_e64 v20, null, v5, v6, s4
	s_delay_alu instid0(VALU_DEP_1)
	v_mov_b32_e32 v6, v20
; %bb.121:
	s_wait_alu 0xfffe
	s_or_b32 exec_lo, exec_lo, s5
	ds_swizzle_b32 v7, v7 offset:swizzle(BROADCAST,32,15)
	ds_swizzle_b32 v5, v6 offset:swizzle(BROADCAST,32,15)
	v_and_b32_e32 v6, 16, v36
	s_mov_b32 s5, exec_lo
	s_delay_alu instid0(VALU_DEP_1)
	v_cmpx_ne_u32_e32 0, v6
	s_cbranch_execz .LBB175_123
; %bb.122:
	s_wait_dscnt 0x1
	v_add_co_u32 v6, s4, v19, v7
	s_wait_alu 0xf1ff
	v_add_co_ci_u32_e64 v7, null, 0, v20, s4
	s_delay_alu instid0(VALU_DEP_2) | instskip(SKIP_2) | instid1(VALU_DEP_2)
	v_add_co_u32 v19, s4, v6, 0
	s_wait_dscnt 0x0
	s_wait_alu 0xf1ff
	v_add_co_ci_u32_e64 v20, null, v7, v5, s4
.LBB175_123:
	s_wait_alu 0xfffe
	s_or_b32 exec_lo, exec_lo, s5
	s_wait_dscnt 0x0
	v_and_b32_e32 v5, 0x1e0, v0
	v_lshrrev_b32_e32 v7, 5, v0
	s_mov_b32 s5, exec_lo
	s_delay_alu instid0(VALU_DEP_2) | instskip(NEXT) | instid1(VALU_DEP_1)
	v_min_u32_e32 v5, 0x160, v5
	v_or_b32_e32 v5, 31, v5
	s_delay_alu instid0(VALU_DEP_1)
	v_cmpx_eq_u32_e64 v0, v5
; %bb.124:
	v_lshlrev_b32_e32 v5, 3, v7
	ds_store_b64 v5, v[19:20]
; %bb.125:
	s_wait_alu 0xfffe
	s_or_b32 exec_lo, exec_lo, s5
	s_delay_alu instid0(SALU_CYCLE_1)
	s_mov_b32 s5, exec_lo
	s_wait_loadcnt_dscnt 0x0
	s_barrier_signal -1
	s_barrier_wait -1
	global_inv scope:SCOPE_SE
	v_cmpx_gt_u32_e32 12, v0
	s_cbranch_execz .LBB175_135
; %bb.126:
	v_lshlrev_b32_e32 v8, 3, v0
	ds_load_b64 v[5:6], v8
	s_wait_dscnt 0x0
	v_mov_b32_dpp v11, v5 row_shr:1 row_mask:0xf bank_mask:0xf
	v_mov_b32_dpp v10, v6 row_shr:1 row_mask:0xf bank_mask:0xf
	v_mov_b32_e32 v9, v5
	s_and_saveexec_b32 s4, s0
; %bb.127:
	s_delay_alu instid0(VALU_DEP_3) | instskip(SKIP_2) | instid1(VALU_DEP_2)
	v_add_co_u32 v9, s0, v5, v11
	s_wait_alu 0xf1ff
	v_add_co_ci_u32_e64 v6, null, 0, v6, s0
	v_add_co_u32 v5, s0, 0, v9
	s_wait_alu 0xf1ff
	s_delay_alu instid0(VALU_DEP_2)
	v_add_co_ci_u32_e64 v6, null, v10, v6, s0
; %bb.128:
	s_wait_alu 0xfffe
	s_or_b32 exec_lo, exec_lo, s4
	v_mov_b32_dpp v11, v9 row_shr:2 row_mask:0xf bank_mask:0xf
	s_delay_alu instid0(VALU_DEP_2)
	v_mov_b32_dpp v10, v6 row_shr:2 row_mask:0xf bank_mask:0xf
	s_and_saveexec_b32 s0, vcc_lo
; %bb.129:
	s_delay_alu instid0(VALU_DEP_2) | instskip(SKIP_2) | instid1(VALU_DEP_2)
	v_add_co_u32 v9, vcc_lo, v5, v11
	s_wait_alu 0xfffd
	v_add_co_ci_u32_e64 v6, null, 0, v6, vcc_lo
	v_add_co_u32 v5, vcc_lo, 0, v9
	s_wait_alu 0xfffd
	s_delay_alu instid0(VALU_DEP_2)
	v_add_co_ci_u32_e64 v6, null, v10, v6, vcc_lo
; %bb.130:
	s_wait_alu 0xfffe
	s_or_b32 exec_lo, exec_lo, s0
	v_mov_b32_dpp v11, v9 row_shr:4 row_mask:0xf bank_mask:0xf
	s_delay_alu instid0(VALU_DEP_2)
	v_mov_b32_dpp v10, v6 row_shr:4 row_mask:0xf bank_mask:0xf
	s_and_saveexec_b32 s0, s1
; %bb.131:
	s_delay_alu instid0(VALU_DEP_2) | instskip(SKIP_2) | instid1(VALU_DEP_2)
	v_add_co_u32 v9, vcc_lo, v5, v11
	s_wait_alu 0xfffd
	v_add_co_ci_u32_e64 v6, null, 0, v6, vcc_lo
	v_add_co_u32 v5, vcc_lo, 0, v9
	s_wait_alu 0xfffd
	s_delay_alu instid0(VALU_DEP_2)
	v_add_co_ci_u32_e64 v6, null, v10, v6, vcc_lo
; %bb.132:
	s_wait_alu 0xfffe
	s_or_b32 exec_lo, exec_lo, s0
	v_mov_b32_dpp v10, v9 row_shr:8 row_mask:0xf bank_mask:0xf
	s_delay_alu instid0(VALU_DEP_2)
	v_mov_b32_dpp v9, v6 row_shr:8 row_mask:0xf bank_mask:0xf
	s_and_saveexec_b32 s0, s3
; %bb.133:
	s_delay_alu instid0(VALU_DEP_2) | instskip(SKIP_2) | instid1(VALU_DEP_2)
	v_add_co_u32 v5, vcc_lo, v5, v10
	s_wait_alu 0xfffd
	v_add_co_ci_u32_e64 v6, null, 0, v6, vcc_lo
	v_add_co_u32 v5, vcc_lo, v5, 0
	s_wait_alu 0xfffd
	s_delay_alu instid0(VALU_DEP_2)
	v_add_co_ci_u32_e64 v6, null, v6, v9, vcc_lo
; %bb.134:
	s_wait_alu 0xfffe
	s_or_b32 exec_lo, exec_lo, s0
	ds_store_b64 v8, v[5:6]
.LBB175_135:
	s_wait_alu 0xfffe
	s_or_b32 exec_lo, exec_lo, s5
	v_mov_b32_e32 v9, 0
	v_mov_b32_e32 v10, 0
	s_mov_b32 s0, exec_lo
	s_wait_loadcnt_dscnt 0x0
	s_barrier_signal -1
	s_barrier_wait -1
	global_inv scope:SCOPE_SE
	v_cmpx_lt_u32_e32 31, v0
; %bb.136:
	v_lshl_add_u32 v5, v7, 3, -8
	ds_load_b64 v[9:10], v5
; %bb.137:
	s_wait_alu 0xfffe
	s_or_b32 exec_lo, exec_lo, s0
	v_sub_co_u32 v5, vcc_lo, v36, 1
	v_mov_b32_e32 v8, 0
	s_delay_alu instid0(VALU_DEP_2) | instskip(SKIP_1) | instid1(VALU_DEP_1)
	v_cmp_gt_i32_e64 s0, 0, v5
	s_wait_alu 0xf1ff
	v_cndmask_b32_e64 v5, v5, v36, s0
	s_wait_dscnt 0x0
	v_add_co_u32 v6, s0, v9, v19
	s_wait_alu 0xf1ff
	v_add_co_ci_u32_e64 v7, null, v10, v20, s0
	v_lshlrev_b32_e32 v5, 2, v5
	ds_bpermute_b32 v11, v5, v6
	ds_bpermute_b32 v12, v5, v7
	ds_load_b64 v[5:6], v8 offset:88
	s_and_saveexec_b32 s0, s2
	s_cbranch_execz .LBB175_139
; %bb.138:
	s_add_nc_u64 s[4:5], s[26:27], 0x200
	s_wait_alu 0xfffe
	v_dual_mov_b32 v7, 2 :: v_dual_mov_b32 v20, s5
	v_mov_b32_e32 v19, s4
	s_wait_dscnt 0x0
	;;#ASMSTART
	global_store_b128 v[19:20], v[5:8] off scope:SCOPE_DEV	
s_wait_storecnt 0x0
	;;#ASMEND
.LBB175_139:
	s_wait_alu 0xfffe
	s_or_b32 exec_lo, exec_lo, s0
	s_wait_dscnt 0x1
	s_wait_alu 0xfffd
	v_dual_cndmask_b32 v10, v12, v10 :: v_dual_cndmask_b32 v9, v11, v9
	v_mov_b32_e32 v7, 0
	v_mov_b32_e32 v8, 0
	s_wait_loadcnt_dscnt 0x0
	s_delay_alu instid0(VALU_DEP_3)
	v_cndmask_b32_e64 v42, v10, 0, s2
	v_cndmask_b32_e64 v41, v9, 0, s2
	s_barrier_signal -1
	s_barrier_wait -1
	global_inv scope:SCOPE_SE
.LBB175_140:
	s_delay_alu instid0(VALU_DEP_2) | instskip(SKIP_1) | instid1(VALU_DEP_2)
	v_add_co_u32 v51, vcc_lo, v41, v28
	s_wait_alu 0xfffd
	v_add_co_ci_u32_e64 v52, null, 0, v42, vcc_lo
	v_lshlrev_b64_e32 v[9:10], 1, v[17:18]
	s_delay_alu instid0(VALU_DEP_3) | instskip(SKIP_1) | instid1(VALU_DEP_3)
	v_add_co_u32 v49, vcc_lo, v51, v27
	s_wait_alu 0xfffd
	v_add_co_ci_u32_e64 v50, null, 0, v52, vcc_lo
	v_lshrrev_b32_e32 v72, 16, v61
	s_delay_alu instid0(VALU_DEP_3) | instskip(SKIP_1) | instid1(VALU_DEP_3)
	v_add_co_u32 v47, vcc_lo, v49, v35
	s_wait_alu 0xfffd
	v_add_co_ci_u32_e64 v48, null, 0, v50, vcc_lo
	v_lshrrev_b32_e32 v73, 8, v61
	;; [unrolled: 5-line block ×8, first 2 shown]
	s_delay_alu instid0(VALU_DEP_3) | instskip(SKIP_1) | instid1(VALU_DEP_3)
	v_add_co_u32 v31, vcc_lo, v33, v30
	s_wait_alu 0xfffd
	v_add_co_ci_u32_e64 v32, null, 0, v34, vcc_lo
	s_mov_b32 s1, -1
	v_add_co_u32 v29, vcc_lo, v31, v29
	s_wait_alu 0xfffd
	v_add_co_ci_u32_e64 v30, null, 0, v32, vcc_lo
	s_delay_alu instid0(VALU_DEP_2) | instskip(SKIP_1) | instid1(VALU_DEP_2)
	v_add_co_u32 v27, vcc_lo, v29, v62
	s_wait_alu 0xfffd
	v_add_co_ci_u32_e64 v28, null, 0, v30, vcc_lo
	s_delay_alu instid0(VALU_DEP_2) | instskip(SKIP_1) | instid1(VALU_DEP_2)
	v_add_co_u32 v21, vcc_lo, v27, v67
	s_wait_alu 0xfffd
	v_add_co_ci_u32_e64 v22, null, 0, v28, vcc_lo
	s_wait_dscnt 0x0
	v_cmp_gt_u64_e32 vcc_lo, 0x181, v[5:6]
	v_add_co_u32 v25, s0, v21, v66
	s_wait_alu 0xf1ff
	v_add_co_ci_u32_e64 v26, null, 0, v22, s0
	v_and_b32_e32 v66, 1, v53
	s_delay_alu instid0(VALU_DEP_3) | instskip(SKIP_1) | instid1(VALU_DEP_3)
	v_add_co_u32 v23, s0, v25, v65
	s_wait_alu 0xf1ff
	v_add_co_ci_u32_e64 v24, null, 0, v26, s0
	s_and_b32 vcc_lo, exec_lo, vcc_lo
	v_add_co_u32 v19, s0, v23, v60
	s_wait_alu 0xf1ff
	v_add_co_ci_u32_e64 v20, null, 0, v24, s0
	s_delay_alu instid0(VALU_DEP_2) | instskip(SKIP_1) | instid1(VALU_DEP_2)
	v_add_co_u32 v11, s0, v19, v54
	s_wait_alu 0xf1ff
	v_add_co_ci_u32_e64 v12, null, 0, v20, s0
	v_cmp_eq_u32_e64 s0, 1, v66
	s_wait_alu 0xfffe
	s_cbranch_vccnz .LBB175_144
; %bb.141:
	s_and_b32 vcc_lo, exec_lo, s1
	s_wait_alu 0xfffe
	s_cbranch_vccnz .LBB175_181
.LBB175_142:
	s_and_b32 s0, s2, s19
	s_wait_alu 0xfffe
	s_and_saveexec_b32 s1, s0
	s_cbranch_execnz .LBB175_220
.LBB175_143:
	s_endpgm
.LBB175_144:
	v_add_co_u32 v53, vcc_lo, v7, v5
	s_wait_alu 0xfffd
	v_add_co_ci_u32_e64 v54, null, v8, v6, vcc_lo
	v_add_co_u32 v65, s1, s24, v9
	s_wait_alu 0xf1ff
	v_add_co_ci_u32_e64 v67, null, s25, v10, s1
	s_delay_alu instid0(VALU_DEP_3)
	v_cmp_lt_u64_e32 vcc_lo, v[41:42], v[53:54]
	s_or_b32 s1, s22, vcc_lo
	s_wait_alu 0xfffe
	s_and_b32 s1, s1, s0
	s_wait_alu 0xfffe
	s_and_saveexec_b32 s0, s1
	s_cbranch_execz .LBB175_146
; %bb.145:
	v_lshlrev_b64_e32 v[76:77], 1, v[41:42]
	s_delay_alu instid0(VALU_DEP_1) | instskip(SKIP_1) | instid1(VALU_DEP_2)
	v_add_co_u32 v76, vcc_lo, v65, v76
	s_wait_alu 0xfffd
	v_add_co_ci_u32_e64 v77, null, v67, v77, vcc_lo
	global_store_b16 v[76:77], v56, off
.LBB175_146:
	s_wait_alu 0xfffe
	s_or_b32 exec_lo, exec_lo, s0
	v_and_b32_e32 v42, 1, v75
	v_cmp_lt_u64_e32 vcc_lo, v[51:52], v[53:54]
	s_delay_alu instid0(VALU_DEP_2)
	v_cmp_eq_u32_e64 s0, 1, v42
	s_or_b32 s1, s22, vcc_lo
	s_wait_alu 0xfffe
	s_and_b32 s1, s1, s0
	s_wait_alu 0xfffe
	s_and_saveexec_b32 s0, s1
	s_cbranch_execz .LBB175_148
; %bb.147:
	v_lshlrev_b64_e32 v[76:77], 1, v[51:52]
	s_delay_alu instid0(VALU_DEP_1) | instskip(SKIP_1) | instid1(VALU_DEP_2)
	v_add_co_u32 v76, vcc_lo, v65, v76
	s_wait_alu 0xfffd
	v_add_co_ci_u32_e64 v77, null, v67, v77, vcc_lo
	global_store_d16_hi_b16 v[76:77], v56, off
.LBB175_148:
	s_wait_alu 0xfffe
	s_or_b32 exec_lo, exec_lo, s0
	v_and_b32_e32 v42, 1, v74
	v_cmp_lt_u64_e32 vcc_lo, v[49:50], v[53:54]
	s_delay_alu instid0(VALU_DEP_2)
	v_cmp_eq_u32_e64 s0, 1, v42
	s_or_b32 s1, s22, vcc_lo
	s_wait_alu 0xfffe
	s_and_b32 s1, s1, s0
	s_wait_alu 0xfffe
	s_and_saveexec_b32 s0, s1
	s_cbranch_execz .LBB175_150
; %bb.149:
	v_lshlrev_b64_e32 v[76:77], 1, v[49:50]
	s_delay_alu instid0(VALU_DEP_1) | instskip(SKIP_1) | instid1(VALU_DEP_2)
	v_add_co_u32 v76, vcc_lo, v65, v76
	s_wait_alu 0xfffd
	v_add_co_ci_u32_e64 v77, null, v67, v77, vcc_lo
	global_store_b16 v[76:77], v55, off
.LBB175_150:
	s_wait_alu 0xfffe
	s_or_b32 exec_lo, exec_lo, s0
	v_and_b32_e32 v42, 1, v64
	v_cmp_lt_u64_e32 vcc_lo, v[47:48], v[53:54]
	s_delay_alu instid0(VALU_DEP_2)
	v_cmp_eq_u32_e64 s0, 1, v42
	s_or_b32 s1, s22, vcc_lo
	s_wait_alu 0xfffe
	s_and_b32 s1, s1, s0
	s_wait_alu 0xfffe
	s_and_saveexec_b32 s0, s1
	s_cbranch_execz .LBB175_152
; %bb.151:
	v_lshlrev_b64_e32 v[76:77], 1, v[47:48]
	s_delay_alu instid0(VALU_DEP_1) | instskip(SKIP_1) | instid1(VALU_DEP_2)
	v_add_co_u32 v76, vcc_lo, v65, v76
	s_wait_alu 0xfffd
	v_add_co_ci_u32_e64 v77, null, v67, v77, vcc_lo
	global_store_b16 v[76:77], v1, off
.LBB175_152:
	s_wait_alu 0xfffe
	s_or_b32 exec_lo, exec_lo, s0
	v_and_b32_e32 v42, 1, v61
	v_cmp_lt_u64_e32 vcc_lo, v[45:46], v[53:54]
	s_delay_alu instid0(VALU_DEP_2)
	v_cmp_eq_u32_e64 s0, 1, v42
	s_or_b32 s1, s22, vcc_lo
	s_wait_alu 0xfffe
	s_and_b32 s1, s1, s0
	s_wait_alu 0xfffe
	s_and_saveexec_b32 s0, s1
	s_cbranch_execz .LBB175_154
; %bb.153:
	v_lshlrev_b64_e32 v[76:77], 1, v[45:46]
	s_delay_alu instid0(VALU_DEP_1) | instskip(SKIP_1) | instid1(VALU_DEP_2)
	v_add_co_u32 v76, vcc_lo, v65, v76
	s_wait_alu 0xfffd
	v_add_co_ci_u32_e64 v77, null, v67, v77, vcc_lo
	global_store_d16_hi_b16 v[76:77], v1, off
.LBB175_154:
	s_wait_alu 0xfffe
	s_or_b32 exec_lo, exec_lo, s0
	v_and_b32_e32 v42, 1, v73
	v_cmp_lt_u64_e32 vcc_lo, v[43:44], v[53:54]
	s_delay_alu instid0(VALU_DEP_2)
	v_cmp_eq_u32_e64 s0, 1, v42
	s_or_b32 s1, s22, vcc_lo
	s_wait_alu 0xfffe
	s_and_b32 s1, s1, s0
	s_wait_alu 0xfffe
	s_and_saveexec_b32 s0, s1
	s_cbranch_execz .LBB175_156
; %bb.155:
	v_lshlrev_b64_e32 v[76:77], 1, v[43:44]
	s_delay_alu instid0(VALU_DEP_1) | instskip(SKIP_1) | instid1(VALU_DEP_2)
	v_add_co_u32 v76, vcc_lo, v65, v76
	s_wait_alu 0xfffd
	v_add_co_ci_u32_e64 v77, null, v67, v77, vcc_lo
	global_store_b16 v[76:77], v2, off
.LBB175_156:
	s_wait_alu 0xfffe
	s_or_b32 exec_lo, exec_lo, s0
	v_and_b32_e32 v42, 1, v72
	v_cmp_lt_u64_e32 vcc_lo, v[39:40], v[53:54]
	s_delay_alu instid0(VALU_DEP_2)
	v_cmp_eq_u32_e64 s0, 1, v42
	s_or_b32 s1, s22, vcc_lo
	s_wait_alu 0xfffe
	s_and_b32 s1, s1, s0
	s_wait_alu 0xfffe
	s_and_saveexec_b32 s0, s1
	s_cbranch_execz .LBB175_158
; %bb.157:
	v_lshlrev_b64_e32 v[76:77], 1, v[39:40]
	s_delay_alu instid0(VALU_DEP_1) | instskip(SKIP_1) | instid1(VALU_DEP_2)
	v_add_co_u32 v76, vcc_lo, v65, v76
	s_wait_alu 0xfffd
	v_add_co_ci_u32_e64 v77, null, v67, v77, vcc_lo
	global_store_d16_hi_b16 v[76:77], v2, off
.LBB175_158:
	;; [unrolled: 40-line block ×7, first 2 shown]
	s_wait_alu 0xfffe
	s_or_b32 exec_lo, exec_lo, s0
	v_cmp_lt_u64_e32 vcc_lo, v[11:12], v[53:54]
	s_or_b32 s0, s22, vcc_lo
	s_wait_alu 0xfffe
	s_and_b32 s1, s0, s23
	s_wait_alu 0xfffe
	s_and_saveexec_b32 s0, s1
	s_cbranch_execz .LBB175_180
; %bb.179:
	v_lshlrev_b64_e32 v[52:53], 1, v[11:12]
	s_delay_alu instid0(VALU_DEP_1) | instskip(SKIP_1) | instid1(VALU_DEP_2)
	v_add_co_u32 v52, vcc_lo, v65, v52
	s_wait_alu 0xfffd
	v_add_co_ci_u32_e64 v53, null, v67, v53, vcc_lo
	global_store_b16 v[52:53], v16, off
.LBB175_180:
	s_wait_alu 0xfffe
	s_or_b32 exec_lo, exec_lo, s0
	s_branch .LBB175_142
.LBB175_181:
	s_mov_b32 s0, exec_lo
	v_cmpx_eq_u32_e32 1, v66
; %bb.182:
	v_sub_nc_u32_e32 v12, v41, v7
	s_delay_alu instid0(VALU_DEP_1)
	v_lshlrev_b32_e32 v12, 1, v12
	ds_store_b16 v12, v56
; %bb.183:
	s_wait_alu 0xfffe
	s_or_b32 exec_lo, exec_lo, s0
	v_and_b32_e32 v12, 1, v75
	s_mov_b32 s0, exec_lo
	s_delay_alu instid0(VALU_DEP_1)
	v_cmpx_eq_u32_e32 1, v12
; %bb.184:
	v_sub_nc_u32_e32 v12, v51, v7
	s_delay_alu instid0(VALU_DEP_1)
	v_lshlrev_b32_e32 v12, 1, v12
	ds_store_b16_d16_hi v12, v56
; %bb.185:
	s_wait_alu 0xfffe
	s_or_b32 exec_lo, exec_lo, s0
	v_and_b32_e32 v12, 1, v74
	s_mov_b32 s0, exec_lo
	s_delay_alu instid0(VALU_DEP_1)
	v_cmpx_eq_u32_e32 1, v12
; %bb.186:
	v_sub_nc_u32_e32 v12, v49, v7
	s_delay_alu instid0(VALU_DEP_1)
	v_lshlrev_b32_e32 v12, 1, v12
	ds_store_b16 v12, v55
; %bb.187:
	s_wait_alu 0xfffe
	s_or_b32 exec_lo, exec_lo, s0
	v_and_b32_e32 v12, 1, v64
	s_mov_b32 s0, exec_lo
	s_delay_alu instid0(VALU_DEP_1)
	v_cmpx_eq_u32_e32 1, v12
; %bb.188:
	v_sub_nc_u32_e32 v12, v47, v7
	s_delay_alu instid0(VALU_DEP_1)
	v_lshlrev_b32_e32 v12, 1, v12
	ds_store_b16 v12, v1
; %bb.189:
	s_wait_alu 0xfffe
	s_or_b32 exec_lo, exec_lo, s0
	v_and_b32_e32 v12, 1, v61
	s_mov_b32 s0, exec_lo
	s_delay_alu instid0(VALU_DEP_1)
	v_cmpx_eq_u32_e32 1, v12
; %bb.190:
	v_sub_nc_u32_e32 v12, v45, v7
	s_delay_alu instid0(VALU_DEP_1)
	v_lshlrev_b32_e32 v12, 1, v12
	ds_store_b16_d16_hi v12, v1
; %bb.191:
	s_wait_alu 0xfffe
	s_or_b32 exec_lo, exec_lo, s0
	v_and_b32_e32 v1, 1, v73
	s_mov_b32 s0, exec_lo
	s_delay_alu instid0(VALU_DEP_1)
	v_cmpx_eq_u32_e32 1, v1
; %bb.192:
	v_sub_nc_u32_e32 v1, v43, v7
	s_delay_alu instid0(VALU_DEP_1)
	v_lshlrev_b32_e32 v1, 1, v1
	ds_store_b16 v1, v2
; %bb.193:
	s_wait_alu 0xfffe
	s_or_b32 exec_lo, exec_lo, s0
	v_and_b32_e32 v1, 1, v72
	s_mov_b32 s0, exec_lo
	s_delay_alu instid0(VALU_DEP_1)
	v_cmpx_eq_u32_e32 1, v1
; %bb.194:
	v_sub_nc_u32_e32 v1, v39, v7
	s_delay_alu instid0(VALU_DEP_1)
	v_lshlrev_b32_e32 v1, 1, v1
	ds_store_b16_d16_hi v1, v2
	;; [unrolled: 24-line block ×7, first 2 shown]
; %bb.215:
	s_wait_alu 0xfffe
	s_or_b32 exec_lo, exec_lo, s0
	s_and_saveexec_b32 s0, s23
; %bb.216:
	v_sub_nc_u32_e32 v1, v11, v7
	s_delay_alu instid0(VALU_DEP_1)
	v_lshlrev_b32_e32 v1, 1, v1
	ds_store_b16 v1, v16
; %bb.217:
	s_wait_alu 0xfffe
	s_or_b32 exec_lo, exec_lo, s0
	v_lshlrev_b64_e32 v[2:3], 1, v[7:8]
	v_mov_b32_e32 v1, 0
	s_mov_b32 s1, 0
	s_wait_storecnt 0x0
	s_wait_loadcnt_dscnt 0x0
	s_barrier_signal -1
	s_barrier_wait -1
	v_add_co_u32 v4, vcc_lo, s24, v2
	s_wait_alu 0xfffd
	v_add_co_ci_u32_e64 v11, null, s25, v3, vcc_lo
	v_dual_mov_b32 v3, v1 :: v_dual_mov_b32 v2, v0
	s_delay_alu instid0(VALU_DEP_3) | instskip(SKIP_1) | instid1(VALU_DEP_3)
	v_add_co_u32 v4, vcc_lo, v4, v9
	s_wait_alu 0xfffd
	v_add_co_ci_u32_e64 v9, null, v11, v10, vcc_lo
	v_add_nc_u32_e32 v0, 0x180, v0
	global_inv scope:SCOPE_SE
.LBB175_218:                            ; =>This Inner Loop Header: Depth=1
	v_lshlrev_b32_e32 v10, 1, v2
	v_cmp_le_u64_e32 vcc_lo, v[5:6], v[0:1]
	ds_load_u16 v12, v10
	v_lshlrev_b64_e32 v[10:11], 1, v[2:3]
	v_dual_mov_b32 v3, v1 :: v_dual_mov_b32 v2, v0
	v_add_nc_u32_e32 v0, 0x180, v0
	s_wait_alu 0xfffe
	s_or_b32 s1, vcc_lo, s1
	s_delay_alu instid0(VALU_DEP_3)
	v_add_co_u32 v10, s0, v4, v10
	s_wait_alu 0xf1ff
	v_add_co_ci_u32_e64 v11, null, v9, v11, s0
	s_wait_dscnt 0x0
	global_store_b16 v[10:11], v12, off
	s_wait_alu 0xfffe
	s_and_not1_b32 exec_lo, exec_lo, s1
	s_cbranch_execnz .LBB175_218
; %bb.219:
	s_or_b32 exec_lo, exec_lo, s1
	s_and_b32 s0, s2, s19
	s_wait_alu 0xfffe
	s_and_saveexec_b32 s1, s0
	s_cbranch_execz .LBB175_143
.LBB175_220:
	v_add_co_u32 v0, vcc_lo, v7, v5
	s_wait_alu 0xfffd
	v_add_co_ci_u32_e64 v1, null, v8, v6, vcc_lo
	v_mov_b32_e32 v2, 0
	s_delay_alu instid0(VALU_DEP_3) | instskip(SKIP_1) | instid1(VALU_DEP_3)
	v_add_co_u32 v0, vcc_lo, v0, v17
	s_wait_alu 0xfffd
	v_add_co_ci_u32_e64 v1, null, v1, v18, vcc_lo
	global_store_b64 v2, v[0:1], s[20:21]
	s_endpgm
	.section	.rodata,"a",@progbits
	.p2align	6, 0x0
	.amdhsa_kernel _ZN7rocprim17ROCPRIM_400000_NS6detail17trampoline_kernelINS0_14default_configENS1_25partition_config_selectorILNS1_17partition_subalgoE6EtNS0_10empty_typeEbEEZZNS1_14partition_implILS5_6ELb0ES3_mN6thrust23THRUST_200600_302600_NS6detail15normal_iteratorINSA_10device_ptrItEEEEPS6_SG_NS0_5tupleIJSF_S6_EEENSH_IJSG_SG_EEES6_PlJNSB_9not_fun_tINSB_10functional5actorINSM_9compositeIJNSM_27transparent_binary_operatorINSA_8equal_toIvEEEENSN_INSM_8argumentILj0EEEEENSM_5valueItEEEEEEEEEEEE10hipError_tPvRmT3_T4_T5_T6_T7_T9_mT8_P12ihipStream_tbDpT10_ENKUlT_T0_E_clISt17integral_constantIbLb0EES1J_IbLb1EEEEDaS1F_S1G_EUlS1F_E_NS1_11comp_targetILNS1_3genE10ELNS1_11target_archE1200ELNS1_3gpuE4ELNS1_3repE0EEENS1_30default_config_static_selectorELNS0_4arch9wavefront6targetE0EEEvT1_
		.amdhsa_group_segment_fixed_size 13840
		.amdhsa_private_segment_fixed_size 0
		.amdhsa_kernarg_size 128
		.amdhsa_user_sgpr_count 2
		.amdhsa_user_sgpr_dispatch_ptr 0
		.amdhsa_user_sgpr_queue_ptr 0
		.amdhsa_user_sgpr_kernarg_segment_ptr 1
		.amdhsa_user_sgpr_dispatch_id 0
		.amdhsa_user_sgpr_private_segment_size 0
		.amdhsa_wavefront_size32 1
		.amdhsa_uses_dynamic_stack 0
		.amdhsa_enable_private_segment 0
		.amdhsa_system_sgpr_workgroup_id_x 1
		.amdhsa_system_sgpr_workgroup_id_y 0
		.amdhsa_system_sgpr_workgroup_id_z 0
		.amdhsa_system_sgpr_workgroup_info 0
		.amdhsa_system_vgpr_workitem_id 0
		.amdhsa_next_free_vgpr 78
		.amdhsa_next_free_sgpr 31
		.amdhsa_reserve_vcc 1
		.amdhsa_float_round_mode_32 0
		.amdhsa_float_round_mode_16_64 0
		.amdhsa_float_denorm_mode_32 3
		.amdhsa_float_denorm_mode_16_64 3
		.amdhsa_fp16_overflow 0
		.amdhsa_workgroup_processor_mode 1
		.amdhsa_memory_ordered 1
		.amdhsa_forward_progress 1
		.amdhsa_inst_pref_size 92
		.amdhsa_round_robin_scheduling 0
		.amdhsa_exception_fp_ieee_invalid_op 0
		.amdhsa_exception_fp_denorm_src 0
		.amdhsa_exception_fp_ieee_div_zero 0
		.amdhsa_exception_fp_ieee_overflow 0
		.amdhsa_exception_fp_ieee_underflow 0
		.amdhsa_exception_fp_ieee_inexact 0
		.amdhsa_exception_int_div_zero 0
	.end_amdhsa_kernel
	.section	.text._ZN7rocprim17ROCPRIM_400000_NS6detail17trampoline_kernelINS0_14default_configENS1_25partition_config_selectorILNS1_17partition_subalgoE6EtNS0_10empty_typeEbEEZZNS1_14partition_implILS5_6ELb0ES3_mN6thrust23THRUST_200600_302600_NS6detail15normal_iteratorINSA_10device_ptrItEEEEPS6_SG_NS0_5tupleIJSF_S6_EEENSH_IJSG_SG_EEES6_PlJNSB_9not_fun_tINSB_10functional5actorINSM_9compositeIJNSM_27transparent_binary_operatorINSA_8equal_toIvEEEENSN_INSM_8argumentILj0EEEEENSM_5valueItEEEEEEEEEEEE10hipError_tPvRmT3_T4_T5_T6_T7_T9_mT8_P12ihipStream_tbDpT10_ENKUlT_T0_E_clISt17integral_constantIbLb0EES1J_IbLb1EEEEDaS1F_S1G_EUlS1F_E_NS1_11comp_targetILNS1_3genE10ELNS1_11target_archE1200ELNS1_3gpuE4ELNS1_3repE0EEENS1_30default_config_static_selectorELNS0_4arch9wavefront6targetE0EEEvT1_,"axG",@progbits,_ZN7rocprim17ROCPRIM_400000_NS6detail17trampoline_kernelINS0_14default_configENS1_25partition_config_selectorILNS1_17partition_subalgoE6EtNS0_10empty_typeEbEEZZNS1_14partition_implILS5_6ELb0ES3_mN6thrust23THRUST_200600_302600_NS6detail15normal_iteratorINSA_10device_ptrItEEEEPS6_SG_NS0_5tupleIJSF_S6_EEENSH_IJSG_SG_EEES6_PlJNSB_9not_fun_tINSB_10functional5actorINSM_9compositeIJNSM_27transparent_binary_operatorINSA_8equal_toIvEEEENSN_INSM_8argumentILj0EEEEENSM_5valueItEEEEEEEEEEEE10hipError_tPvRmT3_T4_T5_T6_T7_T9_mT8_P12ihipStream_tbDpT10_ENKUlT_T0_E_clISt17integral_constantIbLb0EES1J_IbLb1EEEEDaS1F_S1G_EUlS1F_E_NS1_11comp_targetILNS1_3genE10ELNS1_11target_archE1200ELNS1_3gpuE4ELNS1_3repE0EEENS1_30default_config_static_selectorELNS0_4arch9wavefront6targetE0EEEvT1_,comdat
.Lfunc_end175:
	.size	_ZN7rocprim17ROCPRIM_400000_NS6detail17trampoline_kernelINS0_14default_configENS1_25partition_config_selectorILNS1_17partition_subalgoE6EtNS0_10empty_typeEbEEZZNS1_14partition_implILS5_6ELb0ES3_mN6thrust23THRUST_200600_302600_NS6detail15normal_iteratorINSA_10device_ptrItEEEEPS6_SG_NS0_5tupleIJSF_S6_EEENSH_IJSG_SG_EEES6_PlJNSB_9not_fun_tINSB_10functional5actorINSM_9compositeIJNSM_27transparent_binary_operatorINSA_8equal_toIvEEEENSN_INSM_8argumentILj0EEEEENSM_5valueItEEEEEEEEEEEE10hipError_tPvRmT3_T4_T5_T6_T7_T9_mT8_P12ihipStream_tbDpT10_ENKUlT_T0_E_clISt17integral_constantIbLb0EES1J_IbLb1EEEEDaS1F_S1G_EUlS1F_E_NS1_11comp_targetILNS1_3genE10ELNS1_11target_archE1200ELNS1_3gpuE4ELNS1_3repE0EEENS1_30default_config_static_selectorELNS0_4arch9wavefront6targetE0EEEvT1_, .Lfunc_end175-_ZN7rocprim17ROCPRIM_400000_NS6detail17trampoline_kernelINS0_14default_configENS1_25partition_config_selectorILNS1_17partition_subalgoE6EtNS0_10empty_typeEbEEZZNS1_14partition_implILS5_6ELb0ES3_mN6thrust23THRUST_200600_302600_NS6detail15normal_iteratorINSA_10device_ptrItEEEEPS6_SG_NS0_5tupleIJSF_S6_EEENSH_IJSG_SG_EEES6_PlJNSB_9not_fun_tINSB_10functional5actorINSM_9compositeIJNSM_27transparent_binary_operatorINSA_8equal_toIvEEEENSN_INSM_8argumentILj0EEEEENSM_5valueItEEEEEEEEEEEE10hipError_tPvRmT3_T4_T5_T6_T7_T9_mT8_P12ihipStream_tbDpT10_ENKUlT_T0_E_clISt17integral_constantIbLb0EES1J_IbLb1EEEEDaS1F_S1G_EUlS1F_E_NS1_11comp_targetILNS1_3genE10ELNS1_11target_archE1200ELNS1_3gpuE4ELNS1_3repE0EEENS1_30default_config_static_selectorELNS0_4arch9wavefront6targetE0EEEvT1_
                                        ; -- End function
	.set _ZN7rocprim17ROCPRIM_400000_NS6detail17trampoline_kernelINS0_14default_configENS1_25partition_config_selectorILNS1_17partition_subalgoE6EtNS0_10empty_typeEbEEZZNS1_14partition_implILS5_6ELb0ES3_mN6thrust23THRUST_200600_302600_NS6detail15normal_iteratorINSA_10device_ptrItEEEEPS6_SG_NS0_5tupleIJSF_S6_EEENSH_IJSG_SG_EEES6_PlJNSB_9not_fun_tINSB_10functional5actorINSM_9compositeIJNSM_27transparent_binary_operatorINSA_8equal_toIvEEEENSN_INSM_8argumentILj0EEEEENSM_5valueItEEEEEEEEEEEE10hipError_tPvRmT3_T4_T5_T6_T7_T9_mT8_P12ihipStream_tbDpT10_ENKUlT_T0_E_clISt17integral_constantIbLb0EES1J_IbLb1EEEEDaS1F_S1G_EUlS1F_E_NS1_11comp_targetILNS1_3genE10ELNS1_11target_archE1200ELNS1_3gpuE4ELNS1_3repE0EEENS1_30default_config_static_selectorELNS0_4arch9wavefront6targetE0EEEvT1_.num_vgpr, 78
	.set _ZN7rocprim17ROCPRIM_400000_NS6detail17trampoline_kernelINS0_14default_configENS1_25partition_config_selectorILNS1_17partition_subalgoE6EtNS0_10empty_typeEbEEZZNS1_14partition_implILS5_6ELb0ES3_mN6thrust23THRUST_200600_302600_NS6detail15normal_iteratorINSA_10device_ptrItEEEEPS6_SG_NS0_5tupleIJSF_S6_EEENSH_IJSG_SG_EEES6_PlJNSB_9not_fun_tINSB_10functional5actorINSM_9compositeIJNSM_27transparent_binary_operatorINSA_8equal_toIvEEEENSN_INSM_8argumentILj0EEEEENSM_5valueItEEEEEEEEEEEE10hipError_tPvRmT3_T4_T5_T6_T7_T9_mT8_P12ihipStream_tbDpT10_ENKUlT_T0_E_clISt17integral_constantIbLb0EES1J_IbLb1EEEEDaS1F_S1G_EUlS1F_E_NS1_11comp_targetILNS1_3genE10ELNS1_11target_archE1200ELNS1_3gpuE4ELNS1_3repE0EEENS1_30default_config_static_selectorELNS0_4arch9wavefront6targetE0EEEvT1_.num_agpr, 0
	.set _ZN7rocprim17ROCPRIM_400000_NS6detail17trampoline_kernelINS0_14default_configENS1_25partition_config_selectorILNS1_17partition_subalgoE6EtNS0_10empty_typeEbEEZZNS1_14partition_implILS5_6ELb0ES3_mN6thrust23THRUST_200600_302600_NS6detail15normal_iteratorINSA_10device_ptrItEEEEPS6_SG_NS0_5tupleIJSF_S6_EEENSH_IJSG_SG_EEES6_PlJNSB_9not_fun_tINSB_10functional5actorINSM_9compositeIJNSM_27transparent_binary_operatorINSA_8equal_toIvEEEENSN_INSM_8argumentILj0EEEEENSM_5valueItEEEEEEEEEEEE10hipError_tPvRmT3_T4_T5_T6_T7_T9_mT8_P12ihipStream_tbDpT10_ENKUlT_T0_E_clISt17integral_constantIbLb0EES1J_IbLb1EEEEDaS1F_S1G_EUlS1F_E_NS1_11comp_targetILNS1_3genE10ELNS1_11target_archE1200ELNS1_3gpuE4ELNS1_3repE0EEENS1_30default_config_static_selectorELNS0_4arch9wavefront6targetE0EEEvT1_.numbered_sgpr, 31
	.set _ZN7rocprim17ROCPRIM_400000_NS6detail17trampoline_kernelINS0_14default_configENS1_25partition_config_selectorILNS1_17partition_subalgoE6EtNS0_10empty_typeEbEEZZNS1_14partition_implILS5_6ELb0ES3_mN6thrust23THRUST_200600_302600_NS6detail15normal_iteratorINSA_10device_ptrItEEEEPS6_SG_NS0_5tupleIJSF_S6_EEENSH_IJSG_SG_EEES6_PlJNSB_9not_fun_tINSB_10functional5actorINSM_9compositeIJNSM_27transparent_binary_operatorINSA_8equal_toIvEEEENSN_INSM_8argumentILj0EEEEENSM_5valueItEEEEEEEEEEEE10hipError_tPvRmT3_T4_T5_T6_T7_T9_mT8_P12ihipStream_tbDpT10_ENKUlT_T0_E_clISt17integral_constantIbLb0EES1J_IbLb1EEEEDaS1F_S1G_EUlS1F_E_NS1_11comp_targetILNS1_3genE10ELNS1_11target_archE1200ELNS1_3gpuE4ELNS1_3repE0EEENS1_30default_config_static_selectorELNS0_4arch9wavefront6targetE0EEEvT1_.num_named_barrier, 0
	.set _ZN7rocprim17ROCPRIM_400000_NS6detail17trampoline_kernelINS0_14default_configENS1_25partition_config_selectorILNS1_17partition_subalgoE6EtNS0_10empty_typeEbEEZZNS1_14partition_implILS5_6ELb0ES3_mN6thrust23THRUST_200600_302600_NS6detail15normal_iteratorINSA_10device_ptrItEEEEPS6_SG_NS0_5tupleIJSF_S6_EEENSH_IJSG_SG_EEES6_PlJNSB_9not_fun_tINSB_10functional5actorINSM_9compositeIJNSM_27transparent_binary_operatorINSA_8equal_toIvEEEENSN_INSM_8argumentILj0EEEEENSM_5valueItEEEEEEEEEEEE10hipError_tPvRmT3_T4_T5_T6_T7_T9_mT8_P12ihipStream_tbDpT10_ENKUlT_T0_E_clISt17integral_constantIbLb0EES1J_IbLb1EEEEDaS1F_S1G_EUlS1F_E_NS1_11comp_targetILNS1_3genE10ELNS1_11target_archE1200ELNS1_3gpuE4ELNS1_3repE0EEENS1_30default_config_static_selectorELNS0_4arch9wavefront6targetE0EEEvT1_.private_seg_size, 0
	.set _ZN7rocprim17ROCPRIM_400000_NS6detail17trampoline_kernelINS0_14default_configENS1_25partition_config_selectorILNS1_17partition_subalgoE6EtNS0_10empty_typeEbEEZZNS1_14partition_implILS5_6ELb0ES3_mN6thrust23THRUST_200600_302600_NS6detail15normal_iteratorINSA_10device_ptrItEEEEPS6_SG_NS0_5tupleIJSF_S6_EEENSH_IJSG_SG_EEES6_PlJNSB_9not_fun_tINSB_10functional5actorINSM_9compositeIJNSM_27transparent_binary_operatorINSA_8equal_toIvEEEENSN_INSM_8argumentILj0EEEEENSM_5valueItEEEEEEEEEEEE10hipError_tPvRmT3_T4_T5_T6_T7_T9_mT8_P12ihipStream_tbDpT10_ENKUlT_T0_E_clISt17integral_constantIbLb0EES1J_IbLb1EEEEDaS1F_S1G_EUlS1F_E_NS1_11comp_targetILNS1_3genE10ELNS1_11target_archE1200ELNS1_3gpuE4ELNS1_3repE0EEENS1_30default_config_static_selectorELNS0_4arch9wavefront6targetE0EEEvT1_.uses_vcc, 1
	.set _ZN7rocprim17ROCPRIM_400000_NS6detail17trampoline_kernelINS0_14default_configENS1_25partition_config_selectorILNS1_17partition_subalgoE6EtNS0_10empty_typeEbEEZZNS1_14partition_implILS5_6ELb0ES3_mN6thrust23THRUST_200600_302600_NS6detail15normal_iteratorINSA_10device_ptrItEEEEPS6_SG_NS0_5tupleIJSF_S6_EEENSH_IJSG_SG_EEES6_PlJNSB_9not_fun_tINSB_10functional5actorINSM_9compositeIJNSM_27transparent_binary_operatorINSA_8equal_toIvEEEENSN_INSM_8argumentILj0EEEEENSM_5valueItEEEEEEEEEEEE10hipError_tPvRmT3_T4_T5_T6_T7_T9_mT8_P12ihipStream_tbDpT10_ENKUlT_T0_E_clISt17integral_constantIbLb0EES1J_IbLb1EEEEDaS1F_S1G_EUlS1F_E_NS1_11comp_targetILNS1_3genE10ELNS1_11target_archE1200ELNS1_3gpuE4ELNS1_3repE0EEENS1_30default_config_static_selectorELNS0_4arch9wavefront6targetE0EEEvT1_.uses_flat_scratch, 1
	.set _ZN7rocprim17ROCPRIM_400000_NS6detail17trampoline_kernelINS0_14default_configENS1_25partition_config_selectorILNS1_17partition_subalgoE6EtNS0_10empty_typeEbEEZZNS1_14partition_implILS5_6ELb0ES3_mN6thrust23THRUST_200600_302600_NS6detail15normal_iteratorINSA_10device_ptrItEEEEPS6_SG_NS0_5tupleIJSF_S6_EEENSH_IJSG_SG_EEES6_PlJNSB_9not_fun_tINSB_10functional5actorINSM_9compositeIJNSM_27transparent_binary_operatorINSA_8equal_toIvEEEENSN_INSM_8argumentILj0EEEEENSM_5valueItEEEEEEEEEEEE10hipError_tPvRmT3_T4_T5_T6_T7_T9_mT8_P12ihipStream_tbDpT10_ENKUlT_T0_E_clISt17integral_constantIbLb0EES1J_IbLb1EEEEDaS1F_S1G_EUlS1F_E_NS1_11comp_targetILNS1_3genE10ELNS1_11target_archE1200ELNS1_3gpuE4ELNS1_3repE0EEENS1_30default_config_static_selectorELNS0_4arch9wavefront6targetE0EEEvT1_.has_dyn_sized_stack, 0
	.set _ZN7rocprim17ROCPRIM_400000_NS6detail17trampoline_kernelINS0_14default_configENS1_25partition_config_selectorILNS1_17partition_subalgoE6EtNS0_10empty_typeEbEEZZNS1_14partition_implILS5_6ELb0ES3_mN6thrust23THRUST_200600_302600_NS6detail15normal_iteratorINSA_10device_ptrItEEEEPS6_SG_NS0_5tupleIJSF_S6_EEENSH_IJSG_SG_EEES6_PlJNSB_9not_fun_tINSB_10functional5actorINSM_9compositeIJNSM_27transparent_binary_operatorINSA_8equal_toIvEEEENSN_INSM_8argumentILj0EEEEENSM_5valueItEEEEEEEEEEEE10hipError_tPvRmT3_T4_T5_T6_T7_T9_mT8_P12ihipStream_tbDpT10_ENKUlT_T0_E_clISt17integral_constantIbLb0EES1J_IbLb1EEEEDaS1F_S1G_EUlS1F_E_NS1_11comp_targetILNS1_3genE10ELNS1_11target_archE1200ELNS1_3gpuE4ELNS1_3repE0EEENS1_30default_config_static_selectorELNS0_4arch9wavefront6targetE0EEEvT1_.has_recursion, 0
	.set _ZN7rocprim17ROCPRIM_400000_NS6detail17trampoline_kernelINS0_14default_configENS1_25partition_config_selectorILNS1_17partition_subalgoE6EtNS0_10empty_typeEbEEZZNS1_14partition_implILS5_6ELb0ES3_mN6thrust23THRUST_200600_302600_NS6detail15normal_iteratorINSA_10device_ptrItEEEEPS6_SG_NS0_5tupleIJSF_S6_EEENSH_IJSG_SG_EEES6_PlJNSB_9not_fun_tINSB_10functional5actorINSM_9compositeIJNSM_27transparent_binary_operatorINSA_8equal_toIvEEEENSN_INSM_8argumentILj0EEEEENSM_5valueItEEEEEEEEEEEE10hipError_tPvRmT3_T4_T5_T6_T7_T9_mT8_P12ihipStream_tbDpT10_ENKUlT_T0_E_clISt17integral_constantIbLb0EES1J_IbLb1EEEEDaS1F_S1G_EUlS1F_E_NS1_11comp_targetILNS1_3genE10ELNS1_11target_archE1200ELNS1_3gpuE4ELNS1_3repE0EEENS1_30default_config_static_selectorELNS0_4arch9wavefront6targetE0EEEvT1_.has_indirect_call, 0
	.section	.AMDGPU.csdata,"",@progbits
; Kernel info:
; codeLenInByte = 11776
; TotalNumSgprs: 33
; NumVgprs: 78
; ScratchSize: 0
; MemoryBound: 0
; FloatMode: 240
; IeeeMode: 1
; LDSByteSize: 13840 bytes/workgroup (compile time only)
; SGPRBlocks: 0
; VGPRBlocks: 9
; NumSGPRsForWavesPerEU: 33
; NumVGPRsForWavesPerEU: 78
; Occupancy: 15
; WaveLimiterHint : 1
; COMPUTE_PGM_RSRC2:SCRATCH_EN: 0
; COMPUTE_PGM_RSRC2:USER_SGPR: 2
; COMPUTE_PGM_RSRC2:TRAP_HANDLER: 0
; COMPUTE_PGM_RSRC2:TGID_X_EN: 1
; COMPUTE_PGM_RSRC2:TGID_Y_EN: 0
; COMPUTE_PGM_RSRC2:TGID_Z_EN: 0
; COMPUTE_PGM_RSRC2:TIDIG_COMP_CNT: 0
	.section	.text._ZN7rocprim17ROCPRIM_400000_NS6detail17trampoline_kernelINS0_14default_configENS1_25partition_config_selectorILNS1_17partition_subalgoE6EtNS0_10empty_typeEbEEZZNS1_14partition_implILS5_6ELb0ES3_mN6thrust23THRUST_200600_302600_NS6detail15normal_iteratorINSA_10device_ptrItEEEEPS6_SG_NS0_5tupleIJSF_S6_EEENSH_IJSG_SG_EEES6_PlJNSB_9not_fun_tINSB_10functional5actorINSM_9compositeIJNSM_27transparent_binary_operatorINSA_8equal_toIvEEEENSN_INSM_8argumentILj0EEEEENSM_5valueItEEEEEEEEEEEE10hipError_tPvRmT3_T4_T5_T6_T7_T9_mT8_P12ihipStream_tbDpT10_ENKUlT_T0_E_clISt17integral_constantIbLb0EES1J_IbLb1EEEEDaS1F_S1G_EUlS1F_E_NS1_11comp_targetILNS1_3genE9ELNS1_11target_archE1100ELNS1_3gpuE3ELNS1_3repE0EEENS1_30default_config_static_selectorELNS0_4arch9wavefront6targetE0EEEvT1_,"axG",@progbits,_ZN7rocprim17ROCPRIM_400000_NS6detail17trampoline_kernelINS0_14default_configENS1_25partition_config_selectorILNS1_17partition_subalgoE6EtNS0_10empty_typeEbEEZZNS1_14partition_implILS5_6ELb0ES3_mN6thrust23THRUST_200600_302600_NS6detail15normal_iteratorINSA_10device_ptrItEEEEPS6_SG_NS0_5tupleIJSF_S6_EEENSH_IJSG_SG_EEES6_PlJNSB_9not_fun_tINSB_10functional5actorINSM_9compositeIJNSM_27transparent_binary_operatorINSA_8equal_toIvEEEENSN_INSM_8argumentILj0EEEEENSM_5valueItEEEEEEEEEEEE10hipError_tPvRmT3_T4_T5_T6_T7_T9_mT8_P12ihipStream_tbDpT10_ENKUlT_T0_E_clISt17integral_constantIbLb0EES1J_IbLb1EEEEDaS1F_S1G_EUlS1F_E_NS1_11comp_targetILNS1_3genE9ELNS1_11target_archE1100ELNS1_3gpuE3ELNS1_3repE0EEENS1_30default_config_static_selectorELNS0_4arch9wavefront6targetE0EEEvT1_,comdat
	.protected	_ZN7rocprim17ROCPRIM_400000_NS6detail17trampoline_kernelINS0_14default_configENS1_25partition_config_selectorILNS1_17partition_subalgoE6EtNS0_10empty_typeEbEEZZNS1_14partition_implILS5_6ELb0ES3_mN6thrust23THRUST_200600_302600_NS6detail15normal_iteratorINSA_10device_ptrItEEEEPS6_SG_NS0_5tupleIJSF_S6_EEENSH_IJSG_SG_EEES6_PlJNSB_9not_fun_tINSB_10functional5actorINSM_9compositeIJNSM_27transparent_binary_operatorINSA_8equal_toIvEEEENSN_INSM_8argumentILj0EEEEENSM_5valueItEEEEEEEEEEEE10hipError_tPvRmT3_T4_T5_T6_T7_T9_mT8_P12ihipStream_tbDpT10_ENKUlT_T0_E_clISt17integral_constantIbLb0EES1J_IbLb1EEEEDaS1F_S1G_EUlS1F_E_NS1_11comp_targetILNS1_3genE9ELNS1_11target_archE1100ELNS1_3gpuE3ELNS1_3repE0EEENS1_30default_config_static_selectorELNS0_4arch9wavefront6targetE0EEEvT1_ ; -- Begin function _ZN7rocprim17ROCPRIM_400000_NS6detail17trampoline_kernelINS0_14default_configENS1_25partition_config_selectorILNS1_17partition_subalgoE6EtNS0_10empty_typeEbEEZZNS1_14partition_implILS5_6ELb0ES3_mN6thrust23THRUST_200600_302600_NS6detail15normal_iteratorINSA_10device_ptrItEEEEPS6_SG_NS0_5tupleIJSF_S6_EEENSH_IJSG_SG_EEES6_PlJNSB_9not_fun_tINSB_10functional5actorINSM_9compositeIJNSM_27transparent_binary_operatorINSA_8equal_toIvEEEENSN_INSM_8argumentILj0EEEEENSM_5valueItEEEEEEEEEEEE10hipError_tPvRmT3_T4_T5_T6_T7_T9_mT8_P12ihipStream_tbDpT10_ENKUlT_T0_E_clISt17integral_constantIbLb0EES1J_IbLb1EEEEDaS1F_S1G_EUlS1F_E_NS1_11comp_targetILNS1_3genE9ELNS1_11target_archE1100ELNS1_3gpuE3ELNS1_3repE0EEENS1_30default_config_static_selectorELNS0_4arch9wavefront6targetE0EEEvT1_
	.globl	_ZN7rocprim17ROCPRIM_400000_NS6detail17trampoline_kernelINS0_14default_configENS1_25partition_config_selectorILNS1_17partition_subalgoE6EtNS0_10empty_typeEbEEZZNS1_14partition_implILS5_6ELb0ES3_mN6thrust23THRUST_200600_302600_NS6detail15normal_iteratorINSA_10device_ptrItEEEEPS6_SG_NS0_5tupleIJSF_S6_EEENSH_IJSG_SG_EEES6_PlJNSB_9not_fun_tINSB_10functional5actorINSM_9compositeIJNSM_27transparent_binary_operatorINSA_8equal_toIvEEEENSN_INSM_8argumentILj0EEEEENSM_5valueItEEEEEEEEEEEE10hipError_tPvRmT3_T4_T5_T6_T7_T9_mT8_P12ihipStream_tbDpT10_ENKUlT_T0_E_clISt17integral_constantIbLb0EES1J_IbLb1EEEEDaS1F_S1G_EUlS1F_E_NS1_11comp_targetILNS1_3genE9ELNS1_11target_archE1100ELNS1_3gpuE3ELNS1_3repE0EEENS1_30default_config_static_selectorELNS0_4arch9wavefront6targetE0EEEvT1_
	.p2align	8
	.type	_ZN7rocprim17ROCPRIM_400000_NS6detail17trampoline_kernelINS0_14default_configENS1_25partition_config_selectorILNS1_17partition_subalgoE6EtNS0_10empty_typeEbEEZZNS1_14partition_implILS5_6ELb0ES3_mN6thrust23THRUST_200600_302600_NS6detail15normal_iteratorINSA_10device_ptrItEEEEPS6_SG_NS0_5tupleIJSF_S6_EEENSH_IJSG_SG_EEES6_PlJNSB_9not_fun_tINSB_10functional5actorINSM_9compositeIJNSM_27transparent_binary_operatorINSA_8equal_toIvEEEENSN_INSM_8argumentILj0EEEEENSM_5valueItEEEEEEEEEEEE10hipError_tPvRmT3_T4_T5_T6_T7_T9_mT8_P12ihipStream_tbDpT10_ENKUlT_T0_E_clISt17integral_constantIbLb0EES1J_IbLb1EEEEDaS1F_S1G_EUlS1F_E_NS1_11comp_targetILNS1_3genE9ELNS1_11target_archE1100ELNS1_3gpuE3ELNS1_3repE0EEENS1_30default_config_static_selectorELNS0_4arch9wavefront6targetE0EEEvT1_,@function
_ZN7rocprim17ROCPRIM_400000_NS6detail17trampoline_kernelINS0_14default_configENS1_25partition_config_selectorILNS1_17partition_subalgoE6EtNS0_10empty_typeEbEEZZNS1_14partition_implILS5_6ELb0ES3_mN6thrust23THRUST_200600_302600_NS6detail15normal_iteratorINSA_10device_ptrItEEEEPS6_SG_NS0_5tupleIJSF_S6_EEENSH_IJSG_SG_EEES6_PlJNSB_9not_fun_tINSB_10functional5actorINSM_9compositeIJNSM_27transparent_binary_operatorINSA_8equal_toIvEEEENSN_INSM_8argumentILj0EEEEENSM_5valueItEEEEEEEEEEEE10hipError_tPvRmT3_T4_T5_T6_T7_T9_mT8_P12ihipStream_tbDpT10_ENKUlT_T0_E_clISt17integral_constantIbLb0EES1J_IbLb1EEEEDaS1F_S1G_EUlS1F_E_NS1_11comp_targetILNS1_3genE9ELNS1_11target_archE1100ELNS1_3gpuE3ELNS1_3repE0EEENS1_30default_config_static_selectorELNS0_4arch9wavefront6targetE0EEEvT1_: ; @_ZN7rocprim17ROCPRIM_400000_NS6detail17trampoline_kernelINS0_14default_configENS1_25partition_config_selectorILNS1_17partition_subalgoE6EtNS0_10empty_typeEbEEZZNS1_14partition_implILS5_6ELb0ES3_mN6thrust23THRUST_200600_302600_NS6detail15normal_iteratorINSA_10device_ptrItEEEEPS6_SG_NS0_5tupleIJSF_S6_EEENSH_IJSG_SG_EEES6_PlJNSB_9not_fun_tINSB_10functional5actorINSM_9compositeIJNSM_27transparent_binary_operatorINSA_8equal_toIvEEEENSN_INSM_8argumentILj0EEEEENSM_5valueItEEEEEEEEEEEE10hipError_tPvRmT3_T4_T5_T6_T7_T9_mT8_P12ihipStream_tbDpT10_ENKUlT_T0_E_clISt17integral_constantIbLb0EES1J_IbLb1EEEEDaS1F_S1G_EUlS1F_E_NS1_11comp_targetILNS1_3genE9ELNS1_11target_archE1100ELNS1_3gpuE3ELNS1_3repE0EEENS1_30default_config_static_selectorELNS0_4arch9wavefront6targetE0EEEvT1_
; %bb.0:
	.section	.rodata,"a",@progbits
	.p2align	6, 0x0
	.amdhsa_kernel _ZN7rocprim17ROCPRIM_400000_NS6detail17trampoline_kernelINS0_14default_configENS1_25partition_config_selectorILNS1_17partition_subalgoE6EtNS0_10empty_typeEbEEZZNS1_14partition_implILS5_6ELb0ES3_mN6thrust23THRUST_200600_302600_NS6detail15normal_iteratorINSA_10device_ptrItEEEEPS6_SG_NS0_5tupleIJSF_S6_EEENSH_IJSG_SG_EEES6_PlJNSB_9not_fun_tINSB_10functional5actorINSM_9compositeIJNSM_27transparent_binary_operatorINSA_8equal_toIvEEEENSN_INSM_8argumentILj0EEEEENSM_5valueItEEEEEEEEEEEE10hipError_tPvRmT3_T4_T5_T6_T7_T9_mT8_P12ihipStream_tbDpT10_ENKUlT_T0_E_clISt17integral_constantIbLb0EES1J_IbLb1EEEEDaS1F_S1G_EUlS1F_E_NS1_11comp_targetILNS1_3genE9ELNS1_11target_archE1100ELNS1_3gpuE3ELNS1_3repE0EEENS1_30default_config_static_selectorELNS0_4arch9wavefront6targetE0EEEvT1_
		.amdhsa_group_segment_fixed_size 0
		.amdhsa_private_segment_fixed_size 0
		.amdhsa_kernarg_size 128
		.amdhsa_user_sgpr_count 2
		.amdhsa_user_sgpr_dispatch_ptr 0
		.amdhsa_user_sgpr_queue_ptr 0
		.amdhsa_user_sgpr_kernarg_segment_ptr 1
		.amdhsa_user_sgpr_dispatch_id 0
		.amdhsa_user_sgpr_private_segment_size 0
		.amdhsa_wavefront_size32 1
		.amdhsa_uses_dynamic_stack 0
		.amdhsa_enable_private_segment 0
		.amdhsa_system_sgpr_workgroup_id_x 1
		.amdhsa_system_sgpr_workgroup_id_y 0
		.amdhsa_system_sgpr_workgroup_id_z 0
		.amdhsa_system_sgpr_workgroup_info 0
		.amdhsa_system_vgpr_workitem_id 0
		.amdhsa_next_free_vgpr 1
		.amdhsa_next_free_sgpr 1
		.amdhsa_reserve_vcc 0
		.amdhsa_float_round_mode_32 0
		.amdhsa_float_round_mode_16_64 0
		.amdhsa_float_denorm_mode_32 3
		.amdhsa_float_denorm_mode_16_64 3
		.amdhsa_fp16_overflow 0
		.amdhsa_workgroup_processor_mode 1
		.amdhsa_memory_ordered 1
		.amdhsa_forward_progress 1
		.amdhsa_inst_pref_size 0
		.amdhsa_round_robin_scheduling 0
		.amdhsa_exception_fp_ieee_invalid_op 0
		.amdhsa_exception_fp_denorm_src 0
		.amdhsa_exception_fp_ieee_div_zero 0
		.amdhsa_exception_fp_ieee_overflow 0
		.amdhsa_exception_fp_ieee_underflow 0
		.amdhsa_exception_fp_ieee_inexact 0
		.amdhsa_exception_int_div_zero 0
	.end_amdhsa_kernel
	.section	.text._ZN7rocprim17ROCPRIM_400000_NS6detail17trampoline_kernelINS0_14default_configENS1_25partition_config_selectorILNS1_17partition_subalgoE6EtNS0_10empty_typeEbEEZZNS1_14partition_implILS5_6ELb0ES3_mN6thrust23THRUST_200600_302600_NS6detail15normal_iteratorINSA_10device_ptrItEEEEPS6_SG_NS0_5tupleIJSF_S6_EEENSH_IJSG_SG_EEES6_PlJNSB_9not_fun_tINSB_10functional5actorINSM_9compositeIJNSM_27transparent_binary_operatorINSA_8equal_toIvEEEENSN_INSM_8argumentILj0EEEEENSM_5valueItEEEEEEEEEEEE10hipError_tPvRmT3_T4_T5_T6_T7_T9_mT8_P12ihipStream_tbDpT10_ENKUlT_T0_E_clISt17integral_constantIbLb0EES1J_IbLb1EEEEDaS1F_S1G_EUlS1F_E_NS1_11comp_targetILNS1_3genE9ELNS1_11target_archE1100ELNS1_3gpuE3ELNS1_3repE0EEENS1_30default_config_static_selectorELNS0_4arch9wavefront6targetE0EEEvT1_,"axG",@progbits,_ZN7rocprim17ROCPRIM_400000_NS6detail17trampoline_kernelINS0_14default_configENS1_25partition_config_selectorILNS1_17partition_subalgoE6EtNS0_10empty_typeEbEEZZNS1_14partition_implILS5_6ELb0ES3_mN6thrust23THRUST_200600_302600_NS6detail15normal_iteratorINSA_10device_ptrItEEEEPS6_SG_NS0_5tupleIJSF_S6_EEENSH_IJSG_SG_EEES6_PlJNSB_9not_fun_tINSB_10functional5actorINSM_9compositeIJNSM_27transparent_binary_operatorINSA_8equal_toIvEEEENSN_INSM_8argumentILj0EEEEENSM_5valueItEEEEEEEEEEEE10hipError_tPvRmT3_T4_T5_T6_T7_T9_mT8_P12ihipStream_tbDpT10_ENKUlT_T0_E_clISt17integral_constantIbLb0EES1J_IbLb1EEEEDaS1F_S1G_EUlS1F_E_NS1_11comp_targetILNS1_3genE9ELNS1_11target_archE1100ELNS1_3gpuE3ELNS1_3repE0EEENS1_30default_config_static_selectorELNS0_4arch9wavefront6targetE0EEEvT1_,comdat
.Lfunc_end176:
	.size	_ZN7rocprim17ROCPRIM_400000_NS6detail17trampoline_kernelINS0_14default_configENS1_25partition_config_selectorILNS1_17partition_subalgoE6EtNS0_10empty_typeEbEEZZNS1_14partition_implILS5_6ELb0ES3_mN6thrust23THRUST_200600_302600_NS6detail15normal_iteratorINSA_10device_ptrItEEEEPS6_SG_NS0_5tupleIJSF_S6_EEENSH_IJSG_SG_EEES6_PlJNSB_9not_fun_tINSB_10functional5actorINSM_9compositeIJNSM_27transparent_binary_operatorINSA_8equal_toIvEEEENSN_INSM_8argumentILj0EEEEENSM_5valueItEEEEEEEEEEEE10hipError_tPvRmT3_T4_T5_T6_T7_T9_mT8_P12ihipStream_tbDpT10_ENKUlT_T0_E_clISt17integral_constantIbLb0EES1J_IbLb1EEEEDaS1F_S1G_EUlS1F_E_NS1_11comp_targetILNS1_3genE9ELNS1_11target_archE1100ELNS1_3gpuE3ELNS1_3repE0EEENS1_30default_config_static_selectorELNS0_4arch9wavefront6targetE0EEEvT1_, .Lfunc_end176-_ZN7rocprim17ROCPRIM_400000_NS6detail17trampoline_kernelINS0_14default_configENS1_25partition_config_selectorILNS1_17partition_subalgoE6EtNS0_10empty_typeEbEEZZNS1_14partition_implILS5_6ELb0ES3_mN6thrust23THRUST_200600_302600_NS6detail15normal_iteratorINSA_10device_ptrItEEEEPS6_SG_NS0_5tupleIJSF_S6_EEENSH_IJSG_SG_EEES6_PlJNSB_9not_fun_tINSB_10functional5actorINSM_9compositeIJNSM_27transparent_binary_operatorINSA_8equal_toIvEEEENSN_INSM_8argumentILj0EEEEENSM_5valueItEEEEEEEEEEEE10hipError_tPvRmT3_T4_T5_T6_T7_T9_mT8_P12ihipStream_tbDpT10_ENKUlT_T0_E_clISt17integral_constantIbLb0EES1J_IbLb1EEEEDaS1F_S1G_EUlS1F_E_NS1_11comp_targetILNS1_3genE9ELNS1_11target_archE1100ELNS1_3gpuE3ELNS1_3repE0EEENS1_30default_config_static_selectorELNS0_4arch9wavefront6targetE0EEEvT1_
                                        ; -- End function
	.set _ZN7rocprim17ROCPRIM_400000_NS6detail17trampoline_kernelINS0_14default_configENS1_25partition_config_selectorILNS1_17partition_subalgoE6EtNS0_10empty_typeEbEEZZNS1_14partition_implILS5_6ELb0ES3_mN6thrust23THRUST_200600_302600_NS6detail15normal_iteratorINSA_10device_ptrItEEEEPS6_SG_NS0_5tupleIJSF_S6_EEENSH_IJSG_SG_EEES6_PlJNSB_9not_fun_tINSB_10functional5actorINSM_9compositeIJNSM_27transparent_binary_operatorINSA_8equal_toIvEEEENSN_INSM_8argumentILj0EEEEENSM_5valueItEEEEEEEEEEEE10hipError_tPvRmT3_T4_T5_T6_T7_T9_mT8_P12ihipStream_tbDpT10_ENKUlT_T0_E_clISt17integral_constantIbLb0EES1J_IbLb1EEEEDaS1F_S1G_EUlS1F_E_NS1_11comp_targetILNS1_3genE9ELNS1_11target_archE1100ELNS1_3gpuE3ELNS1_3repE0EEENS1_30default_config_static_selectorELNS0_4arch9wavefront6targetE0EEEvT1_.num_vgpr, 0
	.set _ZN7rocprim17ROCPRIM_400000_NS6detail17trampoline_kernelINS0_14default_configENS1_25partition_config_selectorILNS1_17partition_subalgoE6EtNS0_10empty_typeEbEEZZNS1_14partition_implILS5_6ELb0ES3_mN6thrust23THRUST_200600_302600_NS6detail15normal_iteratorINSA_10device_ptrItEEEEPS6_SG_NS0_5tupleIJSF_S6_EEENSH_IJSG_SG_EEES6_PlJNSB_9not_fun_tINSB_10functional5actorINSM_9compositeIJNSM_27transparent_binary_operatorINSA_8equal_toIvEEEENSN_INSM_8argumentILj0EEEEENSM_5valueItEEEEEEEEEEEE10hipError_tPvRmT3_T4_T5_T6_T7_T9_mT8_P12ihipStream_tbDpT10_ENKUlT_T0_E_clISt17integral_constantIbLb0EES1J_IbLb1EEEEDaS1F_S1G_EUlS1F_E_NS1_11comp_targetILNS1_3genE9ELNS1_11target_archE1100ELNS1_3gpuE3ELNS1_3repE0EEENS1_30default_config_static_selectorELNS0_4arch9wavefront6targetE0EEEvT1_.num_agpr, 0
	.set _ZN7rocprim17ROCPRIM_400000_NS6detail17trampoline_kernelINS0_14default_configENS1_25partition_config_selectorILNS1_17partition_subalgoE6EtNS0_10empty_typeEbEEZZNS1_14partition_implILS5_6ELb0ES3_mN6thrust23THRUST_200600_302600_NS6detail15normal_iteratorINSA_10device_ptrItEEEEPS6_SG_NS0_5tupleIJSF_S6_EEENSH_IJSG_SG_EEES6_PlJNSB_9not_fun_tINSB_10functional5actorINSM_9compositeIJNSM_27transparent_binary_operatorINSA_8equal_toIvEEEENSN_INSM_8argumentILj0EEEEENSM_5valueItEEEEEEEEEEEE10hipError_tPvRmT3_T4_T5_T6_T7_T9_mT8_P12ihipStream_tbDpT10_ENKUlT_T0_E_clISt17integral_constantIbLb0EES1J_IbLb1EEEEDaS1F_S1G_EUlS1F_E_NS1_11comp_targetILNS1_3genE9ELNS1_11target_archE1100ELNS1_3gpuE3ELNS1_3repE0EEENS1_30default_config_static_selectorELNS0_4arch9wavefront6targetE0EEEvT1_.numbered_sgpr, 0
	.set _ZN7rocprim17ROCPRIM_400000_NS6detail17trampoline_kernelINS0_14default_configENS1_25partition_config_selectorILNS1_17partition_subalgoE6EtNS0_10empty_typeEbEEZZNS1_14partition_implILS5_6ELb0ES3_mN6thrust23THRUST_200600_302600_NS6detail15normal_iteratorINSA_10device_ptrItEEEEPS6_SG_NS0_5tupleIJSF_S6_EEENSH_IJSG_SG_EEES6_PlJNSB_9not_fun_tINSB_10functional5actorINSM_9compositeIJNSM_27transparent_binary_operatorINSA_8equal_toIvEEEENSN_INSM_8argumentILj0EEEEENSM_5valueItEEEEEEEEEEEE10hipError_tPvRmT3_T4_T5_T6_T7_T9_mT8_P12ihipStream_tbDpT10_ENKUlT_T0_E_clISt17integral_constantIbLb0EES1J_IbLb1EEEEDaS1F_S1G_EUlS1F_E_NS1_11comp_targetILNS1_3genE9ELNS1_11target_archE1100ELNS1_3gpuE3ELNS1_3repE0EEENS1_30default_config_static_selectorELNS0_4arch9wavefront6targetE0EEEvT1_.num_named_barrier, 0
	.set _ZN7rocprim17ROCPRIM_400000_NS6detail17trampoline_kernelINS0_14default_configENS1_25partition_config_selectorILNS1_17partition_subalgoE6EtNS0_10empty_typeEbEEZZNS1_14partition_implILS5_6ELb0ES3_mN6thrust23THRUST_200600_302600_NS6detail15normal_iteratorINSA_10device_ptrItEEEEPS6_SG_NS0_5tupleIJSF_S6_EEENSH_IJSG_SG_EEES6_PlJNSB_9not_fun_tINSB_10functional5actorINSM_9compositeIJNSM_27transparent_binary_operatorINSA_8equal_toIvEEEENSN_INSM_8argumentILj0EEEEENSM_5valueItEEEEEEEEEEEE10hipError_tPvRmT3_T4_T5_T6_T7_T9_mT8_P12ihipStream_tbDpT10_ENKUlT_T0_E_clISt17integral_constantIbLb0EES1J_IbLb1EEEEDaS1F_S1G_EUlS1F_E_NS1_11comp_targetILNS1_3genE9ELNS1_11target_archE1100ELNS1_3gpuE3ELNS1_3repE0EEENS1_30default_config_static_selectorELNS0_4arch9wavefront6targetE0EEEvT1_.private_seg_size, 0
	.set _ZN7rocprim17ROCPRIM_400000_NS6detail17trampoline_kernelINS0_14default_configENS1_25partition_config_selectorILNS1_17partition_subalgoE6EtNS0_10empty_typeEbEEZZNS1_14partition_implILS5_6ELb0ES3_mN6thrust23THRUST_200600_302600_NS6detail15normal_iteratorINSA_10device_ptrItEEEEPS6_SG_NS0_5tupleIJSF_S6_EEENSH_IJSG_SG_EEES6_PlJNSB_9not_fun_tINSB_10functional5actorINSM_9compositeIJNSM_27transparent_binary_operatorINSA_8equal_toIvEEEENSN_INSM_8argumentILj0EEEEENSM_5valueItEEEEEEEEEEEE10hipError_tPvRmT3_T4_T5_T6_T7_T9_mT8_P12ihipStream_tbDpT10_ENKUlT_T0_E_clISt17integral_constantIbLb0EES1J_IbLb1EEEEDaS1F_S1G_EUlS1F_E_NS1_11comp_targetILNS1_3genE9ELNS1_11target_archE1100ELNS1_3gpuE3ELNS1_3repE0EEENS1_30default_config_static_selectorELNS0_4arch9wavefront6targetE0EEEvT1_.uses_vcc, 0
	.set _ZN7rocprim17ROCPRIM_400000_NS6detail17trampoline_kernelINS0_14default_configENS1_25partition_config_selectorILNS1_17partition_subalgoE6EtNS0_10empty_typeEbEEZZNS1_14partition_implILS5_6ELb0ES3_mN6thrust23THRUST_200600_302600_NS6detail15normal_iteratorINSA_10device_ptrItEEEEPS6_SG_NS0_5tupleIJSF_S6_EEENSH_IJSG_SG_EEES6_PlJNSB_9not_fun_tINSB_10functional5actorINSM_9compositeIJNSM_27transparent_binary_operatorINSA_8equal_toIvEEEENSN_INSM_8argumentILj0EEEEENSM_5valueItEEEEEEEEEEEE10hipError_tPvRmT3_T4_T5_T6_T7_T9_mT8_P12ihipStream_tbDpT10_ENKUlT_T0_E_clISt17integral_constantIbLb0EES1J_IbLb1EEEEDaS1F_S1G_EUlS1F_E_NS1_11comp_targetILNS1_3genE9ELNS1_11target_archE1100ELNS1_3gpuE3ELNS1_3repE0EEENS1_30default_config_static_selectorELNS0_4arch9wavefront6targetE0EEEvT1_.uses_flat_scratch, 0
	.set _ZN7rocprim17ROCPRIM_400000_NS6detail17trampoline_kernelINS0_14default_configENS1_25partition_config_selectorILNS1_17partition_subalgoE6EtNS0_10empty_typeEbEEZZNS1_14partition_implILS5_6ELb0ES3_mN6thrust23THRUST_200600_302600_NS6detail15normal_iteratorINSA_10device_ptrItEEEEPS6_SG_NS0_5tupleIJSF_S6_EEENSH_IJSG_SG_EEES6_PlJNSB_9not_fun_tINSB_10functional5actorINSM_9compositeIJNSM_27transparent_binary_operatorINSA_8equal_toIvEEEENSN_INSM_8argumentILj0EEEEENSM_5valueItEEEEEEEEEEEE10hipError_tPvRmT3_T4_T5_T6_T7_T9_mT8_P12ihipStream_tbDpT10_ENKUlT_T0_E_clISt17integral_constantIbLb0EES1J_IbLb1EEEEDaS1F_S1G_EUlS1F_E_NS1_11comp_targetILNS1_3genE9ELNS1_11target_archE1100ELNS1_3gpuE3ELNS1_3repE0EEENS1_30default_config_static_selectorELNS0_4arch9wavefront6targetE0EEEvT1_.has_dyn_sized_stack, 0
	.set _ZN7rocprim17ROCPRIM_400000_NS6detail17trampoline_kernelINS0_14default_configENS1_25partition_config_selectorILNS1_17partition_subalgoE6EtNS0_10empty_typeEbEEZZNS1_14partition_implILS5_6ELb0ES3_mN6thrust23THRUST_200600_302600_NS6detail15normal_iteratorINSA_10device_ptrItEEEEPS6_SG_NS0_5tupleIJSF_S6_EEENSH_IJSG_SG_EEES6_PlJNSB_9not_fun_tINSB_10functional5actorINSM_9compositeIJNSM_27transparent_binary_operatorINSA_8equal_toIvEEEENSN_INSM_8argumentILj0EEEEENSM_5valueItEEEEEEEEEEEE10hipError_tPvRmT3_T4_T5_T6_T7_T9_mT8_P12ihipStream_tbDpT10_ENKUlT_T0_E_clISt17integral_constantIbLb0EES1J_IbLb1EEEEDaS1F_S1G_EUlS1F_E_NS1_11comp_targetILNS1_3genE9ELNS1_11target_archE1100ELNS1_3gpuE3ELNS1_3repE0EEENS1_30default_config_static_selectorELNS0_4arch9wavefront6targetE0EEEvT1_.has_recursion, 0
	.set _ZN7rocprim17ROCPRIM_400000_NS6detail17trampoline_kernelINS0_14default_configENS1_25partition_config_selectorILNS1_17partition_subalgoE6EtNS0_10empty_typeEbEEZZNS1_14partition_implILS5_6ELb0ES3_mN6thrust23THRUST_200600_302600_NS6detail15normal_iteratorINSA_10device_ptrItEEEEPS6_SG_NS0_5tupleIJSF_S6_EEENSH_IJSG_SG_EEES6_PlJNSB_9not_fun_tINSB_10functional5actorINSM_9compositeIJNSM_27transparent_binary_operatorINSA_8equal_toIvEEEENSN_INSM_8argumentILj0EEEEENSM_5valueItEEEEEEEEEEEE10hipError_tPvRmT3_T4_T5_T6_T7_T9_mT8_P12ihipStream_tbDpT10_ENKUlT_T0_E_clISt17integral_constantIbLb0EES1J_IbLb1EEEEDaS1F_S1G_EUlS1F_E_NS1_11comp_targetILNS1_3genE9ELNS1_11target_archE1100ELNS1_3gpuE3ELNS1_3repE0EEENS1_30default_config_static_selectorELNS0_4arch9wavefront6targetE0EEEvT1_.has_indirect_call, 0
	.section	.AMDGPU.csdata,"",@progbits
; Kernel info:
; codeLenInByte = 0
; TotalNumSgprs: 0
; NumVgprs: 0
; ScratchSize: 0
; MemoryBound: 0
; FloatMode: 240
; IeeeMode: 1
; LDSByteSize: 0 bytes/workgroup (compile time only)
; SGPRBlocks: 0
; VGPRBlocks: 0
; NumSGPRsForWavesPerEU: 1
; NumVGPRsForWavesPerEU: 1
; Occupancy: 16
; WaveLimiterHint : 0
; COMPUTE_PGM_RSRC2:SCRATCH_EN: 0
; COMPUTE_PGM_RSRC2:USER_SGPR: 2
; COMPUTE_PGM_RSRC2:TRAP_HANDLER: 0
; COMPUTE_PGM_RSRC2:TGID_X_EN: 1
; COMPUTE_PGM_RSRC2:TGID_Y_EN: 0
; COMPUTE_PGM_RSRC2:TGID_Z_EN: 0
; COMPUTE_PGM_RSRC2:TIDIG_COMP_CNT: 0
	.section	.text._ZN7rocprim17ROCPRIM_400000_NS6detail17trampoline_kernelINS0_14default_configENS1_25partition_config_selectorILNS1_17partition_subalgoE6EtNS0_10empty_typeEbEEZZNS1_14partition_implILS5_6ELb0ES3_mN6thrust23THRUST_200600_302600_NS6detail15normal_iteratorINSA_10device_ptrItEEEEPS6_SG_NS0_5tupleIJSF_S6_EEENSH_IJSG_SG_EEES6_PlJNSB_9not_fun_tINSB_10functional5actorINSM_9compositeIJNSM_27transparent_binary_operatorINSA_8equal_toIvEEEENSN_INSM_8argumentILj0EEEEENSM_5valueItEEEEEEEEEEEE10hipError_tPvRmT3_T4_T5_T6_T7_T9_mT8_P12ihipStream_tbDpT10_ENKUlT_T0_E_clISt17integral_constantIbLb0EES1J_IbLb1EEEEDaS1F_S1G_EUlS1F_E_NS1_11comp_targetILNS1_3genE8ELNS1_11target_archE1030ELNS1_3gpuE2ELNS1_3repE0EEENS1_30default_config_static_selectorELNS0_4arch9wavefront6targetE0EEEvT1_,"axG",@progbits,_ZN7rocprim17ROCPRIM_400000_NS6detail17trampoline_kernelINS0_14default_configENS1_25partition_config_selectorILNS1_17partition_subalgoE6EtNS0_10empty_typeEbEEZZNS1_14partition_implILS5_6ELb0ES3_mN6thrust23THRUST_200600_302600_NS6detail15normal_iteratorINSA_10device_ptrItEEEEPS6_SG_NS0_5tupleIJSF_S6_EEENSH_IJSG_SG_EEES6_PlJNSB_9not_fun_tINSB_10functional5actorINSM_9compositeIJNSM_27transparent_binary_operatorINSA_8equal_toIvEEEENSN_INSM_8argumentILj0EEEEENSM_5valueItEEEEEEEEEEEE10hipError_tPvRmT3_T4_T5_T6_T7_T9_mT8_P12ihipStream_tbDpT10_ENKUlT_T0_E_clISt17integral_constantIbLb0EES1J_IbLb1EEEEDaS1F_S1G_EUlS1F_E_NS1_11comp_targetILNS1_3genE8ELNS1_11target_archE1030ELNS1_3gpuE2ELNS1_3repE0EEENS1_30default_config_static_selectorELNS0_4arch9wavefront6targetE0EEEvT1_,comdat
	.protected	_ZN7rocprim17ROCPRIM_400000_NS6detail17trampoline_kernelINS0_14default_configENS1_25partition_config_selectorILNS1_17partition_subalgoE6EtNS0_10empty_typeEbEEZZNS1_14partition_implILS5_6ELb0ES3_mN6thrust23THRUST_200600_302600_NS6detail15normal_iteratorINSA_10device_ptrItEEEEPS6_SG_NS0_5tupleIJSF_S6_EEENSH_IJSG_SG_EEES6_PlJNSB_9not_fun_tINSB_10functional5actorINSM_9compositeIJNSM_27transparent_binary_operatorINSA_8equal_toIvEEEENSN_INSM_8argumentILj0EEEEENSM_5valueItEEEEEEEEEEEE10hipError_tPvRmT3_T4_T5_T6_T7_T9_mT8_P12ihipStream_tbDpT10_ENKUlT_T0_E_clISt17integral_constantIbLb0EES1J_IbLb1EEEEDaS1F_S1G_EUlS1F_E_NS1_11comp_targetILNS1_3genE8ELNS1_11target_archE1030ELNS1_3gpuE2ELNS1_3repE0EEENS1_30default_config_static_selectorELNS0_4arch9wavefront6targetE0EEEvT1_ ; -- Begin function _ZN7rocprim17ROCPRIM_400000_NS6detail17trampoline_kernelINS0_14default_configENS1_25partition_config_selectorILNS1_17partition_subalgoE6EtNS0_10empty_typeEbEEZZNS1_14partition_implILS5_6ELb0ES3_mN6thrust23THRUST_200600_302600_NS6detail15normal_iteratorINSA_10device_ptrItEEEEPS6_SG_NS0_5tupleIJSF_S6_EEENSH_IJSG_SG_EEES6_PlJNSB_9not_fun_tINSB_10functional5actorINSM_9compositeIJNSM_27transparent_binary_operatorINSA_8equal_toIvEEEENSN_INSM_8argumentILj0EEEEENSM_5valueItEEEEEEEEEEEE10hipError_tPvRmT3_T4_T5_T6_T7_T9_mT8_P12ihipStream_tbDpT10_ENKUlT_T0_E_clISt17integral_constantIbLb0EES1J_IbLb1EEEEDaS1F_S1G_EUlS1F_E_NS1_11comp_targetILNS1_3genE8ELNS1_11target_archE1030ELNS1_3gpuE2ELNS1_3repE0EEENS1_30default_config_static_selectorELNS0_4arch9wavefront6targetE0EEEvT1_
	.globl	_ZN7rocprim17ROCPRIM_400000_NS6detail17trampoline_kernelINS0_14default_configENS1_25partition_config_selectorILNS1_17partition_subalgoE6EtNS0_10empty_typeEbEEZZNS1_14partition_implILS5_6ELb0ES3_mN6thrust23THRUST_200600_302600_NS6detail15normal_iteratorINSA_10device_ptrItEEEEPS6_SG_NS0_5tupleIJSF_S6_EEENSH_IJSG_SG_EEES6_PlJNSB_9not_fun_tINSB_10functional5actorINSM_9compositeIJNSM_27transparent_binary_operatorINSA_8equal_toIvEEEENSN_INSM_8argumentILj0EEEEENSM_5valueItEEEEEEEEEEEE10hipError_tPvRmT3_T4_T5_T6_T7_T9_mT8_P12ihipStream_tbDpT10_ENKUlT_T0_E_clISt17integral_constantIbLb0EES1J_IbLb1EEEEDaS1F_S1G_EUlS1F_E_NS1_11comp_targetILNS1_3genE8ELNS1_11target_archE1030ELNS1_3gpuE2ELNS1_3repE0EEENS1_30default_config_static_selectorELNS0_4arch9wavefront6targetE0EEEvT1_
	.p2align	8
	.type	_ZN7rocprim17ROCPRIM_400000_NS6detail17trampoline_kernelINS0_14default_configENS1_25partition_config_selectorILNS1_17partition_subalgoE6EtNS0_10empty_typeEbEEZZNS1_14partition_implILS5_6ELb0ES3_mN6thrust23THRUST_200600_302600_NS6detail15normal_iteratorINSA_10device_ptrItEEEEPS6_SG_NS0_5tupleIJSF_S6_EEENSH_IJSG_SG_EEES6_PlJNSB_9not_fun_tINSB_10functional5actorINSM_9compositeIJNSM_27transparent_binary_operatorINSA_8equal_toIvEEEENSN_INSM_8argumentILj0EEEEENSM_5valueItEEEEEEEEEEEE10hipError_tPvRmT3_T4_T5_T6_T7_T9_mT8_P12ihipStream_tbDpT10_ENKUlT_T0_E_clISt17integral_constantIbLb0EES1J_IbLb1EEEEDaS1F_S1G_EUlS1F_E_NS1_11comp_targetILNS1_3genE8ELNS1_11target_archE1030ELNS1_3gpuE2ELNS1_3repE0EEENS1_30default_config_static_selectorELNS0_4arch9wavefront6targetE0EEEvT1_,@function
_ZN7rocprim17ROCPRIM_400000_NS6detail17trampoline_kernelINS0_14default_configENS1_25partition_config_selectorILNS1_17partition_subalgoE6EtNS0_10empty_typeEbEEZZNS1_14partition_implILS5_6ELb0ES3_mN6thrust23THRUST_200600_302600_NS6detail15normal_iteratorINSA_10device_ptrItEEEEPS6_SG_NS0_5tupleIJSF_S6_EEENSH_IJSG_SG_EEES6_PlJNSB_9not_fun_tINSB_10functional5actorINSM_9compositeIJNSM_27transparent_binary_operatorINSA_8equal_toIvEEEENSN_INSM_8argumentILj0EEEEENSM_5valueItEEEEEEEEEEEE10hipError_tPvRmT3_T4_T5_T6_T7_T9_mT8_P12ihipStream_tbDpT10_ENKUlT_T0_E_clISt17integral_constantIbLb0EES1J_IbLb1EEEEDaS1F_S1G_EUlS1F_E_NS1_11comp_targetILNS1_3genE8ELNS1_11target_archE1030ELNS1_3gpuE2ELNS1_3repE0EEENS1_30default_config_static_selectorELNS0_4arch9wavefront6targetE0EEEvT1_: ; @_ZN7rocprim17ROCPRIM_400000_NS6detail17trampoline_kernelINS0_14default_configENS1_25partition_config_selectorILNS1_17partition_subalgoE6EtNS0_10empty_typeEbEEZZNS1_14partition_implILS5_6ELb0ES3_mN6thrust23THRUST_200600_302600_NS6detail15normal_iteratorINSA_10device_ptrItEEEEPS6_SG_NS0_5tupleIJSF_S6_EEENSH_IJSG_SG_EEES6_PlJNSB_9not_fun_tINSB_10functional5actorINSM_9compositeIJNSM_27transparent_binary_operatorINSA_8equal_toIvEEEENSN_INSM_8argumentILj0EEEEENSM_5valueItEEEEEEEEEEEE10hipError_tPvRmT3_T4_T5_T6_T7_T9_mT8_P12ihipStream_tbDpT10_ENKUlT_T0_E_clISt17integral_constantIbLb0EES1J_IbLb1EEEEDaS1F_S1G_EUlS1F_E_NS1_11comp_targetILNS1_3genE8ELNS1_11target_archE1030ELNS1_3gpuE2ELNS1_3repE0EEENS1_30default_config_static_selectorELNS0_4arch9wavefront6targetE0EEEvT1_
; %bb.0:
	.section	.rodata,"a",@progbits
	.p2align	6, 0x0
	.amdhsa_kernel _ZN7rocprim17ROCPRIM_400000_NS6detail17trampoline_kernelINS0_14default_configENS1_25partition_config_selectorILNS1_17partition_subalgoE6EtNS0_10empty_typeEbEEZZNS1_14partition_implILS5_6ELb0ES3_mN6thrust23THRUST_200600_302600_NS6detail15normal_iteratorINSA_10device_ptrItEEEEPS6_SG_NS0_5tupleIJSF_S6_EEENSH_IJSG_SG_EEES6_PlJNSB_9not_fun_tINSB_10functional5actorINSM_9compositeIJNSM_27transparent_binary_operatorINSA_8equal_toIvEEEENSN_INSM_8argumentILj0EEEEENSM_5valueItEEEEEEEEEEEE10hipError_tPvRmT3_T4_T5_T6_T7_T9_mT8_P12ihipStream_tbDpT10_ENKUlT_T0_E_clISt17integral_constantIbLb0EES1J_IbLb1EEEEDaS1F_S1G_EUlS1F_E_NS1_11comp_targetILNS1_3genE8ELNS1_11target_archE1030ELNS1_3gpuE2ELNS1_3repE0EEENS1_30default_config_static_selectorELNS0_4arch9wavefront6targetE0EEEvT1_
		.amdhsa_group_segment_fixed_size 0
		.amdhsa_private_segment_fixed_size 0
		.amdhsa_kernarg_size 128
		.amdhsa_user_sgpr_count 2
		.amdhsa_user_sgpr_dispatch_ptr 0
		.amdhsa_user_sgpr_queue_ptr 0
		.amdhsa_user_sgpr_kernarg_segment_ptr 1
		.amdhsa_user_sgpr_dispatch_id 0
		.amdhsa_user_sgpr_private_segment_size 0
		.amdhsa_wavefront_size32 1
		.amdhsa_uses_dynamic_stack 0
		.amdhsa_enable_private_segment 0
		.amdhsa_system_sgpr_workgroup_id_x 1
		.amdhsa_system_sgpr_workgroup_id_y 0
		.amdhsa_system_sgpr_workgroup_id_z 0
		.amdhsa_system_sgpr_workgroup_info 0
		.amdhsa_system_vgpr_workitem_id 0
		.amdhsa_next_free_vgpr 1
		.amdhsa_next_free_sgpr 1
		.amdhsa_reserve_vcc 0
		.amdhsa_float_round_mode_32 0
		.amdhsa_float_round_mode_16_64 0
		.amdhsa_float_denorm_mode_32 3
		.amdhsa_float_denorm_mode_16_64 3
		.amdhsa_fp16_overflow 0
		.amdhsa_workgroup_processor_mode 1
		.amdhsa_memory_ordered 1
		.amdhsa_forward_progress 1
		.amdhsa_inst_pref_size 0
		.amdhsa_round_robin_scheduling 0
		.amdhsa_exception_fp_ieee_invalid_op 0
		.amdhsa_exception_fp_denorm_src 0
		.amdhsa_exception_fp_ieee_div_zero 0
		.amdhsa_exception_fp_ieee_overflow 0
		.amdhsa_exception_fp_ieee_underflow 0
		.amdhsa_exception_fp_ieee_inexact 0
		.amdhsa_exception_int_div_zero 0
	.end_amdhsa_kernel
	.section	.text._ZN7rocprim17ROCPRIM_400000_NS6detail17trampoline_kernelINS0_14default_configENS1_25partition_config_selectorILNS1_17partition_subalgoE6EtNS0_10empty_typeEbEEZZNS1_14partition_implILS5_6ELb0ES3_mN6thrust23THRUST_200600_302600_NS6detail15normal_iteratorINSA_10device_ptrItEEEEPS6_SG_NS0_5tupleIJSF_S6_EEENSH_IJSG_SG_EEES6_PlJNSB_9not_fun_tINSB_10functional5actorINSM_9compositeIJNSM_27transparent_binary_operatorINSA_8equal_toIvEEEENSN_INSM_8argumentILj0EEEEENSM_5valueItEEEEEEEEEEEE10hipError_tPvRmT3_T4_T5_T6_T7_T9_mT8_P12ihipStream_tbDpT10_ENKUlT_T0_E_clISt17integral_constantIbLb0EES1J_IbLb1EEEEDaS1F_S1G_EUlS1F_E_NS1_11comp_targetILNS1_3genE8ELNS1_11target_archE1030ELNS1_3gpuE2ELNS1_3repE0EEENS1_30default_config_static_selectorELNS0_4arch9wavefront6targetE0EEEvT1_,"axG",@progbits,_ZN7rocprim17ROCPRIM_400000_NS6detail17trampoline_kernelINS0_14default_configENS1_25partition_config_selectorILNS1_17partition_subalgoE6EtNS0_10empty_typeEbEEZZNS1_14partition_implILS5_6ELb0ES3_mN6thrust23THRUST_200600_302600_NS6detail15normal_iteratorINSA_10device_ptrItEEEEPS6_SG_NS0_5tupleIJSF_S6_EEENSH_IJSG_SG_EEES6_PlJNSB_9not_fun_tINSB_10functional5actorINSM_9compositeIJNSM_27transparent_binary_operatorINSA_8equal_toIvEEEENSN_INSM_8argumentILj0EEEEENSM_5valueItEEEEEEEEEEEE10hipError_tPvRmT3_T4_T5_T6_T7_T9_mT8_P12ihipStream_tbDpT10_ENKUlT_T0_E_clISt17integral_constantIbLb0EES1J_IbLb1EEEEDaS1F_S1G_EUlS1F_E_NS1_11comp_targetILNS1_3genE8ELNS1_11target_archE1030ELNS1_3gpuE2ELNS1_3repE0EEENS1_30default_config_static_selectorELNS0_4arch9wavefront6targetE0EEEvT1_,comdat
.Lfunc_end177:
	.size	_ZN7rocprim17ROCPRIM_400000_NS6detail17trampoline_kernelINS0_14default_configENS1_25partition_config_selectorILNS1_17partition_subalgoE6EtNS0_10empty_typeEbEEZZNS1_14partition_implILS5_6ELb0ES3_mN6thrust23THRUST_200600_302600_NS6detail15normal_iteratorINSA_10device_ptrItEEEEPS6_SG_NS0_5tupleIJSF_S6_EEENSH_IJSG_SG_EEES6_PlJNSB_9not_fun_tINSB_10functional5actorINSM_9compositeIJNSM_27transparent_binary_operatorINSA_8equal_toIvEEEENSN_INSM_8argumentILj0EEEEENSM_5valueItEEEEEEEEEEEE10hipError_tPvRmT3_T4_T5_T6_T7_T9_mT8_P12ihipStream_tbDpT10_ENKUlT_T0_E_clISt17integral_constantIbLb0EES1J_IbLb1EEEEDaS1F_S1G_EUlS1F_E_NS1_11comp_targetILNS1_3genE8ELNS1_11target_archE1030ELNS1_3gpuE2ELNS1_3repE0EEENS1_30default_config_static_selectorELNS0_4arch9wavefront6targetE0EEEvT1_, .Lfunc_end177-_ZN7rocprim17ROCPRIM_400000_NS6detail17trampoline_kernelINS0_14default_configENS1_25partition_config_selectorILNS1_17partition_subalgoE6EtNS0_10empty_typeEbEEZZNS1_14partition_implILS5_6ELb0ES3_mN6thrust23THRUST_200600_302600_NS6detail15normal_iteratorINSA_10device_ptrItEEEEPS6_SG_NS0_5tupleIJSF_S6_EEENSH_IJSG_SG_EEES6_PlJNSB_9not_fun_tINSB_10functional5actorINSM_9compositeIJNSM_27transparent_binary_operatorINSA_8equal_toIvEEEENSN_INSM_8argumentILj0EEEEENSM_5valueItEEEEEEEEEEEE10hipError_tPvRmT3_T4_T5_T6_T7_T9_mT8_P12ihipStream_tbDpT10_ENKUlT_T0_E_clISt17integral_constantIbLb0EES1J_IbLb1EEEEDaS1F_S1G_EUlS1F_E_NS1_11comp_targetILNS1_3genE8ELNS1_11target_archE1030ELNS1_3gpuE2ELNS1_3repE0EEENS1_30default_config_static_selectorELNS0_4arch9wavefront6targetE0EEEvT1_
                                        ; -- End function
	.set _ZN7rocprim17ROCPRIM_400000_NS6detail17trampoline_kernelINS0_14default_configENS1_25partition_config_selectorILNS1_17partition_subalgoE6EtNS0_10empty_typeEbEEZZNS1_14partition_implILS5_6ELb0ES3_mN6thrust23THRUST_200600_302600_NS6detail15normal_iteratorINSA_10device_ptrItEEEEPS6_SG_NS0_5tupleIJSF_S6_EEENSH_IJSG_SG_EEES6_PlJNSB_9not_fun_tINSB_10functional5actorINSM_9compositeIJNSM_27transparent_binary_operatorINSA_8equal_toIvEEEENSN_INSM_8argumentILj0EEEEENSM_5valueItEEEEEEEEEEEE10hipError_tPvRmT3_T4_T5_T6_T7_T9_mT8_P12ihipStream_tbDpT10_ENKUlT_T0_E_clISt17integral_constantIbLb0EES1J_IbLb1EEEEDaS1F_S1G_EUlS1F_E_NS1_11comp_targetILNS1_3genE8ELNS1_11target_archE1030ELNS1_3gpuE2ELNS1_3repE0EEENS1_30default_config_static_selectorELNS0_4arch9wavefront6targetE0EEEvT1_.num_vgpr, 0
	.set _ZN7rocprim17ROCPRIM_400000_NS6detail17trampoline_kernelINS0_14default_configENS1_25partition_config_selectorILNS1_17partition_subalgoE6EtNS0_10empty_typeEbEEZZNS1_14partition_implILS5_6ELb0ES3_mN6thrust23THRUST_200600_302600_NS6detail15normal_iteratorINSA_10device_ptrItEEEEPS6_SG_NS0_5tupleIJSF_S6_EEENSH_IJSG_SG_EEES6_PlJNSB_9not_fun_tINSB_10functional5actorINSM_9compositeIJNSM_27transparent_binary_operatorINSA_8equal_toIvEEEENSN_INSM_8argumentILj0EEEEENSM_5valueItEEEEEEEEEEEE10hipError_tPvRmT3_T4_T5_T6_T7_T9_mT8_P12ihipStream_tbDpT10_ENKUlT_T0_E_clISt17integral_constantIbLb0EES1J_IbLb1EEEEDaS1F_S1G_EUlS1F_E_NS1_11comp_targetILNS1_3genE8ELNS1_11target_archE1030ELNS1_3gpuE2ELNS1_3repE0EEENS1_30default_config_static_selectorELNS0_4arch9wavefront6targetE0EEEvT1_.num_agpr, 0
	.set _ZN7rocprim17ROCPRIM_400000_NS6detail17trampoline_kernelINS0_14default_configENS1_25partition_config_selectorILNS1_17partition_subalgoE6EtNS0_10empty_typeEbEEZZNS1_14partition_implILS5_6ELb0ES3_mN6thrust23THRUST_200600_302600_NS6detail15normal_iteratorINSA_10device_ptrItEEEEPS6_SG_NS0_5tupleIJSF_S6_EEENSH_IJSG_SG_EEES6_PlJNSB_9not_fun_tINSB_10functional5actorINSM_9compositeIJNSM_27transparent_binary_operatorINSA_8equal_toIvEEEENSN_INSM_8argumentILj0EEEEENSM_5valueItEEEEEEEEEEEE10hipError_tPvRmT3_T4_T5_T6_T7_T9_mT8_P12ihipStream_tbDpT10_ENKUlT_T0_E_clISt17integral_constantIbLb0EES1J_IbLb1EEEEDaS1F_S1G_EUlS1F_E_NS1_11comp_targetILNS1_3genE8ELNS1_11target_archE1030ELNS1_3gpuE2ELNS1_3repE0EEENS1_30default_config_static_selectorELNS0_4arch9wavefront6targetE0EEEvT1_.numbered_sgpr, 0
	.set _ZN7rocprim17ROCPRIM_400000_NS6detail17trampoline_kernelINS0_14default_configENS1_25partition_config_selectorILNS1_17partition_subalgoE6EtNS0_10empty_typeEbEEZZNS1_14partition_implILS5_6ELb0ES3_mN6thrust23THRUST_200600_302600_NS6detail15normal_iteratorINSA_10device_ptrItEEEEPS6_SG_NS0_5tupleIJSF_S6_EEENSH_IJSG_SG_EEES6_PlJNSB_9not_fun_tINSB_10functional5actorINSM_9compositeIJNSM_27transparent_binary_operatorINSA_8equal_toIvEEEENSN_INSM_8argumentILj0EEEEENSM_5valueItEEEEEEEEEEEE10hipError_tPvRmT3_T4_T5_T6_T7_T9_mT8_P12ihipStream_tbDpT10_ENKUlT_T0_E_clISt17integral_constantIbLb0EES1J_IbLb1EEEEDaS1F_S1G_EUlS1F_E_NS1_11comp_targetILNS1_3genE8ELNS1_11target_archE1030ELNS1_3gpuE2ELNS1_3repE0EEENS1_30default_config_static_selectorELNS0_4arch9wavefront6targetE0EEEvT1_.num_named_barrier, 0
	.set _ZN7rocprim17ROCPRIM_400000_NS6detail17trampoline_kernelINS0_14default_configENS1_25partition_config_selectorILNS1_17partition_subalgoE6EtNS0_10empty_typeEbEEZZNS1_14partition_implILS5_6ELb0ES3_mN6thrust23THRUST_200600_302600_NS6detail15normal_iteratorINSA_10device_ptrItEEEEPS6_SG_NS0_5tupleIJSF_S6_EEENSH_IJSG_SG_EEES6_PlJNSB_9not_fun_tINSB_10functional5actorINSM_9compositeIJNSM_27transparent_binary_operatorINSA_8equal_toIvEEEENSN_INSM_8argumentILj0EEEEENSM_5valueItEEEEEEEEEEEE10hipError_tPvRmT3_T4_T5_T6_T7_T9_mT8_P12ihipStream_tbDpT10_ENKUlT_T0_E_clISt17integral_constantIbLb0EES1J_IbLb1EEEEDaS1F_S1G_EUlS1F_E_NS1_11comp_targetILNS1_3genE8ELNS1_11target_archE1030ELNS1_3gpuE2ELNS1_3repE0EEENS1_30default_config_static_selectorELNS0_4arch9wavefront6targetE0EEEvT1_.private_seg_size, 0
	.set _ZN7rocprim17ROCPRIM_400000_NS6detail17trampoline_kernelINS0_14default_configENS1_25partition_config_selectorILNS1_17partition_subalgoE6EtNS0_10empty_typeEbEEZZNS1_14partition_implILS5_6ELb0ES3_mN6thrust23THRUST_200600_302600_NS6detail15normal_iteratorINSA_10device_ptrItEEEEPS6_SG_NS0_5tupleIJSF_S6_EEENSH_IJSG_SG_EEES6_PlJNSB_9not_fun_tINSB_10functional5actorINSM_9compositeIJNSM_27transparent_binary_operatorINSA_8equal_toIvEEEENSN_INSM_8argumentILj0EEEEENSM_5valueItEEEEEEEEEEEE10hipError_tPvRmT3_T4_T5_T6_T7_T9_mT8_P12ihipStream_tbDpT10_ENKUlT_T0_E_clISt17integral_constantIbLb0EES1J_IbLb1EEEEDaS1F_S1G_EUlS1F_E_NS1_11comp_targetILNS1_3genE8ELNS1_11target_archE1030ELNS1_3gpuE2ELNS1_3repE0EEENS1_30default_config_static_selectorELNS0_4arch9wavefront6targetE0EEEvT1_.uses_vcc, 0
	.set _ZN7rocprim17ROCPRIM_400000_NS6detail17trampoline_kernelINS0_14default_configENS1_25partition_config_selectorILNS1_17partition_subalgoE6EtNS0_10empty_typeEbEEZZNS1_14partition_implILS5_6ELb0ES3_mN6thrust23THRUST_200600_302600_NS6detail15normal_iteratorINSA_10device_ptrItEEEEPS6_SG_NS0_5tupleIJSF_S6_EEENSH_IJSG_SG_EEES6_PlJNSB_9not_fun_tINSB_10functional5actorINSM_9compositeIJNSM_27transparent_binary_operatorINSA_8equal_toIvEEEENSN_INSM_8argumentILj0EEEEENSM_5valueItEEEEEEEEEEEE10hipError_tPvRmT3_T4_T5_T6_T7_T9_mT8_P12ihipStream_tbDpT10_ENKUlT_T0_E_clISt17integral_constantIbLb0EES1J_IbLb1EEEEDaS1F_S1G_EUlS1F_E_NS1_11comp_targetILNS1_3genE8ELNS1_11target_archE1030ELNS1_3gpuE2ELNS1_3repE0EEENS1_30default_config_static_selectorELNS0_4arch9wavefront6targetE0EEEvT1_.uses_flat_scratch, 0
	.set _ZN7rocprim17ROCPRIM_400000_NS6detail17trampoline_kernelINS0_14default_configENS1_25partition_config_selectorILNS1_17partition_subalgoE6EtNS0_10empty_typeEbEEZZNS1_14partition_implILS5_6ELb0ES3_mN6thrust23THRUST_200600_302600_NS6detail15normal_iteratorINSA_10device_ptrItEEEEPS6_SG_NS0_5tupleIJSF_S6_EEENSH_IJSG_SG_EEES6_PlJNSB_9not_fun_tINSB_10functional5actorINSM_9compositeIJNSM_27transparent_binary_operatorINSA_8equal_toIvEEEENSN_INSM_8argumentILj0EEEEENSM_5valueItEEEEEEEEEEEE10hipError_tPvRmT3_T4_T5_T6_T7_T9_mT8_P12ihipStream_tbDpT10_ENKUlT_T0_E_clISt17integral_constantIbLb0EES1J_IbLb1EEEEDaS1F_S1G_EUlS1F_E_NS1_11comp_targetILNS1_3genE8ELNS1_11target_archE1030ELNS1_3gpuE2ELNS1_3repE0EEENS1_30default_config_static_selectorELNS0_4arch9wavefront6targetE0EEEvT1_.has_dyn_sized_stack, 0
	.set _ZN7rocprim17ROCPRIM_400000_NS6detail17trampoline_kernelINS0_14default_configENS1_25partition_config_selectorILNS1_17partition_subalgoE6EtNS0_10empty_typeEbEEZZNS1_14partition_implILS5_6ELb0ES3_mN6thrust23THRUST_200600_302600_NS6detail15normal_iteratorINSA_10device_ptrItEEEEPS6_SG_NS0_5tupleIJSF_S6_EEENSH_IJSG_SG_EEES6_PlJNSB_9not_fun_tINSB_10functional5actorINSM_9compositeIJNSM_27transparent_binary_operatorINSA_8equal_toIvEEEENSN_INSM_8argumentILj0EEEEENSM_5valueItEEEEEEEEEEEE10hipError_tPvRmT3_T4_T5_T6_T7_T9_mT8_P12ihipStream_tbDpT10_ENKUlT_T0_E_clISt17integral_constantIbLb0EES1J_IbLb1EEEEDaS1F_S1G_EUlS1F_E_NS1_11comp_targetILNS1_3genE8ELNS1_11target_archE1030ELNS1_3gpuE2ELNS1_3repE0EEENS1_30default_config_static_selectorELNS0_4arch9wavefront6targetE0EEEvT1_.has_recursion, 0
	.set _ZN7rocprim17ROCPRIM_400000_NS6detail17trampoline_kernelINS0_14default_configENS1_25partition_config_selectorILNS1_17partition_subalgoE6EtNS0_10empty_typeEbEEZZNS1_14partition_implILS5_6ELb0ES3_mN6thrust23THRUST_200600_302600_NS6detail15normal_iteratorINSA_10device_ptrItEEEEPS6_SG_NS0_5tupleIJSF_S6_EEENSH_IJSG_SG_EEES6_PlJNSB_9not_fun_tINSB_10functional5actorINSM_9compositeIJNSM_27transparent_binary_operatorINSA_8equal_toIvEEEENSN_INSM_8argumentILj0EEEEENSM_5valueItEEEEEEEEEEEE10hipError_tPvRmT3_T4_T5_T6_T7_T9_mT8_P12ihipStream_tbDpT10_ENKUlT_T0_E_clISt17integral_constantIbLb0EES1J_IbLb1EEEEDaS1F_S1G_EUlS1F_E_NS1_11comp_targetILNS1_3genE8ELNS1_11target_archE1030ELNS1_3gpuE2ELNS1_3repE0EEENS1_30default_config_static_selectorELNS0_4arch9wavefront6targetE0EEEvT1_.has_indirect_call, 0
	.section	.AMDGPU.csdata,"",@progbits
; Kernel info:
; codeLenInByte = 0
; TotalNumSgprs: 0
; NumVgprs: 0
; ScratchSize: 0
; MemoryBound: 0
; FloatMode: 240
; IeeeMode: 1
; LDSByteSize: 0 bytes/workgroup (compile time only)
; SGPRBlocks: 0
; VGPRBlocks: 0
; NumSGPRsForWavesPerEU: 1
; NumVGPRsForWavesPerEU: 1
; Occupancy: 16
; WaveLimiterHint : 0
; COMPUTE_PGM_RSRC2:SCRATCH_EN: 0
; COMPUTE_PGM_RSRC2:USER_SGPR: 2
; COMPUTE_PGM_RSRC2:TRAP_HANDLER: 0
; COMPUTE_PGM_RSRC2:TGID_X_EN: 1
; COMPUTE_PGM_RSRC2:TGID_Y_EN: 0
; COMPUTE_PGM_RSRC2:TGID_Z_EN: 0
; COMPUTE_PGM_RSRC2:TIDIG_COMP_CNT: 0
	.section	.text._ZN6thrust23THRUST_200600_302600_NS11hip_rocprim14__parallel_for6kernelILj256ENS1_20__uninitialized_fill7functorINS0_10device_ptrIxEExEEmLj1EEEvT0_T1_SA_,"axG",@progbits,_ZN6thrust23THRUST_200600_302600_NS11hip_rocprim14__parallel_for6kernelILj256ENS1_20__uninitialized_fill7functorINS0_10device_ptrIxEExEEmLj1EEEvT0_T1_SA_,comdat
	.protected	_ZN6thrust23THRUST_200600_302600_NS11hip_rocprim14__parallel_for6kernelILj256ENS1_20__uninitialized_fill7functorINS0_10device_ptrIxEExEEmLj1EEEvT0_T1_SA_ ; -- Begin function _ZN6thrust23THRUST_200600_302600_NS11hip_rocprim14__parallel_for6kernelILj256ENS1_20__uninitialized_fill7functorINS0_10device_ptrIxEExEEmLj1EEEvT0_T1_SA_
	.globl	_ZN6thrust23THRUST_200600_302600_NS11hip_rocprim14__parallel_for6kernelILj256ENS1_20__uninitialized_fill7functorINS0_10device_ptrIxEExEEmLj1EEEvT0_T1_SA_
	.p2align	8
	.type	_ZN6thrust23THRUST_200600_302600_NS11hip_rocprim14__parallel_for6kernelILj256ENS1_20__uninitialized_fill7functorINS0_10device_ptrIxEExEEmLj1EEEvT0_T1_SA_,@function
_ZN6thrust23THRUST_200600_302600_NS11hip_rocprim14__parallel_for6kernelILj256ENS1_20__uninitialized_fill7functorINS0_10device_ptrIxEExEEmLj1EEEvT0_T1_SA_: ; @_ZN6thrust23THRUST_200600_302600_NS11hip_rocprim14__parallel_for6kernelILj256ENS1_20__uninitialized_fill7functorINS0_10device_ptrIxEExEEmLj1EEEvT0_T1_SA_
; %bb.0:
	s_load_b256 s[0:7], s[0:1], 0x0
	s_lshl_b32 s8, ttmp9, 8
	s_mov_b32 s9, 0
	s_wait_kmcnt 0x0
	s_add_nc_u64 s[6:7], s[6:7], s[8:9]
	s_delay_alu instid0(SALU_CYCLE_1) | instskip(NEXT) | instid1(SALU_CYCLE_1)
	s_sub_nc_u64 s[4:5], s[4:5], s[6:7]
	v_cmp_lt_u64_e64 s5, 0xff, s[4:5]
	s_and_b32 vcc_lo, exec_lo, s5
	s_mov_b32 s5, -1
	s_cbranch_vccz .LBB178_3
; %bb.1:
	s_wait_alu 0xfffe
	s_and_not1_b32 vcc_lo, exec_lo, s5
	s_cbranch_vccz .LBB178_6
.LBB178_2:
	s_endpgm
.LBB178_3:
	v_cmp_gt_u32_e32 vcc_lo, s4, v0
	s_and_saveexec_b32 s4, vcc_lo
	s_cbranch_execz .LBB178_5
; %bb.4:
	v_dual_mov_b32 v4, s3 :: v_dual_lshlrev_b32 v1, 3, v0
	s_lshl_b64 s[8:9], s[6:7], 3
	v_mov_b32_e32 v3, s2
	s_add_nc_u64 s[8:9], s[0:1], s[8:9]
	s_delay_alu instid0(VALU_DEP_2) | instid1(SALU_CYCLE_1)
	v_add_co_u32 v1, s5, s8, v1
	s_wait_alu 0xf1fe
	v_add_co_ci_u32_e64 v2, null, s9, 0, s5
	flat_store_b64 v[1:2], v[3:4]
.LBB178_5:
	s_wait_alu 0xfffe
	s_or_b32 exec_lo, exec_lo, s4
	s_cbranch_execnz .LBB178_2
.LBB178_6:
	v_lshlrev_b32_e32 v0, 3, v0
	s_lshl_b64 s[4:5], s[6:7], 3
	v_mov_b32_e32 v2, s2
	s_wait_alu 0xfffe
	s_add_nc_u64 s[0:1], s[0:1], s[4:5]
	v_mov_b32_e32 v3, s3
	v_add_co_u32 v0, s0, s0, v0
	s_wait_alu 0xf1ff
	v_add_co_ci_u32_e64 v1, null, s1, 0, s0
	flat_store_b64 v[0:1], v[2:3]
	s_endpgm
	.section	.rodata,"a",@progbits
	.p2align	6, 0x0
	.amdhsa_kernel _ZN6thrust23THRUST_200600_302600_NS11hip_rocprim14__parallel_for6kernelILj256ENS1_20__uninitialized_fill7functorINS0_10device_ptrIxEExEEmLj1EEEvT0_T1_SA_
		.amdhsa_group_segment_fixed_size 0
		.amdhsa_private_segment_fixed_size 0
		.amdhsa_kernarg_size 32
		.amdhsa_user_sgpr_count 2
		.amdhsa_user_sgpr_dispatch_ptr 0
		.amdhsa_user_sgpr_queue_ptr 0
		.amdhsa_user_sgpr_kernarg_segment_ptr 1
		.amdhsa_user_sgpr_dispatch_id 0
		.amdhsa_user_sgpr_private_segment_size 0
		.amdhsa_wavefront_size32 1
		.amdhsa_uses_dynamic_stack 0
		.amdhsa_enable_private_segment 0
		.amdhsa_system_sgpr_workgroup_id_x 1
		.amdhsa_system_sgpr_workgroup_id_y 0
		.amdhsa_system_sgpr_workgroup_id_z 0
		.amdhsa_system_sgpr_workgroup_info 0
		.amdhsa_system_vgpr_workitem_id 0
		.amdhsa_next_free_vgpr 5
		.amdhsa_next_free_sgpr 10
		.amdhsa_reserve_vcc 1
		.amdhsa_float_round_mode_32 0
		.amdhsa_float_round_mode_16_64 0
		.amdhsa_float_denorm_mode_32 3
		.amdhsa_float_denorm_mode_16_64 3
		.amdhsa_fp16_overflow 0
		.amdhsa_workgroup_processor_mode 1
		.amdhsa_memory_ordered 1
		.amdhsa_forward_progress 1
		.amdhsa_inst_pref_size 2
		.amdhsa_round_robin_scheduling 0
		.amdhsa_exception_fp_ieee_invalid_op 0
		.amdhsa_exception_fp_denorm_src 0
		.amdhsa_exception_fp_ieee_div_zero 0
		.amdhsa_exception_fp_ieee_overflow 0
		.amdhsa_exception_fp_ieee_underflow 0
		.amdhsa_exception_fp_ieee_inexact 0
		.amdhsa_exception_int_div_zero 0
	.end_amdhsa_kernel
	.section	.text._ZN6thrust23THRUST_200600_302600_NS11hip_rocprim14__parallel_for6kernelILj256ENS1_20__uninitialized_fill7functorINS0_10device_ptrIxEExEEmLj1EEEvT0_T1_SA_,"axG",@progbits,_ZN6thrust23THRUST_200600_302600_NS11hip_rocprim14__parallel_for6kernelILj256ENS1_20__uninitialized_fill7functorINS0_10device_ptrIxEExEEmLj1EEEvT0_T1_SA_,comdat
.Lfunc_end178:
	.size	_ZN6thrust23THRUST_200600_302600_NS11hip_rocprim14__parallel_for6kernelILj256ENS1_20__uninitialized_fill7functorINS0_10device_ptrIxEExEEmLj1EEEvT0_T1_SA_, .Lfunc_end178-_ZN6thrust23THRUST_200600_302600_NS11hip_rocprim14__parallel_for6kernelILj256ENS1_20__uninitialized_fill7functorINS0_10device_ptrIxEExEEmLj1EEEvT0_T1_SA_
                                        ; -- End function
	.set _ZN6thrust23THRUST_200600_302600_NS11hip_rocprim14__parallel_for6kernelILj256ENS1_20__uninitialized_fill7functorINS0_10device_ptrIxEExEEmLj1EEEvT0_T1_SA_.num_vgpr, 5
	.set _ZN6thrust23THRUST_200600_302600_NS11hip_rocprim14__parallel_for6kernelILj256ENS1_20__uninitialized_fill7functorINS0_10device_ptrIxEExEEmLj1EEEvT0_T1_SA_.num_agpr, 0
	.set _ZN6thrust23THRUST_200600_302600_NS11hip_rocprim14__parallel_for6kernelILj256ENS1_20__uninitialized_fill7functorINS0_10device_ptrIxEExEEmLj1EEEvT0_T1_SA_.numbered_sgpr, 10
	.set _ZN6thrust23THRUST_200600_302600_NS11hip_rocprim14__parallel_for6kernelILj256ENS1_20__uninitialized_fill7functorINS0_10device_ptrIxEExEEmLj1EEEvT0_T1_SA_.num_named_barrier, 0
	.set _ZN6thrust23THRUST_200600_302600_NS11hip_rocprim14__parallel_for6kernelILj256ENS1_20__uninitialized_fill7functorINS0_10device_ptrIxEExEEmLj1EEEvT0_T1_SA_.private_seg_size, 0
	.set _ZN6thrust23THRUST_200600_302600_NS11hip_rocprim14__parallel_for6kernelILj256ENS1_20__uninitialized_fill7functorINS0_10device_ptrIxEExEEmLj1EEEvT0_T1_SA_.uses_vcc, 1
	.set _ZN6thrust23THRUST_200600_302600_NS11hip_rocprim14__parallel_for6kernelILj256ENS1_20__uninitialized_fill7functorINS0_10device_ptrIxEExEEmLj1EEEvT0_T1_SA_.uses_flat_scratch, 0
	.set _ZN6thrust23THRUST_200600_302600_NS11hip_rocprim14__parallel_for6kernelILj256ENS1_20__uninitialized_fill7functorINS0_10device_ptrIxEExEEmLj1EEEvT0_T1_SA_.has_dyn_sized_stack, 0
	.set _ZN6thrust23THRUST_200600_302600_NS11hip_rocprim14__parallel_for6kernelILj256ENS1_20__uninitialized_fill7functorINS0_10device_ptrIxEExEEmLj1EEEvT0_T1_SA_.has_recursion, 0
	.set _ZN6thrust23THRUST_200600_302600_NS11hip_rocprim14__parallel_for6kernelILj256ENS1_20__uninitialized_fill7functorINS0_10device_ptrIxEExEEmLj1EEEvT0_T1_SA_.has_indirect_call, 0
	.section	.AMDGPU.csdata,"",@progbits
; Kernel info:
; codeLenInByte = 212
; TotalNumSgprs: 12
; NumVgprs: 5
; ScratchSize: 0
; MemoryBound: 0
; FloatMode: 240
; IeeeMode: 1
; LDSByteSize: 0 bytes/workgroup (compile time only)
; SGPRBlocks: 0
; VGPRBlocks: 0
; NumSGPRsForWavesPerEU: 12
; NumVGPRsForWavesPerEU: 5
; Occupancy: 16
; WaveLimiterHint : 0
; COMPUTE_PGM_RSRC2:SCRATCH_EN: 0
; COMPUTE_PGM_RSRC2:USER_SGPR: 2
; COMPUTE_PGM_RSRC2:TRAP_HANDLER: 0
; COMPUTE_PGM_RSRC2:TGID_X_EN: 1
; COMPUTE_PGM_RSRC2:TGID_Y_EN: 0
; COMPUTE_PGM_RSRC2:TGID_Z_EN: 0
; COMPUTE_PGM_RSRC2:TIDIG_COMP_CNT: 0
	.section	.text._ZN7rocprim17ROCPRIM_400000_NS6detail17trampoline_kernelINS0_14default_configENS1_25partition_config_selectorILNS1_17partition_subalgoE6ExNS0_10empty_typeEbEEZZNS1_14partition_implILS5_6ELb0ES3_mN6thrust23THRUST_200600_302600_NS6detail15normal_iteratorINSA_10device_ptrIxEEEEPS6_SG_NS0_5tupleIJSF_S6_EEENSH_IJSG_SG_EEES6_PlJNSB_9not_fun_tINSB_10functional5actorINSM_9compositeIJNSM_27transparent_binary_operatorINSA_8equal_toIvEEEENSN_INSM_8argumentILj0EEEEENSM_5valueIxEEEEEEEEEEEE10hipError_tPvRmT3_T4_T5_T6_T7_T9_mT8_P12ihipStream_tbDpT10_ENKUlT_T0_E_clISt17integral_constantIbLb0EES1K_EEDaS1F_S1G_EUlS1F_E_NS1_11comp_targetILNS1_3genE0ELNS1_11target_archE4294967295ELNS1_3gpuE0ELNS1_3repE0EEENS1_30default_config_static_selectorELNS0_4arch9wavefront6targetE0EEEvT1_,"axG",@progbits,_ZN7rocprim17ROCPRIM_400000_NS6detail17trampoline_kernelINS0_14default_configENS1_25partition_config_selectorILNS1_17partition_subalgoE6ExNS0_10empty_typeEbEEZZNS1_14partition_implILS5_6ELb0ES3_mN6thrust23THRUST_200600_302600_NS6detail15normal_iteratorINSA_10device_ptrIxEEEEPS6_SG_NS0_5tupleIJSF_S6_EEENSH_IJSG_SG_EEES6_PlJNSB_9not_fun_tINSB_10functional5actorINSM_9compositeIJNSM_27transparent_binary_operatorINSA_8equal_toIvEEEENSN_INSM_8argumentILj0EEEEENSM_5valueIxEEEEEEEEEEEE10hipError_tPvRmT3_T4_T5_T6_T7_T9_mT8_P12ihipStream_tbDpT10_ENKUlT_T0_E_clISt17integral_constantIbLb0EES1K_EEDaS1F_S1G_EUlS1F_E_NS1_11comp_targetILNS1_3genE0ELNS1_11target_archE4294967295ELNS1_3gpuE0ELNS1_3repE0EEENS1_30default_config_static_selectorELNS0_4arch9wavefront6targetE0EEEvT1_,comdat
	.protected	_ZN7rocprim17ROCPRIM_400000_NS6detail17trampoline_kernelINS0_14default_configENS1_25partition_config_selectorILNS1_17partition_subalgoE6ExNS0_10empty_typeEbEEZZNS1_14partition_implILS5_6ELb0ES3_mN6thrust23THRUST_200600_302600_NS6detail15normal_iteratorINSA_10device_ptrIxEEEEPS6_SG_NS0_5tupleIJSF_S6_EEENSH_IJSG_SG_EEES6_PlJNSB_9not_fun_tINSB_10functional5actorINSM_9compositeIJNSM_27transparent_binary_operatorINSA_8equal_toIvEEEENSN_INSM_8argumentILj0EEEEENSM_5valueIxEEEEEEEEEEEE10hipError_tPvRmT3_T4_T5_T6_T7_T9_mT8_P12ihipStream_tbDpT10_ENKUlT_T0_E_clISt17integral_constantIbLb0EES1K_EEDaS1F_S1G_EUlS1F_E_NS1_11comp_targetILNS1_3genE0ELNS1_11target_archE4294967295ELNS1_3gpuE0ELNS1_3repE0EEENS1_30default_config_static_selectorELNS0_4arch9wavefront6targetE0EEEvT1_ ; -- Begin function _ZN7rocprim17ROCPRIM_400000_NS6detail17trampoline_kernelINS0_14default_configENS1_25partition_config_selectorILNS1_17partition_subalgoE6ExNS0_10empty_typeEbEEZZNS1_14partition_implILS5_6ELb0ES3_mN6thrust23THRUST_200600_302600_NS6detail15normal_iteratorINSA_10device_ptrIxEEEEPS6_SG_NS0_5tupleIJSF_S6_EEENSH_IJSG_SG_EEES6_PlJNSB_9not_fun_tINSB_10functional5actorINSM_9compositeIJNSM_27transparent_binary_operatorINSA_8equal_toIvEEEENSN_INSM_8argumentILj0EEEEENSM_5valueIxEEEEEEEEEEEE10hipError_tPvRmT3_T4_T5_T6_T7_T9_mT8_P12ihipStream_tbDpT10_ENKUlT_T0_E_clISt17integral_constantIbLb0EES1K_EEDaS1F_S1G_EUlS1F_E_NS1_11comp_targetILNS1_3genE0ELNS1_11target_archE4294967295ELNS1_3gpuE0ELNS1_3repE0EEENS1_30default_config_static_selectorELNS0_4arch9wavefront6targetE0EEEvT1_
	.globl	_ZN7rocprim17ROCPRIM_400000_NS6detail17trampoline_kernelINS0_14default_configENS1_25partition_config_selectorILNS1_17partition_subalgoE6ExNS0_10empty_typeEbEEZZNS1_14partition_implILS5_6ELb0ES3_mN6thrust23THRUST_200600_302600_NS6detail15normal_iteratorINSA_10device_ptrIxEEEEPS6_SG_NS0_5tupleIJSF_S6_EEENSH_IJSG_SG_EEES6_PlJNSB_9not_fun_tINSB_10functional5actorINSM_9compositeIJNSM_27transparent_binary_operatorINSA_8equal_toIvEEEENSN_INSM_8argumentILj0EEEEENSM_5valueIxEEEEEEEEEEEE10hipError_tPvRmT3_T4_T5_T6_T7_T9_mT8_P12ihipStream_tbDpT10_ENKUlT_T0_E_clISt17integral_constantIbLb0EES1K_EEDaS1F_S1G_EUlS1F_E_NS1_11comp_targetILNS1_3genE0ELNS1_11target_archE4294967295ELNS1_3gpuE0ELNS1_3repE0EEENS1_30default_config_static_selectorELNS0_4arch9wavefront6targetE0EEEvT1_
	.p2align	8
	.type	_ZN7rocprim17ROCPRIM_400000_NS6detail17trampoline_kernelINS0_14default_configENS1_25partition_config_selectorILNS1_17partition_subalgoE6ExNS0_10empty_typeEbEEZZNS1_14partition_implILS5_6ELb0ES3_mN6thrust23THRUST_200600_302600_NS6detail15normal_iteratorINSA_10device_ptrIxEEEEPS6_SG_NS0_5tupleIJSF_S6_EEENSH_IJSG_SG_EEES6_PlJNSB_9not_fun_tINSB_10functional5actorINSM_9compositeIJNSM_27transparent_binary_operatorINSA_8equal_toIvEEEENSN_INSM_8argumentILj0EEEEENSM_5valueIxEEEEEEEEEEEE10hipError_tPvRmT3_T4_T5_T6_T7_T9_mT8_P12ihipStream_tbDpT10_ENKUlT_T0_E_clISt17integral_constantIbLb0EES1K_EEDaS1F_S1G_EUlS1F_E_NS1_11comp_targetILNS1_3genE0ELNS1_11target_archE4294967295ELNS1_3gpuE0ELNS1_3repE0EEENS1_30default_config_static_selectorELNS0_4arch9wavefront6targetE0EEEvT1_,@function
_ZN7rocprim17ROCPRIM_400000_NS6detail17trampoline_kernelINS0_14default_configENS1_25partition_config_selectorILNS1_17partition_subalgoE6ExNS0_10empty_typeEbEEZZNS1_14partition_implILS5_6ELb0ES3_mN6thrust23THRUST_200600_302600_NS6detail15normal_iteratorINSA_10device_ptrIxEEEEPS6_SG_NS0_5tupleIJSF_S6_EEENSH_IJSG_SG_EEES6_PlJNSB_9not_fun_tINSB_10functional5actorINSM_9compositeIJNSM_27transparent_binary_operatorINSA_8equal_toIvEEEENSN_INSM_8argumentILj0EEEEENSM_5valueIxEEEEEEEEEEEE10hipError_tPvRmT3_T4_T5_T6_T7_T9_mT8_P12ihipStream_tbDpT10_ENKUlT_T0_E_clISt17integral_constantIbLb0EES1K_EEDaS1F_S1G_EUlS1F_E_NS1_11comp_targetILNS1_3genE0ELNS1_11target_archE4294967295ELNS1_3gpuE0ELNS1_3repE0EEENS1_30default_config_static_selectorELNS0_4arch9wavefront6targetE0EEEvT1_: ; @_ZN7rocprim17ROCPRIM_400000_NS6detail17trampoline_kernelINS0_14default_configENS1_25partition_config_selectorILNS1_17partition_subalgoE6ExNS0_10empty_typeEbEEZZNS1_14partition_implILS5_6ELb0ES3_mN6thrust23THRUST_200600_302600_NS6detail15normal_iteratorINSA_10device_ptrIxEEEEPS6_SG_NS0_5tupleIJSF_S6_EEENSH_IJSG_SG_EEES6_PlJNSB_9not_fun_tINSB_10functional5actorINSM_9compositeIJNSM_27transparent_binary_operatorINSA_8equal_toIvEEEENSN_INSM_8argumentILj0EEEEENSM_5valueIxEEEEEEEEEEEE10hipError_tPvRmT3_T4_T5_T6_T7_T9_mT8_P12ihipStream_tbDpT10_ENKUlT_T0_E_clISt17integral_constantIbLb0EES1K_EEDaS1F_S1G_EUlS1F_E_NS1_11comp_targetILNS1_3genE0ELNS1_11target_archE4294967295ELNS1_3gpuE0ELNS1_3repE0EEENS1_30default_config_static_selectorELNS0_4arch9wavefront6targetE0EEEvT1_
; %bb.0:
	.section	.rodata,"a",@progbits
	.p2align	6, 0x0
	.amdhsa_kernel _ZN7rocprim17ROCPRIM_400000_NS6detail17trampoline_kernelINS0_14default_configENS1_25partition_config_selectorILNS1_17partition_subalgoE6ExNS0_10empty_typeEbEEZZNS1_14partition_implILS5_6ELb0ES3_mN6thrust23THRUST_200600_302600_NS6detail15normal_iteratorINSA_10device_ptrIxEEEEPS6_SG_NS0_5tupleIJSF_S6_EEENSH_IJSG_SG_EEES6_PlJNSB_9not_fun_tINSB_10functional5actorINSM_9compositeIJNSM_27transparent_binary_operatorINSA_8equal_toIvEEEENSN_INSM_8argumentILj0EEEEENSM_5valueIxEEEEEEEEEEEE10hipError_tPvRmT3_T4_T5_T6_T7_T9_mT8_P12ihipStream_tbDpT10_ENKUlT_T0_E_clISt17integral_constantIbLb0EES1K_EEDaS1F_S1G_EUlS1F_E_NS1_11comp_targetILNS1_3genE0ELNS1_11target_archE4294967295ELNS1_3gpuE0ELNS1_3repE0EEENS1_30default_config_static_selectorELNS0_4arch9wavefront6targetE0EEEvT1_
		.amdhsa_group_segment_fixed_size 0
		.amdhsa_private_segment_fixed_size 0
		.amdhsa_kernarg_size 128
		.amdhsa_user_sgpr_count 2
		.amdhsa_user_sgpr_dispatch_ptr 0
		.amdhsa_user_sgpr_queue_ptr 0
		.amdhsa_user_sgpr_kernarg_segment_ptr 1
		.amdhsa_user_sgpr_dispatch_id 0
		.amdhsa_user_sgpr_private_segment_size 0
		.amdhsa_wavefront_size32 1
		.amdhsa_uses_dynamic_stack 0
		.amdhsa_enable_private_segment 0
		.amdhsa_system_sgpr_workgroup_id_x 1
		.amdhsa_system_sgpr_workgroup_id_y 0
		.amdhsa_system_sgpr_workgroup_id_z 0
		.amdhsa_system_sgpr_workgroup_info 0
		.amdhsa_system_vgpr_workitem_id 0
		.amdhsa_next_free_vgpr 1
		.amdhsa_next_free_sgpr 1
		.amdhsa_reserve_vcc 0
		.amdhsa_float_round_mode_32 0
		.amdhsa_float_round_mode_16_64 0
		.amdhsa_float_denorm_mode_32 3
		.amdhsa_float_denorm_mode_16_64 3
		.amdhsa_fp16_overflow 0
		.amdhsa_workgroup_processor_mode 1
		.amdhsa_memory_ordered 1
		.amdhsa_forward_progress 1
		.amdhsa_inst_pref_size 0
		.amdhsa_round_robin_scheduling 0
		.amdhsa_exception_fp_ieee_invalid_op 0
		.amdhsa_exception_fp_denorm_src 0
		.amdhsa_exception_fp_ieee_div_zero 0
		.amdhsa_exception_fp_ieee_overflow 0
		.amdhsa_exception_fp_ieee_underflow 0
		.amdhsa_exception_fp_ieee_inexact 0
		.amdhsa_exception_int_div_zero 0
	.end_amdhsa_kernel
	.section	.text._ZN7rocprim17ROCPRIM_400000_NS6detail17trampoline_kernelINS0_14default_configENS1_25partition_config_selectorILNS1_17partition_subalgoE6ExNS0_10empty_typeEbEEZZNS1_14partition_implILS5_6ELb0ES3_mN6thrust23THRUST_200600_302600_NS6detail15normal_iteratorINSA_10device_ptrIxEEEEPS6_SG_NS0_5tupleIJSF_S6_EEENSH_IJSG_SG_EEES6_PlJNSB_9not_fun_tINSB_10functional5actorINSM_9compositeIJNSM_27transparent_binary_operatorINSA_8equal_toIvEEEENSN_INSM_8argumentILj0EEEEENSM_5valueIxEEEEEEEEEEEE10hipError_tPvRmT3_T4_T5_T6_T7_T9_mT8_P12ihipStream_tbDpT10_ENKUlT_T0_E_clISt17integral_constantIbLb0EES1K_EEDaS1F_S1G_EUlS1F_E_NS1_11comp_targetILNS1_3genE0ELNS1_11target_archE4294967295ELNS1_3gpuE0ELNS1_3repE0EEENS1_30default_config_static_selectorELNS0_4arch9wavefront6targetE0EEEvT1_,"axG",@progbits,_ZN7rocprim17ROCPRIM_400000_NS6detail17trampoline_kernelINS0_14default_configENS1_25partition_config_selectorILNS1_17partition_subalgoE6ExNS0_10empty_typeEbEEZZNS1_14partition_implILS5_6ELb0ES3_mN6thrust23THRUST_200600_302600_NS6detail15normal_iteratorINSA_10device_ptrIxEEEEPS6_SG_NS0_5tupleIJSF_S6_EEENSH_IJSG_SG_EEES6_PlJNSB_9not_fun_tINSB_10functional5actorINSM_9compositeIJNSM_27transparent_binary_operatorINSA_8equal_toIvEEEENSN_INSM_8argumentILj0EEEEENSM_5valueIxEEEEEEEEEEEE10hipError_tPvRmT3_T4_T5_T6_T7_T9_mT8_P12ihipStream_tbDpT10_ENKUlT_T0_E_clISt17integral_constantIbLb0EES1K_EEDaS1F_S1G_EUlS1F_E_NS1_11comp_targetILNS1_3genE0ELNS1_11target_archE4294967295ELNS1_3gpuE0ELNS1_3repE0EEENS1_30default_config_static_selectorELNS0_4arch9wavefront6targetE0EEEvT1_,comdat
.Lfunc_end179:
	.size	_ZN7rocprim17ROCPRIM_400000_NS6detail17trampoline_kernelINS0_14default_configENS1_25partition_config_selectorILNS1_17partition_subalgoE6ExNS0_10empty_typeEbEEZZNS1_14partition_implILS5_6ELb0ES3_mN6thrust23THRUST_200600_302600_NS6detail15normal_iteratorINSA_10device_ptrIxEEEEPS6_SG_NS0_5tupleIJSF_S6_EEENSH_IJSG_SG_EEES6_PlJNSB_9not_fun_tINSB_10functional5actorINSM_9compositeIJNSM_27transparent_binary_operatorINSA_8equal_toIvEEEENSN_INSM_8argumentILj0EEEEENSM_5valueIxEEEEEEEEEEEE10hipError_tPvRmT3_T4_T5_T6_T7_T9_mT8_P12ihipStream_tbDpT10_ENKUlT_T0_E_clISt17integral_constantIbLb0EES1K_EEDaS1F_S1G_EUlS1F_E_NS1_11comp_targetILNS1_3genE0ELNS1_11target_archE4294967295ELNS1_3gpuE0ELNS1_3repE0EEENS1_30default_config_static_selectorELNS0_4arch9wavefront6targetE0EEEvT1_, .Lfunc_end179-_ZN7rocprim17ROCPRIM_400000_NS6detail17trampoline_kernelINS0_14default_configENS1_25partition_config_selectorILNS1_17partition_subalgoE6ExNS0_10empty_typeEbEEZZNS1_14partition_implILS5_6ELb0ES3_mN6thrust23THRUST_200600_302600_NS6detail15normal_iteratorINSA_10device_ptrIxEEEEPS6_SG_NS0_5tupleIJSF_S6_EEENSH_IJSG_SG_EEES6_PlJNSB_9not_fun_tINSB_10functional5actorINSM_9compositeIJNSM_27transparent_binary_operatorINSA_8equal_toIvEEEENSN_INSM_8argumentILj0EEEEENSM_5valueIxEEEEEEEEEEEE10hipError_tPvRmT3_T4_T5_T6_T7_T9_mT8_P12ihipStream_tbDpT10_ENKUlT_T0_E_clISt17integral_constantIbLb0EES1K_EEDaS1F_S1G_EUlS1F_E_NS1_11comp_targetILNS1_3genE0ELNS1_11target_archE4294967295ELNS1_3gpuE0ELNS1_3repE0EEENS1_30default_config_static_selectorELNS0_4arch9wavefront6targetE0EEEvT1_
                                        ; -- End function
	.set _ZN7rocprim17ROCPRIM_400000_NS6detail17trampoline_kernelINS0_14default_configENS1_25partition_config_selectorILNS1_17partition_subalgoE6ExNS0_10empty_typeEbEEZZNS1_14partition_implILS5_6ELb0ES3_mN6thrust23THRUST_200600_302600_NS6detail15normal_iteratorINSA_10device_ptrIxEEEEPS6_SG_NS0_5tupleIJSF_S6_EEENSH_IJSG_SG_EEES6_PlJNSB_9not_fun_tINSB_10functional5actorINSM_9compositeIJNSM_27transparent_binary_operatorINSA_8equal_toIvEEEENSN_INSM_8argumentILj0EEEEENSM_5valueIxEEEEEEEEEEEE10hipError_tPvRmT3_T4_T5_T6_T7_T9_mT8_P12ihipStream_tbDpT10_ENKUlT_T0_E_clISt17integral_constantIbLb0EES1K_EEDaS1F_S1G_EUlS1F_E_NS1_11comp_targetILNS1_3genE0ELNS1_11target_archE4294967295ELNS1_3gpuE0ELNS1_3repE0EEENS1_30default_config_static_selectorELNS0_4arch9wavefront6targetE0EEEvT1_.num_vgpr, 0
	.set _ZN7rocprim17ROCPRIM_400000_NS6detail17trampoline_kernelINS0_14default_configENS1_25partition_config_selectorILNS1_17partition_subalgoE6ExNS0_10empty_typeEbEEZZNS1_14partition_implILS5_6ELb0ES3_mN6thrust23THRUST_200600_302600_NS6detail15normal_iteratorINSA_10device_ptrIxEEEEPS6_SG_NS0_5tupleIJSF_S6_EEENSH_IJSG_SG_EEES6_PlJNSB_9not_fun_tINSB_10functional5actorINSM_9compositeIJNSM_27transparent_binary_operatorINSA_8equal_toIvEEEENSN_INSM_8argumentILj0EEEEENSM_5valueIxEEEEEEEEEEEE10hipError_tPvRmT3_T4_T5_T6_T7_T9_mT8_P12ihipStream_tbDpT10_ENKUlT_T0_E_clISt17integral_constantIbLb0EES1K_EEDaS1F_S1G_EUlS1F_E_NS1_11comp_targetILNS1_3genE0ELNS1_11target_archE4294967295ELNS1_3gpuE0ELNS1_3repE0EEENS1_30default_config_static_selectorELNS0_4arch9wavefront6targetE0EEEvT1_.num_agpr, 0
	.set _ZN7rocprim17ROCPRIM_400000_NS6detail17trampoline_kernelINS0_14default_configENS1_25partition_config_selectorILNS1_17partition_subalgoE6ExNS0_10empty_typeEbEEZZNS1_14partition_implILS5_6ELb0ES3_mN6thrust23THRUST_200600_302600_NS6detail15normal_iteratorINSA_10device_ptrIxEEEEPS6_SG_NS0_5tupleIJSF_S6_EEENSH_IJSG_SG_EEES6_PlJNSB_9not_fun_tINSB_10functional5actorINSM_9compositeIJNSM_27transparent_binary_operatorINSA_8equal_toIvEEEENSN_INSM_8argumentILj0EEEEENSM_5valueIxEEEEEEEEEEEE10hipError_tPvRmT3_T4_T5_T6_T7_T9_mT8_P12ihipStream_tbDpT10_ENKUlT_T0_E_clISt17integral_constantIbLb0EES1K_EEDaS1F_S1G_EUlS1F_E_NS1_11comp_targetILNS1_3genE0ELNS1_11target_archE4294967295ELNS1_3gpuE0ELNS1_3repE0EEENS1_30default_config_static_selectorELNS0_4arch9wavefront6targetE0EEEvT1_.numbered_sgpr, 0
	.set _ZN7rocprim17ROCPRIM_400000_NS6detail17trampoline_kernelINS0_14default_configENS1_25partition_config_selectorILNS1_17partition_subalgoE6ExNS0_10empty_typeEbEEZZNS1_14partition_implILS5_6ELb0ES3_mN6thrust23THRUST_200600_302600_NS6detail15normal_iteratorINSA_10device_ptrIxEEEEPS6_SG_NS0_5tupleIJSF_S6_EEENSH_IJSG_SG_EEES6_PlJNSB_9not_fun_tINSB_10functional5actorINSM_9compositeIJNSM_27transparent_binary_operatorINSA_8equal_toIvEEEENSN_INSM_8argumentILj0EEEEENSM_5valueIxEEEEEEEEEEEE10hipError_tPvRmT3_T4_T5_T6_T7_T9_mT8_P12ihipStream_tbDpT10_ENKUlT_T0_E_clISt17integral_constantIbLb0EES1K_EEDaS1F_S1G_EUlS1F_E_NS1_11comp_targetILNS1_3genE0ELNS1_11target_archE4294967295ELNS1_3gpuE0ELNS1_3repE0EEENS1_30default_config_static_selectorELNS0_4arch9wavefront6targetE0EEEvT1_.num_named_barrier, 0
	.set _ZN7rocprim17ROCPRIM_400000_NS6detail17trampoline_kernelINS0_14default_configENS1_25partition_config_selectorILNS1_17partition_subalgoE6ExNS0_10empty_typeEbEEZZNS1_14partition_implILS5_6ELb0ES3_mN6thrust23THRUST_200600_302600_NS6detail15normal_iteratorINSA_10device_ptrIxEEEEPS6_SG_NS0_5tupleIJSF_S6_EEENSH_IJSG_SG_EEES6_PlJNSB_9not_fun_tINSB_10functional5actorINSM_9compositeIJNSM_27transparent_binary_operatorINSA_8equal_toIvEEEENSN_INSM_8argumentILj0EEEEENSM_5valueIxEEEEEEEEEEEE10hipError_tPvRmT3_T4_T5_T6_T7_T9_mT8_P12ihipStream_tbDpT10_ENKUlT_T0_E_clISt17integral_constantIbLb0EES1K_EEDaS1F_S1G_EUlS1F_E_NS1_11comp_targetILNS1_3genE0ELNS1_11target_archE4294967295ELNS1_3gpuE0ELNS1_3repE0EEENS1_30default_config_static_selectorELNS0_4arch9wavefront6targetE0EEEvT1_.private_seg_size, 0
	.set _ZN7rocprim17ROCPRIM_400000_NS6detail17trampoline_kernelINS0_14default_configENS1_25partition_config_selectorILNS1_17partition_subalgoE6ExNS0_10empty_typeEbEEZZNS1_14partition_implILS5_6ELb0ES3_mN6thrust23THRUST_200600_302600_NS6detail15normal_iteratorINSA_10device_ptrIxEEEEPS6_SG_NS0_5tupleIJSF_S6_EEENSH_IJSG_SG_EEES6_PlJNSB_9not_fun_tINSB_10functional5actorINSM_9compositeIJNSM_27transparent_binary_operatorINSA_8equal_toIvEEEENSN_INSM_8argumentILj0EEEEENSM_5valueIxEEEEEEEEEEEE10hipError_tPvRmT3_T4_T5_T6_T7_T9_mT8_P12ihipStream_tbDpT10_ENKUlT_T0_E_clISt17integral_constantIbLb0EES1K_EEDaS1F_S1G_EUlS1F_E_NS1_11comp_targetILNS1_3genE0ELNS1_11target_archE4294967295ELNS1_3gpuE0ELNS1_3repE0EEENS1_30default_config_static_selectorELNS0_4arch9wavefront6targetE0EEEvT1_.uses_vcc, 0
	.set _ZN7rocprim17ROCPRIM_400000_NS6detail17trampoline_kernelINS0_14default_configENS1_25partition_config_selectorILNS1_17partition_subalgoE6ExNS0_10empty_typeEbEEZZNS1_14partition_implILS5_6ELb0ES3_mN6thrust23THRUST_200600_302600_NS6detail15normal_iteratorINSA_10device_ptrIxEEEEPS6_SG_NS0_5tupleIJSF_S6_EEENSH_IJSG_SG_EEES6_PlJNSB_9not_fun_tINSB_10functional5actorINSM_9compositeIJNSM_27transparent_binary_operatorINSA_8equal_toIvEEEENSN_INSM_8argumentILj0EEEEENSM_5valueIxEEEEEEEEEEEE10hipError_tPvRmT3_T4_T5_T6_T7_T9_mT8_P12ihipStream_tbDpT10_ENKUlT_T0_E_clISt17integral_constantIbLb0EES1K_EEDaS1F_S1G_EUlS1F_E_NS1_11comp_targetILNS1_3genE0ELNS1_11target_archE4294967295ELNS1_3gpuE0ELNS1_3repE0EEENS1_30default_config_static_selectorELNS0_4arch9wavefront6targetE0EEEvT1_.uses_flat_scratch, 0
	.set _ZN7rocprim17ROCPRIM_400000_NS6detail17trampoline_kernelINS0_14default_configENS1_25partition_config_selectorILNS1_17partition_subalgoE6ExNS0_10empty_typeEbEEZZNS1_14partition_implILS5_6ELb0ES3_mN6thrust23THRUST_200600_302600_NS6detail15normal_iteratorINSA_10device_ptrIxEEEEPS6_SG_NS0_5tupleIJSF_S6_EEENSH_IJSG_SG_EEES6_PlJNSB_9not_fun_tINSB_10functional5actorINSM_9compositeIJNSM_27transparent_binary_operatorINSA_8equal_toIvEEEENSN_INSM_8argumentILj0EEEEENSM_5valueIxEEEEEEEEEEEE10hipError_tPvRmT3_T4_T5_T6_T7_T9_mT8_P12ihipStream_tbDpT10_ENKUlT_T0_E_clISt17integral_constantIbLb0EES1K_EEDaS1F_S1G_EUlS1F_E_NS1_11comp_targetILNS1_3genE0ELNS1_11target_archE4294967295ELNS1_3gpuE0ELNS1_3repE0EEENS1_30default_config_static_selectorELNS0_4arch9wavefront6targetE0EEEvT1_.has_dyn_sized_stack, 0
	.set _ZN7rocprim17ROCPRIM_400000_NS6detail17trampoline_kernelINS0_14default_configENS1_25partition_config_selectorILNS1_17partition_subalgoE6ExNS0_10empty_typeEbEEZZNS1_14partition_implILS5_6ELb0ES3_mN6thrust23THRUST_200600_302600_NS6detail15normal_iteratorINSA_10device_ptrIxEEEEPS6_SG_NS0_5tupleIJSF_S6_EEENSH_IJSG_SG_EEES6_PlJNSB_9not_fun_tINSB_10functional5actorINSM_9compositeIJNSM_27transparent_binary_operatorINSA_8equal_toIvEEEENSN_INSM_8argumentILj0EEEEENSM_5valueIxEEEEEEEEEEEE10hipError_tPvRmT3_T4_T5_T6_T7_T9_mT8_P12ihipStream_tbDpT10_ENKUlT_T0_E_clISt17integral_constantIbLb0EES1K_EEDaS1F_S1G_EUlS1F_E_NS1_11comp_targetILNS1_3genE0ELNS1_11target_archE4294967295ELNS1_3gpuE0ELNS1_3repE0EEENS1_30default_config_static_selectorELNS0_4arch9wavefront6targetE0EEEvT1_.has_recursion, 0
	.set _ZN7rocprim17ROCPRIM_400000_NS6detail17trampoline_kernelINS0_14default_configENS1_25partition_config_selectorILNS1_17partition_subalgoE6ExNS0_10empty_typeEbEEZZNS1_14partition_implILS5_6ELb0ES3_mN6thrust23THRUST_200600_302600_NS6detail15normal_iteratorINSA_10device_ptrIxEEEEPS6_SG_NS0_5tupleIJSF_S6_EEENSH_IJSG_SG_EEES6_PlJNSB_9not_fun_tINSB_10functional5actorINSM_9compositeIJNSM_27transparent_binary_operatorINSA_8equal_toIvEEEENSN_INSM_8argumentILj0EEEEENSM_5valueIxEEEEEEEEEEEE10hipError_tPvRmT3_T4_T5_T6_T7_T9_mT8_P12ihipStream_tbDpT10_ENKUlT_T0_E_clISt17integral_constantIbLb0EES1K_EEDaS1F_S1G_EUlS1F_E_NS1_11comp_targetILNS1_3genE0ELNS1_11target_archE4294967295ELNS1_3gpuE0ELNS1_3repE0EEENS1_30default_config_static_selectorELNS0_4arch9wavefront6targetE0EEEvT1_.has_indirect_call, 0
	.section	.AMDGPU.csdata,"",@progbits
; Kernel info:
; codeLenInByte = 0
; TotalNumSgprs: 0
; NumVgprs: 0
; ScratchSize: 0
; MemoryBound: 0
; FloatMode: 240
; IeeeMode: 1
; LDSByteSize: 0 bytes/workgroup (compile time only)
; SGPRBlocks: 0
; VGPRBlocks: 0
; NumSGPRsForWavesPerEU: 1
; NumVGPRsForWavesPerEU: 1
; Occupancy: 16
; WaveLimiterHint : 0
; COMPUTE_PGM_RSRC2:SCRATCH_EN: 0
; COMPUTE_PGM_RSRC2:USER_SGPR: 2
; COMPUTE_PGM_RSRC2:TRAP_HANDLER: 0
; COMPUTE_PGM_RSRC2:TGID_X_EN: 1
; COMPUTE_PGM_RSRC2:TGID_Y_EN: 0
; COMPUTE_PGM_RSRC2:TGID_Z_EN: 0
; COMPUTE_PGM_RSRC2:TIDIG_COMP_CNT: 0
	.section	.text._ZN7rocprim17ROCPRIM_400000_NS6detail17trampoline_kernelINS0_14default_configENS1_25partition_config_selectorILNS1_17partition_subalgoE6ExNS0_10empty_typeEbEEZZNS1_14partition_implILS5_6ELb0ES3_mN6thrust23THRUST_200600_302600_NS6detail15normal_iteratorINSA_10device_ptrIxEEEEPS6_SG_NS0_5tupleIJSF_S6_EEENSH_IJSG_SG_EEES6_PlJNSB_9not_fun_tINSB_10functional5actorINSM_9compositeIJNSM_27transparent_binary_operatorINSA_8equal_toIvEEEENSN_INSM_8argumentILj0EEEEENSM_5valueIxEEEEEEEEEEEE10hipError_tPvRmT3_T4_T5_T6_T7_T9_mT8_P12ihipStream_tbDpT10_ENKUlT_T0_E_clISt17integral_constantIbLb0EES1K_EEDaS1F_S1G_EUlS1F_E_NS1_11comp_targetILNS1_3genE5ELNS1_11target_archE942ELNS1_3gpuE9ELNS1_3repE0EEENS1_30default_config_static_selectorELNS0_4arch9wavefront6targetE0EEEvT1_,"axG",@progbits,_ZN7rocprim17ROCPRIM_400000_NS6detail17trampoline_kernelINS0_14default_configENS1_25partition_config_selectorILNS1_17partition_subalgoE6ExNS0_10empty_typeEbEEZZNS1_14partition_implILS5_6ELb0ES3_mN6thrust23THRUST_200600_302600_NS6detail15normal_iteratorINSA_10device_ptrIxEEEEPS6_SG_NS0_5tupleIJSF_S6_EEENSH_IJSG_SG_EEES6_PlJNSB_9not_fun_tINSB_10functional5actorINSM_9compositeIJNSM_27transparent_binary_operatorINSA_8equal_toIvEEEENSN_INSM_8argumentILj0EEEEENSM_5valueIxEEEEEEEEEEEE10hipError_tPvRmT3_T4_T5_T6_T7_T9_mT8_P12ihipStream_tbDpT10_ENKUlT_T0_E_clISt17integral_constantIbLb0EES1K_EEDaS1F_S1G_EUlS1F_E_NS1_11comp_targetILNS1_3genE5ELNS1_11target_archE942ELNS1_3gpuE9ELNS1_3repE0EEENS1_30default_config_static_selectorELNS0_4arch9wavefront6targetE0EEEvT1_,comdat
	.protected	_ZN7rocprim17ROCPRIM_400000_NS6detail17trampoline_kernelINS0_14default_configENS1_25partition_config_selectorILNS1_17partition_subalgoE6ExNS0_10empty_typeEbEEZZNS1_14partition_implILS5_6ELb0ES3_mN6thrust23THRUST_200600_302600_NS6detail15normal_iteratorINSA_10device_ptrIxEEEEPS6_SG_NS0_5tupleIJSF_S6_EEENSH_IJSG_SG_EEES6_PlJNSB_9not_fun_tINSB_10functional5actorINSM_9compositeIJNSM_27transparent_binary_operatorINSA_8equal_toIvEEEENSN_INSM_8argumentILj0EEEEENSM_5valueIxEEEEEEEEEEEE10hipError_tPvRmT3_T4_T5_T6_T7_T9_mT8_P12ihipStream_tbDpT10_ENKUlT_T0_E_clISt17integral_constantIbLb0EES1K_EEDaS1F_S1G_EUlS1F_E_NS1_11comp_targetILNS1_3genE5ELNS1_11target_archE942ELNS1_3gpuE9ELNS1_3repE0EEENS1_30default_config_static_selectorELNS0_4arch9wavefront6targetE0EEEvT1_ ; -- Begin function _ZN7rocprim17ROCPRIM_400000_NS6detail17trampoline_kernelINS0_14default_configENS1_25partition_config_selectorILNS1_17partition_subalgoE6ExNS0_10empty_typeEbEEZZNS1_14partition_implILS5_6ELb0ES3_mN6thrust23THRUST_200600_302600_NS6detail15normal_iteratorINSA_10device_ptrIxEEEEPS6_SG_NS0_5tupleIJSF_S6_EEENSH_IJSG_SG_EEES6_PlJNSB_9not_fun_tINSB_10functional5actorINSM_9compositeIJNSM_27transparent_binary_operatorINSA_8equal_toIvEEEENSN_INSM_8argumentILj0EEEEENSM_5valueIxEEEEEEEEEEEE10hipError_tPvRmT3_T4_T5_T6_T7_T9_mT8_P12ihipStream_tbDpT10_ENKUlT_T0_E_clISt17integral_constantIbLb0EES1K_EEDaS1F_S1G_EUlS1F_E_NS1_11comp_targetILNS1_3genE5ELNS1_11target_archE942ELNS1_3gpuE9ELNS1_3repE0EEENS1_30default_config_static_selectorELNS0_4arch9wavefront6targetE0EEEvT1_
	.globl	_ZN7rocprim17ROCPRIM_400000_NS6detail17trampoline_kernelINS0_14default_configENS1_25partition_config_selectorILNS1_17partition_subalgoE6ExNS0_10empty_typeEbEEZZNS1_14partition_implILS5_6ELb0ES3_mN6thrust23THRUST_200600_302600_NS6detail15normal_iteratorINSA_10device_ptrIxEEEEPS6_SG_NS0_5tupleIJSF_S6_EEENSH_IJSG_SG_EEES6_PlJNSB_9not_fun_tINSB_10functional5actorINSM_9compositeIJNSM_27transparent_binary_operatorINSA_8equal_toIvEEEENSN_INSM_8argumentILj0EEEEENSM_5valueIxEEEEEEEEEEEE10hipError_tPvRmT3_T4_T5_T6_T7_T9_mT8_P12ihipStream_tbDpT10_ENKUlT_T0_E_clISt17integral_constantIbLb0EES1K_EEDaS1F_S1G_EUlS1F_E_NS1_11comp_targetILNS1_3genE5ELNS1_11target_archE942ELNS1_3gpuE9ELNS1_3repE0EEENS1_30default_config_static_selectorELNS0_4arch9wavefront6targetE0EEEvT1_
	.p2align	8
	.type	_ZN7rocprim17ROCPRIM_400000_NS6detail17trampoline_kernelINS0_14default_configENS1_25partition_config_selectorILNS1_17partition_subalgoE6ExNS0_10empty_typeEbEEZZNS1_14partition_implILS5_6ELb0ES3_mN6thrust23THRUST_200600_302600_NS6detail15normal_iteratorINSA_10device_ptrIxEEEEPS6_SG_NS0_5tupleIJSF_S6_EEENSH_IJSG_SG_EEES6_PlJNSB_9not_fun_tINSB_10functional5actorINSM_9compositeIJNSM_27transparent_binary_operatorINSA_8equal_toIvEEEENSN_INSM_8argumentILj0EEEEENSM_5valueIxEEEEEEEEEEEE10hipError_tPvRmT3_T4_T5_T6_T7_T9_mT8_P12ihipStream_tbDpT10_ENKUlT_T0_E_clISt17integral_constantIbLb0EES1K_EEDaS1F_S1G_EUlS1F_E_NS1_11comp_targetILNS1_3genE5ELNS1_11target_archE942ELNS1_3gpuE9ELNS1_3repE0EEENS1_30default_config_static_selectorELNS0_4arch9wavefront6targetE0EEEvT1_,@function
_ZN7rocprim17ROCPRIM_400000_NS6detail17trampoline_kernelINS0_14default_configENS1_25partition_config_selectorILNS1_17partition_subalgoE6ExNS0_10empty_typeEbEEZZNS1_14partition_implILS5_6ELb0ES3_mN6thrust23THRUST_200600_302600_NS6detail15normal_iteratorINSA_10device_ptrIxEEEEPS6_SG_NS0_5tupleIJSF_S6_EEENSH_IJSG_SG_EEES6_PlJNSB_9not_fun_tINSB_10functional5actorINSM_9compositeIJNSM_27transparent_binary_operatorINSA_8equal_toIvEEEENSN_INSM_8argumentILj0EEEEENSM_5valueIxEEEEEEEEEEEE10hipError_tPvRmT3_T4_T5_T6_T7_T9_mT8_P12ihipStream_tbDpT10_ENKUlT_T0_E_clISt17integral_constantIbLb0EES1K_EEDaS1F_S1G_EUlS1F_E_NS1_11comp_targetILNS1_3genE5ELNS1_11target_archE942ELNS1_3gpuE9ELNS1_3repE0EEENS1_30default_config_static_selectorELNS0_4arch9wavefront6targetE0EEEvT1_: ; @_ZN7rocprim17ROCPRIM_400000_NS6detail17trampoline_kernelINS0_14default_configENS1_25partition_config_selectorILNS1_17partition_subalgoE6ExNS0_10empty_typeEbEEZZNS1_14partition_implILS5_6ELb0ES3_mN6thrust23THRUST_200600_302600_NS6detail15normal_iteratorINSA_10device_ptrIxEEEEPS6_SG_NS0_5tupleIJSF_S6_EEENSH_IJSG_SG_EEES6_PlJNSB_9not_fun_tINSB_10functional5actorINSM_9compositeIJNSM_27transparent_binary_operatorINSA_8equal_toIvEEEENSN_INSM_8argumentILj0EEEEENSM_5valueIxEEEEEEEEEEEE10hipError_tPvRmT3_T4_T5_T6_T7_T9_mT8_P12ihipStream_tbDpT10_ENKUlT_T0_E_clISt17integral_constantIbLb0EES1K_EEDaS1F_S1G_EUlS1F_E_NS1_11comp_targetILNS1_3genE5ELNS1_11target_archE942ELNS1_3gpuE9ELNS1_3repE0EEENS1_30default_config_static_selectorELNS0_4arch9wavefront6targetE0EEEvT1_
; %bb.0:
	.section	.rodata,"a",@progbits
	.p2align	6, 0x0
	.amdhsa_kernel _ZN7rocprim17ROCPRIM_400000_NS6detail17trampoline_kernelINS0_14default_configENS1_25partition_config_selectorILNS1_17partition_subalgoE6ExNS0_10empty_typeEbEEZZNS1_14partition_implILS5_6ELb0ES3_mN6thrust23THRUST_200600_302600_NS6detail15normal_iteratorINSA_10device_ptrIxEEEEPS6_SG_NS0_5tupleIJSF_S6_EEENSH_IJSG_SG_EEES6_PlJNSB_9not_fun_tINSB_10functional5actorINSM_9compositeIJNSM_27transparent_binary_operatorINSA_8equal_toIvEEEENSN_INSM_8argumentILj0EEEEENSM_5valueIxEEEEEEEEEEEE10hipError_tPvRmT3_T4_T5_T6_T7_T9_mT8_P12ihipStream_tbDpT10_ENKUlT_T0_E_clISt17integral_constantIbLb0EES1K_EEDaS1F_S1G_EUlS1F_E_NS1_11comp_targetILNS1_3genE5ELNS1_11target_archE942ELNS1_3gpuE9ELNS1_3repE0EEENS1_30default_config_static_selectorELNS0_4arch9wavefront6targetE0EEEvT1_
		.amdhsa_group_segment_fixed_size 0
		.amdhsa_private_segment_fixed_size 0
		.amdhsa_kernarg_size 128
		.amdhsa_user_sgpr_count 2
		.amdhsa_user_sgpr_dispatch_ptr 0
		.amdhsa_user_sgpr_queue_ptr 0
		.amdhsa_user_sgpr_kernarg_segment_ptr 1
		.amdhsa_user_sgpr_dispatch_id 0
		.amdhsa_user_sgpr_private_segment_size 0
		.amdhsa_wavefront_size32 1
		.amdhsa_uses_dynamic_stack 0
		.amdhsa_enable_private_segment 0
		.amdhsa_system_sgpr_workgroup_id_x 1
		.amdhsa_system_sgpr_workgroup_id_y 0
		.amdhsa_system_sgpr_workgroup_id_z 0
		.amdhsa_system_sgpr_workgroup_info 0
		.amdhsa_system_vgpr_workitem_id 0
		.amdhsa_next_free_vgpr 1
		.amdhsa_next_free_sgpr 1
		.amdhsa_reserve_vcc 0
		.amdhsa_float_round_mode_32 0
		.amdhsa_float_round_mode_16_64 0
		.amdhsa_float_denorm_mode_32 3
		.amdhsa_float_denorm_mode_16_64 3
		.amdhsa_fp16_overflow 0
		.amdhsa_workgroup_processor_mode 1
		.amdhsa_memory_ordered 1
		.amdhsa_forward_progress 1
		.amdhsa_inst_pref_size 0
		.amdhsa_round_robin_scheduling 0
		.amdhsa_exception_fp_ieee_invalid_op 0
		.amdhsa_exception_fp_denorm_src 0
		.amdhsa_exception_fp_ieee_div_zero 0
		.amdhsa_exception_fp_ieee_overflow 0
		.amdhsa_exception_fp_ieee_underflow 0
		.amdhsa_exception_fp_ieee_inexact 0
		.amdhsa_exception_int_div_zero 0
	.end_amdhsa_kernel
	.section	.text._ZN7rocprim17ROCPRIM_400000_NS6detail17trampoline_kernelINS0_14default_configENS1_25partition_config_selectorILNS1_17partition_subalgoE6ExNS0_10empty_typeEbEEZZNS1_14partition_implILS5_6ELb0ES3_mN6thrust23THRUST_200600_302600_NS6detail15normal_iteratorINSA_10device_ptrIxEEEEPS6_SG_NS0_5tupleIJSF_S6_EEENSH_IJSG_SG_EEES6_PlJNSB_9not_fun_tINSB_10functional5actorINSM_9compositeIJNSM_27transparent_binary_operatorINSA_8equal_toIvEEEENSN_INSM_8argumentILj0EEEEENSM_5valueIxEEEEEEEEEEEE10hipError_tPvRmT3_T4_T5_T6_T7_T9_mT8_P12ihipStream_tbDpT10_ENKUlT_T0_E_clISt17integral_constantIbLb0EES1K_EEDaS1F_S1G_EUlS1F_E_NS1_11comp_targetILNS1_3genE5ELNS1_11target_archE942ELNS1_3gpuE9ELNS1_3repE0EEENS1_30default_config_static_selectorELNS0_4arch9wavefront6targetE0EEEvT1_,"axG",@progbits,_ZN7rocprim17ROCPRIM_400000_NS6detail17trampoline_kernelINS0_14default_configENS1_25partition_config_selectorILNS1_17partition_subalgoE6ExNS0_10empty_typeEbEEZZNS1_14partition_implILS5_6ELb0ES3_mN6thrust23THRUST_200600_302600_NS6detail15normal_iteratorINSA_10device_ptrIxEEEEPS6_SG_NS0_5tupleIJSF_S6_EEENSH_IJSG_SG_EEES6_PlJNSB_9not_fun_tINSB_10functional5actorINSM_9compositeIJNSM_27transparent_binary_operatorINSA_8equal_toIvEEEENSN_INSM_8argumentILj0EEEEENSM_5valueIxEEEEEEEEEEEE10hipError_tPvRmT3_T4_T5_T6_T7_T9_mT8_P12ihipStream_tbDpT10_ENKUlT_T0_E_clISt17integral_constantIbLb0EES1K_EEDaS1F_S1G_EUlS1F_E_NS1_11comp_targetILNS1_3genE5ELNS1_11target_archE942ELNS1_3gpuE9ELNS1_3repE0EEENS1_30default_config_static_selectorELNS0_4arch9wavefront6targetE0EEEvT1_,comdat
.Lfunc_end180:
	.size	_ZN7rocprim17ROCPRIM_400000_NS6detail17trampoline_kernelINS0_14default_configENS1_25partition_config_selectorILNS1_17partition_subalgoE6ExNS0_10empty_typeEbEEZZNS1_14partition_implILS5_6ELb0ES3_mN6thrust23THRUST_200600_302600_NS6detail15normal_iteratorINSA_10device_ptrIxEEEEPS6_SG_NS0_5tupleIJSF_S6_EEENSH_IJSG_SG_EEES6_PlJNSB_9not_fun_tINSB_10functional5actorINSM_9compositeIJNSM_27transparent_binary_operatorINSA_8equal_toIvEEEENSN_INSM_8argumentILj0EEEEENSM_5valueIxEEEEEEEEEEEE10hipError_tPvRmT3_T4_T5_T6_T7_T9_mT8_P12ihipStream_tbDpT10_ENKUlT_T0_E_clISt17integral_constantIbLb0EES1K_EEDaS1F_S1G_EUlS1F_E_NS1_11comp_targetILNS1_3genE5ELNS1_11target_archE942ELNS1_3gpuE9ELNS1_3repE0EEENS1_30default_config_static_selectorELNS0_4arch9wavefront6targetE0EEEvT1_, .Lfunc_end180-_ZN7rocprim17ROCPRIM_400000_NS6detail17trampoline_kernelINS0_14default_configENS1_25partition_config_selectorILNS1_17partition_subalgoE6ExNS0_10empty_typeEbEEZZNS1_14partition_implILS5_6ELb0ES3_mN6thrust23THRUST_200600_302600_NS6detail15normal_iteratorINSA_10device_ptrIxEEEEPS6_SG_NS0_5tupleIJSF_S6_EEENSH_IJSG_SG_EEES6_PlJNSB_9not_fun_tINSB_10functional5actorINSM_9compositeIJNSM_27transparent_binary_operatorINSA_8equal_toIvEEEENSN_INSM_8argumentILj0EEEEENSM_5valueIxEEEEEEEEEEEE10hipError_tPvRmT3_T4_T5_T6_T7_T9_mT8_P12ihipStream_tbDpT10_ENKUlT_T0_E_clISt17integral_constantIbLb0EES1K_EEDaS1F_S1G_EUlS1F_E_NS1_11comp_targetILNS1_3genE5ELNS1_11target_archE942ELNS1_3gpuE9ELNS1_3repE0EEENS1_30default_config_static_selectorELNS0_4arch9wavefront6targetE0EEEvT1_
                                        ; -- End function
	.set _ZN7rocprim17ROCPRIM_400000_NS6detail17trampoline_kernelINS0_14default_configENS1_25partition_config_selectorILNS1_17partition_subalgoE6ExNS0_10empty_typeEbEEZZNS1_14partition_implILS5_6ELb0ES3_mN6thrust23THRUST_200600_302600_NS6detail15normal_iteratorINSA_10device_ptrIxEEEEPS6_SG_NS0_5tupleIJSF_S6_EEENSH_IJSG_SG_EEES6_PlJNSB_9not_fun_tINSB_10functional5actorINSM_9compositeIJNSM_27transparent_binary_operatorINSA_8equal_toIvEEEENSN_INSM_8argumentILj0EEEEENSM_5valueIxEEEEEEEEEEEE10hipError_tPvRmT3_T4_T5_T6_T7_T9_mT8_P12ihipStream_tbDpT10_ENKUlT_T0_E_clISt17integral_constantIbLb0EES1K_EEDaS1F_S1G_EUlS1F_E_NS1_11comp_targetILNS1_3genE5ELNS1_11target_archE942ELNS1_3gpuE9ELNS1_3repE0EEENS1_30default_config_static_selectorELNS0_4arch9wavefront6targetE0EEEvT1_.num_vgpr, 0
	.set _ZN7rocprim17ROCPRIM_400000_NS6detail17trampoline_kernelINS0_14default_configENS1_25partition_config_selectorILNS1_17partition_subalgoE6ExNS0_10empty_typeEbEEZZNS1_14partition_implILS5_6ELb0ES3_mN6thrust23THRUST_200600_302600_NS6detail15normal_iteratorINSA_10device_ptrIxEEEEPS6_SG_NS0_5tupleIJSF_S6_EEENSH_IJSG_SG_EEES6_PlJNSB_9not_fun_tINSB_10functional5actorINSM_9compositeIJNSM_27transparent_binary_operatorINSA_8equal_toIvEEEENSN_INSM_8argumentILj0EEEEENSM_5valueIxEEEEEEEEEEEE10hipError_tPvRmT3_T4_T5_T6_T7_T9_mT8_P12ihipStream_tbDpT10_ENKUlT_T0_E_clISt17integral_constantIbLb0EES1K_EEDaS1F_S1G_EUlS1F_E_NS1_11comp_targetILNS1_3genE5ELNS1_11target_archE942ELNS1_3gpuE9ELNS1_3repE0EEENS1_30default_config_static_selectorELNS0_4arch9wavefront6targetE0EEEvT1_.num_agpr, 0
	.set _ZN7rocprim17ROCPRIM_400000_NS6detail17trampoline_kernelINS0_14default_configENS1_25partition_config_selectorILNS1_17partition_subalgoE6ExNS0_10empty_typeEbEEZZNS1_14partition_implILS5_6ELb0ES3_mN6thrust23THRUST_200600_302600_NS6detail15normal_iteratorINSA_10device_ptrIxEEEEPS6_SG_NS0_5tupleIJSF_S6_EEENSH_IJSG_SG_EEES6_PlJNSB_9not_fun_tINSB_10functional5actorINSM_9compositeIJNSM_27transparent_binary_operatorINSA_8equal_toIvEEEENSN_INSM_8argumentILj0EEEEENSM_5valueIxEEEEEEEEEEEE10hipError_tPvRmT3_T4_T5_T6_T7_T9_mT8_P12ihipStream_tbDpT10_ENKUlT_T0_E_clISt17integral_constantIbLb0EES1K_EEDaS1F_S1G_EUlS1F_E_NS1_11comp_targetILNS1_3genE5ELNS1_11target_archE942ELNS1_3gpuE9ELNS1_3repE0EEENS1_30default_config_static_selectorELNS0_4arch9wavefront6targetE0EEEvT1_.numbered_sgpr, 0
	.set _ZN7rocprim17ROCPRIM_400000_NS6detail17trampoline_kernelINS0_14default_configENS1_25partition_config_selectorILNS1_17partition_subalgoE6ExNS0_10empty_typeEbEEZZNS1_14partition_implILS5_6ELb0ES3_mN6thrust23THRUST_200600_302600_NS6detail15normal_iteratorINSA_10device_ptrIxEEEEPS6_SG_NS0_5tupleIJSF_S6_EEENSH_IJSG_SG_EEES6_PlJNSB_9not_fun_tINSB_10functional5actorINSM_9compositeIJNSM_27transparent_binary_operatorINSA_8equal_toIvEEEENSN_INSM_8argumentILj0EEEEENSM_5valueIxEEEEEEEEEEEE10hipError_tPvRmT3_T4_T5_T6_T7_T9_mT8_P12ihipStream_tbDpT10_ENKUlT_T0_E_clISt17integral_constantIbLb0EES1K_EEDaS1F_S1G_EUlS1F_E_NS1_11comp_targetILNS1_3genE5ELNS1_11target_archE942ELNS1_3gpuE9ELNS1_3repE0EEENS1_30default_config_static_selectorELNS0_4arch9wavefront6targetE0EEEvT1_.num_named_barrier, 0
	.set _ZN7rocprim17ROCPRIM_400000_NS6detail17trampoline_kernelINS0_14default_configENS1_25partition_config_selectorILNS1_17partition_subalgoE6ExNS0_10empty_typeEbEEZZNS1_14partition_implILS5_6ELb0ES3_mN6thrust23THRUST_200600_302600_NS6detail15normal_iteratorINSA_10device_ptrIxEEEEPS6_SG_NS0_5tupleIJSF_S6_EEENSH_IJSG_SG_EEES6_PlJNSB_9not_fun_tINSB_10functional5actorINSM_9compositeIJNSM_27transparent_binary_operatorINSA_8equal_toIvEEEENSN_INSM_8argumentILj0EEEEENSM_5valueIxEEEEEEEEEEEE10hipError_tPvRmT3_T4_T5_T6_T7_T9_mT8_P12ihipStream_tbDpT10_ENKUlT_T0_E_clISt17integral_constantIbLb0EES1K_EEDaS1F_S1G_EUlS1F_E_NS1_11comp_targetILNS1_3genE5ELNS1_11target_archE942ELNS1_3gpuE9ELNS1_3repE0EEENS1_30default_config_static_selectorELNS0_4arch9wavefront6targetE0EEEvT1_.private_seg_size, 0
	.set _ZN7rocprim17ROCPRIM_400000_NS6detail17trampoline_kernelINS0_14default_configENS1_25partition_config_selectorILNS1_17partition_subalgoE6ExNS0_10empty_typeEbEEZZNS1_14partition_implILS5_6ELb0ES3_mN6thrust23THRUST_200600_302600_NS6detail15normal_iteratorINSA_10device_ptrIxEEEEPS6_SG_NS0_5tupleIJSF_S6_EEENSH_IJSG_SG_EEES6_PlJNSB_9not_fun_tINSB_10functional5actorINSM_9compositeIJNSM_27transparent_binary_operatorINSA_8equal_toIvEEEENSN_INSM_8argumentILj0EEEEENSM_5valueIxEEEEEEEEEEEE10hipError_tPvRmT3_T4_T5_T6_T7_T9_mT8_P12ihipStream_tbDpT10_ENKUlT_T0_E_clISt17integral_constantIbLb0EES1K_EEDaS1F_S1G_EUlS1F_E_NS1_11comp_targetILNS1_3genE5ELNS1_11target_archE942ELNS1_3gpuE9ELNS1_3repE0EEENS1_30default_config_static_selectorELNS0_4arch9wavefront6targetE0EEEvT1_.uses_vcc, 0
	.set _ZN7rocprim17ROCPRIM_400000_NS6detail17trampoline_kernelINS0_14default_configENS1_25partition_config_selectorILNS1_17partition_subalgoE6ExNS0_10empty_typeEbEEZZNS1_14partition_implILS5_6ELb0ES3_mN6thrust23THRUST_200600_302600_NS6detail15normal_iteratorINSA_10device_ptrIxEEEEPS6_SG_NS0_5tupleIJSF_S6_EEENSH_IJSG_SG_EEES6_PlJNSB_9not_fun_tINSB_10functional5actorINSM_9compositeIJNSM_27transparent_binary_operatorINSA_8equal_toIvEEEENSN_INSM_8argumentILj0EEEEENSM_5valueIxEEEEEEEEEEEE10hipError_tPvRmT3_T4_T5_T6_T7_T9_mT8_P12ihipStream_tbDpT10_ENKUlT_T0_E_clISt17integral_constantIbLb0EES1K_EEDaS1F_S1G_EUlS1F_E_NS1_11comp_targetILNS1_3genE5ELNS1_11target_archE942ELNS1_3gpuE9ELNS1_3repE0EEENS1_30default_config_static_selectorELNS0_4arch9wavefront6targetE0EEEvT1_.uses_flat_scratch, 0
	.set _ZN7rocprim17ROCPRIM_400000_NS6detail17trampoline_kernelINS0_14default_configENS1_25partition_config_selectorILNS1_17partition_subalgoE6ExNS0_10empty_typeEbEEZZNS1_14partition_implILS5_6ELb0ES3_mN6thrust23THRUST_200600_302600_NS6detail15normal_iteratorINSA_10device_ptrIxEEEEPS6_SG_NS0_5tupleIJSF_S6_EEENSH_IJSG_SG_EEES6_PlJNSB_9not_fun_tINSB_10functional5actorINSM_9compositeIJNSM_27transparent_binary_operatorINSA_8equal_toIvEEEENSN_INSM_8argumentILj0EEEEENSM_5valueIxEEEEEEEEEEEE10hipError_tPvRmT3_T4_T5_T6_T7_T9_mT8_P12ihipStream_tbDpT10_ENKUlT_T0_E_clISt17integral_constantIbLb0EES1K_EEDaS1F_S1G_EUlS1F_E_NS1_11comp_targetILNS1_3genE5ELNS1_11target_archE942ELNS1_3gpuE9ELNS1_3repE0EEENS1_30default_config_static_selectorELNS0_4arch9wavefront6targetE0EEEvT1_.has_dyn_sized_stack, 0
	.set _ZN7rocprim17ROCPRIM_400000_NS6detail17trampoline_kernelINS0_14default_configENS1_25partition_config_selectorILNS1_17partition_subalgoE6ExNS0_10empty_typeEbEEZZNS1_14partition_implILS5_6ELb0ES3_mN6thrust23THRUST_200600_302600_NS6detail15normal_iteratorINSA_10device_ptrIxEEEEPS6_SG_NS0_5tupleIJSF_S6_EEENSH_IJSG_SG_EEES6_PlJNSB_9not_fun_tINSB_10functional5actorINSM_9compositeIJNSM_27transparent_binary_operatorINSA_8equal_toIvEEEENSN_INSM_8argumentILj0EEEEENSM_5valueIxEEEEEEEEEEEE10hipError_tPvRmT3_T4_T5_T6_T7_T9_mT8_P12ihipStream_tbDpT10_ENKUlT_T0_E_clISt17integral_constantIbLb0EES1K_EEDaS1F_S1G_EUlS1F_E_NS1_11comp_targetILNS1_3genE5ELNS1_11target_archE942ELNS1_3gpuE9ELNS1_3repE0EEENS1_30default_config_static_selectorELNS0_4arch9wavefront6targetE0EEEvT1_.has_recursion, 0
	.set _ZN7rocprim17ROCPRIM_400000_NS6detail17trampoline_kernelINS0_14default_configENS1_25partition_config_selectorILNS1_17partition_subalgoE6ExNS0_10empty_typeEbEEZZNS1_14partition_implILS5_6ELb0ES3_mN6thrust23THRUST_200600_302600_NS6detail15normal_iteratorINSA_10device_ptrIxEEEEPS6_SG_NS0_5tupleIJSF_S6_EEENSH_IJSG_SG_EEES6_PlJNSB_9not_fun_tINSB_10functional5actorINSM_9compositeIJNSM_27transparent_binary_operatorINSA_8equal_toIvEEEENSN_INSM_8argumentILj0EEEEENSM_5valueIxEEEEEEEEEEEE10hipError_tPvRmT3_T4_T5_T6_T7_T9_mT8_P12ihipStream_tbDpT10_ENKUlT_T0_E_clISt17integral_constantIbLb0EES1K_EEDaS1F_S1G_EUlS1F_E_NS1_11comp_targetILNS1_3genE5ELNS1_11target_archE942ELNS1_3gpuE9ELNS1_3repE0EEENS1_30default_config_static_selectorELNS0_4arch9wavefront6targetE0EEEvT1_.has_indirect_call, 0
	.section	.AMDGPU.csdata,"",@progbits
; Kernel info:
; codeLenInByte = 0
; TotalNumSgprs: 0
; NumVgprs: 0
; ScratchSize: 0
; MemoryBound: 0
; FloatMode: 240
; IeeeMode: 1
; LDSByteSize: 0 bytes/workgroup (compile time only)
; SGPRBlocks: 0
; VGPRBlocks: 0
; NumSGPRsForWavesPerEU: 1
; NumVGPRsForWavesPerEU: 1
; Occupancy: 16
; WaveLimiterHint : 0
; COMPUTE_PGM_RSRC2:SCRATCH_EN: 0
; COMPUTE_PGM_RSRC2:USER_SGPR: 2
; COMPUTE_PGM_RSRC2:TRAP_HANDLER: 0
; COMPUTE_PGM_RSRC2:TGID_X_EN: 1
; COMPUTE_PGM_RSRC2:TGID_Y_EN: 0
; COMPUTE_PGM_RSRC2:TGID_Z_EN: 0
; COMPUTE_PGM_RSRC2:TIDIG_COMP_CNT: 0
	.section	.text._ZN7rocprim17ROCPRIM_400000_NS6detail17trampoline_kernelINS0_14default_configENS1_25partition_config_selectorILNS1_17partition_subalgoE6ExNS0_10empty_typeEbEEZZNS1_14partition_implILS5_6ELb0ES3_mN6thrust23THRUST_200600_302600_NS6detail15normal_iteratorINSA_10device_ptrIxEEEEPS6_SG_NS0_5tupleIJSF_S6_EEENSH_IJSG_SG_EEES6_PlJNSB_9not_fun_tINSB_10functional5actorINSM_9compositeIJNSM_27transparent_binary_operatorINSA_8equal_toIvEEEENSN_INSM_8argumentILj0EEEEENSM_5valueIxEEEEEEEEEEEE10hipError_tPvRmT3_T4_T5_T6_T7_T9_mT8_P12ihipStream_tbDpT10_ENKUlT_T0_E_clISt17integral_constantIbLb0EES1K_EEDaS1F_S1G_EUlS1F_E_NS1_11comp_targetILNS1_3genE4ELNS1_11target_archE910ELNS1_3gpuE8ELNS1_3repE0EEENS1_30default_config_static_selectorELNS0_4arch9wavefront6targetE0EEEvT1_,"axG",@progbits,_ZN7rocprim17ROCPRIM_400000_NS6detail17trampoline_kernelINS0_14default_configENS1_25partition_config_selectorILNS1_17partition_subalgoE6ExNS0_10empty_typeEbEEZZNS1_14partition_implILS5_6ELb0ES3_mN6thrust23THRUST_200600_302600_NS6detail15normal_iteratorINSA_10device_ptrIxEEEEPS6_SG_NS0_5tupleIJSF_S6_EEENSH_IJSG_SG_EEES6_PlJNSB_9not_fun_tINSB_10functional5actorINSM_9compositeIJNSM_27transparent_binary_operatorINSA_8equal_toIvEEEENSN_INSM_8argumentILj0EEEEENSM_5valueIxEEEEEEEEEEEE10hipError_tPvRmT3_T4_T5_T6_T7_T9_mT8_P12ihipStream_tbDpT10_ENKUlT_T0_E_clISt17integral_constantIbLb0EES1K_EEDaS1F_S1G_EUlS1F_E_NS1_11comp_targetILNS1_3genE4ELNS1_11target_archE910ELNS1_3gpuE8ELNS1_3repE0EEENS1_30default_config_static_selectorELNS0_4arch9wavefront6targetE0EEEvT1_,comdat
	.protected	_ZN7rocprim17ROCPRIM_400000_NS6detail17trampoline_kernelINS0_14default_configENS1_25partition_config_selectorILNS1_17partition_subalgoE6ExNS0_10empty_typeEbEEZZNS1_14partition_implILS5_6ELb0ES3_mN6thrust23THRUST_200600_302600_NS6detail15normal_iteratorINSA_10device_ptrIxEEEEPS6_SG_NS0_5tupleIJSF_S6_EEENSH_IJSG_SG_EEES6_PlJNSB_9not_fun_tINSB_10functional5actorINSM_9compositeIJNSM_27transparent_binary_operatorINSA_8equal_toIvEEEENSN_INSM_8argumentILj0EEEEENSM_5valueIxEEEEEEEEEEEE10hipError_tPvRmT3_T4_T5_T6_T7_T9_mT8_P12ihipStream_tbDpT10_ENKUlT_T0_E_clISt17integral_constantIbLb0EES1K_EEDaS1F_S1G_EUlS1F_E_NS1_11comp_targetILNS1_3genE4ELNS1_11target_archE910ELNS1_3gpuE8ELNS1_3repE0EEENS1_30default_config_static_selectorELNS0_4arch9wavefront6targetE0EEEvT1_ ; -- Begin function _ZN7rocprim17ROCPRIM_400000_NS6detail17trampoline_kernelINS0_14default_configENS1_25partition_config_selectorILNS1_17partition_subalgoE6ExNS0_10empty_typeEbEEZZNS1_14partition_implILS5_6ELb0ES3_mN6thrust23THRUST_200600_302600_NS6detail15normal_iteratorINSA_10device_ptrIxEEEEPS6_SG_NS0_5tupleIJSF_S6_EEENSH_IJSG_SG_EEES6_PlJNSB_9not_fun_tINSB_10functional5actorINSM_9compositeIJNSM_27transparent_binary_operatorINSA_8equal_toIvEEEENSN_INSM_8argumentILj0EEEEENSM_5valueIxEEEEEEEEEEEE10hipError_tPvRmT3_T4_T5_T6_T7_T9_mT8_P12ihipStream_tbDpT10_ENKUlT_T0_E_clISt17integral_constantIbLb0EES1K_EEDaS1F_S1G_EUlS1F_E_NS1_11comp_targetILNS1_3genE4ELNS1_11target_archE910ELNS1_3gpuE8ELNS1_3repE0EEENS1_30default_config_static_selectorELNS0_4arch9wavefront6targetE0EEEvT1_
	.globl	_ZN7rocprim17ROCPRIM_400000_NS6detail17trampoline_kernelINS0_14default_configENS1_25partition_config_selectorILNS1_17partition_subalgoE6ExNS0_10empty_typeEbEEZZNS1_14partition_implILS5_6ELb0ES3_mN6thrust23THRUST_200600_302600_NS6detail15normal_iteratorINSA_10device_ptrIxEEEEPS6_SG_NS0_5tupleIJSF_S6_EEENSH_IJSG_SG_EEES6_PlJNSB_9not_fun_tINSB_10functional5actorINSM_9compositeIJNSM_27transparent_binary_operatorINSA_8equal_toIvEEEENSN_INSM_8argumentILj0EEEEENSM_5valueIxEEEEEEEEEEEE10hipError_tPvRmT3_T4_T5_T6_T7_T9_mT8_P12ihipStream_tbDpT10_ENKUlT_T0_E_clISt17integral_constantIbLb0EES1K_EEDaS1F_S1G_EUlS1F_E_NS1_11comp_targetILNS1_3genE4ELNS1_11target_archE910ELNS1_3gpuE8ELNS1_3repE0EEENS1_30default_config_static_selectorELNS0_4arch9wavefront6targetE0EEEvT1_
	.p2align	8
	.type	_ZN7rocprim17ROCPRIM_400000_NS6detail17trampoline_kernelINS0_14default_configENS1_25partition_config_selectorILNS1_17partition_subalgoE6ExNS0_10empty_typeEbEEZZNS1_14partition_implILS5_6ELb0ES3_mN6thrust23THRUST_200600_302600_NS6detail15normal_iteratorINSA_10device_ptrIxEEEEPS6_SG_NS0_5tupleIJSF_S6_EEENSH_IJSG_SG_EEES6_PlJNSB_9not_fun_tINSB_10functional5actorINSM_9compositeIJNSM_27transparent_binary_operatorINSA_8equal_toIvEEEENSN_INSM_8argumentILj0EEEEENSM_5valueIxEEEEEEEEEEEE10hipError_tPvRmT3_T4_T5_T6_T7_T9_mT8_P12ihipStream_tbDpT10_ENKUlT_T0_E_clISt17integral_constantIbLb0EES1K_EEDaS1F_S1G_EUlS1F_E_NS1_11comp_targetILNS1_3genE4ELNS1_11target_archE910ELNS1_3gpuE8ELNS1_3repE0EEENS1_30default_config_static_selectorELNS0_4arch9wavefront6targetE0EEEvT1_,@function
_ZN7rocprim17ROCPRIM_400000_NS6detail17trampoline_kernelINS0_14default_configENS1_25partition_config_selectorILNS1_17partition_subalgoE6ExNS0_10empty_typeEbEEZZNS1_14partition_implILS5_6ELb0ES3_mN6thrust23THRUST_200600_302600_NS6detail15normal_iteratorINSA_10device_ptrIxEEEEPS6_SG_NS0_5tupleIJSF_S6_EEENSH_IJSG_SG_EEES6_PlJNSB_9not_fun_tINSB_10functional5actorINSM_9compositeIJNSM_27transparent_binary_operatorINSA_8equal_toIvEEEENSN_INSM_8argumentILj0EEEEENSM_5valueIxEEEEEEEEEEEE10hipError_tPvRmT3_T4_T5_T6_T7_T9_mT8_P12ihipStream_tbDpT10_ENKUlT_T0_E_clISt17integral_constantIbLb0EES1K_EEDaS1F_S1G_EUlS1F_E_NS1_11comp_targetILNS1_3genE4ELNS1_11target_archE910ELNS1_3gpuE8ELNS1_3repE0EEENS1_30default_config_static_selectorELNS0_4arch9wavefront6targetE0EEEvT1_: ; @_ZN7rocprim17ROCPRIM_400000_NS6detail17trampoline_kernelINS0_14default_configENS1_25partition_config_selectorILNS1_17partition_subalgoE6ExNS0_10empty_typeEbEEZZNS1_14partition_implILS5_6ELb0ES3_mN6thrust23THRUST_200600_302600_NS6detail15normal_iteratorINSA_10device_ptrIxEEEEPS6_SG_NS0_5tupleIJSF_S6_EEENSH_IJSG_SG_EEES6_PlJNSB_9not_fun_tINSB_10functional5actorINSM_9compositeIJNSM_27transparent_binary_operatorINSA_8equal_toIvEEEENSN_INSM_8argumentILj0EEEEENSM_5valueIxEEEEEEEEEEEE10hipError_tPvRmT3_T4_T5_T6_T7_T9_mT8_P12ihipStream_tbDpT10_ENKUlT_T0_E_clISt17integral_constantIbLb0EES1K_EEDaS1F_S1G_EUlS1F_E_NS1_11comp_targetILNS1_3genE4ELNS1_11target_archE910ELNS1_3gpuE8ELNS1_3repE0EEENS1_30default_config_static_selectorELNS0_4arch9wavefront6targetE0EEEvT1_
; %bb.0:
	.section	.rodata,"a",@progbits
	.p2align	6, 0x0
	.amdhsa_kernel _ZN7rocprim17ROCPRIM_400000_NS6detail17trampoline_kernelINS0_14default_configENS1_25partition_config_selectorILNS1_17partition_subalgoE6ExNS0_10empty_typeEbEEZZNS1_14partition_implILS5_6ELb0ES3_mN6thrust23THRUST_200600_302600_NS6detail15normal_iteratorINSA_10device_ptrIxEEEEPS6_SG_NS0_5tupleIJSF_S6_EEENSH_IJSG_SG_EEES6_PlJNSB_9not_fun_tINSB_10functional5actorINSM_9compositeIJNSM_27transparent_binary_operatorINSA_8equal_toIvEEEENSN_INSM_8argumentILj0EEEEENSM_5valueIxEEEEEEEEEEEE10hipError_tPvRmT3_T4_T5_T6_T7_T9_mT8_P12ihipStream_tbDpT10_ENKUlT_T0_E_clISt17integral_constantIbLb0EES1K_EEDaS1F_S1G_EUlS1F_E_NS1_11comp_targetILNS1_3genE4ELNS1_11target_archE910ELNS1_3gpuE8ELNS1_3repE0EEENS1_30default_config_static_selectorELNS0_4arch9wavefront6targetE0EEEvT1_
		.amdhsa_group_segment_fixed_size 0
		.amdhsa_private_segment_fixed_size 0
		.amdhsa_kernarg_size 128
		.amdhsa_user_sgpr_count 2
		.amdhsa_user_sgpr_dispatch_ptr 0
		.amdhsa_user_sgpr_queue_ptr 0
		.amdhsa_user_sgpr_kernarg_segment_ptr 1
		.amdhsa_user_sgpr_dispatch_id 0
		.amdhsa_user_sgpr_private_segment_size 0
		.amdhsa_wavefront_size32 1
		.amdhsa_uses_dynamic_stack 0
		.amdhsa_enable_private_segment 0
		.amdhsa_system_sgpr_workgroup_id_x 1
		.amdhsa_system_sgpr_workgroup_id_y 0
		.amdhsa_system_sgpr_workgroup_id_z 0
		.amdhsa_system_sgpr_workgroup_info 0
		.amdhsa_system_vgpr_workitem_id 0
		.amdhsa_next_free_vgpr 1
		.amdhsa_next_free_sgpr 1
		.amdhsa_reserve_vcc 0
		.amdhsa_float_round_mode_32 0
		.amdhsa_float_round_mode_16_64 0
		.amdhsa_float_denorm_mode_32 3
		.amdhsa_float_denorm_mode_16_64 3
		.amdhsa_fp16_overflow 0
		.amdhsa_workgroup_processor_mode 1
		.amdhsa_memory_ordered 1
		.amdhsa_forward_progress 1
		.amdhsa_inst_pref_size 0
		.amdhsa_round_robin_scheduling 0
		.amdhsa_exception_fp_ieee_invalid_op 0
		.amdhsa_exception_fp_denorm_src 0
		.amdhsa_exception_fp_ieee_div_zero 0
		.amdhsa_exception_fp_ieee_overflow 0
		.amdhsa_exception_fp_ieee_underflow 0
		.amdhsa_exception_fp_ieee_inexact 0
		.amdhsa_exception_int_div_zero 0
	.end_amdhsa_kernel
	.section	.text._ZN7rocprim17ROCPRIM_400000_NS6detail17trampoline_kernelINS0_14default_configENS1_25partition_config_selectorILNS1_17partition_subalgoE6ExNS0_10empty_typeEbEEZZNS1_14partition_implILS5_6ELb0ES3_mN6thrust23THRUST_200600_302600_NS6detail15normal_iteratorINSA_10device_ptrIxEEEEPS6_SG_NS0_5tupleIJSF_S6_EEENSH_IJSG_SG_EEES6_PlJNSB_9not_fun_tINSB_10functional5actorINSM_9compositeIJNSM_27transparent_binary_operatorINSA_8equal_toIvEEEENSN_INSM_8argumentILj0EEEEENSM_5valueIxEEEEEEEEEEEE10hipError_tPvRmT3_T4_T5_T6_T7_T9_mT8_P12ihipStream_tbDpT10_ENKUlT_T0_E_clISt17integral_constantIbLb0EES1K_EEDaS1F_S1G_EUlS1F_E_NS1_11comp_targetILNS1_3genE4ELNS1_11target_archE910ELNS1_3gpuE8ELNS1_3repE0EEENS1_30default_config_static_selectorELNS0_4arch9wavefront6targetE0EEEvT1_,"axG",@progbits,_ZN7rocprim17ROCPRIM_400000_NS6detail17trampoline_kernelINS0_14default_configENS1_25partition_config_selectorILNS1_17partition_subalgoE6ExNS0_10empty_typeEbEEZZNS1_14partition_implILS5_6ELb0ES3_mN6thrust23THRUST_200600_302600_NS6detail15normal_iteratorINSA_10device_ptrIxEEEEPS6_SG_NS0_5tupleIJSF_S6_EEENSH_IJSG_SG_EEES6_PlJNSB_9not_fun_tINSB_10functional5actorINSM_9compositeIJNSM_27transparent_binary_operatorINSA_8equal_toIvEEEENSN_INSM_8argumentILj0EEEEENSM_5valueIxEEEEEEEEEEEE10hipError_tPvRmT3_T4_T5_T6_T7_T9_mT8_P12ihipStream_tbDpT10_ENKUlT_T0_E_clISt17integral_constantIbLb0EES1K_EEDaS1F_S1G_EUlS1F_E_NS1_11comp_targetILNS1_3genE4ELNS1_11target_archE910ELNS1_3gpuE8ELNS1_3repE0EEENS1_30default_config_static_selectorELNS0_4arch9wavefront6targetE0EEEvT1_,comdat
.Lfunc_end181:
	.size	_ZN7rocprim17ROCPRIM_400000_NS6detail17trampoline_kernelINS0_14default_configENS1_25partition_config_selectorILNS1_17partition_subalgoE6ExNS0_10empty_typeEbEEZZNS1_14partition_implILS5_6ELb0ES3_mN6thrust23THRUST_200600_302600_NS6detail15normal_iteratorINSA_10device_ptrIxEEEEPS6_SG_NS0_5tupleIJSF_S6_EEENSH_IJSG_SG_EEES6_PlJNSB_9not_fun_tINSB_10functional5actorINSM_9compositeIJNSM_27transparent_binary_operatorINSA_8equal_toIvEEEENSN_INSM_8argumentILj0EEEEENSM_5valueIxEEEEEEEEEEEE10hipError_tPvRmT3_T4_T5_T6_T7_T9_mT8_P12ihipStream_tbDpT10_ENKUlT_T0_E_clISt17integral_constantIbLb0EES1K_EEDaS1F_S1G_EUlS1F_E_NS1_11comp_targetILNS1_3genE4ELNS1_11target_archE910ELNS1_3gpuE8ELNS1_3repE0EEENS1_30default_config_static_selectorELNS0_4arch9wavefront6targetE0EEEvT1_, .Lfunc_end181-_ZN7rocprim17ROCPRIM_400000_NS6detail17trampoline_kernelINS0_14default_configENS1_25partition_config_selectorILNS1_17partition_subalgoE6ExNS0_10empty_typeEbEEZZNS1_14partition_implILS5_6ELb0ES3_mN6thrust23THRUST_200600_302600_NS6detail15normal_iteratorINSA_10device_ptrIxEEEEPS6_SG_NS0_5tupleIJSF_S6_EEENSH_IJSG_SG_EEES6_PlJNSB_9not_fun_tINSB_10functional5actorINSM_9compositeIJNSM_27transparent_binary_operatorINSA_8equal_toIvEEEENSN_INSM_8argumentILj0EEEEENSM_5valueIxEEEEEEEEEEEE10hipError_tPvRmT3_T4_T5_T6_T7_T9_mT8_P12ihipStream_tbDpT10_ENKUlT_T0_E_clISt17integral_constantIbLb0EES1K_EEDaS1F_S1G_EUlS1F_E_NS1_11comp_targetILNS1_3genE4ELNS1_11target_archE910ELNS1_3gpuE8ELNS1_3repE0EEENS1_30default_config_static_selectorELNS0_4arch9wavefront6targetE0EEEvT1_
                                        ; -- End function
	.set _ZN7rocprim17ROCPRIM_400000_NS6detail17trampoline_kernelINS0_14default_configENS1_25partition_config_selectorILNS1_17partition_subalgoE6ExNS0_10empty_typeEbEEZZNS1_14partition_implILS5_6ELb0ES3_mN6thrust23THRUST_200600_302600_NS6detail15normal_iteratorINSA_10device_ptrIxEEEEPS6_SG_NS0_5tupleIJSF_S6_EEENSH_IJSG_SG_EEES6_PlJNSB_9not_fun_tINSB_10functional5actorINSM_9compositeIJNSM_27transparent_binary_operatorINSA_8equal_toIvEEEENSN_INSM_8argumentILj0EEEEENSM_5valueIxEEEEEEEEEEEE10hipError_tPvRmT3_T4_T5_T6_T7_T9_mT8_P12ihipStream_tbDpT10_ENKUlT_T0_E_clISt17integral_constantIbLb0EES1K_EEDaS1F_S1G_EUlS1F_E_NS1_11comp_targetILNS1_3genE4ELNS1_11target_archE910ELNS1_3gpuE8ELNS1_3repE0EEENS1_30default_config_static_selectorELNS0_4arch9wavefront6targetE0EEEvT1_.num_vgpr, 0
	.set _ZN7rocprim17ROCPRIM_400000_NS6detail17trampoline_kernelINS0_14default_configENS1_25partition_config_selectorILNS1_17partition_subalgoE6ExNS0_10empty_typeEbEEZZNS1_14partition_implILS5_6ELb0ES3_mN6thrust23THRUST_200600_302600_NS6detail15normal_iteratorINSA_10device_ptrIxEEEEPS6_SG_NS0_5tupleIJSF_S6_EEENSH_IJSG_SG_EEES6_PlJNSB_9not_fun_tINSB_10functional5actorINSM_9compositeIJNSM_27transparent_binary_operatorINSA_8equal_toIvEEEENSN_INSM_8argumentILj0EEEEENSM_5valueIxEEEEEEEEEEEE10hipError_tPvRmT3_T4_T5_T6_T7_T9_mT8_P12ihipStream_tbDpT10_ENKUlT_T0_E_clISt17integral_constantIbLb0EES1K_EEDaS1F_S1G_EUlS1F_E_NS1_11comp_targetILNS1_3genE4ELNS1_11target_archE910ELNS1_3gpuE8ELNS1_3repE0EEENS1_30default_config_static_selectorELNS0_4arch9wavefront6targetE0EEEvT1_.num_agpr, 0
	.set _ZN7rocprim17ROCPRIM_400000_NS6detail17trampoline_kernelINS0_14default_configENS1_25partition_config_selectorILNS1_17partition_subalgoE6ExNS0_10empty_typeEbEEZZNS1_14partition_implILS5_6ELb0ES3_mN6thrust23THRUST_200600_302600_NS6detail15normal_iteratorINSA_10device_ptrIxEEEEPS6_SG_NS0_5tupleIJSF_S6_EEENSH_IJSG_SG_EEES6_PlJNSB_9not_fun_tINSB_10functional5actorINSM_9compositeIJNSM_27transparent_binary_operatorINSA_8equal_toIvEEEENSN_INSM_8argumentILj0EEEEENSM_5valueIxEEEEEEEEEEEE10hipError_tPvRmT3_T4_T5_T6_T7_T9_mT8_P12ihipStream_tbDpT10_ENKUlT_T0_E_clISt17integral_constantIbLb0EES1K_EEDaS1F_S1G_EUlS1F_E_NS1_11comp_targetILNS1_3genE4ELNS1_11target_archE910ELNS1_3gpuE8ELNS1_3repE0EEENS1_30default_config_static_selectorELNS0_4arch9wavefront6targetE0EEEvT1_.numbered_sgpr, 0
	.set _ZN7rocprim17ROCPRIM_400000_NS6detail17trampoline_kernelINS0_14default_configENS1_25partition_config_selectorILNS1_17partition_subalgoE6ExNS0_10empty_typeEbEEZZNS1_14partition_implILS5_6ELb0ES3_mN6thrust23THRUST_200600_302600_NS6detail15normal_iteratorINSA_10device_ptrIxEEEEPS6_SG_NS0_5tupleIJSF_S6_EEENSH_IJSG_SG_EEES6_PlJNSB_9not_fun_tINSB_10functional5actorINSM_9compositeIJNSM_27transparent_binary_operatorINSA_8equal_toIvEEEENSN_INSM_8argumentILj0EEEEENSM_5valueIxEEEEEEEEEEEE10hipError_tPvRmT3_T4_T5_T6_T7_T9_mT8_P12ihipStream_tbDpT10_ENKUlT_T0_E_clISt17integral_constantIbLb0EES1K_EEDaS1F_S1G_EUlS1F_E_NS1_11comp_targetILNS1_3genE4ELNS1_11target_archE910ELNS1_3gpuE8ELNS1_3repE0EEENS1_30default_config_static_selectorELNS0_4arch9wavefront6targetE0EEEvT1_.num_named_barrier, 0
	.set _ZN7rocprim17ROCPRIM_400000_NS6detail17trampoline_kernelINS0_14default_configENS1_25partition_config_selectorILNS1_17partition_subalgoE6ExNS0_10empty_typeEbEEZZNS1_14partition_implILS5_6ELb0ES3_mN6thrust23THRUST_200600_302600_NS6detail15normal_iteratorINSA_10device_ptrIxEEEEPS6_SG_NS0_5tupleIJSF_S6_EEENSH_IJSG_SG_EEES6_PlJNSB_9not_fun_tINSB_10functional5actorINSM_9compositeIJNSM_27transparent_binary_operatorINSA_8equal_toIvEEEENSN_INSM_8argumentILj0EEEEENSM_5valueIxEEEEEEEEEEEE10hipError_tPvRmT3_T4_T5_T6_T7_T9_mT8_P12ihipStream_tbDpT10_ENKUlT_T0_E_clISt17integral_constantIbLb0EES1K_EEDaS1F_S1G_EUlS1F_E_NS1_11comp_targetILNS1_3genE4ELNS1_11target_archE910ELNS1_3gpuE8ELNS1_3repE0EEENS1_30default_config_static_selectorELNS0_4arch9wavefront6targetE0EEEvT1_.private_seg_size, 0
	.set _ZN7rocprim17ROCPRIM_400000_NS6detail17trampoline_kernelINS0_14default_configENS1_25partition_config_selectorILNS1_17partition_subalgoE6ExNS0_10empty_typeEbEEZZNS1_14partition_implILS5_6ELb0ES3_mN6thrust23THRUST_200600_302600_NS6detail15normal_iteratorINSA_10device_ptrIxEEEEPS6_SG_NS0_5tupleIJSF_S6_EEENSH_IJSG_SG_EEES6_PlJNSB_9not_fun_tINSB_10functional5actorINSM_9compositeIJNSM_27transparent_binary_operatorINSA_8equal_toIvEEEENSN_INSM_8argumentILj0EEEEENSM_5valueIxEEEEEEEEEEEE10hipError_tPvRmT3_T4_T5_T6_T7_T9_mT8_P12ihipStream_tbDpT10_ENKUlT_T0_E_clISt17integral_constantIbLb0EES1K_EEDaS1F_S1G_EUlS1F_E_NS1_11comp_targetILNS1_3genE4ELNS1_11target_archE910ELNS1_3gpuE8ELNS1_3repE0EEENS1_30default_config_static_selectorELNS0_4arch9wavefront6targetE0EEEvT1_.uses_vcc, 0
	.set _ZN7rocprim17ROCPRIM_400000_NS6detail17trampoline_kernelINS0_14default_configENS1_25partition_config_selectorILNS1_17partition_subalgoE6ExNS0_10empty_typeEbEEZZNS1_14partition_implILS5_6ELb0ES3_mN6thrust23THRUST_200600_302600_NS6detail15normal_iteratorINSA_10device_ptrIxEEEEPS6_SG_NS0_5tupleIJSF_S6_EEENSH_IJSG_SG_EEES6_PlJNSB_9not_fun_tINSB_10functional5actorINSM_9compositeIJNSM_27transparent_binary_operatorINSA_8equal_toIvEEEENSN_INSM_8argumentILj0EEEEENSM_5valueIxEEEEEEEEEEEE10hipError_tPvRmT3_T4_T5_T6_T7_T9_mT8_P12ihipStream_tbDpT10_ENKUlT_T0_E_clISt17integral_constantIbLb0EES1K_EEDaS1F_S1G_EUlS1F_E_NS1_11comp_targetILNS1_3genE4ELNS1_11target_archE910ELNS1_3gpuE8ELNS1_3repE0EEENS1_30default_config_static_selectorELNS0_4arch9wavefront6targetE0EEEvT1_.uses_flat_scratch, 0
	.set _ZN7rocprim17ROCPRIM_400000_NS6detail17trampoline_kernelINS0_14default_configENS1_25partition_config_selectorILNS1_17partition_subalgoE6ExNS0_10empty_typeEbEEZZNS1_14partition_implILS5_6ELb0ES3_mN6thrust23THRUST_200600_302600_NS6detail15normal_iteratorINSA_10device_ptrIxEEEEPS6_SG_NS0_5tupleIJSF_S6_EEENSH_IJSG_SG_EEES6_PlJNSB_9not_fun_tINSB_10functional5actorINSM_9compositeIJNSM_27transparent_binary_operatorINSA_8equal_toIvEEEENSN_INSM_8argumentILj0EEEEENSM_5valueIxEEEEEEEEEEEE10hipError_tPvRmT3_T4_T5_T6_T7_T9_mT8_P12ihipStream_tbDpT10_ENKUlT_T0_E_clISt17integral_constantIbLb0EES1K_EEDaS1F_S1G_EUlS1F_E_NS1_11comp_targetILNS1_3genE4ELNS1_11target_archE910ELNS1_3gpuE8ELNS1_3repE0EEENS1_30default_config_static_selectorELNS0_4arch9wavefront6targetE0EEEvT1_.has_dyn_sized_stack, 0
	.set _ZN7rocprim17ROCPRIM_400000_NS6detail17trampoline_kernelINS0_14default_configENS1_25partition_config_selectorILNS1_17partition_subalgoE6ExNS0_10empty_typeEbEEZZNS1_14partition_implILS5_6ELb0ES3_mN6thrust23THRUST_200600_302600_NS6detail15normal_iteratorINSA_10device_ptrIxEEEEPS6_SG_NS0_5tupleIJSF_S6_EEENSH_IJSG_SG_EEES6_PlJNSB_9not_fun_tINSB_10functional5actorINSM_9compositeIJNSM_27transparent_binary_operatorINSA_8equal_toIvEEEENSN_INSM_8argumentILj0EEEEENSM_5valueIxEEEEEEEEEEEE10hipError_tPvRmT3_T4_T5_T6_T7_T9_mT8_P12ihipStream_tbDpT10_ENKUlT_T0_E_clISt17integral_constantIbLb0EES1K_EEDaS1F_S1G_EUlS1F_E_NS1_11comp_targetILNS1_3genE4ELNS1_11target_archE910ELNS1_3gpuE8ELNS1_3repE0EEENS1_30default_config_static_selectorELNS0_4arch9wavefront6targetE0EEEvT1_.has_recursion, 0
	.set _ZN7rocprim17ROCPRIM_400000_NS6detail17trampoline_kernelINS0_14default_configENS1_25partition_config_selectorILNS1_17partition_subalgoE6ExNS0_10empty_typeEbEEZZNS1_14partition_implILS5_6ELb0ES3_mN6thrust23THRUST_200600_302600_NS6detail15normal_iteratorINSA_10device_ptrIxEEEEPS6_SG_NS0_5tupleIJSF_S6_EEENSH_IJSG_SG_EEES6_PlJNSB_9not_fun_tINSB_10functional5actorINSM_9compositeIJNSM_27transparent_binary_operatorINSA_8equal_toIvEEEENSN_INSM_8argumentILj0EEEEENSM_5valueIxEEEEEEEEEEEE10hipError_tPvRmT3_T4_T5_T6_T7_T9_mT8_P12ihipStream_tbDpT10_ENKUlT_T0_E_clISt17integral_constantIbLb0EES1K_EEDaS1F_S1G_EUlS1F_E_NS1_11comp_targetILNS1_3genE4ELNS1_11target_archE910ELNS1_3gpuE8ELNS1_3repE0EEENS1_30default_config_static_selectorELNS0_4arch9wavefront6targetE0EEEvT1_.has_indirect_call, 0
	.section	.AMDGPU.csdata,"",@progbits
; Kernel info:
; codeLenInByte = 0
; TotalNumSgprs: 0
; NumVgprs: 0
; ScratchSize: 0
; MemoryBound: 0
; FloatMode: 240
; IeeeMode: 1
; LDSByteSize: 0 bytes/workgroup (compile time only)
; SGPRBlocks: 0
; VGPRBlocks: 0
; NumSGPRsForWavesPerEU: 1
; NumVGPRsForWavesPerEU: 1
; Occupancy: 16
; WaveLimiterHint : 0
; COMPUTE_PGM_RSRC2:SCRATCH_EN: 0
; COMPUTE_PGM_RSRC2:USER_SGPR: 2
; COMPUTE_PGM_RSRC2:TRAP_HANDLER: 0
; COMPUTE_PGM_RSRC2:TGID_X_EN: 1
; COMPUTE_PGM_RSRC2:TGID_Y_EN: 0
; COMPUTE_PGM_RSRC2:TGID_Z_EN: 0
; COMPUTE_PGM_RSRC2:TIDIG_COMP_CNT: 0
	.section	.text._ZN7rocprim17ROCPRIM_400000_NS6detail17trampoline_kernelINS0_14default_configENS1_25partition_config_selectorILNS1_17partition_subalgoE6ExNS0_10empty_typeEbEEZZNS1_14partition_implILS5_6ELb0ES3_mN6thrust23THRUST_200600_302600_NS6detail15normal_iteratorINSA_10device_ptrIxEEEEPS6_SG_NS0_5tupleIJSF_S6_EEENSH_IJSG_SG_EEES6_PlJNSB_9not_fun_tINSB_10functional5actorINSM_9compositeIJNSM_27transparent_binary_operatorINSA_8equal_toIvEEEENSN_INSM_8argumentILj0EEEEENSM_5valueIxEEEEEEEEEEEE10hipError_tPvRmT3_T4_T5_T6_T7_T9_mT8_P12ihipStream_tbDpT10_ENKUlT_T0_E_clISt17integral_constantIbLb0EES1K_EEDaS1F_S1G_EUlS1F_E_NS1_11comp_targetILNS1_3genE3ELNS1_11target_archE908ELNS1_3gpuE7ELNS1_3repE0EEENS1_30default_config_static_selectorELNS0_4arch9wavefront6targetE0EEEvT1_,"axG",@progbits,_ZN7rocprim17ROCPRIM_400000_NS6detail17trampoline_kernelINS0_14default_configENS1_25partition_config_selectorILNS1_17partition_subalgoE6ExNS0_10empty_typeEbEEZZNS1_14partition_implILS5_6ELb0ES3_mN6thrust23THRUST_200600_302600_NS6detail15normal_iteratorINSA_10device_ptrIxEEEEPS6_SG_NS0_5tupleIJSF_S6_EEENSH_IJSG_SG_EEES6_PlJNSB_9not_fun_tINSB_10functional5actorINSM_9compositeIJNSM_27transparent_binary_operatorINSA_8equal_toIvEEEENSN_INSM_8argumentILj0EEEEENSM_5valueIxEEEEEEEEEEEE10hipError_tPvRmT3_T4_T5_T6_T7_T9_mT8_P12ihipStream_tbDpT10_ENKUlT_T0_E_clISt17integral_constantIbLb0EES1K_EEDaS1F_S1G_EUlS1F_E_NS1_11comp_targetILNS1_3genE3ELNS1_11target_archE908ELNS1_3gpuE7ELNS1_3repE0EEENS1_30default_config_static_selectorELNS0_4arch9wavefront6targetE0EEEvT1_,comdat
	.protected	_ZN7rocprim17ROCPRIM_400000_NS6detail17trampoline_kernelINS0_14default_configENS1_25partition_config_selectorILNS1_17partition_subalgoE6ExNS0_10empty_typeEbEEZZNS1_14partition_implILS5_6ELb0ES3_mN6thrust23THRUST_200600_302600_NS6detail15normal_iteratorINSA_10device_ptrIxEEEEPS6_SG_NS0_5tupleIJSF_S6_EEENSH_IJSG_SG_EEES6_PlJNSB_9not_fun_tINSB_10functional5actorINSM_9compositeIJNSM_27transparent_binary_operatorINSA_8equal_toIvEEEENSN_INSM_8argumentILj0EEEEENSM_5valueIxEEEEEEEEEEEE10hipError_tPvRmT3_T4_T5_T6_T7_T9_mT8_P12ihipStream_tbDpT10_ENKUlT_T0_E_clISt17integral_constantIbLb0EES1K_EEDaS1F_S1G_EUlS1F_E_NS1_11comp_targetILNS1_3genE3ELNS1_11target_archE908ELNS1_3gpuE7ELNS1_3repE0EEENS1_30default_config_static_selectorELNS0_4arch9wavefront6targetE0EEEvT1_ ; -- Begin function _ZN7rocprim17ROCPRIM_400000_NS6detail17trampoline_kernelINS0_14default_configENS1_25partition_config_selectorILNS1_17partition_subalgoE6ExNS0_10empty_typeEbEEZZNS1_14partition_implILS5_6ELb0ES3_mN6thrust23THRUST_200600_302600_NS6detail15normal_iteratorINSA_10device_ptrIxEEEEPS6_SG_NS0_5tupleIJSF_S6_EEENSH_IJSG_SG_EEES6_PlJNSB_9not_fun_tINSB_10functional5actorINSM_9compositeIJNSM_27transparent_binary_operatorINSA_8equal_toIvEEEENSN_INSM_8argumentILj0EEEEENSM_5valueIxEEEEEEEEEEEE10hipError_tPvRmT3_T4_T5_T6_T7_T9_mT8_P12ihipStream_tbDpT10_ENKUlT_T0_E_clISt17integral_constantIbLb0EES1K_EEDaS1F_S1G_EUlS1F_E_NS1_11comp_targetILNS1_3genE3ELNS1_11target_archE908ELNS1_3gpuE7ELNS1_3repE0EEENS1_30default_config_static_selectorELNS0_4arch9wavefront6targetE0EEEvT1_
	.globl	_ZN7rocprim17ROCPRIM_400000_NS6detail17trampoline_kernelINS0_14default_configENS1_25partition_config_selectorILNS1_17partition_subalgoE6ExNS0_10empty_typeEbEEZZNS1_14partition_implILS5_6ELb0ES3_mN6thrust23THRUST_200600_302600_NS6detail15normal_iteratorINSA_10device_ptrIxEEEEPS6_SG_NS0_5tupleIJSF_S6_EEENSH_IJSG_SG_EEES6_PlJNSB_9not_fun_tINSB_10functional5actorINSM_9compositeIJNSM_27transparent_binary_operatorINSA_8equal_toIvEEEENSN_INSM_8argumentILj0EEEEENSM_5valueIxEEEEEEEEEEEE10hipError_tPvRmT3_T4_T5_T6_T7_T9_mT8_P12ihipStream_tbDpT10_ENKUlT_T0_E_clISt17integral_constantIbLb0EES1K_EEDaS1F_S1G_EUlS1F_E_NS1_11comp_targetILNS1_3genE3ELNS1_11target_archE908ELNS1_3gpuE7ELNS1_3repE0EEENS1_30default_config_static_selectorELNS0_4arch9wavefront6targetE0EEEvT1_
	.p2align	8
	.type	_ZN7rocprim17ROCPRIM_400000_NS6detail17trampoline_kernelINS0_14default_configENS1_25partition_config_selectorILNS1_17partition_subalgoE6ExNS0_10empty_typeEbEEZZNS1_14partition_implILS5_6ELb0ES3_mN6thrust23THRUST_200600_302600_NS6detail15normal_iteratorINSA_10device_ptrIxEEEEPS6_SG_NS0_5tupleIJSF_S6_EEENSH_IJSG_SG_EEES6_PlJNSB_9not_fun_tINSB_10functional5actorINSM_9compositeIJNSM_27transparent_binary_operatorINSA_8equal_toIvEEEENSN_INSM_8argumentILj0EEEEENSM_5valueIxEEEEEEEEEEEE10hipError_tPvRmT3_T4_T5_T6_T7_T9_mT8_P12ihipStream_tbDpT10_ENKUlT_T0_E_clISt17integral_constantIbLb0EES1K_EEDaS1F_S1G_EUlS1F_E_NS1_11comp_targetILNS1_3genE3ELNS1_11target_archE908ELNS1_3gpuE7ELNS1_3repE0EEENS1_30default_config_static_selectorELNS0_4arch9wavefront6targetE0EEEvT1_,@function
_ZN7rocprim17ROCPRIM_400000_NS6detail17trampoline_kernelINS0_14default_configENS1_25partition_config_selectorILNS1_17partition_subalgoE6ExNS0_10empty_typeEbEEZZNS1_14partition_implILS5_6ELb0ES3_mN6thrust23THRUST_200600_302600_NS6detail15normal_iteratorINSA_10device_ptrIxEEEEPS6_SG_NS0_5tupleIJSF_S6_EEENSH_IJSG_SG_EEES6_PlJNSB_9not_fun_tINSB_10functional5actorINSM_9compositeIJNSM_27transparent_binary_operatorINSA_8equal_toIvEEEENSN_INSM_8argumentILj0EEEEENSM_5valueIxEEEEEEEEEEEE10hipError_tPvRmT3_T4_T5_T6_T7_T9_mT8_P12ihipStream_tbDpT10_ENKUlT_T0_E_clISt17integral_constantIbLb0EES1K_EEDaS1F_S1G_EUlS1F_E_NS1_11comp_targetILNS1_3genE3ELNS1_11target_archE908ELNS1_3gpuE7ELNS1_3repE0EEENS1_30default_config_static_selectorELNS0_4arch9wavefront6targetE0EEEvT1_: ; @_ZN7rocprim17ROCPRIM_400000_NS6detail17trampoline_kernelINS0_14default_configENS1_25partition_config_selectorILNS1_17partition_subalgoE6ExNS0_10empty_typeEbEEZZNS1_14partition_implILS5_6ELb0ES3_mN6thrust23THRUST_200600_302600_NS6detail15normal_iteratorINSA_10device_ptrIxEEEEPS6_SG_NS0_5tupleIJSF_S6_EEENSH_IJSG_SG_EEES6_PlJNSB_9not_fun_tINSB_10functional5actorINSM_9compositeIJNSM_27transparent_binary_operatorINSA_8equal_toIvEEEENSN_INSM_8argumentILj0EEEEENSM_5valueIxEEEEEEEEEEEE10hipError_tPvRmT3_T4_T5_T6_T7_T9_mT8_P12ihipStream_tbDpT10_ENKUlT_T0_E_clISt17integral_constantIbLb0EES1K_EEDaS1F_S1G_EUlS1F_E_NS1_11comp_targetILNS1_3genE3ELNS1_11target_archE908ELNS1_3gpuE7ELNS1_3repE0EEENS1_30default_config_static_selectorELNS0_4arch9wavefront6targetE0EEEvT1_
; %bb.0:
	.section	.rodata,"a",@progbits
	.p2align	6, 0x0
	.amdhsa_kernel _ZN7rocprim17ROCPRIM_400000_NS6detail17trampoline_kernelINS0_14default_configENS1_25partition_config_selectorILNS1_17partition_subalgoE6ExNS0_10empty_typeEbEEZZNS1_14partition_implILS5_6ELb0ES3_mN6thrust23THRUST_200600_302600_NS6detail15normal_iteratorINSA_10device_ptrIxEEEEPS6_SG_NS0_5tupleIJSF_S6_EEENSH_IJSG_SG_EEES6_PlJNSB_9not_fun_tINSB_10functional5actorINSM_9compositeIJNSM_27transparent_binary_operatorINSA_8equal_toIvEEEENSN_INSM_8argumentILj0EEEEENSM_5valueIxEEEEEEEEEEEE10hipError_tPvRmT3_T4_T5_T6_T7_T9_mT8_P12ihipStream_tbDpT10_ENKUlT_T0_E_clISt17integral_constantIbLb0EES1K_EEDaS1F_S1G_EUlS1F_E_NS1_11comp_targetILNS1_3genE3ELNS1_11target_archE908ELNS1_3gpuE7ELNS1_3repE0EEENS1_30default_config_static_selectorELNS0_4arch9wavefront6targetE0EEEvT1_
		.amdhsa_group_segment_fixed_size 0
		.amdhsa_private_segment_fixed_size 0
		.amdhsa_kernarg_size 128
		.amdhsa_user_sgpr_count 2
		.amdhsa_user_sgpr_dispatch_ptr 0
		.amdhsa_user_sgpr_queue_ptr 0
		.amdhsa_user_sgpr_kernarg_segment_ptr 1
		.amdhsa_user_sgpr_dispatch_id 0
		.amdhsa_user_sgpr_private_segment_size 0
		.amdhsa_wavefront_size32 1
		.amdhsa_uses_dynamic_stack 0
		.amdhsa_enable_private_segment 0
		.amdhsa_system_sgpr_workgroup_id_x 1
		.amdhsa_system_sgpr_workgroup_id_y 0
		.amdhsa_system_sgpr_workgroup_id_z 0
		.amdhsa_system_sgpr_workgroup_info 0
		.amdhsa_system_vgpr_workitem_id 0
		.amdhsa_next_free_vgpr 1
		.amdhsa_next_free_sgpr 1
		.amdhsa_reserve_vcc 0
		.amdhsa_float_round_mode_32 0
		.amdhsa_float_round_mode_16_64 0
		.amdhsa_float_denorm_mode_32 3
		.amdhsa_float_denorm_mode_16_64 3
		.amdhsa_fp16_overflow 0
		.amdhsa_workgroup_processor_mode 1
		.amdhsa_memory_ordered 1
		.amdhsa_forward_progress 1
		.amdhsa_inst_pref_size 0
		.amdhsa_round_robin_scheduling 0
		.amdhsa_exception_fp_ieee_invalid_op 0
		.amdhsa_exception_fp_denorm_src 0
		.amdhsa_exception_fp_ieee_div_zero 0
		.amdhsa_exception_fp_ieee_overflow 0
		.amdhsa_exception_fp_ieee_underflow 0
		.amdhsa_exception_fp_ieee_inexact 0
		.amdhsa_exception_int_div_zero 0
	.end_amdhsa_kernel
	.section	.text._ZN7rocprim17ROCPRIM_400000_NS6detail17trampoline_kernelINS0_14default_configENS1_25partition_config_selectorILNS1_17partition_subalgoE6ExNS0_10empty_typeEbEEZZNS1_14partition_implILS5_6ELb0ES3_mN6thrust23THRUST_200600_302600_NS6detail15normal_iteratorINSA_10device_ptrIxEEEEPS6_SG_NS0_5tupleIJSF_S6_EEENSH_IJSG_SG_EEES6_PlJNSB_9not_fun_tINSB_10functional5actorINSM_9compositeIJNSM_27transparent_binary_operatorINSA_8equal_toIvEEEENSN_INSM_8argumentILj0EEEEENSM_5valueIxEEEEEEEEEEEE10hipError_tPvRmT3_T4_T5_T6_T7_T9_mT8_P12ihipStream_tbDpT10_ENKUlT_T0_E_clISt17integral_constantIbLb0EES1K_EEDaS1F_S1G_EUlS1F_E_NS1_11comp_targetILNS1_3genE3ELNS1_11target_archE908ELNS1_3gpuE7ELNS1_3repE0EEENS1_30default_config_static_selectorELNS0_4arch9wavefront6targetE0EEEvT1_,"axG",@progbits,_ZN7rocprim17ROCPRIM_400000_NS6detail17trampoline_kernelINS0_14default_configENS1_25partition_config_selectorILNS1_17partition_subalgoE6ExNS0_10empty_typeEbEEZZNS1_14partition_implILS5_6ELb0ES3_mN6thrust23THRUST_200600_302600_NS6detail15normal_iteratorINSA_10device_ptrIxEEEEPS6_SG_NS0_5tupleIJSF_S6_EEENSH_IJSG_SG_EEES6_PlJNSB_9not_fun_tINSB_10functional5actorINSM_9compositeIJNSM_27transparent_binary_operatorINSA_8equal_toIvEEEENSN_INSM_8argumentILj0EEEEENSM_5valueIxEEEEEEEEEEEE10hipError_tPvRmT3_T4_T5_T6_T7_T9_mT8_P12ihipStream_tbDpT10_ENKUlT_T0_E_clISt17integral_constantIbLb0EES1K_EEDaS1F_S1G_EUlS1F_E_NS1_11comp_targetILNS1_3genE3ELNS1_11target_archE908ELNS1_3gpuE7ELNS1_3repE0EEENS1_30default_config_static_selectorELNS0_4arch9wavefront6targetE0EEEvT1_,comdat
.Lfunc_end182:
	.size	_ZN7rocprim17ROCPRIM_400000_NS6detail17trampoline_kernelINS0_14default_configENS1_25partition_config_selectorILNS1_17partition_subalgoE6ExNS0_10empty_typeEbEEZZNS1_14partition_implILS5_6ELb0ES3_mN6thrust23THRUST_200600_302600_NS6detail15normal_iteratorINSA_10device_ptrIxEEEEPS6_SG_NS0_5tupleIJSF_S6_EEENSH_IJSG_SG_EEES6_PlJNSB_9not_fun_tINSB_10functional5actorINSM_9compositeIJNSM_27transparent_binary_operatorINSA_8equal_toIvEEEENSN_INSM_8argumentILj0EEEEENSM_5valueIxEEEEEEEEEEEE10hipError_tPvRmT3_T4_T5_T6_T7_T9_mT8_P12ihipStream_tbDpT10_ENKUlT_T0_E_clISt17integral_constantIbLb0EES1K_EEDaS1F_S1G_EUlS1F_E_NS1_11comp_targetILNS1_3genE3ELNS1_11target_archE908ELNS1_3gpuE7ELNS1_3repE0EEENS1_30default_config_static_selectorELNS0_4arch9wavefront6targetE0EEEvT1_, .Lfunc_end182-_ZN7rocprim17ROCPRIM_400000_NS6detail17trampoline_kernelINS0_14default_configENS1_25partition_config_selectorILNS1_17partition_subalgoE6ExNS0_10empty_typeEbEEZZNS1_14partition_implILS5_6ELb0ES3_mN6thrust23THRUST_200600_302600_NS6detail15normal_iteratorINSA_10device_ptrIxEEEEPS6_SG_NS0_5tupleIJSF_S6_EEENSH_IJSG_SG_EEES6_PlJNSB_9not_fun_tINSB_10functional5actorINSM_9compositeIJNSM_27transparent_binary_operatorINSA_8equal_toIvEEEENSN_INSM_8argumentILj0EEEEENSM_5valueIxEEEEEEEEEEEE10hipError_tPvRmT3_T4_T5_T6_T7_T9_mT8_P12ihipStream_tbDpT10_ENKUlT_T0_E_clISt17integral_constantIbLb0EES1K_EEDaS1F_S1G_EUlS1F_E_NS1_11comp_targetILNS1_3genE3ELNS1_11target_archE908ELNS1_3gpuE7ELNS1_3repE0EEENS1_30default_config_static_selectorELNS0_4arch9wavefront6targetE0EEEvT1_
                                        ; -- End function
	.set _ZN7rocprim17ROCPRIM_400000_NS6detail17trampoline_kernelINS0_14default_configENS1_25partition_config_selectorILNS1_17partition_subalgoE6ExNS0_10empty_typeEbEEZZNS1_14partition_implILS5_6ELb0ES3_mN6thrust23THRUST_200600_302600_NS6detail15normal_iteratorINSA_10device_ptrIxEEEEPS6_SG_NS0_5tupleIJSF_S6_EEENSH_IJSG_SG_EEES6_PlJNSB_9not_fun_tINSB_10functional5actorINSM_9compositeIJNSM_27transparent_binary_operatorINSA_8equal_toIvEEEENSN_INSM_8argumentILj0EEEEENSM_5valueIxEEEEEEEEEEEE10hipError_tPvRmT3_T4_T5_T6_T7_T9_mT8_P12ihipStream_tbDpT10_ENKUlT_T0_E_clISt17integral_constantIbLb0EES1K_EEDaS1F_S1G_EUlS1F_E_NS1_11comp_targetILNS1_3genE3ELNS1_11target_archE908ELNS1_3gpuE7ELNS1_3repE0EEENS1_30default_config_static_selectorELNS0_4arch9wavefront6targetE0EEEvT1_.num_vgpr, 0
	.set _ZN7rocprim17ROCPRIM_400000_NS6detail17trampoline_kernelINS0_14default_configENS1_25partition_config_selectorILNS1_17partition_subalgoE6ExNS0_10empty_typeEbEEZZNS1_14partition_implILS5_6ELb0ES3_mN6thrust23THRUST_200600_302600_NS6detail15normal_iteratorINSA_10device_ptrIxEEEEPS6_SG_NS0_5tupleIJSF_S6_EEENSH_IJSG_SG_EEES6_PlJNSB_9not_fun_tINSB_10functional5actorINSM_9compositeIJNSM_27transparent_binary_operatorINSA_8equal_toIvEEEENSN_INSM_8argumentILj0EEEEENSM_5valueIxEEEEEEEEEEEE10hipError_tPvRmT3_T4_T5_T6_T7_T9_mT8_P12ihipStream_tbDpT10_ENKUlT_T0_E_clISt17integral_constantIbLb0EES1K_EEDaS1F_S1G_EUlS1F_E_NS1_11comp_targetILNS1_3genE3ELNS1_11target_archE908ELNS1_3gpuE7ELNS1_3repE0EEENS1_30default_config_static_selectorELNS0_4arch9wavefront6targetE0EEEvT1_.num_agpr, 0
	.set _ZN7rocprim17ROCPRIM_400000_NS6detail17trampoline_kernelINS0_14default_configENS1_25partition_config_selectorILNS1_17partition_subalgoE6ExNS0_10empty_typeEbEEZZNS1_14partition_implILS5_6ELb0ES3_mN6thrust23THRUST_200600_302600_NS6detail15normal_iteratorINSA_10device_ptrIxEEEEPS6_SG_NS0_5tupleIJSF_S6_EEENSH_IJSG_SG_EEES6_PlJNSB_9not_fun_tINSB_10functional5actorINSM_9compositeIJNSM_27transparent_binary_operatorINSA_8equal_toIvEEEENSN_INSM_8argumentILj0EEEEENSM_5valueIxEEEEEEEEEEEE10hipError_tPvRmT3_T4_T5_T6_T7_T9_mT8_P12ihipStream_tbDpT10_ENKUlT_T0_E_clISt17integral_constantIbLb0EES1K_EEDaS1F_S1G_EUlS1F_E_NS1_11comp_targetILNS1_3genE3ELNS1_11target_archE908ELNS1_3gpuE7ELNS1_3repE0EEENS1_30default_config_static_selectorELNS0_4arch9wavefront6targetE0EEEvT1_.numbered_sgpr, 0
	.set _ZN7rocprim17ROCPRIM_400000_NS6detail17trampoline_kernelINS0_14default_configENS1_25partition_config_selectorILNS1_17partition_subalgoE6ExNS0_10empty_typeEbEEZZNS1_14partition_implILS5_6ELb0ES3_mN6thrust23THRUST_200600_302600_NS6detail15normal_iteratorINSA_10device_ptrIxEEEEPS6_SG_NS0_5tupleIJSF_S6_EEENSH_IJSG_SG_EEES6_PlJNSB_9not_fun_tINSB_10functional5actorINSM_9compositeIJNSM_27transparent_binary_operatorINSA_8equal_toIvEEEENSN_INSM_8argumentILj0EEEEENSM_5valueIxEEEEEEEEEEEE10hipError_tPvRmT3_T4_T5_T6_T7_T9_mT8_P12ihipStream_tbDpT10_ENKUlT_T0_E_clISt17integral_constantIbLb0EES1K_EEDaS1F_S1G_EUlS1F_E_NS1_11comp_targetILNS1_3genE3ELNS1_11target_archE908ELNS1_3gpuE7ELNS1_3repE0EEENS1_30default_config_static_selectorELNS0_4arch9wavefront6targetE0EEEvT1_.num_named_barrier, 0
	.set _ZN7rocprim17ROCPRIM_400000_NS6detail17trampoline_kernelINS0_14default_configENS1_25partition_config_selectorILNS1_17partition_subalgoE6ExNS0_10empty_typeEbEEZZNS1_14partition_implILS5_6ELb0ES3_mN6thrust23THRUST_200600_302600_NS6detail15normal_iteratorINSA_10device_ptrIxEEEEPS6_SG_NS0_5tupleIJSF_S6_EEENSH_IJSG_SG_EEES6_PlJNSB_9not_fun_tINSB_10functional5actorINSM_9compositeIJNSM_27transparent_binary_operatorINSA_8equal_toIvEEEENSN_INSM_8argumentILj0EEEEENSM_5valueIxEEEEEEEEEEEE10hipError_tPvRmT3_T4_T5_T6_T7_T9_mT8_P12ihipStream_tbDpT10_ENKUlT_T0_E_clISt17integral_constantIbLb0EES1K_EEDaS1F_S1G_EUlS1F_E_NS1_11comp_targetILNS1_3genE3ELNS1_11target_archE908ELNS1_3gpuE7ELNS1_3repE0EEENS1_30default_config_static_selectorELNS0_4arch9wavefront6targetE0EEEvT1_.private_seg_size, 0
	.set _ZN7rocprim17ROCPRIM_400000_NS6detail17trampoline_kernelINS0_14default_configENS1_25partition_config_selectorILNS1_17partition_subalgoE6ExNS0_10empty_typeEbEEZZNS1_14partition_implILS5_6ELb0ES3_mN6thrust23THRUST_200600_302600_NS6detail15normal_iteratorINSA_10device_ptrIxEEEEPS6_SG_NS0_5tupleIJSF_S6_EEENSH_IJSG_SG_EEES6_PlJNSB_9not_fun_tINSB_10functional5actorINSM_9compositeIJNSM_27transparent_binary_operatorINSA_8equal_toIvEEEENSN_INSM_8argumentILj0EEEEENSM_5valueIxEEEEEEEEEEEE10hipError_tPvRmT3_T4_T5_T6_T7_T9_mT8_P12ihipStream_tbDpT10_ENKUlT_T0_E_clISt17integral_constantIbLb0EES1K_EEDaS1F_S1G_EUlS1F_E_NS1_11comp_targetILNS1_3genE3ELNS1_11target_archE908ELNS1_3gpuE7ELNS1_3repE0EEENS1_30default_config_static_selectorELNS0_4arch9wavefront6targetE0EEEvT1_.uses_vcc, 0
	.set _ZN7rocprim17ROCPRIM_400000_NS6detail17trampoline_kernelINS0_14default_configENS1_25partition_config_selectorILNS1_17partition_subalgoE6ExNS0_10empty_typeEbEEZZNS1_14partition_implILS5_6ELb0ES3_mN6thrust23THRUST_200600_302600_NS6detail15normal_iteratorINSA_10device_ptrIxEEEEPS6_SG_NS0_5tupleIJSF_S6_EEENSH_IJSG_SG_EEES6_PlJNSB_9not_fun_tINSB_10functional5actorINSM_9compositeIJNSM_27transparent_binary_operatorINSA_8equal_toIvEEEENSN_INSM_8argumentILj0EEEEENSM_5valueIxEEEEEEEEEEEE10hipError_tPvRmT3_T4_T5_T6_T7_T9_mT8_P12ihipStream_tbDpT10_ENKUlT_T0_E_clISt17integral_constantIbLb0EES1K_EEDaS1F_S1G_EUlS1F_E_NS1_11comp_targetILNS1_3genE3ELNS1_11target_archE908ELNS1_3gpuE7ELNS1_3repE0EEENS1_30default_config_static_selectorELNS0_4arch9wavefront6targetE0EEEvT1_.uses_flat_scratch, 0
	.set _ZN7rocprim17ROCPRIM_400000_NS6detail17trampoline_kernelINS0_14default_configENS1_25partition_config_selectorILNS1_17partition_subalgoE6ExNS0_10empty_typeEbEEZZNS1_14partition_implILS5_6ELb0ES3_mN6thrust23THRUST_200600_302600_NS6detail15normal_iteratorINSA_10device_ptrIxEEEEPS6_SG_NS0_5tupleIJSF_S6_EEENSH_IJSG_SG_EEES6_PlJNSB_9not_fun_tINSB_10functional5actorINSM_9compositeIJNSM_27transparent_binary_operatorINSA_8equal_toIvEEEENSN_INSM_8argumentILj0EEEEENSM_5valueIxEEEEEEEEEEEE10hipError_tPvRmT3_T4_T5_T6_T7_T9_mT8_P12ihipStream_tbDpT10_ENKUlT_T0_E_clISt17integral_constantIbLb0EES1K_EEDaS1F_S1G_EUlS1F_E_NS1_11comp_targetILNS1_3genE3ELNS1_11target_archE908ELNS1_3gpuE7ELNS1_3repE0EEENS1_30default_config_static_selectorELNS0_4arch9wavefront6targetE0EEEvT1_.has_dyn_sized_stack, 0
	.set _ZN7rocprim17ROCPRIM_400000_NS6detail17trampoline_kernelINS0_14default_configENS1_25partition_config_selectorILNS1_17partition_subalgoE6ExNS0_10empty_typeEbEEZZNS1_14partition_implILS5_6ELb0ES3_mN6thrust23THRUST_200600_302600_NS6detail15normal_iteratorINSA_10device_ptrIxEEEEPS6_SG_NS0_5tupleIJSF_S6_EEENSH_IJSG_SG_EEES6_PlJNSB_9not_fun_tINSB_10functional5actorINSM_9compositeIJNSM_27transparent_binary_operatorINSA_8equal_toIvEEEENSN_INSM_8argumentILj0EEEEENSM_5valueIxEEEEEEEEEEEE10hipError_tPvRmT3_T4_T5_T6_T7_T9_mT8_P12ihipStream_tbDpT10_ENKUlT_T0_E_clISt17integral_constantIbLb0EES1K_EEDaS1F_S1G_EUlS1F_E_NS1_11comp_targetILNS1_3genE3ELNS1_11target_archE908ELNS1_3gpuE7ELNS1_3repE0EEENS1_30default_config_static_selectorELNS0_4arch9wavefront6targetE0EEEvT1_.has_recursion, 0
	.set _ZN7rocprim17ROCPRIM_400000_NS6detail17trampoline_kernelINS0_14default_configENS1_25partition_config_selectorILNS1_17partition_subalgoE6ExNS0_10empty_typeEbEEZZNS1_14partition_implILS5_6ELb0ES3_mN6thrust23THRUST_200600_302600_NS6detail15normal_iteratorINSA_10device_ptrIxEEEEPS6_SG_NS0_5tupleIJSF_S6_EEENSH_IJSG_SG_EEES6_PlJNSB_9not_fun_tINSB_10functional5actorINSM_9compositeIJNSM_27transparent_binary_operatorINSA_8equal_toIvEEEENSN_INSM_8argumentILj0EEEEENSM_5valueIxEEEEEEEEEEEE10hipError_tPvRmT3_T4_T5_T6_T7_T9_mT8_P12ihipStream_tbDpT10_ENKUlT_T0_E_clISt17integral_constantIbLb0EES1K_EEDaS1F_S1G_EUlS1F_E_NS1_11comp_targetILNS1_3genE3ELNS1_11target_archE908ELNS1_3gpuE7ELNS1_3repE0EEENS1_30default_config_static_selectorELNS0_4arch9wavefront6targetE0EEEvT1_.has_indirect_call, 0
	.section	.AMDGPU.csdata,"",@progbits
; Kernel info:
; codeLenInByte = 0
; TotalNumSgprs: 0
; NumVgprs: 0
; ScratchSize: 0
; MemoryBound: 0
; FloatMode: 240
; IeeeMode: 1
; LDSByteSize: 0 bytes/workgroup (compile time only)
; SGPRBlocks: 0
; VGPRBlocks: 0
; NumSGPRsForWavesPerEU: 1
; NumVGPRsForWavesPerEU: 1
; Occupancy: 16
; WaveLimiterHint : 0
; COMPUTE_PGM_RSRC2:SCRATCH_EN: 0
; COMPUTE_PGM_RSRC2:USER_SGPR: 2
; COMPUTE_PGM_RSRC2:TRAP_HANDLER: 0
; COMPUTE_PGM_RSRC2:TGID_X_EN: 1
; COMPUTE_PGM_RSRC2:TGID_Y_EN: 0
; COMPUTE_PGM_RSRC2:TGID_Z_EN: 0
; COMPUTE_PGM_RSRC2:TIDIG_COMP_CNT: 0
	.section	.text._ZN7rocprim17ROCPRIM_400000_NS6detail17trampoline_kernelINS0_14default_configENS1_25partition_config_selectorILNS1_17partition_subalgoE6ExNS0_10empty_typeEbEEZZNS1_14partition_implILS5_6ELb0ES3_mN6thrust23THRUST_200600_302600_NS6detail15normal_iteratorINSA_10device_ptrIxEEEEPS6_SG_NS0_5tupleIJSF_S6_EEENSH_IJSG_SG_EEES6_PlJNSB_9not_fun_tINSB_10functional5actorINSM_9compositeIJNSM_27transparent_binary_operatorINSA_8equal_toIvEEEENSN_INSM_8argumentILj0EEEEENSM_5valueIxEEEEEEEEEEEE10hipError_tPvRmT3_T4_T5_T6_T7_T9_mT8_P12ihipStream_tbDpT10_ENKUlT_T0_E_clISt17integral_constantIbLb0EES1K_EEDaS1F_S1G_EUlS1F_E_NS1_11comp_targetILNS1_3genE2ELNS1_11target_archE906ELNS1_3gpuE6ELNS1_3repE0EEENS1_30default_config_static_selectorELNS0_4arch9wavefront6targetE0EEEvT1_,"axG",@progbits,_ZN7rocprim17ROCPRIM_400000_NS6detail17trampoline_kernelINS0_14default_configENS1_25partition_config_selectorILNS1_17partition_subalgoE6ExNS0_10empty_typeEbEEZZNS1_14partition_implILS5_6ELb0ES3_mN6thrust23THRUST_200600_302600_NS6detail15normal_iteratorINSA_10device_ptrIxEEEEPS6_SG_NS0_5tupleIJSF_S6_EEENSH_IJSG_SG_EEES6_PlJNSB_9not_fun_tINSB_10functional5actorINSM_9compositeIJNSM_27transparent_binary_operatorINSA_8equal_toIvEEEENSN_INSM_8argumentILj0EEEEENSM_5valueIxEEEEEEEEEEEE10hipError_tPvRmT3_T4_T5_T6_T7_T9_mT8_P12ihipStream_tbDpT10_ENKUlT_T0_E_clISt17integral_constantIbLb0EES1K_EEDaS1F_S1G_EUlS1F_E_NS1_11comp_targetILNS1_3genE2ELNS1_11target_archE906ELNS1_3gpuE6ELNS1_3repE0EEENS1_30default_config_static_selectorELNS0_4arch9wavefront6targetE0EEEvT1_,comdat
	.protected	_ZN7rocprim17ROCPRIM_400000_NS6detail17trampoline_kernelINS0_14default_configENS1_25partition_config_selectorILNS1_17partition_subalgoE6ExNS0_10empty_typeEbEEZZNS1_14partition_implILS5_6ELb0ES3_mN6thrust23THRUST_200600_302600_NS6detail15normal_iteratorINSA_10device_ptrIxEEEEPS6_SG_NS0_5tupleIJSF_S6_EEENSH_IJSG_SG_EEES6_PlJNSB_9not_fun_tINSB_10functional5actorINSM_9compositeIJNSM_27transparent_binary_operatorINSA_8equal_toIvEEEENSN_INSM_8argumentILj0EEEEENSM_5valueIxEEEEEEEEEEEE10hipError_tPvRmT3_T4_T5_T6_T7_T9_mT8_P12ihipStream_tbDpT10_ENKUlT_T0_E_clISt17integral_constantIbLb0EES1K_EEDaS1F_S1G_EUlS1F_E_NS1_11comp_targetILNS1_3genE2ELNS1_11target_archE906ELNS1_3gpuE6ELNS1_3repE0EEENS1_30default_config_static_selectorELNS0_4arch9wavefront6targetE0EEEvT1_ ; -- Begin function _ZN7rocprim17ROCPRIM_400000_NS6detail17trampoline_kernelINS0_14default_configENS1_25partition_config_selectorILNS1_17partition_subalgoE6ExNS0_10empty_typeEbEEZZNS1_14partition_implILS5_6ELb0ES3_mN6thrust23THRUST_200600_302600_NS6detail15normal_iteratorINSA_10device_ptrIxEEEEPS6_SG_NS0_5tupleIJSF_S6_EEENSH_IJSG_SG_EEES6_PlJNSB_9not_fun_tINSB_10functional5actorINSM_9compositeIJNSM_27transparent_binary_operatorINSA_8equal_toIvEEEENSN_INSM_8argumentILj0EEEEENSM_5valueIxEEEEEEEEEEEE10hipError_tPvRmT3_T4_T5_T6_T7_T9_mT8_P12ihipStream_tbDpT10_ENKUlT_T0_E_clISt17integral_constantIbLb0EES1K_EEDaS1F_S1G_EUlS1F_E_NS1_11comp_targetILNS1_3genE2ELNS1_11target_archE906ELNS1_3gpuE6ELNS1_3repE0EEENS1_30default_config_static_selectorELNS0_4arch9wavefront6targetE0EEEvT1_
	.globl	_ZN7rocprim17ROCPRIM_400000_NS6detail17trampoline_kernelINS0_14default_configENS1_25partition_config_selectorILNS1_17partition_subalgoE6ExNS0_10empty_typeEbEEZZNS1_14partition_implILS5_6ELb0ES3_mN6thrust23THRUST_200600_302600_NS6detail15normal_iteratorINSA_10device_ptrIxEEEEPS6_SG_NS0_5tupleIJSF_S6_EEENSH_IJSG_SG_EEES6_PlJNSB_9not_fun_tINSB_10functional5actorINSM_9compositeIJNSM_27transparent_binary_operatorINSA_8equal_toIvEEEENSN_INSM_8argumentILj0EEEEENSM_5valueIxEEEEEEEEEEEE10hipError_tPvRmT3_T4_T5_T6_T7_T9_mT8_P12ihipStream_tbDpT10_ENKUlT_T0_E_clISt17integral_constantIbLb0EES1K_EEDaS1F_S1G_EUlS1F_E_NS1_11comp_targetILNS1_3genE2ELNS1_11target_archE906ELNS1_3gpuE6ELNS1_3repE0EEENS1_30default_config_static_selectorELNS0_4arch9wavefront6targetE0EEEvT1_
	.p2align	8
	.type	_ZN7rocprim17ROCPRIM_400000_NS6detail17trampoline_kernelINS0_14default_configENS1_25partition_config_selectorILNS1_17partition_subalgoE6ExNS0_10empty_typeEbEEZZNS1_14partition_implILS5_6ELb0ES3_mN6thrust23THRUST_200600_302600_NS6detail15normal_iteratorINSA_10device_ptrIxEEEEPS6_SG_NS0_5tupleIJSF_S6_EEENSH_IJSG_SG_EEES6_PlJNSB_9not_fun_tINSB_10functional5actorINSM_9compositeIJNSM_27transparent_binary_operatorINSA_8equal_toIvEEEENSN_INSM_8argumentILj0EEEEENSM_5valueIxEEEEEEEEEEEE10hipError_tPvRmT3_T4_T5_T6_T7_T9_mT8_P12ihipStream_tbDpT10_ENKUlT_T0_E_clISt17integral_constantIbLb0EES1K_EEDaS1F_S1G_EUlS1F_E_NS1_11comp_targetILNS1_3genE2ELNS1_11target_archE906ELNS1_3gpuE6ELNS1_3repE0EEENS1_30default_config_static_selectorELNS0_4arch9wavefront6targetE0EEEvT1_,@function
_ZN7rocprim17ROCPRIM_400000_NS6detail17trampoline_kernelINS0_14default_configENS1_25partition_config_selectorILNS1_17partition_subalgoE6ExNS0_10empty_typeEbEEZZNS1_14partition_implILS5_6ELb0ES3_mN6thrust23THRUST_200600_302600_NS6detail15normal_iteratorINSA_10device_ptrIxEEEEPS6_SG_NS0_5tupleIJSF_S6_EEENSH_IJSG_SG_EEES6_PlJNSB_9not_fun_tINSB_10functional5actorINSM_9compositeIJNSM_27transparent_binary_operatorINSA_8equal_toIvEEEENSN_INSM_8argumentILj0EEEEENSM_5valueIxEEEEEEEEEEEE10hipError_tPvRmT3_T4_T5_T6_T7_T9_mT8_P12ihipStream_tbDpT10_ENKUlT_T0_E_clISt17integral_constantIbLb0EES1K_EEDaS1F_S1G_EUlS1F_E_NS1_11comp_targetILNS1_3genE2ELNS1_11target_archE906ELNS1_3gpuE6ELNS1_3repE0EEENS1_30default_config_static_selectorELNS0_4arch9wavefront6targetE0EEEvT1_: ; @_ZN7rocprim17ROCPRIM_400000_NS6detail17trampoline_kernelINS0_14default_configENS1_25partition_config_selectorILNS1_17partition_subalgoE6ExNS0_10empty_typeEbEEZZNS1_14partition_implILS5_6ELb0ES3_mN6thrust23THRUST_200600_302600_NS6detail15normal_iteratorINSA_10device_ptrIxEEEEPS6_SG_NS0_5tupleIJSF_S6_EEENSH_IJSG_SG_EEES6_PlJNSB_9not_fun_tINSB_10functional5actorINSM_9compositeIJNSM_27transparent_binary_operatorINSA_8equal_toIvEEEENSN_INSM_8argumentILj0EEEEENSM_5valueIxEEEEEEEEEEEE10hipError_tPvRmT3_T4_T5_T6_T7_T9_mT8_P12ihipStream_tbDpT10_ENKUlT_T0_E_clISt17integral_constantIbLb0EES1K_EEDaS1F_S1G_EUlS1F_E_NS1_11comp_targetILNS1_3genE2ELNS1_11target_archE906ELNS1_3gpuE6ELNS1_3repE0EEENS1_30default_config_static_selectorELNS0_4arch9wavefront6targetE0EEEvT1_
; %bb.0:
	.section	.rodata,"a",@progbits
	.p2align	6, 0x0
	.amdhsa_kernel _ZN7rocprim17ROCPRIM_400000_NS6detail17trampoline_kernelINS0_14default_configENS1_25partition_config_selectorILNS1_17partition_subalgoE6ExNS0_10empty_typeEbEEZZNS1_14partition_implILS5_6ELb0ES3_mN6thrust23THRUST_200600_302600_NS6detail15normal_iteratorINSA_10device_ptrIxEEEEPS6_SG_NS0_5tupleIJSF_S6_EEENSH_IJSG_SG_EEES6_PlJNSB_9not_fun_tINSB_10functional5actorINSM_9compositeIJNSM_27transparent_binary_operatorINSA_8equal_toIvEEEENSN_INSM_8argumentILj0EEEEENSM_5valueIxEEEEEEEEEEEE10hipError_tPvRmT3_T4_T5_T6_T7_T9_mT8_P12ihipStream_tbDpT10_ENKUlT_T0_E_clISt17integral_constantIbLb0EES1K_EEDaS1F_S1G_EUlS1F_E_NS1_11comp_targetILNS1_3genE2ELNS1_11target_archE906ELNS1_3gpuE6ELNS1_3repE0EEENS1_30default_config_static_selectorELNS0_4arch9wavefront6targetE0EEEvT1_
		.amdhsa_group_segment_fixed_size 0
		.amdhsa_private_segment_fixed_size 0
		.amdhsa_kernarg_size 128
		.amdhsa_user_sgpr_count 2
		.amdhsa_user_sgpr_dispatch_ptr 0
		.amdhsa_user_sgpr_queue_ptr 0
		.amdhsa_user_sgpr_kernarg_segment_ptr 1
		.amdhsa_user_sgpr_dispatch_id 0
		.amdhsa_user_sgpr_private_segment_size 0
		.amdhsa_wavefront_size32 1
		.amdhsa_uses_dynamic_stack 0
		.amdhsa_enable_private_segment 0
		.amdhsa_system_sgpr_workgroup_id_x 1
		.amdhsa_system_sgpr_workgroup_id_y 0
		.amdhsa_system_sgpr_workgroup_id_z 0
		.amdhsa_system_sgpr_workgroup_info 0
		.amdhsa_system_vgpr_workitem_id 0
		.amdhsa_next_free_vgpr 1
		.amdhsa_next_free_sgpr 1
		.amdhsa_reserve_vcc 0
		.amdhsa_float_round_mode_32 0
		.amdhsa_float_round_mode_16_64 0
		.amdhsa_float_denorm_mode_32 3
		.amdhsa_float_denorm_mode_16_64 3
		.amdhsa_fp16_overflow 0
		.amdhsa_workgroup_processor_mode 1
		.amdhsa_memory_ordered 1
		.amdhsa_forward_progress 1
		.amdhsa_inst_pref_size 0
		.amdhsa_round_robin_scheduling 0
		.amdhsa_exception_fp_ieee_invalid_op 0
		.amdhsa_exception_fp_denorm_src 0
		.amdhsa_exception_fp_ieee_div_zero 0
		.amdhsa_exception_fp_ieee_overflow 0
		.amdhsa_exception_fp_ieee_underflow 0
		.amdhsa_exception_fp_ieee_inexact 0
		.amdhsa_exception_int_div_zero 0
	.end_amdhsa_kernel
	.section	.text._ZN7rocprim17ROCPRIM_400000_NS6detail17trampoline_kernelINS0_14default_configENS1_25partition_config_selectorILNS1_17partition_subalgoE6ExNS0_10empty_typeEbEEZZNS1_14partition_implILS5_6ELb0ES3_mN6thrust23THRUST_200600_302600_NS6detail15normal_iteratorINSA_10device_ptrIxEEEEPS6_SG_NS0_5tupleIJSF_S6_EEENSH_IJSG_SG_EEES6_PlJNSB_9not_fun_tINSB_10functional5actorINSM_9compositeIJNSM_27transparent_binary_operatorINSA_8equal_toIvEEEENSN_INSM_8argumentILj0EEEEENSM_5valueIxEEEEEEEEEEEE10hipError_tPvRmT3_T4_T5_T6_T7_T9_mT8_P12ihipStream_tbDpT10_ENKUlT_T0_E_clISt17integral_constantIbLb0EES1K_EEDaS1F_S1G_EUlS1F_E_NS1_11comp_targetILNS1_3genE2ELNS1_11target_archE906ELNS1_3gpuE6ELNS1_3repE0EEENS1_30default_config_static_selectorELNS0_4arch9wavefront6targetE0EEEvT1_,"axG",@progbits,_ZN7rocprim17ROCPRIM_400000_NS6detail17trampoline_kernelINS0_14default_configENS1_25partition_config_selectorILNS1_17partition_subalgoE6ExNS0_10empty_typeEbEEZZNS1_14partition_implILS5_6ELb0ES3_mN6thrust23THRUST_200600_302600_NS6detail15normal_iteratorINSA_10device_ptrIxEEEEPS6_SG_NS0_5tupleIJSF_S6_EEENSH_IJSG_SG_EEES6_PlJNSB_9not_fun_tINSB_10functional5actorINSM_9compositeIJNSM_27transparent_binary_operatorINSA_8equal_toIvEEEENSN_INSM_8argumentILj0EEEEENSM_5valueIxEEEEEEEEEEEE10hipError_tPvRmT3_T4_T5_T6_T7_T9_mT8_P12ihipStream_tbDpT10_ENKUlT_T0_E_clISt17integral_constantIbLb0EES1K_EEDaS1F_S1G_EUlS1F_E_NS1_11comp_targetILNS1_3genE2ELNS1_11target_archE906ELNS1_3gpuE6ELNS1_3repE0EEENS1_30default_config_static_selectorELNS0_4arch9wavefront6targetE0EEEvT1_,comdat
.Lfunc_end183:
	.size	_ZN7rocprim17ROCPRIM_400000_NS6detail17trampoline_kernelINS0_14default_configENS1_25partition_config_selectorILNS1_17partition_subalgoE6ExNS0_10empty_typeEbEEZZNS1_14partition_implILS5_6ELb0ES3_mN6thrust23THRUST_200600_302600_NS6detail15normal_iteratorINSA_10device_ptrIxEEEEPS6_SG_NS0_5tupleIJSF_S6_EEENSH_IJSG_SG_EEES6_PlJNSB_9not_fun_tINSB_10functional5actorINSM_9compositeIJNSM_27transparent_binary_operatorINSA_8equal_toIvEEEENSN_INSM_8argumentILj0EEEEENSM_5valueIxEEEEEEEEEEEE10hipError_tPvRmT3_T4_T5_T6_T7_T9_mT8_P12ihipStream_tbDpT10_ENKUlT_T0_E_clISt17integral_constantIbLb0EES1K_EEDaS1F_S1G_EUlS1F_E_NS1_11comp_targetILNS1_3genE2ELNS1_11target_archE906ELNS1_3gpuE6ELNS1_3repE0EEENS1_30default_config_static_selectorELNS0_4arch9wavefront6targetE0EEEvT1_, .Lfunc_end183-_ZN7rocprim17ROCPRIM_400000_NS6detail17trampoline_kernelINS0_14default_configENS1_25partition_config_selectorILNS1_17partition_subalgoE6ExNS0_10empty_typeEbEEZZNS1_14partition_implILS5_6ELb0ES3_mN6thrust23THRUST_200600_302600_NS6detail15normal_iteratorINSA_10device_ptrIxEEEEPS6_SG_NS0_5tupleIJSF_S6_EEENSH_IJSG_SG_EEES6_PlJNSB_9not_fun_tINSB_10functional5actorINSM_9compositeIJNSM_27transparent_binary_operatorINSA_8equal_toIvEEEENSN_INSM_8argumentILj0EEEEENSM_5valueIxEEEEEEEEEEEE10hipError_tPvRmT3_T4_T5_T6_T7_T9_mT8_P12ihipStream_tbDpT10_ENKUlT_T0_E_clISt17integral_constantIbLb0EES1K_EEDaS1F_S1G_EUlS1F_E_NS1_11comp_targetILNS1_3genE2ELNS1_11target_archE906ELNS1_3gpuE6ELNS1_3repE0EEENS1_30default_config_static_selectorELNS0_4arch9wavefront6targetE0EEEvT1_
                                        ; -- End function
	.set _ZN7rocprim17ROCPRIM_400000_NS6detail17trampoline_kernelINS0_14default_configENS1_25partition_config_selectorILNS1_17partition_subalgoE6ExNS0_10empty_typeEbEEZZNS1_14partition_implILS5_6ELb0ES3_mN6thrust23THRUST_200600_302600_NS6detail15normal_iteratorINSA_10device_ptrIxEEEEPS6_SG_NS0_5tupleIJSF_S6_EEENSH_IJSG_SG_EEES6_PlJNSB_9not_fun_tINSB_10functional5actorINSM_9compositeIJNSM_27transparent_binary_operatorINSA_8equal_toIvEEEENSN_INSM_8argumentILj0EEEEENSM_5valueIxEEEEEEEEEEEE10hipError_tPvRmT3_T4_T5_T6_T7_T9_mT8_P12ihipStream_tbDpT10_ENKUlT_T0_E_clISt17integral_constantIbLb0EES1K_EEDaS1F_S1G_EUlS1F_E_NS1_11comp_targetILNS1_3genE2ELNS1_11target_archE906ELNS1_3gpuE6ELNS1_3repE0EEENS1_30default_config_static_selectorELNS0_4arch9wavefront6targetE0EEEvT1_.num_vgpr, 0
	.set _ZN7rocprim17ROCPRIM_400000_NS6detail17trampoline_kernelINS0_14default_configENS1_25partition_config_selectorILNS1_17partition_subalgoE6ExNS0_10empty_typeEbEEZZNS1_14partition_implILS5_6ELb0ES3_mN6thrust23THRUST_200600_302600_NS6detail15normal_iteratorINSA_10device_ptrIxEEEEPS6_SG_NS0_5tupleIJSF_S6_EEENSH_IJSG_SG_EEES6_PlJNSB_9not_fun_tINSB_10functional5actorINSM_9compositeIJNSM_27transparent_binary_operatorINSA_8equal_toIvEEEENSN_INSM_8argumentILj0EEEEENSM_5valueIxEEEEEEEEEEEE10hipError_tPvRmT3_T4_T5_T6_T7_T9_mT8_P12ihipStream_tbDpT10_ENKUlT_T0_E_clISt17integral_constantIbLb0EES1K_EEDaS1F_S1G_EUlS1F_E_NS1_11comp_targetILNS1_3genE2ELNS1_11target_archE906ELNS1_3gpuE6ELNS1_3repE0EEENS1_30default_config_static_selectorELNS0_4arch9wavefront6targetE0EEEvT1_.num_agpr, 0
	.set _ZN7rocprim17ROCPRIM_400000_NS6detail17trampoline_kernelINS0_14default_configENS1_25partition_config_selectorILNS1_17partition_subalgoE6ExNS0_10empty_typeEbEEZZNS1_14partition_implILS5_6ELb0ES3_mN6thrust23THRUST_200600_302600_NS6detail15normal_iteratorINSA_10device_ptrIxEEEEPS6_SG_NS0_5tupleIJSF_S6_EEENSH_IJSG_SG_EEES6_PlJNSB_9not_fun_tINSB_10functional5actorINSM_9compositeIJNSM_27transparent_binary_operatorINSA_8equal_toIvEEEENSN_INSM_8argumentILj0EEEEENSM_5valueIxEEEEEEEEEEEE10hipError_tPvRmT3_T4_T5_T6_T7_T9_mT8_P12ihipStream_tbDpT10_ENKUlT_T0_E_clISt17integral_constantIbLb0EES1K_EEDaS1F_S1G_EUlS1F_E_NS1_11comp_targetILNS1_3genE2ELNS1_11target_archE906ELNS1_3gpuE6ELNS1_3repE0EEENS1_30default_config_static_selectorELNS0_4arch9wavefront6targetE0EEEvT1_.numbered_sgpr, 0
	.set _ZN7rocprim17ROCPRIM_400000_NS6detail17trampoline_kernelINS0_14default_configENS1_25partition_config_selectorILNS1_17partition_subalgoE6ExNS0_10empty_typeEbEEZZNS1_14partition_implILS5_6ELb0ES3_mN6thrust23THRUST_200600_302600_NS6detail15normal_iteratorINSA_10device_ptrIxEEEEPS6_SG_NS0_5tupleIJSF_S6_EEENSH_IJSG_SG_EEES6_PlJNSB_9not_fun_tINSB_10functional5actorINSM_9compositeIJNSM_27transparent_binary_operatorINSA_8equal_toIvEEEENSN_INSM_8argumentILj0EEEEENSM_5valueIxEEEEEEEEEEEE10hipError_tPvRmT3_T4_T5_T6_T7_T9_mT8_P12ihipStream_tbDpT10_ENKUlT_T0_E_clISt17integral_constantIbLb0EES1K_EEDaS1F_S1G_EUlS1F_E_NS1_11comp_targetILNS1_3genE2ELNS1_11target_archE906ELNS1_3gpuE6ELNS1_3repE0EEENS1_30default_config_static_selectorELNS0_4arch9wavefront6targetE0EEEvT1_.num_named_barrier, 0
	.set _ZN7rocprim17ROCPRIM_400000_NS6detail17trampoline_kernelINS0_14default_configENS1_25partition_config_selectorILNS1_17partition_subalgoE6ExNS0_10empty_typeEbEEZZNS1_14partition_implILS5_6ELb0ES3_mN6thrust23THRUST_200600_302600_NS6detail15normal_iteratorINSA_10device_ptrIxEEEEPS6_SG_NS0_5tupleIJSF_S6_EEENSH_IJSG_SG_EEES6_PlJNSB_9not_fun_tINSB_10functional5actorINSM_9compositeIJNSM_27transparent_binary_operatorINSA_8equal_toIvEEEENSN_INSM_8argumentILj0EEEEENSM_5valueIxEEEEEEEEEEEE10hipError_tPvRmT3_T4_T5_T6_T7_T9_mT8_P12ihipStream_tbDpT10_ENKUlT_T0_E_clISt17integral_constantIbLb0EES1K_EEDaS1F_S1G_EUlS1F_E_NS1_11comp_targetILNS1_3genE2ELNS1_11target_archE906ELNS1_3gpuE6ELNS1_3repE0EEENS1_30default_config_static_selectorELNS0_4arch9wavefront6targetE0EEEvT1_.private_seg_size, 0
	.set _ZN7rocprim17ROCPRIM_400000_NS6detail17trampoline_kernelINS0_14default_configENS1_25partition_config_selectorILNS1_17partition_subalgoE6ExNS0_10empty_typeEbEEZZNS1_14partition_implILS5_6ELb0ES3_mN6thrust23THRUST_200600_302600_NS6detail15normal_iteratorINSA_10device_ptrIxEEEEPS6_SG_NS0_5tupleIJSF_S6_EEENSH_IJSG_SG_EEES6_PlJNSB_9not_fun_tINSB_10functional5actorINSM_9compositeIJNSM_27transparent_binary_operatorINSA_8equal_toIvEEEENSN_INSM_8argumentILj0EEEEENSM_5valueIxEEEEEEEEEEEE10hipError_tPvRmT3_T4_T5_T6_T7_T9_mT8_P12ihipStream_tbDpT10_ENKUlT_T0_E_clISt17integral_constantIbLb0EES1K_EEDaS1F_S1G_EUlS1F_E_NS1_11comp_targetILNS1_3genE2ELNS1_11target_archE906ELNS1_3gpuE6ELNS1_3repE0EEENS1_30default_config_static_selectorELNS0_4arch9wavefront6targetE0EEEvT1_.uses_vcc, 0
	.set _ZN7rocprim17ROCPRIM_400000_NS6detail17trampoline_kernelINS0_14default_configENS1_25partition_config_selectorILNS1_17partition_subalgoE6ExNS0_10empty_typeEbEEZZNS1_14partition_implILS5_6ELb0ES3_mN6thrust23THRUST_200600_302600_NS6detail15normal_iteratorINSA_10device_ptrIxEEEEPS6_SG_NS0_5tupleIJSF_S6_EEENSH_IJSG_SG_EEES6_PlJNSB_9not_fun_tINSB_10functional5actorINSM_9compositeIJNSM_27transparent_binary_operatorINSA_8equal_toIvEEEENSN_INSM_8argumentILj0EEEEENSM_5valueIxEEEEEEEEEEEE10hipError_tPvRmT3_T4_T5_T6_T7_T9_mT8_P12ihipStream_tbDpT10_ENKUlT_T0_E_clISt17integral_constantIbLb0EES1K_EEDaS1F_S1G_EUlS1F_E_NS1_11comp_targetILNS1_3genE2ELNS1_11target_archE906ELNS1_3gpuE6ELNS1_3repE0EEENS1_30default_config_static_selectorELNS0_4arch9wavefront6targetE0EEEvT1_.uses_flat_scratch, 0
	.set _ZN7rocprim17ROCPRIM_400000_NS6detail17trampoline_kernelINS0_14default_configENS1_25partition_config_selectorILNS1_17partition_subalgoE6ExNS0_10empty_typeEbEEZZNS1_14partition_implILS5_6ELb0ES3_mN6thrust23THRUST_200600_302600_NS6detail15normal_iteratorINSA_10device_ptrIxEEEEPS6_SG_NS0_5tupleIJSF_S6_EEENSH_IJSG_SG_EEES6_PlJNSB_9not_fun_tINSB_10functional5actorINSM_9compositeIJNSM_27transparent_binary_operatorINSA_8equal_toIvEEEENSN_INSM_8argumentILj0EEEEENSM_5valueIxEEEEEEEEEEEE10hipError_tPvRmT3_T4_T5_T6_T7_T9_mT8_P12ihipStream_tbDpT10_ENKUlT_T0_E_clISt17integral_constantIbLb0EES1K_EEDaS1F_S1G_EUlS1F_E_NS1_11comp_targetILNS1_3genE2ELNS1_11target_archE906ELNS1_3gpuE6ELNS1_3repE0EEENS1_30default_config_static_selectorELNS0_4arch9wavefront6targetE0EEEvT1_.has_dyn_sized_stack, 0
	.set _ZN7rocprim17ROCPRIM_400000_NS6detail17trampoline_kernelINS0_14default_configENS1_25partition_config_selectorILNS1_17partition_subalgoE6ExNS0_10empty_typeEbEEZZNS1_14partition_implILS5_6ELb0ES3_mN6thrust23THRUST_200600_302600_NS6detail15normal_iteratorINSA_10device_ptrIxEEEEPS6_SG_NS0_5tupleIJSF_S6_EEENSH_IJSG_SG_EEES6_PlJNSB_9not_fun_tINSB_10functional5actorINSM_9compositeIJNSM_27transparent_binary_operatorINSA_8equal_toIvEEEENSN_INSM_8argumentILj0EEEEENSM_5valueIxEEEEEEEEEEEE10hipError_tPvRmT3_T4_T5_T6_T7_T9_mT8_P12ihipStream_tbDpT10_ENKUlT_T0_E_clISt17integral_constantIbLb0EES1K_EEDaS1F_S1G_EUlS1F_E_NS1_11comp_targetILNS1_3genE2ELNS1_11target_archE906ELNS1_3gpuE6ELNS1_3repE0EEENS1_30default_config_static_selectorELNS0_4arch9wavefront6targetE0EEEvT1_.has_recursion, 0
	.set _ZN7rocprim17ROCPRIM_400000_NS6detail17trampoline_kernelINS0_14default_configENS1_25partition_config_selectorILNS1_17partition_subalgoE6ExNS0_10empty_typeEbEEZZNS1_14partition_implILS5_6ELb0ES3_mN6thrust23THRUST_200600_302600_NS6detail15normal_iteratorINSA_10device_ptrIxEEEEPS6_SG_NS0_5tupleIJSF_S6_EEENSH_IJSG_SG_EEES6_PlJNSB_9not_fun_tINSB_10functional5actorINSM_9compositeIJNSM_27transparent_binary_operatorINSA_8equal_toIvEEEENSN_INSM_8argumentILj0EEEEENSM_5valueIxEEEEEEEEEEEE10hipError_tPvRmT3_T4_T5_T6_T7_T9_mT8_P12ihipStream_tbDpT10_ENKUlT_T0_E_clISt17integral_constantIbLb0EES1K_EEDaS1F_S1G_EUlS1F_E_NS1_11comp_targetILNS1_3genE2ELNS1_11target_archE906ELNS1_3gpuE6ELNS1_3repE0EEENS1_30default_config_static_selectorELNS0_4arch9wavefront6targetE0EEEvT1_.has_indirect_call, 0
	.section	.AMDGPU.csdata,"",@progbits
; Kernel info:
; codeLenInByte = 0
; TotalNumSgprs: 0
; NumVgprs: 0
; ScratchSize: 0
; MemoryBound: 0
; FloatMode: 240
; IeeeMode: 1
; LDSByteSize: 0 bytes/workgroup (compile time only)
; SGPRBlocks: 0
; VGPRBlocks: 0
; NumSGPRsForWavesPerEU: 1
; NumVGPRsForWavesPerEU: 1
; Occupancy: 16
; WaveLimiterHint : 0
; COMPUTE_PGM_RSRC2:SCRATCH_EN: 0
; COMPUTE_PGM_RSRC2:USER_SGPR: 2
; COMPUTE_PGM_RSRC2:TRAP_HANDLER: 0
; COMPUTE_PGM_RSRC2:TGID_X_EN: 1
; COMPUTE_PGM_RSRC2:TGID_Y_EN: 0
; COMPUTE_PGM_RSRC2:TGID_Z_EN: 0
; COMPUTE_PGM_RSRC2:TIDIG_COMP_CNT: 0
	.section	.text._ZN7rocprim17ROCPRIM_400000_NS6detail17trampoline_kernelINS0_14default_configENS1_25partition_config_selectorILNS1_17partition_subalgoE6ExNS0_10empty_typeEbEEZZNS1_14partition_implILS5_6ELb0ES3_mN6thrust23THRUST_200600_302600_NS6detail15normal_iteratorINSA_10device_ptrIxEEEEPS6_SG_NS0_5tupleIJSF_S6_EEENSH_IJSG_SG_EEES6_PlJNSB_9not_fun_tINSB_10functional5actorINSM_9compositeIJNSM_27transparent_binary_operatorINSA_8equal_toIvEEEENSN_INSM_8argumentILj0EEEEENSM_5valueIxEEEEEEEEEEEE10hipError_tPvRmT3_T4_T5_T6_T7_T9_mT8_P12ihipStream_tbDpT10_ENKUlT_T0_E_clISt17integral_constantIbLb0EES1K_EEDaS1F_S1G_EUlS1F_E_NS1_11comp_targetILNS1_3genE10ELNS1_11target_archE1200ELNS1_3gpuE4ELNS1_3repE0EEENS1_30default_config_static_selectorELNS0_4arch9wavefront6targetE0EEEvT1_,"axG",@progbits,_ZN7rocprim17ROCPRIM_400000_NS6detail17trampoline_kernelINS0_14default_configENS1_25partition_config_selectorILNS1_17partition_subalgoE6ExNS0_10empty_typeEbEEZZNS1_14partition_implILS5_6ELb0ES3_mN6thrust23THRUST_200600_302600_NS6detail15normal_iteratorINSA_10device_ptrIxEEEEPS6_SG_NS0_5tupleIJSF_S6_EEENSH_IJSG_SG_EEES6_PlJNSB_9not_fun_tINSB_10functional5actorINSM_9compositeIJNSM_27transparent_binary_operatorINSA_8equal_toIvEEEENSN_INSM_8argumentILj0EEEEENSM_5valueIxEEEEEEEEEEEE10hipError_tPvRmT3_T4_T5_T6_T7_T9_mT8_P12ihipStream_tbDpT10_ENKUlT_T0_E_clISt17integral_constantIbLb0EES1K_EEDaS1F_S1G_EUlS1F_E_NS1_11comp_targetILNS1_3genE10ELNS1_11target_archE1200ELNS1_3gpuE4ELNS1_3repE0EEENS1_30default_config_static_selectorELNS0_4arch9wavefront6targetE0EEEvT1_,comdat
	.protected	_ZN7rocprim17ROCPRIM_400000_NS6detail17trampoline_kernelINS0_14default_configENS1_25partition_config_selectorILNS1_17partition_subalgoE6ExNS0_10empty_typeEbEEZZNS1_14partition_implILS5_6ELb0ES3_mN6thrust23THRUST_200600_302600_NS6detail15normal_iteratorINSA_10device_ptrIxEEEEPS6_SG_NS0_5tupleIJSF_S6_EEENSH_IJSG_SG_EEES6_PlJNSB_9not_fun_tINSB_10functional5actorINSM_9compositeIJNSM_27transparent_binary_operatorINSA_8equal_toIvEEEENSN_INSM_8argumentILj0EEEEENSM_5valueIxEEEEEEEEEEEE10hipError_tPvRmT3_T4_T5_T6_T7_T9_mT8_P12ihipStream_tbDpT10_ENKUlT_T0_E_clISt17integral_constantIbLb0EES1K_EEDaS1F_S1G_EUlS1F_E_NS1_11comp_targetILNS1_3genE10ELNS1_11target_archE1200ELNS1_3gpuE4ELNS1_3repE0EEENS1_30default_config_static_selectorELNS0_4arch9wavefront6targetE0EEEvT1_ ; -- Begin function _ZN7rocprim17ROCPRIM_400000_NS6detail17trampoline_kernelINS0_14default_configENS1_25partition_config_selectorILNS1_17partition_subalgoE6ExNS0_10empty_typeEbEEZZNS1_14partition_implILS5_6ELb0ES3_mN6thrust23THRUST_200600_302600_NS6detail15normal_iteratorINSA_10device_ptrIxEEEEPS6_SG_NS0_5tupleIJSF_S6_EEENSH_IJSG_SG_EEES6_PlJNSB_9not_fun_tINSB_10functional5actorINSM_9compositeIJNSM_27transparent_binary_operatorINSA_8equal_toIvEEEENSN_INSM_8argumentILj0EEEEENSM_5valueIxEEEEEEEEEEEE10hipError_tPvRmT3_T4_T5_T6_T7_T9_mT8_P12ihipStream_tbDpT10_ENKUlT_T0_E_clISt17integral_constantIbLb0EES1K_EEDaS1F_S1G_EUlS1F_E_NS1_11comp_targetILNS1_3genE10ELNS1_11target_archE1200ELNS1_3gpuE4ELNS1_3repE0EEENS1_30default_config_static_selectorELNS0_4arch9wavefront6targetE0EEEvT1_
	.globl	_ZN7rocprim17ROCPRIM_400000_NS6detail17trampoline_kernelINS0_14default_configENS1_25partition_config_selectorILNS1_17partition_subalgoE6ExNS0_10empty_typeEbEEZZNS1_14partition_implILS5_6ELb0ES3_mN6thrust23THRUST_200600_302600_NS6detail15normal_iteratorINSA_10device_ptrIxEEEEPS6_SG_NS0_5tupleIJSF_S6_EEENSH_IJSG_SG_EEES6_PlJNSB_9not_fun_tINSB_10functional5actorINSM_9compositeIJNSM_27transparent_binary_operatorINSA_8equal_toIvEEEENSN_INSM_8argumentILj0EEEEENSM_5valueIxEEEEEEEEEEEE10hipError_tPvRmT3_T4_T5_T6_T7_T9_mT8_P12ihipStream_tbDpT10_ENKUlT_T0_E_clISt17integral_constantIbLb0EES1K_EEDaS1F_S1G_EUlS1F_E_NS1_11comp_targetILNS1_3genE10ELNS1_11target_archE1200ELNS1_3gpuE4ELNS1_3repE0EEENS1_30default_config_static_selectorELNS0_4arch9wavefront6targetE0EEEvT1_
	.p2align	8
	.type	_ZN7rocprim17ROCPRIM_400000_NS6detail17trampoline_kernelINS0_14default_configENS1_25partition_config_selectorILNS1_17partition_subalgoE6ExNS0_10empty_typeEbEEZZNS1_14partition_implILS5_6ELb0ES3_mN6thrust23THRUST_200600_302600_NS6detail15normal_iteratorINSA_10device_ptrIxEEEEPS6_SG_NS0_5tupleIJSF_S6_EEENSH_IJSG_SG_EEES6_PlJNSB_9not_fun_tINSB_10functional5actorINSM_9compositeIJNSM_27transparent_binary_operatorINSA_8equal_toIvEEEENSN_INSM_8argumentILj0EEEEENSM_5valueIxEEEEEEEEEEEE10hipError_tPvRmT3_T4_T5_T6_T7_T9_mT8_P12ihipStream_tbDpT10_ENKUlT_T0_E_clISt17integral_constantIbLb0EES1K_EEDaS1F_S1G_EUlS1F_E_NS1_11comp_targetILNS1_3genE10ELNS1_11target_archE1200ELNS1_3gpuE4ELNS1_3repE0EEENS1_30default_config_static_selectorELNS0_4arch9wavefront6targetE0EEEvT1_,@function
_ZN7rocprim17ROCPRIM_400000_NS6detail17trampoline_kernelINS0_14default_configENS1_25partition_config_selectorILNS1_17partition_subalgoE6ExNS0_10empty_typeEbEEZZNS1_14partition_implILS5_6ELb0ES3_mN6thrust23THRUST_200600_302600_NS6detail15normal_iteratorINSA_10device_ptrIxEEEEPS6_SG_NS0_5tupleIJSF_S6_EEENSH_IJSG_SG_EEES6_PlJNSB_9not_fun_tINSB_10functional5actorINSM_9compositeIJNSM_27transparent_binary_operatorINSA_8equal_toIvEEEENSN_INSM_8argumentILj0EEEEENSM_5valueIxEEEEEEEEEEEE10hipError_tPvRmT3_T4_T5_T6_T7_T9_mT8_P12ihipStream_tbDpT10_ENKUlT_T0_E_clISt17integral_constantIbLb0EES1K_EEDaS1F_S1G_EUlS1F_E_NS1_11comp_targetILNS1_3genE10ELNS1_11target_archE1200ELNS1_3gpuE4ELNS1_3repE0EEENS1_30default_config_static_selectorELNS0_4arch9wavefront6targetE0EEEvT1_: ; @_ZN7rocprim17ROCPRIM_400000_NS6detail17trampoline_kernelINS0_14default_configENS1_25partition_config_selectorILNS1_17partition_subalgoE6ExNS0_10empty_typeEbEEZZNS1_14partition_implILS5_6ELb0ES3_mN6thrust23THRUST_200600_302600_NS6detail15normal_iteratorINSA_10device_ptrIxEEEEPS6_SG_NS0_5tupleIJSF_S6_EEENSH_IJSG_SG_EEES6_PlJNSB_9not_fun_tINSB_10functional5actorINSM_9compositeIJNSM_27transparent_binary_operatorINSA_8equal_toIvEEEENSN_INSM_8argumentILj0EEEEENSM_5valueIxEEEEEEEEEEEE10hipError_tPvRmT3_T4_T5_T6_T7_T9_mT8_P12ihipStream_tbDpT10_ENKUlT_T0_E_clISt17integral_constantIbLb0EES1K_EEDaS1F_S1G_EUlS1F_E_NS1_11comp_targetILNS1_3genE10ELNS1_11target_archE1200ELNS1_3gpuE4ELNS1_3repE0EEENS1_30default_config_static_selectorELNS0_4arch9wavefront6targetE0EEEvT1_
; %bb.0:
	s_clause 0x3
	s_load_b128 s[16:19], s[0:1], 0x8
	s_load_b128 s[8:11], s[0:1], 0x40
	s_load_b32 s3, s[0:1], 0x68
	s_load_b64 s[4:5], s[0:1], 0x50
	s_mov_b32 s7, 0
	s_lshl_b32 s2, ttmp9, 10
	v_lshrrev_b32_e32 v9, 2, v0
	v_or_b32_e32 v11, 0x200, v0
	v_or_b32_e32 v10, 0x300, v0
	s_mov_b32 s14, -1
	s_wait_kmcnt 0x0
	s_lshl_b64 s[20:21], s[18:19], 3
	s_load_b64 s[10:11], s[10:11], 0x0
	s_lshl_b32 s6, s3, 10
	s_add_co_i32 s3, s3, -1
	s_add_nc_u64 s[12:13], s[18:19], s[6:7]
	s_lshl_b32 s6, s3, 10
	v_cmp_le_u64_e64 s13, s[4:5], s[12:13]
	s_add_co_i32 s5, s18, s6
	s_cmp_eq_u32 ttmp9, s3
	s_mov_b32 s3, s7
	s_cselect_b32 s12, -1, 0
	s_add_nc_u64 s[6:7], s[16:17], s[20:21]
	s_wait_alu 0xfffe
	s_and_b32 s13, s12, s13
	s_lshl_b64 s[2:3], s[2:3], 3
	s_wait_alu 0xfffe
	s_xor_b32 s13, s13, -1
	s_add_nc_u64 s[2:3], s[6:7], s[2:3]
	s_wait_alu 0xfffe
	s_and_b32 vcc_lo, exec_lo, s13
	s_cbranch_vccz .LBB184_2
; %bb.1:
	v_lshlrev_b32_e32 v12, 3, v0
	v_or_b32_e32 v13, 0x100, v0
	v_lshrrev_b32_e32 v14, 2, v11
	v_lshrrev_b32_e32 v15, 2, v10
	v_and_b32_e32 v16, 56, v9
	v_add_co_u32 v1, s6, s2, v12
	s_delay_alu instid0(VALU_DEP_1)
	v_add_co_ci_u32_e64 v2, null, s3, 0, s6
	v_lshrrev_b32_e32 v13, 2, v13
	v_and_b32_e32 v14, 0xb8, v14
	v_and_b32_e32 v15, 0xf8, v15
	s_clause 0x3
	flat_load_b64 v[3:4], v[1:2]
	flat_load_b64 v[5:6], v[1:2] offset:2048
	flat_load_b64 v[7:8], v[1:2] offset:4096
	flat_load_b64 v[1:2], v[1:2] offset:6144
	v_add_nc_u32_e32 v16, v16, v12
	v_and_b32_e32 v13, 0x78, v13
	v_add_nc_u32_e32 v14, v14, v12
	s_mov_b32 s14, 0
	s_delay_alu instid0(VALU_DEP_2)
	v_add_nc_u32_e32 v13, v13, v12
	v_add_nc_u32_e32 v12, v15, v12
	s_wait_loadcnt_dscnt 0x303
	ds_store_b64 v16, v[3:4]
	s_wait_loadcnt_dscnt 0x203
	ds_store_b64 v13, v[5:6] offset:2048
	s_wait_loadcnt_dscnt 0x103
	ds_store_b64 v14, v[7:8] offset:4096
	;; [unrolled: 2-line block ×3, first 2 shown]
	s_wait_dscnt 0x0
	s_barrier_signal -1
	s_barrier_wait -1
.LBB184_2:
	s_load_b64 s[6:7], s[0:1], 0x78
	s_and_not1_b32 vcc_lo, exec_lo, s14
	s_sub_co_i32 s15, s4, s5
	s_cbranch_vccnz .LBB184_10
; %bb.3:
	v_mov_b32_e32 v1, 0
	s_mov_b32 s4, exec_lo
	s_delay_alu instid0(VALU_DEP_1)
	v_dual_mov_b32 v2, v1 :: v_dual_mov_b32 v3, v1
	v_dual_mov_b32 v4, v1 :: v_dual_mov_b32 v5, v1
	;; [unrolled: 1-line block ×3, first 2 shown]
	v_mov_b32_e32 v8, v1
	v_cmpx_gt_u32_e64 s15, v0
	s_cbranch_execz .LBB184_5
; %bb.4:
	v_dual_mov_b32 v15, v1 :: v_dual_lshlrev_b32 v2, 3, v0
	v_dual_mov_b32 v14, v1 :: v_dual_mov_b32 v17, v1
	v_dual_mov_b32 v16, v1 :: v_dual_mov_b32 v19, v1
	s_delay_alu instid0(VALU_DEP_3)
	v_add_co_u32 v2, s5, s2, v2
	s_wait_alu 0xf1ff
	v_add_co_ci_u32_e64 v3, null, s3, 0, s5
	v_mov_b32_e32 v18, v1
	flat_load_b64 v[12:13], v[2:3]
	s_wait_loadcnt_dscnt 0x0
	v_dual_mov_b32 v1, v12 :: v_dual_mov_b32 v2, v13
	v_dual_mov_b32 v3, v14 :: v_dual_mov_b32 v4, v15
	;; [unrolled: 1-line block ×4, first 2 shown]
.LBB184_5:
	s_wait_alu 0xfffe
	s_or_b32 exec_lo, exec_lo, s4
	v_or_b32_e32 v12, 0x100, v0
	s_mov_b32 s4, exec_lo
	s_delay_alu instid0(VALU_DEP_1)
	v_cmpx_gt_u32_e64 s15, v12
	s_cbranch_execnz .LBB184_128
; %bb.6:
	s_wait_alu 0xfffe
	s_or_b32 exec_lo, exec_lo, s4
	s_delay_alu instid0(SALU_CYCLE_1)
	s_mov_b32 s4, exec_lo
	v_cmpx_gt_u32_e64 s15, v11
	s_cbranch_execnz .LBB184_129
.LBB184_7:
	s_wait_alu 0xfffe
	s_or_b32 exec_lo, exec_lo, s4
	s_delay_alu instid0(SALU_CYCLE_1)
	s_mov_b32 s4, exec_lo
	v_cmpx_gt_u32_e64 s15, v10
	s_cbranch_execz .LBB184_9
.LBB184_8:
	v_lshlrev_b32_e32 v7, 3, v0
	s_delay_alu instid0(VALU_DEP_1)
	v_add_co_u32 v7, s2, s2, v7
	s_wait_alu 0xf1ff
	v_add_co_ci_u32_e64 v8, null, s3, 0, s2
	flat_load_b64 v[7:8], v[7:8] offset:6144
.LBB184_9:
	s_wait_alu 0xfffe
	s_or_b32 exec_lo, exec_lo, s4
	v_lshrrev_b32_e32 v12, 2, v12
	v_lshrrev_b32_e32 v11, 2, v11
	;; [unrolled: 1-line block ×3, first 2 shown]
	v_and_b32_e32 v9, 56, v9
	v_lshlrev_b32_e32 v13, 3, v0
	v_and_b32_e32 v12, 0x78, v12
	v_and_b32_e32 v11, 0xf8, v11
	;; [unrolled: 1-line block ×3, first 2 shown]
	s_delay_alu instid0(VALU_DEP_4) | instskip(NEXT) | instid1(VALU_DEP_4)
	v_add_nc_u32_e32 v9, v9, v13
	v_add_nc_u32_e32 v12, v12, v13
	s_delay_alu instid0(VALU_DEP_4) | instskip(NEXT) | instid1(VALU_DEP_4)
	v_add_nc_u32_e32 v11, v11, v13
	v_add_nc_u32_e32 v10, v10, v13
	ds_store_b64 v9, v[1:2]
	s_wait_loadcnt_dscnt 0x1
	ds_store_b64 v12, v[3:4] offset:2048
	ds_store_b64 v11, v[5:6] offset:4096
	;; [unrolled: 1-line block ×3, first 2 shown]
	s_wait_dscnt 0x0
	s_barrier_signal -1
	s_barrier_wait -1
.LBB184_10:
	v_and_b32_e32 v1, 0xf8, v0
	global_inv scope:SCOPE_SE
	s_and_not1_b32 vcc_lo, exec_lo, s13
	v_lshl_add_u32 v5, v0, 5, v1
	ds_load_2addr_b64 v[1:4], v5 offset1:3
	ds_load_2addr_b64 v[5:8], v5 offset0:1 offset1:2
	s_wait_loadcnt_dscnt 0x0
	s_barrier_signal -1
	s_barrier_wait -1
	global_inv scope:SCOPE_SE
	s_wait_kmcnt 0x0
	v_cmp_ne_u64_e64 s2, s[6:7], v[1:2]
	v_cmp_ne_u64_e64 s14, s[6:7], v[3:4]
	s_cbranch_vccnz .LBB184_12
; %bb.11:
	v_cmp_ne_u64_e32 vcc_lo, s[6:7], v[7:8]
	s_wait_alu 0xf1ff
	v_cndmask_b32_e64 v27, 0, 1, s2
	v_cndmask_b32_e64 v25, 0, 1, vcc_lo
	v_cmp_ne_u64_e32 vcc_lo, s[6:7], v[5:6]
	s_delay_alu instid0(VALU_DEP_2) | instskip(SKIP_2) | instid1(VALU_DEP_1)
	v_lshlrev_b16 v10, 8, v25
	s_wait_alu 0xfffd
	v_cndmask_b32_e64 v9, 0, 1, vcc_lo
	v_or_b32_e32 v26, v9, v10
	s_cbranch_execz .LBB184_13
	s_branch .LBB184_14
.LBB184_12:
                                        ; implicit-def: $sgpr14
                                        ; implicit-def: $vgpr27
                                        ; implicit-def: $vgpr26
                                        ; implicit-def: $vgpr25
.LBB184_13:
	v_lshlrev_b32_e32 v9, 2, v0
	v_cmp_ne_u64_e64 s2, s[6:7], v[7:8]
	v_cmp_ne_u64_e64 s4, s[6:7], v[5:6]
	v_cmp_ne_u64_e32 vcc_lo, s[6:7], v[1:2]
	v_cmp_ne_u64_e64 s5, s[6:7], v[3:4]
	v_or_b32_e32 v10, 2, v9
	v_or_b32_e32 v11, 1, v9
	s_delay_alu instid0(VALU_DEP_2) | instskip(NEXT) | instid1(VALU_DEP_2)
	v_cmp_gt_u32_e64 s3, s15, v10
	v_cmp_gt_u32_e64 s6, s15, v11
	v_or_b32_e32 v10, 3, v9
	s_and_b32 s2, s3, s2
	s_and_b32 s4, s6, s4
	s_wait_alu 0xfffe
	v_cndmask_b32_e64 v25, 0, 1, s2
	v_cmp_gt_u32_e64 s2, s15, v9
	v_cmp_gt_u32_e64 s3, s15, v10
	v_cndmask_b32_e64 v9, 0, 1, s4
	s_delay_alu instid0(VALU_DEP_4)
	v_lshlrev_b16 v10, 8, v25
	s_and_b32 s2, s2, vcc_lo
	s_wait_alu 0xfffe
	v_cndmask_b32_e64 v27, 0, 1, s2
	s_and_b32 s2, s3, s5
	v_or_b32_e32 v26, v9, v10
	s_and_not1_b32 s3, s14, exec_lo
	s_wait_alu 0xfffe
	s_and_b32 s2, s2, exec_lo
	s_wait_alu 0xfffe
	s_or_b32 s14, s3, s2
.LBB184_14:
	s_load_b64 s[6:7], s[0:1], 0x60
	v_and_b32_e32 v30, 0xff, v27
	v_dual_mov_b32 v10, 0 :: v_dual_and_b32 v29, 0xff, v26
	v_cndmask_b32_e64 v9, 0, 1, s14
	v_mbcnt_lo_u32_b32 v31, -1, 0
	v_and_b32_e32 v28, 0xff, v25
	s_cmp_lg_u32 ttmp9, 0
	s_mov_b32 s3, -1
	v_add3_u32 v9, v30, v9, v29
	v_and_b32_e32 v32, 15, v31
	s_delay_alu instid0(VALU_DEP_2) | instskip(SKIP_2) | instid1(VALU_DEP_3)
	v_add_co_u32 v17, s2, v9, v28
	s_wait_alu 0xf1ff
	v_add_co_ci_u32_e64 v18, null, 0, 0, s2
	v_cmp_ne_u32_e64 s2, 0, v32
	s_cbranch_scc0 .LBB184_71
; %bb.15:
	v_mov_b32_e32 v11, v17
	v_mov_b32_dpp v9, v17 row_shr:1 row_mask:0xf bank_mask:0xf
	v_mov_b32_dpp v14, v10 row_shr:1 row_mask:0xf bank_mask:0xf
	v_dual_mov_b32 v13, v17 :: v_dual_mov_b32 v12, v18
	s_and_saveexec_b32 s3, s2
; %bb.16:
	s_delay_alu instid0(VALU_DEP_3) | instskip(SKIP_2) | instid1(VALU_DEP_2)
	v_add_co_u32 v13, vcc_lo, v17, v9
	s_wait_alu 0xfffd
	v_add_co_ci_u32_e64 v10, null, 0, v18, vcc_lo
	v_add_co_u32 v9, vcc_lo, 0, v13
	s_wait_alu 0xfffd
	s_delay_alu instid0(VALU_DEP_2) | instskip(NEXT) | instid1(VALU_DEP_1)
	v_add_co_ci_u32_e64 v10, null, v14, v10, vcc_lo
	v_dual_mov_b32 v12, v10 :: v_dual_mov_b32 v11, v9
; %bb.17:
	s_wait_alu 0xfffe
	s_or_b32 exec_lo, exec_lo, s3
	v_mov_b32_dpp v9, v13 row_shr:2 row_mask:0xf bank_mask:0xf
	v_mov_b32_dpp v14, v10 row_shr:2 row_mask:0xf bank_mask:0xf
	s_mov_b32 s3, exec_lo
	v_cmpx_lt_u32_e32 1, v32
; %bb.18:
	s_delay_alu instid0(VALU_DEP_3) | instskip(SKIP_2) | instid1(VALU_DEP_2)
	v_add_co_u32 v13, vcc_lo, v11, v9
	s_wait_alu 0xfffd
	v_add_co_ci_u32_e64 v10, null, 0, v12, vcc_lo
	v_add_co_u32 v9, vcc_lo, 0, v13
	s_wait_alu 0xfffd
	s_delay_alu instid0(VALU_DEP_2) | instskip(NEXT) | instid1(VALU_DEP_1)
	v_add_co_ci_u32_e64 v10, null, v14, v10, vcc_lo
	v_dual_mov_b32 v12, v10 :: v_dual_mov_b32 v11, v9
; %bb.19:
	s_wait_alu 0xfffe
	s_or_b32 exec_lo, exec_lo, s3
	v_mov_b32_dpp v9, v13 row_shr:4 row_mask:0xf bank_mask:0xf
	v_mov_b32_dpp v14, v10 row_shr:4 row_mask:0xf bank_mask:0xf
	s_mov_b32 s3, exec_lo
	v_cmpx_lt_u32_e32 3, v32
; %bb.20:
	s_delay_alu instid0(VALU_DEP_3) | instskip(SKIP_2) | instid1(VALU_DEP_2)
	v_add_co_u32 v13, vcc_lo, v11, v9
	s_wait_alu 0xfffd
	v_add_co_ci_u32_e64 v10, null, 0, v12, vcc_lo
	v_add_co_u32 v9, vcc_lo, 0, v13
	s_wait_alu 0xfffd
	s_delay_alu instid0(VALU_DEP_2) | instskip(NEXT) | instid1(VALU_DEP_1)
	v_add_co_ci_u32_e64 v10, null, v14, v10, vcc_lo
	v_dual_mov_b32 v12, v10 :: v_dual_mov_b32 v11, v9
; %bb.21:
	s_wait_alu 0xfffe
	s_or_b32 exec_lo, exec_lo, s3
	v_mov_b32_dpp v14, v13 row_shr:8 row_mask:0xf bank_mask:0xf
	v_mov_b32_dpp v9, v10 row_shr:8 row_mask:0xf bank_mask:0xf
	s_mov_b32 s3, exec_lo
	v_cmpx_lt_u32_e32 7, v32
; %bb.22:
	s_delay_alu instid0(VALU_DEP_3) | instskip(SKIP_2) | instid1(VALU_DEP_2)
	v_add_co_u32 v13, vcc_lo, v11, v14
	s_wait_alu 0xfffd
	v_add_co_ci_u32_e64 v10, null, 0, v12, vcc_lo
	v_add_co_u32 v11, vcc_lo, 0, v13
	s_wait_alu 0xfffd
	s_delay_alu instid0(VALU_DEP_2) | instskip(NEXT) | instid1(VALU_DEP_1)
	v_add_co_ci_u32_e64 v12, null, v9, v10, vcc_lo
	v_mov_b32_e32 v10, v12
; %bb.23:
	s_wait_alu 0xfffe
	s_or_b32 exec_lo, exec_lo, s3
	ds_swizzle_b32 v9, v13 offset:swizzle(BROADCAST,32,15)
	ds_swizzle_b32 v14, v10 offset:swizzle(BROADCAST,32,15)
	v_and_b32_e32 v15, 16, v31
	s_mov_b32 s3, exec_lo
	s_delay_alu instid0(VALU_DEP_1)
	v_cmpx_ne_u32_e32 0, v15
	s_cbranch_execz .LBB184_25
; %bb.24:
	s_wait_dscnt 0x1
	v_add_co_u32 v13, vcc_lo, v11, v9
	s_wait_alu 0xfffd
	v_add_co_ci_u32_e64 v10, null, 0, v12, vcc_lo
	s_delay_alu instid0(VALU_DEP_2) | instskip(SKIP_2) | instid1(VALU_DEP_2)
	v_add_co_u32 v9, vcc_lo, 0, v13
	s_wait_dscnt 0x0
	s_wait_alu 0xfffd
	v_add_co_ci_u32_e64 v10, null, v14, v10, vcc_lo
	s_delay_alu instid0(VALU_DEP_1)
	v_dual_mov_b32 v12, v10 :: v_dual_mov_b32 v11, v9
.LBB184_25:
	s_wait_alu 0xfffe
	s_or_b32 exec_lo, exec_lo, s3
	s_wait_dscnt 0x0
	v_or_b32_e32 v14, 31, v0
	v_lshrrev_b32_e32 v9, 5, v0
	s_mov_b32 s3, exec_lo
	s_delay_alu instid0(VALU_DEP_2)
	v_cmpx_eq_u32_e64 v0, v14
; %bb.26:
	s_delay_alu instid0(VALU_DEP_2)
	v_lshlrev_b32_e32 v14, 3, v9
	ds_store_b64 v14, v[11:12]
; %bb.27:
	s_wait_alu 0xfffe
	s_or_b32 exec_lo, exec_lo, s3
	s_delay_alu instid0(SALU_CYCLE_1)
	s_mov_b32 s3, exec_lo
	s_wait_loadcnt_dscnt 0x0
	s_barrier_signal -1
	s_barrier_wait -1
	global_inv scope:SCOPE_SE
	v_cmpx_gt_u32_e32 8, v0
	s_cbranch_execz .LBB184_35
; %bb.28:
	v_lshlrev_b32_e32 v14, 3, v0
	s_mov_b32 s4, exec_lo
	ds_load_b64 v[11:12], v14
	s_wait_dscnt 0x0
	v_dual_mov_b32 v16, v11 :: v_dual_and_b32 v15, 7, v31
	v_mov_b32_dpp v20, v11 row_shr:1 row_mask:0xf bank_mask:0xf
	v_mov_b32_dpp v19, v12 row_shr:1 row_mask:0xf bank_mask:0xf
	s_delay_alu instid0(VALU_DEP_3)
	v_cmpx_ne_u32_e32 0, v15
; %bb.29:
	s_delay_alu instid0(VALU_DEP_3) | instskip(SKIP_2) | instid1(VALU_DEP_2)
	v_add_co_u32 v16, vcc_lo, v11, v20
	s_wait_alu 0xfffd
	v_add_co_ci_u32_e64 v12, null, 0, v12, vcc_lo
	v_add_co_u32 v11, vcc_lo, 0, v16
	s_wait_alu 0xfffd
	s_delay_alu instid0(VALU_DEP_2)
	v_add_co_ci_u32_e64 v12, null, v19, v12, vcc_lo
; %bb.30:
	s_wait_alu 0xfffe
	s_or_b32 exec_lo, exec_lo, s4
	v_mov_b32_dpp v20, v16 row_shr:2 row_mask:0xf bank_mask:0xf
	s_delay_alu instid0(VALU_DEP_2)
	v_mov_b32_dpp v19, v12 row_shr:2 row_mask:0xf bank_mask:0xf
	s_mov_b32 s4, exec_lo
	v_cmpx_lt_u32_e32 1, v15
; %bb.31:
	s_delay_alu instid0(VALU_DEP_3) | instskip(SKIP_2) | instid1(VALU_DEP_2)
	v_add_co_u32 v16, vcc_lo, v11, v20
	s_wait_alu 0xfffd
	v_add_co_ci_u32_e64 v12, null, 0, v12, vcc_lo
	v_add_co_u32 v11, vcc_lo, 0, v16
	s_wait_alu 0xfffd
	s_delay_alu instid0(VALU_DEP_2)
	v_add_co_ci_u32_e64 v12, null, v19, v12, vcc_lo
; %bb.32:
	s_wait_alu 0xfffe
	s_or_b32 exec_lo, exec_lo, s4
	v_mov_b32_dpp v19, v16 row_shr:4 row_mask:0xf bank_mask:0xf
	s_delay_alu instid0(VALU_DEP_2)
	v_mov_b32_dpp v16, v12 row_shr:4 row_mask:0xf bank_mask:0xf
	s_mov_b32 s4, exec_lo
	v_cmpx_lt_u32_e32 3, v15
; %bb.33:
	s_delay_alu instid0(VALU_DEP_3) | instskip(SKIP_2) | instid1(VALU_DEP_2)
	v_add_co_u32 v11, vcc_lo, v11, v19
	s_wait_alu 0xfffd
	v_add_co_ci_u32_e64 v12, null, 0, v12, vcc_lo
	v_add_co_u32 v11, vcc_lo, v11, 0
	s_wait_alu 0xfffd
	s_delay_alu instid0(VALU_DEP_2)
	v_add_co_ci_u32_e64 v12, null, v12, v16, vcc_lo
; %bb.34:
	s_wait_alu 0xfffe
	s_or_b32 exec_lo, exec_lo, s4
	ds_store_b64 v14, v[11:12]
.LBB184_35:
	s_wait_alu 0xfffe
	s_or_b32 exec_lo, exec_lo, s3
	s_delay_alu instid0(SALU_CYCLE_1)
	s_mov_b32 s4, exec_lo
	v_cmp_gt_u32_e32 vcc_lo, 32, v0
	s_wait_loadcnt_dscnt 0x0
	s_barrier_signal -1
	s_barrier_wait -1
	global_inv scope:SCOPE_SE
                                        ; implicit-def: $vgpr19_vgpr20
	v_cmpx_lt_u32_e32 31, v0
	s_cbranch_execz .LBB184_37
; %bb.36:
	v_lshl_add_u32 v9, v9, 3, -8
	ds_load_b64 v[19:20], v9
	s_wait_dscnt 0x0
	v_add_co_u32 v13, s3, v13, v19
	s_wait_alu 0xf1ff
	v_add_co_ci_u32_e64 v10, null, v10, v20, s3
.LBB184_37:
	s_wait_alu 0xfffe
	s_or_b32 exec_lo, exec_lo, s4
	v_sub_co_u32 v9, s3, v31, 1
	s_delay_alu instid0(VALU_DEP_1) | instskip(SKIP_1) | instid1(VALU_DEP_1)
	v_cmp_gt_i32_e64 s4, 0, v9
	s_wait_alu 0xf1ff
	v_cndmask_b32_e64 v9, v9, v31, s4
	s_delay_alu instid0(VALU_DEP_1)
	v_lshlrev_b32_e32 v9, 2, v9
	ds_bpermute_b32 v33, v9, v13
	ds_bpermute_b32 v34, v9, v10
	s_and_saveexec_b32 s4, vcc_lo
	s_cbranch_execz .LBB184_76
; %bb.38:
	v_mov_b32_e32 v12, 0
	ds_load_b64 v[9:10], v12 offset:56
	s_and_saveexec_b32 s5, s3
	s_cbranch_execz .LBB184_40
; %bb.39:
	s_add_co_i32 s16, ttmp9, 32
	s_mov_b32 s17, 0
	s_delay_alu instid0(SALU_CYCLE_1)
	s_lshl_b64 s[16:17], s[16:17], 4
	s_wait_kmcnt 0x0
	s_add_nc_u64 s[16:17], s[6:7], s[16:17]
	v_mov_b32_e32 v11, 1
	v_dual_mov_b32 v13, s16 :: v_dual_mov_b32 v14, s17
	s_wait_dscnt 0x0
	;;#ASMSTART
	global_store_b128 v[13:14], v[9:12] off scope:SCOPE_DEV	
s_wait_storecnt 0x0
	;;#ASMEND
.LBB184_40:
	s_wait_alu 0xfffe
	s_or_b32 exec_lo, exec_lo, s5
	v_xad_u32 v21, v31, -1, ttmp9
	s_mov_b32 s15, 0
	s_mov_b32 s5, exec_lo
	s_delay_alu instid0(VALU_DEP_1) | instskip(NEXT) | instid1(VALU_DEP_1)
	v_add_nc_u32_e32 v11, 32, v21
	v_lshlrev_b64_e32 v[11:12], 4, v[11:12]
	s_wait_kmcnt 0x0
	s_delay_alu instid0(VALU_DEP_1) | instskip(SKIP_1) | instid1(VALU_DEP_2)
	v_add_co_u32 v11, vcc_lo, s6, v11
	s_wait_alu 0xfffd
	v_add_co_ci_u32_e64 v12, null, s7, v12, vcc_lo
	;;#ASMSTART
	global_load_b128 v[13:16], v[11:12] off scope:SCOPE_DEV	
s_wait_loadcnt 0x0
	;;#ASMEND
	v_and_b32_e32 v16, 0xff, v15
	s_delay_alu instid0(VALU_DEP_1)
	v_cmpx_eq_u16_e32 0, v16
	s_cbranch_execz .LBB184_43
.LBB184_41:                             ; =>This Inner Loop Header: Depth=1
	;;#ASMSTART
	global_load_b128 v[13:16], v[11:12] off scope:SCOPE_DEV	
s_wait_loadcnt 0x0
	;;#ASMEND
	v_and_b32_e32 v16, 0xff, v15
	s_delay_alu instid0(VALU_DEP_1)
	v_cmp_ne_u16_e32 vcc_lo, 0, v16
	s_wait_alu 0xfffe
	s_or_b32 s15, vcc_lo, s15
	s_wait_alu 0xfffe
	s_and_not1_b32 exec_lo, exec_lo, s15
	s_cbranch_execnz .LBB184_41
; %bb.42:
	s_or_b32 exec_lo, exec_lo, s15
.LBB184_43:
	s_wait_alu 0xfffe
	s_or_b32 exec_lo, exec_lo, s5
	v_cmp_ne_u32_e32 vcc_lo, 31, v31
	v_and_b32_e32 v12, 0xff, v15
	v_lshlrev_b32_e64 v36, v31, -1
	s_mov_b32 s5, exec_lo
	s_wait_alu 0xfffd
	v_add_co_ci_u32_e64 v11, null, 0, v31, vcc_lo
	v_cmp_eq_u16_e32 vcc_lo, 2, v12
	s_delay_alu instid0(VALU_DEP_2)
	v_dual_mov_b32 v12, v13 :: v_dual_lshlrev_b32 v35, 2, v11
	s_wait_alu 0xfffd
	v_and_or_b32 v11, vcc_lo, v36, 0x80000000
	ds_bpermute_b32 v22, v35, v13
	ds_bpermute_b32 v16, v35, v14
	v_ctz_i32_b32_e32 v11, v11
	s_delay_alu instid0(VALU_DEP_1)
	v_cmpx_lt_u32_e64 v31, v11
	s_cbranch_execz .LBB184_45
; %bb.44:
	s_wait_dscnt 0x1
	v_add_co_u32 v12, vcc_lo, v13, v22
	s_wait_alu 0xfffd
	v_add_co_ci_u32_e64 v14, null, 0, v14, vcc_lo
	s_delay_alu instid0(VALU_DEP_2) | instskip(SKIP_2) | instid1(VALU_DEP_2)
	v_add_co_u32 v13, vcc_lo, 0, v12
	s_wait_dscnt 0x0
	s_wait_alu 0xfffd
	v_add_co_ci_u32_e64 v14, null, v16, v14, vcc_lo
.LBB184_45:
	s_wait_alu 0xfffe
	s_or_b32 exec_lo, exec_lo, s5
	v_cmp_gt_u32_e32 vcc_lo, 30, v31
	v_add_nc_u32_e32 v38, 2, v31
	s_mov_b32 s5, exec_lo
	s_wait_dscnt 0x0
	s_wait_alu 0xfffd
	v_cndmask_b32_e64 v16, 0, 2, vcc_lo
	s_delay_alu instid0(VALU_DEP_1)
	v_add_lshl_u32 v37, v16, v31, 2
	ds_bpermute_b32 v22, v37, v12
	ds_bpermute_b32 v16, v37, v14
	v_cmpx_le_u32_e64 v38, v11
	s_cbranch_execz .LBB184_47
; %bb.46:
	s_wait_dscnt 0x1
	v_add_co_u32 v12, vcc_lo, v13, v22
	s_wait_alu 0xfffd
	v_add_co_ci_u32_e64 v14, null, 0, v14, vcc_lo
	s_delay_alu instid0(VALU_DEP_2) | instskip(SKIP_2) | instid1(VALU_DEP_2)
	v_add_co_u32 v13, vcc_lo, 0, v12
	s_wait_dscnt 0x0
	s_wait_alu 0xfffd
	v_add_co_ci_u32_e64 v14, null, v16, v14, vcc_lo
.LBB184_47:
	s_wait_alu 0xfffe
	s_or_b32 exec_lo, exec_lo, s5
	v_cmp_gt_u32_e32 vcc_lo, 28, v31
	v_add_nc_u32_e32 v40, 4, v31
	s_mov_b32 s5, exec_lo
	s_wait_dscnt 0x0
	s_wait_alu 0xfffd
	v_cndmask_b32_e64 v16, 0, 4, vcc_lo
	s_delay_alu instid0(VALU_DEP_1)
	v_add_lshl_u32 v39, v16, v31, 2
	ds_bpermute_b32 v22, v39, v12
	ds_bpermute_b32 v16, v39, v14
	v_cmpx_le_u32_e64 v40, v11
	;; [unrolled: 25-line block ×3, first 2 shown]
	s_cbranch_execz .LBB184_51
; %bb.50:
	s_wait_dscnt 0x1
	v_add_co_u32 v12, vcc_lo, v13, v22
	s_wait_alu 0xfffd
	v_add_co_ci_u32_e64 v14, null, 0, v14, vcc_lo
	s_delay_alu instid0(VALU_DEP_2) | instskip(SKIP_2) | instid1(VALU_DEP_2)
	v_add_co_u32 v13, vcc_lo, 0, v12
	s_wait_dscnt 0x0
	s_wait_alu 0xfffd
	v_add_co_ci_u32_e64 v14, null, v16, v14, vcc_lo
.LBB184_51:
	s_wait_alu 0xfffe
	s_or_b32 exec_lo, exec_lo, s5
	v_lshl_or_b32 v43, v31, 2, 64
	v_add_nc_u32_e32 v44, 16, v31
	s_mov_b32 s5, exec_lo
	s_wait_dscnt 0x0
	ds_bpermute_b32 v16, v43, v12
	ds_bpermute_b32 v12, v43, v14
	v_cmpx_le_u32_e64 v44, v11
	s_cbranch_execz .LBB184_53
; %bb.52:
	s_wait_dscnt 0x1
	v_add_co_u32 v11, vcc_lo, v13, v16
	s_wait_alu 0xfffd
	v_add_co_ci_u32_e64 v14, null, 0, v14, vcc_lo
	s_delay_alu instid0(VALU_DEP_2) | instskip(SKIP_2) | instid1(VALU_DEP_2)
	v_add_co_u32 v13, vcc_lo, v11, 0
	s_wait_dscnt 0x0
	s_wait_alu 0xfffd
	v_add_co_ci_u32_e64 v14, null, v14, v12, vcc_lo
.LBB184_53:
	s_wait_alu 0xfffe
	s_or_b32 exec_lo, exec_lo, s5
	v_mov_b32_e32 v22, 0
	s_branch .LBB184_56
.LBB184_54:                             ;   in Loop: Header=BB184_56 Depth=1
	s_wait_alu 0xfffe
	s_or_b32 exec_lo, exec_lo, s5
	v_add_co_u32 v13, vcc_lo, v13, v11
	v_subrev_nc_u32_e32 v21, 32, v21
	s_wait_alu 0xfffd
	v_add_co_ci_u32_e64 v14, null, v14, v12, vcc_lo
	s_mov_b32 s5, 0
.LBB184_55:                             ;   in Loop: Header=BB184_56 Depth=1
	s_wait_alu 0xfffe
	s_and_b32 vcc_lo, exec_lo, s5
	s_wait_alu 0xfffe
	s_cbranch_vccnz .LBB184_72
.LBB184_56:                             ; =>This Loop Header: Depth=1
                                        ;     Child Loop BB184_59 Depth 2
	v_and_b32_e32 v11, 0xff, v15
	s_mov_b32 s5, -1
	s_delay_alu instid0(VALU_DEP_1)
	v_cmp_ne_u16_e32 vcc_lo, 2, v11
	s_wait_dscnt 0x0
	v_dual_mov_b32 v11, v13 :: v_dual_mov_b32 v12, v14
                                        ; implicit-def: $vgpr13_vgpr14
	s_cmp_lg_u32 vcc_lo, exec_lo
	s_cbranch_scc1 .LBB184_55
; %bb.57:                               ;   in Loop: Header=BB184_56 Depth=1
	v_lshlrev_b64_e32 v[13:14], 4, v[21:22]
	s_mov_b32 s5, exec_lo
	s_delay_alu instid0(VALU_DEP_1) | instskip(SKIP_1) | instid1(VALU_DEP_2)
	v_add_co_u32 v23, vcc_lo, s6, v13
	s_wait_alu 0xfffd
	v_add_co_ci_u32_e64 v24, null, s7, v14, vcc_lo
	;;#ASMSTART
	global_load_b128 v[13:16], v[23:24] off scope:SCOPE_DEV	
s_wait_loadcnt 0x0
	;;#ASMEND
	v_and_b32_e32 v16, 0xff, v15
	s_delay_alu instid0(VALU_DEP_1)
	v_cmpx_eq_u16_e32 0, v16
	s_cbranch_execz .LBB184_61
; %bb.58:                               ;   in Loop: Header=BB184_56 Depth=1
	s_mov_b32 s15, 0
.LBB184_59:                             ;   Parent Loop BB184_56 Depth=1
                                        ; =>  This Inner Loop Header: Depth=2
	;;#ASMSTART
	global_load_b128 v[13:16], v[23:24] off scope:SCOPE_DEV	
s_wait_loadcnt 0x0
	;;#ASMEND
	v_and_b32_e32 v16, 0xff, v15
	s_delay_alu instid0(VALU_DEP_1)
	v_cmp_ne_u16_e32 vcc_lo, 0, v16
	s_wait_alu 0xfffe
	s_or_b32 s15, vcc_lo, s15
	s_wait_alu 0xfffe
	s_and_not1_b32 exec_lo, exec_lo, s15
	s_cbranch_execnz .LBB184_59
; %bb.60:                               ;   in Loop: Header=BB184_56 Depth=1
	s_or_b32 exec_lo, exec_lo, s15
.LBB184_61:                             ;   in Loop: Header=BB184_56 Depth=1
	s_wait_alu 0xfffe
	s_or_b32 exec_lo, exec_lo, s5
	v_dual_mov_b32 v23, v13 :: v_dual_and_b32 v16, 0xff, v15
	ds_bpermute_b32 v45, v35, v13
	ds_bpermute_b32 v24, v35, v14
	s_mov_b32 s5, exec_lo
	v_cmp_eq_u16_e32 vcc_lo, 2, v16
	s_wait_alu 0xfffd
	v_and_or_b32 v16, vcc_lo, v36, 0x80000000
	s_delay_alu instid0(VALU_DEP_1) | instskip(NEXT) | instid1(VALU_DEP_1)
	v_ctz_i32_b32_e32 v16, v16
	v_cmpx_lt_u32_e64 v31, v16
	s_cbranch_execz .LBB184_63
; %bb.62:                               ;   in Loop: Header=BB184_56 Depth=1
	s_wait_dscnt 0x1
	v_add_co_u32 v23, vcc_lo, v13, v45
	s_wait_alu 0xfffd
	v_add_co_ci_u32_e64 v14, null, 0, v14, vcc_lo
	s_delay_alu instid0(VALU_DEP_2) | instskip(SKIP_2) | instid1(VALU_DEP_2)
	v_add_co_u32 v13, vcc_lo, 0, v23
	s_wait_dscnt 0x0
	s_wait_alu 0xfffd
	v_add_co_ci_u32_e64 v14, null, v24, v14, vcc_lo
.LBB184_63:                             ;   in Loop: Header=BB184_56 Depth=1
	s_wait_alu 0xfffe
	s_or_b32 exec_lo, exec_lo, s5
	s_wait_dscnt 0x1
	ds_bpermute_b32 v45, v37, v23
	s_wait_dscnt 0x1
	ds_bpermute_b32 v24, v37, v14
	s_mov_b32 s5, exec_lo
	v_cmpx_le_u32_e64 v38, v16
	s_cbranch_execz .LBB184_65
; %bb.64:                               ;   in Loop: Header=BB184_56 Depth=1
	s_wait_dscnt 0x1
	v_add_co_u32 v23, vcc_lo, v13, v45
	s_wait_alu 0xfffd
	v_add_co_ci_u32_e64 v14, null, 0, v14, vcc_lo
	s_delay_alu instid0(VALU_DEP_2) | instskip(SKIP_2) | instid1(VALU_DEP_2)
	v_add_co_u32 v13, vcc_lo, 0, v23
	s_wait_dscnt 0x0
	s_wait_alu 0xfffd
	v_add_co_ci_u32_e64 v14, null, v24, v14, vcc_lo
.LBB184_65:                             ;   in Loop: Header=BB184_56 Depth=1
	s_wait_alu 0xfffe
	s_or_b32 exec_lo, exec_lo, s5
	s_wait_dscnt 0x1
	ds_bpermute_b32 v45, v39, v23
	s_wait_dscnt 0x1
	ds_bpermute_b32 v24, v39, v14
	s_mov_b32 s5, exec_lo
	v_cmpx_le_u32_e64 v40, v16
	;; [unrolled: 20-line block ×3, first 2 shown]
	s_cbranch_execz .LBB184_69
; %bb.68:                               ;   in Loop: Header=BB184_56 Depth=1
	s_wait_dscnt 0x1
	v_add_co_u32 v23, vcc_lo, v13, v45
	s_wait_alu 0xfffd
	v_add_co_ci_u32_e64 v14, null, 0, v14, vcc_lo
	s_delay_alu instid0(VALU_DEP_2) | instskip(SKIP_2) | instid1(VALU_DEP_2)
	v_add_co_u32 v13, vcc_lo, 0, v23
	s_wait_dscnt 0x0
	s_wait_alu 0xfffd
	v_add_co_ci_u32_e64 v14, null, v24, v14, vcc_lo
.LBB184_69:                             ;   in Loop: Header=BB184_56 Depth=1
	s_wait_alu 0xfffe
	s_or_b32 exec_lo, exec_lo, s5
	s_wait_dscnt 0x0
	ds_bpermute_b32 v24, v43, v23
	ds_bpermute_b32 v23, v43, v14
	s_mov_b32 s5, exec_lo
	v_cmpx_le_u32_e64 v44, v16
	s_cbranch_execz .LBB184_54
; %bb.70:                               ;   in Loop: Header=BB184_56 Depth=1
	s_wait_dscnt 0x1
	v_add_co_u32 v13, vcc_lo, v13, v24
	s_wait_alu 0xfffd
	v_add_co_ci_u32_e64 v14, null, 0, v14, vcc_lo
	s_delay_alu instid0(VALU_DEP_2) | instskip(SKIP_2) | instid1(VALU_DEP_2)
	v_add_co_u32 v13, vcc_lo, v13, 0
	s_wait_dscnt 0x0
	s_wait_alu 0xfffd
	v_add_co_ci_u32_e64 v14, null, v14, v23, vcc_lo
	s_branch .LBB184_54
.LBB184_71:
                                        ; implicit-def: $vgpr15_vgpr16
                                        ; implicit-def: $vgpr13_vgpr14
                                        ; implicit-def: $vgpr19_vgpr20
                                        ; implicit-def: $vgpr21_vgpr22
                                        ; implicit-def: $vgpr11_vgpr12
	s_wait_alu 0xfffe
	s_and_b32 vcc_lo, exec_lo, s3
	s_wait_alu 0xfffe
	s_cbranch_vccnz .LBB184_77
	s_branch .LBB184_102
.LBB184_72:
	s_and_saveexec_b32 s5, s3
	s_cbranch_execz .LBB184_74
; %bb.73:
	s_add_co_i32 s16, ttmp9, 32
	s_mov_b32 s17, 0
	v_add_co_u32 v13, vcc_lo, v11, v9
	s_wait_alu 0xfffe
	s_lshl_b64 s[16:17], s[16:17], 4
	v_dual_mov_b32 v15, 2 :: v_dual_mov_b32 v16, 0
	s_wait_alu 0xfffe
	s_add_nc_u64 s[16:17], s[6:7], s[16:17]
	s_wait_alu 0xfffd
	v_add_co_ci_u32_e64 v14, null, v12, v10, vcc_lo
	s_wait_alu 0xfffe
	v_dual_mov_b32 v22, s17 :: v_dual_mov_b32 v21, s16
	;;#ASMSTART
	global_store_b128 v[21:22], v[13:16] off scope:SCOPE_DEV	
s_wait_storecnt 0x0
	;;#ASMEND
	ds_store_b128 v16, v[9:12] offset:8448
.LBB184_74:
	s_wait_alu 0xfffe
	s_or_b32 exec_lo, exec_lo, s5
	v_cmp_eq_u32_e32 vcc_lo, 0, v0
	s_and_b32 exec_lo, exec_lo, vcc_lo
; %bb.75:
	v_mov_b32_e32 v9, 0
	ds_store_b64 v9, v[11:12] offset:56
.LBB184_76:
	s_wait_alu 0xfffe
	s_or_b32 exec_lo, exec_lo, s4
	s_wait_dscnt 0x1
	v_cndmask_b32_e64 v10, v33, v19, s3
	v_cmp_ne_u32_e32 vcc_lo, 0, v0
	v_mov_b32_e32 v9, 0
	s_wait_loadcnt_dscnt 0x0
	s_barrier_signal -1
	s_barrier_wait -1
	global_inv scope:SCOPE_SE
	s_wait_alu 0xfffd
	v_cndmask_b32_e32 v16, 0, v10, vcc_lo
	ds_load_b64 v[13:14], v9 offset:56
	v_cndmask_b32_e64 v11, v34, v20, s3
	s_wait_loadcnt_dscnt 0x0
	s_barrier_signal -1
	s_barrier_wait -1
	global_inv scope:SCOPE_SE
	v_cndmask_b32_e32 v15, 0, v11, vcc_lo
	ds_load_b128 v[9:12], v9 offset:8448
	v_add_co_u32 v21, vcc_lo, v13, v16
	s_wait_alu 0xfffd
	v_add_co_ci_u32_e64 v22, null, v14, v15, vcc_lo
	s_delay_alu instid0(VALU_DEP_2) | instskip(SKIP_1) | instid1(VALU_DEP_2)
	v_add_co_u32 v19, vcc_lo, v21, v30
	s_wait_alu 0xfffd
	v_add_co_ci_u32_e64 v20, null, 0, v22, vcc_lo
	s_delay_alu instid0(VALU_DEP_2) | instskip(SKIP_1) | instid1(VALU_DEP_2)
	;; [unrolled: 4-line block ×3, first 2 shown]
	v_add_co_u32 v15, vcc_lo, v13, v28
	s_wait_alu 0xfffd
	v_add_co_ci_u32_e64 v16, null, 0, v14, vcc_lo
	s_branch .LBB184_102
.LBB184_77:
	s_wait_dscnt 0x0
	v_dual_mov_b32 v10, 0 :: v_dual_mov_b32 v11, v17
	v_mov_b32_dpp v12, v17 row_shr:1 row_mask:0xf bank_mask:0xf
	s_delay_alu instid0(VALU_DEP_2)
	v_mov_b32_dpp v9, v10 row_shr:1 row_mask:0xf bank_mask:0xf
	s_and_saveexec_b32 s3, s2
; %bb.78:
	s_delay_alu instid0(VALU_DEP_2) | instskip(SKIP_2) | instid1(VALU_DEP_2)
	v_add_co_u32 v11, vcc_lo, v17, v12
	s_wait_alu 0xfffd
	v_add_co_ci_u32_e64 v10, null, 0, v18, vcc_lo
	v_add_co_u32 v17, vcc_lo, 0, v11
	s_wait_alu 0xfffd
	s_delay_alu instid0(VALU_DEP_2) | instskip(NEXT) | instid1(VALU_DEP_1)
	v_add_co_ci_u32_e64 v18, null, v9, v10, vcc_lo
	v_mov_b32_e32 v10, v18
; %bb.79:
	s_wait_alu 0xfffe
	s_or_b32 exec_lo, exec_lo, s3
	v_mov_b32_dpp v9, v11 row_shr:2 row_mask:0xf bank_mask:0xf
	s_delay_alu instid0(VALU_DEP_2)
	v_mov_b32_dpp v12, v10 row_shr:2 row_mask:0xf bank_mask:0xf
	s_mov_b32 s2, exec_lo
	v_cmpx_lt_u32_e32 1, v32
; %bb.80:
	s_delay_alu instid0(VALU_DEP_3) | instskip(SKIP_2) | instid1(VALU_DEP_2)
	v_add_co_u32 v11, vcc_lo, v17, v9
	s_wait_alu 0xfffd
	v_add_co_ci_u32_e64 v10, null, 0, v18, vcc_lo
	v_add_co_u32 v9, vcc_lo, 0, v11
	s_wait_alu 0xfffd
	s_delay_alu instid0(VALU_DEP_2) | instskip(NEXT) | instid1(VALU_DEP_1)
	v_add_co_ci_u32_e64 v10, null, v12, v10, vcc_lo
	v_dual_mov_b32 v18, v10 :: v_dual_mov_b32 v17, v9
; %bb.81:
	s_wait_alu 0xfffe
	s_or_b32 exec_lo, exec_lo, s2
	v_mov_b32_dpp v9, v11 row_shr:4 row_mask:0xf bank_mask:0xf
	v_mov_b32_dpp v12, v10 row_shr:4 row_mask:0xf bank_mask:0xf
	s_mov_b32 s2, exec_lo
	v_cmpx_lt_u32_e32 3, v32
; %bb.82:
	s_delay_alu instid0(VALU_DEP_3) | instskip(SKIP_2) | instid1(VALU_DEP_2)
	v_add_co_u32 v11, vcc_lo, v17, v9
	s_wait_alu 0xfffd
	v_add_co_ci_u32_e64 v10, null, 0, v18, vcc_lo
	v_add_co_u32 v9, vcc_lo, 0, v11
	s_wait_alu 0xfffd
	s_delay_alu instid0(VALU_DEP_2) | instskip(NEXT) | instid1(VALU_DEP_1)
	v_add_co_ci_u32_e64 v10, null, v12, v10, vcc_lo
	v_dual_mov_b32 v18, v10 :: v_dual_mov_b32 v17, v9
; %bb.83:
	s_wait_alu 0xfffe
	s_or_b32 exec_lo, exec_lo, s2
	v_mov_b32_dpp v12, v11 row_shr:8 row_mask:0xf bank_mask:0xf
	v_mov_b32_dpp v9, v10 row_shr:8 row_mask:0xf bank_mask:0xf
	s_mov_b32 s2, exec_lo
	v_cmpx_lt_u32_e32 7, v32
; %bb.84:
	s_delay_alu instid0(VALU_DEP_3) | instskip(SKIP_2) | instid1(VALU_DEP_2)
	v_add_co_u32 v11, vcc_lo, v17, v12
	s_wait_alu 0xfffd
	v_add_co_ci_u32_e64 v10, null, 0, v18, vcc_lo
	v_add_co_u32 v17, vcc_lo, 0, v11
	s_wait_alu 0xfffd
	s_delay_alu instid0(VALU_DEP_2) | instskip(NEXT) | instid1(VALU_DEP_1)
	v_add_co_ci_u32_e64 v18, null, v9, v10, vcc_lo
	v_mov_b32_e32 v10, v18
; %bb.85:
	s_wait_alu 0xfffe
	s_or_b32 exec_lo, exec_lo, s2
	ds_swizzle_b32 v11, v11 offset:swizzle(BROADCAST,32,15)
	ds_swizzle_b32 v9, v10 offset:swizzle(BROADCAST,32,15)
	v_and_b32_e32 v10, 16, v31
	s_mov_b32 s2, exec_lo
	s_delay_alu instid0(VALU_DEP_1)
	v_cmpx_ne_u32_e32 0, v10
	s_cbranch_execz .LBB184_87
; %bb.86:
	s_wait_dscnt 0x1
	v_add_co_u32 v10, vcc_lo, v17, v11
	s_wait_alu 0xfffd
	v_add_co_ci_u32_e64 v11, null, 0, v18, vcc_lo
	s_delay_alu instid0(VALU_DEP_2) | instskip(SKIP_2) | instid1(VALU_DEP_2)
	v_add_co_u32 v17, vcc_lo, v10, 0
	s_wait_dscnt 0x0
	s_wait_alu 0xfffd
	v_add_co_ci_u32_e64 v18, null, v11, v9, vcc_lo
.LBB184_87:
	s_wait_alu 0xfffe
	s_or_b32 exec_lo, exec_lo, s2
	s_wait_dscnt 0x0
	v_or_b32_e32 v9, 31, v0
	v_lshrrev_b32_e32 v11, 5, v0
	s_mov_b32 s2, exec_lo
	s_delay_alu instid0(VALU_DEP_2)
	v_cmpx_eq_u32_e64 v0, v9
; %bb.88:
	s_delay_alu instid0(VALU_DEP_2)
	v_lshlrev_b32_e32 v9, 3, v11
	ds_store_b64 v9, v[17:18]
; %bb.89:
	s_wait_alu 0xfffe
	s_or_b32 exec_lo, exec_lo, s2
	s_delay_alu instid0(SALU_CYCLE_1)
	s_mov_b32 s2, exec_lo
	s_wait_loadcnt_dscnt 0x0
	s_barrier_signal -1
	s_barrier_wait -1
	global_inv scope:SCOPE_SE
	v_cmpx_gt_u32_e32 8, v0
	s_cbranch_execz .LBB184_97
; %bb.90:
	v_lshlrev_b32_e32 v12, 3, v0
	s_mov_b32 s3, exec_lo
	ds_load_b64 v[9:10], v12
	s_wait_dscnt 0x0
	v_dual_mov_b32 v14, v9 :: v_dual_and_b32 v13, 7, v31
	v_mov_b32_dpp v16, v9 row_shr:1 row_mask:0xf bank_mask:0xf
	v_mov_b32_dpp v15, v10 row_shr:1 row_mask:0xf bank_mask:0xf
	s_delay_alu instid0(VALU_DEP_3)
	v_cmpx_ne_u32_e32 0, v13
; %bb.91:
	s_delay_alu instid0(VALU_DEP_3) | instskip(SKIP_2) | instid1(VALU_DEP_2)
	v_add_co_u32 v14, vcc_lo, v9, v16
	s_wait_alu 0xfffd
	v_add_co_ci_u32_e64 v10, null, 0, v10, vcc_lo
	v_add_co_u32 v9, vcc_lo, 0, v14
	s_wait_alu 0xfffd
	s_delay_alu instid0(VALU_DEP_2)
	v_add_co_ci_u32_e64 v10, null, v15, v10, vcc_lo
; %bb.92:
	s_wait_alu 0xfffe
	s_or_b32 exec_lo, exec_lo, s3
	v_mov_b32_dpp v16, v14 row_shr:2 row_mask:0xf bank_mask:0xf
	s_delay_alu instid0(VALU_DEP_2)
	v_mov_b32_dpp v15, v10 row_shr:2 row_mask:0xf bank_mask:0xf
	s_mov_b32 s3, exec_lo
	v_cmpx_lt_u32_e32 1, v13
; %bb.93:
	s_delay_alu instid0(VALU_DEP_3) | instskip(SKIP_2) | instid1(VALU_DEP_2)
	v_add_co_u32 v14, vcc_lo, v9, v16
	s_wait_alu 0xfffd
	v_add_co_ci_u32_e64 v10, null, 0, v10, vcc_lo
	v_add_co_u32 v9, vcc_lo, 0, v14
	s_wait_alu 0xfffd
	s_delay_alu instid0(VALU_DEP_2)
	v_add_co_ci_u32_e64 v10, null, v15, v10, vcc_lo
; %bb.94:
	s_wait_alu 0xfffe
	s_or_b32 exec_lo, exec_lo, s3
	v_mov_b32_dpp v15, v14 row_shr:4 row_mask:0xf bank_mask:0xf
	s_delay_alu instid0(VALU_DEP_2)
	v_mov_b32_dpp v14, v10 row_shr:4 row_mask:0xf bank_mask:0xf
	s_mov_b32 s3, exec_lo
	v_cmpx_lt_u32_e32 3, v13
; %bb.95:
	s_delay_alu instid0(VALU_DEP_3) | instskip(SKIP_2) | instid1(VALU_DEP_2)
	v_add_co_u32 v9, vcc_lo, v9, v15
	s_wait_alu 0xfffd
	v_add_co_ci_u32_e64 v10, null, 0, v10, vcc_lo
	v_add_co_u32 v9, vcc_lo, v9, 0
	s_wait_alu 0xfffd
	s_delay_alu instid0(VALU_DEP_2)
	v_add_co_ci_u32_e64 v10, null, v10, v14, vcc_lo
; %bb.96:
	s_wait_alu 0xfffe
	s_or_b32 exec_lo, exec_lo, s3
	ds_store_b64 v12, v[9:10]
.LBB184_97:
	s_wait_alu 0xfffe
	s_or_b32 exec_lo, exec_lo, s2
	v_mov_b32_e32 v13, 0
	v_mov_b32_e32 v14, 0
	s_mov_b32 s2, exec_lo
	s_wait_loadcnt_dscnt 0x0
	s_barrier_signal -1
	s_barrier_wait -1
	global_inv scope:SCOPE_SE
	v_cmpx_lt_u32_e32 31, v0
; %bb.98:
	v_lshl_add_u32 v9, v11, 3, -8
	ds_load_b64 v[13:14], v9
; %bb.99:
	s_wait_alu 0xfffe
	s_or_b32 exec_lo, exec_lo, s2
	v_sub_co_u32 v9, vcc_lo, v31, 1
	v_mov_b32_e32 v12, 0
	s_delay_alu instid0(VALU_DEP_2) | instskip(SKIP_1) | instid1(VALU_DEP_1)
	v_cmp_gt_i32_e64 s2, 0, v9
	s_wait_alu 0xf1ff
	v_cndmask_b32_e64 v9, v9, v31, s2
	s_wait_dscnt 0x0
	v_add_co_u32 v10, s2, v13, v17
	s_wait_alu 0xf1ff
	v_add_co_ci_u32_e64 v11, null, v14, v18, s2
	v_lshlrev_b32_e32 v9, 2, v9
	v_cmp_eq_u32_e64 s2, 0, v0
	ds_bpermute_b32 v15, v9, v10
	ds_bpermute_b32 v16, v9, v11
	ds_load_b64 v[9:10], v12 offset:56
	s_and_saveexec_b32 s3, s2
	s_cbranch_execz .LBB184_101
; %bb.100:
	s_wait_kmcnt 0x0
	s_add_nc_u64 s[4:5], s[6:7], 0x200
	s_wait_alu 0xfffe
	v_dual_mov_b32 v11, 2 :: v_dual_mov_b32 v18, s5
	v_mov_b32_e32 v17, s4
	s_wait_dscnt 0x0
	;;#ASMSTART
	global_store_b128 v[17:18], v[9:12] off scope:SCOPE_DEV	
s_wait_storecnt 0x0
	;;#ASMEND
.LBB184_101:
	s_wait_alu 0xfffe
	s_or_b32 exec_lo, exec_lo, s3
	s_wait_dscnt 0x1
	s_wait_alu 0xfffd
	v_dual_cndmask_b32 v11, v15, v13 :: v_dual_cndmask_b32 v12, v16, v14
	s_wait_loadcnt_dscnt 0x0
	s_barrier_signal -1
	s_barrier_wait -1
	s_delay_alu instid0(VALU_DEP_1)
	v_cndmask_b32_e64 v21, v11, 0, s2
	v_cndmask_b32_e64 v22, v12, 0, s2
	v_mov_b32_e32 v11, 0
	v_mov_b32_e32 v12, 0
	global_inv scope:SCOPE_SE
	v_add_co_u32 v19, vcc_lo, v21, v30
	s_wait_alu 0xfffd
	v_add_co_ci_u32_e64 v20, null, 0, v22, vcc_lo
	s_delay_alu instid0(VALU_DEP_2) | instskip(SKIP_1) | instid1(VALU_DEP_2)
	v_add_co_u32 v13, vcc_lo, v19, v29
	s_wait_alu 0xfffd
	v_add_co_ci_u32_e64 v14, null, 0, v20, vcc_lo
	s_delay_alu instid0(VALU_DEP_2) | instskip(SKIP_1) | instid1(VALU_DEP_2)
	v_add_co_u32 v15, vcc_lo, v13, v28
	s_wait_alu 0xfffd
	v_add_co_ci_u32_e64 v16, null, 0, v14, vcc_lo
.LBB184_102:
	s_load_b64 s[2:3], s[0:1], 0x28
	v_and_b32_e32 v23, 1, v27
	s_wait_dscnt 0x0
	v_cmp_gt_u64_e32 vcc_lo, 0x101, v[9:10]
	s_mov_b32 s1, -1
	s_delay_alu instid0(VALU_DEP_2)
	v_cmp_eq_u32_e64 s0, 1, v23
	s_cbranch_vccnz .LBB184_106
; %bb.103:
	s_wait_alu 0xfffe
	s_and_b32 vcc_lo, exec_lo, s1
	s_wait_alu 0xfffe
	s_cbranch_vccnz .LBB184_115
.LBB184_104:
	v_cmp_eq_u32_e32 vcc_lo, 0, v0
	s_and_b32 s0, vcc_lo, s12
	s_wait_alu 0xfffe
	s_and_saveexec_b32 s1, s0
	s_cbranch_execnz .LBB184_127
.LBB184_105:
	s_endpgm
.LBB184_106:
	v_add_co_u32 v17, vcc_lo, v11, v9
	s_wait_alu 0xfffd
	v_add_co_ci_u32_e64 v18, null, v12, v10, vcc_lo
	s_lshl_b64 s[4:5], s[10:11], 3
	s_wait_kmcnt 0x0
	s_wait_alu 0xfffe
	s_add_nc_u64 s[4:5], s[2:3], s[4:5]
	v_cmp_lt_u64_e32 vcc_lo, v[21:22], v[17:18]
	s_or_b32 s1, s13, vcc_lo
	s_wait_alu 0xfffe
	s_and_b32 s1, s1, s0
	s_wait_alu 0xfffe
	s_and_saveexec_b32 s0, s1
	s_cbranch_execz .LBB184_108
; %bb.107:
	v_lshlrev_b64_e32 v[27:28], 3, v[21:22]
	s_delay_alu instid0(VALU_DEP_1) | instskip(SKIP_1) | instid1(VALU_DEP_2)
	v_add_co_u32 v27, vcc_lo, s4, v27
	s_wait_alu 0xfffd
	v_add_co_ci_u32_e64 v28, null, s5, v28, vcc_lo
	global_store_b64 v[27:28], v[1:2], off
.LBB184_108:
	s_wait_alu 0xfffe
	s_or_b32 exec_lo, exec_lo, s0
	v_and_b32_e32 v22, 1, v26
	v_cmp_lt_u64_e32 vcc_lo, v[19:20], v[17:18]
	s_delay_alu instid0(VALU_DEP_2)
	v_cmp_eq_u32_e64 s0, 1, v22
	s_or_b32 s1, s13, vcc_lo
	s_wait_alu 0xfffe
	s_and_b32 s1, s1, s0
	s_wait_alu 0xfffe
	s_and_saveexec_b32 s0, s1
	s_cbranch_execz .LBB184_110
; %bb.109:
	v_lshlrev_b64_e32 v[27:28], 3, v[19:20]
	s_delay_alu instid0(VALU_DEP_1) | instskip(SKIP_1) | instid1(VALU_DEP_2)
	v_add_co_u32 v27, vcc_lo, s4, v27
	s_wait_alu 0xfffd
	v_add_co_ci_u32_e64 v28, null, s5, v28, vcc_lo
	global_store_b64 v[27:28], v[5:6], off
.LBB184_110:
	s_wait_alu 0xfffe
	s_or_b32 exec_lo, exec_lo, s0
	v_and_b32_e32 v20, 1, v25
	v_cmp_lt_u64_e32 vcc_lo, v[13:14], v[17:18]
	s_delay_alu instid0(VALU_DEP_2)
	v_cmp_eq_u32_e64 s0, 1, v20
	s_or_b32 s1, s13, vcc_lo
	s_wait_alu 0xfffe
	s_and_b32 s1, s1, s0
	s_wait_alu 0xfffe
	s_and_saveexec_b32 s0, s1
	s_cbranch_execz .LBB184_112
; %bb.111:
	v_lshlrev_b64_e32 v[27:28], 3, v[13:14]
	s_delay_alu instid0(VALU_DEP_1) | instskip(SKIP_1) | instid1(VALU_DEP_2)
	v_add_co_u32 v27, vcc_lo, s4, v27
	s_wait_alu 0xfffd
	v_add_co_ci_u32_e64 v28, null, s5, v28, vcc_lo
	global_store_b64 v[27:28], v[7:8], off
.LBB184_112:
	s_wait_alu 0xfffe
	s_or_b32 exec_lo, exec_lo, s0
	v_cmp_lt_u64_e32 vcc_lo, v[15:16], v[17:18]
	s_or_b32 s0, s13, vcc_lo
	s_wait_alu 0xfffe
	s_and_b32 s1, s0, s14
	s_wait_alu 0xfffe
	s_and_saveexec_b32 s0, s1
	s_cbranch_execz .LBB184_114
; %bb.113:
	v_lshlrev_b64_e32 v[16:17], 3, v[15:16]
	s_delay_alu instid0(VALU_DEP_1) | instskip(SKIP_1) | instid1(VALU_DEP_2)
	v_add_co_u32 v16, vcc_lo, s4, v16
	s_wait_alu 0xfffd
	v_add_co_ci_u32_e64 v17, null, s5, v17, vcc_lo
	global_store_b64 v[16:17], v[3:4], off
.LBB184_114:
	s_wait_alu 0xfffe
	s_or_b32 exec_lo, exec_lo, s0
	s_branch .LBB184_104
.LBB184_115:
	s_mov_b32 s0, exec_lo
	v_cmpx_eq_u32_e32 1, v23
; %bb.116:
	v_sub_nc_u32_e32 v14, v21, v11
	s_delay_alu instid0(VALU_DEP_1)
	v_lshlrev_b32_e32 v14, 3, v14
	ds_store_b64 v14, v[1:2]
; %bb.117:
	s_wait_alu 0xfffe
	s_or_b32 exec_lo, exec_lo, s0
	v_and_b32_e32 v1, 1, v26
	s_mov_b32 s0, exec_lo
	s_delay_alu instid0(VALU_DEP_1)
	v_cmpx_eq_u32_e32 1, v1
; %bb.118:
	v_sub_nc_u32_e32 v1, v19, v11
	s_delay_alu instid0(VALU_DEP_1)
	v_lshlrev_b32_e32 v1, 3, v1
	ds_store_b64 v1, v[5:6]
; %bb.119:
	s_wait_alu 0xfffe
	s_or_b32 exec_lo, exec_lo, s0
	v_and_b32_e32 v1, 1, v25
	s_mov_b32 s0, exec_lo
	s_delay_alu instid0(VALU_DEP_1)
	v_cmpx_eq_u32_e32 1, v1
; %bb.120:
	v_sub_nc_u32_e32 v1, v13, v11
	s_delay_alu instid0(VALU_DEP_1)
	v_lshlrev_b32_e32 v1, 3, v1
	ds_store_b64 v1, v[7:8]
; %bb.121:
	s_wait_alu 0xfffe
	s_or_b32 exec_lo, exec_lo, s0
	s_and_saveexec_b32 s0, s14
; %bb.122:
	v_sub_nc_u32_e32 v1, v15, v11
	s_delay_alu instid0(VALU_DEP_1)
	v_lshlrev_b32_e32 v1, 3, v1
	ds_store_b64 v1, v[3:4]
; %bb.123:
	s_wait_alu 0xfffe
	s_or_b32 exec_lo, exec_lo, s0
	v_mov_b32_e32 v3, 0
	s_mov_b32 s1, exec_lo
	s_wait_storecnt 0x0
	s_wait_loadcnt_dscnt 0x0
	s_barrier_signal -1
	s_barrier_wait -1
	v_mov_b32_e32 v1, v3
	global_inv scope:SCOPE_SE
	v_cmpx_gt_u64_e64 v[9:10], v[0:1]
	s_cbranch_execz .LBB184_126
; %bb.124:
	v_lshlrev_b64_e32 v[4:5], 3, v[11:12]
	s_lshl_b64 s[4:5], s[10:11], 3
	v_or_b32_e32 v2, 0x100, v0
	s_wait_kmcnt 0x0
	s_wait_alu 0xfffe
	s_add_nc_u64 s[2:3], s[2:3], s[4:5]
	s_wait_alu 0xfffe
	v_add_co_u32 v6, vcc_lo, s2, v4
	s_wait_alu 0xfffd
	v_add_co_ci_u32_e64 v7, null, s3, v5, vcc_lo
	v_dual_mov_b32 v5, v1 :: v_dual_mov_b32 v4, v0
	s_mov_b32 s2, 0
.LBB184_125:                            ; =>This Inner Loop Header: Depth=1
	s_delay_alu instid0(VALU_DEP_1) | instskip(NEXT) | instid1(VALU_DEP_2)
	v_lshlrev_b32_e32 v1, 3, v4
	v_lshlrev_b64_e32 v[15:16], 3, v[4:5]
	v_dual_mov_b32 v5, v3 :: v_dual_mov_b32 v4, v2
	v_cmp_le_u64_e32 vcc_lo, v[9:10], v[2:3]
	ds_load_b64 v[13:14], v1
	v_add_nc_u32_e32 v2, 0x100, v2
	v_add_co_u32 v15, s0, v6, v15
	s_wait_alu 0xf1ff
	v_add_co_ci_u32_e64 v16, null, v7, v16, s0
	s_wait_alu 0xfffe
	s_or_b32 s2, vcc_lo, s2
	s_wait_dscnt 0x0
	global_store_b64 v[15:16], v[13:14], off
	s_wait_alu 0xfffe
	s_and_not1_b32 exec_lo, exec_lo, s2
	s_cbranch_execnz .LBB184_125
.LBB184_126:
	s_wait_alu 0xfffe
	s_or_b32 exec_lo, exec_lo, s1
	v_cmp_eq_u32_e32 vcc_lo, 0, v0
	s_and_b32 s0, vcc_lo, s12
	s_wait_alu 0xfffe
	s_and_saveexec_b32 s1, s0
	s_cbranch_execz .LBB184_105
.LBB184_127:
	v_add_co_u32 v0, vcc_lo, v11, v9
	s_wait_alu 0xfffd
	v_add_co_ci_u32_e64 v1, null, v12, v10, vcc_lo
	v_mov_b32_e32 v2, 0
	s_delay_alu instid0(VALU_DEP_3) | instskip(SKIP_1) | instid1(VALU_DEP_3)
	v_add_co_u32 v0, vcc_lo, v0, s10
	s_wait_alu 0xfffd
	v_add_co_ci_u32_e64 v1, null, s11, v1, vcc_lo
	global_store_b64 v2, v[0:1], s[8:9]
	s_endpgm
.LBB184_128:
	v_lshlrev_b32_e32 v3, 3, v0
	s_delay_alu instid0(VALU_DEP_1)
	v_add_co_u32 v3, s5, s2, v3
	s_wait_alu 0xf1ff
	v_add_co_ci_u32_e64 v4, null, s3, 0, s5
	flat_load_b64 v[3:4], v[3:4] offset:2048
	s_wait_alu 0xfffe
	s_or_b32 exec_lo, exec_lo, s4
	s_delay_alu instid0(SALU_CYCLE_1)
	s_mov_b32 s4, exec_lo
	v_cmpx_gt_u32_e64 s15, v11
	s_cbranch_execz .LBB184_7
.LBB184_129:
	v_lshlrev_b32_e32 v5, 3, v0
	s_delay_alu instid0(VALU_DEP_1)
	v_add_co_u32 v5, s5, s2, v5
	s_wait_alu 0xf1ff
	v_add_co_ci_u32_e64 v6, null, s3, 0, s5
	flat_load_b64 v[5:6], v[5:6] offset:4096
	s_wait_alu 0xfffe
	s_or_b32 exec_lo, exec_lo, s4
	s_delay_alu instid0(SALU_CYCLE_1)
	s_mov_b32 s4, exec_lo
	v_cmpx_gt_u32_e64 s15, v10
	s_cbranch_execnz .LBB184_8
	s_branch .LBB184_9
	.section	.rodata,"a",@progbits
	.p2align	6, 0x0
	.amdhsa_kernel _ZN7rocprim17ROCPRIM_400000_NS6detail17trampoline_kernelINS0_14default_configENS1_25partition_config_selectorILNS1_17partition_subalgoE6ExNS0_10empty_typeEbEEZZNS1_14partition_implILS5_6ELb0ES3_mN6thrust23THRUST_200600_302600_NS6detail15normal_iteratorINSA_10device_ptrIxEEEEPS6_SG_NS0_5tupleIJSF_S6_EEENSH_IJSG_SG_EEES6_PlJNSB_9not_fun_tINSB_10functional5actorINSM_9compositeIJNSM_27transparent_binary_operatorINSA_8equal_toIvEEEENSN_INSM_8argumentILj0EEEEENSM_5valueIxEEEEEEEEEEEE10hipError_tPvRmT3_T4_T5_T6_T7_T9_mT8_P12ihipStream_tbDpT10_ENKUlT_T0_E_clISt17integral_constantIbLb0EES1K_EEDaS1F_S1G_EUlS1F_E_NS1_11comp_targetILNS1_3genE10ELNS1_11target_archE1200ELNS1_3gpuE4ELNS1_3repE0EEENS1_30default_config_static_selectorELNS0_4arch9wavefront6targetE0EEEvT1_
		.amdhsa_group_segment_fixed_size 8464
		.amdhsa_private_segment_fixed_size 0
		.amdhsa_kernarg_size 128
		.amdhsa_user_sgpr_count 2
		.amdhsa_user_sgpr_dispatch_ptr 0
		.amdhsa_user_sgpr_queue_ptr 0
		.amdhsa_user_sgpr_kernarg_segment_ptr 1
		.amdhsa_user_sgpr_dispatch_id 0
		.amdhsa_user_sgpr_private_segment_size 0
		.amdhsa_wavefront_size32 1
		.amdhsa_uses_dynamic_stack 0
		.amdhsa_enable_private_segment 0
		.amdhsa_system_sgpr_workgroup_id_x 1
		.amdhsa_system_sgpr_workgroup_id_y 0
		.amdhsa_system_sgpr_workgroup_id_z 0
		.amdhsa_system_sgpr_workgroup_info 0
		.amdhsa_system_vgpr_workitem_id 0
		.amdhsa_next_free_vgpr 46
		.amdhsa_next_free_sgpr 22
		.amdhsa_reserve_vcc 1
		.amdhsa_float_round_mode_32 0
		.amdhsa_float_round_mode_16_64 0
		.amdhsa_float_denorm_mode_32 3
		.amdhsa_float_denorm_mode_16_64 3
		.amdhsa_fp16_overflow 0
		.amdhsa_workgroup_processor_mode 1
		.amdhsa_memory_ordered 1
		.amdhsa_forward_progress 1
		.amdhsa_inst_pref_size 50
		.amdhsa_round_robin_scheduling 0
		.amdhsa_exception_fp_ieee_invalid_op 0
		.amdhsa_exception_fp_denorm_src 0
		.amdhsa_exception_fp_ieee_div_zero 0
		.amdhsa_exception_fp_ieee_overflow 0
		.amdhsa_exception_fp_ieee_underflow 0
		.amdhsa_exception_fp_ieee_inexact 0
		.amdhsa_exception_int_div_zero 0
	.end_amdhsa_kernel
	.section	.text._ZN7rocprim17ROCPRIM_400000_NS6detail17trampoline_kernelINS0_14default_configENS1_25partition_config_selectorILNS1_17partition_subalgoE6ExNS0_10empty_typeEbEEZZNS1_14partition_implILS5_6ELb0ES3_mN6thrust23THRUST_200600_302600_NS6detail15normal_iteratorINSA_10device_ptrIxEEEEPS6_SG_NS0_5tupleIJSF_S6_EEENSH_IJSG_SG_EEES6_PlJNSB_9not_fun_tINSB_10functional5actorINSM_9compositeIJNSM_27transparent_binary_operatorINSA_8equal_toIvEEEENSN_INSM_8argumentILj0EEEEENSM_5valueIxEEEEEEEEEEEE10hipError_tPvRmT3_T4_T5_T6_T7_T9_mT8_P12ihipStream_tbDpT10_ENKUlT_T0_E_clISt17integral_constantIbLb0EES1K_EEDaS1F_S1G_EUlS1F_E_NS1_11comp_targetILNS1_3genE10ELNS1_11target_archE1200ELNS1_3gpuE4ELNS1_3repE0EEENS1_30default_config_static_selectorELNS0_4arch9wavefront6targetE0EEEvT1_,"axG",@progbits,_ZN7rocprim17ROCPRIM_400000_NS6detail17trampoline_kernelINS0_14default_configENS1_25partition_config_selectorILNS1_17partition_subalgoE6ExNS0_10empty_typeEbEEZZNS1_14partition_implILS5_6ELb0ES3_mN6thrust23THRUST_200600_302600_NS6detail15normal_iteratorINSA_10device_ptrIxEEEEPS6_SG_NS0_5tupleIJSF_S6_EEENSH_IJSG_SG_EEES6_PlJNSB_9not_fun_tINSB_10functional5actorINSM_9compositeIJNSM_27transparent_binary_operatorINSA_8equal_toIvEEEENSN_INSM_8argumentILj0EEEEENSM_5valueIxEEEEEEEEEEEE10hipError_tPvRmT3_T4_T5_T6_T7_T9_mT8_P12ihipStream_tbDpT10_ENKUlT_T0_E_clISt17integral_constantIbLb0EES1K_EEDaS1F_S1G_EUlS1F_E_NS1_11comp_targetILNS1_3genE10ELNS1_11target_archE1200ELNS1_3gpuE4ELNS1_3repE0EEENS1_30default_config_static_selectorELNS0_4arch9wavefront6targetE0EEEvT1_,comdat
.Lfunc_end184:
	.size	_ZN7rocprim17ROCPRIM_400000_NS6detail17trampoline_kernelINS0_14default_configENS1_25partition_config_selectorILNS1_17partition_subalgoE6ExNS0_10empty_typeEbEEZZNS1_14partition_implILS5_6ELb0ES3_mN6thrust23THRUST_200600_302600_NS6detail15normal_iteratorINSA_10device_ptrIxEEEEPS6_SG_NS0_5tupleIJSF_S6_EEENSH_IJSG_SG_EEES6_PlJNSB_9not_fun_tINSB_10functional5actorINSM_9compositeIJNSM_27transparent_binary_operatorINSA_8equal_toIvEEEENSN_INSM_8argumentILj0EEEEENSM_5valueIxEEEEEEEEEEEE10hipError_tPvRmT3_T4_T5_T6_T7_T9_mT8_P12ihipStream_tbDpT10_ENKUlT_T0_E_clISt17integral_constantIbLb0EES1K_EEDaS1F_S1G_EUlS1F_E_NS1_11comp_targetILNS1_3genE10ELNS1_11target_archE1200ELNS1_3gpuE4ELNS1_3repE0EEENS1_30default_config_static_selectorELNS0_4arch9wavefront6targetE0EEEvT1_, .Lfunc_end184-_ZN7rocprim17ROCPRIM_400000_NS6detail17trampoline_kernelINS0_14default_configENS1_25partition_config_selectorILNS1_17partition_subalgoE6ExNS0_10empty_typeEbEEZZNS1_14partition_implILS5_6ELb0ES3_mN6thrust23THRUST_200600_302600_NS6detail15normal_iteratorINSA_10device_ptrIxEEEEPS6_SG_NS0_5tupleIJSF_S6_EEENSH_IJSG_SG_EEES6_PlJNSB_9not_fun_tINSB_10functional5actorINSM_9compositeIJNSM_27transparent_binary_operatorINSA_8equal_toIvEEEENSN_INSM_8argumentILj0EEEEENSM_5valueIxEEEEEEEEEEEE10hipError_tPvRmT3_T4_T5_T6_T7_T9_mT8_P12ihipStream_tbDpT10_ENKUlT_T0_E_clISt17integral_constantIbLb0EES1K_EEDaS1F_S1G_EUlS1F_E_NS1_11comp_targetILNS1_3genE10ELNS1_11target_archE1200ELNS1_3gpuE4ELNS1_3repE0EEENS1_30default_config_static_selectorELNS0_4arch9wavefront6targetE0EEEvT1_
                                        ; -- End function
	.set _ZN7rocprim17ROCPRIM_400000_NS6detail17trampoline_kernelINS0_14default_configENS1_25partition_config_selectorILNS1_17partition_subalgoE6ExNS0_10empty_typeEbEEZZNS1_14partition_implILS5_6ELb0ES3_mN6thrust23THRUST_200600_302600_NS6detail15normal_iteratorINSA_10device_ptrIxEEEEPS6_SG_NS0_5tupleIJSF_S6_EEENSH_IJSG_SG_EEES6_PlJNSB_9not_fun_tINSB_10functional5actorINSM_9compositeIJNSM_27transparent_binary_operatorINSA_8equal_toIvEEEENSN_INSM_8argumentILj0EEEEENSM_5valueIxEEEEEEEEEEEE10hipError_tPvRmT3_T4_T5_T6_T7_T9_mT8_P12ihipStream_tbDpT10_ENKUlT_T0_E_clISt17integral_constantIbLb0EES1K_EEDaS1F_S1G_EUlS1F_E_NS1_11comp_targetILNS1_3genE10ELNS1_11target_archE1200ELNS1_3gpuE4ELNS1_3repE0EEENS1_30default_config_static_selectorELNS0_4arch9wavefront6targetE0EEEvT1_.num_vgpr, 46
	.set _ZN7rocprim17ROCPRIM_400000_NS6detail17trampoline_kernelINS0_14default_configENS1_25partition_config_selectorILNS1_17partition_subalgoE6ExNS0_10empty_typeEbEEZZNS1_14partition_implILS5_6ELb0ES3_mN6thrust23THRUST_200600_302600_NS6detail15normal_iteratorINSA_10device_ptrIxEEEEPS6_SG_NS0_5tupleIJSF_S6_EEENSH_IJSG_SG_EEES6_PlJNSB_9not_fun_tINSB_10functional5actorINSM_9compositeIJNSM_27transparent_binary_operatorINSA_8equal_toIvEEEENSN_INSM_8argumentILj0EEEEENSM_5valueIxEEEEEEEEEEEE10hipError_tPvRmT3_T4_T5_T6_T7_T9_mT8_P12ihipStream_tbDpT10_ENKUlT_T0_E_clISt17integral_constantIbLb0EES1K_EEDaS1F_S1G_EUlS1F_E_NS1_11comp_targetILNS1_3genE10ELNS1_11target_archE1200ELNS1_3gpuE4ELNS1_3repE0EEENS1_30default_config_static_selectorELNS0_4arch9wavefront6targetE0EEEvT1_.num_agpr, 0
	.set _ZN7rocprim17ROCPRIM_400000_NS6detail17trampoline_kernelINS0_14default_configENS1_25partition_config_selectorILNS1_17partition_subalgoE6ExNS0_10empty_typeEbEEZZNS1_14partition_implILS5_6ELb0ES3_mN6thrust23THRUST_200600_302600_NS6detail15normal_iteratorINSA_10device_ptrIxEEEEPS6_SG_NS0_5tupleIJSF_S6_EEENSH_IJSG_SG_EEES6_PlJNSB_9not_fun_tINSB_10functional5actorINSM_9compositeIJNSM_27transparent_binary_operatorINSA_8equal_toIvEEEENSN_INSM_8argumentILj0EEEEENSM_5valueIxEEEEEEEEEEEE10hipError_tPvRmT3_T4_T5_T6_T7_T9_mT8_P12ihipStream_tbDpT10_ENKUlT_T0_E_clISt17integral_constantIbLb0EES1K_EEDaS1F_S1G_EUlS1F_E_NS1_11comp_targetILNS1_3genE10ELNS1_11target_archE1200ELNS1_3gpuE4ELNS1_3repE0EEENS1_30default_config_static_selectorELNS0_4arch9wavefront6targetE0EEEvT1_.numbered_sgpr, 22
	.set _ZN7rocprim17ROCPRIM_400000_NS6detail17trampoline_kernelINS0_14default_configENS1_25partition_config_selectorILNS1_17partition_subalgoE6ExNS0_10empty_typeEbEEZZNS1_14partition_implILS5_6ELb0ES3_mN6thrust23THRUST_200600_302600_NS6detail15normal_iteratorINSA_10device_ptrIxEEEEPS6_SG_NS0_5tupleIJSF_S6_EEENSH_IJSG_SG_EEES6_PlJNSB_9not_fun_tINSB_10functional5actorINSM_9compositeIJNSM_27transparent_binary_operatorINSA_8equal_toIvEEEENSN_INSM_8argumentILj0EEEEENSM_5valueIxEEEEEEEEEEEE10hipError_tPvRmT3_T4_T5_T6_T7_T9_mT8_P12ihipStream_tbDpT10_ENKUlT_T0_E_clISt17integral_constantIbLb0EES1K_EEDaS1F_S1G_EUlS1F_E_NS1_11comp_targetILNS1_3genE10ELNS1_11target_archE1200ELNS1_3gpuE4ELNS1_3repE0EEENS1_30default_config_static_selectorELNS0_4arch9wavefront6targetE0EEEvT1_.num_named_barrier, 0
	.set _ZN7rocprim17ROCPRIM_400000_NS6detail17trampoline_kernelINS0_14default_configENS1_25partition_config_selectorILNS1_17partition_subalgoE6ExNS0_10empty_typeEbEEZZNS1_14partition_implILS5_6ELb0ES3_mN6thrust23THRUST_200600_302600_NS6detail15normal_iteratorINSA_10device_ptrIxEEEEPS6_SG_NS0_5tupleIJSF_S6_EEENSH_IJSG_SG_EEES6_PlJNSB_9not_fun_tINSB_10functional5actorINSM_9compositeIJNSM_27transparent_binary_operatorINSA_8equal_toIvEEEENSN_INSM_8argumentILj0EEEEENSM_5valueIxEEEEEEEEEEEE10hipError_tPvRmT3_T4_T5_T6_T7_T9_mT8_P12ihipStream_tbDpT10_ENKUlT_T0_E_clISt17integral_constantIbLb0EES1K_EEDaS1F_S1G_EUlS1F_E_NS1_11comp_targetILNS1_3genE10ELNS1_11target_archE1200ELNS1_3gpuE4ELNS1_3repE0EEENS1_30default_config_static_selectorELNS0_4arch9wavefront6targetE0EEEvT1_.private_seg_size, 0
	.set _ZN7rocprim17ROCPRIM_400000_NS6detail17trampoline_kernelINS0_14default_configENS1_25partition_config_selectorILNS1_17partition_subalgoE6ExNS0_10empty_typeEbEEZZNS1_14partition_implILS5_6ELb0ES3_mN6thrust23THRUST_200600_302600_NS6detail15normal_iteratorINSA_10device_ptrIxEEEEPS6_SG_NS0_5tupleIJSF_S6_EEENSH_IJSG_SG_EEES6_PlJNSB_9not_fun_tINSB_10functional5actorINSM_9compositeIJNSM_27transparent_binary_operatorINSA_8equal_toIvEEEENSN_INSM_8argumentILj0EEEEENSM_5valueIxEEEEEEEEEEEE10hipError_tPvRmT3_T4_T5_T6_T7_T9_mT8_P12ihipStream_tbDpT10_ENKUlT_T0_E_clISt17integral_constantIbLb0EES1K_EEDaS1F_S1G_EUlS1F_E_NS1_11comp_targetILNS1_3genE10ELNS1_11target_archE1200ELNS1_3gpuE4ELNS1_3repE0EEENS1_30default_config_static_selectorELNS0_4arch9wavefront6targetE0EEEvT1_.uses_vcc, 1
	.set _ZN7rocprim17ROCPRIM_400000_NS6detail17trampoline_kernelINS0_14default_configENS1_25partition_config_selectorILNS1_17partition_subalgoE6ExNS0_10empty_typeEbEEZZNS1_14partition_implILS5_6ELb0ES3_mN6thrust23THRUST_200600_302600_NS6detail15normal_iteratorINSA_10device_ptrIxEEEEPS6_SG_NS0_5tupleIJSF_S6_EEENSH_IJSG_SG_EEES6_PlJNSB_9not_fun_tINSB_10functional5actorINSM_9compositeIJNSM_27transparent_binary_operatorINSA_8equal_toIvEEEENSN_INSM_8argumentILj0EEEEENSM_5valueIxEEEEEEEEEEEE10hipError_tPvRmT3_T4_T5_T6_T7_T9_mT8_P12ihipStream_tbDpT10_ENKUlT_T0_E_clISt17integral_constantIbLb0EES1K_EEDaS1F_S1G_EUlS1F_E_NS1_11comp_targetILNS1_3genE10ELNS1_11target_archE1200ELNS1_3gpuE4ELNS1_3repE0EEENS1_30default_config_static_selectorELNS0_4arch9wavefront6targetE0EEEvT1_.uses_flat_scratch, 1
	.set _ZN7rocprim17ROCPRIM_400000_NS6detail17trampoline_kernelINS0_14default_configENS1_25partition_config_selectorILNS1_17partition_subalgoE6ExNS0_10empty_typeEbEEZZNS1_14partition_implILS5_6ELb0ES3_mN6thrust23THRUST_200600_302600_NS6detail15normal_iteratorINSA_10device_ptrIxEEEEPS6_SG_NS0_5tupleIJSF_S6_EEENSH_IJSG_SG_EEES6_PlJNSB_9not_fun_tINSB_10functional5actorINSM_9compositeIJNSM_27transparent_binary_operatorINSA_8equal_toIvEEEENSN_INSM_8argumentILj0EEEEENSM_5valueIxEEEEEEEEEEEE10hipError_tPvRmT3_T4_T5_T6_T7_T9_mT8_P12ihipStream_tbDpT10_ENKUlT_T0_E_clISt17integral_constantIbLb0EES1K_EEDaS1F_S1G_EUlS1F_E_NS1_11comp_targetILNS1_3genE10ELNS1_11target_archE1200ELNS1_3gpuE4ELNS1_3repE0EEENS1_30default_config_static_selectorELNS0_4arch9wavefront6targetE0EEEvT1_.has_dyn_sized_stack, 0
	.set _ZN7rocprim17ROCPRIM_400000_NS6detail17trampoline_kernelINS0_14default_configENS1_25partition_config_selectorILNS1_17partition_subalgoE6ExNS0_10empty_typeEbEEZZNS1_14partition_implILS5_6ELb0ES3_mN6thrust23THRUST_200600_302600_NS6detail15normal_iteratorINSA_10device_ptrIxEEEEPS6_SG_NS0_5tupleIJSF_S6_EEENSH_IJSG_SG_EEES6_PlJNSB_9not_fun_tINSB_10functional5actorINSM_9compositeIJNSM_27transparent_binary_operatorINSA_8equal_toIvEEEENSN_INSM_8argumentILj0EEEEENSM_5valueIxEEEEEEEEEEEE10hipError_tPvRmT3_T4_T5_T6_T7_T9_mT8_P12ihipStream_tbDpT10_ENKUlT_T0_E_clISt17integral_constantIbLb0EES1K_EEDaS1F_S1G_EUlS1F_E_NS1_11comp_targetILNS1_3genE10ELNS1_11target_archE1200ELNS1_3gpuE4ELNS1_3repE0EEENS1_30default_config_static_selectorELNS0_4arch9wavefront6targetE0EEEvT1_.has_recursion, 0
	.set _ZN7rocprim17ROCPRIM_400000_NS6detail17trampoline_kernelINS0_14default_configENS1_25partition_config_selectorILNS1_17partition_subalgoE6ExNS0_10empty_typeEbEEZZNS1_14partition_implILS5_6ELb0ES3_mN6thrust23THRUST_200600_302600_NS6detail15normal_iteratorINSA_10device_ptrIxEEEEPS6_SG_NS0_5tupleIJSF_S6_EEENSH_IJSG_SG_EEES6_PlJNSB_9not_fun_tINSB_10functional5actorINSM_9compositeIJNSM_27transparent_binary_operatorINSA_8equal_toIvEEEENSN_INSM_8argumentILj0EEEEENSM_5valueIxEEEEEEEEEEEE10hipError_tPvRmT3_T4_T5_T6_T7_T9_mT8_P12ihipStream_tbDpT10_ENKUlT_T0_E_clISt17integral_constantIbLb0EES1K_EEDaS1F_S1G_EUlS1F_E_NS1_11comp_targetILNS1_3genE10ELNS1_11target_archE1200ELNS1_3gpuE4ELNS1_3repE0EEENS1_30default_config_static_selectorELNS0_4arch9wavefront6targetE0EEEvT1_.has_indirect_call, 0
	.section	.AMDGPU.csdata,"",@progbits
; Kernel info:
; codeLenInByte = 6392
; TotalNumSgprs: 24
; NumVgprs: 46
; ScratchSize: 0
; MemoryBound: 0
; FloatMode: 240
; IeeeMode: 1
; LDSByteSize: 8464 bytes/workgroup (compile time only)
; SGPRBlocks: 0
; VGPRBlocks: 5
; NumSGPRsForWavesPerEU: 24
; NumVGPRsForWavesPerEU: 46
; Occupancy: 16
; WaveLimiterHint : 1
; COMPUTE_PGM_RSRC2:SCRATCH_EN: 0
; COMPUTE_PGM_RSRC2:USER_SGPR: 2
; COMPUTE_PGM_RSRC2:TRAP_HANDLER: 0
; COMPUTE_PGM_RSRC2:TGID_X_EN: 1
; COMPUTE_PGM_RSRC2:TGID_Y_EN: 0
; COMPUTE_PGM_RSRC2:TGID_Z_EN: 0
; COMPUTE_PGM_RSRC2:TIDIG_COMP_CNT: 0
	.section	.text._ZN7rocprim17ROCPRIM_400000_NS6detail17trampoline_kernelINS0_14default_configENS1_25partition_config_selectorILNS1_17partition_subalgoE6ExNS0_10empty_typeEbEEZZNS1_14partition_implILS5_6ELb0ES3_mN6thrust23THRUST_200600_302600_NS6detail15normal_iteratorINSA_10device_ptrIxEEEEPS6_SG_NS0_5tupleIJSF_S6_EEENSH_IJSG_SG_EEES6_PlJNSB_9not_fun_tINSB_10functional5actorINSM_9compositeIJNSM_27transparent_binary_operatorINSA_8equal_toIvEEEENSN_INSM_8argumentILj0EEEEENSM_5valueIxEEEEEEEEEEEE10hipError_tPvRmT3_T4_T5_T6_T7_T9_mT8_P12ihipStream_tbDpT10_ENKUlT_T0_E_clISt17integral_constantIbLb0EES1K_EEDaS1F_S1G_EUlS1F_E_NS1_11comp_targetILNS1_3genE9ELNS1_11target_archE1100ELNS1_3gpuE3ELNS1_3repE0EEENS1_30default_config_static_selectorELNS0_4arch9wavefront6targetE0EEEvT1_,"axG",@progbits,_ZN7rocprim17ROCPRIM_400000_NS6detail17trampoline_kernelINS0_14default_configENS1_25partition_config_selectorILNS1_17partition_subalgoE6ExNS0_10empty_typeEbEEZZNS1_14partition_implILS5_6ELb0ES3_mN6thrust23THRUST_200600_302600_NS6detail15normal_iteratorINSA_10device_ptrIxEEEEPS6_SG_NS0_5tupleIJSF_S6_EEENSH_IJSG_SG_EEES6_PlJNSB_9not_fun_tINSB_10functional5actorINSM_9compositeIJNSM_27transparent_binary_operatorINSA_8equal_toIvEEEENSN_INSM_8argumentILj0EEEEENSM_5valueIxEEEEEEEEEEEE10hipError_tPvRmT3_T4_T5_T6_T7_T9_mT8_P12ihipStream_tbDpT10_ENKUlT_T0_E_clISt17integral_constantIbLb0EES1K_EEDaS1F_S1G_EUlS1F_E_NS1_11comp_targetILNS1_3genE9ELNS1_11target_archE1100ELNS1_3gpuE3ELNS1_3repE0EEENS1_30default_config_static_selectorELNS0_4arch9wavefront6targetE0EEEvT1_,comdat
	.protected	_ZN7rocprim17ROCPRIM_400000_NS6detail17trampoline_kernelINS0_14default_configENS1_25partition_config_selectorILNS1_17partition_subalgoE6ExNS0_10empty_typeEbEEZZNS1_14partition_implILS5_6ELb0ES3_mN6thrust23THRUST_200600_302600_NS6detail15normal_iteratorINSA_10device_ptrIxEEEEPS6_SG_NS0_5tupleIJSF_S6_EEENSH_IJSG_SG_EEES6_PlJNSB_9not_fun_tINSB_10functional5actorINSM_9compositeIJNSM_27transparent_binary_operatorINSA_8equal_toIvEEEENSN_INSM_8argumentILj0EEEEENSM_5valueIxEEEEEEEEEEEE10hipError_tPvRmT3_T4_T5_T6_T7_T9_mT8_P12ihipStream_tbDpT10_ENKUlT_T0_E_clISt17integral_constantIbLb0EES1K_EEDaS1F_S1G_EUlS1F_E_NS1_11comp_targetILNS1_3genE9ELNS1_11target_archE1100ELNS1_3gpuE3ELNS1_3repE0EEENS1_30default_config_static_selectorELNS0_4arch9wavefront6targetE0EEEvT1_ ; -- Begin function _ZN7rocprim17ROCPRIM_400000_NS6detail17trampoline_kernelINS0_14default_configENS1_25partition_config_selectorILNS1_17partition_subalgoE6ExNS0_10empty_typeEbEEZZNS1_14partition_implILS5_6ELb0ES3_mN6thrust23THRUST_200600_302600_NS6detail15normal_iteratorINSA_10device_ptrIxEEEEPS6_SG_NS0_5tupleIJSF_S6_EEENSH_IJSG_SG_EEES6_PlJNSB_9not_fun_tINSB_10functional5actorINSM_9compositeIJNSM_27transparent_binary_operatorINSA_8equal_toIvEEEENSN_INSM_8argumentILj0EEEEENSM_5valueIxEEEEEEEEEEEE10hipError_tPvRmT3_T4_T5_T6_T7_T9_mT8_P12ihipStream_tbDpT10_ENKUlT_T0_E_clISt17integral_constantIbLb0EES1K_EEDaS1F_S1G_EUlS1F_E_NS1_11comp_targetILNS1_3genE9ELNS1_11target_archE1100ELNS1_3gpuE3ELNS1_3repE0EEENS1_30default_config_static_selectorELNS0_4arch9wavefront6targetE0EEEvT1_
	.globl	_ZN7rocprim17ROCPRIM_400000_NS6detail17trampoline_kernelINS0_14default_configENS1_25partition_config_selectorILNS1_17partition_subalgoE6ExNS0_10empty_typeEbEEZZNS1_14partition_implILS5_6ELb0ES3_mN6thrust23THRUST_200600_302600_NS6detail15normal_iteratorINSA_10device_ptrIxEEEEPS6_SG_NS0_5tupleIJSF_S6_EEENSH_IJSG_SG_EEES6_PlJNSB_9not_fun_tINSB_10functional5actorINSM_9compositeIJNSM_27transparent_binary_operatorINSA_8equal_toIvEEEENSN_INSM_8argumentILj0EEEEENSM_5valueIxEEEEEEEEEEEE10hipError_tPvRmT3_T4_T5_T6_T7_T9_mT8_P12ihipStream_tbDpT10_ENKUlT_T0_E_clISt17integral_constantIbLb0EES1K_EEDaS1F_S1G_EUlS1F_E_NS1_11comp_targetILNS1_3genE9ELNS1_11target_archE1100ELNS1_3gpuE3ELNS1_3repE0EEENS1_30default_config_static_selectorELNS0_4arch9wavefront6targetE0EEEvT1_
	.p2align	8
	.type	_ZN7rocprim17ROCPRIM_400000_NS6detail17trampoline_kernelINS0_14default_configENS1_25partition_config_selectorILNS1_17partition_subalgoE6ExNS0_10empty_typeEbEEZZNS1_14partition_implILS5_6ELb0ES3_mN6thrust23THRUST_200600_302600_NS6detail15normal_iteratorINSA_10device_ptrIxEEEEPS6_SG_NS0_5tupleIJSF_S6_EEENSH_IJSG_SG_EEES6_PlJNSB_9not_fun_tINSB_10functional5actorINSM_9compositeIJNSM_27transparent_binary_operatorINSA_8equal_toIvEEEENSN_INSM_8argumentILj0EEEEENSM_5valueIxEEEEEEEEEEEE10hipError_tPvRmT3_T4_T5_T6_T7_T9_mT8_P12ihipStream_tbDpT10_ENKUlT_T0_E_clISt17integral_constantIbLb0EES1K_EEDaS1F_S1G_EUlS1F_E_NS1_11comp_targetILNS1_3genE9ELNS1_11target_archE1100ELNS1_3gpuE3ELNS1_3repE0EEENS1_30default_config_static_selectorELNS0_4arch9wavefront6targetE0EEEvT1_,@function
_ZN7rocprim17ROCPRIM_400000_NS6detail17trampoline_kernelINS0_14default_configENS1_25partition_config_selectorILNS1_17partition_subalgoE6ExNS0_10empty_typeEbEEZZNS1_14partition_implILS5_6ELb0ES3_mN6thrust23THRUST_200600_302600_NS6detail15normal_iteratorINSA_10device_ptrIxEEEEPS6_SG_NS0_5tupleIJSF_S6_EEENSH_IJSG_SG_EEES6_PlJNSB_9not_fun_tINSB_10functional5actorINSM_9compositeIJNSM_27transparent_binary_operatorINSA_8equal_toIvEEEENSN_INSM_8argumentILj0EEEEENSM_5valueIxEEEEEEEEEEEE10hipError_tPvRmT3_T4_T5_T6_T7_T9_mT8_P12ihipStream_tbDpT10_ENKUlT_T0_E_clISt17integral_constantIbLb0EES1K_EEDaS1F_S1G_EUlS1F_E_NS1_11comp_targetILNS1_3genE9ELNS1_11target_archE1100ELNS1_3gpuE3ELNS1_3repE0EEENS1_30default_config_static_selectorELNS0_4arch9wavefront6targetE0EEEvT1_: ; @_ZN7rocprim17ROCPRIM_400000_NS6detail17trampoline_kernelINS0_14default_configENS1_25partition_config_selectorILNS1_17partition_subalgoE6ExNS0_10empty_typeEbEEZZNS1_14partition_implILS5_6ELb0ES3_mN6thrust23THRUST_200600_302600_NS6detail15normal_iteratorINSA_10device_ptrIxEEEEPS6_SG_NS0_5tupleIJSF_S6_EEENSH_IJSG_SG_EEES6_PlJNSB_9not_fun_tINSB_10functional5actorINSM_9compositeIJNSM_27transparent_binary_operatorINSA_8equal_toIvEEEENSN_INSM_8argumentILj0EEEEENSM_5valueIxEEEEEEEEEEEE10hipError_tPvRmT3_T4_T5_T6_T7_T9_mT8_P12ihipStream_tbDpT10_ENKUlT_T0_E_clISt17integral_constantIbLb0EES1K_EEDaS1F_S1G_EUlS1F_E_NS1_11comp_targetILNS1_3genE9ELNS1_11target_archE1100ELNS1_3gpuE3ELNS1_3repE0EEENS1_30default_config_static_selectorELNS0_4arch9wavefront6targetE0EEEvT1_
; %bb.0:
	.section	.rodata,"a",@progbits
	.p2align	6, 0x0
	.amdhsa_kernel _ZN7rocprim17ROCPRIM_400000_NS6detail17trampoline_kernelINS0_14default_configENS1_25partition_config_selectorILNS1_17partition_subalgoE6ExNS0_10empty_typeEbEEZZNS1_14partition_implILS5_6ELb0ES3_mN6thrust23THRUST_200600_302600_NS6detail15normal_iteratorINSA_10device_ptrIxEEEEPS6_SG_NS0_5tupleIJSF_S6_EEENSH_IJSG_SG_EEES6_PlJNSB_9not_fun_tINSB_10functional5actorINSM_9compositeIJNSM_27transparent_binary_operatorINSA_8equal_toIvEEEENSN_INSM_8argumentILj0EEEEENSM_5valueIxEEEEEEEEEEEE10hipError_tPvRmT3_T4_T5_T6_T7_T9_mT8_P12ihipStream_tbDpT10_ENKUlT_T0_E_clISt17integral_constantIbLb0EES1K_EEDaS1F_S1G_EUlS1F_E_NS1_11comp_targetILNS1_3genE9ELNS1_11target_archE1100ELNS1_3gpuE3ELNS1_3repE0EEENS1_30default_config_static_selectorELNS0_4arch9wavefront6targetE0EEEvT1_
		.amdhsa_group_segment_fixed_size 0
		.amdhsa_private_segment_fixed_size 0
		.amdhsa_kernarg_size 128
		.amdhsa_user_sgpr_count 2
		.amdhsa_user_sgpr_dispatch_ptr 0
		.amdhsa_user_sgpr_queue_ptr 0
		.amdhsa_user_sgpr_kernarg_segment_ptr 1
		.amdhsa_user_sgpr_dispatch_id 0
		.amdhsa_user_sgpr_private_segment_size 0
		.amdhsa_wavefront_size32 1
		.amdhsa_uses_dynamic_stack 0
		.amdhsa_enable_private_segment 0
		.amdhsa_system_sgpr_workgroup_id_x 1
		.amdhsa_system_sgpr_workgroup_id_y 0
		.amdhsa_system_sgpr_workgroup_id_z 0
		.amdhsa_system_sgpr_workgroup_info 0
		.amdhsa_system_vgpr_workitem_id 0
		.amdhsa_next_free_vgpr 1
		.amdhsa_next_free_sgpr 1
		.amdhsa_reserve_vcc 0
		.amdhsa_float_round_mode_32 0
		.amdhsa_float_round_mode_16_64 0
		.amdhsa_float_denorm_mode_32 3
		.amdhsa_float_denorm_mode_16_64 3
		.amdhsa_fp16_overflow 0
		.amdhsa_workgroup_processor_mode 1
		.amdhsa_memory_ordered 1
		.amdhsa_forward_progress 1
		.amdhsa_inst_pref_size 0
		.amdhsa_round_robin_scheduling 0
		.amdhsa_exception_fp_ieee_invalid_op 0
		.amdhsa_exception_fp_denorm_src 0
		.amdhsa_exception_fp_ieee_div_zero 0
		.amdhsa_exception_fp_ieee_overflow 0
		.amdhsa_exception_fp_ieee_underflow 0
		.amdhsa_exception_fp_ieee_inexact 0
		.amdhsa_exception_int_div_zero 0
	.end_amdhsa_kernel
	.section	.text._ZN7rocprim17ROCPRIM_400000_NS6detail17trampoline_kernelINS0_14default_configENS1_25partition_config_selectorILNS1_17partition_subalgoE6ExNS0_10empty_typeEbEEZZNS1_14partition_implILS5_6ELb0ES3_mN6thrust23THRUST_200600_302600_NS6detail15normal_iteratorINSA_10device_ptrIxEEEEPS6_SG_NS0_5tupleIJSF_S6_EEENSH_IJSG_SG_EEES6_PlJNSB_9not_fun_tINSB_10functional5actorINSM_9compositeIJNSM_27transparent_binary_operatorINSA_8equal_toIvEEEENSN_INSM_8argumentILj0EEEEENSM_5valueIxEEEEEEEEEEEE10hipError_tPvRmT3_T4_T5_T6_T7_T9_mT8_P12ihipStream_tbDpT10_ENKUlT_T0_E_clISt17integral_constantIbLb0EES1K_EEDaS1F_S1G_EUlS1F_E_NS1_11comp_targetILNS1_3genE9ELNS1_11target_archE1100ELNS1_3gpuE3ELNS1_3repE0EEENS1_30default_config_static_selectorELNS0_4arch9wavefront6targetE0EEEvT1_,"axG",@progbits,_ZN7rocprim17ROCPRIM_400000_NS6detail17trampoline_kernelINS0_14default_configENS1_25partition_config_selectorILNS1_17partition_subalgoE6ExNS0_10empty_typeEbEEZZNS1_14partition_implILS5_6ELb0ES3_mN6thrust23THRUST_200600_302600_NS6detail15normal_iteratorINSA_10device_ptrIxEEEEPS6_SG_NS0_5tupleIJSF_S6_EEENSH_IJSG_SG_EEES6_PlJNSB_9not_fun_tINSB_10functional5actorINSM_9compositeIJNSM_27transparent_binary_operatorINSA_8equal_toIvEEEENSN_INSM_8argumentILj0EEEEENSM_5valueIxEEEEEEEEEEEE10hipError_tPvRmT3_T4_T5_T6_T7_T9_mT8_P12ihipStream_tbDpT10_ENKUlT_T0_E_clISt17integral_constantIbLb0EES1K_EEDaS1F_S1G_EUlS1F_E_NS1_11comp_targetILNS1_3genE9ELNS1_11target_archE1100ELNS1_3gpuE3ELNS1_3repE0EEENS1_30default_config_static_selectorELNS0_4arch9wavefront6targetE0EEEvT1_,comdat
.Lfunc_end185:
	.size	_ZN7rocprim17ROCPRIM_400000_NS6detail17trampoline_kernelINS0_14default_configENS1_25partition_config_selectorILNS1_17partition_subalgoE6ExNS0_10empty_typeEbEEZZNS1_14partition_implILS5_6ELb0ES3_mN6thrust23THRUST_200600_302600_NS6detail15normal_iteratorINSA_10device_ptrIxEEEEPS6_SG_NS0_5tupleIJSF_S6_EEENSH_IJSG_SG_EEES6_PlJNSB_9not_fun_tINSB_10functional5actorINSM_9compositeIJNSM_27transparent_binary_operatorINSA_8equal_toIvEEEENSN_INSM_8argumentILj0EEEEENSM_5valueIxEEEEEEEEEEEE10hipError_tPvRmT3_T4_T5_T6_T7_T9_mT8_P12ihipStream_tbDpT10_ENKUlT_T0_E_clISt17integral_constantIbLb0EES1K_EEDaS1F_S1G_EUlS1F_E_NS1_11comp_targetILNS1_3genE9ELNS1_11target_archE1100ELNS1_3gpuE3ELNS1_3repE0EEENS1_30default_config_static_selectorELNS0_4arch9wavefront6targetE0EEEvT1_, .Lfunc_end185-_ZN7rocprim17ROCPRIM_400000_NS6detail17trampoline_kernelINS0_14default_configENS1_25partition_config_selectorILNS1_17partition_subalgoE6ExNS0_10empty_typeEbEEZZNS1_14partition_implILS5_6ELb0ES3_mN6thrust23THRUST_200600_302600_NS6detail15normal_iteratorINSA_10device_ptrIxEEEEPS6_SG_NS0_5tupleIJSF_S6_EEENSH_IJSG_SG_EEES6_PlJNSB_9not_fun_tINSB_10functional5actorINSM_9compositeIJNSM_27transparent_binary_operatorINSA_8equal_toIvEEEENSN_INSM_8argumentILj0EEEEENSM_5valueIxEEEEEEEEEEEE10hipError_tPvRmT3_T4_T5_T6_T7_T9_mT8_P12ihipStream_tbDpT10_ENKUlT_T0_E_clISt17integral_constantIbLb0EES1K_EEDaS1F_S1G_EUlS1F_E_NS1_11comp_targetILNS1_3genE9ELNS1_11target_archE1100ELNS1_3gpuE3ELNS1_3repE0EEENS1_30default_config_static_selectorELNS0_4arch9wavefront6targetE0EEEvT1_
                                        ; -- End function
	.set _ZN7rocprim17ROCPRIM_400000_NS6detail17trampoline_kernelINS0_14default_configENS1_25partition_config_selectorILNS1_17partition_subalgoE6ExNS0_10empty_typeEbEEZZNS1_14partition_implILS5_6ELb0ES3_mN6thrust23THRUST_200600_302600_NS6detail15normal_iteratorINSA_10device_ptrIxEEEEPS6_SG_NS0_5tupleIJSF_S6_EEENSH_IJSG_SG_EEES6_PlJNSB_9not_fun_tINSB_10functional5actorINSM_9compositeIJNSM_27transparent_binary_operatorINSA_8equal_toIvEEEENSN_INSM_8argumentILj0EEEEENSM_5valueIxEEEEEEEEEEEE10hipError_tPvRmT3_T4_T5_T6_T7_T9_mT8_P12ihipStream_tbDpT10_ENKUlT_T0_E_clISt17integral_constantIbLb0EES1K_EEDaS1F_S1G_EUlS1F_E_NS1_11comp_targetILNS1_3genE9ELNS1_11target_archE1100ELNS1_3gpuE3ELNS1_3repE0EEENS1_30default_config_static_selectorELNS0_4arch9wavefront6targetE0EEEvT1_.num_vgpr, 0
	.set _ZN7rocprim17ROCPRIM_400000_NS6detail17trampoline_kernelINS0_14default_configENS1_25partition_config_selectorILNS1_17partition_subalgoE6ExNS0_10empty_typeEbEEZZNS1_14partition_implILS5_6ELb0ES3_mN6thrust23THRUST_200600_302600_NS6detail15normal_iteratorINSA_10device_ptrIxEEEEPS6_SG_NS0_5tupleIJSF_S6_EEENSH_IJSG_SG_EEES6_PlJNSB_9not_fun_tINSB_10functional5actorINSM_9compositeIJNSM_27transparent_binary_operatorINSA_8equal_toIvEEEENSN_INSM_8argumentILj0EEEEENSM_5valueIxEEEEEEEEEEEE10hipError_tPvRmT3_T4_T5_T6_T7_T9_mT8_P12ihipStream_tbDpT10_ENKUlT_T0_E_clISt17integral_constantIbLb0EES1K_EEDaS1F_S1G_EUlS1F_E_NS1_11comp_targetILNS1_3genE9ELNS1_11target_archE1100ELNS1_3gpuE3ELNS1_3repE0EEENS1_30default_config_static_selectorELNS0_4arch9wavefront6targetE0EEEvT1_.num_agpr, 0
	.set _ZN7rocprim17ROCPRIM_400000_NS6detail17trampoline_kernelINS0_14default_configENS1_25partition_config_selectorILNS1_17partition_subalgoE6ExNS0_10empty_typeEbEEZZNS1_14partition_implILS5_6ELb0ES3_mN6thrust23THRUST_200600_302600_NS6detail15normal_iteratorINSA_10device_ptrIxEEEEPS6_SG_NS0_5tupleIJSF_S6_EEENSH_IJSG_SG_EEES6_PlJNSB_9not_fun_tINSB_10functional5actorINSM_9compositeIJNSM_27transparent_binary_operatorINSA_8equal_toIvEEEENSN_INSM_8argumentILj0EEEEENSM_5valueIxEEEEEEEEEEEE10hipError_tPvRmT3_T4_T5_T6_T7_T9_mT8_P12ihipStream_tbDpT10_ENKUlT_T0_E_clISt17integral_constantIbLb0EES1K_EEDaS1F_S1G_EUlS1F_E_NS1_11comp_targetILNS1_3genE9ELNS1_11target_archE1100ELNS1_3gpuE3ELNS1_3repE0EEENS1_30default_config_static_selectorELNS0_4arch9wavefront6targetE0EEEvT1_.numbered_sgpr, 0
	.set _ZN7rocprim17ROCPRIM_400000_NS6detail17trampoline_kernelINS0_14default_configENS1_25partition_config_selectorILNS1_17partition_subalgoE6ExNS0_10empty_typeEbEEZZNS1_14partition_implILS5_6ELb0ES3_mN6thrust23THRUST_200600_302600_NS6detail15normal_iteratorINSA_10device_ptrIxEEEEPS6_SG_NS0_5tupleIJSF_S6_EEENSH_IJSG_SG_EEES6_PlJNSB_9not_fun_tINSB_10functional5actorINSM_9compositeIJNSM_27transparent_binary_operatorINSA_8equal_toIvEEEENSN_INSM_8argumentILj0EEEEENSM_5valueIxEEEEEEEEEEEE10hipError_tPvRmT3_T4_T5_T6_T7_T9_mT8_P12ihipStream_tbDpT10_ENKUlT_T0_E_clISt17integral_constantIbLb0EES1K_EEDaS1F_S1G_EUlS1F_E_NS1_11comp_targetILNS1_3genE9ELNS1_11target_archE1100ELNS1_3gpuE3ELNS1_3repE0EEENS1_30default_config_static_selectorELNS0_4arch9wavefront6targetE0EEEvT1_.num_named_barrier, 0
	.set _ZN7rocprim17ROCPRIM_400000_NS6detail17trampoline_kernelINS0_14default_configENS1_25partition_config_selectorILNS1_17partition_subalgoE6ExNS0_10empty_typeEbEEZZNS1_14partition_implILS5_6ELb0ES3_mN6thrust23THRUST_200600_302600_NS6detail15normal_iteratorINSA_10device_ptrIxEEEEPS6_SG_NS0_5tupleIJSF_S6_EEENSH_IJSG_SG_EEES6_PlJNSB_9not_fun_tINSB_10functional5actorINSM_9compositeIJNSM_27transparent_binary_operatorINSA_8equal_toIvEEEENSN_INSM_8argumentILj0EEEEENSM_5valueIxEEEEEEEEEEEE10hipError_tPvRmT3_T4_T5_T6_T7_T9_mT8_P12ihipStream_tbDpT10_ENKUlT_T0_E_clISt17integral_constantIbLb0EES1K_EEDaS1F_S1G_EUlS1F_E_NS1_11comp_targetILNS1_3genE9ELNS1_11target_archE1100ELNS1_3gpuE3ELNS1_3repE0EEENS1_30default_config_static_selectorELNS0_4arch9wavefront6targetE0EEEvT1_.private_seg_size, 0
	.set _ZN7rocprim17ROCPRIM_400000_NS6detail17trampoline_kernelINS0_14default_configENS1_25partition_config_selectorILNS1_17partition_subalgoE6ExNS0_10empty_typeEbEEZZNS1_14partition_implILS5_6ELb0ES3_mN6thrust23THRUST_200600_302600_NS6detail15normal_iteratorINSA_10device_ptrIxEEEEPS6_SG_NS0_5tupleIJSF_S6_EEENSH_IJSG_SG_EEES6_PlJNSB_9not_fun_tINSB_10functional5actorINSM_9compositeIJNSM_27transparent_binary_operatorINSA_8equal_toIvEEEENSN_INSM_8argumentILj0EEEEENSM_5valueIxEEEEEEEEEEEE10hipError_tPvRmT3_T4_T5_T6_T7_T9_mT8_P12ihipStream_tbDpT10_ENKUlT_T0_E_clISt17integral_constantIbLb0EES1K_EEDaS1F_S1G_EUlS1F_E_NS1_11comp_targetILNS1_3genE9ELNS1_11target_archE1100ELNS1_3gpuE3ELNS1_3repE0EEENS1_30default_config_static_selectorELNS0_4arch9wavefront6targetE0EEEvT1_.uses_vcc, 0
	.set _ZN7rocprim17ROCPRIM_400000_NS6detail17trampoline_kernelINS0_14default_configENS1_25partition_config_selectorILNS1_17partition_subalgoE6ExNS0_10empty_typeEbEEZZNS1_14partition_implILS5_6ELb0ES3_mN6thrust23THRUST_200600_302600_NS6detail15normal_iteratorINSA_10device_ptrIxEEEEPS6_SG_NS0_5tupleIJSF_S6_EEENSH_IJSG_SG_EEES6_PlJNSB_9not_fun_tINSB_10functional5actorINSM_9compositeIJNSM_27transparent_binary_operatorINSA_8equal_toIvEEEENSN_INSM_8argumentILj0EEEEENSM_5valueIxEEEEEEEEEEEE10hipError_tPvRmT3_T4_T5_T6_T7_T9_mT8_P12ihipStream_tbDpT10_ENKUlT_T0_E_clISt17integral_constantIbLb0EES1K_EEDaS1F_S1G_EUlS1F_E_NS1_11comp_targetILNS1_3genE9ELNS1_11target_archE1100ELNS1_3gpuE3ELNS1_3repE0EEENS1_30default_config_static_selectorELNS0_4arch9wavefront6targetE0EEEvT1_.uses_flat_scratch, 0
	.set _ZN7rocprim17ROCPRIM_400000_NS6detail17trampoline_kernelINS0_14default_configENS1_25partition_config_selectorILNS1_17partition_subalgoE6ExNS0_10empty_typeEbEEZZNS1_14partition_implILS5_6ELb0ES3_mN6thrust23THRUST_200600_302600_NS6detail15normal_iteratorINSA_10device_ptrIxEEEEPS6_SG_NS0_5tupleIJSF_S6_EEENSH_IJSG_SG_EEES6_PlJNSB_9not_fun_tINSB_10functional5actorINSM_9compositeIJNSM_27transparent_binary_operatorINSA_8equal_toIvEEEENSN_INSM_8argumentILj0EEEEENSM_5valueIxEEEEEEEEEEEE10hipError_tPvRmT3_T4_T5_T6_T7_T9_mT8_P12ihipStream_tbDpT10_ENKUlT_T0_E_clISt17integral_constantIbLb0EES1K_EEDaS1F_S1G_EUlS1F_E_NS1_11comp_targetILNS1_3genE9ELNS1_11target_archE1100ELNS1_3gpuE3ELNS1_3repE0EEENS1_30default_config_static_selectorELNS0_4arch9wavefront6targetE0EEEvT1_.has_dyn_sized_stack, 0
	.set _ZN7rocprim17ROCPRIM_400000_NS6detail17trampoline_kernelINS0_14default_configENS1_25partition_config_selectorILNS1_17partition_subalgoE6ExNS0_10empty_typeEbEEZZNS1_14partition_implILS5_6ELb0ES3_mN6thrust23THRUST_200600_302600_NS6detail15normal_iteratorINSA_10device_ptrIxEEEEPS6_SG_NS0_5tupleIJSF_S6_EEENSH_IJSG_SG_EEES6_PlJNSB_9not_fun_tINSB_10functional5actorINSM_9compositeIJNSM_27transparent_binary_operatorINSA_8equal_toIvEEEENSN_INSM_8argumentILj0EEEEENSM_5valueIxEEEEEEEEEEEE10hipError_tPvRmT3_T4_T5_T6_T7_T9_mT8_P12ihipStream_tbDpT10_ENKUlT_T0_E_clISt17integral_constantIbLb0EES1K_EEDaS1F_S1G_EUlS1F_E_NS1_11comp_targetILNS1_3genE9ELNS1_11target_archE1100ELNS1_3gpuE3ELNS1_3repE0EEENS1_30default_config_static_selectorELNS0_4arch9wavefront6targetE0EEEvT1_.has_recursion, 0
	.set _ZN7rocprim17ROCPRIM_400000_NS6detail17trampoline_kernelINS0_14default_configENS1_25partition_config_selectorILNS1_17partition_subalgoE6ExNS0_10empty_typeEbEEZZNS1_14partition_implILS5_6ELb0ES3_mN6thrust23THRUST_200600_302600_NS6detail15normal_iteratorINSA_10device_ptrIxEEEEPS6_SG_NS0_5tupleIJSF_S6_EEENSH_IJSG_SG_EEES6_PlJNSB_9not_fun_tINSB_10functional5actorINSM_9compositeIJNSM_27transparent_binary_operatorINSA_8equal_toIvEEEENSN_INSM_8argumentILj0EEEEENSM_5valueIxEEEEEEEEEEEE10hipError_tPvRmT3_T4_T5_T6_T7_T9_mT8_P12ihipStream_tbDpT10_ENKUlT_T0_E_clISt17integral_constantIbLb0EES1K_EEDaS1F_S1G_EUlS1F_E_NS1_11comp_targetILNS1_3genE9ELNS1_11target_archE1100ELNS1_3gpuE3ELNS1_3repE0EEENS1_30default_config_static_selectorELNS0_4arch9wavefront6targetE0EEEvT1_.has_indirect_call, 0
	.section	.AMDGPU.csdata,"",@progbits
; Kernel info:
; codeLenInByte = 0
; TotalNumSgprs: 0
; NumVgprs: 0
; ScratchSize: 0
; MemoryBound: 0
; FloatMode: 240
; IeeeMode: 1
; LDSByteSize: 0 bytes/workgroup (compile time only)
; SGPRBlocks: 0
; VGPRBlocks: 0
; NumSGPRsForWavesPerEU: 1
; NumVGPRsForWavesPerEU: 1
; Occupancy: 16
; WaveLimiterHint : 0
; COMPUTE_PGM_RSRC2:SCRATCH_EN: 0
; COMPUTE_PGM_RSRC2:USER_SGPR: 2
; COMPUTE_PGM_RSRC2:TRAP_HANDLER: 0
; COMPUTE_PGM_RSRC2:TGID_X_EN: 1
; COMPUTE_PGM_RSRC2:TGID_Y_EN: 0
; COMPUTE_PGM_RSRC2:TGID_Z_EN: 0
; COMPUTE_PGM_RSRC2:TIDIG_COMP_CNT: 0
	.section	.text._ZN7rocprim17ROCPRIM_400000_NS6detail17trampoline_kernelINS0_14default_configENS1_25partition_config_selectorILNS1_17partition_subalgoE6ExNS0_10empty_typeEbEEZZNS1_14partition_implILS5_6ELb0ES3_mN6thrust23THRUST_200600_302600_NS6detail15normal_iteratorINSA_10device_ptrIxEEEEPS6_SG_NS0_5tupleIJSF_S6_EEENSH_IJSG_SG_EEES6_PlJNSB_9not_fun_tINSB_10functional5actorINSM_9compositeIJNSM_27transparent_binary_operatorINSA_8equal_toIvEEEENSN_INSM_8argumentILj0EEEEENSM_5valueIxEEEEEEEEEEEE10hipError_tPvRmT3_T4_T5_T6_T7_T9_mT8_P12ihipStream_tbDpT10_ENKUlT_T0_E_clISt17integral_constantIbLb0EES1K_EEDaS1F_S1G_EUlS1F_E_NS1_11comp_targetILNS1_3genE8ELNS1_11target_archE1030ELNS1_3gpuE2ELNS1_3repE0EEENS1_30default_config_static_selectorELNS0_4arch9wavefront6targetE0EEEvT1_,"axG",@progbits,_ZN7rocprim17ROCPRIM_400000_NS6detail17trampoline_kernelINS0_14default_configENS1_25partition_config_selectorILNS1_17partition_subalgoE6ExNS0_10empty_typeEbEEZZNS1_14partition_implILS5_6ELb0ES3_mN6thrust23THRUST_200600_302600_NS6detail15normal_iteratorINSA_10device_ptrIxEEEEPS6_SG_NS0_5tupleIJSF_S6_EEENSH_IJSG_SG_EEES6_PlJNSB_9not_fun_tINSB_10functional5actorINSM_9compositeIJNSM_27transparent_binary_operatorINSA_8equal_toIvEEEENSN_INSM_8argumentILj0EEEEENSM_5valueIxEEEEEEEEEEEE10hipError_tPvRmT3_T4_T5_T6_T7_T9_mT8_P12ihipStream_tbDpT10_ENKUlT_T0_E_clISt17integral_constantIbLb0EES1K_EEDaS1F_S1G_EUlS1F_E_NS1_11comp_targetILNS1_3genE8ELNS1_11target_archE1030ELNS1_3gpuE2ELNS1_3repE0EEENS1_30default_config_static_selectorELNS0_4arch9wavefront6targetE0EEEvT1_,comdat
	.protected	_ZN7rocprim17ROCPRIM_400000_NS6detail17trampoline_kernelINS0_14default_configENS1_25partition_config_selectorILNS1_17partition_subalgoE6ExNS0_10empty_typeEbEEZZNS1_14partition_implILS5_6ELb0ES3_mN6thrust23THRUST_200600_302600_NS6detail15normal_iteratorINSA_10device_ptrIxEEEEPS6_SG_NS0_5tupleIJSF_S6_EEENSH_IJSG_SG_EEES6_PlJNSB_9not_fun_tINSB_10functional5actorINSM_9compositeIJNSM_27transparent_binary_operatorINSA_8equal_toIvEEEENSN_INSM_8argumentILj0EEEEENSM_5valueIxEEEEEEEEEEEE10hipError_tPvRmT3_T4_T5_T6_T7_T9_mT8_P12ihipStream_tbDpT10_ENKUlT_T0_E_clISt17integral_constantIbLb0EES1K_EEDaS1F_S1G_EUlS1F_E_NS1_11comp_targetILNS1_3genE8ELNS1_11target_archE1030ELNS1_3gpuE2ELNS1_3repE0EEENS1_30default_config_static_selectorELNS0_4arch9wavefront6targetE0EEEvT1_ ; -- Begin function _ZN7rocprim17ROCPRIM_400000_NS6detail17trampoline_kernelINS0_14default_configENS1_25partition_config_selectorILNS1_17partition_subalgoE6ExNS0_10empty_typeEbEEZZNS1_14partition_implILS5_6ELb0ES3_mN6thrust23THRUST_200600_302600_NS6detail15normal_iteratorINSA_10device_ptrIxEEEEPS6_SG_NS0_5tupleIJSF_S6_EEENSH_IJSG_SG_EEES6_PlJNSB_9not_fun_tINSB_10functional5actorINSM_9compositeIJNSM_27transparent_binary_operatorINSA_8equal_toIvEEEENSN_INSM_8argumentILj0EEEEENSM_5valueIxEEEEEEEEEEEE10hipError_tPvRmT3_T4_T5_T6_T7_T9_mT8_P12ihipStream_tbDpT10_ENKUlT_T0_E_clISt17integral_constantIbLb0EES1K_EEDaS1F_S1G_EUlS1F_E_NS1_11comp_targetILNS1_3genE8ELNS1_11target_archE1030ELNS1_3gpuE2ELNS1_3repE0EEENS1_30default_config_static_selectorELNS0_4arch9wavefront6targetE0EEEvT1_
	.globl	_ZN7rocprim17ROCPRIM_400000_NS6detail17trampoline_kernelINS0_14default_configENS1_25partition_config_selectorILNS1_17partition_subalgoE6ExNS0_10empty_typeEbEEZZNS1_14partition_implILS5_6ELb0ES3_mN6thrust23THRUST_200600_302600_NS6detail15normal_iteratorINSA_10device_ptrIxEEEEPS6_SG_NS0_5tupleIJSF_S6_EEENSH_IJSG_SG_EEES6_PlJNSB_9not_fun_tINSB_10functional5actorINSM_9compositeIJNSM_27transparent_binary_operatorINSA_8equal_toIvEEEENSN_INSM_8argumentILj0EEEEENSM_5valueIxEEEEEEEEEEEE10hipError_tPvRmT3_T4_T5_T6_T7_T9_mT8_P12ihipStream_tbDpT10_ENKUlT_T0_E_clISt17integral_constantIbLb0EES1K_EEDaS1F_S1G_EUlS1F_E_NS1_11comp_targetILNS1_3genE8ELNS1_11target_archE1030ELNS1_3gpuE2ELNS1_3repE0EEENS1_30default_config_static_selectorELNS0_4arch9wavefront6targetE0EEEvT1_
	.p2align	8
	.type	_ZN7rocprim17ROCPRIM_400000_NS6detail17trampoline_kernelINS0_14default_configENS1_25partition_config_selectorILNS1_17partition_subalgoE6ExNS0_10empty_typeEbEEZZNS1_14partition_implILS5_6ELb0ES3_mN6thrust23THRUST_200600_302600_NS6detail15normal_iteratorINSA_10device_ptrIxEEEEPS6_SG_NS0_5tupleIJSF_S6_EEENSH_IJSG_SG_EEES6_PlJNSB_9not_fun_tINSB_10functional5actorINSM_9compositeIJNSM_27transparent_binary_operatorINSA_8equal_toIvEEEENSN_INSM_8argumentILj0EEEEENSM_5valueIxEEEEEEEEEEEE10hipError_tPvRmT3_T4_T5_T6_T7_T9_mT8_P12ihipStream_tbDpT10_ENKUlT_T0_E_clISt17integral_constantIbLb0EES1K_EEDaS1F_S1G_EUlS1F_E_NS1_11comp_targetILNS1_3genE8ELNS1_11target_archE1030ELNS1_3gpuE2ELNS1_3repE0EEENS1_30default_config_static_selectorELNS0_4arch9wavefront6targetE0EEEvT1_,@function
_ZN7rocprim17ROCPRIM_400000_NS6detail17trampoline_kernelINS0_14default_configENS1_25partition_config_selectorILNS1_17partition_subalgoE6ExNS0_10empty_typeEbEEZZNS1_14partition_implILS5_6ELb0ES3_mN6thrust23THRUST_200600_302600_NS6detail15normal_iteratorINSA_10device_ptrIxEEEEPS6_SG_NS0_5tupleIJSF_S6_EEENSH_IJSG_SG_EEES6_PlJNSB_9not_fun_tINSB_10functional5actorINSM_9compositeIJNSM_27transparent_binary_operatorINSA_8equal_toIvEEEENSN_INSM_8argumentILj0EEEEENSM_5valueIxEEEEEEEEEEEE10hipError_tPvRmT3_T4_T5_T6_T7_T9_mT8_P12ihipStream_tbDpT10_ENKUlT_T0_E_clISt17integral_constantIbLb0EES1K_EEDaS1F_S1G_EUlS1F_E_NS1_11comp_targetILNS1_3genE8ELNS1_11target_archE1030ELNS1_3gpuE2ELNS1_3repE0EEENS1_30default_config_static_selectorELNS0_4arch9wavefront6targetE0EEEvT1_: ; @_ZN7rocprim17ROCPRIM_400000_NS6detail17trampoline_kernelINS0_14default_configENS1_25partition_config_selectorILNS1_17partition_subalgoE6ExNS0_10empty_typeEbEEZZNS1_14partition_implILS5_6ELb0ES3_mN6thrust23THRUST_200600_302600_NS6detail15normal_iteratorINSA_10device_ptrIxEEEEPS6_SG_NS0_5tupleIJSF_S6_EEENSH_IJSG_SG_EEES6_PlJNSB_9not_fun_tINSB_10functional5actorINSM_9compositeIJNSM_27transparent_binary_operatorINSA_8equal_toIvEEEENSN_INSM_8argumentILj0EEEEENSM_5valueIxEEEEEEEEEEEE10hipError_tPvRmT3_T4_T5_T6_T7_T9_mT8_P12ihipStream_tbDpT10_ENKUlT_T0_E_clISt17integral_constantIbLb0EES1K_EEDaS1F_S1G_EUlS1F_E_NS1_11comp_targetILNS1_3genE8ELNS1_11target_archE1030ELNS1_3gpuE2ELNS1_3repE0EEENS1_30default_config_static_selectorELNS0_4arch9wavefront6targetE0EEEvT1_
; %bb.0:
	.section	.rodata,"a",@progbits
	.p2align	6, 0x0
	.amdhsa_kernel _ZN7rocprim17ROCPRIM_400000_NS6detail17trampoline_kernelINS0_14default_configENS1_25partition_config_selectorILNS1_17partition_subalgoE6ExNS0_10empty_typeEbEEZZNS1_14partition_implILS5_6ELb0ES3_mN6thrust23THRUST_200600_302600_NS6detail15normal_iteratorINSA_10device_ptrIxEEEEPS6_SG_NS0_5tupleIJSF_S6_EEENSH_IJSG_SG_EEES6_PlJNSB_9not_fun_tINSB_10functional5actorINSM_9compositeIJNSM_27transparent_binary_operatorINSA_8equal_toIvEEEENSN_INSM_8argumentILj0EEEEENSM_5valueIxEEEEEEEEEEEE10hipError_tPvRmT3_T4_T5_T6_T7_T9_mT8_P12ihipStream_tbDpT10_ENKUlT_T0_E_clISt17integral_constantIbLb0EES1K_EEDaS1F_S1G_EUlS1F_E_NS1_11comp_targetILNS1_3genE8ELNS1_11target_archE1030ELNS1_3gpuE2ELNS1_3repE0EEENS1_30default_config_static_selectorELNS0_4arch9wavefront6targetE0EEEvT1_
		.amdhsa_group_segment_fixed_size 0
		.amdhsa_private_segment_fixed_size 0
		.amdhsa_kernarg_size 128
		.amdhsa_user_sgpr_count 2
		.amdhsa_user_sgpr_dispatch_ptr 0
		.amdhsa_user_sgpr_queue_ptr 0
		.amdhsa_user_sgpr_kernarg_segment_ptr 1
		.amdhsa_user_sgpr_dispatch_id 0
		.amdhsa_user_sgpr_private_segment_size 0
		.amdhsa_wavefront_size32 1
		.amdhsa_uses_dynamic_stack 0
		.amdhsa_enable_private_segment 0
		.amdhsa_system_sgpr_workgroup_id_x 1
		.amdhsa_system_sgpr_workgroup_id_y 0
		.amdhsa_system_sgpr_workgroup_id_z 0
		.amdhsa_system_sgpr_workgroup_info 0
		.amdhsa_system_vgpr_workitem_id 0
		.amdhsa_next_free_vgpr 1
		.amdhsa_next_free_sgpr 1
		.amdhsa_reserve_vcc 0
		.amdhsa_float_round_mode_32 0
		.amdhsa_float_round_mode_16_64 0
		.amdhsa_float_denorm_mode_32 3
		.amdhsa_float_denorm_mode_16_64 3
		.amdhsa_fp16_overflow 0
		.amdhsa_workgroup_processor_mode 1
		.amdhsa_memory_ordered 1
		.amdhsa_forward_progress 1
		.amdhsa_inst_pref_size 0
		.amdhsa_round_robin_scheduling 0
		.amdhsa_exception_fp_ieee_invalid_op 0
		.amdhsa_exception_fp_denorm_src 0
		.amdhsa_exception_fp_ieee_div_zero 0
		.amdhsa_exception_fp_ieee_overflow 0
		.amdhsa_exception_fp_ieee_underflow 0
		.amdhsa_exception_fp_ieee_inexact 0
		.amdhsa_exception_int_div_zero 0
	.end_amdhsa_kernel
	.section	.text._ZN7rocprim17ROCPRIM_400000_NS6detail17trampoline_kernelINS0_14default_configENS1_25partition_config_selectorILNS1_17partition_subalgoE6ExNS0_10empty_typeEbEEZZNS1_14partition_implILS5_6ELb0ES3_mN6thrust23THRUST_200600_302600_NS6detail15normal_iteratorINSA_10device_ptrIxEEEEPS6_SG_NS0_5tupleIJSF_S6_EEENSH_IJSG_SG_EEES6_PlJNSB_9not_fun_tINSB_10functional5actorINSM_9compositeIJNSM_27transparent_binary_operatorINSA_8equal_toIvEEEENSN_INSM_8argumentILj0EEEEENSM_5valueIxEEEEEEEEEEEE10hipError_tPvRmT3_T4_T5_T6_T7_T9_mT8_P12ihipStream_tbDpT10_ENKUlT_T0_E_clISt17integral_constantIbLb0EES1K_EEDaS1F_S1G_EUlS1F_E_NS1_11comp_targetILNS1_3genE8ELNS1_11target_archE1030ELNS1_3gpuE2ELNS1_3repE0EEENS1_30default_config_static_selectorELNS0_4arch9wavefront6targetE0EEEvT1_,"axG",@progbits,_ZN7rocprim17ROCPRIM_400000_NS6detail17trampoline_kernelINS0_14default_configENS1_25partition_config_selectorILNS1_17partition_subalgoE6ExNS0_10empty_typeEbEEZZNS1_14partition_implILS5_6ELb0ES3_mN6thrust23THRUST_200600_302600_NS6detail15normal_iteratorINSA_10device_ptrIxEEEEPS6_SG_NS0_5tupleIJSF_S6_EEENSH_IJSG_SG_EEES6_PlJNSB_9not_fun_tINSB_10functional5actorINSM_9compositeIJNSM_27transparent_binary_operatorINSA_8equal_toIvEEEENSN_INSM_8argumentILj0EEEEENSM_5valueIxEEEEEEEEEEEE10hipError_tPvRmT3_T4_T5_T6_T7_T9_mT8_P12ihipStream_tbDpT10_ENKUlT_T0_E_clISt17integral_constantIbLb0EES1K_EEDaS1F_S1G_EUlS1F_E_NS1_11comp_targetILNS1_3genE8ELNS1_11target_archE1030ELNS1_3gpuE2ELNS1_3repE0EEENS1_30default_config_static_selectorELNS0_4arch9wavefront6targetE0EEEvT1_,comdat
.Lfunc_end186:
	.size	_ZN7rocprim17ROCPRIM_400000_NS6detail17trampoline_kernelINS0_14default_configENS1_25partition_config_selectorILNS1_17partition_subalgoE6ExNS0_10empty_typeEbEEZZNS1_14partition_implILS5_6ELb0ES3_mN6thrust23THRUST_200600_302600_NS6detail15normal_iteratorINSA_10device_ptrIxEEEEPS6_SG_NS0_5tupleIJSF_S6_EEENSH_IJSG_SG_EEES6_PlJNSB_9not_fun_tINSB_10functional5actorINSM_9compositeIJNSM_27transparent_binary_operatorINSA_8equal_toIvEEEENSN_INSM_8argumentILj0EEEEENSM_5valueIxEEEEEEEEEEEE10hipError_tPvRmT3_T4_T5_T6_T7_T9_mT8_P12ihipStream_tbDpT10_ENKUlT_T0_E_clISt17integral_constantIbLb0EES1K_EEDaS1F_S1G_EUlS1F_E_NS1_11comp_targetILNS1_3genE8ELNS1_11target_archE1030ELNS1_3gpuE2ELNS1_3repE0EEENS1_30default_config_static_selectorELNS0_4arch9wavefront6targetE0EEEvT1_, .Lfunc_end186-_ZN7rocprim17ROCPRIM_400000_NS6detail17trampoline_kernelINS0_14default_configENS1_25partition_config_selectorILNS1_17partition_subalgoE6ExNS0_10empty_typeEbEEZZNS1_14partition_implILS5_6ELb0ES3_mN6thrust23THRUST_200600_302600_NS6detail15normal_iteratorINSA_10device_ptrIxEEEEPS6_SG_NS0_5tupleIJSF_S6_EEENSH_IJSG_SG_EEES6_PlJNSB_9not_fun_tINSB_10functional5actorINSM_9compositeIJNSM_27transparent_binary_operatorINSA_8equal_toIvEEEENSN_INSM_8argumentILj0EEEEENSM_5valueIxEEEEEEEEEEEE10hipError_tPvRmT3_T4_T5_T6_T7_T9_mT8_P12ihipStream_tbDpT10_ENKUlT_T0_E_clISt17integral_constantIbLb0EES1K_EEDaS1F_S1G_EUlS1F_E_NS1_11comp_targetILNS1_3genE8ELNS1_11target_archE1030ELNS1_3gpuE2ELNS1_3repE0EEENS1_30default_config_static_selectorELNS0_4arch9wavefront6targetE0EEEvT1_
                                        ; -- End function
	.set _ZN7rocprim17ROCPRIM_400000_NS6detail17trampoline_kernelINS0_14default_configENS1_25partition_config_selectorILNS1_17partition_subalgoE6ExNS0_10empty_typeEbEEZZNS1_14partition_implILS5_6ELb0ES3_mN6thrust23THRUST_200600_302600_NS6detail15normal_iteratorINSA_10device_ptrIxEEEEPS6_SG_NS0_5tupleIJSF_S6_EEENSH_IJSG_SG_EEES6_PlJNSB_9not_fun_tINSB_10functional5actorINSM_9compositeIJNSM_27transparent_binary_operatorINSA_8equal_toIvEEEENSN_INSM_8argumentILj0EEEEENSM_5valueIxEEEEEEEEEEEE10hipError_tPvRmT3_T4_T5_T6_T7_T9_mT8_P12ihipStream_tbDpT10_ENKUlT_T0_E_clISt17integral_constantIbLb0EES1K_EEDaS1F_S1G_EUlS1F_E_NS1_11comp_targetILNS1_3genE8ELNS1_11target_archE1030ELNS1_3gpuE2ELNS1_3repE0EEENS1_30default_config_static_selectorELNS0_4arch9wavefront6targetE0EEEvT1_.num_vgpr, 0
	.set _ZN7rocprim17ROCPRIM_400000_NS6detail17trampoline_kernelINS0_14default_configENS1_25partition_config_selectorILNS1_17partition_subalgoE6ExNS0_10empty_typeEbEEZZNS1_14partition_implILS5_6ELb0ES3_mN6thrust23THRUST_200600_302600_NS6detail15normal_iteratorINSA_10device_ptrIxEEEEPS6_SG_NS0_5tupleIJSF_S6_EEENSH_IJSG_SG_EEES6_PlJNSB_9not_fun_tINSB_10functional5actorINSM_9compositeIJNSM_27transparent_binary_operatorINSA_8equal_toIvEEEENSN_INSM_8argumentILj0EEEEENSM_5valueIxEEEEEEEEEEEE10hipError_tPvRmT3_T4_T5_T6_T7_T9_mT8_P12ihipStream_tbDpT10_ENKUlT_T0_E_clISt17integral_constantIbLb0EES1K_EEDaS1F_S1G_EUlS1F_E_NS1_11comp_targetILNS1_3genE8ELNS1_11target_archE1030ELNS1_3gpuE2ELNS1_3repE0EEENS1_30default_config_static_selectorELNS0_4arch9wavefront6targetE0EEEvT1_.num_agpr, 0
	.set _ZN7rocprim17ROCPRIM_400000_NS6detail17trampoline_kernelINS0_14default_configENS1_25partition_config_selectorILNS1_17partition_subalgoE6ExNS0_10empty_typeEbEEZZNS1_14partition_implILS5_6ELb0ES3_mN6thrust23THRUST_200600_302600_NS6detail15normal_iteratorINSA_10device_ptrIxEEEEPS6_SG_NS0_5tupleIJSF_S6_EEENSH_IJSG_SG_EEES6_PlJNSB_9not_fun_tINSB_10functional5actorINSM_9compositeIJNSM_27transparent_binary_operatorINSA_8equal_toIvEEEENSN_INSM_8argumentILj0EEEEENSM_5valueIxEEEEEEEEEEEE10hipError_tPvRmT3_T4_T5_T6_T7_T9_mT8_P12ihipStream_tbDpT10_ENKUlT_T0_E_clISt17integral_constantIbLb0EES1K_EEDaS1F_S1G_EUlS1F_E_NS1_11comp_targetILNS1_3genE8ELNS1_11target_archE1030ELNS1_3gpuE2ELNS1_3repE0EEENS1_30default_config_static_selectorELNS0_4arch9wavefront6targetE0EEEvT1_.numbered_sgpr, 0
	.set _ZN7rocprim17ROCPRIM_400000_NS6detail17trampoline_kernelINS0_14default_configENS1_25partition_config_selectorILNS1_17partition_subalgoE6ExNS0_10empty_typeEbEEZZNS1_14partition_implILS5_6ELb0ES3_mN6thrust23THRUST_200600_302600_NS6detail15normal_iteratorINSA_10device_ptrIxEEEEPS6_SG_NS0_5tupleIJSF_S6_EEENSH_IJSG_SG_EEES6_PlJNSB_9not_fun_tINSB_10functional5actorINSM_9compositeIJNSM_27transparent_binary_operatorINSA_8equal_toIvEEEENSN_INSM_8argumentILj0EEEEENSM_5valueIxEEEEEEEEEEEE10hipError_tPvRmT3_T4_T5_T6_T7_T9_mT8_P12ihipStream_tbDpT10_ENKUlT_T0_E_clISt17integral_constantIbLb0EES1K_EEDaS1F_S1G_EUlS1F_E_NS1_11comp_targetILNS1_3genE8ELNS1_11target_archE1030ELNS1_3gpuE2ELNS1_3repE0EEENS1_30default_config_static_selectorELNS0_4arch9wavefront6targetE0EEEvT1_.num_named_barrier, 0
	.set _ZN7rocprim17ROCPRIM_400000_NS6detail17trampoline_kernelINS0_14default_configENS1_25partition_config_selectorILNS1_17partition_subalgoE6ExNS0_10empty_typeEbEEZZNS1_14partition_implILS5_6ELb0ES3_mN6thrust23THRUST_200600_302600_NS6detail15normal_iteratorINSA_10device_ptrIxEEEEPS6_SG_NS0_5tupleIJSF_S6_EEENSH_IJSG_SG_EEES6_PlJNSB_9not_fun_tINSB_10functional5actorINSM_9compositeIJNSM_27transparent_binary_operatorINSA_8equal_toIvEEEENSN_INSM_8argumentILj0EEEEENSM_5valueIxEEEEEEEEEEEE10hipError_tPvRmT3_T4_T5_T6_T7_T9_mT8_P12ihipStream_tbDpT10_ENKUlT_T0_E_clISt17integral_constantIbLb0EES1K_EEDaS1F_S1G_EUlS1F_E_NS1_11comp_targetILNS1_3genE8ELNS1_11target_archE1030ELNS1_3gpuE2ELNS1_3repE0EEENS1_30default_config_static_selectorELNS0_4arch9wavefront6targetE0EEEvT1_.private_seg_size, 0
	.set _ZN7rocprim17ROCPRIM_400000_NS6detail17trampoline_kernelINS0_14default_configENS1_25partition_config_selectorILNS1_17partition_subalgoE6ExNS0_10empty_typeEbEEZZNS1_14partition_implILS5_6ELb0ES3_mN6thrust23THRUST_200600_302600_NS6detail15normal_iteratorINSA_10device_ptrIxEEEEPS6_SG_NS0_5tupleIJSF_S6_EEENSH_IJSG_SG_EEES6_PlJNSB_9not_fun_tINSB_10functional5actorINSM_9compositeIJNSM_27transparent_binary_operatorINSA_8equal_toIvEEEENSN_INSM_8argumentILj0EEEEENSM_5valueIxEEEEEEEEEEEE10hipError_tPvRmT3_T4_T5_T6_T7_T9_mT8_P12ihipStream_tbDpT10_ENKUlT_T0_E_clISt17integral_constantIbLb0EES1K_EEDaS1F_S1G_EUlS1F_E_NS1_11comp_targetILNS1_3genE8ELNS1_11target_archE1030ELNS1_3gpuE2ELNS1_3repE0EEENS1_30default_config_static_selectorELNS0_4arch9wavefront6targetE0EEEvT1_.uses_vcc, 0
	.set _ZN7rocprim17ROCPRIM_400000_NS6detail17trampoline_kernelINS0_14default_configENS1_25partition_config_selectorILNS1_17partition_subalgoE6ExNS0_10empty_typeEbEEZZNS1_14partition_implILS5_6ELb0ES3_mN6thrust23THRUST_200600_302600_NS6detail15normal_iteratorINSA_10device_ptrIxEEEEPS6_SG_NS0_5tupleIJSF_S6_EEENSH_IJSG_SG_EEES6_PlJNSB_9not_fun_tINSB_10functional5actorINSM_9compositeIJNSM_27transparent_binary_operatorINSA_8equal_toIvEEEENSN_INSM_8argumentILj0EEEEENSM_5valueIxEEEEEEEEEEEE10hipError_tPvRmT3_T4_T5_T6_T7_T9_mT8_P12ihipStream_tbDpT10_ENKUlT_T0_E_clISt17integral_constantIbLb0EES1K_EEDaS1F_S1G_EUlS1F_E_NS1_11comp_targetILNS1_3genE8ELNS1_11target_archE1030ELNS1_3gpuE2ELNS1_3repE0EEENS1_30default_config_static_selectorELNS0_4arch9wavefront6targetE0EEEvT1_.uses_flat_scratch, 0
	.set _ZN7rocprim17ROCPRIM_400000_NS6detail17trampoline_kernelINS0_14default_configENS1_25partition_config_selectorILNS1_17partition_subalgoE6ExNS0_10empty_typeEbEEZZNS1_14partition_implILS5_6ELb0ES3_mN6thrust23THRUST_200600_302600_NS6detail15normal_iteratorINSA_10device_ptrIxEEEEPS6_SG_NS0_5tupleIJSF_S6_EEENSH_IJSG_SG_EEES6_PlJNSB_9not_fun_tINSB_10functional5actorINSM_9compositeIJNSM_27transparent_binary_operatorINSA_8equal_toIvEEEENSN_INSM_8argumentILj0EEEEENSM_5valueIxEEEEEEEEEEEE10hipError_tPvRmT3_T4_T5_T6_T7_T9_mT8_P12ihipStream_tbDpT10_ENKUlT_T0_E_clISt17integral_constantIbLb0EES1K_EEDaS1F_S1G_EUlS1F_E_NS1_11comp_targetILNS1_3genE8ELNS1_11target_archE1030ELNS1_3gpuE2ELNS1_3repE0EEENS1_30default_config_static_selectorELNS0_4arch9wavefront6targetE0EEEvT1_.has_dyn_sized_stack, 0
	.set _ZN7rocprim17ROCPRIM_400000_NS6detail17trampoline_kernelINS0_14default_configENS1_25partition_config_selectorILNS1_17partition_subalgoE6ExNS0_10empty_typeEbEEZZNS1_14partition_implILS5_6ELb0ES3_mN6thrust23THRUST_200600_302600_NS6detail15normal_iteratorINSA_10device_ptrIxEEEEPS6_SG_NS0_5tupleIJSF_S6_EEENSH_IJSG_SG_EEES6_PlJNSB_9not_fun_tINSB_10functional5actorINSM_9compositeIJNSM_27transparent_binary_operatorINSA_8equal_toIvEEEENSN_INSM_8argumentILj0EEEEENSM_5valueIxEEEEEEEEEEEE10hipError_tPvRmT3_T4_T5_T6_T7_T9_mT8_P12ihipStream_tbDpT10_ENKUlT_T0_E_clISt17integral_constantIbLb0EES1K_EEDaS1F_S1G_EUlS1F_E_NS1_11comp_targetILNS1_3genE8ELNS1_11target_archE1030ELNS1_3gpuE2ELNS1_3repE0EEENS1_30default_config_static_selectorELNS0_4arch9wavefront6targetE0EEEvT1_.has_recursion, 0
	.set _ZN7rocprim17ROCPRIM_400000_NS6detail17trampoline_kernelINS0_14default_configENS1_25partition_config_selectorILNS1_17partition_subalgoE6ExNS0_10empty_typeEbEEZZNS1_14partition_implILS5_6ELb0ES3_mN6thrust23THRUST_200600_302600_NS6detail15normal_iteratorINSA_10device_ptrIxEEEEPS6_SG_NS0_5tupleIJSF_S6_EEENSH_IJSG_SG_EEES6_PlJNSB_9not_fun_tINSB_10functional5actorINSM_9compositeIJNSM_27transparent_binary_operatorINSA_8equal_toIvEEEENSN_INSM_8argumentILj0EEEEENSM_5valueIxEEEEEEEEEEEE10hipError_tPvRmT3_T4_T5_T6_T7_T9_mT8_P12ihipStream_tbDpT10_ENKUlT_T0_E_clISt17integral_constantIbLb0EES1K_EEDaS1F_S1G_EUlS1F_E_NS1_11comp_targetILNS1_3genE8ELNS1_11target_archE1030ELNS1_3gpuE2ELNS1_3repE0EEENS1_30default_config_static_selectorELNS0_4arch9wavefront6targetE0EEEvT1_.has_indirect_call, 0
	.section	.AMDGPU.csdata,"",@progbits
; Kernel info:
; codeLenInByte = 0
; TotalNumSgprs: 0
; NumVgprs: 0
; ScratchSize: 0
; MemoryBound: 0
; FloatMode: 240
; IeeeMode: 1
; LDSByteSize: 0 bytes/workgroup (compile time only)
; SGPRBlocks: 0
; VGPRBlocks: 0
; NumSGPRsForWavesPerEU: 1
; NumVGPRsForWavesPerEU: 1
; Occupancy: 16
; WaveLimiterHint : 0
; COMPUTE_PGM_RSRC2:SCRATCH_EN: 0
; COMPUTE_PGM_RSRC2:USER_SGPR: 2
; COMPUTE_PGM_RSRC2:TRAP_HANDLER: 0
; COMPUTE_PGM_RSRC2:TGID_X_EN: 1
; COMPUTE_PGM_RSRC2:TGID_Y_EN: 0
; COMPUTE_PGM_RSRC2:TGID_Z_EN: 0
; COMPUTE_PGM_RSRC2:TIDIG_COMP_CNT: 0
	.section	.text._ZN7rocprim17ROCPRIM_400000_NS6detail17trampoline_kernelINS0_14default_configENS1_25partition_config_selectorILNS1_17partition_subalgoE6ExNS0_10empty_typeEbEEZZNS1_14partition_implILS5_6ELb0ES3_mN6thrust23THRUST_200600_302600_NS6detail15normal_iteratorINSA_10device_ptrIxEEEEPS6_SG_NS0_5tupleIJSF_S6_EEENSH_IJSG_SG_EEES6_PlJNSB_9not_fun_tINSB_10functional5actorINSM_9compositeIJNSM_27transparent_binary_operatorINSA_8equal_toIvEEEENSN_INSM_8argumentILj0EEEEENSM_5valueIxEEEEEEEEEEEE10hipError_tPvRmT3_T4_T5_T6_T7_T9_mT8_P12ihipStream_tbDpT10_ENKUlT_T0_E_clISt17integral_constantIbLb1EES1K_EEDaS1F_S1G_EUlS1F_E_NS1_11comp_targetILNS1_3genE0ELNS1_11target_archE4294967295ELNS1_3gpuE0ELNS1_3repE0EEENS1_30default_config_static_selectorELNS0_4arch9wavefront6targetE0EEEvT1_,"axG",@progbits,_ZN7rocprim17ROCPRIM_400000_NS6detail17trampoline_kernelINS0_14default_configENS1_25partition_config_selectorILNS1_17partition_subalgoE6ExNS0_10empty_typeEbEEZZNS1_14partition_implILS5_6ELb0ES3_mN6thrust23THRUST_200600_302600_NS6detail15normal_iteratorINSA_10device_ptrIxEEEEPS6_SG_NS0_5tupleIJSF_S6_EEENSH_IJSG_SG_EEES6_PlJNSB_9not_fun_tINSB_10functional5actorINSM_9compositeIJNSM_27transparent_binary_operatorINSA_8equal_toIvEEEENSN_INSM_8argumentILj0EEEEENSM_5valueIxEEEEEEEEEEEE10hipError_tPvRmT3_T4_T5_T6_T7_T9_mT8_P12ihipStream_tbDpT10_ENKUlT_T0_E_clISt17integral_constantIbLb1EES1K_EEDaS1F_S1G_EUlS1F_E_NS1_11comp_targetILNS1_3genE0ELNS1_11target_archE4294967295ELNS1_3gpuE0ELNS1_3repE0EEENS1_30default_config_static_selectorELNS0_4arch9wavefront6targetE0EEEvT1_,comdat
	.protected	_ZN7rocprim17ROCPRIM_400000_NS6detail17trampoline_kernelINS0_14default_configENS1_25partition_config_selectorILNS1_17partition_subalgoE6ExNS0_10empty_typeEbEEZZNS1_14partition_implILS5_6ELb0ES3_mN6thrust23THRUST_200600_302600_NS6detail15normal_iteratorINSA_10device_ptrIxEEEEPS6_SG_NS0_5tupleIJSF_S6_EEENSH_IJSG_SG_EEES6_PlJNSB_9not_fun_tINSB_10functional5actorINSM_9compositeIJNSM_27transparent_binary_operatorINSA_8equal_toIvEEEENSN_INSM_8argumentILj0EEEEENSM_5valueIxEEEEEEEEEEEE10hipError_tPvRmT3_T4_T5_T6_T7_T9_mT8_P12ihipStream_tbDpT10_ENKUlT_T0_E_clISt17integral_constantIbLb1EES1K_EEDaS1F_S1G_EUlS1F_E_NS1_11comp_targetILNS1_3genE0ELNS1_11target_archE4294967295ELNS1_3gpuE0ELNS1_3repE0EEENS1_30default_config_static_selectorELNS0_4arch9wavefront6targetE0EEEvT1_ ; -- Begin function _ZN7rocprim17ROCPRIM_400000_NS6detail17trampoline_kernelINS0_14default_configENS1_25partition_config_selectorILNS1_17partition_subalgoE6ExNS0_10empty_typeEbEEZZNS1_14partition_implILS5_6ELb0ES3_mN6thrust23THRUST_200600_302600_NS6detail15normal_iteratorINSA_10device_ptrIxEEEEPS6_SG_NS0_5tupleIJSF_S6_EEENSH_IJSG_SG_EEES6_PlJNSB_9not_fun_tINSB_10functional5actorINSM_9compositeIJNSM_27transparent_binary_operatorINSA_8equal_toIvEEEENSN_INSM_8argumentILj0EEEEENSM_5valueIxEEEEEEEEEEEE10hipError_tPvRmT3_T4_T5_T6_T7_T9_mT8_P12ihipStream_tbDpT10_ENKUlT_T0_E_clISt17integral_constantIbLb1EES1K_EEDaS1F_S1G_EUlS1F_E_NS1_11comp_targetILNS1_3genE0ELNS1_11target_archE4294967295ELNS1_3gpuE0ELNS1_3repE0EEENS1_30default_config_static_selectorELNS0_4arch9wavefront6targetE0EEEvT1_
	.globl	_ZN7rocprim17ROCPRIM_400000_NS6detail17trampoline_kernelINS0_14default_configENS1_25partition_config_selectorILNS1_17partition_subalgoE6ExNS0_10empty_typeEbEEZZNS1_14partition_implILS5_6ELb0ES3_mN6thrust23THRUST_200600_302600_NS6detail15normal_iteratorINSA_10device_ptrIxEEEEPS6_SG_NS0_5tupleIJSF_S6_EEENSH_IJSG_SG_EEES6_PlJNSB_9not_fun_tINSB_10functional5actorINSM_9compositeIJNSM_27transparent_binary_operatorINSA_8equal_toIvEEEENSN_INSM_8argumentILj0EEEEENSM_5valueIxEEEEEEEEEEEE10hipError_tPvRmT3_T4_T5_T6_T7_T9_mT8_P12ihipStream_tbDpT10_ENKUlT_T0_E_clISt17integral_constantIbLb1EES1K_EEDaS1F_S1G_EUlS1F_E_NS1_11comp_targetILNS1_3genE0ELNS1_11target_archE4294967295ELNS1_3gpuE0ELNS1_3repE0EEENS1_30default_config_static_selectorELNS0_4arch9wavefront6targetE0EEEvT1_
	.p2align	8
	.type	_ZN7rocprim17ROCPRIM_400000_NS6detail17trampoline_kernelINS0_14default_configENS1_25partition_config_selectorILNS1_17partition_subalgoE6ExNS0_10empty_typeEbEEZZNS1_14partition_implILS5_6ELb0ES3_mN6thrust23THRUST_200600_302600_NS6detail15normal_iteratorINSA_10device_ptrIxEEEEPS6_SG_NS0_5tupleIJSF_S6_EEENSH_IJSG_SG_EEES6_PlJNSB_9not_fun_tINSB_10functional5actorINSM_9compositeIJNSM_27transparent_binary_operatorINSA_8equal_toIvEEEENSN_INSM_8argumentILj0EEEEENSM_5valueIxEEEEEEEEEEEE10hipError_tPvRmT3_T4_T5_T6_T7_T9_mT8_P12ihipStream_tbDpT10_ENKUlT_T0_E_clISt17integral_constantIbLb1EES1K_EEDaS1F_S1G_EUlS1F_E_NS1_11comp_targetILNS1_3genE0ELNS1_11target_archE4294967295ELNS1_3gpuE0ELNS1_3repE0EEENS1_30default_config_static_selectorELNS0_4arch9wavefront6targetE0EEEvT1_,@function
_ZN7rocprim17ROCPRIM_400000_NS6detail17trampoline_kernelINS0_14default_configENS1_25partition_config_selectorILNS1_17partition_subalgoE6ExNS0_10empty_typeEbEEZZNS1_14partition_implILS5_6ELb0ES3_mN6thrust23THRUST_200600_302600_NS6detail15normal_iteratorINSA_10device_ptrIxEEEEPS6_SG_NS0_5tupleIJSF_S6_EEENSH_IJSG_SG_EEES6_PlJNSB_9not_fun_tINSB_10functional5actorINSM_9compositeIJNSM_27transparent_binary_operatorINSA_8equal_toIvEEEENSN_INSM_8argumentILj0EEEEENSM_5valueIxEEEEEEEEEEEE10hipError_tPvRmT3_T4_T5_T6_T7_T9_mT8_P12ihipStream_tbDpT10_ENKUlT_T0_E_clISt17integral_constantIbLb1EES1K_EEDaS1F_S1G_EUlS1F_E_NS1_11comp_targetILNS1_3genE0ELNS1_11target_archE4294967295ELNS1_3gpuE0ELNS1_3repE0EEENS1_30default_config_static_selectorELNS0_4arch9wavefront6targetE0EEEvT1_: ; @_ZN7rocprim17ROCPRIM_400000_NS6detail17trampoline_kernelINS0_14default_configENS1_25partition_config_selectorILNS1_17partition_subalgoE6ExNS0_10empty_typeEbEEZZNS1_14partition_implILS5_6ELb0ES3_mN6thrust23THRUST_200600_302600_NS6detail15normal_iteratorINSA_10device_ptrIxEEEEPS6_SG_NS0_5tupleIJSF_S6_EEENSH_IJSG_SG_EEES6_PlJNSB_9not_fun_tINSB_10functional5actorINSM_9compositeIJNSM_27transparent_binary_operatorINSA_8equal_toIvEEEENSN_INSM_8argumentILj0EEEEENSM_5valueIxEEEEEEEEEEEE10hipError_tPvRmT3_T4_T5_T6_T7_T9_mT8_P12ihipStream_tbDpT10_ENKUlT_T0_E_clISt17integral_constantIbLb1EES1K_EEDaS1F_S1G_EUlS1F_E_NS1_11comp_targetILNS1_3genE0ELNS1_11target_archE4294967295ELNS1_3gpuE0ELNS1_3repE0EEENS1_30default_config_static_selectorELNS0_4arch9wavefront6targetE0EEEvT1_
; %bb.0:
	.section	.rodata,"a",@progbits
	.p2align	6, 0x0
	.amdhsa_kernel _ZN7rocprim17ROCPRIM_400000_NS6detail17trampoline_kernelINS0_14default_configENS1_25partition_config_selectorILNS1_17partition_subalgoE6ExNS0_10empty_typeEbEEZZNS1_14partition_implILS5_6ELb0ES3_mN6thrust23THRUST_200600_302600_NS6detail15normal_iteratorINSA_10device_ptrIxEEEEPS6_SG_NS0_5tupleIJSF_S6_EEENSH_IJSG_SG_EEES6_PlJNSB_9not_fun_tINSB_10functional5actorINSM_9compositeIJNSM_27transparent_binary_operatorINSA_8equal_toIvEEEENSN_INSM_8argumentILj0EEEEENSM_5valueIxEEEEEEEEEEEE10hipError_tPvRmT3_T4_T5_T6_T7_T9_mT8_P12ihipStream_tbDpT10_ENKUlT_T0_E_clISt17integral_constantIbLb1EES1K_EEDaS1F_S1G_EUlS1F_E_NS1_11comp_targetILNS1_3genE0ELNS1_11target_archE4294967295ELNS1_3gpuE0ELNS1_3repE0EEENS1_30default_config_static_selectorELNS0_4arch9wavefront6targetE0EEEvT1_
		.amdhsa_group_segment_fixed_size 0
		.amdhsa_private_segment_fixed_size 0
		.amdhsa_kernarg_size 136
		.amdhsa_user_sgpr_count 2
		.amdhsa_user_sgpr_dispatch_ptr 0
		.amdhsa_user_sgpr_queue_ptr 0
		.amdhsa_user_sgpr_kernarg_segment_ptr 1
		.amdhsa_user_sgpr_dispatch_id 0
		.amdhsa_user_sgpr_private_segment_size 0
		.amdhsa_wavefront_size32 1
		.amdhsa_uses_dynamic_stack 0
		.amdhsa_enable_private_segment 0
		.amdhsa_system_sgpr_workgroup_id_x 1
		.amdhsa_system_sgpr_workgroup_id_y 0
		.amdhsa_system_sgpr_workgroup_id_z 0
		.amdhsa_system_sgpr_workgroup_info 0
		.amdhsa_system_vgpr_workitem_id 0
		.amdhsa_next_free_vgpr 1
		.amdhsa_next_free_sgpr 1
		.amdhsa_reserve_vcc 0
		.amdhsa_float_round_mode_32 0
		.amdhsa_float_round_mode_16_64 0
		.amdhsa_float_denorm_mode_32 3
		.amdhsa_float_denorm_mode_16_64 3
		.amdhsa_fp16_overflow 0
		.amdhsa_workgroup_processor_mode 1
		.amdhsa_memory_ordered 1
		.amdhsa_forward_progress 1
		.amdhsa_inst_pref_size 0
		.amdhsa_round_robin_scheduling 0
		.amdhsa_exception_fp_ieee_invalid_op 0
		.amdhsa_exception_fp_denorm_src 0
		.amdhsa_exception_fp_ieee_div_zero 0
		.amdhsa_exception_fp_ieee_overflow 0
		.amdhsa_exception_fp_ieee_underflow 0
		.amdhsa_exception_fp_ieee_inexact 0
		.amdhsa_exception_int_div_zero 0
	.end_amdhsa_kernel
	.section	.text._ZN7rocprim17ROCPRIM_400000_NS6detail17trampoline_kernelINS0_14default_configENS1_25partition_config_selectorILNS1_17partition_subalgoE6ExNS0_10empty_typeEbEEZZNS1_14partition_implILS5_6ELb0ES3_mN6thrust23THRUST_200600_302600_NS6detail15normal_iteratorINSA_10device_ptrIxEEEEPS6_SG_NS0_5tupleIJSF_S6_EEENSH_IJSG_SG_EEES6_PlJNSB_9not_fun_tINSB_10functional5actorINSM_9compositeIJNSM_27transparent_binary_operatorINSA_8equal_toIvEEEENSN_INSM_8argumentILj0EEEEENSM_5valueIxEEEEEEEEEEEE10hipError_tPvRmT3_T4_T5_T6_T7_T9_mT8_P12ihipStream_tbDpT10_ENKUlT_T0_E_clISt17integral_constantIbLb1EES1K_EEDaS1F_S1G_EUlS1F_E_NS1_11comp_targetILNS1_3genE0ELNS1_11target_archE4294967295ELNS1_3gpuE0ELNS1_3repE0EEENS1_30default_config_static_selectorELNS0_4arch9wavefront6targetE0EEEvT1_,"axG",@progbits,_ZN7rocprim17ROCPRIM_400000_NS6detail17trampoline_kernelINS0_14default_configENS1_25partition_config_selectorILNS1_17partition_subalgoE6ExNS0_10empty_typeEbEEZZNS1_14partition_implILS5_6ELb0ES3_mN6thrust23THRUST_200600_302600_NS6detail15normal_iteratorINSA_10device_ptrIxEEEEPS6_SG_NS0_5tupleIJSF_S6_EEENSH_IJSG_SG_EEES6_PlJNSB_9not_fun_tINSB_10functional5actorINSM_9compositeIJNSM_27transparent_binary_operatorINSA_8equal_toIvEEEENSN_INSM_8argumentILj0EEEEENSM_5valueIxEEEEEEEEEEEE10hipError_tPvRmT3_T4_T5_T6_T7_T9_mT8_P12ihipStream_tbDpT10_ENKUlT_T0_E_clISt17integral_constantIbLb1EES1K_EEDaS1F_S1G_EUlS1F_E_NS1_11comp_targetILNS1_3genE0ELNS1_11target_archE4294967295ELNS1_3gpuE0ELNS1_3repE0EEENS1_30default_config_static_selectorELNS0_4arch9wavefront6targetE0EEEvT1_,comdat
.Lfunc_end187:
	.size	_ZN7rocprim17ROCPRIM_400000_NS6detail17trampoline_kernelINS0_14default_configENS1_25partition_config_selectorILNS1_17partition_subalgoE6ExNS0_10empty_typeEbEEZZNS1_14partition_implILS5_6ELb0ES3_mN6thrust23THRUST_200600_302600_NS6detail15normal_iteratorINSA_10device_ptrIxEEEEPS6_SG_NS0_5tupleIJSF_S6_EEENSH_IJSG_SG_EEES6_PlJNSB_9not_fun_tINSB_10functional5actorINSM_9compositeIJNSM_27transparent_binary_operatorINSA_8equal_toIvEEEENSN_INSM_8argumentILj0EEEEENSM_5valueIxEEEEEEEEEEEE10hipError_tPvRmT3_T4_T5_T6_T7_T9_mT8_P12ihipStream_tbDpT10_ENKUlT_T0_E_clISt17integral_constantIbLb1EES1K_EEDaS1F_S1G_EUlS1F_E_NS1_11comp_targetILNS1_3genE0ELNS1_11target_archE4294967295ELNS1_3gpuE0ELNS1_3repE0EEENS1_30default_config_static_selectorELNS0_4arch9wavefront6targetE0EEEvT1_, .Lfunc_end187-_ZN7rocprim17ROCPRIM_400000_NS6detail17trampoline_kernelINS0_14default_configENS1_25partition_config_selectorILNS1_17partition_subalgoE6ExNS0_10empty_typeEbEEZZNS1_14partition_implILS5_6ELb0ES3_mN6thrust23THRUST_200600_302600_NS6detail15normal_iteratorINSA_10device_ptrIxEEEEPS6_SG_NS0_5tupleIJSF_S6_EEENSH_IJSG_SG_EEES6_PlJNSB_9not_fun_tINSB_10functional5actorINSM_9compositeIJNSM_27transparent_binary_operatorINSA_8equal_toIvEEEENSN_INSM_8argumentILj0EEEEENSM_5valueIxEEEEEEEEEEEE10hipError_tPvRmT3_T4_T5_T6_T7_T9_mT8_P12ihipStream_tbDpT10_ENKUlT_T0_E_clISt17integral_constantIbLb1EES1K_EEDaS1F_S1G_EUlS1F_E_NS1_11comp_targetILNS1_3genE0ELNS1_11target_archE4294967295ELNS1_3gpuE0ELNS1_3repE0EEENS1_30default_config_static_selectorELNS0_4arch9wavefront6targetE0EEEvT1_
                                        ; -- End function
	.set _ZN7rocprim17ROCPRIM_400000_NS6detail17trampoline_kernelINS0_14default_configENS1_25partition_config_selectorILNS1_17partition_subalgoE6ExNS0_10empty_typeEbEEZZNS1_14partition_implILS5_6ELb0ES3_mN6thrust23THRUST_200600_302600_NS6detail15normal_iteratorINSA_10device_ptrIxEEEEPS6_SG_NS0_5tupleIJSF_S6_EEENSH_IJSG_SG_EEES6_PlJNSB_9not_fun_tINSB_10functional5actorINSM_9compositeIJNSM_27transparent_binary_operatorINSA_8equal_toIvEEEENSN_INSM_8argumentILj0EEEEENSM_5valueIxEEEEEEEEEEEE10hipError_tPvRmT3_T4_T5_T6_T7_T9_mT8_P12ihipStream_tbDpT10_ENKUlT_T0_E_clISt17integral_constantIbLb1EES1K_EEDaS1F_S1G_EUlS1F_E_NS1_11comp_targetILNS1_3genE0ELNS1_11target_archE4294967295ELNS1_3gpuE0ELNS1_3repE0EEENS1_30default_config_static_selectorELNS0_4arch9wavefront6targetE0EEEvT1_.num_vgpr, 0
	.set _ZN7rocprim17ROCPRIM_400000_NS6detail17trampoline_kernelINS0_14default_configENS1_25partition_config_selectorILNS1_17partition_subalgoE6ExNS0_10empty_typeEbEEZZNS1_14partition_implILS5_6ELb0ES3_mN6thrust23THRUST_200600_302600_NS6detail15normal_iteratorINSA_10device_ptrIxEEEEPS6_SG_NS0_5tupleIJSF_S6_EEENSH_IJSG_SG_EEES6_PlJNSB_9not_fun_tINSB_10functional5actorINSM_9compositeIJNSM_27transparent_binary_operatorINSA_8equal_toIvEEEENSN_INSM_8argumentILj0EEEEENSM_5valueIxEEEEEEEEEEEE10hipError_tPvRmT3_T4_T5_T6_T7_T9_mT8_P12ihipStream_tbDpT10_ENKUlT_T0_E_clISt17integral_constantIbLb1EES1K_EEDaS1F_S1G_EUlS1F_E_NS1_11comp_targetILNS1_3genE0ELNS1_11target_archE4294967295ELNS1_3gpuE0ELNS1_3repE0EEENS1_30default_config_static_selectorELNS0_4arch9wavefront6targetE0EEEvT1_.num_agpr, 0
	.set _ZN7rocprim17ROCPRIM_400000_NS6detail17trampoline_kernelINS0_14default_configENS1_25partition_config_selectorILNS1_17partition_subalgoE6ExNS0_10empty_typeEbEEZZNS1_14partition_implILS5_6ELb0ES3_mN6thrust23THRUST_200600_302600_NS6detail15normal_iteratorINSA_10device_ptrIxEEEEPS6_SG_NS0_5tupleIJSF_S6_EEENSH_IJSG_SG_EEES6_PlJNSB_9not_fun_tINSB_10functional5actorINSM_9compositeIJNSM_27transparent_binary_operatorINSA_8equal_toIvEEEENSN_INSM_8argumentILj0EEEEENSM_5valueIxEEEEEEEEEEEE10hipError_tPvRmT3_T4_T5_T6_T7_T9_mT8_P12ihipStream_tbDpT10_ENKUlT_T0_E_clISt17integral_constantIbLb1EES1K_EEDaS1F_S1G_EUlS1F_E_NS1_11comp_targetILNS1_3genE0ELNS1_11target_archE4294967295ELNS1_3gpuE0ELNS1_3repE0EEENS1_30default_config_static_selectorELNS0_4arch9wavefront6targetE0EEEvT1_.numbered_sgpr, 0
	.set _ZN7rocprim17ROCPRIM_400000_NS6detail17trampoline_kernelINS0_14default_configENS1_25partition_config_selectorILNS1_17partition_subalgoE6ExNS0_10empty_typeEbEEZZNS1_14partition_implILS5_6ELb0ES3_mN6thrust23THRUST_200600_302600_NS6detail15normal_iteratorINSA_10device_ptrIxEEEEPS6_SG_NS0_5tupleIJSF_S6_EEENSH_IJSG_SG_EEES6_PlJNSB_9not_fun_tINSB_10functional5actorINSM_9compositeIJNSM_27transparent_binary_operatorINSA_8equal_toIvEEEENSN_INSM_8argumentILj0EEEEENSM_5valueIxEEEEEEEEEEEE10hipError_tPvRmT3_T4_T5_T6_T7_T9_mT8_P12ihipStream_tbDpT10_ENKUlT_T0_E_clISt17integral_constantIbLb1EES1K_EEDaS1F_S1G_EUlS1F_E_NS1_11comp_targetILNS1_3genE0ELNS1_11target_archE4294967295ELNS1_3gpuE0ELNS1_3repE0EEENS1_30default_config_static_selectorELNS0_4arch9wavefront6targetE0EEEvT1_.num_named_barrier, 0
	.set _ZN7rocprim17ROCPRIM_400000_NS6detail17trampoline_kernelINS0_14default_configENS1_25partition_config_selectorILNS1_17partition_subalgoE6ExNS0_10empty_typeEbEEZZNS1_14partition_implILS5_6ELb0ES3_mN6thrust23THRUST_200600_302600_NS6detail15normal_iteratorINSA_10device_ptrIxEEEEPS6_SG_NS0_5tupleIJSF_S6_EEENSH_IJSG_SG_EEES6_PlJNSB_9not_fun_tINSB_10functional5actorINSM_9compositeIJNSM_27transparent_binary_operatorINSA_8equal_toIvEEEENSN_INSM_8argumentILj0EEEEENSM_5valueIxEEEEEEEEEEEE10hipError_tPvRmT3_T4_T5_T6_T7_T9_mT8_P12ihipStream_tbDpT10_ENKUlT_T0_E_clISt17integral_constantIbLb1EES1K_EEDaS1F_S1G_EUlS1F_E_NS1_11comp_targetILNS1_3genE0ELNS1_11target_archE4294967295ELNS1_3gpuE0ELNS1_3repE0EEENS1_30default_config_static_selectorELNS0_4arch9wavefront6targetE0EEEvT1_.private_seg_size, 0
	.set _ZN7rocprim17ROCPRIM_400000_NS6detail17trampoline_kernelINS0_14default_configENS1_25partition_config_selectorILNS1_17partition_subalgoE6ExNS0_10empty_typeEbEEZZNS1_14partition_implILS5_6ELb0ES3_mN6thrust23THRUST_200600_302600_NS6detail15normal_iteratorINSA_10device_ptrIxEEEEPS6_SG_NS0_5tupleIJSF_S6_EEENSH_IJSG_SG_EEES6_PlJNSB_9not_fun_tINSB_10functional5actorINSM_9compositeIJNSM_27transparent_binary_operatorINSA_8equal_toIvEEEENSN_INSM_8argumentILj0EEEEENSM_5valueIxEEEEEEEEEEEE10hipError_tPvRmT3_T4_T5_T6_T7_T9_mT8_P12ihipStream_tbDpT10_ENKUlT_T0_E_clISt17integral_constantIbLb1EES1K_EEDaS1F_S1G_EUlS1F_E_NS1_11comp_targetILNS1_3genE0ELNS1_11target_archE4294967295ELNS1_3gpuE0ELNS1_3repE0EEENS1_30default_config_static_selectorELNS0_4arch9wavefront6targetE0EEEvT1_.uses_vcc, 0
	.set _ZN7rocprim17ROCPRIM_400000_NS6detail17trampoline_kernelINS0_14default_configENS1_25partition_config_selectorILNS1_17partition_subalgoE6ExNS0_10empty_typeEbEEZZNS1_14partition_implILS5_6ELb0ES3_mN6thrust23THRUST_200600_302600_NS6detail15normal_iteratorINSA_10device_ptrIxEEEEPS6_SG_NS0_5tupleIJSF_S6_EEENSH_IJSG_SG_EEES6_PlJNSB_9not_fun_tINSB_10functional5actorINSM_9compositeIJNSM_27transparent_binary_operatorINSA_8equal_toIvEEEENSN_INSM_8argumentILj0EEEEENSM_5valueIxEEEEEEEEEEEE10hipError_tPvRmT3_T4_T5_T6_T7_T9_mT8_P12ihipStream_tbDpT10_ENKUlT_T0_E_clISt17integral_constantIbLb1EES1K_EEDaS1F_S1G_EUlS1F_E_NS1_11comp_targetILNS1_3genE0ELNS1_11target_archE4294967295ELNS1_3gpuE0ELNS1_3repE0EEENS1_30default_config_static_selectorELNS0_4arch9wavefront6targetE0EEEvT1_.uses_flat_scratch, 0
	.set _ZN7rocprim17ROCPRIM_400000_NS6detail17trampoline_kernelINS0_14default_configENS1_25partition_config_selectorILNS1_17partition_subalgoE6ExNS0_10empty_typeEbEEZZNS1_14partition_implILS5_6ELb0ES3_mN6thrust23THRUST_200600_302600_NS6detail15normal_iteratorINSA_10device_ptrIxEEEEPS6_SG_NS0_5tupleIJSF_S6_EEENSH_IJSG_SG_EEES6_PlJNSB_9not_fun_tINSB_10functional5actorINSM_9compositeIJNSM_27transparent_binary_operatorINSA_8equal_toIvEEEENSN_INSM_8argumentILj0EEEEENSM_5valueIxEEEEEEEEEEEE10hipError_tPvRmT3_T4_T5_T6_T7_T9_mT8_P12ihipStream_tbDpT10_ENKUlT_T0_E_clISt17integral_constantIbLb1EES1K_EEDaS1F_S1G_EUlS1F_E_NS1_11comp_targetILNS1_3genE0ELNS1_11target_archE4294967295ELNS1_3gpuE0ELNS1_3repE0EEENS1_30default_config_static_selectorELNS0_4arch9wavefront6targetE0EEEvT1_.has_dyn_sized_stack, 0
	.set _ZN7rocprim17ROCPRIM_400000_NS6detail17trampoline_kernelINS0_14default_configENS1_25partition_config_selectorILNS1_17partition_subalgoE6ExNS0_10empty_typeEbEEZZNS1_14partition_implILS5_6ELb0ES3_mN6thrust23THRUST_200600_302600_NS6detail15normal_iteratorINSA_10device_ptrIxEEEEPS6_SG_NS0_5tupleIJSF_S6_EEENSH_IJSG_SG_EEES6_PlJNSB_9not_fun_tINSB_10functional5actorINSM_9compositeIJNSM_27transparent_binary_operatorINSA_8equal_toIvEEEENSN_INSM_8argumentILj0EEEEENSM_5valueIxEEEEEEEEEEEE10hipError_tPvRmT3_T4_T5_T6_T7_T9_mT8_P12ihipStream_tbDpT10_ENKUlT_T0_E_clISt17integral_constantIbLb1EES1K_EEDaS1F_S1G_EUlS1F_E_NS1_11comp_targetILNS1_3genE0ELNS1_11target_archE4294967295ELNS1_3gpuE0ELNS1_3repE0EEENS1_30default_config_static_selectorELNS0_4arch9wavefront6targetE0EEEvT1_.has_recursion, 0
	.set _ZN7rocprim17ROCPRIM_400000_NS6detail17trampoline_kernelINS0_14default_configENS1_25partition_config_selectorILNS1_17partition_subalgoE6ExNS0_10empty_typeEbEEZZNS1_14partition_implILS5_6ELb0ES3_mN6thrust23THRUST_200600_302600_NS6detail15normal_iteratorINSA_10device_ptrIxEEEEPS6_SG_NS0_5tupleIJSF_S6_EEENSH_IJSG_SG_EEES6_PlJNSB_9not_fun_tINSB_10functional5actorINSM_9compositeIJNSM_27transparent_binary_operatorINSA_8equal_toIvEEEENSN_INSM_8argumentILj0EEEEENSM_5valueIxEEEEEEEEEEEE10hipError_tPvRmT3_T4_T5_T6_T7_T9_mT8_P12ihipStream_tbDpT10_ENKUlT_T0_E_clISt17integral_constantIbLb1EES1K_EEDaS1F_S1G_EUlS1F_E_NS1_11comp_targetILNS1_3genE0ELNS1_11target_archE4294967295ELNS1_3gpuE0ELNS1_3repE0EEENS1_30default_config_static_selectorELNS0_4arch9wavefront6targetE0EEEvT1_.has_indirect_call, 0
	.section	.AMDGPU.csdata,"",@progbits
; Kernel info:
; codeLenInByte = 0
; TotalNumSgprs: 0
; NumVgprs: 0
; ScratchSize: 0
; MemoryBound: 0
; FloatMode: 240
; IeeeMode: 1
; LDSByteSize: 0 bytes/workgroup (compile time only)
; SGPRBlocks: 0
; VGPRBlocks: 0
; NumSGPRsForWavesPerEU: 1
; NumVGPRsForWavesPerEU: 1
; Occupancy: 16
; WaveLimiterHint : 0
; COMPUTE_PGM_RSRC2:SCRATCH_EN: 0
; COMPUTE_PGM_RSRC2:USER_SGPR: 2
; COMPUTE_PGM_RSRC2:TRAP_HANDLER: 0
; COMPUTE_PGM_RSRC2:TGID_X_EN: 1
; COMPUTE_PGM_RSRC2:TGID_Y_EN: 0
; COMPUTE_PGM_RSRC2:TGID_Z_EN: 0
; COMPUTE_PGM_RSRC2:TIDIG_COMP_CNT: 0
	.section	.text._ZN7rocprim17ROCPRIM_400000_NS6detail17trampoline_kernelINS0_14default_configENS1_25partition_config_selectorILNS1_17partition_subalgoE6ExNS0_10empty_typeEbEEZZNS1_14partition_implILS5_6ELb0ES3_mN6thrust23THRUST_200600_302600_NS6detail15normal_iteratorINSA_10device_ptrIxEEEEPS6_SG_NS0_5tupleIJSF_S6_EEENSH_IJSG_SG_EEES6_PlJNSB_9not_fun_tINSB_10functional5actorINSM_9compositeIJNSM_27transparent_binary_operatorINSA_8equal_toIvEEEENSN_INSM_8argumentILj0EEEEENSM_5valueIxEEEEEEEEEEEE10hipError_tPvRmT3_T4_T5_T6_T7_T9_mT8_P12ihipStream_tbDpT10_ENKUlT_T0_E_clISt17integral_constantIbLb1EES1K_EEDaS1F_S1G_EUlS1F_E_NS1_11comp_targetILNS1_3genE5ELNS1_11target_archE942ELNS1_3gpuE9ELNS1_3repE0EEENS1_30default_config_static_selectorELNS0_4arch9wavefront6targetE0EEEvT1_,"axG",@progbits,_ZN7rocprim17ROCPRIM_400000_NS6detail17trampoline_kernelINS0_14default_configENS1_25partition_config_selectorILNS1_17partition_subalgoE6ExNS0_10empty_typeEbEEZZNS1_14partition_implILS5_6ELb0ES3_mN6thrust23THRUST_200600_302600_NS6detail15normal_iteratorINSA_10device_ptrIxEEEEPS6_SG_NS0_5tupleIJSF_S6_EEENSH_IJSG_SG_EEES6_PlJNSB_9not_fun_tINSB_10functional5actorINSM_9compositeIJNSM_27transparent_binary_operatorINSA_8equal_toIvEEEENSN_INSM_8argumentILj0EEEEENSM_5valueIxEEEEEEEEEEEE10hipError_tPvRmT3_T4_T5_T6_T7_T9_mT8_P12ihipStream_tbDpT10_ENKUlT_T0_E_clISt17integral_constantIbLb1EES1K_EEDaS1F_S1G_EUlS1F_E_NS1_11comp_targetILNS1_3genE5ELNS1_11target_archE942ELNS1_3gpuE9ELNS1_3repE0EEENS1_30default_config_static_selectorELNS0_4arch9wavefront6targetE0EEEvT1_,comdat
	.protected	_ZN7rocprim17ROCPRIM_400000_NS6detail17trampoline_kernelINS0_14default_configENS1_25partition_config_selectorILNS1_17partition_subalgoE6ExNS0_10empty_typeEbEEZZNS1_14partition_implILS5_6ELb0ES3_mN6thrust23THRUST_200600_302600_NS6detail15normal_iteratorINSA_10device_ptrIxEEEEPS6_SG_NS0_5tupleIJSF_S6_EEENSH_IJSG_SG_EEES6_PlJNSB_9not_fun_tINSB_10functional5actorINSM_9compositeIJNSM_27transparent_binary_operatorINSA_8equal_toIvEEEENSN_INSM_8argumentILj0EEEEENSM_5valueIxEEEEEEEEEEEE10hipError_tPvRmT3_T4_T5_T6_T7_T9_mT8_P12ihipStream_tbDpT10_ENKUlT_T0_E_clISt17integral_constantIbLb1EES1K_EEDaS1F_S1G_EUlS1F_E_NS1_11comp_targetILNS1_3genE5ELNS1_11target_archE942ELNS1_3gpuE9ELNS1_3repE0EEENS1_30default_config_static_selectorELNS0_4arch9wavefront6targetE0EEEvT1_ ; -- Begin function _ZN7rocprim17ROCPRIM_400000_NS6detail17trampoline_kernelINS0_14default_configENS1_25partition_config_selectorILNS1_17partition_subalgoE6ExNS0_10empty_typeEbEEZZNS1_14partition_implILS5_6ELb0ES3_mN6thrust23THRUST_200600_302600_NS6detail15normal_iteratorINSA_10device_ptrIxEEEEPS6_SG_NS0_5tupleIJSF_S6_EEENSH_IJSG_SG_EEES6_PlJNSB_9not_fun_tINSB_10functional5actorINSM_9compositeIJNSM_27transparent_binary_operatorINSA_8equal_toIvEEEENSN_INSM_8argumentILj0EEEEENSM_5valueIxEEEEEEEEEEEE10hipError_tPvRmT3_T4_T5_T6_T7_T9_mT8_P12ihipStream_tbDpT10_ENKUlT_T0_E_clISt17integral_constantIbLb1EES1K_EEDaS1F_S1G_EUlS1F_E_NS1_11comp_targetILNS1_3genE5ELNS1_11target_archE942ELNS1_3gpuE9ELNS1_3repE0EEENS1_30default_config_static_selectorELNS0_4arch9wavefront6targetE0EEEvT1_
	.globl	_ZN7rocprim17ROCPRIM_400000_NS6detail17trampoline_kernelINS0_14default_configENS1_25partition_config_selectorILNS1_17partition_subalgoE6ExNS0_10empty_typeEbEEZZNS1_14partition_implILS5_6ELb0ES3_mN6thrust23THRUST_200600_302600_NS6detail15normal_iteratorINSA_10device_ptrIxEEEEPS6_SG_NS0_5tupleIJSF_S6_EEENSH_IJSG_SG_EEES6_PlJNSB_9not_fun_tINSB_10functional5actorINSM_9compositeIJNSM_27transparent_binary_operatorINSA_8equal_toIvEEEENSN_INSM_8argumentILj0EEEEENSM_5valueIxEEEEEEEEEEEE10hipError_tPvRmT3_T4_T5_T6_T7_T9_mT8_P12ihipStream_tbDpT10_ENKUlT_T0_E_clISt17integral_constantIbLb1EES1K_EEDaS1F_S1G_EUlS1F_E_NS1_11comp_targetILNS1_3genE5ELNS1_11target_archE942ELNS1_3gpuE9ELNS1_3repE0EEENS1_30default_config_static_selectorELNS0_4arch9wavefront6targetE0EEEvT1_
	.p2align	8
	.type	_ZN7rocprim17ROCPRIM_400000_NS6detail17trampoline_kernelINS0_14default_configENS1_25partition_config_selectorILNS1_17partition_subalgoE6ExNS0_10empty_typeEbEEZZNS1_14partition_implILS5_6ELb0ES3_mN6thrust23THRUST_200600_302600_NS6detail15normal_iteratorINSA_10device_ptrIxEEEEPS6_SG_NS0_5tupleIJSF_S6_EEENSH_IJSG_SG_EEES6_PlJNSB_9not_fun_tINSB_10functional5actorINSM_9compositeIJNSM_27transparent_binary_operatorINSA_8equal_toIvEEEENSN_INSM_8argumentILj0EEEEENSM_5valueIxEEEEEEEEEEEE10hipError_tPvRmT3_T4_T5_T6_T7_T9_mT8_P12ihipStream_tbDpT10_ENKUlT_T0_E_clISt17integral_constantIbLb1EES1K_EEDaS1F_S1G_EUlS1F_E_NS1_11comp_targetILNS1_3genE5ELNS1_11target_archE942ELNS1_3gpuE9ELNS1_3repE0EEENS1_30default_config_static_selectorELNS0_4arch9wavefront6targetE0EEEvT1_,@function
_ZN7rocprim17ROCPRIM_400000_NS6detail17trampoline_kernelINS0_14default_configENS1_25partition_config_selectorILNS1_17partition_subalgoE6ExNS0_10empty_typeEbEEZZNS1_14partition_implILS5_6ELb0ES3_mN6thrust23THRUST_200600_302600_NS6detail15normal_iteratorINSA_10device_ptrIxEEEEPS6_SG_NS0_5tupleIJSF_S6_EEENSH_IJSG_SG_EEES6_PlJNSB_9not_fun_tINSB_10functional5actorINSM_9compositeIJNSM_27transparent_binary_operatorINSA_8equal_toIvEEEENSN_INSM_8argumentILj0EEEEENSM_5valueIxEEEEEEEEEEEE10hipError_tPvRmT3_T4_T5_T6_T7_T9_mT8_P12ihipStream_tbDpT10_ENKUlT_T0_E_clISt17integral_constantIbLb1EES1K_EEDaS1F_S1G_EUlS1F_E_NS1_11comp_targetILNS1_3genE5ELNS1_11target_archE942ELNS1_3gpuE9ELNS1_3repE0EEENS1_30default_config_static_selectorELNS0_4arch9wavefront6targetE0EEEvT1_: ; @_ZN7rocprim17ROCPRIM_400000_NS6detail17trampoline_kernelINS0_14default_configENS1_25partition_config_selectorILNS1_17partition_subalgoE6ExNS0_10empty_typeEbEEZZNS1_14partition_implILS5_6ELb0ES3_mN6thrust23THRUST_200600_302600_NS6detail15normal_iteratorINSA_10device_ptrIxEEEEPS6_SG_NS0_5tupleIJSF_S6_EEENSH_IJSG_SG_EEES6_PlJNSB_9not_fun_tINSB_10functional5actorINSM_9compositeIJNSM_27transparent_binary_operatorINSA_8equal_toIvEEEENSN_INSM_8argumentILj0EEEEENSM_5valueIxEEEEEEEEEEEE10hipError_tPvRmT3_T4_T5_T6_T7_T9_mT8_P12ihipStream_tbDpT10_ENKUlT_T0_E_clISt17integral_constantIbLb1EES1K_EEDaS1F_S1G_EUlS1F_E_NS1_11comp_targetILNS1_3genE5ELNS1_11target_archE942ELNS1_3gpuE9ELNS1_3repE0EEENS1_30default_config_static_selectorELNS0_4arch9wavefront6targetE0EEEvT1_
; %bb.0:
	.section	.rodata,"a",@progbits
	.p2align	6, 0x0
	.amdhsa_kernel _ZN7rocprim17ROCPRIM_400000_NS6detail17trampoline_kernelINS0_14default_configENS1_25partition_config_selectorILNS1_17partition_subalgoE6ExNS0_10empty_typeEbEEZZNS1_14partition_implILS5_6ELb0ES3_mN6thrust23THRUST_200600_302600_NS6detail15normal_iteratorINSA_10device_ptrIxEEEEPS6_SG_NS0_5tupleIJSF_S6_EEENSH_IJSG_SG_EEES6_PlJNSB_9not_fun_tINSB_10functional5actorINSM_9compositeIJNSM_27transparent_binary_operatorINSA_8equal_toIvEEEENSN_INSM_8argumentILj0EEEEENSM_5valueIxEEEEEEEEEEEE10hipError_tPvRmT3_T4_T5_T6_T7_T9_mT8_P12ihipStream_tbDpT10_ENKUlT_T0_E_clISt17integral_constantIbLb1EES1K_EEDaS1F_S1G_EUlS1F_E_NS1_11comp_targetILNS1_3genE5ELNS1_11target_archE942ELNS1_3gpuE9ELNS1_3repE0EEENS1_30default_config_static_selectorELNS0_4arch9wavefront6targetE0EEEvT1_
		.amdhsa_group_segment_fixed_size 0
		.amdhsa_private_segment_fixed_size 0
		.amdhsa_kernarg_size 136
		.amdhsa_user_sgpr_count 2
		.amdhsa_user_sgpr_dispatch_ptr 0
		.amdhsa_user_sgpr_queue_ptr 0
		.amdhsa_user_sgpr_kernarg_segment_ptr 1
		.amdhsa_user_sgpr_dispatch_id 0
		.amdhsa_user_sgpr_private_segment_size 0
		.amdhsa_wavefront_size32 1
		.amdhsa_uses_dynamic_stack 0
		.amdhsa_enable_private_segment 0
		.amdhsa_system_sgpr_workgroup_id_x 1
		.amdhsa_system_sgpr_workgroup_id_y 0
		.amdhsa_system_sgpr_workgroup_id_z 0
		.amdhsa_system_sgpr_workgroup_info 0
		.amdhsa_system_vgpr_workitem_id 0
		.amdhsa_next_free_vgpr 1
		.amdhsa_next_free_sgpr 1
		.amdhsa_reserve_vcc 0
		.amdhsa_float_round_mode_32 0
		.amdhsa_float_round_mode_16_64 0
		.amdhsa_float_denorm_mode_32 3
		.amdhsa_float_denorm_mode_16_64 3
		.amdhsa_fp16_overflow 0
		.amdhsa_workgroup_processor_mode 1
		.amdhsa_memory_ordered 1
		.amdhsa_forward_progress 1
		.amdhsa_inst_pref_size 0
		.amdhsa_round_robin_scheduling 0
		.amdhsa_exception_fp_ieee_invalid_op 0
		.amdhsa_exception_fp_denorm_src 0
		.amdhsa_exception_fp_ieee_div_zero 0
		.amdhsa_exception_fp_ieee_overflow 0
		.amdhsa_exception_fp_ieee_underflow 0
		.amdhsa_exception_fp_ieee_inexact 0
		.amdhsa_exception_int_div_zero 0
	.end_amdhsa_kernel
	.section	.text._ZN7rocprim17ROCPRIM_400000_NS6detail17trampoline_kernelINS0_14default_configENS1_25partition_config_selectorILNS1_17partition_subalgoE6ExNS0_10empty_typeEbEEZZNS1_14partition_implILS5_6ELb0ES3_mN6thrust23THRUST_200600_302600_NS6detail15normal_iteratorINSA_10device_ptrIxEEEEPS6_SG_NS0_5tupleIJSF_S6_EEENSH_IJSG_SG_EEES6_PlJNSB_9not_fun_tINSB_10functional5actorINSM_9compositeIJNSM_27transparent_binary_operatorINSA_8equal_toIvEEEENSN_INSM_8argumentILj0EEEEENSM_5valueIxEEEEEEEEEEEE10hipError_tPvRmT3_T4_T5_T6_T7_T9_mT8_P12ihipStream_tbDpT10_ENKUlT_T0_E_clISt17integral_constantIbLb1EES1K_EEDaS1F_S1G_EUlS1F_E_NS1_11comp_targetILNS1_3genE5ELNS1_11target_archE942ELNS1_3gpuE9ELNS1_3repE0EEENS1_30default_config_static_selectorELNS0_4arch9wavefront6targetE0EEEvT1_,"axG",@progbits,_ZN7rocprim17ROCPRIM_400000_NS6detail17trampoline_kernelINS0_14default_configENS1_25partition_config_selectorILNS1_17partition_subalgoE6ExNS0_10empty_typeEbEEZZNS1_14partition_implILS5_6ELb0ES3_mN6thrust23THRUST_200600_302600_NS6detail15normal_iteratorINSA_10device_ptrIxEEEEPS6_SG_NS0_5tupleIJSF_S6_EEENSH_IJSG_SG_EEES6_PlJNSB_9not_fun_tINSB_10functional5actorINSM_9compositeIJNSM_27transparent_binary_operatorINSA_8equal_toIvEEEENSN_INSM_8argumentILj0EEEEENSM_5valueIxEEEEEEEEEEEE10hipError_tPvRmT3_T4_T5_T6_T7_T9_mT8_P12ihipStream_tbDpT10_ENKUlT_T0_E_clISt17integral_constantIbLb1EES1K_EEDaS1F_S1G_EUlS1F_E_NS1_11comp_targetILNS1_3genE5ELNS1_11target_archE942ELNS1_3gpuE9ELNS1_3repE0EEENS1_30default_config_static_selectorELNS0_4arch9wavefront6targetE0EEEvT1_,comdat
.Lfunc_end188:
	.size	_ZN7rocprim17ROCPRIM_400000_NS6detail17trampoline_kernelINS0_14default_configENS1_25partition_config_selectorILNS1_17partition_subalgoE6ExNS0_10empty_typeEbEEZZNS1_14partition_implILS5_6ELb0ES3_mN6thrust23THRUST_200600_302600_NS6detail15normal_iteratorINSA_10device_ptrIxEEEEPS6_SG_NS0_5tupleIJSF_S6_EEENSH_IJSG_SG_EEES6_PlJNSB_9not_fun_tINSB_10functional5actorINSM_9compositeIJNSM_27transparent_binary_operatorINSA_8equal_toIvEEEENSN_INSM_8argumentILj0EEEEENSM_5valueIxEEEEEEEEEEEE10hipError_tPvRmT3_T4_T5_T6_T7_T9_mT8_P12ihipStream_tbDpT10_ENKUlT_T0_E_clISt17integral_constantIbLb1EES1K_EEDaS1F_S1G_EUlS1F_E_NS1_11comp_targetILNS1_3genE5ELNS1_11target_archE942ELNS1_3gpuE9ELNS1_3repE0EEENS1_30default_config_static_selectorELNS0_4arch9wavefront6targetE0EEEvT1_, .Lfunc_end188-_ZN7rocprim17ROCPRIM_400000_NS6detail17trampoline_kernelINS0_14default_configENS1_25partition_config_selectorILNS1_17partition_subalgoE6ExNS0_10empty_typeEbEEZZNS1_14partition_implILS5_6ELb0ES3_mN6thrust23THRUST_200600_302600_NS6detail15normal_iteratorINSA_10device_ptrIxEEEEPS6_SG_NS0_5tupleIJSF_S6_EEENSH_IJSG_SG_EEES6_PlJNSB_9not_fun_tINSB_10functional5actorINSM_9compositeIJNSM_27transparent_binary_operatorINSA_8equal_toIvEEEENSN_INSM_8argumentILj0EEEEENSM_5valueIxEEEEEEEEEEEE10hipError_tPvRmT3_T4_T5_T6_T7_T9_mT8_P12ihipStream_tbDpT10_ENKUlT_T0_E_clISt17integral_constantIbLb1EES1K_EEDaS1F_S1G_EUlS1F_E_NS1_11comp_targetILNS1_3genE5ELNS1_11target_archE942ELNS1_3gpuE9ELNS1_3repE0EEENS1_30default_config_static_selectorELNS0_4arch9wavefront6targetE0EEEvT1_
                                        ; -- End function
	.set _ZN7rocprim17ROCPRIM_400000_NS6detail17trampoline_kernelINS0_14default_configENS1_25partition_config_selectorILNS1_17partition_subalgoE6ExNS0_10empty_typeEbEEZZNS1_14partition_implILS5_6ELb0ES3_mN6thrust23THRUST_200600_302600_NS6detail15normal_iteratorINSA_10device_ptrIxEEEEPS6_SG_NS0_5tupleIJSF_S6_EEENSH_IJSG_SG_EEES6_PlJNSB_9not_fun_tINSB_10functional5actorINSM_9compositeIJNSM_27transparent_binary_operatorINSA_8equal_toIvEEEENSN_INSM_8argumentILj0EEEEENSM_5valueIxEEEEEEEEEEEE10hipError_tPvRmT3_T4_T5_T6_T7_T9_mT8_P12ihipStream_tbDpT10_ENKUlT_T0_E_clISt17integral_constantIbLb1EES1K_EEDaS1F_S1G_EUlS1F_E_NS1_11comp_targetILNS1_3genE5ELNS1_11target_archE942ELNS1_3gpuE9ELNS1_3repE0EEENS1_30default_config_static_selectorELNS0_4arch9wavefront6targetE0EEEvT1_.num_vgpr, 0
	.set _ZN7rocprim17ROCPRIM_400000_NS6detail17trampoline_kernelINS0_14default_configENS1_25partition_config_selectorILNS1_17partition_subalgoE6ExNS0_10empty_typeEbEEZZNS1_14partition_implILS5_6ELb0ES3_mN6thrust23THRUST_200600_302600_NS6detail15normal_iteratorINSA_10device_ptrIxEEEEPS6_SG_NS0_5tupleIJSF_S6_EEENSH_IJSG_SG_EEES6_PlJNSB_9not_fun_tINSB_10functional5actorINSM_9compositeIJNSM_27transparent_binary_operatorINSA_8equal_toIvEEEENSN_INSM_8argumentILj0EEEEENSM_5valueIxEEEEEEEEEEEE10hipError_tPvRmT3_T4_T5_T6_T7_T9_mT8_P12ihipStream_tbDpT10_ENKUlT_T0_E_clISt17integral_constantIbLb1EES1K_EEDaS1F_S1G_EUlS1F_E_NS1_11comp_targetILNS1_3genE5ELNS1_11target_archE942ELNS1_3gpuE9ELNS1_3repE0EEENS1_30default_config_static_selectorELNS0_4arch9wavefront6targetE0EEEvT1_.num_agpr, 0
	.set _ZN7rocprim17ROCPRIM_400000_NS6detail17trampoline_kernelINS0_14default_configENS1_25partition_config_selectorILNS1_17partition_subalgoE6ExNS0_10empty_typeEbEEZZNS1_14partition_implILS5_6ELb0ES3_mN6thrust23THRUST_200600_302600_NS6detail15normal_iteratorINSA_10device_ptrIxEEEEPS6_SG_NS0_5tupleIJSF_S6_EEENSH_IJSG_SG_EEES6_PlJNSB_9not_fun_tINSB_10functional5actorINSM_9compositeIJNSM_27transparent_binary_operatorINSA_8equal_toIvEEEENSN_INSM_8argumentILj0EEEEENSM_5valueIxEEEEEEEEEEEE10hipError_tPvRmT3_T4_T5_T6_T7_T9_mT8_P12ihipStream_tbDpT10_ENKUlT_T0_E_clISt17integral_constantIbLb1EES1K_EEDaS1F_S1G_EUlS1F_E_NS1_11comp_targetILNS1_3genE5ELNS1_11target_archE942ELNS1_3gpuE9ELNS1_3repE0EEENS1_30default_config_static_selectorELNS0_4arch9wavefront6targetE0EEEvT1_.numbered_sgpr, 0
	.set _ZN7rocprim17ROCPRIM_400000_NS6detail17trampoline_kernelINS0_14default_configENS1_25partition_config_selectorILNS1_17partition_subalgoE6ExNS0_10empty_typeEbEEZZNS1_14partition_implILS5_6ELb0ES3_mN6thrust23THRUST_200600_302600_NS6detail15normal_iteratorINSA_10device_ptrIxEEEEPS6_SG_NS0_5tupleIJSF_S6_EEENSH_IJSG_SG_EEES6_PlJNSB_9not_fun_tINSB_10functional5actorINSM_9compositeIJNSM_27transparent_binary_operatorINSA_8equal_toIvEEEENSN_INSM_8argumentILj0EEEEENSM_5valueIxEEEEEEEEEEEE10hipError_tPvRmT3_T4_T5_T6_T7_T9_mT8_P12ihipStream_tbDpT10_ENKUlT_T0_E_clISt17integral_constantIbLb1EES1K_EEDaS1F_S1G_EUlS1F_E_NS1_11comp_targetILNS1_3genE5ELNS1_11target_archE942ELNS1_3gpuE9ELNS1_3repE0EEENS1_30default_config_static_selectorELNS0_4arch9wavefront6targetE0EEEvT1_.num_named_barrier, 0
	.set _ZN7rocprim17ROCPRIM_400000_NS6detail17trampoline_kernelINS0_14default_configENS1_25partition_config_selectorILNS1_17partition_subalgoE6ExNS0_10empty_typeEbEEZZNS1_14partition_implILS5_6ELb0ES3_mN6thrust23THRUST_200600_302600_NS6detail15normal_iteratorINSA_10device_ptrIxEEEEPS6_SG_NS0_5tupleIJSF_S6_EEENSH_IJSG_SG_EEES6_PlJNSB_9not_fun_tINSB_10functional5actorINSM_9compositeIJNSM_27transparent_binary_operatorINSA_8equal_toIvEEEENSN_INSM_8argumentILj0EEEEENSM_5valueIxEEEEEEEEEEEE10hipError_tPvRmT3_T4_T5_T6_T7_T9_mT8_P12ihipStream_tbDpT10_ENKUlT_T0_E_clISt17integral_constantIbLb1EES1K_EEDaS1F_S1G_EUlS1F_E_NS1_11comp_targetILNS1_3genE5ELNS1_11target_archE942ELNS1_3gpuE9ELNS1_3repE0EEENS1_30default_config_static_selectorELNS0_4arch9wavefront6targetE0EEEvT1_.private_seg_size, 0
	.set _ZN7rocprim17ROCPRIM_400000_NS6detail17trampoline_kernelINS0_14default_configENS1_25partition_config_selectorILNS1_17partition_subalgoE6ExNS0_10empty_typeEbEEZZNS1_14partition_implILS5_6ELb0ES3_mN6thrust23THRUST_200600_302600_NS6detail15normal_iteratorINSA_10device_ptrIxEEEEPS6_SG_NS0_5tupleIJSF_S6_EEENSH_IJSG_SG_EEES6_PlJNSB_9not_fun_tINSB_10functional5actorINSM_9compositeIJNSM_27transparent_binary_operatorINSA_8equal_toIvEEEENSN_INSM_8argumentILj0EEEEENSM_5valueIxEEEEEEEEEEEE10hipError_tPvRmT3_T4_T5_T6_T7_T9_mT8_P12ihipStream_tbDpT10_ENKUlT_T0_E_clISt17integral_constantIbLb1EES1K_EEDaS1F_S1G_EUlS1F_E_NS1_11comp_targetILNS1_3genE5ELNS1_11target_archE942ELNS1_3gpuE9ELNS1_3repE0EEENS1_30default_config_static_selectorELNS0_4arch9wavefront6targetE0EEEvT1_.uses_vcc, 0
	.set _ZN7rocprim17ROCPRIM_400000_NS6detail17trampoline_kernelINS0_14default_configENS1_25partition_config_selectorILNS1_17partition_subalgoE6ExNS0_10empty_typeEbEEZZNS1_14partition_implILS5_6ELb0ES3_mN6thrust23THRUST_200600_302600_NS6detail15normal_iteratorINSA_10device_ptrIxEEEEPS6_SG_NS0_5tupleIJSF_S6_EEENSH_IJSG_SG_EEES6_PlJNSB_9not_fun_tINSB_10functional5actorINSM_9compositeIJNSM_27transparent_binary_operatorINSA_8equal_toIvEEEENSN_INSM_8argumentILj0EEEEENSM_5valueIxEEEEEEEEEEEE10hipError_tPvRmT3_T4_T5_T6_T7_T9_mT8_P12ihipStream_tbDpT10_ENKUlT_T0_E_clISt17integral_constantIbLb1EES1K_EEDaS1F_S1G_EUlS1F_E_NS1_11comp_targetILNS1_3genE5ELNS1_11target_archE942ELNS1_3gpuE9ELNS1_3repE0EEENS1_30default_config_static_selectorELNS0_4arch9wavefront6targetE0EEEvT1_.uses_flat_scratch, 0
	.set _ZN7rocprim17ROCPRIM_400000_NS6detail17trampoline_kernelINS0_14default_configENS1_25partition_config_selectorILNS1_17partition_subalgoE6ExNS0_10empty_typeEbEEZZNS1_14partition_implILS5_6ELb0ES3_mN6thrust23THRUST_200600_302600_NS6detail15normal_iteratorINSA_10device_ptrIxEEEEPS6_SG_NS0_5tupleIJSF_S6_EEENSH_IJSG_SG_EEES6_PlJNSB_9not_fun_tINSB_10functional5actorINSM_9compositeIJNSM_27transparent_binary_operatorINSA_8equal_toIvEEEENSN_INSM_8argumentILj0EEEEENSM_5valueIxEEEEEEEEEEEE10hipError_tPvRmT3_T4_T5_T6_T7_T9_mT8_P12ihipStream_tbDpT10_ENKUlT_T0_E_clISt17integral_constantIbLb1EES1K_EEDaS1F_S1G_EUlS1F_E_NS1_11comp_targetILNS1_3genE5ELNS1_11target_archE942ELNS1_3gpuE9ELNS1_3repE0EEENS1_30default_config_static_selectorELNS0_4arch9wavefront6targetE0EEEvT1_.has_dyn_sized_stack, 0
	.set _ZN7rocprim17ROCPRIM_400000_NS6detail17trampoline_kernelINS0_14default_configENS1_25partition_config_selectorILNS1_17partition_subalgoE6ExNS0_10empty_typeEbEEZZNS1_14partition_implILS5_6ELb0ES3_mN6thrust23THRUST_200600_302600_NS6detail15normal_iteratorINSA_10device_ptrIxEEEEPS6_SG_NS0_5tupleIJSF_S6_EEENSH_IJSG_SG_EEES6_PlJNSB_9not_fun_tINSB_10functional5actorINSM_9compositeIJNSM_27transparent_binary_operatorINSA_8equal_toIvEEEENSN_INSM_8argumentILj0EEEEENSM_5valueIxEEEEEEEEEEEE10hipError_tPvRmT3_T4_T5_T6_T7_T9_mT8_P12ihipStream_tbDpT10_ENKUlT_T0_E_clISt17integral_constantIbLb1EES1K_EEDaS1F_S1G_EUlS1F_E_NS1_11comp_targetILNS1_3genE5ELNS1_11target_archE942ELNS1_3gpuE9ELNS1_3repE0EEENS1_30default_config_static_selectorELNS0_4arch9wavefront6targetE0EEEvT1_.has_recursion, 0
	.set _ZN7rocprim17ROCPRIM_400000_NS6detail17trampoline_kernelINS0_14default_configENS1_25partition_config_selectorILNS1_17partition_subalgoE6ExNS0_10empty_typeEbEEZZNS1_14partition_implILS5_6ELb0ES3_mN6thrust23THRUST_200600_302600_NS6detail15normal_iteratorINSA_10device_ptrIxEEEEPS6_SG_NS0_5tupleIJSF_S6_EEENSH_IJSG_SG_EEES6_PlJNSB_9not_fun_tINSB_10functional5actorINSM_9compositeIJNSM_27transparent_binary_operatorINSA_8equal_toIvEEEENSN_INSM_8argumentILj0EEEEENSM_5valueIxEEEEEEEEEEEE10hipError_tPvRmT3_T4_T5_T6_T7_T9_mT8_P12ihipStream_tbDpT10_ENKUlT_T0_E_clISt17integral_constantIbLb1EES1K_EEDaS1F_S1G_EUlS1F_E_NS1_11comp_targetILNS1_3genE5ELNS1_11target_archE942ELNS1_3gpuE9ELNS1_3repE0EEENS1_30default_config_static_selectorELNS0_4arch9wavefront6targetE0EEEvT1_.has_indirect_call, 0
	.section	.AMDGPU.csdata,"",@progbits
; Kernel info:
; codeLenInByte = 0
; TotalNumSgprs: 0
; NumVgprs: 0
; ScratchSize: 0
; MemoryBound: 0
; FloatMode: 240
; IeeeMode: 1
; LDSByteSize: 0 bytes/workgroup (compile time only)
; SGPRBlocks: 0
; VGPRBlocks: 0
; NumSGPRsForWavesPerEU: 1
; NumVGPRsForWavesPerEU: 1
; Occupancy: 16
; WaveLimiterHint : 0
; COMPUTE_PGM_RSRC2:SCRATCH_EN: 0
; COMPUTE_PGM_RSRC2:USER_SGPR: 2
; COMPUTE_PGM_RSRC2:TRAP_HANDLER: 0
; COMPUTE_PGM_RSRC2:TGID_X_EN: 1
; COMPUTE_PGM_RSRC2:TGID_Y_EN: 0
; COMPUTE_PGM_RSRC2:TGID_Z_EN: 0
; COMPUTE_PGM_RSRC2:TIDIG_COMP_CNT: 0
	.section	.text._ZN7rocprim17ROCPRIM_400000_NS6detail17trampoline_kernelINS0_14default_configENS1_25partition_config_selectorILNS1_17partition_subalgoE6ExNS0_10empty_typeEbEEZZNS1_14partition_implILS5_6ELb0ES3_mN6thrust23THRUST_200600_302600_NS6detail15normal_iteratorINSA_10device_ptrIxEEEEPS6_SG_NS0_5tupleIJSF_S6_EEENSH_IJSG_SG_EEES6_PlJNSB_9not_fun_tINSB_10functional5actorINSM_9compositeIJNSM_27transparent_binary_operatorINSA_8equal_toIvEEEENSN_INSM_8argumentILj0EEEEENSM_5valueIxEEEEEEEEEEEE10hipError_tPvRmT3_T4_T5_T6_T7_T9_mT8_P12ihipStream_tbDpT10_ENKUlT_T0_E_clISt17integral_constantIbLb1EES1K_EEDaS1F_S1G_EUlS1F_E_NS1_11comp_targetILNS1_3genE4ELNS1_11target_archE910ELNS1_3gpuE8ELNS1_3repE0EEENS1_30default_config_static_selectorELNS0_4arch9wavefront6targetE0EEEvT1_,"axG",@progbits,_ZN7rocprim17ROCPRIM_400000_NS6detail17trampoline_kernelINS0_14default_configENS1_25partition_config_selectorILNS1_17partition_subalgoE6ExNS0_10empty_typeEbEEZZNS1_14partition_implILS5_6ELb0ES3_mN6thrust23THRUST_200600_302600_NS6detail15normal_iteratorINSA_10device_ptrIxEEEEPS6_SG_NS0_5tupleIJSF_S6_EEENSH_IJSG_SG_EEES6_PlJNSB_9not_fun_tINSB_10functional5actorINSM_9compositeIJNSM_27transparent_binary_operatorINSA_8equal_toIvEEEENSN_INSM_8argumentILj0EEEEENSM_5valueIxEEEEEEEEEEEE10hipError_tPvRmT3_T4_T5_T6_T7_T9_mT8_P12ihipStream_tbDpT10_ENKUlT_T0_E_clISt17integral_constantIbLb1EES1K_EEDaS1F_S1G_EUlS1F_E_NS1_11comp_targetILNS1_3genE4ELNS1_11target_archE910ELNS1_3gpuE8ELNS1_3repE0EEENS1_30default_config_static_selectorELNS0_4arch9wavefront6targetE0EEEvT1_,comdat
	.protected	_ZN7rocprim17ROCPRIM_400000_NS6detail17trampoline_kernelINS0_14default_configENS1_25partition_config_selectorILNS1_17partition_subalgoE6ExNS0_10empty_typeEbEEZZNS1_14partition_implILS5_6ELb0ES3_mN6thrust23THRUST_200600_302600_NS6detail15normal_iteratorINSA_10device_ptrIxEEEEPS6_SG_NS0_5tupleIJSF_S6_EEENSH_IJSG_SG_EEES6_PlJNSB_9not_fun_tINSB_10functional5actorINSM_9compositeIJNSM_27transparent_binary_operatorINSA_8equal_toIvEEEENSN_INSM_8argumentILj0EEEEENSM_5valueIxEEEEEEEEEEEE10hipError_tPvRmT3_T4_T5_T6_T7_T9_mT8_P12ihipStream_tbDpT10_ENKUlT_T0_E_clISt17integral_constantIbLb1EES1K_EEDaS1F_S1G_EUlS1F_E_NS1_11comp_targetILNS1_3genE4ELNS1_11target_archE910ELNS1_3gpuE8ELNS1_3repE0EEENS1_30default_config_static_selectorELNS0_4arch9wavefront6targetE0EEEvT1_ ; -- Begin function _ZN7rocprim17ROCPRIM_400000_NS6detail17trampoline_kernelINS0_14default_configENS1_25partition_config_selectorILNS1_17partition_subalgoE6ExNS0_10empty_typeEbEEZZNS1_14partition_implILS5_6ELb0ES3_mN6thrust23THRUST_200600_302600_NS6detail15normal_iteratorINSA_10device_ptrIxEEEEPS6_SG_NS0_5tupleIJSF_S6_EEENSH_IJSG_SG_EEES6_PlJNSB_9not_fun_tINSB_10functional5actorINSM_9compositeIJNSM_27transparent_binary_operatorINSA_8equal_toIvEEEENSN_INSM_8argumentILj0EEEEENSM_5valueIxEEEEEEEEEEEE10hipError_tPvRmT3_T4_T5_T6_T7_T9_mT8_P12ihipStream_tbDpT10_ENKUlT_T0_E_clISt17integral_constantIbLb1EES1K_EEDaS1F_S1G_EUlS1F_E_NS1_11comp_targetILNS1_3genE4ELNS1_11target_archE910ELNS1_3gpuE8ELNS1_3repE0EEENS1_30default_config_static_selectorELNS0_4arch9wavefront6targetE0EEEvT1_
	.globl	_ZN7rocprim17ROCPRIM_400000_NS6detail17trampoline_kernelINS0_14default_configENS1_25partition_config_selectorILNS1_17partition_subalgoE6ExNS0_10empty_typeEbEEZZNS1_14partition_implILS5_6ELb0ES3_mN6thrust23THRUST_200600_302600_NS6detail15normal_iteratorINSA_10device_ptrIxEEEEPS6_SG_NS0_5tupleIJSF_S6_EEENSH_IJSG_SG_EEES6_PlJNSB_9not_fun_tINSB_10functional5actorINSM_9compositeIJNSM_27transparent_binary_operatorINSA_8equal_toIvEEEENSN_INSM_8argumentILj0EEEEENSM_5valueIxEEEEEEEEEEEE10hipError_tPvRmT3_T4_T5_T6_T7_T9_mT8_P12ihipStream_tbDpT10_ENKUlT_T0_E_clISt17integral_constantIbLb1EES1K_EEDaS1F_S1G_EUlS1F_E_NS1_11comp_targetILNS1_3genE4ELNS1_11target_archE910ELNS1_3gpuE8ELNS1_3repE0EEENS1_30default_config_static_selectorELNS0_4arch9wavefront6targetE0EEEvT1_
	.p2align	8
	.type	_ZN7rocprim17ROCPRIM_400000_NS6detail17trampoline_kernelINS0_14default_configENS1_25partition_config_selectorILNS1_17partition_subalgoE6ExNS0_10empty_typeEbEEZZNS1_14partition_implILS5_6ELb0ES3_mN6thrust23THRUST_200600_302600_NS6detail15normal_iteratorINSA_10device_ptrIxEEEEPS6_SG_NS0_5tupleIJSF_S6_EEENSH_IJSG_SG_EEES6_PlJNSB_9not_fun_tINSB_10functional5actorINSM_9compositeIJNSM_27transparent_binary_operatorINSA_8equal_toIvEEEENSN_INSM_8argumentILj0EEEEENSM_5valueIxEEEEEEEEEEEE10hipError_tPvRmT3_T4_T5_T6_T7_T9_mT8_P12ihipStream_tbDpT10_ENKUlT_T0_E_clISt17integral_constantIbLb1EES1K_EEDaS1F_S1G_EUlS1F_E_NS1_11comp_targetILNS1_3genE4ELNS1_11target_archE910ELNS1_3gpuE8ELNS1_3repE0EEENS1_30default_config_static_selectorELNS0_4arch9wavefront6targetE0EEEvT1_,@function
_ZN7rocprim17ROCPRIM_400000_NS6detail17trampoline_kernelINS0_14default_configENS1_25partition_config_selectorILNS1_17partition_subalgoE6ExNS0_10empty_typeEbEEZZNS1_14partition_implILS5_6ELb0ES3_mN6thrust23THRUST_200600_302600_NS6detail15normal_iteratorINSA_10device_ptrIxEEEEPS6_SG_NS0_5tupleIJSF_S6_EEENSH_IJSG_SG_EEES6_PlJNSB_9not_fun_tINSB_10functional5actorINSM_9compositeIJNSM_27transparent_binary_operatorINSA_8equal_toIvEEEENSN_INSM_8argumentILj0EEEEENSM_5valueIxEEEEEEEEEEEE10hipError_tPvRmT3_T4_T5_T6_T7_T9_mT8_P12ihipStream_tbDpT10_ENKUlT_T0_E_clISt17integral_constantIbLb1EES1K_EEDaS1F_S1G_EUlS1F_E_NS1_11comp_targetILNS1_3genE4ELNS1_11target_archE910ELNS1_3gpuE8ELNS1_3repE0EEENS1_30default_config_static_selectorELNS0_4arch9wavefront6targetE0EEEvT1_: ; @_ZN7rocprim17ROCPRIM_400000_NS6detail17trampoline_kernelINS0_14default_configENS1_25partition_config_selectorILNS1_17partition_subalgoE6ExNS0_10empty_typeEbEEZZNS1_14partition_implILS5_6ELb0ES3_mN6thrust23THRUST_200600_302600_NS6detail15normal_iteratorINSA_10device_ptrIxEEEEPS6_SG_NS0_5tupleIJSF_S6_EEENSH_IJSG_SG_EEES6_PlJNSB_9not_fun_tINSB_10functional5actorINSM_9compositeIJNSM_27transparent_binary_operatorINSA_8equal_toIvEEEENSN_INSM_8argumentILj0EEEEENSM_5valueIxEEEEEEEEEEEE10hipError_tPvRmT3_T4_T5_T6_T7_T9_mT8_P12ihipStream_tbDpT10_ENKUlT_T0_E_clISt17integral_constantIbLb1EES1K_EEDaS1F_S1G_EUlS1F_E_NS1_11comp_targetILNS1_3genE4ELNS1_11target_archE910ELNS1_3gpuE8ELNS1_3repE0EEENS1_30default_config_static_selectorELNS0_4arch9wavefront6targetE0EEEvT1_
; %bb.0:
	.section	.rodata,"a",@progbits
	.p2align	6, 0x0
	.amdhsa_kernel _ZN7rocprim17ROCPRIM_400000_NS6detail17trampoline_kernelINS0_14default_configENS1_25partition_config_selectorILNS1_17partition_subalgoE6ExNS0_10empty_typeEbEEZZNS1_14partition_implILS5_6ELb0ES3_mN6thrust23THRUST_200600_302600_NS6detail15normal_iteratorINSA_10device_ptrIxEEEEPS6_SG_NS0_5tupleIJSF_S6_EEENSH_IJSG_SG_EEES6_PlJNSB_9not_fun_tINSB_10functional5actorINSM_9compositeIJNSM_27transparent_binary_operatorINSA_8equal_toIvEEEENSN_INSM_8argumentILj0EEEEENSM_5valueIxEEEEEEEEEEEE10hipError_tPvRmT3_T4_T5_T6_T7_T9_mT8_P12ihipStream_tbDpT10_ENKUlT_T0_E_clISt17integral_constantIbLb1EES1K_EEDaS1F_S1G_EUlS1F_E_NS1_11comp_targetILNS1_3genE4ELNS1_11target_archE910ELNS1_3gpuE8ELNS1_3repE0EEENS1_30default_config_static_selectorELNS0_4arch9wavefront6targetE0EEEvT1_
		.amdhsa_group_segment_fixed_size 0
		.amdhsa_private_segment_fixed_size 0
		.amdhsa_kernarg_size 136
		.amdhsa_user_sgpr_count 2
		.amdhsa_user_sgpr_dispatch_ptr 0
		.amdhsa_user_sgpr_queue_ptr 0
		.amdhsa_user_sgpr_kernarg_segment_ptr 1
		.amdhsa_user_sgpr_dispatch_id 0
		.amdhsa_user_sgpr_private_segment_size 0
		.amdhsa_wavefront_size32 1
		.amdhsa_uses_dynamic_stack 0
		.amdhsa_enable_private_segment 0
		.amdhsa_system_sgpr_workgroup_id_x 1
		.amdhsa_system_sgpr_workgroup_id_y 0
		.amdhsa_system_sgpr_workgroup_id_z 0
		.amdhsa_system_sgpr_workgroup_info 0
		.amdhsa_system_vgpr_workitem_id 0
		.amdhsa_next_free_vgpr 1
		.amdhsa_next_free_sgpr 1
		.amdhsa_reserve_vcc 0
		.amdhsa_float_round_mode_32 0
		.amdhsa_float_round_mode_16_64 0
		.amdhsa_float_denorm_mode_32 3
		.amdhsa_float_denorm_mode_16_64 3
		.amdhsa_fp16_overflow 0
		.amdhsa_workgroup_processor_mode 1
		.amdhsa_memory_ordered 1
		.amdhsa_forward_progress 1
		.amdhsa_inst_pref_size 0
		.amdhsa_round_robin_scheduling 0
		.amdhsa_exception_fp_ieee_invalid_op 0
		.amdhsa_exception_fp_denorm_src 0
		.amdhsa_exception_fp_ieee_div_zero 0
		.amdhsa_exception_fp_ieee_overflow 0
		.amdhsa_exception_fp_ieee_underflow 0
		.amdhsa_exception_fp_ieee_inexact 0
		.amdhsa_exception_int_div_zero 0
	.end_amdhsa_kernel
	.section	.text._ZN7rocprim17ROCPRIM_400000_NS6detail17trampoline_kernelINS0_14default_configENS1_25partition_config_selectorILNS1_17partition_subalgoE6ExNS0_10empty_typeEbEEZZNS1_14partition_implILS5_6ELb0ES3_mN6thrust23THRUST_200600_302600_NS6detail15normal_iteratorINSA_10device_ptrIxEEEEPS6_SG_NS0_5tupleIJSF_S6_EEENSH_IJSG_SG_EEES6_PlJNSB_9not_fun_tINSB_10functional5actorINSM_9compositeIJNSM_27transparent_binary_operatorINSA_8equal_toIvEEEENSN_INSM_8argumentILj0EEEEENSM_5valueIxEEEEEEEEEEEE10hipError_tPvRmT3_T4_T5_T6_T7_T9_mT8_P12ihipStream_tbDpT10_ENKUlT_T0_E_clISt17integral_constantIbLb1EES1K_EEDaS1F_S1G_EUlS1F_E_NS1_11comp_targetILNS1_3genE4ELNS1_11target_archE910ELNS1_3gpuE8ELNS1_3repE0EEENS1_30default_config_static_selectorELNS0_4arch9wavefront6targetE0EEEvT1_,"axG",@progbits,_ZN7rocprim17ROCPRIM_400000_NS6detail17trampoline_kernelINS0_14default_configENS1_25partition_config_selectorILNS1_17partition_subalgoE6ExNS0_10empty_typeEbEEZZNS1_14partition_implILS5_6ELb0ES3_mN6thrust23THRUST_200600_302600_NS6detail15normal_iteratorINSA_10device_ptrIxEEEEPS6_SG_NS0_5tupleIJSF_S6_EEENSH_IJSG_SG_EEES6_PlJNSB_9not_fun_tINSB_10functional5actorINSM_9compositeIJNSM_27transparent_binary_operatorINSA_8equal_toIvEEEENSN_INSM_8argumentILj0EEEEENSM_5valueIxEEEEEEEEEEEE10hipError_tPvRmT3_T4_T5_T6_T7_T9_mT8_P12ihipStream_tbDpT10_ENKUlT_T0_E_clISt17integral_constantIbLb1EES1K_EEDaS1F_S1G_EUlS1F_E_NS1_11comp_targetILNS1_3genE4ELNS1_11target_archE910ELNS1_3gpuE8ELNS1_3repE0EEENS1_30default_config_static_selectorELNS0_4arch9wavefront6targetE0EEEvT1_,comdat
.Lfunc_end189:
	.size	_ZN7rocprim17ROCPRIM_400000_NS6detail17trampoline_kernelINS0_14default_configENS1_25partition_config_selectorILNS1_17partition_subalgoE6ExNS0_10empty_typeEbEEZZNS1_14partition_implILS5_6ELb0ES3_mN6thrust23THRUST_200600_302600_NS6detail15normal_iteratorINSA_10device_ptrIxEEEEPS6_SG_NS0_5tupleIJSF_S6_EEENSH_IJSG_SG_EEES6_PlJNSB_9not_fun_tINSB_10functional5actorINSM_9compositeIJNSM_27transparent_binary_operatorINSA_8equal_toIvEEEENSN_INSM_8argumentILj0EEEEENSM_5valueIxEEEEEEEEEEEE10hipError_tPvRmT3_T4_T5_T6_T7_T9_mT8_P12ihipStream_tbDpT10_ENKUlT_T0_E_clISt17integral_constantIbLb1EES1K_EEDaS1F_S1G_EUlS1F_E_NS1_11comp_targetILNS1_3genE4ELNS1_11target_archE910ELNS1_3gpuE8ELNS1_3repE0EEENS1_30default_config_static_selectorELNS0_4arch9wavefront6targetE0EEEvT1_, .Lfunc_end189-_ZN7rocprim17ROCPRIM_400000_NS6detail17trampoline_kernelINS0_14default_configENS1_25partition_config_selectorILNS1_17partition_subalgoE6ExNS0_10empty_typeEbEEZZNS1_14partition_implILS5_6ELb0ES3_mN6thrust23THRUST_200600_302600_NS6detail15normal_iteratorINSA_10device_ptrIxEEEEPS6_SG_NS0_5tupleIJSF_S6_EEENSH_IJSG_SG_EEES6_PlJNSB_9not_fun_tINSB_10functional5actorINSM_9compositeIJNSM_27transparent_binary_operatorINSA_8equal_toIvEEEENSN_INSM_8argumentILj0EEEEENSM_5valueIxEEEEEEEEEEEE10hipError_tPvRmT3_T4_T5_T6_T7_T9_mT8_P12ihipStream_tbDpT10_ENKUlT_T0_E_clISt17integral_constantIbLb1EES1K_EEDaS1F_S1G_EUlS1F_E_NS1_11comp_targetILNS1_3genE4ELNS1_11target_archE910ELNS1_3gpuE8ELNS1_3repE0EEENS1_30default_config_static_selectorELNS0_4arch9wavefront6targetE0EEEvT1_
                                        ; -- End function
	.set _ZN7rocprim17ROCPRIM_400000_NS6detail17trampoline_kernelINS0_14default_configENS1_25partition_config_selectorILNS1_17partition_subalgoE6ExNS0_10empty_typeEbEEZZNS1_14partition_implILS5_6ELb0ES3_mN6thrust23THRUST_200600_302600_NS6detail15normal_iteratorINSA_10device_ptrIxEEEEPS6_SG_NS0_5tupleIJSF_S6_EEENSH_IJSG_SG_EEES6_PlJNSB_9not_fun_tINSB_10functional5actorINSM_9compositeIJNSM_27transparent_binary_operatorINSA_8equal_toIvEEEENSN_INSM_8argumentILj0EEEEENSM_5valueIxEEEEEEEEEEEE10hipError_tPvRmT3_T4_T5_T6_T7_T9_mT8_P12ihipStream_tbDpT10_ENKUlT_T0_E_clISt17integral_constantIbLb1EES1K_EEDaS1F_S1G_EUlS1F_E_NS1_11comp_targetILNS1_3genE4ELNS1_11target_archE910ELNS1_3gpuE8ELNS1_3repE0EEENS1_30default_config_static_selectorELNS0_4arch9wavefront6targetE0EEEvT1_.num_vgpr, 0
	.set _ZN7rocprim17ROCPRIM_400000_NS6detail17trampoline_kernelINS0_14default_configENS1_25partition_config_selectorILNS1_17partition_subalgoE6ExNS0_10empty_typeEbEEZZNS1_14partition_implILS5_6ELb0ES3_mN6thrust23THRUST_200600_302600_NS6detail15normal_iteratorINSA_10device_ptrIxEEEEPS6_SG_NS0_5tupleIJSF_S6_EEENSH_IJSG_SG_EEES6_PlJNSB_9not_fun_tINSB_10functional5actorINSM_9compositeIJNSM_27transparent_binary_operatorINSA_8equal_toIvEEEENSN_INSM_8argumentILj0EEEEENSM_5valueIxEEEEEEEEEEEE10hipError_tPvRmT3_T4_T5_T6_T7_T9_mT8_P12ihipStream_tbDpT10_ENKUlT_T0_E_clISt17integral_constantIbLb1EES1K_EEDaS1F_S1G_EUlS1F_E_NS1_11comp_targetILNS1_3genE4ELNS1_11target_archE910ELNS1_3gpuE8ELNS1_3repE0EEENS1_30default_config_static_selectorELNS0_4arch9wavefront6targetE0EEEvT1_.num_agpr, 0
	.set _ZN7rocprim17ROCPRIM_400000_NS6detail17trampoline_kernelINS0_14default_configENS1_25partition_config_selectorILNS1_17partition_subalgoE6ExNS0_10empty_typeEbEEZZNS1_14partition_implILS5_6ELb0ES3_mN6thrust23THRUST_200600_302600_NS6detail15normal_iteratorINSA_10device_ptrIxEEEEPS6_SG_NS0_5tupleIJSF_S6_EEENSH_IJSG_SG_EEES6_PlJNSB_9not_fun_tINSB_10functional5actorINSM_9compositeIJNSM_27transparent_binary_operatorINSA_8equal_toIvEEEENSN_INSM_8argumentILj0EEEEENSM_5valueIxEEEEEEEEEEEE10hipError_tPvRmT3_T4_T5_T6_T7_T9_mT8_P12ihipStream_tbDpT10_ENKUlT_T0_E_clISt17integral_constantIbLb1EES1K_EEDaS1F_S1G_EUlS1F_E_NS1_11comp_targetILNS1_3genE4ELNS1_11target_archE910ELNS1_3gpuE8ELNS1_3repE0EEENS1_30default_config_static_selectorELNS0_4arch9wavefront6targetE0EEEvT1_.numbered_sgpr, 0
	.set _ZN7rocprim17ROCPRIM_400000_NS6detail17trampoline_kernelINS0_14default_configENS1_25partition_config_selectorILNS1_17partition_subalgoE6ExNS0_10empty_typeEbEEZZNS1_14partition_implILS5_6ELb0ES3_mN6thrust23THRUST_200600_302600_NS6detail15normal_iteratorINSA_10device_ptrIxEEEEPS6_SG_NS0_5tupleIJSF_S6_EEENSH_IJSG_SG_EEES6_PlJNSB_9not_fun_tINSB_10functional5actorINSM_9compositeIJNSM_27transparent_binary_operatorINSA_8equal_toIvEEEENSN_INSM_8argumentILj0EEEEENSM_5valueIxEEEEEEEEEEEE10hipError_tPvRmT3_T4_T5_T6_T7_T9_mT8_P12ihipStream_tbDpT10_ENKUlT_T0_E_clISt17integral_constantIbLb1EES1K_EEDaS1F_S1G_EUlS1F_E_NS1_11comp_targetILNS1_3genE4ELNS1_11target_archE910ELNS1_3gpuE8ELNS1_3repE0EEENS1_30default_config_static_selectorELNS0_4arch9wavefront6targetE0EEEvT1_.num_named_barrier, 0
	.set _ZN7rocprim17ROCPRIM_400000_NS6detail17trampoline_kernelINS0_14default_configENS1_25partition_config_selectorILNS1_17partition_subalgoE6ExNS0_10empty_typeEbEEZZNS1_14partition_implILS5_6ELb0ES3_mN6thrust23THRUST_200600_302600_NS6detail15normal_iteratorINSA_10device_ptrIxEEEEPS6_SG_NS0_5tupleIJSF_S6_EEENSH_IJSG_SG_EEES6_PlJNSB_9not_fun_tINSB_10functional5actorINSM_9compositeIJNSM_27transparent_binary_operatorINSA_8equal_toIvEEEENSN_INSM_8argumentILj0EEEEENSM_5valueIxEEEEEEEEEEEE10hipError_tPvRmT3_T4_T5_T6_T7_T9_mT8_P12ihipStream_tbDpT10_ENKUlT_T0_E_clISt17integral_constantIbLb1EES1K_EEDaS1F_S1G_EUlS1F_E_NS1_11comp_targetILNS1_3genE4ELNS1_11target_archE910ELNS1_3gpuE8ELNS1_3repE0EEENS1_30default_config_static_selectorELNS0_4arch9wavefront6targetE0EEEvT1_.private_seg_size, 0
	.set _ZN7rocprim17ROCPRIM_400000_NS6detail17trampoline_kernelINS0_14default_configENS1_25partition_config_selectorILNS1_17partition_subalgoE6ExNS0_10empty_typeEbEEZZNS1_14partition_implILS5_6ELb0ES3_mN6thrust23THRUST_200600_302600_NS6detail15normal_iteratorINSA_10device_ptrIxEEEEPS6_SG_NS0_5tupleIJSF_S6_EEENSH_IJSG_SG_EEES6_PlJNSB_9not_fun_tINSB_10functional5actorINSM_9compositeIJNSM_27transparent_binary_operatorINSA_8equal_toIvEEEENSN_INSM_8argumentILj0EEEEENSM_5valueIxEEEEEEEEEEEE10hipError_tPvRmT3_T4_T5_T6_T7_T9_mT8_P12ihipStream_tbDpT10_ENKUlT_T0_E_clISt17integral_constantIbLb1EES1K_EEDaS1F_S1G_EUlS1F_E_NS1_11comp_targetILNS1_3genE4ELNS1_11target_archE910ELNS1_3gpuE8ELNS1_3repE0EEENS1_30default_config_static_selectorELNS0_4arch9wavefront6targetE0EEEvT1_.uses_vcc, 0
	.set _ZN7rocprim17ROCPRIM_400000_NS6detail17trampoline_kernelINS0_14default_configENS1_25partition_config_selectorILNS1_17partition_subalgoE6ExNS0_10empty_typeEbEEZZNS1_14partition_implILS5_6ELb0ES3_mN6thrust23THRUST_200600_302600_NS6detail15normal_iteratorINSA_10device_ptrIxEEEEPS6_SG_NS0_5tupleIJSF_S6_EEENSH_IJSG_SG_EEES6_PlJNSB_9not_fun_tINSB_10functional5actorINSM_9compositeIJNSM_27transparent_binary_operatorINSA_8equal_toIvEEEENSN_INSM_8argumentILj0EEEEENSM_5valueIxEEEEEEEEEEEE10hipError_tPvRmT3_T4_T5_T6_T7_T9_mT8_P12ihipStream_tbDpT10_ENKUlT_T0_E_clISt17integral_constantIbLb1EES1K_EEDaS1F_S1G_EUlS1F_E_NS1_11comp_targetILNS1_3genE4ELNS1_11target_archE910ELNS1_3gpuE8ELNS1_3repE0EEENS1_30default_config_static_selectorELNS0_4arch9wavefront6targetE0EEEvT1_.uses_flat_scratch, 0
	.set _ZN7rocprim17ROCPRIM_400000_NS6detail17trampoline_kernelINS0_14default_configENS1_25partition_config_selectorILNS1_17partition_subalgoE6ExNS0_10empty_typeEbEEZZNS1_14partition_implILS5_6ELb0ES3_mN6thrust23THRUST_200600_302600_NS6detail15normal_iteratorINSA_10device_ptrIxEEEEPS6_SG_NS0_5tupleIJSF_S6_EEENSH_IJSG_SG_EEES6_PlJNSB_9not_fun_tINSB_10functional5actorINSM_9compositeIJNSM_27transparent_binary_operatorINSA_8equal_toIvEEEENSN_INSM_8argumentILj0EEEEENSM_5valueIxEEEEEEEEEEEE10hipError_tPvRmT3_T4_T5_T6_T7_T9_mT8_P12ihipStream_tbDpT10_ENKUlT_T0_E_clISt17integral_constantIbLb1EES1K_EEDaS1F_S1G_EUlS1F_E_NS1_11comp_targetILNS1_3genE4ELNS1_11target_archE910ELNS1_3gpuE8ELNS1_3repE0EEENS1_30default_config_static_selectorELNS0_4arch9wavefront6targetE0EEEvT1_.has_dyn_sized_stack, 0
	.set _ZN7rocprim17ROCPRIM_400000_NS6detail17trampoline_kernelINS0_14default_configENS1_25partition_config_selectorILNS1_17partition_subalgoE6ExNS0_10empty_typeEbEEZZNS1_14partition_implILS5_6ELb0ES3_mN6thrust23THRUST_200600_302600_NS6detail15normal_iteratorINSA_10device_ptrIxEEEEPS6_SG_NS0_5tupleIJSF_S6_EEENSH_IJSG_SG_EEES6_PlJNSB_9not_fun_tINSB_10functional5actorINSM_9compositeIJNSM_27transparent_binary_operatorINSA_8equal_toIvEEEENSN_INSM_8argumentILj0EEEEENSM_5valueIxEEEEEEEEEEEE10hipError_tPvRmT3_T4_T5_T6_T7_T9_mT8_P12ihipStream_tbDpT10_ENKUlT_T0_E_clISt17integral_constantIbLb1EES1K_EEDaS1F_S1G_EUlS1F_E_NS1_11comp_targetILNS1_3genE4ELNS1_11target_archE910ELNS1_3gpuE8ELNS1_3repE0EEENS1_30default_config_static_selectorELNS0_4arch9wavefront6targetE0EEEvT1_.has_recursion, 0
	.set _ZN7rocprim17ROCPRIM_400000_NS6detail17trampoline_kernelINS0_14default_configENS1_25partition_config_selectorILNS1_17partition_subalgoE6ExNS0_10empty_typeEbEEZZNS1_14partition_implILS5_6ELb0ES3_mN6thrust23THRUST_200600_302600_NS6detail15normal_iteratorINSA_10device_ptrIxEEEEPS6_SG_NS0_5tupleIJSF_S6_EEENSH_IJSG_SG_EEES6_PlJNSB_9not_fun_tINSB_10functional5actorINSM_9compositeIJNSM_27transparent_binary_operatorINSA_8equal_toIvEEEENSN_INSM_8argumentILj0EEEEENSM_5valueIxEEEEEEEEEEEE10hipError_tPvRmT3_T4_T5_T6_T7_T9_mT8_P12ihipStream_tbDpT10_ENKUlT_T0_E_clISt17integral_constantIbLb1EES1K_EEDaS1F_S1G_EUlS1F_E_NS1_11comp_targetILNS1_3genE4ELNS1_11target_archE910ELNS1_3gpuE8ELNS1_3repE0EEENS1_30default_config_static_selectorELNS0_4arch9wavefront6targetE0EEEvT1_.has_indirect_call, 0
	.section	.AMDGPU.csdata,"",@progbits
; Kernel info:
; codeLenInByte = 0
; TotalNumSgprs: 0
; NumVgprs: 0
; ScratchSize: 0
; MemoryBound: 0
; FloatMode: 240
; IeeeMode: 1
; LDSByteSize: 0 bytes/workgroup (compile time only)
; SGPRBlocks: 0
; VGPRBlocks: 0
; NumSGPRsForWavesPerEU: 1
; NumVGPRsForWavesPerEU: 1
; Occupancy: 16
; WaveLimiterHint : 0
; COMPUTE_PGM_RSRC2:SCRATCH_EN: 0
; COMPUTE_PGM_RSRC2:USER_SGPR: 2
; COMPUTE_PGM_RSRC2:TRAP_HANDLER: 0
; COMPUTE_PGM_RSRC2:TGID_X_EN: 1
; COMPUTE_PGM_RSRC2:TGID_Y_EN: 0
; COMPUTE_PGM_RSRC2:TGID_Z_EN: 0
; COMPUTE_PGM_RSRC2:TIDIG_COMP_CNT: 0
	.section	.text._ZN7rocprim17ROCPRIM_400000_NS6detail17trampoline_kernelINS0_14default_configENS1_25partition_config_selectorILNS1_17partition_subalgoE6ExNS0_10empty_typeEbEEZZNS1_14partition_implILS5_6ELb0ES3_mN6thrust23THRUST_200600_302600_NS6detail15normal_iteratorINSA_10device_ptrIxEEEEPS6_SG_NS0_5tupleIJSF_S6_EEENSH_IJSG_SG_EEES6_PlJNSB_9not_fun_tINSB_10functional5actorINSM_9compositeIJNSM_27transparent_binary_operatorINSA_8equal_toIvEEEENSN_INSM_8argumentILj0EEEEENSM_5valueIxEEEEEEEEEEEE10hipError_tPvRmT3_T4_T5_T6_T7_T9_mT8_P12ihipStream_tbDpT10_ENKUlT_T0_E_clISt17integral_constantIbLb1EES1K_EEDaS1F_S1G_EUlS1F_E_NS1_11comp_targetILNS1_3genE3ELNS1_11target_archE908ELNS1_3gpuE7ELNS1_3repE0EEENS1_30default_config_static_selectorELNS0_4arch9wavefront6targetE0EEEvT1_,"axG",@progbits,_ZN7rocprim17ROCPRIM_400000_NS6detail17trampoline_kernelINS0_14default_configENS1_25partition_config_selectorILNS1_17partition_subalgoE6ExNS0_10empty_typeEbEEZZNS1_14partition_implILS5_6ELb0ES3_mN6thrust23THRUST_200600_302600_NS6detail15normal_iteratorINSA_10device_ptrIxEEEEPS6_SG_NS0_5tupleIJSF_S6_EEENSH_IJSG_SG_EEES6_PlJNSB_9not_fun_tINSB_10functional5actorINSM_9compositeIJNSM_27transparent_binary_operatorINSA_8equal_toIvEEEENSN_INSM_8argumentILj0EEEEENSM_5valueIxEEEEEEEEEEEE10hipError_tPvRmT3_T4_T5_T6_T7_T9_mT8_P12ihipStream_tbDpT10_ENKUlT_T0_E_clISt17integral_constantIbLb1EES1K_EEDaS1F_S1G_EUlS1F_E_NS1_11comp_targetILNS1_3genE3ELNS1_11target_archE908ELNS1_3gpuE7ELNS1_3repE0EEENS1_30default_config_static_selectorELNS0_4arch9wavefront6targetE0EEEvT1_,comdat
	.protected	_ZN7rocprim17ROCPRIM_400000_NS6detail17trampoline_kernelINS0_14default_configENS1_25partition_config_selectorILNS1_17partition_subalgoE6ExNS0_10empty_typeEbEEZZNS1_14partition_implILS5_6ELb0ES3_mN6thrust23THRUST_200600_302600_NS6detail15normal_iteratorINSA_10device_ptrIxEEEEPS6_SG_NS0_5tupleIJSF_S6_EEENSH_IJSG_SG_EEES6_PlJNSB_9not_fun_tINSB_10functional5actorINSM_9compositeIJNSM_27transparent_binary_operatorINSA_8equal_toIvEEEENSN_INSM_8argumentILj0EEEEENSM_5valueIxEEEEEEEEEEEE10hipError_tPvRmT3_T4_T5_T6_T7_T9_mT8_P12ihipStream_tbDpT10_ENKUlT_T0_E_clISt17integral_constantIbLb1EES1K_EEDaS1F_S1G_EUlS1F_E_NS1_11comp_targetILNS1_3genE3ELNS1_11target_archE908ELNS1_3gpuE7ELNS1_3repE0EEENS1_30default_config_static_selectorELNS0_4arch9wavefront6targetE0EEEvT1_ ; -- Begin function _ZN7rocprim17ROCPRIM_400000_NS6detail17trampoline_kernelINS0_14default_configENS1_25partition_config_selectorILNS1_17partition_subalgoE6ExNS0_10empty_typeEbEEZZNS1_14partition_implILS5_6ELb0ES3_mN6thrust23THRUST_200600_302600_NS6detail15normal_iteratorINSA_10device_ptrIxEEEEPS6_SG_NS0_5tupleIJSF_S6_EEENSH_IJSG_SG_EEES6_PlJNSB_9not_fun_tINSB_10functional5actorINSM_9compositeIJNSM_27transparent_binary_operatorINSA_8equal_toIvEEEENSN_INSM_8argumentILj0EEEEENSM_5valueIxEEEEEEEEEEEE10hipError_tPvRmT3_T4_T5_T6_T7_T9_mT8_P12ihipStream_tbDpT10_ENKUlT_T0_E_clISt17integral_constantIbLb1EES1K_EEDaS1F_S1G_EUlS1F_E_NS1_11comp_targetILNS1_3genE3ELNS1_11target_archE908ELNS1_3gpuE7ELNS1_3repE0EEENS1_30default_config_static_selectorELNS0_4arch9wavefront6targetE0EEEvT1_
	.globl	_ZN7rocprim17ROCPRIM_400000_NS6detail17trampoline_kernelINS0_14default_configENS1_25partition_config_selectorILNS1_17partition_subalgoE6ExNS0_10empty_typeEbEEZZNS1_14partition_implILS5_6ELb0ES3_mN6thrust23THRUST_200600_302600_NS6detail15normal_iteratorINSA_10device_ptrIxEEEEPS6_SG_NS0_5tupleIJSF_S6_EEENSH_IJSG_SG_EEES6_PlJNSB_9not_fun_tINSB_10functional5actorINSM_9compositeIJNSM_27transparent_binary_operatorINSA_8equal_toIvEEEENSN_INSM_8argumentILj0EEEEENSM_5valueIxEEEEEEEEEEEE10hipError_tPvRmT3_T4_T5_T6_T7_T9_mT8_P12ihipStream_tbDpT10_ENKUlT_T0_E_clISt17integral_constantIbLb1EES1K_EEDaS1F_S1G_EUlS1F_E_NS1_11comp_targetILNS1_3genE3ELNS1_11target_archE908ELNS1_3gpuE7ELNS1_3repE0EEENS1_30default_config_static_selectorELNS0_4arch9wavefront6targetE0EEEvT1_
	.p2align	8
	.type	_ZN7rocprim17ROCPRIM_400000_NS6detail17trampoline_kernelINS0_14default_configENS1_25partition_config_selectorILNS1_17partition_subalgoE6ExNS0_10empty_typeEbEEZZNS1_14partition_implILS5_6ELb0ES3_mN6thrust23THRUST_200600_302600_NS6detail15normal_iteratorINSA_10device_ptrIxEEEEPS6_SG_NS0_5tupleIJSF_S6_EEENSH_IJSG_SG_EEES6_PlJNSB_9not_fun_tINSB_10functional5actorINSM_9compositeIJNSM_27transparent_binary_operatorINSA_8equal_toIvEEEENSN_INSM_8argumentILj0EEEEENSM_5valueIxEEEEEEEEEEEE10hipError_tPvRmT3_T4_T5_T6_T7_T9_mT8_P12ihipStream_tbDpT10_ENKUlT_T0_E_clISt17integral_constantIbLb1EES1K_EEDaS1F_S1G_EUlS1F_E_NS1_11comp_targetILNS1_3genE3ELNS1_11target_archE908ELNS1_3gpuE7ELNS1_3repE0EEENS1_30default_config_static_selectorELNS0_4arch9wavefront6targetE0EEEvT1_,@function
_ZN7rocprim17ROCPRIM_400000_NS6detail17trampoline_kernelINS0_14default_configENS1_25partition_config_selectorILNS1_17partition_subalgoE6ExNS0_10empty_typeEbEEZZNS1_14partition_implILS5_6ELb0ES3_mN6thrust23THRUST_200600_302600_NS6detail15normal_iteratorINSA_10device_ptrIxEEEEPS6_SG_NS0_5tupleIJSF_S6_EEENSH_IJSG_SG_EEES6_PlJNSB_9not_fun_tINSB_10functional5actorINSM_9compositeIJNSM_27transparent_binary_operatorINSA_8equal_toIvEEEENSN_INSM_8argumentILj0EEEEENSM_5valueIxEEEEEEEEEEEE10hipError_tPvRmT3_T4_T5_T6_T7_T9_mT8_P12ihipStream_tbDpT10_ENKUlT_T0_E_clISt17integral_constantIbLb1EES1K_EEDaS1F_S1G_EUlS1F_E_NS1_11comp_targetILNS1_3genE3ELNS1_11target_archE908ELNS1_3gpuE7ELNS1_3repE0EEENS1_30default_config_static_selectorELNS0_4arch9wavefront6targetE0EEEvT1_: ; @_ZN7rocprim17ROCPRIM_400000_NS6detail17trampoline_kernelINS0_14default_configENS1_25partition_config_selectorILNS1_17partition_subalgoE6ExNS0_10empty_typeEbEEZZNS1_14partition_implILS5_6ELb0ES3_mN6thrust23THRUST_200600_302600_NS6detail15normal_iteratorINSA_10device_ptrIxEEEEPS6_SG_NS0_5tupleIJSF_S6_EEENSH_IJSG_SG_EEES6_PlJNSB_9not_fun_tINSB_10functional5actorINSM_9compositeIJNSM_27transparent_binary_operatorINSA_8equal_toIvEEEENSN_INSM_8argumentILj0EEEEENSM_5valueIxEEEEEEEEEEEE10hipError_tPvRmT3_T4_T5_T6_T7_T9_mT8_P12ihipStream_tbDpT10_ENKUlT_T0_E_clISt17integral_constantIbLb1EES1K_EEDaS1F_S1G_EUlS1F_E_NS1_11comp_targetILNS1_3genE3ELNS1_11target_archE908ELNS1_3gpuE7ELNS1_3repE0EEENS1_30default_config_static_selectorELNS0_4arch9wavefront6targetE0EEEvT1_
; %bb.0:
	.section	.rodata,"a",@progbits
	.p2align	6, 0x0
	.amdhsa_kernel _ZN7rocprim17ROCPRIM_400000_NS6detail17trampoline_kernelINS0_14default_configENS1_25partition_config_selectorILNS1_17partition_subalgoE6ExNS0_10empty_typeEbEEZZNS1_14partition_implILS5_6ELb0ES3_mN6thrust23THRUST_200600_302600_NS6detail15normal_iteratorINSA_10device_ptrIxEEEEPS6_SG_NS0_5tupleIJSF_S6_EEENSH_IJSG_SG_EEES6_PlJNSB_9not_fun_tINSB_10functional5actorINSM_9compositeIJNSM_27transparent_binary_operatorINSA_8equal_toIvEEEENSN_INSM_8argumentILj0EEEEENSM_5valueIxEEEEEEEEEEEE10hipError_tPvRmT3_T4_T5_T6_T7_T9_mT8_P12ihipStream_tbDpT10_ENKUlT_T0_E_clISt17integral_constantIbLb1EES1K_EEDaS1F_S1G_EUlS1F_E_NS1_11comp_targetILNS1_3genE3ELNS1_11target_archE908ELNS1_3gpuE7ELNS1_3repE0EEENS1_30default_config_static_selectorELNS0_4arch9wavefront6targetE0EEEvT1_
		.amdhsa_group_segment_fixed_size 0
		.amdhsa_private_segment_fixed_size 0
		.amdhsa_kernarg_size 136
		.amdhsa_user_sgpr_count 2
		.amdhsa_user_sgpr_dispatch_ptr 0
		.amdhsa_user_sgpr_queue_ptr 0
		.amdhsa_user_sgpr_kernarg_segment_ptr 1
		.amdhsa_user_sgpr_dispatch_id 0
		.amdhsa_user_sgpr_private_segment_size 0
		.amdhsa_wavefront_size32 1
		.amdhsa_uses_dynamic_stack 0
		.amdhsa_enable_private_segment 0
		.amdhsa_system_sgpr_workgroup_id_x 1
		.amdhsa_system_sgpr_workgroup_id_y 0
		.amdhsa_system_sgpr_workgroup_id_z 0
		.amdhsa_system_sgpr_workgroup_info 0
		.amdhsa_system_vgpr_workitem_id 0
		.amdhsa_next_free_vgpr 1
		.amdhsa_next_free_sgpr 1
		.amdhsa_reserve_vcc 0
		.amdhsa_float_round_mode_32 0
		.amdhsa_float_round_mode_16_64 0
		.amdhsa_float_denorm_mode_32 3
		.amdhsa_float_denorm_mode_16_64 3
		.amdhsa_fp16_overflow 0
		.amdhsa_workgroup_processor_mode 1
		.amdhsa_memory_ordered 1
		.amdhsa_forward_progress 1
		.amdhsa_inst_pref_size 0
		.amdhsa_round_robin_scheduling 0
		.amdhsa_exception_fp_ieee_invalid_op 0
		.amdhsa_exception_fp_denorm_src 0
		.amdhsa_exception_fp_ieee_div_zero 0
		.amdhsa_exception_fp_ieee_overflow 0
		.amdhsa_exception_fp_ieee_underflow 0
		.amdhsa_exception_fp_ieee_inexact 0
		.amdhsa_exception_int_div_zero 0
	.end_amdhsa_kernel
	.section	.text._ZN7rocprim17ROCPRIM_400000_NS6detail17trampoline_kernelINS0_14default_configENS1_25partition_config_selectorILNS1_17partition_subalgoE6ExNS0_10empty_typeEbEEZZNS1_14partition_implILS5_6ELb0ES3_mN6thrust23THRUST_200600_302600_NS6detail15normal_iteratorINSA_10device_ptrIxEEEEPS6_SG_NS0_5tupleIJSF_S6_EEENSH_IJSG_SG_EEES6_PlJNSB_9not_fun_tINSB_10functional5actorINSM_9compositeIJNSM_27transparent_binary_operatorINSA_8equal_toIvEEEENSN_INSM_8argumentILj0EEEEENSM_5valueIxEEEEEEEEEEEE10hipError_tPvRmT3_T4_T5_T6_T7_T9_mT8_P12ihipStream_tbDpT10_ENKUlT_T0_E_clISt17integral_constantIbLb1EES1K_EEDaS1F_S1G_EUlS1F_E_NS1_11comp_targetILNS1_3genE3ELNS1_11target_archE908ELNS1_3gpuE7ELNS1_3repE0EEENS1_30default_config_static_selectorELNS0_4arch9wavefront6targetE0EEEvT1_,"axG",@progbits,_ZN7rocprim17ROCPRIM_400000_NS6detail17trampoline_kernelINS0_14default_configENS1_25partition_config_selectorILNS1_17partition_subalgoE6ExNS0_10empty_typeEbEEZZNS1_14partition_implILS5_6ELb0ES3_mN6thrust23THRUST_200600_302600_NS6detail15normal_iteratorINSA_10device_ptrIxEEEEPS6_SG_NS0_5tupleIJSF_S6_EEENSH_IJSG_SG_EEES6_PlJNSB_9not_fun_tINSB_10functional5actorINSM_9compositeIJNSM_27transparent_binary_operatorINSA_8equal_toIvEEEENSN_INSM_8argumentILj0EEEEENSM_5valueIxEEEEEEEEEEEE10hipError_tPvRmT3_T4_T5_T6_T7_T9_mT8_P12ihipStream_tbDpT10_ENKUlT_T0_E_clISt17integral_constantIbLb1EES1K_EEDaS1F_S1G_EUlS1F_E_NS1_11comp_targetILNS1_3genE3ELNS1_11target_archE908ELNS1_3gpuE7ELNS1_3repE0EEENS1_30default_config_static_selectorELNS0_4arch9wavefront6targetE0EEEvT1_,comdat
.Lfunc_end190:
	.size	_ZN7rocprim17ROCPRIM_400000_NS6detail17trampoline_kernelINS0_14default_configENS1_25partition_config_selectorILNS1_17partition_subalgoE6ExNS0_10empty_typeEbEEZZNS1_14partition_implILS5_6ELb0ES3_mN6thrust23THRUST_200600_302600_NS6detail15normal_iteratorINSA_10device_ptrIxEEEEPS6_SG_NS0_5tupleIJSF_S6_EEENSH_IJSG_SG_EEES6_PlJNSB_9not_fun_tINSB_10functional5actorINSM_9compositeIJNSM_27transparent_binary_operatorINSA_8equal_toIvEEEENSN_INSM_8argumentILj0EEEEENSM_5valueIxEEEEEEEEEEEE10hipError_tPvRmT3_T4_T5_T6_T7_T9_mT8_P12ihipStream_tbDpT10_ENKUlT_T0_E_clISt17integral_constantIbLb1EES1K_EEDaS1F_S1G_EUlS1F_E_NS1_11comp_targetILNS1_3genE3ELNS1_11target_archE908ELNS1_3gpuE7ELNS1_3repE0EEENS1_30default_config_static_selectorELNS0_4arch9wavefront6targetE0EEEvT1_, .Lfunc_end190-_ZN7rocprim17ROCPRIM_400000_NS6detail17trampoline_kernelINS0_14default_configENS1_25partition_config_selectorILNS1_17partition_subalgoE6ExNS0_10empty_typeEbEEZZNS1_14partition_implILS5_6ELb0ES3_mN6thrust23THRUST_200600_302600_NS6detail15normal_iteratorINSA_10device_ptrIxEEEEPS6_SG_NS0_5tupleIJSF_S6_EEENSH_IJSG_SG_EEES6_PlJNSB_9not_fun_tINSB_10functional5actorINSM_9compositeIJNSM_27transparent_binary_operatorINSA_8equal_toIvEEEENSN_INSM_8argumentILj0EEEEENSM_5valueIxEEEEEEEEEEEE10hipError_tPvRmT3_T4_T5_T6_T7_T9_mT8_P12ihipStream_tbDpT10_ENKUlT_T0_E_clISt17integral_constantIbLb1EES1K_EEDaS1F_S1G_EUlS1F_E_NS1_11comp_targetILNS1_3genE3ELNS1_11target_archE908ELNS1_3gpuE7ELNS1_3repE0EEENS1_30default_config_static_selectorELNS0_4arch9wavefront6targetE0EEEvT1_
                                        ; -- End function
	.set _ZN7rocprim17ROCPRIM_400000_NS6detail17trampoline_kernelINS0_14default_configENS1_25partition_config_selectorILNS1_17partition_subalgoE6ExNS0_10empty_typeEbEEZZNS1_14partition_implILS5_6ELb0ES3_mN6thrust23THRUST_200600_302600_NS6detail15normal_iteratorINSA_10device_ptrIxEEEEPS6_SG_NS0_5tupleIJSF_S6_EEENSH_IJSG_SG_EEES6_PlJNSB_9not_fun_tINSB_10functional5actorINSM_9compositeIJNSM_27transparent_binary_operatorINSA_8equal_toIvEEEENSN_INSM_8argumentILj0EEEEENSM_5valueIxEEEEEEEEEEEE10hipError_tPvRmT3_T4_T5_T6_T7_T9_mT8_P12ihipStream_tbDpT10_ENKUlT_T0_E_clISt17integral_constantIbLb1EES1K_EEDaS1F_S1G_EUlS1F_E_NS1_11comp_targetILNS1_3genE3ELNS1_11target_archE908ELNS1_3gpuE7ELNS1_3repE0EEENS1_30default_config_static_selectorELNS0_4arch9wavefront6targetE0EEEvT1_.num_vgpr, 0
	.set _ZN7rocprim17ROCPRIM_400000_NS6detail17trampoline_kernelINS0_14default_configENS1_25partition_config_selectorILNS1_17partition_subalgoE6ExNS0_10empty_typeEbEEZZNS1_14partition_implILS5_6ELb0ES3_mN6thrust23THRUST_200600_302600_NS6detail15normal_iteratorINSA_10device_ptrIxEEEEPS6_SG_NS0_5tupleIJSF_S6_EEENSH_IJSG_SG_EEES6_PlJNSB_9not_fun_tINSB_10functional5actorINSM_9compositeIJNSM_27transparent_binary_operatorINSA_8equal_toIvEEEENSN_INSM_8argumentILj0EEEEENSM_5valueIxEEEEEEEEEEEE10hipError_tPvRmT3_T4_T5_T6_T7_T9_mT8_P12ihipStream_tbDpT10_ENKUlT_T0_E_clISt17integral_constantIbLb1EES1K_EEDaS1F_S1G_EUlS1F_E_NS1_11comp_targetILNS1_3genE3ELNS1_11target_archE908ELNS1_3gpuE7ELNS1_3repE0EEENS1_30default_config_static_selectorELNS0_4arch9wavefront6targetE0EEEvT1_.num_agpr, 0
	.set _ZN7rocprim17ROCPRIM_400000_NS6detail17trampoline_kernelINS0_14default_configENS1_25partition_config_selectorILNS1_17partition_subalgoE6ExNS0_10empty_typeEbEEZZNS1_14partition_implILS5_6ELb0ES3_mN6thrust23THRUST_200600_302600_NS6detail15normal_iteratorINSA_10device_ptrIxEEEEPS6_SG_NS0_5tupleIJSF_S6_EEENSH_IJSG_SG_EEES6_PlJNSB_9not_fun_tINSB_10functional5actorINSM_9compositeIJNSM_27transparent_binary_operatorINSA_8equal_toIvEEEENSN_INSM_8argumentILj0EEEEENSM_5valueIxEEEEEEEEEEEE10hipError_tPvRmT3_T4_T5_T6_T7_T9_mT8_P12ihipStream_tbDpT10_ENKUlT_T0_E_clISt17integral_constantIbLb1EES1K_EEDaS1F_S1G_EUlS1F_E_NS1_11comp_targetILNS1_3genE3ELNS1_11target_archE908ELNS1_3gpuE7ELNS1_3repE0EEENS1_30default_config_static_selectorELNS0_4arch9wavefront6targetE0EEEvT1_.numbered_sgpr, 0
	.set _ZN7rocprim17ROCPRIM_400000_NS6detail17trampoline_kernelINS0_14default_configENS1_25partition_config_selectorILNS1_17partition_subalgoE6ExNS0_10empty_typeEbEEZZNS1_14partition_implILS5_6ELb0ES3_mN6thrust23THRUST_200600_302600_NS6detail15normal_iteratorINSA_10device_ptrIxEEEEPS6_SG_NS0_5tupleIJSF_S6_EEENSH_IJSG_SG_EEES6_PlJNSB_9not_fun_tINSB_10functional5actorINSM_9compositeIJNSM_27transparent_binary_operatorINSA_8equal_toIvEEEENSN_INSM_8argumentILj0EEEEENSM_5valueIxEEEEEEEEEEEE10hipError_tPvRmT3_T4_T5_T6_T7_T9_mT8_P12ihipStream_tbDpT10_ENKUlT_T0_E_clISt17integral_constantIbLb1EES1K_EEDaS1F_S1G_EUlS1F_E_NS1_11comp_targetILNS1_3genE3ELNS1_11target_archE908ELNS1_3gpuE7ELNS1_3repE0EEENS1_30default_config_static_selectorELNS0_4arch9wavefront6targetE0EEEvT1_.num_named_barrier, 0
	.set _ZN7rocprim17ROCPRIM_400000_NS6detail17trampoline_kernelINS0_14default_configENS1_25partition_config_selectorILNS1_17partition_subalgoE6ExNS0_10empty_typeEbEEZZNS1_14partition_implILS5_6ELb0ES3_mN6thrust23THRUST_200600_302600_NS6detail15normal_iteratorINSA_10device_ptrIxEEEEPS6_SG_NS0_5tupleIJSF_S6_EEENSH_IJSG_SG_EEES6_PlJNSB_9not_fun_tINSB_10functional5actorINSM_9compositeIJNSM_27transparent_binary_operatorINSA_8equal_toIvEEEENSN_INSM_8argumentILj0EEEEENSM_5valueIxEEEEEEEEEEEE10hipError_tPvRmT3_T4_T5_T6_T7_T9_mT8_P12ihipStream_tbDpT10_ENKUlT_T0_E_clISt17integral_constantIbLb1EES1K_EEDaS1F_S1G_EUlS1F_E_NS1_11comp_targetILNS1_3genE3ELNS1_11target_archE908ELNS1_3gpuE7ELNS1_3repE0EEENS1_30default_config_static_selectorELNS0_4arch9wavefront6targetE0EEEvT1_.private_seg_size, 0
	.set _ZN7rocprim17ROCPRIM_400000_NS6detail17trampoline_kernelINS0_14default_configENS1_25partition_config_selectorILNS1_17partition_subalgoE6ExNS0_10empty_typeEbEEZZNS1_14partition_implILS5_6ELb0ES3_mN6thrust23THRUST_200600_302600_NS6detail15normal_iteratorINSA_10device_ptrIxEEEEPS6_SG_NS0_5tupleIJSF_S6_EEENSH_IJSG_SG_EEES6_PlJNSB_9not_fun_tINSB_10functional5actorINSM_9compositeIJNSM_27transparent_binary_operatorINSA_8equal_toIvEEEENSN_INSM_8argumentILj0EEEEENSM_5valueIxEEEEEEEEEEEE10hipError_tPvRmT3_T4_T5_T6_T7_T9_mT8_P12ihipStream_tbDpT10_ENKUlT_T0_E_clISt17integral_constantIbLb1EES1K_EEDaS1F_S1G_EUlS1F_E_NS1_11comp_targetILNS1_3genE3ELNS1_11target_archE908ELNS1_3gpuE7ELNS1_3repE0EEENS1_30default_config_static_selectorELNS0_4arch9wavefront6targetE0EEEvT1_.uses_vcc, 0
	.set _ZN7rocprim17ROCPRIM_400000_NS6detail17trampoline_kernelINS0_14default_configENS1_25partition_config_selectorILNS1_17partition_subalgoE6ExNS0_10empty_typeEbEEZZNS1_14partition_implILS5_6ELb0ES3_mN6thrust23THRUST_200600_302600_NS6detail15normal_iteratorINSA_10device_ptrIxEEEEPS6_SG_NS0_5tupleIJSF_S6_EEENSH_IJSG_SG_EEES6_PlJNSB_9not_fun_tINSB_10functional5actorINSM_9compositeIJNSM_27transparent_binary_operatorINSA_8equal_toIvEEEENSN_INSM_8argumentILj0EEEEENSM_5valueIxEEEEEEEEEEEE10hipError_tPvRmT3_T4_T5_T6_T7_T9_mT8_P12ihipStream_tbDpT10_ENKUlT_T0_E_clISt17integral_constantIbLb1EES1K_EEDaS1F_S1G_EUlS1F_E_NS1_11comp_targetILNS1_3genE3ELNS1_11target_archE908ELNS1_3gpuE7ELNS1_3repE0EEENS1_30default_config_static_selectorELNS0_4arch9wavefront6targetE0EEEvT1_.uses_flat_scratch, 0
	.set _ZN7rocprim17ROCPRIM_400000_NS6detail17trampoline_kernelINS0_14default_configENS1_25partition_config_selectorILNS1_17partition_subalgoE6ExNS0_10empty_typeEbEEZZNS1_14partition_implILS5_6ELb0ES3_mN6thrust23THRUST_200600_302600_NS6detail15normal_iteratorINSA_10device_ptrIxEEEEPS6_SG_NS0_5tupleIJSF_S6_EEENSH_IJSG_SG_EEES6_PlJNSB_9not_fun_tINSB_10functional5actorINSM_9compositeIJNSM_27transparent_binary_operatorINSA_8equal_toIvEEEENSN_INSM_8argumentILj0EEEEENSM_5valueIxEEEEEEEEEEEE10hipError_tPvRmT3_T4_T5_T6_T7_T9_mT8_P12ihipStream_tbDpT10_ENKUlT_T0_E_clISt17integral_constantIbLb1EES1K_EEDaS1F_S1G_EUlS1F_E_NS1_11comp_targetILNS1_3genE3ELNS1_11target_archE908ELNS1_3gpuE7ELNS1_3repE0EEENS1_30default_config_static_selectorELNS0_4arch9wavefront6targetE0EEEvT1_.has_dyn_sized_stack, 0
	.set _ZN7rocprim17ROCPRIM_400000_NS6detail17trampoline_kernelINS0_14default_configENS1_25partition_config_selectorILNS1_17partition_subalgoE6ExNS0_10empty_typeEbEEZZNS1_14partition_implILS5_6ELb0ES3_mN6thrust23THRUST_200600_302600_NS6detail15normal_iteratorINSA_10device_ptrIxEEEEPS6_SG_NS0_5tupleIJSF_S6_EEENSH_IJSG_SG_EEES6_PlJNSB_9not_fun_tINSB_10functional5actorINSM_9compositeIJNSM_27transparent_binary_operatorINSA_8equal_toIvEEEENSN_INSM_8argumentILj0EEEEENSM_5valueIxEEEEEEEEEEEE10hipError_tPvRmT3_T4_T5_T6_T7_T9_mT8_P12ihipStream_tbDpT10_ENKUlT_T0_E_clISt17integral_constantIbLb1EES1K_EEDaS1F_S1G_EUlS1F_E_NS1_11comp_targetILNS1_3genE3ELNS1_11target_archE908ELNS1_3gpuE7ELNS1_3repE0EEENS1_30default_config_static_selectorELNS0_4arch9wavefront6targetE0EEEvT1_.has_recursion, 0
	.set _ZN7rocprim17ROCPRIM_400000_NS6detail17trampoline_kernelINS0_14default_configENS1_25partition_config_selectorILNS1_17partition_subalgoE6ExNS0_10empty_typeEbEEZZNS1_14partition_implILS5_6ELb0ES3_mN6thrust23THRUST_200600_302600_NS6detail15normal_iteratorINSA_10device_ptrIxEEEEPS6_SG_NS0_5tupleIJSF_S6_EEENSH_IJSG_SG_EEES6_PlJNSB_9not_fun_tINSB_10functional5actorINSM_9compositeIJNSM_27transparent_binary_operatorINSA_8equal_toIvEEEENSN_INSM_8argumentILj0EEEEENSM_5valueIxEEEEEEEEEEEE10hipError_tPvRmT3_T4_T5_T6_T7_T9_mT8_P12ihipStream_tbDpT10_ENKUlT_T0_E_clISt17integral_constantIbLb1EES1K_EEDaS1F_S1G_EUlS1F_E_NS1_11comp_targetILNS1_3genE3ELNS1_11target_archE908ELNS1_3gpuE7ELNS1_3repE0EEENS1_30default_config_static_selectorELNS0_4arch9wavefront6targetE0EEEvT1_.has_indirect_call, 0
	.section	.AMDGPU.csdata,"",@progbits
; Kernel info:
; codeLenInByte = 0
; TotalNumSgprs: 0
; NumVgprs: 0
; ScratchSize: 0
; MemoryBound: 0
; FloatMode: 240
; IeeeMode: 1
; LDSByteSize: 0 bytes/workgroup (compile time only)
; SGPRBlocks: 0
; VGPRBlocks: 0
; NumSGPRsForWavesPerEU: 1
; NumVGPRsForWavesPerEU: 1
; Occupancy: 16
; WaveLimiterHint : 0
; COMPUTE_PGM_RSRC2:SCRATCH_EN: 0
; COMPUTE_PGM_RSRC2:USER_SGPR: 2
; COMPUTE_PGM_RSRC2:TRAP_HANDLER: 0
; COMPUTE_PGM_RSRC2:TGID_X_EN: 1
; COMPUTE_PGM_RSRC2:TGID_Y_EN: 0
; COMPUTE_PGM_RSRC2:TGID_Z_EN: 0
; COMPUTE_PGM_RSRC2:TIDIG_COMP_CNT: 0
	.section	.text._ZN7rocprim17ROCPRIM_400000_NS6detail17trampoline_kernelINS0_14default_configENS1_25partition_config_selectorILNS1_17partition_subalgoE6ExNS0_10empty_typeEbEEZZNS1_14partition_implILS5_6ELb0ES3_mN6thrust23THRUST_200600_302600_NS6detail15normal_iteratorINSA_10device_ptrIxEEEEPS6_SG_NS0_5tupleIJSF_S6_EEENSH_IJSG_SG_EEES6_PlJNSB_9not_fun_tINSB_10functional5actorINSM_9compositeIJNSM_27transparent_binary_operatorINSA_8equal_toIvEEEENSN_INSM_8argumentILj0EEEEENSM_5valueIxEEEEEEEEEEEE10hipError_tPvRmT3_T4_T5_T6_T7_T9_mT8_P12ihipStream_tbDpT10_ENKUlT_T0_E_clISt17integral_constantIbLb1EES1K_EEDaS1F_S1G_EUlS1F_E_NS1_11comp_targetILNS1_3genE2ELNS1_11target_archE906ELNS1_3gpuE6ELNS1_3repE0EEENS1_30default_config_static_selectorELNS0_4arch9wavefront6targetE0EEEvT1_,"axG",@progbits,_ZN7rocprim17ROCPRIM_400000_NS6detail17trampoline_kernelINS0_14default_configENS1_25partition_config_selectorILNS1_17partition_subalgoE6ExNS0_10empty_typeEbEEZZNS1_14partition_implILS5_6ELb0ES3_mN6thrust23THRUST_200600_302600_NS6detail15normal_iteratorINSA_10device_ptrIxEEEEPS6_SG_NS0_5tupleIJSF_S6_EEENSH_IJSG_SG_EEES6_PlJNSB_9not_fun_tINSB_10functional5actorINSM_9compositeIJNSM_27transparent_binary_operatorINSA_8equal_toIvEEEENSN_INSM_8argumentILj0EEEEENSM_5valueIxEEEEEEEEEEEE10hipError_tPvRmT3_T4_T5_T6_T7_T9_mT8_P12ihipStream_tbDpT10_ENKUlT_T0_E_clISt17integral_constantIbLb1EES1K_EEDaS1F_S1G_EUlS1F_E_NS1_11comp_targetILNS1_3genE2ELNS1_11target_archE906ELNS1_3gpuE6ELNS1_3repE0EEENS1_30default_config_static_selectorELNS0_4arch9wavefront6targetE0EEEvT1_,comdat
	.protected	_ZN7rocprim17ROCPRIM_400000_NS6detail17trampoline_kernelINS0_14default_configENS1_25partition_config_selectorILNS1_17partition_subalgoE6ExNS0_10empty_typeEbEEZZNS1_14partition_implILS5_6ELb0ES3_mN6thrust23THRUST_200600_302600_NS6detail15normal_iteratorINSA_10device_ptrIxEEEEPS6_SG_NS0_5tupleIJSF_S6_EEENSH_IJSG_SG_EEES6_PlJNSB_9not_fun_tINSB_10functional5actorINSM_9compositeIJNSM_27transparent_binary_operatorINSA_8equal_toIvEEEENSN_INSM_8argumentILj0EEEEENSM_5valueIxEEEEEEEEEEEE10hipError_tPvRmT3_T4_T5_T6_T7_T9_mT8_P12ihipStream_tbDpT10_ENKUlT_T0_E_clISt17integral_constantIbLb1EES1K_EEDaS1F_S1G_EUlS1F_E_NS1_11comp_targetILNS1_3genE2ELNS1_11target_archE906ELNS1_3gpuE6ELNS1_3repE0EEENS1_30default_config_static_selectorELNS0_4arch9wavefront6targetE0EEEvT1_ ; -- Begin function _ZN7rocprim17ROCPRIM_400000_NS6detail17trampoline_kernelINS0_14default_configENS1_25partition_config_selectorILNS1_17partition_subalgoE6ExNS0_10empty_typeEbEEZZNS1_14partition_implILS5_6ELb0ES3_mN6thrust23THRUST_200600_302600_NS6detail15normal_iteratorINSA_10device_ptrIxEEEEPS6_SG_NS0_5tupleIJSF_S6_EEENSH_IJSG_SG_EEES6_PlJNSB_9not_fun_tINSB_10functional5actorINSM_9compositeIJNSM_27transparent_binary_operatorINSA_8equal_toIvEEEENSN_INSM_8argumentILj0EEEEENSM_5valueIxEEEEEEEEEEEE10hipError_tPvRmT3_T4_T5_T6_T7_T9_mT8_P12ihipStream_tbDpT10_ENKUlT_T0_E_clISt17integral_constantIbLb1EES1K_EEDaS1F_S1G_EUlS1F_E_NS1_11comp_targetILNS1_3genE2ELNS1_11target_archE906ELNS1_3gpuE6ELNS1_3repE0EEENS1_30default_config_static_selectorELNS0_4arch9wavefront6targetE0EEEvT1_
	.globl	_ZN7rocprim17ROCPRIM_400000_NS6detail17trampoline_kernelINS0_14default_configENS1_25partition_config_selectorILNS1_17partition_subalgoE6ExNS0_10empty_typeEbEEZZNS1_14partition_implILS5_6ELb0ES3_mN6thrust23THRUST_200600_302600_NS6detail15normal_iteratorINSA_10device_ptrIxEEEEPS6_SG_NS0_5tupleIJSF_S6_EEENSH_IJSG_SG_EEES6_PlJNSB_9not_fun_tINSB_10functional5actorINSM_9compositeIJNSM_27transparent_binary_operatorINSA_8equal_toIvEEEENSN_INSM_8argumentILj0EEEEENSM_5valueIxEEEEEEEEEEEE10hipError_tPvRmT3_T4_T5_T6_T7_T9_mT8_P12ihipStream_tbDpT10_ENKUlT_T0_E_clISt17integral_constantIbLb1EES1K_EEDaS1F_S1G_EUlS1F_E_NS1_11comp_targetILNS1_3genE2ELNS1_11target_archE906ELNS1_3gpuE6ELNS1_3repE0EEENS1_30default_config_static_selectorELNS0_4arch9wavefront6targetE0EEEvT1_
	.p2align	8
	.type	_ZN7rocprim17ROCPRIM_400000_NS6detail17trampoline_kernelINS0_14default_configENS1_25partition_config_selectorILNS1_17partition_subalgoE6ExNS0_10empty_typeEbEEZZNS1_14partition_implILS5_6ELb0ES3_mN6thrust23THRUST_200600_302600_NS6detail15normal_iteratorINSA_10device_ptrIxEEEEPS6_SG_NS0_5tupleIJSF_S6_EEENSH_IJSG_SG_EEES6_PlJNSB_9not_fun_tINSB_10functional5actorINSM_9compositeIJNSM_27transparent_binary_operatorINSA_8equal_toIvEEEENSN_INSM_8argumentILj0EEEEENSM_5valueIxEEEEEEEEEEEE10hipError_tPvRmT3_T4_T5_T6_T7_T9_mT8_P12ihipStream_tbDpT10_ENKUlT_T0_E_clISt17integral_constantIbLb1EES1K_EEDaS1F_S1G_EUlS1F_E_NS1_11comp_targetILNS1_3genE2ELNS1_11target_archE906ELNS1_3gpuE6ELNS1_3repE0EEENS1_30default_config_static_selectorELNS0_4arch9wavefront6targetE0EEEvT1_,@function
_ZN7rocprim17ROCPRIM_400000_NS6detail17trampoline_kernelINS0_14default_configENS1_25partition_config_selectorILNS1_17partition_subalgoE6ExNS0_10empty_typeEbEEZZNS1_14partition_implILS5_6ELb0ES3_mN6thrust23THRUST_200600_302600_NS6detail15normal_iteratorINSA_10device_ptrIxEEEEPS6_SG_NS0_5tupleIJSF_S6_EEENSH_IJSG_SG_EEES6_PlJNSB_9not_fun_tINSB_10functional5actorINSM_9compositeIJNSM_27transparent_binary_operatorINSA_8equal_toIvEEEENSN_INSM_8argumentILj0EEEEENSM_5valueIxEEEEEEEEEEEE10hipError_tPvRmT3_T4_T5_T6_T7_T9_mT8_P12ihipStream_tbDpT10_ENKUlT_T0_E_clISt17integral_constantIbLb1EES1K_EEDaS1F_S1G_EUlS1F_E_NS1_11comp_targetILNS1_3genE2ELNS1_11target_archE906ELNS1_3gpuE6ELNS1_3repE0EEENS1_30default_config_static_selectorELNS0_4arch9wavefront6targetE0EEEvT1_: ; @_ZN7rocprim17ROCPRIM_400000_NS6detail17trampoline_kernelINS0_14default_configENS1_25partition_config_selectorILNS1_17partition_subalgoE6ExNS0_10empty_typeEbEEZZNS1_14partition_implILS5_6ELb0ES3_mN6thrust23THRUST_200600_302600_NS6detail15normal_iteratorINSA_10device_ptrIxEEEEPS6_SG_NS0_5tupleIJSF_S6_EEENSH_IJSG_SG_EEES6_PlJNSB_9not_fun_tINSB_10functional5actorINSM_9compositeIJNSM_27transparent_binary_operatorINSA_8equal_toIvEEEENSN_INSM_8argumentILj0EEEEENSM_5valueIxEEEEEEEEEEEE10hipError_tPvRmT3_T4_T5_T6_T7_T9_mT8_P12ihipStream_tbDpT10_ENKUlT_T0_E_clISt17integral_constantIbLb1EES1K_EEDaS1F_S1G_EUlS1F_E_NS1_11comp_targetILNS1_3genE2ELNS1_11target_archE906ELNS1_3gpuE6ELNS1_3repE0EEENS1_30default_config_static_selectorELNS0_4arch9wavefront6targetE0EEEvT1_
; %bb.0:
	.section	.rodata,"a",@progbits
	.p2align	6, 0x0
	.amdhsa_kernel _ZN7rocprim17ROCPRIM_400000_NS6detail17trampoline_kernelINS0_14default_configENS1_25partition_config_selectorILNS1_17partition_subalgoE6ExNS0_10empty_typeEbEEZZNS1_14partition_implILS5_6ELb0ES3_mN6thrust23THRUST_200600_302600_NS6detail15normal_iteratorINSA_10device_ptrIxEEEEPS6_SG_NS0_5tupleIJSF_S6_EEENSH_IJSG_SG_EEES6_PlJNSB_9not_fun_tINSB_10functional5actorINSM_9compositeIJNSM_27transparent_binary_operatorINSA_8equal_toIvEEEENSN_INSM_8argumentILj0EEEEENSM_5valueIxEEEEEEEEEEEE10hipError_tPvRmT3_T4_T5_T6_T7_T9_mT8_P12ihipStream_tbDpT10_ENKUlT_T0_E_clISt17integral_constantIbLb1EES1K_EEDaS1F_S1G_EUlS1F_E_NS1_11comp_targetILNS1_3genE2ELNS1_11target_archE906ELNS1_3gpuE6ELNS1_3repE0EEENS1_30default_config_static_selectorELNS0_4arch9wavefront6targetE0EEEvT1_
		.amdhsa_group_segment_fixed_size 0
		.amdhsa_private_segment_fixed_size 0
		.amdhsa_kernarg_size 136
		.amdhsa_user_sgpr_count 2
		.amdhsa_user_sgpr_dispatch_ptr 0
		.amdhsa_user_sgpr_queue_ptr 0
		.amdhsa_user_sgpr_kernarg_segment_ptr 1
		.amdhsa_user_sgpr_dispatch_id 0
		.amdhsa_user_sgpr_private_segment_size 0
		.amdhsa_wavefront_size32 1
		.amdhsa_uses_dynamic_stack 0
		.amdhsa_enable_private_segment 0
		.amdhsa_system_sgpr_workgroup_id_x 1
		.amdhsa_system_sgpr_workgroup_id_y 0
		.amdhsa_system_sgpr_workgroup_id_z 0
		.amdhsa_system_sgpr_workgroup_info 0
		.amdhsa_system_vgpr_workitem_id 0
		.amdhsa_next_free_vgpr 1
		.amdhsa_next_free_sgpr 1
		.amdhsa_reserve_vcc 0
		.amdhsa_float_round_mode_32 0
		.amdhsa_float_round_mode_16_64 0
		.amdhsa_float_denorm_mode_32 3
		.amdhsa_float_denorm_mode_16_64 3
		.amdhsa_fp16_overflow 0
		.amdhsa_workgroup_processor_mode 1
		.amdhsa_memory_ordered 1
		.amdhsa_forward_progress 1
		.amdhsa_inst_pref_size 0
		.amdhsa_round_robin_scheduling 0
		.amdhsa_exception_fp_ieee_invalid_op 0
		.amdhsa_exception_fp_denorm_src 0
		.amdhsa_exception_fp_ieee_div_zero 0
		.amdhsa_exception_fp_ieee_overflow 0
		.amdhsa_exception_fp_ieee_underflow 0
		.amdhsa_exception_fp_ieee_inexact 0
		.amdhsa_exception_int_div_zero 0
	.end_amdhsa_kernel
	.section	.text._ZN7rocprim17ROCPRIM_400000_NS6detail17trampoline_kernelINS0_14default_configENS1_25partition_config_selectorILNS1_17partition_subalgoE6ExNS0_10empty_typeEbEEZZNS1_14partition_implILS5_6ELb0ES3_mN6thrust23THRUST_200600_302600_NS6detail15normal_iteratorINSA_10device_ptrIxEEEEPS6_SG_NS0_5tupleIJSF_S6_EEENSH_IJSG_SG_EEES6_PlJNSB_9not_fun_tINSB_10functional5actorINSM_9compositeIJNSM_27transparent_binary_operatorINSA_8equal_toIvEEEENSN_INSM_8argumentILj0EEEEENSM_5valueIxEEEEEEEEEEEE10hipError_tPvRmT3_T4_T5_T6_T7_T9_mT8_P12ihipStream_tbDpT10_ENKUlT_T0_E_clISt17integral_constantIbLb1EES1K_EEDaS1F_S1G_EUlS1F_E_NS1_11comp_targetILNS1_3genE2ELNS1_11target_archE906ELNS1_3gpuE6ELNS1_3repE0EEENS1_30default_config_static_selectorELNS0_4arch9wavefront6targetE0EEEvT1_,"axG",@progbits,_ZN7rocprim17ROCPRIM_400000_NS6detail17trampoline_kernelINS0_14default_configENS1_25partition_config_selectorILNS1_17partition_subalgoE6ExNS0_10empty_typeEbEEZZNS1_14partition_implILS5_6ELb0ES3_mN6thrust23THRUST_200600_302600_NS6detail15normal_iteratorINSA_10device_ptrIxEEEEPS6_SG_NS0_5tupleIJSF_S6_EEENSH_IJSG_SG_EEES6_PlJNSB_9not_fun_tINSB_10functional5actorINSM_9compositeIJNSM_27transparent_binary_operatorINSA_8equal_toIvEEEENSN_INSM_8argumentILj0EEEEENSM_5valueIxEEEEEEEEEEEE10hipError_tPvRmT3_T4_T5_T6_T7_T9_mT8_P12ihipStream_tbDpT10_ENKUlT_T0_E_clISt17integral_constantIbLb1EES1K_EEDaS1F_S1G_EUlS1F_E_NS1_11comp_targetILNS1_3genE2ELNS1_11target_archE906ELNS1_3gpuE6ELNS1_3repE0EEENS1_30default_config_static_selectorELNS0_4arch9wavefront6targetE0EEEvT1_,comdat
.Lfunc_end191:
	.size	_ZN7rocprim17ROCPRIM_400000_NS6detail17trampoline_kernelINS0_14default_configENS1_25partition_config_selectorILNS1_17partition_subalgoE6ExNS0_10empty_typeEbEEZZNS1_14partition_implILS5_6ELb0ES3_mN6thrust23THRUST_200600_302600_NS6detail15normal_iteratorINSA_10device_ptrIxEEEEPS6_SG_NS0_5tupleIJSF_S6_EEENSH_IJSG_SG_EEES6_PlJNSB_9not_fun_tINSB_10functional5actorINSM_9compositeIJNSM_27transparent_binary_operatorINSA_8equal_toIvEEEENSN_INSM_8argumentILj0EEEEENSM_5valueIxEEEEEEEEEEEE10hipError_tPvRmT3_T4_T5_T6_T7_T9_mT8_P12ihipStream_tbDpT10_ENKUlT_T0_E_clISt17integral_constantIbLb1EES1K_EEDaS1F_S1G_EUlS1F_E_NS1_11comp_targetILNS1_3genE2ELNS1_11target_archE906ELNS1_3gpuE6ELNS1_3repE0EEENS1_30default_config_static_selectorELNS0_4arch9wavefront6targetE0EEEvT1_, .Lfunc_end191-_ZN7rocprim17ROCPRIM_400000_NS6detail17trampoline_kernelINS0_14default_configENS1_25partition_config_selectorILNS1_17partition_subalgoE6ExNS0_10empty_typeEbEEZZNS1_14partition_implILS5_6ELb0ES3_mN6thrust23THRUST_200600_302600_NS6detail15normal_iteratorINSA_10device_ptrIxEEEEPS6_SG_NS0_5tupleIJSF_S6_EEENSH_IJSG_SG_EEES6_PlJNSB_9not_fun_tINSB_10functional5actorINSM_9compositeIJNSM_27transparent_binary_operatorINSA_8equal_toIvEEEENSN_INSM_8argumentILj0EEEEENSM_5valueIxEEEEEEEEEEEE10hipError_tPvRmT3_T4_T5_T6_T7_T9_mT8_P12ihipStream_tbDpT10_ENKUlT_T0_E_clISt17integral_constantIbLb1EES1K_EEDaS1F_S1G_EUlS1F_E_NS1_11comp_targetILNS1_3genE2ELNS1_11target_archE906ELNS1_3gpuE6ELNS1_3repE0EEENS1_30default_config_static_selectorELNS0_4arch9wavefront6targetE0EEEvT1_
                                        ; -- End function
	.set _ZN7rocprim17ROCPRIM_400000_NS6detail17trampoline_kernelINS0_14default_configENS1_25partition_config_selectorILNS1_17partition_subalgoE6ExNS0_10empty_typeEbEEZZNS1_14partition_implILS5_6ELb0ES3_mN6thrust23THRUST_200600_302600_NS6detail15normal_iteratorINSA_10device_ptrIxEEEEPS6_SG_NS0_5tupleIJSF_S6_EEENSH_IJSG_SG_EEES6_PlJNSB_9not_fun_tINSB_10functional5actorINSM_9compositeIJNSM_27transparent_binary_operatorINSA_8equal_toIvEEEENSN_INSM_8argumentILj0EEEEENSM_5valueIxEEEEEEEEEEEE10hipError_tPvRmT3_T4_T5_T6_T7_T9_mT8_P12ihipStream_tbDpT10_ENKUlT_T0_E_clISt17integral_constantIbLb1EES1K_EEDaS1F_S1G_EUlS1F_E_NS1_11comp_targetILNS1_3genE2ELNS1_11target_archE906ELNS1_3gpuE6ELNS1_3repE0EEENS1_30default_config_static_selectorELNS0_4arch9wavefront6targetE0EEEvT1_.num_vgpr, 0
	.set _ZN7rocprim17ROCPRIM_400000_NS6detail17trampoline_kernelINS0_14default_configENS1_25partition_config_selectorILNS1_17partition_subalgoE6ExNS0_10empty_typeEbEEZZNS1_14partition_implILS5_6ELb0ES3_mN6thrust23THRUST_200600_302600_NS6detail15normal_iteratorINSA_10device_ptrIxEEEEPS6_SG_NS0_5tupleIJSF_S6_EEENSH_IJSG_SG_EEES6_PlJNSB_9not_fun_tINSB_10functional5actorINSM_9compositeIJNSM_27transparent_binary_operatorINSA_8equal_toIvEEEENSN_INSM_8argumentILj0EEEEENSM_5valueIxEEEEEEEEEEEE10hipError_tPvRmT3_T4_T5_T6_T7_T9_mT8_P12ihipStream_tbDpT10_ENKUlT_T0_E_clISt17integral_constantIbLb1EES1K_EEDaS1F_S1G_EUlS1F_E_NS1_11comp_targetILNS1_3genE2ELNS1_11target_archE906ELNS1_3gpuE6ELNS1_3repE0EEENS1_30default_config_static_selectorELNS0_4arch9wavefront6targetE0EEEvT1_.num_agpr, 0
	.set _ZN7rocprim17ROCPRIM_400000_NS6detail17trampoline_kernelINS0_14default_configENS1_25partition_config_selectorILNS1_17partition_subalgoE6ExNS0_10empty_typeEbEEZZNS1_14partition_implILS5_6ELb0ES3_mN6thrust23THRUST_200600_302600_NS6detail15normal_iteratorINSA_10device_ptrIxEEEEPS6_SG_NS0_5tupleIJSF_S6_EEENSH_IJSG_SG_EEES6_PlJNSB_9not_fun_tINSB_10functional5actorINSM_9compositeIJNSM_27transparent_binary_operatorINSA_8equal_toIvEEEENSN_INSM_8argumentILj0EEEEENSM_5valueIxEEEEEEEEEEEE10hipError_tPvRmT3_T4_T5_T6_T7_T9_mT8_P12ihipStream_tbDpT10_ENKUlT_T0_E_clISt17integral_constantIbLb1EES1K_EEDaS1F_S1G_EUlS1F_E_NS1_11comp_targetILNS1_3genE2ELNS1_11target_archE906ELNS1_3gpuE6ELNS1_3repE0EEENS1_30default_config_static_selectorELNS0_4arch9wavefront6targetE0EEEvT1_.numbered_sgpr, 0
	.set _ZN7rocprim17ROCPRIM_400000_NS6detail17trampoline_kernelINS0_14default_configENS1_25partition_config_selectorILNS1_17partition_subalgoE6ExNS0_10empty_typeEbEEZZNS1_14partition_implILS5_6ELb0ES3_mN6thrust23THRUST_200600_302600_NS6detail15normal_iteratorINSA_10device_ptrIxEEEEPS6_SG_NS0_5tupleIJSF_S6_EEENSH_IJSG_SG_EEES6_PlJNSB_9not_fun_tINSB_10functional5actorINSM_9compositeIJNSM_27transparent_binary_operatorINSA_8equal_toIvEEEENSN_INSM_8argumentILj0EEEEENSM_5valueIxEEEEEEEEEEEE10hipError_tPvRmT3_T4_T5_T6_T7_T9_mT8_P12ihipStream_tbDpT10_ENKUlT_T0_E_clISt17integral_constantIbLb1EES1K_EEDaS1F_S1G_EUlS1F_E_NS1_11comp_targetILNS1_3genE2ELNS1_11target_archE906ELNS1_3gpuE6ELNS1_3repE0EEENS1_30default_config_static_selectorELNS0_4arch9wavefront6targetE0EEEvT1_.num_named_barrier, 0
	.set _ZN7rocprim17ROCPRIM_400000_NS6detail17trampoline_kernelINS0_14default_configENS1_25partition_config_selectorILNS1_17partition_subalgoE6ExNS0_10empty_typeEbEEZZNS1_14partition_implILS5_6ELb0ES3_mN6thrust23THRUST_200600_302600_NS6detail15normal_iteratorINSA_10device_ptrIxEEEEPS6_SG_NS0_5tupleIJSF_S6_EEENSH_IJSG_SG_EEES6_PlJNSB_9not_fun_tINSB_10functional5actorINSM_9compositeIJNSM_27transparent_binary_operatorINSA_8equal_toIvEEEENSN_INSM_8argumentILj0EEEEENSM_5valueIxEEEEEEEEEEEE10hipError_tPvRmT3_T4_T5_T6_T7_T9_mT8_P12ihipStream_tbDpT10_ENKUlT_T0_E_clISt17integral_constantIbLb1EES1K_EEDaS1F_S1G_EUlS1F_E_NS1_11comp_targetILNS1_3genE2ELNS1_11target_archE906ELNS1_3gpuE6ELNS1_3repE0EEENS1_30default_config_static_selectorELNS0_4arch9wavefront6targetE0EEEvT1_.private_seg_size, 0
	.set _ZN7rocprim17ROCPRIM_400000_NS6detail17trampoline_kernelINS0_14default_configENS1_25partition_config_selectorILNS1_17partition_subalgoE6ExNS0_10empty_typeEbEEZZNS1_14partition_implILS5_6ELb0ES3_mN6thrust23THRUST_200600_302600_NS6detail15normal_iteratorINSA_10device_ptrIxEEEEPS6_SG_NS0_5tupleIJSF_S6_EEENSH_IJSG_SG_EEES6_PlJNSB_9not_fun_tINSB_10functional5actorINSM_9compositeIJNSM_27transparent_binary_operatorINSA_8equal_toIvEEEENSN_INSM_8argumentILj0EEEEENSM_5valueIxEEEEEEEEEEEE10hipError_tPvRmT3_T4_T5_T6_T7_T9_mT8_P12ihipStream_tbDpT10_ENKUlT_T0_E_clISt17integral_constantIbLb1EES1K_EEDaS1F_S1G_EUlS1F_E_NS1_11comp_targetILNS1_3genE2ELNS1_11target_archE906ELNS1_3gpuE6ELNS1_3repE0EEENS1_30default_config_static_selectorELNS0_4arch9wavefront6targetE0EEEvT1_.uses_vcc, 0
	.set _ZN7rocprim17ROCPRIM_400000_NS6detail17trampoline_kernelINS0_14default_configENS1_25partition_config_selectorILNS1_17partition_subalgoE6ExNS0_10empty_typeEbEEZZNS1_14partition_implILS5_6ELb0ES3_mN6thrust23THRUST_200600_302600_NS6detail15normal_iteratorINSA_10device_ptrIxEEEEPS6_SG_NS0_5tupleIJSF_S6_EEENSH_IJSG_SG_EEES6_PlJNSB_9not_fun_tINSB_10functional5actorINSM_9compositeIJNSM_27transparent_binary_operatorINSA_8equal_toIvEEEENSN_INSM_8argumentILj0EEEEENSM_5valueIxEEEEEEEEEEEE10hipError_tPvRmT3_T4_T5_T6_T7_T9_mT8_P12ihipStream_tbDpT10_ENKUlT_T0_E_clISt17integral_constantIbLb1EES1K_EEDaS1F_S1G_EUlS1F_E_NS1_11comp_targetILNS1_3genE2ELNS1_11target_archE906ELNS1_3gpuE6ELNS1_3repE0EEENS1_30default_config_static_selectorELNS0_4arch9wavefront6targetE0EEEvT1_.uses_flat_scratch, 0
	.set _ZN7rocprim17ROCPRIM_400000_NS6detail17trampoline_kernelINS0_14default_configENS1_25partition_config_selectorILNS1_17partition_subalgoE6ExNS0_10empty_typeEbEEZZNS1_14partition_implILS5_6ELb0ES3_mN6thrust23THRUST_200600_302600_NS6detail15normal_iteratorINSA_10device_ptrIxEEEEPS6_SG_NS0_5tupleIJSF_S6_EEENSH_IJSG_SG_EEES6_PlJNSB_9not_fun_tINSB_10functional5actorINSM_9compositeIJNSM_27transparent_binary_operatorINSA_8equal_toIvEEEENSN_INSM_8argumentILj0EEEEENSM_5valueIxEEEEEEEEEEEE10hipError_tPvRmT3_T4_T5_T6_T7_T9_mT8_P12ihipStream_tbDpT10_ENKUlT_T0_E_clISt17integral_constantIbLb1EES1K_EEDaS1F_S1G_EUlS1F_E_NS1_11comp_targetILNS1_3genE2ELNS1_11target_archE906ELNS1_3gpuE6ELNS1_3repE0EEENS1_30default_config_static_selectorELNS0_4arch9wavefront6targetE0EEEvT1_.has_dyn_sized_stack, 0
	.set _ZN7rocprim17ROCPRIM_400000_NS6detail17trampoline_kernelINS0_14default_configENS1_25partition_config_selectorILNS1_17partition_subalgoE6ExNS0_10empty_typeEbEEZZNS1_14partition_implILS5_6ELb0ES3_mN6thrust23THRUST_200600_302600_NS6detail15normal_iteratorINSA_10device_ptrIxEEEEPS6_SG_NS0_5tupleIJSF_S6_EEENSH_IJSG_SG_EEES6_PlJNSB_9not_fun_tINSB_10functional5actorINSM_9compositeIJNSM_27transparent_binary_operatorINSA_8equal_toIvEEEENSN_INSM_8argumentILj0EEEEENSM_5valueIxEEEEEEEEEEEE10hipError_tPvRmT3_T4_T5_T6_T7_T9_mT8_P12ihipStream_tbDpT10_ENKUlT_T0_E_clISt17integral_constantIbLb1EES1K_EEDaS1F_S1G_EUlS1F_E_NS1_11comp_targetILNS1_3genE2ELNS1_11target_archE906ELNS1_3gpuE6ELNS1_3repE0EEENS1_30default_config_static_selectorELNS0_4arch9wavefront6targetE0EEEvT1_.has_recursion, 0
	.set _ZN7rocprim17ROCPRIM_400000_NS6detail17trampoline_kernelINS0_14default_configENS1_25partition_config_selectorILNS1_17partition_subalgoE6ExNS0_10empty_typeEbEEZZNS1_14partition_implILS5_6ELb0ES3_mN6thrust23THRUST_200600_302600_NS6detail15normal_iteratorINSA_10device_ptrIxEEEEPS6_SG_NS0_5tupleIJSF_S6_EEENSH_IJSG_SG_EEES6_PlJNSB_9not_fun_tINSB_10functional5actorINSM_9compositeIJNSM_27transparent_binary_operatorINSA_8equal_toIvEEEENSN_INSM_8argumentILj0EEEEENSM_5valueIxEEEEEEEEEEEE10hipError_tPvRmT3_T4_T5_T6_T7_T9_mT8_P12ihipStream_tbDpT10_ENKUlT_T0_E_clISt17integral_constantIbLb1EES1K_EEDaS1F_S1G_EUlS1F_E_NS1_11comp_targetILNS1_3genE2ELNS1_11target_archE906ELNS1_3gpuE6ELNS1_3repE0EEENS1_30default_config_static_selectorELNS0_4arch9wavefront6targetE0EEEvT1_.has_indirect_call, 0
	.section	.AMDGPU.csdata,"",@progbits
; Kernel info:
; codeLenInByte = 0
; TotalNumSgprs: 0
; NumVgprs: 0
; ScratchSize: 0
; MemoryBound: 0
; FloatMode: 240
; IeeeMode: 1
; LDSByteSize: 0 bytes/workgroup (compile time only)
; SGPRBlocks: 0
; VGPRBlocks: 0
; NumSGPRsForWavesPerEU: 1
; NumVGPRsForWavesPerEU: 1
; Occupancy: 16
; WaveLimiterHint : 0
; COMPUTE_PGM_RSRC2:SCRATCH_EN: 0
; COMPUTE_PGM_RSRC2:USER_SGPR: 2
; COMPUTE_PGM_RSRC2:TRAP_HANDLER: 0
; COMPUTE_PGM_RSRC2:TGID_X_EN: 1
; COMPUTE_PGM_RSRC2:TGID_Y_EN: 0
; COMPUTE_PGM_RSRC2:TGID_Z_EN: 0
; COMPUTE_PGM_RSRC2:TIDIG_COMP_CNT: 0
	.section	.text._ZN7rocprim17ROCPRIM_400000_NS6detail17trampoline_kernelINS0_14default_configENS1_25partition_config_selectorILNS1_17partition_subalgoE6ExNS0_10empty_typeEbEEZZNS1_14partition_implILS5_6ELb0ES3_mN6thrust23THRUST_200600_302600_NS6detail15normal_iteratorINSA_10device_ptrIxEEEEPS6_SG_NS0_5tupleIJSF_S6_EEENSH_IJSG_SG_EEES6_PlJNSB_9not_fun_tINSB_10functional5actorINSM_9compositeIJNSM_27transparent_binary_operatorINSA_8equal_toIvEEEENSN_INSM_8argumentILj0EEEEENSM_5valueIxEEEEEEEEEEEE10hipError_tPvRmT3_T4_T5_T6_T7_T9_mT8_P12ihipStream_tbDpT10_ENKUlT_T0_E_clISt17integral_constantIbLb1EES1K_EEDaS1F_S1G_EUlS1F_E_NS1_11comp_targetILNS1_3genE10ELNS1_11target_archE1200ELNS1_3gpuE4ELNS1_3repE0EEENS1_30default_config_static_selectorELNS0_4arch9wavefront6targetE0EEEvT1_,"axG",@progbits,_ZN7rocprim17ROCPRIM_400000_NS6detail17trampoline_kernelINS0_14default_configENS1_25partition_config_selectorILNS1_17partition_subalgoE6ExNS0_10empty_typeEbEEZZNS1_14partition_implILS5_6ELb0ES3_mN6thrust23THRUST_200600_302600_NS6detail15normal_iteratorINSA_10device_ptrIxEEEEPS6_SG_NS0_5tupleIJSF_S6_EEENSH_IJSG_SG_EEES6_PlJNSB_9not_fun_tINSB_10functional5actorINSM_9compositeIJNSM_27transparent_binary_operatorINSA_8equal_toIvEEEENSN_INSM_8argumentILj0EEEEENSM_5valueIxEEEEEEEEEEEE10hipError_tPvRmT3_T4_T5_T6_T7_T9_mT8_P12ihipStream_tbDpT10_ENKUlT_T0_E_clISt17integral_constantIbLb1EES1K_EEDaS1F_S1G_EUlS1F_E_NS1_11comp_targetILNS1_3genE10ELNS1_11target_archE1200ELNS1_3gpuE4ELNS1_3repE0EEENS1_30default_config_static_selectorELNS0_4arch9wavefront6targetE0EEEvT1_,comdat
	.protected	_ZN7rocprim17ROCPRIM_400000_NS6detail17trampoline_kernelINS0_14default_configENS1_25partition_config_selectorILNS1_17partition_subalgoE6ExNS0_10empty_typeEbEEZZNS1_14partition_implILS5_6ELb0ES3_mN6thrust23THRUST_200600_302600_NS6detail15normal_iteratorINSA_10device_ptrIxEEEEPS6_SG_NS0_5tupleIJSF_S6_EEENSH_IJSG_SG_EEES6_PlJNSB_9not_fun_tINSB_10functional5actorINSM_9compositeIJNSM_27transparent_binary_operatorINSA_8equal_toIvEEEENSN_INSM_8argumentILj0EEEEENSM_5valueIxEEEEEEEEEEEE10hipError_tPvRmT3_T4_T5_T6_T7_T9_mT8_P12ihipStream_tbDpT10_ENKUlT_T0_E_clISt17integral_constantIbLb1EES1K_EEDaS1F_S1G_EUlS1F_E_NS1_11comp_targetILNS1_3genE10ELNS1_11target_archE1200ELNS1_3gpuE4ELNS1_3repE0EEENS1_30default_config_static_selectorELNS0_4arch9wavefront6targetE0EEEvT1_ ; -- Begin function _ZN7rocprim17ROCPRIM_400000_NS6detail17trampoline_kernelINS0_14default_configENS1_25partition_config_selectorILNS1_17partition_subalgoE6ExNS0_10empty_typeEbEEZZNS1_14partition_implILS5_6ELb0ES3_mN6thrust23THRUST_200600_302600_NS6detail15normal_iteratorINSA_10device_ptrIxEEEEPS6_SG_NS0_5tupleIJSF_S6_EEENSH_IJSG_SG_EEES6_PlJNSB_9not_fun_tINSB_10functional5actorINSM_9compositeIJNSM_27transparent_binary_operatorINSA_8equal_toIvEEEENSN_INSM_8argumentILj0EEEEENSM_5valueIxEEEEEEEEEEEE10hipError_tPvRmT3_T4_T5_T6_T7_T9_mT8_P12ihipStream_tbDpT10_ENKUlT_T0_E_clISt17integral_constantIbLb1EES1K_EEDaS1F_S1G_EUlS1F_E_NS1_11comp_targetILNS1_3genE10ELNS1_11target_archE1200ELNS1_3gpuE4ELNS1_3repE0EEENS1_30default_config_static_selectorELNS0_4arch9wavefront6targetE0EEEvT1_
	.globl	_ZN7rocprim17ROCPRIM_400000_NS6detail17trampoline_kernelINS0_14default_configENS1_25partition_config_selectorILNS1_17partition_subalgoE6ExNS0_10empty_typeEbEEZZNS1_14partition_implILS5_6ELb0ES3_mN6thrust23THRUST_200600_302600_NS6detail15normal_iteratorINSA_10device_ptrIxEEEEPS6_SG_NS0_5tupleIJSF_S6_EEENSH_IJSG_SG_EEES6_PlJNSB_9not_fun_tINSB_10functional5actorINSM_9compositeIJNSM_27transparent_binary_operatorINSA_8equal_toIvEEEENSN_INSM_8argumentILj0EEEEENSM_5valueIxEEEEEEEEEEEE10hipError_tPvRmT3_T4_T5_T6_T7_T9_mT8_P12ihipStream_tbDpT10_ENKUlT_T0_E_clISt17integral_constantIbLb1EES1K_EEDaS1F_S1G_EUlS1F_E_NS1_11comp_targetILNS1_3genE10ELNS1_11target_archE1200ELNS1_3gpuE4ELNS1_3repE0EEENS1_30default_config_static_selectorELNS0_4arch9wavefront6targetE0EEEvT1_
	.p2align	8
	.type	_ZN7rocprim17ROCPRIM_400000_NS6detail17trampoline_kernelINS0_14default_configENS1_25partition_config_selectorILNS1_17partition_subalgoE6ExNS0_10empty_typeEbEEZZNS1_14partition_implILS5_6ELb0ES3_mN6thrust23THRUST_200600_302600_NS6detail15normal_iteratorINSA_10device_ptrIxEEEEPS6_SG_NS0_5tupleIJSF_S6_EEENSH_IJSG_SG_EEES6_PlJNSB_9not_fun_tINSB_10functional5actorINSM_9compositeIJNSM_27transparent_binary_operatorINSA_8equal_toIvEEEENSN_INSM_8argumentILj0EEEEENSM_5valueIxEEEEEEEEEEEE10hipError_tPvRmT3_T4_T5_T6_T7_T9_mT8_P12ihipStream_tbDpT10_ENKUlT_T0_E_clISt17integral_constantIbLb1EES1K_EEDaS1F_S1G_EUlS1F_E_NS1_11comp_targetILNS1_3genE10ELNS1_11target_archE1200ELNS1_3gpuE4ELNS1_3repE0EEENS1_30default_config_static_selectorELNS0_4arch9wavefront6targetE0EEEvT1_,@function
_ZN7rocprim17ROCPRIM_400000_NS6detail17trampoline_kernelINS0_14default_configENS1_25partition_config_selectorILNS1_17partition_subalgoE6ExNS0_10empty_typeEbEEZZNS1_14partition_implILS5_6ELb0ES3_mN6thrust23THRUST_200600_302600_NS6detail15normal_iteratorINSA_10device_ptrIxEEEEPS6_SG_NS0_5tupleIJSF_S6_EEENSH_IJSG_SG_EEES6_PlJNSB_9not_fun_tINSB_10functional5actorINSM_9compositeIJNSM_27transparent_binary_operatorINSA_8equal_toIvEEEENSN_INSM_8argumentILj0EEEEENSM_5valueIxEEEEEEEEEEEE10hipError_tPvRmT3_T4_T5_T6_T7_T9_mT8_P12ihipStream_tbDpT10_ENKUlT_T0_E_clISt17integral_constantIbLb1EES1K_EEDaS1F_S1G_EUlS1F_E_NS1_11comp_targetILNS1_3genE10ELNS1_11target_archE1200ELNS1_3gpuE4ELNS1_3repE0EEENS1_30default_config_static_selectorELNS0_4arch9wavefront6targetE0EEEvT1_: ; @_ZN7rocprim17ROCPRIM_400000_NS6detail17trampoline_kernelINS0_14default_configENS1_25partition_config_selectorILNS1_17partition_subalgoE6ExNS0_10empty_typeEbEEZZNS1_14partition_implILS5_6ELb0ES3_mN6thrust23THRUST_200600_302600_NS6detail15normal_iteratorINSA_10device_ptrIxEEEEPS6_SG_NS0_5tupleIJSF_S6_EEENSH_IJSG_SG_EEES6_PlJNSB_9not_fun_tINSB_10functional5actorINSM_9compositeIJNSM_27transparent_binary_operatorINSA_8equal_toIvEEEENSN_INSM_8argumentILj0EEEEENSM_5valueIxEEEEEEEEEEEE10hipError_tPvRmT3_T4_T5_T6_T7_T9_mT8_P12ihipStream_tbDpT10_ENKUlT_T0_E_clISt17integral_constantIbLb1EES1K_EEDaS1F_S1G_EUlS1F_E_NS1_11comp_targetILNS1_3genE10ELNS1_11target_archE1200ELNS1_3gpuE4ELNS1_3repE0EEENS1_30default_config_static_selectorELNS0_4arch9wavefront6targetE0EEEvT1_
; %bb.0:
	s_endpgm
	.section	.rodata,"a",@progbits
	.p2align	6, 0x0
	.amdhsa_kernel _ZN7rocprim17ROCPRIM_400000_NS6detail17trampoline_kernelINS0_14default_configENS1_25partition_config_selectorILNS1_17partition_subalgoE6ExNS0_10empty_typeEbEEZZNS1_14partition_implILS5_6ELb0ES3_mN6thrust23THRUST_200600_302600_NS6detail15normal_iteratorINSA_10device_ptrIxEEEEPS6_SG_NS0_5tupleIJSF_S6_EEENSH_IJSG_SG_EEES6_PlJNSB_9not_fun_tINSB_10functional5actorINSM_9compositeIJNSM_27transparent_binary_operatorINSA_8equal_toIvEEEENSN_INSM_8argumentILj0EEEEENSM_5valueIxEEEEEEEEEEEE10hipError_tPvRmT3_T4_T5_T6_T7_T9_mT8_P12ihipStream_tbDpT10_ENKUlT_T0_E_clISt17integral_constantIbLb1EES1K_EEDaS1F_S1G_EUlS1F_E_NS1_11comp_targetILNS1_3genE10ELNS1_11target_archE1200ELNS1_3gpuE4ELNS1_3repE0EEENS1_30default_config_static_selectorELNS0_4arch9wavefront6targetE0EEEvT1_
		.amdhsa_group_segment_fixed_size 0
		.amdhsa_private_segment_fixed_size 0
		.amdhsa_kernarg_size 136
		.amdhsa_user_sgpr_count 2
		.amdhsa_user_sgpr_dispatch_ptr 0
		.amdhsa_user_sgpr_queue_ptr 0
		.amdhsa_user_sgpr_kernarg_segment_ptr 1
		.amdhsa_user_sgpr_dispatch_id 0
		.amdhsa_user_sgpr_private_segment_size 0
		.amdhsa_wavefront_size32 1
		.amdhsa_uses_dynamic_stack 0
		.amdhsa_enable_private_segment 0
		.amdhsa_system_sgpr_workgroup_id_x 1
		.amdhsa_system_sgpr_workgroup_id_y 0
		.amdhsa_system_sgpr_workgroup_id_z 0
		.amdhsa_system_sgpr_workgroup_info 0
		.amdhsa_system_vgpr_workitem_id 0
		.amdhsa_next_free_vgpr 1
		.amdhsa_next_free_sgpr 1
		.amdhsa_reserve_vcc 0
		.amdhsa_float_round_mode_32 0
		.amdhsa_float_round_mode_16_64 0
		.amdhsa_float_denorm_mode_32 3
		.amdhsa_float_denorm_mode_16_64 3
		.amdhsa_fp16_overflow 0
		.amdhsa_workgroup_processor_mode 1
		.amdhsa_memory_ordered 1
		.amdhsa_forward_progress 1
		.amdhsa_inst_pref_size 1
		.amdhsa_round_robin_scheduling 0
		.amdhsa_exception_fp_ieee_invalid_op 0
		.amdhsa_exception_fp_denorm_src 0
		.amdhsa_exception_fp_ieee_div_zero 0
		.amdhsa_exception_fp_ieee_overflow 0
		.amdhsa_exception_fp_ieee_underflow 0
		.amdhsa_exception_fp_ieee_inexact 0
		.amdhsa_exception_int_div_zero 0
	.end_amdhsa_kernel
	.section	.text._ZN7rocprim17ROCPRIM_400000_NS6detail17trampoline_kernelINS0_14default_configENS1_25partition_config_selectorILNS1_17partition_subalgoE6ExNS0_10empty_typeEbEEZZNS1_14partition_implILS5_6ELb0ES3_mN6thrust23THRUST_200600_302600_NS6detail15normal_iteratorINSA_10device_ptrIxEEEEPS6_SG_NS0_5tupleIJSF_S6_EEENSH_IJSG_SG_EEES6_PlJNSB_9not_fun_tINSB_10functional5actorINSM_9compositeIJNSM_27transparent_binary_operatorINSA_8equal_toIvEEEENSN_INSM_8argumentILj0EEEEENSM_5valueIxEEEEEEEEEEEE10hipError_tPvRmT3_T4_T5_T6_T7_T9_mT8_P12ihipStream_tbDpT10_ENKUlT_T0_E_clISt17integral_constantIbLb1EES1K_EEDaS1F_S1G_EUlS1F_E_NS1_11comp_targetILNS1_3genE10ELNS1_11target_archE1200ELNS1_3gpuE4ELNS1_3repE0EEENS1_30default_config_static_selectorELNS0_4arch9wavefront6targetE0EEEvT1_,"axG",@progbits,_ZN7rocprim17ROCPRIM_400000_NS6detail17trampoline_kernelINS0_14default_configENS1_25partition_config_selectorILNS1_17partition_subalgoE6ExNS0_10empty_typeEbEEZZNS1_14partition_implILS5_6ELb0ES3_mN6thrust23THRUST_200600_302600_NS6detail15normal_iteratorINSA_10device_ptrIxEEEEPS6_SG_NS0_5tupleIJSF_S6_EEENSH_IJSG_SG_EEES6_PlJNSB_9not_fun_tINSB_10functional5actorINSM_9compositeIJNSM_27transparent_binary_operatorINSA_8equal_toIvEEEENSN_INSM_8argumentILj0EEEEENSM_5valueIxEEEEEEEEEEEE10hipError_tPvRmT3_T4_T5_T6_T7_T9_mT8_P12ihipStream_tbDpT10_ENKUlT_T0_E_clISt17integral_constantIbLb1EES1K_EEDaS1F_S1G_EUlS1F_E_NS1_11comp_targetILNS1_3genE10ELNS1_11target_archE1200ELNS1_3gpuE4ELNS1_3repE0EEENS1_30default_config_static_selectorELNS0_4arch9wavefront6targetE0EEEvT1_,comdat
.Lfunc_end192:
	.size	_ZN7rocprim17ROCPRIM_400000_NS6detail17trampoline_kernelINS0_14default_configENS1_25partition_config_selectorILNS1_17partition_subalgoE6ExNS0_10empty_typeEbEEZZNS1_14partition_implILS5_6ELb0ES3_mN6thrust23THRUST_200600_302600_NS6detail15normal_iteratorINSA_10device_ptrIxEEEEPS6_SG_NS0_5tupleIJSF_S6_EEENSH_IJSG_SG_EEES6_PlJNSB_9not_fun_tINSB_10functional5actorINSM_9compositeIJNSM_27transparent_binary_operatorINSA_8equal_toIvEEEENSN_INSM_8argumentILj0EEEEENSM_5valueIxEEEEEEEEEEEE10hipError_tPvRmT3_T4_T5_T6_T7_T9_mT8_P12ihipStream_tbDpT10_ENKUlT_T0_E_clISt17integral_constantIbLb1EES1K_EEDaS1F_S1G_EUlS1F_E_NS1_11comp_targetILNS1_3genE10ELNS1_11target_archE1200ELNS1_3gpuE4ELNS1_3repE0EEENS1_30default_config_static_selectorELNS0_4arch9wavefront6targetE0EEEvT1_, .Lfunc_end192-_ZN7rocprim17ROCPRIM_400000_NS6detail17trampoline_kernelINS0_14default_configENS1_25partition_config_selectorILNS1_17partition_subalgoE6ExNS0_10empty_typeEbEEZZNS1_14partition_implILS5_6ELb0ES3_mN6thrust23THRUST_200600_302600_NS6detail15normal_iteratorINSA_10device_ptrIxEEEEPS6_SG_NS0_5tupleIJSF_S6_EEENSH_IJSG_SG_EEES6_PlJNSB_9not_fun_tINSB_10functional5actorINSM_9compositeIJNSM_27transparent_binary_operatorINSA_8equal_toIvEEEENSN_INSM_8argumentILj0EEEEENSM_5valueIxEEEEEEEEEEEE10hipError_tPvRmT3_T4_T5_T6_T7_T9_mT8_P12ihipStream_tbDpT10_ENKUlT_T0_E_clISt17integral_constantIbLb1EES1K_EEDaS1F_S1G_EUlS1F_E_NS1_11comp_targetILNS1_3genE10ELNS1_11target_archE1200ELNS1_3gpuE4ELNS1_3repE0EEENS1_30default_config_static_selectorELNS0_4arch9wavefront6targetE0EEEvT1_
                                        ; -- End function
	.set _ZN7rocprim17ROCPRIM_400000_NS6detail17trampoline_kernelINS0_14default_configENS1_25partition_config_selectorILNS1_17partition_subalgoE6ExNS0_10empty_typeEbEEZZNS1_14partition_implILS5_6ELb0ES3_mN6thrust23THRUST_200600_302600_NS6detail15normal_iteratorINSA_10device_ptrIxEEEEPS6_SG_NS0_5tupleIJSF_S6_EEENSH_IJSG_SG_EEES6_PlJNSB_9not_fun_tINSB_10functional5actorINSM_9compositeIJNSM_27transparent_binary_operatorINSA_8equal_toIvEEEENSN_INSM_8argumentILj0EEEEENSM_5valueIxEEEEEEEEEEEE10hipError_tPvRmT3_T4_T5_T6_T7_T9_mT8_P12ihipStream_tbDpT10_ENKUlT_T0_E_clISt17integral_constantIbLb1EES1K_EEDaS1F_S1G_EUlS1F_E_NS1_11comp_targetILNS1_3genE10ELNS1_11target_archE1200ELNS1_3gpuE4ELNS1_3repE0EEENS1_30default_config_static_selectorELNS0_4arch9wavefront6targetE0EEEvT1_.num_vgpr, 0
	.set _ZN7rocprim17ROCPRIM_400000_NS6detail17trampoline_kernelINS0_14default_configENS1_25partition_config_selectorILNS1_17partition_subalgoE6ExNS0_10empty_typeEbEEZZNS1_14partition_implILS5_6ELb0ES3_mN6thrust23THRUST_200600_302600_NS6detail15normal_iteratorINSA_10device_ptrIxEEEEPS6_SG_NS0_5tupleIJSF_S6_EEENSH_IJSG_SG_EEES6_PlJNSB_9not_fun_tINSB_10functional5actorINSM_9compositeIJNSM_27transparent_binary_operatorINSA_8equal_toIvEEEENSN_INSM_8argumentILj0EEEEENSM_5valueIxEEEEEEEEEEEE10hipError_tPvRmT3_T4_T5_T6_T7_T9_mT8_P12ihipStream_tbDpT10_ENKUlT_T0_E_clISt17integral_constantIbLb1EES1K_EEDaS1F_S1G_EUlS1F_E_NS1_11comp_targetILNS1_3genE10ELNS1_11target_archE1200ELNS1_3gpuE4ELNS1_3repE0EEENS1_30default_config_static_selectorELNS0_4arch9wavefront6targetE0EEEvT1_.num_agpr, 0
	.set _ZN7rocprim17ROCPRIM_400000_NS6detail17trampoline_kernelINS0_14default_configENS1_25partition_config_selectorILNS1_17partition_subalgoE6ExNS0_10empty_typeEbEEZZNS1_14partition_implILS5_6ELb0ES3_mN6thrust23THRUST_200600_302600_NS6detail15normal_iteratorINSA_10device_ptrIxEEEEPS6_SG_NS0_5tupleIJSF_S6_EEENSH_IJSG_SG_EEES6_PlJNSB_9not_fun_tINSB_10functional5actorINSM_9compositeIJNSM_27transparent_binary_operatorINSA_8equal_toIvEEEENSN_INSM_8argumentILj0EEEEENSM_5valueIxEEEEEEEEEEEE10hipError_tPvRmT3_T4_T5_T6_T7_T9_mT8_P12ihipStream_tbDpT10_ENKUlT_T0_E_clISt17integral_constantIbLb1EES1K_EEDaS1F_S1G_EUlS1F_E_NS1_11comp_targetILNS1_3genE10ELNS1_11target_archE1200ELNS1_3gpuE4ELNS1_3repE0EEENS1_30default_config_static_selectorELNS0_4arch9wavefront6targetE0EEEvT1_.numbered_sgpr, 0
	.set _ZN7rocprim17ROCPRIM_400000_NS6detail17trampoline_kernelINS0_14default_configENS1_25partition_config_selectorILNS1_17partition_subalgoE6ExNS0_10empty_typeEbEEZZNS1_14partition_implILS5_6ELb0ES3_mN6thrust23THRUST_200600_302600_NS6detail15normal_iteratorINSA_10device_ptrIxEEEEPS6_SG_NS0_5tupleIJSF_S6_EEENSH_IJSG_SG_EEES6_PlJNSB_9not_fun_tINSB_10functional5actorINSM_9compositeIJNSM_27transparent_binary_operatorINSA_8equal_toIvEEEENSN_INSM_8argumentILj0EEEEENSM_5valueIxEEEEEEEEEEEE10hipError_tPvRmT3_T4_T5_T6_T7_T9_mT8_P12ihipStream_tbDpT10_ENKUlT_T0_E_clISt17integral_constantIbLb1EES1K_EEDaS1F_S1G_EUlS1F_E_NS1_11comp_targetILNS1_3genE10ELNS1_11target_archE1200ELNS1_3gpuE4ELNS1_3repE0EEENS1_30default_config_static_selectorELNS0_4arch9wavefront6targetE0EEEvT1_.num_named_barrier, 0
	.set _ZN7rocprim17ROCPRIM_400000_NS6detail17trampoline_kernelINS0_14default_configENS1_25partition_config_selectorILNS1_17partition_subalgoE6ExNS0_10empty_typeEbEEZZNS1_14partition_implILS5_6ELb0ES3_mN6thrust23THRUST_200600_302600_NS6detail15normal_iteratorINSA_10device_ptrIxEEEEPS6_SG_NS0_5tupleIJSF_S6_EEENSH_IJSG_SG_EEES6_PlJNSB_9not_fun_tINSB_10functional5actorINSM_9compositeIJNSM_27transparent_binary_operatorINSA_8equal_toIvEEEENSN_INSM_8argumentILj0EEEEENSM_5valueIxEEEEEEEEEEEE10hipError_tPvRmT3_T4_T5_T6_T7_T9_mT8_P12ihipStream_tbDpT10_ENKUlT_T0_E_clISt17integral_constantIbLb1EES1K_EEDaS1F_S1G_EUlS1F_E_NS1_11comp_targetILNS1_3genE10ELNS1_11target_archE1200ELNS1_3gpuE4ELNS1_3repE0EEENS1_30default_config_static_selectorELNS0_4arch9wavefront6targetE0EEEvT1_.private_seg_size, 0
	.set _ZN7rocprim17ROCPRIM_400000_NS6detail17trampoline_kernelINS0_14default_configENS1_25partition_config_selectorILNS1_17partition_subalgoE6ExNS0_10empty_typeEbEEZZNS1_14partition_implILS5_6ELb0ES3_mN6thrust23THRUST_200600_302600_NS6detail15normal_iteratorINSA_10device_ptrIxEEEEPS6_SG_NS0_5tupleIJSF_S6_EEENSH_IJSG_SG_EEES6_PlJNSB_9not_fun_tINSB_10functional5actorINSM_9compositeIJNSM_27transparent_binary_operatorINSA_8equal_toIvEEEENSN_INSM_8argumentILj0EEEEENSM_5valueIxEEEEEEEEEEEE10hipError_tPvRmT3_T4_T5_T6_T7_T9_mT8_P12ihipStream_tbDpT10_ENKUlT_T0_E_clISt17integral_constantIbLb1EES1K_EEDaS1F_S1G_EUlS1F_E_NS1_11comp_targetILNS1_3genE10ELNS1_11target_archE1200ELNS1_3gpuE4ELNS1_3repE0EEENS1_30default_config_static_selectorELNS0_4arch9wavefront6targetE0EEEvT1_.uses_vcc, 0
	.set _ZN7rocprim17ROCPRIM_400000_NS6detail17trampoline_kernelINS0_14default_configENS1_25partition_config_selectorILNS1_17partition_subalgoE6ExNS0_10empty_typeEbEEZZNS1_14partition_implILS5_6ELb0ES3_mN6thrust23THRUST_200600_302600_NS6detail15normal_iteratorINSA_10device_ptrIxEEEEPS6_SG_NS0_5tupleIJSF_S6_EEENSH_IJSG_SG_EEES6_PlJNSB_9not_fun_tINSB_10functional5actorINSM_9compositeIJNSM_27transparent_binary_operatorINSA_8equal_toIvEEEENSN_INSM_8argumentILj0EEEEENSM_5valueIxEEEEEEEEEEEE10hipError_tPvRmT3_T4_T5_T6_T7_T9_mT8_P12ihipStream_tbDpT10_ENKUlT_T0_E_clISt17integral_constantIbLb1EES1K_EEDaS1F_S1G_EUlS1F_E_NS1_11comp_targetILNS1_3genE10ELNS1_11target_archE1200ELNS1_3gpuE4ELNS1_3repE0EEENS1_30default_config_static_selectorELNS0_4arch9wavefront6targetE0EEEvT1_.uses_flat_scratch, 0
	.set _ZN7rocprim17ROCPRIM_400000_NS6detail17trampoline_kernelINS0_14default_configENS1_25partition_config_selectorILNS1_17partition_subalgoE6ExNS0_10empty_typeEbEEZZNS1_14partition_implILS5_6ELb0ES3_mN6thrust23THRUST_200600_302600_NS6detail15normal_iteratorINSA_10device_ptrIxEEEEPS6_SG_NS0_5tupleIJSF_S6_EEENSH_IJSG_SG_EEES6_PlJNSB_9not_fun_tINSB_10functional5actorINSM_9compositeIJNSM_27transparent_binary_operatorINSA_8equal_toIvEEEENSN_INSM_8argumentILj0EEEEENSM_5valueIxEEEEEEEEEEEE10hipError_tPvRmT3_T4_T5_T6_T7_T9_mT8_P12ihipStream_tbDpT10_ENKUlT_T0_E_clISt17integral_constantIbLb1EES1K_EEDaS1F_S1G_EUlS1F_E_NS1_11comp_targetILNS1_3genE10ELNS1_11target_archE1200ELNS1_3gpuE4ELNS1_3repE0EEENS1_30default_config_static_selectorELNS0_4arch9wavefront6targetE0EEEvT1_.has_dyn_sized_stack, 0
	.set _ZN7rocprim17ROCPRIM_400000_NS6detail17trampoline_kernelINS0_14default_configENS1_25partition_config_selectorILNS1_17partition_subalgoE6ExNS0_10empty_typeEbEEZZNS1_14partition_implILS5_6ELb0ES3_mN6thrust23THRUST_200600_302600_NS6detail15normal_iteratorINSA_10device_ptrIxEEEEPS6_SG_NS0_5tupleIJSF_S6_EEENSH_IJSG_SG_EEES6_PlJNSB_9not_fun_tINSB_10functional5actorINSM_9compositeIJNSM_27transparent_binary_operatorINSA_8equal_toIvEEEENSN_INSM_8argumentILj0EEEEENSM_5valueIxEEEEEEEEEEEE10hipError_tPvRmT3_T4_T5_T6_T7_T9_mT8_P12ihipStream_tbDpT10_ENKUlT_T0_E_clISt17integral_constantIbLb1EES1K_EEDaS1F_S1G_EUlS1F_E_NS1_11comp_targetILNS1_3genE10ELNS1_11target_archE1200ELNS1_3gpuE4ELNS1_3repE0EEENS1_30default_config_static_selectorELNS0_4arch9wavefront6targetE0EEEvT1_.has_recursion, 0
	.set _ZN7rocprim17ROCPRIM_400000_NS6detail17trampoline_kernelINS0_14default_configENS1_25partition_config_selectorILNS1_17partition_subalgoE6ExNS0_10empty_typeEbEEZZNS1_14partition_implILS5_6ELb0ES3_mN6thrust23THRUST_200600_302600_NS6detail15normal_iteratorINSA_10device_ptrIxEEEEPS6_SG_NS0_5tupleIJSF_S6_EEENSH_IJSG_SG_EEES6_PlJNSB_9not_fun_tINSB_10functional5actorINSM_9compositeIJNSM_27transparent_binary_operatorINSA_8equal_toIvEEEENSN_INSM_8argumentILj0EEEEENSM_5valueIxEEEEEEEEEEEE10hipError_tPvRmT3_T4_T5_T6_T7_T9_mT8_P12ihipStream_tbDpT10_ENKUlT_T0_E_clISt17integral_constantIbLb1EES1K_EEDaS1F_S1G_EUlS1F_E_NS1_11comp_targetILNS1_3genE10ELNS1_11target_archE1200ELNS1_3gpuE4ELNS1_3repE0EEENS1_30default_config_static_selectorELNS0_4arch9wavefront6targetE0EEEvT1_.has_indirect_call, 0
	.section	.AMDGPU.csdata,"",@progbits
; Kernel info:
; codeLenInByte = 4
; TotalNumSgprs: 0
; NumVgprs: 0
; ScratchSize: 0
; MemoryBound: 0
; FloatMode: 240
; IeeeMode: 1
; LDSByteSize: 0 bytes/workgroup (compile time only)
; SGPRBlocks: 0
; VGPRBlocks: 0
; NumSGPRsForWavesPerEU: 1
; NumVGPRsForWavesPerEU: 1
; Occupancy: 16
; WaveLimiterHint : 0
; COMPUTE_PGM_RSRC2:SCRATCH_EN: 0
; COMPUTE_PGM_RSRC2:USER_SGPR: 2
; COMPUTE_PGM_RSRC2:TRAP_HANDLER: 0
; COMPUTE_PGM_RSRC2:TGID_X_EN: 1
; COMPUTE_PGM_RSRC2:TGID_Y_EN: 0
; COMPUTE_PGM_RSRC2:TGID_Z_EN: 0
; COMPUTE_PGM_RSRC2:TIDIG_COMP_CNT: 0
	.section	.text._ZN7rocprim17ROCPRIM_400000_NS6detail17trampoline_kernelINS0_14default_configENS1_25partition_config_selectorILNS1_17partition_subalgoE6ExNS0_10empty_typeEbEEZZNS1_14partition_implILS5_6ELb0ES3_mN6thrust23THRUST_200600_302600_NS6detail15normal_iteratorINSA_10device_ptrIxEEEEPS6_SG_NS0_5tupleIJSF_S6_EEENSH_IJSG_SG_EEES6_PlJNSB_9not_fun_tINSB_10functional5actorINSM_9compositeIJNSM_27transparent_binary_operatorINSA_8equal_toIvEEEENSN_INSM_8argumentILj0EEEEENSM_5valueIxEEEEEEEEEEEE10hipError_tPvRmT3_T4_T5_T6_T7_T9_mT8_P12ihipStream_tbDpT10_ENKUlT_T0_E_clISt17integral_constantIbLb1EES1K_EEDaS1F_S1G_EUlS1F_E_NS1_11comp_targetILNS1_3genE9ELNS1_11target_archE1100ELNS1_3gpuE3ELNS1_3repE0EEENS1_30default_config_static_selectorELNS0_4arch9wavefront6targetE0EEEvT1_,"axG",@progbits,_ZN7rocprim17ROCPRIM_400000_NS6detail17trampoline_kernelINS0_14default_configENS1_25partition_config_selectorILNS1_17partition_subalgoE6ExNS0_10empty_typeEbEEZZNS1_14partition_implILS5_6ELb0ES3_mN6thrust23THRUST_200600_302600_NS6detail15normal_iteratorINSA_10device_ptrIxEEEEPS6_SG_NS0_5tupleIJSF_S6_EEENSH_IJSG_SG_EEES6_PlJNSB_9not_fun_tINSB_10functional5actorINSM_9compositeIJNSM_27transparent_binary_operatorINSA_8equal_toIvEEEENSN_INSM_8argumentILj0EEEEENSM_5valueIxEEEEEEEEEEEE10hipError_tPvRmT3_T4_T5_T6_T7_T9_mT8_P12ihipStream_tbDpT10_ENKUlT_T0_E_clISt17integral_constantIbLb1EES1K_EEDaS1F_S1G_EUlS1F_E_NS1_11comp_targetILNS1_3genE9ELNS1_11target_archE1100ELNS1_3gpuE3ELNS1_3repE0EEENS1_30default_config_static_selectorELNS0_4arch9wavefront6targetE0EEEvT1_,comdat
	.protected	_ZN7rocprim17ROCPRIM_400000_NS6detail17trampoline_kernelINS0_14default_configENS1_25partition_config_selectorILNS1_17partition_subalgoE6ExNS0_10empty_typeEbEEZZNS1_14partition_implILS5_6ELb0ES3_mN6thrust23THRUST_200600_302600_NS6detail15normal_iteratorINSA_10device_ptrIxEEEEPS6_SG_NS0_5tupleIJSF_S6_EEENSH_IJSG_SG_EEES6_PlJNSB_9not_fun_tINSB_10functional5actorINSM_9compositeIJNSM_27transparent_binary_operatorINSA_8equal_toIvEEEENSN_INSM_8argumentILj0EEEEENSM_5valueIxEEEEEEEEEEEE10hipError_tPvRmT3_T4_T5_T6_T7_T9_mT8_P12ihipStream_tbDpT10_ENKUlT_T0_E_clISt17integral_constantIbLb1EES1K_EEDaS1F_S1G_EUlS1F_E_NS1_11comp_targetILNS1_3genE9ELNS1_11target_archE1100ELNS1_3gpuE3ELNS1_3repE0EEENS1_30default_config_static_selectorELNS0_4arch9wavefront6targetE0EEEvT1_ ; -- Begin function _ZN7rocprim17ROCPRIM_400000_NS6detail17trampoline_kernelINS0_14default_configENS1_25partition_config_selectorILNS1_17partition_subalgoE6ExNS0_10empty_typeEbEEZZNS1_14partition_implILS5_6ELb0ES3_mN6thrust23THRUST_200600_302600_NS6detail15normal_iteratorINSA_10device_ptrIxEEEEPS6_SG_NS0_5tupleIJSF_S6_EEENSH_IJSG_SG_EEES6_PlJNSB_9not_fun_tINSB_10functional5actorINSM_9compositeIJNSM_27transparent_binary_operatorINSA_8equal_toIvEEEENSN_INSM_8argumentILj0EEEEENSM_5valueIxEEEEEEEEEEEE10hipError_tPvRmT3_T4_T5_T6_T7_T9_mT8_P12ihipStream_tbDpT10_ENKUlT_T0_E_clISt17integral_constantIbLb1EES1K_EEDaS1F_S1G_EUlS1F_E_NS1_11comp_targetILNS1_3genE9ELNS1_11target_archE1100ELNS1_3gpuE3ELNS1_3repE0EEENS1_30default_config_static_selectorELNS0_4arch9wavefront6targetE0EEEvT1_
	.globl	_ZN7rocprim17ROCPRIM_400000_NS6detail17trampoline_kernelINS0_14default_configENS1_25partition_config_selectorILNS1_17partition_subalgoE6ExNS0_10empty_typeEbEEZZNS1_14partition_implILS5_6ELb0ES3_mN6thrust23THRUST_200600_302600_NS6detail15normal_iteratorINSA_10device_ptrIxEEEEPS6_SG_NS0_5tupleIJSF_S6_EEENSH_IJSG_SG_EEES6_PlJNSB_9not_fun_tINSB_10functional5actorINSM_9compositeIJNSM_27transparent_binary_operatorINSA_8equal_toIvEEEENSN_INSM_8argumentILj0EEEEENSM_5valueIxEEEEEEEEEEEE10hipError_tPvRmT3_T4_T5_T6_T7_T9_mT8_P12ihipStream_tbDpT10_ENKUlT_T0_E_clISt17integral_constantIbLb1EES1K_EEDaS1F_S1G_EUlS1F_E_NS1_11comp_targetILNS1_3genE9ELNS1_11target_archE1100ELNS1_3gpuE3ELNS1_3repE0EEENS1_30default_config_static_selectorELNS0_4arch9wavefront6targetE0EEEvT1_
	.p2align	8
	.type	_ZN7rocprim17ROCPRIM_400000_NS6detail17trampoline_kernelINS0_14default_configENS1_25partition_config_selectorILNS1_17partition_subalgoE6ExNS0_10empty_typeEbEEZZNS1_14partition_implILS5_6ELb0ES3_mN6thrust23THRUST_200600_302600_NS6detail15normal_iteratorINSA_10device_ptrIxEEEEPS6_SG_NS0_5tupleIJSF_S6_EEENSH_IJSG_SG_EEES6_PlJNSB_9not_fun_tINSB_10functional5actorINSM_9compositeIJNSM_27transparent_binary_operatorINSA_8equal_toIvEEEENSN_INSM_8argumentILj0EEEEENSM_5valueIxEEEEEEEEEEEE10hipError_tPvRmT3_T4_T5_T6_T7_T9_mT8_P12ihipStream_tbDpT10_ENKUlT_T0_E_clISt17integral_constantIbLb1EES1K_EEDaS1F_S1G_EUlS1F_E_NS1_11comp_targetILNS1_3genE9ELNS1_11target_archE1100ELNS1_3gpuE3ELNS1_3repE0EEENS1_30default_config_static_selectorELNS0_4arch9wavefront6targetE0EEEvT1_,@function
_ZN7rocprim17ROCPRIM_400000_NS6detail17trampoline_kernelINS0_14default_configENS1_25partition_config_selectorILNS1_17partition_subalgoE6ExNS0_10empty_typeEbEEZZNS1_14partition_implILS5_6ELb0ES3_mN6thrust23THRUST_200600_302600_NS6detail15normal_iteratorINSA_10device_ptrIxEEEEPS6_SG_NS0_5tupleIJSF_S6_EEENSH_IJSG_SG_EEES6_PlJNSB_9not_fun_tINSB_10functional5actorINSM_9compositeIJNSM_27transparent_binary_operatorINSA_8equal_toIvEEEENSN_INSM_8argumentILj0EEEEENSM_5valueIxEEEEEEEEEEEE10hipError_tPvRmT3_T4_T5_T6_T7_T9_mT8_P12ihipStream_tbDpT10_ENKUlT_T0_E_clISt17integral_constantIbLb1EES1K_EEDaS1F_S1G_EUlS1F_E_NS1_11comp_targetILNS1_3genE9ELNS1_11target_archE1100ELNS1_3gpuE3ELNS1_3repE0EEENS1_30default_config_static_selectorELNS0_4arch9wavefront6targetE0EEEvT1_: ; @_ZN7rocprim17ROCPRIM_400000_NS6detail17trampoline_kernelINS0_14default_configENS1_25partition_config_selectorILNS1_17partition_subalgoE6ExNS0_10empty_typeEbEEZZNS1_14partition_implILS5_6ELb0ES3_mN6thrust23THRUST_200600_302600_NS6detail15normal_iteratorINSA_10device_ptrIxEEEEPS6_SG_NS0_5tupleIJSF_S6_EEENSH_IJSG_SG_EEES6_PlJNSB_9not_fun_tINSB_10functional5actorINSM_9compositeIJNSM_27transparent_binary_operatorINSA_8equal_toIvEEEENSN_INSM_8argumentILj0EEEEENSM_5valueIxEEEEEEEEEEEE10hipError_tPvRmT3_T4_T5_T6_T7_T9_mT8_P12ihipStream_tbDpT10_ENKUlT_T0_E_clISt17integral_constantIbLb1EES1K_EEDaS1F_S1G_EUlS1F_E_NS1_11comp_targetILNS1_3genE9ELNS1_11target_archE1100ELNS1_3gpuE3ELNS1_3repE0EEENS1_30default_config_static_selectorELNS0_4arch9wavefront6targetE0EEEvT1_
; %bb.0:
	.section	.rodata,"a",@progbits
	.p2align	6, 0x0
	.amdhsa_kernel _ZN7rocprim17ROCPRIM_400000_NS6detail17trampoline_kernelINS0_14default_configENS1_25partition_config_selectorILNS1_17partition_subalgoE6ExNS0_10empty_typeEbEEZZNS1_14partition_implILS5_6ELb0ES3_mN6thrust23THRUST_200600_302600_NS6detail15normal_iteratorINSA_10device_ptrIxEEEEPS6_SG_NS0_5tupleIJSF_S6_EEENSH_IJSG_SG_EEES6_PlJNSB_9not_fun_tINSB_10functional5actorINSM_9compositeIJNSM_27transparent_binary_operatorINSA_8equal_toIvEEEENSN_INSM_8argumentILj0EEEEENSM_5valueIxEEEEEEEEEEEE10hipError_tPvRmT3_T4_T5_T6_T7_T9_mT8_P12ihipStream_tbDpT10_ENKUlT_T0_E_clISt17integral_constantIbLb1EES1K_EEDaS1F_S1G_EUlS1F_E_NS1_11comp_targetILNS1_3genE9ELNS1_11target_archE1100ELNS1_3gpuE3ELNS1_3repE0EEENS1_30default_config_static_selectorELNS0_4arch9wavefront6targetE0EEEvT1_
		.amdhsa_group_segment_fixed_size 0
		.amdhsa_private_segment_fixed_size 0
		.amdhsa_kernarg_size 136
		.amdhsa_user_sgpr_count 2
		.amdhsa_user_sgpr_dispatch_ptr 0
		.amdhsa_user_sgpr_queue_ptr 0
		.amdhsa_user_sgpr_kernarg_segment_ptr 1
		.amdhsa_user_sgpr_dispatch_id 0
		.amdhsa_user_sgpr_private_segment_size 0
		.amdhsa_wavefront_size32 1
		.amdhsa_uses_dynamic_stack 0
		.amdhsa_enable_private_segment 0
		.amdhsa_system_sgpr_workgroup_id_x 1
		.amdhsa_system_sgpr_workgroup_id_y 0
		.amdhsa_system_sgpr_workgroup_id_z 0
		.amdhsa_system_sgpr_workgroup_info 0
		.amdhsa_system_vgpr_workitem_id 0
		.amdhsa_next_free_vgpr 1
		.amdhsa_next_free_sgpr 1
		.amdhsa_reserve_vcc 0
		.amdhsa_float_round_mode_32 0
		.amdhsa_float_round_mode_16_64 0
		.amdhsa_float_denorm_mode_32 3
		.amdhsa_float_denorm_mode_16_64 3
		.amdhsa_fp16_overflow 0
		.amdhsa_workgroup_processor_mode 1
		.amdhsa_memory_ordered 1
		.amdhsa_forward_progress 1
		.amdhsa_inst_pref_size 0
		.amdhsa_round_robin_scheduling 0
		.amdhsa_exception_fp_ieee_invalid_op 0
		.amdhsa_exception_fp_denorm_src 0
		.amdhsa_exception_fp_ieee_div_zero 0
		.amdhsa_exception_fp_ieee_overflow 0
		.amdhsa_exception_fp_ieee_underflow 0
		.amdhsa_exception_fp_ieee_inexact 0
		.amdhsa_exception_int_div_zero 0
	.end_amdhsa_kernel
	.section	.text._ZN7rocprim17ROCPRIM_400000_NS6detail17trampoline_kernelINS0_14default_configENS1_25partition_config_selectorILNS1_17partition_subalgoE6ExNS0_10empty_typeEbEEZZNS1_14partition_implILS5_6ELb0ES3_mN6thrust23THRUST_200600_302600_NS6detail15normal_iteratorINSA_10device_ptrIxEEEEPS6_SG_NS0_5tupleIJSF_S6_EEENSH_IJSG_SG_EEES6_PlJNSB_9not_fun_tINSB_10functional5actorINSM_9compositeIJNSM_27transparent_binary_operatorINSA_8equal_toIvEEEENSN_INSM_8argumentILj0EEEEENSM_5valueIxEEEEEEEEEEEE10hipError_tPvRmT3_T4_T5_T6_T7_T9_mT8_P12ihipStream_tbDpT10_ENKUlT_T0_E_clISt17integral_constantIbLb1EES1K_EEDaS1F_S1G_EUlS1F_E_NS1_11comp_targetILNS1_3genE9ELNS1_11target_archE1100ELNS1_3gpuE3ELNS1_3repE0EEENS1_30default_config_static_selectorELNS0_4arch9wavefront6targetE0EEEvT1_,"axG",@progbits,_ZN7rocprim17ROCPRIM_400000_NS6detail17trampoline_kernelINS0_14default_configENS1_25partition_config_selectorILNS1_17partition_subalgoE6ExNS0_10empty_typeEbEEZZNS1_14partition_implILS5_6ELb0ES3_mN6thrust23THRUST_200600_302600_NS6detail15normal_iteratorINSA_10device_ptrIxEEEEPS6_SG_NS0_5tupleIJSF_S6_EEENSH_IJSG_SG_EEES6_PlJNSB_9not_fun_tINSB_10functional5actorINSM_9compositeIJNSM_27transparent_binary_operatorINSA_8equal_toIvEEEENSN_INSM_8argumentILj0EEEEENSM_5valueIxEEEEEEEEEEEE10hipError_tPvRmT3_T4_T5_T6_T7_T9_mT8_P12ihipStream_tbDpT10_ENKUlT_T0_E_clISt17integral_constantIbLb1EES1K_EEDaS1F_S1G_EUlS1F_E_NS1_11comp_targetILNS1_3genE9ELNS1_11target_archE1100ELNS1_3gpuE3ELNS1_3repE0EEENS1_30default_config_static_selectorELNS0_4arch9wavefront6targetE0EEEvT1_,comdat
.Lfunc_end193:
	.size	_ZN7rocprim17ROCPRIM_400000_NS6detail17trampoline_kernelINS0_14default_configENS1_25partition_config_selectorILNS1_17partition_subalgoE6ExNS0_10empty_typeEbEEZZNS1_14partition_implILS5_6ELb0ES3_mN6thrust23THRUST_200600_302600_NS6detail15normal_iteratorINSA_10device_ptrIxEEEEPS6_SG_NS0_5tupleIJSF_S6_EEENSH_IJSG_SG_EEES6_PlJNSB_9not_fun_tINSB_10functional5actorINSM_9compositeIJNSM_27transparent_binary_operatorINSA_8equal_toIvEEEENSN_INSM_8argumentILj0EEEEENSM_5valueIxEEEEEEEEEEEE10hipError_tPvRmT3_T4_T5_T6_T7_T9_mT8_P12ihipStream_tbDpT10_ENKUlT_T0_E_clISt17integral_constantIbLb1EES1K_EEDaS1F_S1G_EUlS1F_E_NS1_11comp_targetILNS1_3genE9ELNS1_11target_archE1100ELNS1_3gpuE3ELNS1_3repE0EEENS1_30default_config_static_selectorELNS0_4arch9wavefront6targetE0EEEvT1_, .Lfunc_end193-_ZN7rocprim17ROCPRIM_400000_NS6detail17trampoline_kernelINS0_14default_configENS1_25partition_config_selectorILNS1_17partition_subalgoE6ExNS0_10empty_typeEbEEZZNS1_14partition_implILS5_6ELb0ES3_mN6thrust23THRUST_200600_302600_NS6detail15normal_iteratorINSA_10device_ptrIxEEEEPS6_SG_NS0_5tupleIJSF_S6_EEENSH_IJSG_SG_EEES6_PlJNSB_9not_fun_tINSB_10functional5actorINSM_9compositeIJNSM_27transparent_binary_operatorINSA_8equal_toIvEEEENSN_INSM_8argumentILj0EEEEENSM_5valueIxEEEEEEEEEEEE10hipError_tPvRmT3_T4_T5_T6_T7_T9_mT8_P12ihipStream_tbDpT10_ENKUlT_T0_E_clISt17integral_constantIbLb1EES1K_EEDaS1F_S1G_EUlS1F_E_NS1_11comp_targetILNS1_3genE9ELNS1_11target_archE1100ELNS1_3gpuE3ELNS1_3repE0EEENS1_30default_config_static_selectorELNS0_4arch9wavefront6targetE0EEEvT1_
                                        ; -- End function
	.set _ZN7rocprim17ROCPRIM_400000_NS6detail17trampoline_kernelINS0_14default_configENS1_25partition_config_selectorILNS1_17partition_subalgoE6ExNS0_10empty_typeEbEEZZNS1_14partition_implILS5_6ELb0ES3_mN6thrust23THRUST_200600_302600_NS6detail15normal_iteratorINSA_10device_ptrIxEEEEPS6_SG_NS0_5tupleIJSF_S6_EEENSH_IJSG_SG_EEES6_PlJNSB_9not_fun_tINSB_10functional5actorINSM_9compositeIJNSM_27transparent_binary_operatorINSA_8equal_toIvEEEENSN_INSM_8argumentILj0EEEEENSM_5valueIxEEEEEEEEEEEE10hipError_tPvRmT3_T4_T5_T6_T7_T9_mT8_P12ihipStream_tbDpT10_ENKUlT_T0_E_clISt17integral_constantIbLb1EES1K_EEDaS1F_S1G_EUlS1F_E_NS1_11comp_targetILNS1_3genE9ELNS1_11target_archE1100ELNS1_3gpuE3ELNS1_3repE0EEENS1_30default_config_static_selectorELNS0_4arch9wavefront6targetE0EEEvT1_.num_vgpr, 0
	.set _ZN7rocprim17ROCPRIM_400000_NS6detail17trampoline_kernelINS0_14default_configENS1_25partition_config_selectorILNS1_17partition_subalgoE6ExNS0_10empty_typeEbEEZZNS1_14partition_implILS5_6ELb0ES3_mN6thrust23THRUST_200600_302600_NS6detail15normal_iteratorINSA_10device_ptrIxEEEEPS6_SG_NS0_5tupleIJSF_S6_EEENSH_IJSG_SG_EEES6_PlJNSB_9not_fun_tINSB_10functional5actorINSM_9compositeIJNSM_27transparent_binary_operatorINSA_8equal_toIvEEEENSN_INSM_8argumentILj0EEEEENSM_5valueIxEEEEEEEEEEEE10hipError_tPvRmT3_T4_T5_T6_T7_T9_mT8_P12ihipStream_tbDpT10_ENKUlT_T0_E_clISt17integral_constantIbLb1EES1K_EEDaS1F_S1G_EUlS1F_E_NS1_11comp_targetILNS1_3genE9ELNS1_11target_archE1100ELNS1_3gpuE3ELNS1_3repE0EEENS1_30default_config_static_selectorELNS0_4arch9wavefront6targetE0EEEvT1_.num_agpr, 0
	.set _ZN7rocprim17ROCPRIM_400000_NS6detail17trampoline_kernelINS0_14default_configENS1_25partition_config_selectorILNS1_17partition_subalgoE6ExNS0_10empty_typeEbEEZZNS1_14partition_implILS5_6ELb0ES3_mN6thrust23THRUST_200600_302600_NS6detail15normal_iteratorINSA_10device_ptrIxEEEEPS6_SG_NS0_5tupleIJSF_S6_EEENSH_IJSG_SG_EEES6_PlJNSB_9not_fun_tINSB_10functional5actorINSM_9compositeIJNSM_27transparent_binary_operatorINSA_8equal_toIvEEEENSN_INSM_8argumentILj0EEEEENSM_5valueIxEEEEEEEEEEEE10hipError_tPvRmT3_T4_T5_T6_T7_T9_mT8_P12ihipStream_tbDpT10_ENKUlT_T0_E_clISt17integral_constantIbLb1EES1K_EEDaS1F_S1G_EUlS1F_E_NS1_11comp_targetILNS1_3genE9ELNS1_11target_archE1100ELNS1_3gpuE3ELNS1_3repE0EEENS1_30default_config_static_selectorELNS0_4arch9wavefront6targetE0EEEvT1_.numbered_sgpr, 0
	.set _ZN7rocprim17ROCPRIM_400000_NS6detail17trampoline_kernelINS0_14default_configENS1_25partition_config_selectorILNS1_17partition_subalgoE6ExNS0_10empty_typeEbEEZZNS1_14partition_implILS5_6ELb0ES3_mN6thrust23THRUST_200600_302600_NS6detail15normal_iteratorINSA_10device_ptrIxEEEEPS6_SG_NS0_5tupleIJSF_S6_EEENSH_IJSG_SG_EEES6_PlJNSB_9not_fun_tINSB_10functional5actorINSM_9compositeIJNSM_27transparent_binary_operatorINSA_8equal_toIvEEEENSN_INSM_8argumentILj0EEEEENSM_5valueIxEEEEEEEEEEEE10hipError_tPvRmT3_T4_T5_T6_T7_T9_mT8_P12ihipStream_tbDpT10_ENKUlT_T0_E_clISt17integral_constantIbLb1EES1K_EEDaS1F_S1G_EUlS1F_E_NS1_11comp_targetILNS1_3genE9ELNS1_11target_archE1100ELNS1_3gpuE3ELNS1_3repE0EEENS1_30default_config_static_selectorELNS0_4arch9wavefront6targetE0EEEvT1_.num_named_barrier, 0
	.set _ZN7rocprim17ROCPRIM_400000_NS6detail17trampoline_kernelINS0_14default_configENS1_25partition_config_selectorILNS1_17partition_subalgoE6ExNS0_10empty_typeEbEEZZNS1_14partition_implILS5_6ELb0ES3_mN6thrust23THRUST_200600_302600_NS6detail15normal_iteratorINSA_10device_ptrIxEEEEPS6_SG_NS0_5tupleIJSF_S6_EEENSH_IJSG_SG_EEES6_PlJNSB_9not_fun_tINSB_10functional5actorINSM_9compositeIJNSM_27transparent_binary_operatorINSA_8equal_toIvEEEENSN_INSM_8argumentILj0EEEEENSM_5valueIxEEEEEEEEEEEE10hipError_tPvRmT3_T4_T5_T6_T7_T9_mT8_P12ihipStream_tbDpT10_ENKUlT_T0_E_clISt17integral_constantIbLb1EES1K_EEDaS1F_S1G_EUlS1F_E_NS1_11comp_targetILNS1_3genE9ELNS1_11target_archE1100ELNS1_3gpuE3ELNS1_3repE0EEENS1_30default_config_static_selectorELNS0_4arch9wavefront6targetE0EEEvT1_.private_seg_size, 0
	.set _ZN7rocprim17ROCPRIM_400000_NS6detail17trampoline_kernelINS0_14default_configENS1_25partition_config_selectorILNS1_17partition_subalgoE6ExNS0_10empty_typeEbEEZZNS1_14partition_implILS5_6ELb0ES3_mN6thrust23THRUST_200600_302600_NS6detail15normal_iteratorINSA_10device_ptrIxEEEEPS6_SG_NS0_5tupleIJSF_S6_EEENSH_IJSG_SG_EEES6_PlJNSB_9not_fun_tINSB_10functional5actorINSM_9compositeIJNSM_27transparent_binary_operatorINSA_8equal_toIvEEEENSN_INSM_8argumentILj0EEEEENSM_5valueIxEEEEEEEEEEEE10hipError_tPvRmT3_T4_T5_T6_T7_T9_mT8_P12ihipStream_tbDpT10_ENKUlT_T0_E_clISt17integral_constantIbLb1EES1K_EEDaS1F_S1G_EUlS1F_E_NS1_11comp_targetILNS1_3genE9ELNS1_11target_archE1100ELNS1_3gpuE3ELNS1_3repE0EEENS1_30default_config_static_selectorELNS0_4arch9wavefront6targetE0EEEvT1_.uses_vcc, 0
	.set _ZN7rocprim17ROCPRIM_400000_NS6detail17trampoline_kernelINS0_14default_configENS1_25partition_config_selectorILNS1_17partition_subalgoE6ExNS0_10empty_typeEbEEZZNS1_14partition_implILS5_6ELb0ES3_mN6thrust23THRUST_200600_302600_NS6detail15normal_iteratorINSA_10device_ptrIxEEEEPS6_SG_NS0_5tupleIJSF_S6_EEENSH_IJSG_SG_EEES6_PlJNSB_9not_fun_tINSB_10functional5actorINSM_9compositeIJNSM_27transparent_binary_operatorINSA_8equal_toIvEEEENSN_INSM_8argumentILj0EEEEENSM_5valueIxEEEEEEEEEEEE10hipError_tPvRmT3_T4_T5_T6_T7_T9_mT8_P12ihipStream_tbDpT10_ENKUlT_T0_E_clISt17integral_constantIbLb1EES1K_EEDaS1F_S1G_EUlS1F_E_NS1_11comp_targetILNS1_3genE9ELNS1_11target_archE1100ELNS1_3gpuE3ELNS1_3repE0EEENS1_30default_config_static_selectorELNS0_4arch9wavefront6targetE0EEEvT1_.uses_flat_scratch, 0
	.set _ZN7rocprim17ROCPRIM_400000_NS6detail17trampoline_kernelINS0_14default_configENS1_25partition_config_selectorILNS1_17partition_subalgoE6ExNS0_10empty_typeEbEEZZNS1_14partition_implILS5_6ELb0ES3_mN6thrust23THRUST_200600_302600_NS6detail15normal_iteratorINSA_10device_ptrIxEEEEPS6_SG_NS0_5tupleIJSF_S6_EEENSH_IJSG_SG_EEES6_PlJNSB_9not_fun_tINSB_10functional5actorINSM_9compositeIJNSM_27transparent_binary_operatorINSA_8equal_toIvEEEENSN_INSM_8argumentILj0EEEEENSM_5valueIxEEEEEEEEEEEE10hipError_tPvRmT3_T4_T5_T6_T7_T9_mT8_P12ihipStream_tbDpT10_ENKUlT_T0_E_clISt17integral_constantIbLb1EES1K_EEDaS1F_S1G_EUlS1F_E_NS1_11comp_targetILNS1_3genE9ELNS1_11target_archE1100ELNS1_3gpuE3ELNS1_3repE0EEENS1_30default_config_static_selectorELNS0_4arch9wavefront6targetE0EEEvT1_.has_dyn_sized_stack, 0
	.set _ZN7rocprim17ROCPRIM_400000_NS6detail17trampoline_kernelINS0_14default_configENS1_25partition_config_selectorILNS1_17partition_subalgoE6ExNS0_10empty_typeEbEEZZNS1_14partition_implILS5_6ELb0ES3_mN6thrust23THRUST_200600_302600_NS6detail15normal_iteratorINSA_10device_ptrIxEEEEPS6_SG_NS0_5tupleIJSF_S6_EEENSH_IJSG_SG_EEES6_PlJNSB_9not_fun_tINSB_10functional5actorINSM_9compositeIJNSM_27transparent_binary_operatorINSA_8equal_toIvEEEENSN_INSM_8argumentILj0EEEEENSM_5valueIxEEEEEEEEEEEE10hipError_tPvRmT3_T4_T5_T6_T7_T9_mT8_P12ihipStream_tbDpT10_ENKUlT_T0_E_clISt17integral_constantIbLb1EES1K_EEDaS1F_S1G_EUlS1F_E_NS1_11comp_targetILNS1_3genE9ELNS1_11target_archE1100ELNS1_3gpuE3ELNS1_3repE0EEENS1_30default_config_static_selectorELNS0_4arch9wavefront6targetE0EEEvT1_.has_recursion, 0
	.set _ZN7rocprim17ROCPRIM_400000_NS6detail17trampoline_kernelINS0_14default_configENS1_25partition_config_selectorILNS1_17partition_subalgoE6ExNS0_10empty_typeEbEEZZNS1_14partition_implILS5_6ELb0ES3_mN6thrust23THRUST_200600_302600_NS6detail15normal_iteratorINSA_10device_ptrIxEEEEPS6_SG_NS0_5tupleIJSF_S6_EEENSH_IJSG_SG_EEES6_PlJNSB_9not_fun_tINSB_10functional5actorINSM_9compositeIJNSM_27transparent_binary_operatorINSA_8equal_toIvEEEENSN_INSM_8argumentILj0EEEEENSM_5valueIxEEEEEEEEEEEE10hipError_tPvRmT3_T4_T5_T6_T7_T9_mT8_P12ihipStream_tbDpT10_ENKUlT_T0_E_clISt17integral_constantIbLb1EES1K_EEDaS1F_S1G_EUlS1F_E_NS1_11comp_targetILNS1_3genE9ELNS1_11target_archE1100ELNS1_3gpuE3ELNS1_3repE0EEENS1_30default_config_static_selectorELNS0_4arch9wavefront6targetE0EEEvT1_.has_indirect_call, 0
	.section	.AMDGPU.csdata,"",@progbits
; Kernel info:
; codeLenInByte = 0
; TotalNumSgprs: 0
; NumVgprs: 0
; ScratchSize: 0
; MemoryBound: 0
; FloatMode: 240
; IeeeMode: 1
; LDSByteSize: 0 bytes/workgroup (compile time only)
; SGPRBlocks: 0
; VGPRBlocks: 0
; NumSGPRsForWavesPerEU: 1
; NumVGPRsForWavesPerEU: 1
; Occupancy: 16
; WaveLimiterHint : 0
; COMPUTE_PGM_RSRC2:SCRATCH_EN: 0
; COMPUTE_PGM_RSRC2:USER_SGPR: 2
; COMPUTE_PGM_RSRC2:TRAP_HANDLER: 0
; COMPUTE_PGM_RSRC2:TGID_X_EN: 1
; COMPUTE_PGM_RSRC2:TGID_Y_EN: 0
; COMPUTE_PGM_RSRC2:TGID_Z_EN: 0
; COMPUTE_PGM_RSRC2:TIDIG_COMP_CNT: 0
	.section	.text._ZN7rocprim17ROCPRIM_400000_NS6detail17trampoline_kernelINS0_14default_configENS1_25partition_config_selectorILNS1_17partition_subalgoE6ExNS0_10empty_typeEbEEZZNS1_14partition_implILS5_6ELb0ES3_mN6thrust23THRUST_200600_302600_NS6detail15normal_iteratorINSA_10device_ptrIxEEEEPS6_SG_NS0_5tupleIJSF_S6_EEENSH_IJSG_SG_EEES6_PlJNSB_9not_fun_tINSB_10functional5actorINSM_9compositeIJNSM_27transparent_binary_operatorINSA_8equal_toIvEEEENSN_INSM_8argumentILj0EEEEENSM_5valueIxEEEEEEEEEEEE10hipError_tPvRmT3_T4_T5_T6_T7_T9_mT8_P12ihipStream_tbDpT10_ENKUlT_T0_E_clISt17integral_constantIbLb1EES1K_EEDaS1F_S1G_EUlS1F_E_NS1_11comp_targetILNS1_3genE8ELNS1_11target_archE1030ELNS1_3gpuE2ELNS1_3repE0EEENS1_30default_config_static_selectorELNS0_4arch9wavefront6targetE0EEEvT1_,"axG",@progbits,_ZN7rocprim17ROCPRIM_400000_NS6detail17trampoline_kernelINS0_14default_configENS1_25partition_config_selectorILNS1_17partition_subalgoE6ExNS0_10empty_typeEbEEZZNS1_14partition_implILS5_6ELb0ES3_mN6thrust23THRUST_200600_302600_NS6detail15normal_iteratorINSA_10device_ptrIxEEEEPS6_SG_NS0_5tupleIJSF_S6_EEENSH_IJSG_SG_EEES6_PlJNSB_9not_fun_tINSB_10functional5actorINSM_9compositeIJNSM_27transparent_binary_operatorINSA_8equal_toIvEEEENSN_INSM_8argumentILj0EEEEENSM_5valueIxEEEEEEEEEEEE10hipError_tPvRmT3_T4_T5_T6_T7_T9_mT8_P12ihipStream_tbDpT10_ENKUlT_T0_E_clISt17integral_constantIbLb1EES1K_EEDaS1F_S1G_EUlS1F_E_NS1_11comp_targetILNS1_3genE8ELNS1_11target_archE1030ELNS1_3gpuE2ELNS1_3repE0EEENS1_30default_config_static_selectorELNS0_4arch9wavefront6targetE0EEEvT1_,comdat
	.protected	_ZN7rocprim17ROCPRIM_400000_NS6detail17trampoline_kernelINS0_14default_configENS1_25partition_config_selectorILNS1_17partition_subalgoE6ExNS0_10empty_typeEbEEZZNS1_14partition_implILS5_6ELb0ES3_mN6thrust23THRUST_200600_302600_NS6detail15normal_iteratorINSA_10device_ptrIxEEEEPS6_SG_NS0_5tupleIJSF_S6_EEENSH_IJSG_SG_EEES6_PlJNSB_9not_fun_tINSB_10functional5actorINSM_9compositeIJNSM_27transparent_binary_operatorINSA_8equal_toIvEEEENSN_INSM_8argumentILj0EEEEENSM_5valueIxEEEEEEEEEEEE10hipError_tPvRmT3_T4_T5_T6_T7_T9_mT8_P12ihipStream_tbDpT10_ENKUlT_T0_E_clISt17integral_constantIbLb1EES1K_EEDaS1F_S1G_EUlS1F_E_NS1_11comp_targetILNS1_3genE8ELNS1_11target_archE1030ELNS1_3gpuE2ELNS1_3repE0EEENS1_30default_config_static_selectorELNS0_4arch9wavefront6targetE0EEEvT1_ ; -- Begin function _ZN7rocprim17ROCPRIM_400000_NS6detail17trampoline_kernelINS0_14default_configENS1_25partition_config_selectorILNS1_17partition_subalgoE6ExNS0_10empty_typeEbEEZZNS1_14partition_implILS5_6ELb0ES3_mN6thrust23THRUST_200600_302600_NS6detail15normal_iteratorINSA_10device_ptrIxEEEEPS6_SG_NS0_5tupleIJSF_S6_EEENSH_IJSG_SG_EEES6_PlJNSB_9not_fun_tINSB_10functional5actorINSM_9compositeIJNSM_27transparent_binary_operatorINSA_8equal_toIvEEEENSN_INSM_8argumentILj0EEEEENSM_5valueIxEEEEEEEEEEEE10hipError_tPvRmT3_T4_T5_T6_T7_T9_mT8_P12ihipStream_tbDpT10_ENKUlT_T0_E_clISt17integral_constantIbLb1EES1K_EEDaS1F_S1G_EUlS1F_E_NS1_11comp_targetILNS1_3genE8ELNS1_11target_archE1030ELNS1_3gpuE2ELNS1_3repE0EEENS1_30default_config_static_selectorELNS0_4arch9wavefront6targetE0EEEvT1_
	.globl	_ZN7rocprim17ROCPRIM_400000_NS6detail17trampoline_kernelINS0_14default_configENS1_25partition_config_selectorILNS1_17partition_subalgoE6ExNS0_10empty_typeEbEEZZNS1_14partition_implILS5_6ELb0ES3_mN6thrust23THRUST_200600_302600_NS6detail15normal_iteratorINSA_10device_ptrIxEEEEPS6_SG_NS0_5tupleIJSF_S6_EEENSH_IJSG_SG_EEES6_PlJNSB_9not_fun_tINSB_10functional5actorINSM_9compositeIJNSM_27transparent_binary_operatorINSA_8equal_toIvEEEENSN_INSM_8argumentILj0EEEEENSM_5valueIxEEEEEEEEEEEE10hipError_tPvRmT3_T4_T5_T6_T7_T9_mT8_P12ihipStream_tbDpT10_ENKUlT_T0_E_clISt17integral_constantIbLb1EES1K_EEDaS1F_S1G_EUlS1F_E_NS1_11comp_targetILNS1_3genE8ELNS1_11target_archE1030ELNS1_3gpuE2ELNS1_3repE0EEENS1_30default_config_static_selectorELNS0_4arch9wavefront6targetE0EEEvT1_
	.p2align	8
	.type	_ZN7rocprim17ROCPRIM_400000_NS6detail17trampoline_kernelINS0_14default_configENS1_25partition_config_selectorILNS1_17partition_subalgoE6ExNS0_10empty_typeEbEEZZNS1_14partition_implILS5_6ELb0ES3_mN6thrust23THRUST_200600_302600_NS6detail15normal_iteratorINSA_10device_ptrIxEEEEPS6_SG_NS0_5tupleIJSF_S6_EEENSH_IJSG_SG_EEES6_PlJNSB_9not_fun_tINSB_10functional5actorINSM_9compositeIJNSM_27transparent_binary_operatorINSA_8equal_toIvEEEENSN_INSM_8argumentILj0EEEEENSM_5valueIxEEEEEEEEEEEE10hipError_tPvRmT3_T4_T5_T6_T7_T9_mT8_P12ihipStream_tbDpT10_ENKUlT_T0_E_clISt17integral_constantIbLb1EES1K_EEDaS1F_S1G_EUlS1F_E_NS1_11comp_targetILNS1_3genE8ELNS1_11target_archE1030ELNS1_3gpuE2ELNS1_3repE0EEENS1_30default_config_static_selectorELNS0_4arch9wavefront6targetE0EEEvT1_,@function
_ZN7rocprim17ROCPRIM_400000_NS6detail17trampoline_kernelINS0_14default_configENS1_25partition_config_selectorILNS1_17partition_subalgoE6ExNS0_10empty_typeEbEEZZNS1_14partition_implILS5_6ELb0ES3_mN6thrust23THRUST_200600_302600_NS6detail15normal_iteratorINSA_10device_ptrIxEEEEPS6_SG_NS0_5tupleIJSF_S6_EEENSH_IJSG_SG_EEES6_PlJNSB_9not_fun_tINSB_10functional5actorINSM_9compositeIJNSM_27transparent_binary_operatorINSA_8equal_toIvEEEENSN_INSM_8argumentILj0EEEEENSM_5valueIxEEEEEEEEEEEE10hipError_tPvRmT3_T4_T5_T6_T7_T9_mT8_P12ihipStream_tbDpT10_ENKUlT_T0_E_clISt17integral_constantIbLb1EES1K_EEDaS1F_S1G_EUlS1F_E_NS1_11comp_targetILNS1_3genE8ELNS1_11target_archE1030ELNS1_3gpuE2ELNS1_3repE0EEENS1_30default_config_static_selectorELNS0_4arch9wavefront6targetE0EEEvT1_: ; @_ZN7rocprim17ROCPRIM_400000_NS6detail17trampoline_kernelINS0_14default_configENS1_25partition_config_selectorILNS1_17partition_subalgoE6ExNS0_10empty_typeEbEEZZNS1_14partition_implILS5_6ELb0ES3_mN6thrust23THRUST_200600_302600_NS6detail15normal_iteratorINSA_10device_ptrIxEEEEPS6_SG_NS0_5tupleIJSF_S6_EEENSH_IJSG_SG_EEES6_PlJNSB_9not_fun_tINSB_10functional5actorINSM_9compositeIJNSM_27transparent_binary_operatorINSA_8equal_toIvEEEENSN_INSM_8argumentILj0EEEEENSM_5valueIxEEEEEEEEEEEE10hipError_tPvRmT3_T4_T5_T6_T7_T9_mT8_P12ihipStream_tbDpT10_ENKUlT_T0_E_clISt17integral_constantIbLb1EES1K_EEDaS1F_S1G_EUlS1F_E_NS1_11comp_targetILNS1_3genE8ELNS1_11target_archE1030ELNS1_3gpuE2ELNS1_3repE0EEENS1_30default_config_static_selectorELNS0_4arch9wavefront6targetE0EEEvT1_
; %bb.0:
	.section	.rodata,"a",@progbits
	.p2align	6, 0x0
	.amdhsa_kernel _ZN7rocprim17ROCPRIM_400000_NS6detail17trampoline_kernelINS0_14default_configENS1_25partition_config_selectorILNS1_17partition_subalgoE6ExNS0_10empty_typeEbEEZZNS1_14partition_implILS5_6ELb0ES3_mN6thrust23THRUST_200600_302600_NS6detail15normal_iteratorINSA_10device_ptrIxEEEEPS6_SG_NS0_5tupleIJSF_S6_EEENSH_IJSG_SG_EEES6_PlJNSB_9not_fun_tINSB_10functional5actorINSM_9compositeIJNSM_27transparent_binary_operatorINSA_8equal_toIvEEEENSN_INSM_8argumentILj0EEEEENSM_5valueIxEEEEEEEEEEEE10hipError_tPvRmT3_T4_T5_T6_T7_T9_mT8_P12ihipStream_tbDpT10_ENKUlT_T0_E_clISt17integral_constantIbLb1EES1K_EEDaS1F_S1G_EUlS1F_E_NS1_11comp_targetILNS1_3genE8ELNS1_11target_archE1030ELNS1_3gpuE2ELNS1_3repE0EEENS1_30default_config_static_selectorELNS0_4arch9wavefront6targetE0EEEvT1_
		.amdhsa_group_segment_fixed_size 0
		.amdhsa_private_segment_fixed_size 0
		.amdhsa_kernarg_size 136
		.amdhsa_user_sgpr_count 2
		.amdhsa_user_sgpr_dispatch_ptr 0
		.amdhsa_user_sgpr_queue_ptr 0
		.amdhsa_user_sgpr_kernarg_segment_ptr 1
		.amdhsa_user_sgpr_dispatch_id 0
		.amdhsa_user_sgpr_private_segment_size 0
		.amdhsa_wavefront_size32 1
		.amdhsa_uses_dynamic_stack 0
		.amdhsa_enable_private_segment 0
		.amdhsa_system_sgpr_workgroup_id_x 1
		.amdhsa_system_sgpr_workgroup_id_y 0
		.amdhsa_system_sgpr_workgroup_id_z 0
		.amdhsa_system_sgpr_workgroup_info 0
		.amdhsa_system_vgpr_workitem_id 0
		.amdhsa_next_free_vgpr 1
		.amdhsa_next_free_sgpr 1
		.amdhsa_reserve_vcc 0
		.amdhsa_float_round_mode_32 0
		.amdhsa_float_round_mode_16_64 0
		.amdhsa_float_denorm_mode_32 3
		.amdhsa_float_denorm_mode_16_64 3
		.amdhsa_fp16_overflow 0
		.amdhsa_workgroup_processor_mode 1
		.amdhsa_memory_ordered 1
		.amdhsa_forward_progress 1
		.amdhsa_inst_pref_size 0
		.amdhsa_round_robin_scheduling 0
		.amdhsa_exception_fp_ieee_invalid_op 0
		.amdhsa_exception_fp_denorm_src 0
		.amdhsa_exception_fp_ieee_div_zero 0
		.amdhsa_exception_fp_ieee_overflow 0
		.amdhsa_exception_fp_ieee_underflow 0
		.amdhsa_exception_fp_ieee_inexact 0
		.amdhsa_exception_int_div_zero 0
	.end_amdhsa_kernel
	.section	.text._ZN7rocprim17ROCPRIM_400000_NS6detail17trampoline_kernelINS0_14default_configENS1_25partition_config_selectorILNS1_17partition_subalgoE6ExNS0_10empty_typeEbEEZZNS1_14partition_implILS5_6ELb0ES3_mN6thrust23THRUST_200600_302600_NS6detail15normal_iteratorINSA_10device_ptrIxEEEEPS6_SG_NS0_5tupleIJSF_S6_EEENSH_IJSG_SG_EEES6_PlJNSB_9not_fun_tINSB_10functional5actorINSM_9compositeIJNSM_27transparent_binary_operatorINSA_8equal_toIvEEEENSN_INSM_8argumentILj0EEEEENSM_5valueIxEEEEEEEEEEEE10hipError_tPvRmT3_T4_T5_T6_T7_T9_mT8_P12ihipStream_tbDpT10_ENKUlT_T0_E_clISt17integral_constantIbLb1EES1K_EEDaS1F_S1G_EUlS1F_E_NS1_11comp_targetILNS1_3genE8ELNS1_11target_archE1030ELNS1_3gpuE2ELNS1_3repE0EEENS1_30default_config_static_selectorELNS0_4arch9wavefront6targetE0EEEvT1_,"axG",@progbits,_ZN7rocprim17ROCPRIM_400000_NS6detail17trampoline_kernelINS0_14default_configENS1_25partition_config_selectorILNS1_17partition_subalgoE6ExNS0_10empty_typeEbEEZZNS1_14partition_implILS5_6ELb0ES3_mN6thrust23THRUST_200600_302600_NS6detail15normal_iteratorINSA_10device_ptrIxEEEEPS6_SG_NS0_5tupleIJSF_S6_EEENSH_IJSG_SG_EEES6_PlJNSB_9not_fun_tINSB_10functional5actorINSM_9compositeIJNSM_27transparent_binary_operatorINSA_8equal_toIvEEEENSN_INSM_8argumentILj0EEEEENSM_5valueIxEEEEEEEEEEEE10hipError_tPvRmT3_T4_T5_T6_T7_T9_mT8_P12ihipStream_tbDpT10_ENKUlT_T0_E_clISt17integral_constantIbLb1EES1K_EEDaS1F_S1G_EUlS1F_E_NS1_11comp_targetILNS1_3genE8ELNS1_11target_archE1030ELNS1_3gpuE2ELNS1_3repE0EEENS1_30default_config_static_selectorELNS0_4arch9wavefront6targetE0EEEvT1_,comdat
.Lfunc_end194:
	.size	_ZN7rocprim17ROCPRIM_400000_NS6detail17trampoline_kernelINS0_14default_configENS1_25partition_config_selectorILNS1_17partition_subalgoE6ExNS0_10empty_typeEbEEZZNS1_14partition_implILS5_6ELb0ES3_mN6thrust23THRUST_200600_302600_NS6detail15normal_iteratorINSA_10device_ptrIxEEEEPS6_SG_NS0_5tupleIJSF_S6_EEENSH_IJSG_SG_EEES6_PlJNSB_9not_fun_tINSB_10functional5actorINSM_9compositeIJNSM_27transparent_binary_operatorINSA_8equal_toIvEEEENSN_INSM_8argumentILj0EEEEENSM_5valueIxEEEEEEEEEEEE10hipError_tPvRmT3_T4_T5_T6_T7_T9_mT8_P12ihipStream_tbDpT10_ENKUlT_T0_E_clISt17integral_constantIbLb1EES1K_EEDaS1F_S1G_EUlS1F_E_NS1_11comp_targetILNS1_3genE8ELNS1_11target_archE1030ELNS1_3gpuE2ELNS1_3repE0EEENS1_30default_config_static_selectorELNS0_4arch9wavefront6targetE0EEEvT1_, .Lfunc_end194-_ZN7rocprim17ROCPRIM_400000_NS6detail17trampoline_kernelINS0_14default_configENS1_25partition_config_selectorILNS1_17partition_subalgoE6ExNS0_10empty_typeEbEEZZNS1_14partition_implILS5_6ELb0ES3_mN6thrust23THRUST_200600_302600_NS6detail15normal_iteratorINSA_10device_ptrIxEEEEPS6_SG_NS0_5tupleIJSF_S6_EEENSH_IJSG_SG_EEES6_PlJNSB_9not_fun_tINSB_10functional5actorINSM_9compositeIJNSM_27transparent_binary_operatorINSA_8equal_toIvEEEENSN_INSM_8argumentILj0EEEEENSM_5valueIxEEEEEEEEEEEE10hipError_tPvRmT3_T4_T5_T6_T7_T9_mT8_P12ihipStream_tbDpT10_ENKUlT_T0_E_clISt17integral_constantIbLb1EES1K_EEDaS1F_S1G_EUlS1F_E_NS1_11comp_targetILNS1_3genE8ELNS1_11target_archE1030ELNS1_3gpuE2ELNS1_3repE0EEENS1_30default_config_static_selectorELNS0_4arch9wavefront6targetE0EEEvT1_
                                        ; -- End function
	.set _ZN7rocprim17ROCPRIM_400000_NS6detail17trampoline_kernelINS0_14default_configENS1_25partition_config_selectorILNS1_17partition_subalgoE6ExNS0_10empty_typeEbEEZZNS1_14partition_implILS5_6ELb0ES3_mN6thrust23THRUST_200600_302600_NS6detail15normal_iteratorINSA_10device_ptrIxEEEEPS6_SG_NS0_5tupleIJSF_S6_EEENSH_IJSG_SG_EEES6_PlJNSB_9not_fun_tINSB_10functional5actorINSM_9compositeIJNSM_27transparent_binary_operatorINSA_8equal_toIvEEEENSN_INSM_8argumentILj0EEEEENSM_5valueIxEEEEEEEEEEEE10hipError_tPvRmT3_T4_T5_T6_T7_T9_mT8_P12ihipStream_tbDpT10_ENKUlT_T0_E_clISt17integral_constantIbLb1EES1K_EEDaS1F_S1G_EUlS1F_E_NS1_11comp_targetILNS1_3genE8ELNS1_11target_archE1030ELNS1_3gpuE2ELNS1_3repE0EEENS1_30default_config_static_selectorELNS0_4arch9wavefront6targetE0EEEvT1_.num_vgpr, 0
	.set _ZN7rocprim17ROCPRIM_400000_NS6detail17trampoline_kernelINS0_14default_configENS1_25partition_config_selectorILNS1_17partition_subalgoE6ExNS0_10empty_typeEbEEZZNS1_14partition_implILS5_6ELb0ES3_mN6thrust23THRUST_200600_302600_NS6detail15normal_iteratorINSA_10device_ptrIxEEEEPS6_SG_NS0_5tupleIJSF_S6_EEENSH_IJSG_SG_EEES6_PlJNSB_9not_fun_tINSB_10functional5actorINSM_9compositeIJNSM_27transparent_binary_operatorINSA_8equal_toIvEEEENSN_INSM_8argumentILj0EEEEENSM_5valueIxEEEEEEEEEEEE10hipError_tPvRmT3_T4_T5_T6_T7_T9_mT8_P12ihipStream_tbDpT10_ENKUlT_T0_E_clISt17integral_constantIbLb1EES1K_EEDaS1F_S1G_EUlS1F_E_NS1_11comp_targetILNS1_3genE8ELNS1_11target_archE1030ELNS1_3gpuE2ELNS1_3repE0EEENS1_30default_config_static_selectorELNS0_4arch9wavefront6targetE0EEEvT1_.num_agpr, 0
	.set _ZN7rocprim17ROCPRIM_400000_NS6detail17trampoline_kernelINS0_14default_configENS1_25partition_config_selectorILNS1_17partition_subalgoE6ExNS0_10empty_typeEbEEZZNS1_14partition_implILS5_6ELb0ES3_mN6thrust23THRUST_200600_302600_NS6detail15normal_iteratorINSA_10device_ptrIxEEEEPS6_SG_NS0_5tupleIJSF_S6_EEENSH_IJSG_SG_EEES6_PlJNSB_9not_fun_tINSB_10functional5actorINSM_9compositeIJNSM_27transparent_binary_operatorINSA_8equal_toIvEEEENSN_INSM_8argumentILj0EEEEENSM_5valueIxEEEEEEEEEEEE10hipError_tPvRmT3_T4_T5_T6_T7_T9_mT8_P12ihipStream_tbDpT10_ENKUlT_T0_E_clISt17integral_constantIbLb1EES1K_EEDaS1F_S1G_EUlS1F_E_NS1_11comp_targetILNS1_3genE8ELNS1_11target_archE1030ELNS1_3gpuE2ELNS1_3repE0EEENS1_30default_config_static_selectorELNS0_4arch9wavefront6targetE0EEEvT1_.numbered_sgpr, 0
	.set _ZN7rocprim17ROCPRIM_400000_NS6detail17trampoline_kernelINS0_14default_configENS1_25partition_config_selectorILNS1_17partition_subalgoE6ExNS0_10empty_typeEbEEZZNS1_14partition_implILS5_6ELb0ES3_mN6thrust23THRUST_200600_302600_NS6detail15normal_iteratorINSA_10device_ptrIxEEEEPS6_SG_NS0_5tupleIJSF_S6_EEENSH_IJSG_SG_EEES6_PlJNSB_9not_fun_tINSB_10functional5actorINSM_9compositeIJNSM_27transparent_binary_operatorINSA_8equal_toIvEEEENSN_INSM_8argumentILj0EEEEENSM_5valueIxEEEEEEEEEEEE10hipError_tPvRmT3_T4_T5_T6_T7_T9_mT8_P12ihipStream_tbDpT10_ENKUlT_T0_E_clISt17integral_constantIbLb1EES1K_EEDaS1F_S1G_EUlS1F_E_NS1_11comp_targetILNS1_3genE8ELNS1_11target_archE1030ELNS1_3gpuE2ELNS1_3repE0EEENS1_30default_config_static_selectorELNS0_4arch9wavefront6targetE0EEEvT1_.num_named_barrier, 0
	.set _ZN7rocprim17ROCPRIM_400000_NS6detail17trampoline_kernelINS0_14default_configENS1_25partition_config_selectorILNS1_17partition_subalgoE6ExNS0_10empty_typeEbEEZZNS1_14partition_implILS5_6ELb0ES3_mN6thrust23THRUST_200600_302600_NS6detail15normal_iteratorINSA_10device_ptrIxEEEEPS6_SG_NS0_5tupleIJSF_S6_EEENSH_IJSG_SG_EEES6_PlJNSB_9not_fun_tINSB_10functional5actorINSM_9compositeIJNSM_27transparent_binary_operatorINSA_8equal_toIvEEEENSN_INSM_8argumentILj0EEEEENSM_5valueIxEEEEEEEEEEEE10hipError_tPvRmT3_T4_T5_T6_T7_T9_mT8_P12ihipStream_tbDpT10_ENKUlT_T0_E_clISt17integral_constantIbLb1EES1K_EEDaS1F_S1G_EUlS1F_E_NS1_11comp_targetILNS1_3genE8ELNS1_11target_archE1030ELNS1_3gpuE2ELNS1_3repE0EEENS1_30default_config_static_selectorELNS0_4arch9wavefront6targetE0EEEvT1_.private_seg_size, 0
	.set _ZN7rocprim17ROCPRIM_400000_NS6detail17trampoline_kernelINS0_14default_configENS1_25partition_config_selectorILNS1_17partition_subalgoE6ExNS0_10empty_typeEbEEZZNS1_14partition_implILS5_6ELb0ES3_mN6thrust23THRUST_200600_302600_NS6detail15normal_iteratorINSA_10device_ptrIxEEEEPS6_SG_NS0_5tupleIJSF_S6_EEENSH_IJSG_SG_EEES6_PlJNSB_9not_fun_tINSB_10functional5actorINSM_9compositeIJNSM_27transparent_binary_operatorINSA_8equal_toIvEEEENSN_INSM_8argumentILj0EEEEENSM_5valueIxEEEEEEEEEEEE10hipError_tPvRmT3_T4_T5_T6_T7_T9_mT8_P12ihipStream_tbDpT10_ENKUlT_T0_E_clISt17integral_constantIbLb1EES1K_EEDaS1F_S1G_EUlS1F_E_NS1_11comp_targetILNS1_3genE8ELNS1_11target_archE1030ELNS1_3gpuE2ELNS1_3repE0EEENS1_30default_config_static_selectorELNS0_4arch9wavefront6targetE0EEEvT1_.uses_vcc, 0
	.set _ZN7rocprim17ROCPRIM_400000_NS6detail17trampoline_kernelINS0_14default_configENS1_25partition_config_selectorILNS1_17partition_subalgoE6ExNS0_10empty_typeEbEEZZNS1_14partition_implILS5_6ELb0ES3_mN6thrust23THRUST_200600_302600_NS6detail15normal_iteratorINSA_10device_ptrIxEEEEPS6_SG_NS0_5tupleIJSF_S6_EEENSH_IJSG_SG_EEES6_PlJNSB_9not_fun_tINSB_10functional5actorINSM_9compositeIJNSM_27transparent_binary_operatorINSA_8equal_toIvEEEENSN_INSM_8argumentILj0EEEEENSM_5valueIxEEEEEEEEEEEE10hipError_tPvRmT3_T4_T5_T6_T7_T9_mT8_P12ihipStream_tbDpT10_ENKUlT_T0_E_clISt17integral_constantIbLb1EES1K_EEDaS1F_S1G_EUlS1F_E_NS1_11comp_targetILNS1_3genE8ELNS1_11target_archE1030ELNS1_3gpuE2ELNS1_3repE0EEENS1_30default_config_static_selectorELNS0_4arch9wavefront6targetE0EEEvT1_.uses_flat_scratch, 0
	.set _ZN7rocprim17ROCPRIM_400000_NS6detail17trampoline_kernelINS0_14default_configENS1_25partition_config_selectorILNS1_17partition_subalgoE6ExNS0_10empty_typeEbEEZZNS1_14partition_implILS5_6ELb0ES3_mN6thrust23THRUST_200600_302600_NS6detail15normal_iteratorINSA_10device_ptrIxEEEEPS6_SG_NS0_5tupleIJSF_S6_EEENSH_IJSG_SG_EEES6_PlJNSB_9not_fun_tINSB_10functional5actorINSM_9compositeIJNSM_27transparent_binary_operatorINSA_8equal_toIvEEEENSN_INSM_8argumentILj0EEEEENSM_5valueIxEEEEEEEEEEEE10hipError_tPvRmT3_T4_T5_T6_T7_T9_mT8_P12ihipStream_tbDpT10_ENKUlT_T0_E_clISt17integral_constantIbLb1EES1K_EEDaS1F_S1G_EUlS1F_E_NS1_11comp_targetILNS1_3genE8ELNS1_11target_archE1030ELNS1_3gpuE2ELNS1_3repE0EEENS1_30default_config_static_selectorELNS0_4arch9wavefront6targetE0EEEvT1_.has_dyn_sized_stack, 0
	.set _ZN7rocprim17ROCPRIM_400000_NS6detail17trampoline_kernelINS0_14default_configENS1_25partition_config_selectorILNS1_17partition_subalgoE6ExNS0_10empty_typeEbEEZZNS1_14partition_implILS5_6ELb0ES3_mN6thrust23THRUST_200600_302600_NS6detail15normal_iteratorINSA_10device_ptrIxEEEEPS6_SG_NS0_5tupleIJSF_S6_EEENSH_IJSG_SG_EEES6_PlJNSB_9not_fun_tINSB_10functional5actorINSM_9compositeIJNSM_27transparent_binary_operatorINSA_8equal_toIvEEEENSN_INSM_8argumentILj0EEEEENSM_5valueIxEEEEEEEEEEEE10hipError_tPvRmT3_T4_T5_T6_T7_T9_mT8_P12ihipStream_tbDpT10_ENKUlT_T0_E_clISt17integral_constantIbLb1EES1K_EEDaS1F_S1G_EUlS1F_E_NS1_11comp_targetILNS1_3genE8ELNS1_11target_archE1030ELNS1_3gpuE2ELNS1_3repE0EEENS1_30default_config_static_selectorELNS0_4arch9wavefront6targetE0EEEvT1_.has_recursion, 0
	.set _ZN7rocprim17ROCPRIM_400000_NS6detail17trampoline_kernelINS0_14default_configENS1_25partition_config_selectorILNS1_17partition_subalgoE6ExNS0_10empty_typeEbEEZZNS1_14partition_implILS5_6ELb0ES3_mN6thrust23THRUST_200600_302600_NS6detail15normal_iteratorINSA_10device_ptrIxEEEEPS6_SG_NS0_5tupleIJSF_S6_EEENSH_IJSG_SG_EEES6_PlJNSB_9not_fun_tINSB_10functional5actorINSM_9compositeIJNSM_27transparent_binary_operatorINSA_8equal_toIvEEEENSN_INSM_8argumentILj0EEEEENSM_5valueIxEEEEEEEEEEEE10hipError_tPvRmT3_T4_T5_T6_T7_T9_mT8_P12ihipStream_tbDpT10_ENKUlT_T0_E_clISt17integral_constantIbLb1EES1K_EEDaS1F_S1G_EUlS1F_E_NS1_11comp_targetILNS1_3genE8ELNS1_11target_archE1030ELNS1_3gpuE2ELNS1_3repE0EEENS1_30default_config_static_selectorELNS0_4arch9wavefront6targetE0EEEvT1_.has_indirect_call, 0
	.section	.AMDGPU.csdata,"",@progbits
; Kernel info:
; codeLenInByte = 0
; TotalNumSgprs: 0
; NumVgprs: 0
; ScratchSize: 0
; MemoryBound: 0
; FloatMode: 240
; IeeeMode: 1
; LDSByteSize: 0 bytes/workgroup (compile time only)
; SGPRBlocks: 0
; VGPRBlocks: 0
; NumSGPRsForWavesPerEU: 1
; NumVGPRsForWavesPerEU: 1
; Occupancy: 16
; WaveLimiterHint : 0
; COMPUTE_PGM_RSRC2:SCRATCH_EN: 0
; COMPUTE_PGM_RSRC2:USER_SGPR: 2
; COMPUTE_PGM_RSRC2:TRAP_HANDLER: 0
; COMPUTE_PGM_RSRC2:TGID_X_EN: 1
; COMPUTE_PGM_RSRC2:TGID_Y_EN: 0
; COMPUTE_PGM_RSRC2:TGID_Z_EN: 0
; COMPUTE_PGM_RSRC2:TIDIG_COMP_CNT: 0
	.section	.text._ZN7rocprim17ROCPRIM_400000_NS6detail17trampoline_kernelINS0_14default_configENS1_25partition_config_selectorILNS1_17partition_subalgoE6ExNS0_10empty_typeEbEEZZNS1_14partition_implILS5_6ELb0ES3_mN6thrust23THRUST_200600_302600_NS6detail15normal_iteratorINSA_10device_ptrIxEEEEPS6_SG_NS0_5tupleIJSF_S6_EEENSH_IJSG_SG_EEES6_PlJNSB_9not_fun_tINSB_10functional5actorINSM_9compositeIJNSM_27transparent_binary_operatorINSA_8equal_toIvEEEENSN_INSM_8argumentILj0EEEEENSM_5valueIxEEEEEEEEEEEE10hipError_tPvRmT3_T4_T5_T6_T7_T9_mT8_P12ihipStream_tbDpT10_ENKUlT_T0_E_clISt17integral_constantIbLb1EES1J_IbLb0EEEEDaS1F_S1G_EUlS1F_E_NS1_11comp_targetILNS1_3genE0ELNS1_11target_archE4294967295ELNS1_3gpuE0ELNS1_3repE0EEENS1_30default_config_static_selectorELNS0_4arch9wavefront6targetE0EEEvT1_,"axG",@progbits,_ZN7rocprim17ROCPRIM_400000_NS6detail17trampoline_kernelINS0_14default_configENS1_25partition_config_selectorILNS1_17partition_subalgoE6ExNS0_10empty_typeEbEEZZNS1_14partition_implILS5_6ELb0ES3_mN6thrust23THRUST_200600_302600_NS6detail15normal_iteratorINSA_10device_ptrIxEEEEPS6_SG_NS0_5tupleIJSF_S6_EEENSH_IJSG_SG_EEES6_PlJNSB_9not_fun_tINSB_10functional5actorINSM_9compositeIJNSM_27transparent_binary_operatorINSA_8equal_toIvEEEENSN_INSM_8argumentILj0EEEEENSM_5valueIxEEEEEEEEEEEE10hipError_tPvRmT3_T4_T5_T6_T7_T9_mT8_P12ihipStream_tbDpT10_ENKUlT_T0_E_clISt17integral_constantIbLb1EES1J_IbLb0EEEEDaS1F_S1G_EUlS1F_E_NS1_11comp_targetILNS1_3genE0ELNS1_11target_archE4294967295ELNS1_3gpuE0ELNS1_3repE0EEENS1_30default_config_static_selectorELNS0_4arch9wavefront6targetE0EEEvT1_,comdat
	.protected	_ZN7rocprim17ROCPRIM_400000_NS6detail17trampoline_kernelINS0_14default_configENS1_25partition_config_selectorILNS1_17partition_subalgoE6ExNS0_10empty_typeEbEEZZNS1_14partition_implILS5_6ELb0ES3_mN6thrust23THRUST_200600_302600_NS6detail15normal_iteratorINSA_10device_ptrIxEEEEPS6_SG_NS0_5tupleIJSF_S6_EEENSH_IJSG_SG_EEES6_PlJNSB_9not_fun_tINSB_10functional5actorINSM_9compositeIJNSM_27transparent_binary_operatorINSA_8equal_toIvEEEENSN_INSM_8argumentILj0EEEEENSM_5valueIxEEEEEEEEEEEE10hipError_tPvRmT3_T4_T5_T6_T7_T9_mT8_P12ihipStream_tbDpT10_ENKUlT_T0_E_clISt17integral_constantIbLb1EES1J_IbLb0EEEEDaS1F_S1G_EUlS1F_E_NS1_11comp_targetILNS1_3genE0ELNS1_11target_archE4294967295ELNS1_3gpuE0ELNS1_3repE0EEENS1_30default_config_static_selectorELNS0_4arch9wavefront6targetE0EEEvT1_ ; -- Begin function _ZN7rocprim17ROCPRIM_400000_NS6detail17trampoline_kernelINS0_14default_configENS1_25partition_config_selectorILNS1_17partition_subalgoE6ExNS0_10empty_typeEbEEZZNS1_14partition_implILS5_6ELb0ES3_mN6thrust23THRUST_200600_302600_NS6detail15normal_iteratorINSA_10device_ptrIxEEEEPS6_SG_NS0_5tupleIJSF_S6_EEENSH_IJSG_SG_EEES6_PlJNSB_9not_fun_tINSB_10functional5actorINSM_9compositeIJNSM_27transparent_binary_operatorINSA_8equal_toIvEEEENSN_INSM_8argumentILj0EEEEENSM_5valueIxEEEEEEEEEEEE10hipError_tPvRmT3_T4_T5_T6_T7_T9_mT8_P12ihipStream_tbDpT10_ENKUlT_T0_E_clISt17integral_constantIbLb1EES1J_IbLb0EEEEDaS1F_S1G_EUlS1F_E_NS1_11comp_targetILNS1_3genE0ELNS1_11target_archE4294967295ELNS1_3gpuE0ELNS1_3repE0EEENS1_30default_config_static_selectorELNS0_4arch9wavefront6targetE0EEEvT1_
	.globl	_ZN7rocprim17ROCPRIM_400000_NS6detail17trampoline_kernelINS0_14default_configENS1_25partition_config_selectorILNS1_17partition_subalgoE6ExNS0_10empty_typeEbEEZZNS1_14partition_implILS5_6ELb0ES3_mN6thrust23THRUST_200600_302600_NS6detail15normal_iteratorINSA_10device_ptrIxEEEEPS6_SG_NS0_5tupleIJSF_S6_EEENSH_IJSG_SG_EEES6_PlJNSB_9not_fun_tINSB_10functional5actorINSM_9compositeIJNSM_27transparent_binary_operatorINSA_8equal_toIvEEEENSN_INSM_8argumentILj0EEEEENSM_5valueIxEEEEEEEEEEEE10hipError_tPvRmT3_T4_T5_T6_T7_T9_mT8_P12ihipStream_tbDpT10_ENKUlT_T0_E_clISt17integral_constantIbLb1EES1J_IbLb0EEEEDaS1F_S1G_EUlS1F_E_NS1_11comp_targetILNS1_3genE0ELNS1_11target_archE4294967295ELNS1_3gpuE0ELNS1_3repE0EEENS1_30default_config_static_selectorELNS0_4arch9wavefront6targetE0EEEvT1_
	.p2align	8
	.type	_ZN7rocprim17ROCPRIM_400000_NS6detail17trampoline_kernelINS0_14default_configENS1_25partition_config_selectorILNS1_17partition_subalgoE6ExNS0_10empty_typeEbEEZZNS1_14partition_implILS5_6ELb0ES3_mN6thrust23THRUST_200600_302600_NS6detail15normal_iteratorINSA_10device_ptrIxEEEEPS6_SG_NS0_5tupleIJSF_S6_EEENSH_IJSG_SG_EEES6_PlJNSB_9not_fun_tINSB_10functional5actorINSM_9compositeIJNSM_27transparent_binary_operatorINSA_8equal_toIvEEEENSN_INSM_8argumentILj0EEEEENSM_5valueIxEEEEEEEEEEEE10hipError_tPvRmT3_T4_T5_T6_T7_T9_mT8_P12ihipStream_tbDpT10_ENKUlT_T0_E_clISt17integral_constantIbLb1EES1J_IbLb0EEEEDaS1F_S1G_EUlS1F_E_NS1_11comp_targetILNS1_3genE0ELNS1_11target_archE4294967295ELNS1_3gpuE0ELNS1_3repE0EEENS1_30default_config_static_selectorELNS0_4arch9wavefront6targetE0EEEvT1_,@function
_ZN7rocprim17ROCPRIM_400000_NS6detail17trampoline_kernelINS0_14default_configENS1_25partition_config_selectorILNS1_17partition_subalgoE6ExNS0_10empty_typeEbEEZZNS1_14partition_implILS5_6ELb0ES3_mN6thrust23THRUST_200600_302600_NS6detail15normal_iteratorINSA_10device_ptrIxEEEEPS6_SG_NS0_5tupleIJSF_S6_EEENSH_IJSG_SG_EEES6_PlJNSB_9not_fun_tINSB_10functional5actorINSM_9compositeIJNSM_27transparent_binary_operatorINSA_8equal_toIvEEEENSN_INSM_8argumentILj0EEEEENSM_5valueIxEEEEEEEEEEEE10hipError_tPvRmT3_T4_T5_T6_T7_T9_mT8_P12ihipStream_tbDpT10_ENKUlT_T0_E_clISt17integral_constantIbLb1EES1J_IbLb0EEEEDaS1F_S1G_EUlS1F_E_NS1_11comp_targetILNS1_3genE0ELNS1_11target_archE4294967295ELNS1_3gpuE0ELNS1_3repE0EEENS1_30default_config_static_selectorELNS0_4arch9wavefront6targetE0EEEvT1_: ; @_ZN7rocprim17ROCPRIM_400000_NS6detail17trampoline_kernelINS0_14default_configENS1_25partition_config_selectorILNS1_17partition_subalgoE6ExNS0_10empty_typeEbEEZZNS1_14partition_implILS5_6ELb0ES3_mN6thrust23THRUST_200600_302600_NS6detail15normal_iteratorINSA_10device_ptrIxEEEEPS6_SG_NS0_5tupleIJSF_S6_EEENSH_IJSG_SG_EEES6_PlJNSB_9not_fun_tINSB_10functional5actorINSM_9compositeIJNSM_27transparent_binary_operatorINSA_8equal_toIvEEEENSN_INSM_8argumentILj0EEEEENSM_5valueIxEEEEEEEEEEEE10hipError_tPvRmT3_T4_T5_T6_T7_T9_mT8_P12ihipStream_tbDpT10_ENKUlT_T0_E_clISt17integral_constantIbLb1EES1J_IbLb0EEEEDaS1F_S1G_EUlS1F_E_NS1_11comp_targetILNS1_3genE0ELNS1_11target_archE4294967295ELNS1_3gpuE0ELNS1_3repE0EEENS1_30default_config_static_selectorELNS0_4arch9wavefront6targetE0EEEvT1_
; %bb.0:
	.section	.rodata,"a",@progbits
	.p2align	6, 0x0
	.amdhsa_kernel _ZN7rocprim17ROCPRIM_400000_NS6detail17trampoline_kernelINS0_14default_configENS1_25partition_config_selectorILNS1_17partition_subalgoE6ExNS0_10empty_typeEbEEZZNS1_14partition_implILS5_6ELb0ES3_mN6thrust23THRUST_200600_302600_NS6detail15normal_iteratorINSA_10device_ptrIxEEEEPS6_SG_NS0_5tupleIJSF_S6_EEENSH_IJSG_SG_EEES6_PlJNSB_9not_fun_tINSB_10functional5actorINSM_9compositeIJNSM_27transparent_binary_operatorINSA_8equal_toIvEEEENSN_INSM_8argumentILj0EEEEENSM_5valueIxEEEEEEEEEEEE10hipError_tPvRmT3_T4_T5_T6_T7_T9_mT8_P12ihipStream_tbDpT10_ENKUlT_T0_E_clISt17integral_constantIbLb1EES1J_IbLb0EEEEDaS1F_S1G_EUlS1F_E_NS1_11comp_targetILNS1_3genE0ELNS1_11target_archE4294967295ELNS1_3gpuE0ELNS1_3repE0EEENS1_30default_config_static_selectorELNS0_4arch9wavefront6targetE0EEEvT1_
		.amdhsa_group_segment_fixed_size 0
		.amdhsa_private_segment_fixed_size 0
		.amdhsa_kernarg_size 128
		.amdhsa_user_sgpr_count 2
		.amdhsa_user_sgpr_dispatch_ptr 0
		.amdhsa_user_sgpr_queue_ptr 0
		.amdhsa_user_sgpr_kernarg_segment_ptr 1
		.amdhsa_user_sgpr_dispatch_id 0
		.amdhsa_user_sgpr_private_segment_size 0
		.amdhsa_wavefront_size32 1
		.amdhsa_uses_dynamic_stack 0
		.amdhsa_enable_private_segment 0
		.amdhsa_system_sgpr_workgroup_id_x 1
		.amdhsa_system_sgpr_workgroup_id_y 0
		.amdhsa_system_sgpr_workgroup_id_z 0
		.amdhsa_system_sgpr_workgroup_info 0
		.amdhsa_system_vgpr_workitem_id 0
		.amdhsa_next_free_vgpr 1
		.amdhsa_next_free_sgpr 1
		.amdhsa_reserve_vcc 0
		.amdhsa_float_round_mode_32 0
		.amdhsa_float_round_mode_16_64 0
		.amdhsa_float_denorm_mode_32 3
		.amdhsa_float_denorm_mode_16_64 3
		.amdhsa_fp16_overflow 0
		.amdhsa_workgroup_processor_mode 1
		.amdhsa_memory_ordered 1
		.amdhsa_forward_progress 1
		.amdhsa_inst_pref_size 0
		.amdhsa_round_robin_scheduling 0
		.amdhsa_exception_fp_ieee_invalid_op 0
		.amdhsa_exception_fp_denorm_src 0
		.amdhsa_exception_fp_ieee_div_zero 0
		.amdhsa_exception_fp_ieee_overflow 0
		.amdhsa_exception_fp_ieee_underflow 0
		.amdhsa_exception_fp_ieee_inexact 0
		.amdhsa_exception_int_div_zero 0
	.end_amdhsa_kernel
	.section	.text._ZN7rocprim17ROCPRIM_400000_NS6detail17trampoline_kernelINS0_14default_configENS1_25partition_config_selectorILNS1_17partition_subalgoE6ExNS0_10empty_typeEbEEZZNS1_14partition_implILS5_6ELb0ES3_mN6thrust23THRUST_200600_302600_NS6detail15normal_iteratorINSA_10device_ptrIxEEEEPS6_SG_NS0_5tupleIJSF_S6_EEENSH_IJSG_SG_EEES6_PlJNSB_9not_fun_tINSB_10functional5actorINSM_9compositeIJNSM_27transparent_binary_operatorINSA_8equal_toIvEEEENSN_INSM_8argumentILj0EEEEENSM_5valueIxEEEEEEEEEEEE10hipError_tPvRmT3_T4_T5_T6_T7_T9_mT8_P12ihipStream_tbDpT10_ENKUlT_T0_E_clISt17integral_constantIbLb1EES1J_IbLb0EEEEDaS1F_S1G_EUlS1F_E_NS1_11comp_targetILNS1_3genE0ELNS1_11target_archE4294967295ELNS1_3gpuE0ELNS1_3repE0EEENS1_30default_config_static_selectorELNS0_4arch9wavefront6targetE0EEEvT1_,"axG",@progbits,_ZN7rocprim17ROCPRIM_400000_NS6detail17trampoline_kernelINS0_14default_configENS1_25partition_config_selectorILNS1_17partition_subalgoE6ExNS0_10empty_typeEbEEZZNS1_14partition_implILS5_6ELb0ES3_mN6thrust23THRUST_200600_302600_NS6detail15normal_iteratorINSA_10device_ptrIxEEEEPS6_SG_NS0_5tupleIJSF_S6_EEENSH_IJSG_SG_EEES6_PlJNSB_9not_fun_tINSB_10functional5actorINSM_9compositeIJNSM_27transparent_binary_operatorINSA_8equal_toIvEEEENSN_INSM_8argumentILj0EEEEENSM_5valueIxEEEEEEEEEEEE10hipError_tPvRmT3_T4_T5_T6_T7_T9_mT8_P12ihipStream_tbDpT10_ENKUlT_T0_E_clISt17integral_constantIbLb1EES1J_IbLb0EEEEDaS1F_S1G_EUlS1F_E_NS1_11comp_targetILNS1_3genE0ELNS1_11target_archE4294967295ELNS1_3gpuE0ELNS1_3repE0EEENS1_30default_config_static_selectorELNS0_4arch9wavefront6targetE0EEEvT1_,comdat
.Lfunc_end195:
	.size	_ZN7rocprim17ROCPRIM_400000_NS6detail17trampoline_kernelINS0_14default_configENS1_25partition_config_selectorILNS1_17partition_subalgoE6ExNS0_10empty_typeEbEEZZNS1_14partition_implILS5_6ELb0ES3_mN6thrust23THRUST_200600_302600_NS6detail15normal_iteratorINSA_10device_ptrIxEEEEPS6_SG_NS0_5tupleIJSF_S6_EEENSH_IJSG_SG_EEES6_PlJNSB_9not_fun_tINSB_10functional5actorINSM_9compositeIJNSM_27transparent_binary_operatorINSA_8equal_toIvEEEENSN_INSM_8argumentILj0EEEEENSM_5valueIxEEEEEEEEEEEE10hipError_tPvRmT3_T4_T5_T6_T7_T9_mT8_P12ihipStream_tbDpT10_ENKUlT_T0_E_clISt17integral_constantIbLb1EES1J_IbLb0EEEEDaS1F_S1G_EUlS1F_E_NS1_11comp_targetILNS1_3genE0ELNS1_11target_archE4294967295ELNS1_3gpuE0ELNS1_3repE0EEENS1_30default_config_static_selectorELNS0_4arch9wavefront6targetE0EEEvT1_, .Lfunc_end195-_ZN7rocprim17ROCPRIM_400000_NS6detail17trampoline_kernelINS0_14default_configENS1_25partition_config_selectorILNS1_17partition_subalgoE6ExNS0_10empty_typeEbEEZZNS1_14partition_implILS5_6ELb0ES3_mN6thrust23THRUST_200600_302600_NS6detail15normal_iteratorINSA_10device_ptrIxEEEEPS6_SG_NS0_5tupleIJSF_S6_EEENSH_IJSG_SG_EEES6_PlJNSB_9not_fun_tINSB_10functional5actorINSM_9compositeIJNSM_27transparent_binary_operatorINSA_8equal_toIvEEEENSN_INSM_8argumentILj0EEEEENSM_5valueIxEEEEEEEEEEEE10hipError_tPvRmT3_T4_T5_T6_T7_T9_mT8_P12ihipStream_tbDpT10_ENKUlT_T0_E_clISt17integral_constantIbLb1EES1J_IbLb0EEEEDaS1F_S1G_EUlS1F_E_NS1_11comp_targetILNS1_3genE0ELNS1_11target_archE4294967295ELNS1_3gpuE0ELNS1_3repE0EEENS1_30default_config_static_selectorELNS0_4arch9wavefront6targetE0EEEvT1_
                                        ; -- End function
	.set _ZN7rocprim17ROCPRIM_400000_NS6detail17trampoline_kernelINS0_14default_configENS1_25partition_config_selectorILNS1_17partition_subalgoE6ExNS0_10empty_typeEbEEZZNS1_14partition_implILS5_6ELb0ES3_mN6thrust23THRUST_200600_302600_NS6detail15normal_iteratorINSA_10device_ptrIxEEEEPS6_SG_NS0_5tupleIJSF_S6_EEENSH_IJSG_SG_EEES6_PlJNSB_9not_fun_tINSB_10functional5actorINSM_9compositeIJNSM_27transparent_binary_operatorINSA_8equal_toIvEEEENSN_INSM_8argumentILj0EEEEENSM_5valueIxEEEEEEEEEEEE10hipError_tPvRmT3_T4_T5_T6_T7_T9_mT8_P12ihipStream_tbDpT10_ENKUlT_T0_E_clISt17integral_constantIbLb1EES1J_IbLb0EEEEDaS1F_S1G_EUlS1F_E_NS1_11comp_targetILNS1_3genE0ELNS1_11target_archE4294967295ELNS1_3gpuE0ELNS1_3repE0EEENS1_30default_config_static_selectorELNS0_4arch9wavefront6targetE0EEEvT1_.num_vgpr, 0
	.set _ZN7rocprim17ROCPRIM_400000_NS6detail17trampoline_kernelINS0_14default_configENS1_25partition_config_selectorILNS1_17partition_subalgoE6ExNS0_10empty_typeEbEEZZNS1_14partition_implILS5_6ELb0ES3_mN6thrust23THRUST_200600_302600_NS6detail15normal_iteratorINSA_10device_ptrIxEEEEPS6_SG_NS0_5tupleIJSF_S6_EEENSH_IJSG_SG_EEES6_PlJNSB_9not_fun_tINSB_10functional5actorINSM_9compositeIJNSM_27transparent_binary_operatorINSA_8equal_toIvEEEENSN_INSM_8argumentILj0EEEEENSM_5valueIxEEEEEEEEEEEE10hipError_tPvRmT3_T4_T5_T6_T7_T9_mT8_P12ihipStream_tbDpT10_ENKUlT_T0_E_clISt17integral_constantIbLb1EES1J_IbLb0EEEEDaS1F_S1G_EUlS1F_E_NS1_11comp_targetILNS1_3genE0ELNS1_11target_archE4294967295ELNS1_3gpuE0ELNS1_3repE0EEENS1_30default_config_static_selectorELNS0_4arch9wavefront6targetE0EEEvT1_.num_agpr, 0
	.set _ZN7rocprim17ROCPRIM_400000_NS6detail17trampoline_kernelINS0_14default_configENS1_25partition_config_selectorILNS1_17partition_subalgoE6ExNS0_10empty_typeEbEEZZNS1_14partition_implILS5_6ELb0ES3_mN6thrust23THRUST_200600_302600_NS6detail15normal_iteratorINSA_10device_ptrIxEEEEPS6_SG_NS0_5tupleIJSF_S6_EEENSH_IJSG_SG_EEES6_PlJNSB_9not_fun_tINSB_10functional5actorINSM_9compositeIJNSM_27transparent_binary_operatorINSA_8equal_toIvEEEENSN_INSM_8argumentILj0EEEEENSM_5valueIxEEEEEEEEEEEE10hipError_tPvRmT3_T4_T5_T6_T7_T9_mT8_P12ihipStream_tbDpT10_ENKUlT_T0_E_clISt17integral_constantIbLb1EES1J_IbLb0EEEEDaS1F_S1G_EUlS1F_E_NS1_11comp_targetILNS1_3genE0ELNS1_11target_archE4294967295ELNS1_3gpuE0ELNS1_3repE0EEENS1_30default_config_static_selectorELNS0_4arch9wavefront6targetE0EEEvT1_.numbered_sgpr, 0
	.set _ZN7rocprim17ROCPRIM_400000_NS6detail17trampoline_kernelINS0_14default_configENS1_25partition_config_selectorILNS1_17partition_subalgoE6ExNS0_10empty_typeEbEEZZNS1_14partition_implILS5_6ELb0ES3_mN6thrust23THRUST_200600_302600_NS6detail15normal_iteratorINSA_10device_ptrIxEEEEPS6_SG_NS0_5tupleIJSF_S6_EEENSH_IJSG_SG_EEES6_PlJNSB_9not_fun_tINSB_10functional5actorINSM_9compositeIJNSM_27transparent_binary_operatorINSA_8equal_toIvEEEENSN_INSM_8argumentILj0EEEEENSM_5valueIxEEEEEEEEEEEE10hipError_tPvRmT3_T4_T5_T6_T7_T9_mT8_P12ihipStream_tbDpT10_ENKUlT_T0_E_clISt17integral_constantIbLb1EES1J_IbLb0EEEEDaS1F_S1G_EUlS1F_E_NS1_11comp_targetILNS1_3genE0ELNS1_11target_archE4294967295ELNS1_3gpuE0ELNS1_3repE0EEENS1_30default_config_static_selectorELNS0_4arch9wavefront6targetE0EEEvT1_.num_named_barrier, 0
	.set _ZN7rocprim17ROCPRIM_400000_NS6detail17trampoline_kernelINS0_14default_configENS1_25partition_config_selectorILNS1_17partition_subalgoE6ExNS0_10empty_typeEbEEZZNS1_14partition_implILS5_6ELb0ES3_mN6thrust23THRUST_200600_302600_NS6detail15normal_iteratorINSA_10device_ptrIxEEEEPS6_SG_NS0_5tupleIJSF_S6_EEENSH_IJSG_SG_EEES6_PlJNSB_9not_fun_tINSB_10functional5actorINSM_9compositeIJNSM_27transparent_binary_operatorINSA_8equal_toIvEEEENSN_INSM_8argumentILj0EEEEENSM_5valueIxEEEEEEEEEEEE10hipError_tPvRmT3_T4_T5_T6_T7_T9_mT8_P12ihipStream_tbDpT10_ENKUlT_T0_E_clISt17integral_constantIbLb1EES1J_IbLb0EEEEDaS1F_S1G_EUlS1F_E_NS1_11comp_targetILNS1_3genE0ELNS1_11target_archE4294967295ELNS1_3gpuE0ELNS1_3repE0EEENS1_30default_config_static_selectorELNS0_4arch9wavefront6targetE0EEEvT1_.private_seg_size, 0
	.set _ZN7rocprim17ROCPRIM_400000_NS6detail17trampoline_kernelINS0_14default_configENS1_25partition_config_selectorILNS1_17partition_subalgoE6ExNS0_10empty_typeEbEEZZNS1_14partition_implILS5_6ELb0ES3_mN6thrust23THRUST_200600_302600_NS6detail15normal_iteratorINSA_10device_ptrIxEEEEPS6_SG_NS0_5tupleIJSF_S6_EEENSH_IJSG_SG_EEES6_PlJNSB_9not_fun_tINSB_10functional5actorINSM_9compositeIJNSM_27transparent_binary_operatorINSA_8equal_toIvEEEENSN_INSM_8argumentILj0EEEEENSM_5valueIxEEEEEEEEEEEE10hipError_tPvRmT3_T4_T5_T6_T7_T9_mT8_P12ihipStream_tbDpT10_ENKUlT_T0_E_clISt17integral_constantIbLb1EES1J_IbLb0EEEEDaS1F_S1G_EUlS1F_E_NS1_11comp_targetILNS1_3genE0ELNS1_11target_archE4294967295ELNS1_3gpuE0ELNS1_3repE0EEENS1_30default_config_static_selectorELNS0_4arch9wavefront6targetE0EEEvT1_.uses_vcc, 0
	.set _ZN7rocprim17ROCPRIM_400000_NS6detail17trampoline_kernelINS0_14default_configENS1_25partition_config_selectorILNS1_17partition_subalgoE6ExNS0_10empty_typeEbEEZZNS1_14partition_implILS5_6ELb0ES3_mN6thrust23THRUST_200600_302600_NS6detail15normal_iteratorINSA_10device_ptrIxEEEEPS6_SG_NS0_5tupleIJSF_S6_EEENSH_IJSG_SG_EEES6_PlJNSB_9not_fun_tINSB_10functional5actorINSM_9compositeIJNSM_27transparent_binary_operatorINSA_8equal_toIvEEEENSN_INSM_8argumentILj0EEEEENSM_5valueIxEEEEEEEEEEEE10hipError_tPvRmT3_T4_T5_T6_T7_T9_mT8_P12ihipStream_tbDpT10_ENKUlT_T0_E_clISt17integral_constantIbLb1EES1J_IbLb0EEEEDaS1F_S1G_EUlS1F_E_NS1_11comp_targetILNS1_3genE0ELNS1_11target_archE4294967295ELNS1_3gpuE0ELNS1_3repE0EEENS1_30default_config_static_selectorELNS0_4arch9wavefront6targetE0EEEvT1_.uses_flat_scratch, 0
	.set _ZN7rocprim17ROCPRIM_400000_NS6detail17trampoline_kernelINS0_14default_configENS1_25partition_config_selectorILNS1_17partition_subalgoE6ExNS0_10empty_typeEbEEZZNS1_14partition_implILS5_6ELb0ES3_mN6thrust23THRUST_200600_302600_NS6detail15normal_iteratorINSA_10device_ptrIxEEEEPS6_SG_NS0_5tupleIJSF_S6_EEENSH_IJSG_SG_EEES6_PlJNSB_9not_fun_tINSB_10functional5actorINSM_9compositeIJNSM_27transparent_binary_operatorINSA_8equal_toIvEEEENSN_INSM_8argumentILj0EEEEENSM_5valueIxEEEEEEEEEEEE10hipError_tPvRmT3_T4_T5_T6_T7_T9_mT8_P12ihipStream_tbDpT10_ENKUlT_T0_E_clISt17integral_constantIbLb1EES1J_IbLb0EEEEDaS1F_S1G_EUlS1F_E_NS1_11comp_targetILNS1_3genE0ELNS1_11target_archE4294967295ELNS1_3gpuE0ELNS1_3repE0EEENS1_30default_config_static_selectorELNS0_4arch9wavefront6targetE0EEEvT1_.has_dyn_sized_stack, 0
	.set _ZN7rocprim17ROCPRIM_400000_NS6detail17trampoline_kernelINS0_14default_configENS1_25partition_config_selectorILNS1_17partition_subalgoE6ExNS0_10empty_typeEbEEZZNS1_14partition_implILS5_6ELb0ES3_mN6thrust23THRUST_200600_302600_NS6detail15normal_iteratorINSA_10device_ptrIxEEEEPS6_SG_NS0_5tupleIJSF_S6_EEENSH_IJSG_SG_EEES6_PlJNSB_9not_fun_tINSB_10functional5actorINSM_9compositeIJNSM_27transparent_binary_operatorINSA_8equal_toIvEEEENSN_INSM_8argumentILj0EEEEENSM_5valueIxEEEEEEEEEEEE10hipError_tPvRmT3_T4_T5_T6_T7_T9_mT8_P12ihipStream_tbDpT10_ENKUlT_T0_E_clISt17integral_constantIbLb1EES1J_IbLb0EEEEDaS1F_S1G_EUlS1F_E_NS1_11comp_targetILNS1_3genE0ELNS1_11target_archE4294967295ELNS1_3gpuE0ELNS1_3repE0EEENS1_30default_config_static_selectorELNS0_4arch9wavefront6targetE0EEEvT1_.has_recursion, 0
	.set _ZN7rocprim17ROCPRIM_400000_NS6detail17trampoline_kernelINS0_14default_configENS1_25partition_config_selectorILNS1_17partition_subalgoE6ExNS0_10empty_typeEbEEZZNS1_14partition_implILS5_6ELb0ES3_mN6thrust23THRUST_200600_302600_NS6detail15normal_iteratorINSA_10device_ptrIxEEEEPS6_SG_NS0_5tupleIJSF_S6_EEENSH_IJSG_SG_EEES6_PlJNSB_9not_fun_tINSB_10functional5actorINSM_9compositeIJNSM_27transparent_binary_operatorINSA_8equal_toIvEEEENSN_INSM_8argumentILj0EEEEENSM_5valueIxEEEEEEEEEEEE10hipError_tPvRmT3_T4_T5_T6_T7_T9_mT8_P12ihipStream_tbDpT10_ENKUlT_T0_E_clISt17integral_constantIbLb1EES1J_IbLb0EEEEDaS1F_S1G_EUlS1F_E_NS1_11comp_targetILNS1_3genE0ELNS1_11target_archE4294967295ELNS1_3gpuE0ELNS1_3repE0EEENS1_30default_config_static_selectorELNS0_4arch9wavefront6targetE0EEEvT1_.has_indirect_call, 0
	.section	.AMDGPU.csdata,"",@progbits
; Kernel info:
; codeLenInByte = 0
; TotalNumSgprs: 0
; NumVgprs: 0
; ScratchSize: 0
; MemoryBound: 0
; FloatMode: 240
; IeeeMode: 1
; LDSByteSize: 0 bytes/workgroup (compile time only)
; SGPRBlocks: 0
; VGPRBlocks: 0
; NumSGPRsForWavesPerEU: 1
; NumVGPRsForWavesPerEU: 1
; Occupancy: 16
; WaveLimiterHint : 0
; COMPUTE_PGM_RSRC2:SCRATCH_EN: 0
; COMPUTE_PGM_RSRC2:USER_SGPR: 2
; COMPUTE_PGM_RSRC2:TRAP_HANDLER: 0
; COMPUTE_PGM_RSRC2:TGID_X_EN: 1
; COMPUTE_PGM_RSRC2:TGID_Y_EN: 0
; COMPUTE_PGM_RSRC2:TGID_Z_EN: 0
; COMPUTE_PGM_RSRC2:TIDIG_COMP_CNT: 0
	.section	.text._ZN7rocprim17ROCPRIM_400000_NS6detail17trampoline_kernelINS0_14default_configENS1_25partition_config_selectorILNS1_17partition_subalgoE6ExNS0_10empty_typeEbEEZZNS1_14partition_implILS5_6ELb0ES3_mN6thrust23THRUST_200600_302600_NS6detail15normal_iteratorINSA_10device_ptrIxEEEEPS6_SG_NS0_5tupleIJSF_S6_EEENSH_IJSG_SG_EEES6_PlJNSB_9not_fun_tINSB_10functional5actorINSM_9compositeIJNSM_27transparent_binary_operatorINSA_8equal_toIvEEEENSN_INSM_8argumentILj0EEEEENSM_5valueIxEEEEEEEEEEEE10hipError_tPvRmT3_T4_T5_T6_T7_T9_mT8_P12ihipStream_tbDpT10_ENKUlT_T0_E_clISt17integral_constantIbLb1EES1J_IbLb0EEEEDaS1F_S1G_EUlS1F_E_NS1_11comp_targetILNS1_3genE5ELNS1_11target_archE942ELNS1_3gpuE9ELNS1_3repE0EEENS1_30default_config_static_selectorELNS0_4arch9wavefront6targetE0EEEvT1_,"axG",@progbits,_ZN7rocprim17ROCPRIM_400000_NS6detail17trampoline_kernelINS0_14default_configENS1_25partition_config_selectorILNS1_17partition_subalgoE6ExNS0_10empty_typeEbEEZZNS1_14partition_implILS5_6ELb0ES3_mN6thrust23THRUST_200600_302600_NS6detail15normal_iteratorINSA_10device_ptrIxEEEEPS6_SG_NS0_5tupleIJSF_S6_EEENSH_IJSG_SG_EEES6_PlJNSB_9not_fun_tINSB_10functional5actorINSM_9compositeIJNSM_27transparent_binary_operatorINSA_8equal_toIvEEEENSN_INSM_8argumentILj0EEEEENSM_5valueIxEEEEEEEEEEEE10hipError_tPvRmT3_T4_T5_T6_T7_T9_mT8_P12ihipStream_tbDpT10_ENKUlT_T0_E_clISt17integral_constantIbLb1EES1J_IbLb0EEEEDaS1F_S1G_EUlS1F_E_NS1_11comp_targetILNS1_3genE5ELNS1_11target_archE942ELNS1_3gpuE9ELNS1_3repE0EEENS1_30default_config_static_selectorELNS0_4arch9wavefront6targetE0EEEvT1_,comdat
	.protected	_ZN7rocprim17ROCPRIM_400000_NS6detail17trampoline_kernelINS0_14default_configENS1_25partition_config_selectorILNS1_17partition_subalgoE6ExNS0_10empty_typeEbEEZZNS1_14partition_implILS5_6ELb0ES3_mN6thrust23THRUST_200600_302600_NS6detail15normal_iteratorINSA_10device_ptrIxEEEEPS6_SG_NS0_5tupleIJSF_S6_EEENSH_IJSG_SG_EEES6_PlJNSB_9not_fun_tINSB_10functional5actorINSM_9compositeIJNSM_27transparent_binary_operatorINSA_8equal_toIvEEEENSN_INSM_8argumentILj0EEEEENSM_5valueIxEEEEEEEEEEEE10hipError_tPvRmT3_T4_T5_T6_T7_T9_mT8_P12ihipStream_tbDpT10_ENKUlT_T0_E_clISt17integral_constantIbLb1EES1J_IbLb0EEEEDaS1F_S1G_EUlS1F_E_NS1_11comp_targetILNS1_3genE5ELNS1_11target_archE942ELNS1_3gpuE9ELNS1_3repE0EEENS1_30default_config_static_selectorELNS0_4arch9wavefront6targetE0EEEvT1_ ; -- Begin function _ZN7rocprim17ROCPRIM_400000_NS6detail17trampoline_kernelINS0_14default_configENS1_25partition_config_selectorILNS1_17partition_subalgoE6ExNS0_10empty_typeEbEEZZNS1_14partition_implILS5_6ELb0ES3_mN6thrust23THRUST_200600_302600_NS6detail15normal_iteratorINSA_10device_ptrIxEEEEPS6_SG_NS0_5tupleIJSF_S6_EEENSH_IJSG_SG_EEES6_PlJNSB_9not_fun_tINSB_10functional5actorINSM_9compositeIJNSM_27transparent_binary_operatorINSA_8equal_toIvEEEENSN_INSM_8argumentILj0EEEEENSM_5valueIxEEEEEEEEEEEE10hipError_tPvRmT3_T4_T5_T6_T7_T9_mT8_P12ihipStream_tbDpT10_ENKUlT_T0_E_clISt17integral_constantIbLb1EES1J_IbLb0EEEEDaS1F_S1G_EUlS1F_E_NS1_11comp_targetILNS1_3genE5ELNS1_11target_archE942ELNS1_3gpuE9ELNS1_3repE0EEENS1_30default_config_static_selectorELNS0_4arch9wavefront6targetE0EEEvT1_
	.globl	_ZN7rocprim17ROCPRIM_400000_NS6detail17trampoline_kernelINS0_14default_configENS1_25partition_config_selectorILNS1_17partition_subalgoE6ExNS0_10empty_typeEbEEZZNS1_14partition_implILS5_6ELb0ES3_mN6thrust23THRUST_200600_302600_NS6detail15normal_iteratorINSA_10device_ptrIxEEEEPS6_SG_NS0_5tupleIJSF_S6_EEENSH_IJSG_SG_EEES6_PlJNSB_9not_fun_tINSB_10functional5actorINSM_9compositeIJNSM_27transparent_binary_operatorINSA_8equal_toIvEEEENSN_INSM_8argumentILj0EEEEENSM_5valueIxEEEEEEEEEEEE10hipError_tPvRmT3_T4_T5_T6_T7_T9_mT8_P12ihipStream_tbDpT10_ENKUlT_T0_E_clISt17integral_constantIbLb1EES1J_IbLb0EEEEDaS1F_S1G_EUlS1F_E_NS1_11comp_targetILNS1_3genE5ELNS1_11target_archE942ELNS1_3gpuE9ELNS1_3repE0EEENS1_30default_config_static_selectorELNS0_4arch9wavefront6targetE0EEEvT1_
	.p2align	8
	.type	_ZN7rocprim17ROCPRIM_400000_NS6detail17trampoline_kernelINS0_14default_configENS1_25partition_config_selectorILNS1_17partition_subalgoE6ExNS0_10empty_typeEbEEZZNS1_14partition_implILS5_6ELb0ES3_mN6thrust23THRUST_200600_302600_NS6detail15normal_iteratorINSA_10device_ptrIxEEEEPS6_SG_NS0_5tupleIJSF_S6_EEENSH_IJSG_SG_EEES6_PlJNSB_9not_fun_tINSB_10functional5actorINSM_9compositeIJNSM_27transparent_binary_operatorINSA_8equal_toIvEEEENSN_INSM_8argumentILj0EEEEENSM_5valueIxEEEEEEEEEEEE10hipError_tPvRmT3_T4_T5_T6_T7_T9_mT8_P12ihipStream_tbDpT10_ENKUlT_T0_E_clISt17integral_constantIbLb1EES1J_IbLb0EEEEDaS1F_S1G_EUlS1F_E_NS1_11comp_targetILNS1_3genE5ELNS1_11target_archE942ELNS1_3gpuE9ELNS1_3repE0EEENS1_30default_config_static_selectorELNS0_4arch9wavefront6targetE0EEEvT1_,@function
_ZN7rocprim17ROCPRIM_400000_NS6detail17trampoline_kernelINS0_14default_configENS1_25partition_config_selectorILNS1_17partition_subalgoE6ExNS0_10empty_typeEbEEZZNS1_14partition_implILS5_6ELb0ES3_mN6thrust23THRUST_200600_302600_NS6detail15normal_iteratorINSA_10device_ptrIxEEEEPS6_SG_NS0_5tupleIJSF_S6_EEENSH_IJSG_SG_EEES6_PlJNSB_9not_fun_tINSB_10functional5actorINSM_9compositeIJNSM_27transparent_binary_operatorINSA_8equal_toIvEEEENSN_INSM_8argumentILj0EEEEENSM_5valueIxEEEEEEEEEEEE10hipError_tPvRmT3_T4_T5_T6_T7_T9_mT8_P12ihipStream_tbDpT10_ENKUlT_T0_E_clISt17integral_constantIbLb1EES1J_IbLb0EEEEDaS1F_S1G_EUlS1F_E_NS1_11comp_targetILNS1_3genE5ELNS1_11target_archE942ELNS1_3gpuE9ELNS1_3repE0EEENS1_30default_config_static_selectorELNS0_4arch9wavefront6targetE0EEEvT1_: ; @_ZN7rocprim17ROCPRIM_400000_NS6detail17trampoline_kernelINS0_14default_configENS1_25partition_config_selectorILNS1_17partition_subalgoE6ExNS0_10empty_typeEbEEZZNS1_14partition_implILS5_6ELb0ES3_mN6thrust23THRUST_200600_302600_NS6detail15normal_iteratorINSA_10device_ptrIxEEEEPS6_SG_NS0_5tupleIJSF_S6_EEENSH_IJSG_SG_EEES6_PlJNSB_9not_fun_tINSB_10functional5actorINSM_9compositeIJNSM_27transparent_binary_operatorINSA_8equal_toIvEEEENSN_INSM_8argumentILj0EEEEENSM_5valueIxEEEEEEEEEEEE10hipError_tPvRmT3_T4_T5_T6_T7_T9_mT8_P12ihipStream_tbDpT10_ENKUlT_T0_E_clISt17integral_constantIbLb1EES1J_IbLb0EEEEDaS1F_S1G_EUlS1F_E_NS1_11comp_targetILNS1_3genE5ELNS1_11target_archE942ELNS1_3gpuE9ELNS1_3repE0EEENS1_30default_config_static_selectorELNS0_4arch9wavefront6targetE0EEEvT1_
; %bb.0:
	.section	.rodata,"a",@progbits
	.p2align	6, 0x0
	.amdhsa_kernel _ZN7rocprim17ROCPRIM_400000_NS6detail17trampoline_kernelINS0_14default_configENS1_25partition_config_selectorILNS1_17partition_subalgoE6ExNS0_10empty_typeEbEEZZNS1_14partition_implILS5_6ELb0ES3_mN6thrust23THRUST_200600_302600_NS6detail15normal_iteratorINSA_10device_ptrIxEEEEPS6_SG_NS0_5tupleIJSF_S6_EEENSH_IJSG_SG_EEES6_PlJNSB_9not_fun_tINSB_10functional5actorINSM_9compositeIJNSM_27transparent_binary_operatorINSA_8equal_toIvEEEENSN_INSM_8argumentILj0EEEEENSM_5valueIxEEEEEEEEEEEE10hipError_tPvRmT3_T4_T5_T6_T7_T9_mT8_P12ihipStream_tbDpT10_ENKUlT_T0_E_clISt17integral_constantIbLb1EES1J_IbLb0EEEEDaS1F_S1G_EUlS1F_E_NS1_11comp_targetILNS1_3genE5ELNS1_11target_archE942ELNS1_3gpuE9ELNS1_3repE0EEENS1_30default_config_static_selectorELNS0_4arch9wavefront6targetE0EEEvT1_
		.amdhsa_group_segment_fixed_size 0
		.amdhsa_private_segment_fixed_size 0
		.amdhsa_kernarg_size 128
		.amdhsa_user_sgpr_count 2
		.amdhsa_user_sgpr_dispatch_ptr 0
		.amdhsa_user_sgpr_queue_ptr 0
		.amdhsa_user_sgpr_kernarg_segment_ptr 1
		.amdhsa_user_sgpr_dispatch_id 0
		.amdhsa_user_sgpr_private_segment_size 0
		.amdhsa_wavefront_size32 1
		.amdhsa_uses_dynamic_stack 0
		.amdhsa_enable_private_segment 0
		.amdhsa_system_sgpr_workgroup_id_x 1
		.amdhsa_system_sgpr_workgroup_id_y 0
		.amdhsa_system_sgpr_workgroup_id_z 0
		.amdhsa_system_sgpr_workgroup_info 0
		.amdhsa_system_vgpr_workitem_id 0
		.amdhsa_next_free_vgpr 1
		.amdhsa_next_free_sgpr 1
		.amdhsa_reserve_vcc 0
		.amdhsa_float_round_mode_32 0
		.amdhsa_float_round_mode_16_64 0
		.amdhsa_float_denorm_mode_32 3
		.amdhsa_float_denorm_mode_16_64 3
		.amdhsa_fp16_overflow 0
		.amdhsa_workgroup_processor_mode 1
		.amdhsa_memory_ordered 1
		.amdhsa_forward_progress 1
		.amdhsa_inst_pref_size 0
		.amdhsa_round_robin_scheduling 0
		.amdhsa_exception_fp_ieee_invalid_op 0
		.amdhsa_exception_fp_denorm_src 0
		.amdhsa_exception_fp_ieee_div_zero 0
		.amdhsa_exception_fp_ieee_overflow 0
		.amdhsa_exception_fp_ieee_underflow 0
		.amdhsa_exception_fp_ieee_inexact 0
		.amdhsa_exception_int_div_zero 0
	.end_amdhsa_kernel
	.section	.text._ZN7rocprim17ROCPRIM_400000_NS6detail17trampoline_kernelINS0_14default_configENS1_25partition_config_selectorILNS1_17partition_subalgoE6ExNS0_10empty_typeEbEEZZNS1_14partition_implILS5_6ELb0ES3_mN6thrust23THRUST_200600_302600_NS6detail15normal_iteratorINSA_10device_ptrIxEEEEPS6_SG_NS0_5tupleIJSF_S6_EEENSH_IJSG_SG_EEES6_PlJNSB_9not_fun_tINSB_10functional5actorINSM_9compositeIJNSM_27transparent_binary_operatorINSA_8equal_toIvEEEENSN_INSM_8argumentILj0EEEEENSM_5valueIxEEEEEEEEEEEE10hipError_tPvRmT3_T4_T5_T6_T7_T9_mT8_P12ihipStream_tbDpT10_ENKUlT_T0_E_clISt17integral_constantIbLb1EES1J_IbLb0EEEEDaS1F_S1G_EUlS1F_E_NS1_11comp_targetILNS1_3genE5ELNS1_11target_archE942ELNS1_3gpuE9ELNS1_3repE0EEENS1_30default_config_static_selectorELNS0_4arch9wavefront6targetE0EEEvT1_,"axG",@progbits,_ZN7rocprim17ROCPRIM_400000_NS6detail17trampoline_kernelINS0_14default_configENS1_25partition_config_selectorILNS1_17partition_subalgoE6ExNS0_10empty_typeEbEEZZNS1_14partition_implILS5_6ELb0ES3_mN6thrust23THRUST_200600_302600_NS6detail15normal_iteratorINSA_10device_ptrIxEEEEPS6_SG_NS0_5tupleIJSF_S6_EEENSH_IJSG_SG_EEES6_PlJNSB_9not_fun_tINSB_10functional5actorINSM_9compositeIJNSM_27transparent_binary_operatorINSA_8equal_toIvEEEENSN_INSM_8argumentILj0EEEEENSM_5valueIxEEEEEEEEEEEE10hipError_tPvRmT3_T4_T5_T6_T7_T9_mT8_P12ihipStream_tbDpT10_ENKUlT_T0_E_clISt17integral_constantIbLb1EES1J_IbLb0EEEEDaS1F_S1G_EUlS1F_E_NS1_11comp_targetILNS1_3genE5ELNS1_11target_archE942ELNS1_3gpuE9ELNS1_3repE0EEENS1_30default_config_static_selectorELNS0_4arch9wavefront6targetE0EEEvT1_,comdat
.Lfunc_end196:
	.size	_ZN7rocprim17ROCPRIM_400000_NS6detail17trampoline_kernelINS0_14default_configENS1_25partition_config_selectorILNS1_17partition_subalgoE6ExNS0_10empty_typeEbEEZZNS1_14partition_implILS5_6ELb0ES3_mN6thrust23THRUST_200600_302600_NS6detail15normal_iteratorINSA_10device_ptrIxEEEEPS6_SG_NS0_5tupleIJSF_S6_EEENSH_IJSG_SG_EEES6_PlJNSB_9not_fun_tINSB_10functional5actorINSM_9compositeIJNSM_27transparent_binary_operatorINSA_8equal_toIvEEEENSN_INSM_8argumentILj0EEEEENSM_5valueIxEEEEEEEEEEEE10hipError_tPvRmT3_T4_T5_T6_T7_T9_mT8_P12ihipStream_tbDpT10_ENKUlT_T0_E_clISt17integral_constantIbLb1EES1J_IbLb0EEEEDaS1F_S1G_EUlS1F_E_NS1_11comp_targetILNS1_3genE5ELNS1_11target_archE942ELNS1_3gpuE9ELNS1_3repE0EEENS1_30default_config_static_selectorELNS0_4arch9wavefront6targetE0EEEvT1_, .Lfunc_end196-_ZN7rocprim17ROCPRIM_400000_NS6detail17trampoline_kernelINS0_14default_configENS1_25partition_config_selectorILNS1_17partition_subalgoE6ExNS0_10empty_typeEbEEZZNS1_14partition_implILS5_6ELb0ES3_mN6thrust23THRUST_200600_302600_NS6detail15normal_iteratorINSA_10device_ptrIxEEEEPS6_SG_NS0_5tupleIJSF_S6_EEENSH_IJSG_SG_EEES6_PlJNSB_9not_fun_tINSB_10functional5actorINSM_9compositeIJNSM_27transparent_binary_operatorINSA_8equal_toIvEEEENSN_INSM_8argumentILj0EEEEENSM_5valueIxEEEEEEEEEEEE10hipError_tPvRmT3_T4_T5_T6_T7_T9_mT8_P12ihipStream_tbDpT10_ENKUlT_T0_E_clISt17integral_constantIbLb1EES1J_IbLb0EEEEDaS1F_S1G_EUlS1F_E_NS1_11comp_targetILNS1_3genE5ELNS1_11target_archE942ELNS1_3gpuE9ELNS1_3repE0EEENS1_30default_config_static_selectorELNS0_4arch9wavefront6targetE0EEEvT1_
                                        ; -- End function
	.set _ZN7rocprim17ROCPRIM_400000_NS6detail17trampoline_kernelINS0_14default_configENS1_25partition_config_selectorILNS1_17partition_subalgoE6ExNS0_10empty_typeEbEEZZNS1_14partition_implILS5_6ELb0ES3_mN6thrust23THRUST_200600_302600_NS6detail15normal_iteratorINSA_10device_ptrIxEEEEPS6_SG_NS0_5tupleIJSF_S6_EEENSH_IJSG_SG_EEES6_PlJNSB_9not_fun_tINSB_10functional5actorINSM_9compositeIJNSM_27transparent_binary_operatorINSA_8equal_toIvEEEENSN_INSM_8argumentILj0EEEEENSM_5valueIxEEEEEEEEEEEE10hipError_tPvRmT3_T4_T5_T6_T7_T9_mT8_P12ihipStream_tbDpT10_ENKUlT_T0_E_clISt17integral_constantIbLb1EES1J_IbLb0EEEEDaS1F_S1G_EUlS1F_E_NS1_11comp_targetILNS1_3genE5ELNS1_11target_archE942ELNS1_3gpuE9ELNS1_3repE0EEENS1_30default_config_static_selectorELNS0_4arch9wavefront6targetE0EEEvT1_.num_vgpr, 0
	.set _ZN7rocprim17ROCPRIM_400000_NS6detail17trampoline_kernelINS0_14default_configENS1_25partition_config_selectorILNS1_17partition_subalgoE6ExNS0_10empty_typeEbEEZZNS1_14partition_implILS5_6ELb0ES3_mN6thrust23THRUST_200600_302600_NS6detail15normal_iteratorINSA_10device_ptrIxEEEEPS6_SG_NS0_5tupleIJSF_S6_EEENSH_IJSG_SG_EEES6_PlJNSB_9not_fun_tINSB_10functional5actorINSM_9compositeIJNSM_27transparent_binary_operatorINSA_8equal_toIvEEEENSN_INSM_8argumentILj0EEEEENSM_5valueIxEEEEEEEEEEEE10hipError_tPvRmT3_T4_T5_T6_T7_T9_mT8_P12ihipStream_tbDpT10_ENKUlT_T0_E_clISt17integral_constantIbLb1EES1J_IbLb0EEEEDaS1F_S1G_EUlS1F_E_NS1_11comp_targetILNS1_3genE5ELNS1_11target_archE942ELNS1_3gpuE9ELNS1_3repE0EEENS1_30default_config_static_selectorELNS0_4arch9wavefront6targetE0EEEvT1_.num_agpr, 0
	.set _ZN7rocprim17ROCPRIM_400000_NS6detail17trampoline_kernelINS0_14default_configENS1_25partition_config_selectorILNS1_17partition_subalgoE6ExNS0_10empty_typeEbEEZZNS1_14partition_implILS5_6ELb0ES3_mN6thrust23THRUST_200600_302600_NS6detail15normal_iteratorINSA_10device_ptrIxEEEEPS6_SG_NS0_5tupleIJSF_S6_EEENSH_IJSG_SG_EEES6_PlJNSB_9not_fun_tINSB_10functional5actorINSM_9compositeIJNSM_27transparent_binary_operatorINSA_8equal_toIvEEEENSN_INSM_8argumentILj0EEEEENSM_5valueIxEEEEEEEEEEEE10hipError_tPvRmT3_T4_T5_T6_T7_T9_mT8_P12ihipStream_tbDpT10_ENKUlT_T0_E_clISt17integral_constantIbLb1EES1J_IbLb0EEEEDaS1F_S1G_EUlS1F_E_NS1_11comp_targetILNS1_3genE5ELNS1_11target_archE942ELNS1_3gpuE9ELNS1_3repE0EEENS1_30default_config_static_selectorELNS0_4arch9wavefront6targetE0EEEvT1_.numbered_sgpr, 0
	.set _ZN7rocprim17ROCPRIM_400000_NS6detail17trampoline_kernelINS0_14default_configENS1_25partition_config_selectorILNS1_17partition_subalgoE6ExNS0_10empty_typeEbEEZZNS1_14partition_implILS5_6ELb0ES3_mN6thrust23THRUST_200600_302600_NS6detail15normal_iteratorINSA_10device_ptrIxEEEEPS6_SG_NS0_5tupleIJSF_S6_EEENSH_IJSG_SG_EEES6_PlJNSB_9not_fun_tINSB_10functional5actorINSM_9compositeIJNSM_27transparent_binary_operatorINSA_8equal_toIvEEEENSN_INSM_8argumentILj0EEEEENSM_5valueIxEEEEEEEEEEEE10hipError_tPvRmT3_T4_T5_T6_T7_T9_mT8_P12ihipStream_tbDpT10_ENKUlT_T0_E_clISt17integral_constantIbLb1EES1J_IbLb0EEEEDaS1F_S1G_EUlS1F_E_NS1_11comp_targetILNS1_3genE5ELNS1_11target_archE942ELNS1_3gpuE9ELNS1_3repE0EEENS1_30default_config_static_selectorELNS0_4arch9wavefront6targetE0EEEvT1_.num_named_barrier, 0
	.set _ZN7rocprim17ROCPRIM_400000_NS6detail17trampoline_kernelINS0_14default_configENS1_25partition_config_selectorILNS1_17partition_subalgoE6ExNS0_10empty_typeEbEEZZNS1_14partition_implILS5_6ELb0ES3_mN6thrust23THRUST_200600_302600_NS6detail15normal_iteratorINSA_10device_ptrIxEEEEPS6_SG_NS0_5tupleIJSF_S6_EEENSH_IJSG_SG_EEES6_PlJNSB_9not_fun_tINSB_10functional5actorINSM_9compositeIJNSM_27transparent_binary_operatorINSA_8equal_toIvEEEENSN_INSM_8argumentILj0EEEEENSM_5valueIxEEEEEEEEEEEE10hipError_tPvRmT3_T4_T5_T6_T7_T9_mT8_P12ihipStream_tbDpT10_ENKUlT_T0_E_clISt17integral_constantIbLb1EES1J_IbLb0EEEEDaS1F_S1G_EUlS1F_E_NS1_11comp_targetILNS1_3genE5ELNS1_11target_archE942ELNS1_3gpuE9ELNS1_3repE0EEENS1_30default_config_static_selectorELNS0_4arch9wavefront6targetE0EEEvT1_.private_seg_size, 0
	.set _ZN7rocprim17ROCPRIM_400000_NS6detail17trampoline_kernelINS0_14default_configENS1_25partition_config_selectorILNS1_17partition_subalgoE6ExNS0_10empty_typeEbEEZZNS1_14partition_implILS5_6ELb0ES3_mN6thrust23THRUST_200600_302600_NS6detail15normal_iteratorINSA_10device_ptrIxEEEEPS6_SG_NS0_5tupleIJSF_S6_EEENSH_IJSG_SG_EEES6_PlJNSB_9not_fun_tINSB_10functional5actorINSM_9compositeIJNSM_27transparent_binary_operatorINSA_8equal_toIvEEEENSN_INSM_8argumentILj0EEEEENSM_5valueIxEEEEEEEEEEEE10hipError_tPvRmT3_T4_T5_T6_T7_T9_mT8_P12ihipStream_tbDpT10_ENKUlT_T0_E_clISt17integral_constantIbLb1EES1J_IbLb0EEEEDaS1F_S1G_EUlS1F_E_NS1_11comp_targetILNS1_3genE5ELNS1_11target_archE942ELNS1_3gpuE9ELNS1_3repE0EEENS1_30default_config_static_selectorELNS0_4arch9wavefront6targetE0EEEvT1_.uses_vcc, 0
	.set _ZN7rocprim17ROCPRIM_400000_NS6detail17trampoline_kernelINS0_14default_configENS1_25partition_config_selectorILNS1_17partition_subalgoE6ExNS0_10empty_typeEbEEZZNS1_14partition_implILS5_6ELb0ES3_mN6thrust23THRUST_200600_302600_NS6detail15normal_iteratorINSA_10device_ptrIxEEEEPS6_SG_NS0_5tupleIJSF_S6_EEENSH_IJSG_SG_EEES6_PlJNSB_9not_fun_tINSB_10functional5actorINSM_9compositeIJNSM_27transparent_binary_operatorINSA_8equal_toIvEEEENSN_INSM_8argumentILj0EEEEENSM_5valueIxEEEEEEEEEEEE10hipError_tPvRmT3_T4_T5_T6_T7_T9_mT8_P12ihipStream_tbDpT10_ENKUlT_T0_E_clISt17integral_constantIbLb1EES1J_IbLb0EEEEDaS1F_S1G_EUlS1F_E_NS1_11comp_targetILNS1_3genE5ELNS1_11target_archE942ELNS1_3gpuE9ELNS1_3repE0EEENS1_30default_config_static_selectorELNS0_4arch9wavefront6targetE0EEEvT1_.uses_flat_scratch, 0
	.set _ZN7rocprim17ROCPRIM_400000_NS6detail17trampoline_kernelINS0_14default_configENS1_25partition_config_selectorILNS1_17partition_subalgoE6ExNS0_10empty_typeEbEEZZNS1_14partition_implILS5_6ELb0ES3_mN6thrust23THRUST_200600_302600_NS6detail15normal_iteratorINSA_10device_ptrIxEEEEPS6_SG_NS0_5tupleIJSF_S6_EEENSH_IJSG_SG_EEES6_PlJNSB_9not_fun_tINSB_10functional5actorINSM_9compositeIJNSM_27transparent_binary_operatorINSA_8equal_toIvEEEENSN_INSM_8argumentILj0EEEEENSM_5valueIxEEEEEEEEEEEE10hipError_tPvRmT3_T4_T5_T6_T7_T9_mT8_P12ihipStream_tbDpT10_ENKUlT_T0_E_clISt17integral_constantIbLb1EES1J_IbLb0EEEEDaS1F_S1G_EUlS1F_E_NS1_11comp_targetILNS1_3genE5ELNS1_11target_archE942ELNS1_3gpuE9ELNS1_3repE0EEENS1_30default_config_static_selectorELNS0_4arch9wavefront6targetE0EEEvT1_.has_dyn_sized_stack, 0
	.set _ZN7rocprim17ROCPRIM_400000_NS6detail17trampoline_kernelINS0_14default_configENS1_25partition_config_selectorILNS1_17partition_subalgoE6ExNS0_10empty_typeEbEEZZNS1_14partition_implILS5_6ELb0ES3_mN6thrust23THRUST_200600_302600_NS6detail15normal_iteratorINSA_10device_ptrIxEEEEPS6_SG_NS0_5tupleIJSF_S6_EEENSH_IJSG_SG_EEES6_PlJNSB_9not_fun_tINSB_10functional5actorINSM_9compositeIJNSM_27transparent_binary_operatorINSA_8equal_toIvEEEENSN_INSM_8argumentILj0EEEEENSM_5valueIxEEEEEEEEEEEE10hipError_tPvRmT3_T4_T5_T6_T7_T9_mT8_P12ihipStream_tbDpT10_ENKUlT_T0_E_clISt17integral_constantIbLb1EES1J_IbLb0EEEEDaS1F_S1G_EUlS1F_E_NS1_11comp_targetILNS1_3genE5ELNS1_11target_archE942ELNS1_3gpuE9ELNS1_3repE0EEENS1_30default_config_static_selectorELNS0_4arch9wavefront6targetE0EEEvT1_.has_recursion, 0
	.set _ZN7rocprim17ROCPRIM_400000_NS6detail17trampoline_kernelINS0_14default_configENS1_25partition_config_selectorILNS1_17partition_subalgoE6ExNS0_10empty_typeEbEEZZNS1_14partition_implILS5_6ELb0ES3_mN6thrust23THRUST_200600_302600_NS6detail15normal_iteratorINSA_10device_ptrIxEEEEPS6_SG_NS0_5tupleIJSF_S6_EEENSH_IJSG_SG_EEES6_PlJNSB_9not_fun_tINSB_10functional5actorINSM_9compositeIJNSM_27transparent_binary_operatorINSA_8equal_toIvEEEENSN_INSM_8argumentILj0EEEEENSM_5valueIxEEEEEEEEEEEE10hipError_tPvRmT3_T4_T5_T6_T7_T9_mT8_P12ihipStream_tbDpT10_ENKUlT_T0_E_clISt17integral_constantIbLb1EES1J_IbLb0EEEEDaS1F_S1G_EUlS1F_E_NS1_11comp_targetILNS1_3genE5ELNS1_11target_archE942ELNS1_3gpuE9ELNS1_3repE0EEENS1_30default_config_static_selectorELNS0_4arch9wavefront6targetE0EEEvT1_.has_indirect_call, 0
	.section	.AMDGPU.csdata,"",@progbits
; Kernel info:
; codeLenInByte = 0
; TotalNumSgprs: 0
; NumVgprs: 0
; ScratchSize: 0
; MemoryBound: 0
; FloatMode: 240
; IeeeMode: 1
; LDSByteSize: 0 bytes/workgroup (compile time only)
; SGPRBlocks: 0
; VGPRBlocks: 0
; NumSGPRsForWavesPerEU: 1
; NumVGPRsForWavesPerEU: 1
; Occupancy: 16
; WaveLimiterHint : 0
; COMPUTE_PGM_RSRC2:SCRATCH_EN: 0
; COMPUTE_PGM_RSRC2:USER_SGPR: 2
; COMPUTE_PGM_RSRC2:TRAP_HANDLER: 0
; COMPUTE_PGM_RSRC2:TGID_X_EN: 1
; COMPUTE_PGM_RSRC2:TGID_Y_EN: 0
; COMPUTE_PGM_RSRC2:TGID_Z_EN: 0
; COMPUTE_PGM_RSRC2:TIDIG_COMP_CNT: 0
	.section	.text._ZN7rocprim17ROCPRIM_400000_NS6detail17trampoline_kernelINS0_14default_configENS1_25partition_config_selectorILNS1_17partition_subalgoE6ExNS0_10empty_typeEbEEZZNS1_14partition_implILS5_6ELb0ES3_mN6thrust23THRUST_200600_302600_NS6detail15normal_iteratorINSA_10device_ptrIxEEEEPS6_SG_NS0_5tupleIJSF_S6_EEENSH_IJSG_SG_EEES6_PlJNSB_9not_fun_tINSB_10functional5actorINSM_9compositeIJNSM_27transparent_binary_operatorINSA_8equal_toIvEEEENSN_INSM_8argumentILj0EEEEENSM_5valueIxEEEEEEEEEEEE10hipError_tPvRmT3_T4_T5_T6_T7_T9_mT8_P12ihipStream_tbDpT10_ENKUlT_T0_E_clISt17integral_constantIbLb1EES1J_IbLb0EEEEDaS1F_S1G_EUlS1F_E_NS1_11comp_targetILNS1_3genE4ELNS1_11target_archE910ELNS1_3gpuE8ELNS1_3repE0EEENS1_30default_config_static_selectorELNS0_4arch9wavefront6targetE0EEEvT1_,"axG",@progbits,_ZN7rocprim17ROCPRIM_400000_NS6detail17trampoline_kernelINS0_14default_configENS1_25partition_config_selectorILNS1_17partition_subalgoE6ExNS0_10empty_typeEbEEZZNS1_14partition_implILS5_6ELb0ES3_mN6thrust23THRUST_200600_302600_NS6detail15normal_iteratorINSA_10device_ptrIxEEEEPS6_SG_NS0_5tupleIJSF_S6_EEENSH_IJSG_SG_EEES6_PlJNSB_9not_fun_tINSB_10functional5actorINSM_9compositeIJNSM_27transparent_binary_operatorINSA_8equal_toIvEEEENSN_INSM_8argumentILj0EEEEENSM_5valueIxEEEEEEEEEEEE10hipError_tPvRmT3_T4_T5_T6_T7_T9_mT8_P12ihipStream_tbDpT10_ENKUlT_T0_E_clISt17integral_constantIbLb1EES1J_IbLb0EEEEDaS1F_S1G_EUlS1F_E_NS1_11comp_targetILNS1_3genE4ELNS1_11target_archE910ELNS1_3gpuE8ELNS1_3repE0EEENS1_30default_config_static_selectorELNS0_4arch9wavefront6targetE0EEEvT1_,comdat
	.protected	_ZN7rocprim17ROCPRIM_400000_NS6detail17trampoline_kernelINS0_14default_configENS1_25partition_config_selectorILNS1_17partition_subalgoE6ExNS0_10empty_typeEbEEZZNS1_14partition_implILS5_6ELb0ES3_mN6thrust23THRUST_200600_302600_NS6detail15normal_iteratorINSA_10device_ptrIxEEEEPS6_SG_NS0_5tupleIJSF_S6_EEENSH_IJSG_SG_EEES6_PlJNSB_9not_fun_tINSB_10functional5actorINSM_9compositeIJNSM_27transparent_binary_operatorINSA_8equal_toIvEEEENSN_INSM_8argumentILj0EEEEENSM_5valueIxEEEEEEEEEEEE10hipError_tPvRmT3_T4_T5_T6_T7_T9_mT8_P12ihipStream_tbDpT10_ENKUlT_T0_E_clISt17integral_constantIbLb1EES1J_IbLb0EEEEDaS1F_S1G_EUlS1F_E_NS1_11comp_targetILNS1_3genE4ELNS1_11target_archE910ELNS1_3gpuE8ELNS1_3repE0EEENS1_30default_config_static_selectorELNS0_4arch9wavefront6targetE0EEEvT1_ ; -- Begin function _ZN7rocprim17ROCPRIM_400000_NS6detail17trampoline_kernelINS0_14default_configENS1_25partition_config_selectorILNS1_17partition_subalgoE6ExNS0_10empty_typeEbEEZZNS1_14partition_implILS5_6ELb0ES3_mN6thrust23THRUST_200600_302600_NS6detail15normal_iteratorINSA_10device_ptrIxEEEEPS6_SG_NS0_5tupleIJSF_S6_EEENSH_IJSG_SG_EEES6_PlJNSB_9not_fun_tINSB_10functional5actorINSM_9compositeIJNSM_27transparent_binary_operatorINSA_8equal_toIvEEEENSN_INSM_8argumentILj0EEEEENSM_5valueIxEEEEEEEEEEEE10hipError_tPvRmT3_T4_T5_T6_T7_T9_mT8_P12ihipStream_tbDpT10_ENKUlT_T0_E_clISt17integral_constantIbLb1EES1J_IbLb0EEEEDaS1F_S1G_EUlS1F_E_NS1_11comp_targetILNS1_3genE4ELNS1_11target_archE910ELNS1_3gpuE8ELNS1_3repE0EEENS1_30default_config_static_selectorELNS0_4arch9wavefront6targetE0EEEvT1_
	.globl	_ZN7rocprim17ROCPRIM_400000_NS6detail17trampoline_kernelINS0_14default_configENS1_25partition_config_selectorILNS1_17partition_subalgoE6ExNS0_10empty_typeEbEEZZNS1_14partition_implILS5_6ELb0ES3_mN6thrust23THRUST_200600_302600_NS6detail15normal_iteratorINSA_10device_ptrIxEEEEPS6_SG_NS0_5tupleIJSF_S6_EEENSH_IJSG_SG_EEES6_PlJNSB_9not_fun_tINSB_10functional5actorINSM_9compositeIJNSM_27transparent_binary_operatorINSA_8equal_toIvEEEENSN_INSM_8argumentILj0EEEEENSM_5valueIxEEEEEEEEEEEE10hipError_tPvRmT3_T4_T5_T6_T7_T9_mT8_P12ihipStream_tbDpT10_ENKUlT_T0_E_clISt17integral_constantIbLb1EES1J_IbLb0EEEEDaS1F_S1G_EUlS1F_E_NS1_11comp_targetILNS1_3genE4ELNS1_11target_archE910ELNS1_3gpuE8ELNS1_3repE0EEENS1_30default_config_static_selectorELNS0_4arch9wavefront6targetE0EEEvT1_
	.p2align	8
	.type	_ZN7rocprim17ROCPRIM_400000_NS6detail17trampoline_kernelINS0_14default_configENS1_25partition_config_selectorILNS1_17partition_subalgoE6ExNS0_10empty_typeEbEEZZNS1_14partition_implILS5_6ELb0ES3_mN6thrust23THRUST_200600_302600_NS6detail15normal_iteratorINSA_10device_ptrIxEEEEPS6_SG_NS0_5tupleIJSF_S6_EEENSH_IJSG_SG_EEES6_PlJNSB_9not_fun_tINSB_10functional5actorINSM_9compositeIJNSM_27transparent_binary_operatorINSA_8equal_toIvEEEENSN_INSM_8argumentILj0EEEEENSM_5valueIxEEEEEEEEEEEE10hipError_tPvRmT3_T4_T5_T6_T7_T9_mT8_P12ihipStream_tbDpT10_ENKUlT_T0_E_clISt17integral_constantIbLb1EES1J_IbLb0EEEEDaS1F_S1G_EUlS1F_E_NS1_11comp_targetILNS1_3genE4ELNS1_11target_archE910ELNS1_3gpuE8ELNS1_3repE0EEENS1_30default_config_static_selectorELNS0_4arch9wavefront6targetE0EEEvT1_,@function
_ZN7rocprim17ROCPRIM_400000_NS6detail17trampoline_kernelINS0_14default_configENS1_25partition_config_selectorILNS1_17partition_subalgoE6ExNS0_10empty_typeEbEEZZNS1_14partition_implILS5_6ELb0ES3_mN6thrust23THRUST_200600_302600_NS6detail15normal_iteratorINSA_10device_ptrIxEEEEPS6_SG_NS0_5tupleIJSF_S6_EEENSH_IJSG_SG_EEES6_PlJNSB_9not_fun_tINSB_10functional5actorINSM_9compositeIJNSM_27transparent_binary_operatorINSA_8equal_toIvEEEENSN_INSM_8argumentILj0EEEEENSM_5valueIxEEEEEEEEEEEE10hipError_tPvRmT3_T4_T5_T6_T7_T9_mT8_P12ihipStream_tbDpT10_ENKUlT_T0_E_clISt17integral_constantIbLb1EES1J_IbLb0EEEEDaS1F_S1G_EUlS1F_E_NS1_11comp_targetILNS1_3genE4ELNS1_11target_archE910ELNS1_3gpuE8ELNS1_3repE0EEENS1_30default_config_static_selectorELNS0_4arch9wavefront6targetE0EEEvT1_: ; @_ZN7rocprim17ROCPRIM_400000_NS6detail17trampoline_kernelINS0_14default_configENS1_25partition_config_selectorILNS1_17partition_subalgoE6ExNS0_10empty_typeEbEEZZNS1_14partition_implILS5_6ELb0ES3_mN6thrust23THRUST_200600_302600_NS6detail15normal_iteratorINSA_10device_ptrIxEEEEPS6_SG_NS0_5tupleIJSF_S6_EEENSH_IJSG_SG_EEES6_PlJNSB_9not_fun_tINSB_10functional5actorINSM_9compositeIJNSM_27transparent_binary_operatorINSA_8equal_toIvEEEENSN_INSM_8argumentILj0EEEEENSM_5valueIxEEEEEEEEEEEE10hipError_tPvRmT3_T4_T5_T6_T7_T9_mT8_P12ihipStream_tbDpT10_ENKUlT_T0_E_clISt17integral_constantIbLb1EES1J_IbLb0EEEEDaS1F_S1G_EUlS1F_E_NS1_11comp_targetILNS1_3genE4ELNS1_11target_archE910ELNS1_3gpuE8ELNS1_3repE0EEENS1_30default_config_static_selectorELNS0_4arch9wavefront6targetE0EEEvT1_
; %bb.0:
	.section	.rodata,"a",@progbits
	.p2align	6, 0x0
	.amdhsa_kernel _ZN7rocprim17ROCPRIM_400000_NS6detail17trampoline_kernelINS0_14default_configENS1_25partition_config_selectorILNS1_17partition_subalgoE6ExNS0_10empty_typeEbEEZZNS1_14partition_implILS5_6ELb0ES3_mN6thrust23THRUST_200600_302600_NS6detail15normal_iteratorINSA_10device_ptrIxEEEEPS6_SG_NS0_5tupleIJSF_S6_EEENSH_IJSG_SG_EEES6_PlJNSB_9not_fun_tINSB_10functional5actorINSM_9compositeIJNSM_27transparent_binary_operatorINSA_8equal_toIvEEEENSN_INSM_8argumentILj0EEEEENSM_5valueIxEEEEEEEEEEEE10hipError_tPvRmT3_T4_T5_T6_T7_T9_mT8_P12ihipStream_tbDpT10_ENKUlT_T0_E_clISt17integral_constantIbLb1EES1J_IbLb0EEEEDaS1F_S1G_EUlS1F_E_NS1_11comp_targetILNS1_3genE4ELNS1_11target_archE910ELNS1_3gpuE8ELNS1_3repE0EEENS1_30default_config_static_selectorELNS0_4arch9wavefront6targetE0EEEvT1_
		.amdhsa_group_segment_fixed_size 0
		.amdhsa_private_segment_fixed_size 0
		.amdhsa_kernarg_size 128
		.amdhsa_user_sgpr_count 2
		.amdhsa_user_sgpr_dispatch_ptr 0
		.amdhsa_user_sgpr_queue_ptr 0
		.amdhsa_user_sgpr_kernarg_segment_ptr 1
		.amdhsa_user_sgpr_dispatch_id 0
		.amdhsa_user_sgpr_private_segment_size 0
		.amdhsa_wavefront_size32 1
		.amdhsa_uses_dynamic_stack 0
		.amdhsa_enable_private_segment 0
		.amdhsa_system_sgpr_workgroup_id_x 1
		.amdhsa_system_sgpr_workgroup_id_y 0
		.amdhsa_system_sgpr_workgroup_id_z 0
		.amdhsa_system_sgpr_workgroup_info 0
		.amdhsa_system_vgpr_workitem_id 0
		.amdhsa_next_free_vgpr 1
		.amdhsa_next_free_sgpr 1
		.amdhsa_reserve_vcc 0
		.amdhsa_float_round_mode_32 0
		.amdhsa_float_round_mode_16_64 0
		.amdhsa_float_denorm_mode_32 3
		.amdhsa_float_denorm_mode_16_64 3
		.amdhsa_fp16_overflow 0
		.amdhsa_workgroup_processor_mode 1
		.amdhsa_memory_ordered 1
		.amdhsa_forward_progress 1
		.amdhsa_inst_pref_size 0
		.amdhsa_round_robin_scheduling 0
		.amdhsa_exception_fp_ieee_invalid_op 0
		.amdhsa_exception_fp_denorm_src 0
		.amdhsa_exception_fp_ieee_div_zero 0
		.amdhsa_exception_fp_ieee_overflow 0
		.amdhsa_exception_fp_ieee_underflow 0
		.amdhsa_exception_fp_ieee_inexact 0
		.amdhsa_exception_int_div_zero 0
	.end_amdhsa_kernel
	.section	.text._ZN7rocprim17ROCPRIM_400000_NS6detail17trampoline_kernelINS0_14default_configENS1_25partition_config_selectorILNS1_17partition_subalgoE6ExNS0_10empty_typeEbEEZZNS1_14partition_implILS5_6ELb0ES3_mN6thrust23THRUST_200600_302600_NS6detail15normal_iteratorINSA_10device_ptrIxEEEEPS6_SG_NS0_5tupleIJSF_S6_EEENSH_IJSG_SG_EEES6_PlJNSB_9not_fun_tINSB_10functional5actorINSM_9compositeIJNSM_27transparent_binary_operatorINSA_8equal_toIvEEEENSN_INSM_8argumentILj0EEEEENSM_5valueIxEEEEEEEEEEEE10hipError_tPvRmT3_T4_T5_T6_T7_T9_mT8_P12ihipStream_tbDpT10_ENKUlT_T0_E_clISt17integral_constantIbLb1EES1J_IbLb0EEEEDaS1F_S1G_EUlS1F_E_NS1_11comp_targetILNS1_3genE4ELNS1_11target_archE910ELNS1_3gpuE8ELNS1_3repE0EEENS1_30default_config_static_selectorELNS0_4arch9wavefront6targetE0EEEvT1_,"axG",@progbits,_ZN7rocprim17ROCPRIM_400000_NS6detail17trampoline_kernelINS0_14default_configENS1_25partition_config_selectorILNS1_17partition_subalgoE6ExNS0_10empty_typeEbEEZZNS1_14partition_implILS5_6ELb0ES3_mN6thrust23THRUST_200600_302600_NS6detail15normal_iteratorINSA_10device_ptrIxEEEEPS6_SG_NS0_5tupleIJSF_S6_EEENSH_IJSG_SG_EEES6_PlJNSB_9not_fun_tINSB_10functional5actorINSM_9compositeIJNSM_27transparent_binary_operatorINSA_8equal_toIvEEEENSN_INSM_8argumentILj0EEEEENSM_5valueIxEEEEEEEEEEEE10hipError_tPvRmT3_T4_T5_T6_T7_T9_mT8_P12ihipStream_tbDpT10_ENKUlT_T0_E_clISt17integral_constantIbLb1EES1J_IbLb0EEEEDaS1F_S1G_EUlS1F_E_NS1_11comp_targetILNS1_3genE4ELNS1_11target_archE910ELNS1_3gpuE8ELNS1_3repE0EEENS1_30default_config_static_selectorELNS0_4arch9wavefront6targetE0EEEvT1_,comdat
.Lfunc_end197:
	.size	_ZN7rocprim17ROCPRIM_400000_NS6detail17trampoline_kernelINS0_14default_configENS1_25partition_config_selectorILNS1_17partition_subalgoE6ExNS0_10empty_typeEbEEZZNS1_14partition_implILS5_6ELb0ES3_mN6thrust23THRUST_200600_302600_NS6detail15normal_iteratorINSA_10device_ptrIxEEEEPS6_SG_NS0_5tupleIJSF_S6_EEENSH_IJSG_SG_EEES6_PlJNSB_9not_fun_tINSB_10functional5actorINSM_9compositeIJNSM_27transparent_binary_operatorINSA_8equal_toIvEEEENSN_INSM_8argumentILj0EEEEENSM_5valueIxEEEEEEEEEEEE10hipError_tPvRmT3_T4_T5_T6_T7_T9_mT8_P12ihipStream_tbDpT10_ENKUlT_T0_E_clISt17integral_constantIbLb1EES1J_IbLb0EEEEDaS1F_S1G_EUlS1F_E_NS1_11comp_targetILNS1_3genE4ELNS1_11target_archE910ELNS1_3gpuE8ELNS1_3repE0EEENS1_30default_config_static_selectorELNS0_4arch9wavefront6targetE0EEEvT1_, .Lfunc_end197-_ZN7rocprim17ROCPRIM_400000_NS6detail17trampoline_kernelINS0_14default_configENS1_25partition_config_selectorILNS1_17partition_subalgoE6ExNS0_10empty_typeEbEEZZNS1_14partition_implILS5_6ELb0ES3_mN6thrust23THRUST_200600_302600_NS6detail15normal_iteratorINSA_10device_ptrIxEEEEPS6_SG_NS0_5tupleIJSF_S6_EEENSH_IJSG_SG_EEES6_PlJNSB_9not_fun_tINSB_10functional5actorINSM_9compositeIJNSM_27transparent_binary_operatorINSA_8equal_toIvEEEENSN_INSM_8argumentILj0EEEEENSM_5valueIxEEEEEEEEEEEE10hipError_tPvRmT3_T4_T5_T6_T7_T9_mT8_P12ihipStream_tbDpT10_ENKUlT_T0_E_clISt17integral_constantIbLb1EES1J_IbLb0EEEEDaS1F_S1G_EUlS1F_E_NS1_11comp_targetILNS1_3genE4ELNS1_11target_archE910ELNS1_3gpuE8ELNS1_3repE0EEENS1_30default_config_static_selectorELNS0_4arch9wavefront6targetE0EEEvT1_
                                        ; -- End function
	.set _ZN7rocprim17ROCPRIM_400000_NS6detail17trampoline_kernelINS0_14default_configENS1_25partition_config_selectorILNS1_17partition_subalgoE6ExNS0_10empty_typeEbEEZZNS1_14partition_implILS5_6ELb0ES3_mN6thrust23THRUST_200600_302600_NS6detail15normal_iteratorINSA_10device_ptrIxEEEEPS6_SG_NS0_5tupleIJSF_S6_EEENSH_IJSG_SG_EEES6_PlJNSB_9not_fun_tINSB_10functional5actorINSM_9compositeIJNSM_27transparent_binary_operatorINSA_8equal_toIvEEEENSN_INSM_8argumentILj0EEEEENSM_5valueIxEEEEEEEEEEEE10hipError_tPvRmT3_T4_T5_T6_T7_T9_mT8_P12ihipStream_tbDpT10_ENKUlT_T0_E_clISt17integral_constantIbLb1EES1J_IbLb0EEEEDaS1F_S1G_EUlS1F_E_NS1_11comp_targetILNS1_3genE4ELNS1_11target_archE910ELNS1_3gpuE8ELNS1_3repE0EEENS1_30default_config_static_selectorELNS0_4arch9wavefront6targetE0EEEvT1_.num_vgpr, 0
	.set _ZN7rocprim17ROCPRIM_400000_NS6detail17trampoline_kernelINS0_14default_configENS1_25partition_config_selectorILNS1_17partition_subalgoE6ExNS0_10empty_typeEbEEZZNS1_14partition_implILS5_6ELb0ES3_mN6thrust23THRUST_200600_302600_NS6detail15normal_iteratorINSA_10device_ptrIxEEEEPS6_SG_NS0_5tupleIJSF_S6_EEENSH_IJSG_SG_EEES6_PlJNSB_9not_fun_tINSB_10functional5actorINSM_9compositeIJNSM_27transparent_binary_operatorINSA_8equal_toIvEEEENSN_INSM_8argumentILj0EEEEENSM_5valueIxEEEEEEEEEEEE10hipError_tPvRmT3_T4_T5_T6_T7_T9_mT8_P12ihipStream_tbDpT10_ENKUlT_T0_E_clISt17integral_constantIbLb1EES1J_IbLb0EEEEDaS1F_S1G_EUlS1F_E_NS1_11comp_targetILNS1_3genE4ELNS1_11target_archE910ELNS1_3gpuE8ELNS1_3repE0EEENS1_30default_config_static_selectorELNS0_4arch9wavefront6targetE0EEEvT1_.num_agpr, 0
	.set _ZN7rocprim17ROCPRIM_400000_NS6detail17trampoline_kernelINS0_14default_configENS1_25partition_config_selectorILNS1_17partition_subalgoE6ExNS0_10empty_typeEbEEZZNS1_14partition_implILS5_6ELb0ES3_mN6thrust23THRUST_200600_302600_NS6detail15normal_iteratorINSA_10device_ptrIxEEEEPS6_SG_NS0_5tupleIJSF_S6_EEENSH_IJSG_SG_EEES6_PlJNSB_9not_fun_tINSB_10functional5actorINSM_9compositeIJNSM_27transparent_binary_operatorINSA_8equal_toIvEEEENSN_INSM_8argumentILj0EEEEENSM_5valueIxEEEEEEEEEEEE10hipError_tPvRmT3_T4_T5_T6_T7_T9_mT8_P12ihipStream_tbDpT10_ENKUlT_T0_E_clISt17integral_constantIbLb1EES1J_IbLb0EEEEDaS1F_S1G_EUlS1F_E_NS1_11comp_targetILNS1_3genE4ELNS1_11target_archE910ELNS1_3gpuE8ELNS1_3repE0EEENS1_30default_config_static_selectorELNS0_4arch9wavefront6targetE0EEEvT1_.numbered_sgpr, 0
	.set _ZN7rocprim17ROCPRIM_400000_NS6detail17trampoline_kernelINS0_14default_configENS1_25partition_config_selectorILNS1_17partition_subalgoE6ExNS0_10empty_typeEbEEZZNS1_14partition_implILS5_6ELb0ES3_mN6thrust23THRUST_200600_302600_NS6detail15normal_iteratorINSA_10device_ptrIxEEEEPS6_SG_NS0_5tupleIJSF_S6_EEENSH_IJSG_SG_EEES6_PlJNSB_9not_fun_tINSB_10functional5actorINSM_9compositeIJNSM_27transparent_binary_operatorINSA_8equal_toIvEEEENSN_INSM_8argumentILj0EEEEENSM_5valueIxEEEEEEEEEEEE10hipError_tPvRmT3_T4_T5_T6_T7_T9_mT8_P12ihipStream_tbDpT10_ENKUlT_T0_E_clISt17integral_constantIbLb1EES1J_IbLb0EEEEDaS1F_S1G_EUlS1F_E_NS1_11comp_targetILNS1_3genE4ELNS1_11target_archE910ELNS1_3gpuE8ELNS1_3repE0EEENS1_30default_config_static_selectorELNS0_4arch9wavefront6targetE0EEEvT1_.num_named_barrier, 0
	.set _ZN7rocprim17ROCPRIM_400000_NS6detail17trampoline_kernelINS0_14default_configENS1_25partition_config_selectorILNS1_17partition_subalgoE6ExNS0_10empty_typeEbEEZZNS1_14partition_implILS5_6ELb0ES3_mN6thrust23THRUST_200600_302600_NS6detail15normal_iteratorINSA_10device_ptrIxEEEEPS6_SG_NS0_5tupleIJSF_S6_EEENSH_IJSG_SG_EEES6_PlJNSB_9not_fun_tINSB_10functional5actorINSM_9compositeIJNSM_27transparent_binary_operatorINSA_8equal_toIvEEEENSN_INSM_8argumentILj0EEEEENSM_5valueIxEEEEEEEEEEEE10hipError_tPvRmT3_T4_T5_T6_T7_T9_mT8_P12ihipStream_tbDpT10_ENKUlT_T0_E_clISt17integral_constantIbLb1EES1J_IbLb0EEEEDaS1F_S1G_EUlS1F_E_NS1_11comp_targetILNS1_3genE4ELNS1_11target_archE910ELNS1_3gpuE8ELNS1_3repE0EEENS1_30default_config_static_selectorELNS0_4arch9wavefront6targetE0EEEvT1_.private_seg_size, 0
	.set _ZN7rocprim17ROCPRIM_400000_NS6detail17trampoline_kernelINS0_14default_configENS1_25partition_config_selectorILNS1_17partition_subalgoE6ExNS0_10empty_typeEbEEZZNS1_14partition_implILS5_6ELb0ES3_mN6thrust23THRUST_200600_302600_NS6detail15normal_iteratorINSA_10device_ptrIxEEEEPS6_SG_NS0_5tupleIJSF_S6_EEENSH_IJSG_SG_EEES6_PlJNSB_9not_fun_tINSB_10functional5actorINSM_9compositeIJNSM_27transparent_binary_operatorINSA_8equal_toIvEEEENSN_INSM_8argumentILj0EEEEENSM_5valueIxEEEEEEEEEEEE10hipError_tPvRmT3_T4_T5_T6_T7_T9_mT8_P12ihipStream_tbDpT10_ENKUlT_T0_E_clISt17integral_constantIbLb1EES1J_IbLb0EEEEDaS1F_S1G_EUlS1F_E_NS1_11comp_targetILNS1_3genE4ELNS1_11target_archE910ELNS1_3gpuE8ELNS1_3repE0EEENS1_30default_config_static_selectorELNS0_4arch9wavefront6targetE0EEEvT1_.uses_vcc, 0
	.set _ZN7rocprim17ROCPRIM_400000_NS6detail17trampoline_kernelINS0_14default_configENS1_25partition_config_selectorILNS1_17partition_subalgoE6ExNS0_10empty_typeEbEEZZNS1_14partition_implILS5_6ELb0ES3_mN6thrust23THRUST_200600_302600_NS6detail15normal_iteratorINSA_10device_ptrIxEEEEPS6_SG_NS0_5tupleIJSF_S6_EEENSH_IJSG_SG_EEES6_PlJNSB_9not_fun_tINSB_10functional5actorINSM_9compositeIJNSM_27transparent_binary_operatorINSA_8equal_toIvEEEENSN_INSM_8argumentILj0EEEEENSM_5valueIxEEEEEEEEEEEE10hipError_tPvRmT3_T4_T5_T6_T7_T9_mT8_P12ihipStream_tbDpT10_ENKUlT_T0_E_clISt17integral_constantIbLb1EES1J_IbLb0EEEEDaS1F_S1G_EUlS1F_E_NS1_11comp_targetILNS1_3genE4ELNS1_11target_archE910ELNS1_3gpuE8ELNS1_3repE0EEENS1_30default_config_static_selectorELNS0_4arch9wavefront6targetE0EEEvT1_.uses_flat_scratch, 0
	.set _ZN7rocprim17ROCPRIM_400000_NS6detail17trampoline_kernelINS0_14default_configENS1_25partition_config_selectorILNS1_17partition_subalgoE6ExNS0_10empty_typeEbEEZZNS1_14partition_implILS5_6ELb0ES3_mN6thrust23THRUST_200600_302600_NS6detail15normal_iteratorINSA_10device_ptrIxEEEEPS6_SG_NS0_5tupleIJSF_S6_EEENSH_IJSG_SG_EEES6_PlJNSB_9not_fun_tINSB_10functional5actorINSM_9compositeIJNSM_27transparent_binary_operatorINSA_8equal_toIvEEEENSN_INSM_8argumentILj0EEEEENSM_5valueIxEEEEEEEEEEEE10hipError_tPvRmT3_T4_T5_T6_T7_T9_mT8_P12ihipStream_tbDpT10_ENKUlT_T0_E_clISt17integral_constantIbLb1EES1J_IbLb0EEEEDaS1F_S1G_EUlS1F_E_NS1_11comp_targetILNS1_3genE4ELNS1_11target_archE910ELNS1_3gpuE8ELNS1_3repE0EEENS1_30default_config_static_selectorELNS0_4arch9wavefront6targetE0EEEvT1_.has_dyn_sized_stack, 0
	.set _ZN7rocprim17ROCPRIM_400000_NS6detail17trampoline_kernelINS0_14default_configENS1_25partition_config_selectorILNS1_17partition_subalgoE6ExNS0_10empty_typeEbEEZZNS1_14partition_implILS5_6ELb0ES3_mN6thrust23THRUST_200600_302600_NS6detail15normal_iteratorINSA_10device_ptrIxEEEEPS6_SG_NS0_5tupleIJSF_S6_EEENSH_IJSG_SG_EEES6_PlJNSB_9not_fun_tINSB_10functional5actorINSM_9compositeIJNSM_27transparent_binary_operatorINSA_8equal_toIvEEEENSN_INSM_8argumentILj0EEEEENSM_5valueIxEEEEEEEEEEEE10hipError_tPvRmT3_T4_T5_T6_T7_T9_mT8_P12ihipStream_tbDpT10_ENKUlT_T0_E_clISt17integral_constantIbLb1EES1J_IbLb0EEEEDaS1F_S1G_EUlS1F_E_NS1_11comp_targetILNS1_3genE4ELNS1_11target_archE910ELNS1_3gpuE8ELNS1_3repE0EEENS1_30default_config_static_selectorELNS0_4arch9wavefront6targetE0EEEvT1_.has_recursion, 0
	.set _ZN7rocprim17ROCPRIM_400000_NS6detail17trampoline_kernelINS0_14default_configENS1_25partition_config_selectorILNS1_17partition_subalgoE6ExNS0_10empty_typeEbEEZZNS1_14partition_implILS5_6ELb0ES3_mN6thrust23THRUST_200600_302600_NS6detail15normal_iteratorINSA_10device_ptrIxEEEEPS6_SG_NS0_5tupleIJSF_S6_EEENSH_IJSG_SG_EEES6_PlJNSB_9not_fun_tINSB_10functional5actorINSM_9compositeIJNSM_27transparent_binary_operatorINSA_8equal_toIvEEEENSN_INSM_8argumentILj0EEEEENSM_5valueIxEEEEEEEEEEEE10hipError_tPvRmT3_T4_T5_T6_T7_T9_mT8_P12ihipStream_tbDpT10_ENKUlT_T0_E_clISt17integral_constantIbLb1EES1J_IbLb0EEEEDaS1F_S1G_EUlS1F_E_NS1_11comp_targetILNS1_3genE4ELNS1_11target_archE910ELNS1_3gpuE8ELNS1_3repE0EEENS1_30default_config_static_selectorELNS0_4arch9wavefront6targetE0EEEvT1_.has_indirect_call, 0
	.section	.AMDGPU.csdata,"",@progbits
; Kernel info:
; codeLenInByte = 0
; TotalNumSgprs: 0
; NumVgprs: 0
; ScratchSize: 0
; MemoryBound: 0
; FloatMode: 240
; IeeeMode: 1
; LDSByteSize: 0 bytes/workgroup (compile time only)
; SGPRBlocks: 0
; VGPRBlocks: 0
; NumSGPRsForWavesPerEU: 1
; NumVGPRsForWavesPerEU: 1
; Occupancy: 16
; WaveLimiterHint : 0
; COMPUTE_PGM_RSRC2:SCRATCH_EN: 0
; COMPUTE_PGM_RSRC2:USER_SGPR: 2
; COMPUTE_PGM_RSRC2:TRAP_HANDLER: 0
; COMPUTE_PGM_RSRC2:TGID_X_EN: 1
; COMPUTE_PGM_RSRC2:TGID_Y_EN: 0
; COMPUTE_PGM_RSRC2:TGID_Z_EN: 0
; COMPUTE_PGM_RSRC2:TIDIG_COMP_CNT: 0
	.section	.text._ZN7rocprim17ROCPRIM_400000_NS6detail17trampoline_kernelINS0_14default_configENS1_25partition_config_selectorILNS1_17partition_subalgoE6ExNS0_10empty_typeEbEEZZNS1_14partition_implILS5_6ELb0ES3_mN6thrust23THRUST_200600_302600_NS6detail15normal_iteratorINSA_10device_ptrIxEEEEPS6_SG_NS0_5tupleIJSF_S6_EEENSH_IJSG_SG_EEES6_PlJNSB_9not_fun_tINSB_10functional5actorINSM_9compositeIJNSM_27transparent_binary_operatorINSA_8equal_toIvEEEENSN_INSM_8argumentILj0EEEEENSM_5valueIxEEEEEEEEEEEE10hipError_tPvRmT3_T4_T5_T6_T7_T9_mT8_P12ihipStream_tbDpT10_ENKUlT_T0_E_clISt17integral_constantIbLb1EES1J_IbLb0EEEEDaS1F_S1G_EUlS1F_E_NS1_11comp_targetILNS1_3genE3ELNS1_11target_archE908ELNS1_3gpuE7ELNS1_3repE0EEENS1_30default_config_static_selectorELNS0_4arch9wavefront6targetE0EEEvT1_,"axG",@progbits,_ZN7rocprim17ROCPRIM_400000_NS6detail17trampoline_kernelINS0_14default_configENS1_25partition_config_selectorILNS1_17partition_subalgoE6ExNS0_10empty_typeEbEEZZNS1_14partition_implILS5_6ELb0ES3_mN6thrust23THRUST_200600_302600_NS6detail15normal_iteratorINSA_10device_ptrIxEEEEPS6_SG_NS0_5tupleIJSF_S6_EEENSH_IJSG_SG_EEES6_PlJNSB_9not_fun_tINSB_10functional5actorINSM_9compositeIJNSM_27transparent_binary_operatorINSA_8equal_toIvEEEENSN_INSM_8argumentILj0EEEEENSM_5valueIxEEEEEEEEEEEE10hipError_tPvRmT3_T4_T5_T6_T7_T9_mT8_P12ihipStream_tbDpT10_ENKUlT_T0_E_clISt17integral_constantIbLb1EES1J_IbLb0EEEEDaS1F_S1G_EUlS1F_E_NS1_11comp_targetILNS1_3genE3ELNS1_11target_archE908ELNS1_3gpuE7ELNS1_3repE0EEENS1_30default_config_static_selectorELNS0_4arch9wavefront6targetE0EEEvT1_,comdat
	.protected	_ZN7rocprim17ROCPRIM_400000_NS6detail17trampoline_kernelINS0_14default_configENS1_25partition_config_selectorILNS1_17partition_subalgoE6ExNS0_10empty_typeEbEEZZNS1_14partition_implILS5_6ELb0ES3_mN6thrust23THRUST_200600_302600_NS6detail15normal_iteratorINSA_10device_ptrIxEEEEPS6_SG_NS0_5tupleIJSF_S6_EEENSH_IJSG_SG_EEES6_PlJNSB_9not_fun_tINSB_10functional5actorINSM_9compositeIJNSM_27transparent_binary_operatorINSA_8equal_toIvEEEENSN_INSM_8argumentILj0EEEEENSM_5valueIxEEEEEEEEEEEE10hipError_tPvRmT3_T4_T5_T6_T7_T9_mT8_P12ihipStream_tbDpT10_ENKUlT_T0_E_clISt17integral_constantIbLb1EES1J_IbLb0EEEEDaS1F_S1G_EUlS1F_E_NS1_11comp_targetILNS1_3genE3ELNS1_11target_archE908ELNS1_3gpuE7ELNS1_3repE0EEENS1_30default_config_static_selectorELNS0_4arch9wavefront6targetE0EEEvT1_ ; -- Begin function _ZN7rocprim17ROCPRIM_400000_NS6detail17trampoline_kernelINS0_14default_configENS1_25partition_config_selectorILNS1_17partition_subalgoE6ExNS0_10empty_typeEbEEZZNS1_14partition_implILS5_6ELb0ES3_mN6thrust23THRUST_200600_302600_NS6detail15normal_iteratorINSA_10device_ptrIxEEEEPS6_SG_NS0_5tupleIJSF_S6_EEENSH_IJSG_SG_EEES6_PlJNSB_9not_fun_tINSB_10functional5actorINSM_9compositeIJNSM_27transparent_binary_operatorINSA_8equal_toIvEEEENSN_INSM_8argumentILj0EEEEENSM_5valueIxEEEEEEEEEEEE10hipError_tPvRmT3_T4_T5_T6_T7_T9_mT8_P12ihipStream_tbDpT10_ENKUlT_T0_E_clISt17integral_constantIbLb1EES1J_IbLb0EEEEDaS1F_S1G_EUlS1F_E_NS1_11comp_targetILNS1_3genE3ELNS1_11target_archE908ELNS1_3gpuE7ELNS1_3repE0EEENS1_30default_config_static_selectorELNS0_4arch9wavefront6targetE0EEEvT1_
	.globl	_ZN7rocprim17ROCPRIM_400000_NS6detail17trampoline_kernelINS0_14default_configENS1_25partition_config_selectorILNS1_17partition_subalgoE6ExNS0_10empty_typeEbEEZZNS1_14partition_implILS5_6ELb0ES3_mN6thrust23THRUST_200600_302600_NS6detail15normal_iteratorINSA_10device_ptrIxEEEEPS6_SG_NS0_5tupleIJSF_S6_EEENSH_IJSG_SG_EEES6_PlJNSB_9not_fun_tINSB_10functional5actorINSM_9compositeIJNSM_27transparent_binary_operatorINSA_8equal_toIvEEEENSN_INSM_8argumentILj0EEEEENSM_5valueIxEEEEEEEEEEEE10hipError_tPvRmT3_T4_T5_T6_T7_T9_mT8_P12ihipStream_tbDpT10_ENKUlT_T0_E_clISt17integral_constantIbLb1EES1J_IbLb0EEEEDaS1F_S1G_EUlS1F_E_NS1_11comp_targetILNS1_3genE3ELNS1_11target_archE908ELNS1_3gpuE7ELNS1_3repE0EEENS1_30default_config_static_selectorELNS0_4arch9wavefront6targetE0EEEvT1_
	.p2align	8
	.type	_ZN7rocprim17ROCPRIM_400000_NS6detail17trampoline_kernelINS0_14default_configENS1_25partition_config_selectorILNS1_17partition_subalgoE6ExNS0_10empty_typeEbEEZZNS1_14partition_implILS5_6ELb0ES3_mN6thrust23THRUST_200600_302600_NS6detail15normal_iteratorINSA_10device_ptrIxEEEEPS6_SG_NS0_5tupleIJSF_S6_EEENSH_IJSG_SG_EEES6_PlJNSB_9not_fun_tINSB_10functional5actorINSM_9compositeIJNSM_27transparent_binary_operatorINSA_8equal_toIvEEEENSN_INSM_8argumentILj0EEEEENSM_5valueIxEEEEEEEEEEEE10hipError_tPvRmT3_T4_T5_T6_T7_T9_mT8_P12ihipStream_tbDpT10_ENKUlT_T0_E_clISt17integral_constantIbLb1EES1J_IbLb0EEEEDaS1F_S1G_EUlS1F_E_NS1_11comp_targetILNS1_3genE3ELNS1_11target_archE908ELNS1_3gpuE7ELNS1_3repE0EEENS1_30default_config_static_selectorELNS0_4arch9wavefront6targetE0EEEvT1_,@function
_ZN7rocprim17ROCPRIM_400000_NS6detail17trampoline_kernelINS0_14default_configENS1_25partition_config_selectorILNS1_17partition_subalgoE6ExNS0_10empty_typeEbEEZZNS1_14partition_implILS5_6ELb0ES3_mN6thrust23THRUST_200600_302600_NS6detail15normal_iteratorINSA_10device_ptrIxEEEEPS6_SG_NS0_5tupleIJSF_S6_EEENSH_IJSG_SG_EEES6_PlJNSB_9not_fun_tINSB_10functional5actorINSM_9compositeIJNSM_27transparent_binary_operatorINSA_8equal_toIvEEEENSN_INSM_8argumentILj0EEEEENSM_5valueIxEEEEEEEEEEEE10hipError_tPvRmT3_T4_T5_T6_T7_T9_mT8_P12ihipStream_tbDpT10_ENKUlT_T0_E_clISt17integral_constantIbLb1EES1J_IbLb0EEEEDaS1F_S1G_EUlS1F_E_NS1_11comp_targetILNS1_3genE3ELNS1_11target_archE908ELNS1_3gpuE7ELNS1_3repE0EEENS1_30default_config_static_selectorELNS0_4arch9wavefront6targetE0EEEvT1_: ; @_ZN7rocprim17ROCPRIM_400000_NS6detail17trampoline_kernelINS0_14default_configENS1_25partition_config_selectorILNS1_17partition_subalgoE6ExNS0_10empty_typeEbEEZZNS1_14partition_implILS5_6ELb0ES3_mN6thrust23THRUST_200600_302600_NS6detail15normal_iteratorINSA_10device_ptrIxEEEEPS6_SG_NS0_5tupleIJSF_S6_EEENSH_IJSG_SG_EEES6_PlJNSB_9not_fun_tINSB_10functional5actorINSM_9compositeIJNSM_27transparent_binary_operatorINSA_8equal_toIvEEEENSN_INSM_8argumentILj0EEEEENSM_5valueIxEEEEEEEEEEEE10hipError_tPvRmT3_T4_T5_T6_T7_T9_mT8_P12ihipStream_tbDpT10_ENKUlT_T0_E_clISt17integral_constantIbLb1EES1J_IbLb0EEEEDaS1F_S1G_EUlS1F_E_NS1_11comp_targetILNS1_3genE3ELNS1_11target_archE908ELNS1_3gpuE7ELNS1_3repE0EEENS1_30default_config_static_selectorELNS0_4arch9wavefront6targetE0EEEvT1_
; %bb.0:
	.section	.rodata,"a",@progbits
	.p2align	6, 0x0
	.amdhsa_kernel _ZN7rocprim17ROCPRIM_400000_NS6detail17trampoline_kernelINS0_14default_configENS1_25partition_config_selectorILNS1_17partition_subalgoE6ExNS0_10empty_typeEbEEZZNS1_14partition_implILS5_6ELb0ES3_mN6thrust23THRUST_200600_302600_NS6detail15normal_iteratorINSA_10device_ptrIxEEEEPS6_SG_NS0_5tupleIJSF_S6_EEENSH_IJSG_SG_EEES6_PlJNSB_9not_fun_tINSB_10functional5actorINSM_9compositeIJNSM_27transparent_binary_operatorINSA_8equal_toIvEEEENSN_INSM_8argumentILj0EEEEENSM_5valueIxEEEEEEEEEEEE10hipError_tPvRmT3_T4_T5_T6_T7_T9_mT8_P12ihipStream_tbDpT10_ENKUlT_T0_E_clISt17integral_constantIbLb1EES1J_IbLb0EEEEDaS1F_S1G_EUlS1F_E_NS1_11comp_targetILNS1_3genE3ELNS1_11target_archE908ELNS1_3gpuE7ELNS1_3repE0EEENS1_30default_config_static_selectorELNS0_4arch9wavefront6targetE0EEEvT1_
		.amdhsa_group_segment_fixed_size 0
		.amdhsa_private_segment_fixed_size 0
		.amdhsa_kernarg_size 128
		.amdhsa_user_sgpr_count 2
		.amdhsa_user_sgpr_dispatch_ptr 0
		.amdhsa_user_sgpr_queue_ptr 0
		.amdhsa_user_sgpr_kernarg_segment_ptr 1
		.amdhsa_user_sgpr_dispatch_id 0
		.amdhsa_user_sgpr_private_segment_size 0
		.amdhsa_wavefront_size32 1
		.amdhsa_uses_dynamic_stack 0
		.amdhsa_enable_private_segment 0
		.amdhsa_system_sgpr_workgroup_id_x 1
		.amdhsa_system_sgpr_workgroup_id_y 0
		.amdhsa_system_sgpr_workgroup_id_z 0
		.amdhsa_system_sgpr_workgroup_info 0
		.amdhsa_system_vgpr_workitem_id 0
		.amdhsa_next_free_vgpr 1
		.amdhsa_next_free_sgpr 1
		.amdhsa_reserve_vcc 0
		.amdhsa_float_round_mode_32 0
		.amdhsa_float_round_mode_16_64 0
		.amdhsa_float_denorm_mode_32 3
		.amdhsa_float_denorm_mode_16_64 3
		.amdhsa_fp16_overflow 0
		.amdhsa_workgroup_processor_mode 1
		.amdhsa_memory_ordered 1
		.amdhsa_forward_progress 1
		.amdhsa_inst_pref_size 0
		.amdhsa_round_robin_scheduling 0
		.amdhsa_exception_fp_ieee_invalid_op 0
		.amdhsa_exception_fp_denorm_src 0
		.amdhsa_exception_fp_ieee_div_zero 0
		.amdhsa_exception_fp_ieee_overflow 0
		.amdhsa_exception_fp_ieee_underflow 0
		.amdhsa_exception_fp_ieee_inexact 0
		.amdhsa_exception_int_div_zero 0
	.end_amdhsa_kernel
	.section	.text._ZN7rocprim17ROCPRIM_400000_NS6detail17trampoline_kernelINS0_14default_configENS1_25partition_config_selectorILNS1_17partition_subalgoE6ExNS0_10empty_typeEbEEZZNS1_14partition_implILS5_6ELb0ES3_mN6thrust23THRUST_200600_302600_NS6detail15normal_iteratorINSA_10device_ptrIxEEEEPS6_SG_NS0_5tupleIJSF_S6_EEENSH_IJSG_SG_EEES6_PlJNSB_9not_fun_tINSB_10functional5actorINSM_9compositeIJNSM_27transparent_binary_operatorINSA_8equal_toIvEEEENSN_INSM_8argumentILj0EEEEENSM_5valueIxEEEEEEEEEEEE10hipError_tPvRmT3_T4_T5_T6_T7_T9_mT8_P12ihipStream_tbDpT10_ENKUlT_T0_E_clISt17integral_constantIbLb1EES1J_IbLb0EEEEDaS1F_S1G_EUlS1F_E_NS1_11comp_targetILNS1_3genE3ELNS1_11target_archE908ELNS1_3gpuE7ELNS1_3repE0EEENS1_30default_config_static_selectorELNS0_4arch9wavefront6targetE0EEEvT1_,"axG",@progbits,_ZN7rocprim17ROCPRIM_400000_NS6detail17trampoline_kernelINS0_14default_configENS1_25partition_config_selectorILNS1_17partition_subalgoE6ExNS0_10empty_typeEbEEZZNS1_14partition_implILS5_6ELb0ES3_mN6thrust23THRUST_200600_302600_NS6detail15normal_iteratorINSA_10device_ptrIxEEEEPS6_SG_NS0_5tupleIJSF_S6_EEENSH_IJSG_SG_EEES6_PlJNSB_9not_fun_tINSB_10functional5actorINSM_9compositeIJNSM_27transparent_binary_operatorINSA_8equal_toIvEEEENSN_INSM_8argumentILj0EEEEENSM_5valueIxEEEEEEEEEEEE10hipError_tPvRmT3_T4_T5_T6_T7_T9_mT8_P12ihipStream_tbDpT10_ENKUlT_T0_E_clISt17integral_constantIbLb1EES1J_IbLb0EEEEDaS1F_S1G_EUlS1F_E_NS1_11comp_targetILNS1_3genE3ELNS1_11target_archE908ELNS1_3gpuE7ELNS1_3repE0EEENS1_30default_config_static_selectorELNS0_4arch9wavefront6targetE0EEEvT1_,comdat
.Lfunc_end198:
	.size	_ZN7rocprim17ROCPRIM_400000_NS6detail17trampoline_kernelINS0_14default_configENS1_25partition_config_selectorILNS1_17partition_subalgoE6ExNS0_10empty_typeEbEEZZNS1_14partition_implILS5_6ELb0ES3_mN6thrust23THRUST_200600_302600_NS6detail15normal_iteratorINSA_10device_ptrIxEEEEPS6_SG_NS0_5tupleIJSF_S6_EEENSH_IJSG_SG_EEES6_PlJNSB_9not_fun_tINSB_10functional5actorINSM_9compositeIJNSM_27transparent_binary_operatorINSA_8equal_toIvEEEENSN_INSM_8argumentILj0EEEEENSM_5valueIxEEEEEEEEEEEE10hipError_tPvRmT3_T4_T5_T6_T7_T9_mT8_P12ihipStream_tbDpT10_ENKUlT_T0_E_clISt17integral_constantIbLb1EES1J_IbLb0EEEEDaS1F_S1G_EUlS1F_E_NS1_11comp_targetILNS1_3genE3ELNS1_11target_archE908ELNS1_3gpuE7ELNS1_3repE0EEENS1_30default_config_static_selectorELNS0_4arch9wavefront6targetE0EEEvT1_, .Lfunc_end198-_ZN7rocprim17ROCPRIM_400000_NS6detail17trampoline_kernelINS0_14default_configENS1_25partition_config_selectorILNS1_17partition_subalgoE6ExNS0_10empty_typeEbEEZZNS1_14partition_implILS5_6ELb0ES3_mN6thrust23THRUST_200600_302600_NS6detail15normal_iteratorINSA_10device_ptrIxEEEEPS6_SG_NS0_5tupleIJSF_S6_EEENSH_IJSG_SG_EEES6_PlJNSB_9not_fun_tINSB_10functional5actorINSM_9compositeIJNSM_27transparent_binary_operatorINSA_8equal_toIvEEEENSN_INSM_8argumentILj0EEEEENSM_5valueIxEEEEEEEEEEEE10hipError_tPvRmT3_T4_T5_T6_T7_T9_mT8_P12ihipStream_tbDpT10_ENKUlT_T0_E_clISt17integral_constantIbLb1EES1J_IbLb0EEEEDaS1F_S1G_EUlS1F_E_NS1_11comp_targetILNS1_3genE3ELNS1_11target_archE908ELNS1_3gpuE7ELNS1_3repE0EEENS1_30default_config_static_selectorELNS0_4arch9wavefront6targetE0EEEvT1_
                                        ; -- End function
	.set _ZN7rocprim17ROCPRIM_400000_NS6detail17trampoline_kernelINS0_14default_configENS1_25partition_config_selectorILNS1_17partition_subalgoE6ExNS0_10empty_typeEbEEZZNS1_14partition_implILS5_6ELb0ES3_mN6thrust23THRUST_200600_302600_NS6detail15normal_iteratorINSA_10device_ptrIxEEEEPS6_SG_NS0_5tupleIJSF_S6_EEENSH_IJSG_SG_EEES6_PlJNSB_9not_fun_tINSB_10functional5actorINSM_9compositeIJNSM_27transparent_binary_operatorINSA_8equal_toIvEEEENSN_INSM_8argumentILj0EEEEENSM_5valueIxEEEEEEEEEEEE10hipError_tPvRmT3_T4_T5_T6_T7_T9_mT8_P12ihipStream_tbDpT10_ENKUlT_T0_E_clISt17integral_constantIbLb1EES1J_IbLb0EEEEDaS1F_S1G_EUlS1F_E_NS1_11comp_targetILNS1_3genE3ELNS1_11target_archE908ELNS1_3gpuE7ELNS1_3repE0EEENS1_30default_config_static_selectorELNS0_4arch9wavefront6targetE0EEEvT1_.num_vgpr, 0
	.set _ZN7rocprim17ROCPRIM_400000_NS6detail17trampoline_kernelINS0_14default_configENS1_25partition_config_selectorILNS1_17partition_subalgoE6ExNS0_10empty_typeEbEEZZNS1_14partition_implILS5_6ELb0ES3_mN6thrust23THRUST_200600_302600_NS6detail15normal_iteratorINSA_10device_ptrIxEEEEPS6_SG_NS0_5tupleIJSF_S6_EEENSH_IJSG_SG_EEES6_PlJNSB_9not_fun_tINSB_10functional5actorINSM_9compositeIJNSM_27transparent_binary_operatorINSA_8equal_toIvEEEENSN_INSM_8argumentILj0EEEEENSM_5valueIxEEEEEEEEEEEE10hipError_tPvRmT3_T4_T5_T6_T7_T9_mT8_P12ihipStream_tbDpT10_ENKUlT_T0_E_clISt17integral_constantIbLb1EES1J_IbLb0EEEEDaS1F_S1G_EUlS1F_E_NS1_11comp_targetILNS1_3genE3ELNS1_11target_archE908ELNS1_3gpuE7ELNS1_3repE0EEENS1_30default_config_static_selectorELNS0_4arch9wavefront6targetE0EEEvT1_.num_agpr, 0
	.set _ZN7rocprim17ROCPRIM_400000_NS6detail17trampoline_kernelINS0_14default_configENS1_25partition_config_selectorILNS1_17partition_subalgoE6ExNS0_10empty_typeEbEEZZNS1_14partition_implILS5_6ELb0ES3_mN6thrust23THRUST_200600_302600_NS6detail15normal_iteratorINSA_10device_ptrIxEEEEPS6_SG_NS0_5tupleIJSF_S6_EEENSH_IJSG_SG_EEES6_PlJNSB_9not_fun_tINSB_10functional5actorINSM_9compositeIJNSM_27transparent_binary_operatorINSA_8equal_toIvEEEENSN_INSM_8argumentILj0EEEEENSM_5valueIxEEEEEEEEEEEE10hipError_tPvRmT3_T4_T5_T6_T7_T9_mT8_P12ihipStream_tbDpT10_ENKUlT_T0_E_clISt17integral_constantIbLb1EES1J_IbLb0EEEEDaS1F_S1G_EUlS1F_E_NS1_11comp_targetILNS1_3genE3ELNS1_11target_archE908ELNS1_3gpuE7ELNS1_3repE0EEENS1_30default_config_static_selectorELNS0_4arch9wavefront6targetE0EEEvT1_.numbered_sgpr, 0
	.set _ZN7rocprim17ROCPRIM_400000_NS6detail17trampoline_kernelINS0_14default_configENS1_25partition_config_selectorILNS1_17partition_subalgoE6ExNS0_10empty_typeEbEEZZNS1_14partition_implILS5_6ELb0ES3_mN6thrust23THRUST_200600_302600_NS6detail15normal_iteratorINSA_10device_ptrIxEEEEPS6_SG_NS0_5tupleIJSF_S6_EEENSH_IJSG_SG_EEES6_PlJNSB_9not_fun_tINSB_10functional5actorINSM_9compositeIJNSM_27transparent_binary_operatorINSA_8equal_toIvEEEENSN_INSM_8argumentILj0EEEEENSM_5valueIxEEEEEEEEEEEE10hipError_tPvRmT3_T4_T5_T6_T7_T9_mT8_P12ihipStream_tbDpT10_ENKUlT_T0_E_clISt17integral_constantIbLb1EES1J_IbLb0EEEEDaS1F_S1G_EUlS1F_E_NS1_11comp_targetILNS1_3genE3ELNS1_11target_archE908ELNS1_3gpuE7ELNS1_3repE0EEENS1_30default_config_static_selectorELNS0_4arch9wavefront6targetE0EEEvT1_.num_named_barrier, 0
	.set _ZN7rocprim17ROCPRIM_400000_NS6detail17trampoline_kernelINS0_14default_configENS1_25partition_config_selectorILNS1_17partition_subalgoE6ExNS0_10empty_typeEbEEZZNS1_14partition_implILS5_6ELb0ES3_mN6thrust23THRUST_200600_302600_NS6detail15normal_iteratorINSA_10device_ptrIxEEEEPS6_SG_NS0_5tupleIJSF_S6_EEENSH_IJSG_SG_EEES6_PlJNSB_9not_fun_tINSB_10functional5actorINSM_9compositeIJNSM_27transparent_binary_operatorINSA_8equal_toIvEEEENSN_INSM_8argumentILj0EEEEENSM_5valueIxEEEEEEEEEEEE10hipError_tPvRmT3_T4_T5_T6_T7_T9_mT8_P12ihipStream_tbDpT10_ENKUlT_T0_E_clISt17integral_constantIbLb1EES1J_IbLb0EEEEDaS1F_S1G_EUlS1F_E_NS1_11comp_targetILNS1_3genE3ELNS1_11target_archE908ELNS1_3gpuE7ELNS1_3repE0EEENS1_30default_config_static_selectorELNS0_4arch9wavefront6targetE0EEEvT1_.private_seg_size, 0
	.set _ZN7rocprim17ROCPRIM_400000_NS6detail17trampoline_kernelINS0_14default_configENS1_25partition_config_selectorILNS1_17partition_subalgoE6ExNS0_10empty_typeEbEEZZNS1_14partition_implILS5_6ELb0ES3_mN6thrust23THRUST_200600_302600_NS6detail15normal_iteratorINSA_10device_ptrIxEEEEPS6_SG_NS0_5tupleIJSF_S6_EEENSH_IJSG_SG_EEES6_PlJNSB_9not_fun_tINSB_10functional5actorINSM_9compositeIJNSM_27transparent_binary_operatorINSA_8equal_toIvEEEENSN_INSM_8argumentILj0EEEEENSM_5valueIxEEEEEEEEEEEE10hipError_tPvRmT3_T4_T5_T6_T7_T9_mT8_P12ihipStream_tbDpT10_ENKUlT_T0_E_clISt17integral_constantIbLb1EES1J_IbLb0EEEEDaS1F_S1G_EUlS1F_E_NS1_11comp_targetILNS1_3genE3ELNS1_11target_archE908ELNS1_3gpuE7ELNS1_3repE0EEENS1_30default_config_static_selectorELNS0_4arch9wavefront6targetE0EEEvT1_.uses_vcc, 0
	.set _ZN7rocprim17ROCPRIM_400000_NS6detail17trampoline_kernelINS0_14default_configENS1_25partition_config_selectorILNS1_17partition_subalgoE6ExNS0_10empty_typeEbEEZZNS1_14partition_implILS5_6ELb0ES3_mN6thrust23THRUST_200600_302600_NS6detail15normal_iteratorINSA_10device_ptrIxEEEEPS6_SG_NS0_5tupleIJSF_S6_EEENSH_IJSG_SG_EEES6_PlJNSB_9not_fun_tINSB_10functional5actorINSM_9compositeIJNSM_27transparent_binary_operatorINSA_8equal_toIvEEEENSN_INSM_8argumentILj0EEEEENSM_5valueIxEEEEEEEEEEEE10hipError_tPvRmT3_T4_T5_T6_T7_T9_mT8_P12ihipStream_tbDpT10_ENKUlT_T0_E_clISt17integral_constantIbLb1EES1J_IbLb0EEEEDaS1F_S1G_EUlS1F_E_NS1_11comp_targetILNS1_3genE3ELNS1_11target_archE908ELNS1_3gpuE7ELNS1_3repE0EEENS1_30default_config_static_selectorELNS0_4arch9wavefront6targetE0EEEvT1_.uses_flat_scratch, 0
	.set _ZN7rocprim17ROCPRIM_400000_NS6detail17trampoline_kernelINS0_14default_configENS1_25partition_config_selectorILNS1_17partition_subalgoE6ExNS0_10empty_typeEbEEZZNS1_14partition_implILS5_6ELb0ES3_mN6thrust23THRUST_200600_302600_NS6detail15normal_iteratorINSA_10device_ptrIxEEEEPS6_SG_NS0_5tupleIJSF_S6_EEENSH_IJSG_SG_EEES6_PlJNSB_9not_fun_tINSB_10functional5actorINSM_9compositeIJNSM_27transparent_binary_operatorINSA_8equal_toIvEEEENSN_INSM_8argumentILj0EEEEENSM_5valueIxEEEEEEEEEEEE10hipError_tPvRmT3_T4_T5_T6_T7_T9_mT8_P12ihipStream_tbDpT10_ENKUlT_T0_E_clISt17integral_constantIbLb1EES1J_IbLb0EEEEDaS1F_S1G_EUlS1F_E_NS1_11comp_targetILNS1_3genE3ELNS1_11target_archE908ELNS1_3gpuE7ELNS1_3repE0EEENS1_30default_config_static_selectorELNS0_4arch9wavefront6targetE0EEEvT1_.has_dyn_sized_stack, 0
	.set _ZN7rocprim17ROCPRIM_400000_NS6detail17trampoline_kernelINS0_14default_configENS1_25partition_config_selectorILNS1_17partition_subalgoE6ExNS0_10empty_typeEbEEZZNS1_14partition_implILS5_6ELb0ES3_mN6thrust23THRUST_200600_302600_NS6detail15normal_iteratorINSA_10device_ptrIxEEEEPS6_SG_NS0_5tupleIJSF_S6_EEENSH_IJSG_SG_EEES6_PlJNSB_9not_fun_tINSB_10functional5actorINSM_9compositeIJNSM_27transparent_binary_operatorINSA_8equal_toIvEEEENSN_INSM_8argumentILj0EEEEENSM_5valueIxEEEEEEEEEEEE10hipError_tPvRmT3_T4_T5_T6_T7_T9_mT8_P12ihipStream_tbDpT10_ENKUlT_T0_E_clISt17integral_constantIbLb1EES1J_IbLb0EEEEDaS1F_S1G_EUlS1F_E_NS1_11comp_targetILNS1_3genE3ELNS1_11target_archE908ELNS1_3gpuE7ELNS1_3repE0EEENS1_30default_config_static_selectorELNS0_4arch9wavefront6targetE0EEEvT1_.has_recursion, 0
	.set _ZN7rocprim17ROCPRIM_400000_NS6detail17trampoline_kernelINS0_14default_configENS1_25partition_config_selectorILNS1_17partition_subalgoE6ExNS0_10empty_typeEbEEZZNS1_14partition_implILS5_6ELb0ES3_mN6thrust23THRUST_200600_302600_NS6detail15normal_iteratorINSA_10device_ptrIxEEEEPS6_SG_NS0_5tupleIJSF_S6_EEENSH_IJSG_SG_EEES6_PlJNSB_9not_fun_tINSB_10functional5actorINSM_9compositeIJNSM_27transparent_binary_operatorINSA_8equal_toIvEEEENSN_INSM_8argumentILj0EEEEENSM_5valueIxEEEEEEEEEEEE10hipError_tPvRmT3_T4_T5_T6_T7_T9_mT8_P12ihipStream_tbDpT10_ENKUlT_T0_E_clISt17integral_constantIbLb1EES1J_IbLb0EEEEDaS1F_S1G_EUlS1F_E_NS1_11comp_targetILNS1_3genE3ELNS1_11target_archE908ELNS1_3gpuE7ELNS1_3repE0EEENS1_30default_config_static_selectorELNS0_4arch9wavefront6targetE0EEEvT1_.has_indirect_call, 0
	.section	.AMDGPU.csdata,"",@progbits
; Kernel info:
; codeLenInByte = 0
; TotalNumSgprs: 0
; NumVgprs: 0
; ScratchSize: 0
; MemoryBound: 0
; FloatMode: 240
; IeeeMode: 1
; LDSByteSize: 0 bytes/workgroup (compile time only)
; SGPRBlocks: 0
; VGPRBlocks: 0
; NumSGPRsForWavesPerEU: 1
; NumVGPRsForWavesPerEU: 1
; Occupancy: 16
; WaveLimiterHint : 0
; COMPUTE_PGM_RSRC2:SCRATCH_EN: 0
; COMPUTE_PGM_RSRC2:USER_SGPR: 2
; COMPUTE_PGM_RSRC2:TRAP_HANDLER: 0
; COMPUTE_PGM_RSRC2:TGID_X_EN: 1
; COMPUTE_PGM_RSRC2:TGID_Y_EN: 0
; COMPUTE_PGM_RSRC2:TGID_Z_EN: 0
; COMPUTE_PGM_RSRC2:TIDIG_COMP_CNT: 0
	.section	.text._ZN7rocprim17ROCPRIM_400000_NS6detail17trampoline_kernelINS0_14default_configENS1_25partition_config_selectorILNS1_17partition_subalgoE6ExNS0_10empty_typeEbEEZZNS1_14partition_implILS5_6ELb0ES3_mN6thrust23THRUST_200600_302600_NS6detail15normal_iteratorINSA_10device_ptrIxEEEEPS6_SG_NS0_5tupleIJSF_S6_EEENSH_IJSG_SG_EEES6_PlJNSB_9not_fun_tINSB_10functional5actorINSM_9compositeIJNSM_27transparent_binary_operatorINSA_8equal_toIvEEEENSN_INSM_8argumentILj0EEEEENSM_5valueIxEEEEEEEEEEEE10hipError_tPvRmT3_T4_T5_T6_T7_T9_mT8_P12ihipStream_tbDpT10_ENKUlT_T0_E_clISt17integral_constantIbLb1EES1J_IbLb0EEEEDaS1F_S1G_EUlS1F_E_NS1_11comp_targetILNS1_3genE2ELNS1_11target_archE906ELNS1_3gpuE6ELNS1_3repE0EEENS1_30default_config_static_selectorELNS0_4arch9wavefront6targetE0EEEvT1_,"axG",@progbits,_ZN7rocprim17ROCPRIM_400000_NS6detail17trampoline_kernelINS0_14default_configENS1_25partition_config_selectorILNS1_17partition_subalgoE6ExNS0_10empty_typeEbEEZZNS1_14partition_implILS5_6ELb0ES3_mN6thrust23THRUST_200600_302600_NS6detail15normal_iteratorINSA_10device_ptrIxEEEEPS6_SG_NS0_5tupleIJSF_S6_EEENSH_IJSG_SG_EEES6_PlJNSB_9not_fun_tINSB_10functional5actorINSM_9compositeIJNSM_27transparent_binary_operatorINSA_8equal_toIvEEEENSN_INSM_8argumentILj0EEEEENSM_5valueIxEEEEEEEEEEEE10hipError_tPvRmT3_T4_T5_T6_T7_T9_mT8_P12ihipStream_tbDpT10_ENKUlT_T0_E_clISt17integral_constantIbLb1EES1J_IbLb0EEEEDaS1F_S1G_EUlS1F_E_NS1_11comp_targetILNS1_3genE2ELNS1_11target_archE906ELNS1_3gpuE6ELNS1_3repE0EEENS1_30default_config_static_selectorELNS0_4arch9wavefront6targetE0EEEvT1_,comdat
	.protected	_ZN7rocprim17ROCPRIM_400000_NS6detail17trampoline_kernelINS0_14default_configENS1_25partition_config_selectorILNS1_17partition_subalgoE6ExNS0_10empty_typeEbEEZZNS1_14partition_implILS5_6ELb0ES3_mN6thrust23THRUST_200600_302600_NS6detail15normal_iteratorINSA_10device_ptrIxEEEEPS6_SG_NS0_5tupleIJSF_S6_EEENSH_IJSG_SG_EEES6_PlJNSB_9not_fun_tINSB_10functional5actorINSM_9compositeIJNSM_27transparent_binary_operatorINSA_8equal_toIvEEEENSN_INSM_8argumentILj0EEEEENSM_5valueIxEEEEEEEEEEEE10hipError_tPvRmT3_T4_T5_T6_T7_T9_mT8_P12ihipStream_tbDpT10_ENKUlT_T0_E_clISt17integral_constantIbLb1EES1J_IbLb0EEEEDaS1F_S1G_EUlS1F_E_NS1_11comp_targetILNS1_3genE2ELNS1_11target_archE906ELNS1_3gpuE6ELNS1_3repE0EEENS1_30default_config_static_selectorELNS0_4arch9wavefront6targetE0EEEvT1_ ; -- Begin function _ZN7rocprim17ROCPRIM_400000_NS6detail17trampoline_kernelINS0_14default_configENS1_25partition_config_selectorILNS1_17partition_subalgoE6ExNS0_10empty_typeEbEEZZNS1_14partition_implILS5_6ELb0ES3_mN6thrust23THRUST_200600_302600_NS6detail15normal_iteratorINSA_10device_ptrIxEEEEPS6_SG_NS0_5tupleIJSF_S6_EEENSH_IJSG_SG_EEES6_PlJNSB_9not_fun_tINSB_10functional5actorINSM_9compositeIJNSM_27transparent_binary_operatorINSA_8equal_toIvEEEENSN_INSM_8argumentILj0EEEEENSM_5valueIxEEEEEEEEEEEE10hipError_tPvRmT3_T4_T5_T6_T7_T9_mT8_P12ihipStream_tbDpT10_ENKUlT_T0_E_clISt17integral_constantIbLb1EES1J_IbLb0EEEEDaS1F_S1G_EUlS1F_E_NS1_11comp_targetILNS1_3genE2ELNS1_11target_archE906ELNS1_3gpuE6ELNS1_3repE0EEENS1_30default_config_static_selectorELNS0_4arch9wavefront6targetE0EEEvT1_
	.globl	_ZN7rocprim17ROCPRIM_400000_NS6detail17trampoline_kernelINS0_14default_configENS1_25partition_config_selectorILNS1_17partition_subalgoE6ExNS0_10empty_typeEbEEZZNS1_14partition_implILS5_6ELb0ES3_mN6thrust23THRUST_200600_302600_NS6detail15normal_iteratorINSA_10device_ptrIxEEEEPS6_SG_NS0_5tupleIJSF_S6_EEENSH_IJSG_SG_EEES6_PlJNSB_9not_fun_tINSB_10functional5actorINSM_9compositeIJNSM_27transparent_binary_operatorINSA_8equal_toIvEEEENSN_INSM_8argumentILj0EEEEENSM_5valueIxEEEEEEEEEEEE10hipError_tPvRmT3_T4_T5_T6_T7_T9_mT8_P12ihipStream_tbDpT10_ENKUlT_T0_E_clISt17integral_constantIbLb1EES1J_IbLb0EEEEDaS1F_S1G_EUlS1F_E_NS1_11comp_targetILNS1_3genE2ELNS1_11target_archE906ELNS1_3gpuE6ELNS1_3repE0EEENS1_30default_config_static_selectorELNS0_4arch9wavefront6targetE0EEEvT1_
	.p2align	8
	.type	_ZN7rocprim17ROCPRIM_400000_NS6detail17trampoline_kernelINS0_14default_configENS1_25partition_config_selectorILNS1_17partition_subalgoE6ExNS0_10empty_typeEbEEZZNS1_14partition_implILS5_6ELb0ES3_mN6thrust23THRUST_200600_302600_NS6detail15normal_iteratorINSA_10device_ptrIxEEEEPS6_SG_NS0_5tupleIJSF_S6_EEENSH_IJSG_SG_EEES6_PlJNSB_9not_fun_tINSB_10functional5actorINSM_9compositeIJNSM_27transparent_binary_operatorINSA_8equal_toIvEEEENSN_INSM_8argumentILj0EEEEENSM_5valueIxEEEEEEEEEEEE10hipError_tPvRmT3_T4_T5_T6_T7_T9_mT8_P12ihipStream_tbDpT10_ENKUlT_T0_E_clISt17integral_constantIbLb1EES1J_IbLb0EEEEDaS1F_S1G_EUlS1F_E_NS1_11comp_targetILNS1_3genE2ELNS1_11target_archE906ELNS1_3gpuE6ELNS1_3repE0EEENS1_30default_config_static_selectorELNS0_4arch9wavefront6targetE0EEEvT1_,@function
_ZN7rocprim17ROCPRIM_400000_NS6detail17trampoline_kernelINS0_14default_configENS1_25partition_config_selectorILNS1_17partition_subalgoE6ExNS0_10empty_typeEbEEZZNS1_14partition_implILS5_6ELb0ES3_mN6thrust23THRUST_200600_302600_NS6detail15normal_iteratorINSA_10device_ptrIxEEEEPS6_SG_NS0_5tupleIJSF_S6_EEENSH_IJSG_SG_EEES6_PlJNSB_9not_fun_tINSB_10functional5actorINSM_9compositeIJNSM_27transparent_binary_operatorINSA_8equal_toIvEEEENSN_INSM_8argumentILj0EEEEENSM_5valueIxEEEEEEEEEEEE10hipError_tPvRmT3_T4_T5_T6_T7_T9_mT8_P12ihipStream_tbDpT10_ENKUlT_T0_E_clISt17integral_constantIbLb1EES1J_IbLb0EEEEDaS1F_S1G_EUlS1F_E_NS1_11comp_targetILNS1_3genE2ELNS1_11target_archE906ELNS1_3gpuE6ELNS1_3repE0EEENS1_30default_config_static_selectorELNS0_4arch9wavefront6targetE0EEEvT1_: ; @_ZN7rocprim17ROCPRIM_400000_NS6detail17trampoline_kernelINS0_14default_configENS1_25partition_config_selectorILNS1_17partition_subalgoE6ExNS0_10empty_typeEbEEZZNS1_14partition_implILS5_6ELb0ES3_mN6thrust23THRUST_200600_302600_NS6detail15normal_iteratorINSA_10device_ptrIxEEEEPS6_SG_NS0_5tupleIJSF_S6_EEENSH_IJSG_SG_EEES6_PlJNSB_9not_fun_tINSB_10functional5actorINSM_9compositeIJNSM_27transparent_binary_operatorINSA_8equal_toIvEEEENSN_INSM_8argumentILj0EEEEENSM_5valueIxEEEEEEEEEEEE10hipError_tPvRmT3_T4_T5_T6_T7_T9_mT8_P12ihipStream_tbDpT10_ENKUlT_T0_E_clISt17integral_constantIbLb1EES1J_IbLb0EEEEDaS1F_S1G_EUlS1F_E_NS1_11comp_targetILNS1_3genE2ELNS1_11target_archE906ELNS1_3gpuE6ELNS1_3repE0EEENS1_30default_config_static_selectorELNS0_4arch9wavefront6targetE0EEEvT1_
; %bb.0:
	.section	.rodata,"a",@progbits
	.p2align	6, 0x0
	.amdhsa_kernel _ZN7rocprim17ROCPRIM_400000_NS6detail17trampoline_kernelINS0_14default_configENS1_25partition_config_selectorILNS1_17partition_subalgoE6ExNS0_10empty_typeEbEEZZNS1_14partition_implILS5_6ELb0ES3_mN6thrust23THRUST_200600_302600_NS6detail15normal_iteratorINSA_10device_ptrIxEEEEPS6_SG_NS0_5tupleIJSF_S6_EEENSH_IJSG_SG_EEES6_PlJNSB_9not_fun_tINSB_10functional5actorINSM_9compositeIJNSM_27transparent_binary_operatorINSA_8equal_toIvEEEENSN_INSM_8argumentILj0EEEEENSM_5valueIxEEEEEEEEEEEE10hipError_tPvRmT3_T4_T5_T6_T7_T9_mT8_P12ihipStream_tbDpT10_ENKUlT_T0_E_clISt17integral_constantIbLb1EES1J_IbLb0EEEEDaS1F_S1G_EUlS1F_E_NS1_11comp_targetILNS1_3genE2ELNS1_11target_archE906ELNS1_3gpuE6ELNS1_3repE0EEENS1_30default_config_static_selectorELNS0_4arch9wavefront6targetE0EEEvT1_
		.amdhsa_group_segment_fixed_size 0
		.amdhsa_private_segment_fixed_size 0
		.amdhsa_kernarg_size 128
		.amdhsa_user_sgpr_count 2
		.amdhsa_user_sgpr_dispatch_ptr 0
		.amdhsa_user_sgpr_queue_ptr 0
		.amdhsa_user_sgpr_kernarg_segment_ptr 1
		.amdhsa_user_sgpr_dispatch_id 0
		.amdhsa_user_sgpr_private_segment_size 0
		.amdhsa_wavefront_size32 1
		.amdhsa_uses_dynamic_stack 0
		.amdhsa_enable_private_segment 0
		.amdhsa_system_sgpr_workgroup_id_x 1
		.amdhsa_system_sgpr_workgroup_id_y 0
		.amdhsa_system_sgpr_workgroup_id_z 0
		.amdhsa_system_sgpr_workgroup_info 0
		.amdhsa_system_vgpr_workitem_id 0
		.amdhsa_next_free_vgpr 1
		.amdhsa_next_free_sgpr 1
		.amdhsa_reserve_vcc 0
		.amdhsa_float_round_mode_32 0
		.amdhsa_float_round_mode_16_64 0
		.amdhsa_float_denorm_mode_32 3
		.amdhsa_float_denorm_mode_16_64 3
		.amdhsa_fp16_overflow 0
		.amdhsa_workgroup_processor_mode 1
		.amdhsa_memory_ordered 1
		.amdhsa_forward_progress 1
		.amdhsa_inst_pref_size 0
		.amdhsa_round_robin_scheduling 0
		.amdhsa_exception_fp_ieee_invalid_op 0
		.amdhsa_exception_fp_denorm_src 0
		.amdhsa_exception_fp_ieee_div_zero 0
		.amdhsa_exception_fp_ieee_overflow 0
		.amdhsa_exception_fp_ieee_underflow 0
		.amdhsa_exception_fp_ieee_inexact 0
		.amdhsa_exception_int_div_zero 0
	.end_amdhsa_kernel
	.section	.text._ZN7rocprim17ROCPRIM_400000_NS6detail17trampoline_kernelINS0_14default_configENS1_25partition_config_selectorILNS1_17partition_subalgoE6ExNS0_10empty_typeEbEEZZNS1_14partition_implILS5_6ELb0ES3_mN6thrust23THRUST_200600_302600_NS6detail15normal_iteratorINSA_10device_ptrIxEEEEPS6_SG_NS0_5tupleIJSF_S6_EEENSH_IJSG_SG_EEES6_PlJNSB_9not_fun_tINSB_10functional5actorINSM_9compositeIJNSM_27transparent_binary_operatorINSA_8equal_toIvEEEENSN_INSM_8argumentILj0EEEEENSM_5valueIxEEEEEEEEEEEE10hipError_tPvRmT3_T4_T5_T6_T7_T9_mT8_P12ihipStream_tbDpT10_ENKUlT_T0_E_clISt17integral_constantIbLb1EES1J_IbLb0EEEEDaS1F_S1G_EUlS1F_E_NS1_11comp_targetILNS1_3genE2ELNS1_11target_archE906ELNS1_3gpuE6ELNS1_3repE0EEENS1_30default_config_static_selectorELNS0_4arch9wavefront6targetE0EEEvT1_,"axG",@progbits,_ZN7rocprim17ROCPRIM_400000_NS6detail17trampoline_kernelINS0_14default_configENS1_25partition_config_selectorILNS1_17partition_subalgoE6ExNS0_10empty_typeEbEEZZNS1_14partition_implILS5_6ELb0ES3_mN6thrust23THRUST_200600_302600_NS6detail15normal_iteratorINSA_10device_ptrIxEEEEPS6_SG_NS0_5tupleIJSF_S6_EEENSH_IJSG_SG_EEES6_PlJNSB_9not_fun_tINSB_10functional5actorINSM_9compositeIJNSM_27transparent_binary_operatorINSA_8equal_toIvEEEENSN_INSM_8argumentILj0EEEEENSM_5valueIxEEEEEEEEEEEE10hipError_tPvRmT3_T4_T5_T6_T7_T9_mT8_P12ihipStream_tbDpT10_ENKUlT_T0_E_clISt17integral_constantIbLb1EES1J_IbLb0EEEEDaS1F_S1G_EUlS1F_E_NS1_11comp_targetILNS1_3genE2ELNS1_11target_archE906ELNS1_3gpuE6ELNS1_3repE0EEENS1_30default_config_static_selectorELNS0_4arch9wavefront6targetE0EEEvT1_,comdat
.Lfunc_end199:
	.size	_ZN7rocprim17ROCPRIM_400000_NS6detail17trampoline_kernelINS0_14default_configENS1_25partition_config_selectorILNS1_17partition_subalgoE6ExNS0_10empty_typeEbEEZZNS1_14partition_implILS5_6ELb0ES3_mN6thrust23THRUST_200600_302600_NS6detail15normal_iteratorINSA_10device_ptrIxEEEEPS6_SG_NS0_5tupleIJSF_S6_EEENSH_IJSG_SG_EEES6_PlJNSB_9not_fun_tINSB_10functional5actorINSM_9compositeIJNSM_27transparent_binary_operatorINSA_8equal_toIvEEEENSN_INSM_8argumentILj0EEEEENSM_5valueIxEEEEEEEEEEEE10hipError_tPvRmT3_T4_T5_T6_T7_T9_mT8_P12ihipStream_tbDpT10_ENKUlT_T0_E_clISt17integral_constantIbLb1EES1J_IbLb0EEEEDaS1F_S1G_EUlS1F_E_NS1_11comp_targetILNS1_3genE2ELNS1_11target_archE906ELNS1_3gpuE6ELNS1_3repE0EEENS1_30default_config_static_selectorELNS0_4arch9wavefront6targetE0EEEvT1_, .Lfunc_end199-_ZN7rocprim17ROCPRIM_400000_NS6detail17trampoline_kernelINS0_14default_configENS1_25partition_config_selectorILNS1_17partition_subalgoE6ExNS0_10empty_typeEbEEZZNS1_14partition_implILS5_6ELb0ES3_mN6thrust23THRUST_200600_302600_NS6detail15normal_iteratorINSA_10device_ptrIxEEEEPS6_SG_NS0_5tupleIJSF_S6_EEENSH_IJSG_SG_EEES6_PlJNSB_9not_fun_tINSB_10functional5actorINSM_9compositeIJNSM_27transparent_binary_operatorINSA_8equal_toIvEEEENSN_INSM_8argumentILj0EEEEENSM_5valueIxEEEEEEEEEEEE10hipError_tPvRmT3_T4_T5_T6_T7_T9_mT8_P12ihipStream_tbDpT10_ENKUlT_T0_E_clISt17integral_constantIbLb1EES1J_IbLb0EEEEDaS1F_S1G_EUlS1F_E_NS1_11comp_targetILNS1_3genE2ELNS1_11target_archE906ELNS1_3gpuE6ELNS1_3repE0EEENS1_30default_config_static_selectorELNS0_4arch9wavefront6targetE0EEEvT1_
                                        ; -- End function
	.set _ZN7rocprim17ROCPRIM_400000_NS6detail17trampoline_kernelINS0_14default_configENS1_25partition_config_selectorILNS1_17partition_subalgoE6ExNS0_10empty_typeEbEEZZNS1_14partition_implILS5_6ELb0ES3_mN6thrust23THRUST_200600_302600_NS6detail15normal_iteratorINSA_10device_ptrIxEEEEPS6_SG_NS0_5tupleIJSF_S6_EEENSH_IJSG_SG_EEES6_PlJNSB_9not_fun_tINSB_10functional5actorINSM_9compositeIJNSM_27transparent_binary_operatorINSA_8equal_toIvEEEENSN_INSM_8argumentILj0EEEEENSM_5valueIxEEEEEEEEEEEE10hipError_tPvRmT3_T4_T5_T6_T7_T9_mT8_P12ihipStream_tbDpT10_ENKUlT_T0_E_clISt17integral_constantIbLb1EES1J_IbLb0EEEEDaS1F_S1G_EUlS1F_E_NS1_11comp_targetILNS1_3genE2ELNS1_11target_archE906ELNS1_3gpuE6ELNS1_3repE0EEENS1_30default_config_static_selectorELNS0_4arch9wavefront6targetE0EEEvT1_.num_vgpr, 0
	.set _ZN7rocprim17ROCPRIM_400000_NS6detail17trampoline_kernelINS0_14default_configENS1_25partition_config_selectorILNS1_17partition_subalgoE6ExNS0_10empty_typeEbEEZZNS1_14partition_implILS5_6ELb0ES3_mN6thrust23THRUST_200600_302600_NS6detail15normal_iteratorINSA_10device_ptrIxEEEEPS6_SG_NS0_5tupleIJSF_S6_EEENSH_IJSG_SG_EEES6_PlJNSB_9not_fun_tINSB_10functional5actorINSM_9compositeIJNSM_27transparent_binary_operatorINSA_8equal_toIvEEEENSN_INSM_8argumentILj0EEEEENSM_5valueIxEEEEEEEEEEEE10hipError_tPvRmT3_T4_T5_T6_T7_T9_mT8_P12ihipStream_tbDpT10_ENKUlT_T0_E_clISt17integral_constantIbLb1EES1J_IbLb0EEEEDaS1F_S1G_EUlS1F_E_NS1_11comp_targetILNS1_3genE2ELNS1_11target_archE906ELNS1_3gpuE6ELNS1_3repE0EEENS1_30default_config_static_selectorELNS0_4arch9wavefront6targetE0EEEvT1_.num_agpr, 0
	.set _ZN7rocprim17ROCPRIM_400000_NS6detail17trampoline_kernelINS0_14default_configENS1_25partition_config_selectorILNS1_17partition_subalgoE6ExNS0_10empty_typeEbEEZZNS1_14partition_implILS5_6ELb0ES3_mN6thrust23THRUST_200600_302600_NS6detail15normal_iteratorINSA_10device_ptrIxEEEEPS6_SG_NS0_5tupleIJSF_S6_EEENSH_IJSG_SG_EEES6_PlJNSB_9not_fun_tINSB_10functional5actorINSM_9compositeIJNSM_27transparent_binary_operatorINSA_8equal_toIvEEEENSN_INSM_8argumentILj0EEEEENSM_5valueIxEEEEEEEEEEEE10hipError_tPvRmT3_T4_T5_T6_T7_T9_mT8_P12ihipStream_tbDpT10_ENKUlT_T0_E_clISt17integral_constantIbLb1EES1J_IbLb0EEEEDaS1F_S1G_EUlS1F_E_NS1_11comp_targetILNS1_3genE2ELNS1_11target_archE906ELNS1_3gpuE6ELNS1_3repE0EEENS1_30default_config_static_selectorELNS0_4arch9wavefront6targetE0EEEvT1_.numbered_sgpr, 0
	.set _ZN7rocprim17ROCPRIM_400000_NS6detail17trampoline_kernelINS0_14default_configENS1_25partition_config_selectorILNS1_17partition_subalgoE6ExNS0_10empty_typeEbEEZZNS1_14partition_implILS5_6ELb0ES3_mN6thrust23THRUST_200600_302600_NS6detail15normal_iteratorINSA_10device_ptrIxEEEEPS6_SG_NS0_5tupleIJSF_S6_EEENSH_IJSG_SG_EEES6_PlJNSB_9not_fun_tINSB_10functional5actorINSM_9compositeIJNSM_27transparent_binary_operatorINSA_8equal_toIvEEEENSN_INSM_8argumentILj0EEEEENSM_5valueIxEEEEEEEEEEEE10hipError_tPvRmT3_T4_T5_T6_T7_T9_mT8_P12ihipStream_tbDpT10_ENKUlT_T0_E_clISt17integral_constantIbLb1EES1J_IbLb0EEEEDaS1F_S1G_EUlS1F_E_NS1_11comp_targetILNS1_3genE2ELNS1_11target_archE906ELNS1_3gpuE6ELNS1_3repE0EEENS1_30default_config_static_selectorELNS0_4arch9wavefront6targetE0EEEvT1_.num_named_barrier, 0
	.set _ZN7rocprim17ROCPRIM_400000_NS6detail17trampoline_kernelINS0_14default_configENS1_25partition_config_selectorILNS1_17partition_subalgoE6ExNS0_10empty_typeEbEEZZNS1_14partition_implILS5_6ELb0ES3_mN6thrust23THRUST_200600_302600_NS6detail15normal_iteratorINSA_10device_ptrIxEEEEPS6_SG_NS0_5tupleIJSF_S6_EEENSH_IJSG_SG_EEES6_PlJNSB_9not_fun_tINSB_10functional5actorINSM_9compositeIJNSM_27transparent_binary_operatorINSA_8equal_toIvEEEENSN_INSM_8argumentILj0EEEEENSM_5valueIxEEEEEEEEEEEE10hipError_tPvRmT3_T4_T5_T6_T7_T9_mT8_P12ihipStream_tbDpT10_ENKUlT_T0_E_clISt17integral_constantIbLb1EES1J_IbLb0EEEEDaS1F_S1G_EUlS1F_E_NS1_11comp_targetILNS1_3genE2ELNS1_11target_archE906ELNS1_3gpuE6ELNS1_3repE0EEENS1_30default_config_static_selectorELNS0_4arch9wavefront6targetE0EEEvT1_.private_seg_size, 0
	.set _ZN7rocprim17ROCPRIM_400000_NS6detail17trampoline_kernelINS0_14default_configENS1_25partition_config_selectorILNS1_17partition_subalgoE6ExNS0_10empty_typeEbEEZZNS1_14partition_implILS5_6ELb0ES3_mN6thrust23THRUST_200600_302600_NS6detail15normal_iteratorINSA_10device_ptrIxEEEEPS6_SG_NS0_5tupleIJSF_S6_EEENSH_IJSG_SG_EEES6_PlJNSB_9not_fun_tINSB_10functional5actorINSM_9compositeIJNSM_27transparent_binary_operatorINSA_8equal_toIvEEEENSN_INSM_8argumentILj0EEEEENSM_5valueIxEEEEEEEEEEEE10hipError_tPvRmT3_T4_T5_T6_T7_T9_mT8_P12ihipStream_tbDpT10_ENKUlT_T0_E_clISt17integral_constantIbLb1EES1J_IbLb0EEEEDaS1F_S1G_EUlS1F_E_NS1_11comp_targetILNS1_3genE2ELNS1_11target_archE906ELNS1_3gpuE6ELNS1_3repE0EEENS1_30default_config_static_selectorELNS0_4arch9wavefront6targetE0EEEvT1_.uses_vcc, 0
	.set _ZN7rocprim17ROCPRIM_400000_NS6detail17trampoline_kernelINS0_14default_configENS1_25partition_config_selectorILNS1_17partition_subalgoE6ExNS0_10empty_typeEbEEZZNS1_14partition_implILS5_6ELb0ES3_mN6thrust23THRUST_200600_302600_NS6detail15normal_iteratorINSA_10device_ptrIxEEEEPS6_SG_NS0_5tupleIJSF_S6_EEENSH_IJSG_SG_EEES6_PlJNSB_9not_fun_tINSB_10functional5actorINSM_9compositeIJNSM_27transparent_binary_operatorINSA_8equal_toIvEEEENSN_INSM_8argumentILj0EEEEENSM_5valueIxEEEEEEEEEEEE10hipError_tPvRmT3_T4_T5_T6_T7_T9_mT8_P12ihipStream_tbDpT10_ENKUlT_T0_E_clISt17integral_constantIbLb1EES1J_IbLb0EEEEDaS1F_S1G_EUlS1F_E_NS1_11comp_targetILNS1_3genE2ELNS1_11target_archE906ELNS1_3gpuE6ELNS1_3repE0EEENS1_30default_config_static_selectorELNS0_4arch9wavefront6targetE0EEEvT1_.uses_flat_scratch, 0
	.set _ZN7rocprim17ROCPRIM_400000_NS6detail17trampoline_kernelINS0_14default_configENS1_25partition_config_selectorILNS1_17partition_subalgoE6ExNS0_10empty_typeEbEEZZNS1_14partition_implILS5_6ELb0ES3_mN6thrust23THRUST_200600_302600_NS6detail15normal_iteratorINSA_10device_ptrIxEEEEPS6_SG_NS0_5tupleIJSF_S6_EEENSH_IJSG_SG_EEES6_PlJNSB_9not_fun_tINSB_10functional5actorINSM_9compositeIJNSM_27transparent_binary_operatorINSA_8equal_toIvEEEENSN_INSM_8argumentILj0EEEEENSM_5valueIxEEEEEEEEEEEE10hipError_tPvRmT3_T4_T5_T6_T7_T9_mT8_P12ihipStream_tbDpT10_ENKUlT_T0_E_clISt17integral_constantIbLb1EES1J_IbLb0EEEEDaS1F_S1G_EUlS1F_E_NS1_11comp_targetILNS1_3genE2ELNS1_11target_archE906ELNS1_3gpuE6ELNS1_3repE0EEENS1_30default_config_static_selectorELNS0_4arch9wavefront6targetE0EEEvT1_.has_dyn_sized_stack, 0
	.set _ZN7rocprim17ROCPRIM_400000_NS6detail17trampoline_kernelINS0_14default_configENS1_25partition_config_selectorILNS1_17partition_subalgoE6ExNS0_10empty_typeEbEEZZNS1_14partition_implILS5_6ELb0ES3_mN6thrust23THRUST_200600_302600_NS6detail15normal_iteratorINSA_10device_ptrIxEEEEPS6_SG_NS0_5tupleIJSF_S6_EEENSH_IJSG_SG_EEES6_PlJNSB_9not_fun_tINSB_10functional5actorINSM_9compositeIJNSM_27transparent_binary_operatorINSA_8equal_toIvEEEENSN_INSM_8argumentILj0EEEEENSM_5valueIxEEEEEEEEEEEE10hipError_tPvRmT3_T4_T5_T6_T7_T9_mT8_P12ihipStream_tbDpT10_ENKUlT_T0_E_clISt17integral_constantIbLb1EES1J_IbLb0EEEEDaS1F_S1G_EUlS1F_E_NS1_11comp_targetILNS1_3genE2ELNS1_11target_archE906ELNS1_3gpuE6ELNS1_3repE0EEENS1_30default_config_static_selectorELNS0_4arch9wavefront6targetE0EEEvT1_.has_recursion, 0
	.set _ZN7rocprim17ROCPRIM_400000_NS6detail17trampoline_kernelINS0_14default_configENS1_25partition_config_selectorILNS1_17partition_subalgoE6ExNS0_10empty_typeEbEEZZNS1_14partition_implILS5_6ELb0ES3_mN6thrust23THRUST_200600_302600_NS6detail15normal_iteratorINSA_10device_ptrIxEEEEPS6_SG_NS0_5tupleIJSF_S6_EEENSH_IJSG_SG_EEES6_PlJNSB_9not_fun_tINSB_10functional5actorINSM_9compositeIJNSM_27transparent_binary_operatorINSA_8equal_toIvEEEENSN_INSM_8argumentILj0EEEEENSM_5valueIxEEEEEEEEEEEE10hipError_tPvRmT3_T4_T5_T6_T7_T9_mT8_P12ihipStream_tbDpT10_ENKUlT_T0_E_clISt17integral_constantIbLb1EES1J_IbLb0EEEEDaS1F_S1G_EUlS1F_E_NS1_11comp_targetILNS1_3genE2ELNS1_11target_archE906ELNS1_3gpuE6ELNS1_3repE0EEENS1_30default_config_static_selectorELNS0_4arch9wavefront6targetE0EEEvT1_.has_indirect_call, 0
	.section	.AMDGPU.csdata,"",@progbits
; Kernel info:
; codeLenInByte = 0
; TotalNumSgprs: 0
; NumVgprs: 0
; ScratchSize: 0
; MemoryBound: 0
; FloatMode: 240
; IeeeMode: 1
; LDSByteSize: 0 bytes/workgroup (compile time only)
; SGPRBlocks: 0
; VGPRBlocks: 0
; NumSGPRsForWavesPerEU: 1
; NumVGPRsForWavesPerEU: 1
; Occupancy: 16
; WaveLimiterHint : 0
; COMPUTE_PGM_RSRC2:SCRATCH_EN: 0
; COMPUTE_PGM_RSRC2:USER_SGPR: 2
; COMPUTE_PGM_RSRC2:TRAP_HANDLER: 0
; COMPUTE_PGM_RSRC2:TGID_X_EN: 1
; COMPUTE_PGM_RSRC2:TGID_Y_EN: 0
; COMPUTE_PGM_RSRC2:TGID_Z_EN: 0
; COMPUTE_PGM_RSRC2:TIDIG_COMP_CNT: 0
	.section	.text._ZN7rocprim17ROCPRIM_400000_NS6detail17trampoline_kernelINS0_14default_configENS1_25partition_config_selectorILNS1_17partition_subalgoE6ExNS0_10empty_typeEbEEZZNS1_14partition_implILS5_6ELb0ES3_mN6thrust23THRUST_200600_302600_NS6detail15normal_iteratorINSA_10device_ptrIxEEEEPS6_SG_NS0_5tupleIJSF_S6_EEENSH_IJSG_SG_EEES6_PlJNSB_9not_fun_tINSB_10functional5actorINSM_9compositeIJNSM_27transparent_binary_operatorINSA_8equal_toIvEEEENSN_INSM_8argumentILj0EEEEENSM_5valueIxEEEEEEEEEEEE10hipError_tPvRmT3_T4_T5_T6_T7_T9_mT8_P12ihipStream_tbDpT10_ENKUlT_T0_E_clISt17integral_constantIbLb1EES1J_IbLb0EEEEDaS1F_S1G_EUlS1F_E_NS1_11comp_targetILNS1_3genE10ELNS1_11target_archE1200ELNS1_3gpuE4ELNS1_3repE0EEENS1_30default_config_static_selectorELNS0_4arch9wavefront6targetE0EEEvT1_,"axG",@progbits,_ZN7rocprim17ROCPRIM_400000_NS6detail17trampoline_kernelINS0_14default_configENS1_25partition_config_selectorILNS1_17partition_subalgoE6ExNS0_10empty_typeEbEEZZNS1_14partition_implILS5_6ELb0ES3_mN6thrust23THRUST_200600_302600_NS6detail15normal_iteratorINSA_10device_ptrIxEEEEPS6_SG_NS0_5tupleIJSF_S6_EEENSH_IJSG_SG_EEES6_PlJNSB_9not_fun_tINSB_10functional5actorINSM_9compositeIJNSM_27transparent_binary_operatorINSA_8equal_toIvEEEENSN_INSM_8argumentILj0EEEEENSM_5valueIxEEEEEEEEEEEE10hipError_tPvRmT3_T4_T5_T6_T7_T9_mT8_P12ihipStream_tbDpT10_ENKUlT_T0_E_clISt17integral_constantIbLb1EES1J_IbLb0EEEEDaS1F_S1G_EUlS1F_E_NS1_11comp_targetILNS1_3genE10ELNS1_11target_archE1200ELNS1_3gpuE4ELNS1_3repE0EEENS1_30default_config_static_selectorELNS0_4arch9wavefront6targetE0EEEvT1_,comdat
	.protected	_ZN7rocprim17ROCPRIM_400000_NS6detail17trampoline_kernelINS0_14default_configENS1_25partition_config_selectorILNS1_17partition_subalgoE6ExNS0_10empty_typeEbEEZZNS1_14partition_implILS5_6ELb0ES3_mN6thrust23THRUST_200600_302600_NS6detail15normal_iteratorINSA_10device_ptrIxEEEEPS6_SG_NS0_5tupleIJSF_S6_EEENSH_IJSG_SG_EEES6_PlJNSB_9not_fun_tINSB_10functional5actorINSM_9compositeIJNSM_27transparent_binary_operatorINSA_8equal_toIvEEEENSN_INSM_8argumentILj0EEEEENSM_5valueIxEEEEEEEEEEEE10hipError_tPvRmT3_T4_T5_T6_T7_T9_mT8_P12ihipStream_tbDpT10_ENKUlT_T0_E_clISt17integral_constantIbLb1EES1J_IbLb0EEEEDaS1F_S1G_EUlS1F_E_NS1_11comp_targetILNS1_3genE10ELNS1_11target_archE1200ELNS1_3gpuE4ELNS1_3repE0EEENS1_30default_config_static_selectorELNS0_4arch9wavefront6targetE0EEEvT1_ ; -- Begin function _ZN7rocprim17ROCPRIM_400000_NS6detail17trampoline_kernelINS0_14default_configENS1_25partition_config_selectorILNS1_17partition_subalgoE6ExNS0_10empty_typeEbEEZZNS1_14partition_implILS5_6ELb0ES3_mN6thrust23THRUST_200600_302600_NS6detail15normal_iteratorINSA_10device_ptrIxEEEEPS6_SG_NS0_5tupleIJSF_S6_EEENSH_IJSG_SG_EEES6_PlJNSB_9not_fun_tINSB_10functional5actorINSM_9compositeIJNSM_27transparent_binary_operatorINSA_8equal_toIvEEEENSN_INSM_8argumentILj0EEEEENSM_5valueIxEEEEEEEEEEEE10hipError_tPvRmT3_T4_T5_T6_T7_T9_mT8_P12ihipStream_tbDpT10_ENKUlT_T0_E_clISt17integral_constantIbLb1EES1J_IbLb0EEEEDaS1F_S1G_EUlS1F_E_NS1_11comp_targetILNS1_3genE10ELNS1_11target_archE1200ELNS1_3gpuE4ELNS1_3repE0EEENS1_30default_config_static_selectorELNS0_4arch9wavefront6targetE0EEEvT1_
	.globl	_ZN7rocprim17ROCPRIM_400000_NS6detail17trampoline_kernelINS0_14default_configENS1_25partition_config_selectorILNS1_17partition_subalgoE6ExNS0_10empty_typeEbEEZZNS1_14partition_implILS5_6ELb0ES3_mN6thrust23THRUST_200600_302600_NS6detail15normal_iteratorINSA_10device_ptrIxEEEEPS6_SG_NS0_5tupleIJSF_S6_EEENSH_IJSG_SG_EEES6_PlJNSB_9not_fun_tINSB_10functional5actorINSM_9compositeIJNSM_27transparent_binary_operatorINSA_8equal_toIvEEEENSN_INSM_8argumentILj0EEEEENSM_5valueIxEEEEEEEEEEEE10hipError_tPvRmT3_T4_T5_T6_T7_T9_mT8_P12ihipStream_tbDpT10_ENKUlT_T0_E_clISt17integral_constantIbLb1EES1J_IbLb0EEEEDaS1F_S1G_EUlS1F_E_NS1_11comp_targetILNS1_3genE10ELNS1_11target_archE1200ELNS1_3gpuE4ELNS1_3repE0EEENS1_30default_config_static_selectorELNS0_4arch9wavefront6targetE0EEEvT1_
	.p2align	8
	.type	_ZN7rocprim17ROCPRIM_400000_NS6detail17trampoline_kernelINS0_14default_configENS1_25partition_config_selectorILNS1_17partition_subalgoE6ExNS0_10empty_typeEbEEZZNS1_14partition_implILS5_6ELb0ES3_mN6thrust23THRUST_200600_302600_NS6detail15normal_iteratorINSA_10device_ptrIxEEEEPS6_SG_NS0_5tupleIJSF_S6_EEENSH_IJSG_SG_EEES6_PlJNSB_9not_fun_tINSB_10functional5actorINSM_9compositeIJNSM_27transparent_binary_operatorINSA_8equal_toIvEEEENSN_INSM_8argumentILj0EEEEENSM_5valueIxEEEEEEEEEEEE10hipError_tPvRmT3_T4_T5_T6_T7_T9_mT8_P12ihipStream_tbDpT10_ENKUlT_T0_E_clISt17integral_constantIbLb1EES1J_IbLb0EEEEDaS1F_S1G_EUlS1F_E_NS1_11comp_targetILNS1_3genE10ELNS1_11target_archE1200ELNS1_3gpuE4ELNS1_3repE0EEENS1_30default_config_static_selectorELNS0_4arch9wavefront6targetE0EEEvT1_,@function
_ZN7rocprim17ROCPRIM_400000_NS6detail17trampoline_kernelINS0_14default_configENS1_25partition_config_selectorILNS1_17partition_subalgoE6ExNS0_10empty_typeEbEEZZNS1_14partition_implILS5_6ELb0ES3_mN6thrust23THRUST_200600_302600_NS6detail15normal_iteratorINSA_10device_ptrIxEEEEPS6_SG_NS0_5tupleIJSF_S6_EEENSH_IJSG_SG_EEES6_PlJNSB_9not_fun_tINSB_10functional5actorINSM_9compositeIJNSM_27transparent_binary_operatorINSA_8equal_toIvEEEENSN_INSM_8argumentILj0EEEEENSM_5valueIxEEEEEEEEEEEE10hipError_tPvRmT3_T4_T5_T6_T7_T9_mT8_P12ihipStream_tbDpT10_ENKUlT_T0_E_clISt17integral_constantIbLb1EES1J_IbLb0EEEEDaS1F_S1G_EUlS1F_E_NS1_11comp_targetILNS1_3genE10ELNS1_11target_archE1200ELNS1_3gpuE4ELNS1_3repE0EEENS1_30default_config_static_selectorELNS0_4arch9wavefront6targetE0EEEvT1_: ; @_ZN7rocprim17ROCPRIM_400000_NS6detail17trampoline_kernelINS0_14default_configENS1_25partition_config_selectorILNS1_17partition_subalgoE6ExNS0_10empty_typeEbEEZZNS1_14partition_implILS5_6ELb0ES3_mN6thrust23THRUST_200600_302600_NS6detail15normal_iteratorINSA_10device_ptrIxEEEEPS6_SG_NS0_5tupleIJSF_S6_EEENSH_IJSG_SG_EEES6_PlJNSB_9not_fun_tINSB_10functional5actorINSM_9compositeIJNSM_27transparent_binary_operatorINSA_8equal_toIvEEEENSN_INSM_8argumentILj0EEEEENSM_5valueIxEEEEEEEEEEEE10hipError_tPvRmT3_T4_T5_T6_T7_T9_mT8_P12ihipStream_tbDpT10_ENKUlT_T0_E_clISt17integral_constantIbLb1EES1J_IbLb0EEEEDaS1F_S1G_EUlS1F_E_NS1_11comp_targetILNS1_3genE10ELNS1_11target_archE1200ELNS1_3gpuE4ELNS1_3repE0EEENS1_30default_config_static_selectorELNS0_4arch9wavefront6targetE0EEEvT1_
; %bb.0:
	s_endpgm
	.section	.rodata,"a",@progbits
	.p2align	6, 0x0
	.amdhsa_kernel _ZN7rocprim17ROCPRIM_400000_NS6detail17trampoline_kernelINS0_14default_configENS1_25partition_config_selectorILNS1_17partition_subalgoE6ExNS0_10empty_typeEbEEZZNS1_14partition_implILS5_6ELb0ES3_mN6thrust23THRUST_200600_302600_NS6detail15normal_iteratorINSA_10device_ptrIxEEEEPS6_SG_NS0_5tupleIJSF_S6_EEENSH_IJSG_SG_EEES6_PlJNSB_9not_fun_tINSB_10functional5actorINSM_9compositeIJNSM_27transparent_binary_operatorINSA_8equal_toIvEEEENSN_INSM_8argumentILj0EEEEENSM_5valueIxEEEEEEEEEEEE10hipError_tPvRmT3_T4_T5_T6_T7_T9_mT8_P12ihipStream_tbDpT10_ENKUlT_T0_E_clISt17integral_constantIbLb1EES1J_IbLb0EEEEDaS1F_S1G_EUlS1F_E_NS1_11comp_targetILNS1_3genE10ELNS1_11target_archE1200ELNS1_3gpuE4ELNS1_3repE0EEENS1_30default_config_static_selectorELNS0_4arch9wavefront6targetE0EEEvT1_
		.amdhsa_group_segment_fixed_size 0
		.amdhsa_private_segment_fixed_size 0
		.amdhsa_kernarg_size 128
		.amdhsa_user_sgpr_count 2
		.amdhsa_user_sgpr_dispatch_ptr 0
		.amdhsa_user_sgpr_queue_ptr 0
		.amdhsa_user_sgpr_kernarg_segment_ptr 1
		.amdhsa_user_sgpr_dispatch_id 0
		.amdhsa_user_sgpr_private_segment_size 0
		.amdhsa_wavefront_size32 1
		.amdhsa_uses_dynamic_stack 0
		.amdhsa_enable_private_segment 0
		.amdhsa_system_sgpr_workgroup_id_x 1
		.amdhsa_system_sgpr_workgroup_id_y 0
		.amdhsa_system_sgpr_workgroup_id_z 0
		.amdhsa_system_sgpr_workgroup_info 0
		.amdhsa_system_vgpr_workitem_id 0
		.amdhsa_next_free_vgpr 1
		.amdhsa_next_free_sgpr 1
		.amdhsa_reserve_vcc 0
		.amdhsa_float_round_mode_32 0
		.amdhsa_float_round_mode_16_64 0
		.amdhsa_float_denorm_mode_32 3
		.amdhsa_float_denorm_mode_16_64 3
		.amdhsa_fp16_overflow 0
		.amdhsa_workgroup_processor_mode 1
		.amdhsa_memory_ordered 1
		.amdhsa_forward_progress 1
		.amdhsa_inst_pref_size 1
		.amdhsa_round_robin_scheduling 0
		.amdhsa_exception_fp_ieee_invalid_op 0
		.amdhsa_exception_fp_denorm_src 0
		.amdhsa_exception_fp_ieee_div_zero 0
		.amdhsa_exception_fp_ieee_overflow 0
		.amdhsa_exception_fp_ieee_underflow 0
		.amdhsa_exception_fp_ieee_inexact 0
		.amdhsa_exception_int_div_zero 0
	.end_amdhsa_kernel
	.section	.text._ZN7rocprim17ROCPRIM_400000_NS6detail17trampoline_kernelINS0_14default_configENS1_25partition_config_selectorILNS1_17partition_subalgoE6ExNS0_10empty_typeEbEEZZNS1_14partition_implILS5_6ELb0ES3_mN6thrust23THRUST_200600_302600_NS6detail15normal_iteratorINSA_10device_ptrIxEEEEPS6_SG_NS0_5tupleIJSF_S6_EEENSH_IJSG_SG_EEES6_PlJNSB_9not_fun_tINSB_10functional5actorINSM_9compositeIJNSM_27transparent_binary_operatorINSA_8equal_toIvEEEENSN_INSM_8argumentILj0EEEEENSM_5valueIxEEEEEEEEEEEE10hipError_tPvRmT3_T4_T5_T6_T7_T9_mT8_P12ihipStream_tbDpT10_ENKUlT_T0_E_clISt17integral_constantIbLb1EES1J_IbLb0EEEEDaS1F_S1G_EUlS1F_E_NS1_11comp_targetILNS1_3genE10ELNS1_11target_archE1200ELNS1_3gpuE4ELNS1_3repE0EEENS1_30default_config_static_selectorELNS0_4arch9wavefront6targetE0EEEvT1_,"axG",@progbits,_ZN7rocprim17ROCPRIM_400000_NS6detail17trampoline_kernelINS0_14default_configENS1_25partition_config_selectorILNS1_17partition_subalgoE6ExNS0_10empty_typeEbEEZZNS1_14partition_implILS5_6ELb0ES3_mN6thrust23THRUST_200600_302600_NS6detail15normal_iteratorINSA_10device_ptrIxEEEEPS6_SG_NS0_5tupleIJSF_S6_EEENSH_IJSG_SG_EEES6_PlJNSB_9not_fun_tINSB_10functional5actorINSM_9compositeIJNSM_27transparent_binary_operatorINSA_8equal_toIvEEEENSN_INSM_8argumentILj0EEEEENSM_5valueIxEEEEEEEEEEEE10hipError_tPvRmT3_T4_T5_T6_T7_T9_mT8_P12ihipStream_tbDpT10_ENKUlT_T0_E_clISt17integral_constantIbLb1EES1J_IbLb0EEEEDaS1F_S1G_EUlS1F_E_NS1_11comp_targetILNS1_3genE10ELNS1_11target_archE1200ELNS1_3gpuE4ELNS1_3repE0EEENS1_30default_config_static_selectorELNS0_4arch9wavefront6targetE0EEEvT1_,comdat
.Lfunc_end200:
	.size	_ZN7rocprim17ROCPRIM_400000_NS6detail17trampoline_kernelINS0_14default_configENS1_25partition_config_selectorILNS1_17partition_subalgoE6ExNS0_10empty_typeEbEEZZNS1_14partition_implILS5_6ELb0ES3_mN6thrust23THRUST_200600_302600_NS6detail15normal_iteratorINSA_10device_ptrIxEEEEPS6_SG_NS0_5tupleIJSF_S6_EEENSH_IJSG_SG_EEES6_PlJNSB_9not_fun_tINSB_10functional5actorINSM_9compositeIJNSM_27transparent_binary_operatorINSA_8equal_toIvEEEENSN_INSM_8argumentILj0EEEEENSM_5valueIxEEEEEEEEEEEE10hipError_tPvRmT3_T4_T5_T6_T7_T9_mT8_P12ihipStream_tbDpT10_ENKUlT_T0_E_clISt17integral_constantIbLb1EES1J_IbLb0EEEEDaS1F_S1G_EUlS1F_E_NS1_11comp_targetILNS1_3genE10ELNS1_11target_archE1200ELNS1_3gpuE4ELNS1_3repE0EEENS1_30default_config_static_selectorELNS0_4arch9wavefront6targetE0EEEvT1_, .Lfunc_end200-_ZN7rocprim17ROCPRIM_400000_NS6detail17trampoline_kernelINS0_14default_configENS1_25partition_config_selectorILNS1_17partition_subalgoE6ExNS0_10empty_typeEbEEZZNS1_14partition_implILS5_6ELb0ES3_mN6thrust23THRUST_200600_302600_NS6detail15normal_iteratorINSA_10device_ptrIxEEEEPS6_SG_NS0_5tupleIJSF_S6_EEENSH_IJSG_SG_EEES6_PlJNSB_9not_fun_tINSB_10functional5actorINSM_9compositeIJNSM_27transparent_binary_operatorINSA_8equal_toIvEEEENSN_INSM_8argumentILj0EEEEENSM_5valueIxEEEEEEEEEEEE10hipError_tPvRmT3_T4_T5_T6_T7_T9_mT8_P12ihipStream_tbDpT10_ENKUlT_T0_E_clISt17integral_constantIbLb1EES1J_IbLb0EEEEDaS1F_S1G_EUlS1F_E_NS1_11comp_targetILNS1_3genE10ELNS1_11target_archE1200ELNS1_3gpuE4ELNS1_3repE0EEENS1_30default_config_static_selectorELNS0_4arch9wavefront6targetE0EEEvT1_
                                        ; -- End function
	.set _ZN7rocprim17ROCPRIM_400000_NS6detail17trampoline_kernelINS0_14default_configENS1_25partition_config_selectorILNS1_17partition_subalgoE6ExNS0_10empty_typeEbEEZZNS1_14partition_implILS5_6ELb0ES3_mN6thrust23THRUST_200600_302600_NS6detail15normal_iteratorINSA_10device_ptrIxEEEEPS6_SG_NS0_5tupleIJSF_S6_EEENSH_IJSG_SG_EEES6_PlJNSB_9not_fun_tINSB_10functional5actorINSM_9compositeIJNSM_27transparent_binary_operatorINSA_8equal_toIvEEEENSN_INSM_8argumentILj0EEEEENSM_5valueIxEEEEEEEEEEEE10hipError_tPvRmT3_T4_T5_T6_T7_T9_mT8_P12ihipStream_tbDpT10_ENKUlT_T0_E_clISt17integral_constantIbLb1EES1J_IbLb0EEEEDaS1F_S1G_EUlS1F_E_NS1_11comp_targetILNS1_3genE10ELNS1_11target_archE1200ELNS1_3gpuE4ELNS1_3repE0EEENS1_30default_config_static_selectorELNS0_4arch9wavefront6targetE0EEEvT1_.num_vgpr, 0
	.set _ZN7rocprim17ROCPRIM_400000_NS6detail17trampoline_kernelINS0_14default_configENS1_25partition_config_selectorILNS1_17partition_subalgoE6ExNS0_10empty_typeEbEEZZNS1_14partition_implILS5_6ELb0ES3_mN6thrust23THRUST_200600_302600_NS6detail15normal_iteratorINSA_10device_ptrIxEEEEPS6_SG_NS0_5tupleIJSF_S6_EEENSH_IJSG_SG_EEES6_PlJNSB_9not_fun_tINSB_10functional5actorINSM_9compositeIJNSM_27transparent_binary_operatorINSA_8equal_toIvEEEENSN_INSM_8argumentILj0EEEEENSM_5valueIxEEEEEEEEEEEE10hipError_tPvRmT3_T4_T5_T6_T7_T9_mT8_P12ihipStream_tbDpT10_ENKUlT_T0_E_clISt17integral_constantIbLb1EES1J_IbLb0EEEEDaS1F_S1G_EUlS1F_E_NS1_11comp_targetILNS1_3genE10ELNS1_11target_archE1200ELNS1_3gpuE4ELNS1_3repE0EEENS1_30default_config_static_selectorELNS0_4arch9wavefront6targetE0EEEvT1_.num_agpr, 0
	.set _ZN7rocprim17ROCPRIM_400000_NS6detail17trampoline_kernelINS0_14default_configENS1_25partition_config_selectorILNS1_17partition_subalgoE6ExNS0_10empty_typeEbEEZZNS1_14partition_implILS5_6ELb0ES3_mN6thrust23THRUST_200600_302600_NS6detail15normal_iteratorINSA_10device_ptrIxEEEEPS6_SG_NS0_5tupleIJSF_S6_EEENSH_IJSG_SG_EEES6_PlJNSB_9not_fun_tINSB_10functional5actorINSM_9compositeIJNSM_27transparent_binary_operatorINSA_8equal_toIvEEEENSN_INSM_8argumentILj0EEEEENSM_5valueIxEEEEEEEEEEEE10hipError_tPvRmT3_T4_T5_T6_T7_T9_mT8_P12ihipStream_tbDpT10_ENKUlT_T0_E_clISt17integral_constantIbLb1EES1J_IbLb0EEEEDaS1F_S1G_EUlS1F_E_NS1_11comp_targetILNS1_3genE10ELNS1_11target_archE1200ELNS1_3gpuE4ELNS1_3repE0EEENS1_30default_config_static_selectorELNS0_4arch9wavefront6targetE0EEEvT1_.numbered_sgpr, 0
	.set _ZN7rocprim17ROCPRIM_400000_NS6detail17trampoline_kernelINS0_14default_configENS1_25partition_config_selectorILNS1_17partition_subalgoE6ExNS0_10empty_typeEbEEZZNS1_14partition_implILS5_6ELb0ES3_mN6thrust23THRUST_200600_302600_NS6detail15normal_iteratorINSA_10device_ptrIxEEEEPS6_SG_NS0_5tupleIJSF_S6_EEENSH_IJSG_SG_EEES6_PlJNSB_9not_fun_tINSB_10functional5actorINSM_9compositeIJNSM_27transparent_binary_operatorINSA_8equal_toIvEEEENSN_INSM_8argumentILj0EEEEENSM_5valueIxEEEEEEEEEEEE10hipError_tPvRmT3_T4_T5_T6_T7_T9_mT8_P12ihipStream_tbDpT10_ENKUlT_T0_E_clISt17integral_constantIbLb1EES1J_IbLb0EEEEDaS1F_S1G_EUlS1F_E_NS1_11comp_targetILNS1_3genE10ELNS1_11target_archE1200ELNS1_3gpuE4ELNS1_3repE0EEENS1_30default_config_static_selectorELNS0_4arch9wavefront6targetE0EEEvT1_.num_named_barrier, 0
	.set _ZN7rocprim17ROCPRIM_400000_NS6detail17trampoline_kernelINS0_14default_configENS1_25partition_config_selectorILNS1_17partition_subalgoE6ExNS0_10empty_typeEbEEZZNS1_14partition_implILS5_6ELb0ES3_mN6thrust23THRUST_200600_302600_NS6detail15normal_iteratorINSA_10device_ptrIxEEEEPS6_SG_NS0_5tupleIJSF_S6_EEENSH_IJSG_SG_EEES6_PlJNSB_9not_fun_tINSB_10functional5actorINSM_9compositeIJNSM_27transparent_binary_operatorINSA_8equal_toIvEEEENSN_INSM_8argumentILj0EEEEENSM_5valueIxEEEEEEEEEEEE10hipError_tPvRmT3_T4_T5_T6_T7_T9_mT8_P12ihipStream_tbDpT10_ENKUlT_T0_E_clISt17integral_constantIbLb1EES1J_IbLb0EEEEDaS1F_S1G_EUlS1F_E_NS1_11comp_targetILNS1_3genE10ELNS1_11target_archE1200ELNS1_3gpuE4ELNS1_3repE0EEENS1_30default_config_static_selectorELNS0_4arch9wavefront6targetE0EEEvT1_.private_seg_size, 0
	.set _ZN7rocprim17ROCPRIM_400000_NS6detail17trampoline_kernelINS0_14default_configENS1_25partition_config_selectorILNS1_17partition_subalgoE6ExNS0_10empty_typeEbEEZZNS1_14partition_implILS5_6ELb0ES3_mN6thrust23THRUST_200600_302600_NS6detail15normal_iteratorINSA_10device_ptrIxEEEEPS6_SG_NS0_5tupleIJSF_S6_EEENSH_IJSG_SG_EEES6_PlJNSB_9not_fun_tINSB_10functional5actorINSM_9compositeIJNSM_27transparent_binary_operatorINSA_8equal_toIvEEEENSN_INSM_8argumentILj0EEEEENSM_5valueIxEEEEEEEEEEEE10hipError_tPvRmT3_T4_T5_T6_T7_T9_mT8_P12ihipStream_tbDpT10_ENKUlT_T0_E_clISt17integral_constantIbLb1EES1J_IbLb0EEEEDaS1F_S1G_EUlS1F_E_NS1_11comp_targetILNS1_3genE10ELNS1_11target_archE1200ELNS1_3gpuE4ELNS1_3repE0EEENS1_30default_config_static_selectorELNS0_4arch9wavefront6targetE0EEEvT1_.uses_vcc, 0
	.set _ZN7rocprim17ROCPRIM_400000_NS6detail17trampoline_kernelINS0_14default_configENS1_25partition_config_selectorILNS1_17partition_subalgoE6ExNS0_10empty_typeEbEEZZNS1_14partition_implILS5_6ELb0ES3_mN6thrust23THRUST_200600_302600_NS6detail15normal_iteratorINSA_10device_ptrIxEEEEPS6_SG_NS0_5tupleIJSF_S6_EEENSH_IJSG_SG_EEES6_PlJNSB_9not_fun_tINSB_10functional5actorINSM_9compositeIJNSM_27transparent_binary_operatorINSA_8equal_toIvEEEENSN_INSM_8argumentILj0EEEEENSM_5valueIxEEEEEEEEEEEE10hipError_tPvRmT3_T4_T5_T6_T7_T9_mT8_P12ihipStream_tbDpT10_ENKUlT_T0_E_clISt17integral_constantIbLb1EES1J_IbLb0EEEEDaS1F_S1G_EUlS1F_E_NS1_11comp_targetILNS1_3genE10ELNS1_11target_archE1200ELNS1_3gpuE4ELNS1_3repE0EEENS1_30default_config_static_selectorELNS0_4arch9wavefront6targetE0EEEvT1_.uses_flat_scratch, 0
	.set _ZN7rocprim17ROCPRIM_400000_NS6detail17trampoline_kernelINS0_14default_configENS1_25partition_config_selectorILNS1_17partition_subalgoE6ExNS0_10empty_typeEbEEZZNS1_14partition_implILS5_6ELb0ES3_mN6thrust23THRUST_200600_302600_NS6detail15normal_iteratorINSA_10device_ptrIxEEEEPS6_SG_NS0_5tupleIJSF_S6_EEENSH_IJSG_SG_EEES6_PlJNSB_9not_fun_tINSB_10functional5actorINSM_9compositeIJNSM_27transparent_binary_operatorINSA_8equal_toIvEEEENSN_INSM_8argumentILj0EEEEENSM_5valueIxEEEEEEEEEEEE10hipError_tPvRmT3_T4_T5_T6_T7_T9_mT8_P12ihipStream_tbDpT10_ENKUlT_T0_E_clISt17integral_constantIbLb1EES1J_IbLb0EEEEDaS1F_S1G_EUlS1F_E_NS1_11comp_targetILNS1_3genE10ELNS1_11target_archE1200ELNS1_3gpuE4ELNS1_3repE0EEENS1_30default_config_static_selectorELNS0_4arch9wavefront6targetE0EEEvT1_.has_dyn_sized_stack, 0
	.set _ZN7rocprim17ROCPRIM_400000_NS6detail17trampoline_kernelINS0_14default_configENS1_25partition_config_selectorILNS1_17partition_subalgoE6ExNS0_10empty_typeEbEEZZNS1_14partition_implILS5_6ELb0ES3_mN6thrust23THRUST_200600_302600_NS6detail15normal_iteratorINSA_10device_ptrIxEEEEPS6_SG_NS0_5tupleIJSF_S6_EEENSH_IJSG_SG_EEES6_PlJNSB_9not_fun_tINSB_10functional5actorINSM_9compositeIJNSM_27transparent_binary_operatorINSA_8equal_toIvEEEENSN_INSM_8argumentILj0EEEEENSM_5valueIxEEEEEEEEEEEE10hipError_tPvRmT3_T4_T5_T6_T7_T9_mT8_P12ihipStream_tbDpT10_ENKUlT_T0_E_clISt17integral_constantIbLb1EES1J_IbLb0EEEEDaS1F_S1G_EUlS1F_E_NS1_11comp_targetILNS1_3genE10ELNS1_11target_archE1200ELNS1_3gpuE4ELNS1_3repE0EEENS1_30default_config_static_selectorELNS0_4arch9wavefront6targetE0EEEvT1_.has_recursion, 0
	.set _ZN7rocprim17ROCPRIM_400000_NS6detail17trampoline_kernelINS0_14default_configENS1_25partition_config_selectorILNS1_17partition_subalgoE6ExNS0_10empty_typeEbEEZZNS1_14partition_implILS5_6ELb0ES3_mN6thrust23THRUST_200600_302600_NS6detail15normal_iteratorINSA_10device_ptrIxEEEEPS6_SG_NS0_5tupleIJSF_S6_EEENSH_IJSG_SG_EEES6_PlJNSB_9not_fun_tINSB_10functional5actorINSM_9compositeIJNSM_27transparent_binary_operatorINSA_8equal_toIvEEEENSN_INSM_8argumentILj0EEEEENSM_5valueIxEEEEEEEEEEEE10hipError_tPvRmT3_T4_T5_T6_T7_T9_mT8_P12ihipStream_tbDpT10_ENKUlT_T0_E_clISt17integral_constantIbLb1EES1J_IbLb0EEEEDaS1F_S1G_EUlS1F_E_NS1_11comp_targetILNS1_3genE10ELNS1_11target_archE1200ELNS1_3gpuE4ELNS1_3repE0EEENS1_30default_config_static_selectorELNS0_4arch9wavefront6targetE0EEEvT1_.has_indirect_call, 0
	.section	.AMDGPU.csdata,"",@progbits
; Kernel info:
; codeLenInByte = 4
; TotalNumSgprs: 0
; NumVgprs: 0
; ScratchSize: 0
; MemoryBound: 0
; FloatMode: 240
; IeeeMode: 1
; LDSByteSize: 0 bytes/workgroup (compile time only)
; SGPRBlocks: 0
; VGPRBlocks: 0
; NumSGPRsForWavesPerEU: 1
; NumVGPRsForWavesPerEU: 1
; Occupancy: 16
; WaveLimiterHint : 0
; COMPUTE_PGM_RSRC2:SCRATCH_EN: 0
; COMPUTE_PGM_RSRC2:USER_SGPR: 2
; COMPUTE_PGM_RSRC2:TRAP_HANDLER: 0
; COMPUTE_PGM_RSRC2:TGID_X_EN: 1
; COMPUTE_PGM_RSRC2:TGID_Y_EN: 0
; COMPUTE_PGM_RSRC2:TGID_Z_EN: 0
; COMPUTE_PGM_RSRC2:TIDIG_COMP_CNT: 0
	.section	.text._ZN7rocprim17ROCPRIM_400000_NS6detail17trampoline_kernelINS0_14default_configENS1_25partition_config_selectorILNS1_17partition_subalgoE6ExNS0_10empty_typeEbEEZZNS1_14partition_implILS5_6ELb0ES3_mN6thrust23THRUST_200600_302600_NS6detail15normal_iteratorINSA_10device_ptrIxEEEEPS6_SG_NS0_5tupleIJSF_S6_EEENSH_IJSG_SG_EEES6_PlJNSB_9not_fun_tINSB_10functional5actorINSM_9compositeIJNSM_27transparent_binary_operatorINSA_8equal_toIvEEEENSN_INSM_8argumentILj0EEEEENSM_5valueIxEEEEEEEEEEEE10hipError_tPvRmT3_T4_T5_T6_T7_T9_mT8_P12ihipStream_tbDpT10_ENKUlT_T0_E_clISt17integral_constantIbLb1EES1J_IbLb0EEEEDaS1F_S1G_EUlS1F_E_NS1_11comp_targetILNS1_3genE9ELNS1_11target_archE1100ELNS1_3gpuE3ELNS1_3repE0EEENS1_30default_config_static_selectorELNS0_4arch9wavefront6targetE0EEEvT1_,"axG",@progbits,_ZN7rocprim17ROCPRIM_400000_NS6detail17trampoline_kernelINS0_14default_configENS1_25partition_config_selectorILNS1_17partition_subalgoE6ExNS0_10empty_typeEbEEZZNS1_14partition_implILS5_6ELb0ES3_mN6thrust23THRUST_200600_302600_NS6detail15normal_iteratorINSA_10device_ptrIxEEEEPS6_SG_NS0_5tupleIJSF_S6_EEENSH_IJSG_SG_EEES6_PlJNSB_9not_fun_tINSB_10functional5actorINSM_9compositeIJNSM_27transparent_binary_operatorINSA_8equal_toIvEEEENSN_INSM_8argumentILj0EEEEENSM_5valueIxEEEEEEEEEEEE10hipError_tPvRmT3_T4_T5_T6_T7_T9_mT8_P12ihipStream_tbDpT10_ENKUlT_T0_E_clISt17integral_constantIbLb1EES1J_IbLb0EEEEDaS1F_S1G_EUlS1F_E_NS1_11comp_targetILNS1_3genE9ELNS1_11target_archE1100ELNS1_3gpuE3ELNS1_3repE0EEENS1_30default_config_static_selectorELNS0_4arch9wavefront6targetE0EEEvT1_,comdat
	.protected	_ZN7rocprim17ROCPRIM_400000_NS6detail17trampoline_kernelINS0_14default_configENS1_25partition_config_selectorILNS1_17partition_subalgoE6ExNS0_10empty_typeEbEEZZNS1_14partition_implILS5_6ELb0ES3_mN6thrust23THRUST_200600_302600_NS6detail15normal_iteratorINSA_10device_ptrIxEEEEPS6_SG_NS0_5tupleIJSF_S6_EEENSH_IJSG_SG_EEES6_PlJNSB_9not_fun_tINSB_10functional5actorINSM_9compositeIJNSM_27transparent_binary_operatorINSA_8equal_toIvEEEENSN_INSM_8argumentILj0EEEEENSM_5valueIxEEEEEEEEEEEE10hipError_tPvRmT3_T4_T5_T6_T7_T9_mT8_P12ihipStream_tbDpT10_ENKUlT_T0_E_clISt17integral_constantIbLb1EES1J_IbLb0EEEEDaS1F_S1G_EUlS1F_E_NS1_11comp_targetILNS1_3genE9ELNS1_11target_archE1100ELNS1_3gpuE3ELNS1_3repE0EEENS1_30default_config_static_selectorELNS0_4arch9wavefront6targetE0EEEvT1_ ; -- Begin function _ZN7rocprim17ROCPRIM_400000_NS6detail17trampoline_kernelINS0_14default_configENS1_25partition_config_selectorILNS1_17partition_subalgoE6ExNS0_10empty_typeEbEEZZNS1_14partition_implILS5_6ELb0ES3_mN6thrust23THRUST_200600_302600_NS6detail15normal_iteratorINSA_10device_ptrIxEEEEPS6_SG_NS0_5tupleIJSF_S6_EEENSH_IJSG_SG_EEES6_PlJNSB_9not_fun_tINSB_10functional5actorINSM_9compositeIJNSM_27transparent_binary_operatorINSA_8equal_toIvEEEENSN_INSM_8argumentILj0EEEEENSM_5valueIxEEEEEEEEEEEE10hipError_tPvRmT3_T4_T5_T6_T7_T9_mT8_P12ihipStream_tbDpT10_ENKUlT_T0_E_clISt17integral_constantIbLb1EES1J_IbLb0EEEEDaS1F_S1G_EUlS1F_E_NS1_11comp_targetILNS1_3genE9ELNS1_11target_archE1100ELNS1_3gpuE3ELNS1_3repE0EEENS1_30default_config_static_selectorELNS0_4arch9wavefront6targetE0EEEvT1_
	.globl	_ZN7rocprim17ROCPRIM_400000_NS6detail17trampoline_kernelINS0_14default_configENS1_25partition_config_selectorILNS1_17partition_subalgoE6ExNS0_10empty_typeEbEEZZNS1_14partition_implILS5_6ELb0ES3_mN6thrust23THRUST_200600_302600_NS6detail15normal_iteratorINSA_10device_ptrIxEEEEPS6_SG_NS0_5tupleIJSF_S6_EEENSH_IJSG_SG_EEES6_PlJNSB_9not_fun_tINSB_10functional5actorINSM_9compositeIJNSM_27transparent_binary_operatorINSA_8equal_toIvEEEENSN_INSM_8argumentILj0EEEEENSM_5valueIxEEEEEEEEEEEE10hipError_tPvRmT3_T4_T5_T6_T7_T9_mT8_P12ihipStream_tbDpT10_ENKUlT_T0_E_clISt17integral_constantIbLb1EES1J_IbLb0EEEEDaS1F_S1G_EUlS1F_E_NS1_11comp_targetILNS1_3genE9ELNS1_11target_archE1100ELNS1_3gpuE3ELNS1_3repE0EEENS1_30default_config_static_selectorELNS0_4arch9wavefront6targetE0EEEvT1_
	.p2align	8
	.type	_ZN7rocprim17ROCPRIM_400000_NS6detail17trampoline_kernelINS0_14default_configENS1_25partition_config_selectorILNS1_17partition_subalgoE6ExNS0_10empty_typeEbEEZZNS1_14partition_implILS5_6ELb0ES3_mN6thrust23THRUST_200600_302600_NS6detail15normal_iteratorINSA_10device_ptrIxEEEEPS6_SG_NS0_5tupleIJSF_S6_EEENSH_IJSG_SG_EEES6_PlJNSB_9not_fun_tINSB_10functional5actorINSM_9compositeIJNSM_27transparent_binary_operatorINSA_8equal_toIvEEEENSN_INSM_8argumentILj0EEEEENSM_5valueIxEEEEEEEEEEEE10hipError_tPvRmT3_T4_T5_T6_T7_T9_mT8_P12ihipStream_tbDpT10_ENKUlT_T0_E_clISt17integral_constantIbLb1EES1J_IbLb0EEEEDaS1F_S1G_EUlS1F_E_NS1_11comp_targetILNS1_3genE9ELNS1_11target_archE1100ELNS1_3gpuE3ELNS1_3repE0EEENS1_30default_config_static_selectorELNS0_4arch9wavefront6targetE0EEEvT1_,@function
_ZN7rocprim17ROCPRIM_400000_NS6detail17trampoline_kernelINS0_14default_configENS1_25partition_config_selectorILNS1_17partition_subalgoE6ExNS0_10empty_typeEbEEZZNS1_14partition_implILS5_6ELb0ES3_mN6thrust23THRUST_200600_302600_NS6detail15normal_iteratorINSA_10device_ptrIxEEEEPS6_SG_NS0_5tupleIJSF_S6_EEENSH_IJSG_SG_EEES6_PlJNSB_9not_fun_tINSB_10functional5actorINSM_9compositeIJNSM_27transparent_binary_operatorINSA_8equal_toIvEEEENSN_INSM_8argumentILj0EEEEENSM_5valueIxEEEEEEEEEEEE10hipError_tPvRmT3_T4_T5_T6_T7_T9_mT8_P12ihipStream_tbDpT10_ENKUlT_T0_E_clISt17integral_constantIbLb1EES1J_IbLb0EEEEDaS1F_S1G_EUlS1F_E_NS1_11comp_targetILNS1_3genE9ELNS1_11target_archE1100ELNS1_3gpuE3ELNS1_3repE0EEENS1_30default_config_static_selectorELNS0_4arch9wavefront6targetE0EEEvT1_: ; @_ZN7rocprim17ROCPRIM_400000_NS6detail17trampoline_kernelINS0_14default_configENS1_25partition_config_selectorILNS1_17partition_subalgoE6ExNS0_10empty_typeEbEEZZNS1_14partition_implILS5_6ELb0ES3_mN6thrust23THRUST_200600_302600_NS6detail15normal_iteratorINSA_10device_ptrIxEEEEPS6_SG_NS0_5tupleIJSF_S6_EEENSH_IJSG_SG_EEES6_PlJNSB_9not_fun_tINSB_10functional5actorINSM_9compositeIJNSM_27transparent_binary_operatorINSA_8equal_toIvEEEENSN_INSM_8argumentILj0EEEEENSM_5valueIxEEEEEEEEEEEE10hipError_tPvRmT3_T4_T5_T6_T7_T9_mT8_P12ihipStream_tbDpT10_ENKUlT_T0_E_clISt17integral_constantIbLb1EES1J_IbLb0EEEEDaS1F_S1G_EUlS1F_E_NS1_11comp_targetILNS1_3genE9ELNS1_11target_archE1100ELNS1_3gpuE3ELNS1_3repE0EEENS1_30default_config_static_selectorELNS0_4arch9wavefront6targetE0EEEvT1_
; %bb.0:
	.section	.rodata,"a",@progbits
	.p2align	6, 0x0
	.amdhsa_kernel _ZN7rocprim17ROCPRIM_400000_NS6detail17trampoline_kernelINS0_14default_configENS1_25partition_config_selectorILNS1_17partition_subalgoE6ExNS0_10empty_typeEbEEZZNS1_14partition_implILS5_6ELb0ES3_mN6thrust23THRUST_200600_302600_NS6detail15normal_iteratorINSA_10device_ptrIxEEEEPS6_SG_NS0_5tupleIJSF_S6_EEENSH_IJSG_SG_EEES6_PlJNSB_9not_fun_tINSB_10functional5actorINSM_9compositeIJNSM_27transparent_binary_operatorINSA_8equal_toIvEEEENSN_INSM_8argumentILj0EEEEENSM_5valueIxEEEEEEEEEEEE10hipError_tPvRmT3_T4_T5_T6_T7_T9_mT8_P12ihipStream_tbDpT10_ENKUlT_T0_E_clISt17integral_constantIbLb1EES1J_IbLb0EEEEDaS1F_S1G_EUlS1F_E_NS1_11comp_targetILNS1_3genE9ELNS1_11target_archE1100ELNS1_3gpuE3ELNS1_3repE0EEENS1_30default_config_static_selectorELNS0_4arch9wavefront6targetE0EEEvT1_
		.amdhsa_group_segment_fixed_size 0
		.amdhsa_private_segment_fixed_size 0
		.amdhsa_kernarg_size 128
		.amdhsa_user_sgpr_count 2
		.amdhsa_user_sgpr_dispatch_ptr 0
		.amdhsa_user_sgpr_queue_ptr 0
		.amdhsa_user_sgpr_kernarg_segment_ptr 1
		.amdhsa_user_sgpr_dispatch_id 0
		.amdhsa_user_sgpr_private_segment_size 0
		.amdhsa_wavefront_size32 1
		.amdhsa_uses_dynamic_stack 0
		.amdhsa_enable_private_segment 0
		.amdhsa_system_sgpr_workgroup_id_x 1
		.amdhsa_system_sgpr_workgroup_id_y 0
		.amdhsa_system_sgpr_workgroup_id_z 0
		.amdhsa_system_sgpr_workgroup_info 0
		.amdhsa_system_vgpr_workitem_id 0
		.amdhsa_next_free_vgpr 1
		.amdhsa_next_free_sgpr 1
		.amdhsa_reserve_vcc 0
		.amdhsa_float_round_mode_32 0
		.amdhsa_float_round_mode_16_64 0
		.amdhsa_float_denorm_mode_32 3
		.amdhsa_float_denorm_mode_16_64 3
		.amdhsa_fp16_overflow 0
		.amdhsa_workgroup_processor_mode 1
		.amdhsa_memory_ordered 1
		.amdhsa_forward_progress 1
		.amdhsa_inst_pref_size 0
		.amdhsa_round_robin_scheduling 0
		.amdhsa_exception_fp_ieee_invalid_op 0
		.amdhsa_exception_fp_denorm_src 0
		.amdhsa_exception_fp_ieee_div_zero 0
		.amdhsa_exception_fp_ieee_overflow 0
		.amdhsa_exception_fp_ieee_underflow 0
		.amdhsa_exception_fp_ieee_inexact 0
		.amdhsa_exception_int_div_zero 0
	.end_amdhsa_kernel
	.section	.text._ZN7rocprim17ROCPRIM_400000_NS6detail17trampoline_kernelINS0_14default_configENS1_25partition_config_selectorILNS1_17partition_subalgoE6ExNS0_10empty_typeEbEEZZNS1_14partition_implILS5_6ELb0ES3_mN6thrust23THRUST_200600_302600_NS6detail15normal_iteratorINSA_10device_ptrIxEEEEPS6_SG_NS0_5tupleIJSF_S6_EEENSH_IJSG_SG_EEES6_PlJNSB_9not_fun_tINSB_10functional5actorINSM_9compositeIJNSM_27transparent_binary_operatorINSA_8equal_toIvEEEENSN_INSM_8argumentILj0EEEEENSM_5valueIxEEEEEEEEEEEE10hipError_tPvRmT3_T4_T5_T6_T7_T9_mT8_P12ihipStream_tbDpT10_ENKUlT_T0_E_clISt17integral_constantIbLb1EES1J_IbLb0EEEEDaS1F_S1G_EUlS1F_E_NS1_11comp_targetILNS1_3genE9ELNS1_11target_archE1100ELNS1_3gpuE3ELNS1_3repE0EEENS1_30default_config_static_selectorELNS0_4arch9wavefront6targetE0EEEvT1_,"axG",@progbits,_ZN7rocprim17ROCPRIM_400000_NS6detail17trampoline_kernelINS0_14default_configENS1_25partition_config_selectorILNS1_17partition_subalgoE6ExNS0_10empty_typeEbEEZZNS1_14partition_implILS5_6ELb0ES3_mN6thrust23THRUST_200600_302600_NS6detail15normal_iteratorINSA_10device_ptrIxEEEEPS6_SG_NS0_5tupleIJSF_S6_EEENSH_IJSG_SG_EEES6_PlJNSB_9not_fun_tINSB_10functional5actorINSM_9compositeIJNSM_27transparent_binary_operatorINSA_8equal_toIvEEEENSN_INSM_8argumentILj0EEEEENSM_5valueIxEEEEEEEEEEEE10hipError_tPvRmT3_T4_T5_T6_T7_T9_mT8_P12ihipStream_tbDpT10_ENKUlT_T0_E_clISt17integral_constantIbLb1EES1J_IbLb0EEEEDaS1F_S1G_EUlS1F_E_NS1_11comp_targetILNS1_3genE9ELNS1_11target_archE1100ELNS1_3gpuE3ELNS1_3repE0EEENS1_30default_config_static_selectorELNS0_4arch9wavefront6targetE0EEEvT1_,comdat
.Lfunc_end201:
	.size	_ZN7rocprim17ROCPRIM_400000_NS6detail17trampoline_kernelINS0_14default_configENS1_25partition_config_selectorILNS1_17partition_subalgoE6ExNS0_10empty_typeEbEEZZNS1_14partition_implILS5_6ELb0ES3_mN6thrust23THRUST_200600_302600_NS6detail15normal_iteratorINSA_10device_ptrIxEEEEPS6_SG_NS0_5tupleIJSF_S6_EEENSH_IJSG_SG_EEES6_PlJNSB_9not_fun_tINSB_10functional5actorINSM_9compositeIJNSM_27transparent_binary_operatorINSA_8equal_toIvEEEENSN_INSM_8argumentILj0EEEEENSM_5valueIxEEEEEEEEEEEE10hipError_tPvRmT3_T4_T5_T6_T7_T9_mT8_P12ihipStream_tbDpT10_ENKUlT_T0_E_clISt17integral_constantIbLb1EES1J_IbLb0EEEEDaS1F_S1G_EUlS1F_E_NS1_11comp_targetILNS1_3genE9ELNS1_11target_archE1100ELNS1_3gpuE3ELNS1_3repE0EEENS1_30default_config_static_selectorELNS0_4arch9wavefront6targetE0EEEvT1_, .Lfunc_end201-_ZN7rocprim17ROCPRIM_400000_NS6detail17trampoline_kernelINS0_14default_configENS1_25partition_config_selectorILNS1_17partition_subalgoE6ExNS0_10empty_typeEbEEZZNS1_14partition_implILS5_6ELb0ES3_mN6thrust23THRUST_200600_302600_NS6detail15normal_iteratorINSA_10device_ptrIxEEEEPS6_SG_NS0_5tupleIJSF_S6_EEENSH_IJSG_SG_EEES6_PlJNSB_9not_fun_tINSB_10functional5actorINSM_9compositeIJNSM_27transparent_binary_operatorINSA_8equal_toIvEEEENSN_INSM_8argumentILj0EEEEENSM_5valueIxEEEEEEEEEEEE10hipError_tPvRmT3_T4_T5_T6_T7_T9_mT8_P12ihipStream_tbDpT10_ENKUlT_T0_E_clISt17integral_constantIbLb1EES1J_IbLb0EEEEDaS1F_S1G_EUlS1F_E_NS1_11comp_targetILNS1_3genE9ELNS1_11target_archE1100ELNS1_3gpuE3ELNS1_3repE0EEENS1_30default_config_static_selectorELNS0_4arch9wavefront6targetE0EEEvT1_
                                        ; -- End function
	.set _ZN7rocprim17ROCPRIM_400000_NS6detail17trampoline_kernelINS0_14default_configENS1_25partition_config_selectorILNS1_17partition_subalgoE6ExNS0_10empty_typeEbEEZZNS1_14partition_implILS5_6ELb0ES3_mN6thrust23THRUST_200600_302600_NS6detail15normal_iteratorINSA_10device_ptrIxEEEEPS6_SG_NS0_5tupleIJSF_S6_EEENSH_IJSG_SG_EEES6_PlJNSB_9not_fun_tINSB_10functional5actorINSM_9compositeIJNSM_27transparent_binary_operatorINSA_8equal_toIvEEEENSN_INSM_8argumentILj0EEEEENSM_5valueIxEEEEEEEEEEEE10hipError_tPvRmT3_T4_T5_T6_T7_T9_mT8_P12ihipStream_tbDpT10_ENKUlT_T0_E_clISt17integral_constantIbLb1EES1J_IbLb0EEEEDaS1F_S1G_EUlS1F_E_NS1_11comp_targetILNS1_3genE9ELNS1_11target_archE1100ELNS1_3gpuE3ELNS1_3repE0EEENS1_30default_config_static_selectorELNS0_4arch9wavefront6targetE0EEEvT1_.num_vgpr, 0
	.set _ZN7rocprim17ROCPRIM_400000_NS6detail17trampoline_kernelINS0_14default_configENS1_25partition_config_selectorILNS1_17partition_subalgoE6ExNS0_10empty_typeEbEEZZNS1_14partition_implILS5_6ELb0ES3_mN6thrust23THRUST_200600_302600_NS6detail15normal_iteratorINSA_10device_ptrIxEEEEPS6_SG_NS0_5tupleIJSF_S6_EEENSH_IJSG_SG_EEES6_PlJNSB_9not_fun_tINSB_10functional5actorINSM_9compositeIJNSM_27transparent_binary_operatorINSA_8equal_toIvEEEENSN_INSM_8argumentILj0EEEEENSM_5valueIxEEEEEEEEEEEE10hipError_tPvRmT3_T4_T5_T6_T7_T9_mT8_P12ihipStream_tbDpT10_ENKUlT_T0_E_clISt17integral_constantIbLb1EES1J_IbLb0EEEEDaS1F_S1G_EUlS1F_E_NS1_11comp_targetILNS1_3genE9ELNS1_11target_archE1100ELNS1_3gpuE3ELNS1_3repE0EEENS1_30default_config_static_selectorELNS0_4arch9wavefront6targetE0EEEvT1_.num_agpr, 0
	.set _ZN7rocprim17ROCPRIM_400000_NS6detail17trampoline_kernelINS0_14default_configENS1_25partition_config_selectorILNS1_17partition_subalgoE6ExNS0_10empty_typeEbEEZZNS1_14partition_implILS5_6ELb0ES3_mN6thrust23THRUST_200600_302600_NS6detail15normal_iteratorINSA_10device_ptrIxEEEEPS6_SG_NS0_5tupleIJSF_S6_EEENSH_IJSG_SG_EEES6_PlJNSB_9not_fun_tINSB_10functional5actorINSM_9compositeIJNSM_27transparent_binary_operatorINSA_8equal_toIvEEEENSN_INSM_8argumentILj0EEEEENSM_5valueIxEEEEEEEEEEEE10hipError_tPvRmT3_T4_T5_T6_T7_T9_mT8_P12ihipStream_tbDpT10_ENKUlT_T0_E_clISt17integral_constantIbLb1EES1J_IbLb0EEEEDaS1F_S1G_EUlS1F_E_NS1_11comp_targetILNS1_3genE9ELNS1_11target_archE1100ELNS1_3gpuE3ELNS1_3repE0EEENS1_30default_config_static_selectorELNS0_4arch9wavefront6targetE0EEEvT1_.numbered_sgpr, 0
	.set _ZN7rocprim17ROCPRIM_400000_NS6detail17trampoline_kernelINS0_14default_configENS1_25partition_config_selectorILNS1_17partition_subalgoE6ExNS0_10empty_typeEbEEZZNS1_14partition_implILS5_6ELb0ES3_mN6thrust23THRUST_200600_302600_NS6detail15normal_iteratorINSA_10device_ptrIxEEEEPS6_SG_NS0_5tupleIJSF_S6_EEENSH_IJSG_SG_EEES6_PlJNSB_9not_fun_tINSB_10functional5actorINSM_9compositeIJNSM_27transparent_binary_operatorINSA_8equal_toIvEEEENSN_INSM_8argumentILj0EEEEENSM_5valueIxEEEEEEEEEEEE10hipError_tPvRmT3_T4_T5_T6_T7_T9_mT8_P12ihipStream_tbDpT10_ENKUlT_T0_E_clISt17integral_constantIbLb1EES1J_IbLb0EEEEDaS1F_S1G_EUlS1F_E_NS1_11comp_targetILNS1_3genE9ELNS1_11target_archE1100ELNS1_3gpuE3ELNS1_3repE0EEENS1_30default_config_static_selectorELNS0_4arch9wavefront6targetE0EEEvT1_.num_named_barrier, 0
	.set _ZN7rocprim17ROCPRIM_400000_NS6detail17trampoline_kernelINS0_14default_configENS1_25partition_config_selectorILNS1_17partition_subalgoE6ExNS0_10empty_typeEbEEZZNS1_14partition_implILS5_6ELb0ES3_mN6thrust23THRUST_200600_302600_NS6detail15normal_iteratorINSA_10device_ptrIxEEEEPS6_SG_NS0_5tupleIJSF_S6_EEENSH_IJSG_SG_EEES6_PlJNSB_9not_fun_tINSB_10functional5actorINSM_9compositeIJNSM_27transparent_binary_operatorINSA_8equal_toIvEEEENSN_INSM_8argumentILj0EEEEENSM_5valueIxEEEEEEEEEEEE10hipError_tPvRmT3_T4_T5_T6_T7_T9_mT8_P12ihipStream_tbDpT10_ENKUlT_T0_E_clISt17integral_constantIbLb1EES1J_IbLb0EEEEDaS1F_S1G_EUlS1F_E_NS1_11comp_targetILNS1_3genE9ELNS1_11target_archE1100ELNS1_3gpuE3ELNS1_3repE0EEENS1_30default_config_static_selectorELNS0_4arch9wavefront6targetE0EEEvT1_.private_seg_size, 0
	.set _ZN7rocprim17ROCPRIM_400000_NS6detail17trampoline_kernelINS0_14default_configENS1_25partition_config_selectorILNS1_17partition_subalgoE6ExNS0_10empty_typeEbEEZZNS1_14partition_implILS5_6ELb0ES3_mN6thrust23THRUST_200600_302600_NS6detail15normal_iteratorINSA_10device_ptrIxEEEEPS6_SG_NS0_5tupleIJSF_S6_EEENSH_IJSG_SG_EEES6_PlJNSB_9not_fun_tINSB_10functional5actorINSM_9compositeIJNSM_27transparent_binary_operatorINSA_8equal_toIvEEEENSN_INSM_8argumentILj0EEEEENSM_5valueIxEEEEEEEEEEEE10hipError_tPvRmT3_T4_T5_T6_T7_T9_mT8_P12ihipStream_tbDpT10_ENKUlT_T0_E_clISt17integral_constantIbLb1EES1J_IbLb0EEEEDaS1F_S1G_EUlS1F_E_NS1_11comp_targetILNS1_3genE9ELNS1_11target_archE1100ELNS1_3gpuE3ELNS1_3repE0EEENS1_30default_config_static_selectorELNS0_4arch9wavefront6targetE0EEEvT1_.uses_vcc, 0
	.set _ZN7rocprim17ROCPRIM_400000_NS6detail17trampoline_kernelINS0_14default_configENS1_25partition_config_selectorILNS1_17partition_subalgoE6ExNS0_10empty_typeEbEEZZNS1_14partition_implILS5_6ELb0ES3_mN6thrust23THRUST_200600_302600_NS6detail15normal_iteratorINSA_10device_ptrIxEEEEPS6_SG_NS0_5tupleIJSF_S6_EEENSH_IJSG_SG_EEES6_PlJNSB_9not_fun_tINSB_10functional5actorINSM_9compositeIJNSM_27transparent_binary_operatorINSA_8equal_toIvEEEENSN_INSM_8argumentILj0EEEEENSM_5valueIxEEEEEEEEEEEE10hipError_tPvRmT3_T4_T5_T6_T7_T9_mT8_P12ihipStream_tbDpT10_ENKUlT_T0_E_clISt17integral_constantIbLb1EES1J_IbLb0EEEEDaS1F_S1G_EUlS1F_E_NS1_11comp_targetILNS1_3genE9ELNS1_11target_archE1100ELNS1_3gpuE3ELNS1_3repE0EEENS1_30default_config_static_selectorELNS0_4arch9wavefront6targetE0EEEvT1_.uses_flat_scratch, 0
	.set _ZN7rocprim17ROCPRIM_400000_NS6detail17trampoline_kernelINS0_14default_configENS1_25partition_config_selectorILNS1_17partition_subalgoE6ExNS0_10empty_typeEbEEZZNS1_14partition_implILS5_6ELb0ES3_mN6thrust23THRUST_200600_302600_NS6detail15normal_iteratorINSA_10device_ptrIxEEEEPS6_SG_NS0_5tupleIJSF_S6_EEENSH_IJSG_SG_EEES6_PlJNSB_9not_fun_tINSB_10functional5actorINSM_9compositeIJNSM_27transparent_binary_operatorINSA_8equal_toIvEEEENSN_INSM_8argumentILj0EEEEENSM_5valueIxEEEEEEEEEEEE10hipError_tPvRmT3_T4_T5_T6_T7_T9_mT8_P12ihipStream_tbDpT10_ENKUlT_T0_E_clISt17integral_constantIbLb1EES1J_IbLb0EEEEDaS1F_S1G_EUlS1F_E_NS1_11comp_targetILNS1_3genE9ELNS1_11target_archE1100ELNS1_3gpuE3ELNS1_3repE0EEENS1_30default_config_static_selectorELNS0_4arch9wavefront6targetE0EEEvT1_.has_dyn_sized_stack, 0
	.set _ZN7rocprim17ROCPRIM_400000_NS6detail17trampoline_kernelINS0_14default_configENS1_25partition_config_selectorILNS1_17partition_subalgoE6ExNS0_10empty_typeEbEEZZNS1_14partition_implILS5_6ELb0ES3_mN6thrust23THRUST_200600_302600_NS6detail15normal_iteratorINSA_10device_ptrIxEEEEPS6_SG_NS0_5tupleIJSF_S6_EEENSH_IJSG_SG_EEES6_PlJNSB_9not_fun_tINSB_10functional5actorINSM_9compositeIJNSM_27transparent_binary_operatorINSA_8equal_toIvEEEENSN_INSM_8argumentILj0EEEEENSM_5valueIxEEEEEEEEEEEE10hipError_tPvRmT3_T4_T5_T6_T7_T9_mT8_P12ihipStream_tbDpT10_ENKUlT_T0_E_clISt17integral_constantIbLb1EES1J_IbLb0EEEEDaS1F_S1G_EUlS1F_E_NS1_11comp_targetILNS1_3genE9ELNS1_11target_archE1100ELNS1_3gpuE3ELNS1_3repE0EEENS1_30default_config_static_selectorELNS0_4arch9wavefront6targetE0EEEvT1_.has_recursion, 0
	.set _ZN7rocprim17ROCPRIM_400000_NS6detail17trampoline_kernelINS0_14default_configENS1_25partition_config_selectorILNS1_17partition_subalgoE6ExNS0_10empty_typeEbEEZZNS1_14partition_implILS5_6ELb0ES3_mN6thrust23THRUST_200600_302600_NS6detail15normal_iteratorINSA_10device_ptrIxEEEEPS6_SG_NS0_5tupleIJSF_S6_EEENSH_IJSG_SG_EEES6_PlJNSB_9not_fun_tINSB_10functional5actorINSM_9compositeIJNSM_27transparent_binary_operatorINSA_8equal_toIvEEEENSN_INSM_8argumentILj0EEEEENSM_5valueIxEEEEEEEEEEEE10hipError_tPvRmT3_T4_T5_T6_T7_T9_mT8_P12ihipStream_tbDpT10_ENKUlT_T0_E_clISt17integral_constantIbLb1EES1J_IbLb0EEEEDaS1F_S1G_EUlS1F_E_NS1_11comp_targetILNS1_3genE9ELNS1_11target_archE1100ELNS1_3gpuE3ELNS1_3repE0EEENS1_30default_config_static_selectorELNS0_4arch9wavefront6targetE0EEEvT1_.has_indirect_call, 0
	.section	.AMDGPU.csdata,"",@progbits
; Kernel info:
; codeLenInByte = 0
; TotalNumSgprs: 0
; NumVgprs: 0
; ScratchSize: 0
; MemoryBound: 0
; FloatMode: 240
; IeeeMode: 1
; LDSByteSize: 0 bytes/workgroup (compile time only)
; SGPRBlocks: 0
; VGPRBlocks: 0
; NumSGPRsForWavesPerEU: 1
; NumVGPRsForWavesPerEU: 1
; Occupancy: 16
; WaveLimiterHint : 0
; COMPUTE_PGM_RSRC2:SCRATCH_EN: 0
; COMPUTE_PGM_RSRC2:USER_SGPR: 2
; COMPUTE_PGM_RSRC2:TRAP_HANDLER: 0
; COMPUTE_PGM_RSRC2:TGID_X_EN: 1
; COMPUTE_PGM_RSRC2:TGID_Y_EN: 0
; COMPUTE_PGM_RSRC2:TGID_Z_EN: 0
; COMPUTE_PGM_RSRC2:TIDIG_COMP_CNT: 0
	.section	.text._ZN7rocprim17ROCPRIM_400000_NS6detail17trampoline_kernelINS0_14default_configENS1_25partition_config_selectorILNS1_17partition_subalgoE6ExNS0_10empty_typeEbEEZZNS1_14partition_implILS5_6ELb0ES3_mN6thrust23THRUST_200600_302600_NS6detail15normal_iteratorINSA_10device_ptrIxEEEEPS6_SG_NS0_5tupleIJSF_S6_EEENSH_IJSG_SG_EEES6_PlJNSB_9not_fun_tINSB_10functional5actorINSM_9compositeIJNSM_27transparent_binary_operatorINSA_8equal_toIvEEEENSN_INSM_8argumentILj0EEEEENSM_5valueIxEEEEEEEEEEEE10hipError_tPvRmT3_T4_T5_T6_T7_T9_mT8_P12ihipStream_tbDpT10_ENKUlT_T0_E_clISt17integral_constantIbLb1EES1J_IbLb0EEEEDaS1F_S1G_EUlS1F_E_NS1_11comp_targetILNS1_3genE8ELNS1_11target_archE1030ELNS1_3gpuE2ELNS1_3repE0EEENS1_30default_config_static_selectorELNS0_4arch9wavefront6targetE0EEEvT1_,"axG",@progbits,_ZN7rocprim17ROCPRIM_400000_NS6detail17trampoline_kernelINS0_14default_configENS1_25partition_config_selectorILNS1_17partition_subalgoE6ExNS0_10empty_typeEbEEZZNS1_14partition_implILS5_6ELb0ES3_mN6thrust23THRUST_200600_302600_NS6detail15normal_iteratorINSA_10device_ptrIxEEEEPS6_SG_NS0_5tupleIJSF_S6_EEENSH_IJSG_SG_EEES6_PlJNSB_9not_fun_tINSB_10functional5actorINSM_9compositeIJNSM_27transparent_binary_operatorINSA_8equal_toIvEEEENSN_INSM_8argumentILj0EEEEENSM_5valueIxEEEEEEEEEEEE10hipError_tPvRmT3_T4_T5_T6_T7_T9_mT8_P12ihipStream_tbDpT10_ENKUlT_T0_E_clISt17integral_constantIbLb1EES1J_IbLb0EEEEDaS1F_S1G_EUlS1F_E_NS1_11comp_targetILNS1_3genE8ELNS1_11target_archE1030ELNS1_3gpuE2ELNS1_3repE0EEENS1_30default_config_static_selectorELNS0_4arch9wavefront6targetE0EEEvT1_,comdat
	.protected	_ZN7rocprim17ROCPRIM_400000_NS6detail17trampoline_kernelINS0_14default_configENS1_25partition_config_selectorILNS1_17partition_subalgoE6ExNS0_10empty_typeEbEEZZNS1_14partition_implILS5_6ELb0ES3_mN6thrust23THRUST_200600_302600_NS6detail15normal_iteratorINSA_10device_ptrIxEEEEPS6_SG_NS0_5tupleIJSF_S6_EEENSH_IJSG_SG_EEES6_PlJNSB_9not_fun_tINSB_10functional5actorINSM_9compositeIJNSM_27transparent_binary_operatorINSA_8equal_toIvEEEENSN_INSM_8argumentILj0EEEEENSM_5valueIxEEEEEEEEEEEE10hipError_tPvRmT3_T4_T5_T6_T7_T9_mT8_P12ihipStream_tbDpT10_ENKUlT_T0_E_clISt17integral_constantIbLb1EES1J_IbLb0EEEEDaS1F_S1G_EUlS1F_E_NS1_11comp_targetILNS1_3genE8ELNS1_11target_archE1030ELNS1_3gpuE2ELNS1_3repE0EEENS1_30default_config_static_selectorELNS0_4arch9wavefront6targetE0EEEvT1_ ; -- Begin function _ZN7rocprim17ROCPRIM_400000_NS6detail17trampoline_kernelINS0_14default_configENS1_25partition_config_selectorILNS1_17partition_subalgoE6ExNS0_10empty_typeEbEEZZNS1_14partition_implILS5_6ELb0ES3_mN6thrust23THRUST_200600_302600_NS6detail15normal_iteratorINSA_10device_ptrIxEEEEPS6_SG_NS0_5tupleIJSF_S6_EEENSH_IJSG_SG_EEES6_PlJNSB_9not_fun_tINSB_10functional5actorINSM_9compositeIJNSM_27transparent_binary_operatorINSA_8equal_toIvEEEENSN_INSM_8argumentILj0EEEEENSM_5valueIxEEEEEEEEEEEE10hipError_tPvRmT3_T4_T5_T6_T7_T9_mT8_P12ihipStream_tbDpT10_ENKUlT_T0_E_clISt17integral_constantIbLb1EES1J_IbLb0EEEEDaS1F_S1G_EUlS1F_E_NS1_11comp_targetILNS1_3genE8ELNS1_11target_archE1030ELNS1_3gpuE2ELNS1_3repE0EEENS1_30default_config_static_selectorELNS0_4arch9wavefront6targetE0EEEvT1_
	.globl	_ZN7rocprim17ROCPRIM_400000_NS6detail17trampoline_kernelINS0_14default_configENS1_25partition_config_selectorILNS1_17partition_subalgoE6ExNS0_10empty_typeEbEEZZNS1_14partition_implILS5_6ELb0ES3_mN6thrust23THRUST_200600_302600_NS6detail15normal_iteratorINSA_10device_ptrIxEEEEPS6_SG_NS0_5tupleIJSF_S6_EEENSH_IJSG_SG_EEES6_PlJNSB_9not_fun_tINSB_10functional5actorINSM_9compositeIJNSM_27transparent_binary_operatorINSA_8equal_toIvEEEENSN_INSM_8argumentILj0EEEEENSM_5valueIxEEEEEEEEEEEE10hipError_tPvRmT3_T4_T5_T6_T7_T9_mT8_P12ihipStream_tbDpT10_ENKUlT_T0_E_clISt17integral_constantIbLb1EES1J_IbLb0EEEEDaS1F_S1G_EUlS1F_E_NS1_11comp_targetILNS1_3genE8ELNS1_11target_archE1030ELNS1_3gpuE2ELNS1_3repE0EEENS1_30default_config_static_selectorELNS0_4arch9wavefront6targetE0EEEvT1_
	.p2align	8
	.type	_ZN7rocprim17ROCPRIM_400000_NS6detail17trampoline_kernelINS0_14default_configENS1_25partition_config_selectorILNS1_17partition_subalgoE6ExNS0_10empty_typeEbEEZZNS1_14partition_implILS5_6ELb0ES3_mN6thrust23THRUST_200600_302600_NS6detail15normal_iteratorINSA_10device_ptrIxEEEEPS6_SG_NS0_5tupleIJSF_S6_EEENSH_IJSG_SG_EEES6_PlJNSB_9not_fun_tINSB_10functional5actorINSM_9compositeIJNSM_27transparent_binary_operatorINSA_8equal_toIvEEEENSN_INSM_8argumentILj0EEEEENSM_5valueIxEEEEEEEEEEEE10hipError_tPvRmT3_T4_T5_T6_T7_T9_mT8_P12ihipStream_tbDpT10_ENKUlT_T0_E_clISt17integral_constantIbLb1EES1J_IbLb0EEEEDaS1F_S1G_EUlS1F_E_NS1_11comp_targetILNS1_3genE8ELNS1_11target_archE1030ELNS1_3gpuE2ELNS1_3repE0EEENS1_30default_config_static_selectorELNS0_4arch9wavefront6targetE0EEEvT1_,@function
_ZN7rocprim17ROCPRIM_400000_NS6detail17trampoline_kernelINS0_14default_configENS1_25partition_config_selectorILNS1_17partition_subalgoE6ExNS0_10empty_typeEbEEZZNS1_14partition_implILS5_6ELb0ES3_mN6thrust23THRUST_200600_302600_NS6detail15normal_iteratorINSA_10device_ptrIxEEEEPS6_SG_NS0_5tupleIJSF_S6_EEENSH_IJSG_SG_EEES6_PlJNSB_9not_fun_tINSB_10functional5actorINSM_9compositeIJNSM_27transparent_binary_operatorINSA_8equal_toIvEEEENSN_INSM_8argumentILj0EEEEENSM_5valueIxEEEEEEEEEEEE10hipError_tPvRmT3_T4_T5_T6_T7_T9_mT8_P12ihipStream_tbDpT10_ENKUlT_T0_E_clISt17integral_constantIbLb1EES1J_IbLb0EEEEDaS1F_S1G_EUlS1F_E_NS1_11comp_targetILNS1_3genE8ELNS1_11target_archE1030ELNS1_3gpuE2ELNS1_3repE0EEENS1_30default_config_static_selectorELNS0_4arch9wavefront6targetE0EEEvT1_: ; @_ZN7rocprim17ROCPRIM_400000_NS6detail17trampoline_kernelINS0_14default_configENS1_25partition_config_selectorILNS1_17partition_subalgoE6ExNS0_10empty_typeEbEEZZNS1_14partition_implILS5_6ELb0ES3_mN6thrust23THRUST_200600_302600_NS6detail15normal_iteratorINSA_10device_ptrIxEEEEPS6_SG_NS0_5tupleIJSF_S6_EEENSH_IJSG_SG_EEES6_PlJNSB_9not_fun_tINSB_10functional5actorINSM_9compositeIJNSM_27transparent_binary_operatorINSA_8equal_toIvEEEENSN_INSM_8argumentILj0EEEEENSM_5valueIxEEEEEEEEEEEE10hipError_tPvRmT3_T4_T5_T6_T7_T9_mT8_P12ihipStream_tbDpT10_ENKUlT_T0_E_clISt17integral_constantIbLb1EES1J_IbLb0EEEEDaS1F_S1G_EUlS1F_E_NS1_11comp_targetILNS1_3genE8ELNS1_11target_archE1030ELNS1_3gpuE2ELNS1_3repE0EEENS1_30default_config_static_selectorELNS0_4arch9wavefront6targetE0EEEvT1_
; %bb.0:
	.section	.rodata,"a",@progbits
	.p2align	6, 0x0
	.amdhsa_kernel _ZN7rocprim17ROCPRIM_400000_NS6detail17trampoline_kernelINS0_14default_configENS1_25partition_config_selectorILNS1_17partition_subalgoE6ExNS0_10empty_typeEbEEZZNS1_14partition_implILS5_6ELb0ES3_mN6thrust23THRUST_200600_302600_NS6detail15normal_iteratorINSA_10device_ptrIxEEEEPS6_SG_NS0_5tupleIJSF_S6_EEENSH_IJSG_SG_EEES6_PlJNSB_9not_fun_tINSB_10functional5actorINSM_9compositeIJNSM_27transparent_binary_operatorINSA_8equal_toIvEEEENSN_INSM_8argumentILj0EEEEENSM_5valueIxEEEEEEEEEEEE10hipError_tPvRmT3_T4_T5_T6_T7_T9_mT8_P12ihipStream_tbDpT10_ENKUlT_T0_E_clISt17integral_constantIbLb1EES1J_IbLb0EEEEDaS1F_S1G_EUlS1F_E_NS1_11comp_targetILNS1_3genE8ELNS1_11target_archE1030ELNS1_3gpuE2ELNS1_3repE0EEENS1_30default_config_static_selectorELNS0_4arch9wavefront6targetE0EEEvT1_
		.amdhsa_group_segment_fixed_size 0
		.amdhsa_private_segment_fixed_size 0
		.amdhsa_kernarg_size 128
		.amdhsa_user_sgpr_count 2
		.amdhsa_user_sgpr_dispatch_ptr 0
		.amdhsa_user_sgpr_queue_ptr 0
		.amdhsa_user_sgpr_kernarg_segment_ptr 1
		.amdhsa_user_sgpr_dispatch_id 0
		.amdhsa_user_sgpr_private_segment_size 0
		.amdhsa_wavefront_size32 1
		.amdhsa_uses_dynamic_stack 0
		.amdhsa_enable_private_segment 0
		.amdhsa_system_sgpr_workgroup_id_x 1
		.amdhsa_system_sgpr_workgroup_id_y 0
		.amdhsa_system_sgpr_workgroup_id_z 0
		.amdhsa_system_sgpr_workgroup_info 0
		.amdhsa_system_vgpr_workitem_id 0
		.amdhsa_next_free_vgpr 1
		.amdhsa_next_free_sgpr 1
		.amdhsa_reserve_vcc 0
		.amdhsa_float_round_mode_32 0
		.amdhsa_float_round_mode_16_64 0
		.amdhsa_float_denorm_mode_32 3
		.amdhsa_float_denorm_mode_16_64 3
		.amdhsa_fp16_overflow 0
		.amdhsa_workgroup_processor_mode 1
		.amdhsa_memory_ordered 1
		.amdhsa_forward_progress 1
		.amdhsa_inst_pref_size 0
		.amdhsa_round_robin_scheduling 0
		.amdhsa_exception_fp_ieee_invalid_op 0
		.amdhsa_exception_fp_denorm_src 0
		.amdhsa_exception_fp_ieee_div_zero 0
		.amdhsa_exception_fp_ieee_overflow 0
		.amdhsa_exception_fp_ieee_underflow 0
		.amdhsa_exception_fp_ieee_inexact 0
		.amdhsa_exception_int_div_zero 0
	.end_amdhsa_kernel
	.section	.text._ZN7rocprim17ROCPRIM_400000_NS6detail17trampoline_kernelINS0_14default_configENS1_25partition_config_selectorILNS1_17partition_subalgoE6ExNS0_10empty_typeEbEEZZNS1_14partition_implILS5_6ELb0ES3_mN6thrust23THRUST_200600_302600_NS6detail15normal_iteratorINSA_10device_ptrIxEEEEPS6_SG_NS0_5tupleIJSF_S6_EEENSH_IJSG_SG_EEES6_PlJNSB_9not_fun_tINSB_10functional5actorINSM_9compositeIJNSM_27transparent_binary_operatorINSA_8equal_toIvEEEENSN_INSM_8argumentILj0EEEEENSM_5valueIxEEEEEEEEEEEE10hipError_tPvRmT3_T4_T5_T6_T7_T9_mT8_P12ihipStream_tbDpT10_ENKUlT_T0_E_clISt17integral_constantIbLb1EES1J_IbLb0EEEEDaS1F_S1G_EUlS1F_E_NS1_11comp_targetILNS1_3genE8ELNS1_11target_archE1030ELNS1_3gpuE2ELNS1_3repE0EEENS1_30default_config_static_selectorELNS0_4arch9wavefront6targetE0EEEvT1_,"axG",@progbits,_ZN7rocprim17ROCPRIM_400000_NS6detail17trampoline_kernelINS0_14default_configENS1_25partition_config_selectorILNS1_17partition_subalgoE6ExNS0_10empty_typeEbEEZZNS1_14partition_implILS5_6ELb0ES3_mN6thrust23THRUST_200600_302600_NS6detail15normal_iteratorINSA_10device_ptrIxEEEEPS6_SG_NS0_5tupleIJSF_S6_EEENSH_IJSG_SG_EEES6_PlJNSB_9not_fun_tINSB_10functional5actorINSM_9compositeIJNSM_27transparent_binary_operatorINSA_8equal_toIvEEEENSN_INSM_8argumentILj0EEEEENSM_5valueIxEEEEEEEEEEEE10hipError_tPvRmT3_T4_T5_T6_T7_T9_mT8_P12ihipStream_tbDpT10_ENKUlT_T0_E_clISt17integral_constantIbLb1EES1J_IbLb0EEEEDaS1F_S1G_EUlS1F_E_NS1_11comp_targetILNS1_3genE8ELNS1_11target_archE1030ELNS1_3gpuE2ELNS1_3repE0EEENS1_30default_config_static_selectorELNS0_4arch9wavefront6targetE0EEEvT1_,comdat
.Lfunc_end202:
	.size	_ZN7rocprim17ROCPRIM_400000_NS6detail17trampoline_kernelINS0_14default_configENS1_25partition_config_selectorILNS1_17partition_subalgoE6ExNS0_10empty_typeEbEEZZNS1_14partition_implILS5_6ELb0ES3_mN6thrust23THRUST_200600_302600_NS6detail15normal_iteratorINSA_10device_ptrIxEEEEPS6_SG_NS0_5tupleIJSF_S6_EEENSH_IJSG_SG_EEES6_PlJNSB_9not_fun_tINSB_10functional5actorINSM_9compositeIJNSM_27transparent_binary_operatorINSA_8equal_toIvEEEENSN_INSM_8argumentILj0EEEEENSM_5valueIxEEEEEEEEEEEE10hipError_tPvRmT3_T4_T5_T6_T7_T9_mT8_P12ihipStream_tbDpT10_ENKUlT_T0_E_clISt17integral_constantIbLb1EES1J_IbLb0EEEEDaS1F_S1G_EUlS1F_E_NS1_11comp_targetILNS1_3genE8ELNS1_11target_archE1030ELNS1_3gpuE2ELNS1_3repE0EEENS1_30default_config_static_selectorELNS0_4arch9wavefront6targetE0EEEvT1_, .Lfunc_end202-_ZN7rocprim17ROCPRIM_400000_NS6detail17trampoline_kernelINS0_14default_configENS1_25partition_config_selectorILNS1_17partition_subalgoE6ExNS0_10empty_typeEbEEZZNS1_14partition_implILS5_6ELb0ES3_mN6thrust23THRUST_200600_302600_NS6detail15normal_iteratorINSA_10device_ptrIxEEEEPS6_SG_NS0_5tupleIJSF_S6_EEENSH_IJSG_SG_EEES6_PlJNSB_9not_fun_tINSB_10functional5actorINSM_9compositeIJNSM_27transparent_binary_operatorINSA_8equal_toIvEEEENSN_INSM_8argumentILj0EEEEENSM_5valueIxEEEEEEEEEEEE10hipError_tPvRmT3_T4_T5_T6_T7_T9_mT8_P12ihipStream_tbDpT10_ENKUlT_T0_E_clISt17integral_constantIbLb1EES1J_IbLb0EEEEDaS1F_S1G_EUlS1F_E_NS1_11comp_targetILNS1_3genE8ELNS1_11target_archE1030ELNS1_3gpuE2ELNS1_3repE0EEENS1_30default_config_static_selectorELNS0_4arch9wavefront6targetE0EEEvT1_
                                        ; -- End function
	.set _ZN7rocprim17ROCPRIM_400000_NS6detail17trampoline_kernelINS0_14default_configENS1_25partition_config_selectorILNS1_17partition_subalgoE6ExNS0_10empty_typeEbEEZZNS1_14partition_implILS5_6ELb0ES3_mN6thrust23THRUST_200600_302600_NS6detail15normal_iteratorINSA_10device_ptrIxEEEEPS6_SG_NS0_5tupleIJSF_S6_EEENSH_IJSG_SG_EEES6_PlJNSB_9not_fun_tINSB_10functional5actorINSM_9compositeIJNSM_27transparent_binary_operatorINSA_8equal_toIvEEEENSN_INSM_8argumentILj0EEEEENSM_5valueIxEEEEEEEEEEEE10hipError_tPvRmT3_T4_T5_T6_T7_T9_mT8_P12ihipStream_tbDpT10_ENKUlT_T0_E_clISt17integral_constantIbLb1EES1J_IbLb0EEEEDaS1F_S1G_EUlS1F_E_NS1_11comp_targetILNS1_3genE8ELNS1_11target_archE1030ELNS1_3gpuE2ELNS1_3repE0EEENS1_30default_config_static_selectorELNS0_4arch9wavefront6targetE0EEEvT1_.num_vgpr, 0
	.set _ZN7rocprim17ROCPRIM_400000_NS6detail17trampoline_kernelINS0_14default_configENS1_25partition_config_selectorILNS1_17partition_subalgoE6ExNS0_10empty_typeEbEEZZNS1_14partition_implILS5_6ELb0ES3_mN6thrust23THRUST_200600_302600_NS6detail15normal_iteratorINSA_10device_ptrIxEEEEPS6_SG_NS0_5tupleIJSF_S6_EEENSH_IJSG_SG_EEES6_PlJNSB_9not_fun_tINSB_10functional5actorINSM_9compositeIJNSM_27transparent_binary_operatorINSA_8equal_toIvEEEENSN_INSM_8argumentILj0EEEEENSM_5valueIxEEEEEEEEEEEE10hipError_tPvRmT3_T4_T5_T6_T7_T9_mT8_P12ihipStream_tbDpT10_ENKUlT_T0_E_clISt17integral_constantIbLb1EES1J_IbLb0EEEEDaS1F_S1G_EUlS1F_E_NS1_11comp_targetILNS1_3genE8ELNS1_11target_archE1030ELNS1_3gpuE2ELNS1_3repE0EEENS1_30default_config_static_selectorELNS0_4arch9wavefront6targetE0EEEvT1_.num_agpr, 0
	.set _ZN7rocprim17ROCPRIM_400000_NS6detail17trampoline_kernelINS0_14default_configENS1_25partition_config_selectorILNS1_17partition_subalgoE6ExNS0_10empty_typeEbEEZZNS1_14partition_implILS5_6ELb0ES3_mN6thrust23THRUST_200600_302600_NS6detail15normal_iteratorINSA_10device_ptrIxEEEEPS6_SG_NS0_5tupleIJSF_S6_EEENSH_IJSG_SG_EEES6_PlJNSB_9not_fun_tINSB_10functional5actorINSM_9compositeIJNSM_27transparent_binary_operatorINSA_8equal_toIvEEEENSN_INSM_8argumentILj0EEEEENSM_5valueIxEEEEEEEEEEEE10hipError_tPvRmT3_T4_T5_T6_T7_T9_mT8_P12ihipStream_tbDpT10_ENKUlT_T0_E_clISt17integral_constantIbLb1EES1J_IbLb0EEEEDaS1F_S1G_EUlS1F_E_NS1_11comp_targetILNS1_3genE8ELNS1_11target_archE1030ELNS1_3gpuE2ELNS1_3repE0EEENS1_30default_config_static_selectorELNS0_4arch9wavefront6targetE0EEEvT1_.numbered_sgpr, 0
	.set _ZN7rocprim17ROCPRIM_400000_NS6detail17trampoline_kernelINS0_14default_configENS1_25partition_config_selectorILNS1_17partition_subalgoE6ExNS0_10empty_typeEbEEZZNS1_14partition_implILS5_6ELb0ES3_mN6thrust23THRUST_200600_302600_NS6detail15normal_iteratorINSA_10device_ptrIxEEEEPS6_SG_NS0_5tupleIJSF_S6_EEENSH_IJSG_SG_EEES6_PlJNSB_9not_fun_tINSB_10functional5actorINSM_9compositeIJNSM_27transparent_binary_operatorINSA_8equal_toIvEEEENSN_INSM_8argumentILj0EEEEENSM_5valueIxEEEEEEEEEEEE10hipError_tPvRmT3_T4_T5_T6_T7_T9_mT8_P12ihipStream_tbDpT10_ENKUlT_T0_E_clISt17integral_constantIbLb1EES1J_IbLb0EEEEDaS1F_S1G_EUlS1F_E_NS1_11comp_targetILNS1_3genE8ELNS1_11target_archE1030ELNS1_3gpuE2ELNS1_3repE0EEENS1_30default_config_static_selectorELNS0_4arch9wavefront6targetE0EEEvT1_.num_named_barrier, 0
	.set _ZN7rocprim17ROCPRIM_400000_NS6detail17trampoline_kernelINS0_14default_configENS1_25partition_config_selectorILNS1_17partition_subalgoE6ExNS0_10empty_typeEbEEZZNS1_14partition_implILS5_6ELb0ES3_mN6thrust23THRUST_200600_302600_NS6detail15normal_iteratorINSA_10device_ptrIxEEEEPS6_SG_NS0_5tupleIJSF_S6_EEENSH_IJSG_SG_EEES6_PlJNSB_9not_fun_tINSB_10functional5actorINSM_9compositeIJNSM_27transparent_binary_operatorINSA_8equal_toIvEEEENSN_INSM_8argumentILj0EEEEENSM_5valueIxEEEEEEEEEEEE10hipError_tPvRmT3_T4_T5_T6_T7_T9_mT8_P12ihipStream_tbDpT10_ENKUlT_T0_E_clISt17integral_constantIbLb1EES1J_IbLb0EEEEDaS1F_S1G_EUlS1F_E_NS1_11comp_targetILNS1_3genE8ELNS1_11target_archE1030ELNS1_3gpuE2ELNS1_3repE0EEENS1_30default_config_static_selectorELNS0_4arch9wavefront6targetE0EEEvT1_.private_seg_size, 0
	.set _ZN7rocprim17ROCPRIM_400000_NS6detail17trampoline_kernelINS0_14default_configENS1_25partition_config_selectorILNS1_17partition_subalgoE6ExNS0_10empty_typeEbEEZZNS1_14partition_implILS5_6ELb0ES3_mN6thrust23THRUST_200600_302600_NS6detail15normal_iteratorINSA_10device_ptrIxEEEEPS6_SG_NS0_5tupleIJSF_S6_EEENSH_IJSG_SG_EEES6_PlJNSB_9not_fun_tINSB_10functional5actorINSM_9compositeIJNSM_27transparent_binary_operatorINSA_8equal_toIvEEEENSN_INSM_8argumentILj0EEEEENSM_5valueIxEEEEEEEEEEEE10hipError_tPvRmT3_T4_T5_T6_T7_T9_mT8_P12ihipStream_tbDpT10_ENKUlT_T0_E_clISt17integral_constantIbLb1EES1J_IbLb0EEEEDaS1F_S1G_EUlS1F_E_NS1_11comp_targetILNS1_3genE8ELNS1_11target_archE1030ELNS1_3gpuE2ELNS1_3repE0EEENS1_30default_config_static_selectorELNS0_4arch9wavefront6targetE0EEEvT1_.uses_vcc, 0
	.set _ZN7rocprim17ROCPRIM_400000_NS6detail17trampoline_kernelINS0_14default_configENS1_25partition_config_selectorILNS1_17partition_subalgoE6ExNS0_10empty_typeEbEEZZNS1_14partition_implILS5_6ELb0ES3_mN6thrust23THRUST_200600_302600_NS6detail15normal_iteratorINSA_10device_ptrIxEEEEPS6_SG_NS0_5tupleIJSF_S6_EEENSH_IJSG_SG_EEES6_PlJNSB_9not_fun_tINSB_10functional5actorINSM_9compositeIJNSM_27transparent_binary_operatorINSA_8equal_toIvEEEENSN_INSM_8argumentILj0EEEEENSM_5valueIxEEEEEEEEEEEE10hipError_tPvRmT3_T4_T5_T6_T7_T9_mT8_P12ihipStream_tbDpT10_ENKUlT_T0_E_clISt17integral_constantIbLb1EES1J_IbLb0EEEEDaS1F_S1G_EUlS1F_E_NS1_11comp_targetILNS1_3genE8ELNS1_11target_archE1030ELNS1_3gpuE2ELNS1_3repE0EEENS1_30default_config_static_selectorELNS0_4arch9wavefront6targetE0EEEvT1_.uses_flat_scratch, 0
	.set _ZN7rocprim17ROCPRIM_400000_NS6detail17trampoline_kernelINS0_14default_configENS1_25partition_config_selectorILNS1_17partition_subalgoE6ExNS0_10empty_typeEbEEZZNS1_14partition_implILS5_6ELb0ES3_mN6thrust23THRUST_200600_302600_NS6detail15normal_iteratorINSA_10device_ptrIxEEEEPS6_SG_NS0_5tupleIJSF_S6_EEENSH_IJSG_SG_EEES6_PlJNSB_9not_fun_tINSB_10functional5actorINSM_9compositeIJNSM_27transparent_binary_operatorINSA_8equal_toIvEEEENSN_INSM_8argumentILj0EEEEENSM_5valueIxEEEEEEEEEEEE10hipError_tPvRmT3_T4_T5_T6_T7_T9_mT8_P12ihipStream_tbDpT10_ENKUlT_T0_E_clISt17integral_constantIbLb1EES1J_IbLb0EEEEDaS1F_S1G_EUlS1F_E_NS1_11comp_targetILNS1_3genE8ELNS1_11target_archE1030ELNS1_3gpuE2ELNS1_3repE0EEENS1_30default_config_static_selectorELNS0_4arch9wavefront6targetE0EEEvT1_.has_dyn_sized_stack, 0
	.set _ZN7rocprim17ROCPRIM_400000_NS6detail17trampoline_kernelINS0_14default_configENS1_25partition_config_selectorILNS1_17partition_subalgoE6ExNS0_10empty_typeEbEEZZNS1_14partition_implILS5_6ELb0ES3_mN6thrust23THRUST_200600_302600_NS6detail15normal_iteratorINSA_10device_ptrIxEEEEPS6_SG_NS0_5tupleIJSF_S6_EEENSH_IJSG_SG_EEES6_PlJNSB_9not_fun_tINSB_10functional5actorINSM_9compositeIJNSM_27transparent_binary_operatorINSA_8equal_toIvEEEENSN_INSM_8argumentILj0EEEEENSM_5valueIxEEEEEEEEEEEE10hipError_tPvRmT3_T4_T5_T6_T7_T9_mT8_P12ihipStream_tbDpT10_ENKUlT_T0_E_clISt17integral_constantIbLb1EES1J_IbLb0EEEEDaS1F_S1G_EUlS1F_E_NS1_11comp_targetILNS1_3genE8ELNS1_11target_archE1030ELNS1_3gpuE2ELNS1_3repE0EEENS1_30default_config_static_selectorELNS0_4arch9wavefront6targetE0EEEvT1_.has_recursion, 0
	.set _ZN7rocprim17ROCPRIM_400000_NS6detail17trampoline_kernelINS0_14default_configENS1_25partition_config_selectorILNS1_17partition_subalgoE6ExNS0_10empty_typeEbEEZZNS1_14partition_implILS5_6ELb0ES3_mN6thrust23THRUST_200600_302600_NS6detail15normal_iteratorINSA_10device_ptrIxEEEEPS6_SG_NS0_5tupleIJSF_S6_EEENSH_IJSG_SG_EEES6_PlJNSB_9not_fun_tINSB_10functional5actorINSM_9compositeIJNSM_27transparent_binary_operatorINSA_8equal_toIvEEEENSN_INSM_8argumentILj0EEEEENSM_5valueIxEEEEEEEEEEEE10hipError_tPvRmT3_T4_T5_T6_T7_T9_mT8_P12ihipStream_tbDpT10_ENKUlT_T0_E_clISt17integral_constantIbLb1EES1J_IbLb0EEEEDaS1F_S1G_EUlS1F_E_NS1_11comp_targetILNS1_3genE8ELNS1_11target_archE1030ELNS1_3gpuE2ELNS1_3repE0EEENS1_30default_config_static_selectorELNS0_4arch9wavefront6targetE0EEEvT1_.has_indirect_call, 0
	.section	.AMDGPU.csdata,"",@progbits
; Kernel info:
; codeLenInByte = 0
; TotalNumSgprs: 0
; NumVgprs: 0
; ScratchSize: 0
; MemoryBound: 0
; FloatMode: 240
; IeeeMode: 1
; LDSByteSize: 0 bytes/workgroup (compile time only)
; SGPRBlocks: 0
; VGPRBlocks: 0
; NumSGPRsForWavesPerEU: 1
; NumVGPRsForWavesPerEU: 1
; Occupancy: 16
; WaveLimiterHint : 0
; COMPUTE_PGM_RSRC2:SCRATCH_EN: 0
; COMPUTE_PGM_RSRC2:USER_SGPR: 2
; COMPUTE_PGM_RSRC2:TRAP_HANDLER: 0
; COMPUTE_PGM_RSRC2:TGID_X_EN: 1
; COMPUTE_PGM_RSRC2:TGID_Y_EN: 0
; COMPUTE_PGM_RSRC2:TGID_Z_EN: 0
; COMPUTE_PGM_RSRC2:TIDIG_COMP_CNT: 0
	.section	.text._ZN7rocprim17ROCPRIM_400000_NS6detail17trampoline_kernelINS0_14default_configENS1_25partition_config_selectorILNS1_17partition_subalgoE6ExNS0_10empty_typeEbEEZZNS1_14partition_implILS5_6ELb0ES3_mN6thrust23THRUST_200600_302600_NS6detail15normal_iteratorINSA_10device_ptrIxEEEEPS6_SG_NS0_5tupleIJSF_S6_EEENSH_IJSG_SG_EEES6_PlJNSB_9not_fun_tINSB_10functional5actorINSM_9compositeIJNSM_27transparent_binary_operatorINSA_8equal_toIvEEEENSN_INSM_8argumentILj0EEEEENSM_5valueIxEEEEEEEEEEEE10hipError_tPvRmT3_T4_T5_T6_T7_T9_mT8_P12ihipStream_tbDpT10_ENKUlT_T0_E_clISt17integral_constantIbLb0EES1J_IbLb1EEEEDaS1F_S1G_EUlS1F_E_NS1_11comp_targetILNS1_3genE0ELNS1_11target_archE4294967295ELNS1_3gpuE0ELNS1_3repE0EEENS1_30default_config_static_selectorELNS0_4arch9wavefront6targetE0EEEvT1_,"axG",@progbits,_ZN7rocprim17ROCPRIM_400000_NS6detail17trampoline_kernelINS0_14default_configENS1_25partition_config_selectorILNS1_17partition_subalgoE6ExNS0_10empty_typeEbEEZZNS1_14partition_implILS5_6ELb0ES3_mN6thrust23THRUST_200600_302600_NS6detail15normal_iteratorINSA_10device_ptrIxEEEEPS6_SG_NS0_5tupleIJSF_S6_EEENSH_IJSG_SG_EEES6_PlJNSB_9not_fun_tINSB_10functional5actorINSM_9compositeIJNSM_27transparent_binary_operatorINSA_8equal_toIvEEEENSN_INSM_8argumentILj0EEEEENSM_5valueIxEEEEEEEEEEEE10hipError_tPvRmT3_T4_T5_T6_T7_T9_mT8_P12ihipStream_tbDpT10_ENKUlT_T0_E_clISt17integral_constantIbLb0EES1J_IbLb1EEEEDaS1F_S1G_EUlS1F_E_NS1_11comp_targetILNS1_3genE0ELNS1_11target_archE4294967295ELNS1_3gpuE0ELNS1_3repE0EEENS1_30default_config_static_selectorELNS0_4arch9wavefront6targetE0EEEvT1_,comdat
	.protected	_ZN7rocprim17ROCPRIM_400000_NS6detail17trampoline_kernelINS0_14default_configENS1_25partition_config_selectorILNS1_17partition_subalgoE6ExNS0_10empty_typeEbEEZZNS1_14partition_implILS5_6ELb0ES3_mN6thrust23THRUST_200600_302600_NS6detail15normal_iteratorINSA_10device_ptrIxEEEEPS6_SG_NS0_5tupleIJSF_S6_EEENSH_IJSG_SG_EEES6_PlJNSB_9not_fun_tINSB_10functional5actorINSM_9compositeIJNSM_27transparent_binary_operatorINSA_8equal_toIvEEEENSN_INSM_8argumentILj0EEEEENSM_5valueIxEEEEEEEEEEEE10hipError_tPvRmT3_T4_T5_T6_T7_T9_mT8_P12ihipStream_tbDpT10_ENKUlT_T0_E_clISt17integral_constantIbLb0EES1J_IbLb1EEEEDaS1F_S1G_EUlS1F_E_NS1_11comp_targetILNS1_3genE0ELNS1_11target_archE4294967295ELNS1_3gpuE0ELNS1_3repE0EEENS1_30default_config_static_selectorELNS0_4arch9wavefront6targetE0EEEvT1_ ; -- Begin function _ZN7rocprim17ROCPRIM_400000_NS6detail17trampoline_kernelINS0_14default_configENS1_25partition_config_selectorILNS1_17partition_subalgoE6ExNS0_10empty_typeEbEEZZNS1_14partition_implILS5_6ELb0ES3_mN6thrust23THRUST_200600_302600_NS6detail15normal_iteratorINSA_10device_ptrIxEEEEPS6_SG_NS0_5tupleIJSF_S6_EEENSH_IJSG_SG_EEES6_PlJNSB_9not_fun_tINSB_10functional5actorINSM_9compositeIJNSM_27transparent_binary_operatorINSA_8equal_toIvEEEENSN_INSM_8argumentILj0EEEEENSM_5valueIxEEEEEEEEEEEE10hipError_tPvRmT3_T4_T5_T6_T7_T9_mT8_P12ihipStream_tbDpT10_ENKUlT_T0_E_clISt17integral_constantIbLb0EES1J_IbLb1EEEEDaS1F_S1G_EUlS1F_E_NS1_11comp_targetILNS1_3genE0ELNS1_11target_archE4294967295ELNS1_3gpuE0ELNS1_3repE0EEENS1_30default_config_static_selectorELNS0_4arch9wavefront6targetE0EEEvT1_
	.globl	_ZN7rocprim17ROCPRIM_400000_NS6detail17trampoline_kernelINS0_14default_configENS1_25partition_config_selectorILNS1_17partition_subalgoE6ExNS0_10empty_typeEbEEZZNS1_14partition_implILS5_6ELb0ES3_mN6thrust23THRUST_200600_302600_NS6detail15normal_iteratorINSA_10device_ptrIxEEEEPS6_SG_NS0_5tupleIJSF_S6_EEENSH_IJSG_SG_EEES6_PlJNSB_9not_fun_tINSB_10functional5actorINSM_9compositeIJNSM_27transparent_binary_operatorINSA_8equal_toIvEEEENSN_INSM_8argumentILj0EEEEENSM_5valueIxEEEEEEEEEEEE10hipError_tPvRmT3_T4_T5_T6_T7_T9_mT8_P12ihipStream_tbDpT10_ENKUlT_T0_E_clISt17integral_constantIbLb0EES1J_IbLb1EEEEDaS1F_S1G_EUlS1F_E_NS1_11comp_targetILNS1_3genE0ELNS1_11target_archE4294967295ELNS1_3gpuE0ELNS1_3repE0EEENS1_30default_config_static_selectorELNS0_4arch9wavefront6targetE0EEEvT1_
	.p2align	8
	.type	_ZN7rocprim17ROCPRIM_400000_NS6detail17trampoline_kernelINS0_14default_configENS1_25partition_config_selectorILNS1_17partition_subalgoE6ExNS0_10empty_typeEbEEZZNS1_14partition_implILS5_6ELb0ES3_mN6thrust23THRUST_200600_302600_NS6detail15normal_iteratorINSA_10device_ptrIxEEEEPS6_SG_NS0_5tupleIJSF_S6_EEENSH_IJSG_SG_EEES6_PlJNSB_9not_fun_tINSB_10functional5actorINSM_9compositeIJNSM_27transparent_binary_operatorINSA_8equal_toIvEEEENSN_INSM_8argumentILj0EEEEENSM_5valueIxEEEEEEEEEEEE10hipError_tPvRmT3_T4_T5_T6_T7_T9_mT8_P12ihipStream_tbDpT10_ENKUlT_T0_E_clISt17integral_constantIbLb0EES1J_IbLb1EEEEDaS1F_S1G_EUlS1F_E_NS1_11comp_targetILNS1_3genE0ELNS1_11target_archE4294967295ELNS1_3gpuE0ELNS1_3repE0EEENS1_30default_config_static_selectorELNS0_4arch9wavefront6targetE0EEEvT1_,@function
_ZN7rocprim17ROCPRIM_400000_NS6detail17trampoline_kernelINS0_14default_configENS1_25partition_config_selectorILNS1_17partition_subalgoE6ExNS0_10empty_typeEbEEZZNS1_14partition_implILS5_6ELb0ES3_mN6thrust23THRUST_200600_302600_NS6detail15normal_iteratorINSA_10device_ptrIxEEEEPS6_SG_NS0_5tupleIJSF_S6_EEENSH_IJSG_SG_EEES6_PlJNSB_9not_fun_tINSB_10functional5actorINSM_9compositeIJNSM_27transparent_binary_operatorINSA_8equal_toIvEEEENSN_INSM_8argumentILj0EEEEENSM_5valueIxEEEEEEEEEEEE10hipError_tPvRmT3_T4_T5_T6_T7_T9_mT8_P12ihipStream_tbDpT10_ENKUlT_T0_E_clISt17integral_constantIbLb0EES1J_IbLb1EEEEDaS1F_S1G_EUlS1F_E_NS1_11comp_targetILNS1_3genE0ELNS1_11target_archE4294967295ELNS1_3gpuE0ELNS1_3repE0EEENS1_30default_config_static_selectorELNS0_4arch9wavefront6targetE0EEEvT1_: ; @_ZN7rocprim17ROCPRIM_400000_NS6detail17trampoline_kernelINS0_14default_configENS1_25partition_config_selectorILNS1_17partition_subalgoE6ExNS0_10empty_typeEbEEZZNS1_14partition_implILS5_6ELb0ES3_mN6thrust23THRUST_200600_302600_NS6detail15normal_iteratorINSA_10device_ptrIxEEEEPS6_SG_NS0_5tupleIJSF_S6_EEENSH_IJSG_SG_EEES6_PlJNSB_9not_fun_tINSB_10functional5actorINSM_9compositeIJNSM_27transparent_binary_operatorINSA_8equal_toIvEEEENSN_INSM_8argumentILj0EEEEENSM_5valueIxEEEEEEEEEEEE10hipError_tPvRmT3_T4_T5_T6_T7_T9_mT8_P12ihipStream_tbDpT10_ENKUlT_T0_E_clISt17integral_constantIbLb0EES1J_IbLb1EEEEDaS1F_S1G_EUlS1F_E_NS1_11comp_targetILNS1_3genE0ELNS1_11target_archE4294967295ELNS1_3gpuE0ELNS1_3repE0EEENS1_30default_config_static_selectorELNS0_4arch9wavefront6targetE0EEEvT1_
; %bb.0:
	.section	.rodata,"a",@progbits
	.p2align	6, 0x0
	.amdhsa_kernel _ZN7rocprim17ROCPRIM_400000_NS6detail17trampoline_kernelINS0_14default_configENS1_25partition_config_selectorILNS1_17partition_subalgoE6ExNS0_10empty_typeEbEEZZNS1_14partition_implILS5_6ELb0ES3_mN6thrust23THRUST_200600_302600_NS6detail15normal_iteratorINSA_10device_ptrIxEEEEPS6_SG_NS0_5tupleIJSF_S6_EEENSH_IJSG_SG_EEES6_PlJNSB_9not_fun_tINSB_10functional5actorINSM_9compositeIJNSM_27transparent_binary_operatorINSA_8equal_toIvEEEENSN_INSM_8argumentILj0EEEEENSM_5valueIxEEEEEEEEEEEE10hipError_tPvRmT3_T4_T5_T6_T7_T9_mT8_P12ihipStream_tbDpT10_ENKUlT_T0_E_clISt17integral_constantIbLb0EES1J_IbLb1EEEEDaS1F_S1G_EUlS1F_E_NS1_11comp_targetILNS1_3genE0ELNS1_11target_archE4294967295ELNS1_3gpuE0ELNS1_3repE0EEENS1_30default_config_static_selectorELNS0_4arch9wavefront6targetE0EEEvT1_
		.amdhsa_group_segment_fixed_size 0
		.amdhsa_private_segment_fixed_size 0
		.amdhsa_kernarg_size 136
		.amdhsa_user_sgpr_count 2
		.amdhsa_user_sgpr_dispatch_ptr 0
		.amdhsa_user_sgpr_queue_ptr 0
		.amdhsa_user_sgpr_kernarg_segment_ptr 1
		.amdhsa_user_sgpr_dispatch_id 0
		.amdhsa_user_sgpr_private_segment_size 0
		.amdhsa_wavefront_size32 1
		.amdhsa_uses_dynamic_stack 0
		.amdhsa_enable_private_segment 0
		.amdhsa_system_sgpr_workgroup_id_x 1
		.amdhsa_system_sgpr_workgroup_id_y 0
		.amdhsa_system_sgpr_workgroup_id_z 0
		.amdhsa_system_sgpr_workgroup_info 0
		.amdhsa_system_vgpr_workitem_id 0
		.amdhsa_next_free_vgpr 1
		.amdhsa_next_free_sgpr 1
		.amdhsa_reserve_vcc 0
		.amdhsa_float_round_mode_32 0
		.amdhsa_float_round_mode_16_64 0
		.amdhsa_float_denorm_mode_32 3
		.amdhsa_float_denorm_mode_16_64 3
		.amdhsa_fp16_overflow 0
		.amdhsa_workgroup_processor_mode 1
		.amdhsa_memory_ordered 1
		.amdhsa_forward_progress 1
		.amdhsa_inst_pref_size 0
		.amdhsa_round_robin_scheduling 0
		.amdhsa_exception_fp_ieee_invalid_op 0
		.amdhsa_exception_fp_denorm_src 0
		.amdhsa_exception_fp_ieee_div_zero 0
		.amdhsa_exception_fp_ieee_overflow 0
		.amdhsa_exception_fp_ieee_underflow 0
		.amdhsa_exception_fp_ieee_inexact 0
		.amdhsa_exception_int_div_zero 0
	.end_amdhsa_kernel
	.section	.text._ZN7rocprim17ROCPRIM_400000_NS6detail17trampoline_kernelINS0_14default_configENS1_25partition_config_selectorILNS1_17partition_subalgoE6ExNS0_10empty_typeEbEEZZNS1_14partition_implILS5_6ELb0ES3_mN6thrust23THRUST_200600_302600_NS6detail15normal_iteratorINSA_10device_ptrIxEEEEPS6_SG_NS0_5tupleIJSF_S6_EEENSH_IJSG_SG_EEES6_PlJNSB_9not_fun_tINSB_10functional5actorINSM_9compositeIJNSM_27transparent_binary_operatorINSA_8equal_toIvEEEENSN_INSM_8argumentILj0EEEEENSM_5valueIxEEEEEEEEEEEE10hipError_tPvRmT3_T4_T5_T6_T7_T9_mT8_P12ihipStream_tbDpT10_ENKUlT_T0_E_clISt17integral_constantIbLb0EES1J_IbLb1EEEEDaS1F_S1G_EUlS1F_E_NS1_11comp_targetILNS1_3genE0ELNS1_11target_archE4294967295ELNS1_3gpuE0ELNS1_3repE0EEENS1_30default_config_static_selectorELNS0_4arch9wavefront6targetE0EEEvT1_,"axG",@progbits,_ZN7rocprim17ROCPRIM_400000_NS6detail17trampoline_kernelINS0_14default_configENS1_25partition_config_selectorILNS1_17partition_subalgoE6ExNS0_10empty_typeEbEEZZNS1_14partition_implILS5_6ELb0ES3_mN6thrust23THRUST_200600_302600_NS6detail15normal_iteratorINSA_10device_ptrIxEEEEPS6_SG_NS0_5tupleIJSF_S6_EEENSH_IJSG_SG_EEES6_PlJNSB_9not_fun_tINSB_10functional5actorINSM_9compositeIJNSM_27transparent_binary_operatorINSA_8equal_toIvEEEENSN_INSM_8argumentILj0EEEEENSM_5valueIxEEEEEEEEEEEE10hipError_tPvRmT3_T4_T5_T6_T7_T9_mT8_P12ihipStream_tbDpT10_ENKUlT_T0_E_clISt17integral_constantIbLb0EES1J_IbLb1EEEEDaS1F_S1G_EUlS1F_E_NS1_11comp_targetILNS1_3genE0ELNS1_11target_archE4294967295ELNS1_3gpuE0ELNS1_3repE0EEENS1_30default_config_static_selectorELNS0_4arch9wavefront6targetE0EEEvT1_,comdat
.Lfunc_end203:
	.size	_ZN7rocprim17ROCPRIM_400000_NS6detail17trampoline_kernelINS0_14default_configENS1_25partition_config_selectorILNS1_17partition_subalgoE6ExNS0_10empty_typeEbEEZZNS1_14partition_implILS5_6ELb0ES3_mN6thrust23THRUST_200600_302600_NS6detail15normal_iteratorINSA_10device_ptrIxEEEEPS6_SG_NS0_5tupleIJSF_S6_EEENSH_IJSG_SG_EEES6_PlJNSB_9not_fun_tINSB_10functional5actorINSM_9compositeIJNSM_27transparent_binary_operatorINSA_8equal_toIvEEEENSN_INSM_8argumentILj0EEEEENSM_5valueIxEEEEEEEEEEEE10hipError_tPvRmT3_T4_T5_T6_T7_T9_mT8_P12ihipStream_tbDpT10_ENKUlT_T0_E_clISt17integral_constantIbLb0EES1J_IbLb1EEEEDaS1F_S1G_EUlS1F_E_NS1_11comp_targetILNS1_3genE0ELNS1_11target_archE4294967295ELNS1_3gpuE0ELNS1_3repE0EEENS1_30default_config_static_selectorELNS0_4arch9wavefront6targetE0EEEvT1_, .Lfunc_end203-_ZN7rocprim17ROCPRIM_400000_NS6detail17trampoline_kernelINS0_14default_configENS1_25partition_config_selectorILNS1_17partition_subalgoE6ExNS0_10empty_typeEbEEZZNS1_14partition_implILS5_6ELb0ES3_mN6thrust23THRUST_200600_302600_NS6detail15normal_iteratorINSA_10device_ptrIxEEEEPS6_SG_NS0_5tupleIJSF_S6_EEENSH_IJSG_SG_EEES6_PlJNSB_9not_fun_tINSB_10functional5actorINSM_9compositeIJNSM_27transparent_binary_operatorINSA_8equal_toIvEEEENSN_INSM_8argumentILj0EEEEENSM_5valueIxEEEEEEEEEEEE10hipError_tPvRmT3_T4_T5_T6_T7_T9_mT8_P12ihipStream_tbDpT10_ENKUlT_T0_E_clISt17integral_constantIbLb0EES1J_IbLb1EEEEDaS1F_S1G_EUlS1F_E_NS1_11comp_targetILNS1_3genE0ELNS1_11target_archE4294967295ELNS1_3gpuE0ELNS1_3repE0EEENS1_30default_config_static_selectorELNS0_4arch9wavefront6targetE0EEEvT1_
                                        ; -- End function
	.set _ZN7rocprim17ROCPRIM_400000_NS6detail17trampoline_kernelINS0_14default_configENS1_25partition_config_selectorILNS1_17partition_subalgoE6ExNS0_10empty_typeEbEEZZNS1_14partition_implILS5_6ELb0ES3_mN6thrust23THRUST_200600_302600_NS6detail15normal_iteratorINSA_10device_ptrIxEEEEPS6_SG_NS0_5tupleIJSF_S6_EEENSH_IJSG_SG_EEES6_PlJNSB_9not_fun_tINSB_10functional5actorINSM_9compositeIJNSM_27transparent_binary_operatorINSA_8equal_toIvEEEENSN_INSM_8argumentILj0EEEEENSM_5valueIxEEEEEEEEEEEE10hipError_tPvRmT3_T4_T5_T6_T7_T9_mT8_P12ihipStream_tbDpT10_ENKUlT_T0_E_clISt17integral_constantIbLb0EES1J_IbLb1EEEEDaS1F_S1G_EUlS1F_E_NS1_11comp_targetILNS1_3genE0ELNS1_11target_archE4294967295ELNS1_3gpuE0ELNS1_3repE0EEENS1_30default_config_static_selectorELNS0_4arch9wavefront6targetE0EEEvT1_.num_vgpr, 0
	.set _ZN7rocprim17ROCPRIM_400000_NS6detail17trampoline_kernelINS0_14default_configENS1_25partition_config_selectorILNS1_17partition_subalgoE6ExNS0_10empty_typeEbEEZZNS1_14partition_implILS5_6ELb0ES3_mN6thrust23THRUST_200600_302600_NS6detail15normal_iteratorINSA_10device_ptrIxEEEEPS6_SG_NS0_5tupleIJSF_S6_EEENSH_IJSG_SG_EEES6_PlJNSB_9not_fun_tINSB_10functional5actorINSM_9compositeIJNSM_27transparent_binary_operatorINSA_8equal_toIvEEEENSN_INSM_8argumentILj0EEEEENSM_5valueIxEEEEEEEEEEEE10hipError_tPvRmT3_T4_T5_T6_T7_T9_mT8_P12ihipStream_tbDpT10_ENKUlT_T0_E_clISt17integral_constantIbLb0EES1J_IbLb1EEEEDaS1F_S1G_EUlS1F_E_NS1_11comp_targetILNS1_3genE0ELNS1_11target_archE4294967295ELNS1_3gpuE0ELNS1_3repE0EEENS1_30default_config_static_selectorELNS0_4arch9wavefront6targetE0EEEvT1_.num_agpr, 0
	.set _ZN7rocprim17ROCPRIM_400000_NS6detail17trampoline_kernelINS0_14default_configENS1_25partition_config_selectorILNS1_17partition_subalgoE6ExNS0_10empty_typeEbEEZZNS1_14partition_implILS5_6ELb0ES3_mN6thrust23THRUST_200600_302600_NS6detail15normal_iteratorINSA_10device_ptrIxEEEEPS6_SG_NS0_5tupleIJSF_S6_EEENSH_IJSG_SG_EEES6_PlJNSB_9not_fun_tINSB_10functional5actorINSM_9compositeIJNSM_27transparent_binary_operatorINSA_8equal_toIvEEEENSN_INSM_8argumentILj0EEEEENSM_5valueIxEEEEEEEEEEEE10hipError_tPvRmT3_T4_T5_T6_T7_T9_mT8_P12ihipStream_tbDpT10_ENKUlT_T0_E_clISt17integral_constantIbLb0EES1J_IbLb1EEEEDaS1F_S1G_EUlS1F_E_NS1_11comp_targetILNS1_3genE0ELNS1_11target_archE4294967295ELNS1_3gpuE0ELNS1_3repE0EEENS1_30default_config_static_selectorELNS0_4arch9wavefront6targetE0EEEvT1_.numbered_sgpr, 0
	.set _ZN7rocprim17ROCPRIM_400000_NS6detail17trampoline_kernelINS0_14default_configENS1_25partition_config_selectorILNS1_17partition_subalgoE6ExNS0_10empty_typeEbEEZZNS1_14partition_implILS5_6ELb0ES3_mN6thrust23THRUST_200600_302600_NS6detail15normal_iteratorINSA_10device_ptrIxEEEEPS6_SG_NS0_5tupleIJSF_S6_EEENSH_IJSG_SG_EEES6_PlJNSB_9not_fun_tINSB_10functional5actorINSM_9compositeIJNSM_27transparent_binary_operatorINSA_8equal_toIvEEEENSN_INSM_8argumentILj0EEEEENSM_5valueIxEEEEEEEEEEEE10hipError_tPvRmT3_T4_T5_T6_T7_T9_mT8_P12ihipStream_tbDpT10_ENKUlT_T0_E_clISt17integral_constantIbLb0EES1J_IbLb1EEEEDaS1F_S1G_EUlS1F_E_NS1_11comp_targetILNS1_3genE0ELNS1_11target_archE4294967295ELNS1_3gpuE0ELNS1_3repE0EEENS1_30default_config_static_selectorELNS0_4arch9wavefront6targetE0EEEvT1_.num_named_barrier, 0
	.set _ZN7rocprim17ROCPRIM_400000_NS6detail17trampoline_kernelINS0_14default_configENS1_25partition_config_selectorILNS1_17partition_subalgoE6ExNS0_10empty_typeEbEEZZNS1_14partition_implILS5_6ELb0ES3_mN6thrust23THRUST_200600_302600_NS6detail15normal_iteratorINSA_10device_ptrIxEEEEPS6_SG_NS0_5tupleIJSF_S6_EEENSH_IJSG_SG_EEES6_PlJNSB_9not_fun_tINSB_10functional5actorINSM_9compositeIJNSM_27transparent_binary_operatorINSA_8equal_toIvEEEENSN_INSM_8argumentILj0EEEEENSM_5valueIxEEEEEEEEEEEE10hipError_tPvRmT3_T4_T5_T6_T7_T9_mT8_P12ihipStream_tbDpT10_ENKUlT_T0_E_clISt17integral_constantIbLb0EES1J_IbLb1EEEEDaS1F_S1G_EUlS1F_E_NS1_11comp_targetILNS1_3genE0ELNS1_11target_archE4294967295ELNS1_3gpuE0ELNS1_3repE0EEENS1_30default_config_static_selectorELNS0_4arch9wavefront6targetE0EEEvT1_.private_seg_size, 0
	.set _ZN7rocprim17ROCPRIM_400000_NS6detail17trampoline_kernelINS0_14default_configENS1_25partition_config_selectorILNS1_17partition_subalgoE6ExNS0_10empty_typeEbEEZZNS1_14partition_implILS5_6ELb0ES3_mN6thrust23THRUST_200600_302600_NS6detail15normal_iteratorINSA_10device_ptrIxEEEEPS6_SG_NS0_5tupleIJSF_S6_EEENSH_IJSG_SG_EEES6_PlJNSB_9not_fun_tINSB_10functional5actorINSM_9compositeIJNSM_27transparent_binary_operatorINSA_8equal_toIvEEEENSN_INSM_8argumentILj0EEEEENSM_5valueIxEEEEEEEEEEEE10hipError_tPvRmT3_T4_T5_T6_T7_T9_mT8_P12ihipStream_tbDpT10_ENKUlT_T0_E_clISt17integral_constantIbLb0EES1J_IbLb1EEEEDaS1F_S1G_EUlS1F_E_NS1_11comp_targetILNS1_3genE0ELNS1_11target_archE4294967295ELNS1_3gpuE0ELNS1_3repE0EEENS1_30default_config_static_selectorELNS0_4arch9wavefront6targetE0EEEvT1_.uses_vcc, 0
	.set _ZN7rocprim17ROCPRIM_400000_NS6detail17trampoline_kernelINS0_14default_configENS1_25partition_config_selectorILNS1_17partition_subalgoE6ExNS0_10empty_typeEbEEZZNS1_14partition_implILS5_6ELb0ES3_mN6thrust23THRUST_200600_302600_NS6detail15normal_iteratorINSA_10device_ptrIxEEEEPS6_SG_NS0_5tupleIJSF_S6_EEENSH_IJSG_SG_EEES6_PlJNSB_9not_fun_tINSB_10functional5actorINSM_9compositeIJNSM_27transparent_binary_operatorINSA_8equal_toIvEEEENSN_INSM_8argumentILj0EEEEENSM_5valueIxEEEEEEEEEEEE10hipError_tPvRmT3_T4_T5_T6_T7_T9_mT8_P12ihipStream_tbDpT10_ENKUlT_T0_E_clISt17integral_constantIbLb0EES1J_IbLb1EEEEDaS1F_S1G_EUlS1F_E_NS1_11comp_targetILNS1_3genE0ELNS1_11target_archE4294967295ELNS1_3gpuE0ELNS1_3repE0EEENS1_30default_config_static_selectorELNS0_4arch9wavefront6targetE0EEEvT1_.uses_flat_scratch, 0
	.set _ZN7rocprim17ROCPRIM_400000_NS6detail17trampoline_kernelINS0_14default_configENS1_25partition_config_selectorILNS1_17partition_subalgoE6ExNS0_10empty_typeEbEEZZNS1_14partition_implILS5_6ELb0ES3_mN6thrust23THRUST_200600_302600_NS6detail15normal_iteratorINSA_10device_ptrIxEEEEPS6_SG_NS0_5tupleIJSF_S6_EEENSH_IJSG_SG_EEES6_PlJNSB_9not_fun_tINSB_10functional5actorINSM_9compositeIJNSM_27transparent_binary_operatorINSA_8equal_toIvEEEENSN_INSM_8argumentILj0EEEEENSM_5valueIxEEEEEEEEEEEE10hipError_tPvRmT3_T4_T5_T6_T7_T9_mT8_P12ihipStream_tbDpT10_ENKUlT_T0_E_clISt17integral_constantIbLb0EES1J_IbLb1EEEEDaS1F_S1G_EUlS1F_E_NS1_11comp_targetILNS1_3genE0ELNS1_11target_archE4294967295ELNS1_3gpuE0ELNS1_3repE0EEENS1_30default_config_static_selectorELNS0_4arch9wavefront6targetE0EEEvT1_.has_dyn_sized_stack, 0
	.set _ZN7rocprim17ROCPRIM_400000_NS6detail17trampoline_kernelINS0_14default_configENS1_25partition_config_selectorILNS1_17partition_subalgoE6ExNS0_10empty_typeEbEEZZNS1_14partition_implILS5_6ELb0ES3_mN6thrust23THRUST_200600_302600_NS6detail15normal_iteratorINSA_10device_ptrIxEEEEPS6_SG_NS0_5tupleIJSF_S6_EEENSH_IJSG_SG_EEES6_PlJNSB_9not_fun_tINSB_10functional5actorINSM_9compositeIJNSM_27transparent_binary_operatorINSA_8equal_toIvEEEENSN_INSM_8argumentILj0EEEEENSM_5valueIxEEEEEEEEEEEE10hipError_tPvRmT3_T4_T5_T6_T7_T9_mT8_P12ihipStream_tbDpT10_ENKUlT_T0_E_clISt17integral_constantIbLb0EES1J_IbLb1EEEEDaS1F_S1G_EUlS1F_E_NS1_11comp_targetILNS1_3genE0ELNS1_11target_archE4294967295ELNS1_3gpuE0ELNS1_3repE0EEENS1_30default_config_static_selectorELNS0_4arch9wavefront6targetE0EEEvT1_.has_recursion, 0
	.set _ZN7rocprim17ROCPRIM_400000_NS6detail17trampoline_kernelINS0_14default_configENS1_25partition_config_selectorILNS1_17partition_subalgoE6ExNS0_10empty_typeEbEEZZNS1_14partition_implILS5_6ELb0ES3_mN6thrust23THRUST_200600_302600_NS6detail15normal_iteratorINSA_10device_ptrIxEEEEPS6_SG_NS0_5tupleIJSF_S6_EEENSH_IJSG_SG_EEES6_PlJNSB_9not_fun_tINSB_10functional5actorINSM_9compositeIJNSM_27transparent_binary_operatorINSA_8equal_toIvEEEENSN_INSM_8argumentILj0EEEEENSM_5valueIxEEEEEEEEEEEE10hipError_tPvRmT3_T4_T5_T6_T7_T9_mT8_P12ihipStream_tbDpT10_ENKUlT_T0_E_clISt17integral_constantIbLb0EES1J_IbLb1EEEEDaS1F_S1G_EUlS1F_E_NS1_11comp_targetILNS1_3genE0ELNS1_11target_archE4294967295ELNS1_3gpuE0ELNS1_3repE0EEENS1_30default_config_static_selectorELNS0_4arch9wavefront6targetE0EEEvT1_.has_indirect_call, 0
	.section	.AMDGPU.csdata,"",@progbits
; Kernel info:
; codeLenInByte = 0
; TotalNumSgprs: 0
; NumVgprs: 0
; ScratchSize: 0
; MemoryBound: 0
; FloatMode: 240
; IeeeMode: 1
; LDSByteSize: 0 bytes/workgroup (compile time only)
; SGPRBlocks: 0
; VGPRBlocks: 0
; NumSGPRsForWavesPerEU: 1
; NumVGPRsForWavesPerEU: 1
; Occupancy: 16
; WaveLimiterHint : 0
; COMPUTE_PGM_RSRC2:SCRATCH_EN: 0
; COMPUTE_PGM_RSRC2:USER_SGPR: 2
; COMPUTE_PGM_RSRC2:TRAP_HANDLER: 0
; COMPUTE_PGM_RSRC2:TGID_X_EN: 1
; COMPUTE_PGM_RSRC2:TGID_Y_EN: 0
; COMPUTE_PGM_RSRC2:TGID_Z_EN: 0
; COMPUTE_PGM_RSRC2:TIDIG_COMP_CNT: 0
	.section	.text._ZN7rocprim17ROCPRIM_400000_NS6detail17trampoline_kernelINS0_14default_configENS1_25partition_config_selectorILNS1_17partition_subalgoE6ExNS0_10empty_typeEbEEZZNS1_14partition_implILS5_6ELb0ES3_mN6thrust23THRUST_200600_302600_NS6detail15normal_iteratorINSA_10device_ptrIxEEEEPS6_SG_NS0_5tupleIJSF_S6_EEENSH_IJSG_SG_EEES6_PlJNSB_9not_fun_tINSB_10functional5actorINSM_9compositeIJNSM_27transparent_binary_operatorINSA_8equal_toIvEEEENSN_INSM_8argumentILj0EEEEENSM_5valueIxEEEEEEEEEEEE10hipError_tPvRmT3_T4_T5_T6_T7_T9_mT8_P12ihipStream_tbDpT10_ENKUlT_T0_E_clISt17integral_constantIbLb0EES1J_IbLb1EEEEDaS1F_S1G_EUlS1F_E_NS1_11comp_targetILNS1_3genE5ELNS1_11target_archE942ELNS1_3gpuE9ELNS1_3repE0EEENS1_30default_config_static_selectorELNS0_4arch9wavefront6targetE0EEEvT1_,"axG",@progbits,_ZN7rocprim17ROCPRIM_400000_NS6detail17trampoline_kernelINS0_14default_configENS1_25partition_config_selectorILNS1_17partition_subalgoE6ExNS0_10empty_typeEbEEZZNS1_14partition_implILS5_6ELb0ES3_mN6thrust23THRUST_200600_302600_NS6detail15normal_iteratorINSA_10device_ptrIxEEEEPS6_SG_NS0_5tupleIJSF_S6_EEENSH_IJSG_SG_EEES6_PlJNSB_9not_fun_tINSB_10functional5actorINSM_9compositeIJNSM_27transparent_binary_operatorINSA_8equal_toIvEEEENSN_INSM_8argumentILj0EEEEENSM_5valueIxEEEEEEEEEEEE10hipError_tPvRmT3_T4_T5_T6_T7_T9_mT8_P12ihipStream_tbDpT10_ENKUlT_T0_E_clISt17integral_constantIbLb0EES1J_IbLb1EEEEDaS1F_S1G_EUlS1F_E_NS1_11comp_targetILNS1_3genE5ELNS1_11target_archE942ELNS1_3gpuE9ELNS1_3repE0EEENS1_30default_config_static_selectorELNS0_4arch9wavefront6targetE0EEEvT1_,comdat
	.protected	_ZN7rocprim17ROCPRIM_400000_NS6detail17trampoline_kernelINS0_14default_configENS1_25partition_config_selectorILNS1_17partition_subalgoE6ExNS0_10empty_typeEbEEZZNS1_14partition_implILS5_6ELb0ES3_mN6thrust23THRUST_200600_302600_NS6detail15normal_iteratorINSA_10device_ptrIxEEEEPS6_SG_NS0_5tupleIJSF_S6_EEENSH_IJSG_SG_EEES6_PlJNSB_9not_fun_tINSB_10functional5actorINSM_9compositeIJNSM_27transparent_binary_operatorINSA_8equal_toIvEEEENSN_INSM_8argumentILj0EEEEENSM_5valueIxEEEEEEEEEEEE10hipError_tPvRmT3_T4_T5_T6_T7_T9_mT8_P12ihipStream_tbDpT10_ENKUlT_T0_E_clISt17integral_constantIbLb0EES1J_IbLb1EEEEDaS1F_S1G_EUlS1F_E_NS1_11comp_targetILNS1_3genE5ELNS1_11target_archE942ELNS1_3gpuE9ELNS1_3repE0EEENS1_30default_config_static_selectorELNS0_4arch9wavefront6targetE0EEEvT1_ ; -- Begin function _ZN7rocprim17ROCPRIM_400000_NS6detail17trampoline_kernelINS0_14default_configENS1_25partition_config_selectorILNS1_17partition_subalgoE6ExNS0_10empty_typeEbEEZZNS1_14partition_implILS5_6ELb0ES3_mN6thrust23THRUST_200600_302600_NS6detail15normal_iteratorINSA_10device_ptrIxEEEEPS6_SG_NS0_5tupleIJSF_S6_EEENSH_IJSG_SG_EEES6_PlJNSB_9not_fun_tINSB_10functional5actorINSM_9compositeIJNSM_27transparent_binary_operatorINSA_8equal_toIvEEEENSN_INSM_8argumentILj0EEEEENSM_5valueIxEEEEEEEEEEEE10hipError_tPvRmT3_T4_T5_T6_T7_T9_mT8_P12ihipStream_tbDpT10_ENKUlT_T0_E_clISt17integral_constantIbLb0EES1J_IbLb1EEEEDaS1F_S1G_EUlS1F_E_NS1_11comp_targetILNS1_3genE5ELNS1_11target_archE942ELNS1_3gpuE9ELNS1_3repE0EEENS1_30default_config_static_selectorELNS0_4arch9wavefront6targetE0EEEvT1_
	.globl	_ZN7rocprim17ROCPRIM_400000_NS6detail17trampoline_kernelINS0_14default_configENS1_25partition_config_selectorILNS1_17partition_subalgoE6ExNS0_10empty_typeEbEEZZNS1_14partition_implILS5_6ELb0ES3_mN6thrust23THRUST_200600_302600_NS6detail15normal_iteratorINSA_10device_ptrIxEEEEPS6_SG_NS0_5tupleIJSF_S6_EEENSH_IJSG_SG_EEES6_PlJNSB_9not_fun_tINSB_10functional5actorINSM_9compositeIJNSM_27transparent_binary_operatorINSA_8equal_toIvEEEENSN_INSM_8argumentILj0EEEEENSM_5valueIxEEEEEEEEEEEE10hipError_tPvRmT3_T4_T5_T6_T7_T9_mT8_P12ihipStream_tbDpT10_ENKUlT_T0_E_clISt17integral_constantIbLb0EES1J_IbLb1EEEEDaS1F_S1G_EUlS1F_E_NS1_11comp_targetILNS1_3genE5ELNS1_11target_archE942ELNS1_3gpuE9ELNS1_3repE0EEENS1_30default_config_static_selectorELNS0_4arch9wavefront6targetE0EEEvT1_
	.p2align	8
	.type	_ZN7rocprim17ROCPRIM_400000_NS6detail17trampoline_kernelINS0_14default_configENS1_25partition_config_selectorILNS1_17partition_subalgoE6ExNS0_10empty_typeEbEEZZNS1_14partition_implILS5_6ELb0ES3_mN6thrust23THRUST_200600_302600_NS6detail15normal_iteratorINSA_10device_ptrIxEEEEPS6_SG_NS0_5tupleIJSF_S6_EEENSH_IJSG_SG_EEES6_PlJNSB_9not_fun_tINSB_10functional5actorINSM_9compositeIJNSM_27transparent_binary_operatorINSA_8equal_toIvEEEENSN_INSM_8argumentILj0EEEEENSM_5valueIxEEEEEEEEEEEE10hipError_tPvRmT3_T4_T5_T6_T7_T9_mT8_P12ihipStream_tbDpT10_ENKUlT_T0_E_clISt17integral_constantIbLb0EES1J_IbLb1EEEEDaS1F_S1G_EUlS1F_E_NS1_11comp_targetILNS1_3genE5ELNS1_11target_archE942ELNS1_3gpuE9ELNS1_3repE0EEENS1_30default_config_static_selectorELNS0_4arch9wavefront6targetE0EEEvT1_,@function
_ZN7rocprim17ROCPRIM_400000_NS6detail17trampoline_kernelINS0_14default_configENS1_25partition_config_selectorILNS1_17partition_subalgoE6ExNS0_10empty_typeEbEEZZNS1_14partition_implILS5_6ELb0ES3_mN6thrust23THRUST_200600_302600_NS6detail15normal_iteratorINSA_10device_ptrIxEEEEPS6_SG_NS0_5tupleIJSF_S6_EEENSH_IJSG_SG_EEES6_PlJNSB_9not_fun_tINSB_10functional5actorINSM_9compositeIJNSM_27transparent_binary_operatorINSA_8equal_toIvEEEENSN_INSM_8argumentILj0EEEEENSM_5valueIxEEEEEEEEEEEE10hipError_tPvRmT3_T4_T5_T6_T7_T9_mT8_P12ihipStream_tbDpT10_ENKUlT_T0_E_clISt17integral_constantIbLb0EES1J_IbLb1EEEEDaS1F_S1G_EUlS1F_E_NS1_11comp_targetILNS1_3genE5ELNS1_11target_archE942ELNS1_3gpuE9ELNS1_3repE0EEENS1_30default_config_static_selectorELNS0_4arch9wavefront6targetE0EEEvT1_: ; @_ZN7rocprim17ROCPRIM_400000_NS6detail17trampoline_kernelINS0_14default_configENS1_25partition_config_selectorILNS1_17partition_subalgoE6ExNS0_10empty_typeEbEEZZNS1_14partition_implILS5_6ELb0ES3_mN6thrust23THRUST_200600_302600_NS6detail15normal_iteratorINSA_10device_ptrIxEEEEPS6_SG_NS0_5tupleIJSF_S6_EEENSH_IJSG_SG_EEES6_PlJNSB_9not_fun_tINSB_10functional5actorINSM_9compositeIJNSM_27transparent_binary_operatorINSA_8equal_toIvEEEENSN_INSM_8argumentILj0EEEEENSM_5valueIxEEEEEEEEEEEE10hipError_tPvRmT3_T4_T5_T6_T7_T9_mT8_P12ihipStream_tbDpT10_ENKUlT_T0_E_clISt17integral_constantIbLb0EES1J_IbLb1EEEEDaS1F_S1G_EUlS1F_E_NS1_11comp_targetILNS1_3genE5ELNS1_11target_archE942ELNS1_3gpuE9ELNS1_3repE0EEENS1_30default_config_static_selectorELNS0_4arch9wavefront6targetE0EEEvT1_
; %bb.0:
	.section	.rodata,"a",@progbits
	.p2align	6, 0x0
	.amdhsa_kernel _ZN7rocprim17ROCPRIM_400000_NS6detail17trampoline_kernelINS0_14default_configENS1_25partition_config_selectorILNS1_17partition_subalgoE6ExNS0_10empty_typeEbEEZZNS1_14partition_implILS5_6ELb0ES3_mN6thrust23THRUST_200600_302600_NS6detail15normal_iteratorINSA_10device_ptrIxEEEEPS6_SG_NS0_5tupleIJSF_S6_EEENSH_IJSG_SG_EEES6_PlJNSB_9not_fun_tINSB_10functional5actorINSM_9compositeIJNSM_27transparent_binary_operatorINSA_8equal_toIvEEEENSN_INSM_8argumentILj0EEEEENSM_5valueIxEEEEEEEEEEEE10hipError_tPvRmT3_T4_T5_T6_T7_T9_mT8_P12ihipStream_tbDpT10_ENKUlT_T0_E_clISt17integral_constantIbLb0EES1J_IbLb1EEEEDaS1F_S1G_EUlS1F_E_NS1_11comp_targetILNS1_3genE5ELNS1_11target_archE942ELNS1_3gpuE9ELNS1_3repE0EEENS1_30default_config_static_selectorELNS0_4arch9wavefront6targetE0EEEvT1_
		.amdhsa_group_segment_fixed_size 0
		.amdhsa_private_segment_fixed_size 0
		.amdhsa_kernarg_size 136
		.amdhsa_user_sgpr_count 2
		.amdhsa_user_sgpr_dispatch_ptr 0
		.amdhsa_user_sgpr_queue_ptr 0
		.amdhsa_user_sgpr_kernarg_segment_ptr 1
		.amdhsa_user_sgpr_dispatch_id 0
		.amdhsa_user_sgpr_private_segment_size 0
		.amdhsa_wavefront_size32 1
		.amdhsa_uses_dynamic_stack 0
		.amdhsa_enable_private_segment 0
		.amdhsa_system_sgpr_workgroup_id_x 1
		.amdhsa_system_sgpr_workgroup_id_y 0
		.amdhsa_system_sgpr_workgroup_id_z 0
		.amdhsa_system_sgpr_workgroup_info 0
		.amdhsa_system_vgpr_workitem_id 0
		.amdhsa_next_free_vgpr 1
		.amdhsa_next_free_sgpr 1
		.amdhsa_reserve_vcc 0
		.amdhsa_float_round_mode_32 0
		.amdhsa_float_round_mode_16_64 0
		.amdhsa_float_denorm_mode_32 3
		.amdhsa_float_denorm_mode_16_64 3
		.amdhsa_fp16_overflow 0
		.amdhsa_workgroup_processor_mode 1
		.amdhsa_memory_ordered 1
		.amdhsa_forward_progress 1
		.amdhsa_inst_pref_size 0
		.amdhsa_round_robin_scheduling 0
		.amdhsa_exception_fp_ieee_invalid_op 0
		.amdhsa_exception_fp_denorm_src 0
		.amdhsa_exception_fp_ieee_div_zero 0
		.amdhsa_exception_fp_ieee_overflow 0
		.amdhsa_exception_fp_ieee_underflow 0
		.amdhsa_exception_fp_ieee_inexact 0
		.amdhsa_exception_int_div_zero 0
	.end_amdhsa_kernel
	.section	.text._ZN7rocprim17ROCPRIM_400000_NS6detail17trampoline_kernelINS0_14default_configENS1_25partition_config_selectorILNS1_17partition_subalgoE6ExNS0_10empty_typeEbEEZZNS1_14partition_implILS5_6ELb0ES3_mN6thrust23THRUST_200600_302600_NS6detail15normal_iteratorINSA_10device_ptrIxEEEEPS6_SG_NS0_5tupleIJSF_S6_EEENSH_IJSG_SG_EEES6_PlJNSB_9not_fun_tINSB_10functional5actorINSM_9compositeIJNSM_27transparent_binary_operatorINSA_8equal_toIvEEEENSN_INSM_8argumentILj0EEEEENSM_5valueIxEEEEEEEEEEEE10hipError_tPvRmT3_T4_T5_T6_T7_T9_mT8_P12ihipStream_tbDpT10_ENKUlT_T0_E_clISt17integral_constantIbLb0EES1J_IbLb1EEEEDaS1F_S1G_EUlS1F_E_NS1_11comp_targetILNS1_3genE5ELNS1_11target_archE942ELNS1_3gpuE9ELNS1_3repE0EEENS1_30default_config_static_selectorELNS0_4arch9wavefront6targetE0EEEvT1_,"axG",@progbits,_ZN7rocprim17ROCPRIM_400000_NS6detail17trampoline_kernelINS0_14default_configENS1_25partition_config_selectorILNS1_17partition_subalgoE6ExNS0_10empty_typeEbEEZZNS1_14partition_implILS5_6ELb0ES3_mN6thrust23THRUST_200600_302600_NS6detail15normal_iteratorINSA_10device_ptrIxEEEEPS6_SG_NS0_5tupleIJSF_S6_EEENSH_IJSG_SG_EEES6_PlJNSB_9not_fun_tINSB_10functional5actorINSM_9compositeIJNSM_27transparent_binary_operatorINSA_8equal_toIvEEEENSN_INSM_8argumentILj0EEEEENSM_5valueIxEEEEEEEEEEEE10hipError_tPvRmT3_T4_T5_T6_T7_T9_mT8_P12ihipStream_tbDpT10_ENKUlT_T0_E_clISt17integral_constantIbLb0EES1J_IbLb1EEEEDaS1F_S1G_EUlS1F_E_NS1_11comp_targetILNS1_3genE5ELNS1_11target_archE942ELNS1_3gpuE9ELNS1_3repE0EEENS1_30default_config_static_selectorELNS0_4arch9wavefront6targetE0EEEvT1_,comdat
.Lfunc_end204:
	.size	_ZN7rocprim17ROCPRIM_400000_NS6detail17trampoline_kernelINS0_14default_configENS1_25partition_config_selectorILNS1_17partition_subalgoE6ExNS0_10empty_typeEbEEZZNS1_14partition_implILS5_6ELb0ES3_mN6thrust23THRUST_200600_302600_NS6detail15normal_iteratorINSA_10device_ptrIxEEEEPS6_SG_NS0_5tupleIJSF_S6_EEENSH_IJSG_SG_EEES6_PlJNSB_9not_fun_tINSB_10functional5actorINSM_9compositeIJNSM_27transparent_binary_operatorINSA_8equal_toIvEEEENSN_INSM_8argumentILj0EEEEENSM_5valueIxEEEEEEEEEEEE10hipError_tPvRmT3_T4_T5_T6_T7_T9_mT8_P12ihipStream_tbDpT10_ENKUlT_T0_E_clISt17integral_constantIbLb0EES1J_IbLb1EEEEDaS1F_S1G_EUlS1F_E_NS1_11comp_targetILNS1_3genE5ELNS1_11target_archE942ELNS1_3gpuE9ELNS1_3repE0EEENS1_30default_config_static_selectorELNS0_4arch9wavefront6targetE0EEEvT1_, .Lfunc_end204-_ZN7rocprim17ROCPRIM_400000_NS6detail17trampoline_kernelINS0_14default_configENS1_25partition_config_selectorILNS1_17partition_subalgoE6ExNS0_10empty_typeEbEEZZNS1_14partition_implILS5_6ELb0ES3_mN6thrust23THRUST_200600_302600_NS6detail15normal_iteratorINSA_10device_ptrIxEEEEPS6_SG_NS0_5tupleIJSF_S6_EEENSH_IJSG_SG_EEES6_PlJNSB_9not_fun_tINSB_10functional5actorINSM_9compositeIJNSM_27transparent_binary_operatorINSA_8equal_toIvEEEENSN_INSM_8argumentILj0EEEEENSM_5valueIxEEEEEEEEEEEE10hipError_tPvRmT3_T4_T5_T6_T7_T9_mT8_P12ihipStream_tbDpT10_ENKUlT_T0_E_clISt17integral_constantIbLb0EES1J_IbLb1EEEEDaS1F_S1G_EUlS1F_E_NS1_11comp_targetILNS1_3genE5ELNS1_11target_archE942ELNS1_3gpuE9ELNS1_3repE0EEENS1_30default_config_static_selectorELNS0_4arch9wavefront6targetE0EEEvT1_
                                        ; -- End function
	.set _ZN7rocprim17ROCPRIM_400000_NS6detail17trampoline_kernelINS0_14default_configENS1_25partition_config_selectorILNS1_17partition_subalgoE6ExNS0_10empty_typeEbEEZZNS1_14partition_implILS5_6ELb0ES3_mN6thrust23THRUST_200600_302600_NS6detail15normal_iteratorINSA_10device_ptrIxEEEEPS6_SG_NS0_5tupleIJSF_S6_EEENSH_IJSG_SG_EEES6_PlJNSB_9not_fun_tINSB_10functional5actorINSM_9compositeIJNSM_27transparent_binary_operatorINSA_8equal_toIvEEEENSN_INSM_8argumentILj0EEEEENSM_5valueIxEEEEEEEEEEEE10hipError_tPvRmT3_T4_T5_T6_T7_T9_mT8_P12ihipStream_tbDpT10_ENKUlT_T0_E_clISt17integral_constantIbLb0EES1J_IbLb1EEEEDaS1F_S1G_EUlS1F_E_NS1_11comp_targetILNS1_3genE5ELNS1_11target_archE942ELNS1_3gpuE9ELNS1_3repE0EEENS1_30default_config_static_selectorELNS0_4arch9wavefront6targetE0EEEvT1_.num_vgpr, 0
	.set _ZN7rocprim17ROCPRIM_400000_NS6detail17trampoline_kernelINS0_14default_configENS1_25partition_config_selectorILNS1_17partition_subalgoE6ExNS0_10empty_typeEbEEZZNS1_14partition_implILS5_6ELb0ES3_mN6thrust23THRUST_200600_302600_NS6detail15normal_iteratorINSA_10device_ptrIxEEEEPS6_SG_NS0_5tupleIJSF_S6_EEENSH_IJSG_SG_EEES6_PlJNSB_9not_fun_tINSB_10functional5actorINSM_9compositeIJNSM_27transparent_binary_operatorINSA_8equal_toIvEEEENSN_INSM_8argumentILj0EEEEENSM_5valueIxEEEEEEEEEEEE10hipError_tPvRmT3_T4_T5_T6_T7_T9_mT8_P12ihipStream_tbDpT10_ENKUlT_T0_E_clISt17integral_constantIbLb0EES1J_IbLb1EEEEDaS1F_S1G_EUlS1F_E_NS1_11comp_targetILNS1_3genE5ELNS1_11target_archE942ELNS1_3gpuE9ELNS1_3repE0EEENS1_30default_config_static_selectorELNS0_4arch9wavefront6targetE0EEEvT1_.num_agpr, 0
	.set _ZN7rocprim17ROCPRIM_400000_NS6detail17trampoline_kernelINS0_14default_configENS1_25partition_config_selectorILNS1_17partition_subalgoE6ExNS0_10empty_typeEbEEZZNS1_14partition_implILS5_6ELb0ES3_mN6thrust23THRUST_200600_302600_NS6detail15normal_iteratorINSA_10device_ptrIxEEEEPS6_SG_NS0_5tupleIJSF_S6_EEENSH_IJSG_SG_EEES6_PlJNSB_9not_fun_tINSB_10functional5actorINSM_9compositeIJNSM_27transparent_binary_operatorINSA_8equal_toIvEEEENSN_INSM_8argumentILj0EEEEENSM_5valueIxEEEEEEEEEEEE10hipError_tPvRmT3_T4_T5_T6_T7_T9_mT8_P12ihipStream_tbDpT10_ENKUlT_T0_E_clISt17integral_constantIbLb0EES1J_IbLb1EEEEDaS1F_S1G_EUlS1F_E_NS1_11comp_targetILNS1_3genE5ELNS1_11target_archE942ELNS1_3gpuE9ELNS1_3repE0EEENS1_30default_config_static_selectorELNS0_4arch9wavefront6targetE0EEEvT1_.numbered_sgpr, 0
	.set _ZN7rocprim17ROCPRIM_400000_NS6detail17trampoline_kernelINS0_14default_configENS1_25partition_config_selectorILNS1_17partition_subalgoE6ExNS0_10empty_typeEbEEZZNS1_14partition_implILS5_6ELb0ES3_mN6thrust23THRUST_200600_302600_NS6detail15normal_iteratorINSA_10device_ptrIxEEEEPS6_SG_NS0_5tupleIJSF_S6_EEENSH_IJSG_SG_EEES6_PlJNSB_9not_fun_tINSB_10functional5actorINSM_9compositeIJNSM_27transparent_binary_operatorINSA_8equal_toIvEEEENSN_INSM_8argumentILj0EEEEENSM_5valueIxEEEEEEEEEEEE10hipError_tPvRmT3_T4_T5_T6_T7_T9_mT8_P12ihipStream_tbDpT10_ENKUlT_T0_E_clISt17integral_constantIbLb0EES1J_IbLb1EEEEDaS1F_S1G_EUlS1F_E_NS1_11comp_targetILNS1_3genE5ELNS1_11target_archE942ELNS1_3gpuE9ELNS1_3repE0EEENS1_30default_config_static_selectorELNS0_4arch9wavefront6targetE0EEEvT1_.num_named_barrier, 0
	.set _ZN7rocprim17ROCPRIM_400000_NS6detail17trampoline_kernelINS0_14default_configENS1_25partition_config_selectorILNS1_17partition_subalgoE6ExNS0_10empty_typeEbEEZZNS1_14partition_implILS5_6ELb0ES3_mN6thrust23THRUST_200600_302600_NS6detail15normal_iteratorINSA_10device_ptrIxEEEEPS6_SG_NS0_5tupleIJSF_S6_EEENSH_IJSG_SG_EEES6_PlJNSB_9not_fun_tINSB_10functional5actorINSM_9compositeIJNSM_27transparent_binary_operatorINSA_8equal_toIvEEEENSN_INSM_8argumentILj0EEEEENSM_5valueIxEEEEEEEEEEEE10hipError_tPvRmT3_T4_T5_T6_T7_T9_mT8_P12ihipStream_tbDpT10_ENKUlT_T0_E_clISt17integral_constantIbLb0EES1J_IbLb1EEEEDaS1F_S1G_EUlS1F_E_NS1_11comp_targetILNS1_3genE5ELNS1_11target_archE942ELNS1_3gpuE9ELNS1_3repE0EEENS1_30default_config_static_selectorELNS0_4arch9wavefront6targetE0EEEvT1_.private_seg_size, 0
	.set _ZN7rocprim17ROCPRIM_400000_NS6detail17trampoline_kernelINS0_14default_configENS1_25partition_config_selectorILNS1_17partition_subalgoE6ExNS0_10empty_typeEbEEZZNS1_14partition_implILS5_6ELb0ES3_mN6thrust23THRUST_200600_302600_NS6detail15normal_iteratorINSA_10device_ptrIxEEEEPS6_SG_NS0_5tupleIJSF_S6_EEENSH_IJSG_SG_EEES6_PlJNSB_9not_fun_tINSB_10functional5actorINSM_9compositeIJNSM_27transparent_binary_operatorINSA_8equal_toIvEEEENSN_INSM_8argumentILj0EEEEENSM_5valueIxEEEEEEEEEEEE10hipError_tPvRmT3_T4_T5_T6_T7_T9_mT8_P12ihipStream_tbDpT10_ENKUlT_T0_E_clISt17integral_constantIbLb0EES1J_IbLb1EEEEDaS1F_S1G_EUlS1F_E_NS1_11comp_targetILNS1_3genE5ELNS1_11target_archE942ELNS1_3gpuE9ELNS1_3repE0EEENS1_30default_config_static_selectorELNS0_4arch9wavefront6targetE0EEEvT1_.uses_vcc, 0
	.set _ZN7rocprim17ROCPRIM_400000_NS6detail17trampoline_kernelINS0_14default_configENS1_25partition_config_selectorILNS1_17partition_subalgoE6ExNS0_10empty_typeEbEEZZNS1_14partition_implILS5_6ELb0ES3_mN6thrust23THRUST_200600_302600_NS6detail15normal_iteratorINSA_10device_ptrIxEEEEPS6_SG_NS0_5tupleIJSF_S6_EEENSH_IJSG_SG_EEES6_PlJNSB_9not_fun_tINSB_10functional5actorINSM_9compositeIJNSM_27transparent_binary_operatorINSA_8equal_toIvEEEENSN_INSM_8argumentILj0EEEEENSM_5valueIxEEEEEEEEEEEE10hipError_tPvRmT3_T4_T5_T6_T7_T9_mT8_P12ihipStream_tbDpT10_ENKUlT_T0_E_clISt17integral_constantIbLb0EES1J_IbLb1EEEEDaS1F_S1G_EUlS1F_E_NS1_11comp_targetILNS1_3genE5ELNS1_11target_archE942ELNS1_3gpuE9ELNS1_3repE0EEENS1_30default_config_static_selectorELNS0_4arch9wavefront6targetE0EEEvT1_.uses_flat_scratch, 0
	.set _ZN7rocprim17ROCPRIM_400000_NS6detail17trampoline_kernelINS0_14default_configENS1_25partition_config_selectorILNS1_17partition_subalgoE6ExNS0_10empty_typeEbEEZZNS1_14partition_implILS5_6ELb0ES3_mN6thrust23THRUST_200600_302600_NS6detail15normal_iteratorINSA_10device_ptrIxEEEEPS6_SG_NS0_5tupleIJSF_S6_EEENSH_IJSG_SG_EEES6_PlJNSB_9not_fun_tINSB_10functional5actorINSM_9compositeIJNSM_27transparent_binary_operatorINSA_8equal_toIvEEEENSN_INSM_8argumentILj0EEEEENSM_5valueIxEEEEEEEEEEEE10hipError_tPvRmT3_T4_T5_T6_T7_T9_mT8_P12ihipStream_tbDpT10_ENKUlT_T0_E_clISt17integral_constantIbLb0EES1J_IbLb1EEEEDaS1F_S1G_EUlS1F_E_NS1_11comp_targetILNS1_3genE5ELNS1_11target_archE942ELNS1_3gpuE9ELNS1_3repE0EEENS1_30default_config_static_selectorELNS0_4arch9wavefront6targetE0EEEvT1_.has_dyn_sized_stack, 0
	.set _ZN7rocprim17ROCPRIM_400000_NS6detail17trampoline_kernelINS0_14default_configENS1_25partition_config_selectorILNS1_17partition_subalgoE6ExNS0_10empty_typeEbEEZZNS1_14partition_implILS5_6ELb0ES3_mN6thrust23THRUST_200600_302600_NS6detail15normal_iteratorINSA_10device_ptrIxEEEEPS6_SG_NS0_5tupleIJSF_S6_EEENSH_IJSG_SG_EEES6_PlJNSB_9not_fun_tINSB_10functional5actorINSM_9compositeIJNSM_27transparent_binary_operatorINSA_8equal_toIvEEEENSN_INSM_8argumentILj0EEEEENSM_5valueIxEEEEEEEEEEEE10hipError_tPvRmT3_T4_T5_T6_T7_T9_mT8_P12ihipStream_tbDpT10_ENKUlT_T0_E_clISt17integral_constantIbLb0EES1J_IbLb1EEEEDaS1F_S1G_EUlS1F_E_NS1_11comp_targetILNS1_3genE5ELNS1_11target_archE942ELNS1_3gpuE9ELNS1_3repE0EEENS1_30default_config_static_selectorELNS0_4arch9wavefront6targetE0EEEvT1_.has_recursion, 0
	.set _ZN7rocprim17ROCPRIM_400000_NS6detail17trampoline_kernelINS0_14default_configENS1_25partition_config_selectorILNS1_17partition_subalgoE6ExNS0_10empty_typeEbEEZZNS1_14partition_implILS5_6ELb0ES3_mN6thrust23THRUST_200600_302600_NS6detail15normal_iteratorINSA_10device_ptrIxEEEEPS6_SG_NS0_5tupleIJSF_S6_EEENSH_IJSG_SG_EEES6_PlJNSB_9not_fun_tINSB_10functional5actorINSM_9compositeIJNSM_27transparent_binary_operatorINSA_8equal_toIvEEEENSN_INSM_8argumentILj0EEEEENSM_5valueIxEEEEEEEEEEEE10hipError_tPvRmT3_T4_T5_T6_T7_T9_mT8_P12ihipStream_tbDpT10_ENKUlT_T0_E_clISt17integral_constantIbLb0EES1J_IbLb1EEEEDaS1F_S1G_EUlS1F_E_NS1_11comp_targetILNS1_3genE5ELNS1_11target_archE942ELNS1_3gpuE9ELNS1_3repE0EEENS1_30default_config_static_selectorELNS0_4arch9wavefront6targetE0EEEvT1_.has_indirect_call, 0
	.section	.AMDGPU.csdata,"",@progbits
; Kernel info:
; codeLenInByte = 0
; TotalNumSgprs: 0
; NumVgprs: 0
; ScratchSize: 0
; MemoryBound: 0
; FloatMode: 240
; IeeeMode: 1
; LDSByteSize: 0 bytes/workgroup (compile time only)
; SGPRBlocks: 0
; VGPRBlocks: 0
; NumSGPRsForWavesPerEU: 1
; NumVGPRsForWavesPerEU: 1
; Occupancy: 16
; WaveLimiterHint : 0
; COMPUTE_PGM_RSRC2:SCRATCH_EN: 0
; COMPUTE_PGM_RSRC2:USER_SGPR: 2
; COMPUTE_PGM_RSRC2:TRAP_HANDLER: 0
; COMPUTE_PGM_RSRC2:TGID_X_EN: 1
; COMPUTE_PGM_RSRC2:TGID_Y_EN: 0
; COMPUTE_PGM_RSRC2:TGID_Z_EN: 0
; COMPUTE_PGM_RSRC2:TIDIG_COMP_CNT: 0
	.section	.text._ZN7rocprim17ROCPRIM_400000_NS6detail17trampoline_kernelINS0_14default_configENS1_25partition_config_selectorILNS1_17partition_subalgoE6ExNS0_10empty_typeEbEEZZNS1_14partition_implILS5_6ELb0ES3_mN6thrust23THRUST_200600_302600_NS6detail15normal_iteratorINSA_10device_ptrIxEEEEPS6_SG_NS0_5tupleIJSF_S6_EEENSH_IJSG_SG_EEES6_PlJNSB_9not_fun_tINSB_10functional5actorINSM_9compositeIJNSM_27transparent_binary_operatorINSA_8equal_toIvEEEENSN_INSM_8argumentILj0EEEEENSM_5valueIxEEEEEEEEEEEE10hipError_tPvRmT3_T4_T5_T6_T7_T9_mT8_P12ihipStream_tbDpT10_ENKUlT_T0_E_clISt17integral_constantIbLb0EES1J_IbLb1EEEEDaS1F_S1G_EUlS1F_E_NS1_11comp_targetILNS1_3genE4ELNS1_11target_archE910ELNS1_3gpuE8ELNS1_3repE0EEENS1_30default_config_static_selectorELNS0_4arch9wavefront6targetE0EEEvT1_,"axG",@progbits,_ZN7rocprim17ROCPRIM_400000_NS6detail17trampoline_kernelINS0_14default_configENS1_25partition_config_selectorILNS1_17partition_subalgoE6ExNS0_10empty_typeEbEEZZNS1_14partition_implILS5_6ELb0ES3_mN6thrust23THRUST_200600_302600_NS6detail15normal_iteratorINSA_10device_ptrIxEEEEPS6_SG_NS0_5tupleIJSF_S6_EEENSH_IJSG_SG_EEES6_PlJNSB_9not_fun_tINSB_10functional5actorINSM_9compositeIJNSM_27transparent_binary_operatorINSA_8equal_toIvEEEENSN_INSM_8argumentILj0EEEEENSM_5valueIxEEEEEEEEEEEE10hipError_tPvRmT3_T4_T5_T6_T7_T9_mT8_P12ihipStream_tbDpT10_ENKUlT_T0_E_clISt17integral_constantIbLb0EES1J_IbLb1EEEEDaS1F_S1G_EUlS1F_E_NS1_11comp_targetILNS1_3genE4ELNS1_11target_archE910ELNS1_3gpuE8ELNS1_3repE0EEENS1_30default_config_static_selectorELNS0_4arch9wavefront6targetE0EEEvT1_,comdat
	.protected	_ZN7rocprim17ROCPRIM_400000_NS6detail17trampoline_kernelINS0_14default_configENS1_25partition_config_selectorILNS1_17partition_subalgoE6ExNS0_10empty_typeEbEEZZNS1_14partition_implILS5_6ELb0ES3_mN6thrust23THRUST_200600_302600_NS6detail15normal_iteratorINSA_10device_ptrIxEEEEPS6_SG_NS0_5tupleIJSF_S6_EEENSH_IJSG_SG_EEES6_PlJNSB_9not_fun_tINSB_10functional5actorINSM_9compositeIJNSM_27transparent_binary_operatorINSA_8equal_toIvEEEENSN_INSM_8argumentILj0EEEEENSM_5valueIxEEEEEEEEEEEE10hipError_tPvRmT3_T4_T5_T6_T7_T9_mT8_P12ihipStream_tbDpT10_ENKUlT_T0_E_clISt17integral_constantIbLb0EES1J_IbLb1EEEEDaS1F_S1G_EUlS1F_E_NS1_11comp_targetILNS1_3genE4ELNS1_11target_archE910ELNS1_3gpuE8ELNS1_3repE0EEENS1_30default_config_static_selectorELNS0_4arch9wavefront6targetE0EEEvT1_ ; -- Begin function _ZN7rocprim17ROCPRIM_400000_NS6detail17trampoline_kernelINS0_14default_configENS1_25partition_config_selectorILNS1_17partition_subalgoE6ExNS0_10empty_typeEbEEZZNS1_14partition_implILS5_6ELb0ES3_mN6thrust23THRUST_200600_302600_NS6detail15normal_iteratorINSA_10device_ptrIxEEEEPS6_SG_NS0_5tupleIJSF_S6_EEENSH_IJSG_SG_EEES6_PlJNSB_9not_fun_tINSB_10functional5actorINSM_9compositeIJNSM_27transparent_binary_operatorINSA_8equal_toIvEEEENSN_INSM_8argumentILj0EEEEENSM_5valueIxEEEEEEEEEEEE10hipError_tPvRmT3_T4_T5_T6_T7_T9_mT8_P12ihipStream_tbDpT10_ENKUlT_T0_E_clISt17integral_constantIbLb0EES1J_IbLb1EEEEDaS1F_S1G_EUlS1F_E_NS1_11comp_targetILNS1_3genE4ELNS1_11target_archE910ELNS1_3gpuE8ELNS1_3repE0EEENS1_30default_config_static_selectorELNS0_4arch9wavefront6targetE0EEEvT1_
	.globl	_ZN7rocprim17ROCPRIM_400000_NS6detail17trampoline_kernelINS0_14default_configENS1_25partition_config_selectorILNS1_17partition_subalgoE6ExNS0_10empty_typeEbEEZZNS1_14partition_implILS5_6ELb0ES3_mN6thrust23THRUST_200600_302600_NS6detail15normal_iteratorINSA_10device_ptrIxEEEEPS6_SG_NS0_5tupleIJSF_S6_EEENSH_IJSG_SG_EEES6_PlJNSB_9not_fun_tINSB_10functional5actorINSM_9compositeIJNSM_27transparent_binary_operatorINSA_8equal_toIvEEEENSN_INSM_8argumentILj0EEEEENSM_5valueIxEEEEEEEEEEEE10hipError_tPvRmT3_T4_T5_T6_T7_T9_mT8_P12ihipStream_tbDpT10_ENKUlT_T0_E_clISt17integral_constantIbLb0EES1J_IbLb1EEEEDaS1F_S1G_EUlS1F_E_NS1_11comp_targetILNS1_3genE4ELNS1_11target_archE910ELNS1_3gpuE8ELNS1_3repE0EEENS1_30default_config_static_selectorELNS0_4arch9wavefront6targetE0EEEvT1_
	.p2align	8
	.type	_ZN7rocprim17ROCPRIM_400000_NS6detail17trampoline_kernelINS0_14default_configENS1_25partition_config_selectorILNS1_17partition_subalgoE6ExNS0_10empty_typeEbEEZZNS1_14partition_implILS5_6ELb0ES3_mN6thrust23THRUST_200600_302600_NS6detail15normal_iteratorINSA_10device_ptrIxEEEEPS6_SG_NS0_5tupleIJSF_S6_EEENSH_IJSG_SG_EEES6_PlJNSB_9not_fun_tINSB_10functional5actorINSM_9compositeIJNSM_27transparent_binary_operatorINSA_8equal_toIvEEEENSN_INSM_8argumentILj0EEEEENSM_5valueIxEEEEEEEEEEEE10hipError_tPvRmT3_T4_T5_T6_T7_T9_mT8_P12ihipStream_tbDpT10_ENKUlT_T0_E_clISt17integral_constantIbLb0EES1J_IbLb1EEEEDaS1F_S1G_EUlS1F_E_NS1_11comp_targetILNS1_3genE4ELNS1_11target_archE910ELNS1_3gpuE8ELNS1_3repE0EEENS1_30default_config_static_selectorELNS0_4arch9wavefront6targetE0EEEvT1_,@function
_ZN7rocprim17ROCPRIM_400000_NS6detail17trampoline_kernelINS0_14default_configENS1_25partition_config_selectorILNS1_17partition_subalgoE6ExNS0_10empty_typeEbEEZZNS1_14partition_implILS5_6ELb0ES3_mN6thrust23THRUST_200600_302600_NS6detail15normal_iteratorINSA_10device_ptrIxEEEEPS6_SG_NS0_5tupleIJSF_S6_EEENSH_IJSG_SG_EEES6_PlJNSB_9not_fun_tINSB_10functional5actorINSM_9compositeIJNSM_27transparent_binary_operatorINSA_8equal_toIvEEEENSN_INSM_8argumentILj0EEEEENSM_5valueIxEEEEEEEEEEEE10hipError_tPvRmT3_T4_T5_T6_T7_T9_mT8_P12ihipStream_tbDpT10_ENKUlT_T0_E_clISt17integral_constantIbLb0EES1J_IbLb1EEEEDaS1F_S1G_EUlS1F_E_NS1_11comp_targetILNS1_3genE4ELNS1_11target_archE910ELNS1_3gpuE8ELNS1_3repE0EEENS1_30default_config_static_selectorELNS0_4arch9wavefront6targetE0EEEvT1_: ; @_ZN7rocprim17ROCPRIM_400000_NS6detail17trampoline_kernelINS0_14default_configENS1_25partition_config_selectorILNS1_17partition_subalgoE6ExNS0_10empty_typeEbEEZZNS1_14partition_implILS5_6ELb0ES3_mN6thrust23THRUST_200600_302600_NS6detail15normal_iteratorINSA_10device_ptrIxEEEEPS6_SG_NS0_5tupleIJSF_S6_EEENSH_IJSG_SG_EEES6_PlJNSB_9not_fun_tINSB_10functional5actorINSM_9compositeIJNSM_27transparent_binary_operatorINSA_8equal_toIvEEEENSN_INSM_8argumentILj0EEEEENSM_5valueIxEEEEEEEEEEEE10hipError_tPvRmT3_T4_T5_T6_T7_T9_mT8_P12ihipStream_tbDpT10_ENKUlT_T0_E_clISt17integral_constantIbLb0EES1J_IbLb1EEEEDaS1F_S1G_EUlS1F_E_NS1_11comp_targetILNS1_3genE4ELNS1_11target_archE910ELNS1_3gpuE8ELNS1_3repE0EEENS1_30default_config_static_selectorELNS0_4arch9wavefront6targetE0EEEvT1_
; %bb.0:
	.section	.rodata,"a",@progbits
	.p2align	6, 0x0
	.amdhsa_kernel _ZN7rocprim17ROCPRIM_400000_NS6detail17trampoline_kernelINS0_14default_configENS1_25partition_config_selectorILNS1_17partition_subalgoE6ExNS0_10empty_typeEbEEZZNS1_14partition_implILS5_6ELb0ES3_mN6thrust23THRUST_200600_302600_NS6detail15normal_iteratorINSA_10device_ptrIxEEEEPS6_SG_NS0_5tupleIJSF_S6_EEENSH_IJSG_SG_EEES6_PlJNSB_9not_fun_tINSB_10functional5actorINSM_9compositeIJNSM_27transparent_binary_operatorINSA_8equal_toIvEEEENSN_INSM_8argumentILj0EEEEENSM_5valueIxEEEEEEEEEEEE10hipError_tPvRmT3_T4_T5_T6_T7_T9_mT8_P12ihipStream_tbDpT10_ENKUlT_T0_E_clISt17integral_constantIbLb0EES1J_IbLb1EEEEDaS1F_S1G_EUlS1F_E_NS1_11comp_targetILNS1_3genE4ELNS1_11target_archE910ELNS1_3gpuE8ELNS1_3repE0EEENS1_30default_config_static_selectorELNS0_4arch9wavefront6targetE0EEEvT1_
		.amdhsa_group_segment_fixed_size 0
		.amdhsa_private_segment_fixed_size 0
		.amdhsa_kernarg_size 136
		.amdhsa_user_sgpr_count 2
		.amdhsa_user_sgpr_dispatch_ptr 0
		.amdhsa_user_sgpr_queue_ptr 0
		.amdhsa_user_sgpr_kernarg_segment_ptr 1
		.amdhsa_user_sgpr_dispatch_id 0
		.amdhsa_user_sgpr_private_segment_size 0
		.amdhsa_wavefront_size32 1
		.amdhsa_uses_dynamic_stack 0
		.amdhsa_enable_private_segment 0
		.amdhsa_system_sgpr_workgroup_id_x 1
		.amdhsa_system_sgpr_workgroup_id_y 0
		.amdhsa_system_sgpr_workgroup_id_z 0
		.amdhsa_system_sgpr_workgroup_info 0
		.amdhsa_system_vgpr_workitem_id 0
		.amdhsa_next_free_vgpr 1
		.amdhsa_next_free_sgpr 1
		.amdhsa_reserve_vcc 0
		.amdhsa_float_round_mode_32 0
		.amdhsa_float_round_mode_16_64 0
		.amdhsa_float_denorm_mode_32 3
		.amdhsa_float_denorm_mode_16_64 3
		.amdhsa_fp16_overflow 0
		.amdhsa_workgroup_processor_mode 1
		.amdhsa_memory_ordered 1
		.amdhsa_forward_progress 1
		.amdhsa_inst_pref_size 0
		.amdhsa_round_robin_scheduling 0
		.amdhsa_exception_fp_ieee_invalid_op 0
		.amdhsa_exception_fp_denorm_src 0
		.amdhsa_exception_fp_ieee_div_zero 0
		.amdhsa_exception_fp_ieee_overflow 0
		.amdhsa_exception_fp_ieee_underflow 0
		.amdhsa_exception_fp_ieee_inexact 0
		.amdhsa_exception_int_div_zero 0
	.end_amdhsa_kernel
	.section	.text._ZN7rocprim17ROCPRIM_400000_NS6detail17trampoline_kernelINS0_14default_configENS1_25partition_config_selectorILNS1_17partition_subalgoE6ExNS0_10empty_typeEbEEZZNS1_14partition_implILS5_6ELb0ES3_mN6thrust23THRUST_200600_302600_NS6detail15normal_iteratorINSA_10device_ptrIxEEEEPS6_SG_NS0_5tupleIJSF_S6_EEENSH_IJSG_SG_EEES6_PlJNSB_9not_fun_tINSB_10functional5actorINSM_9compositeIJNSM_27transparent_binary_operatorINSA_8equal_toIvEEEENSN_INSM_8argumentILj0EEEEENSM_5valueIxEEEEEEEEEEEE10hipError_tPvRmT3_T4_T5_T6_T7_T9_mT8_P12ihipStream_tbDpT10_ENKUlT_T0_E_clISt17integral_constantIbLb0EES1J_IbLb1EEEEDaS1F_S1G_EUlS1F_E_NS1_11comp_targetILNS1_3genE4ELNS1_11target_archE910ELNS1_3gpuE8ELNS1_3repE0EEENS1_30default_config_static_selectorELNS0_4arch9wavefront6targetE0EEEvT1_,"axG",@progbits,_ZN7rocprim17ROCPRIM_400000_NS6detail17trampoline_kernelINS0_14default_configENS1_25partition_config_selectorILNS1_17partition_subalgoE6ExNS0_10empty_typeEbEEZZNS1_14partition_implILS5_6ELb0ES3_mN6thrust23THRUST_200600_302600_NS6detail15normal_iteratorINSA_10device_ptrIxEEEEPS6_SG_NS0_5tupleIJSF_S6_EEENSH_IJSG_SG_EEES6_PlJNSB_9not_fun_tINSB_10functional5actorINSM_9compositeIJNSM_27transparent_binary_operatorINSA_8equal_toIvEEEENSN_INSM_8argumentILj0EEEEENSM_5valueIxEEEEEEEEEEEE10hipError_tPvRmT3_T4_T5_T6_T7_T9_mT8_P12ihipStream_tbDpT10_ENKUlT_T0_E_clISt17integral_constantIbLb0EES1J_IbLb1EEEEDaS1F_S1G_EUlS1F_E_NS1_11comp_targetILNS1_3genE4ELNS1_11target_archE910ELNS1_3gpuE8ELNS1_3repE0EEENS1_30default_config_static_selectorELNS0_4arch9wavefront6targetE0EEEvT1_,comdat
.Lfunc_end205:
	.size	_ZN7rocprim17ROCPRIM_400000_NS6detail17trampoline_kernelINS0_14default_configENS1_25partition_config_selectorILNS1_17partition_subalgoE6ExNS0_10empty_typeEbEEZZNS1_14partition_implILS5_6ELb0ES3_mN6thrust23THRUST_200600_302600_NS6detail15normal_iteratorINSA_10device_ptrIxEEEEPS6_SG_NS0_5tupleIJSF_S6_EEENSH_IJSG_SG_EEES6_PlJNSB_9not_fun_tINSB_10functional5actorINSM_9compositeIJNSM_27transparent_binary_operatorINSA_8equal_toIvEEEENSN_INSM_8argumentILj0EEEEENSM_5valueIxEEEEEEEEEEEE10hipError_tPvRmT3_T4_T5_T6_T7_T9_mT8_P12ihipStream_tbDpT10_ENKUlT_T0_E_clISt17integral_constantIbLb0EES1J_IbLb1EEEEDaS1F_S1G_EUlS1F_E_NS1_11comp_targetILNS1_3genE4ELNS1_11target_archE910ELNS1_3gpuE8ELNS1_3repE0EEENS1_30default_config_static_selectorELNS0_4arch9wavefront6targetE0EEEvT1_, .Lfunc_end205-_ZN7rocprim17ROCPRIM_400000_NS6detail17trampoline_kernelINS0_14default_configENS1_25partition_config_selectorILNS1_17partition_subalgoE6ExNS0_10empty_typeEbEEZZNS1_14partition_implILS5_6ELb0ES3_mN6thrust23THRUST_200600_302600_NS6detail15normal_iteratorINSA_10device_ptrIxEEEEPS6_SG_NS0_5tupleIJSF_S6_EEENSH_IJSG_SG_EEES6_PlJNSB_9not_fun_tINSB_10functional5actorINSM_9compositeIJNSM_27transparent_binary_operatorINSA_8equal_toIvEEEENSN_INSM_8argumentILj0EEEEENSM_5valueIxEEEEEEEEEEEE10hipError_tPvRmT3_T4_T5_T6_T7_T9_mT8_P12ihipStream_tbDpT10_ENKUlT_T0_E_clISt17integral_constantIbLb0EES1J_IbLb1EEEEDaS1F_S1G_EUlS1F_E_NS1_11comp_targetILNS1_3genE4ELNS1_11target_archE910ELNS1_3gpuE8ELNS1_3repE0EEENS1_30default_config_static_selectorELNS0_4arch9wavefront6targetE0EEEvT1_
                                        ; -- End function
	.set _ZN7rocprim17ROCPRIM_400000_NS6detail17trampoline_kernelINS0_14default_configENS1_25partition_config_selectorILNS1_17partition_subalgoE6ExNS0_10empty_typeEbEEZZNS1_14partition_implILS5_6ELb0ES3_mN6thrust23THRUST_200600_302600_NS6detail15normal_iteratorINSA_10device_ptrIxEEEEPS6_SG_NS0_5tupleIJSF_S6_EEENSH_IJSG_SG_EEES6_PlJNSB_9not_fun_tINSB_10functional5actorINSM_9compositeIJNSM_27transparent_binary_operatorINSA_8equal_toIvEEEENSN_INSM_8argumentILj0EEEEENSM_5valueIxEEEEEEEEEEEE10hipError_tPvRmT3_T4_T5_T6_T7_T9_mT8_P12ihipStream_tbDpT10_ENKUlT_T0_E_clISt17integral_constantIbLb0EES1J_IbLb1EEEEDaS1F_S1G_EUlS1F_E_NS1_11comp_targetILNS1_3genE4ELNS1_11target_archE910ELNS1_3gpuE8ELNS1_3repE0EEENS1_30default_config_static_selectorELNS0_4arch9wavefront6targetE0EEEvT1_.num_vgpr, 0
	.set _ZN7rocprim17ROCPRIM_400000_NS6detail17trampoline_kernelINS0_14default_configENS1_25partition_config_selectorILNS1_17partition_subalgoE6ExNS0_10empty_typeEbEEZZNS1_14partition_implILS5_6ELb0ES3_mN6thrust23THRUST_200600_302600_NS6detail15normal_iteratorINSA_10device_ptrIxEEEEPS6_SG_NS0_5tupleIJSF_S6_EEENSH_IJSG_SG_EEES6_PlJNSB_9not_fun_tINSB_10functional5actorINSM_9compositeIJNSM_27transparent_binary_operatorINSA_8equal_toIvEEEENSN_INSM_8argumentILj0EEEEENSM_5valueIxEEEEEEEEEEEE10hipError_tPvRmT3_T4_T5_T6_T7_T9_mT8_P12ihipStream_tbDpT10_ENKUlT_T0_E_clISt17integral_constantIbLb0EES1J_IbLb1EEEEDaS1F_S1G_EUlS1F_E_NS1_11comp_targetILNS1_3genE4ELNS1_11target_archE910ELNS1_3gpuE8ELNS1_3repE0EEENS1_30default_config_static_selectorELNS0_4arch9wavefront6targetE0EEEvT1_.num_agpr, 0
	.set _ZN7rocprim17ROCPRIM_400000_NS6detail17trampoline_kernelINS0_14default_configENS1_25partition_config_selectorILNS1_17partition_subalgoE6ExNS0_10empty_typeEbEEZZNS1_14partition_implILS5_6ELb0ES3_mN6thrust23THRUST_200600_302600_NS6detail15normal_iteratorINSA_10device_ptrIxEEEEPS6_SG_NS0_5tupleIJSF_S6_EEENSH_IJSG_SG_EEES6_PlJNSB_9not_fun_tINSB_10functional5actorINSM_9compositeIJNSM_27transparent_binary_operatorINSA_8equal_toIvEEEENSN_INSM_8argumentILj0EEEEENSM_5valueIxEEEEEEEEEEEE10hipError_tPvRmT3_T4_T5_T6_T7_T9_mT8_P12ihipStream_tbDpT10_ENKUlT_T0_E_clISt17integral_constantIbLb0EES1J_IbLb1EEEEDaS1F_S1G_EUlS1F_E_NS1_11comp_targetILNS1_3genE4ELNS1_11target_archE910ELNS1_3gpuE8ELNS1_3repE0EEENS1_30default_config_static_selectorELNS0_4arch9wavefront6targetE0EEEvT1_.numbered_sgpr, 0
	.set _ZN7rocprim17ROCPRIM_400000_NS6detail17trampoline_kernelINS0_14default_configENS1_25partition_config_selectorILNS1_17partition_subalgoE6ExNS0_10empty_typeEbEEZZNS1_14partition_implILS5_6ELb0ES3_mN6thrust23THRUST_200600_302600_NS6detail15normal_iteratorINSA_10device_ptrIxEEEEPS6_SG_NS0_5tupleIJSF_S6_EEENSH_IJSG_SG_EEES6_PlJNSB_9not_fun_tINSB_10functional5actorINSM_9compositeIJNSM_27transparent_binary_operatorINSA_8equal_toIvEEEENSN_INSM_8argumentILj0EEEEENSM_5valueIxEEEEEEEEEEEE10hipError_tPvRmT3_T4_T5_T6_T7_T9_mT8_P12ihipStream_tbDpT10_ENKUlT_T0_E_clISt17integral_constantIbLb0EES1J_IbLb1EEEEDaS1F_S1G_EUlS1F_E_NS1_11comp_targetILNS1_3genE4ELNS1_11target_archE910ELNS1_3gpuE8ELNS1_3repE0EEENS1_30default_config_static_selectorELNS0_4arch9wavefront6targetE0EEEvT1_.num_named_barrier, 0
	.set _ZN7rocprim17ROCPRIM_400000_NS6detail17trampoline_kernelINS0_14default_configENS1_25partition_config_selectorILNS1_17partition_subalgoE6ExNS0_10empty_typeEbEEZZNS1_14partition_implILS5_6ELb0ES3_mN6thrust23THRUST_200600_302600_NS6detail15normal_iteratorINSA_10device_ptrIxEEEEPS6_SG_NS0_5tupleIJSF_S6_EEENSH_IJSG_SG_EEES6_PlJNSB_9not_fun_tINSB_10functional5actorINSM_9compositeIJNSM_27transparent_binary_operatorINSA_8equal_toIvEEEENSN_INSM_8argumentILj0EEEEENSM_5valueIxEEEEEEEEEEEE10hipError_tPvRmT3_T4_T5_T6_T7_T9_mT8_P12ihipStream_tbDpT10_ENKUlT_T0_E_clISt17integral_constantIbLb0EES1J_IbLb1EEEEDaS1F_S1G_EUlS1F_E_NS1_11comp_targetILNS1_3genE4ELNS1_11target_archE910ELNS1_3gpuE8ELNS1_3repE0EEENS1_30default_config_static_selectorELNS0_4arch9wavefront6targetE0EEEvT1_.private_seg_size, 0
	.set _ZN7rocprim17ROCPRIM_400000_NS6detail17trampoline_kernelINS0_14default_configENS1_25partition_config_selectorILNS1_17partition_subalgoE6ExNS0_10empty_typeEbEEZZNS1_14partition_implILS5_6ELb0ES3_mN6thrust23THRUST_200600_302600_NS6detail15normal_iteratorINSA_10device_ptrIxEEEEPS6_SG_NS0_5tupleIJSF_S6_EEENSH_IJSG_SG_EEES6_PlJNSB_9not_fun_tINSB_10functional5actorINSM_9compositeIJNSM_27transparent_binary_operatorINSA_8equal_toIvEEEENSN_INSM_8argumentILj0EEEEENSM_5valueIxEEEEEEEEEEEE10hipError_tPvRmT3_T4_T5_T6_T7_T9_mT8_P12ihipStream_tbDpT10_ENKUlT_T0_E_clISt17integral_constantIbLb0EES1J_IbLb1EEEEDaS1F_S1G_EUlS1F_E_NS1_11comp_targetILNS1_3genE4ELNS1_11target_archE910ELNS1_3gpuE8ELNS1_3repE0EEENS1_30default_config_static_selectorELNS0_4arch9wavefront6targetE0EEEvT1_.uses_vcc, 0
	.set _ZN7rocprim17ROCPRIM_400000_NS6detail17trampoline_kernelINS0_14default_configENS1_25partition_config_selectorILNS1_17partition_subalgoE6ExNS0_10empty_typeEbEEZZNS1_14partition_implILS5_6ELb0ES3_mN6thrust23THRUST_200600_302600_NS6detail15normal_iteratorINSA_10device_ptrIxEEEEPS6_SG_NS0_5tupleIJSF_S6_EEENSH_IJSG_SG_EEES6_PlJNSB_9not_fun_tINSB_10functional5actorINSM_9compositeIJNSM_27transparent_binary_operatorINSA_8equal_toIvEEEENSN_INSM_8argumentILj0EEEEENSM_5valueIxEEEEEEEEEEEE10hipError_tPvRmT3_T4_T5_T6_T7_T9_mT8_P12ihipStream_tbDpT10_ENKUlT_T0_E_clISt17integral_constantIbLb0EES1J_IbLb1EEEEDaS1F_S1G_EUlS1F_E_NS1_11comp_targetILNS1_3genE4ELNS1_11target_archE910ELNS1_3gpuE8ELNS1_3repE0EEENS1_30default_config_static_selectorELNS0_4arch9wavefront6targetE0EEEvT1_.uses_flat_scratch, 0
	.set _ZN7rocprim17ROCPRIM_400000_NS6detail17trampoline_kernelINS0_14default_configENS1_25partition_config_selectorILNS1_17partition_subalgoE6ExNS0_10empty_typeEbEEZZNS1_14partition_implILS5_6ELb0ES3_mN6thrust23THRUST_200600_302600_NS6detail15normal_iteratorINSA_10device_ptrIxEEEEPS6_SG_NS0_5tupleIJSF_S6_EEENSH_IJSG_SG_EEES6_PlJNSB_9not_fun_tINSB_10functional5actorINSM_9compositeIJNSM_27transparent_binary_operatorINSA_8equal_toIvEEEENSN_INSM_8argumentILj0EEEEENSM_5valueIxEEEEEEEEEEEE10hipError_tPvRmT3_T4_T5_T6_T7_T9_mT8_P12ihipStream_tbDpT10_ENKUlT_T0_E_clISt17integral_constantIbLb0EES1J_IbLb1EEEEDaS1F_S1G_EUlS1F_E_NS1_11comp_targetILNS1_3genE4ELNS1_11target_archE910ELNS1_3gpuE8ELNS1_3repE0EEENS1_30default_config_static_selectorELNS0_4arch9wavefront6targetE0EEEvT1_.has_dyn_sized_stack, 0
	.set _ZN7rocprim17ROCPRIM_400000_NS6detail17trampoline_kernelINS0_14default_configENS1_25partition_config_selectorILNS1_17partition_subalgoE6ExNS0_10empty_typeEbEEZZNS1_14partition_implILS5_6ELb0ES3_mN6thrust23THRUST_200600_302600_NS6detail15normal_iteratorINSA_10device_ptrIxEEEEPS6_SG_NS0_5tupleIJSF_S6_EEENSH_IJSG_SG_EEES6_PlJNSB_9not_fun_tINSB_10functional5actorINSM_9compositeIJNSM_27transparent_binary_operatorINSA_8equal_toIvEEEENSN_INSM_8argumentILj0EEEEENSM_5valueIxEEEEEEEEEEEE10hipError_tPvRmT3_T4_T5_T6_T7_T9_mT8_P12ihipStream_tbDpT10_ENKUlT_T0_E_clISt17integral_constantIbLb0EES1J_IbLb1EEEEDaS1F_S1G_EUlS1F_E_NS1_11comp_targetILNS1_3genE4ELNS1_11target_archE910ELNS1_3gpuE8ELNS1_3repE0EEENS1_30default_config_static_selectorELNS0_4arch9wavefront6targetE0EEEvT1_.has_recursion, 0
	.set _ZN7rocprim17ROCPRIM_400000_NS6detail17trampoline_kernelINS0_14default_configENS1_25partition_config_selectorILNS1_17partition_subalgoE6ExNS0_10empty_typeEbEEZZNS1_14partition_implILS5_6ELb0ES3_mN6thrust23THRUST_200600_302600_NS6detail15normal_iteratorINSA_10device_ptrIxEEEEPS6_SG_NS0_5tupleIJSF_S6_EEENSH_IJSG_SG_EEES6_PlJNSB_9not_fun_tINSB_10functional5actorINSM_9compositeIJNSM_27transparent_binary_operatorINSA_8equal_toIvEEEENSN_INSM_8argumentILj0EEEEENSM_5valueIxEEEEEEEEEEEE10hipError_tPvRmT3_T4_T5_T6_T7_T9_mT8_P12ihipStream_tbDpT10_ENKUlT_T0_E_clISt17integral_constantIbLb0EES1J_IbLb1EEEEDaS1F_S1G_EUlS1F_E_NS1_11comp_targetILNS1_3genE4ELNS1_11target_archE910ELNS1_3gpuE8ELNS1_3repE0EEENS1_30default_config_static_selectorELNS0_4arch9wavefront6targetE0EEEvT1_.has_indirect_call, 0
	.section	.AMDGPU.csdata,"",@progbits
; Kernel info:
; codeLenInByte = 0
; TotalNumSgprs: 0
; NumVgprs: 0
; ScratchSize: 0
; MemoryBound: 0
; FloatMode: 240
; IeeeMode: 1
; LDSByteSize: 0 bytes/workgroup (compile time only)
; SGPRBlocks: 0
; VGPRBlocks: 0
; NumSGPRsForWavesPerEU: 1
; NumVGPRsForWavesPerEU: 1
; Occupancy: 16
; WaveLimiterHint : 0
; COMPUTE_PGM_RSRC2:SCRATCH_EN: 0
; COMPUTE_PGM_RSRC2:USER_SGPR: 2
; COMPUTE_PGM_RSRC2:TRAP_HANDLER: 0
; COMPUTE_PGM_RSRC2:TGID_X_EN: 1
; COMPUTE_PGM_RSRC2:TGID_Y_EN: 0
; COMPUTE_PGM_RSRC2:TGID_Z_EN: 0
; COMPUTE_PGM_RSRC2:TIDIG_COMP_CNT: 0
	.section	.text._ZN7rocprim17ROCPRIM_400000_NS6detail17trampoline_kernelINS0_14default_configENS1_25partition_config_selectorILNS1_17partition_subalgoE6ExNS0_10empty_typeEbEEZZNS1_14partition_implILS5_6ELb0ES3_mN6thrust23THRUST_200600_302600_NS6detail15normal_iteratorINSA_10device_ptrIxEEEEPS6_SG_NS0_5tupleIJSF_S6_EEENSH_IJSG_SG_EEES6_PlJNSB_9not_fun_tINSB_10functional5actorINSM_9compositeIJNSM_27transparent_binary_operatorINSA_8equal_toIvEEEENSN_INSM_8argumentILj0EEEEENSM_5valueIxEEEEEEEEEEEE10hipError_tPvRmT3_T4_T5_T6_T7_T9_mT8_P12ihipStream_tbDpT10_ENKUlT_T0_E_clISt17integral_constantIbLb0EES1J_IbLb1EEEEDaS1F_S1G_EUlS1F_E_NS1_11comp_targetILNS1_3genE3ELNS1_11target_archE908ELNS1_3gpuE7ELNS1_3repE0EEENS1_30default_config_static_selectorELNS0_4arch9wavefront6targetE0EEEvT1_,"axG",@progbits,_ZN7rocprim17ROCPRIM_400000_NS6detail17trampoline_kernelINS0_14default_configENS1_25partition_config_selectorILNS1_17partition_subalgoE6ExNS0_10empty_typeEbEEZZNS1_14partition_implILS5_6ELb0ES3_mN6thrust23THRUST_200600_302600_NS6detail15normal_iteratorINSA_10device_ptrIxEEEEPS6_SG_NS0_5tupleIJSF_S6_EEENSH_IJSG_SG_EEES6_PlJNSB_9not_fun_tINSB_10functional5actorINSM_9compositeIJNSM_27transparent_binary_operatorINSA_8equal_toIvEEEENSN_INSM_8argumentILj0EEEEENSM_5valueIxEEEEEEEEEEEE10hipError_tPvRmT3_T4_T5_T6_T7_T9_mT8_P12ihipStream_tbDpT10_ENKUlT_T0_E_clISt17integral_constantIbLb0EES1J_IbLb1EEEEDaS1F_S1G_EUlS1F_E_NS1_11comp_targetILNS1_3genE3ELNS1_11target_archE908ELNS1_3gpuE7ELNS1_3repE0EEENS1_30default_config_static_selectorELNS0_4arch9wavefront6targetE0EEEvT1_,comdat
	.protected	_ZN7rocprim17ROCPRIM_400000_NS6detail17trampoline_kernelINS0_14default_configENS1_25partition_config_selectorILNS1_17partition_subalgoE6ExNS0_10empty_typeEbEEZZNS1_14partition_implILS5_6ELb0ES3_mN6thrust23THRUST_200600_302600_NS6detail15normal_iteratorINSA_10device_ptrIxEEEEPS6_SG_NS0_5tupleIJSF_S6_EEENSH_IJSG_SG_EEES6_PlJNSB_9not_fun_tINSB_10functional5actorINSM_9compositeIJNSM_27transparent_binary_operatorINSA_8equal_toIvEEEENSN_INSM_8argumentILj0EEEEENSM_5valueIxEEEEEEEEEEEE10hipError_tPvRmT3_T4_T5_T6_T7_T9_mT8_P12ihipStream_tbDpT10_ENKUlT_T0_E_clISt17integral_constantIbLb0EES1J_IbLb1EEEEDaS1F_S1G_EUlS1F_E_NS1_11comp_targetILNS1_3genE3ELNS1_11target_archE908ELNS1_3gpuE7ELNS1_3repE0EEENS1_30default_config_static_selectorELNS0_4arch9wavefront6targetE0EEEvT1_ ; -- Begin function _ZN7rocprim17ROCPRIM_400000_NS6detail17trampoline_kernelINS0_14default_configENS1_25partition_config_selectorILNS1_17partition_subalgoE6ExNS0_10empty_typeEbEEZZNS1_14partition_implILS5_6ELb0ES3_mN6thrust23THRUST_200600_302600_NS6detail15normal_iteratorINSA_10device_ptrIxEEEEPS6_SG_NS0_5tupleIJSF_S6_EEENSH_IJSG_SG_EEES6_PlJNSB_9not_fun_tINSB_10functional5actorINSM_9compositeIJNSM_27transparent_binary_operatorINSA_8equal_toIvEEEENSN_INSM_8argumentILj0EEEEENSM_5valueIxEEEEEEEEEEEE10hipError_tPvRmT3_T4_T5_T6_T7_T9_mT8_P12ihipStream_tbDpT10_ENKUlT_T0_E_clISt17integral_constantIbLb0EES1J_IbLb1EEEEDaS1F_S1G_EUlS1F_E_NS1_11comp_targetILNS1_3genE3ELNS1_11target_archE908ELNS1_3gpuE7ELNS1_3repE0EEENS1_30default_config_static_selectorELNS0_4arch9wavefront6targetE0EEEvT1_
	.globl	_ZN7rocprim17ROCPRIM_400000_NS6detail17trampoline_kernelINS0_14default_configENS1_25partition_config_selectorILNS1_17partition_subalgoE6ExNS0_10empty_typeEbEEZZNS1_14partition_implILS5_6ELb0ES3_mN6thrust23THRUST_200600_302600_NS6detail15normal_iteratorINSA_10device_ptrIxEEEEPS6_SG_NS0_5tupleIJSF_S6_EEENSH_IJSG_SG_EEES6_PlJNSB_9not_fun_tINSB_10functional5actorINSM_9compositeIJNSM_27transparent_binary_operatorINSA_8equal_toIvEEEENSN_INSM_8argumentILj0EEEEENSM_5valueIxEEEEEEEEEEEE10hipError_tPvRmT3_T4_T5_T6_T7_T9_mT8_P12ihipStream_tbDpT10_ENKUlT_T0_E_clISt17integral_constantIbLb0EES1J_IbLb1EEEEDaS1F_S1G_EUlS1F_E_NS1_11comp_targetILNS1_3genE3ELNS1_11target_archE908ELNS1_3gpuE7ELNS1_3repE0EEENS1_30default_config_static_selectorELNS0_4arch9wavefront6targetE0EEEvT1_
	.p2align	8
	.type	_ZN7rocprim17ROCPRIM_400000_NS6detail17trampoline_kernelINS0_14default_configENS1_25partition_config_selectorILNS1_17partition_subalgoE6ExNS0_10empty_typeEbEEZZNS1_14partition_implILS5_6ELb0ES3_mN6thrust23THRUST_200600_302600_NS6detail15normal_iteratorINSA_10device_ptrIxEEEEPS6_SG_NS0_5tupleIJSF_S6_EEENSH_IJSG_SG_EEES6_PlJNSB_9not_fun_tINSB_10functional5actorINSM_9compositeIJNSM_27transparent_binary_operatorINSA_8equal_toIvEEEENSN_INSM_8argumentILj0EEEEENSM_5valueIxEEEEEEEEEEEE10hipError_tPvRmT3_T4_T5_T6_T7_T9_mT8_P12ihipStream_tbDpT10_ENKUlT_T0_E_clISt17integral_constantIbLb0EES1J_IbLb1EEEEDaS1F_S1G_EUlS1F_E_NS1_11comp_targetILNS1_3genE3ELNS1_11target_archE908ELNS1_3gpuE7ELNS1_3repE0EEENS1_30default_config_static_selectorELNS0_4arch9wavefront6targetE0EEEvT1_,@function
_ZN7rocprim17ROCPRIM_400000_NS6detail17trampoline_kernelINS0_14default_configENS1_25partition_config_selectorILNS1_17partition_subalgoE6ExNS0_10empty_typeEbEEZZNS1_14partition_implILS5_6ELb0ES3_mN6thrust23THRUST_200600_302600_NS6detail15normal_iteratorINSA_10device_ptrIxEEEEPS6_SG_NS0_5tupleIJSF_S6_EEENSH_IJSG_SG_EEES6_PlJNSB_9not_fun_tINSB_10functional5actorINSM_9compositeIJNSM_27transparent_binary_operatorINSA_8equal_toIvEEEENSN_INSM_8argumentILj0EEEEENSM_5valueIxEEEEEEEEEEEE10hipError_tPvRmT3_T4_T5_T6_T7_T9_mT8_P12ihipStream_tbDpT10_ENKUlT_T0_E_clISt17integral_constantIbLb0EES1J_IbLb1EEEEDaS1F_S1G_EUlS1F_E_NS1_11comp_targetILNS1_3genE3ELNS1_11target_archE908ELNS1_3gpuE7ELNS1_3repE0EEENS1_30default_config_static_selectorELNS0_4arch9wavefront6targetE0EEEvT1_: ; @_ZN7rocprim17ROCPRIM_400000_NS6detail17trampoline_kernelINS0_14default_configENS1_25partition_config_selectorILNS1_17partition_subalgoE6ExNS0_10empty_typeEbEEZZNS1_14partition_implILS5_6ELb0ES3_mN6thrust23THRUST_200600_302600_NS6detail15normal_iteratorINSA_10device_ptrIxEEEEPS6_SG_NS0_5tupleIJSF_S6_EEENSH_IJSG_SG_EEES6_PlJNSB_9not_fun_tINSB_10functional5actorINSM_9compositeIJNSM_27transparent_binary_operatorINSA_8equal_toIvEEEENSN_INSM_8argumentILj0EEEEENSM_5valueIxEEEEEEEEEEEE10hipError_tPvRmT3_T4_T5_T6_T7_T9_mT8_P12ihipStream_tbDpT10_ENKUlT_T0_E_clISt17integral_constantIbLb0EES1J_IbLb1EEEEDaS1F_S1G_EUlS1F_E_NS1_11comp_targetILNS1_3genE3ELNS1_11target_archE908ELNS1_3gpuE7ELNS1_3repE0EEENS1_30default_config_static_selectorELNS0_4arch9wavefront6targetE0EEEvT1_
; %bb.0:
	.section	.rodata,"a",@progbits
	.p2align	6, 0x0
	.amdhsa_kernel _ZN7rocprim17ROCPRIM_400000_NS6detail17trampoline_kernelINS0_14default_configENS1_25partition_config_selectorILNS1_17partition_subalgoE6ExNS0_10empty_typeEbEEZZNS1_14partition_implILS5_6ELb0ES3_mN6thrust23THRUST_200600_302600_NS6detail15normal_iteratorINSA_10device_ptrIxEEEEPS6_SG_NS0_5tupleIJSF_S6_EEENSH_IJSG_SG_EEES6_PlJNSB_9not_fun_tINSB_10functional5actorINSM_9compositeIJNSM_27transparent_binary_operatorINSA_8equal_toIvEEEENSN_INSM_8argumentILj0EEEEENSM_5valueIxEEEEEEEEEEEE10hipError_tPvRmT3_T4_T5_T6_T7_T9_mT8_P12ihipStream_tbDpT10_ENKUlT_T0_E_clISt17integral_constantIbLb0EES1J_IbLb1EEEEDaS1F_S1G_EUlS1F_E_NS1_11comp_targetILNS1_3genE3ELNS1_11target_archE908ELNS1_3gpuE7ELNS1_3repE0EEENS1_30default_config_static_selectorELNS0_4arch9wavefront6targetE0EEEvT1_
		.amdhsa_group_segment_fixed_size 0
		.amdhsa_private_segment_fixed_size 0
		.amdhsa_kernarg_size 136
		.amdhsa_user_sgpr_count 2
		.amdhsa_user_sgpr_dispatch_ptr 0
		.amdhsa_user_sgpr_queue_ptr 0
		.amdhsa_user_sgpr_kernarg_segment_ptr 1
		.amdhsa_user_sgpr_dispatch_id 0
		.amdhsa_user_sgpr_private_segment_size 0
		.amdhsa_wavefront_size32 1
		.amdhsa_uses_dynamic_stack 0
		.amdhsa_enable_private_segment 0
		.amdhsa_system_sgpr_workgroup_id_x 1
		.amdhsa_system_sgpr_workgroup_id_y 0
		.amdhsa_system_sgpr_workgroup_id_z 0
		.amdhsa_system_sgpr_workgroup_info 0
		.amdhsa_system_vgpr_workitem_id 0
		.amdhsa_next_free_vgpr 1
		.amdhsa_next_free_sgpr 1
		.amdhsa_reserve_vcc 0
		.amdhsa_float_round_mode_32 0
		.amdhsa_float_round_mode_16_64 0
		.amdhsa_float_denorm_mode_32 3
		.amdhsa_float_denorm_mode_16_64 3
		.amdhsa_fp16_overflow 0
		.amdhsa_workgroup_processor_mode 1
		.amdhsa_memory_ordered 1
		.amdhsa_forward_progress 1
		.amdhsa_inst_pref_size 0
		.amdhsa_round_robin_scheduling 0
		.amdhsa_exception_fp_ieee_invalid_op 0
		.amdhsa_exception_fp_denorm_src 0
		.amdhsa_exception_fp_ieee_div_zero 0
		.amdhsa_exception_fp_ieee_overflow 0
		.amdhsa_exception_fp_ieee_underflow 0
		.amdhsa_exception_fp_ieee_inexact 0
		.amdhsa_exception_int_div_zero 0
	.end_amdhsa_kernel
	.section	.text._ZN7rocprim17ROCPRIM_400000_NS6detail17trampoline_kernelINS0_14default_configENS1_25partition_config_selectorILNS1_17partition_subalgoE6ExNS0_10empty_typeEbEEZZNS1_14partition_implILS5_6ELb0ES3_mN6thrust23THRUST_200600_302600_NS6detail15normal_iteratorINSA_10device_ptrIxEEEEPS6_SG_NS0_5tupleIJSF_S6_EEENSH_IJSG_SG_EEES6_PlJNSB_9not_fun_tINSB_10functional5actorINSM_9compositeIJNSM_27transparent_binary_operatorINSA_8equal_toIvEEEENSN_INSM_8argumentILj0EEEEENSM_5valueIxEEEEEEEEEEEE10hipError_tPvRmT3_T4_T5_T6_T7_T9_mT8_P12ihipStream_tbDpT10_ENKUlT_T0_E_clISt17integral_constantIbLb0EES1J_IbLb1EEEEDaS1F_S1G_EUlS1F_E_NS1_11comp_targetILNS1_3genE3ELNS1_11target_archE908ELNS1_3gpuE7ELNS1_3repE0EEENS1_30default_config_static_selectorELNS0_4arch9wavefront6targetE0EEEvT1_,"axG",@progbits,_ZN7rocprim17ROCPRIM_400000_NS6detail17trampoline_kernelINS0_14default_configENS1_25partition_config_selectorILNS1_17partition_subalgoE6ExNS0_10empty_typeEbEEZZNS1_14partition_implILS5_6ELb0ES3_mN6thrust23THRUST_200600_302600_NS6detail15normal_iteratorINSA_10device_ptrIxEEEEPS6_SG_NS0_5tupleIJSF_S6_EEENSH_IJSG_SG_EEES6_PlJNSB_9not_fun_tINSB_10functional5actorINSM_9compositeIJNSM_27transparent_binary_operatorINSA_8equal_toIvEEEENSN_INSM_8argumentILj0EEEEENSM_5valueIxEEEEEEEEEEEE10hipError_tPvRmT3_T4_T5_T6_T7_T9_mT8_P12ihipStream_tbDpT10_ENKUlT_T0_E_clISt17integral_constantIbLb0EES1J_IbLb1EEEEDaS1F_S1G_EUlS1F_E_NS1_11comp_targetILNS1_3genE3ELNS1_11target_archE908ELNS1_3gpuE7ELNS1_3repE0EEENS1_30default_config_static_selectorELNS0_4arch9wavefront6targetE0EEEvT1_,comdat
.Lfunc_end206:
	.size	_ZN7rocprim17ROCPRIM_400000_NS6detail17trampoline_kernelINS0_14default_configENS1_25partition_config_selectorILNS1_17partition_subalgoE6ExNS0_10empty_typeEbEEZZNS1_14partition_implILS5_6ELb0ES3_mN6thrust23THRUST_200600_302600_NS6detail15normal_iteratorINSA_10device_ptrIxEEEEPS6_SG_NS0_5tupleIJSF_S6_EEENSH_IJSG_SG_EEES6_PlJNSB_9not_fun_tINSB_10functional5actorINSM_9compositeIJNSM_27transparent_binary_operatorINSA_8equal_toIvEEEENSN_INSM_8argumentILj0EEEEENSM_5valueIxEEEEEEEEEEEE10hipError_tPvRmT3_T4_T5_T6_T7_T9_mT8_P12ihipStream_tbDpT10_ENKUlT_T0_E_clISt17integral_constantIbLb0EES1J_IbLb1EEEEDaS1F_S1G_EUlS1F_E_NS1_11comp_targetILNS1_3genE3ELNS1_11target_archE908ELNS1_3gpuE7ELNS1_3repE0EEENS1_30default_config_static_selectorELNS0_4arch9wavefront6targetE0EEEvT1_, .Lfunc_end206-_ZN7rocprim17ROCPRIM_400000_NS6detail17trampoline_kernelINS0_14default_configENS1_25partition_config_selectorILNS1_17partition_subalgoE6ExNS0_10empty_typeEbEEZZNS1_14partition_implILS5_6ELb0ES3_mN6thrust23THRUST_200600_302600_NS6detail15normal_iteratorINSA_10device_ptrIxEEEEPS6_SG_NS0_5tupleIJSF_S6_EEENSH_IJSG_SG_EEES6_PlJNSB_9not_fun_tINSB_10functional5actorINSM_9compositeIJNSM_27transparent_binary_operatorINSA_8equal_toIvEEEENSN_INSM_8argumentILj0EEEEENSM_5valueIxEEEEEEEEEEEE10hipError_tPvRmT3_T4_T5_T6_T7_T9_mT8_P12ihipStream_tbDpT10_ENKUlT_T0_E_clISt17integral_constantIbLb0EES1J_IbLb1EEEEDaS1F_S1G_EUlS1F_E_NS1_11comp_targetILNS1_3genE3ELNS1_11target_archE908ELNS1_3gpuE7ELNS1_3repE0EEENS1_30default_config_static_selectorELNS0_4arch9wavefront6targetE0EEEvT1_
                                        ; -- End function
	.set _ZN7rocprim17ROCPRIM_400000_NS6detail17trampoline_kernelINS0_14default_configENS1_25partition_config_selectorILNS1_17partition_subalgoE6ExNS0_10empty_typeEbEEZZNS1_14partition_implILS5_6ELb0ES3_mN6thrust23THRUST_200600_302600_NS6detail15normal_iteratorINSA_10device_ptrIxEEEEPS6_SG_NS0_5tupleIJSF_S6_EEENSH_IJSG_SG_EEES6_PlJNSB_9not_fun_tINSB_10functional5actorINSM_9compositeIJNSM_27transparent_binary_operatorINSA_8equal_toIvEEEENSN_INSM_8argumentILj0EEEEENSM_5valueIxEEEEEEEEEEEE10hipError_tPvRmT3_T4_T5_T6_T7_T9_mT8_P12ihipStream_tbDpT10_ENKUlT_T0_E_clISt17integral_constantIbLb0EES1J_IbLb1EEEEDaS1F_S1G_EUlS1F_E_NS1_11comp_targetILNS1_3genE3ELNS1_11target_archE908ELNS1_3gpuE7ELNS1_3repE0EEENS1_30default_config_static_selectorELNS0_4arch9wavefront6targetE0EEEvT1_.num_vgpr, 0
	.set _ZN7rocprim17ROCPRIM_400000_NS6detail17trampoline_kernelINS0_14default_configENS1_25partition_config_selectorILNS1_17partition_subalgoE6ExNS0_10empty_typeEbEEZZNS1_14partition_implILS5_6ELb0ES3_mN6thrust23THRUST_200600_302600_NS6detail15normal_iteratorINSA_10device_ptrIxEEEEPS6_SG_NS0_5tupleIJSF_S6_EEENSH_IJSG_SG_EEES6_PlJNSB_9not_fun_tINSB_10functional5actorINSM_9compositeIJNSM_27transparent_binary_operatorINSA_8equal_toIvEEEENSN_INSM_8argumentILj0EEEEENSM_5valueIxEEEEEEEEEEEE10hipError_tPvRmT3_T4_T5_T6_T7_T9_mT8_P12ihipStream_tbDpT10_ENKUlT_T0_E_clISt17integral_constantIbLb0EES1J_IbLb1EEEEDaS1F_S1G_EUlS1F_E_NS1_11comp_targetILNS1_3genE3ELNS1_11target_archE908ELNS1_3gpuE7ELNS1_3repE0EEENS1_30default_config_static_selectorELNS0_4arch9wavefront6targetE0EEEvT1_.num_agpr, 0
	.set _ZN7rocprim17ROCPRIM_400000_NS6detail17trampoline_kernelINS0_14default_configENS1_25partition_config_selectorILNS1_17partition_subalgoE6ExNS0_10empty_typeEbEEZZNS1_14partition_implILS5_6ELb0ES3_mN6thrust23THRUST_200600_302600_NS6detail15normal_iteratorINSA_10device_ptrIxEEEEPS6_SG_NS0_5tupleIJSF_S6_EEENSH_IJSG_SG_EEES6_PlJNSB_9not_fun_tINSB_10functional5actorINSM_9compositeIJNSM_27transparent_binary_operatorINSA_8equal_toIvEEEENSN_INSM_8argumentILj0EEEEENSM_5valueIxEEEEEEEEEEEE10hipError_tPvRmT3_T4_T5_T6_T7_T9_mT8_P12ihipStream_tbDpT10_ENKUlT_T0_E_clISt17integral_constantIbLb0EES1J_IbLb1EEEEDaS1F_S1G_EUlS1F_E_NS1_11comp_targetILNS1_3genE3ELNS1_11target_archE908ELNS1_3gpuE7ELNS1_3repE0EEENS1_30default_config_static_selectorELNS0_4arch9wavefront6targetE0EEEvT1_.numbered_sgpr, 0
	.set _ZN7rocprim17ROCPRIM_400000_NS6detail17trampoline_kernelINS0_14default_configENS1_25partition_config_selectorILNS1_17partition_subalgoE6ExNS0_10empty_typeEbEEZZNS1_14partition_implILS5_6ELb0ES3_mN6thrust23THRUST_200600_302600_NS6detail15normal_iteratorINSA_10device_ptrIxEEEEPS6_SG_NS0_5tupleIJSF_S6_EEENSH_IJSG_SG_EEES6_PlJNSB_9not_fun_tINSB_10functional5actorINSM_9compositeIJNSM_27transparent_binary_operatorINSA_8equal_toIvEEEENSN_INSM_8argumentILj0EEEEENSM_5valueIxEEEEEEEEEEEE10hipError_tPvRmT3_T4_T5_T6_T7_T9_mT8_P12ihipStream_tbDpT10_ENKUlT_T0_E_clISt17integral_constantIbLb0EES1J_IbLb1EEEEDaS1F_S1G_EUlS1F_E_NS1_11comp_targetILNS1_3genE3ELNS1_11target_archE908ELNS1_3gpuE7ELNS1_3repE0EEENS1_30default_config_static_selectorELNS0_4arch9wavefront6targetE0EEEvT1_.num_named_barrier, 0
	.set _ZN7rocprim17ROCPRIM_400000_NS6detail17trampoline_kernelINS0_14default_configENS1_25partition_config_selectorILNS1_17partition_subalgoE6ExNS0_10empty_typeEbEEZZNS1_14partition_implILS5_6ELb0ES3_mN6thrust23THRUST_200600_302600_NS6detail15normal_iteratorINSA_10device_ptrIxEEEEPS6_SG_NS0_5tupleIJSF_S6_EEENSH_IJSG_SG_EEES6_PlJNSB_9not_fun_tINSB_10functional5actorINSM_9compositeIJNSM_27transparent_binary_operatorINSA_8equal_toIvEEEENSN_INSM_8argumentILj0EEEEENSM_5valueIxEEEEEEEEEEEE10hipError_tPvRmT3_T4_T5_T6_T7_T9_mT8_P12ihipStream_tbDpT10_ENKUlT_T0_E_clISt17integral_constantIbLb0EES1J_IbLb1EEEEDaS1F_S1G_EUlS1F_E_NS1_11comp_targetILNS1_3genE3ELNS1_11target_archE908ELNS1_3gpuE7ELNS1_3repE0EEENS1_30default_config_static_selectorELNS0_4arch9wavefront6targetE0EEEvT1_.private_seg_size, 0
	.set _ZN7rocprim17ROCPRIM_400000_NS6detail17trampoline_kernelINS0_14default_configENS1_25partition_config_selectorILNS1_17partition_subalgoE6ExNS0_10empty_typeEbEEZZNS1_14partition_implILS5_6ELb0ES3_mN6thrust23THRUST_200600_302600_NS6detail15normal_iteratorINSA_10device_ptrIxEEEEPS6_SG_NS0_5tupleIJSF_S6_EEENSH_IJSG_SG_EEES6_PlJNSB_9not_fun_tINSB_10functional5actorINSM_9compositeIJNSM_27transparent_binary_operatorINSA_8equal_toIvEEEENSN_INSM_8argumentILj0EEEEENSM_5valueIxEEEEEEEEEEEE10hipError_tPvRmT3_T4_T5_T6_T7_T9_mT8_P12ihipStream_tbDpT10_ENKUlT_T0_E_clISt17integral_constantIbLb0EES1J_IbLb1EEEEDaS1F_S1G_EUlS1F_E_NS1_11comp_targetILNS1_3genE3ELNS1_11target_archE908ELNS1_3gpuE7ELNS1_3repE0EEENS1_30default_config_static_selectorELNS0_4arch9wavefront6targetE0EEEvT1_.uses_vcc, 0
	.set _ZN7rocprim17ROCPRIM_400000_NS6detail17trampoline_kernelINS0_14default_configENS1_25partition_config_selectorILNS1_17partition_subalgoE6ExNS0_10empty_typeEbEEZZNS1_14partition_implILS5_6ELb0ES3_mN6thrust23THRUST_200600_302600_NS6detail15normal_iteratorINSA_10device_ptrIxEEEEPS6_SG_NS0_5tupleIJSF_S6_EEENSH_IJSG_SG_EEES6_PlJNSB_9not_fun_tINSB_10functional5actorINSM_9compositeIJNSM_27transparent_binary_operatorINSA_8equal_toIvEEEENSN_INSM_8argumentILj0EEEEENSM_5valueIxEEEEEEEEEEEE10hipError_tPvRmT3_T4_T5_T6_T7_T9_mT8_P12ihipStream_tbDpT10_ENKUlT_T0_E_clISt17integral_constantIbLb0EES1J_IbLb1EEEEDaS1F_S1G_EUlS1F_E_NS1_11comp_targetILNS1_3genE3ELNS1_11target_archE908ELNS1_3gpuE7ELNS1_3repE0EEENS1_30default_config_static_selectorELNS0_4arch9wavefront6targetE0EEEvT1_.uses_flat_scratch, 0
	.set _ZN7rocprim17ROCPRIM_400000_NS6detail17trampoline_kernelINS0_14default_configENS1_25partition_config_selectorILNS1_17partition_subalgoE6ExNS0_10empty_typeEbEEZZNS1_14partition_implILS5_6ELb0ES3_mN6thrust23THRUST_200600_302600_NS6detail15normal_iteratorINSA_10device_ptrIxEEEEPS6_SG_NS0_5tupleIJSF_S6_EEENSH_IJSG_SG_EEES6_PlJNSB_9not_fun_tINSB_10functional5actorINSM_9compositeIJNSM_27transparent_binary_operatorINSA_8equal_toIvEEEENSN_INSM_8argumentILj0EEEEENSM_5valueIxEEEEEEEEEEEE10hipError_tPvRmT3_T4_T5_T6_T7_T9_mT8_P12ihipStream_tbDpT10_ENKUlT_T0_E_clISt17integral_constantIbLb0EES1J_IbLb1EEEEDaS1F_S1G_EUlS1F_E_NS1_11comp_targetILNS1_3genE3ELNS1_11target_archE908ELNS1_3gpuE7ELNS1_3repE0EEENS1_30default_config_static_selectorELNS0_4arch9wavefront6targetE0EEEvT1_.has_dyn_sized_stack, 0
	.set _ZN7rocprim17ROCPRIM_400000_NS6detail17trampoline_kernelINS0_14default_configENS1_25partition_config_selectorILNS1_17partition_subalgoE6ExNS0_10empty_typeEbEEZZNS1_14partition_implILS5_6ELb0ES3_mN6thrust23THRUST_200600_302600_NS6detail15normal_iteratorINSA_10device_ptrIxEEEEPS6_SG_NS0_5tupleIJSF_S6_EEENSH_IJSG_SG_EEES6_PlJNSB_9not_fun_tINSB_10functional5actorINSM_9compositeIJNSM_27transparent_binary_operatorINSA_8equal_toIvEEEENSN_INSM_8argumentILj0EEEEENSM_5valueIxEEEEEEEEEEEE10hipError_tPvRmT3_T4_T5_T6_T7_T9_mT8_P12ihipStream_tbDpT10_ENKUlT_T0_E_clISt17integral_constantIbLb0EES1J_IbLb1EEEEDaS1F_S1G_EUlS1F_E_NS1_11comp_targetILNS1_3genE3ELNS1_11target_archE908ELNS1_3gpuE7ELNS1_3repE0EEENS1_30default_config_static_selectorELNS0_4arch9wavefront6targetE0EEEvT1_.has_recursion, 0
	.set _ZN7rocprim17ROCPRIM_400000_NS6detail17trampoline_kernelINS0_14default_configENS1_25partition_config_selectorILNS1_17partition_subalgoE6ExNS0_10empty_typeEbEEZZNS1_14partition_implILS5_6ELb0ES3_mN6thrust23THRUST_200600_302600_NS6detail15normal_iteratorINSA_10device_ptrIxEEEEPS6_SG_NS0_5tupleIJSF_S6_EEENSH_IJSG_SG_EEES6_PlJNSB_9not_fun_tINSB_10functional5actorINSM_9compositeIJNSM_27transparent_binary_operatorINSA_8equal_toIvEEEENSN_INSM_8argumentILj0EEEEENSM_5valueIxEEEEEEEEEEEE10hipError_tPvRmT3_T4_T5_T6_T7_T9_mT8_P12ihipStream_tbDpT10_ENKUlT_T0_E_clISt17integral_constantIbLb0EES1J_IbLb1EEEEDaS1F_S1G_EUlS1F_E_NS1_11comp_targetILNS1_3genE3ELNS1_11target_archE908ELNS1_3gpuE7ELNS1_3repE0EEENS1_30default_config_static_selectorELNS0_4arch9wavefront6targetE0EEEvT1_.has_indirect_call, 0
	.section	.AMDGPU.csdata,"",@progbits
; Kernel info:
; codeLenInByte = 0
; TotalNumSgprs: 0
; NumVgprs: 0
; ScratchSize: 0
; MemoryBound: 0
; FloatMode: 240
; IeeeMode: 1
; LDSByteSize: 0 bytes/workgroup (compile time only)
; SGPRBlocks: 0
; VGPRBlocks: 0
; NumSGPRsForWavesPerEU: 1
; NumVGPRsForWavesPerEU: 1
; Occupancy: 16
; WaveLimiterHint : 0
; COMPUTE_PGM_RSRC2:SCRATCH_EN: 0
; COMPUTE_PGM_RSRC2:USER_SGPR: 2
; COMPUTE_PGM_RSRC2:TRAP_HANDLER: 0
; COMPUTE_PGM_RSRC2:TGID_X_EN: 1
; COMPUTE_PGM_RSRC2:TGID_Y_EN: 0
; COMPUTE_PGM_RSRC2:TGID_Z_EN: 0
; COMPUTE_PGM_RSRC2:TIDIG_COMP_CNT: 0
	.section	.text._ZN7rocprim17ROCPRIM_400000_NS6detail17trampoline_kernelINS0_14default_configENS1_25partition_config_selectorILNS1_17partition_subalgoE6ExNS0_10empty_typeEbEEZZNS1_14partition_implILS5_6ELb0ES3_mN6thrust23THRUST_200600_302600_NS6detail15normal_iteratorINSA_10device_ptrIxEEEEPS6_SG_NS0_5tupleIJSF_S6_EEENSH_IJSG_SG_EEES6_PlJNSB_9not_fun_tINSB_10functional5actorINSM_9compositeIJNSM_27transparent_binary_operatorINSA_8equal_toIvEEEENSN_INSM_8argumentILj0EEEEENSM_5valueIxEEEEEEEEEEEE10hipError_tPvRmT3_T4_T5_T6_T7_T9_mT8_P12ihipStream_tbDpT10_ENKUlT_T0_E_clISt17integral_constantIbLb0EES1J_IbLb1EEEEDaS1F_S1G_EUlS1F_E_NS1_11comp_targetILNS1_3genE2ELNS1_11target_archE906ELNS1_3gpuE6ELNS1_3repE0EEENS1_30default_config_static_selectorELNS0_4arch9wavefront6targetE0EEEvT1_,"axG",@progbits,_ZN7rocprim17ROCPRIM_400000_NS6detail17trampoline_kernelINS0_14default_configENS1_25partition_config_selectorILNS1_17partition_subalgoE6ExNS0_10empty_typeEbEEZZNS1_14partition_implILS5_6ELb0ES3_mN6thrust23THRUST_200600_302600_NS6detail15normal_iteratorINSA_10device_ptrIxEEEEPS6_SG_NS0_5tupleIJSF_S6_EEENSH_IJSG_SG_EEES6_PlJNSB_9not_fun_tINSB_10functional5actorINSM_9compositeIJNSM_27transparent_binary_operatorINSA_8equal_toIvEEEENSN_INSM_8argumentILj0EEEEENSM_5valueIxEEEEEEEEEEEE10hipError_tPvRmT3_T4_T5_T6_T7_T9_mT8_P12ihipStream_tbDpT10_ENKUlT_T0_E_clISt17integral_constantIbLb0EES1J_IbLb1EEEEDaS1F_S1G_EUlS1F_E_NS1_11comp_targetILNS1_3genE2ELNS1_11target_archE906ELNS1_3gpuE6ELNS1_3repE0EEENS1_30default_config_static_selectorELNS0_4arch9wavefront6targetE0EEEvT1_,comdat
	.protected	_ZN7rocprim17ROCPRIM_400000_NS6detail17trampoline_kernelINS0_14default_configENS1_25partition_config_selectorILNS1_17partition_subalgoE6ExNS0_10empty_typeEbEEZZNS1_14partition_implILS5_6ELb0ES3_mN6thrust23THRUST_200600_302600_NS6detail15normal_iteratorINSA_10device_ptrIxEEEEPS6_SG_NS0_5tupleIJSF_S6_EEENSH_IJSG_SG_EEES6_PlJNSB_9not_fun_tINSB_10functional5actorINSM_9compositeIJNSM_27transparent_binary_operatorINSA_8equal_toIvEEEENSN_INSM_8argumentILj0EEEEENSM_5valueIxEEEEEEEEEEEE10hipError_tPvRmT3_T4_T5_T6_T7_T9_mT8_P12ihipStream_tbDpT10_ENKUlT_T0_E_clISt17integral_constantIbLb0EES1J_IbLb1EEEEDaS1F_S1G_EUlS1F_E_NS1_11comp_targetILNS1_3genE2ELNS1_11target_archE906ELNS1_3gpuE6ELNS1_3repE0EEENS1_30default_config_static_selectorELNS0_4arch9wavefront6targetE0EEEvT1_ ; -- Begin function _ZN7rocprim17ROCPRIM_400000_NS6detail17trampoline_kernelINS0_14default_configENS1_25partition_config_selectorILNS1_17partition_subalgoE6ExNS0_10empty_typeEbEEZZNS1_14partition_implILS5_6ELb0ES3_mN6thrust23THRUST_200600_302600_NS6detail15normal_iteratorINSA_10device_ptrIxEEEEPS6_SG_NS0_5tupleIJSF_S6_EEENSH_IJSG_SG_EEES6_PlJNSB_9not_fun_tINSB_10functional5actorINSM_9compositeIJNSM_27transparent_binary_operatorINSA_8equal_toIvEEEENSN_INSM_8argumentILj0EEEEENSM_5valueIxEEEEEEEEEEEE10hipError_tPvRmT3_T4_T5_T6_T7_T9_mT8_P12ihipStream_tbDpT10_ENKUlT_T0_E_clISt17integral_constantIbLb0EES1J_IbLb1EEEEDaS1F_S1G_EUlS1F_E_NS1_11comp_targetILNS1_3genE2ELNS1_11target_archE906ELNS1_3gpuE6ELNS1_3repE0EEENS1_30default_config_static_selectorELNS0_4arch9wavefront6targetE0EEEvT1_
	.globl	_ZN7rocprim17ROCPRIM_400000_NS6detail17trampoline_kernelINS0_14default_configENS1_25partition_config_selectorILNS1_17partition_subalgoE6ExNS0_10empty_typeEbEEZZNS1_14partition_implILS5_6ELb0ES3_mN6thrust23THRUST_200600_302600_NS6detail15normal_iteratorINSA_10device_ptrIxEEEEPS6_SG_NS0_5tupleIJSF_S6_EEENSH_IJSG_SG_EEES6_PlJNSB_9not_fun_tINSB_10functional5actorINSM_9compositeIJNSM_27transparent_binary_operatorINSA_8equal_toIvEEEENSN_INSM_8argumentILj0EEEEENSM_5valueIxEEEEEEEEEEEE10hipError_tPvRmT3_T4_T5_T6_T7_T9_mT8_P12ihipStream_tbDpT10_ENKUlT_T0_E_clISt17integral_constantIbLb0EES1J_IbLb1EEEEDaS1F_S1G_EUlS1F_E_NS1_11comp_targetILNS1_3genE2ELNS1_11target_archE906ELNS1_3gpuE6ELNS1_3repE0EEENS1_30default_config_static_selectorELNS0_4arch9wavefront6targetE0EEEvT1_
	.p2align	8
	.type	_ZN7rocprim17ROCPRIM_400000_NS6detail17trampoline_kernelINS0_14default_configENS1_25partition_config_selectorILNS1_17partition_subalgoE6ExNS0_10empty_typeEbEEZZNS1_14partition_implILS5_6ELb0ES3_mN6thrust23THRUST_200600_302600_NS6detail15normal_iteratorINSA_10device_ptrIxEEEEPS6_SG_NS0_5tupleIJSF_S6_EEENSH_IJSG_SG_EEES6_PlJNSB_9not_fun_tINSB_10functional5actorINSM_9compositeIJNSM_27transparent_binary_operatorINSA_8equal_toIvEEEENSN_INSM_8argumentILj0EEEEENSM_5valueIxEEEEEEEEEEEE10hipError_tPvRmT3_T4_T5_T6_T7_T9_mT8_P12ihipStream_tbDpT10_ENKUlT_T0_E_clISt17integral_constantIbLb0EES1J_IbLb1EEEEDaS1F_S1G_EUlS1F_E_NS1_11comp_targetILNS1_3genE2ELNS1_11target_archE906ELNS1_3gpuE6ELNS1_3repE0EEENS1_30default_config_static_selectorELNS0_4arch9wavefront6targetE0EEEvT1_,@function
_ZN7rocprim17ROCPRIM_400000_NS6detail17trampoline_kernelINS0_14default_configENS1_25partition_config_selectorILNS1_17partition_subalgoE6ExNS0_10empty_typeEbEEZZNS1_14partition_implILS5_6ELb0ES3_mN6thrust23THRUST_200600_302600_NS6detail15normal_iteratorINSA_10device_ptrIxEEEEPS6_SG_NS0_5tupleIJSF_S6_EEENSH_IJSG_SG_EEES6_PlJNSB_9not_fun_tINSB_10functional5actorINSM_9compositeIJNSM_27transparent_binary_operatorINSA_8equal_toIvEEEENSN_INSM_8argumentILj0EEEEENSM_5valueIxEEEEEEEEEEEE10hipError_tPvRmT3_T4_T5_T6_T7_T9_mT8_P12ihipStream_tbDpT10_ENKUlT_T0_E_clISt17integral_constantIbLb0EES1J_IbLb1EEEEDaS1F_S1G_EUlS1F_E_NS1_11comp_targetILNS1_3genE2ELNS1_11target_archE906ELNS1_3gpuE6ELNS1_3repE0EEENS1_30default_config_static_selectorELNS0_4arch9wavefront6targetE0EEEvT1_: ; @_ZN7rocprim17ROCPRIM_400000_NS6detail17trampoline_kernelINS0_14default_configENS1_25partition_config_selectorILNS1_17partition_subalgoE6ExNS0_10empty_typeEbEEZZNS1_14partition_implILS5_6ELb0ES3_mN6thrust23THRUST_200600_302600_NS6detail15normal_iteratorINSA_10device_ptrIxEEEEPS6_SG_NS0_5tupleIJSF_S6_EEENSH_IJSG_SG_EEES6_PlJNSB_9not_fun_tINSB_10functional5actorINSM_9compositeIJNSM_27transparent_binary_operatorINSA_8equal_toIvEEEENSN_INSM_8argumentILj0EEEEENSM_5valueIxEEEEEEEEEEEE10hipError_tPvRmT3_T4_T5_T6_T7_T9_mT8_P12ihipStream_tbDpT10_ENKUlT_T0_E_clISt17integral_constantIbLb0EES1J_IbLb1EEEEDaS1F_S1G_EUlS1F_E_NS1_11comp_targetILNS1_3genE2ELNS1_11target_archE906ELNS1_3gpuE6ELNS1_3repE0EEENS1_30default_config_static_selectorELNS0_4arch9wavefront6targetE0EEEvT1_
; %bb.0:
	.section	.rodata,"a",@progbits
	.p2align	6, 0x0
	.amdhsa_kernel _ZN7rocprim17ROCPRIM_400000_NS6detail17trampoline_kernelINS0_14default_configENS1_25partition_config_selectorILNS1_17partition_subalgoE6ExNS0_10empty_typeEbEEZZNS1_14partition_implILS5_6ELb0ES3_mN6thrust23THRUST_200600_302600_NS6detail15normal_iteratorINSA_10device_ptrIxEEEEPS6_SG_NS0_5tupleIJSF_S6_EEENSH_IJSG_SG_EEES6_PlJNSB_9not_fun_tINSB_10functional5actorINSM_9compositeIJNSM_27transparent_binary_operatorINSA_8equal_toIvEEEENSN_INSM_8argumentILj0EEEEENSM_5valueIxEEEEEEEEEEEE10hipError_tPvRmT3_T4_T5_T6_T7_T9_mT8_P12ihipStream_tbDpT10_ENKUlT_T0_E_clISt17integral_constantIbLb0EES1J_IbLb1EEEEDaS1F_S1G_EUlS1F_E_NS1_11comp_targetILNS1_3genE2ELNS1_11target_archE906ELNS1_3gpuE6ELNS1_3repE0EEENS1_30default_config_static_selectorELNS0_4arch9wavefront6targetE0EEEvT1_
		.amdhsa_group_segment_fixed_size 0
		.amdhsa_private_segment_fixed_size 0
		.amdhsa_kernarg_size 136
		.amdhsa_user_sgpr_count 2
		.amdhsa_user_sgpr_dispatch_ptr 0
		.amdhsa_user_sgpr_queue_ptr 0
		.amdhsa_user_sgpr_kernarg_segment_ptr 1
		.amdhsa_user_sgpr_dispatch_id 0
		.amdhsa_user_sgpr_private_segment_size 0
		.amdhsa_wavefront_size32 1
		.amdhsa_uses_dynamic_stack 0
		.amdhsa_enable_private_segment 0
		.amdhsa_system_sgpr_workgroup_id_x 1
		.amdhsa_system_sgpr_workgroup_id_y 0
		.amdhsa_system_sgpr_workgroup_id_z 0
		.amdhsa_system_sgpr_workgroup_info 0
		.amdhsa_system_vgpr_workitem_id 0
		.amdhsa_next_free_vgpr 1
		.amdhsa_next_free_sgpr 1
		.amdhsa_reserve_vcc 0
		.amdhsa_float_round_mode_32 0
		.amdhsa_float_round_mode_16_64 0
		.amdhsa_float_denorm_mode_32 3
		.amdhsa_float_denorm_mode_16_64 3
		.amdhsa_fp16_overflow 0
		.amdhsa_workgroup_processor_mode 1
		.amdhsa_memory_ordered 1
		.amdhsa_forward_progress 1
		.amdhsa_inst_pref_size 0
		.amdhsa_round_robin_scheduling 0
		.amdhsa_exception_fp_ieee_invalid_op 0
		.amdhsa_exception_fp_denorm_src 0
		.amdhsa_exception_fp_ieee_div_zero 0
		.amdhsa_exception_fp_ieee_overflow 0
		.amdhsa_exception_fp_ieee_underflow 0
		.amdhsa_exception_fp_ieee_inexact 0
		.amdhsa_exception_int_div_zero 0
	.end_amdhsa_kernel
	.section	.text._ZN7rocprim17ROCPRIM_400000_NS6detail17trampoline_kernelINS0_14default_configENS1_25partition_config_selectorILNS1_17partition_subalgoE6ExNS0_10empty_typeEbEEZZNS1_14partition_implILS5_6ELb0ES3_mN6thrust23THRUST_200600_302600_NS6detail15normal_iteratorINSA_10device_ptrIxEEEEPS6_SG_NS0_5tupleIJSF_S6_EEENSH_IJSG_SG_EEES6_PlJNSB_9not_fun_tINSB_10functional5actorINSM_9compositeIJNSM_27transparent_binary_operatorINSA_8equal_toIvEEEENSN_INSM_8argumentILj0EEEEENSM_5valueIxEEEEEEEEEEEE10hipError_tPvRmT3_T4_T5_T6_T7_T9_mT8_P12ihipStream_tbDpT10_ENKUlT_T0_E_clISt17integral_constantIbLb0EES1J_IbLb1EEEEDaS1F_S1G_EUlS1F_E_NS1_11comp_targetILNS1_3genE2ELNS1_11target_archE906ELNS1_3gpuE6ELNS1_3repE0EEENS1_30default_config_static_selectorELNS0_4arch9wavefront6targetE0EEEvT1_,"axG",@progbits,_ZN7rocprim17ROCPRIM_400000_NS6detail17trampoline_kernelINS0_14default_configENS1_25partition_config_selectorILNS1_17partition_subalgoE6ExNS0_10empty_typeEbEEZZNS1_14partition_implILS5_6ELb0ES3_mN6thrust23THRUST_200600_302600_NS6detail15normal_iteratorINSA_10device_ptrIxEEEEPS6_SG_NS0_5tupleIJSF_S6_EEENSH_IJSG_SG_EEES6_PlJNSB_9not_fun_tINSB_10functional5actorINSM_9compositeIJNSM_27transparent_binary_operatorINSA_8equal_toIvEEEENSN_INSM_8argumentILj0EEEEENSM_5valueIxEEEEEEEEEEEE10hipError_tPvRmT3_T4_T5_T6_T7_T9_mT8_P12ihipStream_tbDpT10_ENKUlT_T0_E_clISt17integral_constantIbLb0EES1J_IbLb1EEEEDaS1F_S1G_EUlS1F_E_NS1_11comp_targetILNS1_3genE2ELNS1_11target_archE906ELNS1_3gpuE6ELNS1_3repE0EEENS1_30default_config_static_selectorELNS0_4arch9wavefront6targetE0EEEvT1_,comdat
.Lfunc_end207:
	.size	_ZN7rocprim17ROCPRIM_400000_NS6detail17trampoline_kernelINS0_14default_configENS1_25partition_config_selectorILNS1_17partition_subalgoE6ExNS0_10empty_typeEbEEZZNS1_14partition_implILS5_6ELb0ES3_mN6thrust23THRUST_200600_302600_NS6detail15normal_iteratorINSA_10device_ptrIxEEEEPS6_SG_NS0_5tupleIJSF_S6_EEENSH_IJSG_SG_EEES6_PlJNSB_9not_fun_tINSB_10functional5actorINSM_9compositeIJNSM_27transparent_binary_operatorINSA_8equal_toIvEEEENSN_INSM_8argumentILj0EEEEENSM_5valueIxEEEEEEEEEEEE10hipError_tPvRmT3_T4_T5_T6_T7_T9_mT8_P12ihipStream_tbDpT10_ENKUlT_T0_E_clISt17integral_constantIbLb0EES1J_IbLb1EEEEDaS1F_S1G_EUlS1F_E_NS1_11comp_targetILNS1_3genE2ELNS1_11target_archE906ELNS1_3gpuE6ELNS1_3repE0EEENS1_30default_config_static_selectorELNS0_4arch9wavefront6targetE0EEEvT1_, .Lfunc_end207-_ZN7rocprim17ROCPRIM_400000_NS6detail17trampoline_kernelINS0_14default_configENS1_25partition_config_selectorILNS1_17partition_subalgoE6ExNS0_10empty_typeEbEEZZNS1_14partition_implILS5_6ELb0ES3_mN6thrust23THRUST_200600_302600_NS6detail15normal_iteratorINSA_10device_ptrIxEEEEPS6_SG_NS0_5tupleIJSF_S6_EEENSH_IJSG_SG_EEES6_PlJNSB_9not_fun_tINSB_10functional5actorINSM_9compositeIJNSM_27transparent_binary_operatorINSA_8equal_toIvEEEENSN_INSM_8argumentILj0EEEEENSM_5valueIxEEEEEEEEEEEE10hipError_tPvRmT3_T4_T5_T6_T7_T9_mT8_P12ihipStream_tbDpT10_ENKUlT_T0_E_clISt17integral_constantIbLb0EES1J_IbLb1EEEEDaS1F_S1G_EUlS1F_E_NS1_11comp_targetILNS1_3genE2ELNS1_11target_archE906ELNS1_3gpuE6ELNS1_3repE0EEENS1_30default_config_static_selectorELNS0_4arch9wavefront6targetE0EEEvT1_
                                        ; -- End function
	.set _ZN7rocprim17ROCPRIM_400000_NS6detail17trampoline_kernelINS0_14default_configENS1_25partition_config_selectorILNS1_17partition_subalgoE6ExNS0_10empty_typeEbEEZZNS1_14partition_implILS5_6ELb0ES3_mN6thrust23THRUST_200600_302600_NS6detail15normal_iteratorINSA_10device_ptrIxEEEEPS6_SG_NS0_5tupleIJSF_S6_EEENSH_IJSG_SG_EEES6_PlJNSB_9not_fun_tINSB_10functional5actorINSM_9compositeIJNSM_27transparent_binary_operatorINSA_8equal_toIvEEEENSN_INSM_8argumentILj0EEEEENSM_5valueIxEEEEEEEEEEEE10hipError_tPvRmT3_T4_T5_T6_T7_T9_mT8_P12ihipStream_tbDpT10_ENKUlT_T0_E_clISt17integral_constantIbLb0EES1J_IbLb1EEEEDaS1F_S1G_EUlS1F_E_NS1_11comp_targetILNS1_3genE2ELNS1_11target_archE906ELNS1_3gpuE6ELNS1_3repE0EEENS1_30default_config_static_selectorELNS0_4arch9wavefront6targetE0EEEvT1_.num_vgpr, 0
	.set _ZN7rocprim17ROCPRIM_400000_NS6detail17trampoline_kernelINS0_14default_configENS1_25partition_config_selectorILNS1_17partition_subalgoE6ExNS0_10empty_typeEbEEZZNS1_14partition_implILS5_6ELb0ES3_mN6thrust23THRUST_200600_302600_NS6detail15normal_iteratorINSA_10device_ptrIxEEEEPS6_SG_NS0_5tupleIJSF_S6_EEENSH_IJSG_SG_EEES6_PlJNSB_9not_fun_tINSB_10functional5actorINSM_9compositeIJNSM_27transparent_binary_operatorINSA_8equal_toIvEEEENSN_INSM_8argumentILj0EEEEENSM_5valueIxEEEEEEEEEEEE10hipError_tPvRmT3_T4_T5_T6_T7_T9_mT8_P12ihipStream_tbDpT10_ENKUlT_T0_E_clISt17integral_constantIbLb0EES1J_IbLb1EEEEDaS1F_S1G_EUlS1F_E_NS1_11comp_targetILNS1_3genE2ELNS1_11target_archE906ELNS1_3gpuE6ELNS1_3repE0EEENS1_30default_config_static_selectorELNS0_4arch9wavefront6targetE0EEEvT1_.num_agpr, 0
	.set _ZN7rocprim17ROCPRIM_400000_NS6detail17trampoline_kernelINS0_14default_configENS1_25partition_config_selectorILNS1_17partition_subalgoE6ExNS0_10empty_typeEbEEZZNS1_14partition_implILS5_6ELb0ES3_mN6thrust23THRUST_200600_302600_NS6detail15normal_iteratorINSA_10device_ptrIxEEEEPS6_SG_NS0_5tupleIJSF_S6_EEENSH_IJSG_SG_EEES6_PlJNSB_9not_fun_tINSB_10functional5actorINSM_9compositeIJNSM_27transparent_binary_operatorINSA_8equal_toIvEEEENSN_INSM_8argumentILj0EEEEENSM_5valueIxEEEEEEEEEEEE10hipError_tPvRmT3_T4_T5_T6_T7_T9_mT8_P12ihipStream_tbDpT10_ENKUlT_T0_E_clISt17integral_constantIbLb0EES1J_IbLb1EEEEDaS1F_S1G_EUlS1F_E_NS1_11comp_targetILNS1_3genE2ELNS1_11target_archE906ELNS1_3gpuE6ELNS1_3repE0EEENS1_30default_config_static_selectorELNS0_4arch9wavefront6targetE0EEEvT1_.numbered_sgpr, 0
	.set _ZN7rocprim17ROCPRIM_400000_NS6detail17trampoline_kernelINS0_14default_configENS1_25partition_config_selectorILNS1_17partition_subalgoE6ExNS0_10empty_typeEbEEZZNS1_14partition_implILS5_6ELb0ES3_mN6thrust23THRUST_200600_302600_NS6detail15normal_iteratorINSA_10device_ptrIxEEEEPS6_SG_NS0_5tupleIJSF_S6_EEENSH_IJSG_SG_EEES6_PlJNSB_9not_fun_tINSB_10functional5actorINSM_9compositeIJNSM_27transparent_binary_operatorINSA_8equal_toIvEEEENSN_INSM_8argumentILj0EEEEENSM_5valueIxEEEEEEEEEEEE10hipError_tPvRmT3_T4_T5_T6_T7_T9_mT8_P12ihipStream_tbDpT10_ENKUlT_T0_E_clISt17integral_constantIbLb0EES1J_IbLb1EEEEDaS1F_S1G_EUlS1F_E_NS1_11comp_targetILNS1_3genE2ELNS1_11target_archE906ELNS1_3gpuE6ELNS1_3repE0EEENS1_30default_config_static_selectorELNS0_4arch9wavefront6targetE0EEEvT1_.num_named_barrier, 0
	.set _ZN7rocprim17ROCPRIM_400000_NS6detail17trampoline_kernelINS0_14default_configENS1_25partition_config_selectorILNS1_17partition_subalgoE6ExNS0_10empty_typeEbEEZZNS1_14partition_implILS5_6ELb0ES3_mN6thrust23THRUST_200600_302600_NS6detail15normal_iteratorINSA_10device_ptrIxEEEEPS6_SG_NS0_5tupleIJSF_S6_EEENSH_IJSG_SG_EEES6_PlJNSB_9not_fun_tINSB_10functional5actorINSM_9compositeIJNSM_27transparent_binary_operatorINSA_8equal_toIvEEEENSN_INSM_8argumentILj0EEEEENSM_5valueIxEEEEEEEEEEEE10hipError_tPvRmT3_T4_T5_T6_T7_T9_mT8_P12ihipStream_tbDpT10_ENKUlT_T0_E_clISt17integral_constantIbLb0EES1J_IbLb1EEEEDaS1F_S1G_EUlS1F_E_NS1_11comp_targetILNS1_3genE2ELNS1_11target_archE906ELNS1_3gpuE6ELNS1_3repE0EEENS1_30default_config_static_selectorELNS0_4arch9wavefront6targetE0EEEvT1_.private_seg_size, 0
	.set _ZN7rocprim17ROCPRIM_400000_NS6detail17trampoline_kernelINS0_14default_configENS1_25partition_config_selectorILNS1_17partition_subalgoE6ExNS0_10empty_typeEbEEZZNS1_14partition_implILS5_6ELb0ES3_mN6thrust23THRUST_200600_302600_NS6detail15normal_iteratorINSA_10device_ptrIxEEEEPS6_SG_NS0_5tupleIJSF_S6_EEENSH_IJSG_SG_EEES6_PlJNSB_9not_fun_tINSB_10functional5actorINSM_9compositeIJNSM_27transparent_binary_operatorINSA_8equal_toIvEEEENSN_INSM_8argumentILj0EEEEENSM_5valueIxEEEEEEEEEEEE10hipError_tPvRmT3_T4_T5_T6_T7_T9_mT8_P12ihipStream_tbDpT10_ENKUlT_T0_E_clISt17integral_constantIbLb0EES1J_IbLb1EEEEDaS1F_S1G_EUlS1F_E_NS1_11comp_targetILNS1_3genE2ELNS1_11target_archE906ELNS1_3gpuE6ELNS1_3repE0EEENS1_30default_config_static_selectorELNS0_4arch9wavefront6targetE0EEEvT1_.uses_vcc, 0
	.set _ZN7rocprim17ROCPRIM_400000_NS6detail17trampoline_kernelINS0_14default_configENS1_25partition_config_selectorILNS1_17partition_subalgoE6ExNS0_10empty_typeEbEEZZNS1_14partition_implILS5_6ELb0ES3_mN6thrust23THRUST_200600_302600_NS6detail15normal_iteratorINSA_10device_ptrIxEEEEPS6_SG_NS0_5tupleIJSF_S6_EEENSH_IJSG_SG_EEES6_PlJNSB_9not_fun_tINSB_10functional5actorINSM_9compositeIJNSM_27transparent_binary_operatorINSA_8equal_toIvEEEENSN_INSM_8argumentILj0EEEEENSM_5valueIxEEEEEEEEEEEE10hipError_tPvRmT3_T4_T5_T6_T7_T9_mT8_P12ihipStream_tbDpT10_ENKUlT_T0_E_clISt17integral_constantIbLb0EES1J_IbLb1EEEEDaS1F_S1G_EUlS1F_E_NS1_11comp_targetILNS1_3genE2ELNS1_11target_archE906ELNS1_3gpuE6ELNS1_3repE0EEENS1_30default_config_static_selectorELNS0_4arch9wavefront6targetE0EEEvT1_.uses_flat_scratch, 0
	.set _ZN7rocprim17ROCPRIM_400000_NS6detail17trampoline_kernelINS0_14default_configENS1_25partition_config_selectorILNS1_17partition_subalgoE6ExNS0_10empty_typeEbEEZZNS1_14partition_implILS5_6ELb0ES3_mN6thrust23THRUST_200600_302600_NS6detail15normal_iteratorINSA_10device_ptrIxEEEEPS6_SG_NS0_5tupleIJSF_S6_EEENSH_IJSG_SG_EEES6_PlJNSB_9not_fun_tINSB_10functional5actorINSM_9compositeIJNSM_27transparent_binary_operatorINSA_8equal_toIvEEEENSN_INSM_8argumentILj0EEEEENSM_5valueIxEEEEEEEEEEEE10hipError_tPvRmT3_T4_T5_T6_T7_T9_mT8_P12ihipStream_tbDpT10_ENKUlT_T0_E_clISt17integral_constantIbLb0EES1J_IbLb1EEEEDaS1F_S1G_EUlS1F_E_NS1_11comp_targetILNS1_3genE2ELNS1_11target_archE906ELNS1_3gpuE6ELNS1_3repE0EEENS1_30default_config_static_selectorELNS0_4arch9wavefront6targetE0EEEvT1_.has_dyn_sized_stack, 0
	.set _ZN7rocprim17ROCPRIM_400000_NS6detail17trampoline_kernelINS0_14default_configENS1_25partition_config_selectorILNS1_17partition_subalgoE6ExNS0_10empty_typeEbEEZZNS1_14partition_implILS5_6ELb0ES3_mN6thrust23THRUST_200600_302600_NS6detail15normal_iteratorINSA_10device_ptrIxEEEEPS6_SG_NS0_5tupleIJSF_S6_EEENSH_IJSG_SG_EEES6_PlJNSB_9not_fun_tINSB_10functional5actorINSM_9compositeIJNSM_27transparent_binary_operatorINSA_8equal_toIvEEEENSN_INSM_8argumentILj0EEEEENSM_5valueIxEEEEEEEEEEEE10hipError_tPvRmT3_T4_T5_T6_T7_T9_mT8_P12ihipStream_tbDpT10_ENKUlT_T0_E_clISt17integral_constantIbLb0EES1J_IbLb1EEEEDaS1F_S1G_EUlS1F_E_NS1_11comp_targetILNS1_3genE2ELNS1_11target_archE906ELNS1_3gpuE6ELNS1_3repE0EEENS1_30default_config_static_selectorELNS0_4arch9wavefront6targetE0EEEvT1_.has_recursion, 0
	.set _ZN7rocprim17ROCPRIM_400000_NS6detail17trampoline_kernelINS0_14default_configENS1_25partition_config_selectorILNS1_17partition_subalgoE6ExNS0_10empty_typeEbEEZZNS1_14partition_implILS5_6ELb0ES3_mN6thrust23THRUST_200600_302600_NS6detail15normal_iteratorINSA_10device_ptrIxEEEEPS6_SG_NS0_5tupleIJSF_S6_EEENSH_IJSG_SG_EEES6_PlJNSB_9not_fun_tINSB_10functional5actorINSM_9compositeIJNSM_27transparent_binary_operatorINSA_8equal_toIvEEEENSN_INSM_8argumentILj0EEEEENSM_5valueIxEEEEEEEEEEEE10hipError_tPvRmT3_T4_T5_T6_T7_T9_mT8_P12ihipStream_tbDpT10_ENKUlT_T0_E_clISt17integral_constantIbLb0EES1J_IbLb1EEEEDaS1F_S1G_EUlS1F_E_NS1_11comp_targetILNS1_3genE2ELNS1_11target_archE906ELNS1_3gpuE6ELNS1_3repE0EEENS1_30default_config_static_selectorELNS0_4arch9wavefront6targetE0EEEvT1_.has_indirect_call, 0
	.section	.AMDGPU.csdata,"",@progbits
; Kernel info:
; codeLenInByte = 0
; TotalNumSgprs: 0
; NumVgprs: 0
; ScratchSize: 0
; MemoryBound: 0
; FloatMode: 240
; IeeeMode: 1
; LDSByteSize: 0 bytes/workgroup (compile time only)
; SGPRBlocks: 0
; VGPRBlocks: 0
; NumSGPRsForWavesPerEU: 1
; NumVGPRsForWavesPerEU: 1
; Occupancy: 16
; WaveLimiterHint : 0
; COMPUTE_PGM_RSRC2:SCRATCH_EN: 0
; COMPUTE_PGM_RSRC2:USER_SGPR: 2
; COMPUTE_PGM_RSRC2:TRAP_HANDLER: 0
; COMPUTE_PGM_RSRC2:TGID_X_EN: 1
; COMPUTE_PGM_RSRC2:TGID_Y_EN: 0
; COMPUTE_PGM_RSRC2:TGID_Z_EN: 0
; COMPUTE_PGM_RSRC2:TIDIG_COMP_CNT: 0
	.section	.text._ZN7rocprim17ROCPRIM_400000_NS6detail17trampoline_kernelINS0_14default_configENS1_25partition_config_selectorILNS1_17partition_subalgoE6ExNS0_10empty_typeEbEEZZNS1_14partition_implILS5_6ELb0ES3_mN6thrust23THRUST_200600_302600_NS6detail15normal_iteratorINSA_10device_ptrIxEEEEPS6_SG_NS0_5tupleIJSF_S6_EEENSH_IJSG_SG_EEES6_PlJNSB_9not_fun_tINSB_10functional5actorINSM_9compositeIJNSM_27transparent_binary_operatorINSA_8equal_toIvEEEENSN_INSM_8argumentILj0EEEEENSM_5valueIxEEEEEEEEEEEE10hipError_tPvRmT3_T4_T5_T6_T7_T9_mT8_P12ihipStream_tbDpT10_ENKUlT_T0_E_clISt17integral_constantIbLb0EES1J_IbLb1EEEEDaS1F_S1G_EUlS1F_E_NS1_11comp_targetILNS1_3genE10ELNS1_11target_archE1200ELNS1_3gpuE4ELNS1_3repE0EEENS1_30default_config_static_selectorELNS0_4arch9wavefront6targetE0EEEvT1_,"axG",@progbits,_ZN7rocprim17ROCPRIM_400000_NS6detail17trampoline_kernelINS0_14default_configENS1_25partition_config_selectorILNS1_17partition_subalgoE6ExNS0_10empty_typeEbEEZZNS1_14partition_implILS5_6ELb0ES3_mN6thrust23THRUST_200600_302600_NS6detail15normal_iteratorINSA_10device_ptrIxEEEEPS6_SG_NS0_5tupleIJSF_S6_EEENSH_IJSG_SG_EEES6_PlJNSB_9not_fun_tINSB_10functional5actorINSM_9compositeIJNSM_27transparent_binary_operatorINSA_8equal_toIvEEEENSN_INSM_8argumentILj0EEEEENSM_5valueIxEEEEEEEEEEEE10hipError_tPvRmT3_T4_T5_T6_T7_T9_mT8_P12ihipStream_tbDpT10_ENKUlT_T0_E_clISt17integral_constantIbLb0EES1J_IbLb1EEEEDaS1F_S1G_EUlS1F_E_NS1_11comp_targetILNS1_3genE10ELNS1_11target_archE1200ELNS1_3gpuE4ELNS1_3repE0EEENS1_30default_config_static_selectorELNS0_4arch9wavefront6targetE0EEEvT1_,comdat
	.protected	_ZN7rocprim17ROCPRIM_400000_NS6detail17trampoline_kernelINS0_14default_configENS1_25partition_config_selectorILNS1_17partition_subalgoE6ExNS0_10empty_typeEbEEZZNS1_14partition_implILS5_6ELb0ES3_mN6thrust23THRUST_200600_302600_NS6detail15normal_iteratorINSA_10device_ptrIxEEEEPS6_SG_NS0_5tupleIJSF_S6_EEENSH_IJSG_SG_EEES6_PlJNSB_9not_fun_tINSB_10functional5actorINSM_9compositeIJNSM_27transparent_binary_operatorINSA_8equal_toIvEEEENSN_INSM_8argumentILj0EEEEENSM_5valueIxEEEEEEEEEEEE10hipError_tPvRmT3_T4_T5_T6_T7_T9_mT8_P12ihipStream_tbDpT10_ENKUlT_T0_E_clISt17integral_constantIbLb0EES1J_IbLb1EEEEDaS1F_S1G_EUlS1F_E_NS1_11comp_targetILNS1_3genE10ELNS1_11target_archE1200ELNS1_3gpuE4ELNS1_3repE0EEENS1_30default_config_static_selectorELNS0_4arch9wavefront6targetE0EEEvT1_ ; -- Begin function _ZN7rocprim17ROCPRIM_400000_NS6detail17trampoline_kernelINS0_14default_configENS1_25partition_config_selectorILNS1_17partition_subalgoE6ExNS0_10empty_typeEbEEZZNS1_14partition_implILS5_6ELb0ES3_mN6thrust23THRUST_200600_302600_NS6detail15normal_iteratorINSA_10device_ptrIxEEEEPS6_SG_NS0_5tupleIJSF_S6_EEENSH_IJSG_SG_EEES6_PlJNSB_9not_fun_tINSB_10functional5actorINSM_9compositeIJNSM_27transparent_binary_operatorINSA_8equal_toIvEEEENSN_INSM_8argumentILj0EEEEENSM_5valueIxEEEEEEEEEEEE10hipError_tPvRmT3_T4_T5_T6_T7_T9_mT8_P12ihipStream_tbDpT10_ENKUlT_T0_E_clISt17integral_constantIbLb0EES1J_IbLb1EEEEDaS1F_S1G_EUlS1F_E_NS1_11comp_targetILNS1_3genE10ELNS1_11target_archE1200ELNS1_3gpuE4ELNS1_3repE0EEENS1_30default_config_static_selectorELNS0_4arch9wavefront6targetE0EEEvT1_
	.globl	_ZN7rocprim17ROCPRIM_400000_NS6detail17trampoline_kernelINS0_14default_configENS1_25partition_config_selectorILNS1_17partition_subalgoE6ExNS0_10empty_typeEbEEZZNS1_14partition_implILS5_6ELb0ES3_mN6thrust23THRUST_200600_302600_NS6detail15normal_iteratorINSA_10device_ptrIxEEEEPS6_SG_NS0_5tupleIJSF_S6_EEENSH_IJSG_SG_EEES6_PlJNSB_9not_fun_tINSB_10functional5actorINSM_9compositeIJNSM_27transparent_binary_operatorINSA_8equal_toIvEEEENSN_INSM_8argumentILj0EEEEENSM_5valueIxEEEEEEEEEEEE10hipError_tPvRmT3_T4_T5_T6_T7_T9_mT8_P12ihipStream_tbDpT10_ENKUlT_T0_E_clISt17integral_constantIbLb0EES1J_IbLb1EEEEDaS1F_S1G_EUlS1F_E_NS1_11comp_targetILNS1_3genE10ELNS1_11target_archE1200ELNS1_3gpuE4ELNS1_3repE0EEENS1_30default_config_static_selectorELNS0_4arch9wavefront6targetE0EEEvT1_
	.p2align	8
	.type	_ZN7rocprim17ROCPRIM_400000_NS6detail17trampoline_kernelINS0_14default_configENS1_25partition_config_selectorILNS1_17partition_subalgoE6ExNS0_10empty_typeEbEEZZNS1_14partition_implILS5_6ELb0ES3_mN6thrust23THRUST_200600_302600_NS6detail15normal_iteratorINSA_10device_ptrIxEEEEPS6_SG_NS0_5tupleIJSF_S6_EEENSH_IJSG_SG_EEES6_PlJNSB_9not_fun_tINSB_10functional5actorINSM_9compositeIJNSM_27transparent_binary_operatorINSA_8equal_toIvEEEENSN_INSM_8argumentILj0EEEEENSM_5valueIxEEEEEEEEEEEE10hipError_tPvRmT3_T4_T5_T6_T7_T9_mT8_P12ihipStream_tbDpT10_ENKUlT_T0_E_clISt17integral_constantIbLb0EES1J_IbLb1EEEEDaS1F_S1G_EUlS1F_E_NS1_11comp_targetILNS1_3genE10ELNS1_11target_archE1200ELNS1_3gpuE4ELNS1_3repE0EEENS1_30default_config_static_selectorELNS0_4arch9wavefront6targetE0EEEvT1_,@function
_ZN7rocprim17ROCPRIM_400000_NS6detail17trampoline_kernelINS0_14default_configENS1_25partition_config_selectorILNS1_17partition_subalgoE6ExNS0_10empty_typeEbEEZZNS1_14partition_implILS5_6ELb0ES3_mN6thrust23THRUST_200600_302600_NS6detail15normal_iteratorINSA_10device_ptrIxEEEEPS6_SG_NS0_5tupleIJSF_S6_EEENSH_IJSG_SG_EEES6_PlJNSB_9not_fun_tINSB_10functional5actorINSM_9compositeIJNSM_27transparent_binary_operatorINSA_8equal_toIvEEEENSN_INSM_8argumentILj0EEEEENSM_5valueIxEEEEEEEEEEEE10hipError_tPvRmT3_T4_T5_T6_T7_T9_mT8_P12ihipStream_tbDpT10_ENKUlT_T0_E_clISt17integral_constantIbLb0EES1J_IbLb1EEEEDaS1F_S1G_EUlS1F_E_NS1_11comp_targetILNS1_3genE10ELNS1_11target_archE1200ELNS1_3gpuE4ELNS1_3repE0EEENS1_30default_config_static_selectorELNS0_4arch9wavefront6targetE0EEEvT1_: ; @_ZN7rocprim17ROCPRIM_400000_NS6detail17trampoline_kernelINS0_14default_configENS1_25partition_config_selectorILNS1_17partition_subalgoE6ExNS0_10empty_typeEbEEZZNS1_14partition_implILS5_6ELb0ES3_mN6thrust23THRUST_200600_302600_NS6detail15normal_iteratorINSA_10device_ptrIxEEEEPS6_SG_NS0_5tupleIJSF_S6_EEENSH_IJSG_SG_EEES6_PlJNSB_9not_fun_tINSB_10functional5actorINSM_9compositeIJNSM_27transparent_binary_operatorINSA_8equal_toIvEEEENSN_INSM_8argumentILj0EEEEENSM_5valueIxEEEEEEEEEEEE10hipError_tPvRmT3_T4_T5_T6_T7_T9_mT8_P12ihipStream_tbDpT10_ENKUlT_T0_E_clISt17integral_constantIbLb0EES1J_IbLb1EEEEDaS1F_S1G_EUlS1F_E_NS1_11comp_targetILNS1_3genE10ELNS1_11target_archE1200ELNS1_3gpuE4ELNS1_3repE0EEENS1_30default_config_static_selectorELNS0_4arch9wavefront6targetE0EEEvT1_
; %bb.0:
	s_clause 0x3
	s_load_b64 s[12:13], s[0:1], 0x28
	s_load_b128 s[8:11], s[0:1], 0x40
	s_load_b64 s[18:19], s[0:1], 0x50
	s_load_b64 s[14:15], s[0:1], 0x60
	v_cmp_eq_u32_e64 s2, 0, v0
	s_and_saveexec_b32 s3, s2
	s_cbranch_execz .LBB208_4
; %bb.1:
	s_mov_b32 s5, exec_lo
	s_mov_b32 s4, exec_lo
	v_mbcnt_lo_u32_b32 v1, s5, 0
                                        ; implicit-def: $vgpr2
	s_delay_alu instid0(VALU_DEP_1)
	v_cmpx_eq_u32_e32 0, v1
	s_cbranch_execz .LBB208_3
; %bb.2:
	s_load_b64 s[6:7], s[0:1], 0x70
	s_bcnt1_i32_b32 s5, s5
	s_wait_alu 0xfffe
	v_dual_mov_b32 v2, 0 :: v_dual_mov_b32 v3, s5
	s_wait_kmcnt 0x0
	global_atomic_add_u32 v2, v2, v3, s[6:7] th:TH_ATOMIC_RETURN scope:SCOPE_DEV
.LBB208_3:
	s_or_b32 exec_lo, exec_lo, s4
	s_wait_loadcnt 0x0
	v_readfirstlane_b32 s4, v2
	s_wait_alu 0xf1ff
	s_delay_alu instid0(VALU_DEP_1)
	v_dual_mov_b32 v2, 0 :: v_dual_add_nc_u32 v1, s4, v1
	ds_store_b32 v2, v1
.LBB208_4:
	s_or_b32 exec_lo, exec_lo, s3
	v_mov_b32_e32 v2, 0
	s_clause 0x2
	s_load_b128 s[4:7], s[0:1], 0x8
	s_load_b32 s3, s[0:1], 0x68
	s_load_b64 s[16:17], s[0:1], 0x80
	s_wait_dscnt 0x0
	s_barrier_signal -1
	s_barrier_wait -1
	global_inv scope:SCOPE_SE
	ds_load_b32 v1, v2
	s_wait_loadcnt_dscnt 0x0
	s_barrier_signal -1
	s_barrier_wait -1
	global_inv scope:SCOPE_SE
	s_wait_kmcnt 0x0
	global_load_b64 v[17:18], v2, s[10:11]
	s_mov_b32 s1, 0
	v_lshrrev_b32_e32 v9, 2, v0
	v_or_b32_e32 v11, 0x200, v0
	v_or_b32_e32 v10, 0x300, v0
	s_lshl_b64 s[20:21], s[6:7], 3
	s_lshl_b32 s0, s3, 10
	s_add_co_i32 s10, s3, -1
	s_add_nc_u64 s[22:23], s[6:7], s[0:1]
	s_lshl_b32 s3, s10, 10
	v_cmp_le_u64_e64 s1, s[18:19], s[22:23]
	s_add_co_i32 s0, s6, s3
	v_readfirstlane_b32 s11, v1
	v_lshlrev_b32_e32 v1, 10, v1
	s_add_nc_u64 s[4:5], s[4:5], s[20:21]
	s_cmp_eq_u32 s11, s10
	s_delay_alu instid0(VALU_DEP_1) | instskip(SKIP_1) | instid1(SALU_CYCLE_1)
	v_lshlrev_b64_e32 v[1:2], 3, v[1:2]
	s_cselect_b32 s6, -1, 0
	s_and_b32 s1, s1, s6
	s_delay_alu instid0(SALU_CYCLE_1) | instskip(SKIP_1) | instid1(VALU_DEP_1)
	s_xor_b32 s7, s1, -1
	s_wait_alu 0xfffe
	v_add_co_u32 v12, vcc_lo, s4, v1
	s_delay_alu instid0(VALU_DEP_1)
	v_add_co_ci_u32_e64 v13, null, s5, v2, vcc_lo
	s_and_b32 vcc_lo, exec_lo, s7
	s_mov_b32 s1, -1
	s_wait_alu 0xfffe
	s_cbranch_vccz .LBB208_6
; %bb.5:
	v_lshlrev_b32_e32 v14, 3, v0
	v_or_b32_e32 v15, 0x100, v0
	v_lshrrev_b32_e32 v16, 2, v11
	v_lshrrev_b32_e32 v19, 2, v10
	v_and_b32_e32 v20, 56, v9
	v_add_co_u32 v1, vcc_lo, v12, v14
	s_wait_alu 0xfffd
	v_add_co_ci_u32_e64 v2, null, 0, v13, vcc_lo
	v_lshrrev_b32_e32 v15, 2, v15
	v_and_b32_e32 v16, 0xb8, v16
	v_and_b32_e32 v19, 0xf8, v19
	s_clause 0x3
	flat_load_b64 v[3:4], v[1:2]
	flat_load_b64 v[5:6], v[1:2] offset:2048
	flat_load_b64 v[7:8], v[1:2] offset:4096
	flat_load_b64 v[1:2], v[1:2] offset:6144
	v_add_nc_u32_e32 v20, v20, v14
	v_and_b32_e32 v15, 0x78, v15
	v_add_nc_u32_e32 v16, v16, v14
	s_mov_b32 s1, 0
	s_delay_alu instid0(VALU_DEP_2)
	v_add_nc_u32_e32 v15, v15, v14
	v_add_nc_u32_e32 v14, v19, v14
	s_wait_loadcnt_dscnt 0x303
	ds_store_b64 v20, v[3:4]
	s_wait_loadcnt_dscnt 0x203
	ds_store_b64 v15, v[5:6] offset:2048
	s_wait_loadcnt_dscnt 0x103
	ds_store_b64 v16, v[7:8] offset:4096
	;; [unrolled: 2-line block ×3, first 2 shown]
	s_wait_dscnt 0x0
	s_barrier_signal -1
	s_barrier_wait -1
.LBB208_6:
	s_and_not1_b32 vcc_lo, exec_lo, s1
	s_sub_co_i32 s18, s18, s0
	s_wait_alu 0xfffe
	s_cbranch_vccnz .LBB208_14
; %bb.7:
	v_mov_b32_e32 v1, 0
	s_mov_b32 s0, exec_lo
	s_delay_alu instid0(VALU_DEP_1)
	v_dual_mov_b32 v2, v1 :: v_dual_mov_b32 v3, v1
	v_dual_mov_b32 v4, v1 :: v_dual_mov_b32 v5, v1
	;; [unrolled: 1-line block ×3, first 2 shown]
	v_mov_b32_e32 v8, v1
	v_cmpx_gt_u32_e64 s18, v0
	s_cbranch_execz .LBB208_9
; %bb.8:
	v_dual_mov_b32 v21, v1 :: v_dual_lshlrev_b32 v2, 3, v0
	v_dual_mov_b32 v22, v1 :: v_dual_mov_b32 v23, v1
	v_dual_mov_b32 v24, v1 :: v_dual_mov_b32 v25, v1
	s_delay_alu instid0(VALU_DEP_3)
	v_add_co_u32 v2, vcc_lo, v12, v2
	s_wait_alu 0xfffd
	v_add_co_ci_u32_e64 v3, null, 0, v13, vcc_lo
	v_mov_b32_e32 v26, v1
	flat_load_b64 v[19:20], v[2:3]
	s_wait_loadcnt_dscnt 0x0
	v_dual_mov_b32 v1, v19 :: v_dual_mov_b32 v2, v20
	v_dual_mov_b32 v3, v21 :: v_dual_mov_b32 v4, v22
	;; [unrolled: 1-line block ×4, first 2 shown]
.LBB208_9:
	s_or_b32 exec_lo, exec_lo, s0
	v_or_b32_e32 v14, 0x100, v0
	s_mov_b32 s0, exec_lo
	s_delay_alu instid0(VALU_DEP_1)
	v_cmpx_gt_u32_e64 s18, v14
	s_cbranch_execnz .LBB208_132
; %bb.10:
	s_or_b32 exec_lo, exec_lo, s0
	s_delay_alu instid0(SALU_CYCLE_1)
	s_mov_b32 s0, exec_lo
	v_cmpx_gt_u32_e64 s18, v11
	s_cbranch_execnz .LBB208_133
.LBB208_11:
	s_or_b32 exec_lo, exec_lo, s0
	s_delay_alu instid0(SALU_CYCLE_1)
	s_mov_b32 s0, exec_lo
	v_cmpx_gt_u32_e64 s18, v10
	s_cbranch_execz .LBB208_13
.LBB208_12:
	v_lshlrev_b32_e32 v7, 3, v0
	s_delay_alu instid0(VALU_DEP_1)
	v_add_co_u32 v7, vcc_lo, v12, v7
	s_wait_alu 0xfffd
	v_add_co_ci_u32_e64 v8, null, 0, v13, vcc_lo
	flat_load_b64 v[7:8], v[7:8] offset:6144
.LBB208_13:
	s_or_b32 exec_lo, exec_lo, s0
	v_lshrrev_b32_e32 v12, 2, v14
	v_lshrrev_b32_e32 v11, 2, v11
	;; [unrolled: 1-line block ×3, first 2 shown]
	v_and_b32_e32 v9, 56, v9
	v_lshlrev_b32_e32 v13, 3, v0
	v_and_b32_e32 v12, 0x78, v12
	v_and_b32_e32 v11, 0xf8, v11
	;; [unrolled: 1-line block ×3, first 2 shown]
	s_delay_alu instid0(VALU_DEP_4) | instskip(NEXT) | instid1(VALU_DEP_4)
	v_add_nc_u32_e32 v9, v9, v13
	v_add_nc_u32_e32 v12, v12, v13
	s_delay_alu instid0(VALU_DEP_4) | instskip(NEXT) | instid1(VALU_DEP_4)
	v_add_nc_u32_e32 v11, v11, v13
	v_add_nc_u32_e32 v10, v10, v13
	ds_store_b64 v9, v[1:2]
	s_wait_loadcnt_dscnt 0x1
	ds_store_b64 v12, v[3:4] offset:2048
	ds_store_b64 v11, v[5:6] offset:4096
	;; [unrolled: 1-line block ×3, first 2 shown]
	s_wait_dscnt 0x0
	s_barrier_signal -1
	s_barrier_wait -1
.LBB208_14:
	v_and_b32_e32 v1, 0xf8, v0
	s_wait_loadcnt 0x0
	global_inv scope:SCOPE_SE
	s_and_not1_b32 vcc_lo, exec_lo, s7
	v_lshl_add_u32 v5, v0, 5, v1
	ds_load_2addr_b64 v[1:4], v5 offset1:3
	ds_load_2addr_b64 v[5:8], v5 offset0:1 offset1:2
	s_wait_loadcnt_dscnt 0x0
	s_barrier_signal -1
	s_barrier_wait -1
	global_inv scope:SCOPE_SE
	v_cmp_ne_u64_e64 s0, s[16:17], v[1:2]
	v_cmp_ne_u64_e64 s10, s[16:17], v[3:4]
	s_wait_alu 0xfffe
	s_cbranch_vccnz .LBB208_16
; %bb.15:
	v_cmp_ne_u64_e32 vcc_lo, s[16:17], v[7:8]
	v_cndmask_b32_e64 v29, 0, 1, s0
	s_wait_alu 0xfffd
	v_cndmask_b32_e64 v27, 0, 1, vcc_lo
	v_cmp_ne_u64_e32 vcc_lo, s[16:17], v[5:6]
	s_delay_alu instid0(VALU_DEP_2) | instskip(SKIP_2) | instid1(VALU_DEP_1)
	v_lshlrev_b16 v10, 8, v27
	s_wait_alu 0xfffd
	v_cndmask_b32_e64 v9, 0, 1, vcc_lo
	v_or_b32_e32 v28, v9, v10
	s_cbranch_execz .LBB208_17
	s_branch .LBB208_18
.LBB208_16:
                                        ; implicit-def: $sgpr10
                                        ; implicit-def: $vgpr29
                                        ; implicit-def: $vgpr28
                                        ; implicit-def: $vgpr27
.LBB208_17:
	v_lshlrev_b32_e32 v9, 2, v0
	v_cmp_ne_u64_e64 s0, s[16:17], v[7:8]
	v_cmp_ne_u64_e64 s3, s[16:17], v[5:6]
	v_cmp_ne_u64_e32 vcc_lo, s[16:17], v[1:2]
	v_cmp_ne_u64_e64 s4, s[16:17], v[3:4]
	v_or_b32_e32 v10, 2, v9
	v_or_b32_e32 v11, 1, v9
	s_delay_alu instid0(VALU_DEP_2) | instskip(NEXT) | instid1(VALU_DEP_2)
	v_cmp_gt_u32_e64 s1, s18, v10
	v_cmp_gt_u32_e64 s5, s18, v11
	v_or_b32_e32 v10, 3, v9
	s_and_b32 s0, s1, s0
	s_and_b32 s3, s5, s3
	s_wait_alu 0xfffe
	v_cndmask_b32_e64 v27, 0, 1, s0
	v_cmp_gt_u32_e64 s0, s18, v9
	v_cmp_gt_u32_e64 s1, s18, v10
	v_cndmask_b32_e64 v9, 0, 1, s3
	s_delay_alu instid0(VALU_DEP_4)
	v_lshlrev_b16 v10, 8, v27
	s_and_b32 s0, s0, vcc_lo
	s_wait_alu 0xfffe
	v_cndmask_b32_e64 v29, 0, 1, s0
	s_and_b32 s0, s1, s4
	v_or_b32_e32 v28, v9, v10
	s_and_not1_b32 s1, s10, exec_lo
	s_wait_alu 0xfffe
	s_and_b32 s0, s0, exec_lo
	s_wait_alu 0xfffe
	s_or_b32 s10, s1, s0
.LBB208_18:
	v_and_b32_e32 v32, 0xff, v29
	s_delay_alu instid0(VALU_DEP_2)
	v_dual_mov_b32 v10, 0 :: v_dual_and_b32 v31, 0xff, v28
	v_cndmask_b32_e64 v9, 0, 1, s10
	v_mbcnt_lo_u32_b32 v33, -1, 0
	v_and_b32_e32 v30, 0xff, v27
	s_cmp_lg_u32 s11, 0
	s_mov_b32 s1, -1
	v_add3_u32 v9, v32, v9, v31
	v_and_b32_e32 v34, 15, v33
	s_delay_alu instid0(VALU_DEP_2) | instskip(SKIP_2) | instid1(VALU_DEP_3)
	v_add_co_u32 v19, s0, v9, v30
	s_wait_alu 0xf1ff
	v_add_co_ci_u32_e64 v20, null, 0, 0, s0
	v_cmp_ne_u32_e64 s0, 0, v34
	s_cbranch_scc0 .LBB208_75
; %bb.19:
	v_mov_b32_e32 v11, v19
	v_mov_b32_dpp v9, v19 row_shr:1 row_mask:0xf bank_mask:0xf
	v_mov_b32_dpp v14, v10 row_shr:1 row_mask:0xf bank_mask:0xf
	v_dual_mov_b32 v13, v19 :: v_dual_mov_b32 v12, v20
	s_and_saveexec_b32 s1, s0
; %bb.20:
	s_delay_alu instid0(VALU_DEP_3) | instskip(SKIP_2) | instid1(VALU_DEP_2)
	v_add_co_u32 v13, vcc_lo, v19, v9
	s_wait_alu 0xfffd
	v_add_co_ci_u32_e64 v10, null, 0, v20, vcc_lo
	v_add_co_u32 v9, vcc_lo, 0, v13
	s_wait_alu 0xfffd
	s_delay_alu instid0(VALU_DEP_2) | instskip(NEXT) | instid1(VALU_DEP_1)
	v_add_co_ci_u32_e64 v10, null, v14, v10, vcc_lo
	v_dual_mov_b32 v12, v10 :: v_dual_mov_b32 v11, v9
; %bb.21:
	s_wait_alu 0xfffe
	s_or_b32 exec_lo, exec_lo, s1
	v_mov_b32_dpp v9, v13 row_shr:2 row_mask:0xf bank_mask:0xf
	v_mov_b32_dpp v14, v10 row_shr:2 row_mask:0xf bank_mask:0xf
	s_mov_b32 s1, exec_lo
	v_cmpx_lt_u32_e32 1, v34
; %bb.22:
	s_delay_alu instid0(VALU_DEP_3) | instskip(SKIP_2) | instid1(VALU_DEP_2)
	v_add_co_u32 v13, vcc_lo, v11, v9
	s_wait_alu 0xfffd
	v_add_co_ci_u32_e64 v10, null, 0, v12, vcc_lo
	v_add_co_u32 v9, vcc_lo, 0, v13
	s_wait_alu 0xfffd
	s_delay_alu instid0(VALU_DEP_2) | instskip(NEXT) | instid1(VALU_DEP_1)
	v_add_co_ci_u32_e64 v10, null, v14, v10, vcc_lo
	v_dual_mov_b32 v12, v10 :: v_dual_mov_b32 v11, v9
; %bb.23:
	s_wait_alu 0xfffe
	s_or_b32 exec_lo, exec_lo, s1
	v_mov_b32_dpp v9, v13 row_shr:4 row_mask:0xf bank_mask:0xf
	v_mov_b32_dpp v14, v10 row_shr:4 row_mask:0xf bank_mask:0xf
	s_mov_b32 s1, exec_lo
	v_cmpx_lt_u32_e32 3, v34
	;; [unrolled: 17-line block ×3, first 2 shown]
; %bb.26:
	s_delay_alu instid0(VALU_DEP_3) | instskip(SKIP_2) | instid1(VALU_DEP_2)
	v_add_co_u32 v13, vcc_lo, v11, v14
	s_wait_alu 0xfffd
	v_add_co_ci_u32_e64 v10, null, 0, v12, vcc_lo
	v_add_co_u32 v11, vcc_lo, 0, v13
	s_wait_alu 0xfffd
	s_delay_alu instid0(VALU_DEP_2) | instskip(NEXT) | instid1(VALU_DEP_1)
	v_add_co_ci_u32_e64 v12, null, v9, v10, vcc_lo
	v_mov_b32_e32 v10, v12
; %bb.27:
	s_wait_alu 0xfffe
	s_or_b32 exec_lo, exec_lo, s1
	ds_swizzle_b32 v9, v13 offset:swizzle(BROADCAST,32,15)
	ds_swizzle_b32 v14, v10 offset:swizzle(BROADCAST,32,15)
	v_and_b32_e32 v15, 16, v33
	s_mov_b32 s1, exec_lo
	s_delay_alu instid0(VALU_DEP_1)
	v_cmpx_ne_u32_e32 0, v15
	s_cbranch_execz .LBB208_29
; %bb.28:
	s_wait_dscnt 0x1
	v_add_co_u32 v13, vcc_lo, v11, v9
	s_wait_alu 0xfffd
	v_add_co_ci_u32_e64 v10, null, 0, v12, vcc_lo
	s_delay_alu instid0(VALU_DEP_2) | instskip(SKIP_2) | instid1(VALU_DEP_2)
	v_add_co_u32 v9, vcc_lo, 0, v13
	s_wait_dscnt 0x0
	s_wait_alu 0xfffd
	v_add_co_ci_u32_e64 v10, null, v14, v10, vcc_lo
	s_delay_alu instid0(VALU_DEP_1)
	v_dual_mov_b32 v12, v10 :: v_dual_mov_b32 v11, v9
.LBB208_29:
	s_wait_alu 0xfffe
	s_or_b32 exec_lo, exec_lo, s1
	s_wait_dscnt 0x0
	v_or_b32_e32 v14, 31, v0
	v_lshrrev_b32_e32 v9, 5, v0
	s_mov_b32 s1, exec_lo
	s_delay_alu instid0(VALU_DEP_2)
	v_cmpx_eq_u32_e64 v0, v14
; %bb.30:
	s_delay_alu instid0(VALU_DEP_2)
	v_lshlrev_b32_e32 v14, 3, v9
	ds_store_b64 v14, v[11:12]
; %bb.31:
	s_wait_alu 0xfffe
	s_or_b32 exec_lo, exec_lo, s1
	s_delay_alu instid0(SALU_CYCLE_1)
	s_mov_b32 s1, exec_lo
	s_wait_loadcnt_dscnt 0x0
	s_barrier_signal -1
	s_barrier_wait -1
	global_inv scope:SCOPE_SE
	v_cmpx_gt_u32_e32 8, v0
	s_cbranch_execz .LBB208_39
; %bb.32:
	v_lshlrev_b32_e32 v14, 3, v0
	s_mov_b32 s3, exec_lo
	ds_load_b64 v[11:12], v14
	s_wait_dscnt 0x0
	v_dual_mov_b32 v16, v11 :: v_dual_and_b32 v15, 7, v33
	v_mov_b32_dpp v22, v11 row_shr:1 row_mask:0xf bank_mask:0xf
	v_mov_b32_dpp v21, v12 row_shr:1 row_mask:0xf bank_mask:0xf
	s_delay_alu instid0(VALU_DEP_3)
	v_cmpx_ne_u32_e32 0, v15
; %bb.33:
	s_delay_alu instid0(VALU_DEP_3) | instskip(SKIP_2) | instid1(VALU_DEP_2)
	v_add_co_u32 v16, vcc_lo, v11, v22
	s_wait_alu 0xfffd
	v_add_co_ci_u32_e64 v12, null, 0, v12, vcc_lo
	v_add_co_u32 v11, vcc_lo, 0, v16
	s_wait_alu 0xfffd
	s_delay_alu instid0(VALU_DEP_2)
	v_add_co_ci_u32_e64 v12, null, v21, v12, vcc_lo
; %bb.34:
	s_wait_alu 0xfffe
	s_or_b32 exec_lo, exec_lo, s3
	v_mov_b32_dpp v22, v16 row_shr:2 row_mask:0xf bank_mask:0xf
	s_delay_alu instid0(VALU_DEP_2)
	v_mov_b32_dpp v21, v12 row_shr:2 row_mask:0xf bank_mask:0xf
	s_mov_b32 s3, exec_lo
	v_cmpx_lt_u32_e32 1, v15
; %bb.35:
	s_delay_alu instid0(VALU_DEP_3) | instskip(SKIP_2) | instid1(VALU_DEP_2)
	v_add_co_u32 v16, vcc_lo, v11, v22
	s_wait_alu 0xfffd
	v_add_co_ci_u32_e64 v12, null, 0, v12, vcc_lo
	v_add_co_u32 v11, vcc_lo, 0, v16
	s_wait_alu 0xfffd
	s_delay_alu instid0(VALU_DEP_2)
	v_add_co_ci_u32_e64 v12, null, v21, v12, vcc_lo
; %bb.36:
	s_wait_alu 0xfffe
	s_or_b32 exec_lo, exec_lo, s3
	v_mov_b32_dpp v21, v16 row_shr:4 row_mask:0xf bank_mask:0xf
	s_delay_alu instid0(VALU_DEP_2)
	v_mov_b32_dpp v16, v12 row_shr:4 row_mask:0xf bank_mask:0xf
	s_mov_b32 s3, exec_lo
	v_cmpx_lt_u32_e32 3, v15
; %bb.37:
	s_delay_alu instid0(VALU_DEP_3) | instskip(SKIP_2) | instid1(VALU_DEP_2)
	v_add_co_u32 v11, vcc_lo, v11, v21
	s_wait_alu 0xfffd
	v_add_co_ci_u32_e64 v12, null, 0, v12, vcc_lo
	v_add_co_u32 v11, vcc_lo, v11, 0
	s_wait_alu 0xfffd
	s_delay_alu instid0(VALU_DEP_2)
	v_add_co_ci_u32_e64 v12, null, v12, v16, vcc_lo
; %bb.38:
	s_wait_alu 0xfffe
	s_or_b32 exec_lo, exec_lo, s3
	ds_store_b64 v14, v[11:12]
.LBB208_39:
	s_wait_alu 0xfffe
	s_or_b32 exec_lo, exec_lo, s1
	s_delay_alu instid0(SALU_CYCLE_1)
	s_mov_b32 s3, exec_lo
	v_cmp_gt_u32_e32 vcc_lo, 32, v0
	s_wait_loadcnt_dscnt 0x0
	s_barrier_signal -1
	s_barrier_wait -1
	global_inv scope:SCOPE_SE
                                        ; implicit-def: $vgpr21_vgpr22
	v_cmpx_lt_u32_e32 31, v0
	s_cbranch_execz .LBB208_41
; %bb.40:
	v_lshl_add_u32 v9, v9, 3, -8
	ds_load_b64 v[21:22], v9
	s_wait_dscnt 0x0
	v_add_co_u32 v13, s1, v13, v21
	s_wait_alu 0xf1ff
	v_add_co_ci_u32_e64 v10, null, v10, v22, s1
.LBB208_41:
	s_wait_alu 0xfffe
	s_or_b32 exec_lo, exec_lo, s3
	v_sub_co_u32 v9, s1, v33, 1
	s_delay_alu instid0(VALU_DEP_1) | instskip(SKIP_1) | instid1(VALU_DEP_1)
	v_cmp_gt_i32_e64 s3, 0, v9
	s_wait_alu 0xf1ff
	v_cndmask_b32_e64 v9, v9, v33, s3
	s_delay_alu instid0(VALU_DEP_1)
	v_lshlrev_b32_e32 v9, 2, v9
	ds_bpermute_b32 v35, v9, v13
	ds_bpermute_b32 v36, v9, v10
	s_and_saveexec_b32 s3, vcc_lo
	s_cbranch_execz .LBB208_80
; %bb.42:
	v_mov_b32_e32 v12, 0
	ds_load_b64 v[9:10], v12 offset:56
	s_and_saveexec_b32 s4, s1
	s_cbranch_execz .LBB208_44
; %bb.43:
	s_add_co_i32 s16, s11, 32
	s_mov_b32 s17, 0
	s_wait_alu 0xfffe
	s_lshl_b64 s[16:17], s[16:17], 4
	s_wait_alu 0xfffe
	s_add_nc_u64 s[16:17], s[14:15], s[16:17]
	v_mov_b32_e32 v11, 1
	s_wait_alu 0xfffe
	v_dual_mov_b32 v13, s16 :: v_dual_mov_b32 v14, s17
	s_wait_dscnt 0x0
	;;#ASMSTART
	global_store_b128 v[13:14], v[9:12] off scope:SCOPE_DEV	
s_wait_storecnt 0x0
	;;#ASMEND
.LBB208_44:
	s_wait_alu 0xfffe
	s_or_b32 exec_lo, exec_lo, s4
	v_xad_u32 v23, v33, -1, s11
	s_mov_b32 s5, 0
	s_mov_b32 s4, exec_lo
	s_delay_alu instid0(VALU_DEP_1) | instskip(NEXT) | instid1(VALU_DEP_1)
	v_add_nc_u32_e32 v11, 32, v23
	v_lshlrev_b64_e32 v[11:12], 4, v[11:12]
	s_delay_alu instid0(VALU_DEP_1) | instskip(SKIP_1) | instid1(VALU_DEP_2)
	v_add_co_u32 v11, vcc_lo, s14, v11
	s_wait_alu 0xfffd
	v_add_co_ci_u32_e64 v12, null, s15, v12, vcc_lo
	;;#ASMSTART
	global_load_b128 v[13:16], v[11:12] off scope:SCOPE_DEV	
s_wait_loadcnt 0x0
	;;#ASMEND
	v_and_b32_e32 v16, 0xff, v15
	s_delay_alu instid0(VALU_DEP_1)
	v_cmpx_eq_u16_e32 0, v16
	s_cbranch_execz .LBB208_47
.LBB208_45:                             ; =>This Inner Loop Header: Depth=1
	;;#ASMSTART
	global_load_b128 v[13:16], v[11:12] off scope:SCOPE_DEV	
s_wait_loadcnt 0x0
	;;#ASMEND
	v_and_b32_e32 v16, 0xff, v15
	s_delay_alu instid0(VALU_DEP_1)
	v_cmp_ne_u16_e32 vcc_lo, 0, v16
	s_wait_alu 0xfffe
	s_or_b32 s5, vcc_lo, s5
	s_wait_alu 0xfffe
	s_and_not1_b32 exec_lo, exec_lo, s5
	s_cbranch_execnz .LBB208_45
; %bb.46:
	s_or_b32 exec_lo, exec_lo, s5
.LBB208_47:
	s_wait_alu 0xfffe
	s_or_b32 exec_lo, exec_lo, s4
	v_cmp_ne_u32_e32 vcc_lo, 31, v33
	v_and_b32_e32 v12, 0xff, v15
	v_lshlrev_b32_e64 v38, v33, -1
	s_mov_b32 s4, exec_lo
	s_wait_alu 0xfffd
	v_add_co_ci_u32_e64 v11, null, 0, v33, vcc_lo
	v_cmp_eq_u16_e32 vcc_lo, 2, v12
	s_delay_alu instid0(VALU_DEP_2)
	v_dual_mov_b32 v12, v13 :: v_dual_lshlrev_b32 v37, 2, v11
	s_wait_alu 0xfffd
	v_and_or_b32 v11, vcc_lo, v38, 0x80000000
	ds_bpermute_b32 v24, v37, v13
	ds_bpermute_b32 v16, v37, v14
	v_ctz_i32_b32_e32 v11, v11
	s_delay_alu instid0(VALU_DEP_1)
	v_cmpx_lt_u32_e64 v33, v11
	s_cbranch_execz .LBB208_49
; %bb.48:
	s_wait_dscnt 0x1
	v_add_co_u32 v12, vcc_lo, v13, v24
	s_wait_alu 0xfffd
	v_add_co_ci_u32_e64 v14, null, 0, v14, vcc_lo
	s_delay_alu instid0(VALU_DEP_2) | instskip(SKIP_2) | instid1(VALU_DEP_2)
	v_add_co_u32 v13, vcc_lo, 0, v12
	s_wait_dscnt 0x0
	s_wait_alu 0xfffd
	v_add_co_ci_u32_e64 v14, null, v16, v14, vcc_lo
.LBB208_49:
	s_wait_alu 0xfffe
	s_or_b32 exec_lo, exec_lo, s4
	v_cmp_gt_u32_e32 vcc_lo, 30, v33
	v_add_nc_u32_e32 v40, 2, v33
	s_mov_b32 s4, exec_lo
	s_wait_dscnt 0x0
	s_wait_alu 0xfffd
	v_cndmask_b32_e64 v16, 0, 2, vcc_lo
	s_delay_alu instid0(VALU_DEP_1)
	v_add_lshl_u32 v39, v16, v33, 2
	ds_bpermute_b32 v24, v39, v12
	ds_bpermute_b32 v16, v39, v14
	v_cmpx_le_u32_e64 v40, v11
	s_cbranch_execz .LBB208_51
; %bb.50:
	s_wait_dscnt 0x1
	v_add_co_u32 v12, vcc_lo, v13, v24
	s_wait_alu 0xfffd
	v_add_co_ci_u32_e64 v14, null, 0, v14, vcc_lo
	s_delay_alu instid0(VALU_DEP_2) | instskip(SKIP_2) | instid1(VALU_DEP_2)
	v_add_co_u32 v13, vcc_lo, 0, v12
	s_wait_dscnt 0x0
	s_wait_alu 0xfffd
	v_add_co_ci_u32_e64 v14, null, v16, v14, vcc_lo
.LBB208_51:
	s_wait_alu 0xfffe
	s_or_b32 exec_lo, exec_lo, s4
	v_cmp_gt_u32_e32 vcc_lo, 28, v33
	v_add_nc_u32_e32 v42, 4, v33
	s_mov_b32 s4, exec_lo
	s_wait_dscnt 0x0
	s_wait_alu 0xfffd
	v_cndmask_b32_e64 v16, 0, 4, vcc_lo
	s_delay_alu instid0(VALU_DEP_1)
	v_add_lshl_u32 v41, v16, v33, 2
	ds_bpermute_b32 v24, v41, v12
	ds_bpermute_b32 v16, v41, v14
	v_cmpx_le_u32_e64 v42, v11
	;; [unrolled: 25-line block ×3, first 2 shown]
	s_cbranch_execz .LBB208_55
; %bb.54:
	s_wait_dscnt 0x1
	v_add_co_u32 v12, vcc_lo, v13, v24
	s_wait_alu 0xfffd
	v_add_co_ci_u32_e64 v14, null, 0, v14, vcc_lo
	s_delay_alu instid0(VALU_DEP_2) | instskip(SKIP_2) | instid1(VALU_DEP_2)
	v_add_co_u32 v13, vcc_lo, 0, v12
	s_wait_dscnt 0x0
	s_wait_alu 0xfffd
	v_add_co_ci_u32_e64 v14, null, v16, v14, vcc_lo
.LBB208_55:
	s_wait_alu 0xfffe
	s_or_b32 exec_lo, exec_lo, s4
	v_lshl_or_b32 v45, v33, 2, 64
	v_add_nc_u32_e32 v46, 16, v33
	s_mov_b32 s4, exec_lo
	s_wait_dscnt 0x0
	ds_bpermute_b32 v16, v45, v12
	ds_bpermute_b32 v12, v45, v14
	v_cmpx_le_u32_e64 v46, v11
	s_cbranch_execz .LBB208_57
; %bb.56:
	s_wait_dscnt 0x1
	v_add_co_u32 v11, vcc_lo, v13, v16
	s_wait_alu 0xfffd
	v_add_co_ci_u32_e64 v14, null, 0, v14, vcc_lo
	s_delay_alu instid0(VALU_DEP_2) | instskip(SKIP_2) | instid1(VALU_DEP_2)
	v_add_co_u32 v13, vcc_lo, v11, 0
	s_wait_dscnt 0x0
	s_wait_alu 0xfffd
	v_add_co_ci_u32_e64 v14, null, v14, v12, vcc_lo
.LBB208_57:
	s_wait_alu 0xfffe
	s_or_b32 exec_lo, exec_lo, s4
	v_mov_b32_e32 v24, 0
	s_branch .LBB208_60
.LBB208_58:                             ;   in Loop: Header=BB208_60 Depth=1
	s_wait_alu 0xfffe
	s_or_b32 exec_lo, exec_lo, s4
	v_add_co_u32 v13, vcc_lo, v13, v11
	v_subrev_nc_u32_e32 v23, 32, v23
	s_wait_alu 0xfffd
	v_add_co_ci_u32_e64 v14, null, v14, v12, vcc_lo
	s_mov_b32 s4, 0
.LBB208_59:                             ;   in Loop: Header=BB208_60 Depth=1
	s_wait_alu 0xfffe
	s_and_b32 vcc_lo, exec_lo, s4
	s_wait_alu 0xfffe
	s_cbranch_vccnz .LBB208_76
.LBB208_60:                             ; =>This Loop Header: Depth=1
                                        ;     Child Loop BB208_63 Depth 2
	v_and_b32_e32 v11, 0xff, v15
	s_mov_b32 s4, -1
	s_delay_alu instid0(VALU_DEP_1)
	v_cmp_ne_u16_e32 vcc_lo, 2, v11
	s_wait_dscnt 0x0
	v_dual_mov_b32 v11, v13 :: v_dual_mov_b32 v12, v14
                                        ; implicit-def: $vgpr13_vgpr14
	s_cmp_lg_u32 vcc_lo, exec_lo
	s_cbranch_scc1 .LBB208_59
; %bb.61:                               ;   in Loop: Header=BB208_60 Depth=1
	v_lshlrev_b64_e32 v[13:14], 4, v[23:24]
	s_mov_b32 s4, exec_lo
	s_delay_alu instid0(VALU_DEP_1) | instskip(SKIP_1) | instid1(VALU_DEP_2)
	v_add_co_u32 v25, vcc_lo, s14, v13
	s_wait_alu 0xfffd
	v_add_co_ci_u32_e64 v26, null, s15, v14, vcc_lo
	;;#ASMSTART
	global_load_b128 v[13:16], v[25:26] off scope:SCOPE_DEV	
s_wait_loadcnt 0x0
	;;#ASMEND
	v_and_b32_e32 v16, 0xff, v15
	s_delay_alu instid0(VALU_DEP_1)
	v_cmpx_eq_u16_e32 0, v16
	s_cbranch_execz .LBB208_65
; %bb.62:                               ;   in Loop: Header=BB208_60 Depth=1
	s_mov_b32 s5, 0
.LBB208_63:                             ;   Parent Loop BB208_60 Depth=1
                                        ; =>  This Inner Loop Header: Depth=2
	;;#ASMSTART
	global_load_b128 v[13:16], v[25:26] off scope:SCOPE_DEV	
s_wait_loadcnt 0x0
	;;#ASMEND
	v_and_b32_e32 v16, 0xff, v15
	s_delay_alu instid0(VALU_DEP_1)
	v_cmp_ne_u16_e32 vcc_lo, 0, v16
	s_wait_alu 0xfffe
	s_or_b32 s5, vcc_lo, s5
	s_wait_alu 0xfffe
	s_and_not1_b32 exec_lo, exec_lo, s5
	s_cbranch_execnz .LBB208_63
; %bb.64:                               ;   in Loop: Header=BB208_60 Depth=1
	s_or_b32 exec_lo, exec_lo, s5
.LBB208_65:                             ;   in Loop: Header=BB208_60 Depth=1
	s_wait_alu 0xfffe
	s_or_b32 exec_lo, exec_lo, s4
	v_dual_mov_b32 v25, v13 :: v_dual_and_b32 v16, 0xff, v15
	ds_bpermute_b32 v47, v37, v13
	ds_bpermute_b32 v26, v37, v14
	s_mov_b32 s4, exec_lo
	v_cmp_eq_u16_e32 vcc_lo, 2, v16
	s_wait_alu 0xfffd
	v_and_or_b32 v16, vcc_lo, v38, 0x80000000
	s_delay_alu instid0(VALU_DEP_1) | instskip(NEXT) | instid1(VALU_DEP_1)
	v_ctz_i32_b32_e32 v16, v16
	v_cmpx_lt_u32_e64 v33, v16
	s_cbranch_execz .LBB208_67
; %bb.66:                               ;   in Loop: Header=BB208_60 Depth=1
	s_wait_dscnt 0x1
	v_add_co_u32 v25, vcc_lo, v13, v47
	s_wait_alu 0xfffd
	v_add_co_ci_u32_e64 v14, null, 0, v14, vcc_lo
	s_delay_alu instid0(VALU_DEP_2) | instskip(SKIP_2) | instid1(VALU_DEP_2)
	v_add_co_u32 v13, vcc_lo, 0, v25
	s_wait_dscnt 0x0
	s_wait_alu 0xfffd
	v_add_co_ci_u32_e64 v14, null, v26, v14, vcc_lo
.LBB208_67:                             ;   in Loop: Header=BB208_60 Depth=1
	s_wait_alu 0xfffe
	s_or_b32 exec_lo, exec_lo, s4
	s_wait_dscnt 0x1
	ds_bpermute_b32 v47, v39, v25
	s_wait_dscnt 0x1
	ds_bpermute_b32 v26, v39, v14
	s_mov_b32 s4, exec_lo
	v_cmpx_le_u32_e64 v40, v16
	s_cbranch_execz .LBB208_69
; %bb.68:                               ;   in Loop: Header=BB208_60 Depth=1
	s_wait_dscnt 0x1
	v_add_co_u32 v25, vcc_lo, v13, v47
	s_wait_alu 0xfffd
	v_add_co_ci_u32_e64 v14, null, 0, v14, vcc_lo
	s_delay_alu instid0(VALU_DEP_2) | instskip(SKIP_2) | instid1(VALU_DEP_2)
	v_add_co_u32 v13, vcc_lo, 0, v25
	s_wait_dscnt 0x0
	s_wait_alu 0xfffd
	v_add_co_ci_u32_e64 v14, null, v26, v14, vcc_lo
.LBB208_69:                             ;   in Loop: Header=BB208_60 Depth=1
	s_wait_alu 0xfffe
	s_or_b32 exec_lo, exec_lo, s4
	s_wait_dscnt 0x1
	ds_bpermute_b32 v47, v41, v25
	s_wait_dscnt 0x1
	ds_bpermute_b32 v26, v41, v14
	s_mov_b32 s4, exec_lo
	v_cmpx_le_u32_e64 v42, v16
	;; [unrolled: 20-line block ×3, first 2 shown]
	s_cbranch_execz .LBB208_73
; %bb.72:                               ;   in Loop: Header=BB208_60 Depth=1
	s_wait_dscnt 0x1
	v_add_co_u32 v25, vcc_lo, v13, v47
	s_wait_alu 0xfffd
	v_add_co_ci_u32_e64 v14, null, 0, v14, vcc_lo
	s_delay_alu instid0(VALU_DEP_2) | instskip(SKIP_2) | instid1(VALU_DEP_2)
	v_add_co_u32 v13, vcc_lo, 0, v25
	s_wait_dscnt 0x0
	s_wait_alu 0xfffd
	v_add_co_ci_u32_e64 v14, null, v26, v14, vcc_lo
.LBB208_73:                             ;   in Loop: Header=BB208_60 Depth=1
	s_wait_alu 0xfffe
	s_or_b32 exec_lo, exec_lo, s4
	s_wait_dscnt 0x0
	ds_bpermute_b32 v26, v45, v25
	ds_bpermute_b32 v25, v45, v14
	s_mov_b32 s4, exec_lo
	v_cmpx_le_u32_e64 v46, v16
	s_cbranch_execz .LBB208_58
; %bb.74:                               ;   in Loop: Header=BB208_60 Depth=1
	s_wait_dscnt 0x1
	v_add_co_u32 v13, vcc_lo, v13, v26
	s_wait_alu 0xfffd
	v_add_co_ci_u32_e64 v14, null, 0, v14, vcc_lo
	s_delay_alu instid0(VALU_DEP_2) | instskip(SKIP_2) | instid1(VALU_DEP_2)
	v_add_co_u32 v13, vcc_lo, v13, 0
	s_wait_dscnt 0x0
	s_wait_alu 0xfffd
	v_add_co_ci_u32_e64 v14, null, v14, v25, vcc_lo
	s_branch .LBB208_58
.LBB208_75:
                                        ; implicit-def: $vgpr15_vgpr16
                                        ; implicit-def: $vgpr13_vgpr14
                                        ; implicit-def: $vgpr21_vgpr22
                                        ; implicit-def: $vgpr23_vgpr24
                                        ; implicit-def: $vgpr11_vgpr12
	s_wait_alu 0xfffe
	s_and_b32 vcc_lo, exec_lo, s1
	s_wait_alu 0xfffe
	s_cbranch_vccnz .LBB208_81
	s_branch .LBB208_106
.LBB208_76:
	s_and_saveexec_b32 s4, s1
	s_cbranch_execz .LBB208_78
; %bb.77:
	s_add_co_i32 s16, s11, 32
	s_mov_b32 s17, 0
	v_add_co_u32 v13, vcc_lo, v11, v9
	s_wait_alu 0xfffe
	s_lshl_b64 s[16:17], s[16:17], 4
	v_dual_mov_b32 v15, 2 :: v_dual_mov_b32 v16, 0
	s_wait_alu 0xfffe
	s_add_nc_u64 s[16:17], s[14:15], s[16:17]
	s_wait_alu 0xfffd
	v_add_co_ci_u32_e64 v14, null, v12, v10, vcc_lo
	s_wait_alu 0xfffe
	v_dual_mov_b32 v24, s17 :: v_dual_mov_b32 v23, s16
	;;#ASMSTART
	global_store_b128 v[23:24], v[13:16] off scope:SCOPE_DEV	
s_wait_storecnt 0x0
	;;#ASMEND
	ds_store_b128 v16, v[9:12] offset:8448
.LBB208_78:
	s_wait_alu 0xfffe
	s_or_b32 exec_lo, exec_lo, s4
	s_delay_alu instid0(SALU_CYCLE_1)
	s_and_b32 exec_lo, exec_lo, s2
; %bb.79:
	v_mov_b32_e32 v9, 0
	ds_store_b64 v9, v[11:12] offset:56
.LBB208_80:
	s_wait_alu 0xfffe
	s_or_b32 exec_lo, exec_lo, s3
	v_mov_b32_e32 v9, 0
	s_wait_loadcnt_dscnt 0x0
	s_barrier_signal -1
	s_barrier_wait -1
	global_inv scope:SCOPE_SE
	ds_load_b64 v[13:14], v9 offset:56
	v_cndmask_b32_e64 v11, v35, v21, s1
	v_cndmask_b32_e64 v10, v36, v22, s1
	s_wait_loadcnt_dscnt 0x0
	s_barrier_signal -1
	s_barrier_wait -1
	v_cndmask_b32_e64 v16, v11, 0, s2
	v_cndmask_b32_e64 v15, v10, 0, s2
	global_inv scope:SCOPE_SE
	ds_load_b128 v[9:12], v9 offset:8448
	v_add_co_u32 v23, vcc_lo, v13, v16
	s_wait_alu 0xfffd
	v_add_co_ci_u32_e64 v24, null, v14, v15, vcc_lo
	s_delay_alu instid0(VALU_DEP_2) | instskip(SKIP_1) | instid1(VALU_DEP_2)
	v_add_co_u32 v21, vcc_lo, v23, v32
	s_wait_alu 0xfffd
	v_add_co_ci_u32_e64 v22, null, 0, v24, vcc_lo
	s_delay_alu instid0(VALU_DEP_2) | instskip(SKIP_1) | instid1(VALU_DEP_2)
	;; [unrolled: 4-line block ×3, first 2 shown]
	v_add_co_u32 v15, vcc_lo, v13, v30
	s_wait_alu 0xfffd
	v_add_co_ci_u32_e64 v16, null, 0, v14, vcc_lo
	s_branch .LBB208_106
.LBB208_81:
	s_wait_dscnt 0x0
	v_dual_mov_b32 v10, 0 :: v_dual_mov_b32 v11, v19
	v_mov_b32_dpp v12, v19 row_shr:1 row_mask:0xf bank_mask:0xf
	s_delay_alu instid0(VALU_DEP_2)
	v_mov_b32_dpp v9, v10 row_shr:1 row_mask:0xf bank_mask:0xf
	s_and_saveexec_b32 s1, s0
; %bb.82:
	s_delay_alu instid0(VALU_DEP_2) | instskip(SKIP_2) | instid1(VALU_DEP_2)
	v_add_co_u32 v11, vcc_lo, v19, v12
	s_wait_alu 0xfffd
	v_add_co_ci_u32_e64 v10, null, 0, v20, vcc_lo
	v_add_co_u32 v19, vcc_lo, 0, v11
	s_wait_alu 0xfffd
	s_delay_alu instid0(VALU_DEP_2) | instskip(NEXT) | instid1(VALU_DEP_1)
	v_add_co_ci_u32_e64 v20, null, v9, v10, vcc_lo
	v_mov_b32_e32 v10, v20
; %bb.83:
	s_wait_alu 0xfffe
	s_or_b32 exec_lo, exec_lo, s1
	v_mov_b32_dpp v9, v11 row_shr:2 row_mask:0xf bank_mask:0xf
	s_delay_alu instid0(VALU_DEP_2)
	v_mov_b32_dpp v12, v10 row_shr:2 row_mask:0xf bank_mask:0xf
	s_mov_b32 s0, exec_lo
	v_cmpx_lt_u32_e32 1, v34
; %bb.84:
	s_delay_alu instid0(VALU_DEP_3) | instskip(SKIP_2) | instid1(VALU_DEP_2)
	v_add_co_u32 v11, vcc_lo, v19, v9
	s_wait_alu 0xfffd
	v_add_co_ci_u32_e64 v10, null, 0, v20, vcc_lo
	v_add_co_u32 v9, vcc_lo, 0, v11
	s_wait_alu 0xfffd
	s_delay_alu instid0(VALU_DEP_2) | instskip(NEXT) | instid1(VALU_DEP_1)
	v_add_co_ci_u32_e64 v10, null, v12, v10, vcc_lo
	v_dual_mov_b32 v20, v10 :: v_dual_mov_b32 v19, v9
; %bb.85:
	s_wait_alu 0xfffe
	s_or_b32 exec_lo, exec_lo, s0
	v_mov_b32_dpp v9, v11 row_shr:4 row_mask:0xf bank_mask:0xf
	v_mov_b32_dpp v12, v10 row_shr:4 row_mask:0xf bank_mask:0xf
	s_mov_b32 s0, exec_lo
	v_cmpx_lt_u32_e32 3, v34
; %bb.86:
	s_delay_alu instid0(VALU_DEP_3) | instskip(SKIP_2) | instid1(VALU_DEP_2)
	v_add_co_u32 v11, vcc_lo, v19, v9
	s_wait_alu 0xfffd
	v_add_co_ci_u32_e64 v10, null, 0, v20, vcc_lo
	v_add_co_u32 v9, vcc_lo, 0, v11
	s_wait_alu 0xfffd
	s_delay_alu instid0(VALU_DEP_2) | instskip(NEXT) | instid1(VALU_DEP_1)
	v_add_co_ci_u32_e64 v10, null, v12, v10, vcc_lo
	v_dual_mov_b32 v20, v10 :: v_dual_mov_b32 v19, v9
; %bb.87:
	s_wait_alu 0xfffe
	s_or_b32 exec_lo, exec_lo, s0
	v_mov_b32_dpp v12, v11 row_shr:8 row_mask:0xf bank_mask:0xf
	v_mov_b32_dpp v9, v10 row_shr:8 row_mask:0xf bank_mask:0xf
	s_mov_b32 s0, exec_lo
	v_cmpx_lt_u32_e32 7, v34
; %bb.88:
	s_delay_alu instid0(VALU_DEP_3) | instskip(SKIP_2) | instid1(VALU_DEP_2)
	v_add_co_u32 v11, vcc_lo, v19, v12
	s_wait_alu 0xfffd
	v_add_co_ci_u32_e64 v10, null, 0, v20, vcc_lo
	v_add_co_u32 v19, vcc_lo, 0, v11
	s_wait_alu 0xfffd
	s_delay_alu instid0(VALU_DEP_2) | instskip(NEXT) | instid1(VALU_DEP_1)
	v_add_co_ci_u32_e64 v20, null, v9, v10, vcc_lo
	v_mov_b32_e32 v10, v20
; %bb.89:
	s_wait_alu 0xfffe
	s_or_b32 exec_lo, exec_lo, s0
	ds_swizzle_b32 v11, v11 offset:swizzle(BROADCAST,32,15)
	ds_swizzle_b32 v9, v10 offset:swizzle(BROADCAST,32,15)
	v_and_b32_e32 v10, 16, v33
	s_mov_b32 s0, exec_lo
	s_delay_alu instid0(VALU_DEP_1)
	v_cmpx_ne_u32_e32 0, v10
	s_cbranch_execz .LBB208_91
; %bb.90:
	s_wait_dscnt 0x1
	v_add_co_u32 v10, vcc_lo, v19, v11
	s_wait_alu 0xfffd
	v_add_co_ci_u32_e64 v11, null, 0, v20, vcc_lo
	s_delay_alu instid0(VALU_DEP_2) | instskip(SKIP_2) | instid1(VALU_DEP_2)
	v_add_co_u32 v19, vcc_lo, v10, 0
	s_wait_dscnt 0x0
	s_wait_alu 0xfffd
	v_add_co_ci_u32_e64 v20, null, v11, v9, vcc_lo
.LBB208_91:
	s_wait_alu 0xfffe
	s_or_b32 exec_lo, exec_lo, s0
	s_wait_dscnt 0x0
	v_or_b32_e32 v9, 31, v0
	v_lshrrev_b32_e32 v11, 5, v0
	s_mov_b32 s0, exec_lo
	s_delay_alu instid0(VALU_DEP_2)
	v_cmpx_eq_u32_e64 v0, v9
; %bb.92:
	s_delay_alu instid0(VALU_DEP_2)
	v_lshlrev_b32_e32 v9, 3, v11
	ds_store_b64 v9, v[19:20]
; %bb.93:
	s_wait_alu 0xfffe
	s_or_b32 exec_lo, exec_lo, s0
	s_delay_alu instid0(SALU_CYCLE_1)
	s_mov_b32 s0, exec_lo
	s_wait_loadcnt_dscnt 0x0
	s_barrier_signal -1
	s_barrier_wait -1
	global_inv scope:SCOPE_SE
	v_cmpx_gt_u32_e32 8, v0
	s_cbranch_execz .LBB208_101
; %bb.94:
	v_lshlrev_b32_e32 v12, 3, v0
	s_mov_b32 s1, exec_lo
	ds_load_b64 v[9:10], v12
	s_wait_dscnt 0x0
	v_dual_mov_b32 v14, v9 :: v_dual_and_b32 v13, 7, v33
	v_mov_b32_dpp v16, v9 row_shr:1 row_mask:0xf bank_mask:0xf
	v_mov_b32_dpp v15, v10 row_shr:1 row_mask:0xf bank_mask:0xf
	s_delay_alu instid0(VALU_DEP_3)
	v_cmpx_ne_u32_e32 0, v13
; %bb.95:
	s_delay_alu instid0(VALU_DEP_3) | instskip(SKIP_2) | instid1(VALU_DEP_2)
	v_add_co_u32 v14, vcc_lo, v9, v16
	s_wait_alu 0xfffd
	v_add_co_ci_u32_e64 v10, null, 0, v10, vcc_lo
	v_add_co_u32 v9, vcc_lo, 0, v14
	s_wait_alu 0xfffd
	s_delay_alu instid0(VALU_DEP_2)
	v_add_co_ci_u32_e64 v10, null, v15, v10, vcc_lo
; %bb.96:
	s_wait_alu 0xfffe
	s_or_b32 exec_lo, exec_lo, s1
	v_mov_b32_dpp v16, v14 row_shr:2 row_mask:0xf bank_mask:0xf
	s_delay_alu instid0(VALU_DEP_2)
	v_mov_b32_dpp v15, v10 row_shr:2 row_mask:0xf bank_mask:0xf
	s_mov_b32 s1, exec_lo
	v_cmpx_lt_u32_e32 1, v13
; %bb.97:
	s_delay_alu instid0(VALU_DEP_3) | instskip(SKIP_2) | instid1(VALU_DEP_2)
	v_add_co_u32 v14, vcc_lo, v9, v16
	s_wait_alu 0xfffd
	v_add_co_ci_u32_e64 v10, null, 0, v10, vcc_lo
	v_add_co_u32 v9, vcc_lo, 0, v14
	s_wait_alu 0xfffd
	s_delay_alu instid0(VALU_DEP_2)
	v_add_co_ci_u32_e64 v10, null, v15, v10, vcc_lo
; %bb.98:
	s_wait_alu 0xfffe
	s_or_b32 exec_lo, exec_lo, s1
	v_mov_b32_dpp v15, v14 row_shr:4 row_mask:0xf bank_mask:0xf
	s_delay_alu instid0(VALU_DEP_2)
	v_mov_b32_dpp v14, v10 row_shr:4 row_mask:0xf bank_mask:0xf
	s_mov_b32 s1, exec_lo
	v_cmpx_lt_u32_e32 3, v13
; %bb.99:
	s_delay_alu instid0(VALU_DEP_3) | instskip(SKIP_2) | instid1(VALU_DEP_2)
	v_add_co_u32 v9, vcc_lo, v9, v15
	s_wait_alu 0xfffd
	v_add_co_ci_u32_e64 v10, null, 0, v10, vcc_lo
	v_add_co_u32 v9, vcc_lo, v9, 0
	s_wait_alu 0xfffd
	s_delay_alu instid0(VALU_DEP_2)
	v_add_co_ci_u32_e64 v10, null, v10, v14, vcc_lo
; %bb.100:
	s_wait_alu 0xfffe
	s_or_b32 exec_lo, exec_lo, s1
	ds_store_b64 v12, v[9:10]
.LBB208_101:
	s_wait_alu 0xfffe
	s_or_b32 exec_lo, exec_lo, s0
	v_mov_b32_e32 v13, 0
	v_mov_b32_e32 v14, 0
	s_mov_b32 s0, exec_lo
	s_wait_loadcnt_dscnt 0x0
	s_barrier_signal -1
	s_barrier_wait -1
	global_inv scope:SCOPE_SE
	v_cmpx_lt_u32_e32 31, v0
; %bb.102:
	v_lshl_add_u32 v9, v11, 3, -8
	ds_load_b64 v[13:14], v9
; %bb.103:
	s_wait_alu 0xfffe
	s_or_b32 exec_lo, exec_lo, s0
	v_sub_co_u32 v9, vcc_lo, v33, 1
	v_mov_b32_e32 v12, 0
	s_delay_alu instid0(VALU_DEP_2) | instskip(SKIP_1) | instid1(VALU_DEP_1)
	v_cmp_gt_i32_e64 s0, 0, v9
	s_wait_alu 0xf1ff
	v_cndmask_b32_e64 v9, v9, v33, s0
	s_wait_dscnt 0x0
	v_add_co_u32 v10, s0, v13, v19
	s_wait_alu 0xf1ff
	v_add_co_ci_u32_e64 v11, null, v14, v20, s0
	v_lshlrev_b32_e32 v9, 2, v9
	ds_bpermute_b32 v15, v9, v10
	ds_bpermute_b32 v16, v9, v11
	ds_load_b64 v[9:10], v12 offset:56
	s_and_saveexec_b32 s0, s2
	s_cbranch_execz .LBB208_105
; %bb.104:
	s_add_nc_u64 s[4:5], s[14:15], 0x200
	s_wait_alu 0xfffe
	v_dual_mov_b32 v11, 2 :: v_dual_mov_b32 v20, s5
	v_mov_b32_e32 v19, s4
	s_wait_dscnt 0x0
	;;#ASMSTART
	global_store_b128 v[19:20], v[9:12] off scope:SCOPE_DEV	
s_wait_storecnt 0x0
	;;#ASMEND
.LBB208_105:
	s_wait_alu 0xfffe
	s_or_b32 exec_lo, exec_lo, s0
	s_wait_dscnt 0x1
	s_wait_alu 0xfffd
	v_dual_cndmask_b32 v11, v15, v13 :: v_dual_cndmask_b32 v12, v16, v14
	s_wait_loadcnt_dscnt 0x0
	s_barrier_signal -1
	s_barrier_wait -1
	s_delay_alu instid0(VALU_DEP_1)
	v_cndmask_b32_e64 v23, v11, 0, s2
	v_cndmask_b32_e64 v24, v12, 0, s2
	v_mov_b32_e32 v11, 0
	v_mov_b32_e32 v12, 0
	global_inv scope:SCOPE_SE
	v_add_co_u32 v21, vcc_lo, v23, v32
	s_wait_alu 0xfffd
	v_add_co_ci_u32_e64 v22, null, 0, v24, vcc_lo
	s_delay_alu instid0(VALU_DEP_2) | instskip(SKIP_1) | instid1(VALU_DEP_2)
	v_add_co_u32 v13, vcc_lo, v21, v31
	s_wait_alu 0xfffd
	v_add_co_ci_u32_e64 v14, null, 0, v22, vcc_lo
	s_delay_alu instid0(VALU_DEP_2) | instskip(SKIP_1) | instid1(VALU_DEP_2)
	v_add_co_u32 v15, vcc_lo, v13, v30
	s_wait_alu 0xfffd
	v_add_co_ci_u32_e64 v16, null, 0, v14, vcc_lo
.LBB208_106:
	v_and_b32_e32 v25, 1, v29
	s_wait_dscnt 0x0
	v_cmp_gt_u64_e32 vcc_lo, 0x101, v[9:10]
	s_mov_b32 s1, -1
	s_delay_alu instid0(VALU_DEP_2)
	v_cmp_eq_u32_e64 s0, 1, v25
	s_cbranch_vccnz .LBB208_110
; %bb.107:
	s_wait_alu 0xfffe
	s_and_b32 vcc_lo, exec_lo, s1
	s_wait_alu 0xfffe
	s_cbranch_vccnz .LBB208_119
.LBB208_108:
	s_and_b32 s0, s2, s6
	s_wait_alu 0xfffe
	s_and_saveexec_b32 s1, s0
	s_cbranch_execnz .LBB208_131
.LBB208_109:
	s_endpgm
.LBB208_110:
	v_add_co_u32 v19, vcc_lo, v11, v9
	s_wait_alu 0xfffd
	v_add_co_ci_u32_e64 v20, null, v12, v10, vcc_lo
	v_lshlrev_b64_e32 v[29:30], 3, v[17:18]
	s_delay_alu instid0(VALU_DEP_2) | instskip(NEXT) | instid1(VALU_DEP_2)
	v_cmp_lt_u64_e32 vcc_lo, v[23:24], v[19:20]
	v_add_co_u32 v26, s1, s12, v29
	s_wait_alu 0xf1fe
	s_delay_alu instid0(VALU_DEP_3)
	v_add_co_ci_u32_e64 v29, null, s13, v30, s1
	s_or_b32 s1, s7, vcc_lo
	s_wait_alu 0xfffe
	s_and_b32 s1, s1, s0
	s_wait_alu 0xfffe
	s_and_saveexec_b32 s0, s1
	s_cbranch_execz .LBB208_112
; %bb.111:
	v_lshlrev_b64_e32 v[30:31], 3, v[23:24]
	s_delay_alu instid0(VALU_DEP_1) | instskip(SKIP_1) | instid1(VALU_DEP_2)
	v_add_co_u32 v30, vcc_lo, v26, v30
	s_wait_alu 0xfffd
	v_add_co_ci_u32_e64 v31, null, v29, v31, vcc_lo
	global_store_b64 v[30:31], v[1:2], off
.LBB208_112:
	s_wait_alu 0xfffe
	s_or_b32 exec_lo, exec_lo, s0
	v_and_b32_e32 v24, 1, v28
	v_cmp_lt_u64_e32 vcc_lo, v[21:22], v[19:20]
	s_delay_alu instid0(VALU_DEP_2)
	v_cmp_eq_u32_e64 s0, 1, v24
	s_or_b32 s1, s7, vcc_lo
	s_wait_alu 0xfffe
	s_and_b32 s1, s1, s0
	s_wait_alu 0xfffe
	s_and_saveexec_b32 s0, s1
	s_cbranch_execz .LBB208_114
; %bb.113:
	v_lshlrev_b64_e32 v[30:31], 3, v[21:22]
	s_delay_alu instid0(VALU_DEP_1) | instskip(SKIP_1) | instid1(VALU_DEP_2)
	v_add_co_u32 v30, vcc_lo, v26, v30
	s_wait_alu 0xfffd
	v_add_co_ci_u32_e64 v31, null, v29, v31, vcc_lo
	global_store_b64 v[30:31], v[5:6], off
.LBB208_114:
	s_wait_alu 0xfffe
	s_or_b32 exec_lo, exec_lo, s0
	v_and_b32_e32 v22, 1, v27
	v_cmp_lt_u64_e32 vcc_lo, v[13:14], v[19:20]
	s_delay_alu instid0(VALU_DEP_2)
	v_cmp_eq_u32_e64 s0, 1, v22
	s_or_b32 s1, s7, vcc_lo
	s_wait_alu 0xfffe
	s_and_b32 s1, s1, s0
	s_wait_alu 0xfffe
	s_and_saveexec_b32 s0, s1
	s_cbranch_execz .LBB208_116
; %bb.115:
	v_lshlrev_b64_e32 v[30:31], 3, v[13:14]
	s_delay_alu instid0(VALU_DEP_1) | instskip(SKIP_1) | instid1(VALU_DEP_2)
	v_add_co_u32 v30, vcc_lo, v26, v30
	s_wait_alu 0xfffd
	v_add_co_ci_u32_e64 v31, null, v29, v31, vcc_lo
	global_store_b64 v[30:31], v[7:8], off
.LBB208_116:
	s_wait_alu 0xfffe
	s_or_b32 exec_lo, exec_lo, s0
	v_cmp_lt_u64_e32 vcc_lo, v[15:16], v[19:20]
	s_or_b32 s0, s7, vcc_lo
	s_wait_alu 0xfffe
	s_and_b32 s1, s0, s10
	s_wait_alu 0xfffe
	s_and_saveexec_b32 s0, s1
	s_cbranch_execz .LBB208_118
; %bb.117:
	v_lshlrev_b64_e32 v[19:20], 3, v[15:16]
	s_delay_alu instid0(VALU_DEP_1) | instskip(SKIP_1) | instid1(VALU_DEP_2)
	v_add_co_u32 v19, vcc_lo, v26, v19
	s_wait_alu 0xfffd
	v_add_co_ci_u32_e64 v20, null, v29, v20, vcc_lo
	global_store_b64 v[19:20], v[3:4], off
.LBB208_118:
	s_wait_alu 0xfffe
	s_or_b32 exec_lo, exec_lo, s0
	s_branch .LBB208_108
.LBB208_119:
	s_mov_b32 s0, exec_lo
	v_cmpx_eq_u32_e32 1, v25
; %bb.120:
	v_sub_nc_u32_e32 v14, v23, v11
	s_delay_alu instid0(VALU_DEP_1)
	v_lshlrev_b32_e32 v14, 3, v14
	ds_store_b64 v14, v[1:2]
; %bb.121:
	s_wait_alu 0xfffe
	s_or_b32 exec_lo, exec_lo, s0
	v_and_b32_e32 v1, 1, v28
	s_mov_b32 s0, exec_lo
	s_delay_alu instid0(VALU_DEP_1)
	v_cmpx_eq_u32_e32 1, v1
; %bb.122:
	v_sub_nc_u32_e32 v1, v21, v11
	s_delay_alu instid0(VALU_DEP_1)
	v_lshlrev_b32_e32 v1, 3, v1
	ds_store_b64 v1, v[5:6]
; %bb.123:
	s_wait_alu 0xfffe
	s_or_b32 exec_lo, exec_lo, s0
	v_and_b32_e32 v1, 1, v27
	s_mov_b32 s0, exec_lo
	s_delay_alu instid0(VALU_DEP_1)
	v_cmpx_eq_u32_e32 1, v1
; %bb.124:
	v_sub_nc_u32_e32 v1, v13, v11
	s_delay_alu instid0(VALU_DEP_1)
	v_lshlrev_b32_e32 v1, 3, v1
	ds_store_b64 v1, v[7:8]
; %bb.125:
	s_wait_alu 0xfffe
	s_or_b32 exec_lo, exec_lo, s0
	s_and_saveexec_b32 s0, s10
; %bb.126:
	v_sub_nc_u32_e32 v1, v15, v11
	s_delay_alu instid0(VALU_DEP_1)
	v_lshlrev_b32_e32 v1, 3, v1
	ds_store_b64 v1, v[3:4]
; %bb.127:
	s_wait_alu 0xfffe
	s_or_b32 exec_lo, exec_lo, s0
	v_mov_b32_e32 v1, 0
	s_mov_b32 s1, exec_lo
	s_wait_storecnt 0x0
	s_wait_loadcnt_dscnt 0x0
	s_barrier_signal -1
	s_barrier_wait -1
	global_inv scope:SCOPE_SE
	v_cmpx_gt_u64_e64 v[9:10], v[0:1]
	s_cbranch_execz .LBB208_130
; %bb.128:
	v_lshlrev_b64_e32 v[2:3], 3, v[17:18]
	v_lshlrev_b64_e32 v[4:5], 3, v[11:12]
	s_mov_b32 s3, 0
	s_delay_alu instid0(VALU_DEP_2) | instskip(SKIP_1) | instid1(VALU_DEP_3)
	v_add_co_u32 v6, vcc_lo, s12, v2
	s_wait_alu 0xfffd
	v_add_co_ci_u32_e64 v7, null, s13, v3, vcc_lo
	v_dual_mov_b32 v3, v1 :: v_dual_mov_b32 v2, v0
	s_delay_alu instid0(VALU_DEP_3) | instskip(SKIP_1) | instid1(VALU_DEP_3)
	v_add_co_u32 v4, vcc_lo, v6, v4
	s_wait_alu 0xfffd
	v_add_co_ci_u32_e64 v5, null, v7, v5, vcc_lo
	v_or_b32_e32 v0, 0x100, v0
.LBB208_129:                            ; =>This Inner Loop Header: Depth=1
	v_lshlrev_b32_e32 v6, 3, v2
	v_lshlrev_b64_e32 v[13:14], 3, v[2:3]
	v_mov_b32_e32 v3, v1
	s_delay_alu instid0(VALU_DEP_4)
	v_cmp_le_u64_e32 vcc_lo, v[9:10], v[0:1]
	v_mov_b32_e32 v2, v0
	ds_load_b64 v[6:7], v6
	v_add_nc_u32_e32 v0, 0x100, v0
	v_add_co_u32 v13, s0, v4, v13
	s_wait_alu 0xf1ff
	v_add_co_ci_u32_e64 v14, null, v5, v14, s0
	s_wait_alu 0xfffe
	s_or_b32 s3, vcc_lo, s3
	s_wait_dscnt 0x0
	global_store_b64 v[13:14], v[6:7], off
	s_wait_alu 0xfffe
	s_and_not1_b32 exec_lo, exec_lo, s3
	s_cbranch_execnz .LBB208_129
.LBB208_130:
	s_wait_alu 0xfffe
	s_or_b32 exec_lo, exec_lo, s1
	s_and_b32 s0, s2, s6
	s_wait_alu 0xfffe
	s_and_saveexec_b32 s1, s0
	s_cbranch_execz .LBB208_109
.LBB208_131:
	v_add_co_u32 v0, vcc_lo, v11, v9
	s_wait_alu 0xfffd
	v_add_co_ci_u32_e64 v1, null, v12, v10, vcc_lo
	v_mov_b32_e32 v2, 0
	s_delay_alu instid0(VALU_DEP_3) | instskip(SKIP_1) | instid1(VALU_DEP_3)
	v_add_co_u32 v0, vcc_lo, v0, v17
	s_wait_alu 0xfffd
	v_add_co_ci_u32_e64 v1, null, v1, v18, vcc_lo
	global_store_b64 v2, v[0:1], s[8:9]
	s_endpgm
.LBB208_132:
	v_lshlrev_b32_e32 v3, 3, v0
	s_delay_alu instid0(VALU_DEP_1) | instskip(SKIP_4) | instid1(SALU_CYCLE_1)
	v_add_co_u32 v3, vcc_lo, v12, v3
	s_wait_alu 0xfffd
	v_add_co_ci_u32_e64 v4, null, 0, v13, vcc_lo
	flat_load_b64 v[3:4], v[3:4] offset:2048
	s_or_b32 exec_lo, exec_lo, s0
	s_mov_b32 s0, exec_lo
	v_cmpx_gt_u32_e64 s18, v11
	s_cbranch_execz .LBB208_11
.LBB208_133:
	v_lshlrev_b32_e32 v5, 3, v0
	s_delay_alu instid0(VALU_DEP_1) | instskip(SKIP_4) | instid1(SALU_CYCLE_1)
	v_add_co_u32 v5, vcc_lo, v12, v5
	s_wait_alu 0xfffd
	v_add_co_ci_u32_e64 v6, null, 0, v13, vcc_lo
	flat_load_b64 v[5:6], v[5:6] offset:4096
	s_or_b32 exec_lo, exec_lo, s0
	s_mov_b32 s0, exec_lo
	v_cmpx_gt_u32_e64 s18, v10
	s_cbranch_execnz .LBB208_12
	s_branch .LBB208_13
	.section	.rodata,"a",@progbits
	.p2align	6, 0x0
	.amdhsa_kernel _ZN7rocprim17ROCPRIM_400000_NS6detail17trampoline_kernelINS0_14default_configENS1_25partition_config_selectorILNS1_17partition_subalgoE6ExNS0_10empty_typeEbEEZZNS1_14partition_implILS5_6ELb0ES3_mN6thrust23THRUST_200600_302600_NS6detail15normal_iteratorINSA_10device_ptrIxEEEEPS6_SG_NS0_5tupleIJSF_S6_EEENSH_IJSG_SG_EEES6_PlJNSB_9not_fun_tINSB_10functional5actorINSM_9compositeIJNSM_27transparent_binary_operatorINSA_8equal_toIvEEEENSN_INSM_8argumentILj0EEEEENSM_5valueIxEEEEEEEEEEEE10hipError_tPvRmT3_T4_T5_T6_T7_T9_mT8_P12ihipStream_tbDpT10_ENKUlT_T0_E_clISt17integral_constantIbLb0EES1J_IbLb1EEEEDaS1F_S1G_EUlS1F_E_NS1_11comp_targetILNS1_3genE10ELNS1_11target_archE1200ELNS1_3gpuE4ELNS1_3repE0EEENS1_30default_config_static_selectorELNS0_4arch9wavefront6targetE0EEEvT1_
		.amdhsa_group_segment_fixed_size 8464
		.amdhsa_private_segment_fixed_size 0
		.amdhsa_kernarg_size 136
		.amdhsa_user_sgpr_count 2
		.amdhsa_user_sgpr_dispatch_ptr 0
		.amdhsa_user_sgpr_queue_ptr 0
		.amdhsa_user_sgpr_kernarg_segment_ptr 1
		.amdhsa_user_sgpr_dispatch_id 0
		.amdhsa_user_sgpr_private_segment_size 0
		.amdhsa_wavefront_size32 1
		.amdhsa_uses_dynamic_stack 0
		.amdhsa_enable_private_segment 0
		.amdhsa_system_sgpr_workgroup_id_x 1
		.amdhsa_system_sgpr_workgroup_id_y 0
		.amdhsa_system_sgpr_workgroup_id_z 0
		.amdhsa_system_sgpr_workgroup_info 0
		.amdhsa_system_vgpr_workitem_id 0
		.amdhsa_next_free_vgpr 48
		.amdhsa_next_free_sgpr 24
		.amdhsa_reserve_vcc 1
		.amdhsa_float_round_mode_32 0
		.amdhsa_float_round_mode_16_64 0
		.amdhsa_float_denorm_mode_32 3
		.amdhsa_float_denorm_mode_16_64 3
		.amdhsa_fp16_overflow 0
		.amdhsa_workgroup_processor_mode 1
		.amdhsa_memory_ordered 1
		.amdhsa_forward_progress 1
		.amdhsa_inst_pref_size 52
		.amdhsa_round_robin_scheduling 0
		.amdhsa_exception_fp_ieee_invalid_op 0
		.amdhsa_exception_fp_denorm_src 0
		.amdhsa_exception_fp_ieee_div_zero 0
		.amdhsa_exception_fp_ieee_overflow 0
		.amdhsa_exception_fp_ieee_underflow 0
		.amdhsa_exception_fp_ieee_inexact 0
		.amdhsa_exception_int_div_zero 0
	.end_amdhsa_kernel
	.section	.text._ZN7rocprim17ROCPRIM_400000_NS6detail17trampoline_kernelINS0_14default_configENS1_25partition_config_selectorILNS1_17partition_subalgoE6ExNS0_10empty_typeEbEEZZNS1_14partition_implILS5_6ELb0ES3_mN6thrust23THRUST_200600_302600_NS6detail15normal_iteratorINSA_10device_ptrIxEEEEPS6_SG_NS0_5tupleIJSF_S6_EEENSH_IJSG_SG_EEES6_PlJNSB_9not_fun_tINSB_10functional5actorINSM_9compositeIJNSM_27transparent_binary_operatorINSA_8equal_toIvEEEENSN_INSM_8argumentILj0EEEEENSM_5valueIxEEEEEEEEEEEE10hipError_tPvRmT3_T4_T5_T6_T7_T9_mT8_P12ihipStream_tbDpT10_ENKUlT_T0_E_clISt17integral_constantIbLb0EES1J_IbLb1EEEEDaS1F_S1G_EUlS1F_E_NS1_11comp_targetILNS1_3genE10ELNS1_11target_archE1200ELNS1_3gpuE4ELNS1_3repE0EEENS1_30default_config_static_selectorELNS0_4arch9wavefront6targetE0EEEvT1_,"axG",@progbits,_ZN7rocprim17ROCPRIM_400000_NS6detail17trampoline_kernelINS0_14default_configENS1_25partition_config_selectorILNS1_17partition_subalgoE6ExNS0_10empty_typeEbEEZZNS1_14partition_implILS5_6ELb0ES3_mN6thrust23THRUST_200600_302600_NS6detail15normal_iteratorINSA_10device_ptrIxEEEEPS6_SG_NS0_5tupleIJSF_S6_EEENSH_IJSG_SG_EEES6_PlJNSB_9not_fun_tINSB_10functional5actorINSM_9compositeIJNSM_27transparent_binary_operatorINSA_8equal_toIvEEEENSN_INSM_8argumentILj0EEEEENSM_5valueIxEEEEEEEEEEEE10hipError_tPvRmT3_T4_T5_T6_T7_T9_mT8_P12ihipStream_tbDpT10_ENKUlT_T0_E_clISt17integral_constantIbLb0EES1J_IbLb1EEEEDaS1F_S1G_EUlS1F_E_NS1_11comp_targetILNS1_3genE10ELNS1_11target_archE1200ELNS1_3gpuE4ELNS1_3repE0EEENS1_30default_config_static_selectorELNS0_4arch9wavefront6targetE0EEEvT1_,comdat
.Lfunc_end208:
	.size	_ZN7rocprim17ROCPRIM_400000_NS6detail17trampoline_kernelINS0_14default_configENS1_25partition_config_selectorILNS1_17partition_subalgoE6ExNS0_10empty_typeEbEEZZNS1_14partition_implILS5_6ELb0ES3_mN6thrust23THRUST_200600_302600_NS6detail15normal_iteratorINSA_10device_ptrIxEEEEPS6_SG_NS0_5tupleIJSF_S6_EEENSH_IJSG_SG_EEES6_PlJNSB_9not_fun_tINSB_10functional5actorINSM_9compositeIJNSM_27transparent_binary_operatorINSA_8equal_toIvEEEENSN_INSM_8argumentILj0EEEEENSM_5valueIxEEEEEEEEEEEE10hipError_tPvRmT3_T4_T5_T6_T7_T9_mT8_P12ihipStream_tbDpT10_ENKUlT_T0_E_clISt17integral_constantIbLb0EES1J_IbLb1EEEEDaS1F_S1G_EUlS1F_E_NS1_11comp_targetILNS1_3genE10ELNS1_11target_archE1200ELNS1_3gpuE4ELNS1_3repE0EEENS1_30default_config_static_selectorELNS0_4arch9wavefront6targetE0EEEvT1_, .Lfunc_end208-_ZN7rocprim17ROCPRIM_400000_NS6detail17trampoline_kernelINS0_14default_configENS1_25partition_config_selectorILNS1_17partition_subalgoE6ExNS0_10empty_typeEbEEZZNS1_14partition_implILS5_6ELb0ES3_mN6thrust23THRUST_200600_302600_NS6detail15normal_iteratorINSA_10device_ptrIxEEEEPS6_SG_NS0_5tupleIJSF_S6_EEENSH_IJSG_SG_EEES6_PlJNSB_9not_fun_tINSB_10functional5actorINSM_9compositeIJNSM_27transparent_binary_operatorINSA_8equal_toIvEEEENSN_INSM_8argumentILj0EEEEENSM_5valueIxEEEEEEEEEEEE10hipError_tPvRmT3_T4_T5_T6_T7_T9_mT8_P12ihipStream_tbDpT10_ENKUlT_T0_E_clISt17integral_constantIbLb0EES1J_IbLb1EEEEDaS1F_S1G_EUlS1F_E_NS1_11comp_targetILNS1_3genE10ELNS1_11target_archE1200ELNS1_3gpuE4ELNS1_3repE0EEENS1_30default_config_static_selectorELNS0_4arch9wavefront6targetE0EEEvT1_
                                        ; -- End function
	.set _ZN7rocprim17ROCPRIM_400000_NS6detail17trampoline_kernelINS0_14default_configENS1_25partition_config_selectorILNS1_17partition_subalgoE6ExNS0_10empty_typeEbEEZZNS1_14partition_implILS5_6ELb0ES3_mN6thrust23THRUST_200600_302600_NS6detail15normal_iteratorINSA_10device_ptrIxEEEEPS6_SG_NS0_5tupleIJSF_S6_EEENSH_IJSG_SG_EEES6_PlJNSB_9not_fun_tINSB_10functional5actorINSM_9compositeIJNSM_27transparent_binary_operatorINSA_8equal_toIvEEEENSN_INSM_8argumentILj0EEEEENSM_5valueIxEEEEEEEEEEEE10hipError_tPvRmT3_T4_T5_T6_T7_T9_mT8_P12ihipStream_tbDpT10_ENKUlT_T0_E_clISt17integral_constantIbLb0EES1J_IbLb1EEEEDaS1F_S1G_EUlS1F_E_NS1_11comp_targetILNS1_3genE10ELNS1_11target_archE1200ELNS1_3gpuE4ELNS1_3repE0EEENS1_30default_config_static_selectorELNS0_4arch9wavefront6targetE0EEEvT1_.num_vgpr, 48
	.set _ZN7rocprim17ROCPRIM_400000_NS6detail17trampoline_kernelINS0_14default_configENS1_25partition_config_selectorILNS1_17partition_subalgoE6ExNS0_10empty_typeEbEEZZNS1_14partition_implILS5_6ELb0ES3_mN6thrust23THRUST_200600_302600_NS6detail15normal_iteratorINSA_10device_ptrIxEEEEPS6_SG_NS0_5tupleIJSF_S6_EEENSH_IJSG_SG_EEES6_PlJNSB_9not_fun_tINSB_10functional5actorINSM_9compositeIJNSM_27transparent_binary_operatorINSA_8equal_toIvEEEENSN_INSM_8argumentILj0EEEEENSM_5valueIxEEEEEEEEEEEE10hipError_tPvRmT3_T4_T5_T6_T7_T9_mT8_P12ihipStream_tbDpT10_ENKUlT_T0_E_clISt17integral_constantIbLb0EES1J_IbLb1EEEEDaS1F_S1G_EUlS1F_E_NS1_11comp_targetILNS1_3genE10ELNS1_11target_archE1200ELNS1_3gpuE4ELNS1_3repE0EEENS1_30default_config_static_selectorELNS0_4arch9wavefront6targetE0EEEvT1_.num_agpr, 0
	.set _ZN7rocprim17ROCPRIM_400000_NS6detail17trampoline_kernelINS0_14default_configENS1_25partition_config_selectorILNS1_17partition_subalgoE6ExNS0_10empty_typeEbEEZZNS1_14partition_implILS5_6ELb0ES3_mN6thrust23THRUST_200600_302600_NS6detail15normal_iteratorINSA_10device_ptrIxEEEEPS6_SG_NS0_5tupleIJSF_S6_EEENSH_IJSG_SG_EEES6_PlJNSB_9not_fun_tINSB_10functional5actorINSM_9compositeIJNSM_27transparent_binary_operatorINSA_8equal_toIvEEEENSN_INSM_8argumentILj0EEEEENSM_5valueIxEEEEEEEEEEEE10hipError_tPvRmT3_T4_T5_T6_T7_T9_mT8_P12ihipStream_tbDpT10_ENKUlT_T0_E_clISt17integral_constantIbLb0EES1J_IbLb1EEEEDaS1F_S1G_EUlS1F_E_NS1_11comp_targetILNS1_3genE10ELNS1_11target_archE1200ELNS1_3gpuE4ELNS1_3repE0EEENS1_30default_config_static_selectorELNS0_4arch9wavefront6targetE0EEEvT1_.numbered_sgpr, 24
	.set _ZN7rocprim17ROCPRIM_400000_NS6detail17trampoline_kernelINS0_14default_configENS1_25partition_config_selectorILNS1_17partition_subalgoE6ExNS0_10empty_typeEbEEZZNS1_14partition_implILS5_6ELb0ES3_mN6thrust23THRUST_200600_302600_NS6detail15normal_iteratorINSA_10device_ptrIxEEEEPS6_SG_NS0_5tupleIJSF_S6_EEENSH_IJSG_SG_EEES6_PlJNSB_9not_fun_tINSB_10functional5actorINSM_9compositeIJNSM_27transparent_binary_operatorINSA_8equal_toIvEEEENSN_INSM_8argumentILj0EEEEENSM_5valueIxEEEEEEEEEEEE10hipError_tPvRmT3_T4_T5_T6_T7_T9_mT8_P12ihipStream_tbDpT10_ENKUlT_T0_E_clISt17integral_constantIbLb0EES1J_IbLb1EEEEDaS1F_S1G_EUlS1F_E_NS1_11comp_targetILNS1_3genE10ELNS1_11target_archE1200ELNS1_3gpuE4ELNS1_3repE0EEENS1_30default_config_static_selectorELNS0_4arch9wavefront6targetE0EEEvT1_.num_named_barrier, 0
	.set _ZN7rocprim17ROCPRIM_400000_NS6detail17trampoline_kernelINS0_14default_configENS1_25partition_config_selectorILNS1_17partition_subalgoE6ExNS0_10empty_typeEbEEZZNS1_14partition_implILS5_6ELb0ES3_mN6thrust23THRUST_200600_302600_NS6detail15normal_iteratorINSA_10device_ptrIxEEEEPS6_SG_NS0_5tupleIJSF_S6_EEENSH_IJSG_SG_EEES6_PlJNSB_9not_fun_tINSB_10functional5actorINSM_9compositeIJNSM_27transparent_binary_operatorINSA_8equal_toIvEEEENSN_INSM_8argumentILj0EEEEENSM_5valueIxEEEEEEEEEEEE10hipError_tPvRmT3_T4_T5_T6_T7_T9_mT8_P12ihipStream_tbDpT10_ENKUlT_T0_E_clISt17integral_constantIbLb0EES1J_IbLb1EEEEDaS1F_S1G_EUlS1F_E_NS1_11comp_targetILNS1_3genE10ELNS1_11target_archE1200ELNS1_3gpuE4ELNS1_3repE0EEENS1_30default_config_static_selectorELNS0_4arch9wavefront6targetE0EEEvT1_.private_seg_size, 0
	.set _ZN7rocprim17ROCPRIM_400000_NS6detail17trampoline_kernelINS0_14default_configENS1_25partition_config_selectorILNS1_17partition_subalgoE6ExNS0_10empty_typeEbEEZZNS1_14partition_implILS5_6ELb0ES3_mN6thrust23THRUST_200600_302600_NS6detail15normal_iteratorINSA_10device_ptrIxEEEEPS6_SG_NS0_5tupleIJSF_S6_EEENSH_IJSG_SG_EEES6_PlJNSB_9not_fun_tINSB_10functional5actorINSM_9compositeIJNSM_27transparent_binary_operatorINSA_8equal_toIvEEEENSN_INSM_8argumentILj0EEEEENSM_5valueIxEEEEEEEEEEEE10hipError_tPvRmT3_T4_T5_T6_T7_T9_mT8_P12ihipStream_tbDpT10_ENKUlT_T0_E_clISt17integral_constantIbLb0EES1J_IbLb1EEEEDaS1F_S1G_EUlS1F_E_NS1_11comp_targetILNS1_3genE10ELNS1_11target_archE1200ELNS1_3gpuE4ELNS1_3repE0EEENS1_30default_config_static_selectorELNS0_4arch9wavefront6targetE0EEEvT1_.uses_vcc, 1
	.set _ZN7rocprim17ROCPRIM_400000_NS6detail17trampoline_kernelINS0_14default_configENS1_25partition_config_selectorILNS1_17partition_subalgoE6ExNS0_10empty_typeEbEEZZNS1_14partition_implILS5_6ELb0ES3_mN6thrust23THRUST_200600_302600_NS6detail15normal_iteratorINSA_10device_ptrIxEEEEPS6_SG_NS0_5tupleIJSF_S6_EEENSH_IJSG_SG_EEES6_PlJNSB_9not_fun_tINSB_10functional5actorINSM_9compositeIJNSM_27transparent_binary_operatorINSA_8equal_toIvEEEENSN_INSM_8argumentILj0EEEEENSM_5valueIxEEEEEEEEEEEE10hipError_tPvRmT3_T4_T5_T6_T7_T9_mT8_P12ihipStream_tbDpT10_ENKUlT_T0_E_clISt17integral_constantIbLb0EES1J_IbLb1EEEEDaS1F_S1G_EUlS1F_E_NS1_11comp_targetILNS1_3genE10ELNS1_11target_archE1200ELNS1_3gpuE4ELNS1_3repE0EEENS1_30default_config_static_selectorELNS0_4arch9wavefront6targetE0EEEvT1_.uses_flat_scratch, 1
	.set _ZN7rocprim17ROCPRIM_400000_NS6detail17trampoline_kernelINS0_14default_configENS1_25partition_config_selectorILNS1_17partition_subalgoE6ExNS0_10empty_typeEbEEZZNS1_14partition_implILS5_6ELb0ES3_mN6thrust23THRUST_200600_302600_NS6detail15normal_iteratorINSA_10device_ptrIxEEEEPS6_SG_NS0_5tupleIJSF_S6_EEENSH_IJSG_SG_EEES6_PlJNSB_9not_fun_tINSB_10functional5actorINSM_9compositeIJNSM_27transparent_binary_operatorINSA_8equal_toIvEEEENSN_INSM_8argumentILj0EEEEENSM_5valueIxEEEEEEEEEEEE10hipError_tPvRmT3_T4_T5_T6_T7_T9_mT8_P12ihipStream_tbDpT10_ENKUlT_T0_E_clISt17integral_constantIbLb0EES1J_IbLb1EEEEDaS1F_S1G_EUlS1F_E_NS1_11comp_targetILNS1_3genE10ELNS1_11target_archE1200ELNS1_3gpuE4ELNS1_3repE0EEENS1_30default_config_static_selectorELNS0_4arch9wavefront6targetE0EEEvT1_.has_dyn_sized_stack, 0
	.set _ZN7rocprim17ROCPRIM_400000_NS6detail17trampoline_kernelINS0_14default_configENS1_25partition_config_selectorILNS1_17partition_subalgoE6ExNS0_10empty_typeEbEEZZNS1_14partition_implILS5_6ELb0ES3_mN6thrust23THRUST_200600_302600_NS6detail15normal_iteratorINSA_10device_ptrIxEEEEPS6_SG_NS0_5tupleIJSF_S6_EEENSH_IJSG_SG_EEES6_PlJNSB_9not_fun_tINSB_10functional5actorINSM_9compositeIJNSM_27transparent_binary_operatorINSA_8equal_toIvEEEENSN_INSM_8argumentILj0EEEEENSM_5valueIxEEEEEEEEEEEE10hipError_tPvRmT3_T4_T5_T6_T7_T9_mT8_P12ihipStream_tbDpT10_ENKUlT_T0_E_clISt17integral_constantIbLb0EES1J_IbLb1EEEEDaS1F_S1G_EUlS1F_E_NS1_11comp_targetILNS1_3genE10ELNS1_11target_archE1200ELNS1_3gpuE4ELNS1_3repE0EEENS1_30default_config_static_selectorELNS0_4arch9wavefront6targetE0EEEvT1_.has_recursion, 0
	.set _ZN7rocprim17ROCPRIM_400000_NS6detail17trampoline_kernelINS0_14default_configENS1_25partition_config_selectorILNS1_17partition_subalgoE6ExNS0_10empty_typeEbEEZZNS1_14partition_implILS5_6ELb0ES3_mN6thrust23THRUST_200600_302600_NS6detail15normal_iteratorINSA_10device_ptrIxEEEEPS6_SG_NS0_5tupleIJSF_S6_EEENSH_IJSG_SG_EEES6_PlJNSB_9not_fun_tINSB_10functional5actorINSM_9compositeIJNSM_27transparent_binary_operatorINSA_8equal_toIvEEEENSN_INSM_8argumentILj0EEEEENSM_5valueIxEEEEEEEEEEEE10hipError_tPvRmT3_T4_T5_T6_T7_T9_mT8_P12ihipStream_tbDpT10_ENKUlT_T0_E_clISt17integral_constantIbLb0EES1J_IbLb1EEEEDaS1F_S1G_EUlS1F_E_NS1_11comp_targetILNS1_3genE10ELNS1_11target_archE1200ELNS1_3gpuE4ELNS1_3repE0EEENS1_30default_config_static_selectorELNS0_4arch9wavefront6targetE0EEEvT1_.has_indirect_call, 0
	.section	.AMDGPU.csdata,"",@progbits
; Kernel info:
; codeLenInByte = 6584
; TotalNumSgprs: 26
; NumVgprs: 48
; ScratchSize: 0
; MemoryBound: 0
; FloatMode: 240
; IeeeMode: 1
; LDSByteSize: 8464 bytes/workgroup (compile time only)
; SGPRBlocks: 0
; VGPRBlocks: 5
; NumSGPRsForWavesPerEU: 26
; NumVGPRsForWavesPerEU: 48
; Occupancy: 16
; WaveLimiterHint : 1
; COMPUTE_PGM_RSRC2:SCRATCH_EN: 0
; COMPUTE_PGM_RSRC2:USER_SGPR: 2
; COMPUTE_PGM_RSRC2:TRAP_HANDLER: 0
; COMPUTE_PGM_RSRC2:TGID_X_EN: 1
; COMPUTE_PGM_RSRC2:TGID_Y_EN: 0
; COMPUTE_PGM_RSRC2:TGID_Z_EN: 0
; COMPUTE_PGM_RSRC2:TIDIG_COMP_CNT: 0
	.section	.text._ZN7rocprim17ROCPRIM_400000_NS6detail17trampoline_kernelINS0_14default_configENS1_25partition_config_selectorILNS1_17partition_subalgoE6ExNS0_10empty_typeEbEEZZNS1_14partition_implILS5_6ELb0ES3_mN6thrust23THRUST_200600_302600_NS6detail15normal_iteratorINSA_10device_ptrIxEEEEPS6_SG_NS0_5tupleIJSF_S6_EEENSH_IJSG_SG_EEES6_PlJNSB_9not_fun_tINSB_10functional5actorINSM_9compositeIJNSM_27transparent_binary_operatorINSA_8equal_toIvEEEENSN_INSM_8argumentILj0EEEEENSM_5valueIxEEEEEEEEEEEE10hipError_tPvRmT3_T4_T5_T6_T7_T9_mT8_P12ihipStream_tbDpT10_ENKUlT_T0_E_clISt17integral_constantIbLb0EES1J_IbLb1EEEEDaS1F_S1G_EUlS1F_E_NS1_11comp_targetILNS1_3genE9ELNS1_11target_archE1100ELNS1_3gpuE3ELNS1_3repE0EEENS1_30default_config_static_selectorELNS0_4arch9wavefront6targetE0EEEvT1_,"axG",@progbits,_ZN7rocprim17ROCPRIM_400000_NS6detail17trampoline_kernelINS0_14default_configENS1_25partition_config_selectorILNS1_17partition_subalgoE6ExNS0_10empty_typeEbEEZZNS1_14partition_implILS5_6ELb0ES3_mN6thrust23THRUST_200600_302600_NS6detail15normal_iteratorINSA_10device_ptrIxEEEEPS6_SG_NS0_5tupleIJSF_S6_EEENSH_IJSG_SG_EEES6_PlJNSB_9not_fun_tINSB_10functional5actorINSM_9compositeIJNSM_27transparent_binary_operatorINSA_8equal_toIvEEEENSN_INSM_8argumentILj0EEEEENSM_5valueIxEEEEEEEEEEEE10hipError_tPvRmT3_T4_T5_T6_T7_T9_mT8_P12ihipStream_tbDpT10_ENKUlT_T0_E_clISt17integral_constantIbLb0EES1J_IbLb1EEEEDaS1F_S1G_EUlS1F_E_NS1_11comp_targetILNS1_3genE9ELNS1_11target_archE1100ELNS1_3gpuE3ELNS1_3repE0EEENS1_30default_config_static_selectorELNS0_4arch9wavefront6targetE0EEEvT1_,comdat
	.protected	_ZN7rocprim17ROCPRIM_400000_NS6detail17trampoline_kernelINS0_14default_configENS1_25partition_config_selectorILNS1_17partition_subalgoE6ExNS0_10empty_typeEbEEZZNS1_14partition_implILS5_6ELb0ES3_mN6thrust23THRUST_200600_302600_NS6detail15normal_iteratorINSA_10device_ptrIxEEEEPS6_SG_NS0_5tupleIJSF_S6_EEENSH_IJSG_SG_EEES6_PlJNSB_9not_fun_tINSB_10functional5actorINSM_9compositeIJNSM_27transparent_binary_operatorINSA_8equal_toIvEEEENSN_INSM_8argumentILj0EEEEENSM_5valueIxEEEEEEEEEEEE10hipError_tPvRmT3_T4_T5_T6_T7_T9_mT8_P12ihipStream_tbDpT10_ENKUlT_T0_E_clISt17integral_constantIbLb0EES1J_IbLb1EEEEDaS1F_S1G_EUlS1F_E_NS1_11comp_targetILNS1_3genE9ELNS1_11target_archE1100ELNS1_3gpuE3ELNS1_3repE0EEENS1_30default_config_static_selectorELNS0_4arch9wavefront6targetE0EEEvT1_ ; -- Begin function _ZN7rocprim17ROCPRIM_400000_NS6detail17trampoline_kernelINS0_14default_configENS1_25partition_config_selectorILNS1_17partition_subalgoE6ExNS0_10empty_typeEbEEZZNS1_14partition_implILS5_6ELb0ES3_mN6thrust23THRUST_200600_302600_NS6detail15normal_iteratorINSA_10device_ptrIxEEEEPS6_SG_NS0_5tupleIJSF_S6_EEENSH_IJSG_SG_EEES6_PlJNSB_9not_fun_tINSB_10functional5actorINSM_9compositeIJNSM_27transparent_binary_operatorINSA_8equal_toIvEEEENSN_INSM_8argumentILj0EEEEENSM_5valueIxEEEEEEEEEEEE10hipError_tPvRmT3_T4_T5_T6_T7_T9_mT8_P12ihipStream_tbDpT10_ENKUlT_T0_E_clISt17integral_constantIbLb0EES1J_IbLb1EEEEDaS1F_S1G_EUlS1F_E_NS1_11comp_targetILNS1_3genE9ELNS1_11target_archE1100ELNS1_3gpuE3ELNS1_3repE0EEENS1_30default_config_static_selectorELNS0_4arch9wavefront6targetE0EEEvT1_
	.globl	_ZN7rocprim17ROCPRIM_400000_NS6detail17trampoline_kernelINS0_14default_configENS1_25partition_config_selectorILNS1_17partition_subalgoE6ExNS0_10empty_typeEbEEZZNS1_14partition_implILS5_6ELb0ES3_mN6thrust23THRUST_200600_302600_NS6detail15normal_iteratorINSA_10device_ptrIxEEEEPS6_SG_NS0_5tupleIJSF_S6_EEENSH_IJSG_SG_EEES6_PlJNSB_9not_fun_tINSB_10functional5actorINSM_9compositeIJNSM_27transparent_binary_operatorINSA_8equal_toIvEEEENSN_INSM_8argumentILj0EEEEENSM_5valueIxEEEEEEEEEEEE10hipError_tPvRmT3_T4_T5_T6_T7_T9_mT8_P12ihipStream_tbDpT10_ENKUlT_T0_E_clISt17integral_constantIbLb0EES1J_IbLb1EEEEDaS1F_S1G_EUlS1F_E_NS1_11comp_targetILNS1_3genE9ELNS1_11target_archE1100ELNS1_3gpuE3ELNS1_3repE0EEENS1_30default_config_static_selectorELNS0_4arch9wavefront6targetE0EEEvT1_
	.p2align	8
	.type	_ZN7rocprim17ROCPRIM_400000_NS6detail17trampoline_kernelINS0_14default_configENS1_25partition_config_selectorILNS1_17partition_subalgoE6ExNS0_10empty_typeEbEEZZNS1_14partition_implILS5_6ELb0ES3_mN6thrust23THRUST_200600_302600_NS6detail15normal_iteratorINSA_10device_ptrIxEEEEPS6_SG_NS0_5tupleIJSF_S6_EEENSH_IJSG_SG_EEES6_PlJNSB_9not_fun_tINSB_10functional5actorINSM_9compositeIJNSM_27transparent_binary_operatorINSA_8equal_toIvEEEENSN_INSM_8argumentILj0EEEEENSM_5valueIxEEEEEEEEEEEE10hipError_tPvRmT3_T4_T5_T6_T7_T9_mT8_P12ihipStream_tbDpT10_ENKUlT_T0_E_clISt17integral_constantIbLb0EES1J_IbLb1EEEEDaS1F_S1G_EUlS1F_E_NS1_11comp_targetILNS1_3genE9ELNS1_11target_archE1100ELNS1_3gpuE3ELNS1_3repE0EEENS1_30default_config_static_selectorELNS0_4arch9wavefront6targetE0EEEvT1_,@function
_ZN7rocprim17ROCPRIM_400000_NS6detail17trampoline_kernelINS0_14default_configENS1_25partition_config_selectorILNS1_17partition_subalgoE6ExNS0_10empty_typeEbEEZZNS1_14partition_implILS5_6ELb0ES3_mN6thrust23THRUST_200600_302600_NS6detail15normal_iteratorINSA_10device_ptrIxEEEEPS6_SG_NS0_5tupleIJSF_S6_EEENSH_IJSG_SG_EEES6_PlJNSB_9not_fun_tINSB_10functional5actorINSM_9compositeIJNSM_27transparent_binary_operatorINSA_8equal_toIvEEEENSN_INSM_8argumentILj0EEEEENSM_5valueIxEEEEEEEEEEEE10hipError_tPvRmT3_T4_T5_T6_T7_T9_mT8_P12ihipStream_tbDpT10_ENKUlT_T0_E_clISt17integral_constantIbLb0EES1J_IbLb1EEEEDaS1F_S1G_EUlS1F_E_NS1_11comp_targetILNS1_3genE9ELNS1_11target_archE1100ELNS1_3gpuE3ELNS1_3repE0EEENS1_30default_config_static_selectorELNS0_4arch9wavefront6targetE0EEEvT1_: ; @_ZN7rocprim17ROCPRIM_400000_NS6detail17trampoline_kernelINS0_14default_configENS1_25partition_config_selectorILNS1_17partition_subalgoE6ExNS0_10empty_typeEbEEZZNS1_14partition_implILS5_6ELb0ES3_mN6thrust23THRUST_200600_302600_NS6detail15normal_iteratorINSA_10device_ptrIxEEEEPS6_SG_NS0_5tupleIJSF_S6_EEENSH_IJSG_SG_EEES6_PlJNSB_9not_fun_tINSB_10functional5actorINSM_9compositeIJNSM_27transparent_binary_operatorINSA_8equal_toIvEEEENSN_INSM_8argumentILj0EEEEENSM_5valueIxEEEEEEEEEEEE10hipError_tPvRmT3_T4_T5_T6_T7_T9_mT8_P12ihipStream_tbDpT10_ENKUlT_T0_E_clISt17integral_constantIbLb0EES1J_IbLb1EEEEDaS1F_S1G_EUlS1F_E_NS1_11comp_targetILNS1_3genE9ELNS1_11target_archE1100ELNS1_3gpuE3ELNS1_3repE0EEENS1_30default_config_static_selectorELNS0_4arch9wavefront6targetE0EEEvT1_
; %bb.0:
	.section	.rodata,"a",@progbits
	.p2align	6, 0x0
	.amdhsa_kernel _ZN7rocprim17ROCPRIM_400000_NS6detail17trampoline_kernelINS0_14default_configENS1_25partition_config_selectorILNS1_17partition_subalgoE6ExNS0_10empty_typeEbEEZZNS1_14partition_implILS5_6ELb0ES3_mN6thrust23THRUST_200600_302600_NS6detail15normal_iteratorINSA_10device_ptrIxEEEEPS6_SG_NS0_5tupleIJSF_S6_EEENSH_IJSG_SG_EEES6_PlJNSB_9not_fun_tINSB_10functional5actorINSM_9compositeIJNSM_27transparent_binary_operatorINSA_8equal_toIvEEEENSN_INSM_8argumentILj0EEEEENSM_5valueIxEEEEEEEEEEEE10hipError_tPvRmT3_T4_T5_T6_T7_T9_mT8_P12ihipStream_tbDpT10_ENKUlT_T0_E_clISt17integral_constantIbLb0EES1J_IbLb1EEEEDaS1F_S1G_EUlS1F_E_NS1_11comp_targetILNS1_3genE9ELNS1_11target_archE1100ELNS1_3gpuE3ELNS1_3repE0EEENS1_30default_config_static_selectorELNS0_4arch9wavefront6targetE0EEEvT1_
		.amdhsa_group_segment_fixed_size 0
		.amdhsa_private_segment_fixed_size 0
		.amdhsa_kernarg_size 136
		.amdhsa_user_sgpr_count 2
		.amdhsa_user_sgpr_dispatch_ptr 0
		.amdhsa_user_sgpr_queue_ptr 0
		.amdhsa_user_sgpr_kernarg_segment_ptr 1
		.amdhsa_user_sgpr_dispatch_id 0
		.amdhsa_user_sgpr_private_segment_size 0
		.amdhsa_wavefront_size32 1
		.amdhsa_uses_dynamic_stack 0
		.amdhsa_enable_private_segment 0
		.amdhsa_system_sgpr_workgroup_id_x 1
		.amdhsa_system_sgpr_workgroup_id_y 0
		.amdhsa_system_sgpr_workgroup_id_z 0
		.amdhsa_system_sgpr_workgroup_info 0
		.amdhsa_system_vgpr_workitem_id 0
		.amdhsa_next_free_vgpr 1
		.amdhsa_next_free_sgpr 1
		.amdhsa_reserve_vcc 0
		.amdhsa_float_round_mode_32 0
		.amdhsa_float_round_mode_16_64 0
		.amdhsa_float_denorm_mode_32 3
		.amdhsa_float_denorm_mode_16_64 3
		.amdhsa_fp16_overflow 0
		.amdhsa_workgroup_processor_mode 1
		.amdhsa_memory_ordered 1
		.amdhsa_forward_progress 1
		.amdhsa_inst_pref_size 0
		.amdhsa_round_robin_scheduling 0
		.amdhsa_exception_fp_ieee_invalid_op 0
		.amdhsa_exception_fp_denorm_src 0
		.amdhsa_exception_fp_ieee_div_zero 0
		.amdhsa_exception_fp_ieee_overflow 0
		.amdhsa_exception_fp_ieee_underflow 0
		.amdhsa_exception_fp_ieee_inexact 0
		.amdhsa_exception_int_div_zero 0
	.end_amdhsa_kernel
	.section	.text._ZN7rocprim17ROCPRIM_400000_NS6detail17trampoline_kernelINS0_14default_configENS1_25partition_config_selectorILNS1_17partition_subalgoE6ExNS0_10empty_typeEbEEZZNS1_14partition_implILS5_6ELb0ES3_mN6thrust23THRUST_200600_302600_NS6detail15normal_iteratorINSA_10device_ptrIxEEEEPS6_SG_NS0_5tupleIJSF_S6_EEENSH_IJSG_SG_EEES6_PlJNSB_9not_fun_tINSB_10functional5actorINSM_9compositeIJNSM_27transparent_binary_operatorINSA_8equal_toIvEEEENSN_INSM_8argumentILj0EEEEENSM_5valueIxEEEEEEEEEEEE10hipError_tPvRmT3_T4_T5_T6_T7_T9_mT8_P12ihipStream_tbDpT10_ENKUlT_T0_E_clISt17integral_constantIbLb0EES1J_IbLb1EEEEDaS1F_S1G_EUlS1F_E_NS1_11comp_targetILNS1_3genE9ELNS1_11target_archE1100ELNS1_3gpuE3ELNS1_3repE0EEENS1_30default_config_static_selectorELNS0_4arch9wavefront6targetE0EEEvT1_,"axG",@progbits,_ZN7rocprim17ROCPRIM_400000_NS6detail17trampoline_kernelINS0_14default_configENS1_25partition_config_selectorILNS1_17partition_subalgoE6ExNS0_10empty_typeEbEEZZNS1_14partition_implILS5_6ELb0ES3_mN6thrust23THRUST_200600_302600_NS6detail15normal_iteratorINSA_10device_ptrIxEEEEPS6_SG_NS0_5tupleIJSF_S6_EEENSH_IJSG_SG_EEES6_PlJNSB_9not_fun_tINSB_10functional5actorINSM_9compositeIJNSM_27transparent_binary_operatorINSA_8equal_toIvEEEENSN_INSM_8argumentILj0EEEEENSM_5valueIxEEEEEEEEEEEE10hipError_tPvRmT3_T4_T5_T6_T7_T9_mT8_P12ihipStream_tbDpT10_ENKUlT_T0_E_clISt17integral_constantIbLb0EES1J_IbLb1EEEEDaS1F_S1G_EUlS1F_E_NS1_11comp_targetILNS1_3genE9ELNS1_11target_archE1100ELNS1_3gpuE3ELNS1_3repE0EEENS1_30default_config_static_selectorELNS0_4arch9wavefront6targetE0EEEvT1_,comdat
.Lfunc_end209:
	.size	_ZN7rocprim17ROCPRIM_400000_NS6detail17trampoline_kernelINS0_14default_configENS1_25partition_config_selectorILNS1_17partition_subalgoE6ExNS0_10empty_typeEbEEZZNS1_14partition_implILS5_6ELb0ES3_mN6thrust23THRUST_200600_302600_NS6detail15normal_iteratorINSA_10device_ptrIxEEEEPS6_SG_NS0_5tupleIJSF_S6_EEENSH_IJSG_SG_EEES6_PlJNSB_9not_fun_tINSB_10functional5actorINSM_9compositeIJNSM_27transparent_binary_operatorINSA_8equal_toIvEEEENSN_INSM_8argumentILj0EEEEENSM_5valueIxEEEEEEEEEEEE10hipError_tPvRmT3_T4_T5_T6_T7_T9_mT8_P12ihipStream_tbDpT10_ENKUlT_T0_E_clISt17integral_constantIbLb0EES1J_IbLb1EEEEDaS1F_S1G_EUlS1F_E_NS1_11comp_targetILNS1_3genE9ELNS1_11target_archE1100ELNS1_3gpuE3ELNS1_3repE0EEENS1_30default_config_static_selectorELNS0_4arch9wavefront6targetE0EEEvT1_, .Lfunc_end209-_ZN7rocprim17ROCPRIM_400000_NS6detail17trampoline_kernelINS0_14default_configENS1_25partition_config_selectorILNS1_17partition_subalgoE6ExNS0_10empty_typeEbEEZZNS1_14partition_implILS5_6ELb0ES3_mN6thrust23THRUST_200600_302600_NS6detail15normal_iteratorINSA_10device_ptrIxEEEEPS6_SG_NS0_5tupleIJSF_S6_EEENSH_IJSG_SG_EEES6_PlJNSB_9not_fun_tINSB_10functional5actorINSM_9compositeIJNSM_27transparent_binary_operatorINSA_8equal_toIvEEEENSN_INSM_8argumentILj0EEEEENSM_5valueIxEEEEEEEEEEEE10hipError_tPvRmT3_T4_T5_T6_T7_T9_mT8_P12ihipStream_tbDpT10_ENKUlT_T0_E_clISt17integral_constantIbLb0EES1J_IbLb1EEEEDaS1F_S1G_EUlS1F_E_NS1_11comp_targetILNS1_3genE9ELNS1_11target_archE1100ELNS1_3gpuE3ELNS1_3repE0EEENS1_30default_config_static_selectorELNS0_4arch9wavefront6targetE0EEEvT1_
                                        ; -- End function
	.set _ZN7rocprim17ROCPRIM_400000_NS6detail17trampoline_kernelINS0_14default_configENS1_25partition_config_selectorILNS1_17partition_subalgoE6ExNS0_10empty_typeEbEEZZNS1_14partition_implILS5_6ELb0ES3_mN6thrust23THRUST_200600_302600_NS6detail15normal_iteratorINSA_10device_ptrIxEEEEPS6_SG_NS0_5tupleIJSF_S6_EEENSH_IJSG_SG_EEES6_PlJNSB_9not_fun_tINSB_10functional5actorINSM_9compositeIJNSM_27transparent_binary_operatorINSA_8equal_toIvEEEENSN_INSM_8argumentILj0EEEEENSM_5valueIxEEEEEEEEEEEE10hipError_tPvRmT3_T4_T5_T6_T7_T9_mT8_P12ihipStream_tbDpT10_ENKUlT_T0_E_clISt17integral_constantIbLb0EES1J_IbLb1EEEEDaS1F_S1G_EUlS1F_E_NS1_11comp_targetILNS1_3genE9ELNS1_11target_archE1100ELNS1_3gpuE3ELNS1_3repE0EEENS1_30default_config_static_selectorELNS0_4arch9wavefront6targetE0EEEvT1_.num_vgpr, 0
	.set _ZN7rocprim17ROCPRIM_400000_NS6detail17trampoline_kernelINS0_14default_configENS1_25partition_config_selectorILNS1_17partition_subalgoE6ExNS0_10empty_typeEbEEZZNS1_14partition_implILS5_6ELb0ES3_mN6thrust23THRUST_200600_302600_NS6detail15normal_iteratorINSA_10device_ptrIxEEEEPS6_SG_NS0_5tupleIJSF_S6_EEENSH_IJSG_SG_EEES6_PlJNSB_9not_fun_tINSB_10functional5actorINSM_9compositeIJNSM_27transparent_binary_operatorINSA_8equal_toIvEEEENSN_INSM_8argumentILj0EEEEENSM_5valueIxEEEEEEEEEEEE10hipError_tPvRmT3_T4_T5_T6_T7_T9_mT8_P12ihipStream_tbDpT10_ENKUlT_T0_E_clISt17integral_constantIbLb0EES1J_IbLb1EEEEDaS1F_S1G_EUlS1F_E_NS1_11comp_targetILNS1_3genE9ELNS1_11target_archE1100ELNS1_3gpuE3ELNS1_3repE0EEENS1_30default_config_static_selectorELNS0_4arch9wavefront6targetE0EEEvT1_.num_agpr, 0
	.set _ZN7rocprim17ROCPRIM_400000_NS6detail17trampoline_kernelINS0_14default_configENS1_25partition_config_selectorILNS1_17partition_subalgoE6ExNS0_10empty_typeEbEEZZNS1_14partition_implILS5_6ELb0ES3_mN6thrust23THRUST_200600_302600_NS6detail15normal_iteratorINSA_10device_ptrIxEEEEPS6_SG_NS0_5tupleIJSF_S6_EEENSH_IJSG_SG_EEES6_PlJNSB_9not_fun_tINSB_10functional5actorINSM_9compositeIJNSM_27transparent_binary_operatorINSA_8equal_toIvEEEENSN_INSM_8argumentILj0EEEEENSM_5valueIxEEEEEEEEEEEE10hipError_tPvRmT3_T4_T5_T6_T7_T9_mT8_P12ihipStream_tbDpT10_ENKUlT_T0_E_clISt17integral_constantIbLb0EES1J_IbLb1EEEEDaS1F_S1G_EUlS1F_E_NS1_11comp_targetILNS1_3genE9ELNS1_11target_archE1100ELNS1_3gpuE3ELNS1_3repE0EEENS1_30default_config_static_selectorELNS0_4arch9wavefront6targetE0EEEvT1_.numbered_sgpr, 0
	.set _ZN7rocprim17ROCPRIM_400000_NS6detail17trampoline_kernelINS0_14default_configENS1_25partition_config_selectorILNS1_17partition_subalgoE6ExNS0_10empty_typeEbEEZZNS1_14partition_implILS5_6ELb0ES3_mN6thrust23THRUST_200600_302600_NS6detail15normal_iteratorINSA_10device_ptrIxEEEEPS6_SG_NS0_5tupleIJSF_S6_EEENSH_IJSG_SG_EEES6_PlJNSB_9not_fun_tINSB_10functional5actorINSM_9compositeIJNSM_27transparent_binary_operatorINSA_8equal_toIvEEEENSN_INSM_8argumentILj0EEEEENSM_5valueIxEEEEEEEEEEEE10hipError_tPvRmT3_T4_T5_T6_T7_T9_mT8_P12ihipStream_tbDpT10_ENKUlT_T0_E_clISt17integral_constantIbLb0EES1J_IbLb1EEEEDaS1F_S1G_EUlS1F_E_NS1_11comp_targetILNS1_3genE9ELNS1_11target_archE1100ELNS1_3gpuE3ELNS1_3repE0EEENS1_30default_config_static_selectorELNS0_4arch9wavefront6targetE0EEEvT1_.num_named_barrier, 0
	.set _ZN7rocprim17ROCPRIM_400000_NS6detail17trampoline_kernelINS0_14default_configENS1_25partition_config_selectorILNS1_17partition_subalgoE6ExNS0_10empty_typeEbEEZZNS1_14partition_implILS5_6ELb0ES3_mN6thrust23THRUST_200600_302600_NS6detail15normal_iteratorINSA_10device_ptrIxEEEEPS6_SG_NS0_5tupleIJSF_S6_EEENSH_IJSG_SG_EEES6_PlJNSB_9not_fun_tINSB_10functional5actorINSM_9compositeIJNSM_27transparent_binary_operatorINSA_8equal_toIvEEEENSN_INSM_8argumentILj0EEEEENSM_5valueIxEEEEEEEEEEEE10hipError_tPvRmT3_T4_T5_T6_T7_T9_mT8_P12ihipStream_tbDpT10_ENKUlT_T0_E_clISt17integral_constantIbLb0EES1J_IbLb1EEEEDaS1F_S1G_EUlS1F_E_NS1_11comp_targetILNS1_3genE9ELNS1_11target_archE1100ELNS1_3gpuE3ELNS1_3repE0EEENS1_30default_config_static_selectorELNS0_4arch9wavefront6targetE0EEEvT1_.private_seg_size, 0
	.set _ZN7rocprim17ROCPRIM_400000_NS6detail17trampoline_kernelINS0_14default_configENS1_25partition_config_selectorILNS1_17partition_subalgoE6ExNS0_10empty_typeEbEEZZNS1_14partition_implILS5_6ELb0ES3_mN6thrust23THRUST_200600_302600_NS6detail15normal_iteratorINSA_10device_ptrIxEEEEPS6_SG_NS0_5tupleIJSF_S6_EEENSH_IJSG_SG_EEES6_PlJNSB_9not_fun_tINSB_10functional5actorINSM_9compositeIJNSM_27transparent_binary_operatorINSA_8equal_toIvEEEENSN_INSM_8argumentILj0EEEEENSM_5valueIxEEEEEEEEEEEE10hipError_tPvRmT3_T4_T5_T6_T7_T9_mT8_P12ihipStream_tbDpT10_ENKUlT_T0_E_clISt17integral_constantIbLb0EES1J_IbLb1EEEEDaS1F_S1G_EUlS1F_E_NS1_11comp_targetILNS1_3genE9ELNS1_11target_archE1100ELNS1_3gpuE3ELNS1_3repE0EEENS1_30default_config_static_selectorELNS0_4arch9wavefront6targetE0EEEvT1_.uses_vcc, 0
	.set _ZN7rocprim17ROCPRIM_400000_NS6detail17trampoline_kernelINS0_14default_configENS1_25partition_config_selectorILNS1_17partition_subalgoE6ExNS0_10empty_typeEbEEZZNS1_14partition_implILS5_6ELb0ES3_mN6thrust23THRUST_200600_302600_NS6detail15normal_iteratorINSA_10device_ptrIxEEEEPS6_SG_NS0_5tupleIJSF_S6_EEENSH_IJSG_SG_EEES6_PlJNSB_9not_fun_tINSB_10functional5actorINSM_9compositeIJNSM_27transparent_binary_operatorINSA_8equal_toIvEEEENSN_INSM_8argumentILj0EEEEENSM_5valueIxEEEEEEEEEEEE10hipError_tPvRmT3_T4_T5_T6_T7_T9_mT8_P12ihipStream_tbDpT10_ENKUlT_T0_E_clISt17integral_constantIbLb0EES1J_IbLb1EEEEDaS1F_S1G_EUlS1F_E_NS1_11comp_targetILNS1_3genE9ELNS1_11target_archE1100ELNS1_3gpuE3ELNS1_3repE0EEENS1_30default_config_static_selectorELNS0_4arch9wavefront6targetE0EEEvT1_.uses_flat_scratch, 0
	.set _ZN7rocprim17ROCPRIM_400000_NS6detail17trampoline_kernelINS0_14default_configENS1_25partition_config_selectorILNS1_17partition_subalgoE6ExNS0_10empty_typeEbEEZZNS1_14partition_implILS5_6ELb0ES3_mN6thrust23THRUST_200600_302600_NS6detail15normal_iteratorINSA_10device_ptrIxEEEEPS6_SG_NS0_5tupleIJSF_S6_EEENSH_IJSG_SG_EEES6_PlJNSB_9not_fun_tINSB_10functional5actorINSM_9compositeIJNSM_27transparent_binary_operatorINSA_8equal_toIvEEEENSN_INSM_8argumentILj0EEEEENSM_5valueIxEEEEEEEEEEEE10hipError_tPvRmT3_T4_T5_T6_T7_T9_mT8_P12ihipStream_tbDpT10_ENKUlT_T0_E_clISt17integral_constantIbLb0EES1J_IbLb1EEEEDaS1F_S1G_EUlS1F_E_NS1_11comp_targetILNS1_3genE9ELNS1_11target_archE1100ELNS1_3gpuE3ELNS1_3repE0EEENS1_30default_config_static_selectorELNS0_4arch9wavefront6targetE0EEEvT1_.has_dyn_sized_stack, 0
	.set _ZN7rocprim17ROCPRIM_400000_NS6detail17trampoline_kernelINS0_14default_configENS1_25partition_config_selectorILNS1_17partition_subalgoE6ExNS0_10empty_typeEbEEZZNS1_14partition_implILS5_6ELb0ES3_mN6thrust23THRUST_200600_302600_NS6detail15normal_iteratorINSA_10device_ptrIxEEEEPS6_SG_NS0_5tupleIJSF_S6_EEENSH_IJSG_SG_EEES6_PlJNSB_9not_fun_tINSB_10functional5actorINSM_9compositeIJNSM_27transparent_binary_operatorINSA_8equal_toIvEEEENSN_INSM_8argumentILj0EEEEENSM_5valueIxEEEEEEEEEEEE10hipError_tPvRmT3_T4_T5_T6_T7_T9_mT8_P12ihipStream_tbDpT10_ENKUlT_T0_E_clISt17integral_constantIbLb0EES1J_IbLb1EEEEDaS1F_S1G_EUlS1F_E_NS1_11comp_targetILNS1_3genE9ELNS1_11target_archE1100ELNS1_3gpuE3ELNS1_3repE0EEENS1_30default_config_static_selectorELNS0_4arch9wavefront6targetE0EEEvT1_.has_recursion, 0
	.set _ZN7rocprim17ROCPRIM_400000_NS6detail17trampoline_kernelINS0_14default_configENS1_25partition_config_selectorILNS1_17partition_subalgoE6ExNS0_10empty_typeEbEEZZNS1_14partition_implILS5_6ELb0ES3_mN6thrust23THRUST_200600_302600_NS6detail15normal_iteratorINSA_10device_ptrIxEEEEPS6_SG_NS0_5tupleIJSF_S6_EEENSH_IJSG_SG_EEES6_PlJNSB_9not_fun_tINSB_10functional5actorINSM_9compositeIJNSM_27transparent_binary_operatorINSA_8equal_toIvEEEENSN_INSM_8argumentILj0EEEEENSM_5valueIxEEEEEEEEEEEE10hipError_tPvRmT3_T4_T5_T6_T7_T9_mT8_P12ihipStream_tbDpT10_ENKUlT_T0_E_clISt17integral_constantIbLb0EES1J_IbLb1EEEEDaS1F_S1G_EUlS1F_E_NS1_11comp_targetILNS1_3genE9ELNS1_11target_archE1100ELNS1_3gpuE3ELNS1_3repE0EEENS1_30default_config_static_selectorELNS0_4arch9wavefront6targetE0EEEvT1_.has_indirect_call, 0
	.section	.AMDGPU.csdata,"",@progbits
; Kernel info:
; codeLenInByte = 0
; TotalNumSgprs: 0
; NumVgprs: 0
; ScratchSize: 0
; MemoryBound: 0
; FloatMode: 240
; IeeeMode: 1
; LDSByteSize: 0 bytes/workgroup (compile time only)
; SGPRBlocks: 0
; VGPRBlocks: 0
; NumSGPRsForWavesPerEU: 1
; NumVGPRsForWavesPerEU: 1
; Occupancy: 16
; WaveLimiterHint : 0
; COMPUTE_PGM_RSRC2:SCRATCH_EN: 0
; COMPUTE_PGM_RSRC2:USER_SGPR: 2
; COMPUTE_PGM_RSRC2:TRAP_HANDLER: 0
; COMPUTE_PGM_RSRC2:TGID_X_EN: 1
; COMPUTE_PGM_RSRC2:TGID_Y_EN: 0
; COMPUTE_PGM_RSRC2:TGID_Z_EN: 0
; COMPUTE_PGM_RSRC2:TIDIG_COMP_CNT: 0
	.section	.text._ZN7rocprim17ROCPRIM_400000_NS6detail17trampoline_kernelINS0_14default_configENS1_25partition_config_selectorILNS1_17partition_subalgoE6ExNS0_10empty_typeEbEEZZNS1_14partition_implILS5_6ELb0ES3_mN6thrust23THRUST_200600_302600_NS6detail15normal_iteratorINSA_10device_ptrIxEEEEPS6_SG_NS0_5tupleIJSF_S6_EEENSH_IJSG_SG_EEES6_PlJNSB_9not_fun_tINSB_10functional5actorINSM_9compositeIJNSM_27transparent_binary_operatorINSA_8equal_toIvEEEENSN_INSM_8argumentILj0EEEEENSM_5valueIxEEEEEEEEEEEE10hipError_tPvRmT3_T4_T5_T6_T7_T9_mT8_P12ihipStream_tbDpT10_ENKUlT_T0_E_clISt17integral_constantIbLb0EES1J_IbLb1EEEEDaS1F_S1G_EUlS1F_E_NS1_11comp_targetILNS1_3genE8ELNS1_11target_archE1030ELNS1_3gpuE2ELNS1_3repE0EEENS1_30default_config_static_selectorELNS0_4arch9wavefront6targetE0EEEvT1_,"axG",@progbits,_ZN7rocprim17ROCPRIM_400000_NS6detail17trampoline_kernelINS0_14default_configENS1_25partition_config_selectorILNS1_17partition_subalgoE6ExNS0_10empty_typeEbEEZZNS1_14partition_implILS5_6ELb0ES3_mN6thrust23THRUST_200600_302600_NS6detail15normal_iteratorINSA_10device_ptrIxEEEEPS6_SG_NS0_5tupleIJSF_S6_EEENSH_IJSG_SG_EEES6_PlJNSB_9not_fun_tINSB_10functional5actorINSM_9compositeIJNSM_27transparent_binary_operatorINSA_8equal_toIvEEEENSN_INSM_8argumentILj0EEEEENSM_5valueIxEEEEEEEEEEEE10hipError_tPvRmT3_T4_T5_T6_T7_T9_mT8_P12ihipStream_tbDpT10_ENKUlT_T0_E_clISt17integral_constantIbLb0EES1J_IbLb1EEEEDaS1F_S1G_EUlS1F_E_NS1_11comp_targetILNS1_3genE8ELNS1_11target_archE1030ELNS1_3gpuE2ELNS1_3repE0EEENS1_30default_config_static_selectorELNS0_4arch9wavefront6targetE0EEEvT1_,comdat
	.protected	_ZN7rocprim17ROCPRIM_400000_NS6detail17trampoline_kernelINS0_14default_configENS1_25partition_config_selectorILNS1_17partition_subalgoE6ExNS0_10empty_typeEbEEZZNS1_14partition_implILS5_6ELb0ES3_mN6thrust23THRUST_200600_302600_NS6detail15normal_iteratorINSA_10device_ptrIxEEEEPS6_SG_NS0_5tupleIJSF_S6_EEENSH_IJSG_SG_EEES6_PlJNSB_9not_fun_tINSB_10functional5actorINSM_9compositeIJNSM_27transparent_binary_operatorINSA_8equal_toIvEEEENSN_INSM_8argumentILj0EEEEENSM_5valueIxEEEEEEEEEEEE10hipError_tPvRmT3_T4_T5_T6_T7_T9_mT8_P12ihipStream_tbDpT10_ENKUlT_T0_E_clISt17integral_constantIbLb0EES1J_IbLb1EEEEDaS1F_S1G_EUlS1F_E_NS1_11comp_targetILNS1_3genE8ELNS1_11target_archE1030ELNS1_3gpuE2ELNS1_3repE0EEENS1_30default_config_static_selectorELNS0_4arch9wavefront6targetE0EEEvT1_ ; -- Begin function _ZN7rocprim17ROCPRIM_400000_NS6detail17trampoline_kernelINS0_14default_configENS1_25partition_config_selectorILNS1_17partition_subalgoE6ExNS0_10empty_typeEbEEZZNS1_14partition_implILS5_6ELb0ES3_mN6thrust23THRUST_200600_302600_NS6detail15normal_iteratorINSA_10device_ptrIxEEEEPS6_SG_NS0_5tupleIJSF_S6_EEENSH_IJSG_SG_EEES6_PlJNSB_9not_fun_tINSB_10functional5actorINSM_9compositeIJNSM_27transparent_binary_operatorINSA_8equal_toIvEEEENSN_INSM_8argumentILj0EEEEENSM_5valueIxEEEEEEEEEEEE10hipError_tPvRmT3_T4_T5_T6_T7_T9_mT8_P12ihipStream_tbDpT10_ENKUlT_T0_E_clISt17integral_constantIbLb0EES1J_IbLb1EEEEDaS1F_S1G_EUlS1F_E_NS1_11comp_targetILNS1_3genE8ELNS1_11target_archE1030ELNS1_3gpuE2ELNS1_3repE0EEENS1_30default_config_static_selectorELNS0_4arch9wavefront6targetE0EEEvT1_
	.globl	_ZN7rocprim17ROCPRIM_400000_NS6detail17trampoline_kernelINS0_14default_configENS1_25partition_config_selectorILNS1_17partition_subalgoE6ExNS0_10empty_typeEbEEZZNS1_14partition_implILS5_6ELb0ES3_mN6thrust23THRUST_200600_302600_NS6detail15normal_iteratorINSA_10device_ptrIxEEEEPS6_SG_NS0_5tupleIJSF_S6_EEENSH_IJSG_SG_EEES6_PlJNSB_9not_fun_tINSB_10functional5actorINSM_9compositeIJNSM_27transparent_binary_operatorINSA_8equal_toIvEEEENSN_INSM_8argumentILj0EEEEENSM_5valueIxEEEEEEEEEEEE10hipError_tPvRmT3_T4_T5_T6_T7_T9_mT8_P12ihipStream_tbDpT10_ENKUlT_T0_E_clISt17integral_constantIbLb0EES1J_IbLb1EEEEDaS1F_S1G_EUlS1F_E_NS1_11comp_targetILNS1_3genE8ELNS1_11target_archE1030ELNS1_3gpuE2ELNS1_3repE0EEENS1_30default_config_static_selectorELNS0_4arch9wavefront6targetE0EEEvT1_
	.p2align	8
	.type	_ZN7rocprim17ROCPRIM_400000_NS6detail17trampoline_kernelINS0_14default_configENS1_25partition_config_selectorILNS1_17partition_subalgoE6ExNS0_10empty_typeEbEEZZNS1_14partition_implILS5_6ELb0ES3_mN6thrust23THRUST_200600_302600_NS6detail15normal_iteratorINSA_10device_ptrIxEEEEPS6_SG_NS0_5tupleIJSF_S6_EEENSH_IJSG_SG_EEES6_PlJNSB_9not_fun_tINSB_10functional5actorINSM_9compositeIJNSM_27transparent_binary_operatorINSA_8equal_toIvEEEENSN_INSM_8argumentILj0EEEEENSM_5valueIxEEEEEEEEEEEE10hipError_tPvRmT3_T4_T5_T6_T7_T9_mT8_P12ihipStream_tbDpT10_ENKUlT_T0_E_clISt17integral_constantIbLb0EES1J_IbLb1EEEEDaS1F_S1G_EUlS1F_E_NS1_11comp_targetILNS1_3genE8ELNS1_11target_archE1030ELNS1_3gpuE2ELNS1_3repE0EEENS1_30default_config_static_selectorELNS0_4arch9wavefront6targetE0EEEvT1_,@function
_ZN7rocprim17ROCPRIM_400000_NS6detail17trampoline_kernelINS0_14default_configENS1_25partition_config_selectorILNS1_17partition_subalgoE6ExNS0_10empty_typeEbEEZZNS1_14partition_implILS5_6ELb0ES3_mN6thrust23THRUST_200600_302600_NS6detail15normal_iteratorINSA_10device_ptrIxEEEEPS6_SG_NS0_5tupleIJSF_S6_EEENSH_IJSG_SG_EEES6_PlJNSB_9not_fun_tINSB_10functional5actorINSM_9compositeIJNSM_27transparent_binary_operatorINSA_8equal_toIvEEEENSN_INSM_8argumentILj0EEEEENSM_5valueIxEEEEEEEEEEEE10hipError_tPvRmT3_T4_T5_T6_T7_T9_mT8_P12ihipStream_tbDpT10_ENKUlT_T0_E_clISt17integral_constantIbLb0EES1J_IbLb1EEEEDaS1F_S1G_EUlS1F_E_NS1_11comp_targetILNS1_3genE8ELNS1_11target_archE1030ELNS1_3gpuE2ELNS1_3repE0EEENS1_30default_config_static_selectorELNS0_4arch9wavefront6targetE0EEEvT1_: ; @_ZN7rocprim17ROCPRIM_400000_NS6detail17trampoline_kernelINS0_14default_configENS1_25partition_config_selectorILNS1_17partition_subalgoE6ExNS0_10empty_typeEbEEZZNS1_14partition_implILS5_6ELb0ES3_mN6thrust23THRUST_200600_302600_NS6detail15normal_iteratorINSA_10device_ptrIxEEEEPS6_SG_NS0_5tupleIJSF_S6_EEENSH_IJSG_SG_EEES6_PlJNSB_9not_fun_tINSB_10functional5actorINSM_9compositeIJNSM_27transparent_binary_operatorINSA_8equal_toIvEEEENSN_INSM_8argumentILj0EEEEENSM_5valueIxEEEEEEEEEEEE10hipError_tPvRmT3_T4_T5_T6_T7_T9_mT8_P12ihipStream_tbDpT10_ENKUlT_T0_E_clISt17integral_constantIbLb0EES1J_IbLb1EEEEDaS1F_S1G_EUlS1F_E_NS1_11comp_targetILNS1_3genE8ELNS1_11target_archE1030ELNS1_3gpuE2ELNS1_3repE0EEENS1_30default_config_static_selectorELNS0_4arch9wavefront6targetE0EEEvT1_
; %bb.0:
	.section	.rodata,"a",@progbits
	.p2align	6, 0x0
	.amdhsa_kernel _ZN7rocprim17ROCPRIM_400000_NS6detail17trampoline_kernelINS0_14default_configENS1_25partition_config_selectorILNS1_17partition_subalgoE6ExNS0_10empty_typeEbEEZZNS1_14partition_implILS5_6ELb0ES3_mN6thrust23THRUST_200600_302600_NS6detail15normal_iteratorINSA_10device_ptrIxEEEEPS6_SG_NS0_5tupleIJSF_S6_EEENSH_IJSG_SG_EEES6_PlJNSB_9not_fun_tINSB_10functional5actorINSM_9compositeIJNSM_27transparent_binary_operatorINSA_8equal_toIvEEEENSN_INSM_8argumentILj0EEEEENSM_5valueIxEEEEEEEEEEEE10hipError_tPvRmT3_T4_T5_T6_T7_T9_mT8_P12ihipStream_tbDpT10_ENKUlT_T0_E_clISt17integral_constantIbLb0EES1J_IbLb1EEEEDaS1F_S1G_EUlS1F_E_NS1_11comp_targetILNS1_3genE8ELNS1_11target_archE1030ELNS1_3gpuE2ELNS1_3repE0EEENS1_30default_config_static_selectorELNS0_4arch9wavefront6targetE0EEEvT1_
		.amdhsa_group_segment_fixed_size 0
		.amdhsa_private_segment_fixed_size 0
		.amdhsa_kernarg_size 136
		.amdhsa_user_sgpr_count 2
		.amdhsa_user_sgpr_dispatch_ptr 0
		.amdhsa_user_sgpr_queue_ptr 0
		.amdhsa_user_sgpr_kernarg_segment_ptr 1
		.amdhsa_user_sgpr_dispatch_id 0
		.amdhsa_user_sgpr_private_segment_size 0
		.amdhsa_wavefront_size32 1
		.amdhsa_uses_dynamic_stack 0
		.amdhsa_enable_private_segment 0
		.amdhsa_system_sgpr_workgroup_id_x 1
		.amdhsa_system_sgpr_workgroup_id_y 0
		.amdhsa_system_sgpr_workgroup_id_z 0
		.amdhsa_system_sgpr_workgroup_info 0
		.amdhsa_system_vgpr_workitem_id 0
		.amdhsa_next_free_vgpr 1
		.amdhsa_next_free_sgpr 1
		.amdhsa_reserve_vcc 0
		.amdhsa_float_round_mode_32 0
		.amdhsa_float_round_mode_16_64 0
		.amdhsa_float_denorm_mode_32 3
		.amdhsa_float_denorm_mode_16_64 3
		.amdhsa_fp16_overflow 0
		.amdhsa_workgroup_processor_mode 1
		.amdhsa_memory_ordered 1
		.amdhsa_forward_progress 1
		.amdhsa_inst_pref_size 0
		.amdhsa_round_robin_scheduling 0
		.amdhsa_exception_fp_ieee_invalid_op 0
		.amdhsa_exception_fp_denorm_src 0
		.amdhsa_exception_fp_ieee_div_zero 0
		.amdhsa_exception_fp_ieee_overflow 0
		.amdhsa_exception_fp_ieee_underflow 0
		.amdhsa_exception_fp_ieee_inexact 0
		.amdhsa_exception_int_div_zero 0
	.end_amdhsa_kernel
	.section	.text._ZN7rocprim17ROCPRIM_400000_NS6detail17trampoline_kernelINS0_14default_configENS1_25partition_config_selectorILNS1_17partition_subalgoE6ExNS0_10empty_typeEbEEZZNS1_14partition_implILS5_6ELb0ES3_mN6thrust23THRUST_200600_302600_NS6detail15normal_iteratorINSA_10device_ptrIxEEEEPS6_SG_NS0_5tupleIJSF_S6_EEENSH_IJSG_SG_EEES6_PlJNSB_9not_fun_tINSB_10functional5actorINSM_9compositeIJNSM_27transparent_binary_operatorINSA_8equal_toIvEEEENSN_INSM_8argumentILj0EEEEENSM_5valueIxEEEEEEEEEEEE10hipError_tPvRmT3_T4_T5_T6_T7_T9_mT8_P12ihipStream_tbDpT10_ENKUlT_T0_E_clISt17integral_constantIbLb0EES1J_IbLb1EEEEDaS1F_S1G_EUlS1F_E_NS1_11comp_targetILNS1_3genE8ELNS1_11target_archE1030ELNS1_3gpuE2ELNS1_3repE0EEENS1_30default_config_static_selectorELNS0_4arch9wavefront6targetE0EEEvT1_,"axG",@progbits,_ZN7rocprim17ROCPRIM_400000_NS6detail17trampoline_kernelINS0_14default_configENS1_25partition_config_selectorILNS1_17partition_subalgoE6ExNS0_10empty_typeEbEEZZNS1_14partition_implILS5_6ELb0ES3_mN6thrust23THRUST_200600_302600_NS6detail15normal_iteratorINSA_10device_ptrIxEEEEPS6_SG_NS0_5tupleIJSF_S6_EEENSH_IJSG_SG_EEES6_PlJNSB_9not_fun_tINSB_10functional5actorINSM_9compositeIJNSM_27transparent_binary_operatorINSA_8equal_toIvEEEENSN_INSM_8argumentILj0EEEEENSM_5valueIxEEEEEEEEEEEE10hipError_tPvRmT3_T4_T5_T6_T7_T9_mT8_P12ihipStream_tbDpT10_ENKUlT_T0_E_clISt17integral_constantIbLb0EES1J_IbLb1EEEEDaS1F_S1G_EUlS1F_E_NS1_11comp_targetILNS1_3genE8ELNS1_11target_archE1030ELNS1_3gpuE2ELNS1_3repE0EEENS1_30default_config_static_selectorELNS0_4arch9wavefront6targetE0EEEvT1_,comdat
.Lfunc_end210:
	.size	_ZN7rocprim17ROCPRIM_400000_NS6detail17trampoline_kernelINS0_14default_configENS1_25partition_config_selectorILNS1_17partition_subalgoE6ExNS0_10empty_typeEbEEZZNS1_14partition_implILS5_6ELb0ES3_mN6thrust23THRUST_200600_302600_NS6detail15normal_iteratorINSA_10device_ptrIxEEEEPS6_SG_NS0_5tupleIJSF_S6_EEENSH_IJSG_SG_EEES6_PlJNSB_9not_fun_tINSB_10functional5actorINSM_9compositeIJNSM_27transparent_binary_operatorINSA_8equal_toIvEEEENSN_INSM_8argumentILj0EEEEENSM_5valueIxEEEEEEEEEEEE10hipError_tPvRmT3_T4_T5_T6_T7_T9_mT8_P12ihipStream_tbDpT10_ENKUlT_T0_E_clISt17integral_constantIbLb0EES1J_IbLb1EEEEDaS1F_S1G_EUlS1F_E_NS1_11comp_targetILNS1_3genE8ELNS1_11target_archE1030ELNS1_3gpuE2ELNS1_3repE0EEENS1_30default_config_static_selectorELNS0_4arch9wavefront6targetE0EEEvT1_, .Lfunc_end210-_ZN7rocprim17ROCPRIM_400000_NS6detail17trampoline_kernelINS0_14default_configENS1_25partition_config_selectorILNS1_17partition_subalgoE6ExNS0_10empty_typeEbEEZZNS1_14partition_implILS5_6ELb0ES3_mN6thrust23THRUST_200600_302600_NS6detail15normal_iteratorINSA_10device_ptrIxEEEEPS6_SG_NS0_5tupleIJSF_S6_EEENSH_IJSG_SG_EEES6_PlJNSB_9not_fun_tINSB_10functional5actorINSM_9compositeIJNSM_27transparent_binary_operatorINSA_8equal_toIvEEEENSN_INSM_8argumentILj0EEEEENSM_5valueIxEEEEEEEEEEEE10hipError_tPvRmT3_T4_T5_T6_T7_T9_mT8_P12ihipStream_tbDpT10_ENKUlT_T0_E_clISt17integral_constantIbLb0EES1J_IbLb1EEEEDaS1F_S1G_EUlS1F_E_NS1_11comp_targetILNS1_3genE8ELNS1_11target_archE1030ELNS1_3gpuE2ELNS1_3repE0EEENS1_30default_config_static_selectorELNS0_4arch9wavefront6targetE0EEEvT1_
                                        ; -- End function
	.set _ZN7rocprim17ROCPRIM_400000_NS6detail17trampoline_kernelINS0_14default_configENS1_25partition_config_selectorILNS1_17partition_subalgoE6ExNS0_10empty_typeEbEEZZNS1_14partition_implILS5_6ELb0ES3_mN6thrust23THRUST_200600_302600_NS6detail15normal_iteratorINSA_10device_ptrIxEEEEPS6_SG_NS0_5tupleIJSF_S6_EEENSH_IJSG_SG_EEES6_PlJNSB_9not_fun_tINSB_10functional5actorINSM_9compositeIJNSM_27transparent_binary_operatorINSA_8equal_toIvEEEENSN_INSM_8argumentILj0EEEEENSM_5valueIxEEEEEEEEEEEE10hipError_tPvRmT3_T4_T5_T6_T7_T9_mT8_P12ihipStream_tbDpT10_ENKUlT_T0_E_clISt17integral_constantIbLb0EES1J_IbLb1EEEEDaS1F_S1G_EUlS1F_E_NS1_11comp_targetILNS1_3genE8ELNS1_11target_archE1030ELNS1_3gpuE2ELNS1_3repE0EEENS1_30default_config_static_selectorELNS0_4arch9wavefront6targetE0EEEvT1_.num_vgpr, 0
	.set _ZN7rocprim17ROCPRIM_400000_NS6detail17trampoline_kernelINS0_14default_configENS1_25partition_config_selectorILNS1_17partition_subalgoE6ExNS0_10empty_typeEbEEZZNS1_14partition_implILS5_6ELb0ES3_mN6thrust23THRUST_200600_302600_NS6detail15normal_iteratorINSA_10device_ptrIxEEEEPS6_SG_NS0_5tupleIJSF_S6_EEENSH_IJSG_SG_EEES6_PlJNSB_9not_fun_tINSB_10functional5actorINSM_9compositeIJNSM_27transparent_binary_operatorINSA_8equal_toIvEEEENSN_INSM_8argumentILj0EEEEENSM_5valueIxEEEEEEEEEEEE10hipError_tPvRmT3_T4_T5_T6_T7_T9_mT8_P12ihipStream_tbDpT10_ENKUlT_T0_E_clISt17integral_constantIbLb0EES1J_IbLb1EEEEDaS1F_S1G_EUlS1F_E_NS1_11comp_targetILNS1_3genE8ELNS1_11target_archE1030ELNS1_3gpuE2ELNS1_3repE0EEENS1_30default_config_static_selectorELNS0_4arch9wavefront6targetE0EEEvT1_.num_agpr, 0
	.set _ZN7rocprim17ROCPRIM_400000_NS6detail17trampoline_kernelINS0_14default_configENS1_25partition_config_selectorILNS1_17partition_subalgoE6ExNS0_10empty_typeEbEEZZNS1_14partition_implILS5_6ELb0ES3_mN6thrust23THRUST_200600_302600_NS6detail15normal_iteratorINSA_10device_ptrIxEEEEPS6_SG_NS0_5tupleIJSF_S6_EEENSH_IJSG_SG_EEES6_PlJNSB_9not_fun_tINSB_10functional5actorINSM_9compositeIJNSM_27transparent_binary_operatorINSA_8equal_toIvEEEENSN_INSM_8argumentILj0EEEEENSM_5valueIxEEEEEEEEEEEE10hipError_tPvRmT3_T4_T5_T6_T7_T9_mT8_P12ihipStream_tbDpT10_ENKUlT_T0_E_clISt17integral_constantIbLb0EES1J_IbLb1EEEEDaS1F_S1G_EUlS1F_E_NS1_11comp_targetILNS1_3genE8ELNS1_11target_archE1030ELNS1_3gpuE2ELNS1_3repE0EEENS1_30default_config_static_selectorELNS0_4arch9wavefront6targetE0EEEvT1_.numbered_sgpr, 0
	.set _ZN7rocprim17ROCPRIM_400000_NS6detail17trampoline_kernelINS0_14default_configENS1_25partition_config_selectorILNS1_17partition_subalgoE6ExNS0_10empty_typeEbEEZZNS1_14partition_implILS5_6ELb0ES3_mN6thrust23THRUST_200600_302600_NS6detail15normal_iteratorINSA_10device_ptrIxEEEEPS6_SG_NS0_5tupleIJSF_S6_EEENSH_IJSG_SG_EEES6_PlJNSB_9not_fun_tINSB_10functional5actorINSM_9compositeIJNSM_27transparent_binary_operatorINSA_8equal_toIvEEEENSN_INSM_8argumentILj0EEEEENSM_5valueIxEEEEEEEEEEEE10hipError_tPvRmT3_T4_T5_T6_T7_T9_mT8_P12ihipStream_tbDpT10_ENKUlT_T0_E_clISt17integral_constantIbLb0EES1J_IbLb1EEEEDaS1F_S1G_EUlS1F_E_NS1_11comp_targetILNS1_3genE8ELNS1_11target_archE1030ELNS1_3gpuE2ELNS1_3repE0EEENS1_30default_config_static_selectorELNS0_4arch9wavefront6targetE0EEEvT1_.num_named_barrier, 0
	.set _ZN7rocprim17ROCPRIM_400000_NS6detail17trampoline_kernelINS0_14default_configENS1_25partition_config_selectorILNS1_17partition_subalgoE6ExNS0_10empty_typeEbEEZZNS1_14partition_implILS5_6ELb0ES3_mN6thrust23THRUST_200600_302600_NS6detail15normal_iteratorINSA_10device_ptrIxEEEEPS6_SG_NS0_5tupleIJSF_S6_EEENSH_IJSG_SG_EEES6_PlJNSB_9not_fun_tINSB_10functional5actorINSM_9compositeIJNSM_27transparent_binary_operatorINSA_8equal_toIvEEEENSN_INSM_8argumentILj0EEEEENSM_5valueIxEEEEEEEEEEEE10hipError_tPvRmT3_T4_T5_T6_T7_T9_mT8_P12ihipStream_tbDpT10_ENKUlT_T0_E_clISt17integral_constantIbLb0EES1J_IbLb1EEEEDaS1F_S1G_EUlS1F_E_NS1_11comp_targetILNS1_3genE8ELNS1_11target_archE1030ELNS1_3gpuE2ELNS1_3repE0EEENS1_30default_config_static_selectorELNS0_4arch9wavefront6targetE0EEEvT1_.private_seg_size, 0
	.set _ZN7rocprim17ROCPRIM_400000_NS6detail17trampoline_kernelINS0_14default_configENS1_25partition_config_selectorILNS1_17partition_subalgoE6ExNS0_10empty_typeEbEEZZNS1_14partition_implILS5_6ELb0ES3_mN6thrust23THRUST_200600_302600_NS6detail15normal_iteratorINSA_10device_ptrIxEEEEPS6_SG_NS0_5tupleIJSF_S6_EEENSH_IJSG_SG_EEES6_PlJNSB_9not_fun_tINSB_10functional5actorINSM_9compositeIJNSM_27transparent_binary_operatorINSA_8equal_toIvEEEENSN_INSM_8argumentILj0EEEEENSM_5valueIxEEEEEEEEEEEE10hipError_tPvRmT3_T4_T5_T6_T7_T9_mT8_P12ihipStream_tbDpT10_ENKUlT_T0_E_clISt17integral_constantIbLb0EES1J_IbLb1EEEEDaS1F_S1G_EUlS1F_E_NS1_11comp_targetILNS1_3genE8ELNS1_11target_archE1030ELNS1_3gpuE2ELNS1_3repE0EEENS1_30default_config_static_selectorELNS0_4arch9wavefront6targetE0EEEvT1_.uses_vcc, 0
	.set _ZN7rocprim17ROCPRIM_400000_NS6detail17trampoline_kernelINS0_14default_configENS1_25partition_config_selectorILNS1_17partition_subalgoE6ExNS0_10empty_typeEbEEZZNS1_14partition_implILS5_6ELb0ES3_mN6thrust23THRUST_200600_302600_NS6detail15normal_iteratorINSA_10device_ptrIxEEEEPS6_SG_NS0_5tupleIJSF_S6_EEENSH_IJSG_SG_EEES6_PlJNSB_9not_fun_tINSB_10functional5actorINSM_9compositeIJNSM_27transparent_binary_operatorINSA_8equal_toIvEEEENSN_INSM_8argumentILj0EEEEENSM_5valueIxEEEEEEEEEEEE10hipError_tPvRmT3_T4_T5_T6_T7_T9_mT8_P12ihipStream_tbDpT10_ENKUlT_T0_E_clISt17integral_constantIbLb0EES1J_IbLb1EEEEDaS1F_S1G_EUlS1F_E_NS1_11comp_targetILNS1_3genE8ELNS1_11target_archE1030ELNS1_3gpuE2ELNS1_3repE0EEENS1_30default_config_static_selectorELNS0_4arch9wavefront6targetE0EEEvT1_.uses_flat_scratch, 0
	.set _ZN7rocprim17ROCPRIM_400000_NS6detail17trampoline_kernelINS0_14default_configENS1_25partition_config_selectorILNS1_17partition_subalgoE6ExNS0_10empty_typeEbEEZZNS1_14partition_implILS5_6ELb0ES3_mN6thrust23THRUST_200600_302600_NS6detail15normal_iteratorINSA_10device_ptrIxEEEEPS6_SG_NS0_5tupleIJSF_S6_EEENSH_IJSG_SG_EEES6_PlJNSB_9not_fun_tINSB_10functional5actorINSM_9compositeIJNSM_27transparent_binary_operatorINSA_8equal_toIvEEEENSN_INSM_8argumentILj0EEEEENSM_5valueIxEEEEEEEEEEEE10hipError_tPvRmT3_T4_T5_T6_T7_T9_mT8_P12ihipStream_tbDpT10_ENKUlT_T0_E_clISt17integral_constantIbLb0EES1J_IbLb1EEEEDaS1F_S1G_EUlS1F_E_NS1_11comp_targetILNS1_3genE8ELNS1_11target_archE1030ELNS1_3gpuE2ELNS1_3repE0EEENS1_30default_config_static_selectorELNS0_4arch9wavefront6targetE0EEEvT1_.has_dyn_sized_stack, 0
	.set _ZN7rocprim17ROCPRIM_400000_NS6detail17trampoline_kernelINS0_14default_configENS1_25partition_config_selectorILNS1_17partition_subalgoE6ExNS0_10empty_typeEbEEZZNS1_14partition_implILS5_6ELb0ES3_mN6thrust23THRUST_200600_302600_NS6detail15normal_iteratorINSA_10device_ptrIxEEEEPS6_SG_NS0_5tupleIJSF_S6_EEENSH_IJSG_SG_EEES6_PlJNSB_9not_fun_tINSB_10functional5actorINSM_9compositeIJNSM_27transparent_binary_operatorINSA_8equal_toIvEEEENSN_INSM_8argumentILj0EEEEENSM_5valueIxEEEEEEEEEEEE10hipError_tPvRmT3_T4_T5_T6_T7_T9_mT8_P12ihipStream_tbDpT10_ENKUlT_T0_E_clISt17integral_constantIbLb0EES1J_IbLb1EEEEDaS1F_S1G_EUlS1F_E_NS1_11comp_targetILNS1_3genE8ELNS1_11target_archE1030ELNS1_3gpuE2ELNS1_3repE0EEENS1_30default_config_static_selectorELNS0_4arch9wavefront6targetE0EEEvT1_.has_recursion, 0
	.set _ZN7rocprim17ROCPRIM_400000_NS6detail17trampoline_kernelINS0_14default_configENS1_25partition_config_selectorILNS1_17partition_subalgoE6ExNS0_10empty_typeEbEEZZNS1_14partition_implILS5_6ELb0ES3_mN6thrust23THRUST_200600_302600_NS6detail15normal_iteratorINSA_10device_ptrIxEEEEPS6_SG_NS0_5tupleIJSF_S6_EEENSH_IJSG_SG_EEES6_PlJNSB_9not_fun_tINSB_10functional5actorINSM_9compositeIJNSM_27transparent_binary_operatorINSA_8equal_toIvEEEENSN_INSM_8argumentILj0EEEEENSM_5valueIxEEEEEEEEEEEE10hipError_tPvRmT3_T4_T5_T6_T7_T9_mT8_P12ihipStream_tbDpT10_ENKUlT_T0_E_clISt17integral_constantIbLb0EES1J_IbLb1EEEEDaS1F_S1G_EUlS1F_E_NS1_11comp_targetILNS1_3genE8ELNS1_11target_archE1030ELNS1_3gpuE2ELNS1_3repE0EEENS1_30default_config_static_selectorELNS0_4arch9wavefront6targetE0EEEvT1_.has_indirect_call, 0
	.section	.AMDGPU.csdata,"",@progbits
; Kernel info:
; codeLenInByte = 0
; TotalNumSgprs: 0
; NumVgprs: 0
; ScratchSize: 0
; MemoryBound: 0
; FloatMode: 240
; IeeeMode: 1
; LDSByteSize: 0 bytes/workgroup (compile time only)
; SGPRBlocks: 0
; VGPRBlocks: 0
; NumSGPRsForWavesPerEU: 1
; NumVGPRsForWavesPerEU: 1
; Occupancy: 16
; WaveLimiterHint : 0
; COMPUTE_PGM_RSRC2:SCRATCH_EN: 0
; COMPUTE_PGM_RSRC2:USER_SGPR: 2
; COMPUTE_PGM_RSRC2:TRAP_HANDLER: 0
; COMPUTE_PGM_RSRC2:TGID_X_EN: 1
; COMPUTE_PGM_RSRC2:TGID_Y_EN: 0
; COMPUTE_PGM_RSRC2:TGID_Z_EN: 0
; COMPUTE_PGM_RSRC2:TIDIG_COMP_CNT: 0
	.section	.text._ZN7rocprim17ROCPRIM_400000_NS6detail17trampoline_kernelINS0_14default_configENS1_25partition_config_selectorILNS1_17partition_subalgoE6EiNS0_10empty_typeEbEEZZNS1_14partition_implILS5_6ELb0ES3_mN6thrust23THRUST_200600_302600_NS6detail15normal_iteratorINSA_10device_ptrIiEEEEPS6_SG_NS0_5tupleIJSF_S6_EEENSH_IJSG_SG_EEES6_PlJNSB_9not_fun_tINSB_10functional5actorINSM_9compositeIJNSM_27transparent_binary_operatorINSA_8equal_toIvEEEENSN_INSM_8argumentILj0EEEEENSM_5valueIiEEEEEEEEEEEE10hipError_tPvRmT3_T4_T5_T6_T7_T9_mT8_P12ihipStream_tbDpT10_ENKUlT_T0_E_clISt17integral_constantIbLb0EES1K_EEDaS1F_S1G_EUlS1F_E_NS1_11comp_targetILNS1_3genE0ELNS1_11target_archE4294967295ELNS1_3gpuE0ELNS1_3repE0EEENS1_30default_config_static_selectorELNS0_4arch9wavefront6targetE0EEEvT1_,"axG",@progbits,_ZN7rocprim17ROCPRIM_400000_NS6detail17trampoline_kernelINS0_14default_configENS1_25partition_config_selectorILNS1_17partition_subalgoE6EiNS0_10empty_typeEbEEZZNS1_14partition_implILS5_6ELb0ES3_mN6thrust23THRUST_200600_302600_NS6detail15normal_iteratorINSA_10device_ptrIiEEEEPS6_SG_NS0_5tupleIJSF_S6_EEENSH_IJSG_SG_EEES6_PlJNSB_9not_fun_tINSB_10functional5actorINSM_9compositeIJNSM_27transparent_binary_operatorINSA_8equal_toIvEEEENSN_INSM_8argumentILj0EEEEENSM_5valueIiEEEEEEEEEEEE10hipError_tPvRmT3_T4_T5_T6_T7_T9_mT8_P12ihipStream_tbDpT10_ENKUlT_T0_E_clISt17integral_constantIbLb0EES1K_EEDaS1F_S1G_EUlS1F_E_NS1_11comp_targetILNS1_3genE0ELNS1_11target_archE4294967295ELNS1_3gpuE0ELNS1_3repE0EEENS1_30default_config_static_selectorELNS0_4arch9wavefront6targetE0EEEvT1_,comdat
	.protected	_ZN7rocprim17ROCPRIM_400000_NS6detail17trampoline_kernelINS0_14default_configENS1_25partition_config_selectorILNS1_17partition_subalgoE6EiNS0_10empty_typeEbEEZZNS1_14partition_implILS5_6ELb0ES3_mN6thrust23THRUST_200600_302600_NS6detail15normal_iteratorINSA_10device_ptrIiEEEEPS6_SG_NS0_5tupleIJSF_S6_EEENSH_IJSG_SG_EEES6_PlJNSB_9not_fun_tINSB_10functional5actorINSM_9compositeIJNSM_27transparent_binary_operatorINSA_8equal_toIvEEEENSN_INSM_8argumentILj0EEEEENSM_5valueIiEEEEEEEEEEEE10hipError_tPvRmT3_T4_T5_T6_T7_T9_mT8_P12ihipStream_tbDpT10_ENKUlT_T0_E_clISt17integral_constantIbLb0EES1K_EEDaS1F_S1G_EUlS1F_E_NS1_11comp_targetILNS1_3genE0ELNS1_11target_archE4294967295ELNS1_3gpuE0ELNS1_3repE0EEENS1_30default_config_static_selectorELNS0_4arch9wavefront6targetE0EEEvT1_ ; -- Begin function _ZN7rocprim17ROCPRIM_400000_NS6detail17trampoline_kernelINS0_14default_configENS1_25partition_config_selectorILNS1_17partition_subalgoE6EiNS0_10empty_typeEbEEZZNS1_14partition_implILS5_6ELb0ES3_mN6thrust23THRUST_200600_302600_NS6detail15normal_iteratorINSA_10device_ptrIiEEEEPS6_SG_NS0_5tupleIJSF_S6_EEENSH_IJSG_SG_EEES6_PlJNSB_9not_fun_tINSB_10functional5actorINSM_9compositeIJNSM_27transparent_binary_operatorINSA_8equal_toIvEEEENSN_INSM_8argumentILj0EEEEENSM_5valueIiEEEEEEEEEEEE10hipError_tPvRmT3_T4_T5_T6_T7_T9_mT8_P12ihipStream_tbDpT10_ENKUlT_T0_E_clISt17integral_constantIbLb0EES1K_EEDaS1F_S1G_EUlS1F_E_NS1_11comp_targetILNS1_3genE0ELNS1_11target_archE4294967295ELNS1_3gpuE0ELNS1_3repE0EEENS1_30default_config_static_selectorELNS0_4arch9wavefront6targetE0EEEvT1_
	.globl	_ZN7rocprim17ROCPRIM_400000_NS6detail17trampoline_kernelINS0_14default_configENS1_25partition_config_selectorILNS1_17partition_subalgoE6EiNS0_10empty_typeEbEEZZNS1_14partition_implILS5_6ELb0ES3_mN6thrust23THRUST_200600_302600_NS6detail15normal_iteratorINSA_10device_ptrIiEEEEPS6_SG_NS0_5tupleIJSF_S6_EEENSH_IJSG_SG_EEES6_PlJNSB_9not_fun_tINSB_10functional5actorINSM_9compositeIJNSM_27transparent_binary_operatorINSA_8equal_toIvEEEENSN_INSM_8argumentILj0EEEEENSM_5valueIiEEEEEEEEEEEE10hipError_tPvRmT3_T4_T5_T6_T7_T9_mT8_P12ihipStream_tbDpT10_ENKUlT_T0_E_clISt17integral_constantIbLb0EES1K_EEDaS1F_S1G_EUlS1F_E_NS1_11comp_targetILNS1_3genE0ELNS1_11target_archE4294967295ELNS1_3gpuE0ELNS1_3repE0EEENS1_30default_config_static_selectorELNS0_4arch9wavefront6targetE0EEEvT1_
	.p2align	8
	.type	_ZN7rocprim17ROCPRIM_400000_NS6detail17trampoline_kernelINS0_14default_configENS1_25partition_config_selectorILNS1_17partition_subalgoE6EiNS0_10empty_typeEbEEZZNS1_14partition_implILS5_6ELb0ES3_mN6thrust23THRUST_200600_302600_NS6detail15normal_iteratorINSA_10device_ptrIiEEEEPS6_SG_NS0_5tupleIJSF_S6_EEENSH_IJSG_SG_EEES6_PlJNSB_9not_fun_tINSB_10functional5actorINSM_9compositeIJNSM_27transparent_binary_operatorINSA_8equal_toIvEEEENSN_INSM_8argumentILj0EEEEENSM_5valueIiEEEEEEEEEEEE10hipError_tPvRmT3_T4_T5_T6_T7_T9_mT8_P12ihipStream_tbDpT10_ENKUlT_T0_E_clISt17integral_constantIbLb0EES1K_EEDaS1F_S1G_EUlS1F_E_NS1_11comp_targetILNS1_3genE0ELNS1_11target_archE4294967295ELNS1_3gpuE0ELNS1_3repE0EEENS1_30default_config_static_selectorELNS0_4arch9wavefront6targetE0EEEvT1_,@function
_ZN7rocprim17ROCPRIM_400000_NS6detail17trampoline_kernelINS0_14default_configENS1_25partition_config_selectorILNS1_17partition_subalgoE6EiNS0_10empty_typeEbEEZZNS1_14partition_implILS5_6ELb0ES3_mN6thrust23THRUST_200600_302600_NS6detail15normal_iteratorINSA_10device_ptrIiEEEEPS6_SG_NS0_5tupleIJSF_S6_EEENSH_IJSG_SG_EEES6_PlJNSB_9not_fun_tINSB_10functional5actorINSM_9compositeIJNSM_27transparent_binary_operatorINSA_8equal_toIvEEEENSN_INSM_8argumentILj0EEEEENSM_5valueIiEEEEEEEEEEEE10hipError_tPvRmT3_T4_T5_T6_T7_T9_mT8_P12ihipStream_tbDpT10_ENKUlT_T0_E_clISt17integral_constantIbLb0EES1K_EEDaS1F_S1G_EUlS1F_E_NS1_11comp_targetILNS1_3genE0ELNS1_11target_archE4294967295ELNS1_3gpuE0ELNS1_3repE0EEENS1_30default_config_static_selectorELNS0_4arch9wavefront6targetE0EEEvT1_: ; @_ZN7rocprim17ROCPRIM_400000_NS6detail17trampoline_kernelINS0_14default_configENS1_25partition_config_selectorILNS1_17partition_subalgoE6EiNS0_10empty_typeEbEEZZNS1_14partition_implILS5_6ELb0ES3_mN6thrust23THRUST_200600_302600_NS6detail15normal_iteratorINSA_10device_ptrIiEEEEPS6_SG_NS0_5tupleIJSF_S6_EEENSH_IJSG_SG_EEES6_PlJNSB_9not_fun_tINSB_10functional5actorINSM_9compositeIJNSM_27transparent_binary_operatorINSA_8equal_toIvEEEENSN_INSM_8argumentILj0EEEEENSM_5valueIiEEEEEEEEEEEE10hipError_tPvRmT3_T4_T5_T6_T7_T9_mT8_P12ihipStream_tbDpT10_ENKUlT_T0_E_clISt17integral_constantIbLb0EES1K_EEDaS1F_S1G_EUlS1F_E_NS1_11comp_targetILNS1_3genE0ELNS1_11target_archE4294967295ELNS1_3gpuE0ELNS1_3repE0EEENS1_30default_config_static_selectorELNS0_4arch9wavefront6targetE0EEEvT1_
; %bb.0:
	.section	.rodata,"a",@progbits
	.p2align	6, 0x0
	.amdhsa_kernel _ZN7rocprim17ROCPRIM_400000_NS6detail17trampoline_kernelINS0_14default_configENS1_25partition_config_selectorILNS1_17partition_subalgoE6EiNS0_10empty_typeEbEEZZNS1_14partition_implILS5_6ELb0ES3_mN6thrust23THRUST_200600_302600_NS6detail15normal_iteratorINSA_10device_ptrIiEEEEPS6_SG_NS0_5tupleIJSF_S6_EEENSH_IJSG_SG_EEES6_PlJNSB_9not_fun_tINSB_10functional5actorINSM_9compositeIJNSM_27transparent_binary_operatorINSA_8equal_toIvEEEENSN_INSM_8argumentILj0EEEEENSM_5valueIiEEEEEEEEEEEE10hipError_tPvRmT3_T4_T5_T6_T7_T9_mT8_P12ihipStream_tbDpT10_ENKUlT_T0_E_clISt17integral_constantIbLb0EES1K_EEDaS1F_S1G_EUlS1F_E_NS1_11comp_targetILNS1_3genE0ELNS1_11target_archE4294967295ELNS1_3gpuE0ELNS1_3repE0EEENS1_30default_config_static_selectorELNS0_4arch9wavefront6targetE0EEEvT1_
		.amdhsa_group_segment_fixed_size 0
		.amdhsa_private_segment_fixed_size 0
		.amdhsa_kernarg_size 120
		.amdhsa_user_sgpr_count 2
		.amdhsa_user_sgpr_dispatch_ptr 0
		.amdhsa_user_sgpr_queue_ptr 0
		.amdhsa_user_sgpr_kernarg_segment_ptr 1
		.amdhsa_user_sgpr_dispatch_id 0
		.amdhsa_user_sgpr_private_segment_size 0
		.amdhsa_wavefront_size32 1
		.amdhsa_uses_dynamic_stack 0
		.amdhsa_enable_private_segment 0
		.amdhsa_system_sgpr_workgroup_id_x 1
		.amdhsa_system_sgpr_workgroup_id_y 0
		.amdhsa_system_sgpr_workgroup_id_z 0
		.amdhsa_system_sgpr_workgroup_info 0
		.amdhsa_system_vgpr_workitem_id 0
		.amdhsa_next_free_vgpr 1
		.amdhsa_next_free_sgpr 1
		.amdhsa_reserve_vcc 0
		.amdhsa_float_round_mode_32 0
		.amdhsa_float_round_mode_16_64 0
		.amdhsa_float_denorm_mode_32 3
		.amdhsa_float_denorm_mode_16_64 3
		.amdhsa_fp16_overflow 0
		.amdhsa_workgroup_processor_mode 1
		.amdhsa_memory_ordered 1
		.amdhsa_forward_progress 1
		.amdhsa_inst_pref_size 0
		.amdhsa_round_robin_scheduling 0
		.amdhsa_exception_fp_ieee_invalid_op 0
		.amdhsa_exception_fp_denorm_src 0
		.amdhsa_exception_fp_ieee_div_zero 0
		.amdhsa_exception_fp_ieee_overflow 0
		.amdhsa_exception_fp_ieee_underflow 0
		.amdhsa_exception_fp_ieee_inexact 0
		.amdhsa_exception_int_div_zero 0
	.end_amdhsa_kernel
	.section	.text._ZN7rocprim17ROCPRIM_400000_NS6detail17trampoline_kernelINS0_14default_configENS1_25partition_config_selectorILNS1_17partition_subalgoE6EiNS0_10empty_typeEbEEZZNS1_14partition_implILS5_6ELb0ES3_mN6thrust23THRUST_200600_302600_NS6detail15normal_iteratorINSA_10device_ptrIiEEEEPS6_SG_NS0_5tupleIJSF_S6_EEENSH_IJSG_SG_EEES6_PlJNSB_9not_fun_tINSB_10functional5actorINSM_9compositeIJNSM_27transparent_binary_operatorINSA_8equal_toIvEEEENSN_INSM_8argumentILj0EEEEENSM_5valueIiEEEEEEEEEEEE10hipError_tPvRmT3_T4_T5_T6_T7_T9_mT8_P12ihipStream_tbDpT10_ENKUlT_T0_E_clISt17integral_constantIbLb0EES1K_EEDaS1F_S1G_EUlS1F_E_NS1_11comp_targetILNS1_3genE0ELNS1_11target_archE4294967295ELNS1_3gpuE0ELNS1_3repE0EEENS1_30default_config_static_selectorELNS0_4arch9wavefront6targetE0EEEvT1_,"axG",@progbits,_ZN7rocprim17ROCPRIM_400000_NS6detail17trampoline_kernelINS0_14default_configENS1_25partition_config_selectorILNS1_17partition_subalgoE6EiNS0_10empty_typeEbEEZZNS1_14partition_implILS5_6ELb0ES3_mN6thrust23THRUST_200600_302600_NS6detail15normal_iteratorINSA_10device_ptrIiEEEEPS6_SG_NS0_5tupleIJSF_S6_EEENSH_IJSG_SG_EEES6_PlJNSB_9not_fun_tINSB_10functional5actorINSM_9compositeIJNSM_27transparent_binary_operatorINSA_8equal_toIvEEEENSN_INSM_8argumentILj0EEEEENSM_5valueIiEEEEEEEEEEEE10hipError_tPvRmT3_T4_T5_T6_T7_T9_mT8_P12ihipStream_tbDpT10_ENKUlT_T0_E_clISt17integral_constantIbLb0EES1K_EEDaS1F_S1G_EUlS1F_E_NS1_11comp_targetILNS1_3genE0ELNS1_11target_archE4294967295ELNS1_3gpuE0ELNS1_3repE0EEENS1_30default_config_static_selectorELNS0_4arch9wavefront6targetE0EEEvT1_,comdat
.Lfunc_end211:
	.size	_ZN7rocprim17ROCPRIM_400000_NS6detail17trampoline_kernelINS0_14default_configENS1_25partition_config_selectorILNS1_17partition_subalgoE6EiNS0_10empty_typeEbEEZZNS1_14partition_implILS5_6ELb0ES3_mN6thrust23THRUST_200600_302600_NS6detail15normal_iteratorINSA_10device_ptrIiEEEEPS6_SG_NS0_5tupleIJSF_S6_EEENSH_IJSG_SG_EEES6_PlJNSB_9not_fun_tINSB_10functional5actorINSM_9compositeIJNSM_27transparent_binary_operatorINSA_8equal_toIvEEEENSN_INSM_8argumentILj0EEEEENSM_5valueIiEEEEEEEEEEEE10hipError_tPvRmT3_T4_T5_T6_T7_T9_mT8_P12ihipStream_tbDpT10_ENKUlT_T0_E_clISt17integral_constantIbLb0EES1K_EEDaS1F_S1G_EUlS1F_E_NS1_11comp_targetILNS1_3genE0ELNS1_11target_archE4294967295ELNS1_3gpuE0ELNS1_3repE0EEENS1_30default_config_static_selectorELNS0_4arch9wavefront6targetE0EEEvT1_, .Lfunc_end211-_ZN7rocprim17ROCPRIM_400000_NS6detail17trampoline_kernelINS0_14default_configENS1_25partition_config_selectorILNS1_17partition_subalgoE6EiNS0_10empty_typeEbEEZZNS1_14partition_implILS5_6ELb0ES3_mN6thrust23THRUST_200600_302600_NS6detail15normal_iteratorINSA_10device_ptrIiEEEEPS6_SG_NS0_5tupleIJSF_S6_EEENSH_IJSG_SG_EEES6_PlJNSB_9not_fun_tINSB_10functional5actorINSM_9compositeIJNSM_27transparent_binary_operatorINSA_8equal_toIvEEEENSN_INSM_8argumentILj0EEEEENSM_5valueIiEEEEEEEEEEEE10hipError_tPvRmT3_T4_T5_T6_T7_T9_mT8_P12ihipStream_tbDpT10_ENKUlT_T0_E_clISt17integral_constantIbLb0EES1K_EEDaS1F_S1G_EUlS1F_E_NS1_11comp_targetILNS1_3genE0ELNS1_11target_archE4294967295ELNS1_3gpuE0ELNS1_3repE0EEENS1_30default_config_static_selectorELNS0_4arch9wavefront6targetE0EEEvT1_
                                        ; -- End function
	.set _ZN7rocprim17ROCPRIM_400000_NS6detail17trampoline_kernelINS0_14default_configENS1_25partition_config_selectorILNS1_17partition_subalgoE6EiNS0_10empty_typeEbEEZZNS1_14partition_implILS5_6ELb0ES3_mN6thrust23THRUST_200600_302600_NS6detail15normal_iteratorINSA_10device_ptrIiEEEEPS6_SG_NS0_5tupleIJSF_S6_EEENSH_IJSG_SG_EEES6_PlJNSB_9not_fun_tINSB_10functional5actorINSM_9compositeIJNSM_27transparent_binary_operatorINSA_8equal_toIvEEEENSN_INSM_8argumentILj0EEEEENSM_5valueIiEEEEEEEEEEEE10hipError_tPvRmT3_T4_T5_T6_T7_T9_mT8_P12ihipStream_tbDpT10_ENKUlT_T0_E_clISt17integral_constantIbLb0EES1K_EEDaS1F_S1G_EUlS1F_E_NS1_11comp_targetILNS1_3genE0ELNS1_11target_archE4294967295ELNS1_3gpuE0ELNS1_3repE0EEENS1_30default_config_static_selectorELNS0_4arch9wavefront6targetE0EEEvT1_.num_vgpr, 0
	.set _ZN7rocprim17ROCPRIM_400000_NS6detail17trampoline_kernelINS0_14default_configENS1_25partition_config_selectorILNS1_17partition_subalgoE6EiNS0_10empty_typeEbEEZZNS1_14partition_implILS5_6ELb0ES3_mN6thrust23THRUST_200600_302600_NS6detail15normal_iteratorINSA_10device_ptrIiEEEEPS6_SG_NS0_5tupleIJSF_S6_EEENSH_IJSG_SG_EEES6_PlJNSB_9not_fun_tINSB_10functional5actorINSM_9compositeIJNSM_27transparent_binary_operatorINSA_8equal_toIvEEEENSN_INSM_8argumentILj0EEEEENSM_5valueIiEEEEEEEEEEEE10hipError_tPvRmT3_T4_T5_T6_T7_T9_mT8_P12ihipStream_tbDpT10_ENKUlT_T0_E_clISt17integral_constantIbLb0EES1K_EEDaS1F_S1G_EUlS1F_E_NS1_11comp_targetILNS1_3genE0ELNS1_11target_archE4294967295ELNS1_3gpuE0ELNS1_3repE0EEENS1_30default_config_static_selectorELNS0_4arch9wavefront6targetE0EEEvT1_.num_agpr, 0
	.set _ZN7rocprim17ROCPRIM_400000_NS6detail17trampoline_kernelINS0_14default_configENS1_25partition_config_selectorILNS1_17partition_subalgoE6EiNS0_10empty_typeEbEEZZNS1_14partition_implILS5_6ELb0ES3_mN6thrust23THRUST_200600_302600_NS6detail15normal_iteratorINSA_10device_ptrIiEEEEPS6_SG_NS0_5tupleIJSF_S6_EEENSH_IJSG_SG_EEES6_PlJNSB_9not_fun_tINSB_10functional5actorINSM_9compositeIJNSM_27transparent_binary_operatorINSA_8equal_toIvEEEENSN_INSM_8argumentILj0EEEEENSM_5valueIiEEEEEEEEEEEE10hipError_tPvRmT3_T4_T5_T6_T7_T9_mT8_P12ihipStream_tbDpT10_ENKUlT_T0_E_clISt17integral_constantIbLb0EES1K_EEDaS1F_S1G_EUlS1F_E_NS1_11comp_targetILNS1_3genE0ELNS1_11target_archE4294967295ELNS1_3gpuE0ELNS1_3repE0EEENS1_30default_config_static_selectorELNS0_4arch9wavefront6targetE0EEEvT1_.numbered_sgpr, 0
	.set _ZN7rocprim17ROCPRIM_400000_NS6detail17trampoline_kernelINS0_14default_configENS1_25partition_config_selectorILNS1_17partition_subalgoE6EiNS0_10empty_typeEbEEZZNS1_14partition_implILS5_6ELb0ES3_mN6thrust23THRUST_200600_302600_NS6detail15normal_iteratorINSA_10device_ptrIiEEEEPS6_SG_NS0_5tupleIJSF_S6_EEENSH_IJSG_SG_EEES6_PlJNSB_9not_fun_tINSB_10functional5actorINSM_9compositeIJNSM_27transparent_binary_operatorINSA_8equal_toIvEEEENSN_INSM_8argumentILj0EEEEENSM_5valueIiEEEEEEEEEEEE10hipError_tPvRmT3_T4_T5_T6_T7_T9_mT8_P12ihipStream_tbDpT10_ENKUlT_T0_E_clISt17integral_constantIbLb0EES1K_EEDaS1F_S1G_EUlS1F_E_NS1_11comp_targetILNS1_3genE0ELNS1_11target_archE4294967295ELNS1_3gpuE0ELNS1_3repE0EEENS1_30default_config_static_selectorELNS0_4arch9wavefront6targetE0EEEvT1_.num_named_barrier, 0
	.set _ZN7rocprim17ROCPRIM_400000_NS6detail17trampoline_kernelINS0_14default_configENS1_25partition_config_selectorILNS1_17partition_subalgoE6EiNS0_10empty_typeEbEEZZNS1_14partition_implILS5_6ELb0ES3_mN6thrust23THRUST_200600_302600_NS6detail15normal_iteratorINSA_10device_ptrIiEEEEPS6_SG_NS0_5tupleIJSF_S6_EEENSH_IJSG_SG_EEES6_PlJNSB_9not_fun_tINSB_10functional5actorINSM_9compositeIJNSM_27transparent_binary_operatorINSA_8equal_toIvEEEENSN_INSM_8argumentILj0EEEEENSM_5valueIiEEEEEEEEEEEE10hipError_tPvRmT3_T4_T5_T6_T7_T9_mT8_P12ihipStream_tbDpT10_ENKUlT_T0_E_clISt17integral_constantIbLb0EES1K_EEDaS1F_S1G_EUlS1F_E_NS1_11comp_targetILNS1_3genE0ELNS1_11target_archE4294967295ELNS1_3gpuE0ELNS1_3repE0EEENS1_30default_config_static_selectorELNS0_4arch9wavefront6targetE0EEEvT1_.private_seg_size, 0
	.set _ZN7rocprim17ROCPRIM_400000_NS6detail17trampoline_kernelINS0_14default_configENS1_25partition_config_selectorILNS1_17partition_subalgoE6EiNS0_10empty_typeEbEEZZNS1_14partition_implILS5_6ELb0ES3_mN6thrust23THRUST_200600_302600_NS6detail15normal_iteratorINSA_10device_ptrIiEEEEPS6_SG_NS0_5tupleIJSF_S6_EEENSH_IJSG_SG_EEES6_PlJNSB_9not_fun_tINSB_10functional5actorINSM_9compositeIJNSM_27transparent_binary_operatorINSA_8equal_toIvEEEENSN_INSM_8argumentILj0EEEEENSM_5valueIiEEEEEEEEEEEE10hipError_tPvRmT3_T4_T5_T6_T7_T9_mT8_P12ihipStream_tbDpT10_ENKUlT_T0_E_clISt17integral_constantIbLb0EES1K_EEDaS1F_S1G_EUlS1F_E_NS1_11comp_targetILNS1_3genE0ELNS1_11target_archE4294967295ELNS1_3gpuE0ELNS1_3repE0EEENS1_30default_config_static_selectorELNS0_4arch9wavefront6targetE0EEEvT1_.uses_vcc, 0
	.set _ZN7rocprim17ROCPRIM_400000_NS6detail17trampoline_kernelINS0_14default_configENS1_25partition_config_selectorILNS1_17partition_subalgoE6EiNS0_10empty_typeEbEEZZNS1_14partition_implILS5_6ELb0ES3_mN6thrust23THRUST_200600_302600_NS6detail15normal_iteratorINSA_10device_ptrIiEEEEPS6_SG_NS0_5tupleIJSF_S6_EEENSH_IJSG_SG_EEES6_PlJNSB_9not_fun_tINSB_10functional5actorINSM_9compositeIJNSM_27transparent_binary_operatorINSA_8equal_toIvEEEENSN_INSM_8argumentILj0EEEEENSM_5valueIiEEEEEEEEEEEE10hipError_tPvRmT3_T4_T5_T6_T7_T9_mT8_P12ihipStream_tbDpT10_ENKUlT_T0_E_clISt17integral_constantIbLb0EES1K_EEDaS1F_S1G_EUlS1F_E_NS1_11comp_targetILNS1_3genE0ELNS1_11target_archE4294967295ELNS1_3gpuE0ELNS1_3repE0EEENS1_30default_config_static_selectorELNS0_4arch9wavefront6targetE0EEEvT1_.uses_flat_scratch, 0
	.set _ZN7rocprim17ROCPRIM_400000_NS6detail17trampoline_kernelINS0_14default_configENS1_25partition_config_selectorILNS1_17partition_subalgoE6EiNS0_10empty_typeEbEEZZNS1_14partition_implILS5_6ELb0ES3_mN6thrust23THRUST_200600_302600_NS6detail15normal_iteratorINSA_10device_ptrIiEEEEPS6_SG_NS0_5tupleIJSF_S6_EEENSH_IJSG_SG_EEES6_PlJNSB_9not_fun_tINSB_10functional5actorINSM_9compositeIJNSM_27transparent_binary_operatorINSA_8equal_toIvEEEENSN_INSM_8argumentILj0EEEEENSM_5valueIiEEEEEEEEEEEE10hipError_tPvRmT3_T4_T5_T6_T7_T9_mT8_P12ihipStream_tbDpT10_ENKUlT_T0_E_clISt17integral_constantIbLb0EES1K_EEDaS1F_S1G_EUlS1F_E_NS1_11comp_targetILNS1_3genE0ELNS1_11target_archE4294967295ELNS1_3gpuE0ELNS1_3repE0EEENS1_30default_config_static_selectorELNS0_4arch9wavefront6targetE0EEEvT1_.has_dyn_sized_stack, 0
	.set _ZN7rocprim17ROCPRIM_400000_NS6detail17trampoline_kernelINS0_14default_configENS1_25partition_config_selectorILNS1_17partition_subalgoE6EiNS0_10empty_typeEbEEZZNS1_14partition_implILS5_6ELb0ES3_mN6thrust23THRUST_200600_302600_NS6detail15normal_iteratorINSA_10device_ptrIiEEEEPS6_SG_NS0_5tupleIJSF_S6_EEENSH_IJSG_SG_EEES6_PlJNSB_9not_fun_tINSB_10functional5actorINSM_9compositeIJNSM_27transparent_binary_operatorINSA_8equal_toIvEEEENSN_INSM_8argumentILj0EEEEENSM_5valueIiEEEEEEEEEEEE10hipError_tPvRmT3_T4_T5_T6_T7_T9_mT8_P12ihipStream_tbDpT10_ENKUlT_T0_E_clISt17integral_constantIbLb0EES1K_EEDaS1F_S1G_EUlS1F_E_NS1_11comp_targetILNS1_3genE0ELNS1_11target_archE4294967295ELNS1_3gpuE0ELNS1_3repE0EEENS1_30default_config_static_selectorELNS0_4arch9wavefront6targetE0EEEvT1_.has_recursion, 0
	.set _ZN7rocprim17ROCPRIM_400000_NS6detail17trampoline_kernelINS0_14default_configENS1_25partition_config_selectorILNS1_17partition_subalgoE6EiNS0_10empty_typeEbEEZZNS1_14partition_implILS5_6ELb0ES3_mN6thrust23THRUST_200600_302600_NS6detail15normal_iteratorINSA_10device_ptrIiEEEEPS6_SG_NS0_5tupleIJSF_S6_EEENSH_IJSG_SG_EEES6_PlJNSB_9not_fun_tINSB_10functional5actorINSM_9compositeIJNSM_27transparent_binary_operatorINSA_8equal_toIvEEEENSN_INSM_8argumentILj0EEEEENSM_5valueIiEEEEEEEEEEEE10hipError_tPvRmT3_T4_T5_T6_T7_T9_mT8_P12ihipStream_tbDpT10_ENKUlT_T0_E_clISt17integral_constantIbLb0EES1K_EEDaS1F_S1G_EUlS1F_E_NS1_11comp_targetILNS1_3genE0ELNS1_11target_archE4294967295ELNS1_3gpuE0ELNS1_3repE0EEENS1_30default_config_static_selectorELNS0_4arch9wavefront6targetE0EEEvT1_.has_indirect_call, 0
	.section	.AMDGPU.csdata,"",@progbits
; Kernel info:
; codeLenInByte = 0
; TotalNumSgprs: 0
; NumVgprs: 0
; ScratchSize: 0
; MemoryBound: 0
; FloatMode: 240
; IeeeMode: 1
; LDSByteSize: 0 bytes/workgroup (compile time only)
; SGPRBlocks: 0
; VGPRBlocks: 0
; NumSGPRsForWavesPerEU: 1
; NumVGPRsForWavesPerEU: 1
; Occupancy: 16
; WaveLimiterHint : 0
; COMPUTE_PGM_RSRC2:SCRATCH_EN: 0
; COMPUTE_PGM_RSRC2:USER_SGPR: 2
; COMPUTE_PGM_RSRC2:TRAP_HANDLER: 0
; COMPUTE_PGM_RSRC2:TGID_X_EN: 1
; COMPUTE_PGM_RSRC2:TGID_Y_EN: 0
; COMPUTE_PGM_RSRC2:TGID_Z_EN: 0
; COMPUTE_PGM_RSRC2:TIDIG_COMP_CNT: 0
	.section	.text._ZN7rocprim17ROCPRIM_400000_NS6detail17trampoline_kernelINS0_14default_configENS1_25partition_config_selectorILNS1_17partition_subalgoE6EiNS0_10empty_typeEbEEZZNS1_14partition_implILS5_6ELb0ES3_mN6thrust23THRUST_200600_302600_NS6detail15normal_iteratorINSA_10device_ptrIiEEEEPS6_SG_NS0_5tupleIJSF_S6_EEENSH_IJSG_SG_EEES6_PlJNSB_9not_fun_tINSB_10functional5actorINSM_9compositeIJNSM_27transparent_binary_operatorINSA_8equal_toIvEEEENSN_INSM_8argumentILj0EEEEENSM_5valueIiEEEEEEEEEEEE10hipError_tPvRmT3_T4_T5_T6_T7_T9_mT8_P12ihipStream_tbDpT10_ENKUlT_T0_E_clISt17integral_constantIbLb0EES1K_EEDaS1F_S1G_EUlS1F_E_NS1_11comp_targetILNS1_3genE5ELNS1_11target_archE942ELNS1_3gpuE9ELNS1_3repE0EEENS1_30default_config_static_selectorELNS0_4arch9wavefront6targetE0EEEvT1_,"axG",@progbits,_ZN7rocprim17ROCPRIM_400000_NS6detail17trampoline_kernelINS0_14default_configENS1_25partition_config_selectorILNS1_17partition_subalgoE6EiNS0_10empty_typeEbEEZZNS1_14partition_implILS5_6ELb0ES3_mN6thrust23THRUST_200600_302600_NS6detail15normal_iteratorINSA_10device_ptrIiEEEEPS6_SG_NS0_5tupleIJSF_S6_EEENSH_IJSG_SG_EEES6_PlJNSB_9not_fun_tINSB_10functional5actorINSM_9compositeIJNSM_27transparent_binary_operatorINSA_8equal_toIvEEEENSN_INSM_8argumentILj0EEEEENSM_5valueIiEEEEEEEEEEEE10hipError_tPvRmT3_T4_T5_T6_T7_T9_mT8_P12ihipStream_tbDpT10_ENKUlT_T0_E_clISt17integral_constantIbLb0EES1K_EEDaS1F_S1G_EUlS1F_E_NS1_11comp_targetILNS1_3genE5ELNS1_11target_archE942ELNS1_3gpuE9ELNS1_3repE0EEENS1_30default_config_static_selectorELNS0_4arch9wavefront6targetE0EEEvT1_,comdat
	.protected	_ZN7rocprim17ROCPRIM_400000_NS6detail17trampoline_kernelINS0_14default_configENS1_25partition_config_selectorILNS1_17partition_subalgoE6EiNS0_10empty_typeEbEEZZNS1_14partition_implILS5_6ELb0ES3_mN6thrust23THRUST_200600_302600_NS6detail15normal_iteratorINSA_10device_ptrIiEEEEPS6_SG_NS0_5tupleIJSF_S6_EEENSH_IJSG_SG_EEES6_PlJNSB_9not_fun_tINSB_10functional5actorINSM_9compositeIJNSM_27transparent_binary_operatorINSA_8equal_toIvEEEENSN_INSM_8argumentILj0EEEEENSM_5valueIiEEEEEEEEEEEE10hipError_tPvRmT3_T4_T5_T6_T7_T9_mT8_P12ihipStream_tbDpT10_ENKUlT_T0_E_clISt17integral_constantIbLb0EES1K_EEDaS1F_S1G_EUlS1F_E_NS1_11comp_targetILNS1_3genE5ELNS1_11target_archE942ELNS1_3gpuE9ELNS1_3repE0EEENS1_30default_config_static_selectorELNS0_4arch9wavefront6targetE0EEEvT1_ ; -- Begin function _ZN7rocprim17ROCPRIM_400000_NS6detail17trampoline_kernelINS0_14default_configENS1_25partition_config_selectorILNS1_17partition_subalgoE6EiNS0_10empty_typeEbEEZZNS1_14partition_implILS5_6ELb0ES3_mN6thrust23THRUST_200600_302600_NS6detail15normal_iteratorINSA_10device_ptrIiEEEEPS6_SG_NS0_5tupleIJSF_S6_EEENSH_IJSG_SG_EEES6_PlJNSB_9not_fun_tINSB_10functional5actorINSM_9compositeIJNSM_27transparent_binary_operatorINSA_8equal_toIvEEEENSN_INSM_8argumentILj0EEEEENSM_5valueIiEEEEEEEEEEEE10hipError_tPvRmT3_T4_T5_T6_T7_T9_mT8_P12ihipStream_tbDpT10_ENKUlT_T0_E_clISt17integral_constantIbLb0EES1K_EEDaS1F_S1G_EUlS1F_E_NS1_11comp_targetILNS1_3genE5ELNS1_11target_archE942ELNS1_3gpuE9ELNS1_3repE0EEENS1_30default_config_static_selectorELNS0_4arch9wavefront6targetE0EEEvT1_
	.globl	_ZN7rocprim17ROCPRIM_400000_NS6detail17trampoline_kernelINS0_14default_configENS1_25partition_config_selectorILNS1_17partition_subalgoE6EiNS0_10empty_typeEbEEZZNS1_14partition_implILS5_6ELb0ES3_mN6thrust23THRUST_200600_302600_NS6detail15normal_iteratorINSA_10device_ptrIiEEEEPS6_SG_NS0_5tupleIJSF_S6_EEENSH_IJSG_SG_EEES6_PlJNSB_9not_fun_tINSB_10functional5actorINSM_9compositeIJNSM_27transparent_binary_operatorINSA_8equal_toIvEEEENSN_INSM_8argumentILj0EEEEENSM_5valueIiEEEEEEEEEEEE10hipError_tPvRmT3_T4_T5_T6_T7_T9_mT8_P12ihipStream_tbDpT10_ENKUlT_T0_E_clISt17integral_constantIbLb0EES1K_EEDaS1F_S1G_EUlS1F_E_NS1_11comp_targetILNS1_3genE5ELNS1_11target_archE942ELNS1_3gpuE9ELNS1_3repE0EEENS1_30default_config_static_selectorELNS0_4arch9wavefront6targetE0EEEvT1_
	.p2align	8
	.type	_ZN7rocprim17ROCPRIM_400000_NS6detail17trampoline_kernelINS0_14default_configENS1_25partition_config_selectorILNS1_17partition_subalgoE6EiNS0_10empty_typeEbEEZZNS1_14partition_implILS5_6ELb0ES3_mN6thrust23THRUST_200600_302600_NS6detail15normal_iteratorINSA_10device_ptrIiEEEEPS6_SG_NS0_5tupleIJSF_S6_EEENSH_IJSG_SG_EEES6_PlJNSB_9not_fun_tINSB_10functional5actorINSM_9compositeIJNSM_27transparent_binary_operatorINSA_8equal_toIvEEEENSN_INSM_8argumentILj0EEEEENSM_5valueIiEEEEEEEEEEEE10hipError_tPvRmT3_T4_T5_T6_T7_T9_mT8_P12ihipStream_tbDpT10_ENKUlT_T0_E_clISt17integral_constantIbLb0EES1K_EEDaS1F_S1G_EUlS1F_E_NS1_11comp_targetILNS1_3genE5ELNS1_11target_archE942ELNS1_3gpuE9ELNS1_3repE0EEENS1_30default_config_static_selectorELNS0_4arch9wavefront6targetE0EEEvT1_,@function
_ZN7rocprim17ROCPRIM_400000_NS6detail17trampoline_kernelINS0_14default_configENS1_25partition_config_selectorILNS1_17partition_subalgoE6EiNS0_10empty_typeEbEEZZNS1_14partition_implILS5_6ELb0ES3_mN6thrust23THRUST_200600_302600_NS6detail15normal_iteratorINSA_10device_ptrIiEEEEPS6_SG_NS0_5tupleIJSF_S6_EEENSH_IJSG_SG_EEES6_PlJNSB_9not_fun_tINSB_10functional5actorINSM_9compositeIJNSM_27transparent_binary_operatorINSA_8equal_toIvEEEENSN_INSM_8argumentILj0EEEEENSM_5valueIiEEEEEEEEEEEE10hipError_tPvRmT3_T4_T5_T6_T7_T9_mT8_P12ihipStream_tbDpT10_ENKUlT_T0_E_clISt17integral_constantIbLb0EES1K_EEDaS1F_S1G_EUlS1F_E_NS1_11comp_targetILNS1_3genE5ELNS1_11target_archE942ELNS1_3gpuE9ELNS1_3repE0EEENS1_30default_config_static_selectorELNS0_4arch9wavefront6targetE0EEEvT1_: ; @_ZN7rocprim17ROCPRIM_400000_NS6detail17trampoline_kernelINS0_14default_configENS1_25partition_config_selectorILNS1_17partition_subalgoE6EiNS0_10empty_typeEbEEZZNS1_14partition_implILS5_6ELb0ES3_mN6thrust23THRUST_200600_302600_NS6detail15normal_iteratorINSA_10device_ptrIiEEEEPS6_SG_NS0_5tupleIJSF_S6_EEENSH_IJSG_SG_EEES6_PlJNSB_9not_fun_tINSB_10functional5actorINSM_9compositeIJNSM_27transparent_binary_operatorINSA_8equal_toIvEEEENSN_INSM_8argumentILj0EEEEENSM_5valueIiEEEEEEEEEEEE10hipError_tPvRmT3_T4_T5_T6_T7_T9_mT8_P12ihipStream_tbDpT10_ENKUlT_T0_E_clISt17integral_constantIbLb0EES1K_EEDaS1F_S1G_EUlS1F_E_NS1_11comp_targetILNS1_3genE5ELNS1_11target_archE942ELNS1_3gpuE9ELNS1_3repE0EEENS1_30default_config_static_selectorELNS0_4arch9wavefront6targetE0EEEvT1_
; %bb.0:
	.section	.rodata,"a",@progbits
	.p2align	6, 0x0
	.amdhsa_kernel _ZN7rocprim17ROCPRIM_400000_NS6detail17trampoline_kernelINS0_14default_configENS1_25partition_config_selectorILNS1_17partition_subalgoE6EiNS0_10empty_typeEbEEZZNS1_14partition_implILS5_6ELb0ES3_mN6thrust23THRUST_200600_302600_NS6detail15normal_iteratorINSA_10device_ptrIiEEEEPS6_SG_NS0_5tupleIJSF_S6_EEENSH_IJSG_SG_EEES6_PlJNSB_9not_fun_tINSB_10functional5actorINSM_9compositeIJNSM_27transparent_binary_operatorINSA_8equal_toIvEEEENSN_INSM_8argumentILj0EEEEENSM_5valueIiEEEEEEEEEEEE10hipError_tPvRmT3_T4_T5_T6_T7_T9_mT8_P12ihipStream_tbDpT10_ENKUlT_T0_E_clISt17integral_constantIbLb0EES1K_EEDaS1F_S1G_EUlS1F_E_NS1_11comp_targetILNS1_3genE5ELNS1_11target_archE942ELNS1_3gpuE9ELNS1_3repE0EEENS1_30default_config_static_selectorELNS0_4arch9wavefront6targetE0EEEvT1_
		.amdhsa_group_segment_fixed_size 0
		.amdhsa_private_segment_fixed_size 0
		.amdhsa_kernarg_size 120
		.amdhsa_user_sgpr_count 2
		.amdhsa_user_sgpr_dispatch_ptr 0
		.amdhsa_user_sgpr_queue_ptr 0
		.amdhsa_user_sgpr_kernarg_segment_ptr 1
		.amdhsa_user_sgpr_dispatch_id 0
		.amdhsa_user_sgpr_private_segment_size 0
		.amdhsa_wavefront_size32 1
		.amdhsa_uses_dynamic_stack 0
		.amdhsa_enable_private_segment 0
		.amdhsa_system_sgpr_workgroup_id_x 1
		.amdhsa_system_sgpr_workgroup_id_y 0
		.amdhsa_system_sgpr_workgroup_id_z 0
		.amdhsa_system_sgpr_workgroup_info 0
		.amdhsa_system_vgpr_workitem_id 0
		.amdhsa_next_free_vgpr 1
		.amdhsa_next_free_sgpr 1
		.amdhsa_reserve_vcc 0
		.amdhsa_float_round_mode_32 0
		.amdhsa_float_round_mode_16_64 0
		.amdhsa_float_denorm_mode_32 3
		.amdhsa_float_denorm_mode_16_64 3
		.amdhsa_fp16_overflow 0
		.amdhsa_workgroup_processor_mode 1
		.amdhsa_memory_ordered 1
		.amdhsa_forward_progress 1
		.amdhsa_inst_pref_size 0
		.amdhsa_round_robin_scheduling 0
		.amdhsa_exception_fp_ieee_invalid_op 0
		.amdhsa_exception_fp_denorm_src 0
		.amdhsa_exception_fp_ieee_div_zero 0
		.amdhsa_exception_fp_ieee_overflow 0
		.amdhsa_exception_fp_ieee_underflow 0
		.amdhsa_exception_fp_ieee_inexact 0
		.amdhsa_exception_int_div_zero 0
	.end_amdhsa_kernel
	.section	.text._ZN7rocprim17ROCPRIM_400000_NS6detail17trampoline_kernelINS0_14default_configENS1_25partition_config_selectorILNS1_17partition_subalgoE6EiNS0_10empty_typeEbEEZZNS1_14partition_implILS5_6ELb0ES3_mN6thrust23THRUST_200600_302600_NS6detail15normal_iteratorINSA_10device_ptrIiEEEEPS6_SG_NS0_5tupleIJSF_S6_EEENSH_IJSG_SG_EEES6_PlJNSB_9not_fun_tINSB_10functional5actorINSM_9compositeIJNSM_27transparent_binary_operatorINSA_8equal_toIvEEEENSN_INSM_8argumentILj0EEEEENSM_5valueIiEEEEEEEEEEEE10hipError_tPvRmT3_T4_T5_T6_T7_T9_mT8_P12ihipStream_tbDpT10_ENKUlT_T0_E_clISt17integral_constantIbLb0EES1K_EEDaS1F_S1G_EUlS1F_E_NS1_11comp_targetILNS1_3genE5ELNS1_11target_archE942ELNS1_3gpuE9ELNS1_3repE0EEENS1_30default_config_static_selectorELNS0_4arch9wavefront6targetE0EEEvT1_,"axG",@progbits,_ZN7rocprim17ROCPRIM_400000_NS6detail17trampoline_kernelINS0_14default_configENS1_25partition_config_selectorILNS1_17partition_subalgoE6EiNS0_10empty_typeEbEEZZNS1_14partition_implILS5_6ELb0ES3_mN6thrust23THRUST_200600_302600_NS6detail15normal_iteratorINSA_10device_ptrIiEEEEPS6_SG_NS0_5tupleIJSF_S6_EEENSH_IJSG_SG_EEES6_PlJNSB_9not_fun_tINSB_10functional5actorINSM_9compositeIJNSM_27transparent_binary_operatorINSA_8equal_toIvEEEENSN_INSM_8argumentILj0EEEEENSM_5valueIiEEEEEEEEEEEE10hipError_tPvRmT3_T4_T5_T6_T7_T9_mT8_P12ihipStream_tbDpT10_ENKUlT_T0_E_clISt17integral_constantIbLb0EES1K_EEDaS1F_S1G_EUlS1F_E_NS1_11comp_targetILNS1_3genE5ELNS1_11target_archE942ELNS1_3gpuE9ELNS1_3repE0EEENS1_30default_config_static_selectorELNS0_4arch9wavefront6targetE0EEEvT1_,comdat
.Lfunc_end212:
	.size	_ZN7rocprim17ROCPRIM_400000_NS6detail17trampoline_kernelINS0_14default_configENS1_25partition_config_selectorILNS1_17partition_subalgoE6EiNS0_10empty_typeEbEEZZNS1_14partition_implILS5_6ELb0ES3_mN6thrust23THRUST_200600_302600_NS6detail15normal_iteratorINSA_10device_ptrIiEEEEPS6_SG_NS0_5tupleIJSF_S6_EEENSH_IJSG_SG_EEES6_PlJNSB_9not_fun_tINSB_10functional5actorINSM_9compositeIJNSM_27transparent_binary_operatorINSA_8equal_toIvEEEENSN_INSM_8argumentILj0EEEEENSM_5valueIiEEEEEEEEEEEE10hipError_tPvRmT3_T4_T5_T6_T7_T9_mT8_P12ihipStream_tbDpT10_ENKUlT_T0_E_clISt17integral_constantIbLb0EES1K_EEDaS1F_S1G_EUlS1F_E_NS1_11comp_targetILNS1_3genE5ELNS1_11target_archE942ELNS1_3gpuE9ELNS1_3repE0EEENS1_30default_config_static_selectorELNS0_4arch9wavefront6targetE0EEEvT1_, .Lfunc_end212-_ZN7rocprim17ROCPRIM_400000_NS6detail17trampoline_kernelINS0_14default_configENS1_25partition_config_selectorILNS1_17partition_subalgoE6EiNS0_10empty_typeEbEEZZNS1_14partition_implILS5_6ELb0ES3_mN6thrust23THRUST_200600_302600_NS6detail15normal_iteratorINSA_10device_ptrIiEEEEPS6_SG_NS0_5tupleIJSF_S6_EEENSH_IJSG_SG_EEES6_PlJNSB_9not_fun_tINSB_10functional5actorINSM_9compositeIJNSM_27transparent_binary_operatorINSA_8equal_toIvEEEENSN_INSM_8argumentILj0EEEEENSM_5valueIiEEEEEEEEEEEE10hipError_tPvRmT3_T4_T5_T6_T7_T9_mT8_P12ihipStream_tbDpT10_ENKUlT_T0_E_clISt17integral_constantIbLb0EES1K_EEDaS1F_S1G_EUlS1F_E_NS1_11comp_targetILNS1_3genE5ELNS1_11target_archE942ELNS1_3gpuE9ELNS1_3repE0EEENS1_30default_config_static_selectorELNS0_4arch9wavefront6targetE0EEEvT1_
                                        ; -- End function
	.set _ZN7rocprim17ROCPRIM_400000_NS6detail17trampoline_kernelINS0_14default_configENS1_25partition_config_selectorILNS1_17partition_subalgoE6EiNS0_10empty_typeEbEEZZNS1_14partition_implILS5_6ELb0ES3_mN6thrust23THRUST_200600_302600_NS6detail15normal_iteratorINSA_10device_ptrIiEEEEPS6_SG_NS0_5tupleIJSF_S6_EEENSH_IJSG_SG_EEES6_PlJNSB_9not_fun_tINSB_10functional5actorINSM_9compositeIJNSM_27transparent_binary_operatorINSA_8equal_toIvEEEENSN_INSM_8argumentILj0EEEEENSM_5valueIiEEEEEEEEEEEE10hipError_tPvRmT3_T4_T5_T6_T7_T9_mT8_P12ihipStream_tbDpT10_ENKUlT_T0_E_clISt17integral_constantIbLb0EES1K_EEDaS1F_S1G_EUlS1F_E_NS1_11comp_targetILNS1_3genE5ELNS1_11target_archE942ELNS1_3gpuE9ELNS1_3repE0EEENS1_30default_config_static_selectorELNS0_4arch9wavefront6targetE0EEEvT1_.num_vgpr, 0
	.set _ZN7rocprim17ROCPRIM_400000_NS6detail17trampoline_kernelINS0_14default_configENS1_25partition_config_selectorILNS1_17partition_subalgoE6EiNS0_10empty_typeEbEEZZNS1_14partition_implILS5_6ELb0ES3_mN6thrust23THRUST_200600_302600_NS6detail15normal_iteratorINSA_10device_ptrIiEEEEPS6_SG_NS0_5tupleIJSF_S6_EEENSH_IJSG_SG_EEES6_PlJNSB_9not_fun_tINSB_10functional5actorINSM_9compositeIJNSM_27transparent_binary_operatorINSA_8equal_toIvEEEENSN_INSM_8argumentILj0EEEEENSM_5valueIiEEEEEEEEEEEE10hipError_tPvRmT3_T4_T5_T6_T7_T9_mT8_P12ihipStream_tbDpT10_ENKUlT_T0_E_clISt17integral_constantIbLb0EES1K_EEDaS1F_S1G_EUlS1F_E_NS1_11comp_targetILNS1_3genE5ELNS1_11target_archE942ELNS1_3gpuE9ELNS1_3repE0EEENS1_30default_config_static_selectorELNS0_4arch9wavefront6targetE0EEEvT1_.num_agpr, 0
	.set _ZN7rocprim17ROCPRIM_400000_NS6detail17trampoline_kernelINS0_14default_configENS1_25partition_config_selectorILNS1_17partition_subalgoE6EiNS0_10empty_typeEbEEZZNS1_14partition_implILS5_6ELb0ES3_mN6thrust23THRUST_200600_302600_NS6detail15normal_iteratorINSA_10device_ptrIiEEEEPS6_SG_NS0_5tupleIJSF_S6_EEENSH_IJSG_SG_EEES6_PlJNSB_9not_fun_tINSB_10functional5actorINSM_9compositeIJNSM_27transparent_binary_operatorINSA_8equal_toIvEEEENSN_INSM_8argumentILj0EEEEENSM_5valueIiEEEEEEEEEEEE10hipError_tPvRmT3_T4_T5_T6_T7_T9_mT8_P12ihipStream_tbDpT10_ENKUlT_T0_E_clISt17integral_constantIbLb0EES1K_EEDaS1F_S1G_EUlS1F_E_NS1_11comp_targetILNS1_3genE5ELNS1_11target_archE942ELNS1_3gpuE9ELNS1_3repE0EEENS1_30default_config_static_selectorELNS0_4arch9wavefront6targetE0EEEvT1_.numbered_sgpr, 0
	.set _ZN7rocprim17ROCPRIM_400000_NS6detail17trampoline_kernelINS0_14default_configENS1_25partition_config_selectorILNS1_17partition_subalgoE6EiNS0_10empty_typeEbEEZZNS1_14partition_implILS5_6ELb0ES3_mN6thrust23THRUST_200600_302600_NS6detail15normal_iteratorINSA_10device_ptrIiEEEEPS6_SG_NS0_5tupleIJSF_S6_EEENSH_IJSG_SG_EEES6_PlJNSB_9not_fun_tINSB_10functional5actorINSM_9compositeIJNSM_27transparent_binary_operatorINSA_8equal_toIvEEEENSN_INSM_8argumentILj0EEEEENSM_5valueIiEEEEEEEEEEEE10hipError_tPvRmT3_T4_T5_T6_T7_T9_mT8_P12ihipStream_tbDpT10_ENKUlT_T0_E_clISt17integral_constantIbLb0EES1K_EEDaS1F_S1G_EUlS1F_E_NS1_11comp_targetILNS1_3genE5ELNS1_11target_archE942ELNS1_3gpuE9ELNS1_3repE0EEENS1_30default_config_static_selectorELNS0_4arch9wavefront6targetE0EEEvT1_.num_named_barrier, 0
	.set _ZN7rocprim17ROCPRIM_400000_NS6detail17trampoline_kernelINS0_14default_configENS1_25partition_config_selectorILNS1_17partition_subalgoE6EiNS0_10empty_typeEbEEZZNS1_14partition_implILS5_6ELb0ES3_mN6thrust23THRUST_200600_302600_NS6detail15normal_iteratorINSA_10device_ptrIiEEEEPS6_SG_NS0_5tupleIJSF_S6_EEENSH_IJSG_SG_EEES6_PlJNSB_9not_fun_tINSB_10functional5actorINSM_9compositeIJNSM_27transparent_binary_operatorINSA_8equal_toIvEEEENSN_INSM_8argumentILj0EEEEENSM_5valueIiEEEEEEEEEEEE10hipError_tPvRmT3_T4_T5_T6_T7_T9_mT8_P12ihipStream_tbDpT10_ENKUlT_T0_E_clISt17integral_constantIbLb0EES1K_EEDaS1F_S1G_EUlS1F_E_NS1_11comp_targetILNS1_3genE5ELNS1_11target_archE942ELNS1_3gpuE9ELNS1_3repE0EEENS1_30default_config_static_selectorELNS0_4arch9wavefront6targetE0EEEvT1_.private_seg_size, 0
	.set _ZN7rocprim17ROCPRIM_400000_NS6detail17trampoline_kernelINS0_14default_configENS1_25partition_config_selectorILNS1_17partition_subalgoE6EiNS0_10empty_typeEbEEZZNS1_14partition_implILS5_6ELb0ES3_mN6thrust23THRUST_200600_302600_NS6detail15normal_iteratorINSA_10device_ptrIiEEEEPS6_SG_NS0_5tupleIJSF_S6_EEENSH_IJSG_SG_EEES6_PlJNSB_9not_fun_tINSB_10functional5actorINSM_9compositeIJNSM_27transparent_binary_operatorINSA_8equal_toIvEEEENSN_INSM_8argumentILj0EEEEENSM_5valueIiEEEEEEEEEEEE10hipError_tPvRmT3_T4_T5_T6_T7_T9_mT8_P12ihipStream_tbDpT10_ENKUlT_T0_E_clISt17integral_constantIbLb0EES1K_EEDaS1F_S1G_EUlS1F_E_NS1_11comp_targetILNS1_3genE5ELNS1_11target_archE942ELNS1_3gpuE9ELNS1_3repE0EEENS1_30default_config_static_selectorELNS0_4arch9wavefront6targetE0EEEvT1_.uses_vcc, 0
	.set _ZN7rocprim17ROCPRIM_400000_NS6detail17trampoline_kernelINS0_14default_configENS1_25partition_config_selectorILNS1_17partition_subalgoE6EiNS0_10empty_typeEbEEZZNS1_14partition_implILS5_6ELb0ES3_mN6thrust23THRUST_200600_302600_NS6detail15normal_iteratorINSA_10device_ptrIiEEEEPS6_SG_NS0_5tupleIJSF_S6_EEENSH_IJSG_SG_EEES6_PlJNSB_9not_fun_tINSB_10functional5actorINSM_9compositeIJNSM_27transparent_binary_operatorINSA_8equal_toIvEEEENSN_INSM_8argumentILj0EEEEENSM_5valueIiEEEEEEEEEEEE10hipError_tPvRmT3_T4_T5_T6_T7_T9_mT8_P12ihipStream_tbDpT10_ENKUlT_T0_E_clISt17integral_constantIbLb0EES1K_EEDaS1F_S1G_EUlS1F_E_NS1_11comp_targetILNS1_3genE5ELNS1_11target_archE942ELNS1_3gpuE9ELNS1_3repE0EEENS1_30default_config_static_selectorELNS0_4arch9wavefront6targetE0EEEvT1_.uses_flat_scratch, 0
	.set _ZN7rocprim17ROCPRIM_400000_NS6detail17trampoline_kernelINS0_14default_configENS1_25partition_config_selectorILNS1_17partition_subalgoE6EiNS0_10empty_typeEbEEZZNS1_14partition_implILS5_6ELb0ES3_mN6thrust23THRUST_200600_302600_NS6detail15normal_iteratorINSA_10device_ptrIiEEEEPS6_SG_NS0_5tupleIJSF_S6_EEENSH_IJSG_SG_EEES6_PlJNSB_9not_fun_tINSB_10functional5actorINSM_9compositeIJNSM_27transparent_binary_operatorINSA_8equal_toIvEEEENSN_INSM_8argumentILj0EEEEENSM_5valueIiEEEEEEEEEEEE10hipError_tPvRmT3_T4_T5_T6_T7_T9_mT8_P12ihipStream_tbDpT10_ENKUlT_T0_E_clISt17integral_constantIbLb0EES1K_EEDaS1F_S1G_EUlS1F_E_NS1_11comp_targetILNS1_3genE5ELNS1_11target_archE942ELNS1_3gpuE9ELNS1_3repE0EEENS1_30default_config_static_selectorELNS0_4arch9wavefront6targetE0EEEvT1_.has_dyn_sized_stack, 0
	.set _ZN7rocprim17ROCPRIM_400000_NS6detail17trampoline_kernelINS0_14default_configENS1_25partition_config_selectorILNS1_17partition_subalgoE6EiNS0_10empty_typeEbEEZZNS1_14partition_implILS5_6ELb0ES3_mN6thrust23THRUST_200600_302600_NS6detail15normal_iteratorINSA_10device_ptrIiEEEEPS6_SG_NS0_5tupleIJSF_S6_EEENSH_IJSG_SG_EEES6_PlJNSB_9not_fun_tINSB_10functional5actorINSM_9compositeIJNSM_27transparent_binary_operatorINSA_8equal_toIvEEEENSN_INSM_8argumentILj0EEEEENSM_5valueIiEEEEEEEEEEEE10hipError_tPvRmT3_T4_T5_T6_T7_T9_mT8_P12ihipStream_tbDpT10_ENKUlT_T0_E_clISt17integral_constantIbLb0EES1K_EEDaS1F_S1G_EUlS1F_E_NS1_11comp_targetILNS1_3genE5ELNS1_11target_archE942ELNS1_3gpuE9ELNS1_3repE0EEENS1_30default_config_static_selectorELNS0_4arch9wavefront6targetE0EEEvT1_.has_recursion, 0
	.set _ZN7rocprim17ROCPRIM_400000_NS6detail17trampoline_kernelINS0_14default_configENS1_25partition_config_selectorILNS1_17partition_subalgoE6EiNS0_10empty_typeEbEEZZNS1_14partition_implILS5_6ELb0ES3_mN6thrust23THRUST_200600_302600_NS6detail15normal_iteratorINSA_10device_ptrIiEEEEPS6_SG_NS0_5tupleIJSF_S6_EEENSH_IJSG_SG_EEES6_PlJNSB_9not_fun_tINSB_10functional5actorINSM_9compositeIJNSM_27transparent_binary_operatorINSA_8equal_toIvEEEENSN_INSM_8argumentILj0EEEEENSM_5valueIiEEEEEEEEEEEE10hipError_tPvRmT3_T4_T5_T6_T7_T9_mT8_P12ihipStream_tbDpT10_ENKUlT_T0_E_clISt17integral_constantIbLb0EES1K_EEDaS1F_S1G_EUlS1F_E_NS1_11comp_targetILNS1_3genE5ELNS1_11target_archE942ELNS1_3gpuE9ELNS1_3repE0EEENS1_30default_config_static_selectorELNS0_4arch9wavefront6targetE0EEEvT1_.has_indirect_call, 0
	.section	.AMDGPU.csdata,"",@progbits
; Kernel info:
; codeLenInByte = 0
; TotalNumSgprs: 0
; NumVgprs: 0
; ScratchSize: 0
; MemoryBound: 0
; FloatMode: 240
; IeeeMode: 1
; LDSByteSize: 0 bytes/workgroup (compile time only)
; SGPRBlocks: 0
; VGPRBlocks: 0
; NumSGPRsForWavesPerEU: 1
; NumVGPRsForWavesPerEU: 1
; Occupancy: 16
; WaveLimiterHint : 0
; COMPUTE_PGM_RSRC2:SCRATCH_EN: 0
; COMPUTE_PGM_RSRC2:USER_SGPR: 2
; COMPUTE_PGM_RSRC2:TRAP_HANDLER: 0
; COMPUTE_PGM_RSRC2:TGID_X_EN: 1
; COMPUTE_PGM_RSRC2:TGID_Y_EN: 0
; COMPUTE_PGM_RSRC2:TGID_Z_EN: 0
; COMPUTE_PGM_RSRC2:TIDIG_COMP_CNT: 0
	.section	.text._ZN7rocprim17ROCPRIM_400000_NS6detail17trampoline_kernelINS0_14default_configENS1_25partition_config_selectorILNS1_17partition_subalgoE6EiNS0_10empty_typeEbEEZZNS1_14partition_implILS5_6ELb0ES3_mN6thrust23THRUST_200600_302600_NS6detail15normal_iteratorINSA_10device_ptrIiEEEEPS6_SG_NS0_5tupleIJSF_S6_EEENSH_IJSG_SG_EEES6_PlJNSB_9not_fun_tINSB_10functional5actorINSM_9compositeIJNSM_27transparent_binary_operatorINSA_8equal_toIvEEEENSN_INSM_8argumentILj0EEEEENSM_5valueIiEEEEEEEEEEEE10hipError_tPvRmT3_T4_T5_T6_T7_T9_mT8_P12ihipStream_tbDpT10_ENKUlT_T0_E_clISt17integral_constantIbLb0EES1K_EEDaS1F_S1G_EUlS1F_E_NS1_11comp_targetILNS1_3genE4ELNS1_11target_archE910ELNS1_3gpuE8ELNS1_3repE0EEENS1_30default_config_static_selectorELNS0_4arch9wavefront6targetE0EEEvT1_,"axG",@progbits,_ZN7rocprim17ROCPRIM_400000_NS6detail17trampoline_kernelINS0_14default_configENS1_25partition_config_selectorILNS1_17partition_subalgoE6EiNS0_10empty_typeEbEEZZNS1_14partition_implILS5_6ELb0ES3_mN6thrust23THRUST_200600_302600_NS6detail15normal_iteratorINSA_10device_ptrIiEEEEPS6_SG_NS0_5tupleIJSF_S6_EEENSH_IJSG_SG_EEES6_PlJNSB_9not_fun_tINSB_10functional5actorINSM_9compositeIJNSM_27transparent_binary_operatorINSA_8equal_toIvEEEENSN_INSM_8argumentILj0EEEEENSM_5valueIiEEEEEEEEEEEE10hipError_tPvRmT3_T4_T5_T6_T7_T9_mT8_P12ihipStream_tbDpT10_ENKUlT_T0_E_clISt17integral_constantIbLb0EES1K_EEDaS1F_S1G_EUlS1F_E_NS1_11comp_targetILNS1_3genE4ELNS1_11target_archE910ELNS1_3gpuE8ELNS1_3repE0EEENS1_30default_config_static_selectorELNS0_4arch9wavefront6targetE0EEEvT1_,comdat
	.protected	_ZN7rocprim17ROCPRIM_400000_NS6detail17trampoline_kernelINS0_14default_configENS1_25partition_config_selectorILNS1_17partition_subalgoE6EiNS0_10empty_typeEbEEZZNS1_14partition_implILS5_6ELb0ES3_mN6thrust23THRUST_200600_302600_NS6detail15normal_iteratorINSA_10device_ptrIiEEEEPS6_SG_NS0_5tupleIJSF_S6_EEENSH_IJSG_SG_EEES6_PlJNSB_9not_fun_tINSB_10functional5actorINSM_9compositeIJNSM_27transparent_binary_operatorINSA_8equal_toIvEEEENSN_INSM_8argumentILj0EEEEENSM_5valueIiEEEEEEEEEEEE10hipError_tPvRmT3_T4_T5_T6_T7_T9_mT8_P12ihipStream_tbDpT10_ENKUlT_T0_E_clISt17integral_constantIbLb0EES1K_EEDaS1F_S1G_EUlS1F_E_NS1_11comp_targetILNS1_3genE4ELNS1_11target_archE910ELNS1_3gpuE8ELNS1_3repE0EEENS1_30default_config_static_selectorELNS0_4arch9wavefront6targetE0EEEvT1_ ; -- Begin function _ZN7rocprim17ROCPRIM_400000_NS6detail17trampoline_kernelINS0_14default_configENS1_25partition_config_selectorILNS1_17partition_subalgoE6EiNS0_10empty_typeEbEEZZNS1_14partition_implILS5_6ELb0ES3_mN6thrust23THRUST_200600_302600_NS6detail15normal_iteratorINSA_10device_ptrIiEEEEPS6_SG_NS0_5tupleIJSF_S6_EEENSH_IJSG_SG_EEES6_PlJNSB_9not_fun_tINSB_10functional5actorINSM_9compositeIJNSM_27transparent_binary_operatorINSA_8equal_toIvEEEENSN_INSM_8argumentILj0EEEEENSM_5valueIiEEEEEEEEEEEE10hipError_tPvRmT3_T4_T5_T6_T7_T9_mT8_P12ihipStream_tbDpT10_ENKUlT_T0_E_clISt17integral_constantIbLb0EES1K_EEDaS1F_S1G_EUlS1F_E_NS1_11comp_targetILNS1_3genE4ELNS1_11target_archE910ELNS1_3gpuE8ELNS1_3repE0EEENS1_30default_config_static_selectorELNS0_4arch9wavefront6targetE0EEEvT1_
	.globl	_ZN7rocprim17ROCPRIM_400000_NS6detail17trampoline_kernelINS0_14default_configENS1_25partition_config_selectorILNS1_17partition_subalgoE6EiNS0_10empty_typeEbEEZZNS1_14partition_implILS5_6ELb0ES3_mN6thrust23THRUST_200600_302600_NS6detail15normal_iteratorINSA_10device_ptrIiEEEEPS6_SG_NS0_5tupleIJSF_S6_EEENSH_IJSG_SG_EEES6_PlJNSB_9not_fun_tINSB_10functional5actorINSM_9compositeIJNSM_27transparent_binary_operatorINSA_8equal_toIvEEEENSN_INSM_8argumentILj0EEEEENSM_5valueIiEEEEEEEEEEEE10hipError_tPvRmT3_T4_T5_T6_T7_T9_mT8_P12ihipStream_tbDpT10_ENKUlT_T0_E_clISt17integral_constantIbLb0EES1K_EEDaS1F_S1G_EUlS1F_E_NS1_11comp_targetILNS1_3genE4ELNS1_11target_archE910ELNS1_3gpuE8ELNS1_3repE0EEENS1_30default_config_static_selectorELNS0_4arch9wavefront6targetE0EEEvT1_
	.p2align	8
	.type	_ZN7rocprim17ROCPRIM_400000_NS6detail17trampoline_kernelINS0_14default_configENS1_25partition_config_selectorILNS1_17partition_subalgoE6EiNS0_10empty_typeEbEEZZNS1_14partition_implILS5_6ELb0ES3_mN6thrust23THRUST_200600_302600_NS6detail15normal_iteratorINSA_10device_ptrIiEEEEPS6_SG_NS0_5tupleIJSF_S6_EEENSH_IJSG_SG_EEES6_PlJNSB_9not_fun_tINSB_10functional5actorINSM_9compositeIJNSM_27transparent_binary_operatorINSA_8equal_toIvEEEENSN_INSM_8argumentILj0EEEEENSM_5valueIiEEEEEEEEEEEE10hipError_tPvRmT3_T4_T5_T6_T7_T9_mT8_P12ihipStream_tbDpT10_ENKUlT_T0_E_clISt17integral_constantIbLb0EES1K_EEDaS1F_S1G_EUlS1F_E_NS1_11comp_targetILNS1_3genE4ELNS1_11target_archE910ELNS1_3gpuE8ELNS1_3repE0EEENS1_30default_config_static_selectorELNS0_4arch9wavefront6targetE0EEEvT1_,@function
_ZN7rocprim17ROCPRIM_400000_NS6detail17trampoline_kernelINS0_14default_configENS1_25partition_config_selectorILNS1_17partition_subalgoE6EiNS0_10empty_typeEbEEZZNS1_14partition_implILS5_6ELb0ES3_mN6thrust23THRUST_200600_302600_NS6detail15normal_iteratorINSA_10device_ptrIiEEEEPS6_SG_NS0_5tupleIJSF_S6_EEENSH_IJSG_SG_EEES6_PlJNSB_9not_fun_tINSB_10functional5actorINSM_9compositeIJNSM_27transparent_binary_operatorINSA_8equal_toIvEEEENSN_INSM_8argumentILj0EEEEENSM_5valueIiEEEEEEEEEEEE10hipError_tPvRmT3_T4_T5_T6_T7_T9_mT8_P12ihipStream_tbDpT10_ENKUlT_T0_E_clISt17integral_constantIbLb0EES1K_EEDaS1F_S1G_EUlS1F_E_NS1_11comp_targetILNS1_3genE4ELNS1_11target_archE910ELNS1_3gpuE8ELNS1_3repE0EEENS1_30default_config_static_selectorELNS0_4arch9wavefront6targetE0EEEvT1_: ; @_ZN7rocprim17ROCPRIM_400000_NS6detail17trampoline_kernelINS0_14default_configENS1_25partition_config_selectorILNS1_17partition_subalgoE6EiNS0_10empty_typeEbEEZZNS1_14partition_implILS5_6ELb0ES3_mN6thrust23THRUST_200600_302600_NS6detail15normal_iteratorINSA_10device_ptrIiEEEEPS6_SG_NS0_5tupleIJSF_S6_EEENSH_IJSG_SG_EEES6_PlJNSB_9not_fun_tINSB_10functional5actorINSM_9compositeIJNSM_27transparent_binary_operatorINSA_8equal_toIvEEEENSN_INSM_8argumentILj0EEEEENSM_5valueIiEEEEEEEEEEEE10hipError_tPvRmT3_T4_T5_T6_T7_T9_mT8_P12ihipStream_tbDpT10_ENKUlT_T0_E_clISt17integral_constantIbLb0EES1K_EEDaS1F_S1G_EUlS1F_E_NS1_11comp_targetILNS1_3genE4ELNS1_11target_archE910ELNS1_3gpuE8ELNS1_3repE0EEENS1_30default_config_static_selectorELNS0_4arch9wavefront6targetE0EEEvT1_
; %bb.0:
	.section	.rodata,"a",@progbits
	.p2align	6, 0x0
	.amdhsa_kernel _ZN7rocprim17ROCPRIM_400000_NS6detail17trampoline_kernelINS0_14default_configENS1_25partition_config_selectorILNS1_17partition_subalgoE6EiNS0_10empty_typeEbEEZZNS1_14partition_implILS5_6ELb0ES3_mN6thrust23THRUST_200600_302600_NS6detail15normal_iteratorINSA_10device_ptrIiEEEEPS6_SG_NS0_5tupleIJSF_S6_EEENSH_IJSG_SG_EEES6_PlJNSB_9not_fun_tINSB_10functional5actorINSM_9compositeIJNSM_27transparent_binary_operatorINSA_8equal_toIvEEEENSN_INSM_8argumentILj0EEEEENSM_5valueIiEEEEEEEEEEEE10hipError_tPvRmT3_T4_T5_T6_T7_T9_mT8_P12ihipStream_tbDpT10_ENKUlT_T0_E_clISt17integral_constantIbLb0EES1K_EEDaS1F_S1G_EUlS1F_E_NS1_11comp_targetILNS1_3genE4ELNS1_11target_archE910ELNS1_3gpuE8ELNS1_3repE0EEENS1_30default_config_static_selectorELNS0_4arch9wavefront6targetE0EEEvT1_
		.amdhsa_group_segment_fixed_size 0
		.amdhsa_private_segment_fixed_size 0
		.amdhsa_kernarg_size 120
		.amdhsa_user_sgpr_count 2
		.amdhsa_user_sgpr_dispatch_ptr 0
		.amdhsa_user_sgpr_queue_ptr 0
		.amdhsa_user_sgpr_kernarg_segment_ptr 1
		.amdhsa_user_sgpr_dispatch_id 0
		.amdhsa_user_sgpr_private_segment_size 0
		.amdhsa_wavefront_size32 1
		.amdhsa_uses_dynamic_stack 0
		.amdhsa_enable_private_segment 0
		.amdhsa_system_sgpr_workgroup_id_x 1
		.amdhsa_system_sgpr_workgroup_id_y 0
		.amdhsa_system_sgpr_workgroup_id_z 0
		.amdhsa_system_sgpr_workgroup_info 0
		.amdhsa_system_vgpr_workitem_id 0
		.amdhsa_next_free_vgpr 1
		.amdhsa_next_free_sgpr 1
		.amdhsa_reserve_vcc 0
		.amdhsa_float_round_mode_32 0
		.amdhsa_float_round_mode_16_64 0
		.amdhsa_float_denorm_mode_32 3
		.amdhsa_float_denorm_mode_16_64 3
		.amdhsa_fp16_overflow 0
		.amdhsa_workgroup_processor_mode 1
		.amdhsa_memory_ordered 1
		.amdhsa_forward_progress 1
		.amdhsa_inst_pref_size 0
		.amdhsa_round_robin_scheduling 0
		.amdhsa_exception_fp_ieee_invalid_op 0
		.amdhsa_exception_fp_denorm_src 0
		.amdhsa_exception_fp_ieee_div_zero 0
		.amdhsa_exception_fp_ieee_overflow 0
		.amdhsa_exception_fp_ieee_underflow 0
		.amdhsa_exception_fp_ieee_inexact 0
		.amdhsa_exception_int_div_zero 0
	.end_amdhsa_kernel
	.section	.text._ZN7rocprim17ROCPRIM_400000_NS6detail17trampoline_kernelINS0_14default_configENS1_25partition_config_selectorILNS1_17partition_subalgoE6EiNS0_10empty_typeEbEEZZNS1_14partition_implILS5_6ELb0ES3_mN6thrust23THRUST_200600_302600_NS6detail15normal_iteratorINSA_10device_ptrIiEEEEPS6_SG_NS0_5tupleIJSF_S6_EEENSH_IJSG_SG_EEES6_PlJNSB_9not_fun_tINSB_10functional5actorINSM_9compositeIJNSM_27transparent_binary_operatorINSA_8equal_toIvEEEENSN_INSM_8argumentILj0EEEEENSM_5valueIiEEEEEEEEEEEE10hipError_tPvRmT3_T4_T5_T6_T7_T9_mT8_P12ihipStream_tbDpT10_ENKUlT_T0_E_clISt17integral_constantIbLb0EES1K_EEDaS1F_S1G_EUlS1F_E_NS1_11comp_targetILNS1_3genE4ELNS1_11target_archE910ELNS1_3gpuE8ELNS1_3repE0EEENS1_30default_config_static_selectorELNS0_4arch9wavefront6targetE0EEEvT1_,"axG",@progbits,_ZN7rocprim17ROCPRIM_400000_NS6detail17trampoline_kernelINS0_14default_configENS1_25partition_config_selectorILNS1_17partition_subalgoE6EiNS0_10empty_typeEbEEZZNS1_14partition_implILS5_6ELb0ES3_mN6thrust23THRUST_200600_302600_NS6detail15normal_iteratorINSA_10device_ptrIiEEEEPS6_SG_NS0_5tupleIJSF_S6_EEENSH_IJSG_SG_EEES6_PlJNSB_9not_fun_tINSB_10functional5actorINSM_9compositeIJNSM_27transparent_binary_operatorINSA_8equal_toIvEEEENSN_INSM_8argumentILj0EEEEENSM_5valueIiEEEEEEEEEEEE10hipError_tPvRmT3_T4_T5_T6_T7_T9_mT8_P12ihipStream_tbDpT10_ENKUlT_T0_E_clISt17integral_constantIbLb0EES1K_EEDaS1F_S1G_EUlS1F_E_NS1_11comp_targetILNS1_3genE4ELNS1_11target_archE910ELNS1_3gpuE8ELNS1_3repE0EEENS1_30default_config_static_selectorELNS0_4arch9wavefront6targetE0EEEvT1_,comdat
.Lfunc_end213:
	.size	_ZN7rocprim17ROCPRIM_400000_NS6detail17trampoline_kernelINS0_14default_configENS1_25partition_config_selectorILNS1_17partition_subalgoE6EiNS0_10empty_typeEbEEZZNS1_14partition_implILS5_6ELb0ES3_mN6thrust23THRUST_200600_302600_NS6detail15normal_iteratorINSA_10device_ptrIiEEEEPS6_SG_NS0_5tupleIJSF_S6_EEENSH_IJSG_SG_EEES6_PlJNSB_9not_fun_tINSB_10functional5actorINSM_9compositeIJNSM_27transparent_binary_operatorINSA_8equal_toIvEEEENSN_INSM_8argumentILj0EEEEENSM_5valueIiEEEEEEEEEEEE10hipError_tPvRmT3_T4_T5_T6_T7_T9_mT8_P12ihipStream_tbDpT10_ENKUlT_T0_E_clISt17integral_constantIbLb0EES1K_EEDaS1F_S1G_EUlS1F_E_NS1_11comp_targetILNS1_3genE4ELNS1_11target_archE910ELNS1_3gpuE8ELNS1_3repE0EEENS1_30default_config_static_selectorELNS0_4arch9wavefront6targetE0EEEvT1_, .Lfunc_end213-_ZN7rocprim17ROCPRIM_400000_NS6detail17trampoline_kernelINS0_14default_configENS1_25partition_config_selectorILNS1_17partition_subalgoE6EiNS0_10empty_typeEbEEZZNS1_14partition_implILS5_6ELb0ES3_mN6thrust23THRUST_200600_302600_NS6detail15normal_iteratorINSA_10device_ptrIiEEEEPS6_SG_NS0_5tupleIJSF_S6_EEENSH_IJSG_SG_EEES6_PlJNSB_9not_fun_tINSB_10functional5actorINSM_9compositeIJNSM_27transparent_binary_operatorINSA_8equal_toIvEEEENSN_INSM_8argumentILj0EEEEENSM_5valueIiEEEEEEEEEEEE10hipError_tPvRmT3_T4_T5_T6_T7_T9_mT8_P12ihipStream_tbDpT10_ENKUlT_T0_E_clISt17integral_constantIbLb0EES1K_EEDaS1F_S1G_EUlS1F_E_NS1_11comp_targetILNS1_3genE4ELNS1_11target_archE910ELNS1_3gpuE8ELNS1_3repE0EEENS1_30default_config_static_selectorELNS0_4arch9wavefront6targetE0EEEvT1_
                                        ; -- End function
	.set _ZN7rocprim17ROCPRIM_400000_NS6detail17trampoline_kernelINS0_14default_configENS1_25partition_config_selectorILNS1_17partition_subalgoE6EiNS0_10empty_typeEbEEZZNS1_14partition_implILS5_6ELb0ES3_mN6thrust23THRUST_200600_302600_NS6detail15normal_iteratorINSA_10device_ptrIiEEEEPS6_SG_NS0_5tupleIJSF_S6_EEENSH_IJSG_SG_EEES6_PlJNSB_9not_fun_tINSB_10functional5actorINSM_9compositeIJNSM_27transparent_binary_operatorINSA_8equal_toIvEEEENSN_INSM_8argumentILj0EEEEENSM_5valueIiEEEEEEEEEEEE10hipError_tPvRmT3_T4_T5_T6_T7_T9_mT8_P12ihipStream_tbDpT10_ENKUlT_T0_E_clISt17integral_constantIbLb0EES1K_EEDaS1F_S1G_EUlS1F_E_NS1_11comp_targetILNS1_3genE4ELNS1_11target_archE910ELNS1_3gpuE8ELNS1_3repE0EEENS1_30default_config_static_selectorELNS0_4arch9wavefront6targetE0EEEvT1_.num_vgpr, 0
	.set _ZN7rocprim17ROCPRIM_400000_NS6detail17trampoline_kernelINS0_14default_configENS1_25partition_config_selectorILNS1_17partition_subalgoE6EiNS0_10empty_typeEbEEZZNS1_14partition_implILS5_6ELb0ES3_mN6thrust23THRUST_200600_302600_NS6detail15normal_iteratorINSA_10device_ptrIiEEEEPS6_SG_NS0_5tupleIJSF_S6_EEENSH_IJSG_SG_EEES6_PlJNSB_9not_fun_tINSB_10functional5actorINSM_9compositeIJNSM_27transparent_binary_operatorINSA_8equal_toIvEEEENSN_INSM_8argumentILj0EEEEENSM_5valueIiEEEEEEEEEEEE10hipError_tPvRmT3_T4_T5_T6_T7_T9_mT8_P12ihipStream_tbDpT10_ENKUlT_T0_E_clISt17integral_constantIbLb0EES1K_EEDaS1F_S1G_EUlS1F_E_NS1_11comp_targetILNS1_3genE4ELNS1_11target_archE910ELNS1_3gpuE8ELNS1_3repE0EEENS1_30default_config_static_selectorELNS0_4arch9wavefront6targetE0EEEvT1_.num_agpr, 0
	.set _ZN7rocprim17ROCPRIM_400000_NS6detail17trampoline_kernelINS0_14default_configENS1_25partition_config_selectorILNS1_17partition_subalgoE6EiNS0_10empty_typeEbEEZZNS1_14partition_implILS5_6ELb0ES3_mN6thrust23THRUST_200600_302600_NS6detail15normal_iteratorINSA_10device_ptrIiEEEEPS6_SG_NS0_5tupleIJSF_S6_EEENSH_IJSG_SG_EEES6_PlJNSB_9not_fun_tINSB_10functional5actorINSM_9compositeIJNSM_27transparent_binary_operatorINSA_8equal_toIvEEEENSN_INSM_8argumentILj0EEEEENSM_5valueIiEEEEEEEEEEEE10hipError_tPvRmT3_T4_T5_T6_T7_T9_mT8_P12ihipStream_tbDpT10_ENKUlT_T0_E_clISt17integral_constantIbLb0EES1K_EEDaS1F_S1G_EUlS1F_E_NS1_11comp_targetILNS1_3genE4ELNS1_11target_archE910ELNS1_3gpuE8ELNS1_3repE0EEENS1_30default_config_static_selectorELNS0_4arch9wavefront6targetE0EEEvT1_.numbered_sgpr, 0
	.set _ZN7rocprim17ROCPRIM_400000_NS6detail17trampoline_kernelINS0_14default_configENS1_25partition_config_selectorILNS1_17partition_subalgoE6EiNS0_10empty_typeEbEEZZNS1_14partition_implILS5_6ELb0ES3_mN6thrust23THRUST_200600_302600_NS6detail15normal_iteratorINSA_10device_ptrIiEEEEPS6_SG_NS0_5tupleIJSF_S6_EEENSH_IJSG_SG_EEES6_PlJNSB_9not_fun_tINSB_10functional5actorINSM_9compositeIJNSM_27transparent_binary_operatorINSA_8equal_toIvEEEENSN_INSM_8argumentILj0EEEEENSM_5valueIiEEEEEEEEEEEE10hipError_tPvRmT3_T4_T5_T6_T7_T9_mT8_P12ihipStream_tbDpT10_ENKUlT_T0_E_clISt17integral_constantIbLb0EES1K_EEDaS1F_S1G_EUlS1F_E_NS1_11comp_targetILNS1_3genE4ELNS1_11target_archE910ELNS1_3gpuE8ELNS1_3repE0EEENS1_30default_config_static_selectorELNS0_4arch9wavefront6targetE0EEEvT1_.num_named_barrier, 0
	.set _ZN7rocprim17ROCPRIM_400000_NS6detail17trampoline_kernelINS0_14default_configENS1_25partition_config_selectorILNS1_17partition_subalgoE6EiNS0_10empty_typeEbEEZZNS1_14partition_implILS5_6ELb0ES3_mN6thrust23THRUST_200600_302600_NS6detail15normal_iteratorINSA_10device_ptrIiEEEEPS6_SG_NS0_5tupleIJSF_S6_EEENSH_IJSG_SG_EEES6_PlJNSB_9not_fun_tINSB_10functional5actorINSM_9compositeIJNSM_27transparent_binary_operatorINSA_8equal_toIvEEEENSN_INSM_8argumentILj0EEEEENSM_5valueIiEEEEEEEEEEEE10hipError_tPvRmT3_T4_T5_T6_T7_T9_mT8_P12ihipStream_tbDpT10_ENKUlT_T0_E_clISt17integral_constantIbLb0EES1K_EEDaS1F_S1G_EUlS1F_E_NS1_11comp_targetILNS1_3genE4ELNS1_11target_archE910ELNS1_3gpuE8ELNS1_3repE0EEENS1_30default_config_static_selectorELNS0_4arch9wavefront6targetE0EEEvT1_.private_seg_size, 0
	.set _ZN7rocprim17ROCPRIM_400000_NS6detail17trampoline_kernelINS0_14default_configENS1_25partition_config_selectorILNS1_17partition_subalgoE6EiNS0_10empty_typeEbEEZZNS1_14partition_implILS5_6ELb0ES3_mN6thrust23THRUST_200600_302600_NS6detail15normal_iteratorINSA_10device_ptrIiEEEEPS6_SG_NS0_5tupleIJSF_S6_EEENSH_IJSG_SG_EEES6_PlJNSB_9not_fun_tINSB_10functional5actorINSM_9compositeIJNSM_27transparent_binary_operatorINSA_8equal_toIvEEEENSN_INSM_8argumentILj0EEEEENSM_5valueIiEEEEEEEEEEEE10hipError_tPvRmT3_T4_T5_T6_T7_T9_mT8_P12ihipStream_tbDpT10_ENKUlT_T0_E_clISt17integral_constantIbLb0EES1K_EEDaS1F_S1G_EUlS1F_E_NS1_11comp_targetILNS1_3genE4ELNS1_11target_archE910ELNS1_3gpuE8ELNS1_3repE0EEENS1_30default_config_static_selectorELNS0_4arch9wavefront6targetE0EEEvT1_.uses_vcc, 0
	.set _ZN7rocprim17ROCPRIM_400000_NS6detail17trampoline_kernelINS0_14default_configENS1_25partition_config_selectorILNS1_17partition_subalgoE6EiNS0_10empty_typeEbEEZZNS1_14partition_implILS5_6ELb0ES3_mN6thrust23THRUST_200600_302600_NS6detail15normal_iteratorINSA_10device_ptrIiEEEEPS6_SG_NS0_5tupleIJSF_S6_EEENSH_IJSG_SG_EEES6_PlJNSB_9not_fun_tINSB_10functional5actorINSM_9compositeIJNSM_27transparent_binary_operatorINSA_8equal_toIvEEEENSN_INSM_8argumentILj0EEEEENSM_5valueIiEEEEEEEEEEEE10hipError_tPvRmT3_T4_T5_T6_T7_T9_mT8_P12ihipStream_tbDpT10_ENKUlT_T0_E_clISt17integral_constantIbLb0EES1K_EEDaS1F_S1G_EUlS1F_E_NS1_11comp_targetILNS1_3genE4ELNS1_11target_archE910ELNS1_3gpuE8ELNS1_3repE0EEENS1_30default_config_static_selectorELNS0_4arch9wavefront6targetE0EEEvT1_.uses_flat_scratch, 0
	.set _ZN7rocprim17ROCPRIM_400000_NS6detail17trampoline_kernelINS0_14default_configENS1_25partition_config_selectorILNS1_17partition_subalgoE6EiNS0_10empty_typeEbEEZZNS1_14partition_implILS5_6ELb0ES3_mN6thrust23THRUST_200600_302600_NS6detail15normal_iteratorINSA_10device_ptrIiEEEEPS6_SG_NS0_5tupleIJSF_S6_EEENSH_IJSG_SG_EEES6_PlJNSB_9not_fun_tINSB_10functional5actorINSM_9compositeIJNSM_27transparent_binary_operatorINSA_8equal_toIvEEEENSN_INSM_8argumentILj0EEEEENSM_5valueIiEEEEEEEEEEEE10hipError_tPvRmT3_T4_T5_T6_T7_T9_mT8_P12ihipStream_tbDpT10_ENKUlT_T0_E_clISt17integral_constantIbLb0EES1K_EEDaS1F_S1G_EUlS1F_E_NS1_11comp_targetILNS1_3genE4ELNS1_11target_archE910ELNS1_3gpuE8ELNS1_3repE0EEENS1_30default_config_static_selectorELNS0_4arch9wavefront6targetE0EEEvT1_.has_dyn_sized_stack, 0
	.set _ZN7rocprim17ROCPRIM_400000_NS6detail17trampoline_kernelINS0_14default_configENS1_25partition_config_selectorILNS1_17partition_subalgoE6EiNS0_10empty_typeEbEEZZNS1_14partition_implILS5_6ELb0ES3_mN6thrust23THRUST_200600_302600_NS6detail15normal_iteratorINSA_10device_ptrIiEEEEPS6_SG_NS0_5tupleIJSF_S6_EEENSH_IJSG_SG_EEES6_PlJNSB_9not_fun_tINSB_10functional5actorINSM_9compositeIJNSM_27transparent_binary_operatorINSA_8equal_toIvEEEENSN_INSM_8argumentILj0EEEEENSM_5valueIiEEEEEEEEEEEE10hipError_tPvRmT3_T4_T5_T6_T7_T9_mT8_P12ihipStream_tbDpT10_ENKUlT_T0_E_clISt17integral_constantIbLb0EES1K_EEDaS1F_S1G_EUlS1F_E_NS1_11comp_targetILNS1_3genE4ELNS1_11target_archE910ELNS1_3gpuE8ELNS1_3repE0EEENS1_30default_config_static_selectorELNS0_4arch9wavefront6targetE0EEEvT1_.has_recursion, 0
	.set _ZN7rocprim17ROCPRIM_400000_NS6detail17trampoline_kernelINS0_14default_configENS1_25partition_config_selectorILNS1_17partition_subalgoE6EiNS0_10empty_typeEbEEZZNS1_14partition_implILS5_6ELb0ES3_mN6thrust23THRUST_200600_302600_NS6detail15normal_iteratorINSA_10device_ptrIiEEEEPS6_SG_NS0_5tupleIJSF_S6_EEENSH_IJSG_SG_EEES6_PlJNSB_9not_fun_tINSB_10functional5actorINSM_9compositeIJNSM_27transparent_binary_operatorINSA_8equal_toIvEEEENSN_INSM_8argumentILj0EEEEENSM_5valueIiEEEEEEEEEEEE10hipError_tPvRmT3_T4_T5_T6_T7_T9_mT8_P12ihipStream_tbDpT10_ENKUlT_T0_E_clISt17integral_constantIbLb0EES1K_EEDaS1F_S1G_EUlS1F_E_NS1_11comp_targetILNS1_3genE4ELNS1_11target_archE910ELNS1_3gpuE8ELNS1_3repE0EEENS1_30default_config_static_selectorELNS0_4arch9wavefront6targetE0EEEvT1_.has_indirect_call, 0
	.section	.AMDGPU.csdata,"",@progbits
; Kernel info:
; codeLenInByte = 0
; TotalNumSgprs: 0
; NumVgprs: 0
; ScratchSize: 0
; MemoryBound: 0
; FloatMode: 240
; IeeeMode: 1
; LDSByteSize: 0 bytes/workgroup (compile time only)
; SGPRBlocks: 0
; VGPRBlocks: 0
; NumSGPRsForWavesPerEU: 1
; NumVGPRsForWavesPerEU: 1
; Occupancy: 16
; WaveLimiterHint : 0
; COMPUTE_PGM_RSRC2:SCRATCH_EN: 0
; COMPUTE_PGM_RSRC2:USER_SGPR: 2
; COMPUTE_PGM_RSRC2:TRAP_HANDLER: 0
; COMPUTE_PGM_RSRC2:TGID_X_EN: 1
; COMPUTE_PGM_RSRC2:TGID_Y_EN: 0
; COMPUTE_PGM_RSRC2:TGID_Z_EN: 0
; COMPUTE_PGM_RSRC2:TIDIG_COMP_CNT: 0
	.section	.text._ZN7rocprim17ROCPRIM_400000_NS6detail17trampoline_kernelINS0_14default_configENS1_25partition_config_selectorILNS1_17partition_subalgoE6EiNS0_10empty_typeEbEEZZNS1_14partition_implILS5_6ELb0ES3_mN6thrust23THRUST_200600_302600_NS6detail15normal_iteratorINSA_10device_ptrIiEEEEPS6_SG_NS0_5tupleIJSF_S6_EEENSH_IJSG_SG_EEES6_PlJNSB_9not_fun_tINSB_10functional5actorINSM_9compositeIJNSM_27transparent_binary_operatorINSA_8equal_toIvEEEENSN_INSM_8argumentILj0EEEEENSM_5valueIiEEEEEEEEEEEE10hipError_tPvRmT3_T4_T5_T6_T7_T9_mT8_P12ihipStream_tbDpT10_ENKUlT_T0_E_clISt17integral_constantIbLb0EES1K_EEDaS1F_S1G_EUlS1F_E_NS1_11comp_targetILNS1_3genE3ELNS1_11target_archE908ELNS1_3gpuE7ELNS1_3repE0EEENS1_30default_config_static_selectorELNS0_4arch9wavefront6targetE0EEEvT1_,"axG",@progbits,_ZN7rocprim17ROCPRIM_400000_NS6detail17trampoline_kernelINS0_14default_configENS1_25partition_config_selectorILNS1_17partition_subalgoE6EiNS0_10empty_typeEbEEZZNS1_14partition_implILS5_6ELb0ES3_mN6thrust23THRUST_200600_302600_NS6detail15normal_iteratorINSA_10device_ptrIiEEEEPS6_SG_NS0_5tupleIJSF_S6_EEENSH_IJSG_SG_EEES6_PlJNSB_9not_fun_tINSB_10functional5actorINSM_9compositeIJNSM_27transparent_binary_operatorINSA_8equal_toIvEEEENSN_INSM_8argumentILj0EEEEENSM_5valueIiEEEEEEEEEEEE10hipError_tPvRmT3_T4_T5_T6_T7_T9_mT8_P12ihipStream_tbDpT10_ENKUlT_T0_E_clISt17integral_constantIbLb0EES1K_EEDaS1F_S1G_EUlS1F_E_NS1_11comp_targetILNS1_3genE3ELNS1_11target_archE908ELNS1_3gpuE7ELNS1_3repE0EEENS1_30default_config_static_selectorELNS0_4arch9wavefront6targetE0EEEvT1_,comdat
	.protected	_ZN7rocprim17ROCPRIM_400000_NS6detail17trampoline_kernelINS0_14default_configENS1_25partition_config_selectorILNS1_17partition_subalgoE6EiNS0_10empty_typeEbEEZZNS1_14partition_implILS5_6ELb0ES3_mN6thrust23THRUST_200600_302600_NS6detail15normal_iteratorINSA_10device_ptrIiEEEEPS6_SG_NS0_5tupleIJSF_S6_EEENSH_IJSG_SG_EEES6_PlJNSB_9not_fun_tINSB_10functional5actorINSM_9compositeIJNSM_27transparent_binary_operatorINSA_8equal_toIvEEEENSN_INSM_8argumentILj0EEEEENSM_5valueIiEEEEEEEEEEEE10hipError_tPvRmT3_T4_T5_T6_T7_T9_mT8_P12ihipStream_tbDpT10_ENKUlT_T0_E_clISt17integral_constantIbLb0EES1K_EEDaS1F_S1G_EUlS1F_E_NS1_11comp_targetILNS1_3genE3ELNS1_11target_archE908ELNS1_3gpuE7ELNS1_3repE0EEENS1_30default_config_static_selectorELNS0_4arch9wavefront6targetE0EEEvT1_ ; -- Begin function _ZN7rocprim17ROCPRIM_400000_NS6detail17trampoline_kernelINS0_14default_configENS1_25partition_config_selectorILNS1_17partition_subalgoE6EiNS0_10empty_typeEbEEZZNS1_14partition_implILS5_6ELb0ES3_mN6thrust23THRUST_200600_302600_NS6detail15normal_iteratorINSA_10device_ptrIiEEEEPS6_SG_NS0_5tupleIJSF_S6_EEENSH_IJSG_SG_EEES6_PlJNSB_9not_fun_tINSB_10functional5actorINSM_9compositeIJNSM_27transparent_binary_operatorINSA_8equal_toIvEEEENSN_INSM_8argumentILj0EEEEENSM_5valueIiEEEEEEEEEEEE10hipError_tPvRmT3_T4_T5_T6_T7_T9_mT8_P12ihipStream_tbDpT10_ENKUlT_T0_E_clISt17integral_constantIbLb0EES1K_EEDaS1F_S1G_EUlS1F_E_NS1_11comp_targetILNS1_3genE3ELNS1_11target_archE908ELNS1_3gpuE7ELNS1_3repE0EEENS1_30default_config_static_selectorELNS0_4arch9wavefront6targetE0EEEvT1_
	.globl	_ZN7rocprim17ROCPRIM_400000_NS6detail17trampoline_kernelINS0_14default_configENS1_25partition_config_selectorILNS1_17partition_subalgoE6EiNS0_10empty_typeEbEEZZNS1_14partition_implILS5_6ELb0ES3_mN6thrust23THRUST_200600_302600_NS6detail15normal_iteratorINSA_10device_ptrIiEEEEPS6_SG_NS0_5tupleIJSF_S6_EEENSH_IJSG_SG_EEES6_PlJNSB_9not_fun_tINSB_10functional5actorINSM_9compositeIJNSM_27transparent_binary_operatorINSA_8equal_toIvEEEENSN_INSM_8argumentILj0EEEEENSM_5valueIiEEEEEEEEEEEE10hipError_tPvRmT3_T4_T5_T6_T7_T9_mT8_P12ihipStream_tbDpT10_ENKUlT_T0_E_clISt17integral_constantIbLb0EES1K_EEDaS1F_S1G_EUlS1F_E_NS1_11comp_targetILNS1_3genE3ELNS1_11target_archE908ELNS1_3gpuE7ELNS1_3repE0EEENS1_30default_config_static_selectorELNS0_4arch9wavefront6targetE0EEEvT1_
	.p2align	8
	.type	_ZN7rocprim17ROCPRIM_400000_NS6detail17trampoline_kernelINS0_14default_configENS1_25partition_config_selectorILNS1_17partition_subalgoE6EiNS0_10empty_typeEbEEZZNS1_14partition_implILS5_6ELb0ES3_mN6thrust23THRUST_200600_302600_NS6detail15normal_iteratorINSA_10device_ptrIiEEEEPS6_SG_NS0_5tupleIJSF_S6_EEENSH_IJSG_SG_EEES6_PlJNSB_9not_fun_tINSB_10functional5actorINSM_9compositeIJNSM_27transparent_binary_operatorINSA_8equal_toIvEEEENSN_INSM_8argumentILj0EEEEENSM_5valueIiEEEEEEEEEEEE10hipError_tPvRmT3_T4_T5_T6_T7_T9_mT8_P12ihipStream_tbDpT10_ENKUlT_T0_E_clISt17integral_constantIbLb0EES1K_EEDaS1F_S1G_EUlS1F_E_NS1_11comp_targetILNS1_3genE3ELNS1_11target_archE908ELNS1_3gpuE7ELNS1_3repE0EEENS1_30default_config_static_selectorELNS0_4arch9wavefront6targetE0EEEvT1_,@function
_ZN7rocprim17ROCPRIM_400000_NS6detail17trampoline_kernelINS0_14default_configENS1_25partition_config_selectorILNS1_17partition_subalgoE6EiNS0_10empty_typeEbEEZZNS1_14partition_implILS5_6ELb0ES3_mN6thrust23THRUST_200600_302600_NS6detail15normal_iteratorINSA_10device_ptrIiEEEEPS6_SG_NS0_5tupleIJSF_S6_EEENSH_IJSG_SG_EEES6_PlJNSB_9not_fun_tINSB_10functional5actorINSM_9compositeIJNSM_27transparent_binary_operatorINSA_8equal_toIvEEEENSN_INSM_8argumentILj0EEEEENSM_5valueIiEEEEEEEEEEEE10hipError_tPvRmT3_T4_T5_T6_T7_T9_mT8_P12ihipStream_tbDpT10_ENKUlT_T0_E_clISt17integral_constantIbLb0EES1K_EEDaS1F_S1G_EUlS1F_E_NS1_11comp_targetILNS1_3genE3ELNS1_11target_archE908ELNS1_3gpuE7ELNS1_3repE0EEENS1_30default_config_static_selectorELNS0_4arch9wavefront6targetE0EEEvT1_: ; @_ZN7rocprim17ROCPRIM_400000_NS6detail17trampoline_kernelINS0_14default_configENS1_25partition_config_selectorILNS1_17partition_subalgoE6EiNS0_10empty_typeEbEEZZNS1_14partition_implILS5_6ELb0ES3_mN6thrust23THRUST_200600_302600_NS6detail15normal_iteratorINSA_10device_ptrIiEEEEPS6_SG_NS0_5tupleIJSF_S6_EEENSH_IJSG_SG_EEES6_PlJNSB_9not_fun_tINSB_10functional5actorINSM_9compositeIJNSM_27transparent_binary_operatorINSA_8equal_toIvEEEENSN_INSM_8argumentILj0EEEEENSM_5valueIiEEEEEEEEEEEE10hipError_tPvRmT3_T4_T5_T6_T7_T9_mT8_P12ihipStream_tbDpT10_ENKUlT_T0_E_clISt17integral_constantIbLb0EES1K_EEDaS1F_S1G_EUlS1F_E_NS1_11comp_targetILNS1_3genE3ELNS1_11target_archE908ELNS1_3gpuE7ELNS1_3repE0EEENS1_30default_config_static_selectorELNS0_4arch9wavefront6targetE0EEEvT1_
; %bb.0:
	.section	.rodata,"a",@progbits
	.p2align	6, 0x0
	.amdhsa_kernel _ZN7rocprim17ROCPRIM_400000_NS6detail17trampoline_kernelINS0_14default_configENS1_25partition_config_selectorILNS1_17partition_subalgoE6EiNS0_10empty_typeEbEEZZNS1_14partition_implILS5_6ELb0ES3_mN6thrust23THRUST_200600_302600_NS6detail15normal_iteratorINSA_10device_ptrIiEEEEPS6_SG_NS0_5tupleIJSF_S6_EEENSH_IJSG_SG_EEES6_PlJNSB_9not_fun_tINSB_10functional5actorINSM_9compositeIJNSM_27transparent_binary_operatorINSA_8equal_toIvEEEENSN_INSM_8argumentILj0EEEEENSM_5valueIiEEEEEEEEEEEE10hipError_tPvRmT3_T4_T5_T6_T7_T9_mT8_P12ihipStream_tbDpT10_ENKUlT_T0_E_clISt17integral_constantIbLb0EES1K_EEDaS1F_S1G_EUlS1F_E_NS1_11comp_targetILNS1_3genE3ELNS1_11target_archE908ELNS1_3gpuE7ELNS1_3repE0EEENS1_30default_config_static_selectorELNS0_4arch9wavefront6targetE0EEEvT1_
		.amdhsa_group_segment_fixed_size 0
		.amdhsa_private_segment_fixed_size 0
		.amdhsa_kernarg_size 120
		.amdhsa_user_sgpr_count 2
		.amdhsa_user_sgpr_dispatch_ptr 0
		.amdhsa_user_sgpr_queue_ptr 0
		.amdhsa_user_sgpr_kernarg_segment_ptr 1
		.amdhsa_user_sgpr_dispatch_id 0
		.amdhsa_user_sgpr_private_segment_size 0
		.amdhsa_wavefront_size32 1
		.amdhsa_uses_dynamic_stack 0
		.amdhsa_enable_private_segment 0
		.amdhsa_system_sgpr_workgroup_id_x 1
		.amdhsa_system_sgpr_workgroup_id_y 0
		.amdhsa_system_sgpr_workgroup_id_z 0
		.amdhsa_system_sgpr_workgroup_info 0
		.amdhsa_system_vgpr_workitem_id 0
		.amdhsa_next_free_vgpr 1
		.amdhsa_next_free_sgpr 1
		.amdhsa_reserve_vcc 0
		.amdhsa_float_round_mode_32 0
		.amdhsa_float_round_mode_16_64 0
		.amdhsa_float_denorm_mode_32 3
		.amdhsa_float_denorm_mode_16_64 3
		.amdhsa_fp16_overflow 0
		.amdhsa_workgroup_processor_mode 1
		.amdhsa_memory_ordered 1
		.amdhsa_forward_progress 1
		.amdhsa_inst_pref_size 0
		.amdhsa_round_robin_scheduling 0
		.amdhsa_exception_fp_ieee_invalid_op 0
		.amdhsa_exception_fp_denorm_src 0
		.amdhsa_exception_fp_ieee_div_zero 0
		.amdhsa_exception_fp_ieee_overflow 0
		.amdhsa_exception_fp_ieee_underflow 0
		.amdhsa_exception_fp_ieee_inexact 0
		.amdhsa_exception_int_div_zero 0
	.end_amdhsa_kernel
	.section	.text._ZN7rocprim17ROCPRIM_400000_NS6detail17trampoline_kernelINS0_14default_configENS1_25partition_config_selectorILNS1_17partition_subalgoE6EiNS0_10empty_typeEbEEZZNS1_14partition_implILS5_6ELb0ES3_mN6thrust23THRUST_200600_302600_NS6detail15normal_iteratorINSA_10device_ptrIiEEEEPS6_SG_NS0_5tupleIJSF_S6_EEENSH_IJSG_SG_EEES6_PlJNSB_9not_fun_tINSB_10functional5actorINSM_9compositeIJNSM_27transparent_binary_operatorINSA_8equal_toIvEEEENSN_INSM_8argumentILj0EEEEENSM_5valueIiEEEEEEEEEEEE10hipError_tPvRmT3_T4_T5_T6_T7_T9_mT8_P12ihipStream_tbDpT10_ENKUlT_T0_E_clISt17integral_constantIbLb0EES1K_EEDaS1F_S1G_EUlS1F_E_NS1_11comp_targetILNS1_3genE3ELNS1_11target_archE908ELNS1_3gpuE7ELNS1_3repE0EEENS1_30default_config_static_selectorELNS0_4arch9wavefront6targetE0EEEvT1_,"axG",@progbits,_ZN7rocprim17ROCPRIM_400000_NS6detail17trampoline_kernelINS0_14default_configENS1_25partition_config_selectorILNS1_17partition_subalgoE6EiNS0_10empty_typeEbEEZZNS1_14partition_implILS5_6ELb0ES3_mN6thrust23THRUST_200600_302600_NS6detail15normal_iteratorINSA_10device_ptrIiEEEEPS6_SG_NS0_5tupleIJSF_S6_EEENSH_IJSG_SG_EEES6_PlJNSB_9not_fun_tINSB_10functional5actorINSM_9compositeIJNSM_27transparent_binary_operatorINSA_8equal_toIvEEEENSN_INSM_8argumentILj0EEEEENSM_5valueIiEEEEEEEEEEEE10hipError_tPvRmT3_T4_T5_T6_T7_T9_mT8_P12ihipStream_tbDpT10_ENKUlT_T0_E_clISt17integral_constantIbLb0EES1K_EEDaS1F_S1G_EUlS1F_E_NS1_11comp_targetILNS1_3genE3ELNS1_11target_archE908ELNS1_3gpuE7ELNS1_3repE0EEENS1_30default_config_static_selectorELNS0_4arch9wavefront6targetE0EEEvT1_,comdat
.Lfunc_end214:
	.size	_ZN7rocprim17ROCPRIM_400000_NS6detail17trampoline_kernelINS0_14default_configENS1_25partition_config_selectorILNS1_17partition_subalgoE6EiNS0_10empty_typeEbEEZZNS1_14partition_implILS5_6ELb0ES3_mN6thrust23THRUST_200600_302600_NS6detail15normal_iteratorINSA_10device_ptrIiEEEEPS6_SG_NS0_5tupleIJSF_S6_EEENSH_IJSG_SG_EEES6_PlJNSB_9not_fun_tINSB_10functional5actorINSM_9compositeIJNSM_27transparent_binary_operatorINSA_8equal_toIvEEEENSN_INSM_8argumentILj0EEEEENSM_5valueIiEEEEEEEEEEEE10hipError_tPvRmT3_T4_T5_T6_T7_T9_mT8_P12ihipStream_tbDpT10_ENKUlT_T0_E_clISt17integral_constantIbLb0EES1K_EEDaS1F_S1G_EUlS1F_E_NS1_11comp_targetILNS1_3genE3ELNS1_11target_archE908ELNS1_3gpuE7ELNS1_3repE0EEENS1_30default_config_static_selectorELNS0_4arch9wavefront6targetE0EEEvT1_, .Lfunc_end214-_ZN7rocprim17ROCPRIM_400000_NS6detail17trampoline_kernelINS0_14default_configENS1_25partition_config_selectorILNS1_17partition_subalgoE6EiNS0_10empty_typeEbEEZZNS1_14partition_implILS5_6ELb0ES3_mN6thrust23THRUST_200600_302600_NS6detail15normal_iteratorINSA_10device_ptrIiEEEEPS6_SG_NS0_5tupleIJSF_S6_EEENSH_IJSG_SG_EEES6_PlJNSB_9not_fun_tINSB_10functional5actorINSM_9compositeIJNSM_27transparent_binary_operatorINSA_8equal_toIvEEEENSN_INSM_8argumentILj0EEEEENSM_5valueIiEEEEEEEEEEEE10hipError_tPvRmT3_T4_T5_T6_T7_T9_mT8_P12ihipStream_tbDpT10_ENKUlT_T0_E_clISt17integral_constantIbLb0EES1K_EEDaS1F_S1G_EUlS1F_E_NS1_11comp_targetILNS1_3genE3ELNS1_11target_archE908ELNS1_3gpuE7ELNS1_3repE0EEENS1_30default_config_static_selectorELNS0_4arch9wavefront6targetE0EEEvT1_
                                        ; -- End function
	.set _ZN7rocprim17ROCPRIM_400000_NS6detail17trampoline_kernelINS0_14default_configENS1_25partition_config_selectorILNS1_17partition_subalgoE6EiNS0_10empty_typeEbEEZZNS1_14partition_implILS5_6ELb0ES3_mN6thrust23THRUST_200600_302600_NS6detail15normal_iteratorINSA_10device_ptrIiEEEEPS6_SG_NS0_5tupleIJSF_S6_EEENSH_IJSG_SG_EEES6_PlJNSB_9not_fun_tINSB_10functional5actorINSM_9compositeIJNSM_27transparent_binary_operatorINSA_8equal_toIvEEEENSN_INSM_8argumentILj0EEEEENSM_5valueIiEEEEEEEEEEEE10hipError_tPvRmT3_T4_T5_T6_T7_T9_mT8_P12ihipStream_tbDpT10_ENKUlT_T0_E_clISt17integral_constantIbLb0EES1K_EEDaS1F_S1G_EUlS1F_E_NS1_11comp_targetILNS1_3genE3ELNS1_11target_archE908ELNS1_3gpuE7ELNS1_3repE0EEENS1_30default_config_static_selectorELNS0_4arch9wavefront6targetE0EEEvT1_.num_vgpr, 0
	.set _ZN7rocprim17ROCPRIM_400000_NS6detail17trampoline_kernelINS0_14default_configENS1_25partition_config_selectorILNS1_17partition_subalgoE6EiNS0_10empty_typeEbEEZZNS1_14partition_implILS5_6ELb0ES3_mN6thrust23THRUST_200600_302600_NS6detail15normal_iteratorINSA_10device_ptrIiEEEEPS6_SG_NS0_5tupleIJSF_S6_EEENSH_IJSG_SG_EEES6_PlJNSB_9not_fun_tINSB_10functional5actorINSM_9compositeIJNSM_27transparent_binary_operatorINSA_8equal_toIvEEEENSN_INSM_8argumentILj0EEEEENSM_5valueIiEEEEEEEEEEEE10hipError_tPvRmT3_T4_T5_T6_T7_T9_mT8_P12ihipStream_tbDpT10_ENKUlT_T0_E_clISt17integral_constantIbLb0EES1K_EEDaS1F_S1G_EUlS1F_E_NS1_11comp_targetILNS1_3genE3ELNS1_11target_archE908ELNS1_3gpuE7ELNS1_3repE0EEENS1_30default_config_static_selectorELNS0_4arch9wavefront6targetE0EEEvT1_.num_agpr, 0
	.set _ZN7rocprim17ROCPRIM_400000_NS6detail17trampoline_kernelINS0_14default_configENS1_25partition_config_selectorILNS1_17partition_subalgoE6EiNS0_10empty_typeEbEEZZNS1_14partition_implILS5_6ELb0ES3_mN6thrust23THRUST_200600_302600_NS6detail15normal_iteratorINSA_10device_ptrIiEEEEPS6_SG_NS0_5tupleIJSF_S6_EEENSH_IJSG_SG_EEES6_PlJNSB_9not_fun_tINSB_10functional5actorINSM_9compositeIJNSM_27transparent_binary_operatorINSA_8equal_toIvEEEENSN_INSM_8argumentILj0EEEEENSM_5valueIiEEEEEEEEEEEE10hipError_tPvRmT3_T4_T5_T6_T7_T9_mT8_P12ihipStream_tbDpT10_ENKUlT_T0_E_clISt17integral_constantIbLb0EES1K_EEDaS1F_S1G_EUlS1F_E_NS1_11comp_targetILNS1_3genE3ELNS1_11target_archE908ELNS1_3gpuE7ELNS1_3repE0EEENS1_30default_config_static_selectorELNS0_4arch9wavefront6targetE0EEEvT1_.numbered_sgpr, 0
	.set _ZN7rocprim17ROCPRIM_400000_NS6detail17trampoline_kernelINS0_14default_configENS1_25partition_config_selectorILNS1_17partition_subalgoE6EiNS0_10empty_typeEbEEZZNS1_14partition_implILS5_6ELb0ES3_mN6thrust23THRUST_200600_302600_NS6detail15normal_iteratorINSA_10device_ptrIiEEEEPS6_SG_NS0_5tupleIJSF_S6_EEENSH_IJSG_SG_EEES6_PlJNSB_9not_fun_tINSB_10functional5actorINSM_9compositeIJNSM_27transparent_binary_operatorINSA_8equal_toIvEEEENSN_INSM_8argumentILj0EEEEENSM_5valueIiEEEEEEEEEEEE10hipError_tPvRmT3_T4_T5_T6_T7_T9_mT8_P12ihipStream_tbDpT10_ENKUlT_T0_E_clISt17integral_constantIbLb0EES1K_EEDaS1F_S1G_EUlS1F_E_NS1_11comp_targetILNS1_3genE3ELNS1_11target_archE908ELNS1_3gpuE7ELNS1_3repE0EEENS1_30default_config_static_selectorELNS0_4arch9wavefront6targetE0EEEvT1_.num_named_barrier, 0
	.set _ZN7rocprim17ROCPRIM_400000_NS6detail17trampoline_kernelINS0_14default_configENS1_25partition_config_selectorILNS1_17partition_subalgoE6EiNS0_10empty_typeEbEEZZNS1_14partition_implILS5_6ELb0ES3_mN6thrust23THRUST_200600_302600_NS6detail15normal_iteratorINSA_10device_ptrIiEEEEPS6_SG_NS0_5tupleIJSF_S6_EEENSH_IJSG_SG_EEES6_PlJNSB_9not_fun_tINSB_10functional5actorINSM_9compositeIJNSM_27transparent_binary_operatorINSA_8equal_toIvEEEENSN_INSM_8argumentILj0EEEEENSM_5valueIiEEEEEEEEEEEE10hipError_tPvRmT3_T4_T5_T6_T7_T9_mT8_P12ihipStream_tbDpT10_ENKUlT_T0_E_clISt17integral_constantIbLb0EES1K_EEDaS1F_S1G_EUlS1F_E_NS1_11comp_targetILNS1_3genE3ELNS1_11target_archE908ELNS1_3gpuE7ELNS1_3repE0EEENS1_30default_config_static_selectorELNS0_4arch9wavefront6targetE0EEEvT1_.private_seg_size, 0
	.set _ZN7rocprim17ROCPRIM_400000_NS6detail17trampoline_kernelINS0_14default_configENS1_25partition_config_selectorILNS1_17partition_subalgoE6EiNS0_10empty_typeEbEEZZNS1_14partition_implILS5_6ELb0ES3_mN6thrust23THRUST_200600_302600_NS6detail15normal_iteratorINSA_10device_ptrIiEEEEPS6_SG_NS0_5tupleIJSF_S6_EEENSH_IJSG_SG_EEES6_PlJNSB_9not_fun_tINSB_10functional5actorINSM_9compositeIJNSM_27transparent_binary_operatorINSA_8equal_toIvEEEENSN_INSM_8argumentILj0EEEEENSM_5valueIiEEEEEEEEEEEE10hipError_tPvRmT3_T4_T5_T6_T7_T9_mT8_P12ihipStream_tbDpT10_ENKUlT_T0_E_clISt17integral_constantIbLb0EES1K_EEDaS1F_S1G_EUlS1F_E_NS1_11comp_targetILNS1_3genE3ELNS1_11target_archE908ELNS1_3gpuE7ELNS1_3repE0EEENS1_30default_config_static_selectorELNS0_4arch9wavefront6targetE0EEEvT1_.uses_vcc, 0
	.set _ZN7rocprim17ROCPRIM_400000_NS6detail17trampoline_kernelINS0_14default_configENS1_25partition_config_selectorILNS1_17partition_subalgoE6EiNS0_10empty_typeEbEEZZNS1_14partition_implILS5_6ELb0ES3_mN6thrust23THRUST_200600_302600_NS6detail15normal_iteratorINSA_10device_ptrIiEEEEPS6_SG_NS0_5tupleIJSF_S6_EEENSH_IJSG_SG_EEES6_PlJNSB_9not_fun_tINSB_10functional5actorINSM_9compositeIJNSM_27transparent_binary_operatorINSA_8equal_toIvEEEENSN_INSM_8argumentILj0EEEEENSM_5valueIiEEEEEEEEEEEE10hipError_tPvRmT3_T4_T5_T6_T7_T9_mT8_P12ihipStream_tbDpT10_ENKUlT_T0_E_clISt17integral_constantIbLb0EES1K_EEDaS1F_S1G_EUlS1F_E_NS1_11comp_targetILNS1_3genE3ELNS1_11target_archE908ELNS1_3gpuE7ELNS1_3repE0EEENS1_30default_config_static_selectorELNS0_4arch9wavefront6targetE0EEEvT1_.uses_flat_scratch, 0
	.set _ZN7rocprim17ROCPRIM_400000_NS6detail17trampoline_kernelINS0_14default_configENS1_25partition_config_selectorILNS1_17partition_subalgoE6EiNS0_10empty_typeEbEEZZNS1_14partition_implILS5_6ELb0ES3_mN6thrust23THRUST_200600_302600_NS6detail15normal_iteratorINSA_10device_ptrIiEEEEPS6_SG_NS0_5tupleIJSF_S6_EEENSH_IJSG_SG_EEES6_PlJNSB_9not_fun_tINSB_10functional5actorINSM_9compositeIJNSM_27transparent_binary_operatorINSA_8equal_toIvEEEENSN_INSM_8argumentILj0EEEEENSM_5valueIiEEEEEEEEEEEE10hipError_tPvRmT3_T4_T5_T6_T7_T9_mT8_P12ihipStream_tbDpT10_ENKUlT_T0_E_clISt17integral_constantIbLb0EES1K_EEDaS1F_S1G_EUlS1F_E_NS1_11comp_targetILNS1_3genE3ELNS1_11target_archE908ELNS1_3gpuE7ELNS1_3repE0EEENS1_30default_config_static_selectorELNS0_4arch9wavefront6targetE0EEEvT1_.has_dyn_sized_stack, 0
	.set _ZN7rocprim17ROCPRIM_400000_NS6detail17trampoline_kernelINS0_14default_configENS1_25partition_config_selectorILNS1_17partition_subalgoE6EiNS0_10empty_typeEbEEZZNS1_14partition_implILS5_6ELb0ES3_mN6thrust23THRUST_200600_302600_NS6detail15normal_iteratorINSA_10device_ptrIiEEEEPS6_SG_NS0_5tupleIJSF_S6_EEENSH_IJSG_SG_EEES6_PlJNSB_9not_fun_tINSB_10functional5actorINSM_9compositeIJNSM_27transparent_binary_operatorINSA_8equal_toIvEEEENSN_INSM_8argumentILj0EEEEENSM_5valueIiEEEEEEEEEEEE10hipError_tPvRmT3_T4_T5_T6_T7_T9_mT8_P12ihipStream_tbDpT10_ENKUlT_T0_E_clISt17integral_constantIbLb0EES1K_EEDaS1F_S1G_EUlS1F_E_NS1_11comp_targetILNS1_3genE3ELNS1_11target_archE908ELNS1_3gpuE7ELNS1_3repE0EEENS1_30default_config_static_selectorELNS0_4arch9wavefront6targetE0EEEvT1_.has_recursion, 0
	.set _ZN7rocprim17ROCPRIM_400000_NS6detail17trampoline_kernelINS0_14default_configENS1_25partition_config_selectorILNS1_17partition_subalgoE6EiNS0_10empty_typeEbEEZZNS1_14partition_implILS5_6ELb0ES3_mN6thrust23THRUST_200600_302600_NS6detail15normal_iteratorINSA_10device_ptrIiEEEEPS6_SG_NS0_5tupleIJSF_S6_EEENSH_IJSG_SG_EEES6_PlJNSB_9not_fun_tINSB_10functional5actorINSM_9compositeIJNSM_27transparent_binary_operatorINSA_8equal_toIvEEEENSN_INSM_8argumentILj0EEEEENSM_5valueIiEEEEEEEEEEEE10hipError_tPvRmT3_T4_T5_T6_T7_T9_mT8_P12ihipStream_tbDpT10_ENKUlT_T0_E_clISt17integral_constantIbLb0EES1K_EEDaS1F_S1G_EUlS1F_E_NS1_11comp_targetILNS1_3genE3ELNS1_11target_archE908ELNS1_3gpuE7ELNS1_3repE0EEENS1_30default_config_static_selectorELNS0_4arch9wavefront6targetE0EEEvT1_.has_indirect_call, 0
	.section	.AMDGPU.csdata,"",@progbits
; Kernel info:
; codeLenInByte = 0
; TotalNumSgprs: 0
; NumVgprs: 0
; ScratchSize: 0
; MemoryBound: 0
; FloatMode: 240
; IeeeMode: 1
; LDSByteSize: 0 bytes/workgroup (compile time only)
; SGPRBlocks: 0
; VGPRBlocks: 0
; NumSGPRsForWavesPerEU: 1
; NumVGPRsForWavesPerEU: 1
; Occupancy: 16
; WaveLimiterHint : 0
; COMPUTE_PGM_RSRC2:SCRATCH_EN: 0
; COMPUTE_PGM_RSRC2:USER_SGPR: 2
; COMPUTE_PGM_RSRC2:TRAP_HANDLER: 0
; COMPUTE_PGM_RSRC2:TGID_X_EN: 1
; COMPUTE_PGM_RSRC2:TGID_Y_EN: 0
; COMPUTE_PGM_RSRC2:TGID_Z_EN: 0
; COMPUTE_PGM_RSRC2:TIDIG_COMP_CNT: 0
	.section	.text._ZN7rocprim17ROCPRIM_400000_NS6detail17trampoline_kernelINS0_14default_configENS1_25partition_config_selectorILNS1_17partition_subalgoE6EiNS0_10empty_typeEbEEZZNS1_14partition_implILS5_6ELb0ES3_mN6thrust23THRUST_200600_302600_NS6detail15normal_iteratorINSA_10device_ptrIiEEEEPS6_SG_NS0_5tupleIJSF_S6_EEENSH_IJSG_SG_EEES6_PlJNSB_9not_fun_tINSB_10functional5actorINSM_9compositeIJNSM_27transparent_binary_operatorINSA_8equal_toIvEEEENSN_INSM_8argumentILj0EEEEENSM_5valueIiEEEEEEEEEEEE10hipError_tPvRmT3_T4_T5_T6_T7_T9_mT8_P12ihipStream_tbDpT10_ENKUlT_T0_E_clISt17integral_constantIbLb0EES1K_EEDaS1F_S1G_EUlS1F_E_NS1_11comp_targetILNS1_3genE2ELNS1_11target_archE906ELNS1_3gpuE6ELNS1_3repE0EEENS1_30default_config_static_selectorELNS0_4arch9wavefront6targetE0EEEvT1_,"axG",@progbits,_ZN7rocprim17ROCPRIM_400000_NS6detail17trampoline_kernelINS0_14default_configENS1_25partition_config_selectorILNS1_17partition_subalgoE6EiNS0_10empty_typeEbEEZZNS1_14partition_implILS5_6ELb0ES3_mN6thrust23THRUST_200600_302600_NS6detail15normal_iteratorINSA_10device_ptrIiEEEEPS6_SG_NS0_5tupleIJSF_S6_EEENSH_IJSG_SG_EEES6_PlJNSB_9not_fun_tINSB_10functional5actorINSM_9compositeIJNSM_27transparent_binary_operatorINSA_8equal_toIvEEEENSN_INSM_8argumentILj0EEEEENSM_5valueIiEEEEEEEEEEEE10hipError_tPvRmT3_T4_T5_T6_T7_T9_mT8_P12ihipStream_tbDpT10_ENKUlT_T0_E_clISt17integral_constantIbLb0EES1K_EEDaS1F_S1G_EUlS1F_E_NS1_11comp_targetILNS1_3genE2ELNS1_11target_archE906ELNS1_3gpuE6ELNS1_3repE0EEENS1_30default_config_static_selectorELNS0_4arch9wavefront6targetE0EEEvT1_,comdat
	.protected	_ZN7rocprim17ROCPRIM_400000_NS6detail17trampoline_kernelINS0_14default_configENS1_25partition_config_selectorILNS1_17partition_subalgoE6EiNS0_10empty_typeEbEEZZNS1_14partition_implILS5_6ELb0ES3_mN6thrust23THRUST_200600_302600_NS6detail15normal_iteratorINSA_10device_ptrIiEEEEPS6_SG_NS0_5tupleIJSF_S6_EEENSH_IJSG_SG_EEES6_PlJNSB_9not_fun_tINSB_10functional5actorINSM_9compositeIJNSM_27transparent_binary_operatorINSA_8equal_toIvEEEENSN_INSM_8argumentILj0EEEEENSM_5valueIiEEEEEEEEEEEE10hipError_tPvRmT3_T4_T5_T6_T7_T9_mT8_P12ihipStream_tbDpT10_ENKUlT_T0_E_clISt17integral_constantIbLb0EES1K_EEDaS1F_S1G_EUlS1F_E_NS1_11comp_targetILNS1_3genE2ELNS1_11target_archE906ELNS1_3gpuE6ELNS1_3repE0EEENS1_30default_config_static_selectorELNS0_4arch9wavefront6targetE0EEEvT1_ ; -- Begin function _ZN7rocprim17ROCPRIM_400000_NS6detail17trampoline_kernelINS0_14default_configENS1_25partition_config_selectorILNS1_17partition_subalgoE6EiNS0_10empty_typeEbEEZZNS1_14partition_implILS5_6ELb0ES3_mN6thrust23THRUST_200600_302600_NS6detail15normal_iteratorINSA_10device_ptrIiEEEEPS6_SG_NS0_5tupleIJSF_S6_EEENSH_IJSG_SG_EEES6_PlJNSB_9not_fun_tINSB_10functional5actorINSM_9compositeIJNSM_27transparent_binary_operatorINSA_8equal_toIvEEEENSN_INSM_8argumentILj0EEEEENSM_5valueIiEEEEEEEEEEEE10hipError_tPvRmT3_T4_T5_T6_T7_T9_mT8_P12ihipStream_tbDpT10_ENKUlT_T0_E_clISt17integral_constantIbLb0EES1K_EEDaS1F_S1G_EUlS1F_E_NS1_11comp_targetILNS1_3genE2ELNS1_11target_archE906ELNS1_3gpuE6ELNS1_3repE0EEENS1_30default_config_static_selectorELNS0_4arch9wavefront6targetE0EEEvT1_
	.globl	_ZN7rocprim17ROCPRIM_400000_NS6detail17trampoline_kernelINS0_14default_configENS1_25partition_config_selectorILNS1_17partition_subalgoE6EiNS0_10empty_typeEbEEZZNS1_14partition_implILS5_6ELb0ES3_mN6thrust23THRUST_200600_302600_NS6detail15normal_iteratorINSA_10device_ptrIiEEEEPS6_SG_NS0_5tupleIJSF_S6_EEENSH_IJSG_SG_EEES6_PlJNSB_9not_fun_tINSB_10functional5actorINSM_9compositeIJNSM_27transparent_binary_operatorINSA_8equal_toIvEEEENSN_INSM_8argumentILj0EEEEENSM_5valueIiEEEEEEEEEEEE10hipError_tPvRmT3_T4_T5_T6_T7_T9_mT8_P12ihipStream_tbDpT10_ENKUlT_T0_E_clISt17integral_constantIbLb0EES1K_EEDaS1F_S1G_EUlS1F_E_NS1_11comp_targetILNS1_3genE2ELNS1_11target_archE906ELNS1_3gpuE6ELNS1_3repE0EEENS1_30default_config_static_selectorELNS0_4arch9wavefront6targetE0EEEvT1_
	.p2align	8
	.type	_ZN7rocprim17ROCPRIM_400000_NS6detail17trampoline_kernelINS0_14default_configENS1_25partition_config_selectorILNS1_17partition_subalgoE6EiNS0_10empty_typeEbEEZZNS1_14partition_implILS5_6ELb0ES3_mN6thrust23THRUST_200600_302600_NS6detail15normal_iteratorINSA_10device_ptrIiEEEEPS6_SG_NS0_5tupleIJSF_S6_EEENSH_IJSG_SG_EEES6_PlJNSB_9not_fun_tINSB_10functional5actorINSM_9compositeIJNSM_27transparent_binary_operatorINSA_8equal_toIvEEEENSN_INSM_8argumentILj0EEEEENSM_5valueIiEEEEEEEEEEEE10hipError_tPvRmT3_T4_T5_T6_T7_T9_mT8_P12ihipStream_tbDpT10_ENKUlT_T0_E_clISt17integral_constantIbLb0EES1K_EEDaS1F_S1G_EUlS1F_E_NS1_11comp_targetILNS1_3genE2ELNS1_11target_archE906ELNS1_3gpuE6ELNS1_3repE0EEENS1_30default_config_static_selectorELNS0_4arch9wavefront6targetE0EEEvT1_,@function
_ZN7rocprim17ROCPRIM_400000_NS6detail17trampoline_kernelINS0_14default_configENS1_25partition_config_selectorILNS1_17partition_subalgoE6EiNS0_10empty_typeEbEEZZNS1_14partition_implILS5_6ELb0ES3_mN6thrust23THRUST_200600_302600_NS6detail15normal_iteratorINSA_10device_ptrIiEEEEPS6_SG_NS0_5tupleIJSF_S6_EEENSH_IJSG_SG_EEES6_PlJNSB_9not_fun_tINSB_10functional5actorINSM_9compositeIJNSM_27transparent_binary_operatorINSA_8equal_toIvEEEENSN_INSM_8argumentILj0EEEEENSM_5valueIiEEEEEEEEEEEE10hipError_tPvRmT3_T4_T5_T6_T7_T9_mT8_P12ihipStream_tbDpT10_ENKUlT_T0_E_clISt17integral_constantIbLb0EES1K_EEDaS1F_S1G_EUlS1F_E_NS1_11comp_targetILNS1_3genE2ELNS1_11target_archE906ELNS1_3gpuE6ELNS1_3repE0EEENS1_30default_config_static_selectorELNS0_4arch9wavefront6targetE0EEEvT1_: ; @_ZN7rocprim17ROCPRIM_400000_NS6detail17trampoline_kernelINS0_14default_configENS1_25partition_config_selectorILNS1_17partition_subalgoE6EiNS0_10empty_typeEbEEZZNS1_14partition_implILS5_6ELb0ES3_mN6thrust23THRUST_200600_302600_NS6detail15normal_iteratorINSA_10device_ptrIiEEEEPS6_SG_NS0_5tupleIJSF_S6_EEENSH_IJSG_SG_EEES6_PlJNSB_9not_fun_tINSB_10functional5actorINSM_9compositeIJNSM_27transparent_binary_operatorINSA_8equal_toIvEEEENSN_INSM_8argumentILj0EEEEENSM_5valueIiEEEEEEEEEEEE10hipError_tPvRmT3_T4_T5_T6_T7_T9_mT8_P12ihipStream_tbDpT10_ENKUlT_T0_E_clISt17integral_constantIbLb0EES1K_EEDaS1F_S1G_EUlS1F_E_NS1_11comp_targetILNS1_3genE2ELNS1_11target_archE906ELNS1_3gpuE6ELNS1_3repE0EEENS1_30default_config_static_selectorELNS0_4arch9wavefront6targetE0EEEvT1_
; %bb.0:
	.section	.rodata,"a",@progbits
	.p2align	6, 0x0
	.amdhsa_kernel _ZN7rocprim17ROCPRIM_400000_NS6detail17trampoline_kernelINS0_14default_configENS1_25partition_config_selectorILNS1_17partition_subalgoE6EiNS0_10empty_typeEbEEZZNS1_14partition_implILS5_6ELb0ES3_mN6thrust23THRUST_200600_302600_NS6detail15normal_iteratorINSA_10device_ptrIiEEEEPS6_SG_NS0_5tupleIJSF_S6_EEENSH_IJSG_SG_EEES6_PlJNSB_9not_fun_tINSB_10functional5actorINSM_9compositeIJNSM_27transparent_binary_operatorINSA_8equal_toIvEEEENSN_INSM_8argumentILj0EEEEENSM_5valueIiEEEEEEEEEEEE10hipError_tPvRmT3_T4_T5_T6_T7_T9_mT8_P12ihipStream_tbDpT10_ENKUlT_T0_E_clISt17integral_constantIbLb0EES1K_EEDaS1F_S1G_EUlS1F_E_NS1_11comp_targetILNS1_3genE2ELNS1_11target_archE906ELNS1_3gpuE6ELNS1_3repE0EEENS1_30default_config_static_selectorELNS0_4arch9wavefront6targetE0EEEvT1_
		.amdhsa_group_segment_fixed_size 0
		.amdhsa_private_segment_fixed_size 0
		.amdhsa_kernarg_size 120
		.amdhsa_user_sgpr_count 2
		.amdhsa_user_sgpr_dispatch_ptr 0
		.amdhsa_user_sgpr_queue_ptr 0
		.amdhsa_user_sgpr_kernarg_segment_ptr 1
		.amdhsa_user_sgpr_dispatch_id 0
		.amdhsa_user_sgpr_private_segment_size 0
		.amdhsa_wavefront_size32 1
		.amdhsa_uses_dynamic_stack 0
		.amdhsa_enable_private_segment 0
		.amdhsa_system_sgpr_workgroup_id_x 1
		.amdhsa_system_sgpr_workgroup_id_y 0
		.amdhsa_system_sgpr_workgroup_id_z 0
		.amdhsa_system_sgpr_workgroup_info 0
		.amdhsa_system_vgpr_workitem_id 0
		.amdhsa_next_free_vgpr 1
		.amdhsa_next_free_sgpr 1
		.amdhsa_reserve_vcc 0
		.amdhsa_float_round_mode_32 0
		.amdhsa_float_round_mode_16_64 0
		.amdhsa_float_denorm_mode_32 3
		.amdhsa_float_denorm_mode_16_64 3
		.amdhsa_fp16_overflow 0
		.amdhsa_workgroup_processor_mode 1
		.amdhsa_memory_ordered 1
		.amdhsa_forward_progress 1
		.amdhsa_inst_pref_size 0
		.amdhsa_round_robin_scheduling 0
		.amdhsa_exception_fp_ieee_invalid_op 0
		.amdhsa_exception_fp_denorm_src 0
		.amdhsa_exception_fp_ieee_div_zero 0
		.amdhsa_exception_fp_ieee_overflow 0
		.amdhsa_exception_fp_ieee_underflow 0
		.amdhsa_exception_fp_ieee_inexact 0
		.amdhsa_exception_int_div_zero 0
	.end_amdhsa_kernel
	.section	.text._ZN7rocprim17ROCPRIM_400000_NS6detail17trampoline_kernelINS0_14default_configENS1_25partition_config_selectorILNS1_17partition_subalgoE6EiNS0_10empty_typeEbEEZZNS1_14partition_implILS5_6ELb0ES3_mN6thrust23THRUST_200600_302600_NS6detail15normal_iteratorINSA_10device_ptrIiEEEEPS6_SG_NS0_5tupleIJSF_S6_EEENSH_IJSG_SG_EEES6_PlJNSB_9not_fun_tINSB_10functional5actorINSM_9compositeIJNSM_27transparent_binary_operatorINSA_8equal_toIvEEEENSN_INSM_8argumentILj0EEEEENSM_5valueIiEEEEEEEEEEEE10hipError_tPvRmT3_T4_T5_T6_T7_T9_mT8_P12ihipStream_tbDpT10_ENKUlT_T0_E_clISt17integral_constantIbLb0EES1K_EEDaS1F_S1G_EUlS1F_E_NS1_11comp_targetILNS1_3genE2ELNS1_11target_archE906ELNS1_3gpuE6ELNS1_3repE0EEENS1_30default_config_static_selectorELNS0_4arch9wavefront6targetE0EEEvT1_,"axG",@progbits,_ZN7rocprim17ROCPRIM_400000_NS6detail17trampoline_kernelINS0_14default_configENS1_25partition_config_selectorILNS1_17partition_subalgoE6EiNS0_10empty_typeEbEEZZNS1_14partition_implILS5_6ELb0ES3_mN6thrust23THRUST_200600_302600_NS6detail15normal_iteratorINSA_10device_ptrIiEEEEPS6_SG_NS0_5tupleIJSF_S6_EEENSH_IJSG_SG_EEES6_PlJNSB_9not_fun_tINSB_10functional5actorINSM_9compositeIJNSM_27transparent_binary_operatorINSA_8equal_toIvEEEENSN_INSM_8argumentILj0EEEEENSM_5valueIiEEEEEEEEEEEE10hipError_tPvRmT3_T4_T5_T6_T7_T9_mT8_P12ihipStream_tbDpT10_ENKUlT_T0_E_clISt17integral_constantIbLb0EES1K_EEDaS1F_S1G_EUlS1F_E_NS1_11comp_targetILNS1_3genE2ELNS1_11target_archE906ELNS1_3gpuE6ELNS1_3repE0EEENS1_30default_config_static_selectorELNS0_4arch9wavefront6targetE0EEEvT1_,comdat
.Lfunc_end215:
	.size	_ZN7rocprim17ROCPRIM_400000_NS6detail17trampoline_kernelINS0_14default_configENS1_25partition_config_selectorILNS1_17partition_subalgoE6EiNS0_10empty_typeEbEEZZNS1_14partition_implILS5_6ELb0ES3_mN6thrust23THRUST_200600_302600_NS6detail15normal_iteratorINSA_10device_ptrIiEEEEPS6_SG_NS0_5tupleIJSF_S6_EEENSH_IJSG_SG_EEES6_PlJNSB_9not_fun_tINSB_10functional5actorINSM_9compositeIJNSM_27transparent_binary_operatorINSA_8equal_toIvEEEENSN_INSM_8argumentILj0EEEEENSM_5valueIiEEEEEEEEEEEE10hipError_tPvRmT3_T4_T5_T6_T7_T9_mT8_P12ihipStream_tbDpT10_ENKUlT_T0_E_clISt17integral_constantIbLb0EES1K_EEDaS1F_S1G_EUlS1F_E_NS1_11comp_targetILNS1_3genE2ELNS1_11target_archE906ELNS1_3gpuE6ELNS1_3repE0EEENS1_30default_config_static_selectorELNS0_4arch9wavefront6targetE0EEEvT1_, .Lfunc_end215-_ZN7rocprim17ROCPRIM_400000_NS6detail17trampoline_kernelINS0_14default_configENS1_25partition_config_selectorILNS1_17partition_subalgoE6EiNS0_10empty_typeEbEEZZNS1_14partition_implILS5_6ELb0ES3_mN6thrust23THRUST_200600_302600_NS6detail15normal_iteratorINSA_10device_ptrIiEEEEPS6_SG_NS0_5tupleIJSF_S6_EEENSH_IJSG_SG_EEES6_PlJNSB_9not_fun_tINSB_10functional5actorINSM_9compositeIJNSM_27transparent_binary_operatorINSA_8equal_toIvEEEENSN_INSM_8argumentILj0EEEEENSM_5valueIiEEEEEEEEEEEE10hipError_tPvRmT3_T4_T5_T6_T7_T9_mT8_P12ihipStream_tbDpT10_ENKUlT_T0_E_clISt17integral_constantIbLb0EES1K_EEDaS1F_S1G_EUlS1F_E_NS1_11comp_targetILNS1_3genE2ELNS1_11target_archE906ELNS1_3gpuE6ELNS1_3repE0EEENS1_30default_config_static_selectorELNS0_4arch9wavefront6targetE0EEEvT1_
                                        ; -- End function
	.set _ZN7rocprim17ROCPRIM_400000_NS6detail17trampoline_kernelINS0_14default_configENS1_25partition_config_selectorILNS1_17partition_subalgoE6EiNS0_10empty_typeEbEEZZNS1_14partition_implILS5_6ELb0ES3_mN6thrust23THRUST_200600_302600_NS6detail15normal_iteratorINSA_10device_ptrIiEEEEPS6_SG_NS0_5tupleIJSF_S6_EEENSH_IJSG_SG_EEES6_PlJNSB_9not_fun_tINSB_10functional5actorINSM_9compositeIJNSM_27transparent_binary_operatorINSA_8equal_toIvEEEENSN_INSM_8argumentILj0EEEEENSM_5valueIiEEEEEEEEEEEE10hipError_tPvRmT3_T4_T5_T6_T7_T9_mT8_P12ihipStream_tbDpT10_ENKUlT_T0_E_clISt17integral_constantIbLb0EES1K_EEDaS1F_S1G_EUlS1F_E_NS1_11comp_targetILNS1_3genE2ELNS1_11target_archE906ELNS1_3gpuE6ELNS1_3repE0EEENS1_30default_config_static_selectorELNS0_4arch9wavefront6targetE0EEEvT1_.num_vgpr, 0
	.set _ZN7rocprim17ROCPRIM_400000_NS6detail17trampoline_kernelINS0_14default_configENS1_25partition_config_selectorILNS1_17partition_subalgoE6EiNS0_10empty_typeEbEEZZNS1_14partition_implILS5_6ELb0ES3_mN6thrust23THRUST_200600_302600_NS6detail15normal_iteratorINSA_10device_ptrIiEEEEPS6_SG_NS0_5tupleIJSF_S6_EEENSH_IJSG_SG_EEES6_PlJNSB_9not_fun_tINSB_10functional5actorINSM_9compositeIJNSM_27transparent_binary_operatorINSA_8equal_toIvEEEENSN_INSM_8argumentILj0EEEEENSM_5valueIiEEEEEEEEEEEE10hipError_tPvRmT3_T4_T5_T6_T7_T9_mT8_P12ihipStream_tbDpT10_ENKUlT_T0_E_clISt17integral_constantIbLb0EES1K_EEDaS1F_S1G_EUlS1F_E_NS1_11comp_targetILNS1_3genE2ELNS1_11target_archE906ELNS1_3gpuE6ELNS1_3repE0EEENS1_30default_config_static_selectorELNS0_4arch9wavefront6targetE0EEEvT1_.num_agpr, 0
	.set _ZN7rocprim17ROCPRIM_400000_NS6detail17trampoline_kernelINS0_14default_configENS1_25partition_config_selectorILNS1_17partition_subalgoE6EiNS0_10empty_typeEbEEZZNS1_14partition_implILS5_6ELb0ES3_mN6thrust23THRUST_200600_302600_NS6detail15normal_iteratorINSA_10device_ptrIiEEEEPS6_SG_NS0_5tupleIJSF_S6_EEENSH_IJSG_SG_EEES6_PlJNSB_9not_fun_tINSB_10functional5actorINSM_9compositeIJNSM_27transparent_binary_operatorINSA_8equal_toIvEEEENSN_INSM_8argumentILj0EEEEENSM_5valueIiEEEEEEEEEEEE10hipError_tPvRmT3_T4_T5_T6_T7_T9_mT8_P12ihipStream_tbDpT10_ENKUlT_T0_E_clISt17integral_constantIbLb0EES1K_EEDaS1F_S1G_EUlS1F_E_NS1_11comp_targetILNS1_3genE2ELNS1_11target_archE906ELNS1_3gpuE6ELNS1_3repE0EEENS1_30default_config_static_selectorELNS0_4arch9wavefront6targetE0EEEvT1_.numbered_sgpr, 0
	.set _ZN7rocprim17ROCPRIM_400000_NS6detail17trampoline_kernelINS0_14default_configENS1_25partition_config_selectorILNS1_17partition_subalgoE6EiNS0_10empty_typeEbEEZZNS1_14partition_implILS5_6ELb0ES3_mN6thrust23THRUST_200600_302600_NS6detail15normal_iteratorINSA_10device_ptrIiEEEEPS6_SG_NS0_5tupleIJSF_S6_EEENSH_IJSG_SG_EEES6_PlJNSB_9not_fun_tINSB_10functional5actorINSM_9compositeIJNSM_27transparent_binary_operatorINSA_8equal_toIvEEEENSN_INSM_8argumentILj0EEEEENSM_5valueIiEEEEEEEEEEEE10hipError_tPvRmT3_T4_T5_T6_T7_T9_mT8_P12ihipStream_tbDpT10_ENKUlT_T0_E_clISt17integral_constantIbLb0EES1K_EEDaS1F_S1G_EUlS1F_E_NS1_11comp_targetILNS1_3genE2ELNS1_11target_archE906ELNS1_3gpuE6ELNS1_3repE0EEENS1_30default_config_static_selectorELNS0_4arch9wavefront6targetE0EEEvT1_.num_named_barrier, 0
	.set _ZN7rocprim17ROCPRIM_400000_NS6detail17trampoline_kernelINS0_14default_configENS1_25partition_config_selectorILNS1_17partition_subalgoE6EiNS0_10empty_typeEbEEZZNS1_14partition_implILS5_6ELb0ES3_mN6thrust23THRUST_200600_302600_NS6detail15normal_iteratorINSA_10device_ptrIiEEEEPS6_SG_NS0_5tupleIJSF_S6_EEENSH_IJSG_SG_EEES6_PlJNSB_9not_fun_tINSB_10functional5actorINSM_9compositeIJNSM_27transparent_binary_operatorINSA_8equal_toIvEEEENSN_INSM_8argumentILj0EEEEENSM_5valueIiEEEEEEEEEEEE10hipError_tPvRmT3_T4_T5_T6_T7_T9_mT8_P12ihipStream_tbDpT10_ENKUlT_T0_E_clISt17integral_constantIbLb0EES1K_EEDaS1F_S1G_EUlS1F_E_NS1_11comp_targetILNS1_3genE2ELNS1_11target_archE906ELNS1_3gpuE6ELNS1_3repE0EEENS1_30default_config_static_selectorELNS0_4arch9wavefront6targetE0EEEvT1_.private_seg_size, 0
	.set _ZN7rocprim17ROCPRIM_400000_NS6detail17trampoline_kernelINS0_14default_configENS1_25partition_config_selectorILNS1_17partition_subalgoE6EiNS0_10empty_typeEbEEZZNS1_14partition_implILS5_6ELb0ES3_mN6thrust23THRUST_200600_302600_NS6detail15normal_iteratorINSA_10device_ptrIiEEEEPS6_SG_NS0_5tupleIJSF_S6_EEENSH_IJSG_SG_EEES6_PlJNSB_9not_fun_tINSB_10functional5actorINSM_9compositeIJNSM_27transparent_binary_operatorINSA_8equal_toIvEEEENSN_INSM_8argumentILj0EEEEENSM_5valueIiEEEEEEEEEEEE10hipError_tPvRmT3_T4_T5_T6_T7_T9_mT8_P12ihipStream_tbDpT10_ENKUlT_T0_E_clISt17integral_constantIbLb0EES1K_EEDaS1F_S1G_EUlS1F_E_NS1_11comp_targetILNS1_3genE2ELNS1_11target_archE906ELNS1_3gpuE6ELNS1_3repE0EEENS1_30default_config_static_selectorELNS0_4arch9wavefront6targetE0EEEvT1_.uses_vcc, 0
	.set _ZN7rocprim17ROCPRIM_400000_NS6detail17trampoline_kernelINS0_14default_configENS1_25partition_config_selectorILNS1_17partition_subalgoE6EiNS0_10empty_typeEbEEZZNS1_14partition_implILS5_6ELb0ES3_mN6thrust23THRUST_200600_302600_NS6detail15normal_iteratorINSA_10device_ptrIiEEEEPS6_SG_NS0_5tupleIJSF_S6_EEENSH_IJSG_SG_EEES6_PlJNSB_9not_fun_tINSB_10functional5actorINSM_9compositeIJNSM_27transparent_binary_operatorINSA_8equal_toIvEEEENSN_INSM_8argumentILj0EEEEENSM_5valueIiEEEEEEEEEEEE10hipError_tPvRmT3_T4_T5_T6_T7_T9_mT8_P12ihipStream_tbDpT10_ENKUlT_T0_E_clISt17integral_constantIbLb0EES1K_EEDaS1F_S1G_EUlS1F_E_NS1_11comp_targetILNS1_3genE2ELNS1_11target_archE906ELNS1_3gpuE6ELNS1_3repE0EEENS1_30default_config_static_selectorELNS0_4arch9wavefront6targetE0EEEvT1_.uses_flat_scratch, 0
	.set _ZN7rocprim17ROCPRIM_400000_NS6detail17trampoline_kernelINS0_14default_configENS1_25partition_config_selectorILNS1_17partition_subalgoE6EiNS0_10empty_typeEbEEZZNS1_14partition_implILS5_6ELb0ES3_mN6thrust23THRUST_200600_302600_NS6detail15normal_iteratorINSA_10device_ptrIiEEEEPS6_SG_NS0_5tupleIJSF_S6_EEENSH_IJSG_SG_EEES6_PlJNSB_9not_fun_tINSB_10functional5actorINSM_9compositeIJNSM_27transparent_binary_operatorINSA_8equal_toIvEEEENSN_INSM_8argumentILj0EEEEENSM_5valueIiEEEEEEEEEEEE10hipError_tPvRmT3_T4_T5_T6_T7_T9_mT8_P12ihipStream_tbDpT10_ENKUlT_T0_E_clISt17integral_constantIbLb0EES1K_EEDaS1F_S1G_EUlS1F_E_NS1_11comp_targetILNS1_3genE2ELNS1_11target_archE906ELNS1_3gpuE6ELNS1_3repE0EEENS1_30default_config_static_selectorELNS0_4arch9wavefront6targetE0EEEvT1_.has_dyn_sized_stack, 0
	.set _ZN7rocprim17ROCPRIM_400000_NS6detail17trampoline_kernelINS0_14default_configENS1_25partition_config_selectorILNS1_17partition_subalgoE6EiNS0_10empty_typeEbEEZZNS1_14partition_implILS5_6ELb0ES3_mN6thrust23THRUST_200600_302600_NS6detail15normal_iteratorINSA_10device_ptrIiEEEEPS6_SG_NS0_5tupleIJSF_S6_EEENSH_IJSG_SG_EEES6_PlJNSB_9not_fun_tINSB_10functional5actorINSM_9compositeIJNSM_27transparent_binary_operatorINSA_8equal_toIvEEEENSN_INSM_8argumentILj0EEEEENSM_5valueIiEEEEEEEEEEEE10hipError_tPvRmT3_T4_T5_T6_T7_T9_mT8_P12ihipStream_tbDpT10_ENKUlT_T0_E_clISt17integral_constantIbLb0EES1K_EEDaS1F_S1G_EUlS1F_E_NS1_11comp_targetILNS1_3genE2ELNS1_11target_archE906ELNS1_3gpuE6ELNS1_3repE0EEENS1_30default_config_static_selectorELNS0_4arch9wavefront6targetE0EEEvT1_.has_recursion, 0
	.set _ZN7rocprim17ROCPRIM_400000_NS6detail17trampoline_kernelINS0_14default_configENS1_25partition_config_selectorILNS1_17partition_subalgoE6EiNS0_10empty_typeEbEEZZNS1_14partition_implILS5_6ELb0ES3_mN6thrust23THRUST_200600_302600_NS6detail15normal_iteratorINSA_10device_ptrIiEEEEPS6_SG_NS0_5tupleIJSF_S6_EEENSH_IJSG_SG_EEES6_PlJNSB_9not_fun_tINSB_10functional5actorINSM_9compositeIJNSM_27transparent_binary_operatorINSA_8equal_toIvEEEENSN_INSM_8argumentILj0EEEEENSM_5valueIiEEEEEEEEEEEE10hipError_tPvRmT3_T4_T5_T6_T7_T9_mT8_P12ihipStream_tbDpT10_ENKUlT_T0_E_clISt17integral_constantIbLb0EES1K_EEDaS1F_S1G_EUlS1F_E_NS1_11comp_targetILNS1_3genE2ELNS1_11target_archE906ELNS1_3gpuE6ELNS1_3repE0EEENS1_30default_config_static_selectorELNS0_4arch9wavefront6targetE0EEEvT1_.has_indirect_call, 0
	.section	.AMDGPU.csdata,"",@progbits
; Kernel info:
; codeLenInByte = 0
; TotalNumSgprs: 0
; NumVgprs: 0
; ScratchSize: 0
; MemoryBound: 0
; FloatMode: 240
; IeeeMode: 1
; LDSByteSize: 0 bytes/workgroup (compile time only)
; SGPRBlocks: 0
; VGPRBlocks: 0
; NumSGPRsForWavesPerEU: 1
; NumVGPRsForWavesPerEU: 1
; Occupancy: 16
; WaveLimiterHint : 0
; COMPUTE_PGM_RSRC2:SCRATCH_EN: 0
; COMPUTE_PGM_RSRC2:USER_SGPR: 2
; COMPUTE_PGM_RSRC2:TRAP_HANDLER: 0
; COMPUTE_PGM_RSRC2:TGID_X_EN: 1
; COMPUTE_PGM_RSRC2:TGID_Y_EN: 0
; COMPUTE_PGM_RSRC2:TGID_Z_EN: 0
; COMPUTE_PGM_RSRC2:TIDIG_COMP_CNT: 0
	.section	.text._ZN7rocprim17ROCPRIM_400000_NS6detail17trampoline_kernelINS0_14default_configENS1_25partition_config_selectorILNS1_17partition_subalgoE6EiNS0_10empty_typeEbEEZZNS1_14partition_implILS5_6ELb0ES3_mN6thrust23THRUST_200600_302600_NS6detail15normal_iteratorINSA_10device_ptrIiEEEEPS6_SG_NS0_5tupleIJSF_S6_EEENSH_IJSG_SG_EEES6_PlJNSB_9not_fun_tINSB_10functional5actorINSM_9compositeIJNSM_27transparent_binary_operatorINSA_8equal_toIvEEEENSN_INSM_8argumentILj0EEEEENSM_5valueIiEEEEEEEEEEEE10hipError_tPvRmT3_T4_T5_T6_T7_T9_mT8_P12ihipStream_tbDpT10_ENKUlT_T0_E_clISt17integral_constantIbLb0EES1K_EEDaS1F_S1G_EUlS1F_E_NS1_11comp_targetILNS1_3genE10ELNS1_11target_archE1200ELNS1_3gpuE4ELNS1_3repE0EEENS1_30default_config_static_selectorELNS0_4arch9wavefront6targetE0EEEvT1_,"axG",@progbits,_ZN7rocprim17ROCPRIM_400000_NS6detail17trampoline_kernelINS0_14default_configENS1_25partition_config_selectorILNS1_17partition_subalgoE6EiNS0_10empty_typeEbEEZZNS1_14partition_implILS5_6ELb0ES3_mN6thrust23THRUST_200600_302600_NS6detail15normal_iteratorINSA_10device_ptrIiEEEEPS6_SG_NS0_5tupleIJSF_S6_EEENSH_IJSG_SG_EEES6_PlJNSB_9not_fun_tINSB_10functional5actorINSM_9compositeIJNSM_27transparent_binary_operatorINSA_8equal_toIvEEEENSN_INSM_8argumentILj0EEEEENSM_5valueIiEEEEEEEEEEEE10hipError_tPvRmT3_T4_T5_T6_T7_T9_mT8_P12ihipStream_tbDpT10_ENKUlT_T0_E_clISt17integral_constantIbLb0EES1K_EEDaS1F_S1G_EUlS1F_E_NS1_11comp_targetILNS1_3genE10ELNS1_11target_archE1200ELNS1_3gpuE4ELNS1_3repE0EEENS1_30default_config_static_selectorELNS0_4arch9wavefront6targetE0EEEvT1_,comdat
	.protected	_ZN7rocprim17ROCPRIM_400000_NS6detail17trampoline_kernelINS0_14default_configENS1_25partition_config_selectorILNS1_17partition_subalgoE6EiNS0_10empty_typeEbEEZZNS1_14partition_implILS5_6ELb0ES3_mN6thrust23THRUST_200600_302600_NS6detail15normal_iteratorINSA_10device_ptrIiEEEEPS6_SG_NS0_5tupleIJSF_S6_EEENSH_IJSG_SG_EEES6_PlJNSB_9not_fun_tINSB_10functional5actorINSM_9compositeIJNSM_27transparent_binary_operatorINSA_8equal_toIvEEEENSN_INSM_8argumentILj0EEEEENSM_5valueIiEEEEEEEEEEEE10hipError_tPvRmT3_T4_T5_T6_T7_T9_mT8_P12ihipStream_tbDpT10_ENKUlT_T0_E_clISt17integral_constantIbLb0EES1K_EEDaS1F_S1G_EUlS1F_E_NS1_11comp_targetILNS1_3genE10ELNS1_11target_archE1200ELNS1_3gpuE4ELNS1_3repE0EEENS1_30default_config_static_selectorELNS0_4arch9wavefront6targetE0EEEvT1_ ; -- Begin function _ZN7rocprim17ROCPRIM_400000_NS6detail17trampoline_kernelINS0_14default_configENS1_25partition_config_selectorILNS1_17partition_subalgoE6EiNS0_10empty_typeEbEEZZNS1_14partition_implILS5_6ELb0ES3_mN6thrust23THRUST_200600_302600_NS6detail15normal_iteratorINSA_10device_ptrIiEEEEPS6_SG_NS0_5tupleIJSF_S6_EEENSH_IJSG_SG_EEES6_PlJNSB_9not_fun_tINSB_10functional5actorINSM_9compositeIJNSM_27transparent_binary_operatorINSA_8equal_toIvEEEENSN_INSM_8argumentILj0EEEEENSM_5valueIiEEEEEEEEEEEE10hipError_tPvRmT3_T4_T5_T6_T7_T9_mT8_P12ihipStream_tbDpT10_ENKUlT_T0_E_clISt17integral_constantIbLb0EES1K_EEDaS1F_S1G_EUlS1F_E_NS1_11comp_targetILNS1_3genE10ELNS1_11target_archE1200ELNS1_3gpuE4ELNS1_3repE0EEENS1_30default_config_static_selectorELNS0_4arch9wavefront6targetE0EEEvT1_
	.globl	_ZN7rocprim17ROCPRIM_400000_NS6detail17trampoline_kernelINS0_14default_configENS1_25partition_config_selectorILNS1_17partition_subalgoE6EiNS0_10empty_typeEbEEZZNS1_14partition_implILS5_6ELb0ES3_mN6thrust23THRUST_200600_302600_NS6detail15normal_iteratorINSA_10device_ptrIiEEEEPS6_SG_NS0_5tupleIJSF_S6_EEENSH_IJSG_SG_EEES6_PlJNSB_9not_fun_tINSB_10functional5actorINSM_9compositeIJNSM_27transparent_binary_operatorINSA_8equal_toIvEEEENSN_INSM_8argumentILj0EEEEENSM_5valueIiEEEEEEEEEEEE10hipError_tPvRmT3_T4_T5_T6_T7_T9_mT8_P12ihipStream_tbDpT10_ENKUlT_T0_E_clISt17integral_constantIbLb0EES1K_EEDaS1F_S1G_EUlS1F_E_NS1_11comp_targetILNS1_3genE10ELNS1_11target_archE1200ELNS1_3gpuE4ELNS1_3repE0EEENS1_30default_config_static_selectorELNS0_4arch9wavefront6targetE0EEEvT1_
	.p2align	8
	.type	_ZN7rocprim17ROCPRIM_400000_NS6detail17trampoline_kernelINS0_14default_configENS1_25partition_config_selectorILNS1_17partition_subalgoE6EiNS0_10empty_typeEbEEZZNS1_14partition_implILS5_6ELb0ES3_mN6thrust23THRUST_200600_302600_NS6detail15normal_iteratorINSA_10device_ptrIiEEEEPS6_SG_NS0_5tupleIJSF_S6_EEENSH_IJSG_SG_EEES6_PlJNSB_9not_fun_tINSB_10functional5actorINSM_9compositeIJNSM_27transparent_binary_operatorINSA_8equal_toIvEEEENSN_INSM_8argumentILj0EEEEENSM_5valueIiEEEEEEEEEEEE10hipError_tPvRmT3_T4_T5_T6_T7_T9_mT8_P12ihipStream_tbDpT10_ENKUlT_T0_E_clISt17integral_constantIbLb0EES1K_EEDaS1F_S1G_EUlS1F_E_NS1_11comp_targetILNS1_3genE10ELNS1_11target_archE1200ELNS1_3gpuE4ELNS1_3repE0EEENS1_30default_config_static_selectorELNS0_4arch9wavefront6targetE0EEEvT1_,@function
_ZN7rocprim17ROCPRIM_400000_NS6detail17trampoline_kernelINS0_14default_configENS1_25partition_config_selectorILNS1_17partition_subalgoE6EiNS0_10empty_typeEbEEZZNS1_14partition_implILS5_6ELb0ES3_mN6thrust23THRUST_200600_302600_NS6detail15normal_iteratorINSA_10device_ptrIiEEEEPS6_SG_NS0_5tupleIJSF_S6_EEENSH_IJSG_SG_EEES6_PlJNSB_9not_fun_tINSB_10functional5actorINSM_9compositeIJNSM_27transparent_binary_operatorINSA_8equal_toIvEEEENSN_INSM_8argumentILj0EEEEENSM_5valueIiEEEEEEEEEEEE10hipError_tPvRmT3_T4_T5_T6_T7_T9_mT8_P12ihipStream_tbDpT10_ENKUlT_T0_E_clISt17integral_constantIbLb0EES1K_EEDaS1F_S1G_EUlS1F_E_NS1_11comp_targetILNS1_3genE10ELNS1_11target_archE1200ELNS1_3gpuE4ELNS1_3repE0EEENS1_30default_config_static_selectorELNS0_4arch9wavefront6targetE0EEEvT1_: ; @_ZN7rocprim17ROCPRIM_400000_NS6detail17trampoline_kernelINS0_14default_configENS1_25partition_config_selectorILNS1_17partition_subalgoE6EiNS0_10empty_typeEbEEZZNS1_14partition_implILS5_6ELb0ES3_mN6thrust23THRUST_200600_302600_NS6detail15normal_iteratorINSA_10device_ptrIiEEEEPS6_SG_NS0_5tupleIJSF_S6_EEENSH_IJSG_SG_EEES6_PlJNSB_9not_fun_tINSB_10functional5actorINSM_9compositeIJNSM_27transparent_binary_operatorINSA_8equal_toIvEEEENSN_INSM_8argumentILj0EEEEENSM_5valueIiEEEEEEEEEEEE10hipError_tPvRmT3_T4_T5_T6_T7_T9_mT8_P12ihipStream_tbDpT10_ENKUlT_T0_E_clISt17integral_constantIbLb0EES1K_EEDaS1F_S1G_EUlS1F_E_NS1_11comp_targetILNS1_3genE10ELNS1_11target_archE1200ELNS1_3gpuE4ELNS1_3repE0EEENS1_30default_config_static_selectorELNS0_4arch9wavefront6targetE0EEEvT1_
; %bb.0:
	s_clause 0x3
	s_load_b128 s[4:7], s[0:1], 0x8
	s_load_b128 s[8:11], s[0:1], 0x40
	s_load_b32 s12, s[0:1], 0x68
	s_load_b64 s[2:3], s[0:1], 0x50
	s_mov_b32 s13, 0
	v_lshlrev_b32_e32 v8, 2, v0
	s_wait_kmcnt 0x0
	s_lshl_b64 s[14:15], s[6:7], 2
	s_load_b64 s[10:11], s[10:11], 0x0
	s_add_co_i32 s17, s12, -1
	s_mulk_i32 s12, 0xa80
	s_add_nc_u64 s[14:15], s[4:5], s[14:15]
	s_add_nc_u64 s[4:5], s[6:7], s[12:13]
	s_add_co_i32 s6, s12, s6
	v_cmp_le_u64_e64 s3, s[2:3], s[4:5]
	s_sub_co_i32 s16, s2, s6
	s_cmp_eq_u32 ttmp9, s17
	s_mul_i32 s2, ttmp9, 0xa80
	s_cselect_b32 s12, -1, 0
	s_mov_b32 s4, -1
	s_and_b32 s5, s12, s3
	s_mov_b32 s3, s13
	s_wait_alu 0xfffe
	s_xor_b32 s13, s5, -1
	s_lshl_b64 s[2:3], s[2:3], 2
	s_and_b32 vcc_lo, exec_lo, s13
	s_wait_alu 0xfffe
	s_add_nc_u64 s[2:3], s[14:15], s[2:3]
	s_cbranch_vccz .LBB216_2
; %bb.1:
	s_wait_alu 0xfffe
	v_add_co_u32 v1, s4, s2, v8
	s_wait_alu 0xf1ff
	v_add_co_ci_u32_e64 v2, null, s3, 0, s4
	s_mov_b32 s4, 0
	s_clause 0x6
	flat_load_b32 v3, v[1:2]
	flat_load_b32 v4, v[1:2] offset:1536
	flat_load_b32 v5, v[1:2] offset:3072
	;; [unrolled: 1-line block ×6, first 2 shown]
	s_wait_loadcnt_dscnt 0x505
	ds_store_2addr_stride64_b32 v8, v3, v4 offset1:6
	s_wait_loadcnt_dscnt 0x304
	ds_store_2addr_stride64_b32 v8, v5, v6 offset0:12 offset1:18
	s_wait_loadcnt_dscnt 0x103
	ds_store_2addr_stride64_b32 v8, v7, v9 offset0:24 offset1:30
	s_wait_loadcnt_dscnt 0x3
	ds_store_b32 v8, v1 offset:9216
	s_wait_dscnt 0x0
	s_barrier_signal -1
	s_barrier_wait -1
.LBB216_2:
	s_load_b32 s15, s[0:1], 0x74
	s_and_not1_b32 vcc_lo, exec_lo, s4
	s_addk_co_i32 s16, 0xa80
	s_cbranch_vccnz .LBB216_18
; %bb.3:
	v_mov_b32_e32 v1, 0
	s_mov_b32 s4, exec_lo
	s_delay_alu instid0(VALU_DEP_1)
	v_dual_mov_b32 v2, v1 :: v_dual_mov_b32 v3, v1
	v_dual_mov_b32 v4, v1 :: v_dual_mov_b32 v5, v1
	;; [unrolled: 1-line block ×3, first 2 shown]
	v_cmpx_gt_u32_e64 s16, v0
	s_cbranch_execz .LBB216_5
; %bb.4:
	v_add_co_u32 v2, s5, s2, v8
	s_wait_alu 0xf1ff
	v_add_co_ci_u32_e64 v3, null, s3, 0, s5
	v_dual_mov_b32 v10, v1 :: v_dual_mov_b32 v11, v1
	v_dual_mov_b32 v12, v1 :: v_dual_mov_b32 v13, v1
	flat_load_b32 v9, v[2:3]
	v_dual_mov_b32 v14, v1 :: v_dual_mov_b32 v15, v1
	s_wait_loadcnt_dscnt 0x0
	v_dual_mov_b32 v1, v9 :: v_dual_mov_b32 v2, v10
	v_dual_mov_b32 v3, v11 :: v_dual_mov_b32 v4, v12
	s_delay_alu instid0(VALU_DEP_3)
	v_dual_mov_b32 v5, v13 :: v_dual_mov_b32 v6, v14
	v_mov_b32_e32 v7, v15
.LBB216_5:
	s_wait_alu 0xfffe
	s_or_b32 exec_lo, exec_lo, s4
	v_add_nc_u32_e32 v9, 0x180, v0
	s_mov_b32 s4, exec_lo
	s_delay_alu instid0(VALU_DEP_1)
	v_cmpx_gt_u32_e64 s16, v9
	s_cbranch_execz .LBB216_7
; %bb.6:
	v_add_co_u32 v9, s5, s2, v8
	s_wait_alu 0xf1ff
	v_add_co_ci_u32_e64 v10, null, s3, 0, s5
	flat_load_b32 v2, v[9:10] offset:1536
.LBB216_7:
	s_wait_alu 0xfffe
	s_or_b32 exec_lo, exec_lo, s4
	v_add_nc_u32_e32 v9, 0x300, v0
	s_mov_b32 s4, exec_lo
	s_delay_alu instid0(VALU_DEP_1)
	v_cmpx_gt_u32_e64 s16, v9
	s_cbranch_execz .LBB216_9
; %bb.8:
	v_add_co_u32 v9, s5, s2, v8
	s_wait_alu 0xf1ff
	v_add_co_ci_u32_e64 v10, null, s3, 0, s5
	flat_load_b32 v3, v[9:10] offset:3072
.LBB216_9:
	;; [unrolled: 13-line block ×3, first 2 shown]
	s_wait_alu 0xfffe
	s_or_b32 exec_lo, exec_lo, s4
	v_or_b32_e32 v9, 0x600, v0
	s_mov_b32 s4, exec_lo
	s_delay_alu instid0(VALU_DEP_1)
	v_cmpx_gt_u32_e64 s16, v9
	s_cbranch_execz .LBB216_13
; %bb.12:
	v_add_co_u32 v9, s5, s2, v8
	s_wait_alu 0xf1ff
	v_add_co_ci_u32_e64 v10, null, s3, 0, s5
	flat_load_b32 v5, v[9:10] offset:6144
.LBB216_13:
	s_wait_alu 0xfffe
	s_or_b32 exec_lo, exec_lo, s4
	v_add_nc_u32_e32 v9, 0x780, v0
	s_mov_b32 s4, exec_lo
	s_delay_alu instid0(VALU_DEP_1)
	v_cmpx_gt_u32_e64 s16, v9
	s_cbranch_execz .LBB216_15
; %bb.14:
	v_add_co_u32 v9, s5, s2, v8
	s_wait_alu 0xf1ff
	v_add_co_ci_u32_e64 v10, null, s3, 0, s5
	flat_load_b32 v6, v[9:10] offset:7680
.LBB216_15:
	s_wait_alu 0xfffe
	s_or_b32 exec_lo, exec_lo, s4
	v_add_nc_u32_e32 v9, 0x900, v0
	s_mov_b32 s4, exec_lo
	s_delay_alu instid0(VALU_DEP_1)
	v_cmpx_gt_u32_e64 s16, v9
	s_cbranch_execz .LBB216_17
; %bb.16:
	v_add_co_u32 v9, s2, s2, v8
	s_wait_alu 0xf1ff
	v_add_co_ci_u32_e64 v10, null, s3, 0, s2
	flat_load_b32 v7, v[9:10] offset:9216
.LBB216_17:
	s_wait_alu 0xfffe
	s_or_b32 exec_lo, exec_lo, s4
	s_wait_loadcnt_dscnt 0x0
	ds_store_2addr_stride64_b32 v8, v1, v2 offset1:6
	ds_store_2addr_stride64_b32 v8, v3, v4 offset0:12 offset1:18
	ds_store_2addr_stride64_b32 v8, v5, v6 offset0:24 offset1:30
	ds_store_b32 v8, v7 offset:9216
	s_wait_dscnt 0x0
	s_barrier_signal -1
	s_barrier_wait -1
.LBB216_18:
	v_mul_u32_u24_e32 v1, 7, v0
	global_inv scope:SCOPE_SE
	s_and_not1_b32 vcc_lo, exec_lo, s13
	v_lshlrev_b32_e32 v34, 2, v1
	ds_load_2addr_b32 v[9:10], v34 offset0:4 offset1:5
	ds_load_b32 v29, v34 offset:24
	ds_load_2addr_b32 v[13:14], v34 offset1:1
	ds_load_2addr_b32 v[11:12], v34 offset0:2 offset1:3
	s_wait_loadcnt_dscnt 0x0
	s_barrier_signal -1
	s_barrier_wait -1
	global_inv scope:SCOPE_SE
	s_wait_kmcnt 0x0
	v_cmp_ne_u32_e64 s2, s15, v9
	v_cmp_ne_u32_e64 s14, s15, v29
	;; [unrolled: 1-line block ×7, first 2 shown]
	s_cbranch_vccnz .LBB216_20
; %bb.19:
	v_cndmask_b32_e64 v2, 0, 1, s6
	v_cndmask_b32_e64 v3, 0, 1, s7
	s_wait_alu 0xf1ff
	v_cndmask_b32_e64 v4, 0, 1, s4
	v_cndmask_b32_e64 v5, 0, 1, s5
	;; [unrolled: 1-line block ×3, first 2 shown]
	v_lshlrev_b16 v2, 8, v2
	v_lshlrev_b16 v3, 8, v3
	v_cndmask_b32_e64 v30, 0, 1, s3
	s_delay_alu instid0(VALU_DEP_3) | instskip(NEXT) | instid1(VALU_DEP_3)
	v_or_b32_e32 v2, v4, v2
	v_or_b32_e32 v3, v5, v3
	s_delay_alu instid0(VALU_DEP_2) | instskip(NEXT) | instid1(VALU_DEP_2)
	v_and_b32_e32 v2, 0xffff, v2
	v_lshlrev_b32_e32 v3, 16, v3
	s_delay_alu instid0(VALU_DEP_1)
	v_or_b32_e32 v33, v2, v3
	s_cbranch_execz .LBB216_21
	s_branch .LBB216_22
.LBB216_20:
                                        ; implicit-def: $sgpr14
                                        ; implicit-def: $vgpr30
                                        ; implicit-def: $vgpr31
                                        ; implicit-def: $vgpr33
.LBB216_21:
	v_add_nc_u32_e32 v2, 1, v1
	v_cmp_ne_u32_e32 vcc_lo, s15, v14
	v_add_nc_u32_e32 v3, 3, v1
	v_cmp_ne_u32_e64 s2, s15, v13
	v_cmp_ne_u32_e64 s4, s15, v12
	v_cmp_gt_u32_e64 s3, s16, v2
	v_add_nc_u32_e32 v2, 2, v1
	v_cmp_gt_u32_e64 s6, s16, v3
	v_cmp_ne_u32_e64 s5, s15, v11
	v_add_nc_u32_e32 v5, 5, v1
	s_and_b32 s3, s3, vcc_lo
	v_cmp_gt_u32_e32 vcc_lo, s16, v1
	s_wait_alu 0xfffe
	v_cndmask_b32_e64 v3, 0, 1, s3
	v_cmp_gt_u32_e64 s3, s16, v2
	s_and_b32 s4, s6, s4
	s_and_b32 s2, vcc_lo, s2
	v_lshlrev_b16 v3, 8, v3
	s_wait_alu 0xfffe
	v_cndmask_b32_e64 v4, 0, 1, s2
	v_cndmask_b32_e64 v2, 0, 1, s4
	s_and_b32 s2, s3, s5
	v_cmp_ne_u32_e32 vcc_lo, s15, v10
	s_wait_alu 0xfffe
	v_cndmask_b32_e64 v6, 0, 1, s2
	v_cmp_gt_u32_e64 s2, s16, v5
	v_or_b32_e32 v3, v4, v3
	v_add_nc_u32_e32 v4, 4, v1
	v_lshlrev_b16 v2, 8, v2
	v_cmp_ne_u32_e64 s3, s15, v9
	s_and_b32 s2, s2, vcc_lo
	v_add_nc_u32_e32 v1, 6, v1
	v_cmp_gt_u32_e32 vcc_lo, s16, v4
	v_or_b32_e32 v2, v6, v2
	s_wait_alu 0xfffe
	v_cndmask_b32_e64 v30, 0, 1, s2
	v_and_b32_e32 v3, 0xffff, v3
	s_and_b32 s2, vcc_lo, s3
	v_cmp_gt_u32_e32 vcc_lo, s16, v1
	s_wait_alu 0xfffe
	v_cndmask_b32_e64 v5, 0, 1, s2
	v_cmp_ne_u32_e64 s2, s15, v29
	v_lshlrev_b32_e32 v2, 16, v2
	v_lshlrev_b16 v4, 8, v30
	s_and_not1_b32 s3, s14, exec_lo
	s_and_b32 s2, vcc_lo, s2
	s_delay_alu instid0(VALU_DEP_2) | instskip(NEXT) | instid1(VALU_DEP_2)
	v_or_b32_e32 v33, v3, v2
	v_or_b32_e32 v31, v5, v4
	s_wait_alu 0xfffe
	s_and_b32 s2, s2, exec_lo
	s_wait_alu 0xfffe
	s_or_b32 s14, s3, s2
.LBB216_22:
	s_delay_alu instid0(VALU_DEP_1)
	v_dual_mov_b32 v2, 0 :: v_dual_and_b32 v37, 0xff, v33
	v_bfe_u32 v36, v33, 8, 8
	s_wait_alu 0xfffe
	v_cndmask_b32_e64 v1, 0, 1, s14
	v_bfe_u32 v39, v33, 16, 8
	v_lshrrev_b32_e32 v32, 24, v33
	s_load_b64 s[6:7], s[0:1], 0x60
	v_and_b32_e32 v38, 0xff, v31
	v_add3_u32 v1, v37, v1, v36
	v_mbcnt_lo_u32_b32 v40, -1, 0
	v_and_b32_e32 v35, 0xff, v30
	s_cmp_lg_u32 ttmp9, 0
	s_mov_b32 s3, -1
	v_add_co_u32 v1, s2, v1, v39
	s_wait_alu 0xf1ff
	v_add_co_ci_u32_e64 v3, null, 0, 0, s2
	v_and_b32_e32 v41, 15, v40
	s_delay_alu instid0(VALU_DEP_3) | instskip(NEXT) | instid1(VALU_DEP_1)
	v_add_co_u32 v1, vcc_lo, v1, v32
	v_add_co_ci_u32_e64 v3, null, 0, v3, vcc_lo
	s_delay_alu instid0(VALU_DEP_3) | instskip(NEXT) | instid1(VALU_DEP_3)
	v_cmp_ne_u32_e64 s2, 0, v41
	v_add_co_u32 v1, vcc_lo, v1, v38
	s_wait_alu 0xfffd
	s_delay_alu instid0(VALU_DEP_3) | instskip(NEXT) | instid1(VALU_DEP_2)
	v_add_co_ci_u32_e64 v3, null, 0, v3, vcc_lo
	v_add_co_u32 v15, vcc_lo, v1, v35
	s_wait_alu 0xfffd
	s_delay_alu instid0(VALU_DEP_2)
	v_add_co_ci_u32_e64 v16, null, 0, v3, vcc_lo
	s_cbranch_scc0 .LBB216_81
; %bb.23:
	v_mov_b32_e32 v3, v15
	v_mov_b32_dpp v1, v15 row_shr:1 row_mask:0xf bank_mask:0xf
	v_mov_b32_dpp v6, v2 row_shr:1 row_mask:0xf bank_mask:0xf
	v_dual_mov_b32 v5, v15 :: v_dual_mov_b32 v4, v16
	s_and_saveexec_b32 s3, s2
; %bb.24:
	s_delay_alu instid0(VALU_DEP_3) | instskip(SKIP_2) | instid1(VALU_DEP_2)
	v_add_co_u32 v5, vcc_lo, v15, v1
	s_wait_alu 0xfffd
	v_add_co_ci_u32_e64 v2, null, 0, v16, vcc_lo
	v_add_co_u32 v1, vcc_lo, 0, v5
	s_wait_alu 0xfffd
	s_delay_alu instid0(VALU_DEP_2) | instskip(NEXT) | instid1(VALU_DEP_1)
	v_add_co_ci_u32_e64 v2, null, v6, v2, vcc_lo
	v_dual_mov_b32 v4, v2 :: v_dual_mov_b32 v3, v1
; %bb.25:
	s_wait_alu 0xfffe
	s_or_b32 exec_lo, exec_lo, s3
	v_mov_b32_dpp v1, v5 row_shr:2 row_mask:0xf bank_mask:0xf
	v_mov_b32_dpp v6, v2 row_shr:2 row_mask:0xf bank_mask:0xf
	v_cmp_lt_u32_e32 vcc_lo, 1, v41
	s_and_saveexec_b32 s4, vcc_lo
; %bb.26:
	s_delay_alu instid0(VALU_DEP_3) | instskip(SKIP_2) | instid1(VALU_DEP_2)
	v_add_co_u32 v5, s3, v3, v1
	s_wait_alu 0xf1ff
	v_add_co_ci_u32_e64 v2, null, 0, v4, s3
	v_add_co_u32 v1, s3, 0, v5
	s_wait_alu 0xf1ff
	s_delay_alu instid0(VALU_DEP_2) | instskip(NEXT) | instid1(VALU_DEP_1)
	v_add_co_ci_u32_e64 v2, null, v6, v2, s3
	v_dual_mov_b32 v4, v2 :: v_dual_mov_b32 v3, v1
; %bb.27:
	s_wait_alu 0xfffe
	s_or_b32 exec_lo, exec_lo, s4
	v_mov_b32_dpp v1, v5 row_shr:4 row_mask:0xf bank_mask:0xf
	v_mov_b32_dpp v6, v2 row_shr:4 row_mask:0xf bank_mask:0xf
	v_cmp_lt_u32_e64 s3, 3, v41
	s_and_saveexec_b32 s5, s3
; %bb.28:
	v_add_co_u32 v5, s4, v3, v1
	s_wait_alu 0xf1ff
	v_add_co_ci_u32_e64 v2, null, 0, v4, s4
	s_delay_alu instid0(VALU_DEP_2) | instskip(SKIP_1) | instid1(VALU_DEP_2)
	v_add_co_u32 v1, s4, 0, v5
	s_wait_alu 0xf1ff
	v_add_co_ci_u32_e64 v2, null, v6, v2, s4
	s_delay_alu instid0(VALU_DEP_1)
	v_dual_mov_b32 v4, v2 :: v_dual_mov_b32 v3, v1
; %bb.29:
	s_wait_alu 0xfffe
	s_or_b32 exec_lo, exec_lo, s5
	v_mov_b32_dpp v6, v5 row_shr:8 row_mask:0xf bank_mask:0xf
	v_mov_b32_dpp v1, v2 row_shr:8 row_mask:0xf bank_mask:0xf
	v_cmp_lt_u32_e64 s4, 7, v41
	s_and_saveexec_b32 s15, s4
; %bb.30:
	v_add_co_u32 v5, s5, v3, v6
	s_wait_alu 0xf1ff
	v_add_co_ci_u32_e64 v2, null, 0, v4, s5
	s_delay_alu instid0(VALU_DEP_2) | instskip(SKIP_1) | instid1(VALU_DEP_2)
	v_add_co_u32 v3, s5, 0, v5
	s_wait_alu 0xf1ff
	v_add_co_ci_u32_e64 v4, null, v1, v2, s5
	s_delay_alu instid0(VALU_DEP_1)
	v_mov_b32_e32 v2, v4
; %bb.31:
	s_wait_alu 0xfffe
	s_or_b32 exec_lo, exec_lo, s15
	ds_swizzle_b32 v1, v5 offset:swizzle(BROADCAST,32,15)
	ds_swizzle_b32 v6, v2 offset:swizzle(BROADCAST,32,15)
	v_and_b32_e32 v7, 16, v40
	s_mov_b32 s15, exec_lo
	s_delay_alu instid0(VALU_DEP_1)
	v_cmpx_ne_u32_e32 0, v7
	s_cbranch_execz .LBB216_33
; %bb.32:
	s_wait_dscnt 0x1
	v_add_co_u32 v5, s5, v3, v1
	s_wait_alu 0xf1ff
	v_add_co_ci_u32_e64 v2, null, 0, v4, s5
	s_delay_alu instid0(VALU_DEP_2) | instskip(SKIP_2) | instid1(VALU_DEP_2)
	v_add_co_u32 v1, s5, 0, v5
	s_wait_dscnt 0x0
	s_wait_alu 0xf1ff
	v_add_co_ci_u32_e64 v2, null, v6, v2, s5
	s_delay_alu instid0(VALU_DEP_1)
	v_dual_mov_b32 v4, v2 :: v_dual_mov_b32 v3, v1
.LBB216_33:
	s_wait_alu 0xfffe
	s_or_b32 exec_lo, exec_lo, s15
	s_wait_dscnt 0x1
	v_and_b32_e32 v1, 0x1e0, v0
	s_mov_b32 s15, exec_lo
	s_delay_alu instid0(VALU_DEP_1) | instskip(SKIP_1) | instid1(VALU_DEP_1)
	v_min_u32_e32 v1, 0x160, v1
	s_wait_dscnt 0x0
	v_or_b32_e32 v6, 31, v1
	v_lshrrev_b32_e32 v1, 5, v0
	s_delay_alu instid0(VALU_DEP_2)
	v_cmpx_eq_u32_e64 v0, v6
; %bb.34:
	s_delay_alu instid0(VALU_DEP_2)
	v_lshlrev_b32_e32 v6, 3, v1
	ds_store_b64 v6, v[3:4]
; %bb.35:
	s_wait_alu 0xfffe
	s_or_b32 exec_lo, exec_lo, s15
	s_delay_alu instid0(SALU_CYCLE_1)
	s_mov_b32 s15, exec_lo
	s_wait_loadcnt_dscnt 0x0
	s_barrier_signal -1
	s_barrier_wait -1
	global_inv scope:SCOPE_SE
	v_cmpx_gt_u32_e32 12, v0
	s_cbranch_execz .LBB216_45
; %bb.36:
	v_lshlrev_b32_e32 v6, 3, v0
	ds_load_b64 v[3:4], v6
	s_wait_dscnt 0x0
	v_mov_b32_dpp v17, v3 row_shr:1 row_mask:0xf bank_mask:0xf
	v_mov_b32_dpp v8, v4 row_shr:1 row_mask:0xf bank_mask:0xf
	v_mov_b32_e32 v7, v3
	s_and_saveexec_b32 s16, s2
; %bb.37:
	s_delay_alu instid0(VALU_DEP_3) | instskip(SKIP_2) | instid1(VALU_DEP_2)
	v_add_co_u32 v7, s5, v3, v17
	s_wait_alu 0xf1ff
	v_add_co_ci_u32_e64 v4, null, 0, v4, s5
	v_add_co_u32 v3, s5, 0, v7
	s_wait_alu 0xf1ff
	s_delay_alu instid0(VALU_DEP_2)
	v_add_co_ci_u32_e64 v4, null, v8, v4, s5
; %bb.38:
	s_wait_alu 0xfffe
	s_or_b32 exec_lo, exec_lo, s16
	v_mov_b32_dpp v17, v7 row_shr:2 row_mask:0xf bank_mask:0xf
	s_delay_alu instid0(VALU_DEP_2)
	v_mov_b32_dpp v8, v4 row_shr:2 row_mask:0xf bank_mask:0xf
	s_and_saveexec_b32 s5, vcc_lo
; %bb.39:
	s_delay_alu instid0(VALU_DEP_2) | instskip(SKIP_2) | instid1(VALU_DEP_2)
	v_add_co_u32 v7, vcc_lo, v3, v17
	s_wait_alu 0xfffd
	v_add_co_ci_u32_e64 v4, null, 0, v4, vcc_lo
	v_add_co_u32 v3, vcc_lo, 0, v7
	s_wait_alu 0xfffd
	s_delay_alu instid0(VALU_DEP_2)
	v_add_co_ci_u32_e64 v4, null, v8, v4, vcc_lo
; %bb.40:
	s_wait_alu 0xfffe
	s_or_b32 exec_lo, exec_lo, s5
	v_mov_b32_dpp v17, v7 row_shr:4 row_mask:0xf bank_mask:0xf
	s_delay_alu instid0(VALU_DEP_2)
	v_mov_b32_dpp v8, v4 row_shr:4 row_mask:0xf bank_mask:0xf
	s_and_saveexec_b32 s5, s3
; %bb.41:
	s_delay_alu instid0(VALU_DEP_2) | instskip(SKIP_2) | instid1(VALU_DEP_2)
	v_add_co_u32 v7, vcc_lo, v3, v17
	s_wait_alu 0xfffd
	v_add_co_ci_u32_e64 v4, null, 0, v4, vcc_lo
	v_add_co_u32 v3, vcc_lo, 0, v7
	s_wait_alu 0xfffd
	s_delay_alu instid0(VALU_DEP_2)
	v_add_co_ci_u32_e64 v4, null, v8, v4, vcc_lo
; %bb.42:
	s_wait_alu 0xfffe
	s_or_b32 exec_lo, exec_lo, s5
	v_mov_b32_dpp v8, v7 row_shr:8 row_mask:0xf bank_mask:0xf
	s_delay_alu instid0(VALU_DEP_2)
	v_mov_b32_dpp v7, v4 row_shr:8 row_mask:0xf bank_mask:0xf
	s_and_saveexec_b32 s3, s4
; %bb.43:
	s_delay_alu instid0(VALU_DEP_2) | instskip(SKIP_2) | instid1(VALU_DEP_2)
	v_add_co_u32 v3, vcc_lo, v3, v8
	s_wait_alu 0xfffd
	v_add_co_ci_u32_e64 v4, null, 0, v4, vcc_lo
	v_add_co_u32 v3, vcc_lo, v3, 0
	s_wait_alu 0xfffd
	s_delay_alu instid0(VALU_DEP_2)
	v_add_co_ci_u32_e64 v4, null, v4, v7, vcc_lo
; %bb.44:
	s_wait_alu 0xfffe
	s_or_b32 exec_lo, exec_lo, s3
	ds_store_b64 v6, v[3:4]
.LBB216_45:
	s_wait_alu 0xfffe
	s_or_b32 exec_lo, exec_lo, s15
	s_delay_alu instid0(SALU_CYCLE_1)
	s_mov_b32 s4, exec_lo
	v_cmp_gt_u32_e32 vcc_lo, 32, v0
	s_wait_loadcnt_dscnt 0x0
	s_barrier_signal -1
	s_barrier_wait -1
	global_inv scope:SCOPE_SE
                                        ; implicit-def: $vgpr17_vgpr18
	v_cmpx_lt_u32_e32 31, v0
	s_cbranch_execz .LBB216_47
; %bb.46:
	v_lshl_add_u32 v1, v1, 3, -8
	ds_load_b64 v[17:18], v1
	s_wait_dscnt 0x0
	v_add_co_u32 v5, s3, v5, v17
	s_wait_alu 0xf1ff
	v_add_co_ci_u32_e64 v2, null, v2, v18, s3
.LBB216_47:
	s_wait_alu 0xfffe
	s_or_b32 exec_lo, exec_lo, s4
	v_sub_co_u32 v1, s3, v40, 1
	s_delay_alu instid0(VALU_DEP_1) | instskip(SKIP_1) | instid1(VALU_DEP_1)
	v_cmp_gt_i32_e64 s4, 0, v1
	s_wait_alu 0xf1ff
	v_cndmask_b32_e64 v1, v1, v40, s4
	s_delay_alu instid0(VALU_DEP_1)
	v_lshlrev_b32_e32 v1, 2, v1
	ds_bpermute_b32 v23, v1, v5
	ds_bpermute_b32 v24, v1, v2
	s_and_saveexec_b32 s4, vcc_lo
	s_cbranch_execz .LBB216_86
; %bb.48:
	v_mov_b32_e32 v4, 0
	ds_load_b64 v[1:2], v4 offset:88
	s_and_saveexec_b32 s5, s3
	s_cbranch_execz .LBB216_50
; %bb.49:
	s_add_co_i32 s16, ttmp9, 32
	s_mov_b32 s17, 0
	s_wait_alu 0xfffe
	s_lshl_b64 s[16:17], s[16:17], 4
	s_wait_kmcnt 0x0
	s_wait_alu 0xfffe
	s_add_nc_u64 s[16:17], s[6:7], s[16:17]
	v_mov_b32_e32 v3, 1
	s_wait_alu 0xfffe
	v_dual_mov_b32 v5, s16 :: v_dual_mov_b32 v6, s17
	s_wait_dscnt 0x0
	;;#ASMSTART
	global_store_b128 v[5:6], v[1:4] off scope:SCOPE_DEV	
s_wait_storecnt 0x0
	;;#ASMEND
.LBB216_50:
	s_wait_alu 0xfffe
	s_or_b32 exec_lo, exec_lo, s5
	v_xad_u32 v19, v40, -1, ttmp9
	s_mov_b32 s15, 0
	s_mov_b32 s5, exec_lo
	s_delay_alu instid0(VALU_DEP_1) | instskip(NEXT) | instid1(VALU_DEP_1)
	v_add_nc_u32_e32 v3, 32, v19
	v_lshlrev_b64_e32 v[3:4], 4, v[3:4]
	s_wait_kmcnt 0x0
	s_delay_alu instid0(VALU_DEP_1) | instskip(SKIP_1) | instid1(VALU_DEP_2)
	v_add_co_u32 v3, vcc_lo, s6, v3
	s_wait_alu 0xfffd
	v_add_co_ci_u32_e64 v4, null, s7, v4, vcc_lo
	;;#ASMSTART
	global_load_b128 v[5:8], v[3:4] off scope:SCOPE_DEV	
s_wait_loadcnt 0x0
	;;#ASMEND
	v_and_b32_e32 v8, 0xff, v7
	s_delay_alu instid0(VALU_DEP_1)
	v_cmpx_eq_u16_e32 0, v8
	s_cbranch_execz .LBB216_53
.LBB216_51:                             ; =>This Inner Loop Header: Depth=1
	;;#ASMSTART
	global_load_b128 v[5:8], v[3:4] off scope:SCOPE_DEV	
s_wait_loadcnt 0x0
	;;#ASMEND
	v_and_b32_e32 v8, 0xff, v7
	s_delay_alu instid0(VALU_DEP_1)
	v_cmp_ne_u16_e32 vcc_lo, 0, v8
	s_wait_alu 0xfffe
	s_or_b32 s15, vcc_lo, s15
	s_wait_alu 0xfffe
	s_and_not1_b32 exec_lo, exec_lo, s15
	s_cbranch_execnz .LBB216_51
; %bb.52:
	s_or_b32 exec_lo, exec_lo, s15
.LBB216_53:
	s_wait_alu 0xfffe
	s_or_b32 exec_lo, exec_lo, s5
	v_cmp_ne_u32_e32 vcc_lo, 31, v40
	v_and_b32_e32 v4, 0xff, v7
	v_lshlrev_b32_e64 v26, v40, -1
	s_mov_b32 s5, exec_lo
	s_wait_alu 0xfffd
	v_add_co_ci_u32_e64 v3, null, 0, v40, vcc_lo
	v_cmp_eq_u16_e32 vcc_lo, 2, v4
	s_delay_alu instid0(VALU_DEP_2)
	v_dual_mov_b32 v4, v5 :: v_dual_lshlrev_b32 v25, 2, v3
	s_wait_alu 0xfffd
	v_and_or_b32 v3, vcc_lo, v26, 0x80000000
	ds_bpermute_b32 v20, v25, v5
	ds_bpermute_b32 v8, v25, v6
	v_ctz_i32_b32_e32 v3, v3
	s_delay_alu instid0(VALU_DEP_1)
	v_cmpx_lt_u32_e64 v40, v3
	s_cbranch_execz .LBB216_55
; %bb.54:
	s_wait_dscnt 0x1
	v_add_co_u32 v4, vcc_lo, v5, v20
	s_wait_alu 0xfffd
	v_add_co_ci_u32_e64 v6, null, 0, v6, vcc_lo
	s_delay_alu instid0(VALU_DEP_2) | instskip(SKIP_2) | instid1(VALU_DEP_2)
	v_add_co_u32 v5, vcc_lo, 0, v4
	s_wait_dscnt 0x0
	s_wait_alu 0xfffd
	v_add_co_ci_u32_e64 v6, null, v8, v6, vcc_lo
.LBB216_55:
	s_wait_alu 0xfffe
	s_or_b32 exec_lo, exec_lo, s5
	v_cmp_gt_u32_e32 vcc_lo, 30, v40
	v_add_nc_u32_e32 v28, 2, v40
	s_mov_b32 s5, exec_lo
	s_wait_dscnt 0x0
	s_wait_alu 0xfffd
	v_cndmask_b32_e64 v8, 0, 2, vcc_lo
	s_delay_alu instid0(VALU_DEP_1)
	v_add_lshl_u32 v27, v8, v40, 2
	ds_bpermute_b32 v20, v27, v4
	ds_bpermute_b32 v8, v27, v6
	v_cmpx_le_u32_e64 v28, v3
	s_cbranch_execz .LBB216_57
; %bb.56:
	s_wait_dscnt 0x1
	v_add_co_u32 v4, vcc_lo, v5, v20
	s_wait_alu 0xfffd
	v_add_co_ci_u32_e64 v6, null, 0, v6, vcc_lo
	s_delay_alu instid0(VALU_DEP_2) | instskip(SKIP_2) | instid1(VALU_DEP_2)
	v_add_co_u32 v5, vcc_lo, 0, v4
	s_wait_dscnt 0x0
	s_wait_alu 0xfffd
	v_add_co_ci_u32_e64 v6, null, v8, v6, vcc_lo
.LBB216_57:
	s_wait_alu 0xfffe
	s_or_b32 exec_lo, exec_lo, s5
	v_cmp_gt_u32_e32 vcc_lo, 28, v40
	v_add_nc_u32_e32 v43, 4, v40
	s_mov_b32 s5, exec_lo
	s_wait_dscnt 0x0
	s_wait_alu 0xfffd
	v_cndmask_b32_e64 v8, 0, 4, vcc_lo
	s_delay_alu instid0(VALU_DEP_1)
	v_add_lshl_u32 v42, v8, v40, 2
	ds_bpermute_b32 v20, v42, v4
	ds_bpermute_b32 v8, v42, v6
	v_cmpx_le_u32_e64 v43, v3
	;; [unrolled: 25-line block ×3, first 2 shown]
	s_cbranch_execz .LBB216_61
; %bb.60:
	s_wait_dscnt 0x1
	v_add_co_u32 v4, vcc_lo, v5, v20
	s_wait_alu 0xfffd
	v_add_co_ci_u32_e64 v6, null, 0, v6, vcc_lo
	s_delay_alu instid0(VALU_DEP_2) | instskip(SKIP_2) | instid1(VALU_DEP_2)
	v_add_co_u32 v5, vcc_lo, 0, v4
	s_wait_dscnt 0x0
	s_wait_alu 0xfffd
	v_add_co_ci_u32_e64 v6, null, v8, v6, vcc_lo
.LBB216_61:
	s_wait_alu 0xfffe
	s_or_b32 exec_lo, exec_lo, s5
	v_lshl_or_b32 v46, v40, 2, 64
	v_add_nc_u32_e32 v47, 16, v40
	s_mov_b32 s5, exec_lo
	s_wait_dscnt 0x0
	ds_bpermute_b32 v8, v46, v4
	ds_bpermute_b32 v4, v46, v6
	v_cmpx_le_u32_e64 v47, v3
	s_cbranch_execz .LBB216_63
; %bb.62:
	s_wait_dscnt 0x1
	v_add_co_u32 v3, vcc_lo, v5, v8
	s_wait_alu 0xfffd
	v_add_co_ci_u32_e64 v6, null, 0, v6, vcc_lo
	s_delay_alu instid0(VALU_DEP_2) | instskip(SKIP_2) | instid1(VALU_DEP_2)
	v_add_co_u32 v5, vcc_lo, v3, 0
	s_wait_dscnt 0x0
	s_wait_alu 0xfffd
	v_add_co_ci_u32_e64 v6, null, v6, v4, vcc_lo
.LBB216_63:
	s_wait_alu 0xfffe
	s_or_b32 exec_lo, exec_lo, s5
	v_mov_b32_e32 v20, 0
	s_branch .LBB216_66
.LBB216_64:                             ;   in Loop: Header=BB216_66 Depth=1
	s_wait_alu 0xfffe
	s_or_b32 exec_lo, exec_lo, s5
	v_add_co_u32 v5, vcc_lo, v5, v3
	v_subrev_nc_u32_e32 v19, 32, v19
	s_wait_alu 0xfffd
	v_add_co_ci_u32_e64 v6, null, v6, v4, vcc_lo
	s_mov_b32 s5, 0
.LBB216_65:                             ;   in Loop: Header=BB216_66 Depth=1
	s_wait_alu 0xfffe
	s_and_b32 vcc_lo, exec_lo, s5
	s_wait_alu 0xfffe
	s_cbranch_vccnz .LBB216_82
.LBB216_66:                             ; =>This Loop Header: Depth=1
                                        ;     Child Loop BB216_69 Depth 2
	v_and_b32_e32 v3, 0xff, v7
	s_mov_b32 s5, -1
	s_delay_alu instid0(VALU_DEP_1)
	v_cmp_ne_u16_e32 vcc_lo, 2, v3
	s_wait_dscnt 0x0
	v_dual_mov_b32 v3, v5 :: v_dual_mov_b32 v4, v6
                                        ; implicit-def: $vgpr5_vgpr6
	s_cmp_lg_u32 vcc_lo, exec_lo
	s_cbranch_scc1 .LBB216_65
; %bb.67:                               ;   in Loop: Header=BB216_66 Depth=1
	v_lshlrev_b64_e32 v[5:6], 4, v[19:20]
	s_mov_b32 s5, exec_lo
	s_delay_alu instid0(VALU_DEP_1) | instskip(SKIP_1) | instid1(VALU_DEP_2)
	v_add_co_u32 v21, vcc_lo, s6, v5
	s_wait_alu 0xfffd
	v_add_co_ci_u32_e64 v22, null, s7, v6, vcc_lo
	;;#ASMSTART
	global_load_b128 v[5:8], v[21:22] off scope:SCOPE_DEV	
s_wait_loadcnt 0x0
	;;#ASMEND
	v_and_b32_e32 v8, 0xff, v7
	s_delay_alu instid0(VALU_DEP_1)
	v_cmpx_eq_u16_e32 0, v8
	s_cbranch_execz .LBB216_71
; %bb.68:                               ;   in Loop: Header=BB216_66 Depth=1
	s_mov_b32 s15, 0
.LBB216_69:                             ;   Parent Loop BB216_66 Depth=1
                                        ; =>  This Inner Loop Header: Depth=2
	;;#ASMSTART
	global_load_b128 v[5:8], v[21:22] off scope:SCOPE_DEV	
s_wait_loadcnt 0x0
	;;#ASMEND
	v_and_b32_e32 v8, 0xff, v7
	s_delay_alu instid0(VALU_DEP_1)
	v_cmp_ne_u16_e32 vcc_lo, 0, v8
	s_wait_alu 0xfffe
	s_or_b32 s15, vcc_lo, s15
	s_wait_alu 0xfffe
	s_and_not1_b32 exec_lo, exec_lo, s15
	s_cbranch_execnz .LBB216_69
; %bb.70:                               ;   in Loop: Header=BB216_66 Depth=1
	s_or_b32 exec_lo, exec_lo, s15
.LBB216_71:                             ;   in Loop: Header=BB216_66 Depth=1
	s_wait_alu 0xfffe
	s_or_b32 exec_lo, exec_lo, s5
	v_dual_mov_b32 v21, v5 :: v_dual_and_b32 v8, 0xff, v7
	ds_bpermute_b32 v48, v25, v5
	ds_bpermute_b32 v22, v25, v6
	s_mov_b32 s5, exec_lo
	v_cmp_eq_u16_e32 vcc_lo, 2, v8
	s_wait_alu 0xfffd
	v_and_or_b32 v8, vcc_lo, v26, 0x80000000
	s_delay_alu instid0(VALU_DEP_1) | instskip(NEXT) | instid1(VALU_DEP_1)
	v_ctz_i32_b32_e32 v8, v8
	v_cmpx_lt_u32_e64 v40, v8
	s_cbranch_execz .LBB216_73
; %bb.72:                               ;   in Loop: Header=BB216_66 Depth=1
	s_wait_dscnt 0x1
	v_add_co_u32 v21, vcc_lo, v5, v48
	s_wait_alu 0xfffd
	v_add_co_ci_u32_e64 v6, null, 0, v6, vcc_lo
	s_delay_alu instid0(VALU_DEP_2) | instskip(SKIP_2) | instid1(VALU_DEP_2)
	v_add_co_u32 v5, vcc_lo, 0, v21
	s_wait_dscnt 0x0
	s_wait_alu 0xfffd
	v_add_co_ci_u32_e64 v6, null, v22, v6, vcc_lo
.LBB216_73:                             ;   in Loop: Header=BB216_66 Depth=1
	s_wait_alu 0xfffe
	s_or_b32 exec_lo, exec_lo, s5
	s_wait_dscnt 0x1
	ds_bpermute_b32 v48, v27, v21
	s_wait_dscnt 0x1
	ds_bpermute_b32 v22, v27, v6
	s_mov_b32 s5, exec_lo
	v_cmpx_le_u32_e64 v28, v8
	s_cbranch_execz .LBB216_75
; %bb.74:                               ;   in Loop: Header=BB216_66 Depth=1
	s_wait_dscnt 0x1
	v_add_co_u32 v21, vcc_lo, v5, v48
	s_wait_alu 0xfffd
	v_add_co_ci_u32_e64 v6, null, 0, v6, vcc_lo
	s_delay_alu instid0(VALU_DEP_2) | instskip(SKIP_2) | instid1(VALU_DEP_2)
	v_add_co_u32 v5, vcc_lo, 0, v21
	s_wait_dscnt 0x0
	s_wait_alu 0xfffd
	v_add_co_ci_u32_e64 v6, null, v22, v6, vcc_lo
.LBB216_75:                             ;   in Loop: Header=BB216_66 Depth=1
	s_wait_alu 0xfffe
	s_or_b32 exec_lo, exec_lo, s5
	s_wait_dscnt 0x1
	ds_bpermute_b32 v48, v42, v21
	s_wait_dscnt 0x1
	ds_bpermute_b32 v22, v42, v6
	s_mov_b32 s5, exec_lo
	v_cmpx_le_u32_e64 v43, v8
	;; [unrolled: 20-line block ×3, first 2 shown]
	s_cbranch_execz .LBB216_79
; %bb.78:                               ;   in Loop: Header=BB216_66 Depth=1
	s_wait_dscnt 0x1
	v_add_co_u32 v21, vcc_lo, v5, v48
	s_wait_alu 0xfffd
	v_add_co_ci_u32_e64 v6, null, 0, v6, vcc_lo
	s_delay_alu instid0(VALU_DEP_2) | instskip(SKIP_2) | instid1(VALU_DEP_2)
	v_add_co_u32 v5, vcc_lo, 0, v21
	s_wait_dscnt 0x0
	s_wait_alu 0xfffd
	v_add_co_ci_u32_e64 v6, null, v22, v6, vcc_lo
.LBB216_79:                             ;   in Loop: Header=BB216_66 Depth=1
	s_wait_alu 0xfffe
	s_or_b32 exec_lo, exec_lo, s5
	s_wait_dscnt 0x0
	ds_bpermute_b32 v22, v46, v21
	ds_bpermute_b32 v21, v46, v6
	s_mov_b32 s5, exec_lo
	v_cmpx_le_u32_e64 v47, v8
	s_cbranch_execz .LBB216_64
; %bb.80:                               ;   in Loop: Header=BB216_66 Depth=1
	s_wait_dscnt 0x1
	v_add_co_u32 v5, vcc_lo, v5, v22
	s_wait_alu 0xfffd
	v_add_co_ci_u32_e64 v6, null, 0, v6, vcc_lo
	s_delay_alu instid0(VALU_DEP_2) | instskip(SKIP_2) | instid1(VALU_DEP_2)
	v_add_co_u32 v5, vcc_lo, v5, 0
	s_wait_dscnt 0x0
	s_wait_alu 0xfffd
	v_add_co_ci_u32_e64 v6, null, v6, v21, vcc_lo
	s_branch .LBB216_64
.LBB216_81:
                                        ; implicit-def: $vgpr17_vgpr18
                                        ; implicit-def: $vgpr6_vgpr7
                                        ; implicit-def: $vgpr19_vgpr20
                                        ; implicit-def: $vgpr21_vgpr22
                                        ; implicit-def: $vgpr23_vgpr24
                                        ; implicit-def: $vgpr25_vgpr26
                                        ; implicit-def: $vgpr27_vgpr28
                                        ; implicit-def: $vgpr4_vgpr5
	s_wait_alu 0xfffe
	s_and_b32 vcc_lo, exec_lo, s3
	s_wait_alu 0xfffe
	s_cbranch_vccnz .LBB216_87
	s_branch .LBB216_114
.LBB216_82:
	s_and_saveexec_b32 s5, s3
	s_cbranch_execz .LBB216_84
; %bb.83:
	s_add_co_i32 s16, ttmp9, 32
	s_mov_b32 s17, 0
	v_add_co_u32 v5, vcc_lo, v3, v1
	s_wait_alu 0xfffe
	s_lshl_b64 s[16:17], s[16:17], 4
	v_dual_mov_b32 v7, 2 :: v_dual_mov_b32 v8, 0
	s_wait_alu 0xfffe
	s_add_nc_u64 s[16:17], s[6:7], s[16:17]
	s_wait_alu 0xfffd
	v_add_co_ci_u32_e64 v6, null, v4, v2, vcc_lo
	s_wait_alu 0xfffe
	v_dual_mov_b32 v20, s17 :: v_dual_mov_b32 v19, s16
	;;#ASMSTART
	global_store_b128 v[19:20], v[5:8] off scope:SCOPE_DEV	
s_wait_storecnt 0x0
	;;#ASMEND
	ds_store_b128 v8, v[1:4] offset:10752
.LBB216_84:
	s_wait_alu 0xfffe
	s_or_b32 exec_lo, exec_lo, s5
	v_cmp_eq_u32_e32 vcc_lo, 0, v0
	s_and_b32 exec_lo, exec_lo, vcc_lo
; %bb.85:
	v_mov_b32_e32 v1, 0
	ds_store_b64 v1, v[3:4] offset:88
.LBB216_86:
	s_wait_alu 0xfffe
	s_or_b32 exec_lo, exec_lo, s4
	s_wait_dscnt 0x1
	v_cndmask_b32_e64 v4, v23, v17, s3
	v_cmp_ne_u32_e32 vcc_lo, 0, v0
	v_mov_b32_e32 v3, 0
	s_wait_loadcnt_dscnt 0x0
	s_barrier_signal -1
	s_barrier_wait -1
	global_inv scope:SCOPE_SE
	s_wait_alu 0xfffd
	v_cndmask_b32_e32 v4, 0, v4, vcc_lo
	ds_load_b64 v[1:2], v3 offset:88
	v_cndmask_b32_e64 v5, v24, v18, s3
	s_wait_loadcnt_dscnt 0x0
	s_barrier_signal -1
	s_barrier_wait -1
	global_inv scope:SCOPE_SE
	v_cndmask_b32_e32 v5, 0, v5, vcc_lo
	v_add_co_u32 v27, vcc_lo, v1, v4
	s_wait_alu 0xfffd
	s_delay_alu instid0(VALU_DEP_2) | instskip(SKIP_4) | instid1(VALU_DEP_2)
	v_add_co_ci_u32_e64 v28, null, v2, v5, vcc_lo
	ds_load_b128 v[2:5], v3 offset:10752
	v_add_co_u32 v25, vcc_lo, v27, v37
	s_wait_alu 0xfffd
	v_add_co_ci_u32_e64 v26, null, 0, v28, vcc_lo
	v_add_co_u32 v23, vcc_lo, v25, v36
	s_wait_alu 0xfffd
	s_delay_alu instid0(VALU_DEP_2) | instskip(NEXT) | instid1(VALU_DEP_2)
	v_add_co_ci_u32_e64 v24, null, 0, v26, vcc_lo
	v_add_co_u32 v21, vcc_lo, v23, v39
	s_wait_alu 0xfffd
	s_delay_alu instid0(VALU_DEP_2) | instskip(NEXT) | instid1(VALU_DEP_2)
	;; [unrolled: 4-line block ×4, first 2 shown]
	v_add_co_ci_u32_e64 v7, null, 0, v20, vcc_lo
	v_add_co_u32 v17, vcc_lo, v6, v35
	s_wait_alu 0xfffd
	s_delay_alu instid0(VALU_DEP_2)
	v_add_co_ci_u32_e64 v18, null, 0, v7, vcc_lo
	s_branch .LBB216_114
.LBB216_87:
	s_wait_dscnt 0x0
	v_dual_mov_b32 v2, 0 :: v_dual_mov_b32 v3, v15
	v_mov_b32_dpp v4, v15 row_shr:1 row_mask:0xf bank_mask:0xf
	s_delay_alu instid0(VALU_DEP_2)
	v_mov_b32_dpp v1, v2 row_shr:1 row_mask:0xf bank_mask:0xf
	s_and_saveexec_b32 s3, s2
; %bb.88:
	s_delay_alu instid0(VALU_DEP_2) | instskip(SKIP_2) | instid1(VALU_DEP_2)
	v_add_co_u32 v3, vcc_lo, v15, v4
	s_wait_alu 0xfffd
	v_add_co_ci_u32_e64 v2, null, 0, v16, vcc_lo
	v_add_co_u32 v15, vcc_lo, 0, v3
	s_wait_alu 0xfffd
	s_delay_alu instid0(VALU_DEP_2) | instskip(NEXT) | instid1(VALU_DEP_1)
	v_add_co_ci_u32_e64 v16, null, v1, v2, vcc_lo
	v_mov_b32_e32 v2, v16
; %bb.89:
	s_wait_alu 0xfffe
	s_or_b32 exec_lo, exec_lo, s3
	v_mov_b32_dpp v1, v3 row_shr:2 row_mask:0xf bank_mask:0xf
	s_delay_alu instid0(VALU_DEP_2)
	v_mov_b32_dpp v4, v2 row_shr:2 row_mask:0xf bank_mask:0xf
	v_cmp_lt_u32_e32 vcc_lo, 1, v41
	s_and_saveexec_b32 s4, vcc_lo
; %bb.90:
	s_delay_alu instid0(VALU_DEP_3) | instskip(SKIP_2) | instid1(VALU_DEP_2)
	v_add_co_u32 v3, s3, v15, v1
	s_wait_alu 0xf1ff
	v_add_co_ci_u32_e64 v2, null, 0, v16, s3
	v_add_co_u32 v1, s3, 0, v3
	s_wait_alu 0xf1ff
	s_delay_alu instid0(VALU_DEP_2) | instskip(NEXT) | instid1(VALU_DEP_1)
	v_add_co_ci_u32_e64 v2, null, v4, v2, s3
	v_dual_mov_b32 v16, v2 :: v_dual_mov_b32 v15, v1
; %bb.91:
	s_wait_alu 0xfffe
	s_or_b32 exec_lo, exec_lo, s4
	v_mov_b32_dpp v1, v3 row_shr:4 row_mask:0xf bank_mask:0xf
	v_mov_b32_dpp v4, v2 row_shr:4 row_mask:0xf bank_mask:0xf
	v_cmp_lt_u32_e64 s3, 3, v41
	s_and_saveexec_b32 s5, s3
; %bb.92:
	v_add_co_u32 v3, s4, v15, v1
	s_wait_alu 0xf1ff
	v_add_co_ci_u32_e64 v2, null, 0, v16, s4
	s_delay_alu instid0(VALU_DEP_2) | instskip(SKIP_1) | instid1(VALU_DEP_2)
	v_add_co_u32 v1, s4, 0, v3
	s_wait_alu 0xf1ff
	v_add_co_ci_u32_e64 v2, null, v4, v2, s4
	s_delay_alu instid0(VALU_DEP_1)
	v_dual_mov_b32 v16, v2 :: v_dual_mov_b32 v15, v1
; %bb.93:
	s_wait_alu 0xfffe
	s_or_b32 exec_lo, exec_lo, s5
	v_mov_b32_dpp v4, v3 row_shr:8 row_mask:0xf bank_mask:0xf
	v_mov_b32_dpp v1, v2 row_shr:8 row_mask:0xf bank_mask:0xf
	v_cmp_lt_u32_e64 s4, 7, v41
	s_and_saveexec_b32 s15, s4
; %bb.94:
	v_add_co_u32 v3, s5, v15, v4
	s_wait_alu 0xf1ff
	v_add_co_ci_u32_e64 v2, null, 0, v16, s5
	s_delay_alu instid0(VALU_DEP_2) | instskip(SKIP_1) | instid1(VALU_DEP_2)
	v_add_co_u32 v15, s5, 0, v3
	s_wait_alu 0xf1ff
	v_add_co_ci_u32_e64 v16, null, v1, v2, s5
	s_delay_alu instid0(VALU_DEP_1)
	v_mov_b32_e32 v2, v16
; %bb.95:
	s_wait_alu 0xfffe
	s_or_b32 exec_lo, exec_lo, s15
	ds_swizzle_b32 v3, v3 offset:swizzle(BROADCAST,32,15)
	ds_swizzle_b32 v1, v2 offset:swizzle(BROADCAST,32,15)
	v_and_b32_e32 v2, 16, v40
	s_mov_b32 s15, exec_lo
	s_delay_alu instid0(VALU_DEP_1)
	v_cmpx_ne_u32_e32 0, v2
	s_cbranch_execz .LBB216_97
; %bb.96:
	s_wait_dscnt 0x1
	v_add_co_u32 v2, s5, v15, v3
	s_wait_alu 0xf1ff
	v_add_co_ci_u32_e64 v3, null, 0, v16, s5
	s_delay_alu instid0(VALU_DEP_2) | instskip(SKIP_2) | instid1(VALU_DEP_2)
	v_add_co_u32 v15, s5, v2, 0
	s_wait_dscnt 0x0
	s_wait_alu 0xf1ff
	v_add_co_ci_u32_e64 v16, null, v3, v1, s5
.LBB216_97:
	s_wait_alu 0xfffe
	s_or_b32 exec_lo, exec_lo, s15
	s_wait_dscnt 0x0
	v_and_b32_e32 v1, 0x1e0, v0
	v_lshrrev_b32_e32 v3, 5, v0
	s_mov_b32 s15, exec_lo
	s_delay_alu instid0(VALU_DEP_2) | instskip(NEXT) | instid1(VALU_DEP_1)
	v_min_u32_e32 v1, 0x160, v1
	v_or_b32_e32 v1, 31, v1
	s_delay_alu instid0(VALU_DEP_1)
	v_cmpx_eq_u32_e64 v0, v1
; %bb.98:
	v_lshlrev_b32_e32 v1, 3, v3
	ds_store_b64 v1, v[15:16]
; %bb.99:
	s_wait_alu 0xfffe
	s_or_b32 exec_lo, exec_lo, s15
	s_delay_alu instid0(SALU_CYCLE_1)
	s_mov_b32 s15, exec_lo
	s_wait_loadcnt_dscnt 0x0
	s_barrier_signal -1
	s_barrier_wait -1
	global_inv scope:SCOPE_SE
	v_cmpx_gt_u32_e32 12, v0
	s_cbranch_execz .LBB216_109
; %bb.100:
	v_mad_i32_i24 v1, 0xffffffec, v0, v34
	ds_load_b64 v[1:2], v1
	s_wait_dscnt 0x0
	v_mov_b32_dpp v6, v1 row_shr:1 row_mask:0xf bank_mask:0xf
	v_mov_b32_dpp v5, v2 row_shr:1 row_mask:0xf bank_mask:0xf
	v_mov_b32_e32 v4, v1
	s_and_saveexec_b32 s5, s2
; %bb.101:
	s_delay_alu instid0(VALU_DEP_3) | instskip(SKIP_2) | instid1(VALU_DEP_2)
	v_add_co_u32 v4, s2, v1, v6
	s_wait_alu 0xf1ff
	v_add_co_ci_u32_e64 v2, null, 0, v2, s2
	v_add_co_u32 v1, s2, 0, v4
	s_wait_alu 0xf1ff
	s_delay_alu instid0(VALU_DEP_2)
	v_add_co_ci_u32_e64 v2, null, v5, v2, s2
; %bb.102:
	s_wait_alu 0xfffe
	s_or_b32 exec_lo, exec_lo, s5
	v_mov_b32_dpp v6, v4 row_shr:2 row_mask:0xf bank_mask:0xf
	s_delay_alu instid0(VALU_DEP_2)
	v_mov_b32_dpp v5, v2 row_shr:2 row_mask:0xf bank_mask:0xf
	s_and_saveexec_b32 s2, vcc_lo
; %bb.103:
	s_delay_alu instid0(VALU_DEP_2) | instskip(SKIP_2) | instid1(VALU_DEP_2)
	v_add_co_u32 v4, vcc_lo, v1, v6
	s_wait_alu 0xfffd
	v_add_co_ci_u32_e64 v2, null, 0, v2, vcc_lo
	v_add_co_u32 v1, vcc_lo, 0, v4
	s_wait_alu 0xfffd
	s_delay_alu instid0(VALU_DEP_2)
	v_add_co_ci_u32_e64 v2, null, v5, v2, vcc_lo
; %bb.104:
	s_wait_alu 0xfffe
	s_or_b32 exec_lo, exec_lo, s2
	v_mov_b32_dpp v6, v4 row_shr:4 row_mask:0xf bank_mask:0xf
	s_delay_alu instid0(VALU_DEP_2)
	v_mov_b32_dpp v5, v2 row_shr:4 row_mask:0xf bank_mask:0xf
	s_and_saveexec_b32 s2, s3
; %bb.105:
	s_delay_alu instid0(VALU_DEP_2) | instskip(SKIP_2) | instid1(VALU_DEP_2)
	v_add_co_u32 v4, vcc_lo, v1, v6
	s_wait_alu 0xfffd
	v_add_co_ci_u32_e64 v2, null, 0, v2, vcc_lo
	v_add_co_u32 v1, vcc_lo, 0, v4
	s_wait_alu 0xfffd
	s_delay_alu instid0(VALU_DEP_2)
	v_add_co_ci_u32_e64 v2, null, v5, v2, vcc_lo
; %bb.106:
	s_wait_alu 0xfffe
	s_or_b32 exec_lo, exec_lo, s2
	v_mul_i32_i24_e32 v5, 0xffffffec, v0
	v_mov_b32_dpp v6, v4 row_shr:8 row_mask:0xf bank_mask:0xf
	v_mov_b32_dpp v4, v2 row_shr:8 row_mask:0xf bank_mask:0xf
	s_and_saveexec_b32 s2, s4
; %bb.107:
	s_delay_alu instid0(VALU_DEP_2) | instskip(SKIP_2) | instid1(VALU_DEP_2)
	v_add_co_u32 v1, vcc_lo, v1, v6
	s_wait_alu 0xfffd
	v_add_co_ci_u32_e64 v2, null, 0, v2, vcc_lo
	v_add_co_u32 v1, vcc_lo, v1, 0
	s_wait_alu 0xfffd
	s_delay_alu instid0(VALU_DEP_2)
	v_add_co_ci_u32_e64 v2, null, v2, v4, vcc_lo
; %bb.108:
	s_wait_alu 0xfffe
	s_or_b32 exec_lo, exec_lo, s2
	v_add_nc_u32_e32 v4, v34, v5
	ds_store_b64 v4, v[1:2]
.LBB216_109:
	s_wait_alu 0xfffe
	s_or_b32 exec_lo, exec_lo, s15
	v_mov_b32_e32 v6, 0
	v_mov_b32_e32 v7, 0
	s_mov_b32 s2, exec_lo
	s_wait_loadcnt_dscnt 0x0
	s_barrier_signal -1
	s_barrier_wait -1
	global_inv scope:SCOPE_SE
	v_cmpx_lt_u32_e32 31, v0
; %bb.110:
	v_lshl_add_u32 v1, v3, 3, -8
	ds_load_b64 v[6:7], v1
; %bb.111:
	s_wait_alu 0xfffe
	s_or_b32 exec_lo, exec_lo, s2
	v_sub_co_u32 v1, vcc_lo, v40, 1
	v_mov_b32_e32 v5, 0
	s_delay_alu instid0(VALU_DEP_2) | instskip(SKIP_1) | instid1(VALU_DEP_1)
	v_cmp_gt_i32_e64 s2, 0, v1
	s_wait_alu 0xf1ff
	v_cndmask_b32_e64 v1, v1, v40, s2
	s_delay_alu instid0(VALU_DEP_1)
	v_lshlrev_b32_e32 v2, 2, v1
	s_wait_dscnt 0x0
	v_add_co_u32 v1, s2, v6, v15
	s_wait_alu 0xf1ff
	v_add_co_ci_u32_e64 v3, null, v7, v16, s2
	v_cmp_eq_u32_e64 s2, 0, v0
	ds_bpermute_b32 v1, v2, v1
	ds_bpermute_b32 v8, v2, v3
	ds_load_b64 v[2:3], v5 offset:88
	s_and_saveexec_b32 s3, s2
	s_cbranch_execz .LBB216_113
; %bb.112:
	s_wait_kmcnt 0x0
	s_add_nc_u64 s[4:5], s[6:7], 0x200
	v_mov_b32_e32 v4, 2
	s_wait_alu 0xfffe
	v_dual_mov_b32 v16, s5 :: v_dual_mov_b32 v15, s4
	s_wait_dscnt 0x0
	;;#ASMSTART
	global_store_b128 v[15:16], v[2:5] off scope:SCOPE_DEV	
s_wait_storecnt 0x0
	;;#ASMEND
.LBB216_113:
	s_wait_alu 0xfffe
	s_or_b32 exec_lo, exec_lo, s3
	s_wait_dscnt 0x1
	s_wait_alu 0xfffd
	v_dual_cndmask_b32 v1, v1, v6 :: v_dual_cndmask_b32 v4, v8, v7
	s_wait_loadcnt_dscnt 0x0
	s_barrier_signal -1
	s_barrier_wait -1
	s_delay_alu instid0(VALU_DEP_1)
	v_cndmask_b32_e64 v27, v1, 0, s2
	v_cndmask_b32_e64 v28, v4, 0, s2
	v_mov_b32_e32 v4, 0
	v_mov_b32_e32 v5, 0
	global_inv scope:SCOPE_SE
	v_add_co_u32 v25, vcc_lo, v27, v37
	s_wait_alu 0xfffd
	v_add_co_ci_u32_e64 v26, null, 0, v28, vcc_lo
	s_delay_alu instid0(VALU_DEP_2) | instskip(SKIP_1) | instid1(VALU_DEP_2)
	v_add_co_u32 v23, vcc_lo, v25, v36
	s_wait_alu 0xfffd
	v_add_co_ci_u32_e64 v24, null, 0, v26, vcc_lo
	s_delay_alu instid0(VALU_DEP_2) | instskip(SKIP_1) | instid1(VALU_DEP_2)
	;; [unrolled: 4-line block ×5, first 2 shown]
	v_add_co_u32 v17, vcc_lo, v6, v35
	s_wait_alu 0xfffd
	v_add_co_ci_u32_e64 v18, null, 0, v7, vcc_lo
.LBB216_114:
	s_load_b64 s[2:3], s[0:1], 0x28
	v_lshrrev_b32_e32 v8, 8, v33
	v_lshrrev_b32_e32 v1, 16, v33
	v_and_b32_e32 v33, 1, v33
	s_wait_dscnt 0x0
	v_cmp_gt_u64_e32 vcc_lo, 0x181, v[2:3]
	s_mov_b32 s1, -1
	s_delay_alu instid0(VALU_DEP_2)
	v_cmp_eq_u32_e64 s0, 1, v33
	s_cbranch_vccnz .LBB216_118
; %bb.115:
	s_wait_alu 0xfffe
	s_and_b32 vcc_lo, exec_lo, s1
	s_wait_alu 0xfffe
	s_cbranch_vccnz .LBB216_133
.LBB216_116:
	v_cmp_eq_u32_e32 vcc_lo, 0, v0
	s_and_b32 s0, vcc_lo, s12
	s_wait_alu 0xfffe
	s_and_saveexec_b32 s1, s0
	s_cbranch_execnz .LBB216_150
.LBB216_117:
	s_endpgm
.LBB216_118:
	v_add_co_u32 v15, vcc_lo, v4, v2
	s_wait_alu 0xfffd
	v_add_co_ci_u32_e64 v16, null, v5, v3, vcc_lo
	s_lshl_b64 s[4:5], s[10:11], 2
	s_wait_kmcnt 0x0
	s_wait_alu 0xfffe
	s_add_nc_u64 s[4:5], s[2:3], s[4:5]
	v_cmp_lt_u64_e32 vcc_lo, v[27:28], v[15:16]
	s_or_b32 s1, s13, vcc_lo
	s_wait_alu 0xfffe
	s_and_b32 s1, s1, s0
	s_wait_alu 0xfffe
	s_and_saveexec_b32 s0, s1
	s_cbranch_execz .LBB216_120
; %bb.119:
	v_lshlrev_b64_e32 v[34:35], 2, v[27:28]
	s_delay_alu instid0(VALU_DEP_1) | instskip(SKIP_1) | instid1(VALU_DEP_2)
	v_add_co_u32 v34, vcc_lo, s4, v34
	s_wait_alu 0xfffd
	v_add_co_ci_u32_e64 v35, null, s5, v35, vcc_lo
	global_store_b32 v[34:35], v13, off
.LBB216_120:
	s_wait_alu 0xfffe
	s_or_b32 exec_lo, exec_lo, s0
	v_and_b32_e32 v28, 1, v8
	v_cmp_lt_u64_e32 vcc_lo, v[25:26], v[15:16]
	s_delay_alu instid0(VALU_DEP_2)
	v_cmp_eq_u32_e64 s0, 1, v28
	s_or_b32 s1, s13, vcc_lo
	s_wait_alu 0xfffe
	s_and_b32 s1, s1, s0
	s_wait_alu 0xfffe
	s_and_saveexec_b32 s0, s1
	s_cbranch_execz .LBB216_122
; %bb.121:
	v_lshlrev_b64_e32 v[34:35], 2, v[25:26]
	s_delay_alu instid0(VALU_DEP_1) | instskip(SKIP_1) | instid1(VALU_DEP_2)
	v_add_co_u32 v34, vcc_lo, s4, v34
	s_wait_alu 0xfffd
	v_add_co_ci_u32_e64 v35, null, s5, v35, vcc_lo
	global_store_b32 v[34:35], v14, off
.LBB216_122:
	s_wait_alu 0xfffe
	s_or_b32 exec_lo, exec_lo, s0
	v_and_b32_e32 v26, 1, v1
	v_cmp_lt_u64_e32 vcc_lo, v[23:24], v[15:16]
	s_delay_alu instid0(VALU_DEP_2)
	v_cmp_eq_u32_e64 s0, 1, v26
	;; [unrolled: 20-line block ×5, first 2 shown]
	s_or_b32 s1, s13, vcc_lo
	s_wait_alu 0xfffe
	s_and_b32 s1, s1, s0
	s_wait_alu 0xfffe
	s_and_saveexec_b32 s0, s1
	s_cbranch_execz .LBB216_130
; %bb.129:
	v_lshlrev_b64_e32 v[34:35], 2, v[6:7]
	s_delay_alu instid0(VALU_DEP_1) | instskip(SKIP_1) | instid1(VALU_DEP_2)
	v_add_co_u32 v34, vcc_lo, s4, v34
	s_wait_alu 0xfffd
	v_add_co_ci_u32_e64 v35, null, s5, v35, vcc_lo
	global_store_b32 v[34:35], v10, off
.LBB216_130:
	s_wait_alu 0xfffe
	s_or_b32 exec_lo, exec_lo, s0
	v_cmp_lt_u64_e32 vcc_lo, v[17:18], v[15:16]
	s_or_b32 s0, s13, vcc_lo
	s_wait_alu 0xfffe
	s_and_b32 s1, s0, s14
	s_wait_alu 0xfffe
	s_and_saveexec_b32 s0, s1
	s_cbranch_execz .LBB216_132
; %bb.131:
	v_lshlrev_b64_e32 v[15:16], 2, v[17:18]
	s_delay_alu instid0(VALU_DEP_1) | instskip(SKIP_1) | instid1(VALU_DEP_2)
	v_add_co_u32 v15, vcc_lo, s4, v15
	s_wait_alu 0xfffd
	v_add_co_ci_u32_e64 v16, null, s5, v16, vcc_lo
	global_store_b32 v[15:16], v29, off
.LBB216_132:
	s_wait_alu 0xfffe
	s_or_b32 exec_lo, exec_lo, s0
	s_branch .LBB216_116
.LBB216_133:
	s_mov_b32 s0, exec_lo
	v_cmpx_eq_u32_e32 1, v33
; %bb.134:
	v_sub_nc_u32_e32 v7, v27, v4
	s_delay_alu instid0(VALU_DEP_1)
	v_lshlrev_b32_e32 v7, 2, v7
	ds_store_b32 v7, v13
; %bb.135:
	s_wait_alu 0xfffe
	s_or_b32 exec_lo, exec_lo, s0
	v_and_b32_e32 v7, 1, v8
	s_mov_b32 s0, exec_lo
	s_delay_alu instid0(VALU_DEP_1)
	v_cmpx_eq_u32_e32 1, v7
; %bb.136:
	v_sub_nc_u32_e32 v7, v25, v4
	s_delay_alu instid0(VALU_DEP_1)
	v_lshlrev_b32_e32 v7, 2, v7
	ds_store_b32 v7, v14
; %bb.137:
	s_wait_alu 0xfffe
	s_or_b32 exec_lo, exec_lo, s0
	v_and_b32_e32 v1, 1, v1
	s_mov_b32 s0, exec_lo
	s_delay_alu instid0(VALU_DEP_1)
	;; [unrolled: 12-line block ×5, first 2 shown]
	v_cmpx_eq_u32_e32 1, v1
; %bb.144:
	v_sub_nc_u32_e32 v1, v6, v4
	s_delay_alu instid0(VALU_DEP_1)
	v_lshlrev_b32_e32 v1, 2, v1
	ds_store_b32 v1, v10
; %bb.145:
	s_wait_alu 0xfffe
	s_or_b32 exec_lo, exec_lo, s0
	s_and_saveexec_b32 s0, s14
; %bb.146:
	v_sub_nc_u32_e32 v1, v17, v4
	s_delay_alu instid0(VALU_DEP_1)
	v_lshlrev_b32_e32 v1, 2, v1
	ds_store_b32 v1, v29
; %bb.147:
	s_wait_alu 0xfffe
	s_or_b32 exec_lo, exec_lo, s0
	v_dual_mov_b32 v7, 0 :: v_dual_add_nc_u32 v6, 0x180, v0
	v_lshlrev_b64_e32 v[8:9], 2, v[4:5]
	s_lshl_b64 s[0:1], s[10:11], 2
	s_wait_storecnt 0x0
	s_wait_loadcnt_dscnt 0x0
	v_mov_b32_e32 v1, v7
	s_wait_kmcnt 0x0
	s_wait_alu 0xfffe
	s_add_nc_u64 s[0:1], s[2:3], s[0:1]
	s_barrier_signal -1
	s_wait_alu 0xfffe
	v_add_co_u32 v10, vcc_lo, s0, v8
	s_wait_alu 0xfffd
	v_add_co_ci_u32_e64 v11, null, s1, v9, vcc_lo
	v_dual_mov_b32 v9, v1 :: v_dual_mov_b32 v8, v0
	s_mov_b32 s1, 0
	s_barrier_wait -1
	global_inv scope:SCOPE_SE
.LBB216_148:                            ; =>This Inner Loop Header: Depth=1
	v_lshlrev_b32_e32 v1, 2, v8
	v_lshlrev_b64_e32 v[12:13], 2, v[8:9]
	v_dual_mov_b32 v9, v7 :: v_dual_mov_b32 v8, v6
	v_cmp_le_u64_e32 vcc_lo, v[2:3], v[6:7]
	ds_load_b32 v1, v1
	v_add_nc_u32_e32 v6, 0x180, v6
	v_add_co_u32 v12, s0, v10, v12
	s_wait_alu 0xf1ff
	v_add_co_ci_u32_e64 v13, null, v11, v13, s0
	s_wait_alu 0xfffe
	s_or_b32 s1, vcc_lo, s1
	s_wait_dscnt 0x0
	global_store_b32 v[12:13], v1, off
	s_wait_alu 0xfffe
	s_and_not1_b32 exec_lo, exec_lo, s1
	s_cbranch_execnz .LBB216_148
; %bb.149:
	s_or_b32 exec_lo, exec_lo, s1
	v_cmp_eq_u32_e32 vcc_lo, 0, v0
	s_and_b32 s0, vcc_lo, s12
	s_wait_alu 0xfffe
	s_and_saveexec_b32 s1, s0
	s_cbranch_execz .LBB216_117
.LBB216_150:
	v_add_co_u32 v0, vcc_lo, v4, v2
	s_wait_alu 0xfffd
	v_add_co_ci_u32_e64 v1, null, v5, v3, vcc_lo
	v_mov_b32_e32 v2, 0
	s_delay_alu instid0(VALU_DEP_3) | instskip(SKIP_1) | instid1(VALU_DEP_3)
	v_add_co_u32 v0, vcc_lo, v0, s10
	s_wait_alu 0xfffd
	v_add_co_ci_u32_e64 v1, null, s11, v1, vcc_lo
	global_store_b64 v2, v[0:1], s[8:9]
	s_endpgm
	.section	.rodata,"a",@progbits
	.p2align	6, 0x0
	.amdhsa_kernel _ZN7rocprim17ROCPRIM_400000_NS6detail17trampoline_kernelINS0_14default_configENS1_25partition_config_selectorILNS1_17partition_subalgoE6EiNS0_10empty_typeEbEEZZNS1_14partition_implILS5_6ELb0ES3_mN6thrust23THRUST_200600_302600_NS6detail15normal_iteratorINSA_10device_ptrIiEEEEPS6_SG_NS0_5tupleIJSF_S6_EEENSH_IJSG_SG_EEES6_PlJNSB_9not_fun_tINSB_10functional5actorINSM_9compositeIJNSM_27transparent_binary_operatorINSA_8equal_toIvEEEENSN_INSM_8argumentILj0EEEEENSM_5valueIiEEEEEEEEEEEE10hipError_tPvRmT3_T4_T5_T6_T7_T9_mT8_P12ihipStream_tbDpT10_ENKUlT_T0_E_clISt17integral_constantIbLb0EES1K_EEDaS1F_S1G_EUlS1F_E_NS1_11comp_targetILNS1_3genE10ELNS1_11target_archE1200ELNS1_3gpuE4ELNS1_3repE0EEENS1_30default_config_static_selectorELNS0_4arch9wavefront6targetE0EEEvT1_
		.amdhsa_group_segment_fixed_size 10768
		.amdhsa_private_segment_fixed_size 0
		.amdhsa_kernarg_size 120
		.amdhsa_user_sgpr_count 2
		.amdhsa_user_sgpr_dispatch_ptr 0
		.amdhsa_user_sgpr_queue_ptr 0
		.amdhsa_user_sgpr_kernarg_segment_ptr 1
		.amdhsa_user_sgpr_dispatch_id 0
		.amdhsa_user_sgpr_private_segment_size 0
		.amdhsa_wavefront_size32 1
		.amdhsa_uses_dynamic_stack 0
		.amdhsa_enable_private_segment 0
		.amdhsa_system_sgpr_workgroup_id_x 1
		.amdhsa_system_sgpr_workgroup_id_y 0
		.amdhsa_system_sgpr_workgroup_id_z 0
		.amdhsa_system_sgpr_workgroup_info 0
		.amdhsa_system_vgpr_workitem_id 0
		.amdhsa_next_free_vgpr 49
		.amdhsa_next_free_sgpr 18
		.amdhsa_reserve_vcc 1
		.amdhsa_float_round_mode_32 0
		.amdhsa_float_round_mode_16_64 0
		.amdhsa_float_denorm_mode_32 3
		.amdhsa_float_denorm_mode_16_64 3
		.amdhsa_fp16_overflow 0
		.amdhsa_workgroup_processor_mode 1
		.amdhsa_memory_ordered 1
		.amdhsa_forward_progress 1
		.amdhsa_inst_pref_size 59
		.amdhsa_round_robin_scheduling 0
		.amdhsa_exception_fp_ieee_invalid_op 0
		.amdhsa_exception_fp_denorm_src 0
		.amdhsa_exception_fp_ieee_div_zero 0
		.amdhsa_exception_fp_ieee_overflow 0
		.amdhsa_exception_fp_ieee_underflow 0
		.amdhsa_exception_fp_ieee_inexact 0
		.amdhsa_exception_int_div_zero 0
	.end_amdhsa_kernel
	.section	.text._ZN7rocprim17ROCPRIM_400000_NS6detail17trampoline_kernelINS0_14default_configENS1_25partition_config_selectorILNS1_17partition_subalgoE6EiNS0_10empty_typeEbEEZZNS1_14partition_implILS5_6ELb0ES3_mN6thrust23THRUST_200600_302600_NS6detail15normal_iteratorINSA_10device_ptrIiEEEEPS6_SG_NS0_5tupleIJSF_S6_EEENSH_IJSG_SG_EEES6_PlJNSB_9not_fun_tINSB_10functional5actorINSM_9compositeIJNSM_27transparent_binary_operatorINSA_8equal_toIvEEEENSN_INSM_8argumentILj0EEEEENSM_5valueIiEEEEEEEEEEEE10hipError_tPvRmT3_T4_T5_T6_T7_T9_mT8_P12ihipStream_tbDpT10_ENKUlT_T0_E_clISt17integral_constantIbLb0EES1K_EEDaS1F_S1G_EUlS1F_E_NS1_11comp_targetILNS1_3genE10ELNS1_11target_archE1200ELNS1_3gpuE4ELNS1_3repE0EEENS1_30default_config_static_selectorELNS0_4arch9wavefront6targetE0EEEvT1_,"axG",@progbits,_ZN7rocprim17ROCPRIM_400000_NS6detail17trampoline_kernelINS0_14default_configENS1_25partition_config_selectorILNS1_17partition_subalgoE6EiNS0_10empty_typeEbEEZZNS1_14partition_implILS5_6ELb0ES3_mN6thrust23THRUST_200600_302600_NS6detail15normal_iteratorINSA_10device_ptrIiEEEEPS6_SG_NS0_5tupleIJSF_S6_EEENSH_IJSG_SG_EEES6_PlJNSB_9not_fun_tINSB_10functional5actorINSM_9compositeIJNSM_27transparent_binary_operatorINSA_8equal_toIvEEEENSN_INSM_8argumentILj0EEEEENSM_5valueIiEEEEEEEEEEEE10hipError_tPvRmT3_T4_T5_T6_T7_T9_mT8_P12ihipStream_tbDpT10_ENKUlT_T0_E_clISt17integral_constantIbLb0EES1K_EEDaS1F_S1G_EUlS1F_E_NS1_11comp_targetILNS1_3genE10ELNS1_11target_archE1200ELNS1_3gpuE4ELNS1_3repE0EEENS1_30default_config_static_selectorELNS0_4arch9wavefront6targetE0EEEvT1_,comdat
.Lfunc_end216:
	.size	_ZN7rocprim17ROCPRIM_400000_NS6detail17trampoline_kernelINS0_14default_configENS1_25partition_config_selectorILNS1_17partition_subalgoE6EiNS0_10empty_typeEbEEZZNS1_14partition_implILS5_6ELb0ES3_mN6thrust23THRUST_200600_302600_NS6detail15normal_iteratorINSA_10device_ptrIiEEEEPS6_SG_NS0_5tupleIJSF_S6_EEENSH_IJSG_SG_EEES6_PlJNSB_9not_fun_tINSB_10functional5actorINSM_9compositeIJNSM_27transparent_binary_operatorINSA_8equal_toIvEEEENSN_INSM_8argumentILj0EEEEENSM_5valueIiEEEEEEEEEEEE10hipError_tPvRmT3_T4_T5_T6_T7_T9_mT8_P12ihipStream_tbDpT10_ENKUlT_T0_E_clISt17integral_constantIbLb0EES1K_EEDaS1F_S1G_EUlS1F_E_NS1_11comp_targetILNS1_3genE10ELNS1_11target_archE1200ELNS1_3gpuE4ELNS1_3repE0EEENS1_30default_config_static_selectorELNS0_4arch9wavefront6targetE0EEEvT1_, .Lfunc_end216-_ZN7rocprim17ROCPRIM_400000_NS6detail17trampoline_kernelINS0_14default_configENS1_25partition_config_selectorILNS1_17partition_subalgoE6EiNS0_10empty_typeEbEEZZNS1_14partition_implILS5_6ELb0ES3_mN6thrust23THRUST_200600_302600_NS6detail15normal_iteratorINSA_10device_ptrIiEEEEPS6_SG_NS0_5tupleIJSF_S6_EEENSH_IJSG_SG_EEES6_PlJNSB_9not_fun_tINSB_10functional5actorINSM_9compositeIJNSM_27transparent_binary_operatorINSA_8equal_toIvEEEENSN_INSM_8argumentILj0EEEEENSM_5valueIiEEEEEEEEEEEE10hipError_tPvRmT3_T4_T5_T6_T7_T9_mT8_P12ihipStream_tbDpT10_ENKUlT_T0_E_clISt17integral_constantIbLb0EES1K_EEDaS1F_S1G_EUlS1F_E_NS1_11comp_targetILNS1_3genE10ELNS1_11target_archE1200ELNS1_3gpuE4ELNS1_3repE0EEENS1_30default_config_static_selectorELNS0_4arch9wavefront6targetE0EEEvT1_
                                        ; -- End function
	.set _ZN7rocprim17ROCPRIM_400000_NS6detail17trampoline_kernelINS0_14default_configENS1_25partition_config_selectorILNS1_17partition_subalgoE6EiNS0_10empty_typeEbEEZZNS1_14partition_implILS5_6ELb0ES3_mN6thrust23THRUST_200600_302600_NS6detail15normal_iteratorINSA_10device_ptrIiEEEEPS6_SG_NS0_5tupleIJSF_S6_EEENSH_IJSG_SG_EEES6_PlJNSB_9not_fun_tINSB_10functional5actorINSM_9compositeIJNSM_27transparent_binary_operatorINSA_8equal_toIvEEEENSN_INSM_8argumentILj0EEEEENSM_5valueIiEEEEEEEEEEEE10hipError_tPvRmT3_T4_T5_T6_T7_T9_mT8_P12ihipStream_tbDpT10_ENKUlT_T0_E_clISt17integral_constantIbLb0EES1K_EEDaS1F_S1G_EUlS1F_E_NS1_11comp_targetILNS1_3genE10ELNS1_11target_archE1200ELNS1_3gpuE4ELNS1_3repE0EEENS1_30default_config_static_selectorELNS0_4arch9wavefront6targetE0EEEvT1_.num_vgpr, 49
	.set _ZN7rocprim17ROCPRIM_400000_NS6detail17trampoline_kernelINS0_14default_configENS1_25partition_config_selectorILNS1_17partition_subalgoE6EiNS0_10empty_typeEbEEZZNS1_14partition_implILS5_6ELb0ES3_mN6thrust23THRUST_200600_302600_NS6detail15normal_iteratorINSA_10device_ptrIiEEEEPS6_SG_NS0_5tupleIJSF_S6_EEENSH_IJSG_SG_EEES6_PlJNSB_9not_fun_tINSB_10functional5actorINSM_9compositeIJNSM_27transparent_binary_operatorINSA_8equal_toIvEEEENSN_INSM_8argumentILj0EEEEENSM_5valueIiEEEEEEEEEEEE10hipError_tPvRmT3_T4_T5_T6_T7_T9_mT8_P12ihipStream_tbDpT10_ENKUlT_T0_E_clISt17integral_constantIbLb0EES1K_EEDaS1F_S1G_EUlS1F_E_NS1_11comp_targetILNS1_3genE10ELNS1_11target_archE1200ELNS1_3gpuE4ELNS1_3repE0EEENS1_30default_config_static_selectorELNS0_4arch9wavefront6targetE0EEEvT1_.num_agpr, 0
	.set _ZN7rocprim17ROCPRIM_400000_NS6detail17trampoline_kernelINS0_14default_configENS1_25partition_config_selectorILNS1_17partition_subalgoE6EiNS0_10empty_typeEbEEZZNS1_14partition_implILS5_6ELb0ES3_mN6thrust23THRUST_200600_302600_NS6detail15normal_iteratorINSA_10device_ptrIiEEEEPS6_SG_NS0_5tupleIJSF_S6_EEENSH_IJSG_SG_EEES6_PlJNSB_9not_fun_tINSB_10functional5actorINSM_9compositeIJNSM_27transparent_binary_operatorINSA_8equal_toIvEEEENSN_INSM_8argumentILj0EEEEENSM_5valueIiEEEEEEEEEEEE10hipError_tPvRmT3_T4_T5_T6_T7_T9_mT8_P12ihipStream_tbDpT10_ENKUlT_T0_E_clISt17integral_constantIbLb0EES1K_EEDaS1F_S1G_EUlS1F_E_NS1_11comp_targetILNS1_3genE10ELNS1_11target_archE1200ELNS1_3gpuE4ELNS1_3repE0EEENS1_30default_config_static_selectorELNS0_4arch9wavefront6targetE0EEEvT1_.numbered_sgpr, 18
	.set _ZN7rocprim17ROCPRIM_400000_NS6detail17trampoline_kernelINS0_14default_configENS1_25partition_config_selectorILNS1_17partition_subalgoE6EiNS0_10empty_typeEbEEZZNS1_14partition_implILS5_6ELb0ES3_mN6thrust23THRUST_200600_302600_NS6detail15normal_iteratorINSA_10device_ptrIiEEEEPS6_SG_NS0_5tupleIJSF_S6_EEENSH_IJSG_SG_EEES6_PlJNSB_9not_fun_tINSB_10functional5actorINSM_9compositeIJNSM_27transparent_binary_operatorINSA_8equal_toIvEEEENSN_INSM_8argumentILj0EEEEENSM_5valueIiEEEEEEEEEEEE10hipError_tPvRmT3_T4_T5_T6_T7_T9_mT8_P12ihipStream_tbDpT10_ENKUlT_T0_E_clISt17integral_constantIbLb0EES1K_EEDaS1F_S1G_EUlS1F_E_NS1_11comp_targetILNS1_3genE10ELNS1_11target_archE1200ELNS1_3gpuE4ELNS1_3repE0EEENS1_30default_config_static_selectorELNS0_4arch9wavefront6targetE0EEEvT1_.num_named_barrier, 0
	.set _ZN7rocprim17ROCPRIM_400000_NS6detail17trampoline_kernelINS0_14default_configENS1_25partition_config_selectorILNS1_17partition_subalgoE6EiNS0_10empty_typeEbEEZZNS1_14partition_implILS5_6ELb0ES3_mN6thrust23THRUST_200600_302600_NS6detail15normal_iteratorINSA_10device_ptrIiEEEEPS6_SG_NS0_5tupleIJSF_S6_EEENSH_IJSG_SG_EEES6_PlJNSB_9not_fun_tINSB_10functional5actorINSM_9compositeIJNSM_27transparent_binary_operatorINSA_8equal_toIvEEEENSN_INSM_8argumentILj0EEEEENSM_5valueIiEEEEEEEEEEEE10hipError_tPvRmT3_T4_T5_T6_T7_T9_mT8_P12ihipStream_tbDpT10_ENKUlT_T0_E_clISt17integral_constantIbLb0EES1K_EEDaS1F_S1G_EUlS1F_E_NS1_11comp_targetILNS1_3genE10ELNS1_11target_archE1200ELNS1_3gpuE4ELNS1_3repE0EEENS1_30default_config_static_selectorELNS0_4arch9wavefront6targetE0EEEvT1_.private_seg_size, 0
	.set _ZN7rocprim17ROCPRIM_400000_NS6detail17trampoline_kernelINS0_14default_configENS1_25partition_config_selectorILNS1_17partition_subalgoE6EiNS0_10empty_typeEbEEZZNS1_14partition_implILS5_6ELb0ES3_mN6thrust23THRUST_200600_302600_NS6detail15normal_iteratorINSA_10device_ptrIiEEEEPS6_SG_NS0_5tupleIJSF_S6_EEENSH_IJSG_SG_EEES6_PlJNSB_9not_fun_tINSB_10functional5actorINSM_9compositeIJNSM_27transparent_binary_operatorINSA_8equal_toIvEEEENSN_INSM_8argumentILj0EEEEENSM_5valueIiEEEEEEEEEEEE10hipError_tPvRmT3_T4_T5_T6_T7_T9_mT8_P12ihipStream_tbDpT10_ENKUlT_T0_E_clISt17integral_constantIbLb0EES1K_EEDaS1F_S1G_EUlS1F_E_NS1_11comp_targetILNS1_3genE10ELNS1_11target_archE1200ELNS1_3gpuE4ELNS1_3repE0EEENS1_30default_config_static_selectorELNS0_4arch9wavefront6targetE0EEEvT1_.uses_vcc, 1
	.set _ZN7rocprim17ROCPRIM_400000_NS6detail17trampoline_kernelINS0_14default_configENS1_25partition_config_selectorILNS1_17partition_subalgoE6EiNS0_10empty_typeEbEEZZNS1_14partition_implILS5_6ELb0ES3_mN6thrust23THRUST_200600_302600_NS6detail15normal_iteratorINSA_10device_ptrIiEEEEPS6_SG_NS0_5tupleIJSF_S6_EEENSH_IJSG_SG_EEES6_PlJNSB_9not_fun_tINSB_10functional5actorINSM_9compositeIJNSM_27transparent_binary_operatorINSA_8equal_toIvEEEENSN_INSM_8argumentILj0EEEEENSM_5valueIiEEEEEEEEEEEE10hipError_tPvRmT3_T4_T5_T6_T7_T9_mT8_P12ihipStream_tbDpT10_ENKUlT_T0_E_clISt17integral_constantIbLb0EES1K_EEDaS1F_S1G_EUlS1F_E_NS1_11comp_targetILNS1_3genE10ELNS1_11target_archE1200ELNS1_3gpuE4ELNS1_3repE0EEENS1_30default_config_static_selectorELNS0_4arch9wavefront6targetE0EEEvT1_.uses_flat_scratch, 1
	.set _ZN7rocprim17ROCPRIM_400000_NS6detail17trampoline_kernelINS0_14default_configENS1_25partition_config_selectorILNS1_17partition_subalgoE6EiNS0_10empty_typeEbEEZZNS1_14partition_implILS5_6ELb0ES3_mN6thrust23THRUST_200600_302600_NS6detail15normal_iteratorINSA_10device_ptrIiEEEEPS6_SG_NS0_5tupleIJSF_S6_EEENSH_IJSG_SG_EEES6_PlJNSB_9not_fun_tINSB_10functional5actorINSM_9compositeIJNSM_27transparent_binary_operatorINSA_8equal_toIvEEEENSN_INSM_8argumentILj0EEEEENSM_5valueIiEEEEEEEEEEEE10hipError_tPvRmT3_T4_T5_T6_T7_T9_mT8_P12ihipStream_tbDpT10_ENKUlT_T0_E_clISt17integral_constantIbLb0EES1K_EEDaS1F_S1G_EUlS1F_E_NS1_11comp_targetILNS1_3genE10ELNS1_11target_archE1200ELNS1_3gpuE4ELNS1_3repE0EEENS1_30default_config_static_selectorELNS0_4arch9wavefront6targetE0EEEvT1_.has_dyn_sized_stack, 0
	.set _ZN7rocprim17ROCPRIM_400000_NS6detail17trampoline_kernelINS0_14default_configENS1_25partition_config_selectorILNS1_17partition_subalgoE6EiNS0_10empty_typeEbEEZZNS1_14partition_implILS5_6ELb0ES3_mN6thrust23THRUST_200600_302600_NS6detail15normal_iteratorINSA_10device_ptrIiEEEEPS6_SG_NS0_5tupleIJSF_S6_EEENSH_IJSG_SG_EEES6_PlJNSB_9not_fun_tINSB_10functional5actorINSM_9compositeIJNSM_27transparent_binary_operatorINSA_8equal_toIvEEEENSN_INSM_8argumentILj0EEEEENSM_5valueIiEEEEEEEEEEEE10hipError_tPvRmT3_T4_T5_T6_T7_T9_mT8_P12ihipStream_tbDpT10_ENKUlT_T0_E_clISt17integral_constantIbLb0EES1K_EEDaS1F_S1G_EUlS1F_E_NS1_11comp_targetILNS1_3genE10ELNS1_11target_archE1200ELNS1_3gpuE4ELNS1_3repE0EEENS1_30default_config_static_selectorELNS0_4arch9wavefront6targetE0EEEvT1_.has_recursion, 0
	.set _ZN7rocprim17ROCPRIM_400000_NS6detail17trampoline_kernelINS0_14default_configENS1_25partition_config_selectorILNS1_17partition_subalgoE6EiNS0_10empty_typeEbEEZZNS1_14partition_implILS5_6ELb0ES3_mN6thrust23THRUST_200600_302600_NS6detail15normal_iteratorINSA_10device_ptrIiEEEEPS6_SG_NS0_5tupleIJSF_S6_EEENSH_IJSG_SG_EEES6_PlJNSB_9not_fun_tINSB_10functional5actorINSM_9compositeIJNSM_27transparent_binary_operatorINSA_8equal_toIvEEEENSN_INSM_8argumentILj0EEEEENSM_5valueIiEEEEEEEEEEEE10hipError_tPvRmT3_T4_T5_T6_T7_T9_mT8_P12ihipStream_tbDpT10_ENKUlT_T0_E_clISt17integral_constantIbLb0EES1K_EEDaS1F_S1G_EUlS1F_E_NS1_11comp_targetILNS1_3genE10ELNS1_11target_archE1200ELNS1_3gpuE4ELNS1_3repE0EEENS1_30default_config_static_selectorELNS0_4arch9wavefront6targetE0EEEvT1_.has_indirect_call, 0
	.section	.AMDGPU.csdata,"",@progbits
; Kernel info:
; codeLenInByte = 7456
; TotalNumSgprs: 20
; NumVgprs: 49
; ScratchSize: 0
; MemoryBound: 0
; FloatMode: 240
; IeeeMode: 1
; LDSByteSize: 10768 bytes/workgroup (compile time only)
; SGPRBlocks: 0
; VGPRBlocks: 6
; NumSGPRsForWavesPerEU: 20
; NumVGPRsForWavesPerEU: 49
; Occupancy: 15
; WaveLimiterHint : 1
; COMPUTE_PGM_RSRC2:SCRATCH_EN: 0
; COMPUTE_PGM_RSRC2:USER_SGPR: 2
; COMPUTE_PGM_RSRC2:TRAP_HANDLER: 0
; COMPUTE_PGM_RSRC2:TGID_X_EN: 1
; COMPUTE_PGM_RSRC2:TGID_Y_EN: 0
; COMPUTE_PGM_RSRC2:TGID_Z_EN: 0
; COMPUTE_PGM_RSRC2:TIDIG_COMP_CNT: 0
	.section	.text._ZN7rocprim17ROCPRIM_400000_NS6detail17trampoline_kernelINS0_14default_configENS1_25partition_config_selectorILNS1_17partition_subalgoE6EiNS0_10empty_typeEbEEZZNS1_14partition_implILS5_6ELb0ES3_mN6thrust23THRUST_200600_302600_NS6detail15normal_iteratorINSA_10device_ptrIiEEEEPS6_SG_NS0_5tupleIJSF_S6_EEENSH_IJSG_SG_EEES6_PlJNSB_9not_fun_tINSB_10functional5actorINSM_9compositeIJNSM_27transparent_binary_operatorINSA_8equal_toIvEEEENSN_INSM_8argumentILj0EEEEENSM_5valueIiEEEEEEEEEEEE10hipError_tPvRmT3_T4_T5_T6_T7_T9_mT8_P12ihipStream_tbDpT10_ENKUlT_T0_E_clISt17integral_constantIbLb0EES1K_EEDaS1F_S1G_EUlS1F_E_NS1_11comp_targetILNS1_3genE9ELNS1_11target_archE1100ELNS1_3gpuE3ELNS1_3repE0EEENS1_30default_config_static_selectorELNS0_4arch9wavefront6targetE0EEEvT1_,"axG",@progbits,_ZN7rocprim17ROCPRIM_400000_NS6detail17trampoline_kernelINS0_14default_configENS1_25partition_config_selectorILNS1_17partition_subalgoE6EiNS0_10empty_typeEbEEZZNS1_14partition_implILS5_6ELb0ES3_mN6thrust23THRUST_200600_302600_NS6detail15normal_iteratorINSA_10device_ptrIiEEEEPS6_SG_NS0_5tupleIJSF_S6_EEENSH_IJSG_SG_EEES6_PlJNSB_9not_fun_tINSB_10functional5actorINSM_9compositeIJNSM_27transparent_binary_operatorINSA_8equal_toIvEEEENSN_INSM_8argumentILj0EEEEENSM_5valueIiEEEEEEEEEEEE10hipError_tPvRmT3_T4_T5_T6_T7_T9_mT8_P12ihipStream_tbDpT10_ENKUlT_T0_E_clISt17integral_constantIbLb0EES1K_EEDaS1F_S1G_EUlS1F_E_NS1_11comp_targetILNS1_3genE9ELNS1_11target_archE1100ELNS1_3gpuE3ELNS1_3repE0EEENS1_30default_config_static_selectorELNS0_4arch9wavefront6targetE0EEEvT1_,comdat
	.protected	_ZN7rocprim17ROCPRIM_400000_NS6detail17trampoline_kernelINS0_14default_configENS1_25partition_config_selectorILNS1_17partition_subalgoE6EiNS0_10empty_typeEbEEZZNS1_14partition_implILS5_6ELb0ES3_mN6thrust23THRUST_200600_302600_NS6detail15normal_iteratorINSA_10device_ptrIiEEEEPS6_SG_NS0_5tupleIJSF_S6_EEENSH_IJSG_SG_EEES6_PlJNSB_9not_fun_tINSB_10functional5actorINSM_9compositeIJNSM_27transparent_binary_operatorINSA_8equal_toIvEEEENSN_INSM_8argumentILj0EEEEENSM_5valueIiEEEEEEEEEEEE10hipError_tPvRmT3_T4_T5_T6_T7_T9_mT8_P12ihipStream_tbDpT10_ENKUlT_T0_E_clISt17integral_constantIbLb0EES1K_EEDaS1F_S1G_EUlS1F_E_NS1_11comp_targetILNS1_3genE9ELNS1_11target_archE1100ELNS1_3gpuE3ELNS1_3repE0EEENS1_30default_config_static_selectorELNS0_4arch9wavefront6targetE0EEEvT1_ ; -- Begin function _ZN7rocprim17ROCPRIM_400000_NS6detail17trampoline_kernelINS0_14default_configENS1_25partition_config_selectorILNS1_17partition_subalgoE6EiNS0_10empty_typeEbEEZZNS1_14partition_implILS5_6ELb0ES3_mN6thrust23THRUST_200600_302600_NS6detail15normal_iteratorINSA_10device_ptrIiEEEEPS6_SG_NS0_5tupleIJSF_S6_EEENSH_IJSG_SG_EEES6_PlJNSB_9not_fun_tINSB_10functional5actorINSM_9compositeIJNSM_27transparent_binary_operatorINSA_8equal_toIvEEEENSN_INSM_8argumentILj0EEEEENSM_5valueIiEEEEEEEEEEEE10hipError_tPvRmT3_T4_T5_T6_T7_T9_mT8_P12ihipStream_tbDpT10_ENKUlT_T0_E_clISt17integral_constantIbLb0EES1K_EEDaS1F_S1G_EUlS1F_E_NS1_11comp_targetILNS1_3genE9ELNS1_11target_archE1100ELNS1_3gpuE3ELNS1_3repE0EEENS1_30default_config_static_selectorELNS0_4arch9wavefront6targetE0EEEvT1_
	.globl	_ZN7rocprim17ROCPRIM_400000_NS6detail17trampoline_kernelINS0_14default_configENS1_25partition_config_selectorILNS1_17partition_subalgoE6EiNS0_10empty_typeEbEEZZNS1_14partition_implILS5_6ELb0ES3_mN6thrust23THRUST_200600_302600_NS6detail15normal_iteratorINSA_10device_ptrIiEEEEPS6_SG_NS0_5tupleIJSF_S6_EEENSH_IJSG_SG_EEES6_PlJNSB_9not_fun_tINSB_10functional5actorINSM_9compositeIJNSM_27transparent_binary_operatorINSA_8equal_toIvEEEENSN_INSM_8argumentILj0EEEEENSM_5valueIiEEEEEEEEEEEE10hipError_tPvRmT3_T4_T5_T6_T7_T9_mT8_P12ihipStream_tbDpT10_ENKUlT_T0_E_clISt17integral_constantIbLb0EES1K_EEDaS1F_S1G_EUlS1F_E_NS1_11comp_targetILNS1_3genE9ELNS1_11target_archE1100ELNS1_3gpuE3ELNS1_3repE0EEENS1_30default_config_static_selectorELNS0_4arch9wavefront6targetE0EEEvT1_
	.p2align	8
	.type	_ZN7rocprim17ROCPRIM_400000_NS6detail17trampoline_kernelINS0_14default_configENS1_25partition_config_selectorILNS1_17partition_subalgoE6EiNS0_10empty_typeEbEEZZNS1_14partition_implILS5_6ELb0ES3_mN6thrust23THRUST_200600_302600_NS6detail15normal_iteratorINSA_10device_ptrIiEEEEPS6_SG_NS0_5tupleIJSF_S6_EEENSH_IJSG_SG_EEES6_PlJNSB_9not_fun_tINSB_10functional5actorINSM_9compositeIJNSM_27transparent_binary_operatorINSA_8equal_toIvEEEENSN_INSM_8argumentILj0EEEEENSM_5valueIiEEEEEEEEEEEE10hipError_tPvRmT3_T4_T5_T6_T7_T9_mT8_P12ihipStream_tbDpT10_ENKUlT_T0_E_clISt17integral_constantIbLb0EES1K_EEDaS1F_S1G_EUlS1F_E_NS1_11comp_targetILNS1_3genE9ELNS1_11target_archE1100ELNS1_3gpuE3ELNS1_3repE0EEENS1_30default_config_static_selectorELNS0_4arch9wavefront6targetE0EEEvT1_,@function
_ZN7rocprim17ROCPRIM_400000_NS6detail17trampoline_kernelINS0_14default_configENS1_25partition_config_selectorILNS1_17partition_subalgoE6EiNS0_10empty_typeEbEEZZNS1_14partition_implILS5_6ELb0ES3_mN6thrust23THRUST_200600_302600_NS6detail15normal_iteratorINSA_10device_ptrIiEEEEPS6_SG_NS0_5tupleIJSF_S6_EEENSH_IJSG_SG_EEES6_PlJNSB_9not_fun_tINSB_10functional5actorINSM_9compositeIJNSM_27transparent_binary_operatorINSA_8equal_toIvEEEENSN_INSM_8argumentILj0EEEEENSM_5valueIiEEEEEEEEEEEE10hipError_tPvRmT3_T4_T5_T6_T7_T9_mT8_P12ihipStream_tbDpT10_ENKUlT_T0_E_clISt17integral_constantIbLb0EES1K_EEDaS1F_S1G_EUlS1F_E_NS1_11comp_targetILNS1_3genE9ELNS1_11target_archE1100ELNS1_3gpuE3ELNS1_3repE0EEENS1_30default_config_static_selectorELNS0_4arch9wavefront6targetE0EEEvT1_: ; @_ZN7rocprim17ROCPRIM_400000_NS6detail17trampoline_kernelINS0_14default_configENS1_25partition_config_selectorILNS1_17partition_subalgoE6EiNS0_10empty_typeEbEEZZNS1_14partition_implILS5_6ELb0ES3_mN6thrust23THRUST_200600_302600_NS6detail15normal_iteratorINSA_10device_ptrIiEEEEPS6_SG_NS0_5tupleIJSF_S6_EEENSH_IJSG_SG_EEES6_PlJNSB_9not_fun_tINSB_10functional5actorINSM_9compositeIJNSM_27transparent_binary_operatorINSA_8equal_toIvEEEENSN_INSM_8argumentILj0EEEEENSM_5valueIiEEEEEEEEEEEE10hipError_tPvRmT3_T4_T5_T6_T7_T9_mT8_P12ihipStream_tbDpT10_ENKUlT_T0_E_clISt17integral_constantIbLb0EES1K_EEDaS1F_S1G_EUlS1F_E_NS1_11comp_targetILNS1_3genE9ELNS1_11target_archE1100ELNS1_3gpuE3ELNS1_3repE0EEENS1_30default_config_static_selectorELNS0_4arch9wavefront6targetE0EEEvT1_
; %bb.0:
	.section	.rodata,"a",@progbits
	.p2align	6, 0x0
	.amdhsa_kernel _ZN7rocprim17ROCPRIM_400000_NS6detail17trampoline_kernelINS0_14default_configENS1_25partition_config_selectorILNS1_17partition_subalgoE6EiNS0_10empty_typeEbEEZZNS1_14partition_implILS5_6ELb0ES3_mN6thrust23THRUST_200600_302600_NS6detail15normal_iteratorINSA_10device_ptrIiEEEEPS6_SG_NS0_5tupleIJSF_S6_EEENSH_IJSG_SG_EEES6_PlJNSB_9not_fun_tINSB_10functional5actorINSM_9compositeIJNSM_27transparent_binary_operatorINSA_8equal_toIvEEEENSN_INSM_8argumentILj0EEEEENSM_5valueIiEEEEEEEEEEEE10hipError_tPvRmT3_T4_T5_T6_T7_T9_mT8_P12ihipStream_tbDpT10_ENKUlT_T0_E_clISt17integral_constantIbLb0EES1K_EEDaS1F_S1G_EUlS1F_E_NS1_11comp_targetILNS1_3genE9ELNS1_11target_archE1100ELNS1_3gpuE3ELNS1_3repE0EEENS1_30default_config_static_selectorELNS0_4arch9wavefront6targetE0EEEvT1_
		.amdhsa_group_segment_fixed_size 0
		.amdhsa_private_segment_fixed_size 0
		.amdhsa_kernarg_size 120
		.amdhsa_user_sgpr_count 2
		.amdhsa_user_sgpr_dispatch_ptr 0
		.amdhsa_user_sgpr_queue_ptr 0
		.amdhsa_user_sgpr_kernarg_segment_ptr 1
		.amdhsa_user_sgpr_dispatch_id 0
		.amdhsa_user_sgpr_private_segment_size 0
		.amdhsa_wavefront_size32 1
		.amdhsa_uses_dynamic_stack 0
		.amdhsa_enable_private_segment 0
		.amdhsa_system_sgpr_workgroup_id_x 1
		.amdhsa_system_sgpr_workgroup_id_y 0
		.amdhsa_system_sgpr_workgroup_id_z 0
		.amdhsa_system_sgpr_workgroup_info 0
		.amdhsa_system_vgpr_workitem_id 0
		.amdhsa_next_free_vgpr 1
		.amdhsa_next_free_sgpr 1
		.amdhsa_reserve_vcc 0
		.amdhsa_float_round_mode_32 0
		.amdhsa_float_round_mode_16_64 0
		.amdhsa_float_denorm_mode_32 3
		.amdhsa_float_denorm_mode_16_64 3
		.amdhsa_fp16_overflow 0
		.amdhsa_workgroup_processor_mode 1
		.amdhsa_memory_ordered 1
		.amdhsa_forward_progress 1
		.amdhsa_inst_pref_size 0
		.amdhsa_round_robin_scheduling 0
		.amdhsa_exception_fp_ieee_invalid_op 0
		.amdhsa_exception_fp_denorm_src 0
		.amdhsa_exception_fp_ieee_div_zero 0
		.amdhsa_exception_fp_ieee_overflow 0
		.amdhsa_exception_fp_ieee_underflow 0
		.amdhsa_exception_fp_ieee_inexact 0
		.amdhsa_exception_int_div_zero 0
	.end_amdhsa_kernel
	.section	.text._ZN7rocprim17ROCPRIM_400000_NS6detail17trampoline_kernelINS0_14default_configENS1_25partition_config_selectorILNS1_17partition_subalgoE6EiNS0_10empty_typeEbEEZZNS1_14partition_implILS5_6ELb0ES3_mN6thrust23THRUST_200600_302600_NS6detail15normal_iteratorINSA_10device_ptrIiEEEEPS6_SG_NS0_5tupleIJSF_S6_EEENSH_IJSG_SG_EEES6_PlJNSB_9not_fun_tINSB_10functional5actorINSM_9compositeIJNSM_27transparent_binary_operatorINSA_8equal_toIvEEEENSN_INSM_8argumentILj0EEEEENSM_5valueIiEEEEEEEEEEEE10hipError_tPvRmT3_T4_T5_T6_T7_T9_mT8_P12ihipStream_tbDpT10_ENKUlT_T0_E_clISt17integral_constantIbLb0EES1K_EEDaS1F_S1G_EUlS1F_E_NS1_11comp_targetILNS1_3genE9ELNS1_11target_archE1100ELNS1_3gpuE3ELNS1_3repE0EEENS1_30default_config_static_selectorELNS0_4arch9wavefront6targetE0EEEvT1_,"axG",@progbits,_ZN7rocprim17ROCPRIM_400000_NS6detail17trampoline_kernelINS0_14default_configENS1_25partition_config_selectorILNS1_17partition_subalgoE6EiNS0_10empty_typeEbEEZZNS1_14partition_implILS5_6ELb0ES3_mN6thrust23THRUST_200600_302600_NS6detail15normal_iteratorINSA_10device_ptrIiEEEEPS6_SG_NS0_5tupleIJSF_S6_EEENSH_IJSG_SG_EEES6_PlJNSB_9not_fun_tINSB_10functional5actorINSM_9compositeIJNSM_27transparent_binary_operatorINSA_8equal_toIvEEEENSN_INSM_8argumentILj0EEEEENSM_5valueIiEEEEEEEEEEEE10hipError_tPvRmT3_T4_T5_T6_T7_T9_mT8_P12ihipStream_tbDpT10_ENKUlT_T0_E_clISt17integral_constantIbLb0EES1K_EEDaS1F_S1G_EUlS1F_E_NS1_11comp_targetILNS1_3genE9ELNS1_11target_archE1100ELNS1_3gpuE3ELNS1_3repE0EEENS1_30default_config_static_selectorELNS0_4arch9wavefront6targetE0EEEvT1_,comdat
.Lfunc_end217:
	.size	_ZN7rocprim17ROCPRIM_400000_NS6detail17trampoline_kernelINS0_14default_configENS1_25partition_config_selectorILNS1_17partition_subalgoE6EiNS0_10empty_typeEbEEZZNS1_14partition_implILS5_6ELb0ES3_mN6thrust23THRUST_200600_302600_NS6detail15normal_iteratorINSA_10device_ptrIiEEEEPS6_SG_NS0_5tupleIJSF_S6_EEENSH_IJSG_SG_EEES6_PlJNSB_9not_fun_tINSB_10functional5actorINSM_9compositeIJNSM_27transparent_binary_operatorINSA_8equal_toIvEEEENSN_INSM_8argumentILj0EEEEENSM_5valueIiEEEEEEEEEEEE10hipError_tPvRmT3_T4_T5_T6_T7_T9_mT8_P12ihipStream_tbDpT10_ENKUlT_T0_E_clISt17integral_constantIbLb0EES1K_EEDaS1F_S1G_EUlS1F_E_NS1_11comp_targetILNS1_3genE9ELNS1_11target_archE1100ELNS1_3gpuE3ELNS1_3repE0EEENS1_30default_config_static_selectorELNS0_4arch9wavefront6targetE0EEEvT1_, .Lfunc_end217-_ZN7rocprim17ROCPRIM_400000_NS6detail17trampoline_kernelINS0_14default_configENS1_25partition_config_selectorILNS1_17partition_subalgoE6EiNS0_10empty_typeEbEEZZNS1_14partition_implILS5_6ELb0ES3_mN6thrust23THRUST_200600_302600_NS6detail15normal_iteratorINSA_10device_ptrIiEEEEPS6_SG_NS0_5tupleIJSF_S6_EEENSH_IJSG_SG_EEES6_PlJNSB_9not_fun_tINSB_10functional5actorINSM_9compositeIJNSM_27transparent_binary_operatorINSA_8equal_toIvEEEENSN_INSM_8argumentILj0EEEEENSM_5valueIiEEEEEEEEEEEE10hipError_tPvRmT3_T4_T5_T6_T7_T9_mT8_P12ihipStream_tbDpT10_ENKUlT_T0_E_clISt17integral_constantIbLb0EES1K_EEDaS1F_S1G_EUlS1F_E_NS1_11comp_targetILNS1_3genE9ELNS1_11target_archE1100ELNS1_3gpuE3ELNS1_3repE0EEENS1_30default_config_static_selectorELNS0_4arch9wavefront6targetE0EEEvT1_
                                        ; -- End function
	.set _ZN7rocprim17ROCPRIM_400000_NS6detail17trampoline_kernelINS0_14default_configENS1_25partition_config_selectorILNS1_17partition_subalgoE6EiNS0_10empty_typeEbEEZZNS1_14partition_implILS5_6ELb0ES3_mN6thrust23THRUST_200600_302600_NS6detail15normal_iteratorINSA_10device_ptrIiEEEEPS6_SG_NS0_5tupleIJSF_S6_EEENSH_IJSG_SG_EEES6_PlJNSB_9not_fun_tINSB_10functional5actorINSM_9compositeIJNSM_27transparent_binary_operatorINSA_8equal_toIvEEEENSN_INSM_8argumentILj0EEEEENSM_5valueIiEEEEEEEEEEEE10hipError_tPvRmT3_T4_T5_T6_T7_T9_mT8_P12ihipStream_tbDpT10_ENKUlT_T0_E_clISt17integral_constantIbLb0EES1K_EEDaS1F_S1G_EUlS1F_E_NS1_11comp_targetILNS1_3genE9ELNS1_11target_archE1100ELNS1_3gpuE3ELNS1_3repE0EEENS1_30default_config_static_selectorELNS0_4arch9wavefront6targetE0EEEvT1_.num_vgpr, 0
	.set _ZN7rocprim17ROCPRIM_400000_NS6detail17trampoline_kernelINS0_14default_configENS1_25partition_config_selectorILNS1_17partition_subalgoE6EiNS0_10empty_typeEbEEZZNS1_14partition_implILS5_6ELb0ES3_mN6thrust23THRUST_200600_302600_NS6detail15normal_iteratorINSA_10device_ptrIiEEEEPS6_SG_NS0_5tupleIJSF_S6_EEENSH_IJSG_SG_EEES6_PlJNSB_9not_fun_tINSB_10functional5actorINSM_9compositeIJNSM_27transparent_binary_operatorINSA_8equal_toIvEEEENSN_INSM_8argumentILj0EEEEENSM_5valueIiEEEEEEEEEEEE10hipError_tPvRmT3_T4_T5_T6_T7_T9_mT8_P12ihipStream_tbDpT10_ENKUlT_T0_E_clISt17integral_constantIbLb0EES1K_EEDaS1F_S1G_EUlS1F_E_NS1_11comp_targetILNS1_3genE9ELNS1_11target_archE1100ELNS1_3gpuE3ELNS1_3repE0EEENS1_30default_config_static_selectorELNS0_4arch9wavefront6targetE0EEEvT1_.num_agpr, 0
	.set _ZN7rocprim17ROCPRIM_400000_NS6detail17trampoline_kernelINS0_14default_configENS1_25partition_config_selectorILNS1_17partition_subalgoE6EiNS0_10empty_typeEbEEZZNS1_14partition_implILS5_6ELb0ES3_mN6thrust23THRUST_200600_302600_NS6detail15normal_iteratorINSA_10device_ptrIiEEEEPS6_SG_NS0_5tupleIJSF_S6_EEENSH_IJSG_SG_EEES6_PlJNSB_9not_fun_tINSB_10functional5actorINSM_9compositeIJNSM_27transparent_binary_operatorINSA_8equal_toIvEEEENSN_INSM_8argumentILj0EEEEENSM_5valueIiEEEEEEEEEEEE10hipError_tPvRmT3_T4_T5_T6_T7_T9_mT8_P12ihipStream_tbDpT10_ENKUlT_T0_E_clISt17integral_constantIbLb0EES1K_EEDaS1F_S1G_EUlS1F_E_NS1_11comp_targetILNS1_3genE9ELNS1_11target_archE1100ELNS1_3gpuE3ELNS1_3repE0EEENS1_30default_config_static_selectorELNS0_4arch9wavefront6targetE0EEEvT1_.numbered_sgpr, 0
	.set _ZN7rocprim17ROCPRIM_400000_NS6detail17trampoline_kernelINS0_14default_configENS1_25partition_config_selectorILNS1_17partition_subalgoE6EiNS0_10empty_typeEbEEZZNS1_14partition_implILS5_6ELb0ES3_mN6thrust23THRUST_200600_302600_NS6detail15normal_iteratorINSA_10device_ptrIiEEEEPS6_SG_NS0_5tupleIJSF_S6_EEENSH_IJSG_SG_EEES6_PlJNSB_9not_fun_tINSB_10functional5actorINSM_9compositeIJNSM_27transparent_binary_operatorINSA_8equal_toIvEEEENSN_INSM_8argumentILj0EEEEENSM_5valueIiEEEEEEEEEEEE10hipError_tPvRmT3_T4_T5_T6_T7_T9_mT8_P12ihipStream_tbDpT10_ENKUlT_T0_E_clISt17integral_constantIbLb0EES1K_EEDaS1F_S1G_EUlS1F_E_NS1_11comp_targetILNS1_3genE9ELNS1_11target_archE1100ELNS1_3gpuE3ELNS1_3repE0EEENS1_30default_config_static_selectorELNS0_4arch9wavefront6targetE0EEEvT1_.num_named_barrier, 0
	.set _ZN7rocprim17ROCPRIM_400000_NS6detail17trampoline_kernelINS0_14default_configENS1_25partition_config_selectorILNS1_17partition_subalgoE6EiNS0_10empty_typeEbEEZZNS1_14partition_implILS5_6ELb0ES3_mN6thrust23THRUST_200600_302600_NS6detail15normal_iteratorINSA_10device_ptrIiEEEEPS6_SG_NS0_5tupleIJSF_S6_EEENSH_IJSG_SG_EEES6_PlJNSB_9not_fun_tINSB_10functional5actorINSM_9compositeIJNSM_27transparent_binary_operatorINSA_8equal_toIvEEEENSN_INSM_8argumentILj0EEEEENSM_5valueIiEEEEEEEEEEEE10hipError_tPvRmT3_T4_T5_T6_T7_T9_mT8_P12ihipStream_tbDpT10_ENKUlT_T0_E_clISt17integral_constantIbLb0EES1K_EEDaS1F_S1G_EUlS1F_E_NS1_11comp_targetILNS1_3genE9ELNS1_11target_archE1100ELNS1_3gpuE3ELNS1_3repE0EEENS1_30default_config_static_selectorELNS0_4arch9wavefront6targetE0EEEvT1_.private_seg_size, 0
	.set _ZN7rocprim17ROCPRIM_400000_NS6detail17trampoline_kernelINS0_14default_configENS1_25partition_config_selectorILNS1_17partition_subalgoE6EiNS0_10empty_typeEbEEZZNS1_14partition_implILS5_6ELb0ES3_mN6thrust23THRUST_200600_302600_NS6detail15normal_iteratorINSA_10device_ptrIiEEEEPS6_SG_NS0_5tupleIJSF_S6_EEENSH_IJSG_SG_EEES6_PlJNSB_9not_fun_tINSB_10functional5actorINSM_9compositeIJNSM_27transparent_binary_operatorINSA_8equal_toIvEEEENSN_INSM_8argumentILj0EEEEENSM_5valueIiEEEEEEEEEEEE10hipError_tPvRmT3_T4_T5_T6_T7_T9_mT8_P12ihipStream_tbDpT10_ENKUlT_T0_E_clISt17integral_constantIbLb0EES1K_EEDaS1F_S1G_EUlS1F_E_NS1_11comp_targetILNS1_3genE9ELNS1_11target_archE1100ELNS1_3gpuE3ELNS1_3repE0EEENS1_30default_config_static_selectorELNS0_4arch9wavefront6targetE0EEEvT1_.uses_vcc, 0
	.set _ZN7rocprim17ROCPRIM_400000_NS6detail17trampoline_kernelINS0_14default_configENS1_25partition_config_selectorILNS1_17partition_subalgoE6EiNS0_10empty_typeEbEEZZNS1_14partition_implILS5_6ELb0ES3_mN6thrust23THRUST_200600_302600_NS6detail15normal_iteratorINSA_10device_ptrIiEEEEPS6_SG_NS0_5tupleIJSF_S6_EEENSH_IJSG_SG_EEES6_PlJNSB_9not_fun_tINSB_10functional5actorINSM_9compositeIJNSM_27transparent_binary_operatorINSA_8equal_toIvEEEENSN_INSM_8argumentILj0EEEEENSM_5valueIiEEEEEEEEEEEE10hipError_tPvRmT3_T4_T5_T6_T7_T9_mT8_P12ihipStream_tbDpT10_ENKUlT_T0_E_clISt17integral_constantIbLb0EES1K_EEDaS1F_S1G_EUlS1F_E_NS1_11comp_targetILNS1_3genE9ELNS1_11target_archE1100ELNS1_3gpuE3ELNS1_3repE0EEENS1_30default_config_static_selectorELNS0_4arch9wavefront6targetE0EEEvT1_.uses_flat_scratch, 0
	.set _ZN7rocprim17ROCPRIM_400000_NS6detail17trampoline_kernelINS0_14default_configENS1_25partition_config_selectorILNS1_17partition_subalgoE6EiNS0_10empty_typeEbEEZZNS1_14partition_implILS5_6ELb0ES3_mN6thrust23THRUST_200600_302600_NS6detail15normal_iteratorINSA_10device_ptrIiEEEEPS6_SG_NS0_5tupleIJSF_S6_EEENSH_IJSG_SG_EEES6_PlJNSB_9not_fun_tINSB_10functional5actorINSM_9compositeIJNSM_27transparent_binary_operatorINSA_8equal_toIvEEEENSN_INSM_8argumentILj0EEEEENSM_5valueIiEEEEEEEEEEEE10hipError_tPvRmT3_T4_T5_T6_T7_T9_mT8_P12ihipStream_tbDpT10_ENKUlT_T0_E_clISt17integral_constantIbLb0EES1K_EEDaS1F_S1G_EUlS1F_E_NS1_11comp_targetILNS1_3genE9ELNS1_11target_archE1100ELNS1_3gpuE3ELNS1_3repE0EEENS1_30default_config_static_selectorELNS0_4arch9wavefront6targetE0EEEvT1_.has_dyn_sized_stack, 0
	.set _ZN7rocprim17ROCPRIM_400000_NS6detail17trampoline_kernelINS0_14default_configENS1_25partition_config_selectorILNS1_17partition_subalgoE6EiNS0_10empty_typeEbEEZZNS1_14partition_implILS5_6ELb0ES3_mN6thrust23THRUST_200600_302600_NS6detail15normal_iteratorINSA_10device_ptrIiEEEEPS6_SG_NS0_5tupleIJSF_S6_EEENSH_IJSG_SG_EEES6_PlJNSB_9not_fun_tINSB_10functional5actorINSM_9compositeIJNSM_27transparent_binary_operatorINSA_8equal_toIvEEEENSN_INSM_8argumentILj0EEEEENSM_5valueIiEEEEEEEEEEEE10hipError_tPvRmT3_T4_T5_T6_T7_T9_mT8_P12ihipStream_tbDpT10_ENKUlT_T0_E_clISt17integral_constantIbLb0EES1K_EEDaS1F_S1G_EUlS1F_E_NS1_11comp_targetILNS1_3genE9ELNS1_11target_archE1100ELNS1_3gpuE3ELNS1_3repE0EEENS1_30default_config_static_selectorELNS0_4arch9wavefront6targetE0EEEvT1_.has_recursion, 0
	.set _ZN7rocprim17ROCPRIM_400000_NS6detail17trampoline_kernelINS0_14default_configENS1_25partition_config_selectorILNS1_17partition_subalgoE6EiNS0_10empty_typeEbEEZZNS1_14partition_implILS5_6ELb0ES3_mN6thrust23THRUST_200600_302600_NS6detail15normal_iteratorINSA_10device_ptrIiEEEEPS6_SG_NS0_5tupleIJSF_S6_EEENSH_IJSG_SG_EEES6_PlJNSB_9not_fun_tINSB_10functional5actorINSM_9compositeIJNSM_27transparent_binary_operatorINSA_8equal_toIvEEEENSN_INSM_8argumentILj0EEEEENSM_5valueIiEEEEEEEEEEEE10hipError_tPvRmT3_T4_T5_T6_T7_T9_mT8_P12ihipStream_tbDpT10_ENKUlT_T0_E_clISt17integral_constantIbLb0EES1K_EEDaS1F_S1G_EUlS1F_E_NS1_11comp_targetILNS1_3genE9ELNS1_11target_archE1100ELNS1_3gpuE3ELNS1_3repE0EEENS1_30default_config_static_selectorELNS0_4arch9wavefront6targetE0EEEvT1_.has_indirect_call, 0
	.section	.AMDGPU.csdata,"",@progbits
; Kernel info:
; codeLenInByte = 0
; TotalNumSgprs: 0
; NumVgprs: 0
; ScratchSize: 0
; MemoryBound: 0
; FloatMode: 240
; IeeeMode: 1
; LDSByteSize: 0 bytes/workgroup (compile time only)
; SGPRBlocks: 0
; VGPRBlocks: 0
; NumSGPRsForWavesPerEU: 1
; NumVGPRsForWavesPerEU: 1
; Occupancy: 16
; WaveLimiterHint : 0
; COMPUTE_PGM_RSRC2:SCRATCH_EN: 0
; COMPUTE_PGM_RSRC2:USER_SGPR: 2
; COMPUTE_PGM_RSRC2:TRAP_HANDLER: 0
; COMPUTE_PGM_RSRC2:TGID_X_EN: 1
; COMPUTE_PGM_RSRC2:TGID_Y_EN: 0
; COMPUTE_PGM_RSRC2:TGID_Z_EN: 0
; COMPUTE_PGM_RSRC2:TIDIG_COMP_CNT: 0
	.section	.text._ZN7rocprim17ROCPRIM_400000_NS6detail17trampoline_kernelINS0_14default_configENS1_25partition_config_selectorILNS1_17partition_subalgoE6EiNS0_10empty_typeEbEEZZNS1_14partition_implILS5_6ELb0ES3_mN6thrust23THRUST_200600_302600_NS6detail15normal_iteratorINSA_10device_ptrIiEEEEPS6_SG_NS0_5tupleIJSF_S6_EEENSH_IJSG_SG_EEES6_PlJNSB_9not_fun_tINSB_10functional5actorINSM_9compositeIJNSM_27transparent_binary_operatorINSA_8equal_toIvEEEENSN_INSM_8argumentILj0EEEEENSM_5valueIiEEEEEEEEEEEE10hipError_tPvRmT3_T4_T5_T6_T7_T9_mT8_P12ihipStream_tbDpT10_ENKUlT_T0_E_clISt17integral_constantIbLb0EES1K_EEDaS1F_S1G_EUlS1F_E_NS1_11comp_targetILNS1_3genE8ELNS1_11target_archE1030ELNS1_3gpuE2ELNS1_3repE0EEENS1_30default_config_static_selectorELNS0_4arch9wavefront6targetE0EEEvT1_,"axG",@progbits,_ZN7rocprim17ROCPRIM_400000_NS6detail17trampoline_kernelINS0_14default_configENS1_25partition_config_selectorILNS1_17partition_subalgoE6EiNS0_10empty_typeEbEEZZNS1_14partition_implILS5_6ELb0ES3_mN6thrust23THRUST_200600_302600_NS6detail15normal_iteratorINSA_10device_ptrIiEEEEPS6_SG_NS0_5tupleIJSF_S6_EEENSH_IJSG_SG_EEES6_PlJNSB_9not_fun_tINSB_10functional5actorINSM_9compositeIJNSM_27transparent_binary_operatorINSA_8equal_toIvEEEENSN_INSM_8argumentILj0EEEEENSM_5valueIiEEEEEEEEEEEE10hipError_tPvRmT3_T4_T5_T6_T7_T9_mT8_P12ihipStream_tbDpT10_ENKUlT_T0_E_clISt17integral_constantIbLb0EES1K_EEDaS1F_S1G_EUlS1F_E_NS1_11comp_targetILNS1_3genE8ELNS1_11target_archE1030ELNS1_3gpuE2ELNS1_3repE0EEENS1_30default_config_static_selectorELNS0_4arch9wavefront6targetE0EEEvT1_,comdat
	.protected	_ZN7rocprim17ROCPRIM_400000_NS6detail17trampoline_kernelINS0_14default_configENS1_25partition_config_selectorILNS1_17partition_subalgoE6EiNS0_10empty_typeEbEEZZNS1_14partition_implILS5_6ELb0ES3_mN6thrust23THRUST_200600_302600_NS6detail15normal_iteratorINSA_10device_ptrIiEEEEPS6_SG_NS0_5tupleIJSF_S6_EEENSH_IJSG_SG_EEES6_PlJNSB_9not_fun_tINSB_10functional5actorINSM_9compositeIJNSM_27transparent_binary_operatorINSA_8equal_toIvEEEENSN_INSM_8argumentILj0EEEEENSM_5valueIiEEEEEEEEEEEE10hipError_tPvRmT3_T4_T5_T6_T7_T9_mT8_P12ihipStream_tbDpT10_ENKUlT_T0_E_clISt17integral_constantIbLb0EES1K_EEDaS1F_S1G_EUlS1F_E_NS1_11comp_targetILNS1_3genE8ELNS1_11target_archE1030ELNS1_3gpuE2ELNS1_3repE0EEENS1_30default_config_static_selectorELNS0_4arch9wavefront6targetE0EEEvT1_ ; -- Begin function _ZN7rocprim17ROCPRIM_400000_NS6detail17trampoline_kernelINS0_14default_configENS1_25partition_config_selectorILNS1_17partition_subalgoE6EiNS0_10empty_typeEbEEZZNS1_14partition_implILS5_6ELb0ES3_mN6thrust23THRUST_200600_302600_NS6detail15normal_iteratorINSA_10device_ptrIiEEEEPS6_SG_NS0_5tupleIJSF_S6_EEENSH_IJSG_SG_EEES6_PlJNSB_9not_fun_tINSB_10functional5actorINSM_9compositeIJNSM_27transparent_binary_operatorINSA_8equal_toIvEEEENSN_INSM_8argumentILj0EEEEENSM_5valueIiEEEEEEEEEEEE10hipError_tPvRmT3_T4_T5_T6_T7_T9_mT8_P12ihipStream_tbDpT10_ENKUlT_T0_E_clISt17integral_constantIbLb0EES1K_EEDaS1F_S1G_EUlS1F_E_NS1_11comp_targetILNS1_3genE8ELNS1_11target_archE1030ELNS1_3gpuE2ELNS1_3repE0EEENS1_30default_config_static_selectorELNS0_4arch9wavefront6targetE0EEEvT1_
	.globl	_ZN7rocprim17ROCPRIM_400000_NS6detail17trampoline_kernelINS0_14default_configENS1_25partition_config_selectorILNS1_17partition_subalgoE6EiNS0_10empty_typeEbEEZZNS1_14partition_implILS5_6ELb0ES3_mN6thrust23THRUST_200600_302600_NS6detail15normal_iteratorINSA_10device_ptrIiEEEEPS6_SG_NS0_5tupleIJSF_S6_EEENSH_IJSG_SG_EEES6_PlJNSB_9not_fun_tINSB_10functional5actorINSM_9compositeIJNSM_27transparent_binary_operatorINSA_8equal_toIvEEEENSN_INSM_8argumentILj0EEEEENSM_5valueIiEEEEEEEEEEEE10hipError_tPvRmT3_T4_T5_T6_T7_T9_mT8_P12ihipStream_tbDpT10_ENKUlT_T0_E_clISt17integral_constantIbLb0EES1K_EEDaS1F_S1G_EUlS1F_E_NS1_11comp_targetILNS1_3genE8ELNS1_11target_archE1030ELNS1_3gpuE2ELNS1_3repE0EEENS1_30default_config_static_selectorELNS0_4arch9wavefront6targetE0EEEvT1_
	.p2align	8
	.type	_ZN7rocprim17ROCPRIM_400000_NS6detail17trampoline_kernelINS0_14default_configENS1_25partition_config_selectorILNS1_17partition_subalgoE6EiNS0_10empty_typeEbEEZZNS1_14partition_implILS5_6ELb0ES3_mN6thrust23THRUST_200600_302600_NS6detail15normal_iteratorINSA_10device_ptrIiEEEEPS6_SG_NS0_5tupleIJSF_S6_EEENSH_IJSG_SG_EEES6_PlJNSB_9not_fun_tINSB_10functional5actorINSM_9compositeIJNSM_27transparent_binary_operatorINSA_8equal_toIvEEEENSN_INSM_8argumentILj0EEEEENSM_5valueIiEEEEEEEEEEEE10hipError_tPvRmT3_T4_T5_T6_T7_T9_mT8_P12ihipStream_tbDpT10_ENKUlT_T0_E_clISt17integral_constantIbLb0EES1K_EEDaS1F_S1G_EUlS1F_E_NS1_11comp_targetILNS1_3genE8ELNS1_11target_archE1030ELNS1_3gpuE2ELNS1_3repE0EEENS1_30default_config_static_selectorELNS0_4arch9wavefront6targetE0EEEvT1_,@function
_ZN7rocprim17ROCPRIM_400000_NS6detail17trampoline_kernelINS0_14default_configENS1_25partition_config_selectorILNS1_17partition_subalgoE6EiNS0_10empty_typeEbEEZZNS1_14partition_implILS5_6ELb0ES3_mN6thrust23THRUST_200600_302600_NS6detail15normal_iteratorINSA_10device_ptrIiEEEEPS6_SG_NS0_5tupleIJSF_S6_EEENSH_IJSG_SG_EEES6_PlJNSB_9not_fun_tINSB_10functional5actorINSM_9compositeIJNSM_27transparent_binary_operatorINSA_8equal_toIvEEEENSN_INSM_8argumentILj0EEEEENSM_5valueIiEEEEEEEEEEEE10hipError_tPvRmT3_T4_T5_T6_T7_T9_mT8_P12ihipStream_tbDpT10_ENKUlT_T0_E_clISt17integral_constantIbLb0EES1K_EEDaS1F_S1G_EUlS1F_E_NS1_11comp_targetILNS1_3genE8ELNS1_11target_archE1030ELNS1_3gpuE2ELNS1_3repE0EEENS1_30default_config_static_selectorELNS0_4arch9wavefront6targetE0EEEvT1_: ; @_ZN7rocprim17ROCPRIM_400000_NS6detail17trampoline_kernelINS0_14default_configENS1_25partition_config_selectorILNS1_17partition_subalgoE6EiNS0_10empty_typeEbEEZZNS1_14partition_implILS5_6ELb0ES3_mN6thrust23THRUST_200600_302600_NS6detail15normal_iteratorINSA_10device_ptrIiEEEEPS6_SG_NS0_5tupleIJSF_S6_EEENSH_IJSG_SG_EEES6_PlJNSB_9not_fun_tINSB_10functional5actorINSM_9compositeIJNSM_27transparent_binary_operatorINSA_8equal_toIvEEEENSN_INSM_8argumentILj0EEEEENSM_5valueIiEEEEEEEEEEEE10hipError_tPvRmT3_T4_T5_T6_T7_T9_mT8_P12ihipStream_tbDpT10_ENKUlT_T0_E_clISt17integral_constantIbLb0EES1K_EEDaS1F_S1G_EUlS1F_E_NS1_11comp_targetILNS1_3genE8ELNS1_11target_archE1030ELNS1_3gpuE2ELNS1_3repE0EEENS1_30default_config_static_selectorELNS0_4arch9wavefront6targetE0EEEvT1_
; %bb.0:
	.section	.rodata,"a",@progbits
	.p2align	6, 0x0
	.amdhsa_kernel _ZN7rocprim17ROCPRIM_400000_NS6detail17trampoline_kernelINS0_14default_configENS1_25partition_config_selectorILNS1_17partition_subalgoE6EiNS0_10empty_typeEbEEZZNS1_14partition_implILS5_6ELb0ES3_mN6thrust23THRUST_200600_302600_NS6detail15normal_iteratorINSA_10device_ptrIiEEEEPS6_SG_NS0_5tupleIJSF_S6_EEENSH_IJSG_SG_EEES6_PlJNSB_9not_fun_tINSB_10functional5actorINSM_9compositeIJNSM_27transparent_binary_operatorINSA_8equal_toIvEEEENSN_INSM_8argumentILj0EEEEENSM_5valueIiEEEEEEEEEEEE10hipError_tPvRmT3_T4_T5_T6_T7_T9_mT8_P12ihipStream_tbDpT10_ENKUlT_T0_E_clISt17integral_constantIbLb0EES1K_EEDaS1F_S1G_EUlS1F_E_NS1_11comp_targetILNS1_3genE8ELNS1_11target_archE1030ELNS1_3gpuE2ELNS1_3repE0EEENS1_30default_config_static_selectorELNS0_4arch9wavefront6targetE0EEEvT1_
		.amdhsa_group_segment_fixed_size 0
		.amdhsa_private_segment_fixed_size 0
		.amdhsa_kernarg_size 120
		.amdhsa_user_sgpr_count 2
		.amdhsa_user_sgpr_dispatch_ptr 0
		.amdhsa_user_sgpr_queue_ptr 0
		.amdhsa_user_sgpr_kernarg_segment_ptr 1
		.amdhsa_user_sgpr_dispatch_id 0
		.amdhsa_user_sgpr_private_segment_size 0
		.amdhsa_wavefront_size32 1
		.amdhsa_uses_dynamic_stack 0
		.amdhsa_enable_private_segment 0
		.amdhsa_system_sgpr_workgroup_id_x 1
		.amdhsa_system_sgpr_workgroup_id_y 0
		.amdhsa_system_sgpr_workgroup_id_z 0
		.amdhsa_system_sgpr_workgroup_info 0
		.amdhsa_system_vgpr_workitem_id 0
		.amdhsa_next_free_vgpr 1
		.amdhsa_next_free_sgpr 1
		.amdhsa_reserve_vcc 0
		.amdhsa_float_round_mode_32 0
		.amdhsa_float_round_mode_16_64 0
		.amdhsa_float_denorm_mode_32 3
		.amdhsa_float_denorm_mode_16_64 3
		.amdhsa_fp16_overflow 0
		.amdhsa_workgroup_processor_mode 1
		.amdhsa_memory_ordered 1
		.amdhsa_forward_progress 1
		.amdhsa_inst_pref_size 0
		.amdhsa_round_robin_scheduling 0
		.amdhsa_exception_fp_ieee_invalid_op 0
		.amdhsa_exception_fp_denorm_src 0
		.amdhsa_exception_fp_ieee_div_zero 0
		.amdhsa_exception_fp_ieee_overflow 0
		.amdhsa_exception_fp_ieee_underflow 0
		.amdhsa_exception_fp_ieee_inexact 0
		.amdhsa_exception_int_div_zero 0
	.end_amdhsa_kernel
	.section	.text._ZN7rocprim17ROCPRIM_400000_NS6detail17trampoline_kernelINS0_14default_configENS1_25partition_config_selectorILNS1_17partition_subalgoE6EiNS0_10empty_typeEbEEZZNS1_14partition_implILS5_6ELb0ES3_mN6thrust23THRUST_200600_302600_NS6detail15normal_iteratorINSA_10device_ptrIiEEEEPS6_SG_NS0_5tupleIJSF_S6_EEENSH_IJSG_SG_EEES6_PlJNSB_9not_fun_tINSB_10functional5actorINSM_9compositeIJNSM_27transparent_binary_operatorINSA_8equal_toIvEEEENSN_INSM_8argumentILj0EEEEENSM_5valueIiEEEEEEEEEEEE10hipError_tPvRmT3_T4_T5_T6_T7_T9_mT8_P12ihipStream_tbDpT10_ENKUlT_T0_E_clISt17integral_constantIbLb0EES1K_EEDaS1F_S1G_EUlS1F_E_NS1_11comp_targetILNS1_3genE8ELNS1_11target_archE1030ELNS1_3gpuE2ELNS1_3repE0EEENS1_30default_config_static_selectorELNS0_4arch9wavefront6targetE0EEEvT1_,"axG",@progbits,_ZN7rocprim17ROCPRIM_400000_NS6detail17trampoline_kernelINS0_14default_configENS1_25partition_config_selectorILNS1_17partition_subalgoE6EiNS0_10empty_typeEbEEZZNS1_14partition_implILS5_6ELb0ES3_mN6thrust23THRUST_200600_302600_NS6detail15normal_iteratorINSA_10device_ptrIiEEEEPS6_SG_NS0_5tupleIJSF_S6_EEENSH_IJSG_SG_EEES6_PlJNSB_9not_fun_tINSB_10functional5actorINSM_9compositeIJNSM_27transparent_binary_operatorINSA_8equal_toIvEEEENSN_INSM_8argumentILj0EEEEENSM_5valueIiEEEEEEEEEEEE10hipError_tPvRmT3_T4_T5_T6_T7_T9_mT8_P12ihipStream_tbDpT10_ENKUlT_T0_E_clISt17integral_constantIbLb0EES1K_EEDaS1F_S1G_EUlS1F_E_NS1_11comp_targetILNS1_3genE8ELNS1_11target_archE1030ELNS1_3gpuE2ELNS1_3repE0EEENS1_30default_config_static_selectorELNS0_4arch9wavefront6targetE0EEEvT1_,comdat
.Lfunc_end218:
	.size	_ZN7rocprim17ROCPRIM_400000_NS6detail17trampoline_kernelINS0_14default_configENS1_25partition_config_selectorILNS1_17partition_subalgoE6EiNS0_10empty_typeEbEEZZNS1_14partition_implILS5_6ELb0ES3_mN6thrust23THRUST_200600_302600_NS6detail15normal_iteratorINSA_10device_ptrIiEEEEPS6_SG_NS0_5tupleIJSF_S6_EEENSH_IJSG_SG_EEES6_PlJNSB_9not_fun_tINSB_10functional5actorINSM_9compositeIJNSM_27transparent_binary_operatorINSA_8equal_toIvEEEENSN_INSM_8argumentILj0EEEEENSM_5valueIiEEEEEEEEEEEE10hipError_tPvRmT3_T4_T5_T6_T7_T9_mT8_P12ihipStream_tbDpT10_ENKUlT_T0_E_clISt17integral_constantIbLb0EES1K_EEDaS1F_S1G_EUlS1F_E_NS1_11comp_targetILNS1_3genE8ELNS1_11target_archE1030ELNS1_3gpuE2ELNS1_3repE0EEENS1_30default_config_static_selectorELNS0_4arch9wavefront6targetE0EEEvT1_, .Lfunc_end218-_ZN7rocprim17ROCPRIM_400000_NS6detail17trampoline_kernelINS0_14default_configENS1_25partition_config_selectorILNS1_17partition_subalgoE6EiNS0_10empty_typeEbEEZZNS1_14partition_implILS5_6ELb0ES3_mN6thrust23THRUST_200600_302600_NS6detail15normal_iteratorINSA_10device_ptrIiEEEEPS6_SG_NS0_5tupleIJSF_S6_EEENSH_IJSG_SG_EEES6_PlJNSB_9not_fun_tINSB_10functional5actorINSM_9compositeIJNSM_27transparent_binary_operatorINSA_8equal_toIvEEEENSN_INSM_8argumentILj0EEEEENSM_5valueIiEEEEEEEEEEEE10hipError_tPvRmT3_T4_T5_T6_T7_T9_mT8_P12ihipStream_tbDpT10_ENKUlT_T0_E_clISt17integral_constantIbLb0EES1K_EEDaS1F_S1G_EUlS1F_E_NS1_11comp_targetILNS1_3genE8ELNS1_11target_archE1030ELNS1_3gpuE2ELNS1_3repE0EEENS1_30default_config_static_selectorELNS0_4arch9wavefront6targetE0EEEvT1_
                                        ; -- End function
	.set _ZN7rocprim17ROCPRIM_400000_NS6detail17trampoline_kernelINS0_14default_configENS1_25partition_config_selectorILNS1_17partition_subalgoE6EiNS0_10empty_typeEbEEZZNS1_14partition_implILS5_6ELb0ES3_mN6thrust23THRUST_200600_302600_NS6detail15normal_iteratorINSA_10device_ptrIiEEEEPS6_SG_NS0_5tupleIJSF_S6_EEENSH_IJSG_SG_EEES6_PlJNSB_9not_fun_tINSB_10functional5actorINSM_9compositeIJNSM_27transparent_binary_operatorINSA_8equal_toIvEEEENSN_INSM_8argumentILj0EEEEENSM_5valueIiEEEEEEEEEEEE10hipError_tPvRmT3_T4_T5_T6_T7_T9_mT8_P12ihipStream_tbDpT10_ENKUlT_T0_E_clISt17integral_constantIbLb0EES1K_EEDaS1F_S1G_EUlS1F_E_NS1_11comp_targetILNS1_3genE8ELNS1_11target_archE1030ELNS1_3gpuE2ELNS1_3repE0EEENS1_30default_config_static_selectorELNS0_4arch9wavefront6targetE0EEEvT1_.num_vgpr, 0
	.set _ZN7rocprim17ROCPRIM_400000_NS6detail17trampoline_kernelINS0_14default_configENS1_25partition_config_selectorILNS1_17partition_subalgoE6EiNS0_10empty_typeEbEEZZNS1_14partition_implILS5_6ELb0ES3_mN6thrust23THRUST_200600_302600_NS6detail15normal_iteratorINSA_10device_ptrIiEEEEPS6_SG_NS0_5tupleIJSF_S6_EEENSH_IJSG_SG_EEES6_PlJNSB_9not_fun_tINSB_10functional5actorINSM_9compositeIJNSM_27transparent_binary_operatorINSA_8equal_toIvEEEENSN_INSM_8argumentILj0EEEEENSM_5valueIiEEEEEEEEEEEE10hipError_tPvRmT3_T4_T5_T6_T7_T9_mT8_P12ihipStream_tbDpT10_ENKUlT_T0_E_clISt17integral_constantIbLb0EES1K_EEDaS1F_S1G_EUlS1F_E_NS1_11comp_targetILNS1_3genE8ELNS1_11target_archE1030ELNS1_3gpuE2ELNS1_3repE0EEENS1_30default_config_static_selectorELNS0_4arch9wavefront6targetE0EEEvT1_.num_agpr, 0
	.set _ZN7rocprim17ROCPRIM_400000_NS6detail17trampoline_kernelINS0_14default_configENS1_25partition_config_selectorILNS1_17partition_subalgoE6EiNS0_10empty_typeEbEEZZNS1_14partition_implILS5_6ELb0ES3_mN6thrust23THRUST_200600_302600_NS6detail15normal_iteratorINSA_10device_ptrIiEEEEPS6_SG_NS0_5tupleIJSF_S6_EEENSH_IJSG_SG_EEES6_PlJNSB_9not_fun_tINSB_10functional5actorINSM_9compositeIJNSM_27transparent_binary_operatorINSA_8equal_toIvEEEENSN_INSM_8argumentILj0EEEEENSM_5valueIiEEEEEEEEEEEE10hipError_tPvRmT3_T4_T5_T6_T7_T9_mT8_P12ihipStream_tbDpT10_ENKUlT_T0_E_clISt17integral_constantIbLb0EES1K_EEDaS1F_S1G_EUlS1F_E_NS1_11comp_targetILNS1_3genE8ELNS1_11target_archE1030ELNS1_3gpuE2ELNS1_3repE0EEENS1_30default_config_static_selectorELNS0_4arch9wavefront6targetE0EEEvT1_.numbered_sgpr, 0
	.set _ZN7rocprim17ROCPRIM_400000_NS6detail17trampoline_kernelINS0_14default_configENS1_25partition_config_selectorILNS1_17partition_subalgoE6EiNS0_10empty_typeEbEEZZNS1_14partition_implILS5_6ELb0ES3_mN6thrust23THRUST_200600_302600_NS6detail15normal_iteratorINSA_10device_ptrIiEEEEPS6_SG_NS0_5tupleIJSF_S6_EEENSH_IJSG_SG_EEES6_PlJNSB_9not_fun_tINSB_10functional5actorINSM_9compositeIJNSM_27transparent_binary_operatorINSA_8equal_toIvEEEENSN_INSM_8argumentILj0EEEEENSM_5valueIiEEEEEEEEEEEE10hipError_tPvRmT3_T4_T5_T6_T7_T9_mT8_P12ihipStream_tbDpT10_ENKUlT_T0_E_clISt17integral_constantIbLb0EES1K_EEDaS1F_S1G_EUlS1F_E_NS1_11comp_targetILNS1_3genE8ELNS1_11target_archE1030ELNS1_3gpuE2ELNS1_3repE0EEENS1_30default_config_static_selectorELNS0_4arch9wavefront6targetE0EEEvT1_.num_named_barrier, 0
	.set _ZN7rocprim17ROCPRIM_400000_NS6detail17trampoline_kernelINS0_14default_configENS1_25partition_config_selectorILNS1_17partition_subalgoE6EiNS0_10empty_typeEbEEZZNS1_14partition_implILS5_6ELb0ES3_mN6thrust23THRUST_200600_302600_NS6detail15normal_iteratorINSA_10device_ptrIiEEEEPS6_SG_NS0_5tupleIJSF_S6_EEENSH_IJSG_SG_EEES6_PlJNSB_9not_fun_tINSB_10functional5actorINSM_9compositeIJNSM_27transparent_binary_operatorINSA_8equal_toIvEEEENSN_INSM_8argumentILj0EEEEENSM_5valueIiEEEEEEEEEEEE10hipError_tPvRmT3_T4_T5_T6_T7_T9_mT8_P12ihipStream_tbDpT10_ENKUlT_T0_E_clISt17integral_constantIbLb0EES1K_EEDaS1F_S1G_EUlS1F_E_NS1_11comp_targetILNS1_3genE8ELNS1_11target_archE1030ELNS1_3gpuE2ELNS1_3repE0EEENS1_30default_config_static_selectorELNS0_4arch9wavefront6targetE0EEEvT1_.private_seg_size, 0
	.set _ZN7rocprim17ROCPRIM_400000_NS6detail17trampoline_kernelINS0_14default_configENS1_25partition_config_selectorILNS1_17partition_subalgoE6EiNS0_10empty_typeEbEEZZNS1_14partition_implILS5_6ELb0ES3_mN6thrust23THRUST_200600_302600_NS6detail15normal_iteratorINSA_10device_ptrIiEEEEPS6_SG_NS0_5tupleIJSF_S6_EEENSH_IJSG_SG_EEES6_PlJNSB_9not_fun_tINSB_10functional5actorINSM_9compositeIJNSM_27transparent_binary_operatorINSA_8equal_toIvEEEENSN_INSM_8argumentILj0EEEEENSM_5valueIiEEEEEEEEEEEE10hipError_tPvRmT3_T4_T5_T6_T7_T9_mT8_P12ihipStream_tbDpT10_ENKUlT_T0_E_clISt17integral_constantIbLb0EES1K_EEDaS1F_S1G_EUlS1F_E_NS1_11comp_targetILNS1_3genE8ELNS1_11target_archE1030ELNS1_3gpuE2ELNS1_3repE0EEENS1_30default_config_static_selectorELNS0_4arch9wavefront6targetE0EEEvT1_.uses_vcc, 0
	.set _ZN7rocprim17ROCPRIM_400000_NS6detail17trampoline_kernelINS0_14default_configENS1_25partition_config_selectorILNS1_17partition_subalgoE6EiNS0_10empty_typeEbEEZZNS1_14partition_implILS5_6ELb0ES3_mN6thrust23THRUST_200600_302600_NS6detail15normal_iteratorINSA_10device_ptrIiEEEEPS6_SG_NS0_5tupleIJSF_S6_EEENSH_IJSG_SG_EEES6_PlJNSB_9not_fun_tINSB_10functional5actorINSM_9compositeIJNSM_27transparent_binary_operatorINSA_8equal_toIvEEEENSN_INSM_8argumentILj0EEEEENSM_5valueIiEEEEEEEEEEEE10hipError_tPvRmT3_T4_T5_T6_T7_T9_mT8_P12ihipStream_tbDpT10_ENKUlT_T0_E_clISt17integral_constantIbLb0EES1K_EEDaS1F_S1G_EUlS1F_E_NS1_11comp_targetILNS1_3genE8ELNS1_11target_archE1030ELNS1_3gpuE2ELNS1_3repE0EEENS1_30default_config_static_selectorELNS0_4arch9wavefront6targetE0EEEvT1_.uses_flat_scratch, 0
	.set _ZN7rocprim17ROCPRIM_400000_NS6detail17trampoline_kernelINS0_14default_configENS1_25partition_config_selectorILNS1_17partition_subalgoE6EiNS0_10empty_typeEbEEZZNS1_14partition_implILS5_6ELb0ES3_mN6thrust23THRUST_200600_302600_NS6detail15normal_iteratorINSA_10device_ptrIiEEEEPS6_SG_NS0_5tupleIJSF_S6_EEENSH_IJSG_SG_EEES6_PlJNSB_9not_fun_tINSB_10functional5actorINSM_9compositeIJNSM_27transparent_binary_operatorINSA_8equal_toIvEEEENSN_INSM_8argumentILj0EEEEENSM_5valueIiEEEEEEEEEEEE10hipError_tPvRmT3_T4_T5_T6_T7_T9_mT8_P12ihipStream_tbDpT10_ENKUlT_T0_E_clISt17integral_constantIbLb0EES1K_EEDaS1F_S1G_EUlS1F_E_NS1_11comp_targetILNS1_3genE8ELNS1_11target_archE1030ELNS1_3gpuE2ELNS1_3repE0EEENS1_30default_config_static_selectorELNS0_4arch9wavefront6targetE0EEEvT1_.has_dyn_sized_stack, 0
	.set _ZN7rocprim17ROCPRIM_400000_NS6detail17trampoline_kernelINS0_14default_configENS1_25partition_config_selectorILNS1_17partition_subalgoE6EiNS0_10empty_typeEbEEZZNS1_14partition_implILS5_6ELb0ES3_mN6thrust23THRUST_200600_302600_NS6detail15normal_iteratorINSA_10device_ptrIiEEEEPS6_SG_NS0_5tupleIJSF_S6_EEENSH_IJSG_SG_EEES6_PlJNSB_9not_fun_tINSB_10functional5actorINSM_9compositeIJNSM_27transparent_binary_operatorINSA_8equal_toIvEEEENSN_INSM_8argumentILj0EEEEENSM_5valueIiEEEEEEEEEEEE10hipError_tPvRmT3_T4_T5_T6_T7_T9_mT8_P12ihipStream_tbDpT10_ENKUlT_T0_E_clISt17integral_constantIbLb0EES1K_EEDaS1F_S1G_EUlS1F_E_NS1_11comp_targetILNS1_3genE8ELNS1_11target_archE1030ELNS1_3gpuE2ELNS1_3repE0EEENS1_30default_config_static_selectorELNS0_4arch9wavefront6targetE0EEEvT1_.has_recursion, 0
	.set _ZN7rocprim17ROCPRIM_400000_NS6detail17trampoline_kernelINS0_14default_configENS1_25partition_config_selectorILNS1_17partition_subalgoE6EiNS0_10empty_typeEbEEZZNS1_14partition_implILS5_6ELb0ES3_mN6thrust23THRUST_200600_302600_NS6detail15normal_iteratorINSA_10device_ptrIiEEEEPS6_SG_NS0_5tupleIJSF_S6_EEENSH_IJSG_SG_EEES6_PlJNSB_9not_fun_tINSB_10functional5actorINSM_9compositeIJNSM_27transparent_binary_operatorINSA_8equal_toIvEEEENSN_INSM_8argumentILj0EEEEENSM_5valueIiEEEEEEEEEEEE10hipError_tPvRmT3_T4_T5_T6_T7_T9_mT8_P12ihipStream_tbDpT10_ENKUlT_T0_E_clISt17integral_constantIbLb0EES1K_EEDaS1F_S1G_EUlS1F_E_NS1_11comp_targetILNS1_3genE8ELNS1_11target_archE1030ELNS1_3gpuE2ELNS1_3repE0EEENS1_30default_config_static_selectorELNS0_4arch9wavefront6targetE0EEEvT1_.has_indirect_call, 0
	.section	.AMDGPU.csdata,"",@progbits
; Kernel info:
; codeLenInByte = 0
; TotalNumSgprs: 0
; NumVgprs: 0
; ScratchSize: 0
; MemoryBound: 0
; FloatMode: 240
; IeeeMode: 1
; LDSByteSize: 0 bytes/workgroup (compile time only)
; SGPRBlocks: 0
; VGPRBlocks: 0
; NumSGPRsForWavesPerEU: 1
; NumVGPRsForWavesPerEU: 1
; Occupancy: 16
; WaveLimiterHint : 0
; COMPUTE_PGM_RSRC2:SCRATCH_EN: 0
; COMPUTE_PGM_RSRC2:USER_SGPR: 2
; COMPUTE_PGM_RSRC2:TRAP_HANDLER: 0
; COMPUTE_PGM_RSRC2:TGID_X_EN: 1
; COMPUTE_PGM_RSRC2:TGID_Y_EN: 0
; COMPUTE_PGM_RSRC2:TGID_Z_EN: 0
; COMPUTE_PGM_RSRC2:TIDIG_COMP_CNT: 0
	.section	.text._ZN7rocprim17ROCPRIM_400000_NS6detail17trampoline_kernelINS0_14default_configENS1_25partition_config_selectorILNS1_17partition_subalgoE6EiNS0_10empty_typeEbEEZZNS1_14partition_implILS5_6ELb0ES3_mN6thrust23THRUST_200600_302600_NS6detail15normal_iteratorINSA_10device_ptrIiEEEEPS6_SG_NS0_5tupleIJSF_S6_EEENSH_IJSG_SG_EEES6_PlJNSB_9not_fun_tINSB_10functional5actorINSM_9compositeIJNSM_27transparent_binary_operatorINSA_8equal_toIvEEEENSN_INSM_8argumentILj0EEEEENSM_5valueIiEEEEEEEEEEEE10hipError_tPvRmT3_T4_T5_T6_T7_T9_mT8_P12ihipStream_tbDpT10_ENKUlT_T0_E_clISt17integral_constantIbLb1EES1K_EEDaS1F_S1G_EUlS1F_E_NS1_11comp_targetILNS1_3genE0ELNS1_11target_archE4294967295ELNS1_3gpuE0ELNS1_3repE0EEENS1_30default_config_static_selectorELNS0_4arch9wavefront6targetE0EEEvT1_,"axG",@progbits,_ZN7rocprim17ROCPRIM_400000_NS6detail17trampoline_kernelINS0_14default_configENS1_25partition_config_selectorILNS1_17partition_subalgoE6EiNS0_10empty_typeEbEEZZNS1_14partition_implILS5_6ELb0ES3_mN6thrust23THRUST_200600_302600_NS6detail15normal_iteratorINSA_10device_ptrIiEEEEPS6_SG_NS0_5tupleIJSF_S6_EEENSH_IJSG_SG_EEES6_PlJNSB_9not_fun_tINSB_10functional5actorINSM_9compositeIJNSM_27transparent_binary_operatorINSA_8equal_toIvEEEENSN_INSM_8argumentILj0EEEEENSM_5valueIiEEEEEEEEEEEE10hipError_tPvRmT3_T4_T5_T6_T7_T9_mT8_P12ihipStream_tbDpT10_ENKUlT_T0_E_clISt17integral_constantIbLb1EES1K_EEDaS1F_S1G_EUlS1F_E_NS1_11comp_targetILNS1_3genE0ELNS1_11target_archE4294967295ELNS1_3gpuE0ELNS1_3repE0EEENS1_30default_config_static_selectorELNS0_4arch9wavefront6targetE0EEEvT1_,comdat
	.protected	_ZN7rocprim17ROCPRIM_400000_NS6detail17trampoline_kernelINS0_14default_configENS1_25partition_config_selectorILNS1_17partition_subalgoE6EiNS0_10empty_typeEbEEZZNS1_14partition_implILS5_6ELb0ES3_mN6thrust23THRUST_200600_302600_NS6detail15normal_iteratorINSA_10device_ptrIiEEEEPS6_SG_NS0_5tupleIJSF_S6_EEENSH_IJSG_SG_EEES6_PlJNSB_9not_fun_tINSB_10functional5actorINSM_9compositeIJNSM_27transparent_binary_operatorINSA_8equal_toIvEEEENSN_INSM_8argumentILj0EEEEENSM_5valueIiEEEEEEEEEEEE10hipError_tPvRmT3_T4_T5_T6_T7_T9_mT8_P12ihipStream_tbDpT10_ENKUlT_T0_E_clISt17integral_constantIbLb1EES1K_EEDaS1F_S1G_EUlS1F_E_NS1_11comp_targetILNS1_3genE0ELNS1_11target_archE4294967295ELNS1_3gpuE0ELNS1_3repE0EEENS1_30default_config_static_selectorELNS0_4arch9wavefront6targetE0EEEvT1_ ; -- Begin function _ZN7rocprim17ROCPRIM_400000_NS6detail17trampoline_kernelINS0_14default_configENS1_25partition_config_selectorILNS1_17partition_subalgoE6EiNS0_10empty_typeEbEEZZNS1_14partition_implILS5_6ELb0ES3_mN6thrust23THRUST_200600_302600_NS6detail15normal_iteratorINSA_10device_ptrIiEEEEPS6_SG_NS0_5tupleIJSF_S6_EEENSH_IJSG_SG_EEES6_PlJNSB_9not_fun_tINSB_10functional5actorINSM_9compositeIJNSM_27transparent_binary_operatorINSA_8equal_toIvEEEENSN_INSM_8argumentILj0EEEEENSM_5valueIiEEEEEEEEEEEE10hipError_tPvRmT3_T4_T5_T6_T7_T9_mT8_P12ihipStream_tbDpT10_ENKUlT_T0_E_clISt17integral_constantIbLb1EES1K_EEDaS1F_S1G_EUlS1F_E_NS1_11comp_targetILNS1_3genE0ELNS1_11target_archE4294967295ELNS1_3gpuE0ELNS1_3repE0EEENS1_30default_config_static_selectorELNS0_4arch9wavefront6targetE0EEEvT1_
	.globl	_ZN7rocprim17ROCPRIM_400000_NS6detail17trampoline_kernelINS0_14default_configENS1_25partition_config_selectorILNS1_17partition_subalgoE6EiNS0_10empty_typeEbEEZZNS1_14partition_implILS5_6ELb0ES3_mN6thrust23THRUST_200600_302600_NS6detail15normal_iteratorINSA_10device_ptrIiEEEEPS6_SG_NS0_5tupleIJSF_S6_EEENSH_IJSG_SG_EEES6_PlJNSB_9not_fun_tINSB_10functional5actorINSM_9compositeIJNSM_27transparent_binary_operatorINSA_8equal_toIvEEEENSN_INSM_8argumentILj0EEEEENSM_5valueIiEEEEEEEEEEEE10hipError_tPvRmT3_T4_T5_T6_T7_T9_mT8_P12ihipStream_tbDpT10_ENKUlT_T0_E_clISt17integral_constantIbLb1EES1K_EEDaS1F_S1G_EUlS1F_E_NS1_11comp_targetILNS1_3genE0ELNS1_11target_archE4294967295ELNS1_3gpuE0ELNS1_3repE0EEENS1_30default_config_static_selectorELNS0_4arch9wavefront6targetE0EEEvT1_
	.p2align	8
	.type	_ZN7rocprim17ROCPRIM_400000_NS6detail17trampoline_kernelINS0_14default_configENS1_25partition_config_selectorILNS1_17partition_subalgoE6EiNS0_10empty_typeEbEEZZNS1_14partition_implILS5_6ELb0ES3_mN6thrust23THRUST_200600_302600_NS6detail15normal_iteratorINSA_10device_ptrIiEEEEPS6_SG_NS0_5tupleIJSF_S6_EEENSH_IJSG_SG_EEES6_PlJNSB_9not_fun_tINSB_10functional5actorINSM_9compositeIJNSM_27transparent_binary_operatorINSA_8equal_toIvEEEENSN_INSM_8argumentILj0EEEEENSM_5valueIiEEEEEEEEEEEE10hipError_tPvRmT3_T4_T5_T6_T7_T9_mT8_P12ihipStream_tbDpT10_ENKUlT_T0_E_clISt17integral_constantIbLb1EES1K_EEDaS1F_S1G_EUlS1F_E_NS1_11comp_targetILNS1_3genE0ELNS1_11target_archE4294967295ELNS1_3gpuE0ELNS1_3repE0EEENS1_30default_config_static_selectorELNS0_4arch9wavefront6targetE0EEEvT1_,@function
_ZN7rocprim17ROCPRIM_400000_NS6detail17trampoline_kernelINS0_14default_configENS1_25partition_config_selectorILNS1_17partition_subalgoE6EiNS0_10empty_typeEbEEZZNS1_14partition_implILS5_6ELb0ES3_mN6thrust23THRUST_200600_302600_NS6detail15normal_iteratorINSA_10device_ptrIiEEEEPS6_SG_NS0_5tupleIJSF_S6_EEENSH_IJSG_SG_EEES6_PlJNSB_9not_fun_tINSB_10functional5actorINSM_9compositeIJNSM_27transparent_binary_operatorINSA_8equal_toIvEEEENSN_INSM_8argumentILj0EEEEENSM_5valueIiEEEEEEEEEEEE10hipError_tPvRmT3_T4_T5_T6_T7_T9_mT8_P12ihipStream_tbDpT10_ENKUlT_T0_E_clISt17integral_constantIbLb1EES1K_EEDaS1F_S1G_EUlS1F_E_NS1_11comp_targetILNS1_3genE0ELNS1_11target_archE4294967295ELNS1_3gpuE0ELNS1_3repE0EEENS1_30default_config_static_selectorELNS0_4arch9wavefront6targetE0EEEvT1_: ; @_ZN7rocprim17ROCPRIM_400000_NS6detail17trampoline_kernelINS0_14default_configENS1_25partition_config_selectorILNS1_17partition_subalgoE6EiNS0_10empty_typeEbEEZZNS1_14partition_implILS5_6ELb0ES3_mN6thrust23THRUST_200600_302600_NS6detail15normal_iteratorINSA_10device_ptrIiEEEEPS6_SG_NS0_5tupleIJSF_S6_EEENSH_IJSG_SG_EEES6_PlJNSB_9not_fun_tINSB_10functional5actorINSM_9compositeIJNSM_27transparent_binary_operatorINSA_8equal_toIvEEEENSN_INSM_8argumentILj0EEEEENSM_5valueIiEEEEEEEEEEEE10hipError_tPvRmT3_T4_T5_T6_T7_T9_mT8_P12ihipStream_tbDpT10_ENKUlT_T0_E_clISt17integral_constantIbLb1EES1K_EEDaS1F_S1G_EUlS1F_E_NS1_11comp_targetILNS1_3genE0ELNS1_11target_archE4294967295ELNS1_3gpuE0ELNS1_3repE0EEENS1_30default_config_static_selectorELNS0_4arch9wavefront6targetE0EEEvT1_
; %bb.0:
	.section	.rodata,"a",@progbits
	.p2align	6, 0x0
	.amdhsa_kernel _ZN7rocprim17ROCPRIM_400000_NS6detail17trampoline_kernelINS0_14default_configENS1_25partition_config_selectorILNS1_17partition_subalgoE6EiNS0_10empty_typeEbEEZZNS1_14partition_implILS5_6ELb0ES3_mN6thrust23THRUST_200600_302600_NS6detail15normal_iteratorINSA_10device_ptrIiEEEEPS6_SG_NS0_5tupleIJSF_S6_EEENSH_IJSG_SG_EEES6_PlJNSB_9not_fun_tINSB_10functional5actorINSM_9compositeIJNSM_27transparent_binary_operatorINSA_8equal_toIvEEEENSN_INSM_8argumentILj0EEEEENSM_5valueIiEEEEEEEEEEEE10hipError_tPvRmT3_T4_T5_T6_T7_T9_mT8_P12ihipStream_tbDpT10_ENKUlT_T0_E_clISt17integral_constantIbLb1EES1K_EEDaS1F_S1G_EUlS1F_E_NS1_11comp_targetILNS1_3genE0ELNS1_11target_archE4294967295ELNS1_3gpuE0ELNS1_3repE0EEENS1_30default_config_static_selectorELNS0_4arch9wavefront6targetE0EEEvT1_
		.amdhsa_group_segment_fixed_size 0
		.amdhsa_private_segment_fixed_size 0
		.amdhsa_kernarg_size 128
		.amdhsa_user_sgpr_count 2
		.amdhsa_user_sgpr_dispatch_ptr 0
		.amdhsa_user_sgpr_queue_ptr 0
		.amdhsa_user_sgpr_kernarg_segment_ptr 1
		.amdhsa_user_sgpr_dispatch_id 0
		.amdhsa_user_sgpr_private_segment_size 0
		.amdhsa_wavefront_size32 1
		.amdhsa_uses_dynamic_stack 0
		.amdhsa_enable_private_segment 0
		.amdhsa_system_sgpr_workgroup_id_x 1
		.amdhsa_system_sgpr_workgroup_id_y 0
		.amdhsa_system_sgpr_workgroup_id_z 0
		.amdhsa_system_sgpr_workgroup_info 0
		.amdhsa_system_vgpr_workitem_id 0
		.amdhsa_next_free_vgpr 1
		.amdhsa_next_free_sgpr 1
		.amdhsa_reserve_vcc 0
		.amdhsa_float_round_mode_32 0
		.amdhsa_float_round_mode_16_64 0
		.amdhsa_float_denorm_mode_32 3
		.amdhsa_float_denorm_mode_16_64 3
		.amdhsa_fp16_overflow 0
		.amdhsa_workgroup_processor_mode 1
		.amdhsa_memory_ordered 1
		.amdhsa_forward_progress 1
		.amdhsa_inst_pref_size 0
		.amdhsa_round_robin_scheduling 0
		.amdhsa_exception_fp_ieee_invalid_op 0
		.amdhsa_exception_fp_denorm_src 0
		.amdhsa_exception_fp_ieee_div_zero 0
		.amdhsa_exception_fp_ieee_overflow 0
		.amdhsa_exception_fp_ieee_underflow 0
		.amdhsa_exception_fp_ieee_inexact 0
		.amdhsa_exception_int_div_zero 0
	.end_amdhsa_kernel
	.section	.text._ZN7rocprim17ROCPRIM_400000_NS6detail17trampoline_kernelINS0_14default_configENS1_25partition_config_selectorILNS1_17partition_subalgoE6EiNS0_10empty_typeEbEEZZNS1_14partition_implILS5_6ELb0ES3_mN6thrust23THRUST_200600_302600_NS6detail15normal_iteratorINSA_10device_ptrIiEEEEPS6_SG_NS0_5tupleIJSF_S6_EEENSH_IJSG_SG_EEES6_PlJNSB_9not_fun_tINSB_10functional5actorINSM_9compositeIJNSM_27transparent_binary_operatorINSA_8equal_toIvEEEENSN_INSM_8argumentILj0EEEEENSM_5valueIiEEEEEEEEEEEE10hipError_tPvRmT3_T4_T5_T6_T7_T9_mT8_P12ihipStream_tbDpT10_ENKUlT_T0_E_clISt17integral_constantIbLb1EES1K_EEDaS1F_S1G_EUlS1F_E_NS1_11comp_targetILNS1_3genE0ELNS1_11target_archE4294967295ELNS1_3gpuE0ELNS1_3repE0EEENS1_30default_config_static_selectorELNS0_4arch9wavefront6targetE0EEEvT1_,"axG",@progbits,_ZN7rocprim17ROCPRIM_400000_NS6detail17trampoline_kernelINS0_14default_configENS1_25partition_config_selectorILNS1_17partition_subalgoE6EiNS0_10empty_typeEbEEZZNS1_14partition_implILS5_6ELb0ES3_mN6thrust23THRUST_200600_302600_NS6detail15normal_iteratorINSA_10device_ptrIiEEEEPS6_SG_NS0_5tupleIJSF_S6_EEENSH_IJSG_SG_EEES6_PlJNSB_9not_fun_tINSB_10functional5actorINSM_9compositeIJNSM_27transparent_binary_operatorINSA_8equal_toIvEEEENSN_INSM_8argumentILj0EEEEENSM_5valueIiEEEEEEEEEEEE10hipError_tPvRmT3_T4_T5_T6_T7_T9_mT8_P12ihipStream_tbDpT10_ENKUlT_T0_E_clISt17integral_constantIbLb1EES1K_EEDaS1F_S1G_EUlS1F_E_NS1_11comp_targetILNS1_3genE0ELNS1_11target_archE4294967295ELNS1_3gpuE0ELNS1_3repE0EEENS1_30default_config_static_selectorELNS0_4arch9wavefront6targetE0EEEvT1_,comdat
.Lfunc_end219:
	.size	_ZN7rocprim17ROCPRIM_400000_NS6detail17trampoline_kernelINS0_14default_configENS1_25partition_config_selectorILNS1_17partition_subalgoE6EiNS0_10empty_typeEbEEZZNS1_14partition_implILS5_6ELb0ES3_mN6thrust23THRUST_200600_302600_NS6detail15normal_iteratorINSA_10device_ptrIiEEEEPS6_SG_NS0_5tupleIJSF_S6_EEENSH_IJSG_SG_EEES6_PlJNSB_9not_fun_tINSB_10functional5actorINSM_9compositeIJNSM_27transparent_binary_operatorINSA_8equal_toIvEEEENSN_INSM_8argumentILj0EEEEENSM_5valueIiEEEEEEEEEEEE10hipError_tPvRmT3_T4_T5_T6_T7_T9_mT8_P12ihipStream_tbDpT10_ENKUlT_T0_E_clISt17integral_constantIbLb1EES1K_EEDaS1F_S1G_EUlS1F_E_NS1_11comp_targetILNS1_3genE0ELNS1_11target_archE4294967295ELNS1_3gpuE0ELNS1_3repE0EEENS1_30default_config_static_selectorELNS0_4arch9wavefront6targetE0EEEvT1_, .Lfunc_end219-_ZN7rocprim17ROCPRIM_400000_NS6detail17trampoline_kernelINS0_14default_configENS1_25partition_config_selectorILNS1_17partition_subalgoE6EiNS0_10empty_typeEbEEZZNS1_14partition_implILS5_6ELb0ES3_mN6thrust23THRUST_200600_302600_NS6detail15normal_iteratorINSA_10device_ptrIiEEEEPS6_SG_NS0_5tupleIJSF_S6_EEENSH_IJSG_SG_EEES6_PlJNSB_9not_fun_tINSB_10functional5actorINSM_9compositeIJNSM_27transparent_binary_operatorINSA_8equal_toIvEEEENSN_INSM_8argumentILj0EEEEENSM_5valueIiEEEEEEEEEEEE10hipError_tPvRmT3_T4_T5_T6_T7_T9_mT8_P12ihipStream_tbDpT10_ENKUlT_T0_E_clISt17integral_constantIbLb1EES1K_EEDaS1F_S1G_EUlS1F_E_NS1_11comp_targetILNS1_3genE0ELNS1_11target_archE4294967295ELNS1_3gpuE0ELNS1_3repE0EEENS1_30default_config_static_selectorELNS0_4arch9wavefront6targetE0EEEvT1_
                                        ; -- End function
	.set _ZN7rocprim17ROCPRIM_400000_NS6detail17trampoline_kernelINS0_14default_configENS1_25partition_config_selectorILNS1_17partition_subalgoE6EiNS0_10empty_typeEbEEZZNS1_14partition_implILS5_6ELb0ES3_mN6thrust23THRUST_200600_302600_NS6detail15normal_iteratorINSA_10device_ptrIiEEEEPS6_SG_NS0_5tupleIJSF_S6_EEENSH_IJSG_SG_EEES6_PlJNSB_9not_fun_tINSB_10functional5actorINSM_9compositeIJNSM_27transparent_binary_operatorINSA_8equal_toIvEEEENSN_INSM_8argumentILj0EEEEENSM_5valueIiEEEEEEEEEEEE10hipError_tPvRmT3_T4_T5_T6_T7_T9_mT8_P12ihipStream_tbDpT10_ENKUlT_T0_E_clISt17integral_constantIbLb1EES1K_EEDaS1F_S1G_EUlS1F_E_NS1_11comp_targetILNS1_3genE0ELNS1_11target_archE4294967295ELNS1_3gpuE0ELNS1_3repE0EEENS1_30default_config_static_selectorELNS0_4arch9wavefront6targetE0EEEvT1_.num_vgpr, 0
	.set _ZN7rocprim17ROCPRIM_400000_NS6detail17trampoline_kernelINS0_14default_configENS1_25partition_config_selectorILNS1_17partition_subalgoE6EiNS0_10empty_typeEbEEZZNS1_14partition_implILS5_6ELb0ES3_mN6thrust23THRUST_200600_302600_NS6detail15normal_iteratorINSA_10device_ptrIiEEEEPS6_SG_NS0_5tupleIJSF_S6_EEENSH_IJSG_SG_EEES6_PlJNSB_9not_fun_tINSB_10functional5actorINSM_9compositeIJNSM_27transparent_binary_operatorINSA_8equal_toIvEEEENSN_INSM_8argumentILj0EEEEENSM_5valueIiEEEEEEEEEEEE10hipError_tPvRmT3_T4_T5_T6_T7_T9_mT8_P12ihipStream_tbDpT10_ENKUlT_T0_E_clISt17integral_constantIbLb1EES1K_EEDaS1F_S1G_EUlS1F_E_NS1_11comp_targetILNS1_3genE0ELNS1_11target_archE4294967295ELNS1_3gpuE0ELNS1_3repE0EEENS1_30default_config_static_selectorELNS0_4arch9wavefront6targetE0EEEvT1_.num_agpr, 0
	.set _ZN7rocprim17ROCPRIM_400000_NS6detail17trampoline_kernelINS0_14default_configENS1_25partition_config_selectorILNS1_17partition_subalgoE6EiNS0_10empty_typeEbEEZZNS1_14partition_implILS5_6ELb0ES3_mN6thrust23THRUST_200600_302600_NS6detail15normal_iteratorINSA_10device_ptrIiEEEEPS6_SG_NS0_5tupleIJSF_S6_EEENSH_IJSG_SG_EEES6_PlJNSB_9not_fun_tINSB_10functional5actorINSM_9compositeIJNSM_27transparent_binary_operatorINSA_8equal_toIvEEEENSN_INSM_8argumentILj0EEEEENSM_5valueIiEEEEEEEEEEEE10hipError_tPvRmT3_T4_T5_T6_T7_T9_mT8_P12ihipStream_tbDpT10_ENKUlT_T0_E_clISt17integral_constantIbLb1EES1K_EEDaS1F_S1G_EUlS1F_E_NS1_11comp_targetILNS1_3genE0ELNS1_11target_archE4294967295ELNS1_3gpuE0ELNS1_3repE0EEENS1_30default_config_static_selectorELNS0_4arch9wavefront6targetE0EEEvT1_.numbered_sgpr, 0
	.set _ZN7rocprim17ROCPRIM_400000_NS6detail17trampoline_kernelINS0_14default_configENS1_25partition_config_selectorILNS1_17partition_subalgoE6EiNS0_10empty_typeEbEEZZNS1_14partition_implILS5_6ELb0ES3_mN6thrust23THRUST_200600_302600_NS6detail15normal_iteratorINSA_10device_ptrIiEEEEPS6_SG_NS0_5tupleIJSF_S6_EEENSH_IJSG_SG_EEES6_PlJNSB_9not_fun_tINSB_10functional5actorINSM_9compositeIJNSM_27transparent_binary_operatorINSA_8equal_toIvEEEENSN_INSM_8argumentILj0EEEEENSM_5valueIiEEEEEEEEEEEE10hipError_tPvRmT3_T4_T5_T6_T7_T9_mT8_P12ihipStream_tbDpT10_ENKUlT_T0_E_clISt17integral_constantIbLb1EES1K_EEDaS1F_S1G_EUlS1F_E_NS1_11comp_targetILNS1_3genE0ELNS1_11target_archE4294967295ELNS1_3gpuE0ELNS1_3repE0EEENS1_30default_config_static_selectorELNS0_4arch9wavefront6targetE0EEEvT1_.num_named_barrier, 0
	.set _ZN7rocprim17ROCPRIM_400000_NS6detail17trampoline_kernelINS0_14default_configENS1_25partition_config_selectorILNS1_17partition_subalgoE6EiNS0_10empty_typeEbEEZZNS1_14partition_implILS5_6ELb0ES3_mN6thrust23THRUST_200600_302600_NS6detail15normal_iteratorINSA_10device_ptrIiEEEEPS6_SG_NS0_5tupleIJSF_S6_EEENSH_IJSG_SG_EEES6_PlJNSB_9not_fun_tINSB_10functional5actorINSM_9compositeIJNSM_27transparent_binary_operatorINSA_8equal_toIvEEEENSN_INSM_8argumentILj0EEEEENSM_5valueIiEEEEEEEEEEEE10hipError_tPvRmT3_T4_T5_T6_T7_T9_mT8_P12ihipStream_tbDpT10_ENKUlT_T0_E_clISt17integral_constantIbLb1EES1K_EEDaS1F_S1G_EUlS1F_E_NS1_11comp_targetILNS1_3genE0ELNS1_11target_archE4294967295ELNS1_3gpuE0ELNS1_3repE0EEENS1_30default_config_static_selectorELNS0_4arch9wavefront6targetE0EEEvT1_.private_seg_size, 0
	.set _ZN7rocprim17ROCPRIM_400000_NS6detail17trampoline_kernelINS0_14default_configENS1_25partition_config_selectorILNS1_17partition_subalgoE6EiNS0_10empty_typeEbEEZZNS1_14partition_implILS5_6ELb0ES3_mN6thrust23THRUST_200600_302600_NS6detail15normal_iteratorINSA_10device_ptrIiEEEEPS6_SG_NS0_5tupleIJSF_S6_EEENSH_IJSG_SG_EEES6_PlJNSB_9not_fun_tINSB_10functional5actorINSM_9compositeIJNSM_27transparent_binary_operatorINSA_8equal_toIvEEEENSN_INSM_8argumentILj0EEEEENSM_5valueIiEEEEEEEEEEEE10hipError_tPvRmT3_T4_T5_T6_T7_T9_mT8_P12ihipStream_tbDpT10_ENKUlT_T0_E_clISt17integral_constantIbLb1EES1K_EEDaS1F_S1G_EUlS1F_E_NS1_11comp_targetILNS1_3genE0ELNS1_11target_archE4294967295ELNS1_3gpuE0ELNS1_3repE0EEENS1_30default_config_static_selectorELNS0_4arch9wavefront6targetE0EEEvT1_.uses_vcc, 0
	.set _ZN7rocprim17ROCPRIM_400000_NS6detail17trampoline_kernelINS0_14default_configENS1_25partition_config_selectorILNS1_17partition_subalgoE6EiNS0_10empty_typeEbEEZZNS1_14partition_implILS5_6ELb0ES3_mN6thrust23THRUST_200600_302600_NS6detail15normal_iteratorINSA_10device_ptrIiEEEEPS6_SG_NS0_5tupleIJSF_S6_EEENSH_IJSG_SG_EEES6_PlJNSB_9not_fun_tINSB_10functional5actorINSM_9compositeIJNSM_27transparent_binary_operatorINSA_8equal_toIvEEEENSN_INSM_8argumentILj0EEEEENSM_5valueIiEEEEEEEEEEEE10hipError_tPvRmT3_T4_T5_T6_T7_T9_mT8_P12ihipStream_tbDpT10_ENKUlT_T0_E_clISt17integral_constantIbLb1EES1K_EEDaS1F_S1G_EUlS1F_E_NS1_11comp_targetILNS1_3genE0ELNS1_11target_archE4294967295ELNS1_3gpuE0ELNS1_3repE0EEENS1_30default_config_static_selectorELNS0_4arch9wavefront6targetE0EEEvT1_.uses_flat_scratch, 0
	.set _ZN7rocprim17ROCPRIM_400000_NS6detail17trampoline_kernelINS0_14default_configENS1_25partition_config_selectorILNS1_17partition_subalgoE6EiNS0_10empty_typeEbEEZZNS1_14partition_implILS5_6ELb0ES3_mN6thrust23THRUST_200600_302600_NS6detail15normal_iteratorINSA_10device_ptrIiEEEEPS6_SG_NS0_5tupleIJSF_S6_EEENSH_IJSG_SG_EEES6_PlJNSB_9not_fun_tINSB_10functional5actorINSM_9compositeIJNSM_27transparent_binary_operatorINSA_8equal_toIvEEEENSN_INSM_8argumentILj0EEEEENSM_5valueIiEEEEEEEEEEEE10hipError_tPvRmT3_T4_T5_T6_T7_T9_mT8_P12ihipStream_tbDpT10_ENKUlT_T0_E_clISt17integral_constantIbLb1EES1K_EEDaS1F_S1G_EUlS1F_E_NS1_11comp_targetILNS1_3genE0ELNS1_11target_archE4294967295ELNS1_3gpuE0ELNS1_3repE0EEENS1_30default_config_static_selectorELNS0_4arch9wavefront6targetE0EEEvT1_.has_dyn_sized_stack, 0
	.set _ZN7rocprim17ROCPRIM_400000_NS6detail17trampoline_kernelINS0_14default_configENS1_25partition_config_selectorILNS1_17partition_subalgoE6EiNS0_10empty_typeEbEEZZNS1_14partition_implILS5_6ELb0ES3_mN6thrust23THRUST_200600_302600_NS6detail15normal_iteratorINSA_10device_ptrIiEEEEPS6_SG_NS0_5tupleIJSF_S6_EEENSH_IJSG_SG_EEES6_PlJNSB_9not_fun_tINSB_10functional5actorINSM_9compositeIJNSM_27transparent_binary_operatorINSA_8equal_toIvEEEENSN_INSM_8argumentILj0EEEEENSM_5valueIiEEEEEEEEEEEE10hipError_tPvRmT3_T4_T5_T6_T7_T9_mT8_P12ihipStream_tbDpT10_ENKUlT_T0_E_clISt17integral_constantIbLb1EES1K_EEDaS1F_S1G_EUlS1F_E_NS1_11comp_targetILNS1_3genE0ELNS1_11target_archE4294967295ELNS1_3gpuE0ELNS1_3repE0EEENS1_30default_config_static_selectorELNS0_4arch9wavefront6targetE0EEEvT1_.has_recursion, 0
	.set _ZN7rocprim17ROCPRIM_400000_NS6detail17trampoline_kernelINS0_14default_configENS1_25partition_config_selectorILNS1_17partition_subalgoE6EiNS0_10empty_typeEbEEZZNS1_14partition_implILS5_6ELb0ES3_mN6thrust23THRUST_200600_302600_NS6detail15normal_iteratorINSA_10device_ptrIiEEEEPS6_SG_NS0_5tupleIJSF_S6_EEENSH_IJSG_SG_EEES6_PlJNSB_9not_fun_tINSB_10functional5actorINSM_9compositeIJNSM_27transparent_binary_operatorINSA_8equal_toIvEEEENSN_INSM_8argumentILj0EEEEENSM_5valueIiEEEEEEEEEEEE10hipError_tPvRmT3_T4_T5_T6_T7_T9_mT8_P12ihipStream_tbDpT10_ENKUlT_T0_E_clISt17integral_constantIbLb1EES1K_EEDaS1F_S1G_EUlS1F_E_NS1_11comp_targetILNS1_3genE0ELNS1_11target_archE4294967295ELNS1_3gpuE0ELNS1_3repE0EEENS1_30default_config_static_selectorELNS0_4arch9wavefront6targetE0EEEvT1_.has_indirect_call, 0
	.section	.AMDGPU.csdata,"",@progbits
; Kernel info:
; codeLenInByte = 0
; TotalNumSgprs: 0
; NumVgprs: 0
; ScratchSize: 0
; MemoryBound: 0
; FloatMode: 240
; IeeeMode: 1
; LDSByteSize: 0 bytes/workgroup (compile time only)
; SGPRBlocks: 0
; VGPRBlocks: 0
; NumSGPRsForWavesPerEU: 1
; NumVGPRsForWavesPerEU: 1
; Occupancy: 16
; WaveLimiterHint : 0
; COMPUTE_PGM_RSRC2:SCRATCH_EN: 0
; COMPUTE_PGM_RSRC2:USER_SGPR: 2
; COMPUTE_PGM_RSRC2:TRAP_HANDLER: 0
; COMPUTE_PGM_RSRC2:TGID_X_EN: 1
; COMPUTE_PGM_RSRC2:TGID_Y_EN: 0
; COMPUTE_PGM_RSRC2:TGID_Z_EN: 0
; COMPUTE_PGM_RSRC2:TIDIG_COMP_CNT: 0
	.section	.text._ZN7rocprim17ROCPRIM_400000_NS6detail17trampoline_kernelINS0_14default_configENS1_25partition_config_selectorILNS1_17partition_subalgoE6EiNS0_10empty_typeEbEEZZNS1_14partition_implILS5_6ELb0ES3_mN6thrust23THRUST_200600_302600_NS6detail15normal_iteratorINSA_10device_ptrIiEEEEPS6_SG_NS0_5tupleIJSF_S6_EEENSH_IJSG_SG_EEES6_PlJNSB_9not_fun_tINSB_10functional5actorINSM_9compositeIJNSM_27transparent_binary_operatorINSA_8equal_toIvEEEENSN_INSM_8argumentILj0EEEEENSM_5valueIiEEEEEEEEEEEE10hipError_tPvRmT3_T4_T5_T6_T7_T9_mT8_P12ihipStream_tbDpT10_ENKUlT_T0_E_clISt17integral_constantIbLb1EES1K_EEDaS1F_S1G_EUlS1F_E_NS1_11comp_targetILNS1_3genE5ELNS1_11target_archE942ELNS1_3gpuE9ELNS1_3repE0EEENS1_30default_config_static_selectorELNS0_4arch9wavefront6targetE0EEEvT1_,"axG",@progbits,_ZN7rocprim17ROCPRIM_400000_NS6detail17trampoline_kernelINS0_14default_configENS1_25partition_config_selectorILNS1_17partition_subalgoE6EiNS0_10empty_typeEbEEZZNS1_14partition_implILS5_6ELb0ES3_mN6thrust23THRUST_200600_302600_NS6detail15normal_iteratorINSA_10device_ptrIiEEEEPS6_SG_NS0_5tupleIJSF_S6_EEENSH_IJSG_SG_EEES6_PlJNSB_9not_fun_tINSB_10functional5actorINSM_9compositeIJNSM_27transparent_binary_operatorINSA_8equal_toIvEEEENSN_INSM_8argumentILj0EEEEENSM_5valueIiEEEEEEEEEEEE10hipError_tPvRmT3_T4_T5_T6_T7_T9_mT8_P12ihipStream_tbDpT10_ENKUlT_T0_E_clISt17integral_constantIbLb1EES1K_EEDaS1F_S1G_EUlS1F_E_NS1_11comp_targetILNS1_3genE5ELNS1_11target_archE942ELNS1_3gpuE9ELNS1_3repE0EEENS1_30default_config_static_selectorELNS0_4arch9wavefront6targetE0EEEvT1_,comdat
	.protected	_ZN7rocprim17ROCPRIM_400000_NS6detail17trampoline_kernelINS0_14default_configENS1_25partition_config_selectorILNS1_17partition_subalgoE6EiNS0_10empty_typeEbEEZZNS1_14partition_implILS5_6ELb0ES3_mN6thrust23THRUST_200600_302600_NS6detail15normal_iteratorINSA_10device_ptrIiEEEEPS6_SG_NS0_5tupleIJSF_S6_EEENSH_IJSG_SG_EEES6_PlJNSB_9not_fun_tINSB_10functional5actorINSM_9compositeIJNSM_27transparent_binary_operatorINSA_8equal_toIvEEEENSN_INSM_8argumentILj0EEEEENSM_5valueIiEEEEEEEEEEEE10hipError_tPvRmT3_T4_T5_T6_T7_T9_mT8_P12ihipStream_tbDpT10_ENKUlT_T0_E_clISt17integral_constantIbLb1EES1K_EEDaS1F_S1G_EUlS1F_E_NS1_11comp_targetILNS1_3genE5ELNS1_11target_archE942ELNS1_3gpuE9ELNS1_3repE0EEENS1_30default_config_static_selectorELNS0_4arch9wavefront6targetE0EEEvT1_ ; -- Begin function _ZN7rocprim17ROCPRIM_400000_NS6detail17trampoline_kernelINS0_14default_configENS1_25partition_config_selectorILNS1_17partition_subalgoE6EiNS0_10empty_typeEbEEZZNS1_14partition_implILS5_6ELb0ES3_mN6thrust23THRUST_200600_302600_NS6detail15normal_iteratorINSA_10device_ptrIiEEEEPS6_SG_NS0_5tupleIJSF_S6_EEENSH_IJSG_SG_EEES6_PlJNSB_9not_fun_tINSB_10functional5actorINSM_9compositeIJNSM_27transparent_binary_operatorINSA_8equal_toIvEEEENSN_INSM_8argumentILj0EEEEENSM_5valueIiEEEEEEEEEEEE10hipError_tPvRmT3_T4_T5_T6_T7_T9_mT8_P12ihipStream_tbDpT10_ENKUlT_T0_E_clISt17integral_constantIbLb1EES1K_EEDaS1F_S1G_EUlS1F_E_NS1_11comp_targetILNS1_3genE5ELNS1_11target_archE942ELNS1_3gpuE9ELNS1_3repE0EEENS1_30default_config_static_selectorELNS0_4arch9wavefront6targetE0EEEvT1_
	.globl	_ZN7rocprim17ROCPRIM_400000_NS6detail17trampoline_kernelINS0_14default_configENS1_25partition_config_selectorILNS1_17partition_subalgoE6EiNS0_10empty_typeEbEEZZNS1_14partition_implILS5_6ELb0ES3_mN6thrust23THRUST_200600_302600_NS6detail15normal_iteratorINSA_10device_ptrIiEEEEPS6_SG_NS0_5tupleIJSF_S6_EEENSH_IJSG_SG_EEES6_PlJNSB_9not_fun_tINSB_10functional5actorINSM_9compositeIJNSM_27transparent_binary_operatorINSA_8equal_toIvEEEENSN_INSM_8argumentILj0EEEEENSM_5valueIiEEEEEEEEEEEE10hipError_tPvRmT3_T4_T5_T6_T7_T9_mT8_P12ihipStream_tbDpT10_ENKUlT_T0_E_clISt17integral_constantIbLb1EES1K_EEDaS1F_S1G_EUlS1F_E_NS1_11comp_targetILNS1_3genE5ELNS1_11target_archE942ELNS1_3gpuE9ELNS1_3repE0EEENS1_30default_config_static_selectorELNS0_4arch9wavefront6targetE0EEEvT1_
	.p2align	8
	.type	_ZN7rocprim17ROCPRIM_400000_NS6detail17trampoline_kernelINS0_14default_configENS1_25partition_config_selectorILNS1_17partition_subalgoE6EiNS0_10empty_typeEbEEZZNS1_14partition_implILS5_6ELb0ES3_mN6thrust23THRUST_200600_302600_NS6detail15normal_iteratorINSA_10device_ptrIiEEEEPS6_SG_NS0_5tupleIJSF_S6_EEENSH_IJSG_SG_EEES6_PlJNSB_9not_fun_tINSB_10functional5actorINSM_9compositeIJNSM_27transparent_binary_operatorINSA_8equal_toIvEEEENSN_INSM_8argumentILj0EEEEENSM_5valueIiEEEEEEEEEEEE10hipError_tPvRmT3_T4_T5_T6_T7_T9_mT8_P12ihipStream_tbDpT10_ENKUlT_T0_E_clISt17integral_constantIbLb1EES1K_EEDaS1F_S1G_EUlS1F_E_NS1_11comp_targetILNS1_3genE5ELNS1_11target_archE942ELNS1_3gpuE9ELNS1_3repE0EEENS1_30default_config_static_selectorELNS0_4arch9wavefront6targetE0EEEvT1_,@function
_ZN7rocprim17ROCPRIM_400000_NS6detail17trampoline_kernelINS0_14default_configENS1_25partition_config_selectorILNS1_17partition_subalgoE6EiNS0_10empty_typeEbEEZZNS1_14partition_implILS5_6ELb0ES3_mN6thrust23THRUST_200600_302600_NS6detail15normal_iteratorINSA_10device_ptrIiEEEEPS6_SG_NS0_5tupleIJSF_S6_EEENSH_IJSG_SG_EEES6_PlJNSB_9not_fun_tINSB_10functional5actorINSM_9compositeIJNSM_27transparent_binary_operatorINSA_8equal_toIvEEEENSN_INSM_8argumentILj0EEEEENSM_5valueIiEEEEEEEEEEEE10hipError_tPvRmT3_T4_T5_T6_T7_T9_mT8_P12ihipStream_tbDpT10_ENKUlT_T0_E_clISt17integral_constantIbLb1EES1K_EEDaS1F_S1G_EUlS1F_E_NS1_11comp_targetILNS1_3genE5ELNS1_11target_archE942ELNS1_3gpuE9ELNS1_3repE0EEENS1_30default_config_static_selectorELNS0_4arch9wavefront6targetE0EEEvT1_: ; @_ZN7rocprim17ROCPRIM_400000_NS6detail17trampoline_kernelINS0_14default_configENS1_25partition_config_selectorILNS1_17partition_subalgoE6EiNS0_10empty_typeEbEEZZNS1_14partition_implILS5_6ELb0ES3_mN6thrust23THRUST_200600_302600_NS6detail15normal_iteratorINSA_10device_ptrIiEEEEPS6_SG_NS0_5tupleIJSF_S6_EEENSH_IJSG_SG_EEES6_PlJNSB_9not_fun_tINSB_10functional5actorINSM_9compositeIJNSM_27transparent_binary_operatorINSA_8equal_toIvEEEENSN_INSM_8argumentILj0EEEEENSM_5valueIiEEEEEEEEEEEE10hipError_tPvRmT3_T4_T5_T6_T7_T9_mT8_P12ihipStream_tbDpT10_ENKUlT_T0_E_clISt17integral_constantIbLb1EES1K_EEDaS1F_S1G_EUlS1F_E_NS1_11comp_targetILNS1_3genE5ELNS1_11target_archE942ELNS1_3gpuE9ELNS1_3repE0EEENS1_30default_config_static_selectorELNS0_4arch9wavefront6targetE0EEEvT1_
; %bb.0:
	.section	.rodata,"a",@progbits
	.p2align	6, 0x0
	.amdhsa_kernel _ZN7rocprim17ROCPRIM_400000_NS6detail17trampoline_kernelINS0_14default_configENS1_25partition_config_selectorILNS1_17partition_subalgoE6EiNS0_10empty_typeEbEEZZNS1_14partition_implILS5_6ELb0ES3_mN6thrust23THRUST_200600_302600_NS6detail15normal_iteratorINSA_10device_ptrIiEEEEPS6_SG_NS0_5tupleIJSF_S6_EEENSH_IJSG_SG_EEES6_PlJNSB_9not_fun_tINSB_10functional5actorINSM_9compositeIJNSM_27transparent_binary_operatorINSA_8equal_toIvEEEENSN_INSM_8argumentILj0EEEEENSM_5valueIiEEEEEEEEEEEE10hipError_tPvRmT3_T4_T5_T6_T7_T9_mT8_P12ihipStream_tbDpT10_ENKUlT_T0_E_clISt17integral_constantIbLb1EES1K_EEDaS1F_S1G_EUlS1F_E_NS1_11comp_targetILNS1_3genE5ELNS1_11target_archE942ELNS1_3gpuE9ELNS1_3repE0EEENS1_30default_config_static_selectorELNS0_4arch9wavefront6targetE0EEEvT1_
		.amdhsa_group_segment_fixed_size 0
		.amdhsa_private_segment_fixed_size 0
		.amdhsa_kernarg_size 128
		.amdhsa_user_sgpr_count 2
		.amdhsa_user_sgpr_dispatch_ptr 0
		.amdhsa_user_sgpr_queue_ptr 0
		.amdhsa_user_sgpr_kernarg_segment_ptr 1
		.amdhsa_user_sgpr_dispatch_id 0
		.amdhsa_user_sgpr_private_segment_size 0
		.amdhsa_wavefront_size32 1
		.amdhsa_uses_dynamic_stack 0
		.amdhsa_enable_private_segment 0
		.amdhsa_system_sgpr_workgroup_id_x 1
		.amdhsa_system_sgpr_workgroup_id_y 0
		.amdhsa_system_sgpr_workgroup_id_z 0
		.amdhsa_system_sgpr_workgroup_info 0
		.amdhsa_system_vgpr_workitem_id 0
		.amdhsa_next_free_vgpr 1
		.amdhsa_next_free_sgpr 1
		.amdhsa_reserve_vcc 0
		.amdhsa_float_round_mode_32 0
		.amdhsa_float_round_mode_16_64 0
		.amdhsa_float_denorm_mode_32 3
		.amdhsa_float_denorm_mode_16_64 3
		.amdhsa_fp16_overflow 0
		.amdhsa_workgroup_processor_mode 1
		.amdhsa_memory_ordered 1
		.amdhsa_forward_progress 1
		.amdhsa_inst_pref_size 0
		.amdhsa_round_robin_scheduling 0
		.amdhsa_exception_fp_ieee_invalid_op 0
		.amdhsa_exception_fp_denorm_src 0
		.amdhsa_exception_fp_ieee_div_zero 0
		.amdhsa_exception_fp_ieee_overflow 0
		.amdhsa_exception_fp_ieee_underflow 0
		.amdhsa_exception_fp_ieee_inexact 0
		.amdhsa_exception_int_div_zero 0
	.end_amdhsa_kernel
	.section	.text._ZN7rocprim17ROCPRIM_400000_NS6detail17trampoline_kernelINS0_14default_configENS1_25partition_config_selectorILNS1_17partition_subalgoE6EiNS0_10empty_typeEbEEZZNS1_14partition_implILS5_6ELb0ES3_mN6thrust23THRUST_200600_302600_NS6detail15normal_iteratorINSA_10device_ptrIiEEEEPS6_SG_NS0_5tupleIJSF_S6_EEENSH_IJSG_SG_EEES6_PlJNSB_9not_fun_tINSB_10functional5actorINSM_9compositeIJNSM_27transparent_binary_operatorINSA_8equal_toIvEEEENSN_INSM_8argumentILj0EEEEENSM_5valueIiEEEEEEEEEEEE10hipError_tPvRmT3_T4_T5_T6_T7_T9_mT8_P12ihipStream_tbDpT10_ENKUlT_T0_E_clISt17integral_constantIbLb1EES1K_EEDaS1F_S1G_EUlS1F_E_NS1_11comp_targetILNS1_3genE5ELNS1_11target_archE942ELNS1_3gpuE9ELNS1_3repE0EEENS1_30default_config_static_selectorELNS0_4arch9wavefront6targetE0EEEvT1_,"axG",@progbits,_ZN7rocprim17ROCPRIM_400000_NS6detail17trampoline_kernelINS0_14default_configENS1_25partition_config_selectorILNS1_17partition_subalgoE6EiNS0_10empty_typeEbEEZZNS1_14partition_implILS5_6ELb0ES3_mN6thrust23THRUST_200600_302600_NS6detail15normal_iteratorINSA_10device_ptrIiEEEEPS6_SG_NS0_5tupleIJSF_S6_EEENSH_IJSG_SG_EEES6_PlJNSB_9not_fun_tINSB_10functional5actorINSM_9compositeIJNSM_27transparent_binary_operatorINSA_8equal_toIvEEEENSN_INSM_8argumentILj0EEEEENSM_5valueIiEEEEEEEEEEEE10hipError_tPvRmT3_T4_T5_T6_T7_T9_mT8_P12ihipStream_tbDpT10_ENKUlT_T0_E_clISt17integral_constantIbLb1EES1K_EEDaS1F_S1G_EUlS1F_E_NS1_11comp_targetILNS1_3genE5ELNS1_11target_archE942ELNS1_3gpuE9ELNS1_3repE0EEENS1_30default_config_static_selectorELNS0_4arch9wavefront6targetE0EEEvT1_,comdat
.Lfunc_end220:
	.size	_ZN7rocprim17ROCPRIM_400000_NS6detail17trampoline_kernelINS0_14default_configENS1_25partition_config_selectorILNS1_17partition_subalgoE6EiNS0_10empty_typeEbEEZZNS1_14partition_implILS5_6ELb0ES3_mN6thrust23THRUST_200600_302600_NS6detail15normal_iteratorINSA_10device_ptrIiEEEEPS6_SG_NS0_5tupleIJSF_S6_EEENSH_IJSG_SG_EEES6_PlJNSB_9not_fun_tINSB_10functional5actorINSM_9compositeIJNSM_27transparent_binary_operatorINSA_8equal_toIvEEEENSN_INSM_8argumentILj0EEEEENSM_5valueIiEEEEEEEEEEEE10hipError_tPvRmT3_T4_T5_T6_T7_T9_mT8_P12ihipStream_tbDpT10_ENKUlT_T0_E_clISt17integral_constantIbLb1EES1K_EEDaS1F_S1G_EUlS1F_E_NS1_11comp_targetILNS1_3genE5ELNS1_11target_archE942ELNS1_3gpuE9ELNS1_3repE0EEENS1_30default_config_static_selectorELNS0_4arch9wavefront6targetE0EEEvT1_, .Lfunc_end220-_ZN7rocprim17ROCPRIM_400000_NS6detail17trampoline_kernelINS0_14default_configENS1_25partition_config_selectorILNS1_17partition_subalgoE6EiNS0_10empty_typeEbEEZZNS1_14partition_implILS5_6ELb0ES3_mN6thrust23THRUST_200600_302600_NS6detail15normal_iteratorINSA_10device_ptrIiEEEEPS6_SG_NS0_5tupleIJSF_S6_EEENSH_IJSG_SG_EEES6_PlJNSB_9not_fun_tINSB_10functional5actorINSM_9compositeIJNSM_27transparent_binary_operatorINSA_8equal_toIvEEEENSN_INSM_8argumentILj0EEEEENSM_5valueIiEEEEEEEEEEEE10hipError_tPvRmT3_T4_T5_T6_T7_T9_mT8_P12ihipStream_tbDpT10_ENKUlT_T0_E_clISt17integral_constantIbLb1EES1K_EEDaS1F_S1G_EUlS1F_E_NS1_11comp_targetILNS1_3genE5ELNS1_11target_archE942ELNS1_3gpuE9ELNS1_3repE0EEENS1_30default_config_static_selectorELNS0_4arch9wavefront6targetE0EEEvT1_
                                        ; -- End function
	.set _ZN7rocprim17ROCPRIM_400000_NS6detail17trampoline_kernelINS0_14default_configENS1_25partition_config_selectorILNS1_17partition_subalgoE6EiNS0_10empty_typeEbEEZZNS1_14partition_implILS5_6ELb0ES3_mN6thrust23THRUST_200600_302600_NS6detail15normal_iteratorINSA_10device_ptrIiEEEEPS6_SG_NS0_5tupleIJSF_S6_EEENSH_IJSG_SG_EEES6_PlJNSB_9not_fun_tINSB_10functional5actorINSM_9compositeIJNSM_27transparent_binary_operatorINSA_8equal_toIvEEEENSN_INSM_8argumentILj0EEEEENSM_5valueIiEEEEEEEEEEEE10hipError_tPvRmT3_T4_T5_T6_T7_T9_mT8_P12ihipStream_tbDpT10_ENKUlT_T0_E_clISt17integral_constantIbLb1EES1K_EEDaS1F_S1G_EUlS1F_E_NS1_11comp_targetILNS1_3genE5ELNS1_11target_archE942ELNS1_3gpuE9ELNS1_3repE0EEENS1_30default_config_static_selectorELNS0_4arch9wavefront6targetE0EEEvT1_.num_vgpr, 0
	.set _ZN7rocprim17ROCPRIM_400000_NS6detail17trampoline_kernelINS0_14default_configENS1_25partition_config_selectorILNS1_17partition_subalgoE6EiNS0_10empty_typeEbEEZZNS1_14partition_implILS5_6ELb0ES3_mN6thrust23THRUST_200600_302600_NS6detail15normal_iteratorINSA_10device_ptrIiEEEEPS6_SG_NS0_5tupleIJSF_S6_EEENSH_IJSG_SG_EEES6_PlJNSB_9not_fun_tINSB_10functional5actorINSM_9compositeIJNSM_27transparent_binary_operatorINSA_8equal_toIvEEEENSN_INSM_8argumentILj0EEEEENSM_5valueIiEEEEEEEEEEEE10hipError_tPvRmT3_T4_T5_T6_T7_T9_mT8_P12ihipStream_tbDpT10_ENKUlT_T0_E_clISt17integral_constantIbLb1EES1K_EEDaS1F_S1G_EUlS1F_E_NS1_11comp_targetILNS1_3genE5ELNS1_11target_archE942ELNS1_3gpuE9ELNS1_3repE0EEENS1_30default_config_static_selectorELNS0_4arch9wavefront6targetE0EEEvT1_.num_agpr, 0
	.set _ZN7rocprim17ROCPRIM_400000_NS6detail17trampoline_kernelINS0_14default_configENS1_25partition_config_selectorILNS1_17partition_subalgoE6EiNS0_10empty_typeEbEEZZNS1_14partition_implILS5_6ELb0ES3_mN6thrust23THRUST_200600_302600_NS6detail15normal_iteratorINSA_10device_ptrIiEEEEPS6_SG_NS0_5tupleIJSF_S6_EEENSH_IJSG_SG_EEES6_PlJNSB_9not_fun_tINSB_10functional5actorINSM_9compositeIJNSM_27transparent_binary_operatorINSA_8equal_toIvEEEENSN_INSM_8argumentILj0EEEEENSM_5valueIiEEEEEEEEEEEE10hipError_tPvRmT3_T4_T5_T6_T7_T9_mT8_P12ihipStream_tbDpT10_ENKUlT_T0_E_clISt17integral_constantIbLb1EES1K_EEDaS1F_S1G_EUlS1F_E_NS1_11comp_targetILNS1_3genE5ELNS1_11target_archE942ELNS1_3gpuE9ELNS1_3repE0EEENS1_30default_config_static_selectorELNS0_4arch9wavefront6targetE0EEEvT1_.numbered_sgpr, 0
	.set _ZN7rocprim17ROCPRIM_400000_NS6detail17trampoline_kernelINS0_14default_configENS1_25partition_config_selectorILNS1_17partition_subalgoE6EiNS0_10empty_typeEbEEZZNS1_14partition_implILS5_6ELb0ES3_mN6thrust23THRUST_200600_302600_NS6detail15normal_iteratorINSA_10device_ptrIiEEEEPS6_SG_NS0_5tupleIJSF_S6_EEENSH_IJSG_SG_EEES6_PlJNSB_9not_fun_tINSB_10functional5actorINSM_9compositeIJNSM_27transparent_binary_operatorINSA_8equal_toIvEEEENSN_INSM_8argumentILj0EEEEENSM_5valueIiEEEEEEEEEEEE10hipError_tPvRmT3_T4_T5_T6_T7_T9_mT8_P12ihipStream_tbDpT10_ENKUlT_T0_E_clISt17integral_constantIbLb1EES1K_EEDaS1F_S1G_EUlS1F_E_NS1_11comp_targetILNS1_3genE5ELNS1_11target_archE942ELNS1_3gpuE9ELNS1_3repE0EEENS1_30default_config_static_selectorELNS0_4arch9wavefront6targetE0EEEvT1_.num_named_barrier, 0
	.set _ZN7rocprim17ROCPRIM_400000_NS6detail17trampoline_kernelINS0_14default_configENS1_25partition_config_selectorILNS1_17partition_subalgoE6EiNS0_10empty_typeEbEEZZNS1_14partition_implILS5_6ELb0ES3_mN6thrust23THRUST_200600_302600_NS6detail15normal_iteratorINSA_10device_ptrIiEEEEPS6_SG_NS0_5tupleIJSF_S6_EEENSH_IJSG_SG_EEES6_PlJNSB_9not_fun_tINSB_10functional5actorINSM_9compositeIJNSM_27transparent_binary_operatorINSA_8equal_toIvEEEENSN_INSM_8argumentILj0EEEEENSM_5valueIiEEEEEEEEEEEE10hipError_tPvRmT3_T4_T5_T6_T7_T9_mT8_P12ihipStream_tbDpT10_ENKUlT_T0_E_clISt17integral_constantIbLb1EES1K_EEDaS1F_S1G_EUlS1F_E_NS1_11comp_targetILNS1_3genE5ELNS1_11target_archE942ELNS1_3gpuE9ELNS1_3repE0EEENS1_30default_config_static_selectorELNS0_4arch9wavefront6targetE0EEEvT1_.private_seg_size, 0
	.set _ZN7rocprim17ROCPRIM_400000_NS6detail17trampoline_kernelINS0_14default_configENS1_25partition_config_selectorILNS1_17partition_subalgoE6EiNS0_10empty_typeEbEEZZNS1_14partition_implILS5_6ELb0ES3_mN6thrust23THRUST_200600_302600_NS6detail15normal_iteratorINSA_10device_ptrIiEEEEPS6_SG_NS0_5tupleIJSF_S6_EEENSH_IJSG_SG_EEES6_PlJNSB_9not_fun_tINSB_10functional5actorINSM_9compositeIJNSM_27transparent_binary_operatorINSA_8equal_toIvEEEENSN_INSM_8argumentILj0EEEEENSM_5valueIiEEEEEEEEEEEE10hipError_tPvRmT3_T4_T5_T6_T7_T9_mT8_P12ihipStream_tbDpT10_ENKUlT_T0_E_clISt17integral_constantIbLb1EES1K_EEDaS1F_S1G_EUlS1F_E_NS1_11comp_targetILNS1_3genE5ELNS1_11target_archE942ELNS1_3gpuE9ELNS1_3repE0EEENS1_30default_config_static_selectorELNS0_4arch9wavefront6targetE0EEEvT1_.uses_vcc, 0
	.set _ZN7rocprim17ROCPRIM_400000_NS6detail17trampoline_kernelINS0_14default_configENS1_25partition_config_selectorILNS1_17partition_subalgoE6EiNS0_10empty_typeEbEEZZNS1_14partition_implILS5_6ELb0ES3_mN6thrust23THRUST_200600_302600_NS6detail15normal_iteratorINSA_10device_ptrIiEEEEPS6_SG_NS0_5tupleIJSF_S6_EEENSH_IJSG_SG_EEES6_PlJNSB_9not_fun_tINSB_10functional5actorINSM_9compositeIJNSM_27transparent_binary_operatorINSA_8equal_toIvEEEENSN_INSM_8argumentILj0EEEEENSM_5valueIiEEEEEEEEEEEE10hipError_tPvRmT3_T4_T5_T6_T7_T9_mT8_P12ihipStream_tbDpT10_ENKUlT_T0_E_clISt17integral_constantIbLb1EES1K_EEDaS1F_S1G_EUlS1F_E_NS1_11comp_targetILNS1_3genE5ELNS1_11target_archE942ELNS1_3gpuE9ELNS1_3repE0EEENS1_30default_config_static_selectorELNS0_4arch9wavefront6targetE0EEEvT1_.uses_flat_scratch, 0
	.set _ZN7rocprim17ROCPRIM_400000_NS6detail17trampoline_kernelINS0_14default_configENS1_25partition_config_selectorILNS1_17partition_subalgoE6EiNS0_10empty_typeEbEEZZNS1_14partition_implILS5_6ELb0ES3_mN6thrust23THRUST_200600_302600_NS6detail15normal_iteratorINSA_10device_ptrIiEEEEPS6_SG_NS0_5tupleIJSF_S6_EEENSH_IJSG_SG_EEES6_PlJNSB_9not_fun_tINSB_10functional5actorINSM_9compositeIJNSM_27transparent_binary_operatorINSA_8equal_toIvEEEENSN_INSM_8argumentILj0EEEEENSM_5valueIiEEEEEEEEEEEE10hipError_tPvRmT3_T4_T5_T6_T7_T9_mT8_P12ihipStream_tbDpT10_ENKUlT_T0_E_clISt17integral_constantIbLb1EES1K_EEDaS1F_S1G_EUlS1F_E_NS1_11comp_targetILNS1_3genE5ELNS1_11target_archE942ELNS1_3gpuE9ELNS1_3repE0EEENS1_30default_config_static_selectorELNS0_4arch9wavefront6targetE0EEEvT1_.has_dyn_sized_stack, 0
	.set _ZN7rocprim17ROCPRIM_400000_NS6detail17trampoline_kernelINS0_14default_configENS1_25partition_config_selectorILNS1_17partition_subalgoE6EiNS0_10empty_typeEbEEZZNS1_14partition_implILS5_6ELb0ES3_mN6thrust23THRUST_200600_302600_NS6detail15normal_iteratorINSA_10device_ptrIiEEEEPS6_SG_NS0_5tupleIJSF_S6_EEENSH_IJSG_SG_EEES6_PlJNSB_9not_fun_tINSB_10functional5actorINSM_9compositeIJNSM_27transparent_binary_operatorINSA_8equal_toIvEEEENSN_INSM_8argumentILj0EEEEENSM_5valueIiEEEEEEEEEEEE10hipError_tPvRmT3_T4_T5_T6_T7_T9_mT8_P12ihipStream_tbDpT10_ENKUlT_T0_E_clISt17integral_constantIbLb1EES1K_EEDaS1F_S1G_EUlS1F_E_NS1_11comp_targetILNS1_3genE5ELNS1_11target_archE942ELNS1_3gpuE9ELNS1_3repE0EEENS1_30default_config_static_selectorELNS0_4arch9wavefront6targetE0EEEvT1_.has_recursion, 0
	.set _ZN7rocprim17ROCPRIM_400000_NS6detail17trampoline_kernelINS0_14default_configENS1_25partition_config_selectorILNS1_17partition_subalgoE6EiNS0_10empty_typeEbEEZZNS1_14partition_implILS5_6ELb0ES3_mN6thrust23THRUST_200600_302600_NS6detail15normal_iteratorINSA_10device_ptrIiEEEEPS6_SG_NS0_5tupleIJSF_S6_EEENSH_IJSG_SG_EEES6_PlJNSB_9not_fun_tINSB_10functional5actorINSM_9compositeIJNSM_27transparent_binary_operatorINSA_8equal_toIvEEEENSN_INSM_8argumentILj0EEEEENSM_5valueIiEEEEEEEEEEEE10hipError_tPvRmT3_T4_T5_T6_T7_T9_mT8_P12ihipStream_tbDpT10_ENKUlT_T0_E_clISt17integral_constantIbLb1EES1K_EEDaS1F_S1G_EUlS1F_E_NS1_11comp_targetILNS1_3genE5ELNS1_11target_archE942ELNS1_3gpuE9ELNS1_3repE0EEENS1_30default_config_static_selectorELNS0_4arch9wavefront6targetE0EEEvT1_.has_indirect_call, 0
	.section	.AMDGPU.csdata,"",@progbits
; Kernel info:
; codeLenInByte = 0
; TotalNumSgprs: 0
; NumVgprs: 0
; ScratchSize: 0
; MemoryBound: 0
; FloatMode: 240
; IeeeMode: 1
; LDSByteSize: 0 bytes/workgroup (compile time only)
; SGPRBlocks: 0
; VGPRBlocks: 0
; NumSGPRsForWavesPerEU: 1
; NumVGPRsForWavesPerEU: 1
; Occupancy: 16
; WaveLimiterHint : 0
; COMPUTE_PGM_RSRC2:SCRATCH_EN: 0
; COMPUTE_PGM_RSRC2:USER_SGPR: 2
; COMPUTE_PGM_RSRC2:TRAP_HANDLER: 0
; COMPUTE_PGM_RSRC2:TGID_X_EN: 1
; COMPUTE_PGM_RSRC2:TGID_Y_EN: 0
; COMPUTE_PGM_RSRC2:TGID_Z_EN: 0
; COMPUTE_PGM_RSRC2:TIDIG_COMP_CNT: 0
	.section	.text._ZN7rocprim17ROCPRIM_400000_NS6detail17trampoline_kernelINS0_14default_configENS1_25partition_config_selectorILNS1_17partition_subalgoE6EiNS0_10empty_typeEbEEZZNS1_14partition_implILS5_6ELb0ES3_mN6thrust23THRUST_200600_302600_NS6detail15normal_iteratorINSA_10device_ptrIiEEEEPS6_SG_NS0_5tupleIJSF_S6_EEENSH_IJSG_SG_EEES6_PlJNSB_9not_fun_tINSB_10functional5actorINSM_9compositeIJNSM_27transparent_binary_operatorINSA_8equal_toIvEEEENSN_INSM_8argumentILj0EEEEENSM_5valueIiEEEEEEEEEEEE10hipError_tPvRmT3_T4_T5_T6_T7_T9_mT8_P12ihipStream_tbDpT10_ENKUlT_T0_E_clISt17integral_constantIbLb1EES1K_EEDaS1F_S1G_EUlS1F_E_NS1_11comp_targetILNS1_3genE4ELNS1_11target_archE910ELNS1_3gpuE8ELNS1_3repE0EEENS1_30default_config_static_selectorELNS0_4arch9wavefront6targetE0EEEvT1_,"axG",@progbits,_ZN7rocprim17ROCPRIM_400000_NS6detail17trampoline_kernelINS0_14default_configENS1_25partition_config_selectorILNS1_17partition_subalgoE6EiNS0_10empty_typeEbEEZZNS1_14partition_implILS5_6ELb0ES3_mN6thrust23THRUST_200600_302600_NS6detail15normal_iteratorINSA_10device_ptrIiEEEEPS6_SG_NS0_5tupleIJSF_S6_EEENSH_IJSG_SG_EEES6_PlJNSB_9not_fun_tINSB_10functional5actorINSM_9compositeIJNSM_27transparent_binary_operatorINSA_8equal_toIvEEEENSN_INSM_8argumentILj0EEEEENSM_5valueIiEEEEEEEEEEEE10hipError_tPvRmT3_T4_T5_T6_T7_T9_mT8_P12ihipStream_tbDpT10_ENKUlT_T0_E_clISt17integral_constantIbLb1EES1K_EEDaS1F_S1G_EUlS1F_E_NS1_11comp_targetILNS1_3genE4ELNS1_11target_archE910ELNS1_3gpuE8ELNS1_3repE0EEENS1_30default_config_static_selectorELNS0_4arch9wavefront6targetE0EEEvT1_,comdat
	.protected	_ZN7rocprim17ROCPRIM_400000_NS6detail17trampoline_kernelINS0_14default_configENS1_25partition_config_selectorILNS1_17partition_subalgoE6EiNS0_10empty_typeEbEEZZNS1_14partition_implILS5_6ELb0ES3_mN6thrust23THRUST_200600_302600_NS6detail15normal_iteratorINSA_10device_ptrIiEEEEPS6_SG_NS0_5tupleIJSF_S6_EEENSH_IJSG_SG_EEES6_PlJNSB_9not_fun_tINSB_10functional5actorINSM_9compositeIJNSM_27transparent_binary_operatorINSA_8equal_toIvEEEENSN_INSM_8argumentILj0EEEEENSM_5valueIiEEEEEEEEEEEE10hipError_tPvRmT3_T4_T5_T6_T7_T9_mT8_P12ihipStream_tbDpT10_ENKUlT_T0_E_clISt17integral_constantIbLb1EES1K_EEDaS1F_S1G_EUlS1F_E_NS1_11comp_targetILNS1_3genE4ELNS1_11target_archE910ELNS1_3gpuE8ELNS1_3repE0EEENS1_30default_config_static_selectorELNS0_4arch9wavefront6targetE0EEEvT1_ ; -- Begin function _ZN7rocprim17ROCPRIM_400000_NS6detail17trampoline_kernelINS0_14default_configENS1_25partition_config_selectorILNS1_17partition_subalgoE6EiNS0_10empty_typeEbEEZZNS1_14partition_implILS5_6ELb0ES3_mN6thrust23THRUST_200600_302600_NS6detail15normal_iteratorINSA_10device_ptrIiEEEEPS6_SG_NS0_5tupleIJSF_S6_EEENSH_IJSG_SG_EEES6_PlJNSB_9not_fun_tINSB_10functional5actorINSM_9compositeIJNSM_27transparent_binary_operatorINSA_8equal_toIvEEEENSN_INSM_8argumentILj0EEEEENSM_5valueIiEEEEEEEEEEEE10hipError_tPvRmT3_T4_T5_T6_T7_T9_mT8_P12ihipStream_tbDpT10_ENKUlT_T0_E_clISt17integral_constantIbLb1EES1K_EEDaS1F_S1G_EUlS1F_E_NS1_11comp_targetILNS1_3genE4ELNS1_11target_archE910ELNS1_3gpuE8ELNS1_3repE0EEENS1_30default_config_static_selectorELNS0_4arch9wavefront6targetE0EEEvT1_
	.globl	_ZN7rocprim17ROCPRIM_400000_NS6detail17trampoline_kernelINS0_14default_configENS1_25partition_config_selectorILNS1_17partition_subalgoE6EiNS0_10empty_typeEbEEZZNS1_14partition_implILS5_6ELb0ES3_mN6thrust23THRUST_200600_302600_NS6detail15normal_iteratorINSA_10device_ptrIiEEEEPS6_SG_NS0_5tupleIJSF_S6_EEENSH_IJSG_SG_EEES6_PlJNSB_9not_fun_tINSB_10functional5actorINSM_9compositeIJNSM_27transparent_binary_operatorINSA_8equal_toIvEEEENSN_INSM_8argumentILj0EEEEENSM_5valueIiEEEEEEEEEEEE10hipError_tPvRmT3_T4_T5_T6_T7_T9_mT8_P12ihipStream_tbDpT10_ENKUlT_T0_E_clISt17integral_constantIbLb1EES1K_EEDaS1F_S1G_EUlS1F_E_NS1_11comp_targetILNS1_3genE4ELNS1_11target_archE910ELNS1_3gpuE8ELNS1_3repE0EEENS1_30default_config_static_selectorELNS0_4arch9wavefront6targetE0EEEvT1_
	.p2align	8
	.type	_ZN7rocprim17ROCPRIM_400000_NS6detail17trampoline_kernelINS0_14default_configENS1_25partition_config_selectorILNS1_17partition_subalgoE6EiNS0_10empty_typeEbEEZZNS1_14partition_implILS5_6ELb0ES3_mN6thrust23THRUST_200600_302600_NS6detail15normal_iteratorINSA_10device_ptrIiEEEEPS6_SG_NS0_5tupleIJSF_S6_EEENSH_IJSG_SG_EEES6_PlJNSB_9not_fun_tINSB_10functional5actorINSM_9compositeIJNSM_27transparent_binary_operatorINSA_8equal_toIvEEEENSN_INSM_8argumentILj0EEEEENSM_5valueIiEEEEEEEEEEEE10hipError_tPvRmT3_T4_T5_T6_T7_T9_mT8_P12ihipStream_tbDpT10_ENKUlT_T0_E_clISt17integral_constantIbLb1EES1K_EEDaS1F_S1G_EUlS1F_E_NS1_11comp_targetILNS1_3genE4ELNS1_11target_archE910ELNS1_3gpuE8ELNS1_3repE0EEENS1_30default_config_static_selectorELNS0_4arch9wavefront6targetE0EEEvT1_,@function
_ZN7rocprim17ROCPRIM_400000_NS6detail17trampoline_kernelINS0_14default_configENS1_25partition_config_selectorILNS1_17partition_subalgoE6EiNS0_10empty_typeEbEEZZNS1_14partition_implILS5_6ELb0ES3_mN6thrust23THRUST_200600_302600_NS6detail15normal_iteratorINSA_10device_ptrIiEEEEPS6_SG_NS0_5tupleIJSF_S6_EEENSH_IJSG_SG_EEES6_PlJNSB_9not_fun_tINSB_10functional5actorINSM_9compositeIJNSM_27transparent_binary_operatorINSA_8equal_toIvEEEENSN_INSM_8argumentILj0EEEEENSM_5valueIiEEEEEEEEEEEE10hipError_tPvRmT3_T4_T5_T6_T7_T9_mT8_P12ihipStream_tbDpT10_ENKUlT_T0_E_clISt17integral_constantIbLb1EES1K_EEDaS1F_S1G_EUlS1F_E_NS1_11comp_targetILNS1_3genE4ELNS1_11target_archE910ELNS1_3gpuE8ELNS1_3repE0EEENS1_30default_config_static_selectorELNS0_4arch9wavefront6targetE0EEEvT1_: ; @_ZN7rocprim17ROCPRIM_400000_NS6detail17trampoline_kernelINS0_14default_configENS1_25partition_config_selectorILNS1_17partition_subalgoE6EiNS0_10empty_typeEbEEZZNS1_14partition_implILS5_6ELb0ES3_mN6thrust23THRUST_200600_302600_NS6detail15normal_iteratorINSA_10device_ptrIiEEEEPS6_SG_NS0_5tupleIJSF_S6_EEENSH_IJSG_SG_EEES6_PlJNSB_9not_fun_tINSB_10functional5actorINSM_9compositeIJNSM_27transparent_binary_operatorINSA_8equal_toIvEEEENSN_INSM_8argumentILj0EEEEENSM_5valueIiEEEEEEEEEEEE10hipError_tPvRmT3_T4_T5_T6_T7_T9_mT8_P12ihipStream_tbDpT10_ENKUlT_T0_E_clISt17integral_constantIbLb1EES1K_EEDaS1F_S1G_EUlS1F_E_NS1_11comp_targetILNS1_3genE4ELNS1_11target_archE910ELNS1_3gpuE8ELNS1_3repE0EEENS1_30default_config_static_selectorELNS0_4arch9wavefront6targetE0EEEvT1_
; %bb.0:
	.section	.rodata,"a",@progbits
	.p2align	6, 0x0
	.amdhsa_kernel _ZN7rocprim17ROCPRIM_400000_NS6detail17trampoline_kernelINS0_14default_configENS1_25partition_config_selectorILNS1_17partition_subalgoE6EiNS0_10empty_typeEbEEZZNS1_14partition_implILS5_6ELb0ES3_mN6thrust23THRUST_200600_302600_NS6detail15normal_iteratorINSA_10device_ptrIiEEEEPS6_SG_NS0_5tupleIJSF_S6_EEENSH_IJSG_SG_EEES6_PlJNSB_9not_fun_tINSB_10functional5actorINSM_9compositeIJNSM_27transparent_binary_operatorINSA_8equal_toIvEEEENSN_INSM_8argumentILj0EEEEENSM_5valueIiEEEEEEEEEEEE10hipError_tPvRmT3_T4_T5_T6_T7_T9_mT8_P12ihipStream_tbDpT10_ENKUlT_T0_E_clISt17integral_constantIbLb1EES1K_EEDaS1F_S1G_EUlS1F_E_NS1_11comp_targetILNS1_3genE4ELNS1_11target_archE910ELNS1_3gpuE8ELNS1_3repE0EEENS1_30default_config_static_selectorELNS0_4arch9wavefront6targetE0EEEvT1_
		.amdhsa_group_segment_fixed_size 0
		.amdhsa_private_segment_fixed_size 0
		.amdhsa_kernarg_size 128
		.amdhsa_user_sgpr_count 2
		.amdhsa_user_sgpr_dispatch_ptr 0
		.amdhsa_user_sgpr_queue_ptr 0
		.amdhsa_user_sgpr_kernarg_segment_ptr 1
		.amdhsa_user_sgpr_dispatch_id 0
		.amdhsa_user_sgpr_private_segment_size 0
		.amdhsa_wavefront_size32 1
		.amdhsa_uses_dynamic_stack 0
		.amdhsa_enable_private_segment 0
		.amdhsa_system_sgpr_workgroup_id_x 1
		.amdhsa_system_sgpr_workgroup_id_y 0
		.amdhsa_system_sgpr_workgroup_id_z 0
		.amdhsa_system_sgpr_workgroup_info 0
		.amdhsa_system_vgpr_workitem_id 0
		.amdhsa_next_free_vgpr 1
		.amdhsa_next_free_sgpr 1
		.amdhsa_reserve_vcc 0
		.amdhsa_float_round_mode_32 0
		.amdhsa_float_round_mode_16_64 0
		.amdhsa_float_denorm_mode_32 3
		.amdhsa_float_denorm_mode_16_64 3
		.amdhsa_fp16_overflow 0
		.amdhsa_workgroup_processor_mode 1
		.amdhsa_memory_ordered 1
		.amdhsa_forward_progress 1
		.amdhsa_inst_pref_size 0
		.amdhsa_round_robin_scheduling 0
		.amdhsa_exception_fp_ieee_invalid_op 0
		.amdhsa_exception_fp_denorm_src 0
		.amdhsa_exception_fp_ieee_div_zero 0
		.amdhsa_exception_fp_ieee_overflow 0
		.amdhsa_exception_fp_ieee_underflow 0
		.amdhsa_exception_fp_ieee_inexact 0
		.amdhsa_exception_int_div_zero 0
	.end_amdhsa_kernel
	.section	.text._ZN7rocprim17ROCPRIM_400000_NS6detail17trampoline_kernelINS0_14default_configENS1_25partition_config_selectorILNS1_17partition_subalgoE6EiNS0_10empty_typeEbEEZZNS1_14partition_implILS5_6ELb0ES3_mN6thrust23THRUST_200600_302600_NS6detail15normal_iteratorINSA_10device_ptrIiEEEEPS6_SG_NS0_5tupleIJSF_S6_EEENSH_IJSG_SG_EEES6_PlJNSB_9not_fun_tINSB_10functional5actorINSM_9compositeIJNSM_27transparent_binary_operatorINSA_8equal_toIvEEEENSN_INSM_8argumentILj0EEEEENSM_5valueIiEEEEEEEEEEEE10hipError_tPvRmT3_T4_T5_T6_T7_T9_mT8_P12ihipStream_tbDpT10_ENKUlT_T0_E_clISt17integral_constantIbLb1EES1K_EEDaS1F_S1G_EUlS1F_E_NS1_11comp_targetILNS1_3genE4ELNS1_11target_archE910ELNS1_3gpuE8ELNS1_3repE0EEENS1_30default_config_static_selectorELNS0_4arch9wavefront6targetE0EEEvT1_,"axG",@progbits,_ZN7rocprim17ROCPRIM_400000_NS6detail17trampoline_kernelINS0_14default_configENS1_25partition_config_selectorILNS1_17partition_subalgoE6EiNS0_10empty_typeEbEEZZNS1_14partition_implILS5_6ELb0ES3_mN6thrust23THRUST_200600_302600_NS6detail15normal_iteratorINSA_10device_ptrIiEEEEPS6_SG_NS0_5tupleIJSF_S6_EEENSH_IJSG_SG_EEES6_PlJNSB_9not_fun_tINSB_10functional5actorINSM_9compositeIJNSM_27transparent_binary_operatorINSA_8equal_toIvEEEENSN_INSM_8argumentILj0EEEEENSM_5valueIiEEEEEEEEEEEE10hipError_tPvRmT3_T4_T5_T6_T7_T9_mT8_P12ihipStream_tbDpT10_ENKUlT_T0_E_clISt17integral_constantIbLb1EES1K_EEDaS1F_S1G_EUlS1F_E_NS1_11comp_targetILNS1_3genE4ELNS1_11target_archE910ELNS1_3gpuE8ELNS1_3repE0EEENS1_30default_config_static_selectorELNS0_4arch9wavefront6targetE0EEEvT1_,comdat
.Lfunc_end221:
	.size	_ZN7rocprim17ROCPRIM_400000_NS6detail17trampoline_kernelINS0_14default_configENS1_25partition_config_selectorILNS1_17partition_subalgoE6EiNS0_10empty_typeEbEEZZNS1_14partition_implILS5_6ELb0ES3_mN6thrust23THRUST_200600_302600_NS6detail15normal_iteratorINSA_10device_ptrIiEEEEPS6_SG_NS0_5tupleIJSF_S6_EEENSH_IJSG_SG_EEES6_PlJNSB_9not_fun_tINSB_10functional5actorINSM_9compositeIJNSM_27transparent_binary_operatorINSA_8equal_toIvEEEENSN_INSM_8argumentILj0EEEEENSM_5valueIiEEEEEEEEEEEE10hipError_tPvRmT3_T4_T5_T6_T7_T9_mT8_P12ihipStream_tbDpT10_ENKUlT_T0_E_clISt17integral_constantIbLb1EES1K_EEDaS1F_S1G_EUlS1F_E_NS1_11comp_targetILNS1_3genE4ELNS1_11target_archE910ELNS1_3gpuE8ELNS1_3repE0EEENS1_30default_config_static_selectorELNS0_4arch9wavefront6targetE0EEEvT1_, .Lfunc_end221-_ZN7rocprim17ROCPRIM_400000_NS6detail17trampoline_kernelINS0_14default_configENS1_25partition_config_selectorILNS1_17partition_subalgoE6EiNS0_10empty_typeEbEEZZNS1_14partition_implILS5_6ELb0ES3_mN6thrust23THRUST_200600_302600_NS6detail15normal_iteratorINSA_10device_ptrIiEEEEPS6_SG_NS0_5tupleIJSF_S6_EEENSH_IJSG_SG_EEES6_PlJNSB_9not_fun_tINSB_10functional5actorINSM_9compositeIJNSM_27transparent_binary_operatorINSA_8equal_toIvEEEENSN_INSM_8argumentILj0EEEEENSM_5valueIiEEEEEEEEEEEE10hipError_tPvRmT3_T4_T5_T6_T7_T9_mT8_P12ihipStream_tbDpT10_ENKUlT_T0_E_clISt17integral_constantIbLb1EES1K_EEDaS1F_S1G_EUlS1F_E_NS1_11comp_targetILNS1_3genE4ELNS1_11target_archE910ELNS1_3gpuE8ELNS1_3repE0EEENS1_30default_config_static_selectorELNS0_4arch9wavefront6targetE0EEEvT1_
                                        ; -- End function
	.set _ZN7rocprim17ROCPRIM_400000_NS6detail17trampoline_kernelINS0_14default_configENS1_25partition_config_selectorILNS1_17partition_subalgoE6EiNS0_10empty_typeEbEEZZNS1_14partition_implILS5_6ELb0ES3_mN6thrust23THRUST_200600_302600_NS6detail15normal_iteratorINSA_10device_ptrIiEEEEPS6_SG_NS0_5tupleIJSF_S6_EEENSH_IJSG_SG_EEES6_PlJNSB_9not_fun_tINSB_10functional5actorINSM_9compositeIJNSM_27transparent_binary_operatorINSA_8equal_toIvEEEENSN_INSM_8argumentILj0EEEEENSM_5valueIiEEEEEEEEEEEE10hipError_tPvRmT3_T4_T5_T6_T7_T9_mT8_P12ihipStream_tbDpT10_ENKUlT_T0_E_clISt17integral_constantIbLb1EES1K_EEDaS1F_S1G_EUlS1F_E_NS1_11comp_targetILNS1_3genE4ELNS1_11target_archE910ELNS1_3gpuE8ELNS1_3repE0EEENS1_30default_config_static_selectorELNS0_4arch9wavefront6targetE0EEEvT1_.num_vgpr, 0
	.set _ZN7rocprim17ROCPRIM_400000_NS6detail17trampoline_kernelINS0_14default_configENS1_25partition_config_selectorILNS1_17partition_subalgoE6EiNS0_10empty_typeEbEEZZNS1_14partition_implILS5_6ELb0ES3_mN6thrust23THRUST_200600_302600_NS6detail15normal_iteratorINSA_10device_ptrIiEEEEPS6_SG_NS0_5tupleIJSF_S6_EEENSH_IJSG_SG_EEES6_PlJNSB_9not_fun_tINSB_10functional5actorINSM_9compositeIJNSM_27transparent_binary_operatorINSA_8equal_toIvEEEENSN_INSM_8argumentILj0EEEEENSM_5valueIiEEEEEEEEEEEE10hipError_tPvRmT3_T4_T5_T6_T7_T9_mT8_P12ihipStream_tbDpT10_ENKUlT_T0_E_clISt17integral_constantIbLb1EES1K_EEDaS1F_S1G_EUlS1F_E_NS1_11comp_targetILNS1_3genE4ELNS1_11target_archE910ELNS1_3gpuE8ELNS1_3repE0EEENS1_30default_config_static_selectorELNS0_4arch9wavefront6targetE0EEEvT1_.num_agpr, 0
	.set _ZN7rocprim17ROCPRIM_400000_NS6detail17trampoline_kernelINS0_14default_configENS1_25partition_config_selectorILNS1_17partition_subalgoE6EiNS0_10empty_typeEbEEZZNS1_14partition_implILS5_6ELb0ES3_mN6thrust23THRUST_200600_302600_NS6detail15normal_iteratorINSA_10device_ptrIiEEEEPS6_SG_NS0_5tupleIJSF_S6_EEENSH_IJSG_SG_EEES6_PlJNSB_9not_fun_tINSB_10functional5actorINSM_9compositeIJNSM_27transparent_binary_operatorINSA_8equal_toIvEEEENSN_INSM_8argumentILj0EEEEENSM_5valueIiEEEEEEEEEEEE10hipError_tPvRmT3_T4_T5_T6_T7_T9_mT8_P12ihipStream_tbDpT10_ENKUlT_T0_E_clISt17integral_constantIbLb1EES1K_EEDaS1F_S1G_EUlS1F_E_NS1_11comp_targetILNS1_3genE4ELNS1_11target_archE910ELNS1_3gpuE8ELNS1_3repE0EEENS1_30default_config_static_selectorELNS0_4arch9wavefront6targetE0EEEvT1_.numbered_sgpr, 0
	.set _ZN7rocprim17ROCPRIM_400000_NS6detail17trampoline_kernelINS0_14default_configENS1_25partition_config_selectorILNS1_17partition_subalgoE6EiNS0_10empty_typeEbEEZZNS1_14partition_implILS5_6ELb0ES3_mN6thrust23THRUST_200600_302600_NS6detail15normal_iteratorINSA_10device_ptrIiEEEEPS6_SG_NS0_5tupleIJSF_S6_EEENSH_IJSG_SG_EEES6_PlJNSB_9not_fun_tINSB_10functional5actorINSM_9compositeIJNSM_27transparent_binary_operatorINSA_8equal_toIvEEEENSN_INSM_8argumentILj0EEEEENSM_5valueIiEEEEEEEEEEEE10hipError_tPvRmT3_T4_T5_T6_T7_T9_mT8_P12ihipStream_tbDpT10_ENKUlT_T0_E_clISt17integral_constantIbLb1EES1K_EEDaS1F_S1G_EUlS1F_E_NS1_11comp_targetILNS1_3genE4ELNS1_11target_archE910ELNS1_3gpuE8ELNS1_3repE0EEENS1_30default_config_static_selectorELNS0_4arch9wavefront6targetE0EEEvT1_.num_named_barrier, 0
	.set _ZN7rocprim17ROCPRIM_400000_NS6detail17trampoline_kernelINS0_14default_configENS1_25partition_config_selectorILNS1_17partition_subalgoE6EiNS0_10empty_typeEbEEZZNS1_14partition_implILS5_6ELb0ES3_mN6thrust23THRUST_200600_302600_NS6detail15normal_iteratorINSA_10device_ptrIiEEEEPS6_SG_NS0_5tupleIJSF_S6_EEENSH_IJSG_SG_EEES6_PlJNSB_9not_fun_tINSB_10functional5actorINSM_9compositeIJNSM_27transparent_binary_operatorINSA_8equal_toIvEEEENSN_INSM_8argumentILj0EEEEENSM_5valueIiEEEEEEEEEEEE10hipError_tPvRmT3_T4_T5_T6_T7_T9_mT8_P12ihipStream_tbDpT10_ENKUlT_T0_E_clISt17integral_constantIbLb1EES1K_EEDaS1F_S1G_EUlS1F_E_NS1_11comp_targetILNS1_3genE4ELNS1_11target_archE910ELNS1_3gpuE8ELNS1_3repE0EEENS1_30default_config_static_selectorELNS0_4arch9wavefront6targetE0EEEvT1_.private_seg_size, 0
	.set _ZN7rocprim17ROCPRIM_400000_NS6detail17trampoline_kernelINS0_14default_configENS1_25partition_config_selectorILNS1_17partition_subalgoE6EiNS0_10empty_typeEbEEZZNS1_14partition_implILS5_6ELb0ES3_mN6thrust23THRUST_200600_302600_NS6detail15normal_iteratorINSA_10device_ptrIiEEEEPS6_SG_NS0_5tupleIJSF_S6_EEENSH_IJSG_SG_EEES6_PlJNSB_9not_fun_tINSB_10functional5actorINSM_9compositeIJNSM_27transparent_binary_operatorINSA_8equal_toIvEEEENSN_INSM_8argumentILj0EEEEENSM_5valueIiEEEEEEEEEEEE10hipError_tPvRmT3_T4_T5_T6_T7_T9_mT8_P12ihipStream_tbDpT10_ENKUlT_T0_E_clISt17integral_constantIbLb1EES1K_EEDaS1F_S1G_EUlS1F_E_NS1_11comp_targetILNS1_3genE4ELNS1_11target_archE910ELNS1_3gpuE8ELNS1_3repE0EEENS1_30default_config_static_selectorELNS0_4arch9wavefront6targetE0EEEvT1_.uses_vcc, 0
	.set _ZN7rocprim17ROCPRIM_400000_NS6detail17trampoline_kernelINS0_14default_configENS1_25partition_config_selectorILNS1_17partition_subalgoE6EiNS0_10empty_typeEbEEZZNS1_14partition_implILS5_6ELb0ES3_mN6thrust23THRUST_200600_302600_NS6detail15normal_iteratorINSA_10device_ptrIiEEEEPS6_SG_NS0_5tupleIJSF_S6_EEENSH_IJSG_SG_EEES6_PlJNSB_9not_fun_tINSB_10functional5actorINSM_9compositeIJNSM_27transparent_binary_operatorINSA_8equal_toIvEEEENSN_INSM_8argumentILj0EEEEENSM_5valueIiEEEEEEEEEEEE10hipError_tPvRmT3_T4_T5_T6_T7_T9_mT8_P12ihipStream_tbDpT10_ENKUlT_T0_E_clISt17integral_constantIbLb1EES1K_EEDaS1F_S1G_EUlS1F_E_NS1_11comp_targetILNS1_3genE4ELNS1_11target_archE910ELNS1_3gpuE8ELNS1_3repE0EEENS1_30default_config_static_selectorELNS0_4arch9wavefront6targetE0EEEvT1_.uses_flat_scratch, 0
	.set _ZN7rocprim17ROCPRIM_400000_NS6detail17trampoline_kernelINS0_14default_configENS1_25partition_config_selectorILNS1_17partition_subalgoE6EiNS0_10empty_typeEbEEZZNS1_14partition_implILS5_6ELb0ES3_mN6thrust23THRUST_200600_302600_NS6detail15normal_iteratorINSA_10device_ptrIiEEEEPS6_SG_NS0_5tupleIJSF_S6_EEENSH_IJSG_SG_EEES6_PlJNSB_9not_fun_tINSB_10functional5actorINSM_9compositeIJNSM_27transparent_binary_operatorINSA_8equal_toIvEEEENSN_INSM_8argumentILj0EEEEENSM_5valueIiEEEEEEEEEEEE10hipError_tPvRmT3_T4_T5_T6_T7_T9_mT8_P12ihipStream_tbDpT10_ENKUlT_T0_E_clISt17integral_constantIbLb1EES1K_EEDaS1F_S1G_EUlS1F_E_NS1_11comp_targetILNS1_3genE4ELNS1_11target_archE910ELNS1_3gpuE8ELNS1_3repE0EEENS1_30default_config_static_selectorELNS0_4arch9wavefront6targetE0EEEvT1_.has_dyn_sized_stack, 0
	.set _ZN7rocprim17ROCPRIM_400000_NS6detail17trampoline_kernelINS0_14default_configENS1_25partition_config_selectorILNS1_17partition_subalgoE6EiNS0_10empty_typeEbEEZZNS1_14partition_implILS5_6ELb0ES3_mN6thrust23THRUST_200600_302600_NS6detail15normal_iteratorINSA_10device_ptrIiEEEEPS6_SG_NS0_5tupleIJSF_S6_EEENSH_IJSG_SG_EEES6_PlJNSB_9not_fun_tINSB_10functional5actorINSM_9compositeIJNSM_27transparent_binary_operatorINSA_8equal_toIvEEEENSN_INSM_8argumentILj0EEEEENSM_5valueIiEEEEEEEEEEEE10hipError_tPvRmT3_T4_T5_T6_T7_T9_mT8_P12ihipStream_tbDpT10_ENKUlT_T0_E_clISt17integral_constantIbLb1EES1K_EEDaS1F_S1G_EUlS1F_E_NS1_11comp_targetILNS1_3genE4ELNS1_11target_archE910ELNS1_3gpuE8ELNS1_3repE0EEENS1_30default_config_static_selectorELNS0_4arch9wavefront6targetE0EEEvT1_.has_recursion, 0
	.set _ZN7rocprim17ROCPRIM_400000_NS6detail17trampoline_kernelINS0_14default_configENS1_25partition_config_selectorILNS1_17partition_subalgoE6EiNS0_10empty_typeEbEEZZNS1_14partition_implILS5_6ELb0ES3_mN6thrust23THRUST_200600_302600_NS6detail15normal_iteratorINSA_10device_ptrIiEEEEPS6_SG_NS0_5tupleIJSF_S6_EEENSH_IJSG_SG_EEES6_PlJNSB_9not_fun_tINSB_10functional5actorINSM_9compositeIJNSM_27transparent_binary_operatorINSA_8equal_toIvEEEENSN_INSM_8argumentILj0EEEEENSM_5valueIiEEEEEEEEEEEE10hipError_tPvRmT3_T4_T5_T6_T7_T9_mT8_P12ihipStream_tbDpT10_ENKUlT_T0_E_clISt17integral_constantIbLb1EES1K_EEDaS1F_S1G_EUlS1F_E_NS1_11comp_targetILNS1_3genE4ELNS1_11target_archE910ELNS1_3gpuE8ELNS1_3repE0EEENS1_30default_config_static_selectorELNS0_4arch9wavefront6targetE0EEEvT1_.has_indirect_call, 0
	.section	.AMDGPU.csdata,"",@progbits
; Kernel info:
; codeLenInByte = 0
; TotalNumSgprs: 0
; NumVgprs: 0
; ScratchSize: 0
; MemoryBound: 0
; FloatMode: 240
; IeeeMode: 1
; LDSByteSize: 0 bytes/workgroup (compile time only)
; SGPRBlocks: 0
; VGPRBlocks: 0
; NumSGPRsForWavesPerEU: 1
; NumVGPRsForWavesPerEU: 1
; Occupancy: 16
; WaveLimiterHint : 0
; COMPUTE_PGM_RSRC2:SCRATCH_EN: 0
; COMPUTE_PGM_RSRC2:USER_SGPR: 2
; COMPUTE_PGM_RSRC2:TRAP_HANDLER: 0
; COMPUTE_PGM_RSRC2:TGID_X_EN: 1
; COMPUTE_PGM_RSRC2:TGID_Y_EN: 0
; COMPUTE_PGM_RSRC2:TGID_Z_EN: 0
; COMPUTE_PGM_RSRC2:TIDIG_COMP_CNT: 0
	.section	.text._ZN7rocprim17ROCPRIM_400000_NS6detail17trampoline_kernelINS0_14default_configENS1_25partition_config_selectorILNS1_17partition_subalgoE6EiNS0_10empty_typeEbEEZZNS1_14partition_implILS5_6ELb0ES3_mN6thrust23THRUST_200600_302600_NS6detail15normal_iteratorINSA_10device_ptrIiEEEEPS6_SG_NS0_5tupleIJSF_S6_EEENSH_IJSG_SG_EEES6_PlJNSB_9not_fun_tINSB_10functional5actorINSM_9compositeIJNSM_27transparent_binary_operatorINSA_8equal_toIvEEEENSN_INSM_8argumentILj0EEEEENSM_5valueIiEEEEEEEEEEEE10hipError_tPvRmT3_T4_T5_T6_T7_T9_mT8_P12ihipStream_tbDpT10_ENKUlT_T0_E_clISt17integral_constantIbLb1EES1K_EEDaS1F_S1G_EUlS1F_E_NS1_11comp_targetILNS1_3genE3ELNS1_11target_archE908ELNS1_3gpuE7ELNS1_3repE0EEENS1_30default_config_static_selectorELNS0_4arch9wavefront6targetE0EEEvT1_,"axG",@progbits,_ZN7rocprim17ROCPRIM_400000_NS6detail17trampoline_kernelINS0_14default_configENS1_25partition_config_selectorILNS1_17partition_subalgoE6EiNS0_10empty_typeEbEEZZNS1_14partition_implILS5_6ELb0ES3_mN6thrust23THRUST_200600_302600_NS6detail15normal_iteratorINSA_10device_ptrIiEEEEPS6_SG_NS0_5tupleIJSF_S6_EEENSH_IJSG_SG_EEES6_PlJNSB_9not_fun_tINSB_10functional5actorINSM_9compositeIJNSM_27transparent_binary_operatorINSA_8equal_toIvEEEENSN_INSM_8argumentILj0EEEEENSM_5valueIiEEEEEEEEEEEE10hipError_tPvRmT3_T4_T5_T6_T7_T9_mT8_P12ihipStream_tbDpT10_ENKUlT_T0_E_clISt17integral_constantIbLb1EES1K_EEDaS1F_S1G_EUlS1F_E_NS1_11comp_targetILNS1_3genE3ELNS1_11target_archE908ELNS1_3gpuE7ELNS1_3repE0EEENS1_30default_config_static_selectorELNS0_4arch9wavefront6targetE0EEEvT1_,comdat
	.protected	_ZN7rocprim17ROCPRIM_400000_NS6detail17trampoline_kernelINS0_14default_configENS1_25partition_config_selectorILNS1_17partition_subalgoE6EiNS0_10empty_typeEbEEZZNS1_14partition_implILS5_6ELb0ES3_mN6thrust23THRUST_200600_302600_NS6detail15normal_iteratorINSA_10device_ptrIiEEEEPS6_SG_NS0_5tupleIJSF_S6_EEENSH_IJSG_SG_EEES6_PlJNSB_9not_fun_tINSB_10functional5actorINSM_9compositeIJNSM_27transparent_binary_operatorINSA_8equal_toIvEEEENSN_INSM_8argumentILj0EEEEENSM_5valueIiEEEEEEEEEEEE10hipError_tPvRmT3_T4_T5_T6_T7_T9_mT8_P12ihipStream_tbDpT10_ENKUlT_T0_E_clISt17integral_constantIbLb1EES1K_EEDaS1F_S1G_EUlS1F_E_NS1_11comp_targetILNS1_3genE3ELNS1_11target_archE908ELNS1_3gpuE7ELNS1_3repE0EEENS1_30default_config_static_selectorELNS0_4arch9wavefront6targetE0EEEvT1_ ; -- Begin function _ZN7rocprim17ROCPRIM_400000_NS6detail17trampoline_kernelINS0_14default_configENS1_25partition_config_selectorILNS1_17partition_subalgoE6EiNS0_10empty_typeEbEEZZNS1_14partition_implILS5_6ELb0ES3_mN6thrust23THRUST_200600_302600_NS6detail15normal_iteratorINSA_10device_ptrIiEEEEPS6_SG_NS0_5tupleIJSF_S6_EEENSH_IJSG_SG_EEES6_PlJNSB_9not_fun_tINSB_10functional5actorINSM_9compositeIJNSM_27transparent_binary_operatorINSA_8equal_toIvEEEENSN_INSM_8argumentILj0EEEEENSM_5valueIiEEEEEEEEEEEE10hipError_tPvRmT3_T4_T5_T6_T7_T9_mT8_P12ihipStream_tbDpT10_ENKUlT_T0_E_clISt17integral_constantIbLb1EES1K_EEDaS1F_S1G_EUlS1F_E_NS1_11comp_targetILNS1_3genE3ELNS1_11target_archE908ELNS1_3gpuE7ELNS1_3repE0EEENS1_30default_config_static_selectorELNS0_4arch9wavefront6targetE0EEEvT1_
	.globl	_ZN7rocprim17ROCPRIM_400000_NS6detail17trampoline_kernelINS0_14default_configENS1_25partition_config_selectorILNS1_17partition_subalgoE6EiNS0_10empty_typeEbEEZZNS1_14partition_implILS5_6ELb0ES3_mN6thrust23THRUST_200600_302600_NS6detail15normal_iteratorINSA_10device_ptrIiEEEEPS6_SG_NS0_5tupleIJSF_S6_EEENSH_IJSG_SG_EEES6_PlJNSB_9not_fun_tINSB_10functional5actorINSM_9compositeIJNSM_27transparent_binary_operatorINSA_8equal_toIvEEEENSN_INSM_8argumentILj0EEEEENSM_5valueIiEEEEEEEEEEEE10hipError_tPvRmT3_T4_T5_T6_T7_T9_mT8_P12ihipStream_tbDpT10_ENKUlT_T0_E_clISt17integral_constantIbLb1EES1K_EEDaS1F_S1G_EUlS1F_E_NS1_11comp_targetILNS1_3genE3ELNS1_11target_archE908ELNS1_3gpuE7ELNS1_3repE0EEENS1_30default_config_static_selectorELNS0_4arch9wavefront6targetE0EEEvT1_
	.p2align	8
	.type	_ZN7rocprim17ROCPRIM_400000_NS6detail17trampoline_kernelINS0_14default_configENS1_25partition_config_selectorILNS1_17partition_subalgoE6EiNS0_10empty_typeEbEEZZNS1_14partition_implILS5_6ELb0ES3_mN6thrust23THRUST_200600_302600_NS6detail15normal_iteratorINSA_10device_ptrIiEEEEPS6_SG_NS0_5tupleIJSF_S6_EEENSH_IJSG_SG_EEES6_PlJNSB_9not_fun_tINSB_10functional5actorINSM_9compositeIJNSM_27transparent_binary_operatorINSA_8equal_toIvEEEENSN_INSM_8argumentILj0EEEEENSM_5valueIiEEEEEEEEEEEE10hipError_tPvRmT3_T4_T5_T6_T7_T9_mT8_P12ihipStream_tbDpT10_ENKUlT_T0_E_clISt17integral_constantIbLb1EES1K_EEDaS1F_S1G_EUlS1F_E_NS1_11comp_targetILNS1_3genE3ELNS1_11target_archE908ELNS1_3gpuE7ELNS1_3repE0EEENS1_30default_config_static_selectorELNS0_4arch9wavefront6targetE0EEEvT1_,@function
_ZN7rocprim17ROCPRIM_400000_NS6detail17trampoline_kernelINS0_14default_configENS1_25partition_config_selectorILNS1_17partition_subalgoE6EiNS0_10empty_typeEbEEZZNS1_14partition_implILS5_6ELb0ES3_mN6thrust23THRUST_200600_302600_NS6detail15normal_iteratorINSA_10device_ptrIiEEEEPS6_SG_NS0_5tupleIJSF_S6_EEENSH_IJSG_SG_EEES6_PlJNSB_9not_fun_tINSB_10functional5actorINSM_9compositeIJNSM_27transparent_binary_operatorINSA_8equal_toIvEEEENSN_INSM_8argumentILj0EEEEENSM_5valueIiEEEEEEEEEEEE10hipError_tPvRmT3_T4_T5_T6_T7_T9_mT8_P12ihipStream_tbDpT10_ENKUlT_T0_E_clISt17integral_constantIbLb1EES1K_EEDaS1F_S1G_EUlS1F_E_NS1_11comp_targetILNS1_3genE3ELNS1_11target_archE908ELNS1_3gpuE7ELNS1_3repE0EEENS1_30default_config_static_selectorELNS0_4arch9wavefront6targetE0EEEvT1_: ; @_ZN7rocprim17ROCPRIM_400000_NS6detail17trampoline_kernelINS0_14default_configENS1_25partition_config_selectorILNS1_17partition_subalgoE6EiNS0_10empty_typeEbEEZZNS1_14partition_implILS5_6ELb0ES3_mN6thrust23THRUST_200600_302600_NS6detail15normal_iteratorINSA_10device_ptrIiEEEEPS6_SG_NS0_5tupleIJSF_S6_EEENSH_IJSG_SG_EEES6_PlJNSB_9not_fun_tINSB_10functional5actorINSM_9compositeIJNSM_27transparent_binary_operatorINSA_8equal_toIvEEEENSN_INSM_8argumentILj0EEEEENSM_5valueIiEEEEEEEEEEEE10hipError_tPvRmT3_T4_T5_T6_T7_T9_mT8_P12ihipStream_tbDpT10_ENKUlT_T0_E_clISt17integral_constantIbLb1EES1K_EEDaS1F_S1G_EUlS1F_E_NS1_11comp_targetILNS1_3genE3ELNS1_11target_archE908ELNS1_3gpuE7ELNS1_3repE0EEENS1_30default_config_static_selectorELNS0_4arch9wavefront6targetE0EEEvT1_
; %bb.0:
	.section	.rodata,"a",@progbits
	.p2align	6, 0x0
	.amdhsa_kernel _ZN7rocprim17ROCPRIM_400000_NS6detail17trampoline_kernelINS0_14default_configENS1_25partition_config_selectorILNS1_17partition_subalgoE6EiNS0_10empty_typeEbEEZZNS1_14partition_implILS5_6ELb0ES3_mN6thrust23THRUST_200600_302600_NS6detail15normal_iteratorINSA_10device_ptrIiEEEEPS6_SG_NS0_5tupleIJSF_S6_EEENSH_IJSG_SG_EEES6_PlJNSB_9not_fun_tINSB_10functional5actorINSM_9compositeIJNSM_27transparent_binary_operatorINSA_8equal_toIvEEEENSN_INSM_8argumentILj0EEEEENSM_5valueIiEEEEEEEEEEEE10hipError_tPvRmT3_T4_T5_T6_T7_T9_mT8_P12ihipStream_tbDpT10_ENKUlT_T0_E_clISt17integral_constantIbLb1EES1K_EEDaS1F_S1G_EUlS1F_E_NS1_11comp_targetILNS1_3genE3ELNS1_11target_archE908ELNS1_3gpuE7ELNS1_3repE0EEENS1_30default_config_static_selectorELNS0_4arch9wavefront6targetE0EEEvT1_
		.amdhsa_group_segment_fixed_size 0
		.amdhsa_private_segment_fixed_size 0
		.amdhsa_kernarg_size 128
		.amdhsa_user_sgpr_count 2
		.amdhsa_user_sgpr_dispatch_ptr 0
		.amdhsa_user_sgpr_queue_ptr 0
		.amdhsa_user_sgpr_kernarg_segment_ptr 1
		.amdhsa_user_sgpr_dispatch_id 0
		.amdhsa_user_sgpr_private_segment_size 0
		.amdhsa_wavefront_size32 1
		.amdhsa_uses_dynamic_stack 0
		.amdhsa_enable_private_segment 0
		.amdhsa_system_sgpr_workgroup_id_x 1
		.amdhsa_system_sgpr_workgroup_id_y 0
		.amdhsa_system_sgpr_workgroup_id_z 0
		.amdhsa_system_sgpr_workgroup_info 0
		.amdhsa_system_vgpr_workitem_id 0
		.amdhsa_next_free_vgpr 1
		.amdhsa_next_free_sgpr 1
		.amdhsa_reserve_vcc 0
		.amdhsa_float_round_mode_32 0
		.amdhsa_float_round_mode_16_64 0
		.amdhsa_float_denorm_mode_32 3
		.amdhsa_float_denorm_mode_16_64 3
		.amdhsa_fp16_overflow 0
		.amdhsa_workgroup_processor_mode 1
		.amdhsa_memory_ordered 1
		.amdhsa_forward_progress 1
		.amdhsa_inst_pref_size 0
		.amdhsa_round_robin_scheduling 0
		.amdhsa_exception_fp_ieee_invalid_op 0
		.amdhsa_exception_fp_denorm_src 0
		.amdhsa_exception_fp_ieee_div_zero 0
		.amdhsa_exception_fp_ieee_overflow 0
		.amdhsa_exception_fp_ieee_underflow 0
		.amdhsa_exception_fp_ieee_inexact 0
		.amdhsa_exception_int_div_zero 0
	.end_amdhsa_kernel
	.section	.text._ZN7rocprim17ROCPRIM_400000_NS6detail17trampoline_kernelINS0_14default_configENS1_25partition_config_selectorILNS1_17partition_subalgoE6EiNS0_10empty_typeEbEEZZNS1_14partition_implILS5_6ELb0ES3_mN6thrust23THRUST_200600_302600_NS6detail15normal_iteratorINSA_10device_ptrIiEEEEPS6_SG_NS0_5tupleIJSF_S6_EEENSH_IJSG_SG_EEES6_PlJNSB_9not_fun_tINSB_10functional5actorINSM_9compositeIJNSM_27transparent_binary_operatorINSA_8equal_toIvEEEENSN_INSM_8argumentILj0EEEEENSM_5valueIiEEEEEEEEEEEE10hipError_tPvRmT3_T4_T5_T6_T7_T9_mT8_P12ihipStream_tbDpT10_ENKUlT_T0_E_clISt17integral_constantIbLb1EES1K_EEDaS1F_S1G_EUlS1F_E_NS1_11comp_targetILNS1_3genE3ELNS1_11target_archE908ELNS1_3gpuE7ELNS1_3repE0EEENS1_30default_config_static_selectorELNS0_4arch9wavefront6targetE0EEEvT1_,"axG",@progbits,_ZN7rocprim17ROCPRIM_400000_NS6detail17trampoline_kernelINS0_14default_configENS1_25partition_config_selectorILNS1_17partition_subalgoE6EiNS0_10empty_typeEbEEZZNS1_14partition_implILS5_6ELb0ES3_mN6thrust23THRUST_200600_302600_NS6detail15normal_iteratorINSA_10device_ptrIiEEEEPS6_SG_NS0_5tupleIJSF_S6_EEENSH_IJSG_SG_EEES6_PlJNSB_9not_fun_tINSB_10functional5actorINSM_9compositeIJNSM_27transparent_binary_operatorINSA_8equal_toIvEEEENSN_INSM_8argumentILj0EEEEENSM_5valueIiEEEEEEEEEEEE10hipError_tPvRmT3_T4_T5_T6_T7_T9_mT8_P12ihipStream_tbDpT10_ENKUlT_T0_E_clISt17integral_constantIbLb1EES1K_EEDaS1F_S1G_EUlS1F_E_NS1_11comp_targetILNS1_3genE3ELNS1_11target_archE908ELNS1_3gpuE7ELNS1_3repE0EEENS1_30default_config_static_selectorELNS0_4arch9wavefront6targetE0EEEvT1_,comdat
.Lfunc_end222:
	.size	_ZN7rocprim17ROCPRIM_400000_NS6detail17trampoline_kernelINS0_14default_configENS1_25partition_config_selectorILNS1_17partition_subalgoE6EiNS0_10empty_typeEbEEZZNS1_14partition_implILS5_6ELb0ES3_mN6thrust23THRUST_200600_302600_NS6detail15normal_iteratorINSA_10device_ptrIiEEEEPS6_SG_NS0_5tupleIJSF_S6_EEENSH_IJSG_SG_EEES6_PlJNSB_9not_fun_tINSB_10functional5actorINSM_9compositeIJNSM_27transparent_binary_operatorINSA_8equal_toIvEEEENSN_INSM_8argumentILj0EEEEENSM_5valueIiEEEEEEEEEEEE10hipError_tPvRmT3_T4_T5_T6_T7_T9_mT8_P12ihipStream_tbDpT10_ENKUlT_T0_E_clISt17integral_constantIbLb1EES1K_EEDaS1F_S1G_EUlS1F_E_NS1_11comp_targetILNS1_3genE3ELNS1_11target_archE908ELNS1_3gpuE7ELNS1_3repE0EEENS1_30default_config_static_selectorELNS0_4arch9wavefront6targetE0EEEvT1_, .Lfunc_end222-_ZN7rocprim17ROCPRIM_400000_NS6detail17trampoline_kernelINS0_14default_configENS1_25partition_config_selectorILNS1_17partition_subalgoE6EiNS0_10empty_typeEbEEZZNS1_14partition_implILS5_6ELb0ES3_mN6thrust23THRUST_200600_302600_NS6detail15normal_iteratorINSA_10device_ptrIiEEEEPS6_SG_NS0_5tupleIJSF_S6_EEENSH_IJSG_SG_EEES6_PlJNSB_9not_fun_tINSB_10functional5actorINSM_9compositeIJNSM_27transparent_binary_operatorINSA_8equal_toIvEEEENSN_INSM_8argumentILj0EEEEENSM_5valueIiEEEEEEEEEEEE10hipError_tPvRmT3_T4_T5_T6_T7_T9_mT8_P12ihipStream_tbDpT10_ENKUlT_T0_E_clISt17integral_constantIbLb1EES1K_EEDaS1F_S1G_EUlS1F_E_NS1_11comp_targetILNS1_3genE3ELNS1_11target_archE908ELNS1_3gpuE7ELNS1_3repE0EEENS1_30default_config_static_selectorELNS0_4arch9wavefront6targetE0EEEvT1_
                                        ; -- End function
	.set _ZN7rocprim17ROCPRIM_400000_NS6detail17trampoline_kernelINS0_14default_configENS1_25partition_config_selectorILNS1_17partition_subalgoE6EiNS0_10empty_typeEbEEZZNS1_14partition_implILS5_6ELb0ES3_mN6thrust23THRUST_200600_302600_NS6detail15normal_iteratorINSA_10device_ptrIiEEEEPS6_SG_NS0_5tupleIJSF_S6_EEENSH_IJSG_SG_EEES6_PlJNSB_9not_fun_tINSB_10functional5actorINSM_9compositeIJNSM_27transparent_binary_operatorINSA_8equal_toIvEEEENSN_INSM_8argumentILj0EEEEENSM_5valueIiEEEEEEEEEEEE10hipError_tPvRmT3_T4_T5_T6_T7_T9_mT8_P12ihipStream_tbDpT10_ENKUlT_T0_E_clISt17integral_constantIbLb1EES1K_EEDaS1F_S1G_EUlS1F_E_NS1_11comp_targetILNS1_3genE3ELNS1_11target_archE908ELNS1_3gpuE7ELNS1_3repE0EEENS1_30default_config_static_selectorELNS0_4arch9wavefront6targetE0EEEvT1_.num_vgpr, 0
	.set _ZN7rocprim17ROCPRIM_400000_NS6detail17trampoline_kernelINS0_14default_configENS1_25partition_config_selectorILNS1_17partition_subalgoE6EiNS0_10empty_typeEbEEZZNS1_14partition_implILS5_6ELb0ES3_mN6thrust23THRUST_200600_302600_NS6detail15normal_iteratorINSA_10device_ptrIiEEEEPS6_SG_NS0_5tupleIJSF_S6_EEENSH_IJSG_SG_EEES6_PlJNSB_9not_fun_tINSB_10functional5actorINSM_9compositeIJNSM_27transparent_binary_operatorINSA_8equal_toIvEEEENSN_INSM_8argumentILj0EEEEENSM_5valueIiEEEEEEEEEEEE10hipError_tPvRmT3_T4_T5_T6_T7_T9_mT8_P12ihipStream_tbDpT10_ENKUlT_T0_E_clISt17integral_constantIbLb1EES1K_EEDaS1F_S1G_EUlS1F_E_NS1_11comp_targetILNS1_3genE3ELNS1_11target_archE908ELNS1_3gpuE7ELNS1_3repE0EEENS1_30default_config_static_selectorELNS0_4arch9wavefront6targetE0EEEvT1_.num_agpr, 0
	.set _ZN7rocprim17ROCPRIM_400000_NS6detail17trampoline_kernelINS0_14default_configENS1_25partition_config_selectorILNS1_17partition_subalgoE6EiNS0_10empty_typeEbEEZZNS1_14partition_implILS5_6ELb0ES3_mN6thrust23THRUST_200600_302600_NS6detail15normal_iteratorINSA_10device_ptrIiEEEEPS6_SG_NS0_5tupleIJSF_S6_EEENSH_IJSG_SG_EEES6_PlJNSB_9not_fun_tINSB_10functional5actorINSM_9compositeIJNSM_27transparent_binary_operatorINSA_8equal_toIvEEEENSN_INSM_8argumentILj0EEEEENSM_5valueIiEEEEEEEEEEEE10hipError_tPvRmT3_T4_T5_T6_T7_T9_mT8_P12ihipStream_tbDpT10_ENKUlT_T0_E_clISt17integral_constantIbLb1EES1K_EEDaS1F_S1G_EUlS1F_E_NS1_11comp_targetILNS1_3genE3ELNS1_11target_archE908ELNS1_3gpuE7ELNS1_3repE0EEENS1_30default_config_static_selectorELNS0_4arch9wavefront6targetE0EEEvT1_.numbered_sgpr, 0
	.set _ZN7rocprim17ROCPRIM_400000_NS6detail17trampoline_kernelINS0_14default_configENS1_25partition_config_selectorILNS1_17partition_subalgoE6EiNS0_10empty_typeEbEEZZNS1_14partition_implILS5_6ELb0ES3_mN6thrust23THRUST_200600_302600_NS6detail15normal_iteratorINSA_10device_ptrIiEEEEPS6_SG_NS0_5tupleIJSF_S6_EEENSH_IJSG_SG_EEES6_PlJNSB_9not_fun_tINSB_10functional5actorINSM_9compositeIJNSM_27transparent_binary_operatorINSA_8equal_toIvEEEENSN_INSM_8argumentILj0EEEEENSM_5valueIiEEEEEEEEEEEE10hipError_tPvRmT3_T4_T5_T6_T7_T9_mT8_P12ihipStream_tbDpT10_ENKUlT_T0_E_clISt17integral_constantIbLb1EES1K_EEDaS1F_S1G_EUlS1F_E_NS1_11comp_targetILNS1_3genE3ELNS1_11target_archE908ELNS1_3gpuE7ELNS1_3repE0EEENS1_30default_config_static_selectorELNS0_4arch9wavefront6targetE0EEEvT1_.num_named_barrier, 0
	.set _ZN7rocprim17ROCPRIM_400000_NS6detail17trampoline_kernelINS0_14default_configENS1_25partition_config_selectorILNS1_17partition_subalgoE6EiNS0_10empty_typeEbEEZZNS1_14partition_implILS5_6ELb0ES3_mN6thrust23THRUST_200600_302600_NS6detail15normal_iteratorINSA_10device_ptrIiEEEEPS6_SG_NS0_5tupleIJSF_S6_EEENSH_IJSG_SG_EEES6_PlJNSB_9not_fun_tINSB_10functional5actorINSM_9compositeIJNSM_27transparent_binary_operatorINSA_8equal_toIvEEEENSN_INSM_8argumentILj0EEEEENSM_5valueIiEEEEEEEEEEEE10hipError_tPvRmT3_T4_T5_T6_T7_T9_mT8_P12ihipStream_tbDpT10_ENKUlT_T0_E_clISt17integral_constantIbLb1EES1K_EEDaS1F_S1G_EUlS1F_E_NS1_11comp_targetILNS1_3genE3ELNS1_11target_archE908ELNS1_3gpuE7ELNS1_3repE0EEENS1_30default_config_static_selectorELNS0_4arch9wavefront6targetE0EEEvT1_.private_seg_size, 0
	.set _ZN7rocprim17ROCPRIM_400000_NS6detail17trampoline_kernelINS0_14default_configENS1_25partition_config_selectorILNS1_17partition_subalgoE6EiNS0_10empty_typeEbEEZZNS1_14partition_implILS5_6ELb0ES3_mN6thrust23THRUST_200600_302600_NS6detail15normal_iteratorINSA_10device_ptrIiEEEEPS6_SG_NS0_5tupleIJSF_S6_EEENSH_IJSG_SG_EEES6_PlJNSB_9not_fun_tINSB_10functional5actorINSM_9compositeIJNSM_27transparent_binary_operatorINSA_8equal_toIvEEEENSN_INSM_8argumentILj0EEEEENSM_5valueIiEEEEEEEEEEEE10hipError_tPvRmT3_T4_T5_T6_T7_T9_mT8_P12ihipStream_tbDpT10_ENKUlT_T0_E_clISt17integral_constantIbLb1EES1K_EEDaS1F_S1G_EUlS1F_E_NS1_11comp_targetILNS1_3genE3ELNS1_11target_archE908ELNS1_3gpuE7ELNS1_3repE0EEENS1_30default_config_static_selectorELNS0_4arch9wavefront6targetE0EEEvT1_.uses_vcc, 0
	.set _ZN7rocprim17ROCPRIM_400000_NS6detail17trampoline_kernelINS0_14default_configENS1_25partition_config_selectorILNS1_17partition_subalgoE6EiNS0_10empty_typeEbEEZZNS1_14partition_implILS5_6ELb0ES3_mN6thrust23THRUST_200600_302600_NS6detail15normal_iteratorINSA_10device_ptrIiEEEEPS6_SG_NS0_5tupleIJSF_S6_EEENSH_IJSG_SG_EEES6_PlJNSB_9not_fun_tINSB_10functional5actorINSM_9compositeIJNSM_27transparent_binary_operatorINSA_8equal_toIvEEEENSN_INSM_8argumentILj0EEEEENSM_5valueIiEEEEEEEEEEEE10hipError_tPvRmT3_T4_T5_T6_T7_T9_mT8_P12ihipStream_tbDpT10_ENKUlT_T0_E_clISt17integral_constantIbLb1EES1K_EEDaS1F_S1G_EUlS1F_E_NS1_11comp_targetILNS1_3genE3ELNS1_11target_archE908ELNS1_3gpuE7ELNS1_3repE0EEENS1_30default_config_static_selectorELNS0_4arch9wavefront6targetE0EEEvT1_.uses_flat_scratch, 0
	.set _ZN7rocprim17ROCPRIM_400000_NS6detail17trampoline_kernelINS0_14default_configENS1_25partition_config_selectorILNS1_17partition_subalgoE6EiNS0_10empty_typeEbEEZZNS1_14partition_implILS5_6ELb0ES3_mN6thrust23THRUST_200600_302600_NS6detail15normal_iteratorINSA_10device_ptrIiEEEEPS6_SG_NS0_5tupleIJSF_S6_EEENSH_IJSG_SG_EEES6_PlJNSB_9not_fun_tINSB_10functional5actorINSM_9compositeIJNSM_27transparent_binary_operatorINSA_8equal_toIvEEEENSN_INSM_8argumentILj0EEEEENSM_5valueIiEEEEEEEEEEEE10hipError_tPvRmT3_T4_T5_T6_T7_T9_mT8_P12ihipStream_tbDpT10_ENKUlT_T0_E_clISt17integral_constantIbLb1EES1K_EEDaS1F_S1G_EUlS1F_E_NS1_11comp_targetILNS1_3genE3ELNS1_11target_archE908ELNS1_3gpuE7ELNS1_3repE0EEENS1_30default_config_static_selectorELNS0_4arch9wavefront6targetE0EEEvT1_.has_dyn_sized_stack, 0
	.set _ZN7rocprim17ROCPRIM_400000_NS6detail17trampoline_kernelINS0_14default_configENS1_25partition_config_selectorILNS1_17partition_subalgoE6EiNS0_10empty_typeEbEEZZNS1_14partition_implILS5_6ELb0ES3_mN6thrust23THRUST_200600_302600_NS6detail15normal_iteratorINSA_10device_ptrIiEEEEPS6_SG_NS0_5tupleIJSF_S6_EEENSH_IJSG_SG_EEES6_PlJNSB_9not_fun_tINSB_10functional5actorINSM_9compositeIJNSM_27transparent_binary_operatorINSA_8equal_toIvEEEENSN_INSM_8argumentILj0EEEEENSM_5valueIiEEEEEEEEEEEE10hipError_tPvRmT3_T4_T5_T6_T7_T9_mT8_P12ihipStream_tbDpT10_ENKUlT_T0_E_clISt17integral_constantIbLb1EES1K_EEDaS1F_S1G_EUlS1F_E_NS1_11comp_targetILNS1_3genE3ELNS1_11target_archE908ELNS1_3gpuE7ELNS1_3repE0EEENS1_30default_config_static_selectorELNS0_4arch9wavefront6targetE0EEEvT1_.has_recursion, 0
	.set _ZN7rocprim17ROCPRIM_400000_NS6detail17trampoline_kernelINS0_14default_configENS1_25partition_config_selectorILNS1_17partition_subalgoE6EiNS0_10empty_typeEbEEZZNS1_14partition_implILS5_6ELb0ES3_mN6thrust23THRUST_200600_302600_NS6detail15normal_iteratorINSA_10device_ptrIiEEEEPS6_SG_NS0_5tupleIJSF_S6_EEENSH_IJSG_SG_EEES6_PlJNSB_9not_fun_tINSB_10functional5actorINSM_9compositeIJNSM_27transparent_binary_operatorINSA_8equal_toIvEEEENSN_INSM_8argumentILj0EEEEENSM_5valueIiEEEEEEEEEEEE10hipError_tPvRmT3_T4_T5_T6_T7_T9_mT8_P12ihipStream_tbDpT10_ENKUlT_T0_E_clISt17integral_constantIbLb1EES1K_EEDaS1F_S1G_EUlS1F_E_NS1_11comp_targetILNS1_3genE3ELNS1_11target_archE908ELNS1_3gpuE7ELNS1_3repE0EEENS1_30default_config_static_selectorELNS0_4arch9wavefront6targetE0EEEvT1_.has_indirect_call, 0
	.section	.AMDGPU.csdata,"",@progbits
; Kernel info:
; codeLenInByte = 0
; TotalNumSgprs: 0
; NumVgprs: 0
; ScratchSize: 0
; MemoryBound: 0
; FloatMode: 240
; IeeeMode: 1
; LDSByteSize: 0 bytes/workgroup (compile time only)
; SGPRBlocks: 0
; VGPRBlocks: 0
; NumSGPRsForWavesPerEU: 1
; NumVGPRsForWavesPerEU: 1
; Occupancy: 16
; WaveLimiterHint : 0
; COMPUTE_PGM_RSRC2:SCRATCH_EN: 0
; COMPUTE_PGM_RSRC2:USER_SGPR: 2
; COMPUTE_PGM_RSRC2:TRAP_HANDLER: 0
; COMPUTE_PGM_RSRC2:TGID_X_EN: 1
; COMPUTE_PGM_RSRC2:TGID_Y_EN: 0
; COMPUTE_PGM_RSRC2:TGID_Z_EN: 0
; COMPUTE_PGM_RSRC2:TIDIG_COMP_CNT: 0
	.section	.text._ZN7rocprim17ROCPRIM_400000_NS6detail17trampoline_kernelINS0_14default_configENS1_25partition_config_selectorILNS1_17partition_subalgoE6EiNS0_10empty_typeEbEEZZNS1_14partition_implILS5_6ELb0ES3_mN6thrust23THRUST_200600_302600_NS6detail15normal_iteratorINSA_10device_ptrIiEEEEPS6_SG_NS0_5tupleIJSF_S6_EEENSH_IJSG_SG_EEES6_PlJNSB_9not_fun_tINSB_10functional5actorINSM_9compositeIJNSM_27transparent_binary_operatorINSA_8equal_toIvEEEENSN_INSM_8argumentILj0EEEEENSM_5valueIiEEEEEEEEEEEE10hipError_tPvRmT3_T4_T5_T6_T7_T9_mT8_P12ihipStream_tbDpT10_ENKUlT_T0_E_clISt17integral_constantIbLb1EES1K_EEDaS1F_S1G_EUlS1F_E_NS1_11comp_targetILNS1_3genE2ELNS1_11target_archE906ELNS1_3gpuE6ELNS1_3repE0EEENS1_30default_config_static_selectorELNS0_4arch9wavefront6targetE0EEEvT1_,"axG",@progbits,_ZN7rocprim17ROCPRIM_400000_NS6detail17trampoline_kernelINS0_14default_configENS1_25partition_config_selectorILNS1_17partition_subalgoE6EiNS0_10empty_typeEbEEZZNS1_14partition_implILS5_6ELb0ES3_mN6thrust23THRUST_200600_302600_NS6detail15normal_iteratorINSA_10device_ptrIiEEEEPS6_SG_NS0_5tupleIJSF_S6_EEENSH_IJSG_SG_EEES6_PlJNSB_9not_fun_tINSB_10functional5actorINSM_9compositeIJNSM_27transparent_binary_operatorINSA_8equal_toIvEEEENSN_INSM_8argumentILj0EEEEENSM_5valueIiEEEEEEEEEEEE10hipError_tPvRmT3_T4_T5_T6_T7_T9_mT8_P12ihipStream_tbDpT10_ENKUlT_T0_E_clISt17integral_constantIbLb1EES1K_EEDaS1F_S1G_EUlS1F_E_NS1_11comp_targetILNS1_3genE2ELNS1_11target_archE906ELNS1_3gpuE6ELNS1_3repE0EEENS1_30default_config_static_selectorELNS0_4arch9wavefront6targetE0EEEvT1_,comdat
	.protected	_ZN7rocprim17ROCPRIM_400000_NS6detail17trampoline_kernelINS0_14default_configENS1_25partition_config_selectorILNS1_17partition_subalgoE6EiNS0_10empty_typeEbEEZZNS1_14partition_implILS5_6ELb0ES3_mN6thrust23THRUST_200600_302600_NS6detail15normal_iteratorINSA_10device_ptrIiEEEEPS6_SG_NS0_5tupleIJSF_S6_EEENSH_IJSG_SG_EEES6_PlJNSB_9not_fun_tINSB_10functional5actorINSM_9compositeIJNSM_27transparent_binary_operatorINSA_8equal_toIvEEEENSN_INSM_8argumentILj0EEEEENSM_5valueIiEEEEEEEEEEEE10hipError_tPvRmT3_T4_T5_T6_T7_T9_mT8_P12ihipStream_tbDpT10_ENKUlT_T0_E_clISt17integral_constantIbLb1EES1K_EEDaS1F_S1G_EUlS1F_E_NS1_11comp_targetILNS1_3genE2ELNS1_11target_archE906ELNS1_3gpuE6ELNS1_3repE0EEENS1_30default_config_static_selectorELNS0_4arch9wavefront6targetE0EEEvT1_ ; -- Begin function _ZN7rocprim17ROCPRIM_400000_NS6detail17trampoline_kernelINS0_14default_configENS1_25partition_config_selectorILNS1_17partition_subalgoE6EiNS0_10empty_typeEbEEZZNS1_14partition_implILS5_6ELb0ES3_mN6thrust23THRUST_200600_302600_NS6detail15normal_iteratorINSA_10device_ptrIiEEEEPS6_SG_NS0_5tupleIJSF_S6_EEENSH_IJSG_SG_EEES6_PlJNSB_9not_fun_tINSB_10functional5actorINSM_9compositeIJNSM_27transparent_binary_operatorINSA_8equal_toIvEEEENSN_INSM_8argumentILj0EEEEENSM_5valueIiEEEEEEEEEEEE10hipError_tPvRmT3_T4_T5_T6_T7_T9_mT8_P12ihipStream_tbDpT10_ENKUlT_T0_E_clISt17integral_constantIbLb1EES1K_EEDaS1F_S1G_EUlS1F_E_NS1_11comp_targetILNS1_3genE2ELNS1_11target_archE906ELNS1_3gpuE6ELNS1_3repE0EEENS1_30default_config_static_selectorELNS0_4arch9wavefront6targetE0EEEvT1_
	.globl	_ZN7rocprim17ROCPRIM_400000_NS6detail17trampoline_kernelINS0_14default_configENS1_25partition_config_selectorILNS1_17partition_subalgoE6EiNS0_10empty_typeEbEEZZNS1_14partition_implILS5_6ELb0ES3_mN6thrust23THRUST_200600_302600_NS6detail15normal_iteratorINSA_10device_ptrIiEEEEPS6_SG_NS0_5tupleIJSF_S6_EEENSH_IJSG_SG_EEES6_PlJNSB_9not_fun_tINSB_10functional5actorINSM_9compositeIJNSM_27transparent_binary_operatorINSA_8equal_toIvEEEENSN_INSM_8argumentILj0EEEEENSM_5valueIiEEEEEEEEEEEE10hipError_tPvRmT3_T4_T5_T6_T7_T9_mT8_P12ihipStream_tbDpT10_ENKUlT_T0_E_clISt17integral_constantIbLb1EES1K_EEDaS1F_S1G_EUlS1F_E_NS1_11comp_targetILNS1_3genE2ELNS1_11target_archE906ELNS1_3gpuE6ELNS1_3repE0EEENS1_30default_config_static_selectorELNS0_4arch9wavefront6targetE0EEEvT1_
	.p2align	8
	.type	_ZN7rocprim17ROCPRIM_400000_NS6detail17trampoline_kernelINS0_14default_configENS1_25partition_config_selectorILNS1_17partition_subalgoE6EiNS0_10empty_typeEbEEZZNS1_14partition_implILS5_6ELb0ES3_mN6thrust23THRUST_200600_302600_NS6detail15normal_iteratorINSA_10device_ptrIiEEEEPS6_SG_NS0_5tupleIJSF_S6_EEENSH_IJSG_SG_EEES6_PlJNSB_9not_fun_tINSB_10functional5actorINSM_9compositeIJNSM_27transparent_binary_operatorINSA_8equal_toIvEEEENSN_INSM_8argumentILj0EEEEENSM_5valueIiEEEEEEEEEEEE10hipError_tPvRmT3_T4_T5_T6_T7_T9_mT8_P12ihipStream_tbDpT10_ENKUlT_T0_E_clISt17integral_constantIbLb1EES1K_EEDaS1F_S1G_EUlS1F_E_NS1_11comp_targetILNS1_3genE2ELNS1_11target_archE906ELNS1_3gpuE6ELNS1_3repE0EEENS1_30default_config_static_selectorELNS0_4arch9wavefront6targetE0EEEvT1_,@function
_ZN7rocprim17ROCPRIM_400000_NS6detail17trampoline_kernelINS0_14default_configENS1_25partition_config_selectorILNS1_17partition_subalgoE6EiNS0_10empty_typeEbEEZZNS1_14partition_implILS5_6ELb0ES3_mN6thrust23THRUST_200600_302600_NS6detail15normal_iteratorINSA_10device_ptrIiEEEEPS6_SG_NS0_5tupleIJSF_S6_EEENSH_IJSG_SG_EEES6_PlJNSB_9not_fun_tINSB_10functional5actorINSM_9compositeIJNSM_27transparent_binary_operatorINSA_8equal_toIvEEEENSN_INSM_8argumentILj0EEEEENSM_5valueIiEEEEEEEEEEEE10hipError_tPvRmT3_T4_T5_T6_T7_T9_mT8_P12ihipStream_tbDpT10_ENKUlT_T0_E_clISt17integral_constantIbLb1EES1K_EEDaS1F_S1G_EUlS1F_E_NS1_11comp_targetILNS1_3genE2ELNS1_11target_archE906ELNS1_3gpuE6ELNS1_3repE0EEENS1_30default_config_static_selectorELNS0_4arch9wavefront6targetE0EEEvT1_: ; @_ZN7rocprim17ROCPRIM_400000_NS6detail17trampoline_kernelINS0_14default_configENS1_25partition_config_selectorILNS1_17partition_subalgoE6EiNS0_10empty_typeEbEEZZNS1_14partition_implILS5_6ELb0ES3_mN6thrust23THRUST_200600_302600_NS6detail15normal_iteratorINSA_10device_ptrIiEEEEPS6_SG_NS0_5tupleIJSF_S6_EEENSH_IJSG_SG_EEES6_PlJNSB_9not_fun_tINSB_10functional5actorINSM_9compositeIJNSM_27transparent_binary_operatorINSA_8equal_toIvEEEENSN_INSM_8argumentILj0EEEEENSM_5valueIiEEEEEEEEEEEE10hipError_tPvRmT3_T4_T5_T6_T7_T9_mT8_P12ihipStream_tbDpT10_ENKUlT_T0_E_clISt17integral_constantIbLb1EES1K_EEDaS1F_S1G_EUlS1F_E_NS1_11comp_targetILNS1_3genE2ELNS1_11target_archE906ELNS1_3gpuE6ELNS1_3repE0EEENS1_30default_config_static_selectorELNS0_4arch9wavefront6targetE0EEEvT1_
; %bb.0:
	.section	.rodata,"a",@progbits
	.p2align	6, 0x0
	.amdhsa_kernel _ZN7rocprim17ROCPRIM_400000_NS6detail17trampoline_kernelINS0_14default_configENS1_25partition_config_selectorILNS1_17partition_subalgoE6EiNS0_10empty_typeEbEEZZNS1_14partition_implILS5_6ELb0ES3_mN6thrust23THRUST_200600_302600_NS6detail15normal_iteratorINSA_10device_ptrIiEEEEPS6_SG_NS0_5tupleIJSF_S6_EEENSH_IJSG_SG_EEES6_PlJNSB_9not_fun_tINSB_10functional5actorINSM_9compositeIJNSM_27transparent_binary_operatorINSA_8equal_toIvEEEENSN_INSM_8argumentILj0EEEEENSM_5valueIiEEEEEEEEEEEE10hipError_tPvRmT3_T4_T5_T6_T7_T9_mT8_P12ihipStream_tbDpT10_ENKUlT_T0_E_clISt17integral_constantIbLb1EES1K_EEDaS1F_S1G_EUlS1F_E_NS1_11comp_targetILNS1_3genE2ELNS1_11target_archE906ELNS1_3gpuE6ELNS1_3repE0EEENS1_30default_config_static_selectorELNS0_4arch9wavefront6targetE0EEEvT1_
		.amdhsa_group_segment_fixed_size 0
		.amdhsa_private_segment_fixed_size 0
		.amdhsa_kernarg_size 128
		.amdhsa_user_sgpr_count 2
		.amdhsa_user_sgpr_dispatch_ptr 0
		.amdhsa_user_sgpr_queue_ptr 0
		.amdhsa_user_sgpr_kernarg_segment_ptr 1
		.amdhsa_user_sgpr_dispatch_id 0
		.amdhsa_user_sgpr_private_segment_size 0
		.amdhsa_wavefront_size32 1
		.amdhsa_uses_dynamic_stack 0
		.amdhsa_enable_private_segment 0
		.amdhsa_system_sgpr_workgroup_id_x 1
		.amdhsa_system_sgpr_workgroup_id_y 0
		.amdhsa_system_sgpr_workgroup_id_z 0
		.amdhsa_system_sgpr_workgroup_info 0
		.amdhsa_system_vgpr_workitem_id 0
		.amdhsa_next_free_vgpr 1
		.amdhsa_next_free_sgpr 1
		.amdhsa_reserve_vcc 0
		.amdhsa_float_round_mode_32 0
		.amdhsa_float_round_mode_16_64 0
		.amdhsa_float_denorm_mode_32 3
		.amdhsa_float_denorm_mode_16_64 3
		.amdhsa_fp16_overflow 0
		.amdhsa_workgroup_processor_mode 1
		.amdhsa_memory_ordered 1
		.amdhsa_forward_progress 1
		.amdhsa_inst_pref_size 0
		.amdhsa_round_robin_scheduling 0
		.amdhsa_exception_fp_ieee_invalid_op 0
		.amdhsa_exception_fp_denorm_src 0
		.amdhsa_exception_fp_ieee_div_zero 0
		.amdhsa_exception_fp_ieee_overflow 0
		.amdhsa_exception_fp_ieee_underflow 0
		.amdhsa_exception_fp_ieee_inexact 0
		.amdhsa_exception_int_div_zero 0
	.end_amdhsa_kernel
	.section	.text._ZN7rocprim17ROCPRIM_400000_NS6detail17trampoline_kernelINS0_14default_configENS1_25partition_config_selectorILNS1_17partition_subalgoE6EiNS0_10empty_typeEbEEZZNS1_14partition_implILS5_6ELb0ES3_mN6thrust23THRUST_200600_302600_NS6detail15normal_iteratorINSA_10device_ptrIiEEEEPS6_SG_NS0_5tupleIJSF_S6_EEENSH_IJSG_SG_EEES6_PlJNSB_9not_fun_tINSB_10functional5actorINSM_9compositeIJNSM_27transparent_binary_operatorINSA_8equal_toIvEEEENSN_INSM_8argumentILj0EEEEENSM_5valueIiEEEEEEEEEEEE10hipError_tPvRmT3_T4_T5_T6_T7_T9_mT8_P12ihipStream_tbDpT10_ENKUlT_T0_E_clISt17integral_constantIbLb1EES1K_EEDaS1F_S1G_EUlS1F_E_NS1_11comp_targetILNS1_3genE2ELNS1_11target_archE906ELNS1_3gpuE6ELNS1_3repE0EEENS1_30default_config_static_selectorELNS0_4arch9wavefront6targetE0EEEvT1_,"axG",@progbits,_ZN7rocprim17ROCPRIM_400000_NS6detail17trampoline_kernelINS0_14default_configENS1_25partition_config_selectorILNS1_17partition_subalgoE6EiNS0_10empty_typeEbEEZZNS1_14partition_implILS5_6ELb0ES3_mN6thrust23THRUST_200600_302600_NS6detail15normal_iteratorINSA_10device_ptrIiEEEEPS6_SG_NS0_5tupleIJSF_S6_EEENSH_IJSG_SG_EEES6_PlJNSB_9not_fun_tINSB_10functional5actorINSM_9compositeIJNSM_27transparent_binary_operatorINSA_8equal_toIvEEEENSN_INSM_8argumentILj0EEEEENSM_5valueIiEEEEEEEEEEEE10hipError_tPvRmT3_T4_T5_T6_T7_T9_mT8_P12ihipStream_tbDpT10_ENKUlT_T0_E_clISt17integral_constantIbLb1EES1K_EEDaS1F_S1G_EUlS1F_E_NS1_11comp_targetILNS1_3genE2ELNS1_11target_archE906ELNS1_3gpuE6ELNS1_3repE0EEENS1_30default_config_static_selectorELNS0_4arch9wavefront6targetE0EEEvT1_,comdat
.Lfunc_end223:
	.size	_ZN7rocprim17ROCPRIM_400000_NS6detail17trampoline_kernelINS0_14default_configENS1_25partition_config_selectorILNS1_17partition_subalgoE6EiNS0_10empty_typeEbEEZZNS1_14partition_implILS5_6ELb0ES3_mN6thrust23THRUST_200600_302600_NS6detail15normal_iteratorINSA_10device_ptrIiEEEEPS6_SG_NS0_5tupleIJSF_S6_EEENSH_IJSG_SG_EEES6_PlJNSB_9not_fun_tINSB_10functional5actorINSM_9compositeIJNSM_27transparent_binary_operatorINSA_8equal_toIvEEEENSN_INSM_8argumentILj0EEEEENSM_5valueIiEEEEEEEEEEEE10hipError_tPvRmT3_T4_T5_T6_T7_T9_mT8_P12ihipStream_tbDpT10_ENKUlT_T0_E_clISt17integral_constantIbLb1EES1K_EEDaS1F_S1G_EUlS1F_E_NS1_11comp_targetILNS1_3genE2ELNS1_11target_archE906ELNS1_3gpuE6ELNS1_3repE0EEENS1_30default_config_static_selectorELNS0_4arch9wavefront6targetE0EEEvT1_, .Lfunc_end223-_ZN7rocprim17ROCPRIM_400000_NS6detail17trampoline_kernelINS0_14default_configENS1_25partition_config_selectorILNS1_17partition_subalgoE6EiNS0_10empty_typeEbEEZZNS1_14partition_implILS5_6ELb0ES3_mN6thrust23THRUST_200600_302600_NS6detail15normal_iteratorINSA_10device_ptrIiEEEEPS6_SG_NS0_5tupleIJSF_S6_EEENSH_IJSG_SG_EEES6_PlJNSB_9not_fun_tINSB_10functional5actorINSM_9compositeIJNSM_27transparent_binary_operatorINSA_8equal_toIvEEEENSN_INSM_8argumentILj0EEEEENSM_5valueIiEEEEEEEEEEEE10hipError_tPvRmT3_T4_T5_T6_T7_T9_mT8_P12ihipStream_tbDpT10_ENKUlT_T0_E_clISt17integral_constantIbLb1EES1K_EEDaS1F_S1G_EUlS1F_E_NS1_11comp_targetILNS1_3genE2ELNS1_11target_archE906ELNS1_3gpuE6ELNS1_3repE0EEENS1_30default_config_static_selectorELNS0_4arch9wavefront6targetE0EEEvT1_
                                        ; -- End function
	.set _ZN7rocprim17ROCPRIM_400000_NS6detail17trampoline_kernelINS0_14default_configENS1_25partition_config_selectorILNS1_17partition_subalgoE6EiNS0_10empty_typeEbEEZZNS1_14partition_implILS5_6ELb0ES3_mN6thrust23THRUST_200600_302600_NS6detail15normal_iteratorINSA_10device_ptrIiEEEEPS6_SG_NS0_5tupleIJSF_S6_EEENSH_IJSG_SG_EEES6_PlJNSB_9not_fun_tINSB_10functional5actorINSM_9compositeIJNSM_27transparent_binary_operatorINSA_8equal_toIvEEEENSN_INSM_8argumentILj0EEEEENSM_5valueIiEEEEEEEEEEEE10hipError_tPvRmT3_T4_T5_T6_T7_T9_mT8_P12ihipStream_tbDpT10_ENKUlT_T0_E_clISt17integral_constantIbLb1EES1K_EEDaS1F_S1G_EUlS1F_E_NS1_11comp_targetILNS1_3genE2ELNS1_11target_archE906ELNS1_3gpuE6ELNS1_3repE0EEENS1_30default_config_static_selectorELNS0_4arch9wavefront6targetE0EEEvT1_.num_vgpr, 0
	.set _ZN7rocprim17ROCPRIM_400000_NS6detail17trampoline_kernelINS0_14default_configENS1_25partition_config_selectorILNS1_17partition_subalgoE6EiNS0_10empty_typeEbEEZZNS1_14partition_implILS5_6ELb0ES3_mN6thrust23THRUST_200600_302600_NS6detail15normal_iteratorINSA_10device_ptrIiEEEEPS6_SG_NS0_5tupleIJSF_S6_EEENSH_IJSG_SG_EEES6_PlJNSB_9not_fun_tINSB_10functional5actorINSM_9compositeIJNSM_27transparent_binary_operatorINSA_8equal_toIvEEEENSN_INSM_8argumentILj0EEEEENSM_5valueIiEEEEEEEEEEEE10hipError_tPvRmT3_T4_T5_T6_T7_T9_mT8_P12ihipStream_tbDpT10_ENKUlT_T0_E_clISt17integral_constantIbLb1EES1K_EEDaS1F_S1G_EUlS1F_E_NS1_11comp_targetILNS1_3genE2ELNS1_11target_archE906ELNS1_3gpuE6ELNS1_3repE0EEENS1_30default_config_static_selectorELNS0_4arch9wavefront6targetE0EEEvT1_.num_agpr, 0
	.set _ZN7rocprim17ROCPRIM_400000_NS6detail17trampoline_kernelINS0_14default_configENS1_25partition_config_selectorILNS1_17partition_subalgoE6EiNS0_10empty_typeEbEEZZNS1_14partition_implILS5_6ELb0ES3_mN6thrust23THRUST_200600_302600_NS6detail15normal_iteratorINSA_10device_ptrIiEEEEPS6_SG_NS0_5tupleIJSF_S6_EEENSH_IJSG_SG_EEES6_PlJNSB_9not_fun_tINSB_10functional5actorINSM_9compositeIJNSM_27transparent_binary_operatorINSA_8equal_toIvEEEENSN_INSM_8argumentILj0EEEEENSM_5valueIiEEEEEEEEEEEE10hipError_tPvRmT3_T4_T5_T6_T7_T9_mT8_P12ihipStream_tbDpT10_ENKUlT_T0_E_clISt17integral_constantIbLb1EES1K_EEDaS1F_S1G_EUlS1F_E_NS1_11comp_targetILNS1_3genE2ELNS1_11target_archE906ELNS1_3gpuE6ELNS1_3repE0EEENS1_30default_config_static_selectorELNS0_4arch9wavefront6targetE0EEEvT1_.numbered_sgpr, 0
	.set _ZN7rocprim17ROCPRIM_400000_NS6detail17trampoline_kernelINS0_14default_configENS1_25partition_config_selectorILNS1_17partition_subalgoE6EiNS0_10empty_typeEbEEZZNS1_14partition_implILS5_6ELb0ES3_mN6thrust23THRUST_200600_302600_NS6detail15normal_iteratorINSA_10device_ptrIiEEEEPS6_SG_NS0_5tupleIJSF_S6_EEENSH_IJSG_SG_EEES6_PlJNSB_9not_fun_tINSB_10functional5actorINSM_9compositeIJNSM_27transparent_binary_operatorINSA_8equal_toIvEEEENSN_INSM_8argumentILj0EEEEENSM_5valueIiEEEEEEEEEEEE10hipError_tPvRmT3_T4_T5_T6_T7_T9_mT8_P12ihipStream_tbDpT10_ENKUlT_T0_E_clISt17integral_constantIbLb1EES1K_EEDaS1F_S1G_EUlS1F_E_NS1_11comp_targetILNS1_3genE2ELNS1_11target_archE906ELNS1_3gpuE6ELNS1_3repE0EEENS1_30default_config_static_selectorELNS0_4arch9wavefront6targetE0EEEvT1_.num_named_barrier, 0
	.set _ZN7rocprim17ROCPRIM_400000_NS6detail17trampoline_kernelINS0_14default_configENS1_25partition_config_selectorILNS1_17partition_subalgoE6EiNS0_10empty_typeEbEEZZNS1_14partition_implILS5_6ELb0ES3_mN6thrust23THRUST_200600_302600_NS6detail15normal_iteratorINSA_10device_ptrIiEEEEPS6_SG_NS0_5tupleIJSF_S6_EEENSH_IJSG_SG_EEES6_PlJNSB_9not_fun_tINSB_10functional5actorINSM_9compositeIJNSM_27transparent_binary_operatorINSA_8equal_toIvEEEENSN_INSM_8argumentILj0EEEEENSM_5valueIiEEEEEEEEEEEE10hipError_tPvRmT3_T4_T5_T6_T7_T9_mT8_P12ihipStream_tbDpT10_ENKUlT_T0_E_clISt17integral_constantIbLb1EES1K_EEDaS1F_S1G_EUlS1F_E_NS1_11comp_targetILNS1_3genE2ELNS1_11target_archE906ELNS1_3gpuE6ELNS1_3repE0EEENS1_30default_config_static_selectorELNS0_4arch9wavefront6targetE0EEEvT1_.private_seg_size, 0
	.set _ZN7rocprim17ROCPRIM_400000_NS6detail17trampoline_kernelINS0_14default_configENS1_25partition_config_selectorILNS1_17partition_subalgoE6EiNS0_10empty_typeEbEEZZNS1_14partition_implILS5_6ELb0ES3_mN6thrust23THRUST_200600_302600_NS6detail15normal_iteratorINSA_10device_ptrIiEEEEPS6_SG_NS0_5tupleIJSF_S6_EEENSH_IJSG_SG_EEES6_PlJNSB_9not_fun_tINSB_10functional5actorINSM_9compositeIJNSM_27transparent_binary_operatorINSA_8equal_toIvEEEENSN_INSM_8argumentILj0EEEEENSM_5valueIiEEEEEEEEEEEE10hipError_tPvRmT3_T4_T5_T6_T7_T9_mT8_P12ihipStream_tbDpT10_ENKUlT_T0_E_clISt17integral_constantIbLb1EES1K_EEDaS1F_S1G_EUlS1F_E_NS1_11comp_targetILNS1_3genE2ELNS1_11target_archE906ELNS1_3gpuE6ELNS1_3repE0EEENS1_30default_config_static_selectorELNS0_4arch9wavefront6targetE0EEEvT1_.uses_vcc, 0
	.set _ZN7rocprim17ROCPRIM_400000_NS6detail17trampoline_kernelINS0_14default_configENS1_25partition_config_selectorILNS1_17partition_subalgoE6EiNS0_10empty_typeEbEEZZNS1_14partition_implILS5_6ELb0ES3_mN6thrust23THRUST_200600_302600_NS6detail15normal_iteratorINSA_10device_ptrIiEEEEPS6_SG_NS0_5tupleIJSF_S6_EEENSH_IJSG_SG_EEES6_PlJNSB_9not_fun_tINSB_10functional5actorINSM_9compositeIJNSM_27transparent_binary_operatorINSA_8equal_toIvEEEENSN_INSM_8argumentILj0EEEEENSM_5valueIiEEEEEEEEEEEE10hipError_tPvRmT3_T4_T5_T6_T7_T9_mT8_P12ihipStream_tbDpT10_ENKUlT_T0_E_clISt17integral_constantIbLb1EES1K_EEDaS1F_S1G_EUlS1F_E_NS1_11comp_targetILNS1_3genE2ELNS1_11target_archE906ELNS1_3gpuE6ELNS1_3repE0EEENS1_30default_config_static_selectorELNS0_4arch9wavefront6targetE0EEEvT1_.uses_flat_scratch, 0
	.set _ZN7rocprim17ROCPRIM_400000_NS6detail17trampoline_kernelINS0_14default_configENS1_25partition_config_selectorILNS1_17partition_subalgoE6EiNS0_10empty_typeEbEEZZNS1_14partition_implILS5_6ELb0ES3_mN6thrust23THRUST_200600_302600_NS6detail15normal_iteratorINSA_10device_ptrIiEEEEPS6_SG_NS0_5tupleIJSF_S6_EEENSH_IJSG_SG_EEES6_PlJNSB_9not_fun_tINSB_10functional5actorINSM_9compositeIJNSM_27transparent_binary_operatorINSA_8equal_toIvEEEENSN_INSM_8argumentILj0EEEEENSM_5valueIiEEEEEEEEEEEE10hipError_tPvRmT3_T4_T5_T6_T7_T9_mT8_P12ihipStream_tbDpT10_ENKUlT_T0_E_clISt17integral_constantIbLb1EES1K_EEDaS1F_S1G_EUlS1F_E_NS1_11comp_targetILNS1_3genE2ELNS1_11target_archE906ELNS1_3gpuE6ELNS1_3repE0EEENS1_30default_config_static_selectorELNS0_4arch9wavefront6targetE0EEEvT1_.has_dyn_sized_stack, 0
	.set _ZN7rocprim17ROCPRIM_400000_NS6detail17trampoline_kernelINS0_14default_configENS1_25partition_config_selectorILNS1_17partition_subalgoE6EiNS0_10empty_typeEbEEZZNS1_14partition_implILS5_6ELb0ES3_mN6thrust23THRUST_200600_302600_NS6detail15normal_iteratorINSA_10device_ptrIiEEEEPS6_SG_NS0_5tupleIJSF_S6_EEENSH_IJSG_SG_EEES6_PlJNSB_9not_fun_tINSB_10functional5actorINSM_9compositeIJNSM_27transparent_binary_operatorINSA_8equal_toIvEEEENSN_INSM_8argumentILj0EEEEENSM_5valueIiEEEEEEEEEEEE10hipError_tPvRmT3_T4_T5_T6_T7_T9_mT8_P12ihipStream_tbDpT10_ENKUlT_T0_E_clISt17integral_constantIbLb1EES1K_EEDaS1F_S1G_EUlS1F_E_NS1_11comp_targetILNS1_3genE2ELNS1_11target_archE906ELNS1_3gpuE6ELNS1_3repE0EEENS1_30default_config_static_selectorELNS0_4arch9wavefront6targetE0EEEvT1_.has_recursion, 0
	.set _ZN7rocprim17ROCPRIM_400000_NS6detail17trampoline_kernelINS0_14default_configENS1_25partition_config_selectorILNS1_17partition_subalgoE6EiNS0_10empty_typeEbEEZZNS1_14partition_implILS5_6ELb0ES3_mN6thrust23THRUST_200600_302600_NS6detail15normal_iteratorINSA_10device_ptrIiEEEEPS6_SG_NS0_5tupleIJSF_S6_EEENSH_IJSG_SG_EEES6_PlJNSB_9not_fun_tINSB_10functional5actorINSM_9compositeIJNSM_27transparent_binary_operatorINSA_8equal_toIvEEEENSN_INSM_8argumentILj0EEEEENSM_5valueIiEEEEEEEEEEEE10hipError_tPvRmT3_T4_T5_T6_T7_T9_mT8_P12ihipStream_tbDpT10_ENKUlT_T0_E_clISt17integral_constantIbLb1EES1K_EEDaS1F_S1G_EUlS1F_E_NS1_11comp_targetILNS1_3genE2ELNS1_11target_archE906ELNS1_3gpuE6ELNS1_3repE0EEENS1_30default_config_static_selectorELNS0_4arch9wavefront6targetE0EEEvT1_.has_indirect_call, 0
	.section	.AMDGPU.csdata,"",@progbits
; Kernel info:
; codeLenInByte = 0
; TotalNumSgprs: 0
; NumVgprs: 0
; ScratchSize: 0
; MemoryBound: 0
; FloatMode: 240
; IeeeMode: 1
; LDSByteSize: 0 bytes/workgroup (compile time only)
; SGPRBlocks: 0
; VGPRBlocks: 0
; NumSGPRsForWavesPerEU: 1
; NumVGPRsForWavesPerEU: 1
; Occupancy: 16
; WaveLimiterHint : 0
; COMPUTE_PGM_RSRC2:SCRATCH_EN: 0
; COMPUTE_PGM_RSRC2:USER_SGPR: 2
; COMPUTE_PGM_RSRC2:TRAP_HANDLER: 0
; COMPUTE_PGM_RSRC2:TGID_X_EN: 1
; COMPUTE_PGM_RSRC2:TGID_Y_EN: 0
; COMPUTE_PGM_RSRC2:TGID_Z_EN: 0
; COMPUTE_PGM_RSRC2:TIDIG_COMP_CNT: 0
	.section	.text._ZN7rocprim17ROCPRIM_400000_NS6detail17trampoline_kernelINS0_14default_configENS1_25partition_config_selectorILNS1_17partition_subalgoE6EiNS0_10empty_typeEbEEZZNS1_14partition_implILS5_6ELb0ES3_mN6thrust23THRUST_200600_302600_NS6detail15normal_iteratorINSA_10device_ptrIiEEEEPS6_SG_NS0_5tupleIJSF_S6_EEENSH_IJSG_SG_EEES6_PlJNSB_9not_fun_tINSB_10functional5actorINSM_9compositeIJNSM_27transparent_binary_operatorINSA_8equal_toIvEEEENSN_INSM_8argumentILj0EEEEENSM_5valueIiEEEEEEEEEEEE10hipError_tPvRmT3_T4_T5_T6_T7_T9_mT8_P12ihipStream_tbDpT10_ENKUlT_T0_E_clISt17integral_constantIbLb1EES1K_EEDaS1F_S1G_EUlS1F_E_NS1_11comp_targetILNS1_3genE10ELNS1_11target_archE1200ELNS1_3gpuE4ELNS1_3repE0EEENS1_30default_config_static_selectorELNS0_4arch9wavefront6targetE0EEEvT1_,"axG",@progbits,_ZN7rocprim17ROCPRIM_400000_NS6detail17trampoline_kernelINS0_14default_configENS1_25partition_config_selectorILNS1_17partition_subalgoE6EiNS0_10empty_typeEbEEZZNS1_14partition_implILS5_6ELb0ES3_mN6thrust23THRUST_200600_302600_NS6detail15normal_iteratorINSA_10device_ptrIiEEEEPS6_SG_NS0_5tupleIJSF_S6_EEENSH_IJSG_SG_EEES6_PlJNSB_9not_fun_tINSB_10functional5actorINSM_9compositeIJNSM_27transparent_binary_operatorINSA_8equal_toIvEEEENSN_INSM_8argumentILj0EEEEENSM_5valueIiEEEEEEEEEEEE10hipError_tPvRmT3_T4_T5_T6_T7_T9_mT8_P12ihipStream_tbDpT10_ENKUlT_T0_E_clISt17integral_constantIbLb1EES1K_EEDaS1F_S1G_EUlS1F_E_NS1_11comp_targetILNS1_3genE10ELNS1_11target_archE1200ELNS1_3gpuE4ELNS1_3repE0EEENS1_30default_config_static_selectorELNS0_4arch9wavefront6targetE0EEEvT1_,comdat
	.protected	_ZN7rocprim17ROCPRIM_400000_NS6detail17trampoline_kernelINS0_14default_configENS1_25partition_config_selectorILNS1_17partition_subalgoE6EiNS0_10empty_typeEbEEZZNS1_14partition_implILS5_6ELb0ES3_mN6thrust23THRUST_200600_302600_NS6detail15normal_iteratorINSA_10device_ptrIiEEEEPS6_SG_NS0_5tupleIJSF_S6_EEENSH_IJSG_SG_EEES6_PlJNSB_9not_fun_tINSB_10functional5actorINSM_9compositeIJNSM_27transparent_binary_operatorINSA_8equal_toIvEEEENSN_INSM_8argumentILj0EEEEENSM_5valueIiEEEEEEEEEEEE10hipError_tPvRmT3_T4_T5_T6_T7_T9_mT8_P12ihipStream_tbDpT10_ENKUlT_T0_E_clISt17integral_constantIbLb1EES1K_EEDaS1F_S1G_EUlS1F_E_NS1_11comp_targetILNS1_3genE10ELNS1_11target_archE1200ELNS1_3gpuE4ELNS1_3repE0EEENS1_30default_config_static_selectorELNS0_4arch9wavefront6targetE0EEEvT1_ ; -- Begin function _ZN7rocprim17ROCPRIM_400000_NS6detail17trampoline_kernelINS0_14default_configENS1_25partition_config_selectorILNS1_17partition_subalgoE6EiNS0_10empty_typeEbEEZZNS1_14partition_implILS5_6ELb0ES3_mN6thrust23THRUST_200600_302600_NS6detail15normal_iteratorINSA_10device_ptrIiEEEEPS6_SG_NS0_5tupleIJSF_S6_EEENSH_IJSG_SG_EEES6_PlJNSB_9not_fun_tINSB_10functional5actorINSM_9compositeIJNSM_27transparent_binary_operatorINSA_8equal_toIvEEEENSN_INSM_8argumentILj0EEEEENSM_5valueIiEEEEEEEEEEEE10hipError_tPvRmT3_T4_T5_T6_T7_T9_mT8_P12ihipStream_tbDpT10_ENKUlT_T0_E_clISt17integral_constantIbLb1EES1K_EEDaS1F_S1G_EUlS1F_E_NS1_11comp_targetILNS1_3genE10ELNS1_11target_archE1200ELNS1_3gpuE4ELNS1_3repE0EEENS1_30default_config_static_selectorELNS0_4arch9wavefront6targetE0EEEvT1_
	.globl	_ZN7rocprim17ROCPRIM_400000_NS6detail17trampoline_kernelINS0_14default_configENS1_25partition_config_selectorILNS1_17partition_subalgoE6EiNS0_10empty_typeEbEEZZNS1_14partition_implILS5_6ELb0ES3_mN6thrust23THRUST_200600_302600_NS6detail15normal_iteratorINSA_10device_ptrIiEEEEPS6_SG_NS0_5tupleIJSF_S6_EEENSH_IJSG_SG_EEES6_PlJNSB_9not_fun_tINSB_10functional5actorINSM_9compositeIJNSM_27transparent_binary_operatorINSA_8equal_toIvEEEENSN_INSM_8argumentILj0EEEEENSM_5valueIiEEEEEEEEEEEE10hipError_tPvRmT3_T4_T5_T6_T7_T9_mT8_P12ihipStream_tbDpT10_ENKUlT_T0_E_clISt17integral_constantIbLb1EES1K_EEDaS1F_S1G_EUlS1F_E_NS1_11comp_targetILNS1_3genE10ELNS1_11target_archE1200ELNS1_3gpuE4ELNS1_3repE0EEENS1_30default_config_static_selectorELNS0_4arch9wavefront6targetE0EEEvT1_
	.p2align	8
	.type	_ZN7rocprim17ROCPRIM_400000_NS6detail17trampoline_kernelINS0_14default_configENS1_25partition_config_selectorILNS1_17partition_subalgoE6EiNS0_10empty_typeEbEEZZNS1_14partition_implILS5_6ELb0ES3_mN6thrust23THRUST_200600_302600_NS6detail15normal_iteratorINSA_10device_ptrIiEEEEPS6_SG_NS0_5tupleIJSF_S6_EEENSH_IJSG_SG_EEES6_PlJNSB_9not_fun_tINSB_10functional5actorINSM_9compositeIJNSM_27transparent_binary_operatorINSA_8equal_toIvEEEENSN_INSM_8argumentILj0EEEEENSM_5valueIiEEEEEEEEEEEE10hipError_tPvRmT3_T4_T5_T6_T7_T9_mT8_P12ihipStream_tbDpT10_ENKUlT_T0_E_clISt17integral_constantIbLb1EES1K_EEDaS1F_S1G_EUlS1F_E_NS1_11comp_targetILNS1_3genE10ELNS1_11target_archE1200ELNS1_3gpuE4ELNS1_3repE0EEENS1_30default_config_static_selectorELNS0_4arch9wavefront6targetE0EEEvT1_,@function
_ZN7rocprim17ROCPRIM_400000_NS6detail17trampoline_kernelINS0_14default_configENS1_25partition_config_selectorILNS1_17partition_subalgoE6EiNS0_10empty_typeEbEEZZNS1_14partition_implILS5_6ELb0ES3_mN6thrust23THRUST_200600_302600_NS6detail15normal_iteratorINSA_10device_ptrIiEEEEPS6_SG_NS0_5tupleIJSF_S6_EEENSH_IJSG_SG_EEES6_PlJNSB_9not_fun_tINSB_10functional5actorINSM_9compositeIJNSM_27transparent_binary_operatorINSA_8equal_toIvEEEENSN_INSM_8argumentILj0EEEEENSM_5valueIiEEEEEEEEEEEE10hipError_tPvRmT3_T4_T5_T6_T7_T9_mT8_P12ihipStream_tbDpT10_ENKUlT_T0_E_clISt17integral_constantIbLb1EES1K_EEDaS1F_S1G_EUlS1F_E_NS1_11comp_targetILNS1_3genE10ELNS1_11target_archE1200ELNS1_3gpuE4ELNS1_3repE0EEENS1_30default_config_static_selectorELNS0_4arch9wavefront6targetE0EEEvT1_: ; @_ZN7rocprim17ROCPRIM_400000_NS6detail17trampoline_kernelINS0_14default_configENS1_25partition_config_selectorILNS1_17partition_subalgoE6EiNS0_10empty_typeEbEEZZNS1_14partition_implILS5_6ELb0ES3_mN6thrust23THRUST_200600_302600_NS6detail15normal_iteratorINSA_10device_ptrIiEEEEPS6_SG_NS0_5tupleIJSF_S6_EEENSH_IJSG_SG_EEES6_PlJNSB_9not_fun_tINSB_10functional5actorINSM_9compositeIJNSM_27transparent_binary_operatorINSA_8equal_toIvEEEENSN_INSM_8argumentILj0EEEEENSM_5valueIiEEEEEEEEEEEE10hipError_tPvRmT3_T4_T5_T6_T7_T9_mT8_P12ihipStream_tbDpT10_ENKUlT_T0_E_clISt17integral_constantIbLb1EES1K_EEDaS1F_S1G_EUlS1F_E_NS1_11comp_targetILNS1_3genE10ELNS1_11target_archE1200ELNS1_3gpuE4ELNS1_3repE0EEENS1_30default_config_static_selectorELNS0_4arch9wavefront6targetE0EEEvT1_
; %bb.0:
	s_endpgm
	.section	.rodata,"a",@progbits
	.p2align	6, 0x0
	.amdhsa_kernel _ZN7rocprim17ROCPRIM_400000_NS6detail17trampoline_kernelINS0_14default_configENS1_25partition_config_selectorILNS1_17partition_subalgoE6EiNS0_10empty_typeEbEEZZNS1_14partition_implILS5_6ELb0ES3_mN6thrust23THRUST_200600_302600_NS6detail15normal_iteratorINSA_10device_ptrIiEEEEPS6_SG_NS0_5tupleIJSF_S6_EEENSH_IJSG_SG_EEES6_PlJNSB_9not_fun_tINSB_10functional5actorINSM_9compositeIJNSM_27transparent_binary_operatorINSA_8equal_toIvEEEENSN_INSM_8argumentILj0EEEEENSM_5valueIiEEEEEEEEEEEE10hipError_tPvRmT3_T4_T5_T6_T7_T9_mT8_P12ihipStream_tbDpT10_ENKUlT_T0_E_clISt17integral_constantIbLb1EES1K_EEDaS1F_S1G_EUlS1F_E_NS1_11comp_targetILNS1_3genE10ELNS1_11target_archE1200ELNS1_3gpuE4ELNS1_3repE0EEENS1_30default_config_static_selectorELNS0_4arch9wavefront6targetE0EEEvT1_
		.amdhsa_group_segment_fixed_size 0
		.amdhsa_private_segment_fixed_size 0
		.amdhsa_kernarg_size 128
		.amdhsa_user_sgpr_count 2
		.amdhsa_user_sgpr_dispatch_ptr 0
		.amdhsa_user_sgpr_queue_ptr 0
		.amdhsa_user_sgpr_kernarg_segment_ptr 1
		.amdhsa_user_sgpr_dispatch_id 0
		.amdhsa_user_sgpr_private_segment_size 0
		.amdhsa_wavefront_size32 1
		.amdhsa_uses_dynamic_stack 0
		.amdhsa_enable_private_segment 0
		.amdhsa_system_sgpr_workgroup_id_x 1
		.amdhsa_system_sgpr_workgroup_id_y 0
		.amdhsa_system_sgpr_workgroup_id_z 0
		.amdhsa_system_sgpr_workgroup_info 0
		.amdhsa_system_vgpr_workitem_id 0
		.amdhsa_next_free_vgpr 1
		.amdhsa_next_free_sgpr 1
		.amdhsa_reserve_vcc 0
		.amdhsa_float_round_mode_32 0
		.amdhsa_float_round_mode_16_64 0
		.amdhsa_float_denorm_mode_32 3
		.amdhsa_float_denorm_mode_16_64 3
		.amdhsa_fp16_overflow 0
		.amdhsa_workgroup_processor_mode 1
		.amdhsa_memory_ordered 1
		.amdhsa_forward_progress 1
		.amdhsa_inst_pref_size 1
		.amdhsa_round_robin_scheduling 0
		.amdhsa_exception_fp_ieee_invalid_op 0
		.amdhsa_exception_fp_denorm_src 0
		.amdhsa_exception_fp_ieee_div_zero 0
		.amdhsa_exception_fp_ieee_overflow 0
		.amdhsa_exception_fp_ieee_underflow 0
		.amdhsa_exception_fp_ieee_inexact 0
		.amdhsa_exception_int_div_zero 0
	.end_amdhsa_kernel
	.section	.text._ZN7rocprim17ROCPRIM_400000_NS6detail17trampoline_kernelINS0_14default_configENS1_25partition_config_selectorILNS1_17partition_subalgoE6EiNS0_10empty_typeEbEEZZNS1_14partition_implILS5_6ELb0ES3_mN6thrust23THRUST_200600_302600_NS6detail15normal_iteratorINSA_10device_ptrIiEEEEPS6_SG_NS0_5tupleIJSF_S6_EEENSH_IJSG_SG_EEES6_PlJNSB_9not_fun_tINSB_10functional5actorINSM_9compositeIJNSM_27transparent_binary_operatorINSA_8equal_toIvEEEENSN_INSM_8argumentILj0EEEEENSM_5valueIiEEEEEEEEEEEE10hipError_tPvRmT3_T4_T5_T6_T7_T9_mT8_P12ihipStream_tbDpT10_ENKUlT_T0_E_clISt17integral_constantIbLb1EES1K_EEDaS1F_S1G_EUlS1F_E_NS1_11comp_targetILNS1_3genE10ELNS1_11target_archE1200ELNS1_3gpuE4ELNS1_3repE0EEENS1_30default_config_static_selectorELNS0_4arch9wavefront6targetE0EEEvT1_,"axG",@progbits,_ZN7rocprim17ROCPRIM_400000_NS6detail17trampoline_kernelINS0_14default_configENS1_25partition_config_selectorILNS1_17partition_subalgoE6EiNS0_10empty_typeEbEEZZNS1_14partition_implILS5_6ELb0ES3_mN6thrust23THRUST_200600_302600_NS6detail15normal_iteratorINSA_10device_ptrIiEEEEPS6_SG_NS0_5tupleIJSF_S6_EEENSH_IJSG_SG_EEES6_PlJNSB_9not_fun_tINSB_10functional5actorINSM_9compositeIJNSM_27transparent_binary_operatorINSA_8equal_toIvEEEENSN_INSM_8argumentILj0EEEEENSM_5valueIiEEEEEEEEEEEE10hipError_tPvRmT3_T4_T5_T6_T7_T9_mT8_P12ihipStream_tbDpT10_ENKUlT_T0_E_clISt17integral_constantIbLb1EES1K_EEDaS1F_S1G_EUlS1F_E_NS1_11comp_targetILNS1_3genE10ELNS1_11target_archE1200ELNS1_3gpuE4ELNS1_3repE0EEENS1_30default_config_static_selectorELNS0_4arch9wavefront6targetE0EEEvT1_,comdat
.Lfunc_end224:
	.size	_ZN7rocprim17ROCPRIM_400000_NS6detail17trampoline_kernelINS0_14default_configENS1_25partition_config_selectorILNS1_17partition_subalgoE6EiNS0_10empty_typeEbEEZZNS1_14partition_implILS5_6ELb0ES3_mN6thrust23THRUST_200600_302600_NS6detail15normal_iteratorINSA_10device_ptrIiEEEEPS6_SG_NS0_5tupleIJSF_S6_EEENSH_IJSG_SG_EEES6_PlJNSB_9not_fun_tINSB_10functional5actorINSM_9compositeIJNSM_27transparent_binary_operatorINSA_8equal_toIvEEEENSN_INSM_8argumentILj0EEEEENSM_5valueIiEEEEEEEEEEEE10hipError_tPvRmT3_T4_T5_T6_T7_T9_mT8_P12ihipStream_tbDpT10_ENKUlT_T0_E_clISt17integral_constantIbLb1EES1K_EEDaS1F_S1G_EUlS1F_E_NS1_11comp_targetILNS1_3genE10ELNS1_11target_archE1200ELNS1_3gpuE4ELNS1_3repE0EEENS1_30default_config_static_selectorELNS0_4arch9wavefront6targetE0EEEvT1_, .Lfunc_end224-_ZN7rocprim17ROCPRIM_400000_NS6detail17trampoline_kernelINS0_14default_configENS1_25partition_config_selectorILNS1_17partition_subalgoE6EiNS0_10empty_typeEbEEZZNS1_14partition_implILS5_6ELb0ES3_mN6thrust23THRUST_200600_302600_NS6detail15normal_iteratorINSA_10device_ptrIiEEEEPS6_SG_NS0_5tupleIJSF_S6_EEENSH_IJSG_SG_EEES6_PlJNSB_9not_fun_tINSB_10functional5actorINSM_9compositeIJNSM_27transparent_binary_operatorINSA_8equal_toIvEEEENSN_INSM_8argumentILj0EEEEENSM_5valueIiEEEEEEEEEEEE10hipError_tPvRmT3_T4_T5_T6_T7_T9_mT8_P12ihipStream_tbDpT10_ENKUlT_T0_E_clISt17integral_constantIbLb1EES1K_EEDaS1F_S1G_EUlS1F_E_NS1_11comp_targetILNS1_3genE10ELNS1_11target_archE1200ELNS1_3gpuE4ELNS1_3repE0EEENS1_30default_config_static_selectorELNS0_4arch9wavefront6targetE0EEEvT1_
                                        ; -- End function
	.set _ZN7rocprim17ROCPRIM_400000_NS6detail17trampoline_kernelINS0_14default_configENS1_25partition_config_selectorILNS1_17partition_subalgoE6EiNS0_10empty_typeEbEEZZNS1_14partition_implILS5_6ELb0ES3_mN6thrust23THRUST_200600_302600_NS6detail15normal_iteratorINSA_10device_ptrIiEEEEPS6_SG_NS0_5tupleIJSF_S6_EEENSH_IJSG_SG_EEES6_PlJNSB_9not_fun_tINSB_10functional5actorINSM_9compositeIJNSM_27transparent_binary_operatorINSA_8equal_toIvEEEENSN_INSM_8argumentILj0EEEEENSM_5valueIiEEEEEEEEEEEE10hipError_tPvRmT3_T4_T5_T6_T7_T9_mT8_P12ihipStream_tbDpT10_ENKUlT_T0_E_clISt17integral_constantIbLb1EES1K_EEDaS1F_S1G_EUlS1F_E_NS1_11comp_targetILNS1_3genE10ELNS1_11target_archE1200ELNS1_3gpuE4ELNS1_3repE0EEENS1_30default_config_static_selectorELNS0_4arch9wavefront6targetE0EEEvT1_.num_vgpr, 0
	.set _ZN7rocprim17ROCPRIM_400000_NS6detail17trampoline_kernelINS0_14default_configENS1_25partition_config_selectorILNS1_17partition_subalgoE6EiNS0_10empty_typeEbEEZZNS1_14partition_implILS5_6ELb0ES3_mN6thrust23THRUST_200600_302600_NS6detail15normal_iteratorINSA_10device_ptrIiEEEEPS6_SG_NS0_5tupleIJSF_S6_EEENSH_IJSG_SG_EEES6_PlJNSB_9not_fun_tINSB_10functional5actorINSM_9compositeIJNSM_27transparent_binary_operatorINSA_8equal_toIvEEEENSN_INSM_8argumentILj0EEEEENSM_5valueIiEEEEEEEEEEEE10hipError_tPvRmT3_T4_T5_T6_T7_T9_mT8_P12ihipStream_tbDpT10_ENKUlT_T0_E_clISt17integral_constantIbLb1EES1K_EEDaS1F_S1G_EUlS1F_E_NS1_11comp_targetILNS1_3genE10ELNS1_11target_archE1200ELNS1_3gpuE4ELNS1_3repE0EEENS1_30default_config_static_selectorELNS0_4arch9wavefront6targetE0EEEvT1_.num_agpr, 0
	.set _ZN7rocprim17ROCPRIM_400000_NS6detail17trampoline_kernelINS0_14default_configENS1_25partition_config_selectorILNS1_17partition_subalgoE6EiNS0_10empty_typeEbEEZZNS1_14partition_implILS5_6ELb0ES3_mN6thrust23THRUST_200600_302600_NS6detail15normal_iteratorINSA_10device_ptrIiEEEEPS6_SG_NS0_5tupleIJSF_S6_EEENSH_IJSG_SG_EEES6_PlJNSB_9not_fun_tINSB_10functional5actorINSM_9compositeIJNSM_27transparent_binary_operatorINSA_8equal_toIvEEEENSN_INSM_8argumentILj0EEEEENSM_5valueIiEEEEEEEEEEEE10hipError_tPvRmT3_T4_T5_T6_T7_T9_mT8_P12ihipStream_tbDpT10_ENKUlT_T0_E_clISt17integral_constantIbLb1EES1K_EEDaS1F_S1G_EUlS1F_E_NS1_11comp_targetILNS1_3genE10ELNS1_11target_archE1200ELNS1_3gpuE4ELNS1_3repE0EEENS1_30default_config_static_selectorELNS0_4arch9wavefront6targetE0EEEvT1_.numbered_sgpr, 0
	.set _ZN7rocprim17ROCPRIM_400000_NS6detail17trampoline_kernelINS0_14default_configENS1_25partition_config_selectorILNS1_17partition_subalgoE6EiNS0_10empty_typeEbEEZZNS1_14partition_implILS5_6ELb0ES3_mN6thrust23THRUST_200600_302600_NS6detail15normal_iteratorINSA_10device_ptrIiEEEEPS6_SG_NS0_5tupleIJSF_S6_EEENSH_IJSG_SG_EEES6_PlJNSB_9not_fun_tINSB_10functional5actorINSM_9compositeIJNSM_27transparent_binary_operatorINSA_8equal_toIvEEEENSN_INSM_8argumentILj0EEEEENSM_5valueIiEEEEEEEEEEEE10hipError_tPvRmT3_T4_T5_T6_T7_T9_mT8_P12ihipStream_tbDpT10_ENKUlT_T0_E_clISt17integral_constantIbLb1EES1K_EEDaS1F_S1G_EUlS1F_E_NS1_11comp_targetILNS1_3genE10ELNS1_11target_archE1200ELNS1_3gpuE4ELNS1_3repE0EEENS1_30default_config_static_selectorELNS0_4arch9wavefront6targetE0EEEvT1_.num_named_barrier, 0
	.set _ZN7rocprim17ROCPRIM_400000_NS6detail17trampoline_kernelINS0_14default_configENS1_25partition_config_selectorILNS1_17partition_subalgoE6EiNS0_10empty_typeEbEEZZNS1_14partition_implILS5_6ELb0ES3_mN6thrust23THRUST_200600_302600_NS6detail15normal_iteratorINSA_10device_ptrIiEEEEPS6_SG_NS0_5tupleIJSF_S6_EEENSH_IJSG_SG_EEES6_PlJNSB_9not_fun_tINSB_10functional5actorINSM_9compositeIJNSM_27transparent_binary_operatorINSA_8equal_toIvEEEENSN_INSM_8argumentILj0EEEEENSM_5valueIiEEEEEEEEEEEE10hipError_tPvRmT3_T4_T5_T6_T7_T9_mT8_P12ihipStream_tbDpT10_ENKUlT_T0_E_clISt17integral_constantIbLb1EES1K_EEDaS1F_S1G_EUlS1F_E_NS1_11comp_targetILNS1_3genE10ELNS1_11target_archE1200ELNS1_3gpuE4ELNS1_3repE0EEENS1_30default_config_static_selectorELNS0_4arch9wavefront6targetE0EEEvT1_.private_seg_size, 0
	.set _ZN7rocprim17ROCPRIM_400000_NS6detail17trampoline_kernelINS0_14default_configENS1_25partition_config_selectorILNS1_17partition_subalgoE6EiNS0_10empty_typeEbEEZZNS1_14partition_implILS5_6ELb0ES3_mN6thrust23THRUST_200600_302600_NS6detail15normal_iteratorINSA_10device_ptrIiEEEEPS6_SG_NS0_5tupleIJSF_S6_EEENSH_IJSG_SG_EEES6_PlJNSB_9not_fun_tINSB_10functional5actorINSM_9compositeIJNSM_27transparent_binary_operatorINSA_8equal_toIvEEEENSN_INSM_8argumentILj0EEEEENSM_5valueIiEEEEEEEEEEEE10hipError_tPvRmT3_T4_T5_T6_T7_T9_mT8_P12ihipStream_tbDpT10_ENKUlT_T0_E_clISt17integral_constantIbLb1EES1K_EEDaS1F_S1G_EUlS1F_E_NS1_11comp_targetILNS1_3genE10ELNS1_11target_archE1200ELNS1_3gpuE4ELNS1_3repE0EEENS1_30default_config_static_selectorELNS0_4arch9wavefront6targetE0EEEvT1_.uses_vcc, 0
	.set _ZN7rocprim17ROCPRIM_400000_NS6detail17trampoline_kernelINS0_14default_configENS1_25partition_config_selectorILNS1_17partition_subalgoE6EiNS0_10empty_typeEbEEZZNS1_14partition_implILS5_6ELb0ES3_mN6thrust23THRUST_200600_302600_NS6detail15normal_iteratorINSA_10device_ptrIiEEEEPS6_SG_NS0_5tupleIJSF_S6_EEENSH_IJSG_SG_EEES6_PlJNSB_9not_fun_tINSB_10functional5actorINSM_9compositeIJNSM_27transparent_binary_operatorINSA_8equal_toIvEEEENSN_INSM_8argumentILj0EEEEENSM_5valueIiEEEEEEEEEEEE10hipError_tPvRmT3_T4_T5_T6_T7_T9_mT8_P12ihipStream_tbDpT10_ENKUlT_T0_E_clISt17integral_constantIbLb1EES1K_EEDaS1F_S1G_EUlS1F_E_NS1_11comp_targetILNS1_3genE10ELNS1_11target_archE1200ELNS1_3gpuE4ELNS1_3repE0EEENS1_30default_config_static_selectorELNS0_4arch9wavefront6targetE0EEEvT1_.uses_flat_scratch, 0
	.set _ZN7rocprim17ROCPRIM_400000_NS6detail17trampoline_kernelINS0_14default_configENS1_25partition_config_selectorILNS1_17partition_subalgoE6EiNS0_10empty_typeEbEEZZNS1_14partition_implILS5_6ELb0ES3_mN6thrust23THRUST_200600_302600_NS6detail15normal_iteratorINSA_10device_ptrIiEEEEPS6_SG_NS0_5tupleIJSF_S6_EEENSH_IJSG_SG_EEES6_PlJNSB_9not_fun_tINSB_10functional5actorINSM_9compositeIJNSM_27transparent_binary_operatorINSA_8equal_toIvEEEENSN_INSM_8argumentILj0EEEEENSM_5valueIiEEEEEEEEEEEE10hipError_tPvRmT3_T4_T5_T6_T7_T9_mT8_P12ihipStream_tbDpT10_ENKUlT_T0_E_clISt17integral_constantIbLb1EES1K_EEDaS1F_S1G_EUlS1F_E_NS1_11comp_targetILNS1_3genE10ELNS1_11target_archE1200ELNS1_3gpuE4ELNS1_3repE0EEENS1_30default_config_static_selectorELNS0_4arch9wavefront6targetE0EEEvT1_.has_dyn_sized_stack, 0
	.set _ZN7rocprim17ROCPRIM_400000_NS6detail17trampoline_kernelINS0_14default_configENS1_25partition_config_selectorILNS1_17partition_subalgoE6EiNS0_10empty_typeEbEEZZNS1_14partition_implILS5_6ELb0ES3_mN6thrust23THRUST_200600_302600_NS6detail15normal_iteratorINSA_10device_ptrIiEEEEPS6_SG_NS0_5tupleIJSF_S6_EEENSH_IJSG_SG_EEES6_PlJNSB_9not_fun_tINSB_10functional5actorINSM_9compositeIJNSM_27transparent_binary_operatorINSA_8equal_toIvEEEENSN_INSM_8argumentILj0EEEEENSM_5valueIiEEEEEEEEEEEE10hipError_tPvRmT3_T4_T5_T6_T7_T9_mT8_P12ihipStream_tbDpT10_ENKUlT_T0_E_clISt17integral_constantIbLb1EES1K_EEDaS1F_S1G_EUlS1F_E_NS1_11comp_targetILNS1_3genE10ELNS1_11target_archE1200ELNS1_3gpuE4ELNS1_3repE0EEENS1_30default_config_static_selectorELNS0_4arch9wavefront6targetE0EEEvT1_.has_recursion, 0
	.set _ZN7rocprim17ROCPRIM_400000_NS6detail17trampoline_kernelINS0_14default_configENS1_25partition_config_selectorILNS1_17partition_subalgoE6EiNS0_10empty_typeEbEEZZNS1_14partition_implILS5_6ELb0ES3_mN6thrust23THRUST_200600_302600_NS6detail15normal_iteratorINSA_10device_ptrIiEEEEPS6_SG_NS0_5tupleIJSF_S6_EEENSH_IJSG_SG_EEES6_PlJNSB_9not_fun_tINSB_10functional5actorINSM_9compositeIJNSM_27transparent_binary_operatorINSA_8equal_toIvEEEENSN_INSM_8argumentILj0EEEEENSM_5valueIiEEEEEEEEEEEE10hipError_tPvRmT3_T4_T5_T6_T7_T9_mT8_P12ihipStream_tbDpT10_ENKUlT_T0_E_clISt17integral_constantIbLb1EES1K_EEDaS1F_S1G_EUlS1F_E_NS1_11comp_targetILNS1_3genE10ELNS1_11target_archE1200ELNS1_3gpuE4ELNS1_3repE0EEENS1_30default_config_static_selectorELNS0_4arch9wavefront6targetE0EEEvT1_.has_indirect_call, 0
	.section	.AMDGPU.csdata,"",@progbits
; Kernel info:
; codeLenInByte = 4
; TotalNumSgprs: 0
; NumVgprs: 0
; ScratchSize: 0
; MemoryBound: 0
; FloatMode: 240
; IeeeMode: 1
; LDSByteSize: 0 bytes/workgroup (compile time only)
; SGPRBlocks: 0
; VGPRBlocks: 0
; NumSGPRsForWavesPerEU: 1
; NumVGPRsForWavesPerEU: 1
; Occupancy: 16
; WaveLimiterHint : 0
; COMPUTE_PGM_RSRC2:SCRATCH_EN: 0
; COMPUTE_PGM_RSRC2:USER_SGPR: 2
; COMPUTE_PGM_RSRC2:TRAP_HANDLER: 0
; COMPUTE_PGM_RSRC2:TGID_X_EN: 1
; COMPUTE_PGM_RSRC2:TGID_Y_EN: 0
; COMPUTE_PGM_RSRC2:TGID_Z_EN: 0
; COMPUTE_PGM_RSRC2:TIDIG_COMP_CNT: 0
	.section	.text._ZN7rocprim17ROCPRIM_400000_NS6detail17trampoline_kernelINS0_14default_configENS1_25partition_config_selectorILNS1_17partition_subalgoE6EiNS0_10empty_typeEbEEZZNS1_14partition_implILS5_6ELb0ES3_mN6thrust23THRUST_200600_302600_NS6detail15normal_iteratorINSA_10device_ptrIiEEEEPS6_SG_NS0_5tupleIJSF_S6_EEENSH_IJSG_SG_EEES6_PlJNSB_9not_fun_tINSB_10functional5actorINSM_9compositeIJNSM_27transparent_binary_operatorINSA_8equal_toIvEEEENSN_INSM_8argumentILj0EEEEENSM_5valueIiEEEEEEEEEEEE10hipError_tPvRmT3_T4_T5_T6_T7_T9_mT8_P12ihipStream_tbDpT10_ENKUlT_T0_E_clISt17integral_constantIbLb1EES1K_EEDaS1F_S1G_EUlS1F_E_NS1_11comp_targetILNS1_3genE9ELNS1_11target_archE1100ELNS1_3gpuE3ELNS1_3repE0EEENS1_30default_config_static_selectorELNS0_4arch9wavefront6targetE0EEEvT1_,"axG",@progbits,_ZN7rocprim17ROCPRIM_400000_NS6detail17trampoline_kernelINS0_14default_configENS1_25partition_config_selectorILNS1_17partition_subalgoE6EiNS0_10empty_typeEbEEZZNS1_14partition_implILS5_6ELb0ES3_mN6thrust23THRUST_200600_302600_NS6detail15normal_iteratorINSA_10device_ptrIiEEEEPS6_SG_NS0_5tupleIJSF_S6_EEENSH_IJSG_SG_EEES6_PlJNSB_9not_fun_tINSB_10functional5actorINSM_9compositeIJNSM_27transparent_binary_operatorINSA_8equal_toIvEEEENSN_INSM_8argumentILj0EEEEENSM_5valueIiEEEEEEEEEEEE10hipError_tPvRmT3_T4_T5_T6_T7_T9_mT8_P12ihipStream_tbDpT10_ENKUlT_T0_E_clISt17integral_constantIbLb1EES1K_EEDaS1F_S1G_EUlS1F_E_NS1_11comp_targetILNS1_3genE9ELNS1_11target_archE1100ELNS1_3gpuE3ELNS1_3repE0EEENS1_30default_config_static_selectorELNS0_4arch9wavefront6targetE0EEEvT1_,comdat
	.protected	_ZN7rocprim17ROCPRIM_400000_NS6detail17trampoline_kernelINS0_14default_configENS1_25partition_config_selectorILNS1_17partition_subalgoE6EiNS0_10empty_typeEbEEZZNS1_14partition_implILS5_6ELb0ES3_mN6thrust23THRUST_200600_302600_NS6detail15normal_iteratorINSA_10device_ptrIiEEEEPS6_SG_NS0_5tupleIJSF_S6_EEENSH_IJSG_SG_EEES6_PlJNSB_9not_fun_tINSB_10functional5actorINSM_9compositeIJNSM_27transparent_binary_operatorINSA_8equal_toIvEEEENSN_INSM_8argumentILj0EEEEENSM_5valueIiEEEEEEEEEEEE10hipError_tPvRmT3_T4_T5_T6_T7_T9_mT8_P12ihipStream_tbDpT10_ENKUlT_T0_E_clISt17integral_constantIbLb1EES1K_EEDaS1F_S1G_EUlS1F_E_NS1_11comp_targetILNS1_3genE9ELNS1_11target_archE1100ELNS1_3gpuE3ELNS1_3repE0EEENS1_30default_config_static_selectorELNS0_4arch9wavefront6targetE0EEEvT1_ ; -- Begin function _ZN7rocprim17ROCPRIM_400000_NS6detail17trampoline_kernelINS0_14default_configENS1_25partition_config_selectorILNS1_17partition_subalgoE6EiNS0_10empty_typeEbEEZZNS1_14partition_implILS5_6ELb0ES3_mN6thrust23THRUST_200600_302600_NS6detail15normal_iteratorINSA_10device_ptrIiEEEEPS6_SG_NS0_5tupleIJSF_S6_EEENSH_IJSG_SG_EEES6_PlJNSB_9not_fun_tINSB_10functional5actorINSM_9compositeIJNSM_27transparent_binary_operatorINSA_8equal_toIvEEEENSN_INSM_8argumentILj0EEEEENSM_5valueIiEEEEEEEEEEEE10hipError_tPvRmT3_T4_T5_T6_T7_T9_mT8_P12ihipStream_tbDpT10_ENKUlT_T0_E_clISt17integral_constantIbLb1EES1K_EEDaS1F_S1G_EUlS1F_E_NS1_11comp_targetILNS1_3genE9ELNS1_11target_archE1100ELNS1_3gpuE3ELNS1_3repE0EEENS1_30default_config_static_selectorELNS0_4arch9wavefront6targetE0EEEvT1_
	.globl	_ZN7rocprim17ROCPRIM_400000_NS6detail17trampoline_kernelINS0_14default_configENS1_25partition_config_selectorILNS1_17partition_subalgoE6EiNS0_10empty_typeEbEEZZNS1_14partition_implILS5_6ELb0ES3_mN6thrust23THRUST_200600_302600_NS6detail15normal_iteratorINSA_10device_ptrIiEEEEPS6_SG_NS0_5tupleIJSF_S6_EEENSH_IJSG_SG_EEES6_PlJNSB_9not_fun_tINSB_10functional5actorINSM_9compositeIJNSM_27transparent_binary_operatorINSA_8equal_toIvEEEENSN_INSM_8argumentILj0EEEEENSM_5valueIiEEEEEEEEEEEE10hipError_tPvRmT3_T4_T5_T6_T7_T9_mT8_P12ihipStream_tbDpT10_ENKUlT_T0_E_clISt17integral_constantIbLb1EES1K_EEDaS1F_S1G_EUlS1F_E_NS1_11comp_targetILNS1_3genE9ELNS1_11target_archE1100ELNS1_3gpuE3ELNS1_3repE0EEENS1_30default_config_static_selectorELNS0_4arch9wavefront6targetE0EEEvT1_
	.p2align	8
	.type	_ZN7rocprim17ROCPRIM_400000_NS6detail17trampoline_kernelINS0_14default_configENS1_25partition_config_selectorILNS1_17partition_subalgoE6EiNS0_10empty_typeEbEEZZNS1_14partition_implILS5_6ELb0ES3_mN6thrust23THRUST_200600_302600_NS6detail15normal_iteratorINSA_10device_ptrIiEEEEPS6_SG_NS0_5tupleIJSF_S6_EEENSH_IJSG_SG_EEES6_PlJNSB_9not_fun_tINSB_10functional5actorINSM_9compositeIJNSM_27transparent_binary_operatorINSA_8equal_toIvEEEENSN_INSM_8argumentILj0EEEEENSM_5valueIiEEEEEEEEEEEE10hipError_tPvRmT3_T4_T5_T6_T7_T9_mT8_P12ihipStream_tbDpT10_ENKUlT_T0_E_clISt17integral_constantIbLb1EES1K_EEDaS1F_S1G_EUlS1F_E_NS1_11comp_targetILNS1_3genE9ELNS1_11target_archE1100ELNS1_3gpuE3ELNS1_3repE0EEENS1_30default_config_static_selectorELNS0_4arch9wavefront6targetE0EEEvT1_,@function
_ZN7rocprim17ROCPRIM_400000_NS6detail17trampoline_kernelINS0_14default_configENS1_25partition_config_selectorILNS1_17partition_subalgoE6EiNS0_10empty_typeEbEEZZNS1_14partition_implILS5_6ELb0ES3_mN6thrust23THRUST_200600_302600_NS6detail15normal_iteratorINSA_10device_ptrIiEEEEPS6_SG_NS0_5tupleIJSF_S6_EEENSH_IJSG_SG_EEES6_PlJNSB_9not_fun_tINSB_10functional5actorINSM_9compositeIJNSM_27transparent_binary_operatorINSA_8equal_toIvEEEENSN_INSM_8argumentILj0EEEEENSM_5valueIiEEEEEEEEEEEE10hipError_tPvRmT3_T4_T5_T6_T7_T9_mT8_P12ihipStream_tbDpT10_ENKUlT_T0_E_clISt17integral_constantIbLb1EES1K_EEDaS1F_S1G_EUlS1F_E_NS1_11comp_targetILNS1_3genE9ELNS1_11target_archE1100ELNS1_3gpuE3ELNS1_3repE0EEENS1_30default_config_static_selectorELNS0_4arch9wavefront6targetE0EEEvT1_: ; @_ZN7rocprim17ROCPRIM_400000_NS6detail17trampoline_kernelINS0_14default_configENS1_25partition_config_selectorILNS1_17partition_subalgoE6EiNS0_10empty_typeEbEEZZNS1_14partition_implILS5_6ELb0ES3_mN6thrust23THRUST_200600_302600_NS6detail15normal_iteratorINSA_10device_ptrIiEEEEPS6_SG_NS0_5tupleIJSF_S6_EEENSH_IJSG_SG_EEES6_PlJNSB_9not_fun_tINSB_10functional5actorINSM_9compositeIJNSM_27transparent_binary_operatorINSA_8equal_toIvEEEENSN_INSM_8argumentILj0EEEEENSM_5valueIiEEEEEEEEEEEE10hipError_tPvRmT3_T4_T5_T6_T7_T9_mT8_P12ihipStream_tbDpT10_ENKUlT_T0_E_clISt17integral_constantIbLb1EES1K_EEDaS1F_S1G_EUlS1F_E_NS1_11comp_targetILNS1_3genE9ELNS1_11target_archE1100ELNS1_3gpuE3ELNS1_3repE0EEENS1_30default_config_static_selectorELNS0_4arch9wavefront6targetE0EEEvT1_
; %bb.0:
	.section	.rodata,"a",@progbits
	.p2align	6, 0x0
	.amdhsa_kernel _ZN7rocprim17ROCPRIM_400000_NS6detail17trampoline_kernelINS0_14default_configENS1_25partition_config_selectorILNS1_17partition_subalgoE6EiNS0_10empty_typeEbEEZZNS1_14partition_implILS5_6ELb0ES3_mN6thrust23THRUST_200600_302600_NS6detail15normal_iteratorINSA_10device_ptrIiEEEEPS6_SG_NS0_5tupleIJSF_S6_EEENSH_IJSG_SG_EEES6_PlJNSB_9not_fun_tINSB_10functional5actorINSM_9compositeIJNSM_27transparent_binary_operatorINSA_8equal_toIvEEEENSN_INSM_8argumentILj0EEEEENSM_5valueIiEEEEEEEEEEEE10hipError_tPvRmT3_T4_T5_T6_T7_T9_mT8_P12ihipStream_tbDpT10_ENKUlT_T0_E_clISt17integral_constantIbLb1EES1K_EEDaS1F_S1G_EUlS1F_E_NS1_11comp_targetILNS1_3genE9ELNS1_11target_archE1100ELNS1_3gpuE3ELNS1_3repE0EEENS1_30default_config_static_selectorELNS0_4arch9wavefront6targetE0EEEvT1_
		.amdhsa_group_segment_fixed_size 0
		.amdhsa_private_segment_fixed_size 0
		.amdhsa_kernarg_size 128
		.amdhsa_user_sgpr_count 2
		.amdhsa_user_sgpr_dispatch_ptr 0
		.amdhsa_user_sgpr_queue_ptr 0
		.amdhsa_user_sgpr_kernarg_segment_ptr 1
		.amdhsa_user_sgpr_dispatch_id 0
		.amdhsa_user_sgpr_private_segment_size 0
		.amdhsa_wavefront_size32 1
		.amdhsa_uses_dynamic_stack 0
		.amdhsa_enable_private_segment 0
		.amdhsa_system_sgpr_workgroup_id_x 1
		.amdhsa_system_sgpr_workgroup_id_y 0
		.amdhsa_system_sgpr_workgroup_id_z 0
		.amdhsa_system_sgpr_workgroup_info 0
		.amdhsa_system_vgpr_workitem_id 0
		.amdhsa_next_free_vgpr 1
		.amdhsa_next_free_sgpr 1
		.amdhsa_reserve_vcc 0
		.amdhsa_float_round_mode_32 0
		.amdhsa_float_round_mode_16_64 0
		.amdhsa_float_denorm_mode_32 3
		.amdhsa_float_denorm_mode_16_64 3
		.amdhsa_fp16_overflow 0
		.amdhsa_workgroup_processor_mode 1
		.amdhsa_memory_ordered 1
		.amdhsa_forward_progress 1
		.amdhsa_inst_pref_size 0
		.amdhsa_round_robin_scheduling 0
		.amdhsa_exception_fp_ieee_invalid_op 0
		.amdhsa_exception_fp_denorm_src 0
		.amdhsa_exception_fp_ieee_div_zero 0
		.amdhsa_exception_fp_ieee_overflow 0
		.amdhsa_exception_fp_ieee_underflow 0
		.amdhsa_exception_fp_ieee_inexact 0
		.amdhsa_exception_int_div_zero 0
	.end_amdhsa_kernel
	.section	.text._ZN7rocprim17ROCPRIM_400000_NS6detail17trampoline_kernelINS0_14default_configENS1_25partition_config_selectorILNS1_17partition_subalgoE6EiNS0_10empty_typeEbEEZZNS1_14partition_implILS5_6ELb0ES3_mN6thrust23THRUST_200600_302600_NS6detail15normal_iteratorINSA_10device_ptrIiEEEEPS6_SG_NS0_5tupleIJSF_S6_EEENSH_IJSG_SG_EEES6_PlJNSB_9not_fun_tINSB_10functional5actorINSM_9compositeIJNSM_27transparent_binary_operatorINSA_8equal_toIvEEEENSN_INSM_8argumentILj0EEEEENSM_5valueIiEEEEEEEEEEEE10hipError_tPvRmT3_T4_T5_T6_T7_T9_mT8_P12ihipStream_tbDpT10_ENKUlT_T0_E_clISt17integral_constantIbLb1EES1K_EEDaS1F_S1G_EUlS1F_E_NS1_11comp_targetILNS1_3genE9ELNS1_11target_archE1100ELNS1_3gpuE3ELNS1_3repE0EEENS1_30default_config_static_selectorELNS0_4arch9wavefront6targetE0EEEvT1_,"axG",@progbits,_ZN7rocprim17ROCPRIM_400000_NS6detail17trampoline_kernelINS0_14default_configENS1_25partition_config_selectorILNS1_17partition_subalgoE6EiNS0_10empty_typeEbEEZZNS1_14partition_implILS5_6ELb0ES3_mN6thrust23THRUST_200600_302600_NS6detail15normal_iteratorINSA_10device_ptrIiEEEEPS6_SG_NS0_5tupleIJSF_S6_EEENSH_IJSG_SG_EEES6_PlJNSB_9not_fun_tINSB_10functional5actorINSM_9compositeIJNSM_27transparent_binary_operatorINSA_8equal_toIvEEEENSN_INSM_8argumentILj0EEEEENSM_5valueIiEEEEEEEEEEEE10hipError_tPvRmT3_T4_T5_T6_T7_T9_mT8_P12ihipStream_tbDpT10_ENKUlT_T0_E_clISt17integral_constantIbLb1EES1K_EEDaS1F_S1G_EUlS1F_E_NS1_11comp_targetILNS1_3genE9ELNS1_11target_archE1100ELNS1_3gpuE3ELNS1_3repE0EEENS1_30default_config_static_selectorELNS0_4arch9wavefront6targetE0EEEvT1_,comdat
.Lfunc_end225:
	.size	_ZN7rocprim17ROCPRIM_400000_NS6detail17trampoline_kernelINS0_14default_configENS1_25partition_config_selectorILNS1_17partition_subalgoE6EiNS0_10empty_typeEbEEZZNS1_14partition_implILS5_6ELb0ES3_mN6thrust23THRUST_200600_302600_NS6detail15normal_iteratorINSA_10device_ptrIiEEEEPS6_SG_NS0_5tupleIJSF_S6_EEENSH_IJSG_SG_EEES6_PlJNSB_9not_fun_tINSB_10functional5actorINSM_9compositeIJNSM_27transparent_binary_operatorINSA_8equal_toIvEEEENSN_INSM_8argumentILj0EEEEENSM_5valueIiEEEEEEEEEEEE10hipError_tPvRmT3_T4_T5_T6_T7_T9_mT8_P12ihipStream_tbDpT10_ENKUlT_T0_E_clISt17integral_constantIbLb1EES1K_EEDaS1F_S1G_EUlS1F_E_NS1_11comp_targetILNS1_3genE9ELNS1_11target_archE1100ELNS1_3gpuE3ELNS1_3repE0EEENS1_30default_config_static_selectorELNS0_4arch9wavefront6targetE0EEEvT1_, .Lfunc_end225-_ZN7rocprim17ROCPRIM_400000_NS6detail17trampoline_kernelINS0_14default_configENS1_25partition_config_selectorILNS1_17partition_subalgoE6EiNS0_10empty_typeEbEEZZNS1_14partition_implILS5_6ELb0ES3_mN6thrust23THRUST_200600_302600_NS6detail15normal_iteratorINSA_10device_ptrIiEEEEPS6_SG_NS0_5tupleIJSF_S6_EEENSH_IJSG_SG_EEES6_PlJNSB_9not_fun_tINSB_10functional5actorINSM_9compositeIJNSM_27transparent_binary_operatorINSA_8equal_toIvEEEENSN_INSM_8argumentILj0EEEEENSM_5valueIiEEEEEEEEEEEE10hipError_tPvRmT3_T4_T5_T6_T7_T9_mT8_P12ihipStream_tbDpT10_ENKUlT_T0_E_clISt17integral_constantIbLb1EES1K_EEDaS1F_S1G_EUlS1F_E_NS1_11comp_targetILNS1_3genE9ELNS1_11target_archE1100ELNS1_3gpuE3ELNS1_3repE0EEENS1_30default_config_static_selectorELNS0_4arch9wavefront6targetE0EEEvT1_
                                        ; -- End function
	.set _ZN7rocprim17ROCPRIM_400000_NS6detail17trampoline_kernelINS0_14default_configENS1_25partition_config_selectorILNS1_17partition_subalgoE6EiNS0_10empty_typeEbEEZZNS1_14partition_implILS5_6ELb0ES3_mN6thrust23THRUST_200600_302600_NS6detail15normal_iteratorINSA_10device_ptrIiEEEEPS6_SG_NS0_5tupleIJSF_S6_EEENSH_IJSG_SG_EEES6_PlJNSB_9not_fun_tINSB_10functional5actorINSM_9compositeIJNSM_27transparent_binary_operatorINSA_8equal_toIvEEEENSN_INSM_8argumentILj0EEEEENSM_5valueIiEEEEEEEEEEEE10hipError_tPvRmT3_T4_T5_T6_T7_T9_mT8_P12ihipStream_tbDpT10_ENKUlT_T0_E_clISt17integral_constantIbLb1EES1K_EEDaS1F_S1G_EUlS1F_E_NS1_11comp_targetILNS1_3genE9ELNS1_11target_archE1100ELNS1_3gpuE3ELNS1_3repE0EEENS1_30default_config_static_selectorELNS0_4arch9wavefront6targetE0EEEvT1_.num_vgpr, 0
	.set _ZN7rocprim17ROCPRIM_400000_NS6detail17trampoline_kernelINS0_14default_configENS1_25partition_config_selectorILNS1_17partition_subalgoE6EiNS0_10empty_typeEbEEZZNS1_14partition_implILS5_6ELb0ES3_mN6thrust23THRUST_200600_302600_NS6detail15normal_iteratorINSA_10device_ptrIiEEEEPS6_SG_NS0_5tupleIJSF_S6_EEENSH_IJSG_SG_EEES6_PlJNSB_9not_fun_tINSB_10functional5actorINSM_9compositeIJNSM_27transparent_binary_operatorINSA_8equal_toIvEEEENSN_INSM_8argumentILj0EEEEENSM_5valueIiEEEEEEEEEEEE10hipError_tPvRmT3_T4_T5_T6_T7_T9_mT8_P12ihipStream_tbDpT10_ENKUlT_T0_E_clISt17integral_constantIbLb1EES1K_EEDaS1F_S1G_EUlS1F_E_NS1_11comp_targetILNS1_3genE9ELNS1_11target_archE1100ELNS1_3gpuE3ELNS1_3repE0EEENS1_30default_config_static_selectorELNS0_4arch9wavefront6targetE0EEEvT1_.num_agpr, 0
	.set _ZN7rocprim17ROCPRIM_400000_NS6detail17trampoline_kernelINS0_14default_configENS1_25partition_config_selectorILNS1_17partition_subalgoE6EiNS0_10empty_typeEbEEZZNS1_14partition_implILS5_6ELb0ES3_mN6thrust23THRUST_200600_302600_NS6detail15normal_iteratorINSA_10device_ptrIiEEEEPS6_SG_NS0_5tupleIJSF_S6_EEENSH_IJSG_SG_EEES6_PlJNSB_9not_fun_tINSB_10functional5actorINSM_9compositeIJNSM_27transparent_binary_operatorINSA_8equal_toIvEEEENSN_INSM_8argumentILj0EEEEENSM_5valueIiEEEEEEEEEEEE10hipError_tPvRmT3_T4_T5_T6_T7_T9_mT8_P12ihipStream_tbDpT10_ENKUlT_T0_E_clISt17integral_constantIbLb1EES1K_EEDaS1F_S1G_EUlS1F_E_NS1_11comp_targetILNS1_3genE9ELNS1_11target_archE1100ELNS1_3gpuE3ELNS1_3repE0EEENS1_30default_config_static_selectorELNS0_4arch9wavefront6targetE0EEEvT1_.numbered_sgpr, 0
	.set _ZN7rocprim17ROCPRIM_400000_NS6detail17trampoline_kernelINS0_14default_configENS1_25partition_config_selectorILNS1_17partition_subalgoE6EiNS0_10empty_typeEbEEZZNS1_14partition_implILS5_6ELb0ES3_mN6thrust23THRUST_200600_302600_NS6detail15normal_iteratorINSA_10device_ptrIiEEEEPS6_SG_NS0_5tupleIJSF_S6_EEENSH_IJSG_SG_EEES6_PlJNSB_9not_fun_tINSB_10functional5actorINSM_9compositeIJNSM_27transparent_binary_operatorINSA_8equal_toIvEEEENSN_INSM_8argumentILj0EEEEENSM_5valueIiEEEEEEEEEEEE10hipError_tPvRmT3_T4_T5_T6_T7_T9_mT8_P12ihipStream_tbDpT10_ENKUlT_T0_E_clISt17integral_constantIbLb1EES1K_EEDaS1F_S1G_EUlS1F_E_NS1_11comp_targetILNS1_3genE9ELNS1_11target_archE1100ELNS1_3gpuE3ELNS1_3repE0EEENS1_30default_config_static_selectorELNS0_4arch9wavefront6targetE0EEEvT1_.num_named_barrier, 0
	.set _ZN7rocprim17ROCPRIM_400000_NS6detail17trampoline_kernelINS0_14default_configENS1_25partition_config_selectorILNS1_17partition_subalgoE6EiNS0_10empty_typeEbEEZZNS1_14partition_implILS5_6ELb0ES3_mN6thrust23THRUST_200600_302600_NS6detail15normal_iteratorINSA_10device_ptrIiEEEEPS6_SG_NS0_5tupleIJSF_S6_EEENSH_IJSG_SG_EEES6_PlJNSB_9not_fun_tINSB_10functional5actorINSM_9compositeIJNSM_27transparent_binary_operatorINSA_8equal_toIvEEEENSN_INSM_8argumentILj0EEEEENSM_5valueIiEEEEEEEEEEEE10hipError_tPvRmT3_T4_T5_T6_T7_T9_mT8_P12ihipStream_tbDpT10_ENKUlT_T0_E_clISt17integral_constantIbLb1EES1K_EEDaS1F_S1G_EUlS1F_E_NS1_11comp_targetILNS1_3genE9ELNS1_11target_archE1100ELNS1_3gpuE3ELNS1_3repE0EEENS1_30default_config_static_selectorELNS0_4arch9wavefront6targetE0EEEvT1_.private_seg_size, 0
	.set _ZN7rocprim17ROCPRIM_400000_NS6detail17trampoline_kernelINS0_14default_configENS1_25partition_config_selectorILNS1_17partition_subalgoE6EiNS0_10empty_typeEbEEZZNS1_14partition_implILS5_6ELb0ES3_mN6thrust23THRUST_200600_302600_NS6detail15normal_iteratorINSA_10device_ptrIiEEEEPS6_SG_NS0_5tupleIJSF_S6_EEENSH_IJSG_SG_EEES6_PlJNSB_9not_fun_tINSB_10functional5actorINSM_9compositeIJNSM_27transparent_binary_operatorINSA_8equal_toIvEEEENSN_INSM_8argumentILj0EEEEENSM_5valueIiEEEEEEEEEEEE10hipError_tPvRmT3_T4_T5_T6_T7_T9_mT8_P12ihipStream_tbDpT10_ENKUlT_T0_E_clISt17integral_constantIbLb1EES1K_EEDaS1F_S1G_EUlS1F_E_NS1_11comp_targetILNS1_3genE9ELNS1_11target_archE1100ELNS1_3gpuE3ELNS1_3repE0EEENS1_30default_config_static_selectorELNS0_4arch9wavefront6targetE0EEEvT1_.uses_vcc, 0
	.set _ZN7rocprim17ROCPRIM_400000_NS6detail17trampoline_kernelINS0_14default_configENS1_25partition_config_selectorILNS1_17partition_subalgoE6EiNS0_10empty_typeEbEEZZNS1_14partition_implILS5_6ELb0ES3_mN6thrust23THRUST_200600_302600_NS6detail15normal_iteratorINSA_10device_ptrIiEEEEPS6_SG_NS0_5tupleIJSF_S6_EEENSH_IJSG_SG_EEES6_PlJNSB_9not_fun_tINSB_10functional5actorINSM_9compositeIJNSM_27transparent_binary_operatorINSA_8equal_toIvEEEENSN_INSM_8argumentILj0EEEEENSM_5valueIiEEEEEEEEEEEE10hipError_tPvRmT3_T4_T5_T6_T7_T9_mT8_P12ihipStream_tbDpT10_ENKUlT_T0_E_clISt17integral_constantIbLb1EES1K_EEDaS1F_S1G_EUlS1F_E_NS1_11comp_targetILNS1_3genE9ELNS1_11target_archE1100ELNS1_3gpuE3ELNS1_3repE0EEENS1_30default_config_static_selectorELNS0_4arch9wavefront6targetE0EEEvT1_.uses_flat_scratch, 0
	.set _ZN7rocprim17ROCPRIM_400000_NS6detail17trampoline_kernelINS0_14default_configENS1_25partition_config_selectorILNS1_17partition_subalgoE6EiNS0_10empty_typeEbEEZZNS1_14partition_implILS5_6ELb0ES3_mN6thrust23THRUST_200600_302600_NS6detail15normal_iteratorINSA_10device_ptrIiEEEEPS6_SG_NS0_5tupleIJSF_S6_EEENSH_IJSG_SG_EEES6_PlJNSB_9not_fun_tINSB_10functional5actorINSM_9compositeIJNSM_27transparent_binary_operatorINSA_8equal_toIvEEEENSN_INSM_8argumentILj0EEEEENSM_5valueIiEEEEEEEEEEEE10hipError_tPvRmT3_T4_T5_T6_T7_T9_mT8_P12ihipStream_tbDpT10_ENKUlT_T0_E_clISt17integral_constantIbLb1EES1K_EEDaS1F_S1G_EUlS1F_E_NS1_11comp_targetILNS1_3genE9ELNS1_11target_archE1100ELNS1_3gpuE3ELNS1_3repE0EEENS1_30default_config_static_selectorELNS0_4arch9wavefront6targetE0EEEvT1_.has_dyn_sized_stack, 0
	.set _ZN7rocprim17ROCPRIM_400000_NS6detail17trampoline_kernelINS0_14default_configENS1_25partition_config_selectorILNS1_17partition_subalgoE6EiNS0_10empty_typeEbEEZZNS1_14partition_implILS5_6ELb0ES3_mN6thrust23THRUST_200600_302600_NS6detail15normal_iteratorINSA_10device_ptrIiEEEEPS6_SG_NS0_5tupleIJSF_S6_EEENSH_IJSG_SG_EEES6_PlJNSB_9not_fun_tINSB_10functional5actorINSM_9compositeIJNSM_27transparent_binary_operatorINSA_8equal_toIvEEEENSN_INSM_8argumentILj0EEEEENSM_5valueIiEEEEEEEEEEEE10hipError_tPvRmT3_T4_T5_T6_T7_T9_mT8_P12ihipStream_tbDpT10_ENKUlT_T0_E_clISt17integral_constantIbLb1EES1K_EEDaS1F_S1G_EUlS1F_E_NS1_11comp_targetILNS1_3genE9ELNS1_11target_archE1100ELNS1_3gpuE3ELNS1_3repE0EEENS1_30default_config_static_selectorELNS0_4arch9wavefront6targetE0EEEvT1_.has_recursion, 0
	.set _ZN7rocprim17ROCPRIM_400000_NS6detail17trampoline_kernelINS0_14default_configENS1_25partition_config_selectorILNS1_17partition_subalgoE6EiNS0_10empty_typeEbEEZZNS1_14partition_implILS5_6ELb0ES3_mN6thrust23THRUST_200600_302600_NS6detail15normal_iteratorINSA_10device_ptrIiEEEEPS6_SG_NS0_5tupleIJSF_S6_EEENSH_IJSG_SG_EEES6_PlJNSB_9not_fun_tINSB_10functional5actorINSM_9compositeIJNSM_27transparent_binary_operatorINSA_8equal_toIvEEEENSN_INSM_8argumentILj0EEEEENSM_5valueIiEEEEEEEEEEEE10hipError_tPvRmT3_T4_T5_T6_T7_T9_mT8_P12ihipStream_tbDpT10_ENKUlT_T0_E_clISt17integral_constantIbLb1EES1K_EEDaS1F_S1G_EUlS1F_E_NS1_11comp_targetILNS1_3genE9ELNS1_11target_archE1100ELNS1_3gpuE3ELNS1_3repE0EEENS1_30default_config_static_selectorELNS0_4arch9wavefront6targetE0EEEvT1_.has_indirect_call, 0
	.section	.AMDGPU.csdata,"",@progbits
; Kernel info:
; codeLenInByte = 0
; TotalNumSgprs: 0
; NumVgprs: 0
; ScratchSize: 0
; MemoryBound: 0
; FloatMode: 240
; IeeeMode: 1
; LDSByteSize: 0 bytes/workgroup (compile time only)
; SGPRBlocks: 0
; VGPRBlocks: 0
; NumSGPRsForWavesPerEU: 1
; NumVGPRsForWavesPerEU: 1
; Occupancy: 16
; WaveLimiterHint : 0
; COMPUTE_PGM_RSRC2:SCRATCH_EN: 0
; COMPUTE_PGM_RSRC2:USER_SGPR: 2
; COMPUTE_PGM_RSRC2:TRAP_HANDLER: 0
; COMPUTE_PGM_RSRC2:TGID_X_EN: 1
; COMPUTE_PGM_RSRC2:TGID_Y_EN: 0
; COMPUTE_PGM_RSRC2:TGID_Z_EN: 0
; COMPUTE_PGM_RSRC2:TIDIG_COMP_CNT: 0
	.section	.text._ZN7rocprim17ROCPRIM_400000_NS6detail17trampoline_kernelINS0_14default_configENS1_25partition_config_selectorILNS1_17partition_subalgoE6EiNS0_10empty_typeEbEEZZNS1_14partition_implILS5_6ELb0ES3_mN6thrust23THRUST_200600_302600_NS6detail15normal_iteratorINSA_10device_ptrIiEEEEPS6_SG_NS0_5tupleIJSF_S6_EEENSH_IJSG_SG_EEES6_PlJNSB_9not_fun_tINSB_10functional5actorINSM_9compositeIJNSM_27transparent_binary_operatorINSA_8equal_toIvEEEENSN_INSM_8argumentILj0EEEEENSM_5valueIiEEEEEEEEEEEE10hipError_tPvRmT3_T4_T5_T6_T7_T9_mT8_P12ihipStream_tbDpT10_ENKUlT_T0_E_clISt17integral_constantIbLb1EES1K_EEDaS1F_S1G_EUlS1F_E_NS1_11comp_targetILNS1_3genE8ELNS1_11target_archE1030ELNS1_3gpuE2ELNS1_3repE0EEENS1_30default_config_static_selectorELNS0_4arch9wavefront6targetE0EEEvT1_,"axG",@progbits,_ZN7rocprim17ROCPRIM_400000_NS6detail17trampoline_kernelINS0_14default_configENS1_25partition_config_selectorILNS1_17partition_subalgoE6EiNS0_10empty_typeEbEEZZNS1_14partition_implILS5_6ELb0ES3_mN6thrust23THRUST_200600_302600_NS6detail15normal_iteratorINSA_10device_ptrIiEEEEPS6_SG_NS0_5tupleIJSF_S6_EEENSH_IJSG_SG_EEES6_PlJNSB_9not_fun_tINSB_10functional5actorINSM_9compositeIJNSM_27transparent_binary_operatorINSA_8equal_toIvEEEENSN_INSM_8argumentILj0EEEEENSM_5valueIiEEEEEEEEEEEE10hipError_tPvRmT3_T4_T5_T6_T7_T9_mT8_P12ihipStream_tbDpT10_ENKUlT_T0_E_clISt17integral_constantIbLb1EES1K_EEDaS1F_S1G_EUlS1F_E_NS1_11comp_targetILNS1_3genE8ELNS1_11target_archE1030ELNS1_3gpuE2ELNS1_3repE0EEENS1_30default_config_static_selectorELNS0_4arch9wavefront6targetE0EEEvT1_,comdat
	.protected	_ZN7rocprim17ROCPRIM_400000_NS6detail17trampoline_kernelINS0_14default_configENS1_25partition_config_selectorILNS1_17partition_subalgoE6EiNS0_10empty_typeEbEEZZNS1_14partition_implILS5_6ELb0ES3_mN6thrust23THRUST_200600_302600_NS6detail15normal_iteratorINSA_10device_ptrIiEEEEPS6_SG_NS0_5tupleIJSF_S6_EEENSH_IJSG_SG_EEES6_PlJNSB_9not_fun_tINSB_10functional5actorINSM_9compositeIJNSM_27transparent_binary_operatorINSA_8equal_toIvEEEENSN_INSM_8argumentILj0EEEEENSM_5valueIiEEEEEEEEEEEE10hipError_tPvRmT3_T4_T5_T6_T7_T9_mT8_P12ihipStream_tbDpT10_ENKUlT_T0_E_clISt17integral_constantIbLb1EES1K_EEDaS1F_S1G_EUlS1F_E_NS1_11comp_targetILNS1_3genE8ELNS1_11target_archE1030ELNS1_3gpuE2ELNS1_3repE0EEENS1_30default_config_static_selectorELNS0_4arch9wavefront6targetE0EEEvT1_ ; -- Begin function _ZN7rocprim17ROCPRIM_400000_NS6detail17trampoline_kernelINS0_14default_configENS1_25partition_config_selectorILNS1_17partition_subalgoE6EiNS0_10empty_typeEbEEZZNS1_14partition_implILS5_6ELb0ES3_mN6thrust23THRUST_200600_302600_NS6detail15normal_iteratorINSA_10device_ptrIiEEEEPS6_SG_NS0_5tupleIJSF_S6_EEENSH_IJSG_SG_EEES6_PlJNSB_9not_fun_tINSB_10functional5actorINSM_9compositeIJNSM_27transparent_binary_operatorINSA_8equal_toIvEEEENSN_INSM_8argumentILj0EEEEENSM_5valueIiEEEEEEEEEEEE10hipError_tPvRmT3_T4_T5_T6_T7_T9_mT8_P12ihipStream_tbDpT10_ENKUlT_T0_E_clISt17integral_constantIbLb1EES1K_EEDaS1F_S1G_EUlS1F_E_NS1_11comp_targetILNS1_3genE8ELNS1_11target_archE1030ELNS1_3gpuE2ELNS1_3repE0EEENS1_30default_config_static_selectorELNS0_4arch9wavefront6targetE0EEEvT1_
	.globl	_ZN7rocprim17ROCPRIM_400000_NS6detail17trampoline_kernelINS0_14default_configENS1_25partition_config_selectorILNS1_17partition_subalgoE6EiNS0_10empty_typeEbEEZZNS1_14partition_implILS5_6ELb0ES3_mN6thrust23THRUST_200600_302600_NS6detail15normal_iteratorINSA_10device_ptrIiEEEEPS6_SG_NS0_5tupleIJSF_S6_EEENSH_IJSG_SG_EEES6_PlJNSB_9not_fun_tINSB_10functional5actorINSM_9compositeIJNSM_27transparent_binary_operatorINSA_8equal_toIvEEEENSN_INSM_8argumentILj0EEEEENSM_5valueIiEEEEEEEEEEEE10hipError_tPvRmT3_T4_T5_T6_T7_T9_mT8_P12ihipStream_tbDpT10_ENKUlT_T0_E_clISt17integral_constantIbLb1EES1K_EEDaS1F_S1G_EUlS1F_E_NS1_11comp_targetILNS1_3genE8ELNS1_11target_archE1030ELNS1_3gpuE2ELNS1_3repE0EEENS1_30default_config_static_selectorELNS0_4arch9wavefront6targetE0EEEvT1_
	.p2align	8
	.type	_ZN7rocprim17ROCPRIM_400000_NS6detail17trampoline_kernelINS0_14default_configENS1_25partition_config_selectorILNS1_17partition_subalgoE6EiNS0_10empty_typeEbEEZZNS1_14partition_implILS5_6ELb0ES3_mN6thrust23THRUST_200600_302600_NS6detail15normal_iteratorINSA_10device_ptrIiEEEEPS6_SG_NS0_5tupleIJSF_S6_EEENSH_IJSG_SG_EEES6_PlJNSB_9not_fun_tINSB_10functional5actorINSM_9compositeIJNSM_27transparent_binary_operatorINSA_8equal_toIvEEEENSN_INSM_8argumentILj0EEEEENSM_5valueIiEEEEEEEEEEEE10hipError_tPvRmT3_T4_T5_T6_T7_T9_mT8_P12ihipStream_tbDpT10_ENKUlT_T0_E_clISt17integral_constantIbLb1EES1K_EEDaS1F_S1G_EUlS1F_E_NS1_11comp_targetILNS1_3genE8ELNS1_11target_archE1030ELNS1_3gpuE2ELNS1_3repE0EEENS1_30default_config_static_selectorELNS0_4arch9wavefront6targetE0EEEvT1_,@function
_ZN7rocprim17ROCPRIM_400000_NS6detail17trampoline_kernelINS0_14default_configENS1_25partition_config_selectorILNS1_17partition_subalgoE6EiNS0_10empty_typeEbEEZZNS1_14partition_implILS5_6ELb0ES3_mN6thrust23THRUST_200600_302600_NS6detail15normal_iteratorINSA_10device_ptrIiEEEEPS6_SG_NS0_5tupleIJSF_S6_EEENSH_IJSG_SG_EEES6_PlJNSB_9not_fun_tINSB_10functional5actorINSM_9compositeIJNSM_27transparent_binary_operatorINSA_8equal_toIvEEEENSN_INSM_8argumentILj0EEEEENSM_5valueIiEEEEEEEEEEEE10hipError_tPvRmT3_T4_T5_T6_T7_T9_mT8_P12ihipStream_tbDpT10_ENKUlT_T0_E_clISt17integral_constantIbLb1EES1K_EEDaS1F_S1G_EUlS1F_E_NS1_11comp_targetILNS1_3genE8ELNS1_11target_archE1030ELNS1_3gpuE2ELNS1_3repE0EEENS1_30default_config_static_selectorELNS0_4arch9wavefront6targetE0EEEvT1_: ; @_ZN7rocprim17ROCPRIM_400000_NS6detail17trampoline_kernelINS0_14default_configENS1_25partition_config_selectorILNS1_17partition_subalgoE6EiNS0_10empty_typeEbEEZZNS1_14partition_implILS5_6ELb0ES3_mN6thrust23THRUST_200600_302600_NS6detail15normal_iteratorINSA_10device_ptrIiEEEEPS6_SG_NS0_5tupleIJSF_S6_EEENSH_IJSG_SG_EEES6_PlJNSB_9not_fun_tINSB_10functional5actorINSM_9compositeIJNSM_27transparent_binary_operatorINSA_8equal_toIvEEEENSN_INSM_8argumentILj0EEEEENSM_5valueIiEEEEEEEEEEEE10hipError_tPvRmT3_T4_T5_T6_T7_T9_mT8_P12ihipStream_tbDpT10_ENKUlT_T0_E_clISt17integral_constantIbLb1EES1K_EEDaS1F_S1G_EUlS1F_E_NS1_11comp_targetILNS1_3genE8ELNS1_11target_archE1030ELNS1_3gpuE2ELNS1_3repE0EEENS1_30default_config_static_selectorELNS0_4arch9wavefront6targetE0EEEvT1_
; %bb.0:
	.section	.rodata,"a",@progbits
	.p2align	6, 0x0
	.amdhsa_kernel _ZN7rocprim17ROCPRIM_400000_NS6detail17trampoline_kernelINS0_14default_configENS1_25partition_config_selectorILNS1_17partition_subalgoE6EiNS0_10empty_typeEbEEZZNS1_14partition_implILS5_6ELb0ES3_mN6thrust23THRUST_200600_302600_NS6detail15normal_iteratorINSA_10device_ptrIiEEEEPS6_SG_NS0_5tupleIJSF_S6_EEENSH_IJSG_SG_EEES6_PlJNSB_9not_fun_tINSB_10functional5actorINSM_9compositeIJNSM_27transparent_binary_operatorINSA_8equal_toIvEEEENSN_INSM_8argumentILj0EEEEENSM_5valueIiEEEEEEEEEEEE10hipError_tPvRmT3_T4_T5_T6_T7_T9_mT8_P12ihipStream_tbDpT10_ENKUlT_T0_E_clISt17integral_constantIbLb1EES1K_EEDaS1F_S1G_EUlS1F_E_NS1_11comp_targetILNS1_3genE8ELNS1_11target_archE1030ELNS1_3gpuE2ELNS1_3repE0EEENS1_30default_config_static_selectorELNS0_4arch9wavefront6targetE0EEEvT1_
		.amdhsa_group_segment_fixed_size 0
		.amdhsa_private_segment_fixed_size 0
		.amdhsa_kernarg_size 128
		.amdhsa_user_sgpr_count 2
		.amdhsa_user_sgpr_dispatch_ptr 0
		.amdhsa_user_sgpr_queue_ptr 0
		.amdhsa_user_sgpr_kernarg_segment_ptr 1
		.amdhsa_user_sgpr_dispatch_id 0
		.amdhsa_user_sgpr_private_segment_size 0
		.amdhsa_wavefront_size32 1
		.amdhsa_uses_dynamic_stack 0
		.amdhsa_enable_private_segment 0
		.amdhsa_system_sgpr_workgroup_id_x 1
		.amdhsa_system_sgpr_workgroup_id_y 0
		.amdhsa_system_sgpr_workgroup_id_z 0
		.amdhsa_system_sgpr_workgroup_info 0
		.amdhsa_system_vgpr_workitem_id 0
		.amdhsa_next_free_vgpr 1
		.amdhsa_next_free_sgpr 1
		.amdhsa_reserve_vcc 0
		.amdhsa_float_round_mode_32 0
		.amdhsa_float_round_mode_16_64 0
		.amdhsa_float_denorm_mode_32 3
		.amdhsa_float_denorm_mode_16_64 3
		.amdhsa_fp16_overflow 0
		.amdhsa_workgroup_processor_mode 1
		.amdhsa_memory_ordered 1
		.amdhsa_forward_progress 1
		.amdhsa_inst_pref_size 0
		.amdhsa_round_robin_scheduling 0
		.amdhsa_exception_fp_ieee_invalid_op 0
		.amdhsa_exception_fp_denorm_src 0
		.amdhsa_exception_fp_ieee_div_zero 0
		.amdhsa_exception_fp_ieee_overflow 0
		.amdhsa_exception_fp_ieee_underflow 0
		.amdhsa_exception_fp_ieee_inexact 0
		.amdhsa_exception_int_div_zero 0
	.end_amdhsa_kernel
	.section	.text._ZN7rocprim17ROCPRIM_400000_NS6detail17trampoline_kernelINS0_14default_configENS1_25partition_config_selectorILNS1_17partition_subalgoE6EiNS0_10empty_typeEbEEZZNS1_14partition_implILS5_6ELb0ES3_mN6thrust23THRUST_200600_302600_NS6detail15normal_iteratorINSA_10device_ptrIiEEEEPS6_SG_NS0_5tupleIJSF_S6_EEENSH_IJSG_SG_EEES6_PlJNSB_9not_fun_tINSB_10functional5actorINSM_9compositeIJNSM_27transparent_binary_operatorINSA_8equal_toIvEEEENSN_INSM_8argumentILj0EEEEENSM_5valueIiEEEEEEEEEEEE10hipError_tPvRmT3_T4_T5_T6_T7_T9_mT8_P12ihipStream_tbDpT10_ENKUlT_T0_E_clISt17integral_constantIbLb1EES1K_EEDaS1F_S1G_EUlS1F_E_NS1_11comp_targetILNS1_3genE8ELNS1_11target_archE1030ELNS1_3gpuE2ELNS1_3repE0EEENS1_30default_config_static_selectorELNS0_4arch9wavefront6targetE0EEEvT1_,"axG",@progbits,_ZN7rocprim17ROCPRIM_400000_NS6detail17trampoline_kernelINS0_14default_configENS1_25partition_config_selectorILNS1_17partition_subalgoE6EiNS0_10empty_typeEbEEZZNS1_14partition_implILS5_6ELb0ES3_mN6thrust23THRUST_200600_302600_NS6detail15normal_iteratorINSA_10device_ptrIiEEEEPS6_SG_NS0_5tupleIJSF_S6_EEENSH_IJSG_SG_EEES6_PlJNSB_9not_fun_tINSB_10functional5actorINSM_9compositeIJNSM_27transparent_binary_operatorINSA_8equal_toIvEEEENSN_INSM_8argumentILj0EEEEENSM_5valueIiEEEEEEEEEEEE10hipError_tPvRmT3_T4_T5_T6_T7_T9_mT8_P12ihipStream_tbDpT10_ENKUlT_T0_E_clISt17integral_constantIbLb1EES1K_EEDaS1F_S1G_EUlS1F_E_NS1_11comp_targetILNS1_3genE8ELNS1_11target_archE1030ELNS1_3gpuE2ELNS1_3repE0EEENS1_30default_config_static_selectorELNS0_4arch9wavefront6targetE0EEEvT1_,comdat
.Lfunc_end226:
	.size	_ZN7rocprim17ROCPRIM_400000_NS6detail17trampoline_kernelINS0_14default_configENS1_25partition_config_selectorILNS1_17partition_subalgoE6EiNS0_10empty_typeEbEEZZNS1_14partition_implILS5_6ELb0ES3_mN6thrust23THRUST_200600_302600_NS6detail15normal_iteratorINSA_10device_ptrIiEEEEPS6_SG_NS0_5tupleIJSF_S6_EEENSH_IJSG_SG_EEES6_PlJNSB_9not_fun_tINSB_10functional5actorINSM_9compositeIJNSM_27transparent_binary_operatorINSA_8equal_toIvEEEENSN_INSM_8argumentILj0EEEEENSM_5valueIiEEEEEEEEEEEE10hipError_tPvRmT3_T4_T5_T6_T7_T9_mT8_P12ihipStream_tbDpT10_ENKUlT_T0_E_clISt17integral_constantIbLb1EES1K_EEDaS1F_S1G_EUlS1F_E_NS1_11comp_targetILNS1_3genE8ELNS1_11target_archE1030ELNS1_3gpuE2ELNS1_3repE0EEENS1_30default_config_static_selectorELNS0_4arch9wavefront6targetE0EEEvT1_, .Lfunc_end226-_ZN7rocprim17ROCPRIM_400000_NS6detail17trampoline_kernelINS0_14default_configENS1_25partition_config_selectorILNS1_17partition_subalgoE6EiNS0_10empty_typeEbEEZZNS1_14partition_implILS5_6ELb0ES3_mN6thrust23THRUST_200600_302600_NS6detail15normal_iteratorINSA_10device_ptrIiEEEEPS6_SG_NS0_5tupleIJSF_S6_EEENSH_IJSG_SG_EEES6_PlJNSB_9not_fun_tINSB_10functional5actorINSM_9compositeIJNSM_27transparent_binary_operatorINSA_8equal_toIvEEEENSN_INSM_8argumentILj0EEEEENSM_5valueIiEEEEEEEEEEEE10hipError_tPvRmT3_T4_T5_T6_T7_T9_mT8_P12ihipStream_tbDpT10_ENKUlT_T0_E_clISt17integral_constantIbLb1EES1K_EEDaS1F_S1G_EUlS1F_E_NS1_11comp_targetILNS1_3genE8ELNS1_11target_archE1030ELNS1_3gpuE2ELNS1_3repE0EEENS1_30default_config_static_selectorELNS0_4arch9wavefront6targetE0EEEvT1_
                                        ; -- End function
	.set _ZN7rocprim17ROCPRIM_400000_NS6detail17trampoline_kernelINS0_14default_configENS1_25partition_config_selectorILNS1_17partition_subalgoE6EiNS0_10empty_typeEbEEZZNS1_14partition_implILS5_6ELb0ES3_mN6thrust23THRUST_200600_302600_NS6detail15normal_iteratorINSA_10device_ptrIiEEEEPS6_SG_NS0_5tupleIJSF_S6_EEENSH_IJSG_SG_EEES6_PlJNSB_9not_fun_tINSB_10functional5actorINSM_9compositeIJNSM_27transparent_binary_operatorINSA_8equal_toIvEEEENSN_INSM_8argumentILj0EEEEENSM_5valueIiEEEEEEEEEEEE10hipError_tPvRmT3_T4_T5_T6_T7_T9_mT8_P12ihipStream_tbDpT10_ENKUlT_T0_E_clISt17integral_constantIbLb1EES1K_EEDaS1F_S1G_EUlS1F_E_NS1_11comp_targetILNS1_3genE8ELNS1_11target_archE1030ELNS1_3gpuE2ELNS1_3repE0EEENS1_30default_config_static_selectorELNS0_4arch9wavefront6targetE0EEEvT1_.num_vgpr, 0
	.set _ZN7rocprim17ROCPRIM_400000_NS6detail17trampoline_kernelINS0_14default_configENS1_25partition_config_selectorILNS1_17partition_subalgoE6EiNS0_10empty_typeEbEEZZNS1_14partition_implILS5_6ELb0ES3_mN6thrust23THRUST_200600_302600_NS6detail15normal_iteratorINSA_10device_ptrIiEEEEPS6_SG_NS0_5tupleIJSF_S6_EEENSH_IJSG_SG_EEES6_PlJNSB_9not_fun_tINSB_10functional5actorINSM_9compositeIJNSM_27transparent_binary_operatorINSA_8equal_toIvEEEENSN_INSM_8argumentILj0EEEEENSM_5valueIiEEEEEEEEEEEE10hipError_tPvRmT3_T4_T5_T6_T7_T9_mT8_P12ihipStream_tbDpT10_ENKUlT_T0_E_clISt17integral_constantIbLb1EES1K_EEDaS1F_S1G_EUlS1F_E_NS1_11comp_targetILNS1_3genE8ELNS1_11target_archE1030ELNS1_3gpuE2ELNS1_3repE0EEENS1_30default_config_static_selectorELNS0_4arch9wavefront6targetE0EEEvT1_.num_agpr, 0
	.set _ZN7rocprim17ROCPRIM_400000_NS6detail17trampoline_kernelINS0_14default_configENS1_25partition_config_selectorILNS1_17partition_subalgoE6EiNS0_10empty_typeEbEEZZNS1_14partition_implILS5_6ELb0ES3_mN6thrust23THRUST_200600_302600_NS6detail15normal_iteratorINSA_10device_ptrIiEEEEPS6_SG_NS0_5tupleIJSF_S6_EEENSH_IJSG_SG_EEES6_PlJNSB_9not_fun_tINSB_10functional5actorINSM_9compositeIJNSM_27transparent_binary_operatorINSA_8equal_toIvEEEENSN_INSM_8argumentILj0EEEEENSM_5valueIiEEEEEEEEEEEE10hipError_tPvRmT3_T4_T5_T6_T7_T9_mT8_P12ihipStream_tbDpT10_ENKUlT_T0_E_clISt17integral_constantIbLb1EES1K_EEDaS1F_S1G_EUlS1F_E_NS1_11comp_targetILNS1_3genE8ELNS1_11target_archE1030ELNS1_3gpuE2ELNS1_3repE0EEENS1_30default_config_static_selectorELNS0_4arch9wavefront6targetE0EEEvT1_.numbered_sgpr, 0
	.set _ZN7rocprim17ROCPRIM_400000_NS6detail17trampoline_kernelINS0_14default_configENS1_25partition_config_selectorILNS1_17partition_subalgoE6EiNS0_10empty_typeEbEEZZNS1_14partition_implILS5_6ELb0ES3_mN6thrust23THRUST_200600_302600_NS6detail15normal_iteratorINSA_10device_ptrIiEEEEPS6_SG_NS0_5tupleIJSF_S6_EEENSH_IJSG_SG_EEES6_PlJNSB_9not_fun_tINSB_10functional5actorINSM_9compositeIJNSM_27transparent_binary_operatorINSA_8equal_toIvEEEENSN_INSM_8argumentILj0EEEEENSM_5valueIiEEEEEEEEEEEE10hipError_tPvRmT3_T4_T5_T6_T7_T9_mT8_P12ihipStream_tbDpT10_ENKUlT_T0_E_clISt17integral_constantIbLb1EES1K_EEDaS1F_S1G_EUlS1F_E_NS1_11comp_targetILNS1_3genE8ELNS1_11target_archE1030ELNS1_3gpuE2ELNS1_3repE0EEENS1_30default_config_static_selectorELNS0_4arch9wavefront6targetE0EEEvT1_.num_named_barrier, 0
	.set _ZN7rocprim17ROCPRIM_400000_NS6detail17trampoline_kernelINS0_14default_configENS1_25partition_config_selectorILNS1_17partition_subalgoE6EiNS0_10empty_typeEbEEZZNS1_14partition_implILS5_6ELb0ES3_mN6thrust23THRUST_200600_302600_NS6detail15normal_iteratorINSA_10device_ptrIiEEEEPS6_SG_NS0_5tupleIJSF_S6_EEENSH_IJSG_SG_EEES6_PlJNSB_9not_fun_tINSB_10functional5actorINSM_9compositeIJNSM_27transparent_binary_operatorINSA_8equal_toIvEEEENSN_INSM_8argumentILj0EEEEENSM_5valueIiEEEEEEEEEEEE10hipError_tPvRmT3_T4_T5_T6_T7_T9_mT8_P12ihipStream_tbDpT10_ENKUlT_T0_E_clISt17integral_constantIbLb1EES1K_EEDaS1F_S1G_EUlS1F_E_NS1_11comp_targetILNS1_3genE8ELNS1_11target_archE1030ELNS1_3gpuE2ELNS1_3repE0EEENS1_30default_config_static_selectorELNS0_4arch9wavefront6targetE0EEEvT1_.private_seg_size, 0
	.set _ZN7rocprim17ROCPRIM_400000_NS6detail17trampoline_kernelINS0_14default_configENS1_25partition_config_selectorILNS1_17partition_subalgoE6EiNS0_10empty_typeEbEEZZNS1_14partition_implILS5_6ELb0ES3_mN6thrust23THRUST_200600_302600_NS6detail15normal_iteratorINSA_10device_ptrIiEEEEPS6_SG_NS0_5tupleIJSF_S6_EEENSH_IJSG_SG_EEES6_PlJNSB_9not_fun_tINSB_10functional5actorINSM_9compositeIJNSM_27transparent_binary_operatorINSA_8equal_toIvEEEENSN_INSM_8argumentILj0EEEEENSM_5valueIiEEEEEEEEEEEE10hipError_tPvRmT3_T4_T5_T6_T7_T9_mT8_P12ihipStream_tbDpT10_ENKUlT_T0_E_clISt17integral_constantIbLb1EES1K_EEDaS1F_S1G_EUlS1F_E_NS1_11comp_targetILNS1_3genE8ELNS1_11target_archE1030ELNS1_3gpuE2ELNS1_3repE0EEENS1_30default_config_static_selectorELNS0_4arch9wavefront6targetE0EEEvT1_.uses_vcc, 0
	.set _ZN7rocprim17ROCPRIM_400000_NS6detail17trampoline_kernelINS0_14default_configENS1_25partition_config_selectorILNS1_17partition_subalgoE6EiNS0_10empty_typeEbEEZZNS1_14partition_implILS5_6ELb0ES3_mN6thrust23THRUST_200600_302600_NS6detail15normal_iteratorINSA_10device_ptrIiEEEEPS6_SG_NS0_5tupleIJSF_S6_EEENSH_IJSG_SG_EEES6_PlJNSB_9not_fun_tINSB_10functional5actorINSM_9compositeIJNSM_27transparent_binary_operatorINSA_8equal_toIvEEEENSN_INSM_8argumentILj0EEEEENSM_5valueIiEEEEEEEEEEEE10hipError_tPvRmT3_T4_T5_T6_T7_T9_mT8_P12ihipStream_tbDpT10_ENKUlT_T0_E_clISt17integral_constantIbLb1EES1K_EEDaS1F_S1G_EUlS1F_E_NS1_11comp_targetILNS1_3genE8ELNS1_11target_archE1030ELNS1_3gpuE2ELNS1_3repE0EEENS1_30default_config_static_selectorELNS0_4arch9wavefront6targetE0EEEvT1_.uses_flat_scratch, 0
	.set _ZN7rocprim17ROCPRIM_400000_NS6detail17trampoline_kernelINS0_14default_configENS1_25partition_config_selectorILNS1_17partition_subalgoE6EiNS0_10empty_typeEbEEZZNS1_14partition_implILS5_6ELb0ES3_mN6thrust23THRUST_200600_302600_NS6detail15normal_iteratorINSA_10device_ptrIiEEEEPS6_SG_NS0_5tupleIJSF_S6_EEENSH_IJSG_SG_EEES6_PlJNSB_9not_fun_tINSB_10functional5actorINSM_9compositeIJNSM_27transparent_binary_operatorINSA_8equal_toIvEEEENSN_INSM_8argumentILj0EEEEENSM_5valueIiEEEEEEEEEEEE10hipError_tPvRmT3_T4_T5_T6_T7_T9_mT8_P12ihipStream_tbDpT10_ENKUlT_T0_E_clISt17integral_constantIbLb1EES1K_EEDaS1F_S1G_EUlS1F_E_NS1_11comp_targetILNS1_3genE8ELNS1_11target_archE1030ELNS1_3gpuE2ELNS1_3repE0EEENS1_30default_config_static_selectorELNS0_4arch9wavefront6targetE0EEEvT1_.has_dyn_sized_stack, 0
	.set _ZN7rocprim17ROCPRIM_400000_NS6detail17trampoline_kernelINS0_14default_configENS1_25partition_config_selectorILNS1_17partition_subalgoE6EiNS0_10empty_typeEbEEZZNS1_14partition_implILS5_6ELb0ES3_mN6thrust23THRUST_200600_302600_NS6detail15normal_iteratorINSA_10device_ptrIiEEEEPS6_SG_NS0_5tupleIJSF_S6_EEENSH_IJSG_SG_EEES6_PlJNSB_9not_fun_tINSB_10functional5actorINSM_9compositeIJNSM_27transparent_binary_operatorINSA_8equal_toIvEEEENSN_INSM_8argumentILj0EEEEENSM_5valueIiEEEEEEEEEEEE10hipError_tPvRmT3_T4_T5_T6_T7_T9_mT8_P12ihipStream_tbDpT10_ENKUlT_T0_E_clISt17integral_constantIbLb1EES1K_EEDaS1F_S1G_EUlS1F_E_NS1_11comp_targetILNS1_3genE8ELNS1_11target_archE1030ELNS1_3gpuE2ELNS1_3repE0EEENS1_30default_config_static_selectorELNS0_4arch9wavefront6targetE0EEEvT1_.has_recursion, 0
	.set _ZN7rocprim17ROCPRIM_400000_NS6detail17trampoline_kernelINS0_14default_configENS1_25partition_config_selectorILNS1_17partition_subalgoE6EiNS0_10empty_typeEbEEZZNS1_14partition_implILS5_6ELb0ES3_mN6thrust23THRUST_200600_302600_NS6detail15normal_iteratorINSA_10device_ptrIiEEEEPS6_SG_NS0_5tupleIJSF_S6_EEENSH_IJSG_SG_EEES6_PlJNSB_9not_fun_tINSB_10functional5actorINSM_9compositeIJNSM_27transparent_binary_operatorINSA_8equal_toIvEEEENSN_INSM_8argumentILj0EEEEENSM_5valueIiEEEEEEEEEEEE10hipError_tPvRmT3_T4_T5_T6_T7_T9_mT8_P12ihipStream_tbDpT10_ENKUlT_T0_E_clISt17integral_constantIbLb1EES1K_EEDaS1F_S1G_EUlS1F_E_NS1_11comp_targetILNS1_3genE8ELNS1_11target_archE1030ELNS1_3gpuE2ELNS1_3repE0EEENS1_30default_config_static_selectorELNS0_4arch9wavefront6targetE0EEEvT1_.has_indirect_call, 0
	.section	.AMDGPU.csdata,"",@progbits
; Kernel info:
; codeLenInByte = 0
; TotalNumSgprs: 0
; NumVgprs: 0
; ScratchSize: 0
; MemoryBound: 0
; FloatMode: 240
; IeeeMode: 1
; LDSByteSize: 0 bytes/workgroup (compile time only)
; SGPRBlocks: 0
; VGPRBlocks: 0
; NumSGPRsForWavesPerEU: 1
; NumVGPRsForWavesPerEU: 1
; Occupancy: 16
; WaveLimiterHint : 0
; COMPUTE_PGM_RSRC2:SCRATCH_EN: 0
; COMPUTE_PGM_RSRC2:USER_SGPR: 2
; COMPUTE_PGM_RSRC2:TRAP_HANDLER: 0
; COMPUTE_PGM_RSRC2:TGID_X_EN: 1
; COMPUTE_PGM_RSRC2:TGID_Y_EN: 0
; COMPUTE_PGM_RSRC2:TGID_Z_EN: 0
; COMPUTE_PGM_RSRC2:TIDIG_COMP_CNT: 0
	.section	.text._ZN7rocprim17ROCPRIM_400000_NS6detail17trampoline_kernelINS0_14default_configENS1_25partition_config_selectorILNS1_17partition_subalgoE6EiNS0_10empty_typeEbEEZZNS1_14partition_implILS5_6ELb0ES3_mN6thrust23THRUST_200600_302600_NS6detail15normal_iteratorINSA_10device_ptrIiEEEEPS6_SG_NS0_5tupleIJSF_S6_EEENSH_IJSG_SG_EEES6_PlJNSB_9not_fun_tINSB_10functional5actorINSM_9compositeIJNSM_27transparent_binary_operatorINSA_8equal_toIvEEEENSN_INSM_8argumentILj0EEEEENSM_5valueIiEEEEEEEEEEEE10hipError_tPvRmT3_T4_T5_T6_T7_T9_mT8_P12ihipStream_tbDpT10_ENKUlT_T0_E_clISt17integral_constantIbLb1EES1J_IbLb0EEEEDaS1F_S1G_EUlS1F_E_NS1_11comp_targetILNS1_3genE0ELNS1_11target_archE4294967295ELNS1_3gpuE0ELNS1_3repE0EEENS1_30default_config_static_selectorELNS0_4arch9wavefront6targetE0EEEvT1_,"axG",@progbits,_ZN7rocprim17ROCPRIM_400000_NS6detail17trampoline_kernelINS0_14default_configENS1_25partition_config_selectorILNS1_17partition_subalgoE6EiNS0_10empty_typeEbEEZZNS1_14partition_implILS5_6ELb0ES3_mN6thrust23THRUST_200600_302600_NS6detail15normal_iteratorINSA_10device_ptrIiEEEEPS6_SG_NS0_5tupleIJSF_S6_EEENSH_IJSG_SG_EEES6_PlJNSB_9not_fun_tINSB_10functional5actorINSM_9compositeIJNSM_27transparent_binary_operatorINSA_8equal_toIvEEEENSN_INSM_8argumentILj0EEEEENSM_5valueIiEEEEEEEEEEEE10hipError_tPvRmT3_T4_T5_T6_T7_T9_mT8_P12ihipStream_tbDpT10_ENKUlT_T0_E_clISt17integral_constantIbLb1EES1J_IbLb0EEEEDaS1F_S1G_EUlS1F_E_NS1_11comp_targetILNS1_3genE0ELNS1_11target_archE4294967295ELNS1_3gpuE0ELNS1_3repE0EEENS1_30default_config_static_selectorELNS0_4arch9wavefront6targetE0EEEvT1_,comdat
	.protected	_ZN7rocprim17ROCPRIM_400000_NS6detail17trampoline_kernelINS0_14default_configENS1_25partition_config_selectorILNS1_17partition_subalgoE6EiNS0_10empty_typeEbEEZZNS1_14partition_implILS5_6ELb0ES3_mN6thrust23THRUST_200600_302600_NS6detail15normal_iteratorINSA_10device_ptrIiEEEEPS6_SG_NS0_5tupleIJSF_S6_EEENSH_IJSG_SG_EEES6_PlJNSB_9not_fun_tINSB_10functional5actorINSM_9compositeIJNSM_27transparent_binary_operatorINSA_8equal_toIvEEEENSN_INSM_8argumentILj0EEEEENSM_5valueIiEEEEEEEEEEEE10hipError_tPvRmT3_T4_T5_T6_T7_T9_mT8_P12ihipStream_tbDpT10_ENKUlT_T0_E_clISt17integral_constantIbLb1EES1J_IbLb0EEEEDaS1F_S1G_EUlS1F_E_NS1_11comp_targetILNS1_3genE0ELNS1_11target_archE4294967295ELNS1_3gpuE0ELNS1_3repE0EEENS1_30default_config_static_selectorELNS0_4arch9wavefront6targetE0EEEvT1_ ; -- Begin function _ZN7rocprim17ROCPRIM_400000_NS6detail17trampoline_kernelINS0_14default_configENS1_25partition_config_selectorILNS1_17partition_subalgoE6EiNS0_10empty_typeEbEEZZNS1_14partition_implILS5_6ELb0ES3_mN6thrust23THRUST_200600_302600_NS6detail15normal_iteratorINSA_10device_ptrIiEEEEPS6_SG_NS0_5tupleIJSF_S6_EEENSH_IJSG_SG_EEES6_PlJNSB_9not_fun_tINSB_10functional5actorINSM_9compositeIJNSM_27transparent_binary_operatorINSA_8equal_toIvEEEENSN_INSM_8argumentILj0EEEEENSM_5valueIiEEEEEEEEEEEE10hipError_tPvRmT3_T4_T5_T6_T7_T9_mT8_P12ihipStream_tbDpT10_ENKUlT_T0_E_clISt17integral_constantIbLb1EES1J_IbLb0EEEEDaS1F_S1G_EUlS1F_E_NS1_11comp_targetILNS1_3genE0ELNS1_11target_archE4294967295ELNS1_3gpuE0ELNS1_3repE0EEENS1_30default_config_static_selectorELNS0_4arch9wavefront6targetE0EEEvT1_
	.globl	_ZN7rocprim17ROCPRIM_400000_NS6detail17trampoline_kernelINS0_14default_configENS1_25partition_config_selectorILNS1_17partition_subalgoE6EiNS0_10empty_typeEbEEZZNS1_14partition_implILS5_6ELb0ES3_mN6thrust23THRUST_200600_302600_NS6detail15normal_iteratorINSA_10device_ptrIiEEEEPS6_SG_NS0_5tupleIJSF_S6_EEENSH_IJSG_SG_EEES6_PlJNSB_9not_fun_tINSB_10functional5actorINSM_9compositeIJNSM_27transparent_binary_operatorINSA_8equal_toIvEEEENSN_INSM_8argumentILj0EEEEENSM_5valueIiEEEEEEEEEEEE10hipError_tPvRmT3_T4_T5_T6_T7_T9_mT8_P12ihipStream_tbDpT10_ENKUlT_T0_E_clISt17integral_constantIbLb1EES1J_IbLb0EEEEDaS1F_S1G_EUlS1F_E_NS1_11comp_targetILNS1_3genE0ELNS1_11target_archE4294967295ELNS1_3gpuE0ELNS1_3repE0EEENS1_30default_config_static_selectorELNS0_4arch9wavefront6targetE0EEEvT1_
	.p2align	8
	.type	_ZN7rocprim17ROCPRIM_400000_NS6detail17trampoline_kernelINS0_14default_configENS1_25partition_config_selectorILNS1_17partition_subalgoE6EiNS0_10empty_typeEbEEZZNS1_14partition_implILS5_6ELb0ES3_mN6thrust23THRUST_200600_302600_NS6detail15normal_iteratorINSA_10device_ptrIiEEEEPS6_SG_NS0_5tupleIJSF_S6_EEENSH_IJSG_SG_EEES6_PlJNSB_9not_fun_tINSB_10functional5actorINSM_9compositeIJNSM_27transparent_binary_operatorINSA_8equal_toIvEEEENSN_INSM_8argumentILj0EEEEENSM_5valueIiEEEEEEEEEEEE10hipError_tPvRmT3_T4_T5_T6_T7_T9_mT8_P12ihipStream_tbDpT10_ENKUlT_T0_E_clISt17integral_constantIbLb1EES1J_IbLb0EEEEDaS1F_S1G_EUlS1F_E_NS1_11comp_targetILNS1_3genE0ELNS1_11target_archE4294967295ELNS1_3gpuE0ELNS1_3repE0EEENS1_30default_config_static_selectorELNS0_4arch9wavefront6targetE0EEEvT1_,@function
_ZN7rocprim17ROCPRIM_400000_NS6detail17trampoline_kernelINS0_14default_configENS1_25partition_config_selectorILNS1_17partition_subalgoE6EiNS0_10empty_typeEbEEZZNS1_14partition_implILS5_6ELb0ES3_mN6thrust23THRUST_200600_302600_NS6detail15normal_iteratorINSA_10device_ptrIiEEEEPS6_SG_NS0_5tupleIJSF_S6_EEENSH_IJSG_SG_EEES6_PlJNSB_9not_fun_tINSB_10functional5actorINSM_9compositeIJNSM_27transparent_binary_operatorINSA_8equal_toIvEEEENSN_INSM_8argumentILj0EEEEENSM_5valueIiEEEEEEEEEEEE10hipError_tPvRmT3_T4_T5_T6_T7_T9_mT8_P12ihipStream_tbDpT10_ENKUlT_T0_E_clISt17integral_constantIbLb1EES1J_IbLb0EEEEDaS1F_S1G_EUlS1F_E_NS1_11comp_targetILNS1_3genE0ELNS1_11target_archE4294967295ELNS1_3gpuE0ELNS1_3repE0EEENS1_30default_config_static_selectorELNS0_4arch9wavefront6targetE0EEEvT1_: ; @_ZN7rocprim17ROCPRIM_400000_NS6detail17trampoline_kernelINS0_14default_configENS1_25partition_config_selectorILNS1_17partition_subalgoE6EiNS0_10empty_typeEbEEZZNS1_14partition_implILS5_6ELb0ES3_mN6thrust23THRUST_200600_302600_NS6detail15normal_iteratorINSA_10device_ptrIiEEEEPS6_SG_NS0_5tupleIJSF_S6_EEENSH_IJSG_SG_EEES6_PlJNSB_9not_fun_tINSB_10functional5actorINSM_9compositeIJNSM_27transparent_binary_operatorINSA_8equal_toIvEEEENSN_INSM_8argumentILj0EEEEENSM_5valueIiEEEEEEEEEEEE10hipError_tPvRmT3_T4_T5_T6_T7_T9_mT8_P12ihipStream_tbDpT10_ENKUlT_T0_E_clISt17integral_constantIbLb1EES1J_IbLb0EEEEDaS1F_S1G_EUlS1F_E_NS1_11comp_targetILNS1_3genE0ELNS1_11target_archE4294967295ELNS1_3gpuE0ELNS1_3repE0EEENS1_30default_config_static_selectorELNS0_4arch9wavefront6targetE0EEEvT1_
; %bb.0:
	.section	.rodata,"a",@progbits
	.p2align	6, 0x0
	.amdhsa_kernel _ZN7rocprim17ROCPRIM_400000_NS6detail17trampoline_kernelINS0_14default_configENS1_25partition_config_selectorILNS1_17partition_subalgoE6EiNS0_10empty_typeEbEEZZNS1_14partition_implILS5_6ELb0ES3_mN6thrust23THRUST_200600_302600_NS6detail15normal_iteratorINSA_10device_ptrIiEEEEPS6_SG_NS0_5tupleIJSF_S6_EEENSH_IJSG_SG_EEES6_PlJNSB_9not_fun_tINSB_10functional5actorINSM_9compositeIJNSM_27transparent_binary_operatorINSA_8equal_toIvEEEENSN_INSM_8argumentILj0EEEEENSM_5valueIiEEEEEEEEEEEE10hipError_tPvRmT3_T4_T5_T6_T7_T9_mT8_P12ihipStream_tbDpT10_ENKUlT_T0_E_clISt17integral_constantIbLb1EES1J_IbLb0EEEEDaS1F_S1G_EUlS1F_E_NS1_11comp_targetILNS1_3genE0ELNS1_11target_archE4294967295ELNS1_3gpuE0ELNS1_3repE0EEENS1_30default_config_static_selectorELNS0_4arch9wavefront6targetE0EEEvT1_
		.amdhsa_group_segment_fixed_size 0
		.amdhsa_private_segment_fixed_size 0
		.amdhsa_kernarg_size 120
		.amdhsa_user_sgpr_count 2
		.amdhsa_user_sgpr_dispatch_ptr 0
		.amdhsa_user_sgpr_queue_ptr 0
		.amdhsa_user_sgpr_kernarg_segment_ptr 1
		.amdhsa_user_sgpr_dispatch_id 0
		.amdhsa_user_sgpr_private_segment_size 0
		.amdhsa_wavefront_size32 1
		.amdhsa_uses_dynamic_stack 0
		.amdhsa_enable_private_segment 0
		.amdhsa_system_sgpr_workgroup_id_x 1
		.amdhsa_system_sgpr_workgroup_id_y 0
		.amdhsa_system_sgpr_workgroup_id_z 0
		.amdhsa_system_sgpr_workgroup_info 0
		.amdhsa_system_vgpr_workitem_id 0
		.amdhsa_next_free_vgpr 1
		.amdhsa_next_free_sgpr 1
		.amdhsa_reserve_vcc 0
		.amdhsa_float_round_mode_32 0
		.amdhsa_float_round_mode_16_64 0
		.amdhsa_float_denorm_mode_32 3
		.amdhsa_float_denorm_mode_16_64 3
		.amdhsa_fp16_overflow 0
		.amdhsa_workgroup_processor_mode 1
		.amdhsa_memory_ordered 1
		.amdhsa_forward_progress 1
		.amdhsa_inst_pref_size 0
		.amdhsa_round_robin_scheduling 0
		.amdhsa_exception_fp_ieee_invalid_op 0
		.amdhsa_exception_fp_denorm_src 0
		.amdhsa_exception_fp_ieee_div_zero 0
		.amdhsa_exception_fp_ieee_overflow 0
		.amdhsa_exception_fp_ieee_underflow 0
		.amdhsa_exception_fp_ieee_inexact 0
		.amdhsa_exception_int_div_zero 0
	.end_amdhsa_kernel
	.section	.text._ZN7rocprim17ROCPRIM_400000_NS6detail17trampoline_kernelINS0_14default_configENS1_25partition_config_selectorILNS1_17partition_subalgoE6EiNS0_10empty_typeEbEEZZNS1_14partition_implILS5_6ELb0ES3_mN6thrust23THRUST_200600_302600_NS6detail15normal_iteratorINSA_10device_ptrIiEEEEPS6_SG_NS0_5tupleIJSF_S6_EEENSH_IJSG_SG_EEES6_PlJNSB_9not_fun_tINSB_10functional5actorINSM_9compositeIJNSM_27transparent_binary_operatorINSA_8equal_toIvEEEENSN_INSM_8argumentILj0EEEEENSM_5valueIiEEEEEEEEEEEE10hipError_tPvRmT3_T4_T5_T6_T7_T9_mT8_P12ihipStream_tbDpT10_ENKUlT_T0_E_clISt17integral_constantIbLb1EES1J_IbLb0EEEEDaS1F_S1G_EUlS1F_E_NS1_11comp_targetILNS1_3genE0ELNS1_11target_archE4294967295ELNS1_3gpuE0ELNS1_3repE0EEENS1_30default_config_static_selectorELNS0_4arch9wavefront6targetE0EEEvT1_,"axG",@progbits,_ZN7rocprim17ROCPRIM_400000_NS6detail17trampoline_kernelINS0_14default_configENS1_25partition_config_selectorILNS1_17partition_subalgoE6EiNS0_10empty_typeEbEEZZNS1_14partition_implILS5_6ELb0ES3_mN6thrust23THRUST_200600_302600_NS6detail15normal_iteratorINSA_10device_ptrIiEEEEPS6_SG_NS0_5tupleIJSF_S6_EEENSH_IJSG_SG_EEES6_PlJNSB_9not_fun_tINSB_10functional5actorINSM_9compositeIJNSM_27transparent_binary_operatorINSA_8equal_toIvEEEENSN_INSM_8argumentILj0EEEEENSM_5valueIiEEEEEEEEEEEE10hipError_tPvRmT3_T4_T5_T6_T7_T9_mT8_P12ihipStream_tbDpT10_ENKUlT_T0_E_clISt17integral_constantIbLb1EES1J_IbLb0EEEEDaS1F_S1G_EUlS1F_E_NS1_11comp_targetILNS1_3genE0ELNS1_11target_archE4294967295ELNS1_3gpuE0ELNS1_3repE0EEENS1_30default_config_static_selectorELNS0_4arch9wavefront6targetE0EEEvT1_,comdat
.Lfunc_end227:
	.size	_ZN7rocprim17ROCPRIM_400000_NS6detail17trampoline_kernelINS0_14default_configENS1_25partition_config_selectorILNS1_17partition_subalgoE6EiNS0_10empty_typeEbEEZZNS1_14partition_implILS5_6ELb0ES3_mN6thrust23THRUST_200600_302600_NS6detail15normal_iteratorINSA_10device_ptrIiEEEEPS6_SG_NS0_5tupleIJSF_S6_EEENSH_IJSG_SG_EEES6_PlJNSB_9not_fun_tINSB_10functional5actorINSM_9compositeIJNSM_27transparent_binary_operatorINSA_8equal_toIvEEEENSN_INSM_8argumentILj0EEEEENSM_5valueIiEEEEEEEEEEEE10hipError_tPvRmT3_T4_T5_T6_T7_T9_mT8_P12ihipStream_tbDpT10_ENKUlT_T0_E_clISt17integral_constantIbLb1EES1J_IbLb0EEEEDaS1F_S1G_EUlS1F_E_NS1_11comp_targetILNS1_3genE0ELNS1_11target_archE4294967295ELNS1_3gpuE0ELNS1_3repE0EEENS1_30default_config_static_selectorELNS0_4arch9wavefront6targetE0EEEvT1_, .Lfunc_end227-_ZN7rocprim17ROCPRIM_400000_NS6detail17trampoline_kernelINS0_14default_configENS1_25partition_config_selectorILNS1_17partition_subalgoE6EiNS0_10empty_typeEbEEZZNS1_14partition_implILS5_6ELb0ES3_mN6thrust23THRUST_200600_302600_NS6detail15normal_iteratorINSA_10device_ptrIiEEEEPS6_SG_NS0_5tupleIJSF_S6_EEENSH_IJSG_SG_EEES6_PlJNSB_9not_fun_tINSB_10functional5actorINSM_9compositeIJNSM_27transparent_binary_operatorINSA_8equal_toIvEEEENSN_INSM_8argumentILj0EEEEENSM_5valueIiEEEEEEEEEEEE10hipError_tPvRmT3_T4_T5_T6_T7_T9_mT8_P12ihipStream_tbDpT10_ENKUlT_T0_E_clISt17integral_constantIbLb1EES1J_IbLb0EEEEDaS1F_S1G_EUlS1F_E_NS1_11comp_targetILNS1_3genE0ELNS1_11target_archE4294967295ELNS1_3gpuE0ELNS1_3repE0EEENS1_30default_config_static_selectorELNS0_4arch9wavefront6targetE0EEEvT1_
                                        ; -- End function
	.set _ZN7rocprim17ROCPRIM_400000_NS6detail17trampoline_kernelINS0_14default_configENS1_25partition_config_selectorILNS1_17partition_subalgoE6EiNS0_10empty_typeEbEEZZNS1_14partition_implILS5_6ELb0ES3_mN6thrust23THRUST_200600_302600_NS6detail15normal_iteratorINSA_10device_ptrIiEEEEPS6_SG_NS0_5tupleIJSF_S6_EEENSH_IJSG_SG_EEES6_PlJNSB_9not_fun_tINSB_10functional5actorINSM_9compositeIJNSM_27transparent_binary_operatorINSA_8equal_toIvEEEENSN_INSM_8argumentILj0EEEEENSM_5valueIiEEEEEEEEEEEE10hipError_tPvRmT3_T4_T5_T6_T7_T9_mT8_P12ihipStream_tbDpT10_ENKUlT_T0_E_clISt17integral_constantIbLb1EES1J_IbLb0EEEEDaS1F_S1G_EUlS1F_E_NS1_11comp_targetILNS1_3genE0ELNS1_11target_archE4294967295ELNS1_3gpuE0ELNS1_3repE0EEENS1_30default_config_static_selectorELNS0_4arch9wavefront6targetE0EEEvT1_.num_vgpr, 0
	.set _ZN7rocprim17ROCPRIM_400000_NS6detail17trampoline_kernelINS0_14default_configENS1_25partition_config_selectorILNS1_17partition_subalgoE6EiNS0_10empty_typeEbEEZZNS1_14partition_implILS5_6ELb0ES3_mN6thrust23THRUST_200600_302600_NS6detail15normal_iteratorINSA_10device_ptrIiEEEEPS6_SG_NS0_5tupleIJSF_S6_EEENSH_IJSG_SG_EEES6_PlJNSB_9not_fun_tINSB_10functional5actorINSM_9compositeIJNSM_27transparent_binary_operatorINSA_8equal_toIvEEEENSN_INSM_8argumentILj0EEEEENSM_5valueIiEEEEEEEEEEEE10hipError_tPvRmT3_T4_T5_T6_T7_T9_mT8_P12ihipStream_tbDpT10_ENKUlT_T0_E_clISt17integral_constantIbLb1EES1J_IbLb0EEEEDaS1F_S1G_EUlS1F_E_NS1_11comp_targetILNS1_3genE0ELNS1_11target_archE4294967295ELNS1_3gpuE0ELNS1_3repE0EEENS1_30default_config_static_selectorELNS0_4arch9wavefront6targetE0EEEvT1_.num_agpr, 0
	.set _ZN7rocprim17ROCPRIM_400000_NS6detail17trampoline_kernelINS0_14default_configENS1_25partition_config_selectorILNS1_17partition_subalgoE6EiNS0_10empty_typeEbEEZZNS1_14partition_implILS5_6ELb0ES3_mN6thrust23THRUST_200600_302600_NS6detail15normal_iteratorINSA_10device_ptrIiEEEEPS6_SG_NS0_5tupleIJSF_S6_EEENSH_IJSG_SG_EEES6_PlJNSB_9not_fun_tINSB_10functional5actorINSM_9compositeIJNSM_27transparent_binary_operatorINSA_8equal_toIvEEEENSN_INSM_8argumentILj0EEEEENSM_5valueIiEEEEEEEEEEEE10hipError_tPvRmT3_T4_T5_T6_T7_T9_mT8_P12ihipStream_tbDpT10_ENKUlT_T0_E_clISt17integral_constantIbLb1EES1J_IbLb0EEEEDaS1F_S1G_EUlS1F_E_NS1_11comp_targetILNS1_3genE0ELNS1_11target_archE4294967295ELNS1_3gpuE0ELNS1_3repE0EEENS1_30default_config_static_selectorELNS0_4arch9wavefront6targetE0EEEvT1_.numbered_sgpr, 0
	.set _ZN7rocprim17ROCPRIM_400000_NS6detail17trampoline_kernelINS0_14default_configENS1_25partition_config_selectorILNS1_17partition_subalgoE6EiNS0_10empty_typeEbEEZZNS1_14partition_implILS5_6ELb0ES3_mN6thrust23THRUST_200600_302600_NS6detail15normal_iteratorINSA_10device_ptrIiEEEEPS6_SG_NS0_5tupleIJSF_S6_EEENSH_IJSG_SG_EEES6_PlJNSB_9not_fun_tINSB_10functional5actorINSM_9compositeIJNSM_27transparent_binary_operatorINSA_8equal_toIvEEEENSN_INSM_8argumentILj0EEEEENSM_5valueIiEEEEEEEEEEEE10hipError_tPvRmT3_T4_T5_T6_T7_T9_mT8_P12ihipStream_tbDpT10_ENKUlT_T0_E_clISt17integral_constantIbLb1EES1J_IbLb0EEEEDaS1F_S1G_EUlS1F_E_NS1_11comp_targetILNS1_3genE0ELNS1_11target_archE4294967295ELNS1_3gpuE0ELNS1_3repE0EEENS1_30default_config_static_selectorELNS0_4arch9wavefront6targetE0EEEvT1_.num_named_barrier, 0
	.set _ZN7rocprim17ROCPRIM_400000_NS6detail17trampoline_kernelINS0_14default_configENS1_25partition_config_selectorILNS1_17partition_subalgoE6EiNS0_10empty_typeEbEEZZNS1_14partition_implILS5_6ELb0ES3_mN6thrust23THRUST_200600_302600_NS6detail15normal_iteratorINSA_10device_ptrIiEEEEPS6_SG_NS0_5tupleIJSF_S6_EEENSH_IJSG_SG_EEES6_PlJNSB_9not_fun_tINSB_10functional5actorINSM_9compositeIJNSM_27transparent_binary_operatorINSA_8equal_toIvEEEENSN_INSM_8argumentILj0EEEEENSM_5valueIiEEEEEEEEEEEE10hipError_tPvRmT3_T4_T5_T6_T7_T9_mT8_P12ihipStream_tbDpT10_ENKUlT_T0_E_clISt17integral_constantIbLb1EES1J_IbLb0EEEEDaS1F_S1G_EUlS1F_E_NS1_11comp_targetILNS1_3genE0ELNS1_11target_archE4294967295ELNS1_3gpuE0ELNS1_3repE0EEENS1_30default_config_static_selectorELNS0_4arch9wavefront6targetE0EEEvT1_.private_seg_size, 0
	.set _ZN7rocprim17ROCPRIM_400000_NS6detail17trampoline_kernelINS0_14default_configENS1_25partition_config_selectorILNS1_17partition_subalgoE6EiNS0_10empty_typeEbEEZZNS1_14partition_implILS5_6ELb0ES3_mN6thrust23THRUST_200600_302600_NS6detail15normal_iteratorINSA_10device_ptrIiEEEEPS6_SG_NS0_5tupleIJSF_S6_EEENSH_IJSG_SG_EEES6_PlJNSB_9not_fun_tINSB_10functional5actorINSM_9compositeIJNSM_27transparent_binary_operatorINSA_8equal_toIvEEEENSN_INSM_8argumentILj0EEEEENSM_5valueIiEEEEEEEEEEEE10hipError_tPvRmT3_T4_T5_T6_T7_T9_mT8_P12ihipStream_tbDpT10_ENKUlT_T0_E_clISt17integral_constantIbLb1EES1J_IbLb0EEEEDaS1F_S1G_EUlS1F_E_NS1_11comp_targetILNS1_3genE0ELNS1_11target_archE4294967295ELNS1_3gpuE0ELNS1_3repE0EEENS1_30default_config_static_selectorELNS0_4arch9wavefront6targetE0EEEvT1_.uses_vcc, 0
	.set _ZN7rocprim17ROCPRIM_400000_NS6detail17trampoline_kernelINS0_14default_configENS1_25partition_config_selectorILNS1_17partition_subalgoE6EiNS0_10empty_typeEbEEZZNS1_14partition_implILS5_6ELb0ES3_mN6thrust23THRUST_200600_302600_NS6detail15normal_iteratorINSA_10device_ptrIiEEEEPS6_SG_NS0_5tupleIJSF_S6_EEENSH_IJSG_SG_EEES6_PlJNSB_9not_fun_tINSB_10functional5actorINSM_9compositeIJNSM_27transparent_binary_operatorINSA_8equal_toIvEEEENSN_INSM_8argumentILj0EEEEENSM_5valueIiEEEEEEEEEEEE10hipError_tPvRmT3_T4_T5_T6_T7_T9_mT8_P12ihipStream_tbDpT10_ENKUlT_T0_E_clISt17integral_constantIbLb1EES1J_IbLb0EEEEDaS1F_S1G_EUlS1F_E_NS1_11comp_targetILNS1_3genE0ELNS1_11target_archE4294967295ELNS1_3gpuE0ELNS1_3repE0EEENS1_30default_config_static_selectorELNS0_4arch9wavefront6targetE0EEEvT1_.uses_flat_scratch, 0
	.set _ZN7rocprim17ROCPRIM_400000_NS6detail17trampoline_kernelINS0_14default_configENS1_25partition_config_selectorILNS1_17partition_subalgoE6EiNS0_10empty_typeEbEEZZNS1_14partition_implILS5_6ELb0ES3_mN6thrust23THRUST_200600_302600_NS6detail15normal_iteratorINSA_10device_ptrIiEEEEPS6_SG_NS0_5tupleIJSF_S6_EEENSH_IJSG_SG_EEES6_PlJNSB_9not_fun_tINSB_10functional5actorINSM_9compositeIJNSM_27transparent_binary_operatorINSA_8equal_toIvEEEENSN_INSM_8argumentILj0EEEEENSM_5valueIiEEEEEEEEEEEE10hipError_tPvRmT3_T4_T5_T6_T7_T9_mT8_P12ihipStream_tbDpT10_ENKUlT_T0_E_clISt17integral_constantIbLb1EES1J_IbLb0EEEEDaS1F_S1G_EUlS1F_E_NS1_11comp_targetILNS1_3genE0ELNS1_11target_archE4294967295ELNS1_3gpuE0ELNS1_3repE0EEENS1_30default_config_static_selectorELNS0_4arch9wavefront6targetE0EEEvT1_.has_dyn_sized_stack, 0
	.set _ZN7rocprim17ROCPRIM_400000_NS6detail17trampoline_kernelINS0_14default_configENS1_25partition_config_selectorILNS1_17partition_subalgoE6EiNS0_10empty_typeEbEEZZNS1_14partition_implILS5_6ELb0ES3_mN6thrust23THRUST_200600_302600_NS6detail15normal_iteratorINSA_10device_ptrIiEEEEPS6_SG_NS0_5tupleIJSF_S6_EEENSH_IJSG_SG_EEES6_PlJNSB_9not_fun_tINSB_10functional5actorINSM_9compositeIJNSM_27transparent_binary_operatorINSA_8equal_toIvEEEENSN_INSM_8argumentILj0EEEEENSM_5valueIiEEEEEEEEEEEE10hipError_tPvRmT3_T4_T5_T6_T7_T9_mT8_P12ihipStream_tbDpT10_ENKUlT_T0_E_clISt17integral_constantIbLb1EES1J_IbLb0EEEEDaS1F_S1G_EUlS1F_E_NS1_11comp_targetILNS1_3genE0ELNS1_11target_archE4294967295ELNS1_3gpuE0ELNS1_3repE0EEENS1_30default_config_static_selectorELNS0_4arch9wavefront6targetE0EEEvT1_.has_recursion, 0
	.set _ZN7rocprim17ROCPRIM_400000_NS6detail17trampoline_kernelINS0_14default_configENS1_25partition_config_selectorILNS1_17partition_subalgoE6EiNS0_10empty_typeEbEEZZNS1_14partition_implILS5_6ELb0ES3_mN6thrust23THRUST_200600_302600_NS6detail15normal_iteratorINSA_10device_ptrIiEEEEPS6_SG_NS0_5tupleIJSF_S6_EEENSH_IJSG_SG_EEES6_PlJNSB_9not_fun_tINSB_10functional5actorINSM_9compositeIJNSM_27transparent_binary_operatorINSA_8equal_toIvEEEENSN_INSM_8argumentILj0EEEEENSM_5valueIiEEEEEEEEEEEE10hipError_tPvRmT3_T4_T5_T6_T7_T9_mT8_P12ihipStream_tbDpT10_ENKUlT_T0_E_clISt17integral_constantIbLb1EES1J_IbLb0EEEEDaS1F_S1G_EUlS1F_E_NS1_11comp_targetILNS1_3genE0ELNS1_11target_archE4294967295ELNS1_3gpuE0ELNS1_3repE0EEENS1_30default_config_static_selectorELNS0_4arch9wavefront6targetE0EEEvT1_.has_indirect_call, 0
	.section	.AMDGPU.csdata,"",@progbits
; Kernel info:
; codeLenInByte = 0
; TotalNumSgprs: 0
; NumVgprs: 0
; ScratchSize: 0
; MemoryBound: 0
; FloatMode: 240
; IeeeMode: 1
; LDSByteSize: 0 bytes/workgroup (compile time only)
; SGPRBlocks: 0
; VGPRBlocks: 0
; NumSGPRsForWavesPerEU: 1
; NumVGPRsForWavesPerEU: 1
; Occupancy: 16
; WaveLimiterHint : 0
; COMPUTE_PGM_RSRC2:SCRATCH_EN: 0
; COMPUTE_PGM_RSRC2:USER_SGPR: 2
; COMPUTE_PGM_RSRC2:TRAP_HANDLER: 0
; COMPUTE_PGM_RSRC2:TGID_X_EN: 1
; COMPUTE_PGM_RSRC2:TGID_Y_EN: 0
; COMPUTE_PGM_RSRC2:TGID_Z_EN: 0
; COMPUTE_PGM_RSRC2:TIDIG_COMP_CNT: 0
	.section	.text._ZN7rocprim17ROCPRIM_400000_NS6detail17trampoline_kernelINS0_14default_configENS1_25partition_config_selectorILNS1_17partition_subalgoE6EiNS0_10empty_typeEbEEZZNS1_14partition_implILS5_6ELb0ES3_mN6thrust23THRUST_200600_302600_NS6detail15normal_iteratorINSA_10device_ptrIiEEEEPS6_SG_NS0_5tupleIJSF_S6_EEENSH_IJSG_SG_EEES6_PlJNSB_9not_fun_tINSB_10functional5actorINSM_9compositeIJNSM_27transparent_binary_operatorINSA_8equal_toIvEEEENSN_INSM_8argumentILj0EEEEENSM_5valueIiEEEEEEEEEEEE10hipError_tPvRmT3_T4_T5_T6_T7_T9_mT8_P12ihipStream_tbDpT10_ENKUlT_T0_E_clISt17integral_constantIbLb1EES1J_IbLb0EEEEDaS1F_S1G_EUlS1F_E_NS1_11comp_targetILNS1_3genE5ELNS1_11target_archE942ELNS1_3gpuE9ELNS1_3repE0EEENS1_30default_config_static_selectorELNS0_4arch9wavefront6targetE0EEEvT1_,"axG",@progbits,_ZN7rocprim17ROCPRIM_400000_NS6detail17trampoline_kernelINS0_14default_configENS1_25partition_config_selectorILNS1_17partition_subalgoE6EiNS0_10empty_typeEbEEZZNS1_14partition_implILS5_6ELb0ES3_mN6thrust23THRUST_200600_302600_NS6detail15normal_iteratorINSA_10device_ptrIiEEEEPS6_SG_NS0_5tupleIJSF_S6_EEENSH_IJSG_SG_EEES6_PlJNSB_9not_fun_tINSB_10functional5actorINSM_9compositeIJNSM_27transparent_binary_operatorINSA_8equal_toIvEEEENSN_INSM_8argumentILj0EEEEENSM_5valueIiEEEEEEEEEEEE10hipError_tPvRmT3_T4_T5_T6_T7_T9_mT8_P12ihipStream_tbDpT10_ENKUlT_T0_E_clISt17integral_constantIbLb1EES1J_IbLb0EEEEDaS1F_S1G_EUlS1F_E_NS1_11comp_targetILNS1_3genE5ELNS1_11target_archE942ELNS1_3gpuE9ELNS1_3repE0EEENS1_30default_config_static_selectorELNS0_4arch9wavefront6targetE0EEEvT1_,comdat
	.protected	_ZN7rocprim17ROCPRIM_400000_NS6detail17trampoline_kernelINS0_14default_configENS1_25partition_config_selectorILNS1_17partition_subalgoE6EiNS0_10empty_typeEbEEZZNS1_14partition_implILS5_6ELb0ES3_mN6thrust23THRUST_200600_302600_NS6detail15normal_iteratorINSA_10device_ptrIiEEEEPS6_SG_NS0_5tupleIJSF_S6_EEENSH_IJSG_SG_EEES6_PlJNSB_9not_fun_tINSB_10functional5actorINSM_9compositeIJNSM_27transparent_binary_operatorINSA_8equal_toIvEEEENSN_INSM_8argumentILj0EEEEENSM_5valueIiEEEEEEEEEEEE10hipError_tPvRmT3_T4_T5_T6_T7_T9_mT8_P12ihipStream_tbDpT10_ENKUlT_T0_E_clISt17integral_constantIbLb1EES1J_IbLb0EEEEDaS1F_S1G_EUlS1F_E_NS1_11comp_targetILNS1_3genE5ELNS1_11target_archE942ELNS1_3gpuE9ELNS1_3repE0EEENS1_30default_config_static_selectorELNS0_4arch9wavefront6targetE0EEEvT1_ ; -- Begin function _ZN7rocprim17ROCPRIM_400000_NS6detail17trampoline_kernelINS0_14default_configENS1_25partition_config_selectorILNS1_17partition_subalgoE6EiNS0_10empty_typeEbEEZZNS1_14partition_implILS5_6ELb0ES3_mN6thrust23THRUST_200600_302600_NS6detail15normal_iteratorINSA_10device_ptrIiEEEEPS6_SG_NS0_5tupleIJSF_S6_EEENSH_IJSG_SG_EEES6_PlJNSB_9not_fun_tINSB_10functional5actorINSM_9compositeIJNSM_27transparent_binary_operatorINSA_8equal_toIvEEEENSN_INSM_8argumentILj0EEEEENSM_5valueIiEEEEEEEEEEEE10hipError_tPvRmT3_T4_T5_T6_T7_T9_mT8_P12ihipStream_tbDpT10_ENKUlT_T0_E_clISt17integral_constantIbLb1EES1J_IbLb0EEEEDaS1F_S1G_EUlS1F_E_NS1_11comp_targetILNS1_3genE5ELNS1_11target_archE942ELNS1_3gpuE9ELNS1_3repE0EEENS1_30default_config_static_selectorELNS0_4arch9wavefront6targetE0EEEvT1_
	.globl	_ZN7rocprim17ROCPRIM_400000_NS6detail17trampoline_kernelINS0_14default_configENS1_25partition_config_selectorILNS1_17partition_subalgoE6EiNS0_10empty_typeEbEEZZNS1_14partition_implILS5_6ELb0ES3_mN6thrust23THRUST_200600_302600_NS6detail15normal_iteratorINSA_10device_ptrIiEEEEPS6_SG_NS0_5tupleIJSF_S6_EEENSH_IJSG_SG_EEES6_PlJNSB_9not_fun_tINSB_10functional5actorINSM_9compositeIJNSM_27transparent_binary_operatorINSA_8equal_toIvEEEENSN_INSM_8argumentILj0EEEEENSM_5valueIiEEEEEEEEEEEE10hipError_tPvRmT3_T4_T5_T6_T7_T9_mT8_P12ihipStream_tbDpT10_ENKUlT_T0_E_clISt17integral_constantIbLb1EES1J_IbLb0EEEEDaS1F_S1G_EUlS1F_E_NS1_11comp_targetILNS1_3genE5ELNS1_11target_archE942ELNS1_3gpuE9ELNS1_3repE0EEENS1_30default_config_static_selectorELNS0_4arch9wavefront6targetE0EEEvT1_
	.p2align	8
	.type	_ZN7rocprim17ROCPRIM_400000_NS6detail17trampoline_kernelINS0_14default_configENS1_25partition_config_selectorILNS1_17partition_subalgoE6EiNS0_10empty_typeEbEEZZNS1_14partition_implILS5_6ELb0ES3_mN6thrust23THRUST_200600_302600_NS6detail15normal_iteratorINSA_10device_ptrIiEEEEPS6_SG_NS0_5tupleIJSF_S6_EEENSH_IJSG_SG_EEES6_PlJNSB_9not_fun_tINSB_10functional5actorINSM_9compositeIJNSM_27transparent_binary_operatorINSA_8equal_toIvEEEENSN_INSM_8argumentILj0EEEEENSM_5valueIiEEEEEEEEEEEE10hipError_tPvRmT3_T4_T5_T6_T7_T9_mT8_P12ihipStream_tbDpT10_ENKUlT_T0_E_clISt17integral_constantIbLb1EES1J_IbLb0EEEEDaS1F_S1G_EUlS1F_E_NS1_11comp_targetILNS1_3genE5ELNS1_11target_archE942ELNS1_3gpuE9ELNS1_3repE0EEENS1_30default_config_static_selectorELNS0_4arch9wavefront6targetE0EEEvT1_,@function
_ZN7rocprim17ROCPRIM_400000_NS6detail17trampoline_kernelINS0_14default_configENS1_25partition_config_selectorILNS1_17partition_subalgoE6EiNS0_10empty_typeEbEEZZNS1_14partition_implILS5_6ELb0ES3_mN6thrust23THRUST_200600_302600_NS6detail15normal_iteratorINSA_10device_ptrIiEEEEPS6_SG_NS0_5tupleIJSF_S6_EEENSH_IJSG_SG_EEES6_PlJNSB_9not_fun_tINSB_10functional5actorINSM_9compositeIJNSM_27transparent_binary_operatorINSA_8equal_toIvEEEENSN_INSM_8argumentILj0EEEEENSM_5valueIiEEEEEEEEEEEE10hipError_tPvRmT3_T4_T5_T6_T7_T9_mT8_P12ihipStream_tbDpT10_ENKUlT_T0_E_clISt17integral_constantIbLb1EES1J_IbLb0EEEEDaS1F_S1G_EUlS1F_E_NS1_11comp_targetILNS1_3genE5ELNS1_11target_archE942ELNS1_3gpuE9ELNS1_3repE0EEENS1_30default_config_static_selectorELNS0_4arch9wavefront6targetE0EEEvT1_: ; @_ZN7rocprim17ROCPRIM_400000_NS6detail17trampoline_kernelINS0_14default_configENS1_25partition_config_selectorILNS1_17partition_subalgoE6EiNS0_10empty_typeEbEEZZNS1_14partition_implILS5_6ELb0ES3_mN6thrust23THRUST_200600_302600_NS6detail15normal_iteratorINSA_10device_ptrIiEEEEPS6_SG_NS0_5tupleIJSF_S6_EEENSH_IJSG_SG_EEES6_PlJNSB_9not_fun_tINSB_10functional5actorINSM_9compositeIJNSM_27transparent_binary_operatorINSA_8equal_toIvEEEENSN_INSM_8argumentILj0EEEEENSM_5valueIiEEEEEEEEEEEE10hipError_tPvRmT3_T4_T5_T6_T7_T9_mT8_P12ihipStream_tbDpT10_ENKUlT_T0_E_clISt17integral_constantIbLb1EES1J_IbLb0EEEEDaS1F_S1G_EUlS1F_E_NS1_11comp_targetILNS1_3genE5ELNS1_11target_archE942ELNS1_3gpuE9ELNS1_3repE0EEENS1_30default_config_static_selectorELNS0_4arch9wavefront6targetE0EEEvT1_
; %bb.0:
	.section	.rodata,"a",@progbits
	.p2align	6, 0x0
	.amdhsa_kernel _ZN7rocprim17ROCPRIM_400000_NS6detail17trampoline_kernelINS0_14default_configENS1_25partition_config_selectorILNS1_17partition_subalgoE6EiNS0_10empty_typeEbEEZZNS1_14partition_implILS5_6ELb0ES3_mN6thrust23THRUST_200600_302600_NS6detail15normal_iteratorINSA_10device_ptrIiEEEEPS6_SG_NS0_5tupleIJSF_S6_EEENSH_IJSG_SG_EEES6_PlJNSB_9not_fun_tINSB_10functional5actorINSM_9compositeIJNSM_27transparent_binary_operatorINSA_8equal_toIvEEEENSN_INSM_8argumentILj0EEEEENSM_5valueIiEEEEEEEEEEEE10hipError_tPvRmT3_T4_T5_T6_T7_T9_mT8_P12ihipStream_tbDpT10_ENKUlT_T0_E_clISt17integral_constantIbLb1EES1J_IbLb0EEEEDaS1F_S1G_EUlS1F_E_NS1_11comp_targetILNS1_3genE5ELNS1_11target_archE942ELNS1_3gpuE9ELNS1_3repE0EEENS1_30default_config_static_selectorELNS0_4arch9wavefront6targetE0EEEvT1_
		.amdhsa_group_segment_fixed_size 0
		.amdhsa_private_segment_fixed_size 0
		.amdhsa_kernarg_size 120
		.amdhsa_user_sgpr_count 2
		.amdhsa_user_sgpr_dispatch_ptr 0
		.amdhsa_user_sgpr_queue_ptr 0
		.amdhsa_user_sgpr_kernarg_segment_ptr 1
		.amdhsa_user_sgpr_dispatch_id 0
		.amdhsa_user_sgpr_private_segment_size 0
		.amdhsa_wavefront_size32 1
		.amdhsa_uses_dynamic_stack 0
		.amdhsa_enable_private_segment 0
		.amdhsa_system_sgpr_workgroup_id_x 1
		.amdhsa_system_sgpr_workgroup_id_y 0
		.amdhsa_system_sgpr_workgroup_id_z 0
		.amdhsa_system_sgpr_workgroup_info 0
		.amdhsa_system_vgpr_workitem_id 0
		.amdhsa_next_free_vgpr 1
		.amdhsa_next_free_sgpr 1
		.amdhsa_reserve_vcc 0
		.amdhsa_float_round_mode_32 0
		.amdhsa_float_round_mode_16_64 0
		.amdhsa_float_denorm_mode_32 3
		.amdhsa_float_denorm_mode_16_64 3
		.amdhsa_fp16_overflow 0
		.amdhsa_workgroup_processor_mode 1
		.amdhsa_memory_ordered 1
		.amdhsa_forward_progress 1
		.amdhsa_inst_pref_size 0
		.amdhsa_round_robin_scheduling 0
		.amdhsa_exception_fp_ieee_invalid_op 0
		.amdhsa_exception_fp_denorm_src 0
		.amdhsa_exception_fp_ieee_div_zero 0
		.amdhsa_exception_fp_ieee_overflow 0
		.amdhsa_exception_fp_ieee_underflow 0
		.amdhsa_exception_fp_ieee_inexact 0
		.amdhsa_exception_int_div_zero 0
	.end_amdhsa_kernel
	.section	.text._ZN7rocprim17ROCPRIM_400000_NS6detail17trampoline_kernelINS0_14default_configENS1_25partition_config_selectorILNS1_17partition_subalgoE6EiNS0_10empty_typeEbEEZZNS1_14partition_implILS5_6ELb0ES3_mN6thrust23THRUST_200600_302600_NS6detail15normal_iteratorINSA_10device_ptrIiEEEEPS6_SG_NS0_5tupleIJSF_S6_EEENSH_IJSG_SG_EEES6_PlJNSB_9not_fun_tINSB_10functional5actorINSM_9compositeIJNSM_27transparent_binary_operatorINSA_8equal_toIvEEEENSN_INSM_8argumentILj0EEEEENSM_5valueIiEEEEEEEEEEEE10hipError_tPvRmT3_T4_T5_T6_T7_T9_mT8_P12ihipStream_tbDpT10_ENKUlT_T0_E_clISt17integral_constantIbLb1EES1J_IbLb0EEEEDaS1F_S1G_EUlS1F_E_NS1_11comp_targetILNS1_3genE5ELNS1_11target_archE942ELNS1_3gpuE9ELNS1_3repE0EEENS1_30default_config_static_selectorELNS0_4arch9wavefront6targetE0EEEvT1_,"axG",@progbits,_ZN7rocprim17ROCPRIM_400000_NS6detail17trampoline_kernelINS0_14default_configENS1_25partition_config_selectorILNS1_17partition_subalgoE6EiNS0_10empty_typeEbEEZZNS1_14partition_implILS5_6ELb0ES3_mN6thrust23THRUST_200600_302600_NS6detail15normal_iteratorINSA_10device_ptrIiEEEEPS6_SG_NS0_5tupleIJSF_S6_EEENSH_IJSG_SG_EEES6_PlJNSB_9not_fun_tINSB_10functional5actorINSM_9compositeIJNSM_27transparent_binary_operatorINSA_8equal_toIvEEEENSN_INSM_8argumentILj0EEEEENSM_5valueIiEEEEEEEEEEEE10hipError_tPvRmT3_T4_T5_T6_T7_T9_mT8_P12ihipStream_tbDpT10_ENKUlT_T0_E_clISt17integral_constantIbLb1EES1J_IbLb0EEEEDaS1F_S1G_EUlS1F_E_NS1_11comp_targetILNS1_3genE5ELNS1_11target_archE942ELNS1_3gpuE9ELNS1_3repE0EEENS1_30default_config_static_selectorELNS0_4arch9wavefront6targetE0EEEvT1_,comdat
.Lfunc_end228:
	.size	_ZN7rocprim17ROCPRIM_400000_NS6detail17trampoline_kernelINS0_14default_configENS1_25partition_config_selectorILNS1_17partition_subalgoE6EiNS0_10empty_typeEbEEZZNS1_14partition_implILS5_6ELb0ES3_mN6thrust23THRUST_200600_302600_NS6detail15normal_iteratorINSA_10device_ptrIiEEEEPS6_SG_NS0_5tupleIJSF_S6_EEENSH_IJSG_SG_EEES6_PlJNSB_9not_fun_tINSB_10functional5actorINSM_9compositeIJNSM_27transparent_binary_operatorINSA_8equal_toIvEEEENSN_INSM_8argumentILj0EEEEENSM_5valueIiEEEEEEEEEEEE10hipError_tPvRmT3_T4_T5_T6_T7_T9_mT8_P12ihipStream_tbDpT10_ENKUlT_T0_E_clISt17integral_constantIbLb1EES1J_IbLb0EEEEDaS1F_S1G_EUlS1F_E_NS1_11comp_targetILNS1_3genE5ELNS1_11target_archE942ELNS1_3gpuE9ELNS1_3repE0EEENS1_30default_config_static_selectorELNS0_4arch9wavefront6targetE0EEEvT1_, .Lfunc_end228-_ZN7rocprim17ROCPRIM_400000_NS6detail17trampoline_kernelINS0_14default_configENS1_25partition_config_selectorILNS1_17partition_subalgoE6EiNS0_10empty_typeEbEEZZNS1_14partition_implILS5_6ELb0ES3_mN6thrust23THRUST_200600_302600_NS6detail15normal_iteratorINSA_10device_ptrIiEEEEPS6_SG_NS0_5tupleIJSF_S6_EEENSH_IJSG_SG_EEES6_PlJNSB_9not_fun_tINSB_10functional5actorINSM_9compositeIJNSM_27transparent_binary_operatorINSA_8equal_toIvEEEENSN_INSM_8argumentILj0EEEEENSM_5valueIiEEEEEEEEEEEE10hipError_tPvRmT3_T4_T5_T6_T7_T9_mT8_P12ihipStream_tbDpT10_ENKUlT_T0_E_clISt17integral_constantIbLb1EES1J_IbLb0EEEEDaS1F_S1G_EUlS1F_E_NS1_11comp_targetILNS1_3genE5ELNS1_11target_archE942ELNS1_3gpuE9ELNS1_3repE0EEENS1_30default_config_static_selectorELNS0_4arch9wavefront6targetE0EEEvT1_
                                        ; -- End function
	.set _ZN7rocprim17ROCPRIM_400000_NS6detail17trampoline_kernelINS0_14default_configENS1_25partition_config_selectorILNS1_17partition_subalgoE6EiNS0_10empty_typeEbEEZZNS1_14partition_implILS5_6ELb0ES3_mN6thrust23THRUST_200600_302600_NS6detail15normal_iteratorINSA_10device_ptrIiEEEEPS6_SG_NS0_5tupleIJSF_S6_EEENSH_IJSG_SG_EEES6_PlJNSB_9not_fun_tINSB_10functional5actorINSM_9compositeIJNSM_27transparent_binary_operatorINSA_8equal_toIvEEEENSN_INSM_8argumentILj0EEEEENSM_5valueIiEEEEEEEEEEEE10hipError_tPvRmT3_T4_T5_T6_T7_T9_mT8_P12ihipStream_tbDpT10_ENKUlT_T0_E_clISt17integral_constantIbLb1EES1J_IbLb0EEEEDaS1F_S1G_EUlS1F_E_NS1_11comp_targetILNS1_3genE5ELNS1_11target_archE942ELNS1_3gpuE9ELNS1_3repE0EEENS1_30default_config_static_selectorELNS0_4arch9wavefront6targetE0EEEvT1_.num_vgpr, 0
	.set _ZN7rocprim17ROCPRIM_400000_NS6detail17trampoline_kernelINS0_14default_configENS1_25partition_config_selectorILNS1_17partition_subalgoE6EiNS0_10empty_typeEbEEZZNS1_14partition_implILS5_6ELb0ES3_mN6thrust23THRUST_200600_302600_NS6detail15normal_iteratorINSA_10device_ptrIiEEEEPS6_SG_NS0_5tupleIJSF_S6_EEENSH_IJSG_SG_EEES6_PlJNSB_9not_fun_tINSB_10functional5actorINSM_9compositeIJNSM_27transparent_binary_operatorINSA_8equal_toIvEEEENSN_INSM_8argumentILj0EEEEENSM_5valueIiEEEEEEEEEEEE10hipError_tPvRmT3_T4_T5_T6_T7_T9_mT8_P12ihipStream_tbDpT10_ENKUlT_T0_E_clISt17integral_constantIbLb1EES1J_IbLb0EEEEDaS1F_S1G_EUlS1F_E_NS1_11comp_targetILNS1_3genE5ELNS1_11target_archE942ELNS1_3gpuE9ELNS1_3repE0EEENS1_30default_config_static_selectorELNS0_4arch9wavefront6targetE0EEEvT1_.num_agpr, 0
	.set _ZN7rocprim17ROCPRIM_400000_NS6detail17trampoline_kernelINS0_14default_configENS1_25partition_config_selectorILNS1_17partition_subalgoE6EiNS0_10empty_typeEbEEZZNS1_14partition_implILS5_6ELb0ES3_mN6thrust23THRUST_200600_302600_NS6detail15normal_iteratorINSA_10device_ptrIiEEEEPS6_SG_NS0_5tupleIJSF_S6_EEENSH_IJSG_SG_EEES6_PlJNSB_9not_fun_tINSB_10functional5actorINSM_9compositeIJNSM_27transparent_binary_operatorINSA_8equal_toIvEEEENSN_INSM_8argumentILj0EEEEENSM_5valueIiEEEEEEEEEEEE10hipError_tPvRmT3_T4_T5_T6_T7_T9_mT8_P12ihipStream_tbDpT10_ENKUlT_T0_E_clISt17integral_constantIbLb1EES1J_IbLb0EEEEDaS1F_S1G_EUlS1F_E_NS1_11comp_targetILNS1_3genE5ELNS1_11target_archE942ELNS1_3gpuE9ELNS1_3repE0EEENS1_30default_config_static_selectorELNS0_4arch9wavefront6targetE0EEEvT1_.numbered_sgpr, 0
	.set _ZN7rocprim17ROCPRIM_400000_NS6detail17trampoline_kernelINS0_14default_configENS1_25partition_config_selectorILNS1_17partition_subalgoE6EiNS0_10empty_typeEbEEZZNS1_14partition_implILS5_6ELb0ES3_mN6thrust23THRUST_200600_302600_NS6detail15normal_iteratorINSA_10device_ptrIiEEEEPS6_SG_NS0_5tupleIJSF_S6_EEENSH_IJSG_SG_EEES6_PlJNSB_9not_fun_tINSB_10functional5actorINSM_9compositeIJNSM_27transparent_binary_operatorINSA_8equal_toIvEEEENSN_INSM_8argumentILj0EEEEENSM_5valueIiEEEEEEEEEEEE10hipError_tPvRmT3_T4_T5_T6_T7_T9_mT8_P12ihipStream_tbDpT10_ENKUlT_T0_E_clISt17integral_constantIbLb1EES1J_IbLb0EEEEDaS1F_S1G_EUlS1F_E_NS1_11comp_targetILNS1_3genE5ELNS1_11target_archE942ELNS1_3gpuE9ELNS1_3repE0EEENS1_30default_config_static_selectorELNS0_4arch9wavefront6targetE0EEEvT1_.num_named_barrier, 0
	.set _ZN7rocprim17ROCPRIM_400000_NS6detail17trampoline_kernelINS0_14default_configENS1_25partition_config_selectorILNS1_17partition_subalgoE6EiNS0_10empty_typeEbEEZZNS1_14partition_implILS5_6ELb0ES3_mN6thrust23THRUST_200600_302600_NS6detail15normal_iteratorINSA_10device_ptrIiEEEEPS6_SG_NS0_5tupleIJSF_S6_EEENSH_IJSG_SG_EEES6_PlJNSB_9not_fun_tINSB_10functional5actorINSM_9compositeIJNSM_27transparent_binary_operatorINSA_8equal_toIvEEEENSN_INSM_8argumentILj0EEEEENSM_5valueIiEEEEEEEEEEEE10hipError_tPvRmT3_T4_T5_T6_T7_T9_mT8_P12ihipStream_tbDpT10_ENKUlT_T0_E_clISt17integral_constantIbLb1EES1J_IbLb0EEEEDaS1F_S1G_EUlS1F_E_NS1_11comp_targetILNS1_3genE5ELNS1_11target_archE942ELNS1_3gpuE9ELNS1_3repE0EEENS1_30default_config_static_selectorELNS0_4arch9wavefront6targetE0EEEvT1_.private_seg_size, 0
	.set _ZN7rocprim17ROCPRIM_400000_NS6detail17trampoline_kernelINS0_14default_configENS1_25partition_config_selectorILNS1_17partition_subalgoE6EiNS0_10empty_typeEbEEZZNS1_14partition_implILS5_6ELb0ES3_mN6thrust23THRUST_200600_302600_NS6detail15normal_iteratorINSA_10device_ptrIiEEEEPS6_SG_NS0_5tupleIJSF_S6_EEENSH_IJSG_SG_EEES6_PlJNSB_9not_fun_tINSB_10functional5actorINSM_9compositeIJNSM_27transparent_binary_operatorINSA_8equal_toIvEEEENSN_INSM_8argumentILj0EEEEENSM_5valueIiEEEEEEEEEEEE10hipError_tPvRmT3_T4_T5_T6_T7_T9_mT8_P12ihipStream_tbDpT10_ENKUlT_T0_E_clISt17integral_constantIbLb1EES1J_IbLb0EEEEDaS1F_S1G_EUlS1F_E_NS1_11comp_targetILNS1_3genE5ELNS1_11target_archE942ELNS1_3gpuE9ELNS1_3repE0EEENS1_30default_config_static_selectorELNS0_4arch9wavefront6targetE0EEEvT1_.uses_vcc, 0
	.set _ZN7rocprim17ROCPRIM_400000_NS6detail17trampoline_kernelINS0_14default_configENS1_25partition_config_selectorILNS1_17partition_subalgoE6EiNS0_10empty_typeEbEEZZNS1_14partition_implILS5_6ELb0ES3_mN6thrust23THRUST_200600_302600_NS6detail15normal_iteratorINSA_10device_ptrIiEEEEPS6_SG_NS0_5tupleIJSF_S6_EEENSH_IJSG_SG_EEES6_PlJNSB_9not_fun_tINSB_10functional5actorINSM_9compositeIJNSM_27transparent_binary_operatorINSA_8equal_toIvEEEENSN_INSM_8argumentILj0EEEEENSM_5valueIiEEEEEEEEEEEE10hipError_tPvRmT3_T4_T5_T6_T7_T9_mT8_P12ihipStream_tbDpT10_ENKUlT_T0_E_clISt17integral_constantIbLb1EES1J_IbLb0EEEEDaS1F_S1G_EUlS1F_E_NS1_11comp_targetILNS1_3genE5ELNS1_11target_archE942ELNS1_3gpuE9ELNS1_3repE0EEENS1_30default_config_static_selectorELNS0_4arch9wavefront6targetE0EEEvT1_.uses_flat_scratch, 0
	.set _ZN7rocprim17ROCPRIM_400000_NS6detail17trampoline_kernelINS0_14default_configENS1_25partition_config_selectorILNS1_17partition_subalgoE6EiNS0_10empty_typeEbEEZZNS1_14partition_implILS5_6ELb0ES3_mN6thrust23THRUST_200600_302600_NS6detail15normal_iteratorINSA_10device_ptrIiEEEEPS6_SG_NS0_5tupleIJSF_S6_EEENSH_IJSG_SG_EEES6_PlJNSB_9not_fun_tINSB_10functional5actorINSM_9compositeIJNSM_27transparent_binary_operatorINSA_8equal_toIvEEEENSN_INSM_8argumentILj0EEEEENSM_5valueIiEEEEEEEEEEEE10hipError_tPvRmT3_T4_T5_T6_T7_T9_mT8_P12ihipStream_tbDpT10_ENKUlT_T0_E_clISt17integral_constantIbLb1EES1J_IbLb0EEEEDaS1F_S1G_EUlS1F_E_NS1_11comp_targetILNS1_3genE5ELNS1_11target_archE942ELNS1_3gpuE9ELNS1_3repE0EEENS1_30default_config_static_selectorELNS0_4arch9wavefront6targetE0EEEvT1_.has_dyn_sized_stack, 0
	.set _ZN7rocprim17ROCPRIM_400000_NS6detail17trampoline_kernelINS0_14default_configENS1_25partition_config_selectorILNS1_17partition_subalgoE6EiNS0_10empty_typeEbEEZZNS1_14partition_implILS5_6ELb0ES3_mN6thrust23THRUST_200600_302600_NS6detail15normal_iteratorINSA_10device_ptrIiEEEEPS6_SG_NS0_5tupleIJSF_S6_EEENSH_IJSG_SG_EEES6_PlJNSB_9not_fun_tINSB_10functional5actorINSM_9compositeIJNSM_27transparent_binary_operatorINSA_8equal_toIvEEEENSN_INSM_8argumentILj0EEEEENSM_5valueIiEEEEEEEEEEEE10hipError_tPvRmT3_T4_T5_T6_T7_T9_mT8_P12ihipStream_tbDpT10_ENKUlT_T0_E_clISt17integral_constantIbLb1EES1J_IbLb0EEEEDaS1F_S1G_EUlS1F_E_NS1_11comp_targetILNS1_3genE5ELNS1_11target_archE942ELNS1_3gpuE9ELNS1_3repE0EEENS1_30default_config_static_selectorELNS0_4arch9wavefront6targetE0EEEvT1_.has_recursion, 0
	.set _ZN7rocprim17ROCPRIM_400000_NS6detail17trampoline_kernelINS0_14default_configENS1_25partition_config_selectorILNS1_17partition_subalgoE6EiNS0_10empty_typeEbEEZZNS1_14partition_implILS5_6ELb0ES3_mN6thrust23THRUST_200600_302600_NS6detail15normal_iteratorINSA_10device_ptrIiEEEEPS6_SG_NS0_5tupleIJSF_S6_EEENSH_IJSG_SG_EEES6_PlJNSB_9not_fun_tINSB_10functional5actorINSM_9compositeIJNSM_27transparent_binary_operatorINSA_8equal_toIvEEEENSN_INSM_8argumentILj0EEEEENSM_5valueIiEEEEEEEEEEEE10hipError_tPvRmT3_T4_T5_T6_T7_T9_mT8_P12ihipStream_tbDpT10_ENKUlT_T0_E_clISt17integral_constantIbLb1EES1J_IbLb0EEEEDaS1F_S1G_EUlS1F_E_NS1_11comp_targetILNS1_3genE5ELNS1_11target_archE942ELNS1_3gpuE9ELNS1_3repE0EEENS1_30default_config_static_selectorELNS0_4arch9wavefront6targetE0EEEvT1_.has_indirect_call, 0
	.section	.AMDGPU.csdata,"",@progbits
; Kernel info:
; codeLenInByte = 0
; TotalNumSgprs: 0
; NumVgprs: 0
; ScratchSize: 0
; MemoryBound: 0
; FloatMode: 240
; IeeeMode: 1
; LDSByteSize: 0 bytes/workgroup (compile time only)
; SGPRBlocks: 0
; VGPRBlocks: 0
; NumSGPRsForWavesPerEU: 1
; NumVGPRsForWavesPerEU: 1
; Occupancy: 16
; WaveLimiterHint : 0
; COMPUTE_PGM_RSRC2:SCRATCH_EN: 0
; COMPUTE_PGM_RSRC2:USER_SGPR: 2
; COMPUTE_PGM_RSRC2:TRAP_HANDLER: 0
; COMPUTE_PGM_RSRC2:TGID_X_EN: 1
; COMPUTE_PGM_RSRC2:TGID_Y_EN: 0
; COMPUTE_PGM_RSRC2:TGID_Z_EN: 0
; COMPUTE_PGM_RSRC2:TIDIG_COMP_CNT: 0
	.section	.text._ZN7rocprim17ROCPRIM_400000_NS6detail17trampoline_kernelINS0_14default_configENS1_25partition_config_selectorILNS1_17partition_subalgoE6EiNS0_10empty_typeEbEEZZNS1_14partition_implILS5_6ELb0ES3_mN6thrust23THRUST_200600_302600_NS6detail15normal_iteratorINSA_10device_ptrIiEEEEPS6_SG_NS0_5tupleIJSF_S6_EEENSH_IJSG_SG_EEES6_PlJNSB_9not_fun_tINSB_10functional5actorINSM_9compositeIJNSM_27transparent_binary_operatorINSA_8equal_toIvEEEENSN_INSM_8argumentILj0EEEEENSM_5valueIiEEEEEEEEEEEE10hipError_tPvRmT3_T4_T5_T6_T7_T9_mT8_P12ihipStream_tbDpT10_ENKUlT_T0_E_clISt17integral_constantIbLb1EES1J_IbLb0EEEEDaS1F_S1G_EUlS1F_E_NS1_11comp_targetILNS1_3genE4ELNS1_11target_archE910ELNS1_3gpuE8ELNS1_3repE0EEENS1_30default_config_static_selectorELNS0_4arch9wavefront6targetE0EEEvT1_,"axG",@progbits,_ZN7rocprim17ROCPRIM_400000_NS6detail17trampoline_kernelINS0_14default_configENS1_25partition_config_selectorILNS1_17partition_subalgoE6EiNS0_10empty_typeEbEEZZNS1_14partition_implILS5_6ELb0ES3_mN6thrust23THRUST_200600_302600_NS6detail15normal_iteratorINSA_10device_ptrIiEEEEPS6_SG_NS0_5tupleIJSF_S6_EEENSH_IJSG_SG_EEES6_PlJNSB_9not_fun_tINSB_10functional5actorINSM_9compositeIJNSM_27transparent_binary_operatorINSA_8equal_toIvEEEENSN_INSM_8argumentILj0EEEEENSM_5valueIiEEEEEEEEEEEE10hipError_tPvRmT3_T4_T5_T6_T7_T9_mT8_P12ihipStream_tbDpT10_ENKUlT_T0_E_clISt17integral_constantIbLb1EES1J_IbLb0EEEEDaS1F_S1G_EUlS1F_E_NS1_11comp_targetILNS1_3genE4ELNS1_11target_archE910ELNS1_3gpuE8ELNS1_3repE0EEENS1_30default_config_static_selectorELNS0_4arch9wavefront6targetE0EEEvT1_,comdat
	.protected	_ZN7rocprim17ROCPRIM_400000_NS6detail17trampoline_kernelINS0_14default_configENS1_25partition_config_selectorILNS1_17partition_subalgoE6EiNS0_10empty_typeEbEEZZNS1_14partition_implILS5_6ELb0ES3_mN6thrust23THRUST_200600_302600_NS6detail15normal_iteratorINSA_10device_ptrIiEEEEPS6_SG_NS0_5tupleIJSF_S6_EEENSH_IJSG_SG_EEES6_PlJNSB_9not_fun_tINSB_10functional5actorINSM_9compositeIJNSM_27transparent_binary_operatorINSA_8equal_toIvEEEENSN_INSM_8argumentILj0EEEEENSM_5valueIiEEEEEEEEEEEE10hipError_tPvRmT3_T4_T5_T6_T7_T9_mT8_P12ihipStream_tbDpT10_ENKUlT_T0_E_clISt17integral_constantIbLb1EES1J_IbLb0EEEEDaS1F_S1G_EUlS1F_E_NS1_11comp_targetILNS1_3genE4ELNS1_11target_archE910ELNS1_3gpuE8ELNS1_3repE0EEENS1_30default_config_static_selectorELNS0_4arch9wavefront6targetE0EEEvT1_ ; -- Begin function _ZN7rocprim17ROCPRIM_400000_NS6detail17trampoline_kernelINS0_14default_configENS1_25partition_config_selectorILNS1_17partition_subalgoE6EiNS0_10empty_typeEbEEZZNS1_14partition_implILS5_6ELb0ES3_mN6thrust23THRUST_200600_302600_NS6detail15normal_iteratorINSA_10device_ptrIiEEEEPS6_SG_NS0_5tupleIJSF_S6_EEENSH_IJSG_SG_EEES6_PlJNSB_9not_fun_tINSB_10functional5actorINSM_9compositeIJNSM_27transparent_binary_operatorINSA_8equal_toIvEEEENSN_INSM_8argumentILj0EEEEENSM_5valueIiEEEEEEEEEEEE10hipError_tPvRmT3_T4_T5_T6_T7_T9_mT8_P12ihipStream_tbDpT10_ENKUlT_T0_E_clISt17integral_constantIbLb1EES1J_IbLb0EEEEDaS1F_S1G_EUlS1F_E_NS1_11comp_targetILNS1_3genE4ELNS1_11target_archE910ELNS1_3gpuE8ELNS1_3repE0EEENS1_30default_config_static_selectorELNS0_4arch9wavefront6targetE0EEEvT1_
	.globl	_ZN7rocprim17ROCPRIM_400000_NS6detail17trampoline_kernelINS0_14default_configENS1_25partition_config_selectorILNS1_17partition_subalgoE6EiNS0_10empty_typeEbEEZZNS1_14partition_implILS5_6ELb0ES3_mN6thrust23THRUST_200600_302600_NS6detail15normal_iteratorINSA_10device_ptrIiEEEEPS6_SG_NS0_5tupleIJSF_S6_EEENSH_IJSG_SG_EEES6_PlJNSB_9not_fun_tINSB_10functional5actorINSM_9compositeIJNSM_27transparent_binary_operatorINSA_8equal_toIvEEEENSN_INSM_8argumentILj0EEEEENSM_5valueIiEEEEEEEEEEEE10hipError_tPvRmT3_T4_T5_T6_T7_T9_mT8_P12ihipStream_tbDpT10_ENKUlT_T0_E_clISt17integral_constantIbLb1EES1J_IbLb0EEEEDaS1F_S1G_EUlS1F_E_NS1_11comp_targetILNS1_3genE4ELNS1_11target_archE910ELNS1_3gpuE8ELNS1_3repE0EEENS1_30default_config_static_selectorELNS0_4arch9wavefront6targetE0EEEvT1_
	.p2align	8
	.type	_ZN7rocprim17ROCPRIM_400000_NS6detail17trampoline_kernelINS0_14default_configENS1_25partition_config_selectorILNS1_17partition_subalgoE6EiNS0_10empty_typeEbEEZZNS1_14partition_implILS5_6ELb0ES3_mN6thrust23THRUST_200600_302600_NS6detail15normal_iteratorINSA_10device_ptrIiEEEEPS6_SG_NS0_5tupleIJSF_S6_EEENSH_IJSG_SG_EEES6_PlJNSB_9not_fun_tINSB_10functional5actorINSM_9compositeIJNSM_27transparent_binary_operatorINSA_8equal_toIvEEEENSN_INSM_8argumentILj0EEEEENSM_5valueIiEEEEEEEEEEEE10hipError_tPvRmT3_T4_T5_T6_T7_T9_mT8_P12ihipStream_tbDpT10_ENKUlT_T0_E_clISt17integral_constantIbLb1EES1J_IbLb0EEEEDaS1F_S1G_EUlS1F_E_NS1_11comp_targetILNS1_3genE4ELNS1_11target_archE910ELNS1_3gpuE8ELNS1_3repE0EEENS1_30default_config_static_selectorELNS0_4arch9wavefront6targetE0EEEvT1_,@function
_ZN7rocprim17ROCPRIM_400000_NS6detail17trampoline_kernelINS0_14default_configENS1_25partition_config_selectorILNS1_17partition_subalgoE6EiNS0_10empty_typeEbEEZZNS1_14partition_implILS5_6ELb0ES3_mN6thrust23THRUST_200600_302600_NS6detail15normal_iteratorINSA_10device_ptrIiEEEEPS6_SG_NS0_5tupleIJSF_S6_EEENSH_IJSG_SG_EEES6_PlJNSB_9not_fun_tINSB_10functional5actorINSM_9compositeIJNSM_27transparent_binary_operatorINSA_8equal_toIvEEEENSN_INSM_8argumentILj0EEEEENSM_5valueIiEEEEEEEEEEEE10hipError_tPvRmT3_T4_T5_T6_T7_T9_mT8_P12ihipStream_tbDpT10_ENKUlT_T0_E_clISt17integral_constantIbLb1EES1J_IbLb0EEEEDaS1F_S1G_EUlS1F_E_NS1_11comp_targetILNS1_3genE4ELNS1_11target_archE910ELNS1_3gpuE8ELNS1_3repE0EEENS1_30default_config_static_selectorELNS0_4arch9wavefront6targetE0EEEvT1_: ; @_ZN7rocprim17ROCPRIM_400000_NS6detail17trampoline_kernelINS0_14default_configENS1_25partition_config_selectorILNS1_17partition_subalgoE6EiNS0_10empty_typeEbEEZZNS1_14partition_implILS5_6ELb0ES3_mN6thrust23THRUST_200600_302600_NS6detail15normal_iteratorINSA_10device_ptrIiEEEEPS6_SG_NS0_5tupleIJSF_S6_EEENSH_IJSG_SG_EEES6_PlJNSB_9not_fun_tINSB_10functional5actorINSM_9compositeIJNSM_27transparent_binary_operatorINSA_8equal_toIvEEEENSN_INSM_8argumentILj0EEEEENSM_5valueIiEEEEEEEEEEEE10hipError_tPvRmT3_T4_T5_T6_T7_T9_mT8_P12ihipStream_tbDpT10_ENKUlT_T0_E_clISt17integral_constantIbLb1EES1J_IbLb0EEEEDaS1F_S1G_EUlS1F_E_NS1_11comp_targetILNS1_3genE4ELNS1_11target_archE910ELNS1_3gpuE8ELNS1_3repE0EEENS1_30default_config_static_selectorELNS0_4arch9wavefront6targetE0EEEvT1_
; %bb.0:
	.section	.rodata,"a",@progbits
	.p2align	6, 0x0
	.amdhsa_kernel _ZN7rocprim17ROCPRIM_400000_NS6detail17trampoline_kernelINS0_14default_configENS1_25partition_config_selectorILNS1_17partition_subalgoE6EiNS0_10empty_typeEbEEZZNS1_14partition_implILS5_6ELb0ES3_mN6thrust23THRUST_200600_302600_NS6detail15normal_iteratorINSA_10device_ptrIiEEEEPS6_SG_NS0_5tupleIJSF_S6_EEENSH_IJSG_SG_EEES6_PlJNSB_9not_fun_tINSB_10functional5actorINSM_9compositeIJNSM_27transparent_binary_operatorINSA_8equal_toIvEEEENSN_INSM_8argumentILj0EEEEENSM_5valueIiEEEEEEEEEEEE10hipError_tPvRmT3_T4_T5_T6_T7_T9_mT8_P12ihipStream_tbDpT10_ENKUlT_T0_E_clISt17integral_constantIbLb1EES1J_IbLb0EEEEDaS1F_S1G_EUlS1F_E_NS1_11comp_targetILNS1_3genE4ELNS1_11target_archE910ELNS1_3gpuE8ELNS1_3repE0EEENS1_30default_config_static_selectorELNS0_4arch9wavefront6targetE0EEEvT1_
		.amdhsa_group_segment_fixed_size 0
		.amdhsa_private_segment_fixed_size 0
		.amdhsa_kernarg_size 120
		.amdhsa_user_sgpr_count 2
		.amdhsa_user_sgpr_dispatch_ptr 0
		.amdhsa_user_sgpr_queue_ptr 0
		.amdhsa_user_sgpr_kernarg_segment_ptr 1
		.amdhsa_user_sgpr_dispatch_id 0
		.amdhsa_user_sgpr_private_segment_size 0
		.amdhsa_wavefront_size32 1
		.amdhsa_uses_dynamic_stack 0
		.amdhsa_enable_private_segment 0
		.amdhsa_system_sgpr_workgroup_id_x 1
		.amdhsa_system_sgpr_workgroup_id_y 0
		.amdhsa_system_sgpr_workgroup_id_z 0
		.amdhsa_system_sgpr_workgroup_info 0
		.amdhsa_system_vgpr_workitem_id 0
		.amdhsa_next_free_vgpr 1
		.amdhsa_next_free_sgpr 1
		.amdhsa_reserve_vcc 0
		.amdhsa_float_round_mode_32 0
		.amdhsa_float_round_mode_16_64 0
		.amdhsa_float_denorm_mode_32 3
		.amdhsa_float_denorm_mode_16_64 3
		.amdhsa_fp16_overflow 0
		.amdhsa_workgroup_processor_mode 1
		.amdhsa_memory_ordered 1
		.amdhsa_forward_progress 1
		.amdhsa_inst_pref_size 0
		.amdhsa_round_robin_scheduling 0
		.amdhsa_exception_fp_ieee_invalid_op 0
		.amdhsa_exception_fp_denorm_src 0
		.amdhsa_exception_fp_ieee_div_zero 0
		.amdhsa_exception_fp_ieee_overflow 0
		.amdhsa_exception_fp_ieee_underflow 0
		.amdhsa_exception_fp_ieee_inexact 0
		.amdhsa_exception_int_div_zero 0
	.end_amdhsa_kernel
	.section	.text._ZN7rocprim17ROCPRIM_400000_NS6detail17trampoline_kernelINS0_14default_configENS1_25partition_config_selectorILNS1_17partition_subalgoE6EiNS0_10empty_typeEbEEZZNS1_14partition_implILS5_6ELb0ES3_mN6thrust23THRUST_200600_302600_NS6detail15normal_iteratorINSA_10device_ptrIiEEEEPS6_SG_NS0_5tupleIJSF_S6_EEENSH_IJSG_SG_EEES6_PlJNSB_9not_fun_tINSB_10functional5actorINSM_9compositeIJNSM_27transparent_binary_operatorINSA_8equal_toIvEEEENSN_INSM_8argumentILj0EEEEENSM_5valueIiEEEEEEEEEEEE10hipError_tPvRmT3_T4_T5_T6_T7_T9_mT8_P12ihipStream_tbDpT10_ENKUlT_T0_E_clISt17integral_constantIbLb1EES1J_IbLb0EEEEDaS1F_S1G_EUlS1F_E_NS1_11comp_targetILNS1_3genE4ELNS1_11target_archE910ELNS1_3gpuE8ELNS1_3repE0EEENS1_30default_config_static_selectorELNS0_4arch9wavefront6targetE0EEEvT1_,"axG",@progbits,_ZN7rocprim17ROCPRIM_400000_NS6detail17trampoline_kernelINS0_14default_configENS1_25partition_config_selectorILNS1_17partition_subalgoE6EiNS0_10empty_typeEbEEZZNS1_14partition_implILS5_6ELb0ES3_mN6thrust23THRUST_200600_302600_NS6detail15normal_iteratorINSA_10device_ptrIiEEEEPS6_SG_NS0_5tupleIJSF_S6_EEENSH_IJSG_SG_EEES6_PlJNSB_9not_fun_tINSB_10functional5actorINSM_9compositeIJNSM_27transparent_binary_operatorINSA_8equal_toIvEEEENSN_INSM_8argumentILj0EEEEENSM_5valueIiEEEEEEEEEEEE10hipError_tPvRmT3_T4_T5_T6_T7_T9_mT8_P12ihipStream_tbDpT10_ENKUlT_T0_E_clISt17integral_constantIbLb1EES1J_IbLb0EEEEDaS1F_S1G_EUlS1F_E_NS1_11comp_targetILNS1_3genE4ELNS1_11target_archE910ELNS1_3gpuE8ELNS1_3repE0EEENS1_30default_config_static_selectorELNS0_4arch9wavefront6targetE0EEEvT1_,comdat
.Lfunc_end229:
	.size	_ZN7rocprim17ROCPRIM_400000_NS6detail17trampoline_kernelINS0_14default_configENS1_25partition_config_selectorILNS1_17partition_subalgoE6EiNS0_10empty_typeEbEEZZNS1_14partition_implILS5_6ELb0ES3_mN6thrust23THRUST_200600_302600_NS6detail15normal_iteratorINSA_10device_ptrIiEEEEPS6_SG_NS0_5tupleIJSF_S6_EEENSH_IJSG_SG_EEES6_PlJNSB_9not_fun_tINSB_10functional5actorINSM_9compositeIJNSM_27transparent_binary_operatorINSA_8equal_toIvEEEENSN_INSM_8argumentILj0EEEEENSM_5valueIiEEEEEEEEEEEE10hipError_tPvRmT3_T4_T5_T6_T7_T9_mT8_P12ihipStream_tbDpT10_ENKUlT_T0_E_clISt17integral_constantIbLb1EES1J_IbLb0EEEEDaS1F_S1G_EUlS1F_E_NS1_11comp_targetILNS1_3genE4ELNS1_11target_archE910ELNS1_3gpuE8ELNS1_3repE0EEENS1_30default_config_static_selectorELNS0_4arch9wavefront6targetE0EEEvT1_, .Lfunc_end229-_ZN7rocprim17ROCPRIM_400000_NS6detail17trampoline_kernelINS0_14default_configENS1_25partition_config_selectorILNS1_17partition_subalgoE6EiNS0_10empty_typeEbEEZZNS1_14partition_implILS5_6ELb0ES3_mN6thrust23THRUST_200600_302600_NS6detail15normal_iteratorINSA_10device_ptrIiEEEEPS6_SG_NS0_5tupleIJSF_S6_EEENSH_IJSG_SG_EEES6_PlJNSB_9not_fun_tINSB_10functional5actorINSM_9compositeIJNSM_27transparent_binary_operatorINSA_8equal_toIvEEEENSN_INSM_8argumentILj0EEEEENSM_5valueIiEEEEEEEEEEEE10hipError_tPvRmT3_T4_T5_T6_T7_T9_mT8_P12ihipStream_tbDpT10_ENKUlT_T0_E_clISt17integral_constantIbLb1EES1J_IbLb0EEEEDaS1F_S1G_EUlS1F_E_NS1_11comp_targetILNS1_3genE4ELNS1_11target_archE910ELNS1_3gpuE8ELNS1_3repE0EEENS1_30default_config_static_selectorELNS0_4arch9wavefront6targetE0EEEvT1_
                                        ; -- End function
	.set _ZN7rocprim17ROCPRIM_400000_NS6detail17trampoline_kernelINS0_14default_configENS1_25partition_config_selectorILNS1_17partition_subalgoE6EiNS0_10empty_typeEbEEZZNS1_14partition_implILS5_6ELb0ES3_mN6thrust23THRUST_200600_302600_NS6detail15normal_iteratorINSA_10device_ptrIiEEEEPS6_SG_NS0_5tupleIJSF_S6_EEENSH_IJSG_SG_EEES6_PlJNSB_9not_fun_tINSB_10functional5actorINSM_9compositeIJNSM_27transparent_binary_operatorINSA_8equal_toIvEEEENSN_INSM_8argumentILj0EEEEENSM_5valueIiEEEEEEEEEEEE10hipError_tPvRmT3_T4_T5_T6_T7_T9_mT8_P12ihipStream_tbDpT10_ENKUlT_T0_E_clISt17integral_constantIbLb1EES1J_IbLb0EEEEDaS1F_S1G_EUlS1F_E_NS1_11comp_targetILNS1_3genE4ELNS1_11target_archE910ELNS1_3gpuE8ELNS1_3repE0EEENS1_30default_config_static_selectorELNS0_4arch9wavefront6targetE0EEEvT1_.num_vgpr, 0
	.set _ZN7rocprim17ROCPRIM_400000_NS6detail17trampoline_kernelINS0_14default_configENS1_25partition_config_selectorILNS1_17partition_subalgoE6EiNS0_10empty_typeEbEEZZNS1_14partition_implILS5_6ELb0ES3_mN6thrust23THRUST_200600_302600_NS6detail15normal_iteratorINSA_10device_ptrIiEEEEPS6_SG_NS0_5tupleIJSF_S6_EEENSH_IJSG_SG_EEES6_PlJNSB_9not_fun_tINSB_10functional5actorINSM_9compositeIJNSM_27transparent_binary_operatorINSA_8equal_toIvEEEENSN_INSM_8argumentILj0EEEEENSM_5valueIiEEEEEEEEEEEE10hipError_tPvRmT3_T4_T5_T6_T7_T9_mT8_P12ihipStream_tbDpT10_ENKUlT_T0_E_clISt17integral_constantIbLb1EES1J_IbLb0EEEEDaS1F_S1G_EUlS1F_E_NS1_11comp_targetILNS1_3genE4ELNS1_11target_archE910ELNS1_3gpuE8ELNS1_3repE0EEENS1_30default_config_static_selectorELNS0_4arch9wavefront6targetE0EEEvT1_.num_agpr, 0
	.set _ZN7rocprim17ROCPRIM_400000_NS6detail17trampoline_kernelINS0_14default_configENS1_25partition_config_selectorILNS1_17partition_subalgoE6EiNS0_10empty_typeEbEEZZNS1_14partition_implILS5_6ELb0ES3_mN6thrust23THRUST_200600_302600_NS6detail15normal_iteratorINSA_10device_ptrIiEEEEPS6_SG_NS0_5tupleIJSF_S6_EEENSH_IJSG_SG_EEES6_PlJNSB_9not_fun_tINSB_10functional5actorINSM_9compositeIJNSM_27transparent_binary_operatorINSA_8equal_toIvEEEENSN_INSM_8argumentILj0EEEEENSM_5valueIiEEEEEEEEEEEE10hipError_tPvRmT3_T4_T5_T6_T7_T9_mT8_P12ihipStream_tbDpT10_ENKUlT_T0_E_clISt17integral_constantIbLb1EES1J_IbLb0EEEEDaS1F_S1G_EUlS1F_E_NS1_11comp_targetILNS1_3genE4ELNS1_11target_archE910ELNS1_3gpuE8ELNS1_3repE0EEENS1_30default_config_static_selectorELNS0_4arch9wavefront6targetE0EEEvT1_.numbered_sgpr, 0
	.set _ZN7rocprim17ROCPRIM_400000_NS6detail17trampoline_kernelINS0_14default_configENS1_25partition_config_selectorILNS1_17partition_subalgoE6EiNS0_10empty_typeEbEEZZNS1_14partition_implILS5_6ELb0ES3_mN6thrust23THRUST_200600_302600_NS6detail15normal_iteratorINSA_10device_ptrIiEEEEPS6_SG_NS0_5tupleIJSF_S6_EEENSH_IJSG_SG_EEES6_PlJNSB_9not_fun_tINSB_10functional5actorINSM_9compositeIJNSM_27transparent_binary_operatorINSA_8equal_toIvEEEENSN_INSM_8argumentILj0EEEEENSM_5valueIiEEEEEEEEEEEE10hipError_tPvRmT3_T4_T5_T6_T7_T9_mT8_P12ihipStream_tbDpT10_ENKUlT_T0_E_clISt17integral_constantIbLb1EES1J_IbLb0EEEEDaS1F_S1G_EUlS1F_E_NS1_11comp_targetILNS1_3genE4ELNS1_11target_archE910ELNS1_3gpuE8ELNS1_3repE0EEENS1_30default_config_static_selectorELNS0_4arch9wavefront6targetE0EEEvT1_.num_named_barrier, 0
	.set _ZN7rocprim17ROCPRIM_400000_NS6detail17trampoline_kernelINS0_14default_configENS1_25partition_config_selectorILNS1_17partition_subalgoE6EiNS0_10empty_typeEbEEZZNS1_14partition_implILS5_6ELb0ES3_mN6thrust23THRUST_200600_302600_NS6detail15normal_iteratorINSA_10device_ptrIiEEEEPS6_SG_NS0_5tupleIJSF_S6_EEENSH_IJSG_SG_EEES6_PlJNSB_9not_fun_tINSB_10functional5actorINSM_9compositeIJNSM_27transparent_binary_operatorINSA_8equal_toIvEEEENSN_INSM_8argumentILj0EEEEENSM_5valueIiEEEEEEEEEEEE10hipError_tPvRmT3_T4_T5_T6_T7_T9_mT8_P12ihipStream_tbDpT10_ENKUlT_T0_E_clISt17integral_constantIbLb1EES1J_IbLb0EEEEDaS1F_S1G_EUlS1F_E_NS1_11comp_targetILNS1_3genE4ELNS1_11target_archE910ELNS1_3gpuE8ELNS1_3repE0EEENS1_30default_config_static_selectorELNS0_4arch9wavefront6targetE0EEEvT1_.private_seg_size, 0
	.set _ZN7rocprim17ROCPRIM_400000_NS6detail17trampoline_kernelINS0_14default_configENS1_25partition_config_selectorILNS1_17partition_subalgoE6EiNS0_10empty_typeEbEEZZNS1_14partition_implILS5_6ELb0ES3_mN6thrust23THRUST_200600_302600_NS6detail15normal_iteratorINSA_10device_ptrIiEEEEPS6_SG_NS0_5tupleIJSF_S6_EEENSH_IJSG_SG_EEES6_PlJNSB_9not_fun_tINSB_10functional5actorINSM_9compositeIJNSM_27transparent_binary_operatorINSA_8equal_toIvEEEENSN_INSM_8argumentILj0EEEEENSM_5valueIiEEEEEEEEEEEE10hipError_tPvRmT3_T4_T5_T6_T7_T9_mT8_P12ihipStream_tbDpT10_ENKUlT_T0_E_clISt17integral_constantIbLb1EES1J_IbLb0EEEEDaS1F_S1G_EUlS1F_E_NS1_11comp_targetILNS1_3genE4ELNS1_11target_archE910ELNS1_3gpuE8ELNS1_3repE0EEENS1_30default_config_static_selectorELNS0_4arch9wavefront6targetE0EEEvT1_.uses_vcc, 0
	.set _ZN7rocprim17ROCPRIM_400000_NS6detail17trampoline_kernelINS0_14default_configENS1_25partition_config_selectorILNS1_17partition_subalgoE6EiNS0_10empty_typeEbEEZZNS1_14partition_implILS5_6ELb0ES3_mN6thrust23THRUST_200600_302600_NS6detail15normal_iteratorINSA_10device_ptrIiEEEEPS6_SG_NS0_5tupleIJSF_S6_EEENSH_IJSG_SG_EEES6_PlJNSB_9not_fun_tINSB_10functional5actorINSM_9compositeIJNSM_27transparent_binary_operatorINSA_8equal_toIvEEEENSN_INSM_8argumentILj0EEEEENSM_5valueIiEEEEEEEEEEEE10hipError_tPvRmT3_T4_T5_T6_T7_T9_mT8_P12ihipStream_tbDpT10_ENKUlT_T0_E_clISt17integral_constantIbLb1EES1J_IbLb0EEEEDaS1F_S1G_EUlS1F_E_NS1_11comp_targetILNS1_3genE4ELNS1_11target_archE910ELNS1_3gpuE8ELNS1_3repE0EEENS1_30default_config_static_selectorELNS0_4arch9wavefront6targetE0EEEvT1_.uses_flat_scratch, 0
	.set _ZN7rocprim17ROCPRIM_400000_NS6detail17trampoline_kernelINS0_14default_configENS1_25partition_config_selectorILNS1_17partition_subalgoE6EiNS0_10empty_typeEbEEZZNS1_14partition_implILS5_6ELb0ES3_mN6thrust23THRUST_200600_302600_NS6detail15normal_iteratorINSA_10device_ptrIiEEEEPS6_SG_NS0_5tupleIJSF_S6_EEENSH_IJSG_SG_EEES6_PlJNSB_9not_fun_tINSB_10functional5actorINSM_9compositeIJNSM_27transparent_binary_operatorINSA_8equal_toIvEEEENSN_INSM_8argumentILj0EEEEENSM_5valueIiEEEEEEEEEEEE10hipError_tPvRmT3_T4_T5_T6_T7_T9_mT8_P12ihipStream_tbDpT10_ENKUlT_T0_E_clISt17integral_constantIbLb1EES1J_IbLb0EEEEDaS1F_S1G_EUlS1F_E_NS1_11comp_targetILNS1_3genE4ELNS1_11target_archE910ELNS1_3gpuE8ELNS1_3repE0EEENS1_30default_config_static_selectorELNS0_4arch9wavefront6targetE0EEEvT1_.has_dyn_sized_stack, 0
	.set _ZN7rocprim17ROCPRIM_400000_NS6detail17trampoline_kernelINS0_14default_configENS1_25partition_config_selectorILNS1_17partition_subalgoE6EiNS0_10empty_typeEbEEZZNS1_14partition_implILS5_6ELb0ES3_mN6thrust23THRUST_200600_302600_NS6detail15normal_iteratorINSA_10device_ptrIiEEEEPS6_SG_NS0_5tupleIJSF_S6_EEENSH_IJSG_SG_EEES6_PlJNSB_9not_fun_tINSB_10functional5actorINSM_9compositeIJNSM_27transparent_binary_operatorINSA_8equal_toIvEEEENSN_INSM_8argumentILj0EEEEENSM_5valueIiEEEEEEEEEEEE10hipError_tPvRmT3_T4_T5_T6_T7_T9_mT8_P12ihipStream_tbDpT10_ENKUlT_T0_E_clISt17integral_constantIbLb1EES1J_IbLb0EEEEDaS1F_S1G_EUlS1F_E_NS1_11comp_targetILNS1_3genE4ELNS1_11target_archE910ELNS1_3gpuE8ELNS1_3repE0EEENS1_30default_config_static_selectorELNS0_4arch9wavefront6targetE0EEEvT1_.has_recursion, 0
	.set _ZN7rocprim17ROCPRIM_400000_NS6detail17trampoline_kernelINS0_14default_configENS1_25partition_config_selectorILNS1_17partition_subalgoE6EiNS0_10empty_typeEbEEZZNS1_14partition_implILS5_6ELb0ES3_mN6thrust23THRUST_200600_302600_NS6detail15normal_iteratorINSA_10device_ptrIiEEEEPS6_SG_NS0_5tupleIJSF_S6_EEENSH_IJSG_SG_EEES6_PlJNSB_9not_fun_tINSB_10functional5actorINSM_9compositeIJNSM_27transparent_binary_operatorINSA_8equal_toIvEEEENSN_INSM_8argumentILj0EEEEENSM_5valueIiEEEEEEEEEEEE10hipError_tPvRmT3_T4_T5_T6_T7_T9_mT8_P12ihipStream_tbDpT10_ENKUlT_T0_E_clISt17integral_constantIbLb1EES1J_IbLb0EEEEDaS1F_S1G_EUlS1F_E_NS1_11comp_targetILNS1_3genE4ELNS1_11target_archE910ELNS1_3gpuE8ELNS1_3repE0EEENS1_30default_config_static_selectorELNS0_4arch9wavefront6targetE0EEEvT1_.has_indirect_call, 0
	.section	.AMDGPU.csdata,"",@progbits
; Kernel info:
; codeLenInByte = 0
; TotalNumSgprs: 0
; NumVgprs: 0
; ScratchSize: 0
; MemoryBound: 0
; FloatMode: 240
; IeeeMode: 1
; LDSByteSize: 0 bytes/workgroup (compile time only)
; SGPRBlocks: 0
; VGPRBlocks: 0
; NumSGPRsForWavesPerEU: 1
; NumVGPRsForWavesPerEU: 1
; Occupancy: 16
; WaveLimiterHint : 0
; COMPUTE_PGM_RSRC2:SCRATCH_EN: 0
; COMPUTE_PGM_RSRC2:USER_SGPR: 2
; COMPUTE_PGM_RSRC2:TRAP_HANDLER: 0
; COMPUTE_PGM_RSRC2:TGID_X_EN: 1
; COMPUTE_PGM_RSRC2:TGID_Y_EN: 0
; COMPUTE_PGM_RSRC2:TGID_Z_EN: 0
; COMPUTE_PGM_RSRC2:TIDIG_COMP_CNT: 0
	.section	.text._ZN7rocprim17ROCPRIM_400000_NS6detail17trampoline_kernelINS0_14default_configENS1_25partition_config_selectorILNS1_17partition_subalgoE6EiNS0_10empty_typeEbEEZZNS1_14partition_implILS5_6ELb0ES3_mN6thrust23THRUST_200600_302600_NS6detail15normal_iteratorINSA_10device_ptrIiEEEEPS6_SG_NS0_5tupleIJSF_S6_EEENSH_IJSG_SG_EEES6_PlJNSB_9not_fun_tINSB_10functional5actorINSM_9compositeIJNSM_27transparent_binary_operatorINSA_8equal_toIvEEEENSN_INSM_8argumentILj0EEEEENSM_5valueIiEEEEEEEEEEEE10hipError_tPvRmT3_T4_T5_T6_T7_T9_mT8_P12ihipStream_tbDpT10_ENKUlT_T0_E_clISt17integral_constantIbLb1EES1J_IbLb0EEEEDaS1F_S1G_EUlS1F_E_NS1_11comp_targetILNS1_3genE3ELNS1_11target_archE908ELNS1_3gpuE7ELNS1_3repE0EEENS1_30default_config_static_selectorELNS0_4arch9wavefront6targetE0EEEvT1_,"axG",@progbits,_ZN7rocprim17ROCPRIM_400000_NS6detail17trampoline_kernelINS0_14default_configENS1_25partition_config_selectorILNS1_17partition_subalgoE6EiNS0_10empty_typeEbEEZZNS1_14partition_implILS5_6ELb0ES3_mN6thrust23THRUST_200600_302600_NS6detail15normal_iteratorINSA_10device_ptrIiEEEEPS6_SG_NS0_5tupleIJSF_S6_EEENSH_IJSG_SG_EEES6_PlJNSB_9not_fun_tINSB_10functional5actorINSM_9compositeIJNSM_27transparent_binary_operatorINSA_8equal_toIvEEEENSN_INSM_8argumentILj0EEEEENSM_5valueIiEEEEEEEEEEEE10hipError_tPvRmT3_T4_T5_T6_T7_T9_mT8_P12ihipStream_tbDpT10_ENKUlT_T0_E_clISt17integral_constantIbLb1EES1J_IbLb0EEEEDaS1F_S1G_EUlS1F_E_NS1_11comp_targetILNS1_3genE3ELNS1_11target_archE908ELNS1_3gpuE7ELNS1_3repE0EEENS1_30default_config_static_selectorELNS0_4arch9wavefront6targetE0EEEvT1_,comdat
	.protected	_ZN7rocprim17ROCPRIM_400000_NS6detail17trampoline_kernelINS0_14default_configENS1_25partition_config_selectorILNS1_17partition_subalgoE6EiNS0_10empty_typeEbEEZZNS1_14partition_implILS5_6ELb0ES3_mN6thrust23THRUST_200600_302600_NS6detail15normal_iteratorINSA_10device_ptrIiEEEEPS6_SG_NS0_5tupleIJSF_S6_EEENSH_IJSG_SG_EEES6_PlJNSB_9not_fun_tINSB_10functional5actorINSM_9compositeIJNSM_27transparent_binary_operatorINSA_8equal_toIvEEEENSN_INSM_8argumentILj0EEEEENSM_5valueIiEEEEEEEEEEEE10hipError_tPvRmT3_T4_T5_T6_T7_T9_mT8_P12ihipStream_tbDpT10_ENKUlT_T0_E_clISt17integral_constantIbLb1EES1J_IbLb0EEEEDaS1F_S1G_EUlS1F_E_NS1_11comp_targetILNS1_3genE3ELNS1_11target_archE908ELNS1_3gpuE7ELNS1_3repE0EEENS1_30default_config_static_selectorELNS0_4arch9wavefront6targetE0EEEvT1_ ; -- Begin function _ZN7rocprim17ROCPRIM_400000_NS6detail17trampoline_kernelINS0_14default_configENS1_25partition_config_selectorILNS1_17partition_subalgoE6EiNS0_10empty_typeEbEEZZNS1_14partition_implILS5_6ELb0ES3_mN6thrust23THRUST_200600_302600_NS6detail15normal_iteratorINSA_10device_ptrIiEEEEPS6_SG_NS0_5tupleIJSF_S6_EEENSH_IJSG_SG_EEES6_PlJNSB_9not_fun_tINSB_10functional5actorINSM_9compositeIJNSM_27transparent_binary_operatorINSA_8equal_toIvEEEENSN_INSM_8argumentILj0EEEEENSM_5valueIiEEEEEEEEEEEE10hipError_tPvRmT3_T4_T5_T6_T7_T9_mT8_P12ihipStream_tbDpT10_ENKUlT_T0_E_clISt17integral_constantIbLb1EES1J_IbLb0EEEEDaS1F_S1G_EUlS1F_E_NS1_11comp_targetILNS1_3genE3ELNS1_11target_archE908ELNS1_3gpuE7ELNS1_3repE0EEENS1_30default_config_static_selectorELNS0_4arch9wavefront6targetE0EEEvT1_
	.globl	_ZN7rocprim17ROCPRIM_400000_NS6detail17trampoline_kernelINS0_14default_configENS1_25partition_config_selectorILNS1_17partition_subalgoE6EiNS0_10empty_typeEbEEZZNS1_14partition_implILS5_6ELb0ES3_mN6thrust23THRUST_200600_302600_NS6detail15normal_iteratorINSA_10device_ptrIiEEEEPS6_SG_NS0_5tupleIJSF_S6_EEENSH_IJSG_SG_EEES6_PlJNSB_9not_fun_tINSB_10functional5actorINSM_9compositeIJNSM_27transparent_binary_operatorINSA_8equal_toIvEEEENSN_INSM_8argumentILj0EEEEENSM_5valueIiEEEEEEEEEEEE10hipError_tPvRmT3_T4_T5_T6_T7_T9_mT8_P12ihipStream_tbDpT10_ENKUlT_T0_E_clISt17integral_constantIbLb1EES1J_IbLb0EEEEDaS1F_S1G_EUlS1F_E_NS1_11comp_targetILNS1_3genE3ELNS1_11target_archE908ELNS1_3gpuE7ELNS1_3repE0EEENS1_30default_config_static_selectorELNS0_4arch9wavefront6targetE0EEEvT1_
	.p2align	8
	.type	_ZN7rocprim17ROCPRIM_400000_NS6detail17trampoline_kernelINS0_14default_configENS1_25partition_config_selectorILNS1_17partition_subalgoE6EiNS0_10empty_typeEbEEZZNS1_14partition_implILS5_6ELb0ES3_mN6thrust23THRUST_200600_302600_NS6detail15normal_iteratorINSA_10device_ptrIiEEEEPS6_SG_NS0_5tupleIJSF_S6_EEENSH_IJSG_SG_EEES6_PlJNSB_9not_fun_tINSB_10functional5actorINSM_9compositeIJNSM_27transparent_binary_operatorINSA_8equal_toIvEEEENSN_INSM_8argumentILj0EEEEENSM_5valueIiEEEEEEEEEEEE10hipError_tPvRmT3_T4_T5_T6_T7_T9_mT8_P12ihipStream_tbDpT10_ENKUlT_T0_E_clISt17integral_constantIbLb1EES1J_IbLb0EEEEDaS1F_S1G_EUlS1F_E_NS1_11comp_targetILNS1_3genE3ELNS1_11target_archE908ELNS1_3gpuE7ELNS1_3repE0EEENS1_30default_config_static_selectorELNS0_4arch9wavefront6targetE0EEEvT1_,@function
_ZN7rocprim17ROCPRIM_400000_NS6detail17trampoline_kernelINS0_14default_configENS1_25partition_config_selectorILNS1_17partition_subalgoE6EiNS0_10empty_typeEbEEZZNS1_14partition_implILS5_6ELb0ES3_mN6thrust23THRUST_200600_302600_NS6detail15normal_iteratorINSA_10device_ptrIiEEEEPS6_SG_NS0_5tupleIJSF_S6_EEENSH_IJSG_SG_EEES6_PlJNSB_9not_fun_tINSB_10functional5actorINSM_9compositeIJNSM_27transparent_binary_operatorINSA_8equal_toIvEEEENSN_INSM_8argumentILj0EEEEENSM_5valueIiEEEEEEEEEEEE10hipError_tPvRmT3_T4_T5_T6_T7_T9_mT8_P12ihipStream_tbDpT10_ENKUlT_T0_E_clISt17integral_constantIbLb1EES1J_IbLb0EEEEDaS1F_S1G_EUlS1F_E_NS1_11comp_targetILNS1_3genE3ELNS1_11target_archE908ELNS1_3gpuE7ELNS1_3repE0EEENS1_30default_config_static_selectorELNS0_4arch9wavefront6targetE0EEEvT1_: ; @_ZN7rocprim17ROCPRIM_400000_NS6detail17trampoline_kernelINS0_14default_configENS1_25partition_config_selectorILNS1_17partition_subalgoE6EiNS0_10empty_typeEbEEZZNS1_14partition_implILS5_6ELb0ES3_mN6thrust23THRUST_200600_302600_NS6detail15normal_iteratorINSA_10device_ptrIiEEEEPS6_SG_NS0_5tupleIJSF_S6_EEENSH_IJSG_SG_EEES6_PlJNSB_9not_fun_tINSB_10functional5actorINSM_9compositeIJNSM_27transparent_binary_operatorINSA_8equal_toIvEEEENSN_INSM_8argumentILj0EEEEENSM_5valueIiEEEEEEEEEEEE10hipError_tPvRmT3_T4_T5_T6_T7_T9_mT8_P12ihipStream_tbDpT10_ENKUlT_T0_E_clISt17integral_constantIbLb1EES1J_IbLb0EEEEDaS1F_S1G_EUlS1F_E_NS1_11comp_targetILNS1_3genE3ELNS1_11target_archE908ELNS1_3gpuE7ELNS1_3repE0EEENS1_30default_config_static_selectorELNS0_4arch9wavefront6targetE0EEEvT1_
; %bb.0:
	.section	.rodata,"a",@progbits
	.p2align	6, 0x0
	.amdhsa_kernel _ZN7rocprim17ROCPRIM_400000_NS6detail17trampoline_kernelINS0_14default_configENS1_25partition_config_selectorILNS1_17partition_subalgoE6EiNS0_10empty_typeEbEEZZNS1_14partition_implILS5_6ELb0ES3_mN6thrust23THRUST_200600_302600_NS6detail15normal_iteratorINSA_10device_ptrIiEEEEPS6_SG_NS0_5tupleIJSF_S6_EEENSH_IJSG_SG_EEES6_PlJNSB_9not_fun_tINSB_10functional5actorINSM_9compositeIJNSM_27transparent_binary_operatorINSA_8equal_toIvEEEENSN_INSM_8argumentILj0EEEEENSM_5valueIiEEEEEEEEEEEE10hipError_tPvRmT3_T4_T5_T6_T7_T9_mT8_P12ihipStream_tbDpT10_ENKUlT_T0_E_clISt17integral_constantIbLb1EES1J_IbLb0EEEEDaS1F_S1G_EUlS1F_E_NS1_11comp_targetILNS1_3genE3ELNS1_11target_archE908ELNS1_3gpuE7ELNS1_3repE0EEENS1_30default_config_static_selectorELNS0_4arch9wavefront6targetE0EEEvT1_
		.amdhsa_group_segment_fixed_size 0
		.amdhsa_private_segment_fixed_size 0
		.amdhsa_kernarg_size 120
		.amdhsa_user_sgpr_count 2
		.amdhsa_user_sgpr_dispatch_ptr 0
		.amdhsa_user_sgpr_queue_ptr 0
		.amdhsa_user_sgpr_kernarg_segment_ptr 1
		.amdhsa_user_sgpr_dispatch_id 0
		.amdhsa_user_sgpr_private_segment_size 0
		.amdhsa_wavefront_size32 1
		.amdhsa_uses_dynamic_stack 0
		.amdhsa_enable_private_segment 0
		.amdhsa_system_sgpr_workgroup_id_x 1
		.amdhsa_system_sgpr_workgroup_id_y 0
		.amdhsa_system_sgpr_workgroup_id_z 0
		.amdhsa_system_sgpr_workgroup_info 0
		.amdhsa_system_vgpr_workitem_id 0
		.amdhsa_next_free_vgpr 1
		.amdhsa_next_free_sgpr 1
		.amdhsa_reserve_vcc 0
		.amdhsa_float_round_mode_32 0
		.amdhsa_float_round_mode_16_64 0
		.amdhsa_float_denorm_mode_32 3
		.amdhsa_float_denorm_mode_16_64 3
		.amdhsa_fp16_overflow 0
		.amdhsa_workgroup_processor_mode 1
		.amdhsa_memory_ordered 1
		.amdhsa_forward_progress 1
		.amdhsa_inst_pref_size 0
		.amdhsa_round_robin_scheduling 0
		.amdhsa_exception_fp_ieee_invalid_op 0
		.amdhsa_exception_fp_denorm_src 0
		.amdhsa_exception_fp_ieee_div_zero 0
		.amdhsa_exception_fp_ieee_overflow 0
		.amdhsa_exception_fp_ieee_underflow 0
		.amdhsa_exception_fp_ieee_inexact 0
		.amdhsa_exception_int_div_zero 0
	.end_amdhsa_kernel
	.section	.text._ZN7rocprim17ROCPRIM_400000_NS6detail17trampoline_kernelINS0_14default_configENS1_25partition_config_selectorILNS1_17partition_subalgoE6EiNS0_10empty_typeEbEEZZNS1_14partition_implILS5_6ELb0ES3_mN6thrust23THRUST_200600_302600_NS6detail15normal_iteratorINSA_10device_ptrIiEEEEPS6_SG_NS0_5tupleIJSF_S6_EEENSH_IJSG_SG_EEES6_PlJNSB_9not_fun_tINSB_10functional5actorINSM_9compositeIJNSM_27transparent_binary_operatorINSA_8equal_toIvEEEENSN_INSM_8argumentILj0EEEEENSM_5valueIiEEEEEEEEEEEE10hipError_tPvRmT3_T4_T5_T6_T7_T9_mT8_P12ihipStream_tbDpT10_ENKUlT_T0_E_clISt17integral_constantIbLb1EES1J_IbLb0EEEEDaS1F_S1G_EUlS1F_E_NS1_11comp_targetILNS1_3genE3ELNS1_11target_archE908ELNS1_3gpuE7ELNS1_3repE0EEENS1_30default_config_static_selectorELNS0_4arch9wavefront6targetE0EEEvT1_,"axG",@progbits,_ZN7rocprim17ROCPRIM_400000_NS6detail17trampoline_kernelINS0_14default_configENS1_25partition_config_selectorILNS1_17partition_subalgoE6EiNS0_10empty_typeEbEEZZNS1_14partition_implILS5_6ELb0ES3_mN6thrust23THRUST_200600_302600_NS6detail15normal_iteratorINSA_10device_ptrIiEEEEPS6_SG_NS0_5tupleIJSF_S6_EEENSH_IJSG_SG_EEES6_PlJNSB_9not_fun_tINSB_10functional5actorINSM_9compositeIJNSM_27transparent_binary_operatorINSA_8equal_toIvEEEENSN_INSM_8argumentILj0EEEEENSM_5valueIiEEEEEEEEEEEE10hipError_tPvRmT3_T4_T5_T6_T7_T9_mT8_P12ihipStream_tbDpT10_ENKUlT_T0_E_clISt17integral_constantIbLb1EES1J_IbLb0EEEEDaS1F_S1G_EUlS1F_E_NS1_11comp_targetILNS1_3genE3ELNS1_11target_archE908ELNS1_3gpuE7ELNS1_3repE0EEENS1_30default_config_static_selectorELNS0_4arch9wavefront6targetE0EEEvT1_,comdat
.Lfunc_end230:
	.size	_ZN7rocprim17ROCPRIM_400000_NS6detail17trampoline_kernelINS0_14default_configENS1_25partition_config_selectorILNS1_17partition_subalgoE6EiNS0_10empty_typeEbEEZZNS1_14partition_implILS5_6ELb0ES3_mN6thrust23THRUST_200600_302600_NS6detail15normal_iteratorINSA_10device_ptrIiEEEEPS6_SG_NS0_5tupleIJSF_S6_EEENSH_IJSG_SG_EEES6_PlJNSB_9not_fun_tINSB_10functional5actorINSM_9compositeIJNSM_27transparent_binary_operatorINSA_8equal_toIvEEEENSN_INSM_8argumentILj0EEEEENSM_5valueIiEEEEEEEEEEEE10hipError_tPvRmT3_T4_T5_T6_T7_T9_mT8_P12ihipStream_tbDpT10_ENKUlT_T0_E_clISt17integral_constantIbLb1EES1J_IbLb0EEEEDaS1F_S1G_EUlS1F_E_NS1_11comp_targetILNS1_3genE3ELNS1_11target_archE908ELNS1_3gpuE7ELNS1_3repE0EEENS1_30default_config_static_selectorELNS0_4arch9wavefront6targetE0EEEvT1_, .Lfunc_end230-_ZN7rocprim17ROCPRIM_400000_NS6detail17trampoline_kernelINS0_14default_configENS1_25partition_config_selectorILNS1_17partition_subalgoE6EiNS0_10empty_typeEbEEZZNS1_14partition_implILS5_6ELb0ES3_mN6thrust23THRUST_200600_302600_NS6detail15normal_iteratorINSA_10device_ptrIiEEEEPS6_SG_NS0_5tupleIJSF_S6_EEENSH_IJSG_SG_EEES6_PlJNSB_9not_fun_tINSB_10functional5actorINSM_9compositeIJNSM_27transparent_binary_operatorINSA_8equal_toIvEEEENSN_INSM_8argumentILj0EEEEENSM_5valueIiEEEEEEEEEEEE10hipError_tPvRmT3_T4_T5_T6_T7_T9_mT8_P12ihipStream_tbDpT10_ENKUlT_T0_E_clISt17integral_constantIbLb1EES1J_IbLb0EEEEDaS1F_S1G_EUlS1F_E_NS1_11comp_targetILNS1_3genE3ELNS1_11target_archE908ELNS1_3gpuE7ELNS1_3repE0EEENS1_30default_config_static_selectorELNS0_4arch9wavefront6targetE0EEEvT1_
                                        ; -- End function
	.set _ZN7rocprim17ROCPRIM_400000_NS6detail17trampoline_kernelINS0_14default_configENS1_25partition_config_selectorILNS1_17partition_subalgoE6EiNS0_10empty_typeEbEEZZNS1_14partition_implILS5_6ELb0ES3_mN6thrust23THRUST_200600_302600_NS6detail15normal_iteratorINSA_10device_ptrIiEEEEPS6_SG_NS0_5tupleIJSF_S6_EEENSH_IJSG_SG_EEES6_PlJNSB_9not_fun_tINSB_10functional5actorINSM_9compositeIJNSM_27transparent_binary_operatorINSA_8equal_toIvEEEENSN_INSM_8argumentILj0EEEEENSM_5valueIiEEEEEEEEEEEE10hipError_tPvRmT3_T4_T5_T6_T7_T9_mT8_P12ihipStream_tbDpT10_ENKUlT_T0_E_clISt17integral_constantIbLb1EES1J_IbLb0EEEEDaS1F_S1G_EUlS1F_E_NS1_11comp_targetILNS1_3genE3ELNS1_11target_archE908ELNS1_3gpuE7ELNS1_3repE0EEENS1_30default_config_static_selectorELNS0_4arch9wavefront6targetE0EEEvT1_.num_vgpr, 0
	.set _ZN7rocprim17ROCPRIM_400000_NS6detail17trampoline_kernelINS0_14default_configENS1_25partition_config_selectorILNS1_17partition_subalgoE6EiNS0_10empty_typeEbEEZZNS1_14partition_implILS5_6ELb0ES3_mN6thrust23THRUST_200600_302600_NS6detail15normal_iteratorINSA_10device_ptrIiEEEEPS6_SG_NS0_5tupleIJSF_S6_EEENSH_IJSG_SG_EEES6_PlJNSB_9not_fun_tINSB_10functional5actorINSM_9compositeIJNSM_27transparent_binary_operatorINSA_8equal_toIvEEEENSN_INSM_8argumentILj0EEEEENSM_5valueIiEEEEEEEEEEEE10hipError_tPvRmT3_T4_T5_T6_T7_T9_mT8_P12ihipStream_tbDpT10_ENKUlT_T0_E_clISt17integral_constantIbLb1EES1J_IbLb0EEEEDaS1F_S1G_EUlS1F_E_NS1_11comp_targetILNS1_3genE3ELNS1_11target_archE908ELNS1_3gpuE7ELNS1_3repE0EEENS1_30default_config_static_selectorELNS0_4arch9wavefront6targetE0EEEvT1_.num_agpr, 0
	.set _ZN7rocprim17ROCPRIM_400000_NS6detail17trampoline_kernelINS0_14default_configENS1_25partition_config_selectorILNS1_17partition_subalgoE6EiNS0_10empty_typeEbEEZZNS1_14partition_implILS5_6ELb0ES3_mN6thrust23THRUST_200600_302600_NS6detail15normal_iteratorINSA_10device_ptrIiEEEEPS6_SG_NS0_5tupleIJSF_S6_EEENSH_IJSG_SG_EEES6_PlJNSB_9not_fun_tINSB_10functional5actorINSM_9compositeIJNSM_27transparent_binary_operatorINSA_8equal_toIvEEEENSN_INSM_8argumentILj0EEEEENSM_5valueIiEEEEEEEEEEEE10hipError_tPvRmT3_T4_T5_T6_T7_T9_mT8_P12ihipStream_tbDpT10_ENKUlT_T0_E_clISt17integral_constantIbLb1EES1J_IbLb0EEEEDaS1F_S1G_EUlS1F_E_NS1_11comp_targetILNS1_3genE3ELNS1_11target_archE908ELNS1_3gpuE7ELNS1_3repE0EEENS1_30default_config_static_selectorELNS0_4arch9wavefront6targetE0EEEvT1_.numbered_sgpr, 0
	.set _ZN7rocprim17ROCPRIM_400000_NS6detail17trampoline_kernelINS0_14default_configENS1_25partition_config_selectorILNS1_17partition_subalgoE6EiNS0_10empty_typeEbEEZZNS1_14partition_implILS5_6ELb0ES3_mN6thrust23THRUST_200600_302600_NS6detail15normal_iteratorINSA_10device_ptrIiEEEEPS6_SG_NS0_5tupleIJSF_S6_EEENSH_IJSG_SG_EEES6_PlJNSB_9not_fun_tINSB_10functional5actorINSM_9compositeIJNSM_27transparent_binary_operatorINSA_8equal_toIvEEEENSN_INSM_8argumentILj0EEEEENSM_5valueIiEEEEEEEEEEEE10hipError_tPvRmT3_T4_T5_T6_T7_T9_mT8_P12ihipStream_tbDpT10_ENKUlT_T0_E_clISt17integral_constantIbLb1EES1J_IbLb0EEEEDaS1F_S1G_EUlS1F_E_NS1_11comp_targetILNS1_3genE3ELNS1_11target_archE908ELNS1_3gpuE7ELNS1_3repE0EEENS1_30default_config_static_selectorELNS0_4arch9wavefront6targetE0EEEvT1_.num_named_barrier, 0
	.set _ZN7rocprim17ROCPRIM_400000_NS6detail17trampoline_kernelINS0_14default_configENS1_25partition_config_selectorILNS1_17partition_subalgoE6EiNS0_10empty_typeEbEEZZNS1_14partition_implILS5_6ELb0ES3_mN6thrust23THRUST_200600_302600_NS6detail15normal_iteratorINSA_10device_ptrIiEEEEPS6_SG_NS0_5tupleIJSF_S6_EEENSH_IJSG_SG_EEES6_PlJNSB_9not_fun_tINSB_10functional5actorINSM_9compositeIJNSM_27transparent_binary_operatorINSA_8equal_toIvEEEENSN_INSM_8argumentILj0EEEEENSM_5valueIiEEEEEEEEEEEE10hipError_tPvRmT3_T4_T5_T6_T7_T9_mT8_P12ihipStream_tbDpT10_ENKUlT_T0_E_clISt17integral_constantIbLb1EES1J_IbLb0EEEEDaS1F_S1G_EUlS1F_E_NS1_11comp_targetILNS1_3genE3ELNS1_11target_archE908ELNS1_3gpuE7ELNS1_3repE0EEENS1_30default_config_static_selectorELNS0_4arch9wavefront6targetE0EEEvT1_.private_seg_size, 0
	.set _ZN7rocprim17ROCPRIM_400000_NS6detail17trampoline_kernelINS0_14default_configENS1_25partition_config_selectorILNS1_17partition_subalgoE6EiNS0_10empty_typeEbEEZZNS1_14partition_implILS5_6ELb0ES3_mN6thrust23THRUST_200600_302600_NS6detail15normal_iteratorINSA_10device_ptrIiEEEEPS6_SG_NS0_5tupleIJSF_S6_EEENSH_IJSG_SG_EEES6_PlJNSB_9not_fun_tINSB_10functional5actorINSM_9compositeIJNSM_27transparent_binary_operatorINSA_8equal_toIvEEEENSN_INSM_8argumentILj0EEEEENSM_5valueIiEEEEEEEEEEEE10hipError_tPvRmT3_T4_T5_T6_T7_T9_mT8_P12ihipStream_tbDpT10_ENKUlT_T0_E_clISt17integral_constantIbLb1EES1J_IbLb0EEEEDaS1F_S1G_EUlS1F_E_NS1_11comp_targetILNS1_3genE3ELNS1_11target_archE908ELNS1_3gpuE7ELNS1_3repE0EEENS1_30default_config_static_selectorELNS0_4arch9wavefront6targetE0EEEvT1_.uses_vcc, 0
	.set _ZN7rocprim17ROCPRIM_400000_NS6detail17trampoline_kernelINS0_14default_configENS1_25partition_config_selectorILNS1_17partition_subalgoE6EiNS0_10empty_typeEbEEZZNS1_14partition_implILS5_6ELb0ES3_mN6thrust23THRUST_200600_302600_NS6detail15normal_iteratorINSA_10device_ptrIiEEEEPS6_SG_NS0_5tupleIJSF_S6_EEENSH_IJSG_SG_EEES6_PlJNSB_9not_fun_tINSB_10functional5actorINSM_9compositeIJNSM_27transparent_binary_operatorINSA_8equal_toIvEEEENSN_INSM_8argumentILj0EEEEENSM_5valueIiEEEEEEEEEEEE10hipError_tPvRmT3_T4_T5_T6_T7_T9_mT8_P12ihipStream_tbDpT10_ENKUlT_T0_E_clISt17integral_constantIbLb1EES1J_IbLb0EEEEDaS1F_S1G_EUlS1F_E_NS1_11comp_targetILNS1_3genE3ELNS1_11target_archE908ELNS1_3gpuE7ELNS1_3repE0EEENS1_30default_config_static_selectorELNS0_4arch9wavefront6targetE0EEEvT1_.uses_flat_scratch, 0
	.set _ZN7rocprim17ROCPRIM_400000_NS6detail17trampoline_kernelINS0_14default_configENS1_25partition_config_selectorILNS1_17partition_subalgoE6EiNS0_10empty_typeEbEEZZNS1_14partition_implILS5_6ELb0ES3_mN6thrust23THRUST_200600_302600_NS6detail15normal_iteratorINSA_10device_ptrIiEEEEPS6_SG_NS0_5tupleIJSF_S6_EEENSH_IJSG_SG_EEES6_PlJNSB_9not_fun_tINSB_10functional5actorINSM_9compositeIJNSM_27transparent_binary_operatorINSA_8equal_toIvEEEENSN_INSM_8argumentILj0EEEEENSM_5valueIiEEEEEEEEEEEE10hipError_tPvRmT3_T4_T5_T6_T7_T9_mT8_P12ihipStream_tbDpT10_ENKUlT_T0_E_clISt17integral_constantIbLb1EES1J_IbLb0EEEEDaS1F_S1G_EUlS1F_E_NS1_11comp_targetILNS1_3genE3ELNS1_11target_archE908ELNS1_3gpuE7ELNS1_3repE0EEENS1_30default_config_static_selectorELNS0_4arch9wavefront6targetE0EEEvT1_.has_dyn_sized_stack, 0
	.set _ZN7rocprim17ROCPRIM_400000_NS6detail17trampoline_kernelINS0_14default_configENS1_25partition_config_selectorILNS1_17partition_subalgoE6EiNS0_10empty_typeEbEEZZNS1_14partition_implILS5_6ELb0ES3_mN6thrust23THRUST_200600_302600_NS6detail15normal_iteratorINSA_10device_ptrIiEEEEPS6_SG_NS0_5tupleIJSF_S6_EEENSH_IJSG_SG_EEES6_PlJNSB_9not_fun_tINSB_10functional5actorINSM_9compositeIJNSM_27transparent_binary_operatorINSA_8equal_toIvEEEENSN_INSM_8argumentILj0EEEEENSM_5valueIiEEEEEEEEEEEE10hipError_tPvRmT3_T4_T5_T6_T7_T9_mT8_P12ihipStream_tbDpT10_ENKUlT_T0_E_clISt17integral_constantIbLb1EES1J_IbLb0EEEEDaS1F_S1G_EUlS1F_E_NS1_11comp_targetILNS1_3genE3ELNS1_11target_archE908ELNS1_3gpuE7ELNS1_3repE0EEENS1_30default_config_static_selectorELNS0_4arch9wavefront6targetE0EEEvT1_.has_recursion, 0
	.set _ZN7rocprim17ROCPRIM_400000_NS6detail17trampoline_kernelINS0_14default_configENS1_25partition_config_selectorILNS1_17partition_subalgoE6EiNS0_10empty_typeEbEEZZNS1_14partition_implILS5_6ELb0ES3_mN6thrust23THRUST_200600_302600_NS6detail15normal_iteratorINSA_10device_ptrIiEEEEPS6_SG_NS0_5tupleIJSF_S6_EEENSH_IJSG_SG_EEES6_PlJNSB_9not_fun_tINSB_10functional5actorINSM_9compositeIJNSM_27transparent_binary_operatorINSA_8equal_toIvEEEENSN_INSM_8argumentILj0EEEEENSM_5valueIiEEEEEEEEEEEE10hipError_tPvRmT3_T4_T5_T6_T7_T9_mT8_P12ihipStream_tbDpT10_ENKUlT_T0_E_clISt17integral_constantIbLb1EES1J_IbLb0EEEEDaS1F_S1G_EUlS1F_E_NS1_11comp_targetILNS1_3genE3ELNS1_11target_archE908ELNS1_3gpuE7ELNS1_3repE0EEENS1_30default_config_static_selectorELNS0_4arch9wavefront6targetE0EEEvT1_.has_indirect_call, 0
	.section	.AMDGPU.csdata,"",@progbits
; Kernel info:
; codeLenInByte = 0
; TotalNumSgprs: 0
; NumVgprs: 0
; ScratchSize: 0
; MemoryBound: 0
; FloatMode: 240
; IeeeMode: 1
; LDSByteSize: 0 bytes/workgroup (compile time only)
; SGPRBlocks: 0
; VGPRBlocks: 0
; NumSGPRsForWavesPerEU: 1
; NumVGPRsForWavesPerEU: 1
; Occupancy: 16
; WaveLimiterHint : 0
; COMPUTE_PGM_RSRC2:SCRATCH_EN: 0
; COMPUTE_PGM_RSRC2:USER_SGPR: 2
; COMPUTE_PGM_RSRC2:TRAP_HANDLER: 0
; COMPUTE_PGM_RSRC2:TGID_X_EN: 1
; COMPUTE_PGM_RSRC2:TGID_Y_EN: 0
; COMPUTE_PGM_RSRC2:TGID_Z_EN: 0
; COMPUTE_PGM_RSRC2:TIDIG_COMP_CNT: 0
	.section	.text._ZN7rocprim17ROCPRIM_400000_NS6detail17trampoline_kernelINS0_14default_configENS1_25partition_config_selectorILNS1_17partition_subalgoE6EiNS0_10empty_typeEbEEZZNS1_14partition_implILS5_6ELb0ES3_mN6thrust23THRUST_200600_302600_NS6detail15normal_iteratorINSA_10device_ptrIiEEEEPS6_SG_NS0_5tupleIJSF_S6_EEENSH_IJSG_SG_EEES6_PlJNSB_9not_fun_tINSB_10functional5actorINSM_9compositeIJNSM_27transparent_binary_operatorINSA_8equal_toIvEEEENSN_INSM_8argumentILj0EEEEENSM_5valueIiEEEEEEEEEEEE10hipError_tPvRmT3_T4_T5_T6_T7_T9_mT8_P12ihipStream_tbDpT10_ENKUlT_T0_E_clISt17integral_constantIbLb1EES1J_IbLb0EEEEDaS1F_S1G_EUlS1F_E_NS1_11comp_targetILNS1_3genE2ELNS1_11target_archE906ELNS1_3gpuE6ELNS1_3repE0EEENS1_30default_config_static_selectorELNS0_4arch9wavefront6targetE0EEEvT1_,"axG",@progbits,_ZN7rocprim17ROCPRIM_400000_NS6detail17trampoline_kernelINS0_14default_configENS1_25partition_config_selectorILNS1_17partition_subalgoE6EiNS0_10empty_typeEbEEZZNS1_14partition_implILS5_6ELb0ES3_mN6thrust23THRUST_200600_302600_NS6detail15normal_iteratorINSA_10device_ptrIiEEEEPS6_SG_NS0_5tupleIJSF_S6_EEENSH_IJSG_SG_EEES6_PlJNSB_9not_fun_tINSB_10functional5actorINSM_9compositeIJNSM_27transparent_binary_operatorINSA_8equal_toIvEEEENSN_INSM_8argumentILj0EEEEENSM_5valueIiEEEEEEEEEEEE10hipError_tPvRmT3_T4_T5_T6_T7_T9_mT8_P12ihipStream_tbDpT10_ENKUlT_T0_E_clISt17integral_constantIbLb1EES1J_IbLb0EEEEDaS1F_S1G_EUlS1F_E_NS1_11comp_targetILNS1_3genE2ELNS1_11target_archE906ELNS1_3gpuE6ELNS1_3repE0EEENS1_30default_config_static_selectorELNS0_4arch9wavefront6targetE0EEEvT1_,comdat
	.protected	_ZN7rocprim17ROCPRIM_400000_NS6detail17trampoline_kernelINS0_14default_configENS1_25partition_config_selectorILNS1_17partition_subalgoE6EiNS0_10empty_typeEbEEZZNS1_14partition_implILS5_6ELb0ES3_mN6thrust23THRUST_200600_302600_NS6detail15normal_iteratorINSA_10device_ptrIiEEEEPS6_SG_NS0_5tupleIJSF_S6_EEENSH_IJSG_SG_EEES6_PlJNSB_9not_fun_tINSB_10functional5actorINSM_9compositeIJNSM_27transparent_binary_operatorINSA_8equal_toIvEEEENSN_INSM_8argumentILj0EEEEENSM_5valueIiEEEEEEEEEEEE10hipError_tPvRmT3_T4_T5_T6_T7_T9_mT8_P12ihipStream_tbDpT10_ENKUlT_T0_E_clISt17integral_constantIbLb1EES1J_IbLb0EEEEDaS1F_S1G_EUlS1F_E_NS1_11comp_targetILNS1_3genE2ELNS1_11target_archE906ELNS1_3gpuE6ELNS1_3repE0EEENS1_30default_config_static_selectorELNS0_4arch9wavefront6targetE0EEEvT1_ ; -- Begin function _ZN7rocprim17ROCPRIM_400000_NS6detail17trampoline_kernelINS0_14default_configENS1_25partition_config_selectorILNS1_17partition_subalgoE6EiNS0_10empty_typeEbEEZZNS1_14partition_implILS5_6ELb0ES3_mN6thrust23THRUST_200600_302600_NS6detail15normal_iteratorINSA_10device_ptrIiEEEEPS6_SG_NS0_5tupleIJSF_S6_EEENSH_IJSG_SG_EEES6_PlJNSB_9not_fun_tINSB_10functional5actorINSM_9compositeIJNSM_27transparent_binary_operatorINSA_8equal_toIvEEEENSN_INSM_8argumentILj0EEEEENSM_5valueIiEEEEEEEEEEEE10hipError_tPvRmT3_T4_T5_T6_T7_T9_mT8_P12ihipStream_tbDpT10_ENKUlT_T0_E_clISt17integral_constantIbLb1EES1J_IbLb0EEEEDaS1F_S1G_EUlS1F_E_NS1_11comp_targetILNS1_3genE2ELNS1_11target_archE906ELNS1_3gpuE6ELNS1_3repE0EEENS1_30default_config_static_selectorELNS0_4arch9wavefront6targetE0EEEvT1_
	.globl	_ZN7rocprim17ROCPRIM_400000_NS6detail17trampoline_kernelINS0_14default_configENS1_25partition_config_selectorILNS1_17partition_subalgoE6EiNS0_10empty_typeEbEEZZNS1_14partition_implILS5_6ELb0ES3_mN6thrust23THRUST_200600_302600_NS6detail15normal_iteratorINSA_10device_ptrIiEEEEPS6_SG_NS0_5tupleIJSF_S6_EEENSH_IJSG_SG_EEES6_PlJNSB_9not_fun_tINSB_10functional5actorINSM_9compositeIJNSM_27transparent_binary_operatorINSA_8equal_toIvEEEENSN_INSM_8argumentILj0EEEEENSM_5valueIiEEEEEEEEEEEE10hipError_tPvRmT3_T4_T5_T6_T7_T9_mT8_P12ihipStream_tbDpT10_ENKUlT_T0_E_clISt17integral_constantIbLb1EES1J_IbLb0EEEEDaS1F_S1G_EUlS1F_E_NS1_11comp_targetILNS1_3genE2ELNS1_11target_archE906ELNS1_3gpuE6ELNS1_3repE0EEENS1_30default_config_static_selectorELNS0_4arch9wavefront6targetE0EEEvT1_
	.p2align	8
	.type	_ZN7rocprim17ROCPRIM_400000_NS6detail17trampoline_kernelINS0_14default_configENS1_25partition_config_selectorILNS1_17partition_subalgoE6EiNS0_10empty_typeEbEEZZNS1_14partition_implILS5_6ELb0ES3_mN6thrust23THRUST_200600_302600_NS6detail15normal_iteratorINSA_10device_ptrIiEEEEPS6_SG_NS0_5tupleIJSF_S6_EEENSH_IJSG_SG_EEES6_PlJNSB_9not_fun_tINSB_10functional5actorINSM_9compositeIJNSM_27transparent_binary_operatorINSA_8equal_toIvEEEENSN_INSM_8argumentILj0EEEEENSM_5valueIiEEEEEEEEEEEE10hipError_tPvRmT3_T4_T5_T6_T7_T9_mT8_P12ihipStream_tbDpT10_ENKUlT_T0_E_clISt17integral_constantIbLb1EES1J_IbLb0EEEEDaS1F_S1G_EUlS1F_E_NS1_11comp_targetILNS1_3genE2ELNS1_11target_archE906ELNS1_3gpuE6ELNS1_3repE0EEENS1_30default_config_static_selectorELNS0_4arch9wavefront6targetE0EEEvT1_,@function
_ZN7rocprim17ROCPRIM_400000_NS6detail17trampoline_kernelINS0_14default_configENS1_25partition_config_selectorILNS1_17partition_subalgoE6EiNS0_10empty_typeEbEEZZNS1_14partition_implILS5_6ELb0ES3_mN6thrust23THRUST_200600_302600_NS6detail15normal_iteratorINSA_10device_ptrIiEEEEPS6_SG_NS0_5tupleIJSF_S6_EEENSH_IJSG_SG_EEES6_PlJNSB_9not_fun_tINSB_10functional5actorINSM_9compositeIJNSM_27transparent_binary_operatorINSA_8equal_toIvEEEENSN_INSM_8argumentILj0EEEEENSM_5valueIiEEEEEEEEEEEE10hipError_tPvRmT3_T4_T5_T6_T7_T9_mT8_P12ihipStream_tbDpT10_ENKUlT_T0_E_clISt17integral_constantIbLb1EES1J_IbLb0EEEEDaS1F_S1G_EUlS1F_E_NS1_11comp_targetILNS1_3genE2ELNS1_11target_archE906ELNS1_3gpuE6ELNS1_3repE0EEENS1_30default_config_static_selectorELNS0_4arch9wavefront6targetE0EEEvT1_: ; @_ZN7rocprim17ROCPRIM_400000_NS6detail17trampoline_kernelINS0_14default_configENS1_25partition_config_selectorILNS1_17partition_subalgoE6EiNS0_10empty_typeEbEEZZNS1_14partition_implILS5_6ELb0ES3_mN6thrust23THRUST_200600_302600_NS6detail15normal_iteratorINSA_10device_ptrIiEEEEPS6_SG_NS0_5tupleIJSF_S6_EEENSH_IJSG_SG_EEES6_PlJNSB_9not_fun_tINSB_10functional5actorINSM_9compositeIJNSM_27transparent_binary_operatorINSA_8equal_toIvEEEENSN_INSM_8argumentILj0EEEEENSM_5valueIiEEEEEEEEEEEE10hipError_tPvRmT3_T4_T5_T6_T7_T9_mT8_P12ihipStream_tbDpT10_ENKUlT_T0_E_clISt17integral_constantIbLb1EES1J_IbLb0EEEEDaS1F_S1G_EUlS1F_E_NS1_11comp_targetILNS1_3genE2ELNS1_11target_archE906ELNS1_3gpuE6ELNS1_3repE0EEENS1_30default_config_static_selectorELNS0_4arch9wavefront6targetE0EEEvT1_
; %bb.0:
	.section	.rodata,"a",@progbits
	.p2align	6, 0x0
	.amdhsa_kernel _ZN7rocprim17ROCPRIM_400000_NS6detail17trampoline_kernelINS0_14default_configENS1_25partition_config_selectorILNS1_17partition_subalgoE6EiNS0_10empty_typeEbEEZZNS1_14partition_implILS5_6ELb0ES3_mN6thrust23THRUST_200600_302600_NS6detail15normal_iteratorINSA_10device_ptrIiEEEEPS6_SG_NS0_5tupleIJSF_S6_EEENSH_IJSG_SG_EEES6_PlJNSB_9not_fun_tINSB_10functional5actorINSM_9compositeIJNSM_27transparent_binary_operatorINSA_8equal_toIvEEEENSN_INSM_8argumentILj0EEEEENSM_5valueIiEEEEEEEEEEEE10hipError_tPvRmT3_T4_T5_T6_T7_T9_mT8_P12ihipStream_tbDpT10_ENKUlT_T0_E_clISt17integral_constantIbLb1EES1J_IbLb0EEEEDaS1F_S1G_EUlS1F_E_NS1_11comp_targetILNS1_3genE2ELNS1_11target_archE906ELNS1_3gpuE6ELNS1_3repE0EEENS1_30default_config_static_selectorELNS0_4arch9wavefront6targetE0EEEvT1_
		.amdhsa_group_segment_fixed_size 0
		.amdhsa_private_segment_fixed_size 0
		.amdhsa_kernarg_size 120
		.amdhsa_user_sgpr_count 2
		.amdhsa_user_sgpr_dispatch_ptr 0
		.amdhsa_user_sgpr_queue_ptr 0
		.amdhsa_user_sgpr_kernarg_segment_ptr 1
		.amdhsa_user_sgpr_dispatch_id 0
		.amdhsa_user_sgpr_private_segment_size 0
		.amdhsa_wavefront_size32 1
		.amdhsa_uses_dynamic_stack 0
		.amdhsa_enable_private_segment 0
		.amdhsa_system_sgpr_workgroup_id_x 1
		.amdhsa_system_sgpr_workgroup_id_y 0
		.amdhsa_system_sgpr_workgroup_id_z 0
		.amdhsa_system_sgpr_workgroup_info 0
		.amdhsa_system_vgpr_workitem_id 0
		.amdhsa_next_free_vgpr 1
		.amdhsa_next_free_sgpr 1
		.amdhsa_reserve_vcc 0
		.amdhsa_float_round_mode_32 0
		.amdhsa_float_round_mode_16_64 0
		.amdhsa_float_denorm_mode_32 3
		.amdhsa_float_denorm_mode_16_64 3
		.amdhsa_fp16_overflow 0
		.amdhsa_workgroup_processor_mode 1
		.amdhsa_memory_ordered 1
		.amdhsa_forward_progress 1
		.amdhsa_inst_pref_size 0
		.amdhsa_round_robin_scheduling 0
		.amdhsa_exception_fp_ieee_invalid_op 0
		.amdhsa_exception_fp_denorm_src 0
		.amdhsa_exception_fp_ieee_div_zero 0
		.amdhsa_exception_fp_ieee_overflow 0
		.amdhsa_exception_fp_ieee_underflow 0
		.amdhsa_exception_fp_ieee_inexact 0
		.amdhsa_exception_int_div_zero 0
	.end_amdhsa_kernel
	.section	.text._ZN7rocprim17ROCPRIM_400000_NS6detail17trampoline_kernelINS0_14default_configENS1_25partition_config_selectorILNS1_17partition_subalgoE6EiNS0_10empty_typeEbEEZZNS1_14partition_implILS5_6ELb0ES3_mN6thrust23THRUST_200600_302600_NS6detail15normal_iteratorINSA_10device_ptrIiEEEEPS6_SG_NS0_5tupleIJSF_S6_EEENSH_IJSG_SG_EEES6_PlJNSB_9not_fun_tINSB_10functional5actorINSM_9compositeIJNSM_27transparent_binary_operatorINSA_8equal_toIvEEEENSN_INSM_8argumentILj0EEEEENSM_5valueIiEEEEEEEEEEEE10hipError_tPvRmT3_T4_T5_T6_T7_T9_mT8_P12ihipStream_tbDpT10_ENKUlT_T0_E_clISt17integral_constantIbLb1EES1J_IbLb0EEEEDaS1F_S1G_EUlS1F_E_NS1_11comp_targetILNS1_3genE2ELNS1_11target_archE906ELNS1_3gpuE6ELNS1_3repE0EEENS1_30default_config_static_selectorELNS0_4arch9wavefront6targetE0EEEvT1_,"axG",@progbits,_ZN7rocprim17ROCPRIM_400000_NS6detail17trampoline_kernelINS0_14default_configENS1_25partition_config_selectorILNS1_17partition_subalgoE6EiNS0_10empty_typeEbEEZZNS1_14partition_implILS5_6ELb0ES3_mN6thrust23THRUST_200600_302600_NS6detail15normal_iteratorINSA_10device_ptrIiEEEEPS6_SG_NS0_5tupleIJSF_S6_EEENSH_IJSG_SG_EEES6_PlJNSB_9not_fun_tINSB_10functional5actorINSM_9compositeIJNSM_27transparent_binary_operatorINSA_8equal_toIvEEEENSN_INSM_8argumentILj0EEEEENSM_5valueIiEEEEEEEEEEEE10hipError_tPvRmT3_T4_T5_T6_T7_T9_mT8_P12ihipStream_tbDpT10_ENKUlT_T0_E_clISt17integral_constantIbLb1EES1J_IbLb0EEEEDaS1F_S1G_EUlS1F_E_NS1_11comp_targetILNS1_3genE2ELNS1_11target_archE906ELNS1_3gpuE6ELNS1_3repE0EEENS1_30default_config_static_selectorELNS0_4arch9wavefront6targetE0EEEvT1_,comdat
.Lfunc_end231:
	.size	_ZN7rocprim17ROCPRIM_400000_NS6detail17trampoline_kernelINS0_14default_configENS1_25partition_config_selectorILNS1_17partition_subalgoE6EiNS0_10empty_typeEbEEZZNS1_14partition_implILS5_6ELb0ES3_mN6thrust23THRUST_200600_302600_NS6detail15normal_iteratorINSA_10device_ptrIiEEEEPS6_SG_NS0_5tupleIJSF_S6_EEENSH_IJSG_SG_EEES6_PlJNSB_9not_fun_tINSB_10functional5actorINSM_9compositeIJNSM_27transparent_binary_operatorINSA_8equal_toIvEEEENSN_INSM_8argumentILj0EEEEENSM_5valueIiEEEEEEEEEEEE10hipError_tPvRmT3_T4_T5_T6_T7_T9_mT8_P12ihipStream_tbDpT10_ENKUlT_T0_E_clISt17integral_constantIbLb1EES1J_IbLb0EEEEDaS1F_S1G_EUlS1F_E_NS1_11comp_targetILNS1_3genE2ELNS1_11target_archE906ELNS1_3gpuE6ELNS1_3repE0EEENS1_30default_config_static_selectorELNS0_4arch9wavefront6targetE0EEEvT1_, .Lfunc_end231-_ZN7rocprim17ROCPRIM_400000_NS6detail17trampoline_kernelINS0_14default_configENS1_25partition_config_selectorILNS1_17partition_subalgoE6EiNS0_10empty_typeEbEEZZNS1_14partition_implILS5_6ELb0ES3_mN6thrust23THRUST_200600_302600_NS6detail15normal_iteratorINSA_10device_ptrIiEEEEPS6_SG_NS0_5tupleIJSF_S6_EEENSH_IJSG_SG_EEES6_PlJNSB_9not_fun_tINSB_10functional5actorINSM_9compositeIJNSM_27transparent_binary_operatorINSA_8equal_toIvEEEENSN_INSM_8argumentILj0EEEEENSM_5valueIiEEEEEEEEEEEE10hipError_tPvRmT3_T4_T5_T6_T7_T9_mT8_P12ihipStream_tbDpT10_ENKUlT_T0_E_clISt17integral_constantIbLb1EES1J_IbLb0EEEEDaS1F_S1G_EUlS1F_E_NS1_11comp_targetILNS1_3genE2ELNS1_11target_archE906ELNS1_3gpuE6ELNS1_3repE0EEENS1_30default_config_static_selectorELNS0_4arch9wavefront6targetE0EEEvT1_
                                        ; -- End function
	.set _ZN7rocprim17ROCPRIM_400000_NS6detail17trampoline_kernelINS0_14default_configENS1_25partition_config_selectorILNS1_17partition_subalgoE6EiNS0_10empty_typeEbEEZZNS1_14partition_implILS5_6ELb0ES3_mN6thrust23THRUST_200600_302600_NS6detail15normal_iteratorINSA_10device_ptrIiEEEEPS6_SG_NS0_5tupleIJSF_S6_EEENSH_IJSG_SG_EEES6_PlJNSB_9not_fun_tINSB_10functional5actorINSM_9compositeIJNSM_27transparent_binary_operatorINSA_8equal_toIvEEEENSN_INSM_8argumentILj0EEEEENSM_5valueIiEEEEEEEEEEEE10hipError_tPvRmT3_T4_T5_T6_T7_T9_mT8_P12ihipStream_tbDpT10_ENKUlT_T0_E_clISt17integral_constantIbLb1EES1J_IbLb0EEEEDaS1F_S1G_EUlS1F_E_NS1_11comp_targetILNS1_3genE2ELNS1_11target_archE906ELNS1_3gpuE6ELNS1_3repE0EEENS1_30default_config_static_selectorELNS0_4arch9wavefront6targetE0EEEvT1_.num_vgpr, 0
	.set _ZN7rocprim17ROCPRIM_400000_NS6detail17trampoline_kernelINS0_14default_configENS1_25partition_config_selectorILNS1_17partition_subalgoE6EiNS0_10empty_typeEbEEZZNS1_14partition_implILS5_6ELb0ES3_mN6thrust23THRUST_200600_302600_NS6detail15normal_iteratorINSA_10device_ptrIiEEEEPS6_SG_NS0_5tupleIJSF_S6_EEENSH_IJSG_SG_EEES6_PlJNSB_9not_fun_tINSB_10functional5actorINSM_9compositeIJNSM_27transparent_binary_operatorINSA_8equal_toIvEEEENSN_INSM_8argumentILj0EEEEENSM_5valueIiEEEEEEEEEEEE10hipError_tPvRmT3_T4_T5_T6_T7_T9_mT8_P12ihipStream_tbDpT10_ENKUlT_T0_E_clISt17integral_constantIbLb1EES1J_IbLb0EEEEDaS1F_S1G_EUlS1F_E_NS1_11comp_targetILNS1_3genE2ELNS1_11target_archE906ELNS1_3gpuE6ELNS1_3repE0EEENS1_30default_config_static_selectorELNS0_4arch9wavefront6targetE0EEEvT1_.num_agpr, 0
	.set _ZN7rocprim17ROCPRIM_400000_NS6detail17trampoline_kernelINS0_14default_configENS1_25partition_config_selectorILNS1_17partition_subalgoE6EiNS0_10empty_typeEbEEZZNS1_14partition_implILS5_6ELb0ES3_mN6thrust23THRUST_200600_302600_NS6detail15normal_iteratorINSA_10device_ptrIiEEEEPS6_SG_NS0_5tupleIJSF_S6_EEENSH_IJSG_SG_EEES6_PlJNSB_9not_fun_tINSB_10functional5actorINSM_9compositeIJNSM_27transparent_binary_operatorINSA_8equal_toIvEEEENSN_INSM_8argumentILj0EEEEENSM_5valueIiEEEEEEEEEEEE10hipError_tPvRmT3_T4_T5_T6_T7_T9_mT8_P12ihipStream_tbDpT10_ENKUlT_T0_E_clISt17integral_constantIbLb1EES1J_IbLb0EEEEDaS1F_S1G_EUlS1F_E_NS1_11comp_targetILNS1_3genE2ELNS1_11target_archE906ELNS1_3gpuE6ELNS1_3repE0EEENS1_30default_config_static_selectorELNS0_4arch9wavefront6targetE0EEEvT1_.numbered_sgpr, 0
	.set _ZN7rocprim17ROCPRIM_400000_NS6detail17trampoline_kernelINS0_14default_configENS1_25partition_config_selectorILNS1_17partition_subalgoE6EiNS0_10empty_typeEbEEZZNS1_14partition_implILS5_6ELb0ES3_mN6thrust23THRUST_200600_302600_NS6detail15normal_iteratorINSA_10device_ptrIiEEEEPS6_SG_NS0_5tupleIJSF_S6_EEENSH_IJSG_SG_EEES6_PlJNSB_9not_fun_tINSB_10functional5actorINSM_9compositeIJNSM_27transparent_binary_operatorINSA_8equal_toIvEEEENSN_INSM_8argumentILj0EEEEENSM_5valueIiEEEEEEEEEEEE10hipError_tPvRmT3_T4_T5_T6_T7_T9_mT8_P12ihipStream_tbDpT10_ENKUlT_T0_E_clISt17integral_constantIbLb1EES1J_IbLb0EEEEDaS1F_S1G_EUlS1F_E_NS1_11comp_targetILNS1_3genE2ELNS1_11target_archE906ELNS1_3gpuE6ELNS1_3repE0EEENS1_30default_config_static_selectorELNS0_4arch9wavefront6targetE0EEEvT1_.num_named_barrier, 0
	.set _ZN7rocprim17ROCPRIM_400000_NS6detail17trampoline_kernelINS0_14default_configENS1_25partition_config_selectorILNS1_17partition_subalgoE6EiNS0_10empty_typeEbEEZZNS1_14partition_implILS5_6ELb0ES3_mN6thrust23THRUST_200600_302600_NS6detail15normal_iteratorINSA_10device_ptrIiEEEEPS6_SG_NS0_5tupleIJSF_S6_EEENSH_IJSG_SG_EEES6_PlJNSB_9not_fun_tINSB_10functional5actorINSM_9compositeIJNSM_27transparent_binary_operatorINSA_8equal_toIvEEEENSN_INSM_8argumentILj0EEEEENSM_5valueIiEEEEEEEEEEEE10hipError_tPvRmT3_T4_T5_T6_T7_T9_mT8_P12ihipStream_tbDpT10_ENKUlT_T0_E_clISt17integral_constantIbLb1EES1J_IbLb0EEEEDaS1F_S1G_EUlS1F_E_NS1_11comp_targetILNS1_3genE2ELNS1_11target_archE906ELNS1_3gpuE6ELNS1_3repE0EEENS1_30default_config_static_selectorELNS0_4arch9wavefront6targetE0EEEvT1_.private_seg_size, 0
	.set _ZN7rocprim17ROCPRIM_400000_NS6detail17trampoline_kernelINS0_14default_configENS1_25partition_config_selectorILNS1_17partition_subalgoE6EiNS0_10empty_typeEbEEZZNS1_14partition_implILS5_6ELb0ES3_mN6thrust23THRUST_200600_302600_NS6detail15normal_iteratorINSA_10device_ptrIiEEEEPS6_SG_NS0_5tupleIJSF_S6_EEENSH_IJSG_SG_EEES6_PlJNSB_9not_fun_tINSB_10functional5actorINSM_9compositeIJNSM_27transparent_binary_operatorINSA_8equal_toIvEEEENSN_INSM_8argumentILj0EEEEENSM_5valueIiEEEEEEEEEEEE10hipError_tPvRmT3_T4_T5_T6_T7_T9_mT8_P12ihipStream_tbDpT10_ENKUlT_T0_E_clISt17integral_constantIbLb1EES1J_IbLb0EEEEDaS1F_S1G_EUlS1F_E_NS1_11comp_targetILNS1_3genE2ELNS1_11target_archE906ELNS1_3gpuE6ELNS1_3repE0EEENS1_30default_config_static_selectorELNS0_4arch9wavefront6targetE0EEEvT1_.uses_vcc, 0
	.set _ZN7rocprim17ROCPRIM_400000_NS6detail17trampoline_kernelINS0_14default_configENS1_25partition_config_selectorILNS1_17partition_subalgoE6EiNS0_10empty_typeEbEEZZNS1_14partition_implILS5_6ELb0ES3_mN6thrust23THRUST_200600_302600_NS6detail15normal_iteratorINSA_10device_ptrIiEEEEPS6_SG_NS0_5tupleIJSF_S6_EEENSH_IJSG_SG_EEES6_PlJNSB_9not_fun_tINSB_10functional5actorINSM_9compositeIJNSM_27transparent_binary_operatorINSA_8equal_toIvEEEENSN_INSM_8argumentILj0EEEEENSM_5valueIiEEEEEEEEEEEE10hipError_tPvRmT3_T4_T5_T6_T7_T9_mT8_P12ihipStream_tbDpT10_ENKUlT_T0_E_clISt17integral_constantIbLb1EES1J_IbLb0EEEEDaS1F_S1G_EUlS1F_E_NS1_11comp_targetILNS1_3genE2ELNS1_11target_archE906ELNS1_3gpuE6ELNS1_3repE0EEENS1_30default_config_static_selectorELNS0_4arch9wavefront6targetE0EEEvT1_.uses_flat_scratch, 0
	.set _ZN7rocprim17ROCPRIM_400000_NS6detail17trampoline_kernelINS0_14default_configENS1_25partition_config_selectorILNS1_17partition_subalgoE6EiNS0_10empty_typeEbEEZZNS1_14partition_implILS5_6ELb0ES3_mN6thrust23THRUST_200600_302600_NS6detail15normal_iteratorINSA_10device_ptrIiEEEEPS6_SG_NS0_5tupleIJSF_S6_EEENSH_IJSG_SG_EEES6_PlJNSB_9not_fun_tINSB_10functional5actorINSM_9compositeIJNSM_27transparent_binary_operatorINSA_8equal_toIvEEEENSN_INSM_8argumentILj0EEEEENSM_5valueIiEEEEEEEEEEEE10hipError_tPvRmT3_T4_T5_T6_T7_T9_mT8_P12ihipStream_tbDpT10_ENKUlT_T0_E_clISt17integral_constantIbLb1EES1J_IbLb0EEEEDaS1F_S1G_EUlS1F_E_NS1_11comp_targetILNS1_3genE2ELNS1_11target_archE906ELNS1_3gpuE6ELNS1_3repE0EEENS1_30default_config_static_selectorELNS0_4arch9wavefront6targetE0EEEvT1_.has_dyn_sized_stack, 0
	.set _ZN7rocprim17ROCPRIM_400000_NS6detail17trampoline_kernelINS0_14default_configENS1_25partition_config_selectorILNS1_17partition_subalgoE6EiNS0_10empty_typeEbEEZZNS1_14partition_implILS5_6ELb0ES3_mN6thrust23THRUST_200600_302600_NS6detail15normal_iteratorINSA_10device_ptrIiEEEEPS6_SG_NS0_5tupleIJSF_S6_EEENSH_IJSG_SG_EEES6_PlJNSB_9not_fun_tINSB_10functional5actorINSM_9compositeIJNSM_27transparent_binary_operatorINSA_8equal_toIvEEEENSN_INSM_8argumentILj0EEEEENSM_5valueIiEEEEEEEEEEEE10hipError_tPvRmT3_T4_T5_T6_T7_T9_mT8_P12ihipStream_tbDpT10_ENKUlT_T0_E_clISt17integral_constantIbLb1EES1J_IbLb0EEEEDaS1F_S1G_EUlS1F_E_NS1_11comp_targetILNS1_3genE2ELNS1_11target_archE906ELNS1_3gpuE6ELNS1_3repE0EEENS1_30default_config_static_selectorELNS0_4arch9wavefront6targetE0EEEvT1_.has_recursion, 0
	.set _ZN7rocprim17ROCPRIM_400000_NS6detail17trampoline_kernelINS0_14default_configENS1_25partition_config_selectorILNS1_17partition_subalgoE6EiNS0_10empty_typeEbEEZZNS1_14partition_implILS5_6ELb0ES3_mN6thrust23THRUST_200600_302600_NS6detail15normal_iteratorINSA_10device_ptrIiEEEEPS6_SG_NS0_5tupleIJSF_S6_EEENSH_IJSG_SG_EEES6_PlJNSB_9not_fun_tINSB_10functional5actorINSM_9compositeIJNSM_27transparent_binary_operatorINSA_8equal_toIvEEEENSN_INSM_8argumentILj0EEEEENSM_5valueIiEEEEEEEEEEEE10hipError_tPvRmT3_T4_T5_T6_T7_T9_mT8_P12ihipStream_tbDpT10_ENKUlT_T0_E_clISt17integral_constantIbLb1EES1J_IbLb0EEEEDaS1F_S1G_EUlS1F_E_NS1_11comp_targetILNS1_3genE2ELNS1_11target_archE906ELNS1_3gpuE6ELNS1_3repE0EEENS1_30default_config_static_selectorELNS0_4arch9wavefront6targetE0EEEvT1_.has_indirect_call, 0
	.section	.AMDGPU.csdata,"",@progbits
; Kernel info:
; codeLenInByte = 0
; TotalNumSgprs: 0
; NumVgprs: 0
; ScratchSize: 0
; MemoryBound: 0
; FloatMode: 240
; IeeeMode: 1
; LDSByteSize: 0 bytes/workgroup (compile time only)
; SGPRBlocks: 0
; VGPRBlocks: 0
; NumSGPRsForWavesPerEU: 1
; NumVGPRsForWavesPerEU: 1
; Occupancy: 16
; WaveLimiterHint : 0
; COMPUTE_PGM_RSRC2:SCRATCH_EN: 0
; COMPUTE_PGM_RSRC2:USER_SGPR: 2
; COMPUTE_PGM_RSRC2:TRAP_HANDLER: 0
; COMPUTE_PGM_RSRC2:TGID_X_EN: 1
; COMPUTE_PGM_RSRC2:TGID_Y_EN: 0
; COMPUTE_PGM_RSRC2:TGID_Z_EN: 0
; COMPUTE_PGM_RSRC2:TIDIG_COMP_CNT: 0
	.section	.text._ZN7rocprim17ROCPRIM_400000_NS6detail17trampoline_kernelINS0_14default_configENS1_25partition_config_selectorILNS1_17partition_subalgoE6EiNS0_10empty_typeEbEEZZNS1_14partition_implILS5_6ELb0ES3_mN6thrust23THRUST_200600_302600_NS6detail15normal_iteratorINSA_10device_ptrIiEEEEPS6_SG_NS0_5tupleIJSF_S6_EEENSH_IJSG_SG_EEES6_PlJNSB_9not_fun_tINSB_10functional5actorINSM_9compositeIJNSM_27transparent_binary_operatorINSA_8equal_toIvEEEENSN_INSM_8argumentILj0EEEEENSM_5valueIiEEEEEEEEEEEE10hipError_tPvRmT3_T4_T5_T6_T7_T9_mT8_P12ihipStream_tbDpT10_ENKUlT_T0_E_clISt17integral_constantIbLb1EES1J_IbLb0EEEEDaS1F_S1G_EUlS1F_E_NS1_11comp_targetILNS1_3genE10ELNS1_11target_archE1200ELNS1_3gpuE4ELNS1_3repE0EEENS1_30default_config_static_selectorELNS0_4arch9wavefront6targetE0EEEvT1_,"axG",@progbits,_ZN7rocprim17ROCPRIM_400000_NS6detail17trampoline_kernelINS0_14default_configENS1_25partition_config_selectorILNS1_17partition_subalgoE6EiNS0_10empty_typeEbEEZZNS1_14partition_implILS5_6ELb0ES3_mN6thrust23THRUST_200600_302600_NS6detail15normal_iteratorINSA_10device_ptrIiEEEEPS6_SG_NS0_5tupleIJSF_S6_EEENSH_IJSG_SG_EEES6_PlJNSB_9not_fun_tINSB_10functional5actorINSM_9compositeIJNSM_27transparent_binary_operatorINSA_8equal_toIvEEEENSN_INSM_8argumentILj0EEEEENSM_5valueIiEEEEEEEEEEEE10hipError_tPvRmT3_T4_T5_T6_T7_T9_mT8_P12ihipStream_tbDpT10_ENKUlT_T0_E_clISt17integral_constantIbLb1EES1J_IbLb0EEEEDaS1F_S1G_EUlS1F_E_NS1_11comp_targetILNS1_3genE10ELNS1_11target_archE1200ELNS1_3gpuE4ELNS1_3repE0EEENS1_30default_config_static_selectorELNS0_4arch9wavefront6targetE0EEEvT1_,comdat
	.protected	_ZN7rocprim17ROCPRIM_400000_NS6detail17trampoline_kernelINS0_14default_configENS1_25partition_config_selectorILNS1_17partition_subalgoE6EiNS0_10empty_typeEbEEZZNS1_14partition_implILS5_6ELb0ES3_mN6thrust23THRUST_200600_302600_NS6detail15normal_iteratorINSA_10device_ptrIiEEEEPS6_SG_NS0_5tupleIJSF_S6_EEENSH_IJSG_SG_EEES6_PlJNSB_9not_fun_tINSB_10functional5actorINSM_9compositeIJNSM_27transparent_binary_operatorINSA_8equal_toIvEEEENSN_INSM_8argumentILj0EEEEENSM_5valueIiEEEEEEEEEEEE10hipError_tPvRmT3_T4_T5_T6_T7_T9_mT8_P12ihipStream_tbDpT10_ENKUlT_T0_E_clISt17integral_constantIbLb1EES1J_IbLb0EEEEDaS1F_S1G_EUlS1F_E_NS1_11comp_targetILNS1_3genE10ELNS1_11target_archE1200ELNS1_3gpuE4ELNS1_3repE0EEENS1_30default_config_static_selectorELNS0_4arch9wavefront6targetE0EEEvT1_ ; -- Begin function _ZN7rocprim17ROCPRIM_400000_NS6detail17trampoline_kernelINS0_14default_configENS1_25partition_config_selectorILNS1_17partition_subalgoE6EiNS0_10empty_typeEbEEZZNS1_14partition_implILS5_6ELb0ES3_mN6thrust23THRUST_200600_302600_NS6detail15normal_iteratorINSA_10device_ptrIiEEEEPS6_SG_NS0_5tupleIJSF_S6_EEENSH_IJSG_SG_EEES6_PlJNSB_9not_fun_tINSB_10functional5actorINSM_9compositeIJNSM_27transparent_binary_operatorINSA_8equal_toIvEEEENSN_INSM_8argumentILj0EEEEENSM_5valueIiEEEEEEEEEEEE10hipError_tPvRmT3_T4_T5_T6_T7_T9_mT8_P12ihipStream_tbDpT10_ENKUlT_T0_E_clISt17integral_constantIbLb1EES1J_IbLb0EEEEDaS1F_S1G_EUlS1F_E_NS1_11comp_targetILNS1_3genE10ELNS1_11target_archE1200ELNS1_3gpuE4ELNS1_3repE0EEENS1_30default_config_static_selectorELNS0_4arch9wavefront6targetE0EEEvT1_
	.globl	_ZN7rocprim17ROCPRIM_400000_NS6detail17trampoline_kernelINS0_14default_configENS1_25partition_config_selectorILNS1_17partition_subalgoE6EiNS0_10empty_typeEbEEZZNS1_14partition_implILS5_6ELb0ES3_mN6thrust23THRUST_200600_302600_NS6detail15normal_iteratorINSA_10device_ptrIiEEEEPS6_SG_NS0_5tupleIJSF_S6_EEENSH_IJSG_SG_EEES6_PlJNSB_9not_fun_tINSB_10functional5actorINSM_9compositeIJNSM_27transparent_binary_operatorINSA_8equal_toIvEEEENSN_INSM_8argumentILj0EEEEENSM_5valueIiEEEEEEEEEEEE10hipError_tPvRmT3_T4_T5_T6_T7_T9_mT8_P12ihipStream_tbDpT10_ENKUlT_T0_E_clISt17integral_constantIbLb1EES1J_IbLb0EEEEDaS1F_S1G_EUlS1F_E_NS1_11comp_targetILNS1_3genE10ELNS1_11target_archE1200ELNS1_3gpuE4ELNS1_3repE0EEENS1_30default_config_static_selectorELNS0_4arch9wavefront6targetE0EEEvT1_
	.p2align	8
	.type	_ZN7rocprim17ROCPRIM_400000_NS6detail17trampoline_kernelINS0_14default_configENS1_25partition_config_selectorILNS1_17partition_subalgoE6EiNS0_10empty_typeEbEEZZNS1_14partition_implILS5_6ELb0ES3_mN6thrust23THRUST_200600_302600_NS6detail15normal_iteratorINSA_10device_ptrIiEEEEPS6_SG_NS0_5tupleIJSF_S6_EEENSH_IJSG_SG_EEES6_PlJNSB_9not_fun_tINSB_10functional5actorINSM_9compositeIJNSM_27transparent_binary_operatorINSA_8equal_toIvEEEENSN_INSM_8argumentILj0EEEEENSM_5valueIiEEEEEEEEEEEE10hipError_tPvRmT3_T4_T5_T6_T7_T9_mT8_P12ihipStream_tbDpT10_ENKUlT_T0_E_clISt17integral_constantIbLb1EES1J_IbLb0EEEEDaS1F_S1G_EUlS1F_E_NS1_11comp_targetILNS1_3genE10ELNS1_11target_archE1200ELNS1_3gpuE4ELNS1_3repE0EEENS1_30default_config_static_selectorELNS0_4arch9wavefront6targetE0EEEvT1_,@function
_ZN7rocprim17ROCPRIM_400000_NS6detail17trampoline_kernelINS0_14default_configENS1_25partition_config_selectorILNS1_17partition_subalgoE6EiNS0_10empty_typeEbEEZZNS1_14partition_implILS5_6ELb0ES3_mN6thrust23THRUST_200600_302600_NS6detail15normal_iteratorINSA_10device_ptrIiEEEEPS6_SG_NS0_5tupleIJSF_S6_EEENSH_IJSG_SG_EEES6_PlJNSB_9not_fun_tINSB_10functional5actorINSM_9compositeIJNSM_27transparent_binary_operatorINSA_8equal_toIvEEEENSN_INSM_8argumentILj0EEEEENSM_5valueIiEEEEEEEEEEEE10hipError_tPvRmT3_T4_T5_T6_T7_T9_mT8_P12ihipStream_tbDpT10_ENKUlT_T0_E_clISt17integral_constantIbLb1EES1J_IbLb0EEEEDaS1F_S1G_EUlS1F_E_NS1_11comp_targetILNS1_3genE10ELNS1_11target_archE1200ELNS1_3gpuE4ELNS1_3repE0EEENS1_30default_config_static_selectorELNS0_4arch9wavefront6targetE0EEEvT1_: ; @_ZN7rocprim17ROCPRIM_400000_NS6detail17trampoline_kernelINS0_14default_configENS1_25partition_config_selectorILNS1_17partition_subalgoE6EiNS0_10empty_typeEbEEZZNS1_14partition_implILS5_6ELb0ES3_mN6thrust23THRUST_200600_302600_NS6detail15normal_iteratorINSA_10device_ptrIiEEEEPS6_SG_NS0_5tupleIJSF_S6_EEENSH_IJSG_SG_EEES6_PlJNSB_9not_fun_tINSB_10functional5actorINSM_9compositeIJNSM_27transparent_binary_operatorINSA_8equal_toIvEEEENSN_INSM_8argumentILj0EEEEENSM_5valueIiEEEEEEEEEEEE10hipError_tPvRmT3_T4_T5_T6_T7_T9_mT8_P12ihipStream_tbDpT10_ENKUlT_T0_E_clISt17integral_constantIbLb1EES1J_IbLb0EEEEDaS1F_S1G_EUlS1F_E_NS1_11comp_targetILNS1_3genE10ELNS1_11target_archE1200ELNS1_3gpuE4ELNS1_3repE0EEENS1_30default_config_static_selectorELNS0_4arch9wavefront6targetE0EEEvT1_
; %bb.0:
	s_endpgm
	.section	.rodata,"a",@progbits
	.p2align	6, 0x0
	.amdhsa_kernel _ZN7rocprim17ROCPRIM_400000_NS6detail17trampoline_kernelINS0_14default_configENS1_25partition_config_selectorILNS1_17partition_subalgoE6EiNS0_10empty_typeEbEEZZNS1_14partition_implILS5_6ELb0ES3_mN6thrust23THRUST_200600_302600_NS6detail15normal_iteratorINSA_10device_ptrIiEEEEPS6_SG_NS0_5tupleIJSF_S6_EEENSH_IJSG_SG_EEES6_PlJNSB_9not_fun_tINSB_10functional5actorINSM_9compositeIJNSM_27transparent_binary_operatorINSA_8equal_toIvEEEENSN_INSM_8argumentILj0EEEEENSM_5valueIiEEEEEEEEEEEE10hipError_tPvRmT3_T4_T5_T6_T7_T9_mT8_P12ihipStream_tbDpT10_ENKUlT_T0_E_clISt17integral_constantIbLb1EES1J_IbLb0EEEEDaS1F_S1G_EUlS1F_E_NS1_11comp_targetILNS1_3genE10ELNS1_11target_archE1200ELNS1_3gpuE4ELNS1_3repE0EEENS1_30default_config_static_selectorELNS0_4arch9wavefront6targetE0EEEvT1_
		.amdhsa_group_segment_fixed_size 0
		.amdhsa_private_segment_fixed_size 0
		.amdhsa_kernarg_size 120
		.amdhsa_user_sgpr_count 2
		.amdhsa_user_sgpr_dispatch_ptr 0
		.amdhsa_user_sgpr_queue_ptr 0
		.amdhsa_user_sgpr_kernarg_segment_ptr 1
		.amdhsa_user_sgpr_dispatch_id 0
		.amdhsa_user_sgpr_private_segment_size 0
		.amdhsa_wavefront_size32 1
		.amdhsa_uses_dynamic_stack 0
		.amdhsa_enable_private_segment 0
		.amdhsa_system_sgpr_workgroup_id_x 1
		.amdhsa_system_sgpr_workgroup_id_y 0
		.amdhsa_system_sgpr_workgroup_id_z 0
		.amdhsa_system_sgpr_workgroup_info 0
		.amdhsa_system_vgpr_workitem_id 0
		.amdhsa_next_free_vgpr 1
		.amdhsa_next_free_sgpr 1
		.amdhsa_reserve_vcc 0
		.amdhsa_float_round_mode_32 0
		.amdhsa_float_round_mode_16_64 0
		.amdhsa_float_denorm_mode_32 3
		.amdhsa_float_denorm_mode_16_64 3
		.amdhsa_fp16_overflow 0
		.amdhsa_workgroup_processor_mode 1
		.amdhsa_memory_ordered 1
		.amdhsa_forward_progress 1
		.amdhsa_inst_pref_size 1
		.amdhsa_round_robin_scheduling 0
		.amdhsa_exception_fp_ieee_invalid_op 0
		.amdhsa_exception_fp_denorm_src 0
		.amdhsa_exception_fp_ieee_div_zero 0
		.amdhsa_exception_fp_ieee_overflow 0
		.amdhsa_exception_fp_ieee_underflow 0
		.amdhsa_exception_fp_ieee_inexact 0
		.amdhsa_exception_int_div_zero 0
	.end_amdhsa_kernel
	.section	.text._ZN7rocprim17ROCPRIM_400000_NS6detail17trampoline_kernelINS0_14default_configENS1_25partition_config_selectorILNS1_17partition_subalgoE6EiNS0_10empty_typeEbEEZZNS1_14partition_implILS5_6ELb0ES3_mN6thrust23THRUST_200600_302600_NS6detail15normal_iteratorINSA_10device_ptrIiEEEEPS6_SG_NS0_5tupleIJSF_S6_EEENSH_IJSG_SG_EEES6_PlJNSB_9not_fun_tINSB_10functional5actorINSM_9compositeIJNSM_27transparent_binary_operatorINSA_8equal_toIvEEEENSN_INSM_8argumentILj0EEEEENSM_5valueIiEEEEEEEEEEEE10hipError_tPvRmT3_T4_T5_T6_T7_T9_mT8_P12ihipStream_tbDpT10_ENKUlT_T0_E_clISt17integral_constantIbLb1EES1J_IbLb0EEEEDaS1F_S1G_EUlS1F_E_NS1_11comp_targetILNS1_3genE10ELNS1_11target_archE1200ELNS1_3gpuE4ELNS1_3repE0EEENS1_30default_config_static_selectorELNS0_4arch9wavefront6targetE0EEEvT1_,"axG",@progbits,_ZN7rocprim17ROCPRIM_400000_NS6detail17trampoline_kernelINS0_14default_configENS1_25partition_config_selectorILNS1_17partition_subalgoE6EiNS0_10empty_typeEbEEZZNS1_14partition_implILS5_6ELb0ES3_mN6thrust23THRUST_200600_302600_NS6detail15normal_iteratorINSA_10device_ptrIiEEEEPS6_SG_NS0_5tupleIJSF_S6_EEENSH_IJSG_SG_EEES6_PlJNSB_9not_fun_tINSB_10functional5actorINSM_9compositeIJNSM_27transparent_binary_operatorINSA_8equal_toIvEEEENSN_INSM_8argumentILj0EEEEENSM_5valueIiEEEEEEEEEEEE10hipError_tPvRmT3_T4_T5_T6_T7_T9_mT8_P12ihipStream_tbDpT10_ENKUlT_T0_E_clISt17integral_constantIbLb1EES1J_IbLb0EEEEDaS1F_S1G_EUlS1F_E_NS1_11comp_targetILNS1_3genE10ELNS1_11target_archE1200ELNS1_3gpuE4ELNS1_3repE0EEENS1_30default_config_static_selectorELNS0_4arch9wavefront6targetE0EEEvT1_,comdat
.Lfunc_end232:
	.size	_ZN7rocprim17ROCPRIM_400000_NS6detail17trampoline_kernelINS0_14default_configENS1_25partition_config_selectorILNS1_17partition_subalgoE6EiNS0_10empty_typeEbEEZZNS1_14partition_implILS5_6ELb0ES3_mN6thrust23THRUST_200600_302600_NS6detail15normal_iteratorINSA_10device_ptrIiEEEEPS6_SG_NS0_5tupleIJSF_S6_EEENSH_IJSG_SG_EEES6_PlJNSB_9not_fun_tINSB_10functional5actorINSM_9compositeIJNSM_27transparent_binary_operatorINSA_8equal_toIvEEEENSN_INSM_8argumentILj0EEEEENSM_5valueIiEEEEEEEEEEEE10hipError_tPvRmT3_T4_T5_T6_T7_T9_mT8_P12ihipStream_tbDpT10_ENKUlT_T0_E_clISt17integral_constantIbLb1EES1J_IbLb0EEEEDaS1F_S1G_EUlS1F_E_NS1_11comp_targetILNS1_3genE10ELNS1_11target_archE1200ELNS1_3gpuE4ELNS1_3repE0EEENS1_30default_config_static_selectorELNS0_4arch9wavefront6targetE0EEEvT1_, .Lfunc_end232-_ZN7rocprim17ROCPRIM_400000_NS6detail17trampoline_kernelINS0_14default_configENS1_25partition_config_selectorILNS1_17partition_subalgoE6EiNS0_10empty_typeEbEEZZNS1_14partition_implILS5_6ELb0ES3_mN6thrust23THRUST_200600_302600_NS6detail15normal_iteratorINSA_10device_ptrIiEEEEPS6_SG_NS0_5tupleIJSF_S6_EEENSH_IJSG_SG_EEES6_PlJNSB_9not_fun_tINSB_10functional5actorINSM_9compositeIJNSM_27transparent_binary_operatorINSA_8equal_toIvEEEENSN_INSM_8argumentILj0EEEEENSM_5valueIiEEEEEEEEEEEE10hipError_tPvRmT3_T4_T5_T6_T7_T9_mT8_P12ihipStream_tbDpT10_ENKUlT_T0_E_clISt17integral_constantIbLb1EES1J_IbLb0EEEEDaS1F_S1G_EUlS1F_E_NS1_11comp_targetILNS1_3genE10ELNS1_11target_archE1200ELNS1_3gpuE4ELNS1_3repE0EEENS1_30default_config_static_selectorELNS0_4arch9wavefront6targetE0EEEvT1_
                                        ; -- End function
	.set _ZN7rocprim17ROCPRIM_400000_NS6detail17trampoline_kernelINS0_14default_configENS1_25partition_config_selectorILNS1_17partition_subalgoE6EiNS0_10empty_typeEbEEZZNS1_14partition_implILS5_6ELb0ES3_mN6thrust23THRUST_200600_302600_NS6detail15normal_iteratorINSA_10device_ptrIiEEEEPS6_SG_NS0_5tupleIJSF_S6_EEENSH_IJSG_SG_EEES6_PlJNSB_9not_fun_tINSB_10functional5actorINSM_9compositeIJNSM_27transparent_binary_operatorINSA_8equal_toIvEEEENSN_INSM_8argumentILj0EEEEENSM_5valueIiEEEEEEEEEEEE10hipError_tPvRmT3_T4_T5_T6_T7_T9_mT8_P12ihipStream_tbDpT10_ENKUlT_T0_E_clISt17integral_constantIbLb1EES1J_IbLb0EEEEDaS1F_S1G_EUlS1F_E_NS1_11comp_targetILNS1_3genE10ELNS1_11target_archE1200ELNS1_3gpuE4ELNS1_3repE0EEENS1_30default_config_static_selectorELNS0_4arch9wavefront6targetE0EEEvT1_.num_vgpr, 0
	.set _ZN7rocprim17ROCPRIM_400000_NS6detail17trampoline_kernelINS0_14default_configENS1_25partition_config_selectorILNS1_17partition_subalgoE6EiNS0_10empty_typeEbEEZZNS1_14partition_implILS5_6ELb0ES3_mN6thrust23THRUST_200600_302600_NS6detail15normal_iteratorINSA_10device_ptrIiEEEEPS6_SG_NS0_5tupleIJSF_S6_EEENSH_IJSG_SG_EEES6_PlJNSB_9not_fun_tINSB_10functional5actorINSM_9compositeIJNSM_27transparent_binary_operatorINSA_8equal_toIvEEEENSN_INSM_8argumentILj0EEEEENSM_5valueIiEEEEEEEEEEEE10hipError_tPvRmT3_T4_T5_T6_T7_T9_mT8_P12ihipStream_tbDpT10_ENKUlT_T0_E_clISt17integral_constantIbLb1EES1J_IbLb0EEEEDaS1F_S1G_EUlS1F_E_NS1_11comp_targetILNS1_3genE10ELNS1_11target_archE1200ELNS1_3gpuE4ELNS1_3repE0EEENS1_30default_config_static_selectorELNS0_4arch9wavefront6targetE0EEEvT1_.num_agpr, 0
	.set _ZN7rocprim17ROCPRIM_400000_NS6detail17trampoline_kernelINS0_14default_configENS1_25partition_config_selectorILNS1_17partition_subalgoE6EiNS0_10empty_typeEbEEZZNS1_14partition_implILS5_6ELb0ES3_mN6thrust23THRUST_200600_302600_NS6detail15normal_iteratorINSA_10device_ptrIiEEEEPS6_SG_NS0_5tupleIJSF_S6_EEENSH_IJSG_SG_EEES6_PlJNSB_9not_fun_tINSB_10functional5actorINSM_9compositeIJNSM_27transparent_binary_operatorINSA_8equal_toIvEEEENSN_INSM_8argumentILj0EEEEENSM_5valueIiEEEEEEEEEEEE10hipError_tPvRmT3_T4_T5_T6_T7_T9_mT8_P12ihipStream_tbDpT10_ENKUlT_T0_E_clISt17integral_constantIbLb1EES1J_IbLb0EEEEDaS1F_S1G_EUlS1F_E_NS1_11comp_targetILNS1_3genE10ELNS1_11target_archE1200ELNS1_3gpuE4ELNS1_3repE0EEENS1_30default_config_static_selectorELNS0_4arch9wavefront6targetE0EEEvT1_.numbered_sgpr, 0
	.set _ZN7rocprim17ROCPRIM_400000_NS6detail17trampoline_kernelINS0_14default_configENS1_25partition_config_selectorILNS1_17partition_subalgoE6EiNS0_10empty_typeEbEEZZNS1_14partition_implILS5_6ELb0ES3_mN6thrust23THRUST_200600_302600_NS6detail15normal_iteratorINSA_10device_ptrIiEEEEPS6_SG_NS0_5tupleIJSF_S6_EEENSH_IJSG_SG_EEES6_PlJNSB_9not_fun_tINSB_10functional5actorINSM_9compositeIJNSM_27transparent_binary_operatorINSA_8equal_toIvEEEENSN_INSM_8argumentILj0EEEEENSM_5valueIiEEEEEEEEEEEE10hipError_tPvRmT3_T4_T5_T6_T7_T9_mT8_P12ihipStream_tbDpT10_ENKUlT_T0_E_clISt17integral_constantIbLb1EES1J_IbLb0EEEEDaS1F_S1G_EUlS1F_E_NS1_11comp_targetILNS1_3genE10ELNS1_11target_archE1200ELNS1_3gpuE4ELNS1_3repE0EEENS1_30default_config_static_selectorELNS0_4arch9wavefront6targetE0EEEvT1_.num_named_barrier, 0
	.set _ZN7rocprim17ROCPRIM_400000_NS6detail17trampoline_kernelINS0_14default_configENS1_25partition_config_selectorILNS1_17partition_subalgoE6EiNS0_10empty_typeEbEEZZNS1_14partition_implILS5_6ELb0ES3_mN6thrust23THRUST_200600_302600_NS6detail15normal_iteratorINSA_10device_ptrIiEEEEPS6_SG_NS0_5tupleIJSF_S6_EEENSH_IJSG_SG_EEES6_PlJNSB_9not_fun_tINSB_10functional5actorINSM_9compositeIJNSM_27transparent_binary_operatorINSA_8equal_toIvEEEENSN_INSM_8argumentILj0EEEEENSM_5valueIiEEEEEEEEEEEE10hipError_tPvRmT3_T4_T5_T6_T7_T9_mT8_P12ihipStream_tbDpT10_ENKUlT_T0_E_clISt17integral_constantIbLb1EES1J_IbLb0EEEEDaS1F_S1G_EUlS1F_E_NS1_11comp_targetILNS1_3genE10ELNS1_11target_archE1200ELNS1_3gpuE4ELNS1_3repE0EEENS1_30default_config_static_selectorELNS0_4arch9wavefront6targetE0EEEvT1_.private_seg_size, 0
	.set _ZN7rocprim17ROCPRIM_400000_NS6detail17trampoline_kernelINS0_14default_configENS1_25partition_config_selectorILNS1_17partition_subalgoE6EiNS0_10empty_typeEbEEZZNS1_14partition_implILS5_6ELb0ES3_mN6thrust23THRUST_200600_302600_NS6detail15normal_iteratorINSA_10device_ptrIiEEEEPS6_SG_NS0_5tupleIJSF_S6_EEENSH_IJSG_SG_EEES6_PlJNSB_9not_fun_tINSB_10functional5actorINSM_9compositeIJNSM_27transparent_binary_operatorINSA_8equal_toIvEEEENSN_INSM_8argumentILj0EEEEENSM_5valueIiEEEEEEEEEEEE10hipError_tPvRmT3_T4_T5_T6_T7_T9_mT8_P12ihipStream_tbDpT10_ENKUlT_T0_E_clISt17integral_constantIbLb1EES1J_IbLb0EEEEDaS1F_S1G_EUlS1F_E_NS1_11comp_targetILNS1_3genE10ELNS1_11target_archE1200ELNS1_3gpuE4ELNS1_3repE0EEENS1_30default_config_static_selectorELNS0_4arch9wavefront6targetE0EEEvT1_.uses_vcc, 0
	.set _ZN7rocprim17ROCPRIM_400000_NS6detail17trampoline_kernelINS0_14default_configENS1_25partition_config_selectorILNS1_17partition_subalgoE6EiNS0_10empty_typeEbEEZZNS1_14partition_implILS5_6ELb0ES3_mN6thrust23THRUST_200600_302600_NS6detail15normal_iteratorINSA_10device_ptrIiEEEEPS6_SG_NS0_5tupleIJSF_S6_EEENSH_IJSG_SG_EEES6_PlJNSB_9not_fun_tINSB_10functional5actorINSM_9compositeIJNSM_27transparent_binary_operatorINSA_8equal_toIvEEEENSN_INSM_8argumentILj0EEEEENSM_5valueIiEEEEEEEEEEEE10hipError_tPvRmT3_T4_T5_T6_T7_T9_mT8_P12ihipStream_tbDpT10_ENKUlT_T0_E_clISt17integral_constantIbLb1EES1J_IbLb0EEEEDaS1F_S1G_EUlS1F_E_NS1_11comp_targetILNS1_3genE10ELNS1_11target_archE1200ELNS1_3gpuE4ELNS1_3repE0EEENS1_30default_config_static_selectorELNS0_4arch9wavefront6targetE0EEEvT1_.uses_flat_scratch, 0
	.set _ZN7rocprim17ROCPRIM_400000_NS6detail17trampoline_kernelINS0_14default_configENS1_25partition_config_selectorILNS1_17partition_subalgoE6EiNS0_10empty_typeEbEEZZNS1_14partition_implILS5_6ELb0ES3_mN6thrust23THRUST_200600_302600_NS6detail15normal_iteratorINSA_10device_ptrIiEEEEPS6_SG_NS0_5tupleIJSF_S6_EEENSH_IJSG_SG_EEES6_PlJNSB_9not_fun_tINSB_10functional5actorINSM_9compositeIJNSM_27transparent_binary_operatorINSA_8equal_toIvEEEENSN_INSM_8argumentILj0EEEEENSM_5valueIiEEEEEEEEEEEE10hipError_tPvRmT3_T4_T5_T6_T7_T9_mT8_P12ihipStream_tbDpT10_ENKUlT_T0_E_clISt17integral_constantIbLb1EES1J_IbLb0EEEEDaS1F_S1G_EUlS1F_E_NS1_11comp_targetILNS1_3genE10ELNS1_11target_archE1200ELNS1_3gpuE4ELNS1_3repE0EEENS1_30default_config_static_selectorELNS0_4arch9wavefront6targetE0EEEvT1_.has_dyn_sized_stack, 0
	.set _ZN7rocprim17ROCPRIM_400000_NS6detail17trampoline_kernelINS0_14default_configENS1_25partition_config_selectorILNS1_17partition_subalgoE6EiNS0_10empty_typeEbEEZZNS1_14partition_implILS5_6ELb0ES3_mN6thrust23THRUST_200600_302600_NS6detail15normal_iteratorINSA_10device_ptrIiEEEEPS6_SG_NS0_5tupleIJSF_S6_EEENSH_IJSG_SG_EEES6_PlJNSB_9not_fun_tINSB_10functional5actorINSM_9compositeIJNSM_27transparent_binary_operatorINSA_8equal_toIvEEEENSN_INSM_8argumentILj0EEEEENSM_5valueIiEEEEEEEEEEEE10hipError_tPvRmT3_T4_T5_T6_T7_T9_mT8_P12ihipStream_tbDpT10_ENKUlT_T0_E_clISt17integral_constantIbLb1EES1J_IbLb0EEEEDaS1F_S1G_EUlS1F_E_NS1_11comp_targetILNS1_3genE10ELNS1_11target_archE1200ELNS1_3gpuE4ELNS1_3repE0EEENS1_30default_config_static_selectorELNS0_4arch9wavefront6targetE0EEEvT1_.has_recursion, 0
	.set _ZN7rocprim17ROCPRIM_400000_NS6detail17trampoline_kernelINS0_14default_configENS1_25partition_config_selectorILNS1_17partition_subalgoE6EiNS0_10empty_typeEbEEZZNS1_14partition_implILS5_6ELb0ES3_mN6thrust23THRUST_200600_302600_NS6detail15normal_iteratorINSA_10device_ptrIiEEEEPS6_SG_NS0_5tupleIJSF_S6_EEENSH_IJSG_SG_EEES6_PlJNSB_9not_fun_tINSB_10functional5actorINSM_9compositeIJNSM_27transparent_binary_operatorINSA_8equal_toIvEEEENSN_INSM_8argumentILj0EEEEENSM_5valueIiEEEEEEEEEEEE10hipError_tPvRmT3_T4_T5_T6_T7_T9_mT8_P12ihipStream_tbDpT10_ENKUlT_T0_E_clISt17integral_constantIbLb1EES1J_IbLb0EEEEDaS1F_S1G_EUlS1F_E_NS1_11comp_targetILNS1_3genE10ELNS1_11target_archE1200ELNS1_3gpuE4ELNS1_3repE0EEENS1_30default_config_static_selectorELNS0_4arch9wavefront6targetE0EEEvT1_.has_indirect_call, 0
	.section	.AMDGPU.csdata,"",@progbits
; Kernel info:
; codeLenInByte = 4
; TotalNumSgprs: 0
; NumVgprs: 0
; ScratchSize: 0
; MemoryBound: 0
; FloatMode: 240
; IeeeMode: 1
; LDSByteSize: 0 bytes/workgroup (compile time only)
; SGPRBlocks: 0
; VGPRBlocks: 0
; NumSGPRsForWavesPerEU: 1
; NumVGPRsForWavesPerEU: 1
; Occupancy: 16
; WaveLimiterHint : 0
; COMPUTE_PGM_RSRC2:SCRATCH_EN: 0
; COMPUTE_PGM_RSRC2:USER_SGPR: 2
; COMPUTE_PGM_RSRC2:TRAP_HANDLER: 0
; COMPUTE_PGM_RSRC2:TGID_X_EN: 1
; COMPUTE_PGM_RSRC2:TGID_Y_EN: 0
; COMPUTE_PGM_RSRC2:TGID_Z_EN: 0
; COMPUTE_PGM_RSRC2:TIDIG_COMP_CNT: 0
	.section	.text._ZN7rocprim17ROCPRIM_400000_NS6detail17trampoline_kernelINS0_14default_configENS1_25partition_config_selectorILNS1_17partition_subalgoE6EiNS0_10empty_typeEbEEZZNS1_14partition_implILS5_6ELb0ES3_mN6thrust23THRUST_200600_302600_NS6detail15normal_iteratorINSA_10device_ptrIiEEEEPS6_SG_NS0_5tupleIJSF_S6_EEENSH_IJSG_SG_EEES6_PlJNSB_9not_fun_tINSB_10functional5actorINSM_9compositeIJNSM_27transparent_binary_operatorINSA_8equal_toIvEEEENSN_INSM_8argumentILj0EEEEENSM_5valueIiEEEEEEEEEEEE10hipError_tPvRmT3_T4_T5_T6_T7_T9_mT8_P12ihipStream_tbDpT10_ENKUlT_T0_E_clISt17integral_constantIbLb1EES1J_IbLb0EEEEDaS1F_S1G_EUlS1F_E_NS1_11comp_targetILNS1_3genE9ELNS1_11target_archE1100ELNS1_3gpuE3ELNS1_3repE0EEENS1_30default_config_static_selectorELNS0_4arch9wavefront6targetE0EEEvT1_,"axG",@progbits,_ZN7rocprim17ROCPRIM_400000_NS6detail17trampoline_kernelINS0_14default_configENS1_25partition_config_selectorILNS1_17partition_subalgoE6EiNS0_10empty_typeEbEEZZNS1_14partition_implILS5_6ELb0ES3_mN6thrust23THRUST_200600_302600_NS6detail15normal_iteratorINSA_10device_ptrIiEEEEPS6_SG_NS0_5tupleIJSF_S6_EEENSH_IJSG_SG_EEES6_PlJNSB_9not_fun_tINSB_10functional5actorINSM_9compositeIJNSM_27transparent_binary_operatorINSA_8equal_toIvEEEENSN_INSM_8argumentILj0EEEEENSM_5valueIiEEEEEEEEEEEE10hipError_tPvRmT3_T4_T5_T6_T7_T9_mT8_P12ihipStream_tbDpT10_ENKUlT_T0_E_clISt17integral_constantIbLb1EES1J_IbLb0EEEEDaS1F_S1G_EUlS1F_E_NS1_11comp_targetILNS1_3genE9ELNS1_11target_archE1100ELNS1_3gpuE3ELNS1_3repE0EEENS1_30default_config_static_selectorELNS0_4arch9wavefront6targetE0EEEvT1_,comdat
	.protected	_ZN7rocprim17ROCPRIM_400000_NS6detail17trampoline_kernelINS0_14default_configENS1_25partition_config_selectorILNS1_17partition_subalgoE6EiNS0_10empty_typeEbEEZZNS1_14partition_implILS5_6ELb0ES3_mN6thrust23THRUST_200600_302600_NS6detail15normal_iteratorINSA_10device_ptrIiEEEEPS6_SG_NS0_5tupleIJSF_S6_EEENSH_IJSG_SG_EEES6_PlJNSB_9not_fun_tINSB_10functional5actorINSM_9compositeIJNSM_27transparent_binary_operatorINSA_8equal_toIvEEEENSN_INSM_8argumentILj0EEEEENSM_5valueIiEEEEEEEEEEEE10hipError_tPvRmT3_T4_T5_T6_T7_T9_mT8_P12ihipStream_tbDpT10_ENKUlT_T0_E_clISt17integral_constantIbLb1EES1J_IbLb0EEEEDaS1F_S1G_EUlS1F_E_NS1_11comp_targetILNS1_3genE9ELNS1_11target_archE1100ELNS1_3gpuE3ELNS1_3repE0EEENS1_30default_config_static_selectorELNS0_4arch9wavefront6targetE0EEEvT1_ ; -- Begin function _ZN7rocprim17ROCPRIM_400000_NS6detail17trampoline_kernelINS0_14default_configENS1_25partition_config_selectorILNS1_17partition_subalgoE6EiNS0_10empty_typeEbEEZZNS1_14partition_implILS5_6ELb0ES3_mN6thrust23THRUST_200600_302600_NS6detail15normal_iteratorINSA_10device_ptrIiEEEEPS6_SG_NS0_5tupleIJSF_S6_EEENSH_IJSG_SG_EEES6_PlJNSB_9not_fun_tINSB_10functional5actorINSM_9compositeIJNSM_27transparent_binary_operatorINSA_8equal_toIvEEEENSN_INSM_8argumentILj0EEEEENSM_5valueIiEEEEEEEEEEEE10hipError_tPvRmT3_T4_T5_T6_T7_T9_mT8_P12ihipStream_tbDpT10_ENKUlT_T0_E_clISt17integral_constantIbLb1EES1J_IbLb0EEEEDaS1F_S1G_EUlS1F_E_NS1_11comp_targetILNS1_3genE9ELNS1_11target_archE1100ELNS1_3gpuE3ELNS1_3repE0EEENS1_30default_config_static_selectorELNS0_4arch9wavefront6targetE0EEEvT1_
	.globl	_ZN7rocprim17ROCPRIM_400000_NS6detail17trampoline_kernelINS0_14default_configENS1_25partition_config_selectorILNS1_17partition_subalgoE6EiNS0_10empty_typeEbEEZZNS1_14partition_implILS5_6ELb0ES3_mN6thrust23THRUST_200600_302600_NS6detail15normal_iteratorINSA_10device_ptrIiEEEEPS6_SG_NS0_5tupleIJSF_S6_EEENSH_IJSG_SG_EEES6_PlJNSB_9not_fun_tINSB_10functional5actorINSM_9compositeIJNSM_27transparent_binary_operatorINSA_8equal_toIvEEEENSN_INSM_8argumentILj0EEEEENSM_5valueIiEEEEEEEEEEEE10hipError_tPvRmT3_T4_T5_T6_T7_T9_mT8_P12ihipStream_tbDpT10_ENKUlT_T0_E_clISt17integral_constantIbLb1EES1J_IbLb0EEEEDaS1F_S1G_EUlS1F_E_NS1_11comp_targetILNS1_3genE9ELNS1_11target_archE1100ELNS1_3gpuE3ELNS1_3repE0EEENS1_30default_config_static_selectorELNS0_4arch9wavefront6targetE0EEEvT1_
	.p2align	8
	.type	_ZN7rocprim17ROCPRIM_400000_NS6detail17trampoline_kernelINS0_14default_configENS1_25partition_config_selectorILNS1_17partition_subalgoE6EiNS0_10empty_typeEbEEZZNS1_14partition_implILS5_6ELb0ES3_mN6thrust23THRUST_200600_302600_NS6detail15normal_iteratorINSA_10device_ptrIiEEEEPS6_SG_NS0_5tupleIJSF_S6_EEENSH_IJSG_SG_EEES6_PlJNSB_9not_fun_tINSB_10functional5actorINSM_9compositeIJNSM_27transparent_binary_operatorINSA_8equal_toIvEEEENSN_INSM_8argumentILj0EEEEENSM_5valueIiEEEEEEEEEEEE10hipError_tPvRmT3_T4_T5_T6_T7_T9_mT8_P12ihipStream_tbDpT10_ENKUlT_T0_E_clISt17integral_constantIbLb1EES1J_IbLb0EEEEDaS1F_S1G_EUlS1F_E_NS1_11comp_targetILNS1_3genE9ELNS1_11target_archE1100ELNS1_3gpuE3ELNS1_3repE0EEENS1_30default_config_static_selectorELNS0_4arch9wavefront6targetE0EEEvT1_,@function
_ZN7rocprim17ROCPRIM_400000_NS6detail17trampoline_kernelINS0_14default_configENS1_25partition_config_selectorILNS1_17partition_subalgoE6EiNS0_10empty_typeEbEEZZNS1_14partition_implILS5_6ELb0ES3_mN6thrust23THRUST_200600_302600_NS6detail15normal_iteratorINSA_10device_ptrIiEEEEPS6_SG_NS0_5tupleIJSF_S6_EEENSH_IJSG_SG_EEES6_PlJNSB_9not_fun_tINSB_10functional5actorINSM_9compositeIJNSM_27transparent_binary_operatorINSA_8equal_toIvEEEENSN_INSM_8argumentILj0EEEEENSM_5valueIiEEEEEEEEEEEE10hipError_tPvRmT3_T4_T5_T6_T7_T9_mT8_P12ihipStream_tbDpT10_ENKUlT_T0_E_clISt17integral_constantIbLb1EES1J_IbLb0EEEEDaS1F_S1G_EUlS1F_E_NS1_11comp_targetILNS1_3genE9ELNS1_11target_archE1100ELNS1_3gpuE3ELNS1_3repE0EEENS1_30default_config_static_selectorELNS0_4arch9wavefront6targetE0EEEvT1_: ; @_ZN7rocprim17ROCPRIM_400000_NS6detail17trampoline_kernelINS0_14default_configENS1_25partition_config_selectorILNS1_17partition_subalgoE6EiNS0_10empty_typeEbEEZZNS1_14partition_implILS5_6ELb0ES3_mN6thrust23THRUST_200600_302600_NS6detail15normal_iteratorINSA_10device_ptrIiEEEEPS6_SG_NS0_5tupleIJSF_S6_EEENSH_IJSG_SG_EEES6_PlJNSB_9not_fun_tINSB_10functional5actorINSM_9compositeIJNSM_27transparent_binary_operatorINSA_8equal_toIvEEEENSN_INSM_8argumentILj0EEEEENSM_5valueIiEEEEEEEEEEEE10hipError_tPvRmT3_T4_T5_T6_T7_T9_mT8_P12ihipStream_tbDpT10_ENKUlT_T0_E_clISt17integral_constantIbLb1EES1J_IbLb0EEEEDaS1F_S1G_EUlS1F_E_NS1_11comp_targetILNS1_3genE9ELNS1_11target_archE1100ELNS1_3gpuE3ELNS1_3repE0EEENS1_30default_config_static_selectorELNS0_4arch9wavefront6targetE0EEEvT1_
; %bb.0:
	.section	.rodata,"a",@progbits
	.p2align	6, 0x0
	.amdhsa_kernel _ZN7rocprim17ROCPRIM_400000_NS6detail17trampoline_kernelINS0_14default_configENS1_25partition_config_selectorILNS1_17partition_subalgoE6EiNS0_10empty_typeEbEEZZNS1_14partition_implILS5_6ELb0ES3_mN6thrust23THRUST_200600_302600_NS6detail15normal_iteratorINSA_10device_ptrIiEEEEPS6_SG_NS0_5tupleIJSF_S6_EEENSH_IJSG_SG_EEES6_PlJNSB_9not_fun_tINSB_10functional5actorINSM_9compositeIJNSM_27transparent_binary_operatorINSA_8equal_toIvEEEENSN_INSM_8argumentILj0EEEEENSM_5valueIiEEEEEEEEEEEE10hipError_tPvRmT3_T4_T5_T6_T7_T9_mT8_P12ihipStream_tbDpT10_ENKUlT_T0_E_clISt17integral_constantIbLb1EES1J_IbLb0EEEEDaS1F_S1G_EUlS1F_E_NS1_11comp_targetILNS1_3genE9ELNS1_11target_archE1100ELNS1_3gpuE3ELNS1_3repE0EEENS1_30default_config_static_selectorELNS0_4arch9wavefront6targetE0EEEvT1_
		.amdhsa_group_segment_fixed_size 0
		.amdhsa_private_segment_fixed_size 0
		.amdhsa_kernarg_size 120
		.amdhsa_user_sgpr_count 2
		.amdhsa_user_sgpr_dispatch_ptr 0
		.amdhsa_user_sgpr_queue_ptr 0
		.amdhsa_user_sgpr_kernarg_segment_ptr 1
		.amdhsa_user_sgpr_dispatch_id 0
		.amdhsa_user_sgpr_private_segment_size 0
		.amdhsa_wavefront_size32 1
		.amdhsa_uses_dynamic_stack 0
		.amdhsa_enable_private_segment 0
		.amdhsa_system_sgpr_workgroup_id_x 1
		.amdhsa_system_sgpr_workgroup_id_y 0
		.amdhsa_system_sgpr_workgroup_id_z 0
		.amdhsa_system_sgpr_workgroup_info 0
		.amdhsa_system_vgpr_workitem_id 0
		.amdhsa_next_free_vgpr 1
		.amdhsa_next_free_sgpr 1
		.amdhsa_reserve_vcc 0
		.amdhsa_float_round_mode_32 0
		.amdhsa_float_round_mode_16_64 0
		.amdhsa_float_denorm_mode_32 3
		.amdhsa_float_denorm_mode_16_64 3
		.amdhsa_fp16_overflow 0
		.amdhsa_workgroup_processor_mode 1
		.amdhsa_memory_ordered 1
		.amdhsa_forward_progress 1
		.amdhsa_inst_pref_size 0
		.amdhsa_round_robin_scheduling 0
		.amdhsa_exception_fp_ieee_invalid_op 0
		.amdhsa_exception_fp_denorm_src 0
		.amdhsa_exception_fp_ieee_div_zero 0
		.amdhsa_exception_fp_ieee_overflow 0
		.amdhsa_exception_fp_ieee_underflow 0
		.amdhsa_exception_fp_ieee_inexact 0
		.amdhsa_exception_int_div_zero 0
	.end_amdhsa_kernel
	.section	.text._ZN7rocprim17ROCPRIM_400000_NS6detail17trampoline_kernelINS0_14default_configENS1_25partition_config_selectorILNS1_17partition_subalgoE6EiNS0_10empty_typeEbEEZZNS1_14partition_implILS5_6ELb0ES3_mN6thrust23THRUST_200600_302600_NS6detail15normal_iteratorINSA_10device_ptrIiEEEEPS6_SG_NS0_5tupleIJSF_S6_EEENSH_IJSG_SG_EEES6_PlJNSB_9not_fun_tINSB_10functional5actorINSM_9compositeIJNSM_27transparent_binary_operatorINSA_8equal_toIvEEEENSN_INSM_8argumentILj0EEEEENSM_5valueIiEEEEEEEEEEEE10hipError_tPvRmT3_T4_T5_T6_T7_T9_mT8_P12ihipStream_tbDpT10_ENKUlT_T0_E_clISt17integral_constantIbLb1EES1J_IbLb0EEEEDaS1F_S1G_EUlS1F_E_NS1_11comp_targetILNS1_3genE9ELNS1_11target_archE1100ELNS1_3gpuE3ELNS1_3repE0EEENS1_30default_config_static_selectorELNS0_4arch9wavefront6targetE0EEEvT1_,"axG",@progbits,_ZN7rocprim17ROCPRIM_400000_NS6detail17trampoline_kernelINS0_14default_configENS1_25partition_config_selectorILNS1_17partition_subalgoE6EiNS0_10empty_typeEbEEZZNS1_14partition_implILS5_6ELb0ES3_mN6thrust23THRUST_200600_302600_NS6detail15normal_iteratorINSA_10device_ptrIiEEEEPS6_SG_NS0_5tupleIJSF_S6_EEENSH_IJSG_SG_EEES6_PlJNSB_9not_fun_tINSB_10functional5actorINSM_9compositeIJNSM_27transparent_binary_operatorINSA_8equal_toIvEEEENSN_INSM_8argumentILj0EEEEENSM_5valueIiEEEEEEEEEEEE10hipError_tPvRmT3_T4_T5_T6_T7_T9_mT8_P12ihipStream_tbDpT10_ENKUlT_T0_E_clISt17integral_constantIbLb1EES1J_IbLb0EEEEDaS1F_S1G_EUlS1F_E_NS1_11comp_targetILNS1_3genE9ELNS1_11target_archE1100ELNS1_3gpuE3ELNS1_3repE0EEENS1_30default_config_static_selectorELNS0_4arch9wavefront6targetE0EEEvT1_,comdat
.Lfunc_end233:
	.size	_ZN7rocprim17ROCPRIM_400000_NS6detail17trampoline_kernelINS0_14default_configENS1_25partition_config_selectorILNS1_17partition_subalgoE6EiNS0_10empty_typeEbEEZZNS1_14partition_implILS5_6ELb0ES3_mN6thrust23THRUST_200600_302600_NS6detail15normal_iteratorINSA_10device_ptrIiEEEEPS6_SG_NS0_5tupleIJSF_S6_EEENSH_IJSG_SG_EEES6_PlJNSB_9not_fun_tINSB_10functional5actorINSM_9compositeIJNSM_27transparent_binary_operatorINSA_8equal_toIvEEEENSN_INSM_8argumentILj0EEEEENSM_5valueIiEEEEEEEEEEEE10hipError_tPvRmT3_T4_T5_T6_T7_T9_mT8_P12ihipStream_tbDpT10_ENKUlT_T0_E_clISt17integral_constantIbLb1EES1J_IbLb0EEEEDaS1F_S1G_EUlS1F_E_NS1_11comp_targetILNS1_3genE9ELNS1_11target_archE1100ELNS1_3gpuE3ELNS1_3repE0EEENS1_30default_config_static_selectorELNS0_4arch9wavefront6targetE0EEEvT1_, .Lfunc_end233-_ZN7rocprim17ROCPRIM_400000_NS6detail17trampoline_kernelINS0_14default_configENS1_25partition_config_selectorILNS1_17partition_subalgoE6EiNS0_10empty_typeEbEEZZNS1_14partition_implILS5_6ELb0ES3_mN6thrust23THRUST_200600_302600_NS6detail15normal_iteratorINSA_10device_ptrIiEEEEPS6_SG_NS0_5tupleIJSF_S6_EEENSH_IJSG_SG_EEES6_PlJNSB_9not_fun_tINSB_10functional5actorINSM_9compositeIJNSM_27transparent_binary_operatorINSA_8equal_toIvEEEENSN_INSM_8argumentILj0EEEEENSM_5valueIiEEEEEEEEEEEE10hipError_tPvRmT3_T4_T5_T6_T7_T9_mT8_P12ihipStream_tbDpT10_ENKUlT_T0_E_clISt17integral_constantIbLb1EES1J_IbLb0EEEEDaS1F_S1G_EUlS1F_E_NS1_11comp_targetILNS1_3genE9ELNS1_11target_archE1100ELNS1_3gpuE3ELNS1_3repE0EEENS1_30default_config_static_selectorELNS0_4arch9wavefront6targetE0EEEvT1_
                                        ; -- End function
	.set _ZN7rocprim17ROCPRIM_400000_NS6detail17trampoline_kernelINS0_14default_configENS1_25partition_config_selectorILNS1_17partition_subalgoE6EiNS0_10empty_typeEbEEZZNS1_14partition_implILS5_6ELb0ES3_mN6thrust23THRUST_200600_302600_NS6detail15normal_iteratorINSA_10device_ptrIiEEEEPS6_SG_NS0_5tupleIJSF_S6_EEENSH_IJSG_SG_EEES6_PlJNSB_9not_fun_tINSB_10functional5actorINSM_9compositeIJNSM_27transparent_binary_operatorINSA_8equal_toIvEEEENSN_INSM_8argumentILj0EEEEENSM_5valueIiEEEEEEEEEEEE10hipError_tPvRmT3_T4_T5_T6_T7_T9_mT8_P12ihipStream_tbDpT10_ENKUlT_T0_E_clISt17integral_constantIbLb1EES1J_IbLb0EEEEDaS1F_S1G_EUlS1F_E_NS1_11comp_targetILNS1_3genE9ELNS1_11target_archE1100ELNS1_3gpuE3ELNS1_3repE0EEENS1_30default_config_static_selectorELNS0_4arch9wavefront6targetE0EEEvT1_.num_vgpr, 0
	.set _ZN7rocprim17ROCPRIM_400000_NS6detail17trampoline_kernelINS0_14default_configENS1_25partition_config_selectorILNS1_17partition_subalgoE6EiNS0_10empty_typeEbEEZZNS1_14partition_implILS5_6ELb0ES3_mN6thrust23THRUST_200600_302600_NS6detail15normal_iteratorINSA_10device_ptrIiEEEEPS6_SG_NS0_5tupleIJSF_S6_EEENSH_IJSG_SG_EEES6_PlJNSB_9not_fun_tINSB_10functional5actorINSM_9compositeIJNSM_27transparent_binary_operatorINSA_8equal_toIvEEEENSN_INSM_8argumentILj0EEEEENSM_5valueIiEEEEEEEEEEEE10hipError_tPvRmT3_T4_T5_T6_T7_T9_mT8_P12ihipStream_tbDpT10_ENKUlT_T0_E_clISt17integral_constantIbLb1EES1J_IbLb0EEEEDaS1F_S1G_EUlS1F_E_NS1_11comp_targetILNS1_3genE9ELNS1_11target_archE1100ELNS1_3gpuE3ELNS1_3repE0EEENS1_30default_config_static_selectorELNS0_4arch9wavefront6targetE0EEEvT1_.num_agpr, 0
	.set _ZN7rocprim17ROCPRIM_400000_NS6detail17trampoline_kernelINS0_14default_configENS1_25partition_config_selectorILNS1_17partition_subalgoE6EiNS0_10empty_typeEbEEZZNS1_14partition_implILS5_6ELb0ES3_mN6thrust23THRUST_200600_302600_NS6detail15normal_iteratorINSA_10device_ptrIiEEEEPS6_SG_NS0_5tupleIJSF_S6_EEENSH_IJSG_SG_EEES6_PlJNSB_9not_fun_tINSB_10functional5actorINSM_9compositeIJNSM_27transparent_binary_operatorINSA_8equal_toIvEEEENSN_INSM_8argumentILj0EEEEENSM_5valueIiEEEEEEEEEEEE10hipError_tPvRmT3_T4_T5_T6_T7_T9_mT8_P12ihipStream_tbDpT10_ENKUlT_T0_E_clISt17integral_constantIbLb1EES1J_IbLb0EEEEDaS1F_S1G_EUlS1F_E_NS1_11comp_targetILNS1_3genE9ELNS1_11target_archE1100ELNS1_3gpuE3ELNS1_3repE0EEENS1_30default_config_static_selectorELNS0_4arch9wavefront6targetE0EEEvT1_.numbered_sgpr, 0
	.set _ZN7rocprim17ROCPRIM_400000_NS6detail17trampoline_kernelINS0_14default_configENS1_25partition_config_selectorILNS1_17partition_subalgoE6EiNS0_10empty_typeEbEEZZNS1_14partition_implILS5_6ELb0ES3_mN6thrust23THRUST_200600_302600_NS6detail15normal_iteratorINSA_10device_ptrIiEEEEPS6_SG_NS0_5tupleIJSF_S6_EEENSH_IJSG_SG_EEES6_PlJNSB_9not_fun_tINSB_10functional5actorINSM_9compositeIJNSM_27transparent_binary_operatorINSA_8equal_toIvEEEENSN_INSM_8argumentILj0EEEEENSM_5valueIiEEEEEEEEEEEE10hipError_tPvRmT3_T4_T5_T6_T7_T9_mT8_P12ihipStream_tbDpT10_ENKUlT_T0_E_clISt17integral_constantIbLb1EES1J_IbLb0EEEEDaS1F_S1G_EUlS1F_E_NS1_11comp_targetILNS1_3genE9ELNS1_11target_archE1100ELNS1_3gpuE3ELNS1_3repE0EEENS1_30default_config_static_selectorELNS0_4arch9wavefront6targetE0EEEvT1_.num_named_barrier, 0
	.set _ZN7rocprim17ROCPRIM_400000_NS6detail17trampoline_kernelINS0_14default_configENS1_25partition_config_selectorILNS1_17partition_subalgoE6EiNS0_10empty_typeEbEEZZNS1_14partition_implILS5_6ELb0ES3_mN6thrust23THRUST_200600_302600_NS6detail15normal_iteratorINSA_10device_ptrIiEEEEPS6_SG_NS0_5tupleIJSF_S6_EEENSH_IJSG_SG_EEES6_PlJNSB_9not_fun_tINSB_10functional5actorINSM_9compositeIJNSM_27transparent_binary_operatorINSA_8equal_toIvEEEENSN_INSM_8argumentILj0EEEEENSM_5valueIiEEEEEEEEEEEE10hipError_tPvRmT3_T4_T5_T6_T7_T9_mT8_P12ihipStream_tbDpT10_ENKUlT_T0_E_clISt17integral_constantIbLb1EES1J_IbLb0EEEEDaS1F_S1G_EUlS1F_E_NS1_11comp_targetILNS1_3genE9ELNS1_11target_archE1100ELNS1_3gpuE3ELNS1_3repE0EEENS1_30default_config_static_selectorELNS0_4arch9wavefront6targetE0EEEvT1_.private_seg_size, 0
	.set _ZN7rocprim17ROCPRIM_400000_NS6detail17trampoline_kernelINS0_14default_configENS1_25partition_config_selectorILNS1_17partition_subalgoE6EiNS0_10empty_typeEbEEZZNS1_14partition_implILS5_6ELb0ES3_mN6thrust23THRUST_200600_302600_NS6detail15normal_iteratorINSA_10device_ptrIiEEEEPS6_SG_NS0_5tupleIJSF_S6_EEENSH_IJSG_SG_EEES6_PlJNSB_9not_fun_tINSB_10functional5actorINSM_9compositeIJNSM_27transparent_binary_operatorINSA_8equal_toIvEEEENSN_INSM_8argumentILj0EEEEENSM_5valueIiEEEEEEEEEEEE10hipError_tPvRmT3_T4_T5_T6_T7_T9_mT8_P12ihipStream_tbDpT10_ENKUlT_T0_E_clISt17integral_constantIbLb1EES1J_IbLb0EEEEDaS1F_S1G_EUlS1F_E_NS1_11comp_targetILNS1_3genE9ELNS1_11target_archE1100ELNS1_3gpuE3ELNS1_3repE0EEENS1_30default_config_static_selectorELNS0_4arch9wavefront6targetE0EEEvT1_.uses_vcc, 0
	.set _ZN7rocprim17ROCPRIM_400000_NS6detail17trampoline_kernelINS0_14default_configENS1_25partition_config_selectorILNS1_17partition_subalgoE6EiNS0_10empty_typeEbEEZZNS1_14partition_implILS5_6ELb0ES3_mN6thrust23THRUST_200600_302600_NS6detail15normal_iteratorINSA_10device_ptrIiEEEEPS6_SG_NS0_5tupleIJSF_S6_EEENSH_IJSG_SG_EEES6_PlJNSB_9not_fun_tINSB_10functional5actorINSM_9compositeIJNSM_27transparent_binary_operatorINSA_8equal_toIvEEEENSN_INSM_8argumentILj0EEEEENSM_5valueIiEEEEEEEEEEEE10hipError_tPvRmT3_T4_T5_T6_T7_T9_mT8_P12ihipStream_tbDpT10_ENKUlT_T0_E_clISt17integral_constantIbLb1EES1J_IbLb0EEEEDaS1F_S1G_EUlS1F_E_NS1_11comp_targetILNS1_3genE9ELNS1_11target_archE1100ELNS1_3gpuE3ELNS1_3repE0EEENS1_30default_config_static_selectorELNS0_4arch9wavefront6targetE0EEEvT1_.uses_flat_scratch, 0
	.set _ZN7rocprim17ROCPRIM_400000_NS6detail17trampoline_kernelINS0_14default_configENS1_25partition_config_selectorILNS1_17partition_subalgoE6EiNS0_10empty_typeEbEEZZNS1_14partition_implILS5_6ELb0ES3_mN6thrust23THRUST_200600_302600_NS6detail15normal_iteratorINSA_10device_ptrIiEEEEPS6_SG_NS0_5tupleIJSF_S6_EEENSH_IJSG_SG_EEES6_PlJNSB_9not_fun_tINSB_10functional5actorINSM_9compositeIJNSM_27transparent_binary_operatorINSA_8equal_toIvEEEENSN_INSM_8argumentILj0EEEEENSM_5valueIiEEEEEEEEEEEE10hipError_tPvRmT3_T4_T5_T6_T7_T9_mT8_P12ihipStream_tbDpT10_ENKUlT_T0_E_clISt17integral_constantIbLb1EES1J_IbLb0EEEEDaS1F_S1G_EUlS1F_E_NS1_11comp_targetILNS1_3genE9ELNS1_11target_archE1100ELNS1_3gpuE3ELNS1_3repE0EEENS1_30default_config_static_selectorELNS0_4arch9wavefront6targetE0EEEvT1_.has_dyn_sized_stack, 0
	.set _ZN7rocprim17ROCPRIM_400000_NS6detail17trampoline_kernelINS0_14default_configENS1_25partition_config_selectorILNS1_17partition_subalgoE6EiNS0_10empty_typeEbEEZZNS1_14partition_implILS5_6ELb0ES3_mN6thrust23THRUST_200600_302600_NS6detail15normal_iteratorINSA_10device_ptrIiEEEEPS6_SG_NS0_5tupleIJSF_S6_EEENSH_IJSG_SG_EEES6_PlJNSB_9not_fun_tINSB_10functional5actorINSM_9compositeIJNSM_27transparent_binary_operatorINSA_8equal_toIvEEEENSN_INSM_8argumentILj0EEEEENSM_5valueIiEEEEEEEEEEEE10hipError_tPvRmT3_T4_T5_T6_T7_T9_mT8_P12ihipStream_tbDpT10_ENKUlT_T0_E_clISt17integral_constantIbLb1EES1J_IbLb0EEEEDaS1F_S1G_EUlS1F_E_NS1_11comp_targetILNS1_3genE9ELNS1_11target_archE1100ELNS1_3gpuE3ELNS1_3repE0EEENS1_30default_config_static_selectorELNS0_4arch9wavefront6targetE0EEEvT1_.has_recursion, 0
	.set _ZN7rocprim17ROCPRIM_400000_NS6detail17trampoline_kernelINS0_14default_configENS1_25partition_config_selectorILNS1_17partition_subalgoE6EiNS0_10empty_typeEbEEZZNS1_14partition_implILS5_6ELb0ES3_mN6thrust23THRUST_200600_302600_NS6detail15normal_iteratorINSA_10device_ptrIiEEEEPS6_SG_NS0_5tupleIJSF_S6_EEENSH_IJSG_SG_EEES6_PlJNSB_9not_fun_tINSB_10functional5actorINSM_9compositeIJNSM_27transparent_binary_operatorINSA_8equal_toIvEEEENSN_INSM_8argumentILj0EEEEENSM_5valueIiEEEEEEEEEEEE10hipError_tPvRmT3_T4_T5_T6_T7_T9_mT8_P12ihipStream_tbDpT10_ENKUlT_T0_E_clISt17integral_constantIbLb1EES1J_IbLb0EEEEDaS1F_S1G_EUlS1F_E_NS1_11comp_targetILNS1_3genE9ELNS1_11target_archE1100ELNS1_3gpuE3ELNS1_3repE0EEENS1_30default_config_static_selectorELNS0_4arch9wavefront6targetE0EEEvT1_.has_indirect_call, 0
	.section	.AMDGPU.csdata,"",@progbits
; Kernel info:
; codeLenInByte = 0
; TotalNumSgprs: 0
; NumVgprs: 0
; ScratchSize: 0
; MemoryBound: 0
; FloatMode: 240
; IeeeMode: 1
; LDSByteSize: 0 bytes/workgroup (compile time only)
; SGPRBlocks: 0
; VGPRBlocks: 0
; NumSGPRsForWavesPerEU: 1
; NumVGPRsForWavesPerEU: 1
; Occupancy: 16
; WaveLimiterHint : 0
; COMPUTE_PGM_RSRC2:SCRATCH_EN: 0
; COMPUTE_PGM_RSRC2:USER_SGPR: 2
; COMPUTE_PGM_RSRC2:TRAP_HANDLER: 0
; COMPUTE_PGM_RSRC2:TGID_X_EN: 1
; COMPUTE_PGM_RSRC2:TGID_Y_EN: 0
; COMPUTE_PGM_RSRC2:TGID_Z_EN: 0
; COMPUTE_PGM_RSRC2:TIDIG_COMP_CNT: 0
	.section	.text._ZN7rocprim17ROCPRIM_400000_NS6detail17trampoline_kernelINS0_14default_configENS1_25partition_config_selectorILNS1_17partition_subalgoE6EiNS0_10empty_typeEbEEZZNS1_14partition_implILS5_6ELb0ES3_mN6thrust23THRUST_200600_302600_NS6detail15normal_iteratorINSA_10device_ptrIiEEEEPS6_SG_NS0_5tupleIJSF_S6_EEENSH_IJSG_SG_EEES6_PlJNSB_9not_fun_tINSB_10functional5actorINSM_9compositeIJNSM_27transparent_binary_operatorINSA_8equal_toIvEEEENSN_INSM_8argumentILj0EEEEENSM_5valueIiEEEEEEEEEEEE10hipError_tPvRmT3_T4_T5_T6_T7_T9_mT8_P12ihipStream_tbDpT10_ENKUlT_T0_E_clISt17integral_constantIbLb1EES1J_IbLb0EEEEDaS1F_S1G_EUlS1F_E_NS1_11comp_targetILNS1_3genE8ELNS1_11target_archE1030ELNS1_3gpuE2ELNS1_3repE0EEENS1_30default_config_static_selectorELNS0_4arch9wavefront6targetE0EEEvT1_,"axG",@progbits,_ZN7rocprim17ROCPRIM_400000_NS6detail17trampoline_kernelINS0_14default_configENS1_25partition_config_selectorILNS1_17partition_subalgoE6EiNS0_10empty_typeEbEEZZNS1_14partition_implILS5_6ELb0ES3_mN6thrust23THRUST_200600_302600_NS6detail15normal_iteratorINSA_10device_ptrIiEEEEPS6_SG_NS0_5tupleIJSF_S6_EEENSH_IJSG_SG_EEES6_PlJNSB_9not_fun_tINSB_10functional5actorINSM_9compositeIJNSM_27transparent_binary_operatorINSA_8equal_toIvEEEENSN_INSM_8argumentILj0EEEEENSM_5valueIiEEEEEEEEEEEE10hipError_tPvRmT3_T4_T5_T6_T7_T9_mT8_P12ihipStream_tbDpT10_ENKUlT_T0_E_clISt17integral_constantIbLb1EES1J_IbLb0EEEEDaS1F_S1G_EUlS1F_E_NS1_11comp_targetILNS1_3genE8ELNS1_11target_archE1030ELNS1_3gpuE2ELNS1_3repE0EEENS1_30default_config_static_selectorELNS0_4arch9wavefront6targetE0EEEvT1_,comdat
	.protected	_ZN7rocprim17ROCPRIM_400000_NS6detail17trampoline_kernelINS0_14default_configENS1_25partition_config_selectorILNS1_17partition_subalgoE6EiNS0_10empty_typeEbEEZZNS1_14partition_implILS5_6ELb0ES3_mN6thrust23THRUST_200600_302600_NS6detail15normal_iteratorINSA_10device_ptrIiEEEEPS6_SG_NS0_5tupleIJSF_S6_EEENSH_IJSG_SG_EEES6_PlJNSB_9not_fun_tINSB_10functional5actorINSM_9compositeIJNSM_27transparent_binary_operatorINSA_8equal_toIvEEEENSN_INSM_8argumentILj0EEEEENSM_5valueIiEEEEEEEEEEEE10hipError_tPvRmT3_T4_T5_T6_T7_T9_mT8_P12ihipStream_tbDpT10_ENKUlT_T0_E_clISt17integral_constantIbLb1EES1J_IbLb0EEEEDaS1F_S1G_EUlS1F_E_NS1_11comp_targetILNS1_3genE8ELNS1_11target_archE1030ELNS1_3gpuE2ELNS1_3repE0EEENS1_30default_config_static_selectorELNS0_4arch9wavefront6targetE0EEEvT1_ ; -- Begin function _ZN7rocprim17ROCPRIM_400000_NS6detail17trampoline_kernelINS0_14default_configENS1_25partition_config_selectorILNS1_17partition_subalgoE6EiNS0_10empty_typeEbEEZZNS1_14partition_implILS5_6ELb0ES3_mN6thrust23THRUST_200600_302600_NS6detail15normal_iteratorINSA_10device_ptrIiEEEEPS6_SG_NS0_5tupleIJSF_S6_EEENSH_IJSG_SG_EEES6_PlJNSB_9not_fun_tINSB_10functional5actorINSM_9compositeIJNSM_27transparent_binary_operatorINSA_8equal_toIvEEEENSN_INSM_8argumentILj0EEEEENSM_5valueIiEEEEEEEEEEEE10hipError_tPvRmT3_T4_T5_T6_T7_T9_mT8_P12ihipStream_tbDpT10_ENKUlT_T0_E_clISt17integral_constantIbLb1EES1J_IbLb0EEEEDaS1F_S1G_EUlS1F_E_NS1_11comp_targetILNS1_3genE8ELNS1_11target_archE1030ELNS1_3gpuE2ELNS1_3repE0EEENS1_30default_config_static_selectorELNS0_4arch9wavefront6targetE0EEEvT1_
	.globl	_ZN7rocprim17ROCPRIM_400000_NS6detail17trampoline_kernelINS0_14default_configENS1_25partition_config_selectorILNS1_17partition_subalgoE6EiNS0_10empty_typeEbEEZZNS1_14partition_implILS5_6ELb0ES3_mN6thrust23THRUST_200600_302600_NS6detail15normal_iteratorINSA_10device_ptrIiEEEEPS6_SG_NS0_5tupleIJSF_S6_EEENSH_IJSG_SG_EEES6_PlJNSB_9not_fun_tINSB_10functional5actorINSM_9compositeIJNSM_27transparent_binary_operatorINSA_8equal_toIvEEEENSN_INSM_8argumentILj0EEEEENSM_5valueIiEEEEEEEEEEEE10hipError_tPvRmT3_T4_T5_T6_T7_T9_mT8_P12ihipStream_tbDpT10_ENKUlT_T0_E_clISt17integral_constantIbLb1EES1J_IbLb0EEEEDaS1F_S1G_EUlS1F_E_NS1_11comp_targetILNS1_3genE8ELNS1_11target_archE1030ELNS1_3gpuE2ELNS1_3repE0EEENS1_30default_config_static_selectorELNS0_4arch9wavefront6targetE0EEEvT1_
	.p2align	8
	.type	_ZN7rocprim17ROCPRIM_400000_NS6detail17trampoline_kernelINS0_14default_configENS1_25partition_config_selectorILNS1_17partition_subalgoE6EiNS0_10empty_typeEbEEZZNS1_14partition_implILS5_6ELb0ES3_mN6thrust23THRUST_200600_302600_NS6detail15normal_iteratorINSA_10device_ptrIiEEEEPS6_SG_NS0_5tupleIJSF_S6_EEENSH_IJSG_SG_EEES6_PlJNSB_9not_fun_tINSB_10functional5actorINSM_9compositeIJNSM_27transparent_binary_operatorINSA_8equal_toIvEEEENSN_INSM_8argumentILj0EEEEENSM_5valueIiEEEEEEEEEEEE10hipError_tPvRmT3_T4_T5_T6_T7_T9_mT8_P12ihipStream_tbDpT10_ENKUlT_T0_E_clISt17integral_constantIbLb1EES1J_IbLb0EEEEDaS1F_S1G_EUlS1F_E_NS1_11comp_targetILNS1_3genE8ELNS1_11target_archE1030ELNS1_3gpuE2ELNS1_3repE0EEENS1_30default_config_static_selectorELNS0_4arch9wavefront6targetE0EEEvT1_,@function
_ZN7rocprim17ROCPRIM_400000_NS6detail17trampoline_kernelINS0_14default_configENS1_25partition_config_selectorILNS1_17partition_subalgoE6EiNS0_10empty_typeEbEEZZNS1_14partition_implILS5_6ELb0ES3_mN6thrust23THRUST_200600_302600_NS6detail15normal_iteratorINSA_10device_ptrIiEEEEPS6_SG_NS0_5tupleIJSF_S6_EEENSH_IJSG_SG_EEES6_PlJNSB_9not_fun_tINSB_10functional5actorINSM_9compositeIJNSM_27transparent_binary_operatorINSA_8equal_toIvEEEENSN_INSM_8argumentILj0EEEEENSM_5valueIiEEEEEEEEEEEE10hipError_tPvRmT3_T4_T5_T6_T7_T9_mT8_P12ihipStream_tbDpT10_ENKUlT_T0_E_clISt17integral_constantIbLb1EES1J_IbLb0EEEEDaS1F_S1G_EUlS1F_E_NS1_11comp_targetILNS1_3genE8ELNS1_11target_archE1030ELNS1_3gpuE2ELNS1_3repE0EEENS1_30default_config_static_selectorELNS0_4arch9wavefront6targetE0EEEvT1_: ; @_ZN7rocprim17ROCPRIM_400000_NS6detail17trampoline_kernelINS0_14default_configENS1_25partition_config_selectorILNS1_17partition_subalgoE6EiNS0_10empty_typeEbEEZZNS1_14partition_implILS5_6ELb0ES3_mN6thrust23THRUST_200600_302600_NS6detail15normal_iteratorINSA_10device_ptrIiEEEEPS6_SG_NS0_5tupleIJSF_S6_EEENSH_IJSG_SG_EEES6_PlJNSB_9not_fun_tINSB_10functional5actorINSM_9compositeIJNSM_27transparent_binary_operatorINSA_8equal_toIvEEEENSN_INSM_8argumentILj0EEEEENSM_5valueIiEEEEEEEEEEEE10hipError_tPvRmT3_T4_T5_T6_T7_T9_mT8_P12ihipStream_tbDpT10_ENKUlT_T0_E_clISt17integral_constantIbLb1EES1J_IbLb0EEEEDaS1F_S1G_EUlS1F_E_NS1_11comp_targetILNS1_3genE8ELNS1_11target_archE1030ELNS1_3gpuE2ELNS1_3repE0EEENS1_30default_config_static_selectorELNS0_4arch9wavefront6targetE0EEEvT1_
; %bb.0:
	.section	.rodata,"a",@progbits
	.p2align	6, 0x0
	.amdhsa_kernel _ZN7rocprim17ROCPRIM_400000_NS6detail17trampoline_kernelINS0_14default_configENS1_25partition_config_selectorILNS1_17partition_subalgoE6EiNS0_10empty_typeEbEEZZNS1_14partition_implILS5_6ELb0ES3_mN6thrust23THRUST_200600_302600_NS6detail15normal_iteratorINSA_10device_ptrIiEEEEPS6_SG_NS0_5tupleIJSF_S6_EEENSH_IJSG_SG_EEES6_PlJNSB_9not_fun_tINSB_10functional5actorINSM_9compositeIJNSM_27transparent_binary_operatorINSA_8equal_toIvEEEENSN_INSM_8argumentILj0EEEEENSM_5valueIiEEEEEEEEEEEE10hipError_tPvRmT3_T4_T5_T6_T7_T9_mT8_P12ihipStream_tbDpT10_ENKUlT_T0_E_clISt17integral_constantIbLb1EES1J_IbLb0EEEEDaS1F_S1G_EUlS1F_E_NS1_11comp_targetILNS1_3genE8ELNS1_11target_archE1030ELNS1_3gpuE2ELNS1_3repE0EEENS1_30default_config_static_selectorELNS0_4arch9wavefront6targetE0EEEvT1_
		.amdhsa_group_segment_fixed_size 0
		.amdhsa_private_segment_fixed_size 0
		.amdhsa_kernarg_size 120
		.amdhsa_user_sgpr_count 2
		.amdhsa_user_sgpr_dispatch_ptr 0
		.amdhsa_user_sgpr_queue_ptr 0
		.amdhsa_user_sgpr_kernarg_segment_ptr 1
		.amdhsa_user_sgpr_dispatch_id 0
		.amdhsa_user_sgpr_private_segment_size 0
		.amdhsa_wavefront_size32 1
		.amdhsa_uses_dynamic_stack 0
		.amdhsa_enable_private_segment 0
		.amdhsa_system_sgpr_workgroup_id_x 1
		.amdhsa_system_sgpr_workgroup_id_y 0
		.amdhsa_system_sgpr_workgroup_id_z 0
		.amdhsa_system_sgpr_workgroup_info 0
		.amdhsa_system_vgpr_workitem_id 0
		.amdhsa_next_free_vgpr 1
		.amdhsa_next_free_sgpr 1
		.amdhsa_reserve_vcc 0
		.amdhsa_float_round_mode_32 0
		.amdhsa_float_round_mode_16_64 0
		.amdhsa_float_denorm_mode_32 3
		.amdhsa_float_denorm_mode_16_64 3
		.amdhsa_fp16_overflow 0
		.amdhsa_workgroup_processor_mode 1
		.amdhsa_memory_ordered 1
		.amdhsa_forward_progress 1
		.amdhsa_inst_pref_size 0
		.amdhsa_round_robin_scheduling 0
		.amdhsa_exception_fp_ieee_invalid_op 0
		.amdhsa_exception_fp_denorm_src 0
		.amdhsa_exception_fp_ieee_div_zero 0
		.amdhsa_exception_fp_ieee_overflow 0
		.amdhsa_exception_fp_ieee_underflow 0
		.amdhsa_exception_fp_ieee_inexact 0
		.amdhsa_exception_int_div_zero 0
	.end_amdhsa_kernel
	.section	.text._ZN7rocprim17ROCPRIM_400000_NS6detail17trampoline_kernelINS0_14default_configENS1_25partition_config_selectorILNS1_17partition_subalgoE6EiNS0_10empty_typeEbEEZZNS1_14partition_implILS5_6ELb0ES3_mN6thrust23THRUST_200600_302600_NS6detail15normal_iteratorINSA_10device_ptrIiEEEEPS6_SG_NS0_5tupleIJSF_S6_EEENSH_IJSG_SG_EEES6_PlJNSB_9not_fun_tINSB_10functional5actorINSM_9compositeIJNSM_27transparent_binary_operatorINSA_8equal_toIvEEEENSN_INSM_8argumentILj0EEEEENSM_5valueIiEEEEEEEEEEEE10hipError_tPvRmT3_T4_T5_T6_T7_T9_mT8_P12ihipStream_tbDpT10_ENKUlT_T0_E_clISt17integral_constantIbLb1EES1J_IbLb0EEEEDaS1F_S1G_EUlS1F_E_NS1_11comp_targetILNS1_3genE8ELNS1_11target_archE1030ELNS1_3gpuE2ELNS1_3repE0EEENS1_30default_config_static_selectorELNS0_4arch9wavefront6targetE0EEEvT1_,"axG",@progbits,_ZN7rocprim17ROCPRIM_400000_NS6detail17trampoline_kernelINS0_14default_configENS1_25partition_config_selectorILNS1_17partition_subalgoE6EiNS0_10empty_typeEbEEZZNS1_14partition_implILS5_6ELb0ES3_mN6thrust23THRUST_200600_302600_NS6detail15normal_iteratorINSA_10device_ptrIiEEEEPS6_SG_NS0_5tupleIJSF_S6_EEENSH_IJSG_SG_EEES6_PlJNSB_9not_fun_tINSB_10functional5actorINSM_9compositeIJNSM_27transparent_binary_operatorINSA_8equal_toIvEEEENSN_INSM_8argumentILj0EEEEENSM_5valueIiEEEEEEEEEEEE10hipError_tPvRmT3_T4_T5_T6_T7_T9_mT8_P12ihipStream_tbDpT10_ENKUlT_T0_E_clISt17integral_constantIbLb1EES1J_IbLb0EEEEDaS1F_S1G_EUlS1F_E_NS1_11comp_targetILNS1_3genE8ELNS1_11target_archE1030ELNS1_3gpuE2ELNS1_3repE0EEENS1_30default_config_static_selectorELNS0_4arch9wavefront6targetE0EEEvT1_,comdat
.Lfunc_end234:
	.size	_ZN7rocprim17ROCPRIM_400000_NS6detail17trampoline_kernelINS0_14default_configENS1_25partition_config_selectorILNS1_17partition_subalgoE6EiNS0_10empty_typeEbEEZZNS1_14partition_implILS5_6ELb0ES3_mN6thrust23THRUST_200600_302600_NS6detail15normal_iteratorINSA_10device_ptrIiEEEEPS6_SG_NS0_5tupleIJSF_S6_EEENSH_IJSG_SG_EEES6_PlJNSB_9not_fun_tINSB_10functional5actorINSM_9compositeIJNSM_27transparent_binary_operatorINSA_8equal_toIvEEEENSN_INSM_8argumentILj0EEEEENSM_5valueIiEEEEEEEEEEEE10hipError_tPvRmT3_T4_T5_T6_T7_T9_mT8_P12ihipStream_tbDpT10_ENKUlT_T0_E_clISt17integral_constantIbLb1EES1J_IbLb0EEEEDaS1F_S1G_EUlS1F_E_NS1_11comp_targetILNS1_3genE8ELNS1_11target_archE1030ELNS1_3gpuE2ELNS1_3repE0EEENS1_30default_config_static_selectorELNS0_4arch9wavefront6targetE0EEEvT1_, .Lfunc_end234-_ZN7rocprim17ROCPRIM_400000_NS6detail17trampoline_kernelINS0_14default_configENS1_25partition_config_selectorILNS1_17partition_subalgoE6EiNS0_10empty_typeEbEEZZNS1_14partition_implILS5_6ELb0ES3_mN6thrust23THRUST_200600_302600_NS6detail15normal_iteratorINSA_10device_ptrIiEEEEPS6_SG_NS0_5tupleIJSF_S6_EEENSH_IJSG_SG_EEES6_PlJNSB_9not_fun_tINSB_10functional5actorINSM_9compositeIJNSM_27transparent_binary_operatorINSA_8equal_toIvEEEENSN_INSM_8argumentILj0EEEEENSM_5valueIiEEEEEEEEEEEE10hipError_tPvRmT3_T4_T5_T6_T7_T9_mT8_P12ihipStream_tbDpT10_ENKUlT_T0_E_clISt17integral_constantIbLb1EES1J_IbLb0EEEEDaS1F_S1G_EUlS1F_E_NS1_11comp_targetILNS1_3genE8ELNS1_11target_archE1030ELNS1_3gpuE2ELNS1_3repE0EEENS1_30default_config_static_selectorELNS0_4arch9wavefront6targetE0EEEvT1_
                                        ; -- End function
	.set _ZN7rocprim17ROCPRIM_400000_NS6detail17trampoline_kernelINS0_14default_configENS1_25partition_config_selectorILNS1_17partition_subalgoE6EiNS0_10empty_typeEbEEZZNS1_14partition_implILS5_6ELb0ES3_mN6thrust23THRUST_200600_302600_NS6detail15normal_iteratorINSA_10device_ptrIiEEEEPS6_SG_NS0_5tupleIJSF_S6_EEENSH_IJSG_SG_EEES6_PlJNSB_9not_fun_tINSB_10functional5actorINSM_9compositeIJNSM_27transparent_binary_operatorINSA_8equal_toIvEEEENSN_INSM_8argumentILj0EEEEENSM_5valueIiEEEEEEEEEEEE10hipError_tPvRmT3_T4_T5_T6_T7_T9_mT8_P12ihipStream_tbDpT10_ENKUlT_T0_E_clISt17integral_constantIbLb1EES1J_IbLb0EEEEDaS1F_S1G_EUlS1F_E_NS1_11comp_targetILNS1_3genE8ELNS1_11target_archE1030ELNS1_3gpuE2ELNS1_3repE0EEENS1_30default_config_static_selectorELNS0_4arch9wavefront6targetE0EEEvT1_.num_vgpr, 0
	.set _ZN7rocprim17ROCPRIM_400000_NS6detail17trampoline_kernelINS0_14default_configENS1_25partition_config_selectorILNS1_17partition_subalgoE6EiNS0_10empty_typeEbEEZZNS1_14partition_implILS5_6ELb0ES3_mN6thrust23THRUST_200600_302600_NS6detail15normal_iteratorINSA_10device_ptrIiEEEEPS6_SG_NS0_5tupleIJSF_S6_EEENSH_IJSG_SG_EEES6_PlJNSB_9not_fun_tINSB_10functional5actorINSM_9compositeIJNSM_27transparent_binary_operatorINSA_8equal_toIvEEEENSN_INSM_8argumentILj0EEEEENSM_5valueIiEEEEEEEEEEEE10hipError_tPvRmT3_T4_T5_T6_T7_T9_mT8_P12ihipStream_tbDpT10_ENKUlT_T0_E_clISt17integral_constantIbLb1EES1J_IbLb0EEEEDaS1F_S1G_EUlS1F_E_NS1_11comp_targetILNS1_3genE8ELNS1_11target_archE1030ELNS1_3gpuE2ELNS1_3repE0EEENS1_30default_config_static_selectorELNS0_4arch9wavefront6targetE0EEEvT1_.num_agpr, 0
	.set _ZN7rocprim17ROCPRIM_400000_NS6detail17trampoline_kernelINS0_14default_configENS1_25partition_config_selectorILNS1_17partition_subalgoE6EiNS0_10empty_typeEbEEZZNS1_14partition_implILS5_6ELb0ES3_mN6thrust23THRUST_200600_302600_NS6detail15normal_iteratorINSA_10device_ptrIiEEEEPS6_SG_NS0_5tupleIJSF_S6_EEENSH_IJSG_SG_EEES6_PlJNSB_9not_fun_tINSB_10functional5actorINSM_9compositeIJNSM_27transparent_binary_operatorINSA_8equal_toIvEEEENSN_INSM_8argumentILj0EEEEENSM_5valueIiEEEEEEEEEEEE10hipError_tPvRmT3_T4_T5_T6_T7_T9_mT8_P12ihipStream_tbDpT10_ENKUlT_T0_E_clISt17integral_constantIbLb1EES1J_IbLb0EEEEDaS1F_S1G_EUlS1F_E_NS1_11comp_targetILNS1_3genE8ELNS1_11target_archE1030ELNS1_3gpuE2ELNS1_3repE0EEENS1_30default_config_static_selectorELNS0_4arch9wavefront6targetE0EEEvT1_.numbered_sgpr, 0
	.set _ZN7rocprim17ROCPRIM_400000_NS6detail17trampoline_kernelINS0_14default_configENS1_25partition_config_selectorILNS1_17partition_subalgoE6EiNS0_10empty_typeEbEEZZNS1_14partition_implILS5_6ELb0ES3_mN6thrust23THRUST_200600_302600_NS6detail15normal_iteratorINSA_10device_ptrIiEEEEPS6_SG_NS0_5tupleIJSF_S6_EEENSH_IJSG_SG_EEES6_PlJNSB_9not_fun_tINSB_10functional5actorINSM_9compositeIJNSM_27transparent_binary_operatorINSA_8equal_toIvEEEENSN_INSM_8argumentILj0EEEEENSM_5valueIiEEEEEEEEEEEE10hipError_tPvRmT3_T4_T5_T6_T7_T9_mT8_P12ihipStream_tbDpT10_ENKUlT_T0_E_clISt17integral_constantIbLb1EES1J_IbLb0EEEEDaS1F_S1G_EUlS1F_E_NS1_11comp_targetILNS1_3genE8ELNS1_11target_archE1030ELNS1_3gpuE2ELNS1_3repE0EEENS1_30default_config_static_selectorELNS0_4arch9wavefront6targetE0EEEvT1_.num_named_barrier, 0
	.set _ZN7rocprim17ROCPRIM_400000_NS6detail17trampoline_kernelINS0_14default_configENS1_25partition_config_selectorILNS1_17partition_subalgoE6EiNS0_10empty_typeEbEEZZNS1_14partition_implILS5_6ELb0ES3_mN6thrust23THRUST_200600_302600_NS6detail15normal_iteratorINSA_10device_ptrIiEEEEPS6_SG_NS0_5tupleIJSF_S6_EEENSH_IJSG_SG_EEES6_PlJNSB_9not_fun_tINSB_10functional5actorINSM_9compositeIJNSM_27transparent_binary_operatorINSA_8equal_toIvEEEENSN_INSM_8argumentILj0EEEEENSM_5valueIiEEEEEEEEEEEE10hipError_tPvRmT3_T4_T5_T6_T7_T9_mT8_P12ihipStream_tbDpT10_ENKUlT_T0_E_clISt17integral_constantIbLb1EES1J_IbLb0EEEEDaS1F_S1G_EUlS1F_E_NS1_11comp_targetILNS1_3genE8ELNS1_11target_archE1030ELNS1_3gpuE2ELNS1_3repE0EEENS1_30default_config_static_selectorELNS0_4arch9wavefront6targetE0EEEvT1_.private_seg_size, 0
	.set _ZN7rocprim17ROCPRIM_400000_NS6detail17trampoline_kernelINS0_14default_configENS1_25partition_config_selectorILNS1_17partition_subalgoE6EiNS0_10empty_typeEbEEZZNS1_14partition_implILS5_6ELb0ES3_mN6thrust23THRUST_200600_302600_NS6detail15normal_iteratorINSA_10device_ptrIiEEEEPS6_SG_NS0_5tupleIJSF_S6_EEENSH_IJSG_SG_EEES6_PlJNSB_9not_fun_tINSB_10functional5actorINSM_9compositeIJNSM_27transparent_binary_operatorINSA_8equal_toIvEEEENSN_INSM_8argumentILj0EEEEENSM_5valueIiEEEEEEEEEEEE10hipError_tPvRmT3_T4_T5_T6_T7_T9_mT8_P12ihipStream_tbDpT10_ENKUlT_T0_E_clISt17integral_constantIbLb1EES1J_IbLb0EEEEDaS1F_S1G_EUlS1F_E_NS1_11comp_targetILNS1_3genE8ELNS1_11target_archE1030ELNS1_3gpuE2ELNS1_3repE0EEENS1_30default_config_static_selectorELNS0_4arch9wavefront6targetE0EEEvT1_.uses_vcc, 0
	.set _ZN7rocprim17ROCPRIM_400000_NS6detail17trampoline_kernelINS0_14default_configENS1_25partition_config_selectorILNS1_17partition_subalgoE6EiNS0_10empty_typeEbEEZZNS1_14partition_implILS5_6ELb0ES3_mN6thrust23THRUST_200600_302600_NS6detail15normal_iteratorINSA_10device_ptrIiEEEEPS6_SG_NS0_5tupleIJSF_S6_EEENSH_IJSG_SG_EEES6_PlJNSB_9not_fun_tINSB_10functional5actorINSM_9compositeIJNSM_27transparent_binary_operatorINSA_8equal_toIvEEEENSN_INSM_8argumentILj0EEEEENSM_5valueIiEEEEEEEEEEEE10hipError_tPvRmT3_T4_T5_T6_T7_T9_mT8_P12ihipStream_tbDpT10_ENKUlT_T0_E_clISt17integral_constantIbLb1EES1J_IbLb0EEEEDaS1F_S1G_EUlS1F_E_NS1_11comp_targetILNS1_3genE8ELNS1_11target_archE1030ELNS1_3gpuE2ELNS1_3repE0EEENS1_30default_config_static_selectorELNS0_4arch9wavefront6targetE0EEEvT1_.uses_flat_scratch, 0
	.set _ZN7rocprim17ROCPRIM_400000_NS6detail17trampoline_kernelINS0_14default_configENS1_25partition_config_selectorILNS1_17partition_subalgoE6EiNS0_10empty_typeEbEEZZNS1_14partition_implILS5_6ELb0ES3_mN6thrust23THRUST_200600_302600_NS6detail15normal_iteratorINSA_10device_ptrIiEEEEPS6_SG_NS0_5tupleIJSF_S6_EEENSH_IJSG_SG_EEES6_PlJNSB_9not_fun_tINSB_10functional5actorINSM_9compositeIJNSM_27transparent_binary_operatorINSA_8equal_toIvEEEENSN_INSM_8argumentILj0EEEEENSM_5valueIiEEEEEEEEEEEE10hipError_tPvRmT3_T4_T5_T6_T7_T9_mT8_P12ihipStream_tbDpT10_ENKUlT_T0_E_clISt17integral_constantIbLb1EES1J_IbLb0EEEEDaS1F_S1G_EUlS1F_E_NS1_11comp_targetILNS1_3genE8ELNS1_11target_archE1030ELNS1_3gpuE2ELNS1_3repE0EEENS1_30default_config_static_selectorELNS0_4arch9wavefront6targetE0EEEvT1_.has_dyn_sized_stack, 0
	.set _ZN7rocprim17ROCPRIM_400000_NS6detail17trampoline_kernelINS0_14default_configENS1_25partition_config_selectorILNS1_17partition_subalgoE6EiNS0_10empty_typeEbEEZZNS1_14partition_implILS5_6ELb0ES3_mN6thrust23THRUST_200600_302600_NS6detail15normal_iteratorINSA_10device_ptrIiEEEEPS6_SG_NS0_5tupleIJSF_S6_EEENSH_IJSG_SG_EEES6_PlJNSB_9not_fun_tINSB_10functional5actorINSM_9compositeIJNSM_27transparent_binary_operatorINSA_8equal_toIvEEEENSN_INSM_8argumentILj0EEEEENSM_5valueIiEEEEEEEEEEEE10hipError_tPvRmT3_T4_T5_T6_T7_T9_mT8_P12ihipStream_tbDpT10_ENKUlT_T0_E_clISt17integral_constantIbLb1EES1J_IbLb0EEEEDaS1F_S1G_EUlS1F_E_NS1_11comp_targetILNS1_3genE8ELNS1_11target_archE1030ELNS1_3gpuE2ELNS1_3repE0EEENS1_30default_config_static_selectorELNS0_4arch9wavefront6targetE0EEEvT1_.has_recursion, 0
	.set _ZN7rocprim17ROCPRIM_400000_NS6detail17trampoline_kernelINS0_14default_configENS1_25partition_config_selectorILNS1_17partition_subalgoE6EiNS0_10empty_typeEbEEZZNS1_14partition_implILS5_6ELb0ES3_mN6thrust23THRUST_200600_302600_NS6detail15normal_iteratorINSA_10device_ptrIiEEEEPS6_SG_NS0_5tupleIJSF_S6_EEENSH_IJSG_SG_EEES6_PlJNSB_9not_fun_tINSB_10functional5actorINSM_9compositeIJNSM_27transparent_binary_operatorINSA_8equal_toIvEEEENSN_INSM_8argumentILj0EEEEENSM_5valueIiEEEEEEEEEEEE10hipError_tPvRmT3_T4_T5_T6_T7_T9_mT8_P12ihipStream_tbDpT10_ENKUlT_T0_E_clISt17integral_constantIbLb1EES1J_IbLb0EEEEDaS1F_S1G_EUlS1F_E_NS1_11comp_targetILNS1_3genE8ELNS1_11target_archE1030ELNS1_3gpuE2ELNS1_3repE0EEENS1_30default_config_static_selectorELNS0_4arch9wavefront6targetE0EEEvT1_.has_indirect_call, 0
	.section	.AMDGPU.csdata,"",@progbits
; Kernel info:
; codeLenInByte = 0
; TotalNumSgprs: 0
; NumVgprs: 0
; ScratchSize: 0
; MemoryBound: 0
; FloatMode: 240
; IeeeMode: 1
; LDSByteSize: 0 bytes/workgroup (compile time only)
; SGPRBlocks: 0
; VGPRBlocks: 0
; NumSGPRsForWavesPerEU: 1
; NumVGPRsForWavesPerEU: 1
; Occupancy: 16
; WaveLimiterHint : 0
; COMPUTE_PGM_RSRC2:SCRATCH_EN: 0
; COMPUTE_PGM_RSRC2:USER_SGPR: 2
; COMPUTE_PGM_RSRC2:TRAP_HANDLER: 0
; COMPUTE_PGM_RSRC2:TGID_X_EN: 1
; COMPUTE_PGM_RSRC2:TGID_Y_EN: 0
; COMPUTE_PGM_RSRC2:TGID_Z_EN: 0
; COMPUTE_PGM_RSRC2:TIDIG_COMP_CNT: 0
	.section	.text._ZN7rocprim17ROCPRIM_400000_NS6detail17trampoline_kernelINS0_14default_configENS1_25partition_config_selectorILNS1_17partition_subalgoE6EiNS0_10empty_typeEbEEZZNS1_14partition_implILS5_6ELb0ES3_mN6thrust23THRUST_200600_302600_NS6detail15normal_iteratorINSA_10device_ptrIiEEEEPS6_SG_NS0_5tupleIJSF_S6_EEENSH_IJSG_SG_EEES6_PlJNSB_9not_fun_tINSB_10functional5actorINSM_9compositeIJNSM_27transparent_binary_operatorINSA_8equal_toIvEEEENSN_INSM_8argumentILj0EEEEENSM_5valueIiEEEEEEEEEEEE10hipError_tPvRmT3_T4_T5_T6_T7_T9_mT8_P12ihipStream_tbDpT10_ENKUlT_T0_E_clISt17integral_constantIbLb0EES1J_IbLb1EEEEDaS1F_S1G_EUlS1F_E_NS1_11comp_targetILNS1_3genE0ELNS1_11target_archE4294967295ELNS1_3gpuE0ELNS1_3repE0EEENS1_30default_config_static_selectorELNS0_4arch9wavefront6targetE0EEEvT1_,"axG",@progbits,_ZN7rocprim17ROCPRIM_400000_NS6detail17trampoline_kernelINS0_14default_configENS1_25partition_config_selectorILNS1_17partition_subalgoE6EiNS0_10empty_typeEbEEZZNS1_14partition_implILS5_6ELb0ES3_mN6thrust23THRUST_200600_302600_NS6detail15normal_iteratorINSA_10device_ptrIiEEEEPS6_SG_NS0_5tupleIJSF_S6_EEENSH_IJSG_SG_EEES6_PlJNSB_9not_fun_tINSB_10functional5actorINSM_9compositeIJNSM_27transparent_binary_operatorINSA_8equal_toIvEEEENSN_INSM_8argumentILj0EEEEENSM_5valueIiEEEEEEEEEEEE10hipError_tPvRmT3_T4_T5_T6_T7_T9_mT8_P12ihipStream_tbDpT10_ENKUlT_T0_E_clISt17integral_constantIbLb0EES1J_IbLb1EEEEDaS1F_S1G_EUlS1F_E_NS1_11comp_targetILNS1_3genE0ELNS1_11target_archE4294967295ELNS1_3gpuE0ELNS1_3repE0EEENS1_30default_config_static_selectorELNS0_4arch9wavefront6targetE0EEEvT1_,comdat
	.protected	_ZN7rocprim17ROCPRIM_400000_NS6detail17trampoline_kernelINS0_14default_configENS1_25partition_config_selectorILNS1_17partition_subalgoE6EiNS0_10empty_typeEbEEZZNS1_14partition_implILS5_6ELb0ES3_mN6thrust23THRUST_200600_302600_NS6detail15normal_iteratorINSA_10device_ptrIiEEEEPS6_SG_NS0_5tupleIJSF_S6_EEENSH_IJSG_SG_EEES6_PlJNSB_9not_fun_tINSB_10functional5actorINSM_9compositeIJNSM_27transparent_binary_operatorINSA_8equal_toIvEEEENSN_INSM_8argumentILj0EEEEENSM_5valueIiEEEEEEEEEEEE10hipError_tPvRmT3_T4_T5_T6_T7_T9_mT8_P12ihipStream_tbDpT10_ENKUlT_T0_E_clISt17integral_constantIbLb0EES1J_IbLb1EEEEDaS1F_S1G_EUlS1F_E_NS1_11comp_targetILNS1_3genE0ELNS1_11target_archE4294967295ELNS1_3gpuE0ELNS1_3repE0EEENS1_30default_config_static_selectorELNS0_4arch9wavefront6targetE0EEEvT1_ ; -- Begin function _ZN7rocprim17ROCPRIM_400000_NS6detail17trampoline_kernelINS0_14default_configENS1_25partition_config_selectorILNS1_17partition_subalgoE6EiNS0_10empty_typeEbEEZZNS1_14partition_implILS5_6ELb0ES3_mN6thrust23THRUST_200600_302600_NS6detail15normal_iteratorINSA_10device_ptrIiEEEEPS6_SG_NS0_5tupleIJSF_S6_EEENSH_IJSG_SG_EEES6_PlJNSB_9not_fun_tINSB_10functional5actorINSM_9compositeIJNSM_27transparent_binary_operatorINSA_8equal_toIvEEEENSN_INSM_8argumentILj0EEEEENSM_5valueIiEEEEEEEEEEEE10hipError_tPvRmT3_T4_T5_T6_T7_T9_mT8_P12ihipStream_tbDpT10_ENKUlT_T0_E_clISt17integral_constantIbLb0EES1J_IbLb1EEEEDaS1F_S1G_EUlS1F_E_NS1_11comp_targetILNS1_3genE0ELNS1_11target_archE4294967295ELNS1_3gpuE0ELNS1_3repE0EEENS1_30default_config_static_selectorELNS0_4arch9wavefront6targetE0EEEvT1_
	.globl	_ZN7rocprim17ROCPRIM_400000_NS6detail17trampoline_kernelINS0_14default_configENS1_25partition_config_selectorILNS1_17partition_subalgoE6EiNS0_10empty_typeEbEEZZNS1_14partition_implILS5_6ELb0ES3_mN6thrust23THRUST_200600_302600_NS6detail15normal_iteratorINSA_10device_ptrIiEEEEPS6_SG_NS0_5tupleIJSF_S6_EEENSH_IJSG_SG_EEES6_PlJNSB_9not_fun_tINSB_10functional5actorINSM_9compositeIJNSM_27transparent_binary_operatorINSA_8equal_toIvEEEENSN_INSM_8argumentILj0EEEEENSM_5valueIiEEEEEEEEEEEE10hipError_tPvRmT3_T4_T5_T6_T7_T9_mT8_P12ihipStream_tbDpT10_ENKUlT_T0_E_clISt17integral_constantIbLb0EES1J_IbLb1EEEEDaS1F_S1G_EUlS1F_E_NS1_11comp_targetILNS1_3genE0ELNS1_11target_archE4294967295ELNS1_3gpuE0ELNS1_3repE0EEENS1_30default_config_static_selectorELNS0_4arch9wavefront6targetE0EEEvT1_
	.p2align	8
	.type	_ZN7rocprim17ROCPRIM_400000_NS6detail17trampoline_kernelINS0_14default_configENS1_25partition_config_selectorILNS1_17partition_subalgoE6EiNS0_10empty_typeEbEEZZNS1_14partition_implILS5_6ELb0ES3_mN6thrust23THRUST_200600_302600_NS6detail15normal_iteratorINSA_10device_ptrIiEEEEPS6_SG_NS0_5tupleIJSF_S6_EEENSH_IJSG_SG_EEES6_PlJNSB_9not_fun_tINSB_10functional5actorINSM_9compositeIJNSM_27transparent_binary_operatorINSA_8equal_toIvEEEENSN_INSM_8argumentILj0EEEEENSM_5valueIiEEEEEEEEEEEE10hipError_tPvRmT3_T4_T5_T6_T7_T9_mT8_P12ihipStream_tbDpT10_ENKUlT_T0_E_clISt17integral_constantIbLb0EES1J_IbLb1EEEEDaS1F_S1G_EUlS1F_E_NS1_11comp_targetILNS1_3genE0ELNS1_11target_archE4294967295ELNS1_3gpuE0ELNS1_3repE0EEENS1_30default_config_static_selectorELNS0_4arch9wavefront6targetE0EEEvT1_,@function
_ZN7rocprim17ROCPRIM_400000_NS6detail17trampoline_kernelINS0_14default_configENS1_25partition_config_selectorILNS1_17partition_subalgoE6EiNS0_10empty_typeEbEEZZNS1_14partition_implILS5_6ELb0ES3_mN6thrust23THRUST_200600_302600_NS6detail15normal_iteratorINSA_10device_ptrIiEEEEPS6_SG_NS0_5tupleIJSF_S6_EEENSH_IJSG_SG_EEES6_PlJNSB_9not_fun_tINSB_10functional5actorINSM_9compositeIJNSM_27transparent_binary_operatorINSA_8equal_toIvEEEENSN_INSM_8argumentILj0EEEEENSM_5valueIiEEEEEEEEEEEE10hipError_tPvRmT3_T4_T5_T6_T7_T9_mT8_P12ihipStream_tbDpT10_ENKUlT_T0_E_clISt17integral_constantIbLb0EES1J_IbLb1EEEEDaS1F_S1G_EUlS1F_E_NS1_11comp_targetILNS1_3genE0ELNS1_11target_archE4294967295ELNS1_3gpuE0ELNS1_3repE0EEENS1_30default_config_static_selectorELNS0_4arch9wavefront6targetE0EEEvT1_: ; @_ZN7rocprim17ROCPRIM_400000_NS6detail17trampoline_kernelINS0_14default_configENS1_25partition_config_selectorILNS1_17partition_subalgoE6EiNS0_10empty_typeEbEEZZNS1_14partition_implILS5_6ELb0ES3_mN6thrust23THRUST_200600_302600_NS6detail15normal_iteratorINSA_10device_ptrIiEEEEPS6_SG_NS0_5tupleIJSF_S6_EEENSH_IJSG_SG_EEES6_PlJNSB_9not_fun_tINSB_10functional5actorINSM_9compositeIJNSM_27transparent_binary_operatorINSA_8equal_toIvEEEENSN_INSM_8argumentILj0EEEEENSM_5valueIiEEEEEEEEEEEE10hipError_tPvRmT3_T4_T5_T6_T7_T9_mT8_P12ihipStream_tbDpT10_ENKUlT_T0_E_clISt17integral_constantIbLb0EES1J_IbLb1EEEEDaS1F_S1G_EUlS1F_E_NS1_11comp_targetILNS1_3genE0ELNS1_11target_archE4294967295ELNS1_3gpuE0ELNS1_3repE0EEENS1_30default_config_static_selectorELNS0_4arch9wavefront6targetE0EEEvT1_
; %bb.0:
	.section	.rodata,"a",@progbits
	.p2align	6, 0x0
	.amdhsa_kernel _ZN7rocprim17ROCPRIM_400000_NS6detail17trampoline_kernelINS0_14default_configENS1_25partition_config_selectorILNS1_17partition_subalgoE6EiNS0_10empty_typeEbEEZZNS1_14partition_implILS5_6ELb0ES3_mN6thrust23THRUST_200600_302600_NS6detail15normal_iteratorINSA_10device_ptrIiEEEEPS6_SG_NS0_5tupleIJSF_S6_EEENSH_IJSG_SG_EEES6_PlJNSB_9not_fun_tINSB_10functional5actorINSM_9compositeIJNSM_27transparent_binary_operatorINSA_8equal_toIvEEEENSN_INSM_8argumentILj0EEEEENSM_5valueIiEEEEEEEEEEEE10hipError_tPvRmT3_T4_T5_T6_T7_T9_mT8_P12ihipStream_tbDpT10_ENKUlT_T0_E_clISt17integral_constantIbLb0EES1J_IbLb1EEEEDaS1F_S1G_EUlS1F_E_NS1_11comp_targetILNS1_3genE0ELNS1_11target_archE4294967295ELNS1_3gpuE0ELNS1_3repE0EEENS1_30default_config_static_selectorELNS0_4arch9wavefront6targetE0EEEvT1_
		.amdhsa_group_segment_fixed_size 0
		.amdhsa_private_segment_fixed_size 0
		.amdhsa_kernarg_size 128
		.amdhsa_user_sgpr_count 2
		.amdhsa_user_sgpr_dispatch_ptr 0
		.amdhsa_user_sgpr_queue_ptr 0
		.amdhsa_user_sgpr_kernarg_segment_ptr 1
		.amdhsa_user_sgpr_dispatch_id 0
		.amdhsa_user_sgpr_private_segment_size 0
		.amdhsa_wavefront_size32 1
		.amdhsa_uses_dynamic_stack 0
		.amdhsa_enable_private_segment 0
		.amdhsa_system_sgpr_workgroup_id_x 1
		.amdhsa_system_sgpr_workgroup_id_y 0
		.amdhsa_system_sgpr_workgroup_id_z 0
		.amdhsa_system_sgpr_workgroup_info 0
		.amdhsa_system_vgpr_workitem_id 0
		.amdhsa_next_free_vgpr 1
		.amdhsa_next_free_sgpr 1
		.amdhsa_reserve_vcc 0
		.amdhsa_float_round_mode_32 0
		.amdhsa_float_round_mode_16_64 0
		.amdhsa_float_denorm_mode_32 3
		.amdhsa_float_denorm_mode_16_64 3
		.amdhsa_fp16_overflow 0
		.amdhsa_workgroup_processor_mode 1
		.amdhsa_memory_ordered 1
		.amdhsa_forward_progress 1
		.amdhsa_inst_pref_size 0
		.amdhsa_round_robin_scheduling 0
		.amdhsa_exception_fp_ieee_invalid_op 0
		.amdhsa_exception_fp_denorm_src 0
		.amdhsa_exception_fp_ieee_div_zero 0
		.amdhsa_exception_fp_ieee_overflow 0
		.amdhsa_exception_fp_ieee_underflow 0
		.amdhsa_exception_fp_ieee_inexact 0
		.amdhsa_exception_int_div_zero 0
	.end_amdhsa_kernel
	.section	.text._ZN7rocprim17ROCPRIM_400000_NS6detail17trampoline_kernelINS0_14default_configENS1_25partition_config_selectorILNS1_17partition_subalgoE6EiNS0_10empty_typeEbEEZZNS1_14partition_implILS5_6ELb0ES3_mN6thrust23THRUST_200600_302600_NS6detail15normal_iteratorINSA_10device_ptrIiEEEEPS6_SG_NS0_5tupleIJSF_S6_EEENSH_IJSG_SG_EEES6_PlJNSB_9not_fun_tINSB_10functional5actorINSM_9compositeIJNSM_27transparent_binary_operatorINSA_8equal_toIvEEEENSN_INSM_8argumentILj0EEEEENSM_5valueIiEEEEEEEEEEEE10hipError_tPvRmT3_T4_T5_T6_T7_T9_mT8_P12ihipStream_tbDpT10_ENKUlT_T0_E_clISt17integral_constantIbLb0EES1J_IbLb1EEEEDaS1F_S1G_EUlS1F_E_NS1_11comp_targetILNS1_3genE0ELNS1_11target_archE4294967295ELNS1_3gpuE0ELNS1_3repE0EEENS1_30default_config_static_selectorELNS0_4arch9wavefront6targetE0EEEvT1_,"axG",@progbits,_ZN7rocprim17ROCPRIM_400000_NS6detail17trampoline_kernelINS0_14default_configENS1_25partition_config_selectorILNS1_17partition_subalgoE6EiNS0_10empty_typeEbEEZZNS1_14partition_implILS5_6ELb0ES3_mN6thrust23THRUST_200600_302600_NS6detail15normal_iteratorINSA_10device_ptrIiEEEEPS6_SG_NS0_5tupleIJSF_S6_EEENSH_IJSG_SG_EEES6_PlJNSB_9not_fun_tINSB_10functional5actorINSM_9compositeIJNSM_27transparent_binary_operatorINSA_8equal_toIvEEEENSN_INSM_8argumentILj0EEEEENSM_5valueIiEEEEEEEEEEEE10hipError_tPvRmT3_T4_T5_T6_T7_T9_mT8_P12ihipStream_tbDpT10_ENKUlT_T0_E_clISt17integral_constantIbLb0EES1J_IbLb1EEEEDaS1F_S1G_EUlS1F_E_NS1_11comp_targetILNS1_3genE0ELNS1_11target_archE4294967295ELNS1_3gpuE0ELNS1_3repE0EEENS1_30default_config_static_selectorELNS0_4arch9wavefront6targetE0EEEvT1_,comdat
.Lfunc_end235:
	.size	_ZN7rocprim17ROCPRIM_400000_NS6detail17trampoline_kernelINS0_14default_configENS1_25partition_config_selectorILNS1_17partition_subalgoE6EiNS0_10empty_typeEbEEZZNS1_14partition_implILS5_6ELb0ES3_mN6thrust23THRUST_200600_302600_NS6detail15normal_iteratorINSA_10device_ptrIiEEEEPS6_SG_NS0_5tupleIJSF_S6_EEENSH_IJSG_SG_EEES6_PlJNSB_9not_fun_tINSB_10functional5actorINSM_9compositeIJNSM_27transparent_binary_operatorINSA_8equal_toIvEEEENSN_INSM_8argumentILj0EEEEENSM_5valueIiEEEEEEEEEEEE10hipError_tPvRmT3_T4_T5_T6_T7_T9_mT8_P12ihipStream_tbDpT10_ENKUlT_T0_E_clISt17integral_constantIbLb0EES1J_IbLb1EEEEDaS1F_S1G_EUlS1F_E_NS1_11comp_targetILNS1_3genE0ELNS1_11target_archE4294967295ELNS1_3gpuE0ELNS1_3repE0EEENS1_30default_config_static_selectorELNS0_4arch9wavefront6targetE0EEEvT1_, .Lfunc_end235-_ZN7rocprim17ROCPRIM_400000_NS6detail17trampoline_kernelINS0_14default_configENS1_25partition_config_selectorILNS1_17partition_subalgoE6EiNS0_10empty_typeEbEEZZNS1_14partition_implILS5_6ELb0ES3_mN6thrust23THRUST_200600_302600_NS6detail15normal_iteratorINSA_10device_ptrIiEEEEPS6_SG_NS0_5tupleIJSF_S6_EEENSH_IJSG_SG_EEES6_PlJNSB_9not_fun_tINSB_10functional5actorINSM_9compositeIJNSM_27transparent_binary_operatorINSA_8equal_toIvEEEENSN_INSM_8argumentILj0EEEEENSM_5valueIiEEEEEEEEEEEE10hipError_tPvRmT3_T4_T5_T6_T7_T9_mT8_P12ihipStream_tbDpT10_ENKUlT_T0_E_clISt17integral_constantIbLb0EES1J_IbLb1EEEEDaS1F_S1G_EUlS1F_E_NS1_11comp_targetILNS1_3genE0ELNS1_11target_archE4294967295ELNS1_3gpuE0ELNS1_3repE0EEENS1_30default_config_static_selectorELNS0_4arch9wavefront6targetE0EEEvT1_
                                        ; -- End function
	.set _ZN7rocprim17ROCPRIM_400000_NS6detail17trampoline_kernelINS0_14default_configENS1_25partition_config_selectorILNS1_17partition_subalgoE6EiNS0_10empty_typeEbEEZZNS1_14partition_implILS5_6ELb0ES3_mN6thrust23THRUST_200600_302600_NS6detail15normal_iteratorINSA_10device_ptrIiEEEEPS6_SG_NS0_5tupleIJSF_S6_EEENSH_IJSG_SG_EEES6_PlJNSB_9not_fun_tINSB_10functional5actorINSM_9compositeIJNSM_27transparent_binary_operatorINSA_8equal_toIvEEEENSN_INSM_8argumentILj0EEEEENSM_5valueIiEEEEEEEEEEEE10hipError_tPvRmT3_T4_T5_T6_T7_T9_mT8_P12ihipStream_tbDpT10_ENKUlT_T0_E_clISt17integral_constantIbLb0EES1J_IbLb1EEEEDaS1F_S1G_EUlS1F_E_NS1_11comp_targetILNS1_3genE0ELNS1_11target_archE4294967295ELNS1_3gpuE0ELNS1_3repE0EEENS1_30default_config_static_selectorELNS0_4arch9wavefront6targetE0EEEvT1_.num_vgpr, 0
	.set _ZN7rocprim17ROCPRIM_400000_NS6detail17trampoline_kernelINS0_14default_configENS1_25partition_config_selectorILNS1_17partition_subalgoE6EiNS0_10empty_typeEbEEZZNS1_14partition_implILS5_6ELb0ES3_mN6thrust23THRUST_200600_302600_NS6detail15normal_iteratorINSA_10device_ptrIiEEEEPS6_SG_NS0_5tupleIJSF_S6_EEENSH_IJSG_SG_EEES6_PlJNSB_9not_fun_tINSB_10functional5actorINSM_9compositeIJNSM_27transparent_binary_operatorINSA_8equal_toIvEEEENSN_INSM_8argumentILj0EEEEENSM_5valueIiEEEEEEEEEEEE10hipError_tPvRmT3_T4_T5_T6_T7_T9_mT8_P12ihipStream_tbDpT10_ENKUlT_T0_E_clISt17integral_constantIbLb0EES1J_IbLb1EEEEDaS1F_S1G_EUlS1F_E_NS1_11comp_targetILNS1_3genE0ELNS1_11target_archE4294967295ELNS1_3gpuE0ELNS1_3repE0EEENS1_30default_config_static_selectorELNS0_4arch9wavefront6targetE0EEEvT1_.num_agpr, 0
	.set _ZN7rocprim17ROCPRIM_400000_NS6detail17trampoline_kernelINS0_14default_configENS1_25partition_config_selectorILNS1_17partition_subalgoE6EiNS0_10empty_typeEbEEZZNS1_14partition_implILS5_6ELb0ES3_mN6thrust23THRUST_200600_302600_NS6detail15normal_iteratorINSA_10device_ptrIiEEEEPS6_SG_NS0_5tupleIJSF_S6_EEENSH_IJSG_SG_EEES6_PlJNSB_9not_fun_tINSB_10functional5actorINSM_9compositeIJNSM_27transparent_binary_operatorINSA_8equal_toIvEEEENSN_INSM_8argumentILj0EEEEENSM_5valueIiEEEEEEEEEEEE10hipError_tPvRmT3_T4_T5_T6_T7_T9_mT8_P12ihipStream_tbDpT10_ENKUlT_T0_E_clISt17integral_constantIbLb0EES1J_IbLb1EEEEDaS1F_S1G_EUlS1F_E_NS1_11comp_targetILNS1_3genE0ELNS1_11target_archE4294967295ELNS1_3gpuE0ELNS1_3repE0EEENS1_30default_config_static_selectorELNS0_4arch9wavefront6targetE0EEEvT1_.numbered_sgpr, 0
	.set _ZN7rocprim17ROCPRIM_400000_NS6detail17trampoline_kernelINS0_14default_configENS1_25partition_config_selectorILNS1_17partition_subalgoE6EiNS0_10empty_typeEbEEZZNS1_14partition_implILS5_6ELb0ES3_mN6thrust23THRUST_200600_302600_NS6detail15normal_iteratorINSA_10device_ptrIiEEEEPS6_SG_NS0_5tupleIJSF_S6_EEENSH_IJSG_SG_EEES6_PlJNSB_9not_fun_tINSB_10functional5actorINSM_9compositeIJNSM_27transparent_binary_operatorINSA_8equal_toIvEEEENSN_INSM_8argumentILj0EEEEENSM_5valueIiEEEEEEEEEEEE10hipError_tPvRmT3_T4_T5_T6_T7_T9_mT8_P12ihipStream_tbDpT10_ENKUlT_T0_E_clISt17integral_constantIbLb0EES1J_IbLb1EEEEDaS1F_S1G_EUlS1F_E_NS1_11comp_targetILNS1_3genE0ELNS1_11target_archE4294967295ELNS1_3gpuE0ELNS1_3repE0EEENS1_30default_config_static_selectorELNS0_4arch9wavefront6targetE0EEEvT1_.num_named_barrier, 0
	.set _ZN7rocprim17ROCPRIM_400000_NS6detail17trampoline_kernelINS0_14default_configENS1_25partition_config_selectorILNS1_17partition_subalgoE6EiNS0_10empty_typeEbEEZZNS1_14partition_implILS5_6ELb0ES3_mN6thrust23THRUST_200600_302600_NS6detail15normal_iteratorINSA_10device_ptrIiEEEEPS6_SG_NS0_5tupleIJSF_S6_EEENSH_IJSG_SG_EEES6_PlJNSB_9not_fun_tINSB_10functional5actorINSM_9compositeIJNSM_27transparent_binary_operatorINSA_8equal_toIvEEEENSN_INSM_8argumentILj0EEEEENSM_5valueIiEEEEEEEEEEEE10hipError_tPvRmT3_T4_T5_T6_T7_T9_mT8_P12ihipStream_tbDpT10_ENKUlT_T0_E_clISt17integral_constantIbLb0EES1J_IbLb1EEEEDaS1F_S1G_EUlS1F_E_NS1_11comp_targetILNS1_3genE0ELNS1_11target_archE4294967295ELNS1_3gpuE0ELNS1_3repE0EEENS1_30default_config_static_selectorELNS0_4arch9wavefront6targetE0EEEvT1_.private_seg_size, 0
	.set _ZN7rocprim17ROCPRIM_400000_NS6detail17trampoline_kernelINS0_14default_configENS1_25partition_config_selectorILNS1_17partition_subalgoE6EiNS0_10empty_typeEbEEZZNS1_14partition_implILS5_6ELb0ES3_mN6thrust23THRUST_200600_302600_NS6detail15normal_iteratorINSA_10device_ptrIiEEEEPS6_SG_NS0_5tupleIJSF_S6_EEENSH_IJSG_SG_EEES6_PlJNSB_9not_fun_tINSB_10functional5actorINSM_9compositeIJNSM_27transparent_binary_operatorINSA_8equal_toIvEEEENSN_INSM_8argumentILj0EEEEENSM_5valueIiEEEEEEEEEEEE10hipError_tPvRmT3_T4_T5_T6_T7_T9_mT8_P12ihipStream_tbDpT10_ENKUlT_T0_E_clISt17integral_constantIbLb0EES1J_IbLb1EEEEDaS1F_S1G_EUlS1F_E_NS1_11comp_targetILNS1_3genE0ELNS1_11target_archE4294967295ELNS1_3gpuE0ELNS1_3repE0EEENS1_30default_config_static_selectorELNS0_4arch9wavefront6targetE0EEEvT1_.uses_vcc, 0
	.set _ZN7rocprim17ROCPRIM_400000_NS6detail17trampoline_kernelINS0_14default_configENS1_25partition_config_selectorILNS1_17partition_subalgoE6EiNS0_10empty_typeEbEEZZNS1_14partition_implILS5_6ELb0ES3_mN6thrust23THRUST_200600_302600_NS6detail15normal_iteratorINSA_10device_ptrIiEEEEPS6_SG_NS0_5tupleIJSF_S6_EEENSH_IJSG_SG_EEES6_PlJNSB_9not_fun_tINSB_10functional5actorINSM_9compositeIJNSM_27transparent_binary_operatorINSA_8equal_toIvEEEENSN_INSM_8argumentILj0EEEEENSM_5valueIiEEEEEEEEEEEE10hipError_tPvRmT3_T4_T5_T6_T7_T9_mT8_P12ihipStream_tbDpT10_ENKUlT_T0_E_clISt17integral_constantIbLb0EES1J_IbLb1EEEEDaS1F_S1G_EUlS1F_E_NS1_11comp_targetILNS1_3genE0ELNS1_11target_archE4294967295ELNS1_3gpuE0ELNS1_3repE0EEENS1_30default_config_static_selectorELNS0_4arch9wavefront6targetE0EEEvT1_.uses_flat_scratch, 0
	.set _ZN7rocprim17ROCPRIM_400000_NS6detail17trampoline_kernelINS0_14default_configENS1_25partition_config_selectorILNS1_17partition_subalgoE6EiNS0_10empty_typeEbEEZZNS1_14partition_implILS5_6ELb0ES3_mN6thrust23THRUST_200600_302600_NS6detail15normal_iteratorINSA_10device_ptrIiEEEEPS6_SG_NS0_5tupleIJSF_S6_EEENSH_IJSG_SG_EEES6_PlJNSB_9not_fun_tINSB_10functional5actorINSM_9compositeIJNSM_27transparent_binary_operatorINSA_8equal_toIvEEEENSN_INSM_8argumentILj0EEEEENSM_5valueIiEEEEEEEEEEEE10hipError_tPvRmT3_T4_T5_T6_T7_T9_mT8_P12ihipStream_tbDpT10_ENKUlT_T0_E_clISt17integral_constantIbLb0EES1J_IbLb1EEEEDaS1F_S1G_EUlS1F_E_NS1_11comp_targetILNS1_3genE0ELNS1_11target_archE4294967295ELNS1_3gpuE0ELNS1_3repE0EEENS1_30default_config_static_selectorELNS0_4arch9wavefront6targetE0EEEvT1_.has_dyn_sized_stack, 0
	.set _ZN7rocprim17ROCPRIM_400000_NS6detail17trampoline_kernelINS0_14default_configENS1_25partition_config_selectorILNS1_17partition_subalgoE6EiNS0_10empty_typeEbEEZZNS1_14partition_implILS5_6ELb0ES3_mN6thrust23THRUST_200600_302600_NS6detail15normal_iteratorINSA_10device_ptrIiEEEEPS6_SG_NS0_5tupleIJSF_S6_EEENSH_IJSG_SG_EEES6_PlJNSB_9not_fun_tINSB_10functional5actorINSM_9compositeIJNSM_27transparent_binary_operatorINSA_8equal_toIvEEEENSN_INSM_8argumentILj0EEEEENSM_5valueIiEEEEEEEEEEEE10hipError_tPvRmT3_T4_T5_T6_T7_T9_mT8_P12ihipStream_tbDpT10_ENKUlT_T0_E_clISt17integral_constantIbLb0EES1J_IbLb1EEEEDaS1F_S1G_EUlS1F_E_NS1_11comp_targetILNS1_3genE0ELNS1_11target_archE4294967295ELNS1_3gpuE0ELNS1_3repE0EEENS1_30default_config_static_selectorELNS0_4arch9wavefront6targetE0EEEvT1_.has_recursion, 0
	.set _ZN7rocprim17ROCPRIM_400000_NS6detail17trampoline_kernelINS0_14default_configENS1_25partition_config_selectorILNS1_17partition_subalgoE6EiNS0_10empty_typeEbEEZZNS1_14partition_implILS5_6ELb0ES3_mN6thrust23THRUST_200600_302600_NS6detail15normal_iteratorINSA_10device_ptrIiEEEEPS6_SG_NS0_5tupleIJSF_S6_EEENSH_IJSG_SG_EEES6_PlJNSB_9not_fun_tINSB_10functional5actorINSM_9compositeIJNSM_27transparent_binary_operatorINSA_8equal_toIvEEEENSN_INSM_8argumentILj0EEEEENSM_5valueIiEEEEEEEEEEEE10hipError_tPvRmT3_T4_T5_T6_T7_T9_mT8_P12ihipStream_tbDpT10_ENKUlT_T0_E_clISt17integral_constantIbLb0EES1J_IbLb1EEEEDaS1F_S1G_EUlS1F_E_NS1_11comp_targetILNS1_3genE0ELNS1_11target_archE4294967295ELNS1_3gpuE0ELNS1_3repE0EEENS1_30default_config_static_selectorELNS0_4arch9wavefront6targetE0EEEvT1_.has_indirect_call, 0
	.section	.AMDGPU.csdata,"",@progbits
; Kernel info:
; codeLenInByte = 0
; TotalNumSgprs: 0
; NumVgprs: 0
; ScratchSize: 0
; MemoryBound: 0
; FloatMode: 240
; IeeeMode: 1
; LDSByteSize: 0 bytes/workgroup (compile time only)
; SGPRBlocks: 0
; VGPRBlocks: 0
; NumSGPRsForWavesPerEU: 1
; NumVGPRsForWavesPerEU: 1
; Occupancy: 16
; WaveLimiterHint : 0
; COMPUTE_PGM_RSRC2:SCRATCH_EN: 0
; COMPUTE_PGM_RSRC2:USER_SGPR: 2
; COMPUTE_PGM_RSRC2:TRAP_HANDLER: 0
; COMPUTE_PGM_RSRC2:TGID_X_EN: 1
; COMPUTE_PGM_RSRC2:TGID_Y_EN: 0
; COMPUTE_PGM_RSRC2:TGID_Z_EN: 0
; COMPUTE_PGM_RSRC2:TIDIG_COMP_CNT: 0
	.section	.text._ZN7rocprim17ROCPRIM_400000_NS6detail17trampoline_kernelINS0_14default_configENS1_25partition_config_selectorILNS1_17partition_subalgoE6EiNS0_10empty_typeEbEEZZNS1_14partition_implILS5_6ELb0ES3_mN6thrust23THRUST_200600_302600_NS6detail15normal_iteratorINSA_10device_ptrIiEEEEPS6_SG_NS0_5tupleIJSF_S6_EEENSH_IJSG_SG_EEES6_PlJNSB_9not_fun_tINSB_10functional5actorINSM_9compositeIJNSM_27transparent_binary_operatorINSA_8equal_toIvEEEENSN_INSM_8argumentILj0EEEEENSM_5valueIiEEEEEEEEEEEE10hipError_tPvRmT3_T4_T5_T6_T7_T9_mT8_P12ihipStream_tbDpT10_ENKUlT_T0_E_clISt17integral_constantIbLb0EES1J_IbLb1EEEEDaS1F_S1G_EUlS1F_E_NS1_11comp_targetILNS1_3genE5ELNS1_11target_archE942ELNS1_3gpuE9ELNS1_3repE0EEENS1_30default_config_static_selectorELNS0_4arch9wavefront6targetE0EEEvT1_,"axG",@progbits,_ZN7rocprim17ROCPRIM_400000_NS6detail17trampoline_kernelINS0_14default_configENS1_25partition_config_selectorILNS1_17partition_subalgoE6EiNS0_10empty_typeEbEEZZNS1_14partition_implILS5_6ELb0ES3_mN6thrust23THRUST_200600_302600_NS6detail15normal_iteratorINSA_10device_ptrIiEEEEPS6_SG_NS0_5tupleIJSF_S6_EEENSH_IJSG_SG_EEES6_PlJNSB_9not_fun_tINSB_10functional5actorINSM_9compositeIJNSM_27transparent_binary_operatorINSA_8equal_toIvEEEENSN_INSM_8argumentILj0EEEEENSM_5valueIiEEEEEEEEEEEE10hipError_tPvRmT3_T4_T5_T6_T7_T9_mT8_P12ihipStream_tbDpT10_ENKUlT_T0_E_clISt17integral_constantIbLb0EES1J_IbLb1EEEEDaS1F_S1G_EUlS1F_E_NS1_11comp_targetILNS1_3genE5ELNS1_11target_archE942ELNS1_3gpuE9ELNS1_3repE0EEENS1_30default_config_static_selectorELNS0_4arch9wavefront6targetE0EEEvT1_,comdat
	.protected	_ZN7rocprim17ROCPRIM_400000_NS6detail17trampoline_kernelINS0_14default_configENS1_25partition_config_selectorILNS1_17partition_subalgoE6EiNS0_10empty_typeEbEEZZNS1_14partition_implILS5_6ELb0ES3_mN6thrust23THRUST_200600_302600_NS6detail15normal_iteratorINSA_10device_ptrIiEEEEPS6_SG_NS0_5tupleIJSF_S6_EEENSH_IJSG_SG_EEES6_PlJNSB_9not_fun_tINSB_10functional5actorINSM_9compositeIJNSM_27transparent_binary_operatorINSA_8equal_toIvEEEENSN_INSM_8argumentILj0EEEEENSM_5valueIiEEEEEEEEEEEE10hipError_tPvRmT3_T4_T5_T6_T7_T9_mT8_P12ihipStream_tbDpT10_ENKUlT_T0_E_clISt17integral_constantIbLb0EES1J_IbLb1EEEEDaS1F_S1G_EUlS1F_E_NS1_11comp_targetILNS1_3genE5ELNS1_11target_archE942ELNS1_3gpuE9ELNS1_3repE0EEENS1_30default_config_static_selectorELNS0_4arch9wavefront6targetE0EEEvT1_ ; -- Begin function _ZN7rocprim17ROCPRIM_400000_NS6detail17trampoline_kernelINS0_14default_configENS1_25partition_config_selectorILNS1_17partition_subalgoE6EiNS0_10empty_typeEbEEZZNS1_14partition_implILS5_6ELb0ES3_mN6thrust23THRUST_200600_302600_NS6detail15normal_iteratorINSA_10device_ptrIiEEEEPS6_SG_NS0_5tupleIJSF_S6_EEENSH_IJSG_SG_EEES6_PlJNSB_9not_fun_tINSB_10functional5actorINSM_9compositeIJNSM_27transparent_binary_operatorINSA_8equal_toIvEEEENSN_INSM_8argumentILj0EEEEENSM_5valueIiEEEEEEEEEEEE10hipError_tPvRmT3_T4_T5_T6_T7_T9_mT8_P12ihipStream_tbDpT10_ENKUlT_T0_E_clISt17integral_constantIbLb0EES1J_IbLb1EEEEDaS1F_S1G_EUlS1F_E_NS1_11comp_targetILNS1_3genE5ELNS1_11target_archE942ELNS1_3gpuE9ELNS1_3repE0EEENS1_30default_config_static_selectorELNS0_4arch9wavefront6targetE0EEEvT1_
	.globl	_ZN7rocprim17ROCPRIM_400000_NS6detail17trampoline_kernelINS0_14default_configENS1_25partition_config_selectorILNS1_17partition_subalgoE6EiNS0_10empty_typeEbEEZZNS1_14partition_implILS5_6ELb0ES3_mN6thrust23THRUST_200600_302600_NS6detail15normal_iteratorINSA_10device_ptrIiEEEEPS6_SG_NS0_5tupleIJSF_S6_EEENSH_IJSG_SG_EEES6_PlJNSB_9not_fun_tINSB_10functional5actorINSM_9compositeIJNSM_27transparent_binary_operatorINSA_8equal_toIvEEEENSN_INSM_8argumentILj0EEEEENSM_5valueIiEEEEEEEEEEEE10hipError_tPvRmT3_T4_T5_T6_T7_T9_mT8_P12ihipStream_tbDpT10_ENKUlT_T0_E_clISt17integral_constantIbLb0EES1J_IbLb1EEEEDaS1F_S1G_EUlS1F_E_NS1_11comp_targetILNS1_3genE5ELNS1_11target_archE942ELNS1_3gpuE9ELNS1_3repE0EEENS1_30default_config_static_selectorELNS0_4arch9wavefront6targetE0EEEvT1_
	.p2align	8
	.type	_ZN7rocprim17ROCPRIM_400000_NS6detail17trampoline_kernelINS0_14default_configENS1_25partition_config_selectorILNS1_17partition_subalgoE6EiNS0_10empty_typeEbEEZZNS1_14partition_implILS5_6ELb0ES3_mN6thrust23THRUST_200600_302600_NS6detail15normal_iteratorINSA_10device_ptrIiEEEEPS6_SG_NS0_5tupleIJSF_S6_EEENSH_IJSG_SG_EEES6_PlJNSB_9not_fun_tINSB_10functional5actorINSM_9compositeIJNSM_27transparent_binary_operatorINSA_8equal_toIvEEEENSN_INSM_8argumentILj0EEEEENSM_5valueIiEEEEEEEEEEEE10hipError_tPvRmT3_T4_T5_T6_T7_T9_mT8_P12ihipStream_tbDpT10_ENKUlT_T0_E_clISt17integral_constantIbLb0EES1J_IbLb1EEEEDaS1F_S1G_EUlS1F_E_NS1_11comp_targetILNS1_3genE5ELNS1_11target_archE942ELNS1_3gpuE9ELNS1_3repE0EEENS1_30default_config_static_selectorELNS0_4arch9wavefront6targetE0EEEvT1_,@function
_ZN7rocprim17ROCPRIM_400000_NS6detail17trampoline_kernelINS0_14default_configENS1_25partition_config_selectorILNS1_17partition_subalgoE6EiNS0_10empty_typeEbEEZZNS1_14partition_implILS5_6ELb0ES3_mN6thrust23THRUST_200600_302600_NS6detail15normal_iteratorINSA_10device_ptrIiEEEEPS6_SG_NS0_5tupleIJSF_S6_EEENSH_IJSG_SG_EEES6_PlJNSB_9not_fun_tINSB_10functional5actorINSM_9compositeIJNSM_27transparent_binary_operatorINSA_8equal_toIvEEEENSN_INSM_8argumentILj0EEEEENSM_5valueIiEEEEEEEEEEEE10hipError_tPvRmT3_T4_T5_T6_T7_T9_mT8_P12ihipStream_tbDpT10_ENKUlT_T0_E_clISt17integral_constantIbLb0EES1J_IbLb1EEEEDaS1F_S1G_EUlS1F_E_NS1_11comp_targetILNS1_3genE5ELNS1_11target_archE942ELNS1_3gpuE9ELNS1_3repE0EEENS1_30default_config_static_selectorELNS0_4arch9wavefront6targetE0EEEvT1_: ; @_ZN7rocprim17ROCPRIM_400000_NS6detail17trampoline_kernelINS0_14default_configENS1_25partition_config_selectorILNS1_17partition_subalgoE6EiNS0_10empty_typeEbEEZZNS1_14partition_implILS5_6ELb0ES3_mN6thrust23THRUST_200600_302600_NS6detail15normal_iteratorINSA_10device_ptrIiEEEEPS6_SG_NS0_5tupleIJSF_S6_EEENSH_IJSG_SG_EEES6_PlJNSB_9not_fun_tINSB_10functional5actorINSM_9compositeIJNSM_27transparent_binary_operatorINSA_8equal_toIvEEEENSN_INSM_8argumentILj0EEEEENSM_5valueIiEEEEEEEEEEEE10hipError_tPvRmT3_T4_T5_T6_T7_T9_mT8_P12ihipStream_tbDpT10_ENKUlT_T0_E_clISt17integral_constantIbLb0EES1J_IbLb1EEEEDaS1F_S1G_EUlS1F_E_NS1_11comp_targetILNS1_3genE5ELNS1_11target_archE942ELNS1_3gpuE9ELNS1_3repE0EEENS1_30default_config_static_selectorELNS0_4arch9wavefront6targetE0EEEvT1_
; %bb.0:
	.section	.rodata,"a",@progbits
	.p2align	6, 0x0
	.amdhsa_kernel _ZN7rocprim17ROCPRIM_400000_NS6detail17trampoline_kernelINS0_14default_configENS1_25partition_config_selectorILNS1_17partition_subalgoE6EiNS0_10empty_typeEbEEZZNS1_14partition_implILS5_6ELb0ES3_mN6thrust23THRUST_200600_302600_NS6detail15normal_iteratorINSA_10device_ptrIiEEEEPS6_SG_NS0_5tupleIJSF_S6_EEENSH_IJSG_SG_EEES6_PlJNSB_9not_fun_tINSB_10functional5actorINSM_9compositeIJNSM_27transparent_binary_operatorINSA_8equal_toIvEEEENSN_INSM_8argumentILj0EEEEENSM_5valueIiEEEEEEEEEEEE10hipError_tPvRmT3_T4_T5_T6_T7_T9_mT8_P12ihipStream_tbDpT10_ENKUlT_T0_E_clISt17integral_constantIbLb0EES1J_IbLb1EEEEDaS1F_S1G_EUlS1F_E_NS1_11comp_targetILNS1_3genE5ELNS1_11target_archE942ELNS1_3gpuE9ELNS1_3repE0EEENS1_30default_config_static_selectorELNS0_4arch9wavefront6targetE0EEEvT1_
		.amdhsa_group_segment_fixed_size 0
		.amdhsa_private_segment_fixed_size 0
		.amdhsa_kernarg_size 128
		.amdhsa_user_sgpr_count 2
		.amdhsa_user_sgpr_dispatch_ptr 0
		.amdhsa_user_sgpr_queue_ptr 0
		.amdhsa_user_sgpr_kernarg_segment_ptr 1
		.amdhsa_user_sgpr_dispatch_id 0
		.amdhsa_user_sgpr_private_segment_size 0
		.amdhsa_wavefront_size32 1
		.amdhsa_uses_dynamic_stack 0
		.amdhsa_enable_private_segment 0
		.amdhsa_system_sgpr_workgroup_id_x 1
		.amdhsa_system_sgpr_workgroup_id_y 0
		.amdhsa_system_sgpr_workgroup_id_z 0
		.amdhsa_system_sgpr_workgroup_info 0
		.amdhsa_system_vgpr_workitem_id 0
		.amdhsa_next_free_vgpr 1
		.amdhsa_next_free_sgpr 1
		.amdhsa_reserve_vcc 0
		.amdhsa_float_round_mode_32 0
		.amdhsa_float_round_mode_16_64 0
		.amdhsa_float_denorm_mode_32 3
		.amdhsa_float_denorm_mode_16_64 3
		.amdhsa_fp16_overflow 0
		.amdhsa_workgroup_processor_mode 1
		.amdhsa_memory_ordered 1
		.amdhsa_forward_progress 1
		.amdhsa_inst_pref_size 0
		.amdhsa_round_robin_scheduling 0
		.amdhsa_exception_fp_ieee_invalid_op 0
		.amdhsa_exception_fp_denorm_src 0
		.amdhsa_exception_fp_ieee_div_zero 0
		.amdhsa_exception_fp_ieee_overflow 0
		.amdhsa_exception_fp_ieee_underflow 0
		.amdhsa_exception_fp_ieee_inexact 0
		.amdhsa_exception_int_div_zero 0
	.end_amdhsa_kernel
	.section	.text._ZN7rocprim17ROCPRIM_400000_NS6detail17trampoline_kernelINS0_14default_configENS1_25partition_config_selectorILNS1_17partition_subalgoE6EiNS0_10empty_typeEbEEZZNS1_14partition_implILS5_6ELb0ES3_mN6thrust23THRUST_200600_302600_NS6detail15normal_iteratorINSA_10device_ptrIiEEEEPS6_SG_NS0_5tupleIJSF_S6_EEENSH_IJSG_SG_EEES6_PlJNSB_9not_fun_tINSB_10functional5actorINSM_9compositeIJNSM_27transparent_binary_operatorINSA_8equal_toIvEEEENSN_INSM_8argumentILj0EEEEENSM_5valueIiEEEEEEEEEEEE10hipError_tPvRmT3_T4_T5_T6_T7_T9_mT8_P12ihipStream_tbDpT10_ENKUlT_T0_E_clISt17integral_constantIbLb0EES1J_IbLb1EEEEDaS1F_S1G_EUlS1F_E_NS1_11comp_targetILNS1_3genE5ELNS1_11target_archE942ELNS1_3gpuE9ELNS1_3repE0EEENS1_30default_config_static_selectorELNS0_4arch9wavefront6targetE0EEEvT1_,"axG",@progbits,_ZN7rocprim17ROCPRIM_400000_NS6detail17trampoline_kernelINS0_14default_configENS1_25partition_config_selectorILNS1_17partition_subalgoE6EiNS0_10empty_typeEbEEZZNS1_14partition_implILS5_6ELb0ES3_mN6thrust23THRUST_200600_302600_NS6detail15normal_iteratorINSA_10device_ptrIiEEEEPS6_SG_NS0_5tupleIJSF_S6_EEENSH_IJSG_SG_EEES6_PlJNSB_9not_fun_tINSB_10functional5actorINSM_9compositeIJNSM_27transparent_binary_operatorINSA_8equal_toIvEEEENSN_INSM_8argumentILj0EEEEENSM_5valueIiEEEEEEEEEEEE10hipError_tPvRmT3_T4_T5_T6_T7_T9_mT8_P12ihipStream_tbDpT10_ENKUlT_T0_E_clISt17integral_constantIbLb0EES1J_IbLb1EEEEDaS1F_S1G_EUlS1F_E_NS1_11comp_targetILNS1_3genE5ELNS1_11target_archE942ELNS1_3gpuE9ELNS1_3repE0EEENS1_30default_config_static_selectorELNS0_4arch9wavefront6targetE0EEEvT1_,comdat
.Lfunc_end236:
	.size	_ZN7rocprim17ROCPRIM_400000_NS6detail17trampoline_kernelINS0_14default_configENS1_25partition_config_selectorILNS1_17partition_subalgoE6EiNS0_10empty_typeEbEEZZNS1_14partition_implILS5_6ELb0ES3_mN6thrust23THRUST_200600_302600_NS6detail15normal_iteratorINSA_10device_ptrIiEEEEPS6_SG_NS0_5tupleIJSF_S6_EEENSH_IJSG_SG_EEES6_PlJNSB_9not_fun_tINSB_10functional5actorINSM_9compositeIJNSM_27transparent_binary_operatorINSA_8equal_toIvEEEENSN_INSM_8argumentILj0EEEEENSM_5valueIiEEEEEEEEEEEE10hipError_tPvRmT3_T4_T5_T6_T7_T9_mT8_P12ihipStream_tbDpT10_ENKUlT_T0_E_clISt17integral_constantIbLb0EES1J_IbLb1EEEEDaS1F_S1G_EUlS1F_E_NS1_11comp_targetILNS1_3genE5ELNS1_11target_archE942ELNS1_3gpuE9ELNS1_3repE0EEENS1_30default_config_static_selectorELNS0_4arch9wavefront6targetE0EEEvT1_, .Lfunc_end236-_ZN7rocprim17ROCPRIM_400000_NS6detail17trampoline_kernelINS0_14default_configENS1_25partition_config_selectorILNS1_17partition_subalgoE6EiNS0_10empty_typeEbEEZZNS1_14partition_implILS5_6ELb0ES3_mN6thrust23THRUST_200600_302600_NS6detail15normal_iteratorINSA_10device_ptrIiEEEEPS6_SG_NS0_5tupleIJSF_S6_EEENSH_IJSG_SG_EEES6_PlJNSB_9not_fun_tINSB_10functional5actorINSM_9compositeIJNSM_27transparent_binary_operatorINSA_8equal_toIvEEEENSN_INSM_8argumentILj0EEEEENSM_5valueIiEEEEEEEEEEEE10hipError_tPvRmT3_T4_T5_T6_T7_T9_mT8_P12ihipStream_tbDpT10_ENKUlT_T0_E_clISt17integral_constantIbLb0EES1J_IbLb1EEEEDaS1F_S1G_EUlS1F_E_NS1_11comp_targetILNS1_3genE5ELNS1_11target_archE942ELNS1_3gpuE9ELNS1_3repE0EEENS1_30default_config_static_selectorELNS0_4arch9wavefront6targetE0EEEvT1_
                                        ; -- End function
	.set _ZN7rocprim17ROCPRIM_400000_NS6detail17trampoline_kernelINS0_14default_configENS1_25partition_config_selectorILNS1_17partition_subalgoE6EiNS0_10empty_typeEbEEZZNS1_14partition_implILS5_6ELb0ES3_mN6thrust23THRUST_200600_302600_NS6detail15normal_iteratorINSA_10device_ptrIiEEEEPS6_SG_NS0_5tupleIJSF_S6_EEENSH_IJSG_SG_EEES6_PlJNSB_9not_fun_tINSB_10functional5actorINSM_9compositeIJNSM_27transparent_binary_operatorINSA_8equal_toIvEEEENSN_INSM_8argumentILj0EEEEENSM_5valueIiEEEEEEEEEEEE10hipError_tPvRmT3_T4_T5_T6_T7_T9_mT8_P12ihipStream_tbDpT10_ENKUlT_T0_E_clISt17integral_constantIbLb0EES1J_IbLb1EEEEDaS1F_S1G_EUlS1F_E_NS1_11comp_targetILNS1_3genE5ELNS1_11target_archE942ELNS1_3gpuE9ELNS1_3repE0EEENS1_30default_config_static_selectorELNS0_4arch9wavefront6targetE0EEEvT1_.num_vgpr, 0
	.set _ZN7rocprim17ROCPRIM_400000_NS6detail17trampoline_kernelINS0_14default_configENS1_25partition_config_selectorILNS1_17partition_subalgoE6EiNS0_10empty_typeEbEEZZNS1_14partition_implILS5_6ELb0ES3_mN6thrust23THRUST_200600_302600_NS6detail15normal_iteratorINSA_10device_ptrIiEEEEPS6_SG_NS0_5tupleIJSF_S6_EEENSH_IJSG_SG_EEES6_PlJNSB_9not_fun_tINSB_10functional5actorINSM_9compositeIJNSM_27transparent_binary_operatorINSA_8equal_toIvEEEENSN_INSM_8argumentILj0EEEEENSM_5valueIiEEEEEEEEEEEE10hipError_tPvRmT3_T4_T5_T6_T7_T9_mT8_P12ihipStream_tbDpT10_ENKUlT_T0_E_clISt17integral_constantIbLb0EES1J_IbLb1EEEEDaS1F_S1G_EUlS1F_E_NS1_11comp_targetILNS1_3genE5ELNS1_11target_archE942ELNS1_3gpuE9ELNS1_3repE0EEENS1_30default_config_static_selectorELNS0_4arch9wavefront6targetE0EEEvT1_.num_agpr, 0
	.set _ZN7rocprim17ROCPRIM_400000_NS6detail17trampoline_kernelINS0_14default_configENS1_25partition_config_selectorILNS1_17partition_subalgoE6EiNS0_10empty_typeEbEEZZNS1_14partition_implILS5_6ELb0ES3_mN6thrust23THRUST_200600_302600_NS6detail15normal_iteratorINSA_10device_ptrIiEEEEPS6_SG_NS0_5tupleIJSF_S6_EEENSH_IJSG_SG_EEES6_PlJNSB_9not_fun_tINSB_10functional5actorINSM_9compositeIJNSM_27transparent_binary_operatorINSA_8equal_toIvEEEENSN_INSM_8argumentILj0EEEEENSM_5valueIiEEEEEEEEEEEE10hipError_tPvRmT3_T4_T5_T6_T7_T9_mT8_P12ihipStream_tbDpT10_ENKUlT_T0_E_clISt17integral_constantIbLb0EES1J_IbLb1EEEEDaS1F_S1G_EUlS1F_E_NS1_11comp_targetILNS1_3genE5ELNS1_11target_archE942ELNS1_3gpuE9ELNS1_3repE0EEENS1_30default_config_static_selectorELNS0_4arch9wavefront6targetE0EEEvT1_.numbered_sgpr, 0
	.set _ZN7rocprim17ROCPRIM_400000_NS6detail17trampoline_kernelINS0_14default_configENS1_25partition_config_selectorILNS1_17partition_subalgoE6EiNS0_10empty_typeEbEEZZNS1_14partition_implILS5_6ELb0ES3_mN6thrust23THRUST_200600_302600_NS6detail15normal_iteratorINSA_10device_ptrIiEEEEPS6_SG_NS0_5tupleIJSF_S6_EEENSH_IJSG_SG_EEES6_PlJNSB_9not_fun_tINSB_10functional5actorINSM_9compositeIJNSM_27transparent_binary_operatorINSA_8equal_toIvEEEENSN_INSM_8argumentILj0EEEEENSM_5valueIiEEEEEEEEEEEE10hipError_tPvRmT3_T4_T5_T6_T7_T9_mT8_P12ihipStream_tbDpT10_ENKUlT_T0_E_clISt17integral_constantIbLb0EES1J_IbLb1EEEEDaS1F_S1G_EUlS1F_E_NS1_11comp_targetILNS1_3genE5ELNS1_11target_archE942ELNS1_3gpuE9ELNS1_3repE0EEENS1_30default_config_static_selectorELNS0_4arch9wavefront6targetE0EEEvT1_.num_named_barrier, 0
	.set _ZN7rocprim17ROCPRIM_400000_NS6detail17trampoline_kernelINS0_14default_configENS1_25partition_config_selectorILNS1_17partition_subalgoE6EiNS0_10empty_typeEbEEZZNS1_14partition_implILS5_6ELb0ES3_mN6thrust23THRUST_200600_302600_NS6detail15normal_iteratorINSA_10device_ptrIiEEEEPS6_SG_NS0_5tupleIJSF_S6_EEENSH_IJSG_SG_EEES6_PlJNSB_9not_fun_tINSB_10functional5actorINSM_9compositeIJNSM_27transparent_binary_operatorINSA_8equal_toIvEEEENSN_INSM_8argumentILj0EEEEENSM_5valueIiEEEEEEEEEEEE10hipError_tPvRmT3_T4_T5_T6_T7_T9_mT8_P12ihipStream_tbDpT10_ENKUlT_T0_E_clISt17integral_constantIbLb0EES1J_IbLb1EEEEDaS1F_S1G_EUlS1F_E_NS1_11comp_targetILNS1_3genE5ELNS1_11target_archE942ELNS1_3gpuE9ELNS1_3repE0EEENS1_30default_config_static_selectorELNS0_4arch9wavefront6targetE0EEEvT1_.private_seg_size, 0
	.set _ZN7rocprim17ROCPRIM_400000_NS6detail17trampoline_kernelINS0_14default_configENS1_25partition_config_selectorILNS1_17partition_subalgoE6EiNS0_10empty_typeEbEEZZNS1_14partition_implILS5_6ELb0ES3_mN6thrust23THRUST_200600_302600_NS6detail15normal_iteratorINSA_10device_ptrIiEEEEPS6_SG_NS0_5tupleIJSF_S6_EEENSH_IJSG_SG_EEES6_PlJNSB_9not_fun_tINSB_10functional5actorINSM_9compositeIJNSM_27transparent_binary_operatorINSA_8equal_toIvEEEENSN_INSM_8argumentILj0EEEEENSM_5valueIiEEEEEEEEEEEE10hipError_tPvRmT3_T4_T5_T6_T7_T9_mT8_P12ihipStream_tbDpT10_ENKUlT_T0_E_clISt17integral_constantIbLb0EES1J_IbLb1EEEEDaS1F_S1G_EUlS1F_E_NS1_11comp_targetILNS1_3genE5ELNS1_11target_archE942ELNS1_3gpuE9ELNS1_3repE0EEENS1_30default_config_static_selectorELNS0_4arch9wavefront6targetE0EEEvT1_.uses_vcc, 0
	.set _ZN7rocprim17ROCPRIM_400000_NS6detail17trampoline_kernelINS0_14default_configENS1_25partition_config_selectorILNS1_17partition_subalgoE6EiNS0_10empty_typeEbEEZZNS1_14partition_implILS5_6ELb0ES3_mN6thrust23THRUST_200600_302600_NS6detail15normal_iteratorINSA_10device_ptrIiEEEEPS6_SG_NS0_5tupleIJSF_S6_EEENSH_IJSG_SG_EEES6_PlJNSB_9not_fun_tINSB_10functional5actorINSM_9compositeIJNSM_27transparent_binary_operatorINSA_8equal_toIvEEEENSN_INSM_8argumentILj0EEEEENSM_5valueIiEEEEEEEEEEEE10hipError_tPvRmT3_T4_T5_T6_T7_T9_mT8_P12ihipStream_tbDpT10_ENKUlT_T0_E_clISt17integral_constantIbLb0EES1J_IbLb1EEEEDaS1F_S1G_EUlS1F_E_NS1_11comp_targetILNS1_3genE5ELNS1_11target_archE942ELNS1_3gpuE9ELNS1_3repE0EEENS1_30default_config_static_selectorELNS0_4arch9wavefront6targetE0EEEvT1_.uses_flat_scratch, 0
	.set _ZN7rocprim17ROCPRIM_400000_NS6detail17trampoline_kernelINS0_14default_configENS1_25partition_config_selectorILNS1_17partition_subalgoE6EiNS0_10empty_typeEbEEZZNS1_14partition_implILS5_6ELb0ES3_mN6thrust23THRUST_200600_302600_NS6detail15normal_iteratorINSA_10device_ptrIiEEEEPS6_SG_NS0_5tupleIJSF_S6_EEENSH_IJSG_SG_EEES6_PlJNSB_9not_fun_tINSB_10functional5actorINSM_9compositeIJNSM_27transparent_binary_operatorINSA_8equal_toIvEEEENSN_INSM_8argumentILj0EEEEENSM_5valueIiEEEEEEEEEEEE10hipError_tPvRmT3_T4_T5_T6_T7_T9_mT8_P12ihipStream_tbDpT10_ENKUlT_T0_E_clISt17integral_constantIbLb0EES1J_IbLb1EEEEDaS1F_S1G_EUlS1F_E_NS1_11comp_targetILNS1_3genE5ELNS1_11target_archE942ELNS1_3gpuE9ELNS1_3repE0EEENS1_30default_config_static_selectorELNS0_4arch9wavefront6targetE0EEEvT1_.has_dyn_sized_stack, 0
	.set _ZN7rocprim17ROCPRIM_400000_NS6detail17trampoline_kernelINS0_14default_configENS1_25partition_config_selectorILNS1_17partition_subalgoE6EiNS0_10empty_typeEbEEZZNS1_14partition_implILS5_6ELb0ES3_mN6thrust23THRUST_200600_302600_NS6detail15normal_iteratorINSA_10device_ptrIiEEEEPS6_SG_NS0_5tupleIJSF_S6_EEENSH_IJSG_SG_EEES6_PlJNSB_9not_fun_tINSB_10functional5actorINSM_9compositeIJNSM_27transparent_binary_operatorINSA_8equal_toIvEEEENSN_INSM_8argumentILj0EEEEENSM_5valueIiEEEEEEEEEEEE10hipError_tPvRmT3_T4_T5_T6_T7_T9_mT8_P12ihipStream_tbDpT10_ENKUlT_T0_E_clISt17integral_constantIbLb0EES1J_IbLb1EEEEDaS1F_S1G_EUlS1F_E_NS1_11comp_targetILNS1_3genE5ELNS1_11target_archE942ELNS1_3gpuE9ELNS1_3repE0EEENS1_30default_config_static_selectorELNS0_4arch9wavefront6targetE0EEEvT1_.has_recursion, 0
	.set _ZN7rocprim17ROCPRIM_400000_NS6detail17trampoline_kernelINS0_14default_configENS1_25partition_config_selectorILNS1_17partition_subalgoE6EiNS0_10empty_typeEbEEZZNS1_14partition_implILS5_6ELb0ES3_mN6thrust23THRUST_200600_302600_NS6detail15normal_iteratorINSA_10device_ptrIiEEEEPS6_SG_NS0_5tupleIJSF_S6_EEENSH_IJSG_SG_EEES6_PlJNSB_9not_fun_tINSB_10functional5actorINSM_9compositeIJNSM_27transparent_binary_operatorINSA_8equal_toIvEEEENSN_INSM_8argumentILj0EEEEENSM_5valueIiEEEEEEEEEEEE10hipError_tPvRmT3_T4_T5_T6_T7_T9_mT8_P12ihipStream_tbDpT10_ENKUlT_T0_E_clISt17integral_constantIbLb0EES1J_IbLb1EEEEDaS1F_S1G_EUlS1F_E_NS1_11comp_targetILNS1_3genE5ELNS1_11target_archE942ELNS1_3gpuE9ELNS1_3repE0EEENS1_30default_config_static_selectorELNS0_4arch9wavefront6targetE0EEEvT1_.has_indirect_call, 0
	.section	.AMDGPU.csdata,"",@progbits
; Kernel info:
; codeLenInByte = 0
; TotalNumSgprs: 0
; NumVgprs: 0
; ScratchSize: 0
; MemoryBound: 0
; FloatMode: 240
; IeeeMode: 1
; LDSByteSize: 0 bytes/workgroup (compile time only)
; SGPRBlocks: 0
; VGPRBlocks: 0
; NumSGPRsForWavesPerEU: 1
; NumVGPRsForWavesPerEU: 1
; Occupancy: 16
; WaveLimiterHint : 0
; COMPUTE_PGM_RSRC2:SCRATCH_EN: 0
; COMPUTE_PGM_RSRC2:USER_SGPR: 2
; COMPUTE_PGM_RSRC2:TRAP_HANDLER: 0
; COMPUTE_PGM_RSRC2:TGID_X_EN: 1
; COMPUTE_PGM_RSRC2:TGID_Y_EN: 0
; COMPUTE_PGM_RSRC2:TGID_Z_EN: 0
; COMPUTE_PGM_RSRC2:TIDIG_COMP_CNT: 0
	.section	.text._ZN7rocprim17ROCPRIM_400000_NS6detail17trampoline_kernelINS0_14default_configENS1_25partition_config_selectorILNS1_17partition_subalgoE6EiNS0_10empty_typeEbEEZZNS1_14partition_implILS5_6ELb0ES3_mN6thrust23THRUST_200600_302600_NS6detail15normal_iteratorINSA_10device_ptrIiEEEEPS6_SG_NS0_5tupleIJSF_S6_EEENSH_IJSG_SG_EEES6_PlJNSB_9not_fun_tINSB_10functional5actorINSM_9compositeIJNSM_27transparent_binary_operatorINSA_8equal_toIvEEEENSN_INSM_8argumentILj0EEEEENSM_5valueIiEEEEEEEEEEEE10hipError_tPvRmT3_T4_T5_T6_T7_T9_mT8_P12ihipStream_tbDpT10_ENKUlT_T0_E_clISt17integral_constantIbLb0EES1J_IbLb1EEEEDaS1F_S1G_EUlS1F_E_NS1_11comp_targetILNS1_3genE4ELNS1_11target_archE910ELNS1_3gpuE8ELNS1_3repE0EEENS1_30default_config_static_selectorELNS0_4arch9wavefront6targetE0EEEvT1_,"axG",@progbits,_ZN7rocprim17ROCPRIM_400000_NS6detail17trampoline_kernelINS0_14default_configENS1_25partition_config_selectorILNS1_17partition_subalgoE6EiNS0_10empty_typeEbEEZZNS1_14partition_implILS5_6ELb0ES3_mN6thrust23THRUST_200600_302600_NS6detail15normal_iteratorINSA_10device_ptrIiEEEEPS6_SG_NS0_5tupleIJSF_S6_EEENSH_IJSG_SG_EEES6_PlJNSB_9not_fun_tINSB_10functional5actorINSM_9compositeIJNSM_27transparent_binary_operatorINSA_8equal_toIvEEEENSN_INSM_8argumentILj0EEEEENSM_5valueIiEEEEEEEEEEEE10hipError_tPvRmT3_T4_T5_T6_T7_T9_mT8_P12ihipStream_tbDpT10_ENKUlT_T0_E_clISt17integral_constantIbLb0EES1J_IbLb1EEEEDaS1F_S1G_EUlS1F_E_NS1_11comp_targetILNS1_3genE4ELNS1_11target_archE910ELNS1_3gpuE8ELNS1_3repE0EEENS1_30default_config_static_selectorELNS0_4arch9wavefront6targetE0EEEvT1_,comdat
	.protected	_ZN7rocprim17ROCPRIM_400000_NS6detail17trampoline_kernelINS0_14default_configENS1_25partition_config_selectorILNS1_17partition_subalgoE6EiNS0_10empty_typeEbEEZZNS1_14partition_implILS5_6ELb0ES3_mN6thrust23THRUST_200600_302600_NS6detail15normal_iteratorINSA_10device_ptrIiEEEEPS6_SG_NS0_5tupleIJSF_S6_EEENSH_IJSG_SG_EEES6_PlJNSB_9not_fun_tINSB_10functional5actorINSM_9compositeIJNSM_27transparent_binary_operatorINSA_8equal_toIvEEEENSN_INSM_8argumentILj0EEEEENSM_5valueIiEEEEEEEEEEEE10hipError_tPvRmT3_T4_T5_T6_T7_T9_mT8_P12ihipStream_tbDpT10_ENKUlT_T0_E_clISt17integral_constantIbLb0EES1J_IbLb1EEEEDaS1F_S1G_EUlS1F_E_NS1_11comp_targetILNS1_3genE4ELNS1_11target_archE910ELNS1_3gpuE8ELNS1_3repE0EEENS1_30default_config_static_selectorELNS0_4arch9wavefront6targetE0EEEvT1_ ; -- Begin function _ZN7rocprim17ROCPRIM_400000_NS6detail17trampoline_kernelINS0_14default_configENS1_25partition_config_selectorILNS1_17partition_subalgoE6EiNS0_10empty_typeEbEEZZNS1_14partition_implILS5_6ELb0ES3_mN6thrust23THRUST_200600_302600_NS6detail15normal_iteratorINSA_10device_ptrIiEEEEPS6_SG_NS0_5tupleIJSF_S6_EEENSH_IJSG_SG_EEES6_PlJNSB_9not_fun_tINSB_10functional5actorINSM_9compositeIJNSM_27transparent_binary_operatorINSA_8equal_toIvEEEENSN_INSM_8argumentILj0EEEEENSM_5valueIiEEEEEEEEEEEE10hipError_tPvRmT3_T4_T5_T6_T7_T9_mT8_P12ihipStream_tbDpT10_ENKUlT_T0_E_clISt17integral_constantIbLb0EES1J_IbLb1EEEEDaS1F_S1G_EUlS1F_E_NS1_11comp_targetILNS1_3genE4ELNS1_11target_archE910ELNS1_3gpuE8ELNS1_3repE0EEENS1_30default_config_static_selectorELNS0_4arch9wavefront6targetE0EEEvT1_
	.globl	_ZN7rocprim17ROCPRIM_400000_NS6detail17trampoline_kernelINS0_14default_configENS1_25partition_config_selectorILNS1_17partition_subalgoE6EiNS0_10empty_typeEbEEZZNS1_14partition_implILS5_6ELb0ES3_mN6thrust23THRUST_200600_302600_NS6detail15normal_iteratorINSA_10device_ptrIiEEEEPS6_SG_NS0_5tupleIJSF_S6_EEENSH_IJSG_SG_EEES6_PlJNSB_9not_fun_tINSB_10functional5actorINSM_9compositeIJNSM_27transparent_binary_operatorINSA_8equal_toIvEEEENSN_INSM_8argumentILj0EEEEENSM_5valueIiEEEEEEEEEEEE10hipError_tPvRmT3_T4_T5_T6_T7_T9_mT8_P12ihipStream_tbDpT10_ENKUlT_T0_E_clISt17integral_constantIbLb0EES1J_IbLb1EEEEDaS1F_S1G_EUlS1F_E_NS1_11comp_targetILNS1_3genE4ELNS1_11target_archE910ELNS1_3gpuE8ELNS1_3repE0EEENS1_30default_config_static_selectorELNS0_4arch9wavefront6targetE0EEEvT1_
	.p2align	8
	.type	_ZN7rocprim17ROCPRIM_400000_NS6detail17trampoline_kernelINS0_14default_configENS1_25partition_config_selectorILNS1_17partition_subalgoE6EiNS0_10empty_typeEbEEZZNS1_14partition_implILS5_6ELb0ES3_mN6thrust23THRUST_200600_302600_NS6detail15normal_iteratorINSA_10device_ptrIiEEEEPS6_SG_NS0_5tupleIJSF_S6_EEENSH_IJSG_SG_EEES6_PlJNSB_9not_fun_tINSB_10functional5actorINSM_9compositeIJNSM_27transparent_binary_operatorINSA_8equal_toIvEEEENSN_INSM_8argumentILj0EEEEENSM_5valueIiEEEEEEEEEEEE10hipError_tPvRmT3_T4_T5_T6_T7_T9_mT8_P12ihipStream_tbDpT10_ENKUlT_T0_E_clISt17integral_constantIbLb0EES1J_IbLb1EEEEDaS1F_S1G_EUlS1F_E_NS1_11comp_targetILNS1_3genE4ELNS1_11target_archE910ELNS1_3gpuE8ELNS1_3repE0EEENS1_30default_config_static_selectorELNS0_4arch9wavefront6targetE0EEEvT1_,@function
_ZN7rocprim17ROCPRIM_400000_NS6detail17trampoline_kernelINS0_14default_configENS1_25partition_config_selectorILNS1_17partition_subalgoE6EiNS0_10empty_typeEbEEZZNS1_14partition_implILS5_6ELb0ES3_mN6thrust23THRUST_200600_302600_NS6detail15normal_iteratorINSA_10device_ptrIiEEEEPS6_SG_NS0_5tupleIJSF_S6_EEENSH_IJSG_SG_EEES6_PlJNSB_9not_fun_tINSB_10functional5actorINSM_9compositeIJNSM_27transparent_binary_operatorINSA_8equal_toIvEEEENSN_INSM_8argumentILj0EEEEENSM_5valueIiEEEEEEEEEEEE10hipError_tPvRmT3_T4_T5_T6_T7_T9_mT8_P12ihipStream_tbDpT10_ENKUlT_T0_E_clISt17integral_constantIbLb0EES1J_IbLb1EEEEDaS1F_S1G_EUlS1F_E_NS1_11comp_targetILNS1_3genE4ELNS1_11target_archE910ELNS1_3gpuE8ELNS1_3repE0EEENS1_30default_config_static_selectorELNS0_4arch9wavefront6targetE0EEEvT1_: ; @_ZN7rocprim17ROCPRIM_400000_NS6detail17trampoline_kernelINS0_14default_configENS1_25partition_config_selectorILNS1_17partition_subalgoE6EiNS0_10empty_typeEbEEZZNS1_14partition_implILS5_6ELb0ES3_mN6thrust23THRUST_200600_302600_NS6detail15normal_iteratorINSA_10device_ptrIiEEEEPS6_SG_NS0_5tupleIJSF_S6_EEENSH_IJSG_SG_EEES6_PlJNSB_9not_fun_tINSB_10functional5actorINSM_9compositeIJNSM_27transparent_binary_operatorINSA_8equal_toIvEEEENSN_INSM_8argumentILj0EEEEENSM_5valueIiEEEEEEEEEEEE10hipError_tPvRmT3_T4_T5_T6_T7_T9_mT8_P12ihipStream_tbDpT10_ENKUlT_T0_E_clISt17integral_constantIbLb0EES1J_IbLb1EEEEDaS1F_S1G_EUlS1F_E_NS1_11comp_targetILNS1_3genE4ELNS1_11target_archE910ELNS1_3gpuE8ELNS1_3repE0EEENS1_30default_config_static_selectorELNS0_4arch9wavefront6targetE0EEEvT1_
; %bb.0:
	.section	.rodata,"a",@progbits
	.p2align	6, 0x0
	.amdhsa_kernel _ZN7rocprim17ROCPRIM_400000_NS6detail17trampoline_kernelINS0_14default_configENS1_25partition_config_selectorILNS1_17partition_subalgoE6EiNS0_10empty_typeEbEEZZNS1_14partition_implILS5_6ELb0ES3_mN6thrust23THRUST_200600_302600_NS6detail15normal_iteratorINSA_10device_ptrIiEEEEPS6_SG_NS0_5tupleIJSF_S6_EEENSH_IJSG_SG_EEES6_PlJNSB_9not_fun_tINSB_10functional5actorINSM_9compositeIJNSM_27transparent_binary_operatorINSA_8equal_toIvEEEENSN_INSM_8argumentILj0EEEEENSM_5valueIiEEEEEEEEEEEE10hipError_tPvRmT3_T4_T5_T6_T7_T9_mT8_P12ihipStream_tbDpT10_ENKUlT_T0_E_clISt17integral_constantIbLb0EES1J_IbLb1EEEEDaS1F_S1G_EUlS1F_E_NS1_11comp_targetILNS1_3genE4ELNS1_11target_archE910ELNS1_3gpuE8ELNS1_3repE0EEENS1_30default_config_static_selectorELNS0_4arch9wavefront6targetE0EEEvT1_
		.amdhsa_group_segment_fixed_size 0
		.amdhsa_private_segment_fixed_size 0
		.amdhsa_kernarg_size 128
		.amdhsa_user_sgpr_count 2
		.amdhsa_user_sgpr_dispatch_ptr 0
		.amdhsa_user_sgpr_queue_ptr 0
		.amdhsa_user_sgpr_kernarg_segment_ptr 1
		.amdhsa_user_sgpr_dispatch_id 0
		.amdhsa_user_sgpr_private_segment_size 0
		.amdhsa_wavefront_size32 1
		.amdhsa_uses_dynamic_stack 0
		.amdhsa_enable_private_segment 0
		.amdhsa_system_sgpr_workgroup_id_x 1
		.amdhsa_system_sgpr_workgroup_id_y 0
		.amdhsa_system_sgpr_workgroup_id_z 0
		.amdhsa_system_sgpr_workgroup_info 0
		.amdhsa_system_vgpr_workitem_id 0
		.amdhsa_next_free_vgpr 1
		.amdhsa_next_free_sgpr 1
		.amdhsa_reserve_vcc 0
		.amdhsa_float_round_mode_32 0
		.amdhsa_float_round_mode_16_64 0
		.amdhsa_float_denorm_mode_32 3
		.amdhsa_float_denorm_mode_16_64 3
		.amdhsa_fp16_overflow 0
		.amdhsa_workgroup_processor_mode 1
		.amdhsa_memory_ordered 1
		.amdhsa_forward_progress 1
		.amdhsa_inst_pref_size 0
		.amdhsa_round_robin_scheduling 0
		.amdhsa_exception_fp_ieee_invalid_op 0
		.amdhsa_exception_fp_denorm_src 0
		.amdhsa_exception_fp_ieee_div_zero 0
		.amdhsa_exception_fp_ieee_overflow 0
		.amdhsa_exception_fp_ieee_underflow 0
		.amdhsa_exception_fp_ieee_inexact 0
		.amdhsa_exception_int_div_zero 0
	.end_amdhsa_kernel
	.section	.text._ZN7rocprim17ROCPRIM_400000_NS6detail17trampoline_kernelINS0_14default_configENS1_25partition_config_selectorILNS1_17partition_subalgoE6EiNS0_10empty_typeEbEEZZNS1_14partition_implILS5_6ELb0ES3_mN6thrust23THRUST_200600_302600_NS6detail15normal_iteratorINSA_10device_ptrIiEEEEPS6_SG_NS0_5tupleIJSF_S6_EEENSH_IJSG_SG_EEES6_PlJNSB_9not_fun_tINSB_10functional5actorINSM_9compositeIJNSM_27transparent_binary_operatorINSA_8equal_toIvEEEENSN_INSM_8argumentILj0EEEEENSM_5valueIiEEEEEEEEEEEE10hipError_tPvRmT3_T4_T5_T6_T7_T9_mT8_P12ihipStream_tbDpT10_ENKUlT_T0_E_clISt17integral_constantIbLb0EES1J_IbLb1EEEEDaS1F_S1G_EUlS1F_E_NS1_11comp_targetILNS1_3genE4ELNS1_11target_archE910ELNS1_3gpuE8ELNS1_3repE0EEENS1_30default_config_static_selectorELNS0_4arch9wavefront6targetE0EEEvT1_,"axG",@progbits,_ZN7rocprim17ROCPRIM_400000_NS6detail17trampoline_kernelINS0_14default_configENS1_25partition_config_selectorILNS1_17partition_subalgoE6EiNS0_10empty_typeEbEEZZNS1_14partition_implILS5_6ELb0ES3_mN6thrust23THRUST_200600_302600_NS6detail15normal_iteratorINSA_10device_ptrIiEEEEPS6_SG_NS0_5tupleIJSF_S6_EEENSH_IJSG_SG_EEES6_PlJNSB_9not_fun_tINSB_10functional5actorINSM_9compositeIJNSM_27transparent_binary_operatorINSA_8equal_toIvEEEENSN_INSM_8argumentILj0EEEEENSM_5valueIiEEEEEEEEEEEE10hipError_tPvRmT3_T4_T5_T6_T7_T9_mT8_P12ihipStream_tbDpT10_ENKUlT_T0_E_clISt17integral_constantIbLb0EES1J_IbLb1EEEEDaS1F_S1G_EUlS1F_E_NS1_11comp_targetILNS1_3genE4ELNS1_11target_archE910ELNS1_3gpuE8ELNS1_3repE0EEENS1_30default_config_static_selectorELNS0_4arch9wavefront6targetE0EEEvT1_,comdat
.Lfunc_end237:
	.size	_ZN7rocprim17ROCPRIM_400000_NS6detail17trampoline_kernelINS0_14default_configENS1_25partition_config_selectorILNS1_17partition_subalgoE6EiNS0_10empty_typeEbEEZZNS1_14partition_implILS5_6ELb0ES3_mN6thrust23THRUST_200600_302600_NS6detail15normal_iteratorINSA_10device_ptrIiEEEEPS6_SG_NS0_5tupleIJSF_S6_EEENSH_IJSG_SG_EEES6_PlJNSB_9not_fun_tINSB_10functional5actorINSM_9compositeIJNSM_27transparent_binary_operatorINSA_8equal_toIvEEEENSN_INSM_8argumentILj0EEEEENSM_5valueIiEEEEEEEEEEEE10hipError_tPvRmT3_T4_T5_T6_T7_T9_mT8_P12ihipStream_tbDpT10_ENKUlT_T0_E_clISt17integral_constantIbLb0EES1J_IbLb1EEEEDaS1F_S1G_EUlS1F_E_NS1_11comp_targetILNS1_3genE4ELNS1_11target_archE910ELNS1_3gpuE8ELNS1_3repE0EEENS1_30default_config_static_selectorELNS0_4arch9wavefront6targetE0EEEvT1_, .Lfunc_end237-_ZN7rocprim17ROCPRIM_400000_NS6detail17trampoline_kernelINS0_14default_configENS1_25partition_config_selectorILNS1_17partition_subalgoE6EiNS0_10empty_typeEbEEZZNS1_14partition_implILS5_6ELb0ES3_mN6thrust23THRUST_200600_302600_NS6detail15normal_iteratorINSA_10device_ptrIiEEEEPS6_SG_NS0_5tupleIJSF_S6_EEENSH_IJSG_SG_EEES6_PlJNSB_9not_fun_tINSB_10functional5actorINSM_9compositeIJNSM_27transparent_binary_operatorINSA_8equal_toIvEEEENSN_INSM_8argumentILj0EEEEENSM_5valueIiEEEEEEEEEEEE10hipError_tPvRmT3_T4_T5_T6_T7_T9_mT8_P12ihipStream_tbDpT10_ENKUlT_T0_E_clISt17integral_constantIbLb0EES1J_IbLb1EEEEDaS1F_S1G_EUlS1F_E_NS1_11comp_targetILNS1_3genE4ELNS1_11target_archE910ELNS1_3gpuE8ELNS1_3repE0EEENS1_30default_config_static_selectorELNS0_4arch9wavefront6targetE0EEEvT1_
                                        ; -- End function
	.set _ZN7rocprim17ROCPRIM_400000_NS6detail17trampoline_kernelINS0_14default_configENS1_25partition_config_selectorILNS1_17partition_subalgoE6EiNS0_10empty_typeEbEEZZNS1_14partition_implILS5_6ELb0ES3_mN6thrust23THRUST_200600_302600_NS6detail15normal_iteratorINSA_10device_ptrIiEEEEPS6_SG_NS0_5tupleIJSF_S6_EEENSH_IJSG_SG_EEES6_PlJNSB_9not_fun_tINSB_10functional5actorINSM_9compositeIJNSM_27transparent_binary_operatorINSA_8equal_toIvEEEENSN_INSM_8argumentILj0EEEEENSM_5valueIiEEEEEEEEEEEE10hipError_tPvRmT3_T4_T5_T6_T7_T9_mT8_P12ihipStream_tbDpT10_ENKUlT_T0_E_clISt17integral_constantIbLb0EES1J_IbLb1EEEEDaS1F_S1G_EUlS1F_E_NS1_11comp_targetILNS1_3genE4ELNS1_11target_archE910ELNS1_3gpuE8ELNS1_3repE0EEENS1_30default_config_static_selectorELNS0_4arch9wavefront6targetE0EEEvT1_.num_vgpr, 0
	.set _ZN7rocprim17ROCPRIM_400000_NS6detail17trampoline_kernelINS0_14default_configENS1_25partition_config_selectorILNS1_17partition_subalgoE6EiNS0_10empty_typeEbEEZZNS1_14partition_implILS5_6ELb0ES3_mN6thrust23THRUST_200600_302600_NS6detail15normal_iteratorINSA_10device_ptrIiEEEEPS6_SG_NS0_5tupleIJSF_S6_EEENSH_IJSG_SG_EEES6_PlJNSB_9not_fun_tINSB_10functional5actorINSM_9compositeIJNSM_27transparent_binary_operatorINSA_8equal_toIvEEEENSN_INSM_8argumentILj0EEEEENSM_5valueIiEEEEEEEEEEEE10hipError_tPvRmT3_T4_T5_T6_T7_T9_mT8_P12ihipStream_tbDpT10_ENKUlT_T0_E_clISt17integral_constantIbLb0EES1J_IbLb1EEEEDaS1F_S1G_EUlS1F_E_NS1_11comp_targetILNS1_3genE4ELNS1_11target_archE910ELNS1_3gpuE8ELNS1_3repE0EEENS1_30default_config_static_selectorELNS0_4arch9wavefront6targetE0EEEvT1_.num_agpr, 0
	.set _ZN7rocprim17ROCPRIM_400000_NS6detail17trampoline_kernelINS0_14default_configENS1_25partition_config_selectorILNS1_17partition_subalgoE6EiNS0_10empty_typeEbEEZZNS1_14partition_implILS5_6ELb0ES3_mN6thrust23THRUST_200600_302600_NS6detail15normal_iteratorINSA_10device_ptrIiEEEEPS6_SG_NS0_5tupleIJSF_S6_EEENSH_IJSG_SG_EEES6_PlJNSB_9not_fun_tINSB_10functional5actorINSM_9compositeIJNSM_27transparent_binary_operatorINSA_8equal_toIvEEEENSN_INSM_8argumentILj0EEEEENSM_5valueIiEEEEEEEEEEEE10hipError_tPvRmT3_T4_T5_T6_T7_T9_mT8_P12ihipStream_tbDpT10_ENKUlT_T0_E_clISt17integral_constantIbLb0EES1J_IbLb1EEEEDaS1F_S1G_EUlS1F_E_NS1_11comp_targetILNS1_3genE4ELNS1_11target_archE910ELNS1_3gpuE8ELNS1_3repE0EEENS1_30default_config_static_selectorELNS0_4arch9wavefront6targetE0EEEvT1_.numbered_sgpr, 0
	.set _ZN7rocprim17ROCPRIM_400000_NS6detail17trampoline_kernelINS0_14default_configENS1_25partition_config_selectorILNS1_17partition_subalgoE6EiNS0_10empty_typeEbEEZZNS1_14partition_implILS5_6ELb0ES3_mN6thrust23THRUST_200600_302600_NS6detail15normal_iteratorINSA_10device_ptrIiEEEEPS6_SG_NS0_5tupleIJSF_S6_EEENSH_IJSG_SG_EEES6_PlJNSB_9not_fun_tINSB_10functional5actorINSM_9compositeIJNSM_27transparent_binary_operatorINSA_8equal_toIvEEEENSN_INSM_8argumentILj0EEEEENSM_5valueIiEEEEEEEEEEEE10hipError_tPvRmT3_T4_T5_T6_T7_T9_mT8_P12ihipStream_tbDpT10_ENKUlT_T0_E_clISt17integral_constantIbLb0EES1J_IbLb1EEEEDaS1F_S1G_EUlS1F_E_NS1_11comp_targetILNS1_3genE4ELNS1_11target_archE910ELNS1_3gpuE8ELNS1_3repE0EEENS1_30default_config_static_selectorELNS0_4arch9wavefront6targetE0EEEvT1_.num_named_barrier, 0
	.set _ZN7rocprim17ROCPRIM_400000_NS6detail17trampoline_kernelINS0_14default_configENS1_25partition_config_selectorILNS1_17partition_subalgoE6EiNS0_10empty_typeEbEEZZNS1_14partition_implILS5_6ELb0ES3_mN6thrust23THRUST_200600_302600_NS6detail15normal_iteratorINSA_10device_ptrIiEEEEPS6_SG_NS0_5tupleIJSF_S6_EEENSH_IJSG_SG_EEES6_PlJNSB_9not_fun_tINSB_10functional5actorINSM_9compositeIJNSM_27transparent_binary_operatorINSA_8equal_toIvEEEENSN_INSM_8argumentILj0EEEEENSM_5valueIiEEEEEEEEEEEE10hipError_tPvRmT3_T4_T5_T6_T7_T9_mT8_P12ihipStream_tbDpT10_ENKUlT_T0_E_clISt17integral_constantIbLb0EES1J_IbLb1EEEEDaS1F_S1G_EUlS1F_E_NS1_11comp_targetILNS1_3genE4ELNS1_11target_archE910ELNS1_3gpuE8ELNS1_3repE0EEENS1_30default_config_static_selectorELNS0_4arch9wavefront6targetE0EEEvT1_.private_seg_size, 0
	.set _ZN7rocprim17ROCPRIM_400000_NS6detail17trampoline_kernelINS0_14default_configENS1_25partition_config_selectorILNS1_17partition_subalgoE6EiNS0_10empty_typeEbEEZZNS1_14partition_implILS5_6ELb0ES3_mN6thrust23THRUST_200600_302600_NS6detail15normal_iteratorINSA_10device_ptrIiEEEEPS6_SG_NS0_5tupleIJSF_S6_EEENSH_IJSG_SG_EEES6_PlJNSB_9not_fun_tINSB_10functional5actorINSM_9compositeIJNSM_27transparent_binary_operatorINSA_8equal_toIvEEEENSN_INSM_8argumentILj0EEEEENSM_5valueIiEEEEEEEEEEEE10hipError_tPvRmT3_T4_T5_T6_T7_T9_mT8_P12ihipStream_tbDpT10_ENKUlT_T0_E_clISt17integral_constantIbLb0EES1J_IbLb1EEEEDaS1F_S1G_EUlS1F_E_NS1_11comp_targetILNS1_3genE4ELNS1_11target_archE910ELNS1_3gpuE8ELNS1_3repE0EEENS1_30default_config_static_selectorELNS0_4arch9wavefront6targetE0EEEvT1_.uses_vcc, 0
	.set _ZN7rocprim17ROCPRIM_400000_NS6detail17trampoline_kernelINS0_14default_configENS1_25partition_config_selectorILNS1_17partition_subalgoE6EiNS0_10empty_typeEbEEZZNS1_14partition_implILS5_6ELb0ES3_mN6thrust23THRUST_200600_302600_NS6detail15normal_iteratorINSA_10device_ptrIiEEEEPS6_SG_NS0_5tupleIJSF_S6_EEENSH_IJSG_SG_EEES6_PlJNSB_9not_fun_tINSB_10functional5actorINSM_9compositeIJNSM_27transparent_binary_operatorINSA_8equal_toIvEEEENSN_INSM_8argumentILj0EEEEENSM_5valueIiEEEEEEEEEEEE10hipError_tPvRmT3_T4_T5_T6_T7_T9_mT8_P12ihipStream_tbDpT10_ENKUlT_T0_E_clISt17integral_constantIbLb0EES1J_IbLb1EEEEDaS1F_S1G_EUlS1F_E_NS1_11comp_targetILNS1_3genE4ELNS1_11target_archE910ELNS1_3gpuE8ELNS1_3repE0EEENS1_30default_config_static_selectorELNS0_4arch9wavefront6targetE0EEEvT1_.uses_flat_scratch, 0
	.set _ZN7rocprim17ROCPRIM_400000_NS6detail17trampoline_kernelINS0_14default_configENS1_25partition_config_selectorILNS1_17partition_subalgoE6EiNS0_10empty_typeEbEEZZNS1_14partition_implILS5_6ELb0ES3_mN6thrust23THRUST_200600_302600_NS6detail15normal_iteratorINSA_10device_ptrIiEEEEPS6_SG_NS0_5tupleIJSF_S6_EEENSH_IJSG_SG_EEES6_PlJNSB_9not_fun_tINSB_10functional5actorINSM_9compositeIJNSM_27transparent_binary_operatorINSA_8equal_toIvEEEENSN_INSM_8argumentILj0EEEEENSM_5valueIiEEEEEEEEEEEE10hipError_tPvRmT3_T4_T5_T6_T7_T9_mT8_P12ihipStream_tbDpT10_ENKUlT_T0_E_clISt17integral_constantIbLb0EES1J_IbLb1EEEEDaS1F_S1G_EUlS1F_E_NS1_11comp_targetILNS1_3genE4ELNS1_11target_archE910ELNS1_3gpuE8ELNS1_3repE0EEENS1_30default_config_static_selectorELNS0_4arch9wavefront6targetE0EEEvT1_.has_dyn_sized_stack, 0
	.set _ZN7rocprim17ROCPRIM_400000_NS6detail17trampoline_kernelINS0_14default_configENS1_25partition_config_selectorILNS1_17partition_subalgoE6EiNS0_10empty_typeEbEEZZNS1_14partition_implILS5_6ELb0ES3_mN6thrust23THRUST_200600_302600_NS6detail15normal_iteratorINSA_10device_ptrIiEEEEPS6_SG_NS0_5tupleIJSF_S6_EEENSH_IJSG_SG_EEES6_PlJNSB_9not_fun_tINSB_10functional5actorINSM_9compositeIJNSM_27transparent_binary_operatorINSA_8equal_toIvEEEENSN_INSM_8argumentILj0EEEEENSM_5valueIiEEEEEEEEEEEE10hipError_tPvRmT3_T4_T5_T6_T7_T9_mT8_P12ihipStream_tbDpT10_ENKUlT_T0_E_clISt17integral_constantIbLb0EES1J_IbLb1EEEEDaS1F_S1G_EUlS1F_E_NS1_11comp_targetILNS1_3genE4ELNS1_11target_archE910ELNS1_3gpuE8ELNS1_3repE0EEENS1_30default_config_static_selectorELNS0_4arch9wavefront6targetE0EEEvT1_.has_recursion, 0
	.set _ZN7rocprim17ROCPRIM_400000_NS6detail17trampoline_kernelINS0_14default_configENS1_25partition_config_selectorILNS1_17partition_subalgoE6EiNS0_10empty_typeEbEEZZNS1_14partition_implILS5_6ELb0ES3_mN6thrust23THRUST_200600_302600_NS6detail15normal_iteratorINSA_10device_ptrIiEEEEPS6_SG_NS0_5tupleIJSF_S6_EEENSH_IJSG_SG_EEES6_PlJNSB_9not_fun_tINSB_10functional5actorINSM_9compositeIJNSM_27transparent_binary_operatorINSA_8equal_toIvEEEENSN_INSM_8argumentILj0EEEEENSM_5valueIiEEEEEEEEEEEE10hipError_tPvRmT3_T4_T5_T6_T7_T9_mT8_P12ihipStream_tbDpT10_ENKUlT_T0_E_clISt17integral_constantIbLb0EES1J_IbLb1EEEEDaS1F_S1G_EUlS1F_E_NS1_11comp_targetILNS1_3genE4ELNS1_11target_archE910ELNS1_3gpuE8ELNS1_3repE0EEENS1_30default_config_static_selectorELNS0_4arch9wavefront6targetE0EEEvT1_.has_indirect_call, 0
	.section	.AMDGPU.csdata,"",@progbits
; Kernel info:
; codeLenInByte = 0
; TotalNumSgprs: 0
; NumVgprs: 0
; ScratchSize: 0
; MemoryBound: 0
; FloatMode: 240
; IeeeMode: 1
; LDSByteSize: 0 bytes/workgroup (compile time only)
; SGPRBlocks: 0
; VGPRBlocks: 0
; NumSGPRsForWavesPerEU: 1
; NumVGPRsForWavesPerEU: 1
; Occupancy: 16
; WaveLimiterHint : 0
; COMPUTE_PGM_RSRC2:SCRATCH_EN: 0
; COMPUTE_PGM_RSRC2:USER_SGPR: 2
; COMPUTE_PGM_RSRC2:TRAP_HANDLER: 0
; COMPUTE_PGM_RSRC2:TGID_X_EN: 1
; COMPUTE_PGM_RSRC2:TGID_Y_EN: 0
; COMPUTE_PGM_RSRC2:TGID_Z_EN: 0
; COMPUTE_PGM_RSRC2:TIDIG_COMP_CNT: 0
	.section	.text._ZN7rocprim17ROCPRIM_400000_NS6detail17trampoline_kernelINS0_14default_configENS1_25partition_config_selectorILNS1_17partition_subalgoE6EiNS0_10empty_typeEbEEZZNS1_14partition_implILS5_6ELb0ES3_mN6thrust23THRUST_200600_302600_NS6detail15normal_iteratorINSA_10device_ptrIiEEEEPS6_SG_NS0_5tupleIJSF_S6_EEENSH_IJSG_SG_EEES6_PlJNSB_9not_fun_tINSB_10functional5actorINSM_9compositeIJNSM_27transparent_binary_operatorINSA_8equal_toIvEEEENSN_INSM_8argumentILj0EEEEENSM_5valueIiEEEEEEEEEEEE10hipError_tPvRmT3_T4_T5_T6_T7_T9_mT8_P12ihipStream_tbDpT10_ENKUlT_T0_E_clISt17integral_constantIbLb0EES1J_IbLb1EEEEDaS1F_S1G_EUlS1F_E_NS1_11comp_targetILNS1_3genE3ELNS1_11target_archE908ELNS1_3gpuE7ELNS1_3repE0EEENS1_30default_config_static_selectorELNS0_4arch9wavefront6targetE0EEEvT1_,"axG",@progbits,_ZN7rocprim17ROCPRIM_400000_NS6detail17trampoline_kernelINS0_14default_configENS1_25partition_config_selectorILNS1_17partition_subalgoE6EiNS0_10empty_typeEbEEZZNS1_14partition_implILS5_6ELb0ES3_mN6thrust23THRUST_200600_302600_NS6detail15normal_iteratorINSA_10device_ptrIiEEEEPS6_SG_NS0_5tupleIJSF_S6_EEENSH_IJSG_SG_EEES6_PlJNSB_9not_fun_tINSB_10functional5actorINSM_9compositeIJNSM_27transparent_binary_operatorINSA_8equal_toIvEEEENSN_INSM_8argumentILj0EEEEENSM_5valueIiEEEEEEEEEEEE10hipError_tPvRmT3_T4_T5_T6_T7_T9_mT8_P12ihipStream_tbDpT10_ENKUlT_T0_E_clISt17integral_constantIbLb0EES1J_IbLb1EEEEDaS1F_S1G_EUlS1F_E_NS1_11comp_targetILNS1_3genE3ELNS1_11target_archE908ELNS1_3gpuE7ELNS1_3repE0EEENS1_30default_config_static_selectorELNS0_4arch9wavefront6targetE0EEEvT1_,comdat
	.protected	_ZN7rocprim17ROCPRIM_400000_NS6detail17trampoline_kernelINS0_14default_configENS1_25partition_config_selectorILNS1_17partition_subalgoE6EiNS0_10empty_typeEbEEZZNS1_14partition_implILS5_6ELb0ES3_mN6thrust23THRUST_200600_302600_NS6detail15normal_iteratorINSA_10device_ptrIiEEEEPS6_SG_NS0_5tupleIJSF_S6_EEENSH_IJSG_SG_EEES6_PlJNSB_9not_fun_tINSB_10functional5actorINSM_9compositeIJNSM_27transparent_binary_operatorINSA_8equal_toIvEEEENSN_INSM_8argumentILj0EEEEENSM_5valueIiEEEEEEEEEEEE10hipError_tPvRmT3_T4_T5_T6_T7_T9_mT8_P12ihipStream_tbDpT10_ENKUlT_T0_E_clISt17integral_constantIbLb0EES1J_IbLb1EEEEDaS1F_S1G_EUlS1F_E_NS1_11comp_targetILNS1_3genE3ELNS1_11target_archE908ELNS1_3gpuE7ELNS1_3repE0EEENS1_30default_config_static_selectorELNS0_4arch9wavefront6targetE0EEEvT1_ ; -- Begin function _ZN7rocprim17ROCPRIM_400000_NS6detail17trampoline_kernelINS0_14default_configENS1_25partition_config_selectorILNS1_17partition_subalgoE6EiNS0_10empty_typeEbEEZZNS1_14partition_implILS5_6ELb0ES3_mN6thrust23THRUST_200600_302600_NS6detail15normal_iteratorINSA_10device_ptrIiEEEEPS6_SG_NS0_5tupleIJSF_S6_EEENSH_IJSG_SG_EEES6_PlJNSB_9not_fun_tINSB_10functional5actorINSM_9compositeIJNSM_27transparent_binary_operatorINSA_8equal_toIvEEEENSN_INSM_8argumentILj0EEEEENSM_5valueIiEEEEEEEEEEEE10hipError_tPvRmT3_T4_T5_T6_T7_T9_mT8_P12ihipStream_tbDpT10_ENKUlT_T0_E_clISt17integral_constantIbLb0EES1J_IbLb1EEEEDaS1F_S1G_EUlS1F_E_NS1_11comp_targetILNS1_3genE3ELNS1_11target_archE908ELNS1_3gpuE7ELNS1_3repE0EEENS1_30default_config_static_selectorELNS0_4arch9wavefront6targetE0EEEvT1_
	.globl	_ZN7rocprim17ROCPRIM_400000_NS6detail17trampoline_kernelINS0_14default_configENS1_25partition_config_selectorILNS1_17partition_subalgoE6EiNS0_10empty_typeEbEEZZNS1_14partition_implILS5_6ELb0ES3_mN6thrust23THRUST_200600_302600_NS6detail15normal_iteratorINSA_10device_ptrIiEEEEPS6_SG_NS0_5tupleIJSF_S6_EEENSH_IJSG_SG_EEES6_PlJNSB_9not_fun_tINSB_10functional5actorINSM_9compositeIJNSM_27transparent_binary_operatorINSA_8equal_toIvEEEENSN_INSM_8argumentILj0EEEEENSM_5valueIiEEEEEEEEEEEE10hipError_tPvRmT3_T4_T5_T6_T7_T9_mT8_P12ihipStream_tbDpT10_ENKUlT_T0_E_clISt17integral_constantIbLb0EES1J_IbLb1EEEEDaS1F_S1G_EUlS1F_E_NS1_11comp_targetILNS1_3genE3ELNS1_11target_archE908ELNS1_3gpuE7ELNS1_3repE0EEENS1_30default_config_static_selectorELNS0_4arch9wavefront6targetE0EEEvT1_
	.p2align	8
	.type	_ZN7rocprim17ROCPRIM_400000_NS6detail17trampoline_kernelINS0_14default_configENS1_25partition_config_selectorILNS1_17partition_subalgoE6EiNS0_10empty_typeEbEEZZNS1_14partition_implILS5_6ELb0ES3_mN6thrust23THRUST_200600_302600_NS6detail15normal_iteratorINSA_10device_ptrIiEEEEPS6_SG_NS0_5tupleIJSF_S6_EEENSH_IJSG_SG_EEES6_PlJNSB_9not_fun_tINSB_10functional5actorINSM_9compositeIJNSM_27transparent_binary_operatorINSA_8equal_toIvEEEENSN_INSM_8argumentILj0EEEEENSM_5valueIiEEEEEEEEEEEE10hipError_tPvRmT3_T4_T5_T6_T7_T9_mT8_P12ihipStream_tbDpT10_ENKUlT_T0_E_clISt17integral_constantIbLb0EES1J_IbLb1EEEEDaS1F_S1G_EUlS1F_E_NS1_11comp_targetILNS1_3genE3ELNS1_11target_archE908ELNS1_3gpuE7ELNS1_3repE0EEENS1_30default_config_static_selectorELNS0_4arch9wavefront6targetE0EEEvT1_,@function
_ZN7rocprim17ROCPRIM_400000_NS6detail17trampoline_kernelINS0_14default_configENS1_25partition_config_selectorILNS1_17partition_subalgoE6EiNS0_10empty_typeEbEEZZNS1_14partition_implILS5_6ELb0ES3_mN6thrust23THRUST_200600_302600_NS6detail15normal_iteratorINSA_10device_ptrIiEEEEPS6_SG_NS0_5tupleIJSF_S6_EEENSH_IJSG_SG_EEES6_PlJNSB_9not_fun_tINSB_10functional5actorINSM_9compositeIJNSM_27transparent_binary_operatorINSA_8equal_toIvEEEENSN_INSM_8argumentILj0EEEEENSM_5valueIiEEEEEEEEEEEE10hipError_tPvRmT3_T4_T5_T6_T7_T9_mT8_P12ihipStream_tbDpT10_ENKUlT_T0_E_clISt17integral_constantIbLb0EES1J_IbLb1EEEEDaS1F_S1G_EUlS1F_E_NS1_11comp_targetILNS1_3genE3ELNS1_11target_archE908ELNS1_3gpuE7ELNS1_3repE0EEENS1_30default_config_static_selectorELNS0_4arch9wavefront6targetE0EEEvT1_: ; @_ZN7rocprim17ROCPRIM_400000_NS6detail17trampoline_kernelINS0_14default_configENS1_25partition_config_selectorILNS1_17partition_subalgoE6EiNS0_10empty_typeEbEEZZNS1_14partition_implILS5_6ELb0ES3_mN6thrust23THRUST_200600_302600_NS6detail15normal_iteratorINSA_10device_ptrIiEEEEPS6_SG_NS0_5tupleIJSF_S6_EEENSH_IJSG_SG_EEES6_PlJNSB_9not_fun_tINSB_10functional5actorINSM_9compositeIJNSM_27transparent_binary_operatorINSA_8equal_toIvEEEENSN_INSM_8argumentILj0EEEEENSM_5valueIiEEEEEEEEEEEE10hipError_tPvRmT3_T4_T5_T6_T7_T9_mT8_P12ihipStream_tbDpT10_ENKUlT_T0_E_clISt17integral_constantIbLb0EES1J_IbLb1EEEEDaS1F_S1G_EUlS1F_E_NS1_11comp_targetILNS1_3genE3ELNS1_11target_archE908ELNS1_3gpuE7ELNS1_3repE0EEENS1_30default_config_static_selectorELNS0_4arch9wavefront6targetE0EEEvT1_
; %bb.0:
	.section	.rodata,"a",@progbits
	.p2align	6, 0x0
	.amdhsa_kernel _ZN7rocprim17ROCPRIM_400000_NS6detail17trampoline_kernelINS0_14default_configENS1_25partition_config_selectorILNS1_17partition_subalgoE6EiNS0_10empty_typeEbEEZZNS1_14partition_implILS5_6ELb0ES3_mN6thrust23THRUST_200600_302600_NS6detail15normal_iteratorINSA_10device_ptrIiEEEEPS6_SG_NS0_5tupleIJSF_S6_EEENSH_IJSG_SG_EEES6_PlJNSB_9not_fun_tINSB_10functional5actorINSM_9compositeIJNSM_27transparent_binary_operatorINSA_8equal_toIvEEEENSN_INSM_8argumentILj0EEEEENSM_5valueIiEEEEEEEEEEEE10hipError_tPvRmT3_T4_T5_T6_T7_T9_mT8_P12ihipStream_tbDpT10_ENKUlT_T0_E_clISt17integral_constantIbLb0EES1J_IbLb1EEEEDaS1F_S1G_EUlS1F_E_NS1_11comp_targetILNS1_3genE3ELNS1_11target_archE908ELNS1_3gpuE7ELNS1_3repE0EEENS1_30default_config_static_selectorELNS0_4arch9wavefront6targetE0EEEvT1_
		.amdhsa_group_segment_fixed_size 0
		.amdhsa_private_segment_fixed_size 0
		.amdhsa_kernarg_size 128
		.amdhsa_user_sgpr_count 2
		.amdhsa_user_sgpr_dispatch_ptr 0
		.amdhsa_user_sgpr_queue_ptr 0
		.amdhsa_user_sgpr_kernarg_segment_ptr 1
		.amdhsa_user_sgpr_dispatch_id 0
		.amdhsa_user_sgpr_private_segment_size 0
		.amdhsa_wavefront_size32 1
		.amdhsa_uses_dynamic_stack 0
		.amdhsa_enable_private_segment 0
		.amdhsa_system_sgpr_workgroup_id_x 1
		.amdhsa_system_sgpr_workgroup_id_y 0
		.amdhsa_system_sgpr_workgroup_id_z 0
		.amdhsa_system_sgpr_workgroup_info 0
		.amdhsa_system_vgpr_workitem_id 0
		.amdhsa_next_free_vgpr 1
		.amdhsa_next_free_sgpr 1
		.amdhsa_reserve_vcc 0
		.amdhsa_float_round_mode_32 0
		.amdhsa_float_round_mode_16_64 0
		.amdhsa_float_denorm_mode_32 3
		.amdhsa_float_denorm_mode_16_64 3
		.amdhsa_fp16_overflow 0
		.amdhsa_workgroup_processor_mode 1
		.amdhsa_memory_ordered 1
		.amdhsa_forward_progress 1
		.amdhsa_inst_pref_size 0
		.amdhsa_round_robin_scheduling 0
		.amdhsa_exception_fp_ieee_invalid_op 0
		.amdhsa_exception_fp_denorm_src 0
		.amdhsa_exception_fp_ieee_div_zero 0
		.amdhsa_exception_fp_ieee_overflow 0
		.amdhsa_exception_fp_ieee_underflow 0
		.amdhsa_exception_fp_ieee_inexact 0
		.amdhsa_exception_int_div_zero 0
	.end_amdhsa_kernel
	.section	.text._ZN7rocprim17ROCPRIM_400000_NS6detail17trampoline_kernelINS0_14default_configENS1_25partition_config_selectorILNS1_17partition_subalgoE6EiNS0_10empty_typeEbEEZZNS1_14partition_implILS5_6ELb0ES3_mN6thrust23THRUST_200600_302600_NS6detail15normal_iteratorINSA_10device_ptrIiEEEEPS6_SG_NS0_5tupleIJSF_S6_EEENSH_IJSG_SG_EEES6_PlJNSB_9not_fun_tINSB_10functional5actorINSM_9compositeIJNSM_27transparent_binary_operatorINSA_8equal_toIvEEEENSN_INSM_8argumentILj0EEEEENSM_5valueIiEEEEEEEEEEEE10hipError_tPvRmT3_T4_T5_T6_T7_T9_mT8_P12ihipStream_tbDpT10_ENKUlT_T0_E_clISt17integral_constantIbLb0EES1J_IbLb1EEEEDaS1F_S1G_EUlS1F_E_NS1_11comp_targetILNS1_3genE3ELNS1_11target_archE908ELNS1_3gpuE7ELNS1_3repE0EEENS1_30default_config_static_selectorELNS0_4arch9wavefront6targetE0EEEvT1_,"axG",@progbits,_ZN7rocprim17ROCPRIM_400000_NS6detail17trampoline_kernelINS0_14default_configENS1_25partition_config_selectorILNS1_17partition_subalgoE6EiNS0_10empty_typeEbEEZZNS1_14partition_implILS5_6ELb0ES3_mN6thrust23THRUST_200600_302600_NS6detail15normal_iteratorINSA_10device_ptrIiEEEEPS6_SG_NS0_5tupleIJSF_S6_EEENSH_IJSG_SG_EEES6_PlJNSB_9not_fun_tINSB_10functional5actorINSM_9compositeIJNSM_27transparent_binary_operatorINSA_8equal_toIvEEEENSN_INSM_8argumentILj0EEEEENSM_5valueIiEEEEEEEEEEEE10hipError_tPvRmT3_T4_T5_T6_T7_T9_mT8_P12ihipStream_tbDpT10_ENKUlT_T0_E_clISt17integral_constantIbLb0EES1J_IbLb1EEEEDaS1F_S1G_EUlS1F_E_NS1_11comp_targetILNS1_3genE3ELNS1_11target_archE908ELNS1_3gpuE7ELNS1_3repE0EEENS1_30default_config_static_selectorELNS0_4arch9wavefront6targetE0EEEvT1_,comdat
.Lfunc_end238:
	.size	_ZN7rocprim17ROCPRIM_400000_NS6detail17trampoline_kernelINS0_14default_configENS1_25partition_config_selectorILNS1_17partition_subalgoE6EiNS0_10empty_typeEbEEZZNS1_14partition_implILS5_6ELb0ES3_mN6thrust23THRUST_200600_302600_NS6detail15normal_iteratorINSA_10device_ptrIiEEEEPS6_SG_NS0_5tupleIJSF_S6_EEENSH_IJSG_SG_EEES6_PlJNSB_9not_fun_tINSB_10functional5actorINSM_9compositeIJNSM_27transparent_binary_operatorINSA_8equal_toIvEEEENSN_INSM_8argumentILj0EEEEENSM_5valueIiEEEEEEEEEEEE10hipError_tPvRmT3_T4_T5_T6_T7_T9_mT8_P12ihipStream_tbDpT10_ENKUlT_T0_E_clISt17integral_constantIbLb0EES1J_IbLb1EEEEDaS1F_S1G_EUlS1F_E_NS1_11comp_targetILNS1_3genE3ELNS1_11target_archE908ELNS1_3gpuE7ELNS1_3repE0EEENS1_30default_config_static_selectorELNS0_4arch9wavefront6targetE0EEEvT1_, .Lfunc_end238-_ZN7rocprim17ROCPRIM_400000_NS6detail17trampoline_kernelINS0_14default_configENS1_25partition_config_selectorILNS1_17partition_subalgoE6EiNS0_10empty_typeEbEEZZNS1_14partition_implILS5_6ELb0ES3_mN6thrust23THRUST_200600_302600_NS6detail15normal_iteratorINSA_10device_ptrIiEEEEPS6_SG_NS0_5tupleIJSF_S6_EEENSH_IJSG_SG_EEES6_PlJNSB_9not_fun_tINSB_10functional5actorINSM_9compositeIJNSM_27transparent_binary_operatorINSA_8equal_toIvEEEENSN_INSM_8argumentILj0EEEEENSM_5valueIiEEEEEEEEEEEE10hipError_tPvRmT3_T4_T5_T6_T7_T9_mT8_P12ihipStream_tbDpT10_ENKUlT_T0_E_clISt17integral_constantIbLb0EES1J_IbLb1EEEEDaS1F_S1G_EUlS1F_E_NS1_11comp_targetILNS1_3genE3ELNS1_11target_archE908ELNS1_3gpuE7ELNS1_3repE0EEENS1_30default_config_static_selectorELNS0_4arch9wavefront6targetE0EEEvT1_
                                        ; -- End function
	.set _ZN7rocprim17ROCPRIM_400000_NS6detail17trampoline_kernelINS0_14default_configENS1_25partition_config_selectorILNS1_17partition_subalgoE6EiNS0_10empty_typeEbEEZZNS1_14partition_implILS5_6ELb0ES3_mN6thrust23THRUST_200600_302600_NS6detail15normal_iteratorINSA_10device_ptrIiEEEEPS6_SG_NS0_5tupleIJSF_S6_EEENSH_IJSG_SG_EEES6_PlJNSB_9not_fun_tINSB_10functional5actorINSM_9compositeIJNSM_27transparent_binary_operatorINSA_8equal_toIvEEEENSN_INSM_8argumentILj0EEEEENSM_5valueIiEEEEEEEEEEEE10hipError_tPvRmT3_T4_T5_T6_T7_T9_mT8_P12ihipStream_tbDpT10_ENKUlT_T0_E_clISt17integral_constantIbLb0EES1J_IbLb1EEEEDaS1F_S1G_EUlS1F_E_NS1_11comp_targetILNS1_3genE3ELNS1_11target_archE908ELNS1_3gpuE7ELNS1_3repE0EEENS1_30default_config_static_selectorELNS0_4arch9wavefront6targetE0EEEvT1_.num_vgpr, 0
	.set _ZN7rocprim17ROCPRIM_400000_NS6detail17trampoline_kernelINS0_14default_configENS1_25partition_config_selectorILNS1_17partition_subalgoE6EiNS0_10empty_typeEbEEZZNS1_14partition_implILS5_6ELb0ES3_mN6thrust23THRUST_200600_302600_NS6detail15normal_iteratorINSA_10device_ptrIiEEEEPS6_SG_NS0_5tupleIJSF_S6_EEENSH_IJSG_SG_EEES6_PlJNSB_9not_fun_tINSB_10functional5actorINSM_9compositeIJNSM_27transparent_binary_operatorINSA_8equal_toIvEEEENSN_INSM_8argumentILj0EEEEENSM_5valueIiEEEEEEEEEEEE10hipError_tPvRmT3_T4_T5_T6_T7_T9_mT8_P12ihipStream_tbDpT10_ENKUlT_T0_E_clISt17integral_constantIbLb0EES1J_IbLb1EEEEDaS1F_S1G_EUlS1F_E_NS1_11comp_targetILNS1_3genE3ELNS1_11target_archE908ELNS1_3gpuE7ELNS1_3repE0EEENS1_30default_config_static_selectorELNS0_4arch9wavefront6targetE0EEEvT1_.num_agpr, 0
	.set _ZN7rocprim17ROCPRIM_400000_NS6detail17trampoline_kernelINS0_14default_configENS1_25partition_config_selectorILNS1_17partition_subalgoE6EiNS0_10empty_typeEbEEZZNS1_14partition_implILS5_6ELb0ES3_mN6thrust23THRUST_200600_302600_NS6detail15normal_iteratorINSA_10device_ptrIiEEEEPS6_SG_NS0_5tupleIJSF_S6_EEENSH_IJSG_SG_EEES6_PlJNSB_9not_fun_tINSB_10functional5actorINSM_9compositeIJNSM_27transparent_binary_operatorINSA_8equal_toIvEEEENSN_INSM_8argumentILj0EEEEENSM_5valueIiEEEEEEEEEEEE10hipError_tPvRmT3_T4_T5_T6_T7_T9_mT8_P12ihipStream_tbDpT10_ENKUlT_T0_E_clISt17integral_constantIbLb0EES1J_IbLb1EEEEDaS1F_S1G_EUlS1F_E_NS1_11comp_targetILNS1_3genE3ELNS1_11target_archE908ELNS1_3gpuE7ELNS1_3repE0EEENS1_30default_config_static_selectorELNS0_4arch9wavefront6targetE0EEEvT1_.numbered_sgpr, 0
	.set _ZN7rocprim17ROCPRIM_400000_NS6detail17trampoline_kernelINS0_14default_configENS1_25partition_config_selectorILNS1_17partition_subalgoE6EiNS0_10empty_typeEbEEZZNS1_14partition_implILS5_6ELb0ES3_mN6thrust23THRUST_200600_302600_NS6detail15normal_iteratorINSA_10device_ptrIiEEEEPS6_SG_NS0_5tupleIJSF_S6_EEENSH_IJSG_SG_EEES6_PlJNSB_9not_fun_tINSB_10functional5actorINSM_9compositeIJNSM_27transparent_binary_operatorINSA_8equal_toIvEEEENSN_INSM_8argumentILj0EEEEENSM_5valueIiEEEEEEEEEEEE10hipError_tPvRmT3_T4_T5_T6_T7_T9_mT8_P12ihipStream_tbDpT10_ENKUlT_T0_E_clISt17integral_constantIbLb0EES1J_IbLb1EEEEDaS1F_S1G_EUlS1F_E_NS1_11comp_targetILNS1_3genE3ELNS1_11target_archE908ELNS1_3gpuE7ELNS1_3repE0EEENS1_30default_config_static_selectorELNS0_4arch9wavefront6targetE0EEEvT1_.num_named_barrier, 0
	.set _ZN7rocprim17ROCPRIM_400000_NS6detail17trampoline_kernelINS0_14default_configENS1_25partition_config_selectorILNS1_17partition_subalgoE6EiNS0_10empty_typeEbEEZZNS1_14partition_implILS5_6ELb0ES3_mN6thrust23THRUST_200600_302600_NS6detail15normal_iteratorINSA_10device_ptrIiEEEEPS6_SG_NS0_5tupleIJSF_S6_EEENSH_IJSG_SG_EEES6_PlJNSB_9not_fun_tINSB_10functional5actorINSM_9compositeIJNSM_27transparent_binary_operatorINSA_8equal_toIvEEEENSN_INSM_8argumentILj0EEEEENSM_5valueIiEEEEEEEEEEEE10hipError_tPvRmT3_T4_T5_T6_T7_T9_mT8_P12ihipStream_tbDpT10_ENKUlT_T0_E_clISt17integral_constantIbLb0EES1J_IbLb1EEEEDaS1F_S1G_EUlS1F_E_NS1_11comp_targetILNS1_3genE3ELNS1_11target_archE908ELNS1_3gpuE7ELNS1_3repE0EEENS1_30default_config_static_selectorELNS0_4arch9wavefront6targetE0EEEvT1_.private_seg_size, 0
	.set _ZN7rocprim17ROCPRIM_400000_NS6detail17trampoline_kernelINS0_14default_configENS1_25partition_config_selectorILNS1_17partition_subalgoE6EiNS0_10empty_typeEbEEZZNS1_14partition_implILS5_6ELb0ES3_mN6thrust23THRUST_200600_302600_NS6detail15normal_iteratorINSA_10device_ptrIiEEEEPS6_SG_NS0_5tupleIJSF_S6_EEENSH_IJSG_SG_EEES6_PlJNSB_9not_fun_tINSB_10functional5actorINSM_9compositeIJNSM_27transparent_binary_operatorINSA_8equal_toIvEEEENSN_INSM_8argumentILj0EEEEENSM_5valueIiEEEEEEEEEEEE10hipError_tPvRmT3_T4_T5_T6_T7_T9_mT8_P12ihipStream_tbDpT10_ENKUlT_T0_E_clISt17integral_constantIbLb0EES1J_IbLb1EEEEDaS1F_S1G_EUlS1F_E_NS1_11comp_targetILNS1_3genE3ELNS1_11target_archE908ELNS1_3gpuE7ELNS1_3repE0EEENS1_30default_config_static_selectorELNS0_4arch9wavefront6targetE0EEEvT1_.uses_vcc, 0
	.set _ZN7rocprim17ROCPRIM_400000_NS6detail17trampoline_kernelINS0_14default_configENS1_25partition_config_selectorILNS1_17partition_subalgoE6EiNS0_10empty_typeEbEEZZNS1_14partition_implILS5_6ELb0ES3_mN6thrust23THRUST_200600_302600_NS6detail15normal_iteratorINSA_10device_ptrIiEEEEPS6_SG_NS0_5tupleIJSF_S6_EEENSH_IJSG_SG_EEES6_PlJNSB_9not_fun_tINSB_10functional5actorINSM_9compositeIJNSM_27transparent_binary_operatorINSA_8equal_toIvEEEENSN_INSM_8argumentILj0EEEEENSM_5valueIiEEEEEEEEEEEE10hipError_tPvRmT3_T4_T5_T6_T7_T9_mT8_P12ihipStream_tbDpT10_ENKUlT_T0_E_clISt17integral_constantIbLb0EES1J_IbLb1EEEEDaS1F_S1G_EUlS1F_E_NS1_11comp_targetILNS1_3genE3ELNS1_11target_archE908ELNS1_3gpuE7ELNS1_3repE0EEENS1_30default_config_static_selectorELNS0_4arch9wavefront6targetE0EEEvT1_.uses_flat_scratch, 0
	.set _ZN7rocprim17ROCPRIM_400000_NS6detail17trampoline_kernelINS0_14default_configENS1_25partition_config_selectorILNS1_17partition_subalgoE6EiNS0_10empty_typeEbEEZZNS1_14partition_implILS5_6ELb0ES3_mN6thrust23THRUST_200600_302600_NS6detail15normal_iteratorINSA_10device_ptrIiEEEEPS6_SG_NS0_5tupleIJSF_S6_EEENSH_IJSG_SG_EEES6_PlJNSB_9not_fun_tINSB_10functional5actorINSM_9compositeIJNSM_27transparent_binary_operatorINSA_8equal_toIvEEEENSN_INSM_8argumentILj0EEEEENSM_5valueIiEEEEEEEEEEEE10hipError_tPvRmT3_T4_T5_T6_T7_T9_mT8_P12ihipStream_tbDpT10_ENKUlT_T0_E_clISt17integral_constantIbLb0EES1J_IbLb1EEEEDaS1F_S1G_EUlS1F_E_NS1_11comp_targetILNS1_3genE3ELNS1_11target_archE908ELNS1_3gpuE7ELNS1_3repE0EEENS1_30default_config_static_selectorELNS0_4arch9wavefront6targetE0EEEvT1_.has_dyn_sized_stack, 0
	.set _ZN7rocprim17ROCPRIM_400000_NS6detail17trampoline_kernelINS0_14default_configENS1_25partition_config_selectorILNS1_17partition_subalgoE6EiNS0_10empty_typeEbEEZZNS1_14partition_implILS5_6ELb0ES3_mN6thrust23THRUST_200600_302600_NS6detail15normal_iteratorINSA_10device_ptrIiEEEEPS6_SG_NS0_5tupleIJSF_S6_EEENSH_IJSG_SG_EEES6_PlJNSB_9not_fun_tINSB_10functional5actorINSM_9compositeIJNSM_27transparent_binary_operatorINSA_8equal_toIvEEEENSN_INSM_8argumentILj0EEEEENSM_5valueIiEEEEEEEEEEEE10hipError_tPvRmT3_T4_T5_T6_T7_T9_mT8_P12ihipStream_tbDpT10_ENKUlT_T0_E_clISt17integral_constantIbLb0EES1J_IbLb1EEEEDaS1F_S1G_EUlS1F_E_NS1_11comp_targetILNS1_3genE3ELNS1_11target_archE908ELNS1_3gpuE7ELNS1_3repE0EEENS1_30default_config_static_selectorELNS0_4arch9wavefront6targetE0EEEvT1_.has_recursion, 0
	.set _ZN7rocprim17ROCPRIM_400000_NS6detail17trampoline_kernelINS0_14default_configENS1_25partition_config_selectorILNS1_17partition_subalgoE6EiNS0_10empty_typeEbEEZZNS1_14partition_implILS5_6ELb0ES3_mN6thrust23THRUST_200600_302600_NS6detail15normal_iteratorINSA_10device_ptrIiEEEEPS6_SG_NS0_5tupleIJSF_S6_EEENSH_IJSG_SG_EEES6_PlJNSB_9not_fun_tINSB_10functional5actorINSM_9compositeIJNSM_27transparent_binary_operatorINSA_8equal_toIvEEEENSN_INSM_8argumentILj0EEEEENSM_5valueIiEEEEEEEEEEEE10hipError_tPvRmT3_T4_T5_T6_T7_T9_mT8_P12ihipStream_tbDpT10_ENKUlT_T0_E_clISt17integral_constantIbLb0EES1J_IbLb1EEEEDaS1F_S1G_EUlS1F_E_NS1_11comp_targetILNS1_3genE3ELNS1_11target_archE908ELNS1_3gpuE7ELNS1_3repE0EEENS1_30default_config_static_selectorELNS0_4arch9wavefront6targetE0EEEvT1_.has_indirect_call, 0
	.section	.AMDGPU.csdata,"",@progbits
; Kernel info:
; codeLenInByte = 0
; TotalNumSgprs: 0
; NumVgprs: 0
; ScratchSize: 0
; MemoryBound: 0
; FloatMode: 240
; IeeeMode: 1
; LDSByteSize: 0 bytes/workgroup (compile time only)
; SGPRBlocks: 0
; VGPRBlocks: 0
; NumSGPRsForWavesPerEU: 1
; NumVGPRsForWavesPerEU: 1
; Occupancy: 16
; WaveLimiterHint : 0
; COMPUTE_PGM_RSRC2:SCRATCH_EN: 0
; COMPUTE_PGM_RSRC2:USER_SGPR: 2
; COMPUTE_PGM_RSRC2:TRAP_HANDLER: 0
; COMPUTE_PGM_RSRC2:TGID_X_EN: 1
; COMPUTE_PGM_RSRC2:TGID_Y_EN: 0
; COMPUTE_PGM_RSRC2:TGID_Z_EN: 0
; COMPUTE_PGM_RSRC2:TIDIG_COMP_CNT: 0
	.section	.text._ZN7rocprim17ROCPRIM_400000_NS6detail17trampoline_kernelINS0_14default_configENS1_25partition_config_selectorILNS1_17partition_subalgoE6EiNS0_10empty_typeEbEEZZNS1_14partition_implILS5_6ELb0ES3_mN6thrust23THRUST_200600_302600_NS6detail15normal_iteratorINSA_10device_ptrIiEEEEPS6_SG_NS0_5tupleIJSF_S6_EEENSH_IJSG_SG_EEES6_PlJNSB_9not_fun_tINSB_10functional5actorINSM_9compositeIJNSM_27transparent_binary_operatorINSA_8equal_toIvEEEENSN_INSM_8argumentILj0EEEEENSM_5valueIiEEEEEEEEEEEE10hipError_tPvRmT3_T4_T5_T6_T7_T9_mT8_P12ihipStream_tbDpT10_ENKUlT_T0_E_clISt17integral_constantIbLb0EES1J_IbLb1EEEEDaS1F_S1G_EUlS1F_E_NS1_11comp_targetILNS1_3genE2ELNS1_11target_archE906ELNS1_3gpuE6ELNS1_3repE0EEENS1_30default_config_static_selectorELNS0_4arch9wavefront6targetE0EEEvT1_,"axG",@progbits,_ZN7rocprim17ROCPRIM_400000_NS6detail17trampoline_kernelINS0_14default_configENS1_25partition_config_selectorILNS1_17partition_subalgoE6EiNS0_10empty_typeEbEEZZNS1_14partition_implILS5_6ELb0ES3_mN6thrust23THRUST_200600_302600_NS6detail15normal_iteratorINSA_10device_ptrIiEEEEPS6_SG_NS0_5tupleIJSF_S6_EEENSH_IJSG_SG_EEES6_PlJNSB_9not_fun_tINSB_10functional5actorINSM_9compositeIJNSM_27transparent_binary_operatorINSA_8equal_toIvEEEENSN_INSM_8argumentILj0EEEEENSM_5valueIiEEEEEEEEEEEE10hipError_tPvRmT3_T4_T5_T6_T7_T9_mT8_P12ihipStream_tbDpT10_ENKUlT_T0_E_clISt17integral_constantIbLb0EES1J_IbLb1EEEEDaS1F_S1G_EUlS1F_E_NS1_11comp_targetILNS1_3genE2ELNS1_11target_archE906ELNS1_3gpuE6ELNS1_3repE0EEENS1_30default_config_static_selectorELNS0_4arch9wavefront6targetE0EEEvT1_,comdat
	.protected	_ZN7rocprim17ROCPRIM_400000_NS6detail17trampoline_kernelINS0_14default_configENS1_25partition_config_selectorILNS1_17partition_subalgoE6EiNS0_10empty_typeEbEEZZNS1_14partition_implILS5_6ELb0ES3_mN6thrust23THRUST_200600_302600_NS6detail15normal_iteratorINSA_10device_ptrIiEEEEPS6_SG_NS0_5tupleIJSF_S6_EEENSH_IJSG_SG_EEES6_PlJNSB_9not_fun_tINSB_10functional5actorINSM_9compositeIJNSM_27transparent_binary_operatorINSA_8equal_toIvEEEENSN_INSM_8argumentILj0EEEEENSM_5valueIiEEEEEEEEEEEE10hipError_tPvRmT3_T4_T5_T6_T7_T9_mT8_P12ihipStream_tbDpT10_ENKUlT_T0_E_clISt17integral_constantIbLb0EES1J_IbLb1EEEEDaS1F_S1G_EUlS1F_E_NS1_11comp_targetILNS1_3genE2ELNS1_11target_archE906ELNS1_3gpuE6ELNS1_3repE0EEENS1_30default_config_static_selectorELNS0_4arch9wavefront6targetE0EEEvT1_ ; -- Begin function _ZN7rocprim17ROCPRIM_400000_NS6detail17trampoline_kernelINS0_14default_configENS1_25partition_config_selectorILNS1_17partition_subalgoE6EiNS0_10empty_typeEbEEZZNS1_14partition_implILS5_6ELb0ES3_mN6thrust23THRUST_200600_302600_NS6detail15normal_iteratorINSA_10device_ptrIiEEEEPS6_SG_NS0_5tupleIJSF_S6_EEENSH_IJSG_SG_EEES6_PlJNSB_9not_fun_tINSB_10functional5actorINSM_9compositeIJNSM_27transparent_binary_operatorINSA_8equal_toIvEEEENSN_INSM_8argumentILj0EEEEENSM_5valueIiEEEEEEEEEEEE10hipError_tPvRmT3_T4_T5_T6_T7_T9_mT8_P12ihipStream_tbDpT10_ENKUlT_T0_E_clISt17integral_constantIbLb0EES1J_IbLb1EEEEDaS1F_S1G_EUlS1F_E_NS1_11comp_targetILNS1_3genE2ELNS1_11target_archE906ELNS1_3gpuE6ELNS1_3repE0EEENS1_30default_config_static_selectorELNS0_4arch9wavefront6targetE0EEEvT1_
	.globl	_ZN7rocprim17ROCPRIM_400000_NS6detail17trampoline_kernelINS0_14default_configENS1_25partition_config_selectorILNS1_17partition_subalgoE6EiNS0_10empty_typeEbEEZZNS1_14partition_implILS5_6ELb0ES3_mN6thrust23THRUST_200600_302600_NS6detail15normal_iteratorINSA_10device_ptrIiEEEEPS6_SG_NS0_5tupleIJSF_S6_EEENSH_IJSG_SG_EEES6_PlJNSB_9not_fun_tINSB_10functional5actorINSM_9compositeIJNSM_27transparent_binary_operatorINSA_8equal_toIvEEEENSN_INSM_8argumentILj0EEEEENSM_5valueIiEEEEEEEEEEEE10hipError_tPvRmT3_T4_T5_T6_T7_T9_mT8_P12ihipStream_tbDpT10_ENKUlT_T0_E_clISt17integral_constantIbLb0EES1J_IbLb1EEEEDaS1F_S1G_EUlS1F_E_NS1_11comp_targetILNS1_3genE2ELNS1_11target_archE906ELNS1_3gpuE6ELNS1_3repE0EEENS1_30default_config_static_selectorELNS0_4arch9wavefront6targetE0EEEvT1_
	.p2align	8
	.type	_ZN7rocprim17ROCPRIM_400000_NS6detail17trampoline_kernelINS0_14default_configENS1_25partition_config_selectorILNS1_17partition_subalgoE6EiNS0_10empty_typeEbEEZZNS1_14partition_implILS5_6ELb0ES3_mN6thrust23THRUST_200600_302600_NS6detail15normal_iteratorINSA_10device_ptrIiEEEEPS6_SG_NS0_5tupleIJSF_S6_EEENSH_IJSG_SG_EEES6_PlJNSB_9not_fun_tINSB_10functional5actorINSM_9compositeIJNSM_27transparent_binary_operatorINSA_8equal_toIvEEEENSN_INSM_8argumentILj0EEEEENSM_5valueIiEEEEEEEEEEEE10hipError_tPvRmT3_T4_T5_T6_T7_T9_mT8_P12ihipStream_tbDpT10_ENKUlT_T0_E_clISt17integral_constantIbLb0EES1J_IbLb1EEEEDaS1F_S1G_EUlS1F_E_NS1_11comp_targetILNS1_3genE2ELNS1_11target_archE906ELNS1_3gpuE6ELNS1_3repE0EEENS1_30default_config_static_selectorELNS0_4arch9wavefront6targetE0EEEvT1_,@function
_ZN7rocprim17ROCPRIM_400000_NS6detail17trampoline_kernelINS0_14default_configENS1_25partition_config_selectorILNS1_17partition_subalgoE6EiNS0_10empty_typeEbEEZZNS1_14partition_implILS5_6ELb0ES3_mN6thrust23THRUST_200600_302600_NS6detail15normal_iteratorINSA_10device_ptrIiEEEEPS6_SG_NS0_5tupleIJSF_S6_EEENSH_IJSG_SG_EEES6_PlJNSB_9not_fun_tINSB_10functional5actorINSM_9compositeIJNSM_27transparent_binary_operatorINSA_8equal_toIvEEEENSN_INSM_8argumentILj0EEEEENSM_5valueIiEEEEEEEEEEEE10hipError_tPvRmT3_T4_T5_T6_T7_T9_mT8_P12ihipStream_tbDpT10_ENKUlT_T0_E_clISt17integral_constantIbLb0EES1J_IbLb1EEEEDaS1F_S1G_EUlS1F_E_NS1_11comp_targetILNS1_3genE2ELNS1_11target_archE906ELNS1_3gpuE6ELNS1_3repE0EEENS1_30default_config_static_selectorELNS0_4arch9wavefront6targetE0EEEvT1_: ; @_ZN7rocprim17ROCPRIM_400000_NS6detail17trampoline_kernelINS0_14default_configENS1_25partition_config_selectorILNS1_17partition_subalgoE6EiNS0_10empty_typeEbEEZZNS1_14partition_implILS5_6ELb0ES3_mN6thrust23THRUST_200600_302600_NS6detail15normal_iteratorINSA_10device_ptrIiEEEEPS6_SG_NS0_5tupleIJSF_S6_EEENSH_IJSG_SG_EEES6_PlJNSB_9not_fun_tINSB_10functional5actorINSM_9compositeIJNSM_27transparent_binary_operatorINSA_8equal_toIvEEEENSN_INSM_8argumentILj0EEEEENSM_5valueIiEEEEEEEEEEEE10hipError_tPvRmT3_T4_T5_T6_T7_T9_mT8_P12ihipStream_tbDpT10_ENKUlT_T0_E_clISt17integral_constantIbLb0EES1J_IbLb1EEEEDaS1F_S1G_EUlS1F_E_NS1_11comp_targetILNS1_3genE2ELNS1_11target_archE906ELNS1_3gpuE6ELNS1_3repE0EEENS1_30default_config_static_selectorELNS0_4arch9wavefront6targetE0EEEvT1_
; %bb.0:
	.section	.rodata,"a",@progbits
	.p2align	6, 0x0
	.amdhsa_kernel _ZN7rocprim17ROCPRIM_400000_NS6detail17trampoline_kernelINS0_14default_configENS1_25partition_config_selectorILNS1_17partition_subalgoE6EiNS0_10empty_typeEbEEZZNS1_14partition_implILS5_6ELb0ES3_mN6thrust23THRUST_200600_302600_NS6detail15normal_iteratorINSA_10device_ptrIiEEEEPS6_SG_NS0_5tupleIJSF_S6_EEENSH_IJSG_SG_EEES6_PlJNSB_9not_fun_tINSB_10functional5actorINSM_9compositeIJNSM_27transparent_binary_operatorINSA_8equal_toIvEEEENSN_INSM_8argumentILj0EEEEENSM_5valueIiEEEEEEEEEEEE10hipError_tPvRmT3_T4_T5_T6_T7_T9_mT8_P12ihipStream_tbDpT10_ENKUlT_T0_E_clISt17integral_constantIbLb0EES1J_IbLb1EEEEDaS1F_S1G_EUlS1F_E_NS1_11comp_targetILNS1_3genE2ELNS1_11target_archE906ELNS1_3gpuE6ELNS1_3repE0EEENS1_30default_config_static_selectorELNS0_4arch9wavefront6targetE0EEEvT1_
		.amdhsa_group_segment_fixed_size 0
		.amdhsa_private_segment_fixed_size 0
		.amdhsa_kernarg_size 128
		.amdhsa_user_sgpr_count 2
		.amdhsa_user_sgpr_dispatch_ptr 0
		.amdhsa_user_sgpr_queue_ptr 0
		.amdhsa_user_sgpr_kernarg_segment_ptr 1
		.amdhsa_user_sgpr_dispatch_id 0
		.amdhsa_user_sgpr_private_segment_size 0
		.amdhsa_wavefront_size32 1
		.amdhsa_uses_dynamic_stack 0
		.amdhsa_enable_private_segment 0
		.amdhsa_system_sgpr_workgroup_id_x 1
		.amdhsa_system_sgpr_workgroup_id_y 0
		.amdhsa_system_sgpr_workgroup_id_z 0
		.amdhsa_system_sgpr_workgroup_info 0
		.amdhsa_system_vgpr_workitem_id 0
		.amdhsa_next_free_vgpr 1
		.amdhsa_next_free_sgpr 1
		.amdhsa_reserve_vcc 0
		.amdhsa_float_round_mode_32 0
		.amdhsa_float_round_mode_16_64 0
		.amdhsa_float_denorm_mode_32 3
		.amdhsa_float_denorm_mode_16_64 3
		.amdhsa_fp16_overflow 0
		.amdhsa_workgroup_processor_mode 1
		.amdhsa_memory_ordered 1
		.amdhsa_forward_progress 1
		.amdhsa_inst_pref_size 0
		.amdhsa_round_robin_scheduling 0
		.amdhsa_exception_fp_ieee_invalid_op 0
		.amdhsa_exception_fp_denorm_src 0
		.amdhsa_exception_fp_ieee_div_zero 0
		.amdhsa_exception_fp_ieee_overflow 0
		.amdhsa_exception_fp_ieee_underflow 0
		.amdhsa_exception_fp_ieee_inexact 0
		.amdhsa_exception_int_div_zero 0
	.end_amdhsa_kernel
	.section	.text._ZN7rocprim17ROCPRIM_400000_NS6detail17trampoline_kernelINS0_14default_configENS1_25partition_config_selectorILNS1_17partition_subalgoE6EiNS0_10empty_typeEbEEZZNS1_14partition_implILS5_6ELb0ES3_mN6thrust23THRUST_200600_302600_NS6detail15normal_iteratorINSA_10device_ptrIiEEEEPS6_SG_NS0_5tupleIJSF_S6_EEENSH_IJSG_SG_EEES6_PlJNSB_9not_fun_tINSB_10functional5actorINSM_9compositeIJNSM_27transparent_binary_operatorINSA_8equal_toIvEEEENSN_INSM_8argumentILj0EEEEENSM_5valueIiEEEEEEEEEEEE10hipError_tPvRmT3_T4_T5_T6_T7_T9_mT8_P12ihipStream_tbDpT10_ENKUlT_T0_E_clISt17integral_constantIbLb0EES1J_IbLb1EEEEDaS1F_S1G_EUlS1F_E_NS1_11comp_targetILNS1_3genE2ELNS1_11target_archE906ELNS1_3gpuE6ELNS1_3repE0EEENS1_30default_config_static_selectorELNS0_4arch9wavefront6targetE0EEEvT1_,"axG",@progbits,_ZN7rocprim17ROCPRIM_400000_NS6detail17trampoline_kernelINS0_14default_configENS1_25partition_config_selectorILNS1_17partition_subalgoE6EiNS0_10empty_typeEbEEZZNS1_14partition_implILS5_6ELb0ES3_mN6thrust23THRUST_200600_302600_NS6detail15normal_iteratorINSA_10device_ptrIiEEEEPS6_SG_NS0_5tupleIJSF_S6_EEENSH_IJSG_SG_EEES6_PlJNSB_9not_fun_tINSB_10functional5actorINSM_9compositeIJNSM_27transparent_binary_operatorINSA_8equal_toIvEEEENSN_INSM_8argumentILj0EEEEENSM_5valueIiEEEEEEEEEEEE10hipError_tPvRmT3_T4_T5_T6_T7_T9_mT8_P12ihipStream_tbDpT10_ENKUlT_T0_E_clISt17integral_constantIbLb0EES1J_IbLb1EEEEDaS1F_S1G_EUlS1F_E_NS1_11comp_targetILNS1_3genE2ELNS1_11target_archE906ELNS1_3gpuE6ELNS1_3repE0EEENS1_30default_config_static_selectorELNS0_4arch9wavefront6targetE0EEEvT1_,comdat
.Lfunc_end239:
	.size	_ZN7rocprim17ROCPRIM_400000_NS6detail17trampoline_kernelINS0_14default_configENS1_25partition_config_selectorILNS1_17partition_subalgoE6EiNS0_10empty_typeEbEEZZNS1_14partition_implILS5_6ELb0ES3_mN6thrust23THRUST_200600_302600_NS6detail15normal_iteratorINSA_10device_ptrIiEEEEPS6_SG_NS0_5tupleIJSF_S6_EEENSH_IJSG_SG_EEES6_PlJNSB_9not_fun_tINSB_10functional5actorINSM_9compositeIJNSM_27transparent_binary_operatorINSA_8equal_toIvEEEENSN_INSM_8argumentILj0EEEEENSM_5valueIiEEEEEEEEEEEE10hipError_tPvRmT3_T4_T5_T6_T7_T9_mT8_P12ihipStream_tbDpT10_ENKUlT_T0_E_clISt17integral_constantIbLb0EES1J_IbLb1EEEEDaS1F_S1G_EUlS1F_E_NS1_11comp_targetILNS1_3genE2ELNS1_11target_archE906ELNS1_3gpuE6ELNS1_3repE0EEENS1_30default_config_static_selectorELNS0_4arch9wavefront6targetE0EEEvT1_, .Lfunc_end239-_ZN7rocprim17ROCPRIM_400000_NS6detail17trampoline_kernelINS0_14default_configENS1_25partition_config_selectorILNS1_17partition_subalgoE6EiNS0_10empty_typeEbEEZZNS1_14partition_implILS5_6ELb0ES3_mN6thrust23THRUST_200600_302600_NS6detail15normal_iteratorINSA_10device_ptrIiEEEEPS6_SG_NS0_5tupleIJSF_S6_EEENSH_IJSG_SG_EEES6_PlJNSB_9not_fun_tINSB_10functional5actorINSM_9compositeIJNSM_27transparent_binary_operatorINSA_8equal_toIvEEEENSN_INSM_8argumentILj0EEEEENSM_5valueIiEEEEEEEEEEEE10hipError_tPvRmT3_T4_T5_T6_T7_T9_mT8_P12ihipStream_tbDpT10_ENKUlT_T0_E_clISt17integral_constantIbLb0EES1J_IbLb1EEEEDaS1F_S1G_EUlS1F_E_NS1_11comp_targetILNS1_3genE2ELNS1_11target_archE906ELNS1_3gpuE6ELNS1_3repE0EEENS1_30default_config_static_selectorELNS0_4arch9wavefront6targetE0EEEvT1_
                                        ; -- End function
	.set _ZN7rocprim17ROCPRIM_400000_NS6detail17trampoline_kernelINS0_14default_configENS1_25partition_config_selectorILNS1_17partition_subalgoE6EiNS0_10empty_typeEbEEZZNS1_14partition_implILS5_6ELb0ES3_mN6thrust23THRUST_200600_302600_NS6detail15normal_iteratorINSA_10device_ptrIiEEEEPS6_SG_NS0_5tupleIJSF_S6_EEENSH_IJSG_SG_EEES6_PlJNSB_9not_fun_tINSB_10functional5actorINSM_9compositeIJNSM_27transparent_binary_operatorINSA_8equal_toIvEEEENSN_INSM_8argumentILj0EEEEENSM_5valueIiEEEEEEEEEEEE10hipError_tPvRmT3_T4_T5_T6_T7_T9_mT8_P12ihipStream_tbDpT10_ENKUlT_T0_E_clISt17integral_constantIbLb0EES1J_IbLb1EEEEDaS1F_S1G_EUlS1F_E_NS1_11comp_targetILNS1_3genE2ELNS1_11target_archE906ELNS1_3gpuE6ELNS1_3repE0EEENS1_30default_config_static_selectorELNS0_4arch9wavefront6targetE0EEEvT1_.num_vgpr, 0
	.set _ZN7rocprim17ROCPRIM_400000_NS6detail17trampoline_kernelINS0_14default_configENS1_25partition_config_selectorILNS1_17partition_subalgoE6EiNS0_10empty_typeEbEEZZNS1_14partition_implILS5_6ELb0ES3_mN6thrust23THRUST_200600_302600_NS6detail15normal_iteratorINSA_10device_ptrIiEEEEPS6_SG_NS0_5tupleIJSF_S6_EEENSH_IJSG_SG_EEES6_PlJNSB_9not_fun_tINSB_10functional5actorINSM_9compositeIJNSM_27transparent_binary_operatorINSA_8equal_toIvEEEENSN_INSM_8argumentILj0EEEEENSM_5valueIiEEEEEEEEEEEE10hipError_tPvRmT3_T4_T5_T6_T7_T9_mT8_P12ihipStream_tbDpT10_ENKUlT_T0_E_clISt17integral_constantIbLb0EES1J_IbLb1EEEEDaS1F_S1G_EUlS1F_E_NS1_11comp_targetILNS1_3genE2ELNS1_11target_archE906ELNS1_3gpuE6ELNS1_3repE0EEENS1_30default_config_static_selectorELNS0_4arch9wavefront6targetE0EEEvT1_.num_agpr, 0
	.set _ZN7rocprim17ROCPRIM_400000_NS6detail17trampoline_kernelINS0_14default_configENS1_25partition_config_selectorILNS1_17partition_subalgoE6EiNS0_10empty_typeEbEEZZNS1_14partition_implILS5_6ELb0ES3_mN6thrust23THRUST_200600_302600_NS6detail15normal_iteratorINSA_10device_ptrIiEEEEPS6_SG_NS0_5tupleIJSF_S6_EEENSH_IJSG_SG_EEES6_PlJNSB_9not_fun_tINSB_10functional5actorINSM_9compositeIJNSM_27transparent_binary_operatorINSA_8equal_toIvEEEENSN_INSM_8argumentILj0EEEEENSM_5valueIiEEEEEEEEEEEE10hipError_tPvRmT3_T4_T5_T6_T7_T9_mT8_P12ihipStream_tbDpT10_ENKUlT_T0_E_clISt17integral_constantIbLb0EES1J_IbLb1EEEEDaS1F_S1G_EUlS1F_E_NS1_11comp_targetILNS1_3genE2ELNS1_11target_archE906ELNS1_3gpuE6ELNS1_3repE0EEENS1_30default_config_static_selectorELNS0_4arch9wavefront6targetE0EEEvT1_.numbered_sgpr, 0
	.set _ZN7rocprim17ROCPRIM_400000_NS6detail17trampoline_kernelINS0_14default_configENS1_25partition_config_selectorILNS1_17partition_subalgoE6EiNS0_10empty_typeEbEEZZNS1_14partition_implILS5_6ELb0ES3_mN6thrust23THRUST_200600_302600_NS6detail15normal_iteratorINSA_10device_ptrIiEEEEPS6_SG_NS0_5tupleIJSF_S6_EEENSH_IJSG_SG_EEES6_PlJNSB_9not_fun_tINSB_10functional5actorINSM_9compositeIJNSM_27transparent_binary_operatorINSA_8equal_toIvEEEENSN_INSM_8argumentILj0EEEEENSM_5valueIiEEEEEEEEEEEE10hipError_tPvRmT3_T4_T5_T6_T7_T9_mT8_P12ihipStream_tbDpT10_ENKUlT_T0_E_clISt17integral_constantIbLb0EES1J_IbLb1EEEEDaS1F_S1G_EUlS1F_E_NS1_11comp_targetILNS1_3genE2ELNS1_11target_archE906ELNS1_3gpuE6ELNS1_3repE0EEENS1_30default_config_static_selectorELNS0_4arch9wavefront6targetE0EEEvT1_.num_named_barrier, 0
	.set _ZN7rocprim17ROCPRIM_400000_NS6detail17trampoline_kernelINS0_14default_configENS1_25partition_config_selectorILNS1_17partition_subalgoE6EiNS0_10empty_typeEbEEZZNS1_14partition_implILS5_6ELb0ES3_mN6thrust23THRUST_200600_302600_NS6detail15normal_iteratorINSA_10device_ptrIiEEEEPS6_SG_NS0_5tupleIJSF_S6_EEENSH_IJSG_SG_EEES6_PlJNSB_9not_fun_tINSB_10functional5actorINSM_9compositeIJNSM_27transparent_binary_operatorINSA_8equal_toIvEEEENSN_INSM_8argumentILj0EEEEENSM_5valueIiEEEEEEEEEEEE10hipError_tPvRmT3_T4_T5_T6_T7_T9_mT8_P12ihipStream_tbDpT10_ENKUlT_T0_E_clISt17integral_constantIbLb0EES1J_IbLb1EEEEDaS1F_S1G_EUlS1F_E_NS1_11comp_targetILNS1_3genE2ELNS1_11target_archE906ELNS1_3gpuE6ELNS1_3repE0EEENS1_30default_config_static_selectorELNS0_4arch9wavefront6targetE0EEEvT1_.private_seg_size, 0
	.set _ZN7rocprim17ROCPRIM_400000_NS6detail17trampoline_kernelINS0_14default_configENS1_25partition_config_selectorILNS1_17partition_subalgoE6EiNS0_10empty_typeEbEEZZNS1_14partition_implILS5_6ELb0ES3_mN6thrust23THRUST_200600_302600_NS6detail15normal_iteratorINSA_10device_ptrIiEEEEPS6_SG_NS0_5tupleIJSF_S6_EEENSH_IJSG_SG_EEES6_PlJNSB_9not_fun_tINSB_10functional5actorINSM_9compositeIJNSM_27transparent_binary_operatorINSA_8equal_toIvEEEENSN_INSM_8argumentILj0EEEEENSM_5valueIiEEEEEEEEEEEE10hipError_tPvRmT3_T4_T5_T6_T7_T9_mT8_P12ihipStream_tbDpT10_ENKUlT_T0_E_clISt17integral_constantIbLb0EES1J_IbLb1EEEEDaS1F_S1G_EUlS1F_E_NS1_11comp_targetILNS1_3genE2ELNS1_11target_archE906ELNS1_3gpuE6ELNS1_3repE0EEENS1_30default_config_static_selectorELNS0_4arch9wavefront6targetE0EEEvT1_.uses_vcc, 0
	.set _ZN7rocprim17ROCPRIM_400000_NS6detail17trampoline_kernelINS0_14default_configENS1_25partition_config_selectorILNS1_17partition_subalgoE6EiNS0_10empty_typeEbEEZZNS1_14partition_implILS5_6ELb0ES3_mN6thrust23THRUST_200600_302600_NS6detail15normal_iteratorINSA_10device_ptrIiEEEEPS6_SG_NS0_5tupleIJSF_S6_EEENSH_IJSG_SG_EEES6_PlJNSB_9not_fun_tINSB_10functional5actorINSM_9compositeIJNSM_27transparent_binary_operatorINSA_8equal_toIvEEEENSN_INSM_8argumentILj0EEEEENSM_5valueIiEEEEEEEEEEEE10hipError_tPvRmT3_T4_T5_T6_T7_T9_mT8_P12ihipStream_tbDpT10_ENKUlT_T0_E_clISt17integral_constantIbLb0EES1J_IbLb1EEEEDaS1F_S1G_EUlS1F_E_NS1_11comp_targetILNS1_3genE2ELNS1_11target_archE906ELNS1_3gpuE6ELNS1_3repE0EEENS1_30default_config_static_selectorELNS0_4arch9wavefront6targetE0EEEvT1_.uses_flat_scratch, 0
	.set _ZN7rocprim17ROCPRIM_400000_NS6detail17trampoline_kernelINS0_14default_configENS1_25partition_config_selectorILNS1_17partition_subalgoE6EiNS0_10empty_typeEbEEZZNS1_14partition_implILS5_6ELb0ES3_mN6thrust23THRUST_200600_302600_NS6detail15normal_iteratorINSA_10device_ptrIiEEEEPS6_SG_NS0_5tupleIJSF_S6_EEENSH_IJSG_SG_EEES6_PlJNSB_9not_fun_tINSB_10functional5actorINSM_9compositeIJNSM_27transparent_binary_operatorINSA_8equal_toIvEEEENSN_INSM_8argumentILj0EEEEENSM_5valueIiEEEEEEEEEEEE10hipError_tPvRmT3_T4_T5_T6_T7_T9_mT8_P12ihipStream_tbDpT10_ENKUlT_T0_E_clISt17integral_constantIbLb0EES1J_IbLb1EEEEDaS1F_S1G_EUlS1F_E_NS1_11comp_targetILNS1_3genE2ELNS1_11target_archE906ELNS1_3gpuE6ELNS1_3repE0EEENS1_30default_config_static_selectorELNS0_4arch9wavefront6targetE0EEEvT1_.has_dyn_sized_stack, 0
	.set _ZN7rocprim17ROCPRIM_400000_NS6detail17trampoline_kernelINS0_14default_configENS1_25partition_config_selectorILNS1_17partition_subalgoE6EiNS0_10empty_typeEbEEZZNS1_14partition_implILS5_6ELb0ES3_mN6thrust23THRUST_200600_302600_NS6detail15normal_iteratorINSA_10device_ptrIiEEEEPS6_SG_NS0_5tupleIJSF_S6_EEENSH_IJSG_SG_EEES6_PlJNSB_9not_fun_tINSB_10functional5actorINSM_9compositeIJNSM_27transparent_binary_operatorINSA_8equal_toIvEEEENSN_INSM_8argumentILj0EEEEENSM_5valueIiEEEEEEEEEEEE10hipError_tPvRmT3_T4_T5_T6_T7_T9_mT8_P12ihipStream_tbDpT10_ENKUlT_T0_E_clISt17integral_constantIbLb0EES1J_IbLb1EEEEDaS1F_S1G_EUlS1F_E_NS1_11comp_targetILNS1_3genE2ELNS1_11target_archE906ELNS1_3gpuE6ELNS1_3repE0EEENS1_30default_config_static_selectorELNS0_4arch9wavefront6targetE0EEEvT1_.has_recursion, 0
	.set _ZN7rocprim17ROCPRIM_400000_NS6detail17trampoline_kernelINS0_14default_configENS1_25partition_config_selectorILNS1_17partition_subalgoE6EiNS0_10empty_typeEbEEZZNS1_14partition_implILS5_6ELb0ES3_mN6thrust23THRUST_200600_302600_NS6detail15normal_iteratorINSA_10device_ptrIiEEEEPS6_SG_NS0_5tupleIJSF_S6_EEENSH_IJSG_SG_EEES6_PlJNSB_9not_fun_tINSB_10functional5actorINSM_9compositeIJNSM_27transparent_binary_operatorINSA_8equal_toIvEEEENSN_INSM_8argumentILj0EEEEENSM_5valueIiEEEEEEEEEEEE10hipError_tPvRmT3_T4_T5_T6_T7_T9_mT8_P12ihipStream_tbDpT10_ENKUlT_T0_E_clISt17integral_constantIbLb0EES1J_IbLb1EEEEDaS1F_S1G_EUlS1F_E_NS1_11comp_targetILNS1_3genE2ELNS1_11target_archE906ELNS1_3gpuE6ELNS1_3repE0EEENS1_30default_config_static_selectorELNS0_4arch9wavefront6targetE0EEEvT1_.has_indirect_call, 0
	.section	.AMDGPU.csdata,"",@progbits
; Kernel info:
; codeLenInByte = 0
; TotalNumSgprs: 0
; NumVgprs: 0
; ScratchSize: 0
; MemoryBound: 0
; FloatMode: 240
; IeeeMode: 1
; LDSByteSize: 0 bytes/workgroup (compile time only)
; SGPRBlocks: 0
; VGPRBlocks: 0
; NumSGPRsForWavesPerEU: 1
; NumVGPRsForWavesPerEU: 1
; Occupancy: 16
; WaveLimiterHint : 0
; COMPUTE_PGM_RSRC2:SCRATCH_EN: 0
; COMPUTE_PGM_RSRC2:USER_SGPR: 2
; COMPUTE_PGM_RSRC2:TRAP_HANDLER: 0
; COMPUTE_PGM_RSRC2:TGID_X_EN: 1
; COMPUTE_PGM_RSRC2:TGID_Y_EN: 0
; COMPUTE_PGM_RSRC2:TGID_Z_EN: 0
; COMPUTE_PGM_RSRC2:TIDIG_COMP_CNT: 0
	.section	.text._ZN7rocprim17ROCPRIM_400000_NS6detail17trampoline_kernelINS0_14default_configENS1_25partition_config_selectorILNS1_17partition_subalgoE6EiNS0_10empty_typeEbEEZZNS1_14partition_implILS5_6ELb0ES3_mN6thrust23THRUST_200600_302600_NS6detail15normal_iteratorINSA_10device_ptrIiEEEEPS6_SG_NS0_5tupleIJSF_S6_EEENSH_IJSG_SG_EEES6_PlJNSB_9not_fun_tINSB_10functional5actorINSM_9compositeIJNSM_27transparent_binary_operatorINSA_8equal_toIvEEEENSN_INSM_8argumentILj0EEEEENSM_5valueIiEEEEEEEEEEEE10hipError_tPvRmT3_T4_T5_T6_T7_T9_mT8_P12ihipStream_tbDpT10_ENKUlT_T0_E_clISt17integral_constantIbLb0EES1J_IbLb1EEEEDaS1F_S1G_EUlS1F_E_NS1_11comp_targetILNS1_3genE10ELNS1_11target_archE1200ELNS1_3gpuE4ELNS1_3repE0EEENS1_30default_config_static_selectorELNS0_4arch9wavefront6targetE0EEEvT1_,"axG",@progbits,_ZN7rocprim17ROCPRIM_400000_NS6detail17trampoline_kernelINS0_14default_configENS1_25partition_config_selectorILNS1_17partition_subalgoE6EiNS0_10empty_typeEbEEZZNS1_14partition_implILS5_6ELb0ES3_mN6thrust23THRUST_200600_302600_NS6detail15normal_iteratorINSA_10device_ptrIiEEEEPS6_SG_NS0_5tupleIJSF_S6_EEENSH_IJSG_SG_EEES6_PlJNSB_9not_fun_tINSB_10functional5actorINSM_9compositeIJNSM_27transparent_binary_operatorINSA_8equal_toIvEEEENSN_INSM_8argumentILj0EEEEENSM_5valueIiEEEEEEEEEEEE10hipError_tPvRmT3_T4_T5_T6_T7_T9_mT8_P12ihipStream_tbDpT10_ENKUlT_T0_E_clISt17integral_constantIbLb0EES1J_IbLb1EEEEDaS1F_S1G_EUlS1F_E_NS1_11comp_targetILNS1_3genE10ELNS1_11target_archE1200ELNS1_3gpuE4ELNS1_3repE0EEENS1_30default_config_static_selectorELNS0_4arch9wavefront6targetE0EEEvT1_,comdat
	.protected	_ZN7rocprim17ROCPRIM_400000_NS6detail17trampoline_kernelINS0_14default_configENS1_25partition_config_selectorILNS1_17partition_subalgoE6EiNS0_10empty_typeEbEEZZNS1_14partition_implILS5_6ELb0ES3_mN6thrust23THRUST_200600_302600_NS6detail15normal_iteratorINSA_10device_ptrIiEEEEPS6_SG_NS0_5tupleIJSF_S6_EEENSH_IJSG_SG_EEES6_PlJNSB_9not_fun_tINSB_10functional5actorINSM_9compositeIJNSM_27transparent_binary_operatorINSA_8equal_toIvEEEENSN_INSM_8argumentILj0EEEEENSM_5valueIiEEEEEEEEEEEE10hipError_tPvRmT3_T4_T5_T6_T7_T9_mT8_P12ihipStream_tbDpT10_ENKUlT_T0_E_clISt17integral_constantIbLb0EES1J_IbLb1EEEEDaS1F_S1G_EUlS1F_E_NS1_11comp_targetILNS1_3genE10ELNS1_11target_archE1200ELNS1_3gpuE4ELNS1_3repE0EEENS1_30default_config_static_selectorELNS0_4arch9wavefront6targetE0EEEvT1_ ; -- Begin function _ZN7rocprim17ROCPRIM_400000_NS6detail17trampoline_kernelINS0_14default_configENS1_25partition_config_selectorILNS1_17partition_subalgoE6EiNS0_10empty_typeEbEEZZNS1_14partition_implILS5_6ELb0ES3_mN6thrust23THRUST_200600_302600_NS6detail15normal_iteratorINSA_10device_ptrIiEEEEPS6_SG_NS0_5tupleIJSF_S6_EEENSH_IJSG_SG_EEES6_PlJNSB_9not_fun_tINSB_10functional5actorINSM_9compositeIJNSM_27transparent_binary_operatorINSA_8equal_toIvEEEENSN_INSM_8argumentILj0EEEEENSM_5valueIiEEEEEEEEEEEE10hipError_tPvRmT3_T4_T5_T6_T7_T9_mT8_P12ihipStream_tbDpT10_ENKUlT_T0_E_clISt17integral_constantIbLb0EES1J_IbLb1EEEEDaS1F_S1G_EUlS1F_E_NS1_11comp_targetILNS1_3genE10ELNS1_11target_archE1200ELNS1_3gpuE4ELNS1_3repE0EEENS1_30default_config_static_selectorELNS0_4arch9wavefront6targetE0EEEvT1_
	.globl	_ZN7rocprim17ROCPRIM_400000_NS6detail17trampoline_kernelINS0_14default_configENS1_25partition_config_selectorILNS1_17partition_subalgoE6EiNS0_10empty_typeEbEEZZNS1_14partition_implILS5_6ELb0ES3_mN6thrust23THRUST_200600_302600_NS6detail15normal_iteratorINSA_10device_ptrIiEEEEPS6_SG_NS0_5tupleIJSF_S6_EEENSH_IJSG_SG_EEES6_PlJNSB_9not_fun_tINSB_10functional5actorINSM_9compositeIJNSM_27transparent_binary_operatorINSA_8equal_toIvEEEENSN_INSM_8argumentILj0EEEEENSM_5valueIiEEEEEEEEEEEE10hipError_tPvRmT3_T4_T5_T6_T7_T9_mT8_P12ihipStream_tbDpT10_ENKUlT_T0_E_clISt17integral_constantIbLb0EES1J_IbLb1EEEEDaS1F_S1G_EUlS1F_E_NS1_11comp_targetILNS1_3genE10ELNS1_11target_archE1200ELNS1_3gpuE4ELNS1_3repE0EEENS1_30default_config_static_selectorELNS0_4arch9wavefront6targetE0EEEvT1_
	.p2align	8
	.type	_ZN7rocprim17ROCPRIM_400000_NS6detail17trampoline_kernelINS0_14default_configENS1_25partition_config_selectorILNS1_17partition_subalgoE6EiNS0_10empty_typeEbEEZZNS1_14partition_implILS5_6ELb0ES3_mN6thrust23THRUST_200600_302600_NS6detail15normal_iteratorINSA_10device_ptrIiEEEEPS6_SG_NS0_5tupleIJSF_S6_EEENSH_IJSG_SG_EEES6_PlJNSB_9not_fun_tINSB_10functional5actorINSM_9compositeIJNSM_27transparent_binary_operatorINSA_8equal_toIvEEEENSN_INSM_8argumentILj0EEEEENSM_5valueIiEEEEEEEEEEEE10hipError_tPvRmT3_T4_T5_T6_T7_T9_mT8_P12ihipStream_tbDpT10_ENKUlT_T0_E_clISt17integral_constantIbLb0EES1J_IbLb1EEEEDaS1F_S1G_EUlS1F_E_NS1_11comp_targetILNS1_3genE10ELNS1_11target_archE1200ELNS1_3gpuE4ELNS1_3repE0EEENS1_30default_config_static_selectorELNS0_4arch9wavefront6targetE0EEEvT1_,@function
_ZN7rocprim17ROCPRIM_400000_NS6detail17trampoline_kernelINS0_14default_configENS1_25partition_config_selectorILNS1_17partition_subalgoE6EiNS0_10empty_typeEbEEZZNS1_14partition_implILS5_6ELb0ES3_mN6thrust23THRUST_200600_302600_NS6detail15normal_iteratorINSA_10device_ptrIiEEEEPS6_SG_NS0_5tupleIJSF_S6_EEENSH_IJSG_SG_EEES6_PlJNSB_9not_fun_tINSB_10functional5actorINSM_9compositeIJNSM_27transparent_binary_operatorINSA_8equal_toIvEEEENSN_INSM_8argumentILj0EEEEENSM_5valueIiEEEEEEEEEEEE10hipError_tPvRmT3_T4_T5_T6_T7_T9_mT8_P12ihipStream_tbDpT10_ENKUlT_T0_E_clISt17integral_constantIbLb0EES1J_IbLb1EEEEDaS1F_S1G_EUlS1F_E_NS1_11comp_targetILNS1_3genE10ELNS1_11target_archE1200ELNS1_3gpuE4ELNS1_3repE0EEENS1_30default_config_static_selectorELNS0_4arch9wavefront6targetE0EEEvT1_: ; @_ZN7rocprim17ROCPRIM_400000_NS6detail17trampoline_kernelINS0_14default_configENS1_25partition_config_selectorILNS1_17partition_subalgoE6EiNS0_10empty_typeEbEEZZNS1_14partition_implILS5_6ELb0ES3_mN6thrust23THRUST_200600_302600_NS6detail15normal_iteratorINSA_10device_ptrIiEEEEPS6_SG_NS0_5tupleIJSF_S6_EEENSH_IJSG_SG_EEES6_PlJNSB_9not_fun_tINSB_10functional5actorINSM_9compositeIJNSM_27transparent_binary_operatorINSA_8equal_toIvEEEENSN_INSM_8argumentILj0EEEEENSM_5valueIiEEEEEEEEEEEE10hipError_tPvRmT3_T4_T5_T6_T7_T9_mT8_P12ihipStream_tbDpT10_ENKUlT_T0_E_clISt17integral_constantIbLb0EES1J_IbLb1EEEEDaS1F_S1G_EUlS1F_E_NS1_11comp_targetILNS1_3genE10ELNS1_11target_archE1200ELNS1_3gpuE4ELNS1_3repE0EEENS1_30default_config_static_selectorELNS0_4arch9wavefront6targetE0EEEvT1_
; %bb.0:
	s_clause 0x3
	s_load_b64 s[12:13], s[0:1], 0x28
	s_load_b128 s[8:11], s[0:1], 0x40
	s_load_b64 s[16:17], s[0:1], 0x50
	s_load_b64 s[14:15], s[0:1], 0x60
	v_cmp_eq_u32_e64 s2, 0, v0
	s_and_saveexec_b32 s3, s2
	s_cbranch_execz .LBB240_4
; %bb.1:
	s_mov_b32 s5, exec_lo
	s_mov_b32 s4, exec_lo
	v_mbcnt_lo_u32_b32 v1, s5, 0
                                        ; implicit-def: $vgpr2
	s_delay_alu instid0(VALU_DEP_1)
	v_cmpx_eq_u32_e32 0, v1
	s_cbranch_execz .LBB240_3
; %bb.2:
	s_load_b64 s[6:7], s[0:1], 0x70
	s_bcnt1_i32_b32 s5, s5
	s_wait_alu 0xfffe
	v_dual_mov_b32 v2, 0 :: v_dual_mov_b32 v3, s5
	s_wait_kmcnt 0x0
	global_atomic_add_u32 v2, v2, v3, s[6:7] th:TH_ATOMIC_RETURN scope:SCOPE_DEV
.LBB240_3:
	s_or_b32 exec_lo, exec_lo, s4
	s_wait_loadcnt 0x0
	v_readfirstlane_b32 s4, v2
	s_wait_alu 0xf1ff
	s_delay_alu instid0(VALU_DEP_1)
	v_dual_mov_b32 v2, 0 :: v_dual_add_nc_u32 v1, s4, v1
	ds_store_b32 v2, v1
.LBB240_4:
	s_or_b32 exec_lo, exec_lo, s3
	v_mov_b32_e32 v2, 0
	s_clause 0x2
	s_load_b128 s[4:7], s[0:1], 0x8
	s_load_b32 s3, s[0:1], 0x68
	s_load_b32 s19, s[0:1], 0x7c
	s_wait_dscnt 0x0
	s_barrier_signal -1
	s_barrier_wait -1
	global_inv scope:SCOPE_SE
	ds_load_b32 v1, v2
	s_wait_loadcnt_dscnt 0x0
	s_barrier_signal -1
	s_barrier_wait -1
	global_inv scope:SCOPE_SE
	s_wait_kmcnt 0x0
	global_load_b64 v[9:10], v2, s[10:11]
	s_mov_b32 s1, 0
	v_lshlrev_b32_e32 v8, 2, v0
	s_lshl_b64 s[10:11], s[6:7], 2
	s_mul_i32 s0, s3, 0xa80
	s_add_co_i32 s20, s3, -1
	s_add_co_i32 s3, s0, s6
	s_add_nc_u64 s[6:7], s[6:7], s[0:1]
	s_sub_co_i32 s0, s16, s3
	v_cmp_le_u64_e64 s1, s[16:17], s[6:7]
	v_readfirstlane_b32 s18, v1
	v_mul_lo_u32 v1, 0xa80, v1
	s_add_nc_u64 s[4:5], s[4:5], s[10:11]
	s_cmp_eq_u32 s18, s20
	s_cselect_b32 s7, -1, 0
	s_delay_alu instid0(VALU_DEP_1) | instskip(SKIP_2) | instid1(SALU_CYCLE_1)
	v_lshlrev_b64_e32 v[1:2], 2, v[1:2]
	s_wait_alu 0xfffe
	s_and_b32 s1, s1, s7
	s_xor_b32 s10, s1, -1
	s_mov_b32 s1, -1
	s_delay_alu instid0(VALU_DEP_1) | instskip(NEXT) | instid1(VALU_DEP_1)
	v_add_co_u32 v11, vcc_lo, s4, v1
	v_add_co_ci_u32_e64 v12, null, s5, v2, vcc_lo
	s_and_b32 vcc_lo, exec_lo, s10
	s_wait_alu 0xfffe
	s_cbranch_vccz .LBB240_6
; %bb.5:
	v_add_co_u32 v1, vcc_lo, v11, v8
	s_wait_alu 0xfffd
	v_add_co_ci_u32_e64 v2, null, 0, v12, vcc_lo
	s_mov_b32 s1, 0
	s_clause 0x6
	flat_load_b32 v3, v[1:2]
	flat_load_b32 v4, v[1:2] offset:1536
	flat_load_b32 v5, v[1:2] offset:3072
	;; [unrolled: 1-line block ×6, first 2 shown]
	s_wait_loadcnt_dscnt 0x505
	ds_store_2addr_stride64_b32 v8, v3, v4 offset1:6
	s_wait_loadcnt_dscnt 0x304
	ds_store_2addr_stride64_b32 v8, v5, v6 offset0:12 offset1:18
	s_wait_loadcnt_dscnt 0x103
	ds_store_2addr_stride64_b32 v8, v7, v13 offset0:24 offset1:30
	s_wait_loadcnt_dscnt 0x3
	ds_store_b32 v8, v1 offset:9216
	s_wait_dscnt 0x0
	s_barrier_signal -1
	s_barrier_wait -1
.LBB240_6:
	s_and_not1_b32 vcc_lo, exec_lo, s1
	s_add_co_i32 s16, s0, 0xa80
	s_wait_alu 0xfffe
	s_cbranch_vccnz .LBB240_22
; %bb.7:
	v_mov_b32_e32 v1, 0
	s_mov_b32 s0, exec_lo
	s_delay_alu instid0(VALU_DEP_1)
	v_dual_mov_b32 v2, v1 :: v_dual_mov_b32 v3, v1
	v_dual_mov_b32 v4, v1 :: v_dual_mov_b32 v5, v1
	;; [unrolled: 1-line block ×3, first 2 shown]
	v_cmpx_gt_u32_e64 s16, v0
	s_cbranch_execz .LBB240_9
; %bb.8:
	v_add_co_u32 v2, vcc_lo, v11, v8
	s_wait_alu 0xfffd
	v_add_co_ci_u32_e64 v3, null, 0, v12, vcc_lo
	v_dual_mov_b32 v14, v1 :: v_dual_mov_b32 v15, v1
	v_dual_mov_b32 v16, v1 :: v_dual_mov_b32 v17, v1
	flat_load_b32 v13, v[2:3]
	v_dual_mov_b32 v18, v1 :: v_dual_mov_b32 v19, v1
	s_wait_loadcnt_dscnt 0x0
	v_dual_mov_b32 v1, v13 :: v_dual_mov_b32 v2, v14
	v_dual_mov_b32 v3, v15 :: v_dual_mov_b32 v4, v16
	s_delay_alu instid0(VALU_DEP_3)
	v_dual_mov_b32 v5, v17 :: v_dual_mov_b32 v6, v18
	v_mov_b32_e32 v7, v19
.LBB240_9:
	s_or_b32 exec_lo, exec_lo, s0
	v_add_nc_u32_e32 v13, 0x180, v0
	s_mov_b32 s0, exec_lo
	s_delay_alu instid0(VALU_DEP_1)
	v_cmpx_gt_u32_e64 s16, v13
	s_cbranch_execz .LBB240_11
; %bb.10:
	v_add_co_u32 v13, vcc_lo, v11, v8
	s_wait_alu 0xfffd
	v_add_co_ci_u32_e64 v14, null, 0, v12, vcc_lo
	flat_load_b32 v2, v[13:14] offset:1536
.LBB240_11:
	s_or_b32 exec_lo, exec_lo, s0
	v_add_nc_u32_e32 v13, 0x300, v0
	s_mov_b32 s0, exec_lo
	s_delay_alu instid0(VALU_DEP_1)
	v_cmpx_gt_u32_e64 s16, v13
	s_cbranch_execz .LBB240_13
; %bb.12:
	v_add_co_u32 v13, vcc_lo, v11, v8
	s_wait_alu 0xfffd
	v_add_co_ci_u32_e64 v14, null, 0, v12, vcc_lo
	flat_load_b32 v3, v[13:14] offset:3072
.LBB240_13:
	;; [unrolled: 12-line block ×3, first 2 shown]
	s_or_b32 exec_lo, exec_lo, s0
	v_or_b32_e32 v13, 0x600, v0
	s_mov_b32 s0, exec_lo
	s_delay_alu instid0(VALU_DEP_1)
	v_cmpx_gt_u32_e64 s16, v13
	s_cbranch_execz .LBB240_17
; %bb.16:
	v_add_co_u32 v13, vcc_lo, v11, v8
	s_wait_alu 0xfffd
	v_add_co_ci_u32_e64 v14, null, 0, v12, vcc_lo
	flat_load_b32 v5, v[13:14] offset:6144
.LBB240_17:
	s_or_b32 exec_lo, exec_lo, s0
	v_add_nc_u32_e32 v13, 0x780, v0
	s_mov_b32 s0, exec_lo
	s_delay_alu instid0(VALU_DEP_1)
	v_cmpx_gt_u32_e64 s16, v13
	s_cbranch_execz .LBB240_19
; %bb.18:
	v_add_co_u32 v13, vcc_lo, v11, v8
	s_wait_alu 0xfffd
	v_add_co_ci_u32_e64 v14, null, 0, v12, vcc_lo
	flat_load_b32 v6, v[13:14] offset:7680
.LBB240_19:
	s_or_b32 exec_lo, exec_lo, s0
	v_add_nc_u32_e32 v13, 0x900, v0
	s_mov_b32 s0, exec_lo
	s_delay_alu instid0(VALU_DEP_1)
	v_cmpx_gt_u32_e64 s16, v13
	s_cbranch_execz .LBB240_21
; %bb.20:
	v_add_co_u32 v11, vcc_lo, v11, v8
	s_wait_alu 0xfffd
	v_add_co_ci_u32_e64 v12, null, 0, v12, vcc_lo
	flat_load_b32 v7, v[11:12] offset:9216
.LBB240_21:
	s_or_b32 exec_lo, exec_lo, s0
	s_wait_loadcnt_dscnt 0x0
	ds_store_2addr_stride64_b32 v8, v1, v2 offset1:6
	ds_store_2addr_stride64_b32 v8, v3, v4 offset0:12 offset1:18
	ds_store_2addr_stride64_b32 v8, v5, v6 offset0:24 offset1:30
	ds_store_b32 v8, v7 offset:9216
	s_wait_dscnt 0x0
	s_barrier_signal -1
	s_barrier_wait -1
.LBB240_22:
	v_mul_u32_u24_e32 v1, 7, v0
	s_wait_loadcnt 0x0
	global_inv scope:SCOPE_SE
	s_and_not1_b32 vcc_lo, exec_lo, s10
	v_lshlrev_b32_e32 v32, 2, v1
	ds_load_2addr_b32 v[11:12], v32 offset0:4 offset1:5
	ds_load_b32 v33, v32 offset:24
	ds_load_2addr_b32 v[15:16], v32 offset1:1
	ds_load_2addr_b32 v[13:14], v32 offset0:2 offset1:3
	s_wait_loadcnt_dscnt 0x0
	s_barrier_signal -1
	s_barrier_wait -1
	global_inv scope:SCOPE_SE
	v_cmp_ne_u32_e64 s0, s19, v11
	v_cmp_ne_u32_e64 s11, s19, v33
	;; [unrolled: 1-line block ×7, first 2 shown]
	s_wait_alu 0xfffe
	s_cbranch_vccnz .LBB240_24
; %bb.23:
	s_wait_alu 0xf1ff
	v_cndmask_b32_e64 v2, 0, 1, s5
	v_cndmask_b32_e64 v3, 0, 1, s6
	;; [unrolled: 1-line block ×5, first 2 shown]
	v_lshlrev_b16 v2, 8, v2
	v_lshlrev_b16 v3, 8, v3
	v_cndmask_b32_e64 v34, 0, 1, s1
	s_delay_alu instid0(VALU_DEP_3) | instskip(NEXT) | instid1(VALU_DEP_3)
	v_or_b32_e32 v2, v4, v2
	v_or_b32_e32 v3, v5, v3
	s_delay_alu instid0(VALU_DEP_2) | instskip(NEXT) | instid1(VALU_DEP_2)
	v_and_b32_e32 v2, 0xffff, v2
	v_lshlrev_b32_e32 v3, 16, v3
	s_delay_alu instid0(VALU_DEP_1)
	v_or_b32_e32 v31, v2, v3
	s_cbranch_execz .LBB240_25
	s_branch .LBB240_26
.LBB240_24:
                                        ; implicit-def: $sgpr11
                                        ; implicit-def: $vgpr34
                                        ; implicit-def: $vgpr35
                                        ; implicit-def: $vgpr31
.LBB240_25:
	v_add_nc_u32_e32 v2, 1, v1
	v_cmp_ne_u32_e32 vcc_lo, s19, v16
	v_add_nc_u32_e32 v3, 3, v1
	v_cmp_ne_u32_e64 s0, s19, v15
	v_cmp_ne_u32_e64 s3, s19, v14
	v_cmp_gt_u32_e64 s1, s16, v2
	v_add_nc_u32_e32 v2, 2, v1
	v_cmp_gt_u32_e64 s5, s16, v3
	v_cmp_ne_u32_e64 s4, s19, v13
	v_add_nc_u32_e32 v5, 5, v1
	s_and_b32 s1, s1, vcc_lo
	v_cmp_gt_u32_e32 vcc_lo, s16, v1
	s_wait_alu 0xfffe
	v_cndmask_b32_e64 v3, 0, 1, s1
	v_cmp_gt_u32_e64 s1, s16, v2
	s_and_b32 s3, s5, s3
	s_and_b32 s0, vcc_lo, s0
	v_lshlrev_b16 v3, 8, v3
	s_wait_alu 0xfffe
	v_cndmask_b32_e64 v4, 0, 1, s0
	v_cndmask_b32_e64 v2, 0, 1, s3
	s_and_b32 s0, s1, s4
	v_cmp_ne_u32_e32 vcc_lo, s19, v12
	s_wait_alu 0xfffe
	v_cndmask_b32_e64 v6, 0, 1, s0
	v_cmp_gt_u32_e64 s0, s16, v5
	v_or_b32_e32 v3, v4, v3
	v_add_nc_u32_e32 v4, 4, v1
	v_lshlrev_b16 v2, 8, v2
	v_cmp_ne_u32_e64 s1, s19, v11
	s_and_b32 s0, s0, vcc_lo
	v_add_nc_u32_e32 v1, 6, v1
	v_cmp_gt_u32_e32 vcc_lo, s16, v4
	v_or_b32_e32 v2, v6, v2
	s_wait_alu 0xfffe
	v_cndmask_b32_e64 v34, 0, 1, s0
	v_and_b32_e32 v3, 0xffff, v3
	s_and_b32 s0, vcc_lo, s1
	v_cmp_gt_u32_e32 vcc_lo, s16, v1
	s_wait_alu 0xfffe
	v_cndmask_b32_e64 v5, 0, 1, s0
	v_cmp_ne_u32_e64 s0, s19, v33
	v_lshlrev_b32_e32 v2, 16, v2
	v_lshlrev_b16 v4, 8, v34
	s_and_not1_b32 s1, s11, exec_lo
	s_and_b32 s0, vcc_lo, s0
	s_delay_alu instid0(VALU_DEP_2) | instskip(NEXT) | instid1(VALU_DEP_2)
	v_or_b32_e32 v31, v3, v2
	v_or_b32_e32 v35, v5, v4
	s_wait_alu 0xfffe
	s_and_b32 s0, s0, exec_lo
	s_wait_alu 0xfffe
	s_or_b32 s11, s1, s0
.LBB240_26:
	s_delay_alu instid0(VALU_DEP_1)
	v_dual_mov_b32 v2, 0 :: v_dual_and_b32 v39, 0xff, v31
	v_bfe_u32 v38, v31, 8, 8
	v_cndmask_b32_e64 v1, 0, 1, s11
	v_bfe_u32 v41, v31, 16, 8
	v_lshrrev_b32_e32 v36, 24, v31
	v_and_b32_e32 v40, 0xff, v35
	v_mbcnt_lo_u32_b32 v42, -1, 0
	v_add3_u32 v1, v39, v1, v38
	v_and_b32_e32 v37, 0xff, v34
	s_cmp_lg_u32 s18, 0
	s_mov_b32 s1, -1
	v_and_b32_e32 v43, 15, v42
	v_add_co_u32 v1, s0, v1, v41
	s_wait_alu 0xf1ff
	v_add_co_ci_u32_e64 v3, null, 0, 0, s0
	s_delay_alu instid0(VALU_DEP_3) | instskip(NEXT) | instid1(VALU_DEP_3)
	v_cmp_ne_u32_e64 s0, 0, v43
	v_add_co_u32 v1, vcc_lo, v1, v36
	s_wait_alu 0xfffd
	s_delay_alu instid0(VALU_DEP_3) | instskip(NEXT) | instid1(VALU_DEP_2)
	v_add_co_ci_u32_e64 v3, null, 0, v3, vcc_lo
	v_add_co_u32 v1, vcc_lo, v1, v40
	s_wait_alu 0xfffd
	s_delay_alu instid0(VALU_DEP_2) | instskip(NEXT) | instid1(VALU_DEP_2)
	v_add_co_ci_u32_e64 v3, null, 0, v3, vcc_lo
	v_add_co_u32 v17, vcc_lo, v1, v37
	s_wait_alu 0xfffd
	s_delay_alu instid0(VALU_DEP_2)
	v_add_co_ci_u32_e64 v18, null, 0, v3, vcc_lo
	s_cbranch_scc0 .LBB240_85
; %bb.27:
	v_mov_b32_e32 v3, v17
	v_mov_b32_dpp v1, v17 row_shr:1 row_mask:0xf bank_mask:0xf
	v_mov_b32_dpp v6, v2 row_shr:1 row_mask:0xf bank_mask:0xf
	v_dual_mov_b32 v5, v17 :: v_dual_mov_b32 v4, v18
	s_and_saveexec_b32 s1, s0
; %bb.28:
	s_delay_alu instid0(VALU_DEP_3) | instskip(SKIP_2) | instid1(VALU_DEP_2)
	v_add_co_u32 v5, vcc_lo, v17, v1
	s_wait_alu 0xfffd
	v_add_co_ci_u32_e64 v2, null, 0, v18, vcc_lo
	v_add_co_u32 v1, vcc_lo, 0, v5
	s_wait_alu 0xfffd
	s_delay_alu instid0(VALU_DEP_2) | instskip(NEXT) | instid1(VALU_DEP_1)
	v_add_co_ci_u32_e64 v2, null, v6, v2, vcc_lo
	v_dual_mov_b32 v4, v2 :: v_dual_mov_b32 v3, v1
; %bb.29:
	s_wait_alu 0xfffe
	s_or_b32 exec_lo, exec_lo, s1
	v_mov_b32_dpp v1, v5 row_shr:2 row_mask:0xf bank_mask:0xf
	v_mov_b32_dpp v6, v2 row_shr:2 row_mask:0xf bank_mask:0xf
	v_cmp_lt_u32_e32 vcc_lo, 1, v43
	s_and_saveexec_b32 s3, vcc_lo
; %bb.30:
	s_delay_alu instid0(VALU_DEP_3) | instskip(SKIP_2) | instid1(VALU_DEP_2)
	v_add_co_u32 v5, s1, v3, v1
	s_wait_alu 0xf1ff
	v_add_co_ci_u32_e64 v2, null, 0, v4, s1
	v_add_co_u32 v1, s1, 0, v5
	s_wait_alu 0xf1ff
	s_delay_alu instid0(VALU_DEP_2) | instskip(NEXT) | instid1(VALU_DEP_1)
	v_add_co_ci_u32_e64 v2, null, v6, v2, s1
	v_dual_mov_b32 v4, v2 :: v_dual_mov_b32 v3, v1
; %bb.31:
	s_wait_alu 0xfffe
	s_or_b32 exec_lo, exec_lo, s3
	v_mov_b32_dpp v1, v5 row_shr:4 row_mask:0xf bank_mask:0xf
	v_mov_b32_dpp v6, v2 row_shr:4 row_mask:0xf bank_mask:0xf
	v_cmp_lt_u32_e64 s1, 3, v43
	s_and_saveexec_b32 s4, s1
; %bb.32:
	v_add_co_u32 v5, s3, v3, v1
	s_wait_alu 0xf1ff
	v_add_co_ci_u32_e64 v2, null, 0, v4, s3
	s_delay_alu instid0(VALU_DEP_2) | instskip(SKIP_1) | instid1(VALU_DEP_2)
	v_add_co_u32 v1, s3, 0, v5
	s_wait_alu 0xf1ff
	v_add_co_ci_u32_e64 v2, null, v6, v2, s3
	s_delay_alu instid0(VALU_DEP_1)
	v_dual_mov_b32 v4, v2 :: v_dual_mov_b32 v3, v1
; %bb.33:
	s_wait_alu 0xfffe
	s_or_b32 exec_lo, exec_lo, s4
	v_mov_b32_dpp v6, v5 row_shr:8 row_mask:0xf bank_mask:0xf
	v_mov_b32_dpp v1, v2 row_shr:8 row_mask:0xf bank_mask:0xf
	v_cmp_lt_u32_e64 s3, 7, v43
	s_and_saveexec_b32 s5, s3
; %bb.34:
	v_add_co_u32 v5, s4, v3, v6
	s_wait_alu 0xf1ff
	v_add_co_ci_u32_e64 v2, null, 0, v4, s4
	s_delay_alu instid0(VALU_DEP_2) | instskip(SKIP_1) | instid1(VALU_DEP_2)
	v_add_co_u32 v3, s4, 0, v5
	s_wait_alu 0xf1ff
	v_add_co_ci_u32_e64 v4, null, v1, v2, s4
	s_delay_alu instid0(VALU_DEP_1)
	v_mov_b32_e32 v2, v4
; %bb.35:
	s_wait_alu 0xfffe
	s_or_b32 exec_lo, exec_lo, s5
	ds_swizzle_b32 v1, v5 offset:swizzle(BROADCAST,32,15)
	ds_swizzle_b32 v6, v2 offset:swizzle(BROADCAST,32,15)
	v_and_b32_e32 v7, 16, v42
	s_mov_b32 s5, exec_lo
	s_delay_alu instid0(VALU_DEP_1)
	v_cmpx_ne_u32_e32 0, v7
	s_cbranch_execz .LBB240_37
; %bb.36:
	s_wait_dscnt 0x1
	v_add_co_u32 v5, s4, v3, v1
	s_wait_alu 0xf1ff
	v_add_co_ci_u32_e64 v2, null, 0, v4, s4
	s_delay_alu instid0(VALU_DEP_2) | instskip(SKIP_2) | instid1(VALU_DEP_2)
	v_add_co_u32 v1, s4, 0, v5
	s_wait_dscnt 0x0
	s_wait_alu 0xf1ff
	v_add_co_ci_u32_e64 v2, null, v6, v2, s4
	s_delay_alu instid0(VALU_DEP_1)
	v_dual_mov_b32 v4, v2 :: v_dual_mov_b32 v3, v1
.LBB240_37:
	s_wait_alu 0xfffe
	s_or_b32 exec_lo, exec_lo, s5
	s_wait_dscnt 0x1
	v_and_b32_e32 v1, 0x1e0, v0
	s_mov_b32 s5, exec_lo
	s_delay_alu instid0(VALU_DEP_1) | instskip(SKIP_1) | instid1(VALU_DEP_1)
	v_min_u32_e32 v1, 0x160, v1
	s_wait_dscnt 0x0
	v_or_b32_e32 v6, 31, v1
	v_lshrrev_b32_e32 v1, 5, v0
	s_delay_alu instid0(VALU_DEP_2)
	v_cmpx_eq_u32_e64 v0, v6
; %bb.38:
	s_delay_alu instid0(VALU_DEP_2)
	v_lshlrev_b32_e32 v6, 3, v1
	ds_store_b64 v6, v[3:4]
; %bb.39:
	s_wait_alu 0xfffe
	s_or_b32 exec_lo, exec_lo, s5
	s_delay_alu instid0(SALU_CYCLE_1)
	s_mov_b32 s5, exec_lo
	s_wait_loadcnt_dscnt 0x0
	s_barrier_signal -1
	s_barrier_wait -1
	global_inv scope:SCOPE_SE
	v_cmpx_gt_u32_e32 12, v0
	s_cbranch_execz .LBB240_49
; %bb.40:
	v_lshlrev_b32_e32 v6, 3, v0
	ds_load_b64 v[3:4], v6
	s_wait_dscnt 0x0
	v_mov_b32_dpp v19, v3 row_shr:1 row_mask:0xf bank_mask:0xf
	v_mov_b32_dpp v8, v4 row_shr:1 row_mask:0xf bank_mask:0xf
	v_mov_b32_e32 v7, v3
	s_and_saveexec_b32 s6, s0
; %bb.41:
	s_delay_alu instid0(VALU_DEP_3) | instskip(SKIP_2) | instid1(VALU_DEP_2)
	v_add_co_u32 v7, s4, v3, v19
	s_wait_alu 0xf1ff
	v_add_co_ci_u32_e64 v4, null, 0, v4, s4
	v_add_co_u32 v3, s4, 0, v7
	s_wait_alu 0xf1ff
	s_delay_alu instid0(VALU_DEP_2)
	v_add_co_ci_u32_e64 v4, null, v8, v4, s4
; %bb.42:
	s_wait_alu 0xfffe
	s_or_b32 exec_lo, exec_lo, s6
	v_mov_b32_dpp v19, v7 row_shr:2 row_mask:0xf bank_mask:0xf
	s_delay_alu instid0(VALU_DEP_2)
	v_mov_b32_dpp v8, v4 row_shr:2 row_mask:0xf bank_mask:0xf
	s_and_saveexec_b32 s4, vcc_lo
; %bb.43:
	s_delay_alu instid0(VALU_DEP_2) | instskip(SKIP_2) | instid1(VALU_DEP_2)
	v_add_co_u32 v7, vcc_lo, v3, v19
	s_wait_alu 0xfffd
	v_add_co_ci_u32_e64 v4, null, 0, v4, vcc_lo
	v_add_co_u32 v3, vcc_lo, 0, v7
	s_wait_alu 0xfffd
	s_delay_alu instid0(VALU_DEP_2)
	v_add_co_ci_u32_e64 v4, null, v8, v4, vcc_lo
; %bb.44:
	s_wait_alu 0xfffe
	s_or_b32 exec_lo, exec_lo, s4
	v_mov_b32_dpp v19, v7 row_shr:4 row_mask:0xf bank_mask:0xf
	s_delay_alu instid0(VALU_DEP_2)
	v_mov_b32_dpp v8, v4 row_shr:4 row_mask:0xf bank_mask:0xf
	s_and_saveexec_b32 s4, s1
; %bb.45:
	s_delay_alu instid0(VALU_DEP_2) | instskip(SKIP_2) | instid1(VALU_DEP_2)
	v_add_co_u32 v7, vcc_lo, v3, v19
	s_wait_alu 0xfffd
	v_add_co_ci_u32_e64 v4, null, 0, v4, vcc_lo
	v_add_co_u32 v3, vcc_lo, 0, v7
	s_wait_alu 0xfffd
	s_delay_alu instid0(VALU_DEP_2)
	v_add_co_ci_u32_e64 v4, null, v8, v4, vcc_lo
; %bb.46:
	s_wait_alu 0xfffe
	s_or_b32 exec_lo, exec_lo, s4
	v_mov_b32_dpp v8, v7 row_shr:8 row_mask:0xf bank_mask:0xf
	s_delay_alu instid0(VALU_DEP_2)
	v_mov_b32_dpp v7, v4 row_shr:8 row_mask:0xf bank_mask:0xf
	s_and_saveexec_b32 s1, s3
; %bb.47:
	s_delay_alu instid0(VALU_DEP_2) | instskip(SKIP_2) | instid1(VALU_DEP_2)
	v_add_co_u32 v3, vcc_lo, v3, v8
	s_wait_alu 0xfffd
	v_add_co_ci_u32_e64 v4, null, 0, v4, vcc_lo
	v_add_co_u32 v3, vcc_lo, v3, 0
	s_wait_alu 0xfffd
	s_delay_alu instid0(VALU_DEP_2)
	v_add_co_ci_u32_e64 v4, null, v4, v7, vcc_lo
; %bb.48:
	s_wait_alu 0xfffe
	s_or_b32 exec_lo, exec_lo, s1
	ds_store_b64 v6, v[3:4]
.LBB240_49:
	s_wait_alu 0xfffe
	s_or_b32 exec_lo, exec_lo, s5
	s_delay_alu instid0(SALU_CYCLE_1)
	s_mov_b32 s3, exec_lo
	v_cmp_gt_u32_e32 vcc_lo, 32, v0
	s_wait_loadcnt_dscnt 0x0
	s_barrier_signal -1
	s_barrier_wait -1
	global_inv scope:SCOPE_SE
                                        ; implicit-def: $vgpr19_vgpr20
	v_cmpx_lt_u32_e32 31, v0
	s_cbranch_execz .LBB240_51
; %bb.50:
	v_lshl_add_u32 v1, v1, 3, -8
	ds_load_b64 v[19:20], v1
	s_wait_dscnt 0x0
	v_add_co_u32 v5, s1, v5, v19
	s_wait_alu 0xf1ff
	v_add_co_ci_u32_e64 v2, null, v2, v20, s1
.LBB240_51:
	s_wait_alu 0xfffe
	s_or_b32 exec_lo, exec_lo, s3
	v_sub_co_u32 v1, s1, v42, 1
	s_delay_alu instid0(VALU_DEP_1) | instskip(SKIP_1) | instid1(VALU_DEP_1)
	v_cmp_gt_i32_e64 s3, 0, v1
	s_wait_alu 0xf1ff
	v_cndmask_b32_e64 v1, v1, v42, s3
	s_delay_alu instid0(VALU_DEP_1)
	v_lshlrev_b32_e32 v1, 2, v1
	ds_bpermute_b32 v25, v1, v5
	ds_bpermute_b32 v26, v1, v2
	s_and_saveexec_b32 s3, vcc_lo
	s_cbranch_execz .LBB240_90
; %bb.52:
	v_mov_b32_e32 v4, 0
	ds_load_b64 v[1:2], v4 offset:88
	s_and_saveexec_b32 s4, s1
	s_cbranch_execz .LBB240_54
; %bb.53:
	s_add_co_i32 s16, s18, 32
	s_mov_b32 s17, 0
	s_wait_alu 0xfffe
	s_lshl_b64 s[16:17], s[16:17], 4
	s_wait_alu 0xfffe
	s_add_nc_u64 s[16:17], s[14:15], s[16:17]
	v_mov_b32_e32 v3, 1
	s_wait_alu 0xfffe
	v_dual_mov_b32 v5, s16 :: v_dual_mov_b32 v6, s17
	s_wait_dscnt 0x0
	;;#ASMSTART
	global_store_b128 v[5:6], v[1:4] off scope:SCOPE_DEV	
s_wait_storecnt 0x0
	;;#ASMEND
.LBB240_54:
	s_wait_alu 0xfffe
	s_or_b32 exec_lo, exec_lo, s4
	v_xad_u32 v21, v42, -1, s18
	s_mov_b32 s5, 0
	s_mov_b32 s4, exec_lo
	s_delay_alu instid0(VALU_DEP_1) | instskip(NEXT) | instid1(VALU_DEP_1)
	v_add_nc_u32_e32 v3, 32, v21
	v_lshlrev_b64_e32 v[3:4], 4, v[3:4]
	s_delay_alu instid0(VALU_DEP_1) | instskip(SKIP_1) | instid1(VALU_DEP_2)
	v_add_co_u32 v3, vcc_lo, s14, v3
	s_wait_alu 0xfffd
	v_add_co_ci_u32_e64 v4, null, s15, v4, vcc_lo
	;;#ASMSTART
	global_load_b128 v[5:8], v[3:4] off scope:SCOPE_DEV	
s_wait_loadcnt 0x0
	;;#ASMEND
	v_and_b32_e32 v8, 0xff, v7
	s_delay_alu instid0(VALU_DEP_1)
	v_cmpx_eq_u16_e32 0, v8
	s_cbranch_execz .LBB240_57
.LBB240_55:                             ; =>This Inner Loop Header: Depth=1
	;;#ASMSTART
	global_load_b128 v[5:8], v[3:4] off scope:SCOPE_DEV	
s_wait_loadcnt 0x0
	;;#ASMEND
	v_and_b32_e32 v8, 0xff, v7
	s_delay_alu instid0(VALU_DEP_1)
	v_cmp_ne_u16_e32 vcc_lo, 0, v8
	s_wait_alu 0xfffe
	s_or_b32 s5, vcc_lo, s5
	s_wait_alu 0xfffe
	s_and_not1_b32 exec_lo, exec_lo, s5
	s_cbranch_execnz .LBB240_55
; %bb.56:
	s_or_b32 exec_lo, exec_lo, s5
.LBB240_57:
	s_wait_alu 0xfffe
	s_or_b32 exec_lo, exec_lo, s4
	v_cmp_ne_u32_e32 vcc_lo, 31, v42
	v_and_b32_e32 v4, 0xff, v7
	v_lshlrev_b32_e64 v28, v42, -1
	s_mov_b32 s4, exec_lo
	s_wait_alu 0xfffd
	v_add_co_ci_u32_e64 v3, null, 0, v42, vcc_lo
	v_cmp_eq_u16_e32 vcc_lo, 2, v4
	s_delay_alu instid0(VALU_DEP_2)
	v_dual_mov_b32 v4, v5 :: v_dual_lshlrev_b32 v27, 2, v3
	s_wait_alu 0xfffd
	v_and_or_b32 v3, vcc_lo, v28, 0x80000000
	ds_bpermute_b32 v22, v27, v5
	ds_bpermute_b32 v8, v27, v6
	v_ctz_i32_b32_e32 v3, v3
	s_delay_alu instid0(VALU_DEP_1)
	v_cmpx_lt_u32_e64 v42, v3
	s_cbranch_execz .LBB240_59
; %bb.58:
	s_wait_dscnt 0x1
	v_add_co_u32 v4, vcc_lo, v5, v22
	s_wait_alu 0xfffd
	v_add_co_ci_u32_e64 v6, null, 0, v6, vcc_lo
	s_delay_alu instid0(VALU_DEP_2) | instskip(SKIP_2) | instid1(VALU_DEP_2)
	v_add_co_u32 v5, vcc_lo, 0, v4
	s_wait_dscnt 0x0
	s_wait_alu 0xfffd
	v_add_co_ci_u32_e64 v6, null, v8, v6, vcc_lo
.LBB240_59:
	s_wait_alu 0xfffe
	s_or_b32 exec_lo, exec_lo, s4
	v_cmp_gt_u32_e32 vcc_lo, 30, v42
	v_add_nc_u32_e32 v30, 2, v42
	s_mov_b32 s4, exec_lo
	s_wait_dscnt 0x0
	s_wait_alu 0xfffd
	v_cndmask_b32_e64 v8, 0, 2, vcc_lo
	s_delay_alu instid0(VALU_DEP_1)
	v_add_lshl_u32 v29, v8, v42, 2
	ds_bpermute_b32 v22, v29, v4
	ds_bpermute_b32 v8, v29, v6
	v_cmpx_le_u32_e64 v30, v3
	s_cbranch_execz .LBB240_61
; %bb.60:
	s_wait_dscnt 0x1
	v_add_co_u32 v4, vcc_lo, v5, v22
	s_wait_alu 0xfffd
	v_add_co_ci_u32_e64 v6, null, 0, v6, vcc_lo
	s_delay_alu instid0(VALU_DEP_2) | instskip(SKIP_2) | instid1(VALU_DEP_2)
	v_add_co_u32 v5, vcc_lo, 0, v4
	s_wait_dscnt 0x0
	s_wait_alu 0xfffd
	v_add_co_ci_u32_e64 v6, null, v8, v6, vcc_lo
.LBB240_61:
	s_wait_alu 0xfffe
	s_or_b32 exec_lo, exec_lo, s4
	v_cmp_gt_u32_e32 vcc_lo, 28, v42
	v_add_nc_u32_e32 v45, 4, v42
	s_mov_b32 s4, exec_lo
	s_wait_dscnt 0x0
	s_wait_alu 0xfffd
	v_cndmask_b32_e64 v8, 0, 4, vcc_lo
	s_delay_alu instid0(VALU_DEP_1)
	v_add_lshl_u32 v44, v8, v42, 2
	ds_bpermute_b32 v22, v44, v4
	ds_bpermute_b32 v8, v44, v6
	v_cmpx_le_u32_e64 v45, v3
	;; [unrolled: 25-line block ×3, first 2 shown]
	s_cbranch_execz .LBB240_65
; %bb.64:
	s_wait_dscnt 0x1
	v_add_co_u32 v4, vcc_lo, v5, v22
	s_wait_alu 0xfffd
	v_add_co_ci_u32_e64 v6, null, 0, v6, vcc_lo
	s_delay_alu instid0(VALU_DEP_2) | instskip(SKIP_2) | instid1(VALU_DEP_2)
	v_add_co_u32 v5, vcc_lo, 0, v4
	s_wait_dscnt 0x0
	s_wait_alu 0xfffd
	v_add_co_ci_u32_e64 v6, null, v8, v6, vcc_lo
.LBB240_65:
	s_wait_alu 0xfffe
	s_or_b32 exec_lo, exec_lo, s4
	v_lshl_or_b32 v48, v42, 2, 64
	v_add_nc_u32_e32 v49, 16, v42
	s_mov_b32 s4, exec_lo
	s_wait_dscnt 0x0
	ds_bpermute_b32 v8, v48, v4
	ds_bpermute_b32 v4, v48, v6
	v_cmpx_le_u32_e64 v49, v3
	s_cbranch_execz .LBB240_67
; %bb.66:
	s_wait_dscnt 0x1
	v_add_co_u32 v3, vcc_lo, v5, v8
	s_wait_alu 0xfffd
	v_add_co_ci_u32_e64 v6, null, 0, v6, vcc_lo
	s_delay_alu instid0(VALU_DEP_2) | instskip(SKIP_2) | instid1(VALU_DEP_2)
	v_add_co_u32 v5, vcc_lo, v3, 0
	s_wait_dscnt 0x0
	s_wait_alu 0xfffd
	v_add_co_ci_u32_e64 v6, null, v6, v4, vcc_lo
.LBB240_67:
	s_wait_alu 0xfffe
	s_or_b32 exec_lo, exec_lo, s4
	v_mov_b32_e32 v22, 0
	s_branch .LBB240_70
.LBB240_68:                             ;   in Loop: Header=BB240_70 Depth=1
	s_wait_alu 0xfffe
	s_or_b32 exec_lo, exec_lo, s4
	v_add_co_u32 v5, vcc_lo, v5, v3
	v_subrev_nc_u32_e32 v21, 32, v21
	s_wait_alu 0xfffd
	v_add_co_ci_u32_e64 v6, null, v6, v4, vcc_lo
	s_mov_b32 s4, 0
.LBB240_69:                             ;   in Loop: Header=BB240_70 Depth=1
	s_wait_alu 0xfffe
	s_and_b32 vcc_lo, exec_lo, s4
	s_wait_alu 0xfffe
	s_cbranch_vccnz .LBB240_86
.LBB240_70:                             ; =>This Loop Header: Depth=1
                                        ;     Child Loop BB240_73 Depth 2
	v_and_b32_e32 v3, 0xff, v7
	s_mov_b32 s4, -1
	s_delay_alu instid0(VALU_DEP_1)
	v_cmp_ne_u16_e32 vcc_lo, 2, v3
	s_wait_dscnt 0x0
	v_dual_mov_b32 v3, v5 :: v_dual_mov_b32 v4, v6
                                        ; implicit-def: $vgpr5_vgpr6
	s_cmp_lg_u32 vcc_lo, exec_lo
	s_cbranch_scc1 .LBB240_69
; %bb.71:                               ;   in Loop: Header=BB240_70 Depth=1
	v_lshlrev_b64_e32 v[5:6], 4, v[21:22]
	s_mov_b32 s4, exec_lo
	s_delay_alu instid0(VALU_DEP_1) | instskip(SKIP_1) | instid1(VALU_DEP_2)
	v_add_co_u32 v23, vcc_lo, s14, v5
	s_wait_alu 0xfffd
	v_add_co_ci_u32_e64 v24, null, s15, v6, vcc_lo
	;;#ASMSTART
	global_load_b128 v[5:8], v[23:24] off scope:SCOPE_DEV	
s_wait_loadcnt 0x0
	;;#ASMEND
	v_and_b32_e32 v8, 0xff, v7
	s_delay_alu instid0(VALU_DEP_1)
	v_cmpx_eq_u16_e32 0, v8
	s_cbranch_execz .LBB240_75
; %bb.72:                               ;   in Loop: Header=BB240_70 Depth=1
	s_mov_b32 s5, 0
.LBB240_73:                             ;   Parent Loop BB240_70 Depth=1
                                        ; =>  This Inner Loop Header: Depth=2
	;;#ASMSTART
	global_load_b128 v[5:8], v[23:24] off scope:SCOPE_DEV	
s_wait_loadcnt 0x0
	;;#ASMEND
	v_and_b32_e32 v8, 0xff, v7
	s_delay_alu instid0(VALU_DEP_1)
	v_cmp_ne_u16_e32 vcc_lo, 0, v8
	s_wait_alu 0xfffe
	s_or_b32 s5, vcc_lo, s5
	s_wait_alu 0xfffe
	s_and_not1_b32 exec_lo, exec_lo, s5
	s_cbranch_execnz .LBB240_73
; %bb.74:                               ;   in Loop: Header=BB240_70 Depth=1
	s_or_b32 exec_lo, exec_lo, s5
.LBB240_75:                             ;   in Loop: Header=BB240_70 Depth=1
	s_wait_alu 0xfffe
	s_or_b32 exec_lo, exec_lo, s4
	v_dual_mov_b32 v23, v5 :: v_dual_and_b32 v8, 0xff, v7
	ds_bpermute_b32 v50, v27, v5
	ds_bpermute_b32 v24, v27, v6
	s_mov_b32 s4, exec_lo
	v_cmp_eq_u16_e32 vcc_lo, 2, v8
	s_wait_alu 0xfffd
	v_and_or_b32 v8, vcc_lo, v28, 0x80000000
	s_delay_alu instid0(VALU_DEP_1) | instskip(NEXT) | instid1(VALU_DEP_1)
	v_ctz_i32_b32_e32 v8, v8
	v_cmpx_lt_u32_e64 v42, v8
	s_cbranch_execz .LBB240_77
; %bb.76:                               ;   in Loop: Header=BB240_70 Depth=1
	s_wait_dscnt 0x1
	v_add_co_u32 v23, vcc_lo, v5, v50
	s_wait_alu 0xfffd
	v_add_co_ci_u32_e64 v6, null, 0, v6, vcc_lo
	s_delay_alu instid0(VALU_DEP_2) | instskip(SKIP_2) | instid1(VALU_DEP_2)
	v_add_co_u32 v5, vcc_lo, 0, v23
	s_wait_dscnt 0x0
	s_wait_alu 0xfffd
	v_add_co_ci_u32_e64 v6, null, v24, v6, vcc_lo
.LBB240_77:                             ;   in Loop: Header=BB240_70 Depth=1
	s_wait_alu 0xfffe
	s_or_b32 exec_lo, exec_lo, s4
	s_wait_dscnt 0x1
	ds_bpermute_b32 v50, v29, v23
	s_wait_dscnt 0x1
	ds_bpermute_b32 v24, v29, v6
	s_mov_b32 s4, exec_lo
	v_cmpx_le_u32_e64 v30, v8
	s_cbranch_execz .LBB240_79
; %bb.78:                               ;   in Loop: Header=BB240_70 Depth=1
	s_wait_dscnt 0x1
	v_add_co_u32 v23, vcc_lo, v5, v50
	s_wait_alu 0xfffd
	v_add_co_ci_u32_e64 v6, null, 0, v6, vcc_lo
	s_delay_alu instid0(VALU_DEP_2) | instskip(SKIP_2) | instid1(VALU_DEP_2)
	v_add_co_u32 v5, vcc_lo, 0, v23
	s_wait_dscnt 0x0
	s_wait_alu 0xfffd
	v_add_co_ci_u32_e64 v6, null, v24, v6, vcc_lo
.LBB240_79:                             ;   in Loop: Header=BB240_70 Depth=1
	s_wait_alu 0xfffe
	s_or_b32 exec_lo, exec_lo, s4
	s_wait_dscnt 0x1
	ds_bpermute_b32 v50, v44, v23
	s_wait_dscnt 0x1
	ds_bpermute_b32 v24, v44, v6
	s_mov_b32 s4, exec_lo
	v_cmpx_le_u32_e64 v45, v8
	;; [unrolled: 20-line block ×3, first 2 shown]
	s_cbranch_execz .LBB240_83
; %bb.82:                               ;   in Loop: Header=BB240_70 Depth=1
	s_wait_dscnt 0x1
	v_add_co_u32 v23, vcc_lo, v5, v50
	s_wait_alu 0xfffd
	v_add_co_ci_u32_e64 v6, null, 0, v6, vcc_lo
	s_delay_alu instid0(VALU_DEP_2) | instskip(SKIP_2) | instid1(VALU_DEP_2)
	v_add_co_u32 v5, vcc_lo, 0, v23
	s_wait_dscnt 0x0
	s_wait_alu 0xfffd
	v_add_co_ci_u32_e64 v6, null, v24, v6, vcc_lo
.LBB240_83:                             ;   in Loop: Header=BB240_70 Depth=1
	s_wait_alu 0xfffe
	s_or_b32 exec_lo, exec_lo, s4
	s_wait_dscnt 0x0
	ds_bpermute_b32 v24, v48, v23
	ds_bpermute_b32 v23, v48, v6
	s_mov_b32 s4, exec_lo
	v_cmpx_le_u32_e64 v49, v8
	s_cbranch_execz .LBB240_68
; %bb.84:                               ;   in Loop: Header=BB240_70 Depth=1
	s_wait_dscnt 0x1
	v_add_co_u32 v5, vcc_lo, v5, v24
	s_wait_alu 0xfffd
	v_add_co_ci_u32_e64 v6, null, 0, v6, vcc_lo
	s_delay_alu instid0(VALU_DEP_2) | instskip(SKIP_2) | instid1(VALU_DEP_2)
	v_add_co_u32 v5, vcc_lo, v5, 0
	s_wait_dscnt 0x0
	s_wait_alu 0xfffd
	v_add_co_ci_u32_e64 v6, null, v6, v23, vcc_lo
	s_branch .LBB240_68
.LBB240_85:
                                        ; implicit-def: $vgpr19_vgpr20
                                        ; implicit-def: $vgpr6_vgpr7
                                        ; implicit-def: $vgpr21_vgpr22
                                        ; implicit-def: $vgpr23_vgpr24
                                        ; implicit-def: $vgpr25_vgpr26
                                        ; implicit-def: $vgpr27_vgpr28
                                        ; implicit-def: $vgpr29_vgpr30
                                        ; implicit-def: $vgpr4_vgpr5
	s_wait_alu 0xfffe
	s_and_b32 vcc_lo, exec_lo, s1
	s_wait_alu 0xfffe
	s_cbranch_vccnz .LBB240_91
	s_branch .LBB240_118
.LBB240_86:
	s_and_saveexec_b32 s4, s1
	s_cbranch_execz .LBB240_88
; %bb.87:
	s_add_co_i32 s16, s18, 32
	s_mov_b32 s17, 0
	v_add_co_u32 v5, vcc_lo, v3, v1
	s_wait_alu 0xfffe
	s_lshl_b64 s[16:17], s[16:17], 4
	v_dual_mov_b32 v7, 2 :: v_dual_mov_b32 v8, 0
	s_wait_alu 0xfffe
	s_add_nc_u64 s[16:17], s[14:15], s[16:17]
	s_wait_alu 0xfffd
	v_add_co_ci_u32_e64 v6, null, v4, v2, vcc_lo
	s_wait_alu 0xfffe
	v_dual_mov_b32 v22, s17 :: v_dual_mov_b32 v21, s16
	;;#ASMSTART
	global_store_b128 v[21:22], v[5:8] off scope:SCOPE_DEV	
s_wait_storecnt 0x0
	;;#ASMEND
	ds_store_b128 v8, v[1:4] offset:10752
.LBB240_88:
	s_wait_alu 0xfffe
	s_or_b32 exec_lo, exec_lo, s4
	s_delay_alu instid0(SALU_CYCLE_1)
	s_and_b32 exec_lo, exec_lo, s2
; %bb.89:
	v_mov_b32_e32 v1, 0
	ds_store_b64 v1, v[3:4] offset:88
.LBB240_90:
	s_wait_alu 0xfffe
	s_or_b32 exec_lo, exec_lo, s3
	v_mov_b32_e32 v3, 0
	s_wait_loadcnt_dscnt 0x0
	s_barrier_signal -1
	s_barrier_wait -1
	global_inv scope:SCOPE_SE
	ds_load_b64 v[1:2], v3 offset:88
	v_cndmask_b32_e64 v4, v25, v19, s1
	v_cndmask_b32_e64 v5, v26, v20, s1
	s_wait_loadcnt_dscnt 0x0
	s_barrier_signal -1
	s_barrier_wait -1
	v_cndmask_b32_e64 v4, v4, 0, s2
	v_cndmask_b32_e64 v5, v5, 0, s2
	global_inv scope:SCOPE_SE
	v_add_co_u32 v29, vcc_lo, v1, v4
	s_wait_alu 0xfffd
	v_add_co_ci_u32_e64 v30, null, v2, v5, vcc_lo
	ds_load_b128 v[2:5], v3 offset:10752
	v_add_co_u32 v27, vcc_lo, v29, v39
	s_wait_alu 0xfffd
	v_add_co_ci_u32_e64 v28, null, 0, v30, vcc_lo
	s_delay_alu instid0(VALU_DEP_2) | instskip(SKIP_1) | instid1(VALU_DEP_2)
	v_add_co_u32 v25, vcc_lo, v27, v38
	s_wait_alu 0xfffd
	v_add_co_ci_u32_e64 v26, null, 0, v28, vcc_lo
	s_delay_alu instid0(VALU_DEP_2) | instskip(SKIP_1) | instid1(VALU_DEP_2)
	;; [unrolled: 4-line block ×5, first 2 shown]
	v_add_co_u32 v19, vcc_lo, v6, v37
	s_wait_alu 0xfffd
	v_add_co_ci_u32_e64 v20, null, 0, v7, vcc_lo
	s_branch .LBB240_118
.LBB240_91:
	s_wait_dscnt 0x0
	v_dual_mov_b32 v2, 0 :: v_dual_mov_b32 v3, v17
	v_mov_b32_dpp v4, v17 row_shr:1 row_mask:0xf bank_mask:0xf
	s_delay_alu instid0(VALU_DEP_2)
	v_mov_b32_dpp v1, v2 row_shr:1 row_mask:0xf bank_mask:0xf
	s_and_saveexec_b32 s1, s0
; %bb.92:
	s_delay_alu instid0(VALU_DEP_2) | instskip(SKIP_2) | instid1(VALU_DEP_2)
	v_add_co_u32 v3, vcc_lo, v17, v4
	s_wait_alu 0xfffd
	v_add_co_ci_u32_e64 v2, null, 0, v18, vcc_lo
	v_add_co_u32 v17, vcc_lo, 0, v3
	s_wait_alu 0xfffd
	s_delay_alu instid0(VALU_DEP_2) | instskip(NEXT) | instid1(VALU_DEP_1)
	v_add_co_ci_u32_e64 v18, null, v1, v2, vcc_lo
	v_mov_b32_e32 v2, v18
; %bb.93:
	s_wait_alu 0xfffe
	s_or_b32 exec_lo, exec_lo, s1
	v_mov_b32_dpp v1, v3 row_shr:2 row_mask:0xf bank_mask:0xf
	s_delay_alu instid0(VALU_DEP_2)
	v_mov_b32_dpp v4, v2 row_shr:2 row_mask:0xf bank_mask:0xf
	v_cmp_lt_u32_e32 vcc_lo, 1, v43
	s_and_saveexec_b32 s3, vcc_lo
; %bb.94:
	s_delay_alu instid0(VALU_DEP_3) | instskip(SKIP_2) | instid1(VALU_DEP_2)
	v_add_co_u32 v3, s1, v17, v1
	s_wait_alu 0xf1ff
	v_add_co_ci_u32_e64 v2, null, 0, v18, s1
	v_add_co_u32 v1, s1, 0, v3
	s_wait_alu 0xf1ff
	s_delay_alu instid0(VALU_DEP_2) | instskip(NEXT) | instid1(VALU_DEP_1)
	v_add_co_ci_u32_e64 v2, null, v4, v2, s1
	v_dual_mov_b32 v18, v2 :: v_dual_mov_b32 v17, v1
; %bb.95:
	s_wait_alu 0xfffe
	s_or_b32 exec_lo, exec_lo, s3
	v_mov_b32_dpp v1, v3 row_shr:4 row_mask:0xf bank_mask:0xf
	v_mov_b32_dpp v4, v2 row_shr:4 row_mask:0xf bank_mask:0xf
	v_cmp_lt_u32_e64 s1, 3, v43
	s_and_saveexec_b32 s4, s1
; %bb.96:
	v_add_co_u32 v3, s3, v17, v1
	s_wait_alu 0xf1ff
	v_add_co_ci_u32_e64 v2, null, 0, v18, s3
	s_delay_alu instid0(VALU_DEP_2) | instskip(SKIP_1) | instid1(VALU_DEP_2)
	v_add_co_u32 v1, s3, 0, v3
	s_wait_alu 0xf1ff
	v_add_co_ci_u32_e64 v2, null, v4, v2, s3
	s_delay_alu instid0(VALU_DEP_1)
	v_dual_mov_b32 v18, v2 :: v_dual_mov_b32 v17, v1
; %bb.97:
	s_wait_alu 0xfffe
	s_or_b32 exec_lo, exec_lo, s4
	v_mov_b32_dpp v4, v3 row_shr:8 row_mask:0xf bank_mask:0xf
	v_mov_b32_dpp v1, v2 row_shr:8 row_mask:0xf bank_mask:0xf
	v_cmp_lt_u32_e64 s3, 7, v43
	s_and_saveexec_b32 s5, s3
; %bb.98:
	v_add_co_u32 v3, s4, v17, v4
	s_wait_alu 0xf1ff
	v_add_co_ci_u32_e64 v2, null, 0, v18, s4
	s_delay_alu instid0(VALU_DEP_2) | instskip(SKIP_1) | instid1(VALU_DEP_2)
	v_add_co_u32 v17, s4, 0, v3
	s_wait_alu 0xf1ff
	v_add_co_ci_u32_e64 v18, null, v1, v2, s4
	s_delay_alu instid0(VALU_DEP_1)
	v_mov_b32_e32 v2, v18
; %bb.99:
	s_wait_alu 0xfffe
	s_or_b32 exec_lo, exec_lo, s5
	ds_swizzle_b32 v3, v3 offset:swizzle(BROADCAST,32,15)
	ds_swizzle_b32 v1, v2 offset:swizzle(BROADCAST,32,15)
	v_and_b32_e32 v2, 16, v42
	s_mov_b32 s5, exec_lo
	s_delay_alu instid0(VALU_DEP_1)
	v_cmpx_ne_u32_e32 0, v2
	s_cbranch_execz .LBB240_101
; %bb.100:
	s_wait_dscnt 0x1
	v_add_co_u32 v2, s4, v17, v3
	s_wait_alu 0xf1ff
	v_add_co_ci_u32_e64 v3, null, 0, v18, s4
	s_delay_alu instid0(VALU_DEP_2) | instskip(SKIP_2) | instid1(VALU_DEP_2)
	v_add_co_u32 v17, s4, v2, 0
	s_wait_dscnt 0x0
	s_wait_alu 0xf1ff
	v_add_co_ci_u32_e64 v18, null, v3, v1, s4
.LBB240_101:
	s_wait_alu 0xfffe
	s_or_b32 exec_lo, exec_lo, s5
	s_wait_dscnt 0x0
	v_and_b32_e32 v1, 0x1e0, v0
	v_lshrrev_b32_e32 v3, 5, v0
	s_mov_b32 s5, exec_lo
	s_delay_alu instid0(VALU_DEP_2) | instskip(NEXT) | instid1(VALU_DEP_1)
	v_min_u32_e32 v1, 0x160, v1
	v_or_b32_e32 v1, 31, v1
	s_delay_alu instid0(VALU_DEP_1)
	v_cmpx_eq_u32_e64 v0, v1
; %bb.102:
	v_lshlrev_b32_e32 v1, 3, v3
	ds_store_b64 v1, v[17:18]
; %bb.103:
	s_wait_alu 0xfffe
	s_or_b32 exec_lo, exec_lo, s5
	s_delay_alu instid0(SALU_CYCLE_1)
	s_mov_b32 s5, exec_lo
	s_wait_loadcnt_dscnt 0x0
	s_barrier_signal -1
	s_barrier_wait -1
	global_inv scope:SCOPE_SE
	v_cmpx_gt_u32_e32 12, v0
	s_cbranch_execz .LBB240_113
; %bb.104:
	v_mad_i32_i24 v1, 0xffffffec, v0, v32
	ds_load_b64 v[1:2], v1
	s_wait_dscnt 0x0
	v_mov_b32_dpp v6, v1 row_shr:1 row_mask:0xf bank_mask:0xf
	v_mov_b32_dpp v5, v2 row_shr:1 row_mask:0xf bank_mask:0xf
	v_mov_b32_e32 v4, v1
	s_and_saveexec_b32 s4, s0
; %bb.105:
	s_delay_alu instid0(VALU_DEP_3) | instskip(SKIP_2) | instid1(VALU_DEP_2)
	v_add_co_u32 v4, s0, v1, v6
	s_wait_alu 0xf1ff
	v_add_co_ci_u32_e64 v2, null, 0, v2, s0
	v_add_co_u32 v1, s0, 0, v4
	s_wait_alu 0xf1ff
	s_delay_alu instid0(VALU_DEP_2)
	v_add_co_ci_u32_e64 v2, null, v5, v2, s0
; %bb.106:
	s_wait_alu 0xfffe
	s_or_b32 exec_lo, exec_lo, s4
	v_mov_b32_dpp v6, v4 row_shr:2 row_mask:0xf bank_mask:0xf
	s_delay_alu instid0(VALU_DEP_2)
	v_mov_b32_dpp v5, v2 row_shr:2 row_mask:0xf bank_mask:0xf
	s_and_saveexec_b32 s0, vcc_lo
; %bb.107:
	s_delay_alu instid0(VALU_DEP_2) | instskip(SKIP_2) | instid1(VALU_DEP_2)
	v_add_co_u32 v4, vcc_lo, v1, v6
	s_wait_alu 0xfffd
	v_add_co_ci_u32_e64 v2, null, 0, v2, vcc_lo
	v_add_co_u32 v1, vcc_lo, 0, v4
	s_wait_alu 0xfffd
	s_delay_alu instid0(VALU_DEP_2)
	v_add_co_ci_u32_e64 v2, null, v5, v2, vcc_lo
; %bb.108:
	s_wait_alu 0xfffe
	s_or_b32 exec_lo, exec_lo, s0
	v_mov_b32_dpp v6, v4 row_shr:4 row_mask:0xf bank_mask:0xf
	s_delay_alu instid0(VALU_DEP_2)
	v_mov_b32_dpp v5, v2 row_shr:4 row_mask:0xf bank_mask:0xf
	s_and_saveexec_b32 s0, s1
; %bb.109:
	s_delay_alu instid0(VALU_DEP_2) | instskip(SKIP_2) | instid1(VALU_DEP_2)
	v_add_co_u32 v4, vcc_lo, v1, v6
	s_wait_alu 0xfffd
	v_add_co_ci_u32_e64 v2, null, 0, v2, vcc_lo
	v_add_co_u32 v1, vcc_lo, 0, v4
	s_wait_alu 0xfffd
	s_delay_alu instid0(VALU_DEP_2)
	v_add_co_ci_u32_e64 v2, null, v5, v2, vcc_lo
; %bb.110:
	s_wait_alu 0xfffe
	s_or_b32 exec_lo, exec_lo, s0
	v_mul_i32_i24_e32 v5, 0xffffffec, v0
	v_mov_b32_dpp v6, v4 row_shr:8 row_mask:0xf bank_mask:0xf
	v_mov_b32_dpp v4, v2 row_shr:8 row_mask:0xf bank_mask:0xf
	s_and_saveexec_b32 s0, s3
; %bb.111:
	s_delay_alu instid0(VALU_DEP_2) | instskip(SKIP_2) | instid1(VALU_DEP_2)
	v_add_co_u32 v1, vcc_lo, v1, v6
	s_wait_alu 0xfffd
	v_add_co_ci_u32_e64 v2, null, 0, v2, vcc_lo
	v_add_co_u32 v1, vcc_lo, v1, 0
	s_wait_alu 0xfffd
	s_delay_alu instid0(VALU_DEP_2)
	v_add_co_ci_u32_e64 v2, null, v2, v4, vcc_lo
; %bb.112:
	s_wait_alu 0xfffe
	s_or_b32 exec_lo, exec_lo, s0
	v_add_nc_u32_e32 v4, v32, v5
	ds_store_b64 v4, v[1:2]
.LBB240_113:
	s_wait_alu 0xfffe
	s_or_b32 exec_lo, exec_lo, s5
	v_mov_b32_e32 v6, 0
	v_mov_b32_e32 v7, 0
	s_mov_b32 s0, exec_lo
	s_wait_loadcnt_dscnt 0x0
	s_barrier_signal -1
	s_barrier_wait -1
	global_inv scope:SCOPE_SE
	v_cmpx_lt_u32_e32 31, v0
; %bb.114:
	v_lshl_add_u32 v1, v3, 3, -8
	ds_load_b64 v[6:7], v1
; %bb.115:
	s_wait_alu 0xfffe
	s_or_b32 exec_lo, exec_lo, s0
	v_sub_co_u32 v1, vcc_lo, v42, 1
	v_mov_b32_e32 v5, 0
	s_delay_alu instid0(VALU_DEP_2) | instskip(SKIP_1) | instid1(VALU_DEP_1)
	v_cmp_gt_i32_e64 s0, 0, v1
	s_wait_alu 0xf1ff
	v_cndmask_b32_e64 v1, v1, v42, s0
	s_delay_alu instid0(VALU_DEP_1)
	v_lshlrev_b32_e32 v2, 2, v1
	s_wait_dscnt 0x0
	v_add_co_u32 v1, s0, v6, v17
	s_wait_alu 0xf1ff
	v_add_co_ci_u32_e64 v3, null, v7, v18, s0
	ds_bpermute_b32 v1, v2, v1
	ds_bpermute_b32 v8, v2, v3
	ds_load_b64 v[2:3], v5 offset:88
	s_and_saveexec_b32 s0, s2
	s_cbranch_execz .LBB240_117
; %bb.116:
	s_add_nc_u64 s[4:5], s[14:15], 0x200
	v_mov_b32_e32 v4, 2
	s_wait_alu 0xfffe
	v_dual_mov_b32 v18, s5 :: v_dual_mov_b32 v17, s4
	s_wait_dscnt 0x0
	;;#ASMSTART
	global_store_b128 v[17:18], v[2:5] off scope:SCOPE_DEV	
s_wait_storecnt 0x0
	;;#ASMEND
.LBB240_117:
	s_wait_alu 0xfffe
	s_or_b32 exec_lo, exec_lo, s0
	s_wait_dscnt 0x1
	s_wait_alu 0xfffd
	v_dual_cndmask_b32 v1, v1, v6 :: v_dual_cndmask_b32 v4, v8, v7
	s_wait_loadcnt_dscnt 0x0
	s_barrier_signal -1
	s_barrier_wait -1
	s_delay_alu instid0(VALU_DEP_1)
	v_cndmask_b32_e64 v29, v1, 0, s2
	v_cndmask_b32_e64 v30, v4, 0, s2
	v_mov_b32_e32 v4, 0
	v_mov_b32_e32 v5, 0
	global_inv scope:SCOPE_SE
	v_add_co_u32 v27, vcc_lo, v29, v39
	s_wait_alu 0xfffd
	v_add_co_ci_u32_e64 v28, null, 0, v30, vcc_lo
	s_delay_alu instid0(VALU_DEP_2) | instskip(SKIP_1) | instid1(VALU_DEP_2)
	v_add_co_u32 v25, vcc_lo, v27, v38
	s_wait_alu 0xfffd
	v_add_co_ci_u32_e64 v26, null, 0, v28, vcc_lo
	s_delay_alu instid0(VALU_DEP_2) | instskip(SKIP_1) | instid1(VALU_DEP_2)
	;; [unrolled: 4-line block ×5, first 2 shown]
	v_add_co_u32 v19, vcc_lo, v6, v37
	s_wait_alu 0xfffd
	v_add_co_ci_u32_e64 v20, null, 0, v7, vcc_lo
.LBB240_118:
	v_and_b32_e32 v37, 1, v31
	s_wait_dscnt 0x0
	v_cmp_gt_u64_e32 vcc_lo, 0x181, v[2:3]
	v_lshlrev_b64_e32 v[17:18], 2, v[9:10]
	v_lshrrev_b32_e32 v8, 8, v31
	v_lshrrev_b32_e32 v1, 16, v31
	v_cmp_eq_u32_e64 s0, 1, v37
	s_mov_b32 s1, -1
	s_cbranch_vccnz .LBB240_122
; %bb.119:
	s_wait_alu 0xfffe
	s_and_b32 vcc_lo, exec_lo, s1
	s_wait_alu 0xfffe
	s_cbranch_vccnz .LBB240_137
.LBB240_120:
	s_and_b32 s0, s2, s7
	s_wait_alu 0xfffe
	s_and_saveexec_b32 s1, s0
	s_cbranch_execnz .LBB240_154
.LBB240_121:
	s_endpgm
.LBB240_122:
	v_add_co_u32 v31, vcc_lo, v4, v2
	s_wait_alu 0xfffd
	v_add_co_ci_u32_e64 v32, null, v5, v3, vcc_lo
	v_add_co_u32 v38, s1, s12, v17
	s_wait_alu 0xf1fe
	v_add_co_ci_u32_e64 v39, null, s13, v18, s1
	s_delay_alu instid0(VALU_DEP_3)
	v_cmp_lt_u64_e32 vcc_lo, v[29:30], v[31:32]
	s_or_b32 s1, s10, vcc_lo
	s_wait_alu 0xfffe
	s_and_b32 s1, s1, s0
	s_wait_alu 0xfffe
	s_and_saveexec_b32 s0, s1
	s_cbranch_execz .LBB240_124
; %bb.123:
	v_lshlrev_b64_e32 v[40:41], 2, v[29:30]
	s_delay_alu instid0(VALU_DEP_1) | instskip(SKIP_1) | instid1(VALU_DEP_2)
	v_add_co_u32 v40, vcc_lo, v38, v40
	s_wait_alu 0xfffd
	v_add_co_ci_u32_e64 v41, null, v39, v41, vcc_lo
	global_store_b32 v[40:41], v15, off
.LBB240_124:
	s_wait_alu 0xfffe
	s_or_b32 exec_lo, exec_lo, s0
	v_and_b32_e32 v30, 1, v8
	v_cmp_lt_u64_e32 vcc_lo, v[27:28], v[31:32]
	s_delay_alu instid0(VALU_DEP_2)
	v_cmp_eq_u32_e64 s0, 1, v30
	s_or_b32 s1, s10, vcc_lo
	s_wait_alu 0xfffe
	s_and_b32 s1, s1, s0
	s_wait_alu 0xfffe
	s_and_saveexec_b32 s0, s1
	s_cbranch_execz .LBB240_126
; %bb.125:
	v_lshlrev_b64_e32 v[40:41], 2, v[27:28]
	s_delay_alu instid0(VALU_DEP_1) | instskip(SKIP_1) | instid1(VALU_DEP_2)
	v_add_co_u32 v40, vcc_lo, v38, v40
	s_wait_alu 0xfffd
	v_add_co_ci_u32_e64 v41, null, v39, v41, vcc_lo
	global_store_b32 v[40:41], v16, off
.LBB240_126:
	s_wait_alu 0xfffe
	s_or_b32 exec_lo, exec_lo, s0
	v_and_b32_e32 v28, 1, v1
	v_cmp_lt_u64_e32 vcc_lo, v[25:26], v[31:32]
	s_delay_alu instid0(VALU_DEP_2)
	v_cmp_eq_u32_e64 s0, 1, v28
	;; [unrolled: 20-line block ×5, first 2 shown]
	s_or_b32 s1, s10, vcc_lo
	s_wait_alu 0xfffe
	s_and_b32 s1, s1, s0
	s_wait_alu 0xfffe
	s_and_saveexec_b32 s0, s1
	s_cbranch_execz .LBB240_134
; %bb.133:
	v_lshlrev_b64_e32 v[40:41], 2, v[6:7]
	s_delay_alu instid0(VALU_DEP_1) | instskip(SKIP_1) | instid1(VALU_DEP_2)
	v_add_co_u32 v40, vcc_lo, v38, v40
	s_wait_alu 0xfffd
	v_add_co_ci_u32_e64 v41, null, v39, v41, vcc_lo
	global_store_b32 v[40:41], v12, off
.LBB240_134:
	s_wait_alu 0xfffe
	s_or_b32 exec_lo, exec_lo, s0
	v_cmp_lt_u64_e32 vcc_lo, v[19:20], v[31:32]
	s_or_b32 s0, s10, vcc_lo
	s_wait_alu 0xfffe
	s_and_b32 s1, s0, s11
	s_wait_alu 0xfffe
	s_and_saveexec_b32 s0, s1
	s_cbranch_execz .LBB240_136
; %bb.135:
	v_lshlrev_b64_e32 v[30:31], 2, v[19:20]
	s_delay_alu instid0(VALU_DEP_1) | instskip(SKIP_1) | instid1(VALU_DEP_2)
	v_add_co_u32 v30, vcc_lo, v38, v30
	s_wait_alu 0xfffd
	v_add_co_ci_u32_e64 v31, null, v39, v31, vcc_lo
	global_store_b32 v[30:31], v33, off
.LBB240_136:
	s_wait_alu 0xfffe
	s_or_b32 exec_lo, exec_lo, s0
	s_branch .LBB240_120
.LBB240_137:
	s_mov_b32 s0, exec_lo
	v_cmpx_eq_u32_e32 1, v37
; %bb.138:
	v_sub_nc_u32_e32 v7, v29, v4
	s_delay_alu instid0(VALU_DEP_1)
	v_lshlrev_b32_e32 v7, 2, v7
	ds_store_b32 v7, v15
; %bb.139:
	s_wait_alu 0xfffe
	s_or_b32 exec_lo, exec_lo, s0
	v_and_b32_e32 v7, 1, v8
	s_mov_b32 s0, exec_lo
	s_delay_alu instid0(VALU_DEP_1)
	v_cmpx_eq_u32_e32 1, v7
; %bb.140:
	v_sub_nc_u32_e32 v7, v27, v4
	s_delay_alu instid0(VALU_DEP_1)
	v_lshlrev_b32_e32 v7, 2, v7
	ds_store_b32 v7, v16
; %bb.141:
	s_wait_alu 0xfffe
	s_or_b32 exec_lo, exec_lo, s0
	v_and_b32_e32 v1, 1, v1
	s_mov_b32 s0, exec_lo
	s_delay_alu instid0(VALU_DEP_1)
	;; [unrolled: 12-line block ×5, first 2 shown]
	v_cmpx_eq_u32_e32 1, v1
; %bb.148:
	v_sub_nc_u32_e32 v1, v6, v4
	s_delay_alu instid0(VALU_DEP_1)
	v_lshlrev_b32_e32 v1, 2, v1
	ds_store_b32 v1, v12
; %bb.149:
	s_wait_alu 0xfffe
	s_or_b32 exec_lo, exec_lo, s0
	s_and_saveexec_b32 s0, s11
; %bb.150:
	v_sub_nc_u32_e32 v1, v19, v4
	s_delay_alu instid0(VALU_DEP_1)
	v_lshlrev_b32_e32 v1, 2, v1
	ds_store_b32 v1, v33
; %bb.151:
	s_wait_alu 0xfffe
	s_or_b32 exec_lo, exec_lo, s0
	v_lshlrev_b64_e32 v[11:12], 2, v[4:5]
	v_add_co_u32 v8, vcc_lo, s12, v17
	v_mov_b32_e32 v1, 0
	s_wait_alu 0xfffd
	v_add_co_ci_u32_e64 v13, null, s13, v18, vcc_lo
	s_delay_alu instid0(VALU_DEP_3) | instskip(NEXT) | instid1(VALU_DEP_3)
	v_add_co_u32 v8, vcc_lo, v8, v11
	v_dual_mov_b32 v7, v1 :: v_dual_mov_b32 v6, v0
	s_wait_alu 0xfffd
	s_delay_alu instid0(VALU_DEP_3)
	v_add_co_ci_u32_e64 v11, null, v13, v12, vcc_lo
	v_add_nc_u32_e32 v0, 0x180, v0
	s_mov_b32 s1, 0
	s_wait_storecnt 0x0
	s_wait_loadcnt_dscnt 0x0
	s_barrier_signal -1
	s_barrier_wait -1
	global_inv scope:SCOPE_SE
.LBB240_152:                            ; =>This Inner Loop Header: Depth=1
	v_lshlrev_b32_e32 v12, 2, v6
	v_cmp_le_u64_e32 vcc_lo, v[2:3], v[0:1]
	ds_load_b32 v14, v12
	v_lshlrev_b64_e32 v[12:13], 2, v[6:7]
	v_dual_mov_b32 v7, v1 :: v_dual_mov_b32 v6, v0
	v_add_nc_u32_e32 v0, 0x180, v0
	s_wait_alu 0xfffe
	s_or_b32 s1, vcc_lo, s1
	s_delay_alu instid0(VALU_DEP_3)
	v_add_co_u32 v12, s0, v8, v12
	s_wait_alu 0xf1ff
	v_add_co_ci_u32_e64 v13, null, v11, v13, s0
	s_wait_dscnt 0x0
	global_store_b32 v[12:13], v14, off
	s_wait_alu 0xfffe
	s_and_not1_b32 exec_lo, exec_lo, s1
	s_cbranch_execnz .LBB240_152
; %bb.153:
	s_or_b32 exec_lo, exec_lo, s1
	s_and_b32 s0, s2, s7
	s_wait_alu 0xfffe
	s_and_saveexec_b32 s1, s0
	s_cbranch_execz .LBB240_121
.LBB240_154:
	v_add_co_u32 v0, vcc_lo, v4, v2
	s_wait_alu 0xfffd
	v_add_co_ci_u32_e64 v1, null, v5, v3, vcc_lo
	v_mov_b32_e32 v2, 0
	s_delay_alu instid0(VALU_DEP_3) | instskip(SKIP_1) | instid1(VALU_DEP_3)
	v_add_co_u32 v0, vcc_lo, v0, v9
	s_wait_alu 0xfffd
	v_add_co_ci_u32_e64 v1, null, v1, v10, vcc_lo
	global_store_b64 v2, v[0:1], s[8:9]
	s_endpgm
	.section	.rodata,"a",@progbits
	.p2align	6, 0x0
	.amdhsa_kernel _ZN7rocprim17ROCPRIM_400000_NS6detail17trampoline_kernelINS0_14default_configENS1_25partition_config_selectorILNS1_17partition_subalgoE6EiNS0_10empty_typeEbEEZZNS1_14partition_implILS5_6ELb0ES3_mN6thrust23THRUST_200600_302600_NS6detail15normal_iteratorINSA_10device_ptrIiEEEEPS6_SG_NS0_5tupleIJSF_S6_EEENSH_IJSG_SG_EEES6_PlJNSB_9not_fun_tINSB_10functional5actorINSM_9compositeIJNSM_27transparent_binary_operatorINSA_8equal_toIvEEEENSN_INSM_8argumentILj0EEEEENSM_5valueIiEEEEEEEEEEEE10hipError_tPvRmT3_T4_T5_T6_T7_T9_mT8_P12ihipStream_tbDpT10_ENKUlT_T0_E_clISt17integral_constantIbLb0EES1J_IbLb1EEEEDaS1F_S1G_EUlS1F_E_NS1_11comp_targetILNS1_3genE10ELNS1_11target_archE1200ELNS1_3gpuE4ELNS1_3repE0EEENS1_30default_config_static_selectorELNS0_4arch9wavefront6targetE0EEEvT1_
		.amdhsa_group_segment_fixed_size 10768
		.amdhsa_private_segment_fixed_size 0
		.amdhsa_kernarg_size 128
		.amdhsa_user_sgpr_count 2
		.amdhsa_user_sgpr_dispatch_ptr 0
		.amdhsa_user_sgpr_queue_ptr 0
		.amdhsa_user_sgpr_kernarg_segment_ptr 1
		.amdhsa_user_sgpr_dispatch_id 0
		.amdhsa_user_sgpr_private_segment_size 0
		.amdhsa_wavefront_size32 1
		.amdhsa_uses_dynamic_stack 0
		.amdhsa_enable_private_segment 0
		.amdhsa_system_sgpr_workgroup_id_x 1
		.amdhsa_system_sgpr_workgroup_id_y 0
		.amdhsa_system_sgpr_workgroup_id_z 0
		.amdhsa_system_sgpr_workgroup_info 0
		.amdhsa_system_vgpr_workitem_id 0
		.amdhsa_next_free_vgpr 51
		.amdhsa_next_free_sgpr 21
		.amdhsa_reserve_vcc 1
		.amdhsa_float_round_mode_32 0
		.amdhsa_float_round_mode_16_64 0
		.amdhsa_float_denorm_mode_32 3
		.amdhsa_float_denorm_mode_16_64 3
		.amdhsa_fp16_overflow 0
		.amdhsa_workgroup_processor_mode 1
		.amdhsa_memory_ordered 1
		.amdhsa_forward_progress 1
		.amdhsa_inst_pref_size 60
		.amdhsa_round_robin_scheduling 0
		.amdhsa_exception_fp_ieee_invalid_op 0
		.amdhsa_exception_fp_denorm_src 0
		.amdhsa_exception_fp_ieee_div_zero 0
		.amdhsa_exception_fp_ieee_overflow 0
		.amdhsa_exception_fp_ieee_underflow 0
		.amdhsa_exception_fp_ieee_inexact 0
		.amdhsa_exception_int_div_zero 0
	.end_amdhsa_kernel
	.section	.text._ZN7rocprim17ROCPRIM_400000_NS6detail17trampoline_kernelINS0_14default_configENS1_25partition_config_selectorILNS1_17partition_subalgoE6EiNS0_10empty_typeEbEEZZNS1_14partition_implILS5_6ELb0ES3_mN6thrust23THRUST_200600_302600_NS6detail15normal_iteratorINSA_10device_ptrIiEEEEPS6_SG_NS0_5tupleIJSF_S6_EEENSH_IJSG_SG_EEES6_PlJNSB_9not_fun_tINSB_10functional5actorINSM_9compositeIJNSM_27transparent_binary_operatorINSA_8equal_toIvEEEENSN_INSM_8argumentILj0EEEEENSM_5valueIiEEEEEEEEEEEE10hipError_tPvRmT3_T4_T5_T6_T7_T9_mT8_P12ihipStream_tbDpT10_ENKUlT_T0_E_clISt17integral_constantIbLb0EES1J_IbLb1EEEEDaS1F_S1G_EUlS1F_E_NS1_11comp_targetILNS1_3genE10ELNS1_11target_archE1200ELNS1_3gpuE4ELNS1_3repE0EEENS1_30default_config_static_selectorELNS0_4arch9wavefront6targetE0EEEvT1_,"axG",@progbits,_ZN7rocprim17ROCPRIM_400000_NS6detail17trampoline_kernelINS0_14default_configENS1_25partition_config_selectorILNS1_17partition_subalgoE6EiNS0_10empty_typeEbEEZZNS1_14partition_implILS5_6ELb0ES3_mN6thrust23THRUST_200600_302600_NS6detail15normal_iteratorINSA_10device_ptrIiEEEEPS6_SG_NS0_5tupleIJSF_S6_EEENSH_IJSG_SG_EEES6_PlJNSB_9not_fun_tINSB_10functional5actorINSM_9compositeIJNSM_27transparent_binary_operatorINSA_8equal_toIvEEEENSN_INSM_8argumentILj0EEEEENSM_5valueIiEEEEEEEEEEEE10hipError_tPvRmT3_T4_T5_T6_T7_T9_mT8_P12ihipStream_tbDpT10_ENKUlT_T0_E_clISt17integral_constantIbLb0EES1J_IbLb1EEEEDaS1F_S1G_EUlS1F_E_NS1_11comp_targetILNS1_3genE10ELNS1_11target_archE1200ELNS1_3gpuE4ELNS1_3repE0EEENS1_30default_config_static_selectorELNS0_4arch9wavefront6targetE0EEEvT1_,comdat
.Lfunc_end240:
	.size	_ZN7rocprim17ROCPRIM_400000_NS6detail17trampoline_kernelINS0_14default_configENS1_25partition_config_selectorILNS1_17partition_subalgoE6EiNS0_10empty_typeEbEEZZNS1_14partition_implILS5_6ELb0ES3_mN6thrust23THRUST_200600_302600_NS6detail15normal_iteratorINSA_10device_ptrIiEEEEPS6_SG_NS0_5tupleIJSF_S6_EEENSH_IJSG_SG_EEES6_PlJNSB_9not_fun_tINSB_10functional5actorINSM_9compositeIJNSM_27transparent_binary_operatorINSA_8equal_toIvEEEENSN_INSM_8argumentILj0EEEEENSM_5valueIiEEEEEEEEEEEE10hipError_tPvRmT3_T4_T5_T6_T7_T9_mT8_P12ihipStream_tbDpT10_ENKUlT_T0_E_clISt17integral_constantIbLb0EES1J_IbLb1EEEEDaS1F_S1G_EUlS1F_E_NS1_11comp_targetILNS1_3genE10ELNS1_11target_archE1200ELNS1_3gpuE4ELNS1_3repE0EEENS1_30default_config_static_selectorELNS0_4arch9wavefront6targetE0EEEvT1_, .Lfunc_end240-_ZN7rocprim17ROCPRIM_400000_NS6detail17trampoline_kernelINS0_14default_configENS1_25partition_config_selectorILNS1_17partition_subalgoE6EiNS0_10empty_typeEbEEZZNS1_14partition_implILS5_6ELb0ES3_mN6thrust23THRUST_200600_302600_NS6detail15normal_iteratorINSA_10device_ptrIiEEEEPS6_SG_NS0_5tupleIJSF_S6_EEENSH_IJSG_SG_EEES6_PlJNSB_9not_fun_tINSB_10functional5actorINSM_9compositeIJNSM_27transparent_binary_operatorINSA_8equal_toIvEEEENSN_INSM_8argumentILj0EEEEENSM_5valueIiEEEEEEEEEEEE10hipError_tPvRmT3_T4_T5_T6_T7_T9_mT8_P12ihipStream_tbDpT10_ENKUlT_T0_E_clISt17integral_constantIbLb0EES1J_IbLb1EEEEDaS1F_S1G_EUlS1F_E_NS1_11comp_targetILNS1_3genE10ELNS1_11target_archE1200ELNS1_3gpuE4ELNS1_3repE0EEENS1_30default_config_static_selectorELNS0_4arch9wavefront6targetE0EEEvT1_
                                        ; -- End function
	.set _ZN7rocprim17ROCPRIM_400000_NS6detail17trampoline_kernelINS0_14default_configENS1_25partition_config_selectorILNS1_17partition_subalgoE6EiNS0_10empty_typeEbEEZZNS1_14partition_implILS5_6ELb0ES3_mN6thrust23THRUST_200600_302600_NS6detail15normal_iteratorINSA_10device_ptrIiEEEEPS6_SG_NS0_5tupleIJSF_S6_EEENSH_IJSG_SG_EEES6_PlJNSB_9not_fun_tINSB_10functional5actorINSM_9compositeIJNSM_27transparent_binary_operatorINSA_8equal_toIvEEEENSN_INSM_8argumentILj0EEEEENSM_5valueIiEEEEEEEEEEEE10hipError_tPvRmT3_T4_T5_T6_T7_T9_mT8_P12ihipStream_tbDpT10_ENKUlT_T0_E_clISt17integral_constantIbLb0EES1J_IbLb1EEEEDaS1F_S1G_EUlS1F_E_NS1_11comp_targetILNS1_3genE10ELNS1_11target_archE1200ELNS1_3gpuE4ELNS1_3repE0EEENS1_30default_config_static_selectorELNS0_4arch9wavefront6targetE0EEEvT1_.num_vgpr, 51
	.set _ZN7rocprim17ROCPRIM_400000_NS6detail17trampoline_kernelINS0_14default_configENS1_25partition_config_selectorILNS1_17partition_subalgoE6EiNS0_10empty_typeEbEEZZNS1_14partition_implILS5_6ELb0ES3_mN6thrust23THRUST_200600_302600_NS6detail15normal_iteratorINSA_10device_ptrIiEEEEPS6_SG_NS0_5tupleIJSF_S6_EEENSH_IJSG_SG_EEES6_PlJNSB_9not_fun_tINSB_10functional5actorINSM_9compositeIJNSM_27transparent_binary_operatorINSA_8equal_toIvEEEENSN_INSM_8argumentILj0EEEEENSM_5valueIiEEEEEEEEEEEE10hipError_tPvRmT3_T4_T5_T6_T7_T9_mT8_P12ihipStream_tbDpT10_ENKUlT_T0_E_clISt17integral_constantIbLb0EES1J_IbLb1EEEEDaS1F_S1G_EUlS1F_E_NS1_11comp_targetILNS1_3genE10ELNS1_11target_archE1200ELNS1_3gpuE4ELNS1_3repE0EEENS1_30default_config_static_selectorELNS0_4arch9wavefront6targetE0EEEvT1_.num_agpr, 0
	.set _ZN7rocprim17ROCPRIM_400000_NS6detail17trampoline_kernelINS0_14default_configENS1_25partition_config_selectorILNS1_17partition_subalgoE6EiNS0_10empty_typeEbEEZZNS1_14partition_implILS5_6ELb0ES3_mN6thrust23THRUST_200600_302600_NS6detail15normal_iteratorINSA_10device_ptrIiEEEEPS6_SG_NS0_5tupleIJSF_S6_EEENSH_IJSG_SG_EEES6_PlJNSB_9not_fun_tINSB_10functional5actorINSM_9compositeIJNSM_27transparent_binary_operatorINSA_8equal_toIvEEEENSN_INSM_8argumentILj0EEEEENSM_5valueIiEEEEEEEEEEEE10hipError_tPvRmT3_T4_T5_T6_T7_T9_mT8_P12ihipStream_tbDpT10_ENKUlT_T0_E_clISt17integral_constantIbLb0EES1J_IbLb1EEEEDaS1F_S1G_EUlS1F_E_NS1_11comp_targetILNS1_3genE10ELNS1_11target_archE1200ELNS1_3gpuE4ELNS1_3repE0EEENS1_30default_config_static_selectorELNS0_4arch9wavefront6targetE0EEEvT1_.numbered_sgpr, 21
	.set _ZN7rocprim17ROCPRIM_400000_NS6detail17trampoline_kernelINS0_14default_configENS1_25partition_config_selectorILNS1_17partition_subalgoE6EiNS0_10empty_typeEbEEZZNS1_14partition_implILS5_6ELb0ES3_mN6thrust23THRUST_200600_302600_NS6detail15normal_iteratorINSA_10device_ptrIiEEEEPS6_SG_NS0_5tupleIJSF_S6_EEENSH_IJSG_SG_EEES6_PlJNSB_9not_fun_tINSB_10functional5actorINSM_9compositeIJNSM_27transparent_binary_operatorINSA_8equal_toIvEEEENSN_INSM_8argumentILj0EEEEENSM_5valueIiEEEEEEEEEEEE10hipError_tPvRmT3_T4_T5_T6_T7_T9_mT8_P12ihipStream_tbDpT10_ENKUlT_T0_E_clISt17integral_constantIbLb0EES1J_IbLb1EEEEDaS1F_S1G_EUlS1F_E_NS1_11comp_targetILNS1_3genE10ELNS1_11target_archE1200ELNS1_3gpuE4ELNS1_3repE0EEENS1_30default_config_static_selectorELNS0_4arch9wavefront6targetE0EEEvT1_.num_named_barrier, 0
	.set _ZN7rocprim17ROCPRIM_400000_NS6detail17trampoline_kernelINS0_14default_configENS1_25partition_config_selectorILNS1_17partition_subalgoE6EiNS0_10empty_typeEbEEZZNS1_14partition_implILS5_6ELb0ES3_mN6thrust23THRUST_200600_302600_NS6detail15normal_iteratorINSA_10device_ptrIiEEEEPS6_SG_NS0_5tupleIJSF_S6_EEENSH_IJSG_SG_EEES6_PlJNSB_9not_fun_tINSB_10functional5actorINSM_9compositeIJNSM_27transparent_binary_operatorINSA_8equal_toIvEEEENSN_INSM_8argumentILj0EEEEENSM_5valueIiEEEEEEEEEEEE10hipError_tPvRmT3_T4_T5_T6_T7_T9_mT8_P12ihipStream_tbDpT10_ENKUlT_T0_E_clISt17integral_constantIbLb0EES1J_IbLb1EEEEDaS1F_S1G_EUlS1F_E_NS1_11comp_targetILNS1_3genE10ELNS1_11target_archE1200ELNS1_3gpuE4ELNS1_3repE0EEENS1_30default_config_static_selectorELNS0_4arch9wavefront6targetE0EEEvT1_.private_seg_size, 0
	.set _ZN7rocprim17ROCPRIM_400000_NS6detail17trampoline_kernelINS0_14default_configENS1_25partition_config_selectorILNS1_17partition_subalgoE6EiNS0_10empty_typeEbEEZZNS1_14partition_implILS5_6ELb0ES3_mN6thrust23THRUST_200600_302600_NS6detail15normal_iteratorINSA_10device_ptrIiEEEEPS6_SG_NS0_5tupleIJSF_S6_EEENSH_IJSG_SG_EEES6_PlJNSB_9not_fun_tINSB_10functional5actorINSM_9compositeIJNSM_27transparent_binary_operatorINSA_8equal_toIvEEEENSN_INSM_8argumentILj0EEEEENSM_5valueIiEEEEEEEEEEEE10hipError_tPvRmT3_T4_T5_T6_T7_T9_mT8_P12ihipStream_tbDpT10_ENKUlT_T0_E_clISt17integral_constantIbLb0EES1J_IbLb1EEEEDaS1F_S1G_EUlS1F_E_NS1_11comp_targetILNS1_3genE10ELNS1_11target_archE1200ELNS1_3gpuE4ELNS1_3repE0EEENS1_30default_config_static_selectorELNS0_4arch9wavefront6targetE0EEEvT1_.uses_vcc, 1
	.set _ZN7rocprim17ROCPRIM_400000_NS6detail17trampoline_kernelINS0_14default_configENS1_25partition_config_selectorILNS1_17partition_subalgoE6EiNS0_10empty_typeEbEEZZNS1_14partition_implILS5_6ELb0ES3_mN6thrust23THRUST_200600_302600_NS6detail15normal_iteratorINSA_10device_ptrIiEEEEPS6_SG_NS0_5tupleIJSF_S6_EEENSH_IJSG_SG_EEES6_PlJNSB_9not_fun_tINSB_10functional5actorINSM_9compositeIJNSM_27transparent_binary_operatorINSA_8equal_toIvEEEENSN_INSM_8argumentILj0EEEEENSM_5valueIiEEEEEEEEEEEE10hipError_tPvRmT3_T4_T5_T6_T7_T9_mT8_P12ihipStream_tbDpT10_ENKUlT_T0_E_clISt17integral_constantIbLb0EES1J_IbLb1EEEEDaS1F_S1G_EUlS1F_E_NS1_11comp_targetILNS1_3genE10ELNS1_11target_archE1200ELNS1_3gpuE4ELNS1_3repE0EEENS1_30default_config_static_selectorELNS0_4arch9wavefront6targetE0EEEvT1_.uses_flat_scratch, 1
	.set _ZN7rocprim17ROCPRIM_400000_NS6detail17trampoline_kernelINS0_14default_configENS1_25partition_config_selectorILNS1_17partition_subalgoE6EiNS0_10empty_typeEbEEZZNS1_14partition_implILS5_6ELb0ES3_mN6thrust23THRUST_200600_302600_NS6detail15normal_iteratorINSA_10device_ptrIiEEEEPS6_SG_NS0_5tupleIJSF_S6_EEENSH_IJSG_SG_EEES6_PlJNSB_9not_fun_tINSB_10functional5actorINSM_9compositeIJNSM_27transparent_binary_operatorINSA_8equal_toIvEEEENSN_INSM_8argumentILj0EEEEENSM_5valueIiEEEEEEEEEEEE10hipError_tPvRmT3_T4_T5_T6_T7_T9_mT8_P12ihipStream_tbDpT10_ENKUlT_T0_E_clISt17integral_constantIbLb0EES1J_IbLb1EEEEDaS1F_S1G_EUlS1F_E_NS1_11comp_targetILNS1_3genE10ELNS1_11target_archE1200ELNS1_3gpuE4ELNS1_3repE0EEENS1_30default_config_static_selectorELNS0_4arch9wavefront6targetE0EEEvT1_.has_dyn_sized_stack, 0
	.set _ZN7rocprim17ROCPRIM_400000_NS6detail17trampoline_kernelINS0_14default_configENS1_25partition_config_selectorILNS1_17partition_subalgoE6EiNS0_10empty_typeEbEEZZNS1_14partition_implILS5_6ELb0ES3_mN6thrust23THRUST_200600_302600_NS6detail15normal_iteratorINSA_10device_ptrIiEEEEPS6_SG_NS0_5tupleIJSF_S6_EEENSH_IJSG_SG_EEES6_PlJNSB_9not_fun_tINSB_10functional5actorINSM_9compositeIJNSM_27transparent_binary_operatorINSA_8equal_toIvEEEENSN_INSM_8argumentILj0EEEEENSM_5valueIiEEEEEEEEEEEE10hipError_tPvRmT3_T4_T5_T6_T7_T9_mT8_P12ihipStream_tbDpT10_ENKUlT_T0_E_clISt17integral_constantIbLb0EES1J_IbLb1EEEEDaS1F_S1G_EUlS1F_E_NS1_11comp_targetILNS1_3genE10ELNS1_11target_archE1200ELNS1_3gpuE4ELNS1_3repE0EEENS1_30default_config_static_selectorELNS0_4arch9wavefront6targetE0EEEvT1_.has_recursion, 0
	.set _ZN7rocprim17ROCPRIM_400000_NS6detail17trampoline_kernelINS0_14default_configENS1_25partition_config_selectorILNS1_17partition_subalgoE6EiNS0_10empty_typeEbEEZZNS1_14partition_implILS5_6ELb0ES3_mN6thrust23THRUST_200600_302600_NS6detail15normal_iteratorINSA_10device_ptrIiEEEEPS6_SG_NS0_5tupleIJSF_S6_EEENSH_IJSG_SG_EEES6_PlJNSB_9not_fun_tINSB_10functional5actorINSM_9compositeIJNSM_27transparent_binary_operatorINSA_8equal_toIvEEEENSN_INSM_8argumentILj0EEEEENSM_5valueIiEEEEEEEEEEEE10hipError_tPvRmT3_T4_T5_T6_T7_T9_mT8_P12ihipStream_tbDpT10_ENKUlT_T0_E_clISt17integral_constantIbLb0EES1J_IbLb1EEEEDaS1F_S1G_EUlS1F_E_NS1_11comp_targetILNS1_3genE10ELNS1_11target_archE1200ELNS1_3gpuE4ELNS1_3repE0EEENS1_30default_config_static_selectorELNS0_4arch9wavefront6targetE0EEEvT1_.has_indirect_call, 0
	.section	.AMDGPU.csdata,"",@progbits
; Kernel info:
; codeLenInByte = 7636
; TotalNumSgprs: 23
; NumVgprs: 51
; ScratchSize: 0
; MemoryBound: 0
; FloatMode: 240
; IeeeMode: 1
; LDSByteSize: 10768 bytes/workgroup (compile time only)
; SGPRBlocks: 0
; VGPRBlocks: 6
; NumSGPRsForWavesPerEU: 23
; NumVGPRsForWavesPerEU: 51
; Occupancy: 15
; WaveLimiterHint : 1
; COMPUTE_PGM_RSRC2:SCRATCH_EN: 0
; COMPUTE_PGM_RSRC2:USER_SGPR: 2
; COMPUTE_PGM_RSRC2:TRAP_HANDLER: 0
; COMPUTE_PGM_RSRC2:TGID_X_EN: 1
; COMPUTE_PGM_RSRC2:TGID_Y_EN: 0
; COMPUTE_PGM_RSRC2:TGID_Z_EN: 0
; COMPUTE_PGM_RSRC2:TIDIG_COMP_CNT: 0
	.section	.text._ZN7rocprim17ROCPRIM_400000_NS6detail17trampoline_kernelINS0_14default_configENS1_25partition_config_selectorILNS1_17partition_subalgoE6EiNS0_10empty_typeEbEEZZNS1_14partition_implILS5_6ELb0ES3_mN6thrust23THRUST_200600_302600_NS6detail15normal_iteratorINSA_10device_ptrIiEEEEPS6_SG_NS0_5tupleIJSF_S6_EEENSH_IJSG_SG_EEES6_PlJNSB_9not_fun_tINSB_10functional5actorINSM_9compositeIJNSM_27transparent_binary_operatorINSA_8equal_toIvEEEENSN_INSM_8argumentILj0EEEEENSM_5valueIiEEEEEEEEEEEE10hipError_tPvRmT3_T4_T5_T6_T7_T9_mT8_P12ihipStream_tbDpT10_ENKUlT_T0_E_clISt17integral_constantIbLb0EES1J_IbLb1EEEEDaS1F_S1G_EUlS1F_E_NS1_11comp_targetILNS1_3genE9ELNS1_11target_archE1100ELNS1_3gpuE3ELNS1_3repE0EEENS1_30default_config_static_selectorELNS0_4arch9wavefront6targetE0EEEvT1_,"axG",@progbits,_ZN7rocprim17ROCPRIM_400000_NS6detail17trampoline_kernelINS0_14default_configENS1_25partition_config_selectorILNS1_17partition_subalgoE6EiNS0_10empty_typeEbEEZZNS1_14partition_implILS5_6ELb0ES3_mN6thrust23THRUST_200600_302600_NS6detail15normal_iteratorINSA_10device_ptrIiEEEEPS6_SG_NS0_5tupleIJSF_S6_EEENSH_IJSG_SG_EEES6_PlJNSB_9not_fun_tINSB_10functional5actorINSM_9compositeIJNSM_27transparent_binary_operatorINSA_8equal_toIvEEEENSN_INSM_8argumentILj0EEEEENSM_5valueIiEEEEEEEEEEEE10hipError_tPvRmT3_T4_T5_T6_T7_T9_mT8_P12ihipStream_tbDpT10_ENKUlT_T0_E_clISt17integral_constantIbLb0EES1J_IbLb1EEEEDaS1F_S1G_EUlS1F_E_NS1_11comp_targetILNS1_3genE9ELNS1_11target_archE1100ELNS1_3gpuE3ELNS1_3repE0EEENS1_30default_config_static_selectorELNS0_4arch9wavefront6targetE0EEEvT1_,comdat
	.protected	_ZN7rocprim17ROCPRIM_400000_NS6detail17trampoline_kernelINS0_14default_configENS1_25partition_config_selectorILNS1_17partition_subalgoE6EiNS0_10empty_typeEbEEZZNS1_14partition_implILS5_6ELb0ES3_mN6thrust23THRUST_200600_302600_NS6detail15normal_iteratorINSA_10device_ptrIiEEEEPS6_SG_NS0_5tupleIJSF_S6_EEENSH_IJSG_SG_EEES6_PlJNSB_9not_fun_tINSB_10functional5actorINSM_9compositeIJNSM_27transparent_binary_operatorINSA_8equal_toIvEEEENSN_INSM_8argumentILj0EEEEENSM_5valueIiEEEEEEEEEEEE10hipError_tPvRmT3_T4_T5_T6_T7_T9_mT8_P12ihipStream_tbDpT10_ENKUlT_T0_E_clISt17integral_constantIbLb0EES1J_IbLb1EEEEDaS1F_S1G_EUlS1F_E_NS1_11comp_targetILNS1_3genE9ELNS1_11target_archE1100ELNS1_3gpuE3ELNS1_3repE0EEENS1_30default_config_static_selectorELNS0_4arch9wavefront6targetE0EEEvT1_ ; -- Begin function _ZN7rocprim17ROCPRIM_400000_NS6detail17trampoline_kernelINS0_14default_configENS1_25partition_config_selectorILNS1_17partition_subalgoE6EiNS0_10empty_typeEbEEZZNS1_14partition_implILS5_6ELb0ES3_mN6thrust23THRUST_200600_302600_NS6detail15normal_iteratorINSA_10device_ptrIiEEEEPS6_SG_NS0_5tupleIJSF_S6_EEENSH_IJSG_SG_EEES6_PlJNSB_9not_fun_tINSB_10functional5actorINSM_9compositeIJNSM_27transparent_binary_operatorINSA_8equal_toIvEEEENSN_INSM_8argumentILj0EEEEENSM_5valueIiEEEEEEEEEEEE10hipError_tPvRmT3_T4_T5_T6_T7_T9_mT8_P12ihipStream_tbDpT10_ENKUlT_T0_E_clISt17integral_constantIbLb0EES1J_IbLb1EEEEDaS1F_S1G_EUlS1F_E_NS1_11comp_targetILNS1_3genE9ELNS1_11target_archE1100ELNS1_3gpuE3ELNS1_3repE0EEENS1_30default_config_static_selectorELNS0_4arch9wavefront6targetE0EEEvT1_
	.globl	_ZN7rocprim17ROCPRIM_400000_NS6detail17trampoline_kernelINS0_14default_configENS1_25partition_config_selectorILNS1_17partition_subalgoE6EiNS0_10empty_typeEbEEZZNS1_14partition_implILS5_6ELb0ES3_mN6thrust23THRUST_200600_302600_NS6detail15normal_iteratorINSA_10device_ptrIiEEEEPS6_SG_NS0_5tupleIJSF_S6_EEENSH_IJSG_SG_EEES6_PlJNSB_9not_fun_tINSB_10functional5actorINSM_9compositeIJNSM_27transparent_binary_operatorINSA_8equal_toIvEEEENSN_INSM_8argumentILj0EEEEENSM_5valueIiEEEEEEEEEEEE10hipError_tPvRmT3_T4_T5_T6_T7_T9_mT8_P12ihipStream_tbDpT10_ENKUlT_T0_E_clISt17integral_constantIbLb0EES1J_IbLb1EEEEDaS1F_S1G_EUlS1F_E_NS1_11comp_targetILNS1_3genE9ELNS1_11target_archE1100ELNS1_3gpuE3ELNS1_3repE0EEENS1_30default_config_static_selectorELNS0_4arch9wavefront6targetE0EEEvT1_
	.p2align	8
	.type	_ZN7rocprim17ROCPRIM_400000_NS6detail17trampoline_kernelINS0_14default_configENS1_25partition_config_selectorILNS1_17partition_subalgoE6EiNS0_10empty_typeEbEEZZNS1_14partition_implILS5_6ELb0ES3_mN6thrust23THRUST_200600_302600_NS6detail15normal_iteratorINSA_10device_ptrIiEEEEPS6_SG_NS0_5tupleIJSF_S6_EEENSH_IJSG_SG_EEES6_PlJNSB_9not_fun_tINSB_10functional5actorINSM_9compositeIJNSM_27transparent_binary_operatorINSA_8equal_toIvEEEENSN_INSM_8argumentILj0EEEEENSM_5valueIiEEEEEEEEEEEE10hipError_tPvRmT3_T4_T5_T6_T7_T9_mT8_P12ihipStream_tbDpT10_ENKUlT_T0_E_clISt17integral_constantIbLb0EES1J_IbLb1EEEEDaS1F_S1G_EUlS1F_E_NS1_11comp_targetILNS1_3genE9ELNS1_11target_archE1100ELNS1_3gpuE3ELNS1_3repE0EEENS1_30default_config_static_selectorELNS0_4arch9wavefront6targetE0EEEvT1_,@function
_ZN7rocprim17ROCPRIM_400000_NS6detail17trampoline_kernelINS0_14default_configENS1_25partition_config_selectorILNS1_17partition_subalgoE6EiNS0_10empty_typeEbEEZZNS1_14partition_implILS5_6ELb0ES3_mN6thrust23THRUST_200600_302600_NS6detail15normal_iteratorINSA_10device_ptrIiEEEEPS6_SG_NS0_5tupleIJSF_S6_EEENSH_IJSG_SG_EEES6_PlJNSB_9not_fun_tINSB_10functional5actorINSM_9compositeIJNSM_27transparent_binary_operatorINSA_8equal_toIvEEEENSN_INSM_8argumentILj0EEEEENSM_5valueIiEEEEEEEEEEEE10hipError_tPvRmT3_T4_T5_T6_T7_T9_mT8_P12ihipStream_tbDpT10_ENKUlT_T0_E_clISt17integral_constantIbLb0EES1J_IbLb1EEEEDaS1F_S1G_EUlS1F_E_NS1_11comp_targetILNS1_3genE9ELNS1_11target_archE1100ELNS1_3gpuE3ELNS1_3repE0EEENS1_30default_config_static_selectorELNS0_4arch9wavefront6targetE0EEEvT1_: ; @_ZN7rocprim17ROCPRIM_400000_NS6detail17trampoline_kernelINS0_14default_configENS1_25partition_config_selectorILNS1_17partition_subalgoE6EiNS0_10empty_typeEbEEZZNS1_14partition_implILS5_6ELb0ES3_mN6thrust23THRUST_200600_302600_NS6detail15normal_iteratorINSA_10device_ptrIiEEEEPS6_SG_NS0_5tupleIJSF_S6_EEENSH_IJSG_SG_EEES6_PlJNSB_9not_fun_tINSB_10functional5actorINSM_9compositeIJNSM_27transparent_binary_operatorINSA_8equal_toIvEEEENSN_INSM_8argumentILj0EEEEENSM_5valueIiEEEEEEEEEEEE10hipError_tPvRmT3_T4_T5_T6_T7_T9_mT8_P12ihipStream_tbDpT10_ENKUlT_T0_E_clISt17integral_constantIbLb0EES1J_IbLb1EEEEDaS1F_S1G_EUlS1F_E_NS1_11comp_targetILNS1_3genE9ELNS1_11target_archE1100ELNS1_3gpuE3ELNS1_3repE0EEENS1_30default_config_static_selectorELNS0_4arch9wavefront6targetE0EEEvT1_
; %bb.0:
	.section	.rodata,"a",@progbits
	.p2align	6, 0x0
	.amdhsa_kernel _ZN7rocprim17ROCPRIM_400000_NS6detail17trampoline_kernelINS0_14default_configENS1_25partition_config_selectorILNS1_17partition_subalgoE6EiNS0_10empty_typeEbEEZZNS1_14partition_implILS5_6ELb0ES3_mN6thrust23THRUST_200600_302600_NS6detail15normal_iteratorINSA_10device_ptrIiEEEEPS6_SG_NS0_5tupleIJSF_S6_EEENSH_IJSG_SG_EEES6_PlJNSB_9not_fun_tINSB_10functional5actorINSM_9compositeIJNSM_27transparent_binary_operatorINSA_8equal_toIvEEEENSN_INSM_8argumentILj0EEEEENSM_5valueIiEEEEEEEEEEEE10hipError_tPvRmT3_T4_T5_T6_T7_T9_mT8_P12ihipStream_tbDpT10_ENKUlT_T0_E_clISt17integral_constantIbLb0EES1J_IbLb1EEEEDaS1F_S1G_EUlS1F_E_NS1_11comp_targetILNS1_3genE9ELNS1_11target_archE1100ELNS1_3gpuE3ELNS1_3repE0EEENS1_30default_config_static_selectorELNS0_4arch9wavefront6targetE0EEEvT1_
		.amdhsa_group_segment_fixed_size 0
		.amdhsa_private_segment_fixed_size 0
		.amdhsa_kernarg_size 128
		.amdhsa_user_sgpr_count 2
		.amdhsa_user_sgpr_dispatch_ptr 0
		.amdhsa_user_sgpr_queue_ptr 0
		.amdhsa_user_sgpr_kernarg_segment_ptr 1
		.amdhsa_user_sgpr_dispatch_id 0
		.amdhsa_user_sgpr_private_segment_size 0
		.amdhsa_wavefront_size32 1
		.amdhsa_uses_dynamic_stack 0
		.amdhsa_enable_private_segment 0
		.amdhsa_system_sgpr_workgroup_id_x 1
		.amdhsa_system_sgpr_workgroup_id_y 0
		.amdhsa_system_sgpr_workgroup_id_z 0
		.amdhsa_system_sgpr_workgroup_info 0
		.amdhsa_system_vgpr_workitem_id 0
		.amdhsa_next_free_vgpr 1
		.amdhsa_next_free_sgpr 1
		.amdhsa_reserve_vcc 0
		.amdhsa_float_round_mode_32 0
		.amdhsa_float_round_mode_16_64 0
		.amdhsa_float_denorm_mode_32 3
		.amdhsa_float_denorm_mode_16_64 3
		.amdhsa_fp16_overflow 0
		.amdhsa_workgroup_processor_mode 1
		.amdhsa_memory_ordered 1
		.amdhsa_forward_progress 1
		.amdhsa_inst_pref_size 0
		.amdhsa_round_robin_scheduling 0
		.amdhsa_exception_fp_ieee_invalid_op 0
		.amdhsa_exception_fp_denorm_src 0
		.amdhsa_exception_fp_ieee_div_zero 0
		.amdhsa_exception_fp_ieee_overflow 0
		.amdhsa_exception_fp_ieee_underflow 0
		.amdhsa_exception_fp_ieee_inexact 0
		.amdhsa_exception_int_div_zero 0
	.end_amdhsa_kernel
	.section	.text._ZN7rocprim17ROCPRIM_400000_NS6detail17trampoline_kernelINS0_14default_configENS1_25partition_config_selectorILNS1_17partition_subalgoE6EiNS0_10empty_typeEbEEZZNS1_14partition_implILS5_6ELb0ES3_mN6thrust23THRUST_200600_302600_NS6detail15normal_iteratorINSA_10device_ptrIiEEEEPS6_SG_NS0_5tupleIJSF_S6_EEENSH_IJSG_SG_EEES6_PlJNSB_9not_fun_tINSB_10functional5actorINSM_9compositeIJNSM_27transparent_binary_operatorINSA_8equal_toIvEEEENSN_INSM_8argumentILj0EEEEENSM_5valueIiEEEEEEEEEEEE10hipError_tPvRmT3_T4_T5_T6_T7_T9_mT8_P12ihipStream_tbDpT10_ENKUlT_T0_E_clISt17integral_constantIbLb0EES1J_IbLb1EEEEDaS1F_S1G_EUlS1F_E_NS1_11comp_targetILNS1_3genE9ELNS1_11target_archE1100ELNS1_3gpuE3ELNS1_3repE0EEENS1_30default_config_static_selectorELNS0_4arch9wavefront6targetE0EEEvT1_,"axG",@progbits,_ZN7rocprim17ROCPRIM_400000_NS6detail17trampoline_kernelINS0_14default_configENS1_25partition_config_selectorILNS1_17partition_subalgoE6EiNS0_10empty_typeEbEEZZNS1_14partition_implILS5_6ELb0ES3_mN6thrust23THRUST_200600_302600_NS6detail15normal_iteratorINSA_10device_ptrIiEEEEPS6_SG_NS0_5tupleIJSF_S6_EEENSH_IJSG_SG_EEES6_PlJNSB_9not_fun_tINSB_10functional5actorINSM_9compositeIJNSM_27transparent_binary_operatorINSA_8equal_toIvEEEENSN_INSM_8argumentILj0EEEEENSM_5valueIiEEEEEEEEEEEE10hipError_tPvRmT3_T4_T5_T6_T7_T9_mT8_P12ihipStream_tbDpT10_ENKUlT_T0_E_clISt17integral_constantIbLb0EES1J_IbLb1EEEEDaS1F_S1G_EUlS1F_E_NS1_11comp_targetILNS1_3genE9ELNS1_11target_archE1100ELNS1_3gpuE3ELNS1_3repE0EEENS1_30default_config_static_selectorELNS0_4arch9wavefront6targetE0EEEvT1_,comdat
.Lfunc_end241:
	.size	_ZN7rocprim17ROCPRIM_400000_NS6detail17trampoline_kernelINS0_14default_configENS1_25partition_config_selectorILNS1_17partition_subalgoE6EiNS0_10empty_typeEbEEZZNS1_14partition_implILS5_6ELb0ES3_mN6thrust23THRUST_200600_302600_NS6detail15normal_iteratorINSA_10device_ptrIiEEEEPS6_SG_NS0_5tupleIJSF_S6_EEENSH_IJSG_SG_EEES6_PlJNSB_9not_fun_tINSB_10functional5actorINSM_9compositeIJNSM_27transparent_binary_operatorINSA_8equal_toIvEEEENSN_INSM_8argumentILj0EEEEENSM_5valueIiEEEEEEEEEEEE10hipError_tPvRmT3_T4_T5_T6_T7_T9_mT8_P12ihipStream_tbDpT10_ENKUlT_T0_E_clISt17integral_constantIbLb0EES1J_IbLb1EEEEDaS1F_S1G_EUlS1F_E_NS1_11comp_targetILNS1_3genE9ELNS1_11target_archE1100ELNS1_3gpuE3ELNS1_3repE0EEENS1_30default_config_static_selectorELNS0_4arch9wavefront6targetE0EEEvT1_, .Lfunc_end241-_ZN7rocprim17ROCPRIM_400000_NS6detail17trampoline_kernelINS0_14default_configENS1_25partition_config_selectorILNS1_17partition_subalgoE6EiNS0_10empty_typeEbEEZZNS1_14partition_implILS5_6ELb0ES3_mN6thrust23THRUST_200600_302600_NS6detail15normal_iteratorINSA_10device_ptrIiEEEEPS6_SG_NS0_5tupleIJSF_S6_EEENSH_IJSG_SG_EEES6_PlJNSB_9not_fun_tINSB_10functional5actorINSM_9compositeIJNSM_27transparent_binary_operatorINSA_8equal_toIvEEEENSN_INSM_8argumentILj0EEEEENSM_5valueIiEEEEEEEEEEEE10hipError_tPvRmT3_T4_T5_T6_T7_T9_mT8_P12ihipStream_tbDpT10_ENKUlT_T0_E_clISt17integral_constantIbLb0EES1J_IbLb1EEEEDaS1F_S1G_EUlS1F_E_NS1_11comp_targetILNS1_3genE9ELNS1_11target_archE1100ELNS1_3gpuE3ELNS1_3repE0EEENS1_30default_config_static_selectorELNS0_4arch9wavefront6targetE0EEEvT1_
                                        ; -- End function
	.set _ZN7rocprim17ROCPRIM_400000_NS6detail17trampoline_kernelINS0_14default_configENS1_25partition_config_selectorILNS1_17partition_subalgoE6EiNS0_10empty_typeEbEEZZNS1_14partition_implILS5_6ELb0ES3_mN6thrust23THRUST_200600_302600_NS6detail15normal_iteratorINSA_10device_ptrIiEEEEPS6_SG_NS0_5tupleIJSF_S6_EEENSH_IJSG_SG_EEES6_PlJNSB_9not_fun_tINSB_10functional5actorINSM_9compositeIJNSM_27transparent_binary_operatorINSA_8equal_toIvEEEENSN_INSM_8argumentILj0EEEEENSM_5valueIiEEEEEEEEEEEE10hipError_tPvRmT3_T4_T5_T6_T7_T9_mT8_P12ihipStream_tbDpT10_ENKUlT_T0_E_clISt17integral_constantIbLb0EES1J_IbLb1EEEEDaS1F_S1G_EUlS1F_E_NS1_11comp_targetILNS1_3genE9ELNS1_11target_archE1100ELNS1_3gpuE3ELNS1_3repE0EEENS1_30default_config_static_selectorELNS0_4arch9wavefront6targetE0EEEvT1_.num_vgpr, 0
	.set _ZN7rocprim17ROCPRIM_400000_NS6detail17trampoline_kernelINS0_14default_configENS1_25partition_config_selectorILNS1_17partition_subalgoE6EiNS0_10empty_typeEbEEZZNS1_14partition_implILS5_6ELb0ES3_mN6thrust23THRUST_200600_302600_NS6detail15normal_iteratorINSA_10device_ptrIiEEEEPS6_SG_NS0_5tupleIJSF_S6_EEENSH_IJSG_SG_EEES6_PlJNSB_9not_fun_tINSB_10functional5actorINSM_9compositeIJNSM_27transparent_binary_operatorINSA_8equal_toIvEEEENSN_INSM_8argumentILj0EEEEENSM_5valueIiEEEEEEEEEEEE10hipError_tPvRmT3_T4_T5_T6_T7_T9_mT8_P12ihipStream_tbDpT10_ENKUlT_T0_E_clISt17integral_constantIbLb0EES1J_IbLb1EEEEDaS1F_S1G_EUlS1F_E_NS1_11comp_targetILNS1_3genE9ELNS1_11target_archE1100ELNS1_3gpuE3ELNS1_3repE0EEENS1_30default_config_static_selectorELNS0_4arch9wavefront6targetE0EEEvT1_.num_agpr, 0
	.set _ZN7rocprim17ROCPRIM_400000_NS6detail17trampoline_kernelINS0_14default_configENS1_25partition_config_selectorILNS1_17partition_subalgoE6EiNS0_10empty_typeEbEEZZNS1_14partition_implILS5_6ELb0ES3_mN6thrust23THRUST_200600_302600_NS6detail15normal_iteratorINSA_10device_ptrIiEEEEPS6_SG_NS0_5tupleIJSF_S6_EEENSH_IJSG_SG_EEES6_PlJNSB_9not_fun_tINSB_10functional5actorINSM_9compositeIJNSM_27transparent_binary_operatorINSA_8equal_toIvEEEENSN_INSM_8argumentILj0EEEEENSM_5valueIiEEEEEEEEEEEE10hipError_tPvRmT3_T4_T5_T6_T7_T9_mT8_P12ihipStream_tbDpT10_ENKUlT_T0_E_clISt17integral_constantIbLb0EES1J_IbLb1EEEEDaS1F_S1G_EUlS1F_E_NS1_11comp_targetILNS1_3genE9ELNS1_11target_archE1100ELNS1_3gpuE3ELNS1_3repE0EEENS1_30default_config_static_selectorELNS0_4arch9wavefront6targetE0EEEvT1_.numbered_sgpr, 0
	.set _ZN7rocprim17ROCPRIM_400000_NS6detail17trampoline_kernelINS0_14default_configENS1_25partition_config_selectorILNS1_17partition_subalgoE6EiNS0_10empty_typeEbEEZZNS1_14partition_implILS5_6ELb0ES3_mN6thrust23THRUST_200600_302600_NS6detail15normal_iteratorINSA_10device_ptrIiEEEEPS6_SG_NS0_5tupleIJSF_S6_EEENSH_IJSG_SG_EEES6_PlJNSB_9not_fun_tINSB_10functional5actorINSM_9compositeIJNSM_27transparent_binary_operatorINSA_8equal_toIvEEEENSN_INSM_8argumentILj0EEEEENSM_5valueIiEEEEEEEEEEEE10hipError_tPvRmT3_T4_T5_T6_T7_T9_mT8_P12ihipStream_tbDpT10_ENKUlT_T0_E_clISt17integral_constantIbLb0EES1J_IbLb1EEEEDaS1F_S1G_EUlS1F_E_NS1_11comp_targetILNS1_3genE9ELNS1_11target_archE1100ELNS1_3gpuE3ELNS1_3repE0EEENS1_30default_config_static_selectorELNS0_4arch9wavefront6targetE0EEEvT1_.num_named_barrier, 0
	.set _ZN7rocprim17ROCPRIM_400000_NS6detail17trampoline_kernelINS0_14default_configENS1_25partition_config_selectorILNS1_17partition_subalgoE6EiNS0_10empty_typeEbEEZZNS1_14partition_implILS5_6ELb0ES3_mN6thrust23THRUST_200600_302600_NS6detail15normal_iteratorINSA_10device_ptrIiEEEEPS6_SG_NS0_5tupleIJSF_S6_EEENSH_IJSG_SG_EEES6_PlJNSB_9not_fun_tINSB_10functional5actorINSM_9compositeIJNSM_27transparent_binary_operatorINSA_8equal_toIvEEEENSN_INSM_8argumentILj0EEEEENSM_5valueIiEEEEEEEEEEEE10hipError_tPvRmT3_T4_T5_T6_T7_T9_mT8_P12ihipStream_tbDpT10_ENKUlT_T0_E_clISt17integral_constantIbLb0EES1J_IbLb1EEEEDaS1F_S1G_EUlS1F_E_NS1_11comp_targetILNS1_3genE9ELNS1_11target_archE1100ELNS1_3gpuE3ELNS1_3repE0EEENS1_30default_config_static_selectorELNS0_4arch9wavefront6targetE0EEEvT1_.private_seg_size, 0
	.set _ZN7rocprim17ROCPRIM_400000_NS6detail17trampoline_kernelINS0_14default_configENS1_25partition_config_selectorILNS1_17partition_subalgoE6EiNS0_10empty_typeEbEEZZNS1_14partition_implILS5_6ELb0ES3_mN6thrust23THRUST_200600_302600_NS6detail15normal_iteratorINSA_10device_ptrIiEEEEPS6_SG_NS0_5tupleIJSF_S6_EEENSH_IJSG_SG_EEES6_PlJNSB_9not_fun_tINSB_10functional5actorINSM_9compositeIJNSM_27transparent_binary_operatorINSA_8equal_toIvEEEENSN_INSM_8argumentILj0EEEEENSM_5valueIiEEEEEEEEEEEE10hipError_tPvRmT3_T4_T5_T6_T7_T9_mT8_P12ihipStream_tbDpT10_ENKUlT_T0_E_clISt17integral_constantIbLb0EES1J_IbLb1EEEEDaS1F_S1G_EUlS1F_E_NS1_11comp_targetILNS1_3genE9ELNS1_11target_archE1100ELNS1_3gpuE3ELNS1_3repE0EEENS1_30default_config_static_selectorELNS0_4arch9wavefront6targetE0EEEvT1_.uses_vcc, 0
	.set _ZN7rocprim17ROCPRIM_400000_NS6detail17trampoline_kernelINS0_14default_configENS1_25partition_config_selectorILNS1_17partition_subalgoE6EiNS0_10empty_typeEbEEZZNS1_14partition_implILS5_6ELb0ES3_mN6thrust23THRUST_200600_302600_NS6detail15normal_iteratorINSA_10device_ptrIiEEEEPS6_SG_NS0_5tupleIJSF_S6_EEENSH_IJSG_SG_EEES6_PlJNSB_9not_fun_tINSB_10functional5actorINSM_9compositeIJNSM_27transparent_binary_operatorINSA_8equal_toIvEEEENSN_INSM_8argumentILj0EEEEENSM_5valueIiEEEEEEEEEEEE10hipError_tPvRmT3_T4_T5_T6_T7_T9_mT8_P12ihipStream_tbDpT10_ENKUlT_T0_E_clISt17integral_constantIbLb0EES1J_IbLb1EEEEDaS1F_S1G_EUlS1F_E_NS1_11comp_targetILNS1_3genE9ELNS1_11target_archE1100ELNS1_3gpuE3ELNS1_3repE0EEENS1_30default_config_static_selectorELNS0_4arch9wavefront6targetE0EEEvT1_.uses_flat_scratch, 0
	.set _ZN7rocprim17ROCPRIM_400000_NS6detail17trampoline_kernelINS0_14default_configENS1_25partition_config_selectorILNS1_17partition_subalgoE6EiNS0_10empty_typeEbEEZZNS1_14partition_implILS5_6ELb0ES3_mN6thrust23THRUST_200600_302600_NS6detail15normal_iteratorINSA_10device_ptrIiEEEEPS6_SG_NS0_5tupleIJSF_S6_EEENSH_IJSG_SG_EEES6_PlJNSB_9not_fun_tINSB_10functional5actorINSM_9compositeIJNSM_27transparent_binary_operatorINSA_8equal_toIvEEEENSN_INSM_8argumentILj0EEEEENSM_5valueIiEEEEEEEEEEEE10hipError_tPvRmT3_T4_T5_T6_T7_T9_mT8_P12ihipStream_tbDpT10_ENKUlT_T0_E_clISt17integral_constantIbLb0EES1J_IbLb1EEEEDaS1F_S1G_EUlS1F_E_NS1_11comp_targetILNS1_3genE9ELNS1_11target_archE1100ELNS1_3gpuE3ELNS1_3repE0EEENS1_30default_config_static_selectorELNS0_4arch9wavefront6targetE0EEEvT1_.has_dyn_sized_stack, 0
	.set _ZN7rocprim17ROCPRIM_400000_NS6detail17trampoline_kernelINS0_14default_configENS1_25partition_config_selectorILNS1_17partition_subalgoE6EiNS0_10empty_typeEbEEZZNS1_14partition_implILS5_6ELb0ES3_mN6thrust23THRUST_200600_302600_NS6detail15normal_iteratorINSA_10device_ptrIiEEEEPS6_SG_NS0_5tupleIJSF_S6_EEENSH_IJSG_SG_EEES6_PlJNSB_9not_fun_tINSB_10functional5actorINSM_9compositeIJNSM_27transparent_binary_operatorINSA_8equal_toIvEEEENSN_INSM_8argumentILj0EEEEENSM_5valueIiEEEEEEEEEEEE10hipError_tPvRmT3_T4_T5_T6_T7_T9_mT8_P12ihipStream_tbDpT10_ENKUlT_T0_E_clISt17integral_constantIbLb0EES1J_IbLb1EEEEDaS1F_S1G_EUlS1F_E_NS1_11comp_targetILNS1_3genE9ELNS1_11target_archE1100ELNS1_3gpuE3ELNS1_3repE0EEENS1_30default_config_static_selectorELNS0_4arch9wavefront6targetE0EEEvT1_.has_recursion, 0
	.set _ZN7rocprim17ROCPRIM_400000_NS6detail17trampoline_kernelINS0_14default_configENS1_25partition_config_selectorILNS1_17partition_subalgoE6EiNS0_10empty_typeEbEEZZNS1_14partition_implILS5_6ELb0ES3_mN6thrust23THRUST_200600_302600_NS6detail15normal_iteratorINSA_10device_ptrIiEEEEPS6_SG_NS0_5tupleIJSF_S6_EEENSH_IJSG_SG_EEES6_PlJNSB_9not_fun_tINSB_10functional5actorINSM_9compositeIJNSM_27transparent_binary_operatorINSA_8equal_toIvEEEENSN_INSM_8argumentILj0EEEEENSM_5valueIiEEEEEEEEEEEE10hipError_tPvRmT3_T4_T5_T6_T7_T9_mT8_P12ihipStream_tbDpT10_ENKUlT_T0_E_clISt17integral_constantIbLb0EES1J_IbLb1EEEEDaS1F_S1G_EUlS1F_E_NS1_11comp_targetILNS1_3genE9ELNS1_11target_archE1100ELNS1_3gpuE3ELNS1_3repE0EEENS1_30default_config_static_selectorELNS0_4arch9wavefront6targetE0EEEvT1_.has_indirect_call, 0
	.section	.AMDGPU.csdata,"",@progbits
; Kernel info:
; codeLenInByte = 0
; TotalNumSgprs: 0
; NumVgprs: 0
; ScratchSize: 0
; MemoryBound: 0
; FloatMode: 240
; IeeeMode: 1
; LDSByteSize: 0 bytes/workgroup (compile time only)
; SGPRBlocks: 0
; VGPRBlocks: 0
; NumSGPRsForWavesPerEU: 1
; NumVGPRsForWavesPerEU: 1
; Occupancy: 16
; WaveLimiterHint : 0
; COMPUTE_PGM_RSRC2:SCRATCH_EN: 0
; COMPUTE_PGM_RSRC2:USER_SGPR: 2
; COMPUTE_PGM_RSRC2:TRAP_HANDLER: 0
; COMPUTE_PGM_RSRC2:TGID_X_EN: 1
; COMPUTE_PGM_RSRC2:TGID_Y_EN: 0
; COMPUTE_PGM_RSRC2:TGID_Z_EN: 0
; COMPUTE_PGM_RSRC2:TIDIG_COMP_CNT: 0
	.section	.text._ZN7rocprim17ROCPRIM_400000_NS6detail17trampoline_kernelINS0_14default_configENS1_25partition_config_selectorILNS1_17partition_subalgoE6EiNS0_10empty_typeEbEEZZNS1_14partition_implILS5_6ELb0ES3_mN6thrust23THRUST_200600_302600_NS6detail15normal_iteratorINSA_10device_ptrIiEEEEPS6_SG_NS0_5tupleIJSF_S6_EEENSH_IJSG_SG_EEES6_PlJNSB_9not_fun_tINSB_10functional5actorINSM_9compositeIJNSM_27transparent_binary_operatorINSA_8equal_toIvEEEENSN_INSM_8argumentILj0EEEEENSM_5valueIiEEEEEEEEEEEE10hipError_tPvRmT3_T4_T5_T6_T7_T9_mT8_P12ihipStream_tbDpT10_ENKUlT_T0_E_clISt17integral_constantIbLb0EES1J_IbLb1EEEEDaS1F_S1G_EUlS1F_E_NS1_11comp_targetILNS1_3genE8ELNS1_11target_archE1030ELNS1_3gpuE2ELNS1_3repE0EEENS1_30default_config_static_selectorELNS0_4arch9wavefront6targetE0EEEvT1_,"axG",@progbits,_ZN7rocprim17ROCPRIM_400000_NS6detail17trampoline_kernelINS0_14default_configENS1_25partition_config_selectorILNS1_17partition_subalgoE6EiNS0_10empty_typeEbEEZZNS1_14partition_implILS5_6ELb0ES3_mN6thrust23THRUST_200600_302600_NS6detail15normal_iteratorINSA_10device_ptrIiEEEEPS6_SG_NS0_5tupleIJSF_S6_EEENSH_IJSG_SG_EEES6_PlJNSB_9not_fun_tINSB_10functional5actorINSM_9compositeIJNSM_27transparent_binary_operatorINSA_8equal_toIvEEEENSN_INSM_8argumentILj0EEEEENSM_5valueIiEEEEEEEEEEEE10hipError_tPvRmT3_T4_T5_T6_T7_T9_mT8_P12ihipStream_tbDpT10_ENKUlT_T0_E_clISt17integral_constantIbLb0EES1J_IbLb1EEEEDaS1F_S1G_EUlS1F_E_NS1_11comp_targetILNS1_3genE8ELNS1_11target_archE1030ELNS1_3gpuE2ELNS1_3repE0EEENS1_30default_config_static_selectorELNS0_4arch9wavefront6targetE0EEEvT1_,comdat
	.protected	_ZN7rocprim17ROCPRIM_400000_NS6detail17trampoline_kernelINS0_14default_configENS1_25partition_config_selectorILNS1_17partition_subalgoE6EiNS0_10empty_typeEbEEZZNS1_14partition_implILS5_6ELb0ES3_mN6thrust23THRUST_200600_302600_NS6detail15normal_iteratorINSA_10device_ptrIiEEEEPS6_SG_NS0_5tupleIJSF_S6_EEENSH_IJSG_SG_EEES6_PlJNSB_9not_fun_tINSB_10functional5actorINSM_9compositeIJNSM_27transparent_binary_operatorINSA_8equal_toIvEEEENSN_INSM_8argumentILj0EEEEENSM_5valueIiEEEEEEEEEEEE10hipError_tPvRmT3_T4_T5_T6_T7_T9_mT8_P12ihipStream_tbDpT10_ENKUlT_T0_E_clISt17integral_constantIbLb0EES1J_IbLb1EEEEDaS1F_S1G_EUlS1F_E_NS1_11comp_targetILNS1_3genE8ELNS1_11target_archE1030ELNS1_3gpuE2ELNS1_3repE0EEENS1_30default_config_static_selectorELNS0_4arch9wavefront6targetE0EEEvT1_ ; -- Begin function _ZN7rocprim17ROCPRIM_400000_NS6detail17trampoline_kernelINS0_14default_configENS1_25partition_config_selectorILNS1_17partition_subalgoE6EiNS0_10empty_typeEbEEZZNS1_14partition_implILS5_6ELb0ES3_mN6thrust23THRUST_200600_302600_NS6detail15normal_iteratorINSA_10device_ptrIiEEEEPS6_SG_NS0_5tupleIJSF_S6_EEENSH_IJSG_SG_EEES6_PlJNSB_9not_fun_tINSB_10functional5actorINSM_9compositeIJNSM_27transparent_binary_operatorINSA_8equal_toIvEEEENSN_INSM_8argumentILj0EEEEENSM_5valueIiEEEEEEEEEEEE10hipError_tPvRmT3_T4_T5_T6_T7_T9_mT8_P12ihipStream_tbDpT10_ENKUlT_T0_E_clISt17integral_constantIbLb0EES1J_IbLb1EEEEDaS1F_S1G_EUlS1F_E_NS1_11comp_targetILNS1_3genE8ELNS1_11target_archE1030ELNS1_3gpuE2ELNS1_3repE0EEENS1_30default_config_static_selectorELNS0_4arch9wavefront6targetE0EEEvT1_
	.globl	_ZN7rocprim17ROCPRIM_400000_NS6detail17trampoline_kernelINS0_14default_configENS1_25partition_config_selectorILNS1_17partition_subalgoE6EiNS0_10empty_typeEbEEZZNS1_14partition_implILS5_6ELb0ES3_mN6thrust23THRUST_200600_302600_NS6detail15normal_iteratorINSA_10device_ptrIiEEEEPS6_SG_NS0_5tupleIJSF_S6_EEENSH_IJSG_SG_EEES6_PlJNSB_9not_fun_tINSB_10functional5actorINSM_9compositeIJNSM_27transparent_binary_operatorINSA_8equal_toIvEEEENSN_INSM_8argumentILj0EEEEENSM_5valueIiEEEEEEEEEEEE10hipError_tPvRmT3_T4_T5_T6_T7_T9_mT8_P12ihipStream_tbDpT10_ENKUlT_T0_E_clISt17integral_constantIbLb0EES1J_IbLb1EEEEDaS1F_S1G_EUlS1F_E_NS1_11comp_targetILNS1_3genE8ELNS1_11target_archE1030ELNS1_3gpuE2ELNS1_3repE0EEENS1_30default_config_static_selectorELNS0_4arch9wavefront6targetE0EEEvT1_
	.p2align	8
	.type	_ZN7rocprim17ROCPRIM_400000_NS6detail17trampoline_kernelINS0_14default_configENS1_25partition_config_selectorILNS1_17partition_subalgoE6EiNS0_10empty_typeEbEEZZNS1_14partition_implILS5_6ELb0ES3_mN6thrust23THRUST_200600_302600_NS6detail15normal_iteratorINSA_10device_ptrIiEEEEPS6_SG_NS0_5tupleIJSF_S6_EEENSH_IJSG_SG_EEES6_PlJNSB_9not_fun_tINSB_10functional5actorINSM_9compositeIJNSM_27transparent_binary_operatorINSA_8equal_toIvEEEENSN_INSM_8argumentILj0EEEEENSM_5valueIiEEEEEEEEEEEE10hipError_tPvRmT3_T4_T5_T6_T7_T9_mT8_P12ihipStream_tbDpT10_ENKUlT_T0_E_clISt17integral_constantIbLb0EES1J_IbLb1EEEEDaS1F_S1G_EUlS1F_E_NS1_11comp_targetILNS1_3genE8ELNS1_11target_archE1030ELNS1_3gpuE2ELNS1_3repE0EEENS1_30default_config_static_selectorELNS0_4arch9wavefront6targetE0EEEvT1_,@function
_ZN7rocprim17ROCPRIM_400000_NS6detail17trampoline_kernelINS0_14default_configENS1_25partition_config_selectorILNS1_17partition_subalgoE6EiNS0_10empty_typeEbEEZZNS1_14partition_implILS5_6ELb0ES3_mN6thrust23THRUST_200600_302600_NS6detail15normal_iteratorINSA_10device_ptrIiEEEEPS6_SG_NS0_5tupleIJSF_S6_EEENSH_IJSG_SG_EEES6_PlJNSB_9not_fun_tINSB_10functional5actorINSM_9compositeIJNSM_27transparent_binary_operatorINSA_8equal_toIvEEEENSN_INSM_8argumentILj0EEEEENSM_5valueIiEEEEEEEEEEEE10hipError_tPvRmT3_T4_T5_T6_T7_T9_mT8_P12ihipStream_tbDpT10_ENKUlT_T0_E_clISt17integral_constantIbLb0EES1J_IbLb1EEEEDaS1F_S1G_EUlS1F_E_NS1_11comp_targetILNS1_3genE8ELNS1_11target_archE1030ELNS1_3gpuE2ELNS1_3repE0EEENS1_30default_config_static_selectorELNS0_4arch9wavefront6targetE0EEEvT1_: ; @_ZN7rocprim17ROCPRIM_400000_NS6detail17trampoline_kernelINS0_14default_configENS1_25partition_config_selectorILNS1_17partition_subalgoE6EiNS0_10empty_typeEbEEZZNS1_14partition_implILS5_6ELb0ES3_mN6thrust23THRUST_200600_302600_NS6detail15normal_iteratorINSA_10device_ptrIiEEEEPS6_SG_NS0_5tupleIJSF_S6_EEENSH_IJSG_SG_EEES6_PlJNSB_9not_fun_tINSB_10functional5actorINSM_9compositeIJNSM_27transparent_binary_operatorINSA_8equal_toIvEEEENSN_INSM_8argumentILj0EEEEENSM_5valueIiEEEEEEEEEEEE10hipError_tPvRmT3_T4_T5_T6_T7_T9_mT8_P12ihipStream_tbDpT10_ENKUlT_T0_E_clISt17integral_constantIbLb0EES1J_IbLb1EEEEDaS1F_S1G_EUlS1F_E_NS1_11comp_targetILNS1_3genE8ELNS1_11target_archE1030ELNS1_3gpuE2ELNS1_3repE0EEENS1_30default_config_static_selectorELNS0_4arch9wavefront6targetE0EEEvT1_
; %bb.0:
	.section	.rodata,"a",@progbits
	.p2align	6, 0x0
	.amdhsa_kernel _ZN7rocprim17ROCPRIM_400000_NS6detail17trampoline_kernelINS0_14default_configENS1_25partition_config_selectorILNS1_17partition_subalgoE6EiNS0_10empty_typeEbEEZZNS1_14partition_implILS5_6ELb0ES3_mN6thrust23THRUST_200600_302600_NS6detail15normal_iteratorINSA_10device_ptrIiEEEEPS6_SG_NS0_5tupleIJSF_S6_EEENSH_IJSG_SG_EEES6_PlJNSB_9not_fun_tINSB_10functional5actorINSM_9compositeIJNSM_27transparent_binary_operatorINSA_8equal_toIvEEEENSN_INSM_8argumentILj0EEEEENSM_5valueIiEEEEEEEEEEEE10hipError_tPvRmT3_T4_T5_T6_T7_T9_mT8_P12ihipStream_tbDpT10_ENKUlT_T0_E_clISt17integral_constantIbLb0EES1J_IbLb1EEEEDaS1F_S1G_EUlS1F_E_NS1_11comp_targetILNS1_3genE8ELNS1_11target_archE1030ELNS1_3gpuE2ELNS1_3repE0EEENS1_30default_config_static_selectorELNS0_4arch9wavefront6targetE0EEEvT1_
		.amdhsa_group_segment_fixed_size 0
		.amdhsa_private_segment_fixed_size 0
		.amdhsa_kernarg_size 128
		.amdhsa_user_sgpr_count 2
		.amdhsa_user_sgpr_dispatch_ptr 0
		.amdhsa_user_sgpr_queue_ptr 0
		.amdhsa_user_sgpr_kernarg_segment_ptr 1
		.amdhsa_user_sgpr_dispatch_id 0
		.amdhsa_user_sgpr_private_segment_size 0
		.amdhsa_wavefront_size32 1
		.amdhsa_uses_dynamic_stack 0
		.amdhsa_enable_private_segment 0
		.amdhsa_system_sgpr_workgroup_id_x 1
		.amdhsa_system_sgpr_workgroup_id_y 0
		.amdhsa_system_sgpr_workgroup_id_z 0
		.amdhsa_system_sgpr_workgroup_info 0
		.amdhsa_system_vgpr_workitem_id 0
		.amdhsa_next_free_vgpr 1
		.amdhsa_next_free_sgpr 1
		.amdhsa_reserve_vcc 0
		.amdhsa_float_round_mode_32 0
		.amdhsa_float_round_mode_16_64 0
		.amdhsa_float_denorm_mode_32 3
		.amdhsa_float_denorm_mode_16_64 3
		.amdhsa_fp16_overflow 0
		.amdhsa_workgroup_processor_mode 1
		.amdhsa_memory_ordered 1
		.amdhsa_forward_progress 1
		.amdhsa_inst_pref_size 0
		.amdhsa_round_robin_scheduling 0
		.amdhsa_exception_fp_ieee_invalid_op 0
		.amdhsa_exception_fp_denorm_src 0
		.amdhsa_exception_fp_ieee_div_zero 0
		.amdhsa_exception_fp_ieee_overflow 0
		.amdhsa_exception_fp_ieee_underflow 0
		.amdhsa_exception_fp_ieee_inexact 0
		.amdhsa_exception_int_div_zero 0
	.end_amdhsa_kernel
	.section	.text._ZN7rocprim17ROCPRIM_400000_NS6detail17trampoline_kernelINS0_14default_configENS1_25partition_config_selectorILNS1_17partition_subalgoE6EiNS0_10empty_typeEbEEZZNS1_14partition_implILS5_6ELb0ES3_mN6thrust23THRUST_200600_302600_NS6detail15normal_iteratorINSA_10device_ptrIiEEEEPS6_SG_NS0_5tupleIJSF_S6_EEENSH_IJSG_SG_EEES6_PlJNSB_9not_fun_tINSB_10functional5actorINSM_9compositeIJNSM_27transparent_binary_operatorINSA_8equal_toIvEEEENSN_INSM_8argumentILj0EEEEENSM_5valueIiEEEEEEEEEEEE10hipError_tPvRmT3_T4_T5_T6_T7_T9_mT8_P12ihipStream_tbDpT10_ENKUlT_T0_E_clISt17integral_constantIbLb0EES1J_IbLb1EEEEDaS1F_S1G_EUlS1F_E_NS1_11comp_targetILNS1_3genE8ELNS1_11target_archE1030ELNS1_3gpuE2ELNS1_3repE0EEENS1_30default_config_static_selectorELNS0_4arch9wavefront6targetE0EEEvT1_,"axG",@progbits,_ZN7rocprim17ROCPRIM_400000_NS6detail17trampoline_kernelINS0_14default_configENS1_25partition_config_selectorILNS1_17partition_subalgoE6EiNS0_10empty_typeEbEEZZNS1_14partition_implILS5_6ELb0ES3_mN6thrust23THRUST_200600_302600_NS6detail15normal_iteratorINSA_10device_ptrIiEEEEPS6_SG_NS0_5tupleIJSF_S6_EEENSH_IJSG_SG_EEES6_PlJNSB_9not_fun_tINSB_10functional5actorINSM_9compositeIJNSM_27transparent_binary_operatorINSA_8equal_toIvEEEENSN_INSM_8argumentILj0EEEEENSM_5valueIiEEEEEEEEEEEE10hipError_tPvRmT3_T4_T5_T6_T7_T9_mT8_P12ihipStream_tbDpT10_ENKUlT_T0_E_clISt17integral_constantIbLb0EES1J_IbLb1EEEEDaS1F_S1G_EUlS1F_E_NS1_11comp_targetILNS1_3genE8ELNS1_11target_archE1030ELNS1_3gpuE2ELNS1_3repE0EEENS1_30default_config_static_selectorELNS0_4arch9wavefront6targetE0EEEvT1_,comdat
.Lfunc_end242:
	.size	_ZN7rocprim17ROCPRIM_400000_NS6detail17trampoline_kernelINS0_14default_configENS1_25partition_config_selectorILNS1_17partition_subalgoE6EiNS0_10empty_typeEbEEZZNS1_14partition_implILS5_6ELb0ES3_mN6thrust23THRUST_200600_302600_NS6detail15normal_iteratorINSA_10device_ptrIiEEEEPS6_SG_NS0_5tupleIJSF_S6_EEENSH_IJSG_SG_EEES6_PlJNSB_9not_fun_tINSB_10functional5actorINSM_9compositeIJNSM_27transparent_binary_operatorINSA_8equal_toIvEEEENSN_INSM_8argumentILj0EEEEENSM_5valueIiEEEEEEEEEEEE10hipError_tPvRmT3_T4_T5_T6_T7_T9_mT8_P12ihipStream_tbDpT10_ENKUlT_T0_E_clISt17integral_constantIbLb0EES1J_IbLb1EEEEDaS1F_S1G_EUlS1F_E_NS1_11comp_targetILNS1_3genE8ELNS1_11target_archE1030ELNS1_3gpuE2ELNS1_3repE0EEENS1_30default_config_static_selectorELNS0_4arch9wavefront6targetE0EEEvT1_, .Lfunc_end242-_ZN7rocprim17ROCPRIM_400000_NS6detail17trampoline_kernelINS0_14default_configENS1_25partition_config_selectorILNS1_17partition_subalgoE6EiNS0_10empty_typeEbEEZZNS1_14partition_implILS5_6ELb0ES3_mN6thrust23THRUST_200600_302600_NS6detail15normal_iteratorINSA_10device_ptrIiEEEEPS6_SG_NS0_5tupleIJSF_S6_EEENSH_IJSG_SG_EEES6_PlJNSB_9not_fun_tINSB_10functional5actorINSM_9compositeIJNSM_27transparent_binary_operatorINSA_8equal_toIvEEEENSN_INSM_8argumentILj0EEEEENSM_5valueIiEEEEEEEEEEEE10hipError_tPvRmT3_T4_T5_T6_T7_T9_mT8_P12ihipStream_tbDpT10_ENKUlT_T0_E_clISt17integral_constantIbLb0EES1J_IbLb1EEEEDaS1F_S1G_EUlS1F_E_NS1_11comp_targetILNS1_3genE8ELNS1_11target_archE1030ELNS1_3gpuE2ELNS1_3repE0EEENS1_30default_config_static_selectorELNS0_4arch9wavefront6targetE0EEEvT1_
                                        ; -- End function
	.set _ZN7rocprim17ROCPRIM_400000_NS6detail17trampoline_kernelINS0_14default_configENS1_25partition_config_selectorILNS1_17partition_subalgoE6EiNS0_10empty_typeEbEEZZNS1_14partition_implILS5_6ELb0ES3_mN6thrust23THRUST_200600_302600_NS6detail15normal_iteratorINSA_10device_ptrIiEEEEPS6_SG_NS0_5tupleIJSF_S6_EEENSH_IJSG_SG_EEES6_PlJNSB_9not_fun_tINSB_10functional5actorINSM_9compositeIJNSM_27transparent_binary_operatorINSA_8equal_toIvEEEENSN_INSM_8argumentILj0EEEEENSM_5valueIiEEEEEEEEEEEE10hipError_tPvRmT3_T4_T5_T6_T7_T9_mT8_P12ihipStream_tbDpT10_ENKUlT_T0_E_clISt17integral_constantIbLb0EES1J_IbLb1EEEEDaS1F_S1G_EUlS1F_E_NS1_11comp_targetILNS1_3genE8ELNS1_11target_archE1030ELNS1_3gpuE2ELNS1_3repE0EEENS1_30default_config_static_selectorELNS0_4arch9wavefront6targetE0EEEvT1_.num_vgpr, 0
	.set _ZN7rocprim17ROCPRIM_400000_NS6detail17trampoline_kernelINS0_14default_configENS1_25partition_config_selectorILNS1_17partition_subalgoE6EiNS0_10empty_typeEbEEZZNS1_14partition_implILS5_6ELb0ES3_mN6thrust23THRUST_200600_302600_NS6detail15normal_iteratorINSA_10device_ptrIiEEEEPS6_SG_NS0_5tupleIJSF_S6_EEENSH_IJSG_SG_EEES6_PlJNSB_9not_fun_tINSB_10functional5actorINSM_9compositeIJNSM_27transparent_binary_operatorINSA_8equal_toIvEEEENSN_INSM_8argumentILj0EEEEENSM_5valueIiEEEEEEEEEEEE10hipError_tPvRmT3_T4_T5_T6_T7_T9_mT8_P12ihipStream_tbDpT10_ENKUlT_T0_E_clISt17integral_constantIbLb0EES1J_IbLb1EEEEDaS1F_S1G_EUlS1F_E_NS1_11comp_targetILNS1_3genE8ELNS1_11target_archE1030ELNS1_3gpuE2ELNS1_3repE0EEENS1_30default_config_static_selectorELNS0_4arch9wavefront6targetE0EEEvT1_.num_agpr, 0
	.set _ZN7rocprim17ROCPRIM_400000_NS6detail17trampoline_kernelINS0_14default_configENS1_25partition_config_selectorILNS1_17partition_subalgoE6EiNS0_10empty_typeEbEEZZNS1_14partition_implILS5_6ELb0ES3_mN6thrust23THRUST_200600_302600_NS6detail15normal_iteratorINSA_10device_ptrIiEEEEPS6_SG_NS0_5tupleIJSF_S6_EEENSH_IJSG_SG_EEES6_PlJNSB_9not_fun_tINSB_10functional5actorINSM_9compositeIJNSM_27transparent_binary_operatorINSA_8equal_toIvEEEENSN_INSM_8argumentILj0EEEEENSM_5valueIiEEEEEEEEEEEE10hipError_tPvRmT3_T4_T5_T6_T7_T9_mT8_P12ihipStream_tbDpT10_ENKUlT_T0_E_clISt17integral_constantIbLb0EES1J_IbLb1EEEEDaS1F_S1G_EUlS1F_E_NS1_11comp_targetILNS1_3genE8ELNS1_11target_archE1030ELNS1_3gpuE2ELNS1_3repE0EEENS1_30default_config_static_selectorELNS0_4arch9wavefront6targetE0EEEvT1_.numbered_sgpr, 0
	.set _ZN7rocprim17ROCPRIM_400000_NS6detail17trampoline_kernelINS0_14default_configENS1_25partition_config_selectorILNS1_17partition_subalgoE6EiNS0_10empty_typeEbEEZZNS1_14partition_implILS5_6ELb0ES3_mN6thrust23THRUST_200600_302600_NS6detail15normal_iteratorINSA_10device_ptrIiEEEEPS6_SG_NS0_5tupleIJSF_S6_EEENSH_IJSG_SG_EEES6_PlJNSB_9not_fun_tINSB_10functional5actorINSM_9compositeIJNSM_27transparent_binary_operatorINSA_8equal_toIvEEEENSN_INSM_8argumentILj0EEEEENSM_5valueIiEEEEEEEEEEEE10hipError_tPvRmT3_T4_T5_T6_T7_T9_mT8_P12ihipStream_tbDpT10_ENKUlT_T0_E_clISt17integral_constantIbLb0EES1J_IbLb1EEEEDaS1F_S1G_EUlS1F_E_NS1_11comp_targetILNS1_3genE8ELNS1_11target_archE1030ELNS1_3gpuE2ELNS1_3repE0EEENS1_30default_config_static_selectorELNS0_4arch9wavefront6targetE0EEEvT1_.num_named_barrier, 0
	.set _ZN7rocprim17ROCPRIM_400000_NS6detail17trampoline_kernelINS0_14default_configENS1_25partition_config_selectorILNS1_17partition_subalgoE6EiNS0_10empty_typeEbEEZZNS1_14partition_implILS5_6ELb0ES3_mN6thrust23THRUST_200600_302600_NS6detail15normal_iteratorINSA_10device_ptrIiEEEEPS6_SG_NS0_5tupleIJSF_S6_EEENSH_IJSG_SG_EEES6_PlJNSB_9not_fun_tINSB_10functional5actorINSM_9compositeIJNSM_27transparent_binary_operatorINSA_8equal_toIvEEEENSN_INSM_8argumentILj0EEEEENSM_5valueIiEEEEEEEEEEEE10hipError_tPvRmT3_T4_T5_T6_T7_T9_mT8_P12ihipStream_tbDpT10_ENKUlT_T0_E_clISt17integral_constantIbLb0EES1J_IbLb1EEEEDaS1F_S1G_EUlS1F_E_NS1_11comp_targetILNS1_3genE8ELNS1_11target_archE1030ELNS1_3gpuE2ELNS1_3repE0EEENS1_30default_config_static_selectorELNS0_4arch9wavefront6targetE0EEEvT1_.private_seg_size, 0
	.set _ZN7rocprim17ROCPRIM_400000_NS6detail17trampoline_kernelINS0_14default_configENS1_25partition_config_selectorILNS1_17partition_subalgoE6EiNS0_10empty_typeEbEEZZNS1_14partition_implILS5_6ELb0ES3_mN6thrust23THRUST_200600_302600_NS6detail15normal_iteratorINSA_10device_ptrIiEEEEPS6_SG_NS0_5tupleIJSF_S6_EEENSH_IJSG_SG_EEES6_PlJNSB_9not_fun_tINSB_10functional5actorINSM_9compositeIJNSM_27transparent_binary_operatorINSA_8equal_toIvEEEENSN_INSM_8argumentILj0EEEEENSM_5valueIiEEEEEEEEEEEE10hipError_tPvRmT3_T4_T5_T6_T7_T9_mT8_P12ihipStream_tbDpT10_ENKUlT_T0_E_clISt17integral_constantIbLb0EES1J_IbLb1EEEEDaS1F_S1G_EUlS1F_E_NS1_11comp_targetILNS1_3genE8ELNS1_11target_archE1030ELNS1_3gpuE2ELNS1_3repE0EEENS1_30default_config_static_selectorELNS0_4arch9wavefront6targetE0EEEvT1_.uses_vcc, 0
	.set _ZN7rocprim17ROCPRIM_400000_NS6detail17trampoline_kernelINS0_14default_configENS1_25partition_config_selectorILNS1_17partition_subalgoE6EiNS0_10empty_typeEbEEZZNS1_14partition_implILS5_6ELb0ES3_mN6thrust23THRUST_200600_302600_NS6detail15normal_iteratorINSA_10device_ptrIiEEEEPS6_SG_NS0_5tupleIJSF_S6_EEENSH_IJSG_SG_EEES6_PlJNSB_9not_fun_tINSB_10functional5actorINSM_9compositeIJNSM_27transparent_binary_operatorINSA_8equal_toIvEEEENSN_INSM_8argumentILj0EEEEENSM_5valueIiEEEEEEEEEEEE10hipError_tPvRmT3_T4_T5_T6_T7_T9_mT8_P12ihipStream_tbDpT10_ENKUlT_T0_E_clISt17integral_constantIbLb0EES1J_IbLb1EEEEDaS1F_S1G_EUlS1F_E_NS1_11comp_targetILNS1_3genE8ELNS1_11target_archE1030ELNS1_3gpuE2ELNS1_3repE0EEENS1_30default_config_static_selectorELNS0_4arch9wavefront6targetE0EEEvT1_.uses_flat_scratch, 0
	.set _ZN7rocprim17ROCPRIM_400000_NS6detail17trampoline_kernelINS0_14default_configENS1_25partition_config_selectorILNS1_17partition_subalgoE6EiNS0_10empty_typeEbEEZZNS1_14partition_implILS5_6ELb0ES3_mN6thrust23THRUST_200600_302600_NS6detail15normal_iteratorINSA_10device_ptrIiEEEEPS6_SG_NS0_5tupleIJSF_S6_EEENSH_IJSG_SG_EEES6_PlJNSB_9not_fun_tINSB_10functional5actorINSM_9compositeIJNSM_27transparent_binary_operatorINSA_8equal_toIvEEEENSN_INSM_8argumentILj0EEEEENSM_5valueIiEEEEEEEEEEEE10hipError_tPvRmT3_T4_T5_T6_T7_T9_mT8_P12ihipStream_tbDpT10_ENKUlT_T0_E_clISt17integral_constantIbLb0EES1J_IbLb1EEEEDaS1F_S1G_EUlS1F_E_NS1_11comp_targetILNS1_3genE8ELNS1_11target_archE1030ELNS1_3gpuE2ELNS1_3repE0EEENS1_30default_config_static_selectorELNS0_4arch9wavefront6targetE0EEEvT1_.has_dyn_sized_stack, 0
	.set _ZN7rocprim17ROCPRIM_400000_NS6detail17trampoline_kernelINS0_14default_configENS1_25partition_config_selectorILNS1_17partition_subalgoE6EiNS0_10empty_typeEbEEZZNS1_14partition_implILS5_6ELb0ES3_mN6thrust23THRUST_200600_302600_NS6detail15normal_iteratorINSA_10device_ptrIiEEEEPS6_SG_NS0_5tupleIJSF_S6_EEENSH_IJSG_SG_EEES6_PlJNSB_9not_fun_tINSB_10functional5actorINSM_9compositeIJNSM_27transparent_binary_operatorINSA_8equal_toIvEEEENSN_INSM_8argumentILj0EEEEENSM_5valueIiEEEEEEEEEEEE10hipError_tPvRmT3_T4_T5_T6_T7_T9_mT8_P12ihipStream_tbDpT10_ENKUlT_T0_E_clISt17integral_constantIbLb0EES1J_IbLb1EEEEDaS1F_S1G_EUlS1F_E_NS1_11comp_targetILNS1_3genE8ELNS1_11target_archE1030ELNS1_3gpuE2ELNS1_3repE0EEENS1_30default_config_static_selectorELNS0_4arch9wavefront6targetE0EEEvT1_.has_recursion, 0
	.set _ZN7rocprim17ROCPRIM_400000_NS6detail17trampoline_kernelINS0_14default_configENS1_25partition_config_selectorILNS1_17partition_subalgoE6EiNS0_10empty_typeEbEEZZNS1_14partition_implILS5_6ELb0ES3_mN6thrust23THRUST_200600_302600_NS6detail15normal_iteratorINSA_10device_ptrIiEEEEPS6_SG_NS0_5tupleIJSF_S6_EEENSH_IJSG_SG_EEES6_PlJNSB_9not_fun_tINSB_10functional5actorINSM_9compositeIJNSM_27transparent_binary_operatorINSA_8equal_toIvEEEENSN_INSM_8argumentILj0EEEEENSM_5valueIiEEEEEEEEEEEE10hipError_tPvRmT3_T4_T5_T6_T7_T9_mT8_P12ihipStream_tbDpT10_ENKUlT_T0_E_clISt17integral_constantIbLb0EES1J_IbLb1EEEEDaS1F_S1G_EUlS1F_E_NS1_11comp_targetILNS1_3genE8ELNS1_11target_archE1030ELNS1_3gpuE2ELNS1_3repE0EEENS1_30default_config_static_selectorELNS0_4arch9wavefront6targetE0EEEvT1_.has_indirect_call, 0
	.section	.AMDGPU.csdata,"",@progbits
; Kernel info:
; codeLenInByte = 0
; TotalNumSgprs: 0
; NumVgprs: 0
; ScratchSize: 0
; MemoryBound: 0
; FloatMode: 240
; IeeeMode: 1
; LDSByteSize: 0 bytes/workgroup (compile time only)
; SGPRBlocks: 0
; VGPRBlocks: 0
; NumSGPRsForWavesPerEU: 1
; NumVGPRsForWavesPerEU: 1
; Occupancy: 16
; WaveLimiterHint : 0
; COMPUTE_PGM_RSRC2:SCRATCH_EN: 0
; COMPUTE_PGM_RSRC2:USER_SGPR: 2
; COMPUTE_PGM_RSRC2:TRAP_HANDLER: 0
; COMPUTE_PGM_RSRC2:TGID_X_EN: 1
; COMPUTE_PGM_RSRC2:TGID_Y_EN: 0
; COMPUTE_PGM_RSRC2:TGID_Z_EN: 0
; COMPUTE_PGM_RSRC2:TIDIG_COMP_CNT: 0
	.section	.text._ZN6thrust23THRUST_200600_302600_NS11hip_rocprim14__parallel_for6kernelILj256ENS1_20__uninitialized_fill7functorINS0_10device_ptrIsEEsEEmLj1EEEvT0_T1_SA_,"axG",@progbits,_ZN6thrust23THRUST_200600_302600_NS11hip_rocprim14__parallel_for6kernelILj256ENS1_20__uninitialized_fill7functorINS0_10device_ptrIsEEsEEmLj1EEEvT0_T1_SA_,comdat
	.protected	_ZN6thrust23THRUST_200600_302600_NS11hip_rocprim14__parallel_for6kernelILj256ENS1_20__uninitialized_fill7functorINS0_10device_ptrIsEEsEEmLj1EEEvT0_T1_SA_ ; -- Begin function _ZN6thrust23THRUST_200600_302600_NS11hip_rocprim14__parallel_for6kernelILj256ENS1_20__uninitialized_fill7functorINS0_10device_ptrIsEEsEEmLj1EEEvT0_T1_SA_
	.globl	_ZN6thrust23THRUST_200600_302600_NS11hip_rocprim14__parallel_for6kernelILj256ENS1_20__uninitialized_fill7functorINS0_10device_ptrIsEEsEEmLj1EEEvT0_T1_SA_
	.p2align	8
	.type	_ZN6thrust23THRUST_200600_302600_NS11hip_rocprim14__parallel_for6kernelILj256ENS1_20__uninitialized_fill7functorINS0_10device_ptrIsEEsEEmLj1EEEvT0_T1_SA_,@function
_ZN6thrust23THRUST_200600_302600_NS11hip_rocprim14__parallel_for6kernelILj256ENS1_20__uninitialized_fill7functorINS0_10device_ptrIsEEsEEmLj1EEEvT0_T1_SA_: ; @_ZN6thrust23THRUST_200600_302600_NS11hip_rocprim14__parallel_for6kernelILj256ENS1_20__uninitialized_fill7functorINS0_10device_ptrIsEEsEEmLj1EEEvT0_T1_SA_
; %bb.0:
	s_clause 0x1
	s_load_b128 s[8:11], s[0:1], 0x10
	s_load_b96 s[0:2], s[0:1], 0x0
	s_lshl_b32 s4, ttmp9, 8
	s_mov_b32 s5, 0
	s_wait_kmcnt 0x0
	s_add_nc_u64 s[4:5], s[10:11], s[4:5]
	s_delay_alu instid0(SALU_CYCLE_1) | instskip(NEXT) | instid1(SALU_CYCLE_1)
	s_sub_nc_u64 s[6:7], s[8:9], s[4:5]
	v_cmp_lt_u64_e64 s3, 0xff, s[6:7]
	s_and_b32 vcc_lo, exec_lo, s3
	s_mov_b32 s3, -1
	s_cbranch_vccz .LBB243_3
; %bb.1:
	s_and_not1_b32 vcc_lo, exec_lo, s3
	s_cbranch_vccz .LBB243_6
.LBB243_2:
	s_endpgm
.LBB243_3:
	s_mov_b32 s3, exec_lo
	v_cmpx_gt_u32_e64 s6, v0
	s_cbranch_execz .LBB243_5
; %bb.4:
	v_lshlrev_b32_e32 v1, 1, v0
	s_lshl_b64 s[6:7], s[4:5], 1
	v_mov_b32_e32 v3, s2
	s_wait_alu 0xfffe
	s_add_nc_u64 s[6:7], s[0:1], s[6:7]
	s_wait_alu 0xfffe
	v_add_co_u32 v1, s6, s6, v1
	s_wait_alu 0xf1ff
	v_add_co_ci_u32_e64 v2, null, s7, 0, s6
	flat_store_b16 v[1:2], v3
.LBB243_5:
	s_or_b32 exec_lo, exec_lo, s3
	s_cbranch_execnz .LBB243_2
.LBB243_6:
	v_lshlrev_b32_e32 v0, 1, v0
	s_lshl_b64 s[4:5], s[4:5], 1
	v_mov_b32_e32 v2, s2
	s_add_nc_u64 s[0:1], s[0:1], s[4:5]
	s_delay_alu instid0(VALU_DEP_2) | instid1(SALU_CYCLE_1)
	v_add_co_u32 v0, s0, s0, v0
	s_wait_alu 0xf1ff
	v_add_co_ci_u32_e64 v1, null, s1, 0, s0
	flat_store_b16 v[0:1], v2
	s_endpgm
	.section	.rodata,"a",@progbits
	.p2align	6, 0x0
	.amdhsa_kernel _ZN6thrust23THRUST_200600_302600_NS11hip_rocprim14__parallel_for6kernelILj256ENS1_20__uninitialized_fill7functorINS0_10device_ptrIsEEsEEmLj1EEEvT0_T1_SA_
		.amdhsa_group_segment_fixed_size 0
		.amdhsa_private_segment_fixed_size 0
		.amdhsa_kernarg_size 32
		.amdhsa_user_sgpr_count 2
		.amdhsa_user_sgpr_dispatch_ptr 0
		.amdhsa_user_sgpr_queue_ptr 0
		.amdhsa_user_sgpr_kernarg_segment_ptr 1
		.amdhsa_user_sgpr_dispatch_id 0
		.amdhsa_user_sgpr_private_segment_size 0
		.amdhsa_wavefront_size32 1
		.amdhsa_uses_dynamic_stack 0
		.amdhsa_enable_private_segment 0
		.amdhsa_system_sgpr_workgroup_id_x 1
		.amdhsa_system_sgpr_workgroup_id_y 0
		.amdhsa_system_sgpr_workgroup_id_z 0
		.amdhsa_system_sgpr_workgroup_info 0
		.amdhsa_system_vgpr_workitem_id 0
		.amdhsa_next_free_vgpr 4
		.amdhsa_next_free_sgpr 12
		.amdhsa_reserve_vcc 1
		.amdhsa_float_round_mode_32 0
		.amdhsa_float_round_mode_16_64 0
		.amdhsa_float_denorm_mode_32 3
		.amdhsa_float_denorm_mode_16_64 3
		.amdhsa_fp16_overflow 0
		.amdhsa_workgroup_processor_mode 1
		.amdhsa_memory_ordered 1
		.amdhsa_forward_progress 1
		.amdhsa_inst_pref_size 2
		.amdhsa_round_robin_scheduling 0
		.amdhsa_exception_fp_ieee_invalid_op 0
		.amdhsa_exception_fp_denorm_src 0
		.amdhsa_exception_fp_ieee_div_zero 0
		.amdhsa_exception_fp_ieee_overflow 0
		.amdhsa_exception_fp_ieee_underflow 0
		.amdhsa_exception_fp_ieee_inexact 0
		.amdhsa_exception_int_div_zero 0
	.end_amdhsa_kernel
	.section	.text._ZN6thrust23THRUST_200600_302600_NS11hip_rocprim14__parallel_for6kernelILj256ENS1_20__uninitialized_fill7functorINS0_10device_ptrIsEEsEEmLj1EEEvT0_T1_SA_,"axG",@progbits,_ZN6thrust23THRUST_200600_302600_NS11hip_rocprim14__parallel_for6kernelILj256ENS1_20__uninitialized_fill7functorINS0_10device_ptrIsEEsEEmLj1EEEvT0_T1_SA_,comdat
.Lfunc_end243:
	.size	_ZN6thrust23THRUST_200600_302600_NS11hip_rocprim14__parallel_for6kernelILj256ENS1_20__uninitialized_fill7functorINS0_10device_ptrIsEEsEEmLj1EEEvT0_T1_SA_, .Lfunc_end243-_ZN6thrust23THRUST_200600_302600_NS11hip_rocprim14__parallel_for6kernelILj256ENS1_20__uninitialized_fill7functorINS0_10device_ptrIsEEsEEmLj1EEEvT0_T1_SA_
                                        ; -- End function
	.set _ZN6thrust23THRUST_200600_302600_NS11hip_rocprim14__parallel_for6kernelILj256ENS1_20__uninitialized_fill7functorINS0_10device_ptrIsEEsEEmLj1EEEvT0_T1_SA_.num_vgpr, 4
	.set _ZN6thrust23THRUST_200600_302600_NS11hip_rocprim14__parallel_for6kernelILj256ENS1_20__uninitialized_fill7functorINS0_10device_ptrIsEEsEEmLj1EEEvT0_T1_SA_.num_agpr, 0
	.set _ZN6thrust23THRUST_200600_302600_NS11hip_rocprim14__parallel_for6kernelILj256ENS1_20__uninitialized_fill7functorINS0_10device_ptrIsEEsEEmLj1EEEvT0_T1_SA_.numbered_sgpr, 12
	.set _ZN6thrust23THRUST_200600_302600_NS11hip_rocprim14__parallel_for6kernelILj256ENS1_20__uninitialized_fill7functorINS0_10device_ptrIsEEsEEmLj1EEEvT0_T1_SA_.num_named_barrier, 0
	.set _ZN6thrust23THRUST_200600_302600_NS11hip_rocprim14__parallel_for6kernelILj256ENS1_20__uninitialized_fill7functorINS0_10device_ptrIsEEsEEmLj1EEEvT0_T1_SA_.private_seg_size, 0
	.set _ZN6thrust23THRUST_200600_302600_NS11hip_rocprim14__parallel_for6kernelILj256ENS1_20__uninitialized_fill7functorINS0_10device_ptrIsEEsEEmLj1EEEvT0_T1_SA_.uses_vcc, 1
	.set _ZN6thrust23THRUST_200600_302600_NS11hip_rocprim14__parallel_for6kernelILj256ENS1_20__uninitialized_fill7functorINS0_10device_ptrIsEEsEEmLj1EEEvT0_T1_SA_.uses_flat_scratch, 0
	.set _ZN6thrust23THRUST_200600_302600_NS11hip_rocprim14__parallel_for6kernelILj256ENS1_20__uninitialized_fill7functorINS0_10device_ptrIsEEsEEmLj1EEEvT0_T1_SA_.has_dyn_sized_stack, 0
	.set _ZN6thrust23THRUST_200600_302600_NS11hip_rocprim14__parallel_for6kernelILj256ENS1_20__uninitialized_fill7functorINS0_10device_ptrIsEEsEEmLj1EEEvT0_T1_SA_.has_recursion, 0
	.set _ZN6thrust23THRUST_200600_302600_NS11hip_rocprim14__parallel_for6kernelILj256ENS1_20__uninitialized_fill7functorINS0_10device_ptrIsEEsEEmLj1EEEvT0_T1_SA_.has_indirect_call, 0
	.section	.AMDGPU.csdata,"",@progbits
; Kernel info:
; codeLenInByte = 216
; TotalNumSgprs: 14
; NumVgprs: 4
; ScratchSize: 0
; MemoryBound: 0
; FloatMode: 240
; IeeeMode: 1
; LDSByteSize: 0 bytes/workgroup (compile time only)
; SGPRBlocks: 0
; VGPRBlocks: 0
; NumSGPRsForWavesPerEU: 14
; NumVGPRsForWavesPerEU: 4
; Occupancy: 16
; WaveLimiterHint : 0
; COMPUTE_PGM_RSRC2:SCRATCH_EN: 0
; COMPUTE_PGM_RSRC2:USER_SGPR: 2
; COMPUTE_PGM_RSRC2:TRAP_HANDLER: 0
; COMPUTE_PGM_RSRC2:TGID_X_EN: 1
; COMPUTE_PGM_RSRC2:TGID_Y_EN: 0
; COMPUTE_PGM_RSRC2:TGID_Z_EN: 0
; COMPUTE_PGM_RSRC2:TIDIG_COMP_CNT: 0
	.section	.text._ZN7rocprim17ROCPRIM_400000_NS6detail17trampoline_kernelINS0_14default_configENS1_25partition_config_selectorILNS1_17partition_subalgoE6EsNS0_10empty_typeEbEEZZNS1_14partition_implILS5_6ELb0ES3_mN6thrust23THRUST_200600_302600_NS6detail15normal_iteratorINSA_10device_ptrIsEEEEPS6_SG_NS0_5tupleIJSF_S6_EEENSH_IJSG_SG_EEES6_PlJNSB_9not_fun_tINSB_10functional5actorINSM_9compositeIJNSM_27transparent_binary_operatorINSA_8equal_toIvEEEENSN_INSM_8argumentILj0EEEEENSM_5valueIsEEEEEEEEEEEE10hipError_tPvRmT3_T4_T5_T6_T7_T9_mT8_P12ihipStream_tbDpT10_ENKUlT_T0_E_clISt17integral_constantIbLb0EES1K_EEDaS1F_S1G_EUlS1F_E_NS1_11comp_targetILNS1_3genE0ELNS1_11target_archE4294967295ELNS1_3gpuE0ELNS1_3repE0EEENS1_30default_config_static_selectorELNS0_4arch9wavefront6targetE0EEEvT1_,"axG",@progbits,_ZN7rocprim17ROCPRIM_400000_NS6detail17trampoline_kernelINS0_14default_configENS1_25partition_config_selectorILNS1_17partition_subalgoE6EsNS0_10empty_typeEbEEZZNS1_14partition_implILS5_6ELb0ES3_mN6thrust23THRUST_200600_302600_NS6detail15normal_iteratorINSA_10device_ptrIsEEEEPS6_SG_NS0_5tupleIJSF_S6_EEENSH_IJSG_SG_EEES6_PlJNSB_9not_fun_tINSB_10functional5actorINSM_9compositeIJNSM_27transparent_binary_operatorINSA_8equal_toIvEEEENSN_INSM_8argumentILj0EEEEENSM_5valueIsEEEEEEEEEEEE10hipError_tPvRmT3_T4_T5_T6_T7_T9_mT8_P12ihipStream_tbDpT10_ENKUlT_T0_E_clISt17integral_constantIbLb0EES1K_EEDaS1F_S1G_EUlS1F_E_NS1_11comp_targetILNS1_3genE0ELNS1_11target_archE4294967295ELNS1_3gpuE0ELNS1_3repE0EEENS1_30default_config_static_selectorELNS0_4arch9wavefront6targetE0EEEvT1_,comdat
	.protected	_ZN7rocprim17ROCPRIM_400000_NS6detail17trampoline_kernelINS0_14default_configENS1_25partition_config_selectorILNS1_17partition_subalgoE6EsNS0_10empty_typeEbEEZZNS1_14partition_implILS5_6ELb0ES3_mN6thrust23THRUST_200600_302600_NS6detail15normal_iteratorINSA_10device_ptrIsEEEEPS6_SG_NS0_5tupleIJSF_S6_EEENSH_IJSG_SG_EEES6_PlJNSB_9not_fun_tINSB_10functional5actorINSM_9compositeIJNSM_27transparent_binary_operatorINSA_8equal_toIvEEEENSN_INSM_8argumentILj0EEEEENSM_5valueIsEEEEEEEEEEEE10hipError_tPvRmT3_T4_T5_T6_T7_T9_mT8_P12ihipStream_tbDpT10_ENKUlT_T0_E_clISt17integral_constantIbLb0EES1K_EEDaS1F_S1G_EUlS1F_E_NS1_11comp_targetILNS1_3genE0ELNS1_11target_archE4294967295ELNS1_3gpuE0ELNS1_3repE0EEENS1_30default_config_static_selectorELNS0_4arch9wavefront6targetE0EEEvT1_ ; -- Begin function _ZN7rocprim17ROCPRIM_400000_NS6detail17trampoline_kernelINS0_14default_configENS1_25partition_config_selectorILNS1_17partition_subalgoE6EsNS0_10empty_typeEbEEZZNS1_14partition_implILS5_6ELb0ES3_mN6thrust23THRUST_200600_302600_NS6detail15normal_iteratorINSA_10device_ptrIsEEEEPS6_SG_NS0_5tupleIJSF_S6_EEENSH_IJSG_SG_EEES6_PlJNSB_9not_fun_tINSB_10functional5actorINSM_9compositeIJNSM_27transparent_binary_operatorINSA_8equal_toIvEEEENSN_INSM_8argumentILj0EEEEENSM_5valueIsEEEEEEEEEEEE10hipError_tPvRmT3_T4_T5_T6_T7_T9_mT8_P12ihipStream_tbDpT10_ENKUlT_T0_E_clISt17integral_constantIbLb0EES1K_EEDaS1F_S1G_EUlS1F_E_NS1_11comp_targetILNS1_3genE0ELNS1_11target_archE4294967295ELNS1_3gpuE0ELNS1_3repE0EEENS1_30default_config_static_selectorELNS0_4arch9wavefront6targetE0EEEvT1_
	.globl	_ZN7rocprim17ROCPRIM_400000_NS6detail17trampoline_kernelINS0_14default_configENS1_25partition_config_selectorILNS1_17partition_subalgoE6EsNS0_10empty_typeEbEEZZNS1_14partition_implILS5_6ELb0ES3_mN6thrust23THRUST_200600_302600_NS6detail15normal_iteratorINSA_10device_ptrIsEEEEPS6_SG_NS0_5tupleIJSF_S6_EEENSH_IJSG_SG_EEES6_PlJNSB_9not_fun_tINSB_10functional5actorINSM_9compositeIJNSM_27transparent_binary_operatorINSA_8equal_toIvEEEENSN_INSM_8argumentILj0EEEEENSM_5valueIsEEEEEEEEEEEE10hipError_tPvRmT3_T4_T5_T6_T7_T9_mT8_P12ihipStream_tbDpT10_ENKUlT_T0_E_clISt17integral_constantIbLb0EES1K_EEDaS1F_S1G_EUlS1F_E_NS1_11comp_targetILNS1_3genE0ELNS1_11target_archE4294967295ELNS1_3gpuE0ELNS1_3repE0EEENS1_30default_config_static_selectorELNS0_4arch9wavefront6targetE0EEEvT1_
	.p2align	8
	.type	_ZN7rocprim17ROCPRIM_400000_NS6detail17trampoline_kernelINS0_14default_configENS1_25partition_config_selectorILNS1_17partition_subalgoE6EsNS0_10empty_typeEbEEZZNS1_14partition_implILS5_6ELb0ES3_mN6thrust23THRUST_200600_302600_NS6detail15normal_iteratorINSA_10device_ptrIsEEEEPS6_SG_NS0_5tupleIJSF_S6_EEENSH_IJSG_SG_EEES6_PlJNSB_9not_fun_tINSB_10functional5actorINSM_9compositeIJNSM_27transparent_binary_operatorINSA_8equal_toIvEEEENSN_INSM_8argumentILj0EEEEENSM_5valueIsEEEEEEEEEEEE10hipError_tPvRmT3_T4_T5_T6_T7_T9_mT8_P12ihipStream_tbDpT10_ENKUlT_T0_E_clISt17integral_constantIbLb0EES1K_EEDaS1F_S1G_EUlS1F_E_NS1_11comp_targetILNS1_3genE0ELNS1_11target_archE4294967295ELNS1_3gpuE0ELNS1_3repE0EEENS1_30default_config_static_selectorELNS0_4arch9wavefront6targetE0EEEvT1_,@function
_ZN7rocprim17ROCPRIM_400000_NS6detail17trampoline_kernelINS0_14default_configENS1_25partition_config_selectorILNS1_17partition_subalgoE6EsNS0_10empty_typeEbEEZZNS1_14partition_implILS5_6ELb0ES3_mN6thrust23THRUST_200600_302600_NS6detail15normal_iteratorINSA_10device_ptrIsEEEEPS6_SG_NS0_5tupleIJSF_S6_EEENSH_IJSG_SG_EEES6_PlJNSB_9not_fun_tINSB_10functional5actorINSM_9compositeIJNSM_27transparent_binary_operatorINSA_8equal_toIvEEEENSN_INSM_8argumentILj0EEEEENSM_5valueIsEEEEEEEEEEEE10hipError_tPvRmT3_T4_T5_T6_T7_T9_mT8_P12ihipStream_tbDpT10_ENKUlT_T0_E_clISt17integral_constantIbLb0EES1K_EEDaS1F_S1G_EUlS1F_E_NS1_11comp_targetILNS1_3genE0ELNS1_11target_archE4294967295ELNS1_3gpuE0ELNS1_3repE0EEENS1_30default_config_static_selectorELNS0_4arch9wavefront6targetE0EEEvT1_: ; @_ZN7rocprim17ROCPRIM_400000_NS6detail17trampoline_kernelINS0_14default_configENS1_25partition_config_selectorILNS1_17partition_subalgoE6EsNS0_10empty_typeEbEEZZNS1_14partition_implILS5_6ELb0ES3_mN6thrust23THRUST_200600_302600_NS6detail15normal_iteratorINSA_10device_ptrIsEEEEPS6_SG_NS0_5tupleIJSF_S6_EEENSH_IJSG_SG_EEES6_PlJNSB_9not_fun_tINSB_10functional5actorINSM_9compositeIJNSM_27transparent_binary_operatorINSA_8equal_toIvEEEENSN_INSM_8argumentILj0EEEEENSM_5valueIsEEEEEEEEEEEE10hipError_tPvRmT3_T4_T5_T6_T7_T9_mT8_P12ihipStream_tbDpT10_ENKUlT_T0_E_clISt17integral_constantIbLb0EES1K_EEDaS1F_S1G_EUlS1F_E_NS1_11comp_targetILNS1_3genE0ELNS1_11target_archE4294967295ELNS1_3gpuE0ELNS1_3repE0EEENS1_30default_config_static_selectorELNS0_4arch9wavefront6targetE0EEEvT1_
; %bb.0:
	.section	.rodata,"a",@progbits
	.p2align	6, 0x0
	.amdhsa_kernel _ZN7rocprim17ROCPRIM_400000_NS6detail17trampoline_kernelINS0_14default_configENS1_25partition_config_selectorILNS1_17partition_subalgoE6EsNS0_10empty_typeEbEEZZNS1_14partition_implILS5_6ELb0ES3_mN6thrust23THRUST_200600_302600_NS6detail15normal_iteratorINSA_10device_ptrIsEEEEPS6_SG_NS0_5tupleIJSF_S6_EEENSH_IJSG_SG_EEES6_PlJNSB_9not_fun_tINSB_10functional5actorINSM_9compositeIJNSM_27transparent_binary_operatorINSA_8equal_toIvEEEENSN_INSM_8argumentILj0EEEEENSM_5valueIsEEEEEEEEEEEE10hipError_tPvRmT3_T4_T5_T6_T7_T9_mT8_P12ihipStream_tbDpT10_ENKUlT_T0_E_clISt17integral_constantIbLb0EES1K_EEDaS1F_S1G_EUlS1F_E_NS1_11comp_targetILNS1_3genE0ELNS1_11target_archE4294967295ELNS1_3gpuE0ELNS1_3repE0EEENS1_30default_config_static_selectorELNS0_4arch9wavefront6targetE0EEEvT1_
		.amdhsa_group_segment_fixed_size 0
		.amdhsa_private_segment_fixed_size 0
		.amdhsa_kernarg_size 120
		.amdhsa_user_sgpr_count 2
		.amdhsa_user_sgpr_dispatch_ptr 0
		.amdhsa_user_sgpr_queue_ptr 0
		.amdhsa_user_sgpr_kernarg_segment_ptr 1
		.amdhsa_user_sgpr_dispatch_id 0
		.amdhsa_user_sgpr_private_segment_size 0
		.amdhsa_wavefront_size32 1
		.amdhsa_uses_dynamic_stack 0
		.amdhsa_enable_private_segment 0
		.amdhsa_system_sgpr_workgroup_id_x 1
		.amdhsa_system_sgpr_workgroup_id_y 0
		.amdhsa_system_sgpr_workgroup_id_z 0
		.amdhsa_system_sgpr_workgroup_info 0
		.amdhsa_system_vgpr_workitem_id 0
		.amdhsa_next_free_vgpr 1
		.amdhsa_next_free_sgpr 1
		.amdhsa_reserve_vcc 0
		.amdhsa_float_round_mode_32 0
		.amdhsa_float_round_mode_16_64 0
		.amdhsa_float_denorm_mode_32 3
		.amdhsa_float_denorm_mode_16_64 3
		.amdhsa_fp16_overflow 0
		.amdhsa_workgroup_processor_mode 1
		.amdhsa_memory_ordered 1
		.amdhsa_forward_progress 1
		.amdhsa_inst_pref_size 0
		.amdhsa_round_robin_scheduling 0
		.amdhsa_exception_fp_ieee_invalid_op 0
		.amdhsa_exception_fp_denorm_src 0
		.amdhsa_exception_fp_ieee_div_zero 0
		.amdhsa_exception_fp_ieee_overflow 0
		.amdhsa_exception_fp_ieee_underflow 0
		.amdhsa_exception_fp_ieee_inexact 0
		.amdhsa_exception_int_div_zero 0
	.end_amdhsa_kernel
	.section	.text._ZN7rocprim17ROCPRIM_400000_NS6detail17trampoline_kernelINS0_14default_configENS1_25partition_config_selectorILNS1_17partition_subalgoE6EsNS0_10empty_typeEbEEZZNS1_14partition_implILS5_6ELb0ES3_mN6thrust23THRUST_200600_302600_NS6detail15normal_iteratorINSA_10device_ptrIsEEEEPS6_SG_NS0_5tupleIJSF_S6_EEENSH_IJSG_SG_EEES6_PlJNSB_9not_fun_tINSB_10functional5actorINSM_9compositeIJNSM_27transparent_binary_operatorINSA_8equal_toIvEEEENSN_INSM_8argumentILj0EEEEENSM_5valueIsEEEEEEEEEEEE10hipError_tPvRmT3_T4_T5_T6_T7_T9_mT8_P12ihipStream_tbDpT10_ENKUlT_T0_E_clISt17integral_constantIbLb0EES1K_EEDaS1F_S1G_EUlS1F_E_NS1_11comp_targetILNS1_3genE0ELNS1_11target_archE4294967295ELNS1_3gpuE0ELNS1_3repE0EEENS1_30default_config_static_selectorELNS0_4arch9wavefront6targetE0EEEvT1_,"axG",@progbits,_ZN7rocprim17ROCPRIM_400000_NS6detail17trampoline_kernelINS0_14default_configENS1_25partition_config_selectorILNS1_17partition_subalgoE6EsNS0_10empty_typeEbEEZZNS1_14partition_implILS5_6ELb0ES3_mN6thrust23THRUST_200600_302600_NS6detail15normal_iteratorINSA_10device_ptrIsEEEEPS6_SG_NS0_5tupleIJSF_S6_EEENSH_IJSG_SG_EEES6_PlJNSB_9not_fun_tINSB_10functional5actorINSM_9compositeIJNSM_27transparent_binary_operatorINSA_8equal_toIvEEEENSN_INSM_8argumentILj0EEEEENSM_5valueIsEEEEEEEEEEEE10hipError_tPvRmT3_T4_T5_T6_T7_T9_mT8_P12ihipStream_tbDpT10_ENKUlT_T0_E_clISt17integral_constantIbLb0EES1K_EEDaS1F_S1G_EUlS1F_E_NS1_11comp_targetILNS1_3genE0ELNS1_11target_archE4294967295ELNS1_3gpuE0ELNS1_3repE0EEENS1_30default_config_static_selectorELNS0_4arch9wavefront6targetE0EEEvT1_,comdat
.Lfunc_end244:
	.size	_ZN7rocprim17ROCPRIM_400000_NS6detail17trampoline_kernelINS0_14default_configENS1_25partition_config_selectorILNS1_17partition_subalgoE6EsNS0_10empty_typeEbEEZZNS1_14partition_implILS5_6ELb0ES3_mN6thrust23THRUST_200600_302600_NS6detail15normal_iteratorINSA_10device_ptrIsEEEEPS6_SG_NS0_5tupleIJSF_S6_EEENSH_IJSG_SG_EEES6_PlJNSB_9not_fun_tINSB_10functional5actorINSM_9compositeIJNSM_27transparent_binary_operatorINSA_8equal_toIvEEEENSN_INSM_8argumentILj0EEEEENSM_5valueIsEEEEEEEEEEEE10hipError_tPvRmT3_T4_T5_T6_T7_T9_mT8_P12ihipStream_tbDpT10_ENKUlT_T0_E_clISt17integral_constantIbLb0EES1K_EEDaS1F_S1G_EUlS1F_E_NS1_11comp_targetILNS1_3genE0ELNS1_11target_archE4294967295ELNS1_3gpuE0ELNS1_3repE0EEENS1_30default_config_static_selectorELNS0_4arch9wavefront6targetE0EEEvT1_, .Lfunc_end244-_ZN7rocprim17ROCPRIM_400000_NS6detail17trampoline_kernelINS0_14default_configENS1_25partition_config_selectorILNS1_17partition_subalgoE6EsNS0_10empty_typeEbEEZZNS1_14partition_implILS5_6ELb0ES3_mN6thrust23THRUST_200600_302600_NS6detail15normal_iteratorINSA_10device_ptrIsEEEEPS6_SG_NS0_5tupleIJSF_S6_EEENSH_IJSG_SG_EEES6_PlJNSB_9not_fun_tINSB_10functional5actorINSM_9compositeIJNSM_27transparent_binary_operatorINSA_8equal_toIvEEEENSN_INSM_8argumentILj0EEEEENSM_5valueIsEEEEEEEEEEEE10hipError_tPvRmT3_T4_T5_T6_T7_T9_mT8_P12ihipStream_tbDpT10_ENKUlT_T0_E_clISt17integral_constantIbLb0EES1K_EEDaS1F_S1G_EUlS1F_E_NS1_11comp_targetILNS1_3genE0ELNS1_11target_archE4294967295ELNS1_3gpuE0ELNS1_3repE0EEENS1_30default_config_static_selectorELNS0_4arch9wavefront6targetE0EEEvT1_
                                        ; -- End function
	.set _ZN7rocprim17ROCPRIM_400000_NS6detail17trampoline_kernelINS0_14default_configENS1_25partition_config_selectorILNS1_17partition_subalgoE6EsNS0_10empty_typeEbEEZZNS1_14partition_implILS5_6ELb0ES3_mN6thrust23THRUST_200600_302600_NS6detail15normal_iteratorINSA_10device_ptrIsEEEEPS6_SG_NS0_5tupleIJSF_S6_EEENSH_IJSG_SG_EEES6_PlJNSB_9not_fun_tINSB_10functional5actorINSM_9compositeIJNSM_27transparent_binary_operatorINSA_8equal_toIvEEEENSN_INSM_8argumentILj0EEEEENSM_5valueIsEEEEEEEEEEEE10hipError_tPvRmT3_T4_T5_T6_T7_T9_mT8_P12ihipStream_tbDpT10_ENKUlT_T0_E_clISt17integral_constantIbLb0EES1K_EEDaS1F_S1G_EUlS1F_E_NS1_11comp_targetILNS1_3genE0ELNS1_11target_archE4294967295ELNS1_3gpuE0ELNS1_3repE0EEENS1_30default_config_static_selectorELNS0_4arch9wavefront6targetE0EEEvT1_.num_vgpr, 0
	.set _ZN7rocprim17ROCPRIM_400000_NS6detail17trampoline_kernelINS0_14default_configENS1_25partition_config_selectorILNS1_17partition_subalgoE6EsNS0_10empty_typeEbEEZZNS1_14partition_implILS5_6ELb0ES3_mN6thrust23THRUST_200600_302600_NS6detail15normal_iteratorINSA_10device_ptrIsEEEEPS6_SG_NS0_5tupleIJSF_S6_EEENSH_IJSG_SG_EEES6_PlJNSB_9not_fun_tINSB_10functional5actorINSM_9compositeIJNSM_27transparent_binary_operatorINSA_8equal_toIvEEEENSN_INSM_8argumentILj0EEEEENSM_5valueIsEEEEEEEEEEEE10hipError_tPvRmT3_T4_T5_T6_T7_T9_mT8_P12ihipStream_tbDpT10_ENKUlT_T0_E_clISt17integral_constantIbLb0EES1K_EEDaS1F_S1G_EUlS1F_E_NS1_11comp_targetILNS1_3genE0ELNS1_11target_archE4294967295ELNS1_3gpuE0ELNS1_3repE0EEENS1_30default_config_static_selectorELNS0_4arch9wavefront6targetE0EEEvT1_.num_agpr, 0
	.set _ZN7rocprim17ROCPRIM_400000_NS6detail17trampoline_kernelINS0_14default_configENS1_25partition_config_selectorILNS1_17partition_subalgoE6EsNS0_10empty_typeEbEEZZNS1_14partition_implILS5_6ELb0ES3_mN6thrust23THRUST_200600_302600_NS6detail15normal_iteratorINSA_10device_ptrIsEEEEPS6_SG_NS0_5tupleIJSF_S6_EEENSH_IJSG_SG_EEES6_PlJNSB_9not_fun_tINSB_10functional5actorINSM_9compositeIJNSM_27transparent_binary_operatorINSA_8equal_toIvEEEENSN_INSM_8argumentILj0EEEEENSM_5valueIsEEEEEEEEEEEE10hipError_tPvRmT3_T4_T5_T6_T7_T9_mT8_P12ihipStream_tbDpT10_ENKUlT_T0_E_clISt17integral_constantIbLb0EES1K_EEDaS1F_S1G_EUlS1F_E_NS1_11comp_targetILNS1_3genE0ELNS1_11target_archE4294967295ELNS1_3gpuE0ELNS1_3repE0EEENS1_30default_config_static_selectorELNS0_4arch9wavefront6targetE0EEEvT1_.numbered_sgpr, 0
	.set _ZN7rocprim17ROCPRIM_400000_NS6detail17trampoline_kernelINS0_14default_configENS1_25partition_config_selectorILNS1_17partition_subalgoE6EsNS0_10empty_typeEbEEZZNS1_14partition_implILS5_6ELb0ES3_mN6thrust23THRUST_200600_302600_NS6detail15normal_iteratorINSA_10device_ptrIsEEEEPS6_SG_NS0_5tupleIJSF_S6_EEENSH_IJSG_SG_EEES6_PlJNSB_9not_fun_tINSB_10functional5actorINSM_9compositeIJNSM_27transparent_binary_operatorINSA_8equal_toIvEEEENSN_INSM_8argumentILj0EEEEENSM_5valueIsEEEEEEEEEEEE10hipError_tPvRmT3_T4_T5_T6_T7_T9_mT8_P12ihipStream_tbDpT10_ENKUlT_T0_E_clISt17integral_constantIbLb0EES1K_EEDaS1F_S1G_EUlS1F_E_NS1_11comp_targetILNS1_3genE0ELNS1_11target_archE4294967295ELNS1_3gpuE0ELNS1_3repE0EEENS1_30default_config_static_selectorELNS0_4arch9wavefront6targetE0EEEvT1_.num_named_barrier, 0
	.set _ZN7rocprim17ROCPRIM_400000_NS6detail17trampoline_kernelINS0_14default_configENS1_25partition_config_selectorILNS1_17partition_subalgoE6EsNS0_10empty_typeEbEEZZNS1_14partition_implILS5_6ELb0ES3_mN6thrust23THRUST_200600_302600_NS6detail15normal_iteratorINSA_10device_ptrIsEEEEPS6_SG_NS0_5tupleIJSF_S6_EEENSH_IJSG_SG_EEES6_PlJNSB_9not_fun_tINSB_10functional5actorINSM_9compositeIJNSM_27transparent_binary_operatorINSA_8equal_toIvEEEENSN_INSM_8argumentILj0EEEEENSM_5valueIsEEEEEEEEEEEE10hipError_tPvRmT3_T4_T5_T6_T7_T9_mT8_P12ihipStream_tbDpT10_ENKUlT_T0_E_clISt17integral_constantIbLb0EES1K_EEDaS1F_S1G_EUlS1F_E_NS1_11comp_targetILNS1_3genE0ELNS1_11target_archE4294967295ELNS1_3gpuE0ELNS1_3repE0EEENS1_30default_config_static_selectorELNS0_4arch9wavefront6targetE0EEEvT1_.private_seg_size, 0
	.set _ZN7rocprim17ROCPRIM_400000_NS6detail17trampoline_kernelINS0_14default_configENS1_25partition_config_selectorILNS1_17partition_subalgoE6EsNS0_10empty_typeEbEEZZNS1_14partition_implILS5_6ELb0ES3_mN6thrust23THRUST_200600_302600_NS6detail15normal_iteratorINSA_10device_ptrIsEEEEPS6_SG_NS0_5tupleIJSF_S6_EEENSH_IJSG_SG_EEES6_PlJNSB_9not_fun_tINSB_10functional5actorINSM_9compositeIJNSM_27transparent_binary_operatorINSA_8equal_toIvEEEENSN_INSM_8argumentILj0EEEEENSM_5valueIsEEEEEEEEEEEE10hipError_tPvRmT3_T4_T5_T6_T7_T9_mT8_P12ihipStream_tbDpT10_ENKUlT_T0_E_clISt17integral_constantIbLb0EES1K_EEDaS1F_S1G_EUlS1F_E_NS1_11comp_targetILNS1_3genE0ELNS1_11target_archE4294967295ELNS1_3gpuE0ELNS1_3repE0EEENS1_30default_config_static_selectorELNS0_4arch9wavefront6targetE0EEEvT1_.uses_vcc, 0
	.set _ZN7rocprim17ROCPRIM_400000_NS6detail17trampoline_kernelINS0_14default_configENS1_25partition_config_selectorILNS1_17partition_subalgoE6EsNS0_10empty_typeEbEEZZNS1_14partition_implILS5_6ELb0ES3_mN6thrust23THRUST_200600_302600_NS6detail15normal_iteratorINSA_10device_ptrIsEEEEPS6_SG_NS0_5tupleIJSF_S6_EEENSH_IJSG_SG_EEES6_PlJNSB_9not_fun_tINSB_10functional5actorINSM_9compositeIJNSM_27transparent_binary_operatorINSA_8equal_toIvEEEENSN_INSM_8argumentILj0EEEEENSM_5valueIsEEEEEEEEEEEE10hipError_tPvRmT3_T4_T5_T6_T7_T9_mT8_P12ihipStream_tbDpT10_ENKUlT_T0_E_clISt17integral_constantIbLb0EES1K_EEDaS1F_S1G_EUlS1F_E_NS1_11comp_targetILNS1_3genE0ELNS1_11target_archE4294967295ELNS1_3gpuE0ELNS1_3repE0EEENS1_30default_config_static_selectorELNS0_4arch9wavefront6targetE0EEEvT1_.uses_flat_scratch, 0
	.set _ZN7rocprim17ROCPRIM_400000_NS6detail17trampoline_kernelINS0_14default_configENS1_25partition_config_selectorILNS1_17partition_subalgoE6EsNS0_10empty_typeEbEEZZNS1_14partition_implILS5_6ELb0ES3_mN6thrust23THRUST_200600_302600_NS6detail15normal_iteratorINSA_10device_ptrIsEEEEPS6_SG_NS0_5tupleIJSF_S6_EEENSH_IJSG_SG_EEES6_PlJNSB_9not_fun_tINSB_10functional5actorINSM_9compositeIJNSM_27transparent_binary_operatorINSA_8equal_toIvEEEENSN_INSM_8argumentILj0EEEEENSM_5valueIsEEEEEEEEEEEE10hipError_tPvRmT3_T4_T5_T6_T7_T9_mT8_P12ihipStream_tbDpT10_ENKUlT_T0_E_clISt17integral_constantIbLb0EES1K_EEDaS1F_S1G_EUlS1F_E_NS1_11comp_targetILNS1_3genE0ELNS1_11target_archE4294967295ELNS1_3gpuE0ELNS1_3repE0EEENS1_30default_config_static_selectorELNS0_4arch9wavefront6targetE0EEEvT1_.has_dyn_sized_stack, 0
	.set _ZN7rocprim17ROCPRIM_400000_NS6detail17trampoline_kernelINS0_14default_configENS1_25partition_config_selectorILNS1_17partition_subalgoE6EsNS0_10empty_typeEbEEZZNS1_14partition_implILS5_6ELb0ES3_mN6thrust23THRUST_200600_302600_NS6detail15normal_iteratorINSA_10device_ptrIsEEEEPS6_SG_NS0_5tupleIJSF_S6_EEENSH_IJSG_SG_EEES6_PlJNSB_9not_fun_tINSB_10functional5actorINSM_9compositeIJNSM_27transparent_binary_operatorINSA_8equal_toIvEEEENSN_INSM_8argumentILj0EEEEENSM_5valueIsEEEEEEEEEEEE10hipError_tPvRmT3_T4_T5_T6_T7_T9_mT8_P12ihipStream_tbDpT10_ENKUlT_T0_E_clISt17integral_constantIbLb0EES1K_EEDaS1F_S1G_EUlS1F_E_NS1_11comp_targetILNS1_3genE0ELNS1_11target_archE4294967295ELNS1_3gpuE0ELNS1_3repE0EEENS1_30default_config_static_selectorELNS0_4arch9wavefront6targetE0EEEvT1_.has_recursion, 0
	.set _ZN7rocprim17ROCPRIM_400000_NS6detail17trampoline_kernelINS0_14default_configENS1_25partition_config_selectorILNS1_17partition_subalgoE6EsNS0_10empty_typeEbEEZZNS1_14partition_implILS5_6ELb0ES3_mN6thrust23THRUST_200600_302600_NS6detail15normal_iteratorINSA_10device_ptrIsEEEEPS6_SG_NS0_5tupleIJSF_S6_EEENSH_IJSG_SG_EEES6_PlJNSB_9not_fun_tINSB_10functional5actorINSM_9compositeIJNSM_27transparent_binary_operatorINSA_8equal_toIvEEEENSN_INSM_8argumentILj0EEEEENSM_5valueIsEEEEEEEEEEEE10hipError_tPvRmT3_T4_T5_T6_T7_T9_mT8_P12ihipStream_tbDpT10_ENKUlT_T0_E_clISt17integral_constantIbLb0EES1K_EEDaS1F_S1G_EUlS1F_E_NS1_11comp_targetILNS1_3genE0ELNS1_11target_archE4294967295ELNS1_3gpuE0ELNS1_3repE0EEENS1_30default_config_static_selectorELNS0_4arch9wavefront6targetE0EEEvT1_.has_indirect_call, 0
	.section	.AMDGPU.csdata,"",@progbits
; Kernel info:
; codeLenInByte = 0
; TotalNumSgprs: 0
; NumVgprs: 0
; ScratchSize: 0
; MemoryBound: 0
; FloatMode: 240
; IeeeMode: 1
; LDSByteSize: 0 bytes/workgroup (compile time only)
; SGPRBlocks: 0
; VGPRBlocks: 0
; NumSGPRsForWavesPerEU: 1
; NumVGPRsForWavesPerEU: 1
; Occupancy: 16
; WaveLimiterHint : 0
; COMPUTE_PGM_RSRC2:SCRATCH_EN: 0
; COMPUTE_PGM_RSRC2:USER_SGPR: 2
; COMPUTE_PGM_RSRC2:TRAP_HANDLER: 0
; COMPUTE_PGM_RSRC2:TGID_X_EN: 1
; COMPUTE_PGM_RSRC2:TGID_Y_EN: 0
; COMPUTE_PGM_RSRC2:TGID_Z_EN: 0
; COMPUTE_PGM_RSRC2:TIDIG_COMP_CNT: 0
	.section	.text._ZN7rocprim17ROCPRIM_400000_NS6detail17trampoline_kernelINS0_14default_configENS1_25partition_config_selectorILNS1_17partition_subalgoE6EsNS0_10empty_typeEbEEZZNS1_14partition_implILS5_6ELb0ES3_mN6thrust23THRUST_200600_302600_NS6detail15normal_iteratorINSA_10device_ptrIsEEEEPS6_SG_NS0_5tupleIJSF_S6_EEENSH_IJSG_SG_EEES6_PlJNSB_9not_fun_tINSB_10functional5actorINSM_9compositeIJNSM_27transparent_binary_operatorINSA_8equal_toIvEEEENSN_INSM_8argumentILj0EEEEENSM_5valueIsEEEEEEEEEEEE10hipError_tPvRmT3_T4_T5_T6_T7_T9_mT8_P12ihipStream_tbDpT10_ENKUlT_T0_E_clISt17integral_constantIbLb0EES1K_EEDaS1F_S1G_EUlS1F_E_NS1_11comp_targetILNS1_3genE5ELNS1_11target_archE942ELNS1_3gpuE9ELNS1_3repE0EEENS1_30default_config_static_selectorELNS0_4arch9wavefront6targetE0EEEvT1_,"axG",@progbits,_ZN7rocprim17ROCPRIM_400000_NS6detail17trampoline_kernelINS0_14default_configENS1_25partition_config_selectorILNS1_17partition_subalgoE6EsNS0_10empty_typeEbEEZZNS1_14partition_implILS5_6ELb0ES3_mN6thrust23THRUST_200600_302600_NS6detail15normal_iteratorINSA_10device_ptrIsEEEEPS6_SG_NS0_5tupleIJSF_S6_EEENSH_IJSG_SG_EEES6_PlJNSB_9not_fun_tINSB_10functional5actorINSM_9compositeIJNSM_27transparent_binary_operatorINSA_8equal_toIvEEEENSN_INSM_8argumentILj0EEEEENSM_5valueIsEEEEEEEEEEEE10hipError_tPvRmT3_T4_T5_T6_T7_T9_mT8_P12ihipStream_tbDpT10_ENKUlT_T0_E_clISt17integral_constantIbLb0EES1K_EEDaS1F_S1G_EUlS1F_E_NS1_11comp_targetILNS1_3genE5ELNS1_11target_archE942ELNS1_3gpuE9ELNS1_3repE0EEENS1_30default_config_static_selectorELNS0_4arch9wavefront6targetE0EEEvT1_,comdat
	.protected	_ZN7rocprim17ROCPRIM_400000_NS6detail17trampoline_kernelINS0_14default_configENS1_25partition_config_selectorILNS1_17partition_subalgoE6EsNS0_10empty_typeEbEEZZNS1_14partition_implILS5_6ELb0ES3_mN6thrust23THRUST_200600_302600_NS6detail15normal_iteratorINSA_10device_ptrIsEEEEPS6_SG_NS0_5tupleIJSF_S6_EEENSH_IJSG_SG_EEES6_PlJNSB_9not_fun_tINSB_10functional5actorINSM_9compositeIJNSM_27transparent_binary_operatorINSA_8equal_toIvEEEENSN_INSM_8argumentILj0EEEEENSM_5valueIsEEEEEEEEEEEE10hipError_tPvRmT3_T4_T5_T6_T7_T9_mT8_P12ihipStream_tbDpT10_ENKUlT_T0_E_clISt17integral_constantIbLb0EES1K_EEDaS1F_S1G_EUlS1F_E_NS1_11comp_targetILNS1_3genE5ELNS1_11target_archE942ELNS1_3gpuE9ELNS1_3repE0EEENS1_30default_config_static_selectorELNS0_4arch9wavefront6targetE0EEEvT1_ ; -- Begin function _ZN7rocprim17ROCPRIM_400000_NS6detail17trampoline_kernelINS0_14default_configENS1_25partition_config_selectorILNS1_17partition_subalgoE6EsNS0_10empty_typeEbEEZZNS1_14partition_implILS5_6ELb0ES3_mN6thrust23THRUST_200600_302600_NS6detail15normal_iteratorINSA_10device_ptrIsEEEEPS6_SG_NS0_5tupleIJSF_S6_EEENSH_IJSG_SG_EEES6_PlJNSB_9not_fun_tINSB_10functional5actorINSM_9compositeIJNSM_27transparent_binary_operatorINSA_8equal_toIvEEEENSN_INSM_8argumentILj0EEEEENSM_5valueIsEEEEEEEEEEEE10hipError_tPvRmT3_T4_T5_T6_T7_T9_mT8_P12ihipStream_tbDpT10_ENKUlT_T0_E_clISt17integral_constantIbLb0EES1K_EEDaS1F_S1G_EUlS1F_E_NS1_11comp_targetILNS1_3genE5ELNS1_11target_archE942ELNS1_3gpuE9ELNS1_3repE0EEENS1_30default_config_static_selectorELNS0_4arch9wavefront6targetE0EEEvT1_
	.globl	_ZN7rocprim17ROCPRIM_400000_NS6detail17trampoline_kernelINS0_14default_configENS1_25partition_config_selectorILNS1_17partition_subalgoE6EsNS0_10empty_typeEbEEZZNS1_14partition_implILS5_6ELb0ES3_mN6thrust23THRUST_200600_302600_NS6detail15normal_iteratorINSA_10device_ptrIsEEEEPS6_SG_NS0_5tupleIJSF_S6_EEENSH_IJSG_SG_EEES6_PlJNSB_9not_fun_tINSB_10functional5actorINSM_9compositeIJNSM_27transparent_binary_operatorINSA_8equal_toIvEEEENSN_INSM_8argumentILj0EEEEENSM_5valueIsEEEEEEEEEEEE10hipError_tPvRmT3_T4_T5_T6_T7_T9_mT8_P12ihipStream_tbDpT10_ENKUlT_T0_E_clISt17integral_constantIbLb0EES1K_EEDaS1F_S1G_EUlS1F_E_NS1_11comp_targetILNS1_3genE5ELNS1_11target_archE942ELNS1_3gpuE9ELNS1_3repE0EEENS1_30default_config_static_selectorELNS0_4arch9wavefront6targetE0EEEvT1_
	.p2align	8
	.type	_ZN7rocprim17ROCPRIM_400000_NS6detail17trampoline_kernelINS0_14default_configENS1_25partition_config_selectorILNS1_17partition_subalgoE6EsNS0_10empty_typeEbEEZZNS1_14partition_implILS5_6ELb0ES3_mN6thrust23THRUST_200600_302600_NS6detail15normal_iteratorINSA_10device_ptrIsEEEEPS6_SG_NS0_5tupleIJSF_S6_EEENSH_IJSG_SG_EEES6_PlJNSB_9not_fun_tINSB_10functional5actorINSM_9compositeIJNSM_27transparent_binary_operatorINSA_8equal_toIvEEEENSN_INSM_8argumentILj0EEEEENSM_5valueIsEEEEEEEEEEEE10hipError_tPvRmT3_T4_T5_T6_T7_T9_mT8_P12ihipStream_tbDpT10_ENKUlT_T0_E_clISt17integral_constantIbLb0EES1K_EEDaS1F_S1G_EUlS1F_E_NS1_11comp_targetILNS1_3genE5ELNS1_11target_archE942ELNS1_3gpuE9ELNS1_3repE0EEENS1_30default_config_static_selectorELNS0_4arch9wavefront6targetE0EEEvT1_,@function
_ZN7rocprim17ROCPRIM_400000_NS6detail17trampoline_kernelINS0_14default_configENS1_25partition_config_selectorILNS1_17partition_subalgoE6EsNS0_10empty_typeEbEEZZNS1_14partition_implILS5_6ELb0ES3_mN6thrust23THRUST_200600_302600_NS6detail15normal_iteratorINSA_10device_ptrIsEEEEPS6_SG_NS0_5tupleIJSF_S6_EEENSH_IJSG_SG_EEES6_PlJNSB_9not_fun_tINSB_10functional5actorINSM_9compositeIJNSM_27transparent_binary_operatorINSA_8equal_toIvEEEENSN_INSM_8argumentILj0EEEEENSM_5valueIsEEEEEEEEEEEE10hipError_tPvRmT3_T4_T5_T6_T7_T9_mT8_P12ihipStream_tbDpT10_ENKUlT_T0_E_clISt17integral_constantIbLb0EES1K_EEDaS1F_S1G_EUlS1F_E_NS1_11comp_targetILNS1_3genE5ELNS1_11target_archE942ELNS1_3gpuE9ELNS1_3repE0EEENS1_30default_config_static_selectorELNS0_4arch9wavefront6targetE0EEEvT1_: ; @_ZN7rocprim17ROCPRIM_400000_NS6detail17trampoline_kernelINS0_14default_configENS1_25partition_config_selectorILNS1_17partition_subalgoE6EsNS0_10empty_typeEbEEZZNS1_14partition_implILS5_6ELb0ES3_mN6thrust23THRUST_200600_302600_NS6detail15normal_iteratorINSA_10device_ptrIsEEEEPS6_SG_NS0_5tupleIJSF_S6_EEENSH_IJSG_SG_EEES6_PlJNSB_9not_fun_tINSB_10functional5actorINSM_9compositeIJNSM_27transparent_binary_operatorINSA_8equal_toIvEEEENSN_INSM_8argumentILj0EEEEENSM_5valueIsEEEEEEEEEEEE10hipError_tPvRmT3_T4_T5_T6_T7_T9_mT8_P12ihipStream_tbDpT10_ENKUlT_T0_E_clISt17integral_constantIbLb0EES1K_EEDaS1F_S1G_EUlS1F_E_NS1_11comp_targetILNS1_3genE5ELNS1_11target_archE942ELNS1_3gpuE9ELNS1_3repE0EEENS1_30default_config_static_selectorELNS0_4arch9wavefront6targetE0EEEvT1_
; %bb.0:
	.section	.rodata,"a",@progbits
	.p2align	6, 0x0
	.amdhsa_kernel _ZN7rocprim17ROCPRIM_400000_NS6detail17trampoline_kernelINS0_14default_configENS1_25partition_config_selectorILNS1_17partition_subalgoE6EsNS0_10empty_typeEbEEZZNS1_14partition_implILS5_6ELb0ES3_mN6thrust23THRUST_200600_302600_NS6detail15normal_iteratorINSA_10device_ptrIsEEEEPS6_SG_NS0_5tupleIJSF_S6_EEENSH_IJSG_SG_EEES6_PlJNSB_9not_fun_tINSB_10functional5actorINSM_9compositeIJNSM_27transparent_binary_operatorINSA_8equal_toIvEEEENSN_INSM_8argumentILj0EEEEENSM_5valueIsEEEEEEEEEEEE10hipError_tPvRmT3_T4_T5_T6_T7_T9_mT8_P12ihipStream_tbDpT10_ENKUlT_T0_E_clISt17integral_constantIbLb0EES1K_EEDaS1F_S1G_EUlS1F_E_NS1_11comp_targetILNS1_3genE5ELNS1_11target_archE942ELNS1_3gpuE9ELNS1_3repE0EEENS1_30default_config_static_selectorELNS0_4arch9wavefront6targetE0EEEvT1_
		.amdhsa_group_segment_fixed_size 0
		.amdhsa_private_segment_fixed_size 0
		.amdhsa_kernarg_size 120
		.amdhsa_user_sgpr_count 2
		.amdhsa_user_sgpr_dispatch_ptr 0
		.amdhsa_user_sgpr_queue_ptr 0
		.amdhsa_user_sgpr_kernarg_segment_ptr 1
		.amdhsa_user_sgpr_dispatch_id 0
		.amdhsa_user_sgpr_private_segment_size 0
		.amdhsa_wavefront_size32 1
		.amdhsa_uses_dynamic_stack 0
		.amdhsa_enable_private_segment 0
		.amdhsa_system_sgpr_workgroup_id_x 1
		.amdhsa_system_sgpr_workgroup_id_y 0
		.amdhsa_system_sgpr_workgroup_id_z 0
		.amdhsa_system_sgpr_workgroup_info 0
		.amdhsa_system_vgpr_workitem_id 0
		.amdhsa_next_free_vgpr 1
		.amdhsa_next_free_sgpr 1
		.amdhsa_reserve_vcc 0
		.amdhsa_float_round_mode_32 0
		.amdhsa_float_round_mode_16_64 0
		.amdhsa_float_denorm_mode_32 3
		.amdhsa_float_denorm_mode_16_64 3
		.amdhsa_fp16_overflow 0
		.amdhsa_workgroup_processor_mode 1
		.amdhsa_memory_ordered 1
		.amdhsa_forward_progress 1
		.amdhsa_inst_pref_size 0
		.amdhsa_round_robin_scheduling 0
		.amdhsa_exception_fp_ieee_invalid_op 0
		.amdhsa_exception_fp_denorm_src 0
		.amdhsa_exception_fp_ieee_div_zero 0
		.amdhsa_exception_fp_ieee_overflow 0
		.amdhsa_exception_fp_ieee_underflow 0
		.amdhsa_exception_fp_ieee_inexact 0
		.amdhsa_exception_int_div_zero 0
	.end_amdhsa_kernel
	.section	.text._ZN7rocprim17ROCPRIM_400000_NS6detail17trampoline_kernelINS0_14default_configENS1_25partition_config_selectorILNS1_17partition_subalgoE6EsNS0_10empty_typeEbEEZZNS1_14partition_implILS5_6ELb0ES3_mN6thrust23THRUST_200600_302600_NS6detail15normal_iteratorINSA_10device_ptrIsEEEEPS6_SG_NS0_5tupleIJSF_S6_EEENSH_IJSG_SG_EEES6_PlJNSB_9not_fun_tINSB_10functional5actorINSM_9compositeIJNSM_27transparent_binary_operatorINSA_8equal_toIvEEEENSN_INSM_8argumentILj0EEEEENSM_5valueIsEEEEEEEEEEEE10hipError_tPvRmT3_T4_T5_T6_T7_T9_mT8_P12ihipStream_tbDpT10_ENKUlT_T0_E_clISt17integral_constantIbLb0EES1K_EEDaS1F_S1G_EUlS1F_E_NS1_11comp_targetILNS1_3genE5ELNS1_11target_archE942ELNS1_3gpuE9ELNS1_3repE0EEENS1_30default_config_static_selectorELNS0_4arch9wavefront6targetE0EEEvT1_,"axG",@progbits,_ZN7rocprim17ROCPRIM_400000_NS6detail17trampoline_kernelINS0_14default_configENS1_25partition_config_selectorILNS1_17partition_subalgoE6EsNS0_10empty_typeEbEEZZNS1_14partition_implILS5_6ELb0ES3_mN6thrust23THRUST_200600_302600_NS6detail15normal_iteratorINSA_10device_ptrIsEEEEPS6_SG_NS0_5tupleIJSF_S6_EEENSH_IJSG_SG_EEES6_PlJNSB_9not_fun_tINSB_10functional5actorINSM_9compositeIJNSM_27transparent_binary_operatorINSA_8equal_toIvEEEENSN_INSM_8argumentILj0EEEEENSM_5valueIsEEEEEEEEEEEE10hipError_tPvRmT3_T4_T5_T6_T7_T9_mT8_P12ihipStream_tbDpT10_ENKUlT_T0_E_clISt17integral_constantIbLb0EES1K_EEDaS1F_S1G_EUlS1F_E_NS1_11comp_targetILNS1_3genE5ELNS1_11target_archE942ELNS1_3gpuE9ELNS1_3repE0EEENS1_30default_config_static_selectorELNS0_4arch9wavefront6targetE0EEEvT1_,comdat
.Lfunc_end245:
	.size	_ZN7rocprim17ROCPRIM_400000_NS6detail17trampoline_kernelINS0_14default_configENS1_25partition_config_selectorILNS1_17partition_subalgoE6EsNS0_10empty_typeEbEEZZNS1_14partition_implILS5_6ELb0ES3_mN6thrust23THRUST_200600_302600_NS6detail15normal_iteratorINSA_10device_ptrIsEEEEPS6_SG_NS0_5tupleIJSF_S6_EEENSH_IJSG_SG_EEES6_PlJNSB_9not_fun_tINSB_10functional5actorINSM_9compositeIJNSM_27transparent_binary_operatorINSA_8equal_toIvEEEENSN_INSM_8argumentILj0EEEEENSM_5valueIsEEEEEEEEEEEE10hipError_tPvRmT3_T4_T5_T6_T7_T9_mT8_P12ihipStream_tbDpT10_ENKUlT_T0_E_clISt17integral_constantIbLb0EES1K_EEDaS1F_S1G_EUlS1F_E_NS1_11comp_targetILNS1_3genE5ELNS1_11target_archE942ELNS1_3gpuE9ELNS1_3repE0EEENS1_30default_config_static_selectorELNS0_4arch9wavefront6targetE0EEEvT1_, .Lfunc_end245-_ZN7rocprim17ROCPRIM_400000_NS6detail17trampoline_kernelINS0_14default_configENS1_25partition_config_selectorILNS1_17partition_subalgoE6EsNS0_10empty_typeEbEEZZNS1_14partition_implILS5_6ELb0ES3_mN6thrust23THRUST_200600_302600_NS6detail15normal_iteratorINSA_10device_ptrIsEEEEPS6_SG_NS0_5tupleIJSF_S6_EEENSH_IJSG_SG_EEES6_PlJNSB_9not_fun_tINSB_10functional5actorINSM_9compositeIJNSM_27transparent_binary_operatorINSA_8equal_toIvEEEENSN_INSM_8argumentILj0EEEEENSM_5valueIsEEEEEEEEEEEE10hipError_tPvRmT3_T4_T5_T6_T7_T9_mT8_P12ihipStream_tbDpT10_ENKUlT_T0_E_clISt17integral_constantIbLb0EES1K_EEDaS1F_S1G_EUlS1F_E_NS1_11comp_targetILNS1_3genE5ELNS1_11target_archE942ELNS1_3gpuE9ELNS1_3repE0EEENS1_30default_config_static_selectorELNS0_4arch9wavefront6targetE0EEEvT1_
                                        ; -- End function
	.set _ZN7rocprim17ROCPRIM_400000_NS6detail17trampoline_kernelINS0_14default_configENS1_25partition_config_selectorILNS1_17partition_subalgoE6EsNS0_10empty_typeEbEEZZNS1_14partition_implILS5_6ELb0ES3_mN6thrust23THRUST_200600_302600_NS6detail15normal_iteratorINSA_10device_ptrIsEEEEPS6_SG_NS0_5tupleIJSF_S6_EEENSH_IJSG_SG_EEES6_PlJNSB_9not_fun_tINSB_10functional5actorINSM_9compositeIJNSM_27transparent_binary_operatorINSA_8equal_toIvEEEENSN_INSM_8argumentILj0EEEEENSM_5valueIsEEEEEEEEEEEE10hipError_tPvRmT3_T4_T5_T6_T7_T9_mT8_P12ihipStream_tbDpT10_ENKUlT_T0_E_clISt17integral_constantIbLb0EES1K_EEDaS1F_S1G_EUlS1F_E_NS1_11comp_targetILNS1_3genE5ELNS1_11target_archE942ELNS1_3gpuE9ELNS1_3repE0EEENS1_30default_config_static_selectorELNS0_4arch9wavefront6targetE0EEEvT1_.num_vgpr, 0
	.set _ZN7rocprim17ROCPRIM_400000_NS6detail17trampoline_kernelINS0_14default_configENS1_25partition_config_selectorILNS1_17partition_subalgoE6EsNS0_10empty_typeEbEEZZNS1_14partition_implILS5_6ELb0ES3_mN6thrust23THRUST_200600_302600_NS6detail15normal_iteratorINSA_10device_ptrIsEEEEPS6_SG_NS0_5tupleIJSF_S6_EEENSH_IJSG_SG_EEES6_PlJNSB_9not_fun_tINSB_10functional5actorINSM_9compositeIJNSM_27transparent_binary_operatorINSA_8equal_toIvEEEENSN_INSM_8argumentILj0EEEEENSM_5valueIsEEEEEEEEEEEE10hipError_tPvRmT3_T4_T5_T6_T7_T9_mT8_P12ihipStream_tbDpT10_ENKUlT_T0_E_clISt17integral_constantIbLb0EES1K_EEDaS1F_S1G_EUlS1F_E_NS1_11comp_targetILNS1_3genE5ELNS1_11target_archE942ELNS1_3gpuE9ELNS1_3repE0EEENS1_30default_config_static_selectorELNS0_4arch9wavefront6targetE0EEEvT1_.num_agpr, 0
	.set _ZN7rocprim17ROCPRIM_400000_NS6detail17trampoline_kernelINS0_14default_configENS1_25partition_config_selectorILNS1_17partition_subalgoE6EsNS0_10empty_typeEbEEZZNS1_14partition_implILS5_6ELb0ES3_mN6thrust23THRUST_200600_302600_NS6detail15normal_iteratorINSA_10device_ptrIsEEEEPS6_SG_NS0_5tupleIJSF_S6_EEENSH_IJSG_SG_EEES6_PlJNSB_9not_fun_tINSB_10functional5actorINSM_9compositeIJNSM_27transparent_binary_operatorINSA_8equal_toIvEEEENSN_INSM_8argumentILj0EEEEENSM_5valueIsEEEEEEEEEEEE10hipError_tPvRmT3_T4_T5_T6_T7_T9_mT8_P12ihipStream_tbDpT10_ENKUlT_T0_E_clISt17integral_constantIbLb0EES1K_EEDaS1F_S1G_EUlS1F_E_NS1_11comp_targetILNS1_3genE5ELNS1_11target_archE942ELNS1_3gpuE9ELNS1_3repE0EEENS1_30default_config_static_selectorELNS0_4arch9wavefront6targetE0EEEvT1_.numbered_sgpr, 0
	.set _ZN7rocprim17ROCPRIM_400000_NS6detail17trampoline_kernelINS0_14default_configENS1_25partition_config_selectorILNS1_17partition_subalgoE6EsNS0_10empty_typeEbEEZZNS1_14partition_implILS5_6ELb0ES3_mN6thrust23THRUST_200600_302600_NS6detail15normal_iteratorINSA_10device_ptrIsEEEEPS6_SG_NS0_5tupleIJSF_S6_EEENSH_IJSG_SG_EEES6_PlJNSB_9not_fun_tINSB_10functional5actorINSM_9compositeIJNSM_27transparent_binary_operatorINSA_8equal_toIvEEEENSN_INSM_8argumentILj0EEEEENSM_5valueIsEEEEEEEEEEEE10hipError_tPvRmT3_T4_T5_T6_T7_T9_mT8_P12ihipStream_tbDpT10_ENKUlT_T0_E_clISt17integral_constantIbLb0EES1K_EEDaS1F_S1G_EUlS1F_E_NS1_11comp_targetILNS1_3genE5ELNS1_11target_archE942ELNS1_3gpuE9ELNS1_3repE0EEENS1_30default_config_static_selectorELNS0_4arch9wavefront6targetE0EEEvT1_.num_named_barrier, 0
	.set _ZN7rocprim17ROCPRIM_400000_NS6detail17trampoline_kernelINS0_14default_configENS1_25partition_config_selectorILNS1_17partition_subalgoE6EsNS0_10empty_typeEbEEZZNS1_14partition_implILS5_6ELb0ES3_mN6thrust23THRUST_200600_302600_NS6detail15normal_iteratorINSA_10device_ptrIsEEEEPS6_SG_NS0_5tupleIJSF_S6_EEENSH_IJSG_SG_EEES6_PlJNSB_9not_fun_tINSB_10functional5actorINSM_9compositeIJNSM_27transparent_binary_operatorINSA_8equal_toIvEEEENSN_INSM_8argumentILj0EEEEENSM_5valueIsEEEEEEEEEEEE10hipError_tPvRmT3_T4_T5_T6_T7_T9_mT8_P12ihipStream_tbDpT10_ENKUlT_T0_E_clISt17integral_constantIbLb0EES1K_EEDaS1F_S1G_EUlS1F_E_NS1_11comp_targetILNS1_3genE5ELNS1_11target_archE942ELNS1_3gpuE9ELNS1_3repE0EEENS1_30default_config_static_selectorELNS0_4arch9wavefront6targetE0EEEvT1_.private_seg_size, 0
	.set _ZN7rocprim17ROCPRIM_400000_NS6detail17trampoline_kernelINS0_14default_configENS1_25partition_config_selectorILNS1_17partition_subalgoE6EsNS0_10empty_typeEbEEZZNS1_14partition_implILS5_6ELb0ES3_mN6thrust23THRUST_200600_302600_NS6detail15normal_iteratorINSA_10device_ptrIsEEEEPS6_SG_NS0_5tupleIJSF_S6_EEENSH_IJSG_SG_EEES6_PlJNSB_9not_fun_tINSB_10functional5actorINSM_9compositeIJNSM_27transparent_binary_operatorINSA_8equal_toIvEEEENSN_INSM_8argumentILj0EEEEENSM_5valueIsEEEEEEEEEEEE10hipError_tPvRmT3_T4_T5_T6_T7_T9_mT8_P12ihipStream_tbDpT10_ENKUlT_T0_E_clISt17integral_constantIbLb0EES1K_EEDaS1F_S1G_EUlS1F_E_NS1_11comp_targetILNS1_3genE5ELNS1_11target_archE942ELNS1_3gpuE9ELNS1_3repE0EEENS1_30default_config_static_selectorELNS0_4arch9wavefront6targetE0EEEvT1_.uses_vcc, 0
	.set _ZN7rocprim17ROCPRIM_400000_NS6detail17trampoline_kernelINS0_14default_configENS1_25partition_config_selectorILNS1_17partition_subalgoE6EsNS0_10empty_typeEbEEZZNS1_14partition_implILS5_6ELb0ES3_mN6thrust23THRUST_200600_302600_NS6detail15normal_iteratorINSA_10device_ptrIsEEEEPS6_SG_NS0_5tupleIJSF_S6_EEENSH_IJSG_SG_EEES6_PlJNSB_9not_fun_tINSB_10functional5actorINSM_9compositeIJNSM_27transparent_binary_operatorINSA_8equal_toIvEEEENSN_INSM_8argumentILj0EEEEENSM_5valueIsEEEEEEEEEEEE10hipError_tPvRmT3_T4_T5_T6_T7_T9_mT8_P12ihipStream_tbDpT10_ENKUlT_T0_E_clISt17integral_constantIbLb0EES1K_EEDaS1F_S1G_EUlS1F_E_NS1_11comp_targetILNS1_3genE5ELNS1_11target_archE942ELNS1_3gpuE9ELNS1_3repE0EEENS1_30default_config_static_selectorELNS0_4arch9wavefront6targetE0EEEvT1_.uses_flat_scratch, 0
	.set _ZN7rocprim17ROCPRIM_400000_NS6detail17trampoline_kernelINS0_14default_configENS1_25partition_config_selectorILNS1_17partition_subalgoE6EsNS0_10empty_typeEbEEZZNS1_14partition_implILS5_6ELb0ES3_mN6thrust23THRUST_200600_302600_NS6detail15normal_iteratorINSA_10device_ptrIsEEEEPS6_SG_NS0_5tupleIJSF_S6_EEENSH_IJSG_SG_EEES6_PlJNSB_9not_fun_tINSB_10functional5actorINSM_9compositeIJNSM_27transparent_binary_operatorINSA_8equal_toIvEEEENSN_INSM_8argumentILj0EEEEENSM_5valueIsEEEEEEEEEEEE10hipError_tPvRmT3_T4_T5_T6_T7_T9_mT8_P12ihipStream_tbDpT10_ENKUlT_T0_E_clISt17integral_constantIbLb0EES1K_EEDaS1F_S1G_EUlS1F_E_NS1_11comp_targetILNS1_3genE5ELNS1_11target_archE942ELNS1_3gpuE9ELNS1_3repE0EEENS1_30default_config_static_selectorELNS0_4arch9wavefront6targetE0EEEvT1_.has_dyn_sized_stack, 0
	.set _ZN7rocprim17ROCPRIM_400000_NS6detail17trampoline_kernelINS0_14default_configENS1_25partition_config_selectorILNS1_17partition_subalgoE6EsNS0_10empty_typeEbEEZZNS1_14partition_implILS5_6ELb0ES3_mN6thrust23THRUST_200600_302600_NS6detail15normal_iteratorINSA_10device_ptrIsEEEEPS6_SG_NS0_5tupleIJSF_S6_EEENSH_IJSG_SG_EEES6_PlJNSB_9not_fun_tINSB_10functional5actorINSM_9compositeIJNSM_27transparent_binary_operatorINSA_8equal_toIvEEEENSN_INSM_8argumentILj0EEEEENSM_5valueIsEEEEEEEEEEEE10hipError_tPvRmT3_T4_T5_T6_T7_T9_mT8_P12ihipStream_tbDpT10_ENKUlT_T0_E_clISt17integral_constantIbLb0EES1K_EEDaS1F_S1G_EUlS1F_E_NS1_11comp_targetILNS1_3genE5ELNS1_11target_archE942ELNS1_3gpuE9ELNS1_3repE0EEENS1_30default_config_static_selectorELNS0_4arch9wavefront6targetE0EEEvT1_.has_recursion, 0
	.set _ZN7rocprim17ROCPRIM_400000_NS6detail17trampoline_kernelINS0_14default_configENS1_25partition_config_selectorILNS1_17partition_subalgoE6EsNS0_10empty_typeEbEEZZNS1_14partition_implILS5_6ELb0ES3_mN6thrust23THRUST_200600_302600_NS6detail15normal_iteratorINSA_10device_ptrIsEEEEPS6_SG_NS0_5tupleIJSF_S6_EEENSH_IJSG_SG_EEES6_PlJNSB_9not_fun_tINSB_10functional5actorINSM_9compositeIJNSM_27transparent_binary_operatorINSA_8equal_toIvEEEENSN_INSM_8argumentILj0EEEEENSM_5valueIsEEEEEEEEEEEE10hipError_tPvRmT3_T4_T5_T6_T7_T9_mT8_P12ihipStream_tbDpT10_ENKUlT_T0_E_clISt17integral_constantIbLb0EES1K_EEDaS1F_S1G_EUlS1F_E_NS1_11comp_targetILNS1_3genE5ELNS1_11target_archE942ELNS1_3gpuE9ELNS1_3repE0EEENS1_30default_config_static_selectorELNS0_4arch9wavefront6targetE0EEEvT1_.has_indirect_call, 0
	.section	.AMDGPU.csdata,"",@progbits
; Kernel info:
; codeLenInByte = 0
; TotalNumSgprs: 0
; NumVgprs: 0
; ScratchSize: 0
; MemoryBound: 0
; FloatMode: 240
; IeeeMode: 1
; LDSByteSize: 0 bytes/workgroup (compile time only)
; SGPRBlocks: 0
; VGPRBlocks: 0
; NumSGPRsForWavesPerEU: 1
; NumVGPRsForWavesPerEU: 1
; Occupancy: 16
; WaveLimiterHint : 0
; COMPUTE_PGM_RSRC2:SCRATCH_EN: 0
; COMPUTE_PGM_RSRC2:USER_SGPR: 2
; COMPUTE_PGM_RSRC2:TRAP_HANDLER: 0
; COMPUTE_PGM_RSRC2:TGID_X_EN: 1
; COMPUTE_PGM_RSRC2:TGID_Y_EN: 0
; COMPUTE_PGM_RSRC2:TGID_Z_EN: 0
; COMPUTE_PGM_RSRC2:TIDIG_COMP_CNT: 0
	.section	.text._ZN7rocprim17ROCPRIM_400000_NS6detail17trampoline_kernelINS0_14default_configENS1_25partition_config_selectorILNS1_17partition_subalgoE6EsNS0_10empty_typeEbEEZZNS1_14partition_implILS5_6ELb0ES3_mN6thrust23THRUST_200600_302600_NS6detail15normal_iteratorINSA_10device_ptrIsEEEEPS6_SG_NS0_5tupleIJSF_S6_EEENSH_IJSG_SG_EEES6_PlJNSB_9not_fun_tINSB_10functional5actorINSM_9compositeIJNSM_27transparent_binary_operatorINSA_8equal_toIvEEEENSN_INSM_8argumentILj0EEEEENSM_5valueIsEEEEEEEEEEEE10hipError_tPvRmT3_T4_T5_T6_T7_T9_mT8_P12ihipStream_tbDpT10_ENKUlT_T0_E_clISt17integral_constantIbLb0EES1K_EEDaS1F_S1G_EUlS1F_E_NS1_11comp_targetILNS1_3genE4ELNS1_11target_archE910ELNS1_3gpuE8ELNS1_3repE0EEENS1_30default_config_static_selectorELNS0_4arch9wavefront6targetE0EEEvT1_,"axG",@progbits,_ZN7rocprim17ROCPRIM_400000_NS6detail17trampoline_kernelINS0_14default_configENS1_25partition_config_selectorILNS1_17partition_subalgoE6EsNS0_10empty_typeEbEEZZNS1_14partition_implILS5_6ELb0ES3_mN6thrust23THRUST_200600_302600_NS6detail15normal_iteratorINSA_10device_ptrIsEEEEPS6_SG_NS0_5tupleIJSF_S6_EEENSH_IJSG_SG_EEES6_PlJNSB_9not_fun_tINSB_10functional5actorINSM_9compositeIJNSM_27transparent_binary_operatorINSA_8equal_toIvEEEENSN_INSM_8argumentILj0EEEEENSM_5valueIsEEEEEEEEEEEE10hipError_tPvRmT3_T4_T5_T6_T7_T9_mT8_P12ihipStream_tbDpT10_ENKUlT_T0_E_clISt17integral_constantIbLb0EES1K_EEDaS1F_S1G_EUlS1F_E_NS1_11comp_targetILNS1_3genE4ELNS1_11target_archE910ELNS1_3gpuE8ELNS1_3repE0EEENS1_30default_config_static_selectorELNS0_4arch9wavefront6targetE0EEEvT1_,comdat
	.protected	_ZN7rocprim17ROCPRIM_400000_NS6detail17trampoline_kernelINS0_14default_configENS1_25partition_config_selectorILNS1_17partition_subalgoE6EsNS0_10empty_typeEbEEZZNS1_14partition_implILS5_6ELb0ES3_mN6thrust23THRUST_200600_302600_NS6detail15normal_iteratorINSA_10device_ptrIsEEEEPS6_SG_NS0_5tupleIJSF_S6_EEENSH_IJSG_SG_EEES6_PlJNSB_9not_fun_tINSB_10functional5actorINSM_9compositeIJNSM_27transparent_binary_operatorINSA_8equal_toIvEEEENSN_INSM_8argumentILj0EEEEENSM_5valueIsEEEEEEEEEEEE10hipError_tPvRmT3_T4_T5_T6_T7_T9_mT8_P12ihipStream_tbDpT10_ENKUlT_T0_E_clISt17integral_constantIbLb0EES1K_EEDaS1F_S1G_EUlS1F_E_NS1_11comp_targetILNS1_3genE4ELNS1_11target_archE910ELNS1_3gpuE8ELNS1_3repE0EEENS1_30default_config_static_selectorELNS0_4arch9wavefront6targetE0EEEvT1_ ; -- Begin function _ZN7rocprim17ROCPRIM_400000_NS6detail17trampoline_kernelINS0_14default_configENS1_25partition_config_selectorILNS1_17partition_subalgoE6EsNS0_10empty_typeEbEEZZNS1_14partition_implILS5_6ELb0ES3_mN6thrust23THRUST_200600_302600_NS6detail15normal_iteratorINSA_10device_ptrIsEEEEPS6_SG_NS0_5tupleIJSF_S6_EEENSH_IJSG_SG_EEES6_PlJNSB_9not_fun_tINSB_10functional5actorINSM_9compositeIJNSM_27transparent_binary_operatorINSA_8equal_toIvEEEENSN_INSM_8argumentILj0EEEEENSM_5valueIsEEEEEEEEEEEE10hipError_tPvRmT3_T4_T5_T6_T7_T9_mT8_P12ihipStream_tbDpT10_ENKUlT_T0_E_clISt17integral_constantIbLb0EES1K_EEDaS1F_S1G_EUlS1F_E_NS1_11comp_targetILNS1_3genE4ELNS1_11target_archE910ELNS1_3gpuE8ELNS1_3repE0EEENS1_30default_config_static_selectorELNS0_4arch9wavefront6targetE0EEEvT1_
	.globl	_ZN7rocprim17ROCPRIM_400000_NS6detail17trampoline_kernelINS0_14default_configENS1_25partition_config_selectorILNS1_17partition_subalgoE6EsNS0_10empty_typeEbEEZZNS1_14partition_implILS5_6ELb0ES3_mN6thrust23THRUST_200600_302600_NS6detail15normal_iteratorINSA_10device_ptrIsEEEEPS6_SG_NS0_5tupleIJSF_S6_EEENSH_IJSG_SG_EEES6_PlJNSB_9not_fun_tINSB_10functional5actorINSM_9compositeIJNSM_27transparent_binary_operatorINSA_8equal_toIvEEEENSN_INSM_8argumentILj0EEEEENSM_5valueIsEEEEEEEEEEEE10hipError_tPvRmT3_T4_T5_T6_T7_T9_mT8_P12ihipStream_tbDpT10_ENKUlT_T0_E_clISt17integral_constantIbLb0EES1K_EEDaS1F_S1G_EUlS1F_E_NS1_11comp_targetILNS1_3genE4ELNS1_11target_archE910ELNS1_3gpuE8ELNS1_3repE0EEENS1_30default_config_static_selectorELNS0_4arch9wavefront6targetE0EEEvT1_
	.p2align	8
	.type	_ZN7rocprim17ROCPRIM_400000_NS6detail17trampoline_kernelINS0_14default_configENS1_25partition_config_selectorILNS1_17partition_subalgoE6EsNS0_10empty_typeEbEEZZNS1_14partition_implILS5_6ELb0ES3_mN6thrust23THRUST_200600_302600_NS6detail15normal_iteratorINSA_10device_ptrIsEEEEPS6_SG_NS0_5tupleIJSF_S6_EEENSH_IJSG_SG_EEES6_PlJNSB_9not_fun_tINSB_10functional5actorINSM_9compositeIJNSM_27transparent_binary_operatorINSA_8equal_toIvEEEENSN_INSM_8argumentILj0EEEEENSM_5valueIsEEEEEEEEEEEE10hipError_tPvRmT3_T4_T5_T6_T7_T9_mT8_P12ihipStream_tbDpT10_ENKUlT_T0_E_clISt17integral_constantIbLb0EES1K_EEDaS1F_S1G_EUlS1F_E_NS1_11comp_targetILNS1_3genE4ELNS1_11target_archE910ELNS1_3gpuE8ELNS1_3repE0EEENS1_30default_config_static_selectorELNS0_4arch9wavefront6targetE0EEEvT1_,@function
_ZN7rocprim17ROCPRIM_400000_NS6detail17trampoline_kernelINS0_14default_configENS1_25partition_config_selectorILNS1_17partition_subalgoE6EsNS0_10empty_typeEbEEZZNS1_14partition_implILS5_6ELb0ES3_mN6thrust23THRUST_200600_302600_NS6detail15normal_iteratorINSA_10device_ptrIsEEEEPS6_SG_NS0_5tupleIJSF_S6_EEENSH_IJSG_SG_EEES6_PlJNSB_9not_fun_tINSB_10functional5actorINSM_9compositeIJNSM_27transparent_binary_operatorINSA_8equal_toIvEEEENSN_INSM_8argumentILj0EEEEENSM_5valueIsEEEEEEEEEEEE10hipError_tPvRmT3_T4_T5_T6_T7_T9_mT8_P12ihipStream_tbDpT10_ENKUlT_T0_E_clISt17integral_constantIbLb0EES1K_EEDaS1F_S1G_EUlS1F_E_NS1_11comp_targetILNS1_3genE4ELNS1_11target_archE910ELNS1_3gpuE8ELNS1_3repE0EEENS1_30default_config_static_selectorELNS0_4arch9wavefront6targetE0EEEvT1_: ; @_ZN7rocprim17ROCPRIM_400000_NS6detail17trampoline_kernelINS0_14default_configENS1_25partition_config_selectorILNS1_17partition_subalgoE6EsNS0_10empty_typeEbEEZZNS1_14partition_implILS5_6ELb0ES3_mN6thrust23THRUST_200600_302600_NS6detail15normal_iteratorINSA_10device_ptrIsEEEEPS6_SG_NS0_5tupleIJSF_S6_EEENSH_IJSG_SG_EEES6_PlJNSB_9not_fun_tINSB_10functional5actorINSM_9compositeIJNSM_27transparent_binary_operatorINSA_8equal_toIvEEEENSN_INSM_8argumentILj0EEEEENSM_5valueIsEEEEEEEEEEEE10hipError_tPvRmT3_T4_T5_T6_T7_T9_mT8_P12ihipStream_tbDpT10_ENKUlT_T0_E_clISt17integral_constantIbLb0EES1K_EEDaS1F_S1G_EUlS1F_E_NS1_11comp_targetILNS1_3genE4ELNS1_11target_archE910ELNS1_3gpuE8ELNS1_3repE0EEENS1_30default_config_static_selectorELNS0_4arch9wavefront6targetE0EEEvT1_
; %bb.0:
	.section	.rodata,"a",@progbits
	.p2align	6, 0x0
	.amdhsa_kernel _ZN7rocprim17ROCPRIM_400000_NS6detail17trampoline_kernelINS0_14default_configENS1_25partition_config_selectorILNS1_17partition_subalgoE6EsNS0_10empty_typeEbEEZZNS1_14partition_implILS5_6ELb0ES3_mN6thrust23THRUST_200600_302600_NS6detail15normal_iteratorINSA_10device_ptrIsEEEEPS6_SG_NS0_5tupleIJSF_S6_EEENSH_IJSG_SG_EEES6_PlJNSB_9not_fun_tINSB_10functional5actorINSM_9compositeIJNSM_27transparent_binary_operatorINSA_8equal_toIvEEEENSN_INSM_8argumentILj0EEEEENSM_5valueIsEEEEEEEEEEEE10hipError_tPvRmT3_T4_T5_T6_T7_T9_mT8_P12ihipStream_tbDpT10_ENKUlT_T0_E_clISt17integral_constantIbLb0EES1K_EEDaS1F_S1G_EUlS1F_E_NS1_11comp_targetILNS1_3genE4ELNS1_11target_archE910ELNS1_3gpuE8ELNS1_3repE0EEENS1_30default_config_static_selectorELNS0_4arch9wavefront6targetE0EEEvT1_
		.amdhsa_group_segment_fixed_size 0
		.amdhsa_private_segment_fixed_size 0
		.amdhsa_kernarg_size 120
		.amdhsa_user_sgpr_count 2
		.amdhsa_user_sgpr_dispatch_ptr 0
		.amdhsa_user_sgpr_queue_ptr 0
		.amdhsa_user_sgpr_kernarg_segment_ptr 1
		.amdhsa_user_sgpr_dispatch_id 0
		.amdhsa_user_sgpr_private_segment_size 0
		.amdhsa_wavefront_size32 1
		.amdhsa_uses_dynamic_stack 0
		.amdhsa_enable_private_segment 0
		.amdhsa_system_sgpr_workgroup_id_x 1
		.amdhsa_system_sgpr_workgroup_id_y 0
		.amdhsa_system_sgpr_workgroup_id_z 0
		.amdhsa_system_sgpr_workgroup_info 0
		.amdhsa_system_vgpr_workitem_id 0
		.amdhsa_next_free_vgpr 1
		.amdhsa_next_free_sgpr 1
		.amdhsa_reserve_vcc 0
		.amdhsa_float_round_mode_32 0
		.amdhsa_float_round_mode_16_64 0
		.amdhsa_float_denorm_mode_32 3
		.amdhsa_float_denorm_mode_16_64 3
		.amdhsa_fp16_overflow 0
		.amdhsa_workgroup_processor_mode 1
		.amdhsa_memory_ordered 1
		.amdhsa_forward_progress 1
		.amdhsa_inst_pref_size 0
		.amdhsa_round_robin_scheduling 0
		.amdhsa_exception_fp_ieee_invalid_op 0
		.amdhsa_exception_fp_denorm_src 0
		.amdhsa_exception_fp_ieee_div_zero 0
		.amdhsa_exception_fp_ieee_overflow 0
		.amdhsa_exception_fp_ieee_underflow 0
		.amdhsa_exception_fp_ieee_inexact 0
		.amdhsa_exception_int_div_zero 0
	.end_amdhsa_kernel
	.section	.text._ZN7rocprim17ROCPRIM_400000_NS6detail17trampoline_kernelINS0_14default_configENS1_25partition_config_selectorILNS1_17partition_subalgoE6EsNS0_10empty_typeEbEEZZNS1_14partition_implILS5_6ELb0ES3_mN6thrust23THRUST_200600_302600_NS6detail15normal_iteratorINSA_10device_ptrIsEEEEPS6_SG_NS0_5tupleIJSF_S6_EEENSH_IJSG_SG_EEES6_PlJNSB_9not_fun_tINSB_10functional5actorINSM_9compositeIJNSM_27transparent_binary_operatorINSA_8equal_toIvEEEENSN_INSM_8argumentILj0EEEEENSM_5valueIsEEEEEEEEEEEE10hipError_tPvRmT3_T4_T5_T6_T7_T9_mT8_P12ihipStream_tbDpT10_ENKUlT_T0_E_clISt17integral_constantIbLb0EES1K_EEDaS1F_S1G_EUlS1F_E_NS1_11comp_targetILNS1_3genE4ELNS1_11target_archE910ELNS1_3gpuE8ELNS1_3repE0EEENS1_30default_config_static_selectorELNS0_4arch9wavefront6targetE0EEEvT1_,"axG",@progbits,_ZN7rocprim17ROCPRIM_400000_NS6detail17trampoline_kernelINS0_14default_configENS1_25partition_config_selectorILNS1_17partition_subalgoE6EsNS0_10empty_typeEbEEZZNS1_14partition_implILS5_6ELb0ES3_mN6thrust23THRUST_200600_302600_NS6detail15normal_iteratorINSA_10device_ptrIsEEEEPS6_SG_NS0_5tupleIJSF_S6_EEENSH_IJSG_SG_EEES6_PlJNSB_9not_fun_tINSB_10functional5actorINSM_9compositeIJNSM_27transparent_binary_operatorINSA_8equal_toIvEEEENSN_INSM_8argumentILj0EEEEENSM_5valueIsEEEEEEEEEEEE10hipError_tPvRmT3_T4_T5_T6_T7_T9_mT8_P12ihipStream_tbDpT10_ENKUlT_T0_E_clISt17integral_constantIbLb0EES1K_EEDaS1F_S1G_EUlS1F_E_NS1_11comp_targetILNS1_3genE4ELNS1_11target_archE910ELNS1_3gpuE8ELNS1_3repE0EEENS1_30default_config_static_selectorELNS0_4arch9wavefront6targetE0EEEvT1_,comdat
.Lfunc_end246:
	.size	_ZN7rocprim17ROCPRIM_400000_NS6detail17trampoline_kernelINS0_14default_configENS1_25partition_config_selectorILNS1_17partition_subalgoE6EsNS0_10empty_typeEbEEZZNS1_14partition_implILS5_6ELb0ES3_mN6thrust23THRUST_200600_302600_NS6detail15normal_iteratorINSA_10device_ptrIsEEEEPS6_SG_NS0_5tupleIJSF_S6_EEENSH_IJSG_SG_EEES6_PlJNSB_9not_fun_tINSB_10functional5actorINSM_9compositeIJNSM_27transparent_binary_operatorINSA_8equal_toIvEEEENSN_INSM_8argumentILj0EEEEENSM_5valueIsEEEEEEEEEEEE10hipError_tPvRmT3_T4_T5_T6_T7_T9_mT8_P12ihipStream_tbDpT10_ENKUlT_T0_E_clISt17integral_constantIbLb0EES1K_EEDaS1F_S1G_EUlS1F_E_NS1_11comp_targetILNS1_3genE4ELNS1_11target_archE910ELNS1_3gpuE8ELNS1_3repE0EEENS1_30default_config_static_selectorELNS0_4arch9wavefront6targetE0EEEvT1_, .Lfunc_end246-_ZN7rocprim17ROCPRIM_400000_NS6detail17trampoline_kernelINS0_14default_configENS1_25partition_config_selectorILNS1_17partition_subalgoE6EsNS0_10empty_typeEbEEZZNS1_14partition_implILS5_6ELb0ES3_mN6thrust23THRUST_200600_302600_NS6detail15normal_iteratorINSA_10device_ptrIsEEEEPS6_SG_NS0_5tupleIJSF_S6_EEENSH_IJSG_SG_EEES6_PlJNSB_9not_fun_tINSB_10functional5actorINSM_9compositeIJNSM_27transparent_binary_operatorINSA_8equal_toIvEEEENSN_INSM_8argumentILj0EEEEENSM_5valueIsEEEEEEEEEEEE10hipError_tPvRmT3_T4_T5_T6_T7_T9_mT8_P12ihipStream_tbDpT10_ENKUlT_T0_E_clISt17integral_constantIbLb0EES1K_EEDaS1F_S1G_EUlS1F_E_NS1_11comp_targetILNS1_3genE4ELNS1_11target_archE910ELNS1_3gpuE8ELNS1_3repE0EEENS1_30default_config_static_selectorELNS0_4arch9wavefront6targetE0EEEvT1_
                                        ; -- End function
	.set _ZN7rocprim17ROCPRIM_400000_NS6detail17trampoline_kernelINS0_14default_configENS1_25partition_config_selectorILNS1_17partition_subalgoE6EsNS0_10empty_typeEbEEZZNS1_14partition_implILS5_6ELb0ES3_mN6thrust23THRUST_200600_302600_NS6detail15normal_iteratorINSA_10device_ptrIsEEEEPS6_SG_NS0_5tupleIJSF_S6_EEENSH_IJSG_SG_EEES6_PlJNSB_9not_fun_tINSB_10functional5actorINSM_9compositeIJNSM_27transparent_binary_operatorINSA_8equal_toIvEEEENSN_INSM_8argumentILj0EEEEENSM_5valueIsEEEEEEEEEEEE10hipError_tPvRmT3_T4_T5_T6_T7_T9_mT8_P12ihipStream_tbDpT10_ENKUlT_T0_E_clISt17integral_constantIbLb0EES1K_EEDaS1F_S1G_EUlS1F_E_NS1_11comp_targetILNS1_3genE4ELNS1_11target_archE910ELNS1_3gpuE8ELNS1_3repE0EEENS1_30default_config_static_selectorELNS0_4arch9wavefront6targetE0EEEvT1_.num_vgpr, 0
	.set _ZN7rocprim17ROCPRIM_400000_NS6detail17trampoline_kernelINS0_14default_configENS1_25partition_config_selectorILNS1_17partition_subalgoE6EsNS0_10empty_typeEbEEZZNS1_14partition_implILS5_6ELb0ES3_mN6thrust23THRUST_200600_302600_NS6detail15normal_iteratorINSA_10device_ptrIsEEEEPS6_SG_NS0_5tupleIJSF_S6_EEENSH_IJSG_SG_EEES6_PlJNSB_9not_fun_tINSB_10functional5actorINSM_9compositeIJNSM_27transparent_binary_operatorINSA_8equal_toIvEEEENSN_INSM_8argumentILj0EEEEENSM_5valueIsEEEEEEEEEEEE10hipError_tPvRmT3_T4_T5_T6_T7_T9_mT8_P12ihipStream_tbDpT10_ENKUlT_T0_E_clISt17integral_constantIbLb0EES1K_EEDaS1F_S1G_EUlS1F_E_NS1_11comp_targetILNS1_3genE4ELNS1_11target_archE910ELNS1_3gpuE8ELNS1_3repE0EEENS1_30default_config_static_selectorELNS0_4arch9wavefront6targetE0EEEvT1_.num_agpr, 0
	.set _ZN7rocprim17ROCPRIM_400000_NS6detail17trampoline_kernelINS0_14default_configENS1_25partition_config_selectorILNS1_17partition_subalgoE6EsNS0_10empty_typeEbEEZZNS1_14partition_implILS5_6ELb0ES3_mN6thrust23THRUST_200600_302600_NS6detail15normal_iteratorINSA_10device_ptrIsEEEEPS6_SG_NS0_5tupleIJSF_S6_EEENSH_IJSG_SG_EEES6_PlJNSB_9not_fun_tINSB_10functional5actorINSM_9compositeIJNSM_27transparent_binary_operatorINSA_8equal_toIvEEEENSN_INSM_8argumentILj0EEEEENSM_5valueIsEEEEEEEEEEEE10hipError_tPvRmT3_T4_T5_T6_T7_T9_mT8_P12ihipStream_tbDpT10_ENKUlT_T0_E_clISt17integral_constantIbLb0EES1K_EEDaS1F_S1G_EUlS1F_E_NS1_11comp_targetILNS1_3genE4ELNS1_11target_archE910ELNS1_3gpuE8ELNS1_3repE0EEENS1_30default_config_static_selectorELNS0_4arch9wavefront6targetE0EEEvT1_.numbered_sgpr, 0
	.set _ZN7rocprim17ROCPRIM_400000_NS6detail17trampoline_kernelINS0_14default_configENS1_25partition_config_selectorILNS1_17partition_subalgoE6EsNS0_10empty_typeEbEEZZNS1_14partition_implILS5_6ELb0ES3_mN6thrust23THRUST_200600_302600_NS6detail15normal_iteratorINSA_10device_ptrIsEEEEPS6_SG_NS0_5tupleIJSF_S6_EEENSH_IJSG_SG_EEES6_PlJNSB_9not_fun_tINSB_10functional5actorINSM_9compositeIJNSM_27transparent_binary_operatorINSA_8equal_toIvEEEENSN_INSM_8argumentILj0EEEEENSM_5valueIsEEEEEEEEEEEE10hipError_tPvRmT3_T4_T5_T6_T7_T9_mT8_P12ihipStream_tbDpT10_ENKUlT_T0_E_clISt17integral_constantIbLb0EES1K_EEDaS1F_S1G_EUlS1F_E_NS1_11comp_targetILNS1_3genE4ELNS1_11target_archE910ELNS1_3gpuE8ELNS1_3repE0EEENS1_30default_config_static_selectorELNS0_4arch9wavefront6targetE0EEEvT1_.num_named_barrier, 0
	.set _ZN7rocprim17ROCPRIM_400000_NS6detail17trampoline_kernelINS0_14default_configENS1_25partition_config_selectorILNS1_17partition_subalgoE6EsNS0_10empty_typeEbEEZZNS1_14partition_implILS5_6ELb0ES3_mN6thrust23THRUST_200600_302600_NS6detail15normal_iteratorINSA_10device_ptrIsEEEEPS6_SG_NS0_5tupleIJSF_S6_EEENSH_IJSG_SG_EEES6_PlJNSB_9not_fun_tINSB_10functional5actorINSM_9compositeIJNSM_27transparent_binary_operatorINSA_8equal_toIvEEEENSN_INSM_8argumentILj0EEEEENSM_5valueIsEEEEEEEEEEEE10hipError_tPvRmT3_T4_T5_T6_T7_T9_mT8_P12ihipStream_tbDpT10_ENKUlT_T0_E_clISt17integral_constantIbLb0EES1K_EEDaS1F_S1G_EUlS1F_E_NS1_11comp_targetILNS1_3genE4ELNS1_11target_archE910ELNS1_3gpuE8ELNS1_3repE0EEENS1_30default_config_static_selectorELNS0_4arch9wavefront6targetE0EEEvT1_.private_seg_size, 0
	.set _ZN7rocprim17ROCPRIM_400000_NS6detail17trampoline_kernelINS0_14default_configENS1_25partition_config_selectorILNS1_17partition_subalgoE6EsNS0_10empty_typeEbEEZZNS1_14partition_implILS5_6ELb0ES3_mN6thrust23THRUST_200600_302600_NS6detail15normal_iteratorINSA_10device_ptrIsEEEEPS6_SG_NS0_5tupleIJSF_S6_EEENSH_IJSG_SG_EEES6_PlJNSB_9not_fun_tINSB_10functional5actorINSM_9compositeIJNSM_27transparent_binary_operatorINSA_8equal_toIvEEEENSN_INSM_8argumentILj0EEEEENSM_5valueIsEEEEEEEEEEEE10hipError_tPvRmT3_T4_T5_T6_T7_T9_mT8_P12ihipStream_tbDpT10_ENKUlT_T0_E_clISt17integral_constantIbLb0EES1K_EEDaS1F_S1G_EUlS1F_E_NS1_11comp_targetILNS1_3genE4ELNS1_11target_archE910ELNS1_3gpuE8ELNS1_3repE0EEENS1_30default_config_static_selectorELNS0_4arch9wavefront6targetE0EEEvT1_.uses_vcc, 0
	.set _ZN7rocprim17ROCPRIM_400000_NS6detail17trampoline_kernelINS0_14default_configENS1_25partition_config_selectorILNS1_17partition_subalgoE6EsNS0_10empty_typeEbEEZZNS1_14partition_implILS5_6ELb0ES3_mN6thrust23THRUST_200600_302600_NS6detail15normal_iteratorINSA_10device_ptrIsEEEEPS6_SG_NS0_5tupleIJSF_S6_EEENSH_IJSG_SG_EEES6_PlJNSB_9not_fun_tINSB_10functional5actorINSM_9compositeIJNSM_27transparent_binary_operatorINSA_8equal_toIvEEEENSN_INSM_8argumentILj0EEEEENSM_5valueIsEEEEEEEEEEEE10hipError_tPvRmT3_T4_T5_T6_T7_T9_mT8_P12ihipStream_tbDpT10_ENKUlT_T0_E_clISt17integral_constantIbLb0EES1K_EEDaS1F_S1G_EUlS1F_E_NS1_11comp_targetILNS1_3genE4ELNS1_11target_archE910ELNS1_3gpuE8ELNS1_3repE0EEENS1_30default_config_static_selectorELNS0_4arch9wavefront6targetE0EEEvT1_.uses_flat_scratch, 0
	.set _ZN7rocprim17ROCPRIM_400000_NS6detail17trampoline_kernelINS0_14default_configENS1_25partition_config_selectorILNS1_17partition_subalgoE6EsNS0_10empty_typeEbEEZZNS1_14partition_implILS5_6ELb0ES3_mN6thrust23THRUST_200600_302600_NS6detail15normal_iteratorINSA_10device_ptrIsEEEEPS6_SG_NS0_5tupleIJSF_S6_EEENSH_IJSG_SG_EEES6_PlJNSB_9not_fun_tINSB_10functional5actorINSM_9compositeIJNSM_27transparent_binary_operatorINSA_8equal_toIvEEEENSN_INSM_8argumentILj0EEEEENSM_5valueIsEEEEEEEEEEEE10hipError_tPvRmT3_T4_T5_T6_T7_T9_mT8_P12ihipStream_tbDpT10_ENKUlT_T0_E_clISt17integral_constantIbLb0EES1K_EEDaS1F_S1G_EUlS1F_E_NS1_11comp_targetILNS1_3genE4ELNS1_11target_archE910ELNS1_3gpuE8ELNS1_3repE0EEENS1_30default_config_static_selectorELNS0_4arch9wavefront6targetE0EEEvT1_.has_dyn_sized_stack, 0
	.set _ZN7rocprim17ROCPRIM_400000_NS6detail17trampoline_kernelINS0_14default_configENS1_25partition_config_selectorILNS1_17partition_subalgoE6EsNS0_10empty_typeEbEEZZNS1_14partition_implILS5_6ELb0ES3_mN6thrust23THRUST_200600_302600_NS6detail15normal_iteratorINSA_10device_ptrIsEEEEPS6_SG_NS0_5tupleIJSF_S6_EEENSH_IJSG_SG_EEES6_PlJNSB_9not_fun_tINSB_10functional5actorINSM_9compositeIJNSM_27transparent_binary_operatorINSA_8equal_toIvEEEENSN_INSM_8argumentILj0EEEEENSM_5valueIsEEEEEEEEEEEE10hipError_tPvRmT3_T4_T5_T6_T7_T9_mT8_P12ihipStream_tbDpT10_ENKUlT_T0_E_clISt17integral_constantIbLb0EES1K_EEDaS1F_S1G_EUlS1F_E_NS1_11comp_targetILNS1_3genE4ELNS1_11target_archE910ELNS1_3gpuE8ELNS1_3repE0EEENS1_30default_config_static_selectorELNS0_4arch9wavefront6targetE0EEEvT1_.has_recursion, 0
	.set _ZN7rocprim17ROCPRIM_400000_NS6detail17trampoline_kernelINS0_14default_configENS1_25partition_config_selectorILNS1_17partition_subalgoE6EsNS0_10empty_typeEbEEZZNS1_14partition_implILS5_6ELb0ES3_mN6thrust23THRUST_200600_302600_NS6detail15normal_iteratorINSA_10device_ptrIsEEEEPS6_SG_NS0_5tupleIJSF_S6_EEENSH_IJSG_SG_EEES6_PlJNSB_9not_fun_tINSB_10functional5actorINSM_9compositeIJNSM_27transparent_binary_operatorINSA_8equal_toIvEEEENSN_INSM_8argumentILj0EEEEENSM_5valueIsEEEEEEEEEEEE10hipError_tPvRmT3_T4_T5_T6_T7_T9_mT8_P12ihipStream_tbDpT10_ENKUlT_T0_E_clISt17integral_constantIbLb0EES1K_EEDaS1F_S1G_EUlS1F_E_NS1_11comp_targetILNS1_3genE4ELNS1_11target_archE910ELNS1_3gpuE8ELNS1_3repE0EEENS1_30default_config_static_selectorELNS0_4arch9wavefront6targetE0EEEvT1_.has_indirect_call, 0
	.section	.AMDGPU.csdata,"",@progbits
; Kernel info:
; codeLenInByte = 0
; TotalNumSgprs: 0
; NumVgprs: 0
; ScratchSize: 0
; MemoryBound: 0
; FloatMode: 240
; IeeeMode: 1
; LDSByteSize: 0 bytes/workgroup (compile time only)
; SGPRBlocks: 0
; VGPRBlocks: 0
; NumSGPRsForWavesPerEU: 1
; NumVGPRsForWavesPerEU: 1
; Occupancy: 16
; WaveLimiterHint : 0
; COMPUTE_PGM_RSRC2:SCRATCH_EN: 0
; COMPUTE_PGM_RSRC2:USER_SGPR: 2
; COMPUTE_PGM_RSRC2:TRAP_HANDLER: 0
; COMPUTE_PGM_RSRC2:TGID_X_EN: 1
; COMPUTE_PGM_RSRC2:TGID_Y_EN: 0
; COMPUTE_PGM_RSRC2:TGID_Z_EN: 0
; COMPUTE_PGM_RSRC2:TIDIG_COMP_CNT: 0
	.section	.text._ZN7rocprim17ROCPRIM_400000_NS6detail17trampoline_kernelINS0_14default_configENS1_25partition_config_selectorILNS1_17partition_subalgoE6EsNS0_10empty_typeEbEEZZNS1_14partition_implILS5_6ELb0ES3_mN6thrust23THRUST_200600_302600_NS6detail15normal_iteratorINSA_10device_ptrIsEEEEPS6_SG_NS0_5tupleIJSF_S6_EEENSH_IJSG_SG_EEES6_PlJNSB_9not_fun_tINSB_10functional5actorINSM_9compositeIJNSM_27transparent_binary_operatorINSA_8equal_toIvEEEENSN_INSM_8argumentILj0EEEEENSM_5valueIsEEEEEEEEEEEE10hipError_tPvRmT3_T4_T5_T6_T7_T9_mT8_P12ihipStream_tbDpT10_ENKUlT_T0_E_clISt17integral_constantIbLb0EES1K_EEDaS1F_S1G_EUlS1F_E_NS1_11comp_targetILNS1_3genE3ELNS1_11target_archE908ELNS1_3gpuE7ELNS1_3repE0EEENS1_30default_config_static_selectorELNS0_4arch9wavefront6targetE0EEEvT1_,"axG",@progbits,_ZN7rocprim17ROCPRIM_400000_NS6detail17trampoline_kernelINS0_14default_configENS1_25partition_config_selectorILNS1_17partition_subalgoE6EsNS0_10empty_typeEbEEZZNS1_14partition_implILS5_6ELb0ES3_mN6thrust23THRUST_200600_302600_NS6detail15normal_iteratorINSA_10device_ptrIsEEEEPS6_SG_NS0_5tupleIJSF_S6_EEENSH_IJSG_SG_EEES6_PlJNSB_9not_fun_tINSB_10functional5actorINSM_9compositeIJNSM_27transparent_binary_operatorINSA_8equal_toIvEEEENSN_INSM_8argumentILj0EEEEENSM_5valueIsEEEEEEEEEEEE10hipError_tPvRmT3_T4_T5_T6_T7_T9_mT8_P12ihipStream_tbDpT10_ENKUlT_T0_E_clISt17integral_constantIbLb0EES1K_EEDaS1F_S1G_EUlS1F_E_NS1_11comp_targetILNS1_3genE3ELNS1_11target_archE908ELNS1_3gpuE7ELNS1_3repE0EEENS1_30default_config_static_selectorELNS0_4arch9wavefront6targetE0EEEvT1_,comdat
	.protected	_ZN7rocprim17ROCPRIM_400000_NS6detail17trampoline_kernelINS0_14default_configENS1_25partition_config_selectorILNS1_17partition_subalgoE6EsNS0_10empty_typeEbEEZZNS1_14partition_implILS5_6ELb0ES3_mN6thrust23THRUST_200600_302600_NS6detail15normal_iteratorINSA_10device_ptrIsEEEEPS6_SG_NS0_5tupleIJSF_S6_EEENSH_IJSG_SG_EEES6_PlJNSB_9not_fun_tINSB_10functional5actorINSM_9compositeIJNSM_27transparent_binary_operatorINSA_8equal_toIvEEEENSN_INSM_8argumentILj0EEEEENSM_5valueIsEEEEEEEEEEEE10hipError_tPvRmT3_T4_T5_T6_T7_T9_mT8_P12ihipStream_tbDpT10_ENKUlT_T0_E_clISt17integral_constantIbLb0EES1K_EEDaS1F_S1G_EUlS1F_E_NS1_11comp_targetILNS1_3genE3ELNS1_11target_archE908ELNS1_3gpuE7ELNS1_3repE0EEENS1_30default_config_static_selectorELNS0_4arch9wavefront6targetE0EEEvT1_ ; -- Begin function _ZN7rocprim17ROCPRIM_400000_NS6detail17trampoline_kernelINS0_14default_configENS1_25partition_config_selectorILNS1_17partition_subalgoE6EsNS0_10empty_typeEbEEZZNS1_14partition_implILS5_6ELb0ES3_mN6thrust23THRUST_200600_302600_NS6detail15normal_iteratorINSA_10device_ptrIsEEEEPS6_SG_NS0_5tupleIJSF_S6_EEENSH_IJSG_SG_EEES6_PlJNSB_9not_fun_tINSB_10functional5actorINSM_9compositeIJNSM_27transparent_binary_operatorINSA_8equal_toIvEEEENSN_INSM_8argumentILj0EEEEENSM_5valueIsEEEEEEEEEEEE10hipError_tPvRmT3_T4_T5_T6_T7_T9_mT8_P12ihipStream_tbDpT10_ENKUlT_T0_E_clISt17integral_constantIbLb0EES1K_EEDaS1F_S1G_EUlS1F_E_NS1_11comp_targetILNS1_3genE3ELNS1_11target_archE908ELNS1_3gpuE7ELNS1_3repE0EEENS1_30default_config_static_selectorELNS0_4arch9wavefront6targetE0EEEvT1_
	.globl	_ZN7rocprim17ROCPRIM_400000_NS6detail17trampoline_kernelINS0_14default_configENS1_25partition_config_selectorILNS1_17partition_subalgoE6EsNS0_10empty_typeEbEEZZNS1_14partition_implILS5_6ELb0ES3_mN6thrust23THRUST_200600_302600_NS6detail15normal_iteratorINSA_10device_ptrIsEEEEPS6_SG_NS0_5tupleIJSF_S6_EEENSH_IJSG_SG_EEES6_PlJNSB_9not_fun_tINSB_10functional5actorINSM_9compositeIJNSM_27transparent_binary_operatorINSA_8equal_toIvEEEENSN_INSM_8argumentILj0EEEEENSM_5valueIsEEEEEEEEEEEE10hipError_tPvRmT3_T4_T5_T6_T7_T9_mT8_P12ihipStream_tbDpT10_ENKUlT_T0_E_clISt17integral_constantIbLb0EES1K_EEDaS1F_S1G_EUlS1F_E_NS1_11comp_targetILNS1_3genE3ELNS1_11target_archE908ELNS1_3gpuE7ELNS1_3repE0EEENS1_30default_config_static_selectorELNS0_4arch9wavefront6targetE0EEEvT1_
	.p2align	8
	.type	_ZN7rocprim17ROCPRIM_400000_NS6detail17trampoline_kernelINS0_14default_configENS1_25partition_config_selectorILNS1_17partition_subalgoE6EsNS0_10empty_typeEbEEZZNS1_14partition_implILS5_6ELb0ES3_mN6thrust23THRUST_200600_302600_NS6detail15normal_iteratorINSA_10device_ptrIsEEEEPS6_SG_NS0_5tupleIJSF_S6_EEENSH_IJSG_SG_EEES6_PlJNSB_9not_fun_tINSB_10functional5actorINSM_9compositeIJNSM_27transparent_binary_operatorINSA_8equal_toIvEEEENSN_INSM_8argumentILj0EEEEENSM_5valueIsEEEEEEEEEEEE10hipError_tPvRmT3_T4_T5_T6_T7_T9_mT8_P12ihipStream_tbDpT10_ENKUlT_T0_E_clISt17integral_constantIbLb0EES1K_EEDaS1F_S1G_EUlS1F_E_NS1_11comp_targetILNS1_3genE3ELNS1_11target_archE908ELNS1_3gpuE7ELNS1_3repE0EEENS1_30default_config_static_selectorELNS0_4arch9wavefront6targetE0EEEvT1_,@function
_ZN7rocprim17ROCPRIM_400000_NS6detail17trampoline_kernelINS0_14default_configENS1_25partition_config_selectorILNS1_17partition_subalgoE6EsNS0_10empty_typeEbEEZZNS1_14partition_implILS5_6ELb0ES3_mN6thrust23THRUST_200600_302600_NS6detail15normal_iteratorINSA_10device_ptrIsEEEEPS6_SG_NS0_5tupleIJSF_S6_EEENSH_IJSG_SG_EEES6_PlJNSB_9not_fun_tINSB_10functional5actorINSM_9compositeIJNSM_27transparent_binary_operatorINSA_8equal_toIvEEEENSN_INSM_8argumentILj0EEEEENSM_5valueIsEEEEEEEEEEEE10hipError_tPvRmT3_T4_T5_T6_T7_T9_mT8_P12ihipStream_tbDpT10_ENKUlT_T0_E_clISt17integral_constantIbLb0EES1K_EEDaS1F_S1G_EUlS1F_E_NS1_11comp_targetILNS1_3genE3ELNS1_11target_archE908ELNS1_3gpuE7ELNS1_3repE0EEENS1_30default_config_static_selectorELNS0_4arch9wavefront6targetE0EEEvT1_: ; @_ZN7rocprim17ROCPRIM_400000_NS6detail17trampoline_kernelINS0_14default_configENS1_25partition_config_selectorILNS1_17partition_subalgoE6EsNS0_10empty_typeEbEEZZNS1_14partition_implILS5_6ELb0ES3_mN6thrust23THRUST_200600_302600_NS6detail15normal_iteratorINSA_10device_ptrIsEEEEPS6_SG_NS0_5tupleIJSF_S6_EEENSH_IJSG_SG_EEES6_PlJNSB_9not_fun_tINSB_10functional5actorINSM_9compositeIJNSM_27transparent_binary_operatorINSA_8equal_toIvEEEENSN_INSM_8argumentILj0EEEEENSM_5valueIsEEEEEEEEEEEE10hipError_tPvRmT3_T4_T5_T6_T7_T9_mT8_P12ihipStream_tbDpT10_ENKUlT_T0_E_clISt17integral_constantIbLb0EES1K_EEDaS1F_S1G_EUlS1F_E_NS1_11comp_targetILNS1_3genE3ELNS1_11target_archE908ELNS1_3gpuE7ELNS1_3repE0EEENS1_30default_config_static_selectorELNS0_4arch9wavefront6targetE0EEEvT1_
; %bb.0:
	.section	.rodata,"a",@progbits
	.p2align	6, 0x0
	.amdhsa_kernel _ZN7rocprim17ROCPRIM_400000_NS6detail17trampoline_kernelINS0_14default_configENS1_25partition_config_selectorILNS1_17partition_subalgoE6EsNS0_10empty_typeEbEEZZNS1_14partition_implILS5_6ELb0ES3_mN6thrust23THRUST_200600_302600_NS6detail15normal_iteratorINSA_10device_ptrIsEEEEPS6_SG_NS0_5tupleIJSF_S6_EEENSH_IJSG_SG_EEES6_PlJNSB_9not_fun_tINSB_10functional5actorINSM_9compositeIJNSM_27transparent_binary_operatorINSA_8equal_toIvEEEENSN_INSM_8argumentILj0EEEEENSM_5valueIsEEEEEEEEEEEE10hipError_tPvRmT3_T4_T5_T6_T7_T9_mT8_P12ihipStream_tbDpT10_ENKUlT_T0_E_clISt17integral_constantIbLb0EES1K_EEDaS1F_S1G_EUlS1F_E_NS1_11comp_targetILNS1_3genE3ELNS1_11target_archE908ELNS1_3gpuE7ELNS1_3repE0EEENS1_30default_config_static_selectorELNS0_4arch9wavefront6targetE0EEEvT1_
		.amdhsa_group_segment_fixed_size 0
		.amdhsa_private_segment_fixed_size 0
		.amdhsa_kernarg_size 120
		.amdhsa_user_sgpr_count 2
		.amdhsa_user_sgpr_dispatch_ptr 0
		.amdhsa_user_sgpr_queue_ptr 0
		.amdhsa_user_sgpr_kernarg_segment_ptr 1
		.amdhsa_user_sgpr_dispatch_id 0
		.amdhsa_user_sgpr_private_segment_size 0
		.amdhsa_wavefront_size32 1
		.amdhsa_uses_dynamic_stack 0
		.amdhsa_enable_private_segment 0
		.amdhsa_system_sgpr_workgroup_id_x 1
		.amdhsa_system_sgpr_workgroup_id_y 0
		.amdhsa_system_sgpr_workgroup_id_z 0
		.amdhsa_system_sgpr_workgroup_info 0
		.amdhsa_system_vgpr_workitem_id 0
		.amdhsa_next_free_vgpr 1
		.amdhsa_next_free_sgpr 1
		.amdhsa_reserve_vcc 0
		.amdhsa_float_round_mode_32 0
		.amdhsa_float_round_mode_16_64 0
		.amdhsa_float_denorm_mode_32 3
		.amdhsa_float_denorm_mode_16_64 3
		.amdhsa_fp16_overflow 0
		.amdhsa_workgroup_processor_mode 1
		.amdhsa_memory_ordered 1
		.amdhsa_forward_progress 1
		.amdhsa_inst_pref_size 0
		.amdhsa_round_robin_scheduling 0
		.amdhsa_exception_fp_ieee_invalid_op 0
		.amdhsa_exception_fp_denorm_src 0
		.amdhsa_exception_fp_ieee_div_zero 0
		.amdhsa_exception_fp_ieee_overflow 0
		.amdhsa_exception_fp_ieee_underflow 0
		.amdhsa_exception_fp_ieee_inexact 0
		.amdhsa_exception_int_div_zero 0
	.end_amdhsa_kernel
	.section	.text._ZN7rocprim17ROCPRIM_400000_NS6detail17trampoline_kernelINS0_14default_configENS1_25partition_config_selectorILNS1_17partition_subalgoE6EsNS0_10empty_typeEbEEZZNS1_14partition_implILS5_6ELb0ES3_mN6thrust23THRUST_200600_302600_NS6detail15normal_iteratorINSA_10device_ptrIsEEEEPS6_SG_NS0_5tupleIJSF_S6_EEENSH_IJSG_SG_EEES6_PlJNSB_9not_fun_tINSB_10functional5actorINSM_9compositeIJNSM_27transparent_binary_operatorINSA_8equal_toIvEEEENSN_INSM_8argumentILj0EEEEENSM_5valueIsEEEEEEEEEEEE10hipError_tPvRmT3_T4_T5_T6_T7_T9_mT8_P12ihipStream_tbDpT10_ENKUlT_T0_E_clISt17integral_constantIbLb0EES1K_EEDaS1F_S1G_EUlS1F_E_NS1_11comp_targetILNS1_3genE3ELNS1_11target_archE908ELNS1_3gpuE7ELNS1_3repE0EEENS1_30default_config_static_selectorELNS0_4arch9wavefront6targetE0EEEvT1_,"axG",@progbits,_ZN7rocprim17ROCPRIM_400000_NS6detail17trampoline_kernelINS0_14default_configENS1_25partition_config_selectorILNS1_17partition_subalgoE6EsNS0_10empty_typeEbEEZZNS1_14partition_implILS5_6ELb0ES3_mN6thrust23THRUST_200600_302600_NS6detail15normal_iteratorINSA_10device_ptrIsEEEEPS6_SG_NS0_5tupleIJSF_S6_EEENSH_IJSG_SG_EEES6_PlJNSB_9not_fun_tINSB_10functional5actorINSM_9compositeIJNSM_27transparent_binary_operatorINSA_8equal_toIvEEEENSN_INSM_8argumentILj0EEEEENSM_5valueIsEEEEEEEEEEEE10hipError_tPvRmT3_T4_T5_T6_T7_T9_mT8_P12ihipStream_tbDpT10_ENKUlT_T0_E_clISt17integral_constantIbLb0EES1K_EEDaS1F_S1G_EUlS1F_E_NS1_11comp_targetILNS1_3genE3ELNS1_11target_archE908ELNS1_3gpuE7ELNS1_3repE0EEENS1_30default_config_static_selectorELNS0_4arch9wavefront6targetE0EEEvT1_,comdat
.Lfunc_end247:
	.size	_ZN7rocprim17ROCPRIM_400000_NS6detail17trampoline_kernelINS0_14default_configENS1_25partition_config_selectorILNS1_17partition_subalgoE6EsNS0_10empty_typeEbEEZZNS1_14partition_implILS5_6ELb0ES3_mN6thrust23THRUST_200600_302600_NS6detail15normal_iteratorINSA_10device_ptrIsEEEEPS6_SG_NS0_5tupleIJSF_S6_EEENSH_IJSG_SG_EEES6_PlJNSB_9not_fun_tINSB_10functional5actorINSM_9compositeIJNSM_27transparent_binary_operatorINSA_8equal_toIvEEEENSN_INSM_8argumentILj0EEEEENSM_5valueIsEEEEEEEEEEEE10hipError_tPvRmT3_T4_T5_T6_T7_T9_mT8_P12ihipStream_tbDpT10_ENKUlT_T0_E_clISt17integral_constantIbLb0EES1K_EEDaS1F_S1G_EUlS1F_E_NS1_11comp_targetILNS1_3genE3ELNS1_11target_archE908ELNS1_3gpuE7ELNS1_3repE0EEENS1_30default_config_static_selectorELNS0_4arch9wavefront6targetE0EEEvT1_, .Lfunc_end247-_ZN7rocprim17ROCPRIM_400000_NS6detail17trampoline_kernelINS0_14default_configENS1_25partition_config_selectorILNS1_17partition_subalgoE6EsNS0_10empty_typeEbEEZZNS1_14partition_implILS5_6ELb0ES3_mN6thrust23THRUST_200600_302600_NS6detail15normal_iteratorINSA_10device_ptrIsEEEEPS6_SG_NS0_5tupleIJSF_S6_EEENSH_IJSG_SG_EEES6_PlJNSB_9not_fun_tINSB_10functional5actorINSM_9compositeIJNSM_27transparent_binary_operatorINSA_8equal_toIvEEEENSN_INSM_8argumentILj0EEEEENSM_5valueIsEEEEEEEEEEEE10hipError_tPvRmT3_T4_T5_T6_T7_T9_mT8_P12ihipStream_tbDpT10_ENKUlT_T0_E_clISt17integral_constantIbLb0EES1K_EEDaS1F_S1G_EUlS1F_E_NS1_11comp_targetILNS1_3genE3ELNS1_11target_archE908ELNS1_3gpuE7ELNS1_3repE0EEENS1_30default_config_static_selectorELNS0_4arch9wavefront6targetE0EEEvT1_
                                        ; -- End function
	.set _ZN7rocprim17ROCPRIM_400000_NS6detail17trampoline_kernelINS0_14default_configENS1_25partition_config_selectorILNS1_17partition_subalgoE6EsNS0_10empty_typeEbEEZZNS1_14partition_implILS5_6ELb0ES3_mN6thrust23THRUST_200600_302600_NS6detail15normal_iteratorINSA_10device_ptrIsEEEEPS6_SG_NS0_5tupleIJSF_S6_EEENSH_IJSG_SG_EEES6_PlJNSB_9not_fun_tINSB_10functional5actorINSM_9compositeIJNSM_27transparent_binary_operatorINSA_8equal_toIvEEEENSN_INSM_8argumentILj0EEEEENSM_5valueIsEEEEEEEEEEEE10hipError_tPvRmT3_T4_T5_T6_T7_T9_mT8_P12ihipStream_tbDpT10_ENKUlT_T0_E_clISt17integral_constantIbLb0EES1K_EEDaS1F_S1G_EUlS1F_E_NS1_11comp_targetILNS1_3genE3ELNS1_11target_archE908ELNS1_3gpuE7ELNS1_3repE0EEENS1_30default_config_static_selectorELNS0_4arch9wavefront6targetE0EEEvT1_.num_vgpr, 0
	.set _ZN7rocprim17ROCPRIM_400000_NS6detail17trampoline_kernelINS0_14default_configENS1_25partition_config_selectorILNS1_17partition_subalgoE6EsNS0_10empty_typeEbEEZZNS1_14partition_implILS5_6ELb0ES3_mN6thrust23THRUST_200600_302600_NS6detail15normal_iteratorINSA_10device_ptrIsEEEEPS6_SG_NS0_5tupleIJSF_S6_EEENSH_IJSG_SG_EEES6_PlJNSB_9not_fun_tINSB_10functional5actorINSM_9compositeIJNSM_27transparent_binary_operatorINSA_8equal_toIvEEEENSN_INSM_8argumentILj0EEEEENSM_5valueIsEEEEEEEEEEEE10hipError_tPvRmT3_T4_T5_T6_T7_T9_mT8_P12ihipStream_tbDpT10_ENKUlT_T0_E_clISt17integral_constantIbLb0EES1K_EEDaS1F_S1G_EUlS1F_E_NS1_11comp_targetILNS1_3genE3ELNS1_11target_archE908ELNS1_3gpuE7ELNS1_3repE0EEENS1_30default_config_static_selectorELNS0_4arch9wavefront6targetE0EEEvT1_.num_agpr, 0
	.set _ZN7rocprim17ROCPRIM_400000_NS6detail17trampoline_kernelINS0_14default_configENS1_25partition_config_selectorILNS1_17partition_subalgoE6EsNS0_10empty_typeEbEEZZNS1_14partition_implILS5_6ELb0ES3_mN6thrust23THRUST_200600_302600_NS6detail15normal_iteratorINSA_10device_ptrIsEEEEPS6_SG_NS0_5tupleIJSF_S6_EEENSH_IJSG_SG_EEES6_PlJNSB_9not_fun_tINSB_10functional5actorINSM_9compositeIJNSM_27transparent_binary_operatorINSA_8equal_toIvEEEENSN_INSM_8argumentILj0EEEEENSM_5valueIsEEEEEEEEEEEE10hipError_tPvRmT3_T4_T5_T6_T7_T9_mT8_P12ihipStream_tbDpT10_ENKUlT_T0_E_clISt17integral_constantIbLb0EES1K_EEDaS1F_S1G_EUlS1F_E_NS1_11comp_targetILNS1_3genE3ELNS1_11target_archE908ELNS1_3gpuE7ELNS1_3repE0EEENS1_30default_config_static_selectorELNS0_4arch9wavefront6targetE0EEEvT1_.numbered_sgpr, 0
	.set _ZN7rocprim17ROCPRIM_400000_NS6detail17trampoline_kernelINS0_14default_configENS1_25partition_config_selectorILNS1_17partition_subalgoE6EsNS0_10empty_typeEbEEZZNS1_14partition_implILS5_6ELb0ES3_mN6thrust23THRUST_200600_302600_NS6detail15normal_iteratorINSA_10device_ptrIsEEEEPS6_SG_NS0_5tupleIJSF_S6_EEENSH_IJSG_SG_EEES6_PlJNSB_9not_fun_tINSB_10functional5actorINSM_9compositeIJNSM_27transparent_binary_operatorINSA_8equal_toIvEEEENSN_INSM_8argumentILj0EEEEENSM_5valueIsEEEEEEEEEEEE10hipError_tPvRmT3_T4_T5_T6_T7_T9_mT8_P12ihipStream_tbDpT10_ENKUlT_T0_E_clISt17integral_constantIbLb0EES1K_EEDaS1F_S1G_EUlS1F_E_NS1_11comp_targetILNS1_3genE3ELNS1_11target_archE908ELNS1_3gpuE7ELNS1_3repE0EEENS1_30default_config_static_selectorELNS0_4arch9wavefront6targetE0EEEvT1_.num_named_barrier, 0
	.set _ZN7rocprim17ROCPRIM_400000_NS6detail17trampoline_kernelINS0_14default_configENS1_25partition_config_selectorILNS1_17partition_subalgoE6EsNS0_10empty_typeEbEEZZNS1_14partition_implILS5_6ELb0ES3_mN6thrust23THRUST_200600_302600_NS6detail15normal_iteratorINSA_10device_ptrIsEEEEPS6_SG_NS0_5tupleIJSF_S6_EEENSH_IJSG_SG_EEES6_PlJNSB_9not_fun_tINSB_10functional5actorINSM_9compositeIJNSM_27transparent_binary_operatorINSA_8equal_toIvEEEENSN_INSM_8argumentILj0EEEEENSM_5valueIsEEEEEEEEEEEE10hipError_tPvRmT3_T4_T5_T6_T7_T9_mT8_P12ihipStream_tbDpT10_ENKUlT_T0_E_clISt17integral_constantIbLb0EES1K_EEDaS1F_S1G_EUlS1F_E_NS1_11comp_targetILNS1_3genE3ELNS1_11target_archE908ELNS1_3gpuE7ELNS1_3repE0EEENS1_30default_config_static_selectorELNS0_4arch9wavefront6targetE0EEEvT1_.private_seg_size, 0
	.set _ZN7rocprim17ROCPRIM_400000_NS6detail17trampoline_kernelINS0_14default_configENS1_25partition_config_selectorILNS1_17partition_subalgoE6EsNS0_10empty_typeEbEEZZNS1_14partition_implILS5_6ELb0ES3_mN6thrust23THRUST_200600_302600_NS6detail15normal_iteratorINSA_10device_ptrIsEEEEPS6_SG_NS0_5tupleIJSF_S6_EEENSH_IJSG_SG_EEES6_PlJNSB_9not_fun_tINSB_10functional5actorINSM_9compositeIJNSM_27transparent_binary_operatorINSA_8equal_toIvEEEENSN_INSM_8argumentILj0EEEEENSM_5valueIsEEEEEEEEEEEE10hipError_tPvRmT3_T4_T5_T6_T7_T9_mT8_P12ihipStream_tbDpT10_ENKUlT_T0_E_clISt17integral_constantIbLb0EES1K_EEDaS1F_S1G_EUlS1F_E_NS1_11comp_targetILNS1_3genE3ELNS1_11target_archE908ELNS1_3gpuE7ELNS1_3repE0EEENS1_30default_config_static_selectorELNS0_4arch9wavefront6targetE0EEEvT1_.uses_vcc, 0
	.set _ZN7rocprim17ROCPRIM_400000_NS6detail17trampoline_kernelINS0_14default_configENS1_25partition_config_selectorILNS1_17partition_subalgoE6EsNS0_10empty_typeEbEEZZNS1_14partition_implILS5_6ELb0ES3_mN6thrust23THRUST_200600_302600_NS6detail15normal_iteratorINSA_10device_ptrIsEEEEPS6_SG_NS0_5tupleIJSF_S6_EEENSH_IJSG_SG_EEES6_PlJNSB_9not_fun_tINSB_10functional5actorINSM_9compositeIJNSM_27transparent_binary_operatorINSA_8equal_toIvEEEENSN_INSM_8argumentILj0EEEEENSM_5valueIsEEEEEEEEEEEE10hipError_tPvRmT3_T4_T5_T6_T7_T9_mT8_P12ihipStream_tbDpT10_ENKUlT_T0_E_clISt17integral_constantIbLb0EES1K_EEDaS1F_S1G_EUlS1F_E_NS1_11comp_targetILNS1_3genE3ELNS1_11target_archE908ELNS1_3gpuE7ELNS1_3repE0EEENS1_30default_config_static_selectorELNS0_4arch9wavefront6targetE0EEEvT1_.uses_flat_scratch, 0
	.set _ZN7rocprim17ROCPRIM_400000_NS6detail17trampoline_kernelINS0_14default_configENS1_25partition_config_selectorILNS1_17partition_subalgoE6EsNS0_10empty_typeEbEEZZNS1_14partition_implILS5_6ELb0ES3_mN6thrust23THRUST_200600_302600_NS6detail15normal_iteratorINSA_10device_ptrIsEEEEPS6_SG_NS0_5tupleIJSF_S6_EEENSH_IJSG_SG_EEES6_PlJNSB_9not_fun_tINSB_10functional5actorINSM_9compositeIJNSM_27transparent_binary_operatorINSA_8equal_toIvEEEENSN_INSM_8argumentILj0EEEEENSM_5valueIsEEEEEEEEEEEE10hipError_tPvRmT3_T4_T5_T6_T7_T9_mT8_P12ihipStream_tbDpT10_ENKUlT_T0_E_clISt17integral_constantIbLb0EES1K_EEDaS1F_S1G_EUlS1F_E_NS1_11comp_targetILNS1_3genE3ELNS1_11target_archE908ELNS1_3gpuE7ELNS1_3repE0EEENS1_30default_config_static_selectorELNS0_4arch9wavefront6targetE0EEEvT1_.has_dyn_sized_stack, 0
	.set _ZN7rocprim17ROCPRIM_400000_NS6detail17trampoline_kernelINS0_14default_configENS1_25partition_config_selectorILNS1_17partition_subalgoE6EsNS0_10empty_typeEbEEZZNS1_14partition_implILS5_6ELb0ES3_mN6thrust23THRUST_200600_302600_NS6detail15normal_iteratorINSA_10device_ptrIsEEEEPS6_SG_NS0_5tupleIJSF_S6_EEENSH_IJSG_SG_EEES6_PlJNSB_9not_fun_tINSB_10functional5actorINSM_9compositeIJNSM_27transparent_binary_operatorINSA_8equal_toIvEEEENSN_INSM_8argumentILj0EEEEENSM_5valueIsEEEEEEEEEEEE10hipError_tPvRmT3_T4_T5_T6_T7_T9_mT8_P12ihipStream_tbDpT10_ENKUlT_T0_E_clISt17integral_constantIbLb0EES1K_EEDaS1F_S1G_EUlS1F_E_NS1_11comp_targetILNS1_3genE3ELNS1_11target_archE908ELNS1_3gpuE7ELNS1_3repE0EEENS1_30default_config_static_selectorELNS0_4arch9wavefront6targetE0EEEvT1_.has_recursion, 0
	.set _ZN7rocprim17ROCPRIM_400000_NS6detail17trampoline_kernelINS0_14default_configENS1_25partition_config_selectorILNS1_17partition_subalgoE6EsNS0_10empty_typeEbEEZZNS1_14partition_implILS5_6ELb0ES3_mN6thrust23THRUST_200600_302600_NS6detail15normal_iteratorINSA_10device_ptrIsEEEEPS6_SG_NS0_5tupleIJSF_S6_EEENSH_IJSG_SG_EEES6_PlJNSB_9not_fun_tINSB_10functional5actorINSM_9compositeIJNSM_27transparent_binary_operatorINSA_8equal_toIvEEEENSN_INSM_8argumentILj0EEEEENSM_5valueIsEEEEEEEEEEEE10hipError_tPvRmT3_T4_T5_T6_T7_T9_mT8_P12ihipStream_tbDpT10_ENKUlT_T0_E_clISt17integral_constantIbLb0EES1K_EEDaS1F_S1G_EUlS1F_E_NS1_11comp_targetILNS1_3genE3ELNS1_11target_archE908ELNS1_3gpuE7ELNS1_3repE0EEENS1_30default_config_static_selectorELNS0_4arch9wavefront6targetE0EEEvT1_.has_indirect_call, 0
	.section	.AMDGPU.csdata,"",@progbits
; Kernel info:
; codeLenInByte = 0
; TotalNumSgprs: 0
; NumVgprs: 0
; ScratchSize: 0
; MemoryBound: 0
; FloatMode: 240
; IeeeMode: 1
; LDSByteSize: 0 bytes/workgroup (compile time only)
; SGPRBlocks: 0
; VGPRBlocks: 0
; NumSGPRsForWavesPerEU: 1
; NumVGPRsForWavesPerEU: 1
; Occupancy: 16
; WaveLimiterHint : 0
; COMPUTE_PGM_RSRC2:SCRATCH_EN: 0
; COMPUTE_PGM_RSRC2:USER_SGPR: 2
; COMPUTE_PGM_RSRC2:TRAP_HANDLER: 0
; COMPUTE_PGM_RSRC2:TGID_X_EN: 1
; COMPUTE_PGM_RSRC2:TGID_Y_EN: 0
; COMPUTE_PGM_RSRC2:TGID_Z_EN: 0
; COMPUTE_PGM_RSRC2:TIDIG_COMP_CNT: 0
	.section	.text._ZN7rocprim17ROCPRIM_400000_NS6detail17trampoline_kernelINS0_14default_configENS1_25partition_config_selectorILNS1_17partition_subalgoE6EsNS0_10empty_typeEbEEZZNS1_14partition_implILS5_6ELb0ES3_mN6thrust23THRUST_200600_302600_NS6detail15normal_iteratorINSA_10device_ptrIsEEEEPS6_SG_NS0_5tupleIJSF_S6_EEENSH_IJSG_SG_EEES6_PlJNSB_9not_fun_tINSB_10functional5actorINSM_9compositeIJNSM_27transparent_binary_operatorINSA_8equal_toIvEEEENSN_INSM_8argumentILj0EEEEENSM_5valueIsEEEEEEEEEEEE10hipError_tPvRmT3_T4_T5_T6_T7_T9_mT8_P12ihipStream_tbDpT10_ENKUlT_T0_E_clISt17integral_constantIbLb0EES1K_EEDaS1F_S1G_EUlS1F_E_NS1_11comp_targetILNS1_3genE2ELNS1_11target_archE906ELNS1_3gpuE6ELNS1_3repE0EEENS1_30default_config_static_selectorELNS0_4arch9wavefront6targetE0EEEvT1_,"axG",@progbits,_ZN7rocprim17ROCPRIM_400000_NS6detail17trampoline_kernelINS0_14default_configENS1_25partition_config_selectorILNS1_17partition_subalgoE6EsNS0_10empty_typeEbEEZZNS1_14partition_implILS5_6ELb0ES3_mN6thrust23THRUST_200600_302600_NS6detail15normal_iteratorINSA_10device_ptrIsEEEEPS6_SG_NS0_5tupleIJSF_S6_EEENSH_IJSG_SG_EEES6_PlJNSB_9not_fun_tINSB_10functional5actorINSM_9compositeIJNSM_27transparent_binary_operatorINSA_8equal_toIvEEEENSN_INSM_8argumentILj0EEEEENSM_5valueIsEEEEEEEEEEEE10hipError_tPvRmT3_T4_T5_T6_T7_T9_mT8_P12ihipStream_tbDpT10_ENKUlT_T0_E_clISt17integral_constantIbLb0EES1K_EEDaS1F_S1G_EUlS1F_E_NS1_11comp_targetILNS1_3genE2ELNS1_11target_archE906ELNS1_3gpuE6ELNS1_3repE0EEENS1_30default_config_static_selectorELNS0_4arch9wavefront6targetE0EEEvT1_,comdat
	.protected	_ZN7rocprim17ROCPRIM_400000_NS6detail17trampoline_kernelINS0_14default_configENS1_25partition_config_selectorILNS1_17partition_subalgoE6EsNS0_10empty_typeEbEEZZNS1_14partition_implILS5_6ELb0ES3_mN6thrust23THRUST_200600_302600_NS6detail15normal_iteratorINSA_10device_ptrIsEEEEPS6_SG_NS0_5tupleIJSF_S6_EEENSH_IJSG_SG_EEES6_PlJNSB_9not_fun_tINSB_10functional5actorINSM_9compositeIJNSM_27transparent_binary_operatorINSA_8equal_toIvEEEENSN_INSM_8argumentILj0EEEEENSM_5valueIsEEEEEEEEEEEE10hipError_tPvRmT3_T4_T5_T6_T7_T9_mT8_P12ihipStream_tbDpT10_ENKUlT_T0_E_clISt17integral_constantIbLb0EES1K_EEDaS1F_S1G_EUlS1F_E_NS1_11comp_targetILNS1_3genE2ELNS1_11target_archE906ELNS1_3gpuE6ELNS1_3repE0EEENS1_30default_config_static_selectorELNS0_4arch9wavefront6targetE0EEEvT1_ ; -- Begin function _ZN7rocprim17ROCPRIM_400000_NS6detail17trampoline_kernelINS0_14default_configENS1_25partition_config_selectorILNS1_17partition_subalgoE6EsNS0_10empty_typeEbEEZZNS1_14partition_implILS5_6ELb0ES3_mN6thrust23THRUST_200600_302600_NS6detail15normal_iteratorINSA_10device_ptrIsEEEEPS6_SG_NS0_5tupleIJSF_S6_EEENSH_IJSG_SG_EEES6_PlJNSB_9not_fun_tINSB_10functional5actorINSM_9compositeIJNSM_27transparent_binary_operatorINSA_8equal_toIvEEEENSN_INSM_8argumentILj0EEEEENSM_5valueIsEEEEEEEEEEEE10hipError_tPvRmT3_T4_T5_T6_T7_T9_mT8_P12ihipStream_tbDpT10_ENKUlT_T0_E_clISt17integral_constantIbLb0EES1K_EEDaS1F_S1G_EUlS1F_E_NS1_11comp_targetILNS1_3genE2ELNS1_11target_archE906ELNS1_3gpuE6ELNS1_3repE0EEENS1_30default_config_static_selectorELNS0_4arch9wavefront6targetE0EEEvT1_
	.globl	_ZN7rocprim17ROCPRIM_400000_NS6detail17trampoline_kernelINS0_14default_configENS1_25partition_config_selectorILNS1_17partition_subalgoE6EsNS0_10empty_typeEbEEZZNS1_14partition_implILS5_6ELb0ES3_mN6thrust23THRUST_200600_302600_NS6detail15normal_iteratorINSA_10device_ptrIsEEEEPS6_SG_NS0_5tupleIJSF_S6_EEENSH_IJSG_SG_EEES6_PlJNSB_9not_fun_tINSB_10functional5actorINSM_9compositeIJNSM_27transparent_binary_operatorINSA_8equal_toIvEEEENSN_INSM_8argumentILj0EEEEENSM_5valueIsEEEEEEEEEEEE10hipError_tPvRmT3_T4_T5_T6_T7_T9_mT8_P12ihipStream_tbDpT10_ENKUlT_T0_E_clISt17integral_constantIbLb0EES1K_EEDaS1F_S1G_EUlS1F_E_NS1_11comp_targetILNS1_3genE2ELNS1_11target_archE906ELNS1_3gpuE6ELNS1_3repE0EEENS1_30default_config_static_selectorELNS0_4arch9wavefront6targetE0EEEvT1_
	.p2align	8
	.type	_ZN7rocprim17ROCPRIM_400000_NS6detail17trampoline_kernelINS0_14default_configENS1_25partition_config_selectorILNS1_17partition_subalgoE6EsNS0_10empty_typeEbEEZZNS1_14partition_implILS5_6ELb0ES3_mN6thrust23THRUST_200600_302600_NS6detail15normal_iteratorINSA_10device_ptrIsEEEEPS6_SG_NS0_5tupleIJSF_S6_EEENSH_IJSG_SG_EEES6_PlJNSB_9not_fun_tINSB_10functional5actorINSM_9compositeIJNSM_27transparent_binary_operatorINSA_8equal_toIvEEEENSN_INSM_8argumentILj0EEEEENSM_5valueIsEEEEEEEEEEEE10hipError_tPvRmT3_T4_T5_T6_T7_T9_mT8_P12ihipStream_tbDpT10_ENKUlT_T0_E_clISt17integral_constantIbLb0EES1K_EEDaS1F_S1G_EUlS1F_E_NS1_11comp_targetILNS1_3genE2ELNS1_11target_archE906ELNS1_3gpuE6ELNS1_3repE0EEENS1_30default_config_static_selectorELNS0_4arch9wavefront6targetE0EEEvT1_,@function
_ZN7rocprim17ROCPRIM_400000_NS6detail17trampoline_kernelINS0_14default_configENS1_25partition_config_selectorILNS1_17partition_subalgoE6EsNS0_10empty_typeEbEEZZNS1_14partition_implILS5_6ELb0ES3_mN6thrust23THRUST_200600_302600_NS6detail15normal_iteratorINSA_10device_ptrIsEEEEPS6_SG_NS0_5tupleIJSF_S6_EEENSH_IJSG_SG_EEES6_PlJNSB_9not_fun_tINSB_10functional5actorINSM_9compositeIJNSM_27transparent_binary_operatorINSA_8equal_toIvEEEENSN_INSM_8argumentILj0EEEEENSM_5valueIsEEEEEEEEEEEE10hipError_tPvRmT3_T4_T5_T6_T7_T9_mT8_P12ihipStream_tbDpT10_ENKUlT_T0_E_clISt17integral_constantIbLb0EES1K_EEDaS1F_S1G_EUlS1F_E_NS1_11comp_targetILNS1_3genE2ELNS1_11target_archE906ELNS1_3gpuE6ELNS1_3repE0EEENS1_30default_config_static_selectorELNS0_4arch9wavefront6targetE0EEEvT1_: ; @_ZN7rocprim17ROCPRIM_400000_NS6detail17trampoline_kernelINS0_14default_configENS1_25partition_config_selectorILNS1_17partition_subalgoE6EsNS0_10empty_typeEbEEZZNS1_14partition_implILS5_6ELb0ES3_mN6thrust23THRUST_200600_302600_NS6detail15normal_iteratorINSA_10device_ptrIsEEEEPS6_SG_NS0_5tupleIJSF_S6_EEENSH_IJSG_SG_EEES6_PlJNSB_9not_fun_tINSB_10functional5actorINSM_9compositeIJNSM_27transparent_binary_operatorINSA_8equal_toIvEEEENSN_INSM_8argumentILj0EEEEENSM_5valueIsEEEEEEEEEEEE10hipError_tPvRmT3_T4_T5_T6_T7_T9_mT8_P12ihipStream_tbDpT10_ENKUlT_T0_E_clISt17integral_constantIbLb0EES1K_EEDaS1F_S1G_EUlS1F_E_NS1_11comp_targetILNS1_3genE2ELNS1_11target_archE906ELNS1_3gpuE6ELNS1_3repE0EEENS1_30default_config_static_selectorELNS0_4arch9wavefront6targetE0EEEvT1_
; %bb.0:
	.section	.rodata,"a",@progbits
	.p2align	6, 0x0
	.amdhsa_kernel _ZN7rocprim17ROCPRIM_400000_NS6detail17trampoline_kernelINS0_14default_configENS1_25partition_config_selectorILNS1_17partition_subalgoE6EsNS0_10empty_typeEbEEZZNS1_14partition_implILS5_6ELb0ES3_mN6thrust23THRUST_200600_302600_NS6detail15normal_iteratorINSA_10device_ptrIsEEEEPS6_SG_NS0_5tupleIJSF_S6_EEENSH_IJSG_SG_EEES6_PlJNSB_9not_fun_tINSB_10functional5actorINSM_9compositeIJNSM_27transparent_binary_operatorINSA_8equal_toIvEEEENSN_INSM_8argumentILj0EEEEENSM_5valueIsEEEEEEEEEEEE10hipError_tPvRmT3_T4_T5_T6_T7_T9_mT8_P12ihipStream_tbDpT10_ENKUlT_T0_E_clISt17integral_constantIbLb0EES1K_EEDaS1F_S1G_EUlS1F_E_NS1_11comp_targetILNS1_3genE2ELNS1_11target_archE906ELNS1_3gpuE6ELNS1_3repE0EEENS1_30default_config_static_selectorELNS0_4arch9wavefront6targetE0EEEvT1_
		.amdhsa_group_segment_fixed_size 0
		.amdhsa_private_segment_fixed_size 0
		.amdhsa_kernarg_size 120
		.amdhsa_user_sgpr_count 2
		.amdhsa_user_sgpr_dispatch_ptr 0
		.amdhsa_user_sgpr_queue_ptr 0
		.amdhsa_user_sgpr_kernarg_segment_ptr 1
		.amdhsa_user_sgpr_dispatch_id 0
		.amdhsa_user_sgpr_private_segment_size 0
		.amdhsa_wavefront_size32 1
		.amdhsa_uses_dynamic_stack 0
		.amdhsa_enable_private_segment 0
		.amdhsa_system_sgpr_workgroup_id_x 1
		.amdhsa_system_sgpr_workgroup_id_y 0
		.amdhsa_system_sgpr_workgroup_id_z 0
		.amdhsa_system_sgpr_workgroup_info 0
		.amdhsa_system_vgpr_workitem_id 0
		.amdhsa_next_free_vgpr 1
		.amdhsa_next_free_sgpr 1
		.amdhsa_reserve_vcc 0
		.amdhsa_float_round_mode_32 0
		.amdhsa_float_round_mode_16_64 0
		.amdhsa_float_denorm_mode_32 3
		.amdhsa_float_denorm_mode_16_64 3
		.amdhsa_fp16_overflow 0
		.amdhsa_workgroup_processor_mode 1
		.amdhsa_memory_ordered 1
		.amdhsa_forward_progress 1
		.amdhsa_inst_pref_size 0
		.amdhsa_round_robin_scheduling 0
		.amdhsa_exception_fp_ieee_invalid_op 0
		.amdhsa_exception_fp_denorm_src 0
		.amdhsa_exception_fp_ieee_div_zero 0
		.amdhsa_exception_fp_ieee_overflow 0
		.amdhsa_exception_fp_ieee_underflow 0
		.amdhsa_exception_fp_ieee_inexact 0
		.amdhsa_exception_int_div_zero 0
	.end_amdhsa_kernel
	.section	.text._ZN7rocprim17ROCPRIM_400000_NS6detail17trampoline_kernelINS0_14default_configENS1_25partition_config_selectorILNS1_17partition_subalgoE6EsNS0_10empty_typeEbEEZZNS1_14partition_implILS5_6ELb0ES3_mN6thrust23THRUST_200600_302600_NS6detail15normal_iteratorINSA_10device_ptrIsEEEEPS6_SG_NS0_5tupleIJSF_S6_EEENSH_IJSG_SG_EEES6_PlJNSB_9not_fun_tINSB_10functional5actorINSM_9compositeIJNSM_27transparent_binary_operatorINSA_8equal_toIvEEEENSN_INSM_8argumentILj0EEEEENSM_5valueIsEEEEEEEEEEEE10hipError_tPvRmT3_T4_T5_T6_T7_T9_mT8_P12ihipStream_tbDpT10_ENKUlT_T0_E_clISt17integral_constantIbLb0EES1K_EEDaS1F_S1G_EUlS1F_E_NS1_11comp_targetILNS1_3genE2ELNS1_11target_archE906ELNS1_3gpuE6ELNS1_3repE0EEENS1_30default_config_static_selectorELNS0_4arch9wavefront6targetE0EEEvT1_,"axG",@progbits,_ZN7rocprim17ROCPRIM_400000_NS6detail17trampoline_kernelINS0_14default_configENS1_25partition_config_selectorILNS1_17partition_subalgoE6EsNS0_10empty_typeEbEEZZNS1_14partition_implILS5_6ELb0ES3_mN6thrust23THRUST_200600_302600_NS6detail15normal_iteratorINSA_10device_ptrIsEEEEPS6_SG_NS0_5tupleIJSF_S6_EEENSH_IJSG_SG_EEES6_PlJNSB_9not_fun_tINSB_10functional5actorINSM_9compositeIJNSM_27transparent_binary_operatorINSA_8equal_toIvEEEENSN_INSM_8argumentILj0EEEEENSM_5valueIsEEEEEEEEEEEE10hipError_tPvRmT3_T4_T5_T6_T7_T9_mT8_P12ihipStream_tbDpT10_ENKUlT_T0_E_clISt17integral_constantIbLb0EES1K_EEDaS1F_S1G_EUlS1F_E_NS1_11comp_targetILNS1_3genE2ELNS1_11target_archE906ELNS1_3gpuE6ELNS1_3repE0EEENS1_30default_config_static_selectorELNS0_4arch9wavefront6targetE0EEEvT1_,comdat
.Lfunc_end248:
	.size	_ZN7rocprim17ROCPRIM_400000_NS6detail17trampoline_kernelINS0_14default_configENS1_25partition_config_selectorILNS1_17partition_subalgoE6EsNS0_10empty_typeEbEEZZNS1_14partition_implILS5_6ELb0ES3_mN6thrust23THRUST_200600_302600_NS6detail15normal_iteratorINSA_10device_ptrIsEEEEPS6_SG_NS0_5tupleIJSF_S6_EEENSH_IJSG_SG_EEES6_PlJNSB_9not_fun_tINSB_10functional5actorINSM_9compositeIJNSM_27transparent_binary_operatorINSA_8equal_toIvEEEENSN_INSM_8argumentILj0EEEEENSM_5valueIsEEEEEEEEEEEE10hipError_tPvRmT3_T4_T5_T6_T7_T9_mT8_P12ihipStream_tbDpT10_ENKUlT_T0_E_clISt17integral_constantIbLb0EES1K_EEDaS1F_S1G_EUlS1F_E_NS1_11comp_targetILNS1_3genE2ELNS1_11target_archE906ELNS1_3gpuE6ELNS1_3repE0EEENS1_30default_config_static_selectorELNS0_4arch9wavefront6targetE0EEEvT1_, .Lfunc_end248-_ZN7rocprim17ROCPRIM_400000_NS6detail17trampoline_kernelINS0_14default_configENS1_25partition_config_selectorILNS1_17partition_subalgoE6EsNS0_10empty_typeEbEEZZNS1_14partition_implILS5_6ELb0ES3_mN6thrust23THRUST_200600_302600_NS6detail15normal_iteratorINSA_10device_ptrIsEEEEPS6_SG_NS0_5tupleIJSF_S6_EEENSH_IJSG_SG_EEES6_PlJNSB_9not_fun_tINSB_10functional5actorINSM_9compositeIJNSM_27transparent_binary_operatorINSA_8equal_toIvEEEENSN_INSM_8argumentILj0EEEEENSM_5valueIsEEEEEEEEEEEE10hipError_tPvRmT3_T4_T5_T6_T7_T9_mT8_P12ihipStream_tbDpT10_ENKUlT_T0_E_clISt17integral_constantIbLb0EES1K_EEDaS1F_S1G_EUlS1F_E_NS1_11comp_targetILNS1_3genE2ELNS1_11target_archE906ELNS1_3gpuE6ELNS1_3repE0EEENS1_30default_config_static_selectorELNS0_4arch9wavefront6targetE0EEEvT1_
                                        ; -- End function
	.set _ZN7rocprim17ROCPRIM_400000_NS6detail17trampoline_kernelINS0_14default_configENS1_25partition_config_selectorILNS1_17partition_subalgoE6EsNS0_10empty_typeEbEEZZNS1_14partition_implILS5_6ELb0ES3_mN6thrust23THRUST_200600_302600_NS6detail15normal_iteratorINSA_10device_ptrIsEEEEPS6_SG_NS0_5tupleIJSF_S6_EEENSH_IJSG_SG_EEES6_PlJNSB_9not_fun_tINSB_10functional5actorINSM_9compositeIJNSM_27transparent_binary_operatorINSA_8equal_toIvEEEENSN_INSM_8argumentILj0EEEEENSM_5valueIsEEEEEEEEEEEE10hipError_tPvRmT3_T4_T5_T6_T7_T9_mT8_P12ihipStream_tbDpT10_ENKUlT_T0_E_clISt17integral_constantIbLb0EES1K_EEDaS1F_S1G_EUlS1F_E_NS1_11comp_targetILNS1_3genE2ELNS1_11target_archE906ELNS1_3gpuE6ELNS1_3repE0EEENS1_30default_config_static_selectorELNS0_4arch9wavefront6targetE0EEEvT1_.num_vgpr, 0
	.set _ZN7rocprim17ROCPRIM_400000_NS6detail17trampoline_kernelINS0_14default_configENS1_25partition_config_selectorILNS1_17partition_subalgoE6EsNS0_10empty_typeEbEEZZNS1_14partition_implILS5_6ELb0ES3_mN6thrust23THRUST_200600_302600_NS6detail15normal_iteratorINSA_10device_ptrIsEEEEPS6_SG_NS0_5tupleIJSF_S6_EEENSH_IJSG_SG_EEES6_PlJNSB_9not_fun_tINSB_10functional5actorINSM_9compositeIJNSM_27transparent_binary_operatorINSA_8equal_toIvEEEENSN_INSM_8argumentILj0EEEEENSM_5valueIsEEEEEEEEEEEE10hipError_tPvRmT3_T4_T5_T6_T7_T9_mT8_P12ihipStream_tbDpT10_ENKUlT_T0_E_clISt17integral_constantIbLb0EES1K_EEDaS1F_S1G_EUlS1F_E_NS1_11comp_targetILNS1_3genE2ELNS1_11target_archE906ELNS1_3gpuE6ELNS1_3repE0EEENS1_30default_config_static_selectorELNS0_4arch9wavefront6targetE0EEEvT1_.num_agpr, 0
	.set _ZN7rocprim17ROCPRIM_400000_NS6detail17trampoline_kernelINS0_14default_configENS1_25partition_config_selectorILNS1_17partition_subalgoE6EsNS0_10empty_typeEbEEZZNS1_14partition_implILS5_6ELb0ES3_mN6thrust23THRUST_200600_302600_NS6detail15normal_iteratorINSA_10device_ptrIsEEEEPS6_SG_NS0_5tupleIJSF_S6_EEENSH_IJSG_SG_EEES6_PlJNSB_9not_fun_tINSB_10functional5actorINSM_9compositeIJNSM_27transparent_binary_operatorINSA_8equal_toIvEEEENSN_INSM_8argumentILj0EEEEENSM_5valueIsEEEEEEEEEEEE10hipError_tPvRmT3_T4_T5_T6_T7_T9_mT8_P12ihipStream_tbDpT10_ENKUlT_T0_E_clISt17integral_constantIbLb0EES1K_EEDaS1F_S1G_EUlS1F_E_NS1_11comp_targetILNS1_3genE2ELNS1_11target_archE906ELNS1_3gpuE6ELNS1_3repE0EEENS1_30default_config_static_selectorELNS0_4arch9wavefront6targetE0EEEvT1_.numbered_sgpr, 0
	.set _ZN7rocprim17ROCPRIM_400000_NS6detail17trampoline_kernelINS0_14default_configENS1_25partition_config_selectorILNS1_17partition_subalgoE6EsNS0_10empty_typeEbEEZZNS1_14partition_implILS5_6ELb0ES3_mN6thrust23THRUST_200600_302600_NS6detail15normal_iteratorINSA_10device_ptrIsEEEEPS6_SG_NS0_5tupleIJSF_S6_EEENSH_IJSG_SG_EEES6_PlJNSB_9not_fun_tINSB_10functional5actorINSM_9compositeIJNSM_27transparent_binary_operatorINSA_8equal_toIvEEEENSN_INSM_8argumentILj0EEEEENSM_5valueIsEEEEEEEEEEEE10hipError_tPvRmT3_T4_T5_T6_T7_T9_mT8_P12ihipStream_tbDpT10_ENKUlT_T0_E_clISt17integral_constantIbLb0EES1K_EEDaS1F_S1G_EUlS1F_E_NS1_11comp_targetILNS1_3genE2ELNS1_11target_archE906ELNS1_3gpuE6ELNS1_3repE0EEENS1_30default_config_static_selectorELNS0_4arch9wavefront6targetE0EEEvT1_.num_named_barrier, 0
	.set _ZN7rocprim17ROCPRIM_400000_NS6detail17trampoline_kernelINS0_14default_configENS1_25partition_config_selectorILNS1_17partition_subalgoE6EsNS0_10empty_typeEbEEZZNS1_14partition_implILS5_6ELb0ES3_mN6thrust23THRUST_200600_302600_NS6detail15normal_iteratorINSA_10device_ptrIsEEEEPS6_SG_NS0_5tupleIJSF_S6_EEENSH_IJSG_SG_EEES6_PlJNSB_9not_fun_tINSB_10functional5actorINSM_9compositeIJNSM_27transparent_binary_operatorINSA_8equal_toIvEEEENSN_INSM_8argumentILj0EEEEENSM_5valueIsEEEEEEEEEEEE10hipError_tPvRmT3_T4_T5_T6_T7_T9_mT8_P12ihipStream_tbDpT10_ENKUlT_T0_E_clISt17integral_constantIbLb0EES1K_EEDaS1F_S1G_EUlS1F_E_NS1_11comp_targetILNS1_3genE2ELNS1_11target_archE906ELNS1_3gpuE6ELNS1_3repE0EEENS1_30default_config_static_selectorELNS0_4arch9wavefront6targetE0EEEvT1_.private_seg_size, 0
	.set _ZN7rocprim17ROCPRIM_400000_NS6detail17trampoline_kernelINS0_14default_configENS1_25partition_config_selectorILNS1_17partition_subalgoE6EsNS0_10empty_typeEbEEZZNS1_14partition_implILS5_6ELb0ES3_mN6thrust23THRUST_200600_302600_NS6detail15normal_iteratorINSA_10device_ptrIsEEEEPS6_SG_NS0_5tupleIJSF_S6_EEENSH_IJSG_SG_EEES6_PlJNSB_9not_fun_tINSB_10functional5actorINSM_9compositeIJNSM_27transparent_binary_operatorINSA_8equal_toIvEEEENSN_INSM_8argumentILj0EEEEENSM_5valueIsEEEEEEEEEEEE10hipError_tPvRmT3_T4_T5_T6_T7_T9_mT8_P12ihipStream_tbDpT10_ENKUlT_T0_E_clISt17integral_constantIbLb0EES1K_EEDaS1F_S1G_EUlS1F_E_NS1_11comp_targetILNS1_3genE2ELNS1_11target_archE906ELNS1_3gpuE6ELNS1_3repE0EEENS1_30default_config_static_selectorELNS0_4arch9wavefront6targetE0EEEvT1_.uses_vcc, 0
	.set _ZN7rocprim17ROCPRIM_400000_NS6detail17trampoline_kernelINS0_14default_configENS1_25partition_config_selectorILNS1_17partition_subalgoE6EsNS0_10empty_typeEbEEZZNS1_14partition_implILS5_6ELb0ES3_mN6thrust23THRUST_200600_302600_NS6detail15normal_iteratorINSA_10device_ptrIsEEEEPS6_SG_NS0_5tupleIJSF_S6_EEENSH_IJSG_SG_EEES6_PlJNSB_9not_fun_tINSB_10functional5actorINSM_9compositeIJNSM_27transparent_binary_operatorINSA_8equal_toIvEEEENSN_INSM_8argumentILj0EEEEENSM_5valueIsEEEEEEEEEEEE10hipError_tPvRmT3_T4_T5_T6_T7_T9_mT8_P12ihipStream_tbDpT10_ENKUlT_T0_E_clISt17integral_constantIbLb0EES1K_EEDaS1F_S1G_EUlS1F_E_NS1_11comp_targetILNS1_3genE2ELNS1_11target_archE906ELNS1_3gpuE6ELNS1_3repE0EEENS1_30default_config_static_selectorELNS0_4arch9wavefront6targetE0EEEvT1_.uses_flat_scratch, 0
	.set _ZN7rocprim17ROCPRIM_400000_NS6detail17trampoline_kernelINS0_14default_configENS1_25partition_config_selectorILNS1_17partition_subalgoE6EsNS0_10empty_typeEbEEZZNS1_14partition_implILS5_6ELb0ES3_mN6thrust23THRUST_200600_302600_NS6detail15normal_iteratorINSA_10device_ptrIsEEEEPS6_SG_NS0_5tupleIJSF_S6_EEENSH_IJSG_SG_EEES6_PlJNSB_9not_fun_tINSB_10functional5actorINSM_9compositeIJNSM_27transparent_binary_operatorINSA_8equal_toIvEEEENSN_INSM_8argumentILj0EEEEENSM_5valueIsEEEEEEEEEEEE10hipError_tPvRmT3_T4_T5_T6_T7_T9_mT8_P12ihipStream_tbDpT10_ENKUlT_T0_E_clISt17integral_constantIbLb0EES1K_EEDaS1F_S1G_EUlS1F_E_NS1_11comp_targetILNS1_3genE2ELNS1_11target_archE906ELNS1_3gpuE6ELNS1_3repE0EEENS1_30default_config_static_selectorELNS0_4arch9wavefront6targetE0EEEvT1_.has_dyn_sized_stack, 0
	.set _ZN7rocprim17ROCPRIM_400000_NS6detail17trampoline_kernelINS0_14default_configENS1_25partition_config_selectorILNS1_17partition_subalgoE6EsNS0_10empty_typeEbEEZZNS1_14partition_implILS5_6ELb0ES3_mN6thrust23THRUST_200600_302600_NS6detail15normal_iteratorINSA_10device_ptrIsEEEEPS6_SG_NS0_5tupleIJSF_S6_EEENSH_IJSG_SG_EEES6_PlJNSB_9not_fun_tINSB_10functional5actorINSM_9compositeIJNSM_27transparent_binary_operatorINSA_8equal_toIvEEEENSN_INSM_8argumentILj0EEEEENSM_5valueIsEEEEEEEEEEEE10hipError_tPvRmT3_T4_T5_T6_T7_T9_mT8_P12ihipStream_tbDpT10_ENKUlT_T0_E_clISt17integral_constantIbLb0EES1K_EEDaS1F_S1G_EUlS1F_E_NS1_11comp_targetILNS1_3genE2ELNS1_11target_archE906ELNS1_3gpuE6ELNS1_3repE0EEENS1_30default_config_static_selectorELNS0_4arch9wavefront6targetE0EEEvT1_.has_recursion, 0
	.set _ZN7rocprim17ROCPRIM_400000_NS6detail17trampoline_kernelINS0_14default_configENS1_25partition_config_selectorILNS1_17partition_subalgoE6EsNS0_10empty_typeEbEEZZNS1_14partition_implILS5_6ELb0ES3_mN6thrust23THRUST_200600_302600_NS6detail15normal_iteratorINSA_10device_ptrIsEEEEPS6_SG_NS0_5tupleIJSF_S6_EEENSH_IJSG_SG_EEES6_PlJNSB_9not_fun_tINSB_10functional5actorINSM_9compositeIJNSM_27transparent_binary_operatorINSA_8equal_toIvEEEENSN_INSM_8argumentILj0EEEEENSM_5valueIsEEEEEEEEEEEE10hipError_tPvRmT3_T4_T5_T6_T7_T9_mT8_P12ihipStream_tbDpT10_ENKUlT_T0_E_clISt17integral_constantIbLb0EES1K_EEDaS1F_S1G_EUlS1F_E_NS1_11comp_targetILNS1_3genE2ELNS1_11target_archE906ELNS1_3gpuE6ELNS1_3repE0EEENS1_30default_config_static_selectorELNS0_4arch9wavefront6targetE0EEEvT1_.has_indirect_call, 0
	.section	.AMDGPU.csdata,"",@progbits
; Kernel info:
; codeLenInByte = 0
; TotalNumSgprs: 0
; NumVgprs: 0
; ScratchSize: 0
; MemoryBound: 0
; FloatMode: 240
; IeeeMode: 1
; LDSByteSize: 0 bytes/workgroup (compile time only)
; SGPRBlocks: 0
; VGPRBlocks: 0
; NumSGPRsForWavesPerEU: 1
; NumVGPRsForWavesPerEU: 1
; Occupancy: 16
; WaveLimiterHint : 0
; COMPUTE_PGM_RSRC2:SCRATCH_EN: 0
; COMPUTE_PGM_RSRC2:USER_SGPR: 2
; COMPUTE_PGM_RSRC2:TRAP_HANDLER: 0
; COMPUTE_PGM_RSRC2:TGID_X_EN: 1
; COMPUTE_PGM_RSRC2:TGID_Y_EN: 0
; COMPUTE_PGM_RSRC2:TGID_Z_EN: 0
; COMPUTE_PGM_RSRC2:TIDIG_COMP_CNT: 0
	.section	.text._ZN7rocprim17ROCPRIM_400000_NS6detail17trampoline_kernelINS0_14default_configENS1_25partition_config_selectorILNS1_17partition_subalgoE6EsNS0_10empty_typeEbEEZZNS1_14partition_implILS5_6ELb0ES3_mN6thrust23THRUST_200600_302600_NS6detail15normal_iteratorINSA_10device_ptrIsEEEEPS6_SG_NS0_5tupleIJSF_S6_EEENSH_IJSG_SG_EEES6_PlJNSB_9not_fun_tINSB_10functional5actorINSM_9compositeIJNSM_27transparent_binary_operatorINSA_8equal_toIvEEEENSN_INSM_8argumentILj0EEEEENSM_5valueIsEEEEEEEEEEEE10hipError_tPvRmT3_T4_T5_T6_T7_T9_mT8_P12ihipStream_tbDpT10_ENKUlT_T0_E_clISt17integral_constantIbLb0EES1K_EEDaS1F_S1G_EUlS1F_E_NS1_11comp_targetILNS1_3genE10ELNS1_11target_archE1200ELNS1_3gpuE4ELNS1_3repE0EEENS1_30default_config_static_selectorELNS0_4arch9wavefront6targetE0EEEvT1_,"axG",@progbits,_ZN7rocprim17ROCPRIM_400000_NS6detail17trampoline_kernelINS0_14default_configENS1_25partition_config_selectorILNS1_17partition_subalgoE6EsNS0_10empty_typeEbEEZZNS1_14partition_implILS5_6ELb0ES3_mN6thrust23THRUST_200600_302600_NS6detail15normal_iteratorINSA_10device_ptrIsEEEEPS6_SG_NS0_5tupleIJSF_S6_EEENSH_IJSG_SG_EEES6_PlJNSB_9not_fun_tINSB_10functional5actorINSM_9compositeIJNSM_27transparent_binary_operatorINSA_8equal_toIvEEEENSN_INSM_8argumentILj0EEEEENSM_5valueIsEEEEEEEEEEEE10hipError_tPvRmT3_T4_T5_T6_T7_T9_mT8_P12ihipStream_tbDpT10_ENKUlT_T0_E_clISt17integral_constantIbLb0EES1K_EEDaS1F_S1G_EUlS1F_E_NS1_11comp_targetILNS1_3genE10ELNS1_11target_archE1200ELNS1_3gpuE4ELNS1_3repE0EEENS1_30default_config_static_selectorELNS0_4arch9wavefront6targetE0EEEvT1_,comdat
	.protected	_ZN7rocprim17ROCPRIM_400000_NS6detail17trampoline_kernelINS0_14default_configENS1_25partition_config_selectorILNS1_17partition_subalgoE6EsNS0_10empty_typeEbEEZZNS1_14partition_implILS5_6ELb0ES3_mN6thrust23THRUST_200600_302600_NS6detail15normal_iteratorINSA_10device_ptrIsEEEEPS6_SG_NS0_5tupleIJSF_S6_EEENSH_IJSG_SG_EEES6_PlJNSB_9not_fun_tINSB_10functional5actorINSM_9compositeIJNSM_27transparent_binary_operatorINSA_8equal_toIvEEEENSN_INSM_8argumentILj0EEEEENSM_5valueIsEEEEEEEEEEEE10hipError_tPvRmT3_T4_T5_T6_T7_T9_mT8_P12ihipStream_tbDpT10_ENKUlT_T0_E_clISt17integral_constantIbLb0EES1K_EEDaS1F_S1G_EUlS1F_E_NS1_11comp_targetILNS1_3genE10ELNS1_11target_archE1200ELNS1_3gpuE4ELNS1_3repE0EEENS1_30default_config_static_selectorELNS0_4arch9wavefront6targetE0EEEvT1_ ; -- Begin function _ZN7rocprim17ROCPRIM_400000_NS6detail17trampoline_kernelINS0_14default_configENS1_25partition_config_selectorILNS1_17partition_subalgoE6EsNS0_10empty_typeEbEEZZNS1_14partition_implILS5_6ELb0ES3_mN6thrust23THRUST_200600_302600_NS6detail15normal_iteratorINSA_10device_ptrIsEEEEPS6_SG_NS0_5tupleIJSF_S6_EEENSH_IJSG_SG_EEES6_PlJNSB_9not_fun_tINSB_10functional5actorINSM_9compositeIJNSM_27transparent_binary_operatorINSA_8equal_toIvEEEENSN_INSM_8argumentILj0EEEEENSM_5valueIsEEEEEEEEEEEE10hipError_tPvRmT3_T4_T5_T6_T7_T9_mT8_P12ihipStream_tbDpT10_ENKUlT_T0_E_clISt17integral_constantIbLb0EES1K_EEDaS1F_S1G_EUlS1F_E_NS1_11comp_targetILNS1_3genE10ELNS1_11target_archE1200ELNS1_3gpuE4ELNS1_3repE0EEENS1_30default_config_static_selectorELNS0_4arch9wavefront6targetE0EEEvT1_
	.globl	_ZN7rocprim17ROCPRIM_400000_NS6detail17trampoline_kernelINS0_14default_configENS1_25partition_config_selectorILNS1_17partition_subalgoE6EsNS0_10empty_typeEbEEZZNS1_14partition_implILS5_6ELb0ES3_mN6thrust23THRUST_200600_302600_NS6detail15normal_iteratorINSA_10device_ptrIsEEEEPS6_SG_NS0_5tupleIJSF_S6_EEENSH_IJSG_SG_EEES6_PlJNSB_9not_fun_tINSB_10functional5actorINSM_9compositeIJNSM_27transparent_binary_operatorINSA_8equal_toIvEEEENSN_INSM_8argumentILj0EEEEENSM_5valueIsEEEEEEEEEEEE10hipError_tPvRmT3_T4_T5_T6_T7_T9_mT8_P12ihipStream_tbDpT10_ENKUlT_T0_E_clISt17integral_constantIbLb0EES1K_EEDaS1F_S1G_EUlS1F_E_NS1_11comp_targetILNS1_3genE10ELNS1_11target_archE1200ELNS1_3gpuE4ELNS1_3repE0EEENS1_30default_config_static_selectorELNS0_4arch9wavefront6targetE0EEEvT1_
	.p2align	8
	.type	_ZN7rocprim17ROCPRIM_400000_NS6detail17trampoline_kernelINS0_14default_configENS1_25partition_config_selectorILNS1_17partition_subalgoE6EsNS0_10empty_typeEbEEZZNS1_14partition_implILS5_6ELb0ES3_mN6thrust23THRUST_200600_302600_NS6detail15normal_iteratorINSA_10device_ptrIsEEEEPS6_SG_NS0_5tupleIJSF_S6_EEENSH_IJSG_SG_EEES6_PlJNSB_9not_fun_tINSB_10functional5actorINSM_9compositeIJNSM_27transparent_binary_operatorINSA_8equal_toIvEEEENSN_INSM_8argumentILj0EEEEENSM_5valueIsEEEEEEEEEEEE10hipError_tPvRmT3_T4_T5_T6_T7_T9_mT8_P12ihipStream_tbDpT10_ENKUlT_T0_E_clISt17integral_constantIbLb0EES1K_EEDaS1F_S1G_EUlS1F_E_NS1_11comp_targetILNS1_3genE10ELNS1_11target_archE1200ELNS1_3gpuE4ELNS1_3repE0EEENS1_30default_config_static_selectorELNS0_4arch9wavefront6targetE0EEEvT1_,@function
_ZN7rocprim17ROCPRIM_400000_NS6detail17trampoline_kernelINS0_14default_configENS1_25partition_config_selectorILNS1_17partition_subalgoE6EsNS0_10empty_typeEbEEZZNS1_14partition_implILS5_6ELb0ES3_mN6thrust23THRUST_200600_302600_NS6detail15normal_iteratorINSA_10device_ptrIsEEEEPS6_SG_NS0_5tupleIJSF_S6_EEENSH_IJSG_SG_EEES6_PlJNSB_9not_fun_tINSB_10functional5actorINSM_9compositeIJNSM_27transparent_binary_operatorINSA_8equal_toIvEEEENSN_INSM_8argumentILj0EEEEENSM_5valueIsEEEEEEEEEEEE10hipError_tPvRmT3_T4_T5_T6_T7_T9_mT8_P12ihipStream_tbDpT10_ENKUlT_T0_E_clISt17integral_constantIbLb0EES1K_EEDaS1F_S1G_EUlS1F_E_NS1_11comp_targetILNS1_3genE10ELNS1_11target_archE1200ELNS1_3gpuE4ELNS1_3repE0EEENS1_30default_config_static_selectorELNS0_4arch9wavefront6targetE0EEEvT1_: ; @_ZN7rocprim17ROCPRIM_400000_NS6detail17trampoline_kernelINS0_14default_configENS1_25partition_config_selectorILNS1_17partition_subalgoE6EsNS0_10empty_typeEbEEZZNS1_14partition_implILS5_6ELb0ES3_mN6thrust23THRUST_200600_302600_NS6detail15normal_iteratorINSA_10device_ptrIsEEEEPS6_SG_NS0_5tupleIJSF_S6_EEENSH_IJSG_SG_EEES6_PlJNSB_9not_fun_tINSB_10functional5actorINSM_9compositeIJNSM_27transparent_binary_operatorINSA_8equal_toIvEEEENSN_INSM_8argumentILj0EEEEENSM_5valueIsEEEEEEEEEEEE10hipError_tPvRmT3_T4_T5_T6_T7_T9_mT8_P12ihipStream_tbDpT10_ENKUlT_T0_E_clISt17integral_constantIbLb0EES1K_EEDaS1F_S1G_EUlS1F_E_NS1_11comp_targetILNS1_3genE10ELNS1_11target_archE1200ELNS1_3gpuE4ELNS1_3repE0EEENS1_30default_config_static_selectorELNS0_4arch9wavefront6targetE0EEEvT1_
; %bb.0:
	v_dual_mov_b32 v1, 0 :: v_dual_lshlrev_b32 v18, 1, v0
	s_clause 0x3
	s_load_b128 s[4:7], s[0:1], 0x8
	s_load_b128 s[20:23], s[0:1], 0x40
	s_load_b32 s10, s[0:1], 0x68
	s_load_b64 s[2:3], s[0:1], 0x50
	global_load_b32 v17, v1, s[0:1] offset:110
	s_wait_kmcnt 0x0
	s_lshl_b64 s[8:9], s[6:7], 1
	s_load_b64 s[22:23], s[22:23], 0x0
	s_add_nc_u64 s[8:9], s[4:5], s[8:9]
	s_mul_i32 s4, s10, 0x1b00
	s_mov_b32 s5, 0
	s_add_co_i32 s12, s10, -1
	s_add_nc_u64 s[10:11], s[6:7], s[4:5]
	s_add_co_i32 s4, s4, s6
	v_cmp_le_u64_e64 s3, s[2:3], s[10:11]
	s_sub_co_i32 s27, s2, s4
	s_cmp_eq_u32 ttmp9, s12
	s_mul_i32 s2, ttmp9, 0x1b00
	s_cselect_b32 s24, -1, 0
	s_mov_b32 s4, -1
	s_and_b32 s6, s24, s3
	s_mov_b32 s3, s5
	s_xor_b32 s25, s6, -1
	s_wait_alu 0xfffe
	s_lshl_b64 s[2:3], s[2:3], 1
	s_and_b32 vcc_lo, exec_lo, s25
	s_wait_alu 0xfffe
	s_add_nc_u64 s[2:3], s[8:9], s[2:3]
	s_cbranch_vccz .LBB249_2
; %bb.1:
	s_wait_alu 0xfffe
	v_add_co_u32 v1, s4, s2, v18
	s_delay_alu instid0(VALU_DEP_1)
	v_add_co_ci_u32_e64 v2, null, s3, 0, s4
	s_mov_b32 s4, 0
	s_clause 0x11
	flat_load_u16 v3, v[1:2]
	flat_load_u16 v4, v[1:2] offset:768
	flat_load_u16 v5, v[1:2] offset:1536
	;; [unrolled: 1-line block ×17, first 2 shown]
	s_wait_loadcnt_dscnt 0x1111
	ds_store_b16 v18, v3
	s_wait_loadcnt_dscnt 0x1011
	ds_store_b16 v18, v4 offset:768
	s_wait_loadcnt_dscnt 0xf11
	ds_store_b16 v18, v5 offset:1536
	s_wait_loadcnt_dscnt 0xe11
	ds_store_b16 v18, v6 offset:2304
	s_wait_loadcnt_dscnt 0xd11
	ds_store_b16 v18, v7 offset:3072
	s_wait_loadcnt_dscnt 0xc11
	ds_store_b16 v18, v8 offset:3840
	s_wait_loadcnt_dscnt 0xb11
	ds_store_b16 v18, v9 offset:4608
	s_wait_loadcnt_dscnt 0xa11
	ds_store_b16 v18, v10 offset:5376
	s_wait_loadcnt_dscnt 0x911
	ds_store_b16 v18, v11 offset:6144
	s_wait_loadcnt_dscnt 0x811
	ds_store_b16 v18, v12 offset:6912
	s_wait_loadcnt_dscnt 0x711
	ds_store_b16 v18, v13 offset:7680
	s_wait_loadcnt_dscnt 0x611
	ds_store_b16 v18, v14 offset:8448
	s_wait_loadcnt_dscnt 0x511
	ds_store_b16 v18, v15 offset:9216
	s_wait_loadcnt_dscnt 0x411
	ds_store_b16 v18, v16 offset:9984
	s_wait_loadcnt_dscnt 0x311
	ds_store_b16 v18, v19 offset:10752
	s_wait_loadcnt_dscnt 0x211
	ds_store_b16 v18, v20 offset:11520
	s_wait_loadcnt_dscnt 0x111
	ds_store_b16 v18, v21 offset:12288
	s_wait_loadcnt_dscnt 0x11
	ds_store_b16 v18, v1 offset:13056
	s_wait_dscnt 0x0
	s_barrier_signal -1
	s_barrier_wait -1
.LBB249_2:
	s_wait_alu 0xfffe
	s_and_not1_b32 vcc_lo, exec_lo, s4
	s_addk_co_i32 s27, 0x1b00
	s_cbranch_vccnz .LBB249_40
; %bb.3:
	v_mov_b32_e32 v1, 0
	s_mov_b32 s4, exec_lo
	s_delay_alu instid0(VALU_DEP_1)
	v_dual_mov_b32 v2, v1 :: v_dual_mov_b32 v3, v1
	v_dual_mov_b32 v4, v1 :: v_dual_mov_b32 v5, v1
	v_dual_mov_b32 v6, v1 :: v_dual_mov_b32 v7, v1
	v_dual_mov_b32 v8, v1 :: v_dual_mov_b32 v9, v1
	v_cmpx_gt_u32_e64 s27, v0
	s_cbranch_execz .LBB249_5
; %bb.4:
	v_add_co_u32 v3, s5, s2, v18
	s_wait_alu 0xf1ff
	v_add_co_ci_u32_e64 v4, null, s3, 0, s5
	v_mov_b32_e32 v2, v1
	v_dual_mov_b32 v6, v1 :: v_dual_mov_b32 v7, v1
	v_dual_mov_b32 v5, v1 :: v_dual_mov_b32 v8, v1
	v_mov_b32_e32 v9, v1
	flat_load_d16_b16 v2, v[3:4]
	v_dual_mov_b32 v3, v1 :: v_dual_mov_b32 v4, v1
	v_mov_b32_e32 v10, v1
	s_wait_loadcnt_dscnt 0x0
	v_mov_b32_e32 v1, v2
	s_delay_alu instid0(VALU_DEP_3)
	v_mov_b32_e32 v2, v3
	v_mov_b32_e32 v3, v4
	;; [unrolled: 1-line block ×15, first 2 shown]
.LBB249_5:
	s_wait_alu 0xfffe
	s_or_b32 exec_lo, exec_lo, s4
	v_add_nc_u32_e32 v10, 0x180, v0
	s_mov_b32 s4, exec_lo
	s_delay_alu instid0(VALU_DEP_1)
	v_cmpx_gt_u32_e64 s27, v10
	s_cbranch_execz .LBB249_7
; %bb.6:
	v_add_co_u32 v10, s5, s2, v18
	s_wait_alu 0xf1ff
	v_add_co_ci_u32_e64 v11, null, s3, 0, s5
	flat_load_d16_hi_b16 v1, v[10:11] offset:768
.LBB249_7:
	s_wait_alu 0xfffe
	s_or_b32 exec_lo, exec_lo, s4
	v_add_nc_u32_e32 v10, 0x300, v0
	s_mov_b32 s4, exec_lo
	s_delay_alu instid0(VALU_DEP_1)
	v_cmpx_gt_u32_e64 s27, v10
	s_cbranch_execz .LBB249_9
; %bb.8:
	v_add_co_u32 v10, s5, s2, v18
	s_wait_alu 0xf1ff
	v_add_co_ci_u32_e64 v11, null, s3, 0, s5
	flat_load_d16_b16 v2, v[10:11] offset:1536
.LBB249_9:
	s_wait_alu 0xfffe
	s_or_b32 exec_lo, exec_lo, s4
	v_add_nc_u32_e32 v10, 0x480, v0
	s_mov_b32 s4, exec_lo
	s_delay_alu instid0(VALU_DEP_1)
	v_cmpx_gt_u32_e64 s27, v10
	s_cbranch_execz .LBB249_11
; %bb.10:
	v_add_co_u32 v10, s5, s2, v18
	s_wait_alu 0xf1ff
	v_add_co_ci_u32_e64 v11, null, s3, 0, s5
	s_wait_loadcnt_dscnt 0x0
	flat_load_d16_hi_b16 v2, v[10:11] offset:2304
.LBB249_11:
	s_wait_alu 0xfffe
	s_or_b32 exec_lo, exec_lo, s4
	v_or_b32_e32 v10, 0x600, v0
	s_mov_b32 s4, exec_lo
	s_delay_alu instid0(VALU_DEP_1)
	v_cmpx_gt_u32_e64 s27, v10
	s_cbranch_execz .LBB249_13
; %bb.12:
	v_add_co_u32 v10, s5, s2, v18
	s_wait_alu 0xf1ff
	v_add_co_ci_u32_e64 v11, null, s3, 0, s5
	flat_load_d16_b16 v3, v[10:11] offset:3072
.LBB249_13:
	s_wait_alu 0xfffe
	s_or_b32 exec_lo, exec_lo, s4
	v_add_nc_u32_e32 v10, 0x780, v0
	s_mov_b32 s4, exec_lo
	s_delay_alu instid0(VALU_DEP_1)
	v_cmpx_gt_u32_e64 s27, v10
	s_cbranch_execz .LBB249_15
; %bb.14:
	v_add_co_u32 v10, s5, s2, v18
	s_wait_alu 0xf1ff
	v_add_co_ci_u32_e64 v11, null, s3, 0, s5
	s_wait_loadcnt_dscnt 0x0
	flat_load_d16_hi_b16 v3, v[10:11] offset:3840
.LBB249_15:
	s_wait_alu 0xfffe
	s_or_b32 exec_lo, exec_lo, s4
	v_add_nc_u32_e32 v10, 0x900, v0
	s_mov_b32 s4, exec_lo
	s_delay_alu instid0(VALU_DEP_1)
	v_cmpx_gt_u32_e64 s27, v10
	s_cbranch_execz .LBB249_17
; %bb.16:
	v_add_co_u32 v10, s5, s2, v18
	s_wait_alu 0xf1ff
	v_add_co_ci_u32_e64 v11, null, s3, 0, s5
	flat_load_d16_b16 v4, v[10:11] offset:4608
.LBB249_17:
	s_wait_alu 0xfffe
	s_or_b32 exec_lo, exec_lo, s4
	v_add_nc_u32_e32 v10, 0xa80, v0
	s_mov_b32 s4, exec_lo
	s_delay_alu instid0(VALU_DEP_1)
	v_cmpx_gt_u32_e64 s27, v10
	s_cbranch_execz .LBB249_19
; %bb.18:
	v_add_co_u32 v10, s5, s2, v18
	s_wait_alu 0xf1ff
	v_add_co_ci_u32_e64 v11, null, s3, 0, s5
	s_wait_loadcnt_dscnt 0x0
	flat_load_d16_hi_b16 v4, v[10:11] offset:5376
.LBB249_19:
	s_wait_alu 0xfffe
	s_or_b32 exec_lo, exec_lo, s4
	v_or_b32_e32 v10, 0xc00, v0
	s_mov_b32 s4, exec_lo
	s_delay_alu instid0(VALU_DEP_1)
	v_cmpx_gt_u32_e64 s27, v10
	s_cbranch_execz .LBB249_21
; %bb.20:
	v_add_co_u32 v10, s5, s2, v18
	s_wait_alu 0xf1ff
	v_add_co_ci_u32_e64 v11, null, s3, 0, s5
	flat_load_d16_b16 v5, v[10:11] offset:6144
.LBB249_21:
	s_wait_alu 0xfffe
	s_or_b32 exec_lo, exec_lo, s4
	v_add_nc_u32_e32 v10, 0xd80, v0
	s_mov_b32 s4, exec_lo
	s_delay_alu instid0(VALU_DEP_1)
	v_cmpx_gt_u32_e64 s27, v10
	s_cbranch_execz .LBB249_23
; %bb.22:
	v_add_co_u32 v10, s5, s2, v18
	s_wait_alu 0xf1ff
	v_add_co_ci_u32_e64 v11, null, s3, 0, s5
	s_wait_loadcnt_dscnt 0x0
	flat_load_d16_hi_b16 v5, v[10:11] offset:6912
.LBB249_23:
	;; [unrolled: 54-line block ×4, first 2 shown]
	s_wait_alu 0xfffe
	s_or_b32 exec_lo, exec_lo, s4
	s_wait_loadcnt_dscnt 0x0
	ds_store_b16 v18, v1
	ds_store_b16_d16_hi v18, v1 offset:768
	ds_store_b16 v18, v2 offset:1536
	ds_store_b16_d16_hi v18, v2 offset:2304
	ds_store_b16 v18, v3 offset:3072
	;; [unrolled: 2-line block ×8, first 2 shown]
	ds_store_b16_d16_hi v18, v9 offset:13056
	s_wait_dscnt 0x0
	s_barrier_signal -1
	s_barrier_wait -1
.LBB249_40:
	v_mul_u32_u24_e32 v5, 18, v0
	s_wait_loadcnt 0x0
	global_inv scope:SCOPE_SE
	s_and_not1_b32 vcc_lo, exec_lo, s25
	v_lshlrev_b32_e32 v6, 1, v5
	ds_load_u16 v51, v6 offset:4
	ds_load_u16 v50, v6 offset:34
	ds_load_b32 v52, v6
	ds_load_b128 v[1:4], v6 offset:6
	ds_load_b96 v[13:15], v6 offset:22
	v_lshrrev_b32_e32 v6, 16, v17
	s_wait_loadcnt_dscnt 0x0
	s_barrier_signal -1
	s_barrier_wait -1
	global_inv scope:SCOPE_SE
	v_cmp_ne_u16_e64 s2, v51, v6
	v_cmp_ne_u16_e64 s26, v50, v6
	;; [unrolled: 1-line block ×3, first 2 shown]
	v_lshrrev_b32_e32 v17, 16, v52
	v_cmp_ne_u16_e64 s8, v1, v6
	v_lshrrev_b32_e32 v16, 16, v1
	v_cmp_ne_u16_e64 s10, v2, v6
	;; [unrolled: 2-line block ×7, first 2 shown]
	v_lshrrev_b32_e32 v7, 16, v15
	s_cbranch_vccnz .LBB249_42
; %bb.41:
	v_cmp_ne_u16_e32 vcc_lo, v17, v6
	v_cndmask_b32_e64 v20, 0, 1, s8
	s_wait_alu 0xf1ff
	v_cndmask_b32_e64 v19, 0, 1, s10
	v_cndmask_b32_e64 v26, 0, 1, s3
	;; [unrolled: 1-line block ×3, first 2 shown]
	v_cndmask_b32_e64 v18, 0, 1, vcc_lo
	v_lshlrev_b16 v20, 8, v20
	v_cmp_ne_u16_e32 vcc_lo, v16, v6
	v_lshlrev_b16 v19, 8, v19
	v_cndmask_b32_e64 v22, 0, 1, s7
	v_lshlrev_b16 v18, 8, v18
	v_lshrrev_b32_e32 v20, 8, v20
	s_wait_alu 0xfffd
	v_cndmask_b32_e64 v28, 0, 1, vcc_lo
	v_cmp_ne_u16_e32 vcc_lo, v12, v6
	v_lshrrev_b32_e32 v19, 8, v19
	v_lshrrev_b32_e32 v18, 8, v18
	v_lshlrev_b16 v20, 8, v20
	v_cndmask_b32_e64 v23, 0, 1, s6
	v_cndmask_b32_e64 v24, 0, 1, s4
	v_lshlrev_b16 v19, 8, v19
	v_lshlrev_b16 v18, 8, v18
	v_or_b32_e32 v20, v27, v20
	v_lshlrev_b16 v22, 8, v22
	v_lshlrev_b16 v23, 8, v23
	;; [unrolled: 1-line block ×3, first 2 shown]
	v_or_b32_e32 v18, v26, v18
	s_wait_alu 0xfffd
	v_cndmask_b32_e64 v26, 0, 1, vcc_lo
	v_cmp_ne_u16_e32 vcc_lo, v11, v6
	v_or_b32_e32 v19, v28, v19
	v_cndmask_b32_e64 v21, 0, 1, s9
	v_cndmask_b32_e64 v25, 0, 1, s5
	v_lshrrev_b32_e32 v24, 8, v24
	s_wait_alu 0xfffd
	v_cndmask_b32_e64 v27, 0, 1, vcc_lo
	v_cmp_ne_u16_e32 vcc_lo, v10, v6
	v_lshrrev_b32_e32 v22, 8, v22
	v_lshrrev_b32_e32 v23, 8, v23
	v_lshlrev_b16 v21, 8, v21
	v_lshlrev_b16 v25, 8, v25
	s_wait_alu 0xfffd
	v_cndmask_b32_e64 v28, 0, 1, vcc_lo
	v_cmp_ne_u16_e32 vcc_lo, v9, v6
	v_lshlrev_b16 v22, 8, v22
	v_lshlrev_b16 v23, 8, v23
	;; [unrolled: 1-line block ×3, first 2 shown]
	v_or_b32_e32 v21, v26, v21
	s_wait_alu 0xfffd
	v_cndmask_b32_e64 v29, 0, 1, vcc_lo
	v_cmp_ne_u16_e32 vcc_lo, v8, v6
	v_or_b32_e32 v22, v27, v22
	v_or_b32_e32 v23, v28, v23
	v_and_b32_e32 v18, 0xffff, v18
	v_or_b32_e32 v24, v29, v24
	s_wait_alu 0xfffd
	v_cndmask_b32_e64 v30, 0, 1, vcc_lo
	v_lshlrev_b32_e32 v20, 16, v20
	v_and_b32_e32 v19, 0xffff, v19
	v_lshlrev_b32_e32 v21, 16, v21
	v_and_b32_e32 v22, 0xffff, v22
	v_or_b32_e32 v25, v30, v25
	v_lshlrev_b32_e32 v23, 16, v23
	v_and_b32_e32 v24, 0xffff, v24
	v_cmp_ne_u16_e32 vcc_lo, v7, v6
	v_or_b32_e32 v48, v18, v20
	v_lshlrev_b32_e32 v25, 16, v25
	v_or_b32_e32 v57, v19, v21
	v_or_b32_e32 v55, v22, v23
	s_wait_alu 0xfffd
	v_cndmask_b32_e64 v53, 0, 1, vcc_lo
	v_or_b32_e32 v54, v24, v25
	s_cbranch_execz .LBB249_43
	s_branch .LBB249_44
.LBB249_42:
                                        ; implicit-def: $sgpr26
                                        ; implicit-def: $vgpr53
                                        ; implicit-def: $vgpr54
                                        ; implicit-def: $vgpr55
                                        ; implicit-def: $vgpr57
                                        ; implicit-def: $vgpr48
.LBB249_43:
	v_or_b32_e32 v18, 1, v5
	v_cmp_ne_u16_e32 vcc_lo, v17, v6
	v_add_nc_u32_e32 v19, 3, v5
	v_add_nc_u32_e32 v17, 2, v5
	v_cmp_ne_u16_e64 s9, v2, v6
	v_cmp_gt_u32_e64 s4, s27, v18
	v_add_nc_u32_e32 v18, 4, v5
	v_cmp_gt_u32_e64 s7, s27, v19
	v_cmp_gt_u32_e64 s6, s27, v17
	v_add_nc_u32_e32 v17, 7, v5
	s_and_b32 s4, s4, vcc_lo
	v_cmp_ne_u16_e32 vcc_lo, v1, v6
	v_cmp_gt_u32_e64 s8, s27, v18
	v_add_nc_u32_e32 v18, 5, v5
	s_wait_alu 0xfffe
	v_cndmask_b32_e64 v20, 0, 1, s4
	v_cmp_ne_u16_e64 s4, v16, v6
	s_and_b32 s7, s7, vcc_lo
	v_cmp_ne_u16_e32 vcc_lo, v3, v6
	s_wait_alu 0xfffe
	v_cndmask_b32_e64 v19, 0, 1, s7
	v_cmp_gt_u32_e64 s7, s27, v17
	v_cmp_gt_u32_e64 s10, s27, v18
	v_lshlrev_b16 v16, 8, v20
	v_add_nc_u32_e32 v18, 6, v5
	v_lshlrev_b16 v17, 8, v19
	s_and_b32 s7, s7, vcc_lo
	v_cmp_ne_u16_e32 vcc_lo, v12, v6
	s_wait_alu 0xfffe
	v_cndmask_b32_e64 v19, 0, 1, s7
	s_and_b32 s7, s10, s9
	v_add_nc_u32_e32 v12, 8, v5
	s_wait_alu 0xfffe
	v_cndmask_b32_e64 v20, 0, 1, s7
	v_cmp_gt_u32_e64 s7, s27, v18
	v_lshlrev_b16 v18, 8, v19
	v_cmp_ne_u16_e64 s9, v11, v6
	v_cmp_gt_u32_e64 s10, s27, v12
	v_lshlrev_b16 v19, 8, v20
	v_add_nc_u32_e32 v11, 9, v5
	v_lshrrev_b32_e32 v12, 8, v18
	v_cmp_ne_u16_e64 s11, v4, v6
	v_cmp_ne_u16_e64 s14, v13, v6
	v_lshrrev_b32_e32 v18, 8, v19
	v_add_nc_u32_e32 v19, 11, v5
	v_cmp_gt_u32_e64 s12, s27, v11
	v_add_nc_u32_e32 v11, 10, v5
	v_cmp_ne_u16_e64 s13, v10, v6
	v_cmp_ne_u16_e64 s17, v15, v6
	v_cmp_gt_u32_e64 s15, s27, v19
	s_and_b32 s11, s12, s11
	v_cmp_ne_u16_e64 s2, v52, v6
	s_wait_alu 0xfffe
	v_cndmask_b32_e64 v10, 0, 1, s11
	v_cmp_gt_u32_e64 s11, s27, v11
	s_and_b32 s12, s15, s14
	v_add_nc_u32_e32 v11, 12, v5
	v_cndmask_b32_e64 v19, 0, 1, s12
	v_cmp_ne_u16_e64 s12, v9, v6
	v_add_nc_u32_e32 v9, 13, v5
	v_cmp_ne_u16_e64 s15, v14, v6
	v_cmp_gt_u32_e64 s14, s27, v11
	v_lshlrev_b16 v11, 8, v19
	v_add_nc_u32_e32 v19, 15, v5
	v_cmp_gt_u32_e64 s16, s27, v9
	v_cmp_gt_u32_e64 s3, s27, v5
	v_cmp_ne_u16_e64 s5, v51, v6
	v_cmp_ne_u16_e64 s19, v8, v6
	v_cmp_gt_u32_e64 s18, s27, v19
	s_and_b32 s15, s16, s15
	v_add_nc_u32_e32 v8, 16, v5
	v_cndmask_b32_e64 v9, 0, 1, s15
	s_and_b32 s2, s3, s2
	s_and_b32 s15, s18, s17
	v_add_nc_u32_e32 v20, 14, v5
	s_wait_alu 0xfffe
	v_cndmask_b32_e64 v19, 0, 1, s15
	v_cmp_ne_u16_e64 s15, v7, v6
	v_lshlrev_b16 v7, 8, v9
	v_lshrrev_b32_e32 v9, 8, v16
	v_lshrrev_b32_e32 v16, 8, v17
	v_cndmask_b32_e64 v17, 0, 1, s2
	s_and_b32 s2, s6, s5
	v_cmp_gt_u32_e64 s16, s27, v8
	v_lshlrev_b16 v8, 8, v19
	v_lshlrev_b16 v16, 8, v16
	s_wait_alu 0xfffe
	v_cndmask_b32_e64 v19, 0, 1, s2
	s_and_b32 s2, s8, s4
	v_cmp_gt_u32_e64 s17, s27, v20
	v_lshlrev_b16 v9, 8, v9
	v_lshlrev_b16 v18, 8, v18
	s_wait_alu 0xfffe
	v_cndmask_b32_e64 v20, 0, 1, s2
	v_or_b32_e32 v16, v19, v16
	v_add_nc_u32_e32 v5, 17, v5
	v_or_b32_e32 v9, v17, v9
	v_lshlrev_b16 v10, 8, v10
	v_or_b32_e32 v17, v20, v18
	s_and_b32 s4, s7, vcc_lo
	v_cmp_ne_u16_e64 s3, v50, v6
	v_lshlrev_b32_e32 v6, 16, v16
	s_wait_alu 0xfffe
	v_cndmask_b32_e64 v16, 0, 1, s4
	s_and_b32 s4, s10, s9
	v_cmp_gt_u32_e64 s2, s27, v5
	v_and_b32_e32 v5, 0xffff, v9
	v_and_b32_e32 v9, 0xffff, v17
	s_wait_alu 0xfffe
	v_cndmask_b32_e64 v17, 0, 1, s4
	s_and_b32 s4, s11, s13
	v_lshrrev_b32_e32 v8, 8, v8
	v_lshrrev_b32_e32 v7, 8, v7
	;; [unrolled: 1-line block ×4, first 2 shown]
	s_wait_alu 0xfffe
	v_cndmask_b32_e64 v18, 0, 1, s4
	s_and_b32 s4, s14, s12
	v_lshlrev_b16 v12, 8, v12
	s_wait_alu 0xfffe
	v_cndmask_b32_e64 v19, 0, 1, s4
	s_and_b32 s4, s17, s19
	v_lshlrev_b16 v10, 8, v10
	v_lshlrev_b16 v11, 8, v11
	;; [unrolled: 1-line block ×4, first 2 shown]
	s_wait_alu 0xfffe
	v_cndmask_b32_e64 v20, 0, 1, s4
	v_or_b32_e32 v12, v16, v12
	v_or_b32_e32 v10, v17, v10
	;; [unrolled: 1-line block ×5, first 2 shown]
	v_lshlrev_b32_e32 v12, 16, v12
	v_and_b32_e32 v10, 0xffff, v10
	v_lshlrev_b32_e32 v11, 16, v11
	v_and_b32_e32 v7, 0xffff, v7
	v_lshlrev_b32_e32 v8, 16, v8
	s_and_b32 s15, s16, s15
	s_and_b32 s2, s2, s3
	s_wait_alu 0xfffe
	v_cndmask_b32_e64 v53, 0, 1, s15
	v_or_b32_e32 v48, v5, v6
	v_or_b32_e32 v57, v9, v12
	;; [unrolled: 1-line block ×4, first 2 shown]
	s_and_not1_b32 s3, s26, exec_lo
	s_and_b32 s2, s2, exec_lo
	s_wait_alu 0xfffe
	s_or_b32 s26, s3, s2
.LBB249_44:
	v_dual_mov_b32 v6, 0 :: v_dual_and_b32 v25, 0xff, v48
	v_bfe_u32 v24, v48, 8, 8
	s_wait_alu 0xfffe
	v_cndmask_b32_e64 v5, 0, 1, s26
	v_bfe_u32 v31, v48, 16, 8
	v_lshrrev_b32_e32 v60, 24, v48
	v_and_b32_e32 v30, 0xff, v57
	v_bfe_u32 v29, v57, 8, 8
	v_add3_u32 v5, v25, v5, v24
	v_bfe_u32 v28, v57, 16, 8
	v_lshrrev_b32_e32 v59, 24, v57
	v_and_b32_e32 v27, 0xff, v55
	v_bfe_u32 v26, v55, 8, 8
	v_add_co_u32 v5, s2, v5, v31
	s_wait_alu 0xf1ff
	v_add_co_ci_u32_e64 v7, null, 0, 0, s2
	v_bfe_u32 v64, v55, 16, 8
	s_delay_alu instid0(VALU_DEP_3) | instskip(SKIP_1) | instid1(VALU_DEP_3)
	v_add_co_u32 v5, vcc_lo, v5, v60
	s_wait_alu 0xfffd
	v_add_co_ci_u32_e64 v7, null, 0, v7, vcc_lo
	v_lshrrev_b32_e32 v58, 24, v55
	s_delay_alu instid0(VALU_DEP_3) | instskip(SKIP_1) | instid1(VALU_DEP_3)
	v_add_co_u32 v5, vcc_lo, v5, v30
	s_wait_alu 0xfffd
	v_add_co_ci_u32_e64 v7, null, 0, v7, vcc_lo
	v_and_b32_e32 v63, 0xff, v54
	s_delay_alu instid0(VALU_DEP_3) | instskip(SKIP_1) | instid1(VALU_DEP_3)
	v_add_co_u32 v5, vcc_lo, v5, v29
	s_wait_alu 0xfffd
	v_add_co_ci_u32_e64 v7, null, 0, v7, vcc_lo
	v_bfe_u32 v62, v54, 8, 8
	s_delay_alu instid0(VALU_DEP_3) | instskip(SKIP_1) | instid1(VALU_DEP_3)
	v_add_co_u32 v5, vcc_lo, v5, v28
	s_wait_alu 0xfffd
	v_add_co_ci_u32_e64 v7, null, 0, v7, vcc_lo
	v_bfe_u32 v61, v54, 16, 8
	s_delay_alu instid0(VALU_DEP_3) | instskip(SKIP_1) | instid1(VALU_DEP_3)
	v_add_co_u32 v5, vcc_lo, v5, v59
	s_wait_alu 0xfffd
	v_add_co_ci_u32_e64 v7, null, 0, v7, vcc_lo
	s_load_b64 s[6:7], s[0:1], 0x60
	v_add_co_u32 v5, vcc_lo, v5, v27
	s_wait_alu 0xfffd
	v_add_co_ci_u32_e64 v7, null, 0, v7, vcc_lo
	v_lshrrev_b32_e32 v56, 24, v54
	s_delay_alu instid0(VALU_DEP_3) | instskip(SKIP_1) | instid1(VALU_DEP_3)
	v_add_co_u32 v5, vcc_lo, v5, v26
	s_wait_alu 0xfffd
	v_add_co_ci_u32_e64 v7, null, 0, v7, vcc_lo
	v_mbcnt_lo_u32_b32 v32, -1, 0
	s_delay_alu instid0(VALU_DEP_3) | instskip(SKIP_1) | instid1(VALU_DEP_3)
	v_add_co_u32 v5, vcc_lo, v5, v64
	s_wait_alu 0xfffd
	v_add_co_ci_u32_e64 v7, null, 0, v7, vcc_lo
	v_and_b32_e32 v49, 0xff, v53
	s_delay_alu instid0(VALU_DEP_3) | instskip(SKIP_1) | instid1(VALU_DEP_3)
	v_add_co_u32 v5, vcc_lo, v5, v58
	s_wait_alu 0xfffd
	v_add_co_ci_u32_e64 v7, null, 0, v7, vcc_lo
	v_and_b32_e32 v33, 15, v32
	s_delay_alu instid0(VALU_DEP_3) | instskip(SKIP_1) | instid1(VALU_DEP_3)
	v_add_co_u32 v5, vcc_lo, v5, v63
	s_wait_alu 0xfffd
	v_add_co_ci_u32_e64 v7, null, 0, v7, vcc_lo
	s_delay_alu instid0(VALU_DEP_3) | instskip(NEXT) | instid1(VALU_DEP_3)
	v_cmp_ne_u32_e64 s2, 0, v33
	v_add_co_u32 v5, vcc_lo, v5, v62
	s_wait_alu 0xfffd
	s_delay_alu instid0(VALU_DEP_3)
	v_add_co_ci_u32_e64 v7, null, 0, v7, vcc_lo
	s_cmp_lg_u32 ttmp9, 0
	v_add_co_u32 v5, vcc_lo, v5, v61
	s_wait_alu 0xfffd
	v_add_co_ci_u32_e64 v7, null, 0, v7, vcc_lo
	s_mov_b32 s3, -1
	v_add_co_u32 v5, vcc_lo, v5, v56
	s_wait_alu 0xfffd
	v_add_co_ci_u32_e64 v7, null, 0, v7, vcc_lo
	s_delay_alu instid0(VALU_DEP_2) | instskip(SKIP_1) | instid1(VALU_DEP_2)
	v_add_co_u32 v16, vcc_lo, v5, v49
	s_wait_alu 0xfffd
	v_add_co_ci_u32_e64 v17, null, 0, v7, vcc_lo
	s_cbranch_scc0 .LBB249_103
; %bb.45:
	v_mov_b32_e32 v7, v16
	v_mov_b32_dpp v5, v16 row_shr:1 row_mask:0xf bank_mask:0xf
	v_mov_b32_dpp v10, v6 row_shr:1 row_mask:0xf bank_mask:0xf
	v_dual_mov_b32 v9, v16 :: v_dual_mov_b32 v8, v17
	s_and_saveexec_b32 s3, s2
; %bb.46:
	s_delay_alu instid0(VALU_DEP_3) | instskip(SKIP_2) | instid1(VALU_DEP_2)
	v_add_co_u32 v9, vcc_lo, v16, v5
	s_wait_alu 0xfffd
	v_add_co_ci_u32_e64 v6, null, 0, v17, vcc_lo
	v_add_co_u32 v5, vcc_lo, 0, v9
	s_wait_alu 0xfffd
	s_delay_alu instid0(VALU_DEP_2) | instskip(NEXT) | instid1(VALU_DEP_1)
	v_add_co_ci_u32_e64 v6, null, v10, v6, vcc_lo
	v_dual_mov_b32 v8, v6 :: v_dual_mov_b32 v7, v5
; %bb.47:
	s_wait_alu 0xfffe
	s_or_b32 exec_lo, exec_lo, s3
	v_mov_b32_dpp v5, v9 row_shr:2 row_mask:0xf bank_mask:0xf
	v_mov_b32_dpp v10, v6 row_shr:2 row_mask:0xf bank_mask:0xf
	v_cmp_lt_u32_e32 vcc_lo, 1, v33
	s_and_saveexec_b32 s4, vcc_lo
; %bb.48:
	s_delay_alu instid0(VALU_DEP_3) | instskip(SKIP_2) | instid1(VALU_DEP_2)
	v_add_co_u32 v9, s3, v7, v5
	s_wait_alu 0xf1ff
	v_add_co_ci_u32_e64 v6, null, 0, v8, s3
	v_add_co_u32 v5, s3, 0, v9
	s_wait_alu 0xf1ff
	s_delay_alu instid0(VALU_DEP_2) | instskip(NEXT) | instid1(VALU_DEP_1)
	v_add_co_ci_u32_e64 v6, null, v10, v6, s3
	v_dual_mov_b32 v8, v6 :: v_dual_mov_b32 v7, v5
; %bb.49:
	s_wait_alu 0xfffe
	s_or_b32 exec_lo, exec_lo, s4
	v_mov_b32_dpp v5, v9 row_shr:4 row_mask:0xf bank_mask:0xf
	v_mov_b32_dpp v10, v6 row_shr:4 row_mask:0xf bank_mask:0xf
	v_cmp_lt_u32_e64 s3, 3, v33
	s_and_saveexec_b32 s5, s3
; %bb.50:
	v_add_co_u32 v9, s4, v7, v5
	s_wait_alu 0xf1ff
	v_add_co_ci_u32_e64 v6, null, 0, v8, s4
	s_delay_alu instid0(VALU_DEP_2) | instskip(SKIP_1) | instid1(VALU_DEP_2)
	v_add_co_u32 v5, s4, 0, v9
	s_wait_alu 0xf1ff
	v_add_co_ci_u32_e64 v6, null, v10, v6, s4
	s_delay_alu instid0(VALU_DEP_1)
	v_dual_mov_b32 v8, v6 :: v_dual_mov_b32 v7, v5
; %bb.51:
	s_wait_alu 0xfffe
	s_or_b32 exec_lo, exec_lo, s5
	v_mov_b32_dpp v10, v9 row_shr:8 row_mask:0xf bank_mask:0xf
	v_mov_b32_dpp v5, v6 row_shr:8 row_mask:0xf bank_mask:0xf
	v_cmp_lt_u32_e64 s4, 7, v33
	s_and_saveexec_b32 s8, s4
; %bb.52:
	v_add_co_u32 v9, s5, v7, v10
	s_wait_alu 0xf1ff
	v_add_co_ci_u32_e64 v6, null, 0, v8, s5
	s_delay_alu instid0(VALU_DEP_2) | instskip(SKIP_1) | instid1(VALU_DEP_2)
	v_add_co_u32 v7, s5, 0, v9
	s_wait_alu 0xf1ff
	v_add_co_ci_u32_e64 v8, null, v5, v6, s5
	s_delay_alu instid0(VALU_DEP_1)
	v_mov_b32_e32 v6, v8
; %bb.53:
	s_wait_alu 0xfffe
	s_or_b32 exec_lo, exec_lo, s8
	ds_swizzle_b32 v5, v9 offset:swizzle(BROADCAST,32,15)
	ds_swizzle_b32 v10, v6 offset:swizzle(BROADCAST,32,15)
	v_and_b32_e32 v11, 16, v32
	s_mov_b32 s8, exec_lo
	s_delay_alu instid0(VALU_DEP_1)
	v_cmpx_ne_u32_e32 0, v11
	s_cbranch_execz .LBB249_55
; %bb.54:
	s_wait_dscnt 0x1
	v_add_co_u32 v9, s5, v7, v5
	s_wait_alu 0xf1ff
	v_add_co_ci_u32_e64 v6, null, 0, v8, s5
	s_delay_alu instid0(VALU_DEP_2) | instskip(SKIP_2) | instid1(VALU_DEP_2)
	v_add_co_u32 v5, s5, 0, v9
	s_wait_dscnt 0x0
	s_wait_alu 0xf1ff
	v_add_co_ci_u32_e64 v6, null, v10, v6, s5
	s_delay_alu instid0(VALU_DEP_1)
	v_dual_mov_b32 v8, v6 :: v_dual_mov_b32 v7, v5
.LBB249_55:
	s_wait_alu 0xfffe
	s_or_b32 exec_lo, exec_lo, s8
	s_wait_dscnt 0x1
	v_and_b32_e32 v5, 0x1e0, v0
	s_mov_b32 s8, exec_lo
	s_delay_alu instid0(VALU_DEP_1) | instskip(SKIP_1) | instid1(VALU_DEP_1)
	v_min_u32_e32 v5, 0x160, v5
	s_wait_dscnt 0x0
	v_or_b32_e32 v10, 31, v5
	v_lshrrev_b32_e32 v5, 5, v0
	s_delay_alu instid0(VALU_DEP_2)
	v_cmpx_eq_u32_e64 v0, v10
; %bb.56:
	s_delay_alu instid0(VALU_DEP_2)
	v_lshlrev_b32_e32 v10, 3, v5
	ds_store_b64 v10, v[7:8]
; %bb.57:
	s_wait_alu 0xfffe
	s_or_b32 exec_lo, exec_lo, s8
	s_delay_alu instid0(SALU_CYCLE_1)
	s_mov_b32 s8, exec_lo
	s_wait_loadcnt_dscnt 0x0
	s_barrier_signal -1
	s_barrier_wait -1
	global_inv scope:SCOPE_SE
	v_cmpx_gt_u32_e32 12, v0
	s_cbranch_execz .LBB249_67
; %bb.58:
	v_lshlrev_b32_e32 v10, 3, v0
	ds_load_b64 v[7:8], v10
	s_wait_dscnt 0x0
	v_mov_b32_dpp v18, v7 row_shr:1 row_mask:0xf bank_mask:0xf
	v_mov_b32_dpp v12, v8 row_shr:1 row_mask:0xf bank_mask:0xf
	v_mov_b32_e32 v11, v7
	s_and_saveexec_b32 s9, s2
; %bb.59:
	s_delay_alu instid0(VALU_DEP_3) | instskip(SKIP_2) | instid1(VALU_DEP_2)
	v_add_co_u32 v11, s5, v7, v18
	s_wait_alu 0xf1ff
	v_add_co_ci_u32_e64 v8, null, 0, v8, s5
	v_add_co_u32 v7, s5, 0, v11
	s_wait_alu 0xf1ff
	s_delay_alu instid0(VALU_DEP_2)
	v_add_co_ci_u32_e64 v8, null, v12, v8, s5
; %bb.60:
	s_wait_alu 0xfffe
	s_or_b32 exec_lo, exec_lo, s9
	v_mov_b32_dpp v18, v11 row_shr:2 row_mask:0xf bank_mask:0xf
	s_delay_alu instid0(VALU_DEP_2)
	v_mov_b32_dpp v12, v8 row_shr:2 row_mask:0xf bank_mask:0xf
	s_and_saveexec_b32 s5, vcc_lo
; %bb.61:
	s_delay_alu instid0(VALU_DEP_2) | instskip(SKIP_2) | instid1(VALU_DEP_2)
	v_add_co_u32 v11, vcc_lo, v7, v18
	s_wait_alu 0xfffd
	v_add_co_ci_u32_e64 v8, null, 0, v8, vcc_lo
	v_add_co_u32 v7, vcc_lo, 0, v11
	s_wait_alu 0xfffd
	s_delay_alu instid0(VALU_DEP_2)
	v_add_co_ci_u32_e64 v8, null, v12, v8, vcc_lo
; %bb.62:
	s_wait_alu 0xfffe
	s_or_b32 exec_lo, exec_lo, s5
	v_mov_b32_dpp v18, v11 row_shr:4 row_mask:0xf bank_mask:0xf
	s_delay_alu instid0(VALU_DEP_2)
	v_mov_b32_dpp v12, v8 row_shr:4 row_mask:0xf bank_mask:0xf
	s_and_saveexec_b32 s5, s3
; %bb.63:
	s_delay_alu instid0(VALU_DEP_2) | instskip(SKIP_2) | instid1(VALU_DEP_2)
	v_add_co_u32 v11, vcc_lo, v7, v18
	s_wait_alu 0xfffd
	v_add_co_ci_u32_e64 v8, null, 0, v8, vcc_lo
	v_add_co_u32 v7, vcc_lo, 0, v11
	s_wait_alu 0xfffd
	s_delay_alu instid0(VALU_DEP_2)
	v_add_co_ci_u32_e64 v8, null, v12, v8, vcc_lo
; %bb.64:
	s_wait_alu 0xfffe
	s_or_b32 exec_lo, exec_lo, s5
	v_mov_b32_dpp v12, v11 row_shr:8 row_mask:0xf bank_mask:0xf
	s_delay_alu instid0(VALU_DEP_2)
	v_mov_b32_dpp v11, v8 row_shr:8 row_mask:0xf bank_mask:0xf
	s_and_saveexec_b32 s3, s4
; %bb.65:
	s_delay_alu instid0(VALU_DEP_2) | instskip(SKIP_2) | instid1(VALU_DEP_2)
	v_add_co_u32 v7, vcc_lo, v7, v12
	s_wait_alu 0xfffd
	v_add_co_ci_u32_e64 v8, null, 0, v8, vcc_lo
	v_add_co_u32 v7, vcc_lo, v7, 0
	s_wait_alu 0xfffd
	s_delay_alu instid0(VALU_DEP_2)
	v_add_co_ci_u32_e64 v8, null, v8, v11, vcc_lo
; %bb.66:
	s_wait_alu 0xfffe
	s_or_b32 exec_lo, exec_lo, s3
	ds_store_b64 v10, v[7:8]
.LBB249_67:
	s_wait_alu 0xfffe
	s_or_b32 exec_lo, exec_lo, s8
	s_delay_alu instid0(SALU_CYCLE_1)
	s_mov_b32 s4, exec_lo
	v_cmp_gt_u32_e32 vcc_lo, 32, v0
	s_wait_loadcnt_dscnt 0x0
	s_barrier_signal -1
	s_barrier_wait -1
	global_inv scope:SCOPE_SE
                                        ; implicit-def: $vgpr18_vgpr19
	v_cmpx_lt_u32_e32 31, v0
	s_cbranch_execz .LBB249_69
; %bb.68:
	v_lshl_add_u32 v5, v5, 3, -8
	ds_load_b64 v[18:19], v5
	s_wait_dscnt 0x0
	v_add_co_u32 v9, s3, v9, v18
	s_wait_alu 0xf1ff
	v_add_co_ci_u32_e64 v6, null, v6, v19, s3
.LBB249_69:
	s_wait_alu 0xfffe
	s_or_b32 exec_lo, exec_lo, s4
	v_sub_co_u32 v5, s3, v32, 1
	s_delay_alu instid0(VALU_DEP_1) | instskip(SKIP_1) | instid1(VALU_DEP_1)
	v_cmp_gt_i32_e64 s4, 0, v5
	s_wait_alu 0xf1ff
	v_cndmask_b32_e64 v5, v5, v32, s4
	s_delay_alu instid0(VALU_DEP_1)
	v_lshlrev_b32_e32 v5, 2, v5
	ds_bpermute_b32 v34, v5, v9
	ds_bpermute_b32 v35, v5, v6
	s_and_saveexec_b32 s4, vcc_lo
	s_cbranch_execz .LBB249_108
; %bb.70:
	v_mov_b32_e32 v8, 0
	ds_load_b64 v[5:6], v8 offset:88
	s_and_saveexec_b32 s5, s3
	s_cbranch_execz .LBB249_72
; %bb.71:
	s_add_co_i32 s8, ttmp9, 32
	s_mov_b32 s9, 0
	s_wait_alu 0xfffe
	s_lshl_b64 s[8:9], s[8:9], 4
	s_wait_kmcnt 0x0
	s_wait_alu 0xfffe
	s_add_nc_u64 s[8:9], s[6:7], s[8:9]
	s_wait_alu 0xfffe
	v_dual_mov_b32 v7, 1 :: v_dual_mov_b32 v10, s9
	v_mov_b32_e32 v9, s8
	s_wait_dscnt 0x0
	;;#ASMSTART
	global_store_b128 v[9:10], v[5:8] off scope:SCOPE_DEV	
s_wait_storecnt 0x0
	;;#ASMEND
.LBB249_72:
	s_wait_alu 0xfffe
	s_or_b32 exec_lo, exec_lo, s5
	v_xad_u32 v20, v32, -1, ttmp9
	s_mov_b32 s8, 0
	s_mov_b32 s5, exec_lo
	s_delay_alu instid0(VALU_DEP_1) | instskip(NEXT) | instid1(VALU_DEP_1)
	v_add_nc_u32_e32 v7, 32, v20
	v_lshlrev_b64_e32 v[7:8], 4, v[7:8]
	s_wait_kmcnt 0x0
	s_delay_alu instid0(VALU_DEP_1) | instskip(SKIP_1) | instid1(VALU_DEP_2)
	v_add_co_u32 v7, vcc_lo, s6, v7
	s_wait_alu 0xfffd
	v_add_co_ci_u32_e64 v8, null, s7, v8, vcc_lo
	;;#ASMSTART
	global_load_b128 v[9:12], v[7:8] off scope:SCOPE_DEV	
s_wait_loadcnt 0x0
	;;#ASMEND
	v_and_b32_e32 v12, 0xff, v11
	s_delay_alu instid0(VALU_DEP_1)
	v_cmpx_eq_u16_e32 0, v12
	s_cbranch_execz .LBB249_75
.LBB249_73:                             ; =>This Inner Loop Header: Depth=1
	;;#ASMSTART
	global_load_b128 v[9:12], v[7:8] off scope:SCOPE_DEV	
s_wait_loadcnt 0x0
	;;#ASMEND
	v_and_b32_e32 v12, 0xff, v11
	s_delay_alu instid0(VALU_DEP_1)
	v_cmp_ne_u16_e32 vcc_lo, 0, v12
	s_wait_alu 0xfffe
	s_or_b32 s8, vcc_lo, s8
	s_wait_alu 0xfffe
	s_and_not1_b32 exec_lo, exec_lo, s8
	s_cbranch_execnz .LBB249_73
; %bb.74:
	s_or_b32 exec_lo, exec_lo, s8
.LBB249_75:
	s_wait_alu 0xfffe
	s_or_b32 exec_lo, exec_lo, s5
	v_cmp_ne_u32_e32 vcc_lo, 31, v32
	v_and_b32_e32 v8, 0xff, v11
	v_lshlrev_b32_e64 v37, v32, -1
	s_mov_b32 s5, exec_lo
	s_wait_alu 0xfffd
	v_add_co_ci_u32_e64 v7, null, 0, v32, vcc_lo
	v_cmp_eq_u16_e32 vcc_lo, 2, v8
	v_mov_b32_e32 v8, v9
	s_delay_alu instid0(VALU_DEP_3)
	v_lshlrev_b32_e32 v36, 2, v7
	s_wait_alu 0xfffd
	v_and_or_b32 v7, vcc_lo, v37, 0x80000000
	ds_bpermute_b32 v21, v36, v9
	ds_bpermute_b32 v12, v36, v10
	v_ctz_i32_b32_e32 v7, v7
	s_delay_alu instid0(VALU_DEP_1)
	v_cmpx_lt_u32_e64 v32, v7
	s_cbranch_execz .LBB249_77
; %bb.76:
	s_wait_dscnt 0x1
	v_add_co_u32 v8, vcc_lo, v9, v21
	s_wait_alu 0xfffd
	v_add_co_ci_u32_e64 v10, null, 0, v10, vcc_lo
	s_delay_alu instid0(VALU_DEP_2) | instskip(SKIP_2) | instid1(VALU_DEP_2)
	v_add_co_u32 v9, vcc_lo, 0, v8
	s_wait_dscnt 0x0
	s_wait_alu 0xfffd
	v_add_co_ci_u32_e64 v10, null, v12, v10, vcc_lo
.LBB249_77:
	s_wait_alu 0xfffe
	s_or_b32 exec_lo, exec_lo, s5
	v_cmp_gt_u32_e32 vcc_lo, 30, v32
	v_add_nc_u32_e32 v39, 2, v32
	s_mov_b32 s5, exec_lo
	s_wait_dscnt 0x0
	s_wait_alu 0xfffd
	v_cndmask_b32_e64 v12, 0, 2, vcc_lo
	s_delay_alu instid0(VALU_DEP_1)
	v_add_lshl_u32 v38, v12, v32, 2
	ds_bpermute_b32 v21, v38, v8
	ds_bpermute_b32 v12, v38, v10
	v_cmpx_le_u32_e64 v39, v7
	s_cbranch_execz .LBB249_79
; %bb.78:
	s_wait_dscnt 0x1
	v_add_co_u32 v8, vcc_lo, v9, v21
	s_wait_alu 0xfffd
	v_add_co_ci_u32_e64 v10, null, 0, v10, vcc_lo
	s_delay_alu instid0(VALU_DEP_2) | instskip(SKIP_2) | instid1(VALU_DEP_2)
	v_add_co_u32 v9, vcc_lo, 0, v8
	s_wait_dscnt 0x0
	s_wait_alu 0xfffd
	v_add_co_ci_u32_e64 v10, null, v12, v10, vcc_lo
.LBB249_79:
	s_wait_alu 0xfffe
	s_or_b32 exec_lo, exec_lo, s5
	v_cmp_gt_u32_e32 vcc_lo, 28, v32
	v_add_nc_u32_e32 v41, 4, v32
	s_mov_b32 s5, exec_lo
	s_wait_dscnt 0x0
	s_wait_alu 0xfffd
	v_cndmask_b32_e64 v12, 0, 4, vcc_lo
	s_delay_alu instid0(VALU_DEP_1)
	v_add_lshl_u32 v40, v12, v32, 2
	ds_bpermute_b32 v21, v40, v8
	ds_bpermute_b32 v12, v40, v10
	v_cmpx_le_u32_e64 v41, v7
	;; [unrolled: 25-line block ×3, first 2 shown]
	s_cbranch_execz .LBB249_83
; %bb.82:
	s_wait_dscnt 0x1
	v_add_co_u32 v8, vcc_lo, v9, v21
	s_wait_alu 0xfffd
	v_add_co_ci_u32_e64 v10, null, 0, v10, vcc_lo
	s_delay_alu instid0(VALU_DEP_2) | instskip(SKIP_2) | instid1(VALU_DEP_2)
	v_add_co_u32 v9, vcc_lo, 0, v8
	s_wait_dscnt 0x0
	s_wait_alu 0xfffd
	v_add_co_ci_u32_e64 v10, null, v12, v10, vcc_lo
.LBB249_83:
	s_wait_alu 0xfffe
	s_or_b32 exec_lo, exec_lo, s5
	v_lshl_or_b32 v44, v32, 2, 64
	v_add_nc_u32_e32 v45, 16, v32
	s_mov_b32 s5, exec_lo
	s_wait_dscnt 0x0
	ds_bpermute_b32 v12, v44, v8
	ds_bpermute_b32 v8, v44, v10
	v_cmpx_le_u32_e64 v45, v7
	s_cbranch_execz .LBB249_85
; %bb.84:
	s_wait_dscnt 0x1
	v_add_co_u32 v7, vcc_lo, v9, v12
	s_wait_alu 0xfffd
	v_add_co_ci_u32_e64 v10, null, 0, v10, vcc_lo
	s_delay_alu instid0(VALU_DEP_2) | instskip(SKIP_2) | instid1(VALU_DEP_2)
	v_add_co_u32 v9, vcc_lo, v7, 0
	s_wait_dscnt 0x0
	s_wait_alu 0xfffd
	v_add_co_ci_u32_e64 v10, null, v10, v8, vcc_lo
.LBB249_85:
	s_wait_alu 0xfffe
	s_or_b32 exec_lo, exec_lo, s5
	v_mov_b32_e32 v21, 0
	s_branch .LBB249_88
.LBB249_86:                             ;   in Loop: Header=BB249_88 Depth=1
	s_wait_alu 0xfffe
	s_or_b32 exec_lo, exec_lo, s5
	v_add_co_u32 v9, vcc_lo, v9, v7
	v_subrev_nc_u32_e32 v20, 32, v20
	s_wait_alu 0xfffd
	v_add_co_ci_u32_e64 v10, null, v10, v8, vcc_lo
	s_mov_b32 s5, 0
.LBB249_87:                             ;   in Loop: Header=BB249_88 Depth=1
	s_wait_alu 0xfffe
	s_and_b32 vcc_lo, exec_lo, s5
	s_wait_alu 0xfffe
	s_cbranch_vccnz .LBB249_104
.LBB249_88:                             ; =>This Loop Header: Depth=1
                                        ;     Child Loop BB249_91 Depth 2
	v_and_b32_e32 v7, 0xff, v11
	s_mov_b32 s5, -1
	s_delay_alu instid0(VALU_DEP_1)
	v_cmp_ne_u16_e32 vcc_lo, 2, v7
	s_wait_dscnt 0x0
	v_dual_mov_b32 v7, v9 :: v_dual_mov_b32 v8, v10
                                        ; implicit-def: $vgpr9_vgpr10
	s_cmp_lg_u32 vcc_lo, exec_lo
	s_cbranch_scc1 .LBB249_87
; %bb.89:                               ;   in Loop: Header=BB249_88 Depth=1
	v_lshlrev_b64_e32 v[9:10], 4, v[20:21]
	s_mov_b32 s5, exec_lo
	s_delay_alu instid0(VALU_DEP_1) | instskip(SKIP_1) | instid1(VALU_DEP_2)
	v_add_co_u32 v22, vcc_lo, s6, v9
	s_wait_alu 0xfffd
	v_add_co_ci_u32_e64 v23, null, s7, v10, vcc_lo
	;;#ASMSTART
	global_load_b128 v[9:12], v[22:23] off scope:SCOPE_DEV	
s_wait_loadcnt 0x0
	;;#ASMEND
	v_and_b32_e32 v12, 0xff, v11
	s_delay_alu instid0(VALU_DEP_1)
	v_cmpx_eq_u16_e32 0, v12
	s_cbranch_execz .LBB249_93
; %bb.90:                               ;   in Loop: Header=BB249_88 Depth=1
	s_mov_b32 s8, 0
.LBB249_91:                             ;   Parent Loop BB249_88 Depth=1
                                        ; =>  This Inner Loop Header: Depth=2
	;;#ASMSTART
	global_load_b128 v[9:12], v[22:23] off scope:SCOPE_DEV	
s_wait_loadcnt 0x0
	;;#ASMEND
	v_and_b32_e32 v12, 0xff, v11
	s_delay_alu instid0(VALU_DEP_1)
	v_cmp_ne_u16_e32 vcc_lo, 0, v12
	s_wait_alu 0xfffe
	s_or_b32 s8, vcc_lo, s8
	s_wait_alu 0xfffe
	s_and_not1_b32 exec_lo, exec_lo, s8
	s_cbranch_execnz .LBB249_91
; %bb.92:                               ;   in Loop: Header=BB249_88 Depth=1
	s_or_b32 exec_lo, exec_lo, s8
.LBB249_93:                             ;   in Loop: Header=BB249_88 Depth=1
	s_wait_alu 0xfffe
	s_or_b32 exec_lo, exec_lo, s5
	v_and_b32_e32 v12, 0xff, v11
	ds_bpermute_b32 v46, v36, v9
	ds_bpermute_b32 v23, v36, v10
	v_mov_b32_e32 v22, v9
	s_mov_b32 s5, exec_lo
	v_cmp_eq_u16_e32 vcc_lo, 2, v12
	s_wait_alu 0xfffd
	v_and_or_b32 v12, vcc_lo, v37, 0x80000000
	s_delay_alu instid0(VALU_DEP_1) | instskip(NEXT) | instid1(VALU_DEP_1)
	v_ctz_i32_b32_e32 v12, v12
	v_cmpx_lt_u32_e64 v32, v12
	s_cbranch_execz .LBB249_95
; %bb.94:                               ;   in Loop: Header=BB249_88 Depth=1
	s_wait_dscnt 0x1
	v_add_co_u32 v22, vcc_lo, v9, v46
	s_wait_alu 0xfffd
	v_add_co_ci_u32_e64 v10, null, 0, v10, vcc_lo
	s_delay_alu instid0(VALU_DEP_2) | instskip(SKIP_2) | instid1(VALU_DEP_2)
	v_add_co_u32 v9, vcc_lo, 0, v22
	s_wait_dscnt 0x0
	s_wait_alu 0xfffd
	v_add_co_ci_u32_e64 v10, null, v23, v10, vcc_lo
.LBB249_95:                             ;   in Loop: Header=BB249_88 Depth=1
	s_wait_alu 0xfffe
	s_or_b32 exec_lo, exec_lo, s5
	s_wait_dscnt 0x1
	ds_bpermute_b32 v46, v38, v22
	s_wait_dscnt 0x1
	ds_bpermute_b32 v23, v38, v10
	s_mov_b32 s5, exec_lo
	v_cmpx_le_u32_e64 v39, v12
	s_cbranch_execz .LBB249_97
; %bb.96:                               ;   in Loop: Header=BB249_88 Depth=1
	s_wait_dscnt 0x1
	v_add_co_u32 v22, vcc_lo, v9, v46
	s_wait_alu 0xfffd
	v_add_co_ci_u32_e64 v10, null, 0, v10, vcc_lo
	s_delay_alu instid0(VALU_DEP_2) | instskip(SKIP_2) | instid1(VALU_DEP_2)
	v_add_co_u32 v9, vcc_lo, 0, v22
	s_wait_dscnt 0x0
	s_wait_alu 0xfffd
	v_add_co_ci_u32_e64 v10, null, v23, v10, vcc_lo
.LBB249_97:                             ;   in Loop: Header=BB249_88 Depth=1
	s_wait_alu 0xfffe
	s_or_b32 exec_lo, exec_lo, s5
	s_wait_dscnt 0x1
	ds_bpermute_b32 v46, v40, v22
	s_wait_dscnt 0x1
	ds_bpermute_b32 v23, v40, v10
	s_mov_b32 s5, exec_lo
	v_cmpx_le_u32_e64 v41, v12
	;; [unrolled: 20-line block ×3, first 2 shown]
	s_cbranch_execz .LBB249_101
; %bb.100:                              ;   in Loop: Header=BB249_88 Depth=1
	s_wait_dscnt 0x1
	v_add_co_u32 v22, vcc_lo, v9, v46
	s_wait_alu 0xfffd
	v_add_co_ci_u32_e64 v10, null, 0, v10, vcc_lo
	s_delay_alu instid0(VALU_DEP_2) | instskip(SKIP_2) | instid1(VALU_DEP_2)
	v_add_co_u32 v9, vcc_lo, 0, v22
	s_wait_dscnt 0x0
	s_wait_alu 0xfffd
	v_add_co_ci_u32_e64 v10, null, v23, v10, vcc_lo
.LBB249_101:                            ;   in Loop: Header=BB249_88 Depth=1
	s_wait_alu 0xfffe
	s_or_b32 exec_lo, exec_lo, s5
	s_wait_dscnt 0x0
	ds_bpermute_b32 v23, v44, v22
	ds_bpermute_b32 v22, v44, v10
	s_mov_b32 s5, exec_lo
	v_cmpx_le_u32_e64 v45, v12
	s_cbranch_execz .LBB249_86
; %bb.102:                              ;   in Loop: Header=BB249_88 Depth=1
	s_wait_dscnt 0x1
	v_add_co_u32 v9, vcc_lo, v9, v23
	s_wait_alu 0xfffd
	v_add_co_ci_u32_e64 v10, null, 0, v10, vcc_lo
	s_delay_alu instid0(VALU_DEP_2) | instskip(SKIP_2) | instid1(VALU_DEP_2)
	v_add_co_u32 v9, vcc_lo, v9, 0
	s_wait_dscnt 0x0
	s_wait_alu 0xfffd
	v_add_co_ci_u32_e64 v10, null, v10, v22, vcc_lo
	s_branch .LBB249_86
.LBB249_103:
                                        ; implicit-def: $vgpr7_vgpr8
                                        ; implicit-def: $vgpr36_vgpr37
	s_wait_alu 0xfffe
	s_and_b32 vcc_lo, exec_lo, s3
	s_wait_alu 0xfffe
	s_cbranch_vccnz .LBB249_109
	s_branch .LBB249_136
.LBB249_104:
	s_and_saveexec_b32 s5, s3
	s_cbranch_execz .LBB249_106
; %bb.105:
	s_add_co_i32 s8, ttmp9, 32
	s_mov_b32 s9, 0
	v_add_co_u32 v9, vcc_lo, v7, v5
	s_wait_alu 0xfffe
	s_lshl_b64 s[8:9], s[8:9], 4
	v_dual_mov_b32 v11, 2 :: v_dual_mov_b32 v12, 0
	s_wait_alu 0xfffe
	s_add_nc_u64 s[8:9], s[6:7], s[8:9]
	s_wait_alu 0xfffd
	v_add_co_ci_u32_e64 v10, null, v8, v6, vcc_lo
	s_wait_alu 0xfffe
	v_dual_mov_b32 v21, s9 :: v_dual_mov_b32 v20, s8
	;;#ASMSTART
	global_store_b128 v[20:21], v[9:12] off scope:SCOPE_DEV	
s_wait_storecnt 0x0
	;;#ASMEND
	ds_store_b128 v12, v[5:8] offset:13824
.LBB249_106:
	s_wait_alu 0xfffe
	s_or_b32 exec_lo, exec_lo, s5
	v_cmp_eq_u32_e32 vcc_lo, 0, v0
	s_and_b32 exec_lo, exec_lo, vcc_lo
; %bb.107:
	v_mov_b32_e32 v5, 0
	ds_store_b64 v5, v[7:8] offset:88
.LBB249_108:
	s_wait_alu 0xfffe
	s_or_b32 exec_lo, exec_lo, s4
	s_wait_dscnt 0x0
	v_cndmask_b32_e64 v12, v35, v19, s3
	v_cmp_ne_u32_e32 vcc_lo, 0, v0
	v_mov_b32_e32 v5, 0
	s_wait_loadcnt 0x0
	s_barrier_signal -1
	s_barrier_wait -1
	global_inv scope:SCOPE_SE
	s_wait_alu 0xfffd
	v_cndmask_b32_e32 v12, 0, v12, vcc_lo
	ds_load_b64 v[9:10], v5 offset:88
	s_wait_loadcnt_dscnt 0x0
	s_barrier_signal -1
	s_barrier_wait -1
	global_inv scope:SCOPE_SE
	ds_load_b128 v[5:8], v5 offset:13824
	v_cndmask_b32_e64 v11, v34, v18, s3
	s_delay_alu instid0(VALU_DEP_1) | instskip(NEXT) | instid1(VALU_DEP_1)
	v_cndmask_b32_e32 v11, 0, v11, vcc_lo
	v_add_co_u32 v36, vcc_lo, v9, v11
	s_wait_alu 0xfffd
	v_add_co_ci_u32_e64 v37, null, v10, v12, vcc_lo
	s_branch .LBB249_136
.LBB249_109:
	s_wait_dscnt 0x0
	v_dual_mov_b32 v6, 0 :: v_dual_mov_b32 v7, v16
	v_mov_b32_dpp v8, v16 row_shr:1 row_mask:0xf bank_mask:0xf
	s_delay_alu instid0(VALU_DEP_2)
	v_mov_b32_dpp v5, v6 row_shr:1 row_mask:0xf bank_mask:0xf
	s_and_saveexec_b32 s3, s2
; %bb.110:
	s_delay_alu instid0(VALU_DEP_2) | instskip(SKIP_2) | instid1(VALU_DEP_2)
	v_add_co_u32 v7, vcc_lo, v16, v8
	s_wait_alu 0xfffd
	v_add_co_ci_u32_e64 v6, null, 0, v17, vcc_lo
	v_add_co_u32 v16, vcc_lo, 0, v7
	s_wait_alu 0xfffd
	s_delay_alu instid0(VALU_DEP_2) | instskip(NEXT) | instid1(VALU_DEP_1)
	v_add_co_ci_u32_e64 v17, null, v5, v6, vcc_lo
	v_mov_b32_e32 v6, v17
; %bb.111:
	s_wait_alu 0xfffe
	s_or_b32 exec_lo, exec_lo, s3
	v_mov_b32_dpp v5, v7 row_shr:2 row_mask:0xf bank_mask:0xf
	s_delay_alu instid0(VALU_DEP_2)
	v_mov_b32_dpp v8, v6 row_shr:2 row_mask:0xf bank_mask:0xf
	v_cmp_lt_u32_e32 vcc_lo, 1, v33
	s_and_saveexec_b32 s4, vcc_lo
; %bb.112:
	s_delay_alu instid0(VALU_DEP_3) | instskip(SKIP_2) | instid1(VALU_DEP_2)
	v_add_co_u32 v7, s3, v16, v5
	s_wait_alu 0xf1ff
	v_add_co_ci_u32_e64 v6, null, 0, v17, s3
	v_add_co_u32 v5, s3, 0, v7
	s_wait_alu 0xf1ff
	s_delay_alu instid0(VALU_DEP_2) | instskip(NEXT) | instid1(VALU_DEP_1)
	v_add_co_ci_u32_e64 v6, null, v8, v6, s3
	v_dual_mov_b32 v17, v6 :: v_dual_mov_b32 v16, v5
; %bb.113:
	s_wait_alu 0xfffe
	s_or_b32 exec_lo, exec_lo, s4
	v_mov_b32_dpp v5, v7 row_shr:4 row_mask:0xf bank_mask:0xf
	v_mov_b32_dpp v8, v6 row_shr:4 row_mask:0xf bank_mask:0xf
	v_cmp_lt_u32_e64 s3, 3, v33
	s_and_saveexec_b32 s5, s3
; %bb.114:
	v_add_co_u32 v7, s4, v16, v5
	s_wait_alu 0xf1ff
	v_add_co_ci_u32_e64 v6, null, 0, v17, s4
	s_delay_alu instid0(VALU_DEP_2) | instskip(SKIP_1) | instid1(VALU_DEP_2)
	v_add_co_u32 v5, s4, 0, v7
	s_wait_alu 0xf1ff
	v_add_co_ci_u32_e64 v6, null, v8, v6, s4
	s_delay_alu instid0(VALU_DEP_1)
	v_dual_mov_b32 v17, v6 :: v_dual_mov_b32 v16, v5
; %bb.115:
	s_wait_alu 0xfffe
	s_or_b32 exec_lo, exec_lo, s5
	v_mov_b32_dpp v8, v7 row_shr:8 row_mask:0xf bank_mask:0xf
	v_mov_b32_dpp v5, v6 row_shr:8 row_mask:0xf bank_mask:0xf
	v_cmp_lt_u32_e64 s4, 7, v33
	s_and_saveexec_b32 s8, s4
; %bb.116:
	v_add_co_u32 v7, s5, v16, v8
	s_wait_alu 0xf1ff
	v_add_co_ci_u32_e64 v6, null, 0, v17, s5
	s_delay_alu instid0(VALU_DEP_2) | instskip(SKIP_1) | instid1(VALU_DEP_2)
	v_add_co_u32 v16, s5, 0, v7
	s_wait_alu 0xf1ff
	v_add_co_ci_u32_e64 v17, null, v5, v6, s5
	s_delay_alu instid0(VALU_DEP_1)
	v_mov_b32_e32 v6, v17
; %bb.117:
	s_wait_alu 0xfffe
	s_or_b32 exec_lo, exec_lo, s8
	ds_swizzle_b32 v7, v7 offset:swizzle(BROADCAST,32,15)
	ds_swizzle_b32 v5, v6 offset:swizzle(BROADCAST,32,15)
	v_and_b32_e32 v6, 16, v32
	s_mov_b32 s8, exec_lo
	s_delay_alu instid0(VALU_DEP_1)
	v_cmpx_ne_u32_e32 0, v6
	s_cbranch_execz .LBB249_119
; %bb.118:
	s_wait_dscnt 0x1
	v_add_co_u32 v6, s5, v16, v7
	s_wait_alu 0xf1ff
	v_add_co_ci_u32_e64 v7, null, 0, v17, s5
	s_delay_alu instid0(VALU_DEP_2) | instskip(SKIP_2) | instid1(VALU_DEP_2)
	v_add_co_u32 v16, s5, v6, 0
	s_wait_dscnt 0x0
	s_wait_alu 0xf1ff
	v_add_co_ci_u32_e64 v17, null, v7, v5, s5
.LBB249_119:
	s_wait_alu 0xfffe
	s_or_b32 exec_lo, exec_lo, s8
	s_wait_dscnt 0x0
	v_and_b32_e32 v5, 0x1e0, v0
	v_lshrrev_b32_e32 v7, 5, v0
	s_mov_b32 s8, exec_lo
	s_delay_alu instid0(VALU_DEP_2) | instskip(NEXT) | instid1(VALU_DEP_1)
	v_min_u32_e32 v5, 0x160, v5
	v_or_b32_e32 v5, 31, v5
	s_delay_alu instid0(VALU_DEP_1)
	v_cmpx_eq_u32_e64 v0, v5
; %bb.120:
	v_lshlrev_b32_e32 v5, 3, v7
	ds_store_b64 v5, v[16:17]
; %bb.121:
	s_wait_alu 0xfffe
	s_or_b32 exec_lo, exec_lo, s8
	s_delay_alu instid0(SALU_CYCLE_1)
	s_mov_b32 s8, exec_lo
	s_wait_loadcnt_dscnt 0x0
	s_barrier_signal -1
	s_barrier_wait -1
	global_inv scope:SCOPE_SE
	v_cmpx_gt_u32_e32 12, v0
	s_cbranch_execz .LBB249_131
; %bb.122:
	v_lshlrev_b32_e32 v8, 3, v0
	ds_load_b64 v[5:6], v8
	s_wait_dscnt 0x0
	v_mov_b32_dpp v11, v5 row_shr:1 row_mask:0xf bank_mask:0xf
	v_mov_b32_dpp v10, v6 row_shr:1 row_mask:0xf bank_mask:0xf
	v_mov_b32_e32 v9, v5
	s_and_saveexec_b32 s5, s2
; %bb.123:
	s_delay_alu instid0(VALU_DEP_3) | instskip(SKIP_2) | instid1(VALU_DEP_2)
	v_add_co_u32 v9, s2, v5, v11
	s_wait_alu 0xf1ff
	v_add_co_ci_u32_e64 v6, null, 0, v6, s2
	v_add_co_u32 v5, s2, 0, v9
	s_wait_alu 0xf1ff
	s_delay_alu instid0(VALU_DEP_2)
	v_add_co_ci_u32_e64 v6, null, v10, v6, s2
; %bb.124:
	s_wait_alu 0xfffe
	s_or_b32 exec_lo, exec_lo, s5
	v_mov_b32_dpp v11, v9 row_shr:2 row_mask:0xf bank_mask:0xf
	s_delay_alu instid0(VALU_DEP_2)
	v_mov_b32_dpp v10, v6 row_shr:2 row_mask:0xf bank_mask:0xf
	s_and_saveexec_b32 s2, vcc_lo
; %bb.125:
	s_delay_alu instid0(VALU_DEP_2) | instskip(SKIP_2) | instid1(VALU_DEP_2)
	v_add_co_u32 v9, vcc_lo, v5, v11
	s_wait_alu 0xfffd
	v_add_co_ci_u32_e64 v6, null, 0, v6, vcc_lo
	v_add_co_u32 v5, vcc_lo, 0, v9
	s_wait_alu 0xfffd
	s_delay_alu instid0(VALU_DEP_2)
	v_add_co_ci_u32_e64 v6, null, v10, v6, vcc_lo
; %bb.126:
	s_wait_alu 0xfffe
	s_or_b32 exec_lo, exec_lo, s2
	v_mov_b32_dpp v11, v9 row_shr:4 row_mask:0xf bank_mask:0xf
	s_delay_alu instid0(VALU_DEP_2)
	v_mov_b32_dpp v10, v6 row_shr:4 row_mask:0xf bank_mask:0xf
	s_and_saveexec_b32 s2, s3
; %bb.127:
	s_delay_alu instid0(VALU_DEP_2) | instskip(SKIP_2) | instid1(VALU_DEP_2)
	v_add_co_u32 v9, vcc_lo, v5, v11
	s_wait_alu 0xfffd
	v_add_co_ci_u32_e64 v6, null, 0, v6, vcc_lo
	v_add_co_u32 v5, vcc_lo, 0, v9
	s_wait_alu 0xfffd
	s_delay_alu instid0(VALU_DEP_2)
	v_add_co_ci_u32_e64 v6, null, v10, v6, vcc_lo
; %bb.128:
	s_wait_alu 0xfffe
	s_or_b32 exec_lo, exec_lo, s2
	v_mov_b32_dpp v10, v9 row_shr:8 row_mask:0xf bank_mask:0xf
	s_delay_alu instid0(VALU_DEP_2)
	v_mov_b32_dpp v9, v6 row_shr:8 row_mask:0xf bank_mask:0xf
	s_and_saveexec_b32 s2, s4
; %bb.129:
	s_delay_alu instid0(VALU_DEP_2) | instskip(SKIP_2) | instid1(VALU_DEP_2)
	v_add_co_u32 v5, vcc_lo, v5, v10
	s_wait_alu 0xfffd
	v_add_co_ci_u32_e64 v6, null, 0, v6, vcc_lo
	v_add_co_u32 v5, vcc_lo, v5, 0
	s_wait_alu 0xfffd
	s_delay_alu instid0(VALU_DEP_2)
	v_add_co_ci_u32_e64 v6, null, v6, v9, vcc_lo
; %bb.130:
	s_wait_alu 0xfffe
	s_or_b32 exec_lo, exec_lo, s2
	ds_store_b64 v8, v[5:6]
.LBB249_131:
	s_wait_alu 0xfffe
	s_or_b32 exec_lo, exec_lo, s8
	v_mov_b32_e32 v9, 0
	v_mov_b32_e32 v10, 0
	s_mov_b32 s2, exec_lo
	s_wait_loadcnt_dscnt 0x0
	s_barrier_signal -1
	s_barrier_wait -1
	global_inv scope:SCOPE_SE
	v_cmpx_lt_u32_e32 31, v0
; %bb.132:
	v_lshl_add_u32 v5, v7, 3, -8
	ds_load_b64 v[9:10], v5
; %bb.133:
	s_wait_alu 0xfffe
	s_or_b32 exec_lo, exec_lo, s2
	v_sub_co_u32 v5, vcc_lo, v32, 1
	v_mov_b32_e32 v8, 0
	s_delay_alu instid0(VALU_DEP_2) | instskip(SKIP_1) | instid1(VALU_DEP_1)
	v_cmp_gt_i32_e64 s2, 0, v5
	s_wait_alu 0xf1ff
	v_cndmask_b32_e64 v5, v5, v32, s2
	s_wait_dscnt 0x0
	v_add_co_u32 v6, s2, v9, v16
	s_wait_alu 0xf1ff
	v_add_co_ci_u32_e64 v7, null, v10, v17, s2
	v_lshlrev_b32_e32 v5, 2, v5
	v_cmp_eq_u32_e64 s2, 0, v0
	ds_bpermute_b32 v11, v5, v6
	ds_bpermute_b32 v12, v5, v7
	ds_load_b64 v[5:6], v8 offset:88
	s_and_saveexec_b32 s3, s2
	s_cbranch_execz .LBB249_135
; %bb.134:
	s_wait_kmcnt 0x0
	s_add_nc_u64 s[4:5], s[6:7], 0x200
	v_mov_b32_e32 v7, 2
	s_wait_alu 0xfffe
	v_dual_mov_b32 v17, s5 :: v_dual_mov_b32 v16, s4
	s_wait_dscnt 0x0
	;;#ASMSTART
	global_store_b128 v[16:17], v[5:8] off scope:SCOPE_DEV	
s_wait_storecnt 0x0
	;;#ASMEND
.LBB249_135:
	s_wait_alu 0xfffe
	s_or_b32 exec_lo, exec_lo, s3
	s_wait_dscnt 0x1
	s_wait_alu 0xfffd
	v_dual_cndmask_b32 v10, v12, v10 :: v_dual_cndmask_b32 v9, v11, v9
	v_mov_b32_e32 v7, 0
	v_mov_b32_e32 v8, 0
	s_wait_loadcnt_dscnt 0x0
	s_delay_alu instid0(VALU_DEP_3)
	v_cndmask_b32_e64 v37, v10, 0, s2
	v_cndmask_b32_e64 v36, v9, 0, s2
	s_barrier_signal -1
	s_barrier_wait -1
	global_inv scope:SCOPE_SE
.LBB249_136:
	s_delay_alu instid0(VALU_DEP_2) | instskip(SKIP_1) | instid1(VALU_DEP_2)
	v_add_co_u32 v46, vcc_lo, v36, v25
	s_wait_alu 0xfffd
	v_add_co_ci_u32_e64 v47, null, 0, v37, vcc_lo
	s_load_b64 s[2:3], s[0:1], 0x28
	v_add_co_u32 v44, vcc_lo, v46, v24
	s_wait_alu 0xfffd
	v_add_co_ci_u32_e64 v45, null, 0, v47, vcc_lo
	v_lshrrev_b32_e32 v69, 16, v57
	s_delay_alu instid0(VALU_DEP_3) | instskip(SKIP_1) | instid1(VALU_DEP_3)
	v_add_co_u32 v42, vcc_lo, v44, v31
	s_wait_alu 0xfffd
	v_add_co_ci_u32_e64 v43, null, 0, v45, vcc_lo
	v_lshrrev_b32_e32 v70, 8, v57
	s_delay_alu instid0(VALU_DEP_3) | instskip(SKIP_1) | instid1(VALU_DEP_3)
	;; [unrolled: 5-line block ×8, first 2 shown]
	v_add_co_u32 v26, vcc_lo, v28, v26
	s_wait_alu 0xfffd
	v_add_co_ci_u32_e64 v27, null, 0, v29, vcc_lo
	s_mov_b32 s1, -1
	v_add_co_u32 v24, vcc_lo, v26, v64
	s_wait_alu 0xfffd
	v_add_co_ci_u32_e64 v25, null, 0, v27, vcc_lo
	s_delay_alu instid0(VALU_DEP_2) | instskip(SKIP_1) | instid1(VALU_DEP_2)
	v_add_co_u32 v22, vcc_lo, v24, v58
	s_wait_alu 0xfffd
	v_add_co_ci_u32_e64 v23, null, 0, v25, vcc_lo
	s_delay_alu instid0(VALU_DEP_2) | instskip(SKIP_1) | instid1(VALU_DEP_2)
	;; [unrolled: 4-line block ×3, first 2 shown]
	v_add_co_u32 v16, vcc_lo, v20, v62
	s_wait_alu 0xfffd
	v_add_co_ci_u32_e64 v17, null, 0, v21, vcc_lo
	s_wait_dscnt 0x0
	v_cmp_gt_u64_e32 vcc_lo, 0x181, v[5:6]
	v_add_co_u32 v18, s0, v16, v61
	s_wait_alu 0xf1ff
	v_add_co_ci_u32_e64 v19, null, 0, v17, s0
	v_and_b32_e32 v61, 1, v48
	s_delay_alu instid0(VALU_DEP_3) | instskip(SKIP_1) | instid1(VALU_DEP_3)
	v_add_co_u32 v11, s0, v18, v56
	s_wait_alu 0xf1ff
	v_add_co_ci_u32_e64 v12, null, 0, v19, s0
	s_delay_alu instid0(VALU_DEP_2) | instskip(SKIP_1) | instid1(VALU_DEP_2)
	v_add_co_u32 v9, s0, v11, v49
	s_wait_alu 0xf1ff
	v_add_co_ci_u32_e64 v10, null, 0, v12, s0
	v_cmp_eq_u32_e64 s0, 1, v61
	s_cbranch_vccnz .LBB249_140
; %bb.137:
	s_wait_alu 0xfffe
	s_and_b32 vcc_lo, exec_lo, s1
	s_wait_alu 0xfffe
	s_cbranch_vccnz .LBB249_177
.LBB249_138:
	v_cmp_eq_u32_e32 vcc_lo, 0, v0
	s_and_b32 s0, vcc_lo, s24
	s_wait_alu 0xfffe
	s_and_saveexec_b32 s1, s0
	s_cbranch_execnz .LBB249_216
.LBB249_139:
	s_endpgm
.LBB249_140:
	v_add_co_u32 v48, vcc_lo, v7, v5
	s_wait_alu 0xfffd
	v_add_co_ci_u32_e64 v49, null, v8, v6, vcc_lo
	s_wait_kmcnt 0x0
	s_lshl_b64 s[4:5], s[22:23], 1
	s_wait_alu 0xfffe
	s_add_nc_u64 s[4:5], s[2:3], s[4:5]
	v_cmp_lt_u64_e32 vcc_lo, v[36:37], v[48:49]
	s_or_b32 s1, s25, vcc_lo
	s_wait_alu 0xfffe
	s_and_b32 s1, s1, s0
	s_wait_alu 0xfffe
	s_and_saveexec_b32 s0, s1
	s_cbranch_execz .LBB249_142
; %bb.141:
	v_lshlrev_b64_e32 v[62:63], 1, v[36:37]
	s_delay_alu instid0(VALU_DEP_1) | instskip(SKIP_1) | instid1(VALU_DEP_2)
	v_add_co_u32 v62, vcc_lo, s4, v62
	s_wait_alu 0xfffd
	v_add_co_ci_u32_e64 v63, null, s5, v63, vcc_lo
	global_store_b16 v[62:63], v52, off
.LBB249_142:
	s_wait_alu 0xfffe
	s_or_b32 exec_lo, exec_lo, s0
	v_and_b32_e32 v37, 1, v72
	v_cmp_lt_u64_e32 vcc_lo, v[46:47], v[48:49]
	s_delay_alu instid0(VALU_DEP_2)
	v_cmp_eq_u32_e64 s0, 1, v37
	s_or_b32 s1, s25, vcc_lo
	s_wait_alu 0xfffe
	s_and_b32 s1, s1, s0
	s_wait_alu 0xfffe
	s_and_saveexec_b32 s0, s1
	s_cbranch_execz .LBB249_144
; %bb.143:
	v_lshlrev_b64_e32 v[62:63], 1, v[46:47]
	s_delay_alu instid0(VALU_DEP_1) | instskip(SKIP_1) | instid1(VALU_DEP_2)
	v_add_co_u32 v62, vcc_lo, s4, v62
	s_wait_alu 0xfffd
	v_add_co_ci_u32_e64 v63, null, s5, v63, vcc_lo
	global_store_d16_hi_b16 v[62:63], v52, off
.LBB249_144:
	s_wait_alu 0xfffe
	s_or_b32 exec_lo, exec_lo, s0
	v_and_b32_e32 v37, 1, v71
	v_cmp_lt_u64_e32 vcc_lo, v[44:45], v[48:49]
	s_delay_alu instid0(VALU_DEP_2)
	v_cmp_eq_u32_e64 s0, 1, v37
	s_or_b32 s1, s25, vcc_lo
	s_wait_alu 0xfffe
	s_and_b32 s1, s1, s0
	s_wait_alu 0xfffe
	s_and_saveexec_b32 s0, s1
	s_cbranch_execz .LBB249_146
; %bb.145:
	v_lshlrev_b64_e32 v[62:63], 1, v[44:45]
	s_delay_alu instid0(VALU_DEP_1) | instskip(SKIP_1) | instid1(VALU_DEP_2)
	v_add_co_u32 v62, vcc_lo, s4, v62
	s_wait_alu 0xfffd
	v_add_co_ci_u32_e64 v63, null, s5, v63, vcc_lo
	global_store_b16 v[62:63], v51, off
.LBB249_146:
	s_wait_alu 0xfffe
	s_or_b32 exec_lo, exec_lo, s0
	v_and_b32_e32 v37, 1, v60
	v_cmp_lt_u64_e32 vcc_lo, v[42:43], v[48:49]
	s_delay_alu instid0(VALU_DEP_2)
	v_cmp_eq_u32_e64 s0, 1, v37
	s_or_b32 s1, s25, vcc_lo
	s_wait_alu 0xfffe
	s_and_b32 s1, s1, s0
	s_wait_alu 0xfffe
	s_and_saveexec_b32 s0, s1
	s_cbranch_execz .LBB249_148
; %bb.147:
	v_lshlrev_b64_e32 v[62:63], 1, v[42:43]
	s_delay_alu instid0(VALU_DEP_1) | instskip(SKIP_1) | instid1(VALU_DEP_2)
	v_add_co_u32 v62, vcc_lo, s4, v62
	s_wait_alu 0xfffd
	v_add_co_ci_u32_e64 v63, null, s5, v63, vcc_lo
	global_store_b16 v[62:63], v1, off
.LBB249_148:
	s_wait_alu 0xfffe
	s_or_b32 exec_lo, exec_lo, s0
	v_and_b32_e32 v37, 1, v57
	v_cmp_lt_u64_e32 vcc_lo, v[40:41], v[48:49]
	s_delay_alu instid0(VALU_DEP_2)
	v_cmp_eq_u32_e64 s0, 1, v37
	s_or_b32 s1, s25, vcc_lo
	s_wait_alu 0xfffe
	s_and_b32 s1, s1, s0
	s_wait_alu 0xfffe
	s_and_saveexec_b32 s0, s1
	s_cbranch_execz .LBB249_150
; %bb.149:
	v_lshlrev_b64_e32 v[62:63], 1, v[40:41]
	s_delay_alu instid0(VALU_DEP_1) | instskip(SKIP_1) | instid1(VALU_DEP_2)
	v_add_co_u32 v62, vcc_lo, s4, v62
	s_wait_alu 0xfffd
	v_add_co_ci_u32_e64 v63, null, s5, v63, vcc_lo
	global_store_d16_hi_b16 v[62:63], v1, off
.LBB249_150:
	s_wait_alu 0xfffe
	s_or_b32 exec_lo, exec_lo, s0
	v_and_b32_e32 v37, 1, v70
	v_cmp_lt_u64_e32 vcc_lo, v[38:39], v[48:49]
	s_delay_alu instid0(VALU_DEP_2)
	v_cmp_eq_u32_e64 s0, 1, v37
	s_or_b32 s1, s25, vcc_lo
	s_wait_alu 0xfffe
	s_and_b32 s1, s1, s0
	s_wait_alu 0xfffe
	s_and_saveexec_b32 s0, s1
	s_cbranch_execz .LBB249_152
; %bb.151:
	v_lshlrev_b64_e32 v[62:63], 1, v[38:39]
	s_delay_alu instid0(VALU_DEP_1) | instskip(SKIP_1) | instid1(VALU_DEP_2)
	v_add_co_u32 v62, vcc_lo, s4, v62
	s_wait_alu 0xfffd
	v_add_co_ci_u32_e64 v63, null, s5, v63, vcc_lo
	global_store_b16 v[62:63], v2, off
.LBB249_152:
	s_wait_alu 0xfffe
	s_or_b32 exec_lo, exec_lo, s0
	v_and_b32_e32 v37, 1, v69
	v_cmp_lt_u64_e32 vcc_lo, v[34:35], v[48:49]
	s_delay_alu instid0(VALU_DEP_2)
	v_cmp_eq_u32_e64 s0, 1, v37
	s_or_b32 s1, s25, vcc_lo
	s_wait_alu 0xfffe
	s_and_b32 s1, s1, s0
	s_wait_alu 0xfffe
	s_and_saveexec_b32 s0, s1
	s_cbranch_execz .LBB249_154
; %bb.153:
	v_lshlrev_b64_e32 v[62:63], 1, v[34:35]
	s_delay_alu instid0(VALU_DEP_1) | instskip(SKIP_1) | instid1(VALU_DEP_2)
	v_add_co_u32 v62, vcc_lo, s4, v62
	s_wait_alu 0xfffd
	v_add_co_ci_u32_e64 v63, null, s5, v63, vcc_lo
	global_store_d16_hi_b16 v[62:63], v2, off
.LBB249_154:
	;; [unrolled: 40-line block ×7, first 2 shown]
	s_wait_alu 0xfffe
	s_or_b32 exec_lo, exec_lo, s0
	v_cmp_lt_u64_e32 vcc_lo, v[9:10], v[48:49]
	s_or_b32 s0, s25, vcc_lo
	s_wait_alu 0xfffe
	s_and_b32 s1, s0, s26
	s_wait_alu 0xfffe
	s_and_saveexec_b32 s0, s1
	s_cbranch_execz .LBB249_176
; %bb.175:
	v_lshlrev_b64_e32 v[47:48], 1, v[9:10]
	s_delay_alu instid0(VALU_DEP_1) | instskip(SKIP_1) | instid1(VALU_DEP_2)
	v_add_co_u32 v47, vcc_lo, s4, v47
	s_wait_alu 0xfffd
	v_add_co_ci_u32_e64 v48, null, s5, v48, vcc_lo
	global_store_b16 v[47:48], v50, off
.LBB249_176:
	s_wait_alu 0xfffe
	s_or_b32 exec_lo, exec_lo, s0
	s_branch .LBB249_138
.LBB249_177:
	s_mov_b32 s0, exec_lo
	v_cmpx_eq_u32_e32 1, v61
; %bb.178:
	v_sub_nc_u32_e32 v10, v36, v7
	s_delay_alu instid0(VALU_DEP_1)
	v_lshlrev_b32_e32 v10, 1, v10
	ds_store_b16 v10, v52
; %bb.179:
	s_wait_alu 0xfffe
	s_or_b32 exec_lo, exec_lo, s0
	v_and_b32_e32 v10, 1, v72
	s_mov_b32 s0, exec_lo
	s_delay_alu instid0(VALU_DEP_1)
	v_cmpx_eq_u32_e32 1, v10
; %bb.180:
	v_sub_nc_u32_e32 v10, v46, v7
	s_delay_alu instid0(VALU_DEP_1)
	v_lshlrev_b32_e32 v10, 1, v10
	ds_store_b16_d16_hi v10, v52
; %bb.181:
	s_wait_alu 0xfffe
	s_or_b32 exec_lo, exec_lo, s0
	v_and_b32_e32 v10, 1, v71
	s_mov_b32 s0, exec_lo
	s_delay_alu instid0(VALU_DEP_1)
	v_cmpx_eq_u32_e32 1, v10
; %bb.182:
	v_sub_nc_u32_e32 v10, v44, v7
	s_delay_alu instid0(VALU_DEP_1)
	v_lshlrev_b32_e32 v10, 1, v10
	ds_store_b16 v10, v51
; %bb.183:
	s_wait_alu 0xfffe
	s_or_b32 exec_lo, exec_lo, s0
	v_and_b32_e32 v10, 1, v60
	s_mov_b32 s0, exec_lo
	s_delay_alu instid0(VALU_DEP_1)
	v_cmpx_eq_u32_e32 1, v10
; %bb.184:
	v_sub_nc_u32_e32 v10, v42, v7
	s_delay_alu instid0(VALU_DEP_1)
	v_lshlrev_b32_e32 v10, 1, v10
	ds_store_b16 v10, v1
; %bb.185:
	s_wait_alu 0xfffe
	s_or_b32 exec_lo, exec_lo, s0
	v_and_b32_e32 v10, 1, v57
	s_mov_b32 s0, exec_lo
	s_delay_alu instid0(VALU_DEP_1)
	v_cmpx_eq_u32_e32 1, v10
; %bb.186:
	v_sub_nc_u32_e32 v10, v40, v7
	s_delay_alu instid0(VALU_DEP_1)
	v_lshlrev_b32_e32 v10, 1, v10
	ds_store_b16_d16_hi v10, v1
; %bb.187:
	s_wait_alu 0xfffe
	s_or_b32 exec_lo, exec_lo, s0
	v_and_b32_e32 v1, 1, v70
	s_mov_b32 s0, exec_lo
	s_delay_alu instid0(VALU_DEP_1)
	v_cmpx_eq_u32_e32 1, v1
; %bb.188:
	v_sub_nc_u32_e32 v1, v38, v7
	s_delay_alu instid0(VALU_DEP_1)
	v_lshlrev_b32_e32 v1, 1, v1
	ds_store_b16 v1, v2
; %bb.189:
	s_wait_alu 0xfffe
	s_or_b32 exec_lo, exec_lo, s0
	v_and_b32_e32 v1, 1, v69
	s_mov_b32 s0, exec_lo
	s_delay_alu instid0(VALU_DEP_1)
	v_cmpx_eq_u32_e32 1, v1
; %bb.190:
	v_sub_nc_u32_e32 v1, v34, v7
	s_delay_alu instid0(VALU_DEP_1)
	v_lshlrev_b32_e32 v1, 1, v1
	ds_store_b16_d16_hi v1, v2
	;; [unrolled: 24-line block ×7, first 2 shown]
; %bb.211:
	s_wait_alu 0xfffe
	s_or_b32 exec_lo, exec_lo, s0
	s_and_saveexec_b32 s0, s26
; %bb.212:
	v_sub_nc_u32_e32 v1, v9, v7
	s_delay_alu instid0(VALU_DEP_1)
	v_lshlrev_b32_e32 v1, 1, v1
	ds_store_b16 v1, v50
; %bb.213:
	s_wait_alu 0xfffe
	s_or_b32 exec_lo, exec_lo, s0
	v_dual_mov_b32 v3, 0 :: v_dual_add_nc_u32 v2, 0x180, v0
	v_lshlrev_b64_e32 v[9:10], 1, v[7:8]
	s_wait_kmcnt 0x0
	s_lshl_b64 s[0:1], s[22:23], 1
	s_wait_storecnt 0x0
	s_wait_loadcnt_dscnt 0x0
	v_mov_b32_e32 v1, v3
	s_wait_alu 0xfffe
	s_add_nc_u64 s[0:1], s[2:3], s[0:1]
	s_barrier_signal -1
	s_wait_alu 0xfffe
	v_add_co_u32 v4, vcc_lo, s0, v9
	s_wait_alu 0xfffd
	v_add_co_ci_u32_e64 v11, null, s1, v10, vcc_lo
	v_dual_mov_b32 v10, v1 :: v_dual_mov_b32 v9, v0
	s_mov_b32 s1, 0
	s_barrier_wait -1
	global_inv scope:SCOPE_SE
.LBB249_214:                            ; =>This Inner Loop Header: Depth=1
	v_lshlrev_b32_e32 v1, 1, v9
	v_lshlrev_b64_e32 v[12:13], 1, v[9:10]
	v_mov_b32_e32 v10, v3
	v_cmp_le_u64_e32 vcc_lo, v[5:6], v[2:3]
	v_dual_mov_b32 v9, v2 :: v_dual_add_nc_u32 v2, 0x180, v2
	ds_load_u16 v1, v1
	v_add_co_u32 v12, s0, v4, v12
	s_wait_alu 0xf1ff
	v_add_co_ci_u32_e64 v13, null, v11, v13, s0
	s_wait_alu 0xfffe
	s_or_b32 s1, vcc_lo, s1
	s_wait_dscnt 0x0
	global_store_b16 v[12:13], v1, off
	s_wait_alu 0xfffe
	s_and_not1_b32 exec_lo, exec_lo, s1
	s_cbranch_execnz .LBB249_214
; %bb.215:
	s_or_b32 exec_lo, exec_lo, s1
	v_cmp_eq_u32_e32 vcc_lo, 0, v0
	s_and_b32 s0, vcc_lo, s24
	s_wait_alu 0xfffe
	s_and_saveexec_b32 s1, s0
	s_cbranch_execz .LBB249_139
.LBB249_216:
	v_add_co_u32 v0, vcc_lo, v7, v5
	s_wait_alu 0xfffd
	v_add_co_ci_u32_e64 v1, null, v8, v6, vcc_lo
	v_mov_b32_e32 v2, 0
	s_wait_kmcnt 0x0
	v_add_co_u32 v0, vcc_lo, v0, s22
	s_wait_alu 0xfffd
	v_add_co_ci_u32_e64 v1, null, s23, v1, vcc_lo
	global_store_b64 v2, v[0:1], s[20:21]
	s_endpgm
	.section	.rodata,"a",@progbits
	.p2align	6, 0x0
	.amdhsa_kernel _ZN7rocprim17ROCPRIM_400000_NS6detail17trampoline_kernelINS0_14default_configENS1_25partition_config_selectorILNS1_17partition_subalgoE6EsNS0_10empty_typeEbEEZZNS1_14partition_implILS5_6ELb0ES3_mN6thrust23THRUST_200600_302600_NS6detail15normal_iteratorINSA_10device_ptrIsEEEEPS6_SG_NS0_5tupleIJSF_S6_EEENSH_IJSG_SG_EEES6_PlJNSB_9not_fun_tINSB_10functional5actorINSM_9compositeIJNSM_27transparent_binary_operatorINSA_8equal_toIvEEEENSN_INSM_8argumentILj0EEEEENSM_5valueIsEEEEEEEEEEEE10hipError_tPvRmT3_T4_T5_T6_T7_T9_mT8_P12ihipStream_tbDpT10_ENKUlT_T0_E_clISt17integral_constantIbLb0EES1K_EEDaS1F_S1G_EUlS1F_E_NS1_11comp_targetILNS1_3genE10ELNS1_11target_archE1200ELNS1_3gpuE4ELNS1_3repE0EEENS1_30default_config_static_selectorELNS0_4arch9wavefront6targetE0EEEvT1_
		.amdhsa_group_segment_fixed_size 13840
		.amdhsa_private_segment_fixed_size 0
		.amdhsa_kernarg_size 120
		.amdhsa_user_sgpr_count 2
		.amdhsa_user_sgpr_dispatch_ptr 0
		.amdhsa_user_sgpr_queue_ptr 0
		.amdhsa_user_sgpr_kernarg_segment_ptr 1
		.amdhsa_user_sgpr_dispatch_id 0
		.amdhsa_user_sgpr_private_segment_size 0
		.amdhsa_wavefront_size32 1
		.amdhsa_uses_dynamic_stack 0
		.amdhsa_enable_private_segment 0
		.amdhsa_system_sgpr_workgroup_id_x 1
		.amdhsa_system_sgpr_workgroup_id_y 0
		.amdhsa_system_sgpr_workgroup_id_z 0
		.amdhsa_system_sgpr_workgroup_info 0
		.amdhsa_system_vgpr_workitem_id 0
		.amdhsa_next_free_vgpr 73
		.amdhsa_next_free_sgpr 28
		.amdhsa_reserve_vcc 1
		.amdhsa_float_round_mode_32 0
		.amdhsa_float_round_mode_16_64 0
		.amdhsa_float_denorm_mode_32 3
		.amdhsa_float_denorm_mode_16_64 3
		.amdhsa_fp16_overflow 0
		.amdhsa_workgroup_processor_mode 1
		.amdhsa_memory_ordered 1
		.amdhsa_forward_progress 1
		.amdhsa_inst_pref_size 91
		.amdhsa_round_robin_scheduling 0
		.amdhsa_exception_fp_ieee_invalid_op 0
		.amdhsa_exception_fp_denorm_src 0
		.amdhsa_exception_fp_ieee_div_zero 0
		.amdhsa_exception_fp_ieee_overflow 0
		.amdhsa_exception_fp_ieee_underflow 0
		.amdhsa_exception_fp_ieee_inexact 0
		.amdhsa_exception_int_div_zero 0
	.end_amdhsa_kernel
	.section	.text._ZN7rocprim17ROCPRIM_400000_NS6detail17trampoline_kernelINS0_14default_configENS1_25partition_config_selectorILNS1_17partition_subalgoE6EsNS0_10empty_typeEbEEZZNS1_14partition_implILS5_6ELb0ES3_mN6thrust23THRUST_200600_302600_NS6detail15normal_iteratorINSA_10device_ptrIsEEEEPS6_SG_NS0_5tupleIJSF_S6_EEENSH_IJSG_SG_EEES6_PlJNSB_9not_fun_tINSB_10functional5actorINSM_9compositeIJNSM_27transparent_binary_operatorINSA_8equal_toIvEEEENSN_INSM_8argumentILj0EEEEENSM_5valueIsEEEEEEEEEEEE10hipError_tPvRmT3_T4_T5_T6_T7_T9_mT8_P12ihipStream_tbDpT10_ENKUlT_T0_E_clISt17integral_constantIbLb0EES1K_EEDaS1F_S1G_EUlS1F_E_NS1_11comp_targetILNS1_3genE10ELNS1_11target_archE1200ELNS1_3gpuE4ELNS1_3repE0EEENS1_30default_config_static_selectorELNS0_4arch9wavefront6targetE0EEEvT1_,"axG",@progbits,_ZN7rocprim17ROCPRIM_400000_NS6detail17trampoline_kernelINS0_14default_configENS1_25partition_config_selectorILNS1_17partition_subalgoE6EsNS0_10empty_typeEbEEZZNS1_14partition_implILS5_6ELb0ES3_mN6thrust23THRUST_200600_302600_NS6detail15normal_iteratorINSA_10device_ptrIsEEEEPS6_SG_NS0_5tupleIJSF_S6_EEENSH_IJSG_SG_EEES6_PlJNSB_9not_fun_tINSB_10functional5actorINSM_9compositeIJNSM_27transparent_binary_operatorINSA_8equal_toIvEEEENSN_INSM_8argumentILj0EEEEENSM_5valueIsEEEEEEEEEEEE10hipError_tPvRmT3_T4_T5_T6_T7_T9_mT8_P12ihipStream_tbDpT10_ENKUlT_T0_E_clISt17integral_constantIbLb0EES1K_EEDaS1F_S1G_EUlS1F_E_NS1_11comp_targetILNS1_3genE10ELNS1_11target_archE1200ELNS1_3gpuE4ELNS1_3repE0EEENS1_30default_config_static_selectorELNS0_4arch9wavefront6targetE0EEEvT1_,comdat
.Lfunc_end249:
	.size	_ZN7rocprim17ROCPRIM_400000_NS6detail17trampoline_kernelINS0_14default_configENS1_25partition_config_selectorILNS1_17partition_subalgoE6EsNS0_10empty_typeEbEEZZNS1_14partition_implILS5_6ELb0ES3_mN6thrust23THRUST_200600_302600_NS6detail15normal_iteratorINSA_10device_ptrIsEEEEPS6_SG_NS0_5tupleIJSF_S6_EEENSH_IJSG_SG_EEES6_PlJNSB_9not_fun_tINSB_10functional5actorINSM_9compositeIJNSM_27transparent_binary_operatorINSA_8equal_toIvEEEENSN_INSM_8argumentILj0EEEEENSM_5valueIsEEEEEEEEEEEE10hipError_tPvRmT3_T4_T5_T6_T7_T9_mT8_P12ihipStream_tbDpT10_ENKUlT_T0_E_clISt17integral_constantIbLb0EES1K_EEDaS1F_S1G_EUlS1F_E_NS1_11comp_targetILNS1_3genE10ELNS1_11target_archE1200ELNS1_3gpuE4ELNS1_3repE0EEENS1_30default_config_static_selectorELNS0_4arch9wavefront6targetE0EEEvT1_, .Lfunc_end249-_ZN7rocprim17ROCPRIM_400000_NS6detail17trampoline_kernelINS0_14default_configENS1_25partition_config_selectorILNS1_17partition_subalgoE6EsNS0_10empty_typeEbEEZZNS1_14partition_implILS5_6ELb0ES3_mN6thrust23THRUST_200600_302600_NS6detail15normal_iteratorINSA_10device_ptrIsEEEEPS6_SG_NS0_5tupleIJSF_S6_EEENSH_IJSG_SG_EEES6_PlJNSB_9not_fun_tINSB_10functional5actorINSM_9compositeIJNSM_27transparent_binary_operatorINSA_8equal_toIvEEEENSN_INSM_8argumentILj0EEEEENSM_5valueIsEEEEEEEEEEEE10hipError_tPvRmT3_T4_T5_T6_T7_T9_mT8_P12ihipStream_tbDpT10_ENKUlT_T0_E_clISt17integral_constantIbLb0EES1K_EEDaS1F_S1G_EUlS1F_E_NS1_11comp_targetILNS1_3genE10ELNS1_11target_archE1200ELNS1_3gpuE4ELNS1_3repE0EEENS1_30default_config_static_selectorELNS0_4arch9wavefront6targetE0EEEvT1_
                                        ; -- End function
	.set _ZN7rocprim17ROCPRIM_400000_NS6detail17trampoline_kernelINS0_14default_configENS1_25partition_config_selectorILNS1_17partition_subalgoE6EsNS0_10empty_typeEbEEZZNS1_14partition_implILS5_6ELb0ES3_mN6thrust23THRUST_200600_302600_NS6detail15normal_iteratorINSA_10device_ptrIsEEEEPS6_SG_NS0_5tupleIJSF_S6_EEENSH_IJSG_SG_EEES6_PlJNSB_9not_fun_tINSB_10functional5actorINSM_9compositeIJNSM_27transparent_binary_operatorINSA_8equal_toIvEEEENSN_INSM_8argumentILj0EEEEENSM_5valueIsEEEEEEEEEEEE10hipError_tPvRmT3_T4_T5_T6_T7_T9_mT8_P12ihipStream_tbDpT10_ENKUlT_T0_E_clISt17integral_constantIbLb0EES1K_EEDaS1F_S1G_EUlS1F_E_NS1_11comp_targetILNS1_3genE10ELNS1_11target_archE1200ELNS1_3gpuE4ELNS1_3repE0EEENS1_30default_config_static_selectorELNS0_4arch9wavefront6targetE0EEEvT1_.num_vgpr, 73
	.set _ZN7rocprim17ROCPRIM_400000_NS6detail17trampoline_kernelINS0_14default_configENS1_25partition_config_selectorILNS1_17partition_subalgoE6EsNS0_10empty_typeEbEEZZNS1_14partition_implILS5_6ELb0ES3_mN6thrust23THRUST_200600_302600_NS6detail15normal_iteratorINSA_10device_ptrIsEEEEPS6_SG_NS0_5tupleIJSF_S6_EEENSH_IJSG_SG_EEES6_PlJNSB_9not_fun_tINSB_10functional5actorINSM_9compositeIJNSM_27transparent_binary_operatorINSA_8equal_toIvEEEENSN_INSM_8argumentILj0EEEEENSM_5valueIsEEEEEEEEEEEE10hipError_tPvRmT3_T4_T5_T6_T7_T9_mT8_P12ihipStream_tbDpT10_ENKUlT_T0_E_clISt17integral_constantIbLb0EES1K_EEDaS1F_S1G_EUlS1F_E_NS1_11comp_targetILNS1_3genE10ELNS1_11target_archE1200ELNS1_3gpuE4ELNS1_3repE0EEENS1_30default_config_static_selectorELNS0_4arch9wavefront6targetE0EEEvT1_.num_agpr, 0
	.set _ZN7rocprim17ROCPRIM_400000_NS6detail17trampoline_kernelINS0_14default_configENS1_25partition_config_selectorILNS1_17partition_subalgoE6EsNS0_10empty_typeEbEEZZNS1_14partition_implILS5_6ELb0ES3_mN6thrust23THRUST_200600_302600_NS6detail15normal_iteratorINSA_10device_ptrIsEEEEPS6_SG_NS0_5tupleIJSF_S6_EEENSH_IJSG_SG_EEES6_PlJNSB_9not_fun_tINSB_10functional5actorINSM_9compositeIJNSM_27transparent_binary_operatorINSA_8equal_toIvEEEENSN_INSM_8argumentILj0EEEEENSM_5valueIsEEEEEEEEEEEE10hipError_tPvRmT3_T4_T5_T6_T7_T9_mT8_P12ihipStream_tbDpT10_ENKUlT_T0_E_clISt17integral_constantIbLb0EES1K_EEDaS1F_S1G_EUlS1F_E_NS1_11comp_targetILNS1_3genE10ELNS1_11target_archE1200ELNS1_3gpuE4ELNS1_3repE0EEENS1_30default_config_static_selectorELNS0_4arch9wavefront6targetE0EEEvT1_.numbered_sgpr, 28
	.set _ZN7rocprim17ROCPRIM_400000_NS6detail17trampoline_kernelINS0_14default_configENS1_25partition_config_selectorILNS1_17partition_subalgoE6EsNS0_10empty_typeEbEEZZNS1_14partition_implILS5_6ELb0ES3_mN6thrust23THRUST_200600_302600_NS6detail15normal_iteratorINSA_10device_ptrIsEEEEPS6_SG_NS0_5tupleIJSF_S6_EEENSH_IJSG_SG_EEES6_PlJNSB_9not_fun_tINSB_10functional5actorINSM_9compositeIJNSM_27transparent_binary_operatorINSA_8equal_toIvEEEENSN_INSM_8argumentILj0EEEEENSM_5valueIsEEEEEEEEEEEE10hipError_tPvRmT3_T4_T5_T6_T7_T9_mT8_P12ihipStream_tbDpT10_ENKUlT_T0_E_clISt17integral_constantIbLb0EES1K_EEDaS1F_S1G_EUlS1F_E_NS1_11comp_targetILNS1_3genE10ELNS1_11target_archE1200ELNS1_3gpuE4ELNS1_3repE0EEENS1_30default_config_static_selectorELNS0_4arch9wavefront6targetE0EEEvT1_.num_named_barrier, 0
	.set _ZN7rocprim17ROCPRIM_400000_NS6detail17trampoline_kernelINS0_14default_configENS1_25partition_config_selectorILNS1_17partition_subalgoE6EsNS0_10empty_typeEbEEZZNS1_14partition_implILS5_6ELb0ES3_mN6thrust23THRUST_200600_302600_NS6detail15normal_iteratorINSA_10device_ptrIsEEEEPS6_SG_NS0_5tupleIJSF_S6_EEENSH_IJSG_SG_EEES6_PlJNSB_9not_fun_tINSB_10functional5actorINSM_9compositeIJNSM_27transparent_binary_operatorINSA_8equal_toIvEEEENSN_INSM_8argumentILj0EEEEENSM_5valueIsEEEEEEEEEEEE10hipError_tPvRmT3_T4_T5_T6_T7_T9_mT8_P12ihipStream_tbDpT10_ENKUlT_T0_E_clISt17integral_constantIbLb0EES1K_EEDaS1F_S1G_EUlS1F_E_NS1_11comp_targetILNS1_3genE10ELNS1_11target_archE1200ELNS1_3gpuE4ELNS1_3repE0EEENS1_30default_config_static_selectorELNS0_4arch9wavefront6targetE0EEEvT1_.private_seg_size, 0
	.set _ZN7rocprim17ROCPRIM_400000_NS6detail17trampoline_kernelINS0_14default_configENS1_25partition_config_selectorILNS1_17partition_subalgoE6EsNS0_10empty_typeEbEEZZNS1_14partition_implILS5_6ELb0ES3_mN6thrust23THRUST_200600_302600_NS6detail15normal_iteratorINSA_10device_ptrIsEEEEPS6_SG_NS0_5tupleIJSF_S6_EEENSH_IJSG_SG_EEES6_PlJNSB_9not_fun_tINSB_10functional5actorINSM_9compositeIJNSM_27transparent_binary_operatorINSA_8equal_toIvEEEENSN_INSM_8argumentILj0EEEEENSM_5valueIsEEEEEEEEEEEE10hipError_tPvRmT3_T4_T5_T6_T7_T9_mT8_P12ihipStream_tbDpT10_ENKUlT_T0_E_clISt17integral_constantIbLb0EES1K_EEDaS1F_S1G_EUlS1F_E_NS1_11comp_targetILNS1_3genE10ELNS1_11target_archE1200ELNS1_3gpuE4ELNS1_3repE0EEENS1_30default_config_static_selectorELNS0_4arch9wavefront6targetE0EEEvT1_.uses_vcc, 1
	.set _ZN7rocprim17ROCPRIM_400000_NS6detail17trampoline_kernelINS0_14default_configENS1_25partition_config_selectorILNS1_17partition_subalgoE6EsNS0_10empty_typeEbEEZZNS1_14partition_implILS5_6ELb0ES3_mN6thrust23THRUST_200600_302600_NS6detail15normal_iteratorINSA_10device_ptrIsEEEEPS6_SG_NS0_5tupleIJSF_S6_EEENSH_IJSG_SG_EEES6_PlJNSB_9not_fun_tINSB_10functional5actorINSM_9compositeIJNSM_27transparent_binary_operatorINSA_8equal_toIvEEEENSN_INSM_8argumentILj0EEEEENSM_5valueIsEEEEEEEEEEEE10hipError_tPvRmT3_T4_T5_T6_T7_T9_mT8_P12ihipStream_tbDpT10_ENKUlT_T0_E_clISt17integral_constantIbLb0EES1K_EEDaS1F_S1G_EUlS1F_E_NS1_11comp_targetILNS1_3genE10ELNS1_11target_archE1200ELNS1_3gpuE4ELNS1_3repE0EEENS1_30default_config_static_selectorELNS0_4arch9wavefront6targetE0EEEvT1_.uses_flat_scratch, 1
	.set _ZN7rocprim17ROCPRIM_400000_NS6detail17trampoline_kernelINS0_14default_configENS1_25partition_config_selectorILNS1_17partition_subalgoE6EsNS0_10empty_typeEbEEZZNS1_14partition_implILS5_6ELb0ES3_mN6thrust23THRUST_200600_302600_NS6detail15normal_iteratorINSA_10device_ptrIsEEEEPS6_SG_NS0_5tupleIJSF_S6_EEENSH_IJSG_SG_EEES6_PlJNSB_9not_fun_tINSB_10functional5actorINSM_9compositeIJNSM_27transparent_binary_operatorINSA_8equal_toIvEEEENSN_INSM_8argumentILj0EEEEENSM_5valueIsEEEEEEEEEEEE10hipError_tPvRmT3_T4_T5_T6_T7_T9_mT8_P12ihipStream_tbDpT10_ENKUlT_T0_E_clISt17integral_constantIbLb0EES1K_EEDaS1F_S1G_EUlS1F_E_NS1_11comp_targetILNS1_3genE10ELNS1_11target_archE1200ELNS1_3gpuE4ELNS1_3repE0EEENS1_30default_config_static_selectorELNS0_4arch9wavefront6targetE0EEEvT1_.has_dyn_sized_stack, 0
	.set _ZN7rocprim17ROCPRIM_400000_NS6detail17trampoline_kernelINS0_14default_configENS1_25partition_config_selectorILNS1_17partition_subalgoE6EsNS0_10empty_typeEbEEZZNS1_14partition_implILS5_6ELb0ES3_mN6thrust23THRUST_200600_302600_NS6detail15normal_iteratorINSA_10device_ptrIsEEEEPS6_SG_NS0_5tupleIJSF_S6_EEENSH_IJSG_SG_EEES6_PlJNSB_9not_fun_tINSB_10functional5actorINSM_9compositeIJNSM_27transparent_binary_operatorINSA_8equal_toIvEEEENSN_INSM_8argumentILj0EEEEENSM_5valueIsEEEEEEEEEEEE10hipError_tPvRmT3_T4_T5_T6_T7_T9_mT8_P12ihipStream_tbDpT10_ENKUlT_T0_E_clISt17integral_constantIbLb0EES1K_EEDaS1F_S1G_EUlS1F_E_NS1_11comp_targetILNS1_3genE10ELNS1_11target_archE1200ELNS1_3gpuE4ELNS1_3repE0EEENS1_30default_config_static_selectorELNS0_4arch9wavefront6targetE0EEEvT1_.has_recursion, 0
	.set _ZN7rocprim17ROCPRIM_400000_NS6detail17trampoline_kernelINS0_14default_configENS1_25partition_config_selectorILNS1_17partition_subalgoE6EsNS0_10empty_typeEbEEZZNS1_14partition_implILS5_6ELb0ES3_mN6thrust23THRUST_200600_302600_NS6detail15normal_iteratorINSA_10device_ptrIsEEEEPS6_SG_NS0_5tupleIJSF_S6_EEENSH_IJSG_SG_EEES6_PlJNSB_9not_fun_tINSB_10functional5actorINSM_9compositeIJNSM_27transparent_binary_operatorINSA_8equal_toIvEEEENSN_INSM_8argumentILj0EEEEENSM_5valueIsEEEEEEEEEEEE10hipError_tPvRmT3_T4_T5_T6_T7_T9_mT8_P12ihipStream_tbDpT10_ENKUlT_T0_E_clISt17integral_constantIbLb0EES1K_EEDaS1F_S1G_EUlS1F_E_NS1_11comp_targetILNS1_3genE10ELNS1_11target_archE1200ELNS1_3gpuE4ELNS1_3repE0EEENS1_30default_config_static_selectorELNS0_4arch9wavefront6targetE0EEEvT1_.has_indirect_call, 0
	.section	.AMDGPU.csdata,"",@progbits
; Kernel info:
; codeLenInByte = 11644
; TotalNumSgprs: 30
; NumVgprs: 73
; ScratchSize: 0
; MemoryBound: 0
; FloatMode: 240
; IeeeMode: 1
; LDSByteSize: 13840 bytes/workgroup (compile time only)
; SGPRBlocks: 0
; VGPRBlocks: 9
; NumSGPRsForWavesPerEU: 30
; NumVGPRsForWavesPerEU: 73
; Occupancy: 15
; WaveLimiterHint : 1
; COMPUTE_PGM_RSRC2:SCRATCH_EN: 0
; COMPUTE_PGM_RSRC2:USER_SGPR: 2
; COMPUTE_PGM_RSRC2:TRAP_HANDLER: 0
; COMPUTE_PGM_RSRC2:TGID_X_EN: 1
; COMPUTE_PGM_RSRC2:TGID_Y_EN: 0
; COMPUTE_PGM_RSRC2:TGID_Z_EN: 0
; COMPUTE_PGM_RSRC2:TIDIG_COMP_CNT: 0
	.section	.text._ZN7rocprim17ROCPRIM_400000_NS6detail17trampoline_kernelINS0_14default_configENS1_25partition_config_selectorILNS1_17partition_subalgoE6EsNS0_10empty_typeEbEEZZNS1_14partition_implILS5_6ELb0ES3_mN6thrust23THRUST_200600_302600_NS6detail15normal_iteratorINSA_10device_ptrIsEEEEPS6_SG_NS0_5tupleIJSF_S6_EEENSH_IJSG_SG_EEES6_PlJNSB_9not_fun_tINSB_10functional5actorINSM_9compositeIJNSM_27transparent_binary_operatorINSA_8equal_toIvEEEENSN_INSM_8argumentILj0EEEEENSM_5valueIsEEEEEEEEEEEE10hipError_tPvRmT3_T4_T5_T6_T7_T9_mT8_P12ihipStream_tbDpT10_ENKUlT_T0_E_clISt17integral_constantIbLb0EES1K_EEDaS1F_S1G_EUlS1F_E_NS1_11comp_targetILNS1_3genE9ELNS1_11target_archE1100ELNS1_3gpuE3ELNS1_3repE0EEENS1_30default_config_static_selectorELNS0_4arch9wavefront6targetE0EEEvT1_,"axG",@progbits,_ZN7rocprim17ROCPRIM_400000_NS6detail17trampoline_kernelINS0_14default_configENS1_25partition_config_selectorILNS1_17partition_subalgoE6EsNS0_10empty_typeEbEEZZNS1_14partition_implILS5_6ELb0ES3_mN6thrust23THRUST_200600_302600_NS6detail15normal_iteratorINSA_10device_ptrIsEEEEPS6_SG_NS0_5tupleIJSF_S6_EEENSH_IJSG_SG_EEES6_PlJNSB_9not_fun_tINSB_10functional5actorINSM_9compositeIJNSM_27transparent_binary_operatorINSA_8equal_toIvEEEENSN_INSM_8argumentILj0EEEEENSM_5valueIsEEEEEEEEEEEE10hipError_tPvRmT3_T4_T5_T6_T7_T9_mT8_P12ihipStream_tbDpT10_ENKUlT_T0_E_clISt17integral_constantIbLb0EES1K_EEDaS1F_S1G_EUlS1F_E_NS1_11comp_targetILNS1_3genE9ELNS1_11target_archE1100ELNS1_3gpuE3ELNS1_3repE0EEENS1_30default_config_static_selectorELNS0_4arch9wavefront6targetE0EEEvT1_,comdat
	.protected	_ZN7rocprim17ROCPRIM_400000_NS6detail17trampoline_kernelINS0_14default_configENS1_25partition_config_selectorILNS1_17partition_subalgoE6EsNS0_10empty_typeEbEEZZNS1_14partition_implILS5_6ELb0ES3_mN6thrust23THRUST_200600_302600_NS6detail15normal_iteratorINSA_10device_ptrIsEEEEPS6_SG_NS0_5tupleIJSF_S6_EEENSH_IJSG_SG_EEES6_PlJNSB_9not_fun_tINSB_10functional5actorINSM_9compositeIJNSM_27transparent_binary_operatorINSA_8equal_toIvEEEENSN_INSM_8argumentILj0EEEEENSM_5valueIsEEEEEEEEEEEE10hipError_tPvRmT3_T4_T5_T6_T7_T9_mT8_P12ihipStream_tbDpT10_ENKUlT_T0_E_clISt17integral_constantIbLb0EES1K_EEDaS1F_S1G_EUlS1F_E_NS1_11comp_targetILNS1_3genE9ELNS1_11target_archE1100ELNS1_3gpuE3ELNS1_3repE0EEENS1_30default_config_static_selectorELNS0_4arch9wavefront6targetE0EEEvT1_ ; -- Begin function _ZN7rocprim17ROCPRIM_400000_NS6detail17trampoline_kernelINS0_14default_configENS1_25partition_config_selectorILNS1_17partition_subalgoE6EsNS0_10empty_typeEbEEZZNS1_14partition_implILS5_6ELb0ES3_mN6thrust23THRUST_200600_302600_NS6detail15normal_iteratorINSA_10device_ptrIsEEEEPS6_SG_NS0_5tupleIJSF_S6_EEENSH_IJSG_SG_EEES6_PlJNSB_9not_fun_tINSB_10functional5actorINSM_9compositeIJNSM_27transparent_binary_operatorINSA_8equal_toIvEEEENSN_INSM_8argumentILj0EEEEENSM_5valueIsEEEEEEEEEEEE10hipError_tPvRmT3_T4_T5_T6_T7_T9_mT8_P12ihipStream_tbDpT10_ENKUlT_T0_E_clISt17integral_constantIbLb0EES1K_EEDaS1F_S1G_EUlS1F_E_NS1_11comp_targetILNS1_3genE9ELNS1_11target_archE1100ELNS1_3gpuE3ELNS1_3repE0EEENS1_30default_config_static_selectorELNS0_4arch9wavefront6targetE0EEEvT1_
	.globl	_ZN7rocprim17ROCPRIM_400000_NS6detail17trampoline_kernelINS0_14default_configENS1_25partition_config_selectorILNS1_17partition_subalgoE6EsNS0_10empty_typeEbEEZZNS1_14partition_implILS5_6ELb0ES3_mN6thrust23THRUST_200600_302600_NS6detail15normal_iteratorINSA_10device_ptrIsEEEEPS6_SG_NS0_5tupleIJSF_S6_EEENSH_IJSG_SG_EEES6_PlJNSB_9not_fun_tINSB_10functional5actorINSM_9compositeIJNSM_27transparent_binary_operatorINSA_8equal_toIvEEEENSN_INSM_8argumentILj0EEEEENSM_5valueIsEEEEEEEEEEEE10hipError_tPvRmT3_T4_T5_T6_T7_T9_mT8_P12ihipStream_tbDpT10_ENKUlT_T0_E_clISt17integral_constantIbLb0EES1K_EEDaS1F_S1G_EUlS1F_E_NS1_11comp_targetILNS1_3genE9ELNS1_11target_archE1100ELNS1_3gpuE3ELNS1_3repE0EEENS1_30default_config_static_selectorELNS0_4arch9wavefront6targetE0EEEvT1_
	.p2align	8
	.type	_ZN7rocprim17ROCPRIM_400000_NS6detail17trampoline_kernelINS0_14default_configENS1_25partition_config_selectorILNS1_17partition_subalgoE6EsNS0_10empty_typeEbEEZZNS1_14partition_implILS5_6ELb0ES3_mN6thrust23THRUST_200600_302600_NS6detail15normal_iteratorINSA_10device_ptrIsEEEEPS6_SG_NS0_5tupleIJSF_S6_EEENSH_IJSG_SG_EEES6_PlJNSB_9not_fun_tINSB_10functional5actorINSM_9compositeIJNSM_27transparent_binary_operatorINSA_8equal_toIvEEEENSN_INSM_8argumentILj0EEEEENSM_5valueIsEEEEEEEEEEEE10hipError_tPvRmT3_T4_T5_T6_T7_T9_mT8_P12ihipStream_tbDpT10_ENKUlT_T0_E_clISt17integral_constantIbLb0EES1K_EEDaS1F_S1G_EUlS1F_E_NS1_11comp_targetILNS1_3genE9ELNS1_11target_archE1100ELNS1_3gpuE3ELNS1_3repE0EEENS1_30default_config_static_selectorELNS0_4arch9wavefront6targetE0EEEvT1_,@function
_ZN7rocprim17ROCPRIM_400000_NS6detail17trampoline_kernelINS0_14default_configENS1_25partition_config_selectorILNS1_17partition_subalgoE6EsNS0_10empty_typeEbEEZZNS1_14partition_implILS5_6ELb0ES3_mN6thrust23THRUST_200600_302600_NS6detail15normal_iteratorINSA_10device_ptrIsEEEEPS6_SG_NS0_5tupleIJSF_S6_EEENSH_IJSG_SG_EEES6_PlJNSB_9not_fun_tINSB_10functional5actorINSM_9compositeIJNSM_27transparent_binary_operatorINSA_8equal_toIvEEEENSN_INSM_8argumentILj0EEEEENSM_5valueIsEEEEEEEEEEEE10hipError_tPvRmT3_T4_T5_T6_T7_T9_mT8_P12ihipStream_tbDpT10_ENKUlT_T0_E_clISt17integral_constantIbLb0EES1K_EEDaS1F_S1G_EUlS1F_E_NS1_11comp_targetILNS1_3genE9ELNS1_11target_archE1100ELNS1_3gpuE3ELNS1_3repE0EEENS1_30default_config_static_selectorELNS0_4arch9wavefront6targetE0EEEvT1_: ; @_ZN7rocprim17ROCPRIM_400000_NS6detail17trampoline_kernelINS0_14default_configENS1_25partition_config_selectorILNS1_17partition_subalgoE6EsNS0_10empty_typeEbEEZZNS1_14partition_implILS5_6ELb0ES3_mN6thrust23THRUST_200600_302600_NS6detail15normal_iteratorINSA_10device_ptrIsEEEEPS6_SG_NS0_5tupleIJSF_S6_EEENSH_IJSG_SG_EEES6_PlJNSB_9not_fun_tINSB_10functional5actorINSM_9compositeIJNSM_27transparent_binary_operatorINSA_8equal_toIvEEEENSN_INSM_8argumentILj0EEEEENSM_5valueIsEEEEEEEEEEEE10hipError_tPvRmT3_T4_T5_T6_T7_T9_mT8_P12ihipStream_tbDpT10_ENKUlT_T0_E_clISt17integral_constantIbLb0EES1K_EEDaS1F_S1G_EUlS1F_E_NS1_11comp_targetILNS1_3genE9ELNS1_11target_archE1100ELNS1_3gpuE3ELNS1_3repE0EEENS1_30default_config_static_selectorELNS0_4arch9wavefront6targetE0EEEvT1_
; %bb.0:
	.section	.rodata,"a",@progbits
	.p2align	6, 0x0
	.amdhsa_kernel _ZN7rocprim17ROCPRIM_400000_NS6detail17trampoline_kernelINS0_14default_configENS1_25partition_config_selectorILNS1_17partition_subalgoE6EsNS0_10empty_typeEbEEZZNS1_14partition_implILS5_6ELb0ES3_mN6thrust23THRUST_200600_302600_NS6detail15normal_iteratorINSA_10device_ptrIsEEEEPS6_SG_NS0_5tupleIJSF_S6_EEENSH_IJSG_SG_EEES6_PlJNSB_9not_fun_tINSB_10functional5actorINSM_9compositeIJNSM_27transparent_binary_operatorINSA_8equal_toIvEEEENSN_INSM_8argumentILj0EEEEENSM_5valueIsEEEEEEEEEEEE10hipError_tPvRmT3_T4_T5_T6_T7_T9_mT8_P12ihipStream_tbDpT10_ENKUlT_T0_E_clISt17integral_constantIbLb0EES1K_EEDaS1F_S1G_EUlS1F_E_NS1_11comp_targetILNS1_3genE9ELNS1_11target_archE1100ELNS1_3gpuE3ELNS1_3repE0EEENS1_30default_config_static_selectorELNS0_4arch9wavefront6targetE0EEEvT1_
		.amdhsa_group_segment_fixed_size 0
		.amdhsa_private_segment_fixed_size 0
		.amdhsa_kernarg_size 120
		.amdhsa_user_sgpr_count 2
		.amdhsa_user_sgpr_dispatch_ptr 0
		.amdhsa_user_sgpr_queue_ptr 0
		.amdhsa_user_sgpr_kernarg_segment_ptr 1
		.amdhsa_user_sgpr_dispatch_id 0
		.amdhsa_user_sgpr_private_segment_size 0
		.amdhsa_wavefront_size32 1
		.amdhsa_uses_dynamic_stack 0
		.amdhsa_enable_private_segment 0
		.amdhsa_system_sgpr_workgroup_id_x 1
		.amdhsa_system_sgpr_workgroup_id_y 0
		.amdhsa_system_sgpr_workgroup_id_z 0
		.amdhsa_system_sgpr_workgroup_info 0
		.amdhsa_system_vgpr_workitem_id 0
		.amdhsa_next_free_vgpr 1
		.amdhsa_next_free_sgpr 1
		.amdhsa_reserve_vcc 0
		.amdhsa_float_round_mode_32 0
		.amdhsa_float_round_mode_16_64 0
		.amdhsa_float_denorm_mode_32 3
		.amdhsa_float_denorm_mode_16_64 3
		.amdhsa_fp16_overflow 0
		.amdhsa_workgroup_processor_mode 1
		.amdhsa_memory_ordered 1
		.amdhsa_forward_progress 1
		.amdhsa_inst_pref_size 0
		.amdhsa_round_robin_scheduling 0
		.amdhsa_exception_fp_ieee_invalid_op 0
		.amdhsa_exception_fp_denorm_src 0
		.amdhsa_exception_fp_ieee_div_zero 0
		.amdhsa_exception_fp_ieee_overflow 0
		.amdhsa_exception_fp_ieee_underflow 0
		.amdhsa_exception_fp_ieee_inexact 0
		.amdhsa_exception_int_div_zero 0
	.end_amdhsa_kernel
	.section	.text._ZN7rocprim17ROCPRIM_400000_NS6detail17trampoline_kernelINS0_14default_configENS1_25partition_config_selectorILNS1_17partition_subalgoE6EsNS0_10empty_typeEbEEZZNS1_14partition_implILS5_6ELb0ES3_mN6thrust23THRUST_200600_302600_NS6detail15normal_iteratorINSA_10device_ptrIsEEEEPS6_SG_NS0_5tupleIJSF_S6_EEENSH_IJSG_SG_EEES6_PlJNSB_9not_fun_tINSB_10functional5actorINSM_9compositeIJNSM_27transparent_binary_operatorINSA_8equal_toIvEEEENSN_INSM_8argumentILj0EEEEENSM_5valueIsEEEEEEEEEEEE10hipError_tPvRmT3_T4_T5_T6_T7_T9_mT8_P12ihipStream_tbDpT10_ENKUlT_T0_E_clISt17integral_constantIbLb0EES1K_EEDaS1F_S1G_EUlS1F_E_NS1_11comp_targetILNS1_3genE9ELNS1_11target_archE1100ELNS1_3gpuE3ELNS1_3repE0EEENS1_30default_config_static_selectorELNS0_4arch9wavefront6targetE0EEEvT1_,"axG",@progbits,_ZN7rocprim17ROCPRIM_400000_NS6detail17trampoline_kernelINS0_14default_configENS1_25partition_config_selectorILNS1_17partition_subalgoE6EsNS0_10empty_typeEbEEZZNS1_14partition_implILS5_6ELb0ES3_mN6thrust23THRUST_200600_302600_NS6detail15normal_iteratorINSA_10device_ptrIsEEEEPS6_SG_NS0_5tupleIJSF_S6_EEENSH_IJSG_SG_EEES6_PlJNSB_9not_fun_tINSB_10functional5actorINSM_9compositeIJNSM_27transparent_binary_operatorINSA_8equal_toIvEEEENSN_INSM_8argumentILj0EEEEENSM_5valueIsEEEEEEEEEEEE10hipError_tPvRmT3_T4_T5_T6_T7_T9_mT8_P12ihipStream_tbDpT10_ENKUlT_T0_E_clISt17integral_constantIbLb0EES1K_EEDaS1F_S1G_EUlS1F_E_NS1_11comp_targetILNS1_3genE9ELNS1_11target_archE1100ELNS1_3gpuE3ELNS1_3repE0EEENS1_30default_config_static_selectorELNS0_4arch9wavefront6targetE0EEEvT1_,comdat
.Lfunc_end250:
	.size	_ZN7rocprim17ROCPRIM_400000_NS6detail17trampoline_kernelINS0_14default_configENS1_25partition_config_selectorILNS1_17partition_subalgoE6EsNS0_10empty_typeEbEEZZNS1_14partition_implILS5_6ELb0ES3_mN6thrust23THRUST_200600_302600_NS6detail15normal_iteratorINSA_10device_ptrIsEEEEPS6_SG_NS0_5tupleIJSF_S6_EEENSH_IJSG_SG_EEES6_PlJNSB_9not_fun_tINSB_10functional5actorINSM_9compositeIJNSM_27transparent_binary_operatorINSA_8equal_toIvEEEENSN_INSM_8argumentILj0EEEEENSM_5valueIsEEEEEEEEEEEE10hipError_tPvRmT3_T4_T5_T6_T7_T9_mT8_P12ihipStream_tbDpT10_ENKUlT_T0_E_clISt17integral_constantIbLb0EES1K_EEDaS1F_S1G_EUlS1F_E_NS1_11comp_targetILNS1_3genE9ELNS1_11target_archE1100ELNS1_3gpuE3ELNS1_3repE0EEENS1_30default_config_static_selectorELNS0_4arch9wavefront6targetE0EEEvT1_, .Lfunc_end250-_ZN7rocprim17ROCPRIM_400000_NS6detail17trampoline_kernelINS0_14default_configENS1_25partition_config_selectorILNS1_17partition_subalgoE6EsNS0_10empty_typeEbEEZZNS1_14partition_implILS5_6ELb0ES3_mN6thrust23THRUST_200600_302600_NS6detail15normal_iteratorINSA_10device_ptrIsEEEEPS6_SG_NS0_5tupleIJSF_S6_EEENSH_IJSG_SG_EEES6_PlJNSB_9not_fun_tINSB_10functional5actorINSM_9compositeIJNSM_27transparent_binary_operatorINSA_8equal_toIvEEEENSN_INSM_8argumentILj0EEEEENSM_5valueIsEEEEEEEEEEEE10hipError_tPvRmT3_T4_T5_T6_T7_T9_mT8_P12ihipStream_tbDpT10_ENKUlT_T0_E_clISt17integral_constantIbLb0EES1K_EEDaS1F_S1G_EUlS1F_E_NS1_11comp_targetILNS1_3genE9ELNS1_11target_archE1100ELNS1_3gpuE3ELNS1_3repE0EEENS1_30default_config_static_selectorELNS0_4arch9wavefront6targetE0EEEvT1_
                                        ; -- End function
	.set _ZN7rocprim17ROCPRIM_400000_NS6detail17trampoline_kernelINS0_14default_configENS1_25partition_config_selectorILNS1_17partition_subalgoE6EsNS0_10empty_typeEbEEZZNS1_14partition_implILS5_6ELb0ES3_mN6thrust23THRUST_200600_302600_NS6detail15normal_iteratorINSA_10device_ptrIsEEEEPS6_SG_NS0_5tupleIJSF_S6_EEENSH_IJSG_SG_EEES6_PlJNSB_9not_fun_tINSB_10functional5actorINSM_9compositeIJNSM_27transparent_binary_operatorINSA_8equal_toIvEEEENSN_INSM_8argumentILj0EEEEENSM_5valueIsEEEEEEEEEEEE10hipError_tPvRmT3_T4_T5_T6_T7_T9_mT8_P12ihipStream_tbDpT10_ENKUlT_T0_E_clISt17integral_constantIbLb0EES1K_EEDaS1F_S1G_EUlS1F_E_NS1_11comp_targetILNS1_3genE9ELNS1_11target_archE1100ELNS1_3gpuE3ELNS1_3repE0EEENS1_30default_config_static_selectorELNS0_4arch9wavefront6targetE0EEEvT1_.num_vgpr, 0
	.set _ZN7rocprim17ROCPRIM_400000_NS6detail17trampoline_kernelINS0_14default_configENS1_25partition_config_selectorILNS1_17partition_subalgoE6EsNS0_10empty_typeEbEEZZNS1_14partition_implILS5_6ELb0ES3_mN6thrust23THRUST_200600_302600_NS6detail15normal_iteratorINSA_10device_ptrIsEEEEPS6_SG_NS0_5tupleIJSF_S6_EEENSH_IJSG_SG_EEES6_PlJNSB_9not_fun_tINSB_10functional5actorINSM_9compositeIJNSM_27transparent_binary_operatorINSA_8equal_toIvEEEENSN_INSM_8argumentILj0EEEEENSM_5valueIsEEEEEEEEEEEE10hipError_tPvRmT3_T4_T5_T6_T7_T9_mT8_P12ihipStream_tbDpT10_ENKUlT_T0_E_clISt17integral_constantIbLb0EES1K_EEDaS1F_S1G_EUlS1F_E_NS1_11comp_targetILNS1_3genE9ELNS1_11target_archE1100ELNS1_3gpuE3ELNS1_3repE0EEENS1_30default_config_static_selectorELNS0_4arch9wavefront6targetE0EEEvT1_.num_agpr, 0
	.set _ZN7rocprim17ROCPRIM_400000_NS6detail17trampoline_kernelINS0_14default_configENS1_25partition_config_selectorILNS1_17partition_subalgoE6EsNS0_10empty_typeEbEEZZNS1_14partition_implILS5_6ELb0ES3_mN6thrust23THRUST_200600_302600_NS6detail15normal_iteratorINSA_10device_ptrIsEEEEPS6_SG_NS0_5tupleIJSF_S6_EEENSH_IJSG_SG_EEES6_PlJNSB_9not_fun_tINSB_10functional5actorINSM_9compositeIJNSM_27transparent_binary_operatorINSA_8equal_toIvEEEENSN_INSM_8argumentILj0EEEEENSM_5valueIsEEEEEEEEEEEE10hipError_tPvRmT3_T4_T5_T6_T7_T9_mT8_P12ihipStream_tbDpT10_ENKUlT_T0_E_clISt17integral_constantIbLb0EES1K_EEDaS1F_S1G_EUlS1F_E_NS1_11comp_targetILNS1_3genE9ELNS1_11target_archE1100ELNS1_3gpuE3ELNS1_3repE0EEENS1_30default_config_static_selectorELNS0_4arch9wavefront6targetE0EEEvT1_.numbered_sgpr, 0
	.set _ZN7rocprim17ROCPRIM_400000_NS6detail17trampoline_kernelINS0_14default_configENS1_25partition_config_selectorILNS1_17partition_subalgoE6EsNS0_10empty_typeEbEEZZNS1_14partition_implILS5_6ELb0ES3_mN6thrust23THRUST_200600_302600_NS6detail15normal_iteratorINSA_10device_ptrIsEEEEPS6_SG_NS0_5tupleIJSF_S6_EEENSH_IJSG_SG_EEES6_PlJNSB_9not_fun_tINSB_10functional5actorINSM_9compositeIJNSM_27transparent_binary_operatorINSA_8equal_toIvEEEENSN_INSM_8argumentILj0EEEEENSM_5valueIsEEEEEEEEEEEE10hipError_tPvRmT3_T4_T5_T6_T7_T9_mT8_P12ihipStream_tbDpT10_ENKUlT_T0_E_clISt17integral_constantIbLb0EES1K_EEDaS1F_S1G_EUlS1F_E_NS1_11comp_targetILNS1_3genE9ELNS1_11target_archE1100ELNS1_3gpuE3ELNS1_3repE0EEENS1_30default_config_static_selectorELNS0_4arch9wavefront6targetE0EEEvT1_.num_named_barrier, 0
	.set _ZN7rocprim17ROCPRIM_400000_NS6detail17trampoline_kernelINS0_14default_configENS1_25partition_config_selectorILNS1_17partition_subalgoE6EsNS0_10empty_typeEbEEZZNS1_14partition_implILS5_6ELb0ES3_mN6thrust23THRUST_200600_302600_NS6detail15normal_iteratorINSA_10device_ptrIsEEEEPS6_SG_NS0_5tupleIJSF_S6_EEENSH_IJSG_SG_EEES6_PlJNSB_9not_fun_tINSB_10functional5actorINSM_9compositeIJNSM_27transparent_binary_operatorINSA_8equal_toIvEEEENSN_INSM_8argumentILj0EEEEENSM_5valueIsEEEEEEEEEEEE10hipError_tPvRmT3_T4_T5_T6_T7_T9_mT8_P12ihipStream_tbDpT10_ENKUlT_T0_E_clISt17integral_constantIbLb0EES1K_EEDaS1F_S1G_EUlS1F_E_NS1_11comp_targetILNS1_3genE9ELNS1_11target_archE1100ELNS1_3gpuE3ELNS1_3repE0EEENS1_30default_config_static_selectorELNS0_4arch9wavefront6targetE0EEEvT1_.private_seg_size, 0
	.set _ZN7rocprim17ROCPRIM_400000_NS6detail17trampoline_kernelINS0_14default_configENS1_25partition_config_selectorILNS1_17partition_subalgoE6EsNS0_10empty_typeEbEEZZNS1_14partition_implILS5_6ELb0ES3_mN6thrust23THRUST_200600_302600_NS6detail15normal_iteratorINSA_10device_ptrIsEEEEPS6_SG_NS0_5tupleIJSF_S6_EEENSH_IJSG_SG_EEES6_PlJNSB_9not_fun_tINSB_10functional5actorINSM_9compositeIJNSM_27transparent_binary_operatorINSA_8equal_toIvEEEENSN_INSM_8argumentILj0EEEEENSM_5valueIsEEEEEEEEEEEE10hipError_tPvRmT3_T4_T5_T6_T7_T9_mT8_P12ihipStream_tbDpT10_ENKUlT_T0_E_clISt17integral_constantIbLb0EES1K_EEDaS1F_S1G_EUlS1F_E_NS1_11comp_targetILNS1_3genE9ELNS1_11target_archE1100ELNS1_3gpuE3ELNS1_3repE0EEENS1_30default_config_static_selectorELNS0_4arch9wavefront6targetE0EEEvT1_.uses_vcc, 0
	.set _ZN7rocprim17ROCPRIM_400000_NS6detail17trampoline_kernelINS0_14default_configENS1_25partition_config_selectorILNS1_17partition_subalgoE6EsNS0_10empty_typeEbEEZZNS1_14partition_implILS5_6ELb0ES3_mN6thrust23THRUST_200600_302600_NS6detail15normal_iteratorINSA_10device_ptrIsEEEEPS6_SG_NS0_5tupleIJSF_S6_EEENSH_IJSG_SG_EEES6_PlJNSB_9not_fun_tINSB_10functional5actorINSM_9compositeIJNSM_27transparent_binary_operatorINSA_8equal_toIvEEEENSN_INSM_8argumentILj0EEEEENSM_5valueIsEEEEEEEEEEEE10hipError_tPvRmT3_T4_T5_T6_T7_T9_mT8_P12ihipStream_tbDpT10_ENKUlT_T0_E_clISt17integral_constantIbLb0EES1K_EEDaS1F_S1G_EUlS1F_E_NS1_11comp_targetILNS1_3genE9ELNS1_11target_archE1100ELNS1_3gpuE3ELNS1_3repE0EEENS1_30default_config_static_selectorELNS0_4arch9wavefront6targetE0EEEvT1_.uses_flat_scratch, 0
	.set _ZN7rocprim17ROCPRIM_400000_NS6detail17trampoline_kernelINS0_14default_configENS1_25partition_config_selectorILNS1_17partition_subalgoE6EsNS0_10empty_typeEbEEZZNS1_14partition_implILS5_6ELb0ES3_mN6thrust23THRUST_200600_302600_NS6detail15normal_iteratorINSA_10device_ptrIsEEEEPS6_SG_NS0_5tupleIJSF_S6_EEENSH_IJSG_SG_EEES6_PlJNSB_9not_fun_tINSB_10functional5actorINSM_9compositeIJNSM_27transparent_binary_operatorINSA_8equal_toIvEEEENSN_INSM_8argumentILj0EEEEENSM_5valueIsEEEEEEEEEEEE10hipError_tPvRmT3_T4_T5_T6_T7_T9_mT8_P12ihipStream_tbDpT10_ENKUlT_T0_E_clISt17integral_constantIbLb0EES1K_EEDaS1F_S1G_EUlS1F_E_NS1_11comp_targetILNS1_3genE9ELNS1_11target_archE1100ELNS1_3gpuE3ELNS1_3repE0EEENS1_30default_config_static_selectorELNS0_4arch9wavefront6targetE0EEEvT1_.has_dyn_sized_stack, 0
	.set _ZN7rocprim17ROCPRIM_400000_NS6detail17trampoline_kernelINS0_14default_configENS1_25partition_config_selectorILNS1_17partition_subalgoE6EsNS0_10empty_typeEbEEZZNS1_14partition_implILS5_6ELb0ES3_mN6thrust23THRUST_200600_302600_NS6detail15normal_iteratorINSA_10device_ptrIsEEEEPS6_SG_NS0_5tupleIJSF_S6_EEENSH_IJSG_SG_EEES6_PlJNSB_9not_fun_tINSB_10functional5actorINSM_9compositeIJNSM_27transparent_binary_operatorINSA_8equal_toIvEEEENSN_INSM_8argumentILj0EEEEENSM_5valueIsEEEEEEEEEEEE10hipError_tPvRmT3_T4_T5_T6_T7_T9_mT8_P12ihipStream_tbDpT10_ENKUlT_T0_E_clISt17integral_constantIbLb0EES1K_EEDaS1F_S1G_EUlS1F_E_NS1_11comp_targetILNS1_3genE9ELNS1_11target_archE1100ELNS1_3gpuE3ELNS1_3repE0EEENS1_30default_config_static_selectorELNS0_4arch9wavefront6targetE0EEEvT1_.has_recursion, 0
	.set _ZN7rocprim17ROCPRIM_400000_NS6detail17trampoline_kernelINS0_14default_configENS1_25partition_config_selectorILNS1_17partition_subalgoE6EsNS0_10empty_typeEbEEZZNS1_14partition_implILS5_6ELb0ES3_mN6thrust23THRUST_200600_302600_NS6detail15normal_iteratorINSA_10device_ptrIsEEEEPS6_SG_NS0_5tupleIJSF_S6_EEENSH_IJSG_SG_EEES6_PlJNSB_9not_fun_tINSB_10functional5actorINSM_9compositeIJNSM_27transparent_binary_operatorINSA_8equal_toIvEEEENSN_INSM_8argumentILj0EEEEENSM_5valueIsEEEEEEEEEEEE10hipError_tPvRmT3_T4_T5_T6_T7_T9_mT8_P12ihipStream_tbDpT10_ENKUlT_T0_E_clISt17integral_constantIbLb0EES1K_EEDaS1F_S1G_EUlS1F_E_NS1_11comp_targetILNS1_3genE9ELNS1_11target_archE1100ELNS1_3gpuE3ELNS1_3repE0EEENS1_30default_config_static_selectorELNS0_4arch9wavefront6targetE0EEEvT1_.has_indirect_call, 0
	.section	.AMDGPU.csdata,"",@progbits
; Kernel info:
; codeLenInByte = 0
; TotalNumSgprs: 0
; NumVgprs: 0
; ScratchSize: 0
; MemoryBound: 0
; FloatMode: 240
; IeeeMode: 1
; LDSByteSize: 0 bytes/workgroup (compile time only)
; SGPRBlocks: 0
; VGPRBlocks: 0
; NumSGPRsForWavesPerEU: 1
; NumVGPRsForWavesPerEU: 1
; Occupancy: 16
; WaveLimiterHint : 0
; COMPUTE_PGM_RSRC2:SCRATCH_EN: 0
; COMPUTE_PGM_RSRC2:USER_SGPR: 2
; COMPUTE_PGM_RSRC2:TRAP_HANDLER: 0
; COMPUTE_PGM_RSRC2:TGID_X_EN: 1
; COMPUTE_PGM_RSRC2:TGID_Y_EN: 0
; COMPUTE_PGM_RSRC2:TGID_Z_EN: 0
; COMPUTE_PGM_RSRC2:TIDIG_COMP_CNT: 0
	.section	.text._ZN7rocprim17ROCPRIM_400000_NS6detail17trampoline_kernelINS0_14default_configENS1_25partition_config_selectorILNS1_17partition_subalgoE6EsNS0_10empty_typeEbEEZZNS1_14partition_implILS5_6ELb0ES3_mN6thrust23THRUST_200600_302600_NS6detail15normal_iteratorINSA_10device_ptrIsEEEEPS6_SG_NS0_5tupleIJSF_S6_EEENSH_IJSG_SG_EEES6_PlJNSB_9not_fun_tINSB_10functional5actorINSM_9compositeIJNSM_27transparent_binary_operatorINSA_8equal_toIvEEEENSN_INSM_8argumentILj0EEEEENSM_5valueIsEEEEEEEEEEEE10hipError_tPvRmT3_T4_T5_T6_T7_T9_mT8_P12ihipStream_tbDpT10_ENKUlT_T0_E_clISt17integral_constantIbLb0EES1K_EEDaS1F_S1G_EUlS1F_E_NS1_11comp_targetILNS1_3genE8ELNS1_11target_archE1030ELNS1_3gpuE2ELNS1_3repE0EEENS1_30default_config_static_selectorELNS0_4arch9wavefront6targetE0EEEvT1_,"axG",@progbits,_ZN7rocprim17ROCPRIM_400000_NS6detail17trampoline_kernelINS0_14default_configENS1_25partition_config_selectorILNS1_17partition_subalgoE6EsNS0_10empty_typeEbEEZZNS1_14partition_implILS5_6ELb0ES3_mN6thrust23THRUST_200600_302600_NS6detail15normal_iteratorINSA_10device_ptrIsEEEEPS6_SG_NS0_5tupleIJSF_S6_EEENSH_IJSG_SG_EEES6_PlJNSB_9not_fun_tINSB_10functional5actorINSM_9compositeIJNSM_27transparent_binary_operatorINSA_8equal_toIvEEEENSN_INSM_8argumentILj0EEEEENSM_5valueIsEEEEEEEEEEEE10hipError_tPvRmT3_T4_T5_T6_T7_T9_mT8_P12ihipStream_tbDpT10_ENKUlT_T0_E_clISt17integral_constantIbLb0EES1K_EEDaS1F_S1G_EUlS1F_E_NS1_11comp_targetILNS1_3genE8ELNS1_11target_archE1030ELNS1_3gpuE2ELNS1_3repE0EEENS1_30default_config_static_selectorELNS0_4arch9wavefront6targetE0EEEvT1_,comdat
	.protected	_ZN7rocprim17ROCPRIM_400000_NS6detail17trampoline_kernelINS0_14default_configENS1_25partition_config_selectorILNS1_17partition_subalgoE6EsNS0_10empty_typeEbEEZZNS1_14partition_implILS5_6ELb0ES3_mN6thrust23THRUST_200600_302600_NS6detail15normal_iteratorINSA_10device_ptrIsEEEEPS6_SG_NS0_5tupleIJSF_S6_EEENSH_IJSG_SG_EEES6_PlJNSB_9not_fun_tINSB_10functional5actorINSM_9compositeIJNSM_27transparent_binary_operatorINSA_8equal_toIvEEEENSN_INSM_8argumentILj0EEEEENSM_5valueIsEEEEEEEEEEEE10hipError_tPvRmT3_T4_T5_T6_T7_T9_mT8_P12ihipStream_tbDpT10_ENKUlT_T0_E_clISt17integral_constantIbLb0EES1K_EEDaS1F_S1G_EUlS1F_E_NS1_11comp_targetILNS1_3genE8ELNS1_11target_archE1030ELNS1_3gpuE2ELNS1_3repE0EEENS1_30default_config_static_selectorELNS0_4arch9wavefront6targetE0EEEvT1_ ; -- Begin function _ZN7rocprim17ROCPRIM_400000_NS6detail17trampoline_kernelINS0_14default_configENS1_25partition_config_selectorILNS1_17partition_subalgoE6EsNS0_10empty_typeEbEEZZNS1_14partition_implILS5_6ELb0ES3_mN6thrust23THRUST_200600_302600_NS6detail15normal_iteratorINSA_10device_ptrIsEEEEPS6_SG_NS0_5tupleIJSF_S6_EEENSH_IJSG_SG_EEES6_PlJNSB_9not_fun_tINSB_10functional5actorINSM_9compositeIJNSM_27transparent_binary_operatorINSA_8equal_toIvEEEENSN_INSM_8argumentILj0EEEEENSM_5valueIsEEEEEEEEEEEE10hipError_tPvRmT3_T4_T5_T6_T7_T9_mT8_P12ihipStream_tbDpT10_ENKUlT_T0_E_clISt17integral_constantIbLb0EES1K_EEDaS1F_S1G_EUlS1F_E_NS1_11comp_targetILNS1_3genE8ELNS1_11target_archE1030ELNS1_3gpuE2ELNS1_3repE0EEENS1_30default_config_static_selectorELNS0_4arch9wavefront6targetE0EEEvT1_
	.globl	_ZN7rocprim17ROCPRIM_400000_NS6detail17trampoline_kernelINS0_14default_configENS1_25partition_config_selectorILNS1_17partition_subalgoE6EsNS0_10empty_typeEbEEZZNS1_14partition_implILS5_6ELb0ES3_mN6thrust23THRUST_200600_302600_NS6detail15normal_iteratorINSA_10device_ptrIsEEEEPS6_SG_NS0_5tupleIJSF_S6_EEENSH_IJSG_SG_EEES6_PlJNSB_9not_fun_tINSB_10functional5actorINSM_9compositeIJNSM_27transparent_binary_operatorINSA_8equal_toIvEEEENSN_INSM_8argumentILj0EEEEENSM_5valueIsEEEEEEEEEEEE10hipError_tPvRmT3_T4_T5_T6_T7_T9_mT8_P12ihipStream_tbDpT10_ENKUlT_T0_E_clISt17integral_constantIbLb0EES1K_EEDaS1F_S1G_EUlS1F_E_NS1_11comp_targetILNS1_3genE8ELNS1_11target_archE1030ELNS1_3gpuE2ELNS1_3repE0EEENS1_30default_config_static_selectorELNS0_4arch9wavefront6targetE0EEEvT1_
	.p2align	8
	.type	_ZN7rocprim17ROCPRIM_400000_NS6detail17trampoline_kernelINS0_14default_configENS1_25partition_config_selectorILNS1_17partition_subalgoE6EsNS0_10empty_typeEbEEZZNS1_14partition_implILS5_6ELb0ES3_mN6thrust23THRUST_200600_302600_NS6detail15normal_iteratorINSA_10device_ptrIsEEEEPS6_SG_NS0_5tupleIJSF_S6_EEENSH_IJSG_SG_EEES6_PlJNSB_9not_fun_tINSB_10functional5actorINSM_9compositeIJNSM_27transparent_binary_operatorINSA_8equal_toIvEEEENSN_INSM_8argumentILj0EEEEENSM_5valueIsEEEEEEEEEEEE10hipError_tPvRmT3_T4_T5_T6_T7_T9_mT8_P12ihipStream_tbDpT10_ENKUlT_T0_E_clISt17integral_constantIbLb0EES1K_EEDaS1F_S1G_EUlS1F_E_NS1_11comp_targetILNS1_3genE8ELNS1_11target_archE1030ELNS1_3gpuE2ELNS1_3repE0EEENS1_30default_config_static_selectorELNS0_4arch9wavefront6targetE0EEEvT1_,@function
_ZN7rocprim17ROCPRIM_400000_NS6detail17trampoline_kernelINS0_14default_configENS1_25partition_config_selectorILNS1_17partition_subalgoE6EsNS0_10empty_typeEbEEZZNS1_14partition_implILS5_6ELb0ES3_mN6thrust23THRUST_200600_302600_NS6detail15normal_iteratorINSA_10device_ptrIsEEEEPS6_SG_NS0_5tupleIJSF_S6_EEENSH_IJSG_SG_EEES6_PlJNSB_9not_fun_tINSB_10functional5actorINSM_9compositeIJNSM_27transparent_binary_operatorINSA_8equal_toIvEEEENSN_INSM_8argumentILj0EEEEENSM_5valueIsEEEEEEEEEEEE10hipError_tPvRmT3_T4_T5_T6_T7_T9_mT8_P12ihipStream_tbDpT10_ENKUlT_T0_E_clISt17integral_constantIbLb0EES1K_EEDaS1F_S1G_EUlS1F_E_NS1_11comp_targetILNS1_3genE8ELNS1_11target_archE1030ELNS1_3gpuE2ELNS1_3repE0EEENS1_30default_config_static_selectorELNS0_4arch9wavefront6targetE0EEEvT1_: ; @_ZN7rocprim17ROCPRIM_400000_NS6detail17trampoline_kernelINS0_14default_configENS1_25partition_config_selectorILNS1_17partition_subalgoE6EsNS0_10empty_typeEbEEZZNS1_14partition_implILS5_6ELb0ES3_mN6thrust23THRUST_200600_302600_NS6detail15normal_iteratorINSA_10device_ptrIsEEEEPS6_SG_NS0_5tupleIJSF_S6_EEENSH_IJSG_SG_EEES6_PlJNSB_9not_fun_tINSB_10functional5actorINSM_9compositeIJNSM_27transparent_binary_operatorINSA_8equal_toIvEEEENSN_INSM_8argumentILj0EEEEENSM_5valueIsEEEEEEEEEEEE10hipError_tPvRmT3_T4_T5_T6_T7_T9_mT8_P12ihipStream_tbDpT10_ENKUlT_T0_E_clISt17integral_constantIbLb0EES1K_EEDaS1F_S1G_EUlS1F_E_NS1_11comp_targetILNS1_3genE8ELNS1_11target_archE1030ELNS1_3gpuE2ELNS1_3repE0EEENS1_30default_config_static_selectorELNS0_4arch9wavefront6targetE0EEEvT1_
; %bb.0:
	.section	.rodata,"a",@progbits
	.p2align	6, 0x0
	.amdhsa_kernel _ZN7rocprim17ROCPRIM_400000_NS6detail17trampoline_kernelINS0_14default_configENS1_25partition_config_selectorILNS1_17partition_subalgoE6EsNS0_10empty_typeEbEEZZNS1_14partition_implILS5_6ELb0ES3_mN6thrust23THRUST_200600_302600_NS6detail15normal_iteratorINSA_10device_ptrIsEEEEPS6_SG_NS0_5tupleIJSF_S6_EEENSH_IJSG_SG_EEES6_PlJNSB_9not_fun_tINSB_10functional5actorINSM_9compositeIJNSM_27transparent_binary_operatorINSA_8equal_toIvEEEENSN_INSM_8argumentILj0EEEEENSM_5valueIsEEEEEEEEEEEE10hipError_tPvRmT3_T4_T5_T6_T7_T9_mT8_P12ihipStream_tbDpT10_ENKUlT_T0_E_clISt17integral_constantIbLb0EES1K_EEDaS1F_S1G_EUlS1F_E_NS1_11comp_targetILNS1_3genE8ELNS1_11target_archE1030ELNS1_3gpuE2ELNS1_3repE0EEENS1_30default_config_static_selectorELNS0_4arch9wavefront6targetE0EEEvT1_
		.amdhsa_group_segment_fixed_size 0
		.amdhsa_private_segment_fixed_size 0
		.amdhsa_kernarg_size 120
		.amdhsa_user_sgpr_count 2
		.amdhsa_user_sgpr_dispatch_ptr 0
		.amdhsa_user_sgpr_queue_ptr 0
		.amdhsa_user_sgpr_kernarg_segment_ptr 1
		.amdhsa_user_sgpr_dispatch_id 0
		.amdhsa_user_sgpr_private_segment_size 0
		.amdhsa_wavefront_size32 1
		.amdhsa_uses_dynamic_stack 0
		.amdhsa_enable_private_segment 0
		.amdhsa_system_sgpr_workgroup_id_x 1
		.amdhsa_system_sgpr_workgroup_id_y 0
		.amdhsa_system_sgpr_workgroup_id_z 0
		.amdhsa_system_sgpr_workgroup_info 0
		.amdhsa_system_vgpr_workitem_id 0
		.amdhsa_next_free_vgpr 1
		.amdhsa_next_free_sgpr 1
		.amdhsa_reserve_vcc 0
		.amdhsa_float_round_mode_32 0
		.amdhsa_float_round_mode_16_64 0
		.amdhsa_float_denorm_mode_32 3
		.amdhsa_float_denorm_mode_16_64 3
		.amdhsa_fp16_overflow 0
		.amdhsa_workgroup_processor_mode 1
		.amdhsa_memory_ordered 1
		.amdhsa_forward_progress 1
		.amdhsa_inst_pref_size 0
		.amdhsa_round_robin_scheduling 0
		.amdhsa_exception_fp_ieee_invalid_op 0
		.amdhsa_exception_fp_denorm_src 0
		.amdhsa_exception_fp_ieee_div_zero 0
		.amdhsa_exception_fp_ieee_overflow 0
		.amdhsa_exception_fp_ieee_underflow 0
		.amdhsa_exception_fp_ieee_inexact 0
		.amdhsa_exception_int_div_zero 0
	.end_amdhsa_kernel
	.section	.text._ZN7rocprim17ROCPRIM_400000_NS6detail17trampoline_kernelINS0_14default_configENS1_25partition_config_selectorILNS1_17partition_subalgoE6EsNS0_10empty_typeEbEEZZNS1_14partition_implILS5_6ELb0ES3_mN6thrust23THRUST_200600_302600_NS6detail15normal_iteratorINSA_10device_ptrIsEEEEPS6_SG_NS0_5tupleIJSF_S6_EEENSH_IJSG_SG_EEES6_PlJNSB_9not_fun_tINSB_10functional5actorINSM_9compositeIJNSM_27transparent_binary_operatorINSA_8equal_toIvEEEENSN_INSM_8argumentILj0EEEEENSM_5valueIsEEEEEEEEEEEE10hipError_tPvRmT3_T4_T5_T6_T7_T9_mT8_P12ihipStream_tbDpT10_ENKUlT_T0_E_clISt17integral_constantIbLb0EES1K_EEDaS1F_S1G_EUlS1F_E_NS1_11comp_targetILNS1_3genE8ELNS1_11target_archE1030ELNS1_3gpuE2ELNS1_3repE0EEENS1_30default_config_static_selectorELNS0_4arch9wavefront6targetE0EEEvT1_,"axG",@progbits,_ZN7rocprim17ROCPRIM_400000_NS6detail17trampoline_kernelINS0_14default_configENS1_25partition_config_selectorILNS1_17partition_subalgoE6EsNS0_10empty_typeEbEEZZNS1_14partition_implILS5_6ELb0ES3_mN6thrust23THRUST_200600_302600_NS6detail15normal_iteratorINSA_10device_ptrIsEEEEPS6_SG_NS0_5tupleIJSF_S6_EEENSH_IJSG_SG_EEES6_PlJNSB_9not_fun_tINSB_10functional5actorINSM_9compositeIJNSM_27transparent_binary_operatorINSA_8equal_toIvEEEENSN_INSM_8argumentILj0EEEEENSM_5valueIsEEEEEEEEEEEE10hipError_tPvRmT3_T4_T5_T6_T7_T9_mT8_P12ihipStream_tbDpT10_ENKUlT_T0_E_clISt17integral_constantIbLb0EES1K_EEDaS1F_S1G_EUlS1F_E_NS1_11comp_targetILNS1_3genE8ELNS1_11target_archE1030ELNS1_3gpuE2ELNS1_3repE0EEENS1_30default_config_static_selectorELNS0_4arch9wavefront6targetE0EEEvT1_,comdat
.Lfunc_end251:
	.size	_ZN7rocprim17ROCPRIM_400000_NS6detail17trampoline_kernelINS0_14default_configENS1_25partition_config_selectorILNS1_17partition_subalgoE6EsNS0_10empty_typeEbEEZZNS1_14partition_implILS5_6ELb0ES3_mN6thrust23THRUST_200600_302600_NS6detail15normal_iteratorINSA_10device_ptrIsEEEEPS6_SG_NS0_5tupleIJSF_S6_EEENSH_IJSG_SG_EEES6_PlJNSB_9not_fun_tINSB_10functional5actorINSM_9compositeIJNSM_27transparent_binary_operatorINSA_8equal_toIvEEEENSN_INSM_8argumentILj0EEEEENSM_5valueIsEEEEEEEEEEEE10hipError_tPvRmT3_T4_T5_T6_T7_T9_mT8_P12ihipStream_tbDpT10_ENKUlT_T0_E_clISt17integral_constantIbLb0EES1K_EEDaS1F_S1G_EUlS1F_E_NS1_11comp_targetILNS1_3genE8ELNS1_11target_archE1030ELNS1_3gpuE2ELNS1_3repE0EEENS1_30default_config_static_selectorELNS0_4arch9wavefront6targetE0EEEvT1_, .Lfunc_end251-_ZN7rocprim17ROCPRIM_400000_NS6detail17trampoline_kernelINS0_14default_configENS1_25partition_config_selectorILNS1_17partition_subalgoE6EsNS0_10empty_typeEbEEZZNS1_14partition_implILS5_6ELb0ES3_mN6thrust23THRUST_200600_302600_NS6detail15normal_iteratorINSA_10device_ptrIsEEEEPS6_SG_NS0_5tupleIJSF_S6_EEENSH_IJSG_SG_EEES6_PlJNSB_9not_fun_tINSB_10functional5actorINSM_9compositeIJNSM_27transparent_binary_operatorINSA_8equal_toIvEEEENSN_INSM_8argumentILj0EEEEENSM_5valueIsEEEEEEEEEEEE10hipError_tPvRmT3_T4_T5_T6_T7_T9_mT8_P12ihipStream_tbDpT10_ENKUlT_T0_E_clISt17integral_constantIbLb0EES1K_EEDaS1F_S1G_EUlS1F_E_NS1_11comp_targetILNS1_3genE8ELNS1_11target_archE1030ELNS1_3gpuE2ELNS1_3repE0EEENS1_30default_config_static_selectorELNS0_4arch9wavefront6targetE0EEEvT1_
                                        ; -- End function
	.set _ZN7rocprim17ROCPRIM_400000_NS6detail17trampoline_kernelINS0_14default_configENS1_25partition_config_selectorILNS1_17partition_subalgoE6EsNS0_10empty_typeEbEEZZNS1_14partition_implILS5_6ELb0ES3_mN6thrust23THRUST_200600_302600_NS6detail15normal_iteratorINSA_10device_ptrIsEEEEPS6_SG_NS0_5tupleIJSF_S6_EEENSH_IJSG_SG_EEES6_PlJNSB_9not_fun_tINSB_10functional5actorINSM_9compositeIJNSM_27transparent_binary_operatorINSA_8equal_toIvEEEENSN_INSM_8argumentILj0EEEEENSM_5valueIsEEEEEEEEEEEE10hipError_tPvRmT3_T4_T5_T6_T7_T9_mT8_P12ihipStream_tbDpT10_ENKUlT_T0_E_clISt17integral_constantIbLb0EES1K_EEDaS1F_S1G_EUlS1F_E_NS1_11comp_targetILNS1_3genE8ELNS1_11target_archE1030ELNS1_3gpuE2ELNS1_3repE0EEENS1_30default_config_static_selectorELNS0_4arch9wavefront6targetE0EEEvT1_.num_vgpr, 0
	.set _ZN7rocprim17ROCPRIM_400000_NS6detail17trampoline_kernelINS0_14default_configENS1_25partition_config_selectorILNS1_17partition_subalgoE6EsNS0_10empty_typeEbEEZZNS1_14partition_implILS5_6ELb0ES3_mN6thrust23THRUST_200600_302600_NS6detail15normal_iteratorINSA_10device_ptrIsEEEEPS6_SG_NS0_5tupleIJSF_S6_EEENSH_IJSG_SG_EEES6_PlJNSB_9not_fun_tINSB_10functional5actorINSM_9compositeIJNSM_27transparent_binary_operatorINSA_8equal_toIvEEEENSN_INSM_8argumentILj0EEEEENSM_5valueIsEEEEEEEEEEEE10hipError_tPvRmT3_T4_T5_T6_T7_T9_mT8_P12ihipStream_tbDpT10_ENKUlT_T0_E_clISt17integral_constantIbLb0EES1K_EEDaS1F_S1G_EUlS1F_E_NS1_11comp_targetILNS1_3genE8ELNS1_11target_archE1030ELNS1_3gpuE2ELNS1_3repE0EEENS1_30default_config_static_selectorELNS0_4arch9wavefront6targetE0EEEvT1_.num_agpr, 0
	.set _ZN7rocprim17ROCPRIM_400000_NS6detail17trampoline_kernelINS0_14default_configENS1_25partition_config_selectorILNS1_17partition_subalgoE6EsNS0_10empty_typeEbEEZZNS1_14partition_implILS5_6ELb0ES3_mN6thrust23THRUST_200600_302600_NS6detail15normal_iteratorINSA_10device_ptrIsEEEEPS6_SG_NS0_5tupleIJSF_S6_EEENSH_IJSG_SG_EEES6_PlJNSB_9not_fun_tINSB_10functional5actorINSM_9compositeIJNSM_27transparent_binary_operatorINSA_8equal_toIvEEEENSN_INSM_8argumentILj0EEEEENSM_5valueIsEEEEEEEEEEEE10hipError_tPvRmT3_T4_T5_T6_T7_T9_mT8_P12ihipStream_tbDpT10_ENKUlT_T0_E_clISt17integral_constantIbLb0EES1K_EEDaS1F_S1G_EUlS1F_E_NS1_11comp_targetILNS1_3genE8ELNS1_11target_archE1030ELNS1_3gpuE2ELNS1_3repE0EEENS1_30default_config_static_selectorELNS0_4arch9wavefront6targetE0EEEvT1_.numbered_sgpr, 0
	.set _ZN7rocprim17ROCPRIM_400000_NS6detail17trampoline_kernelINS0_14default_configENS1_25partition_config_selectorILNS1_17partition_subalgoE6EsNS0_10empty_typeEbEEZZNS1_14partition_implILS5_6ELb0ES3_mN6thrust23THRUST_200600_302600_NS6detail15normal_iteratorINSA_10device_ptrIsEEEEPS6_SG_NS0_5tupleIJSF_S6_EEENSH_IJSG_SG_EEES6_PlJNSB_9not_fun_tINSB_10functional5actorINSM_9compositeIJNSM_27transparent_binary_operatorINSA_8equal_toIvEEEENSN_INSM_8argumentILj0EEEEENSM_5valueIsEEEEEEEEEEEE10hipError_tPvRmT3_T4_T5_T6_T7_T9_mT8_P12ihipStream_tbDpT10_ENKUlT_T0_E_clISt17integral_constantIbLb0EES1K_EEDaS1F_S1G_EUlS1F_E_NS1_11comp_targetILNS1_3genE8ELNS1_11target_archE1030ELNS1_3gpuE2ELNS1_3repE0EEENS1_30default_config_static_selectorELNS0_4arch9wavefront6targetE0EEEvT1_.num_named_barrier, 0
	.set _ZN7rocprim17ROCPRIM_400000_NS6detail17trampoline_kernelINS0_14default_configENS1_25partition_config_selectorILNS1_17partition_subalgoE6EsNS0_10empty_typeEbEEZZNS1_14partition_implILS5_6ELb0ES3_mN6thrust23THRUST_200600_302600_NS6detail15normal_iteratorINSA_10device_ptrIsEEEEPS6_SG_NS0_5tupleIJSF_S6_EEENSH_IJSG_SG_EEES6_PlJNSB_9not_fun_tINSB_10functional5actorINSM_9compositeIJNSM_27transparent_binary_operatorINSA_8equal_toIvEEEENSN_INSM_8argumentILj0EEEEENSM_5valueIsEEEEEEEEEEEE10hipError_tPvRmT3_T4_T5_T6_T7_T9_mT8_P12ihipStream_tbDpT10_ENKUlT_T0_E_clISt17integral_constantIbLb0EES1K_EEDaS1F_S1G_EUlS1F_E_NS1_11comp_targetILNS1_3genE8ELNS1_11target_archE1030ELNS1_3gpuE2ELNS1_3repE0EEENS1_30default_config_static_selectorELNS0_4arch9wavefront6targetE0EEEvT1_.private_seg_size, 0
	.set _ZN7rocprim17ROCPRIM_400000_NS6detail17trampoline_kernelINS0_14default_configENS1_25partition_config_selectorILNS1_17partition_subalgoE6EsNS0_10empty_typeEbEEZZNS1_14partition_implILS5_6ELb0ES3_mN6thrust23THRUST_200600_302600_NS6detail15normal_iteratorINSA_10device_ptrIsEEEEPS6_SG_NS0_5tupleIJSF_S6_EEENSH_IJSG_SG_EEES6_PlJNSB_9not_fun_tINSB_10functional5actorINSM_9compositeIJNSM_27transparent_binary_operatorINSA_8equal_toIvEEEENSN_INSM_8argumentILj0EEEEENSM_5valueIsEEEEEEEEEEEE10hipError_tPvRmT3_T4_T5_T6_T7_T9_mT8_P12ihipStream_tbDpT10_ENKUlT_T0_E_clISt17integral_constantIbLb0EES1K_EEDaS1F_S1G_EUlS1F_E_NS1_11comp_targetILNS1_3genE8ELNS1_11target_archE1030ELNS1_3gpuE2ELNS1_3repE0EEENS1_30default_config_static_selectorELNS0_4arch9wavefront6targetE0EEEvT1_.uses_vcc, 0
	.set _ZN7rocprim17ROCPRIM_400000_NS6detail17trampoline_kernelINS0_14default_configENS1_25partition_config_selectorILNS1_17partition_subalgoE6EsNS0_10empty_typeEbEEZZNS1_14partition_implILS5_6ELb0ES3_mN6thrust23THRUST_200600_302600_NS6detail15normal_iteratorINSA_10device_ptrIsEEEEPS6_SG_NS0_5tupleIJSF_S6_EEENSH_IJSG_SG_EEES6_PlJNSB_9not_fun_tINSB_10functional5actorINSM_9compositeIJNSM_27transparent_binary_operatorINSA_8equal_toIvEEEENSN_INSM_8argumentILj0EEEEENSM_5valueIsEEEEEEEEEEEE10hipError_tPvRmT3_T4_T5_T6_T7_T9_mT8_P12ihipStream_tbDpT10_ENKUlT_T0_E_clISt17integral_constantIbLb0EES1K_EEDaS1F_S1G_EUlS1F_E_NS1_11comp_targetILNS1_3genE8ELNS1_11target_archE1030ELNS1_3gpuE2ELNS1_3repE0EEENS1_30default_config_static_selectorELNS0_4arch9wavefront6targetE0EEEvT1_.uses_flat_scratch, 0
	.set _ZN7rocprim17ROCPRIM_400000_NS6detail17trampoline_kernelINS0_14default_configENS1_25partition_config_selectorILNS1_17partition_subalgoE6EsNS0_10empty_typeEbEEZZNS1_14partition_implILS5_6ELb0ES3_mN6thrust23THRUST_200600_302600_NS6detail15normal_iteratorINSA_10device_ptrIsEEEEPS6_SG_NS0_5tupleIJSF_S6_EEENSH_IJSG_SG_EEES6_PlJNSB_9not_fun_tINSB_10functional5actorINSM_9compositeIJNSM_27transparent_binary_operatorINSA_8equal_toIvEEEENSN_INSM_8argumentILj0EEEEENSM_5valueIsEEEEEEEEEEEE10hipError_tPvRmT3_T4_T5_T6_T7_T9_mT8_P12ihipStream_tbDpT10_ENKUlT_T0_E_clISt17integral_constantIbLb0EES1K_EEDaS1F_S1G_EUlS1F_E_NS1_11comp_targetILNS1_3genE8ELNS1_11target_archE1030ELNS1_3gpuE2ELNS1_3repE0EEENS1_30default_config_static_selectorELNS0_4arch9wavefront6targetE0EEEvT1_.has_dyn_sized_stack, 0
	.set _ZN7rocprim17ROCPRIM_400000_NS6detail17trampoline_kernelINS0_14default_configENS1_25partition_config_selectorILNS1_17partition_subalgoE6EsNS0_10empty_typeEbEEZZNS1_14partition_implILS5_6ELb0ES3_mN6thrust23THRUST_200600_302600_NS6detail15normal_iteratorINSA_10device_ptrIsEEEEPS6_SG_NS0_5tupleIJSF_S6_EEENSH_IJSG_SG_EEES6_PlJNSB_9not_fun_tINSB_10functional5actorINSM_9compositeIJNSM_27transparent_binary_operatorINSA_8equal_toIvEEEENSN_INSM_8argumentILj0EEEEENSM_5valueIsEEEEEEEEEEEE10hipError_tPvRmT3_T4_T5_T6_T7_T9_mT8_P12ihipStream_tbDpT10_ENKUlT_T0_E_clISt17integral_constantIbLb0EES1K_EEDaS1F_S1G_EUlS1F_E_NS1_11comp_targetILNS1_3genE8ELNS1_11target_archE1030ELNS1_3gpuE2ELNS1_3repE0EEENS1_30default_config_static_selectorELNS0_4arch9wavefront6targetE0EEEvT1_.has_recursion, 0
	.set _ZN7rocprim17ROCPRIM_400000_NS6detail17trampoline_kernelINS0_14default_configENS1_25partition_config_selectorILNS1_17partition_subalgoE6EsNS0_10empty_typeEbEEZZNS1_14partition_implILS5_6ELb0ES3_mN6thrust23THRUST_200600_302600_NS6detail15normal_iteratorINSA_10device_ptrIsEEEEPS6_SG_NS0_5tupleIJSF_S6_EEENSH_IJSG_SG_EEES6_PlJNSB_9not_fun_tINSB_10functional5actorINSM_9compositeIJNSM_27transparent_binary_operatorINSA_8equal_toIvEEEENSN_INSM_8argumentILj0EEEEENSM_5valueIsEEEEEEEEEEEE10hipError_tPvRmT3_T4_T5_T6_T7_T9_mT8_P12ihipStream_tbDpT10_ENKUlT_T0_E_clISt17integral_constantIbLb0EES1K_EEDaS1F_S1G_EUlS1F_E_NS1_11comp_targetILNS1_3genE8ELNS1_11target_archE1030ELNS1_3gpuE2ELNS1_3repE0EEENS1_30default_config_static_selectorELNS0_4arch9wavefront6targetE0EEEvT1_.has_indirect_call, 0
	.section	.AMDGPU.csdata,"",@progbits
; Kernel info:
; codeLenInByte = 0
; TotalNumSgprs: 0
; NumVgprs: 0
; ScratchSize: 0
; MemoryBound: 0
; FloatMode: 240
; IeeeMode: 1
; LDSByteSize: 0 bytes/workgroup (compile time only)
; SGPRBlocks: 0
; VGPRBlocks: 0
; NumSGPRsForWavesPerEU: 1
; NumVGPRsForWavesPerEU: 1
; Occupancy: 16
; WaveLimiterHint : 0
; COMPUTE_PGM_RSRC2:SCRATCH_EN: 0
; COMPUTE_PGM_RSRC2:USER_SGPR: 2
; COMPUTE_PGM_RSRC2:TRAP_HANDLER: 0
; COMPUTE_PGM_RSRC2:TGID_X_EN: 1
; COMPUTE_PGM_RSRC2:TGID_Y_EN: 0
; COMPUTE_PGM_RSRC2:TGID_Z_EN: 0
; COMPUTE_PGM_RSRC2:TIDIG_COMP_CNT: 0
	.section	.text._ZN7rocprim17ROCPRIM_400000_NS6detail17trampoline_kernelINS0_14default_configENS1_25partition_config_selectorILNS1_17partition_subalgoE6EsNS0_10empty_typeEbEEZZNS1_14partition_implILS5_6ELb0ES3_mN6thrust23THRUST_200600_302600_NS6detail15normal_iteratorINSA_10device_ptrIsEEEEPS6_SG_NS0_5tupleIJSF_S6_EEENSH_IJSG_SG_EEES6_PlJNSB_9not_fun_tINSB_10functional5actorINSM_9compositeIJNSM_27transparent_binary_operatorINSA_8equal_toIvEEEENSN_INSM_8argumentILj0EEEEENSM_5valueIsEEEEEEEEEEEE10hipError_tPvRmT3_T4_T5_T6_T7_T9_mT8_P12ihipStream_tbDpT10_ENKUlT_T0_E_clISt17integral_constantIbLb1EES1K_EEDaS1F_S1G_EUlS1F_E_NS1_11comp_targetILNS1_3genE0ELNS1_11target_archE4294967295ELNS1_3gpuE0ELNS1_3repE0EEENS1_30default_config_static_selectorELNS0_4arch9wavefront6targetE0EEEvT1_,"axG",@progbits,_ZN7rocprim17ROCPRIM_400000_NS6detail17trampoline_kernelINS0_14default_configENS1_25partition_config_selectorILNS1_17partition_subalgoE6EsNS0_10empty_typeEbEEZZNS1_14partition_implILS5_6ELb0ES3_mN6thrust23THRUST_200600_302600_NS6detail15normal_iteratorINSA_10device_ptrIsEEEEPS6_SG_NS0_5tupleIJSF_S6_EEENSH_IJSG_SG_EEES6_PlJNSB_9not_fun_tINSB_10functional5actorINSM_9compositeIJNSM_27transparent_binary_operatorINSA_8equal_toIvEEEENSN_INSM_8argumentILj0EEEEENSM_5valueIsEEEEEEEEEEEE10hipError_tPvRmT3_T4_T5_T6_T7_T9_mT8_P12ihipStream_tbDpT10_ENKUlT_T0_E_clISt17integral_constantIbLb1EES1K_EEDaS1F_S1G_EUlS1F_E_NS1_11comp_targetILNS1_3genE0ELNS1_11target_archE4294967295ELNS1_3gpuE0ELNS1_3repE0EEENS1_30default_config_static_selectorELNS0_4arch9wavefront6targetE0EEEvT1_,comdat
	.protected	_ZN7rocprim17ROCPRIM_400000_NS6detail17trampoline_kernelINS0_14default_configENS1_25partition_config_selectorILNS1_17partition_subalgoE6EsNS0_10empty_typeEbEEZZNS1_14partition_implILS5_6ELb0ES3_mN6thrust23THRUST_200600_302600_NS6detail15normal_iteratorINSA_10device_ptrIsEEEEPS6_SG_NS0_5tupleIJSF_S6_EEENSH_IJSG_SG_EEES6_PlJNSB_9not_fun_tINSB_10functional5actorINSM_9compositeIJNSM_27transparent_binary_operatorINSA_8equal_toIvEEEENSN_INSM_8argumentILj0EEEEENSM_5valueIsEEEEEEEEEEEE10hipError_tPvRmT3_T4_T5_T6_T7_T9_mT8_P12ihipStream_tbDpT10_ENKUlT_T0_E_clISt17integral_constantIbLb1EES1K_EEDaS1F_S1G_EUlS1F_E_NS1_11comp_targetILNS1_3genE0ELNS1_11target_archE4294967295ELNS1_3gpuE0ELNS1_3repE0EEENS1_30default_config_static_selectorELNS0_4arch9wavefront6targetE0EEEvT1_ ; -- Begin function _ZN7rocprim17ROCPRIM_400000_NS6detail17trampoline_kernelINS0_14default_configENS1_25partition_config_selectorILNS1_17partition_subalgoE6EsNS0_10empty_typeEbEEZZNS1_14partition_implILS5_6ELb0ES3_mN6thrust23THRUST_200600_302600_NS6detail15normal_iteratorINSA_10device_ptrIsEEEEPS6_SG_NS0_5tupleIJSF_S6_EEENSH_IJSG_SG_EEES6_PlJNSB_9not_fun_tINSB_10functional5actorINSM_9compositeIJNSM_27transparent_binary_operatorINSA_8equal_toIvEEEENSN_INSM_8argumentILj0EEEEENSM_5valueIsEEEEEEEEEEEE10hipError_tPvRmT3_T4_T5_T6_T7_T9_mT8_P12ihipStream_tbDpT10_ENKUlT_T0_E_clISt17integral_constantIbLb1EES1K_EEDaS1F_S1G_EUlS1F_E_NS1_11comp_targetILNS1_3genE0ELNS1_11target_archE4294967295ELNS1_3gpuE0ELNS1_3repE0EEENS1_30default_config_static_selectorELNS0_4arch9wavefront6targetE0EEEvT1_
	.globl	_ZN7rocprim17ROCPRIM_400000_NS6detail17trampoline_kernelINS0_14default_configENS1_25partition_config_selectorILNS1_17partition_subalgoE6EsNS0_10empty_typeEbEEZZNS1_14partition_implILS5_6ELb0ES3_mN6thrust23THRUST_200600_302600_NS6detail15normal_iteratorINSA_10device_ptrIsEEEEPS6_SG_NS0_5tupleIJSF_S6_EEENSH_IJSG_SG_EEES6_PlJNSB_9not_fun_tINSB_10functional5actorINSM_9compositeIJNSM_27transparent_binary_operatorINSA_8equal_toIvEEEENSN_INSM_8argumentILj0EEEEENSM_5valueIsEEEEEEEEEEEE10hipError_tPvRmT3_T4_T5_T6_T7_T9_mT8_P12ihipStream_tbDpT10_ENKUlT_T0_E_clISt17integral_constantIbLb1EES1K_EEDaS1F_S1G_EUlS1F_E_NS1_11comp_targetILNS1_3genE0ELNS1_11target_archE4294967295ELNS1_3gpuE0ELNS1_3repE0EEENS1_30default_config_static_selectorELNS0_4arch9wavefront6targetE0EEEvT1_
	.p2align	8
	.type	_ZN7rocprim17ROCPRIM_400000_NS6detail17trampoline_kernelINS0_14default_configENS1_25partition_config_selectorILNS1_17partition_subalgoE6EsNS0_10empty_typeEbEEZZNS1_14partition_implILS5_6ELb0ES3_mN6thrust23THRUST_200600_302600_NS6detail15normal_iteratorINSA_10device_ptrIsEEEEPS6_SG_NS0_5tupleIJSF_S6_EEENSH_IJSG_SG_EEES6_PlJNSB_9not_fun_tINSB_10functional5actorINSM_9compositeIJNSM_27transparent_binary_operatorINSA_8equal_toIvEEEENSN_INSM_8argumentILj0EEEEENSM_5valueIsEEEEEEEEEEEE10hipError_tPvRmT3_T4_T5_T6_T7_T9_mT8_P12ihipStream_tbDpT10_ENKUlT_T0_E_clISt17integral_constantIbLb1EES1K_EEDaS1F_S1G_EUlS1F_E_NS1_11comp_targetILNS1_3genE0ELNS1_11target_archE4294967295ELNS1_3gpuE0ELNS1_3repE0EEENS1_30default_config_static_selectorELNS0_4arch9wavefront6targetE0EEEvT1_,@function
_ZN7rocprim17ROCPRIM_400000_NS6detail17trampoline_kernelINS0_14default_configENS1_25partition_config_selectorILNS1_17partition_subalgoE6EsNS0_10empty_typeEbEEZZNS1_14partition_implILS5_6ELb0ES3_mN6thrust23THRUST_200600_302600_NS6detail15normal_iteratorINSA_10device_ptrIsEEEEPS6_SG_NS0_5tupleIJSF_S6_EEENSH_IJSG_SG_EEES6_PlJNSB_9not_fun_tINSB_10functional5actorINSM_9compositeIJNSM_27transparent_binary_operatorINSA_8equal_toIvEEEENSN_INSM_8argumentILj0EEEEENSM_5valueIsEEEEEEEEEEEE10hipError_tPvRmT3_T4_T5_T6_T7_T9_mT8_P12ihipStream_tbDpT10_ENKUlT_T0_E_clISt17integral_constantIbLb1EES1K_EEDaS1F_S1G_EUlS1F_E_NS1_11comp_targetILNS1_3genE0ELNS1_11target_archE4294967295ELNS1_3gpuE0ELNS1_3repE0EEENS1_30default_config_static_selectorELNS0_4arch9wavefront6targetE0EEEvT1_: ; @_ZN7rocprim17ROCPRIM_400000_NS6detail17trampoline_kernelINS0_14default_configENS1_25partition_config_selectorILNS1_17partition_subalgoE6EsNS0_10empty_typeEbEEZZNS1_14partition_implILS5_6ELb0ES3_mN6thrust23THRUST_200600_302600_NS6detail15normal_iteratorINSA_10device_ptrIsEEEEPS6_SG_NS0_5tupleIJSF_S6_EEENSH_IJSG_SG_EEES6_PlJNSB_9not_fun_tINSB_10functional5actorINSM_9compositeIJNSM_27transparent_binary_operatorINSA_8equal_toIvEEEENSN_INSM_8argumentILj0EEEEENSM_5valueIsEEEEEEEEEEEE10hipError_tPvRmT3_T4_T5_T6_T7_T9_mT8_P12ihipStream_tbDpT10_ENKUlT_T0_E_clISt17integral_constantIbLb1EES1K_EEDaS1F_S1G_EUlS1F_E_NS1_11comp_targetILNS1_3genE0ELNS1_11target_archE4294967295ELNS1_3gpuE0ELNS1_3repE0EEENS1_30default_config_static_selectorELNS0_4arch9wavefront6targetE0EEEvT1_
; %bb.0:
	.section	.rodata,"a",@progbits
	.p2align	6, 0x0
	.amdhsa_kernel _ZN7rocprim17ROCPRIM_400000_NS6detail17trampoline_kernelINS0_14default_configENS1_25partition_config_selectorILNS1_17partition_subalgoE6EsNS0_10empty_typeEbEEZZNS1_14partition_implILS5_6ELb0ES3_mN6thrust23THRUST_200600_302600_NS6detail15normal_iteratorINSA_10device_ptrIsEEEEPS6_SG_NS0_5tupleIJSF_S6_EEENSH_IJSG_SG_EEES6_PlJNSB_9not_fun_tINSB_10functional5actorINSM_9compositeIJNSM_27transparent_binary_operatorINSA_8equal_toIvEEEENSN_INSM_8argumentILj0EEEEENSM_5valueIsEEEEEEEEEEEE10hipError_tPvRmT3_T4_T5_T6_T7_T9_mT8_P12ihipStream_tbDpT10_ENKUlT_T0_E_clISt17integral_constantIbLb1EES1K_EEDaS1F_S1G_EUlS1F_E_NS1_11comp_targetILNS1_3genE0ELNS1_11target_archE4294967295ELNS1_3gpuE0ELNS1_3repE0EEENS1_30default_config_static_selectorELNS0_4arch9wavefront6targetE0EEEvT1_
		.amdhsa_group_segment_fixed_size 0
		.amdhsa_private_segment_fixed_size 0
		.amdhsa_kernarg_size 128
		.amdhsa_user_sgpr_count 2
		.amdhsa_user_sgpr_dispatch_ptr 0
		.amdhsa_user_sgpr_queue_ptr 0
		.amdhsa_user_sgpr_kernarg_segment_ptr 1
		.amdhsa_user_sgpr_dispatch_id 0
		.amdhsa_user_sgpr_private_segment_size 0
		.amdhsa_wavefront_size32 1
		.amdhsa_uses_dynamic_stack 0
		.amdhsa_enable_private_segment 0
		.amdhsa_system_sgpr_workgroup_id_x 1
		.amdhsa_system_sgpr_workgroup_id_y 0
		.amdhsa_system_sgpr_workgroup_id_z 0
		.amdhsa_system_sgpr_workgroup_info 0
		.amdhsa_system_vgpr_workitem_id 0
		.amdhsa_next_free_vgpr 1
		.amdhsa_next_free_sgpr 1
		.amdhsa_reserve_vcc 0
		.amdhsa_float_round_mode_32 0
		.amdhsa_float_round_mode_16_64 0
		.amdhsa_float_denorm_mode_32 3
		.amdhsa_float_denorm_mode_16_64 3
		.amdhsa_fp16_overflow 0
		.amdhsa_workgroup_processor_mode 1
		.amdhsa_memory_ordered 1
		.amdhsa_forward_progress 1
		.amdhsa_inst_pref_size 0
		.amdhsa_round_robin_scheduling 0
		.amdhsa_exception_fp_ieee_invalid_op 0
		.amdhsa_exception_fp_denorm_src 0
		.amdhsa_exception_fp_ieee_div_zero 0
		.amdhsa_exception_fp_ieee_overflow 0
		.amdhsa_exception_fp_ieee_underflow 0
		.amdhsa_exception_fp_ieee_inexact 0
		.amdhsa_exception_int_div_zero 0
	.end_amdhsa_kernel
	.section	.text._ZN7rocprim17ROCPRIM_400000_NS6detail17trampoline_kernelINS0_14default_configENS1_25partition_config_selectorILNS1_17partition_subalgoE6EsNS0_10empty_typeEbEEZZNS1_14partition_implILS5_6ELb0ES3_mN6thrust23THRUST_200600_302600_NS6detail15normal_iteratorINSA_10device_ptrIsEEEEPS6_SG_NS0_5tupleIJSF_S6_EEENSH_IJSG_SG_EEES6_PlJNSB_9not_fun_tINSB_10functional5actorINSM_9compositeIJNSM_27transparent_binary_operatorINSA_8equal_toIvEEEENSN_INSM_8argumentILj0EEEEENSM_5valueIsEEEEEEEEEEEE10hipError_tPvRmT3_T4_T5_T6_T7_T9_mT8_P12ihipStream_tbDpT10_ENKUlT_T0_E_clISt17integral_constantIbLb1EES1K_EEDaS1F_S1G_EUlS1F_E_NS1_11comp_targetILNS1_3genE0ELNS1_11target_archE4294967295ELNS1_3gpuE0ELNS1_3repE0EEENS1_30default_config_static_selectorELNS0_4arch9wavefront6targetE0EEEvT1_,"axG",@progbits,_ZN7rocprim17ROCPRIM_400000_NS6detail17trampoline_kernelINS0_14default_configENS1_25partition_config_selectorILNS1_17partition_subalgoE6EsNS0_10empty_typeEbEEZZNS1_14partition_implILS5_6ELb0ES3_mN6thrust23THRUST_200600_302600_NS6detail15normal_iteratorINSA_10device_ptrIsEEEEPS6_SG_NS0_5tupleIJSF_S6_EEENSH_IJSG_SG_EEES6_PlJNSB_9not_fun_tINSB_10functional5actorINSM_9compositeIJNSM_27transparent_binary_operatorINSA_8equal_toIvEEEENSN_INSM_8argumentILj0EEEEENSM_5valueIsEEEEEEEEEEEE10hipError_tPvRmT3_T4_T5_T6_T7_T9_mT8_P12ihipStream_tbDpT10_ENKUlT_T0_E_clISt17integral_constantIbLb1EES1K_EEDaS1F_S1G_EUlS1F_E_NS1_11comp_targetILNS1_3genE0ELNS1_11target_archE4294967295ELNS1_3gpuE0ELNS1_3repE0EEENS1_30default_config_static_selectorELNS0_4arch9wavefront6targetE0EEEvT1_,comdat
.Lfunc_end252:
	.size	_ZN7rocprim17ROCPRIM_400000_NS6detail17trampoline_kernelINS0_14default_configENS1_25partition_config_selectorILNS1_17partition_subalgoE6EsNS0_10empty_typeEbEEZZNS1_14partition_implILS5_6ELb0ES3_mN6thrust23THRUST_200600_302600_NS6detail15normal_iteratorINSA_10device_ptrIsEEEEPS6_SG_NS0_5tupleIJSF_S6_EEENSH_IJSG_SG_EEES6_PlJNSB_9not_fun_tINSB_10functional5actorINSM_9compositeIJNSM_27transparent_binary_operatorINSA_8equal_toIvEEEENSN_INSM_8argumentILj0EEEEENSM_5valueIsEEEEEEEEEEEE10hipError_tPvRmT3_T4_T5_T6_T7_T9_mT8_P12ihipStream_tbDpT10_ENKUlT_T0_E_clISt17integral_constantIbLb1EES1K_EEDaS1F_S1G_EUlS1F_E_NS1_11comp_targetILNS1_3genE0ELNS1_11target_archE4294967295ELNS1_3gpuE0ELNS1_3repE0EEENS1_30default_config_static_selectorELNS0_4arch9wavefront6targetE0EEEvT1_, .Lfunc_end252-_ZN7rocprim17ROCPRIM_400000_NS6detail17trampoline_kernelINS0_14default_configENS1_25partition_config_selectorILNS1_17partition_subalgoE6EsNS0_10empty_typeEbEEZZNS1_14partition_implILS5_6ELb0ES3_mN6thrust23THRUST_200600_302600_NS6detail15normal_iteratorINSA_10device_ptrIsEEEEPS6_SG_NS0_5tupleIJSF_S6_EEENSH_IJSG_SG_EEES6_PlJNSB_9not_fun_tINSB_10functional5actorINSM_9compositeIJNSM_27transparent_binary_operatorINSA_8equal_toIvEEEENSN_INSM_8argumentILj0EEEEENSM_5valueIsEEEEEEEEEEEE10hipError_tPvRmT3_T4_T5_T6_T7_T9_mT8_P12ihipStream_tbDpT10_ENKUlT_T0_E_clISt17integral_constantIbLb1EES1K_EEDaS1F_S1G_EUlS1F_E_NS1_11comp_targetILNS1_3genE0ELNS1_11target_archE4294967295ELNS1_3gpuE0ELNS1_3repE0EEENS1_30default_config_static_selectorELNS0_4arch9wavefront6targetE0EEEvT1_
                                        ; -- End function
	.set _ZN7rocprim17ROCPRIM_400000_NS6detail17trampoline_kernelINS0_14default_configENS1_25partition_config_selectorILNS1_17partition_subalgoE6EsNS0_10empty_typeEbEEZZNS1_14partition_implILS5_6ELb0ES3_mN6thrust23THRUST_200600_302600_NS6detail15normal_iteratorINSA_10device_ptrIsEEEEPS6_SG_NS0_5tupleIJSF_S6_EEENSH_IJSG_SG_EEES6_PlJNSB_9not_fun_tINSB_10functional5actorINSM_9compositeIJNSM_27transparent_binary_operatorINSA_8equal_toIvEEEENSN_INSM_8argumentILj0EEEEENSM_5valueIsEEEEEEEEEEEE10hipError_tPvRmT3_T4_T5_T6_T7_T9_mT8_P12ihipStream_tbDpT10_ENKUlT_T0_E_clISt17integral_constantIbLb1EES1K_EEDaS1F_S1G_EUlS1F_E_NS1_11comp_targetILNS1_3genE0ELNS1_11target_archE4294967295ELNS1_3gpuE0ELNS1_3repE0EEENS1_30default_config_static_selectorELNS0_4arch9wavefront6targetE0EEEvT1_.num_vgpr, 0
	.set _ZN7rocprim17ROCPRIM_400000_NS6detail17trampoline_kernelINS0_14default_configENS1_25partition_config_selectorILNS1_17partition_subalgoE6EsNS0_10empty_typeEbEEZZNS1_14partition_implILS5_6ELb0ES3_mN6thrust23THRUST_200600_302600_NS6detail15normal_iteratorINSA_10device_ptrIsEEEEPS6_SG_NS0_5tupleIJSF_S6_EEENSH_IJSG_SG_EEES6_PlJNSB_9not_fun_tINSB_10functional5actorINSM_9compositeIJNSM_27transparent_binary_operatorINSA_8equal_toIvEEEENSN_INSM_8argumentILj0EEEEENSM_5valueIsEEEEEEEEEEEE10hipError_tPvRmT3_T4_T5_T6_T7_T9_mT8_P12ihipStream_tbDpT10_ENKUlT_T0_E_clISt17integral_constantIbLb1EES1K_EEDaS1F_S1G_EUlS1F_E_NS1_11comp_targetILNS1_3genE0ELNS1_11target_archE4294967295ELNS1_3gpuE0ELNS1_3repE0EEENS1_30default_config_static_selectorELNS0_4arch9wavefront6targetE0EEEvT1_.num_agpr, 0
	.set _ZN7rocprim17ROCPRIM_400000_NS6detail17trampoline_kernelINS0_14default_configENS1_25partition_config_selectorILNS1_17partition_subalgoE6EsNS0_10empty_typeEbEEZZNS1_14partition_implILS5_6ELb0ES3_mN6thrust23THRUST_200600_302600_NS6detail15normal_iteratorINSA_10device_ptrIsEEEEPS6_SG_NS0_5tupleIJSF_S6_EEENSH_IJSG_SG_EEES6_PlJNSB_9not_fun_tINSB_10functional5actorINSM_9compositeIJNSM_27transparent_binary_operatorINSA_8equal_toIvEEEENSN_INSM_8argumentILj0EEEEENSM_5valueIsEEEEEEEEEEEE10hipError_tPvRmT3_T4_T5_T6_T7_T9_mT8_P12ihipStream_tbDpT10_ENKUlT_T0_E_clISt17integral_constantIbLb1EES1K_EEDaS1F_S1G_EUlS1F_E_NS1_11comp_targetILNS1_3genE0ELNS1_11target_archE4294967295ELNS1_3gpuE0ELNS1_3repE0EEENS1_30default_config_static_selectorELNS0_4arch9wavefront6targetE0EEEvT1_.numbered_sgpr, 0
	.set _ZN7rocprim17ROCPRIM_400000_NS6detail17trampoline_kernelINS0_14default_configENS1_25partition_config_selectorILNS1_17partition_subalgoE6EsNS0_10empty_typeEbEEZZNS1_14partition_implILS5_6ELb0ES3_mN6thrust23THRUST_200600_302600_NS6detail15normal_iteratorINSA_10device_ptrIsEEEEPS6_SG_NS0_5tupleIJSF_S6_EEENSH_IJSG_SG_EEES6_PlJNSB_9not_fun_tINSB_10functional5actorINSM_9compositeIJNSM_27transparent_binary_operatorINSA_8equal_toIvEEEENSN_INSM_8argumentILj0EEEEENSM_5valueIsEEEEEEEEEEEE10hipError_tPvRmT3_T4_T5_T6_T7_T9_mT8_P12ihipStream_tbDpT10_ENKUlT_T0_E_clISt17integral_constantIbLb1EES1K_EEDaS1F_S1G_EUlS1F_E_NS1_11comp_targetILNS1_3genE0ELNS1_11target_archE4294967295ELNS1_3gpuE0ELNS1_3repE0EEENS1_30default_config_static_selectorELNS0_4arch9wavefront6targetE0EEEvT1_.num_named_barrier, 0
	.set _ZN7rocprim17ROCPRIM_400000_NS6detail17trampoline_kernelINS0_14default_configENS1_25partition_config_selectorILNS1_17partition_subalgoE6EsNS0_10empty_typeEbEEZZNS1_14partition_implILS5_6ELb0ES3_mN6thrust23THRUST_200600_302600_NS6detail15normal_iteratorINSA_10device_ptrIsEEEEPS6_SG_NS0_5tupleIJSF_S6_EEENSH_IJSG_SG_EEES6_PlJNSB_9not_fun_tINSB_10functional5actorINSM_9compositeIJNSM_27transparent_binary_operatorINSA_8equal_toIvEEEENSN_INSM_8argumentILj0EEEEENSM_5valueIsEEEEEEEEEEEE10hipError_tPvRmT3_T4_T5_T6_T7_T9_mT8_P12ihipStream_tbDpT10_ENKUlT_T0_E_clISt17integral_constantIbLb1EES1K_EEDaS1F_S1G_EUlS1F_E_NS1_11comp_targetILNS1_3genE0ELNS1_11target_archE4294967295ELNS1_3gpuE0ELNS1_3repE0EEENS1_30default_config_static_selectorELNS0_4arch9wavefront6targetE0EEEvT1_.private_seg_size, 0
	.set _ZN7rocprim17ROCPRIM_400000_NS6detail17trampoline_kernelINS0_14default_configENS1_25partition_config_selectorILNS1_17partition_subalgoE6EsNS0_10empty_typeEbEEZZNS1_14partition_implILS5_6ELb0ES3_mN6thrust23THRUST_200600_302600_NS6detail15normal_iteratorINSA_10device_ptrIsEEEEPS6_SG_NS0_5tupleIJSF_S6_EEENSH_IJSG_SG_EEES6_PlJNSB_9not_fun_tINSB_10functional5actorINSM_9compositeIJNSM_27transparent_binary_operatorINSA_8equal_toIvEEEENSN_INSM_8argumentILj0EEEEENSM_5valueIsEEEEEEEEEEEE10hipError_tPvRmT3_T4_T5_T6_T7_T9_mT8_P12ihipStream_tbDpT10_ENKUlT_T0_E_clISt17integral_constantIbLb1EES1K_EEDaS1F_S1G_EUlS1F_E_NS1_11comp_targetILNS1_3genE0ELNS1_11target_archE4294967295ELNS1_3gpuE0ELNS1_3repE0EEENS1_30default_config_static_selectorELNS0_4arch9wavefront6targetE0EEEvT1_.uses_vcc, 0
	.set _ZN7rocprim17ROCPRIM_400000_NS6detail17trampoline_kernelINS0_14default_configENS1_25partition_config_selectorILNS1_17partition_subalgoE6EsNS0_10empty_typeEbEEZZNS1_14partition_implILS5_6ELb0ES3_mN6thrust23THRUST_200600_302600_NS6detail15normal_iteratorINSA_10device_ptrIsEEEEPS6_SG_NS0_5tupleIJSF_S6_EEENSH_IJSG_SG_EEES6_PlJNSB_9not_fun_tINSB_10functional5actorINSM_9compositeIJNSM_27transparent_binary_operatorINSA_8equal_toIvEEEENSN_INSM_8argumentILj0EEEEENSM_5valueIsEEEEEEEEEEEE10hipError_tPvRmT3_T4_T5_T6_T7_T9_mT8_P12ihipStream_tbDpT10_ENKUlT_T0_E_clISt17integral_constantIbLb1EES1K_EEDaS1F_S1G_EUlS1F_E_NS1_11comp_targetILNS1_3genE0ELNS1_11target_archE4294967295ELNS1_3gpuE0ELNS1_3repE0EEENS1_30default_config_static_selectorELNS0_4arch9wavefront6targetE0EEEvT1_.uses_flat_scratch, 0
	.set _ZN7rocprim17ROCPRIM_400000_NS6detail17trampoline_kernelINS0_14default_configENS1_25partition_config_selectorILNS1_17partition_subalgoE6EsNS0_10empty_typeEbEEZZNS1_14partition_implILS5_6ELb0ES3_mN6thrust23THRUST_200600_302600_NS6detail15normal_iteratorINSA_10device_ptrIsEEEEPS6_SG_NS0_5tupleIJSF_S6_EEENSH_IJSG_SG_EEES6_PlJNSB_9not_fun_tINSB_10functional5actorINSM_9compositeIJNSM_27transparent_binary_operatorINSA_8equal_toIvEEEENSN_INSM_8argumentILj0EEEEENSM_5valueIsEEEEEEEEEEEE10hipError_tPvRmT3_T4_T5_T6_T7_T9_mT8_P12ihipStream_tbDpT10_ENKUlT_T0_E_clISt17integral_constantIbLb1EES1K_EEDaS1F_S1G_EUlS1F_E_NS1_11comp_targetILNS1_3genE0ELNS1_11target_archE4294967295ELNS1_3gpuE0ELNS1_3repE0EEENS1_30default_config_static_selectorELNS0_4arch9wavefront6targetE0EEEvT1_.has_dyn_sized_stack, 0
	.set _ZN7rocprim17ROCPRIM_400000_NS6detail17trampoline_kernelINS0_14default_configENS1_25partition_config_selectorILNS1_17partition_subalgoE6EsNS0_10empty_typeEbEEZZNS1_14partition_implILS5_6ELb0ES3_mN6thrust23THRUST_200600_302600_NS6detail15normal_iteratorINSA_10device_ptrIsEEEEPS6_SG_NS0_5tupleIJSF_S6_EEENSH_IJSG_SG_EEES6_PlJNSB_9not_fun_tINSB_10functional5actorINSM_9compositeIJNSM_27transparent_binary_operatorINSA_8equal_toIvEEEENSN_INSM_8argumentILj0EEEEENSM_5valueIsEEEEEEEEEEEE10hipError_tPvRmT3_T4_T5_T6_T7_T9_mT8_P12ihipStream_tbDpT10_ENKUlT_T0_E_clISt17integral_constantIbLb1EES1K_EEDaS1F_S1G_EUlS1F_E_NS1_11comp_targetILNS1_3genE0ELNS1_11target_archE4294967295ELNS1_3gpuE0ELNS1_3repE0EEENS1_30default_config_static_selectorELNS0_4arch9wavefront6targetE0EEEvT1_.has_recursion, 0
	.set _ZN7rocprim17ROCPRIM_400000_NS6detail17trampoline_kernelINS0_14default_configENS1_25partition_config_selectorILNS1_17partition_subalgoE6EsNS0_10empty_typeEbEEZZNS1_14partition_implILS5_6ELb0ES3_mN6thrust23THRUST_200600_302600_NS6detail15normal_iteratorINSA_10device_ptrIsEEEEPS6_SG_NS0_5tupleIJSF_S6_EEENSH_IJSG_SG_EEES6_PlJNSB_9not_fun_tINSB_10functional5actorINSM_9compositeIJNSM_27transparent_binary_operatorINSA_8equal_toIvEEEENSN_INSM_8argumentILj0EEEEENSM_5valueIsEEEEEEEEEEEE10hipError_tPvRmT3_T4_T5_T6_T7_T9_mT8_P12ihipStream_tbDpT10_ENKUlT_T0_E_clISt17integral_constantIbLb1EES1K_EEDaS1F_S1G_EUlS1F_E_NS1_11comp_targetILNS1_3genE0ELNS1_11target_archE4294967295ELNS1_3gpuE0ELNS1_3repE0EEENS1_30default_config_static_selectorELNS0_4arch9wavefront6targetE0EEEvT1_.has_indirect_call, 0
	.section	.AMDGPU.csdata,"",@progbits
; Kernel info:
; codeLenInByte = 0
; TotalNumSgprs: 0
; NumVgprs: 0
; ScratchSize: 0
; MemoryBound: 0
; FloatMode: 240
; IeeeMode: 1
; LDSByteSize: 0 bytes/workgroup (compile time only)
; SGPRBlocks: 0
; VGPRBlocks: 0
; NumSGPRsForWavesPerEU: 1
; NumVGPRsForWavesPerEU: 1
; Occupancy: 16
; WaveLimiterHint : 0
; COMPUTE_PGM_RSRC2:SCRATCH_EN: 0
; COMPUTE_PGM_RSRC2:USER_SGPR: 2
; COMPUTE_PGM_RSRC2:TRAP_HANDLER: 0
; COMPUTE_PGM_RSRC2:TGID_X_EN: 1
; COMPUTE_PGM_RSRC2:TGID_Y_EN: 0
; COMPUTE_PGM_RSRC2:TGID_Z_EN: 0
; COMPUTE_PGM_RSRC2:TIDIG_COMP_CNT: 0
	.section	.text._ZN7rocprim17ROCPRIM_400000_NS6detail17trampoline_kernelINS0_14default_configENS1_25partition_config_selectorILNS1_17partition_subalgoE6EsNS0_10empty_typeEbEEZZNS1_14partition_implILS5_6ELb0ES3_mN6thrust23THRUST_200600_302600_NS6detail15normal_iteratorINSA_10device_ptrIsEEEEPS6_SG_NS0_5tupleIJSF_S6_EEENSH_IJSG_SG_EEES6_PlJNSB_9not_fun_tINSB_10functional5actorINSM_9compositeIJNSM_27transparent_binary_operatorINSA_8equal_toIvEEEENSN_INSM_8argumentILj0EEEEENSM_5valueIsEEEEEEEEEEEE10hipError_tPvRmT3_T4_T5_T6_T7_T9_mT8_P12ihipStream_tbDpT10_ENKUlT_T0_E_clISt17integral_constantIbLb1EES1K_EEDaS1F_S1G_EUlS1F_E_NS1_11comp_targetILNS1_3genE5ELNS1_11target_archE942ELNS1_3gpuE9ELNS1_3repE0EEENS1_30default_config_static_selectorELNS0_4arch9wavefront6targetE0EEEvT1_,"axG",@progbits,_ZN7rocprim17ROCPRIM_400000_NS6detail17trampoline_kernelINS0_14default_configENS1_25partition_config_selectorILNS1_17partition_subalgoE6EsNS0_10empty_typeEbEEZZNS1_14partition_implILS5_6ELb0ES3_mN6thrust23THRUST_200600_302600_NS6detail15normal_iteratorINSA_10device_ptrIsEEEEPS6_SG_NS0_5tupleIJSF_S6_EEENSH_IJSG_SG_EEES6_PlJNSB_9not_fun_tINSB_10functional5actorINSM_9compositeIJNSM_27transparent_binary_operatorINSA_8equal_toIvEEEENSN_INSM_8argumentILj0EEEEENSM_5valueIsEEEEEEEEEEEE10hipError_tPvRmT3_T4_T5_T6_T7_T9_mT8_P12ihipStream_tbDpT10_ENKUlT_T0_E_clISt17integral_constantIbLb1EES1K_EEDaS1F_S1G_EUlS1F_E_NS1_11comp_targetILNS1_3genE5ELNS1_11target_archE942ELNS1_3gpuE9ELNS1_3repE0EEENS1_30default_config_static_selectorELNS0_4arch9wavefront6targetE0EEEvT1_,comdat
	.protected	_ZN7rocprim17ROCPRIM_400000_NS6detail17trampoline_kernelINS0_14default_configENS1_25partition_config_selectorILNS1_17partition_subalgoE6EsNS0_10empty_typeEbEEZZNS1_14partition_implILS5_6ELb0ES3_mN6thrust23THRUST_200600_302600_NS6detail15normal_iteratorINSA_10device_ptrIsEEEEPS6_SG_NS0_5tupleIJSF_S6_EEENSH_IJSG_SG_EEES6_PlJNSB_9not_fun_tINSB_10functional5actorINSM_9compositeIJNSM_27transparent_binary_operatorINSA_8equal_toIvEEEENSN_INSM_8argumentILj0EEEEENSM_5valueIsEEEEEEEEEEEE10hipError_tPvRmT3_T4_T5_T6_T7_T9_mT8_P12ihipStream_tbDpT10_ENKUlT_T0_E_clISt17integral_constantIbLb1EES1K_EEDaS1F_S1G_EUlS1F_E_NS1_11comp_targetILNS1_3genE5ELNS1_11target_archE942ELNS1_3gpuE9ELNS1_3repE0EEENS1_30default_config_static_selectorELNS0_4arch9wavefront6targetE0EEEvT1_ ; -- Begin function _ZN7rocprim17ROCPRIM_400000_NS6detail17trampoline_kernelINS0_14default_configENS1_25partition_config_selectorILNS1_17partition_subalgoE6EsNS0_10empty_typeEbEEZZNS1_14partition_implILS5_6ELb0ES3_mN6thrust23THRUST_200600_302600_NS6detail15normal_iteratorINSA_10device_ptrIsEEEEPS6_SG_NS0_5tupleIJSF_S6_EEENSH_IJSG_SG_EEES6_PlJNSB_9not_fun_tINSB_10functional5actorINSM_9compositeIJNSM_27transparent_binary_operatorINSA_8equal_toIvEEEENSN_INSM_8argumentILj0EEEEENSM_5valueIsEEEEEEEEEEEE10hipError_tPvRmT3_T4_T5_T6_T7_T9_mT8_P12ihipStream_tbDpT10_ENKUlT_T0_E_clISt17integral_constantIbLb1EES1K_EEDaS1F_S1G_EUlS1F_E_NS1_11comp_targetILNS1_3genE5ELNS1_11target_archE942ELNS1_3gpuE9ELNS1_3repE0EEENS1_30default_config_static_selectorELNS0_4arch9wavefront6targetE0EEEvT1_
	.globl	_ZN7rocprim17ROCPRIM_400000_NS6detail17trampoline_kernelINS0_14default_configENS1_25partition_config_selectorILNS1_17partition_subalgoE6EsNS0_10empty_typeEbEEZZNS1_14partition_implILS5_6ELb0ES3_mN6thrust23THRUST_200600_302600_NS6detail15normal_iteratorINSA_10device_ptrIsEEEEPS6_SG_NS0_5tupleIJSF_S6_EEENSH_IJSG_SG_EEES6_PlJNSB_9not_fun_tINSB_10functional5actorINSM_9compositeIJNSM_27transparent_binary_operatorINSA_8equal_toIvEEEENSN_INSM_8argumentILj0EEEEENSM_5valueIsEEEEEEEEEEEE10hipError_tPvRmT3_T4_T5_T6_T7_T9_mT8_P12ihipStream_tbDpT10_ENKUlT_T0_E_clISt17integral_constantIbLb1EES1K_EEDaS1F_S1G_EUlS1F_E_NS1_11comp_targetILNS1_3genE5ELNS1_11target_archE942ELNS1_3gpuE9ELNS1_3repE0EEENS1_30default_config_static_selectorELNS0_4arch9wavefront6targetE0EEEvT1_
	.p2align	8
	.type	_ZN7rocprim17ROCPRIM_400000_NS6detail17trampoline_kernelINS0_14default_configENS1_25partition_config_selectorILNS1_17partition_subalgoE6EsNS0_10empty_typeEbEEZZNS1_14partition_implILS5_6ELb0ES3_mN6thrust23THRUST_200600_302600_NS6detail15normal_iteratorINSA_10device_ptrIsEEEEPS6_SG_NS0_5tupleIJSF_S6_EEENSH_IJSG_SG_EEES6_PlJNSB_9not_fun_tINSB_10functional5actorINSM_9compositeIJNSM_27transparent_binary_operatorINSA_8equal_toIvEEEENSN_INSM_8argumentILj0EEEEENSM_5valueIsEEEEEEEEEEEE10hipError_tPvRmT3_T4_T5_T6_T7_T9_mT8_P12ihipStream_tbDpT10_ENKUlT_T0_E_clISt17integral_constantIbLb1EES1K_EEDaS1F_S1G_EUlS1F_E_NS1_11comp_targetILNS1_3genE5ELNS1_11target_archE942ELNS1_3gpuE9ELNS1_3repE0EEENS1_30default_config_static_selectorELNS0_4arch9wavefront6targetE0EEEvT1_,@function
_ZN7rocprim17ROCPRIM_400000_NS6detail17trampoline_kernelINS0_14default_configENS1_25partition_config_selectorILNS1_17partition_subalgoE6EsNS0_10empty_typeEbEEZZNS1_14partition_implILS5_6ELb0ES3_mN6thrust23THRUST_200600_302600_NS6detail15normal_iteratorINSA_10device_ptrIsEEEEPS6_SG_NS0_5tupleIJSF_S6_EEENSH_IJSG_SG_EEES6_PlJNSB_9not_fun_tINSB_10functional5actorINSM_9compositeIJNSM_27transparent_binary_operatorINSA_8equal_toIvEEEENSN_INSM_8argumentILj0EEEEENSM_5valueIsEEEEEEEEEEEE10hipError_tPvRmT3_T4_T5_T6_T7_T9_mT8_P12ihipStream_tbDpT10_ENKUlT_T0_E_clISt17integral_constantIbLb1EES1K_EEDaS1F_S1G_EUlS1F_E_NS1_11comp_targetILNS1_3genE5ELNS1_11target_archE942ELNS1_3gpuE9ELNS1_3repE0EEENS1_30default_config_static_selectorELNS0_4arch9wavefront6targetE0EEEvT1_: ; @_ZN7rocprim17ROCPRIM_400000_NS6detail17trampoline_kernelINS0_14default_configENS1_25partition_config_selectorILNS1_17partition_subalgoE6EsNS0_10empty_typeEbEEZZNS1_14partition_implILS5_6ELb0ES3_mN6thrust23THRUST_200600_302600_NS6detail15normal_iteratorINSA_10device_ptrIsEEEEPS6_SG_NS0_5tupleIJSF_S6_EEENSH_IJSG_SG_EEES6_PlJNSB_9not_fun_tINSB_10functional5actorINSM_9compositeIJNSM_27transparent_binary_operatorINSA_8equal_toIvEEEENSN_INSM_8argumentILj0EEEEENSM_5valueIsEEEEEEEEEEEE10hipError_tPvRmT3_T4_T5_T6_T7_T9_mT8_P12ihipStream_tbDpT10_ENKUlT_T0_E_clISt17integral_constantIbLb1EES1K_EEDaS1F_S1G_EUlS1F_E_NS1_11comp_targetILNS1_3genE5ELNS1_11target_archE942ELNS1_3gpuE9ELNS1_3repE0EEENS1_30default_config_static_selectorELNS0_4arch9wavefront6targetE0EEEvT1_
; %bb.0:
	.section	.rodata,"a",@progbits
	.p2align	6, 0x0
	.amdhsa_kernel _ZN7rocprim17ROCPRIM_400000_NS6detail17trampoline_kernelINS0_14default_configENS1_25partition_config_selectorILNS1_17partition_subalgoE6EsNS0_10empty_typeEbEEZZNS1_14partition_implILS5_6ELb0ES3_mN6thrust23THRUST_200600_302600_NS6detail15normal_iteratorINSA_10device_ptrIsEEEEPS6_SG_NS0_5tupleIJSF_S6_EEENSH_IJSG_SG_EEES6_PlJNSB_9not_fun_tINSB_10functional5actorINSM_9compositeIJNSM_27transparent_binary_operatorINSA_8equal_toIvEEEENSN_INSM_8argumentILj0EEEEENSM_5valueIsEEEEEEEEEEEE10hipError_tPvRmT3_T4_T5_T6_T7_T9_mT8_P12ihipStream_tbDpT10_ENKUlT_T0_E_clISt17integral_constantIbLb1EES1K_EEDaS1F_S1G_EUlS1F_E_NS1_11comp_targetILNS1_3genE5ELNS1_11target_archE942ELNS1_3gpuE9ELNS1_3repE0EEENS1_30default_config_static_selectorELNS0_4arch9wavefront6targetE0EEEvT1_
		.amdhsa_group_segment_fixed_size 0
		.amdhsa_private_segment_fixed_size 0
		.amdhsa_kernarg_size 128
		.amdhsa_user_sgpr_count 2
		.amdhsa_user_sgpr_dispatch_ptr 0
		.amdhsa_user_sgpr_queue_ptr 0
		.amdhsa_user_sgpr_kernarg_segment_ptr 1
		.amdhsa_user_sgpr_dispatch_id 0
		.amdhsa_user_sgpr_private_segment_size 0
		.amdhsa_wavefront_size32 1
		.amdhsa_uses_dynamic_stack 0
		.amdhsa_enable_private_segment 0
		.amdhsa_system_sgpr_workgroup_id_x 1
		.amdhsa_system_sgpr_workgroup_id_y 0
		.amdhsa_system_sgpr_workgroup_id_z 0
		.amdhsa_system_sgpr_workgroup_info 0
		.amdhsa_system_vgpr_workitem_id 0
		.amdhsa_next_free_vgpr 1
		.amdhsa_next_free_sgpr 1
		.amdhsa_reserve_vcc 0
		.amdhsa_float_round_mode_32 0
		.amdhsa_float_round_mode_16_64 0
		.amdhsa_float_denorm_mode_32 3
		.amdhsa_float_denorm_mode_16_64 3
		.amdhsa_fp16_overflow 0
		.amdhsa_workgroup_processor_mode 1
		.amdhsa_memory_ordered 1
		.amdhsa_forward_progress 1
		.amdhsa_inst_pref_size 0
		.amdhsa_round_robin_scheduling 0
		.amdhsa_exception_fp_ieee_invalid_op 0
		.amdhsa_exception_fp_denorm_src 0
		.amdhsa_exception_fp_ieee_div_zero 0
		.amdhsa_exception_fp_ieee_overflow 0
		.amdhsa_exception_fp_ieee_underflow 0
		.amdhsa_exception_fp_ieee_inexact 0
		.amdhsa_exception_int_div_zero 0
	.end_amdhsa_kernel
	.section	.text._ZN7rocprim17ROCPRIM_400000_NS6detail17trampoline_kernelINS0_14default_configENS1_25partition_config_selectorILNS1_17partition_subalgoE6EsNS0_10empty_typeEbEEZZNS1_14partition_implILS5_6ELb0ES3_mN6thrust23THRUST_200600_302600_NS6detail15normal_iteratorINSA_10device_ptrIsEEEEPS6_SG_NS0_5tupleIJSF_S6_EEENSH_IJSG_SG_EEES6_PlJNSB_9not_fun_tINSB_10functional5actorINSM_9compositeIJNSM_27transparent_binary_operatorINSA_8equal_toIvEEEENSN_INSM_8argumentILj0EEEEENSM_5valueIsEEEEEEEEEEEE10hipError_tPvRmT3_T4_T5_T6_T7_T9_mT8_P12ihipStream_tbDpT10_ENKUlT_T0_E_clISt17integral_constantIbLb1EES1K_EEDaS1F_S1G_EUlS1F_E_NS1_11comp_targetILNS1_3genE5ELNS1_11target_archE942ELNS1_3gpuE9ELNS1_3repE0EEENS1_30default_config_static_selectorELNS0_4arch9wavefront6targetE0EEEvT1_,"axG",@progbits,_ZN7rocprim17ROCPRIM_400000_NS6detail17trampoline_kernelINS0_14default_configENS1_25partition_config_selectorILNS1_17partition_subalgoE6EsNS0_10empty_typeEbEEZZNS1_14partition_implILS5_6ELb0ES3_mN6thrust23THRUST_200600_302600_NS6detail15normal_iteratorINSA_10device_ptrIsEEEEPS6_SG_NS0_5tupleIJSF_S6_EEENSH_IJSG_SG_EEES6_PlJNSB_9not_fun_tINSB_10functional5actorINSM_9compositeIJNSM_27transparent_binary_operatorINSA_8equal_toIvEEEENSN_INSM_8argumentILj0EEEEENSM_5valueIsEEEEEEEEEEEE10hipError_tPvRmT3_T4_T5_T6_T7_T9_mT8_P12ihipStream_tbDpT10_ENKUlT_T0_E_clISt17integral_constantIbLb1EES1K_EEDaS1F_S1G_EUlS1F_E_NS1_11comp_targetILNS1_3genE5ELNS1_11target_archE942ELNS1_3gpuE9ELNS1_3repE0EEENS1_30default_config_static_selectorELNS0_4arch9wavefront6targetE0EEEvT1_,comdat
.Lfunc_end253:
	.size	_ZN7rocprim17ROCPRIM_400000_NS6detail17trampoline_kernelINS0_14default_configENS1_25partition_config_selectorILNS1_17partition_subalgoE6EsNS0_10empty_typeEbEEZZNS1_14partition_implILS5_6ELb0ES3_mN6thrust23THRUST_200600_302600_NS6detail15normal_iteratorINSA_10device_ptrIsEEEEPS6_SG_NS0_5tupleIJSF_S6_EEENSH_IJSG_SG_EEES6_PlJNSB_9not_fun_tINSB_10functional5actorINSM_9compositeIJNSM_27transparent_binary_operatorINSA_8equal_toIvEEEENSN_INSM_8argumentILj0EEEEENSM_5valueIsEEEEEEEEEEEE10hipError_tPvRmT3_T4_T5_T6_T7_T9_mT8_P12ihipStream_tbDpT10_ENKUlT_T0_E_clISt17integral_constantIbLb1EES1K_EEDaS1F_S1G_EUlS1F_E_NS1_11comp_targetILNS1_3genE5ELNS1_11target_archE942ELNS1_3gpuE9ELNS1_3repE0EEENS1_30default_config_static_selectorELNS0_4arch9wavefront6targetE0EEEvT1_, .Lfunc_end253-_ZN7rocprim17ROCPRIM_400000_NS6detail17trampoline_kernelINS0_14default_configENS1_25partition_config_selectorILNS1_17partition_subalgoE6EsNS0_10empty_typeEbEEZZNS1_14partition_implILS5_6ELb0ES3_mN6thrust23THRUST_200600_302600_NS6detail15normal_iteratorINSA_10device_ptrIsEEEEPS6_SG_NS0_5tupleIJSF_S6_EEENSH_IJSG_SG_EEES6_PlJNSB_9not_fun_tINSB_10functional5actorINSM_9compositeIJNSM_27transparent_binary_operatorINSA_8equal_toIvEEEENSN_INSM_8argumentILj0EEEEENSM_5valueIsEEEEEEEEEEEE10hipError_tPvRmT3_T4_T5_T6_T7_T9_mT8_P12ihipStream_tbDpT10_ENKUlT_T0_E_clISt17integral_constantIbLb1EES1K_EEDaS1F_S1G_EUlS1F_E_NS1_11comp_targetILNS1_3genE5ELNS1_11target_archE942ELNS1_3gpuE9ELNS1_3repE0EEENS1_30default_config_static_selectorELNS0_4arch9wavefront6targetE0EEEvT1_
                                        ; -- End function
	.set _ZN7rocprim17ROCPRIM_400000_NS6detail17trampoline_kernelINS0_14default_configENS1_25partition_config_selectorILNS1_17partition_subalgoE6EsNS0_10empty_typeEbEEZZNS1_14partition_implILS5_6ELb0ES3_mN6thrust23THRUST_200600_302600_NS6detail15normal_iteratorINSA_10device_ptrIsEEEEPS6_SG_NS0_5tupleIJSF_S6_EEENSH_IJSG_SG_EEES6_PlJNSB_9not_fun_tINSB_10functional5actorINSM_9compositeIJNSM_27transparent_binary_operatorINSA_8equal_toIvEEEENSN_INSM_8argumentILj0EEEEENSM_5valueIsEEEEEEEEEEEE10hipError_tPvRmT3_T4_T5_T6_T7_T9_mT8_P12ihipStream_tbDpT10_ENKUlT_T0_E_clISt17integral_constantIbLb1EES1K_EEDaS1F_S1G_EUlS1F_E_NS1_11comp_targetILNS1_3genE5ELNS1_11target_archE942ELNS1_3gpuE9ELNS1_3repE0EEENS1_30default_config_static_selectorELNS0_4arch9wavefront6targetE0EEEvT1_.num_vgpr, 0
	.set _ZN7rocprim17ROCPRIM_400000_NS6detail17trampoline_kernelINS0_14default_configENS1_25partition_config_selectorILNS1_17partition_subalgoE6EsNS0_10empty_typeEbEEZZNS1_14partition_implILS5_6ELb0ES3_mN6thrust23THRUST_200600_302600_NS6detail15normal_iteratorINSA_10device_ptrIsEEEEPS6_SG_NS0_5tupleIJSF_S6_EEENSH_IJSG_SG_EEES6_PlJNSB_9not_fun_tINSB_10functional5actorINSM_9compositeIJNSM_27transparent_binary_operatorINSA_8equal_toIvEEEENSN_INSM_8argumentILj0EEEEENSM_5valueIsEEEEEEEEEEEE10hipError_tPvRmT3_T4_T5_T6_T7_T9_mT8_P12ihipStream_tbDpT10_ENKUlT_T0_E_clISt17integral_constantIbLb1EES1K_EEDaS1F_S1G_EUlS1F_E_NS1_11comp_targetILNS1_3genE5ELNS1_11target_archE942ELNS1_3gpuE9ELNS1_3repE0EEENS1_30default_config_static_selectorELNS0_4arch9wavefront6targetE0EEEvT1_.num_agpr, 0
	.set _ZN7rocprim17ROCPRIM_400000_NS6detail17trampoline_kernelINS0_14default_configENS1_25partition_config_selectorILNS1_17partition_subalgoE6EsNS0_10empty_typeEbEEZZNS1_14partition_implILS5_6ELb0ES3_mN6thrust23THRUST_200600_302600_NS6detail15normal_iteratorINSA_10device_ptrIsEEEEPS6_SG_NS0_5tupleIJSF_S6_EEENSH_IJSG_SG_EEES6_PlJNSB_9not_fun_tINSB_10functional5actorINSM_9compositeIJNSM_27transparent_binary_operatorINSA_8equal_toIvEEEENSN_INSM_8argumentILj0EEEEENSM_5valueIsEEEEEEEEEEEE10hipError_tPvRmT3_T4_T5_T6_T7_T9_mT8_P12ihipStream_tbDpT10_ENKUlT_T0_E_clISt17integral_constantIbLb1EES1K_EEDaS1F_S1G_EUlS1F_E_NS1_11comp_targetILNS1_3genE5ELNS1_11target_archE942ELNS1_3gpuE9ELNS1_3repE0EEENS1_30default_config_static_selectorELNS0_4arch9wavefront6targetE0EEEvT1_.numbered_sgpr, 0
	.set _ZN7rocprim17ROCPRIM_400000_NS6detail17trampoline_kernelINS0_14default_configENS1_25partition_config_selectorILNS1_17partition_subalgoE6EsNS0_10empty_typeEbEEZZNS1_14partition_implILS5_6ELb0ES3_mN6thrust23THRUST_200600_302600_NS6detail15normal_iteratorINSA_10device_ptrIsEEEEPS6_SG_NS0_5tupleIJSF_S6_EEENSH_IJSG_SG_EEES6_PlJNSB_9not_fun_tINSB_10functional5actorINSM_9compositeIJNSM_27transparent_binary_operatorINSA_8equal_toIvEEEENSN_INSM_8argumentILj0EEEEENSM_5valueIsEEEEEEEEEEEE10hipError_tPvRmT3_T4_T5_T6_T7_T9_mT8_P12ihipStream_tbDpT10_ENKUlT_T0_E_clISt17integral_constantIbLb1EES1K_EEDaS1F_S1G_EUlS1F_E_NS1_11comp_targetILNS1_3genE5ELNS1_11target_archE942ELNS1_3gpuE9ELNS1_3repE0EEENS1_30default_config_static_selectorELNS0_4arch9wavefront6targetE0EEEvT1_.num_named_barrier, 0
	.set _ZN7rocprim17ROCPRIM_400000_NS6detail17trampoline_kernelINS0_14default_configENS1_25partition_config_selectorILNS1_17partition_subalgoE6EsNS0_10empty_typeEbEEZZNS1_14partition_implILS5_6ELb0ES3_mN6thrust23THRUST_200600_302600_NS6detail15normal_iteratorINSA_10device_ptrIsEEEEPS6_SG_NS0_5tupleIJSF_S6_EEENSH_IJSG_SG_EEES6_PlJNSB_9not_fun_tINSB_10functional5actorINSM_9compositeIJNSM_27transparent_binary_operatorINSA_8equal_toIvEEEENSN_INSM_8argumentILj0EEEEENSM_5valueIsEEEEEEEEEEEE10hipError_tPvRmT3_T4_T5_T6_T7_T9_mT8_P12ihipStream_tbDpT10_ENKUlT_T0_E_clISt17integral_constantIbLb1EES1K_EEDaS1F_S1G_EUlS1F_E_NS1_11comp_targetILNS1_3genE5ELNS1_11target_archE942ELNS1_3gpuE9ELNS1_3repE0EEENS1_30default_config_static_selectorELNS0_4arch9wavefront6targetE0EEEvT1_.private_seg_size, 0
	.set _ZN7rocprim17ROCPRIM_400000_NS6detail17trampoline_kernelINS0_14default_configENS1_25partition_config_selectorILNS1_17partition_subalgoE6EsNS0_10empty_typeEbEEZZNS1_14partition_implILS5_6ELb0ES3_mN6thrust23THRUST_200600_302600_NS6detail15normal_iteratorINSA_10device_ptrIsEEEEPS6_SG_NS0_5tupleIJSF_S6_EEENSH_IJSG_SG_EEES6_PlJNSB_9not_fun_tINSB_10functional5actorINSM_9compositeIJNSM_27transparent_binary_operatorINSA_8equal_toIvEEEENSN_INSM_8argumentILj0EEEEENSM_5valueIsEEEEEEEEEEEE10hipError_tPvRmT3_T4_T5_T6_T7_T9_mT8_P12ihipStream_tbDpT10_ENKUlT_T0_E_clISt17integral_constantIbLb1EES1K_EEDaS1F_S1G_EUlS1F_E_NS1_11comp_targetILNS1_3genE5ELNS1_11target_archE942ELNS1_3gpuE9ELNS1_3repE0EEENS1_30default_config_static_selectorELNS0_4arch9wavefront6targetE0EEEvT1_.uses_vcc, 0
	.set _ZN7rocprim17ROCPRIM_400000_NS6detail17trampoline_kernelINS0_14default_configENS1_25partition_config_selectorILNS1_17partition_subalgoE6EsNS0_10empty_typeEbEEZZNS1_14partition_implILS5_6ELb0ES3_mN6thrust23THRUST_200600_302600_NS6detail15normal_iteratorINSA_10device_ptrIsEEEEPS6_SG_NS0_5tupleIJSF_S6_EEENSH_IJSG_SG_EEES6_PlJNSB_9not_fun_tINSB_10functional5actorINSM_9compositeIJNSM_27transparent_binary_operatorINSA_8equal_toIvEEEENSN_INSM_8argumentILj0EEEEENSM_5valueIsEEEEEEEEEEEE10hipError_tPvRmT3_T4_T5_T6_T7_T9_mT8_P12ihipStream_tbDpT10_ENKUlT_T0_E_clISt17integral_constantIbLb1EES1K_EEDaS1F_S1G_EUlS1F_E_NS1_11comp_targetILNS1_3genE5ELNS1_11target_archE942ELNS1_3gpuE9ELNS1_3repE0EEENS1_30default_config_static_selectorELNS0_4arch9wavefront6targetE0EEEvT1_.uses_flat_scratch, 0
	.set _ZN7rocprim17ROCPRIM_400000_NS6detail17trampoline_kernelINS0_14default_configENS1_25partition_config_selectorILNS1_17partition_subalgoE6EsNS0_10empty_typeEbEEZZNS1_14partition_implILS5_6ELb0ES3_mN6thrust23THRUST_200600_302600_NS6detail15normal_iteratorINSA_10device_ptrIsEEEEPS6_SG_NS0_5tupleIJSF_S6_EEENSH_IJSG_SG_EEES6_PlJNSB_9not_fun_tINSB_10functional5actorINSM_9compositeIJNSM_27transparent_binary_operatorINSA_8equal_toIvEEEENSN_INSM_8argumentILj0EEEEENSM_5valueIsEEEEEEEEEEEE10hipError_tPvRmT3_T4_T5_T6_T7_T9_mT8_P12ihipStream_tbDpT10_ENKUlT_T0_E_clISt17integral_constantIbLb1EES1K_EEDaS1F_S1G_EUlS1F_E_NS1_11comp_targetILNS1_3genE5ELNS1_11target_archE942ELNS1_3gpuE9ELNS1_3repE0EEENS1_30default_config_static_selectorELNS0_4arch9wavefront6targetE0EEEvT1_.has_dyn_sized_stack, 0
	.set _ZN7rocprim17ROCPRIM_400000_NS6detail17trampoline_kernelINS0_14default_configENS1_25partition_config_selectorILNS1_17partition_subalgoE6EsNS0_10empty_typeEbEEZZNS1_14partition_implILS5_6ELb0ES3_mN6thrust23THRUST_200600_302600_NS6detail15normal_iteratorINSA_10device_ptrIsEEEEPS6_SG_NS0_5tupleIJSF_S6_EEENSH_IJSG_SG_EEES6_PlJNSB_9not_fun_tINSB_10functional5actorINSM_9compositeIJNSM_27transparent_binary_operatorINSA_8equal_toIvEEEENSN_INSM_8argumentILj0EEEEENSM_5valueIsEEEEEEEEEEEE10hipError_tPvRmT3_T4_T5_T6_T7_T9_mT8_P12ihipStream_tbDpT10_ENKUlT_T0_E_clISt17integral_constantIbLb1EES1K_EEDaS1F_S1G_EUlS1F_E_NS1_11comp_targetILNS1_3genE5ELNS1_11target_archE942ELNS1_3gpuE9ELNS1_3repE0EEENS1_30default_config_static_selectorELNS0_4arch9wavefront6targetE0EEEvT1_.has_recursion, 0
	.set _ZN7rocprim17ROCPRIM_400000_NS6detail17trampoline_kernelINS0_14default_configENS1_25partition_config_selectorILNS1_17partition_subalgoE6EsNS0_10empty_typeEbEEZZNS1_14partition_implILS5_6ELb0ES3_mN6thrust23THRUST_200600_302600_NS6detail15normal_iteratorINSA_10device_ptrIsEEEEPS6_SG_NS0_5tupleIJSF_S6_EEENSH_IJSG_SG_EEES6_PlJNSB_9not_fun_tINSB_10functional5actorINSM_9compositeIJNSM_27transparent_binary_operatorINSA_8equal_toIvEEEENSN_INSM_8argumentILj0EEEEENSM_5valueIsEEEEEEEEEEEE10hipError_tPvRmT3_T4_T5_T6_T7_T9_mT8_P12ihipStream_tbDpT10_ENKUlT_T0_E_clISt17integral_constantIbLb1EES1K_EEDaS1F_S1G_EUlS1F_E_NS1_11comp_targetILNS1_3genE5ELNS1_11target_archE942ELNS1_3gpuE9ELNS1_3repE0EEENS1_30default_config_static_selectorELNS0_4arch9wavefront6targetE0EEEvT1_.has_indirect_call, 0
	.section	.AMDGPU.csdata,"",@progbits
; Kernel info:
; codeLenInByte = 0
; TotalNumSgprs: 0
; NumVgprs: 0
; ScratchSize: 0
; MemoryBound: 0
; FloatMode: 240
; IeeeMode: 1
; LDSByteSize: 0 bytes/workgroup (compile time only)
; SGPRBlocks: 0
; VGPRBlocks: 0
; NumSGPRsForWavesPerEU: 1
; NumVGPRsForWavesPerEU: 1
; Occupancy: 16
; WaveLimiterHint : 0
; COMPUTE_PGM_RSRC2:SCRATCH_EN: 0
; COMPUTE_PGM_RSRC2:USER_SGPR: 2
; COMPUTE_PGM_RSRC2:TRAP_HANDLER: 0
; COMPUTE_PGM_RSRC2:TGID_X_EN: 1
; COMPUTE_PGM_RSRC2:TGID_Y_EN: 0
; COMPUTE_PGM_RSRC2:TGID_Z_EN: 0
; COMPUTE_PGM_RSRC2:TIDIG_COMP_CNT: 0
	.section	.text._ZN7rocprim17ROCPRIM_400000_NS6detail17trampoline_kernelINS0_14default_configENS1_25partition_config_selectorILNS1_17partition_subalgoE6EsNS0_10empty_typeEbEEZZNS1_14partition_implILS5_6ELb0ES3_mN6thrust23THRUST_200600_302600_NS6detail15normal_iteratorINSA_10device_ptrIsEEEEPS6_SG_NS0_5tupleIJSF_S6_EEENSH_IJSG_SG_EEES6_PlJNSB_9not_fun_tINSB_10functional5actorINSM_9compositeIJNSM_27transparent_binary_operatorINSA_8equal_toIvEEEENSN_INSM_8argumentILj0EEEEENSM_5valueIsEEEEEEEEEEEE10hipError_tPvRmT3_T4_T5_T6_T7_T9_mT8_P12ihipStream_tbDpT10_ENKUlT_T0_E_clISt17integral_constantIbLb1EES1K_EEDaS1F_S1G_EUlS1F_E_NS1_11comp_targetILNS1_3genE4ELNS1_11target_archE910ELNS1_3gpuE8ELNS1_3repE0EEENS1_30default_config_static_selectorELNS0_4arch9wavefront6targetE0EEEvT1_,"axG",@progbits,_ZN7rocprim17ROCPRIM_400000_NS6detail17trampoline_kernelINS0_14default_configENS1_25partition_config_selectorILNS1_17partition_subalgoE6EsNS0_10empty_typeEbEEZZNS1_14partition_implILS5_6ELb0ES3_mN6thrust23THRUST_200600_302600_NS6detail15normal_iteratorINSA_10device_ptrIsEEEEPS6_SG_NS0_5tupleIJSF_S6_EEENSH_IJSG_SG_EEES6_PlJNSB_9not_fun_tINSB_10functional5actorINSM_9compositeIJNSM_27transparent_binary_operatorINSA_8equal_toIvEEEENSN_INSM_8argumentILj0EEEEENSM_5valueIsEEEEEEEEEEEE10hipError_tPvRmT3_T4_T5_T6_T7_T9_mT8_P12ihipStream_tbDpT10_ENKUlT_T0_E_clISt17integral_constantIbLb1EES1K_EEDaS1F_S1G_EUlS1F_E_NS1_11comp_targetILNS1_3genE4ELNS1_11target_archE910ELNS1_3gpuE8ELNS1_3repE0EEENS1_30default_config_static_selectorELNS0_4arch9wavefront6targetE0EEEvT1_,comdat
	.protected	_ZN7rocprim17ROCPRIM_400000_NS6detail17trampoline_kernelINS0_14default_configENS1_25partition_config_selectorILNS1_17partition_subalgoE6EsNS0_10empty_typeEbEEZZNS1_14partition_implILS5_6ELb0ES3_mN6thrust23THRUST_200600_302600_NS6detail15normal_iteratorINSA_10device_ptrIsEEEEPS6_SG_NS0_5tupleIJSF_S6_EEENSH_IJSG_SG_EEES6_PlJNSB_9not_fun_tINSB_10functional5actorINSM_9compositeIJNSM_27transparent_binary_operatorINSA_8equal_toIvEEEENSN_INSM_8argumentILj0EEEEENSM_5valueIsEEEEEEEEEEEE10hipError_tPvRmT3_T4_T5_T6_T7_T9_mT8_P12ihipStream_tbDpT10_ENKUlT_T0_E_clISt17integral_constantIbLb1EES1K_EEDaS1F_S1G_EUlS1F_E_NS1_11comp_targetILNS1_3genE4ELNS1_11target_archE910ELNS1_3gpuE8ELNS1_3repE0EEENS1_30default_config_static_selectorELNS0_4arch9wavefront6targetE0EEEvT1_ ; -- Begin function _ZN7rocprim17ROCPRIM_400000_NS6detail17trampoline_kernelINS0_14default_configENS1_25partition_config_selectorILNS1_17partition_subalgoE6EsNS0_10empty_typeEbEEZZNS1_14partition_implILS5_6ELb0ES3_mN6thrust23THRUST_200600_302600_NS6detail15normal_iteratorINSA_10device_ptrIsEEEEPS6_SG_NS0_5tupleIJSF_S6_EEENSH_IJSG_SG_EEES6_PlJNSB_9not_fun_tINSB_10functional5actorINSM_9compositeIJNSM_27transparent_binary_operatorINSA_8equal_toIvEEEENSN_INSM_8argumentILj0EEEEENSM_5valueIsEEEEEEEEEEEE10hipError_tPvRmT3_T4_T5_T6_T7_T9_mT8_P12ihipStream_tbDpT10_ENKUlT_T0_E_clISt17integral_constantIbLb1EES1K_EEDaS1F_S1G_EUlS1F_E_NS1_11comp_targetILNS1_3genE4ELNS1_11target_archE910ELNS1_3gpuE8ELNS1_3repE0EEENS1_30default_config_static_selectorELNS0_4arch9wavefront6targetE0EEEvT1_
	.globl	_ZN7rocprim17ROCPRIM_400000_NS6detail17trampoline_kernelINS0_14default_configENS1_25partition_config_selectorILNS1_17partition_subalgoE6EsNS0_10empty_typeEbEEZZNS1_14partition_implILS5_6ELb0ES3_mN6thrust23THRUST_200600_302600_NS6detail15normal_iteratorINSA_10device_ptrIsEEEEPS6_SG_NS0_5tupleIJSF_S6_EEENSH_IJSG_SG_EEES6_PlJNSB_9not_fun_tINSB_10functional5actorINSM_9compositeIJNSM_27transparent_binary_operatorINSA_8equal_toIvEEEENSN_INSM_8argumentILj0EEEEENSM_5valueIsEEEEEEEEEEEE10hipError_tPvRmT3_T4_T5_T6_T7_T9_mT8_P12ihipStream_tbDpT10_ENKUlT_T0_E_clISt17integral_constantIbLb1EES1K_EEDaS1F_S1G_EUlS1F_E_NS1_11comp_targetILNS1_3genE4ELNS1_11target_archE910ELNS1_3gpuE8ELNS1_3repE0EEENS1_30default_config_static_selectorELNS0_4arch9wavefront6targetE0EEEvT1_
	.p2align	8
	.type	_ZN7rocprim17ROCPRIM_400000_NS6detail17trampoline_kernelINS0_14default_configENS1_25partition_config_selectorILNS1_17partition_subalgoE6EsNS0_10empty_typeEbEEZZNS1_14partition_implILS5_6ELb0ES3_mN6thrust23THRUST_200600_302600_NS6detail15normal_iteratorINSA_10device_ptrIsEEEEPS6_SG_NS0_5tupleIJSF_S6_EEENSH_IJSG_SG_EEES6_PlJNSB_9not_fun_tINSB_10functional5actorINSM_9compositeIJNSM_27transparent_binary_operatorINSA_8equal_toIvEEEENSN_INSM_8argumentILj0EEEEENSM_5valueIsEEEEEEEEEEEE10hipError_tPvRmT3_T4_T5_T6_T7_T9_mT8_P12ihipStream_tbDpT10_ENKUlT_T0_E_clISt17integral_constantIbLb1EES1K_EEDaS1F_S1G_EUlS1F_E_NS1_11comp_targetILNS1_3genE4ELNS1_11target_archE910ELNS1_3gpuE8ELNS1_3repE0EEENS1_30default_config_static_selectorELNS0_4arch9wavefront6targetE0EEEvT1_,@function
_ZN7rocprim17ROCPRIM_400000_NS6detail17trampoline_kernelINS0_14default_configENS1_25partition_config_selectorILNS1_17partition_subalgoE6EsNS0_10empty_typeEbEEZZNS1_14partition_implILS5_6ELb0ES3_mN6thrust23THRUST_200600_302600_NS6detail15normal_iteratorINSA_10device_ptrIsEEEEPS6_SG_NS0_5tupleIJSF_S6_EEENSH_IJSG_SG_EEES6_PlJNSB_9not_fun_tINSB_10functional5actorINSM_9compositeIJNSM_27transparent_binary_operatorINSA_8equal_toIvEEEENSN_INSM_8argumentILj0EEEEENSM_5valueIsEEEEEEEEEEEE10hipError_tPvRmT3_T4_T5_T6_T7_T9_mT8_P12ihipStream_tbDpT10_ENKUlT_T0_E_clISt17integral_constantIbLb1EES1K_EEDaS1F_S1G_EUlS1F_E_NS1_11comp_targetILNS1_3genE4ELNS1_11target_archE910ELNS1_3gpuE8ELNS1_3repE0EEENS1_30default_config_static_selectorELNS0_4arch9wavefront6targetE0EEEvT1_: ; @_ZN7rocprim17ROCPRIM_400000_NS6detail17trampoline_kernelINS0_14default_configENS1_25partition_config_selectorILNS1_17partition_subalgoE6EsNS0_10empty_typeEbEEZZNS1_14partition_implILS5_6ELb0ES3_mN6thrust23THRUST_200600_302600_NS6detail15normal_iteratorINSA_10device_ptrIsEEEEPS6_SG_NS0_5tupleIJSF_S6_EEENSH_IJSG_SG_EEES6_PlJNSB_9not_fun_tINSB_10functional5actorINSM_9compositeIJNSM_27transparent_binary_operatorINSA_8equal_toIvEEEENSN_INSM_8argumentILj0EEEEENSM_5valueIsEEEEEEEEEEEE10hipError_tPvRmT3_T4_T5_T6_T7_T9_mT8_P12ihipStream_tbDpT10_ENKUlT_T0_E_clISt17integral_constantIbLb1EES1K_EEDaS1F_S1G_EUlS1F_E_NS1_11comp_targetILNS1_3genE4ELNS1_11target_archE910ELNS1_3gpuE8ELNS1_3repE0EEENS1_30default_config_static_selectorELNS0_4arch9wavefront6targetE0EEEvT1_
; %bb.0:
	.section	.rodata,"a",@progbits
	.p2align	6, 0x0
	.amdhsa_kernel _ZN7rocprim17ROCPRIM_400000_NS6detail17trampoline_kernelINS0_14default_configENS1_25partition_config_selectorILNS1_17partition_subalgoE6EsNS0_10empty_typeEbEEZZNS1_14partition_implILS5_6ELb0ES3_mN6thrust23THRUST_200600_302600_NS6detail15normal_iteratorINSA_10device_ptrIsEEEEPS6_SG_NS0_5tupleIJSF_S6_EEENSH_IJSG_SG_EEES6_PlJNSB_9not_fun_tINSB_10functional5actorINSM_9compositeIJNSM_27transparent_binary_operatorINSA_8equal_toIvEEEENSN_INSM_8argumentILj0EEEEENSM_5valueIsEEEEEEEEEEEE10hipError_tPvRmT3_T4_T5_T6_T7_T9_mT8_P12ihipStream_tbDpT10_ENKUlT_T0_E_clISt17integral_constantIbLb1EES1K_EEDaS1F_S1G_EUlS1F_E_NS1_11comp_targetILNS1_3genE4ELNS1_11target_archE910ELNS1_3gpuE8ELNS1_3repE0EEENS1_30default_config_static_selectorELNS0_4arch9wavefront6targetE0EEEvT1_
		.amdhsa_group_segment_fixed_size 0
		.amdhsa_private_segment_fixed_size 0
		.amdhsa_kernarg_size 128
		.amdhsa_user_sgpr_count 2
		.amdhsa_user_sgpr_dispatch_ptr 0
		.amdhsa_user_sgpr_queue_ptr 0
		.amdhsa_user_sgpr_kernarg_segment_ptr 1
		.amdhsa_user_sgpr_dispatch_id 0
		.amdhsa_user_sgpr_private_segment_size 0
		.amdhsa_wavefront_size32 1
		.amdhsa_uses_dynamic_stack 0
		.amdhsa_enable_private_segment 0
		.amdhsa_system_sgpr_workgroup_id_x 1
		.amdhsa_system_sgpr_workgroup_id_y 0
		.amdhsa_system_sgpr_workgroup_id_z 0
		.amdhsa_system_sgpr_workgroup_info 0
		.amdhsa_system_vgpr_workitem_id 0
		.amdhsa_next_free_vgpr 1
		.amdhsa_next_free_sgpr 1
		.amdhsa_reserve_vcc 0
		.amdhsa_float_round_mode_32 0
		.amdhsa_float_round_mode_16_64 0
		.amdhsa_float_denorm_mode_32 3
		.amdhsa_float_denorm_mode_16_64 3
		.amdhsa_fp16_overflow 0
		.amdhsa_workgroup_processor_mode 1
		.amdhsa_memory_ordered 1
		.amdhsa_forward_progress 1
		.amdhsa_inst_pref_size 0
		.amdhsa_round_robin_scheduling 0
		.amdhsa_exception_fp_ieee_invalid_op 0
		.amdhsa_exception_fp_denorm_src 0
		.amdhsa_exception_fp_ieee_div_zero 0
		.amdhsa_exception_fp_ieee_overflow 0
		.amdhsa_exception_fp_ieee_underflow 0
		.amdhsa_exception_fp_ieee_inexact 0
		.amdhsa_exception_int_div_zero 0
	.end_amdhsa_kernel
	.section	.text._ZN7rocprim17ROCPRIM_400000_NS6detail17trampoline_kernelINS0_14default_configENS1_25partition_config_selectorILNS1_17partition_subalgoE6EsNS0_10empty_typeEbEEZZNS1_14partition_implILS5_6ELb0ES3_mN6thrust23THRUST_200600_302600_NS6detail15normal_iteratorINSA_10device_ptrIsEEEEPS6_SG_NS0_5tupleIJSF_S6_EEENSH_IJSG_SG_EEES6_PlJNSB_9not_fun_tINSB_10functional5actorINSM_9compositeIJNSM_27transparent_binary_operatorINSA_8equal_toIvEEEENSN_INSM_8argumentILj0EEEEENSM_5valueIsEEEEEEEEEEEE10hipError_tPvRmT3_T4_T5_T6_T7_T9_mT8_P12ihipStream_tbDpT10_ENKUlT_T0_E_clISt17integral_constantIbLb1EES1K_EEDaS1F_S1G_EUlS1F_E_NS1_11comp_targetILNS1_3genE4ELNS1_11target_archE910ELNS1_3gpuE8ELNS1_3repE0EEENS1_30default_config_static_selectorELNS0_4arch9wavefront6targetE0EEEvT1_,"axG",@progbits,_ZN7rocprim17ROCPRIM_400000_NS6detail17trampoline_kernelINS0_14default_configENS1_25partition_config_selectorILNS1_17partition_subalgoE6EsNS0_10empty_typeEbEEZZNS1_14partition_implILS5_6ELb0ES3_mN6thrust23THRUST_200600_302600_NS6detail15normal_iteratorINSA_10device_ptrIsEEEEPS6_SG_NS0_5tupleIJSF_S6_EEENSH_IJSG_SG_EEES6_PlJNSB_9not_fun_tINSB_10functional5actorINSM_9compositeIJNSM_27transparent_binary_operatorINSA_8equal_toIvEEEENSN_INSM_8argumentILj0EEEEENSM_5valueIsEEEEEEEEEEEE10hipError_tPvRmT3_T4_T5_T6_T7_T9_mT8_P12ihipStream_tbDpT10_ENKUlT_T0_E_clISt17integral_constantIbLb1EES1K_EEDaS1F_S1G_EUlS1F_E_NS1_11comp_targetILNS1_3genE4ELNS1_11target_archE910ELNS1_3gpuE8ELNS1_3repE0EEENS1_30default_config_static_selectorELNS0_4arch9wavefront6targetE0EEEvT1_,comdat
.Lfunc_end254:
	.size	_ZN7rocprim17ROCPRIM_400000_NS6detail17trampoline_kernelINS0_14default_configENS1_25partition_config_selectorILNS1_17partition_subalgoE6EsNS0_10empty_typeEbEEZZNS1_14partition_implILS5_6ELb0ES3_mN6thrust23THRUST_200600_302600_NS6detail15normal_iteratorINSA_10device_ptrIsEEEEPS6_SG_NS0_5tupleIJSF_S6_EEENSH_IJSG_SG_EEES6_PlJNSB_9not_fun_tINSB_10functional5actorINSM_9compositeIJNSM_27transparent_binary_operatorINSA_8equal_toIvEEEENSN_INSM_8argumentILj0EEEEENSM_5valueIsEEEEEEEEEEEE10hipError_tPvRmT3_T4_T5_T6_T7_T9_mT8_P12ihipStream_tbDpT10_ENKUlT_T0_E_clISt17integral_constantIbLb1EES1K_EEDaS1F_S1G_EUlS1F_E_NS1_11comp_targetILNS1_3genE4ELNS1_11target_archE910ELNS1_3gpuE8ELNS1_3repE0EEENS1_30default_config_static_selectorELNS0_4arch9wavefront6targetE0EEEvT1_, .Lfunc_end254-_ZN7rocprim17ROCPRIM_400000_NS6detail17trampoline_kernelINS0_14default_configENS1_25partition_config_selectorILNS1_17partition_subalgoE6EsNS0_10empty_typeEbEEZZNS1_14partition_implILS5_6ELb0ES3_mN6thrust23THRUST_200600_302600_NS6detail15normal_iteratorINSA_10device_ptrIsEEEEPS6_SG_NS0_5tupleIJSF_S6_EEENSH_IJSG_SG_EEES6_PlJNSB_9not_fun_tINSB_10functional5actorINSM_9compositeIJNSM_27transparent_binary_operatorINSA_8equal_toIvEEEENSN_INSM_8argumentILj0EEEEENSM_5valueIsEEEEEEEEEEEE10hipError_tPvRmT3_T4_T5_T6_T7_T9_mT8_P12ihipStream_tbDpT10_ENKUlT_T0_E_clISt17integral_constantIbLb1EES1K_EEDaS1F_S1G_EUlS1F_E_NS1_11comp_targetILNS1_3genE4ELNS1_11target_archE910ELNS1_3gpuE8ELNS1_3repE0EEENS1_30default_config_static_selectorELNS0_4arch9wavefront6targetE0EEEvT1_
                                        ; -- End function
	.set _ZN7rocprim17ROCPRIM_400000_NS6detail17trampoline_kernelINS0_14default_configENS1_25partition_config_selectorILNS1_17partition_subalgoE6EsNS0_10empty_typeEbEEZZNS1_14partition_implILS5_6ELb0ES3_mN6thrust23THRUST_200600_302600_NS6detail15normal_iteratorINSA_10device_ptrIsEEEEPS6_SG_NS0_5tupleIJSF_S6_EEENSH_IJSG_SG_EEES6_PlJNSB_9not_fun_tINSB_10functional5actorINSM_9compositeIJNSM_27transparent_binary_operatorINSA_8equal_toIvEEEENSN_INSM_8argumentILj0EEEEENSM_5valueIsEEEEEEEEEEEE10hipError_tPvRmT3_T4_T5_T6_T7_T9_mT8_P12ihipStream_tbDpT10_ENKUlT_T0_E_clISt17integral_constantIbLb1EES1K_EEDaS1F_S1G_EUlS1F_E_NS1_11comp_targetILNS1_3genE4ELNS1_11target_archE910ELNS1_3gpuE8ELNS1_3repE0EEENS1_30default_config_static_selectorELNS0_4arch9wavefront6targetE0EEEvT1_.num_vgpr, 0
	.set _ZN7rocprim17ROCPRIM_400000_NS6detail17trampoline_kernelINS0_14default_configENS1_25partition_config_selectorILNS1_17partition_subalgoE6EsNS0_10empty_typeEbEEZZNS1_14partition_implILS5_6ELb0ES3_mN6thrust23THRUST_200600_302600_NS6detail15normal_iteratorINSA_10device_ptrIsEEEEPS6_SG_NS0_5tupleIJSF_S6_EEENSH_IJSG_SG_EEES6_PlJNSB_9not_fun_tINSB_10functional5actorINSM_9compositeIJNSM_27transparent_binary_operatorINSA_8equal_toIvEEEENSN_INSM_8argumentILj0EEEEENSM_5valueIsEEEEEEEEEEEE10hipError_tPvRmT3_T4_T5_T6_T7_T9_mT8_P12ihipStream_tbDpT10_ENKUlT_T0_E_clISt17integral_constantIbLb1EES1K_EEDaS1F_S1G_EUlS1F_E_NS1_11comp_targetILNS1_3genE4ELNS1_11target_archE910ELNS1_3gpuE8ELNS1_3repE0EEENS1_30default_config_static_selectorELNS0_4arch9wavefront6targetE0EEEvT1_.num_agpr, 0
	.set _ZN7rocprim17ROCPRIM_400000_NS6detail17trampoline_kernelINS0_14default_configENS1_25partition_config_selectorILNS1_17partition_subalgoE6EsNS0_10empty_typeEbEEZZNS1_14partition_implILS5_6ELb0ES3_mN6thrust23THRUST_200600_302600_NS6detail15normal_iteratorINSA_10device_ptrIsEEEEPS6_SG_NS0_5tupleIJSF_S6_EEENSH_IJSG_SG_EEES6_PlJNSB_9not_fun_tINSB_10functional5actorINSM_9compositeIJNSM_27transparent_binary_operatorINSA_8equal_toIvEEEENSN_INSM_8argumentILj0EEEEENSM_5valueIsEEEEEEEEEEEE10hipError_tPvRmT3_T4_T5_T6_T7_T9_mT8_P12ihipStream_tbDpT10_ENKUlT_T0_E_clISt17integral_constantIbLb1EES1K_EEDaS1F_S1G_EUlS1F_E_NS1_11comp_targetILNS1_3genE4ELNS1_11target_archE910ELNS1_3gpuE8ELNS1_3repE0EEENS1_30default_config_static_selectorELNS0_4arch9wavefront6targetE0EEEvT1_.numbered_sgpr, 0
	.set _ZN7rocprim17ROCPRIM_400000_NS6detail17trampoline_kernelINS0_14default_configENS1_25partition_config_selectorILNS1_17partition_subalgoE6EsNS0_10empty_typeEbEEZZNS1_14partition_implILS5_6ELb0ES3_mN6thrust23THRUST_200600_302600_NS6detail15normal_iteratorINSA_10device_ptrIsEEEEPS6_SG_NS0_5tupleIJSF_S6_EEENSH_IJSG_SG_EEES6_PlJNSB_9not_fun_tINSB_10functional5actorINSM_9compositeIJNSM_27transparent_binary_operatorINSA_8equal_toIvEEEENSN_INSM_8argumentILj0EEEEENSM_5valueIsEEEEEEEEEEEE10hipError_tPvRmT3_T4_T5_T6_T7_T9_mT8_P12ihipStream_tbDpT10_ENKUlT_T0_E_clISt17integral_constantIbLb1EES1K_EEDaS1F_S1G_EUlS1F_E_NS1_11comp_targetILNS1_3genE4ELNS1_11target_archE910ELNS1_3gpuE8ELNS1_3repE0EEENS1_30default_config_static_selectorELNS0_4arch9wavefront6targetE0EEEvT1_.num_named_barrier, 0
	.set _ZN7rocprim17ROCPRIM_400000_NS6detail17trampoline_kernelINS0_14default_configENS1_25partition_config_selectorILNS1_17partition_subalgoE6EsNS0_10empty_typeEbEEZZNS1_14partition_implILS5_6ELb0ES3_mN6thrust23THRUST_200600_302600_NS6detail15normal_iteratorINSA_10device_ptrIsEEEEPS6_SG_NS0_5tupleIJSF_S6_EEENSH_IJSG_SG_EEES6_PlJNSB_9not_fun_tINSB_10functional5actorINSM_9compositeIJNSM_27transparent_binary_operatorINSA_8equal_toIvEEEENSN_INSM_8argumentILj0EEEEENSM_5valueIsEEEEEEEEEEEE10hipError_tPvRmT3_T4_T5_T6_T7_T9_mT8_P12ihipStream_tbDpT10_ENKUlT_T0_E_clISt17integral_constantIbLb1EES1K_EEDaS1F_S1G_EUlS1F_E_NS1_11comp_targetILNS1_3genE4ELNS1_11target_archE910ELNS1_3gpuE8ELNS1_3repE0EEENS1_30default_config_static_selectorELNS0_4arch9wavefront6targetE0EEEvT1_.private_seg_size, 0
	.set _ZN7rocprim17ROCPRIM_400000_NS6detail17trampoline_kernelINS0_14default_configENS1_25partition_config_selectorILNS1_17partition_subalgoE6EsNS0_10empty_typeEbEEZZNS1_14partition_implILS5_6ELb0ES3_mN6thrust23THRUST_200600_302600_NS6detail15normal_iteratorINSA_10device_ptrIsEEEEPS6_SG_NS0_5tupleIJSF_S6_EEENSH_IJSG_SG_EEES6_PlJNSB_9not_fun_tINSB_10functional5actorINSM_9compositeIJNSM_27transparent_binary_operatorINSA_8equal_toIvEEEENSN_INSM_8argumentILj0EEEEENSM_5valueIsEEEEEEEEEEEE10hipError_tPvRmT3_T4_T5_T6_T7_T9_mT8_P12ihipStream_tbDpT10_ENKUlT_T0_E_clISt17integral_constantIbLb1EES1K_EEDaS1F_S1G_EUlS1F_E_NS1_11comp_targetILNS1_3genE4ELNS1_11target_archE910ELNS1_3gpuE8ELNS1_3repE0EEENS1_30default_config_static_selectorELNS0_4arch9wavefront6targetE0EEEvT1_.uses_vcc, 0
	.set _ZN7rocprim17ROCPRIM_400000_NS6detail17trampoline_kernelINS0_14default_configENS1_25partition_config_selectorILNS1_17partition_subalgoE6EsNS0_10empty_typeEbEEZZNS1_14partition_implILS5_6ELb0ES3_mN6thrust23THRUST_200600_302600_NS6detail15normal_iteratorINSA_10device_ptrIsEEEEPS6_SG_NS0_5tupleIJSF_S6_EEENSH_IJSG_SG_EEES6_PlJNSB_9not_fun_tINSB_10functional5actorINSM_9compositeIJNSM_27transparent_binary_operatorINSA_8equal_toIvEEEENSN_INSM_8argumentILj0EEEEENSM_5valueIsEEEEEEEEEEEE10hipError_tPvRmT3_T4_T5_T6_T7_T9_mT8_P12ihipStream_tbDpT10_ENKUlT_T0_E_clISt17integral_constantIbLb1EES1K_EEDaS1F_S1G_EUlS1F_E_NS1_11comp_targetILNS1_3genE4ELNS1_11target_archE910ELNS1_3gpuE8ELNS1_3repE0EEENS1_30default_config_static_selectorELNS0_4arch9wavefront6targetE0EEEvT1_.uses_flat_scratch, 0
	.set _ZN7rocprim17ROCPRIM_400000_NS6detail17trampoline_kernelINS0_14default_configENS1_25partition_config_selectorILNS1_17partition_subalgoE6EsNS0_10empty_typeEbEEZZNS1_14partition_implILS5_6ELb0ES3_mN6thrust23THRUST_200600_302600_NS6detail15normal_iteratorINSA_10device_ptrIsEEEEPS6_SG_NS0_5tupleIJSF_S6_EEENSH_IJSG_SG_EEES6_PlJNSB_9not_fun_tINSB_10functional5actorINSM_9compositeIJNSM_27transparent_binary_operatorINSA_8equal_toIvEEEENSN_INSM_8argumentILj0EEEEENSM_5valueIsEEEEEEEEEEEE10hipError_tPvRmT3_T4_T5_T6_T7_T9_mT8_P12ihipStream_tbDpT10_ENKUlT_T0_E_clISt17integral_constantIbLb1EES1K_EEDaS1F_S1G_EUlS1F_E_NS1_11comp_targetILNS1_3genE4ELNS1_11target_archE910ELNS1_3gpuE8ELNS1_3repE0EEENS1_30default_config_static_selectorELNS0_4arch9wavefront6targetE0EEEvT1_.has_dyn_sized_stack, 0
	.set _ZN7rocprim17ROCPRIM_400000_NS6detail17trampoline_kernelINS0_14default_configENS1_25partition_config_selectorILNS1_17partition_subalgoE6EsNS0_10empty_typeEbEEZZNS1_14partition_implILS5_6ELb0ES3_mN6thrust23THRUST_200600_302600_NS6detail15normal_iteratorINSA_10device_ptrIsEEEEPS6_SG_NS0_5tupleIJSF_S6_EEENSH_IJSG_SG_EEES6_PlJNSB_9not_fun_tINSB_10functional5actorINSM_9compositeIJNSM_27transparent_binary_operatorINSA_8equal_toIvEEEENSN_INSM_8argumentILj0EEEEENSM_5valueIsEEEEEEEEEEEE10hipError_tPvRmT3_T4_T5_T6_T7_T9_mT8_P12ihipStream_tbDpT10_ENKUlT_T0_E_clISt17integral_constantIbLb1EES1K_EEDaS1F_S1G_EUlS1F_E_NS1_11comp_targetILNS1_3genE4ELNS1_11target_archE910ELNS1_3gpuE8ELNS1_3repE0EEENS1_30default_config_static_selectorELNS0_4arch9wavefront6targetE0EEEvT1_.has_recursion, 0
	.set _ZN7rocprim17ROCPRIM_400000_NS6detail17trampoline_kernelINS0_14default_configENS1_25partition_config_selectorILNS1_17partition_subalgoE6EsNS0_10empty_typeEbEEZZNS1_14partition_implILS5_6ELb0ES3_mN6thrust23THRUST_200600_302600_NS6detail15normal_iteratorINSA_10device_ptrIsEEEEPS6_SG_NS0_5tupleIJSF_S6_EEENSH_IJSG_SG_EEES6_PlJNSB_9not_fun_tINSB_10functional5actorINSM_9compositeIJNSM_27transparent_binary_operatorINSA_8equal_toIvEEEENSN_INSM_8argumentILj0EEEEENSM_5valueIsEEEEEEEEEEEE10hipError_tPvRmT3_T4_T5_T6_T7_T9_mT8_P12ihipStream_tbDpT10_ENKUlT_T0_E_clISt17integral_constantIbLb1EES1K_EEDaS1F_S1G_EUlS1F_E_NS1_11comp_targetILNS1_3genE4ELNS1_11target_archE910ELNS1_3gpuE8ELNS1_3repE0EEENS1_30default_config_static_selectorELNS0_4arch9wavefront6targetE0EEEvT1_.has_indirect_call, 0
	.section	.AMDGPU.csdata,"",@progbits
; Kernel info:
; codeLenInByte = 0
; TotalNumSgprs: 0
; NumVgprs: 0
; ScratchSize: 0
; MemoryBound: 0
; FloatMode: 240
; IeeeMode: 1
; LDSByteSize: 0 bytes/workgroup (compile time only)
; SGPRBlocks: 0
; VGPRBlocks: 0
; NumSGPRsForWavesPerEU: 1
; NumVGPRsForWavesPerEU: 1
; Occupancy: 16
; WaveLimiterHint : 0
; COMPUTE_PGM_RSRC2:SCRATCH_EN: 0
; COMPUTE_PGM_RSRC2:USER_SGPR: 2
; COMPUTE_PGM_RSRC2:TRAP_HANDLER: 0
; COMPUTE_PGM_RSRC2:TGID_X_EN: 1
; COMPUTE_PGM_RSRC2:TGID_Y_EN: 0
; COMPUTE_PGM_RSRC2:TGID_Z_EN: 0
; COMPUTE_PGM_RSRC2:TIDIG_COMP_CNT: 0
	.section	.text._ZN7rocprim17ROCPRIM_400000_NS6detail17trampoline_kernelINS0_14default_configENS1_25partition_config_selectorILNS1_17partition_subalgoE6EsNS0_10empty_typeEbEEZZNS1_14partition_implILS5_6ELb0ES3_mN6thrust23THRUST_200600_302600_NS6detail15normal_iteratorINSA_10device_ptrIsEEEEPS6_SG_NS0_5tupleIJSF_S6_EEENSH_IJSG_SG_EEES6_PlJNSB_9not_fun_tINSB_10functional5actorINSM_9compositeIJNSM_27transparent_binary_operatorINSA_8equal_toIvEEEENSN_INSM_8argumentILj0EEEEENSM_5valueIsEEEEEEEEEEEE10hipError_tPvRmT3_T4_T5_T6_T7_T9_mT8_P12ihipStream_tbDpT10_ENKUlT_T0_E_clISt17integral_constantIbLb1EES1K_EEDaS1F_S1G_EUlS1F_E_NS1_11comp_targetILNS1_3genE3ELNS1_11target_archE908ELNS1_3gpuE7ELNS1_3repE0EEENS1_30default_config_static_selectorELNS0_4arch9wavefront6targetE0EEEvT1_,"axG",@progbits,_ZN7rocprim17ROCPRIM_400000_NS6detail17trampoline_kernelINS0_14default_configENS1_25partition_config_selectorILNS1_17partition_subalgoE6EsNS0_10empty_typeEbEEZZNS1_14partition_implILS5_6ELb0ES3_mN6thrust23THRUST_200600_302600_NS6detail15normal_iteratorINSA_10device_ptrIsEEEEPS6_SG_NS0_5tupleIJSF_S6_EEENSH_IJSG_SG_EEES6_PlJNSB_9not_fun_tINSB_10functional5actorINSM_9compositeIJNSM_27transparent_binary_operatorINSA_8equal_toIvEEEENSN_INSM_8argumentILj0EEEEENSM_5valueIsEEEEEEEEEEEE10hipError_tPvRmT3_T4_T5_T6_T7_T9_mT8_P12ihipStream_tbDpT10_ENKUlT_T0_E_clISt17integral_constantIbLb1EES1K_EEDaS1F_S1G_EUlS1F_E_NS1_11comp_targetILNS1_3genE3ELNS1_11target_archE908ELNS1_3gpuE7ELNS1_3repE0EEENS1_30default_config_static_selectorELNS0_4arch9wavefront6targetE0EEEvT1_,comdat
	.protected	_ZN7rocprim17ROCPRIM_400000_NS6detail17trampoline_kernelINS0_14default_configENS1_25partition_config_selectorILNS1_17partition_subalgoE6EsNS0_10empty_typeEbEEZZNS1_14partition_implILS5_6ELb0ES3_mN6thrust23THRUST_200600_302600_NS6detail15normal_iteratorINSA_10device_ptrIsEEEEPS6_SG_NS0_5tupleIJSF_S6_EEENSH_IJSG_SG_EEES6_PlJNSB_9not_fun_tINSB_10functional5actorINSM_9compositeIJNSM_27transparent_binary_operatorINSA_8equal_toIvEEEENSN_INSM_8argumentILj0EEEEENSM_5valueIsEEEEEEEEEEEE10hipError_tPvRmT3_T4_T5_T6_T7_T9_mT8_P12ihipStream_tbDpT10_ENKUlT_T0_E_clISt17integral_constantIbLb1EES1K_EEDaS1F_S1G_EUlS1F_E_NS1_11comp_targetILNS1_3genE3ELNS1_11target_archE908ELNS1_3gpuE7ELNS1_3repE0EEENS1_30default_config_static_selectorELNS0_4arch9wavefront6targetE0EEEvT1_ ; -- Begin function _ZN7rocprim17ROCPRIM_400000_NS6detail17trampoline_kernelINS0_14default_configENS1_25partition_config_selectorILNS1_17partition_subalgoE6EsNS0_10empty_typeEbEEZZNS1_14partition_implILS5_6ELb0ES3_mN6thrust23THRUST_200600_302600_NS6detail15normal_iteratorINSA_10device_ptrIsEEEEPS6_SG_NS0_5tupleIJSF_S6_EEENSH_IJSG_SG_EEES6_PlJNSB_9not_fun_tINSB_10functional5actorINSM_9compositeIJNSM_27transparent_binary_operatorINSA_8equal_toIvEEEENSN_INSM_8argumentILj0EEEEENSM_5valueIsEEEEEEEEEEEE10hipError_tPvRmT3_T4_T5_T6_T7_T9_mT8_P12ihipStream_tbDpT10_ENKUlT_T0_E_clISt17integral_constantIbLb1EES1K_EEDaS1F_S1G_EUlS1F_E_NS1_11comp_targetILNS1_3genE3ELNS1_11target_archE908ELNS1_3gpuE7ELNS1_3repE0EEENS1_30default_config_static_selectorELNS0_4arch9wavefront6targetE0EEEvT1_
	.globl	_ZN7rocprim17ROCPRIM_400000_NS6detail17trampoline_kernelINS0_14default_configENS1_25partition_config_selectorILNS1_17partition_subalgoE6EsNS0_10empty_typeEbEEZZNS1_14partition_implILS5_6ELb0ES3_mN6thrust23THRUST_200600_302600_NS6detail15normal_iteratorINSA_10device_ptrIsEEEEPS6_SG_NS0_5tupleIJSF_S6_EEENSH_IJSG_SG_EEES6_PlJNSB_9not_fun_tINSB_10functional5actorINSM_9compositeIJNSM_27transparent_binary_operatorINSA_8equal_toIvEEEENSN_INSM_8argumentILj0EEEEENSM_5valueIsEEEEEEEEEEEE10hipError_tPvRmT3_T4_T5_T6_T7_T9_mT8_P12ihipStream_tbDpT10_ENKUlT_T0_E_clISt17integral_constantIbLb1EES1K_EEDaS1F_S1G_EUlS1F_E_NS1_11comp_targetILNS1_3genE3ELNS1_11target_archE908ELNS1_3gpuE7ELNS1_3repE0EEENS1_30default_config_static_selectorELNS0_4arch9wavefront6targetE0EEEvT1_
	.p2align	8
	.type	_ZN7rocprim17ROCPRIM_400000_NS6detail17trampoline_kernelINS0_14default_configENS1_25partition_config_selectorILNS1_17partition_subalgoE6EsNS0_10empty_typeEbEEZZNS1_14partition_implILS5_6ELb0ES3_mN6thrust23THRUST_200600_302600_NS6detail15normal_iteratorINSA_10device_ptrIsEEEEPS6_SG_NS0_5tupleIJSF_S6_EEENSH_IJSG_SG_EEES6_PlJNSB_9not_fun_tINSB_10functional5actorINSM_9compositeIJNSM_27transparent_binary_operatorINSA_8equal_toIvEEEENSN_INSM_8argumentILj0EEEEENSM_5valueIsEEEEEEEEEEEE10hipError_tPvRmT3_T4_T5_T6_T7_T9_mT8_P12ihipStream_tbDpT10_ENKUlT_T0_E_clISt17integral_constantIbLb1EES1K_EEDaS1F_S1G_EUlS1F_E_NS1_11comp_targetILNS1_3genE3ELNS1_11target_archE908ELNS1_3gpuE7ELNS1_3repE0EEENS1_30default_config_static_selectorELNS0_4arch9wavefront6targetE0EEEvT1_,@function
_ZN7rocprim17ROCPRIM_400000_NS6detail17trampoline_kernelINS0_14default_configENS1_25partition_config_selectorILNS1_17partition_subalgoE6EsNS0_10empty_typeEbEEZZNS1_14partition_implILS5_6ELb0ES3_mN6thrust23THRUST_200600_302600_NS6detail15normal_iteratorINSA_10device_ptrIsEEEEPS6_SG_NS0_5tupleIJSF_S6_EEENSH_IJSG_SG_EEES6_PlJNSB_9not_fun_tINSB_10functional5actorINSM_9compositeIJNSM_27transparent_binary_operatorINSA_8equal_toIvEEEENSN_INSM_8argumentILj0EEEEENSM_5valueIsEEEEEEEEEEEE10hipError_tPvRmT3_T4_T5_T6_T7_T9_mT8_P12ihipStream_tbDpT10_ENKUlT_T0_E_clISt17integral_constantIbLb1EES1K_EEDaS1F_S1G_EUlS1F_E_NS1_11comp_targetILNS1_3genE3ELNS1_11target_archE908ELNS1_3gpuE7ELNS1_3repE0EEENS1_30default_config_static_selectorELNS0_4arch9wavefront6targetE0EEEvT1_: ; @_ZN7rocprim17ROCPRIM_400000_NS6detail17trampoline_kernelINS0_14default_configENS1_25partition_config_selectorILNS1_17partition_subalgoE6EsNS0_10empty_typeEbEEZZNS1_14partition_implILS5_6ELb0ES3_mN6thrust23THRUST_200600_302600_NS6detail15normal_iteratorINSA_10device_ptrIsEEEEPS6_SG_NS0_5tupleIJSF_S6_EEENSH_IJSG_SG_EEES6_PlJNSB_9not_fun_tINSB_10functional5actorINSM_9compositeIJNSM_27transparent_binary_operatorINSA_8equal_toIvEEEENSN_INSM_8argumentILj0EEEEENSM_5valueIsEEEEEEEEEEEE10hipError_tPvRmT3_T4_T5_T6_T7_T9_mT8_P12ihipStream_tbDpT10_ENKUlT_T0_E_clISt17integral_constantIbLb1EES1K_EEDaS1F_S1G_EUlS1F_E_NS1_11comp_targetILNS1_3genE3ELNS1_11target_archE908ELNS1_3gpuE7ELNS1_3repE0EEENS1_30default_config_static_selectorELNS0_4arch9wavefront6targetE0EEEvT1_
; %bb.0:
	.section	.rodata,"a",@progbits
	.p2align	6, 0x0
	.amdhsa_kernel _ZN7rocprim17ROCPRIM_400000_NS6detail17trampoline_kernelINS0_14default_configENS1_25partition_config_selectorILNS1_17partition_subalgoE6EsNS0_10empty_typeEbEEZZNS1_14partition_implILS5_6ELb0ES3_mN6thrust23THRUST_200600_302600_NS6detail15normal_iteratorINSA_10device_ptrIsEEEEPS6_SG_NS0_5tupleIJSF_S6_EEENSH_IJSG_SG_EEES6_PlJNSB_9not_fun_tINSB_10functional5actorINSM_9compositeIJNSM_27transparent_binary_operatorINSA_8equal_toIvEEEENSN_INSM_8argumentILj0EEEEENSM_5valueIsEEEEEEEEEEEE10hipError_tPvRmT3_T4_T5_T6_T7_T9_mT8_P12ihipStream_tbDpT10_ENKUlT_T0_E_clISt17integral_constantIbLb1EES1K_EEDaS1F_S1G_EUlS1F_E_NS1_11comp_targetILNS1_3genE3ELNS1_11target_archE908ELNS1_3gpuE7ELNS1_3repE0EEENS1_30default_config_static_selectorELNS0_4arch9wavefront6targetE0EEEvT1_
		.amdhsa_group_segment_fixed_size 0
		.amdhsa_private_segment_fixed_size 0
		.amdhsa_kernarg_size 128
		.amdhsa_user_sgpr_count 2
		.amdhsa_user_sgpr_dispatch_ptr 0
		.amdhsa_user_sgpr_queue_ptr 0
		.amdhsa_user_sgpr_kernarg_segment_ptr 1
		.amdhsa_user_sgpr_dispatch_id 0
		.amdhsa_user_sgpr_private_segment_size 0
		.amdhsa_wavefront_size32 1
		.amdhsa_uses_dynamic_stack 0
		.amdhsa_enable_private_segment 0
		.amdhsa_system_sgpr_workgroup_id_x 1
		.amdhsa_system_sgpr_workgroup_id_y 0
		.amdhsa_system_sgpr_workgroup_id_z 0
		.amdhsa_system_sgpr_workgroup_info 0
		.amdhsa_system_vgpr_workitem_id 0
		.amdhsa_next_free_vgpr 1
		.amdhsa_next_free_sgpr 1
		.amdhsa_reserve_vcc 0
		.amdhsa_float_round_mode_32 0
		.amdhsa_float_round_mode_16_64 0
		.amdhsa_float_denorm_mode_32 3
		.amdhsa_float_denorm_mode_16_64 3
		.amdhsa_fp16_overflow 0
		.amdhsa_workgroup_processor_mode 1
		.amdhsa_memory_ordered 1
		.amdhsa_forward_progress 1
		.amdhsa_inst_pref_size 0
		.amdhsa_round_robin_scheduling 0
		.amdhsa_exception_fp_ieee_invalid_op 0
		.amdhsa_exception_fp_denorm_src 0
		.amdhsa_exception_fp_ieee_div_zero 0
		.amdhsa_exception_fp_ieee_overflow 0
		.amdhsa_exception_fp_ieee_underflow 0
		.amdhsa_exception_fp_ieee_inexact 0
		.amdhsa_exception_int_div_zero 0
	.end_amdhsa_kernel
	.section	.text._ZN7rocprim17ROCPRIM_400000_NS6detail17trampoline_kernelINS0_14default_configENS1_25partition_config_selectorILNS1_17partition_subalgoE6EsNS0_10empty_typeEbEEZZNS1_14partition_implILS5_6ELb0ES3_mN6thrust23THRUST_200600_302600_NS6detail15normal_iteratorINSA_10device_ptrIsEEEEPS6_SG_NS0_5tupleIJSF_S6_EEENSH_IJSG_SG_EEES6_PlJNSB_9not_fun_tINSB_10functional5actorINSM_9compositeIJNSM_27transparent_binary_operatorINSA_8equal_toIvEEEENSN_INSM_8argumentILj0EEEEENSM_5valueIsEEEEEEEEEEEE10hipError_tPvRmT3_T4_T5_T6_T7_T9_mT8_P12ihipStream_tbDpT10_ENKUlT_T0_E_clISt17integral_constantIbLb1EES1K_EEDaS1F_S1G_EUlS1F_E_NS1_11comp_targetILNS1_3genE3ELNS1_11target_archE908ELNS1_3gpuE7ELNS1_3repE0EEENS1_30default_config_static_selectorELNS0_4arch9wavefront6targetE0EEEvT1_,"axG",@progbits,_ZN7rocprim17ROCPRIM_400000_NS6detail17trampoline_kernelINS0_14default_configENS1_25partition_config_selectorILNS1_17partition_subalgoE6EsNS0_10empty_typeEbEEZZNS1_14partition_implILS5_6ELb0ES3_mN6thrust23THRUST_200600_302600_NS6detail15normal_iteratorINSA_10device_ptrIsEEEEPS6_SG_NS0_5tupleIJSF_S6_EEENSH_IJSG_SG_EEES6_PlJNSB_9not_fun_tINSB_10functional5actorINSM_9compositeIJNSM_27transparent_binary_operatorINSA_8equal_toIvEEEENSN_INSM_8argumentILj0EEEEENSM_5valueIsEEEEEEEEEEEE10hipError_tPvRmT3_T4_T5_T6_T7_T9_mT8_P12ihipStream_tbDpT10_ENKUlT_T0_E_clISt17integral_constantIbLb1EES1K_EEDaS1F_S1G_EUlS1F_E_NS1_11comp_targetILNS1_3genE3ELNS1_11target_archE908ELNS1_3gpuE7ELNS1_3repE0EEENS1_30default_config_static_selectorELNS0_4arch9wavefront6targetE0EEEvT1_,comdat
.Lfunc_end255:
	.size	_ZN7rocprim17ROCPRIM_400000_NS6detail17trampoline_kernelINS0_14default_configENS1_25partition_config_selectorILNS1_17partition_subalgoE6EsNS0_10empty_typeEbEEZZNS1_14partition_implILS5_6ELb0ES3_mN6thrust23THRUST_200600_302600_NS6detail15normal_iteratorINSA_10device_ptrIsEEEEPS6_SG_NS0_5tupleIJSF_S6_EEENSH_IJSG_SG_EEES6_PlJNSB_9not_fun_tINSB_10functional5actorINSM_9compositeIJNSM_27transparent_binary_operatorINSA_8equal_toIvEEEENSN_INSM_8argumentILj0EEEEENSM_5valueIsEEEEEEEEEEEE10hipError_tPvRmT3_T4_T5_T6_T7_T9_mT8_P12ihipStream_tbDpT10_ENKUlT_T0_E_clISt17integral_constantIbLb1EES1K_EEDaS1F_S1G_EUlS1F_E_NS1_11comp_targetILNS1_3genE3ELNS1_11target_archE908ELNS1_3gpuE7ELNS1_3repE0EEENS1_30default_config_static_selectorELNS0_4arch9wavefront6targetE0EEEvT1_, .Lfunc_end255-_ZN7rocprim17ROCPRIM_400000_NS6detail17trampoline_kernelINS0_14default_configENS1_25partition_config_selectorILNS1_17partition_subalgoE6EsNS0_10empty_typeEbEEZZNS1_14partition_implILS5_6ELb0ES3_mN6thrust23THRUST_200600_302600_NS6detail15normal_iteratorINSA_10device_ptrIsEEEEPS6_SG_NS0_5tupleIJSF_S6_EEENSH_IJSG_SG_EEES6_PlJNSB_9not_fun_tINSB_10functional5actorINSM_9compositeIJNSM_27transparent_binary_operatorINSA_8equal_toIvEEEENSN_INSM_8argumentILj0EEEEENSM_5valueIsEEEEEEEEEEEE10hipError_tPvRmT3_T4_T5_T6_T7_T9_mT8_P12ihipStream_tbDpT10_ENKUlT_T0_E_clISt17integral_constantIbLb1EES1K_EEDaS1F_S1G_EUlS1F_E_NS1_11comp_targetILNS1_3genE3ELNS1_11target_archE908ELNS1_3gpuE7ELNS1_3repE0EEENS1_30default_config_static_selectorELNS0_4arch9wavefront6targetE0EEEvT1_
                                        ; -- End function
	.set _ZN7rocprim17ROCPRIM_400000_NS6detail17trampoline_kernelINS0_14default_configENS1_25partition_config_selectorILNS1_17partition_subalgoE6EsNS0_10empty_typeEbEEZZNS1_14partition_implILS5_6ELb0ES3_mN6thrust23THRUST_200600_302600_NS6detail15normal_iteratorINSA_10device_ptrIsEEEEPS6_SG_NS0_5tupleIJSF_S6_EEENSH_IJSG_SG_EEES6_PlJNSB_9not_fun_tINSB_10functional5actorINSM_9compositeIJNSM_27transparent_binary_operatorINSA_8equal_toIvEEEENSN_INSM_8argumentILj0EEEEENSM_5valueIsEEEEEEEEEEEE10hipError_tPvRmT3_T4_T5_T6_T7_T9_mT8_P12ihipStream_tbDpT10_ENKUlT_T0_E_clISt17integral_constantIbLb1EES1K_EEDaS1F_S1G_EUlS1F_E_NS1_11comp_targetILNS1_3genE3ELNS1_11target_archE908ELNS1_3gpuE7ELNS1_3repE0EEENS1_30default_config_static_selectorELNS0_4arch9wavefront6targetE0EEEvT1_.num_vgpr, 0
	.set _ZN7rocprim17ROCPRIM_400000_NS6detail17trampoline_kernelINS0_14default_configENS1_25partition_config_selectorILNS1_17partition_subalgoE6EsNS0_10empty_typeEbEEZZNS1_14partition_implILS5_6ELb0ES3_mN6thrust23THRUST_200600_302600_NS6detail15normal_iteratorINSA_10device_ptrIsEEEEPS6_SG_NS0_5tupleIJSF_S6_EEENSH_IJSG_SG_EEES6_PlJNSB_9not_fun_tINSB_10functional5actorINSM_9compositeIJNSM_27transparent_binary_operatorINSA_8equal_toIvEEEENSN_INSM_8argumentILj0EEEEENSM_5valueIsEEEEEEEEEEEE10hipError_tPvRmT3_T4_T5_T6_T7_T9_mT8_P12ihipStream_tbDpT10_ENKUlT_T0_E_clISt17integral_constantIbLb1EES1K_EEDaS1F_S1G_EUlS1F_E_NS1_11comp_targetILNS1_3genE3ELNS1_11target_archE908ELNS1_3gpuE7ELNS1_3repE0EEENS1_30default_config_static_selectorELNS0_4arch9wavefront6targetE0EEEvT1_.num_agpr, 0
	.set _ZN7rocprim17ROCPRIM_400000_NS6detail17trampoline_kernelINS0_14default_configENS1_25partition_config_selectorILNS1_17partition_subalgoE6EsNS0_10empty_typeEbEEZZNS1_14partition_implILS5_6ELb0ES3_mN6thrust23THRUST_200600_302600_NS6detail15normal_iteratorINSA_10device_ptrIsEEEEPS6_SG_NS0_5tupleIJSF_S6_EEENSH_IJSG_SG_EEES6_PlJNSB_9not_fun_tINSB_10functional5actorINSM_9compositeIJNSM_27transparent_binary_operatorINSA_8equal_toIvEEEENSN_INSM_8argumentILj0EEEEENSM_5valueIsEEEEEEEEEEEE10hipError_tPvRmT3_T4_T5_T6_T7_T9_mT8_P12ihipStream_tbDpT10_ENKUlT_T0_E_clISt17integral_constantIbLb1EES1K_EEDaS1F_S1G_EUlS1F_E_NS1_11comp_targetILNS1_3genE3ELNS1_11target_archE908ELNS1_3gpuE7ELNS1_3repE0EEENS1_30default_config_static_selectorELNS0_4arch9wavefront6targetE0EEEvT1_.numbered_sgpr, 0
	.set _ZN7rocprim17ROCPRIM_400000_NS6detail17trampoline_kernelINS0_14default_configENS1_25partition_config_selectorILNS1_17partition_subalgoE6EsNS0_10empty_typeEbEEZZNS1_14partition_implILS5_6ELb0ES3_mN6thrust23THRUST_200600_302600_NS6detail15normal_iteratorINSA_10device_ptrIsEEEEPS6_SG_NS0_5tupleIJSF_S6_EEENSH_IJSG_SG_EEES6_PlJNSB_9not_fun_tINSB_10functional5actorINSM_9compositeIJNSM_27transparent_binary_operatorINSA_8equal_toIvEEEENSN_INSM_8argumentILj0EEEEENSM_5valueIsEEEEEEEEEEEE10hipError_tPvRmT3_T4_T5_T6_T7_T9_mT8_P12ihipStream_tbDpT10_ENKUlT_T0_E_clISt17integral_constantIbLb1EES1K_EEDaS1F_S1G_EUlS1F_E_NS1_11comp_targetILNS1_3genE3ELNS1_11target_archE908ELNS1_3gpuE7ELNS1_3repE0EEENS1_30default_config_static_selectorELNS0_4arch9wavefront6targetE0EEEvT1_.num_named_barrier, 0
	.set _ZN7rocprim17ROCPRIM_400000_NS6detail17trampoline_kernelINS0_14default_configENS1_25partition_config_selectorILNS1_17partition_subalgoE6EsNS0_10empty_typeEbEEZZNS1_14partition_implILS5_6ELb0ES3_mN6thrust23THRUST_200600_302600_NS6detail15normal_iteratorINSA_10device_ptrIsEEEEPS6_SG_NS0_5tupleIJSF_S6_EEENSH_IJSG_SG_EEES6_PlJNSB_9not_fun_tINSB_10functional5actorINSM_9compositeIJNSM_27transparent_binary_operatorINSA_8equal_toIvEEEENSN_INSM_8argumentILj0EEEEENSM_5valueIsEEEEEEEEEEEE10hipError_tPvRmT3_T4_T5_T6_T7_T9_mT8_P12ihipStream_tbDpT10_ENKUlT_T0_E_clISt17integral_constantIbLb1EES1K_EEDaS1F_S1G_EUlS1F_E_NS1_11comp_targetILNS1_3genE3ELNS1_11target_archE908ELNS1_3gpuE7ELNS1_3repE0EEENS1_30default_config_static_selectorELNS0_4arch9wavefront6targetE0EEEvT1_.private_seg_size, 0
	.set _ZN7rocprim17ROCPRIM_400000_NS6detail17trampoline_kernelINS0_14default_configENS1_25partition_config_selectorILNS1_17partition_subalgoE6EsNS0_10empty_typeEbEEZZNS1_14partition_implILS5_6ELb0ES3_mN6thrust23THRUST_200600_302600_NS6detail15normal_iteratorINSA_10device_ptrIsEEEEPS6_SG_NS0_5tupleIJSF_S6_EEENSH_IJSG_SG_EEES6_PlJNSB_9not_fun_tINSB_10functional5actorINSM_9compositeIJNSM_27transparent_binary_operatorINSA_8equal_toIvEEEENSN_INSM_8argumentILj0EEEEENSM_5valueIsEEEEEEEEEEEE10hipError_tPvRmT3_T4_T5_T6_T7_T9_mT8_P12ihipStream_tbDpT10_ENKUlT_T0_E_clISt17integral_constantIbLb1EES1K_EEDaS1F_S1G_EUlS1F_E_NS1_11comp_targetILNS1_3genE3ELNS1_11target_archE908ELNS1_3gpuE7ELNS1_3repE0EEENS1_30default_config_static_selectorELNS0_4arch9wavefront6targetE0EEEvT1_.uses_vcc, 0
	.set _ZN7rocprim17ROCPRIM_400000_NS6detail17trampoline_kernelINS0_14default_configENS1_25partition_config_selectorILNS1_17partition_subalgoE6EsNS0_10empty_typeEbEEZZNS1_14partition_implILS5_6ELb0ES3_mN6thrust23THRUST_200600_302600_NS6detail15normal_iteratorINSA_10device_ptrIsEEEEPS6_SG_NS0_5tupleIJSF_S6_EEENSH_IJSG_SG_EEES6_PlJNSB_9not_fun_tINSB_10functional5actorINSM_9compositeIJNSM_27transparent_binary_operatorINSA_8equal_toIvEEEENSN_INSM_8argumentILj0EEEEENSM_5valueIsEEEEEEEEEEEE10hipError_tPvRmT3_T4_T5_T6_T7_T9_mT8_P12ihipStream_tbDpT10_ENKUlT_T0_E_clISt17integral_constantIbLb1EES1K_EEDaS1F_S1G_EUlS1F_E_NS1_11comp_targetILNS1_3genE3ELNS1_11target_archE908ELNS1_3gpuE7ELNS1_3repE0EEENS1_30default_config_static_selectorELNS0_4arch9wavefront6targetE0EEEvT1_.uses_flat_scratch, 0
	.set _ZN7rocprim17ROCPRIM_400000_NS6detail17trampoline_kernelINS0_14default_configENS1_25partition_config_selectorILNS1_17partition_subalgoE6EsNS0_10empty_typeEbEEZZNS1_14partition_implILS5_6ELb0ES3_mN6thrust23THRUST_200600_302600_NS6detail15normal_iteratorINSA_10device_ptrIsEEEEPS6_SG_NS0_5tupleIJSF_S6_EEENSH_IJSG_SG_EEES6_PlJNSB_9not_fun_tINSB_10functional5actorINSM_9compositeIJNSM_27transparent_binary_operatorINSA_8equal_toIvEEEENSN_INSM_8argumentILj0EEEEENSM_5valueIsEEEEEEEEEEEE10hipError_tPvRmT3_T4_T5_T6_T7_T9_mT8_P12ihipStream_tbDpT10_ENKUlT_T0_E_clISt17integral_constantIbLb1EES1K_EEDaS1F_S1G_EUlS1F_E_NS1_11comp_targetILNS1_3genE3ELNS1_11target_archE908ELNS1_3gpuE7ELNS1_3repE0EEENS1_30default_config_static_selectorELNS0_4arch9wavefront6targetE0EEEvT1_.has_dyn_sized_stack, 0
	.set _ZN7rocprim17ROCPRIM_400000_NS6detail17trampoline_kernelINS0_14default_configENS1_25partition_config_selectorILNS1_17partition_subalgoE6EsNS0_10empty_typeEbEEZZNS1_14partition_implILS5_6ELb0ES3_mN6thrust23THRUST_200600_302600_NS6detail15normal_iteratorINSA_10device_ptrIsEEEEPS6_SG_NS0_5tupleIJSF_S6_EEENSH_IJSG_SG_EEES6_PlJNSB_9not_fun_tINSB_10functional5actorINSM_9compositeIJNSM_27transparent_binary_operatorINSA_8equal_toIvEEEENSN_INSM_8argumentILj0EEEEENSM_5valueIsEEEEEEEEEEEE10hipError_tPvRmT3_T4_T5_T6_T7_T9_mT8_P12ihipStream_tbDpT10_ENKUlT_T0_E_clISt17integral_constantIbLb1EES1K_EEDaS1F_S1G_EUlS1F_E_NS1_11comp_targetILNS1_3genE3ELNS1_11target_archE908ELNS1_3gpuE7ELNS1_3repE0EEENS1_30default_config_static_selectorELNS0_4arch9wavefront6targetE0EEEvT1_.has_recursion, 0
	.set _ZN7rocprim17ROCPRIM_400000_NS6detail17trampoline_kernelINS0_14default_configENS1_25partition_config_selectorILNS1_17partition_subalgoE6EsNS0_10empty_typeEbEEZZNS1_14partition_implILS5_6ELb0ES3_mN6thrust23THRUST_200600_302600_NS6detail15normal_iteratorINSA_10device_ptrIsEEEEPS6_SG_NS0_5tupleIJSF_S6_EEENSH_IJSG_SG_EEES6_PlJNSB_9not_fun_tINSB_10functional5actorINSM_9compositeIJNSM_27transparent_binary_operatorINSA_8equal_toIvEEEENSN_INSM_8argumentILj0EEEEENSM_5valueIsEEEEEEEEEEEE10hipError_tPvRmT3_T4_T5_T6_T7_T9_mT8_P12ihipStream_tbDpT10_ENKUlT_T0_E_clISt17integral_constantIbLb1EES1K_EEDaS1F_S1G_EUlS1F_E_NS1_11comp_targetILNS1_3genE3ELNS1_11target_archE908ELNS1_3gpuE7ELNS1_3repE0EEENS1_30default_config_static_selectorELNS0_4arch9wavefront6targetE0EEEvT1_.has_indirect_call, 0
	.section	.AMDGPU.csdata,"",@progbits
; Kernel info:
; codeLenInByte = 0
; TotalNumSgprs: 0
; NumVgprs: 0
; ScratchSize: 0
; MemoryBound: 0
; FloatMode: 240
; IeeeMode: 1
; LDSByteSize: 0 bytes/workgroup (compile time only)
; SGPRBlocks: 0
; VGPRBlocks: 0
; NumSGPRsForWavesPerEU: 1
; NumVGPRsForWavesPerEU: 1
; Occupancy: 16
; WaveLimiterHint : 0
; COMPUTE_PGM_RSRC2:SCRATCH_EN: 0
; COMPUTE_PGM_RSRC2:USER_SGPR: 2
; COMPUTE_PGM_RSRC2:TRAP_HANDLER: 0
; COMPUTE_PGM_RSRC2:TGID_X_EN: 1
; COMPUTE_PGM_RSRC2:TGID_Y_EN: 0
; COMPUTE_PGM_RSRC2:TGID_Z_EN: 0
; COMPUTE_PGM_RSRC2:TIDIG_COMP_CNT: 0
	.section	.text._ZN7rocprim17ROCPRIM_400000_NS6detail17trampoline_kernelINS0_14default_configENS1_25partition_config_selectorILNS1_17partition_subalgoE6EsNS0_10empty_typeEbEEZZNS1_14partition_implILS5_6ELb0ES3_mN6thrust23THRUST_200600_302600_NS6detail15normal_iteratorINSA_10device_ptrIsEEEEPS6_SG_NS0_5tupleIJSF_S6_EEENSH_IJSG_SG_EEES6_PlJNSB_9not_fun_tINSB_10functional5actorINSM_9compositeIJNSM_27transparent_binary_operatorINSA_8equal_toIvEEEENSN_INSM_8argumentILj0EEEEENSM_5valueIsEEEEEEEEEEEE10hipError_tPvRmT3_T4_T5_T6_T7_T9_mT8_P12ihipStream_tbDpT10_ENKUlT_T0_E_clISt17integral_constantIbLb1EES1K_EEDaS1F_S1G_EUlS1F_E_NS1_11comp_targetILNS1_3genE2ELNS1_11target_archE906ELNS1_3gpuE6ELNS1_3repE0EEENS1_30default_config_static_selectorELNS0_4arch9wavefront6targetE0EEEvT1_,"axG",@progbits,_ZN7rocprim17ROCPRIM_400000_NS6detail17trampoline_kernelINS0_14default_configENS1_25partition_config_selectorILNS1_17partition_subalgoE6EsNS0_10empty_typeEbEEZZNS1_14partition_implILS5_6ELb0ES3_mN6thrust23THRUST_200600_302600_NS6detail15normal_iteratorINSA_10device_ptrIsEEEEPS6_SG_NS0_5tupleIJSF_S6_EEENSH_IJSG_SG_EEES6_PlJNSB_9not_fun_tINSB_10functional5actorINSM_9compositeIJNSM_27transparent_binary_operatorINSA_8equal_toIvEEEENSN_INSM_8argumentILj0EEEEENSM_5valueIsEEEEEEEEEEEE10hipError_tPvRmT3_T4_T5_T6_T7_T9_mT8_P12ihipStream_tbDpT10_ENKUlT_T0_E_clISt17integral_constantIbLb1EES1K_EEDaS1F_S1G_EUlS1F_E_NS1_11comp_targetILNS1_3genE2ELNS1_11target_archE906ELNS1_3gpuE6ELNS1_3repE0EEENS1_30default_config_static_selectorELNS0_4arch9wavefront6targetE0EEEvT1_,comdat
	.protected	_ZN7rocprim17ROCPRIM_400000_NS6detail17trampoline_kernelINS0_14default_configENS1_25partition_config_selectorILNS1_17partition_subalgoE6EsNS0_10empty_typeEbEEZZNS1_14partition_implILS5_6ELb0ES3_mN6thrust23THRUST_200600_302600_NS6detail15normal_iteratorINSA_10device_ptrIsEEEEPS6_SG_NS0_5tupleIJSF_S6_EEENSH_IJSG_SG_EEES6_PlJNSB_9not_fun_tINSB_10functional5actorINSM_9compositeIJNSM_27transparent_binary_operatorINSA_8equal_toIvEEEENSN_INSM_8argumentILj0EEEEENSM_5valueIsEEEEEEEEEEEE10hipError_tPvRmT3_T4_T5_T6_T7_T9_mT8_P12ihipStream_tbDpT10_ENKUlT_T0_E_clISt17integral_constantIbLb1EES1K_EEDaS1F_S1G_EUlS1F_E_NS1_11comp_targetILNS1_3genE2ELNS1_11target_archE906ELNS1_3gpuE6ELNS1_3repE0EEENS1_30default_config_static_selectorELNS0_4arch9wavefront6targetE0EEEvT1_ ; -- Begin function _ZN7rocprim17ROCPRIM_400000_NS6detail17trampoline_kernelINS0_14default_configENS1_25partition_config_selectorILNS1_17partition_subalgoE6EsNS0_10empty_typeEbEEZZNS1_14partition_implILS5_6ELb0ES3_mN6thrust23THRUST_200600_302600_NS6detail15normal_iteratorINSA_10device_ptrIsEEEEPS6_SG_NS0_5tupleIJSF_S6_EEENSH_IJSG_SG_EEES6_PlJNSB_9not_fun_tINSB_10functional5actorINSM_9compositeIJNSM_27transparent_binary_operatorINSA_8equal_toIvEEEENSN_INSM_8argumentILj0EEEEENSM_5valueIsEEEEEEEEEEEE10hipError_tPvRmT3_T4_T5_T6_T7_T9_mT8_P12ihipStream_tbDpT10_ENKUlT_T0_E_clISt17integral_constantIbLb1EES1K_EEDaS1F_S1G_EUlS1F_E_NS1_11comp_targetILNS1_3genE2ELNS1_11target_archE906ELNS1_3gpuE6ELNS1_3repE0EEENS1_30default_config_static_selectorELNS0_4arch9wavefront6targetE0EEEvT1_
	.globl	_ZN7rocprim17ROCPRIM_400000_NS6detail17trampoline_kernelINS0_14default_configENS1_25partition_config_selectorILNS1_17partition_subalgoE6EsNS0_10empty_typeEbEEZZNS1_14partition_implILS5_6ELb0ES3_mN6thrust23THRUST_200600_302600_NS6detail15normal_iteratorINSA_10device_ptrIsEEEEPS6_SG_NS0_5tupleIJSF_S6_EEENSH_IJSG_SG_EEES6_PlJNSB_9not_fun_tINSB_10functional5actorINSM_9compositeIJNSM_27transparent_binary_operatorINSA_8equal_toIvEEEENSN_INSM_8argumentILj0EEEEENSM_5valueIsEEEEEEEEEEEE10hipError_tPvRmT3_T4_T5_T6_T7_T9_mT8_P12ihipStream_tbDpT10_ENKUlT_T0_E_clISt17integral_constantIbLb1EES1K_EEDaS1F_S1G_EUlS1F_E_NS1_11comp_targetILNS1_3genE2ELNS1_11target_archE906ELNS1_3gpuE6ELNS1_3repE0EEENS1_30default_config_static_selectorELNS0_4arch9wavefront6targetE0EEEvT1_
	.p2align	8
	.type	_ZN7rocprim17ROCPRIM_400000_NS6detail17trampoline_kernelINS0_14default_configENS1_25partition_config_selectorILNS1_17partition_subalgoE6EsNS0_10empty_typeEbEEZZNS1_14partition_implILS5_6ELb0ES3_mN6thrust23THRUST_200600_302600_NS6detail15normal_iteratorINSA_10device_ptrIsEEEEPS6_SG_NS0_5tupleIJSF_S6_EEENSH_IJSG_SG_EEES6_PlJNSB_9not_fun_tINSB_10functional5actorINSM_9compositeIJNSM_27transparent_binary_operatorINSA_8equal_toIvEEEENSN_INSM_8argumentILj0EEEEENSM_5valueIsEEEEEEEEEEEE10hipError_tPvRmT3_T4_T5_T6_T7_T9_mT8_P12ihipStream_tbDpT10_ENKUlT_T0_E_clISt17integral_constantIbLb1EES1K_EEDaS1F_S1G_EUlS1F_E_NS1_11comp_targetILNS1_3genE2ELNS1_11target_archE906ELNS1_3gpuE6ELNS1_3repE0EEENS1_30default_config_static_selectorELNS0_4arch9wavefront6targetE0EEEvT1_,@function
_ZN7rocprim17ROCPRIM_400000_NS6detail17trampoline_kernelINS0_14default_configENS1_25partition_config_selectorILNS1_17partition_subalgoE6EsNS0_10empty_typeEbEEZZNS1_14partition_implILS5_6ELb0ES3_mN6thrust23THRUST_200600_302600_NS6detail15normal_iteratorINSA_10device_ptrIsEEEEPS6_SG_NS0_5tupleIJSF_S6_EEENSH_IJSG_SG_EEES6_PlJNSB_9not_fun_tINSB_10functional5actorINSM_9compositeIJNSM_27transparent_binary_operatorINSA_8equal_toIvEEEENSN_INSM_8argumentILj0EEEEENSM_5valueIsEEEEEEEEEEEE10hipError_tPvRmT3_T4_T5_T6_T7_T9_mT8_P12ihipStream_tbDpT10_ENKUlT_T0_E_clISt17integral_constantIbLb1EES1K_EEDaS1F_S1G_EUlS1F_E_NS1_11comp_targetILNS1_3genE2ELNS1_11target_archE906ELNS1_3gpuE6ELNS1_3repE0EEENS1_30default_config_static_selectorELNS0_4arch9wavefront6targetE0EEEvT1_: ; @_ZN7rocprim17ROCPRIM_400000_NS6detail17trampoline_kernelINS0_14default_configENS1_25partition_config_selectorILNS1_17partition_subalgoE6EsNS0_10empty_typeEbEEZZNS1_14partition_implILS5_6ELb0ES3_mN6thrust23THRUST_200600_302600_NS6detail15normal_iteratorINSA_10device_ptrIsEEEEPS6_SG_NS0_5tupleIJSF_S6_EEENSH_IJSG_SG_EEES6_PlJNSB_9not_fun_tINSB_10functional5actorINSM_9compositeIJNSM_27transparent_binary_operatorINSA_8equal_toIvEEEENSN_INSM_8argumentILj0EEEEENSM_5valueIsEEEEEEEEEEEE10hipError_tPvRmT3_T4_T5_T6_T7_T9_mT8_P12ihipStream_tbDpT10_ENKUlT_T0_E_clISt17integral_constantIbLb1EES1K_EEDaS1F_S1G_EUlS1F_E_NS1_11comp_targetILNS1_3genE2ELNS1_11target_archE906ELNS1_3gpuE6ELNS1_3repE0EEENS1_30default_config_static_selectorELNS0_4arch9wavefront6targetE0EEEvT1_
; %bb.0:
	.section	.rodata,"a",@progbits
	.p2align	6, 0x0
	.amdhsa_kernel _ZN7rocprim17ROCPRIM_400000_NS6detail17trampoline_kernelINS0_14default_configENS1_25partition_config_selectorILNS1_17partition_subalgoE6EsNS0_10empty_typeEbEEZZNS1_14partition_implILS5_6ELb0ES3_mN6thrust23THRUST_200600_302600_NS6detail15normal_iteratorINSA_10device_ptrIsEEEEPS6_SG_NS0_5tupleIJSF_S6_EEENSH_IJSG_SG_EEES6_PlJNSB_9not_fun_tINSB_10functional5actorINSM_9compositeIJNSM_27transparent_binary_operatorINSA_8equal_toIvEEEENSN_INSM_8argumentILj0EEEEENSM_5valueIsEEEEEEEEEEEE10hipError_tPvRmT3_T4_T5_T6_T7_T9_mT8_P12ihipStream_tbDpT10_ENKUlT_T0_E_clISt17integral_constantIbLb1EES1K_EEDaS1F_S1G_EUlS1F_E_NS1_11comp_targetILNS1_3genE2ELNS1_11target_archE906ELNS1_3gpuE6ELNS1_3repE0EEENS1_30default_config_static_selectorELNS0_4arch9wavefront6targetE0EEEvT1_
		.amdhsa_group_segment_fixed_size 0
		.amdhsa_private_segment_fixed_size 0
		.amdhsa_kernarg_size 128
		.amdhsa_user_sgpr_count 2
		.amdhsa_user_sgpr_dispatch_ptr 0
		.amdhsa_user_sgpr_queue_ptr 0
		.amdhsa_user_sgpr_kernarg_segment_ptr 1
		.amdhsa_user_sgpr_dispatch_id 0
		.amdhsa_user_sgpr_private_segment_size 0
		.amdhsa_wavefront_size32 1
		.amdhsa_uses_dynamic_stack 0
		.amdhsa_enable_private_segment 0
		.amdhsa_system_sgpr_workgroup_id_x 1
		.amdhsa_system_sgpr_workgroup_id_y 0
		.amdhsa_system_sgpr_workgroup_id_z 0
		.amdhsa_system_sgpr_workgroup_info 0
		.amdhsa_system_vgpr_workitem_id 0
		.amdhsa_next_free_vgpr 1
		.amdhsa_next_free_sgpr 1
		.amdhsa_reserve_vcc 0
		.amdhsa_float_round_mode_32 0
		.amdhsa_float_round_mode_16_64 0
		.amdhsa_float_denorm_mode_32 3
		.amdhsa_float_denorm_mode_16_64 3
		.amdhsa_fp16_overflow 0
		.amdhsa_workgroup_processor_mode 1
		.amdhsa_memory_ordered 1
		.amdhsa_forward_progress 1
		.amdhsa_inst_pref_size 0
		.amdhsa_round_robin_scheduling 0
		.amdhsa_exception_fp_ieee_invalid_op 0
		.amdhsa_exception_fp_denorm_src 0
		.amdhsa_exception_fp_ieee_div_zero 0
		.amdhsa_exception_fp_ieee_overflow 0
		.amdhsa_exception_fp_ieee_underflow 0
		.amdhsa_exception_fp_ieee_inexact 0
		.amdhsa_exception_int_div_zero 0
	.end_amdhsa_kernel
	.section	.text._ZN7rocprim17ROCPRIM_400000_NS6detail17trampoline_kernelINS0_14default_configENS1_25partition_config_selectorILNS1_17partition_subalgoE6EsNS0_10empty_typeEbEEZZNS1_14partition_implILS5_6ELb0ES3_mN6thrust23THRUST_200600_302600_NS6detail15normal_iteratorINSA_10device_ptrIsEEEEPS6_SG_NS0_5tupleIJSF_S6_EEENSH_IJSG_SG_EEES6_PlJNSB_9not_fun_tINSB_10functional5actorINSM_9compositeIJNSM_27transparent_binary_operatorINSA_8equal_toIvEEEENSN_INSM_8argumentILj0EEEEENSM_5valueIsEEEEEEEEEEEE10hipError_tPvRmT3_T4_T5_T6_T7_T9_mT8_P12ihipStream_tbDpT10_ENKUlT_T0_E_clISt17integral_constantIbLb1EES1K_EEDaS1F_S1G_EUlS1F_E_NS1_11comp_targetILNS1_3genE2ELNS1_11target_archE906ELNS1_3gpuE6ELNS1_3repE0EEENS1_30default_config_static_selectorELNS0_4arch9wavefront6targetE0EEEvT1_,"axG",@progbits,_ZN7rocprim17ROCPRIM_400000_NS6detail17trampoline_kernelINS0_14default_configENS1_25partition_config_selectorILNS1_17partition_subalgoE6EsNS0_10empty_typeEbEEZZNS1_14partition_implILS5_6ELb0ES3_mN6thrust23THRUST_200600_302600_NS6detail15normal_iteratorINSA_10device_ptrIsEEEEPS6_SG_NS0_5tupleIJSF_S6_EEENSH_IJSG_SG_EEES6_PlJNSB_9not_fun_tINSB_10functional5actorINSM_9compositeIJNSM_27transparent_binary_operatorINSA_8equal_toIvEEEENSN_INSM_8argumentILj0EEEEENSM_5valueIsEEEEEEEEEEEE10hipError_tPvRmT3_T4_T5_T6_T7_T9_mT8_P12ihipStream_tbDpT10_ENKUlT_T0_E_clISt17integral_constantIbLb1EES1K_EEDaS1F_S1G_EUlS1F_E_NS1_11comp_targetILNS1_3genE2ELNS1_11target_archE906ELNS1_3gpuE6ELNS1_3repE0EEENS1_30default_config_static_selectorELNS0_4arch9wavefront6targetE0EEEvT1_,comdat
.Lfunc_end256:
	.size	_ZN7rocprim17ROCPRIM_400000_NS6detail17trampoline_kernelINS0_14default_configENS1_25partition_config_selectorILNS1_17partition_subalgoE6EsNS0_10empty_typeEbEEZZNS1_14partition_implILS5_6ELb0ES3_mN6thrust23THRUST_200600_302600_NS6detail15normal_iteratorINSA_10device_ptrIsEEEEPS6_SG_NS0_5tupleIJSF_S6_EEENSH_IJSG_SG_EEES6_PlJNSB_9not_fun_tINSB_10functional5actorINSM_9compositeIJNSM_27transparent_binary_operatorINSA_8equal_toIvEEEENSN_INSM_8argumentILj0EEEEENSM_5valueIsEEEEEEEEEEEE10hipError_tPvRmT3_T4_T5_T6_T7_T9_mT8_P12ihipStream_tbDpT10_ENKUlT_T0_E_clISt17integral_constantIbLb1EES1K_EEDaS1F_S1G_EUlS1F_E_NS1_11comp_targetILNS1_3genE2ELNS1_11target_archE906ELNS1_3gpuE6ELNS1_3repE0EEENS1_30default_config_static_selectorELNS0_4arch9wavefront6targetE0EEEvT1_, .Lfunc_end256-_ZN7rocprim17ROCPRIM_400000_NS6detail17trampoline_kernelINS0_14default_configENS1_25partition_config_selectorILNS1_17partition_subalgoE6EsNS0_10empty_typeEbEEZZNS1_14partition_implILS5_6ELb0ES3_mN6thrust23THRUST_200600_302600_NS6detail15normal_iteratorINSA_10device_ptrIsEEEEPS6_SG_NS0_5tupleIJSF_S6_EEENSH_IJSG_SG_EEES6_PlJNSB_9not_fun_tINSB_10functional5actorINSM_9compositeIJNSM_27transparent_binary_operatorINSA_8equal_toIvEEEENSN_INSM_8argumentILj0EEEEENSM_5valueIsEEEEEEEEEEEE10hipError_tPvRmT3_T4_T5_T6_T7_T9_mT8_P12ihipStream_tbDpT10_ENKUlT_T0_E_clISt17integral_constantIbLb1EES1K_EEDaS1F_S1G_EUlS1F_E_NS1_11comp_targetILNS1_3genE2ELNS1_11target_archE906ELNS1_3gpuE6ELNS1_3repE0EEENS1_30default_config_static_selectorELNS0_4arch9wavefront6targetE0EEEvT1_
                                        ; -- End function
	.set _ZN7rocprim17ROCPRIM_400000_NS6detail17trampoline_kernelINS0_14default_configENS1_25partition_config_selectorILNS1_17partition_subalgoE6EsNS0_10empty_typeEbEEZZNS1_14partition_implILS5_6ELb0ES3_mN6thrust23THRUST_200600_302600_NS6detail15normal_iteratorINSA_10device_ptrIsEEEEPS6_SG_NS0_5tupleIJSF_S6_EEENSH_IJSG_SG_EEES6_PlJNSB_9not_fun_tINSB_10functional5actorINSM_9compositeIJNSM_27transparent_binary_operatorINSA_8equal_toIvEEEENSN_INSM_8argumentILj0EEEEENSM_5valueIsEEEEEEEEEEEE10hipError_tPvRmT3_T4_T5_T6_T7_T9_mT8_P12ihipStream_tbDpT10_ENKUlT_T0_E_clISt17integral_constantIbLb1EES1K_EEDaS1F_S1G_EUlS1F_E_NS1_11comp_targetILNS1_3genE2ELNS1_11target_archE906ELNS1_3gpuE6ELNS1_3repE0EEENS1_30default_config_static_selectorELNS0_4arch9wavefront6targetE0EEEvT1_.num_vgpr, 0
	.set _ZN7rocprim17ROCPRIM_400000_NS6detail17trampoline_kernelINS0_14default_configENS1_25partition_config_selectorILNS1_17partition_subalgoE6EsNS0_10empty_typeEbEEZZNS1_14partition_implILS5_6ELb0ES3_mN6thrust23THRUST_200600_302600_NS6detail15normal_iteratorINSA_10device_ptrIsEEEEPS6_SG_NS0_5tupleIJSF_S6_EEENSH_IJSG_SG_EEES6_PlJNSB_9not_fun_tINSB_10functional5actorINSM_9compositeIJNSM_27transparent_binary_operatorINSA_8equal_toIvEEEENSN_INSM_8argumentILj0EEEEENSM_5valueIsEEEEEEEEEEEE10hipError_tPvRmT3_T4_T5_T6_T7_T9_mT8_P12ihipStream_tbDpT10_ENKUlT_T0_E_clISt17integral_constantIbLb1EES1K_EEDaS1F_S1G_EUlS1F_E_NS1_11comp_targetILNS1_3genE2ELNS1_11target_archE906ELNS1_3gpuE6ELNS1_3repE0EEENS1_30default_config_static_selectorELNS0_4arch9wavefront6targetE0EEEvT1_.num_agpr, 0
	.set _ZN7rocprim17ROCPRIM_400000_NS6detail17trampoline_kernelINS0_14default_configENS1_25partition_config_selectorILNS1_17partition_subalgoE6EsNS0_10empty_typeEbEEZZNS1_14partition_implILS5_6ELb0ES3_mN6thrust23THRUST_200600_302600_NS6detail15normal_iteratorINSA_10device_ptrIsEEEEPS6_SG_NS0_5tupleIJSF_S6_EEENSH_IJSG_SG_EEES6_PlJNSB_9not_fun_tINSB_10functional5actorINSM_9compositeIJNSM_27transparent_binary_operatorINSA_8equal_toIvEEEENSN_INSM_8argumentILj0EEEEENSM_5valueIsEEEEEEEEEEEE10hipError_tPvRmT3_T4_T5_T6_T7_T9_mT8_P12ihipStream_tbDpT10_ENKUlT_T0_E_clISt17integral_constantIbLb1EES1K_EEDaS1F_S1G_EUlS1F_E_NS1_11comp_targetILNS1_3genE2ELNS1_11target_archE906ELNS1_3gpuE6ELNS1_3repE0EEENS1_30default_config_static_selectorELNS0_4arch9wavefront6targetE0EEEvT1_.numbered_sgpr, 0
	.set _ZN7rocprim17ROCPRIM_400000_NS6detail17trampoline_kernelINS0_14default_configENS1_25partition_config_selectorILNS1_17partition_subalgoE6EsNS0_10empty_typeEbEEZZNS1_14partition_implILS5_6ELb0ES3_mN6thrust23THRUST_200600_302600_NS6detail15normal_iteratorINSA_10device_ptrIsEEEEPS6_SG_NS0_5tupleIJSF_S6_EEENSH_IJSG_SG_EEES6_PlJNSB_9not_fun_tINSB_10functional5actorINSM_9compositeIJNSM_27transparent_binary_operatorINSA_8equal_toIvEEEENSN_INSM_8argumentILj0EEEEENSM_5valueIsEEEEEEEEEEEE10hipError_tPvRmT3_T4_T5_T6_T7_T9_mT8_P12ihipStream_tbDpT10_ENKUlT_T0_E_clISt17integral_constantIbLb1EES1K_EEDaS1F_S1G_EUlS1F_E_NS1_11comp_targetILNS1_3genE2ELNS1_11target_archE906ELNS1_3gpuE6ELNS1_3repE0EEENS1_30default_config_static_selectorELNS0_4arch9wavefront6targetE0EEEvT1_.num_named_barrier, 0
	.set _ZN7rocprim17ROCPRIM_400000_NS6detail17trampoline_kernelINS0_14default_configENS1_25partition_config_selectorILNS1_17partition_subalgoE6EsNS0_10empty_typeEbEEZZNS1_14partition_implILS5_6ELb0ES3_mN6thrust23THRUST_200600_302600_NS6detail15normal_iteratorINSA_10device_ptrIsEEEEPS6_SG_NS0_5tupleIJSF_S6_EEENSH_IJSG_SG_EEES6_PlJNSB_9not_fun_tINSB_10functional5actorINSM_9compositeIJNSM_27transparent_binary_operatorINSA_8equal_toIvEEEENSN_INSM_8argumentILj0EEEEENSM_5valueIsEEEEEEEEEEEE10hipError_tPvRmT3_T4_T5_T6_T7_T9_mT8_P12ihipStream_tbDpT10_ENKUlT_T0_E_clISt17integral_constantIbLb1EES1K_EEDaS1F_S1G_EUlS1F_E_NS1_11comp_targetILNS1_3genE2ELNS1_11target_archE906ELNS1_3gpuE6ELNS1_3repE0EEENS1_30default_config_static_selectorELNS0_4arch9wavefront6targetE0EEEvT1_.private_seg_size, 0
	.set _ZN7rocprim17ROCPRIM_400000_NS6detail17trampoline_kernelINS0_14default_configENS1_25partition_config_selectorILNS1_17partition_subalgoE6EsNS0_10empty_typeEbEEZZNS1_14partition_implILS5_6ELb0ES3_mN6thrust23THRUST_200600_302600_NS6detail15normal_iteratorINSA_10device_ptrIsEEEEPS6_SG_NS0_5tupleIJSF_S6_EEENSH_IJSG_SG_EEES6_PlJNSB_9not_fun_tINSB_10functional5actorINSM_9compositeIJNSM_27transparent_binary_operatorINSA_8equal_toIvEEEENSN_INSM_8argumentILj0EEEEENSM_5valueIsEEEEEEEEEEEE10hipError_tPvRmT3_T4_T5_T6_T7_T9_mT8_P12ihipStream_tbDpT10_ENKUlT_T0_E_clISt17integral_constantIbLb1EES1K_EEDaS1F_S1G_EUlS1F_E_NS1_11comp_targetILNS1_3genE2ELNS1_11target_archE906ELNS1_3gpuE6ELNS1_3repE0EEENS1_30default_config_static_selectorELNS0_4arch9wavefront6targetE0EEEvT1_.uses_vcc, 0
	.set _ZN7rocprim17ROCPRIM_400000_NS6detail17trampoline_kernelINS0_14default_configENS1_25partition_config_selectorILNS1_17partition_subalgoE6EsNS0_10empty_typeEbEEZZNS1_14partition_implILS5_6ELb0ES3_mN6thrust23THRUST_200600_302600_NS6detail15normal_iteratorINSA_10device_ptrIsEEEEPS6_SG_NS0_5tupleIJSF_S6_EEENSH_IJSG_SG_EEES6_PlJNSB_9not_fun_tINSB_10functional5actorINSM_9compositeIJNSM_27transparent_binary_operatorINSA_8equal_toIvEEEENSN_INSM_8argumentILj0EEEEENSM_5valueIsEEEEEEEEEEEE10hipError_tPvRmT3_T4_T5_T6_T7_T9_mT8_P12ihipStream_tbDpT10_ENKUlT_T0_E_clISt17integral_constantIbLb1EES1K_EEDaS1F_S1G_EUlS1F_E_NS1_11comp_targetILNS1_3genE2ELNS1_11target_archE906ELNS1_3gpuE6ELNS1_3repE0EEENS1_30default_config_static_selectorELNS0_4arch9wavefront6targetE0EEEvT1_.uses_flat_scratch, 0
	.set _ZN7rocprim17ROCPRIM_400000_NS6detail17trampoline_kernelINS0_14default_configENS1_25partition_config_selectorILNS1_17partition_subalgoE6EsNS0_10empty_typeEbEEZZNS1_14partition_implILS5_6ELb0ES3_mN6thrust23THRUST_200600_302600_NS6detail15normal_iteratorINSA_10device_ptrIsEEEEPS6_SG_NS0_5tupleIJSF_S6_EEENSH_IJSG_SG_EEES6_PlJNSB_9not_fun_tINSB_10functional5actorINSM_9compositeIJNSM_27transparent_binary_operatorINSA_8equal_toIvEEEENSN_INSM_8argumentILj0EEEEENSM_5valueIsEEEEEEEEEEEE10hipError_tPvRmT3_T4_T5_T6_T7_T9_mT8_P12ihipStream_tbDpT10_ENKUlT_T0_E_clISt17integral_constantIbLb1EES1K_EEDaS1F_S1G_EUlS1F_E_NS1_11comp_targetILNS1_3genE2ELNS1_11target_archE906ELNS1_3gpuE6ELNS1_3repE0EEENS1_30default_config_static_selectorELNS0_4arch9wavefront6targetE0EEEvT1_.has_dyn_sized_stack, 0
	.set _ZN7rocprim17ROCPRIM_400000_NS6detail17trampoline_kernelINS0_14default_configENS1_25partition_config_selectorILNS1_17partition_subalgoE6EsNS0_10empty_typeEbEEZZNS1_14partition_implILS5_6ELb0ES3_mN6thrust23THRUST_200600_302600_NS6detail15normal_iteratorINSA_10device_ptrIsEEEEPS6_SG_NS0_5tupleIJSF_S6_EEENSH_IJSG_SG_EEES6_PlJNSB_9not_fun_tINSB_10functional5actorINSM_9compositeIJNSM_27transparent_binary_operatorINSA_8equal_toIvEEEENSN_INSM_8argumentILj0EEEEENSM_5valueIsEEEEEEEEEEEE10hipError_tPvRmT3_T4_T5_T6_T7_T9_mT8_P12ihipStream_tbDpT10_ENKUlT_T0_E_clISt17integral_constantIbLb1EES1K_EEDaS1F_S1G_EUlS1F_E_NS1_11comp_targetILNS1_3genE2ELNS1_11target_archE906ELNS1_3gpuE6ELNS1_3repE0EEENS1_30default_config_static_selectorELNS0_4arch9wavefront6targetE0EEEvT1_.has_recursion, 0
	.set _ZN7rocprim17ROCPRIM_400000_NS6detail17trampoline_kernelINS0_14default_configENS1_25partition_config_selectorILNS1_17partition_subalgoE6EsNS0_10empty_typeEbEEZZNS1_14partition_implILS5_6ELb0ES3_mN6thrust23THRUST_200600_302600_NS6detail15normal_iteratorINSA_10device_ptrIsEEEEPS6_SG_NS0_5tupleIJSF_S6_EEENSH_IJSG_SG_EEES6_PlJNSB_9not_fun_tINSB_10functional5actorINSM_9compositeIJNSM_27transparent_binary_operatorINSA_8equal_toIvEEEENSN_INSM_8argumentILj0EEEEENSM_5valueIsEEEEEEEEEEEE10hipError_tPvRmT3_T4_T5_T6_T7_T9_mT8_P12ihipStream_tbDpT10_ENKUlT_T0_E_clISt17integral_constantIbLb1EES1K_EEDaS1F_S1G_EUlS1F_E_NS1_11comp_targetILNS1_3genE2ELNS1_11target_archE906ELNS1_3gpuE6ELNS1_3repE0EEENS1_30default_config_static_selectorELNS0_4arch9wavefront6targetE0EEEvT1_.has_indirect_call, 0
	.section	.AMDGPU.csdata,"",@progbits
; Kernel info:
; codeLenInByte = 0
; TotalNumSgprs: 0
; NumVgprs: 0
; ScratchSize: 0
; MemoryBound: 0
; FloatMode: 240
; IeeeMode: 1
; LDSByteSize: 0 bytes/workgroup (compile time only)
; SGPRBlocks: 0
; VGPRBlocks: 0
; NumSGPRsForWavesPerEU: 1
; NumVGPRsForWavesPerEU: 1
; Occupancy: 16
; WaveLimiterHint : 0
; COMPUTE_PGM_RSRC2:SCRATCH_EN: 0
; COMPUTE_PGM_RSRC2:USER_SGPR: 2
; COMPUTE_PGM_RSRC2:TRAP_HANDLER: 0
; COMPUTE_PGM_RSRC2:TGID_X_EN: 1
; COMPUTE_PGM_RSRC2:TGID_Y_EN: 0
; COMPUTE_PGM_RSRC2:TGID_Z_EN: 0
; COMPUTE_PGM_RSRC2:TIDIG_COMP_CNT: 0
	.section	.text._ZN7rocprim17ROCPRIM_400000_NS6detail17trampoline_kernelINS0_14default_configENS1_25partition_config_selectorILNS1_17partition_subalgoE6EsNS0_10empty_typeEbEEZZNS1_14partition_implILS5_6ELb0ES3_mN6thrust23THRUST_200600_302600_NS6detail15normal_iteratorINSA_10device_ptrIsEEEEPS6_SG_NS0_5tupleIJSF_S6_EEENSH_IJSG_SG_EEES6_PlJNSB_9not_fun_tINSB_10functional5actorINSM_9compositeIJNSM_27transparent_binary_operatorINSA_8equal_toIvEEEENSN_INSM_8argumentILj0EEEEENSM_5valueIsEEEEEEEEEEEE10hipError_tPvRmT3_T4_T5_T6_T7_T9_mT8_P12ihipStream_tbDpT10_ENKUlT_T0_E_clISt17integral_constantIbLb1EES1K_EEDaS1F_S1G_EUlS1F_E_NS1_11comp_targetILNS1_3genE10ELNS1_11target_archE1200ELNS1_3gpuE4ELNS1_3repE0EEENS1_30default_config_static_selectorELNS0_4arch9wavefront6targetE0EEEvT1_,"axG",@progbits,_ZN7rocprim17ROCPRIM_400000_NS6detail17trampoline_kernelINS0_14default_configENS1_25partition_config_selectorILNS1_17partition_subalgoE6EsNS0_10empty_typeEbEEZZNS1_14partition_implILS5_6ELb0ES3_mN6thrust23THRUST_200600_302600_NS6detail15normal_iteratorINSA_10device_ptrIsEEEEPS6_SG_NS0_5tupleIJSF_S6_EEENSH_IJSG_SG_EEES6_PlJNSB_9not_fun_tINSB_10functional5actorINSM_9compositeIJNSM_27transparent_binary_operatorINSA_8equal_toIvEEEENSN_INSM_8argumentILj0EEEEENSM_5valueIsEEEEEEEEEEEE10hipError_tPvRmT3_T4_T5_T6_T7_T9_mT8_P12ihipStream_tbDpT10_ENKUlT_T0_E_clISt17integral_constantIbLb1EES1K_EEDaS1F_S1G_EUlS1F_E_NS1_11comp_targetILNS1_3genE10ELNS1_11target_archE1200ELNS1_3gpuE4ELNS1_3repE0EEENS1_30default_config_static_selectorELNS0_4arch9wavefront6targetE0EEEvT1_,comdat
	.protected	_ZN7rocprim17ROCPRIM_400000_NS6detail17trampoline_kernelINS0_14default_configENS1_25partition_config_selectorILNS1_17partition_subalgoE6EsNS0_10empty_typeEbEEZZNS1_14partition_implILS5_6ELb0ES3_mN6thrust23THRUST_200600_302600_NS6detail15normal_iteratorINSA_10device_ptrIsEEEEPS6_SG_NS0_5tupleIJSF_S6_EEENSH_IJSG_SG_EEES6_PlJNSB_9not_fun_tINSB_10functional5actorINSM_9compositeIJNSM_27transparent_binary_operatorINSA_8equal_toIvEEEENSN_INSM_8argumentILj0EEEEENSM_5valueIsEEEEEEEEEEEE10hipError_tPvRmT3_T4_T5_T6_T7_T9_mT8_P12ihipStream_tbDpT10_ENKUlT_T0_E_clISt17integral_constantIbLb1EES1K_EEDaS1F_S1G_EUlS1F_E_NS1_11comp_targetILNS1_3genE10ELNS1_11target_archE1200ELNS1_3gpuE4ELNS1_3repE0EEENS1_30default_config_static_selectorELNS0_4arch9wavefront6targetE0EEEvT1_ ; -- Begin function _ZN7rocprim17ROCPRIM_400000_NS6detail17trampoline_kernelINS0_14default_configENS1_25partition_config_selectorILNS1_17partition_subalgoE6EsNS0_10empty_typeEbEEZZNS1_14partition_implILS5_6ELb0ES3_mN6thrust23THRUST_200600_302600_NS6detail15normal_iteratorINSA_10device_ptrIsEEEEPS6_SG_NS0_5tupleIJSF_S6_EEENSH_IJSG_SG_EEES6_PlJNSB_9not_fun_tINSB_10functional5actorINSM_9compositeIJNSM_27transparent_binary_operatorINSA_8equal_toIvEEEENSN_INSM_8argumentILj0EEEEENSM_5valueIsEEEEEEEEEEEE10hipError_tPvRmT3_T4_T5_T6_T7_T9_mT8_P12ihipStream_tbDpT10_ENKUlT_T0_E_clISt17integral_constantIbLb1EES1K_EEDaS1F_S1G_EUlS1F_E_NS1_11comp_targetILNS1_3genE10ELNS1_11target_archE1200ELNS1_3gpuE4ELNS1_3repE0EEENS1_30default_config_static_selectorELNS0_4arch9wavefront6targetE0EEEvT1_
	.globl	_ZN7rocprim17ROCPRIM_400000_NS6detail17trampoline_kernelINS0_14default_configENS1_25partition_config_selectorILNS1_17partition_subalgoE6EsNS0_10empty_typeEbEEZZNS1_14partition_implILS5_6ELb0ES3_mN6thrust23THRUST_200600_302600_NS6detail15normal_iteratorINSA_10device_ptrIsEEEEPS6_SG_NS0_5tupleIJSF_S6_EEENSH_IJSG_SG_EEES6_PlJNSB_9not_fun_tINSB_10functional5actorINSM_9compositeIJNSM_27transparent_binary_operatorINSA_8equal_toIvEEEENSN_INSM_8argumentILj0EEEEENSM_5valueIsEEEEEEEEEEEE10hipError_tPvRmT3_T4_T5_T6_T7_T9_mT8_P12ihipStream_tbDpT10_ENKUlT_T0_E_clISt17integral_constantIbLb1EES1K_EEDaS1F_S1G_EUlS1F_E_NS1_11comp_targetILNS1_3genE10ELNS1_11target_archE1200ELNS1_3gpuE4ELNS1_3repE0EEENS1_30default_config_static_selectorELNS0_4arch9wavefront6targetE0EEEvT1_
	.p2align	8
	.type	_ZN7rocprim17ROCPRIM_400000_NS6detail17trampoline_kernelINS0_14default_configENS1_25partition_config_selectorILNS1_17partition_subalgoE6EsNS0_10empty_typeEbEEZZNS1_14partition_implILS5_6ELb0ES3_mN6thrust23THRUST_200600_302600_NS6detail15normal_iteratorINSA_10device_ptrIsEEEEPS6_SG_NS0_5tupleIJSF_S6_EEENSH_IJSG_SG_EEES6_PlJNSB_9not_fun_tINSB_10functional5actorINSM_9compositeIJNSM_27transparent_binary_operatorINSA_8equal_toIvEEEENSN_INSM_8argumentILj0EEEEENSM_5valueIsEEEEEEEEEEEE10hipError_tPvRmT3_T4_T5_T6_T7_T9_mT8_P12ihipStream_tbDpT10_ENKUlT_T0_E_clISt17integral_constantIbLb1EES1K_EEDaS1F_S1G_EUlS1F_E_NS1_11comp_targetILNS1_3genE10ELNS1_11target_archE1200ELNS1_3gpuE4ELNS1_3repE0EEENS1_30default_config_static_selectorELNS0_4arch9wavefront6targetE0EEEvT1_,@function
_ZN7rocprim17ROCPRIM_400000_NS6detail17trampoline_kernelINS0_14default_configENS1_25partition_config_selectorILNS1_17partition_subalgoE6EsNS0_10empty_typeEbEEZZNS1_14partition_implILS5_6ELb0ES3_mN6thrust23THRUST_200600_302600_NS6detail15normal_iteratorINSA_10device_ptrIsEEEEPS6_SG_NS0_5tupleIJSF_S6_EEENSH_IJSG_SG_EEES6_PlJNSB_9not_fun_tINSB_10functional5actorINSM_9compositeIJNSM_27transparent_binary_operatorINSA_8equal_toIvEEEENSN_INSM_8argumentILj0EEEEENSM_5valueIsEEEEEEEEEEEE10hipError_tPvRmT3_T4_T5_T6_T7_T9_mT8_P12ihipStream_tbDpT10_ENKUlT_T0_E_clISt17integral_constantIbLb1EES1K_EEDaS1F_S1G_EUlS1F_E_NS1_11comp_targetILNS1_3genE10ELNS1_11target_archE1200ELNS1_3gpuE4ELNS1_3repE0EEENS1_30default_config_static_selectorELNS0_4arch9wavefront6targetE0EEEvT1_: ; @_ZN7rocprim17ROCPRIM_400000_NS6detail17trampoline_kernelINS0_14default_configENS1_25partition_config_selectorILNS1_17partition_subalgoE6EsNS0_10empty_typeEbEEZZNS1_14partition_implILS5_6ELb0ES3_mN6thrust23THRUST_200600_302600_NS6detail15normal_iteratorINSA_10device_ptrIsEEEEPS6_SG_NS0_5tupleIJSF_S6_EEENSH_IJSG_SG_EEES6_PlJNSB_9not_fun_tINSB_10functional5actorINSM_9compositeIJNSM_27transparent_binary_operatorINSA_8equal_toIvEEEENSN_INSM_8argumentILj0EEEEENSM_5valueIsEEEEEEEEEEEE10hipError_tPvRmT3_T4_T5_T6_T7_T9_mT8_P12ihipStream_tbDpT10_ENKUlT_T0_E_clISt17integral_constantIbLb1EES1K_EEDaS1F_S1G_EUlS1F_E_NS1_11comp_targetILNS1_3genE10ELNS1_11target_archE1200ELNS1_3gpuE4ELNS1_3repE0EEENS1_30default_config_static_selectorELNS0_4arch9wavefront6targetE0EEEvT1_
; %bb.0:
	s_endpgm
	.section	.rodata,"a",@progbits
	.p2align	6, 0x0
	.amdhsa_kernel _ZN7rocprim17ROCPRIM_400000_NS6detail17trampoline_kernelINS0_14default_configENS1_25partition_config_selectorILNS1_17partition_subalgoE6EsNS0_10empty_typeEbEEZZNS1_14partition_implILS5_6ELb0ES3_mN6thrust23THRUST_200600_302600_NS6detail15normal_iteratorINSA_10device_ptrIsEEEEPS6_SG_NS0_5tupleIJSF_S6_EEENSH_IJSG_SG_EEES6_PlJNSB_9not_fun_tINSB_10functional5actorINSM_9compositeIJNSM_27transparent_binary_operatorINSA_8equal_toIvEEEENSN_INSM_8argumentILj0EEEEENSM_5valueIsEEEEEEEEEEEE10hipError_tPvRmT3_T4_T5_T6_T7_T9_mT8_P12ihipStream_tbDpT10_ENKUlT_T0_E_clISt17integral_constantIbLb1EES1K_EEDaS1F_S1G_EUlS1F_E_NS1_11comp_targetILNS1_3genE10ELNS1_11target_archE1200ELNS1_3gpuE4ELNS1_3repE0EEENS1_30default_config_static_selectorELNS0_4arch9wavefront6targetE0EEEvT1_
		.amdhsa_group_segment_fixed_size 0
		.amdhsa_private_segment_fixed_size 0
		.amdhsa_kernarg_size 128
		.amdhsa_user_sgpr_count 2
		.amdhsa_user_sgpr_dispatch_ptr 0
		.amdhsa_user_sgpr_queue_ptr 0
		.amdhsa_user_sgpr_kernarg_segment_ptr 1
		.amdhsa_user_sgpr_dispatch_id 0
		.amdhsa_user_sgpr_private_segment_size 0
		.amdhsa_wavefront_size32 1
		.amdhsa_uses_dynamic_stack 0
		.amdhsa_enable_private_segment 0
		.amdhsa_system_sgpr_workgroup_id_x 1
		.amdhsa_system_sgpr_workgroup_id_y 0
		.amdhsa_system_sgpr_workgroup_id_z 0
		.amdhsa_system_sgpr_workgroup_info 0
		.amdhsa_system_vgpr_workitem_id 0
		.amdhsa_next_free_vgpr 1
		.amdhsa_next_free_sgpr 1
		.amdhsa_reserve_vcc 0
		.amdhsa_float_round_mode_32 0
		.amdhsa_float_round_mode_16_64 0
		.amdhsa_float_denorm_mode_32 3
		.amdhsa_float_denorm_mode_16_64 3
		.amdhsa_fp16_overflow 0
		.amdhsa_workgroup_processor_mode 1
		.amdhsa_memory_ordered 1
		.amdhsa_forward_progress 1
		.amdhsa_inst_pref_size 1
		.amdhsa_round_robin_scheduling 0
		.amdhsa_exception_fp_ieee_invalid_op 0
		.amdhsa_exception_fp_denorm_src 0
		.amdhsa_exception_fp_ieee_div_zero 0
		.amdhsa_exception_fp_ieee_overflow 0
		.amdhsa_exception_fp_ieee_underflow 0
		.amdhsa_exception_fp_ieee_inexact 0
		.amdhsa_exception_int_div_zero 0
	.end_amdhsa_kernel
	.section	.text._ZN7rocprim17ROCPRIM_400000_NS6detail17trampoline_kernelINS0_14default_configENS1_25partition_config_selectorILNS1_17partition_subalgoE6EsNS0_10empty_typeEbEEZZNS1_14partition_implILS5_6ELb0ES3_mN6thrust23THRUST_200600_302600_NS6detail15normal_iteratorINSA_10device_ptrIsEEEEPS6_SG_NS0_5tupleIJSF_S6_EEENSH_IJSG_SG_EEES6_PlJNSB_9not_fun_tINSB_10functional5actorINSM_9compositeIJNSM_27transparent_binary_operatorINSA_8equal_toIvEEEENSN_INSM_8argumentILj0EEEEENSM_5valueIsEEEEEEEEEEEE10hipError_tPvRmT3_T4_T5_T6_T7_T9_mT8_P12ihipStream_tbDpT10_ENKUlT_T0_E_clISt17integral_constantIbLb1EES1K_EEDaS1F_S1G_EUlS1F_E_NS1_11comp_targetILNS1_3genE10ELNS1_11target_archE1200ELNS1_3gpuE4ELNS1_3repE0EEENS1_30default_config_static_selectorELNS0_4arch9wavefront6targetE0EEEvT1_,"axG",@progbits,_ZN7rocprim17ROCPRIM_400000_NS6detail17trampoline_kernelINS0_14default_configENS1_25partition_config_selectorILNS1_17partition_subalgoE6EsNS0_10empty_typeEbEEZZNS1_14partition_implILS5_6ELb0ES3_mN6thrust23THRUST_200600_302600_NS6detail15normal_iteratorINSA_10device_ptrIsEEEEPS6_SG_NS0_5tupleIJSF_S6_EEENSH_IJSG_SG_EEES6_PlJNSB_9not_fun_tINSB_10functional5actorINSM_9compositeIJNSM_27transparent_binary_operatorINSA_8equal_toIvEEEENSN_INSM_8argumentILj0EEEEENSM_5valueIsEEEEEEEEEEEE10hipError_tPvRmT3_T4_T5_T6_T7_T9_mT8_P12ihipStream_tbDpT10_ENKUlT_T0_E_clISt17integral_constantIbLb1EES1K_EEDaS1F_S1G_EUlS1F_E_NS1_11comp_targetILNS1_3genE10ELNS1_11target_archE1200ELNS1_3gpuE4ELNS1_3repE0EEENS1_30default_config_static_selectorELNS0_4arch9wavefront6targetE0EEEvT1_,comdat
.Lfunc_end257:
	.size	_ZN7rocprim17ROCPRIM_400000_NS6detail17trampoline_kernelINS0_14default_configENS1_25partition_config_selectorILNS1_17partition_subalgoE6EsNS0_10empty_typeEbEEZZNS1_14partition_implILS5_6ELb0ES3_mN6thrust23THRUST_200600_302600_NS6detail15normal_iteratorINSA_10device_ptrIsEEEEPS6_SG_NS0_5tupleIJSF_S6_EEENSH_IJSG_SG_EEES6_PlJNSB_9not_fun_tINSB_10functional5actorINSM_9compositeIJNSM_27transparent_binary_operatorINSA_8equal_toIvEEEENSN_INSM_8argumentILj0EEEEENSM_5valueIsEEEEEEEEEEEE10hipError_tPvRmT3_T4_T5_T6_T7_T9_mT8_P12ihipStream_tbDpT10_ENKUlT_T0_E_clISt17integral_constantIbLb1EES1K_EEDaS1F_S1G_EUlS1F_E_NS1_11comp_targetILNS1_3genE10ELNS1_11target_archE1200ELNS1_3gpuE4ELNS1_3repE0EEENS1_30default_config_static_selectorELNS0_4arch9wavefront6targetE0EEEvT1_, .Lfunc_end257-_ZN7rocprim17ROCPRIM_400000_NS6detail17trampoline_kernelINS0_14default_configENS1_25partition_config_selectorILNS1_17partition_subalgoE6EsNS0_10empty_typeEbEEZZNS1_14partition_implILS5_6ELb0ES3_mN6thrust23THRUST_200600_302600_NS6detail15normal_iteratorINSA_10device_ptrIsEEEEPS6_SG_NS0_5tupleIJSF_S6_EEENSH_IJSG_SG_EEES6_PlJNSB_9not_fun_tINSB_10functional5actorINSM_9compositeIJNSM_27transparent_binary_operatorINSA_8equal_toIvEEEENSN_INSM_8argumentILj0EEEEENSM_5valueIsEEEEEEEEEEEE10hipError_tPvRmT3_T4_T5_T6_T7_T9_mT8_P12ihipStream_tbDpT10_ENKUlT_T0_E_clISt17integral_constantIbLb1EES1K_EEDaS1F_S1G_EUlS1F_E_NS1_11comp_targetILNS1_3genE10ELNS1_11target_archE1200ELNS1_3gpuE4ELNS1_3repE0EEENS1_30default_config_static_selectorELNS0_4arch9wavefront6targetE0EEEvT1_
                                        ; -- End function
	.set _ZN7rocprim17ROCPRIM_400000_NS6detail17trampoline_kernelINS0_14default_configENS1_25partition_config_selectorILNS1_17partition_subalgoE6EsNS0_10empty_typeEbEEZZNS1_14partition_implILS5_6ELb0ES3_mN6thrust23THRUST_200600_302600_NS6detail15normal_iteratorINSA_10device_ptrIsEEEEPS6_SG_NS0_5tupleIJSF_S6_EEENSH_IJSG_SG_EEES6_PlJNSB_9not_fun_tINSB_10functional5actorINSM_9compositeIJNSM_27transparent_binary_operatorINSA_8equal_toIvEEEENSN_INSM_8argumentILj0EEEEENSM_5valueIsEEEEEEEEEEEE10hipError_tPvRmT3_T4_T5_T6_T7_T9_mT8_P12ihipStream_tbDpT10_ENKUlT_T0_E_clISt17integral_constantIbLb1EES1K_EEDaS1F_S1G_EUlS1F_E_NS1_11comp_targetILNS1_3genE10ELNS1_11target_archE1200ELNS1_3gpuE4ELNS1_3repE0EEENS1_30default_config_static_selectorELNS0_4arch9wavefront6targetE0EEEvT1_.num_vgpr, 0
	.set _ZN7rocprim17ROCPRIM_400000_NS6detail17trampoline_kernelINS0_14default_configENS1_25partition_config_selectorILNS1_17partition_subalgoE6EsNS0_10empty_typeEbEEZZNS1_14partition_implILS5_6ELb0ES3_mN6thrust23THRUST_200600_302600_NS6detail15normal_iteratorINSA_10device_ptrIsEEEEPS6_SG_NS0_5tupleIJSF_S6_EEENSH_IJSG_SG_EEES6_PlJNSB_9not_fun_tINSB_10functional5actorINSM_9compositeIJNSM_27transparent_binary_operatorINSA_8equal_toIvEEEENSN_INSM_8argumentILj0EEEEENSM_5valueIsEEEEEEEEEEEE10hipError_tPvRmT3_T4_T5_T6_T7_T9_mT8_P12ihipStream_tbDpT10_ENKUlT_T0_E_clISt17integral_constantIbLb1EES1K_EEDaS1F_S1G_EUlS1F_E_NS1_11comp_targetILNS1_3genE10ELNS1_11target_archE1200ELNS1_3gpuE4ELNS1_3repE0EEENS1_30default_config_static_selectorELNS0_4arch9wavefront6targetE0EEEvT1_.num_agpr, 0
	.set _ZN7rocprim17ROCPRIM_400000_NS6detail17trampoline_kernelINS0_14default_configENS1_25partition_config_selectorILNS1_17partition_subalgoE6EsNS0_10empty_typeEbEEZZNS1_14partition_implILS5_6ELb0ES3_mN6thrust23THRUST_200600_302600_NS6detail15normal_iteratorINSA_10device_ptrIsEEEEPS6_SG_NS0_5tupleIJSF_S6_EEENSH_IJSG_SG_EEES6_PlJNSB_9not_fun_tINSB_10functional5actorINSM_9compositeIJNSM_27transparent_binary_operatorINSA_8equal_toIvEEEENSN_INSM_8argumentILj0EEEEENSM_5valueIsEEEEEEEEEEEE10hipError_tPvRmT3_T4_T5_T6_T7_T9_mT8_P12ihipStream_tbDpT10_ENKUlT_T0_E_clISt17integral_constantIbLb1EES1K_EEDaS1F_S1G_EUlS1F_E_NS1_11comp_targetILNS1_3genE10ELNS1_11target_archE1200ELNS1_3gpuE4ELNS1_3repE0EEENS1_30default_config_static_selectorELNS0_4arch9wavefront6targetE0EEEvT1_.numbered_sgpr, 0
	.set _ZN7rocprim17ROCPRIM_400000_NS6detail17trampoline_kernelINS0_14default_configENS1_25partition_config_selectorILNS1_17partition_subalgoE6EsNS0_10empty_typeEbEEZZNS1_14partition_implILS5_6ELb0ES3_mN6thrust23THRUST_200600_302600_NS6detail15normal_iteratorINSA_10device_ptrIsEEEEPS6_SG_NS0_5tupleIJSF_S6_EEENSH_IJSG_SG_EEES6_PlJNSB_9not_fun_tINSB_10functional5actorINSM_9compositeIJNSM_27transparent_binary_operatorINSA_8equal_toIvEEEENSN_INSM_8argumentILj0EEEEENSM_5valueIsEEEEEEEEEEEE10hipError_tPvRmT3_T4_T5_T6_T7_T9_mT8_P12ihipStream_tbDpT10_ENKUlT_T0_E_clISt17integral_constantIbLb1EES1K_EEDaS1F_S1G_EUlS1F_E_NS1_11comp_targetILNS1_3genE10ELNS1_11target_archE1200ELNS1_3gpuE4ELNS1_3repE0EEENS1_30default_config_static_selectorELNS0_4arch9wavefront6targetE0EEEvT1_.num_named_barrier, 0
	.set _ZN7rocprim17ROCPRIM_400000_NS6detail17trampoline_kernelINS0_14default_configENS1_25partition_config_selectorILNS1_17partition_subalgoE6EsNS0_10empty_typeEbEEZZNS1_14partition_implILS5_6ELb0ES3_mN6thrust23THRUST_200600_302600_NS6detail15normal_iteratorINSA_10device_ptrIsEEEEPS6_SG_NS0_5tupleIJSF_S6_EEENSH_IJSG_SG_EEES6_PlJNSB_9not_fun_tINSB_10functional5actorINSM_9compositeIJNSM_27transparent_binary_operatorINSA_8equal_toIvEEEENSN_INSM_8argumentILj0EEEEENSM_5valueIsEEEEEEEEEEEE10hipError_tPvRmT3_T4_T5_T6_T7_T9_mT8_P12ihipStream_tbDpT10_ENKUlT_T0_E_clISt17integral_constantIbLb1EES1K_EEDaS1F_S1G_EUlS1F_E_NS1_11comp_targetILNS1_3genE10ELNS1_11target_archE1200ELNS1_3gpuE4ELNS1_3repE0EEENS1_30default_config_static_selectorELNS0_4arch9wavefront6targetE0EEEvT1_.private_seg_size, 0
	.set _ZN7rocprim17ROCPRIM_400000_NS6detail17trampoline_kernelINS0_14default_configENS1_25partition_config_selectorILNS1_17partition_subalgoE6EsNS0_10empty_typeEbEEZZNS1_14partition_implILS5_6ELb0ES3_mN6thrust23THRUST_200600_302600_NS6detail15normal_iteratorINSA_10device_ptrIsEEEEPS6_SG_NS0_5tupleIJSF_S6_EEENSH_IJSG_SG_EEES6_PlJNSB_9not_fun_tINSB_10functional5actorINSM_9compositeIJNSM_27transparent_binary_operatorINSA_8equal_toIvEEEENSN_INSM_8argumentILj0EEEEENSM_5valueIsEEEEEEEEEEEE10hipError_tPvRmT3_T4_T5_T6_T7_T9_mT8_P12ihipStream_tbDpT10_ENKUlT_T0_E_clISt17integral_constantIbLb1EES1K_EEDaS1F_S1G_EUlS1F_E_NS1_11comp_targetILNS1_3genE10ELNS1_11target_archE1200ELNS1_3gpuE4ELNS1_3repE0EEENS1_30default_config_static_selectorELNS0_4arch9wavefront6targetE0EEEvT1_.uses_vcc, 0
	.set _ZN7rocprim17ROCPRIM_400000_NS6detail17trampoline_kernelINS0_14default_configENS1_25partition_config_selectorILNS1_17partition_subalgoE6EsNS0_10empty_typeEbEEZZNS1_14partition_implILS5_6ELb0ES3_mN6thrust23THRUST_200600_302600_NS6detail15normal_iteratorINSA_10device_ptrIsEEEEPS6_SG_NS0_5tupleIJSF_S6_EEENSH_IJSG_SG_EEES6_PlJNSB_9not_fun_tINSB_10functional5actorINSM_9compositeIJNSM_27transparent_binary_operatorINSA_8equal_toIvEEEENSN_INSM_8argumentILj0EEEEENSM_5valueIsEEEEEEEEEEEE10hipError_tPvRmT3_T4_T5_T6_T7_T9_mT8_P12ihipStream_tbDpT10_ENKUlT_T0_E_clISt17integral_constantIbLb1EES1K_EEDaS1F_S1G_EUlS1F_E_NS1_11comp_targetILNS1_3genE10ELNS1_11target_archE1200ELNS1_3gpuE4ELNS1_3repE0EEENS1_30default_config_static_selectorELNS0_4arch9wavefront6targetE0EEEvT1_.uses_flat_scratch, 0
	.set _ZN7rocprim17ROCPRIM_400000_NS6detail17trampoline_kernelINS0_14default_configENS1_25partition_config_selectorILNS1_17partition_subalgoE6EsNS0_10empty_typeEbEEZZNS1_14partition_implILS5_6ELb0ES3_mN6thrust23THRUST_200600_302600_NS6detail15normal_iteratorINSA_10device_ptrIsEEEEPS6_SG_NS0_5tupleIJSF_S6_EEENSH_IJSG_SG_EEES6_PlJNSB_9not_fun_tINSB_10functional5actorINSM_9compositeIJNSM_27transparent_binary_operatorINSA_8equal_toIvEEEENSN_INSM_8argumentILj0EEEEENSM_5valueIsEEEEEEEEEEEE10hipError_tPvRmT3_T4_T5_T6_T7_T9_mT8_P12ihipStream_tbDpT10_ENKUlT_T0_E_clISt17integral_constantIbLb1EES1K_EEDaS1F_S1G_EUlS1F_E_NS1_11comp_targetILNS1_3genE10ELNS1_11target_archE1200ELNS1_3gpuE4ELNS1_3repE0EEENS1_30default_config_static_selectorELNS0_4arch9wavefront6targetE0EEEvT1_.has_dyn_sized_stack, 0
	.set _ZN7rocprim17ROCPRIM_400000_NS6detail17trampoline_kernelINS0_14default_configENS1_25partition_config_selectorILNS1_17partition_subalgoE6EsNS0_10empty_typeEbEEZZNS1_14partition_implILS5_6ELb0ES3_mN6thrust23THRUST_200600_302600_NS6detail15normal_iteratorINSA_10device_ptrIsEEEEPS6_SG_NS0_5tupleIJSF_S6_EEENSH_IJSG_SG_EEES6_PlJNSB_9not_fun_tINSB_10functional5actorINSM_9compositeIJNSM_27transparent_binary_operatorINSA_8equal_toIvEEEENSN_INSM_8argumentILj0EEEEENSM_5valueIsEEEEEEEEEEEE10hipError_tPvRmT3_T4_T5_T6_T7_T9_mT8_P12ihipStream_tbDpT10_ENKUlT_T0_E_clISt17integral_constantIbLb1EES1K_EEDaS1F_S1G_EUlS1F_E_NS1_11comp_targetILNS1_3genE10ELNS1_11target_archE1200ELNS1_3gpuE4ELNS1_3repE0EEENS1_30default_config_static_selectorELNS0_4arch9wavefront6targetE0EEEvT1_.has_recursion, 0
	.set _ZN7rocprim17ROCPRIM_400000_NS6detail17trampoline_kernelINS0_14default_configENS1_25partition_config_selectorILNS1_17partition_subalgoE6EsNS0_10empty_typeEbEEZZNS1_14partition_implILS5_6ELb0ES3_mN6thrust23THRUST_200600_302600_NS6detail15normal_iteratorINSA_10device_ptrIsEEEEPS6_SG_NS0_5tupleIJSF_S6_EEENSH_IJSG_SG_EEES6_PlJNSB_9not_fun_tINSB_10functional5actorINSM_9compositeIJNSM_27transparent_binary_operatorINSA_8equal_toIvEEEENSN_INSM_8argumentILj0EEEEENSM_5valueIsEEEEEEEEEEEE10hipError_tPvRmT3_T4_T5_T6_T7_T9_mT8_P12ihipStream_tbDpT10_ENKUlT_T0_E_clISt17integral_constantIbLb1EES1K_EEDaS1F_S1G_EUlS1F_E_NS1_11comp_targetILNS1_3genE10ELNS1_11target_archE1200ELNS1_3gpuE4ELNS1_3repE0EEENS1_30default_config_static_selectorELNS0_4arch9wavefront6targetE0EEEvT1_.has_indirect_call, 0
	.section	.AMDGPU.csdata,"",@progbits
; Kernel info:
; codeLenInByte = 4
; TotalNumSgprs: 0
; NumVgprs: 0
; ScratchSize: 0
; MemoryBound: 0
; FloatMode: 240
; IeeeMode: 1
; LDSByteSize: 0 bytes/workgroup (compile time only)
; SGPRBlocks: 0
; VGPRBlocks: 0
; NumSGPRsForWavesPerEU: 1
; NumVGPRsForWavesPerEU: 1
; Occupancy: 16
; WaveLimiterHint : 0
; COMPUTE_PGM_RSRC2:SCRATCH_EN: 0
; COMPUTE_PGM_RSRC2:USER_SGPR: 2
; COMPUTE_PGM_RSRC2:TRAP_HANDLER: 0
; COMPUTE_PGM_RSRC2:TGID_X_EN: 1
; COMPUTE_PGM_RSRC2:TGID_Y_EN: 0
; COMPUTE_PGM_RSRC2:TGID_Z_EN: 0
; COMPUTE_PGM_RSRC2:TIDIG_COMP_CNT: 0
	.section	.text._ZN7rocprim17ROCPRIM_400000_NS6detail17trampoline_kernelINS0_14default_configENS1_25partition_config_selectorILNS1_17partition_subalgoE6EsNS0_10empty_typeEbEEZZNS1_14partition_implILS5_6ELb0ES3_mN6thrust23THRUST_200600_302600_NS6detail15normal_iteratorINSA_10device_ptrIsEEEEPS6_SG_NS0_5tupleIJSF_S6_EEENSH_IJSG_SG_EEES6_PlJNSB_9not_fun_tINSB_10functional5actorINSM_9compositeIJNSM_27transparent_binary_operatorINSA_8equal_toIvEEEENSN_INSM_8argumentILj0EEEEENSM_5valueIsEEEEEEEEEEEE10hipError_tPvRmT3_T4_T5_T6_T7_T9_mT8_P12ihipStream_tbDpT10_ENKUlT_T0_E_clISt17integral_constantIbLb1EES1K_EEDaS1F_S1G_EUlS1F_E_NS1_11comp_targetILNS1_3genE9ELNS1_11target_archE1100ELNS1_3gpuE3ELNS1_3repE0EEENS1_30default_config_static_selectorELNS0_4arch9wavefront6targetE0EEEvT1_,"axG",@progbits,_ZN7rocprim17ROCPRIM_400000_NS6detail17trampoline_kernelINS0_14default_configENS1_25partition_config_selectorILNS1_17partition_subalgoE6EsNS0_10empty_typeEbEEZZNS1_14partition_implILS5_6ELb0ES3_mN6thrust23THRUST_200600_302600_NS6detail15normal_iteratorINSA_10device_ptrIsEEEEPS6_SG_NS0_5tupleIJSF_S6_EEENSH_IJSG_SG_EEES6_PlJNSB_9not_fun_tINSB_10functional5actorINSM_9compositeIJNSM_27transparent_binary_operatorINSA_8equal_toIvEEEENSN_INSM_8argumentILj0EEEEENSM_5valueIsEEEEEEEEEEEE10hipError_tPvRmT3_T4_T5_T6_T7_T9_mT8_P12ihipStream_tbDpT10_ENKUlT_T0_E_clISt17integral_constantIbLb1EES1K_EEDaS1F_S1G_EUlS1F_E_NS1_11comp_targetILNS1_3genE9ELNS1_11target_archE1100ELNS1_3gpuE3ELNS1_3repE0EEENS1_30default_config_static_selectorELNS0_4arch9wavefront6targetE0EEEvT1_,comdat
	.protected	_ZN7rocprim17ROCPRIM_400000_NS6detail17trampoline_kernelINS0_14default_configENS1_25partition_config_selectorILNS1_17partition_subalgoE6EsNS0_10empty_typeEbEEZZNS1_14partition_implILS5_6ELb0ES3_mN6thrust23THRUST_200600_302600_NS6detail15normal_iteratorINSA_10device_ptrIsEEEEPS6_SG_NS0_5tupleIJSF_S6_EEENSH_IJSG_SG_EEES6_PlJNSB_9not_fun_tINSB_10functional5actorINSM_9compositeIJNSM_27transparent_binary_operatorINSA_8equal_toIvEEEENSN_INSM_8argumentILj0EEEEENSM_5valueIsEEEEEEEEEEEE10hipError_tPvRmT3_T4_T5_T6_T7_T9_mT8_P12ihipStream_tbDpT10_ENKUlT_T0_E_clISt17integral_constantIbLb1EES1K_EEDaS1F_S1G_EUlS1F_E_NS1_11comp_targetILNS1_3genE9ELNS1_11target_archE1100ELNS1_3gpuE3ELNS1_3repE0EEENS1_30default_config_static_selectorELNS0_4arch9wavefront6targetE0EEEvT1_ ; -- Begin function _ZN7rocprim17ROCPRIM_400000_NS6detail17trampoline_kernelINS0_14default_configENS1_25partition_config_selectorILNS1_17partition_subalgoE6EsNS0_10empty_typeEbEEZZNS1_14partition_implILS5_6ELb0ES3_mN6thrust23THRUST_200600_302600_NS6detail15normal_iteratorINSA_10device_ptrIsEEEEPS6_SG_NS0_5tupleIJSF_S6_EEENSH_IJSG_SG_EEES6_PlJNSB_9not_fun_tINSB_10functional5actorINSM_9compositeIJNSM_27transparent_binary_operatorINSA_8equal_toIvEEEENSN_INSM_8argumentILj0EEEEENSM_5valueIsEEEEEEEEEEEE10hipError_tPvRmT3_T4_T5_T6_T7_T9_mT8_P12ihipStream_tbDpT10_ENKUlT_T0_E_clISt17integral_constantIbLb1EES1K_EEDaS1F_S1G_EUlS1F_E_NS1_11comp_targetILNS1_3genE9ELNS1_11target_archE1100ELNS1_3gpuE3ELNS1_3repE0EEENS1_30default_config_static_selectorELNS0_4arch9wavefront6targetE0EEEvT1_
	.globl	_ZN7rocprim17ROCPRIM_400000_NS6detail17trampoline_kernelINS0_14default_configENS1_25partition_config_selectorILNS1_17partition_subalgoE6EsNS0_10empty_typeEbEEZZNS1_14partition_implILS5_6ELb0ES3_mN6thrust23THRUST_200600_302600_NS6detail15normal_iteratorINSA_10device_ptrIsEEEEPS6_SG_NS0_5tupleIJSF_S6_EEENSH_IJSG_SG_EEES6_PlJNSB_9not_fun_tINSB_10functional5actorINSM_9compositeIJNSM_27transparent_binary_operatorINSA_8equal_toIvEEEENSN_INSM_8argumentILj0EEEEENSM_5valueIsEEEEEEEEEEEE10hipError_tPvRmT3_T4_T5_T6_T7_T9_mT8_P12ihipStream_tbDpT10_ENKUlT_T0_E_clISt17integral_constantIbLb1EES1K_EEDaS1F_S1G_EUlS1F_E_NS1_11comp_targetILNS1_3genE9ELNS1_11target_archE1100ELNS1_3gpuE3ELNS1_3repE0EEENS1_30default_config_static_selectorELNS0_4arch9wavefront6targetE0EEEvT1_
	.p2align	8
	.type	_ZN7rocprim17ROCPRIM_400000_NS6detail17trampoline_kernelINS0_14default_configENS1_25partition_config_selectorILNS1_17partition_subalgoE6EsNS0_10empty_typeEbEEZZNS1_14partition_implILS5_6ELb0ES3_mN6thrust23THRUST_200600_302600_NS6detail15normal_iteratorINSA_10device_ptrIsEEEEPS6_SG_NS0_5tupleIJSF_S6_EEENSH_IJSG_SG_EEES6_PlJNSB_9not_fun_tINSB_10functional5actorINSM_9compositeIJNSM_27transparent_binary_operatorINSA_8equal_toIvEEEENSN_INSM_8argumentILj0EEEEENSM_5valueIsEEEEEEEEEEEE10hipError_tPvRmT3_T4_T5_T6_T7_T9_mT8_P12ihipStream_tbDpT10_ENKUlT_T0_E_clISt17integral_constantIbLb1EES1K_EEDaS1F_S1G_EUlS1F_E_NS1_11comp_targetILNS1_3genE9ELNS1_11target_archE1100ELNS1_3gpuE3ELNS1_3repE0EEENS1_30default_config_static_selectorELNS0_4arch9wavefront6targetE0EEEvT1_,@function
_ZN7rocprim17ROCPRIM_400000_NS6detail17trampoline_kernelINS0_14default_configENS1_25partition_config_selectorILNS1_17partition_subalgoE6EsNS0_10empty_typeEbEEZZNS1_14partition_implILS5_6ELb0ES3_mN6thrust23THRUST_200600_302600_NS6detail15normal_iteratorINSA_10device_ptrIsEEEEPS6_SG_NS0_5tupleIJSF_S6_EEENSH_IJSG_SG_EEES6_PlJNSB_9not_fun_tINSB_10functional5actorINSM_9compositeIJNSM_27transparent_binary_operatorINSA_8equal_toIvEEEENSN_INSM_8argumentILj0EEEEENSM_5valueIsEEEEEEEEEEEE10hipError_tPvRmT3_T4_T5_T6_T7_T9_mT8_P12ihipStream_tbDpT10_ENKUlT_T0_E_clISt17integral_constantIbLb1EES1K_EEDaS1F_S1G_EUlS1F_E_NS1_11comp_targetILNS1_3genE9ELNS1_11target_archE1100ELNS1_3gpuE3ELNS1_3repE0EEENS1_30default_config_static_selectorELNS0_4arch9wavefront6targetE0EEEvT1_: ; @_ZN7rocprim17ROCPRIM_400000_NS6detail17trampoline_kernelINS0_14default_configENS1_25partition_config_selectorILNS1_17partition_subalgoE6EsNS0_10empty_typeEbEEZZNS1_14partition_implILS5_6ELb0ES3_mN6thrust23THRUST_200600_302600_NS6detail15normal_iteratorINSA_10device_ptrIsEEEEPS6_SG_NS0_5tupleIJSF_S6_EEENSH_IJSG_SG_EEES6_PlJNSB_9not_fun_tINSB_10functional5actorINSM_9compositeIJNSM_27transparent_binary_operatorINSA_8equal_toIvEEEENSN_INSM_8argumentILj0EEEEENSM_5valueIsEEEEEEEEEEEE10hipError_tPvRmT3_T4_T5_T6_T7_T9_mT8_P12ihipStream_tbDpT10_ENKUlT_T0_E_clISt17integral_constantIbLb1EES1K_EEDaS1F_S1G_EUlS1F_E_NS1_11comp_targetILNS1_3genE9ELNS1_11target_archE1100ELNS1_3gpuE3ELNS1_3repE0EEENS1_30default_config_static_selectorELNS0_4arch9wavefront6targetE0EEEvT1_
; %bb.0:
	.section	.rodata,"a",@progbits
	.p2align	6, 0x0
	.amdhsa_kernel _ZN7rocprim17ROCPRIM_400000_NS6detail17trampoline_kernelINS0_14default_configENS1_25partition_config_selectorILNS1_17partition_subalgoE6EsNS0_10empty_typeEbEEZZNS1_14partition_implILS5_6ELb0ES3_mN6thrust23THRUST_200600_302600_NS6detail15normal_iteratorINSA_10device_ptrIsEEEEPS6_SG_NS0_5tupleIJSF_S6_EEENSH_IJSG_SG_EEES6_PlJNSB_9not_fun_tINSB_10functional5actorINSM_9compositeIJNSM_27transparent_binary_operatorINSA_8equal_toIvEEEENSN_INSM_8argumentILj0EEEEENSM_5valueIsEEEEEEEEEEEE10hipError_tPvRmT3_T4_T5_T6_T7_T9_mT8_P12ihipStream_tbDpT10_ENKUlT_T0_E_clISt17integral_constantIbLb1EES1K_EEDaS1F_S1G_EUlS1F_E_NS1_11comp_targetILNS1_3genE9ELNS1_11target_archE1100ELNS1_3gpuE3ELNS1_3repE0EEENS1_30default_config_static_selectorELNS0_4arch9wavefront6targetE0EEEvT1_
		.amdhsa_group_segment_fixed_size 0
		.amdhsa_private_segment_fixed_size 0
		.amdhsa_kernarg_size 128
		.amdhsa_user_sgpr_count 2
		.amdhsa_user_sgpr_dispatch_ptr 0
		.amdhsa_user_sgpr_queue_ptr 0
		.amdhsa_user_sgpr_kernarg_segment_ptr 1
		.amdhsa_user_sgpr_dispatch_id 0
		.amdhsa_user_sgpr_private_segment_size 0
		.amdhsa_wavefront_size32 1
		.amdhsa_uses_dynamic_stack 0
		.amdhsa_enable_private_segment 0
		.amdhsa_system_sgpr_workgroup_id_x 1
		.amdhsa_system_sgpr_workgroup_id_y 0
		.amdhsa_system_sgpr_workgroup_id_z 0
		.amdhsa_system_sgpr_workgroup_info 0
		.amdhsa_system_vgpr_workitem_id 0
		.amdhsa_next_free_vgpr 1
		.amdhsa_next_free_sgpr 1
		.amdhsa_reserve_vcc 0
		.amdhsa_float_round_mode_32 0
		.amdhsa_float_round_mode_16_64 0
		.amdhsa_float_denorm_mode_32 3
		.amdhsa_float_denorm_mode_16_64 3
		.amdhsa_fp16_overflow 0
		.amdhsa_workgroup_processor_mode 1
		.amdhsa_memory_ordered 1
		.amdhsa_forward_progress 1
		.amdhsa_inst_pref_size 0
		.amdhsa_round_robin_scheduling 0
		.amdhsa_exception_fp_ieee_invalid_op 0
		.amdhsa_exception_fp_denorm_src 0
		.amdhsa_exception_fp_ieee_div_zero 0
		.amdhsa_exception_fp_ieee_overflow 0
		.amdhsa_exception_fp_ieee_underflow 0
		.amdhsa_exception_fp_ieee_inexact 0
		.amdhsa_exception_int_div_zero 0
	.end_amdhsa_kernel
	.section	.text._ZN7rocprim17ROCPRIM_400000_NS6detail17trampoline_kernelINS0_14default_configENS1_25partition_config_selectorILNS1_17partition_subalgoE6EsNS0_10empty_typeEbEEZZNS1_14partition_implILS5_6ELb0ES3_mN6thrust23THRUST_200600_302600_NS6detail15normal_iteratorINSA_10device_ptrIsEEEEPS6_SG_NS0_5tupleIJSF_S6_EEENSH_IJSG_SG_EEES6_PlJNSB_9not_fun_tINSB_10functional5actorINSM_9compositeIJNSM_27transparent_binary_operatorINSA_8equal_toIvEEEENSN_INSM_8argumentILj0EEEEENSM_5valueIsEEEEEEEEEEEE10hipError_tPvRmT3_T4_T5_T6_T7_T9_mT8_P12ihipStream_tbDpT10_ENKUlT_T0_E_clISt17integral_constantIbLb1EES1K_EEDaS1F_S1G_EUlS1F_E_NS1_11comp_targetILNS1_3genE9ELNS1_11target_archE1100ELNS1_3gpuE3ELNS1_3repE0EEENS1_30default_config_static_selectorELNS0_4arch9wavefront6targetE0EEEvT1_,"axG",@progbits,_ZN7rocprim17ROCPRIM_400000_NS6detail17trampoline_kernelINS0_14default_configENS1_25partition_config_selectorILNS1_17partition_subalgoE6EsNS0_10empty_typeEbEEZZNS1_14partition_implILS5_6ELb0ES3_mN6thrust23THRUST_200600_302600_NS6detail15normal_iteratorINSA_10device_ptrIsEEEEPS6_SG_NS0_5tupleIJSF_S6_EEENSH_IJSG_SG_EEES6_PlJNSB_9not_fun_tINSB_10functional5actorINSM_9compositeIJNSM_27transparent_binary_operatorINSA_8equal_toIvEEEENSN_INSM_8argumentILj0EEEEENSM_5valueIsEEEEEEEEEEEE10hipError_tPvRmT3_T4_T5_T6_T7_T9_mT8_P12ihipStream_tbDpT10_ENKUlT_T0_E_clISt17integral_constantIbLb1EES1K_EEDaS1F_S1G_EUlS1F_E_NS1_11comp_targetILNS1_3genE9ELNS1_11target_archE1100ELNS1_3gpuE3ELNS1_3repE0EEENS1_30default_config_static_selectorELNS0_4arch9wavefront6targetE0EEEvT1_,comdat
.Lfunc_end258:
	.size	_ZN7rocprim17ROCPRIM_400000_NS6detail17trampoline_kernelINS0_14default_configENS1_25partition_config_selectorILNS1_17partition_subalgoE6EsNS0_10empty_typeEbEEZZNS1_14partition_implILS5_6ELb0ES3_mN6thrust23THRUST_200600_302600_NS6detail15normal_iteratorINSA_10device_ptrIsEEEEPS6_SG_NS0_5tupleIJSF_S6_EEENSH_IJSG_SG_EEES6_PlJNSB_9not_fun_tINSB_10functional5actorINSM_9compositeIJNSM_27transparent_binary_operatorINSA_8equal_toIvEEEENSN_INSM_8argumentILj0EEEEENSM_5valueIsEEEEEEEEEEEE10hipError_tPvRmT3_T4_T5_T6_T7_T9_mT8_P12ihipStream_tbDpT10_ENKUlT_T0_E_clISt17integral_constantIbLb1EES1K_EEDaS1F_S1G_EUlS1F_E_NS1_11comp_targetILNS1_3genE9ELNS1_11target_archE1100ELNS1_3gpuE3ELNS1_3repE0EEENS1_30default_config_static_selectorELNS0_4arch9wavefront6targetE0EEEvT1_, .Lfunc_end258-_ZN7rocprim17ROCPRIM_400000_NS6detail17trampoline_kernelINS0_14default_configENS1_25partition_config_selectorILNS1_17partition_subalgoE6EsNS0_10empty_typeEbEEZZNS1_14partition_implILS5_6ELb0ES3_mN6thrust23THRUST_200600_302600_NS6detail15normal_iteratorINSA_10device_ptrIsEEEEPS6_SG_NS0_5tupleIJSF_S6_EEENSH_IJSG_SG_EEES6_PlJNSB_9not_fun_tINSB_10functional5actorINSM_9compositeIJNSM_27transparent_binary_operatorINSA_8equal_toIvEEEENSN_INSM_8argumentILj0EEEEENSM_5valueIsEEEEEEEEEEEE10hipError_tPvRmT3_T4_T5_T6_T7_T9_mT8_P12ihipStream_tbDpT10_ENKUlT_T0_E_clISt17integral_constantIbLb1EES1K_EEDaS1F_S1G_EUlS1F_E_NS1_11comp_targetILNS1_3genE9ELNS1_11target_archE1100ELNS1_3gpuE3ELNS1_3repE0EEENS1_30default_config_static_selectorELNS0_4arch9wavefront6targetE0EEEvT1_
                                        ; -- End function
	.set _ZN7rocprim17ROCPRIM_400000_NS6detail17trampoline_kernelINS0_14default_configENS1_25partition_config_selectorILNS1_17partition_subalgoE6EsNS0_10empty_typeEbEEZZNS1_14partition_implILS5_6ELb0ES3_mN6thrust23THRUST_200600_302600_NS6detail15normal_iteratorINSA_10device_ptrIsEEEEPS6_SG_NS0_5tupleIJSF_S6_EEENSH_IJSG_SG_EEES6_PlJNSB_9not_fun_tINSB_10functional5actorINSM_9compositeIJNSM_27transparent_binary_operatorINSA_8equal_toIvEEEENSN_INSM_8argumentILj0EEEEENSM_5valueIsEEEEEEEEEEEE10hipError_tPvRmT3_T4_T5_T6_T7_T9_mT8_P12ihipStream_tbDpT10_ENKUlT_T0_E_clISt17integral_constantIbLb1EES1K_EEDaS1F_S1G_EUlS1F_E_NS1_11comp_targetILNS1_3genE9ELNS1_11target_archE1100ELNS1_3gpuE3ELNS1_3repE0EEENS1_30default_config_static_selectorELNS0_4arch9wavefront6targetE0EEEvT1_.num_vgpr, 0
	.set _ZN7rocprim17ROCPRIM_400000_NS6detail17trampoline_kernelINS0_14default_configENS1_25partition_config_selectorILNS1_17partition_subalgoE6EsNS0_10empty_typeEbEEZZNS1_14partition_implILS5_6ELb0ES3_mN6thrust23THRUST_200600_302600_NS6detail15normal_iteratorINSA_10device_ptrIsEEEEPS6_SG_NS0_5tupleIJSF_S6_EEENSH_IJSG_SG_EEES6_PlJNSB_9not_fun_tINSB_10functional5actorINSM_9compositeIJNSM_27transparent_binary_operatorINSA_8equal_toIvEEEENSN_INSM_8argumentILj0EEEEENSM_5valueIsEEEEEEEEEEEE10hipError_tPvRmT3_T4_T5_T6_T7_T9_mT8_P12ihipStream_tbDpT10_ENKUlT_T0_E_clISt17integral_constantIbLb1EES1K_EEDaS1F_S1G_EUlS1F_E_NS1_11comp_targetILNS1_3genE9ELNS1_11target_archE1100ELNS1_3gpuE3ELNS1_3repE0EEENS1_30default_config_static_selectorELNS0_4arch9wavefront6targetE0EEEvT1_.num_agpr, 0
	.set _ZN7rocprim17ROCPRIM_400000_NS6detail17trampoline_kernelINS0_14default_configENS1_25partition_config_selectorILNS1_17partition_subalgoE6EsNS0_10empty_typeEbEEZZNS1_14partition_implILS5_6ELb0ES3_mN6thrust23THRUST_200600_302600_NS6detail15normal_iteratorINSA_10device_ptrIsEEEEPS6_SG_NS0_5tupleIJSF_S6_EEENSH_IJSG_SG_EEES6_PlJNSB_9not_fun_tINSB_10functional5actorINSM_9compositeIJNSM_27transparent_binary_operatorINSA_8equal_toIvEEEENSN_INSM_8argumentILj0EEEEENSM_5valueIsEEEEEEEEEEEE10hipError_tPvRmT3_T4_T5_T6_T7_T9_mT8_P12ihipStream_tbDpT10_ENKUlT_T0_E_clISt17integral_constantIbLb1EES1K_EEDaS1F_S1G_EUlS1F_E_NS1_11comp_targetILNS1_3genE9ELNS1_11target_archE1100ELNS1_3gpuE3ELNS1_3repE0EEENS1_30default_config_static_selectorELNS0_4arch9wavefront6targetE0EEEvT1_.numbered_sgpr, 0
	.set _ZN7rocprim17ROCPRIM_400000_NS6detail17trampoline_kernelINS0_14default_configENS1_25partition_config_selectorILNS1_17partition_subalgoE6EsNS0_10empty_typeEbEEZZNS1_14partition_implILS5_6ELb0ES3_mN6thrust23THRUST_200600_302600_NS6detail15normal_iteratorINSA_10device_ptrIsEEEEPS6_SG_NS0_5tupleIJSF_S6_EEENSH_IJSG_SG_EEES6_PlJNSB_9not_fun_tINSB_10functional5actorINSM_9compositeIJNSM_27transparent_binary_operatorINSA_8equal_toIvEEEENSN_INSM_8argumentILj0EEEEENSM_5valueIsEEEEEEEEEEEE10hipError_tPvRmT3_T4_T5_T6_T7_T9_mT8_P12ihipStream_tbDpT10_ENKUlT_T0_E_clISt17integral_constantIbLb1EES1K_EEDaS1F_S1G_EUlS1F_E_NS1_11comp_targetILNS1_3genE9ELNS1_11target_archE1100ELNS1_3gpuE3ELNS1_3repE0EEENS1_30default_config_static_selectorELNS0_4arch9wavefront6targetE0EEEvT1_.num_named_barrier, 0
	.set _ZN7rocprim17ROCPRIM_400000_NS6detail17trampoline_kernelINS0_14default_configENS1_25partition_config_selectorILNS1_17partition_subalgoE6EsNS0_10empty_typeEbEEZZNS1_14partition_implILS5_6ELb0ES3_mN6thrust23THRUST_200600_302600_NS6detail15normal_iteratorINSA_10device_ptrIsEEEEPS6_SG_NS0_5tupleIJSF_S6_EEENSH_IJSG_SG_EEES6_PlJNSB_9not_fun_tINSB_10functional5actorINSM_9compositeIJNSM_27transparent_binary_operatorINSA_8equal_toIvEEEENSN_INSM_8argumentILj0EEEEENSM_5valueIsEEEEEEEEEEEE10hipError_tPvRmT3_T4_T5_T6_T7_T9_mT8_P12ihipStream_tbDpT10_ENKUlT_T0_E_clISt17integral_constantIbLb1EES1K_EEDaS1F_S1G_EUlS1F_E_NS1_11comp_targetILNS1_3genE9ELNS1_11target_archE1100ELNS1_3gpuE3ELNS1_3repE0EEENS1_30default_config_static_selectorELNS0_4arch9wavefront6targetE0EEEvT1_.private_seg_size, 0
	.set _ZN7rocprim17ROCPRIM_400000_NS6detail17trampoline_kernelINS0_14default_configENS1_25partition_config_selectorILNS1_17partition_subalgoE6EsNS0_10empty_typeEbEEZZNS1_14partition_implILS5_6ELb0ES3_mN6thrust23THRUST_200600_302600_NS6detail15normal_iteratorINSA_10device_ptrIsEEEEPS6_SG_NS0_5tupleIJSF_S6_EEENSH_IJSG_SG_EEES6_PlJNSB_9not_fun_tINSB_10functional5actorINSM_9compositeIJNSM_27transparent_binary_operatorINSA_8equal_toIvEEEENSN_INSM_8argumentILj0EEEEENSM_5valueIsEEEEEEEEEEEE10hipError_tPvRmT3_T4_T5_T6_T7_T9_mT8_P12ihipStream_tbDpT10_ENKUlT_T0_E_clISt17integral_constantIbLb1EES1K_EEDaS1F_S1G_EUlS1F_E_NS1_11comp_targetILNS1_3genE9ELNS1_11target_archE1100ELNS1_3gpuE3ELNS1_3repE0EEENS1_30default_config_static_selectorELNS0_4arch9wavefront6targetE0EEEvT1_.uses_vcc, 0
	.set _ZN7rocprim17ROCPRIM_400000_NS6detail17trampoline_kernelINS0_14default_configENS1_25partition_config_selectorILNS1_17partition_subalgoE6EsNS0_10empty_typeEbEEZZNS1_14partition_implILS5_6ELb0ES3_mN6thrust23THRUST_200600_302600_NS6detail15normal_iteratorINSA_10device_ptrIsEEEEPS6_SG_NS0_5tupleIJSF_S6_EEENSH_IJSG_SG_EEES6_PlJNSB_9not_fun_tINSB_10functional5actorINSM_9compositeIJNSM_27transparent_binary_operatorINSA_8equal_toIvEEEENSN_INSM_8argumentILj0EEEEENSM_5valueIsEEEEEEEEEEEE10hipError_tPvRmT3_T4_T5_T6_T7_T9_mT8_P12ihipStream_tbDpT10_ENKUlT_T0_E_clISt17integral_constantIbLb1EES1K_EEDaS1F_S1G_EUlS1F_E_NS1_11comp_targetILNS1_3genE9ELNS1_11target_archE1100ELNS1_3gpuE3ELNS1_3repE0EEENS1_30default_config_static_selectorELNS0_4arch9wavefront6targetE0EEEvT1_.uses_flat_scratch, 0
	.set _ZN7rocprim17ROCPRIM_400000_NS6detail17trampoline_kernelINS0_14default_configENS1_25partition_config_selectorILNS1_17partition_subalgoE6EsNS0_10empty_typeEbEEZZNS1_14partition_implILS5_6ELb0ES3_mN6thrust23THRUST_200600_302600_NS6detail15normal_iteratorINSA_10device_ptrIsEEEEPS6_SG_NS0_5tupleIJSF_S6_EEENSH_IJSG_SG_EEES6_PlJNSB_9not_fun_tINSB_10functional5actorINSM_9compositeIJNSM_27transparent_binary_operatorINSA_8equal_toIvEEEENSN_INSM_8argumentILj0EEEEENSM_5valueIsEEEEEEEEEEEE10hipError_tPvRmT3_T4_T5_T6_T7_T9_mT8_P12ihipStream_tbDpT10_ENKUlT_T0_E_clISt17integral_constantIbLb1EES1K_EEDaS1F_S1G_EUlS1F_E_NS1_11comp_targetILNS1_3genE9ELNS1_11target_archE1100ELNS1_3gpuE3ELNS1_3repE0EEENS1_30default_config_static_selectorELNS0_4arch9wavefront6targetE0EEEvT1_.has_dyn_sized_stack, 0
	.set _ZN7rocprim17ROCPRIM_400000_NS6detail17trampoline_kernelINS0_14default_configENS1_25partition_config_selectorILNS1_17partition_subalgoE6EsNS0_10empty_typeEbEEZZNS1_14partition_implILS5_6ELb0ES3_mN6thrust23THRUST_200600_302600_NS6detail15normal_iteratorINSA_10device_ptrIsEEEEPS6_SG_NS0_5tupleIJSF_S6_EEENSH_IJSG_SG_EEES6_PlJNSB_9not_fun_tINSB_10functional5actorINSM_9compositeIJNSM_27transparent_binary_operatorINSA_8equal_toIvEEEENSN_INSM_8argumentILj0EEEEENSM_5valueIsEEEEEEEEEEEE10hipError_tPvRmT3_T4_T5_T6_T7_T9_mT8_P12ihipStream_tbDpT10_ENKUlT_T0_E_clISt17integral_constantIbLb1EES1K_EEDaS1F_S1G_EUlS1F_E_NS1_11comp_targetILNS1_3genE9ELNS1_11target_archE1100ELNS1_3gpuE3ELNS1_3repE0EEENS1_30default_config_static_selectorELNS0_4arch9wavefront6targetE0EEEvT1_.has_recursion, 0
	.set _ZN7rocprim17ROCPRIM_400000_NS6detail17trampoline_kernelINS0_14default_configENS1_25partition_config_selectorILNS1_17partition_subalgoE6EsNS0_10empty_typeEbEEZZNS1_14partition_implILS5_6ELb0ES3_mN6thrust23THRUST_200600_302600_NS6detail15normal_iteratorINSA_10device_ptrIsEEEEPS6_SG_NS0_5tupleIJSF_S6_EEENSH_IJSG_SG_EEES6_PlJNSB_9not_fun_tINSB_10functional5actorINSM_9compositeIJNSM_27transparent_binary_operatorINSA_8equal_toIvEEEENSN_INSM_8argumentILj0EEEEENSM_5valueIsEEEEEEEEEEEE10hipError_tPvRmT3_T4_T5_T6_T7_T9_mT8_P12ihipStream_tbDpT10_ENKUlT_T0_E_clISt17integral_constantIbLb1EES1K_EEDaS1F_S1G_EUlS1F_E_NS1_11comp_targetILNS1_3genE9ELNS1_11target_archE1100ELNS1_3gpuE3ELNS1_3repE0EEENS1_30default_config_static_selectorELNS0_4arch9wavefront6targetE0EEEvT1_.has_indirect_call, 0
	.section	.AMDGPU.csdata,"",@progbits
; Kernel info:
; codeLenInByte = 0
; TotalNumSgprs: 0
; NumVgprs: 0
; ScratchSize: 0
; MemoryBound: 0
; FloatMode: 240
; IeeeMode: 1
; LDSByteSize: 0 bytes/workgroup (compile time only)
; SGPRBlocks: 0
; VGPRBlocks: 0
; NumSGPRsForWavesPerEU: 1
; NumVGPRsForWavesPerEU: 1
; Occupancy: 16
; WaveLimiterHint : 0
; COMPUTE_PGM_RSRC2:SCRATCH_EN: 0
; COMPUTE_PGM_RSRC2:USER_SGPR: 2
; COMPUTE_PGM_RSRC2:TRAP_HANDLER: 0
; COMPUTE_PGM_RSRC2:TGID_X_EN: 1
; COMPUTE_PGM_RSRC2:TGID_Y_EN: 0
; COMPUTE_PGM_RSRC2:TGID_Z_EN: 0
; COMPUTE_PGM_RSRC2:TIDIG_COMP_CNT: 0
	.section	.text._ZN7rocprim17ROCPRIM_400000_NS6detail17trampoline_kernelINS0_14default_configENS1_25partition_config_selectorILNS1_17partition_subalgoE6EsNS0_10empty_typeEbEEZZNS1_14partition_implILS5_6ELb0ES3_mN6thrust23THRUST_200600_302600_NS6detail15normal_iteratorINSA_10device_ptrIsEEEEPS6_SG_NS0_5tupleIJSF_S6_EEENSH_IJSG_SG_EEES6_PlJNSB_9not_fun_tINSB_10functional5actorINSM_9compositeIJNSM_27transparent_binary_operatorINSA_8equal_toIvEEEENSN_INSM_8argumentILj0EEEEENSM_5valueIsEEEEEEEEEEEE10hipError_tPvRmT3_T4_T5_T6_T7_T9_mT8_P12ihipStream_tbDpT10_ENKUlT_T0_E_clISt17integral_constantIbLb1EES1K_EEDaS1F_S1G_EUlS1F_E_NS1_11comp_targetILNS1_3genE8ELNS1_11target_archE1030ELNS1_3gpuE2ELNS1_3repE0EEENS1_30default_config_static_selectorELNS0_4arch9wavefront6targetE0EEEvT1_,"axG",@progbits,_ZN7rocprim17ROCPRIM_400000_NS6detail17trampoline_kernelINS0_14default_configENS1_25partition_config_selectorILNS1_17partition_subalgoE6EsNS0_10empty_typeEbEEZZNS1_14partition_implILS5_6ELb0ES3_mN6thrust23THRUST_200600_302600_NS6detail15normal_iteratorINSA_10device_ptrIsEEEEPS6_SG_NS0_5tupleIJSF_S6_EEENSH_IJSG_SG_EEES6_PlJNSB_9not_fun_tINSB_10functional5actorINSM_9compositeIJNSM_27transparent_binary_operatorINSA_8equal_toIvEEEENSN_INSM_8argumentILj0EEEEENSM_5valueIsEEEEEEEEEEEE10hipError_tPvRmT3_T4_T5_T6_T7_T9_mT8_P12ihipStream_tbDpT10_ENKUlT_T0_E_clISt17integral_constantIbLb1EES1K_EEDaS1F_S1G_EUlS1F_E_NS1_11comp_targetILNS1_3genE8ELNS1_11target_archE1030ELNS1_3gpuE2ELNS1_3repE0EEENS1_30default_config_static_selectorELNS0_4arch9wavefront6targetE0EEEvT1_,comdat
	.protected	_ZN7rocprim17ROCPRIM_400000_NS6detail17trampoline_kernelINS0_14default_configENS1_25partition_config_selectorILNS1_17partition_subalgoE6EsNS0_10empty_typeEbEEZZNS1_14partition_implILS5_6ELb0ES3_mN6thrust23THRUST_200600_302600_NS6detail15normal_iteratorINSA_10device_ptrIsEEEEPS6_SG_NS0_5tupleIJSF_S6_EEENSH_IJSG_SG_EEES6_PlJNSB_9not_fun_tINSB_10functional5actorINSM_9compositeIJNSM_27transparent_binary_operatorINSA_8equal_toIvEEEENSN_INSM_8argumentILj0EEEEENSM_5valueIsEEEEEEEEEEEE10hipError_tPvRmT3_T4_T5_T6_T7_T9_mT8_P12ihipStream_tbDpT10_ENKUlT_T0_E_clISt17integral_constantIbLb1EES1K_EEDaS1F_S1G_EUlS1F_E_NS1_11comp_targetILNS1_3genE8ELNS1_11target_archE1030ELNS1_3gpuE2ELNS1_3repE0EEENS1_30default_config_static_selectorELNS0_4arch9wavefront6targetE0EEEvT1_ ; -- Begin function _ZN7rocprim17ROCPRIM_400000_NS6detail17trampoline_kernelINS0_14default_configENS1_25partition_config_selectorILNS1_17partition_subalgoE6EsNS0_10empty_typeEbEEZZNS1_14partition_implILS5_6ELb0ES3_mN6thrust23THRUST_200600_302600_NS6detail15normal_iteratorINSA_10device_ptrIsEEEEPS6_SG_NS0_5tupleIJSF_S6_EEENSH_IJSG_SG_EEES6_PlJNSB_9not_fun_tINSB_10functional5actorINSM_9compositeIJNSM_27transparent_binary_operatorINSA_8equal_toIvEEEENSN_INSM_8argumentILj0EEEEENSM_5valueIsEEEEEEEEEEEE10hipError_tPvRmT3_T4_T5_T6_T7_T9_mT8_P12ihipStream_tbDpT10_ENKUlT_T0_E_clISt17integral_constantIbLb1EES1K_EEDaS1F_S1G_EUlS1F_E_NS1_11comp_targetILNS1_3genE8ELNS1_11target_archE1030ELNS1_3gpuE2ELNS1_3repE0EEENS1_30default_config_static_selectorELNS0_4arch9wavefront6targetE0EEEvT1_
	.globl	_ZN7rocprim17ROCPRIM_400000_NS6detail17trampoline_kernelINS0_14default_configENS1_25partition_config_selectorILNS1_17partition_subalgoE6EsNS0_10empty_typeEbEEZZNS1_14partition_implILS5_6ELb0ES3_mN6thrust23THRUST_200600_302600_NS6detail15normal_iteratorINSA_10device_ptrIsEEEEPS6_SG_NS0_5tupleIJSF_S6_EEENSH_IJSG_SG_EEES6_PlJNSB_9not_fun_tINSB_10functional5actorINSM_9compositeIJNSM_27transparent_binary_operatorINSA_8equal_toIvEEEENSN_INSM_8argumentILj0EEEEENSM_5valueIsEEEEEEEEEEEE10hipError_tPvRmT3_T4_T5_T6_T7_T9_mT8_P12ihipStream_tbDpT10_ENKUlT_T0_E_clISt17integral_constantIbLb1EES1K_EEDaS1F_S1G_EUlS1F_E_NS1_11comp_targetILNS1_3genE8ELNS1_11target_archE1030ELNS1_3gpuE2ELNS1_3repE0EEENS1_30default_config_static_selectorELNS0_4arch9wavefront6targetE0EEEvT1_
	.p2align	8
	.type	_ZN7rocprim17ROCPRIM_400000_NS6detail17trampoline_kernelINS0_14default_configENS1_25partition_config_selectorILNS1_17partition_subalgoE6EsNS0_10empty_typeEbEEZZNS1_14partition_implILS5_6ELb0ES3_mN6thrust23THRUST_200600_302600_NS6detail15normal_iteratorINSA_10device_ptrIsEEEEPS6_SG_NS0_5tupleIJSF_S6_EEENSH_IJSG_SG_EEES6_PlJNSB_9not_fun_tINSB_10functional5actorINSM_9compositeIJNSM_27transparent_binary_operatorINSA_8equal_toIvEEEENSN_INSM_8argumentILj0EEEEENSM_5valueIsEEEEEEEEEEEE10hipError_tPvRmT3_T4_T5_T6_T7_T9_mT8_P12ihipStream_tbDpT10_ENKUlT_T0_E_clISt17integral_constantIbLb1EES1K_EEDaS1F_S1G_EUlS1F_E_NS1_11comp_targetILNS1_3genE8ELNS1_11target_archE1030ELNS1_3gpuE2ELNS1_3repE0EEENS1_30default_config_static_selectorELNS0_4arch9wavefront6targetE0EEEvT1_,@function
_ZN7rocprim17ROCPRIM_400000_NS6detail17trampoline_kernelINS0_14default_configENS1_25partition_config_selectorILNS1_17partition_subalgoE6EsNS0_10empty_typeEbEEZZNS1_14partition_implILS5_6ELb0ES3_mN6thrust23THRUST_200600_302600_NS6detail15normal_iteratorINSA_10device_ptrIsEEEEPS6_SG_NS0_5tupleIJSF_S6_EEENSH_IJSG_SG_EEES6_PlJNSB_9not_fun_tINSB_10functional5actorINSM_9compositeIJNSM_27transparent_binary_operatorINSA_8equal_toIvEEEENSN_INSM_8argumentILj0EEEEENSM_5valueIsEEEEEEEEEEEE10hipError_tPvRmT3_T4_T5_T6_T7_T9_mT8_P12ihipStream_tbDpT10_ENKUlT_T0_E_clISt17integral_constantIbLb1EES1K_EEDaS1F_S1G_EUlS1F_E_NS1_11comp_targetILNS1_3genE8ELNS1_11target_archE1030ELNS1_3gpuE2ELNS1_3repE0EEENS1_30default_config_static_selectorELNS0_4arch9wavefront6targetE0EEEvT1_: ; @_ZN7rocprim17ROCPRIM_400000_NS6detail17trampoline_kernelINS0_14default_configENS1_25partition_config_selectorILNS1_17partition_subalgoE6EsNS0_10empty_typeEbEEZZNS1_14partition_implILS5_6ELb0ES3_mN6thrust23THRUST_200600_302600_NS6detail15normal_iteratorINSA_10device_ptrIsEEEEPS6_SG_NS0_5tupleIJSF_S6_EEENSH_IJSG_SG_EEES6_PlJNSB_9not_fun_tINSB_10functional5actorINSM_9compositeIJNSM_27transparent_binary_operatorINSA_8equal_toIvEEEENSN_INSM_8argumentILj0EEEEENSM_5valueIsEEEEEEEEEEEE10hipError_tPvRmT3_T4_T5_T6_T7_T9_mT8_P12ihipStream_tbDpT10_ENKUlT_T0_E_clISt17integral_constantIbLb1EES1K_EEDaS1F_S1G_EUlS1F_E_NS1_11comp_targetILNS1_3genE8ELNS1_11target_archE1030ELNS1_3gpuE2ELNS1_3repE0EEENS1_30default_config_static_selectorELNS0_4arch9wavefront6targetE0EEEvT1_
; %bb.0:
	.section	.rodata,"a",@progbits
	.p2align	6, 0x0
	.amdhsa_kernel _ZN7rocprim17ROCPRIM_400000_NS6detail17trampoline_kernelINS0_14default_configENS1_25partition_config_selectorILNS1_17partition_subalgoE6EsNS0_10empty_typeEbEEZZNS1_14partition_implILS5_6ELb0ES3_mN6thrust23THRUST_200600_302600_NS6detail15normal_iteratorINSA_10device_ptrIsEEEEPS6_SG_NS0_5tupleIJSF_S6_EEENSH_IJSG_SG_EEES6_PlJNSB_9not_fun_tINSB_10functional5actorINSM_9compositeIJNSM_27transparent_binary_operatorINSA_8equal_toIvEEEENSN_INSM_8argumentILj0EEEEENSM_5valueIsEEEEEEEEEEEE10hipError_tPvRmT3_T4_T5_T6_T7_T9_mT8_P12ihipStream_tbDpT10_ENKUlT_T0_E_clISt17integral_constantIbLb1EES1K_EEDaS1F_S1G_EUlS1F_E_NS1_11comp_targetILNS1_3genE8ELNS1_11target_archE1030ELNS1_3gpuE2ELNS1_3repE0EEENS1_30default_config_static_selectorELNS0_4arch9wavefront6targetE0EEEvT1_
		.amdhsa_group_segment_fixed_size 0
		.amdhsa_private_segment_fixed_size 0
		.amdhsa_kernarg_size 128
		.amdhsa_user_sgpr_count 2
		.amdhsa_user_sgpr_dispatch_ptr 0
		.amdhsa_user_sgpr_queue_ptr 0
		.amdhsa_user_sgpr_kernarg_segment_ptr 1
		.amdhsa_user_sgpr_dispatch_id 0
		.amdhsa_user_sgpr_private_segment_size 0
		.amdhsa_wavefront_size32 1
		.amdhsa_uses_dynamic_stack 0
		.amdhsa_enable_private_segment 0
		.amdhsa_system_sgpr_workgroup_id_x 1
		.amdhsa_system_sgpr_workgroup_id_y 0
		.amdhsa_system_sgpr_workgroup_id_z 0
		.amdhsa_system_sgpr_workgroup_info 0
		.amdhsa_system_vgpr_workitem_id 0
		.amdhsa_next_free_vgpr 1
		.amdhsa_next_free_sgpr 1
		.amdhsa_reserve_vcc 0
		.amdhsa_float_round_mode_32 0
		.amdhsa_float_round_mode_16_64 0
		.amdhsa_float_denorm_mode_32 3
		.amdhsa_float_denorm_mode_16_64 3
		.amdhsa_fp16_overflow 0
		.amdhsa_workgroup_processor_mode 1
		.amdhsa_memory_ordered 1
		.amdhsa_forward_progress 1
		.amdhsa_inst_pref_size 0
		.amdhsa_round_robin_scheduling 0
		.amdhsa_exception_fp_ieee_invalid_op 0
		.amdhsa_exception_fp_denorm_src 0
		.amdhsa_exception_fp_ieee_div_zero 0
		.amdhsa_exception_fp_ieee_overflow 0
		.amdhsa_exception_fp_ieee_underflow 0
		.amdhsa_exception_fp_ieee_inexact 0
		.amdhsa_exception_int_div_zero 0
	.end_amdhsa_kernel
	.section	.text._ZN7rocprim17ROCPRIM_400000_NS6detail17trampoline_kernelINS0_14default_configENS1_25partition_config_selectorILNS1_17partition_subalgoE6EsNS0_10empty_typeEbEEZZNS1_14partition_implILS5_6ELb0ES3_mN6thrust23THRUST_200600_302600_NS6detail15normal_iteratorINSA_10device_ptrIsEEEEPS6_SG_NS0_5tupleIJSF_S6_EEENSH_IJSG_SG_EEES6_PlJNSB_9not_fun_tINSB_10functional5actorINSM_9compositeIJNSM_27transparent_binary_operatorINSA_8equal_toIvEEEENSN_INSM_8argumentILj0EEEEENSM_5valueIsEEEEEEEEEEEE10hipError_tPvRmT3_T4_T5_T6_T7_T9_mT8_P12ihipStream_tbDpT10_ENKUlT_T0_E_clISt17integral_constantIbLb1EES1K_EEDaS1F_S1G_EUlS1F_E_NS1_11comp_targetILNS1_3genE8ELNS1_11target_archE1030ELNS1_3gpuE2ELNS1_3repE0EEENS1_30default_config_static_selectorELNS0_4arch9wavefront6targetE0EEEvT1_,"axG",@progbits,_ZN7rocprim17ROCPRIM_400000_NS6detail17trampoline_kernelINS0_14default_configENS1_25partition_config_selectorILNS1_17partition_subalgoE6EsNS0_10empty_typeEbEEZZNS1_14partition_implILS5_6ELb0ES3_mN6thrust23THRUST_200600_302600_NS6detail15normal_iteratorINSA_10device_ptrIsEEEEPS6_SG_NS0_5tupleIJSF_S6_EEENSH_IJSG_SG_EEES6_PlJNSB_9not_fun_tINSB_10functional5actorINSM_9compositeIJNSM_27transparent_binary_operatorINSA_8equal_toIvEEEENSN_INSM_8argumentILj0EEEEENSM_5valueIsEEEEEEEEEEEE10hipError_tPvRmT3_T4_T5_T6_T7_T9_mT8_P12ihipStream_tbDpT10_ENKUlT_T0_E_clISt17integral_constantIbLb1EES1K_EEDaS1F_S1G_EUlS1F_E_NS1_11comp_targetILNS1_3genE8ELNS1_11target_archE1030ELNS1_3gpuE2ELNS1_3repE0EEENS1_30default_config_static_selectorELNS0_4arch9wavefront6targetE0EEEvT1_,comdat
.Lfunc_end259:
	.size	_ZN7rocprim17ROCPRIM_400000_NS6detail17trampoline_kernelINS0_14default_configENS1_25partition_config_selectorILNS1_17partition_subalgoE6EsNS0_10empty_typeEbEEZZNS1_14partition_implILS5_6ELb0ES3_mN6thrust23THRUST_200600_302600_NS6detail15normal_iteratorINSA_10device_ptrIsEEEEPS6_SG_NS0_5tupleIJSF_S6_EEENSH_IJSG_SG_EEES6_PlJNSB_9not_fun_tINSB_10functional5actorINSM_9compositeIJNSM_27transparent_binary_operatorINSA_8equal_toIvEEEENSN_INSM_8argumentILj0EEEEENSM_5valueIsEEEEEEEEEEEE10hipError_tPvRmT3_T4_T5_T6_T7_T9_mT8_P12ihipStream_tbDpT10_ENKUlT_T0_E_clISt17integral_constantIbLb1EES1K_EEDaS1F_S1G_EUlS1F_E_NS1_11comp_targetILNS1_3genE8ELNS1_11target_archE1030ELNS1_3gpuE2ELNS1_3repE0EEENS1_30default_config_static_selectorELNS0_4arch9wavefront6targetE0EEEvT1_, .Lfunc_end259-_ZN7rocprim17ROCPRIM_400000_NS6detail17trampoline_kernelINS0_14default_configENS1_25partition_config_selectorILNS1_17partition_subalgoE6EsNS0_10empty_typeEbEEZZNS1_14partition_implILS5_6ELb0ES3_mN6thrust23THRUST_200600_302600_NS6detail15normal_iteratorINSA_10device_ptrIsEEEEPS6_SG_NS0_5tupleIJSF_S6_EEENSH_IJSG_SG_EEES6_PlJNSB_9not_fun_tINSB_10functional5actorINSM_9compositeIJNSM_27transparent_binary_operatorINSA_8equal_toIvEEEENSN_INSM_8argumentILj0EEEEENSM_5valueIsEEEEEEEEEEEE10hipError_tPvRmT3_T4_T5_T6_T7_T9_mT8_P12ihipStream_tbDpT10_ENKUlT_T0_E_clISt17integral_constantIbLb1EES1K_EEDaS1F_S1G_EUlS1F_E_NS1_11comp_targetILNS1_3genE8ELNS1_11target_archE1030ELNS1_3gpuE2ELNS1_3repE0EEENS1_30default_config_static_selectorELNS0_4arch9wavefront6targetE0EEEvT1_
                                        ; -- End function
	.set _ZN7rocprim17ROCPRIM_400000_NS6detail17trampoline_kernelINS0_14default_configENS1_25partition_config_selectorILNS1_17partition_subalgoE6EsNS0_10empty_typeEbEEZZNS1_14partition_implILS5_6ELb0ES3_mN6thrust23THRUST_200600_302600_NS6detail15normal_iteratorINSA_10device_ptrIsEEEEPS6_SG_NS0_5tupleIJSF_S6_EEENSH_IJSG_SG_EEES6_PlJNSB_9not_fun_tINSB_10functional5actorINSM_9compositeIJNSM_27transparent_binary_operatorINSA_8equal_toIvEEEENSN_INSM_8argumentILj0EEEEENSM_5valueIsEEEEEEEEEEEE10hipError_tPvRmT3_T4_T5_T6_T7_T9_mT8_P12ihipStream_tbDpT10_ENKUlT_T0_E_clISt17integral_constantIbLb1EES1K_EEDaS1F_S1G_EUlS1F_E_NS1_11comp_targetILNS1_3genE8ELNS1_11target_archE1030ELNS1_3gpuE2ELNS1_3repE0EEENS1_30default_config_static_selectorELNS0_4arch9wavefront6targetE0EEEvT1_.num_vgpr, 0
	.set _ZN7rocprim17ROCPRIM_400000_NS6detail17trampoline_kernelINS0_14default_configENS1_25partition_config_selectorILNS1_17partition_subalgoE6EsNS0_10empty_typeEbEEZZNS1_14partition_implILS5_6ELb0ES3_mN6thrust23THRUST_200600_302600_NS6detail15normal_iteratorINSA_10device_ptrIsEEEEPS6_SG_NS0_5tupleIJSF_S6_EEENSH_IJSG_SG_EEES6_PlJNSB_9not_fun_tINSB_10functional5actorINSM_9compositeIJNSM_27transparent_binary_operatorINSA_8equal_toIvEEEENSN_INSM_8argumentILj0EEEEENSM_5valueIsEEEEEEEEEEEE10hipError_tPvRmT3_T4_T5_T6_T7_T9_mT8_P12ihipStream_tbDpT10_ENKUlT_T0_E_clISt17integral_constantIbLb1EES1K_EEDaS1F_S1G_EUlS1F_E_NS1_11comp_targetILNS1_3genE8ELNS1_11target_archE1030ELNS1_3gpuE2ELNS1_3repE0EEENS1_30default_config_static_selectorELNS0_4arch9wavefront6targetE0EEEvT1_.num_agpr, 0
	.set _ZN7rocprim17ROCPRIM_400000_NS6detail17trampoline_kernelINS0_14default_configENS1_25partition_config_selectorILNS1_17partition_subalgoE6EsNS0_10empty_typeEbEEZZNS1_14partition_implILS5_6ELb0ES3_mN6thrust23THRUST_200600_302600_NS6detail15normal_iteratorINSA_10device_ptrIsEEEEPS6_SG_NS0_5tupleIJSF_S6_EEENSH_IJSG_SG_EEES6_PlJNSB_9not_fun_tINSB_10functional5actorINSM_9compositeIJNSM_27transparent_binary_operatorINSA_8equal_toIvEEEENSN_INSM_8argumentILj0EEEEENSM_5valueIsEEEEEEEEEEEE10hipError_tPvRmT3_T4_T5_T6_T7_T9_mT8_P12ihipStream_tbDpT10_ENKUlT_T0_E_clISt17integral_constantIbLb1EES1K_EEDaS1F_S1G_EUlS1F_E_NS1_11comp_targetILNS1_3genE8ELNS1_11target_archE1030ELNS1_3gpuE2ELNS1_3repE0EEENS1_30default_config_static_selectorELNS0_4arch9wavefront6targetE0EEEvT1_.numbered_sgpr, 0
	.set _ZN7rocprim17ROCPRIM_400000_NS6detail17trampoline_kernelINS0_14default_configENS1_25partition_config_selectorILNS1_17partition_subalgoE6EsNS0_10empty_typeEbEEZZNS1_14partition_implILS5_6ELb0ES3_mN6thrust23THRUST_200600_302600_NS6detail15normal_iteratorINSA_10device_ptrIsEEEEPS6_SG_NS0_5tupleIJSF_S6_EEENSH_IJSG_SG_EEES6_PlJNSB_9not_fun_tINSB_10functional5actorINSM_9compositeIJNSM_27transparent_binary_operatorINSA_8equal_toIvEEEENSN_INSM_8argumentILj0EEEEENSM_5valueIsEEEEEEEEEEEE10hipError_tPvRmT3_T4_T5_T6_T7_T9_mT8_P12ihipStream_tbDpT10_ENKUlT_T0_E_clISt17integral_constantIbLb1EES1K_EEDaS1F_S1G_EUlS1F_E_NS1_11comp_targetILNS1_3genE8ELNS1_11target_archE1030ELNS1_3gpuE2ELNS1_3repE0EEENS1_30default_config_static_selectorELNS0_4arch9wavefront6targetE0EEEvT1_.num_named_barrier, 0
	.set _ZN7rocprim17ROCPRIM_400000_NS6detail17trampoline_kernelINS0_14default_configENS1_25partition_config_selectorILNS1_17partition_subalgoE6EsNS0_10empty_typeEbEEZZNS1_14partition_implILS5_6ELb0ES3_mN6thrust23THRUST_200600_302600_NS6detail15normal_iteratorINSA_10device_ptrIsEEEEPS6_SG_NS0_5tupleIJSF_S6_EEENSH_IJSG_SG_EEES6_PlJNSB_9not_fun_tINSB_10functional5actorINSM_9compositeIJNSM_27transparent_binary_operatorINSA_8equal_toIvEEEENSN_INSM_8argumentILj0EEEEENSM_5valueIsEEEEEEEEEEEE10hipError_tPvRmT3_T4_T5_T6_T7_T9_mT8_P12ihipStream_tbDpT10_ENKUlT_T0_E_clISt17integral_constantIbLb1EES1K_EEDaS1F_S1G_EUlS1F_E_NS1_11comp_targetILNS1_3genE8ELNS1_11target_archE1030ELNS1_3gpuE2ELNS1_3repE0EEENS1_30default_config_static_selectorELNS0_4arch9wavefront6targetE0EEEvT1_.private_seg_size, 0
	.set _ZN7rocprim17ROCPRIM_400000_NS6detail17trampoline_kernelINS0_14default_configENS1_25partition_config_selectorILNS1_17partition_subalgoE6EsNS0_10empty_typeEbEEZZNS1_14partition_implILS5_6ELb0ES3_mN6thrust23THRUST_200600_302600_NS6detail15normal_iteratorINSA_10device_ptrIsEEEEPS6_SG_NS0_5tupleIJSF_S6_EEENSH_IJSG_SG_EEES6_PlJNSB_9not_fun_tINSB_10functional5actorINSM_9compositeIJNSM_27transparent_binary_operatorINSA_8equal_toIvEEEENSN_INSM_8argumentILj0EEEEENSM_5valueIsEEEEEEEEEEEE10hipError_tPvRmT3_T4_T5_T6_T7_T9_mT8_P12ihipStream_tbDpT10_ENKUlT_T0_E_clISt17integral_constantIbLb1EES1K_EEDaS1F_S1G_EUlS1F_E_NS1_11comp_targetILNS1_3genE8ELNS1_11target_archE1030ELNS1_3gpuE2ELNS1_3repE0EEENS1_30default_config_static_selectorELNS0_4arch9wavefront6targetE0EEEvT1_.uses_vcc, 0
	.set _ZN7rocprim17ROCPRIM_400000_NS6detail17trampoline_kernelINS0_14default_configENS1_25partition_config_selectorILNS1_17partition_subalgoE6EsNS0_10empty_typeEbEEZZNS1_14partition_implILS5_6ELb0ES3_mN6thrust23THRUST_200600_302600_NS6detail15normal_iteratorINSA_10device_ptrIsEEEEPS6_SG_NS0_5tupleIJSF_S6_EEENSH_IJSG_SG_EEES6_PlJNSB_9not_fun_tINSB_10functional5actorINSM_9compositeIJNSM_27transparent_binary_operatorINSA_8equal_toIvEEEENSN_INSM_8argumentILj0EEEEENSM_5valueIsEEEEEEEEEEEE10hipError_tPvRmT3_T4_T5_T6_T7_T9_mT8_P12ihipStream_tbDpT10_ENKUlT_T0_E_clISt17integral_constantIbLb1EES1K_EEDaS1F_S1G_EUlS1F_E_NS1_11comp_targetILNS1_3genE8ELNS1_11target_archE1030ELNS1_3gpuE2ELNS1_3repE0EEENS1_30default_config_static_selectorELNS0_4arch9wavefront6targetE0EEEvT1_.uses_flat_scratch, 0
	.set _ZN7rocprim17ROCPRIM_400000_NS6detail17trampoline_kernelINS0_14default_configENS1_25partition_config_selectorILNS1_17partition_subalgoE6EsNS0_10empty_typeEbEEZZNS1_14partition_implILS5_6ELb0ES3_mN6thrust23THRUST_200600_302600_NS6detail15normal_iteratorINSA_10device_ptrIsEEEEPS6_SG_NS0_5tupleIJSF_S6_EEENSH_IJSG_SG_EEES6_PlJNSB_9not_fun_tINSB_10functional5actorINSM_9compositeIJNSM_27transparent_binary_operatorINSA_8equal_toIvEEEENSN_INSM_8argumentILj0EEEEENSM_5valueIsEEEEEEEEEEEE10hipError_tPvRmT3_T4_T5_T6_T7_T9_mT8_P12ihipStream_tbDpT10_ENKUlT_T0_E_clISt17integral_constantIbLb1EES1K_EEDaS1F_S1G_EUlS1F_E_NS1_11comp_targetILNS1_3genE8ELNS1_11target_archE1030ELNS1_3gpuE2ELNS1_3repE0EEENS1_30default_config_static_selectorELNS0_4arch9wavefront6targetE0EEEvT1_.has_dyn_sized_stack, 0
	.set _ZN7rocprim17ROCPRIM_400000_NS6detail17trampoline_kernelINS0_14default_configENS1_25partition_config_selectorILNS1_17partition_subalgoE6EsNS0_10empty_typeEbEEZZNS1_14partition_implILS5_6ELb0ES3_mN6thrust23THRUST_200600_302600_NS6detail15normal_iteratorINSA_10device_ptrIsEEEEPS6_SG_NS0_5tupleIJSF_S6_EEENSH_IJSG_SG_EEES6_PlJNSB_9not_fun_tINSB_10functional5actorINSM_9compositeIJNSM_27transparent_binary_operatorINSA_8equal_toIvEEEENSN_INSM_8argumentILj0EEEEENSM_5valueIsEEEEEEEEEEEE10hipError_tPvRmT3_T4_T5_T6_T7_T9_mT8_P12ihipStream_tbDpT10_ENKUlT_T0_E_clISt17integral_constantIbLb1EES1K_EEDaS1F_S1G_EUlS1F_E_NS1_11comp_targetILNS1_3genE8ELNS1_11target_archE1030ELNS1_3gpuE2ELNS1_3repE0EEENS1_30default_config_static_selectorELNS0_4arch9wavefront6targetE0EEEvT1_.has_recursion, 0
	.set _ZN7rocprim17ROCPRIM_400000_NS6detail17trampoline_kernelINS0_14default_configENS1_25partition_config_selectorILNS1_17partition_subalgoE6EsNS0_10empty_typeEbEEZZNS1_14partition_implILS5_6ELb0ES3_mN6thrust23THRUST_200600_302600_NS6detail15normal_iteratorINSA_10device_ptrIsEEEEPS6_SG_NS0_5tupleIJSF_S6_EEENSH_IJSG_SG_EEES6_PlJNSB_9not_fun_tINSB_10functional5actorINSM_9compositeIJNSM_27transparent_binary_operatorINSA_8equal_toIvEEEENSN_INSM_8argumentILj0EEEEENSM_5valueIsEEEEEEEEEEEE10hipError_tPvRmT3_T4_T5_T6_T7_T9_mT8_P12ihipStream_tbDpT10_ENKUlT_T0_E_clISt17integral_constantIbLb1EES1K_EEDaS1F_S1G_EUlS1F_E_NS1_11comp_targetILNS1_3genE8ELNS1_11target_archE1030ELNS1_3gpuE2ELNS1_3repE0EEENS1_30default_config_static_selectorELNS0_4arch9wavefront6targetE0EEEvT1_.has_indirect_call, 0
	.section	.AMDGPU.csdata,"",@progbits
; Kernel info:
; codeLenInByte = 0
; TotalNumSgprs: 0
; NumVgprs: 0
; ScratchSize: 0
; MemoryBound: 0
; FloatMode: 240
; IeeeMode: 1
; LDSByteSize: 0 bytes/workgroup (compile time only)
; SGPRBlocks: 0
; VGPRBlocks: 0
; NumSGPRsForWavesPerEU: 1
; NumVGPRsForWavesPerEU: 1
; Occupancy: 16
; WaveLimiterHint : 0
; COMPUTE_PGM_RSRC2:SCRATCH_EN: 0
; COMPUTE_PGM_RSRC2:USER_SGPR: 2
; COMPUTE_PGM_RSRC2:TRAP_HANDLER: 0
; COMPUTE_PGM_RSRC2:TGID_X_EN: 1
; COMPUTE_PGM_RSRC2:TGID_Y_EN: 0
; COMPUTE_PGM_RSRC2:TGID_Z_EN: 0
; COMPUTE_PGM_RSRC2:TIDIG_COMP_CNT: 0
	.section	.text._ZN7rocprim17ROCPRIM_400000_NS6detail17trampoline_kernelINS0_14default_configENS1_25partition_config_selectorILNS1_17partition_subalgoE6EsNS0_10empty_typeEbEEZZNS1_14partition_implILS5_6ELb0ES3_mN6thrust23THRUST_200600_302600_NS6detail15normal_iteratorINSA_10device_ptrIsEEEEPS6_SG_NS0_5tupleIJSF_S6_EEENSH_IJSG_SG_EEES6_PlJNSB_9not_fun_tINSB_10functional5actorINSM_9compositeIJNSM_27transparent_binary_operatorINSA_8equal_toIvEEEENSN_INSM_8argumentILj0EEEEENSM_5valueIsEEEEEEEEEEEE10hipError_tPvRmT3_T4_T5_T6_T7_T9_mT8_P12ihipStream_tbDpT10_ENKUlT_T0_E_clISt17integral_constantIbLb1EES1J_IbLb0EEEEDaS1F_S1G_EUlS1F_E_NS1_11comp_targetILNS1_3genE0ELNS1_11target_archE4294967295ELNS1_3gpuE0ELNS1_3repE0EEENS1_30default_config_static_selectorELNS0_4arch9wavefront6targetE0EEEvT1_,"axG",@progbits,_ZN7rocprim17ROCPRIM_400000_NS6detail17trampoline_kernelINS0_14default_configENS1_25partition_config_selectorILNS1_17partition_subalgoE6EsNS0_10empty_typeEbEEZZNS1_14partition_implILS5_6ELb0ES3_mN6thrust23THRUST_200600_302600_NS6detail15normal_iteratorINSA_10device_ptrIsEEEEPS6_SG_NS0_5tupleIJSF_S6_EEENSH_IJSG_SG_EEES6_PlJNSB_9not_fun_tINSB_10functional5actorINSM_9compositeIJNSM_27transparent_binary_operatorINSA_8equal_toIvEEEENSN_INSM_8argumentILj0EEEEENSM_5valueIsEEEEEEEEEEEE10hipError_tPvRmT3_T4_T5_T6_T7_T9_mT8_P12ihipStream_tbDpT10_ENKUlT_T0_E_clISt17integral_constantIbLb1EES1J_IbLb0EEEEDaS1F_S1G_EUlS1F_E_NS1_11comp_targetILNS1_3genE0ELNS1_11target_archE4294967295ELNS1_3gpuE0ELNS1_3repE0EEENS1_30default_config_static_selectorELNS0_4arch9wavefront6targetE0EEEvT1_,comdat
	.protected	_ZN7rocprim17ROCPRIM_400000_NS6detail17trampoline_kernelINS0_14default_configENS1_25partition_config_selectorILNS1_17partition_subalgoE6EsNS0_10empty_typeEbEEZZNS1_14partition_implILS5_6ELb0ES3_mN6thrust23THRUST_200600_302600_NS6detail15normal_iteratorINSA_10device_ptrIsEEEEPS6_SG_NS0_5tupleIJSF_S6_EEENSH_IJSG_SG_EEES6_PlJNSB_9not_fun_tINSB_10functional5actorINSM_9compositeIJNSM_27transparent_binary_operatorINSA_8equal_toIvEEEENSN_INSM_8argumentILj0EEEEENSM_5valueIsEEEEEEEEEEEE10hipError_tPvRmT3_T4_T5_T6_T7_T9_mT8_P12ihipStream_tbDpT10_ENKUlT_T0_E_clISt17integral_constantIbLb1EES1J_IbLb0EEEEDaS1F_S1G_EUlS1F_E_NS1_11comp_targetILNS1_3genE0ELNS1_11target_archE4294967295ELNS1_3gpuE0ELNS1_3repE0EEENS1_30default_config_static_selectorELNS0_4arch9wavefront6targetE0EEEvT1_ ; -- Begin function _ZN7rocprim17ROCPRIM_400000_NS6detail17trampoline_kernelINS0_14default_configENS1_25partition_config_selectorILNS1_17partition_subalgoE6EsNS0_10empty_typeEbEEZZNS1_14partition_implILS5_6ELb0ES3_mN6thrust23THRUST_200600_302600_NS6detail15normal_iteratorINSA_10device_ptrIsEEEEPS6_SG_NS0_5tupleIJSF_S6_EEENSH_IJSG_SG_EEES6_PlJNSB_9not_fun_tINSB_10functional5actorINSM_9compositeIJNSM_27transparent_binary_operatorINSA_8equal_toIvEEEENSN_INSM_8argumentILj0EEEEENSM_5valueIsEEEEEEEEEEEE10hipError_tPvRmT3_T4_T5_T6_T7_T9_mT8_P12ihipStream_tbDpT10_ENKUlT_T0_E_clISt17integral_constantIbLb1EES1J_IbLb0EEEEDaS1F_S1G_EUlS1F_E_NS1_11comp_targetILNS1_3genE0ELNS1_11target_archE4294967295ELNS1_3gpuE0ELNS1_3repE0EEENS1_30default_config_static_selectorELNS0_4arch9wavefront6targetE0EEEvT1_
	.globl	_ZN7rocprim17ROCPRIM_400000_NS6detail17trampoline_kernelINS0_14default_configENS1_25partition_config_selectorILNS1_17partition_subalgoE6EsNS0_10empty_typeEbEEZZNS1_14partition_implILS5_6ELb0ES3_mN6thrust23THRUST_200600_302600_NS6detail15normal_iteratorINSA_10device_ptrIsEEEEPS6_SG_NS0_5tupleIJSF_S6_EEENSH_IJSG_SG_EEES6_PlJNSB_9not_fun_tINSB_10functional5actorINSM_9compositeIJNSM_27transparent_binary_operatorINSA_8equal_toIvEEEENSN_INSM_8argumentILj0EEEEENSM_5valueIsEEEEEEEEEEEE10hipError_tPvRmT3_T4_T5_T6_T7_T9_mT8_P12ihipStream_tbDpT10_ENKUlT_T0_E_clISt17integral_constantIbLb1EES1J_IbLb0EEEEDaS1F_S1G_EUlS1F_E_NS1_11comp_targetILNS1_3genE0ELNS1_11target_archE4294967295ELNS1_3gpuE0ELNS1_3repE0EEENS1_30default_config_static_selectorELNS0_4arch9wavefront6targetE0EEEvT1_
	.p2align	8
	.type	_ZN7rocprim17ROCPRIM_400000_NS6detail17trampoline_kernelINS0_14default_configENS1_25partition_config_selectorILNS1_17partition_subalgoE6EsNS0_10empty_typeEbEEZZNS1_14partition_implILS5_6ELb0ES3_mN6thrust23THRUST_200600_302600_NS6detail15normal_iteratorINSA_10device_ptrIsEEEEPS6_SG_NS0_5tupleIJSF_S6_EEENSH_IJSG_SG_EEES6_PlJNSB_9not_fun_tINSB_10functional5actorINSM_9compositeIJNSM_27transparent_binary_operatorINSA_8equal_toIvEEEENSN_INSM_8argumentILj0EEEEENSM_5valueIsEEEEEEEEEEEE10hipError_tPvRmT3_T4_T5_T6_T7_T9_mT8_P12ihipStream_tbDpT10_ENKUlT_T0_E_clISt17integral_constantIbLb1EES1J_IbLb0EEEEDaS1F_S1G_EUlS1F_E_NS1_11comp_targetILNS1_3genE0ELNS1_11target_archE4294967295ELNS1_3gpuE0ELNS1_3repE0EEENS1_30default_config_static_selectorELNS0_4arch9wavefront6targetE0EEEvT1_,@function
_ZN7rocprim17ROCPRIM_400000_NS6detail17trampoline_kernelINS0_14default_configENS1_25partition_config_selectorILNS1_17partition_subalgoE6EsNS0_10empty_typeEbEEZZNS1_14partition_implILS5_6ELb0ES3_mN6thrust23THRUST_200600_302600_NS6detail15normal_iteratorINSA_10device_ptrIsEEEEPS6_SG_NS0_5tupleIJSF_S6_EEENSH_IJSG_SG_EEES6_PlJNSB_9not_fun_tINSB_10functional5actorINSM_9compositeIJNSM_27transparent_binary_operatorINSA_8equal_toIvEEEENSN_INSM_8argumentILj0EEEEENSM_5valueIsEEEEEEEEEEEE10hipError_tPvRmT3_T4_T5_T6_T7_T9_mT8_P12ihipStream_tbDpT10_ENKUlT_T0_E_clISt17integral_constantIbLb1EES1J_IbLb0EEEEDaS1F_S1G_EUlS1F_E_NS1_11comp_targetILNS1_3genE0ELNS1_11target_archE4294967295ELNS1_3gpuE0ELNS1_3repE0EEENS1_30default_config_static_selectorELNS0_4arch9wavefront6targetE0EEEvT1_: ; @_ZN7rocprim17ROCPRIM_400000_NS6detail17trampoline_kernelINS0_14default_configENS1_25partition_config_selectorILNS1_17partition_subalgoE6EsNS0_10empty_typeEbEEZZNS1_14partition_implILS5_6ELb0ES3_mN6thrust23THRUST_200600_302600_NS6detail15normal_iteratorINSA_10device_ptrIsEEEEPS6_SG_NS0_5tupleIJSF_S6_EEENSH_IJSG_SG_EEES6_PlJNSB_9not_fun_tINSB_10functional5actorINSM_9compositeIJNSM_27transparent_binary_operatorINSA_8equal_toIvEEEENSN_INSM_8argumentILj0EEEEENSM_5valueIsEEEEEEEEEEEE10hipError_tPvRmT3_T4_T5_T6_T7_T9_mT8_P12ihipStream_tbDpT10_ENKUlT_T0_E_clISt17integral_constantIbLb1EES1J_IbLb0EEEEDaS1F_S1G_EUlS1F_E_NS1_11comp_targetILNS1_3genE0ELNS1_11target_archE4294967295ELNS1_3gpuE0ELNS1_3repE0EEENS1_30default_config_static_selectorELNS0_4arch9wavefront6targetE0EEEvT1_
; %bb.0:
	.section	.rodata,"a",@progbits
	.p2align	6, 0x0
	.amdhsa_kernel _ZN7rocprim17ROCPRIM_400000_NS6detail17trampoline_kernelINS0_14default_configENS1_25partition_config_selectorILNS1_17partition_subalgoE6EsNS0_10empty_typeEbEEZZNS1_14partition_implILS5_6ELb0ES3_mN6thrust23THRUST_200600_302600_NS6detail15normal_iteratorINSA_10device_ptrIsEEEEPS6_SG_NS0_5tupleIJSF_S6_EEENSH_IJSG_SG_EEES6_PlJNSB_9not_fun_tINSB_10functional5actorINSM_9compositeIJNSM_27transparent_binary_operatorINSA_8equal_toIvEEEENSN_INSM_8argumentILj0EEEEENSM_5valueIsEEEEEEEEEEEE10hipError_tPvRmT3_T4_T5_T6_T7_T9_mT8_P12ihipStream_tbDpT10_ENKUlT_T0_E_clISt17integral_constantIbLb1EES1J_IbLb0EEEEDaS1F_S1G_EUlS1F_E_NS1_11comp_targetILNS1_3genE0ELNS1_11target_archE4294967295ELNS1_3gpuE0ELNS1_3repE0EEENS1_30default_config_static_selectorELNS0_4arch9wavefront6targetE0EEEvT1_
		.amdhsa_group_segment_fixed_size 0
		.amdhsa_private_segment_fixed_size 0
		.amdhsa_kernarg_size 120
		.amdhsa_user_sgpr_count 2
		.amdhsa_user_sgpr_dispatch_ptr 0
		.amdhsa_user_sgpr_queue_ptr 0
		.amdhsa_user_sgpr_kernarg_segment_ptr 1
		.amdhsa_user_sgpr_dispatch_id 0
		.amdhsa_user_sgpr_private_segment_size 0
		.amdhsa_wavefront_size32 1
		.amdhsa_uses_dynamic_stack 0
		.amdhsa_enable_private_segment 0
		.amdhsa_system_sgpr_workgroup_id_x 1
		.amdhsa_system_sgpr_workgroup_id_y 0
		.amdhsa_system_sgpr_workgroup_id_z 0
		.amdhsa_system_sgpr_workgroup_info 0
		.amdhsa_system_vgpr_workitem_id 0
		.amdhsa_next_free_vgpr 1
		.amdhsa_next_free_sgpr 1
		.amdhsa_reserve_vcc 0
		.amdhsa_float_round_mode_32 0
		.amdhsa_float_round_mode_16_64 0
		.amdhsa_float_denorm_mode_32 3
		.amdhsa_float_denorm_mode_16_64 3
		.amdhsa_fp16_overflow 0
		.amdhsa_workgroup_processor_mode 1
		.amdhsa_memory_ordered 1
		.amdhsa_forward_progress 1
		.amdhsa_inst_pref_size 0
		.amdhsa_round_robin_scheduling 0
		.amdhsa_exception_fp_ieee_invalid_op 0
		.amdhsa_exception_fp_denorm_src 0
		.amdhsa_exception_fp_ieee_div_zero 0
		.amdhsa_exception_fp_ieee_overflow 0
		.amdhsa_exception_fp_ieee_underflow 0
		.amdhsa_exception_fp_ieee_inexact 0
		.amdhsa_exception_int_div_zero 0
	.end_amdhsa_kernel
	.section	.text._ZN7rocprim17ROCPRIM_400000_NS6detail17trampoline_kernelINS0_14default_configENS1_25partition_config_selectorILNS1_17partition_subalgoE6EsNS0_10empty_typeEbEEZZNS1_14partition_implILS5_6ELb0ES3_mN6thrust23THRUST_200600_302600_NS6detail15normal_iteratorINSA_10device_ptrIsEEEEPS6_SG_NS0_5tupleIJSF_S6_EEENSH_IJSG_SG_EEES6_PlJNSB_9not_fun_tINSB_10functional5actorINSM_9compositeIJNSM_27transparent_binary_operatorINSA_8equal_toIvEEEENSN_INSM_8argumentILj0EEEEENSM_5valueIsEEEEEEEEEEEE10hipError_tPvRmT3_T4_T5_T6_T7_T9_mT8_P12ihipStream_tbDpT10_ENKUlT_T0_E_clISt17integral_constantIbLb1EES1J_IbLb0EEEEDaS1F_S1G_EUlS1F_E_NS1_11comp_targetILNS1_3genE0ELNS1_11target_archE4294967295ELNS1_3gpuE0ELNS1_3repE0EEENS1_30default_config_static_selectorELNS0_4arch9wavefront6targetE0EEEvT1_,"axG",@progbits,_ZN7rocprim17ROCPRIM_400000_NS6detail17trampoline_kernelINS0_14default_configENS1_25partition_config_selectorILNS1_17partition_subalgoE6EsNS0_10empty_typeEbEEZZNS1_14partition_implILS5_6ELb0ES3_mN6thrust23THRUST_200600_302600_NS6detail15normal_iteratorINSA_10device_ptrIsEEEEPS6_SG_NS0_5tupleIJSF_S6_EEENSH_IJSG_SG_EEES6_PlJNSB_9not_fun_tINSB_10functional5actorINSM_9compositeIJNSM_27transparent_binary_operatorINSA_8equal_toIvEEEENSN_INSM_8argumentILj0EEEEENSM_5valueIsEEEEEEEEEEEE10hipError_tPvRmT3_T4_T5_T6_T7_T9_mT8_P12ihipStream_tbDpT10_ENKUlT_T0_E_clISt17integral_constantIbLb1EES1J_IbLb0EEEEDaS1F_S1G_EUlS1F_E_NS1_11comp_targetILNS1_3genE0ELNS1_11target_archE4294967295ELNS1_3gpuE0ELNS1_3repE0EEENS1_30default_config_static_selectorELNS0_4arch9wavefront6targetE0EEEvT1_,comdat
.Lfunc_end260:
	.size	_ZN7rocprim17ROCPRIM_400000_NS6detail17trampoline_kernelINS0_14default_configENS1_25partition_config_selectorILNS1_17partition_subalgoE6EsNS0_10empty_typeEbEEZZNS1_14partition_implILS5_6ELb0ES3_mN6thrust23THRUST_200600_302600_NS6detail15normal_iteratorINSA_10device_ptrIsEEEEPS6_SG_NS0_5tupleIJSF_S6_EEENSH_IJSG_SG_EEES6_PlJNSB_9not_fun_tINSB_10functional5actorINSM_9compositeIJNSM_27transparent_binary_operatorINSA_8equal_toIvEEEENSN_INSM_8argumentILj0EEEEENSM_5valueIsEEEEEEEEEEEE10hipError_tPvRmT3_T4_T5_T6_T7_T9_mT8_P12ihipStream_tbDpT10_ENKUlT_T0_E_clISt17integral_constantIbLb1EES1J_IbLb0EEEEDaS1F_S1G_EUlS1F_E_NS1_11comp_targetILNS1_3genE0ELNS1_11target_archE4294967295ELNS1_3gpuE0ELNS1_3repE0EEENS1_30default_config_static_selectorELNS0_4arch9wavefront6targetE0EEEvT1_, .Lfunc_end260-_ZN7rocprim17ROCPRIM_400000_NS6detail17trampoline_kernelINS0_14default_configENS1_25partition_config_selectorILNS1_17partition_subalgoE6EsNS0_10empty_typeEbEEZZNS1_14partition_implILS5_6ELb0ES3_mN6thrust23THRUST_200600_302600_NS6detail15normal_iteratorINSA_10device_ptrIsEEEEPS6_SG_NS0_5tupleIJSF_S6_EEENSH_IJSG_SG_EEES6_PlJNSB_9not_fun_tINSB_10functional5actorINSM_9compositeIJNSM_27transparent_binary_operatorINSA_8equal_toIvEEEENSN_INSM_8argumentILj0EEEEENSM_5valueIsEEEEEEEEEEEE10hipError_tPvRmT3_T4_T5_T6_T7_T9_mT8_P12ihipStream_tbDpT10_ENKUlT_T0_E_clISt17integral_constantIbLb1EES1J_IbLb0EEEEDaS1F_S1G_EUlS1F_E_NS1_11comp_targetILNS1_3genE0ELNS1_11target_archE4294967295ELNS1_3gpuE0ELNS1_3repE0EEENS1_30default_config_static_selectorELNS0_4arch9wavefront6targetE0EEEvT1_
                                        ; -- End function
	.set _ZN7rocprim17ROCPRIM_400000_NS6detail17trampoline_kernelINS0_14default_configENS1_25partition_config_selectorILNS1_17partition_subalgoE6EsNS0_10empty_typeEbEEZZNS1_14partition_implILS5_6ELb0ES3_mN6thrust23THRUST_200600_302600_NS6detail15normal_iteratorINSA_10device_ptrIsEEEEPS6_SG_NS0_5tupleIJSF_S6_EEENSH_IJSG_SG_EEES6_PlJNSB_9not_fun_tINSB_10functional5actorINSM_9compositeIJNSM_27transparent_binary_operatorINSA_8equal_toIvEEEENSN_INSM_8argumentILj0EEEEENSM_5valueIsEEEEEEEEEEEE10hipError_tPvRmT3_T4_T5_T6_T7_T9_mT8_P12ihipStream_tbDpT10_ENKUlT_T0_E_clISt17integral_constantIbLb1EES1J_IbLb0EEEEDaS1F_S1G_EUlS1F_E_NS1_11comp_targetILNS1_3genE0ELNS1_11target_archE4294967295ELNS1_3gpuE0ELNS1_3repE0EEENS1_30default_config_static_selectorELNS0_4arch9wavefront6targetE0EEEvT1_.num_vgpr, 0
	.set _ZN7rocprim17ROCPRIM_400000_NS6detail17trampoline_kernelINS0_14default_configENS1_25partition_config_selectorILNS1_17partition_subalgoE6EsNS0_10empty_typeEbEEZZNS1_14partition_implILS5_6ELb0ES3_mN6thrust23THRUST_200600_302600_NS6detail15normal_iteratorINSA_10device_ptrIsEEEEPS6_SG_NS0_5tupleIJSF_S6_EEENSH_IJSG_SG_EEES6_PlJNSB_9not_fun_tINSB_10functional5actorINSM_9compositeIJNSM_27transparent_binary_operatorINSA_8equal_toIvEEEENSN_INSM_8argumentILj0EEEEENSM_5valueIsEEEEEEEEEEEE10hipError_tPvRmT3_T4_T5_T6_T7_T9_mT8_P12ihipStream_tbDpT10_ENKUlT_T0_E_clISt17integral_constantIbLb1EES1J_IbLb0EEEEDaS1F_S1G_EUlS1F_E_NS1_11comp_targetILNS1_3genE0ELNS1_11target_archE4294967295ELNS1_3gpuE0ELNS1_3repE0EEENS1_30default_config_static_selectorELNS0_4arch9wavefront6targetE0EEEvT1_.num_agpr, 0
	.set _ZN7rocprim17ROCPRIM_400000_NS6detail17trampoline_kernelINS0_14default_configENS1_25partition_config_selectorILNS1_17partition_subalgoE6EsNS0_10empty_typeEbEEZZNS1_14partition_implILS5_6ELb0ES3_mN6thrust23THRUST_200600_302600_NS6detail15normal_iteratorINSA_10device_ptrIsEEEEPS6_SG_NS0_5tupleIJSF_S6_EEENSH_IJSG_SG_EEES6_PlJNSB_9not_fun_tINSB_10functional5actorINSM_9compositeIJNSM_27transparent_binary_operatorINSA_8equal_toIvEEEENSN_INSM_8argumentILj0EEEEENSM_5valueIsEEEEEEEEEEEE10hipError_tPvRmT3_T4_T5_T6_T7_T9_mT8_P12ihipStream_tbDpT10_ENKUlT_T0_E_clISt17integral_constantIbLb1EES1J_IbLb0EEEEDaS1F_S1G_EUlS1F_E_NS1_11comp_targetILNS1_3genE0ELNS1_11target_archE4294967295ELNS1_3gpuE0ELNS1_3repE0EEENS1_30default_config_static_selectorELNS0_4arch9wavefront6targetE0EEEvT1_.numbered_sgpr, 0
	.set _ZN7rocprim17ROCPRIM_400000_NS6detail17trampoline_kernelINS0_14default_configENS1_25partition_config_selectorILNS1_17partition_subalgoE6EsNS0_10empty_typeEbEEZZNS1_14partition_implILS5_6ELb0ES3_mN6thrust23THRUST_200600_302600_NS6detail15normal_iteratorINSA_10device_ptrIsEEEEPS6_SG_NS0_5tupleIJSF_S6_EEENSH_IJSG_SG_EEES6_PlJNSB_9not_fun_tINSB_10functional5actorINSM_9compositeIJNSM_27transparent_binary_operatorINSA_8equal_toIvEEEENSN_INSM_8argumentILj0EEEEENSM_5valueIsEEEEEEEEEEEE10hipError_tPvRmT3_T4_T5_T6_T7_T9_mT8_P12ihipStream_tbDpT10_ENKUlT_T0_E_clISt17integral_constantIbLb1EES1J_IbLb0EEEEDaS1F_S1G_EUlS1F_E_NS1_11comp_targetILNS1_3genE0ELNS1_11target_archE4294967295ELNS1_3gpuE0ELNS1_3repE0EEENS1_30default_config_static_selectorELNS0_4arch9wavefront6targetE0EEEvT1_.num_named_barrier, 0
	.set _ZN7rocprim17ROCPRIM_400000_NS6detail17trampoline_kernelINS0_14default_configENS1_25partition_config_selectorILNS1_17partition_subalgoE6EsNS0_10empty_typeEbEEZZNS1_14partition_implILS5_6ELb0ES3_mN6thrust23THRUST_200600_302600_NS6detail15normal_iteratorINSA_10device_ptrIsEEEEPS6_SG_NS0_5tupleIJSF_S6_EEENSH_IJSG_SG_EEES6_PlJNSB_9not_fun_tINSB_10functional5actorINSM_9compositeIJNSM_27transparent_binary_operatorINSA_8equal_toIvEEEENSN_INSM_8argumentILj0EEEEENSM_5valueIsEEEEEEEEEEEE10hipError_tPvRmT3_T4_T5_T6_T7_T9_mT8_P12ihipStream_tbDpT10_ENKUlT_T0_E_clISt17integral_constantIbLb1EES1J_IbLb0EEEEDaS1F_S1G_EUlS1F_E_NS1_11comp_targetILNS1_3genE0ELNS1_11target_archE4294967295ELNS1_3gpuE0ELNS1_3repE0EEENS1_30default_config_static_selectorELNS0_4arch9wavefront6targetE0EEEvT1_.private_seg_size, 0
	.set _ZN7rocprim17ROCPRIM_400000_NS6detail17trampoline_kernelINS0_14default_configENS1_25partition_config_selectorILNS1_17partition_subalgoE6EsNS0_10empty_typeEbEEZZNS1_14partition_implILS5_6ELb0ES3_mN6thrust23THRUST_200600_302600_NS6detail15normal_iteratorINSA_10device_ptrIsEEEEPS6_SG_NS0_5tupleIJSF_S6_EEENSH_IJSG_SG_EEES6_PlJNSB_9not_fun_tINSB_10functional5actorINSM_9compositeIJNSM_27transparent_binary_operatorINSA_8equal_toIvEEEENSN_INSM_8argumentILj0EEEEENSM_5valueIsEEEEEEEEEEEE10hipError_tPvRmT3_T4_T5_T6_T7_T9_mT8_P12ihipStream_tbDpT10_ENKUlT_T0_E_clISt17integral_constantIbLb1EES1J_IbLb0EEEEDaS1F_S1G_EUlS1F_E_NS1_11comp_targetILNS1_3genE0ELNS1_11target_archE4294967295ELNS1_3gpuE0ELNS1_3repE0EEENS1_30default_config_static_selectorELNS0_4arch9wavefront6targetE0EEEvT1_.uses_vcc, 0
	.set _ZN7rocprim17ROCPRIM_400000_NS6detail17trampoline_kernelINS0_14default_configENS1_25partition_config_selectorILNS1_17partition_subalgoE6EsNS0_10empty_typeEbEEZZNS1_14partition_implILS5_6ELb0ES3_mN6thrust23THRUST_200600_302600_NS6detail15normal_iteratorINSA_10device_ptrIsEEEEPS6_SG_NS0_5tupleIJSF_S6_EEENSH_IJSG_SG_EEES6_PlJNSB_9not_fun_tINSB_10functional5actorINSM_9compositeIJNSM_27transparent_binary_operatorINSA_8equal_toIvEEEENSN_INSM_8argumentILj0EEEEENSM_5valueIsEEEEEEEEEEEE10hipError_tPvRmT3_T4_T5_T6_T7_T9_mT8_P12ihipStream_tbDpT10_ENKUlT_T0_E_clISt17integral_constantIbLb1EES1J_IbLb0EEEEDaS1F_S1G_EUlS1F_E_NS1_11comp_targetILNS1_3genE0ELNS1_11target_archE4294967295ELNS1_3gpuE0ELNS1_3repE0EEENS1_30default_config_static_selectorELNS0_4arch9wavefront6targetE0EEEvT1_.uses_flat_scratch, 0
	.set _ZN7rocprim17ROCPRIM_400000_NS6detail17trampoline_kernelINS0_14default_configENS1_25partition_config_selectorILNS1_17partition_subalgoE6EsNS0_10empty_typeEbEEZZNS1_14partition_implILS5_6ELb0ES3_mN6thrust23THRUST_200600_302600_NS6detail15normal_iteratorINSA_10device_ptrIsEEEEPS6_SG_NS0_5tupleIJSF_S6_EEENSH_IJSG_SG_EEES6_PlJNSB_9not_fun_tINSB_10functional5actorINSM_9compositeIJNSM_27transparent_binary_operatorINSA_8equal_toIvEEEENSN_INSM_8argumentILj0EEEEENSM_5valueIsEEEEEEEEEEEE10hipError_tPvRmT3_T4_T5_T6_T7_T9_mT8_P12ihipStream_tbDpT10_ENKUlT_T0_E_clISt17integral_constantIbLb1EES1J_IbLb0EEEEDaS1F_S1G_EUlS1F_E_NS1_11comp_targetILNS1_3genE0ELNS1_11target_archE4294967295ELNS1_3gpuE0ELNS1_3repE0EEENS1_30default_config_static_selectorELNS0_4arch9wavefront6targetE0EEEvT1_.has_dyn_sized_stack, 0
	.set _ZN7rocprim17ROCPRIM_400000_NS6detail17trampoline_kernelINS0_14default_configENS1_25partition_config_selectorILNS1_17partition_subalgoE6EsNS0_10empty_typeEbEEZZNS1_14partition_implILS5_6ELb0ES3_mN6thrust23THRUST_200600_302600_NS6detail15normal_iteratorINSA_10device_ptrIsEEEEPS6_SG_NS0_5tupleIJSF_S6_EEENSH_IJSG_SG_EEES6_PlJNSB_9not_fun_tINSB_10functional5actorINSM_9compositeIJNSM_27transparent_binary_operatorINSA_8equal_toIvEEEENSN_INSM_8argumentILj0EEEEENSM_5valueIsEEEEEEEEEEEE10hipError_tPvRmT3_T4_T5_T6_T7_T9_mT8_P12ihipStream_tbDpT10_ENKUlT_T0_E_clISt17integral_constantIbLb1EES1J_IbLb0EEEEDaS1F_S1G_EUlS1F_E_NS1_11comp_targetILNS1_3genE0ELNS1_11target_archE4294967295ELNS1_3gpuE0ELNS1_3repE0EEENS1_30default_config_static_selectorELNS0_4arch9wavefront6targetE0EEEvT1_.has_recursion, 0
	.set _ZN7rocprim17ROCPRIM_400000_NS6detail17trampoline_kernelINS0_14default_configENS1_25partition_config_selectorILNS1_17partition_subalgoE6EsNS0_10empty_typeEbEEZZNS1_14partition_implILS5_6ELb0ES3_mN6thrust23THRUST_200600_302600_NS6detail15normal_iteratorINSA_10device_ptrIsEEEEPS6_SG_NS0_5tupleIJSF_S6_EEENSH_IJSG_SG_EEES6_PlJNSB_9not_fun_tINSB_10functional5actorINSM_9compositeIJNSM_27transparent_binary_operatorINSA_8equal_toIvEEEENSN_INSM_8argumentILj0EEEEENSM_5valueIsEEEEEEEEEEEE10hipError_tPvRmT3_T4_T5_T6_T7_T9_mT8_P12ihipStream_tbDpT10_ENKUlT_T0_E_clISt17integral_constantIbLb1EES1J_IbLb0EEEEDaS1F_S1G_EUlS1F_E_NS1_11comp_targetILNS1_3genE0ELNS1_11target_archE4294967295ELNS1_3gpuE0ELNS1_3repE0EEENS1_30default_config_static_selectorELNS0_4arch9wavefront6targetE0EEEvT1_.has_indirect_call, 0
	.section	.AMDGPU.csdata,"",@progbits
; Kernel info:
; codeLenInByte = 0
; TotalNumSgprs: 0
; NumVgprs: 0
; ScratchSize: 0
; MemoryBound: 0
; FloatMode: 240
; IeeeMode: 1
; LDSByteSize: 0 bytes/workgroup (compile time only)
; SGPRBlocks: 0
; VGPRBlocks: 0
; NumSGPRsForWavesPerEU: 1
; NumVGPRsForWavesPerEU: 1
; Occupancy: 16
; WaveLimiterHint : 0
; COMPUTE_PGM_RSRC2:SCRATCH_EN: 0
; COMPUTE_PGM_RSRC2:USER_SGPR: 2
; COMPUTE_PGM_RSRC2:TRAP_HANDLER: 0
; COMPUTE_PGM_RSRC2:TGID_X_EN: 1
; COMPUTE_PGM_RSRC2:TGID_Y_EN: 0
; COMPUTE_PGM_RSRC2:TGID_Z_EN: 0
; COMPUTE_PGM_RSRC2:TIDIG_COMP_CNT: 0
	.section	.text._ZN7rocprim17ROCPRIM_400000_NS6detail17trampoline_kernelINS0_14default_configENS1_25partition_config_selectorILNS1_17partition_subalgoE6EsNS0_10empty_typeEbEEZZNS1_14partition_implILS5_6ELb0ES3_mN6thrust23THRUST_200600_302600_NS6detail15normal_iteratorINSA_10device_ptrIsEEEEPS6_SG_NS0_5tupleIJSF_S6_EEENSH_IJSG_SG_EEES6_PlJNSB_9not_fun_tINSB_10functional5actorINSM_9compositeIJNSM_27transparent_binary_operatorINSA_8equal_toIvEEEENSN_INSM_8argumentILj0EEEEENSM_5valueIsEEEEEEEEEEEE10hipError_tPvRmT3_T4_T5_T6_T7_T9_mT8_P12ihipStream_tbDpT10_ENKUlT_T0_E_clISt17integral_constantIbLb1EES1J_IbLb0EEEEDaS1F_S1G_EUlS1F_E_NS1_11comp_targetILNS1_3genE5ELNS1_11target_archE942ELNS1_3gpuE9ELNS1_3repE0EEENS1_30default_config_static_selectorELNS0_4arch9wavefront6targetE0EEEvT1_,"axG",@progbits,_ZN7rocprim17ROCPRIM_400000_NS6detail17trampoline_kernelINS0_14default_configENS1_25partition_config_selectorILNS1_17partition_subalgoE6EsNS0_10empty_typeEbEEZZNS1_14partition_implILS5_6ELb0ES3_mN6thrust23THRUST_200600_302600_NS6detail15normal_iteratorINSA_10device_ptrIsEEEEPS6_SG_NS0_5tupleIJSF_S6_EEENSH_IJSG_SG_EEES6_PlJNSB_9not_fun_tINSB_10functional5actorINSM_9compositeIJNSM_27transparent_binary_operatorINSA_8equal_toIvEEEENSN_INSM_8argumentILj0EEEEENSM_5valueIsEEEEEEEEEEEE10hipError_tPvRmT3_T4_T5_T6_T7_T9_mT8_P12ihipStream_tbDpT10_ENKUlT_T0_E_clISt17integral_constantIbLb1EES1J_IbLb0EEEEDaS1F_S1G_EUlS1F_E_NS1_11comp_targetILNS1_3genE5ELNS1_11target_archE942ELNS1_3gpuE9ELNS1_3repE0EEENS1_30default_config_static_selectorELNS0_4arch9wavefront6targetE0EEEvT1_,comdat
	.protected	_ZN7rocprim17ROCPRIM_400000_NS6detail17trampoline_kernelINS0_14default_configENS1_25partition_config_selectorILNS1_17partition_subalgoE6EsNS0_10empty_typeEbEEZZNS1_14partition_implILS5_6ELb0ES3_mN6thrust23THRUST_200600_302600_NS6detail15normal_iteratorINSA_10device_ptrIsEEEEPS6_SG_NS0_5tupleIJSF_S6_EEENSH_IJSG_SG_EEES6_PlJNSB_9not_fun_tINSB_10functional5actorINSM_9compositeIJNSM_27transparent_binary_operatorINSA_8equal_toIvEEEENSN_INSM_8argumentILj0EEEEENSM_5valueIsEEEEEEEEEEEE10hipError_tPvRmT3_T4_T5_T6_T7_T9_mT8_P12ihipStream_tbDpT10_ENKUlT_T0_E_clISt17integral_constantIbLb1EES1J_IbLb0EEEEDaS1F_S1G_EUlS1F_E_NS1_11comp_targetILNS1_3genE5ELNS1_11target_archE942ELNS1_3gpuE9ELNS1_3repE0EEENS1_30default_config_static_selectorELNS0_4arch9wavefront6targetE0EEEvT1_ ; -- Begin function _ZN7rocprim17ROCPRIM_400000_NS6detail17trampoline_kernelINS0_14default_configENS1_25partition_config_selectorILNS1_17partition_subalgoE6EsNS0_10empty_typeEbEEZZNS1_14partition_implILS5_6ELb0ES3_mN6thrust23THRUST_200600_302600_NS6detail15normal_iteratorINSA_10device_ptrIsEEEEPS6_SG_NS0_5tupleIJSF_S6_EEENSH_IJSG_SG_EEES6_PlJNSB_9not_fun_tINSB_10functional5actorINSM_9compositeIJNSM_27transparent_binary_operatorINSA_8equal_toIvEEEENSN_INSM_8argumentILj0EEEEENSM_5valueIsEEEEEEEEEEEE10hipError_tPvRmT3_T4_T5_T6_T7_T9_mT8_P12ihipStream_tbDpT10_ENKUlT_T0_E_clISt17integral_constantIbLb1EES1J_IbLb0EEEEDaS1F_S1G_EUlS1F_E_NS1_11comp_targetILNS1_3genE5ELNS1_11target_archE942ELNS1_3gpuE9ELNS1_3repE0EEENS1_30default_config_static_selectorELNS0_4arch9wavefront6targetE0EEEvT1_
	.globl	_ZN7rocprim17ROCPRIM_400000_NS6detail17trampoline_kernelINS0_14default_configENS1_25partition_config_selectorILNS1_17partition_subalgoE6EsNS0_10empty_typeEbEEZZNS1_14partition_implILS5_6ELb0ES3_mN6thrust23THRUST_200600_302600_NS6detail15normal_iteratorINSA_10device_ptrIsEEEEPS6_SG_NS0_5tupleIJSF_S6_EEENSH_IJSG_SG_EEES6_PlJNSB_9not_fun_tINSB_10functional5actorINSM_9compositeIJNSM_27transparent_binary_operatorINSA_8equal_toIvEEEENSN_INSM_8argumentILj0EEEEENSM_5valueIsEEEEEEEEEEEE10hipError_tPvRmT3_T4_T5_T6_T7_T9_mT8_P12ihipStream_tbDpT10_ENKUlT_T0_E_clISt17integral_constantIbLb1EES1J_IbLb0EEEEDaS1F_S1G_EUlS1F_E_NS1_11comp_targetILNS1_3genE5ELNS1_11target_archE942ELNS1_3gpuE9ELNS1_3repE0EEENS1_30default_config_static_selectorELNS0_4arch9wavefront6targetE0EEEvT1_
	.p2align	8
	.type	_ZN7rocprim17ROCPRIM_400000_NS6detail17trampoline_kernelINS0_14default_configENS1_25partition_config_selectorILNS1_17partition_subalgoE6EsNS0_10empty_typeEbEEZZNS1_14partition_implILS5_6ELb0ES3_mN6thrust23THRUST_200600_302600_NS6detail15normal_iteratorINSA_10device_ptrIsEEEEPS6_SG_NS0_5tupleIJSF_S6_EEENSH_IJSG_SG_EEES6_PlJNSB_9not_fun_tINSB_10functional5actorINSM_9compositeIJNSM_27transparent_binary_operatorINSA_8equal_toIvEEEENSN_INSM_8argumentILj0EEEEENSM_5valueIsEEEEEEEEEEEE10hipError_tPvRmT3_T4_T5_T6_T7_T9_mT8_P12ihipStream_tbDpT10_ENKUlT_T0_E_clISt17integral_constantIbLb1EES1J_IbLb0EEEEDaS1F_S1G_EUlS1F_E_NS1_11comp_targetILNS1_3genE5ELNS1_11target_archE942ELNS1_3gpuE9ELNS1_3repE0EEENS1_30default_config_static_selectorELNS0_4arch9wavefront6targetE0EEEvT1_,@function
_ZN7rocprim17ROCPRIM_400000_NS6detail17trampoline_kernelINS0_14default_configENS1_25partition_config_selectorILNS1_17partition_subalgoE6EsNS0_10empty_typeEbEEZZNS1_14partition_implILS5_6ELb0ES3_mN6thrust23THRUST_200600_302600_NS6detail15normal_iteratorINSA_10device_ptrIsEEEEPS6_SG_NS0_5tupleIJSF_S6_EEENSH_IJSG_SG_EEES6_PlJNSB_9not_fun_tINSB_10functional5actorINSM_9compositeIJNSM_27transparent_binary_operatorINSA_8equal_toIvEEEENSN_INSM_8argumentILj0EEEEENSM_5valueIsEEEEEEEEEEEE10hipError_tPvRmT3_T4_T5_T6_T7_T9_mT8_P12ihipStream_tbDpT10_ENKUlT_T0_E_clISt17integral_constantIbLb1EES1J_IbLb0EEEEDaS1F_S1G_EUlS1F_E_NS1_11comp_targetILNS1_3genE5ELNS1_11target_archE942ELNS1_3gpuE9ELNS1_3repE0EEENS1_30default_config_static_selectorELNS0_4arch9wavefront6targetE0EEEvT1_: ; @_ZN7rocprim17ROCPRIM_400000_NS6detail17trampoline_kernelINS0_14default_configENS1_25partition_config_selectorILNS1_17partition_subalgoE6EsNS0_10empty_typeEbEEZZNS1_14partition_implILS5_6ELb0ES3_mN6thrust23THRUST_200600_302600_NS6detail15normal_iteratorINSA_10device_ptrIsEEEEPS6_SG_NS0_5tupleIJSF_S6_EEENSH_IJSG_SG_EEES6_PlJNSB_9not_fun_tINSB_10functional5actorINSM_9compositeIJNSM_27transparent_binary_operatorINSA_8equal_toIvEEEENSN_INSM_8argumentILj0EEEEENSM_5valueIsEEEEEEEEEEEE10hipError_tPvRmT3_T4_T5_T6_T7_T9_mT8_P12ihipStream_tbDpT10_ENKUlT_T0_E_clISt17integral_constantIbLb1EES1J_IbLb0EEEEDaS1F_S1G_EUlS1F_E_NS1_11comp_targetILNS1_3genE5ELNS1_11target_archE942ELNS1_3gpuE9ELNS1_3repE0EEENS1_30default_config_static_selectorELNS0_4arch9wavefront6targetE0EEEvT1_
; %bb.0:
	.section	.rodata,"a",@progbits
	.p2align	6, 0x0
	.amdhsa_kernel _ZN7rocprim17ROCPRIM_400000_NS6detail17trampoline_kernelINS0_14default_configENS1_25partition_config_selectorILNS1_17partition_subalgoE6EsNS0_10empty_typeEbEEZZNS1_14partition_implILS5_6ELb0ES3_mN6thrust23THRUST_200600_302600_NS6detail15normal_iteratorINSA_10device_ptrIsEEEEPS6_SG_NS0_5tupleIJSF_S6_EEENSH_IJSG_SG_EEES6_PlJNSB_9not_fun_tINSB_10functional5actorINSM_9compositeIJNSM_27transparent_binary_operatorINSA_8equal_toIvEEEENSN_INSM_8argumentILj0EEEEENSM_5valueIsEEEEEEEEEEEE10hipError_tPvRmT3_T4_T5_T6_T7_T9_mT8_P12ihipStream_tbDpT10_ENKUlT_T0_E_clISt17integral_constantIbLb1EES1J_IbLb0EEEEDaS1F_S1G_EUlS1F_E_NS1_11comp_targetILNS1_3genE5ELNS1_11target_archE942ELNS1_3gpuE9ELNS1_3repE0EEENS1_30default_config_static_selectorELNS0_4arch9wavefront6targetE0EEEvT1_
		.amdhsa_group_segment_fixed_size 0
		.amdhsa_private_segment_fixed_size 0
		.amdhsa_kernarg_size 120
		.amdhsa_user_sgpr_count 2
		.amdhsa_user_sgpr_dispatch_ptr 0
		.amdhsa_user_sgpr_queue_ptr 0
		.amdhsa_user_sgpr_kernarg_segment_ptr 1
		.amdhsa_user_sgpr_dispatch_id 0
		.amdhsa_user_sgpr_private_segment_size 0
		.amdhsa_wavefront_size32 1
		.amdhsa_uses_dynamic_stack 0
		.amdhsa_enable_private_segment 0
		.amdhsa_system_sgpr_workgroup_id_x 1
		.amdhsa_system_sgpr_workgroup_id_y 0
		.amdhsa_system_sgpr_workgroup_id_z 0
		.amdhsa_system_sgpr_workgroup_info 0
		.amdhsa_system_vgpr_workitem_id 0
		.amdhsa_next_free_vgpr 1
		.amdhsa_next_free_sgpr 1
		.amdhsa_reserve_vcc 0
		.amdhsa_float_round_mode_32 0
		.amdhsa_float_round_mode_16_64 0
		.amdhsa_float_denorm_mode_32 3
		.amdhsa_float_denorm_mode_16_64 3
		.amdhsa_fp16_overflow 0
		.amdhsa_workgroup_processor_mode 1
		.amdhsa_memory_ordered 1
		.amdhsa_forward_progress 1
		.amdhsa_inst_pref_size 0
		.amdhsa_round_robin_scheduling 0
		.amdhsa_exception_fp_ieee_invalid_op 0
		.amdhsa_exception_fp_denorm_src 0
		.amdhsa_exception_fp_ieee_div_zero 0
		.amdhsa_exception_fp_ieee_overflow 0
		.amdhsa_exception_fp_ieee_underflow 0
		.amdhsa_exception_fp_ieee_inexact 0
		.amdhsa_exception_int_div_zero 0
	.end_amdhsa_kernel
	.section	.text._ZN7rocprim17ROCPRIM_400000_NS6detail17trampoline_kernelINS0_14default_configENS1_25partition_config_selectorILNS1_17partition_subalgoE6EsNS0_10empty_typeEbEEZZNS1_14partition_implILS5_6ELb0ES3_mN6thrust23THRUST_200600_302600_NS6detail15normal_iteratorINSA_10device_ptrIsEEEEPS6_SG_NS0_5tupleIJSF_S6_EEENSH_IJSG_SG_EEES6_PlJNSB_9not_fun_tINSB_10functional5actorINSM_9compositeIJNSM_27transparent_binary_operatorINSA_8equal_toIvEEEENSN_INSM_8argumentILj0EEEEENSM_5valueIsEEEEEEEEEEEE10hipError_tPvRmT3_T4_T5_T6_T7_T9_mT8_P12ihipStream_tbDpT10_ENKUlT_T0_E_clISt17integral_constantIbLb1EES1J_IbLb0EEEEDaS1F_S1G_EUlS1F_E_NS1_11comp_targetILNS1_3genE5ELNS1_11target_archE942ELNS1_3gpuE9ELNS1_3repE0EEENS1_30default_config_static_selectorELNS0_4arch9wavefront6targetE0EEEvT1_,"axG",@progbits,_ZN7rocprim17ROCPRIM_400000_NS6detail17trampoline_kernelINS0_14default_configENS1_25partition_config_selectorILNS1_17partition_subalgoE6EsNS0_10empty_typeEbEEZZNS1_14partition_implILS5_6ELb0ES3_mN6thrust23THRUST_200600_302600_NS6detail15normal_iteratorINSA_10device_ptrIsEEEEPS6_SG_NS0_5tupleIJSF_S6_EEENSH_IJSG_SG_EEES6_PlJNSB_9not_fun_tINSB_10functional5actorINSM_9compositeIJNSM_27transparent_binary_operatorINSA_8equal_toIvEEEENSN_INSM_8argumentILj0EEEEENSM_5valueIsEEEEEEEEEEEE10hipError_tPvRmT3_T4_T5_T6_T7_T9_mT8_P12ihipStream_tbDpT10_ENKUlT_T0_E_clISt17integral_constantIbLb1EES1J_IbLb0EEEEDaS1F_S1G_EUlS1F_E_NS1_11comp_targetILNS1_3genE5ELNS1_11target_archE942ELNS1_3gpuE9ELNS1_3repE0EEENS1_30default_config_static_selectorELNS0_4arch9wavefront6targetE0EEEvT1_,comdat
.Lfunc_end261:
	.size	_ZN7rocprim17ROCPRIM_400000_NS6detail17trampoline_kernelINS0_14default_configENS1_25partition_config_selectorILNS1_17partition_subalgoE6EsNS0_10empty_typeEbEEZZNS1_14partition_implILS5_6ELb0ES3_mN6thrust23THRUST_200600_302600_NS6detail15normal_iteratorINSA_10device_ptrIsEEEEPS6_SG_NS0_5tupleIJSF_S6_EEENSH_IJSG_SG_EEES6_PlJNSB_9not_fun_tINSB_10functional5actorINSM_9compositeIJNSM_27transparent_binary_operatorINSA_8equal_toIvEEEENSN_INSM_8argumentILj0EEEEENSM_5valueIsEEEEEEEEEEEE10hipError_tPvRmT3_T4_T5_T6_T7_T9_mT8_P12ihipStream_tbDpT10_ENKUlT_T0_E_clISt17integral_constantIbLb1EES1J_IbLb0EEEEDaS1F_S1G_EUlS1F_E_NS1_11comp_targetILNS1_3genE5ELNS1_11target_archE942ELNS1_3gpuE9ELNS1_3repE0EEENS1_30default_config_static_selectorELNS0_4arch9wavefront6targetE0EEEvT1_, .Lfunc_end261-_ZN7rocprim17ROCPRIM_400000_NS6detail17trampoline_kernelINS0_14default_configENS1_25partition_config_selectorILNS1_17partition_subalgoE6EsNS0_10empty_typeEbEEZZNS1_14partition_implILS5_6ELb0ES3_mN6thrust23THRUST_200600_302600_NS6detail15normal_iteratorINSA_10device_ptrIsEEEEPS6_SG_NS0_5tupleIJSF_S6_EEENSH_IJSG_SG_EEES6_PlJNSB_9not_fun_tINSB_10functional5actorINSM_9compositeIJNSM_27transparent_binary_operatorINSA_8equal_toIvEEEENSN_INSM_8argumentILj0EEEEENSM_5valueIsEEEEEEEEEEEE10hipError_tPvRmT3_T4_T5_T6_T7_T9_mT8_P12ihipStream_tbDpT10_ENKUlT_T0_E_clISt17integral_constantIbLb1EES1J_IbLb0EEEEDaS1F_S1G_EUlS1F_E_NS1_11comp_targetILNS1_3genE5ELNS1_11target_archE942ELNS1_3gpuE9ELNS1_3repE0EEENS1_30default_config_static_selectorELNS0_4arch9wavefront6targetE0EEEvT1_
                                        ; -- End function
	.set _ZN7rocprim17ROCPRIM_400000_NS6detail17trampoline_kernelINS0_14default_configENS1_25partition_config_selectorILNS1_17partition_subalgoE6EsNS0_10empty_typeEbEEZZNS1_14partition_implILS5_6ELb0ES3_mN6thrust23THRUST_200600_302600_NS6detail15normal_iteratorINSA_10device_ptrIsEEEEPS6_SG_NS0_5tupleIJSF_S6_EEENSH_IJSG_SG_EEES6_PlJNSB_9not_fun_tINSB_10functional5actorINSM_9compositeIJNSM_27transparent_binary_operatorINSA_8equal_toIvEEEENSN_INSM_8argumentILj0EEEEENSM_5valueIsEEEEEEEEEEEE10hipError_tPvRmT3_T4_T5_T6_T7_T9_mT8_P12ihipStream_tbDpT10_ENKUlT_T0_E_clISt17integral_constantIbLb1EES1J_IbLb0EEEEDaS1F_S1G_EUlS1F_E_NS1_11comp_targetILNS1_3genE5ELNS1_11target_archE942ELNS1_3gpuE9ELNS1_3repE0EEENS1_30default_config_static_selectorELNS0_4arch9wavefront6targetE0EEEvT1_.num_vgpr, 0
	.set _ZN7rocprim17ROCPRIM_400000_NS6detail17trampoline_kernelINS0_14default_configENS1_25partition_config_selectorILNS1_17partition_subalgoE6EsNS0_10empty_typeEbEEZZNS1_14partition_implILS5_6ELb0ES3_mN6thrust23THRUST_200600_302600_NS6detail15normal_iteratorINSA_10device_ptrIsEEEEPS6_SG_NS0_5tupleIJSF_S6_EEENSH_IJSG_SG_EEES6_PlJNSB_9not_fun_tINSB_10functional5actorINSM_9compositeIJNSM_27transparent_binary_operatorINSA_8equal_toIvEEEENSN_INSM_8argumentILj0EEEEENSM_5valueIsEEEEEEEEEEEE10hipError_tPvRmT3_T4_T5_T6_T7_T9_mT8_P12ihipStream_tbDpT10_ENKUlT_T0_E_clISt17integral_constantIbLb1EES1J_IbLb0EEEEDaS1F_S1G_EUlS1F_E_NS1_11comp_targetILNS1_3genE5ELNS1_11target_archE942ELNS1_3gpuE9ELNS1_3repE0EEENS1_30default_config_static_selectorELNS0_4arch9wavefront6targetE0EEEvT1_.num_agpr, 0
	.set _ZN7rocprim17ROCPRIM_400000_NS6detail17trampoline_kernelINS0_14default_configENS1_25partition_config_selectorILNS1_17partition_subalgoE6EsNS0_10empty_typeEbEEZZNS1_14partition_implILS5_6ELb0ES3_mN6thrust23THRUST_200600_302600_NS6detail15normal_iteratorINSA_10device_ptrIsEEEEPS6_SG_NS0_5tupleIJSF_S6_EEENSH_IJSG_SG_EEES6_PlJNSB_9not_fun_tINSB_10functional5actorINSM_9compositeIJNSM_27transparent_binary_operatorINSA_8equal_toIvEEEENSN_INSM_8argumentILj0EEEEENSM_5valueIsEEEEEEEEEEEE10hipError_tPvRmT3_T4_T5_T6_T7_T9_mT8_P12ihipStream_tbDpT10_ENKUlT_T0_E_clISt17integral_constantIbLb1EES1J_IbLb0EEEEDaS1F_S1G_EUlS1F_E_NS1_11comp_targetILNS1_3genE5ELNS1_11target_archE942ELNS1_3gpuE9ELNS1_3repE0EEENS1_30default_config_static_selectorELNS0_4arch9wavefront6targetE0EEEvT1_.numbered_sgpr, 0
	.set _ZN7rocprim17ROCPRIM_400000_NS6detail17trampoline_kernelINS0_14default_configENS1_25partition_config_selectorILNS1_17partition_subalgoE6EsNS0_10empty_typeEbEEZZNS1_14partition_implILS5_6ELb0ES3_mN6thrust23THRUST_200600_302600_NS6detail15normal_iteratorINSA_10device_ptrIsEEEEPS6_SG_NS0_5tupleIJSF_S6_EEENSH_IJSG_SG_EEES6_PlJNSB_9not_fun_tINSB_10functional5actorINSM_9compositeIJNSM_27transparent_binary_operatorINSA_8equal_toIvEEEENSN_INSM_8argumentILj0EEEEENSM_5valueIsEEEEEEEEEEEE10hipError_tPvRmT3_T4_T5_T6_T7_T9_mT8_P12ihipStream_tbDpT10_ENKUlT_T0_E_clISt17integral_constantIbLb1EES1J_IbLb0EEEEDaS1F_S1G_EUlS1F_E_NS1_11comp_targetILNS1_3genE5ELNS1_11target_archE942ELNS1_3gpuE9ELNS1_3repE0EEENS1_30default_config_static_selectorELNS0_4arch9wavefront6targetE0EEEvT1_.num_named_barrier, 0
	.set _ZN7rocprim17ROCPRIM_400000_NS6detail17trampoline_kernelINS0_14default_configENS1_25partition_config_selectorILNS1_17partition_subalgoE6EsNS0_10empty_typeEbEEZZNS1_14partition_implILS5_6ELb0ES3_mN6thrust23THRUST_200600_302600_NS6detail15normal_iteratorINSA_10device_ptrIsEEEEPS6_SG_NS0_5tupleIJSF_S6_EEENSH_IJSG_SG_EEES6_PlJNSB_9not_fun_tINSB_10functional5actorINSM_9compositeIJNSM_27transparent_binary_operatorINSA_8equal_toIvEEEENSN_INSM_8argumentILj0EEEEENSM_5valueIsEEEEEEEEEEEE10hipError_tPvRmT3_T4_T5_T6_T7_T9_mT8_P12ihipStream_tbDpT10_ENKUlT_T0_E_clISt17integral_constantIbLb1EES1J_IbLb0EEEEDaS1F_S1G_EUlS1F_E_NS1_11comp_targetILNS1_3genE5ELNS1_11target_archE942ELNS1_3gpuE9ELNS1_3repE0EEENS1_30default_config_static_selectorELNS0_4arch9wavefront6targetE0EEEvT1_.private_seg_size, 0
	.set _ZN7rocprim17ROCPRIM_400000_NS6detail17trampoline_kernelINS0_14default_configENS1_25partition_config_selectorILNS1_17partition_subalgoE6EsNS0_10empty_typeEbEEZZNS1_14partition_implILS5_6ELb0ES3_mN6thrust23THRUST_200600_302600_NS6detail15normal_iteratorINSA_10device_ptrIsEEEEPS6_SG_NS0_5tupleIJSF_S6_EEENSH_IJSG_SG_EEES6_PlJNSB_9not_fun_tINSB_10functional5actorINSM_9compositeIJNSM_27transparent_binary_operatorINSA_8equal_toIvEEEENSN_INSM_8argumentILj0EEEEENSM_5valueIsEEEEEEEEEEEE10hipError_tPvRmT3_T4_T5_T6_T7_T9_mT8_P12ihipStream_tbDpT10_ENKUlT_T0_E_clISt17integral_constantIbLb1EES1J_IbLb0EEEEDaS1F_S1G_EUlS1F_E_NS1_11comp_targetILNS1_3genE5ELNS1_11target_archE942ELNS1_3gpuE9ELNS1_3repE0EEENS1_30default_config_static_selectorELNS0_4arch9wavefront6targetE0EEEvT1_.uses_vcc, 0
	.set _ZN7rocprim17ROCPRIM_400000_NS6detail17trampoline_kernelINS0_14default_configENS1_25partition_config_selectorILNS1_17partition_subalgoE6EsNS0_10empty_typeEbEEZZNS1_14partition_implILS5_6ELb0ES3_mN6thrust23THRUST_200600_302600_NS6detail15normal_iteratorINSA_10device_ptrIsEEEEPS6_SG_NS0_5tupleIJSF_S6_EEENSH_IJSG_SG_EEES6_PlJNSB_9not_fun_tINSB_10functional5actorINSM_9compositeIJNSM_27transparent_binary_operatorINSA_8equal_toIvEEEENSN_INSM_8argumentILj0EEEEENSM_5valueIsEEEEEEEEEEEE10hipError_tPvRmT3_T4_T5_T6_T7_T9_mT8_P12ihipStream_tbDpT10_ENKUlT_T0_E_clISt17integral_constantIbLb1EES1J_IbLb0EEEEDaS1F_S1G_EUlS1F_E_NS1_11comp_targetILNS1_3genE5ELNS1_11target_archE942ELNS1_3gpuE9ELNS1_3repE0EEENS1_30default_config_static_selectorELNS0_4arch9wavefront6targetE0EEEvT1_.uses_flat_scratch, 0
	.set _ZN7rocprim17ROCPRIM_400000_NS6detail17trampoline_kernelINS0_14default_configENS1_25partition_config_selectorILNS1_17partition_subalgoE6EsNS0_10empty_typeEbEEZZNS1_14partition_implILS5_6ELb0ES3_mN6thrust23THRUST_200600_302600_NS6detail15normal_iteratorINSA_10device_ptrIsEEEEPS6_SG_NS0_5tupleIJSF_S6_EEENSH_IJSG_SG_EEES6_PlJNSB_9not_fun_tINSB_10functional5actorINSM_9compositeIJNSM_27transparent_binary_operatorINSA_8equal_toIvEEEENSN_INSM_8argumentILj0EEEEENSM_5valueIsEEEEEEEEEEEE10hipError_tPvRmT3_T4_T5_T6_T7_T9_mT8_P12ihipStream_tbDpT10_ENKUlT_T0_E_clISt17integral_constantIbLb1EES1J_IbLb0EEEEDaS1F_S1G_EUlS1F_E_NS1_11comp_targetILNS1_3genE5ELNS1_11target_archE942ELNS1_3gpuE9ELNS1_3repE0EEENS1_30default_config_static_selectorELNS0_4arch9wavefront6targetE0EEEvT1_.has_dyn_sized_stack, 0
	.set _ZN7rocprim17ROCPRIM_400000_NS6detail17trampoline_kernelINS0_14default_configENS1_25partition_config_selectorILNS1_17partition_subalgoE6EsNS0_10empty_typeEbEEZZNS1_14partition_implILS5_6ELb0ES3_mN6thrust23THRUST_200600_302600_NS6detail15normal_iteratorINSA_10device_ptrIsEEEEPS6_SG_NS0_5tupleIJSF_S6_EEENSH_IJSG_SG_EEES6_PlJNSB_9not_fun_tINSB_10functional5actorINSM_9compositeIJNSM_27transparent_binary_operatorINSA_8equal_toIvEEEENSN_INSM_8argumentILj0EEEEENSM_5valueIsEEEEEEEEEEEE10hipError_tPvRmT3_T4_T5_T6_T7_T9_mT8_P12ihipStream_tbDpT10_ENKUlT_T0_E_clISt17integral_constantIbLb1EES1J_IbLb0EEEEDaS1F_S1G_EUlS1F_E_NS1_11comp_targetILNS1_3genE5ELNS1_11target_archE942ELNS1_3gpuE9ELNS1_3repE0EEENS1_30default_config_static_selectorELNS0_4arch9wavefront6targetE0EEEvT1_.has_recursion, 0
	.set _ZN7rocprim17ROCPRIM_400000_NS6detail17trampoline_kernelINS0_14default_configENS1_25partition_config_selectorILNS1_17partition_subalgoE6EsNS0_10empty_typeEbEEZZNS1_14partition_implILS5_6ELb0ES3_mN6thrust23THRUST_200600_302600_NS6detail15normal_iteratorINSA_10device_ptrIsEEEEPS6_SG_NS0_5tupleIJSF_S6_EEENSH_IJSG_SG_EEES6_PlJNSB_9not_fun_tINSB_10functional5actorINSM_9compositeIJNSM_27transparent_binary_operatorINSA_8equal_toIvEEEENSN_INSM_8argumentILj0EEEEENSM_5valueIsEEEEEEEEEEEE10hipError_tPvRmT3_T4_T5_T6_T7_T9_mT8_P12ihipStream_tbDpT10_ENKUlT_T0_E_clISt17integral_constantIbLb1EES1J_IbLb0EEEEDaS1F_S1G_EUlS1F_E_NS1_11comp_targetILNS1_3genE5ELNS1_11target_archE942ELNS1_3gpuE9ELNS1_3repE0EEENS1_30default_config_static_selectorELNS0_4arch9wavefront6targetE0EEEvT1_.has_indirect_call, 0
	.section	.AMDGPU.csdata,"",@progbits
; Kernel info:
; codeLenInByte = 0
; TotalNumSgprs: 0
; NumVgprs: 0
; ScratchSize: 0
; MemoryBound: 0
; FloatMode: 240
; IeeeMode: 1
; LDSByteSize: 0 bytes/workgroup (compile time only)
; SGPRBlocks: 0
; VGPRBlocks: 0
; NumSGPRsForWavesPerEU: 1
; NumVGPRsForWavesPerEU: 1
; Occupancy: 16
; WaveLimiterHint : 0
; COMPUTE_PGM_RSRC2:SCRATCH_EN: 0
; COMPUTE_PGM_RSRC2:USER_SGPR: 2
; COMPUTE_PGM_RSRC2:TRAP_HANDLER: 0
; COMPUTE_PGM_RSRC2:TGID_X_EN: 1
; COMPUTE_PGM_RSRC2:TGID_Y_EN: 0
; COMPUTE_PGM_RSRC2:TGID_Z_EN: 0
; COMPUTE_PGM_RSRC2:TIDIG_COMP_CNT: 0
	.section	.text._ZN7rocprim17ROCPRIM_400000_NS6detail17trampoline_kernelINS0_14default_configENS1_25partition_config_selectorILNS1_17partition_subalgoE6EsNS0_10empty_typeEbEEZZNS1_14partition_implILS5_6ELb0ES3_mN6thrust23THRUST_200600_302600_NS6detail15normal_iteratorINSA_10device_ptrIsEEEEPS6_SG_NS0_5tupleIJSF_S6_EEENSH_IJSG_SG_EEES6_PlJNSB_9not_fun_tINSB_10functional5actorINSM_9compositeIJNSM_27transparent_binary_operatorINSA_8equal_toIvEEEENSN_INSM_8argumentILj0EEEEENSM_5valueIsEEEEEEEEEEEE10hipError_tPvRmT3_T4_T5_T6_T7_T9_mT8_P12ihipStream_tbDpT10_ENKUlT_T0_E_clISt17integral_constantIbLb1EES1J_IbLb0EEEEDaS1F_S1G_EUlS1F_E_NS1_11comp_targetILNS1_3genE4ELNS1_11target_archE910ELNS1_3gpuE8ELNS1_3repE0EEENS1_30default_config_static_selectorELNS0_4arch9wavefront6targetE0EEEvT1_,"axG",@progbits,_ZN7rocprim17ROCPRIM_400000_NS6detail17trampoline_kernelINS0_14default_configENS1_25partition_config_selectorILNS1_17partition_subalgoE6EsNS0_10empty_typeEbEEZZNS1_14partition_implILS5_6ELb0ES3_mN6thrust23THRUST_200600_302600_NS6detail15normal_iteratorINSA_10device_ptrIsEEEEPS6_SG_NS0_5tupleIJSF_S6_EEENSH_IJSG_SG_EEES6_PlJNSB_9not_fun_tINSB_10functional5actorINSM_9compositeIJNSM_27transparent_binary_operatorINSA_8equal_toIvEEEENSN_INSM_8argumentILj0EEEEENSM_5valueIsEEEEEEEEEEEE10hipError_tPvRmT3_T4_T5_T6_T7_T9_mT8_P12ihipStream_tbDpT10_ENKUlT_T0_E_clISt17integral_constantIbLb1EES1J_IbLb0EEEEDaS1F_S1G_EUlS1F_E_NS1_11comp_targetILNS1_3genE4ELNS1_11target_archE910ELNS1_3gpuE8ELNS1_3repE0EEENS1_30default_config_static_selectorELNS0_4arch9wavefront6targetE0EEEvT1_,comdat
	.protected	_ZN7rocprim17ROCPRIM_400000_NS6detail17trampoline_kernelINS0_14default_configENS1_25partition_config_selectorILNS1_17partition_subalgoE6EsNS0_10empty_typeEbEEZZNS1_14partition_implILS5_6ELb0ES3_mN6thrust23THRUST_200600_302600_NS6detail15normal_iteratorINSA_10device_ptrIsEEEEPS6_SG_NS0_5tupleIJSF_S6_EEENSH_IJSG_SG_EEES6_PlJNSB_9not_fun_tINSB_10functional5actorINSM_9compositeIJNSM_27transparent_binary_operatorINSA_8equal_toIvEEEENSN_INSM_8argumentILj0EEEEENSM_5valueIsEEEEEEEEEEEE10hipError_tPvRmT3_T4_T5_T6_T7_T9_mT8_P12ihipStream_tbDpT10_ENKUlT_T0_E_clISt17integral_constantIbLb1EES1J_IbLb0EEEEDaS1F_S1G_EUlS1F_E_NS1_11comp_targetILNS1_3genE4ELNS1_11target_archE910ELNS1_3gpuE8ELNS1_3repE0EEENS1_30default_config_static_selectorELNS0_4arch9wavefront6targetE0EEEvT1_ ; -- Begin function _ZN7rocprim17ROCPRIM_400000_NS6detail17trampoline_kernelINS0_14default_configENS1_25partition_config_selectorILNS1_17partition_subalgoE6EsNS0_10empty_typeEbEEZZNS1_14partition_implILS5_6ELb0ES3_mN6thrust23THRUST_200600_302600_NS6detail15normal_iteratorINSA_10device_ptrIsEEEEPS6_SG_NS0_5tupleIJSF_S6_EEENSH_IJSG_SG_EEES6_PlJNSB_9not_fun_tINSB_10functional5actorINSM_9compositeIJNSM_27transparent_binary_operatorINSA_8equal_toIvEEEENSN_INSM_8argumentILj0EEEEENSM_5valueIsEEEEEEEEEEEE10hipError_tPvRmT3_T4_T5_T6_T7_T9_mT8_P12ihipStream_tbDpT10_ENKUlT_T0_E_clISt17integral_constantIbLb1EES1J_IbLb0EEEEDaS1F_S1G_EUlS1F_E_NS1_11comp_targetILNS1_3genE4ELNS1_11target_archE910ELNS1_3gpuE8ELNS1_3repE0EEENS1_30default_config_static_selectorELNS0_4arch9wavefront6targetE0EEEvT1_
	.globl	_ZN7rocprim17ROCPRIM_400000_NS6detail17trampoline_kernelINS0_14default_configENS1_25partition_config_selectorILNS1_17partition_subalgoE6EsNS0_10empty_typeEbEEZZNS1_14partition_implILS5_6ELb0ES3_mN6thrust23THRUST_200600_302600_NS6detail15normal_iteratorINSA_10device_ptrIsEEEEPS6_SG_NS0_5tupleIJSF_S6_EEENSH_IJSG_SG_EEES6_PlJNSB_9not_fun_tINSB_10functional5actorINSM_9compositeIJNSM_27transparent_binary_operatorINSA_8equal_toIvEEEENSN_INSM_8argumentILj0EEEEENSM_5valueIsEEEEEEEEEEEE10hipError_tPvRmT3_T4_T5_T6_T7_T9_mT8_P12ihipStream_tbDpT10_ENKUlT_T0_E_clISt17integral_constantIbLb1EES1J_IbLb0EEEEDaS1F_S1G_EUlS1F_E_NS1_11comp_targetILNS1_3genE4ELNS1_11target_archE910ELNS1_3gpuE8ELNS1_3repE0EEENS1_30default_config_static_selectorELNS0_4arch9wavefront6targetE0EEEvT1_
	.p2align	8
	.type	_ZN7rocprim17ROCPRIM_400000_NS6detail17trampoline_kernelINS0_14default_configENS1_25partition_config_selectorILNS1_17partition_subalgoE6EsNS0_10empty_typeEbEEZZNS1_14partition_implILS5_6ELb0ES3_mN6thrust23THRUST_200600_302600_NS6detail15normal_iteratorINSA_10device_ptrIsEEEEPS6_SG_NS0_5tupleIJSF_S6_EEENSH_IJSG_SG_EEES6_PlJNSB_9not_fun_tINSB_10functional5actorINSM_9compositeIJNSM_27transparent_binary_operatorINSA_8equal_toIvEEEENSN_INSM_8argumentILj0EEEEENSM_5valueIsEEEEEEEEEEEE10hipError_tPvRmT3_T4_T5_T6_T7_T9_mT8_P12ihipStream_tbDpT10_ENKUlT_T0_E_clISt17integral_constantIbLb1EES1J_IbLb0EEEEDaS1F_S1G_EUlS1F_E_NS1_11comp_targetILNS1_3genE4ELNS1_11target_archE910ELNS1_3gpuE8ELNS1_3repE0EEENS1_30default_config_static_selectorELNS0_4arch9wavefront6targetE0EEEvT1_,@function
_ZN7rocprim17ROCPRIM_400000_NS6detail17trampoline_kernelINS0_14default_configENS1_25partition_config_selectorILNS1_17partition_subalgoE6EsNS0_10empty_typeEbEEZZNS1_14partition_implILS5_6ELb0ES3_mN6thrust23THRUST_200600_302600_NS6detail15normal_iteratorINSA_10device_ptrIsEEEEPS6_SG_NS0_5tupleIJSF_S6_EEENSH_IJSG_SG_EEES6_PlJNSB_9not_fun_tINSB_10functional5actorINSM_9compositeIJNSM_27transparent_binary_operatorINSA_8equal_toIvEEEENSN_INSM_8argumentILj0EEEEENSM_5valueIsEEEEEEEEEEEE10hipError_tPvRmT3_T4_T5_T6_T7_T9_mT8_P12ihipStream_tbDpT10_ENKUlT_T0_E_clISt17integral_constantIbLb1EES1J_IbLb0EEEEDaS1F_S1G_EUlS1F_E_NS1_11comp_targetILNS1_3genE4ELNS1_11target_archE910ELNS1_3gpuE8ELNS1_3repE0EEENS1_30default_config_static_selectorELNS0_4arch9wavefront6targetE0EEEvT1_: ; @_ZN7rocprim17ROCPRIM_400000_NS6detail17trampoline_kernelINS0_14default_configENS1_25partition_config_selectorILNS1_17partition_subalgoE6EsNS0_10empty_typeEbEEZZNS1_14partition_implILS5_6ELb0ES3_mN6thrust23THRUST_200600_302600_NS6detail15normal_iteratorINSA_10device_ptrIsEEEEPS6_SG_NS0_5tupleIJSF_S6_EEENSH_IJSG_SG_EEES6_PlJNSB_9not_fun_tINSB_10functional5actorINSM_9compositeIJNSM_27transparent_binary_operatorINSA_8equal_toIvEEEENSN_INSM_8argumentILj0EEEEENSM_5valueIsEEEEEEEEEEEE10hipError_tPvRmT3_T4_T5_T6_T7_T9_mT8_P12ihipStream_tbDpT10_ENKUlT_T0_E_clISt17integral_constantIbLb1EES1J_IbLb0EEEEDaS1F_S1G_EUlS1F_E_NS1_11comp_targetILNS1_3genE4ELNS1_11target_archE910ELNS1_3gpuE8ELNS1_3repE0EEENS1_30default_config_static_selectorELNS0_4arch9wavefront6targetE0EEEvT1_
; %bb.0:
	.section	.rodata,"a",@progbits
	.p2align	6, 0x0
	.amdhsa_kernel _ZN7rocprim17ROCPRIM_400000_NS6detail17trampoline_kernelINS0_14default_configENS1_25partition_config_selectorILNS1_17partition_subalgoE6EsNS0_10empty_typeEbEEZZNS1_14partition_implILS5_6ELb0ES3_mN6thrust23THRUST_200600_302600_NS6detail15normal_iteratorINSA_10device_ptrIsEEEEPS6_SG_NS0_5tupleIJSF_S6_EEENSH_IJSG_SG_EEES6_PlJNSB_9not_fun_tINSB_10functional5actorINSM_9compositeIJNSM_27transparent_binary_operatorINSA_8equal_toIvEEEENSN_INSM_8argumentILj0EEEEENSM_5valueIsEEEEEEEEEEEE10hipError_tPvRmT3_T4_T5_T6_T7_T9_mT8_P12ihipStream_tbDpT10_ENKUlT_T0_E_clISt17integral_constantIbLb1EES1J_IbLb0EEEEDaS1F_S1G_EUlS1F_E_NS1_11comp_targetILNS1_3genE4ELNS1_11target_archE910ELNS1_3gpuE8ELNS1_3repE0EEENS1_30default_config_static_selectorELNS0_4arch9wavefront6targetE0EEEvT1_
		.amdhsa_group_segment_fixed_size 0
		.amdhsa_private_segment_fixed_size 0
		.amdhsa_kernarg_size 120
		.amdhsa_user_sgpr_count 2
		.amdhsa_user_sgpr_dispatch_ptr 0
		.amdhsa_user_sgpr_queue_ptr 0
		.amdhsa_user_sgpr_kernarg_segment_ptr 1
		.amdhsa_user_sgpr_dispatch_id 0
		.amdhsa_user_sgpr_private_segment_size 0
		.amdhsa_wavefront_size32 1
		.amdhsa_uses_dynamic_stack 0
		.amdhsa_enable_private_segment 0
		.amdhsa_system_sgpr_workgroup_id_x 1
		.amdhsa_system_sgpr_workgroup_id_y 0
		.amdhsa_system_sgpr_workgroup_id_z 0
		.amdhsa_system_sgpr_workgroup_info 0
		.amdhsa_system_vgpr_workitem_id 0
		.amdhsa_next_free_vgpr 1
		.amdhsa_next_free_sgpr 1
		.amdhsa_reserve_vcc 0
		.amdhsa_float_round_mode_32 0
		.amdhsa_float_round_mode_16_64 0
		.amdhsa_float_denorm_mode_32 3
		.amdhsa_float_denorm_mode_16_64 3
		.amdhsa_fp16_overflow 0
		.amdhsa_workgroup_processor_mode 1
		.amdhsa_memory_ordered 1
		.amdhsa_forward_progress 1
		.amdhsa_inst_pref_size 0
		.amdhsa_round_robin_scheduling 0
		.amdhsa_exception_fp_ieee_invalid_op 0
		.amdhsa_exception_fp_denorm_src 0
		.amdhsa_exception_fp_ieee_div_zero 0
		.amdhsa_exception_fp_ieee_overflow 0
		.amdhsa_exception_fp_ieee_underflow 0
		.amdhsa_exception_fp_ieee_inexact 0
		.amdhsa_exception_int_div_zero 0
	.end_amdhsa_kernel
	.section	.text._ZN7rocprim17ROCPRIM_400000_NS6detail17trampoline_kernelINS0_14default_configENS1_25partition_config_selectorILNS1_17partition_subalgoE6EsNS0_10empty_typeEbEEZZNS1_14partition_implILS5_6ELb0ES3_mN6thrust23THRUST_200600_302600_NS6detail15normal_iteratorINSA_10device_ptrIsEEEEPS6_SG_NS0_5tupleIJSF_S6_EEENSH_IJSG_SG_EEES6_PlJNSB_9not_fun_tINSB_10functional5actorINSM_9compositeIJNSM_27transparent_binary_operatorINSA_8equal_toIvEEEENSN_INSM_8argumentILj0EEEEENSM_5valueIsEEEEEEEEEEEE10hipError_tPvRmT3_T4_T5_T6_T7_T9_mT8_P12ihipStream_tbDpT10_ENKUlT_T0_E_clISt17integral_constantIbLb1EES1J_IbLb0EEEEDaS1F_S1G_EUlS1F_E_NS1_11comp_targetILNS1_3genE4ELNS1_11target_archE910ELNS1_3gpuE8ELNS1_3repE0EEENS1_30default_config_static_selectorELNS0_4arch9wavefront6targetE0EEEvT1_,"axG",@progbits,_ZN7rocprim17ROCPRIM_400000_NS6detail17trampoline_kernelINS0_14default_configENS1_25partition_config_selectorILNS1_17partition_subalgoE6EsNS0_10empty_typeEbEEZZNS1_14partition_implILS5_6ELb0ES3_mN6thrust23THRUST_200600_302600_NS6detail15normal_iteratorINSA_10device_ptrIsEEEEPS6_SG_NS0_5tupleIJSF_S6_EEENSH_IJSG_SG_EEES6_PlJNSB_9not_fun_tINSB_10functional5actorINSM_9compositeIJNSM_27transparent_binary_operatorINSA_8equal_toIvEEEENSN_INSM_8argumentILj0EEEEENSM_5valueIsEEEEEEEEEEEE10hipError_tPvRmT3_T4_T5_T6_T7_T9_mT8_P12ihipStream_tbDpT10_ENKUlT_T0_E_clISt17integral_constantIbLb1EES1J_IbLb0EEEEDaS1F_S1G_EUlS1F_E_NS1_11comp_targetILNS1_3genE4ELNS1_11target_archE910ELNS1_3gpuE8ELNS1_3repE0EEENS1_30default_config_static_selectorELNS0_4arch9wavefront6targetE0EEEvT1_,comdat
.Lfunc_end262:
	.size	_ZN7rocprim17ROCPRIM_400000_NS6detail17trampoline_kernelINS0_14default_configENS1_25partition_config_selectorILNS1_17partition_subalgoE6EsNS0_10empty_typeEbEEZZNS1_14partition_implILS5_6ELb0ES3_mN6thrust23THRUST_200600_302600_NS6detail15normal_iteratorINSA_10device_ptrIsEEEEPS6_SG_NS0_5tupleIJSF_S6_EEENSH_IJSG_SG_EEES6_PlJNSB_9not_fun_tINSB_10functional5actorINSM_9compositeIJNSM_27transparent_binary_operatorINSA_8equal_toIvEEEENSN_INSM_8argumentILj0EEEEENSM_5valueIsEEEEEEEEEEEE10hipError_tPvRmT3_T4_T5_T6_T7_T9_mT8_P12ihipStream_tbDpT10_ENKUlT_T0_E_clISt17integral_constantIbLb1EES1J_IbLb0EEEEDaS1F_S1G_EUlS1F_E_NS1_11comp_targetILNS1_3genE4ELNS1_11target_archE910ELNS1_3gpuE8ELNS1_3repE0EEENS1_30default_config_static_selectorELNS0_4arch9wavefront6targetE0EEEvT1_, .Lfunc_end262-_ZN7rocprim17ROCPRIM_400000_NS6detail17trampoline_kernelINS0_14default_configENS1_25partition_config_selectorILNS1_17partition_subalgoE6EsNS0_10empty_typeEbEEZZNS1_14partition_implILS5_6ELb0ES3_mN6thrust23THRUST_200600_302600_NS6detail15normal_iteratorINSA_10device_ptrIsEEEEPS6_SG_NS0_5tupleIJSF_S6_EEENSH_IJSG_SG_EEES6_PlJNSB_9not_fun_tINSB_10functional5actorINSM_9compositeIJNSM_27transparent_binary_operatorINSA_8equal_toIvEEEENSN_INSM_8argumentILj0EEEEENSM_5valueIsEEEEEEEEEEEE10hipError_tPvRmT3_T4_T5_T6_T7_T9_mT8_P12ihipStream_tbDpT10_ENKUlT_T0_E_clISt17integral_constantIbLb1EES1J_IbLb0EEEEDaS1F_S1G_EUlS1F_E_NS1_11comp_targetILNS1_3genE4ELNS1_11target_archE910ELNS1_3gpuE8ELNS1_3repE0EEENS1_30default_config_static_selectorELNS0_4arch9wavefront6targetE0EEEvT1_
                                        ; -- End function
	.set _ZN7rocprim17ROCPRIM_400000_NS6detail17trampoline_kernelINS0_14default_configENS1_25partition_config_selectorILNS1_17partition_subalgoE6EsNS0_10empty_typeEbEEZZNS1_14partition_implILS5_6ELb0ES3_mN6thrust23THRUST_200600_302600_NS6detail15normal_iteratorINSA_10device_ptrIsEEEEPS6_SG_NS0_5tupleIJSF_S6_EEENSH_IJSG_SG_EEES6_PlJNSB_9not_fun_tINSB_10functional5actorINSM_9compositeIJNSM_27transparent_binary_operatorINSA_8equal_toIvEEEENSN_INSM_8argumentILj0EEEEENSM_5valueIsEEEEEEEEEEEE10hipError_tPvRmT3_T4_T5_T6_T7_T9_mT8_P12ihipStream_tbDpT10_ENKUlT_T0_E_clISt17integral_constantIbLb1EES1J_IbLb0EEEEDaS1F_S1G_EUlS1F_E_NS1_11comp_targetILNS1_3genE4ELNS1_11target_archE910ELNS1_3gpuE8ELNS1_3repE0EEENS1_30default_config_static_selectorELNS0_4arch9wavefront6targetE0EEEvT1_.num_vgpr, 0
	.set _ZN7rocprim17ROCPRIM_400000_NS6detail17trampoline_kernelINS0_14default_configENS1_25partition_config_selectorILNS1_17partition_subalgoE6EsNS0_10empty_typeEbEEZZNS1_14partition_implILS5_6ELb0ES3_mN6thrust23THRUST_200600_302600_NS6detail15normal_iteratorINSA_10device_ptrIsEEEEPS6_SG_NS0_5tupleIJSF_S6_EEENSH_IJSG_SG_EEES6_PlJNSB_9not_fun_tINSB_10functional5actorINSM_9compositeIJNSM_27transparent_binary_operatorINSA_8equal_toIvEEEENSN_INSM_8argumentILj0EEEEENSM_5valueIsEEEEEEEEEEEE10hipError_tPvRmT3_T4_T5_T6_T7_T9_mT8_P12ihipStream_tbDpT10_ENKUlT_T0_E_clISt17integral_constantIbLb1EES1J_IbLb0EEEEDaS1F_S1G_EUlS1F_E_NS1_11comp_targetILNS1_3genE4ELNS1_11target_archE910ELNS1_3gpuE8ELNS1_3repE0EEENS1_30default_config_static_selectorELNS0_4arch9wavefront6targetE0EEEvT1_.num_agpr, 0
	.set _ZN7rocprim17ROCPRIM_400000_NS6detail17trampoline_kernelINS0_14default_configENS1_25partition_config_selectorILNS1_17partition_subalgoE6EsNS0_10empty_typeEbEEZZNS1_14partition_implILS5_6ELb0ES3_mN6thrust23THRUST_200600_302600_NS6detail15normal_iteratorINSA_10device_ptrIsEEEEPS6_SG_NS0_5tupleIJSF_S6_EEENSH_IJSG_SG_EEES6_PlJNSB_9not_fun_tINSB_10functional5actorINSM_9compositeIJNSM_27transparent_binary_operatorINSA_8equal_toIvEEEENSN_INSM_8argumentILj0EEEEENSM_5valueIsEEEEEEEEEEEE10hipError_tPvRmT3_T4_T5_T6_T7_T9_mT8_P12ihipStream_tbDpT10_ENKUlT_T0_E_clISt17integral_constantIbLb1EES1J_IbLb0EEEEDaS1F_S1G_EUlS1F_E_NS1_11comp_targetILNS1_3genE4ELNS1_11target_archE910ELNS1_3gpuE8ELNS1_3repE0EEENS1_30default_config_static_selectorELNS0_4arch9wavefront6targetE0EEEvT1_.numbered_sgpr, 0
	.set _ZN7rocprim17ROCPRIM_400000_NS6detail17trampoline_kernelINS0_14default_configENS1_25partition_config_selectorILNS1_17partition_subalgoE6EsNS0_10empty_typeEbEEZZNS1_14partition_implILS5_6ELb0ES3_mN6thrust23THRUST_200600_302600_NS6detail15normal_iteratorINSA_10device_ptrIsEEEEPS6_SG_NS0_5tupleIJSF_S6_EEENSH_IJSG_SG_EEES6_PlJNSB_9not_fun_tINSB_10functional5actorINSM_9compositeIJNSM_27transparent_binary_operatorINSA_8equal_toIvEEEENSN_INSM_8argumentILj0EEEEENSM_5valueIsEEEEEEEEEEEE10hipError_tPvRmT3_T4_T5_T6_T7_T9_mT8_P12ihipStream_tbDpT10_ENKUlT_T0_E_clISt17integral_constantIbLb1EES1J_IbLb0EEEEDaS1F_S1G_EUlS1F_E_NS1_11comp_targetILNS1_3genE4ELNS1_11target_archE910ELNS1_3gpuE8ELNS1_3repE0EEENS1_30default_config_static_selectorELNS0_4arch9wavefront6targetE0EEEvT1_.num_named_barrier, 0
	.set _ZN7rocprim17ROCPRIM_400000_NS6detail17trampoline_kernelINS0_14default_configENS1_25partition_config_selectorILNS1_17partition_subalgoE6EsNS0_10empty_typeEbEEZZNS1_14partition_implILS5_6ELb0ES3_mN6thrust23THRUST_200600_302600_NS6detail15normal_iteratorINSA_10device_ptrIsEEEEPS6_SG_NS0_5tupleIJSF_S6_EEENSH_IJSG_SG_EEES6_PlJNSB_9not_fun_tINSB_10functional5actorINSM_9compositeIJNSM_27transparent_binary_operatorINSA_8equal_toIvEEEENSN_INSM_8argumentILj0EEEEENSM_5valueIsEEEEEEEEEEEE10hipError_tPvRmT3_T4_T5_T6_T7_T9_mT8_P12ihipStream_tbDpT10_ENKUlT_T0_E_clISt17integral_constantIbLb1EES1J_IbLb0EEEEDaS1F_S1G_EUlS1F_E_NS1_11comp_targetILNS1_3genE4ELNS1_11target_archE910ELNS1_3gpuE8ELNS1_3repE0EEENS1_30default_config_static_selectorELNS0_4arch9wavefront6targetE0EEEvT1_.private_seg_size, 0
	.set _ZN7rocprim17ROCPRIM_400000_NS6detail17trampoline_kernelINS0_14default_configENS1_25partition_config_selectorILNS1_17partition_subalgoE6EsNS0_10empty_typeEbEEZZNS1_14partition_implILS5_6ELb0ES3_mN6thrust23THRUST_200600_302600_NS6detail15normal_iteratorINSA_10device_ptrIsEEEEPS6_SG_NS0_5tupleIJSF_S6_EEENSH_IJSG_SG_EEES6_PlJNSB_9not_fun_tINSB_10functional5actorINSM_9compositeIJNSM_27transparent_binary_operatorINSA_8equal_toIvEEEENSN_INSM_8argumentILj0EEEEENSM_5valueIsEEEEEEEEEEEE10hipError_tPvRmT3_T4_T5_T6_T7_T9_mT8_P12ihipStream_tbDpT10_ENKUlT_T0_E_clISt17integral_constantIbLb1EES1J_IbLb0EEEEDaS1F_S1G_EUlS1F_E_NS1_11comp_targetILNS1_3genE4ELNS1_11target_archE910ELNS1_3gpuE8ELNS1_3repE0EEENS1_30default_config_static_selectorELNS0_4arch9wavefront6targetE0EEEvT1_.uses_vcc, 0
	.set _ZN7rocprim17ROCPRIM_400000_NS6detail17trampoline_kernelINS0_14default_configENS1_25partition_config_selectorILNS1_17partition_subalgoE6EsNS0_10empty_typeEbEEZZNS1_14partition_implILS5_6ELb0ES3_mN6thrust23THRUST_200600_302600_NS6detail15normal_iteratorINSA_10device_ptrIsEEEEPS6_SG_NS0_5tupleIJSF_S6_EEENSH_IJSG_SG_EEES6_PlJNSB_9not_fun_tINSB_10functional5actorINSM_9compositeIJNSM_27transparent_binary_operatorINSA_8equal_toIvEEEENSN_INSM_8argumentILj0EEEEENSM_5valueIsEEEEEEEEEEEE10hipError_tPvRmT3_T4_T5_T6_T7_T9_mT8_P12ihipStream_tbDpT10_ENKUlT_T0_E_clISt17integral_constantIbLb1EES1J_IbLb0EEEEDaS1F_S1G_EUlS1F_E_NS1_11comp_targetILNS1_3genE4ELNS1_11target_archE910ELNS1_3gpuE8ELNS1_3repE0EEENS1_30default_config_static_selectorELNS0_4arch9wavefront6targetE0EEEvT1_.uses_flat_scratch, 0
	.set _ZN7rocprim17ROCPRIM_400000_NS6detail17trampoline_kernelINS0_14default_configENS1_25partition_config_selectorILNS1_17partition_subalgoE6EsNS0_10empty_typeEbEEZZNS1_14partition_implILS5_6ELb0ES3_mN6thrust23THRUST_200600_302600_NS6detail15normal_iteratorINSA_10device_ptrIsEEEEPS6_SG_NS0_5tupleIJSF_S6_EEENSH_IJSG_SG_EEES6_PlJNSB_9not_fun_tINSB_10functional5actorINSM_9compositeIJNSM_27transparent_binary_operatorINSA_8equal_toIvEEEENSN_INSM_8argumentILj0EEEEENSM_5valueIsEEEEEEEEEEEE10hipError_tPvRmT3_T4_T5_T6_T7_T9_mT8_P12ihipStream_tbDpT10_ENKUlT_T0_E_clISt17integral_constantIbLb1EES1J_IbLb0EEEEDaS1F_S1G_EUlS1F_E_NS1_11comp_targetILNS1_3genE4ELNS1_11target_archE910ELNS1_3gpuE8ELNS1_3repE0EEENS1_30default_config_static_selectorELNS0_4arch9wavefront6targetE0EEEvT1_.has_dyn_sized_stack, 0
	.set _ZN7rocprim17ROCPRIM_400000_NS6detail17trampoline_kernelINS0_14default_configENS1_25partition_config_selectorILNS1_17partition_subalgoE6EsNS0_10empty_typeEbEEZZNS1_14partition_implILS5_6ELb0ES3_mN6thrust23THRUST_200600_302600_NS6detail15normal_iteratorINSA_10device_ptrIsEEEEPS6_SG_NS0_5tupleIJSF_S6_EEENSH_IJSG_SG_EEES6_PlJNSB_9not_fun_tINSB_10functional5actorINSM_9compositeIJNSM_27transparent_binary_operatorINSA_8equal_toIvEEEENSN_INSM_8argumentILj0EEEEENSM_5valueIsEEEEEEEEEEEE10hipError_tPvRmT3_T4_T5_T6_T7_T9_mT8_P12ihipStream_tbDpT10_ENKUlT_T0_E_clISt17integral_constantIbLb1EES1J_IbLb0EEEEDaS1F_S1G_EUlS1F_E_NS1_11comp_targetILNS1_3genE4ELNS1_11target_archE910ELNS1_3gpuE8ELNS1_3repE0EEENS1_30default_config_static_selectorELNS0_4arch9wavefront6targetE0EEEvT1_.has_recursion, 0
	.set _ZN7rocprim17ROCPRIM_400000_NS6detail17trampoline_kernelINS0_14default_configENS1_25partition_config_selectorILNS1_17partition_subalgoE6EsNS0_10empty_typeEbEEZZNS1_14partition_implILS5_6ELb0ES3_mN6thrust23THRUST_200600_302600_NS6detail15normal_iteratorINSA_10device_ptrIsEEEEPS6_SG_NS0_5tupleIJSF_S6_EEENSH_IJSG_SG_EEES6_PlJNSB_9not_fun_tINSB_10functional5actorINSM_9compositeIJNSM_27transparent_binary_operatorINSA_8equal_toIvEEEENSN_INSM_8argumentILj0EEEEENSM_5valueIsEEEEEEEEEEEE10hipError_tPvRmT3_T4_T5_T6_T7_T9_mT8_P12ihipStream_tbDpT10_ENKUlT_T0_E_clISt17integral_constantIbLb1EES1J_IbLb0EEEEDaS1F_S1G_EUlS1F_E_NS1_11comp_targetILNS1_3genE4ELNS1_11target_archE910ELNS1_3gpuE8ELNS1_3repE0EEENS1_30default_config_static_selectorELNS0_4arch9wavefront6targetE0EEEvT1_.has_indirect_call, 0
	.section	.AMDGPU.csdata,"",@progbits
; Kernel info:
; codeLenInByte = 0
; TotalNumSgprs: 0
; NumVgprs: 0
; ScratchSize: 0
; MemoryBound: 0
; FloatMode: 240
; IeeeMode: 1
; LDSByteSize: 0 bytes/workgroup (compile time only)
; SGPRBlocks: 0
; VGPRBlocks: 0
; NumSGPRsForWavesPerEU: 1
; NumVGPRsForWavesPerEU: 1
; Occupancy: 16
; WaveLimiterHint : 0
; COMPUTE_PGM_RSRC2:SCRATCH_EN: 0
; COMPUTE_PGM_RSRC2:USER_SGPR: 2
; COMPUTE_PGM_RSRC2:TRAP_HANDLER: 0
; COMPUTE_PGM_RSRC2:TGID_X_EN: 1
; COMPUTE_PGM_RSRC2:TGID_Y_EN: 0
; COMPUTE_PGM_RSRC2:TGID_Z_EN: 0
; COMPUTE_PGM_RSRC2:TIDIG_COMP_CNT: 0
	.section	.text._ZN7rocprim17ROCPRIM_400000_NS6detail17trampoline_kernelINS0_14default_configENS1_25partition_config_selectorILNS1_17partition_subalgoE6EsNS0_10empty_typeEbEEZZNS1_14partition_implILS5_6ELb0ES3_mN6thrust23THRUST_200600_302600_NS6detail15normal_iteratorINSA_10device_ptrIsEEEEPS6_SG_NS0_5tupleIJSF_S6_EEENSH_IJSG_SG_EEES6_PlJNSB_9not_fun_tINSB_10functional5actorINSM_9compositeIJNSM_27transparent_binary_operatorINSA_8equal_toIvEEEENSN_INSM_8argumentILj0EEEEENSM_5valueIsEEEEEEEEEEEE10hipError_tPvRmT3_T4_T5_T6_T7_T9_mT8_P12ihipStream_tbDpT10_ENKUlT_T0_E_clISt17integral_constantIbLb1EES1J_IbLb0EEEEDaS1F_S1G_EUlS1F_E_NS1_11comp_targetILNS1_3genE3ELNS1_11target_archE908ELNS1_3gpuE7ELNS1_3repE0EEENS1_30default_config_static_selectorELNS0_4arch9wavefront6targetE0EEEvT1_,"axG",@progbits,_ZN7rocprim17ROCPRIM_400000_NS6detail17trampoline_kernelINS0_14default_configENS1_25partition_config_selectorILNS1_17partition_subalgoE6EsNS0_10empty_typeEbEEZZNS1_14partition_implILS5_6ELb0ES3_mN6thrust23THRUST_200600_302600_NS6detail15normal_iteratorINSA_10device_ptrIsEEEEPS6_SG_NS0_5tupleIJSF_S6_EEENSH_IJSG_SG_EEES6_PlJNSB_9not_fun_tINSB_10functional5actorINSM_9compositeIJNSM_27transparent_binary_operatorINSA_8equal_toIvEEEENSN_INSM_8argumentILj0EEEEENSM_5valueIsEEEEEEEEEEEE10hipError_tPvRmT3_T4_T5_T6_T7_T9_mT8_P12ihipStream_tbDpT10_ENKUlT_T0_E_clISt17integral_constantIbLb1EES1J_IbLb0EEEEDaS1F_S1G_EUlS1F_E_NS1_11comp_targetILNS1_3genE3ELNS1_11target_archE908ELNS1_3gpuE7ELNS1_3repE0EEENS1_30default_config_static_selectorELNS0_4arch9wavefront6targetE0EEEvT1_,comdat
	.protected	_ZN7rocprim17ROCPRIM_400000_NS6detail17trampoline_kernelINS0_14default_configENS1_25partition_config_selectorILNS1_17partition_subalgoE6EsNS0_10empty_typeEbEEZZNS1_14partition_implILS5_6ELb0ES3_mN6thrust23THRUST_200600_302600_NS6detail15normal_iteratorINSA_10device_ptrIsEEEEPS6_SG_NS0_5tupleIJSF_S6_EEENSH_IJSG_SG_EEES6_PlJNSB_9not_fun_tINSB_10functional5actorINSM_9compositeIJNSM_27transparent_binary_operatorINSA_8equal_toIvEEEENSN_INSM_8argumentILj0EEEEENSM_5valueIsEEEEEEEEEEEE10hipError_tPvRmT3_T4_T5_T6_T7_T9_mT8_P12ihipStream_tbDpT10_ENKUlT_T0_E_clISt17integral_constantIbLb1EES1J_IbLb0EEEEDaS1F_S1G_EUlS1F_E_NS1_11comp_targetILNS1_3genE3ELNS1_11target_archE908ELNS1_3gpuE7ELNS1_3repE0EEENS1_30default_config_static_selectorELNS0_4arch9wavefront6targetE0EEEvT1_ ; -- Begin function _ZN7rocprim17ROCPRIM_400000_NS6detail17trampoline_kernelINS0_14default_configENS1_25partition_config_selectorILNS1_17partition_subalgoE6EsNS0_10empty_typeEbEEZZNS1_14partition_implILS5_6ELb0ES3_mN6thrust23THRUST_200600_302600_NS6detail15normal_iteratorINSA_10device_ptrIsEEEEPS6_SG_NS0_5tupleIJSF_S6_EEENSH_IJSG_SG_EEES6_PlJNSB_9not_fun_tINSB_10functional5actorINSM_9compositeIJNSM_27transparent_binary_operatorINSA_8equal_toIvEEEENSN_INSM_8argumentILj0EEEEENSM_5valueIsEEEEEEEEEEEE10hipError_tPvRmT3_T4_T5_T6_T7_T9_mT8_P12ihipStream_tbDpT10_ENKUlT_T0_E_clISt17integral_constantIbLb1EES1J_IbLb0EEEEDaS1F_S1G_EUlS1F_E_NS1_11comp_targetILNS1_3genE3ELNS1_11target_archE908ELNS1_3gpuE7ELNS1_3repE0EEENS1_30default_config_static_selectorELNS0_4arch9wavefront6targetE0EEEvT1_
	.globl	_ZN7rocprim17ROCPRIM_400000_NS6detail17trampoline_kernelINS0_14default_configENS1_25partition_config_selectorILNS1_17partition_subalgoE6EsNS0_10empty_typeEbEEZZNS1_14partition_implILS5_6ELb0ES3_mN6thrust23THRUST_200600_302600_NS6detail15normal_iteratorINSA_10device_ptrIsEEEEPS6_SG_NS0_5tupleIJSF_S6_EEENSH_IJSG_SG_EEES6_PlJNSB_9not_fun_tINSB_10functional5actorINSM_9compositeIJNSM_27transparent_binary_operatorINSA_8equal_toIvEEEENSN_INSM_8argumentILj0EEEEENSM_5valueIsEEEEEEEEEEEE10hipError_tPvRmT3_T4_T5_T6_T7_T9_mT8_P12ihipStream_tbDpT10_ENKUlT_T0_E_clISt17integral_constantIbLb1EES1J_IbLb0EEEEDaS1F_S1G_EUlS1F_E_NS1_11comp_targetILNS1_3genE3ELNS1_11target_archE908ELNS1_3gpuE7ELNS1_3repE0EEENS1_30default_config_static_selectorELNS0_4arch9wavefront6targetE0EEEvT1_
	.p2align	8
	.type	_ZN7rocprim17ROCPRIM_400000_NS6detail17trampoline_kernelINS0_14default_configENS1_25partition_config_selectorILNS1_17partition_subalgoE6EsNS0_10empty_typeEbEEZZNS1_14partition_implILS5_6ELb0ES3_mN6thrust23THRUST_200600_302600_NS6detail15normal_iteratorINSA_10device_ptrIsEEEEPS6_SG_NS0_5tupleIJSF_S6_EEENSH_IJSG_SG_EEES6_PlJNSB_9not_fun_tINSB_10functional5actorINSM_9compositeIJNSM_27transparent_binary_operatorINSA_8equal_toIvEEEENSN_INSM_8argumentILj0EEEEENSM_5valueIsEEEEEEEEEEEE10hipError_tPvRmT3_T4_T5_T6_T7_T9_mT8_P12ihipStream_tbDpT10_ENKUlT_T0_E_clISt17integral_constantIbLb1EES1J_IbLb0EEEEDaS1F_S1G_EUlS1F_E_NS1_11comp_targetILNS1_3genE3ELNS1_11target_archE908ELNS1_3gpuE7ELNS1_3repE0EEENS1_30default_config_static_selectorELNS0_4arch9wavefront6targetE0EEEvT1_,@function
_ZN7rocprim17ROCPRIM_400000_NS6detail17trampoline_kernelINS0_14default_configENS1_25partition_config_selectorILNS1_17partition_subalgoE6EsNS0_10empty_typeEbEEZZNS1_14partition_implILS5_6ELb0ES3_mN6thrust23THRUST_200600_302600_NS6detail15normal_iteratorINSA_10device_ptrIsEEEEPS6_SG_NS0_5tupleIJSF_S6_EEENSH_IJSG_SG_EEES6_PlJNSB_9not_fun_tINSB_10functional5actorINSM_9compositeIJNSM_27transparent_binary_operatorINSA_8equal_toIvEEEENSN_INSM_8argumentILj0EEEEENSM_5valueIsEEEEEEEEEEEE10hipError_tPvRmT3_T4_T5_T6_T7_T9_mT8_P12ihipStream_tbDpT10_ENKUlT_T0_E_clISt17integral_constantIbLb1EES1J_IbLb0EEEEDaS1F_S1G_EUlS1F_E_NS1_11comp_targetILNS1_3genE3ELNS1_11target_archE908ELNS1_3gpuE7ELNS1_3repE0EEENS1_30default_config_static_selectorELNS0_4arch9wavefront6targetE0EEEvT1_: ; @_ZN7rocprim17ROCPRIM_400000_NS6detail17trampoline_kernelINS0_14default_configENS1_25partition_config_selectorILNS1_17partition_subalgoE6EsNS0_10empty_typeEbEEZZNS1_14partition_implILS5_6ELb0ES3_mN6thrust23THRUST_200600_302600_NS6detail15normal_iteratorINSA_10device_ptrIsEEEEPS6_SG_NS0_5tupleIJSF_S6_EEENSH_IJSG_SG_EEES6_PlJNSB_9not_fun_tINSB_10functional5actorINSM_9compositeIJNSM_27transparent_binary_operatorINSA_8equal_toIvEEEENSN_INSM_8argumentILj0EEEEENSM_5valueIsEEEEEEEEEEEE10hipError_tPvRmT3_T4_T5_T6_T7_T9_mT8_P12ihipStream_tbDpT10_ENKUlT_T0_E_clISt17integral_constantIbLb1EES1J_IbLb0EEEEDaS1F_S1G_EUlS1F_E_NS1_11comp_targetILNS1_3genE3ELNS1_11target_archE908ELNS1_3gpuE7ELNS1_3repE0EEENS1_30default_config_static_selectorELNS0_4arch9wavefront6targetE0EEEvT1_
; %bb.0:
	.section	.rodata,"a",@progbits
	.p2align	6, 0x0
	.amdhsa_kernel _ZN7rocprim17ROCPRIM_400000_NS6detail17trampoline_kernelINS0_14default_configENS1_25partition_config_selectorILNS1_17partition_subalgoE6EsNS0_10empty_typeEbEEZZNS1_14partition_implILS5_6ELb0ES3_mN6thrust23THRUST_200600_302600_NS6detail15normal_iteratorINSA_10device_ptrIsEEEEPS6_SG_NS0_5tupleIJSF_S6_EEENSH_IJSG_SG_EEES6_PlJNSB_9not_fun_tINSB_10functional5actorINSM_9compositeIJNSM_27transparent_binary_operatorINSA_8equal_toIvEEEENSN_INSM_8argumentILj0EEEEENSM_5valueIsEEEEEEEEEEEE10hipError_tPvRmT3_T4_T5_T6_T7_T9_mT8_P12ihipStream_tbDpT10_ENKUlT_T0_E_clISt17integral_constantIbLb1EES1J_IbLb0EEEEDaS1F_S1G_EUlS1F_E_NS1_11comp_targetILNS1_3genE3ELNS1_11target_archE908ELNS1_3gpuE7ELNS1_3repE0EEENS1_30default_config_static_selectorELNS0_4arch9wavefront6targetE0EEEvT1_
		.amdhsa_group_segment_fixed_size 0
		.amdhsa_private_segment_fixed_size 0
		.amdhsa_kernarg_size 120
		.amdhsa_user_sgpr_count 2
		.amdhsa_user_sgpr_dispatch_ptr 0
		.amdhsa_user_sgpr_queue_ptr 0
		.amdhsa_user_sgpr_kernarg_segment_ptr 1
		.amdhsa_user_sgpr_dispatch_id 0
		.amdhsa_user_sgpr_private_segment_size 0
		.amdhsa_wavefront_size32 1
		.amdhsa_uses_dynamic_stack 0
		.amdhsa_enable_private_segment 0
		.amdhsa_system_sgpr_workgroup_id_x 1
		.amdhsa_system_sgpr_workgroup_id_y 0
		.amdhsa_system_sgpr_workgroup_id_z 0
		.amdhsa_system_sgpr_workgroup_info 0
		.amdhsa_system_vgpr_workitem_id 0
		.amdhsa_next_free_vgpr 1
		.amdhsa_next_free_sgpr 1
		.amdhsa_reserve_vcc 0
		.amdhsa_float_round_mode_32 0
		.amdhsa_float_round_mode_16_64 0
		.amdhsa_float_denorm_mode_32 3
		.amdhsa_float_denorm_mode_16_64 3
		.amdhsa_fp16_overflow 0
		.amdhsa_workgroup_processor_mode 1
		.amdhsa_memory_ordered 1
		.amdhsa_forward_progress 1
		.amdhsa_inst_pref_size 0
		.amdhsa_round_robin_scheduling 0
		.amdhsa_exception_fp_ieee_invalid_op 0
		.amdhsa_exception_fp_denorm_src 0
		.amdhsa_exception_fp_ieee_div_zero 0
		.amdhsa_exception_fp_ieee_overflow 0
		.amdhsa_exception_fp_ieee_underflow 0
		.amdhsa_exception_fp_ieee_inexact 0
		.amdhsa_exception_int_div_zero 0
	.end_amdhsa_kernel
	.section	.text._ZN7rocprim17ROCPRIM_400000_NS6detail17trampoline_kernelINS0_14default_configENS1_25partition_config_selectorILNS1_17partition_subalgoE6EsNS0_10empty_typeEbEEZZNS1_14partition_implILS5_6ELb0ES3_mN6thrust23THRUST_200600_302600_NS6detail15normal_iteratorINSA_10device_ptrIsEEEEPS6_SG_NS0_5tupleIJSF_S6_EEENSH_IJSG_SG_EEES6_PlJNSB_9not_fun_tINSB_10functional5actorINSM_9compositeIJNSM_27transparent_binary_operatorINSA_8equal_toIvEEEENSN_INSM_8argumentILj0EEEEENSM_5valueIsEEEEEEEEEEEE10hipError_tPvRmT3_T4_T5_T6_T7_T9_mT8_P12ihipStream_tbDpT10_ENKUlT_T0_E_clISt17integral_constantIbLb1EES1J_IbLb0EEEEDaS1F_S1G_EUlS1F_E_NS1_11comp_targetILNS1_3genE3ELNS1_11target_archE908ELNS1_3gpuE7ELNS1_3repE0EEENS1_30default_config_static_selectorELNS0_4arch9wavefront6targetE0EEEvT1_,"axG",@progbits,_ZN7rocprim17ROCPRIM_400000_NS6detail17trampoline_kernelINS0_14default_configENS1_25partition_config_selectorILNS1_17partition_subalgoE6EsNS0_10empty_typeEbEEZZNS1_14partition_implILS5_6ELb0ES3_mN6thrust23THRUST_200600_302600_NS6detail15normal_iteratorINSA_10device_ptrIsEEEEPS6_SG_NS0_5tupleIJSF_S6_EEENSH_IJSG_SG_EEES6_PlJNSB_9not_fun_tINSB_10functional5actorINSM_9compositeIJNSM_27transparent_binary_operatorINSA_8equal_toIvEEEENSN_INSM_8argumentILj0EEEEENSM_5valueIsEEEEEEEEEEEE10hipError_tPvRmT3_T4_T5_T6_T7_T9_mT8_P12ihipStream_tbDpT10_ENKUlT_T0_E_clISt17integral_constantIbLb1EES1J_IbLb0EEEEDaS1F_S1G_EUlS1F_E_NS1_11comp_targetILNS1_3genE3ELNS1_11target_archE908ELNS1_3gpuE7ELNS1_3repE0EEENS1_30default_config_static_selectorELNS0_4arch9wavefront6targetE0EEEvT1_,comdat
.Lfunc_end263:
	.size	_ZN7rocprim17ROCPRIM_400000_NS6detail17trampoline_kernelINS0_14default_configENS1_25partition_config_selectorILNS1_17partition_subalgoE6EsNS0_10empty_typeEbEEZZNS1_14partition_implILS5_6ELb0ES3_mN6thrust23THRUST_200600_302600_NS6detail15normal_iteratorINSA_10device_ptrIsEEEEPS6_SG_NS0_5tupleIJSF_S6_EEENSH_IJSG_SG_EEES6_PlJNSB_9not_fun_tINSB_10functional5actorINSM_9compositeIJNSM_27transparent_binary_operatorINSA_8equal_toIvEEEENSN_INSM_8argumentILj0EEEEENSM_5valueIsEEEEEEEEEEEE10hipError_tPvRmT3_T4_T5_T6_T7_T9_mT8_P12ihipStream_tbDpT10_ENKUlT_T0_E_clISt17integral_constantIbLb1EES1J_IbLb0EEEEDaS1F_S1G_EUlS1F_E_NS1_11comp_targetILNS1_3genE3ELNS1_11target_archE908ELNS1_3gpuE7ELNS1_3repE0EEENS1_30default_config_static_selectorELNS0_4arch9wavefront6targetE0EEEvT1_, .Lfunc_end263-_ZN7rocprim17ROCPRIM_400000_NS6detail17trampoline_kernelINS0_14default_configENS1_25partition_config_selectorILNS1_17partition_subalgoE6EsNS0_10empty_typeEbEEZZNS1_14partition_implILS5_6ELb0ES3_mN6thrust23THRUST_200600_302600_NS6detail15normal_iteratorINSA_10device_ptrIsEEEEPS6_SG_NS0_5tupleIJSF_S6_EEENSH_IJSG_SG_EEES6_PlJNSB_9not_fun_tINSB_10functional5actorINSM_9compositeIJNSM_27transparent_binary_operatorINSA_8equal_toIvEEEENSN_INSM_8argumentILj0EEEEENSM_5valueIsEEEEEEEEEEEE10hipError_tPvRmT3_T4_T5_T6_T7_T9_mT8_P12ihipStream_tbDpT10_ENKUlT_T0_E_clISt17integral_constantIbLb1EES1J_IbLb0EEEEDaS1F_S1G_EUlS1F_E_NS1_11comp_targetILNS1_3genE3ELNS1_11target_archE908ELNS1_3gpuE7ELNS1_3repE0EEENS1_30default_config_static_selectorELNS0_4arch9wavefront6targetE0EEEvT1_
                                        ; -- End function
	.set _ZN7rocprim17ROCPRIM_400000_NS6detail17trampoline_kernelINS0_14default_configENS1_25partition_config_selectorILNS1_17partition_subalgoE6EsNS0_10empty_typeEbEEZZNS1_14partition_implILS5_6ELb0ES3_mN6thrust23THRUST_200600_302600_NS6detail15normal_iteratorINSA_10device_ptrIsEEEEPS6_SG_NS0_5tupleIJSF_S6_EEENSH_IJSG_SG_EEES6_PlJNSB_9not_fun_tINSB_10functional5actorINSM_9compositeIJNSM_27transparent_binary_operatorINSA_8equal_toIvEEEENSN_INSM_8argumentILj0EEEEENSM_5valueIsEEEEEEEEEEEE10hipError_tPvRmT3_T4_T5_T6_T7_T9_mT8_P12ihipStream_tbDpT10_ENKUlT_T0_E_clISt17integral_constantIbLb1EES1J_IbLb0EEEEDaS1F_S1G_EUlS1F_E_NS1_11comp_targetILNS1_3genE3ELNS1_11target_archE908ELNS1_3gpuE7ELNS1_3repE0EEENS1_30default_config_static_selectorELNS0_4arch9wavefront6targetE0EEEvT1_.num_vgpr, 0
	.set _ZN7rocprim17ROCPRIM_400000_NS6detail17trampoline_kernelINS0_14default_configENS1_25partition_config_selectorILNS1_17partition_subalgoE6EsNS0_10empty_typeEbEEZZNS1_14partition_implILS5_6ELb0ES3_mN6thrust23THRUST_200600_302600_NS6detail15normal_iteratorINSA_10device_ptrIsEEEEPS6_SG_NS0_5tupleIJSF_S6_EEENSH_IJSG_SG_EEES6_PlJNSB_9not_fun_tINSB_10functional5actorINSM_9compositeIJNSM_27transparent_binary_operatorINSA_8equal_toIvEEEENSN_INSM_8argumentILj0EEEEENSM_5valueIsEEEEEEEEEEEE10hipError_tPvRmT3_T4_T5_T6_T7_T9_mT8_P12ihipStream_tbDpT10_ENKUlT_T0_E_clISt17integral_constantIbLb1EES1J_IbLb0EEEEDaS1F_S1G_EUlS1F_E_NS1_11comp_targetILNS1_3genE3ELNS1_11target_archE908ELNS1_3gpuE7ELNS1_3repE0EEENS1_30default_config_static_selectorELNS0_4arch9wavefront6targetE0EEEvT1_.num_agpr, 0
	.set _ZN7rocprim17ROCPRIM_400000_NS6detail17trampoline_kernelINS0_14default_configENS1_25partition_config_selectorILNS1_17partition_subalgoE6EsNS0_10empty_typeEbEEZZNS1_14partition_implILS5_6ELb0ES3_mN6thrust23THRUST_200600_302600_NS6detail15normal_iteratorINSA_10device_ptrIsEEEEPS6_SG_NS0_5tupleIJSF_S6_EEENSH_IJSG_SG_EEES6_PlJNSB_9not_fun_tINSB_10functional5actorINSM_9compositeIJNSM_27transparent_binary_operatorINSA_8equal_toIvEEEENSN_INSM_8argumentILj0EEEEENSM_5valueIsEEEEEEEEEEEE10hipError_tPvRmT3_T4_T5_T6_T7_T9_mT8_P12ihipStream_tbDpT10_ENKUlT_T0_E_clISt17integral_constantIbLb1EES1J_IbLb0EEEEDaS1F_S1G_EUlS1F_E_NS1_11comp_targetILNS1_3genE3ELNS1_11target_archE908ELNS1_3gpuE7ELNS1_3repE0EEENS1_30default_config_static_selectorELNS0_4arch9wavefront6targetE0EEEvT1_.numbered_sgpr, 0
	.set _ZN7rocprim17ROCPRIM_400000_NS6detail17trampoline_kernelINS0_14default_configENS1_25partition_config_selectorILNS1_17partition_subalgoE6EsNS0_10empty_typeEbEEZZNS1_14partition_implILS5_6ELb0ES3_mN6thrust23THRUST_200600_302600_NS6detail15normal_iteratorINSA_10device_ptrIsEEEEPS6_SG_NS0_5tupleIJSF_S6_EEENSH_IJSG_SG_EEES6_PlJNSB_9not_fun_tINSB_10functional5actorINSM_9compositeIJNSM_27transparent_binary_operatorINSA_8equal_toIvEEEENSN_INSM_8argumentILj0EEEEENSM_5valueIsEEEEEEEEEEEE10hipError_tPvRmT3_T4_T5_T6_T7_T9_mT8_P12ihipStream_tbDpT10_ENKUlT_T0_E_clISt17integral_constantIbLb1EES1J_IbLb0EEEEDaS1F_S1G_EUlS1F_E_NS1_11comp_targetILNS1_3genE3ELNS1_11target_archE908ELNS1_3gpuE7ELNS1_3repE0EEENS1_30default_config_static_selectorELNS0_4arch9wavefront6targetE0EEEvT1_.num_named_barrier, 0
	.set _ZN7rocprim17ROCPRIM_400000_NS6detail17trampoline_kernelINS0_14default_configENS1_25partition_config_selectorILNS1_17partition_subalgoE6EsNS0_10empty_typeEbEEZZNS1_14partition_implILS5_6ELb0ES3_mN6thrust23THRUST_200600_302600_NS6detail15normal_iteratorINSA_10device_ptrIsEEEEPS6_SG_NS0_5tupleIJSF_S6_EEENSH_IJSG_SG_EEES6_PlJNSB_9not_fun_tINSB_10functional5actorINSM_9compositeIJNSM_27transparent_binary_operatorINSA_8equal_toIvEEEENSN_INSM_8argumentILj0EEEEENSM_5valueIsEEEEEEEEEEEE10hipError_tPvRmT3_T4_T5_T6_T7_T9_mT8_P12ihipStream_tbDpT10_ENKUlT_T0_E_clISt17integral_constantIbLb1EES1J_IbLb0EEEEDaS1F_S1G_EUlS1F_E_NS1_11comp_targetILNS1_3genE3ELNS1_11target_archE908ELNS1_3gpuE7ELNS1_3repE0EEENS1_30default_config_static_selectorELNS0_4arch9wavefront6targetE0EEEvT1_.private_seg_size, 0
	.set _ZN7rocprim17ROCPRIM_400000_NS6detail17trampoline_kernelINS0_14default_configENS1_25partition_config_selectorILNS1_17partition_subalgoE6EsNS0_10empty_typeEbEEZZNS1_14partition_implILS5_6ELb0ES3_mN6thrust23THRUST_200600_302600_NS6detail15normal_iteratorINSA_10device_ptrIsEEEEPS6_SG_NS0_5tupleIJSF_S6_EEENSH_IJSG_SG_EEES6_PlJNSB_9not_fun_tINSB_10functional5actorINSM_9compositeIJNSM_27transparent_binary_operatorINSA_8equal_toIvEEEENSN_INSM_8argumentILj0EEEEENSM_5valueIsEEEEEEEEEEEE10hipError_tPvRmT3_T4_T5_T6_T7_T9_mT8_P12ihipStream_tbDpT10_ENKUlT_T0_E_clISt17integral_constantIbLb1EES1J_IbLb0EEEEDaS1F_S1G_EUlS1F_E_NS1_11comp_targetILNS1_3genE3ELNS1_11target_archE908ELNS1_3gpuE7ELNS1_3repE0EEENS1_30default_config_static_selectorELNS0_4arch9wavefront6targetE0EEEvT1_.uses_vcc, 0
	.set _ZN7rocprim17ROCPRIM_400000_NS6detail17trampoline_kernelINS0_14default_configENS1_25partition_config_selectorILNS1_17partition_subalgoE6EsNS0_10empty_typeEbEEZZNS1_14partition_implILS5_6ELb0ES3_mN6thrust23THRUST_200600_302600_NS6detail15normal_iteratorINSA_10device_ptrIsEEEEPS6_SG_NS0_5tupleIJSF_S6_EEENSH_IJSG_SG_EEES6_PlJNSB_9not_fun_tINSB_10functional5actorINSM_9compositeIJNSM_27transparent_binary_operatorINSA_8equal_toIvEEEENSN_INSM_8argumentILj0EEEEENSM_5valueIsEEEEEEEEEEEE10hipError_tPvRmT3_T4_T5_T6_T7_T9_mT8_P12ihipStream_tbDpT10_ENKUlT_T0_E_clISt17integral_constantIbLb1EES1J_IbLb0EEEEDaS1F_S1G_EUlS1F_E_NS1_11comp_targetILNS1_3genE3ELNS1_11target_archE908ELNS1_3gpuE7ELNS1_3repE0EEENS1_30default_config_static_selectorELNS0_4arch9wavefront6targetE0EEEvT1_.uses_flat_scratch, 0
	.set _ZN7rocprim17ROCPRIM_400000_NS6detail17trampoline_kernelINS0_14default_configENS1_25partition_config_selectorILNS1_17partition_subalgoE6EsNS0_10empty_typeEbEEZZNS1_14partition_implILS5_6ELb0ES3_mN6thrust23THRUST_200600_302600_NS6detail15normal_iteratorINSA_10device_ptrIsEEEEPS6_SG_NS0_5tupleIJSF_S6_EEENSH_IJSG_SG_EEES6_PlJNSB_9not_fun_tINSB_10functional5actorINSM_9compositeIJNSM_27transparent_binary_operatorINSA_8equal_toIvEEEENSN_INSM_8argumentILj0EEEEENSM_5valueIsEEEEEEEEEEEE10hipError_tPvRmT3_T4_T5_T6_T7_T9_mT8_P12ihipStream_tbDpT10_ENKUlT_T0_E_clISt17integral_constantIbLb1EES1J_IbLb0EEEEDaS1F_S1G_EUlS1F_E_NS1_11comp_targetILNS1_3genE3ELNS1_11target_archE908ELNS1_3gpuE7ELNS1_3repE0EEENS1_30default_config_static_selectorELNS0_4arch9wavefront6targetE0EEEvT1_.has_dyn_sized_stack, 0
	.set _ZN7rocprim17ROCPRIM_400000_NS6detail17trampoline_kernelINS0_14default_configENS1_25partition_config_selectorILNS1_17partition_subalgoE6EsNS0_10empty_typeEbEEZZNS1_14partition_implILS5_6ELb0ES3_mN6thrust23THRUST_200600_302600_NS6detail15normal_iteratorINSA_10device_ptrIsEEEEPS6_SG_NS0_5tupleIJSF_S6_EEENSH_IJSG_SG_EEES6_PlJNSB_9not_fun_tINSB_10functional5actorINSM_9compositeIJNSM_27transparent_binary_operatorINSA_8equal_toIvEEEENSN_INSM_8argumentILj0EEEEENSM_5valueIsEEEEEEEEEEEE10hipError_tPvRmT3_T4_T5_T6_T7_T9_mT8_P12ihipStream_tbDpT10_ENKUlT_T0_E_clISt17integral_constantIbLb1EES1J_IbLb0EEEEDaS1F_S1G_EUlS1F_E_NS1_11comp_targetILNS1_3genE3ELNS1_11target_archE908ELNS1_3gpuE7ELNS1_3repE0EEENS1_30default_config_static_selectorELNS0_4arch9wavefront6targetE0EEEvT1_.has_recursion, 0
	.set _ZN7rocprim17ROCPRIM_400000_NS6detail17trampoline_kernelINS0_14default_configENS1_25partition_config_selectorILNS1_17partition_subalgoE6EsNS0_10empty_typeEbEEZZNS1_14partition_implILS5_6ELb0ES3_mN6thrust23THRUST_200600_302600_NS6detail15normal_iteratorINSA_10device_ptrIsEEEEPS6_SG_NS0_5tupleIJSF_S6_EEENSH_IJSG_SG_EEES6_PlJNSB_9not_fun_tINSB_10functional5actorINSM_9compositeIJNSM_27transparent_binary_operatorINSA_8equal_toIvEEEENSN_INSM_8argumentILj0EEEEENSM_5valueIsEEEEEEEEEEEE10hipError_tPvRmT3_T4_T5_T6_T7_T9_mT8_P12ihipStream_tbDpT10_ENKUlT_T0_E_clISt17integral_constantIbLb1EES1J_IbLb0EEEEDaS1F_S1G_EUlS1F_E_NS1_11comp_targetILNS1_3genE3ELNS1_11target_archE908ELNS1_3gpuE7ELNS1_3repE0EEENS1_30default_config_static_selectorELNS0_4arch9wavefront6targetE0EEEvT1_.has_indirect_call, 0
	.section	.AMDGPU.csdata,"",@progbits
; Kernel info:
; codeLenInByte = 0
; TotalNumSgprs: 0
; NumVgprs: 0
; ScratchSize: 0
; MemoryBound: 0
; FloatMode: 240
; IeeeMode: 1
; LDSByteSize: 0 bytes/workgroup (compile time only)
; SGPRBlocks: 0
; VGPRBlocks: 0
; NumSGPRsForWavesPerEU: 1
; NumVGPRsForWavesPerEU: 1
; Occupancy: 16
; WaveLimiterHint : 0
; COMPUTE_PGM_RSRC2:SCRATCH_EN: 0
; COMPUTE_PGM_RSRC2:USER_SGPR: 2
; COMPUTE_PGM_RSRC2:TRAP_HANDLER: 0
; COMPUTE_PGM_RSRC2:TGID_X_EN: 1
; COMPUTE_PGM_RSRC2:TGID_Y_EN: 0
; COMPUTE_PGM_RSRC2:TGID_Z_EN: 0
; COMPUTE_PGM_RSRC2:TIDIG_COMP_CNT: 0
	.section	.text._ZN7rocprim17ROCPRIM_400000_NS6detail17trampoline_kernelINS0_14default_configENS1_25partition_config_selectorILNS1_17partition_subalgoE6EsNS0_10empty_typeEbEEZZNS1_14partition_implILS5_6ELb0ES3_mN6thrust23THRUST_200600_302600_NS6detail15normal_iteratorINSA_10device_ptrIsEEEEPS6_SG_NS0_5tupleIJSF_S6_EEENSH_IJSG_SG_EEES6_PlJNSB_9not_fun_tINSB_10functional5actorINSM_9compositeIJNSM_27transparent_binary_operatorINSA_8equal_toIvEEEENSN_INSM_8argumentILj0EEEEENSM_5valueIsEEEEEEEEEEEE10hipError_tPvRmT3_T4_T5_T6_T7_T9_mT8_P12ihipStream_tbDpT10_ENKUlT_T0_E_clISt17integral_constantIbLb1EES1J_IbLb0EEEEDaS1F_S1G_EUlS1F_E_NS1_11comp_targetILNS1_3genE2ELNS1_11target_archE906ELNS1_3gpuE6ELNS1_3repE0EEENS1_30default_config_static_selectorELNS0_4arch9wavefront6targetE0EEEvT1_,"axG",@progbits,_ZN7rocprim17ROCPRIM_400000_NS6detail17trampoline_kernelINS0_14default_configENS1_25partition_config_selectorILNS1_17partition_subalgoE6EsNS0_10empty_typeEbEEZZNS1_14partition_implILS5_6ELb0ES3_mN6thrust23THRUST_200600_302600_NS6detail15normal_iteratorINSA_10device_ptrIsEEEEPS6_SG_NS0_5tupleIJSF_S6_EEENSH_IJSG_SG_EEES6_PlJNSB_9not_fun_tINSB_10functional5actorINSM_9compositeIJNSM_27transparent_binary_operatorINSA_8equal_toIvEEEENSN_INSM_8argumentILj0EEEEENSM_5valueIsEEEEEEEEEEEE10hipError_tPvRmT3_T4_T5_T6_T7_T9_mT8_P12ihipStream_tbDpT10_ENKUlT_T0_E_clISt17integral_constantIbLb1EES1J_IbLb0EEEEDaS1F_S1G_EUlS1F_E_NS1_11comp_targetILNS1_3genE2ELNS1_11target_archE906ELNS1_3gpuE6ELNS1_3repE0EEENS1_30default_config_static_selectorELNS0_4arch9wavefront6targetE0EEEvT1_,comdat
	.protected	_ZN7rocprim17ROCPRIM_400000_NS6detail17trampoline_kernelINS0_14default_configENS1_25partition_config_selectorILNS1_17partition_subalgoE6EsNS0_10empty_typeEbEEZZNS1_14partition_implILS5_6ELb0ES3_mN6thrust23THRUST_200600_302600_NS6detail15normal_iteratorINSA_10device_ptrIsEEEEPS6_SG_NS0_5tupleIJSF_S6_EEENSH_IJSG_SG_EEES6_PlJNSB_9not_fun_tINSB_10functional5actorINSM_9compositeIJNSM_27transparent_binary_operatorINSA_8equal_toIvEEEENSN_INSM_8argumentILj0EEEEENSM_5valueIsEEEEEEEEEEEE10hipError_tPvRmT3_T4_T5_T6_T7_T9_mT8_P12ihipStream_tbDpT10_ENKUlT_T0_E_clISt17integral_constantIbLb1EES1J_IbLb0EEEEDaS1F_S1G_EUlS1F_E_NS1_11comp_targetILNS1_3genE2ELNS1_11target_archE906ELNS1_3gpuE6ELNS1_3repE0EEENS1_30default_config_static_selectorELNS0_4arch9wavefront6targetE0EEEvT1_ ; -- Begin function _ZN7rocprim17ROCPRIM_400000_NS6detail17trampoline_kernelINS0_14default_configENS1_25partition_config_selectorILNS1_17partition_subalgoE6EsNS0_10empty_typeEbEEZZNS1_14partition_implILS5_6ELb0ES3_mN6thrust23THRUST_200600_302600_NS6detail15normal_iteratorINSA_10device_ptrIsEEEEPS6_SG_NS0_5tupleIJSF_S6_EEENSH_IJSG_SG_EEES6_PlJNSB_9not_fun_tINSB_10functional5actorINSM_9compositeIJNSM_27transparent_binary_operatorINSA_8equal_toIvEEEENSN_INSM_8argumentILj0EEEEENSM_5valueIsEEEEEEEEEEEE10hipError_tPvRmT3_T4_T5_T6_T7_T9_mT8_P12ihipStream_tbDpT10_ENKUlT_T0_E_clISt17integral_constantIbLb1EES1J_IbLb0EEEEDaS1F_S1G_EUlS1F_E_NS1_11comp_targetILNS1_3genE2ELNS1_11target_archE906ELNS1_3gpuE6ELNS1_3repE0EEENS1_30default_config_static_selectorELNS0_4arch9wavefront6targetE0EEEvT1_
	.globl	_ZN7rocprim17ROCPRIM_400000_NS6detail17trampoline_kernelINS0_14default_configENS1_25partition_config_selectorILNS1_17partition_subalgoE6EsNS0_10empty_typeEbEEZZNS1_14partition_implILS5_6ELb0ES3_mN6thrust23THRUST_200600_302600_NS6detail15normal_iteratorINSA_10device_ptrIsEEEEPS6_SG_NS0_5tupleIJSF_S6_EEENSH_IJSG_SG_EEES6_PlJNSB_9not_fun_tINSB_10functional5actorINSM_9compositeIJNSM_27transparent_binary_operatorINSA_8equal_toIvEEEENSN_INSM_8argumentILj0EEEEENSM_5valueIsEEEEEEEEEEEE10hipError_tPvRmT3_T4_T5_T6_T7_T9_mT8_P12ihipStream_tbDpT10_ENKUlT_T0_E_clISt17integral_constantIbLb1EES1J_IbLb0EEEEDaS1F_S1G_EUlS1F_E_NS1_11comp_targetILNS1_3genE2ELNS1_11target_archE906ELNS1_3gpuE6ELNS1_3repE0EEENS1_30default_config_static_selectorELNS0_4arch9wavefront6targetE0EEEvT1_
	.p2align	8
	.type	_ZN7rocprim17ROCPRIM_400000_NS6detail17trampoline_kernelINS0_14default_configENS1_25partition_config_selectorILNS1_17partition_subalgoE6EsNS0_10empty_typeEbEEZZNS1_14partition_implILS5_6ELb0ES3_mN6thrust23THRUST_200600_302600_NS6detail15normal_iteratorINSA_10device_ptrIsEEEEPS6_SG_NS0_5tupleIJSF_S6_EEENSH_IJSG_SG_EEES6_PlJNSB_9not_fun_tINSB_10functional5actorINSM_9compositeIJNSM_27transparent_binary_operatorINSA_8equal_toIvEEEENSN_INSM_8argumentILj0EEEEENSM_5valueIsEEEEEEEEEEEE10hipError_tPvRmT3_T4_T5_T6_T7_T9_mT8_P12ihipStream_tbDpT10_ENKUlT_T0_E_clISt17integral_constantIbLb1EES1J_IbLb0EEEEDaS1F_S1G_EUlS1F_E_NS1_11comp_targetILNS1_3genE2ELNS1_11target_archE906ELNS1_3gpuE6ELNS1_3repE0EEENS1_30default_config_static_selectorELNS0_4arch9wavefront6targetE0EEEvT1_,@function
_ZN7rocprim17ROCPRIM_400000_NS6detail17trampoline_kernelINS0_14default_configENS1_25partition_config_selectorILNS1_17partition_subalgoE6EsNS0_10empty_typeEbEEZZNS1_14partition_implILS5_6ELb0ES3_mN6thrust23THRUST_200600_302600_NS6detail15normal_iteratorINSA_10device_ptrIsEEEEPS6_SG_NS0_5tupleIJSF_S6_EEENSH_IJSG_SG_EEES6_PlJNSB_9not_fun_tINSB_10functional5actorINSM_9compositeIJNSM_27transparent_binary_operatorINSA_8equal_toIvEEEENSN_INSM_8argumentILj0EEEEENSM_5valueIsEEEEEEEEEEEE10hipError_tPvRmT3_T4_T5_T6_T7_T9_mT8_P12ihipStream_tbDpT10_ENKUlT_T0_E_clISt17integral_constantIbLb1EES1J_IbLb0EEEEDaS1F_S1G_EUlS1F_E_NS1_11comp_targetILNS1_3genE2ELNS1_11target_archE906ELNS1_3gpuE6ELNS1_3repE0EEENS1_30default_config_static_selectorELNS0_4arch9wavefront6targetE0EEEvT1_: ; @_ZN7rocprim17ROCPRIM_400000_NS6detail17trampoline_kernelINS0_14default_configENS1_25partition_config_selectorILNS1_17partition_subalgoE6EsNS0_10empty_typeEbEEZZNS1_14partition_implILS5_6ELb0ES3_mN6thrust23THRUST_200600_302600_NS6detail15normal_iteratorINSA_10device_ptrIsEEEEPS6_SG_NS0_5tupleIJSF_S6_EEENSH_IJSG_SG_EEES6_PlJNSB_9not_fun_tINSB_10functional5actorINSM_9compositeIJNSM_27transparent_binary_operatorINSA_8equal_toIvEEEENSN_INSM_8argumentILj0EEEEENSM_5valueIsEEEEEEEEEEEE10hipError_tPvRmT3_T4_T5_T6_T7_T9_mT8_P12ihipStream_tbDpT10_ENKUlT_T0_E_clISt17integral_constantIbLb1EES1J_IbLb0EEEEDaS1F_S1G_EUlS1F_E_NS1_11comp_targetILNS1_3genE2ELNS1_11target_archE906ELNS1_3gpuE6ELNS1_3repE0EEENS1_30default_config_static_selectorELNS0_4arch9wavefront6targetE0EEEvT1_
; %bb.0:
	.section	.rodata,"a",@progbits
	.p2align	6, 0x0
	.amdhsa_kernel _ZN7rocprim17ROCPRIM_400000_NS6detail17trampoline_kernelINS0_14default_configENS1_25partition_config_selectorILNS1_17partition_subalgoE6EsNS0_10empty_typeEbEEZZNS1_14partition_implILS5_6ELb0ES3_mN6thrust23THRUST_200600_302600_NS6detail15normal_iteratorINSA_10device_ptrIsEEEEPS6_SG_NS0_5tupleIJSF_S6_EEENSH_IJSG_SG_EEES6_PlJNSB_9not_fun_tINSB_10functional5actorINSM_9compositeIJNSM_27transparent_binary_operatorINSA_8equal_toIvEEEENSN_INSM_8argumentILj0EEEEENSM_5valueIsEEEEEEEEEEEE10hipError_tPvRmT3_T4_T5_T6_T7_T9_mT8_P12ihipStream_tbDpT10_ENKUlT_T0_E_clISt17integral_constantIbLb1EES1J_IbLb0EEEEDaS1F_S1G_EUlS1F_E_NS1_11comp_targetILNS1_3genE2ELNS1_11target_archE906ELNS1_3gpuE6ELNS1_3repE0EEENS1_30default_config_static_selectorELNS0_4arch9wavefront6targetE0EEEvT1_
		.amdhsa_group_segment_fixed_size 0
		.amdhsa_private_segment_fixed_size 0
		.amdhsa_kernarg_size 120
		.amdhsa_user_sgpr_count 2
		.amdhsa_user_sgpr_dispatch_ptr 0
		.amdhsa_user_sgpr_queue_ptr 0
		.amdhsa_user_sgpr_kernarg_segment_ptr 1
		.amdhsa_user_sgpr_dispatch_id 0
		.amdhsa_user_sgpr_private_segment_size 0
		.amdhsa_wavefront_size32 1
		.amdhsa_uses_dynamic_stack 0
		.amdhsa_enable_private_segment 0
		.amdhsa_system_sgpr_workgroup_id_x 1
		.amdhsa_system_sgpr_workgroup_id_y 0
		.amdhsa_system_sgpr_workgroup_id_z 0
		.amdhsa_system_sgpr_workgroup_info 0
		.amdhsa_system_vgpr_workitem_id 0
		.amdhsa_next_free_vgpr 1
		.amdhsa_next_free_sgpr 1
		.amdhsa_reserve_vcc 0
		.amdhsa_float_round_mode_32 0
		.amdhsa_float_round_mode_16_64 0
		.amdhsa_float_denorm_mode_32 3
		.amdhsa_float_denorm_mode_16_64 3
		.amdhsa_fp16_overflow 0
		.amdhsa_workgroup_processor_mode 1
		.amdhsa_memory_ordered 1
		.amdhsa_forward_progress 1
		.amdhsa_inst_pref_size 0
		.amdhsa_round_robin_scheduling 0
		.amdhsa_exception_fp_ieee_invalid_op 0
		.amdhsa_exception_fp_denorm_src 0
		.amdhsa_exception_fp_ieee_div_zero 0
		.amdhsa_exception_fp_ieee_overflow 0
		.amdhsa_exception_fp_ieee_underflow 0
		.amdhsa_exception_fp_ieee_inexact 0
		.amdhsa_exception_int_div_zero 0
	.end_amdhsa_kernel
	.section	.text._ZN7rocprim17ROCPRIM_400000_NS6detail17trampoline_kernelINS0_14default_configENS1_25partition_config_selectorILNS1_17partition_subalgoE6EsNS0_10empty_typeEbEEZZNS1_14partition_implILS5_6ELb0ES3_mN6thrust23THRUST_200600_302600_NS6detail15normal_iteratorINSA_10device_ptrIsEEEEPS6_SG_NS0_5tupleIJSF_S6_EEENSH_IJSG_SG_EEES6_PlJNSB_9not_fun_tINSB_10functional5actorINSM_9compositeIJNSM_27transparent_binary_operatorINSA_8equal_toIvEEEENSN_INSM_8argumentILj0EEEEENSM_5valueIsEEEEEEEEEEEE10hipError_tPvRmT3_T4_T5_T6_T7_T9_mT8_P12ihipStream_tbDpT10_ENKUlT_T0_E_clISt17integral_constantIbLb1EES1J_IbLb0EEEEDaS1F_S1G_EUlS1F_E_NS1_11comp_targetILNS1_3genE2ELNS1_11target_archE906ELNS1_3gpuE6ELNS1_3repE0EEENS1_30default_config_static_selectorELNS0_4arch9wavefront6targetE0EEEvT1_,"axG",@progbits,_ZN7rocprim17ROCPRIM_400000_NS6detail17trampoline_kernelINS0_14default_configENS1_25partition_config_selectorILNS1_17partition_subalgoE6EsNS0_10empty_typeEbEEZZNS1_14partition_implILS5_6ELb0ES3_mN6thrust23THRUST_200600_302600_NS6detail15normal_iteratorINSA_10device_ptrIsEEEEPS6_SG_NS0_5tupleIJSF_S6_EEENSH_IJSG_SG_EEES6_PlJNSB_9not_fun_tINSB_10functional5actorINSM_9compositeIJNSM_27transparent_binary_operatorINSA_8equal_toIvEEEENSN_INSM_8argumentILj0EEEEENSM_5valueIsEEEEEEEEEEEE10hipError_tPvRmT3_T4_T5_T6_T7_T9_mT8_P12ihipStream_tbDpT10_ENKUlT_T0_E_clISt17integral_constantIbLb1EES1J_IbLb0EEEEDaS1F_S1G_EUlS1F_E_NS1_11comp_targetILNS1_3genE2ELNS1_11target_archE906ELNS1_3gpuE6ELNS1_3repE0EEENS1_30default_config_static_selectorELNS0_4arch9wavefront6targetE0EEEvT1_,comdat
.Lfunc_end264:
	.size	_ZN7rocprim17ROCPRIM_400000_NS6detail17trampoline_kernelINS0_14default_configENS1_25partition_config_selectorILNS1_17partition_subalgoE6EsNS0_10empty_typeEbEEZZNS1_14partition_implILS5_6ELb0ES3_mN6thrust23THRUST_200600_302600_NS6detail15normal_iteratorINSA_10device_ptrIsEEEEPS6_SG_NS0_5tupleIJSF_S6_EEENSH_IJSG_SG_EEES6_PlJNSB_9not_fun_tINSB_10functional5actorINSM_9compositeIJNSM_27transparent_binary_operatorINSA_8equal_toIvEEEENSN_INSM_8argumentILj0EEEEENSM_5valueIsEEEEEEEEEEEE10hipError_tPvRmT3_T4_T5_T6_T7_T9_mT8_P12ihipStream_tbDpT10_ENKUlT_T0_E_clISt17integral_constantIbLb1EES1J_IbLb0EEEEDaS1F_S1G_EUlS1F_E_NS1_11comp_targetILNS1_3genE2ELNS1_11target_archE906ELNS1_3gpuE6ELNS1_3repE0EEENS1_30default_config_static_selectorELNS0_4arch9wavefront6targetE0EEEvT1_, .Lfunc_end264-_ZN7rocprim17ROCPRIM_400000_NS6detail17trampoline_kernelINS0_14default_configENS1_25partition_config_selectorILNS1_17partition_subalgoE6EsNS0_10empty_typeEbEEZZNS1_14partition_implILS5_6ELb0ES3_mN6thrust23THRUST_200600_302600_NS6detail15normal_iteratorINSA_10device_ptrIsEEEEPS6_SG_NS0_5tupleIJSF_S6_EEENSH_IJSG_SG_EEES6_PlJNSB_9not_fun_tINSB_10functional5actorINSM_9compositeIJNSM_27transparent_binary_operatorINSA_8equal_toIvEEEENSN_INSM_8argumentILj0EEEEENSM_5valueIsEEEEEEEEEEEE10hipError_tPvRmT3_T4_T5_T6_T7_T9_mT8_P12ihipStream_tbDpT10_ENKUlT_T0_E_clISt17integral_constantIbLb1EES1J_IbLb0EEEEDaS1F_S1G_EUlS1F_E_NS1_11comp_targetILNS1_3genE2ELNS1_11target_archE906ELNS1_3gpuE6ELNS1_3repE0EEENS1_30default_config_static_selectorELNS0_4arch9wavefront6targetE0EEEvT1_
                                        ; -- End function
	.set _ZN7rocprim17ROCPRIM_400000_NS6detail17trampoline_kernelINS0_14default_configENS1_25partition_config_selectorILNS1_17partition_subalgoE6EsNS0_10empty_typeEbEEZZNS1_14partition_implILS5_6ELb0ES3_mN6thrust23THRUST_200600_302600_NS6detail15normal_iteratorINSA_10device_ptrIsEEEEPS6_SG_NS0_5tupleIJSF_S6_EEENSH_IJSG_SG_EEES6_PlJNSB_9not_fun_tINSB_10functional5actorINSM_9compositeIJNSM_27transparent_binary_operatorINSA_8equal_toIvEEEENSN_INSM_8argumentILj0EEEEENSM_5valueIsEEEEEEEEEEEE10hipError_tPvRmT3_T4_T5_T6_T7_T9_mT8_P12ihipStream_tbDpT10_ENKUlT_T0_E_clISt17integral_constantIbLb1EES1J_IbLb0EEEEDaS1F_S1G_EUlS1F_E_NS1_11comp_targetILNS1_3genE2ELNS1_11target_archE906ELNS1_3gpuE6ELNS1_3repE0EEENS1_30default_config_static_selectorELNS0_4arch9wavefront6targetE0EEEvT1_.num_vgpr, 0
	.set _ZN7rocprim17ROCPRIM_400000_NS6detail17trampoline_kernelINS0_14default_configENS1_25partition_config_selectorILNS1_17partition_subalgoE6EsNS0_10empty_typeEbEEZZNS1_14partition_implILS5_6ELb0ES3_mN6thrust23THRUST_200600_302600_NS6detail15normal_iteratorINSA_10device_ptrIsEEEEPS6_SG_NS0_5tupleIJSF_S6_EEENSH_IJSG_SG_EEES6_PlJNSB_9not_fun_tINSB_10functional5actorINSM_9compositeIJNSM_27transparent_binary_operatorINSA_8equal_toIvEEEENSN_INSM_8argumentILj0EEEEENSM_5valueIsEEEEEEEEEEEE10hipError_tPvRmT3_T4_T5_T6_T7_T9_mT8_P12ihipStream_tbDpT10_ENKUlT_T0_E_clISt17integral_constantIbLb1EES1J_IbLb0EEEEDaS1F_S1G_EUlS1F_E_NS1_11comp_targetILNS1_3genE2ELNS1_11target_archE906ELNS1_3gpuE6ELNS1_3repE0EEENS1_30default_config_static_selectorELNS0_4arch9wavefront6targetE0EEEvT1_.num_agpr, 0
	.set _ZN7rocprim17ROCPRIM_400000_NS6detail17trampoline_kernelINS0_14default_configENS1_25partition_config_selectorILNS1_17partition_subalgoE6EsNS0_10empty_typeEbEEZZNS1_14partition_implILS5_6ELb0ES3_mN6thrust23THRUST_200600_302600_NS6detail15normal_iteratorINSA_10device_ptrIsEEEEPS6_SG_NS0_5tupleIJSF_S6_EEENSH_IJSG_SG_EEES6_PlJNSB_9not_fun_tINSB_10functional5actorINSM_9compositeIJNSM_27transparent_binary_operatorINSA_8equal_toIvEEEENSN_INSM_8argumentILj0EEEEENSM_5valueIsEEEEEEEEEEEE10hipError_tPvRmT3_T4_T5_T6_T7_T9_mT8_P12ihipStream_tbDpT10_ENKUlT_T0_E_clISt17integral_constantIbLb1EES1J_IbLb0EEEEDaS1F_S1G_EUlS1F_E_NS1_11comp_targetILNS1_3genE2ELNS1_11target_archE906ELNS1_3gpuE6ELNS1_3repE0EEENS1_30default_config_static_selectorELNS0_4arch9wavefront6targetE0EEEvT1_.numbered_sgpr, 0
	.set _ZN7rocprim17ROCPRIM_400000_NS6detail17trampoline_kernelINS0_14default_configENS1_25partition_config_selectorILNS1_17partition_subalgoE6EsNS0_10empty_typeEbEEZZNS1_14partition_implILS5_6ELb0ES3_mN6thrust23THRUST_200600_302600_NS6detail15normal_iteratorINSA_10device_ptrIsEEEEPS6_SG_NS0_5tupleIJSF_S6_EEENSH_IJSG_SG_EEES6_PlJNSB_9not_fun_tINSB_10functional5actorINSM_9compositeIJNSM_27transparent_binary_operatorINSA_8equal_toIvEEEENSN_INSM_8argumentILj0EEEEENSM_5valueIsEEEEEEEEEEEE10hipError_tPvRmT3_T4_T5_T6_T7_T9_mT8_P12ihipStream_tbDpT10_ENKUlT_T0_E_clISt17integral_constantIbLb1EES1J_IbLb0EEEEDaS1F_S1G_EUlS1F_E_NS1_11comp_targetILNS1_3genE2ELNS1_11target_archE906ELNS1_3gpuE6ELNS1_3repE0EEENS1_30default_config_static_selectorELNS0_4arch9wavefront6targetE0EEEvT1_.num_named_barrier, 0
	.set _ZN7rocprim17ROCPRIM_400000_NS6detail17trampoline_kernelINS0_14default_configENS1_25partition_config_selectorILNS1_17partition_subalgoE6EsNS0_10empty_typeEbEEZZNS1_14partition_implILS5_6ELb0ES3_mN6thrust23THRUST_200600_302600_NS6detail15normal_iteratorINSA_10device_ptrIsEEEEPS6_SG_NS0_5tupleIJSF_S6_EEENSH_IJSG_SG_EEES6_PlJNSB_9not_fun_tINSB_10functional5actorINSM_9compositeIJNSM_27transparent_binary_operatorINSA_8equal_toIvEEEENSN_INSM_8argumentILj0EEEEENSM_5valueIsEEEEEEEEEEEE10hipError_tPvRmT3_T4_T5_T6_T7_T9_mT8_P12ihipStream_tbDpT10_ENKUlT_T0_E_clISt17integral_constantIbLb1EES1J_IbLb0EEEEDaS1F_S1G_EUlS1F_E_NS1_11comp_targetILNS1_3genE2ELNS1_11target_archE906ELNS1_3gpuE6ELNS1_3repE0EEENS1_30default_config_static_selectorELNS0_4arch9wavefront6targetE0EEEvT1_.private_seg_size, 0
	.set _ZN7rocprim17ROCPRIM_400000_NS6detail17trampoline_kernelINS0_14default_configENS1_25partition_config_selectorILNS1_17partition_subalgoE6EsNS0_10empty_typeEbEEZZNS1_14partition_implILS5_6ELb0ES3_mN6thrust23THRUST_200600_302600_NS6detail15normal_iteratorINSA_10device_ptrIsEEEEPS6_SG_NS0_5tupleIJSF_S6_EEENSH_IJSG_SG_EEES6_PlJNSB_9not_fun_tINSB_10functional5actorINSM_9compositeIJNSM_27transparent_binary_operatorINSA_8equal_toIvEEEENSN_INSM_8argumentILj0EEEEENSM_5valueIsEEEEEEEEEEEE10hipError_tPvRmT3_T4_T5_T6_T7_T9_mT8_P12ihipStream_tbDpT10_ENKUlT_T0_E_clISt17integral_constantIbLb1EES1J_IbLb0EEEEDaS1F_S1G_EUlS1F_E_NS1_11comp_targetILNS1_3genE2ELNS1_11target_archE906ELNS1_3gpuE6ELNS1_3repE0EEENS1_30default_config_static_selectorELNS0_4arch9wavefront6targetE0EEEvT1_.uses_vcc, 0
	.set _ZN7rocprim17ROCPRIM_400000_NS6detail17trampoline_kernelINS0_14default_configENS1_25partition_config_selectorILNS1_17partition_subalgoE6EsNS0_10empty_typeEbEEZZNS1_14partition_implILS5_6ELb0ES3_mN6thrust23THRUST_200600_302600_NS6detail15normal_iteratorINSA_10device_ptrIsEEEEPS6_SG_NS0_5tupleIJSF_S6_EEENSH_IJSG_SG_EEES6_PlJNSB_9not_fun_tINSB_10functional5actorINSM_9compositeIJNSM_27transparent_binary_operatorINSA_8equal_toIvEEEENSN_INSM_8argumentILj0EEEEENSM_5valueIsEEEEEEEEEEEE10hipError_tPvRmT3_T4_T5_T6_T7_T9_mT8_P12ihipStream_tbDpT10_ENKUlT_T0_E_clISt17integral_constantIbLb1EES1J_IbLb0EEEEDaS1F_S1G_EUlS1F_E_NS1_11comp_targetILNS1_3genE2ELNS1_11target_archE906ELNS1_3gpuE6ELNS1_3repE0EEENS1_30default_config_static_selectorELNS0_4arch9wavefront6targetE0EEEvT1_.uses_flat_scratch, 0
	.set _ZN7rocprim17ROCPRIM_400000_NS6detail17trampoline_kernelINS0_14default_configENS1_25partition_config_selectorILNS1_17partition_subalgoE6EsNS0_10empty_typeEbEEZZNS1_14partition_implILS5_6ELb0ES3_mN6thrust23THRUST_200600_302600_NS6detail15normal_iteratorINSA_10device_ptrIsEEEEPS6_SG_NS0_5tupleIJSF_S6_EEENSH_IJSG_SG_EEES6_PlJNSB_9not_fun_tINSB_10functional5actorINSM_9compositeIJNSM_27transparent_binary_operatorINSA_8equal_toIvEEEENSN_INSM_8argumentILj0EEEEENSM_5valueIsEEEEEEEEEEEE10hipError_tPvRmT3_T4_T5_T6_T7_T9_mT8_P12ihipStream_tbDpT10_ENKUlT_T0_E_clISt17integral_constantIbLb1EES1J_IbLb0EEEEDaS1F_S1G_EUlS1F_E_NS1_11comp_targetILNS1_3genE2ELNS1_11target_archE906ELNS1_3gpuE6ELNS1_3repE0EEENS1_30default_config_static_selectorELNS0_4arch9wavefront6targetE0EEEvT1_.has_dyn_sized_stack, 0
	.set _ZN7rocprim17ROCPRIM_400000_NS6detail17trampoline_kernelINS0_14default_configENS1_25partition_config_selectorILNS1_17partition_subalgoE6EsNS0_10empty_typeEbEEZZNS1_14partition_implILS5_6ELb0ES3_mN6thrust23THRUST_200600_302600_NS6detail15normal_iteratorINSA_10device_ptrIsEEEEPS6_SG_NS0_5tupleIJSF_S6_EEENSH_IJSG_SG_EEES6_PlJNSB_9not_fun_tINSB_10functional5actorINSM_9compositeIJNSM_27transparent_binary_operatorINSA_8equal_toIvEEEENSN_INSM_8argumentILj0EEEEENSM_5valueIsEEEEEEEEEEEE10hipError_tPvRmT3_T4_T5_T6_T7_T9_mT8_P12ihipStream_tbDpT10_ENKUlT_T0_E_clISt17integral_constantIbLb1EES1J_IbLb0EEEEDaS1F_S1G_EUlS1F_E_NS1_11comp_targetILNS1_3genE2ELNS1_11target_archE906ELNS1_3gpuE6ELNS1_3repE0EEENS1_30default_config_static_selectorELNS0_4arch9wavefront6targetE0EEEvT1_.has_recursion, 0
	.set _ZN7rocprim17ROCPRIM_400000_NS6detail17trampoline_kernelINS0_14default_configENS1_25partition_config_selectorILNS1_17partition_subalgoE6EsNS0_10empty_typeEbEEZZNS1_14partition_implILS5_6ELb0ES3_mN6thrust23THRUST_200600_302600_NS6detail15normal_iteratorINSA_10device_ptrIsEEEEPS6_SG_NS0_5tupleIJSF_S6_EEENSH_IJSG_SG_EEES6_PlJNSB_9not_fun_tINSB_10functional5actorINSM_9compositeIJNSM_27transparent_binary_operatorINSA_8equal_toIvEEEENSN_INSM_8argumentILj0EEEEENSM_5valueIsEEEEEEEEEEEE10hipError_tPvRmT3_T4_T5_T6_T7_T9_mT8_P12ihipStream_tbDpT10_ENKUlT_T0_E_clISt17integral_constantIbLb1EES1J_IbLb0EEEEDaS1F_S1G_EUlS1F_E_NS1_11comp_targetILNS1_3genE2ELNS1_11target_archE906ELNS1_3gpuE6ELNS1_3repE0EEENS1_30default_config_static_selectorELNS0_4arch9wavefront6targetE0EEEvT1_.has_indirect_call, 0
	.section	.AMDGPU.csdata,"",@progbits
; Kernel info:
; codeLenInByte = 0
; TotalNumSgprs: 0
; NumVgprs: 0
; ScratchSize: 0
; MemoryBound: 0
; FloatMode: 240
; IeeeMode: 1
; LDSByteSize: 0 bytes/workgroup (compile time only)
; SGPRBlocks: 0
; VGPRBlocks: 0
; NumSGPRsForWavesPerEU: 1
; NumVGPRsForWavesPerEU: 1
; Occupancy: 16
; WaveLimiterHint : 0
; COMPUTE_PGM_RSRC2:SCRATCH_EN: 0
; COMPUTE_PGM_RSRC2:USER_SGPR: 2
; COMPUTE_PGM_RSRC2:TRAP_HANDLER: 0
; COMPUTE_PGM_RSRC2:TGID_X_EN: 1
; COMPUTE_PGM_RSRC2:TGID_Y_EN: 0
; COMPUTE_PGM_RSRC2:TGID_Z_EN: 0
; COMPUTE_PGM_RSRC2:TIDIG_COMP_CNT: 0
	.section	.text._ZN7rocprim17ROCPRIM_400000_NS6detail17trampoline_kernelINS0_14default_configENS1_25partition_config_selectorILNS1_17partition_subalgoE6EsNS0_10empty_typeEbEEZZNS1_14partition_implILS5_6ELb0ES3_mN6thrust23THRUST_200600_302600_NS6detail15normal_iteratorINSA_10device_ptrIsEEEEPS6_SG_NS0_5tupleIJSF_S6_EEENSH_IJSG_SG_EEES6_PlJNSB_9not_fun_tINSB_10functional5actorINSM_9compositeIJNSM_27transparent_binary_operatorINSA_8equal_toIvEEEENSN_INSM_8argumentILj0EEEEENSM_5valueIsEEEEEEEEEEEE10hipError_tPvRmT3_T4_T5_T6_T7_T9_mT8_P12ihipStream_tbDpT10_ENKUlT_T0_E_clISt17integral_constantIbLb1EES1J_IbLb0EEEEDaS1F_S1G_EUlS1F_E_NS1_11comp_targetILNS1_3genE10ELNS1_11target_archE1200ELNS1_3gpuE4ELNS1_3repE0EEENS1_30default_config_static_selectorELNS0_4arch9wavefront6targetE0EEEvT1_,"axG",@progbits,_ZN7rocprim17ROCPRIM_400000_NS6detail17trampoline_kernelINS0_14default_configENS1_25partition_config_selectorILNS1_17partition_subalgoE6EsNS0_10empty_typeEbEEZZNS1_14partition_implILS5_6ELb0ES3_mN6thrust23THRUST_200600_302600_NS6detail15normal_iteratorINSA_10device_ptrIsEEEEPS6_SG_NS0_5tupleIJSF_S6_EEENSH_IJSG_SG_EEES6_PlJNSB_9not_fun_tINSB_10functional5actorINSM_9compositeIJNSM_27transparent_binary_operatorINSA_8equal_toIvEEEENSN_INSM_8argumentILj0EEEEENSM_5valueIsEEEEEEEEEEEE10hipError_tPvRmT3_T4_T5_T6_T7_T9_mT8_P12ihipStream_tbDpT10_ENKUlT_T0_E_clISt17integral_constantIbLb1EES1J_IbLb0EEEEDaS1F_S1G_EUlS1F_E_NS1_11comp_targetILNS1_3genE10ELNS1_11target_archE1200ELNS1_3gpuE4ELNS1_3repE0EEENS1_30default_config_static_selectorELNS0_4arch9wavefront6targetE0EEEvT1_,comdat
	.protected	_ZN7rocprim17ROCPRIM_400000_NS6detail17trampoline_kernelINS0_14default_configENS1_25partition_config_selectorILNS1_17partition_subalgoE6EsNS0_10empty_typeEbEEZZNS1_14partition_implILS5_6ELb0ES3_mN6thrust23THRUST_200600_302600_NS6detail15normal_iteratorINSA_10device_ptrIsEEEEPS6_SG_NS0_5tupleIJSF_S6_EEENSH_IJSG_SG_EEES6_PlJNSB_9not_fun_tINSB_10functional5actorINSM_9compositeIJNSM_27transparent_binary_operatorINSA_8equal_toIvEEEENSN_INSM_8argumentILj0EEEEENSM_5valueIsEEEEEEEEEEEE10hipError_tPvRmT3_T4_T5_T6_T7_T9_mT8_P12ihipStream_tbDpT10_ENKUlT_T0_E_clISt17integral_constantIbLb1EES1J_IbLb0EEEEDaS1F_S1G_EUlS1F_E_NS1_11comp_targetILNS1_3genE10ELNS1_11target_archE1200ELNS1_3gpuE4ELNS1_3repE0EEENS1_30default_config_static_selectorELNS0_4arch9wavefront6targetE0EEEvT1_ ; -- Begin function _ZN7rocprim17ROCPRIM_400000_NS6detail17trampoline_kernelINS0_14default_configENS1_25partition_config_selectorILNS1_17partition_subalgoE6EsNS0_10empty_typeEbEEZZNS1_14partition_implILS5_6ELb0ES3_mN6thrust23THRUST_200600_302600_NS6detail15normal_iteratorINSA_10device_ptrIsEEEEPS6_SG_NS0_5tupleIJSF_S6_EEENSH_IJSG_SG_EEES6_PlJNSB_9not_fun_tINSB_10functional5actorINSM_9compositeIJNSM_27transparent_binary_operatorINSA_8equal_toIvEEEENSN_INSM_8argumentILj0EEEEENSM_5valueIsEEEEEEEEEEEE10hipError_tPvRmT3_T4_T5_T6_T7_T9_mT8_P12ihipStream_tbDpT10_ENKUlT_T0_E_clISt17integral_constantIbLb1EES1J_IbLb0EEEEDaS1F_S1G_EUlS1F_E_NS1_11comp_targetILNS1_3genE10ELNS1_11target_archE1200ELNS1_3gpuE4ELNS1_3repE0EEENS1_30default_config_static_selectorELNS0_4arch9wavefront6targetE0EEEvT1_
	.globl	_ZN7rocprim17ROCPRIM_400000_NS6detail17trampoline_kernelINS0_14default_configENS1_25partition_config_selectorILNS1_17partition_subalgoE6EsNS0_10empty_typeEbEEZZNS1_14partition_implILS5_6ELb0ES3_mN6thrust23THRUST_200600_302600_NS6detail15normal_iteratorINSA_10device_ptrIsEEEEPS6_SG_NS0_5tupleIJSF_S6_EEENSH_IJSG_SG_EEES6_PlJNSB_9not_fun_tINSB_10functional5actorINSM_9compositeIJNSM_27transparent_binary_operatorINSA_8equal_toIvEEEENSN_INSM_8argumentILj0EEEEENSM_5valueIsEEEEEEEEEEEE10hipError_tPvRmT3_T4_T5_T6_T7_T9_mT8_P12ihipStream_tbDpT10_ENKUlT_T0_E_clISt17integral_constantIbLb1EES1J_IbLb0EEEEDaS1F_S1G_EUlS1F_E_NS1_11comp_targetILNS1_3genE10ELNS1_11target_archE1200ELNS1_3gpuE4ELNS1_3repE0EEENS1_30default_config_static_selectorELNS0_4arch9wavefront6targetE0EEEvT1_
	.p2align	8
	.type	_ZN7rocprim17ROCPRIM_400000_NS6detail17trampoline_kernelINS0_14default_configENS1_25partition_config_selectorILNS1_17partition_subalgoE6EsNS0_10empty_typeEbEEZZNS1_14partition_implILS5_6ELb0ES3_mN6thrust23THRUST_200600_302600_NS6detail15normal_iteratorINSA_10device_ptrIsEEEEPS6_SG_NS0_5tupleIJSF_S6_EEENSH_IJSG_SG_EEES6_PlJNSB_9not_fun_tINSB_10functional5actorINSM_9compositeIJNSM_27transparent_binary_operatorINSA_8equal_toIvEEEENSN_INSM_8argumentILj0EEEEENSM_5valueIsEEEEEEEEEEEE10hipError_tPvRmT3_T4_T5_T6_T7_T9_mT8_P12ihipStream_tbDpT10_ENKUlT_T0_E_clISt17integral_constantIbLb1EES1J_IbLb0EEEEDaS1F_S1G_EUlS1F_E_NS1_11comp_targetILNS1_3genE10ELNS1_11target_archE1200ELNS1_3gpuE4ELNS1_3repE0EEENS1_30default_config_static_selectorELNS0_4arch9wavefront6targetE0EEEvT1_,@function
_ZN7rocprim17ROCPRIM_400000_NS6detail17trampoline_kernelINS0_14default_configENS1_25partition_config_selectorILNS1_17partition_subalgoE6EsNS0_10empty_typeEbEEZZNS1_14partition_implILS5_6ELb0ES3_mN6thrust23THRUST_200600_302600_NS6detail15normal_iteratorINSA_10device_ptrIsEEEEPS6_SG_NS0_5tupleIJSF_S6_EEENSH_IJSG_SG_EEES6_PlJNSB_9not_fun_tINSB_10functional5actorINSM_9compositeIJNSM_27transparent_binary_operatorINSA_8equal_toIvEEEENSN_INSM_8argumentILj0EEEEENSM_5valueIsEEEEEEEEEEEE10hipError_tPvRmT3_T4_T5_T6_T7_T9_mT8_P12ihipStream_tbDpT10_ENKUlT_T0_E_clISt17integral_constantIbLb1EES1J_IbLb0EEEEDaS1F_S1G_EUlS1F_E_NS1_11comp_targetILNS1_3genE10ELNS1_11target_archE1200ELNS1_3gpuE4ELNS1_3repE0EEENS1_30default_config_static_selectorELNS0_4arch9wavefront6targetE0EEEvT1_: ; @_ZN7rocprim17ROCPRIM_400000_NS6detail17trampoline_kernelINS0_14default_configENS1_25partition_config_selectorILNS1_17partition_subalgoE6EsNS0_10empty_typeEbEEZZNS1_14partition_implILS5_6ELb0ES3_mN6thrust23THRUST_200600_302600_NS6detail15normal_iteratorINSA_10device_ptrIsEEEEPS6_SG_NS0_5tupleIJSF_S6_EEENSH_IJSG_SG_EEES6_PlJNSB_9not_fun_tINSB_10functional5actorINSM_9compositeIJNSM_27transparent_binary_operatorINSA_8equal_toIvEEEENSN_INSM_8argumentILj0EEEEENSM_5valueIsEEEEEEEEEEEE10hipError_tPvRmT3_T4_T5_T6_T7_T9_mT8_P12ihipStream_tbDpT10_ENKUlT_T0_E_clISt17integral_constantIbLb1EES1J_IbLb0EEEEDaS1F_S1G_EUlS1F_E_NS1_11comp_targetILNS1_3genE10ELNS1_11target_archE1200ELNS1_3gpuE4ELNS1_3repE0EEENS1_30default_config_static_selectorELNS0_4arch9wavefront6targetE0EEEvT1_
; %bb.0:
	s_endpgm
	.section	.rodata,"a",@progbits
	.p2align	6, 0x0
	.amdhsa_kernel _ZN7rocprim17ROCPRIM_400000_NS6detail17trampoline_kernelINS0_14default_configENS1_25partition_config_selectorILNS1_17partition_subalgoE6EsNS0_10empty_typeEbEEZZNS1_14partition_implILS5_6ELb0ES3_mN6thrust23THRUST_200600_302600_NS6detail15normal_iteratorINSA_10device_ptrIsEEEEPS6_SG_NS0_5tupleIJSF_S6_EEENSH_IJSG_SG_EEES6_PlJNSB_9not_fun_tINSB_10functional5actorINSM_9compositeIJNSM_27transparent_binary_operatorINSA_8equal_toIvEEEENSN_INSM_8argumentILj0EEEEENSM_5valueIsEEEEEEEEEEEE10hipError_tPvRmT3_T4_T5_T6_T7_T9_mT8_P12ihipStream_tbDpT10_ENKUlT_T0_E_clISt17integral_constantIbLb1EES1J_IbLb0EEEEDaS1F_S1G_EUlS1F_E_NS1_11comp_targetILNS1_3genE10ELNS1_11target_archE1200ELNS1_3gpuE4ELNS1_3repE0EEENS1_30default_config_static_selectorELNS0_4arch9wavefront6targetE0EEEvT1_
		.amdhsa_group_segment_fixed_size 0
		.amdhsa_private_segment_fixed_size 0
		.amdhsa_kernarg_size 120
		.amdhsa_user_sgpr_count 2
		.amdhsa_user_sgpr_dispatch_ptr 0
		.amdhsa_user_sgpr_queue_ptr 0
		.amdhsa_user_sgpr_kernarg_segment_ptr 1
		.amdhsa_user_sgpr_dispatch_id 0
		.amdhsa_user_sgpr_private_segment_size 0
		.amdhsa_wavefront_size32 1
		.amdhsa_uses_dynamic_stack 0
		.amdhsa_enable_private_segment 0
		.amdhsa_system_sgpr_workgroup_id_x 1
		.amdhsa_system_sgpr_workgroup_id_y 0
		.amdhsa_system_sgpr_workgroup_id_z 0
		.amdhsa_system_sgpr_workgroup_info 0
		.amdhsa_system_vgpr_workitem_id 0
		.amdhsa_next_free_vgpr 1
		.amdhsa_next_free_sgpr 1
		.amdhsa_reserve_vcc 0
		.amdhsa_float_round_mode_32 0
		.amdhsa_float_round_mode_16_64 0
		.amdhsa_float_denorm_mode_32 3
		.amdhsa_float_denorm_mode_16_64 3
		.amdhsa_fp16_overflow 0
		.amdhsa_workgroup_processor_mode 1
		.amdhsa_memory_ordered 1
		.amdhsa_forward_progress 1
		.amdhsa_inst_pref_size 1
		.amdhsa_round_robin_scheduling 0
		.amdhsa_exception_fp_ieee_invalid_op 0
		.amdhsa_exception_fp_denorm_src 0
		.amdhsa_exception_fp_ieee_div_zero 0
		.amdhsa_exception_fp_ieee_overflow 0
		.amdhsa_exception_fp_ieee_underflow 0
		.amdhsa_exception_fp_ieee_inexact 0
		.amdhsa_exception_int_div_zero 0
	.end_amdhsa_kernel
	.section	.text._ZN7rocprim17ROCPRIM_400000_NS6detail17trampoline_kernelINS0_14default_configENS1_25partition_config_selectorILNS1_17partition_subalgoE6EsNS0_10empty_typeEbEEZZNS1_14partition_implILS5_6ELb0ES3_mN6thrust23THRUST_200600_302600_NS6detail15normal_iteratorINSA_10device_ptrIsEEEEPS6_SG_NS0_5tupleIJSF_S6_EEENSH_IJSG_SG_EEES6_PlJNSB_9not_fun_tINSB_10functional5actorINSM_9compositeIJNSM_27transparent_binary_operatorINSA_8equal_toIvEEEENSN_INSM_8argumentILj0EEEEENSM_5valueIsEEEEEEEEEEEE10hipError_tPvRmT3_T4_T5_T6_T7_T9_mT8_P12ihipStream_tbDpT10_ENKUlT_T0_E_clISt17integral_constantIbLb1EES1J_IbLb0EEEEDaS1F_S1G_EUlS1F_E_NS1_11comp_targetILNS1_3genE10ELNS1_11target_archE1200ELNS1_3gpuE4ELNS1_3repE0EEENS1_30default_config_static_selectorELNS0_4arch9wavefront6targetE0EEEvT1_,"axG",@progbits,_ZN7rocprim17ROCPRIM_400000_NS6detail17trampoline_kernelINS0_14default_configENS1_25partition_config_selectorILNS1_17partition_subalgoE6EsNS0_10empty_typeEbEEZZNS1_14partition_implILS5_6ELb0ES3_mN6thrust23THRUST_200600_302600_NS6detail15normal_iteratorINSA_10device_ptrIsEEEEPS6_SG_NS0_5tupleIJSF_S6_EEENSH_IJSG_SG_EEES6_PlJNSB_9not_fun_tINSB_10functional5actorINSM_9compositeIJNSM_27transparent_binary_operatorINSA_8equal_toIvEEEENSN_INSM_8argumentILj0EEEEENSM_5valueIsEEEEEEEEEEEE10hipError_tPvRmT3_T4_T5_T6_T7_T9_mT8_P12ihipStream_tbDpT10_ENKUlT_T0_E_clISt17integral_constantIbLb1EES1J_IbLb0EEEEDaS1F_S1G_EUlS1F_E_NS1_11comp_targetILNS1_3genE10ELNS1_11target_archE1200ELNS1_3gpuE4ELNS1_3repE0EEENS1_30default_config_static_selectorELNS0_4arch9wavefront6targetE0EEEvT1_,comdat
.Lfunc_end265:
	.size	_ZN7rocprim17ROCPRIM_400000_NS6detail17trampoline_kernelINS0_14default_configENS1_25partition_config_selectorILNS1_17partition_subalgoE6EsNS0_10empty_typeEbEEZZNS1_14partition_implILS5_6ELb0ES3_mN6thrust23THRUST_200600_302600_NS6detail15normal_iteratorINSA_10device_ptrIsEEEEPS6_SG_NS0_5tupleIJSF_S6_EEENSH_IJSG_SG_EEES6_PlJNSB_9not_fun_tINSB_10functional5actorINSM_9compositeIJNSM_27transparent_binary_operatorINSA_8equal_toIvEEEENSN_INSM_8argumentILj0EEEEENSM_5valueIsEEEEEEEEEEEE10hipError_tPvRmT3_T4_T5_T6_T7_T9_mT8_P12ihipStream_tbDpT10_ENKUlT_T0_E_clISt17integral_constantIbLb1EES1J_IbLb0EEEEDaS1F_S1G_EUlS1F_E_NS1_11comp_targetILNS1_3genE10ELNS1_11target_archE1200ELNS1_3gpuE4ELNS1_3repE0EEENS1_30default_config_static_selectorELNS0_4arch9wavefront6targetE0EEEvT1_, .Lfunc_end265-_ZN7rocprim17ROCPRIM_400000_NS6detail17trampoline_kernelINS0_14default_configENS1_25partition_config_selectorILNS1_17partition_subalgoE6EsNS0_10empty_typeEbEEZZNS1_14partition_implILS5_6ELb0ES3_mN6thrust23THRUST_200600_302600_NS6detail15normal_iteratorINSA_10device_ptrIsEEEEPS6_SG_NS0_5tupleIJSF_S6_EEENSH_IJSG_SG_EEES6_PlJNSB_9not_fun_tINSB_10functional5actorINSM_9compositeIJNSM_27transparent_binary_operatorINSA_8equal_toIvEEEENSN_INSM_8argumentILj0EEEEENSM_5valueIsEEEEEEEEEEEE10hipError_tPvRmT3_T4_T5_T6_T7_T9_mT8_P12ihipStream_tbDpT10_ENKUlT_T0_E_clISt17integral_constantIbLb1EES1J_IbLb0EEEEDaS1F_S1G_EUlS1F_E_NS1_11comp_targetILNS1_3genE10ELNS1_11target_archE1200ELNS1_3gpuE4ELNS1_3repE0EEENS1_30default_config_static_selectorELNS0_4arch9wavefront6targetE0EEEvT1_
                                        ; -- End function
	.set _ZN7rocprim17ROCPRIM_400000_NS6detail17trampoline_kernelINS0_14default_configENS1_25partition_config_selectorILNS1_17partition_subalgoE6EsNS0_10empty_typeEbEEZZNS1_14partition_implILS5_6ELb0ES3_mN6thrust23THRUST_200600_302600_NS6detail15normal_iteratorINSA_10device_ptrIsEEEEPS6_SG_NS0_5tupleIJSF_S6_EEENSH_IJSG_SG_EEES6_PlJNSB_9not_fun_tINSB_10functional5actorINSM_9compositeIJNSM_27transparent_binary_operatorINSA_8equal_toIvEEEENSN_INSM_8argumentILj0EEEEENSM_5valueIsEEEEEEEEEEEE10hipError_tPvRmT3_T4_T5_T6_T7_T9_mT8_P12ihipStream_tbDpT10_ENKUlT_T0_E_clISt17integral_constantIbLb1EES1J_IbLb0EEEEDaS1F_S1G_EUlS1F_E_NS1_11comp_targetILNS1_3genE10ELNS1_11target_archE1200ELNS1_3gpuE4ELNS1_3repE0EEENS1_30default_config_static_selectorELNS0_4arch9wavefront6targetE0EEEvT1_.num_vgpr, 0
	.set _ZN7rocprim17ROCPRIM_400000_NS6detail17trampoline_kernelINS0_14default_configENS1_25partition_config_selectorILNS1_17partition_subalgoE6EsNS0_10empty_typeEbEEZZNS1_14partition_implILS5_6ELb0ES3_mN6thrust23THRUST_200600_302600_NS6detail15normal_iteratorINSA_10device_ptrIsEEEEPS6_SG_NS0_5tupleIJSF_S6_EEENSH_IJSG_SG_EEES6_PlJNSB_9not_fun_tINSB_10functional5actorINSM_9compositeIJNSM_27transparent_binary_operatorINSA_8equal_toIvEEEENSN_INSM_8argumentILj0EEEEENSM_5valueIsEEEEEEEEEEEE10hipError_tPvRmT3_T4_T5_T6_T7_T9_mT8_P12ihipStream_tbDpT10_ENKUlT_T0_E_clISt17integral_constantIbLb1EES1J_IbLb0EEEEDaS1F_S1G_EUlS1F_E_NS1_11comp_targetILNS1_3genE10ELNS1_11target_archE1200ELNS1_3gpuE4ELNS1_3repE0EEENS1_30default_config_static_selectorELNS0_4arch9wavefront6targetE0EEEvT1_.num_agpr, 0
	.set _ZN7rocprim17ROCPRIM_400000_NS6detail17trampoline_kernelINS0_14default_configENS1_25partition_config_selectorILNS1_17partition_subalgoE6EsNS0_10empty_typeEbEEZZNS1_14partition_implILS5_6ELb0ES3_mN6thrust23THRUST_200600_302600_NS6detail15normal_iteratorINSA_10device_ptrIsEEEEPS6_SG_NS0_5tupleIJSF_S6_EEENSH_IJSG_SG_EEES6_PlJNSB_9not_fun_tINSB_10functional5actorINSM_9compositeIJNSM_27transparent_binary_operatorINSA_8equal_toIvEEEENSN_INSM_8argumentILj0EEEEENSM_5valueIsEEEEEEEEEEEE10hipError_tPvRmT3_T4_T5_T6_T7_T9_mT8_P12ihipStream_tbDpT10_ENKUlT_T0_E_clISt17integral_constantIbLb1EES1J_IbLb0EEEEDaS1F_S1G_EUlS1F_E_NS1_11comp_targetILNS1_3genE10ELNS1_11target_archE1200ELNS1_3gpuE4ELNS1_3repE0EEENS1_30default_config_static_selectorELNS0_4arch9wavefront6targetE0EEEvT1_.numbered_sgpr, 0
	.set _ZN7rocprim17ROCPRIM_400000_NS6detail17trampoline_kernelINS0_14default_configENS1_25partition_config_selectorILNS1_17partition_subalgoE6EsNS0_10empty_typeEbEEZZNS1_14partition_implILS5_6ELb0ES3_mN6thrust23THRUST_200600_302600_NS6detail15normal_iteratorINSA_10device_ptrIsEEEEPS6_SG_NS0_5tupleIJSF_S6_EEENSH_IJSG_SG_EEES6_PlJNSB_9not_fun_tINSB_10functional5actorINSM_9compositeIJNSM_27transparent_binary_operatorINSA_8equal_toIvEEEENSN_INSM_8argumentILj0EEEEENSM_5valueIsEEEEEEEEEEEE10hipError_tPvRmT3_T4_T5_T6_T7_T9_mT8_P12ihipStream_tbDpT10_ENKUlT_T0_E_clISt17integral_constantIbLb1EES1J_IbLb0EEEEDaS1F_S1G_EUlS1F_E_NS1_11comp_targetILNS1_3genE10ELNS1_11target_archE1200ELNS1_3gpuE4ELNS1_3repE0EEENS1_30default_config_static_selectorELNS0_4arch9wavefront6targetE0EEEvT1_.num_named_barrier, 0
	.set _ZN7rocprim17ROCPRIM_400000_NS6detail17trampoline_kernelINS0_14default_configENS1_25partition_config_selectorILNS1_17partition_subalgoE6EsNS0_10empty_typeEbEEZZNS1_14partition_implILS5_6ELb0ES3_mN6thrust23THRUST_200600_302600_NS6detail15normal_iteratorINSA_10device_ptrIsEEEEPS6_SG_NS0_5tupleIJSF_S6_EEENSH_IJSG_SG_EEES6_PlJNSB_9not_fun_tINSB_10functional5actorINSM_9compositeIJNSM_27transparent_binary_operatorINSA_8equal_toIvEEEENSN_INSM_8argumentILj0EEEEENSM_5valueIsEEEEEEEEEEEE10hipError_tPvRmT3_T4_T5_T6_T7_T9_mT8_P12ihipStream_tbDpT10_ENKUlT_T0_E_clISt17integral_constantIbLb1EES1J_IbLb0EEEEDaS1F_S1G_EUlS1F_E_NS1_11comp_targetILNS1_3genE10ELNS1_11target_archE1200ELNS1_3gpuE4ELNS1_3repE0EEENS1_30default_config_static_selectorELNS0_4arch9wavefront6targetE0EEEvT1_.private_seg_size, 0
	.set _ZN7rocprim17ROCPRIM_400000_NS6detail17trampoline_kernelINS0_14default_configENS1_25partition_config_selectorILNS1_17partition_subalgoE6EsNS0_10empty_typeEbEEZZNS1_14partition_implILS5_6ELb0ES3_mN6thrust23THRUST_200600_302600_NS6detail15normal_iteratorINSA_10device_ptrIsEEEEPS6_SG_NS0_5tupleIJSF_S6_EEENSH_IJSG_SG_EEES6_PlJNSB_9not_fun_tINSB_10functional5actorINSM_9compositeIJNSM_27transparent_binary_operatorINSA_8equal_toIvEEEENSN_INSM_8argumentILj0EEEEENSM_5valueIsEEEEEEEEEEEE10hipError_tPvRmT3_T4_T5_T6_T7_T9_mT8_P12ihipStream_tbDpT10_ENKUlT_T0_E_clISt17integral_constantIbLb1EES1J_IbLb0EEEEDaS1F_S1G_EUlS1F_E_NS1_11comp_targetILNS1_3genE10ELNS1_11target_archE1200ELNS1_3gpuE4ELNS1_3repE0EEENS1_30default_config_static_selectorELNS0_4arch9wavefront6targetE0EEEvT1_.uses_vcc, 0
	.set _ZN7rocprim17ROCPRIM_400000_NS6detail17trampoline_kernelINS0_14default_configENS1_25partition_config_selectorILNS1_17partition_subalgoE6EsNS0_10empty_typeEbEEZZNS1_14partition_implILS5_6ELb0ES3_mN6thrust23THRUST_200600_302600_NS6detail15normal_iteratorINSA_10device_ptrIsEEEEPS6_SG_NS0_5tupleIJSF_S6_EEENSH_IJSG_SG_EEES6_PlJNSB_9not_fun_tINSB_10functional5actorINSM_9compositeIJNSM_27transparent_binary_operatorINSA_8equal_toIvEEEENSN_INSM_8argumentILj0EEEEENSM_5valueIsEEEEEEEEEEEE10hipError_tPvRmT3_T4_T5_T6_T7_T9_mT8_P12ihipStream_tbDpT10_ENKUlT_T0_E_clISt17integral_constantIbLb1EES1J_IbLb0EEEEDaS1F_S1G_EUlS1F_E_NS1_11comp_targetILNS1_3genE10ELNS1_11target_archE1200ELNS1_3gpuE4ELNS1_3repE0EEENS1_30default_config_static_selectorELNS0_4arch9wavefront6targetE0EEEvT1_.uses_flat_scratch, 0
	.set _ZN7rocprim17ROCPRIM_400000_NS6detail17trampoline_kernelINS0_14default_configENS1_25partition_config_selectorILNS1_17partition_subalgoE6EsNS0_10empty_typeEbEEZZNS1_14partition_implILS5_6ELb0ES3_mN6thrust23THRUST_200600_302600_NS6detail15normal_iteratorINSA_10device_ptrIsEEEEPS6_SG_NS0_5tupleIJSF_S6_EEENSH_IJSG_SG_EEES6_PlJNSB_9not_fun_tINSB_10functional5actorINSM_9compositeIJNSM_27transparent_binary_operatorINSA_8equal_toIvEEEENSN_INSM_8argumentILj0EEEEENSM_5valueIsEEEEEEEEEEEE10hipError_tPvRmT3_T4_T5_T6_T7_T9_mT8_P12ihipStream_tbDpT10_ENKUlT_T0_E_clISt17integral_constantIbLb1EES1J_IbLb0EEEEDaS1F_S1G_EUlS1F_E_NS1_11comp_targetILNS1_3genE10ELNS1_11target_archE1200ELNS1_3gpuE4ELNS1_3repE0EEENS1_30default_config_static_selectorELNS0_4arch9wavefront6targetE0EEEvT1_.has_dyn_sized_stack, 0
	.set _ZN7rocprim17ROCPRIM_400000_NS6detail17trampoline_kernelINS0_14default_configENS1_25partition_config_selectorILNS1_17partition_subalgoE6EsNS0_10empty_typeEbEEZZNS1_14partition_implILS5_6ELb0ES3_mN6thrust23THRUST_200600_302600_NS6detail15normal_iteratorINSA_10device_ptrIsEEEEPS6_SG_NS0_5tupleIJSF_S6_EEENSH_IJSG_SG_EEES6_PlJNSB_9not_fun_tINSB_10functional5actorINSM_9compositeIJNSM_27transparent_binary_operatorINSA_8equal_toIvEEEENSN_INSM_8argumentILj0EEEEENSM_5valueIsEEEEEEEEEEEE10hipError_tPvRmT3_T4_T5_T6_T7_T9_mT8_P12ihipStream_tbDpT10_ENKUlT_T0_E_clISt17integral_constantIbLb1EES1J_IbLb0EEEEDaS1F_S1G_EUlS1F_E_NS1_11comp_targetILNS1_3genE10ELNS1_11target_archE1200ELNS1_3gpuE4ELNS1_3repE0EEENS1_30default_config_static_selectorELNS0_4arch9wavefront6targetE0EEEvT1_.has_recursion, 0
	.set _ZN7rocprim17ROCPRIM_400000_NS6detail17trampoline_kernelINS0_14default_configENS1_25partition_config_selectorILNS1_17partition_subalgoE6EsNS0_10empty_typeEbEEZZNS1_14partition_implILS5_6ELb0ES3_mN6thrust23THRUST_200600_302600_NS6detail15normal_iteratorINSA_10device_ptrIsEEEEPS6_SG_NS0_5tupleIJSF_S6_EEENSH_IJSG_SG_EEES6_PlJNSB_9not_fun_tINSB_10functional5actorINSM_9compositeIJNSM_27transparent_binary_operatorINSA_8equal_toIvEEEENSN_INSM_8argumentILj0EEEEENSM_5valueIsEEEEEEEEEEEE10hipError_tPvRmT3_T4_T5_T6_T7_T9_mT8_P12ihipStream_tbDpT10_ENKUlT_T0_E_clISt17integral_constantIbLb1EES1J_IbLb0EEEEDaS1F_S1G_EUlS1F_E_NS1_11comp_targetILNS1_3genE10ELNS1_11target_archE1200ELNS1_3gpuE4ELNS1_3repE0EEENS1_30default_config_static_selectorELNS0_4arch9wavefront6targetE0EEEvT1_.has_indirect_call, 0
	.section	.AMDGPU.csdata,"",@progbits
; Kernel info:
; codeLenInByte = 4
; TotalNumSgprs: 0
; NumVgprs: 0
; ScratchSize: 0
; MemoryBound: 0
; FloatMode: 240
; IeeeMode: 1
; LDSByteSize: 0 bytes/workgroup (compile time only)
; SGPRBlocks: 0
; VGPRBlocks: 0
; NumSGPRsForWavesPerEU: 1
; NumVGPRsForWavesPerEU: 1
; Occupancy: 16
; WaveLimiterHint : 0
; COMPUTE_PGM_RSRC2:SCRATCH_EN: 0
; COMPUTE_PGM_RSRC2:USER_SGPR: 2
; COMPUTE_PGM_RSRC2:TRAP_HANDLER: 0
; COMPUTE_PGM_RSRC2:TGID_X_EN: 1
; COMPUTE_PGM_RSRC2:TGID_Y_EN: 0
; COMPUTE_PGM_RSRC2:TGID_Z_EN: 0
; COMPUTE_PGM_RSRC2:TIDIG_COMP_CNT: 0
	.section	.text._ZN7rocprim17ROCPRIM_400000_NS6detail17trampoline_kernelINS0_14default_configENS1_25partition_config_selectorILNS1_17partition_subalgoE6EsNS0_10empty_typeEbEEZZNS1_14partition_implILS5_6ELb0ES3_mN6thrust23THRUST_200600_302600_NS6detail15normal_iteratorINSA_10device_ptrIsEEEEPS6_SG_NS0_5tupleIJSF_S6_EEENSH_IJSG_SG_EEES6_PlJNSB_9not_fun_tINSB_10functional5actorINSM_9compositeIJNSM_27transparent_binary_operatorINSA_8equal_toIvEEEENSN_INSM_8argumentILj0EEEEENSM_5valueIsEEEEEEEEEEEE10hipError_tPvRmT3_T4_T5_T6_T7_T9_mT8_P12ihipStream_tbDpT10_ENKUlT_T0_E_clISt17integral_constantIbLb1EES1J_IbLb0EEEEDaS1F_S1G_EUlS1F_E_NS1_11comp_targetILNS1_3genE9ELNS1_11target_archE1100ELNS1_3gpuE3ELNS1_3repE0EEENS1_30default_config_static_selectorELNS0_4arch9wavefront6targetE0EEEvT1_,"axG",@progbits,_ZN7rocprim17ROCPRIM_400000_NS6detail17trampoline_kernelINS0_14default_configENS1_25partition_config_selectorILNS1_17partition_subalgoE6EsNS0_10empty_typeEbEEZZNS1_14partition_implILS5_6ELb0ES3_mN6thrust23THRUST_200600_302600_NS6detail15normal_iteratorINSA_10device_ptrIsEEEEPS6_SG_NS0_5tupleIJSF_S6_EEENSH_IJSG_SG_EEES6_PlJNSB_9not_fun_tINSB_10functional5actorINSM_9compositeIJNSM_27transparent_binary_operatorINSA_8equal_toIvEEEENSN_INSM_8argumentILj0EEEEENSM_5valueIsEEEEEEEEEEEE10hipError_tPvRmT3_T4_T5_T6_T7_T9_mT8_P12ihipStream_tbDpT10_ENKUlT_T0_E_clISt17integral_constantIbLb1EES1J_IbLb0EEEEDaS1F_S1G_EUlS1F_E_NS1_11comp_targetILNS1_3genE9ELNS1_11target_archE1100ELNS1_3gpuE3ELNS1_3repE0EEENS1_30default_config_static_selectorELNS0_4arch9wavefront6targetE0EEEvT1_,comdat
	.protected	_ZN7rocprim17ROCPRIM_400000_NS6detail17trampoline_kernelINS0_14default_configENS1_25partition_config_selectorILNS1_17partition_subalgoE6EsNS0_10empty_typeEbEEZZNS1_14partition_implILS5_6ELb0ES3_mN6thrust23THRUST_200600_302600_NS6detail15normal_iteratorINSA_10device_ptrIsEEEEPS6_SG_NS0_5tupleIJSF_S6_EEENSH_IJSG_SG_EEES6_PlJNSB_9not_fun_tINSB_10functional5actorINSM_9compositeIJNSM_27transparent_binary_operatorINSA_8equal_toIvEEEENSN_INSM_8argumentILj0EEEEENSM_5valueIsEEEEEEEEEEEE10hipError_tPvRmT3_T4_T5_T6_T7_T9_mT8_P12ihipStream_tbDpT10_ENKUlT_T0_E_clISt17integral_constantIbLb1EES1J_IbLb0EEEEDaS1F_S1G_EUlS1F_E_NS1_11comp_targetILNS1_3genE9ELNS1_11target_archE1100ELNS1_3gpuE3ELNS1_3repE0EEENS1_30default_config_static_selectorELNS0_4arch9wavefront6targetE0EEEvT1_ ; -- Begin function _ZN7rocprim17ROCPRIM_400000_NS6detail17trampoline_kernelINS0_14default_configENS1_25partition_config_selectorILNS1_17partition_subalgoE6EsNS0_10empty_typeEbEEZZNS1_14partition_implILS5_6ELb0ES3_mN6thrust23THRUST_200600_302600_NS6detail15normal_iteratorINSA_10device_ptrIsEEEEPS6_SG_NS0_5tupleIJSF_S6_EEENSH_IJSG_SG_EEES6_PlJNSB_9not_fun_tINSB_10functional5actorINSM_9compositeIJNSM_27transparent_binary_operatorINSA_8equal_toIvEEEENSN_INSM_8argumentILj0EEEEENSM_5valueIsEEEEEEEEEEEE10hipError_tPvRmT3_T4_T5_T6_T7_T9_mT8_P12ihipStream_tbDpT10_ENKUlT_T0_E_clISt17integral_constantIbLb1EES1J_IbLb0EEEEDaS1F_S1G_EUlS1F_E_NS1_11comp_targetILNS1_3genE9ELNS1_11target_archE1100ELNS1_3gpuE3ELNS1_3repE0EEENS1_30default_config_static_selectorELNS0_4arch9wavefront6targetE0EEEvT1_
	.globl	_ZN7rocprim17ROCPRIM_400000_NS6detail17trampoline_kernelINS0_14default_configENS1_25partition_config_selectorILNS1_17partition_subalgoE6EsNS0_10empty_typeEbEEZZNS1_14partition_implILS5_6ELb0ES3_mN6thrust23THRUST_200600_302600_NS6detail15normal_iteratorINSA_10device_ptrIsEEEEPS6_SG_NS0_5tupleIJSF_S6_EEENSH_IJSG_SG_EEES6_PlJNSB_9not_fun_tINSB_10functional5actorINSM_9compositeIJNSM_27transparent_binary_operatorINSA_8equal_toIvEEEENSN_INSM_8argumentILj0EEEEENSM_5valueIsEEEEEEEEEEEE10hipError_tPvRmT3_T4_T5_T6_T7_T9_mT8_P12ihipStream_tbDpT10_ENKUlT_T0_E_clISt17integral_constantIbLb1EES1J_IbLb0EEEEDaS1F_S1G_EUlS1F_E_NS1_11comp_targetILNS1_3genE9ELNS1_11target_archE1100ELNS1_3gpuE3ELNS1_3repE0EEENS1_30default_config_static_selectorELNS0_4arch9wavefront6targetE0EEEvT1_
	.p2align	8
	.type	_ZN7rocprim17ROCPRIM_400000_NS6detail17trampoline_kernelINS0_14default_configENS1_25partition_config_selectorILNS1_17partition_subalgoE6EsNS0_10empty_typeEbEEZZNS1_14partition_implILS5_6ELb0ES3_mN6thrust23THRUST_200600_302600_NS6detail15normal_iteratorINSA_10device_ptrIsEEEEPS6_SG_NS0_5tupleIJSF_S6_EEENSH_IJSG_SG_EEES6_PlJNSB_9not_fun_tINSB_10functional5actorINSM_9compositeIJNSM_27transparent_binary_operatorINSA_8equal_toIvEEEENSN_INSM_8argumentILj0EEEEENSM_5valueIsEEEEEEEEEEEE10hipError_tPvRmT3_T4_T5_T6_T7_T9_mT8_P12ihipStream_tbDpT10_ENKUlT_T0_E_clISt17integral_constantIbLb1EES1J_IbLb0EEEEDaS1F_S1G_EUlS1F_E_NS1_11comp_targetILNS1_3genE9ELNS1_11target_archE1100ELNS1_3gpuE3ELNS1_3repE0EEENS1_30default_config_static_selectorELNS0_4arch9wavefront6targetE0EEEvT1_,@function
_ZN7rocprim17ROCPRIM_400000_NS6detail17trampoline_kernelINS0_14default_configENS1_25partition_config_selectorILNS1_17partition_subalgoE6EsNS0_10empty_typeEbEEZZNS1_14partition_implILS5_6ELb0ES3_mN6thrust23THRUST_200600_302600_NS6detail15normal_iteratorINSA_10device_ptrIsEEEEPS6_SG_NS0_5tupleIJSF_S6_EEENSH_IJSG_SG_EEES6_PlJNSB_9not_fun_tINSB_10functional5actorINSM_9compositeIJNSM_27transparent_binary_operatorINSA_8equal_toIvEEEENSN_INSM_8argumentILj0EEEEENSM_5valueIsEEEEEEEEEEEE10hipError_tPvRmT3_T4_T5_T6_T7_T9_mT8_P12ihipStream_tbDpT10_ENKUlT_T0_E_clISt17integral_constantIbLb1EES1J_IbLb0EEEEDaS1F_S1G_EUlS1F_E_NS1_11comp_targetILNS1_3genE9ELNS1_11target_archE1100ELNS1_3gpuE3ELNS1_3repE0EEENS1_30default_config_static_selectorELNS0_4arch9wavefront6targetE0EEEvT1_: ; @_ZN7rocprim17ROCPRIM_400000_NS6detail17trampoline_kernelINS0_14default_configENS1_25partition_config_selectorILNS1_17partition_subalgoE6EsNS0_10empty_typeEbEEZZNS1_14partition_implILS5_6ELb0ES3_mN6thrust23THRUST_200600_302600_NS6detail15normal_iteratorINSA_10device_ptrIsEEEEPS6_SG_NS0_5tupleIJSF_S6_EEENSH_IJSG_SG_EEES6_PlJNSB_9not_fun_tINSB_10functional5actorINSM_9compositeIJNSM_27transparent_binary_operatorINSA_8equal_toIvEEEENSN_INSM_8argumentILj0EEEEENSM_5valueIsEEEEEEEEEEEE10hipError_tPvRmT3_T4_T5_T6_T7_T9_mT8_P12ihipStream_tbDpT10_ENKUlT_T0_E_clISt17integral_constantIbLb1EES1J_IbLb0EEEEDaS1F_S1G_EUlS1F_E_NS1_11comp_targetILNS1_3genE9ELNS1_11target_archE1100ELNS1_3gpuE3ELNS1_3repE0EEENS1_30default_config_static_selectorELNS0_4arch9wavefront6targetE0EEEvT1_
; %bb.0:
	.section	.rodata,"a",@progbits
	.p2align	6, 0x0
	.amdhsa_kernel _ZN7rocprim17ROCPRIM_400000_NS6detail17trampoline_kernelINS0_14default_configENS1_25partition_config_selectorILNS1_17partition_subalgoE6EsNS0_10empty_typeEbEEZZNS1_14partition_implILS5_6ELb0ES3_mN6thrust23THRUST_200600_302600_NS6detail15normal_iteratorINSA_10device_ptrIsEEEEPS6_SG_NS0_5tupleIJSF_S6_EEENSH_IJSG_SG_EEES6_PlJNSB_9not_fun_tINSB_10functional5actorINSM_9compositeIJNSM_27transparent_binary_operatorINSA_8equal_toIvEEEENSN_INSM_8argumentILj0EEEEENSM_5valueIsEEEEEEEEEEEE10hipError_tPvRmT3_T4_T5_T6_T7_T9_mT8_P12ihipStream_tbDpT10_ENKUlT_T0_E_clISt17integral_constantIbLb1EES1J_IbLb0EEEEDaS1F_S1G_EUlS1F_E_NS1_11comp_targetILNS1_3genE9ELNS1_11target_archE1100ELNS1_3gpuE3ELNS1_3repE0EEENS1_30default_config_static_selectorELNS0_4arch9wavefront6targetE0EEEvT1_
		.amdhsa_group_segment_fixed_size 0
		.amdhsa_private_segment_fixed_size 0
		.amdhsa_kernarg_size 120
		.amdhsa_user_sgpr_count 2
		.amdhsa_user_sgpr_dispatch_ptr 0
		.amdhsa_user_sgpr_queue_ptr 0
		.amdhsa_user_sgpr_kernarg_segment_ptr 1
		.amdhsa_user_sgpr_dispatch_id 0
		.amdhsa_user_sgpr_private_segment_size 0
		.amdhsa_wavefront_size32 1
		.amdhsa_uses_dynamic_stack 0
		.amdhsa_enable_private_segment 0
		.amdhsa_system_sgpr_workgroup_id_x 1
		.amdhsa_system_sgpr_workgroup_id_y 0
		.amdhsa_system_sgpr_workgroup_id_z 0
		.amdhsa_system_sgpr_workgroup_info 0
		.amdhsa_system_vgpr_workitem_id 0
		.amdhsa_next_free_vgpr 1
		.amdhsa_next_free_sgpr 1
		.amdhsa_reserve_vcc 0
		.amdhsa_float_round_mode_32 0
		.amdhsa_float_round_mode_16_64 0
		.amdhsa_float_denorm_mode_32 3
		.amdhsa_float_denorm_mode_16_64 3
		.amdhsa_fp16_overflow 0
		.amdhsa_workgroup_processor_mode 1
		.amdhsa_memory_ordered 1
		.amdhsa_forward_progress 1
		.amdhsa_inst_pref_size 0
		.amdhsa_round_robin_scheduling 0
		.amdhsa_exception_fp_ieee_invalid_op 0
		.amdhsa_exception_fp_denorm_src 0
		.amdhsa_exception_fp_ieee_div_zero 0
		.amdhsa_exception_fp_ieee_overflow 0
		.amdhsa_exception_fp_ieee_underflow 0
		.amdhsa_exception_fp_ieee_inexact 0
		.amdhsa_exception_int_div_zero 0
	.end_amdhsa_kernel
	.section	.text._ZN7rocprim17ROCPRIM_400000_NS6detail17trampoline_kernelINS0_14default_configENS1_25partition_config_selectorILNS1_17partition_subalgoE6EsNS0_10empty_typeEbEEZZNS1_14partition_implILS5_6ELb0ES3_mN6thrust23THRUST_200600_302600_NS6detail15normal_iteratorINSA_10device_ptrIsEEEEPS6_SG_NS0_5tupleIJSF_S6_EEENSH_IJSG_SG_EEES6_PlJNSB_9not_fun_tINSB_10functional5actorINSM_9compositeIJNSM_27transparent_binary_operatorINSA_8equal_toIvEEEENSN_INSM_8argumentILj0EEEEENSM_5valueIsEEEEEEEEEEEE10hipError_tPvRmT3_T4_T5_T6_T7_T9_mT8_P12ihipStream_tbDpT10_ENKUlT_T0_E_clISt17integral_constantIbLb1EES1J_IbLb0EEEEDaS1F_S1G_EUlS1F_E_NS1_11comp_targetILNS1_3genE9ELNS1_11target_archE1100ELNS1_3gpuE3ELNS1_3repE0EEENS1_30default_config_static_selectorELNS0_4arch9wavefront6targetE0EEEvT1_,"axG",@progbits,_ZN7rocprim17ROCPRIM_400000_NS6detail17trampoline_kernelINS0_14default_configENS1_25partition_config_selectorILNS1_17partition_subalgoE6EsNS0_10empty_typeEbEEZZNS1_14partition_implILS5_6ELb0ES3_mN6thrust23THRUST_200600_302600_NS6detail15normal_iteratorINSA_10device_ptrIsEEEEPS6_SG_NS0_5tupleIJSF_S6_EEENSH_IJSG_SG_EEES6_PlJNSB_9not_fun_tINSB_10functional5actorINSM_9compositeIJNSM_27transparent_binary_operatorINSA_8equal_toIvEEEENSN_INSM_8argumentILj0EEEEENSM_5valueIsEEEEEEEEEEEE10hipError_tPvRmT3_T4_T5_T6_T7_T9_mT8_P12ihipStream_tbDpT10_ENKUlT_T0_E_clISt17integral_constantIbLb1EES1J_IbLb0EEEEDaS1F_S1G_EUlS1F_E_NS1_11comp_targetILNS1_3genE9ELNS1_11target_archE1100ELNS1_3gpuE3ELNS1_3repE0EEENS1_30default_config_static_selectorELNS0_4arch9wavefront6targetE0EEEvT1_,comdat
.Lfunc_end266:
	.size	_ZN7rocprim17ROCPRIM_400000_NS6detail17trampoline_kernelINS0_14default_configENS1_25partition_config_selectorILNS1_17partition_subalgoE6EsNS0_10empty_typeEbEEZZNS1_14partition_implILS5_6ELb0ES3_mN6thrust23THRUST_200600_302600_NS6detail15normal_iteratorINSA_10device_ptrIsEEEEPS6_SG_NS0_5tupleIJSF_S6_EEENSH_IJSG_SG_EEES6_PlJNSB_9not_fun_tINSB_10functional5actorINSM_9compositeIJNSM_27transparent_binary_operatorINSA_8equal_toIvEEEENSN_INSM_8argumentILj0EEEEENSM_5valueIsEEEEEEEEEEEE10hipError_tPvRmT3_T4_T5_T6_T7_T9_mT8_P12ihipStream_tbDpT10_ENKUlT_T0_E_clISt17integral_constantIbLb1EES1J_IbLb0EEEEDaS1F_S1G_EUlS1F_E_NS1_11comp_targetILNS1_3genE9ELNS1_11target_archE1100ELNS1_3gpuE3ELNS1_3repE0EEENS1_30default_config_static_selectorELNS0_4arch9wavefront6targetE0EEEvT1_, .Lfunc_end266-_ZN7rocprim17ROCPRIM_400000_NS6detail17trampoline_kernelINS0_14default_configENS1_25partition_config_selectorILNS1_17partition_subalgoE6EsNS0_10empty_typeEbEEZZNS1_14partition_implILS5_6ELb0ES3_mN6thrust23THRUST_200600_302600_NS6detail15normal_iteratorINSA_10device_ptrIsEEEEPS6_SG_NS0_5tupleIJSF_S6_EEENSH_IJSG_SG_EEES6_PlJNSB_9not_fun_tINSB_10functional5actorINSM_9compositeIJNSM_27transparent_binary_operatorINSA_8equal_toIvEEEENSN_INSM_8argumentILj0EEEEENSM_5valueIsEEEEEEEEEEEE10hipError_tPvRmT3_T4_T5_T6_T7_T9_mT8_P12ihipStream_tbDpT10_ENKUlT_T0_E_clISt17integral_constantIbLb1EES1J_IbLb0EEEEDaS1F_S1G_EUlS1F_E_NS1_11comp_targetILNS1_3genE9ELNS1_11target_archE1100ELNS1_3gpuE3ELNS1_3repE0EEENS1_30default_config_static_selectorELNS0_4arch9wavefront6targetE0EEEvT1_
                                        ; -- End function
	.set _ZN7rocprim17ROCPRIM_400000_NS6detail17trampoline_kernelINS0_14default_configENS1_25partition_config_selectorILNS1_17partition_subalgoE6EsNS0_10empty_typeEbEEZZNS1_14partition_implILS5_6ELb0ES3_mN6thrust23THRUST_200600_302600_NS6detail15normal_iteratorINSA_10device_ptrIsEEEEPS6_SG_NS0_5tupleIJSF_S6_EEENSH_IJSG_SG_EEES6_PlJNSB_9not_fun_tINSB_10functional5actorINSM_9compositeIJNSM_27transparent_binary_operatorINSA_8equal_toIvEEEENSN_INSM_8argumentILj0EEEEENSM_5valueIsEEEEEEEEEEEE10hipError_tPvRmT3_T4_T5_T6_T7_T9_mT8_P12ihipStream_tbDpT10_ENKUlT_T0_E_clISt17integral_constantIbLb1EES1J_IbLb0EEEEDaS1F_S1G_EUlS1F_E_NS1_11comp_targetILNS1_3genE9ELNS1_11target_archE1100ELNS1_3gpuE3ELNS1_3repE0EEENS1_30default_config_static_selectorELNS0_4arch9wavefront6targetE0EEEvT1_.num_vgpr, 0
	.set _ZN7rocprim17ROCPRIM_400000_NS6detail17trampoline_kernelINS0_14default_configENS1_25partition_config_selectorILNS1_17partition_subalgoE6EsNS0_10empty_typeEbEEZZNS1_14partition_implILS5_6ELb0ES3_mN6thrust23THRUST_200600_302600_NS6detail15normal_iteratorINSA_10device_ptrIsEEEEPS6_SG_NS0_5tupleIJSF_S6_EEENSH_IJSG_SG_EEES6_PlJNSB_9not_fun_tINSB_10functional5actorINSM_9compositeIJNSM_27transparent_binary_operatorINSA_8equal_toIvEEEENSN_INSM_8argumentILj0EEEEENSM_5valueIsEEEEEEEEEEEE10hipError_tPvRmT3_T4_T5_T6_T7_T9_mT8_P12ihipStream_tbDpT10_ENKUlT_T0_E_clISt17integral_constantIbLb1EES1J_IbLb0EEEEDaS1F_S1G_EUlS1F_E_NS1_11comp_targetILNS1_3genE9ELNS1_11target_archE1100ELNS1_3gpuE3ELNS1_3repE0EEENS1_30default_config_static_selectorELNS0_4arch9wavefront6targetE0EEEvT1_.num_agpr, 0
	.set _ZN7rocprim17ROCPRIM_400000_NS6detail17trampoline_kernelINS0_14default_configENS1_25partition_config_selectorILNS1_17partition_subalgoE6EsNS0_10empty_typeEbEEZZNS1_14partition_implILS5_6ELb0ES3_mN6thrust23THRUST_200600_302600_NS6detail15normal_iteratorINSA_10device_ptrIsEEEEPS6_SG_NS0_5tupleIJSF_S6_EEENSH_IJSG_SG_EEES6_PlJNSB_9not_fun_tINSB_10functional5actorINSM_9compositeIJNSM_27transparent_binary_operatorINSA_8equal_toIvEEEENSN_INSM_8argumentILj0EEEEENSM_5valueIsEEEEEEEEEEEE10hipError_tPvRmT3_T4_T5_T6_T7_T9_mT8_P12ihipStream_tbDpT10_ENKUlT_T0_E_clISt17integral_constantIbLb1EES1J_IbLb0EEEEDaS1F_S1G_EUlS1F_E_NS1_11comp_targetILNS1_3genE9ELNS1_11target_archE1100ELNS1_3gpuE3ELNS1_3repE0EEENS1_30default_config_static_selectorELNS0_4arch9wavefront6targetE0EEEvT1_.numbered_sgpr, 0
	.set _ZN7rocprim17ROCPRIM_400000_NS6detail17trampoline_kernelINS0_14default_configENS1_25partition_config_selectorILNS1_17partition_subalgoE6EsNS0_10empty_typeEbEEZZNS1_14partition_implILS5_6ELb0ES3_mN6thrust23THRUST_200600_302600_NS6detail15normal_iteratorINSA_10device_ptrIsEEEEPS6_SG_NS0_5tupleIJSF_S6_EEENSH_IJSG_SG_EEES6_PlJNSB_9not_fun_tINSB_10functional5actorINSM_9compositeIJNSM_27transparent_binary_operatorINSA_8equal_toIvEEEENSN_INSM_8argumentILj0EEEEENSM_5valueIsEEEEEEEEEEEE10hipError_tPvRmT3_T4_T5_T6_T7_T9_mT8_P12ihipStream_tbDpT10_ENKUlT_T0_E_clISt17integral_constantIbLb1EES1J_IbLb0EEEEDaS1F_S1G_EUlS1F_E_NS1_11comp_targetILNS1_3genE9ELNS1_11target_archE1100ELNS1_3gpuE3ELNS1_3repE0EEENS1_30default_config_static_selectorELNS0_4arch9wavefront6targetE0EEEvT1_.num_named_barrier, 0
	.set _ZN7rocprim17ROCPRIM_400000_NS6detail17trampoline_kernelINS0_14default_configENS1_25partition_config_selectorILNS1_17partition_subalgoE6EsNS0_10empty_typeEbEEZZNS1_14partition_implILS5_6ELb0ES3_mN6thrust23THRUST_200600_302600_NS6detail15normal_iteratorINSA_10device_ptrIsEEEEPS6_SG_NS0_5tupleIJSF_S6_EEENSH_IJSG_SG_EEES6_PlJNSB_9not_fun_tINSB_10functional5actorINSM_9compositeIJNSM_27transparent_binary_operatorINSA_8equal_toIvEEEENSN_INSM_8argumentILj0EEEEENSM_5valueIsEEEEEEEEEEEE10hipError_tPvRmT3_T4_T5_T6_T7_T9_mT8_P12ihipStream_tbDpT10_ENKUlT_T0_E_clISt17integral_constantIbLb1EES1J_IbLb0EEEEDaS1F_S1G_EUlS1F_E_NS1_11comp_targetILNS1_3genE9ELNS1_11target_archE1100ELNS1_3gpuE3ELNS1_3repE0EEENS1_30default_config_static_selectorELNS0_4arch9wavefront6targetE0EEEvT1_.private_seg_size, 0
	.set _ZN7rocprim17ROCPRIM_400000_NS6detail17trampoline_kernelINS0_14default_configENS1_25partition_config_selectorILNS1_17partition_subalgoE6EsNS0_10empty_typeEbEEZZNS1_14partition_implILS5_6ELb0ES3_mN6thrust23THRUST_200600_302600_NS6detail15normal_iteratorINSA_10device_ptrIsEEEEPS6_SG_NS0_5tupleIJSF_S6_EEENSH_IJSG_SG_EEES6_PlJNSB_9not_fun_tINSB_10functional5actorINSM_9compositeIJNSM_27transparent_binary_operatorINSA_8equal_toIvEEEENSN_INSM_8argumentILj0EEEEENSM_5valueIsEEEEEEEEEEEE10hipError_tPvRmT3_T4_T5_T6_T7_T9_mT8_P12ihipStream_tbDpT10_ENKUlT_T0_E_clISt17integral_constantIbLb1EES1J_IbLb0EEEEDaS1F_S1G_EUlS1F_E_NS1_11comp_targetILNS1_3genE9ELNS1_11target_archE1100ELNS1_3gpuE3ELNS1_3repE0EEENS1_30default_config_static_selectorELNS0_4arch9wavefront6targetE0EEEvT1_.uses_vcc, 0
	.set _ZN7rocprim17ROCPRIM_400000_NS6detail17trampoline_kernelINS0_14default_configENS1_25partition_config_selectorILNS1_17partition_subalgoE6EsNS0_10empty_typeEbEEZZNS1_14partition_implILS5_6ELb0ES3_mN6thrust23THRUST_200600_302600_NS6detail15normal_iteratorINSA_10device_ptrIsEEEEPS6_SG_NS0_5tupleIJSF_S6_EEENSH_IJSG_SG_EEES6_PlJNSB_9not_fun_tINSB_10functional5actorINSM_9compositeIJNSM_27transparent_binary_operatorINSA_8equal_toIvEEEENSN_INSM_8argumentILj0EEEEENSM_5valueIsEEEEEEEEEEEE10hipError_tPvRmT3_T4_T5_T6_T7_T9_mT8_P12ihipStream_tbDpT10_ENKUlT_T0_E_clISt17integral_constantIbLb1EES1J_IbLb0EEEEDaS1F_S1G_EUlS1F_E_NS1_11comp_targetILNS1_3genE9ELNS1_11target_archE1100ELNS1_3gpuE3ELNS1_3repE0EEENS1_30default_config_static_selectorELNS0_4arch9wavefront6targetE0EEEvT1_.uses_flat_scratch, 0
	.set _ZN7rocprim17ROCPRIM_400000_NS6detail17trampoline_kernelINS0_14default_configENS1_25partition_config_selectorILNS1_17partition_subalgoE6EsNS0_10empty_typeEbEEZZNS1_14partition_implILS5_6ELb0ES3_mN6thrust23THRUST_200600_302600_NS6detail15normal_iteratorINSA_10device_ptrIsEEEEPS6_SG_NS0_5tupleIJSF_S6_EEENSH_IJSG_SG_EEES6_PlJNSB_9not_fun_tINSB_10functional5actorINSM_9compositeIJNSM_27transparent_binary_operatorINSA_8equal_toIvEEEENSN_INSM_8argumentILj0EEEEENSM_5valueIsEEEEEEEEEEEE10hipError_tPvRmT3_T4_T5_T6_T7_T9_mT8_P12ihipStream_tbDpT10_ENKUlT_T0_E_clISt17integral_constantIbLb1EES1J_IbLb0EEEEDaS1F_S1G_EUlS1F_E_NS1_11comp_targetILNS1_3genE9ELNS1_11target_archE1100ELNS1_3gpuE3ELNS1_3repE0EEENS1_30default_config_static_selectorELNS0_4arch9wavefront6targetE0EEEvT1_.has_dyn_sized_stack, 0
	.set _ZN7rocprim17ROCPRIM_400000_NS6detail17trampoline_kernelINS0_14default_configENS1_25partition_config_selectorILNS1_17partition_subalgoE6EsNS0_10empty_typeEbEEZZNS1_14partition_implILS5_6ELb0ES3_mN6thrust23THRUST_200600_302600_NS6detail15normal_iteratorINSA_10device_ptrIsEEEEPS6_SG_NS0_5tupleIJSF_S6_EEENSH_IJSG_SG_EEES6_PlJNSB_9not_fun_tINSB_10functional5actorINSM_9compositeIJNSM_27transparent_binary_operatorINSA_8equal_toIvEEEENSN_INSM_8argumentILj0EEEEENSM_5valueIsEEEEEEEEEEEE10hipError_tPvRmT3_T4_T5_T6_T7_T9_mT8_P12ihipStream_tbDpT10_ENKUlT_T0_E_clISt17integral_constantIbLb1EES1J_IbLb0EEEEDaS1F_S1G_EUlS1F_E_NS1_11comp_targetILNS1_3genE9ELNS1_11target_archE1100ELNS1_3gpuE3ELNS1_3repE0EEENS1_30default_config_static_selectorELNS0_4arch9wavefront6targetE0EEEvT1_.has_recursion, 0
	.set _ZN7rocprim17ROCPRIM_400000_NS6detail17trampoline_kernelINS0_14default_configENS1_25partition_config_selectorILNS1_17partition_subalgoE6EsNS0_10empty_typeEbEEZZNS1_14partition_implILS5_6ELb0ES3_mN6thrust23THRUST_200600_302600_NS6detail15normal_iteratorINSA_10device_ptrIsEEEEPS6_SG_NS0_5tupleIJSF_S6_EEENSH_IJSG_SG_EEES6_PlJNSB_9not_fun_tINSB_10functional5actorINSM_9compositeIJNSM_27transparent_binary_operatorINSA_8equal_toIvEEEENSN_INSM_8argumentILj0EEEEENSM_5valueIsEEEEEEEEEEEE10hipError_tPvRmT3_T4_T5_T6_T7_T9_mT8_P12ihipStream_tbDpT10_ENKUlT_T0_E_clISt17integral_constantIbLb1EES1J_IbLb0EEEEDaS1F_S1G_EUlS1F_E_NS1_11comp_targetILNS1_3genE9ELNS1_11target_archE1100ELNS1_3gpuE3ELNS1_3repE0EEENS1_30default_config_static_selectorELNS0_4arch9wavefront6targetE0EEEvT1_.has_indirect_call, 0
	.section	.AMDGPU.csdata,"",@progbits
; Kernel info:
; codeLenInByte = 0
; TotalNumSgprs: 0
; NumVgprs: 0
; ScratchSize: 0
; MemoryBound: 0
; FloatMode: 240
; IeeeMode: 1
; LDSByteSize: 0 bytes/workgroup (compile time only)
; SGPRBlocks: 0
; VGPRBlocks: 0
; NumSGPRsForWavesPerEU: 1
; NumVGPRsForWavesPerEU: 1
; Occupancy: 16
; WaveLimiterHint : 0
; COMPUTE_PGM_RSRC2:SCRATCH_EN: 0
; COMPUTE_PGM_RSRC2:USER_SGPR: 2
; COMPUTE_PGM_RSRC2:TRAP_HANDLER: 0
; COMPUTE_PGM_RSRC2:TGID_X_EN: 1
; COMPUTE_PGM_RSRC2:TGID_Y_EN: 0
; COMPUTE_PGM_RSRC2:TGID_Z_EN: 0
; COMPUTE_PGM_RSRC2:TIDIG_COMP_CNT: 0
	.section	.text._ZN7rocprim17ROCPRIM_400000_NS6detail17trampoline_kernelINS0_14default_configENS1_25partition_config_selectorILNS1_17partition_subalgoE6EsNS0_10empty_typeEbEEZZNS1_14partition_implILS5_6ELb0ES3_mN6thrust23THRUST_200600_302600_NS6detail15normal_iteratorINSA_10device_ptrIsEEEEPS6_SG_NS0_5tupleIJSF_S6_EEENSH_IJSG_SG_EEES6_PlJNSB_9not_fun_tINSB_10functional5actorINSM_9compositeIJNSM_27transparent_binary_operatorINSA_8equal_toIvEEEENSN_INSM_8argumentILj0EEEEENSM_5valueIsEEEEEEEEEEEE10hipError_tPvRmT3_T4_T5_T6_T7_T9_mT8_P12ihipStream_tbDpT10_ENKUlT_T0_E_clISt17integral_constantIbLb1EES1J_IbLb0EEEEDaS1F_S1G_EUlS1F_E_NS1_11comp_targetILNS1_3genE8ELNS1_11target_archE1030ELNS1_3gpuE2ELNS1_3repE0EEENS1_30default_config_static_selectorELNS0_4arch9wavefront6targetE0EEEvT1_,"axG",@progbits,_ZN7rocprim17ROCPRIM_400000_NS6detail17trampoline_kernelINS0_14default_configENS1_25partition_config_selectorILNS1_17partition_subalgoE6EsNS0_10empty_typeEbEEZZNS1_14partition_implILS5_6ELb0ES3_mN6thrust23THRUST_200600_302600_NS6detail15normal_iteratorINSA_10device_ptrIsEEEEPS6_SG_NS0_5tupleIJSF_S6_EEENSH_IJSG_SG_EEES6_PlJNSB_9not_fun_tINSB_10functional5actorINSM_9compositeIJNSM_27transparent_binary_operatorINSA_8equal_toIvEEEENSN_INSM_8argumentILj0EEEEENSM_5valueIsEEEEEEEEEEEE10hipError_tPvRmT3_T4_T5_T6_T7_T9_mT8_P12ihipStream_tbDpT10_ENKUlT_T0_E_clISt17integral_constantIbLb1EES1J_IbLb0EEEEDaS1F_S1G_EUlS1F_E_NS1_11comp_targetILNS1_3genE8ELNS1_11target_archE1030ELNS1_3gpuE2ELNS1_3repE0EEENS1_30default_config_static_selectorELNS0_4arch9wavefront6targetE0EEEvT1_,comdat
	.protected	_ZN7rocprim17ROCPRIM_400000_NS6detail17trampoline_kernelINS0_14default_configENS1_25partition_config_selectorILNS1_17partition_subalgoE6EsNS0_10empty_typeEbEEZZNS1_14partition_implILS5_6ELb0ES3_mN6thrust23THRUST_200600_302600_NS6detail15normal_iteratorINSA_10device_ptrIsEEEEPS6_SG_NS0_5tupleIJSF_S6_EEENSH_IJSG_SG_EEES6_PlJNSB_9not_fun_tINSB_10functional5actorINSM_9compositeIJNSM_27transparent_binary_operatorINSA_8equal_toIvEEEENSN_INSM_8argumentILj0EEEEENSM_5valueIsEEEEEEEEEEEE10hipError_tPvRmT3_T4_T5_T6_T7_T9_mT8_P12ihipStream_tbDpT10_ENKUlT_T0_E_clISt17integral_constantIbLb1EES1J_IbLb0EEEEDaS1F_S1G_EUlS1F_E_NS1_11comp_targetILNS1_3genE8ELNS1_11target_archE1030ELNS1_3gpuE2ELNS1_3repE0EEENS1_30default_config_static_selectorELNS0_4arch9wavefront6targetE0EEEvT1_ ; -- Begin function _ZN7rocprim17ROCPRIM_400000_NS6detail17trampoline_kernelINS0_14default_configENS1_25partition_config_selectorILNS1_17partition_subalgoE6EsNS0_10empty_typeEbEEZZNS1_14partition_implILS5_6ELb0ES3_mN6thrust23THRUST_200600_302600_NS6detail15normal_iteratorINSA_10device_ptrIsEEEEPS6_SG_NS0_5tupleIJSF_S6_EEENSH_IJSG_SG_EEES6_PlJNSB_9not_fun_tINSB_10functional5actorINSM_9compositeIJNSM_27transparent_binary_operatorINSA_8equal_toIvEEEENSN_INSM_8argumentILj0EEEEENSM_5valueIsEEEEEEEEEEEE10hipError_tPvRmT3_T4_T5_T6_T7_T9_mT8_P12ihipStream_tbDpT10_ENKUlT_T0_E_clISt17integral_constantIbLb1EES1J_IbLb0EEEEDaS1F_S1G_EUlS1F_E_NS1_11comp_targetILNS1_3genE8ELNS1_11target_archE1030ELNS1_3gpuE2ELNS1_3repE0EEENS1_30default_config_static_selectorELNS0_4arch9wavefront6targetE0EEEvT1_
	.globl	_ZN7rocprim17ROCPRIM_400000_NS6detail17trampoline_kernelINS0_14default_configENS1_25partition_config_selectorILNS1_17partition_subalgoE6EsNS0_10empty_typeEbEEZZNS1_14partition_implILS5_6ELb0ES3_mN6thrust23THRUST_200600_302600_NS6detail15normal_iteratorINSA_10device_ptrIsEEEEPS6_SG_NS0_5tupleIJSF_S6_EEENSH_IJSG_SG_EEES6_PlJNSB_9not_fun_tINSB_10functional5actorINSM_9compositeIJNSM_27transparent_binary_operatorINSA_8equal_toIvEEEENSN_INSM_8argumentILj0EEEEENSM_5valueIsEEEEEEEEEEEE10hipError_tPvRmT3_T4_T5_T6_T7_T9_mT8_P12ihipStream_tbDpT10_ENKUlT_T0_E_clISt17integral_constantIbLb1EES1J_IbLb0EEEEDaS1F_S1G_EUlS1F_E_NS1_11comp_targetILNS1_3genE8ELNS1_11target_archE1030ELNS1_3gpuE2ELNS1_3repE0EEENS1_30default_config_static_selectorELNS0_4arch9wavefront6targetE0EEEvT1_
	.p2align	8
	.type	_ZN7rocprim17ROCPRIM_400000_NS6detail17trampoline_kernelINS0_14default_configENS1_25partition_config_selectorILNS1_17partition_subalgoE6EsNS0_10empty_typeEbEEZZNS1_14partition_implILS5_6ELb0ES3_mN6thrust23THRUST_200600_302600_NS6detail15normal_iteratorINSA_10device_ptrIsEEEEPS6_SG_NS0_5tupleIJSF_S6_EEENSH_IJSG_SG_EEES6_PlJNSB_9not_fun_tINSB_10functional5actorINSM_9compositeIJNSM_27transparent_binary_operatorINSA_8equal_toIvEEEENSN_INSM_8argumentILj0EEEEENSM_5valueIsEEEEEEEEEEEE10hipError_tPvRmT3_T4_T5_T6_T7_T9_mT8_P12ihipStream_tbDpT10_ENKUlT_T0_E_clISt17integral_constantIbLb1EES1J_IbLb0EEEEDaS1F_S1G_EUlS1F_E_NS1_11comp_targetILNS1_3genE8ELNS1_11target_archE1030ELNS1_3gpuE2ELNS1_3repE0EEENS1_30default_config_static_selectorELNS0_4arch9wavefront6targetE0EEEvT1_,@function
_ZN7rocprim17ROCPRIM_400000_NS6detail17trampoline_kernelINS0_14default_configENS1_25partition_config_selectorILNS1_17partition_subalgoE6EsNS0_10empty_typeEbEEZZNS1_14partition_implILS5_6ELb0ES3_mN6thrust23THRUST_200600_302600_NS6detail15normal_iteratorINSA_10device_ptrIsEEEEPS6_SG_NS0_5tupleIJSF_S6_EEENSH_IJSG_SG_EEES6_PlJNSB_9not_fun_tINSB_10functional5actorINSM_9compositeIJNSM_27transparent_binary_operatorINSA_8equal_toIvEEEENSN_INSM_8argumentILj0EEEEENSM_5valueIsEEEEEEEEEEEE10hipError_tPvRmT3_T4_T5_T6_T7_T9_mT8_P12ihipStream_tbDpT10_ENKUlT_T0_E_clISt17integral_constantIbLb1EES1J_IbLb0EEEEDaS1F_S1G_EUlS1F_E_NS1_11comp_targetILNS1_3genE8ELNS1_11target_archE1030ELNS1_3gpuE2ELNS1_3repE0EEENS1_30default_config_static_selectorELNS0_4arch9wavefront6targetE0EEEvT1_: ; @_ZN7rocprim17ROCPRIM_400000_NS6detail17trampoline_kernelINS0_14default_configENS1_25partition_config_selectorILNS1_17partition_subalgoE6EsNS0_10empty_typeEbEEZZNS1_14partition_implILS5_6ELb0ES3_mN6thrust23THRUST_200600_302600_NS6detail15normal_iteratorINSA_10device_ptrIsEEEEPS6_SG_NS0_5tupleIJSF_S6_EEENSH_IJSG_SG_EEES6_PlJNSB_9not_fun_tINSB_10functional5actorINSM_9compositeIJNSM_27transparent_binary_operatorINSA_8equal_toIvEEEENSN_INSM_8argumentILj0EEEEENSM_5valueIsEEEEEEEEEEEE10hipError_tPvRmT3_T4_T5_T6_T7_T9_mT8_P12ihipStream_tbDpT10_ENKUlT_T0_E_clISt17integral_constantIbLb1EES1J_IbLb0EEEEDaS1F_S1G_EUlS1F_E_NS1_11comp_targetILNS1_3genE8ELNS1_11target_archE1030ELNS1_3gpuE2ELNS1_3repE0EEENS1_30default_config_static_selectorELNS0_4arch9wavefront6targetE0EEEvT1_
; %bb.0:
	.section	.rodata,"a",@progbits
	.p2align	6, 0x0
	.amdhsa_kernel _ZN7rocprim17ROCPRIM_400000_NS6detail17trampoline_kernelINS0_14default_configENS1_25partition_config_selectorILNS1_17partition_subalgoE6EsNS0_10empty_typeEbEEZZNS1_14partition_implILS5_6ELb0ES3_mN6thrust23THRUST_200600_302600_NS6detail15normal_iteratorINSA_10device_ptrIsEEEEPS6_SG_NS0_5tupleIJSF_S6_EEENSH_IJSG_SG_EEES6_PlJNSB_9not_fun_tINSB_10functional5actorINSM_9compositeIJNSM_27transparent_binary_operatorINSA_8equal_toIvEEEENSN_INSM_8argumentILj0EEEEENSM_5valueIsEEEEEEEEEEEE10hipError_tPvRmT3_T4_T5_T6_T7_T9_mT8_P12ihipStream_tbDpT10_ENKUlT_T0_E_clISt17integral_constantIbLb1EES1J_IbLb0EEEEDaS1F_S1G_EUlS1F_E_NS1_11comp_targetILNS1_3genE8ELNS1_11target_archE1030ELNS1_3gpuE2ELNS1_3repE0EEENS1_30default_config_static_selectorELNS0_4arch9wavefront6targetE0EEEvT1_
		.amdhsa_group_segment_fixed_size 0
		.amdhsa_private_segment_fixed_size 0
		.amdhsa_kernarg_size 120
		.amdhsa_user_sgpr_count 2
		.amdhsa_user_sgpr_dispatch_ptr 0
		.amdhsa_user_sgpr_queue_ptr 0
		.amdhsa_user_sgpr_kernarg_segment_ptr 1
		.amdhsa_user_sgpr_dispatch_id 0
		.amdhsa_user_sgpr_private_segment_size 0
		.amdhsa_wavefront_size32 1
		.amdhsa_uses_dynamic_stack 0
		.amdhsa_enable_private_segment 0
		.amdhsa_system_sgpr_workgroup_id_x 1
		.amdhsa_system_sgpr_workgroup_id_y 0
		.amdhsa_system_sgpr_workgroup_id_z 0
		.amdhsa_system_sgpr_workgroup_info 0
		.amdhsa_system_vgpr_workitem_id 0
		.amdhsa_next_free_vgpr 1
		.amdhsa_next_free_sgpr 1
		.amdhsa_reserve_vcc 0
		.amdhsa_float_round_mode_32 0
		.amdhsa_float_round_mode_16_64 0
		.amdhsa_float_denorm_mode_32 3
		.amdhsa_float_denorm_mode_16_64 3
		.amdhsa_fp16_overflow 0
		.amdhsa_workgroup_processor_mode 1
		.amdhsa_memory_ordered 1
		.amdhsa_forward_progress 1
		.amdhsa_inst_pref_size 0
		.amdhsa_round_robin_scheduling 0
		.amdhsa_exception_fp_ieee_invalid_op 0
		.amdhsa_exception_fp_denorm_src 0
		.amdhsa_exception_fp_ieee_div_zero 0
		.amdhsa_exception_fp_ieee_overflow 0
		.amdhsa_exception_fp_ieee_underflow 0
		.amdhsa_exception_fp_ieee_inexact 0
		.amdhsa_exception_int_div_zero 0
	.end_amdhsa_kernel
	.section	.text._ZN7rocprim17ROCPRIM_400000_NS6detail17trampoline_kernelINS0_14default_configENS1_25partition_config_selectorILNS1_17partition_subalgoE6EsNS0_10empty_typeEbEEZZNS1_14partition_implILS5_6ELb0ES3_mN6thrust23THRUST_200600_302600_NS6detail15normal_iteratorINSA_10device_ptrIsEEEEPS6_SG_NS0_5tupleIJSF_S6_EEENSH_IJSG_SG_EEES6_PlJNSB_9not_fun_tINSB_10functional5actorINSM_9compositeIJNSM_27transparent_binary_operatorINSA_8equal_toIvEEEENSN_INSM_8argumentILj0EEEEENSM_5valueIsEEEEEEEEEEEE10hipError_tPvRmT3_T4_T5_T6_T7_T9_mT8_P12ihipStream_tbDpT10_ENKUlT_T0_E_clISt17integral_constantIbLb1EES1J_IbLb0EEEEDaS1F_S1G_EUlS1F_E_NS1_11comp_targetILNS1_3genE8ELNS1_11target_archE1030ELNS1_3gpuE2ELNS1_3repE0EEENS1_30default_config_static_selectorELNS0_4arch9wavefront6targetE0EEEvT1_,"axG",@progbits,_ZN7rocprim17ROCPRIM_400000_NS6detail17trampoline_kernelINS0_14default_configENS1_25partition_config_selectorILNS1_17partition_subalgoE6EsNS0_10empty_typeEbEEZZNS1_14partition_implILS5_6ELb0ES3_mN6thrust23THRUST_200600_302600_NS6detail15normal_iteratorINSA_10device_ptrIsEEEEPS6_SG_NS0_5tupleIJSF_S6_EEENSH_IJSG_SG_EEES6_PlJNSB_9not_fun_tINSB_10functional5actorINSM_9compositeIJNSM_27transparent_binary_operatorINSA_8equal_toIvEEEENSN_INSM_8argumentILj0EEEEENSM_5valueIsEEEEEEEEEEEE10hipError_tPvRmT3_T4_T5_T6_T7_T9_mT8_P12ihipStream_tbDpT10_ENKUlT_T0_E_clISt17integral_constantIbLb1EES1J_IbLb0EEEEDaS1F_S1G_EUlS1F_E_NS1_11comp_targetILNS1_3genE8ELNS1_11target_archE1030ELNS1_3gpuE2ELNS1_3repE0EEENS1_30default_config_static_selectorELNS0_4arch9wavefront6targetE0EEEvT1_,comdat
.Lfunc_end267:
	.size	_ZN7rocprim17ROCPRIM_400000_NS6detail17trampoline_kernelINS0_14default_configENS1_25partition_config_selectorILNS1_17partition_subalgoE6EsNS0_10empty_typeEbEEZZNS1_14partition_implILS5_6ELb0ES3_mN6thrust23THRUST_200600_302600_NS6detail15normal_iteratorINSA_10device_ptrIsEEEEPS6_SG_NS0_5tupleIJSF_S6_EEENSH_IJSG_SG_EEES6_PlJNSB_9not_fun_tINSB_10functional5actorINSM_9compositeIJNSM_27transparent_binary_operatorINSA_8equal_toIvEEEENSN_INSM_8argumentILj0EEEEENSM_5valueIsEEEEEEEEEEEE10hipError_tPvRmT3_T4_T5_T6_T7_T9_mT8_P12ihipStream_tbDpT10_ENKUlT_T0_E_clISt17integral_constantIbLb1EES1J_IbLb0EEEEDaS1F_S1G_EUlS1F_E_NS1_11comp_targetILNS1_3genE8ELNS1_11target_archE1030ELNS1_3gpuE2ELNS1_3repE0EEENS1_30default_config_static_selectorELNS0_4arch9wavefront6targetE0EEEvT1_, .Lfunc_end267-_ZN7rocprim17ROCPRIM_400000_NS6detail17trampoline_kernelINS0_14default_configENS1_25partition_config_selectorILNS1_17partition_subalgoE6EsNS0_10empty_typeEbEEZZNS1_14partition_implILS5_6ELb0ES3_mN6thrust23THRUST_200600_302600_NS6detail15normal_iteratorINSA_10device_ptrIsEEEEPS6_SG_NS0_5tupleIJSF_S6_EEENSH_IJSG_SG_EEES6_PlJNSB_9not_fun_tINSB_10functional5actorINSM_9compositeIJNSM_27transparent_binary_operatorINSA_8equal_toIvEEEENSN_INSM_8argumentILj0EEEEENSM_5valueIsEEEEEEEEEEEE10hipError_tPvRmT3_T4_T5_T6_T7_T9_mT8_P12ihipStream_tbDpT10_ENKUlT_T0_E_clISt17integral_constantIbLb1EES1J_IbLb0EEEEDaS1F_S1G_EUlS1F_E_NS1_11comp_targetILNS1_3genE8ELNS1_11target_archE1030ELNS1_3gpuE2ELNS1_3repE0EEENS1_30default_config_static_selectorELNS0_4arch9wavefront6targetE0EEEvT1_
                                        ; -- End function
	.set _ZN7rocprim17ROCPRIM_400000_NS6detail17trampoline_kernelINS0_14default_configENS1_25partition_config_selectorILNS1_17partition_subalgoE6EsNS0_10empty_typeEbEEZZNS1_14partition_implILS5_6ELb0ES3_mN6thrust23THRUST_200600_302600_NS6detail15normal_iteratorINSA_10device_ptrIsEEEEPS6_SG_NS0_5tupleIJSF_S6_EEENSH_IJSG_SG_EEES6_PlJNSB_9not_fun_tINSB_10functional5actorINSM_9compositeIJNSM_27transparent_binary_operatorINSA_8equal_toIvEEEENSN_INSM_8argumentILj0EEEEENSM_5valueIsEEEEEEEEEEEE10hipError_tPvRmT3_T4_T5_T6_T7_T9_mT8_P12ihipStream_tbDpT10_ENKUlT_T0_E_clISt17integral_constantIbLb1EES1J_IbLb0EEEEDaS1F_S1G_EUlS1F_E_NS1_11comp_targetILNS1_3genE8ELNS1_11target_archE1030ELNS1_3gpuE2ELNS1_3repE0EEENS1_30default_config_static_selectorELNS0_4arch9wavefront6targetE0EEEvT1_.num_vgpr, 0
	.set _ZN7rocprim17ROCPRIM_400000_NS6detail17trampoline_kernelINS0_14default_configENS1_25partition_config_selectorILNS1_17partition_subalgoE6EsNS0_10empty_typeEbEEZZNS1_14partition_implILS5_6ELb0ES3_mN6thrust23THRUST_200600_302600_NS6detail15normal_iteratorINSA_10device_ptrIsEEEEPS6_SG_NS0_5tupleIJSF_S6_EEENSH_IJSG_SG_EEES6_PlJNSB_9not_fun_tINSB_10functional5actorINSM_9compositeIJNSM_27transparent_binary_operatorINSA_8equal_toIvEEEENSN_INSM_8argumentILj0EEEEENSM_5valueIsEEEEEEEEEEEE10hipError_tPvRmT3_T4_T5_T6_T7_T9_mT8_P12ihipStream_tbDpT10_ENKUlT_T0_E_clISt17integral_constantIbLb1EES1J_IbLb0EEEEDaS1F_S1G_EUlS1F_E_NS1_11comp_targetILNS1_3genE8ELNS1_11target_archE1030ELNS1_3gpuE2ELNS1_3repE0EEENS1_30default_config_static_selectorELNS0_4arch9wavefront6targetE0EEEvT1_.num_agpr, 0
	.set _ZN7rocprim17ROCPRIM_400000_NS6detail17trampoline_kernelINS0_14default_configENS1_25partition_config_selectorILNS1_17partition_subalgoE6EsNS0_10empty_typeEbEEZZNS1_14partition_implILS5_6ELb0ES3_mN6thrust23THRUST_200600_302600_NS6detail15normal_iteratorINSA_10device_ptrIsEEEEPS6_SG_NS0_5tupleIJSF_S6_EEENSH_IJSG_SG_EEES6_PlJNSB_9not_fun_tINSB_10functional5actorINSM_9compositeIJNSM_27transparent_binary_operatorINSA_8equal_toIvEEEENSN_INSM_8argumentILj0EEEEENSM_5valueIsEEEEEEEEEEEE10hipError_tPvRmT3_T4_T5_T6_T7_T9_mT8_P12ihipStream_tbDpT10_ENKUlT_T0_E_clISt17integral_constantIbLb1EES1J_IbLb0EEEEDaS1F_S1G_EUlS1F_E_NS1_11comp_targetILNS1_3genE8ELNS1_11target_archE1030ELNS1_3gpuE2ELNS1_3repE0EEENS1_30default_config_static_selectorELNS0_4arch9wavefront6targetE0EEEvT1_.numbered_sgpr, 0
	.set _ZN7rocprim17ROCPRIM_400000_NS6detail17trampoline_kernelINS0_14default_configENS1_25partition_config_selectorILNS1_17partition_subalgoE6EsNS0_10empty_typeEbEEZZNS1_14partition_implILS5_6ELb0ES3_mN6thrust23THRUST_200600_302600_NS6detail15normal_iteratorINSA_10device_ptrIsEEEEPS6_SG_NS0_5tupleIJSF_S6_EEENSH_IJSG_SG_EEES6_PlJNSB_9not_fun_tINSB_10functional5actorINSM_9compositeIJNSM_27transparent_binary_operatorINSA_8equal_toIvEEEENSN_INSM_8argumentILj0EEEEENSM_5valueIsEEEEEEEEEEEE10hipError_tPvRmT3_T4_T5_T6_T7_T9_mT8_P12ihipStream_tbDpT10_ENKUlT_T0_E_clISt17integral_constantIbLb1EES1J_IbLb0EEEEDaS1F_S1G_EUlS1F_E_NS1_11comp_targetILNS1_3genE8ELNS1_11target_archE1030ELNS1_3gpuE2ELNS1_3repE0EEENS1_30default_config_static_selectorELNS0_4arch9wavefront6targetE0EEEvT1_.num_named_barrier, 0
	.set _ZN7rocprim17ROCPRIM_400000_NS6detail17trampoline_kernelINS0_14default_configENS1_25partition_config_selectorILNS1_17partition_subalgoE6EsNS0_10empty_typeEbEEZZNS1_14partition_implILS5_6ELb0ES3_mN6thrust23THRUST_200600_302600_NS6detail15normal_iteratorINSA_10device_ptrIsEEEEPS6_SG_NS0_5tupleIJSF_S6_EEENSH_IJSG_SG_EEES6_PlJNSB_9not_fun_tINSB_10functional5actorINSM_9compositeIJNSM_27transparent_binary_operatorINSA_8equal_toIvEEEENSN_INSM_8argumentILj0EEEEENSM_5valueIsEEEEEEEEEEEE10hipError_tPvRmT3_T4_T5_T6_T7_T9_mT8_P12ihipStream_tbDpT10_ENKUlT_T0_E_clISt17integral_constantIbLb1EES1J_IbLb0EEEEDaS1F_S1G_EUlS1F_E_NS1_11comp_targetILNS1_3genE8ELNS1_11target_archE1030ELNS1_3gpuE2ELNS1_3repE0EEENS1_30default_config_static_selectorELNS0_4arch9wavefront6targetE0EEEvT1_.private_seg_size, 0
	.set _ZN7rocprim17ROCPRIM_400000_NS6detail17trampoline_kernelINS0_14default_configENS1_25partition_config_selectorILNS1_17partition_subalgoE6EsNS0_10empty_typeEbEEZZNS1_14partition_implILS5_6ELb0ES3_mN6thrust23THRUST_200600_302600_NS6detail15normal_iteratorINSA_10device_ptrIsEEEEPS6_SG_NS0_5tupleIJSF_S6_EEENSH_IJSG_SG_EEES6_PlJNSB_9not_fun_tINSB_10functional5actorINSM_9compositeIJNSM_27transparent_binary_operatorINSA_8equal_toIvEEEENSN_INSM_8argumentILj0EEEEENSM_5valueIsEEEEEEEEEEEE10hipError_tPvRmT3_T4_T5_T6_T7_T9_mT8_P12ihipStream_tbDpT10_ENKUlT_T0_E_clISt17integral_constantIbLb1EES1J_IbLb0EEEEDaS1F_S1G_EUlS1F_E_NS1_11comp_targetILNS1_3genE8ELNS1_11target_archE1030ELNS1_3gpuE2ELNS1_3repE0EEENS1_30default_config_static_selectorELNS0_4arch9wavefront6targetE0EEEvT1_.uses_vcc, 0
	.set _ZN7rocprim17ROCPRIM_400000_NS6detail17trampoline_kernelINS0_14default_configENS1_25partition_config_selectorILNS1_17partition_subalgoE6EsNS0_10empty_typeEbEEZZNS1_14partition_implILS5_6ELb0ES3_mN6thrust23THRUST_200600_302600_NS6detail15normal_iteratorINSA_10device_ptrIsEEEEPS6_SG_NS0_5tupleIJSF_S6_EEENSH_IJSG_SG_EEES6_PlJNSB_9not_fun_tINSB_10functional5actorINSM_9compositeIJNSM_27transparent_binary_operatorINSA_8equal_toIvEEEENSN_INSM_8argumentILj0EEEEENSM_5valueIsEEEEEEEEEEEE10hipError_tPvRmT3_T4_T5_T6_T7_T9_mT8_P12ihipStream_tbDpT10_ENKUlT_T0_E_clISt17integral_constantIbLb1EES1J_IbLb0EEEEDaS1F_S1G_EUlS1F_E_NS1_11comp_targetILNS1_3genE8ELNS1_11target_archE1030ELNS1_3gpuE2ELNS1_3repE0EEENS1_30default_config_static_selectorELNS0_4arch9wavefront6targetE0EEEvT1_.uses_flat_scratch, 0
	.set _ZN7rocprim17ROCPRIM_400000_NS6detail17trampoline_kernelINS0_14default_configENS1_25partition_config_selectorILNS1_17partition_subalgoE6EsNS0_10empty_typeEbEEZZNS1_14partition_implILS5_6ELb0ES3_mN6thrust23THRUST_200600_302600_NS6detail15normal_iteratorINSA_10device_ptrIsEEEEPS6_SG_NS0_5tupleIJSF_S6_EEENSH_IJSG_SG_EEES6_PlJNSB_9not_fun_tINSB_10functional5actorINSM_9compositeIJNSM_27transparent_binary_operatorINSA_8equal_toIvEEEENSN_INSM_8argumentILj0EEEEENSM_5valueIsEEEEEEEEEEEE10hipError_tPvRmT3_T4_T5_T6_T7_T9_mT8_P12ihipStream_tbDpT10_ENKUlT_T0_E_clISt17integral_constantIbLb1EES1J_IbLb0EEEEDaS1F_S1G_EUlS1F_E_NS1_11comp_targetILNS1_3genE8ELNS1_11target_archE1030ELNS1_3gpuE2ELNS1_3repE0EEENS1_30default_config_static_selectorELNS0_4arch9wavefront6targetE0EEEvT1_.has_dyn_sized_stack, 0
	.set _ZN7rocprim17ROCPRIM_400000_NS6detail17trampoline_kernelINS0_14default_configENS1_25partition_config_selectorILNS1_17partition_subalgoE6EsNS0_10empty_typeEbEEZZNS1_14partition_implILS5_6ELb0ES3_mN6thrust23THRUST_200600_302600_NS6detail15normal_iteratorINSA_10device_ptrIsEEEEPS6_SG_NS0_5tupleIJSF_S6_EEENSH_IJSG_SG_EEES6_PlJNSB_9not_fun_tINSB_10functional5actorINSM_9compositeIJNSM_27transparent_binary_operatorINSA_8equal_toIvEEEENSN_INSM_8argumentILj0EEEEENSM_5valueIsEEEEEEEEEEEE10hipError_tPvRmT3_T4_T5_T6_T7_T9_mT8_P12ihipStream_tbDpT10_ENKUlT_T0_E_clISt17integral_constantIbLb1EES1J_IbLb0EEEEDaS1F_S1G_EUlS1F_E_NS1_11comp_targetILNS1_3genE8ELNS1_11target_archE1030ELNS1_3gpuE2ELNS1_3repE0EEENS1_30default_config_static_selectorELNS0_4arch9wavefront6targetE0EEEvT1_.has_recursion, 0
	.set _ZN7rocprim17ROCPRIM_400000_NS6detail17trampoline_kernelINS0_14default_configENS1_25partition_config_selectorILNS1_17partition_subalgoE6EsNS0_10empty_typeEbEEZZNS1_14partition_implILS5_6ELb0ES3_mN6thrust23THRUST_200600_302600_NS6detail15normal_iteratorINSA_10device_ptrIsEEEEPS6_SG_NS0_5tupleIJSF_S6_EEENSH_IJSG_SG_EEES6_PlJNSB_9not_fun_tINSB_10functional5actorINSM_9compositeIJNSM_27transparent_binary_operatorINSA_8equal_toIvEEEENSN_INSM_8argumentILj0EEEEENSM_5valueIsEEEEEEEEEEEE10hipError_tPvRmT3_T4_T5_T6_T7_T9_mT8_P12ihipStream_tbDpT10_ENKUlT_T0_E_clISt17integral_constantIbLb1EES1J_IbLb0EEEEDaS1F_S1G_EUlS1F_E_NS1_11comp_targetILNS1_3genE8ELNS1_11target_archE1030ELNS1_3gpuE2ELNS1_3repE0EEENS1_30default_config_static_selectorELNS0_4arch9wavefront6targetE0EEEvT1_.has_indirect_call, 0
	.section	.AMDGPU.csdata,"",@progbits
; Kernel info:
; codeLenInByte = 0
; TotalNumSgprs: 0
; NumVgprs: 0
; ScratchSize: 0
; MemoryBound: 0
; FloatMode: 240
; IeeeMode: 1
; LDSByteSize: 0 bytes/workgroup (compile time only)
; SGPRBlocks: 0
; VGPRBlocks: 0
; NumSGPRsForWavesPerEU: 1
; NumVGPRsForWavesPerEU: 1
; Occupancy: 16
; WaveLimiterHint : 0
; COMPUTE_PGM_RSRC2:SCRATCH_EN: 0
; COMPUTE_PGM_RSRC2:USER_SGPR: 2
; COMPUTE_PGM_RSRC2:TRAP_HANDLER: 0
; COMPUTE_PGM_RSRC2:TGID_X_EN: 1
; COMPUTE_PGM_RSRC2:TGID_Y_EN: 0
; COMPUTE_PGM_RSRC2:TGID_Z_EN: 0
; COMPUTE_PGM_RSRC2:TIDIG_COMP_CNT: 0
	.section	.text._ZN7rocprim17ROCPRIM_400000_NS6detail17trampoline_kernelINS0_14default_configENS1_25partition_config_selectorILNS1_17partition_subalgoE6EsNS0_10empty_typeEbEEZZNS1_14partition_implILS5_6ELb0ES3_mN6thrust23THRUST_200600_302600_NS6detail15normal_iteratorINSA_10device_ptrIsEEEEPS6_SG_NS0_5tupleIJSF_S6_EEENSH_IJSG_SG_EEES6_PlJNSB_9not_fun_tINSB_10functional5actorINSM_9compositeIJNSM_27transparent_binary_operatorINSA_8equal_toIvEEEENSN_INSM_8argumentILj0EEEEENSM_5valueIsEEEEEEEEEEEE10hipError_tPvRmT3_T4_T5_T6_T7_T9_mT8_P12ihipStream_tbDpT10_ENKUlT_T0_E_clISt17integral_constantIbLb0EES1J_IbLb1EEEEDaS1F_S1G_EUlS1F_E_NS1_11comp_targetILNS1_3genE0ELNS1_11target_archE4294967295ELNS1_3gpuE0ELNS1_3repE0EEENS1_30default_config_static_selectorELNS0_4arch9wavefront6targetE0EEEvT1_,"axG",@progbits,_ZN7rocprim17ROCPRIM_400000_NS6detail17trampoline_kernelINS0_14default_configENS1_25partition_config_selectorILNS1_17partition_subalgoE6EsNS0_10empty_typeEbEEZZNS1_14partition_implILS5_6ELb0ES3_mN6thrust23THRUST_200600_302600_NS6detail15normal_iteratorINSA_10device_ptrIsEEEEPS6_SG_NS0_5tupleIJSF_S6_EEENSH_IJSG_SG_EEES6_PlJNSB_9not_fun_tINSB_10functional5actorINSM_9compositeIJNSM_27transparent_binary_operatorINSA_8equal_toIvEEEENSN_INSM_8argumentILj0EEEEENSM_5valueIsEEEEEEEEEEEE10hipError_tPvRmT3_T4_T5_T6_T7_T9_mT8_P12ihipStream_tbDpT10_ENKUlT_T0_E_clISt17integral_constantIbLb0EES1J_IbLb1EEEEDaS1F_S1G_EUlS1F_E_NS1_11comp_targetILNS1_3genE0ELNS1_11target_archE4294967295ELNS1_3gpuE0ELNS1_3repE0EEENS1_30default_config_static_selectorELNS0_4arch9wavefront6targetE0EEEvT1_,comdat
	.protected	_ZN7rocprim17ROCPRIM_400000_NS6detail17trampoline_kernelINS0_14default_configENS1_25partition_config_selectorILNS1_17partition_subalgoE6EsNS0_10empty_typeEbEEZZNS1_14partition_implILS5_6ELb0ES3_mN6thrust23THRUST_200600_302600_NS6detail15normal_iteratorINSA_10device_ptrIsEEEEPS6_SG_NS0_5tupleIJSF_S6_EEENSH_IJSG_SG_EEES6_PlJNSB_9not_fun_tINSB_10functional5actorINSM_9compositeIJNSM_27transparent_binary_operatorINSA_8equal_toIvEEEENSN_INSM_8argumentILj0EEEEENSM_5valueIsEEEEEEEEEEEE10hipError_tPvRmT3_T4_T5_T6_T7_T9_mT8_P12ihipStream_tbDpT10_ENKUlT_T0_E_clISt17integral_constantIbLb0EES1J_IbLb1EEEEDaS1F_S1G_EUlS1F_E_NS1_11comp_targetILNS1_3genE0ELNS1_11target_archE4294967295ELNS1_3gpuE0ELNS1_3repE0EEENS1_30default_config_static_selectorELNS0_4arch9wavefront6targetE0EEEvT1_ ; -- Begin function _ZN7rocprim17ROCPRIM_400000_NS6detail17trampoline_kernelINS0_14default_configENS1_25partition_config_selectorILNS1_17partition_subalgoE6EsNS0_10empty_typeEbEEZZNS1_14partition_implILS5_6ELb0ES3_mN6thrust23THRUST_200600_302600_NS6detail15normal_iteratorINSA_10device_ptrIsEEEEPS6_SG_NS0_5tupleIJSF_S6_EEENSH_IJSG_SG_EEES6_PlJNSB_9not_fun_tINSB_10functional5actorINSM_9compositeIJNSM_27transparent_binary_operatorINSA_8equal_toIvEEEENSN_INSM_8argumentILj0EEEEENSM_5valueIsEEEEEEEEEEEE10hipError_tPvRmT3_T4_T5_T6_T7_T9_mT8_P12ihipStream_tbDpT10_ENKUlT_T0_E_clISt17integral_constantIbLb0EES1J_IbLb1EEEEDaS1F_S1G_EUlS1F_E_NS1_11comp_targetILNS1_3genE0ELNS1_11target_archE4294967295ELNS1_3gpuE0ELNS1_3repE0EEENS1_30default_config_static_selectorELNS0_4arch9wavefront6targetE0EEEvT1_
	.globl	_ZN7rocprim17ROCPRIM_400000_NS6detail17trampoline_kernelINS0_14default_configENS1_25partition_config_selectorILNS1_17partition_subalgoE6EsNS0_10empty_typeEbEEZZNS1_14partition_implILS5_6ELb0ES3_mN6thrust23THRUST_200600_302600_NS6detail15normal_iteratorINSA_10device_ptrIsEEEEPS6_SG_NS0_5tupleIJSF_S6_EEENSH_IJSG_SG_EEES6_PlJNSB_9not_fun_tINSB_10functional5actorINSM_9compositeIJNSM_27transparent_binary_operatorINSA_8equal_toIvEEEENSN_INSM_8argumentILj0EEEEENSM_5valueIsEEEEEEEEEEEE10hipError_tPvRmT3_T4_T5_T6_T7_T9_mT8_P12ihipStream_tbDpT10_ENKUlT_T0_E_clISt17integral_constantIbLb0EES1J_IbLb1EEEEDaS1F_S1G_EUlS1F_E_NS1_11comp_targetILNS1_3genE0ELNS1_11target_archE4294967295ELNS1_3gpuE0ELNS1_3repE0EEENS1_30default_config_static_selectorELNS0_4arch9wavefront6targetE0EEEvT1_
	.p2align	8
	.type	_ZN7rocprim17ROCPRIM_400000_NS6detail17trampoline_kernelINS0_14default_configENS1_25partition_config_selectorILNS1_17partition_subalgoE6EsNS0_10empty_typeEbEEZZNS1_14partition_implILS5_6ELb0ES3_mN6thrust23THRUST_200600_302600_NS6detail15normal_iteratorINSA_10device_ptrIsEEEEPS6_SG_NS0_5tupleIJSF_S6_EEENSH_IJSG_SG_EEES6_PlJNSB_9not_fun_tINSB_10functional5actorINSM_9compositeIJNSM_27transparent_binary_operatorINSA_8equal_toIvEEEENSN_INSM_8argumentILj0EEEEENSM_5valueIsEEEEEEEEEEEE10hipError_tPvRmT3_T4_T5_T6_T7_T9_mT8_P12ihipStream_tbDpT10_ENKUlT_T0_E_clISt17integral_constantIbLb0EES1J_IbLb1EEEEDaS1F_S1G_EUlS1F_E_NS1_11comp_targetILNS1_3genE0ELNS1_11target_archE4294967295ELNS1_3gpuE0ELNS1_3repE0EEENS1_30default_config_static_selectorELNS0_4arch9wavefront6targetE0EEEvT1_,@function
_ZN7rocprim17ROCPRIM_400000_NS6detail17trampoline_kernelINS0_14default_configENS1_25partition_config_selectorILNS1_17partition_subalgoE6EsNS0_10empty_typeEbEEZZNS1_14partition_implILS5_6ELb0ES3_mN6thrust23THRUST_200600_302600_NS6detail15normal_iteratorINSA_10device_ptrIsEEEEPS6_SG_NS0_5tupleIJSF_S6_EEENSH_IJSG_SG_EEES6_PlJNSB_9not_fun_tINSB_10functional5actorINSM_9compositeIJNSM_27transparent_binary_operatorINSA_8equal_toIvEEEENSN_INSM_8argumentILj0EEEEENSM_5valueIsEEEEEEEEEEEE10hipError_tPvRmT3_T4_T5_T6_T7_T9_mT8_P12ihipStream_tbDpT10_ENKUlT_T0_E_clISt17integral_constantIbLb0EES1J_IbLb1EEEEDaS1F_S1G_EUlS1F_E_NS1_11comp_targetILNS1_3genE0ELNS1_11target_archE4294967295ELNS1_3gpuE0ELNS1_3repE0EEENS1_30default_config_static_selectorELNS0_4arch9wavefront6targetE0EEEvT1_: ; @_ZN7rocprim17ROCPRIM_400000_NS6detail17trampoline_kernelINS0_14default_configENS1_25partition_config_selectorILNS1_17partition_subalgoE6EsNS0_10empty_typeEbEEZZNS1_14partition_implILS5_6ELb0ES3_mN6thrust23THRUST_200600_302600_NS6detail15normal_iteratorINSA_10device_ptrIsEEEEPS6_SG_NS0_5tupleIJSF_S6_EEENSH_IJSG_SG_EEES6_PlJNSB_9not_fun_tINSB_10functional5actorINSM_9compositeIJNSM_27transparent_binary_operatorINSA_8equal_toIvEEEENSN_INSM_8argumentILj0EEEEENSM_5valueIsEEEEEEEEEEEE10hipError_tPvRmT3_T4_T5_T6_T7_T9_mT8_P12ihipStream_tbDpT10_ENKUlT_T0_E_clISt17integral_constantIbLb0EES1J_IbLb1EEEEDaS1F_S1G_EUlS1F_E_NS1_11comp_targetILNS1_3genE0ELNS1_11target_archE4294967295ELNS1_3gpuE0ELNS1_3repE0EEENS1_30default_config_static_selectorELNS0_4arch9wavefront6targetE0EEEvT1_
; %bb.0:
	.section	.rodata,"a",@progbits
	.p2align	6, 0x0
	.amdhsa_kernel _ZN7rocprim17ROCPRIM_400000_NS6detail17trampoline_kernelINS0_14default_configENS1_25partition_config_selectorILNS1_17partition_subalgoE6EsNS0_10empty_typeEbEEZZNS1_14partition_implILS5_6ELb0ES3_mN6thrust23THRUST_200600_302600_NS6detail15normal_iteratorINSA_10device_ptrIsEEEEPS6_SG_NS0_5tupleIJSF_S6_EEENSH_IJSG_SG_EEES6_PlJNSB_9not_fun_tINSB_10functional5actorINSM_9compositeIJNSM_27transparent_binary_operatorINSA_8equal_toIvEEEENSN_INSM_8argumentILj0EEEEENSM_5valueIsEEEEEEEEEEEE10hipError_tPvRmT3_T4_T5_T6_T7_T9_mT8_P12ihipStream_tbDpT10_ENKUlT_T0_E_clISt17integral_constantIbLb0EES1J_IbLb1EEEEDaS1F_S1G_EUlS1F_E_NS1_11comp_targetILNS1_3genE0ELNS1_11target_archE4294967295ELNS1_3gpuE0ELNS1_3repE0EEENS1_30default_config_static_selectorELNS0_4arch9wavefront6targetE0EEEvT1_
		.amdhsa_group_segment_fixed_size 0
		.amdhsa_private_segment_fixed_size 0
		.amdhsa_kernarg_size 128
		.amdhsa_user_sgpr_count 2
		.amdhsa_user_sgpr_dispatch_ptr 0
		.amdhsa_user_sgpr_queue_ptr 0
		.amdhsa_user_sgpr_kernarg_segment_ptr 1
		.amdhsa_user_sgpr_dispatch_id 0
		.amdhsa_user_sgpr_private_segment_size 0
		.amdhsa_wavefront_size32 1
		.amdhsa_uses_dynamic_stack 0
		.amdhsa_enable_private_segment 0
		.amdhsa_system_sgpr_workgroup_id_x 1
		.amdhsa_system_sgpr_workgroup_id_y 0
		.amdhsa_system_sgpr_workgroup_id_z 0
		.amdhsa_system_sgpr_workgroup_info 0
		.amdhsa_system_vgpr_workitem_id 0
		.amdhsa_next_free_vgpr 1
		.amdhsa_next_free_sgpr 1
		.amdhsa_reserve_vcc 0
		.amdhsa_float_round_mode_32 0
		.amdhsa_float_round_mode_16_64 0
		.amdhsa_float_denorm_mode_32 3
		.amdhsa_float_denorm_mode_16_64 3
		.amdhsa_fp16_overflow 0
		.amdhsa_workgroup_processor_mode 1
		.amdhsa_memory_ordered 1
		.amdhsa_forward_progress 1
		.amdhsa_inst_pref_size 0
		.amdhsa_round_robin_scheduling 0
		.amdhsa_exception_fp_ieee_invalid_op 0
		.amdhsa_exception_fp_denorm_src 0
		.amdhsa_exception_fp_ieee_div_zero 0
		.amdhsa_exception_fp_ieee_overflow 0
		.amdhsa_exception_fp_ieee_underflow 0
		.amdhsa_exception_fp_ieee_inexact 0
		.amdhsa_exception_int_div_zero 0
	.end_amdhsa_kernel
	.section	.text._ZN7rocprim17ROCPRIM_400000_NS6detail17trampoline_kernelINS0_14default_configENS1_25partition_config_selectorILNS1_17partition_subalgoE6EsNS0_10empty_typeEbEEZZNS1_14partition_implILS5_6ELb0ES3_mN6thrust23THRUST_200600_302600_NS6detail15normal_iteratorINSA_10device_ptrIsEEEEPS6_SG_NS0_5tupleIJSF_S6_EEENSH_IJSG_SG_EEES6_PlJNSB_9not_fun_tINSB_10functional5actorINSM_9compositeIJNSM_27transparent_binary_operatorINSA_8equal_toIvEEEENSN_INSM_8argumentILj0EEEEENSM_5valueIsEEEEEEEEEEEE10hipError_tPvRmT3_T4_T5_T6_T7_T9_mT8_P12ihipStream_tbDpT10_ENKUlT_T0_E_clISt17integral_constantIbLb0EES1J_IbLb1EEEEDaS1F_S1G_EUlS1F_E_NS1_11comp_targetILNS1_3genE0ELNS1_11target_archE4294967295ELNS1_3gpuE0ELNS1_3repE0EEENS1_30default_config_static_selectorELNS0_4arch9wavefront6targetE0EEEvT1_,"axG",@progbits,_ZN7rocprim17ROCPRIM_400000_NS6detail17trampoline_kernelINS0_14default_configENS1_25partition_config_selectorILNS1_17partition_subalgoE6EsNS0_10empty_typeEbEEZZNS1_14partition_implILS5_6ELb0ES3_mN6thrust23THRUST_200600_302600_NS6detail15normal_iteratorINSA_10device_ptrIsEEEEPS6_SG_NS0_5tupleIJSF_S6_EEENSH_IJSG_SG_EEES6_PlJNSB_9not_fun_tINSB_10functional5actorINSM_9compositeIJNSM_27transparent_binary_operatorINSA_8equal_toIvEEEENSN_INSM_8argumentILj0EEEEENSM_5valueIsEEEEEEEEEEEE10hipError_tPvRmT3_T4_T5_T6_T7_T9_mT8_P12ihipStream_tbDpT10_ENKUlT_T0_E_clISt17integral_constantIbLb0EES1J_IbLb1EEEEDaS1F_S1G_EUlS1F_E_NS1_11comp_targetILNS1_3genE0ELNS1_11target_archE4294967295ELNS1_3gpuE0ELNS1_3repE0EEENS1_30default_config_static_selectorELNS0_4arch9wavefront6targetE0EEEvT1_,comdat
.Lfunc_end268:
	.size	_ZN7rocprim17ROCPRIM_400000_NS6detail17trampoline_kernelINS0_14default_configENS1_25partition_config_selectorILNS1_17partition_subalgoE6EsNS0_10empty_typeEbEEZZNS1_14partition_implILS5_6ELb0ES3_mN6thrust23THRUST_200600_302600_NS6detail15normal_iteratorINSA_10device_ptrIsEEEEPS6_SG_NS0_5tupleIJSF_S6_EEENSH_IJSG_SG_EEES6_PlJNSB_9not_fun_tINSB_10functional5actorINSM_9compositeIJNSM_27transparent_binary_operatorINSA_8equal_toIvEEEENSN_INSM_8argumentILj0EEEEENSM_5valueIsEEEEEEEEEEEE10hipError_tPvRmT3_T4_T5_T6_T7_T9_mT8_P12ihipStream_tbDpT10_ENKUlT_T0_E_clISt17integral_constantIbLb0EES1J_IbLb1EEEEDaS1F_S1G_EUlS1F_E_NS1_11comp_targetILNS1_3genE0ELNS1_11target_archE4294967295ELNS1_3gpuE0ELNS1_3repE0EEENS1_30default_config_static_selectorELNS0_4arch9wavefront6targetE0EEEvT1_, .Lfunc_end268-_ZN7rocprim17ROCPRIM_400000_NS6detail17trampoline_kernelINS0_14default_configENS1_25partition_config_selectorILNS1_17partition_subalgoE6EsNS0_10empty_typeEbEEZZNS1_14partition_implILS5_6ELb0ES3_mN6thrust23THRUST_200600_302600_NS6detail15normal_iteratorINSA_10device_ptrIsEEEEPS6_SG_NS0_5tupleIJSF_S6_EEENSH_IJSG_SG_EEES6_PlJNSB_9not_fun_tINSB_10functional5actorINSM_9compositeIJNSM_27transparent_binary_operatorINSA_8equal_toIvEEEENSN_INSM_8argumentILj0EEEEENSM_5valueIsEEEEEEEEEEEE10hipError_tPvRmT3_T4_T5_T6_T7_T9_mT8_P12ihipStream_tbDpT10_ENKUlT_T0_E_clISt17integral_constantIbLb0EES1J_IbLb1EEEEDaS1F_S1G_EUlS1F_E_NS1_11comp_targetILNS1_3genE0ELNS1_11target_archE4294967295ELNS1_3gpuE0ELNS1_3repE0EEENS1_30default_config_static_selectorELNS0_4arch9wavefront6targetE0EEEvT1_
                                        ; -- End function
	.set _ZN7rocprim17ROCPRIM_400000_NS6detail17trampoline_kernelINS0_14default_configENS1_25partition_config_selectorILNS1_17partition_subalgoE6EsNS0_10empty_typeEbEEZZNS1_14partition_implILS5_6ELb0ES3_mN6thrust23THRUST_200600_302600_NS6detail15normal_iteratorINSA_10device_ptrIsEEEEPS6_SG_NS0_5tupleIJSF_S6_EEENSH_IJSG_SG_EEES6_PlJNSB_9not_fun_tINSB_10functional5actorINSM_9compositeIJNSM_27transparent_binary_operatorINSA_8equal_toIvEEEENSN_INSM_8argumentILj0EEEEENSM_5valueIsEEEEEEEEEEEE10hipError_tPvRmT3_T4_T5_T6_T7_T9_mT8_P12ihipStream_tbDpT10_ENKUlT_T0_E_clISt17integral_constantIbLb0EES1J_IbLb1EEEEDaS1F_S1G_EUlS1F_E_NS1_11comp_targetILNS1_3genE0ELNS1_11target_archE4294967295ELNS1_3gpuE0ELNS1_3repE0EEENS1_30default_config_static_selectorELNS0_4arch9wavefront6targetE0EEEvT1_.num_vgpr, 0
	.set _ZN7rocprim17ROCPRIM_400000_NS6detail17trampoline_kernelINS0_14default_configENS1_25partition_config_selectorILNS1_17partition_subalgoE6EsNS0_10empty_typeEbEEZZNS1_14partition_implILS5_6ELb0ES3_mN6thrust23THRUST_200600_302600_NS6detail15normal_iteratorINSA_10device_ptrIsEEEEPS6_SG_NS0_5tupleIJSF_S6_EEENSH_IJSG_SG_EEES6_PlJNSB_9not_fun_tINSB_10functional5actorINSM_9compositeIJNSM_27transparent_binary_operatorINSA_8equal_toIvEEEENSN_INSM_8argumentILj0EEEEENSM_5valueIsEEEEEEEEEEEE10hipError_tPvRmT3_T4_T5_T6_T7_T9_mT8_P12ihipStream_tbDpT10_ENKUlT_T0_E_clISt17integral_constantIbLb0EES1J_IbLb1EEEEDaS1F_S1G_EUlS1F_E_NS1_11comp_targetILNS1_3genE0ELNS1_11target_archE4294967295ELNS1_3gpuE0ELNS1_3repE0EEENS1_30default_config_static_selectorELNS0_4arch9wavefront6targetE0EEEvT1_.num_agpr, 0
	.set _ZN7rocprim17ROCPRIM_400000_NS6detail17trampoline_kernelINS0_14default_configENS1_25partition_config_selectorILNS1_17partition_subalgoE6EsNS0_10empty_typeEbEEZZNS1_14partition_implILS5_6ELb0ES3_mN6thrust23THRUST_200600_302600_NS6detail15normal_iteratorINSA_10device_ptrIsEEEEPS6_SG_NS0_5tupleIJSF_S6_EEENSH_IJSG_SG_EEES6_PlJNSB_9not_fun_tINSB_10functional5actorINSM_9compositeIJNSM_27transparent_binary_operatorINSA_8equal_toIvEEEENSN_INSM_8argumentILj0EEEEENSM_5valueIsEEEEEEEEEEEE10hipError_tPvRmT3_T4_T5_T6_T7_T9_mT8_P12ihipStream_tbDpT10_ENKUlT_T0_E_clISt17integral_constantIbLb0EES1J_IbLb1EEEEDaS1F_S1G_EUlS1F_E_NS1_11comp_targetILNS1_3genE0ELNS1_11target_archE4294967295ELNS1_3gpuE0ELNS1_3repE0EEENS1_30default_config_static_selectorELNS0_4arch9wavefront6targetE0EEEvT1_.numbered_sgpr, 0
	.set _ZN7rocprim17ROCPRIM_400000_NS6detail17trampoline_kernelINS0_14default_configENS1_25partition_config_selectorILNS1_17partition_subalgoE6EsNS0_10empty_typeEbEEZZNS1_14partition_implILS5_6ELb0ES3_mN6thrust23THRUST_200600_302600_NS6detail15normal_iteratorINSA_10device_ptrIsEEEEPS6_SG_NS0_5tupleIJSF_S6_EEENSH_IJSG_SG_EEES6_PlJNSB_9not_fun_tINSB_10functional5actorINSM_9compositeIJNSM_27transparent_binary_operatorINSA_8equal_toIvEEEENSN_INSM_8argumentILj0EEEEENSM_5valueIsEEEEEEEEEEEE10hipError_tPvRmT3_T4_T5_T6_T7_T9_mT8_P12ihipStream_tbDpT10_ENKUlT_T0_E_clISt17integral_constantIbLb0EES1J_IbLb1EEEEDaS1F_S1G_EUlS1F_E_NS1_11comp_targetILNS1_3genE0ELNS1_11target_archE4294967295ELNS1_3gpuE0ELNS1_3repE0EEENS1_30default_config_static_selectorELNS0_4arch9wavefront6targetE0EEEvT1_.num_named_barrier, 0
	.set _ZN7rocprim17ROCPRIM_400000_NS6detail17trampoline_kernelINS0_14default_configENS1_25partition_config_selectorILNS1_17partition_subalgoE6EsNS0_10empty_typeEbEEZZNS1_14partition_implILS5_6ELb0ES3_mN6thrust23THRUST_200600_302600_NS6detail15normal_iteratorINSA_10device_ptrIsEEEEPS6_SG_NS0_5tupleIJSF_S6_EEENSH_IJSG_SG_EEES6_PlJNSB_9not_fun_tINSB_10functional5actorINSM_9compositeIJNSM_27transparent_binary_operatorINSA_8equal_toIvEEEENSN_INSM_8argumentILj0EEEEENSM_5valueIsEEEEEEEEEEEE10hipError_tPvRmT3_T4_T5_T6_T7_T9_mT8_P12ihipStream_tbDpT10_ENKUlT_T0_E_clISt17integral_constantIbLb0EES1J_IbLb1EEEEDaS1F_S1G_EUlS1F_E_NS1_11comp_targetILNS1_3genE0ELNS1_11target_archE4294967295ELNS1_3gpuE0ELNS1_3repE0EEENS1_30default_config_static_selectorELNS0_4arch9wavefront6targetE0EEEvT1_.private_seg_size, 0
	.set _ZN7rocprim17ROCPRIM_400000_NS6detail17trampoline_kernelINS0_14default_configENS1_25partition_config_selectorILNS1_17partition_subalgoE6EsNS0_10empty_typeEbEEZZNS1_14partition_implILS5_6ELb0ES3_mN6thrust23THRUST_200600_302600_NS6detail15normal_iteratorINSA_10device_ptrIsEEEEPS6_SG_NS0_5tupleIJSF_S6_EEENSH_IJSG_SG_EEES6_PlJNSB_9not_fun_tINSB_10functional5actorINSM_9compositeIJNSM_27transparent_binary_operatorINSA_8equal_toIvEEEENSN_INSM_8argumentILj0EEEEENSM_5valueIsEEEEEEEEEEEE10hipError_tPvRmT3_T4_T5_T6_T7_T9_mT8_P12ihipStream_tbDpT10_ENKUlT_T0_E_clISt17integral_constantIbLb0EES1J_IbLb1EEEEDaS1F_S1G_EUlS1F_E_NS1_11comp_targetILNS1_3genE0ELNS1_11target_archE4294967295ELNS1_3gpuE0ELNS1_3repE0EEENS1_30default_config_static_selectorELNS0_4arch9wavefront6targetE0EEEvT1_.uses_vcc, 0
	.set _ZN7rocprim17ROCPRIM_400000_NS6detail17trampoline_kernelINS0_14default_configENS1_25partition_config_selectorILNS1_17partition_subalgoE6EsNS0_10empty_typeEbEEZZNS1_14partition_implILS5_6ELb0ES3_mN6thrust23THRUST_200600_302600_NS6detail15normal_iteratorINSA_10device_ptrIsEEEEPS6_SG_NS0_5tupleIJSF_S6_EEENSH_IJSG_SG_EEES6_PlJNSB_9not_fun_tINSB_10functional5actorINSM_9compositeIJNSM_27transparent_binary_operatorINSA_8equal_toIvEEEENSN_INSM_8argumentILj0EEEEENSM_5valueIsEEEEEEEEEEEE10hipError_tPvRmT3_T4_T5_T6_T7_T9_mT8_P12ihipStream_tbDpT10_ENKUlT_T0_E_clISt17integral_constantIbLb0EES1J_IbLb1EEEEDaS1F_S1G_EUlS1F_E_NS1_11comp_targetILNS1_3genE0ELNS1_11target_archE4294967295ELNS1_3gpuE0ELNS1_3repE0EEENS1_30default_config_static_selectorELNS0_4arch9wavefront6targetE0EEEvT1_.uses_flat_scratch, 0
	.set _ZN7rocprim17ROCPRIM_400000_NS6detail17trampoline_kernelINS0_14default_configENS1_25partition_config_selectorILNS1_17partition_subalgoE6EsNS0_10empty_typeEbEEZZNS1_14partition_implILS5_6ELb0ES3_mN6thrust23THRUST_200600_302600_NS6detail15normal_iteratorINSA_10device_ptrIsEEEEPS6_SG_NS0_5tupleIJSF_S6_EEENSH_IJSG_SG_EEES6_PlJNSB_9not_fun_tINSB_10functional5actorINSM_9compositeIJNSM_27transparent_binary_operatorINSA_8equal_toIvEEEENSN_INSM_8argumentILj0EEEEENSM_5valueIsEEEEEEEEEEEE10hipError_tPvRmT3_T4_T5_T6_T7_T9_mT8_P12ihipStream_tbDpT10_ENKUlT_T0_E_clISt17integral_constantIbLb0EES1J_IbLb1EEEEDaS1F_S1G_EUlS1F_E_NS1_11comp_targetILNS1_3genE0ELNS1_11target_archE4294967295ELNS1_3gpuE0ELNS1_3repE0EEENS1_30default_config_static_selectorELNS0_4arch9wavefront6targetE0EEEvT1_.has_dyn_sized_stack, 0
	.set _ZN7rocprim17ROCPRIM_400000_NS6detail17trampoline_kernelINS0_14default_configENS1_25partition_config_selectorILNS1_17partition_subalgoE6EsNS0_10empty_typeEbEEZZNS1_14partition_implILS5_6ELb0ES3_mN6thrust23THRUST_200600_302600_NS6detail15normal_iteratorINSA_10device_ptrIsEEEEPS6_SG_NS0_5tupleIJSF_S6_EEENSH_IJSG_SG_EEES6_PlJNSB_9not_fun_tINSB_10functional5actorINSM_9compositeIJNSM_27transparent_binary_operatorINSA_8equal_toIvEEEENSN_INSM_8argumentILj0EEEEENSM_5valueIsEEEEEEEEEEEE10hipError_tPvRmT3_T4_T5_T6_T7_T9_mT8_P12ihipStream_tbDpT10_ENKUlT_T0_E_clISt17integral_constantIbLb0EES1J_IbLb1EEEEDaS1F_S1G_EUlS1F_E_NS1_11comp_targetILNS1_3genE0ELNS1_11target_archE4294967295ELNS1_3gpuE0ELNS1_3repE0EEENS1_30default_config_static_selectorELNS0_4arch9wavefront6targetE0EEEvT1_.has_recursion, 0
	.set _ZN7rocprim17ROCPRIM_400000_NS6detail17trampoline_kernelINS0_14default_configENS1_25partition_config_selectorILNS1_17partition_subalgoE6EsNS0_10empty_typeEbEEZZNS1_14partition_implILS5_6ELb0ES3_mN6thrust23THRUST_200600_302600_NS6detail15normal_iteratorINSA_10device_ptrIsEEEEPS6_SG_NS0_5tupleIJSF_S6_EEENSH_IJSG_SG_EEES6_PlJNSB_9not_fun_tINSB_10functional5actorINSM_9compositeIJNSM_27transparent_binary_operatorINSA_8equal_toIvEEEENSN_INSM_8argumentILj0EEEEENSM_5valueIsEEEEEEEEEEEE10hipError_tPvRmT3_T4_T5_T6_T7_T9_mT8_P12ihipStream_tbDpT10_ENKUlT_T0_E_clISt17integral_constantIbLb0EES1J_IbLb1EEEEDaS1F_S1G_EUlS1F_E_NS1_11comp_targetILNS1_3genE0ELNS1_11target_archE4294967295ELNS1_3gpuE0ELNS1_3repE0EEENS1_30default_config_static_selectorELNS0_4arch9wavefront6targetE0EEEvT1_.has_indirect_call, 0
	.section	.AMDGPU.csdata,"",@progbits
; Kernel info:
; codeLenInByte = 0
; TotalNumSgprs: 0
; NumVgprs: 0
; ScratchSize: 0
; MemoryBound: 0
; FloatMode: 240
; IeeeMode: 1
; LDSByteSize: 0 bytes/workgroup (compile time only)
; SGPRBlocks: 0
; VGPRBlocks: 0
; NumSGPRsForWavesPerEU: 1
; NumVGPRsForWavesPerEU: 1
; Occupancy: 16
; WaveLimiterHint : 0
; COMPUTE_PGM_RSRC2:SCRATCH_EN: 0
; COMPUTE_PGM_RSRC2:USER_SGPR: 2
; COMPUTE_PGM_RSRC2:TRAP_HANDLER: 0
; COMPUTE_PGM_RSRC2:TGID_X_EN: 1
; COMPUTE_PGM_RSRC2:TGID_Y_EN: 0
; COMPUTE_PGM_RSRC2:TGID_Z_EN: 0
; COMPUTE_PGM_RSRC2:TIDIG_COMP_CNT: 0
	.section	.text._ZN7rocprim17ROCPRIM_400000_NS6detail17trampoline_kernelINS0_14default_configENS1_25partition_config_selectorILNS1_17partition_subalgoE6EsNS0_10empty_typeEbEEZZNS1_14partition_implILS5_6ELb0ES3_mN6thrust23THRUST_200600_302600_NS6detail15normal_iteratorINSA_10device_ptrIsEEEEPS6_SG_NS0_5tupleIJSF_S6_EEENSH_IJSG_SG_EEES6_PlJNSB_9not_fun_tINSB_10functional5actorINSM_9compositeIJNSM_27transparent_binary_operatorINSA_8equal_toIvEEEENSN_INSM_8argumentILj0EEEEENSM_5valueIsEEEEEEEEEEEE10hipError_tPvRmT3_T4_T5_T6_T7_T9_mT8_P12ihipStream_tbDpT10_ENKUlT_T0_E_clISt17integral_constantIbLb0EES1J_IbLb1EEEEDaS1F_S1G_EUlS1F_E_NS1_11comp_targetILNS1_3genE5ELNS1_11target_archE942ELNS1_3gpuE9ELNS1_3repE0EEENS1_30default_config_static_selectorELNS0_4arch9wavefront6targetE0EEEvT1_,"axG",@progbits,_ZN7rocprim17ROCPRIM_400000_NS6detail17trampoline_kernelINS0_14default_configENS1_25partition_config_selectorILNS1_17partition_subalgoE6EsNS0_10empty_typeEbEEZZNS1_14partition_implILS5_6ELb0ES3_mN6thrust23THRUST_200600_302600_NS6detail15normal_iteratorINSA_10device_ptrIsEEEEPS6_SG_NS0_5tupleIJSF_S6_EEENSH_IJSG_SG_EEES6_PlJNSB_9not_fun_tINSB_10functional5actorINSM_9compositeIJNSM_27transparent_binary_operatorINSA_8equal_toIvEEEENSN_INSM_8argumentILj0EEEEENSM_5valueIsEEEEEEEEEEEE10hipError_tPvRmT3_T4_T5_T6_T7_T9_mT8_P12ihipStream_tbDpT10_ENKUlT_T0_E_clISt17integral_constantIbLb0EES1J_IbLb1EEEEDaS1F_S1G_EUlS1F_E_NS1_11comp_targetILNS1_3genE5ELNS1_11target_archE942ELNS1_3gpuE9ELNS1_3repE0EEENS1_30default_config_static_selectorELNS0_4arch9wavefront6targetE0EEEvT1_,comdat
	.protected	_ZN7rocprim17ROCPRIM_400000_NS6detail17trampoline_kernelINS0_14default_configENS1_25partition_config_selectorILNS1_17partition_subalgoE6EsNS0_10empty_typeEbEEZZNS1_14partition_implILS5_6ELb0ES3_mN6thrust23THRUST_200600_302600_NS6detail15normal_iteratorINSA_10device_ptrIsEEEEPS6_SG_NS0_5tupleIJSF_S6_EEENSH_IJSG_SG_EEES6_PlJNSB_9not_fun_tINSB_10functional5actorINSM_9compositeIJNSM_27transparent_binary_operatorINSA_8equal_toIvEEEENSN_INSM_8argumentILj0EEEEENSM_5valueIsEEEEEEEEEEEE10hipError_tPvRmT3_T4_T5_T6_T7_T9_mT8_P12ihipStream_tbDpT10_ENKUlT_T0_E_clISt17integral_constantIbLb0EES1J_IbLb1EEEEDaS1F_S1G_EUlS1F_E_NS1_11comp_targetILNS1_3genE5ELNS1_11target_archE942ELNS1_3gpuE9ELNS1_3repE0EEENS1_30default_config_static_selectorELNS0_4arch9wavefront6targetE0EEEvT1_ ; -- Begin function _ZN7rocprim17ROCPRIM_400000_NS6detail17trampoline_kernelINS0_14default_configENS1_25partition_config_selectorILNS1_17partition_subalgoE6EsNS0_10empty_typeEbEEZZNS1_14partition_implILS5_6ELb0ES3_mN6thrust23THRUST_200600_302600_NS6detail15normal_iteratorINSA_10device_ptrIsEEEEPS6_SG_NS0_5tupleIJSF_S6_EEENSH_IJSG_SG_EEES6_PlJNSB_9not_fun_tINSB_10functional5actorINSM_9compositeIJNSM_27transparent_binary_operatorINSA_8equal_toIvEEEENSN_INSM_8argumentILj0EEEEENSM_5valueIsEEEEEEEEEEEE10hipError_tPvRmT3_T4_T5_T6_T7_T9_mT8_P12ihipStream_tbDpT10_ENKUlT_T0_E_clISt17integral_constantIbLb0EES1J_IbLb1EEEEDaS1F_S1G_EUlS1F_E_NS1_11comp_targetILNS1_3genE5ELNS1_11target_archE942ELNS1_3gpuE9ELNS1_3repE0EEENS1_30default_config_static_selectorELNS0_4arch9wavefront6targetE0EEEvT1_
	.globl	_ZN7rocprim17ROCPRIM_400000_NS6detail17trampoline_kernelINS0_14default_configENS1_25partition_config_selectorILNS1_17partition_subalgoE6EsNS0_10empty_typeEbEEZZNS1_14partition_implILS5_6ELb0ES3_mN6thrust23THRUST_200600_302600_NS6detail15normal_iteratorINSA_10device_ptrIsEEEEPS6_SG_NS0_5tupleIJSF_S6_EEENSH_IJSG_SG_EEES6_PlJNSB_9not_fun_tINSB_10functional5actorINSM_9compositeIJNSM_27transparent_binary_operatorINSA_8equal_toIvEEEENSN_INSM_8argumentILj0EEEEENSM_5valueIsEEEEEEEEEEEE10hipError_tPvRmT3_T4_T5_T6_T7_T9_mT8_P12ihipStream_tbDpT10_ENKUlT_T0_E_clISt17integral_constantIbLb0EES1J_IbLb1EEEEDaS1F_S1G_EUlS1F_E_NS1_11comp_targetILNS1_3genE5ELNS1_11target_archE942ELNS1_3gpuE9ELNS1_3repE0EEENS1_30default_config_static_selectorELNS0_4arch9wavefront6targetE0EEEvT1_
	.p2align	8
	.type	_ZN7rocprim17ROCPRIM_400000_NS6detail17trampoline_kernelINS0_14default_configENS1_25partition_config_selectorILNS1_17partition_subalgoE6EsNS0_10empty_typeEbEEZZNS1_14partition_implILS5_6ELb0ES3_mN6thrust23THRUST_200600_302600_NS6detail15normal_iteratorINSA_10device_ptrIsEEEEPS6_SG_NS0_5tupleIJSF_S6_EEENSH_IJSG_SG_EEES6_PlJNSB_9not_fun_tINSB_10functional5actorINSM_9compositeIJNSM_27transparent_binary_operatorINSA_8equal_toIvEEEENSN_INSM_8argumentILj0EEEEENSM_5valueIsEEEEEEEEEEEE10hipError_tPvRmT3_T4_T5_T6_T7_T9_mT8_P12ihipStream_tbDpT10_ENKUlT_T0_E_clISt17integral_constantIbLb0EES1J_IbLb1EEEEDaS1F_S1G_EUlS1F_E_NS1_11comp_targetILNS1_3genE5ELNS1_11target_archE942ELNS1_3gpuE9ELNS1_3repE0EEENS1_30default_config_static_selectorELNS0_4arch9wavefront6targetE0EEEvT1_,@function
_ZN7rocprim17ROCPRIM_400000_NS6detail17trampoline_kernelINS0_14default_configENS1_25partition_config_selectorILNS1_17partition_subalgoE6EsNS0_10empty_typeEbEEZZNS1_14partition_implILS5_6ELb0ES3_mN6thrust23THRUST_200600_302600_NS6detail15normal_iteratorINSA_10device_ptrIsEEEEPS6_SG_NS0_5tupleIJSF_S6_EEENSH_IJSG_SG_EEES6_PlJNSB_9not_fun_tINSB_10functional5actorINSM_9compositeIJNSM_27transparent_binary_operatorINSA_8equal_toIvEEEENSN_INSM_8argumentILj0EEEEENSM_5valueIsEEEEEEEEEEEE10hipError_tPvRmT3_T4_T5_T6_T7_T9_mT8_P12ihipStream_tbDpT10_ENKUlT_T0_E_clISt17integral_constantIbLb0EES1J_IbLb1EEEEDaS1F_S1G_EUlS1F_E_NS1_11comp_targetILNS1_3genE5ELNS1_11target_archE942ELNS1_3gpuE9ELNS1_3repE0EEENS1_30default_config_static_selectorELNS0_4arch9wavefront6targetE0EEEvT1_: ; @_ZN7rocprim17ROCPRIM_400000_NS6detail17trampoline_kernelINS0_14default_configENS1_25partition_config_selectorILNS1_17partition_subalgoE6EsNS0_10empty_typeEbEEZZNS1_14partition_implILS5_6ELb0ES3_mN6thrust23THRUST_200600_302600_NS6detail15normal_iteratorINSA_10device_ptrIsEEEEPS6_SG_NS0_5tupleIJSF_S6_EEENSH_IJSG_SG_EEES6_PlJNSB_9not_fun_tINSB_10functional5actorINSM_9compositeIJNSM_27transparent_binary_operatorINSA_8equal_toIvEEEENSN_INSM_8argumentILj0EEEEENSM_5valueIsEEEEEEEEEEEE10hipError_tPvRmT3_T4_T5_T6_T7_T9_mT8_P12ihipStream_tbDpT10_ENKUlT_T0_E_clISt17integral_constantIbLb0EES1J_IbLb1EEEEDaS1F_S1G_EUlS1F_E_NS1_11comp_targetILNS1_3genE5ELNS1_11target_archE942ELNS1_3gpuE9ELNS1_3repE0EEENS1_30default_config_static_selectorELNS0_4arch9wavefront6targetE0EEEvT1_
; %bb.0:
	.section	.rodata,"a",@progbits
	.p2align	6, 0x0
	.amdhsa_kernel _ZN7rocprim17ROCPRIM_400000_NS6detail17trampoline_kernelINS0_14default_configENS1_25partition_config_selectorILNS1_17partition_subalgoE6EsNS0_10empty_typeEbEEZZNS1_14partition_implILS5_6ELb0ES3_mN6thrust23THRUST_200600_302600_NS6detail15normal_iteratorINSA_10device_ptrIsEEEEPS6_SG_NS0_5tupleIJSF_S6_EEENSH_IJSG_SG_EEES6_PlJNSB_9not_fun_tINSB_10functional5actorINSM_9compositeIJNSM_27transparent_binary_operatorINSA_8equal_toIvEEEENSN_INSM_8argumentILj0EEEEENSM_5valueIsEEEEEEEEEEEE10hipError_tPvRmT3_T4_T5_T6_T7_T9_mT8_P12ihipStream_tbDpT10_ENKUlT_T0_E_clISt17integral_constantIbLb0EES1J_IbLb1EEEEDaS1F_S1G_EUlS1F_E_NS1_11comp_targetILNS1_3genE5ELNS1_11target_archE942ELNS1_3gpuE9ELNS1_3repE0EEENS1_30default_config_static_selectorELNS0_4arch9wavefront6targetE0EEEvT1_
		.amdhsa_group_segment_fixed_size 0
		.amdhsa_private_segment_fixed_size 0
		.amdhsa_kernarg_size 128
		.amdhsa_user_sgpr_count 2
		.amdhsa_user_sgpr_dispatch_ptr 0
		.amdhsa_user_sgpr_queue_ptr 0
		.amdhsa_user_sgpr_kernarg_segment_ptr 1
		.amdhsa_user_sgpr_dispatch_id 0
		.amdhsa_user_sgpr_private_segment_size 0
		.amdhsa_wavefront_size32 1
		.amdhsa_uses_dynamic_stack 0
		.amdhsa_enable_private_segment 0
		.amdhsa_system_sgpr_workgroup_id_x 1
		.amdhsa_system_sgpr_workgroup_id_y 0
		.amdhsa_system_sgpr_workgroup_id_z 0
		.amdhsa_system_sgpr_workgroup_info 0
		.amdhsa_system_vgpr_workitem_id 0
		.amdhsa_next_free_vgpr 1
		.amdhsa_next_free_sgpr 1
		.amdhsa_reserve_vcc 0
		.amdhsa_float_round_mode_32 0
		.amdhsa_float_round_mode_16_64 0
		.amdhsa_float_denorm_mode_32 3
		.amdhsa_float_denorm_mode_16_64 3
		.amdhsa_fp16_overflow 0
		.amdhsa_workgroup_processor_mode 1
		.amdhsa_memory_ordered 1
		.amdhsa_forward_progress 1
		.amdhsa_inst_pref_size 0
		.amdhsa_round_robin_scheduling 0
		.amdhsa_exception_fp_ieee_invalid_op 0
		.amdhsa_exception_fp_denorm_src 0
		.amdhsa_exception_fp_ieee_div_zero 0
		.amdhsa_exception_fp_ieee_overflow 0
		.amdhsa_exception_fp_ieee_underflow 0
		.amdhsa_exception_fp_ieee_inexact 0
		.amdhsa_exception_int_div_zero 0
	.end_amdhsa_kernel
	.section	.text._ZN7rocprim17ROCPRIM_400000_NS6detail17trampoline_kernelINS0_14default_configENS1_25partition_config_selectorILNS1_17partition_subalgoE6EsNS0_10empty_typeEbEEZZNS1_14partition_implILS5_6ELb0ES3_mN6thrust23THRUST_200600_302600_NS6detail15normal_iteratorINSA_10device_ptrIsEEEEPS6_SG_NS0_5tupleIJSF_S6_EEENSH_IJSG_SG_EEES6_PlJNSB_9not_fun_tINSB_10functional5actorINSM_9compositeIJNSM_27transparent_binary_operatorINSA_8equal_toIvEEEENSN_INSM_8argumentILj0EEEEENSM_5valueIsEEEEEEEEEEEE10hipError_tPvRmT3_T4_T5_T6_T7_T9_mT8_P12ihipStream_tbDpT10_ENKUlT_T0_E_clISt17integral_constantIbLb0EES1J_IbLb1EEEEDaS1F_S1G_EUlS1F_E_NS1_11comp_targetILNS1_3genE5ELNS1_11target_archE942ELNS1_3gpuE9ELNS1_3repE0EEENS1_30default_config_static_selectorELNS0_4arch9wavefront6targetE0EEEvT1_,"axG",@progbits,_ZN7rocprim17ROCPRIM_400000_NS6detail17trampoline_kernelINS0_14default_configENS1_25partition_config_selectorILNS1_17partition_subalgoE6EsNS0_10empty_typeEbEEZZNS1_14partition_implILS5_6ELb0ES3_mN6thrust23THRUST_200600_302600_NS6detail15normal_iteratorINSA_10device_ptrIsEEEEPS6_SG_NS0_5tupleIJSF_S6_EEENSH_IJSG_SG_EEES6_PlJNSB_9not_fun_tINSB_10functional5actorINSM_9compositeIJNSM_27transparent_binary_operatorINSA_8equal_toIvEEEENSN_INSM_8argumentILj0EEEEENSM_5valueIsEEEEEEEEEEEE10hipError_tPvRmT3_T4_T5_T6_T7_T9_mT8_P12ihipStream_tbDpT10_ENKUlT_T0_E_clISt17integral_constantIbLb0EES1J_IbLb1EEEEDaS1F_S1G_EUlS1F_E_NS1_11comp_targetILNS1_3genE5ELNS1_11target_archE942ELNS1_3gpuE9ELNS1_3repE0EEENS1_30default_config_static_selectorELNS0_4arch9wavefront6targetE0EEEvT1_,comdat
.Lfunc_end269:
	.size	_ZN7rocprim17ROCPRIM_400000_NS6detail17trampoline_kernelINS0_14default_configENS1_25partition_config_selectorILNS1_17partition_subalgoE6EsNS0_10empty_typeEbEEZZNS1_14partition_implILS5_6ELb0ES3_mN6thrust23THRUST_200600_302600_NS6detail15normal_iteratorINSA_10device_ptrIsEEEEPS6_SG_NS0_5tupleIJSF_S6_EEENSH_IJSG_SG_EEES6_PlJNSB_9not_fun_tINSB_10functional5actorINSM_9compositeIJNSM_27transparent_binary_operatorINSA_8equal_toIvEEEENSN_INSM_8argumentILj0EEEEENSM_5valueIsEEEEEEEEEEEE10hipError_tPvRmT3_T4_T5_T6_T7_T9_mT8_P12ihipStream_tbDpT10_ENKUlT_T0_E_clISt17integral_constantIbLb0EES1J_IbLb1EEEEDaS1F_S1G_EUlS1F_E_NS1_11comp_targetILNS1_3genE5ELNS1_11target_archE942ELNS1_3gpuE9ELNS1_3repE0EEENS1_30default_config_static_selectorELNS0_4arch9wavefront6targetE0EEEvT1_, .Lfunc_end269-_ZN7rocprim17ROCPRIM_400000_NS6detail17trampoline_kernelINS0_14default_configENS1_25partition_config_selectorILNS1_17partition_subalgoE6EsNS0_10empty_typeEbEEZZNS1_14partition_implILS5_6ELb0ES3_mN6thrust23THRUST_200600_302600_NS6detail15normal_iteratorINSA_10device_ptrIsEEEEPS6_SG_NS0_5tupleIJSF_S6_EEENSH_IJSG_SG_EEES6_PlJNSB_9not_fun_tINSB_10functional5actorINSM_9compositeIJNSM_27transparent_binary_operatorINSA_8equal_toIvEEEENSN_INSM_8argumentILj0EEEEENSM_5valueIsEEEEEEEEEEEE10hipError_tPvRmT3_T4_T5_T6_T7_T9_mT8_P12ihipStream_tbDpT10_ENKUlT_T0_E_clISt17integral_constantIbLb0EES1J_IbLb1EEEEDaS1F_S1G_EUlS1F_E_NS1_11comp_targetILNS1_3genE5ELNS1_11target_archE942ELNS1_3gpuE9ELNS1_3repE0EEENS1_30default_config_static_selectorELNS0_4arch9wavefront6targetE0EEEvT1_
                                        ; -- End function
	.set _ZN7rocprim17ROCPRIM_400000_NS6detail17trampoline_kernelINS0_14default_configENS1_25partition_config_selectorILNS1_17partition_subalgoE6EsNS0_10empty_typeEbEEZZNS1_14partition_implILS5_6ELb0ES3_mN6thrust23THRUST_200600_302600_NS6detail15normal_iteratorINSA_10device_ptrIsEEEEPS6_SG_NS0_5tupleIJSF_S6_EEENSH_IJSG_SG_EEES6_PlJNSB_9not_fun_tINSB_10functional5actorINSM_9compositeIJNSM_27transparent_binary_operatorINSA_8equal_toIvEEEENSN_INSM_8argumentILj0EEEEENSM_5valueIsEEEEEEEEEEEE10hipError_tPvRmT3_T4_T5_T6_T7_T9_mT8_P12ihipStream_tbDpT10_ENKUlT_T0_E_clISt17integral_constantIbLb0EES1J_IbLb1EEEEDaS1F_S1G_EUlS1F_E_NS1_11comp_targetILNS1_3genE5ELNS1_11target_archE942ELNS1_3gpuE9ELNS1_3repE0EEENS1_30default_config_static_selectorELNS0_4arch9wavefront6targetE0EEEvT1_.num_vgpr, 0
	.set _ZN7rocprim17ROCPRIM_400000_NS6detail17trampoline_kernelINS0_14default_configENS1_25partition_config_selectorILNS1_17partition_subalgoE6EsNS0_10empty_typeEbEEZZNS1_14partition_implILS5_6ELb0ES3_mN6thrust23THRUST_200600_302600_NS6detail15normal_iteratorINSA_10device_ptrIsEEEEPS6_SG_NS0_5tupleIJSF_S6_EEENSH_IJSG_SG_EEES6_PlJNSB_9not_fun_tINSB_10functional5actorINSM_9compositeIJNSM_27transparent_binary_operatorINSA_8equal_toIvEEEENSN_INSM_8argumentILj0EEEEENSM_5valueIsEEEEEEEEEEEE10hipError_tPvRmT3_T4_T5_T6_T7_T9_mT8_P12ihipStream_tbDpT10_ENKUlT_T0_E_clISt17integral_constantIbLb0EES1J_IbLb1EEEEDaS1F_S1G_EUlS1F_E_NS1_11comp_targetILNS1_3genE5ELNS1_11target_archE942ELNS1_3gpuE9ELNS1_3repE0EEENS1_30default_config_static_selectorELNS0_4arch9wavefront6targetE0EEEvT1_.num_agpr, 0
	.set _ZN7rocprim17ROCPRIM_400000_NS6detail17trampoline_kernelINS0_14default_configENS1_25partition_config_selectorILNS1_17partition_subalgoE6EsNS0_10empty_typeEbEEZZNS1_14partition_implILS5_6ELb0ES3_mN6thrust23THRUST_200600_302600_NS6detail15normal_iteratorINSA_10device_ptrIsEEEEPS6_SG_NS0_5tupleIJSF_S6_EEENSH_IJSG_SG_EEES6_PlJNSB_9not_fun_tINSB_10functional5actorINSM_9compositeIJNSM_27transparent_binary_operatorINSA_8equal_toIvEEEENSN_INSM_8argumentILj0EEEEENSM_5valueIsEEEEEEEEEEEE10hipError_tPvRmT3_T4_T5_T6_T7_T9_mT8_P12ihipStream_tbDpT10_ENKUlT_T0_E_clISt17integral_constantIbLb0EES1J_IbLb1EEEEDaS1F_S1G_EUlS1F_E_NS1_11comp_targetILNS1_3genE5ELNS1_11target_archE942ELNS1_3gpuE9ELNS1_3repE0EEENS1_30default_config_static_selectorELNS0_4arch9wavefront6targetE0EEEvT1_.numbered_sgpr, 0
	.set _ZN7rocprim17ROCPRIM_400000_NS6detail17trampoline_kernelINS0_14default_configENS1_25partition_config_selectorILNS1_17partition_subalgoE6EsNS0_10empty_typeEbEEZZNS1_14partition_implILS5_6ELb0ES3_mN6thrust23THRUST_200600_302600_NS6detail15normal_iteratorINSA_10device_ptrIsEEEEPS6_SG_NS0_5tupleIJSF_S6_EEENSH_IJSG_SG_EEES6_PlJNSB_9not_fun_tINSB_10functional5actorINSM_9compositeIJNSM_27transparent_binary_operatorINSA_8equal_toIvEEEENSN_INSM_8argumentILj0EEEEENSM_5valueIsEEEEEEEEEEEE10hipError_tPvRmT3_T4_T5_T6_T7_T9_mT8_P12ihipStream_tbDpT10_ENKUlT_T0_E_clISt17integral_constantIbLb0EES1J_IbLb1EEEEDaS1F_S1G_EUlS1F_E_NS1_11comp_targetILNS1_3genE5ELNS1_11target_archE942ELNS1_3gpuE9ELNS1_3repE0EEENS1_30default_config_static_selectorELNS0_4arch9wavefront6targetE0EEEvT1_.num_named_barrier, 0
	.set _ZN7rocprim17ROCPRIM_400000_NS6detail17trampoline_kernelINS0_14default_configENS1_25partition_config_selectorILNS1_17partition_subalgoE6EsNS0_10empty_typeEbEEZZNS1_14partition_implILS5_6ELb0ES3_mN6thrust23THRUST_200600_302600_NS6detail15normal_iteratorINSA_10device_ptrIsEEEEPS6_SG_NS0_5tupleIJSF_S6_EEENSH_IJSG_SG_EEES6_PlJNSB_9not_fun_tINSB_10functional5actorINSM_9compositeIJNSM_27transparent_binary_operatorINSA_8equal_toIvEEEENSN_INSM_8argumentILj0EEEEENSM_5valueIsEEEEEEEEEEEE10hipError_tPvRmT3_T4_T5_T6_T7_T9_mT8_P12ihipStream_tbDpT10_ENKUlT_T0_E_clISt17integral_constantIbLb0EES1J_IbLb1EEEEDaS1F_S1G_EUlS1F_E_NS1_11comp_targetILNS1_3genE5ELNS1_11target_archE942ELNS1_3gpuE9ELNS1_3repE0EEENS1_30default_config_static_selectorELNS0_4arch9wavefront6targetE0EEEvT1_.private_seg_size, 0
	.set _ZN7rocprim17ROCPRIM_400000_NS6detail17trampoline_kernelINS0_14default_configENS1_25partition_config_selectorILNS1_17partition_subalgoE6EsNS0_10empty_typeEbEEZZNS1_14partition_implILS5_6ELb0ES3_mN6thrust23THRUST_200600_302600_NS6detail15normal_iteratorINSA_10device_ptrIsEEEEPS6_SG_NS0_5tupleIJSF_S6_EEENSH_IJSG_SG_EEES6_PlJNSB_9not_fun_tINSB_10functional5actorINSM_9compositeIJNSM_27transparent_binary_operatorINSA_8equal_toIvEEEENSN_INSM_8argumentILj0EEEEENSM_5valueIsEEEEEEEEEEEE10hipError_tPvRmT3_T4_T5_T6_T7_T9_mT8_P12ihipStream_tbDpT10_ENKUlT_T0_E_clISt17integral_constantIbLb0EES1J_IbLb1EEEEDaS1F_S1G_EUlS1F_E_NS1_11comp_targetILNS1_3genE5ELNS1_11target_archE942ELNS1_3gpuE9ELNS1_3repE0EEENS1_30default_config_static_selectorELNS0_4arch9wavefront6targetE0EEEvT1_.uses_vcc, 0
	.set _ZN7rocprim17ROCPRIM_400000_NS6detail17trampoline_kernelINS0_14default_configENS1_25partition_config_selectorILNS1_17partition_subalgoE6EsNS0_10empty_typeEbEEZZNS1_14partition_implILS5_6ELb0ES3_mN6thrust23THRUST_200600_302600_NS6detail15normal_iteratorINSA_10device_ptrIsEEEEPS6_SG_NS0_5tupleIJSF_S6_EEENSH_IJSG_SG_EEES6_PlJNSB_9not_fun_tINSB_10functional5actorINSM_9compositeIJNSM_27transparent_binary_operatorINSA_8equal_toIvEEEENSN_INSM_8argumentILj0EEEEENSM_5valueIsEEEEEEEEEEEE10hipError_tPvRmT3_T4_T5_T6_T7_T9_mT8_P12ihipStream_tbDpT10_ENKUlT_T0_E_clISt17integral_constantIbLb0EES1J_IbLb1EEEEDaS1F_S1G_EUlS1F_E_NS1_11comp_targetILNS1_3genE5ELNS1_11target_archE942ELNS1_3gpuE9ELNS1_3repE0EEENS1_30default_config_static_selectorELNS0_4arch9wavefront6targetE0EEEvT1_.uses_flat_scratch, 0
	.set _ZN7rocprim17ROCPRIM_400000_NS6detail17trampoline_kernelINS0_14default_configENS1_25partition_config_selectorILNS1_17partition_subalgoE6EsNS0_10empty_typeEbEEZZNS1_14partition_implILS5_6ELb0ES3_mN6thrust23THRUST_200600_302600_NS6detail15normal_iteratorINSA_10device_ptrIsEEEEPS6_SG_NS0_5tupleIJSF_S6_EEENSH_IJSG_SG_EEES6_PlJNSB_9not_fun_tINSB_10functional5actorINSM_9compositeIJNSM_27transparent_binary_operatorINSA_8equal_toIvEEEENSN_INSM_8argumentILj0EEEEENSM_5valueIsEEEEEEEEEEEE10hipError_tPvRmT3_T4_T5_T6_T7_T9_mT8_P12ihipStream_tbDpT10_ENKUlT_T0_E_clISt17integral_constantIbLb0EES1J_IbLb1EEEEDaS1F_S1G_EUlS1F_E_NS1_11comp_targetILNS1_3genE5ELNS1_11target_archE942ELNS1_3gpuE9ELNS1_3repE0EEENS1_30default_config_static_selectorELNS0_4arch9wavefront6targetE0EEEvT1_.has_dyn_sized_stack, 0
	.set _ZN7rocprim17ROCPRIM_400000_NS6detail17trampoline_kernelINS0_14default_configENS1_25partition_config_selectorILNS1_17partition_subalgoE6EsNS0_10empty_typeEbEEZZNS1_14partition_implILS5_6ELb0ES3_mN6thrust23THRUST_200600_302600_NS6detail15normal_iteratorINSA_10device_ptrIsEEEEPS6_SG_NS0_5tupleIJSF_S6_EEENSH_IJSG_SG_EEES6_PlJNSB_9not_fun_tINSB_10functional5actorINSM_9compositeIJNSM_27transparent_binary_operatorINSA_8equal_toIvEEEENSN_INSM_8argumentILj0EEEEENSM_5valueIsEEEEEEEEEEEE10hipError_tPvRmT3_T4_T5_T6_T7_T9_mT8_P12ihipStream_tbDpT10_ENKUlT_T0_E_clISt17integral_constantIbLb0EES1J_IbLb1EEEEDaS1F_S1G_EUlS1F_E_NS1_11comp_targetILNS1_3genE5ELNS1_11target_archE942ELNS1_3gpuE9ELNS1_3repE0EEENS1_30default_config_static_selectorELNS0_4arch9wavefront6targetE0EEEvT1_.has_recursion, 0
	.set _ZN7rocprim17ROCPRIM_400000_NS6detail17trampoline_kernelINS0_14default_configENS1_25partition_config_selectorILNS1_17partition_subalgoE6EsNS0_10empty_typeEbEEZZNS1_14partition_implILS5_6ELb0ES3_mN6thrust23THRUST_200600_302600_NS6detail15normal_iteratorINSA_10device_ptrIsEEEEPS6_SG_NS0_5tupleIJSF_S6_EEENSH_IJSG_SG_EEES6_PlJNSB_9not_fun_tINSB_10functional5actorINSM_9compositeIJNSM_27transparent_binary_operatorINSA_8equal_toIvEEEENSN_INSM_8argumentILj0EEEEENSM_5valueIsEEEEEEEEEEEE10hipError_tPvRmT3_T4_T5_T6_T7_T9_mT8_P12ihipStream_tbDpT10_ENKUlT_T0_E_clISt17integral_constantIbLb0EES1J_IbLb1EEEEDaS1F_S1G_EUlS1F_E_NS1_11comp_targetILNS1_3genE5ELNS1_11target_archE942ELNS1_3gpuE9ELNS1_3repE0EEENS1_30default_config_static_selectorELNS0_4arch9wavefront6targetE0EEEvT1_.has_indirect_call, 0
	.section	.AMDGPU.csdata,"",@progbits
; Kernel info:
; codeLenInByte = 0
; TotalNumSgprs: 0
; NumVgprs: 0
; ScratchSize: 0
; MemoryBound: 0
; FloatMode: 240
; IeeeMode: 1
; LDSByteSize: 0 bytes/workgroup (compile time only)
; SGPRBlocks: 0
; VGPRBlocks: 0
; NumSGPRsForWavesPerEU: 1
; NumVGPRsForWavesPerEU: 1
; Occupancy: 16
; WaveLimiterHint : 0
; COMPUTE_PGM_RSRC2:SCRATCH_EN: 0
; COMPUTE_PGM_RSRC2:USER_SGPR: 2
; COMPUTE_PGM_RSRC2:TRAP_HANDLER: 0
; COMPUTE_PGM_RSRC2:TGID_X_EN: 1
; COMPUTE_PGM_RSRC2:TGID_Y_EN: 0
; COMPUTE_PGM_RSRC2:TGID_Z_EN: 0
; COMPUTE_PGM_RSRC2:TIDIG_COMP_CNT: 0
	.section	.text._ZN7rocprim17ROCPRIM_400000_NS6detail17trampoline_kernelINS0_14default_configENS1_25partition_config_selectorILNS1_17partition_subalgoE6EsNS0_10empty_typeEbEEZZNS1_14partition_implILS5_6ELb0ES3_mN6thrust23THRUST_200600_302600_NS6detail15normal_iteratorINSA_10device_ptrIsEEEEPS6_SG_NS0_5tupleIJSF_S6_EEENSH_IJSG_SG_EEES6_PlJNSB_9not_fun_tINSB_10functional5actorINSM_9compositeIJNSM_27transparent_binary_operatorINSA_8equal_toIvEEEENSN_INSM_8argumentILj0EEEEENSM_5valueIsEEEEEEEEEEEE10hipError_tPvRmT3_T4_T5_T6_T7_T9_mT8_P12ihipStream_tbDpT10_ENKUlT_T0_E_clISt17integral_constantIbLb0EES1J_IbLb1EEEEDaS1F_S1G_EUlS1F_E_NS1_11comp_targetILNS1_3genE4ELNS1_11target_archE910ELNS1_3gpuE8ELNS1_3repE0EEENS1_30default_config_static_selectorELNS0_4arch9wavefront6targetE0EEEvT1_,"axG",@progbits,_ZN7rocprim17ROCPRIM_400000_NS6detail17trampoline_kernelINS0_14default_configENS1_25partition_config_selectorILNS1_17partition_subalgoE6EsNS0_10empty_typeEbEEZZNS1_14partition_implILS5_6ELb0ES3_mN6thrust23THRUST_200600_302600_NS6detail15normal_iteratorINSA_10device_ptrIsEEEEPS6_SG_NS0_5tupleIJSF_S6_EEENSH_IJSG_SG_EEES6_PlJNSB_9not_fun_tINSB_10functional5actorINSM_9compositeIJNSM_27transparent_binary_operatorINSA_8equal_toIvEEEENSN_INSM_8argumentILj0EEEEENSM_5valueIsEEEEEEEEEEEE10hipError_tPvRmT3_T4_T5_T6_T7_T9_mT8_P12ihipStream_tbDpT10_ENKUlT_T0_E_clISt17integral_constantIbLb0EES1J_IbLb1EEEEDaS1F_S1G_EUlS1F_E_NS1_11comp_targetILNS1_3genE4ELNS1_11target_archE910ELNS1_3gpuE8ELNS1_3repE0EEENS1_30default_config_static_selectorELNS0_4arch9wavefront6targetE0EEEvT1_,comdat
	.protected	_ZN7rocprim17ROCPRIM_400000_NS6detail17trampoline_kernelINS0_14default_configENS1_25partition_config_selectorILNS1_17partition_subalgoE6EsNS0_10empty_typeEbEEZZNS1_14partition_implILS5_6ELb0ES3_mN6thrust23THRUST_200600_302600_NS6detail15normal_iteratorINSA_10device_ptrIsEEEEPS6_SG_NS0_5tupleIJSF_S6_EEENSH_IJSG_SG_EEES6_PlJNSB_9not_fun_tINSB_10functional5actorINSM_9compositeIJNSM_27transparent_binary_operatorINSA_8equal_toIvEEEENSN_INSM_8argumentILj0EEEEENSM_5valueIsEEEEEEEEEEEE10hipError_tPvRmT3_T4_T5_T6_T7_T9_mT8_P12ihipStream_tbDpT10_ENKUlT_T0_E_clISt17integral_constantIbLb0EES1J_IbLb1EEEEDaS1F_S1G_EUlS1F_E_NS1_11comp_targetILNS1_3genE4ELNS1_11target_archE910ELNS1_3gpuE8ELNS1_3repE0EEENS1_30default_config_static_selectorELNS0_4arch9wavefront6targetE0EEEvT1_ ; -- Begin function _ZN7rocprim17ROCPRIM_400000_NS6detail17trampoline_kernelINS0_14default_configENS1_25partition_config_selectorILNS1_17partition_subalgoE6EsNS0_10empty_typeEbEEZZNS1_14partition_implILS5_6ELb0ES3_mN6thrust23THRUST_200600_302600_NS6detail15normal_iteratorINSA_10device_ptrIsEEEEPS6_SG_NS0_5tupleIJSF_S6_EEENSH_IJSG_SG_EEES6_PlJNSB_9not_fun_tINSB_10functional5actorINSM_9compositeIJNSM_27transparent_binary_operatorINSA_8equal_toIvEEEENSN_INSM_8argumentILj0EEEEENSM_5valueIsEEEEEEEEEEEE10hipError_tPvRmT3_T4_T5_T6_T7_T9_mT8_P12ihipStream_tbDpT10_ENKUlT_T0_E_clISt17integral_constantIbLb0EES1J_IbLb1EEEEDaS1F_S1G_EUlS1F_E_NS1_11comp_targetILNS1_3genE4ELNS1_11target_archE910ELNS1_3gpuE8ELNS1_3repE0EEENS1_30default_config_static_selectorELNS0_4arch9wavefront6targetE0EEEvT1_
	.globl	_ZN7rocprim17ROCPRIM_400000_NS6detail17trampoline_kernelINS0_14default_configENS1_25partition_config_selectorILNS1_17partition_subalgoE6EsNS0_10empty_typeEbEEZZNS1_14partition_implILS5_6ELb0ES3_mN6thrust23THRUST_200600_302600_NS6detail15normal_iteratorINSA_10device_ptrIsEEEEPS6_SG_NS0_5tupleIJSF_S6_EEENSH_IJSG_SG_EEES6_PlJNSB_9not_fun_tINSB_10functional5actorINSM_9compositeIJNSM_27transparent_binary_operatorINSA_8equal_toIvEEEENSN_INSM_8argumentILj0EEEEENSM_5valueIsEEEEEEEEEEEE10hipError_tPvRmT3_T4_T5_T6_T7_T9_mT8_P12ihipStream_tbDpT10_ENKUlT_T0_E_clISt17integral_constantIbLb0EES1J_IbLb1EEEEDaS1F_S1G_EUlS1F_E_NS1_11comp_targetILNS1_3genE4ELNS1_11target_archE910ELNS1_3gpuE8ELNS1_3repE0EEENS1_30default_config_static_selectorELNS0_4arch9wavefront6targetE0EEEvT1_
	.p2align	8
	.type	_ZN7rocprim17ROCPRIM_400000_NS6detail17trampoline_kernelINS0_14default_configENS1_25partition_config_selectorILNS1_17partition_subalgoE6EsNS0_10empty_typeEbEEZZNS1_14partition_implILS5_6ELb0ES3_mN6thrust23THRUST_200600_302600_NS6detail15normal_iteratorINSA_10device_ptrIsEEEEPS6_SG_NS0_5tupleIJSF_S6_EEENSH_IJSG_SG_EEES6_PlJNSB_9not_fun_tINSB_10functional5actorINSM_9compositeIJNSM_27transparent_binary_operatorINSA_8equal_toIvEEEENSN_INSM_8argumentILj0EEEEENSM_5valueIsEEEEEEEEEEEE10hipError_tPvRmT3_T4_T5_T6_T7_T9_mT8_P12ihipStream_tbDpT10_ENKUlT_T0_E_clISt17integral_constantIbLb0EES1J_IbLb1EEEEDaS1F_S1G_EUlS1F_E_NS1_11comp_targetILNS1_3genE4ELNS1_11target_archE910ELNS1_3gpuE8ELNS1_3repE0EEENS1_30default_config_static_selectorELNS0_4arch9wavefront6targetE0EEEvT1_,@function
_ZN7rocprim17ROCPRIM_400000_NS6detail17trampoline_kernelINS0_14default_configENS1_25partition_config_selectorILNS1_17partition_subalgoE6EsNS0_10empty_typeEbEEZZNS1_14partition_implILS5_6ELb0ES3_mN6thrust23THRUST_200600_302600_NS6detail15normal_iteratorINSA_10device_ptrIsEEEEPS6_SG_NS0_5tupleIJSF_S6_EEENSH_IJSG_SG_EEES6_PlJNSB_9not_fun_tINSB_10functional5actorINSM_9compositeIJNSM_27transparent_binary_operatorINSA_8equal_toIvEEEENSN_INSM_8argumentILj0EEEEENSM_5valueIsEEEEEEEEEEEE10hipError_tPvRmT3_T4_T5_T6_T7_T9_mT8_P12ihipStream_tbDpT10_ENKUlT_T0_E_clISt17integral_constantIbLb0EES1J_IbLb1EEEEDaS1F_S1G_EUlS1F_E_NS1_11comp_targetILNS1_3genE4ELNS1_11target_archE910ELNS1_3gpuE8ELNS1_3repE0EEENS1_30default_config_static_selectorELNS0_4arch9wavefront6targetE0EEEvT1_: ; @_ZN7rocprim17ROCPRIM_400000_NS6detail17trampoline_kernelINS0_14default_configENS1_25partition_config_selectorILNS1_17partition_subalgoE6EsNS0_10empty_typeEbEEZZNS1_14partition_implILS5_6ELb0ES3_mN6thrust23THRUST_200600_302600_NS6detail15normal_iteratorINSA_10device_ptrIsEEEEPS6_SG_NS0_5tupleIJSF_S6_EEENSH_IJSG_SG_EEES6_PlJNSB_9not_fun_tINSB_10functional5actorINSM_9compositeIJNSM_27transparent_binary_operatorINSA_8equal_toIvEEEENSN_INSM_8argumentILj0EEEEENSM_5valueIsEEEEEEEEEEEE10hipError_tPvRmT3_T4_T5_T6_T7_T9_mT8_P12ihipStream_tbDpT10_ENKUlT_T0_E_clISt17integral_constantIbLb0EES1J_IbLb1EEEEDaS1F_S1G_EUlS1F_E_NS1_11comp_targetILNS1_3genE4ELNS1_11target_archE910ELNS1_3gpuE8ELNS1_3repE0EEENS1_30default_config_static_selectorELNS0_4arch9wavefront6targetE0EEEvT1_
; %bb.0:
	.section	.rodata,"a",@progbits
	.p2align	6, 0x0
	.amdhsa_kernel _ZN7rocprim17ROCPRIM_400000_NS6detail17trampoline_kernelINS0_14default_configENS1_25partition_config_selectorILNS1_17partition_subalgoE6EsNS0_10empty_typeEbEEZZNS1_14partition_implILS5_6ELb0ES3_mN6thrust23THRUST_200600_302600_NS6detail15normal_iteratorINSA_10device_ptrIsEEEEPS6_SG_NS0_5tupleIJSF_S6_EEENSH_IJSG_SG_EEES6_PlJNSB_9not_fun_tINSB_10functional5actorINSM_9compositeIJNSM_27transparent_binary_operatorINSA_8equal_toIvEEEENSN_INSM_8argumentILj0EEEEENSM_5valueIsEEEEEEEEEEEE10hipError_tPvRmT3_T4_T5_T6_T7_T9_mT8_P12ihipStream_tbDpT10_ENKUlT_T0_E_clISt17integral_constantIbLb0EES1J_IbLb1EEEEDaS1F_S1G_EUlS1F_E_NS1_11comp_targetILNS1_3genE4ELNS1_11target_archE910ELNS1_3gpuE8ELNS1_3repE0EEENS1_30default_config_static_selectorELNS0_4arch9wavefront6targetE0EEEvT1_
		.amdhsa_group_segment_fixed_size 0
		.amdhsa_private_segment_fixed_size 0
		.amdhsa_kernarg_size 128
		.amdhsa_user_sgpr_count 2
		.amdhsa_user_sgpr_dispatch_ptr 0
		.amdhsa_user_sgpr_queue_ptr 0
		.amdhsa_user_sgpr_kernarg_segment_ptr 1
		.amdhsa_user_sgpr_dispatch_id 0
		.amdhsa_user_sgpr_private_segment_size 0
		.amdhsa_wavefront_size32 1
		.amdhsa_uses_dynamic_stack 0
		.amdhsa_enable_private_segment 0
		.amdhsa_system_sgpr_workgroup_id_x 1
		.amdhsa_system_sgpr_workgroup_id_y 0
		.amdhsa_system_sgpr_workgroup_id_z 0
		.amdhsa_system_sgpr_workgroup_info 0
		.amdhsa_system_vgpr_workitem_id 0
		.amdhsa_next_free_vgpr 1
		.amdhsa_next_free_sgpr 1
		.amdhsa_reserve_vcc 0
		.amdhsa_float_round_mode_32 0
		.amdhsa_float_round_mode_16_64 0
		.amdhsa_float_denorm_mode_32 3
		.amdhsa_float_denorm_mode_16_64 3
		.amdhsa_fp16_overflow 0
		.amdhsa_workgroup_processor_mode 1
		.amdhsa_memory_ordered 1
		.amdhsa_forward_progress 1
		.amdhsa_inst_pref_size 0
		.amdhsa_round_robin_scheduling 0
		.amdhsa_exception_fp_ieee_invalid_op 0
		.amdhsa_exception_fp_denorm_src 0
		.amdhsa_exception_fp_ieee_div_zero 0
		.amdhsa_exception_fp_ieee_overflow 0
		.amdhsa_exception_fp_ieee_underflow 0
		.amdhsa_exception_fp_ieee_inexact 0
		.amdhsa_exception_int_div_zero 0
	.end_amdhsa_kernel
	.section	.text._ZN7rocprim17ROCPRIM_400000_NS6detail17trampoline_kernelINS0_14default_configENS1_25partition_config_selectorILNS1_17partition_subalgoE6EsNS0_10empty_typeEbEEZZNS1_14partition_implILS5_6ELb0ES3_mN6thrust23THRUST_200600_302600_NS6detail15normal_iteratorINSA_10device_ptrIsEEEEPS6_SG_NS0_5tupleIJSF_S6_EEENSH_IJSG_SG_EEES6_PlJNSB_9not_fun_tINSB_10functional5actorINSM_9compositeIJNSM_27transparent_binary_operatorINSA_8equal_toIvEEEENSN_INSM_8argumentILj0EEEEENSM_5valueIsEEEEEEEEEEEE10hipError_tPvRmT3_T4_T5_T6_T7_T9_mT8_P12ihipStream_tbDpT10_ENKUlT_T0_E_clISt17integral_constantIbLb0EES1J_IbLb1EEEEDaS1F_S1G_EUlS1F_E_NS1_11comp_targetILNS1_3genE4ELNS1_11target_archE910ELNS1_3gpuE8ELNS1_3repE0EEENS1_30default_config_static_selectorELNS0_4arch9wavefront6targetE0EEEvT1_,"axG",@progbits,_ZN7rocprim17ROCPRIM_400000_NS6detail17trampoline_kernelINS0_14default_configENS1_25partition_config_selectorILNS1_17partition_subalgoE6EsNS0_10empty_typeEbEEZZNS1_14partition_implILS5_6ELb0ES3_mN6thrust23THRUST_200600_302600_NS6detail15normal_iteratorINSA_10device_ptrIsEEEEPS6_SG_NS0_5tupleIJSF_S6_EEENSH_IJSG_SG_EEES6_PlJNSB_9not_fun_tINSB_10functional5actorINSM_9compositeIJNSM_27transparent_binary_operatorINSA_8equal_toIvEEEENSN_INSM_8argumentILj0EEEEENSM_5valueIsEEEEEEEEEEEE10hipError_tPvRmT3_T4_T5_T6_T7_T9_mT8_P12ihipStream_tbDpT10_ENKUlT_T0_E_clISt17integral_constantIbLb0EES1J_IbLb1EEEEDaS1F_S1G_EUlS1F_E_NS1_11comp_targetILNS1_3genE4ELNS1_11target_archE910ELNS1_3gpuE8ELNS1_3repE0EEENS1_30default_config_static_selectorELNS0_4arch9wavefront6targetE0EEEvT1_,comdat
.Lfunc_end270:
	.size	_ZN7rocprim17ROCPRIM_400000_NS6detail17trampoline_kernelINS0_14default_configENS1_25partition_config_selectorILNS1_17partition_subalgoE6EsNS0_10empty_typeEbEEZZNS1_14partition_implILS5_6ELb0ES3_mN6thrust23THRUST_200600_302600_NS6detail15normal_iteratorINSA_10device_ptrIsEEEEPS6_SG_NS0_5tupleIJSF_S6_EEENSH_IJSG_SG_EEES6_PlJNSB_9not_fun_tINSB_10functional5actorINSM_9compositeIJNSM_27transparent_binary_operatorINSA_8equal_toIvEEEENSN_INSM_8argumentILj0EEEEENSM_5valueIsEEEEEEEEEEEE10hipError_tPvRmT3_T4_T5_T6_T7_T9_mT8_P12ihipStream_tbDpT10_ENKUlT_T0_E_clISt17integral_constantIbLb0EES1J_IbLb1EEEEDaS1F_S1G_EUlS1F_E_NS1_11comp_targetILNS1_3genE4ELNS1_11target_archE910ELNS1_3gpuE8ELNS1_3repE0EEENS1_30default_config_static_selectorELNS0_4arch9wavefront6targetE0EEEvT1_, .Lfunc_end270-_ZN7rocprim17ROCPRIM_400000_NS6detail17trampoline_kernelINS0_14default_configENS1_25partition_config_selectorILNS1_17partition_subalgoE6EsNS0_10empty_typeEbEEZZNS1_14partition_implILS5_6ELb0ES3_mN6thrust23THRUST_200600_302600_NS6detail15normal_iteratorINSA_10device_ptrIsEEEEPS6_SG_NS0_5tupleIJSF_S6_EEENSH_IJSG_SG_EEES6_PlJNSB_9not_fun_tINSB_10functional5actorINSM_9compositeIJNSM_27transparent_binary_operatorINSA_8equal_toIvEEEENSN_INSM_8argumentILj0EEEEENSM_5valueIsEEEEEEEEEEEE10hipError_tPvRmT3_T4_T5_T6_T7_T9_mT8_P12ihipStream_tbDpT10_ENKUlT_T0_E_clISt17integral_constantIbLb0EES1J_IbLb1EEEEDaS1F_S1G_EUlS1F_E_NS1_11comp_targetILNS1_3genE4ELNS1_11target_archE910ELNS1_3gpuE8ELNS1_3repE0EEENS1_30default_config_static_selectorELNS0_4arch9wavefront6targetE0EEEvT1_
                                        ; -- End function
	.set _ZN7rocprim17ROCPRIM_400000_NS6detail17trampoline_kernelINS0_14default_configENS1_25partition_config_selectorILNS1_17partition_subalgoE6EsNS0_10empty_typeEbEEZZNS1_14partition_implILS5_6ELb0ES3_mN6thrust23THRUST_200600_302600_NS6detail15normal_iteratorINSA_10device_ptrIsEEEEPS6_SG_NS0_5tupleIJSF_S6_EEENSH_IJSG_SG_EEES6_PlJNSB_9not_fun_tINSB_10functional5actorINSM_9compositeIJNSM_27transparent_binary_operatorINSA_8equal_toIvEEEENSN_INSM_8argumentILj0EEEEENSM_5valueIsEEEEEEEEEEEE10hipError_tPvRmT3_T4_T5_T6_T7_T9_mT8_P12ihipStream_tbDpT10_ENKUlT_T0_E_clISt17integral_constantIbLb0EES1J_IbLb1EEEEDaS1F_S1G_EUlS1F_E_NS1_11comp_targetILNS1_3genE4ELNS1_11target_archE910ELNS1_3gpuE8ELNS1_3repE0EEENS1_30default_config_static_selectorELNS0_4arch9wavefront6targetE0EEEvT1_.num_vgpr, 0
	.set _ZN7rocprim17ROCPRIM_400000_NS6detail17trampoline_kernelINS0_14default_configENS1_25partition_config_selectorILNS1_17partition_subalgoE6EsNS0_10empty_typeEbEEZZNS1_14partition_implILS5_6ELb0ES3_mN6thrust23THRUST_200600_302600_NS6detail15normal_iteratorINSA_10device_ptrIsEEEEPS6_SG_NS0_5tupleIJSF_S6_EEENSH_IJSG_SG_EEES6_PlJNSB_9not_fun_tINSB_10functional5actorINSM_9compositeIJNSM_27transparent_binary_operatorINSA_8equal_toIvEEEENSN_INSM_8argumentILj0EEEEENSM_5valueIsEEEEEEEEEEEE10hipError_tPvRmT3_T4_T5_T6_T7_T9_mT8_P12ihipStream_tbDpT10_ENKUlT_T0_E_clISt17integral_constantIbLb0EES1J_IbLb1EEEEDaS1F_S1G_EUlS1F_E_NS1_11comp_targetILNS1_3genE4ELNS1_11target_archE910ELNS1_3gpuE8ELNS1_3repE0EEENS1_30default_config_static_selectorELNS0_4arch9wavefront6targetE0EEEvT1_.num_agpr, 0
	.set _ZN7rocprim17ROCPRIM_400000_NS6detail17trampoline_kernelINS0_14default_configENS1_25partition_config_selectorILNS1_17partition_subalgoE6EsNS0_10empty_typeEbEEZZNS1_14partition_implILS5_6ELb0ES3_mN6thrust23THRUST_200600_302600_NS6detail15normal_iteratorINSA_10device_ptrIsEEEEPS6_SG_NS0_5tupleIJSF_S6_EEENSH_IJSG_SG_EEES6_PlJNSB_9not_fun_tINSB_10functional5actorINSM_9compositeIJNSM_27transparent_binary_operatorINSA_8equal_toIvEEEENSN_INSM_8argumentILj0EEEEENSM_5valueIsEEEEEEEEEEEE10hipError_tPvRmT3_T4_T5_T6_T7_T9_mT8_P12ihipStream_tbDpT10_ENKUlT_T0_E_clISt17integral_constantIbLb0EES1J_IbLb1EEEEDaS1F_S1G_EUlS1F_E_NS1_11comp_targetILNS1_3genE4ELNS1_11target_archE910ELNS1_3gpuE8ELNS1_3repE0EEENS1_30default_config_static_selectorELNS0_4arch9wavefront6targetE0EEEvT1_.numbered_sgpr, 0
	.set _ZN7rocprim17ROCPRIM_400000_NS6detail17trampoline_kernelINS0_14default_configENS1_25partition_config_selectorILNS1_17partition_subalgoE6EsNS0_10empty_typeEbEEZZNS1_14partition_implILS5_6ELb0ES3_mN6thrust23THRUST_200600_302600_NS6detail15normal_iteratorINSA_10device_ptrIsEEEEPS6_SG_NS0_5tupleIJSF_S6_EEENSH_IJSG_SG_EEES6_PlJNSB_9not_fun_tINSB_10functional5actorINSM_9compositeIJNSM_27transparent_binary_operatorINSA_8equal_toIvEEEENSN_INSM_8argumentILj0EEEEENSM_5valueIsEEEEEEEEEEEE10hipError_tPvRmT3_T4_T5_T6_T7_T9_mT8_P12ihipStream_tbDpT10_ENKUlT_T0_E_clISt17integral_constantIbLb0EES1J_IbLb1EEEEDaS1F_S1G_EUlS1F_E_NS1_11comp_targetILNS1_3genE4ELNS1_11target_archE910ELNS1_3gpuE8ELNS1_3repE0EEENS1_30default_config_static_selectorELNS0_4arch9wavefront6targetE0EEEvT1_.num_named_barrier, 0
	.set _ZN7rocprim17ROCPRIM_400000_NS6detail17trampoline_kernelINS0_14default_configENS1_25partition_config_selectorILNS1_17partition_subalgoE6EsNS0_10empty_typeEbEEZZNS1_14partition_implILS5_6ELb0ES3_mN6thrust23THRUST_200600_302600_NS6detail15normal_iteratorINSA_10device_ptrIsEEEEPS6_SG_NS0_5tupleIJSF_S6_EEENSH_IJSG_SG_EEES6_PlJNSB_9not_fun_tINSB_10functional5actorINSM_9compositeIJNSM_27transparent_binary_operatorINSA_8equal_toIvEEEENSN_INSM_8argumentILj0EEEEENSM_5valueIsEEEEEEEEEEEE10hipError_tPvRmT3_T4_T5_T6_T7_T9_mT8_P12ihipStream_tbDpT10_ENKUlT_T0_E_clISt17integral_constantIbLb0EES1J_IbLb1EEEEDaS1F_S1G_EUlS1F_E_NS1_11comp_targetILNS1_3genE4ELNS1_11target_archE910ELNS1_3gpuE8ELNS1_3repE0EEENS1_30default_config_static_selectorELNS0_4arch9wavefront6targetE0EEEvT1_.private_seg_size, 0
	.set _ZN7rocprim17ROCPRIM_400000_NS6detail17trampoline_kernelINS0_14default_configENS1_25partition_config_selectorILNS1_17partition_subalgoE6EsNS0_10empty_typeEbEEZZNS1_14partition_implILS5_6ELb0ES3_mN6thrust23THRUST_200600_302600_NS6detail15normal_iteratorINSA_10device_ptrIsEEEEPS6_SG_NS0_5tupleIJSF_S6_EEENSH_IJSG_SG_EEES6_PlJNSB_9not_fun_tINSB_10functional5actorINSM_9compositeIJNSM_27transparent_binary_operatorINSA_8equal_toIvEEEENSN_INSM_8argumentILj0EEEEENSM_5valueIsEEEEEEEEEEEE10hipError_tPvRmT3_T4_T5_T6_T7_T9_mT8_P12ihipStream_tbDpT10_ENKUlT_T0_E_clISt17integral_constantIbLb0EES1J_IbLb1EEEEDaS1F_S1G_EUlS1F_E_NS1_11comp_targetILNS1_3genE4ELNS1_11target_archE910ELNS1_3gpuE8ELNS1_3repE0EEENS1_30default_config_static_selectorELNS0_4arch9wavefront6targetE0EEEvT1_.uses_vcc, 0
	.set _ZN7rocprim17ROCPRIM_400000_NS6detail17trampoline_kernelINS0_14default_configENS1_25partition_config_selectorILNS1_17partition_subalgoE6EsNS0_10empty_typeEbEEZZNS1_14partition_implILS5_6ELb0ES3_mN6thrust23THRUST_200600_302600_NS6detail15normal_iteratorINSA_10device_ptrIsEEEEPS6_SG_NS0_5tupleIJSF_S6_EEENSH_IJSG_SG_EEES6_PlJNSB_9not_fun_tINSB_10functional5actorINSM_9compositeIJNSM_27transparent_binary_operatorINSA_8equal_toIvEEEENSN_INSM_8argumentILj0EEEEENSM_5valueIsEEEEEEEEEEEE10hipError_tPvRmT3_T4_T5_T6_T7_T9_mT8_P12ihipStream_tbDpT10_ENKUlT_T0_E_clISt17integral_constantIbLb0EES1J_IbLb1EEEEDaS1F_S1G_EUlS1F_E_NS1_11comp_targetILNS1_3genE4ELNS1_11target_archE910ELNS1_3gpuE8ELNS1_3repE0EEENS1_30default_config_static_selectorELNS0_4arch9wavefront6targetE0EEEvT1_.uses_flat_scratch, 0
	.set _ZN7rocprim17ROCPRIM_400000_NS6detail17trampoline_kernelINS0_14default_configENS1_25partition_config_selectorILNS1_17partition_subalgoE6EsNS0_10empty_typeEbEEZZNS1_14partition_implILS5_6ELb0ES3_mN6thrust23THRUST_200600_302600_NS6detail15normal_iteratorINSA_10device_ptrIsEEEEPS6_SG_NS0_5tupleIJSF_S6_EEENSH_IJSG_SG_EEES6_PlJNSB_9not_fun_tINSB_10functional5actorINSM_9compositeIJNSM_27transparent_binary_operatorINSA_8equal_toIvEEEENSN_INSM_8argumentILj0EEEEENSM_5valueIsEEEEEEEEEEEE10hipError_tPvRmT3_T4_T5_T6_T7_T9_mT8_P12ihipStream_tbDpT10_ENKUlT_T0_E_clISt17integral_constantIbLb0EES1J_IbLb1EEEEDaS1F_S1G_EUlS1F_E_NS1_11comp_targetILNS1_3genE4ELNS1_11target_archE910ELNS1_3gpuE8ELNS1_3repE0EEENS1_30default_config_static_selectorELNS0_4arch9wavefront6targetE0EEEvT1_.has_dyn_sized_stack, 0
	.set _ZN7rocprim17ROCPRIM_400000_NS6detail17trampoline_kernelINS0_14default_configENS1_25partition_config_selectorILNS1_17partition_subalgoE6EsNS0_10empty_typeEbEEZZNS1_14partition_implILS5_6ELb0ES3_mN6thrust23THRUST_200600_302600_NS6detail15normal_iteratorINSA_10device_ptrIsEEEEPS6_SG_NS0_5tupleIJSF_S6_EEENSH_IJSG_SG_EEES6_PlJNSB_9not_fun_tINSB_10functional5actorINSM_9compositeIJNSM_27transparent_binary_operatorINSA_8equal_toIvEEEENSN_INSM_8argumentILj0EEEEENSM_5valueIsEEEEEEEEEEEE10hipError_tPvRmT3_T4_T5_T6_T7_T9_mT8_P12ihipStream_tbDpT10_ENKUlT_T0_E_clISt17integral_constantIbLb0EES1J_IbLb1EEEEDaS1F_S1G_EUlS1F_E_NS1_11comp_targetILNS1_3genE4ELNS1_11target_archE910ELNS1_3gpuE8ELNS1_3repE0EEENS1_30default_config_static_selectorELNS0_4arch9wavefront6targetE0EEEvT1_.has_recursion, 0
	.set _ZN7rocprim17ROCPRIM_400000_NS6detail17trampoline_kernelINS0_14default_configENS1_25partition_config_selectorILNS1_17partition_subalgoE6EsNS0_10empty_typeEbEEZZNS1_14partition_implILS5_6ELb0ES3_mN6thrust23THRUST_200600_302600_NS6detail15normal_iteratorINSA_10device_ptrIsEEEEPS6_SG_NS0_5tupleIJSF_S6_EEENSH_IJSG_SG_EEES6_PlJNSB_9not_fun_tINSB_10functional5actorINSM_9compositeIJNSM_27transparent_binary_operatorINSA_8equal_toIvEEEENSN_INSM_8argumentILj0EEEEENSM_5valueIsEEEEEEEEEEEE10hipError_tPvRmT3_T4_T5_T6_T7_T9_mT8_P12ihipStream_tbDpT10_ENKUlT_T0_E_clISt17integral_constantIbLb0EES1J_IbLb1EEEEDaS1F_S1G_EUlS1F_E_NS1_11comp_targetILNS1_3genE4ELNS1_11target_archE910ELNS1_3gpuE8ELNS1_3repE0EEENS1_30default_config_static_selectorELNS0_4arch9wavefront6targetE0EEEvT1_.has_indirect_call, 0
	.section	.AMDGPU.csdata,"",@progbits
; Kernel info:
; codeLenInByte = 0
; TotalNumSgprs: 0
; NumVgprs: 0
; ScratchSize: 0
; MemoryBound: 0
; FloatMode: 240
; IeeeMode: 1
; LDSByteSize: 0 bytes/workgroup (compile time only)
; SGPRBlocks: 0
; VGPRBlocks: 0
; NumSGPRsForWavesPerEU: 1
; NumVGPRsForWavesPerEU: 1
; Occupancy: 16
; WaveLimiterHint : 0
; COMPUTE_PGM_RSRC2:SCRATCH_EN: 0
; COMPUTE_PGM_RSRC2:USER_SGPR: 2
; COMPUTE_PGM_RSRC2:TRAP_HANDLER: 0
; COMPUTE_PGM_RSRC2:TGID_X_EN: 1
; COMPUTE_PGM_RSRC2:TGID_Y_EN: 0
; COMPUTE_PGM_RSRC2:TGID_Z_EN: 0
; COMPUTE_PGM_RSRC2:TIDIG_COMP_CNT: 0
	.section	.text._ZN7rocprim17ROCPRIM_400000_NS6detail17trampoline_kernelINS0_14default_configENS1_25partition_config_selectorILNS1_17partition_subalgoE6EsNS0_10empty_typeEbEEZZNS1_14partition_implILS5_6ELb0ES3_mN6thrust23THRUST_200600_302600_NS6detail15normal_iteratorINSA_10device_ptrIsEEEEPS6_SG_NS0_5tupleIJSF_S6_EEENSH_IJSG_SG_EEES6_PlJNSB_9not_fun_tINSB_10functional5actorINSM_9compositeIJNSM_27transparent_binary_operatorINSA_8equal_toIvEEEENSN_INSM_8argumentILj0EEEEENSM_5valueIsEEEEEEEEEEEE10hipError_tPvRmT3_T4_T5_T6_T7_T9_mT8_P12ihipStream_tbDpT10_ENKUlT_T0_E_clISt17integral_constantIbLb0EES1J_IbLb1EEEEDaS1F_S1G_EUlS1F_E_NS1_11comp_targetILNS1_3genE3ELNS1_11target_archE908ELNS1_3gpuE7ELNS1_3repE0EEENS1_30default_config_static_selectorELNS0_4arch9wavefront6targetE0EEEvT1_,"axG",@progbits,_ZN7rocprim17ROCPRIM_400000_NS6detail17trampoline_kernelINS0_14default_configENS1_25partition_config_selectorILNS1_17partition_subalgoE6EsNS0_10empty_typeEbEEZZNS1_14partition_implILS5_6ELb0ES3_mN6thrust23THRUST_200600_302600_NS6detail15normal_iteratorINSA_10device_ptrIsEEEEPS6_SG_NS0_5tupleIJSF_S6_EEENSH_IJSG_SG_EEES6_PlJNSB_9not_fun_tINSB_10functional5actorINSM_9compositeIJNSM_27transparent_binary_operatorINSA_8equal_toIvEEEENSN_INSM_8argumentILj0EEEEENSM_5valueIsEEEEEEEEEEEE10hipError_tPvRmT3_T4_T5_T6_T7_T9_mT8_P12ihipStream_tbDpT10_ENKUlT_T0_E_clISt17integral_constantIbLb0EES1J_IbLb1EEEEDaS1F_S1G_EUlS1F_E_NS1_11comp_targetILNS1_3genE3ELNS1_11target_archE908ELNS1_3gpuE7ELNS1_3repE0EEENS1_30default_config_static_selectorELNS0_4arch9wavefront6targetE0EEEvT1_,comdat
	.protected	_ZN7rocprim17ROCPRIM_400000_NS6detail17trampoline_kernelINS0_14default_configENS1_25partition_config_selectorILNS1_17partition_subalgoE6EsNS0_10empty_typeEbEEZZNS1_14partition_implILS5_6ELb0ES3_mN6thrust23THRUST_200600_302600_NS6detail15normal_iteratorINSA_10device_ptrIsEEEEPS6_SG_NS0_5tupleIJSF_S6_EEENSH_IJSG_SG_EEES6_PlJNSB_9not_fun_tINSB_10functional5actorINSM_9compositeIJNSM_27transparent_binary_operatorINSA_8equal_toIvEEEENSN_INSM_8argumentILj0EEEEENSM_5valueIsEEEEEEEEEEEE10hipError_tPvRmT3_T4_T5_T6_T7_T9_mT8_P12ihipStream_tbDpT10_ENKUlT_T0_E_clISt17integral_constantIbLb0EES1J_IbLb1EEEEDaS1F_S1G_EUlS1F_E_NS1_11comp_targetILNS1_3genE3ELNS1_11target_archE908ELNS1_3gpuE7ELNS1_3repE0EEENS1_30default_config_static_selectorELNS0_4arch9wavefront6targetE0EEEvT1_ ; -- Begin function _ZN7rocprim17ROCPRIM_400000_NS6detail17trampoline_kernelINS0_14default_configENS1_25partition_config_selectorILNS1_17partition_subalgoE6EsNS0_10empty_typeEbEEZZNS1_14partition_implILS5_6ELb0ES3_mN6thrust23THRUST_200600_302600_NS6detail15normal_iteratorINSA_10device_ptrIsEEEEPS6_SG_NS0_5tupleIJSF_S6_EEENSH_IJSG_SG_EEES6_PlJNSB_9not_fun_tINSB_10functional5actorINSM_9compositeIJNSM_27transparent_binary_operatorINSA_8equal_toIvEEEENSN_INSM_8argumentILj0EEEEENSM_5valueIsEEEEEEEEEEEE10hipError_tPvRmT3_T4_T5_T6_T7_T9_mT8_P12ihipStream_tbDpT10_ENKUlT_T0_E_clISt17integral_constantIbLb0EES1J_IbLb1EEEEDaS1F_S1G_EUlS1F_E_NS1_11comp_targetILNS1_3genE3ELNS1_11target_archE908ELNS1_3gpuE7ELNS1_3repE0EEENS1_30default_config_static_selectorELNS0_4arch9wavefront6targetE0EEEvT1_
	.globl	_ZN7rocprim17ROCPRIM_400000_NS6detail17trampoline_kernelINS0_14default_configENS1_25partition_config_selectorILNS1_17partition_subalgoE6EsNS0_10empty_typeEbEEZZNS1_14partition_implILS5_6ELb0ES3_mN6thrust23THRUST_200600_302600_NS6detail15normal_iteratorINSA_10device_ptrIsEEEEPS6_SG_NS0_5tupleIJSF_S6_EEENSH_IJSG_SG_EEES6_PlJNSB_9not_fun_tINSB_10functional5actorINSM_9compositeIJNSM_27transparent_binary_operatorINSA_8equal_toIvEEEENSN_INSM_8argumentILj0EEEEENSM_5valueIsEEEEEEEEEEEE10hipError_tPvRmT3_T4_T5_T6_T7_T9_mT8_P12ihipStream_tbDpT10_ENKUlT_T0_E_clISt17integral_constantIbLb0EES1J_IbLb1EEEEDaS1F_S1G_EUlS1F_E_NS1_11comp_targetILNS1_3genE3ELNS1_11target_archE908ELNS1_3gpuE7ELNS1_3repE0EEENS1_30default_config_static_selectorELNS0_4arch9wavefront6targetE0EEEvT1_
	.p2align	8
	.type	_ZN7rocprim17ROCPRIM_400000_NS6detail17trampoline_kernelINS0_14default_configENS1_25partition_config_selectorILNS1_17partition_subalgoE6EsNS0_10empty_typeEbEEZZNS1_14partition_implILS5_6ELb0ES3_mN6thrust23THRUST_200600_302600_NS6detail15normal_iteratorINSA_10device_ptrIsEEEEPS6_SG_NS0_5tupleIJSF_S6_EEENSH_IJSG_SG_EEES6_PlJNSB_9not_fun_tINSB_10functional5actorINSM_9compositeIJNSM_27transparent_binary_operatorINSA_8equal_toIvEEEENSN_INSM_8argumentILj0EEEEENSM_5valueIsEEEEEEEEEEEE10hipError_tPvRmT3_T4_T5_T6_T7_T9_mT8_P12ihipStream_tbDpT10_ENKUlT_T0_E_clISt17integral_constantIbLb0EES1J_IbLb1EEEEDaS1F_S1G_EUlS1F_E_NS1_11comp_targetILNS1_3genE3ELNS1_11target_archE908ELNS1_3gpuE7ELNS1_3repE0EEENS1_30default_config_static_selectorELNS0_4arch9wavefront6targetE0EEEvT1_,@function
_ZN7rocprim17ROCPRIM_400000_NS6detail17trampoline_kernelINS0_14default_configENS1_25partition_config_selectorILNS1_17partition_subalgoE6EsNS0_10empty_typeEbEEZZNS1_14partition_implILS5_6ELb0ES3_mN6thrust23THRUST_200600_302600_NS6detail15normal_iteratorINSA_10device_ptrIsEEEEPS6_SG_NS0_5tupleIJSF_S6_EEENSH_IJSG_SG_EEES6_PlJNSB_9not_fun_tINSB_10functional5actorINSM_9compositeIJNSM_27transparent_binary_operatorINSA_8equal_toIvEEEENSN_INSM_8argumentILj0EEEEENSM_5valueIsEEEEEEEEEEEE10hipError_tPvRmT3_T4_T5_T6_T7_T9_mT8_P12ihipStream_tbDpT10_ENKUlT_T0_E_clISt17integral_constantIbLb0EES1J_IbLb1EEEEDaS1F_S1G_EUlS1F_E_NS1_11comp_targetILNS1_3genE3ELNS1_11target_archE908ELNS1_3gpuE7ELNS1_3repE0EEENS1_30default_config_static_selectorELNS0_4arch9wavefront6targetE0EEEvT1_: ; @_ZN7rocprim17ROCPRIM_400000_NS6detail17trampoline_kernelINS0_14default_configENS1_25partition_config_selectorILNS1_17partition_subalgoE6EsNS0_10empty_typeEbEEZZNS1_14partition_implILS5_6ELb0ES3_mN6thrust23THRUST_200600_302600_NS6detail15normal_iteratorINSA_10device_ptrIsEEEEPS6_SG_NS0_5tupleIJSF_S6_EEENSH_IJSG_SG_EEES6_PlJNSB_9not_fun_tINSB_10functional5actorINSM_9compositeIJNSM_27transparent_binary_operatorINSA_8equal_toIvEEEENSN_INSM_8argumentILj0EEEEENSM_5valueIsEEEEEEEEEEEE10hipError_tPvRmT3_T4_T5_T6_T7_T9_mT8_P12ihipStream_tbDpT10_ENKUlT_T0_E_clISt17integral_constantIbLb0EES1J_IbLb1EEEEDaS1F_S1G_EUlS1F_E_NS1_11comp_targetILNS1_3genE3ELNS1_11target_archE908ELNS1_3gpuE7ELNS1_3repE0EEENS1_30default_config_static_selectorELNS0_4arch9wavefront6targetE0EEEvT1_
; %bb.0:
	.section	.rodata,"a",@progbits
	.p2align	6, 0x0
	.amdhsa_kernel _ZN7rocprim17ROCPRIM_400000_NS6detail17trampoline_kernelINS0_14default_configENS1_25partition_config_selectorILNS1_17partition_subalgoE6EsNS0_10empty_typeEbEEZZNS1_14partition_implILS5_6ELb0ES3_mN6thrust23THRUST_200600_302600_NS6detail15normal_iteratorINSA_10device_ptrIsEEEEPS6_SG_NS0_5tupleIJSF_S6_EEENSH_IJSG_SG_EEES6_PlJNSB_9not_fun_tINSB_10functional5actorINSM_9compositeIJNSM_27transparent_binary_operatorINSA_8equal_toIvEEEENSN_INSM_8argumentILj0EEEEENSM_5valueIsEEEEEEEEEEEE10hipError_tPvRmT3_T4_T5_T6_T7_T9_mT8_P12ihipStream_tbDpT10_ENKUlT_T0_E_clISt17integral_constantIbLb0EES1J_IbLb1EEEEDaS1F_S1G_EUlS1F_E_NS1_11comp_targetILNS1_3genE3ELNS1_11target_archE908ELNS1_3gpuE7ELNS1_3repE0EEENS1_30default_config_static_selectorELNS0_4arch9wavefront6targetE0EEEvT1_
		.amdhsa_group_segment_fixed_size 0
		.amdhsa_private_segment_fixed_size 0
		.amdhsa_kernarg_size 128
		.amdhsa_user_sgpr_count 2
		.amdhsa_user_sgpr_dispatch_ptr 0
		.amdhsa_user_sgpr_queue_ptr 0
		.amdhsa_user_sgpr_kernarg_segment_ptr 1
		.amdhsa_user_sgpr_dispatch_id 0
		.amdhsa_user_sgpr_private_segment_size 0
		.amdhsa_wavefront_size32 1
		.amdhsa_uses_dynamic_stack 0
		.amdhsa_enable_private_segment 0
		.amdhsa_system_sgpr_workgroup_id_x 1
		.amdhsa_system_sgpr_workgroup_id_y 0
		.amdhsa_system_sgpr_workgroup_id_z 0
		.amdhsa_system_sgpr_workgroup_info 0
		.amdhsa_system_vgpr_workitem_id 0
		.amdhsa_next_free_vgpr 1
		.amdhsa_next_free_sgpr 1
		.amdhsa_reserve_vcc 0
		.amdhsa_float_round_mode_32 0
		.amdhsa_float_round_mode_16_64 0
		.amdhsa_float_denorm_mode_32 3
		.amdhsa_float_denorm_mode_16_64 3
		.amdhsa_fp16_overflow 0
		.amdhsa_workgroup_processor_mode 1
		.amdhsa_memory_ordered 1
		.amdhsa_forward_progress 1
		.amdhsa_inst_pref_size 0
		.amdhsa_round_robin_scheduling 0
		.amdhsa_exception_fp_ieee_invalid_op 0
		.amdhsa_exception_fp_denorm_src 0
		.amdhsa_exception_fp_ieee_div_zero 0
		.amdhsa_exception_fp_ieee_overflow 0
		.amdhsa_exception_fp_ieee_underflow 0
		.amdhsa_exception_fp_ieee_inexact 0
		.amdhsa_exception_int_div_zero 0
	.end_amdhsa_kernel
	.section	.text._ZN7rocprim17ROCPRIM_400000_NS6detail17trampoline_kernelINS0_14default_configENS1_25partition_config_selectorILNS1_17partition_subalgoE6EsNS0_10empty_typeEbEEZZNS1_14partition_implILS5_6ELb0ES3_mN6thrust23THRUST_200600_302600_NS6detail15normal_iteratorINSA_10device_ptrIsEEEEPS6_SG_NS0_5tupleIJSF_S6_EEENSH_IJSG_SG_EEES6_PlJNSB_9not_fun_tINSB_10functional5actorINSM_9compositeIJNSM_27transparent_binary_operatorINSA_8equal_toIvEEEENSN_INSM_8argumentILj0EEEEENSM_5valueIsEEEEEEEEEEEE10hipError_tPvRmT3_T4_T5_T6_T7_T9_mT8_P12ihipStream_tbDpT10_ENKUlT_T0_E_clISt17integral_constantIbLb0EES1J_IbLb1EEEEDaS1F_S1G_EUlS1F_E_NS1_11comp_targetILNS1_3genE3ELNS1_11target_archE908ELNS1_3gpuE7ELNS1_3repE0EEENS1_30default_config_static_selectorELNS0_4arch9wavefront6targetE0EEEvT1_,"axG",@progbits,_ZN7rocprim17ROCPRIM_400000_NS6detail17trampoline_kernelINS0_14default_configENS1_25partition_config_selectorILNS1_17partition_subalgoE6EsNS0_10empty_typeEbEEZZNS1_14partition_implILS5_6ELb0ES3_mN6thrust23THRUST_200600_302600_NS6detail15normal_iteratorINSA_10device_ptrIsEEEEPS6_SG_NS0_5tupleIJSF_S6_EEENSH_IJSG_SG_EEES6_PlJNSB_9not_fun_tINSB_10functional5actorINSM_9compositeIJNSM_27transparent_binary_operatorINSA_8equal_toIvEEEENSN_INSM_8argumentILj0EEEEENSM_5valueIsEEEEEEEEEEEE10hipError_tPvRmT3_T4_T5_T6_T7_T9_mT8_P12ihipStream_tbDpT10_ENKUlT_T0_E_clISt17integral_constantIbLb0EES1J_IbLb1EEEEDaS1F_S1G_EUlS1F_E_NS1_11comp_targetILNS1_3genE3ELNS1_11target_archE908ELNS1_3gpuE7ELNS1_3repE0EEENS1_30default_config_static_selectorELNS0_4arch9wavefront6targetE0EEEvT1_,comdat
.Lfunc_end271:
	.size	_ZN7rocprim17ROCPRIM_400000_NS6detail17trampoline_kernelINS0_14default_configENS1_25partition_config_selectorILNS1_17partition_subalgoE6EsNS0_10empty_typeEbEEZZNS1_14partition_implILS5_6ELb0ES3_mN6thrust23THRUST_200600_302600_NS6detail15normal_iteratorINSA_10device_ptrIsEEEEPS6_SG_NS0_5tupleIJSF_S6_EEENSH_IJSG_SG_EEES6_PlJNSB_9not_fun_tINSB_10functional5actorINSM_9compositeIJNSM_27transparent_binary_operatorINSA_8equal_toIvEEEENSN_INSM_8argumentILj0EEEEENSM_5valueIsEEEEEEEEEEEE10hipError_tPvRmT3_T4_T5_T6_T7_T9_mT8_P12ihipStream_tbDpT10_ENKUlT_T0_E_clISt17integral_constantIbLb0EES1J_IbLb1EEEEDaS1F_S1G_EUlS1F_E_NS1_11comp_targetILNS1_3genE3ELNS1_11target_archE908ELNS1_3gpuE7ELNS1_3repE0EEENS1_30default_config_static_selectorELNS0_4arch9wavefront6targetE0EEEvT1_, .Lfunc_end271-_ZN7rocprim17ROCPRIM_400000_NS6detail17trampoline_kernelINS0_14default_configENS1_25partition_config_selectorILNS1_17partition_subalgoE6EsNS0_10empty_typeEbEEZZNS1_14partition_implILS5_6ELb0ES3_mN6thrust23THRUST_200600_302600_NS6detail15normal_iteratorINSA_10device_ptrIsEEEEPS6_SG_NS0_5tupleIJSF_S6_EEENSH_IJSG_SG_EEES6_PlJNSB_9not_fun_tINSB_10functional5actorINSM_9compositeIJNSM_27transparent_binary_operatorINSA_8equal_toIvEEEENSN_INSM_8argumentILj0EEEEENSM_5valueIsEEEEEEEEEEEE10hipError_tPvRmT3_T4_T5_T6_T7_T9_mT8_P12ihipStream_tbDpT10_ENKUlT_T0_E_clISt17integral_constantIbLb0EES1J_IbLb1EEEEDaS1F_S1G_EUlS1F_E_NS1_11comp_targetILNS1_3genE3ELNS1_11target_archE908ELNS1_3gpuE7ELNS1_3repE0EEENS1_30default_config_static_selectorELNS0_4arch9wavefront6targetE0EEEvT1_
                                        ; -- End function
	.set _ZN7rocprim17ROCPRIM_400000_NS6detail17trampoline_kernelINS0_14default_configENS1_25partition_config_selectorILNS1_17partition_subalgoE6EsNS0_10empty_typeEbEEZZNS1_14partition_implILS5_6ELb0ES3_mN6thrust23THRUST_200600_302600_NS6detail15normal_iteratorINSA_10device_ptrIsEEEEPS6_SG_NS0_5tupleIJSF_S6_EEENSH_IJSG_SG_EEES6_PlJNSB_9not_fun_tINSB_10functional5actorINSM_9compositeIJNSM_27transparent_binary_operatorINSA_8equal_toIvEEEENSN_INSM_8argumentILj0EEEEENSM_5valueIsEEEEEEEEEEEE10hipError_tPvRmT3_T4_T5_T6_T7_T9_mT8_P12ihipStream_tbDpT10_ENKUlT_T0_E_clISt17integral_constantIbLb0EES1J_IbLb1EEEEDaS1F_S1G_EUlS1F_E_NS1_11comp_targetILNS1_3genE3ELNS1_11target_archE908ELNS1_3gpuE7ELNS1_3repE0EEENS1_30default_config_static_selectorELNS0_4arch9wavefront6targetE0EEEvT1_.num_vgpr, 0
	.set _ZN7rocprim17ROCPRIM_400000_NS6detail17trampoline_kernelINS0_14default_configENS1_25partition_config_selectorILNS1_17partition_subalgoE6EsNS0_10empty_typeEbEEZZNS1_14partition_implILS5_6ELb0ES3_mN6thrust23THRUST_200600_302600_NS6detail15normal_iteratorINSA_10device_ptrIsEEEEPS6_SG_NS0_5tupleIJSF_S6_EEENSH_IJSG_SG_EEES6_PlJNSB_9not_fun_tINSB_10functional5actorINSM_9compositeIJNSM_27transparent_binary_operatorINSA_8equal_toIvEEEENSN_INSM_8argumentILj0EEEEENSM_5valueIsEEEEEEEEEEEE10hipError_tPvRmT3_T4_T5_T6_T7_T9_mT8_P12ihipStream_tbDpT10_ENKUlT_T0_E_clISt17integral_constantIbLb0EES1J_IbLb1EEEEDaS1F_S1G_EUlS1F_E_NS1_11comp_targetILNS1_3genE3ELNS1_11target_archE908ELNS1_3gpuE7ELNS1_3repE0EEENS1_30default_config_static_selectorELNS0_4arch9wavefront6targetE0EEEvT1_.num_agpr, 0
	.set _ZN7rocprim17ROCPRIM_400000_NS6detail17trampoline_kernelINS0_14default_configENS1_25partition_config_selectorILNS1_17partition_subalgoE6EsNS0_10empty_typeEbEEZZNS1_14partition_implILS5_6ELb0ES3_mN6thrust23THRUST_200600_302600_NS6detail15normal_iteratorINSA_10device_ptrIsEEEEPS6_SG_NS0_5tupleIJSF_S6_EEENSH_IJSG_SG_EEES6_PlJNSB_9not_fun_tINSB_10functional5actorINSM_9compositeIJNSM_27transparent_binary_operatorINSA_8equal_toIvEEEENSN_INSM_8argumentILj0EEEEENSM_5valueIsEEEEEEEEEEEE10hipError_tPvRmT3_T4_T5_T6_T7_T9_mT8_P12ihipStream_tbDpT10_ENKUlT_T0_E_clISt17integral_constantIbLb0EES1J_IbLb1EEEEDaS1F_S1G_EUlS1F_E_NS1_11comp_targetILNS1_3genE3ELNS1_11target_archE908ELNS1_3gpuE7ELNS1_3repE0EEENS1_30default_config_static_selectorELNS0_4arch9wavefront6targetE0EEEvT1_.numbered_sgpr, 0
	.set _ZN7rocprim17ROCPRIM_400000_NS6detail17trampoline_kernelINS0_14default_configENS1_25partition_config_selectorILNS1_17partition_subalgoE6EsNS0_10empty_typeEbEEZZNS1_14partition_implILS5_6ELb0ES3_mN6thrust23THRUST_200600_302600_NS6detail15normal_iteratorINSA_10device_ptrIsEEEEPS6_SG_NS0_5tupleIJSF_S6_EEENSH_IJSG_SG_EEES6_PlJNSB_9not_fun_tINSB_10functional5actorINSM_9compositeIJNSM_27transparent_binary_operatorINSA_8equal_toIvEEEENSN_INSM_8argumentILj0EEEEENSM_5valueIsEEEEEEEEEEEE10hipError_tPvRmT3_T4_T5_T6_T7_T9_mT8_P12ihipStream_tbDpT10_ENKUlT_T0_E_clISt17integral_constantIbLb0EES1J_IbLb1EEEEDaS1F_S1G_EUlS1F_E_NS1_11comp_targetILNS1_3genE3ELNS1_11target_archE908ELNS1_3gpuE7ELNS1_3repE0EEENS1_30default_config_static_selectorELNS0_4arch9wavefront6targetE0EEEvT1_.num_named_barrier, 0
	.set _ZN7rocprim17ROCPRIM_400000_NS6detail17trampoline_kernelINS0_14default_configENS1_25partition_config_selectorILNS1_17partition_subalgoE6EsNS0_10empty_typeEbEEZZNS1_14partition_implILS5_6ELb0ES3_mN6thrust23THRUST_200600_302600_NS6detail15normal_iteratorINSA_10device_ptrIsEEEEPS6_SG_NS0_5tupleIJSF_S6_EEENSH_IJSG_SG_EEES6_PlJNSB_9not_fun_tINSB_10functional5actorINSM_9compositeIJNSM_27transparent_binary_operatorINSA_8equal_toIvEEEENSN_INSM_8argumentILj0EEEEENSM_5valueIsEEEEEEEEEEEE10hipError_tPvRmT3_T4_T5_T6_T7_T9_mT8_P12ihipStream_tbDpT10_ENKUlT_T0_E_clISt17integral_constantIbLb0EES1J_IbLb1EEEEDaS1F_S1G_EUlS1F_E_NS1_11comp_targetILNS1_3genE3ELNS1_11target_archE908ELNS1_3gpuE7ELNS1_3repE0EEENS1_30default_config_static_selectorELNS0_4arch9wavefront6targetE0EEEvT1_.private_seg_size, 0
	.set _ZN7rocprim17ROCPRIM_400000_NS6detail17trampoline_kernelINS0_14default_configENS1_25partition_config_selectorILNS1_17partition_subalgoE6EsNS0_10empty_typeEbEEZZNS1_14partition_implILS5_6ELb0ES3_mN6thrust23THRUST_200600_302600_NS6detail15normal_iteratorINSA_10device_ptrIsEEEEPS6_SG_NS0_5tupleIJSF_S6_EEENSH_IJSG_SG_EEES6_PlJNSB_9not_fun_tINSB_10functional5actorINSM_9compositeIJNSM_27transparent_binary_operatorINSA_8equal_toIvEEEENSN_INSM_8argumentILj0EEEEENSM_5valueIsEEEEEEEEEEEE10hipError_tPvRmT3_T4_T5_T6_T7_T9_mT8_P12ihipStream_tbDpT10_ENKUlT_T0_E_clISt17integral_constantIbLb0EES1J_IbLb1EEEEDaS1F_S1G_EUlS1F_E_NS1_11comp_targetILNS1_3genE3ELNS1_11target_archE908ELNS1_3gpuE7ELNS1_3repE0EEENS1_30default_config_static_selectorELNS0_4arch9wavefront6targetE0EEEvT1_.uses_vcc, 0
	.set _ZN7rocprim17ROCPRIM_400000_NS6detail17trampoline_kernelINS0_14default_configENS1_25partition_config_selectorILNS1_17partition_subalgoE6EsNS0_10empty_typeEbEEZZNS1_14partition_implILS5_6ELb0ES3_mN6thrust23THRUST_200600_302600_NS6detail15normal_iteratorINSA_10device_ptrIsEEEEPS6_SG_NS0_5tupleIJSF_S6_EEENSH_IJSG_SG_EEES6_PlJNSB_9not_fun_tINSB_10functional5actorINSM_9compositeIJNSM_27transparent_binary_operatorINSA_8equal_toIvEEEENSN_INSM_8argumentILj0EEEEENSM_5valueIsEEEEEEEEEEEE10hipError_tPvRmT3_T4_T5_T6_T7_T9_mT8_P12ihipStream_tbDpT10_ENKUlT_T0_E_clISt17integral_constantIbLb0EES1J_IbLb1EEEEDaS1F_S1G_EUlS1F_E_NS1_11comp_targetILNS1_3genE3ELNS1_11target_archE908ELNS1_3gpuE7ELNS1_3repE0EEENS1_30default_config_static_selectorELNS0_4arch9wavefront6targetE0EEEvT1_.uses_flat_scratch, 0
	.set _ZN7rocprim17ROCPRIM_400000_NS6detail17trampoline_kernelINS0_14default_configENS1_25partition_config_selectorILNS1_17partition_subalgoE6EsNS0_10empty_typeEbEEZZNS1_14partition_implILS5_6ELb0ES3_mN6thrust23THRUST_200600_302600_NS6detail15normal_iteratorINSA_10device_ptrIsEEEEPS6_SG_NS0_5tupleIJSF_S6_EEENSH_IJSG_SG_EEES6_PlJNSB_9not_fun_tINSB_10functional5actorINSM_9compositeIJNSM_27transparent_binary_operatorINSA_8equal_toIvEEEENSN_INSM_8argumentILj0EEEEENSM_5valueIsEEEEEEEEEEEE10hipError_tPvRmT3_T4_T5_T6_T7_T9_mT8_P12ihipStream_tbDpT10_ENKUlT_T0_E_clISt17integral_constantIbLb0EES1J_IbLb1EEEEDaS1F_S1G_EUlS1F_E_NS1_11comp_targetILNS1_3genE3ELNS1_11target_archE908ELNS1_3gpuE7ELNS1_3repE0EEENS1_30default_config_static_selectorELNS0_4arch9wavefront6targetE0EEEvT1_.has_dyn_sized_stack, 0
	.set _ZN7rocprim17ROCPRIM_400000_NS6detail17trampoline_kernelINS0_14default_configENS1_25partition_config_selectorILNS1_17partition_subalgoE6EsNS0_10empty_typeEbEEZZNS1_14partition_implILS5_6ELb0ES3_mN6thrust23THRUST_200600_302600_NS6detail15normal_iteratorINSA_10device_ptrIsEEEEPS6_SG_NS0_5tupleIJSF_S6_EEENSH_IJSG_SG_EEES6_PlJNSB_9not_fun_tINSB_10functional5actorINSM_9compositeIJNSM_27transparent_binary_operatorINSA_8equal_toIvEEEENSN_INSM_8argumentILj0EEEEENSM_5valueIsEEEEEEEEEEEE10hipError_tPvRmT3_T4_T5_T6_T7_T9_mT8_P12ihipStream_tbDpT10_ENKUlT_T0_E_clISt17integral_constantIbLb0EES1J_IbLb1EEEEDaS1F_S1G_EUlS1F_E_NS1_11comp_targetILNS1_3genE3ELNS1_11target_archE908ELNS1_3gpuE7ELNS1_3repE0EEENS1_30default_config_static_selectorELNS0_4arch9wavefront6targetE0EEEvT1_.has_recursion, 0
	.set _ZN7rocprim17ROCPRIM_400000_NS6detail17trampoline_kernelINS0_14default_configENS1_25partition_config_selectorILNS1_17partition_subalgoE6EsNS0_10empty_typeEbEEZZNS1_14partition_implILS5_6ELb0ES3_mN6thrust23THRUST_200600_302600_NS6detail15normal_iteratorINSA_10device_ptrIsEEEEPS6_SG_NS0_5tupleIJSF_S6_EEENSH_IJSG_SG_EEES6_PlJNSB_9not_fun_tINSB_10functional5actorINSM_9compositeIJNSM_27transparent_binary_operatorINSA_8equal_toIvEEEENSN_INSM_8argumentILj0EEEEENSM_5valueIsEEEEEEEEEEEE10hipError_tPvRmT3_T4_T5_T6_T7_T9_mT8_P12ihipStream_tbDpT10_ENKUlT_T0_E_clISt17integral_constantIbLb0EES1J_IbLb1EEEEDaS1F_S1G_EUlS1F_E_NS1_11comp_targetILNS1_3genE3ELNS1_11target_archE908ELNS1_3gpuE7ELNS1_3repE0EEENS1_30default_config_static_selectorELNS0_4arch9wavefront6targetE0EEEvT1_.has_indirect_call, 0
	.section	.AMDGPU.csdata,"",@progbits
; Kernel info:
; codeLenInByte = 0
; TotalNumSgprs: 0
; NumVgprs: 0
; ScratchSize: 0
; MemoryBound: 0
; FloatMode: 240
; IeeeMode: 1
; LDSByteSize: 0 bytes/workgroup (compile time only)
; SGPRBlocks: 0
; VGPRBlocks: 0
; NumSGPRsForWavesPerEU: 1
; NumVGPRsForWavesPerEU: 1
; Occupancy: 16
; WaveLimiterHint : 0
; COMPUTE_PGM_RSRC2:SCRATCH_EN: 0
; COMPUTE_PGM_RSRC2:USER_SGPR: 2
; COMPUTE_PGM_RSRC2:TRAP_HANDLER: 0
; COMPUTE_PGM_RSRC2:TGID_X_EN: 1
; COMPUTE_PGM_RSRC2:TGID_Y_EN: 0
; COMPUTE_PGM_RSRC2:TGID_Z_EN: 0
; COMPUTE_PGM_RSRC2:TIDIG_COMP_CNT: 0
	.section	.text._ZN7rocprim17ROCPRIM_400000_NS6detail17trampoline_kernelINS0_14default_configENS1_25partition_config_selectorILNS1_17partition_subalgoE6EsNS0_10empty_typeEbEEZZNS1_14partition_implILS5_6ELb0ES3_mN6thrust23THRUST_200600_302600_NS6detail15normal_iteratorINSA_10device_ptrIsEEEEPS6_SG_NS0_5tupleIJSF_S6_EEENSH_IJSG_SG_EEES6_PlJNSB_9not_fun_tINSB_10functional5actorINSM_9compositeIJNSM_27transparent_binary_operatorINSA_8equal_toIvEEEENSN_INSM_8argumentILj0EEEEENSM_5valueIsEEEEEEEEEEEE10hipError_tPvRmT3_T4_T5_T6_T7_T9_mT8_P12ihipStream_tbDpT10_ENKUlT_T0_E_clISt17integral_constantIbLb0EES1J_IbLb1EEEEDaS1F_S1G_EUlS1F_E_NS1_11comp_targetILNS1_3genE2ELNS1_11target_archE906ELNS1_3gpuE6ELNS1_3repE0EEENS1_30default_config_static_selectorELNS0_4arch9wavefront6targetE0EEEvT1_,"axG",@progbits,_ZN7rocprim17ROCPRIM_400000_NS6detail17trampoline_kernelINS0_14default_configENS1_25partition_config_selectorILNS1_17partition_subalgoE6EsNS0_10empty_typeEbEEZZNS1_14partition_implILS5_6ELb0ES3_mN6thrust23THRUST_200600_302600_NS6detail15normal_iteratorINSA_10device_ptrIsEEEEPS6_SG_NS0_5tupleIJSF_S6_EEENSH_IJSG_SG_EEES6_PlJNSB_9not_fun_tINSB_10functional5actorINSM_9compositeIJNSM_27transparent_binary_operatorINSA_8equal_toIvEEEENSN_INSM_8argumentILj0EEEEENSM_5valueIsEEEEEEEEEEEE10hipError_tPvRmT3_T4_T5_T6_T7_T9_mT8_P12ihipStream_tbDpT10_ENKUlT_T0_E_clISt17integral_constantIbLb0EES1J_IbLb1EEEEDaS1F_S1G_EUlS1F_E_NS1_11comp_targetILNS1_3genE2ELNS1_11target_archE906ELNS1_3gpuE6ELNS1_3repE0EEENS1_30default_config_static_selectorELNS0_4arch9wavefront6targetE0EEEvT1_,comdat
	.protected	_ZN7rocprim17ROCPRIM_400000_NS6detail17trampoline_kernelINS0_14default_configENS1_25partition_config_selectorILNS1_17partition_subalgoE6EsNS0_10empty_typeEbEEZZNS1_14partition_implILS5_6ELb0ES3_mN6thrust23THRUST_200600_302600_NS6detail15normal_iteratorINSA_10device_ptrIsEEEEPS6_SG_NS0_5tupleIJSF_S6_EEENSH_IJSG_SG_EEES6_PlJNSB_9not_fun_tINSB_10functional5actorINSM_9compositeIJNSM_27transparent_binary_operatorINSA_8equal_toIvEEEENSN_INSM_8argumentILj0EEEEENSM_5valueIsEEEEEEEEEEEE10hipError_tPvRmT3_T4_T5_T6_T7_T9_mT8_P12ihipStream_tbDpT10_ENKUlT_T0_E_clISt17integral_constantIbLb0EES1J_IbLb1EEEEDaS1F_S1G_EUlS1F_E_NS1_11comp_targetILNS1_3genE2ELNS1_11target_archE906ELNS1_3gpuE6ELNS1_3repE0EEENS1_30default_config_static_selectorELNS0_4arch9wavefront6targetE0EEEvT1_ ; -- Begin function _ZN7rocprim17ROCPRIM_400000_NS6detail17trampoline_kernelINS0_14default_configENS1_25partition_config_selectorILNS1_17partition_subalgoE6EsNS0_10empty_typeEbEEZZNS1_14partition_implILS5_6ELb0ES3_mN6thrust23THRUST_200600_302600_NS6detail15normal_iteratorINSA_10device_ptrIsEEEEPS6_SG_NS0_5tupleIJSF_S6_EEENSH_IJSG_SG_EEES6_PlJNSB_9not_fun_tINSB_10functional5actorINSM_9compositeIJNSM_27transparent_binary_operatorINSA_8equal_toIvEEEENSN_INSM_8argumentILj0EEEEENSM_5valueIsEEEEEEEEEEEE10hipError_tPvRmT3_T4_T5_T6_T7_T9_mT8_P12ihipStream_tbDpT10_ENKUlT_T0_E_clISt17integral_constantIbLb0EES1J_IbLb1EEEEDaS1F_S1G_EUlS1F_E_NS1_11comp_targetILNS1_3genE2ELNS1_11target_archE906ELNS1_3gpuE6ELNS1_3repE0EEENS1_30default_config_static_selectorELNS0_4arch9wavefront6targetE0EEEvT1_
	.globl	_ZN7rocprim17ROCPRIM_400000_NS6detail17trampoline_kernelINS0_14default_configENS1_25partition_config_selectorILNS1_17partition_subalgoE6EsNS0_10empty_typeEbEEZZNS1_14partition_implILS5_6ELb0ES3_mN6thrust23THRUST_200600_302600_NS6detail15normal_iteratorINSA_10device_ptrIsEEEEPS6_SG_NS0_5tupleIJSF_S6_EEENSH_IJSG_SG_EEES6_PlJNSB_9not_fun_tINSB_10functional5actorINSM_9compositeIJNSM_27transparent_binary_operatorINSA_8equal_toIvEEEENSN_INSM_8argumentILj0EEEEENSM_5valueIsEEEEEEEEEEEE10hipError_tPvRmT3_T4_T5_T6_T7_T9_mT8_P12ihipStream_tbDpT10_ENKUlT_T0_E_clISt17integral_constantIbLb0EES1J_IbLb1EEEEDaS1F_S1G_EUlS1F_E_NS1_11comp_targetILNS1_3genE2ELNS1_11target_archE906ELNS1_3gpuE6ELNS1_3repE0EEENS1_30default_config_static_selectorELNS0_4arch9wavefront6targetE0EEEvT1_
	.p2align	8
	.type	_ZN7rocprim17ROCPRIM_400000_NS6detail17trampoline_kernelINS0_14default_configENS1_25partition_config_selectorILNS1_17partition_subalgoE6EsNS0_10empty_typeEbEEZZNS1_14partition_implILS5_6ELb0ES3_mN6thrust23THRUST_200600_302600_NS6detail15normal_iteratorINSA_10device_ptrIsEEEEPS6_SG_NS0_5tupleIJSF_S6_EEENSH_IJSG_SG_EEES6_PlJNSB_9not_fun_tINSB_10functional5actorINSM_9compositeIJNSM_27transparent_binary_operatorINSA_8equal_toIvEEEENSN_INSM_8argumentILj0EEEEENSM_5valueIsEEEEEEEEEEEE10hipError_tPvRmT3_T4_T5_T6_T7_T9_mT8_P12ihipStream_tbDpT10_ENKUlT_T0_E_clISt17integral_constantIbLb0EES1J_IbLb1EEEEDaS1F_S1G_EUlS1F_E_NS1_11comp_targetILNS1_3genE2ELNS1_11target_archE906ELNS1_3gpuE6ELNS1_3repE0EEENS1_30default_config_static_selectorELNS0_4arch9wavefront6targetE0EEEvT1_,@function
_ZN7rocprim17ROCPRIM_400000_NS6detail17trampoline_kernelINS0_14default_configENS1_25partition_config_selectorILNS1_17partition_subalgoE6EsNS0_10empty_typeEbEEZZNS1_14partition_implILS5_6ELb0ES3_mN6thrust23THRUST_200600_302600_NS6detail15normal_iteratorINSA_10device_ptrIsEEEEPS6_SG_NS0_5tupleIJSF_S6_EEENSH_IJSG_SG_EEES6_PlJNSB_9not_fun_tINSB_10functional5actorINSM_9compositeIJNSM_27transparent_binary_operatorINSA_8equal_toIvEEEENSN_INSM_8argumentILj0EEEEENSM_5valueIsEEEEEEEEEEEE10hipError_tPvRmT3_T4_T5_T6_T7_T9_mT8_P12ihipStream_tbDpT10_ENKUlT_T0_E_clISt17integral_constantIbLb0EES1J_IbLb1EEEEDaS1F_S1G_EUlS1F_E_NS1_11comp_targetILNS1_3genE2ELNS1_11target_archE906ELNS1_3gpuE6ELNS1_3repE0EEENS1_30default_config_static_selectorELNS0_4arch9wavefront6targetE0EEEvT1_: ; @_ZN7rocprim17ROCPRIM_400000_NS6detail17trampoline_kernelINS0_14default_configENS1_25partition_config_selectorILNS1_17partition_subalgoE6EsNS0_10empty_typeEbEEZZNS1_14partition_implILS5_6ELb0ES3_mN6thrust23THRUST_200600_302600_NS6detail15normal_iteratorINSA_10device_ptrIsEEEEPS6_SG_NS0_5tupleIJSF_S6_EEENSH_IJSG_SG_EEES6_PlJNSB_9not_fun_tINSB_10functional5actorINSM_9compositeIJNSM_27transparent_binary_operatorINSA_8equal_toIvEEEENSN_INSM_8argumentILj0EEEEENSM_5valueIsEEEEEEEEEEEE10hipError_tPvRmT3_T4_T5_T6_T7_T9_mT8_P12ihipStream_tbDpT10_ENKUlT_T0_E_clISt17integral_constantIbLb0EES1J_IbLb1EEEEDaS1F_S1G_EUlS1F_E_NS1_11comp_targetILNS1_3genE2ELNS1_11target_archE906ELNS1_3gpuE6ELNS1_3repE0EEENS1_30default_config_static_selectorELNS0_4arch9wavefront6targetE0EEEvT1_
; %bb.0:
	.section	.rodata,"a",@progbits
	.p2align	6, 0x0
	.amdhsa_kernel _ZN7rocprim17ROCPRIM_400000_NS6detail17trampoline_kernelINS0_14default_configENS1_25partition_config_selectorILNS1_17partition_subalgoE6EsNS0_10empty_typeEbEEZZNS1_14partition_implILS5_6ELb0ES3_mN6thrust23THRUST_200600_302600_NS6detail15normal_iteratorINSA_10device_ptrIsEEEEPS6_SG_NS0_5tupleIJSF_S6_EEENSH_IJSG_SG_EEES6_PlJNSB_9not_fun_tINSB_10functional5actorINSM_9compositeIJNSM_27transparent_binary_operatorINSA_8equal_toIvEEEENSN_INSM_8argumentILj0EEEEENSM_5valueIsEEEEEEEEEEEE10hipError_tPvRmT3_T4_T5_T6_T7_T9_mT8_P12ihipStream_tbDpT10_ENKUlT_T0_E_clISt17integral_constantIbLb0EES1J_IbLb1EEEEDaS1F_S1G_EUlS1F_E_NS1_11comp_targetILNS1_3genE2ELNS1_11target_archE906ELNS1_3gpuE6ELNS1_3repE0EEENS1_30default_config_static_selectorELNS0_4arch9wavefront6targetE0EEEvT1_
		.amdhsa_group_segment_fixed_size 0
		.amdhsa_private_segment_fixed_size 0
		.amdhsa_kernarg_size 128
		.amdhsa_user_sgpr_count 2
		.amdhsa_user_sgpr_dispatch_ptr 0
		.amdhsa_user_sgpr_queue_ptr 0
		.amdhsa_user_sgpr_kernarg_segment_ptr 1
		.amdhsa_user_sgpr_dispatch_id 0
		.amdhsa_user_sgpr_private_segment_size 0
		.amdhsa_wavefront_size32 1
		.amdhsa_uses_dynamic_stack 0
		.amdhsa_enable_private_segment 0
		.amdhsa_system_sgpr_workgroup_id_x 1
		.amdhsa_system_sgpr_workgroup_id_y 0
		.amdhsa_system_sgpr_workgroup_id_z 0
		.amdhsa_system_sgpr_workgroup_info 0
		.amdhsa_system_vgpr_workitem_id 0
		.amdhsa_next_free_vgpr 1
		.amdhsa_next_free_sgpr 1
		.amdhsa_reserve_vcc 0
		.amdhsa_float_round_mode_32 0
		.amdhsa_float_round_mode_16_64 0
		.amdhsa_float_denorm_mode_32 3
		.amdhsa_float_denorm_mode_16_64 3
		.amdhsa_fp16_overflow 0
		.amdhsa_workgroup_processor_mode 1
		.amdhsa_memory_ordered 1
		.amdhsa_forward_progress 1
		.amdhsa_inst_pref_size 0
		.amdhsa_round_robin_scheduling 0
		.amdhsa_exception_fp_ieee_invalid_op 0
		.amdhsa_exception_fp_denorm_src 0
		.amdhsa_exception_fp_ieee_div_zero 0
		.amdhsa_exception_fp_ieee_overflow 0
		.amdhsa_exception_fp_ieee_underflow 0
		.amdhsa_exception_fp_ieee_inexact 0
		.amdhsa_exception_int_div_zero 0
	.end_amdhsa_kernel
	.section	.text._ZN7rocprim17ROCPRIM_400000_NS6detail17trampoline_kernelINS0_14default_configENS1_25partition_config_selectorILNS1_17partition_subalgoE6EsNS0_10empty_typeEbEEZZNS1_14partition_implILS5_6ELb0ES3_mN6thrust23THRUST_200600_302600_NS6detail15normal_iteratorINSA_10device_ptrIsEEEEPS6_SG_NS0_5tupleIJSF_S6_EEENSH_IJSG_SG_EEES6_PlJNSB_9not_fun_tINSB_10functional5actorINSM_9compositeIJNSM_27transparent_binary_operatorINSA_8equal_toIvEEEENSN_INSM_8argumentILj0EEEEENSM_5valueIsEEEEEEEEEEEE10hipError_tPvRmT3_T4_T5_T6_T7_T9_mT8_P12ihipStream_tbDpT10_ENKUlT_T0_E_clISt17integral_constantIbLb0EES1J_IbLb1EEEEDaS1F_S1G_EUlS1F_E_NS1_11comp_targetILNS1_3genE2ELNS1_11target_archE906ELNS1_3gpuE6ELNS1_3repE0EEENS1_30default_config_static_selectorELNS0_4arch9wavefront6targetE0EEEvT1_,"axG",@progbits,_ZN7rocprim17ROCPRIM_400000_NS6detail17trampoline_kernelINS0_14default_configENS1_25partition_config_selectorILNS1_17partition_subalgoE6EsNS0_10empty_typeEbEEZZNS1_14partition_implILS5_6ELb0ES3_mN6thrust23THRUST_200600_302600_NS6detail15normal_iteratorINSA_10device_ptrIsEEEEPS6_SG_NS0_5tupleIJSF_S6_EEENSH_IJSG_SG_EEES6_PlJNSB_9not_fun_tINSB_10functional5actorINSM_9compositeIJNSM_27transparent_binary_operatorINSA_8equal_toIvEEEENSN_INSM_8argumentILj0EEEEENSM_5valueIsEEEEEEEEEEEE10hipError_tPvRmT3_T4_T5_T6_T7_T9_mT8_P12ihipStream_tbDpT10_ENKUlT_T0_E_clISt17integral_constantIbLb0EES1J_IbLb1EEEEDaS1F_S1G_EUlS1F_E_NS1_11comp_targetILNS1_3genE2ELNS1_11target_archE906ELNS1_3gpuE6ELNS1_3repE0EEENS1_30default_config_static_selectorELNS0_4arch9wavefront6targetE0EEEvT1_,comdat
.Lfunc_end272:
	.size	_ZN7rocprim17ROCPRIM_400000_NS6detail17trampoline_kernelINS0_14default_configENS1_25partition_config_selectorILNS1_17partition_subalgoE6EsNS0_10empty_typeEbEEZZNS1_14partition_implILS5_6ELb0ES3_mN6thrust23THRUST_200600_302600_NS6detail15normal_iteratorINSA_10device_ptrIsEEEEPS6_SG_NS0_5tupleIJSF_S6_EEENSH_IJSG_SG_EEES6_PlJNSB_9not_fun_tINSB_10functional5actorINSM_9compositeIJNSM_27transparent_binary_operatorINSA_8equal_toIvEEEENSN_INSM_8argumentILj0EEEEENSM_5valueIsEEEEEEEEEEEE10hipError_tPvRmT3_T4_T5_T6_T7_T9_mT8_P12ihipStream_tbDpT10_ENKUlT_T0_E_clISt17integral_constantIbLb0EES1J_IbLb1EEEEDaS1F_S1G_EUlS1F_E_NS1_11comp_targetILNS1_3genE2ELNS1_11target_archE906ELNS1_3gpuE6ELNS1_3repE0EEENS1_30default_config_static_selectorELNS0_4arch9wavefront6targetE0EEEvT1_, .Lfunc_end272-_ZN7rocprim17ROCPRIM_400000_NS6detail17trampoline_kernelINS0_14default_configENS1_25partition_config_selectorILNS1_17partition_subalgoE6EsNS0_10empty_typeEbEEZZNS1_14partition_implILS5_6ELb0ES3_mN6thrust23THRUST_200600_302600_NS6detail15normal_iteratorINSA_10device_ptrIsEEEEPS6_SG_NS0_5tupleIJSF_S6_EEENSH_IJSG_SG_EEES6_PlJNSB_9not_fun_tINSB_10functional5actorINSM_9compositeIJNSM_27transparent_binary_operatorINSA_8equal_toIvEEEENSN_INSM_8argumentILj0EEEEENSM_5valueIsEEEEEEEEEEEE10hipError_tPvRmT3_T4_T5_T6_T7_T9_mT8_P12ihipStream_tbDpT10_ENKUlT_T0_E_clISt17integral_constantIbLb0EES1J_IbLb1EEEEDaS1F_S1G_EUlS1F_E_NS1_11comp_targetILNS1_3genE2ELNS1_11target_archE906ELNS1_3gpuE6ELNS1_3repE0EEENS1_30default_config_static_selectorELNS0_4arch9wavefront6targetE0EEEvT1_
                                        ; -- End function
	.set _ZN7rocprim17ROCPRIM_400000_NS6detail17trampoline_kernelINS0_14default_configENS1_25partition_config_selectorILNS1_17partition_subalgoE6EsNS0_10empty_typeEbEEZZNS1_14partition_implILS5_6ELb0ES3_mN6thrust23THRUST_200600_302600_NS6detail15normal_iteratorINSA_10device_ptrIsEEEEPS6_SG_NS0_5tupleIJSF_S6_EEENSH_IJSG_SG_EEES6_PlJNSB_9not_fun_tINSB_10functional5actorINSM_9compositeIJNSM_27transparent_binary_operatorINSA_8equal_toIvEEEENSN_INSM_8argumentILj0EEEEENSM_5valueIsEEEEEEEEEEEE10hipError_tPvRmT3_T4_T5_T6_T7_T9_mT8_P12ihipStream_tbDpT10_ENKUlT_T0_E_clISt17integral_constantIbLb0EES1J_IbLb1EEEEDaS1F_S1G_EUlS1F_E_NS1_11comp_targetILNS1_3genE2ELNS1_11target_archE906ELNS1_3gpuE6ELNS1_3repE0EEENS1_30default_config_static_selectorELNS0_4arch9wavefront6targetE0EEEvT1_.num_vgpr, 0
	.set _ZN7rocprim17ROCPRIM_400000_NS6detail17trampoline_kernelINS0_14default_configENS1_25partition_config_selectorILNS1_17partition_subalgoE6EsNS0_10empty_typeEbEEZZNS1_14partition_implILS5_6ELb0ES3_mN6thrust23THRUST_200600_302600_NS6detail15normal_iteratorINSA_10device_ptrIsEEEEPS6_SG_NS0_5tupleIJSF_S6_EEENSH_IJSG_SG_EEES6_PlJNSB_9not_fun_tINSB_10functional5actorINSM_9compositeIJNSM_27transparent_binary_operatorINSA_8equal_toIvEEEENSN_INSM_8argumentILj0EEEEENSM_5valueIsEEEEEEEEEEEE10hipError_tPvRmT3_T4_T5_T6_T7_T9_mT8_P12ihipStream_tbDpT10_ENKUlT_T0_E_clISt17integral_constantIbLb0EES1J_IbLb1EEEEDaS1F_S1G_EUlS1F_E_NS1_11comp_targetILNS1_3genE2ELNS1_11target_archE906ELNS1_3gpuE6ELNS1_3repE0EEENS1_30default_config_static_selectorELNS0_4arch9wavefront6targetE0EEEvT1_.num_agpr, 0
	.set _ZN7rocprim17ROCPRIM_400000_NS6detail17trampoline_kernelINS0_14default_configENS1_25partition_config_selectorILNS1_17partition_subalgoE6EsNS0_10empty_typeEbEEZZNS1_14partition_implILS5_6ELb0ES3_mN6thrust23THRUST_200600_302600_NS6detail15normal_iteratorINSA_10device_ptrIsEEEEPS6_SG_NS0_5tupleIJSF_S6_EEENSH_IJSG_SG_EEES6_PlJNSB_9not_fun_tINSB_10functional5actorINSM_9compositeIJNSM_27transparent_binary_operatorINSA_8equal_toIvEEEENSN_INSM_8argumentILj0EEEEENSM_5valueIsEEEEEEEEEEEE10hipError_tPvRmT3_T4_T5_T6_T7_T9_mT8_P12ihipStream_tbDpT10_ENKUlT_T0_E_clISt17integral_constantIbLb0EES1J_IbLb1EEEEDaS1F_S1G_EUlS1F_E_NS1_11comp_targetILNS1_3genE2ELNS1_11target_archE906ELNS1_3gpuE6ELNS1_3repE0EEENS1_30default_config_static_selectorELNS0_4arch9wavefront6targetE0EEEvT1_.numbered_sgpr, 0
	.set _ZN7rocprim17ROCPRIM_400000_NS6detail17trampoline_kernelINS0_14default_configENS1_25partition_config_selectorILNS1_17partition_subalgoE6EsNS0_10empty_typeEbEEZZNS1_14partition_implILS5_6ELb0ES3_mN6thrust23THRUST_200600_302600_NS6detail15normal_iteratorINSA_10device_ptrIsEEEEPS6_SG_NS0_5tupleIJSF_S6_EEENSH_IJSG_SG_EEES6_PlJNSB_9not_fun_tINSB_10functional5actorINSM_9compositeIJNSM_27transparent_binary_operatorINSA_8equal_toIvEEEENSN_INSM_8argumentILj0EEEEENSM_5valueIsEEEEEEEEEEEE10hipError_tPvRmT3_T4_T5_T6_T7_T9_mT8_P12ihipStream_tbDpT10_ENKUlT_T0_E_clISt17integral_constantIbLb0EES1J_IbLb1EEEEDaS1F_S1G_EUlS1F_E_NS1_11comp_targetILNS1_3genE2ELNS1_11target_archE906ELNS1_3gpuE6ELNS1_3repE0EEENS1_30default_config_static_selectorELNS0_4arch9wavefront6targetE0EEEvT1_.num_named_barrier, 0
	.set _ZN7rocprim17ROCPRIM_400000_NS6detail17trampoline_kernelINS0_14default_configENS1_25partition_config_selectorILNS1_17partition_subalgoE6EsNS0_10empty_typeEbEEZZNS1_14partition_implILS5_6ELb0ES3_mN6thrust23THRUST_200600_302600_NS6detail15normal_iteratorINSA_10device_ptrIsEEEEPS6_SG_NS0_5tupleIJSF_S6_EEENSH_IJSG_SG_EEES6_PlJNSB_9not_fun_tINSB_10functional5actorINSM_9compositeIJNSM_27transparent_binary_operatorINSA_8equal_toIvEEEENSN_INSM_8argumentILj0EEEEENSM_5valueIsEEEEEEEEEEEE10hipError_tPvRmT3_T4_T5_T6_T7_T9_mT8_P12ihipStream_tbDpT10_ENKUlT_T0_E_clISt17integral_constantIbLb0EES1J_IbLb1EEEEDaS1F_S1G_EUlS1F_E_NS1_11comp_targetILNS1_3genE2ELNS1_11target_archE906ELNS1_3gpuE6ELNS1_3repE0EEENS1_30default_config_static_selectorELNS0_4arch9wavefront6targetE0EEEvT1_.private_seg_size, 0
	.set _ZN7rocprim17ROCPRIM_400000_NS6detail17trampoline_kernelINS0_14default_configENS1_25partition_config_selectorILNS1_17partition_subalgoE6EsNS0_10empty_typeEbEEZZNS1_14partition_implILS5_6ELb0ES3_mN6thrust23THRUST_200600_302600_NS6detail15normal_iteratorINSA_10device_ptrIsEEEEPS6_SG_NS0_5tupleIJSF_S6_EEENSH_IJSG_SG_EEES6_PlJNSB_9not_fun_tINSB_10functional5actorINSM_9compositeIJNSM_27transparent_binary_operatorINSA_8equal_toIvEEEENSN_INSM_8argumentILj0EEEEENSM_5valueIsEEEEEEEEEEEE10hipError_tPvRmT3_T4_T5_T6_T7_T9_mT8_P12ihipStream_tbDpT10_ENKUlT_T0_E_clISt17integral_constantIbLb0EES1J_IbLb1EEEEDaS1F_S1G_EUlS1F_E_NS1_11comp_targetILNS1_3genE2ELNS1_11target_archE906ELNS1_3gpuE6ELNS1_3repE0EEENS1_30default_config_static_selectorELNS0_4arch9wavefront6targetE0EEEvT1_.uses_vcc, 0
	.set _ZN7rocprim17ROCPRIM_400000_NS6detail17trampoline_kernelINS0_14default_configENS1_25partition_config_selectorILNS1_17partition_subalgoE6EsNS0_10empty_typeEbEEZZNS1_14partition_implILS5_6ELb0ES3_mN6thrust23THRUST_200600_302600_NS6detail15normal_iteratorINSA_10device_ptrIsEEEEPS6_SG_NS0_5tupleIJSF_S6_EEENSH_IJSG_SG_EEES6_PlJNSB_9not_fun_tINSB_10functional5actorINSM_9compositeIJNSM_27transparent_binary_operatorINSA_8equal_toIvEEEENSN_INSM_8argumentILj0EEEEENSM_5valueIsEEEEEEEEEEEE10hipError_tPvRmT3_T4_T5_T6_T7_T9_mT8_P12ihipStream_tbDpT10_ENKUlT_T0_E_clISt17integral_constantIbLb0EES1J_IbLb1EEEEDaS1F_S1G_EUlS1F_E_NS1_11comp_targetILNS1_3genE2ELNS1_11target_archE906ELNS1_3gpuE6ELNS1_3repE0EEENS1_30default_config_static_selectorELNS0_4arch9wavefront6targetE0EEEvT1_.uses_flat_scratch, 0
	.set _ZN7rocprim17ROCPRIM_400000_NS6detail17trampoline_kernelINS0_14default_configENS1_25partition_config_selectorILNS1_17partition_subalgoE6EsNS0_10empty_typeEbEEZZNS1_14partition_implILS5_6ELb0ES3_mN6thrust23THRUST_200600_302600_NS6detail15normal_iteratorINSA_10device_ptrIsEEEEPS6_SG_NS0_5tupleIJSF_S6_EEENSH_IJSG_SG_EEES6_PlJNSB_9not_fun_tINSB_10functional5actorINSM_9compositeIJNSM_27transparent_binary_operatorINSA_8equal_toIvEEEENSN_INSM_8argumentILj0EEEEENSM_5valueIsEEEEEEEEEEEE10hipError_tPvRmT3_T4_T5_T6_T7_T9_mT8_P12ihipStream_tbDpT10_ENKUlT_T0_E_clISt17integral_constantIbLb0EES1J_IbLb1EEEEDaS1F_S1G_EUlS1F_E_NS1_11comp_targetILNS1_3genE2ELNS1_11target_archE906ELNS1_3gpuE6ELNS1_3repE0EEENS1_30default_config_static_selectorELNS0_4arch9wavefront6targetE0EEEvT1_.has_dyn_sized_stack, 0
	.set _ZN7rocprim17ROCPRIM_400000_NS6detail17trampoline_kernelINS0_14default_configENS1_25partition_config_selectorILNS1_17partition_subalgoE6EsNS0_10empty_typeEbEEZZNS1_14partition_implILS5_6ELb0ES3_mN6thrust23THRUST_200600_302600_NS6detail15normal_iteratorINSA_10device_ptrIsEEEEPS6_SG_NS0_5tupleIJSF_S6_EEENSH_IJSG_SG_EEES6_PlJNSB_9not_fun_tINSB_10functional5actorINSM_9compositeIJNSM_27transparent_binary_operatorINSA_8equal_toIvEEEENSN_INSM_8argumentILj0EEEEENSM_5valueIsEEEEEEEEEEEE10hipError_tPvRmT3_T4_T5_T6_T7_T9_mT8_P12ihipStream_tbDpT10_ENKUlT_T0_E_clISt17integral_constantIbLb0EES1J_IbLb1EEEEDaS1F_S1G_EUlS1F_E_NS1_11comp_targetILNS1_3genE2ELNS1_11target_archE906ELNS1_3gpuE6ELNS1_3repE0EEENS1_30default_config_static_selectorELNS0_4arch9wavefront6targetE0EEEvT1_.has_recursion, 0
	.set _ZN7rocprim17ROCPRIM_400000_NS6detail17trampoline_kernelINS0_14default_configENS1_25partition_config_selectorILNS1_17partition_subalgoE6EsNS0_10empty_typeEbEEZZNS1_14partition_implILS5_6ELb0ES3_mN6thrust23THRUST_200600_302600_NS6detail15normal_iteratorINSA_10device_ptrIsEEEEPS6_SG_NS0_5tupleIJSF_S6_EEENSH_IJSG_SG_EEES6_PlJNSB_9not_fun_tINSB_10functional5actorINSM_9compositeIJNSM_27transparent_binary_operatorINSA_8equal_toIvEEEENSN_INSM_8argumentILj0EEEEENSM_5valueIsEEEEEEEEEEEE10hipError_tPvRmT3_T4_T5_T6_T7_T9_mT8_P12ihipStream_tbDpT10_ENKUlT_T0_E_clISt17integral_constantIbLb0EES1J_IbLb1EEEEDaS1F_S1G_EUlS1F_E_NS1_11comp_targetILNS1_3genE2ELNS1_11target_archE906ELNS1_3gpuE6ELNS1_3repE0EEENS1_30default_config_static_selectorELNS0_4arch9wavefront6targetE0EEEvT1_.has_indirect_call, 0
	.section	.AMDGPU.csdata,"",@progbits
; Kernel info:
; codeLenInByte = 0
; TotalNumSgprs: 0
; NumVgprs: 0
; ScratchSize: 0
; MemoryBound: 0
; FloatMode: 240
; IeeeMode: 1
; LDSByteSize: 0 bytes/workgroup (compile time only)
; SGPRBlocks: 0
; VGPRBlocks: 0
; NumSGPRsForWavesPerEU: 1
; NumVGPRsForWavesPerEU: 1
; Occupancy: 16
; WaveLimiterHint : 0
; COMPUTE_PGM_RSRC2:SCRATCH_EN: 0
; COMPUTE_PGM_RSRC2:USER_SGPR: 2
; COMPUTE_PGM_RSRC2:TRAP_HANDLER: 0
; COMPUTE_PGM_RSRC2:TGID_X_EN: 1
; COMPUTE_PGM_RSRC2:TGID_Y_EN: 0
; COMPUTE_PGM_RSRC2:TGID_Z_EN: 0
; COMPUTE_PGM_RSRC2:TIDIG_COMP_CNT: 0
	.section	.text._ZN7rocprim17ROCPRIM_400000_NS6detail17trampoline_kernelINS0_14default_configENS1_25partition_config_selectorILNS1_17partition_subalgoE6EsNS0_10empty_typeEbEEZZNS1_14partition_implILS5_6ELb0ES3_mN6thrust23THRUST_200600_302600_NS6detail15normal_iteratorINSA_10device_ptrIsEEEEPS6_SG_NS0_5tupleIJSF_S6_EEENSH_IJSG_SG_EEES6_PlJNSB_9not_fun_tINSB_10functional5actorINSM_9compositeIJNSM_27transparent_binary_operatorINSA_8equal_toIvEEEENSN_INSM_8argumentILj0EEEEENSM_5valueIsEEEEEEEEEEEE10hipError_tPvRmT3_T4_T5_T6_T7_T9_mT8_P12ihipStream_tbDpT10_ENKUlT_T0_E_clISt17integral_constantIbLb0EES1J_IbLb1EEEEDaS1F_S1G_EUlS1F_E_NS1_11comp_targetILNS1_3genE10ELNS1_11target_archE1200ELNS1_3gpuE4ELNS1_3repE0EEENS1_30default_config_static_selectorELNS0_4arch9wavefront6targetE0EEEvT1_,"axG",@progbits,_ZN7rocprim17ROCPRIM_400000_NS6detail17trampoline_kernelINS0_14default_configENS1_25partition_config_selectorILNS1_17partition_subalgoE6EsNS0_10empty_typeEbEEZZNS1_14partition_implILS5_6ELb0ES3_mN6thrust23THRUST_200600_302600_NS6detail15normal_iteratorINSA_10device_ptrIsEEEEPS6_SG_NS0_5tupleIJSF_S6_EEENSH_IJSG_SG_EEES6_PlJNSB_9not_fun_tINSB_10functional5actorINSM_9compositeIJNSM_27transparent_binary_operatorINSA_8equal_toIvEEEENSN_INSM_8argumentILj0EEEEENSM_5valueIsEEEEEEEEEEEE10hipError_tPvRmT3_T4_T5_T6_T7_T9_mT8_P12ihipStream_tbDpT10_ENKUlT_T0_E_clISt17integral_constantIbLb0EES1J_IbLb1EEEEDaS1F_S1G_EUlS1F_E_NS1_11comp_targetILNS1_3genE10ELNS1_11target_archE1200ELNS1_3gpuE4ELNS1_3repE0EEENS1_30default_config_static_selectorELNS0_4arch9wavefront6targetE0EEEvT1_,comdat
	.protected	_ZN7rocprim17ROCPRIM_400000_NS6detail17trampoline_kernelINS0_14default_configENS1_25partition_config_selectorILNS1_17partition_subalgoE6EsNS0_10empty_typeEbEEZZNS1_14partition_implILS5_6ELb0ES3_mN6thrust23THRUST_200600_302600_NS6detail15normal_iteratorINSA_10device_ptrIsEEEEPS6_SG_NS0_5tupleIJSF_S6_EEENSH_IJSG_SG_EEES6_PlJNSB_9not_fun_tINSB_10functional5actorINSM_9compositeIJNSM_27transparent_binary_operatorINSA_8equal_toIvEEEENSN_INSM_8argumentILj0EEEEENSM_5valueIsEEEEEEEEEEEE10hipError_tPvRmT3_T4_T5_T6_T7_T9_mT8_P12ihipStream_tbDpT10_ENKUlT_T0_E_clISt17integral_constantIbLb0EES1J_IbLb1EEEEDaS1F_S1G_EUlS1F_E_NS1_11comp_targetILNS1_3genE10ELNS1_11target_archE1200ELNS1_3gpuE4ELNS1_3repE0EEENS1_30default_config_static_selectorELNS0_4arch9wavefront6targetE0EEEvT1_ ; -- Begin function _ZN7rocprim17ROCPRIM_400000_NS6detail17trampoline_kernelINS0_14default_configENS1_25partition_config_selectorILNS1_17partition_subalgoE6EsNS0_10empty_typeEbEEZZNS1_14partition_implILS5_6ELb0ES3_mN6thrust23THRUST_200600_302600_NS6detail15normal_iteratorINSA_10device_ptrIsEEEEPS6_SG_NS0_5tupleIJSF_S6_EEENSH_IJSG_SG_EEES6_PlJNSB_9not_fun_tINSB_10functional5actorINSM_9compositeIJNSM_27transparent_binary_operatorINSA_8equal_toIvEEEENSN_INSM_8argumentILj0EEEEENSM_5valueIsEEEEEEEEEEEE10hipError_tPvRmT3_T4_T5_T6_T7_T9_mT8_P12ihipStream_tbDpT10_ENKUlT_T0_E_clISt17integral_constantIbLb0EES1J_IbLb1EEEEDaS1F_S1G_EUlS1F_E_NS1_11comp_targetILNS1_3genE10ELNS1_11target_archE1200ELNS1_3gpuE4ELNS1_3repE0EEENS1_30default_config_static_selectorELNS0_4arch9wavefront6targetE0EEEvT1_
	.globl	_ZN7rocprim17ROCPRIM_400000_NS6detail17trampoline_kernelINS0_14default_configENS1_25partition_config_selectorILNS1_17partition_subalgoE6EsNS0_10empty_typeEbEEZZNS1_14partition_implILS5_6ELb0ES3_mN6thrust23THRUST_200600_302600_NS6detail15normal_iteratorINSA_10device_ptrIsEEEEPS6_SG_NS0_5tupleIJSF_S6_EEENSH_IJSG_SG_EEES6_PlJNSB_9not_fun_tINSB_10functional5actorINSM_9compositeIJNSM_27transparent_binary_operatorINSA_8equal_toIvEEEENSN_INSM_8argumentILj0EEEEENSM_5valueIsEEEEEEEEEEEE10hipError_tPvRmT3_T4_T5_T6_T7_T9_mT8_P12ihipStream_tbDpT10_ENKUlT_T0_E_clISt17integral_constantIbLb0EES1J_IbLb1EEEEDaS1F_S1G_EUlS1F_E_NS1_11comp_targetILNS1_3genE10ELNS1_11target_archE1200ELNS1_3gpuE4ELNS1_3repE0EEENS1_30default_config_static_selectorELNS0_4arch9wavefront6targetE0EEEvT1_
	.p2align	8
	.type	_ZN7rocprim17ROCPRIM_400000_NS6detail17trampoline_kernelINS0_14default_configENS1_25partition_config_selectorILNS1_17partition_subalgoE6EsNS0_10empty_typeEbEEZZNS1_14partition_implILS5_6ELb0ES3_mN6thrust23THRUST_200600_302600_NS6detail15normal_iteratorINSA_10device_ptrIsEEEEPS6_SG_NS0_5tupleIJSF_S6_EEENSH_IJSG_SG_EEES6_PlJNSB_9not_fun_tINSB_10functional5actorINSM_9compositeIJNSM_27transparent_binary_operatorINSA_8equal_toIvEEEENSN_INSM_8argumentILj0EEEEENSM_5valueIsEEEEEEEEEEEE10hipError_tPvRmT3_T4_T5_T6_T7_T9_mT8_P12ihipStream_tbDpT10_ENKUlT_T0_E_clISt17integral_constantIbLb0EES1J_IbLb1EEEEDaS1F_S1G_EUlS1F_E_NS1_11comp_targetILNS1_3genE10ELNS1_11target_archE1200ELNS1_3gpuE4ELNS1_3repE0EEENS1_30default_config_static_selectorELNS0_4arch9wavefront6targetE0EEEvT1_,@function
_ZN7rocprim17ROCPRIM_400000_NS6detail17trampoline_kernelINS0_14default_configENS1_25partition_config_selectorILNS1_17partition_subalgoE6EsNS0_10empty_typeEbEEZZNS1_14partition_implILS5_6ELb0ES3_mN6thrust23THRUST_200600_302600_NS6detail15normal_iteratorINSA_10device_ptrIsEEEEPS6_SG_NS0_5tupleIJSF_S6_EEENSH_IJSG_SG_EEES6_PlJNSB_9not_fun_tINSB_10functional5actorINSM_9compositeIJNSM_27transparent_binary_operatorINSA_8equal_toIvEEEENSN_INSM_8argumentILj0EEEEENSM_5valueIsEEEEEEEEEEEE10hipError_tPvRmT3_T4_T5_T6_T7_T9_mT8_P12ihipStream_tbDpT10_ENKUlT_T0_E_clISt17integral_constantIbLb0EES1J_IbLb1EEEEDaS1F_S1G_EUlS1F_E_NS1_11comp_targetILNS1_3genE10ELNS1_11target_archE1200ELNS1_3gpuE4ELNS1_3repE0EEENS1_30default_config_static_selectorELNS0_4arch9wavefront6targetE0EEEvT1_: ; @_ZN7rocprim17ROCPRIM_400000_NS6detail17trampoline_kernelINS0_14default_configENS1_25partition_config_selectorILNS1_17partition_subalgoE6EsNS0_10empty_typeEbEEZZNS1_14partition_implILS5_6ELb0ES3_mN6thrust23THRUST_200600_302600_NS6detail15normal_iteratorINSA_10device_ptrIsEEEEPS6_SG_NS0_5tupleIJSF_S6_EEENSH_IJSG_SG_EEES6_PlJNSB_9not_fun_tINSB_10functional5actorINSM_9compositeIJNSM_27transparent_binary_operatorINSA_8equal_toIvEEEENSN_INSM_8argumentILj0EEEEENSM_5valueIsEEEEEEEEEEEE10hipError_tPvRmT3_T4_T5_T6_T7_T9_mT8_P12ihipStream_tbDpT10_ENKUlT_T0_E_clISt17integral_constantIbLb0EES1J_IbLb1EEEEDaS1F_S1G_EUlS1F_E_NS1_11comp_targetILNS1_3genE10ELNS1_11target_archE1200ELNS1_3gpuE4ELNS1_3repE0EEENS1_30default_config_static_selectorELNS0_4arch9wavefront6targetE0EEEvT1_
; %bb.0:
	s_clause 0x3
	s_load_b64 s[24:25], s[0:1], 0x28
	s_load_b128 s[20:23], s[0:1], 0x40
	s_load_b64 s[8:9], s[0:1], 0x50
	s_load_b64 s[26:27], s[0:1], 0x60
	v_cmp_eq_u32_e64 s2, 0, v0
	s_and_saveexec_b32 s3, s2
	s_cbranch_execz .LBB273_4
; %bb.1:
	s_mov_b32 s5, exec_lo
	s_mov_b32 s4, exec_lo
	v_mbcnt_lo_u32_b32 v1, s5, 0
                                        ; implicit-def: $vgpr2
	s_delay_alu instid0(VALU_DEP_1)
	v_cmpx_eq_u32_e32 0, v1
	s_cbranch_execz .LBB273_3
; %bb.2:
	s_load_b64 s[6:7], s[0:1], 0x70
	s_bcnt1_i32_b32 s5, s5
	s_wait_alu 0xfffe
	v_dual_mov_b32 v2, 0 :: v_dual_mov_b32 v3, s5
	s_wait_kmcnt 0x0
	global_atomic_add_u32 v2, v2, v3, s[6:7] th:TH_ATOMIC_RETURN scope:SCOPE_DEV
.LBB273_3:
	s_or_b32 exec_lo, exec_lo, s4
	s_wait_loadcnt 0x0
	v_readfirstlane_b32 s4, v2
	s_wait_alu 0xf1ff
	s_delay_alu instid0(VALU_DEP_1)
	v_dual_mov_b32 v2, 0 :: v_dual_add_nc_u32 v1, s4, v1
	ds_store_b32 v2, v1
.LBB273_4:
	s_or_b32 exec_lo, exec_lo, s3
	v_dual_mov_b32 v2, 0 :: v_dual_lshlrev_b32 v19, 1, v0
	s_clause 0x2
	s_load_b128 s[4:7], s[0:1], 0x8
	s_load_b32 s3, s[0:1], 0x68
	s_load_b32 s0, s[0:1], 0x78
	s_wait_dscnt 0x0
	s_barrier_signal -1
	s_barrier_wait -1
	global_inv scope:SCOPE_SE
	ds_load_b32 v1, v2
	s_wait_loadcnt_dscnt 0x0
	s_barrier_signal -1
	s_barrier_wait -1
	global_inv scope:SCOPE_SE
	s_wait_kmcnt 0x0
	global_load_b64 v[17:18], v2, s[22:23]
	s_mov_b32 s13, 0
	s_lshl_b64 s[10:11], s[6:7], 1
	s_mul_i32 s12, s3, 0x1b00
	s_add_co_i32 s1, s3, -1
	s_add_co_i32 s3, s12, s6
	s_add_nc_u64 s[6:7], s[6:7], s[12:13]
	s_sub_co_i32 s29, s8, s3
	v_cmp_le_u64_e64 s3, s[8:9], s[6:7]
	v_readfirstlane_b32 s28, v1
	v_mul_lo_u32 v1, 0x1b00, v1
	s_add_nc_u64 s[4:5], s[4:5], s[10:11]
	s_cmp_eq_u32 s28, s1
	s_cselect_b32 s19, -1, 0
	s_delay_alu instid0(VALU_DEP_1) | instskip(SKIP_1) | instid1(SALU_CYCLE_1)
	v_lshlrev_b64_e32 v[1:2], 1, v[1:2]
	s_and_b32 s1, s3, s19
	s_xor_b32 s22, s1, -1
	s_mov_b32 s1, -1
	s_wait_alu 0xfffe
	s_delay_alu instid0(VALU_DEP_1) | instskip(NEXT) | instid1(VALU_DEP_1)
	v_add_co_u32 v20, vcc_lo, s4, v1
	v_add_co_ci_u32_e64 v21, null, s5, v2, vcc_lo
	s_and_b32 vcc_lo, exec_lo, s22
	s_wait_alu 0xfffe
	s_cbranch_vccz .LBB273_6
; %bb.5:
	v_add_co_u32 v1, vcc_lo, v20, v19
	s_wait_alu 0xfffd
	v_add_co_ci_u32_e64 v2, null, 0, v21, vcc_lo
	s_mov_b32 s1, 0
	s_clause 0x11
	flat_load_u16 v3, v[1:2]
	flat_load_u16 v4, v[1:2] offset:768
	flat_load_u16 v5, v[1:2] offset:1536
	;; [unrolled: 1-line block ×17, first 2 shown]
	s_wait_loadcnt_dscnt 0x1111
	ds_store_b16 v19, v3
	s_wait_loadcnt_dscnt 0x1011
	ds_store_b16 v19, v4 offset:768
	s_wait_loadcnt_dscnt 0xf11
	ds_store_b16 v19, v5 offset:1536
	;; [unrolled: 2-line block ×17, first 2 shown]
	s_wait_dscnt 0x0
	s_barrier_signal -1
	s_barrier_wait -1
.LBB273_6:
	s_and_not1_b32 vcc_lo, exec_lo, s1
	s_addk_co_i32 s29, 0x1b00
	s_wait_alu 0xfffe
	s_cbranch_vccnz .LBB273_44
; %bb.7:
	v_mov_b32_e32 v1, 0
	s_mov_b32 s1, exec_lo
	s_delay_alu instid0(VALU_DEP_1)
	v_dual_mov_b32 v2, v1 :: v_dual_mov_b32 v3, v1
	v_dual_mov_b32 v4, v1 :: v_dual_mov_b32 v5, v1
	;; [unrolled: 1-line block ×4, first 2 shown]
	v_cmpx_gt_u32_e64 s29, v0
	s_cbranch_execz .LBB273_9
; %bb.8:
	v_add_co_u32 v3, vcc_lo, v20, v19
	s_wait_alu 0xfffd
	v_add_co_ci_u32_e64 v4, null, 0, v21, vcc_lo
	v_mov_b32_e32 v2, v1
	v_dual_mov_b32 v6, v1 :: v_dual_mov_b32 v7, v1
	v_dual_mov_b32 v5, v1 :: v_dual_mov_b32 v8, v1
	v_mov_b32_e32 v9, v1
	flat_load_d16_b16 v2, v[3:4]
	v_dual_mov_b32 v3, v1 :: v_dual_mov_b32 v4, v1
	v_mov_b32_e32 v10, v1
	s_wait_loadcnt_dscnt 0x0
	v_mov_b32_e32 v1, v2
	s_delay_alu instid0(VALU_DEP_3)
	v_mov_b32_e32 v2, v3
	v_mov_b32_e32 v3, v4
	;; [unrolled: 1-line block ×15, first 2 shown]
.LBB273_9:
	s_or_b32 exec_lo, exec_lo, s1
	v_add_nc_u32_e32 v10, 0x180, v0
	s_mov_b32 s1, exec_lo
	s_delay_alu instid0(VALU_DEP_1)
	v_cmpx_gt_u32_e64 s29, v10
	s_cbranch_execz .LBB273_11
; %bb.10:
	v_add_co_u32 v10, vcc_lo, v20, v19
	s_wait_alu 0xfffd
	v_add_co_ci_u32_e64 v11, null, 0, v21, vcc_lo
	flat_load_d16_hi_b16 v1, v[10:11] offset:768
.LBB273_11:
	s_or_b32 exec_lo, exec_lo, s1
	v_add_nc_u32_e32 v10, 0x300, v0
	s_mov_b32 s1, exec_lo
	s_delay_alu instid0(VALU_DEP_1)
	v_cmpx_gt_u32_e64 s29, v10
	s_cbranch_execz .LBB273_13
; %bb.12:
	v_add_co_u32 v10, vcc_lo, v20, v19
	s_wait_alu 0xfffd
	v_add_co_ci_u32_e64 v11, null, 0, v21, vcc_lo
	flat_load_d16_b16 v2, v[10:11] offset:1536
.LBB273_13:
	s_or_b32 exec_lo, exec_lo, s1
	v_add_nc_u32_e32 v10, 0x480, v0
	s_mov_b32 s1, exec_lo
	s_delay_alu instid0(VALU_DEP_1)
	v_cmpx_gt_u32_e64 s29, v10
	s_cbranch_execz .LBB273_15
; %bb.14:
	v_add_co_u32 v10, vcc_lo, v20, v19
	s_wait_alu 0xfffd
	v_add_co_ci_u32_e64 v11, null, 0, v21, vcc_lo
	s_wait_loadcnt_dscnt 0x0
	flat_load_d16_hi_b16 v2, v[10:11] offset:2304
.LBB273_15:
	s_or_b32 exec_lo, exec_lo, s1
	v_or_b32_e32 v10, 0x600, v0
	s_mov_b32 s1, exec_lo
	s_delay_alu instid0(VALU_DEP_1)
	v_cmpx_gt_u32_e64 s29, v10
	s_cbranch_execz .LBB273_17
; %bb.16:
	v_add_co_u32 v10, vcc_lo, v20, v19
	s_wait_alu 0xfffd
	v_add_co_ci_u32_e64 v11, null, 0, v21, vcc_lo
	flat_load_d16_b16 v3, v[10:11] offset:3072
.LBB273_17:
	s_or_b32 exec_lo, exec_lo, s1
	v_add_nc_u32_e32 v10, 0x780, v0
	s_mov_b32 s1, exec_lo
	s_delay_alu instid0(VALU_DEP_1)
	v_cmpx_gt_u32_e64 s29, v10
	s_cbranch_execz .LBB273_19
; %bb.18:
	v_add_co_u32 v10, vcc_lo, v20, v19
	s_wait_alu 0xfffd
	v_add_co_ci_u32_e64 v11, null, 0, v21, vcc_lo
	s_wait_loadcnt_dscnt 0x0
	flat_load_d16_hi_b16 v3, v[10:11] offset:3840
.LBB273_19:
	s_or_b32 exec_lo, exec_lo, s1
	v_add_nc_u32_e32 v10, 0x900, v0
	s_mov_b32 s1, exec_lo
	s_delay_alu instid0(VALU_DEP_1)
	v_cmpx_gt_u32_e64 s29, v10
	s_cbranch_execz .LBB273_21
; %bb.20:
	v_add_co_u32 v10, vcc_lo, v20, v19
	s_wait_alu 0xfffd
	v_add_co_ci_u32_e64 v11, null, 0, v21, vcc_lo
	flat_load_d16_b16 v4, v[10:11] offset:4608
.LBB273_21:
	s_or_b32 exec_lo, exec_lo, s1
	v_add_nc_u32_e32 v10, 0xa80, v0
	s_mov_b32 s1, exec_lo
	s_delay_alu instid0(VALU_DEP_1)
	v_cmpx_gt_u32_e64 s29, v10
	s_cbranch_execz .LBB273_23
; %bb.22:
	v_add_co_u32 v10, vcc_lo, v20, v19
	s_wait_alu 0xfffd
	v_add_co_ci_u32_e64 v11, null, 0, v21, vcc_lo
	s_wait_loadcnt_dscnt 0x0
	flat_load_d16_hi_b16 v4, v[10:11] offset:5376
.LBB273_23:
	s_or_b32 exec_lo, exec_lo, s1
	v_or_b32_e32 v10, 0xc00, v0
	s_mov_b32 s1, exec_lo
	s_delay_alu instid0(VALU_DEP_1)
	v_cmpx_gt_u32_e64 s29, v10
	s_cbranch_execz .LBB273_25
; %bb.24:
	v_add_co_u32 v10, vcc_lo, v20, v19
	s_wait_alu 0xfffd
	v_add_co_ci_u32_e64 v11, null, 0, v21, vcc_lo
	flat_load_d16_b16 v5, v[10:11] offset:6144
.LBB273_25:
	s_or_b32 exec_lo, exec_lo, s1
	v_add_nc_u32_e32 v10, 0xd80, v0
	s_mov_b32 s1, exec_lo
	s_delay_alu instid0(VALU_DEP_1)
	v_cmpx_gt_u32_e64 s29, v10
	s_cbranch_execz .LBB273_27
; %bb.26:
	v_add_co_u32 v10, vcc_lo, v20, v19
	s_wait_alu 0xfffd
	v_add_co_ci_u32_e64 v11, null, 0, v21, vcc_lo
	s_wait_loadcnt_dscnt 0x0
	flat_load_d16_hi_b16 v5, v[10:11] offset:6912
.LBB273_27:
	;; [unrolled: 50-line block ×4, first 2 shown]
	s_or_b32 exec_lo, exec_lo, s1
	s_wait_loadcnt_dscnt 0x0
	ds_store_b16 v19, v1
	ds_store_b16_d16_hi v19, v1 offset:768
	ds_store_b16 v19, v2 offset:1536
	ds_store_b16_d16_hi v19, v2 offset:2304
	ds_store_b16 v19, v3 offset:3072
	;; [unrolled: 2-line block ×8, first 2 shown]
	ds_store_b16_d16_hi v19, v9 offset:13056
	s_wait_dscnt 0x0
	s_barrier_signal -1
	s_barrier_wait -1
.LBB273_44:
	v_mul_u32_u24_e32 v5, 18, v0
	s_wait_loadcnt 0x0
	global_inv scope:SCOPE_SE
	s_lshr_b32 s30, s0, 16
	s_and_not1_b32 vcc_lo, exec_lo, s22
	v_lshlrev_b32_e32 v6, 1, v5
	ds_load_u16 v55, v6 offset:4
	ds_load_u16 v16, v6 offset:34
	ds_load_b32 v56, v6
	ds_load_b128 v[1:4], v6 offset:6
	ds_load_b96 v[13:15], v6 offset:22
	s_wait_loadcnt_dscnt 0x0
	s_barrier_signal -1
	s_barrier_wait -1
	global_inv scope:SCOPE_SE
	v_cmp_ne_u16_e64 s0, s30, v55
	v_cmp_ne_u16_e64 s23, s30, v16
	;; [unrolled: 1-line block ×3, first 2 shown]
	v_lshrrev_b32_e32 v19, 16, v56
	v_cmp_ne_u16_e64 s7, s30, v1
	v_lshrrev_b32_e32 v12, 16, v1
	v_cmp_ne_u16_e64 s9, s30, v2
	v_lshrrev_b32_e32 v11, 16, v2
	v_cmp_ne_u16_e64 s8, s30, v3
	v_lshrrev_b32_e32 v10, 16, v3
	v_cmp_ne_u16_e64 s6, s30, v4
	v_lshrrev_b32_e32 v9, 16, v4
	v_cmp_ne_u16_e64 s5, s30, v13
	v_lshrrev_b32_e32 v8, 16, v13
	v_cmp_ne_u16_e64 s3, s30, v14
	v_lshrrev_b32_e32 v7, 16, v14
	v_cmp_ne_u16_e64 s4, s30, v15
	v_lshrrev_b32_e32 v6, 16, v15
	s_wait_alu 0xfffe
	s_cbranch_vccnz .LBB273_46
; %bb.45:
	v_cmp_ne_u16_e32 vcc_lo, s30, v19
	s_wait_alu 0xf1ff
	v_cndmask_b32_e64 v22, 0, 1, s7
	v_cndmask_b32_e64 v21, 0, 1, s9
	;; [unrolled: 1-line block ×4, first 2 shown]
	s_wait_alu 0xfffd
	v_cndmask_b32_e64 v20, 0, 1, vcc_lo
	v_lshlrev_b16 v22, 8, v22
	v_cmp_ne_u16_e32 vcc_lo, s30, v12
	v_lshlrev_b16 v21, 8, v21
	v_cndmask_b32_e64 v24, 0, 1, s6
	v_lshlrev_b16 v20, 8, v20
	v_lshrrev_b32_e32 v22, 8, v22
	s_wait_alu 0xfffd
	v_cndmask_b32_e64 v30, 0, 1, vcc_lo
	v_cmp_ne_u16_e32 vcc_lo, s30, v11
	v_lshrrev_b32_e32 v21, 8, v21
	v_lshrrev_b32_e32 v20, 8, v20
	v_lshlrev_b16 v22, 8, v22
	v_cndmask_b32_e64 v25, 0, 1, s5
	v_cndmask_b32_e64 v26, 0, 1, s3
	v_lshlrev_b16 v21, 8, v21
	v_lshlrev_b16 v20, 8, v20
	v_or_b32_e32 v22, v29, v22
	v_lshlrev_b16 v24, 8, v24
	v_lshlrev_b16 v25, 8, v25
	;; [unrolled: 1-line block ×3, first 2 shown]
	v_or_b32_e32 v20, v28, v20
	s_wait_alu 0xfffd
	v_cndmask_b32_e64 v28, 0, 1, vcc_lo
	v_cmp_ne_u16_e32 vcc_lo, s30, v10
	v_or_b32_e32 v21, v30, v21
	v_cndmask_b32_e64 v23, 0, 1, s8
	v_cndmask_b32_e64 v27, 0, 1, s4
	v_lshrrev_b32_e32 v26, 8, v26
	s_wait_alu 0xfffd
	v_cndmask_b32_e64 v29, 0, 1, vcc_lo
	v_cmp_ne_u16_e32 vcc_lo, s30, v9
	v_lshrrev_b32_e32 v24, 8, v24
	v_lshrrev_b32_e32 v25, 8, v25
	v_lshlrev_b16 v23, 8, v23
	v_lshlrev_b16 v27, 8, v27
	s_wait_alu 0xfffd
	v_cndmask_b32_e64 v30, 0, 1, vcc_lo
	v_cmp_ne_u16_e32 vcc_lo, s30, v8
	v_lshlrev_b16 v24, 8, v24
	v_lshlrev_b16 v25, 8, v25
	;; [unrolled: 1-line block ×3, first 2 shown]
	v_or_b32_e32 v23, v28, v23
	s_wait_alu 0xfffd
	v_cndmask_b32_e64 v31, 0, 1, vcc_lo
	v_cmp_ne_u16_e32 vcc_lo, s30, v7
	v_or_b32_e32 v24, v29, v24
	v_or_b32_e32 v25, v30, v25
	v_and_b32_e32 v20, 0xffff, v20
	v_or_b32_e32 v26, v31, v26
	s_wait_alu 0xfffd
	v_cndmask_b32_e64 v32, 0, 1, vcc_lo
	v_lshlrev_b32_e32 v22, 16, v22
	v_and_b32_e32 v21, 0xffff, v21
	v_lshlrev_b32_e32 v23, 16, v23
	v_and_b32_e32 v24, 0xffff, v24
	v_or_b32_e32 v27, v32, v27
	v_lshlrev_b32_e32 v25, 16, v25
	v_and_b32_e32 v26, 0xffff, v26
	v_cmp_ne_u16_e32 vcc_lo, s30, v6
	v_or_b32_e32 v53, v20, v22
	v_lshlrev_b32_e32 v27, 16, v27
	v_or_b32_e32 v61, v21, v23
	v_or_b32_e32 v59, v24, v25
	s_wait_alu 0xfffd
	v_cndmask_b32_e64 v57, 0, 1, vcc_lo
	v_or_b32_e32 v58, v26, v27
	s_cbranch_execz .LBB273_47
	s_branch .LBB273_48
.LBB273_46:
                                        ; implicit-def: $sgpr23
                                        ; implicit-def: $vgpr57
                                        ; implicit-def: $vgpr58
                                        ; implicit-def: $vgpr59
                                        ; implicit-def: $vgpr61
                                        ; implicit-def: $vgpr53
.LBB273_47:
	v_or_b32_e32 v20, 1, v5
	v_cmp_ne_u16_e32 vcc_lo, s30, v19
	v_add_nc_u32_e32 v21, 3, v5
	v_add_nc_u32_e32 v19, 2, v5
	v_cmp_ne_u16_e64 s8, s30, v2
	v_cmp_gt_u32_e64 s3, s29, v20
	v_add_nc_u32_e32 v20, 4, v5
	v_cmp_gt_u32_e64 s6, s29, v21
	v_cmp_gt_u32_e64 s5, s29, v19
	v_add_nc_u32_e32 v19, 7, v5
	s_and_b32 s3, s3, vcc_lo
	v_cmp_ne_u16_e32 vcc_lo, s30, v1
	v_cmp_gt_u32_e64 s7, s29, v20
	v_add_nc_u32_e32 v20, 5, v5
	s_wait_alu 0xfffe
	v_cndmask_b32_e64 v22, 0, 1, s3
	v_cmp_ne_u16_e64 s3, s30, v12
	s_and_b32 s6, s6, vcc_lo
	v_cmp_ne_u16_e32 vcc_lo, s30, v3
	s_wait_alu 0xfffe
	v_cndmask_b32_e64 v21, 0, 1, s6
	v_cmp_gt_u32_e64 s6, s29, v19
	v_cmp_gt_u32_e64 s9, s29, v20
	v_lshlrev_b16 v12, 8, v22
	v_add_nc_u32_e32 v20, 6, v5
	v_lshlrev_b16 v19, 8, v21
	s_and_b32 s6, s6, vcc_lo
	v_cmp_ne_u16_e32 vcc_lo, s30, v11
	s_wait_alu 0xfffe
	v_cndmask_b32_e64 v21, 0, 1, s6
	s_and_b32 s6, s9, s8
	v_add_nc_u32_e32 v11, 8, v5
	s_wait_alu 0xfffe
	v_cndmask_b32_e64 v22, 0, 1, s6
	v_cmp_gt_u32_e64 s6, s29, v20
	v_lshlrev_b16 v20, 8, v21
	v_cmp_ne_u16_e64 s8, s30, v10
	v_cmp_gt_u32_e64 s9, s29, v11
	v_lshlrev_b16 v21, 8, v22
	v_add_nc_u32_e32 v10, 9, v5
	v_lshrrev_b32_e32 v11, 8, v20
	v_cmp_ne_u16_e64 s10, s30, v4
	v_cmp_ne_u16_e64 s13, s30, v13
	v_lshrrev_b32_e32 v20, 8, v21
	v_add_nc_u32_e32 v21, 11, v5
	v_cmp_gt_u32_e64 s11, s29, v10
	v_add_nc_u32_e32 v10, 10, v5
	v_cmp_ne_u16_e64 s12, s30, v9
	v_cmp_ne_u16_e64 s16, s30, v15
	v_cmp_gt_u32_e64 s14, s29, v21
	s_and_b32 s10, s11, s10
	v_cmp_ne_u16_e64 s0, s30, v56
	v_cndmask_b32_e64 v9, 0, 1, s10
	v_cmp_gt_u32_e64 s10, s29, v10
	s_and_b32 s11, s14, s13
	v_add_nc_u32_e32 v10, 12, v5
	s_wait_alu 0xfffe
	v_cndmask_b32_e64 v21, 0, 1, s11
	v_cmp_ne_u16_e64 s11, s30, v8
	v_add_nc_u32_e32 v8, 13, v5
	v_cmp_ne_u16_e64 s14, s30, v14
	v_cmp_gt_u32_e64 s13, s29, v10
	v_lshlrev_b16 v10, 8, v21
	v_add_nc_u32_e32 v21, 15, v5
	v_cmp_gt_u32_e64 s15, s29, v8
	v_cmp_gt_u32_e64 s1, s29, v5
	v_cmp_ne_u16_e64 s4, s30, v55
	v_cmp_ne_u16_e64 s18, s30, v7
	v_cmp_gt_u32_e64 s17, s29, v21
	s_and_b32 s14, s15, s14
	v_add_nc_u32_e32 v7, 16, v5
	v_cndmask_b32_e64 v8, 0, 1, s14
	s_and_b32 s0, s1, s0
	s_and_b32 s14, s17, s16
	v_add_nc_u32_e32 v22, 14, v5
	s_wait_alu 0xfffe
	v_cndmask_b32_e64 v21, 0, 1, s14
	v_cmp_ne_u16_e64 s14, s30, v6
	v_lshlrev_b16 v6, 8, v8
	v_lshrrev_b32_e32 v8, 8, v12
	v_lshrrev_b32_e32 v12, 8, v19
	v_cndmask_b32_e64 v19, 0, 1, s0
	s_and_b32 s0, s5, s4
	v_cmp_gt_u32_e64 s15, s29, v7
	v_lshlrev_b16 v7, 8, v21
	s_wait_alu 0xfffe
	v_cndmask_b32_e64 v21, 0, 1, s0
	s_and_b32 s0, s7, s3
	v_cmp_gt_u32_e64 s16, s29, v22
	v_lshlrev_b16 v8, 8, v8
	v_lshlrev_b16 v12, 8, v12
	v_lshlrev_b16 v20, 8, v20
	s_wait_alu 0xfffe
	v_cndmask_b32_e64 v22, 0, 1, s0
	v_add_nc_u32_e32 v5, 17, v5
	v_or_b32_e32 v8, v19, v8
	v_or_b32_e32 v12, v21, v12
	v_lshlrev_b16 v9, 8, v9
	v_or_b32_e32 v19, v22, v20
	s_and_b32 s3, s6, vcc_lo
	v_cmp_gt_u32_e64 s0, s29, v5
	v_and_b32_e32 v5, 0xffff, v8
	v_lshlrev_b32_e32 v8, 16, v12
	v_and_b32_e32 v12, 0xffff, v19
	s_wait_alu 0xfffe
	v_cndmask_b32_e64 v19, 0, 1, s3
	s_and_b32 s3, s9, s8
	v_lshrrev_b32_e32 v7, 8, v7
	s_wait_alu 0xfffe
	v_cndmask_b32_e64 v20, 0, 1, s3
	s_and_b32 s3, s10, s12
	v_lshrrev_b32_e32 v6, 8, v6
	v_lshrrev_b32_e32 v9, 8, v9
	;; [unrolled: 1-line block ×3, first 2 shown]
	s_wait_alu 0xfffe
	v_cndmask_b32_e64 v21, 0, 1, s3
	s_and_b32 s3, s13, s11
	v_lshlrev_b16 v11, 8, v11
	s_wait_alu 0xfffe
	v_cndmask_b32_e64 v22, 0, 1, s3
	s_and_b32 s3, s16, s18
	v_lshlrev_b16 v9, 8, v9
	v_lshlrev_b16 v10, 8, v10
	;; [unrolled: 1-line block ×4, first 2 shown]
	s_wait_alu 0xfffe
	v_cndmask_b32_e64 v23, 0, 1, s3
	v_or_b32_e32 v11, v19, v11
	v_or_b32_e32 v9, v20, v9
	;; [unrolled: 1-line block ×5, first 2 shown]
	v_cmp_ne_u16_e64 s1, s30, v16
	v_lshlrev_b32_e32 v11, 16, v11
	v_and_b32_e32 v9, 0xffff, v9
	v_lshlrev_b32_e32 v10, 16, v10
	v_and_b32_e32 v6, 0xffff, v6
	v_lshlrev_b32_e32 v7, 16, v7
	s_and_b32 s14, s15, s14
	s_and_b32 s0, s0, s1
	s_wait_alu 0xfffe
	v_cndmask_b32_e64 v57, 0, 1, s14
	v_or_b32_e32 v53, v5, v8
	v_or_b32_e32 v61, v12, v11
	;; [unrolled: 1-line block ×4, first 2 shown]
	s_and_not1_b32 s1, s23, exec_lo
	s_and_b32 s0, s0, exec_lo
	s_wait_alu 0xfffe
	s_or_b32 s23, s1, s0
.LBB273_48:
	v_and_b32_e32 v28, 0xff, v53
	v_bfe_u32 v27, v53, 8, 8
	v_cndmask_b32_e64 v5, 0, 1, s23
	v_bfe_u32 v35, v53, 16, 8
	v_lshrrev_b32_e32 v64, 24, v53
	v_and_b32_e32 v34, 0xff, v61
	v_bfe_u32 v33, v61, 8, 8
	v_add3_u32 v5, v28, v5, v27
	v_bfe_u32 v32, v61, 16, 8
	v_lshrrev_b32_e32 v63, 24, v61
	v_dual_mov_b32 v6, 0 :: v_dual_and_b32 v31, 0xff, v59
	s_delay_alu instid0(VALU_DEP_4) | instskip(SKIP_3) | instid1(VALU_DEP_3)
	v_add_co_u32 v5, s0, v5, v35
	s_wait_alu 0xf1ff
	v_add_co_ci_u32_e64 v7, null, 0, 0, s0
	v_bfe_u32 v30, v59, 8, 8
	v_add_co_u32 v5, vcc_lo, v5, v64
	s_wait_alu 0xfffd
	s_delay_alu instid0(VALU_DEP_3) | instskip(SKIP_1) | instid1(VALU_DEP_3)
	v_add_co_ci_u32_e64 v7, null, 0, v7, vcc_lo
	v_bfe_u32 v29, v59, 16, 8
	v_add_co_u32 v5, vcc_lo, v5, v34
	s_wait_alu 0xfffd
	s_delay_alu instid0(VALU_DEP_3) | instskip(SKIP_1) | instid1(VALU_DEP_3)
	v_add_co_ci_u32_e64 v7, null, 0, v7, vcc_lo
	v_lshrrev_b32_e32 v62, 24, v59
	v_add_co_u32 v5, vcc_lo, v5, v33
	s_wait_alu 0xfffd
	s_delay_alu instid0(VALU_DEP_3) | instskip(SKIP_1) | instid1(VALU_DEP_3)
	v_add_co_ci_u32_e64 v7, null, 0, v7, vcc_lo
	v_and_b32_e32 v67, 0xff, v58
	v_add_co_u32 v5, vcc_lo, v5, v32
	s_wait_alu 0xfffd
	s_delay_alu instid0(VALU_DEP_3) | instskip(SKIP_1) | instid1(VALU_DEP_3)
	v_add_co_ci_u32_e64 v7, null, 0, v7, vcc_lo
	v_bfe_u32 v66, v58, 8, 8
	v_add_co_u32 v5, vcc_lo, v5, v63
	s_wait_alu 0xfffd
	s_delay_alu instid0(VALU_DEP_3) | instskip(SKIP_1) | instid1(VALU_DEP_3)
	v_add_co_ci_u32_e64 v7, null, 0, v7, vcc_lo
	v_bfe_u32 v65, v58, 16, 8
	v_add_co_u32 v5, vcc_lo, v5, v31
	s_wait_alu 0xfffd
	s_delay_alu instid0(VALU_DEP_3) | instskip(SKIP_1) | instid1(VALU_DEP_3)
	v_add_co_ci_u32_e64 v7, null, 0, v7, vcc_lo
	v_lshrrev_b32_e32 v60, 24, v58
	v_add_co_u32 v5, vcc_lo, v5, v30
	s_wait_alu 0xfffd
	s_delay_alu instid0(VALU_DEP_3) | instskip(SKIP_1) | instid1(VALU_DEP_3)
	v_add_co_ci_u32_e64 v7, null, 0, v7, vcc_lo
	v_mbcnt_lo_u32_b32 v36, -1, 0
	v_add_co_u32 v5, vcc_lo, v5, v29
	s_wait_alu 0xfffd
	s_delay_alu instid0(VALU_DEP_3) | instskip(SKIP_1) | instid1(VALU_DEP_3)
	v_add_co_ci_u32_e64 v7, null, 0, v7, vcc_lo
	v_and_b32_e32 v54, 0xff, v57
	v_add_co_u32 v5, vcc_lo, v5, v62
	s_wait_alu 0xfffd
	s_delay_alu instid0(VALU_DEP_3) | instskip(SKIP_1) | instid1(VALU_DEP_3)
	v_add_co_ci_u32_e64 v7, null, 0, v7, vcc_lo
	v_and_b32_e32 v37, 15, v36
	v_add_co_u32 v5, vcc_lo, v5, v67
	s_wait_alu 0xfffd
	s_delay_alu instid0(VALU_DEP_3) | instskip(NEXT) | instid1(VALU_DEP_3)
	v_add_co_ci_u32_e64 v7, null, 0, v7, vcc_lo
	v_cmp_ne_u32_e64 s0, 0, v37
	s_delay_alu instid0(VALU_DEP_3) | instskip(SKIP_1) | instid1(VALU_DEP_3)
	v_add_co_u32 v5, vcc_lo, v5, v66
	s_wait_alu 0xfffd
	v_add_co_ci_u32_e64 v7, null, 0, v7, vcc_lo
	s_cmp_lg_u32 s28, 0
	v_add_co_u32 v5, vcc_lo, v5, v65
	s_wait_alu 0xfffd
	v_add_co_ci_u32_e64 v7, null, 0, v7, vcc_lo
	s_mov_b32 s1, -1
	v_add_co_u32 v5, vcc_lo, v5, v60
	s_wait_alu 0xfffd
	v_add_co_ci_u32_e64 v7, null, 0, v7, vcc_lo
	s_delay_alu instid0(VALU_DEP_2) | instskip(SKIP_1) | instid1(VALU_DEP_2)
	v_add_co_u32 v19, vcc_lo, v5, v54
	s_wait_alu 0xfffd
	v_add_co_ci_u32_e64 v20, null, 0, v7, vcc_lo
	s_cbranch_scc0 .LBB273_107
; %bb.49:
	v_mov_b32_e32 v7, v19
	v_mov_b32_dpp v5, v19 row_shr:1 row_mask:0xf bank_mask:0xf
	v_mov_b32_dpp v10, v6 row_shr:1 row_mask:0xf bank_mask:0xf
	v_dual_mov_b32 v9, v19 :: v_dual_mov_b32 v8, v20
	s_and_saveexec_b32 s1, s0
; %bb.50:
	s_delay_alu instid0(VALU_DEP_3) | instskip(SKIP_2) | instid1(VALU_DEP_2)
	v_add_co_u32 v9, vcc_lo, v19, v5
	s_wait_alu 0xfffd
	v_add_co_ci_u32_e64 v6, null, 0, v20, vcc_lo
	v_add_co_u32 v5, vcc_lo, 0, v9
	s_wait_alu 0xfffd
	s_delay_alu instid0(VALU_DEP_2) | instskip(NEXT) | instid1(VALU_DEP_1)
	v_add_co_ci_u32_e64 v6, null, v10, v6, vcc_lo
	v_dual_mov_b32 v8, v6 :: v_dual_mov_b32 v7, v5
; %bb.51:
	s_wait_alu 0xfffe
	s_or_b32 exec_lo, exec_lo, s1
	v_mov_b32_dpp v5, v9 row_shr:2 row_mask:0xf bank_mask:0xf
	v_mov_b32_dpp v10, v6 row_shr:2 row_mask:0xf bank_mask:0xf
	v_cmp_lt_u32_e32 vcc_lo, 1, v37
	s_and_saveexec_b32 s3, vcc_lo
; %bb.52:
	s_delay_alu instid0(VALU_DEP_3) | instskip(SKIP_2) | instid1(VALU_DEP_2)
	v_add_co_u32 v9, s1, v7, v5
	s_wait_alu 0xf1ff
	v_add_co_ci_u32_e64 v6, null, 0, v8, s1
	v_add_co_u32 v5, s1, 0, v9
	s_wait_alu 0xf1ff
	s_delay_alu instid0(VALU_DEP_2) | instskip(NEXT) | instid1(VALU_DEP_1)
	v_add_co_ci_u32_e64 v6, null, v10, v6, s1
	v_dual_mov_b32 v8, v6 :: v_dual_mov_b32 v7, v5
; %bb.53:
	s_wait_alu 0xfffe
	s_or_b32 exec_lo, exec_lo, s3
	v_mov_b32_dpp v5, v9 row_shr:4 row_mask:0xf bank_mask:0xf
	v_mov_b32_dpp v10, v6 row_shr:4 row_mask:0xf bank_mask:0xf
	v_cmp_lt_u32_e64 s1, 3, v37
	s_and_saveexec_b32 s4, s1
; %bb.54:
	v_add_co_u32 v9, s3, v7, v5
	s_wait_alu 0xf1ff
	v_add_co_ci_u32_e64 v6, null, 0, v8, s3
	s_delay_alu instid0(VALU_DEP_2) | instskip(SKIP_1) | instid1(VALU_DEP_2)
	v_add_co_u32 v5, s3, 0, v9
	s_wait_alu 0xf1ff
	v_add_co_ci_u32_e64 v6, null, v10, v6, s3
	s_delay_alu instid0(VALU_DEP_1)
	v_dual_mov_b32 v8, v6 :: v_dual_mov_b32 v7, v5
; %bb.55:
	s_wait_alu 0xfffe
	s_or_b32 exec_lo, exec_lo, s4
	v_mov_b32_dpp v10, v9 row_shr:8 row_mask:0xf bank_mask:0xf
	v_mov_b32_dpp v5, v6 row_shr:8 row_mask:0xf bank_mask:0xf
	v_cmp_lt_u32_e64 s3, 7, v37
	s_and_saveexec_b32 s5, s3
; %bb.56:
	v_add_co_u32 v9, s4, v7, v10
	s_wait_alu 0xf1ff
	v_add_co_ci_u32_e64 v6, null, 0, v8, s4
	s_delay_alu instid0(VALU_DEP_2) | instskip(SKIP_1) | instid1(VALU_DEP_2)
	v_add_co_u32 v7, s4, 0, v9
	s_wait_alu 0xf1ff
	v_add_co_ci_u32_e64 v8, null, v5, v6, s4
	s_delay_alu instid0(VALU_DEP_1)
	v_mov_b32_e32 v6, v8
; %bb.57:
	s_wait_alu 0xfffe
	s_or_b32 exec_lo, exec_lo, s5
	ds_swizzle_b32 v5, v9 offset:swizzle(BROADCAST,32,15)
	ds_swizzle_b32 v10, v6 offset:swizzle(BROADCAST,32,15)
	v_and_b32_e32 v11, 16, v36
	s_mov_b32 s5, exec_lo
	s_delay_alu instid0(VALU_DEP_1)
	v_cmpx_ne_u32_e32 0, v11
	s_cbranch_execz .LBB273_59
; %bb.58:
	s_wait_dscnt 0x1
	v_add_co_u32 v9, s4, v7, v5
	s_wait_alu 0xf1ff
	v_add_co_ci_u32_e64 v6, null, 0, v8, s4
	s_delay_alu instid0(VALU_DEP_2) | instskip(SKIP_2) | instid1(VALU_DEP_2)
	v_add_co_u32 v5, s4, 0, v9
	s_wait_dscnt 0x0
	s_wait_alu 0xf1ff
	v_add_co_ci_u32_e64 v6, null, v10, v6, s4
	s_delay_alu instid0(VALU_DEP_1)
	v_dual_mov_b32 v8, v6 :: v_dual_mov_b32 v7, v5
.LBB273_59:
	s_wait_alu 0xfffe
	s_or_b32 exec_lo, exec_lo, s5
	s_wait_dscnt 0x1
	v_and_b32_e32 v5, 0x1e0, v0
	s_mov_b32 s5, exec_lo
	s_delay_alu instid0(VALU_DEP_1) | instskip(SKIP_1) | instid1(VALU_DEP_1)
	v_min_u32_e32 v5, 0x160, v5
	s_wait_dscnt 0x0
	v_or_b32_e32 v10, 31, v5
	v_lshrrev_b32_e32 v5, 5, v0
	s_delay_alu instid0(VALU_DEP_2)
	v_cmpx_eq_u32_e64 v0, v10
; %bb.60:
	s_delay_alu instid0(VALU_DEP_2)
	v_lshlrev_b32_e32 v10, 3, v5
	ds_store_b64 v10, v[7:8]
; %bb.61:
	s_wait_alu 0xfffe
	s_or_b32 exec_lo, exec_lo, s5
	s_delay_alu instid0(SALU_CYCLE_1)
	s_mov_b32 s5, exec_lo
	s_wait_loadcnt_dscnt 0x0
	s_barrier_signal -1
	s_barrier_wait -1
	global_inv scope:SCOPE_SE
	v_cmpx_gt_u32_e32 12, v0
	s_cbranch_execz .LBB273_71
; %bb.62:
	v_lshlrev_b32_e32 v10, 3, v0
	ds_load_b64 v[7:8], v10
	s_wait_dscnt 0x0
	v_mov_b32_dpp v21, v7 row_shr:1 row_mask:0xf bank_mask:0xf
	v_mov_b32_dpp v12, v8 row_shr:1 row_mask:0xf bank_mask:0xf
	v_mov_b32_e32 v11, v7
	s_and_saveexec_b32 s6, s0
; %bb.63:
	s_delay_alu instid0(VALU_DEP_3) | instskip(SKIP_2) | instid1(VALU_DEP_2)
	v_add_co_u32 v11, s4, v7, v21
	s_wait_alu 0xf1ff
	v_add_co_ci_u32_e64 v8, null, 0, v8, s4
	v_add_co_u32 v7, s4, 0, v11
	s_wait_alu 0xf1ff
	s_delay_alu instid0(VALU_DEP_2)
	v_add_co_ci_u32_e64 v8, null, v12, v8, s4
; %bb.64:
	s_wait_alu 0xfffe
	s_or_b32 exec_lo, exec_lo, s6
	v_mov_b32_dpp v21, v11 row_shr:2 row_mask:0xf bank_mask:0xf
	s_delay_alu instid0(VALU_DEP_2)
	v_mov_b32_dpp v12, v8 row_shr:2 row_mask:0xf bank_mask:0xf
	s_and_saveexec_b32 s4, vcc_lo
; %bb.65:
	s_delay_alu instid0(VALU_DEP_2) | instskip(SKIP_2) | instid1(VALU_DEP_2)
	v_add_co_u32 v11, vcc_lo, v7, v21
	s_wait_alu 0xfffd
	v_add_co_ci_u32_e64 v8, null, 0, v8, vcc_lo
	v_add_co_u32 v7, vcc_lo, 0, v11
	s_wait_alu 0xfffd
	s_delay_alu instid0(VALU_DEP_2)
	v_add_co_ci_u32_e64 v8, null, v12, v8, vcc_lo
; %bb.66:
	s_wait_alu 0xfffe
	s_or_b32 exec_lo, exec_lo, s4
	v_mov_b32_dpp v21, v11 row_shr:4 row_mask:0xf bank_mask:0xf
	s_delay_alu instid0(VALU_DEP_2)
	v_mov_b32_dpp v12, v8 row_shr:4 row_mask:0xf bank_mask:0xf
	s_and_saveexec_b32 s4, s1
; %bb.67:
	s_delay_alu instid0(VALU_DEP_2) | instskip(SKIP_2) | instid1(VALU_DEP_2)
	v_add_co_u32 v11, vcc_lo, v7, v21
	s_wait_alu 0xfffd
	v_add_co_ci_u32_e64 v8, null, 0, v8, vcc_lo
	v_add_co_u32 v7, vcc_lo, 0, v11
	s_wait_alu 0xfffd
	s_delay_alu instid0(VALU_DEP_2)
	v_add_co_ci_u32_e64 v8, null, v12, v8, vcc_lo
; %bb.68:
	s_wait_alu 0xfffe
	s_or_b32 exec_lo, exec_lo, s4
	v_mov_b32_dpp v12, v11 row_shr:8 row_mask:0xf bank_mask:0xf
	s_delay_alu instid0(VALU_DEP_2)
	v_mov_b32_dpp v11, v8 row_shr:8 row_mask:0xf bank_mask:0xf
	s_and_saveexec_b32 s1, s3
; %bb.69:
	s_delay_alu instid0(VALU_DEP_2) | instskip(SKIP_2) | instid1(VALU_DEP_2)
	v_add_co_u32 v7, vcc_lo, v7, v12
	s_wait_alu 0xfffd
	v_add_co_ci_u32_e64 v8, null, 0, v8, vcc_lo
	v_add_co_u32 v7, vcc_lo, v7, 0
	s_wait_alu 0xfffd
	s_delay_alu instid0(VALU_DEP_2)
	v_add_co_ci_u32_e64 v8, null, v8, v11, vcc_lo
; %bb.70:
	s_wait_alu 0xfffe
	s_or_b32 exec_lo, exec_lo, s1
	ds_store_b64 v10, v[7:8]
.LBB273_71:
	s_wait_alu 0xfffe
	s_or_b32 exec_lo, exec_lo, s5
	s_delay_alu instid0(SALU_CYCLE_1)
	s_mov_b32 s3, exec_lo
	v_cmp_gt_u32_e32 vcc_lo, 32, v0
	s_wait_loadcnt_dscnt 0x0
	s_barrier_signal -1
	s_barrier_wait -1
	global_inv scope:SCOPE_SE
                                        ; implicit-def: $vgpr21_vgpr22
	v_cmpx_lt_u32_e32 31, v0
	s_cbranch_execz .LBB273_73
; %bb.72:
	v_lshl_add_u32 v5, v5, 3, -8
	ds_load_b64 v[21:22], v5
	s_wait_dscnt 0x0
	v_add_co_u32 v9, s1, v9, v21
	s_wait_alu 0xf1ff
	v_add_co_ci_u32_e64 v6, null, v6, v22, s1
.LBB273_73:
	s_wait_alu 0xfffe
	s_or_b32 exec_lo, exec_lo, s3
	v_sub_co_u32 v5, s1, v36, 1
	s_delay_alu instid0(VALU_DEP_1) | instskip(SKIP_1) | instid1(VALU_DEP_1)
	v_cmp_gt_i32_e64 s3, 0, v5
	s_wait_alu 0xf1ff
	v_cndmask_b32_e64 v5, v5, v36, s3
	s_delay_alu instid0(VALU_DEP_1)
	v_lshlrev_b32_e32 v5, 2, v5
	ds_bpermute_b32 v38, v5, v9
	ds_bpermute_b32 v39, v5, v6
	s_and_saveexec_b32 s3, vcc_lo
	s_cbranch_execz .LBB273_112
; %bb.74:
	v_mov_b32_e32 v8, 0
	ds_load_b64 v[5:6], v8 offset:88
	s_and_saveexec_b32 s4, s1
	s_cbranch_execz .LBB273_76
; %bb.75:
	s_add_co_i32 s6, s28, 32
	s_mov_b32 s7, 0
	s_wait_alu 0xfffe
	s_lshl_b64 s[6:7], s[6:7], 4
	s_wait_alu 0xfffe
	s_add_nc_u64 s[6:7], s[26:27], s[6:7]
	s_wait_alu 0xfffe
	v_dual_mov_b32 v7, 1 :: v_dual_mov_b32 v10, s7
	v_mov_b32_e32 v9, s6
	s_wait_dscnt 0x0
	;;#ASMSTART
	global_store_b128 v[9:10], v[5:8] off scope:SCOPE_DEV	
s_wait_storecnt 0x0
	;;#ASMEND
.LBB273_76:
	s_wait_alu 0xfffe
	s_or_b32 exec_lo, exec_lo, s4
	v_xad_u32 v23, v36, -1, s28
	s_mov_b32 s5, 0
	s_mov_b32 s4, exec_lo
	s_delay_alu instid0(VALU_DEP_1) | instskip(NEXT) | instid1(VALU_DEP_1)
	v_add_nc_u32_e32 v7, 32, v23
	v_lshlrev_b64_e32 v[7:8], 4, v[7:8]
	s_delay_alu instid0(VALU_DEP_1) | instskip(SKIP_1) | instid1(VALU_DEP_2)
	v_add_co_u32 v7, vcc_lo, s26, v7
	s_wait_alu 0xfffd
	v_add_co_ci_u32_e64 v8, null, s27, v8, vcc_lo
	;;#ASMSTART
	global_load_b128 v[9:12], v[7:8] off scope:SCOPE_DEV	
s_wait_loadcnt 0x0
	;;#ASMEND
	v_and_b32_e32 v12, 0xff, v11
	s_delay_alu instid0(VALU_DEP_1)
	v_cmpx_eq_u16_e32 0, v12
	s_cbranch_execz .LBB273_79
.LBB273_77:                             ; =>This Inner Loop Header: Depth=1
	;;#ASMSTART
	global_load_b128 v[9:12], v[7:8] off scope:SCOPE_DEV	
s_wait_loadcnt 0x0
	;;#ASMEND
	v_and_b32_e32 v12, 0xff, v11
	s_delay_alu instid0(VALU_DEP_1)
	v_cmp_ne_u16_e32 vcc_lo, 0, v12
	s_wait_alu 0xfffe
	s_or_b32 s5, vcc_lo, s5
	s_wait_alu 0xfffe
	s_and_not1_b32 exec_lo, exec_lo, s5
	s_cbranch_execnz .LBB273_77
; %bb.78:
	s_or_b32 exec_lo, exec_lo, s5
.LBB273_79:
	s_wait_alu 0xfffe
	s_or_b32 exec_lo, exec_lo, s4
	v_cmp_ne_u32_e32 vcc_lo, 31, v36
	v_and_b32_e32 v8, 0xff, v11
	v_lshlrev_b32_e64 v41, v36, -1
	s_mov_b32 s4, exec_lo
	s_wait_alu 0xfffd
	v_add_co_ci_u32_e64 v7, null, 0, v36, vcc_lo
	v_cmp_eq_u16_e32 vcc_lo, 2, v8
	v_mov_b32_e32 v8, v9
	s_delay_alu instid0(VALU_DEP_3)
	v_lshlrev_b32_e32 v40, 2, v7
	s_wait_alu 0xfffd
	v_and_or_b32 v7, vcc_lo, v41, 0x80000000
	ds_bpermute_b32 v24, v40, v9
	ds_bpermute_b32 v12, v40, v10
	v_ctz_i32_b32_e32 v7, v7
	s_delay_alu instid0(VALU_DEP_1)
	v_cmpx_lt_u32_e64 v36, v7
	s_cbranch_execz .LBB273_81
; %bb.80:
	s_wait_dscnt 0x1
	v_add_co_u32 v8, vcc_lo, v9, v24
	s_wait_alu 0xfffd
	v_add_co_ci_u32_e64 v10, null, 0, v10, vcc_lo
	s_delay_alu instid0(VALU_DEP_2) | instskip(SKIP_2) | instid1(VALU_DEP_2)
	v_add_co_u32 v9, vcc_lo, 0, v8
	s_wait_dscnt 0x0
	s_wait_alu 0xfffd
	v_add_co_ci_u32_e64 v10, null, v12, v10, vcc_lo
.LBB273_81:
	s_wait_alu 0xfffe
	s_or_b32 exec_lo, exec_lo, s4
	v_cmp_gt_u32_e32 vcc_lo, 30, v36
	v_add_nc_u32_e32 v43, 2, v36
	s_mov_b32 s4, exec_lo
	s_wait_dscnt 0x0
	s_wait_alu 0xfffd
	v_cndmask_b32_e64 v12, 0, 2, vcc_lo
	s_delay_alu instid0(VALU_DEP_1)
	v_add_lshl_u32 v42, v12, v36, 2
	ds_bpermute_b32 v24, v42, v8
	ds_bpermute_b32 v12, v42, v10
	v_cmpx_le_u32_e64 v43, v7
	s_cbranch_execz .LBB273_83
; %bb.82:
	s_wait_dscnt 0x1
	v_add_co_u32 v8, vcc_lo, v9, v24
	s_wait_alu 0xfffd
	v_add_co_ci_u32_e64 v10, null, 0, v10, vcc_lo
	s_delay_alu instid0(VALU_DEP_2) | instskip(SKIP_2) | instid1(VALU_DEP_2)
	v_add_co_u32 v9, vcc_lo, 0, v8
	s_wait_dscnt 0x0
	s_wait_alu 0xfffd
	v_add_co_ci_u32_e64 v10, null, v12, v10, vcc_lo
.LBB273_83:
	s_wait_alu 0xfffe
	s_or_b32 exec_lo, exec_lo, s4
	v_cmp_gt_u32_e32 vcc_lo, 28, v36
	v_add_nc_u32_e32 v45, 4, v36
	s_mov_b32 s4, exec_lo
	s_wait_dscnt 0x0
	s_wait_alu 0xfffd
	v_cndmask_b32_e64 v12, 0, 4, vcc_lo
	s_delay_alu instid0(VALU_DEP_1)
	v_add_lshl_u32 v44, v12, v36, 2
	ds_bpermute_b32 v24, v44, v8
	ds_bpermute_b32 v12, v44, v10
	v_cmpx_le_u32_e64 v45, v7
	;; [unrolled: 25-line block ×3, first 2 shown]
	s_cbranch_execz .LBB273_87
; %bb.86:
	s_wait_dscnt 0x1
	v_add_co_u32 v8, vcc_lo, v9, v24
	s_wait_alu 0xfffd
	v_add_co_ci_u32_e64 v10, null, 0, v10, vcc_lo
	s_delay_alu instid0(VALU_DEP_2) | instskip(SKIP_2) | instid1(VALU_DEP_2)
	v_add_co_u32 v9, vcc_lo, 0, v8
	s_wait_dscnt 0x0
	s_wait_alu 0xfffd
	v_add_co_ci_u32_e64 v10, null, v12, v10, vcc_lo
.LBB273_87:
	s_wait_alu 0xfffe
	s_or_b32 exec_lo, exec_lo, s4
	v_lshl_or_b32 v48, v36, 2, 64
	v_add_nc_u32_e32 v49, 16, v36
	s_mov_b32 s4, exec_lo
	s_wait_dscnt 0x0
	ds_bpermute_b32 v12, v48, v8
	ds_bpermute_b32 v8, v48, v10
	v_cmpx_le_u32_e64 v49, v7
	s_cbranch_execz .LBB273_89
; %bb.88:
	s_wait_dscnt 0x1
	v_add_co_u32 v7, vcc_lo, v9, v12
	s_wait_alu 0xfffd
	v_add_co_ci_u32_e64 v10, null, 0, v10, vcc_lo
	s_delay_alu instid0(VALU_DEP_2) | instskip(SKIP_2) | instid1(VALU_DEP_2)
	v_add_co_u32 v9, vcc_lo, v7, 0
	s_wait_dscnt 0x0
	s_wait_alu 0xfffd
	v_add_co_ci_u32_e64 v10, null, v10, v8, vcc_lo
.LBB273_89:
	s_wait_alu 0xfffe
	s_or_b32 exec_lo, exec_lo, s4
	v_mov_b32_e32 v24, 0
	s_branch .LBB273_92
.LBB273_90:                             ;   in Loop: Header=BB273_92 Depth=1
	s_wait_alu 0xfffe
	s_or_b32 exec_lo, exec_lo, s4
	v_add_co_u32 v9, vcc_lo, v9, v7
	v_subrev_nc_u32_e32 v23, 32, v23
	s_wait_alu 0xfffd
	v_add_co_ci_u32_e64 v10, null, v10, v8, vcc_lo
	s_mov_b32 s4, 0
.LBB273_91:                             ;   in Loop: Header=BB273_92 Depth=1
	s_wait_alu 0xfffe
	s_and_b32 vcc_lo, exec_lo, s4
	s_wait_alu 0xfffe
	s_cbranch_vccnz .LBB273_108
.LBB273_92:                             ; =>This Loop Header: Depth=1
                                        ;     Child Loop BB273_95 Depth 2
	v_and_b32_e32 v7, 0xff, v11
	s_mov_b32 s4, -1
	s_delay_alu instid0(VALU_DEP_1)
	v_cmp_ne_u16_e32 vcc_lo, 2, v7
	s_wait_dscnt 0x0
	v_dual_mov_b32 v7, v9 :: v_dual_mov_b32 v8, v10
                                        ; implicit-def: $vgpr9_vgpr10
	s_cmp_lg_u32 vcc_lo, exec_lo
	s_cbranch_scc1 .LBB273_91
; %bb.93:                               ;   in Loop: Header=BB273_92 Depth=1
	v_lshlrev_b64_e32 v[9:10], 4, v[23:24]
	s_mov_b32 s4, exec_lo
	s_delay_alu instid0(VALU_DEP_1) | instskip(SKIP_1) | instid1(VALU_DEP_2)
	v_add_co_u32 v25, vcc_lo, s26, v9
	s_wait_alu 0xfffd
	v_add_co_ci_u32_e64 v26, null, s27, v10, vcc_lo
	;;#ASMSTART
	global_load_b128 v[9:12], v[25:26] off scope:SCOPE_DEV	
s_wait_loadcnt 0x0
	;;#ASMEND
	v_and_b32_e32 v12, 0xff, v11
	s_delay_alu instid0(VALU_DEP_1)
	v_cmpx_eq_u16_e32 0, v12
	s_cbranch_execz .LBB273_97
; %bb.94:                               ;   in Loop: Header=BB273_92 Depth=1
	s_mov_b32 s5, 0
.LBB273_95:                             ;   Parent Loop BB273_92 Depth=1
                                        ; =>  This Inner Loop Header: Depth=2
	;;#ASMSTART
	global_load_b128 v[9:12], v[25:26] off scope:SCOPE_DEV	
s_wait_loadcnt 0x0
	;;#ASMEND
	v_and_b32_e32 v12, 0xff, v11
	s_delay_alu instid0(VALU_DEP_1)
	v_cmp_ne_u16_e32 vcc_lo, 0, v12
	s_wait_alu 0xfffe
	s_or_b32 s5, vcc_lo, s5
	s_wait_alu 0xfffe
	s_and_not1_b32 exec_lo, exec_lo, s5
	s_cbranch_execnz .LBB273_95
; %bb.96:                               ;   in Loop: Header=BB273_92 Depth=1
	s_or_b32 exec_lo, exec_lo, s5
.LBB273_97:                             ;   in Loop: Header=BB273_92 Depth=1
	s_wait_alu 0xfffe
	s_or_b32 exec_lo, exec_lo, s4
	v_dual_mov_b32 v25, v9 :: v_dual_and_b32 v12, 0xff, v11
	ds_bpermute_b32 v50, v40, v9
	ds_bpermute_b32 v26, v40, v10
	s_mov_b32 s4, exec_lo
	v_cmp_eq_u16_e32 vcc_lo, 2, v12
	s_wait_alu 0xfffd
	v_and_or_b32 v12, vcc_lo, v41, 0x80000000
	s_delay_alu instid0(VALU_DEP_1) | instskip(NEXT) | instid1(VALU_DEP_1)
	v_ctz_i32_b32_e32 v12, v12
	v_cmpx_lt_u32_e64 v36, v12
	s_cbranch_execz .LBB273_99
; %bb.98:                               ;   in Loop: Header=BB273_92 Depth=1
	s_wait_dscnt 0x1
	v_add_co_u32 v25, vcc_lo, v9, v50
	s_wait_alu 0xfffd
	v_add_co_ci_u32_e64 v10, null, 0, v10, vcc_lo
	s_delay_alu instid0(VALU_DEP_2) | instskip(SKIP_2) | instid1(VALU_DEP_2)
	v_add_co_u32 v9, vcc_lo, 0, v25
	s_wait_dscnt 0x0
	s_wait_alu 0xfffd
	v_add_co_ci_u32_e64 v10, null, v26, v10, vcc_lo
.LBB273_99:                             ;   in Loop: Header=BB273_92 Depth=1
	s_wait_alu 0xfffe
	s_or_b32 exec_lo, exec_lo, s4
	s_wait_dscnt 0x1
	ds_bpermute_b32 v50, v42, v25
	s_wait_dscnt 0x1
	ds_bpermute_b32 v26, v42, v10
	s_mov_b32 s4, exec_lo
	v_cmpx_le_u32_e64 v43, v12
	s_cbranch_execz .LBB273_101
; %bb.100:                              ;   in Loop: Header=BB273_92 Depth=1
	s_wait_dscnt 0x1
	v_add_co_u32 v25, vcc_lo, v9, v50
	s_wait_alu 0xfffd
	v_add_co_ci_u32_e64 v10, null, 0, v10, vcc_lo
	s_delay_alu instid0(VALU_DEP_2) | instskip(SKIP_2) | instid1(VALU_DEP_2)
	v_add_co_u32 v9, vcc_lo, 0, v25
	s_wait_dscnt 0x0
	s_wait_alu 0xfffd
	v_add_co_ci_u32_e64 v10, null, v26, v10, vcc_lo
.LBB273_101:                            ;   in Loop: Header=BB273_92 Depth=1
	s_wait_alu 0xfffe
	s_or_b32 exec_lo, exec_lo, s4
	s_wait_dscnt 0x1
	ds_bpermute_b32 v50, v44, v25
	s_wait_dscnt 0x1
	ds_bpermute_b32 v26, v44, v10
	s_mov_b32 s4, exec_lo
	v_cmpx_le_u32_e64 v45, v12
	s_cbranch_execz .LBB273_103
; %bb.102:                              ;   in Loop: Header=BB273_92 Depth=1
	s_wait_dscnt 0x1
	v_add_co_u32 v25, vcc_lo, v9, v50
	s_wait_alu 0xfffd
	v_add_co_ci_u32_e64 v10, null, 0, v10, vcc_lo
	s_delay_alu instid0(VALU_DEP_2) | instskip(SKIP_2) | instid1(VALU_DEP_2)
	v_add_co_u32 v9, vcc_lo, 0, v25
	s_wait_dscnt 0x0
	s_wait_alu 0xfffd
	v_add_co_ci_u32_e64 v10, null, v26, v10, vcc_lo
.LBB273_103:                            ;   in Loop: Header=BB273_92 Depth=1
	;; [unrolled: 20-line block ×3, first 2 shown]
	s_wait_alu 0xfffe
	s_or_b32 exec_lo, exec_lo, s4
	s_wait_dscnt 0x0
	ds_bpermute_b32 v26, v48, v25
	ds_bpermute_b32 v25, v48, v10
	s_mov_b32 s4, exec_lo
	v_cmpx_le_u32_e64 v49, v12
	s_cbranch_execz .LBB273_90
; %bb.106:                              ;   in Loop: Header=BB273_92 Depth=1
	s_wait_dscnt 0x1
	v_add_co_u32 v9, vcc_lo, v9, v26
	s_wait_alu 0xfffd
	v_add_co_ci_u32_e64 v10, null, 0, v10, vcc_lo
	s_delay_alu instid0(VALU_DEP_2) | instskip(SKIP_2) | instid1(VALU_DEP_2)
	v_add_co_u32 v9, vcc_lo, v9, 0
	s_wait_dscnt 0x0
	s_wait_alu 0xfffd
	v_add_co_ci_u32_e64 v10, null, v10, v25, vcc_lo
	s_branch .LBB273_90
.LBB273_107:
                                        ; implicit-def: $vgpr7_vgpr8
                                        ; implicit-def: $vgpr41_vgpr42
	s_wait_alu 0xfffe
	s_and_b32 vcc_lo, exec_lo, s1
	s_wait_alu 0xfffe
	s_cbranch_vccnz .LBB273_113
	s_branch .LBB273_140
.LBB273_108:
	s_and_saveexec_b32 s4, s1
	s_cbranch_execz .LBB273_110
; %bb.109:
	s_add_co_i32 s6, s28, 32
	s_mov_b32 s7, 0
	v_add_co_u32 v9, vcc_lo, v7, v5
	s_wait_alu 0xfffe
	s_lshl_b64 s[6:7], s[6:7], 4
	v_dual_mov_b32 v11, 2 :: v_dual_mov_b32 v12, 0
	s_wait_alu 0xfffe
	s_add_nc_u64 s[6:7], s[26:27], s[6:7]
	s_wait_alu 0xfffd
	v_add_co_ci_u32_e64 v10, null, v8, v6, vcc_lo
	s_wait_alu 0xfffe
	v_dual_mov_b32 v24, s7 :: v_dual_mov_b32 v23, s6
	;;#ASMSTART
	global_store_b128 v[23:24], v[9:12] off scope:SCOPE_DEV	
s_wait_storecnt 0x0
	;;#ASMEND
	ds_store_b128 v12, v[5:8] offset:13824
.LBB273_110:
	s_wait_alu 0xfffe
	s_or_b32 exec_lo, exec_lo, s4
	s_delay_alu instid0(SALU_CYCLE_1)
	s_and_b32 exec_lo, exec_lo, s2
; %bb.111:
	v_mov_b32_e32 v5, 0
	ds_store_b64 v5, v[7:8] offset:88
.LBB273_112:
	s_wait_alu 0xfffe
	s_or_b32 exec_lo, exec_lo, s3
	v_mov_b32_e32 v5, 0
	s_wait_loadcnt_dscnt 0x0
	s_barrier_signal -1
	s_barrier_wait -1
	global_inv scope:SCOPE_SE
	ds_load_b64 v[9:10], v5 offset:88
	s_wait_loadcnt_dscnt 0x0
	s_barrier_signal -1
	s_barrier_wait -1
	global_inv scope:SCOPE_SE
	ds_load_b128 v[5:8], v5 offset:13824
	v_cndmask_b32_e64 v11, v38, v21, s1
	v_cndmask_b32_e64 v12, v39, v22, s1
	s_delay_alu instid0(VALU_DEP_2) | instskip(NEXT) | instid1(VALU_DEP_2)
	v_cndmask_b32_e64 v11, v11, 0, s2
	v_cndmask_b32_e64 v12, v12, 0, s2
	s_delay_alu instid0(VALU_DEP_2) | instskip(SKIP_1) | instid1(VALU_DEP_2)
	v_add_co_u32 v41, vcc_lo, v9, v11
	s_wait_alu 0xfffd
	v_add_co_ci_u32_e64 v42, null, v10, v12, vcc_lo
	s_branch .LBB273_140
.LBB273_113:
	s_wait_dscnt 0x0
	v_dual_mov_b32 v6, 0 :: v_dual_mov_b32 v7, v19
	v_mov_b32_dpp v8, v19 row_shr:1 row_mask:0xf bank_mask:0xf
	s_delay_alu instid0(VALU_DEP_2)
	v_mov_b32_dpp v5, v6 row_shr:1 row_mask:0xf bank_mask:0xf
	s_and_saveexec_b32 s1, s0
; %bb.114:
	s_delay_alu instid0(VALU_DEP_2) | instskip(SKIP_2) | instid1(VALU_DEP_2)
	v_add_co_u32 v7, vcc_lo, v19, v8
	s_wait_alu 0xfffd
	v_add_co_ci_u32_e64 v6, null, 0, v20, vcc_lo
	v_add_co_u32 v19, vcc_lo, 0, v7
	s_wait_alu 0xfffd
	s_delay_alu instid0(VALU_DEP_2) | instskip(NEXT) | instid1(VALU_DEP_1)
	v_add_co_ci_u32_e64 v20, null, v5, v6, vcc_lo
	v_mov_b32_e32 v6, v20
; %bb.115:
	s_wait_alu 0xfffe
	s_or_b32 exec_lo, exec_lo, s1
	v_mov_b32_dpp v5, v7 row_shr:2 row_mask:0xf bank_mask:0xf
	s_delay_alu instid0(VALU_DEP_2)
	v_mov_b32_dpp v8, v6 row_shr:2 row_mask:0xf bank_mask:0xf
	v_cmp_lt_u32_e32 vcc_lo, 1, v37
	s_and_saveexec_b32 s3, vcc_lo
; %bb.116:
	s_delay_alu instid0(VALU_DEP_3) | instskip(SKIP_2) | instid1(VALU_DEP_2)
	v_add_co_u32 v7, s1, v19, v5
	s_wait_alu 0xf1ff
	v_add_co_ci_u32_e64 v6, null, 0, v20, s1
	v_add_co_u32 v5, s1, 0, v7
	s_wait_alu 0xf1ff
	s_delay_alu instid0(VALU_DEP_2) | instskip(NEXT) | instid1(VALU_DEP_1)
	v_add_co_ci_u32_e64 v6, null, v8, v6, s1
	v_dual_mov_b32 v20, v6 :: v_dual_mov_b32 v19, v5
; %bb.117:
	s_wait_alu 0xfffe
	s_or_b32 exec_lo, exec_lo, s3
	v_mov_b32_dpp v5, v7 row_shr:4 row_mask:0xf bank_mask:0xf
	v_mov_b32_dpp v8, v6 row_shr:4 row_mask:0xf bank_mask:0xf
	v_cmp_lt_u32_e64 s1, 3, v37
	s_and_saveexec_b32 s4, s1
; %bb.118:
	v_add_co_u32 v7, s3, v19, v5
	s_wait_alu 0xf1ff
	v_add_co_ci_u32_e64 v6, null, 0, v20, s3
	s_delay_alu instid0(VALU_DEP_2) | instskip(SKIP_1) | instid1(VALU_DEP_2)
	v_add_co_u32 v5, s3, 0, v7
	s_wait_alu 0xf1ff
	v_add_co_ci_u32_e64 v6, null, v8, v6, s3
	s_delay_alu instid0(VALU_DEP_1)
	v_dual_mov_b32 v20, v6 :: v_dual_mov_b32 v19, v5
; %bb.119:
	s_wait_alu 0xfffe
	s_or_b32 exec_lo, exec_lo, s4
	v_mov_b32_dpp v8, v7 row_shr:8 row_mask:0xf bank_mask:0xf
	v_mov_b32_dpp v5, v6 row_shr:8 row_mask:0xf bank_mask:0xf
	v_cmp_lt_u32_e64 s3, 7, v37
	s_and_saveexec_b32 s5, s3
; %bb.120:
	v_add_co_u32 v7, s4, v19, v8
	s_wait_alu 0xf1ff
	v_add_co_ci_u32_e64 v6, null, 0, v20, s4
	s_delay_alu instid0(VALU_DEP_2) | instskip(SKIP_1) | instid1(VALU_DEP_2)
	v_add_co_u32 v19, s4, 0, v7
	s_wait_alu 0xf1ff
	v_add_co_ci_u32_e64 v20, null, v5, v6, s4
	s_delay_alu instid0(VALU_DEP_1)
	v_mov_b32_e32 v6, v20
; %bb.121:
	s_wait_alu 0xfffe
	s_or_b32 exec_lo, exec_lo, s5
	ds_swizzle_b32 v7, v7 offset:swizzle(BROADCAST,32,15)
	ds_swizzle_b32 v5, v6 offset:swizzle(BROADCAST,32,15)
	v_and_b32_e32 v6, 16, v36
	s_mov_b32 s5, exec_lo
	s_delay_alu instid0(VALU_DEP_1)
	v_cmpx_ne_u32_e32 0, v6
	s_cbranch_execz .LBB273_123
; %bb.122:
	s_wait_dscnt 0x1
	v_add_co_u32 v6, s4, v19, v7
	s_wait_alu 0xf1ff
	v_add_co_ci_u32_e64 v7, null, 0, v20, s4
	s_delay_alu instid0(VALU_DEP_2) | instskip(SKIP_2) | instid1(VALU_DEP_2)
	v_add_co_u32 v19, s4, v6, 0
	s_wait_dscnt 0x0
	s_wait_alu 0xf1ff
	v_add_co_ci_u32_e64 v20, null, v7, v5, s4
.LBB273_123:
	s_wait_alu 0xfffe
	s_or_b32 exec_lo, exec_lo, s5
	s_wait_dscnt 0x0
	v_and_b32_e32 v5, 0x1e0, v0
	v_lshrrev_b32_e32 v7, 5, v0
	s_mov_b32 s5, exec_lo
	s_delay_alu instid0(VALU_DEP_2) | instskip(NEXT) | instid1(VALU_DEP_1)
	v_min_u32_e32 v5, 0x160, v5
	v_or_b32_e32 v5, 31, v5
	s_delay_alu instid0(VALU_DEP_1)
	v_cmpx_eq_u32_e64 v0, v5
; %bb.124:
	v_lshlrev_b32_e32 v5, 3, v7
	ds_store_b64 v5, v[19:20]
; %bb.125:
	s_wait_alu 0xfffe
	s_or_b32 exec_lo, exec_lo, s5
	s_delay_alu instid0(SALU_CYCLE_1)
	s_mov_b32 s5, exec_lo
	s_wait_loadcnt_dscnt 0x0
	s_barrier_signal -1
	s_barrier_wait -1
	global_inv scope:SCOPE_SE
	v_cmpx_gt_u32_e32 12, v0
	s_cbranch_execz .LBB273_135
; %bb.126:
	v_lshlrev_b32_e32 v8, 3, v0
	ds_load_b64 v[5:6], v8
	s_wait_dscnt 0x0
	v_mov_b32_dpp v11, v5 row_shr:1 row_mask:0xf bank_mask:0xf
	v_mov_b32_dpp v10, v6 row_shr:1 row_mask:0xf bank_mask:0xf
	v_mov_b32_e32 v9, v5
	s_and_saveexec_b32 s4, s0
; %bb.127:
	s_delay_alu instid0(VALU_DEP_3) | instskip(SKIP_2) | instid1(VALU_DEP_2)
	v_add_co_u32 v9, s0, v5, v11
	s_wait_alu 0xf1ff
	v_add_co_ci_u32_e64 v6, null, 0, v6, s0
	v_add_co_u32 v5, s0, 0, v9
	s_wait_alu 0xf1ff
	s_delay_alu instid0(VALU_DEP_2)
	v_add_co_ci_u32_e64 v6, null, v10, v6, s0
; %bb.128:
	s_wait_alu 0xfffe
	s_or_b32 exec_lo, exec_lo, s4
	v_mov_b32_dpp v11, v9 row_shr:2 row_mask:0xf bank_mask:0xf
	s_delay_alu instid0(VALU_DEP_2)
	v_mov_b32_dpp v10, v6 row_shr:2 row_mask:0xf bank_mask:0xf
	s_and_saveexec_b32 s0, vcc_lo
; %bb.129:
	s_delay_alu instid0(VALU_DEP_2) | instskip(SKIP_2) | instid1(VALU_DEP_2)
	v_add_co_u32 v9, vcc_lo, v5, v11
	s_wait_alu 0xfffd
	v_add_co_ci_u32_e64 v6, null, 0, v6, vcc_lo
	v_add_co_u32 v5, vcc_lo, 0, v9
	s_wait_alu 0xfffd
	s_delay_alu instid0(VALU_DEP_2)
	v_add_co_ci_u32_e64 v6, null, v10, v6, vcc_lo
; %bb.130:
	s_wait_alu 0xfffe
	s_or_b32 exec_lo, exec_lo, s0
	v_mov_b32_dpp v11, v9 row_shr:4 row_mask:0xf bank_mask:0xf
	s_delay_alu instid0(VALU_DEP_2)
	v_mov_b32_dpp v10, v6 row_shr:4 row_mask:0xf bank_mask:0xf
	s_and_saveexec_b32 s0, s1
; %bb.131:
	s_delay_alu instid0(VALU_DEP_2) | instskip(SKIP_2) | instid1(VALU_DEP_2)
	v_add_co_u32 v9, vcc_lo, v5, v11
	s_wait_alu 0xfffd
	v_add_co_ci_u32_e64 v6, null, 0, v6, vcc_lo
	v_add_co_u32 v5, vcc_lo, 0, v9
	s_wait_alu 0xfffd
	s_delay_alu instid0(VALU_DEP_2)
	v_add_co_ci_u32_e64 v6, null, v10, v6, vcc_lo
; %bb.132:
	s_wait_alu 0xfffe
	s_or_b32 exec_lo, exec_lo, s0
	v_mov_b32_dpp v10, v9 row_shr:8 row_mask:0xf bank_mask:0xf
	s_delay_alu instid0(VALU_DEP_2)
	v_mov_b32_dpp v9, v6 row_shr:8 row_mask:0xf bank_mask:0xf
	s_and_saveexec_b32 s0, s3
; %bb.133:
	s_delay_alu instid0(VALU_DEP_2) | instskip(SKIP_2) | instid1(VALU_DEP_2)
	v_add_co_u32 v5, vcc_lo, v5, v10
	s_wait_alu 0xfffd
	v_add_co_ci_u32_e64 v6, null, 0, v6, vcc_lo
	v_add_co_u32 v5, vcc_lo, v5, 0
	s_wait_alu 0xfffd
	s_delay_alu instid0(VALU_DEP_2)
	v_add_co_ci_u32_e64 v6, null, v6, v9, vcc_lo
; %bb.134:
	s_wait_alu 0xfffe
	s_or_b32 exec_lo, exec_lo, s0
	ds_store_b64 v8, v[5:6]
.LBB273_135:
	s_wait_alu 0xfffe
	s_or_b32 exec_lo, exec_lo, s5
	v_mov_b32_e32 v9, 0
	v_mov_b32_e32 v10, 0
	s_mov_b32 s0, exec_lo
	s_wait_loadcnt_dscnt 0x0
	s_barrier_signal -1
	s_barrier_wait -1
	global_inv scope:SCOPE_SE
	v_cmpx_lt_u32_e32 31, v0
; %bb.136:
	v_lshl_add_u32 v5, v7, 3, -8
	ds_load_b64 v[9:10], v5
; %bb.137:
	s_wait_alu 0xfffe
	s_or_b32 exec_lo, exec_lo, s0
	v_sub_co_u32 v5, vcc_lo, v36, 1
	v_mov_b32_e32 v8, 0
	s_delay_alu instid0(VALU_DEP_2) | instskip(SKIP_1) | instid1(VALU_DEP_1)
	v_cmp_gt_i32_e64 s0, 0, v5
	s_wait_alu 0xf1ff
	v_cndmask_b32_e64 v5, v5, v36, s0
	s_wait_dscnt 0x0
	v_add_co_u32 v6, s0, v9, v19
	s_wait_alu 0xf1ff
	v_add_co_ci_u32_e64 v7, null, v10, v20, s0
	v_lshlrev_b32_e32 v5, 2, v5
	ds_bpermute_b32 v11, v5, v6
	ds_bpermute_b32 v12, v5, v7
	ds_load_b64 v[5:6], v8 offset:88
	s_and_saveexec_b32 s0, s2
	s_cbranch_execz .LBB273_139
; %bb.138:
	s_add_nc_u64 s[4:5], s[26:27], 0x200
	s_wait_alu 0xfffe
	v_dual_mov_b32 v7, 2 :: v_dual_mov_b32 v20, s5
	v_mov_b32_e32 v19, s4
	s_wait_dscnt 0x0
	;;#ASMSTART
	global_store_b128 v[19:20], v[5:8] off scope:SCOPE_DEV	
s_wait_storecnt 0x0
	;;#ASMEND
.LBB273_139:
	s_wait_alu 0xfffe
	s_or_b32 exec_lo, exec_lo, s0
	s_wait_dscnt 0x1
	s_wait_alu 0xfffd
	v_dual_cndmask_b32 v10, v12, v10 :: v_dual_cndmask_b32 v9, v11, v9
	v_mov_b32_e32 v7, 0
	v_mov_b32_e32 v8, 0
	s_wait_loadcnt_dscnt 0x0
	s_delay_alu instid0(VALU_DEP_3)
	v_cndmask_b32_e64 v42, v10, 0, s2
	v_cndmask_b32_e64 v41, v9, 0, s2
	s_barrier_signal -1
	s_barrier_wait -1
	global_inv scope:SCOPE_SE
.LBB273_140:
	s_delay_alu instid0(VALU_DEP_2) | instskip(SKIP_1) | instid1(VALU_DEP_2)
	v_add_co_u32 v51, vcc_lo, v41, v28
	s_wait_alu 0xfffd
	v_add_co_ci_u32_e64 v52, null, 0, v42, vcc_lo
	v_lshlrev_b64_e32 v[9:10], 1, v[17:18]
	s_delay_alu instid0(VALU_DEP_3) | instskip(SKIP_1) | instid1(VALU_DEP_3)
	v_add_co_u32 v49, vcc_lo, v51, v27
	s_wait_alu 0xfffd
	v_add_co_ci_u32_e64 v50, null, 0, v52, vcc_lo
	v_lshrrev_b32_e32 v72, 16, v61
	s_delay_alu instid0(VALU_DEP_3) | instskip(SKIP_1) | instid1(VALU_DEP_3)
	v_add_co_u32 v47, vcc_lo, v49, v35
	s_wait_alu 0xfffd
	v_add_co_ci_u32_e64 v48, null, 0, v50, vcc_lo
	v_lshrrev_b32_e32 v73, 8, v61
	;; [unrolled: 5-line block ×8, first 2 shown]
	s_delay_alu instid0(VALU_DEP_3) | instskip(SKIP_1) | instid1(VALU_DEP_3)
	v_add_co_u32 v31, vcc_lo, v33, v30
	s_wait_alu 0xfffd
	v_add_co_ci_u32_e64 v32, null, 0, v34, vcc_lo
	s_mov_b32 s1, -1
	v_add_co_u32 v29, vcc_lo, v31, v29
	s_wait_alu 0xfffd
	v_add_co_ci_u32_e64 v30, null, 0, v32, vcc_lo
	s_delay_alu instid0(VALU_DEP_2) | instskip(SKIP_1) | instid1(VALU_DEP_2)
	v_add_co_u32 v27, vcc_lo, v29, v62
	s_wait_alu 0xfffd
	v_add_co_ci_u32_e64 v28, null, 0, v30, vcc_lo
	s_delay_alu instid0(VALU_DEP_2) | instskip(SKIP_1) | instid1(VALU_DEP_2)
	v_add_co_u32 v21, vcc_lo, v27, v67
	s_wait_alu 0xfffd
	v_add_co_ci_u32_e64 v22, null, 0, v28, vcc_lo
	s_wait_dscnt 0x0
	v_cmp_gt_u64_e32 vcc_lo, 0x181, v[5:6]
	v_add_co_u32 v25, s0, v21, v66
	s_wait_alu 0xf1ff
	v_add_co_ci_u32_e64 v26, null, 0, v22, s0
	v_and_b32_e32 v66, 1, v53
	s_delay_alu instid0(VALU_DEP_3) | instskip(SKIP_1) | instid1(VALU_DEP_3)
	v_add_co_u32 v23, s0, v25, v65
	s_wait_alu 0xf1ff
	v_add_co_ci_u32_e64 v24, null, 0, v26, s0
	s_and_b32 vcc_lo, exec_lo, vcc_lo
	v_add_co_u32 v19, s0, v23, v60
	s_wait_alu 0xf1ff
	v_add_co_ci_u32_e64 v20, null, 0, v24, s0
	s_delay_alu instid0(VALU_DEP_2) | instskip(SKIP_1) | instid1(VALU_DEP_2)
	v_add_co_u32 v11, s0, v19, v54
	s_wait_alu 0xf1ff
	v_add_co_ci_u32_e64 v12, null, 0, v20, s0
	v_cmp_eq_u32_e64 s0, 1, v66
	s_wait_alu 0xfffe
	s_cbranch_vccnz .LBB273_144
; %bb.141:
	s_and_b32 vcc_lo, exec_lo, s1
	s_wait_alu 0xfffe
	s_cbranch_vccnz .LBB273_181
.LBB273_142:
	s_and_b32 s0, s2, s19
	s_wait_alu 0xfffe
	s_and_saveexec_b32 s1, s0
	s_cbranch_execnz .LBB273_220
.LBB273_143:
	s_endpgm
.LBB273_144:
	v_add_co_u32 v53, vcc_lo, v7, v5
	s_wait_alu 0xfffd
	v_add_co_ci_u32_e64 v54, null, v8, v6, vcc_lo
	v_add_co_u32 v65, s1, s24, v9
	s_wait_alu 0xf1ff
	v_add_co_ci_u32_e64 v67, null, s25, v10, s1
	s_delay_alu instid0(VALU_DEP_3)
	v_cmp_lt_u64_e32 vcc_lo, v[41:42], v[53:54]
	s_or_b32 s1, s22, vcc_lo
	s_wait_alu 0xfffe
	s_and_b32 s1, s1, s0
	s_wait_alu 0xfffe
	s_and_saveexec_b32 s0, s1
	s_cbranch_execz .LBB273_146
; %bb.145:
	v_lshlrev_b64_e32 v[76:77], 1, v[41:42]
	s_delay_alu instid0(VALU_DEP_1) | instskip(SKIP_1) | instid1(VALU_DEP_2)
	v_add_co_u32 v76, vcc_lo, v65, v76
	s_wait_alu 0xfffd
	v_add_co_ci_u32_e64 v77, null, v67, v77, vcc_lo
	global_store_b16 v[76:77], v56, off
.LBB273_146:
	s_wait_alu 0xfffe
	s_or_b32 exec_lo, exec_lo, s0
	v_and_b32_e32 v42, 1, v75
	v_cmp_lt_u64_e32 vcc_lo, v[51:52], v[53:54]
	s_delay_alu instid0(VALU_DEP_2)
	v_cmp_eq_u32_e64 s0, 1, v42
	s_or_b32 s1, s22, vcc_lo
	s_wait_alu 0xfffe
	s_and_b32 s1, s1, s0
	s_wait_alu 0xfffe
	s_and_saveexec_b32 s0, s1
	s_cbranch_execz .LBB273_148
; %bb.147:
	v_lshlrev_b64_e32 v[76:77], 1, v[51:52]
	s_delay_alu instid0(VALU_DEP_1) | instskip(SKIP_1) | instid1(VALU_DEP_2)
	v_add_co_u32 v76, vcc_lo, v65, v76
	s_wait_alu 0xfffd
	v_add_co_ci_u32_e64 v77, null, v67, v77, vcc_lo
	global_store_d16_hi_b16 v[76:77], v56, off
.LBB273_148:
	s_wait_alu 0xfffe
	s_or_b32 exec_lo, exec_lo, s0
	v_and_b32_e32 v42, 1, v74
	v_cmp_lt_u64_e32 vcc_lo, v[49:50], v[53:54]
	s_delay_alu instid0(VALU_DEP_2)
	v_cmp_eq_u32_e64 s0, 1, v42
	s_or_b32 s1, s22, vcc_lo
	s_wait_alu 0xfffe
	s_and_b32 s1, s1, s0
	s_wait_alu 0xfffe
	s_and_saveexec_b32 s0, s1
	s_cbranch_execz .LBB273_150
; %bb.149:
	v_lshlrev_b64_e32 v[76:77], 1, v[49:50]
	s_delay_alu instid0(VALU_DEP_1) | instskip(SKIP_1) | instid1(VALU_DEP_2)
	v_add_co_u32 v76, vcc_lo, v65, v76
	s_wait_alu 0xfffd
	v_add_co_ci_u32_e64 v77, null, v67, v77, vcc_lo
	global_store_b16 v[76:77], v55, off
.LBB273_150:
	s_wait_alu 0xfffe
	s_or_b32 exec_lo, exec_lo, s0
	v_and_b32_e32 v42, 1, v64
	v_cmp_lt_u64_e32 vcc_lo, v[47:48], v[53:54]
	s_delay_alu instid0(VALU_DEP_2)
	v_cmp_eq_u32_e64 s0, 1, v42
	s_or_b32 s1, s22, vcc_lo
	s_wait_alu 0xfffe
	s_and_b32 s1, s1, s0
	s_wait_alu 0xfffe
	s_and_saveexec_b32 s0, s1
	s_cbranch_execz .LBB273_152
; %bb.151:
	v_lshlrev_b64_e32 v[76:77], 1, v[47:48]
	s_delay_alu instid0(VALU_DEP_1) | instskip(SKIP_1) | instid1(VALU_DEP_2)
	v_add_co_u32 v76, vcc_lo, v65, v76
	s_wait_alu 0xfffd
	v_add_co_ci_u32_e64 v77, null, v67, v77, vcc_lo
	global_store_b16 v[76:77], v1, off
.LBB273_152:
	s_wait_alu 0xfffe
	s_or_b32 exec_lo, exec_lo, s0
	v_and_b32_e32 v42, 1, v61
	v_cmp_lt_u64_e32 vcc_lo, v[45:46], v[53:54]
	s_delay_alu instid0(VALU_DEP_2)
	v_cmp_eq_u32_e64 s0, 1, v42
	s_or_b32 s1, s22, vcc_lo
	s_wait_alu 0xfffe
	s_and_b32 s1, s1, s0
	s_wait_alu 0xfffe
	s_and_saveexec_b32 s0, s1
	s_cbranch_execz .LBB273_154
; %bb.153:
	v_lshlrev_b64_e32 v[76:77], 1, v[45:46]
	s_delay_alu instid0(VALU_DEP_1) | instskip(SKIP_1) | instid1(VALU_DEP_2)
	v_add_co_u32 v76, vcc_lo, v65, v76
	s_wait_alu 0xfffd
	v_add_co_ci_u32_e64 v77, null, v67, v77, vcc_lo
	global_store_d16_hi_b16 v[76:77], v1, off
.LBB273_154:
	s_wait_alu 0xfffe
	s_or_b32 exec_lo, exec_lo, s0
	v_and_b32_e32 v42, 1, v73
	v_cmp_lt_u64_e32 vcc_lo, v[43:44], v[53:54]
	s_delay_alu instid0(VALU_DEP_2)
	v_cmp_eq_u32_e64 s0, 1, v42
	s_or_b32 s1, s22, vcc_lo
	s_wait_alu 0xfffe
	s_and_b32 s1, s1, s0
	s_wait_alu 0xfffe
	s_and_saveexec_b32 s0, s1
	s_cbranch_execz .LBB273_156
; %bb.155:
	v_lshlrev_b64_e32 v[76:77], 1, v[43:44]
	s_delay_alu instid0(VALU_DEP_1) | instskip(SKIP_1) | instid1(VALU_DEP_2)
	v_add_co_u32 v76, vcc_lo, v65, v76
	s_wait_alu 0xfffd
	v_add_co_ci_u32_e64 v77, null, v67, v77, vcc_lo
	global_store_b16 v[76:77], v2, off
.LBB273_156:
	s_wait_alu 0xfffe
	s_or_b32 exec_lo, exec_lo, s0
	v_and_b32_e32 v42, 1, v72
	v_cmp_lt_u64_e32 vcc_lo, v[39:40], v[53:54]
	s_delay_alu instid0(VALU_DEP_2)
	v_cmp_eq_u32_e64 s0, 1, v42
	s_or_b32 s1, s22, vcc_lo
	s_wait_alu 0xfffe
	s_and_b32 s1, s1, s0
	s_wait_alu 0xfffe
	s_and_saveexec_b32 s0, s1
	s_cbranch_execz .LBB273_158
; %bb.157:
	v_lshlrev_b64_e32 v[76:77], 1, v[39:40]
	s_delay_alu instid0(VALU_DEP_1) | instskip(SKIP_1) | instid1(VALU_DEP_2)
	v_add_co_u32 v76, vcc_lo, v65, v76
	s_wait_alu 0xfffd
	v_add_co_ci_u32_e64 v77, null, v67, v77, vcc_lo
	global_store_d16_hi_b16 v[76:77], v2, off
.LBB273_158:
	;; [unrolled: 40-line block ×7, first 2 shown]
	s_wait_alu 0xfffe
	s_or_b32 exec_lo, exec_lo, s0
	v_cmp_lt_u64_e32 vcc_lo, v[11:12], v[53:54]
	s_or_b32 s0, s22, vcc_lo
	s_wait_alu 0xfffe
	s_and_b32 s1, s0, s23
	s_wait_alu 0xfffe
	s_and_saveexec_b32 s0, s1
	s_cbranch_execz .LBB273_180
; %bb.179:
	v_lshlrev_b64_e32 v[52:53], 1, v[11:12]
	s_delay_alu instid0(VALU_DEP_1) | instskip(SKIP_1) | instid1(VALU_DEP_2)
	v_add_co_u32 v52, vcc_lo, v65, v52
	s_wait_alu 0xfffd
	v_add_co_ci_u32_e64 v53, null, v67, v53, vcc_lo
	global_store_b16 v[52:53], v16, off
.LBB273_180:
	s_wait_alu 0xfffe
	s_or_b32 exec_lo, exec_lo, s0
	s_branch .LBB273_142
.LBB273_181:
	s_mov_b32 s0, exec_lo
	v_cmpx_eq_u32_e32 1, v66
; %bb.182:
	v_sub_nc_u32_e32 v12, v41, v7
	s_delay_alu instid0(VALU_DEP_1)
	v_lshlrev_b32_e32 v12, 1, v12
	ds_store_b16 v12, v56
; %bb.183:
	s_wait_alu 0xfffe
	s_or_b32 exec_lo, exec_lo, s0
	v_and_b32_e32 v12, 1, v75
	s_mov_b32 s0, exec_lo
	s_delay_alu instid0(VALU_DEP_1)
	v_cmpx_eq_u32_e32 1, v12
; %bb.184:
	v_sub_nc_u32_e32 v12, v51, v7
	s_delay_alu instid0(VALU_DEP_1)
	v_lshlrev_b32_e32 v12, 1, v12
	ds_store_b16_d16_hi v12, v56
; %bb.185:
	s_wait_alu 0xfffe
	s_or_b32 exec_lo, exec_lo, s0
	v_and_b32_e32 v12, 1, v74
	s_mov_b32 s0, exec_lo
	s_delay_alu instid0(VALU_DEP_1)
	v_cmpx_eq_u32_e32 1, v12
; %bb.186:
	v_sub_nc_u32_e32 v12, v49, v7
	s_delay_alu instid0(VALU_DEP_1)
	v_lshlrev_b32_e32 v12, 1, v12
	ds_store_b16 v12, v55
; %bb.187:
	s_wait_alu 0xfffe
	s_or_b32 exec_lo, exec_lo, s0
	v_and_b32_e32 v12, 1, v64
	s_mov_b32 s0, exec_lo
	s_delay_alu instid0(VALU_DEP_1)
	v_cmpx_eq_u32_e32 1, v12
; %bb.188:
	v_sub_nc_u32_e32 v12, v47, v7
	s_delay_alu instid0(VALU_DEP_1)
	v_lshlrev_b32_e32 v12, 1, v12
	ds_store_b16 v12, v1
; %bb.189:
	s_wait_alu 0xfffe
	s_or_b32 exec_lo, exec_lo, s0
	v_and_b32_e32 v12, 1, v61
	s_mov_b32 s0, exec_lo
	s_delay_alu instid0(VALU_DEP_1)
	v_cmpx_eq_u32_e32 1, v12
; %bb.190:
	v_sub_nc_u32_e32 v12, v45, v7
	s_delay_alu instid0(VALU_DEP_1)
	v_lshlrev_b32_e32 v12, 1, v12
	ds_store_b16_d16_hi v12, v1
; %bb.191:
	s_wait_alu 0xfffe
	s_or_b32 exec_lo, exec_lo, s0
	v_and_b32_e32 v1, 1, v73
	s_mov_b32 s0, exec_lo
	s_delay_alu instid0(VALU_DEP_1)
	v_cmpx_eq_u32_e32 1, v1
; %bb.192:
	v_sub_nc_u32_e32 v1, v43, v7
	s_delay_alu instid0(VALU_DEP_1)
	v_lshlrev_b32_e32 v1, 1, v1
	ds_store_b16 v1, v2
; %bb.193:
	s_wait_alu 0xfffe
	s_or_b32 exec_lo, exec_lo, s0
	v_and_b32_e32 v1, 1, v72
	s_mov_b32 s0, exec_lo
	s_delay_alu instid0(VALU_DEP_1)
	v_cmpx_eq_u32_e32 1, v1
; %bb.194:
	v_sub_nc_u32_e32 v1, v39, v7
	s_delay_alu instid0(VALU_DEP_1)
	v_lshlrev_b32_e32 v1, 1, v1
	ds_store_b16_d16_hi v1, v2
	;; [unrolled: 24-line block ×7, first 2 shown]
; %bb.215:
	s_wait_alu 0xfffe
	s_or_b32 exec_lo, exec_lo, s0
	s_and_saveexec_b32 s0, s23
; %bb.216:
	v_sub_nc_u32_e32 v1, v11, v7
	s_delay_alu instid0(VALU_DEP_1)
	v_lshlrev_b32_e32 v1, 1, v1
	ds_store_b16 v1, v16
; %bb.217:
	s_wait_alu 0xfffe
	s_or_b32 exec_lo, exec_lo, s0
	v_lshlrev_b64_e32 v[11:12], 1, v[7:8]
	v_add_co_u32 v4, vcc_lo, s24, v9
	v_mov_b32_e32 v1, 0
	s_wait_alu 0xfffd
	v_add_co_ci_u32_e64 v9, null, s25, v10, vcc_lo
	s_delay_alu instid0(VALU_DEP_3) | instskip(NEXT) | instid1(VALU_DEP_3)
	v_add_co_u32 v4, vcc_lo, v4, v11
	v_dual_mov_b32 v3, v1 :: v_dual_mov_b32 v2, v0
	s_wait_alu 0xfffd
	s_delay_alu instid0(VALU_DEP_3)
	v_add_co_ci_u32_e64 v9, null, v9, v12, vcc_lo
	v_add_nc_u32_e32 v0, 0x180, v0
	s_mov_b32 s1, 0
	s_wait_storecnt 0x0
	s_wait_loadcnt_dscnt 0x0
	s_barrier_signal -1
	s_barrier_wait -1
	global_inv scope:SCOPE_SE
.LBB273_218:                            ; =>This Inner Loop Header: Depth=1
	v_lshlrev_b32_e32 v10, 1, v2
	v_cmp_le_u64_e32 vcc_lo, v[5:6], v[0:1]
	ds_load_u16 v12, v10
	v_lshlrev_b64_e32 v[10:11], 1, v[2:3]
	v_dual_mov_b32 v3, v1 :: v_dual_mov_b32 v2, v0
	v_add_nc_u32_e32 v0, 0x180, v0
	s_wait_alu 0xfffe
	s_or_b32 s1, vcc_lo, s1
	s_delay_alu instid0(VALU_DEP_3)
	v_add_co_u32 v10, s0, v4, v10
	s_wait_alu 0xf1ff
	v_add_co_ci_u32_e64 v11, null, v9, v11, s0
	s_wait_dscnt 0x0
	global_store_b16 v[10:11], v12, off
	s_wait_alu 0xfffe
	s_and_not1_b32 exec_lo, exec_lo, s1
	s_cbranch_execnz .LBB273_218
; %bb.219:
	s_or_b32 exec_lo, exec_lo, s1
	s_and_b32 s0, s2, s19
	s_wait_alu 0xfffe
	s_and_saveexec_b32 s1, s0
	s_cbranch_execz .LBB273_143
.LBB273_220:
	v_add_co_u32 v0, vcc_lo, v7, v5
	s_wait_alu 0xfffd
	v_add_co_ci_u32_e64 v1, null, v8, v6, vcc_lo
	v_mov_b32_e32 v2, 0
	s_delay_alu instid0(VALU_DEP_3) | instskip(SKIP_1) | instid1(VALU_DEP_3)
	v_add_co_u32 v0, vcc_lo, v0, v17
	s_wait_alu 0xfffd
	v_add_co_ci_u32_e64 v1, null, v1, v18, vcc_lo
	global_store_b64 v2, v[0:1], s[20:21]
	s_endpgm
	.section	.rodata,"a",@progbits
	.p2align	6, 0x0
	.amdhsa_kernel _ZN7rocprim17ROCPRIM_400000_NS6detail17trampoline_kernelINS0_14default_configENS1_25partition_config_selectorILNS1_17partition_subalgoE6EsNS0_10empty_typeEbEEZZNS1_14partition_implILS5_6ELb0ES3_mN6thrust23THRUST_200600_302600_NS6detail15normal_iteratorINSA_10device_ptrIsEEEEPS6_SG_NS0_5tupleIJSF_S6_EEENSH_IJSG_SG_EEES6_PlJNSB_9not_fun_tINSB_10functional5actorINSM_9compositeIJNSM_27transparent_binary_operatorINSA_8equal_toIvEEEENSN_INSM_8argumentILj0EEEEENSM_5valueIsEEEEEEEEEEEE10hipError_tPvRmT3_T4_T5_T6_T7_T9_mT8_P12ihipStream_tbDpT10_ENKUlT_T0_E_clISt17integral_constantIbLb0EES1J_IbLb1EEEEDaS1F_S1G_EUlS1F_E_NS1_11comp_targetILNS1_3genE10ELNS1_11target_archE1200ELNS1_3gpuE4ELNS1_3repE0EEENS1_30default_config_static_selectorELNS0_4arch9wavefront6targetE0EEEvT1_
		.amdhsa_group_segment_fixed_size 13840
		.amdhsa_private_segment_fixed_size 0
		.amdhsa_kernarg_size 128
		.amdhsa_user_sgpr_count 2
		.amdhsa_user_sgpr_dispatch_ptr 0
		.amdhsa_user_sgpr_queue_ptr 0
		.amdhsa_user_sgpr_kernarg_segment_ptr 1
		.amdhsa_user_sgpr_dispatch_id 0
		.amdhsa_user_sgpr_private_segment_size 0
		.amdhsa_wavefront_size32 1
		.amdhsa_uses_dynamic_stack 0
		.amdhsa_enable_private_segment 0
		.amdhsa_system_sgpr_workgroup_id_x 1
		.amdhsa_system_sgpr_workgroup_id_y 0
		.amdhsa_system_sgpr_workgroup_id_z 0
		.amdhsa_system_sgpr_workgroup_info 0
		.amdhsa_system_vgpr_workitem_id 0
		.amdhsa_next_free_vgpr 78
		.amdhsa_next_free_sgpr 31
		.amdhsa_reserve_vcc 1
		.amdhsa_float_round_mode_32 0
		.amdhsa_float_round_mode_16_64 0
		.amdhsa_float_denorm_mode_32 3
		.amdhsa_float_denorm_mode_16_64 3
		.amdhsa_fp16_overflow 0
		.amdhsa_workgroup_processor_mode 1
		.amdhsa_memory_ordered 1
		.amdhsa_forward_progress 1
		.amdhsa_inst_pref_size 93
		.amdhsa_round_robin_scheduling 0
		.amdhsa_exception_fp_ieee_invalid_op 0
		.amdhsa_exception_fp_denorm_src 0
		.amdhsa_exception_fp_ieee_div_zero 0
		.amdhsa_exception_fp_ieee_overflow 0
		.amdhsa_exception_fp_ieee_underflow 0
		.amdhsa_exception_fp_ieee_inexact 0
		.amdhsa_exception_int_div_zero 0
	.end_amdhsa_kernel
	.section	.text._ZN7rocprim17ROCPRIM_400000_NS6detail17trampoline_kernelINS0_14default_configENS1_25partition_config_selectorILNS1_17partition_subalgoE6EsNS0_10empty_typeEbEEZZNS1_14partition_implILS5_6ELb0ES3_mN6thrust23THRUST_200600_302600_NS6detail15normal_iteratorINSA_10device_ptrIsEEEEPS6_SG_NS0_5tupleIJSF_S6_EEENSH_IJSG_SG_EEES6_PlJNSB_9not_fun_tINSB_10functional5actorINSM_9compositeIJNSM_27transparent_binary_operatorINSA_8equal_toIvEEEENSN_INSM_8argumentILj0EEEEENSM_5valueIsEEEEEEEEEEEE10hipError_tPvRmT3_T4_T5_T6_T7_T9_mT8_P12ihipStream_tbDpT10_ENKUlT_T0_E_clISt17integral_constantIbLb0EES1J_IbLb1EEEEDaS1F_S1G_EUlS1F_E_NS1_11comp_targetILNS1_3genE10ELNS1_11target_archE1200ELNS1_3gpuE4ELNS1_3repE0EEENS1_30default_config_static_selectorELNS0_4arch9wavefront6targetE0EEEvT1_,"axG",@progbits,_ZN7rocprim17ROCPRIM_400000_NS6detail17trampoline_kernelINS0_14default_configENS1_25partition_config_selectorILNS1_17partition_subalgoE6EsNS0_10empty_typeEbEEZZNS1_14partition_implILS5_6ELb0ES3_mN6thrust23THRUST_200600_302600_NS6detail15normal_iteratorINSA_10device_ptrIsEEEEPS6_SG_NS0_5tupleIJSF_S6_EEENSH_IJSG_SG_EEES6_PlJNSB_9not_fun_tINSB_10functional5actorINSM_9compositeIJNSM_27transparent_binary_operatorINSA_8equal_toIvEEEENSN_INSM_8argumentILj0EEEEENSM_5valueIsEEEEEEEEEEEE10hipError_tPvRmT3_T4_T5_T6_T7_T9_mT8_P12ihipStream_tbDpT10_ENKUlT_T0_E_clISt17integral_constantIbLb0EES1J_IbLb1EEEEDaS1F_S1G_EUlS1F_E_NS1_11comp_targetILNS1_3genE10ELNS1_11target_archE1200ELNS1_3gpuE4ELNS1_3repE0EEENS1_30default_config_static_selectorELNS0_4arch9wavefront6targetE0EEEvT1_,comdat
.Lfunc_end273:
	.size	_ZN7rocprim17ROCPRIM_400000_NS6detail17trampoline_kernelINS0_14default_configENS1_25partition_config_selectorILNS1_17partition_subalgoE6EsNS0_10empty_typeEbEEZZNS1_14partition_implILS5_6ELb0ES3_mN6thrust23THRUST_200600_302600_NS6detail15normal_iteratorINSA_10device_ptrIsEEEEPS6_SG_NS0_5tupleIJSF_S6_EEENSH_IJSG_SG_EEES6_PlJNSB_9not_fun_tINSB_10functional5actorINSM_9compositeIJNSM_27transparent_binary_operatorINSA_8equal_toIvEEEENSN_INSM_8argumentILj0EEEEENSM_5valueIsEEEEEEEEEEEE10hipError_tPvRmT3_T4_T5_T6_T7_T9_mT8_P12ihipStream_tbDpT10_ENKUlT_T0_E_clISt17integral_constantIbLb0EES1J_IbLb1EEEEDaS1F_S1G_EUlS1F_E_NS1_11comp_targetILNS1_3genE10ELNS1_11target_archE1200ELNS1_3gpuE4ELNS1_3repE0EEENS1_30default_config_static_selectorELNS0_4arch9wavefront6targetE0EEEvT1_, .Lfunc_end273-_ZN7rocprim17ROCPRIM_400000_NS6detail17trampoline_kernelINS0_14default_configENS1_25partition_config_selectorILNS1_17partition_subalgoE6EsNS0_10empty_typeEbEEZZNS1_14partition_implILS5_6ELb0ES3_mN6thrust23THRUST_200600_302600_NS6detail15normal_iteratorINSA_10device_ptrIsEEEEPS6_SG_NS0_5tupleIJSF_S6_EEENSH_IJSG_SG_EEES6_PlJNSB_9not_fun_tINSB_10functional5actorINSM_9compositeIJNSM_27transparent_binary_operatorINSA_8equal_toIvEEEENSN_INSM_8argumentILj0EEEEENSM_5valueIsEEEEEEEEEEEE10hipError_tPvRmT3_T4_T5_T6_T7_T9_mT8_P12ihipStream_tbDpT10_ENKUlT_T0_E_clISt17integral_constantIbLb0EES1J_IbLb1EEEEDaS1F_S1G_EUlS1F_E_NS1_11comp_targetILNS1_3genE10ELNS1_11target_archE1200ELNS1_3gpuE4ELNS1_3repE0EEENS1_30default_config_static_selectorELNS0_4arch9wavefront6targetE0EEEvT1_
                                        ; -- End function
	.set _ZN7rocprim17ROCPRIM_400000_NS6detail17trampoline_kernelINS0_14default_configENS1_25partition_config_selectorILNS1_17partition_subalgoE6EsNS0_10empty_typeEbEEZZNS1_14partition_implILS5_6ELb0ES3_mN6thrust23THRUST_200600_302600_NS6detail15normal_iteratorINSA_10device_ptrIsEEEEPS6_SG_NS0_5tupleIJSF_S6_EEENSH_IJSG_SG_EEES6_PlJNSB_9not_fun_tINSB_10functional5actorINSM_9compositeIJNSM_27transparent_binary_operatorINSA_8equal_toIvEEEENSN_INSM_8argumentILj0EEEEENSM_5valueIsEEEEEEEEEEEE10hipError_tPvRmT3_T4_T5_T6_T7_T9_mT8_P12ihipStream_tbDpT10_ENKUlT_T0_E_clISt17integral_constantIbLb0EES1J_IbLb1EEEEDaS1F_S1G_EUlS1F_E_NS1_11comp_targetILNS1_3genE10ELNS1_11target_archE1200ELNS1_3gpuE4ELNS1_3repE0EEENS1_30default_config_static_selectorELNS0_4arch9wavefront6targetE0EEEvT1_.num_vgpr, 78
	.set _ZN7rocprim17ROCPRIM_400000_NS6detail17trampoline_kernelINS0_14default_configENS1_25partition_config_selectorILNS1_17partition_subalgoE6EsNS0_10empty_typeEbEEZZNS1_14partition_implILS5_6ELb0ES3_mN6thrust23THRUST_200600_302600_NS6detail15normal_iteratorINSA_10device_ptrIsEEEEPS6_SG_NS0_5tupleIJSF_S6_EEENSH_IJSG_SG_EEES6_PlJNSB_9not_fun_tINSB_10functional5actorINSM_9compositeIJNSM_27transparent_binary_operatorINSA_8equal_toIvEEEENSN_INSM_8argumentILj0EEEEENSM_5valueIsEEEEEEEEEEEE10hipError_tPvRmT3_T4_T5_T6_T7_T9_mT8_P12ihipStream_tbDpT10_ENKUlT_T0_E_clISt17integral_constantIbLb0EES1J_IbLb1EEEEDaS1F_S1G_EUlS1F_E_NS1_11comp_targetILNS1_3genE10ELNS1_11target_archE1200ELNS1_3gpuE4ELNS1_3repE0EEENS1_30default_config_static_selectorELNS0_4arch9wavefront6targetE0EEEvT1_.num_agpr, 0
	.set _ZN7rocprim17ROCPRIM_400000_NS6detail17trampoline_kernelINS0_14default_configENS1_25partition_config_selectorILNS1_17partition_subalgoE6EsNS0_10empty_typeEbEEZZNS1_14partition_implILS5_6ELb0ES3_mN6thrust23THRUST_200600_302600_NS6detail15normal_iteratorINSA_10device_ptrIsEEEEPS6_SG_NS0_5tupleIJSF_S6_EEENSH_IJSG_SG_EEES6_PlJNSB_9not_fun_tINSB_10functional5actorINSM_9compositeIJNSM_27transparent_binary_operatorINSA_8equal_toIvEEEENSN_INSM_8argumentILj0EEEEENSM_5valueIsEEEEEEEEEEEE10hipError_tPvRmT3_T4_T5_T6_T7_T9_mT8_P12ihipStream_tbDpT10_ENKUlT_T0_E_clISt17integral_constantIbLb0EES1J_IbLb1EEEEDaS1F_S1G_EUlS1F_E_NS1_11comp_targetILNS1_3genE10ELNS1_11target_archE1200ELNS1_3gpuE4ELNS1_3repE0EEENS1_30default_config_static_selectorELNS0_4arch9wavefront6targetE0EEEvT1_.numbered_sgpr, 31
	.set _ZN7rocprim17ROCPRIM_400000_NS6detail17trampoline_kernelINS0_14default_configENS1_25partition_config_selectorILNS1_17partition_subalgoE6EsNS0_10empty_typeEbEEZZNS1_14partition_implILS5_6ELb0ES3_mN6thrust23THRUST_200600_302600_NS6detail15normal_iteratorINSA_10device_ptrIsEEEEPS6_SG_NS0_5tupleIJSF_S6_EEENSH_IJSG_SG_EEES6_PlJNSB_9not_fun_tINSB_10functional5actorINSM_9compositeIJNSM_27transparent_binary_operatorINSA_8equal_toIvEEEENSN_INSM_8argumentILj0EEEEENSM_5valueIsEEEEEEEEEEEE10hipError_tPvRmT3_T4_T5_T6_T7_T9_mT8_P12ihipStream_tbDpT10_ENKUlT_T0_E_clISt17integral_constantIbLb0EES1J_IbLb1EEEEDaS1F_S1G_EUlS1F_E_NS1_11comp_targetILNS1_3genE10ELNS1_11target_archE1200ELNS1_3gpuE4ELNS1_3repE0EEENS1_30default_config_static_selectorELNS0_4arch9wavefront6targetE0EEEvT1_.num_named_barrier, 0
	.set _ZN7rocprim17ROCPRIM_400000_NS6detail17trampoline_kernelINS0_14default_configENS1_25partition_config_selectorILNS1_17partition_subalgoE6EsNS0_10empty_typeEbEEZZNS1_14partition_implILS5_6ELb0ES3_mN6thrust23THRUST_200600_302600_NS6detail15normal_iteratorINSA_10device_ptrIsEEEEPS6_SG_NS0_5tupleIJSF_S6_EEENSH_IJSG_SG_EEES6_PlJNSB_9not_fun_tINSB_10functional5actorINSM_9compositeIJNSM_27transparent_binary_operatorINSA_8equal_toIvEEEENSN_INSM_8argumentILj0EEEEENSM_5valueIsEEEEEEEEEEEE10hipError_tPvRmT3_T4_T5_T6_T7_T9_mT8_P12ihipStream_tbDpT10_ENKUlT_T0_E_clISt17integral_constantIbLb0EES1J_IbLb1EEEEDaS1F_S1G_EUlS1F_E_NS1_11comp_targetILNS1_3genE10ELNS1_11target_archE1200ELNS1_3gpuE4ELNS1_3repE0EEENS1_30default_config_static_selectorELNS0_4arch9wavefront6targetE0EEEvT1_.private_seg_size, 0
	.set _ZN7rocprim17ROCPRIM_400000_NS6detail17trampoline_kernelINS0_14default_configENS1_25partition_config_selectorILNS1_17partition_subalgoE6EsNS0_10empty_typeEbEEZZNS1_14partition_implILS5_6ELb0ES3_mN6thrust23THRUST_200600_302600_NS6detail15normal_iteratorINSA_10device_ptrIsEEEEPS6_SG_NS0_5tupleIJSF_S6_EEENSH_IJSG_SG_EEES6_PlJNSB_9not_fun_tINSB_10functional5actorINSM_9compositeIJNSM_27transparent_binary_operatorINSA_8equal_toIvEEEENSN_INSM_8argumentILj0EEEEENSM_5valueIsEEEEEEEEEEEE10hipError_tPvRmT3_T4_T5_T6_T7_T9_mT8_P12ihipStream_tbDpT10_ENKUlT_T0_E_clISt17integral_constantIbLb0EES1J_IbLb1EEEEDaS1F_S1G_EUlS1F_E_NS1_11comp_targetILNS1_3genE10ELNS1_11target_archE1200ELNS1_3gpuE4ELNS1_3repE0EEENS1_30default_config_static_selectorELNS0_4arch9wavefront6targetE0EEEvT1_.uses_vcc, 1
	.set _ZN7rocprim17ROCPRIM_400000_NS6detail17trampoline_kernelINS0_14default_configENS1_25partition_config_selectorILNS1_17partition_subalgoE6EsNS0_10empty_typeEbEEZZNS1_14partition_implILS5_6ELb0ES3_mN6thrust23THRUST_200600_302600_NS6detail15normal_iteratorINSA_10device_ptrIsEEEEPS6_SG_NS0_5tupleIJSF_S6_EEENSH_IJSG_SG_EEES6_PlJNSB_9not_fun_tINSB_10functional5actorINSM_9compositeIJNSM_27transparent_binary_operatorINSA_8equal_toIvEEEENSN_INSM_8argumentILj0EEEEENSM_5valueIsEEEEEEEEEEEE10hipError_tPvRmT3_T4_T5_T6_T7_T9_mT8_P12ihipStream_tbDpT10_ENKUlT_T0_E_clISt17integral_constantIbLb0EES1J_IbLb1EEEEDaS1F_S1G_EUlS1F_E_NS1_11comp_targetILNS1_3genE10ELNS1_11target_archE1200ELNS1_3gpuE4ELNS1_3repE0EEENS1_30default_config_static_selectorELNS0_4arch9wavefront6targetE0EEEvT1_.uses_flat_scratch, 1
	.set _ZN7rocprim17ROCPRIM_400000_NS6detail17trampoline_kernelINS0_14default_configENS1_25partition_config_selectorILNS1_17partition_subalgoE6EsNS0_10empty_typeEbEEZZNS1_14partition_implILS5_6ELb0ES3_mN6thrust23THRUST_200600_302600_NS6detail15normal_iteratorINSA_10device_ptrIsEEEEPS6_SG_NS0_5tupleIJSF_S6_EEENSH_IJSG_SG_EEES6_PlJNSB_9not_fun_tINSB_10functional5actorINSM_9compositeIJNSM_27transparent_binary_operatorINSA_8equal_toIvEEEENSN_INSM_8argumentILj0EEEEENSM_5valueIsEEEEEEEEEEEE10hipError_tPvRmT3_T4_T5_T6_T7_T9_mT8_P12ihipStream_tbDpT10_ENKUlT_T0_E_clISt17integral_constantIbLb0EES1J_IbLb1EEEEDaS1F_S1G_EUlS1F_E_NS1_11comp_targetILNS1_3genE10ELNS1_11target_archE1200ELNS1_3gpuE4ELNS1_3repE0EEENS1_30default_config_static_selectorELNS0_4arch9wavefront6targetE0EEEvT1_.has_dyn_sized_stack, 0
	.set _ZN7rocprim17ROCPRIM_400000_NS6detail17trampoline_kernelINS0_14default_configENS1_25partition_config_selectorILNS1_17partition_subalgoE6EsNS0_10empty_typeEbEEZZNS1_14partition_implILS5_6ELb0ES3_mN6thrust23THRUST_200600_302600_NS6detail15normal_iteratorINSA_10device_ptrIsEEEEPS6_SG_NS0_5tupleIJSF_S6_EEENSH_IJSG_SG_EEES6_PlJNSB_9not_fun_tINSB_10functional5actorINSM_9compositeIJNSM_27transparent_binary_operatorINSA_8equal_toIvEEEENSN_INSM_8argumentILj0EEEEENSM_5valueIsEEEEEEEEEEEE10hipError_tPvRmT3_T4_T5_T6_T7_T9_mT8_P12ihipStream_tbDpT10_ENKUlT_T0_E_clISt17integral_constantIbLb0EES1J_IbLb1EEEEDaS1F_S1G_EUlS1F_E_NS1_11comp_targetILNS1_3genE10ELNS1_11target_archE1200ELNS1_3gpuE4ELNS1_3repE0EEENS1_30default_config_static_selectorELNS0_4arch9wavefront6targetE0EEEvT1_.has_recursion, 0
	.set _ZN7rocprim17ROCPRIM_400000_NS6detail17trampoline_kernelINS0_14default_configENS1_25partition_config_selectorILNS1_17partition_subalgoE6EsNS0_10empty_typeEbEEZZNS1_14partition_implILS5_6ELb0ES3_mN6thrust23THRUST_200600_302600_NS6detail15normal_iteratorINSA_10device_ptrIsEEEEPS6_SG_NS0_5tupleIJSF_S6_EEENSH_IJSG_SG_EEES6_PlJNSB_9not_fun_tINSB_10functional5actorINSM_9compositeIJNSM_27transparent_binary_operatorINSA_8equal_toIvEEEENSN_INSM_8argumentILj0EEEEENSM_5valueIsEEEEEEEEEEEE10hipError_tPvRmT3_T4_T5_T6_T7_T9_mT8_P12ihipStream_tbDpT10_ENKUlT_T0_E_clISt17integral_constantIbLb0EES1J_IbLb1EEEEDaS1F_S1G_EUlS1F_E_NS1_11comp_targetILNS1_3genE10ELNS1_11target_archE1200ELNS1_3gpuE4ELNS1_3repE0EEENS1_30default_config_static_selectorELNS0_4arch9wavefront6targetE0EEEvT1_.has_indirect_call, 0
	.section	.AMDGPU.csdata,"",@progbits
; Kernel info:
; codeLenInByte = 11780
; TotalNumSgprs: 33
; NumVgprs: 78
; ScratchSize: 0
; MemoryBound: 0
; FloatMode: 240
; IeeeMode: 1
; LDSByteSize: 13840 bytes/workgroup (compile time only)
; SGPRBlocks: 0
; VGPRBlocks: 9
; NumSGPRsForWavesPerEU: 33
; NumVGPRsForWavesPerEU: 78
; Occupancy: 15
; WaveLimiterHint : 1
; COMPUTE_PGM_RSRC2:SCRATCH_EN: 0
; COMPUTE_PGM_RSRC2:USER_SGPR: 2
; COMPUTE_PGM_RSRC2:TRAP_HANDLER: 0
; COMPUTE_PGM_RSRC2:TGID_X_EN: 1
; COMPUTE_PGM_RSRC2:TGID_Y_EN: 0
; COMPUTE_PGM_RSRC2:TGID_Z_EN: 0
; COMPUTE_PGM_RSRC2:TIDIG_COMP_CNT: 0
	.section	.text._ZN7rocprim17ROCPRIM_400000_NS6detail17trampoline_kernelINS0_14default_configENS1_25partition_config_selectorILNS1_17partition_subalgoE6EsNS0_10empty_typeEbEEZZNS1_14partition_implILS5_6ELb0ES3_mN6thrust23THRUST_200600_302600_NS6detail15normal_iteratorINSA_10device_ptrIsEEEEPS6_SG_NS0_5tupleIJSF_S6_EEENSH_IJSG_SG_EEES6_PlJNSB_9not_fun_tINSB_10functional5actorINSM_9compositeIJNSM_27transparent_binary_operatorINSA_8equal_toIvEEEENSN_INSM_8argumentILj0EEEEENSM_5valueIsEEEEEEEEEEEE10hipError_tPvRmT3_T4_T5_T6_T7_T9_mT8_P12ihipStream_tbDpT10_ENKUlT_T0_E_clISt17integral_constantIbLb0EES1J_IbLb1EEEEDaS1F_S1G_EUlS1F_E_NS1_11comp_targetILNS1_3genE9ELNS1_11target_archE1100ELNS1_3gpuE3ELNS1_3repE0EEENS1_30default_config_static_selectorELNS0_4arch9wavefront6targetE0EEEvT1_,"axG",@progbits,_ZN7rocprim17ROCPRIM_400000_NS6detail17trampoline_kernelINS0_14default_configENS1_25partition_config_selectorILNS1_17partition_subalgoE6EsNS0_10empty_typeEbEEZZNS1_14partition_implILS5_6ELb0ES3_mN6thrust23THRUST_200600_302600_NS6detail15normal_iteratorINSA_10device_ptrIsEEEEPS6_SG_NS0_5tupleIJSF_S6_EEENSH_IJSG_SG_EEES6_PlJNSB_9not_fun_tINSB_10functional5actorINSM_9compositeIJNSM_27transparent_binary_operatorINSA_8equal_toIvEEEENSN_INSM_8argumentILj0EEEEENSM_5valueIsEEEEEEEEEEEE10hipError_tPvRmT3_T4_T5_T6_T7_T9_mT8_P12ihipStream_tbDpT10_ENKUlT_T0_E_clISt17integral_constantIbLb0EES1J_IbLb1EEEEDaS1F_S1G_EUlS1F_E_NS1_11comp_targetILNS1_3genE9ELNS1_11target_archE1100ELNS1_3gpuE3ELNS1_3repE0EEENS1_30default_config_static_selectorELNS0_4arch9wavefront6targetE0EEEvT1_,comdat
	.protected	_ZN7rocprim17ROCPRIM_400000_NS6detail17trampoline_kernelINS0_14default_configENS1_25partition_config_selectorILNS1_17partition_subalgoE6EsNS0_10empty_typeEbEEZZNS1_14partition_implILS5_6ELb0ES3_mN6thrust23THRUST_200600_302600_NS6detail15normal_iteratorINSA_10device_ptrIsEEEEPS6_SG_NS0_5tupleIJSF_S6_EEENSH_IJSG_SG_EEES6_PlJNSB_9not_fun_tINSB_10functional5actorINSM_9compositeIJNSM_27transparent_binary_operatorINSA_8equal_toIvEEEENSN_INSM_8argumentILj0EEEEENSM_5valueIsEEEEEEEEEEEE10hipError_tPvRmT3_T4_T5_T6_T7_T9_mT8_P12ihipStream_tbDpT10_ENKUlT_T0_E_clISt17integral_constantIbLb0EES1J_IbLb1EEEEDaS1F_S1G_EUlS1F_E_NS1_11comp_targetILNS1_3genE9ELNS1_11target_archE1100ELNS1_3gpuE3ELNS1_3repE0EEENS1_30default_config_static_selectorELNS0_4arch9wavefront6targetE0EEEvT1_ ; -- Begin function _ZN7rocprim17ROCPRIM_400000_NS6detail17trampoline_kernelINS0_14default_configENS1_25partition_config_selectorILNS1_17partition_subalgoE6EsNS0_10empty_typeEbEEZZNS1_14partition_implILS5_6ELb0ES3_mN6thrust23THRUST_200600_302600_NS6detail15normal_iteratorINSA_10device_ptrIsEEEEPS6_SG_NS0_5tupleIJSF_S6_EEENSH_IJSG_SG_EEES6_PlJNSB_9not_fun_tINSB_10functional5actorINSM_9compositeIJNSM_27transparent_binary_operatorINSA_8equal_toIvEEEENSN_INSM_8argumentILj0EEEEENSM_5valueIsEEEEEEEEEEEE10hipError_tPvRmT3_T4_T5_T6_T7_T9_mT8_P12ihipStream_tbDpT10_ENKUlT_T0_E_clISt17integral_constantIbLb0EES1J_IbLb1EEEEDaS1F_S1G_EUlS1F_E_NS1_11comp_targetILNS1_3genE9ELNS1_11target_archE1100ELNS1_3gpuE3ELNS1_3repE0EEENS1_30default_config_static_selectorELNS0_4arch9wavefront6targetE0EEEvT1_
	.globl	_ZN7rocprim17ROCPRIM_400000_NS6detail17trampoline_kernelINS0_14default_configENS1_25partition_config_selectorILNS1_17partition_subalgoE6EsNS0_10empty_typeEbEEZZNS1_14partition_implILS5_6ELb0ES3_mN6thrust23THRUST_200600_302600_NS6detail15normal_iteratorINSA_10device_ptrIsEEEEPS6_SG_NS0_5tupleIJSF_S6_EEENSH_IJSG_SG_EEES6_PlJNSB_9not_fun_tINSB_10functional5actorINSM_9compositeIJNSM_27transparent_binary_operatorINSA_8equal_toIvEEEENSN_INSM_8argumentILj0EEEEENSM_5valueIsEEEEEEEEEEEE10hipError_tPvRmT3_T4_T5_T6_T7_T9_mT8_P12ihipStream_tbDpT10_ENKUlT_T0_E_clISt17integral_constantIbLb0EES1J_IbLb1EEEEDaS1F_S1G_EUlS1F_E_NS1_11comp_targetILNS1_3genE9ELNS1_11target_archE1100ELNS1_3gpuE3ELNS1_3repE0EEENS1_30default_config_static_selectorELNS0_4arch9wavefront6targetE0EEEvT1_
	.p2align	8
	.type	_ZN7rocprim17ROCPRIM_400000_NS6detail17trampoline_kernelINS0_14default_configENS1_25partition_config_selectorILNS1_17partition_subalgoE6EsNS0_10empty_typeEbEEZZNS1_14partition_implILS5_6ELb0ES3_mN6thrust23THRUST_200600_302600_NS6detail15normal_iteratorINSA_10device_ptrIsEEEEPS6_SG_NS0_5tupleIJSF_S6_EEENSH_IJSG_SG_EEES6_PlJNSB_9not_fun_tINSB_10functional5actorINSM_9compositeIJNSM_27transparent_binary_operatorINSA_8equal_toIvEEEENSN_INSM_8argumentILj0EEEEENSM_5valueIsEEEEEEEEEEEE10hipError_tPvRmT3_T4_T5_T6_T7_T9_mT8_P12ihipStream_tbDpT10_ENKUlT_T0_E_clISt17integral_constantIbLb0EES1J_IbLb1EEEEDaS1F_S1G_EUlS1F_E_NS1_11comp_targetILNS1_3genE9ELNS1_11target_archE1100ELNS1_3gpuE3ELNS1_3repE0EEENS1_30default_config_static_selectorELNS0_4arch9wavefront6targetE0EEEvT1_,@function
_ZN7rocprim17ROCPRIM_400000_NS6detail17trampoline_kernelINS0_14default_configENS1_25partition_config_selectorILNS1_17partition_subalgoE6EsNS0_10empty_typeEbEEZZNS1_14partition_implILS5_6ELb0ES3_mN6thrust23THRUST_200600_302600_NS6detail15normal_iteratorINSA_10device_ptrIsEEEEPS6_SG_NS0_5tupleIJSF_S6_EEENSH_IJSG_SG_EEES6_PlJNSB_9not_fun_tINSB_10functional5actorINSM_9compositeIJNSM_27transparent_binary_operatorINSA_8equal_toIvEEEENSN_INSM_8argumentILj0EEEEENSM_5valueIsEEEEEEEEEEEE10hipError_tPvRmT3_T4_T5_T6_T7_T9_mT8_P12ihipStream_tbDpT10_ENKUlT_T0_E_clISt17integral_constantIbLb0EES1J_IbLb1EEEEDaS1F_S1G_EUlS1F_E_NS1_11comp_targetILNS1_3genE9ELNS1_11target_archE1100ELNS1_3gpuE3ELNS1_3repE0EEENS1_30default_config_static_selectorELNS0_4arch9wavefront6targetE0EEEvT1_: ; @_ZN7rocprim17ROCPRIM_400000_NS6detail17trampoline_kernelINS0_14default_configENS1_25partition_config_selectorILNS1_17partition_subalgoE6EsNS0_10empty_typeEbEEZZNS1_14partition_implILS5_6ELb0ES3_mN6thrust23THRUST_200600_302600_NS6detail15normal_iteratorINSA_10device_ptrIsEEEEPS6_SG_NS0_5tupleIJSF_S6_EEENSH_IJSG_SG_EEES6_PlJNSB_9not_fun_tINSB_10functional5actorINSM_9compositeIJNSM_27transparent_binary_operatorINSA_8equal_toIvEEEENSN_INSM_8argumentILj0EEEEENSM_5valueIsEEEEEEEEEEEE10hipError_tPvRmT3_T4_T5_T6_T7_T9_mT8_P12ihipStream_tbDpT10_ENKUlT_T0_E_clISt17integral_constantIbLb0EES1J_IbLb1EEEEDaS1F_S1G_EUlS1F_E_NS1_11comp_targetILNS1_3genE9ELNS1_11target_archE1100ELNS1_3gpuE3ELNS1_3repE0EEENS1_30default_config_static_selectorELNS0_4arch9wavefront6targetE0EEEvT1_
; %bb.0:
	.section	.rodata,"a",@progbits
	.p2align	6, 0x0
	.amdhsa_kernel _ZN7rocprim17ROCPRIM_400000_NS6detail17trampoline_kernelINS0_14default_configENS1_25partition_config_selectorILNS1_17partition_subalgoE6EsNS0_10empty_typeEbEEZZNS1_14partition_implILS5_6ELb0ES3_mN6thrust23THRUST_200600_302600_NS6detail15normal_iteratorINSA_10device_ptrIsEEEEPS6_SG_NS0_5tupleIJSF_S6_EEENSH_IJSG_SG_EEES6_PlJNSB_9not_fun_tINSB_10functional5actorINSM_9compositeIJNSM_27transparent_binary_operatorINSA_8equal_toIvEEEENSN_INSM_8argumentILj0EEEEENSM_5valueIsEEEEEEEEEEEE10hipError_tPvRmT3_T4_T5_T6_T7_T9_mT8_P12ihipStream_tbDpT10_ENKUlT_T0_E_clISt17integral_constantIbLb0EES1J_IbLb1EEEEDaS1F_S1G_EUlS1F_E_NS1_11comp_targetILNS1_3genE9ELNS1_11target_archE1100ELNS1_3gpuE3ELNS1_3repE0EEENS1_30default_config_static_selectorELNS0_4arch9wavefront6targetE0EEEvT1_
		.amdhsa_group_segment_fixed_size 0
		.amdhsa_private_segment_fixed_size 0
		.amdhsa_kernarg_size 128
		.amdhsa_user_sgpr_count 2
		.amdhsa_user_sgpr_dispatch_ptr 0
		.amdhsa_user_sgpr_queue_ptr 0
		.amdhsa_user_sgpr_kernarg_segment_ptr 1
		.amdhsa_user_sgpr_dispatch_id 0
		.amdhsa_user_sgpr_private_segment_size 0
		.amdhsa_wavefront_size32 1
		.amdhsa_uses_dynamic_stack 0
		.amdhsa_enable_private_segment 0
		.amdhsa_system_sgpr_workgroup_id_x 1
		.amdhsa_system_sgpr_workgroup_id_y 0
		.amdhsa_system_sgpr_workgroup_id_z 0
		.amdhsa_system_sgpr_workgroup_info 0
		.amdhsa_system_vgpr_workitem_id 0
		.amdhsa_next_free_vgpr 1
		.amdhsa_next_free_sgpr 1
		.amdhsa_reserve_vcc 0
		.amdhsa_float_round_mode_32 0
		.amdhsa_float_round_mode_16_64 0
		.amdhsa_float_denorm_mode_32 3
		.amdhsa_float_denorm_mode_16_64 3
		.amdhsa_fp16_overflow 0
		.amdhsa_workgroup_processor_mode 1
		.amdhsa_memory_ordered 1
		.amdhsa_forward_progress 1
		.amdhsa_inst_pref_size 0
		.amdhsa_round_robin_scheduling 0
		.amdhsa_exception_fp_ieee_invalid_op 0
		.amdhsa_exception_fp_denorm_src 0
		.amdhsa_exception_fp_ieee_div_zero 0
		.amdhsa_exception_fp_ieee_overflow 0
		.amdhsa_exception_fp_ieee_underflow 0
		.amdhsa_exception_fp_ieee_inexact 0
		.amdhsa_exception_int_div_zero 0
	.end_amdhsa_kernel
	.section	.text._ZN7rocprim17ROCPRIM_400000_NS6detail17trampoline_kernelINS0_14default_configENS1_25partition_config_selectorILNS1_17partition_subalgoE6EsNS0_10empty_typeEbEEZZNS1_14partition_implILS5_6ELb0ES3_mN6thrust23THRUST_200600_302600_NS6detail15normal_iteratorINSA_10device_ptrIsEEEEPS6_SG_NS0_5tupleIJSF_S6_EEENSH_IJSG_SG_EEES6_PlJNSB_9not_fun_tINSB_10functional5actorINSM_9compositeIJNSM_27transparent_binary_operatorINSA_8equal_toIvEEEENSN_INSM_8argumentILj0EEEEENSM_5valueIsEEEEEEEEEEEE10hipError_tPvRmT3_T4_T5_T6_T7_T9_mT8_P12ihipStream_tbDpT10_ENKUlT_T0_E_clISt17integral_constantIbLb0EES1J_IbLb1EEEEDaS1F_S1G_EUlS1F_E_NS1_11comp_targetILNS1_3genE9ELNS1_11target_archE1100ELNS1_3gpuE3ELNS1_3repE0EEENS1_30default_config_static_selectorELNS0_4arch9wavefront6targetE0EEEvT1_,"axG",@progbits,_ZN7rocprim17ROCPRIM_400000_NS6detail17trampoline_kernelINS0_14default_configENS1_25partition_config_selectorILNS1_17partition_subalgoE6EsNS0_10empty_typeEbEEZZNS1_14partition_implILS5_6ELb0ES3_mN6thrust23THRUST_200600_302600_NS6detail15normal_iteratorINSA_10device_ptrIsEEEEPS6_SG_NS0_5tupleIJSF_S6_EEENSH_IJSG_SG_EEES6_PlJNSB_9not_fun_tINSB_10functional5actorINSM_9compositeIJNSM_27transparent_binary_operatorINSA_8equal_toIvEEEENSN_INSM_8argumentILj0EEEEENSM_5valueIsEEEEEEEEEEEE10hipError_tPvRmT3_T4_T5_T6_T7_T9_mT8_P12ihipStream_tbDpT10_ENKUlT_T0_E_clISt17integral_constantIbLb0EES1J_IbLb1EEEEDaS1F_S1G_EUlS1F_E_NS1_11comp_targetILNS1_3genE9ELNS1_11target_archE1100ELNS1_3gpuE3ELNS1_3repE0EEENS1_30default_config_static_selectorELNS0_4arch9wavefront6targetE0EEEvT1_,comdat
.Lfunc_end274:
	.size	_ZN7rocprim17ROCPRIM_400000_NS6detail17trampoline_kernelINS0_14default_configENS1_25partition_config_selectorILNS1_17partition_subalgoE6EsNS0_10empty_typeEbEEZZNS1_14partition_implILS5_6ELb0ES3_mN6thrust23THRUST_200600_302600_NS6detail15normal_iteratorINSA_10device_ptrIsEEEEPS6_SG_NS0_5tupleIJSF_S6_EEENSH_IJSG_SG_EEES6_PlJNSB_9not_fun_tINSB_10functional5actorINSM_9compositeIJNSM_27transparent_binary_operatorINSA_8equal_toIvEEEENSN_INSM_8argumentILj0EEEEENSM_5valueIsEEEEEEEEEEEE10hipError_tPvRmT3_T4_T5_T6_T7_T9_mT8_P12ihipStream_tbDpT10_ENKUlT_T0_E_clISt17integral_constantIbLb0EES1J_IbLb1EEEEDaS1F_S1G_EUlS1F_E_NS1_11comp_targetILNS1_3genE9ELNS1_11target_archE1100ELNS1_3gpuE3ELNS1_3repE0EEENS1_30default_config_static_selectorELNS0_4arch9wavefront6targetE0EEEvT1_, .Lfunc_end274-_ZN7rocprim17ROCPRIM_400000_NS6detail17trampoline_kernelINS0_14default_configENS1_25partition_config_selectorILNS1_17partition_subalgoE6EsNS0_10empty_typeEbEEZZNS1_14partition_implILS5_6ELb0ES3_mN6thrust23THRUST_200600_302600_NS6detail15normal_iteratorINSA_10device_ptrIsEEEEPS6_SG_NS0_5tupleIJSF_S6_EEENSH_IJSG_SG_EEES6_PlJNSB_9not_fun_tINSB_10functional5actorINSM_9compositeIJNSM_27transparent_binary_operatorINSA_8equal_toIvEEEENSN_INSM_8argumentILj0EEEEENSM_5valueIsEEEEEEEEEEEE10hipError_tPvRmT3_T4_T5_T6_T7_T9_mT8_P12ihipStream_tbDpT10_ENKUlT_T0_E_clISt17integral_constantIbLb0EES1J_IbLb1EEEEDaS1F_S1G_EUlS1F_E_NS1_11comp_targetILNS1_3genE9ELNS1_11target_archE1100ELNS1_3gpuE3ELNS1_3repE0EEENS1_30default_config_static_selectorELNS0_4arch9wavefront6targetE0EEEvT1_
                                        ; -- End function
	.set _ZN7rocprim17ROCPRIM_400000_NS6detail17trampoline_kernelINS0_14default_configENS1_25partition_config_selectorILNS1_17partition_subalgoE6EsNS0_10empty_typeEbEEZZNS1_14partition_implILS5_6ELb0ES3_mN6thrust23THRUST_200600_302600_NS6detail15normal_iteratorINSA_10device_ptrIsEEEEPS6_SG_NS0_5tupleIJSF_S6_EEENSH_IJSG_SG_EEES6_PlJNSB_9not_fun_tINSB_10functional5actorINSM_9compositeIJNSM_27transparent_binary_operatorINSA_8equal_toIvEEEENSN_INSM_8argumentILj0EEEEENSM_5valueIsEEEEEEEEEEEE10hipError_tPvRmT3_T4_T5_T6_T7_T9_mT8_P12ihipStream_tbDpT10_ENKUlT_T0_E_clISt17integral_constantIbLb0EES1J_IbLb1EEEEDaS1F_S1G_EUlS1F_E_NS1_11comp_targetILNS1_3genE9ELNS1_11target_archE1100ELNS1_3gpuE3ELNS1_3repE0EEENS1_30default_config_static_selectorELNS0_4arch9wavefront6targetE0EEEvT1_.num_vgpr, 0
	.set _ZN7rocprim17ROCPRIM_400000_NS6detail17trampoline_kernelINS0_14default_configENS1_25partition_config_selectorILNS1_17partition_subalgoE6EsNS0_10empty_typeEbEEZZNS1_14partition_implILS5_6ELb0ES3_mN6thrust23THRUST_200600_302600_NS6detail15normal_iteratorINSA_10device_ptrIsEEEEPS6_SG_NS0_5tupleIJSF_S6_EEENSH_IJSG_SG_EEES6_PlJNSB_9not_fun_tINSB_10functional5actorINSM_9compositeIJNSM_27transparent_binary_operatorINSA_8equal_toIvEEEENSN_INSM_8argumentILj0EEEEENSM_5valueIsEEEEEEEEEEEE10hipError_tPvRmT3_T4_T5_T6_T7_T9_mT8_P12ihipStream_tbDpT10_ENKUlT_T0_E_clISt17integral_constantIbLb0EES1J_IbLb1EEEEDaS1F_S1G_EUlS1F_E_NS1_11comp_targetILNS1_3genE9ELNS1_11target_archE1100ELNS1_3gpuE3ELNS1_3repE0EEENS1_30default_config_static_selectorELNS0_4arch9wavefront6targetE0EEEvT1_.num_agpr, 0
	.set _ZN7rocprim17ROCPRIM_400000_NS6detail17trampoline_kernelINS0_14default_configENS1_25partition_config_selectorILNS1_17partition_subalgoE6EsNS0_10empty_typeEbEEZZNS1_14partition_implILS5_6ELb0ES3_mN6thrust23THRUST_200600_302600_NS6detail15normal_iteratorINSA_10device_ptrIsEEEEPS6_SG_NS0_5tupleIJSF_S6_EEENSH_IJSG_SG_EEES6_PlJNSB_9not_fun_tINSB_10functional5actorINSM_9compositeIJNSM_27transparent_binary_operatorINSA_8equal_toIvEEEENSN_INSM_8argumentILj0EEEEENSM_5valueIsEEEEEEEEEEEE10hipError_tPvRmT3_T4_T5_T6_T7_T9_mT8_P12ihipStream_tbDpT10_ENKUlT_T0_E_clISt17integral_constantIbLb0EES1J_IbLb1EEEEDaS1F_S1G_EUlS1F_E_NS1_11comp_targetILNS1_3genE9ELNS1_11target_archE1100ELNS1_3gpuE3ELNS1_3repE0EEENS1_30default_config_static_selectorELNS0_4arch9wavefront6targetE0EEEvT1_.numbered_sgpr, 0
	.set _ZN7rocprim17ROCPRIM_400000_NS6detail17trampoline_kernelINS0_14default_configENS1_25partition_config_selectorILNS1_17partition_subalgoE6EsNS0_10empty_typeEbEEZZNS1_14partition_implILS5_6ELb0ES3_mN6thrust23THRUST_200600_302600_NS6detail15normal_iteratorINSA_10device_ptrIsEEEEPS6_SG_NS0_5tupleIJSF_S6_EEENSH_IJSG_SG_EEES6_PlJNSB_9not_fun_tINSB_10functional5actorINSM_9compositeIJNSM_27transparent_binary_operatorINSA_8equal_toIvEEEENSN_INSM_8argumentILj0EEEEENSM_5valueIsEEEEEEEEEEEE10hipError_tPvRmT3_T4_T5_T6_T7_T9_mT8_P12ihipStream_tbDpT10_ENKUlT_T0_E_clISt17integral_constantIbLb0EES1J_IbLb1EEEEDaS1F_S1G_EUlS1F_E_NS1_11comp_targetILNS1_3genE9ELNS1_11target_archE1100ELNS1_3gpuE3ELNS1_3repE0EEENS1_30default_config_static_selectorELNS0_4arch9wavefront6targetE0EEEvT1_.num_named_barrier, 0
	.set _ZN7rocprim17ROCPRIM_400000_NS6detail17trampoline_kernelINS0_14default_configENS1_25partition_config_selectorILNS1_17partition_subalgoE6EsNS0_10empty_typeEbEEZZNS1_14partition_implILS5_6ELb0ES3_mN6thrust23THRUST_200600_302600_NS6detail15normal_iteratorINSA_10device_ptrIsEEEEPS6_SG_NS0_5tupleIJSF_S6_EEENSH_IJSG_SG_EEES6_PlJNSB_9not_fun_tINSB_10functional5actorINSM_9compositeIJNSM_27transparent_binary_operatorINSA_8equal_toIvEEEENSN_INSM_8argumentILj0EEEEENSM_5valueIsEEEEEEEEEEEE10hipError_tPvRmT3_T4_T5_T6_T7_T9_mT8_P12ihipStream_tbDpT10_ENKUlT_T0_E_clISt17integral_constantIbLb0EES1J_IbLb1EEEEDaS1F_S1G_EUlS1F_E_NS1_11comp_targetILNS1_3genE9ELNS1_11target_archE1100ELNS1_3gpuE3ELNS1_3repE0EEENS1_30default_config_static_selectorELNS0_4arch9wavefront6targetE0EEEvT1_.private_seg_size, 0
	.set _ZN7rocprim17ROCPRIM_400000_NS6detail17trampoline_kernelINS0_14default_configENS1_25partition_config_selectorILNS1_17partition_subalgoE6EsNS0_10empty_typeEbEEZZNS1_14partition_implILS5_6ELb0ES3_mN6thrust23THRUST_200600_302600_NS6detail15normal_iteratorINSA_10device_ptrIsEEEEPS6_SG_NS0_5tupleIJSF_S6_EEENSH_IJSG_SG_EEES6_PlJNSB_9not_fun_tINSB_10functional5actorINSM_9compositeIJNSM_27transparent_binary_operatorINSA_8equal_toIvEEEENSN_INSM_8argumentILj0EEEEENSM_5valueIsEEEEEEEEEEEE10hipError_tPvRmT3_T4_T5_T6_T7_T9_mT8_P12ihipStream_tbDpT10_ENKUlT_T0_E_clISt17integral_constantIbLb0EES1J_IbLb1EEEEDaS1F_S1G_EUlS1F_E_NS1_11comp_targetILNS1_3genE9ELNS1_11target_archE1100ELNS1_3gpuE3ELNS1_3repE0EEENS1_30default_config_static_selectorELNS0_4arch9wavefront6targetE0EEEvT1_.uses_vcc, 0
	.set _ZN7rocprim17ROCPRIM_400000_NS6detail17trampoline_kernelINS0_14default_configENS1_25partition_config_selectorILNS1_17partition_subalgoE6EsNS0_10empty_typeEbEEZZNS1_14partition_implILS5_6ELb0ES3_mN6thrust23THRUST_200600_302600_NS6detail15normal_iteratorINSA_10device_ptrIsEEEEPS6_SG_NS0_5tupleIJSF_S6_EEENSH_IJSG_SG_EEES6_PlJNSB_9not_fun_tINSB_10functional5actorINSM_9compositeIJNSM_27transparent_binary_operatorINSA_8equal_toIvEEEENSN_INSM_8argumentILj0EEEEENSM_5valueIsEEEEEEEEEEEE10hipError_tPvRmT3_T4_T5_T6_T7_T9_mT8_P12ihipStream_tbDpT10_ENKUlT_T0_E_clISt17integral_constantIbLb0EES1J_IbLb1EEEEDaS1F_S1G_EUlS1F_E_NS1_11comp_targetILNS1_3genE9ELNS1_11target_archE1100ELNS1_3gpuE3ELNS1_3repE0EEENS1_30default_config_static_selectorELNS0_4arch9wavefront6targetE0EEEvT1_.uses_flat_scratch, 0
	.set _ZN7rocprim17ROCPRIM_400000_NS6detail17trampoline_kernelINS0_14default_configENS1_25partition_config_selectorILNS1_17partition_subalgoE6EsNS0_10empty_typeEbEEZZNS1_14partition_implILS5_6ELb0ES3_mN6thrust23THRUST_200600_302600_NS6detail15normal_iteratorINSA_10device_ptrIsEEEEPS6_SG_NS0_5tupleIJSF_S6_EEENSH_IJSG_SG_EEES6_PlJNSB_9not_fun_tINSB_10functional5actorINSM_9compositeIJNSM_27transparent_binary_operatorINSA_8equal_toIvEEEENSN_INSM_8argumentILj0EEEEENSM_5valueIsEEEEEEEEEEEE10hipError_tPvRmT3_T4_T5_T6_T7_T9_mT8_P12ihipStream_tbDpT10_ENKUlT_T0_E_clISt17integral_constantIbLb0EES1J_IbLb1EEEEDaS1F_S1G_EUlS1F_E_NS1_11comp_targetILNS1_3genE9ELNS1_11target_archE1100ELNS1_3gpuE3ELNS1_3repE0EEENS1_30default_config_static_selectorELNS0_4arch9wavefront6targetE0EEEvT1_.has_dyn_sized_stack, 0
	.set _ZN7rocprim17ROCPRIM_400000_NS6detail17trampoline_kernelINS0_14default_configENS1_25partition_config_selectorILNS1_17partition_subalgoE6EsNS0_10empty_typeEbEEZZNS1_14partition_implILS5_6ELb0ES3_mN6thrust23THRUST_200600_302600_NS6detail15normal_iteratorINSA_10device_ptrIsEEEEPS6_SG_NS0_5tupleIJSF_S6_EEENSH_IJSG_SG_EEES6_PlJNSB_9not_fun_tINSB_10functional5actorINSM_9compositeIJNSM_27transparent_binary_operatorINSA_8equal_toIvEEEENSN_INSM_8argumentILj0EEEEENSM_5valueIsEEEEEEEEEEEE10hipError_tPvRmT3_T4_T5_T6_T7_T9_mT8_P12ihipStream_tbDpT10_ENKUlT_T0_E_clISt17integral_constantIbLb0EES1J_IbLb1EEEEDaS1F_S1G_EUlS1F_E_NS1_11comp_targetILNS1_3genE9ELNS1_11target_archE1100ELNS1_3gpuE3ELNS1_3repE0EEENS1_30default_config_static_selectorELNS0_4arch9wavefront6targetE0EEEvT1_.has_recursion, 0
	.set _ZN7rocprim17ROCPRIM_400000_NS6detail17trampoline_kernelINS0_14default_configENS1_25partition_config_selectorILNS1_17partition_subalgoE6EsNS0_10empty_typeEbEEZZNS1_14partition_implILS5_6ELb0ES3_mN6thrust23THRUST_200600_302600_NS6detail15normal_iteratorINSA_10device_ptrIsEEEEPS6_SG_NS0_5tupleIJSF_S6_EEENSH_IJSG_SG_EEES6_PlJNSB_9not_fun_tINSB_10functional5actorINSM_9compositeIJNSM_27transparent_binary_operatorINSA_8equal_toIvEEEENSN_INSM_8argumentILj0EEEEENSM_5valueIsEEEEEEEEEEEE10hipError_tPvRmT3_T4_T5_T6_T7_T9_mT8_P12ihipStream_tbDpT10_ENKUlT_T0_E_clISt17integral_constantIbLb0EES1J_IbLb1EEEEDaS1F_S1G_EUlS1F_E_NS1_11comp_targetILNS1_3genE9ELNS1_11target_archE1100ELNS1_3gpuE3ELNS1_3repE0EEENS1_30default_config_static_selectorELNS0_4arch9wavefront6targetE0EEEvT1_.has_indirect_call, 0
	.section	.AMDGPU.csdata,"",@progbits
; Kernel info:
; codeLenInByte = 0
; TotalNumSgprs: 0
; NumVgprs: 0
; ScratchSize: 0
; MemoryBound: 0
; FloatMode: 240
; IeeeMode: 1
; LDSByteSize: 0 bytes/workgroup (compile time only)
; SGPRBlocks: 0
; VGPRBlocks: 0
; NumSGPRsForWavesPerEU: 1
; NumVGPRsForWavesPerEU: 1
; Occupancy: 16
; WaveLimiterHint : 0
; COMPUTE_PGM_RSRC2:SCRATCH_EN: 0
; COMPUTE_PGM_RSRC2:USER_SGPR: 2
; COMPUTE_PGM_RSRC2:TRAP_HANDLER: 0
; COMPUTE_PGM_RSRC2:TGID_X_EN: 1
; COMPUTE_PGM_RSRC2:TGID_Y_EN: 0
; COMPUTE_PGM_RSRC2:TGID_Z_EN: 0
; COMPUTE_PGM_RSRC2:TIDIG_COMP_CNT: 0
	.section	.text._ZN7rocprim17ROCPRIM_400000_NS6detail17trampoline_kernelINS0_14default_configENS1_25partition_config_selectorILNS1_17partition_subalgoE6EsNS0_10empty_typeEbEEZZNS1_14partition_implILS5_6ELb0ES3_mN6thrust23THRUST_200600_302600_NS6detail15normal_iteratorINSA_10device_ptrIsEEEEPS6_SG_NS0_5tupleIJSF_S6_EEENSH_IJSG_SG_EEES6_PlJNSB_9not_fun_tINSB_10functional5actorINSM_9compositeIJNSM_27transparent_binary_operatorINSA_8equal_toIvEEEENSN_INSM_8argumentILj0EEEEENSM_5valueIsEEEEEEEEEEEE10hipError_tPvRmT3_T4_T5_T6_T7_T9_mT8_P12ihipStream_tbDpT10_ENKUlT_T0_E_clISt17integral_constantIbLb0EES1J_IbLb1EEEEDaS1F_S1G_EUlS1F_E_NS1_11comp_targetILNS1_3genE8ELNS1_11target_archE1030ELNS1_3gpuE2ELNS1_3repE0EEENS1_30default_config_static_selectorELNS0_4arch9wavefront6targetE0EEEvT1_,"axG",@progbits,_ZN7rocprim17ROCPRIM_400000_NS6detail17trampoline_kernelINS0_14default_configENS1_25partition_config_selectorILNS1_17partition_subalgoE6EsNS0_10empty_typeEbEEZZNS1_14partition_implILS5_6ELb0ES3_mN6thrust23THRUST_200600_302600_NS6detail15normal_iteratorINSA_10device_ptrIsEEEEPS6_SG_NS0_5tupleIJSF_S6_EEENSH_IJSG_SG_EEES6_PlJNSB_9not_fun_tINSB_10functional5actorINSM_9compositeIJNSM_27transparent_binary_operatorINSA_8equal_toIvEEEENSN_INSM_8argumentILj0EEEEENSM_5valueIsEEEEEEEEEEEE10hipError_tPvRmT3_T4_T5_T6_T7_T9_mT8_P12ihipStream_tbDpT10_ENKUlT_T0_E_clISt17integral_constantIbLb0EES1J_IbLb1EEEEDaS1F_S1G_EUlS1F_E_NS1_11comp_targetILNS1_3genE8ELNS1_11target_archE1030ELNS1_3gpuE2ELNS1_3repE0EEENS1_30default_config_static_selectorELNS0_4arch9wavefront6targetE0EEEvT1_,comdat
	.protected	_ZN7rocprim17ROCPRIM_400000_NS6detail17trampoline_kernelINS0_14default_configENS1_25partition_config_selectorILNS1_17partition_subalgoE6EsNS0_10empty_typeEbEEZZNS1_14partition_implILS5_6ELb0ES3_mN6thrust23THRUST_200600_302600_NS6detail15normal_iteratorINSA_10device_ptrIsEEEEPS6_SG_NS0_5tupleIJSF_S6_EEENSH_IJSG_SG_EEES6_PlJNSB_9not_fun_tINSB_10functional5actorINSM_9compositeIJNSM_27transparent_binary_operatorINSA_8equal_toIvEEEENSN_INSM_8argumentILj0EEEEENSM_5valueIsEEEEEEEEEEEE10hipError_tPvRmT3_T4_T5_T6_T7_T9_mT8_P12ihipStream_tbDpT10_ENKUlT_T0_E_clISt17integral_constantIbLb0EES1J_IbLb1EEEEDaS1F_S1G_EUlS1F_E_NS1_11comp_targetILNS1_3genE8ELNS1_11target_archE1030ELNS1_3gpuE2ELNS1_3repE0EEENS1_30default_config_static_selectorELNS0_4arch9wavefront6targetE0EEEvT1_ ; -- Begin function _ZN7rocprim17ROCPRIM_400000_NS6detail17trampoline_kernelINS0_14default_configENS1_25partition_config_selectorILNS1_17partition_subalgoE6EsNS0_10empty_typeEbEEZZNS1_14partition_implILS5_6ELb0ES3_mN6thrust23THRUST_200600_302600_NS6detail15normal_iteratorINSA_10device_ptrIsEEEEPS6_SG_NS0_5tupleIJSF_S6_EEENSH_IJSG_SG_EEES6_PlJNSB_9not_fun_tINSB_10functional5actorINSM_9compositeIJNSM_27transparent_binary_operatorINSA_8equal_toIvEEEENSN_INSM_8argumentILj0EEEEENSM_5valueIsEEEEEEEEEEEE10hipError_tPvRmT3_T4_T5_T6_T7_T9_mT8_P12ihipStream_tbDpT10_ENKUlT_T0_E_clISt17integral_constantIbLb0EES1J_IbLb1EEEEDaS1F_S1G_EUlS1F_E_NS1_11comp_targetILNS1_3genE8ELNS1_11target_archE1030ELNS1_3gpuE2ELNS1_3repE0EEENS1_30default_config_static_selectorELNS0_4arch9wavefront6targetE0EEEvT1_
	.globl	_ZN7rocprim17ROCPRIM_400000_NS6detail17trampoline_kernelINS0_14default_configENS1_25partition_config_selectorILNS1_17partition_subalgoE6EsNS0_10empty_typeEbEEZZNS1_14partition_implILS5_6ELb0ES3_mN6thrust23THRUST_200600_302600_NS6detail15normal_iteratorINSA_10device_ptrIsEEEEPS6_SG_NS0_5tupleIJSF_S6_EEENSH_IJSG_SG_EEES6_PlJNSB_9not_fun_tINSB_10functional5actorINSM_9compositeIJNSM_27transparent_binary_operatorINSA_8equal_toIvEEEENSN_INSM_8argumentILj0EEEEENSM_5valueIsEEEEEEEEEEEE10hipError_tPvRmT3_T4_T5_T6_T7_T9_mT8_P12ihipStream_tbDpT10_ENKUlT_T0_E_clISt17integral_constantIbLb0EES1J_IbLb1EEEEDaS1F_S1G_EUlS1F_E_NS1_11comp_targetILNS1_3genE8ELNS1_11target_archE1030ELNS1_3gpuE2ELNS1_3repE0EEENS1_30default_config_static_selectorELNS0_4arch9wavefront6targetE0EEEvT1_
	.p2align	8
	.type	_ZN7rocprim17ROCPRIM_400000_NS6detail17trampoline_kernelINS0_14default_configENS1_25partition_config_selectorILNS1_17partition_subalgoE6EsNS0_10empty_typeEbEEZZNS1_14partition_implILS5_6ELb0ES3_mN6thrust23THRUST_200600_302600_NS6detail15normal_iteratorINSA_10device_ptrIsEEEEPS6_SG_NS0_5tupleIJSF_S6_EEENSH_IJSG_SG_EEES6_PlJNSB_9not_fun_tINSB_10functional5actorINSM_9compositeIJNSM_27transparent_binary_operatorINSA_8equal_toIvEEEENSN_INSM_8argumentILj0EEEEENSM_5valueIsEEEEEEEEEEEE10hipError_tPvRmT3_T4_T5_T6_T7_T9_mT8_P12ihipStream_tbDpT10_ENKUlT_T0_E_clISt17integral_constantIbLb0EES1J_IbLb1EEEEDaS1F_S1G_EUlS1F_E_NS1_11comp_targetILNS1_3genE8ELNS1_11target_archE1030ELNS1_3gpuE2ELNS1_3repE0EEENS1_30default_config_static_selectorELNS0_4arch9wavefront6targetE0EEEvT1_,@function
_ZN7rocprim17ROCPRIM_400000_NS6detail17trampoline_kernelINS0_14default_configENS1_25partition_config_selectorILNS1_17partition_subalgoE6EsNS0_10empty_typeEbEEZZNS1_14partition_implILS5_6ELb0ES3_mN6thrust23THRUST_200600_302600_NS6detail15normal_iteratorINSA_10device_ptrIsEEEEPS6_SG_NS0_5tupleIJSF_S6_EEENSH_IJSG_SG_EEES6_PlJNSB_9not_fun_tINSB_10functional5actorINSM_9compositeIJNSM_27transparent_binary_operatorINSA_8equal_toIvEEEENSN_INSM_8argumentILj0EEEEENSM_5valueIsEEEEEEEEEEEE10hipError_tPvRmT3_T4_T5_T6_T7_T9_mT8_P12ihipStream_tbDpT10_ENKUlT_T0_E_clISt17integral_constantIbLb0EES1J_IbLb1EEEEDaS1F_S1G_EUlS1F_E_NS1_11comp_targetILNS1_3genE8ELNS1_11target_archE1030ELNS1_3gpuE2ELNS1_3repE0EEENS1_30default_config_static_selectorELNS0_4arch9wavefront6targetE0EEEvT1_: ; @_ZN7rocprim17ROCPRIM_400000_NS6detail17trampoline_kernelINS0_14default_configENS1_25partition_config_selectorILNS1_17partition_subalgoE6EsNS0_10empty_typeEbEEZZNS1_14partition_implILS5_6ELb0ES3_mN6thrust23THRUST_200600_302600_NS6detail15normal_iteratorINSA_10device_ptrIsEEEEPS6_SG_NS0_5tupleIJSF_S6_EEENSH_IJSG_SG_EEES6_PlJNSB_9not_fun_tINSB_10functional5actorINSM_9compositeIJNSM_27transparent_binary_operatorINSA_8equal_toIvEEEENSN_INSM_8argumentILj0EEEEENSM_5valueIsEEEEEEEEEEEE10hipError_tPvRmT3_T4_T5_T6_T7_T9_mT8_P12ihipStream_tbDpT10_ENKUlT_T0_E_clISt17integral_constantIbLb0EES1J_IbLb1EEEEDaS1F_S1G_EUlS1F_E_NS1_11comp_targetILNS1_3genE8ELNS1_11target_archE1030ELNS1_3gpuE2ELNS1_3repE0EEENS1_30default_config_static_selectorELNS0_4arch9wavefront6targetE0EEEvT1_
; %bb.0:
	.section	.rodata,"a",@progbits
	.p2align	6, 0x0
	.amdhsa_kernel _ZN7rocprim17ROCPRIM_400000_NS6detail17trampoline_kernelINS0_14default_configENS1_25partition_config_selectorILNS1_17partition_subalgoE6EsNS0_10empty_typeEbEEZZNS1_14partition_implILS5_6ELb0ES3_mN6thrust23THRUST_200600_302600_NS6detail15normal_iteratorINSA_10device_ptrIsEEEEPS6_SG_NS0_5tupleIJSF_S6_EEENSH_IJSG_SG_EEES6_PlJNSB_9not_fun_tINSB_10functional5actorINSM_9compositeIJNSM_27transparent_binary_operatorINSA_8equal_toIvEEEENSN_INSM_8argumentILj0EEEEENSM_5valueIsEEEEEEEEEEEE10hipError_tPvRmT3_T4_T5_T6_T7_T9_mT8_P12ihipStream_tbDpT10_ENKUlT_T0_E_clISt17integral_constantIbLb0EES1J_IbLb1EEEEDaS1F_S1G_EUlS1F_E_NS1_11comp_targetILNS1_3genE8ELNS1_11target_archE1030ELNS1_3gpuE2ELNS1_3repE0EEENS1_30default_config_static_selectorELNS0_4arch9wavefront6targetE0EEEvT1_
		.amdhsa_group_segment_fixed_size 0
		.amdhsa_private_segment_fixed_size 0
		.amdhsa_kernarg_size 128
		.amdhsa_user_sgpr_count 2
		.amdhsa_user_sgpr_dispatch_ptr 0
		.amdhsa_user_sgpr_queue_ptr 0
		.amdhsa_user_sgpr_kernarg_segment_ptr 1
		.amdhsa_user_sgpr_dispatch_id 0
		.amdhsa_user_sgpr_private_segment_size 0
		.amdhsa_wavefront_size32 1
		.amdhsa_uses_dynamic_stack 0
		.amdhsa_enable_private_segment 0
		.amdhsa_system_sgpr_workgroup_id_x 1
		.amdhsa_system_sgpr_workgroup_id_y 0
		.amdhsa_system_sgpr_workgroup_id_z 0
		.amdhsa_system_sgpr_workgroup_info 0
		.amdhsa_system_vgpr_workitem_id 0
		.amdhsa_next_free_vgpr 1
		.amdhsa_next_free_sgpr 1
		.amdhsa_reserve_vcc 0
		.amdhsa_float_round_mode_32 0
		.amdhsa_float_round_mode_16_64 0
		.amdhsa_float_denorm_mode_32 3
		.amdhsa_float_denorm_mode_16_64 3
		.amdhsa_fp16_overflow 0
		.amdhsa_workgroup_processor_mode 1
		.amdhsa_memory_ordered 1
		.amdhsa_forward_progress 1
		.amdhsa_inst_pref_size 0
		.amdhsa_round_robin_scheduling 0
		.amdhsa_exception_fp_ieee_invalid_op 0
		.amdhsa_exception_fp_denorm_src 0
		.amdhsa_exception_fp_ieee_div_zero 0
		.amdhsa_exception_fp_ieee_overflow 0
		.amdhsa_exception_fp_ieee_underflow 0
		.amdhsa_exception_fp_ieee_inexact 0
		.amdhsa_exception_int_div_zero 0
	.end_amdhsa_kernel
	.section	.text._ZN7rocprim17ROCPRIM_400000_NS6detail17trampoline_kernelINS0_14default_configENS1_25partition_config_selectorILNS1_17partition_subalgoE6EsNS0_10empty_typeEbEEZZNS1_14partition_implILS5_6ELb0ES3_mN6thrust23THRUST_200600_302600_NS6detail15normal_iteratorINSA_10device_ptrIsEEEEPS6_SG_NS0_5tupleIJSF_S6_EEENSH_IJSG_SG_EEES6_PlJNSB_9not_fun_tINSB_10functional5actorINSM_9compositeIJNSM_27transparent_binary_operatorINSA_8equal_toIvEEEENSN_INSM_8argumentILj0EEEEENSM_5valueIsEEEEEEEEEEEE10hipError_tPvRmT3_T4_T5_T6_T7_T9_mT8_P12ihipStream_tbDpT10_ENKUlT_T0_E_clISt17integral_constantIbLb0EES1J_IbLb1EEEEDaS1F_S1G_EUlS1F_E_NS1_11comp_targetILNS1_3genE8ELNS1_11target_archE1030ELNS1_3gpuE2ELNS1_3repE0EEENS1_30default_config_static_selectorELNS0_4arch9wavefront6targetE0EEEvT1_,"axG",@progbits,_ZN7rocprim17ROCPRIM_400000_NS6detail17trampoline_kernelINS0_14default_configENS1_25partition_config_selectorILNS1_17partition_subalgoE6EsNS0_10empty_typeEbEEZZNS1_14partition_implILS5_6ELb0ES3_mN6thrust23THRUST_200600_302600_NS6detail15normal_iteratorINSA_10device_ptrIsEEEEPS6_SG_NS0_5tupleIJSF_S6_EEENSH_IJSG_SG_EEES6_PlJNSB_9not_fun_tINSB_10functional5actorINSM_9compositeIJNSM_27transparent_binary_operatorINSA_8equal_toIvEEEENSN_INSM_8argumentILj0EEEEENSM_5valueIsEEEEEEEEEEEE10hipError_tPvRmT3_T4_T5_T6_T7_T9_mT8_P12ihipStream_tbDpT10_ENKUlT_T0_E_clISt17integral_constantIbLb0EES1J_IbLb1EEEEDaS1F_S1G_EUlS1F_E_NS1_11comp_targetILNS1_3genE8ELNS1_11target_archE1030ELNS1_3gpuE2ELNS1_3repE0EEENS1_30default_config_static_selectorELNS0_4arch9wavefront6targetE0EEEvT1_,comdat
.Lfunc_end275:
	.size	_ZN7rocprim17ROCPRIM_400000_NS6detail17trampoline_kernelINS0_14default_configENS1_25partition_config_selectorILNS1_17partition_subalgoE6EsNS0_10empty_typeEbEEZZNS1_14partition_implILS5_6ELb0ES3_mN6thrust23THRUST_200600_302600_NS6detail15normal_iteratorINSA_10device_ptrIsEEEEPS6_SG_NS0_5tupleIJSF_S6_EEENSH_IJSG_SG_EEES6_PlJNSB_9not_fun_tINSB_10functional5actorINSM_9compositeIJNSM_27transparent_binary_operatorINSA_8equal_toIvEEEENSN_INSM_8argumentILj0EEEEENSM_5valueIsEEEEEEEEEEEE10hipError_tPvRmT3_T4_T5_T6_T7_T9_mT8_P12ihipStream_tbDpT10_ENKUlT_T0_E_clISt17integral_constantIbLb0EES1J_IbLb1EEEEDaS1F_S1G_EUlS1F_E_NS1_11comp_targetILNS1_3genE8ELNS1_11target_archE1030ELNS1_3gpuE2ELNS1_3repE0EEENS1_30default_config_static_selectorELNS0_4arch9wavefront6targetE0EEEvT1_, .Lfunc_end275-_ZN7rocprim17ROCPRIM_400000_NS6detail17trampoline_kernelINS0_14default_configENS1_25partition_config_selectorILNS1_17partition_subalgoE6EsNS0_10empty_typeEbEEZZNS1_14partition_implILS5_6ELb0ES3_mN6thrust23THRUST_200600_302600_NS6detail15normal_iteratorINSA_10device_ptrIsEEEEPS6_SG_NS0_5tupleIJSF_S6_EEENSH_IJSG_SG_EEES6_PlJNSB_9not_fun_tINSB_10functional5actorINSM_9compositeIJNSM_27transparent_binary_operatorINSA_8equal_toIvEEEENSN_INSM_8argumentILj0EEEEENSM_5valueIsEEEEEEEEEEEE10hipError_tPvRmT3_T4_T5_T6_T7_T9_mT8_P12ihipStream_tbDpT10_ENKUlT_T0_E_clISt17integral_constantIbLb0EES1J_IbLb1EEEEDaS1F_S1G_EUlS1F_E_NS1_11comp_targetILNS1_3genE8ELNS1_11target_archE1030ELNS1_3gpuE2ELNS1_3repE0EEENS1_30default_config_static_selectorELNS0_4arch9wavefront6targetE0EEEvT1_
                                        ; -- End function
	.set _ZN7rocprim17ROCPRIM_400000_NS6detail17trampoline_kernelINS0_14default_configENS1_25partition_config_selectorILNS1_17partition_subalgoE6EsNS0_10empty_typeEbEEZZNS1_14partition_implILS5_6ELb0ES3_mN6thrust23THRUST_200600_302600_NS6detail15normal_iteratorINSA_10device_ptrIsEEEEPS6_SG_NS0_5tupleIJSF_S6_EEENSH_IJSG_SG_EEES6_PlJNSB_9not_fun_tINSB_10functional5actorINSM_9compositeIJNSM_27transparent_binary_operatorINSA_8equal_toIvEEEENSN_INSM_8argumentILj0EEEEENSM_5valueIsEEEEEEEEEEEE10hipError_tPvRmT3_T4_T5_T6_T7_T9_mT8_P12ihipStream_tbDpT10_ENKUlT_T0_E_clISt17integral_constantIbLb0EES1J_IbLb1EEEEDaS1F_S1G_EUlS1F_E_NS1_11comp_targetILNS1_3genE8ELNS1_11target_archE1030ELNS1_3gpuE2ELNS1_3repE0EEENS1_30default_config_static_selectorELNS0_4arch9wavefront6targetE0EEEvT1_.num_vgpr, 0
	.set _ZN7rocprim17ROCPRIM_400000_NS6detail17trampoline_kernelINS0_14default_configENS1_25partition_config_selectorILNS1_17partition_subalgoE6EsNS0_10empty_typeEbEEZZNS1_14partition_implILS5_6ELb0ES3_mN6thrust23THRUST_200600_302600_NS6detail15normal_iteratorINSA_10device_ptrIsEEEEPS6_SG_NS0_5tupleIJSF_S6_EEENSH_IJSG_SG_EEES6_PlJNSB_9not_fun_tINSB_10functional5actorINSM_9compositeIJNSM_27transparent_binary_operatorINSA_8equal_toIvEEEENSN_INSM_8argumentILj0EEEEENSM_5valueIsEEEEEEEEEEEE10hipError_tPvRmT3_T4_T5_T6_T7_T9_mT8_P12ihipStream_tbDpT10_ENKUlT_T0_E_clISt17integral_constantIbLb0EES1J_IbLb1EEEEDaS1F_S1G_EUlS1F_E_NS1_11comp_targetILNS1_3genE8ELNS1_11target_archE1030ELNS1_3gpuE2ELNS1_3repE0EEENS1_30default_config_static_selectorELNS0_4arch9wavefront6targetE0EEEvT1_.num_agpr, 0
	.set _ZN7rocprim17ROCPRIM_400000_NS6detail17trampoline_kernelINS0_14default_configENS1_25partition_config_selectorILNS1_17partition_subalgoE6EsNS0_10empty_typeEbEEZZNS1_14partition_implILS5_6ELb0ES3_mN6thrust23THRUST_200600_302600_NS6detail15normal_iteratorINSA_10device_ptrIsEEEEPS6_SG_NS0_5tupleIJSF_S6_EEENSH_IJSG_SG_EEES6_PlJNSB_9not_fun_tINSB_10functional5actorINSM_9compositeIJNSM_27transparent_binary_operatorINSA_8equal_toIvEEEENSN_INSM_8argumentILj0EEEEENSM_5valueIsEEEEEEEEEEEE10hipError_tPvRmT3_T4_T5_T6_T7_T9_mT8_P12ihipStream_tbDpT10_ENKUlT_T0_E_clISt17integral_constantIbLb0EES1J_IbLb1EEEEDaS1F_S1G_EUlS1F_E_NS1_11comp_targetILNS1_3genE8ELNS1_11target_archE1030ELNS1_3gpuE2ELNS1_3repE0EEENS1_30default_config_static_selectorELNS0_4arch9wavefront6targetE0EEEvT1_.numbered_sgpr, 0
	.set _ZN7rocprim17ROCPRIM_400000_NS6detail17trampoline_kernelINS0_14default_configENS1_25partition_config_selectorILNS1_17partition_subalgoE6EsNS0_10empty_typeEbEEZZNS1_14partition_implILS5_6ELb0ES3_mN6thrust23THRUST_200600_302600_NS6detail15normal_iteratorINSA_10device_ptrIsEEEEPS6_SG_NS0_5tupleIJSF_S6_EEENSH_IJSG_SG_EEES6_PlJNSB_9not_fun_tINSB_10functional5actorINSM_9compositeIJNSM_27transparent_binary_operatorINSA_8equal_toIvEEEENSN_INSM_8argumentILj0EEEEENSM_5valueIsEEEEEEEEEEEE10hipError_tPvRmT3_T4_T5_T6_T7_T9_mT8_P12ihipStream_tbDpT10_ENKUlT_T0_E_clISt17integral_constantIbLb0EES1J_IbLb1EEEEDaS1F_S1G_EUlS1F_E_NS1_11comp_targetILNS1_3genE8ELNS1_11target_archE1030ELNS1_3gpuE2ELNS1_3repE0EEENS1_30default_config_static_selectorELNS0_4arch9wavefront6targetE0EEEvT1_.num_named_barrier, 0
	.set _ZN7rocprim17ROCPRIM_400000_NS6detail17trampoline_kernelINS0_14default_configENS1_25partition_config_selectorILNS1_17partition_subalgoE6EsNS0_10empty_typeEbEEZZNS1_14partition_implILS5_6ELb0ES3_mN6thrust23THRUST_200600_302600_NS6detail15normal_iteratorINSA_10device_ptrIsEEEEPS6_SG_NS0_5tupleIJSF_S6_EEENSH_IJSG_SG_EEES6_PlJNSB_9not_fun_tINSB_10functional5actorINSM_9compositeIJNSM_27transparent_binary_operatorINSA_8equal_toIvEEEENSN_INSM_8argumentILj0EEEEENSM_5valueIsEEEEEEEEEEEE10hipError_tPvRmT3_T4_T5_T6_T7_T9_mT8_P12ihipStream_tbDpT10_ENKUlT_T0_E_clISt17integral_constantIbLb0EES1J_IbLb1EEEEDaS1F_S1G_EUlS1F_E_NS1_11comp_targetILNS1_3genE8ELNS1_11target_archE1030ELNS1_3gpuE2ELNS1_3repE0EEENS1_30default_config_static_selectorELNS0_4arch9wavefront6targetE0EEEvT1_.private_seg_size, 0
	.set _ZN7rocprim17ROCPRIM_400000_NS6detail17trampoline_kernelINS0_14default_configENS1_25partition_config_selectorILNS1_17partition_subalgoE6EsNS0_10empty_typeEbEEZZNS1_14partition_implILS5_6ELb0ES3_mN6thrust23THRUST_200600_302600_NS6detail15normal_iteratorINSA_10device_ptrIsEEEEPS6_SG_NS0_5tupleIJSF_S6_EEENSH_IJSG_SG_EEES6_PlJNSB_9not_fun_tINSB_10functional5actorINSM_9compositeIJNSM_27transparent_binary_operatorINSA_8equal_toIvEEEENSN_INSM_8argumentILj0EEEEENSM_5valueIsEEEEEEEEEEEE10hipError_tPvRmT3_T4_T5_T6_T7_T9_mT8_P12ihipStream_tbDpT10_ENKUlT_T0_E_clISt17integral_constantIbLb0EES1J_IbLb1EEEEDaS1F_S1G_EUlS1F_E_NS1_11comp_targetILNS1_3genE8ELNS1_11target_archE1030ELNS1_3gpuE2ELNS1_3repE0EEENS1_30default_config_static_selectorELNS0_4arch9wavefront6targetE0EEEvT1_.uses_vcc, 0
	.set _ZN7rocprim17ROCPRIM_400000_NS6detail17trampoline_kernelINS0_14default_configENS1_25partition_config_selectorILNS1_17partition_subalgoE6EsNS0_10empty_typeEbEEZZNS1_14partition_implILS5_6ELb0ES3_mN6thrust23THRUST_200600_302600_NS6detail15normal_iteratorINSA_10device_ptrIsEEEEPS6_SG_NS0_5tupleIJSF_S6_EEENSH_IJSG_SG_EEES6_PlJNSB_9not_fun_tINSB_10functional5actorINSM_9compositeIJNSM_27transparent_binary_operatorINSA_8equal_toIvEEEENSN_INSM_8argumentILj0EEEEENSM_5valueIsEEEEEEEEEEEE10hipError_tPvRmT3_T4_T5_T6_T7_T9_mT8_P12ihipStream_tbDpT10_ENKUlT_T0_E_clISt17integral_constantIbLb0EES1J_IbLb1EEEEDaS1F_S1G_EUlS1F_E_NS1_11comp_targetILNS1_3genE8ELNS1_11target_archE1030ELNS1_3gpuE2ELNS1_3repE0EEENS1_30default_config_static_selectorELNS0_4arch9wavefront6targetE0EEEvT1_.uses_flat_scratch, 0
	.set _ZN7rocprim17ROCPRIM_400000_NS6detail17trampoline_kernelINS0_14default_configENS1_25partition_config_selectorILNS1_17partition_subalgoE6EsNS0_10empty_typeEbEEZZNS1_14partition_implILS5_6ELb0ES3_mN6thrust23THRUST_200600_302600_NS6detail15normal_iteratorINSA_10device_ptrIsEEEEPS6_SG_NS0_5tupleIJSF_S6_EEENSH_IJSG_SG_EEES6_PlJNSB_9not_fun_tINSB_10functional5actorINSM_9compositeIJNSM_27transparent_binary_operatorINSA_8equal_toIvEEEENSN_INSM_8argumentILj0EEEEENSM_5valueIsEEEEEEEEEEEE10hipError_tPvRmT3_T4_T5_T6_T7_T9_mT8_P12ihipStream_tbDpT10_ENKUlT_T0_E_clISt17integral_constantIbLb0EES1J_IbLb1EEEEDaS1F_S1G_EUlS1F_E_NS1_11comp_targetILNS1_3genE8ELNS1_11target_archE1030ELNS1_3gpuE2ELNS1_3repE0EEENS1_30default_config_static_selectorELNS0_4arch9wavefront6targetE0EEEvT1_.has_dyn_sized_stack, 0
	.set _ZN7rocprim17ROCPRIM_400000_NS6detail17trampoline_kernelINS0_14default_configENS1_25partition_config_selectorILNS1_17partition_subalgoE6EsNS0_10empty_typeEbEEZZNS1_14partition_implILS5_6ELb0ES3_mN6thrust23THRUST_200600_302600_NS6detail15normal_iteratorINSA_10device_ptrIsEEEEPS6_SG_NS0_5tupleIJSF_S6_EEENSH_IJSG_SG_EEES6_PlJNSB_9not_fun_tINSB_10functional5actorINSM_9compositeIJNSM_27transparent_binary_operatorINSA_8equal_toIvEEEENSN_INSM_8argumentILj0EEEEENSM_5valueIsEEEEEEEEEEEE10hipError_tPvRmT3_T4_T5_T6_T7_T9_mT8_P12ihipStream_tbDpT10_ENKUlT_T0_E_clISt17integral_constantIbLb0EES1J_IbLb1EEEEDaS1F_S1G_EUlS1F_E_NS1_11comp_targetILNS1_3genE8ELNS1_11target_archE1030ELNS1_3gpuE2ELNS1_3repE0EEENS1_30default_config_static_selectorELNS0_4arch9wavefront6targetE0EEEvT1_.has_recursion, 0
	.set _ZN7rocprim17ROCPRIM_400000_NS6detail17trampoline_kernelINS0_14default_configENS1_25partition_config_selectorILNS1_17partition_subalgoE6EsNS0_10empty_typeEbEEZZNS1_14partition_implILS5_6ELb0ES3_mN6thrust23THRUST_200600_302600_NS6detail15normal_iteratorINSA_10device_ptrIsEEEEPS6_SG_NS0_5tupleIJSF_S6_EEENSH_IJSG_SG_EEES6_PlJNSB_9not_fun_tINSB_10functional5actorINSM_9compositeIJNSM_27transparent_binary_operatorINSA_8equal_toIvEEEENSN_INSM_8argumentILj0EEEEENSM_5valueIsEEEEEEEEEEEE10hipError_tPvRmT3_T4_T5_T6_T7_T9_mT8_P12ihipStream_tbDpT10_ENKUlT_T0_E_clISt17integral_constantIbLb0EES1J_IbLb1EEEEDaS1F_S1G_EUlS1F_E_NS1_11comp_targetILNS1_3genE8ELNS1_11target_archE1030ELNS1_3gpuE2ELNS1_3repE0EEENS1_30default_config_static_selectorELNS0_4arch9wavefront6targetE0EEEvT1_.has_indirect_call, 0
	.section	.AMDGPU.csdata,"",@progbits
; Kernel info:
; codeLenInByte = 0
; TotalNumSgprs: 0
; NumVgprs: 0
; ScratchSize: 0
; MemoryBound: 0
; FloatMode: 240
; IeeeMode: 1
; LDSByteSize: 0 bytes/workgroup (compile time only)
; SGPRBlocks: 0
; VGPRBlocks: 0
; NumSGPRsForWavesPerEU: 1
; NumVGPRsForWavesPerEU: 1
; Occupancy: 16
; WaveLimiterHint : 0
; COMPUTE_PGM_RSRC2:SCRATCH_EN: 0
; COMPUTE_PGM_RSRC2:USER_SGPR: 2
; COMPUTE_PGM_RSRC2:TRAP_HANDLER: 0
; COMPUTE_PGM_RSRC2:TGID_X_EN: 1
; COMPUTE_PGM_RSRC2:TGID_Y_EN: 0
; COMPUTE_PGM_RSRC2:TGID_Z_EN: 0
; COMPUTE_PGM_RSRC2:TIDIG_COMP_CNT: 0
	.section	.text._ZN6thrust23THRUST_200600_302600_NS11hip_rocprim14__parallel_for6kernelILj256ENS1_20__uninitialized_fill7functorINS0_10device_ptrIiEEiEEmLj1EEEvT0_T1_SA_,"axG",@progbits,_ZN6thrust23THRUST_200600_302600_NS11hip_rocprim14__parallel_for6kernelILj256ENS1_20__uninitialized_fill7functorINS0_10device_ptrIiEEiEEmLj1EEEvT0_T1_SA_,comdat
	.protected	_ZN6thrust23THRUST_200600_302600_NS11hip_rocprim14__parallel_for6kernelILj256ENS1_20__uninitialized_fill7functorINS0_10device_ptrIiEEiEEmLj1EEEvT0_T1_SA_ ; -- Begin function _ZN6thrust23THRUST_200600_302600_NS11hip_rocprim14__parallel_for6kernelILj256ENS1_20__uninitialized_fill7functorINS0_10device_ptrIiEEiEEmLj1EEEvT0_T1_SA_
	.globl	_ZN6thrust23THRUST_200600_302600_NS11hip_rocprim14__parallel_for6kernelILj256ENS1_20__uninitialized_fill7functorINS0_10device_ptrIiEEiEEmLj1EEEvT0_T1_SA_
	.p2align	8
	.type	_ZN6thrust23THRUST_200600_302600_NS11hip_rocprim14__parallel_for6kernelILj256ENS1_20__uninitialized_fill7functorINS0_10device_ptrIiEEiEEmLj1EEEvT0_T1_SA_,@function
_ZN6thrust23THRUST_200600_302600_NS11hip_rocprim14__parallel_for6kernelILj256ENS1_20__uninitialized_fill7functorINS0_10device_ptrIiEEiEEmLj1EEEvT0_T1_SA_: ; @_ZN6thrust23THRUST_200600_302600_NS11hip_rocprim14__parallel_for6kernelILj256ENS1_20__uninitialized_fill7functorINS0_10device_ptrIiEEiEEmLj1EEEvT0_T1_SA_
; %bb.0:
	s_clause 0x1
	s_load_b128 s[8:11], s[0:1], 0x10
	s_load_b96 s[0:2], s[0:1], 0x0
	s_lshl_b32 s4, ttmp9, 8
	s_mov_b32 s5, 0
	s_wait_kmcnt 0x0
	s_add_nc_u64 s[4:5], s[10:11], s[4:5]
	s_delay_alu instid0(SALU_CYCLE_1) | instskip(NEXT) | instid1(SALU_CYCLE_1)
	s_sub_nc_u64 s[6:7], s[8:9], s[4:5]
	v_cmp_lt_u64_e64 s3, 0xff, s[6:7]
	s_and_b32 vcc_lo, exec_lo, s3
	s_mov_b32 s3, -1
	s_cbranch_vccz .LBB276_3
; %bb.1:
	s_and_not1_b32 vcc_lo, exec_lo, s3
	s_cbranch_vccz .LBB276_6
.LBB276_2:
	s_endpgm
.LBB276_3:
	s_mov_b32 s3, exec_lo
	v_cmpx_gt_u32_e64 s6, v0
	s_cbranch_execz .LBB276_5
; %bb.4:
	v_lshlrev_b32_e32 v1, 2, v0
	s_lshl_b64 s[6:7], s[4:5], 2
	v_mov_b32_e32 v3, s2
	s_wait_alu 0xfffe
	s_add_nc_u64 s[6:7], s[0:1], s[6:7]
	s_wait_alu 0xfffe
	v_add_co_u32 v1, s6, s6, v1
	s_wait_alu 0xf1ff
	v_add_co_ci_u32_e64 v2, null, s7, 0, s6
	flat_store_b32 v[1:2], v3
.LBB276_5:
	s_or_b32 exec_lo, exec_lo, s3
	s_cbranch_execnz .LBB276_2
.LBB276_6:
	v_lshlrev_b32_e32 v0, 2, v0
	s_lshl_b64 s[4:5], s[4:5], 2
	v_mov_b32_e32 v2, s2
	s_add_nc_u64 s[0:1], s[0:1], s[4:5]
	s_delay_alu instid0(VALU_DEP_2) | instid1(SALU_CYCLE_1)
	v_add_co_u32 v0, s0, s0, v0
	s_wait_alu 0xf1ff
	v_add_co_ci_u32_e64 v1, null, s1, 0, s0
	flat_store_b32 v[0:1], v2
	s_endpgm
	.section	.rodata,"a",@progbits
	.p2align	6, 0x0
	.amdhsa_kernel _ZN6thrust23THRUST_200600_302600_NS11hip_rocprim14__parallel_for6kernelILj256ENS1_20__uninitialized_fill7functorINS0_10device_ptrIiEEiEEmLj1EEEvT0_T1_SA_
		.amdhsa_group_segment_fixed_size 0
		.amdhsa_private_segment_fixed_size 0
		.amdhsa_kernarg_size 32
		.amdhsa_user_sgpr_count 2
		.amdhsa_user_sgpr_dispatch_ptr 0
		.amdhsa_user_sgpr_queue_ptr 0
		.amdhsa_user_sgpr_kernarg_segment_ptr 1
		.amdhsa_user_sgpr_dispatch_id 0
		.amdhsa_user_sgpr_private_segment_size 0
		.amdhsa_wavefront_size32 1
		.amdhsa_uses_dynamic_stack 0
		.amdhsa_enable_private_segment 0
		.amdhsa_system_sgpr_workgroup_id_x 1
		.amdhsa_system_sgpr_workgroup_id_y 0
		.amdhsa_system_sgpr_workgroup_id_z 0
		.amdhsa_system_sgpr_workgroup_info 0
		.amdhsa_system_vgpr_workitem_id 0
		.amdhsa_next_free_vgpr 4
		.amdhsa_next_free_sgpr 12
		.amdhsa_reserve_vcc 1
		.amdhsa_float_round_mode_32 0
		.amdhsa_float_round_mode_16_64 0
		.amdhsa_float_denorm_mode_32 3
		.amdhsa_float_denorm_mode_16_64 3
		.amdhsa_fp16_overflow 0
		.amdhsa_workgroup_processor_mode 1
		.amdhsa_memory_ordered 1
		.amdhsa_forward_progress 1
		.amdhsa_inst_pref_size 2
		.amdhsa_round_robin_scheduling 0
		.amdhsa_exception_fp_ieee_invalid_op 0
		.amdhsa_exception_fp_denorm_src 0
		.amdhsa_exception_fp_ieee_div_zero 0
		.amdhsa_exception_fp_ieee_overflow 0
		.amdhsa_exception_fp_ieee_underflow 0
		.amdhsa_exception_fp_ieee_inexact 0
		.amdhsa_exception_int_div_zero 0
	.end_amdhsa_kernel
	.section	.text._ZN6thrust23THRUST_200600_302600_NS11hip_rocprim14__parallel_for6kernelILj256ENS1_20__uninitialized_fill7functorINS0_10device_ptrIiEEiEEmLj1EEEvT0_T1_SA_,"axG",@progbits,_ZN6thrust23THRUST_200600_302600_NS11hip_rocprim14__parallel_for6kernelILj256ENS1_20__uninitialized_fill7functorINS0_10device_ptrIiEEiEEmLj1EEEvT0_T1_SA_,comdat
.Lfunc_end276:
	.size	_ZN6thrust23THRUST_200600_302600_NS11hip_rocprim14__parallel_for6kernelILj256ENS1_20__uninitialized_fill7functorINS0_10device_ptrIiEEiEEmLj1EEEvT0_T1_SA_, .Lfunc_end276-_ZN6thrust23THRUST_200600_302600_NS11hip_rocprim14__parallel_for6kernelILj256ENS1_20__uninitialized_fill7functorINS0_10device_ptrIiEEiEEmLj1EEEvT0_T1_SA_
                                        ; -- End function
	.set _ZN6thrust23THRUST_200600_302600_NS11hip_rocprim14__parallel_for6kernelILj256ENS1_20__uninitialized_fill7functorINS0_10device_ptrIiEEiEEmLj1EEEvT0_T1_SA_.num_vgpr, 4
	.set _ZN6thrust23THRUST_200600_302600_NS11hip_rocprim14__parallel_for6kernelILj256ENS1_20__uninitialized_fill7functorINS0_10device_ptrIiEEiEEmLj1EEEvT0_T1_SA_.num_agpr, 0
	.set _ZN6thrust23THRUST_200600_302600_NS11hip_rocprim14__parallel_for6kernelILj256ENS1_20__uninitialized_fill7functorINS0_10device_ptrIiEEiEEmLj1EEEvT0_T1_SA_.numbered_sgpr, 12
	.set _ZN6thrust23THRUST_200600_302600_NS11hip_rocprim14__parallel_for6kernelILj256ENS1_20__uninitialized_fill7functorINS0_10device_ptrIiEEiEEmLj1EEEvT0_T1_SA_.num_named_barrier, 0
	.set _ZN6thrust23THRUST_200600_302600_NS11hip_rocprim14__parallel_for6kernelILj256ENS1_20__uninitialized_fill7functorINS0_10device_ptrIiEEiEEmLj1EEEvT0_T1_SA_.private_seg_size, 0
	.set _ZN6thrust23THRUST_200600_302600_NS11hip_rocprim14__parallel_for6kernelILj256ENS1_20__uninitialized_fill7functorINS0_10device_ptrIiEEiEEmLj1EEEvT0_T1_SA_.uses_vcc, 1
	.set _ZN6thrust23THRUST_200600_302600_NS11hip_rocprim14__parallel_for6kernelILj256ENS1_20__uninitialized_fill7functorINS0_10device_ptrIiEEiEEmLj1EEEvT0_T1_SA_.uses_flat_scratch, 0
	.set _ZN6thrust23THRUST_200600_302600_NS11hip_rocprim14__parallel_for6kernelILj256ENS1_20__uninitialized_fill7functorINS0_10device_ptrIiEEiEEmLj1EEEvT0_T1_SA_.has_dyn_sized_stack, 0
	.set _ZN6thrust23THRUST_200600_302600_NS11hip_rocprim14__parallel_for6kernelILj256ENS1_20__uninitialized_fill7functorINS0_10device_ptrIiEEiEEmLj1EEEvT0_T1_SA_.has_recursion, 0
	.set _ZN6thrust23THRUST_200600_302600_NS11hip_rocprim14__parallel_for6kernelILj256ENS1_20__uninitialized_fill7functorINS0_10device_ptrIiEEiEEmLj1EEEvT0_T1_SA_.has_indirect_call, 0
	.section	.AMDGPU.csdata,"",@progbits
; Kernel info:
; codeLenInByte = 216
; TotalNumSgprs: 14
; NumVgprs: 4
; ScratchSize: 0
; MemoryBound: 0
; FloatMode: 240
; IeeeMode: 1
; LDSByteSize: 0 bytes/workgroup (compile time only)
; SGPRBlocks: 0
; VGPRBlocks: 0
; NumSGPRsForWavesPerEU: 14
; NumVGPRsForWavesPerEU: 4
; Occupancy: 16
; WaveLimiterHint : 0
; COMPUTE_PGM_RSRC2:SCRATCH_EN: 0
; COMPUTE_PGM_RSRC2:USER_SGPR: 2
; COMPUTE_PGM_RSRC2:TRAP_HANDLER: 0
; COMPUTE_PGM_RSRC2:TGID_X_EN: 1
; COMPUTE_PGM_RSRC2:TGID_Y_EN: 0
; COMPUTE_PGM_RSRC2:TGID_Z_EN: 0
; COMPUTE_PGM_RSRC2:TIDIG_COMP_CNT: 0
	.section	.text._ZN7rocprim17ROCPRIM_400000_NS6detail17trampoline_kernelINS0_14default_configENS1_25partition_config_selectorILNS1_17partition_subalgoE6EdNS0_10empty_typeEbEEZZNS1_14partition_implILS5_6ELb0ES3_mN6thrust23THRUST_200600_302600_NS6detail15normal_iteratorINSA_10device_ptrIdEEEEPS6_SG_NS0_5tupleIJSF_S6_EEENSH_IJSG_SG_EEES6_PlJNSB_9not_fun_tINSB_14equal_to_valueIdEEEEEEE10hipError_tPvRmT3_T4_T5_T6_T7_T9_mT8_P12ihipStream_tbDpT10_ENKUlT_T0_E_clISt17integral_constantIbLb0EES18_EEDaS13_S14_EUlS13_E_NS1_11comp_targetILNS1_3genE0ELNS1_11target_archE4294967295ELNS1_3gpuE0ELNS1_3repE0EEENS1_30default_config_static_selectorELNS0_4arch9wavefront6targetE0EEEvT1_,"axG",@progbits,_ZN7rocprim17ROCPRIM_400000_NS6detail17trampoline_kernelINS0_14default_configENS1_25partition_config_selectorILNS1_17partition_subalgoE6EdNS0_10empty_typeEbEEZZNS1_14partition_implILS5_6ELb0ES3_mN6thrust23THRUST_200600_302600_NS6detail15normal_iteratorINSA_10device_ptrIdEEEEPS6_SG_NS0_5tupleIJSF_S6_EEENSH_IJSG_SG_EEES6_PlJNSB_9not_fun_tINSB_14equal_to_valueIdEEEEEEE10hipError_tPvRmT3_T4_T5_T6_T7_T9_mT8_P12ihipStream_tbDpT10_ENKUlT_T0_E_clISt17integral_constantIbLb0EES18_EEDaS13_S14_EUlS13_E_NS1_11comp_targetILNS1_3genE0ELNS1_11target_archE4294967295ELNS1_3gpuE0ELNS1_3repE0EEENS1_30default_config_static_selectorELNS0_4arch9wavefront6targetE0EEEvT1_,comdat
	.protected	_ZN7rocprim17ROCPRIM_400000_NS6detail17trampoline_kernelINS0_14default_configENS1_25partition_config_selectorILNS1_17partition_subalgoE6EdNS0_10empty_typeEbEEZZNS1_14partition_implILS5_6ELb0ES3_mN6thrust23THRUST_200600_302600_NS6detail15normal_iteratorINSA_10device_ptrIdEEEEPS6_SG_NS0_5tupleIJSF_S6_EEENSH_IJSG_SG_EEES6_PlJNSB_9not_fun_tINSB_14equal_to_valueIdEEEEEEE10hipError_tPvRmT3_T4_T5_T6_T7_T9_mT8_P12ihipStream_tbDpT10_ENKUlT_T0_E_clISt17integral_constantIbLb0EES18_EEDaS13_S14_EUlS13_E_NS1_11comp_targetILNS1_3genE0ELNS1_11target_archE4294967295ELNS1_3gpuE0ELNS1_3repE0EEENS1_30default_config_static_selectorELNS0_4arch9wavefront6targetE0EEEvT1_ ; -- Begin function _ZN7rocprim17ROCPRIM_400000_NS6detail17trampoline_kernelINS0_14default_configENS1_25partition_config_selectorILNS1_17partition_subalgoE6EdNS0_10empty_typeEbEEZZNS1_14partition_implILS5_6ELb0ES3_mN6thrust23THRUST_200600_302600_NS6detail15normal_iteratorINSA_10device_ptrIdEEEEPS6_SG_NS0_5tupleIJSF_S6_EEENSH_IJSG_SG_EEES6_PlJNSB_9not_fun_tINSB_14equal_to_valueIdEEEEEEE10hipError_tPvRmT3_T4_T5_T6_T7_T9_mT8_P12ihipStream_tbDpT10_ENKUlT_T0_E_clISt17integral_constantIbLb0EES18_EEDaS13_S14_EUlS13_E_NS1_11comp_targetILNS1_3genE0ELNS1_11target_archE4294967295ELNS1_3gpuE0ELNS1_3repE0EEENS1_30default_config_static_selectorELNS0_4arch9wavefront6targetE0EEEvT1_
	.globl	_ZN7rocprim17ROCPRIM_400000_NS6detail17trampoline_kernelINS0_14default_configENS1_25partition_config_selectorILNS1_17partition_subalgoE6EdNS0_10empty_typeEbEEZZNS1_14partition_implILS5_6ELb0ES3_mN6thrust23THRUST_200600_302600_NS6detail15normal_iteratorINSA_10device_ptrIdEEEEPS6_SG_NS0_5tupleIJSF_S6_EEENSH_IJSG_SG_EEES6_PlJNSB_9not_fun_tINSB_14equal_to_valueIdEEEEEEE10hipError_tPvRmT3_T4_T5_T6_T7_T9_mT8_P12ihipStream_tbDpT10_ENKUlT_T0_E_clISt17integral_constantIbLb0EES18_EEDaS13_S14_EUlS13_E_NS1_11comp_targetILNS1_3genE0ELNS1_11target_archE4294967295ELNS1_3gpuE0ELNS1_3repE0EEENS1_30default_config_static_selectorELNS0_4arch9wavefront6targetE0EEEvT1_
	.p2align	8
	.type	_ZN7rocprim17ROCPRIM_400000_NS6detail17trampoline_kernelINS0_14default_configENS1_25partition_config_selectorILNS1_17partition_subalgoE6EdNS0_10empty_typeEbEEZZNS1_14partition_implILS5_6ELb0ES3_mN6thrust23THRUST_200600_302600_NS6detail15normal_iteratorINSA_10device_ptrIdEEEEPS6_SG_NS0_5tupleIJSF_S6_EEENSH_IJSG_SG_EEES6_PlJNSB_9not_fun_tINSB_14equal_to_valueIdEEEEEEE10hipError_tPvRmT3_T4_T5_T6_T7_T9_mT8_P12ihipStream_tbDpT10_ENKUlT_T0_E_clISt17integral_constantIbLb0EES18_EEDaS13_S14_EUlS13_E_NS1_11comp_targetILNS1_3genE0ELNS1_11target_archE4294967295ELNS1_3gpuE0ELNS1_3repE0EEENS1_30default_config_static_selectorELNS0_4arch9wavefront6targetE0EEEvT1_,@function
_ZN7rocprim17ROCPRIM_400000_NS6detail17trampoline_kernelINS0_14default_configENS1_25partition_config_selectorILNS1_17partition_subalgoE6EdNS0_10empty_typeEbEEZZNS1_14partition_implILS5_6ELb0ES3_mN6thrust23THRUST_200600_302600_NS6detail15normal_iteratorINSA_10device_ptrIdEEEEPS6_SG_NS0_5tupleIJSF_S6_EEENSH_IJSG_SG_EEES6_PlJNSB_9not_fun_tINSB_14equal_to_valueIdEEEEEEE10hipError_tPvRmT3_T4_T5_T6_T7_T9_mT8_P12ihipStream_tbDpT10_ENKUlT_T0_E_clISt17integral_constantIbLb0EES18_EEDaS13_S14_EUlS13_E_NS1_11comp_targetILNS1_3genE0ELNS1_11target_archE4294967295ELNS1_3gpuE0ELNS1_3repE0EEENS1_30default_config_static_selectorELNS0_4arch9wavefront6targetE0EEEvT1_: ; @_ZN7rocprim17ROCPRIM_400000_NS6detail17trampoline_kernelINS0_14default_configENS1_25partition_config_selectorILNS1_17partition_subalgoE6EdNS0_10empty_typeEbEEZZNS1_14partition_implILS5_6ELb0ES3_mN6thrust23THRUST_200600_302600_NS6detail15normal_iteratorINSA_10device_ptrIdEEEEPS6_SG_NS0_5tupleIJSF_S6_EEENSH_IJSG_SG_EEES6_PlJNSB_9not_fun_tINSB_14equal_to_valueIdEEEEEEE10hipError_tPvRmT3_T4_T5_T6_T7_T9_mT8_P12ihipStream_tbDpT10_ENKUlT_T0_E_clISt17integral_constantIbLb0EES18_EEDaS13_S14_EUlS13_E_NS1_11comp_targetILNS1_3genE0ELNS1_11target_archE4294967295ELNS1_3gpuE0ELNS1_3repE0EEENS1_30default_config_static_selectorELNS0_4arch9wavefront6targetE0EEEvT1_
; %bb.0:
	.section	.rodata,"a",@progbits
	.p2align	6, 0x0
	.amdhsa_kernel _ZN7rocprim17ROCPRIM_400000_NS6detail17trampoline_kernelINS0_14default_configENS1_25partition_config_selectorILNS1_17partition_subalgoE6EdNS0_10empty_typeEbEEZZNS1_14partition_implILS5_6ELb0ES3_mN6thrust23THRUST_200600_302600_NS6detail15normal_iteratorINSA_10device_ptrIdEEEEPS6_SG_NS0_5tupleIJSF_S6_EEENSH_IJSG_SG_EEES6_PlJNSB_9not_fun_tINSB_14equal_to_valueIdEEEEEEE10hipError_tPvRmT3_T4_T5_T6_T7_T9_mT8_P12ihipStream_tbDpT10_ENKUlT_T0_E_clISt17integral_constantIbLb0EES18_EEDaS13_S14_EUlS13_E_NS1_11comp_targetILNS1_3genE0ELNS1_11target_archE4294967295ELNS1_3gpuE0ELNS1_3repE0EEENS1_30default_config_static_selectorELNS0_4arch9wavefront6targetE0EEEvT1_
		.amdhsa_group_segment_fixed_size 0
		.amdhsa_private_segment_fixed_size 0
		.amdhsa_kernarg_size 120
		.amdhsa_user_sgpr_count 2
		.amdhsa_user_sgpr_dispatch_ptr 0
		.amdhsa_user_sgpr_queue_ptr 0
		.amdhsa_user_sgpr_kernarg_segment_ptr 1
		.amdhsa_user_sgpr_dispatch_id 0
		.amdhsa_user_sgpr_private_segment_size 0
		.amdhsa_wavefront_size32 1
		.amdhsa_uses_dynamic_stack 0
		.amdhsa_enable_private_segment 0
		.amdhsa_system_sgpr_workgroup_id_x 1
		.amdhsa_system_sgpr_workgroup_id_y 0
		.amdhsa_system_sgpr_workgroup_id_z 0
		.amdhsa_system_sgpr_workgroup_info 0
		.amdhsa_system_vgpr_workitem_id 0
		.amdhsa_next_free_vgpr 1
		.amdhsa_next_free_sgpr 1
		.amdhsa_reserve_vcc 0
		.amdhsa_float_round_mode_32 0
		.amdhsa_float_round_mode_16_64 0
		.amdhsa_float_denorm_mode_32 3
		.amdhsa_float_denorm_mode_16_64 3
		.amdhsa_fp16_overflow 0
		.amdhsa_workgroup_processor_mode 1
		.amdhsa_memory_ordered 1
		.amdhsa_forward_progress 1
		.amdhsa_inst_pref_size 0
		.amdhsa_round_robin_scheduling 0
		.amdhsa_exception_fp_ieee_invalid_op 0
		.amdhsa_exception_fp_denorm_src 0
		.amdhsa_exception_fp_ieee_div_zero 0
		.amdhsa_exception_fp_ieee_overflow 0
		.amdhsa_exception_fp_ieee_underflow 0
		.amdhsa_exception_fp_ieee_inexact 0
		.amdhsa_exception_int_div_zero 0
	.end_amdhsa_kernel
	.section	.text._ZN7rocprim17ROCPRIM_400000_NS6detail17trampoline_kernelINS0_14default_configENS1_25partition_config_selectorILNS1_17partition_subalgoE6EdNS0_10empty_typeEbEEZZNS1_14partition_implILS5_6ELb0ES3_mN6thrust23THRUST_200600_302600_NS6detail15normal_iteratorINSA_10device_ptrIdEEEEPS6_SG_NS0_5tupleIJSF_S6_EEENSH_IJSG_SG_EEES6_PlJNSB_9not_fun_tINSB_14equal_to_valueIdEEEEEEE10hipError_tPvRmT3_T4_T5_T6_T7_T9_mT8_P12ihipStream_tbDpT10_ENKUlT_T0_E_clISt17integral_constantIbLb0EES18_EEDaS13_S14_EUlS13_E_NS1_11comp_targetILNS1_3genE0ELNS1_11target_archE4294967295ELNS1_3gpuE0ELNS1_3repE0EEENS1_30default_config_static_selectorELNS0_4arch9wavefront6targetE0EEEvT1_,"axG",@progbits,_ZN7rocprim17ROCPRIM_400000_NS6detail17trampoline_kernelINS0_14default_configENS1_25partition_config_selectorILNS1_17partition_subalgoE6EdNS0_10empty_typeEbEEZZNS1_14partition_implILS5_6ELb0ES3_mN6thrust23THRUST_200600_302600_NS6detail15normal_iteratorINSA_10device_ptrIdEEEEPS6_SG_NS0_5tupleIJSF_S6_EEENSH_IJSG_SG_EEES6_PlJNSB_9not_fun_tINSB_14equal_to_valueIdEEEEEEE10hipError_tPvRmT3_T4_T5_T6_T7_T9_mT8_P12ihipStream_tbDpT10_ENKUlT_T0_E_clISt17integral_constantIbLb0EES18_EEDaS13_S14_EUlS13_E_NS1_11comp_targetILNS1_3genE0ELNS1_11target_archE4294967295ELNS1_3gpuE0ELNS1_3repE0EEENS1_30default_config_static_selectorELNS0_4arch9wavefront6targetE0EEEvT1_,comdat
.Lfunc_end277:
	.size	_ZN7rocprim17ROCPRIM_400000_NS6detail17trampoline_kernelINS0_14default_configENS1_25partition_config_selectorILNS1_17partition_subalgoE6EdNS0_10empty_typeEbEEZZNS1_14partition_implILS5_6ELb0ES3_mN6thrust23THRUST_200600_302600_NS6detail15normal_iteratorINSA_10device_ptrIdEEEEPS6_SG_NS0_5tupleIJSF_S6_EEENSH_IJSG_SG_EEES6_PlJNSB_9not_fun_tINSB_14equal_to_valueIdEEEEEEE10hipError_tPvRmT3_T4_T5_T6_T7_T9_mT8_P12ihipStream_tbDpT10_ENKUlT_T0_E_clISt17integral_constantIbLb0EES18_EEDaS13_S14_EUlS13_E_NS1_11comp_targetILNS1_3genE0ELNS1_11target_archE4294967295ELNS1_3gpuE0ELNS1_3repE0EEENS1_30default_config_static_selectorELNS0_4arch9wavefront6targetE0EEEvT1_, .Lfunc_end277-_ZN7rocprim17ROCPRIM_400000_NS6detail17trampoline_kernelINS0_14default_configENS1_25partition_config_selectorILNS1_17partition_subalgoE6EdNS0_10empty_typeEbEEZZNS1_14partition_implILS5_6ELb0ES3_mN6thrust23THRUST_200600_302600_NS6detail15normal_iteratorINSA_10device_ptrIdEEEEPS6_SG_NS0_5tupleIJSF_S6_EEENSH_IJSG_SG_EEES6_PlJNSB_9not_fun_tINSB_14equal_to_valueIdEEEEEEE10hipError_tPvRmT3_T4_T5_T6_T7_T9_mT8_P12ihipStream_tbDpT10_ENKUlT_T0_E_clISt17integral_constantIbLb0EES18_EEDaS13_S14_EUlS13_E_NS1_11comp_targetILNS1_3genE0ELNS1_11target_archE4294967295ELNS1_3gpuE0ELNS1_3repE0EEENS1_30default_config_static_selectorELNS0_4arch9wavefront6targetE0EEEvT1_
                                        ; -- End function
	.set _ZN7rocprim17ROCPRIM_400000_NS6detail17trampoline_kernelINS0_14default_configENS1_25partition_config_selectorILNS1_17partition_subalgoE6EdNS0_10empty_typeEbEEZZNS1_14partition_implILS5_6ELb0ES3_mN6thrust23THRUST_200600_302600_NS6detail15normal_iteratorINSA_10device_ptrIdEEEEPS6_SG_NS0_5tupleIJSF_S6_EEENSH_IJSG_SG_EEES6_PlJNSB_9not_fun_tINSB_14equal_to_valueIdEEEEEEE10hipError_tPvRmT3_T4_T5_T6_T7_T9_mT8_P12ihipStream_tbDpT10_ENKUlT_T0_E_clISt17integral_constantIbLb0EES18_EEDaS13_S14_EUlS13_E_NS1_11comp_targetILNS1_3genE0ELNS1_11target_archE4294967295ELNS1_3gpuE0ELNS1_3repE0EEENS1_30default_config_static_selectorELNS0_4arch9wavefront6targetE0EEEvT1_.num_vgpr, 0
	.set _ZN7rocprim17ROCPRIM_400000_NS6detail17trampoline_kernelINS0_14default_configENS1_25partition_config_selectorILNS1_17partition_subalgoE6EdNS0_10empty_typeEbEEZZNS1_14partition_implILS5_6ELb0ES3_mN6thrust23THRUST_200600_302600_NS6detail15normal_iteratorINSA_10device_ptrIdEEEEPS6_SG_NS0_5tupleIJSF_S6_EEENSH_IJSG_SG_EEES6_PlJNSB_9not_fun_tINSB_14equal_to_valueIdEEEEEEE10hipError_tPvRmT3_T4_T5_T6_T7_T9_mT8_P12ihipStream_tbDpT10_ENKUlT_T0_E_clISt17integral_constantIbLb0EES18_EEDaS13_S14_EUlS13_E_NS1_11comp_targetILNS1_3genE0ELNS1_11target_archE4294967295ELNS1_3gpuE0ELNS1_3repE0EEENS1_30default_config_static_selectorELNS0_4arch9wavefront6targetE0EEEvT1_.num_agpr, 0
	.set _ZN7rocprim17ROCPRIM_400000_NS6detail17trampoline_kernelINS0_14default_configENS1_25partition_config_selectorILNS1_17partition_subalgoE6EdNS0_10empty_typeEbEEZZNS1_14partition_implILS5_6ELb0ES3_mN6thrust23THRUST_200600_302600_NS6detail15normal_iteratorINSA_10device_ptrIdEEEEPS6_SG_NS0_5tupleIJSF_S6_EEENSH_IJSG_SG_EEES6_PlJNSB_9not_fun_tINSB_14equal_to_valueIdEEEEEEE10hipError_tPvRmT3_T4_T5_T6_T7_T9_mT8_P12ihipStream_tbDpT10_ENKUlT_T0_E_clISt17integral_constantIbLb0EES18_EEDaS13_S14_EUlS13_E_NS1_11comp_targetILNS1_3genE0ELNS1_11target_archE4294967295ELNS1_3gpuE0ELNS1_3repE0EEENS1_30default_config_static_selectorELNS0_4arch9wavefront6targetE0EEEvT1_.numbered_sgpr, 0
	.set _ZN7rocprim17ROCPRIM_400000_NS6detail17trampoline_kernelINS0_14default_configENS1_25partition_config_selectorILNS1_17partition_subalgoE6EdNS0_10empty_typeEbEEZZNS1_14partition_implILS5_6ELb0ES3_mN6thrust23THRUST_200600_302600_NS6detail15normal_iteratorINSA_10device_ptrIdEEEEPS6_SG_NS0_5tupleIJSF_S6_EEENSH_IJSG_SG_EEES6_PlJNSB_9not_fun_tINSB_14equal_to_valueIdEEEEEEE10hipError_tPvRmT3_T4_T5_T6_T7_T9_mT8_P12ihipStream_tbDpT10_ENKUlT_T0_E_clISt17integral_constantIbLb0EES18_EEDaS13_S14_EUlS13_E_NS1_11comp_targetILNS1_3genE0ELNS1_11target_archE4294967295ELNS1_3gpuE0ELNS1_3repE0EEENS1_30default_config_static_selectorELNS0_4arch9wavefront6targetE0EEEvT1_.num_named_barrier, 0
	.set _ZN7rocprim17ROCPRIM_400000_NS6detail17trampoline_kernelINS0_14default_configENS1_25partition_config_selectorILNS1_17partition_subalgoE6EdNS0_10empty_typeEbEEZZNS1_14partition_implILS5_6ELb0ES3_mN6thrust23THRUST_200600_302600_NS6detail15normal_iteratorINSA_10device_ptrIdEEEEPS6_SG_NS0_5tupleIJSF_S6_EEENSH_IJSG_SG_EEES6_PlJNSB_9not_fun_tINSB_14equal_to_valueIdEEEEEEE10hipError_tPvRmT3_T4_T5_T6_T7_T9_mT8_P12ihipStream_tbDpT10_ENKUlT_T0_E_clISt17integral_constantIbLb0EES18_EEDaS13_S14_EUlS13_E_NS1_11comp_targetILNS1_3genE0ELNS1_11target_archE4294967295ELNS1_3gpuE0ELNS1_3repE0EEENS1_30default_config_static_selectorELNS0_4arch9wavefront6targetE0EEEvT1_.private_seg_size, 0
	.set _ZN7rocprim17ROCPRIM_400000_NS6detail17trampoline_kernelINS0_14default_configENS1_25partition_config_selectorILNS1_17partition_subalgoE6EdNS0_10empty_typeEbEEZZNS1_14partition_implILS5_6ELb0ES3_mN6thrust23THRUST_200600_302600_NS6detail15normal_iteratorINSA_10device_ptrIdEEEEPS6_SG_NS0_5tupleIJSF_S6_EEENSH_IJSG_SG_EEES6_PlJNSB_9not_fun_tINSB_14equal_to_valueIdEEEEEEE10hipError_tPvRmT3_T4_T5_T6_T7_T9_mT8_P12ihipStream_tbDpT10_ENKUlT_T0_E_clISt17integral_constantIbLb0EES18_EEDaS13_S14_EUlS13_E_NS1_11comp_targetILNS1_3genE0ELNS1_11target_archE4294967295ELNS1_3gpuE0ELNS1_3repE0EEENS1_30default_config_static_selectorELNS0_4arch9wavefront6targetE0EEEvT1_.uses_vcc, 0
	.set _ZN7rocprim17ROCPRIM_400000_NS6detail17trampoline_kernelINS0_14default_configENS1_25partition_config_selectorILNS1_17partition_subalgoE6EdNS0_10empty_typeEbEEZZNS1_14partition_implILS5_6ELb0ES3_mN6thrust23THRUST_200600_302600_NS6detail15normal_iteratorINSA_10device_ptrIdEEEEPS6_SG_NS0_5tupleIJSF_S6_EEENSH_IJSG_SG_EEES6_PlJNSB_9not_fun_tINSB_14equal_to_valueIdEEEEEEE10hipError_tPvRmT3_T4_T5_T6_T7_T9_mT8_P12ihipStream_tbDpT10_ENKUlT_T0_E_clISt17integral_constantIbLb0EES18_EEDaS13_S14_EUlS13_E_NS1_11comp_targetILNS1_3genE0ELNS1_11target_archE4294967295ELNS1_3gpuE0ELNS1_3repE0EEENS1_30default_config_static_selectorELNS0_4arch9wavefront6targetE0EEEvT1_.uses_flat_scratch, 0
	.set _ZN7rocprim17ROCPRIM_400000_NS6detail17trampoline_kernelINS0_14default_configENS1_25partition_config_selectorILNS1_17partition_subalgoE6EdNS0_10empty_typeEbEEZZNS1_14partition_implILS5_6ELb0ES3_mN6thrust23THRUST_200600_302600_NS6detail15normal_iteratorINSA_10device_ptrIdEEEEPS6_SG_NS0_5tupleIJSF_S6_EEENSH_IJSG_SG_EEES6_PlJNSB_9not_fun_tINSB_14equal_to_valueIdEEEEEEE10hipError_tPvRmT3_T4_T5_T6_T7_T9_mT8_P12ihipStream_tbDpT10_ENKUlT_T0_E_clISt17integral_constantIbLb0EES18_EEDaS13_S14_EUlS13_E_NS1_11comp_targetILNS1_3genE0ELNS1_11target_archE4294967295ELNS1_3gpuE0ELNS1_3repE0EEENS1_30default_config_static_selectorELNS0_4arch9wavefront6targetE0EEEvT1_.has_dyn_sized_stack, 0
	.set _ZN7rocprim17ROCPRIM_400000_NS6detail17trampoline_kernelINS0_14default_configENS1_25partition_config_selectorILNS1_17partition_subalgoE6EdNS0_10empty_typeEbEEZZNS1_14partition_implILS5_6ELb0ES3_mN6thrust23THRUST_200600_302600_NS6detail15normal_iteratorINSA_10device_ptrIdEEEEPS6_SG_NS0_5tupleIJSF_S6_EEENSH_IJSG_SG_EEES6_PlJNSB_9not_fun_tINSB_14equal_to_valueIdEEEEEEE10hipError_tPvRmT3_T4_T5_T6_T7_T9_mT8_P12ihipStream_tbDpT10_ENKUlT_T0_E_clISt17integral_constantIbLb0EES18_EEDaS13_S14_EUlS13_E_NS1_11comp_targetILNS1_3genE0ELNS1_11target_archE4294967295ELNS1_3gpuE0ELNS1_3repE0EEENS1_30default_config_static_selectorELNS0_4arch9wavefront6targetE0EEEvT1_.has_recursion, 0
	.set _ZN7rocprim17ROCPRIM_400000_NS6detail17trampoline_kernelINS0_14default_configENS1_25partition_config_selectorILNS1_17partition_subalgoE6EdNS0_10empty_typeEbEEZZNS1_14partition_implILS5_6ELb0ES3_mN6thrust23THRUST_200600_302600_NS6detail15normal_iteratorINSA_10device_ptrIdEEEEPS6_SG_NS0_5tupleIJSF_S6_EEENSH_IJSG_SG_EEES6_PlJNSB_9not_fun_tINSB_14equal_to_valueIdEEEEEEE10hipError_tPvRmT3_T4_T5_T6_T7_T9_mT8_P12ihipStream_tbDpT10_ENKUlT_T0_E_clISt17integral_constantIbLb0EES18_EEDaS13_S14_EUlS13_E_NS1_11comp_targetILNS1_3genE0ELNS1_11target_archE4294967295ELNS1_3gpuE0ELNS1_3repE0EEENS1_30default_config_static_selectorELNS0_4arch9wavefront6targetE0EEEvT1_.has_indirect_call, 0
	.section	.AMDGPU.csdata,"",@progbits
; Kernel info:
; codeLenInByte = 0
; TotalNumSgprs: 0
; NumVgprs: 0
; ScratchSize: 0
; MemoryBound: 0
; FloatMode: 240
; IeeeMode: 1
; LDSByteSize: 0 bytes/workgroup (compile time only)
; SGPRBlocks: 0
; VGPRBlocks: 0
; NumSGPRsForWavesPerEU: 1
; NumVGPRsForWavesPerEU: 1
; Occupancy: 16
; WaveLimiterHint : 0
; COMPUTE_PGM_RSRC2:SCRATCH_EN: 0
; COMPUTE_PGM_RSRC2:USER_SGPR: 2
; COMPUTE_PGM_RSRC2:TRAP_HANDLER: 0
; COMPUTE_PGM_RSRC2:TGID_X_EN: 1
; COMPUTE_PGM_RSRC2:TGID_Y_EN: 0
; COMPUTE_PGM_RSRC2:TGID_Z_EN: 0
; COMPUTE_PGM_RSRC2:TIDIG_COMP_CNT: 0
	.section	.text._ZN7rocprim17ROCPRIM_400000_NS6detail17trampoline_kernelINS0_14default_configENS1_25partition_config_selectorILNS1_17partition_subalgoE6EdNS0_10empty_typeEbEEZZNS1_14partition_implILS5_6ELb0ES3_mN6thrust23THRUST_200600_302600_NS6detail15normal_iteratorINSA_10device_ptrIdEEEEPS6_SG_NS0_5tupleIJSF_S6_EEENSH_IJSG_SG_EEES6_PlJNSB_9not_fun_tINSB_14equal_to_valueIdEEEEEEE10hipError_tPvRmT3_T4_T5_T6_T7_T9_mT8_P12ihipStream_tbDpT10_ENKUlT_T0_E_clISt17integral_constantIbLb0EES18_EEDaS13_S14_EUlS13_E_NS1_11comp_targetILNS1_3genE5ELNS1_11target_archE942ELNS1_3gpuE9ELNS1_3repE0EEENS1_30default_config_static_selectorELNS0_4arch9wavefront6targetE0EEEvT1_,"axG",@progbits,_ZN7rocprim17ROCPRIM_400000_NS6detail17trampoline_kernelINS0_14default_configENS1_25partition_config_selectorILNS1_17partition_subalgoE6EdNS0_10empty_typeEbEEZZNS1_14partition_implILS5_6ELb0ES3_mN6thrust23THRUST_200600_302600_NS6detail15normal_iteratorINSA_10device_ptrIdEEEEPS6_SG_NS0_5tupleIJSF_S6_EEENSH_IJSG_SG_EEES6_PlJNSB_9not_fun_tINSB_14equal_to_valueIdEEEEEEE10hipError_tPvRmT3_T4_T5_T6_T7_T9_mT8_P12ihipStream_tbDpT10_ENKUlT_T0_E_clISt17integral_constantIbLb0EES18_EEDaS13_S14_EUlS13_E_NS1_11comp_targetILNS1_3genE5ELNS1_11target_archE942ELNS1_3gpuE9ELNS1_3repE0EEENS1_30default_config_static_selectorELNS0_4arch9wavefront6targetE0EEEvT1_,comdat
	.protected	_ZN7rocprim17ROCPRIM_400000_NS6detail17trampoline_kernelINS0_14default_configENS1_25partition_config_selectorILNS1_17partition_subalgoE6EdNS0_10empty_typeEbEEZZNS1_14partition_implILS5_6ELb0ES3_mN6thrust23THRUST_200600_302600_NS6detail15normal_iteratorINSA_10device_ptrIdEEEEPS6_SG_NS0_5tupleIJSF_S6_EEENSH_IJSG_SG_EEES6_PlJNSB_9not_fun_tINSB_14equal_to_valueIdEEEEEEE10hipError_tPvRmT3_T4_T5_T6_T7_T9_mT8_P12ihipStream_tbDpT10_ENKUlT_T0_E_clISt17integral_constantIbLb0EES18_EEDaS13_S14_EUlS13_E_NS1_11comp_targetILNS1_3genE5ELNS1_11target_archE942ELNS1_3gpuE9ELNS1_3repE0EEENS1_30default_config_static_selectorELNS0_4arch9wavefront6targetE0EEEvT1_ ; -- Begin function _ZN7rocprim17ROCPRIM_400000_NS6detail17trampoline_kernelINS0_14default_configENS1_25partition_config_selectorILNS1_17partition_subalgoE6EdNS0_10empty_typeEbEEZZNS1_14partition_implILS5_6ELb0ES3_mN6thrust23THRUST_200600_302600_NS6detail15normal_iteratorINSA_10device_ptrIdEEEEPS6_SG_NS0_5tupleIJSF_S6_EEENSH_IJSG_SG_EEES6_PlJNSB_9not_fun_tINSB_14equal_to_valueIdEEEEEEE10hipError_tPvRmT3_T4_T5_T6_T7_T9_mT8_P12ihipStream_tbDpT10_ENKUlT_T0_E_clISt17integral_constantIbLb0EES18_EEDaS13_S14_EUlS13_E_NS1_11comp_targetILNS1_3genE5ELNS1_11target_archE942ELNS1_3gpuE9ELNS1_3repE0EEENS1_30default_config_static_selectorELNS0_4arch9wavefront6targetE0EEEvT1_
	.globl	_ZN7rocprim17ROCPRIM_400000_NS6detail17trampoline_kernelINS0_14default_configENS1_25partition_config_selectorILNS1_17partition_subalgoE6EdNS0_10empty_typeEbEEZZNS1_14partition_implILS5_6ELb0ES3_mN6thrust23THRUST_200600_302600_NS6detail15normal_iteratorINSA_10device_ptrIdEEEEPS6_SG_NS0_5tupleIJSF_S6_EEENSH_IJSG_SG_EEES6_PlJNSB_9not_fun_tINSB_14equal_to_valueIdEEEEEEE10hipError_tPvRmT3_T4_T5_T6_T7_T9_mT8_P12ihipStream_tbDpT10_ENKUlT_T0_E_clISt17integral_constantIbLb0EES18_EEDaS13_S14_EUlS13_E_NS1_11comp_targetILNS1_3genE5ELNS1_11target_archE942ELNS1_3gpuE9ELNS1_3repE0EEENS1_30default_config_static_selectorELNS0_4arch9wavefront6targetE0EEEvT1_
	.p2align	8
	.type	_ZN7rocprim17ROCPRIM_400000_NS6detail17trampoline_kernelINS0_14default_configENS1_25partition_config_selectorILNS1_17partition_subalgoE6EdNS0_10empty_typeEbEEZZNS1_14partition_implILS5_6ELb0ES3_mN6thrust23THRUST_200600_302600_NS6detail15normal_iteratorINSA_10device_ptrIdEEEEPS6_SG_NS0_5tupleIJSF_S6_EEENSH_IJSG_SG_EEES6_PlJNSB_9not_fun_tINSB_14equal_to_valueIdEEEEEEE10hipError_tPvRmT3_T4_T5_T6_T7_T9_mT8_P12ihipStream_tbDpT10_ENKUlT_T0_E_clISt17integral_constantIbLb0EES18_EEDaS13_S14_EUlS13_E_NS1_11comp_targetILNS1_3genE5ELNS1_11target_archE942ELNS1_3gpuE9ELNS1_3repE0EEENS1_30default_config_static_selectorELNS0_4arch9wavefront6targetE0EEEvT1_,@function
_ZN7rocprim17ROCPRIM_400000_NS6detail17trampoline_kernelINS0_14default_configENS1_25partition_config_selectorILNS1_17partition_subalgoE6EdNS0_10empty_typeEbEEZZNS1_14partition_implILS5_6ELb0ES3_mN6thrust23THRUST_200600_302600_NS6detail15normal_iteratorINSA_10device_ptrIdEEEEPS6_SG_NS0_5tupleIJSF_S6_EEENSH_IJSG_SG_EEES6_PlJNSB_9not_fun_tINSB_14equal_to_valueIdEEEEEEE10hipError_tPvRmT3_T4_T5_T6_T7_T9_mT8_P12ihipStream_tbDpT10_ENKUlT_T0_E_clISt17integral_constantIbLb0EES18_EEDaS13_S14_EUlS13_E_NS1_11comp_targetILNS1_3genE5ELNS1_11target_archE942ELNS1_3gpuE9ELNS1_3repE0EEENS1_30default_config_static_selectorELNS0_4arch9wavefront6targetE0EEEvT1_: ; @_ZN7rocprim17ROCPRIM_400000_NS6detail17trampoline_kernelINS0_14default_configENS1_25partition_config_selectorILNS1_17partition_subalgoE6EdNS0_10empty_typeEbEEZZNS1_14partition_implILS5_6ELb0ES3_mN6thrust23THRUST_200600_302600_NS6detail15normal_iteratorINSA_10device_ptrIdEEEEPS6_SG_NS0_5tupleIJSF_S6_EEENSH_IJSG_SG_EEES6_PlJNSB_9not_fun_tINSB_14equal_to_valueIdEEEEEEE10hipError_tPvRmT3_T4_T5_T6_T7_T9_mT8_P12ihipStream_tbDpT10_ENKUlT_T0_E_clISt17integral_constantIbLb0EES18_EEDaS13_S14_EUlS13_E_NS1_11comp_targetILNS1_3genE5ELNS1_11target_archE942ELNS1_3gpuE9ELNS1_3repE0EEENS1_30default_config_static_selectorELNS0_4arch9wavefront6targetE0EEEvT1_
; %bb.0:
	.section	.rodata,"a",@progbits
	.p2align	6, 0x0
	.amdhsa_kernel _ZN7rocprim17ROCPRIM_400000_NS6detail17trampoline_kernelINS0_14default_configENS1_25partition_config_selectorILNS1_17partition_subalgoE6EdNS0_10empty_typeEbEEZZNS1_14partition_implILS5_6ELb0ES3_mN6thrust23THRUST_200600_302600_NS6detail15normal_iteratorINSA_10device_ptrIdEEEEPS6_SG_NS0_5tupleIJSF_S6_EEENSH_IJSG_SG_EEES6_PlJNSB_9not_fun_tINSB_14equal_to_valueIdEEEEEEE10hipError_tPvRmT3_T4_T5_T6_T7_T9_mT8_P12ihipStream_tbDpT10_ENKUlT_T0_E_clISt17integral_constantIbLb0EES18_EEDaS13_S14_EUlS13_E_NS1_11comp_targetILNS1_3genE5ELNS1_11target_archE942ELNS1_3gpuE9ELNS1_3repE0EEENS1_30default_config_static_selectorELNS0_4arch9wavefront6targetE0EEEvT1_
		.amdhsa_group_segment_fixed_size 0
		.amdhsa_private_segment_fixed_size 0
		.amdhsa_kernarg_size 120
		.amdhsa_user_sgpr_count 2
		.amdhsa_user_sgpr_dispatch_ptr 0
		.amdhsa_user_sgpr_queue_ptr 0
		.amdhsa_user_sgpr_kernarg_segment_ptr 1
		.amdhsa_user_sgpr_dispatch_id 0
		.amdhsa_user_sgpr_private_segment_size 0
		.amdhsa_wavefront_size32 1
		.amdhsa_uses_dynamic_stack 0
		.amdhsa_enable_private_segment 0
		.amdhsa_system_sgpr_workgroup_id_x 1
		.amdhsa_system_sgpr_workgroup_id_y 0
		.amdhsa_system_sgpr_workgroup_id_z 0
		.amdhsa_system_sgpr_workgroup_info 0
		.amdhsa_system_vgpr_workitem_id 0
		.amdhsa_next_free_vgpr 1
		.amdhsa_next_free_sgpr 1
		.amdhsa_reserve_vcc 0
		.amdhsa_float_round_mode_32 0
		.amdhsa_float_round_mode_16_64 0
		.amdhsa_float_denorm_mode_32 3
		.amdhsa_float_denorm_mode_16_64 3
		.amdhsa_fp16_overflow 0
		.amdhsa_workgroup_processor_mode 1
		.amdhsa_memory_ordered 1
		.amdhsa_forward_progress 1
		.amdhsa_inst_pref_size 0
		.amdhsa_round_robin_scheduling 0
		.amdhsa_exception_fp_ieee_invalid_op 0
		.amdhsa_exception_fp_denorm_src 0
		.amdhsa_exception_fp_ieee_div_zero 0
		.amdhsa_exception_fp_ieee_overflow 0
		.amdhsa_exception_fp_ieee_underflow 0
		.amdhsa_exception_fp_ieee_inexact 0
		.amdhsa_exception_int_div_zero 0
	.end_amdhsa_kernel
	.section	.text._ZN7rocprim17ROCPRIM_400000_NS6detail17trampoline_kernelINS0_14default_configENS1_25partition_config_selectorILNS1_17partition_subalgoE6EdNS0_10empty_typeEbEEZZNS1_14partition_implILS5_6ELb0ES3_mN6thrust23THRUST_200600_302600_NS6detail15normal_iteratorINSA_10device_ptrIdEEEEPS6_SG_NS0_5tupleIJSF_S6_EEENSH_IJSG_SG_EEES6_PlJNSB_9not_fun_tINSB_14equal_to_valueIdEEEEEEE10hipError_tPvRmT3_T4_T5_T6_T7_T9_mT8_P12ihipStream_tbDpT10_ENKUlT_T0_E_clISt17integral_constantIbLb0EES18_EEDaS13_S14_EUlS13_E_NS1_11comp_targetILNS1_3genE5ELNS1_11target_archE942ELNS1_3gpuE9ELNS1_3repE0EEENS1_30default_config_static_selectorELNS0_4arch9wavefront6targetE0EEEvT1_,"axG",@progbits,_ZN7rocprim17ROCPRIM_400000_NS6detail17trampoline_kernelINS0_14default_configENS1_25partition_config_selectorILNS1_17partition_subalgoE6EdNS0_10empty_typeEbEEZZNS1_14partition_implILS5_6ELb0ES3_mN6thrust23THRUST_200600_302600_NS6detail15normal_iteratorINSA_10device_ptrIdEEEEPS6_SG_NS0_5tupleIJSF_S6_EEENSH_IJSG_SG_EEES6_PlJNSB_9not_fun_tINSB_14equal_to_valueIdEEEEEEE10hipError_tPvRmT3_T4_T5_T6_T7_T9_mT8_P12ihipStream_tbDpT10_ENKUlT_T0_E_clISt17integral_constantIbLb0EES18_EEDaS13_S14_EUlS13_E_NS1_11comp_targetILNS1_3genE5ELNS1_11target_archE942ELNS1_3gpuE9ELNS1_3repE0EEENS1_30default_config_static_selectorELNS0_4arch9wavefront6targetE0EEEvT1_,comdat
.Lfunc_end278:
	.size	_ZN7rocprim17ROCPRIM_400000_NS6detail17trampoline_kernelINS0_14default_configENS1_25partition_config_selectorILNS1_17partition_subalgoE6EdNS0_10empty_typeEbEEZZNS1_14partition_implILS5_6ELb0ES3_mN6thrust23THRUST_200600_302600_NS6detail15normal_iteratorINSA_10device_ptrIdEEEEPS6_SG_NS0_5tupleIJSF_S6_EEENSH_IJSG_SG_EEES6_PlJNSB_9not_fun_tINSB_14equal_to_valueIdEEEEEEE10hipError_tPvRmT3_T4_T5_T6_T7_T9_mT8_P12ihipStream_tbDpT10_ENKUlT_T0_E_clISt17integral_constantIbLb0EES18_EEDaS13_S14_EUlS13_E_NS1_11comp_targetILNS1_3genE5ELNS1_11target_archE942ELNS1_3gpuE9ELNS1_3repE0EEENS1_30default_config_static_selectorELNS0_4arch9wavefront6targetE0EEEvT1_, .Lfunc_end278-_ZN7rocprim17ROCPRIM_400000_NS6detail17trampoline_kernelINS0_14default_configENS1_25partition_config_selectorILNS1_17partition_subalgoE6EdNS0_10empty_typeEbEEZZNS1_14partition_implILS5_6ELb0ES3_mN6thrust23THRUST_200600_302600_NS6detail15normal_iteratorINSA_10device_ptrIdEEEEPS6_SG_NS0_5tupleIJSF_S6_EEENSH_IJSG_SG_EEES6_PlJNSB_9not_fun_tINSB_14equal_to_valueIdEEEEEEE10hipError_tPvRmT3_T4_T5_T6_T7_T9_mT8_P12ihipStream_tbDpT10_ENKUlT_T0_E_clISt17integral_constantIbLb0EES18_EEDaS13_S14_EUlS13_E_NS1_11comp_targetILNS1_3genE5ELNS1_11target_archE942ELNS1_3gpuE9ELNS1_3repE0EEENS1_30default_config_static_selectorELNS0_4arch9wavefront6targetE0EEEvT1_
                                        ; -- End function
	.set _ZN7rocprim17ROCPRIM_400000_NS6detail17trampoline_kernelINS0_14default_configENS1_25partition_config_selectorILNS1_17partition_subalgoE6EdNS0_10empty_typeEbEEZZNS1_14partition_implILS5_6ELb0ES3_mN6thrust23THRUST_200600_302600_NS6detail15normal_iteratorINSA_10device_ptrIdEEEEPS6_SG_NS0_5tupleIJSF_S6_EEENSH_IJSG_SG_EEES6_PlJNSB_9not_fun_tINSB_14equal_to_valueIdEEEEEEE10hipError_tPvRmT3_T4_T5_T6_T7_T9_mT8_P12ihipStream_tbDpT10_ENKUlT_T0_E_clISt17integral_constantIbLb0EES18_EEDaS13_S14_EUlS13_E_NS1_11comp_targetILNS1_3genE5ELNS1_11target_archE942ELNS1_3gpuE9ELNS1_3repE0EEENS1_30default_config_static_selectorELNS0_4arch9wavefront6targetE0EEEvT1_.num_vgpr, 0
	.set _ZN7rocprim17ROCPRIM_400000_NS6detail17trampoline_kernelINS0_14default_configENS1_25partition_config_selectorILNS1_17partition_subalgoE6EdNS0_10empty_typeEbEEZZNS1_14partition_implILS5_6ELb0ES3_mN6thrust23THRUST_200600_302600_NS6detail15normal_iteratorINSA_10device_ptrIdEEEEPS6_SG_NS0_5tupleIJSF_S6_EEENSH_IJSG_SG_EEES6_PlJNSB_9not_fun_tINSB_14equal_to_valueIdEEEEEEE10hipError_tPvRmT3_T4_T5_T6_T7_T9_mT8_P12ihipStream_tbDpT10_ENKUlT_T0_E_clISt17integral_constantIbLb0EES18_EEDaS13_S14_EUlS13_E_NS1_11comp_targetILNS1_3genE5ELNS1_11target_archE942ELNS1_3gpuE9ELNS1_3repE0EEENS1_30default_config_static_selectorELNS0_4arch9wavefront6targetE0EEEvT1_.num_agpr, 0
	.set _ZN7rocprim17ROCPRIM_400000_NS6detail17trampoline_kernelINS0_14default_configENS1_25partition_config_selectorILNS1_17partition_subalgoE6EdNS0_10empty_typeEbEEZZNS1_14partition_implILS5_6ELb0ES3_mN6thrust23THRUST_200600_302600_NS6detail15normal_iteratorINSA_10device_ptrIdEEEEPS6_SG_NS0_5tupleIJSF_S6_EEENSH_IJSG_SG_EEES6_PlJNSB_9not_fun_tINSB_14equal_to_valueIdEEEEEEE10hipError_tPvRmT3_T4_T5_T6_T7_T9_mT8_P12ihipStream_tbDpT10_ENKUlT_T0_E_clISt17integral_constantIbLb0EES18_EEDaS13_S14_EUlS13_E_NS1_11comp_targetILNS1_3genE5ELNS1_11target_archE942ELNS1_3gpuE9ELNS1_3repE0EEENS1_30default_config_static_selectorELNS0_4arch9wavefront6targetE0EEEvT1_.numbered_sgpr, 0
	.set _ZN7rocprim17ROCPRIM_400000_NS6detail17trampoline_kernelINS0_14default_configENS1_25partition_config_selectorILNS1_17partition_subalgoE6EdNS0_10empty_typeEbEEZZNS1_14partition_implILS5_6ELb0ES3_mN6thrust23THRUST_200600_302600_NS6detail15normal_iteratorINSA_10device_ptrIdEEEEPS6_SG_NS0_5tupleIJSF_S6_EEENSH_IJSG_SG_EEES6_PlJNSB_9not_fun_tINSB_14equal_to_valueIdEEEEEEE10hipError_tPvRmT3_T4_T5_T6_T7_T9_mT8_P12ihipStream_tbDpT10_ENKUlT_T0_E_clISt17integral_constantIbLb0EES18_EEDaS13_S14_EUlS13_E_NS1_11comp_targetILNS1_3genE5ELNS1_11target_archE942ELNS1_3gpuE9ELNS1_3repE0EEENS1_30default_config_static_selectorELNS0_4arch9wavefront6targetE0EEEvT1_.num_named_barrier, 0
	.set _ZN7rocprim17ROCPRIM_400000_NS6detail17trampoline_kernelINS0_14default_configENS1_25partition_config_selectorILNS1_17partition_subalgoE6EdNS0_10empty_typeEbEEZZNS1_14partition_implILS5_6ELb0ES3_mN6thrust23THRUST_200600_302600_NS6detail15normal_iteratorINSA_10device_ptrIdEEEEPS6_SG_NS0_5tupleIJSF_S6_EEENSH_IJSG_SG_EEES6_PlJNSB_9not_fun_tINSB_14equal_to_valueIdEEEEEEE10hipError_tPvRmT3_T4_T5_T6_T7_T9_mT8_P12ihipStream_tbDpT10_ENKUlT_T0_E_clISt17integral_constantIbLb0EES18_EEDaS13_S14_EUlS13_E_NS1_11comp_targetILNS1_3genE5ELNS1_11target_archE942ELNS1_3gpuE9ELNS1_3repE0EEENS1_30default_config_static_selectorELNS0_4arch9wavefront6targetE0EEEvT1_.private_seg_size, 0
	.set _ZN7rocprim17ROCPRIM_400000_NS6detail17trampoline_kernelINS0_14default_configENS1_25partition_config_selectorILNS1_17partition_subalgoE6EdNS0_10empty_typeEbEEZZNS1_14partition_implILS5_6ELb0ES3_mN6thrust23THRUST_200600_302600_NS6detail15normal_iteratorINSA_10device_ptrIdEEEEPS6_SG_NS0_5tupleIJSF_S6_EEENSH_IJSG_SG_EEES6_PlJNSB_9not_fun_tINSB_14equal_to_valueIdEEEEEEE10hipError_tPvRmT3_T4_T5_T6_T7_T9_mT8_P12ihipStream_tbDpT10_ENKUlT_T0_E_clISt17integral_constantIbLb0EES18_EEDaS13_S14_EUlS13_E_NS1_11comp_targetILNS1_3genE5ELNS1_11target_archE942ELNS1_3gpuE9ELNS1_3repE0EEENS1_30default_config_static_selectorELNS0_4arch9wavefront6targetE0EEEvT1_.uses_vcc, 0
	.set _ZN7rocprim17ROCPRIM_400000_NS6detail17trampoline_kernelINS0_14default_configENS1_25partition_config_selectorILNS1_17partition_subalgoE6EdNS0_10empty_typeEbEEZZNS1_14partition_implILS5_6ELb0ES3_mN6thrust23THRUST_200600_302600_NS6detail15normal_iteratorINSA_10device_ptrIdEEEEPS6_SG_NS0_5tupleIJSF_S6_EEENSH_IJSG_SG_EEES6_PlJNSB_9not_fun_tINSB_14equal_to_valueIdEEEEEEE10hipError_tPvRmT3_T4_T5_T6_T7_T9_mT8_P12ihipStream_tbDpT10_ENKUlT_T0_E_clISt17integral_constantIbLb0EES18_EEDaS13_S14_EUlS13_E_NS1_11comp_targetILNS1_3genE5ELNS1_11target_archE942ELNS1_3gpuE9ELNS1_3repE0EEENS1_30default_config_static_selectorELNS0_4arch9wavefront6targetE0EEEvT1_.uses_flat_scratch, 0
	.set _ZN7rocprim17ROCPRIM_400000_NS6detail17trampoline_kernelINS0_14default_configENS1_25partition_config_selectorILNS1_17partition_subalgoE6EdNS0_10empty_typeEbEEZZNS1_14partition_implILS5_6ELb0ES3_mN6thrust23THRUST_200600_302600_NS6detail15normal_iteratorINSA_10device_ptrIdEEEEPS6_SG_NS0_5tupleIJSF_S6_EEENSH_IJSG_SG_EEES6_PlJNSB_9not_fun_tINSB_14equal_to_valueIdEEEEEEE10hipError_tPvRmT3_T4_T5_T6_T7_T9_mT8_P12ihipStream_tbDpT10_ENKUlT_T0_E_clISt17integral_constantIbLb0EES18_EEDaS13_S14_EUlS13_E_NS1_11comp_targetILNS1_3genE5ELNS1_11target_archE942ELNS1_3gpuE9ELNS1_3repE0EEENS1_30default_config_static_selectorELNS0_4arch9wavefront6targetE0EEEvT1_.has_dyn_sized_stack, 0
	.set _ZN7rocprim17ROCPRIM_400000_NS6detail17trampoline_kernelINS0_14default_configENS1_25partition_config_selectorILNS1_17partition_subalgoE6EdNS0_10empty_typeEbEEZZNS1_14partition_implILS5_6ELb0ES3_mN6thrust23THRUST_200600_302600_NS6detail15normal_iteratorINSA_10device_ptrIdEEEEPS6_SG_NS0_5tupleIJSF_S6_EEENSH_IJSG_SG_EEES6_PlJNSB_9not_fun_tINSB_14equal_to_valueIdEEEEEEE10hipError_tPvRmT3_T4_T5_T6_T7_T9_mT8_P12ihipStream_tbDpT10_ENKUlT_T0_E_clISt17integral_constantIbLb0EES18_EEDaS13_S14_EUlS13_E_NS1_11comp_targetILNS1_3genE5ELNS1_11target_archE942ELNS1_3gpuE9ELNS1_3repE0EEENS1_30default_config_static_selectorELNS0_4arch9wavefront6targetE0EEEvT1_.has_recursion, 0
	.set _ZN7rocprim17ROCPRIM_400000_NS6detail17trampoline_kernelINS0_14default_configENS1_25partition_config_selectorILNS1_17partition_subalgoE6EdNS0_10empty_typeEbEEZZNS1_14partition_implILS5_6ELb0ES3_mN6thrust23THRUST_200600_302600_NS6detail15normal_iteratorINSA_10device_ptrIdEEEEPS6_SG_NS0_5tupleIJSF_S6_EEENSH_IJSG_SG_EEES6_PlJNSB_9not_fun_tINSB_14equal_to_valueIdEEEEEEE10hipError_tPvRmT3_T4_T5_T6_T7_T9_mT8_P12ihipStream_tbDpT10_ENKUlT_T0_E_clISt17integral_constantIbLb0EES18_EEDaS13_S14_EUlS13_E_NS1_11comp_targetILNS1_3genE5ELNS1_11target_archE942ELNS1_3gpuE9ELNS1_3repE0EEENS1_30default_config_static_selectorELNS0_4arch9wavefront6targetE0EEEvT1_.has_indirect_call, 0
	.section	.AMDGPU.csdata,"",@progbits
; Kernel info:
; codeLenInByte = 0
; TotalNumSgprs: 0
; NumVgprs: 0
; ScratchSize: 0
; MemoryBound: 0
; FloatMode: 240
; IeeeMode: 1
; LDSByteSize: 0 bytes/workgroup (compile time only)
; SGPRBlocks: 0
; VGPRBlocks: 0
; NumSGPRsForWavesPerEU: 1
; NumVGPRsForWavesPerEU: 1
; Occupancy: 16
; WaveLimiterHint : 0
; COMPUTE_PGM_RSRC2:SCRATCH_EN: 0
; COMPUTE_PGM_RSRC2:USER_SGPR: 2
; COMPUTE_PGM_RSRC2:TRAP_HANDLER: 0
; COMPUTE_PGM_RSRC2:TGID_X_EN: 1
; COMPUTE_PGM_RSRC2:TGID_Y_EN: 0
; COMPUTE_PGM_RSRC2:TGID_Z_EN: 0
; COMPUTE_PGM_RSRC2:TIDIG_COMP_CNT: 0
	.section	.text._ZN7rocprim17ROCPRIM_400000_NS6detail17trampoline_kernelINS0_14default_configENS1_25partition_config_selectorILNS1_17partition_subalgoE6EdNS0_10empty_typeEbEEZZNS1_14partition_implILS5_6ELb0ES3_mN6thrust23THRUST_200600_302600_NS6detail15normal_iteratorINSA_10device_ptrIdEEEEPS6_SG_NS0_5tupleIJSF_S6_EEENSH_IJSG_SG_EEES6_PlJNSB_9not_fun_tINSB_14equal_to_valueIdEEEEEEE10hipError_tPvRmT3_T4_T5_T6_T7_T9_mT8_P12ihipStream_tbDpT10_ENKUlT_T0_E_clISt17integral_constantIbLb0EES18_EEDaS13_S14_EUlS13_E_NS1_11comp_targetILNS1_3genE4ELNS1_11target_archE910ELNS1_3gpuE8ELNS1_3repE0EEENS1_30default_config_static_selectorELNS0_4arch9wavefront6targetE0EEEvT1_,"axG",@progbits,_ZN7rocprim17ROCPRIM_400000_NS6detail17trampoline_kernelINS0_14default_configENS1_25partition_config_selectorILNS1_17partition_subalgoE6EdNS0_10empty_typeEbEEZZNS1_14partition_implILS5_6ELb0ES3_mN6thrust23THRUST_200600_302600_NS6detail15normal_iteratorINSA_10device_ptrIdEEEEPS6_SG_NS0_5tupleIJSF_S6_EEENSH_IJSG_SG_EEES6_PlJNSB_9not_fun_tINSB_14equal_to_valueIdEEEEEEE10hipError_tPvRmT3_T4_T5_T6_T7_T9_mT8_P12ihipStream_tbDpT10_ENKUlT_T0_E_clISt17integral_constantIbLb0EES18_EEDaS13_S14_EUlS13_E_NS1_11comp_targetILNS1_3genE4ELNS1_11target_archE910ELNS1_3gpuE8ELNS1_3repE0EEENS1_30default_config_static_selectorELNS0_4arch9wavefront6targetE0EEEvT1_,comdat
	.protected	_ZN7rocprim17ROCPRIM_400000_NS6detail17trampoline_kernelINS0_14default_configENS1_25partition_config_selectorILNS1_17partition_subalgoE6EdNS0_10empty_typeEbEEZZNS1_14partition_implILS5_6ELb0ES3_mN6thrust23THRUST_200600_302600_NS6detail15normal_iteratorINSA_10device_ptrIdEEEEPS6_SG_NS0_5tupleIJSF_S6_EEENSH_IJSG_SG_EEES6_PlJNSB_9not_fun_tINSB_14equal_to_valueIdEEEEEEE10hipError_tPvRmT3_T4_T5_T6_T7_T9_mT8_P12ihipStream_tbDpT10_ENKUlT_T0_E_clISt17integral_constantIbLb0EES18_EEDaS13_S14_EUlS13_E_NS1_11comp_targetILNS1_3genE4ELNS1_11target_archE910ELNS1_3gpuE8ELNS1_3repE0EEENS1_30default_config_static_selectorELNS0_4arch9wavefront6targetE0EEEvT1_ ; -- Begin function _ZN7rocprim17ROCPRIM_400000_NS6detail17trampoline_kernelINS0_14default_configENS1_25partition_config_selectorILNS1_17partition_subalgoE6EdNS0_10empty_typeEbEEZZNS1_14partition_implILS5_6ELb0ES3_mN6thrust23THRUST_200600_302600_NS6detail15normal_iteratorINSA_10device_ptrIdEEEEPS6_SG_NS0_5tupleIJSF_S6_EEENSH_IJSG_SG_EEES6_PlJNSB_9not_fun_tINSB_14equal_to_valueIdEEEEEEE10hipError_tPvRmT3_T4_T5_T6_T7_T9_mT8_P12ihipStream_tbDpT10_ENKUlT_T0_E_clISt17integral_constantIbLb0EES18_EEDaS13_S14_EUlS13_E_NS1_11comp_targetILNS1_3genE4ELNS1_11target_archE910ELNS1_3gpuE8ELNS1_3repE0EEENS1_30default_config_static_selectorELNS0_4arch9wavefront6targetE0EEEvT1_
	.globl	_ZN7rocprim17ROCPRIM_400000_NS6detail17trampoline_kernelINS0_14default_configENS1_25partition_config_selectorILNS1_17partition_subalgoE6EdNS0_10empty_typeEbEEZZNS1_14partition_implILS5_6ELb0ES3_mN6thrust23THRUST_200600_302600_NS6detail15normal_iteratorINSA_10device_ptrIdEEEEPS6_SG_NS0_5tupleIJSF_S6_EEENSH_IJSG_SG_EEES6_PlJNSB_9not_fun_tINSB_14equal_to_valueIdEEEEEEE10hipError_tPvRmT3_T4_T5_T6_T7_T9_mT8_P12ihipStream_tbDpT10_ENKUlT_T0_E_clISt17integral_constantIbLb0EES18_EEDaS13_S14_EUlS13_E_NS1_11comp_targetILNS1_3genE4ELNS1_11target_archE910ELNS1_3gpuE8ELNS1_3repE0EEENS1_30default_config_static_selectorELNS0_4arch9wavefront6targetE0EEEvT1_
	.p2align	8
	.type	_ZN7rocprim17ROCPRIM_400000_NS6detail17trampoline_kernelINS0_14default_configENS1_25partition_config_selectorILNS1_17partition_subalgoE6EdNS0_10empty_typeEbEEZZNS1_14partition_implILS5_6ELb0ES3_mN6thrust23THRUST_200600_302600_NS6detail15normal_iteratorINSA_10device_ptrIdEEEEPS6_SG_NS0_5tupleIJSF_S6_EEENSH_IJSG_SG_EEES6_PlJNSB_9not_fun_tINSB_14equal_to_valueIdEEEEEEE10hipError_tPvRmT3_T4_T5_T6_T7_T9_mT8_P12ihipStream_tbDpT10_ENKUlT_T0_E_clISt17integral_constantIbLb0EES18_EEDaS13_S14_EUlS13_E_NS1_11comp_targetILNS1_3genE4ELNS1_11target_archE910ELNS1_3gpuE8ELNS1_3repE0EEENS1_30default_config_static_selectorELNS0_4arch9wavefront6targetE0EEEvT1_,@function
_ZN7rocprim17ROCPRIM_400000_NS6detail17trampoline_kernelINS0_14default_configENS1_25partition_config_selectorILNS1_17partition_subalgoE6EdNS0_10empty_typeEbEEZZNS1_14partition_implILS5_6ELb0ES3_mN6thrust23THRUST_200600_302600_NS6detail15normal_iteratorINSA_10device_ptrIdEEEEPS6_SG_NS0_5tupleIJSF_S6_EEENSH_IJSG_SG_EEES6_PlJNSB_9not_fun_tINSB_14equal_to_valueIdEEEEEEE10hipError_tPvRmT3_T4_T5_T6_T7_T9_mT8_P12ihipStream_tbDpT10_ENKUlT_T0_E_clISt17integral_constantIbLb0EES18_EEDaS13_S14_EUlS13_E_NS1_11comp_targetILNS1_3genE4ELNS1_11target_archE910ELNS1_3gpuE8ELNS1_3repE0EEENS1_30default_config_static_selectorELNS0_4arch9wavefront6targetE0EEEvT1_: ; @_ZN7rocprim17ROCPRIM_400000_NS6detail17trampoline_kernelINS0_14default_configENS1_25partition_config_selectorILNS1_17partition_subalgoE6EdNS0_10empty_typeEbEEZZNS1_14partition_implILS5_6ELb0ES3_mN6thrust23THRUST_200600_302600_NS6detail15normal_iteratorINSA_10device_ptrIdEEEEPS6_SG_NS0_5tupleIJSF_S6_EEENSH_IJSG_SG_EEES6_PlJNSB_9not_fun_tINSB_14equal_to_valueIdEEEEEEE10hipError_tPvRmT3_T4_T5_T6_T7_T9_mT8_P12ihipStream_tbDpT10_ENKUlT_T0_E_clISt17integral_constantIbLb0EES18_EEDaS13_S14_EUlS13_E_NS1_11comp_targetILNS1_3genE4ELNS1_11target_archE910ELNS1_3gpuE8ELNS1_3repE0EEENS1_30default_config_static_selectorELNS0_4arch9wavefront6targetE0EEEvT1_
; %bb.0:
	.section	.rodata,"a",@progbits
	.p2align	6, 0x0
	.amdhsa_kernel _ZN7rocprim17ROCPRIM_400000_NS6detail17trampoline_kernelINS0_14default_configENS1_25partition_config_selectorILNS1_17partition_subalgoE6EdNS0_10empty_typeEbEEZZNS1_14partition_implILS5_6ELb0ES3_mN6thrust23THRUST_200600_302600_NS6detail15normal_iteratorINSA_10device_ptrIdEEEEPS6_SG_NS0_5tupleIJSF_S6_EEENSH_IJSG_SG_EEES6_PlJNSB_9not_fun_tINSB_14equal_to_valueIdEEEEEEE10hipError_tPvRmT3_T4_T5_T6_T7_T9_mT8_P12ihipStream_tbDpT10_ENKUlT_T0_E_clISt17integral_constantIbLb0EES18_EEDaS13_S14_EUlS13_E_NS1_11comp_targetILNS1_3genE4ELNS1_11target_archE910ELNS1_3gpuE8ELNS1_3repE0EEENS1_30default_config_static_selectorELNS0_4arch9wavefront6targetE0EEEvT1_
		.amdhsa_group_segment_fixed_size 0
		.amdhsa_private_segment_fixed_size 0
		.amdhsa_kernarg_size 120
		.amdhsa_user_sgpr_count 2
		.amdhsa_user_sgpr_dispatch_ptr 0
		.amdhsa_user_sgpr_queue_ptr 0
		.amdhsa_user_sgpr_kernarg_segment_ptr 1
		.amdhsa_user_sgpr_dispatch_id 0
		.amdhsa_user_sgpr_private_segment_size 0
		.amdhsa_wavefront_size32 1
		.amdhsa_uses_dynamic_stack 0
		.amdhsa_enable_private_segment 0
		.amdhsa_system_sgpr_workgroup_id_x 1
		.amdhsa_system_sgpr_workgroup_id_y 0
		.amdhsa_system_sgpr_workgroup_id_z 0
		.amdhsa_system_sgpr_workgroup_info 0
		.amdhsa_system_vgpr_workitem_id 0
		.amdhsa_next_free_vgpr 1
		.amdhsa_next_free_sgpr 1
		.amdhsa_reserve_vcc 0
		.amdhsa_float_round_mode_32 0
		.amdhsa_float_round_mode_16_64 0
		.amdhsa_float_denorm_mode_32 3
		.amdhsa_float_denorm_mode_16_64 3
		.amdhsa_fp16_overflow 0
		.amdhsa_workgroup_processor_mode 1
		.amdhsa_memory_ordered 1
		.amdhsa_forward_progress 1
		.amdhsa_inst_pref_size 0
		.amdhsa_round_robin_scheduling 0
		.amdhsa_exception_fp_ieee_invalid_op 0
		.amdhsa_exception_fp_denorm_src 0
		.amdhsa_exception_fp_ieee_div_zero 0
		.amdhsa_exception_fp_ieee_overflow 0
		.amdhsa_exception_fp_ieee_underflow 0
		.amdhsa_exception_fp_ieee_inexact 0
		.amdhsa_exception_int_div_zero 0
	.end_amdhsa_kernel
	.section	.text._ZN7rocprim17ROCPRIM_400000_NS6detail17trampoline_kernelINS0_14default_configENS1_25partition_config_selectorILNS1_17partition_subalgoE6EdNS0_10empty_typeEbEEZZNS1_14partition_implILS5_6ELb0ES3_mN6thrust23THRUST_200600_302600_NS6detail15normal_iteratorINSA_10device_ptrIdEEEEPS6_SG_NS0_5tupleIJSF_S6_EEENSH_IJSG_SG_EEES6_PlJNSB_9not_fun_tINSB_14equal_to_valueIdEEEEEEE10hipError_tPvRmT3_T4_T5_T6_T7_T9_mT8_P12ihipStream_tbDpT10_ENKUlT_T0_E_clISt17integral_constantIbLb0EES18_EEDaS13_S14_EUlS13_E_NS1_11comp_targetILNS1_3genE4ELNS1_11target_archE910ELNS1_3gpuE8ELNS1_3repE0EEENS1_30default_config_static_selectorELNS0_4arch9wavefront6targetE0EEEvT1_,"axG",@progbits,_ZN7rocprim17ROCPRIM_400000_NS6detail17trampoline_kernelINS0_14default_configENS1_25partition_config_selectorILNS1_17partition_subalgoE6EdNS0_10empty_typeEbEEZZNS1_14partition_implILS5_6ELb0ES3_mN6thrust23THRUST_200600_302600_NS6detail15normal_iteratorINSA_10device_ptrIdEEEEPS6_SG_NS0_5tupleIJSF_S6_EEENSH_IJSG_SG_EEES6_PlJNSB_9not_fun_tINSB_14equal_to_valueIdEEEEEEE10hipError_tPvRmT3_T4_T5_T6_T7_T9_mT8_P12ihipStream_tbDpT10_ENKUlT_T0_E_clISt17integral_constantIbLb0EES18_EEDaS13_S14_EUlS13_E_NS1_11comp_targetILNS1_3genE4ELNS1_11target_archE910ELNS1_3gpuE8ELNS1_3repE0EEENS1_30default_config_static_selectorELNS0_4arch9wavefront6targetE0EEEvT1_,comdat
.Lfunc_end279:
	.size	_ZN7rocprim17ROCPRIM_400000_NS6detail17trampoline_kernelINS0_14default_configENS1_25partition_config_selectorILNS1_17partition_subalgoE6EdNS0_10empty_typeEbEEZZNS1_14partition_implILS5_6ELb0ES3_mN6thrust23THRUST_200600_302600_NS6detail15normal_iteratorINSA_10device_ptrIdEEEEPS6_SG_NS0_5tupleIJSF_S6_EEENSH_IJSG_SG_EEES6_PlJNSB_9not_fun_tINSB_14equal_to_valueIdEEEEEEE10hipError_tPvRmT3_T4_T5_T6_T7_T9_mT8_P12ihipStream_tbDpT10_ENKUlT_T0_E_clISt17integral_constantIbLb0EES18_EEDaS13_S14_EUlS13_E_NS1_11comp_targetILNS1_3genE4ELNS1_11target_archE910ELNS1_3gpuE8ELNS1_3repE0EEENS1_30default_config_static_selectorELNS0_4arch9wavefront6targetE0EEEvT1_, .Lfunc_end279-_ZN7rocprim17ROCPRIM_400000_NS6detail17trampoline_kernelINS0_14default_configENS1_25partition_config_selectorILNS1_17partition_subalgoE6EdNS0_10empty_typeEbEEZZNS1_14partition_implILS5_6ELb0ES3_mN6thrust23THRUST_200600_302600_NS6detail15normal_iteratorINSA_10device_ptrIdEEEEPS6_SG_NS0_5tupleIJSF_S6_EEENSH_IJSG_SG_EEES6_PlJNSB_9not_fun_tINSB_14equal_to_valueIdEEEEEEE10hipError_tPvRmT3_T4_T5_T6_T7_T9_mT8_P12ihipStream_tbDpT10_ENKUlT_T0_E_clISt17integral_constantIbLb0EES18_EEDaS13_S14_EUlS13_E_NS1_11comp_targetILNS1_3genE4ELNS1_11target_archE910ELNS1_3gpuE8ELNS1_3repE0EEENS1_30default_config_static_selectorELNS0_4arch9wavefront6targetE0EEEvT1_
                                        ; -- End function
	.set _ZN7rocprim17ROCPRIM_400000_NS6detail17trampoline_kernelINS0_14default_configENS1_25partition_config_selectorILNS1_17partition_subalgoE6EdNS0_10empty_typeEbEEZZNS1_14partition_implILS5_6ELb0ES3_mN6thrust23THRUST_200600_302600_NS6detail15normal_iteratorINSA_10device_ptrIdEEEEPS6_SG_NS0_5tupleIJSF_S6_EEENSH_IJSG_SG_EEES6_PlJNSB_9not_fun_tINSB_14equal_to_valueIdEEEEEEE10hipError_tPvRmT3_T4_T5_T6_T7_T9_mT8_P12ihipStream_tbDpT10_ENKUlT_T0_E_clISt17integral_constantIbLb0EES18_EEDaS13_S14_EUlS13_E_NS1_11comp_targetILNS1_3genE4ELNS1_11target_archE910ELNS1_3gpuE8ELNS1_3repE0EEENS1_30default_config_static_selectorELNS0_4arch9wavefront6targetE0EEEvT1_.num_vgpr, 0
	.set _ZN7rocprim17ROCPRIM_400000_NS6detail17trampoline_kernelINS0_14default_configENS1_25partition_config_selectorILNS1_17partition_subalgoE6EdNS0_10empty_typeEbEEZZNS1_14partition_implILS5_6ELb0ES3_mN6thrust23THRUST_200600_302600_NS6detail15normal_iteratorINSA_10device_ptrIdEEEEPS6_SG_NS0_5tupleIJSF_S6_EEENSH_IJSG_SG_EEES6_PlJNSB_9not_fun_tINSB_14equal_to_valueIdEEEEEEE10hipError_tPvRmT3_T4_T5_T6_T7_T9_mT8_P12ihipStream_tbDpT10_ENKUlT_T0_E_clISt17integral_constantIbLb0EES18_EEDaS13_S14_EUlS13_E_NS1_11comp_targetILNS1_3genE4ELNS1_11target_archE910ELNS1_3gpuE8ELNS1_3repE0EEENS1_30default_config_static_selectorELNS0_4arch9wavefront6targetE0EEEvT1_.num_agpr, 0
	.set _ZN7rocprim17ROCPRIM_400000_NS6detail17trampoline_kernelINS0_14default_configENS1_25partition_config_selectorILNS1_17partition_subalgoE6EdNS0_10empty_typeEbEEZZNS1_14partition_implILS5_6ELb0ES3_mN6thrust23THRUST_200600_302600_NS6detail15normal_iteratorINSA_10device_ptrIdEEEEPS6_SG_NS0_5tupleIJSF_S6_EEENSH_IJSG_SG_EEES6_PlJNSB_9not_fun_tINSB_14equal_to_valueIdEEEEEEE10hipError_tPvRmT3_T4_T5_T6_T7_T9_mT8_P12ihipStream_tbDpT10_ENKUlT_T0_E_clISt17integral_constantIbLb0EES18_EEDaS13_S14_EUlS13_E_NS1_11comp_targetILNS1_3genE4ELNS1_11target_archE910ELNS1_3gpuE8ELNS1_3repE0EEENS1_30default_config_static_selectorELNS0_4arch9wavefront6targetE0EEEvT1_.numbered_sgpr, 0
	.set _ZN7rocprim17ROCPRIM_400000_NS6detail17trampoline_kernelINS0_14default_configENS1_25partition_config_selectorILNS1_17partition_subalgoE6EdNS0_10empty_typeEbEEZZNS1_14partition_implILS5_6ELb0ES3_mN6thrust23THRUST_200600_302600_NS6detail15normal_iteratorINSA_10device_ptrIdEEEEPS6_SG_NS0_5tupleIJSF_S6_EEENSH_IJSG_SG_EEES6_PlJNSB_9not_fun_tINSB_14equal_to_valueIdEEEEEEE10hipError_tPvRmT3_T4_T5_T6_T7_T9_mT8_P12ihipStream_tbDpT10_ENKUlT_T0_E_clISt17integral_constantIbLb0EES18_EEDaS13_S14_EUlS13_E_NS1_11comp_targetILNS1_3genE4ELNS1_11target_archE910ELNS1_3gpuE8ELNS1_3repE0EEENS1_30default_config_static_selectorELNS0_4arch9wavefront6targetE0EEEvT1_.num_named_barrier, 0
	.set _ZN7rocprim17ROCPRIM_400000_NS6detail17trampoline_kernelINS0_14default_configENS1_25partition_config_selectorILNS1_17partition_subalgoE6EdNS0_10empty_typeEbEEZZNS1_14partition_implILS5_6ELb0ES3_mN6thrust23THRUST_200600_302600_NS6detail15normal_iteratorINSA_10device_ptrIdEEEEPS6_SG_NS0_5tupleIJSF_S6_EEENSH_IJSG_SG_EEES6_PlJNSB_9not_fun_tINSB_14equal_to_valueIdEEEEEEE10hipError_tPvRmT3_T4_T5_T6_T7_T9_mT8_P12ihipStream_tbDpT10_ENKUlT_T0_E_clISt17integral_constantIbLb0EES18_EEDaS13_S14_EUlS13_E_NS1_11comp_targetILNS1_3genE4ELNS1_11target_archE910ELNS1_3gpuE8ELNS1_3repE0EEENS1_30default_config_static_selectorELNS0_4arch9wavefront6targetE0EEEvT1_.private_seg_size, 0
	.set _ZN7rocprim17ROCPRIM_400000_NS6detail17trampoline_kernelINS0_14default_configENS1_25partition_config_selectorILNS1_17partition_subalgoE6EdNS0_10empty_typeEbEEZZNS1_14partition_implILS5_6ELb0ES3_mN6thrust23THRUST_200600_302600_NS6detail15normal_iteratorINSA_10device_ptrIdEEEEPS6_SG_NS0_5tupleIJSF_S6_EEENSH_IJSG_SG_EEES6_PlJNSB_9not_fun_tINSB_14equal_to_valueIdEEEEEEE10hipError_tPvRmT3_T4_T5_T6_T7_T9_mT8_P12ihipStream_tbDpT10_ENKUlT_T0_E_clISt17integral_constantIbLb0EES18_EEDaS13_S14_EUlS13_E_NS1_11comp_targetILNS1_3genE4ELNS1_11target_archE910ELNS1_3gpuE8ELNS1_3repE0EEENS1_30default_config_static_selectorELNS0_4arch9wavefront6targetE0EEEvT1_.uses_vcc, 0
	.set _ZN7rocprim17ROCPRIM_400000_NS6detail17trampoline_kernelINS0_14default_configENS1_25partition_config_selectorILNS1_17partition_subalgoE6EdNS0_10empty_typeEbEEZZNS1_14partition_implILS5_6ELb0ES3_mN6thrust23THRUST_200600_302600_NS6detail15normal_iteratorINSA_10device_ptrIdEEEEPS6_SG_NS0_5tupleIJSF_S6_EEENSH_IJSG_SG_EEES6_PlJNSB_9not_fun_tINSB_14equal_to_valueIdEEEEEEE10hipError_tPvRmT3_T4_T5_T6_T7_T9_mT8_P12ihipStream_tbDpT10_ENKUlT_T0_E_clISt17integral_constantIbLb0EES18_EEDaS13_S14_EUlS13_E_NS1_11comp_targetILNS1_3genE4ELNS1_11target_archE910ELNS1_3gpuE8ELNS1_3repE0EEENS1_30default_config_static_selectorELNS0_4arch9wavefront6targetE0EEEvT1_.uses_flat_scratch, 0
	.set _ZN7rocprim17ROCPRIM_400000_NS6detail17trampoline_kernelINS0_14default_configENS1_25partition_config_selectorILNS1_17partition_subalgoE6EdNS0_10empty_typeEbEEZZNS1_14partition_implILS5_6ELb0ES3_mN6thrust23THRUST_200600_302600_NS6detail15normal_iteratorINSA_10device_ptrIdEEEEPS6_SG_NS0_5tupleIJSF_S6_EEENSH_IJSG_SG_EEES6_PlJNSB_9not_fun_tINSB_14equal_to_valueIdEEEEEEE10hipError_tPvRmT3_T4_T5_T6_T7_T9_mT8_P12ihipStream_tbDpT10_ENKUlT_T0_E_clISt17integral_constantIbLb0EES18_EEDaS13_S14_EUlS13_E_NS1_11comp_targetILNS1_3genE4ELNS1_11target_archE910ELNS1_3gpuE8ELNS1_3repE0EEENS1_30default_config_static_selectorELNS0_4arch9wavefront6targetE0EEEvT1_.has_dyn_sized_stack, 0
	.set _ZN7rocprim17ROCPRIM_400000_NS6detail17trampoline_kernelINS0_14default_configENS1_25partition_config_selectorILNS1_17partition_subalgoE6EdNS0_10empty_typeEbEEZZNS1_14partition_implILS5_6ELb0ES3_mN6thrust23THRUST_200600_302600_NS6detail15normal_iteratorINSA_10device_ptrIdEEEEPS6_SG_NS0_5tupleIJSF_S6_EEENSH_IJSG_SG_EEES6_PlJNSB_9not_fun_tINSB_14equal_to_valueIdEEEEEEE10hipError_tPvRmT3_T4_T5_T6_T7_T9_mT8_P12ihipStream_tbDpT10_ENKUlT_T0_E_clISt17integral_constantIbLb0EES18_EEDaS13_S14_EUlS13_E_NS1_11comp_targetILNS1_3genE4ELNS1_11target_archE910ELNS1_3gpuE8ELNS1_3repE0EEENS1_30default_config_static_selectorELNS0_4arch9wavefront6targetE0EEEvT1_.has_recursion, 0
	.set _ZN7rocprim17ROCPRIM_400000_NS6detail17trampoline_kernelINS0_14default_configENS1_25partition_config_selectorILNS1_17partition_subalgoE6EdNS0_10empty_typeEbEEZZNS1_14partition_implILS5_6ELb0ES3_mN6thrust23THRUST_200600_302600_NS6detail15normal_iteratorINSA_10device_ptrIdEEEEPS6_SG_NS0_5tupleIJSF_S6_EEENSH_IJSG_SG_EEES6_PlJNSB_9not_fun_tINSB_14equal_to_valueIdEEEEEEE10hipError_tPvRmT3_T4_T5_T6_T7_T9_mT8_P12ihipStream_tbDpT10_ENKUlT_T0_E_clISt17integral_constantIbLb0EES18_EEDaS13_S14_EUlS13_E_NS1_11comp_targetILNS1_3genE4ELNS1_11target_archE910ELNS1_3gpuE8ELNS1_3repE0EEENS1_30default_config_static_selectorELNS0_4arch9wavefront6targetE0EEEvT1_.has_indirect_call, 0
	.section	.AMDGPU.csdata,"",@progbits
; Kernel info:
; codeLenInByte = 0
; TotalNumSgprs: 0
; NumVgprs: 0
; ScratchSize: 0
; MemoryBound: 0
; FloatMode: 240
; IeeeMode: 1
; LDSByteSize: 0 bytes/workgroup (compile time only)
; SGPRBlocks: 0
; VGPRBlocks: 0
; NumSGPRsForWavesPerEU: 1
; NumVGPRsForWavesPerEU: 1
; Occupancy: 16
; WaveLimiterHint : 0
; COMPUTE_PGM_RSRC2:SCRATCH_EN: 0
; COMPUTE_PGM_RSRC2:USER_SGPR: 2
; COMPUTE_PGM_RSRC2:TRAP_HANDLER: 0
; COMPUTE_PGM_RSRC2:TGID_X_EN: 1
; COMPUTE_PGM_RSRC2:TGID_Y_EN: 0
; COMPUTE_PGM_RSRC2:TGID_Z_EN: 0
; COMPUTE_PGM_RSRC2:TIDIG_COMP_CNT: 0
	.section	.text._ZN7rocprim17ROCPRIM_400000_NS6detail17trampoline_kernelINS0_14default_configENS1_25partition_config_selectorILNS1_17partition_subalgoE6EdNS0_10empty_typeEbEEZZNS1_14partition_implILS5_6ELb0ES3_mN6thrust23THRUST_200600_302600_NS6detail15normal_iteratorINSA_10device_ptrIdEEEEPS6_SG_NS0_5tupleIJSF_S6_EEENSH_IJSG_SG_EEES6_PlJNSB_9not_fun_tINSB_14equal_to_valueIdEEEEEEE10hipError_tPvRmT3_T4_T5_T6_T7_T9_mT8_P12ihipStream_tbDpT10_ENKUlT_T0_E_clISt17integral_constantIbLb0EES18_EEDaS13_S14_EUlS13_E_NS1_11comp_targetILNS1_3genE3ELNS1_11target_archE908ELNS1_3gpuE7ELNS1_3repE0EEENS1_30default_config_static_selectorELNS0_4arch9wavefront6targetE0EEEvT1_,"axG",@progbits,_ZN7rocprim17ROCPRIM_400000_NS6detail17trampoline_kernelINS0_14default_configENS1_25partition_config_selectorILNS1_17partition_subalgoE6EdNS0_10empty_typeEbEEZZNS1_14partition_implILS5_6ELb0ES3_mN6thrust23THRUST_200600_302600_NS6detail15normal_iteratorINSA_10device_ptrIdEEEEPS6_SG_NS0_5tupleIJSF_S6_EEENSH_IJSG_SG_EEES6_PlJNSB_9not_fun_tINSB_14equal_to_valueIdEEEEEEE10hipError_tPvRmT3_T4_T5_T6_T7_T9_mT8_P12ihipStream_tbDpT10_ENKUlT_T0_E_clISt17integral_constantIbLb0EES18_EEDaS13_S14_EUlS13_E_NS1_11comp_targetILNS1_3genE3ELNS1_11target_archE908ELNS1_3gpuE7ELNS1_3repE0EEENS1_30default_config_static_selectorELNS0_4arch9wavefront6targetE0EEEvT1_,comdat
	.protected	_ZN7rocprim17ROCPRIM_400000_NS6detail17trampoline_kernelINS0_14default_configENS1_25partition_config_selectorILNS1_17partition_subalgoE6EdNS0_10empty_typeEbEEZZNS1_14partition_implILS5_6ELb0ES3_mN6thrust23THRUST_200600_302600_NS6detail15normal_iteratorINSA_10device_ptrIdEEEEPS6_SG_NS0_5tupleIJSF_S6_EEENSH_IJSG_SG_EEES6_PlJNSB_9not_fun_tINSB_14equal_to_valueIdEEEEEEE10hipError_tPvRmT3_T4_T5_T6_T7_T9_mT8_P12ihipStream_tbDpT10_ENKUlT_T0_E_clISt17integral_constantIbLb0EES18_EEDaS13_S14_EUlS13_E_NS1_11comp_targetILNS1_3genE3ELNS1_11target_archE908ELNS1_3gpuE7ELNS1_3repE0EEENS1_30default_config_static_selectorELNS0_4arch9wavefront6targetE0EEEvT1_ ; -- Begin function _ZN7rocprim17ROCPRIM_400000_NS6detail17trampoline_kernelINS0_14default_configENS1_25partition_config_selectorILNS1_17partition_subalgoE6EdNS0_10empty_typeEbEEZZNS1_14partition_implILS5_6ELb0ES3_mN6thrust23THRUST_200600_302600_NS6detail15normal_iteratorINSA_10device_ptrIdEEEEPS6_SG_NS0_5tupleIJSF_S6_EEENSH_IJSG_SG_EEES6_PlJNSB_9not_fun_tINSB_14equal_to_valueIdEEEEEEE10hipError_tPvRmT3_T4_T5_T6_T7_T9_mT8_P12ihipStream_tbDpT10_ENKUlT_T0_E_clISt17integral_constantIbLb0EES18_EEDaS13_S14_EUlS13_E_NS1_11comp_targetILNS1_3genE3ELNS1_11target_archE908ELNS1_3gpuE7ELNS1_3repE0EEENS1_30default_config_static_selectorELNS0_4arch9wavefront6targetE0EEEvT1_
	.globl	_ZN7rocprim17ROCPRIM_400000_NS6detail17trampoline_kernelINS0_14default_configENS1_25partition_config_selectorILNS1_17partition_subalgoE6EdNS0_10empty_typeEbEEZZNS1_14partition_implILS5_6ELb0ES3_mN6thrust23THRUST_200600_302600_NS6detail15normal_iteratorINSA_10device_ptrIdEEEEPS6_SG_NS0_5tupleIJSF_S6_EEENSH_IJSG_SG_EEES6_PlJNSB_9not_fun_tINSB_14equal_to_valueIdEEEEEEE10hipError_tPvRmT3_T4_T5_T6_T7_T9_mT8_P12ihipStream_tbDpT10_ENKUlT_T0_E_clISt17integral_constantIbLb0EES18_EEDaS13_S14_EUlS13_E_NS1_11comp_targetILNS1_3genE3ELNS1_11target_archE908ELNS1_3gpuE7ELNS1_3repE0EEENS1_30default_config_static_selectorELNS0_4arch9wavefront6targetE0EEEvT1_
	.p2align	8
	.type	_ZN7rocprim17ROCPRIM_400000_NS6detail17trampoline_kernelINS0_14default_configENS1_25partition_config_selectorILNS1_17partition_subalgoE6EdNS0_10empty_typeEbEEZZNS1_14partition_implILS5_6ELb0ES3_mN6thrust23THRUST_200600_302600_NS6detail15normal_iteratorINSA_10device_ptrIdEEEEPS6_SG_NS0_5tupleIJSF_S6_EEENSH_IJSG_SG_EEES6_PlJNSB_9not_fun_tINSB_14equal_to_valueIdEEEEEEE10hipError_tPvRmT3_T4_T5_T6_T7_T9_mT8_P12ihipStream_tbDpT10_ENKUlT_T0_E_clISt17integral_constantIbLb0EES18_EEDaS13_S14_EUlS13_E_NS1_11comp_targetILNS1_3genE3ELNS1_11target_archE908ELNS1_3gpuE7ELNS1_3repE0EEENS1_30default_config_static_selectorELNS0_4arch9wavefront6targetE0EEEvT1_,@function
_ZN7rocprim17ROCPRIM_400000_NS6detail17trampoline_kernelINS0_14default_configENS1_25partition_config_selectorILNS1_17partition_subalgoE6EdNS0_10empty_typeEbEEZZNS1_14partition_implILS5_6ELb0ES3_mN6thrust23THRUST_200600_302600_NS6detail15normal_iteratorINSA_10device_ptrIdEEEEPS6_SG_NS0_5tupleIJSF_S6_EEENSH_IJSG_SG_EEES6_PlJNSB_9not_fun_tINSB_14equal_to_valueIdEEEEEEE10hipError_tPvRmT3_T4_T5_T6_T7_T9_mT8_P12ihipStream_tbDpT10_ENKUlT_T0_E_clISt17integral_constantIbLb0EES18_EEDaS13_S14_EUlS13_E_NS1_11comp_targetILNS1_3genE3ELNS1_11target_archE908ELNS1_3gpuE7ELNS1_3repE0EEENS1_30default_config_static_selectorELNS0_4arch9wavefront6targetE0EEEvT1_: ; @_ZN7rocprim17ROCPRIM_400000_NS6detail17trampoline_kernelINS0_14default_configENS1_25partition_config_selectorILNS1_17partition_subalgoE6EdNS0_10empty_typeEbEEZZNS1_14partition_implILS5_6ELb0ES3_mN6thrust23THRUST_200600_302600_NS6detail15normal_iteratorINSA_10device_ptrIdEEEEPS6_SG_NS0_5tupleIJSF_S6_EEENSH_IJSG_SG_EEES6_PlJNSB_9not_fun_tINSB_14equal_to_valueIdEEEEEEE10hipError_tPvRmT3_T4_T5_T6_T7_T9_mT8_P12ihipStream_tbDpT10_ENKUlT_T0_E_clISt17integral_constantIbLb0EES18_EEDaS13_S14_EUlS13_E_NS1_11comp_targetILNS1_3genE3ELNS1_11target_archE908ELNS1_3gpuE7ELNS1_3repE0EEENS1_30default_config_static_selectorELNS0_4arch9wavefront6targetE0EEEvT1_
; %bb.0:
	.section	.rodata,"a",@progbits
	.p2align	6, 0x0
	.amdhsa_kernel _ZN7rocprim17ROCPRIM_400000_NS6detail17trampoline_kernelINS0_14default_configENS1_25partition_config_selectorILNS1_17partition_subalgoE6EdNS0_10empty_typeEbEEZZNS1_14partition_implILS5_6ELb0ES3_mN6thrust23THRUST_200600_302600_NS6detail15normal_iteratorINSA_10device_ptrIdEEEEPS6_SG_NS0_5tupleIJSF_S6_EEENSH_IJSG_SG_EEES6_PlJNSB_9not_fun_tINSB_14equal_to_valueIdEEEEEEE10hipError_tPvRmT3_T4_T5_T6_T7_T9_mT8_P12ihipStream_tbDpT10_ENKUlT_T0_E_clISt17integral_constantIbLb0EES18_EEDaS13_S14_EUlS13_E_NS1_11comp_targetILNS1_3genE3ELNS1_11target_archE908ELNS1_3gpuE7ELNS1_3repE0EEENS1_30default_config_static_selectorELNS0_4arch9wavefront6targetE0EEEvT1_
		.amdhsa_group_segment_fixed_size 0
		.amdhsa_private_segment_fixed_size 0
		.amdhsa_kernarg_size 120
		.amdhsa_user_sgpr_count 2
		.amdhsa_user_sgpr_dispatch_ptr 0
		.amdhsa_user_sgpr_queue_ptr 0
		.amdhsa_user_sgpr_kernarg_segment_ptr 1
		.amdhsa_user_sgpr_dispatch_id 0
		.amdhsa_user_sgpr_private_segment_size 0
		.amdhsa_wavefront_size32 1
		.amdhsa_uses_dynamic_stack 0
		.amdhsa_enable_private_segment 0
		.amdhsa_system_sgpr_workgroup_id_x 1
		.amdhsa_system_sgpr_workgroup_id_y 0
		.amdhsa_system_sgpr_workgroup_id_z 0
		.amdhsa_system_sgpr_workgroup_info 0
		.amdhsa_system_vgpr_workitem_id 0
		.amdhsa_next_free_vgpr 1
		.amdhsa_next_free_sgpr 1
		.amdhsa_reserve_vcc 0
		.amdhsa_float_round_mode_32 0
		.amdhsa_float_round_mode_16_64 0
		.amdhsa_float_denorm_mode_32 3
		.amdhsa_float_denorm_mode_16_64 3
		.amdhsa_fp16_overflow 0
		.amdhsa_workgroup_processor_mode 1
		.amdhsa_memory_ordered 1
		.amdhsa_forward_progress 1
		.amdhsa_inst_pref_size 0
		.amdhsa_round_robin_scheduling 0
		.amdhsa_exception_fp_ieee_invalid_op 0
		.amdhsa_exception_fp_denorm_src 0
		.amdhsa_exception_fp_ieee_div_zero 0
		.amdhsa_exception_fp_ieee_overflow 0
		.amdhsa_exception_fp_ieee_underflow 0
		.amdhsa_exception_fp_ieee_inexact 0
		.amdhsa_exception_int_div_zero 0
	.end_amdhsa_kernel
	.section	.text._ZN7rocprim17ROCPRIM_400000_NS6detail17trampoline_kernelINS0_14default_configENS1_25partition_config_selectorILNS1_17partition_subalgoE6EdNS0_10empty_typeEbEEZZNS1_14partition_implILS5_6ELb0ES3_mN6thrust23THRUST_200600_302600_NS6detail15normal_iteratorINSA_10device_ptrIdEEEEPS6_SG_NS0_5tupleIJSF_S6_EEENSH_IJSG_SG_EEES6_PlJNSB_9not_fun_tINSB_14equal_to_valueIdEEEEEEE10hipError_tPvRmT3_T4_T5_T6_T7_T9_mT8_P12ihipStream_tbDpT10_ENKUlT_T0_E_clISt17integral_constantIbLb0EES18_EEDaS13_S14_EUlS13_E_NS1_11comp_targetILNS1_3genE3ELNS1_11target_archE908ELNS1_3gpuE7ELNS1_3repE0EEENS1_30default_config_static_selectorELNS0_4arch9wavefront6targetE0EEEvT1_,"axG",@progbits,_ZN7rocprim17ROCPRIM_400000_NS6detail17trampoline_kernelINS0_14default_configENS1_25partition_config_selectorILNS1_17partition_subalgoE6EdNS0_10empty_typeEbEEZZNS1_14partition_implILS5_6ELb0ES3_mN6thrust23THRUST_200600_302600_NS6detail15normal_iteratorINSA_10device_ptrIdEEEEPS6_SG_NS0_5tupleIJSF_S6_EEENSH_IJSG_SG_EEES6_PlJNSB_9not_fun_tINSB_14equal_to_valueIdEEEEEEE10hipError_tPvRmT3_T4_T5_T6_T7_T9_mT8_P12ihipStream_tbDpT10_ENKUlT_T0_E_clISt17integral_constantIbLb0EES18_EEDaS13_S14_EUlS13_E_NS1_11comp_targetILNS1_3genE3ELNS1_11target_archE908ELNS1_3gpuE7ELNS1_3repE0EEENS1_30default_config_static_selectorELNS0_4arch9wavefront6targetE0EEEvT1_,comdat
.Lfunc_end280:
	.size	_ZN7rocprim17ROCPRIM_400000_NS6detail17trampoline_kernelINS0_14default_configENS1_25partition_config_selectorILNS1_17partition_subalgoE6EdNS0_10empty_typeEbEEZZNS1_14partition_implILS5_6ELb0ES3_mN6thrust23THRUST_200600_302600_NS6detail15normal_iteratorINSA_10device_ptrIdEEEEPS6_SG_NS0_5tupleIJSF_S6_EEENSH_IJSG_SG_EEES6_PlJNSB_9not_fun_tINSB_14equal_to_valueIdEEEEEEE10hipError_tPvRmT3_T4_T5_T6_T7_T9_mT8_P12ihipStream_tbDpT10_ENKUlT_T0_E_clISt17integral_constantIbLb0EES18_EEDaS13_S14_EUlS13_E_NS1_11comp_targetILNS1_3genE3ELNS1_11target_archE908ELNS1_3gpuE7ELNS1_3repE0EEENS1_30default_config_static_selectorELNS0_4arch9wavefront6targetE0EEEvT1_, .Lfunc_end280-_ZN7rocprim17ROCPRIM_400000_NS6detail17trampoline_kernelINS0_14default_configENS1_25partition_config_selectorILNS1_17partition_subalgoE6EdNS0_10empty_typeEbEEZZNS1_14partition_implILS5_6ELb0ES3_mN6thrust23THRUST_200600_302600_NS6detail15normal_iteratorINSA_10device_ptrIdEEEEPS6_SG_NS0_5tupleIJSF_S6_EEENSH_IJSG_SG_EEES6_PlJNSB_9not_fun_tINSB_14equal_to_valueIdEEEEEEE10hipError_tPvRmT3_T4_T5_T6_T7_T9_mT8_P12ihipStream_tbDpT10_ENKUlT_T0_E_clISt17integral_constantIbLb0EES18_EEDaS13_S14_EUlS13_E_NS1_11comp_targetILNS1_3genE3ELNS1_11target_archE908ELNS1_3gpuE7ELNS1_3repE0EEENS1_30default_config_static_selectorELNS0_4arch9wavefront6targetE0EEEvT1_
                                        ; -- End function
	.set _ZN7rocprim17ROCPRIM_400000_NS6detail17trampoline_kernelINS0_14default_configENS1_25partition_config_selectorILNS1_17partition_subalgoE6EdNS0_10empty_typeEbEEZZNS1_14partition_implILS5_6ELb0ES3_mN6thrust23THRUST_200600_302600_NS6detail15normal_iteratorINSA_10device_ptrIdEEEEPS6_SG_NS0_5tupleIJSF_S6_EEENSH_IJSG_SG_EEES6_PlJNSB_9not_fun_tINSB_14equal_to_valueIdEEEEEEE10hipError_tPvRmT3_T4_T5_T6_T7_T9_mT8_P12ihipStream_tbDpT10_ENKUlT_T0_E_clISt17integral_constantIbLb0EES18_EEDaS13_S14_EUlS13_E_NS1_11comp_targetILNS1_3genE3ELNS1_11target_archE908ELNS1_3gpuE7ELNS1_3repE0EEENS1_30default_config_static_selectorELNS0_4arch9wavefront6targetE0EEEvT1_.num_vgpr, 0
	.set _ZN7rocprim17ROCPRIM_400000_NS6detail17trampoline_kernelINS0_14default_configENS1_25partition_config_selectorILNS1_17partition_subalgoE6EdNS0_10empty_typeEbEEZZNS1_14partition_implILS5_6ELb0ES3_mN6thrust23THRUST_200600_302600_NS6detail15normal_iteratorINSA_10device_ptrIdEEEEPS6_SG_NS0_5tupleIJSF_S6_EEENSH_IJSG_SG_EEES6_PlJNSB_9not_fun_tINSB_14equal_to_valueIdEEEEEEE10hipError_tPvRmT3_T4_T5_T6_T7_T9_mT8_P12ihipStream_tbDpT10_ENKUlT_T0_E_clISt17integral_constantIbLb0EES18_EEDaS13_S14_EUlS13_E_NS1_11comp_targetILNS1_3genE3ELNS1_11target_archE908ELNS1_3gpuE7ELNS1_3repE0EEENS1_30default_config_static_selectorELNS0_4arch9wavefront6targetE0EEEvT1_.num_agpr, 0
	.set _ZN7rocprim17ROCPRIM_400000_NS6detail17trampoline_kernelINS0_14default_configENS1_25partition_config_selectorILNS1_17partition_subalgoE6EdNS0_10empty_typeEbEEZZNS1_14partition_implILS5_6ELb0ES3_mN6thrust23THRUST_200600_302600_NS6detail15normal_iteratorINSA_10device_ptrIdEEEEPS6_SG_NS0_5tupleIJSF_S6_EEENSH_IJSG_SG_EEES6_PlJNSB_9not_fun_tINSB_14equal_to_valueIdEEEEEEE10hipError_tPvRmT3_T4_T5_T6_T7_T9_mT8_P12ihipStream_tbDpT10_ENKUlT_T0_E_clISt17integral_constantIbLb0EES18_EEDaS13_S14_EUlS13_E_NS1_11comp_targetILNS1_3genE3ELNS1_11target_archE908ELNS1_3gpuE7ELNS1_3repE0EEENS1_30default_config_static_selectorELNS0_4arch9wavefront6targetE0EEEvT1_.numbered_sgpr, 0
	.set _ZN7rocprim17ROCPRIM_400000_NS6detail17trampoline_kernelINS0_14default_configENS1_25partition_config_selectorILNS1_17partition_subalgoE6EdNS0_10empty_typeEbEEZZNS1_14partition_implILS5_6ELb0ES3_mN6thrust23THRUST_200600_302600_NS6detail15normal_iteratorINSA_10device_ptrIdEEEEPS6_SG_NS0_5tupleIJSF_S6_EEENSH_IJSG_SG_EEES6_PlJNSB_9not_fun_tINSB_14equal_to_valueIdEEEEEEE10hipError_tPvRmT3_T4_T5_T6_T7_T9_mT8_P12ihipStream_tbDpT10_ENKUlT_T0_E_clISt17integral_constantIbLb0EES18_EEDaS13_S14_EUlS13_E_NS1_11comp_targetILNS1_3genE3ELNS1_11target_archE908ELNS1_3gpuE7ELNS1_3repE0EEENS1_30default_config_static_selectorELNS0_4arch9wavefront6targetE0EEEvT1_.num_named_barrier, 0
	.set _ZN7rocprim17ROCPRIM_400000_NS6detail17trampoline_kernelINS0_14default_configENS1_25partition_config_selectorILNS1_17partition_subalgoE6EdNS0_10empty_typeEbEEZZNS1_14partition_implILS5_6ELb0ES3_mN6thrust23THRUST_200600_302600_NS6detail15normal_iteratorINSA_10device_ptrIdEEEEPS6_SG_NS0_5tupleIJSF_S6_EEENSH_IJSG_SG_EEES6_PlJNSB_9not_fun_tINSB_14equal_to_valueIdEEEEEEE10hipError_tPvRmT3_T4_T5_T6_T7_T9_mT8_P12ihipStream_tbDpT10_ENKUlT_T0_E_clISt17integral_constantIbLb0EES18_EEDaS13_S14_EUlS13_E_NS1_11comp_targetILNS1_3genE3ELNS1_11target_archE908ELNS1_3gpuE7ELNS1_3repE0EEENS1_30default_config_static_selectorELNS0_4arch9wavefront6targetE0EEEvT1_.private_seg_size, 0
	.set _ZN7rocprim17ROCPRIM_400000_NS6detail17trampoline_kernelINS0_14default_configENS1_25partition_config_selectorILNS1_17partition_subalgoE6EdNS0_10empty_typeEbEEZZNS1_14partition_implILS5_6ELb0ES3_mN6thrust23THRUST_200600_302600_NS6detail15normal_iteratorINSA_10device_ptrIdEEEEPS6_SG_NS0_5tupleIJSF_S6_EEENSH_IJSG_SG_EEES6_PlJNSB_9not_fun_tINSB_14equal_to_valueIdEEEEEEE10hipError_tPvRmT3_T4_T5_T6_T7_T9_mT8_P12ihipStream_tbDpT10_ENKUlT_T0_E_clISt17integral_constantIbLb0EES18_EEDaS13_S14_EUlS13_E_NS1_11comp_targetILNS1_3genE3ELNS1_11target_archE908ELNS1_3gpuE7ELNS1_3repE0EEENS1_30default_config_static_selectorELNS0_4arch9wavefront6targetE0EEEvT1_.uses_vcc, 0
	.set _ZN7rocprim17ROCPRIM_400000_NS6detail17trampoline_kernelINS0_14default_configENS1_25partition_config_selectorILNS1_17partition_subalgoE6EdNS0_10empty_typeEbEEZZNS1_14partition_implILS5_6ELb0ES3_mN6thrust23THRUST_200600_302600_NS6detail15normal_iteratorINSA_10device_ptrIdEEEEPS6_SG_NS0_5tupleIJSF_S6_EEENSH_IJSG_SG_EEES6_PlJNSB_9not_fun_tINSB_14equal_to_valueIdEEEEEEE10hipError_tPvRmT3_T4_T5_T6_T7_T9_mT8_P12ihipStream_tbDpT10_ENKUlT_T0_E_clISt17integral_constantIbLb0EES18_EEDaS13_S14_EUlS13_E_NS1_11comp_targetILNS1_3genE3ELNS1_11target_archE908ELNS1_3gpuE7ELNS1_3repE0EEENS1_30default_config_static_selectorELNS0_4arch9wavefront6targetE0EEEvT1_.uses_flat_scratch, 0
	.set _ZN7rocprim17ROCPRIM_400000_NS6detail17trampoline_kernelINS0_14default_configENS1_25partition_config_selectorILNS1_17partition_subalgoE6EdNS0_10empty_typeEbEEZZNS1_14partition_implILS5_6ELb0ES3_mN6thrust23THRUST_200600_302600_NS6detail15normal_iteratorINSA_10device_ptrIdEEEEPS6_SG_NS0_5tupleIJSF_S6_EEENSH_IJSG_SG_EEES6_PlJNSB_9not_fun_tINSB_14equal_to_valueIdEEEEEEE10hipError_tPvRmT3_T4_T5_T6_T7_T9_mT8_P12ihipStream_tbDpT10_ENKUlT_T0_E_clISt17integral_constantIbLb0EES18_EEDaS13_S14_EUlS13_E_NS1_11comp_targetILNS1_3genE3ELNS1_11target_archE908ELNS1_3gpuE7ELNS1_3repE0EEENS1_30default_config_static_selectorELNS0_4arch9wavefront6targetE0EEEvT1_.has_dyn_sized_stack, 0
	.set _ZN7rocprim17ROCPRIM_400000_NS6detail17trampoline_kernelINS0_14default_configENS1_25partition_config_selectorILNS1_17partition_subalgoE6EdNS0_10empty_typeEbEEZZNS1_14partition_implILS5_6ELb0ES3_mN6thrust23THRUST_200600_302600_NS6detail15normal_iteratorINSA_10device_ptrIdEEEEPS6_SG_NS0_5tupleIJSF_S6_EEENSH_IJSG_SG_EEES6_PlJNSB_9not_fun_tINSB_14equal_to_valueIdEEEEEEE10hipError_tPvRmT3_T4_T5_T6_T7_T9_mT8_P12ihipStream_tbDpT10_ENKUlT_T0_E_clISt17integral_constantIbLb0EES18_EEDaS13_S14_EUlS13_E_NS1_11comp_targetILNS1_3genE3ELNS1_11target_archE908ELNS1_3gpuE7ELNS1_3repE0EEENS1_30default_config_static_selectorELNS0_4arch9wavefront6targetE0EEEvT1_.has_recursion, 0
	.set _ZN7rocprim17ROCPRIM_400000_NS6detail17trampoline_kernelINS0_14default_configENS1_25partition_config_selectorILNS1_17partition_subalgoE6EdNS0_10empty_typeEbEEZZNS1_14partition_implILS5_6ELb0ES3_mN6thrust23THRUST_200600_302600_NS6detail15normal_iteratorINSA_10device_ptrIdEEEEPS6_SG_NS0_5tupleIJSF_S6_EEENSH_IJSG_SG_EEES6_PlJNSB_9not_fun_tINSB_14equal_to_valueIdEEEEEEE10hipError_tPvRmT3_T4_T5_T6_T7_T9_mT8_P12ihipStream_tbDpT10_ENKUlT_T0_E_clISt17integral_constantIbLb0EES18_EEDaS13_S14_EUlS13_E_NS1_11comp_targetILNS1_3genE3ELNS1_11target_archE908ELNS1_3gpuE7ELNS1_3repE0EEENS1_30default_config_static_selectorELNS0_4arch9wavefront6targetE0EEEvT1_.has_indirect_call, 0
	.section	.AMDGPU.csdata,"",@progbits
; Kernel info:
; codeLenInByte = 0
; TotalNumSgprs: 0
; NumVgprs: 0
; ScratchSize: 0
; MemoryBound: 0
; FloatMode: 240
; IeeeMode: 1
; LDSByteSize: 0 bytes/workgroup (compile time only)
; SGPRBlocks: 0
; VGPRBlocks: 0
; NumSGPRsForWavesPerEU: 1
; NumVGPRsForWavesPerEU: 1
; Occupancy: 16
; WaveLimiterHint : 0
; COMPUTE_PGM_RSRC2:SCRATCH_EN: 0
; COMPUTE_PGM_RSRC2:USER_SGPR: 2
; COMPUTE_PGM_RSRC2:TRAP_HANDLER: 0
; COMPUTE_PGM_RSRC2:TGID_X_EN: 1
; COMPUTE_PGM_RSRC2:TGID_Y_EN: 0
; COMPUTE_PGM_RSRC2:TGID_Z_EN: 0
; COMPUTE_PGM_RSRC2:TIDIG_COMP_CNT: 0
	.section	.text._ZN7rocprim17ROCPRIM_400000_NS6detail17trampoline_kernelINS0_14default_configENS1_25partition_config_selectorILNS1_17partition_subalgoE6EdNS0_10empty_typeEbEEZZNS1_14partition_implILS5_6ELb0ES3_mN6thrust23THRUST_200600_302600_NS6detail15normal_iteratorINSA_10device_ptrIdEEEEPS6_SG_NS0_5tupleIJSF_S6_EEENSH_IJSG_SG_EEES6_PlJNSB_9not_fun_tINSB_14equal_to_valueIdEEEEEEE10hipError_tPvRmT3_T4_T5_T6_T7_T9_mT8_P12ihipStream_tbDpT10_ENKUlT_T0_E_clISt17integral_constantIbLb0EES18_EEDaS13_S14_EUlS13_E_NS1_11comp_targetILNS1_3genE2ELNS1_11target_archE906ELNS1_3gpuE6ELNS1_3repE0EEENS1_30default_config_static_selectorELNS0_4arch9wavefront6targetE0EEEvT1_,"axG",@progbits,_ZN7rocprim17ROCPRIM_400000_NS6detail17trampoline_kernelINS0_14default_configENS1_25partition_config_selectorILNS1_17partition_subalgoE6EdNS0_10empty_typeEbEEZZNS1_14partition_implILS5_6ELb0ES3_mN6thrust23THRUST_200600_302600_NS6detail15normal_iteratorINSA_10device_ptrIdEEEEPS6_SG_NS0_5tupleIJSF_S6_EEENSH_IJSG_SG_EEES6_PlJNSB_9not_fun_tINSB_14equal_to_valueIdEEEEEEE10hipError_tPvRmT3_T4_T5_T6_T7_T9_mT8_P12ihipStream_tbDpT10_ENKUlT_T0_E_clISt17integral_constantIbLb0EES18_EEDaS13_S14_EUlS13_E_NS1_11comp_targetILNS1_3genE2ELNS1_11target_archE906ELNS1_3gpuE6ELNS1_3repE0EEENS1_30default_config_static_selectorELNS0_4arch9wavefront6targetE0EEEvT1_,comdat
	.protected	_ZN7rocprim17ROCPRIM_400000_NS6detail17trampoline_kernelINS0_14default_configENS1_25partition_config_selectorILNS1_17partition_subalgoE6EdNS0_10empty_typeEbEEZZNS1_14partition_implILS5_6ELb0ES3_mN6thrust23THRUST_200600_302600_NS6detail15normal_iteratorINSA_10device_ptrIdEEEEPS6_SG_NS0_5tupleIJSF_S6_EEENSH_IJSG_SG_EEES6_PlJNSB_9not_fun_tINSB_14equal_to_valueIdEEEEEEE10hipError_tPvRmT3_T4_T5_T6_T7_T9_mT8_P12ihipStream_tbDpT10_ENKUlT_T0_E_clISt17integral_constantIbLb0EES18_EEDaS13_S14_EUlS13_E_NS1_11comp_targetILNS1_3genE2ELNS1_11target_archE906ELNS1_3gpuE6ELNS1_3repE0EEENS1_30default_config_static_selectorELNS0_4arch9wavefront6targetE0EEEvT1_ ; -- Begin function _ZN7rocprim17ROCPRIM_400000_NS6detail17trampoline_kernelINS0_14default_configENS1_25partition_config_selectorILNS1_17partition_subalgoE6EdNS0_10empty_typeEbEEZZNS1_14partition_implILS5_6ELb0ES3_mN6thrust23THRUST_200600_302600_NS6detail15normal_iteratorINSA_10device_ptrIdEEEEPS6_SG_NS0_5tupleIJSF_S6_EEENSH_IJSG_SG_EEES6_PlJNSB_9not_fun_tINSB_14equal_to_valueIdEEEEEEE10hipError_tPvRmT3_T4_T5_T6_T7_T9_mT8_P12ihipStream_tbDpT10_ENKUlT_T0_E_clISt17integral_constantIbLb0EES18_EEDaS13_S14_EUlS13_E_NS1_11comp_targetILNS1_3genE2ELNS1_11target_archE906ELNS1_3gpuE6ELNS1_3repE0EEENS1_30default_config_static_selectorELNS0_4arch9wavefront6targetE0EEEvT1_
	.globl	_ZN7rocprim17ROCPRIM_400000_NS6detail17trampoline_kernelINS0_14default_configENS1_25partition_config_selectorILNS1_17partition_subalgoE6EdNS0_10empty_typeEbEEZZNS1_14partition_implILS5_6ELb0ES3_mN6thrust23THRUST_200600_302600_NS6detail15normal_iteratorINSA_10device_ptrIdEEEEPS6_SG_NS0_5tupleIJSF_S6_EEENSH_IJSG_SG_EEES6_PlJNSB_9not_fun_tINSB_14equal_to_valueIdEEEEEEE10hipError_tPvRmT3_T4_T5_T6_T7_T9_mT8_P12ihipStream_tbDpT10_ENKUlT_T0_E_clISt17integral_constantIbLb0EES18_EEDaS13_S14_EUlS13_E_NS1_11comp_targetILNS1_3genE2ELNS1_11target_archE906ELNS1_3gpuE6ELNS1_3repE0EEENS1_30default_config_static_selectorELNS0_4arch9wavefront6targetE0EEEvT1_
	.p2align	8
	.type	_ZN7rocprim17ROCPRIM_400000_NS6detail17trampoline_kernelINS0_14default_configENS1_25partition_config_selectorILNS1_17partition_subalgoE6EdNS0_10empty_typeEbEEZZNS1_14partition_implILS5_6ELb0ES3_mN6thrust23THRUST_200600_302600_NS6detail15normal_iteratorINSA_10device_ptrIdEEEEPS6_SG_NS0_5tupleIJSF_S6_EEENSH_IJSG_SG_EEES6_PlJNSB_9not_fun_tINSB_14equal_to_valueIdEEEEEEE10hipError_tPvRmT3_T4_T5_T6_T7_T9_mT8_P12ihipStream_tbDpT10_ENKUlT_T0_E_clISt17integral_constantIbLb0EES18_EEDaS13_S14_EUlS13_E_NS1_11comp_targetILNS1_3genE2ELNS1_11target_archE906ELNS1_3gpuE6ELNS1_3repE0EEENS1_30default_config_static_selectorELNS0_4arch9wavefront6targetE0EEEvT1_,@function
_ZN7rocprim17ROCPRIM_400000_NS6detail17trampoline_kernelINS0_14default_configENS1_25partition_config_selectorILNS1_17partition_subalgoE6EdNS0_10empty_typeEbEEZZNS1_14partition_implILS5_6ELb0ES3_mN6thrust23THRUST_200600_302600_NS6detail15normal_iteratorINSA_10device_ptrIdEEEEPS6_SG_NS0_5tupleIJSF_S6_EEENSH_IJSG_SG_EEES6_PlJNSB_9not_fun_tINSB_14equal_to_valueIdEEEEEEE10hipError_tPvRmT3_T4_T5_T6_T7_T9_mT8_P12ihipStream_tbDpT10_ENKUlT_T0_E_clISt17integral_constantIbLb0EES18_EEDaS13_S14_EUlS13_E_NS1_11comp_targetILNS1_3genE2ELNS1_11target_archE906ELNS1_3gpuE6ELNS1_3repE0EEENS1_30default_config_static_selectorELNS0_4arch9wavefront6targetE0EEEvT1_: ; @_ZN7rocprim17ROCPRIM_400000_NS6detail17trampoline_kernelINS0_14default_configENS1_25partition_config_selectorILNS1_17partition_subalgoE6EdNS0_10empty_typeEbEEZZNS1_14partition_implILS5_6ELb0ES3_mN6thrust23THRUST_200600_302600_NS6detail15normal_iteratorINSA_10device_ptrIdEEEEPS6_SG_NS0_5tupleIJSF_S6_EEENSH_IJSG_SG_EEES6_PlJNSB_9not_fun_tINSB_14equal_to_valueIdEEEEEEE10hipError_tPvRmT3_T4_T5_T6_T7_T9_mT8_P12ihipStream_tbDpT10_ENKUlT_T0_E_clISt17integral_constantIbLb0EES18_EEDaS13_S14_EUlS13_E_NS1_11comp_targetILNS1_3genE2ELNS1_11target_archE906ELNS1_3gpuE6ELNS1_3repE0EEENS1_30default_config_static_selectorELNS0_4arch9wavefront6targetE0EEEvT1_
; %bb.0:
	.section	.rodata,"a",@progbits
	.p2align	6, 0x0
	.amdhsa_kernel _ZN7rocprim17ROCPRIM_400000_NS6detail17trampoline_kernelINS0_14default_configENS1_25partition_config_selectorILNS1_17partition_subalgoE6EdNS0_10empty_typeEbEEZZNS1_14partition_implILS5_6ELb0ES3_mN6thrust23THRUST_200600_302600_NS6detail15normal_iteratorINSA_10device_ptrIdEEEEPS6_SG_NS0_5tupleIJSF_S6_EEENSH_IJSG_SG_EEES6_PlJNSB_9not_fun_tINSB_14equal_to_valueIdEEEEEEE10hipError_tPvRmT3_T4_T5_T6_T7_T9_mT8_P12ihipStream_tbDpT10_ENKUlT_T0_E_clISt17integral_constantIbLb0EES18_EEDaS13_S14_EUlS13_E_NS1_11comp_targetILNS1_3genE2ELNS1_11target_archE906ELNS1_3gpuE6ELNS1_3repE0EEENS1_30default_config_static_selectorELNS0_4arch9wavefront6targetE0EEEvT1_
		.amdhsa_group_segment_fixed_size 0
		.amdhsa_private_segment_fixed_size 0
		.amdhsa_kernarg_size 120
		.amdhsa_user_sgpr_count 2
		.amdhsa_user_sgpr_dispatch_ptr 0
		.amdhsa_user_sgpr_queue_ptr 0
		.amdhsa_user_sgpr_kernarg_segment_ptr 1
		.amdhsa_user_sgpr_dispatch_id 0
		.amdhsa_user_sgpr_private_segment_size 0
		.amdhsa_wavefront_size32 1
		.amdhsa_uses_dynamic_stack 0
		.amdhsa_enable_private_segment 0
		.amdhsa_system_sgpr_workgroup_id_x 1
		.amdhsa_system_sgpr_workgroup_id_y 0
		.amdhsa_system_sgpr_workgroup_id_z 0
		.amdhsa_system_sgpr_workgroup_info 0
		.amdhsa_system_vgpr_workitem_id 0
		.amdhsa_next_free_vgpr 1
		.amdhsa_next_free_sgpr 1
		.amdhsa_reserve_vcc 0
		.amdhsa_float_round_mode_32 0
		.amdhsa_float_round_mode_16_64 0
		.amdhsa_float_denorm_mode_32 3
		.amdhsa_float_denorm_mode_16_64 3
		.amdhsa_fp16_overflow 0
		.amdhsa_workgroup_processor_mode 1
		.amdhsa_memory_ordered 1
		.amdhsa_forward_progress 1
		.amdhsa_inst_pref_size 0
		.amdhsa_round_robin_scheduling 0
		.amdhsa_exception_fp_ieee_invalid_op 0
		.amdhsa_exception_fp_denorm_src 0
		.amdhsa_exception_fp_ieee_div_zero 0
		.amdhsa_exception_fp_ieee_overflow 0
		.amdhsa_exception_fp_ieee_underflow 0
		.amdhsa_exception_fp_ieee_inexact 0
		.amdhsa_exception_int_div_zero 0
	.end_amdhsa_kernel
	.section	.text._ZN7rocprim17ROCPRIM_400000_NS6detail17trampoline_kernelINS0_14default_configENS1_25partition_config_selectorILNS1_17partition_subalgoE6EdNS0_10empty_typeEbEEZZNS1_14partition_implILS5_6ELb0ES3_mN6thrust23THRUST_200600_302600_NS6detail15normal_iteratorINSA_10device_ptrIdEEEEPS6_SG_NS0_5tupleIJSF_S6_EEENSH_IJSG_SG_EEES6_PlJNSB_9not_fun_tINSB_14equal_to_valueIdEEEEEEE10hipError_tPvRmT3_T4_T5_T6_T7_T9_mT8_P12ihipStream_tbDpT10_ENKUlT_T0_E_clISt17integral_constantIbLb0EES18_EEDaS13_S14_EUlS13_E_NS1_11comp_targetILNS1_3genE2ELNS1_11target_archE906ELNS1_3gpuE6ELNS1_3repE0EEENS1_30default_config_static_selectorELNS0_4arch9wavefront6targetE0EEEvT1_,"axG",@progbits,_ZN7rocprim17ROCPRIM_400000_NS6detail17trampoline_kernelINS0_14default_configENS1_25partition_config_selectorILNS1_17partition_subalgoE6EdNS0_10empty_typeEbEEZZNS1_14partition_implILS5_6ELb0ES3_mN6thrust23THRUST_200600_302600_NS6detail15normal_iteratorINSA_10device_ptrIdEEEEPS6_SG_NS0_5tupleIJSF_S6_EEENSH_IJSG_SG_EEES6_PlJNSB_9not_fun_tINSB_14equal_to_valueIdEEEEEEE10hipError_tPvRmT3_T4_T5_T6_T7_T9_mT8_P12ihipStream_tbDpT10_ENKUlT_T0_E_clISt17integral_constantIbLb0EES18_EEDaS13_S14_EUlS13_E_NS1_11comp_targetILNS1_3genE2ELNS1_11target_archE906ELNS1_3gpuE6ELNS1_3repE0EEENS1_30default_config_static_selectorELNS0_4arch9wavefront6targetE0EEEvT1_,comdat
.Lfunc_end281:
	.size	_ZN7rocprim17ROCPRIM_400000_NS6detail17trampoline_kernelINS0_14default_configENS1_25partition_config_selectorILNS1_17partition_subalgoE6EdNS0_10empty_typeEbEEZZNS1_14partition_implILS5_6ELb0ES3_mN6thrust23THRUST_200600_302600_NS6detail15normal_iteratorINSA_10device_ptrIdEEEEPS6_SG_NS0_5tupleIJSF_S6_EEENSH_IJSG_SG_EEES6_PlJNSB_9not_fun_tINSB_14equal_to_valueIdEEEEEEE10hipError_tPvRmT3_T4_T5_T6_T7_T9_mT8_P12ihipStream_tbDpT10_ENKUlT_T0_E_clISt17integral_constantIbLb0EES18_EEDaS13_S14_EUlS13_E_NS1_11comp_targetILNS1_3genE2ELNS1_11target_archE906ELNS1_3gpuE6ELNS1_3repE0EEENS1_30default_config_static_selectorELNS0_4arch9wavefront6targetE0EEEvT1_, .Lfunc_end281-_ZN7rocprim17ROCPRIM_400000_NS6detail17trampoline_kernelINS0_14default_configENS1_25partition_config_selectorILNS1_17partition_subalgoE6EdNS0_10empty_typeEbEEZZNS1_14partition_implILS5_6ELb0ES3_mN6thrust23THRUST_200600_302600_NS6detail15normal_iteratorINSA_10device_ptrIdEEEEPS6_SG_NS0_5tupleIJSF_S6_EEENSH_IJSG_SG_EEES6_PlJNSB_9not_fun_tINSB_14equal_to_valueIdEEEEEEE10hipError_tPvRmT3_T4_T5_T6_T7_T9_mT8_P12ihipStream_tbDpT10_ENKUlT_T0_E_clISt17integral_constantIbLb0EES18_EEDaS13_S14_EUlS13_E_NS1_11comp_targetILNS1_3genE2ELNS1_11target_archE906ELNS1_3gpuE6ELNS1_3repE0EEENS1_30default_config_static_selectorELNS0_4arch9wavefront6targetE0EEEvT1_
                                        ; -- End function
	.set _ZN7rocprim17ROCPRIM_400000_NS6detail17trampoline_kernelINS0_14default_configENS1_25partition_config_selectorILNS1_17partition_subalgoE6EdNS0_10empty_typeEbEEZZNS1_14partition_implILS5_6ELb0ES3_mN6thrust23THRUST_200600_302600_NS6detail15normal_iteratorINSA_10device_ptrIdEEEEPS6_SG_NS0_5tupleIJSF_S6_EEENSH_IJSG_SG_EEES6_PlJNSB_9not_fun_tINSB_14equal_to_valueIdEEEEEEE10hipError_tPvRmT3_T4_T5_T6_T7_T9_mT8_P12ihipStream_tbDpT10_ENKUlT_T0_E_clISt17integral_constantIbLb0EES18_EEDaS13_S14_EUlS13_E_NS1_11comp_targetILNS1_3genE2ELNS1_11target_archE906ELNS1_3gpuE6ELNS1_3repE0EEENS1_30default_config_static_selectorELNS0_4arch9wavefront6targetE0EEEvT1_.num_vgpr, 0
	.set _ZN7rocprim17ROCPRIM_400000_NS6detail17trampoline_kernelINS0_14default_configENS1_25partition_config_selectorILNS1_17partition_subalgoE6EdNS0_10empty_typeEbEEZZNS1_14partition_implILS5_6ELb0ES3_mN6thrust23THRUST_200600_302600_NS6detail15normal_iteratorINSA_10device_ptrIdEEEEPS6_SG_NS0_5tupleIJSF_S6_EEENSH_IJSG_SG_EEES6_PlJNSB_9not_fun_tINSB_14equal_to_valueIdEEEEEEE10hipError_tPvRmT3_T4_T5_T6_T7_T9_mT8_P12ihipStream_tbDpT10_ENKUlT_T0_E_clISt17integral_constantIbLb0EES18_EEDaS13_S14_EUlS13_E_NS1_11comp_targetILNS1_3genE2ELNS1_11target_archE906ELNS1_3gpuE6ELNS1_3repE0EEENS1_30default_config_static_selectorELNS0_4arch9wavefront6targetE0EEEvT1_.num_agpr, 0
	.set _ZN7rocprim17ROCPRIM_400000_NS6detail17trampoline_kernelINS0_14default_configENS1_25partition_config_selectorILNS1_17partition_subalgoE6EdNS0_10empty_typeEbEEZZNS1_14partition_implILS5_6ELb0ES3_mN6thrust23THRUST_200600_302600_NS6detail15normal_iteratorINSA_10device_ptrIdEEEEPS6_SG_NS0_5tupleIJSF_S6_EEENSH_IJSG_SG_EEES6_PlJNSB_9not_fun_tINSB_14equal_to_valueIdEEEEEEE10hipError_tPvRmT3_T4_T5_T6_T7_T9_mT8_P12ihipStream_tbDpT10_ENKUlT_T0_E_clISt17integral_constantIbLb0EES18_EEDaS13_S14_EUlS13_E_NS1_11comp_targetILNS1_3genE2ELNS1_11target_archE906ELNS1_3gpuE6ELNS1_3repE0EEENS1_30default_config_static_selectorELNS0_4arch9wavefront6targetE0EEEvT1_.numbered_sgpr, 0
	.set _ZN7rocprim17ROCPRIM_400000_NS6detail17trampoline_kernelINS0_14default_configENS1_25partition_config_selectorILNS1_17partition_subalgoE6EdNS0_10empty_typeEbEEZZNS1_14partition_implILS5_6ELb0ES3_mN6thrust23THRUST_200600_302600_NS6detail15normal_iteratorINSA_10device_ptrIdEEEEPS6_SG_NS0_5tupleIJSF_S6_EEENSH_IJSG_SG_EEES6_PlJNSB_9not_fun_tINSB_14equal_to_valueIdEEEEEEE10hipError_tPvRmT3_T4_T5_T6_T7_T9_mT8_P12ihipStream_tbDpT10_ENKUlT_T0_E_clISt17integral_constantIbLb0EES18_EEDaS13_S14_EUlS13_E_NS1_11comp_targetILNS1_3genE2ELNS1_11target_archE906ELNS1_3gpuE6ELNS1_3repE0EEENS1_30default_config_static_selectorELNS0_4arch9wavefront6targetE0EEEvT1_.num_named_barrier, 0
	.set _ZN7rocprim17ROCPRIM_400000_NS6detail17trampoline_kernelINS0_14default_configENS1_25partition_config_selectorILNS1_17partition_subalgoE6EdNS0_10empty_typeEbEEZZNS1_14partition_implILS5_6ELb0ES3_mN6thrust23THRUST_200600_302600_NS6detail15normal_iteratorINSA_10device_ptrIdEEEEPS6_SG_NS0_5tupleIJSF_S6_EEENSH_IJSG_SG_EEES6_PlJNSB_9not_fun_tINSB_14equal_to_valueIdEEEEEEE10hipError_tPvRmT3_T4_T5_T6_T7_T9_mT8_P12ihipStream_tbDpT10_ENKUlT_T0_E_clISt17integral_constantIbLb0EES18_EEDaS13_S14_EUlS13_E_NS1_11comp_targetILNS1_3genE2ELNS1_11target_archE906ELNS1_3gpuE6ELNS1_3repE0EEENS1_30default_config_static_selectorELNS0_4arch9wavefront6targetE0EEEvT1_.private_seg_size, 0
	.set _ZN7rocprim17ROCPRIM_400000_NS6detail17trampoline_kernelINS0_14default_configENS1_25partition_config_selectorILNS1_17partition_subalgoE6EdNS0_10empty_typeEbEEZZNS1_14partition_implILS5_6ELb0ES3_mN6thrust23THRUST_200600_302600_NS6detail15normal_iteratorINSA_10device_ptrIdEEEEPS6_SG_NS0_5tupleIJSF_S6_EEENSH_IJSG_SG_EEES6_PlJNSB_9not_fun_tINSB_14equal_to_valueIdEEEEEEE10hipError_tPvRmT3_T4_T5_T6_T7_T9_mT8_P12ihipStream_tbDpT10_ENKUlT_T0_E_clISt17integral_constantIbLb0EES18_EEDaS13_S14_EUlS13_E_NS1_11comp_targetILNS1_3genE2ELNS1_11target_archE906ELNS1_3gpuE6ELNS1_3repE0EEENS1_30default_config_static_selectorELNS0_4arch9wavefront6targetE0EEEvT1_.uses_vcc, 0
	.set _ZN7rocprim17ROCPRIM_400000_NS6detail17trampoline_kernelINS0_14default_configENS1_25partition_config_selectorILNS1_17partition_subalgoE6EdNS0_10empty_typeEbEEZZNS1_14partition_implILS5_6ELb0ES3_mN6thrust23THRUST_200600_302600_NS6detail15normal_iteratorINSA_10device_ptrIdEEEEPS6_SG_NS0_5tupleIJSF_S6_EEENSH_IJSG_SG_EEES6_PlJNSB_9not_fun_tINSB_14equal_to_valueIdEEEEEEE10hipError_tPvRmT3_T4_T5_T6_T7_T9_mT8_P12ihipStream_tbDpT10_ENKUlT_T0_E_clISt17integral_constantIbLb0EES18_EEDaS13_S14_EUlS13_E_NS1_11comp_targetILNS1_3genE2ELNS1_11target_archE906ELNS1_3gpuE6ELNS1_3repE0EEENS1_30default_config_static_selectorELNS0_4arch9wavefront6targetE0EEEvT1_.uses_flat_scratch, 0
	.set _ZN7rocprim17ROCPRIM_400000_NS6detail17trampoline_kernelINS0_14default_configENS1_25partition_config_selectorILNS1_17partition_subalgoE6EdNS0_10empty_typeEbEEZZNS1_14partition_implILS5_6ELb0ES3_mN6thrust23THRUST_200600_302600_NS6detail15normal_iteratorINSA_10device_ptrIdEEEEPS6_SG_NS0_5tupleIJSF_S6_EEENSH_IJSG_SG_EEES6_PlJNSB_9not_fun_tINSB_14equal_to_valueIdEEEEEEE10hipError_tPvRmT3_T4_T5_T6_T7_T9_mT8_P12ihipStream_tbDpT10_ENKUlT_T0_E_clISt17integral_constantIbLb0EES18_EEDaS13_S14_EUlS13_E_NS1_11comp_targetILNS1_3genE2ELNS1_11target_archE906ELNS1_3gpuE6ELNS1_3repE0EEENS1_30default_config_static_selectorELNS0_4arch9wavefront6targetE0EEEvT1_.has_dyn_sized_stack, 0
	.set _ZN7rocprim17ROCPRIM_400000_NS6detail17trampoline_kernelINS0_14default_configENS1_25partition_config_selectorILNS1_17partition_subalgoE6EdNS0_10empty_typeEbEEZZNS1_14partition_implILS5_6ELb0ES3_mN6thrust23THRUST_200600_302600_NS6detail15normal_iteratorINSA_10device_ptrIdEEEEPS6_SG_NS0_5tupleIJSF_S6_EEENSH_IJSG_SG_EEES6_PlJNSB_9not_fun_tINSB_14equal_to_valueIdEEEEEEE10hipError_tPvRmT3_T4_T5_T6_T7_T9_mT8_P12ihipStream_tbDpT10_ENKUlT_T0_E_clISt17integral_constantIbLb0EES18_EEDaS13_S14_EUlS13_E_NS1_11comp_targetILNS1_3genE2ELNS1_11target_archE906ELNS1_3gpuE6ELNS1_3repE0EEENS1_30default_config_static_selectorELNS0_4arch9wavefront6targetE0EEEvT1_.has_recursion, 0
	.set _ZN7rocprim17ROCPRIM_400000_NS6detail17trampoline_kernelINS0_14default_configENS1_25partition_config_selectorILNS1_17partition_subalgoE6EdNS0_10empty_typeEbEEZZNS1_14partition_implILS5_6ELb0ES3_mN6thrust23THRUST_200600_302600_NS6detail15normal_iteratorINSA_10device_ptrIdEEEEPS6_SG_NS0_5tupleIJSF_S6_EEENSH_IJSG_SG_EEES6_PlJNSB_9not_fun_tINSB_14equal_to_valueIdEEEEEEE10hipError_tPvRmT3_T4_T5_T6_T7_T9_mT8_P12ihipStream_tbDpT10_ENKUlT_T0_E_clISt17integral_constantIbLb0EES18_EEDaS13_S14_EUlS13_E_NS1_11comp_targetILNS1_3genE2ELNS1_11target_archE906ELNS1_3gpuE6ELNS1_3repE0EEENS1_30default_config_static_selectorELNS0_4arch9wavefront6targetE0EEEvT1_.has_indirect_call, 0
	.section	.AMDGPU.csdata,"",@progbits
; Kernel info:
; codeLenInByte = 0
; TotalNumSgprs: 0
; NumVgprs: 0
; ScratchSize: 0
; MemoryBound: 0
; FloatMode: 240
; IeeeMode: 1
; LDSByteSize: 0 bytes/workgroup (compile time only)
; SGPRBlocks: 0
; VGPRBlocks: 0
; NumSGPRsForWavesPerEU: 1
; NumVGPRsForWavesPerEU: 1
; Occupancy: 16
; WaveLimiterHint : 0
; COMPUTE_PGM_RSRC2:SCRATCH_EN: 0
; COMPUTE_PGM_RSRC2:USER_SGPR: 2
; COMPUTE_PGM_RSRC2:TRAP_HANDLER: 0
; COMPUTE_PGM_RSRC2:TGID_X_EN: 1
; COMPUTE_PGM_RSRC2:TGID_Y_EN: 0
; COMPUTE_PGM_RSRC2:TGID_Z_EN: 0
; COMPUTE_PGM_RSRC2:TIDIG_COMP_CNT: 0
	.section	.text._ZN7rocprim17ROCPRIM_400000_NS6detail17trampoline_kernelINS0_14default_configENS1_25partition_config_selectorILNS1_17partition_subalgoE6EdNS0_10empty_typeEbEEZZNS1_14partition_implILS5_6ELb0ES3_mN6thrust23THRUST_200600_302600_NS6detail15normal_iteratorINSA_10device_ptrIdEEEEPS6_SG_NS0_5tupleIJSF_S6_EEENSH_IJSG_SG_EEES6_PlJNSB_9not_fun_tINSB_14equal_to_valueIdEEEEEEE10hipError_tPvRmT3_T4_T5_T6_T7_T9_mT8_P12ihipStream_tbDpT10_ENKUlT_T0_E_clISt17integral_constantIbLb0EES18_EEDaS13_S14_EUlS13_E_NS1_11comp_targetILNS1_3genE10ELNS1_11target_archE1200ELNS1_3gpuE4ELNS1_3repE0EEENS1_30default_config_static_selectorELNS0_4arch9wavefront6targetE0EEEvT1_,"axG",@progbits,_ZN7rocprim17ROCPRIM_400000_NS6detail17trampoline_kernelINS0_14default_configENS1_25partition_config_selectorILNS1_17partition_subalgoE6EdNS0_10empty_typeEbEEZZNS1_14partition_implILS5_6ELb0ES3_mN6thrust23THRUST_200600_302600_NS6detail15normal_iteratorINSA_10device_ptrIdEEEEPS6_SG_NS0_5tupleIJSF_S6_EEENSH_IJSG_SG_EEES6_PlJNSB_9not_fun_tINSB_14equal_to_valueIdEEEEEEE10hipError_tPvRmT3_T4_T5_T6_T7_T9_mT8_P12ihipStream_tbDpT10_ENKUlT_T0_E_clISt17integral_constantIbLb0EES18_EEDaS13_S14_EUlS13_E_NS1_11comp_targetILNS1_3genE10ELNS1_11target_archE1200ELNS1_3gpuE4ELNS1_3repE0EEENS1_30default_config_static_selectorELNS0_4arch9wavefront6targetE0EEEvT1_,comdat
	.protected	_ZN7rocprim17ROCPRIM_400000_NS6detail17trampoline_kernelINS0_14default_configENS1_25partition_config_selectorILNS1_17partition_subalgoE6EdNS0_10empty_typeEbEEZZNS1_14partition_implILS5_6ELb0ES3_mN6thrust23THRUST_200600_302600_NS6detail15normal_iteratorINSA_10device_ptrIdEEEEPS6_SG_NS0_5tupleIJSF_S6_EEENSH_IJSG_SG_EEES6_PlJNSB_9not_fun_tINSB_14equal_to_valueIdEEEEEEE10hipError_tPvRmT3_T4_T5_T6_T7_T9_mT8_P12ihipStream_tbDpT10_ENKUlT_T0_E_clISt17integral_constantIbLb0EES18_EEDaS13_S14_EUlS13_E_NS1_11comp_targetILNS1_3genE10ELNS1_11target_archE1200ELNS1_3gpuE4ELNS1_3repE0EEENS1_30default_config_static_selectorELNS0_4arch9wavefront6targetE0EEEvT1_ ; -- Begin function _ZN7rocprim17ROCPRIM_400000_NS6detail17trampoline_kernelINS0_14default_configENS1_25partition_config_selectorILNS1_17partition_subalgoE6EdNS0_10empty_typeEbEEZZNS1_14partition_implILS5_6ELb0ES3_mN6thrust23THRUST_200600_302600_NS6detail15normal_iteratorINSA_10device_ptrIdEEEEPS6_SG_NS0_5tupleIJSF_S6_EEENSH_IJSG_SG_EEES6_PlJNSB_9not_fun_tINSB_14equal_to_valueIdEEEEEEE10hipError_tPvRmT3_T4_T5_T6_T7_T9_mT8_P12ihipStream_tbDpT10_ENKUlT_T0_E_clISt17integral_constantIbLb0EES18_EEDaS13_S14_EUlS13_E_NS1_11comp_targetILNS1_3genE10ELNS1_11target_archE1200ELNS1_3gpuE4ELNS1_3repE0EEENS1_30default_config_static_selectorELNS0_4arch9wavefront6targetE0EEEvT1_
	.globl	_ZN7rocprim17ROCPRIM_400000_NS6detail17trampoline_kernelINS0_14default_configENS1_25partition_config_selectorILNS1_17partition_subalgoE6EdNS0_10empty_typeEbEEZZNS1_14partition_implILS5_6ELb0ES3_mN6thrust23THRUST_200600_302600_NS6detail15normal_iteratorINSA_10device_ptrIdEEEEPS6_SG_NS0_5tupleIJSF_S6_EEENSH_IJSG_SG_EEES6_PlJNSB_9not_fun_tINSB_14equal_to_valueIdEEEEEEE10hipError_tPvRmT3_T4_T5_T6_T7_T9_mT8_P12ihipStream_tbDpT10_ENKUlT_T0_E_clISt17integral_constantIbLb0EES18_EEDaS13_S14_EUlS13_E_NS1_11comp_targetILNS1_3genE10ELNS1_11target_archE1200ELNS1_3gpuE4ELNS1_3repE0EEENS1_30default_config_static_selectorELNS0_4arch9wavefront6targetE0EEEvT1_
	.p2align	8
	.type	_ZN7rocprim17ROCPRIM_400000_NS6detail17trampoline_kernelINS0_14default_configENS1_25partition_config_selectorILNS1_17partition_subalgoE6EdNS0_10empty_typeEbEEZZNS1_14partition_implILS5_6ELb0ES3_mN6thrust23THRUST_200600_302600_NS6detail15normal_iteratorINSA_10device_ptrIdEEEEPS6_SG_NS0_5tupleIJSF_S6_EEENSH_IJSG_SG_EEES6_PlJNSB_9not_fun_tINSB_14equal_to_valueIdEEEEEEE10hipError_tPvRmT3_T4_T5_T6_T7_T9_mT8_P12ihipStream_tbDpT10_ENKUlT_T0_E_clISt17integral_constantIbLb0EES18_EEDaS13_S14_EUlS13_E_NS1_11comp_targetILNS1_3genE10ELNS1_11target_archE1200ELNS1_3gpuE4ELNS1_3repE0EEENS1_30default_config_static_selectorELNS0_4arch9wavefront6targetE0EEEvT1_,@function
_ZN7rocprim17ROCPRIM_400000_NS6detail17trampoline_kernelINS0_14default_configENS1_25partition_config_selectorILNS1_17partition_subalgoE6EdNS0_10empty_typeEbEEZZNS1_14partition_implILS5_6ELb0ES3_mN6thrust23THRUST_200600_302600_NS6detail15normal_iteratorINSA_10device_ptrIdEEEEPS6_SG_NS0_5tupleIJSF_S6_EEENSH_IJSG_SG_EEES6_PlJNSB_9not_fun_tINSB_14equal_to_valueIdEEEEEEE10hipError_tPvRmT3_T4_T5_T6_T7_T9_mT8_P12ihipStream_tbDpT10_ENKUlT_T0_E_clISt17integral_constantIbLb0EES18_EEDaS13_S14_EUlS13_E_NS1_11comp_targetILNS1_3genE10ELNS1_11target_archE1200ELNS1_3gpuE4ELNS1_3repE0EEENS1_30default_config_static_selectorELNS0_4arch9wavefront6targetE0EEEvT1_: ; @_ZN7rocprim17ROCPRIM_400000_NS6detail17trampoline_kernelINS0_14default_configENS1_25partition_config_selectorILNS1_17partition_subalgoE6EdNS0_10empty_typeEbEEZZNS1_14partition_implILS5_6ELb0ES3_mN6thrust23THRUST_200600_302600_NS6detail15normal_iteratorINSA_10device_ptrIdEEEEPS6_SG_NS0_5tupleIJSF_S6_EEENSH_IJSG_SG_EEES6_PlJNSB_9not_fun_tINSB_14equal_to_valueIdEEEEEEE10hipError_tPvRmT3_T4_T5_T6_T7_T9_mT8_P12ihipStream_tbDpT10_ENKUlT_T0_E_clISt17integral_constantIbLb0EES18_EEDaS13_S14_EUlS13_E_NS1_11comp_targetILNS1_3genE10ELNS1_11target_archE1200ELNS1_3gpuE4ELNS1_3repE0EEENS1_30default_config_static_selectorELNS0_4arch9wavefront6targetE0EEEvT1_
; %bb.0:
	s_clause 0x3
	s_load_b128 s[16:19], s[0:1], 0x8
	s_load_b128 s[8:11], s[0:1], 0x40
	s_load_b32 s3, s[0:1], 0x68
	s_load_b64 s[6:7], s[0:1], 0x50
	s_mov_b32 s5, 0
	s_lshl_b32 s2, ttmp9, 10
	v_lshrrev_b32_e32 v9, 2, v0
	v_or_b32_e32 v11, 0x200, v0
	v_or_b32_e32 v10, 0x300, v0
	s_mov_b32 s14, -1
	s_wait_kmcnt 0x0
	s_lshl_b64 s[20:21], s[18:19], 3
	s_load_b64 s[10:11], s[10:11], 0x0
	s_lshl_b32 s4, s3, 10
	s_add_co_i32 s3, s3, -1
	s_add_nc_u64 s[12:13], s[18:19], s[4:5]
	s_lshl_b32 s4, s3, 10
	v_cmp_le_u64_e64 s13, s[6:7], s[12:13]
	s_add_co_i32 s7, s18, s4
	s_cmp_eq_u32 ttmp9, s3
	s_mov_b32 s3, s5
	s_cselect_b32 s12, -1, 0
	s_add_nc_u64 s[4:5], s[16:17], s[20:21]
	s_wait_alu 0xfffe
	s_and_b32 s13, s12, s13
	s_lshl_b64 s[2:3], s[2:3], 3
	s_wait_alu 0xfffe
	s_xor_b32 s13, s13, -1
	s_add_nc_u64 s[2:3], s[4:5], s[2:3]
	s_wait_alu 0xfffe
	s_and_b32 vcc_lo, exec_lo, s13
	s_cbranch_vccz .LBB282_2
; %bb.1:
	v_lshlrev_b32_e32 v12, 3, v0
	v_or_b32_e32 v13, 0x100, v0
	v_lshrrev_b32_e32 v14, 2, v11
	v_lshrrev_b32_e32 v15, 2, v10
	v_and_b32_e32 v16, 56, v9
	v_add_co_u32 v1, s4, s2, v12
	s_delay_alu instid0(VALU_DEP_1)
	v_add_co_ci_u32_e64 v2, null, s3, 0, s4
	v_lshrrev_b32_e32 v13, 2, v13
	v_and_b32_e32 v14, 0xb8, v14
	v_and_b32_e32 v15, 0xf8, v15
	s_clause 0x3
	flat_load_b64 v[3:4], v[1:2]
	flat_load_b64 v[5:6], v[1:2] offset:2048
	flat_load_b64 v[7:8], v[1:2] offset:4096
	;; [unrolled: 1-line block ×3, first 2 shown]
	v_add_nc_u32_e32 v16, v16, v12
	v_and_b32_e32 v13, 0x78, v13
	v_add_nc_u32_e32 v14, v14, v12
	s_mov_b32 s14, 0
	s_delay_alu instid0(VALU_DEP_2)
	v_add_nc_u32_e32 v13, v13, v12
	v_add_nc_u32_e32 v12, v15, v12
	s_wait_loadcnt_dscnt 0x303
	ds_store_b64 v16, v[3:4]
	s_wait_loadcnt_dscnt 0x203
	ds_store_b64 v13, v[5:6] offset:2048
	s_wait_loadcnt_dscnt 0x103
	ds_store_b64 v14, v[7:8] offset:4096
	;; [unrolled: 2-line block ×3, first 2 shown]
	s_wait_dscnt 0x0
	s_barrier_signal -1
	s_barrier_wait -1
.LBB282_2:
	s_load_b64 s[4:5], s[0:1], 0x70
	s_and_not1_b32 vcc_lo, exec_lo, s14
	s_sub_co_i32 s7, s6, s7
	s_cbranch_vccnz .LBB282_10
; %bb.3:
	v_mov_b32_e32 v1, 0
	s_mov_b32 s6, exec_lo
	s_delay_alu instid0(VALU_DEP_1)
	v_dual_mov_b32 v2, v1 :: v_dual_mov_b32 v3, v1
	v_dual_mov_b32 v4, v1 :: v_dual_mov_b32 v5, v1
	;; [unrolled: 1-line block ×3, first 2 shown]
	v_mov_b32_e32 v8, v1
	s_wait_alu 0xfffe
	v_cmpx_gt_u32_e64 s7, v0
	s_cbranch_execz .LBB282_5
; %bb.4:
	v_dual_mov_b32 v15, v1 :: v_dual_lshlrev_b32 v2, 3, v0
	v_dual_mov_b32 v14, v1 :: v_dual_mov_b32 v17, v1
	v_dual_mov_b32 v16, v1 :: v_dual_mov_b32 v19, v1
	s_delay_alu instid0(VALU_DEP_3) | instskip(NEXT) | instid1(VALU_DEP_1)
	v_add_co_u32 v2, s14, s2, v2
	v_add_co_ci_u32_e64 v3, null, s3, 0, s14
	v_mov_b32_e32 v18, v1
	flat_load_b64 v[12:13], v[2:3]
	s_wait_loadcnt_dscnt 0x0
	v_dual_mov_b32 v1, v12 :: v_dual_mov_b32 v2, v13
	v_dual_mov_b32 v3, v14 :: v_dual_mov_b32 v4, v15
	;; [unrolled: 1-line block ×4, first 2 shown]
.LBB282_5:
	s_or_b32 exec_lo, exec_lo, s6
	v_or_b32_e32 v12, 0x100, v0
	s_mov_b32 s6, exec_lo
	s_delay_alu instid0(VALU_DEP_1)
	v_cmpx_gt_u32_e64 s7, v12
	s_cbranch_execnz .LBB282_128
; %bb.6:
	s_wait_alu 0xfffe
	s_or_b32 exec_lo, exec_lo, s6
	s_delay_alu instid0(SALU_CYCLE_1)
	s_mov_b32 s6, exec_lo
	v_cmpx_gt_u32_e64 s7, v11
	s_cbranch_execnz .LBB282_129
.LBB282_7:
	s_wait_alu 0xfffe
	s_or_b32 exec_lo, exec_lo, s6
	s_delay_alu instid0(SALU_CYCLE_1)
	s_mov_b32 s6, exec_lo
	v_cmpx_gt_u32_e64 s7, v10
	s_cbranch_execz .LBB282_9
.LBB282_8:
	v_lshlrev_b32_e32 v7, 3, v0
	s_delay_alu instid0(VALU_DEP_1)
	v_add_co_u32 v7, s2, s2, v7
	s_wait_alu 0xf1ff
	v_add_co_ci_u32_e64 v8, null, s3, 0, s2
	flat_load_b64 v[7:8], v[7:8] offset:6144
.LBB282_9:
	s_wait_alu 0xfffe
	s_or_b32 exec_lo, exec_lo, s6
	v_lshrrev_b32_e32 v12, 2, v12
	v_lshrrev_b32_e32 v11, 2, v11
	;; [unrolled: 1-line block ×3, first 2 shown]
	v_and_b32_e32 v9, 56, v9
	v_lshlrev_b32_e32 v13, 3, v0
	v_and_b32_e32 v12, 0x78, v12
	v_and_b32_e32 v11, 0xf8, v11
	v_and_b32_e32 v10, 0xf8, v10
	s_delay_alu instid0(VALU_DEP_4) | instskip(NEXT) | instid1(VALU_DEP_4)
	v_add_nc_u32_e32 v9, v9, v13
	v_add_nc_u32_e32 v12, v12, v13
	s_delay_alu instid0(VALU_DEP_4) | instskip(NEXT) | instid1(VALU_DEP_4)
	v_add_nc_u32_e32 v11, v11, v13
	v_add_nc_u32_e32 v10, v10, v13
	ds_store_b64 v9, v[1:2]
	s_wait_loadcnt_dscnt 0x1
	ds_store_b64 v12, v[3:4] offset:2048
	ds_store_b64 v11, v[5:6] offset:4096
	;; [unrolled: 1-line block ×3, first 2 shown]
	s_wait_dscnt 0x0
	s_barrier_signal -1
	s_barrier_wait -1
.LBB282_10:
	v_and_b32_e32 v1, 0xf8, v0
	global_inv scope:SCOPE_SE
	s_and_not1_b32 vcc_lo, exec_lo, s13
	v_lshl_add_u32 v5, v0, 5, v1
	ds_load_2addr_b64 v[1:4], v5 offset1:3
	ds_load_2addr_b64 v[5:8], v5 offset0:1 offset1:2
	s_wait_loadcnt_dscnt 0x0
	s_barrier_signal -1
	s_barrier_wait -1
	global_inv scope:SCOPE_SE
	s_wait_kmcnt 0x0
	v_cmp_neq_f64_e64 s2, s[4:5], v[1:2]
	v_cmp_neq_f64_e64 s14, s[4:5], v[3:4]
	s_cbranch_vccnz .LBB282_12
; %bb.11:
	v_cmp_neq_f64_e32 vcc_lo, s[4:5], v[7:8]
	s_wait_alu 0xf1ff
	v_cndmask_b32_e64 v27, 0, 1, s2
	v_cndmask_b32_e64 v25, 0, 1, vcc_lo
	v_cmp_neq_f64_e32 vcc_lo, s[4:5], v[5:6]
	s_delay_alu instid0(VALU_DEP_2) | instskip(SKIP_2) | instid1(VALU_DEP_1)
	v_lshlrev_b16 v10, 8, v25
	s_wait_alu 0xfffd
	v_cndmask_b32_e64 v9, 0, 1, vcc_lo
	v_or_b32_e32 v26, v9, v10
	s_cbranch_execz .LBB282_13
	s_branch .LBB282_14
.LBB282_12:
                                        ; implicit-def: $sgpr14
                                        ; implicit-def: $vgpr27
                                        ; implicit-def: $vgpr26
                                        ; implicit-def: $vgpr25
.LBB282_13:
	v_cmp_neq_f64_e32 vcc_lo, s[4:5], v[7:8]
	v_cmp_neq_f64_e64 s2, s[4:5], v[5:6]
	v_cmp_neq_f64_e64 s3, s[4:5], v[1:2]
	;; [unrolled: 1-line block ×3, first 2 shown]
	v_lshlrev_b32_e32 v9, 2, v0
	s_delay_alu instid0(VALU_DEP_1) | instskip(SKIP_2) | instid1(VALU_DEP_2)
	v_or_b32_e32 v10, 2, v9
	v_or_b32_e32 v11, 1, v9
	s_wait_alu 0xfffe
	v_cmp_gt_u32_e64 s5, s7, v10
	s_delay_alu instid0(VALU_DEP_2)
	v_cmp_gt_u32_e64 s6, s7, v11
	v_or_b32_e32 v10, 3, v9
	s_and_b32 s5, s5, vcc_lo
	v_cmp_gt_u32_e32 vcc_lo, s7, v9
	s_wait_alu 0xfffe
	v_cndmask_b32_e64 v25, 0, 1, s5
	s_and_b32 s2, s6, s2
	v_cmp_gt_u32_e64 s5, s7, v10
	s_wait_alu 0xfffe
	v_cndmask_b32_e64 v9, 0, 1, s2
	s_and_b32 s2, vcc_lo, s3
	v_lshlrev_b16 v10, 8, v25
	s_wait_alu 0xfffe
	v_cndmask_b32_e64 v27, 0, 1, s2
	s_and_b32 s2, s5, s4
	s_and_not1_b32 s3, s14, exec_lo
	s_wait_alu 0xfffe
	s_and_b32 s2, s2, exec_lo
	v_or_b32_e32 v26, v9, v10
	s_wait_alu 0xfffe
	s_or_b32 s14, s3, s2
.LBB282_14:
	s_load_b64 s[6:7], s[0:1], 0x60
	v_and_b32_e32 v30, 0xff, v27
	v_dual_mov_b32 v10, 0 :: v_dual_and_b32 v29, 0xff, v26
	v_cndmask_b32_e64 v9, 0, 1, s14
	v_mbcnt_lo_u32_b32 v31, -1, 0
	v_and_b32_e32 v28, 0xff, v25
	s_cmp_lg_u32 ttmp9, 0
	s_mov_b32 s3, -1
	v_add3_u32 v9, v30, v9, v29
	v_and_b32_e32 v32, 15, v31
	s_delay_alu instid0(VALU_DEP_2) | instskip(SKIP_2) | instid1(VALU_DEP_3)
	v_add_co_u32 v17, s2, v9, v28
	s_wait_alu 0xf1ff
	v_add_co_ci_u32_e64 v18, null, 0, 0, s2
	v_cmp_ne_u32_e64 s2, 0, v32
	s_cbranch_scc0 .LBB282_71
; %bb.15:
	v_mov_b32_e32 v11, v17
	v_mov_b32_dpp v9, v17 row_shr:1 row_mask:0xf bank_mask:0xf
	v_mov_b32_dpp v14, v10 row_shr:1 row_mask:0xf bank_mask:0xf
	v_dual_mov_b32 v13, v17 :: v_dual_mov_b32 v12, v18
	s_and_saveexec_b32 s3, s2
; %bb.16:
	s_delay_alu instid0(VALU_DEP_3) | instskip(SKIP_2) | instid1(VALU_DEP_2)
	v_add_co_u32 v13, vcc_lo, v17, v9
	s_wait_alu 0xfffd
	v_add_co_ci_u32_e64 v10, null, 0, v18, vcc_lo
	v_add_co_u32 v9, vcc_lo, 0, v13
	s_wait_alu 0xfffd
	s_delay_alu instid0(VALU_DEP_2) | instskip(NEXT) | instid1(VALU_DEP_1)
	v_add_co_ci_u32_e64 v10, null, v14, v10, vcc_lo
	v_dual_mov_b32 v12, v10 :: v_dual_mov_b32 v11, v9
; %bb.17:
	s_wait_alu 0xfffe
	s_or_b32 exec_lo, exec_lo, s3
	v_mov_b32_dpp v9, v13 row_shr:2 row_mask:0xf bank_mask:0xf
	v_mov_b32_dpp v14, v10 row_shr:2 row_mask:0xf bank_mask:0xf
	s_mov_b32 s3, exec_lo
	v_cmpx_lt_u32_e32 1, v32
; %bb.18:
	s_delay_alu instid0(VALU_DEP_3) | instskip(SKIP_2) | instid1(VALU_DEP_2)
	v_add_co_u32 v13, vcc_lo, v11, v9
	s_wait_alu 0xfffd
	v_add_co_ci_u32_e64 v10, null, 0, v12, vcc_lo
	v_add_co_u32 v9, vcc_lo, 0, v13
	s_wait_alu 0xfffd
	s_delay_alu instid0(VALU_DEP_2) | instskip(NEXT) | instid1(VALU_DEP_1)
	v_add_co_ci_u32_e64 v10, null, v14, v10, vcc_lo
	v_dual_mov_b32 v12, v10 :: v_dual_mov_b32 v11, v9
; %bb.19:
	s_wait_alu 0xfffe
	s_or_b32 exec_lo, exec_lo, s3
	v_mov_b32_dpp v9, v13 row_shr:4 row_mask:0xf bank_mask:0xf
	v_mov_b32_dpp v14, v10 row_shr:4 row_mask:0xf bank_mask:0xf
	s_mov_b32 s3, exec_lo
	v_cmpx_lt_u32_e32 3, v32
	;; [unrolled: 17-line block ×3, first 2 shown]
; %bb.22:
	s_delay_alu instid0(VALU_DEP_3) | instskip(SKIP_2) | instid1(VALU_DEP_2)
	v_add_co_u32 v13, vcc_lo, v11, v14
	s_wait_alu 0xfffd
	v_add_co_ci_u32_e64 v10, null, 0, v12, vcc_lo
	v_add_co_u32 v11, vcc_lo, 0, v13
	s_wait_alu 0xfffd
	s_delay_alu instid0(VALU_DEP_2) | instskip(NEXT) | instid1(VALU_DEP_1)
	v_add_co_ci_u32_e64 v12, null, v9, v10, vcc_lo
	v_mov_b32_e32 v10, v12
; %bb.23:
	s_wait_alu 0xfffe
	s_or_b32 exec_lo, exec_lo, s3
	ds_swizzle_b32 v9, v13 offset:swizzle(BROADCAST,32,15)
	ds_swizzle_b32 v14, v10 offset:swizzle(BROADCAST,32,15)
	v_and_b32_e32 v15, 16, v31
	s_mov_b32 s3, exec_lo
	s_delay_alu instid0(VALU_DEP_1)
	v_cmpx_ne_u32_e32 0, v15
	s_cbranch_execz .LBB282_25
; %bb.24:
	s_wait_dscnt 0x1
	v_add_co_u32 v13, vcc_lo, v11, v9
	s_wait_alu 0xfffd
	v_add_co_ci_u32_e64 v10, null, 0, v12, vcc_lo
	s_delay_alu instid0(VALU_DEP_2) | instskip(SKIP_2) | instid1(VALU_DEP_2)
	v_add_co_u32 v9, vcc_lo, 0, v13
	s_wait_dscnt 0x0
	s_wait_alu 0xfffd
	v_add_co_ci_u32_e64 v10, null, v14, v10, vcc_lo
	s_delay_alu instid0(VALU_DEP_1)
	v_dual_mov_b32 v12, v10 :: v_dual_mov_b32 v11, v9
.LBB282_25:
	s_wait_alu 0xfffe
	s_or_b32 exec_lo, exec_lo, s3
	s_wait_dscnt 0x0
	v_or_b32_e32 v14, 31, v0
	v_lshrrev_b32_e32 v9, 5, v0
	s_mov_b32 s3, exec_lo
	s_delay_alu instid0(VALU_DEP_2)
	v_cmpx_eq_u32_e64 v0, v14
; %bb.26:
	s_delay_alu instid0(VALU_DEP_2)
	v_lshlrev_b32_e32 v14, 3, v9
	ds_store_b64 v14, v[11:12]
; %bb.27:
	s_wait_alu 0xfffe
	s_or_b32 exec_lo, exec_lo, s3
	s_delay_alu instid0(SALU_CYCLE_1)
	s_mov_b32 s3, exec_lo
	s_wait_loadcnt_dscnt 0x0
	s_barrier_signal -1
	s_barrier_wait -1
	global_inv scope:SCOPE_SE
	v_cmpx_gt_u32_e32 8, v0
	s_cbranch_execz .LBB282_35
; %bb.28:
	v_lshlrev_b32_e32 v14, 3, v0
	s_mov_b32 s4, exec_lo
	ds_load_b64 v[11:12], v14
	s_wait_dscnt 0x0
	v_dual_mov_b32 v16, v11 :: v_dual_and_b32 v15, 7, v31
	v_mov_b32_dpp v20, v11 row_shr:1 row_mask:0xf bank_mask:0xf
	v_mov_b32_dpp v19, v12 row_shr:1 row_mask:0xf bank_mask:0xf
	s_delay_alu instid0(VALU_DEP_3)
	v_cmpx_ne_u32_e32 0, v15
; %bb.29:
	s_delay_alu instid0(VALU_DEP_3) | instskip(SKIP_2) | instid1(VALU_DEP_2)
	v_add_co_u32 v16, vcc_lo, v11, v20
	s_wait_alu 0xfffd
	v_add_co_ci_u32_e64 v12, null, 0, v12, vcc_lo
	v_add_co_u32 v11, vcc_lo, 0, v16
	s_wait_alu 0xfffd
	s_delay_alu instid0(VALU_DEP_2)
	v_add_co_ci_u32_e64 v12, null, v19, v12, vcc_lo
; %bb.30:
	s_wait_alu 0xfffe
	s_or_b32 exec_lo, exec_lo, s4
	v_mov_b32_dpp v20, v16 row_shr:2 row_mask:0xf bank_mask:0xf
	s_delay_alu instid0(VALU_DEP_2)
	v_mov_b32_dpp v19, v12 row_shr:2 row_mask:0xf bank_mask:0xf
	s_mov_b32 s4, exec_lo
	v_cmpx_lt_u32_e32 1, v15
; %bb.31:
	s_delay_alu instid0(VALU_DEP_3) | instskip(SKIP_2) | instid1(VALU_DEP_2)
	v_add_co_u32 v16, vcc_lo, v11, v20
	s_wait_alu 0xfffd
	v_add_co_ci_u32_e64 v12, null, 0, v12, vcc_lo
	v_add_co_u32 v11, vcc_lo, 0, v16
	s_wait_alu 0xfffd
	s_delay_alu instid0(VALU_DEP_2)
	v_add_co_ci_u32_e64 v12, null, v19, v12, vcc_lo
; %bb.32:
	s_wait_alu 0xfffe
	s_or_b32 exec_lo, exec_lo, s4
	v_mov_b32_dpp v19, v16 row_shr:4 row_mask:0xf bank_mask:0xf
	s_delay_alu instid0(VALU_DEP_2)
	v_mov_b32_dpp v16, v12 row_shr:4 row_mask:0xf bank_mask:0xf
	s_mov_b32 s4, exec_lo
	v_cmpx_lt_u32_e32 3, v15
; %bb.33:
	s_delay_alu instid0(VALU_DEP_3) | instskip(SKIP_2) | instid1(VALU_DEP_2)
	v_add_co_u32 v11, vcc_lo, v11, v19
	s_wait_alu 0xfffd
	v_add_co_ci_u32_e64 v12, null, 0, v12, vcc_lo
	v_add_co_u32 v11, vcc_lo, v11, 0
	s_wait_alu 0xfffd
	s_delay_alu instid0(VALU_DEP_2)
	v_add_co_ci_u32_e64 v12, null, v12, v16, vcc_lo
; %bb.34:
	s_wait_alu 0xfffe
	s_or_b32 exec_lo, exec_lo, s4
	ds_store_b64 v14, v[11:12]
.LBB282_35:
	s_wait_alu 0xfffe
	s_or_b32 exec_lo, exec_lo, s3
	s_delay_alu instid0(SALU_CYCLE_1)
	s_mov_b32 s4, exec_lo
	v_cmp_gt_u32_e32 vcc_lo, 32, v0
	s_wait_loadcnt_dscnt 0x0
	s_barrier_signal -1
	s_barrier_wait -1
	global_inv scope:SCOPE_SE
                                        ; implicit-def: $vgpr19_vgpr20
	v_cmpx_lt_u32_e32 31, v0
	s_cbranch_execz .LBB282_37
; %bb.36:
	v_lshl_add_u32 v9, v9, 3, -8
	ds_load_b64 v[19:20], v9
	s_wait_dscnt 0x0
	v_add_co_u32 v13, s3, v13, v19
	s_wait_alu 0xf1ff
	v_add_co_ci_u32_e64 v10, null, v10, v20, s3
.LBB282_37:
	s_wait_alu 0xfffe
	s_or_b32 exec_lo, exec_lo, s4
	v_sub_co_u32 v9, s3, v31, 1
	s_delay_alu instid0(VALU_DEP_1) | instskip(SKIP_1) | instid1(VALU_DEP_1)
	v_cmp_gt_i32_e64 s4, 0, v9
	s_wait_alu 0xf1ff
	v_cndmask_b32_e64 v9, v9, v31, s4
	s_delay_alu instid0(VALU_DEP_1)
	v_lshlrev_b32_e32 v9, 2, v9
	ds_bpermute_b32 v33, v9, v13
	ds_bpermute_b32 v34, v9, v10
	s_and_saveexec_b32 s4, vcc_lo
	s_cbranch_execz .LBB282_76
; %bb.38:
	v_mov_b32_e32 v12, 0
	ds_load_b64 v[9:10], v12 offset:56
	s_and_saveexec_b32 s5, s3
	s_cbranch_execz .LBB282_40
; %bb.39:
	s_add_co_i32 s16, ttmp9, 32
	s_mov_b32 s17, 0
	s_delay_alu instid0(SALU_CYCLE_1)
	s_lshl_b64 s[16:17], s[16:17], 4
	s_wait_kmcnt 0x0
	s_add_nc_u64 s[16:17], s[6:7], s[16:17]
	v_mov_b32_e32 v11, 1
	v_dual_mov_b32 v13, s16 :: v_dual_mov_b32 v14, s17
	s_wait_dscnt 0x0
	;;#ASMSTART
	global_store_b128 v[13:14], v[9:12] off scope:SCOPE_DEV	
s_wait_storecnt 0x0
	;;#ASMEND
.LBB282_40:
	s_wait_alu 0xfffe
	s_or_b32 exec_lo, exec_lo, s5
	v_xad_u32 v21, v31, -1, ttmp9
	s_mov_b32 s15, 0
	s_mov_b32 s5, exec_lo
	s_delay_alu instid0(VALU_DEP_1) | instskip(NEXT) | instid1(VALU_DEP_1)
	v_add_nc_u32_e32 v11, 32, v21
	v_lshlrev_b64_e32 v[11:12], 4, v[11:12]
	s_wait_kmcnt 0x0
	s_delay_alu instid0(VALU_DEP_1) | instskip(SKIP_1) | instid1(VALU_DEP_2)
	v_add_co_u32 v11, vcc_lo, s6, v11
	s_wait_alu 0xfffd
	v_add_co_ci_u32_e64 v12, null, s7, v12, vcc_lo
	;;#ASMSTART
	global_load_b128 v[13:16], v[11:12] off scope:SCOPE_DEV	
s_wait_loadcnt 0x0
	;;#ASMEND
	v_and_b32_e32 v16, 0xff, v15
	s_delay_alu instid0(VALU_DEP_1)
	v_cmpx_eq_u16_e32 0, v16
	s_cbranch_execz .LBB282_43
.LBB282_41:                             ; =>This Inner Loop Header: Depth=1
	;;#ASMSTART
	global_load_b128 v[13:16], v[11:12] off scope:SCOPE_DEV	
s_wait_loadcnt 0x0
	;;#ASMEND
	v_and_b32_e32 v16, 0xff, v15
	s_delay_alu instid0(VALU_DEP_1)
	v_cmp_ne_u16_e32 vcc_lo, 0, v16
	s_wait_alu 0xfffe
	s_or_b32 s15, vcc_lo, s15
	s_wait_alu 0xfffe
	s_and_not1_b32 exec_lo, exec_lo, s15
	s_cbranch_execnz .LBB282_41
; %bb.42:
	s_or_b32 exec_lo, exec_lo, s15
.LBB282_43:
	s_wait_alu 0xfffe
	s_or_b32 exec_lo, exec_lo, s5
	v_cmp_ne_u32_e32 vcc_lo, 31, v31
	v_and_b32_e32 v12, 0xff, v15
	v_lshlrev_b32_e64 v36, v31, -1
	s_mov_b32 s5, exec_lo
	s_wait_alu 0xfffd
	v_add_co_ci_u32_e64 v11, null, 0, v31, vcc_lo
	v_cmp_eq_u16_e32 vcc_lo, 2, v12
	s_delay_alu instid0(VALU_DEP_2)
	v_dual_mov_b32 v12, v13 :: v_dual_lshlrev_b32 v35, 2, v11
	s_wait_alu 0xfffd
	v_and_or_b32 v11, vcc_lo, v36, 0x80000000
	ds_bpermute_b32 v22, v35, v13
	ds_bpermute_b32 v16, v35, v14
	v_ctz_i32_b32_e32 v11, v11
	s_delay_alu instid0(VALU_DEP_1)
	v_cmpx_lt_u32_e64 v31, v11
	s_cbranch_execz .LBB282_45
; %bb.44:
	s_wait_dscnt 0x1
	v_add_co_u32 v12, vcc_lo, v13, v22
	s_wait_alu 0xfffd
	v_add_co_ci_u32_e64 v14, null, 0, v14, vcc_lo
	s_delay_alu instid0(VALU_DEP_2) | instskip(SKIP_2) | instid1(VALU_DEP_2)
	v_add_co_u32 v13, vcc_lo, 0, v12
	s_wait_dscnt 0x0
	s_wait_alu 0xfffd
	v_add_co_ci_u32_e64 v14, null, v16, v14, vcc_lo
.LBB282_45:
	s_wait_alu 0xfffe
	s_or_b32 exec_lo, exec_lo, s5
	v_cmp_gt_u32_e32 vcc_lo, 30, v31
	v_add_nc_u32_e32 v38, 2, v31
	s_mov_b32 s5, exec_lo
	s_wait_dscnt 0x0
	s_wait_alu 0xfffd
	v_cndmask_b32_e64 v16, 0, 2, vcc_lo
	s_delay_alu instid0(VALU_DEP_1)
	v_add_lshl_u32 v37, v16, v31, 2
	ds_bpermute_b32 v22, v37, v12
	ds_bpermute_b32 v16, v37, v14
	v_cmpx_le_u32_e64 v38, v11
	s_cbranch_execz .LBB282_47
; %bb.46:
	s_wait_dscnt 0x1
	v_add_co_u32 v12, vcc_lo, v13, v22
	s_wait_alu 0xfffd
	v_add_co_ci_u32_e64 v14, null, 0, v14, vcc_lo
	s_delay_alu instid0(VALU_DEP_2) | instskip(SKIP_2) | instid1(VALU_DEP_2)
	v_add_co_u32 v13, vcc_lo, 0, v12
	s_wait_dscnt 0x0
	s_wait_alu 0xfffd
	v_add_co_ci_u32_e64 v14, null, v16, v14, vcc_lo
.LBB282_47:
	s_wait_alu 0xfffe
	s_or_b32 exec_lo, exec_lo, s5
	v_cmp_gt_u32_e32 vcc_lo, 28, v31
	v_add_nc_u32_e32 v40, 4, v31
	s_mov_b32 s5, exec_lo
	s_wait_dscnt 0x0
	s_wait_alu 0xfffd
	v_cndmask_b32_e64 v16, 0, 4, vcc_lo
	s_delay_alu instid0(VALU_DEP_1)
	v_add_lshl_u32 v39, v16, v31, 2
	ds_bpermute_b32 v22, v39, v12
	ds_bpermute_b32 v16, v39, v14
	v_cmpx_le_u32_e64 v40, v11
	;; [unrolled: 25-line block ×3, first 2 shown]
	s_cbranch_execz .LBB282_51
; %bb.50:
	s_wait_dscnt 0x1
	v_add_co_u32 v12, vcc_lo, v13, v22
	s_wait_alu 0xfffd
	v_add_co_ci_u32_e64 v14, null, 0, v14, vcc_lo
	s_delay_alu instid0(VALU_DEP_2) | instskip(SKIP_2) | instid1(VALU_DEP_2)
	v_add_co_u32 v13, vcc_lo, 0, v12
	s_wait_dscnt 0x0
	s_wait_alu 0xfffd
	v_add_co_ci_u32_e64 v14, null, v16, v14, vcc_lo
.LBB282_51:
	s_wait_alu 0xfffe
	s_or_b32 exec_lo, exec_lo, s5
	v_lshl_or_b32 v43, v31, 2, 64
	v_add_nc_u32_e32 v44, 16, v31
	s_mov_b32 s5, exec_lo
	s_wait_dscnt 0x0
	ds_bpermute_b32 v16, v43, v12
	ds_bpermute_b32 v12, v43, v14
	v_cmpx_le_u32_e64 v44, v11
	s_cbranch_execz .LBB282_53
; %bb.52:
	s_wait_dscnt 0x1
	v_add_co_u32 v11, vcc_lo, v13, v16
	s_wait_alu 0xfffd
	v_add_co_ci_u32_e64 v14, null, 0, v14, vcc_lo
	s_delay_alu instid0(VALU_DEP_2) | instskip(SKIP_2) | instid1(VALU_DEP_2)
	v_add_co_u32 v13, vcc_lo, v11, 0
	s_wait_dscnt 0x0
	s_wait_alu 0xfffd
	v_add_co_ci_u32_e64 v14, null, v14, v12, vcc_lo
.LBB282_53:
	s_wait_alu 0xfffe
	s_or_b32 exec_lo, exec_lo, s5
	v_mov_b32_e32 v22, 0
	s_branch .LBB282_56
.LBB282_54:                             ;   in Loop: Header=BB282_56 Depth=1
	s_wait_alu 0xfffe
	s_or_b32 exec_lo, exec_lo, s5
	v_add_co_u32 v13, vcc_lo, v13, v11
	v_subrev_nc_u32_e32 v21, 32, v21
	s_wait_alu 0xfffd
	v_add_co_ci_u32_e64 v14, null, v14, v12, vcc_lo
	s_mov_b32 s5, 0
.LBB282_55:                             ;   in Loop: Header=BB282_56 Depth=1
	s_wait_alu 0xfffe
	s_and_b32 vcc_lo, exec_lo, s5
	s_wait_alu 0xfffe
	s_cbranch_vccnz .LBB282_72
.LBB282_56:                             ; =>This Loop Header: Depth=1
                                        ;     Child Loop BB282_59 Depth 2
	v_and_b32_e32 v11, 0xff, v15
	s_mov_b32 s5, -1
	s_delay_alu instid0(VALU_DEP_1)
	v_cmp_ne_u16_e32 vcc_lo, 2, v11
	s_wait_dscnt 0x0
	v_dual_mov_b32 v11, v13 :: v_dual_mov_b32 v12, v14
                                        ; implicit-def: $vgpr13_vgpr14
	s_cmp_lg_u32 vcc_lo, exec_lo
	s_cbranch_scc1 .LBB282_55
; %bb.57:                               ;   in Loop: Header=BB282_56 Depth=1
	v_lshlrev_b64_e32 v[13:14], 4, v[21:22]
	s_mov_b32 s5, exec_lo
	s_delay_alu instid0(VALU_DEP_1) | instskip(SKIP_1) | instid1(VALU_DEP_2)
	v_add_co_u32 v23, vcc_lo, s6, v13
	s_wait_alu 0xfffd
	v_add_co_ci_u32_e64 v24, null, s7, v14, vcc_lo
	;;#ASMSTART
	global_load_b128 v[13:16], v[23:24] off scope:SCOPE_DEV	
s_wait_loadcnt 0x0
	;;#ASMEND
	v_and_b32_e32 v16, 0xff, v15
	s_delay_alu instid0(VALU_DEP_1)
	v_cmpx_eq_u16_e32 0, v16
	s_cbranch_execz .LBB282_61
; %bb.58:                               ;   in Loop: Header=BB282_56 Depth=1
	s_mov_b32 s15, 0
.LBB282_59:                             ;   Parent Loop BB282_56 Depth=1
                                        ; =>  This Inner Loop Header: Depth=2
	;;#ASMSTART
	global_load_b128 v[13:16], v[23:24] off scope:SCOPE_DEV	
s_wait_loadcnt 0x0
	;;#ASMEND
	v_and_b32_e32 v16, 0xff, v15
	s_delay_alu instid0(VALU_DEP_1)
	v_cmp_ne_u16_e32 vcc_lo, 0, v16
	s_wait_alu 0xfffe
	s_or_b32 s15, vcc_lo, s15
	s_wait_alu 0xfffe
	s_and_not1_b32 exec_lo, exec_lo, s15
	s_cbranch_execnz .LBB282_59
; %bb.60:                               ;   in Loop: Header=BB282_56 Depth=1
	s_or_b32 exec_lo, exec_lo, s15
.LBB282_61:                             ;   in Loop: Header=BB282_56 Depth=1
	s_wait_alu 0xfffe
	s_or_b32 exec_lo, exec_lo, s5
	v_dual_mov_b32 v23, v13 :: v_dual_and_b32 v16, 0xff, v15
	ds_bpermute_b32 v45, v35, v13
	ds_bpermute_b32 v24, v35, v14
	s_mov_b32 s5, exec_lo
	v_cmp_eq_u16_e32 vcc_lo, 2, v16
	s_wait_alu 0xfffd
	v_and_or_b32 v16, vcc_lo, v36, 0x80000000
	s_delay_alu instid0(VALU_DEP_1) | instskip(NEXT) | instid1(VALU_DEP_1)
	v_ctz_i32_b32_e32 v16, v16
	v_cmpx_lt_u32_e64 v31, v16
	s_cbranch_execz .LBB282_63
; %bb.62:                               ;   in Loop: Header=BB282_56 Depth=1
	s_wait_dscnt 0x1
	v_add_co_u32 v23, vcc_lo, v13, v45
	s_wait_alu 0xfffd
	v_add_co_ci_u32_e64 v14, null, 0, v14, vcc_lo
	s_delay_alu instid0(VALU_DEP_2) | instskip(SKIP_2) | instid1(VALU_DEP_2)
	v_add_co_u32 v13, vcc_lo, 0, v23
	s_wait_dscnt 0x0
	s_wait_alu 0xfffd
	v_add_co_ci_u32_e64 v14, null, v24, v14, vcc_lo
.LBB282_63:                             ;   in Loop: Header=BB282_56 Depth=1
	s_wait_alu 0xfffe
	s_or_b32 exec_lo, exec_lo, s5
	s_wait_dscnt 0x1
	ds_bpermute_b32 v45, v37, v23
	s_wait_dscnt 0x1
	ds_bpermute_b32 v24, v37, v14
	s_mov_b32 s5, exec_lo
	v_cmpx_le_u32_e64 v38, v16
	s_cbranch_execz .LBB282_65
; %bb.64:                               ;   in Loop: Header=BB282_56 Depth=1
	s_wait_dscnt 0x1
	v_add_co_u32 v23, vcc_lo, v13, v45
	s_wait_alu 0xfffd
	v_add_co_ci_u32_e64 v14, null, 0, v14, vcc_lo
	s_delay_alu instid0(VALU_DEP_2) | instskip(SKIP_2) | instid1(VALU_DEP_2)
	v_add_co_u32 v13, vcc_lo, 0, v23
	s_wait_dscnt 0x0
	s_wait_alu 0xfffd
	v_add_co_ci_u32_e64 v14, null, v24, v14, vcc_lo
.LBB282_65:                             ;   in Loop: Header=BB282_56 Depth=1
	s_wait_alu 0xfffe
	s_or_b32 exec_lo, exec_lo, s5
	s_wait_dscnt 0x1
	ds_bpermute_b32 v45, v39, v23
	s_wait_dscnt 0x1
	ds_bpermute_b32 v24, v39, v14
	s_mov_b32 s5, exec_lo
	v_cmpx_le_u32_e64 v40, v16
	;; [unrolled: 20-line block ×3, first 2 shown]
	s_cbranch_execz .LBB282_69
; %bb.68:                               ;   in Loop: Header=BB282_56 Depth=1
	s_wait_dscnt 0x1
	v_add_co_u32 v23, vcc_lo, v13, v45
	s_wait_alu 0xfffd
	v_add_co_ci_u32_e64 v14, null, 0, v14, vcc_lo
	s_delay_alu instid0(VALU_DEP_2) | instskip(SKIP_2) | instid1(VALU_DEP_2)
	v_add_co_u32 v13, vcc_lo, 0, v23
	s_wait_dscnt 0x0
	s_wait_alu 0xfffd
	v_add_co_ci_u32_e64 v14, null, v24, v14, vcc_lo
.LBB282_69:                             ;   in Loop: Header=BB282_56 Depth=1
	s_wait_alu 0xfffe
	s_or_b32 exec_lo, exec_lo, s5
	s_wait_dscnt 0x0
	ds_bpermute_b32 v24, v43, v23
	ds_bpermute_b32 v23, v43, v14
	s_mov_b32 s5, exec_lo
	v_cmpx_le_u32_e64 v44, v16
	s_cbranch_execz .LBB282_54
; %bb.70:                               ;   in Loop: Header=BB282_56 Depth=1
	s_wait_dscnt 0x1
	v_add_co_u32 v13, vcc_lo, v13, v24
	s_wait_alu 0xfffd
	v_add_co_ci_u32_e64 v14, null, 0, v14, vcc_lo
	s_delay_alu instid0(VALU_DEP_2) | instskip(SKIP_2) | instid1(VALU_DEP_2)
	v_add_co_u32 v13, vcc_lo, v13, 0
	s_wait_dscnt 0x0
	s_wait_alu 0xfffd
	v_add_co_ci_u32_e64 v14, null, v14, v23, vcc_lo
	s_branch .LBB282_54
.LBB282_71:
                                        ; implicit-def: $vgpr15_vgpr16
                                        ; implicit-def: $vgpr13_vgpr14
                                        ; implicit-def: $vgpr19_vgpr20
                                        ; implicit-def: $vgpr21_vgpr22
                                        ; implicit-def: $vgpr11_vgpr12
	s_load_b64 s[4:5], s[0:1], 0x28
	s_and_b32 vcc_lo, exec_lo, s3
	s_wait_alu 0xfffe
	s_cbranch_vccnz .LBB282_77
	s_branch .LBB282_102
.LBB282_72:
	s_and_saveexec_b32 s5, s3
	s_cbranch_execz .LBB282_74
; %bb.73:
	s_add_co_i32 s16, ttmp9, 32
	s_mov_b32 s17, 0
	v_add_co_u32 v13, vcc_lo, v11, v9
	s_wait_alu 0xfffe
	s_lshl_b64 s[16:17], s[16:17], 4
	v_dual_mov_b32 v15, 2 :: v_dual_mov_b32 v16, 0
	s_wait_alu 0xfffe
	s_add_nc_u64 s[16:17], s[6:7], s[16:17]
	s_wait_alu 0xfffd
	v_add_co_ci_u32_e64 v14, null, v12, v10, vcc_lo
	s_wait_alu 0xfffe
	v_dual_mov_b32 v22, s17 :: v_dual_mov_b32 v21, s16
	;;#ASMSTART
	global_store_b128 v[21:22], v[13:16] off scope:SCOPE_DEV	
s_wait_storecnt 0x0
	;;#ASMEND
	ds_store_b128 v16, v[9:12] offset:8448
.LBB282_74:
	s_wait_alu 0xfffe
	s_or_b32 exec_lo, exec_lo, s5
	v_cmp_eq_u32_e32 vcc_lo, 0, v0
	s_and_b32 exec_lo, exec_lo, vcc_lo
; %bb.75:
	v_mov_b32_e32 v9, 0
	ds_store_b64 v9, v[11:12] offset:56
.LBB282_76:
	s_wait_alu 0xfffe
	s_or_b32 exec_lo, exec_lo, s4
	s_wait_dscnt 0x1
	v_cndmask_b32_e64 v10, v33, v19, s3
	v_cmp_ne_u32_e32 vcc_lo, 0, v0
	v_mov_b32_e32 v9, 0
	s_wait_loadcnt_dscnt 0x0
	s_barrier_signal -1
	s_barrier_wait -1
	global_inv scope:SCOPE_SE
	s_wait_alu 0xfffd
	v_cndmask_b32_e32 v16, 0, v10, vcc_lo
	ds_load_b64 v[13:14], v9 offset:56
	v_cndmask_b32_e64 v11, v34, v20, s3
	s_wait_loadcnt_dscnt 0x0
	s_barrier_signal -1
	s_barrier_wait -1
	global_inv scope:SCOPE_SE
	v_cndmask_b32_e32 v15, 0, v11, vcc_lo
	ds_load_b128 v[9:12], v9 offset:8448
	v_add_co_u32 v21, vcc_lo, v13, v16
	s_wait_alu 0xfffd
	v_add_co_ci_u32_e64 v22, null, v14, v15, vcc_lo
	s_delay_alu instid0(VALU_DEP_2) | instskip(SKIP_1) | instid1(VALU_DEP_2)
	v_add_co_u32 v19, vcc_lo, v21, v30
	s_wait_alu 0xfffd
	v_add_co_ci_u32_e64 v20, null, 0, v22, vcc_lo
	s_delay_alu instid0(VALU_DEP_2) | instskip(SKIP_1) | instid1(VALU_DEP_2)
	v_add_co_u32 v13, vcc_lo, v19, v29
	s_wait_alu 0xfffd
	v_add_co_ci_u32_e64 v14, null, 0, v20, vcc_lo
	s_delay_alu instid0(VALU_DEP_2) | instskip(SKIP_1) | instid1(VALU_DEP_2)
	v_add_co_u32 v15, vcc_lo, v13, v28
	s_wait_alu 0xfffd
	v_add_co_ci_u32_e64 v16, null, 0, v14, vcc_lo
	s_load_b64 s[4:5], s[0:1], 0x28
	s_branch .LBB282_102
.LBB282_77:
	s_wait_dscnt 0x0
	v_dual_mov_b32 v10, 0 :: v_dual_mov_b32 v11, v17
	v_mov_b32_dpp v12, v17 row_shr:1 row_mask:0xf bank_mask:0xf
	s_delay_alu instid0(VALU_DEP_2)
	v_mov_b32_dpp v9, v10 row_shr:1 row_mask:0xf bank_mask:0xf
	s_and_saveexec_b32 s0, s2
; %bb.78:
	s_delay_alu instid0(VALU_DEP_2) | instskip(SKIP_2) | instid1(VALU_DEP_2)
	v_add_co_u32 v11, vcc_lo, v17, v12
	s_wait_alu 0xfffd
	v_add_co_ci_u32_e64 v10, null, 0, v18, vcc_lo
	v_add_co_u32 v17, vcc_lo, 0, v11
	s_wait_alu 0xfffd
	s_delay_alu instid0(VALU_DEP_2) | instskip(NEXT) | instid1(VALU_DEP_1)
	v_add_co_ci_u32_e64 v18, null, v9, v10, vcc_lo
	v_mov_b32_e32 v10, v18
; %bb.79:
	s_or_b32 exec_lo, exec_lo, s0
	v_mov_b32_dpp v9, v11 row_shr:2 row_mask:0xf bank_mask:0xf
	s_delay_alu instid0(VALU_DEP_2)
	v_mov_b32_dpp v12, v10 row_shr:2 row_mask:0xf bank_mask:0xf
	s_mov_b32 s0, exec_lo
	v_cmpx_lt_u32_e32 1, v32
; %bb.80:
	s_delay_alu instid0(VALU_DEP_3) | instskip(SKIP_2) | instid1(VALU_DEP_2)
	v_add_co_u32 v11, vcc_lo, v17, v9
	s_wait_alu 0xfffd
	v_add_co_ci_u32_e64 v10, null, 0, v18, vcc_lo
	v_add_co_u32 v9, vcc_lo, 0, v11
	s_wait_alu 0xfffd
	s_delay_alu instid0(VALU_DEP_2) | instskip(NEXT) | instid1(VALU_DEP_1)
	v_add_co_ci_u32_e64 v10, null, v12, v10, vcc_lo
	v_dual_mov_b32 v18, v10 :: v_dual_mov_b32 v17, v9
; %bb.81:
	s_or_b32 exec_lo, exec_lo, s0
	v_mov_b32_dpp v9, v11 row_shr:4 row_mask:0xf bank_mask:0xf
	v_mov_b32_dpp v12, v10 row_shr:4 row_mask:0xf bank_mask:0xf
	s_mov_b32 s0, exec_lo
	v_cmpx_lt_u32_e32 3, v32
; %bb.82:
	s_delay_alu instid0(VALU_DEP_3) | instskip(SKIP_2) | instid1(VALU_DEP_2)
	v_add_co_u32 v11, vcc_lo, v17, v9
	s_wait_alu 0xfffd
	v_add_co_ci_u32_e64 v10, null, 0, v18, vcc_lo
	v_add_co_u32 v9, vcc_lo, 0, v11
	s_wait_alu 0xfffd
	s_delay_alu instid0(VALU_DEP_2) | instskip(NEXT) | instid1(VALU_DEP_1)
	v_add_co_ci_u32_e64 v10, null, v12, v10, vcc_lo
	v_dual_mov_b32 v18, v10 :: v_dual_mov_b32 v17, v9
; %bb.83:
	s_or_b32 exec_lo, exec_lo, s0
	v_mov_b32_dpp v12, v11 row_shr:8 row_mask:0xf bank_mask:0xf
	v_mov_b32_dpp v9, v10 row_shr:8 row_mask:0xf bank_mask:0xf
	s_mov_b32 s0, exec_lo
	v_cmpx_lt_u32_e32 7, v32
; %bb.84:
	s_delay_alu instid0(VALU_DEP_3) | instskip(SKIP_2) | instid1(VALU_DEP_2)
	v_add_co_u32 v11, vcc_lo, v17, v12
	s_wait_alu 0xfffd
	v_add_co_ci_u32_e64 v10, null, 0, v18, vcc_lo
	v_add_co_u32 v17, vcc_lo, 0, v11
	s_wait_alu 0xfffd
	s_delay_alu instid0(VALU_DEP_2) | instskip(NEXT) | instid1(VALU_DEP_1)
	v_add_co_ci_u32_e64 v18, null, v9, v10, vcc_lo
	v_mov_b32_e32 v10, v18
; %bb.85:
	s_or_b32 exec_lo, exec_lo, s0
	ds_swizzle_b32 v11, v11 offset:swizzle(BROADCAST,32,15)
	ds_swizzle_b32 v9, v10 offset:swizzle(BROADCAST,32,15)
	v_and_b32_e32 v10, 16, v31
	s_mov_b32 s0, exec_lo
	s_delay_alu instid0(VALU_DEP_1)
	v_cmpx_ne_u32_e32 0, v10
	s_cbranch_execz .LBB282_87
; %bb.86:
	s_wait_dscnt 0x1
	v_add_co_u32 v10, vcc_lo, v17, v11
	s_wait_alu 0xfffd
	v_add_co_ci_u32_e64 v11, null, 0, v18, vcc_lo
	s_delay_alu instid0(VALU_DEP_2) | instskip(SKIP_2) | instid1(VALU_DEP_2)
	v_add_co_u32 v17, vcc_lo, v10, 0
	s_wait_dscnt 0x0
	s_wait_alu 0xfffd
	v_add_co_ci_u32_e64 v18, null, v11, v9, vcc_lo
.LBB282_87:
	s_or_b32 exec_lo, exec_lo, s0
	s_wait_dscnt 0x0
	v_or_b32_e32 v9, 31, v0
	v_lshrrev_b32_e32 v11, 5, v0
	s_mov_b32 s0, exec_lo
	s_delay_alu instid0(VALU_DEP_2)
	v_cmpx_eq_u32_e64 v0, v9
; %bb.88:
	s_delay_alu instid0(VALU_DEP_2)
	v_lshlrev_b32_e32 v9, 3, v11
	ds_store_b64 v9, v[17:18]
; %bb.89:
	s_or_b32 exec_lo, exec_lo, s0
	s_delay_alu instid0(SALU_CYCLE_1)
	s_mov_b32 s0, exec_lo
	s_wait_loadcnt_dscnt 0x0
	s_barrier_signal -1
	s_barrier_wait -1
	global_inv scope:SCOPE_SE
	v_cmpx_gt_u32_e32 8, v0
	s_cbranch_execz .LBB282_97
; %bb.90:
	v_lshlrev_b32_e32 v12, 3, v0
	s_mov_b32 s1, exec_lo
	ds_load_b64 v[9:10], v12
	s_wait_dscnt 0x0
	v_dual_mov_b32 v14, v9 :: v_dual_and_b32 v13, 7, v31
	v_mov_b32_dpp v16, v9 row_shr:1 row_mask:0xf bank_mask:0xf
	v_mov_b32_dpp v15, v10 row_shr:1 row_mask:0xf bank_mask:0xf
	s_delay_alu instid0(VALU_DEP_3)
	v_cmpx_ne_u32_e32 0, v13
; %bb.91:
	s_delay_alu instid0(VALU_DEP_3) | instskip(SKIP_2) | instid1(VALU_DEP_2)
	v_add_co_u32 v14, vcc_lo, v9, v16
	s_wait_alu 0xfffd
	v_add_co_ci_u32_e64 v10, null, 0, v10, vcc_lo
	v_add_co_u32 v9, vcc_lo, 0, v14
	s_wait_alu 0xfffd
	s_delay_alu instid0(VALU_DEP_2)
	v_add_co_ci_u32_e64 v10, null, v15, v10, vcc_lo
; %bb.92:
	s_or_b32 exec_lo, exec_lo, s1
	v_mov_b32_dpp v16, v14 row_shr:2 row_mask:0xf bank_mask:0xf
	s_delay_alu instid0(VALU_DEP_2)
	v_mov_b32_dpp v15, v10 row_shr:2 row_mask:0xf bank_mask:0xf
	s_mov_b32 s1, exec_lo
	v_cmpx_lt_u32_e32 1, v13
; %bb.93:
	s_delay_alu instid0(VALU_DEP_3) | instskip(SKIP_2) | instid1(VALU_DEP_2)
	v_add_co_u32 v14, vcc_lo, v9, v16
	s_wait_alu 0xfffd
	v_add_co_ci_u32_e64 v10, null, 0, v10, vcc_lo
	v_add_co_u32 v9, vcc_lo, 0, v14
	s_wait_alu 0xfffd
	s_delay_alu instid0(VALU_DEP_2)
	v_add_co_ci_u32_e64 v10, null, v15, v10, vcc_lo
; %bb.94:
	s_or_b32 exec_lo, exec_lo, s1
	v_mov_b32_dpp v15, v14 row_shr:4 row_mask:0xf bank_mask:0xf
	s_delay_alu instid0(VALU_DEP_2)
	v_mov_b32_dpp v14, v10 row_shr:4 row_mask:0xf bank_mask:0xf
	s_mov_b32 s1, exec_lo
	v_cmpx_lt_u32_e32 3, v13
; %bb.95:
	s_delay_alu instid0(VALU_DEP_3) | instskip(SKIP_2) | instid1(VALU_DEP_2)
	v_add_co_u32 v9, vcc_lo, v9, v15
	s_wait_alu 0xfffd
	v_add_co_ci_u32_e64 v10, null, 0, v10, vcc_lo
	v_add_co_u32 v9, vcc_lo, v9, 0
	s_wait_alu 0xfffd
	s_delay_alu instid0(VALU_DEP_2)
	v_add_co_ci_u32_e64 v10, null, v10, v14, vcc_lo
; %bb.96:
	s_or_b32 exec_lo, exec_lo, s1
	ds_store_b64 v12, v[9:10]
.LBB282_97:
	s_or_b32 exec_lo, exec_lo, s0
	v_mov_b32_e32 v13, 0
	v_mov_b32_e32 v14, 0
	s_mov_b32 s0, exec_lo
	s_wait_loadcnt_dscnt 0x0
	s_barrier_signal -1
	s_barrier_wait -1
	global_inv scope:SCOPE_SE
	v_cmpx_lt_u32_e32 31, v0
; %bb.98:
	v_lshl_add_u32 v9, v11, 3, -8
	ds_load_b64 v[13:14], v9
; %bb.99:
	s_or_b32 exec_lo, exec_lo, s0
	v_sub_co_u32 v9, vcc_lo, v31, 1
	v_mov_b32_e32 v12, 0
	s_delay_alu instid0(VALU_DEP_2) | instskip(NEXT) | instid1(VALU_DEP_1)
	v_cmp_gt_i32_e64 s0, 0, v9
	v_cndmask_b32_e64 v9, v9, v31, s0
	s_wait_dscnt 0x0
	v_add_co_u32 v10, s0, v13, v17
	s_wait_alu 0xf1ff
	v_add_co_ci_u32_e64 v11, null, v14, v18, s0
	v_lshlrev_b32_e32 v9, 2, v9
	v_cmp_eq_u32_e64 s0, 0, v0
	ds_bpermute_b32 v15, v9, v10
	ds_bpermute_b32 v16, v9, v11
	ds_load_b64 v[9:10], v12 offset:56
	s_and_saveexec_b32 s1, s0
	s_cbranch_execz .LBB282_101
; %bb.100:
	s_wait_kmcnt 0x0
	s_add_nc_u64 s[2:3], s[6:7], 0x200
	s_wait_alu 0xfffe
	v_dual_mov_b32 v11, 2 :: v_dual_mov_b32 v18, s3
	v_mov_b32_e32 v17, s2
	s_wait_dscnt 0x0
	;;#ASMSTART
	global_store_b128 v[17:18], v[9:12] off scope:SCOPE_DEV	
s_wait_storecnt 0x0
	;;#ASMEND
.LBB282_101:
	s_wait_alu 0xfffe
	s_or_b32 exec_lo, exec_lo, s1
	s_wait_dscnt 0x1
	s_wait_alu 0xfffd
	v_dual_cndmask_b32 v11, v15, v13 :: v_dual_cndmask_b32 v12, v16, v14
	s_wait_loadcnt_dscnt 0x0
	s_barrier_signal -1
	s_barrier_wait -1
	s_delay_alu instid0(VALU_DEP_1)
	v_cndmask_b32_e64 v21, v11, 0, s0
	v_cndmask_b32_e64 v22, v12, 0, s0
	v_mov_b32_e32 v11, 0
	v_mov_b32_e32 v12, 0
	global_inv scope:SCOPE_SE
	v_add_co_u32 v19, vcc_lo, v21, v30
	s_wait_alu 0xfffd
	v_add_co_ci_u32_e64 v20, null, 0, v22, vcc_lo
	s_delay_alu instid0(VALU_DEP_2) | instskip(SKIP_1) | instid1(VALU_DEP_2)
	v_add_co_u32 v13, vcc_lo, v19, v29
	s_wait_alu 0xfffd
	v_add_co_ci_u32_e64 v14, null, 0, v20, vcc_lo
	s_delay_alu instid0(VALU_DEP_2) | instskip(SKIP_1) | instid1(VALU_DEP_2)
	v_add_co_u32 v15, vcc_lo, v13, v28
	s_wait_alu 0xfffd
	v_add_co_ci_u32_e64 v16, null, 0, v14, vcc_lo
.LBB282_102:
	v_and_b32_e32 v23, 1, v27
	s_wait_dscnt 0x0
	v_cmp_gt_u64_e32 vcc_lo, 0x101, v[9:10]
	s_mov_b32 s1, -1
	s_delay_alu instid0(VALU_DEP_2)
	v_cmp_eq_u32_e64 s0, 1, v23
	s_cbranch_vccnz .LBB282_106
; %bb.103:
	s_wait_alu 0xfffe
	s_and_b32 vcc_lo, exec_lo, s1
	s_wait_alu 0xfffe
	s_cbranch_vccnz .LBB282_115
.LBB282_104:
	v_cmp_eq_u32_e32 vcc_lo, 0, v0
	s_and_b32 s0, vcc_lo, s12
	s_wait_alu 0xfffe
	s_and_saveexec_b32 s1, s0
	s_cbranch_execnz .LBB282_127
.LBB282_105:
	s_endpgm
.LBB282_106:
	v_add_co_u32 v17, vcc_lo, v11, v9
	s_wait_alu 0xfffd
	v_add_co_ci_u32_e64 v18, null, v12, v10, vcc_lo
	s_lshl_b64 s[2:3], s[10:11], 3
	s_wait_kmcnt 0x0
	s_wait_alu 0xfffe
	s_add_nc_u64 s[2:3], s[4:5], s[2:3]
	v_cmp_lt_u64_e32 vcc_lo, v[21:22], v[17:18]
	s_or_b32 s1, s13, vcc_lo
	s_wait_alu 0xfffe
	s_and_b32 s1, s1, s0
	s_wait_alu 0xfffe
	s_and_saveexec_b32 s0, s1
	s_cbranch_execz .LBB282_108
; %bb.107:
	v_lshlrev_b64_e32 v[27:28], 3, v[21:22]
	s_delay_alu instid0(VALU_DEP_1) | instskip(SKIP_1) | instid1(VALU_DEP_2)
	v_add_co_u32 v27, vcc_lo, s2, v27
	s_wait_alu 0xfffd
	v_add_co_ci_u32_e64 v28, null, s3, v28, vcc_lo
	global_store_b64 v[27:28], v[1:2], off
.LBB282_108:
	s_wait_alu 0xfffe
	s_or_b32 exec_lo, exec_lo, s0
	v_and_b32_e32 v22, 1, v26
	v_cmp_lt_u64_e32 vcc_lo, v[19:20], v[17:18]
	s_delay_alu instid0(VALU_DEP_2)
	v_cmp_eq_u32_e64 s0, 1, v22
	s_or_b32 s1, s13, vcc_lo
	s_wait_alu 0xfffe
	s_and_b32 s1, s1, s0
	s_wait_alu 0xfffe
	s_and_saveexec_b32 s0, s1
	s_cbranch_execz .LBB282_110
; %bb.109:
	v_lshlrev_b64_e32 v[27:28], 3, v[19:20]
	s_delay_alu instid0(VALU_DEP_1) | instskip(SKIP_1) | instid1(VALU_DEP_2)
	v_add_co_u32 v27, vcc_lo, s2, v27
	s_wait_alu 0xfffd
	v_add_co_ci_u32_e64 v28, null, s3, v28, vcc_lo
	global_store_b64 v[27:28], v[5:6], off
.LBB282_110:
	s_wait_alu 0xfffe
	s_or_b32 exec_lo, exec_lo, s0
	v_and_b32_e32 v20, 1, v25
	v_cmp_lt_u64_e32 vcc_lo, v[13:14], v[17:18]
	s_delay_alu instid0(VALU_DEP_2)
	v_cmp_eq_u32_e64 s0, 1, v20
	s_or_b32 s1, s13, vcc_lo
	s_wait_alu 0xfffe
	s_and_b32 s1, s1, s0
	s_wait_alu 0xfffe
	s_and_saveexec_b32 s0, s1
	s_cbranch_execz .LBB282_112
; %bb.111:
	v_lshlrev_b64_e32 v[27:28], 3, v[13:14]
	s_delay_alu instid0(VALU_DEP_1) | instskip(SKIP_1) | instid1(VALU_DEP_2)
	v_add_co_u32 v27, vcc_lo, s2, v27
	s_wait_alu 0xfffd
	v_add_co_ci_u32_e64 v28, null, s3, v28, vcc_lo
	global_store_b64 v[27:28], v[7:8], off
.LBB282_112:
	s_wait_alu 0xfffe
	s_or_b32 exec_lo, exec_lo, s0
	v_cmp_lt_u64_e32 vcc_lo, v[15:16], v[17:18]
	s_or_b32 s0, s13, vcc_lo
	s_wait_alu 0xfffe
	s_and_b32 s1, s0, s14
	s_wait_alu 0xfffe
	s_and_saveexec_b32 s0, s1
	s_cbranch_execz .LBB282_114
; %bb.113:
	v_lshlrev_b64_e32 v[16:17], 3, v[15:16]
	s_delay_alu instid0(VALU_DEP_1) | instskip(SKIP_1) | instid1(VALU_DEP_2)
	v_add_co_u32 v16, vcc_lo, s2, v16
	s_wait_alu 0xfffd
	v_add_co_ci_u32_e64 v17, null, s3, v17, vcc_lo
	global_store_b64 v[16:17], v[3:4], off
.LBB282_114:
	s_wait_alu 0xfffe
	s_or_b32 exec_lo, exec_lo, s0
	s_branch .LBB282_104
.LBB282_115:
	s_mov_b32 s0, exec_lo
	v_cmpx_eq_u32_e32 1, v23
; %bb.116:
	v_sub_nc_u32_e32 v14, v21, v11
	s_delay_alu instid0(VALU_DEP_1)
	v_lshlrev_b32_e32 v14, 3, v14
	ds_store_b64 v14, v[1:2]
; %bb.117:
	s_wait_alu 0xfffe
	s_or_b32 exec_lo, exec_lo, s0
	v_and_b32_e32 v1, 1, v26
	s_mov_b32 s0, exec_lo
	s_delay_alu instid0(VALU_DEP_1)
	v_cmpx_eq_u32_e32 1, v1
; %bb.118:
	v_sub_nc_u32_e32 v1, v19, v11
	s_delay_alu instid0(VALU_DEP_1)
	v_lshlrev_b32_e32 v1, 3, v1
	ds_store_b64 v1, v[5:6]
; %bb.119:
	s_wait_alu 0xfffe
	s_or_b32 exec_lo, exec_lo, s0
	v_and_b32_e32 v1, 1, v25
	s_mov_b32 s0, exec_lo
	s_delay_alu instid0(VALU_DEP_1)
	v_cmpx_eq_u32_e32 1, v1
; %bb.120:
	v_sub_nc_u32_e32 v1, v13, v11
	s_delay_alu instid0(VALU_DEP_1)
	v_lshlrev_b32_e32 v1, 3, v1
	ds_store_b64 v1, v[7:8]
; %bb.121:
	s_wait_alu 0xfffe
	s_or_b32 exec_lo, exec_lo, s0
	s_and_saveexec_b32 s0, s14
; %bb.122:
	v_sub_nc_u32_e32 v1, v15, v11
	s_delay_alu instid0(VALU_DEP_1)
	v_lshlrev_b32_e32 v1, 3, v1
	ds_store_b64 v1, v[3:4]
; %bb.123:
	s_wait_alu 0xfffe
	s_or_b32 exec_lo, exec_lo, s0
	v_mov_b32_e32 v3, 0
	s_mov_b32 s1, exec_lo
	s_wait_storecnt 0x0
	s_wait_loadcnt_dscnt 0x0
	s_barrier_signal -1
	s_barrier_wait -1
	v_mov_b32_e32 v1, v3
	global_inv scope:SCOPE_SE
	v_cmpx_gt_u64_e64 v[9:10], v[0:1]
	s_cbranch_execz .LBB282_126
; %bb.124:
	v_lshlrev_b64_e32 v[4:5], 3, v[11:12]
	s_lshl_b64 s[2:3], s[10:11], 3
	v_or_b32_e32 v2, 0x100, v0
	s_wait_kmcnt 0x0
	s_delay_alu instid0(VALU_DEP_2) | instskip(SKIP_3) | instid1(VALU_DEP_2)
	v_add_co_u32 v4, vcc_lo, s4, v4
	s_wait_alu 0xfffd
	v_add_co_ci_u32_e64 v5, null, s5, v5, vcc_lo
	s_wait_alu 0xfffe
	v_add_co_u32 v6, vcc_lo, v4, s2
	s_wait_alu 0xfffd
	s_delay_alu instid0(VALU_DEP_2)
	v_add_co_ci_u32_e64 v7, null, s3, v5, vcc_lo
	v_dual_mov_b32 v5, v1 :: v_dual_mov_b32 v4, v0
	s_mov_b32 s2, 0
.LBB282_125:                            ; =>This Inner Loop Header: Depth=1
	s_delay_alu instid0(VALU_DEP_1) | instskip(NEXT) | instid1(VALU_DEP_2)
	v_lshlrev_b32_e32 v1, 3, v4
	v_lshlrev_b64_e32 v[15:16], 3, v[4:5]
	v_dual_mov_b32 v5, v3 :: v_dual_mov_b32 v4, v2
	v_cmp_le_u64_e32 vcc_lo, v[9:10], v[2:3]
	ds_load_b64 v[13:14], v1
	v_add_nc_u32_e32 v2, 0x100, v2
	v_add_co_u32 v15, s0, v6, v15
	s_wait_alu 0xf1ff
	v_add_co_ci_u32_e64 v16, null, v7, v16, s0
	s_wait_alu 0xfffe
	s_or_b32 s2, vcc_lo, s2
	s_wait_dscnt 0x0
	global_store_b64 v[15:16], v[13:14], off
	s_wait_alu 0xfffe
	s_and_not1_b32 exec_lo, exec_lo, s2
	s_cbranch_execnz .LBB282_125
.LBB282_126:
	s_wait_alu 0xfffe
	s_or_b32 exec_lo, exec_lo, s1
	v_cmp_eq_u32_e32 vcc_lo, 0, v0
	s_and_b32 s0, vcc_lo, s12
	s_wait_alu 0xfffe
	s_and_saveexec_b32 s1, s0
	s_cbranch_execz .LBB282_105
.LBB282_127:
	v_add_co_u32 v0, vcc_lo, v11, v9
	s_wait_alu 0xfffd
	v_add_co_ci_u32_e64 v1, null, v12, v10, vcc_lo
	v_mov_b32_e32 v2, 0
	s_delay_alu instid0(VALU_DEP_3) | instskip(SKIP_1) | instid1(VALU_DEP_3)
	v_add_co_u32 v0, vcc_lo, v0, s10
	s_wait_alu 0xfffd
	v_add_co_ci_u32_e64 v1, null, s11, v1, vcc_lo
	global_store_b64 v2, v[0:1], s[8:9]
	s_endpgm
.LBB282_128:
	v_lshlrev_b32_e32 v3, 3, v0
	s_delay_alu instid0(VALU_DEP_1)
	v_add_co_u32 v3, s14, s2, v3
	s_wait_alu 0xf1ff
	v_add_co_ci_u32_e64 v4, null, s3, 0, s14
	flat_load_b64 v[3:4], v[3:4] offset:2048
	s_wait_alu 0xfffe
	s_or_b32 exec_lo, exec_lo, s6
	s_delay_alu instid0(SALU_CYCLE_1)
	s_mov_b32 s6, exec_lo
	v_cmpx_gt_u32_e64 s7, v11
	s_cbranch_execz .LBB282_7
.LBB282_129:
	v_lshlrev_b32_e32 v5, 3, v0
	s_delay_alu instid0(VALU_DEP_1)
	v_add_co_u32 v5, s14, s2, v5
	s_wait_alu 0xf1ff
	v_add_co_ci_u32_e64 v6, null, s3, 0, s14
	flat_load_b64 v[5:6], v[5:6] offset:4096
	s_wait_alu 0xfffe
	s_or_b32 exec_lo, exec_lo, s6
	s_delay_alu instid0(SALU_CYCLE_1)
	s_mov_b32 s6, exec_lo
	v_cmpx_gt_u32_e64 s7, v10
	s_cbranch_execnz .LBB282_8
	s_branch .LBB282_9
	.section	.rodata,"a",@progbits
	.p2align	6, 0x0
	.amdhsa_kernel _ZN7rocprim17ROCPRIM_400000_NS6detail17trampoline_kernelINS0_14default_configENS1_25partition_config_selectorILNS1_17partition_subalgoE6EdNS0_10empty_typeEbEEZZNS1_14partition_implILS5_6ELb0ES3_mN6thrust23THRUST_200600_302600_NS6detail15normal_iteratorINSA_10device_ptrIdEEEEPS6_SG_NS0_5tupleIJSF_S6_EEENSH_IJSG_SG_EEES6_PlJNSB_9not_fun_tINSB_14equal_to_valueIdEEEEEEE10hipError_tPvRmT3_T4_T5_T6_T7_T9_mT8_P12ihipStream_tbDpT10_ENKUlT_T0_E_clISt17integral_constantIbLb0EES18_EEDaS13_S14_EUlS13_E_NS1_11comp_targetILNS1_3genE10ELNS1_11target_archE1200ELNS1_3gpuE4ELNS1_3repE0EEENS1_30default_config_static_selectorELNS0_4arch9wavefront6targetE0EEEvT1_
		.amdhsa_group_segment_fixed_size 8464
		.amdhsa_private_segment_fixed_size 0
		.amdhsa_kernarg_size 120
		.amdhsa_user_sgpr_count 2
		.amdhsa_user_sgpr_dispatch_ptr 0
		.amdhsa_user_sgpr_queue_ptr 0
		.amdhsa_user_sgpr_kernarg_segment_ptr 1
		.amdhsa_user_sgpr_dispatch_id 0
		.amdhsa_user_sgpr_private_segment_size 0
		.amdhsa_wavefront_size32 1
		.amdhsa_uses_dynamic_stack 0
		.amdhsa_enable_private_segment 0
		.amdhsa_system_sgpr_workgroup_id_x 1
		.amdhsa_system_sgpr_workgroup_id_y 0
		.amdhsa_system_sgpr_workgroup_id_z 0
		.amdhsa_system_sgpr_workgroup_info 0
		.amdhsa_system_vgpr_workitem_id 0
		.amdhsa_next_free_vgpr 46
		.amdhsa_next_free_sgpr 22
		.amdhsa_reserve_vcc 1
		.amdhsa_float_round_mode_32 0
		.amdhsa_float_round_mode_16_64 0
		.amdhsa_float_denorm_mode_32 3
		.amdhsa_float_denorm_mode_16_64 3
		.amdhsa_fp16_overflow 0
		.amdhsa_workgroup_processor_mode 1
		.amdhsa_memory_ordered 1
		.amdhsa_forward_progress 1
		.amdhsa_inst_pref_size 50
		.amdhsa_round_robin_scheduling 0
		.amdhsa_exception_fp_ieee_invalid_op 0
		.amdhsa_exception_fp_denorm_src 0
		.amdhsa_exception_fp_ieee_div_zero 0
		.amdhsa_exception_fp_ieee_overflow 0
		.amdhsa_exception_fp_ieee_underflow 0
		.amdhsa_exception_fp_ieee_inexact 0
		.amdhsa_exception_int_div_zero 0
	.end_amdhsa_kernel
	.section	.text._ZN7rocprim17ROCPRIM_400000_NS6detail17trampoline_kernelINS0_14default_configENS1_25partition_config_selectorILNS1_17partition_subalgoE6EdNS0_10empty_typeEbEEZZNS1_14partition_implILS5_6ELb0ES3_mN6thrust23THRUST_200600_302600_NS6detail15normal_iteratorINSA_10device_ptrIdEEEEPS6_SG_NS0_5tupleIJSF_S6_EEENSH_IJSG_SG_EEES6_PlJNSB_9not_fun_tINSB_14equal_to_valueIdEEEEEEE10hipError_tPvRmT3_T4_T5_T6_T7_T9_mT8_P12ihipStream_tbDpT10_ENKUlT_T0_E_clISt17integral_constantIbLb0EES18_EEDaS13_S14_EUlS13_E_NS1_11comp_targetILNS1_3genE10ELNS1_11target_archE1200ELNS1_3gpuE4ELNS1_3repE0EEENS1_30default_config_static_selectorELNS0_4arch9wavefront6targetE0EEEvT1_,"axG",@progbits,_ZN7rocprim17ROCPRIM_400000_NS6detail17trampoline_kernelINS0_14default_configENS1_25partition_config_selectorILNS1_17partition_subalgoE6EdNS0_10empty_typeEbEEZZNS1_14partition_implILS5_6ELb0ES3_mN6thrust23THRUST_200600_302600_NS6detail15normal_iteratorINSA_10device_ptrIdEEEEPS6_SG_NS0_5tupleIJSF_S6_EEENSH_IJSG_SG_EEES6_PlJNSB_9not_fun_tINSB_14equal_to_valueIdEEEEEEE10hipError_tPvRmT3_T4_T5_T6_T7_T9_mT8_P12ihipStream_tbDpT10_ENKUlT_T0_E_clISt17integral_constantIbLb0EES18_EEDaS13_S14_EUlS13_E_NS1_11comp_targetILNS1_3genE10ELNS1_11target_archE1200ELNS1_3gpuE4ELNS1_3repE0EEENS1_30default_config_static_selectorELNS0_4arch9wavefront6targetE0EEEvT1_,comdat
.Lfunc_end282:
	.size	_ZN7rocprim17ROCPRIM_400000_NS6detail17trampoline_kernelINS0_14default_configENS1_25partition_config_selectorILNS1_17partition_subalgoE6EdNS0_10empty_typeEbEEZZNS1_14partition_implILS5_6ELb0ES3_mN6thrust23THRUST_200600_302600_NS6detail15normal_iteratorINSA_10device_ptrIdEEEEPS6_SG_NS0_5tupleIJSF_S6_EEENSH_IJSG_SG_EEES6_PlJNSB_9not_fun_tINSB_14equal_to_valueIdEEEEEEE10hipError_tPvRmT3_T4_T5_T6_T7_T9_mT8_P12ihipStream_tbDpT10_ENKUlT_T0_E_clISt17integral_constantIbLb0EES18_EEDaS13_S14_EUlS13_E_NS1_11comp_targetILNS1_3genE10ELNS1_11target_archE1200ELNS1_3gpuE4ELNS1_3repE0EEENS1_30default_config_static_selectorELNS0_4arch9wavefront6targetE0EEEvT1_, .Lfunc_end282-_ZN7rocprim17ROCPRIM_400000_NS6detail17trampoline_kernelINS0_14default_configENS1_25partition_config_selectorILNS1_17partition_subalgoE6EdNS0_10empty_typeEbEEZZNS1_14partition_implILS5_6ELb0ES3_mN6thrust23THRUST_200600_302600_NS6detail15normal_iteratorINSA_10device_ptrIdEEEEPS6_SG_NS0_5tupleIJSF_S6_EEENSH_IJSG_SG_EEES6_PlJNSB_9not_fun_tINSB_14equal_to_valueIdEEEEEEE10hipError_tPvRmT3_T4_T5_T6_T7_T9_mT8_P12ihipStream_tbDpT10_ENKUlT_T0_E_clISt17integral_constantIbLb0EES18_EEDaS13_S14_EUlS13_E_NS1_11comp_targetILNS1_3genE10ELNS1_11target_archE1200ELNS1_3gpuE4ELNS1_3repE0EEENS1_30default_config_static_selectorELNS0_4arch9wavefront6targetE0EEEvT1_
                                        ; -- End function
	.set _ZN7rocprim17ROCPRIM_400000_NS6detail17trampoline_kernelINS0_14default_configENS1_25partition_config_selectorILNS1_17partition_subalgoE6EdNS0_10empty_typeEbEEZZNS1_14partition_implILS5_6ELb0ES3_mN6thrust23THRUST_200600_302600_NS6detail15normal_iteratorINSA_10device_ptrIdEEEEPS6_SG_NS0_5tupleIJSF_S6_EEENSH_IJSG_SG_EEES6_PlJNSB_9not_fun_tINSB_14equal_to_valueIdEEEEEEE10hipError_tPvRmT3_T4_T5_T6_T7_T9_mT8_P12ihipStream_tbDpT10_ENKUlT_T0_E_clISt17integral_constantIbLb0EES18_EEDaS13_S14_EUlS13_E_NS1_11comp_targetILNS1_3genE10ELNS1_11target_archE1200ELNS1_3gpuE4ELNS1_3repE0EEENS1_30default_config_static_selectorELNS0_4arch9wavefront6targetE0EEEvT1_.num_vgpr, 46
	.set _ZN7rocprim17ROCPRIM_400000_NS6detail17trampoline_kernelINS0_14default_configENS1_25partition_config_selectorILNS1_17partition_subalgoE6EdNS0_10empty_typeEbEEZZNS1_14partition_implILS5_6ELb0ES3_mN6thrust23THRUST_200600_302600_NS6detail15normal_iteratorINSA_10device_ptrIdEEEEPS6_SG_NS0_5tupleIJSF_S6_EEENSH_IJSG_SG_EEES6_PlJNSB_9not_fun_tINSB_14equal_to_valueIdEEEEEEE10hipError_tPvRmT3_T4_T5_T6_T7_T9_mT8_P12ihipStream_tbDpT10_ENKUlT_T0_E_clISt17integral_constantIbLb0EES18_EEDaS13_S14_EUlS13_E_NS1_11comp_targetILNS1_3genE10ELNS1_11target_archE1200ELNS1_3gpuE4ELNS1_3repE0EEENS1_30default_config_static_selectorELNS0_4arch9wavefront6targetE0EEEvT1_.num_agpr, 0
	.set _ZN7rocprim17ROCPRIM_400000_NS6detail17trampoline_kernelINS0_14default_configENS1_25partition_config_selectorILNS1_17partition_subalgoE6EdNS0_10empty_typeEbEEZZNS1_14partition_implILS5_6ELb0ES3_mN6thrust23THRUST_200600_302600_NS6detail15normal_iteratorINSA_10device_ptrIdEEEEPS6_SG_NS0_5tupleIJSF_S6_EEENSH_IJSG_SG_EEES6_PlJNSB_9not_fun_tINSB_14equal_to_valueIdEEEEEEE10hipError_tPvRmT3_T4_T5_T6_T7_T9_mT8_P12ihipStream_tbDpT10_ENKUlT_T0_E_clISt17integral_constantIbLb0EES18_EEDaS13_S14_EUlS13_E_NS1_11comp_targetILNS1_3genE10ELNS1_11target_archE1200ELNS1_3gpuE4ELNS1_3repE0EEENS1_30default_config_static_selectorELNS0_4arch9wavefront6targetE0EEEvT1_.numbered_sgpr, 22
	.set _ZN7rocprim17ROCPRIM_400000_NS6detail17trampoline_kernelINS0_14default_configENS1_25partition_config_selectorILNS1_17partition_subalgoE6EdNS0_10empty_typeEbEEZZNS1_14partition_implILS5_6ELb0ES3_mN6thrust23THRUST_200600_302600_NS6detail15normal_iteratorINSA_10device_ptrIdEEEEPS6_SG_NS0_5tupleIJSF_S6_EEENSH_IJSG_SG_EEES6_PlJNSB_9not_fun_tINSB_14equal_to_valueIdEEEEEEE10hipError_tPvRmT3_T4_T5_T6_T7_T9_mT8_P12ihipStream_tbDpT10_ENKUlT_T0_E_clISt17integral_constantIbLb0EES18_EEDaS13_S14_EUlS13_E_NS1_11comp_targetILNS1_3genE10ELNS1_11target_archE1200ELNS1_3gpuE4ELNS1_3repE0EEENS1_30default_config_static_selectorELNS0_4arch9wavefront6targetE0EEEvT1_.num_named_barrier, 0
	.set _ZN7rocprim17ROCPRIM_400000_NS6detail17trampoline_kernelINS0_14default_configENS1_25partition_config_selectorILNS1_17partition_subalgoE6EdNS0_10empty_typeEbEEZZNS1_14partition_implILS5_6ELb0ES3_mN6thrust23THRUST_200600_302600_NS6detail15normal_iteratorINSA_10device_ptrIdEEEEPS6_SG_NS0_5tupleIJSF_S6_EEENSH_IJSG_SG_EEES6_PlJNSB_9not_fun_tINSB_14equal_to_valueIdEEEEEEE10hipError_tPvRmT3_T4_T5_T6_T7_T9_mT8_P12ihipStream_tbDpT10_ENKUlT_T0_E_clISt17integral_constantIbLb0EES18_EEDaS13_S14_EUlS13_E_NS1_11comp_targetILNS1_3genE10ELNS1_11target_archE1200ELNS1_3gpuE4ELNS1_3repE0EEENS1_30default_config_static_selectorELNS0_4arch9wavefront6targetE0EEEvT1_.private_seg_size, 0
	.set _ZN7rocprim17ROCPRIM_400000_NS6detail17trampoline_kernelINS0_14default_configENS1_25partition_config_selectorILNS1_17partition_subalgoE6EdNS0_10empty_typeEbEEZZNS1_14partition_implILS5_6ELb0ES3_mN6thrust23THRUST_200600_302600_NS6detail15normal_iteratorINSA_10device_ptrIdEEEEPS6_SG_NS0_5tupleIJSF_S6_EEENSH_IJSG_SG_EEES6_PlJNSB_9not_fun_tINSB_14equal_to_valueIdEEEEEEE10hipError_tPvRmT3_T4_T5_T6_T7_T9_mT8_P12ihipStream_tbDpT10_ENKUlT_T0_E_clISt17integral_constantIbLb0EES18_EEDaS13_S14_EUlS13_E_NS1_11comp_targetILNS1_3genE10ELNS1_11target_archE1200ELNS1_3gpuE4ELNS1_3repE0EEENS1_30default_config_static_selectorELNS0_4arch9wavefront6targetE0EEEvT1_.uses_vcc, 1
	.set _ZN7rocprim17ROCPRIM_400000_NS6detail17trampoline_kernelINS0_14default_configENS1_25partition_config_selectorILNS1_17partition_subalgoE6EdNS0_10empty_typeEbEEZZNS1_14partition_implILS5_6ELb0ES3_mN6thrust23THRUST_200600_302600_NS6detail15normal_iteratorINSA_10device_ptrIdEEEEPS6_SG_NS0_5tupleIJSF_S6_EEENSH_IJSG_SG_EEES6_PlJNSB_9not_fun_tINSB_14equal_to_valueIdEEEEEEE10hipError_tPvRmT3_T4_T5_T6_T7_T9_mT8_P12ihipStream_tbDpT10_ENKUlT_T0_E_clISt17integral_constantIbLb0EES18_EEDaS13_S14_EUlS13_E_NS1_11comp_targetILNS1_3genE10ELNS1_11target_archE1200ELNS1_3gpuE4ELNS1_3repE0EEENS1_30default_config_static_selectorELNS0_4arch9wavefront6targetE0EEEvT1_.uses_flat_scratch, 1
	.set _ZN7rocprim17ROCPRIM_400000_NS6detail17trampoline_kernelINS0_14default_configENS1_25partition_config_selectorILNS1_17partition_subalgoE6EdNS0_10empty_typeEbEEZZNS1_14partition_implILS5_6ELb0ES3_mN6thrust23THRUST_200600_302600_NS6detail15normal_iteratorINSA_10device_ptrIdEEEEPS6_SG_NS0_5tupleIJSF_S6_EEENSH_IJSG_SG_EEES6_PlJNSB_9not_fun_tINSB_14equal_to_valueIdEEEEEEE10hipError_tPvRmT3_T4_T5_T6_T7_T9_mT8_P12ihipStream_tbDpT10_ENKUlT_T0_E_clISt17integral_constantIbLb0EES18_EEDaS13_S14_EUlS13_E_NS1_11comp_targetILNS1_3genE10ELNS1_11target_archE1200ELNS1_3gpuE4ELNS1_3repE0EEENS1_30default_config_static_selectorELNS0_4arch9wavefront6targetE0EEEvT1_.has_dyn_sized_stack, 0
	.set _ZN7rocprim17ROCPRIM_400000_NS6detail17trampoline_kernelINS0_14default_configENS1_25partition_config_selectorILNS1_17partition_subalgoE6EdNS0_10empty_typeEbEEZZNS1_14partition_implILS5_6ELb0ES3_mN6thrust23THRUST_200600_302600_NS6detail15normal_iteratorINSA_10device_ptrIdEEEEPS6_SG_NS0_5tupleIJSF_S6_EEENSH_IJSG_SG_EEES6_PlJNSB_9not_fun_tINSB_14equal_to_valueIdEEEEEEE10hipError_tPvRmT3_T4_T5_T6_T7_T9_mT8_P12ihipStream_tbDpT10_ENKUlT_T0_E_clISt17integral_constantIbLb0EES18_EEDaS13_S14_EUlS13_E_NS1_11comp_targetILNS1_3genE10ELNS1_11target_archE1200ELNS1_3gpuE4ELNS1_3repE0EEENS1_30default_config_static_selectorELNS0_4arch9wavefront6targetE0EEEvT1_.has_recursion, 0
	.set _ZN7rocprim17ROCPRIM_400000_NS6detail17trampoline_kernelINS0_14default_configENS1_25partition_config_selectorILNS1_17partition_subalgoE6EdNS0_10empty_typeEbEEZZNS1_14partition_implILS5_6ELb0ES3_mN6thrust23THRUST_200600_302600_NS6detail15normal_iteratorINSA_10device_ptrIdEEEEPS6_SG_NS0_5tupleIJSF_S6_EEENSH_IJSG_SG_EEES6_PlJNSB_9not_fun_tINSB_14equal_to_valueIdEEEEEEE10hipError_tPvRmT3_T4_T5_T6_T7_T9_mT8_P12ihipStream_tbDpT10_ENKUlT_T0_E_clISt17integral_constantIbLb0EES18_EEDaS13_S14_EUlS13_E_NS1_11comp_targetILNS1_3genE10ELNS1_11target_archE1200ELNS1_3gpuE4ELNS1_3repE0EEENS1_30default_config_static_selectorELNS0_4arch9wavefront6targetE0EEEvT1_.has_indirect_call, 0
	.section	.AMDGPU.csdata,"",@progbits
; Kernel info:
; codeLenInByte = 6368
; TotalNumSgprs: 24
; NumVgprs: 46
; ScratchSize: 0
; MemoryBound: 0
; FloatMode: 240
; IeeeMode: 1
; LDSByteSize: 8464 bytes/workgroup (compile time only)
; SGPRBlocks: 0
; VGPRBlocks: 5
; NumSGPRsForWavesPerEU: 24
; NumVGPRsForWavesPerEU: 46
; Occupancy: 16
; WaveLimiterHint : 1
; COMPUTE_PGM_RSRC2:SCRATCH_EN: 0
; COMPUTE_PGM_RSRC2:USER_SGPR: 2
; COMPUTE_PGM_RSRC2:TRAP_HANDLER: 0
; COMPUTE_PGM_RSRC2:TGID_X_EN: 1
; COMPUTE_PGM_RSRC2:TGID_Y_EN: 0
; COMPUTE_PGM_RSRC2:TGID_Z_EN: 0
; COMPUTE_PGM_RSRC2:TIDIG_COMP_CNT: 0
	.section	.text._ZN7rocprim17ROCPRIM_400000_NS6detail17trampoline_kernelINS0_14default_configENS1_25partition_config_selectorILNS1_17partition_subalgoE6EdNS0_10empty_typeEbEEZZNS1_14partition_implILS5_6ELb0ES3_mN6thrust23THRUST_200600_302600_NS6detail15normal_iteratorINSA_10device_ptrIdEEEEPS6_SG_NS0_5tupleIJSF_S6_EEENSH_IJSG_SG_EEES6_PlJNSB_9not_fun_tINSB_14equal_to_valueIdEEEEEEE10hipError_tPvRmT3_T4_T5_T6_T7_T9_mT8_P12ihipStream_tbDpT10_ENKUlT_T0_E_clISt17integral_constantIbLb0EES18_EEDaS13_S14_EUlS13_E_NS1_11comp_targetILNS1_3genE9ELNS1_11target_archE1100ELNS1_3gpuE3ELNS1_3repE0EEENS1_30default_config_static_selectorELNS0_4arch9wavefront6targetE0EEEvT1_,"axG",@progbits,_ZN7rocprim17ROCPRIM_400000_NS6detail17trampoline_kernelINS0_14default_configENS1_25partition_config_selectorILNS1_17partition_subalgoE6EdNS0_10empty_typeEbEEZZNS1_14partition_implILS5_6ELb0ES3_mN6thrust23THRUST_200600_302600_NS6detail15normal_iteratorINSA_10device_ptrIdEEEEPS6_SG_NS0_5tupleIJSF_S6_EEENSH_IJSG_SG_EEES6_PlJNSB_9not_fun_tINSB_14equal_to_valueIdEEEEEEE10hipError_tPvRmT3_T4_T5_T6_T7_T9_mT8_P12ihipStream_tbDpT10_ENKUlT_T0_E_clISt17integral_constantIbLb0EES18_EEDaS13_S14_EUlS13_E_NS1_11comp_targetILNS1_3genE9ELNS1_11target_archE1100ELNS1_3gpuE3ELNS1_3repE0EEENS1_30default_config_static_selectorELNS0_4arch9wavefront6targetE0EEEvT1_,comdat
	.protected	_ZN7rocprim17ROCPRIM_400000_NS6detail17trampoline_kernelINS0_14default_configENS1_25partition_config_selectorILNS1_17partition_subalgoE6EdNS0_10empty_typeEbEEZZNS1_14partition_implILS5_6ELb0ES3_mN6thrust23THRUST_200600_302600_NS6detail15normal_iteratorINSA_10device_ptrIdEEEEPS6_SG_NS0_5tupleIJSF_S6_EEENSH_IJSG_SG_EEES6_PlJNSB_9not_fun_tINSB_14equal_to_valueIdEEEEEEE10hipError_tPvRmT3_T4_T5_T6_T7_T9_mT8_P12ihipStream_tbDpT10_ENKUlT_T0_E_clISt17integral_constantIbLb0EES18_EEDaS13_S14_EUlS13_E_NS1_11comp_targetILNS1_3genE9ELNS1_11target_archE1100ELNS1_3gpuE3ELNS1_3repE0EEENS1_30default_config_static_selectorELNS0_4arch9wavefront6targetE0EEEvT1_ ; -- Begin function _ZN7rocprim17ROCPRIM_400000_NS6detail17trampoline_kernelINS0_14default_configENS1_25partition_config_selectorILNS1_17partition_subalgoE6EdNS0_10empty_typeEbEEZZNS1_14partition_implILS5_6ELb0ES3_mN6thrust23THRUST_200600_302600_NS6detail15normal_iteratorINSA_10device_ptrIdEEEEPS6_SG_NS0_5tupleIJSF_S6_EEENSH_IJSG_SG_EEES6_PlJNSB_9not_fun_tINSB_14equal_to_valueIdEEEEEEE10hipError_tPvRmT3_T4_T5_T6_T7_T9_mT8_P12ihipStream_tbDpT10_ENKUlT_T0_E_clISt17integral_constantIbLb0EES18_EEDaS13_S14_EUlS13_E_NS1_11comp_targetILNS1_3genE9ELNS1_11target_archE1100ELNS1_3gpuE3ELNS1_3repE0EEENS1_30default_config_static_selectorELNS0_4arch9wavefront6targetE0EEEvT1_
	.globl	_ZN7rocprim17ROCPRIM_400000_NS6detail17trampoline_kernelINS0_14default_configENS1_25partition_config_selectorILNS1_17partition_subalgoE6EdNS0_10empty_typeEbEEZZNS1_14partition_implILS5_6ELb0ES3_mN6thrust23THRUST_200600_302600_NS6detail15normal_iteratorINSA_10device_ptrIdEEEEPS6_SG_NS0_5tupleIJSF_S6_EEENSH_IJSG_SG_EEES6_PlJNSB_9not_fun_tINSB_14equal_to_valueIdEEEEEEE10hipError_tPvRmT3_T4_T5_T6_T7_T9_mT8_P12ihipStream_tbDpT10_ENKUlT_T0_E_clISt17integral_constantIbLb0EES18_EEDaS13_S14_EUlS13_E_NS1_11comp_targetILNS1_3genE9ELNS1_11target_archE1100ELNS1_3gpuE3ELNS1_3repE0EEENS1_30default_config_static_selectorELNS0_4arch9wavefront6targetE0EEEvT1_
	.p2align	8
	.type	_ZN7rocprim17ROCPRIM_400000_NS6detail17trampoline_kernelINS0_14default_configENS1_25partition_config_selectorILNS1_17partition_subalgoE6EdNS0_10empty_typeEbEEZZNS1_14partition_implILS5_6ELb0ES3_mN6thrust23THRUST_200600_302600_NS6detail15normal_iteratorINSA_10device_ptrIdEEEEPS6_SG_NS0_5tupleIJSF_S6_EEENSH_IJSG_SG_EEES6_PlJNSB_9not_fun_tINSB_14equal_to_valueIdEEEEEEE10hipError_tPvRmT3_T4_T5_T6_T7_T9_mT8_P12ihipStream_tbDpT10_ENKUlT_T0_E_clISt17integral_constantIbLb0EES18_EEDaS13_S14_EUlS13_E_NS1_11comp_targetILNS1_3genE9ELNS1_11target_archE1100ELNS1_3gpuE3ELNS1_3repE0EEENS1_30default_config_static_selectorELNS0_4arch9wavefront6targetE0EEEvT1_,@function
_ZN7rocprim17ROCPRIM_400000_NS6detail17trampoline_kernelINS0_14default_configENS1_25partition_config_selectorILNS1_17partition_subalgoE6EdNS0_10empty_typeEbEEZZNS1_14partition_implILS5_6ELb0ES3_mN6thrust23THRUST_200600_302600_NS6detail15normal_iteratorINSA_10device_ptrIdEEEEPS6_SG_NS0_5tupleIJSF_S6_EEENSH_IJSG_SG_EEES6_PlJNSB_9not_fun_tINSB_14equal_to_valueIdEEEEEEE10hipError_tPvRmT3_T4_T5_T6_T7_T9_mT8_P12ihipStream_tbDpT10_ENKUlT_T0_E_clISt17integral_constantIbLb0EES18_EEDaS13_S14_EUlS13_E_NS1_11comp_targetILNS1_3genE9ELNS1_11target_archE1100ELNS1_3gpuE3ELNS1_3repE0EEENS1_30default_config_static_selectorELNS0_4arch9wavefront6targetE0EEEvT1_: ; @_ZN7rocprim17ROCPRIM_400000_NS6detail17trampoline_kernelINS0_14default_configENS1_25partition_config_selectorILNS1_17partition_subalgoE6EdNS0_10empty_typeEbEEZZNS1_14partition_implILS5_6ELb0ES3_mN6thrust23THRUST_200600_302600_NS6detail15normal_iteratorINSA_10device_ptrIdEEEEPS6_SG_NS0_5tupleIJSF_S6_EEENSH_IJSG_SG_EEES6_PlJNSB_9not_fun_tINSB_14equal_to_valueIdEEEEEEE10hipError_tPvRmT3_T4_T5_T6_T7_T9_mT8_P12ihipStream_tbDpT10_ENKUlT_T0_E_clISt17integral_constantIbLb0EES18_EEDaS13_S14_EUlS13_E_NS1_11comp_targetILNS1_3genE9ELNS1_11target_archE1100ELNS1_3gpuE3ELNS1_3repE0EEENS1_30default_config_static_selectorELNS0_4arch9wavefront6targetE0EEEvT1_
; %bb.0:
	.section	.rodata,"a",@progbits
	.p2align	6, 0x0
	.amdhsa_kernel _ZN7rocprim17ROCPRIM_400000_NS6detail17trampoline_kernelINS0_14default_configENS1_25partition_config_selectorILNS1_17partition_subalgoE6EdNS0_10empty_typeEbEEZZNS1_14partition_implILS5_6ELb0ES3_mN6thrust23THRUST_200600_302600_NS6detail15normal_iteratorINSA_10device_ptrIdEEEEPS6_SG_NS0_5tupleIJSF_S6_EEENSH_IJSG_SG_EEES6_PlJNSB_9not_fun_tINSB_14equal_to_valueIdEEEEEEE10hipError_tPvRmT3_T4_T5_T6_T7_T9_mT8_P12ihipStream_tbDpT10_ENKUlT_T0_E_clISt17integral_constantIbLb0EES18_EEDaS13_S14_EUlS13_E_NS1_11comp_targetILNS1_3genE9ELNS1_11target_archE1100ELNS1_3gpuE3ELNS1_3repE0EEENS1_30default_config_static_selectorELNS0_4arch9wavefront6targetE0EEEvT1_
		.amdhsa_group_segment_fixed_size 0
		.amdhsa_private_segment_fixed_size 0
		.amdhsa_kernarg_size 120
		.amdhsa_user_sgpr_count 2
		.amdhsa_user_sgpr_dispatch_ptr 0
		.amdhsa_user_sgpr_queue_ptr 0
		.amdhsa_user_sgpr_kernarg_segment_ptr 1
		.amdhsa_user_sgpr_dispatch_id 0
		.amdhsa_user_sgpr_private_segment_size 0
		.amdhsa_wavefront_size32 1
		.amdhsa_uses_dynamic_stack 0
		.amdhsa_enable_private_segment 0
		.amdhsa_system_sgpr_workgroup_id_x 1
		.amdhsa_system_sgpr_workgroup_id_y 0
		.amdhsa_system_sgpr_workgroup_id_z 0
		.amdhsa_system_sgpr_workgroup_info 0
		.amdhsa_system_vgpr_workitem_id 0
		.amdhsa_next_free_vgpr 1
		.amdhsa_next_free_sgpr 1
		.amdhsa_reserve_vcc 0
		.amdhsa_float_round_mode_32 0
		.amdhsa_float_round_mode_16_64 0
		.amdhsa_float_denorm_mode_32 3
		.amdhsa_float_denorm_mode_16_64 3
		.amdhsa_fp16_overflow 0
		.amdhsa_workgroup_processor_mode 1
		.amdhsa_memory_ordered 1
		.amdhsa_forward_progress 1
		.amdhsa_inst_pref_size 0
		.amdhsa_round_robin_scheduling 0
		.amdhsa_exception_fp_ieee_invalid_op 0
		.amdhsa_exception_fp_denorm_src 0
		.amdhsa_exception_fp_ieee_div_zero 0
		.amdhsa_exception_fp_ieee_overflow 0
		.amdhsa_exception_fp_ieee_underflow 0
		.amdhsa_exception_fp_ieee_inexact 0
		.amdhsa_exception_int_div_zero 0
	.end_amdhsa_kernel
	.section	.text._ZN7rocprim17ROCPRIM_400000_NS6detail17trampoline_kernelINS0_14default_configENS1_25partition_config_selectorILNS1_17partition_subalgoE6EdNS0_10empty_typeEbEEZZNS1_14partition_implILS5_6ELb0ES3_mN6thrust23THRUST_200600_302600_NS6detail15normal_iteratorINSA_10device_ptrIdEEEEPS6_SG_NS0_5tupleIJSF_S6_EEENSH_IJSG_SG_EEES6_PlJNSB_9not_fun_tINSB_14equal_to_valueIdEEEEEEE10hipError_tPvRmT3_T4_T5_T6_T7_T9_mT8_P12ihipStream_tbDpT10_ENKUlT_T0_E_clISt17integral_constantIbLb0EES18_EEDaS13_S14_EUlS13_E_NS1_11comp_targetILNS1_3genE9ELNS1_11target_archE1100ELNS1_3gpuE3ELNS1_3repE0EEENS1_30default_config_static_selectorELNS0_4arch9wavefront6targetE0EEEvT1_,"axG",@progbits,_ZN7rocprim17ROCPRIM_400000_NS6detail17trampoline_kernelINS0_14default_configENS1_25partition_config_selectorILNS1_17partition_subalgoE6EdNS0_10empty_typeEbEEZZNS1_14partition_implILS5_6ELb0ES3_mN6thrust23THRUST_200600_302600_NS6detail15normal_iteratorINSA_10device_ptrIdEEEEPS6_SG_NS0_5tupleIJSF_S6_EEENSH_IJSG_SG_EEES6_PlJNSB_9not_fun_tINSB_14equal_to_valueIdEEEEEEE10hipError_tPvRmT3_T4_T5_T6_T7_T9_mT8_P12ihipStream_tbDpT10_ENKUlT_T0_E_clISt17integral_constantIbLb0EES18_EEDaS13_S14_EUlS13_E_NS1_11comp_targetILNS1_3genE9ELNS1_11target_archE1100ELNS1_3gpuE3ELNS1_3repE0EEENS1_30default_config_static_selectorELNS0_4arch9wavefront6targetE0EEEvT1_,comdat
.Lfunc_end283:
	.size	_ZN7rocprim17ROCPRIM_400000_NS6detail17trampoline_kernelINS0_14default_configENS1_25partition_config_selectorILNS1_17partition_subalgoE6EdNS0_10empty_typeEbEEZZNS1_14partition_implILS5_6ELb0ES3_mN6thrust23THRUST_200600_302600_NS6detail15normal_iteratorINSA_10device_ptrIdEEEEPS6_SG_NS0_5tupleIJSF_S6_EEENSH_IJSG_SG_EEES6_PlJNSB_9not_fun_tINSB_14equal_to_valueIdEEEEEEE10hipError_tPvRmT3_T4_T5_T6_T7_T9_mT8_P12ihipStream_tbDpT10_ENKUlT_T0_E_clISt17integral_constantIbLb0EES18_EEDaS13_S14_EUlS13_E_NS1_11comp_targetILNS1_3genE9ELNS1_11target_archE1100ELNS1_3gpuE3ELNS1_3repE0EEENS1_30default_config_static_selectorELNS0_4arch9wavefront6targetE0EEEvT1_, .Lfunc_end283-_ZN7rocprim17ROCPRIM_400000_NS6detail17trampoline_kernelINS0_14default_configENS1_25partition_config_selectorILNS1_17partition_subalgoE6EdNS0_10empty_typeEbEEZZNS1_14partition_implILS5_6ELb0ES3_mN6thrust23THRUST_200600_302600_NS6detail15normal_iteratorINSA_10device_ptrIdEEEEPS6_SG_NS0_5tupleIJSF_S6_EEENSH_IJSG_SG_EEES6_PlJNSB_9not_fun_tINSB_14equal_to_valueIdEEEEEEE10hipError_tPvRmT3_T4_T5_T6_T7_T9_mT8_P12ihipStream_tbDpT10_ENKUlT_T0_E_clISt17integral_constantIbLb0EES18_EEDaS13_S14_EUlS13_E_NS1_11comp_targetILNS1_3genE9ELNS1_11target_archE1100ELNS1_3gpuE3ELNS1_3repE0EEENS1_30default_config_static_selectorELNS0_4arch9wavefront6targetE0EEEvT1_
                                        ; -- End function
	.set _ZN7rocprim17ROCPRIM_400000_NS6detail17trampoline_kernelINS0_14default_configENS1_25partition_config_selectorILNS1_17partition_subalgoE6EdNS0_10empty_typeEbEEZZNS1_14partition_implILS5_6ELb0ES3_mN6thrust23THRUST_200600_302600_NS6detail15normal_iteratorINSA_10device_ptrIdEEEEPS6_SG_NS0_5tupleIJSF_S6_EEENSH_IJSG_SG_EEES6_PlJNSB_9not_fun_tINSB_14equal_to_valueIdEEEEEEE10hipError_tPvRmT3_T4_T5_T6_T7_T9_mT8_P12ihipStream_tbDpT10_ENKUlT_T0_E_clISt17integral_constantIbLb0EES18_EEDaS13_S14_EUlS13_E_NS1_11comp_targetILNS1_3genE9ELNS1_11target_archE1100ELNS1_3gpuE3ELNS1_3repE0EEENS1_30default_config_static_selectorELNS0_4arch9wavefront6targetE0EEEvT1_.num_vgpr, 0
	.set _ZN7rocprim17ROCPRIM_400000_NS6detail17trampoline_kernelINS0_14default_configENS1_25partition_config_selectorILNS1_17partition_subalgoE6EdNS0_10empty_typeEbEEZZNS1_14partition_implILS5_6ELb0ES3_mN6thrust23THRUST_200600_302600_NS6detail15normal_iteratorINSA_10device_ptrIdEEEEPS6_SG_NS0_5tupleIJSF_S6_EEENSH_IJSG_SG_EEES6_PlJNSB_9not_fun_tINSB_14equal_to_valueIdEEEEEEE10hipError_tPvRmT3_T4_T5_T6_T7_T9_mT8_P12ihipStream_tbDpT10_ENKUlT_T0_E_clISt17integral_constantIbLb0EES18_EEDaS13_S14_EUlS13_E_NS1_11comp_targetILNS1_3genE9ELNS1_11target_archE1100ELNS1_3gpuE3ELNS1_3repE0EEENS1_30default_config_static_selectorELNS0_4arch9wavefront6targetE0EEEvT1_.num_agpr, 0
	.set _ZN7rocprim17ROCPRIM_400000_NS6detail17trampoline_kernelINS0_14default_configENS1_25partition_config_selectorILNS1_17partition_subalgoE6EdNS0_10empty_typeEbEEZZNS1_14partition_implILS5_6ELb0ES3_mN6thrust23THRUST_200600_302600_NS6detail15normal_iteratorINSA_10device_ptrIdEEEEPS6_SG_NS0_5tupleIJSF_S6_EEENSH_IJSG_SG_EEES6_PlJNSB_9not_fun_tINSB_14equal_to_valueIdEEEEEEE10hipError_tPvRmT3_T4_T5_T6_T7_T9_mT8_P12ihipStream_tbDpT10_ENKUlT_T0_E_clISt17integral_constantIbLb0EES18_EEDaS13_S14_EUlS13_E_NS1_11comp_targetILNS1_3genE9ELNS1_11target_archE1100ELNS1_3gpuE3ELNS1_3repE0EEENS1_30default_config_static_selectorELNS0_4arch9wavefront6targetE0EEEvT1_.numbered_sgpr, 0
	.set _ZN7rocprim17ROCPRIM_400000_NS6detail17trampoline_kernelINS0_14default_configENS1_25partition_config_selectorILNS1_17partition_subalgoE6EdNS0_10empty_typeEbEEZZNS1_14partition_implILS5_6ELb0ES3_mN6thrust23THRUST_200600_302600_NS6detail15normal_iteratorINSA_10device_ptrIdEEEEPS6_SG_NS0_5tupleIJSF_S6_EEENSH_IJSG_SG_EEES6_PlJNSB_9not_fun_tINSB_14equal_to_valueIdEEEEEEE10hipError_tPvRmT3_T4_T5_T6_T7_T9_mT8_P12ihipStream_tbDpT10_ENKUlT_T0_E_clISt17integral_constantIbLb0EES18_EEDaS13_S14_EUlS13_E_NS1_11comp_targetILNS1_3genE9ELNS1_11target_archE1100ELNS1_3gpuE3ELNS1_3repE0EEENS1_30default_config_static_selectorELNS0_4arch9wavefront6targetE0EEEvT1_.num_named_barrier, 0
	.set _ZN7rocprim17ROCPRIM_400000_NS6detail17trampoline_kernelINS0_14default_configENS1_25partition_config_selectorILNS1_17partition_subalgoE6EdNS0_10empty_typeEbEEZZNS1_14partition_implILS5_6ELb0ES3_mN6thrust23THRUST_200600_302600_NS6detail15normal_iteratorINSA_10device_ptrIdEEEEPS6_SG_NS0_5tupleIJSF_S6_EEENSH_IJSG_SG_EEES6_PlJNSB_9not_fun_tINSB_14equal_to_valueIdEEEEEEE10hipError_tPvRmT3_T4_T5_T6_T7_T9_mT8_P12ihipStream_tbDpT10_ENKUlT_T0_E_clISt17integral_constantIbLb0EES18_EEDaS13_S14_EUlS13_E_NS1_11comp_targetILNS1_3genE9ELNS1_11target_archE1100ELNS1_3gpuE3ELNS1_3repE0EEENS1_30default_config_static_selectorELNS0_4arch9wavefront6targetE0EEEvT1_.private_seg_size, 0
	.set _ZN7rocprim17ROCPRIM_400000_NS6detail17trampoline_kernelINS0_14default_configENS1_25partition_config_selectorILNS1_17partition_subalgoE6EdNS0_10empty_typeEbEEZZNS1_14partition_implILS5_6ELb0ES3_mN6thrust23THRUST_200600_302600_NS6detail15normal_iteratorINSA_10device_ptrIdEEEEPS6_SG_NS0_5tupleIJSF_S6_EEENSH_IJSG_SG_EEES6_PlJNSB_9not_fun_tINSB_14equal_to_valueIdEEEEEEE10hipError_tPvRmT3_T4_T5_T6_T7_T9_mT8_P12ihipStream_tbDpT10_ENKUlT_T0_E_clISt17integral_constantIbLb0EES18_EEDaS13_S14_EUlS13_E_NS1_11comp_targetILNS1_3genE9ELNS1_11target_archE1100ELNS1_3gpuE3ELNS1_3repE0EEENS1_30default_config_static_selectorELNS0_4arch9wavefront6targetE0EEEvT1_.uses_vcc, 0
	.set _ZN7rocprim17ROCPRIM_400000_NS6detail17trampoline_kernelINS0_14default_configENS1_25partition_config_selectorILNS1_17partition_subalgoE6EdNS0_10empty_typeEbEEZZNS1_14partition_implILS5_6ELb0ES3_mN6thrust23THRUST_200600_302600_NS6detail15normal_iteratorINSA_10device_ptrIdEEEEPS6_SG_NS0_5tupleIJSF_S6_EEENSH_IJSG_SG_EEES6_PlJNSB_9not_fun_tINSB_14equal_to_valueIdEEEEEEE10hipError_tPvRmT3_T4_T5_T6_T7_T9_mT8_P12ihipStream_tbDpT10_ENKUlT_T0_E_clISt17integral_constantIbLb0EES18_EEDaS13_S14_EUlS13_E_NS1_11comp_targetILNS1_3genE9ELNS1_11target_archE1100ELNS1_3gpuE3ELNS1_3repE0EEENS1_30default_config_static_selectorELNS0_4arch9wavefront6targetE0EEEvT1_.uses_flat_scratch, 0
	.set _ZN7rocprim17ROCPRIM_400000_NS6detail17trampoline_kernelINS0_14default_configENS1_25partition_config_selectorILNS1_17partition_subalgoE6EdNS0_10empty_typeEbEEZZNS1_14partition_implILS5_6ELb0ES3_mN6thrust23THRUST_200600_302600_NS6detail15normal_iteratorINSA_10device_ptrIdEEEEPS6_SG_NS0_5tupleIJSF_S6_EEENSH_IJSG_SG_EEES6_PlJNSB_9not_fun_tINSB_14equal_to_valueIdEEEEEEE10hipError_tPvRmT3_T4_T5_T6_T7_T9_mT8_P12ihipStream_tbDpT10_ENKUlT_T0_E_clISt17integral_constantIbLb0EES18_EEDaS13_S14_EUlS13_E_NS1_11comp_targetILNS1_3genE9ELNS1_11target_archE1100ELNS1_3gpuE3ELNS1_3repE0EEENS1_30default_config_static_selectorELNS0_4arch9wavefront6targetE0EEEvT1_.has_dyn_sized_stack, 0
	.set _ZN7rocprim17ROCPRIM_400000_NS6detail17trampoline_kernelINS0_14default_configENS1_25partition_config_selectorILNS1_17partition_subalgoE6EdNS0_10empty_typeEbEEZZNS1_14partition_implILS5_6ELb0ES3_mN6thrust23THRUST_200600_302600_NS6detail15normal_iteratorINSA_10device_ptrIdEEEEPS6_SG_NS0_5tupleIJSF_S6_EEENSH_IJSG_SG_EEES6_PlJNSB_9not_fun_tINSB_14equal_to_valueIdEEEEEEE10hipError_tPvRmT3_T4_T5_T6_T7_T9_mT8_P12ihipStream_tbDpT10_ENKUlT_T0_E_clISt17integral_constantIbLb0EES18_EEDaS13_S14_EUlS13_E_NS1_11comp_targetILNS1_3genE9ELNS1_11target_archE1100ELNS1_3gpuE3ELNS1_3repE0EEENS1_30default_config_static_selectorELNS0_4arch9wavefront6targetE0EEEvT1_.has_recursion, 0
	.set _ZN7rocprim17ROCPRIM_400000_NS6detail17trampoline_kernelINS0_14default_configENS1_25partition_config_selectorILNS1_17partition_subalgoE6EdNS0_10empty_typeEbEEZZNS1_14partition_implILS5_6ELb0ES3_mN6thrust23THRUST_200600_302600_NS6detail15normal_iteratorINSA_10device_ptrIdEEEEPS6_SG_NS0_5tupleIJSF_S6_EEENSH_IJSG_SG_EEES6_PlJNSB_9not_fun_tINSB_14equal_to_valueIdEEEEEEE10hipError_tPvRmT3_T4_T5_T6_T7_T9_mT8_P12ihipStream_tbDpT10_ENKUlT_T0_E_clISt17integral_constantIbLb0EES18_EEDaS13_S14_EUlS13_E_NS1_11comp_targetILNS1_3genE9ELNS1_11target_archE1100ELNS1_3gpuE3ELNS1_3repE0EEENS1_30default_config_static_selectorELNS0_4arch9wavefront6targetE0EEEvT1_.has_indirect_call, 0
	.section	.AMDGPU.csdata,"",@progbits
; Kernel info:
; codeLenInByte = 0
; TotalNumSgprs: 0
; NumVgprs: 0
; ScratchSize: 0
; MemoryBound: 0
; FloatMode: 240
; IeeeMode: 1
; LDSByteSize: 0 bytes/workgroup (compile time only)
; SGPRBlocks: 0
; VGPRBlocks: 0
; NumSGPRsForWavesPerEU: 1
; NumVGPRsForWavesPerEU: 1
; Occupancy: 16
; WaveLimiterHint : 0
; COMPUTE_PGM_RSRC2:SCRATCH_EN: 0
; COMPUTE_PGM_RSRC2:USER_SGPR: 2
; COMPUTE_PGM_RSRC2:TRAP_HANDLER: 0
; COMPUTE_PGM_RSRC2:TGID_X_EN: 1
; COMPUTE_PGM_RSRC2:TGID_Y_EN: 0
; COMPUTE_PGM_RSRC2:TGID_Z_EN: 0
; COMPUTE_PGM_RSRC2:TIDIG_COMP_CNT: 0
	.section	.text._ZN7rocprim17ROCPRIM_400000_NS6detail17trampoline_kernelINS0_14default_configENS1_25partition_config_selectorILNS1_17partition_subalgoE6EdNS0_10empty_typeEbEEZZNS1_14partition_implILS5_6ELb0ES3_mN6thrust23THRUST_200600_302600_NS6detail15normal_iteratorINSA_10device_ptrIdEEEEPS6_SG_NS0_5tupleIJSF_S6_EEENSH_IJSG_SG_EEES6_PlJNSB_9not_fun_tINSB_14equal_to_valueIdEEEEEEE10hipError_tPvRmT3_T4_T5_T6_T7_T9_mT8_P12ihipStream_tbDpT10_ENKUlT_T0_E_clISt17integral_constantIbLb0EES18_EEDaS13_S14_EUlS13_E_NS1_11comp_targetILNS1_3genE8ELNS1_11target_archE1030ELNS1_3gpuE2ELNS1_3repE0EEENS1_30default_config_static_selectorELNS0_4arch9wavefront6targetE0EEEvT1_,"axG",@progbits,_ZN7rocprim17ROCPRIM_400000_NS6detail17trampoline_kernelINS0_14default_configENS1_25partition_config_selectorILNS1_17partition_subalgoE6EdNS0_10empty_typeEbEEZZNS1_14partition_implILS5_6ELb0ES3_mN6thrust23THRUST_200600_302600_NS6detail15normal_iteratorINSA_10device_ptrIdEEEEPS6_SG_NS0_5tupleIJSF_S6_EEENSH_IJSG_SG_EEES6_PlJNSB_9not_fun_tINSB_14equal_to_valueIdEEEEEEE10hipError_tPvRmT3_T4_T5_T6_T7_T9_mT8_P12ihipStream_tbDpT10_ENKUlT_T0_E_clISt17integral_constantIbLb0EES18_EEDaS13_S14_EUlS13_E_NS1_11comp_targetILNS1_3genE8ELNS1_11target_archE1030ELNS1_3gpuE2ELNS1_3repE0EEENS1_30default_config_static_selectorELNS0_4arch9wavefront6targetE0EEEvT1_,comdat
	.protected	_ZN7rocprim17ROCPRIM_400000_NS6detail17trampoline_kernelINS0_14default_configENS1_25partition_config_selectorILNS1_17partition_subalgoE6EdNS0_10empty_typeEbEEZZNS1_14partition_implILS5_6ELb0ES3_mN6thrust23THRUST_200600_302600_NS6detail15normal_iteratorINSA_10device_ptrIdEEEEPS6_SG_NS0_5tupleIJSF_S6_EEENSH_IJSG_SG_EEES6_PlJNSB_9not_fun_tINSB_14equal_to_valueIdEEEEEEE10hipError_tPvRmT3_T4_T5_T6_T7_T9_mT8_P12ihipStream_tbDpT10_ENKUlT_T0_E_clISt17integral_constantIbLb0EES18_EEDaS13_S14_EUlS13_E_NS1_11comp_targetILNS1_3genE8ELNS1_11target_archE1030ELNS1_3gpuE2ELNS1_3repE0EEENS1_30default_config_static_selectorELNS0_4arch9wavefront6targetE0EEEvT1_ ; -- Begin function _ZN7rocprim17ROCPRIM_400000_NS6detail17trampoline_kernelINS0_14default_configENS1_25partition_config_selectorILNS1_17partition_subalgoE6EdNS0_10empty_typeEbEEZZNS1_14partition_implILS5_6ELb0ES3_mN6thrust23THRUST_200600_302600_NS6detail15normal_iteratorINSA_10device_ptrIdEEEEPS6_SG_NS0_5tupleIJSF_S6_EEENSH_IJSG_SG_EEES6_PlJNSB_9not_fun_tINSB_14equal_to_valueIdEEEEEEE10hipError_tPvRmT3_T4_T5_T6_T7_T9_mT8_P12ihipStream_tbDpT10_ENKUlT_T0_E_clISt17integral_constantIbLb0EES18_EEDaS13_S14_EUlS13_E_NS1_11comp_targetILNS1_3genE8ELNS1_11target_archE1030ELNS1_3gpuE2ELNS1_3repE0EEENS1_30default_config_static_selectorELNS0_4arch9wavefront6targetE0EEEvT1_
	.globl	_ZN7rocprim17ROCPRIM_400000_NS6detail17trampoline_kernelINS0_14default_configENS1_25partition_config_selectorILNS1_17partition_subalgoE6EdNS0_10empty_typeEbEEZZNS1_14partition_implILS5_6ELb0ES3_mN6thrust23THRUST_200600_302600_NS6detail15normal_iteratorINSA_10device_ptrIdEEEEPS6_SG_NS0_5tupleIJSF_S6_EEENSH_IJSG_SG_EEES6_PlJNSB_9not_fun_tINSB_14equal_to_valueIdEEEEEEE10hipError_tPvRmT3_T4_T5_T6_T7_T9_mT8_P12ihipStream_tbDpT10_ENKUlT_T0_E_clISt17integral_constantIbLb0EES18_EEDaS13_S14_EUlS13_E_NS1_11comp_targetILNS1_3genE8ELNS1_11target_archE1030ELNS1_3gpuE2ELNS1_3repE0EEENS1_30default_config_static_selectorELNS0_4arch9wavefront6targetE0EEEvT1_
	.p2align	8
	.type	_ZN7rocprim17ROCPRIM_400000_NS6detail17trampoline_kernelINS0_14default_configENS1_25partition_config_selectorILNS1_17partition_subalgoE6EdNS0_10empty_typeEbEEZZNS1_14partition_implILS5_6ELb0ES3_mN6thrust23THRUST_200600_302600_NS6detail15normal_iteratorINSA_10device_ptrIdEEEEPS6_SG_NS0_5tupleIJSF_S6_EEENSH_IJSG_SG_EEES6_PlJNSB_9not_fun_tINSB_14equal_to_valueIdEEEEEEE10hipError_tPvRmT3_T4_T5_T6_T7_T9_mT8_P12ihipStream_tbDpT10_ENKUlT_T0_E_clISt17integral_constantIbLb0EES18_EEDaS13_S14_EUlS13_E_NS1_11comp_targetILNS1_3genE8ELNS1_11target_archE1030ELNS1_3gpuE2ELNS1_3repE0EEENS1_30default_config_static_selectorELNS0_4arch9wavefront6targetE0EEEvT1_,@function
_ZN7rocprim17ROCPRIM_400000_NS6detail17trampoline_kernelINS0_14default_configENS1_25partition_config_selectorILNS1_17partition_subalgoE6EdNS0_10empty_typeEbEEZZNS1_14partition_implILS5_6ELb0ES3_mN6thrust23THRUST_200600_302600_NS6detail15normal_iteratorINSA_10device_ptrIdEEEEPS6_SG_NS0_5tupleIJSF_S6_EEENSH_IJSG_SG_EEES6_PlJNSB_9not_fun_tINSB_14equal_to_valueIdEEEEEEE10hipError_tPvRmT3_T4_T5_T6_T7_T9_mT8_P12ihipStream_tbDpT10_ENKUlT_T0_E_clISt17integral_constantIbLb0EES18_EEDaS13_S14_EUlS13_E_NS1_11comp_targetILNS1_3genE8ELNS1_11target_archE1030ELNS1_3gpuE2ELNS1_3repE0EEENS1_30default_config_static_selectorELNS0_4arch9wavefront6targetE0EEEvT1_: ; @_ZN7rocprim17ROCPRIM_400000_NS6detail17trampoline_kernelINS0_14default_configENS1_25partition_config_selectorILNS1_17partition_subalgoE6EdNS0_10empty_typeEbEEZZNS1_14partition_implILS5_6ELb0ES3_mN6thrust23THRUST_200600_302600_NS6detail15normal_iteratorINSA_10device_ptrIdEEEEPS6_SG_NS0_5tupleIJSF_S6_EEENSH_IJSG_SG_EEES6_PlJNSB_9not_fun_tINSB_14equal_to_valueIdEEEEEEE10hipError_tPvRmT3_T4_T5_T6_T7_T9_mT8_P12ihipStream_tbDpT10_ENKUlT_T0_E_clISt17integral_constantIbLb0EES18_EEDaS13_S14_EUlS13_E_NS1_11comp_targetILNS1_3genE8ELNS1_11target_archE1030ELNS1_3gpuE2ELNS1_3repE0EEENS1_30default_config_static_selectorELNS0_4arch9wavefront6targetE0EEEvT1_
; %bb.0:
	.section	.rodata,"a",@progbits
	.p2align	6, 0x0
	.amdhsa_kernel _ZN7rocprim17ROCPRIM_400000_NS6detail17trampoline_kernelINS0_14default_configENS1_25partition_config_selectorILNS1_17partition_subalgoE6EdNS0_10empty_typeEbEEZZNS1_14partition_implILS5_6ELb0ES3_mN6thrust23THRUST_200600_302600_NS6detail15normal_iteratorINSA_10device_ptrIdEEEEPS6_SG_NS0_5tupleIJSF_S6_EEENSH_IJSG_SG_EEES6_PlJNSB_9not_fun_tINSB_14equal_to_valueIdEEEEEEE10hipError_tPvRmT3_T4_T5_T6_T7_T9_mT8_P12ihipStream_tbDpT10_ENKUlT_T0_E_clISt17integral_constantIbLb0EES18_EEDaS13_S14_EUlS13_E_NS1_11comp_targetILNS1_3genE8ELNS1_11target_archE1030ELNS1_3gpuE2ELNS1_3repE0EEENS1_30default_config_static_selectorELNS0_4arch9wavefront6targetE0EEEvT1_
		.amdhsa_group_segment_fixed_size 0
		.amdhsa_private_segment_fixed_size 0
		.amdhsa_kernarg_size 120
		.amdhsa_user_sgpr_count 2
		.amdhsa_user_sgpr_dispatch_ptr 0
		.amdhsa_user_sgpr_queue_ptr 0
		.amdhsa_user_sgpr_kernarg_segment_ptr 1
		.amdhsa_user_sgpr_dispatch_id 0
		.amdhsa_user_sgpr_private_segment_size 0
		.amdhsa_wavefront_size32 1
		.amdhsa_uses_dynamic_stack 0
		.amdhsa_enable_private_segment 0
		.amdhsa_system_sgpr_workgroup_id_x 1
		.amdhsa_system_sgpr_workgroup_id_y 0
		.amdhsa_system_sgpr_workgroup_id_z 0
		.amdhsa_system_sgpr_workgroup_info 0
		.amdhsa_system_vgpr_workitem_id 0
		.amdhsa_next_free_vgpr 1
		.amdhsa_next_free_sgpr 1
		.amdhsa_reserve_vcc 0
		.amdhsa_float_round_mode_32 0
		.amdhsa_float_round_mode_16_64 0
		.amdhsa_float_denorm_mode_32 3
		.amdhsa_float_denorm_mode_16_64 3
		.amdhsa_fp16_overflow 0
		.amdhsa_workgroup_processor_mode 1
		.amdhsa_memory_ordered 1
		.amdhsa_forward_progress 1
		.amdhsa_inst_pref_size 0
		.amdhsa_round_robin_scheduling 0
		.amdhsa_exception_fp_ieee_invalid_op 0
		.amdhsa_exception_fp_denorm_src 0
		.amdhsa_exception_fp_ieee_div_zero 0
		.amdhsa_exception_fp_ieee_overflow 0
		.amdhsa_exception_fp_ieee_underflow 0
		.amdhsa_exception_fp_ieee_inexact 0
		.amdhsa_exception_int_div_zero 0
	.end_amdhsa_kernel
	.section	.text._ZN7rocprim17ROCPRIM_400000_NS6detail17trampoline_kernelINS0_14default_configENS1_25partition_config_selectorILNS1_17partition_subalgoE6EdNS0_10empty_typeEbEEZZNS1_14partition_implILS5_6ELb0ES3_mN6thrust23THRUST_200600_302600_NS6detail15normal_iteratorINSA_10device_ptrIdEEEEPS6_SG_NS0_5tupleIJSF_S6_EEENSH_IJSG_SG_EEES6_PlJNSB_9not_fun_tINSB_14equal_to_valueIdEEEEEEE10hipError_tPvRmT3_T4_T5_T6_T7_T9_mT8_P12ihipStream_tbDpT10_ENKUlT_T0_E_clISt17integral_constantIbLb0EES18_EEDaS13_S14_EUlS13_E_NS1_11comp_targetILNS1_3genE8ELNS1_11target_archE1030ELNS1_3gpuE2ELNS1_3repE0EEENS1_30default_config_static_selectorELNS0_4arch9wavefront6targetE0EEEvT1_,"axG",@progbits,_ZN7rocprim17ROCPRIM_400000_NS6detail17trampoline_kernelINS0_14default_configENS1_25partition_config_selectorILNS1_17partition_subalgoE6EdNS0_10empty_typeEbEEZZNS1_14partition_implILS5_6ELb0ES3_mN6thrust23THRUST_200600_302600_NS6detail15normal_iteratorINSA_10device_ptrIdEEEEPS6_SG_NS0_5tupleIJSF_S6_EEENSH_IJSG_SG_EEES6_PlJNSB_9not_fun_tINSB_14equal_to_valueIdEEEEEEE10hipError_tPvRmT3_T4_T5_T6_T7_T9_mT8_P12ihipStream_tbDpT10_ENKUlT_T0_E_clISt17integral_constantIbLb0EES18_EEDaS13_S14_EUlS13_E_NS1_11comp_targetILNS1_3genE8ELNS1_11target_archE1030ELNS1_3gpuE2ELNS1_3repE0EEENS1_30default_config_static_selectorELNS0_4arch9wavefront6targetE0EEEvT1_,comdat
.Lfunc_end284:
	.size	_ZN7rocprim17ROCPRIM_400000_NS6detail17trampoline_kernelINS0_14default_configENS1_25partition_config_selectorILNS1_17partition_subalgoE6EdNS0_10empty_typeEbEEZZNS1_14partition_implILS5_6ELb0ES3_mN6thrust23THRUST_200600_302600_NS6detail15normal_iteratorINSA_10device_ptrIdEEEEPS6_SG_NS0_5tupleIJSF_S6_EEENSH_IJSG_SG_EEES6_PlJNSB_9not_fun_tINSB_14equal_to_valueIdEEEEEEE10hipError_tPvRmT3_T4_T5_T6_T7_T9_mT8_P12ihipStream_tbDpT10_ENKUlT_T0_E_clISt17integral_constantIbLb0EES18_EEDaS13_S14_EUlS13_E_NS1_11comp_targetILNS1_3genE8ELNS1_11target_archE1030ELNS1_3gpuE2ELNS1_3repE0EEENS1_30default_config_static_selectorELNS0_4arch9wavefront6targetE0EEEvT1_, .Lfunc_end284-_ZN7rocprim17ROCPRIM_400000_NS6detail17trampoline_kernelINS0_14default_configENS1_25partition_config_selectorILNS1_17partition_subalgoE6EdNS0_10empty_typeEbEEZZNS1_14partition_implILS5_6ELb0ES3_mN6thrust23THRUST_200600_302600_NS6detail15normal_iteratorINSA_10device_ptrIdEEEEPS6_SG_NS0_5tupleIJSF_S6_EEENSH_IJSG_SG_EEES6_PlJNSB_9not_fun_tINSB_14equal_to_valueIdEEEEEEE10hipError_tPvRmT3_T4_T5_T6_T7_T9_mT8_P12ihipStream_tbDpT10_ENKUlT_T0_E_clISt17integral_constantIbLb0EES18_EEDaS13_S14_EUlS13_E_NS1_11comp_targetILNS1_3genE8ELNS1_11target_archE1030ELNS1_3gpuE2ELNS1_3repE0EEENS1_30default_config_static_selectorELNS0_4arch9wavefront6targetE0EEEvT1_
                                        ; -- End function
	.set _ZN7rocprim17ROCPRIM_400000_NS6detail17trampoline_kernelINS0_14default_configENS1_25partition_config_selectorILNS1_17partition_subalgoE6EdNS0_10empty_typeEbEEZZNS1_14partition_implILS5_6ELb0ES3_mN6thrust23THRUST_200600_302600_NS6detail15normal_iteratorINSA_10device_ptrIdEEEEPS6_SG_NS0_5tupleIJSF_S6_EEENSH_IJSG_SG_EEES6_PlJNSB_9not_fun_tINSB_14equal_to_valueIdEEEEEEE10hipError_tPvRmT3_T4_T5_T6_T7_T9_mT8_P12ihipStream_tbDpT10_ENKUlT_T0_E_clISt17integral_constantIbLb0EES18_EEDaS13_S14_EUlS13_E_NS1_11comp_targetILNS1_3genE8ELNS1_11target_archE1030ELNS1_3gpuE2ELNS1_3repE0EEENS1_30default_config_static_selectorELNS0_4arch9wavefront6targetE0EEEvT1_.num_vgpr, 0
	.set _ZN7rocprim17ROCPRIM_400000_NS6detail17trampoline_kernelINS0_14default_configENS1_25partition_config_selectorILNS1_17partition_subalgoE6EdNS0_10empty_typeEbEEZZNS1_14partition_implILS5_6ELb0ES3_mN6thrust23THRUST_200600_302600_NS6detail15normal_iteratorINSA_10device_ptrIdEEEEPS6_SG_NS0_5tupleIJSF_S6_EEENSH_IJSG_SG_EEES6_PlJNSB_9not_fun_tINSB_14equal_to_valueIdEEEEEEE10hipError_tPvRmT3_T4_T5_T6_T7_T9_mT8_P12ihipStream_tbDpT10_ENKUlT_T0_E_clISt17integral_constantIbLb0EES18_EEDaS13_S14_EUlS13_E_NS1_11comp_targetILNS1_3genE8ELNS1_11target_archE1030ELNS1_3gpuE2ELNS1_3repE0EEENS1_30default_config_static_selectorELNS0_4arch9wavefront6targetE0EEEvT1_.num_agpr, 0
	.set _ZN7rocprim17ROCPRIM_400000_NS6detail17trampoline_kernelINS0_14default_configENS1_25partition_config_selectorILNS1_17partition_subalgoE6EdNS0_10empty_typeEbEEZZNS1_14partition_implILS5_6ELb0ES3_mN6thrust23THRUST_200600_302600_NS6detail15normal_iteratorINSA_10device_ptrIdEEEEPS6_SG_NS0_5tupleIJSF_S6_EEENSH_IJSG_SG_EEES6_PlJNSB_9not_fun_tINSB_14equal_to_valueIdEEEEEEE10hipError_tPvRmT3_T4_T5_T6_T7_T9_mT8_P12ihipStream_tbDpT10_ENKUlT_T0_E_clISt17integral_constantIbLb0EES18_EEDaS13_S14_EUlS13_E_NS1_11comp_targetILNS1_3genE8ELNS1_11target_archE1030ELNS1_3gpuE2ELNS1_3repE0EEENS1_30default_config_static_selectorELNS0_4arch9wavefront6targetE0EEEvT1_.numbered_sgpr, 0
	.set _ZN7rocprim17ROCPRIM_400000_NS6detail17trampoline_kernelINS0_14default_configENS1_25partition_config_selectorILNS1_17partition_subalgoE6EdNS0_10empty_typeEbEEZZNS1_14partition_implILS5_6ELb0ES3_mN6thrust23THRUST_200600_302600_NS6detail15normal_iteratorINSA_10device_ptrIdEEEEPS6_SG_NS0_5tupleIJSF_S6_EEENSH_IJSG_SG_EEES6_PlJNSB_9not_fun_tINSB_14equal_to_valueIdEEEEEEE10hipError_tPvRmT3_T4_T5_T6_T7_T9_mT8_P12ihipStream_tbDpT10_ENKUlT_T0_E_clISt17integral_constantIbLb0EES18_EEDaS13_S14_EUlS13_E_NS1_11comp_targetILNS1_3genE8ELNS1_11target_archE1030ELNS1_3gpuE2ELNS1_3repE0EEENS1_30default_config_static_selectorELNS0_4arch9wavefront6targetE0EEEvT1_.num_named_barrier, 0
	.set _ZN7rocprim17ROCPRIM_400000_NS6detail17trampoline_kernelINS0_14default_configENS1_25partition_config_selectorILNS1_17partition_subalgoE6EdNS0_10empty_typeEbEEZZNS1_14partition_implILS5_6ELb0ES3_mN6thrust23THRUST_200600_302600_NS6detail15normal_iteratorINSA_10device_ptrIdEEEEPS6_SG_NS0_5tupleIJSF_S6_EEENSH_IJSG_SG_EEES6_PlJNSB_9not_fun_tINSB_14equal_to_valueIdEEEEEEE10hipError_tPvRmT3_T4_T5_T6_T7_T9_mT8_P12ihipStream_tbDpT10_ENKUlT_T0_E_clISt17integral_constantIbLb0EES18_EEDaS13_S14_EUlS13_E_NS1_11comp_targetILNS1_3genE8ELNS1_11target_archE1030ELNS1_3gpuE2ELNS1_3repE0EEENS1_30default_config_static_selectorELNS0_4arch9wavefront6targetE0EEEvT1_.private_seg_size, 0
	.set _ZN7rocprim17ROCPRIM_400000_NS6detail17trampoline_kernelINS0_14default_configENS1_25partition_config_selectorILNS1_17partition_subalgoE6EdNS0_10empty_typeEbEEZZNS1_14partition_implILS5_6ELb0ES3_mN6thrust23THRUST_200600_302600_NS6detail15normal_iteratorINSA_10device_ptrIdEEEEPS6_SG_NS0_5tupleIJSF_S6_EEENSH_IJSG_SG_EEES6_PlJNSB_9not_fun_tINSB_14equal_to_valueIdEEEEEEE10hipError_tPvRmT3_T4_T5_T6_T7_T9_mT8_P12ihipStream_tbDpT10_ENKUlT_T0_E_clISt17integral_constantIbLb0EES18_EEDaS13_S14_EUlS13_E_NS1_11comp_targetILNS1_3genE8ELNS1_11target_archE1030ELNS1_3gpuE2ELNS1_3repE0EEENS1_30default_config_static_selectorELNS0_4arch9wavefront6targetE0EEEvT1_.uses_vcc, 0
	.set _ZN7rocprim17ROCPRIM_400000_NS6detail17trampoline_kernelINS0_14default_configENS1_25partition_config_selectorILNS1_17partition_subalgoE6EdNS0_10empty_typeEbEEZZNS1_14partition_implILS5_6ELb0ES3_mN6thrust23THRUST_200600_302600_NS6detail15normal_iteratorINSA_10device_ptrIdEEEEPS6_SG_NS0_5tupleIJSF_S6_EEENSH_IJSG_SG_EEES6_PlJNSB_9not_fun_tINSB_14equal_to_valueIdEEEEEEE10hipError_tPvRmT3_T4_T5_T6_T7_T9_mT8_P12ihipStream_tbDpT10_ENKUlT_T0_E_clISt17integral_constantIbLb0EES18_EEDaS13_S14_EUlS13_E_NS1_11comp_targetILNS1_3genE8ELNS1_11target_archE1030ELNS1_3gpuE2ELNS1_3repE0EEENS1_30default_config_static_selectorELNS0_4arch9wavefront6targetE0EEEvT1_.uses_flat_scratch, 0
	.set _ZN7rocprim17ROCPRIM_400000_NS6detail17trampoline_kernelINS0_14default_configENS1_25partition_config_selectorILNS1_17partition_subalgoE6EdNS0_10empty_typeEbEEZZNS1_14partition_implILS5_6ELb0ES3_mN6thrust23THRUST_200600_302600_NS6detail15normal_iteratorINSA_10device_ptrIdEEEEPS6_SG_NS0_5tupleIJSF_S6_EEENSH_IJSG_SG_EEES6_PlJNSB_9not_fun_tINSB_14equal_to_valueIdEEEEEEE10hipError_tPvRmT3_T4_T5_T6_T7_T9_mT8_P12ihipStream_tbDpT10_ENKUlT_T0_E_clISt17integral_constantIbLb0EES18_EEDaS13_S14_EUlS13_E_NS1_11comp_targetILNS1_3genE8ELNS1_11target_archE1030ELNS1_3gpuE2ELNS1_3repE0EEENS1_30default_config_static_selectorELNS0_4arch9wavefront6targetE0EEEvT1_.has_dyn_sized_stack, 0
	.set _ZN7rocprim17ROCPRIM_400000_NS6detail17trampoline_kernelINS0_14default_configENS1_25partition_config_selectorILNS1_17partition_subalgoE6EdNS0_10empty_typeEbEEZZNS1_14partition_implILS5_6ELb0ES3_mN6thrust23THRUST_200600_302600_NS6detail15normal_iteratorINSA_10device_ptrIdEEEEPS6_SG_NS0_5tupleIJSF_S6_EEENSH_IJSG_SG_EEES6_PlJNSB_9not_fun_tINSB_14equal_to_valueIdEEEEEEE10hipError_tPvRmT3_T4_T5_T6_T7_T9_mT8_P12ihipStream_tbDpT10_ENKUlT_T0_E_clISt17integral_constantIbLb0EES18_EEDaS13_S14_EUlS13_E_NS1_11comp_targetILNS1_3genE8ELNS1_11target_archE1030ELNS1_3gpuE2ELNS1_3repE0EEENS1_30default_config_static_selectorELNS0_4arch9wavefront6targetE0EEEvT1_.has_recursion, 0
	.set _ZN7rocprim17ROCPRIM_400000_NS6detail17trampoline_kernelINS0_14default_configENS1_25partition_config_selectorILNS1_17partition_subalgoE6EdNS0_10empty_typeEbEEZZNS1_14partition_implILS5_6ELb0ES3_mN6thrust23THRUST_200600_302600_NS6detail15normal_iteratorINSA_10device_ptrIdEEEEPS6_SG_NS0_5tupleIJSF_S6_EEENSH_IJSG_SG_EEES6_PlJNSB_9not_fun_tINSB_14equal_to_valueIdEEEEEEE10hipError_tPvRmT3_T4_T5_T6_T7_T9_mT8_P12ihipStream_tbDpT10_ENKUlT_T0_E_clISt17integral_constantIbLb0EES18_EEDaS13_S14_EUlS13_E_NS1_11comp_targetILNS1_3genE8ELNS1_11target_archE1030ELNS1_3gpuE2ELNS1_3repE0EEENS1_30default_config_static_selectorELNS0_4arch9wavefront6targetE0EEEvT1_.has_indirect_call, 0
	.section	.AMDGPU.csdata,"",@progbits
; Kernel info:
; codeLenInByte = 0
; TotalNumSgprs: 0
; NumVgprs: 0
; ScratchSize: 0
; MemoryBound: 0
; FloatMode: 240
; IeeeMode: 1
; LDSByteSize: 0 bytes/workgroup (compile time only)
; SGPRBlocks: 0
; VGPRBlocks: 0
; NumSGPRsForWavesPerEU: 1
; NumVGPRsForWavesPerEU: 1
; Occupancy: 16
; WaveLimiterHint : 0
; COMPUTE_PGM_RSRC2:SCRATCH_EN: 0
; COMPUTE_PGM_RSRC2:USER_SGPR: 2
; COMPUTE_PGM_RSRC2:TRAP_HANDLER: 0
; COMPUTE_PGM_RSRC2:TGID_X_EN: 1
; COMPUTE_PGM_RSRC2:TGID_Y_EN: 0
; COMPUTE_PGM_RSRC2:TGID_Z_EN: 0
; COMPUTE_PGM_RSRC2:TIDIG_COMP_CNT: 0
	.section	.text._ZN7rocprim17ROCPRIM_400000_NS6detail17trampoline_kernelINS0_14default_configENS1_25partition_config_selectorILNS1_17partition_subalgoE6EdNS0_10empty_typeEbEEZZNS1_14partition_implILS5_6ELb0ES3_mN6thrust23THRUST_200600_302600_NS6detail15normal_iteratorINSA_10device_ptrIdEEEEPS6_SG_NS0_5tupleIJSF_S6_EEENSH_IJSG_SG_EEES6_PlJNSB_9not_fun_tINSB_14equal_to_valueIdEEEEEEE10hipError_tPvRmT3_T4_T5_T6_T7_T9_mT8_P12ihipStream_tbDpT10_ENKUlT_T0_E_clISt17integral_constantIbLb1EES18_EEDaS13_S14_EUlS13_E_NS1_11comp_targetILNS1_3genE0ELNS1_11target_archE4294967295ELNS1_3gpuE0ELNS1_3repE0EEENS1_30default_config_static_selectorELNS0_4arch9wavefront6targetE0EEEvT1_,"axG",@progbits,_ZN7rocprim17ROCPRIM_400000_NS6detail17trampoline_kernelINS0_14default_configENS1_25partition_config_selectorILNS1_17partition_subalgoE6EdNS0_10empty_typeEbEEZZNS1_14partition_implILS5_6ELb0ES3_mN6thrust23THRUST_200600_302600_NS6detail15normal_iteratorINSA_10device_ptrIdEEEEPS6_SG_NS0_5tupleIJSF_S6_EEENSH_IJSG_SG_EEES6_PlJNSB_9not_fun_tINSB_14equal_to_valueIdEEEEEEE10hipError_tPvRmT3_T4_T5_T6_T7_T9_mT8_P12ihipStream_tbDpT10_ENKUlT_T0_E_clISt17integral_constantIbLb1EES18_EEDaS13_S14_EUlS13_E_NS1_11comp_targetILNS1_3genE0ELNS1_11target_archE4294967295ELNS1_3gpuE0ELNS1_3repE0EEENS1_30default_config_static_selectorELNS0_4arch9wavefront6targetE0EEEvT1_,comdat
	.protected	_ZN7rocprim17ROCPRIM_400000_NS6detail17trampoline_kernelINS0_14default_configENS1_25partition_config_selectorILNS1_17partition_subalgoE6EdNS0_10empty_typeEbEEZZNS1_14partition_implILS5_6ELb0ES3_mN6thrust23THRUST_200600_302600_NS6detail15normal_iteratorINSA_10device_ptrIdEEEEPS6_SG_NS0_5tupleIJSF_S6_EEENSH_IJSG_SG_EEES6_PlJNSB_9not_fun_tINSB_14equal_to_valueIdEEEEEEE10hipError_tPvRmT3_T4_T5_T6_T7_T9_mT8_P12ihipStream_tbDpT10_ENKUlT_T0_E_clISt17integral_constantIbLb1EES18_EEDaS13_S14_EUlS13_E_NS1_11comp_targetILNS1_3genE0ELNS1_11target_archE4294967295ELNS1_3gpuE0ELNS1_3repE0EEENS1_30default_config_static_selectorELNS0_4arch9wavefront6targetE0EEEvT1_ ; -- Begin function _ZN7rocprim17ROCPRIM_400000_NS6detail17trampoline_kernelINS0_14default_configENS1_25partition_config_selectorILNS1_17partition_subalgoE6EdNS0_10empty_typeEbEEZZNS1_14partition_implILS5_6ELb0ES3_mN6thrust23THRUST_200600_302600_NS6detail15normal_iteratorINSA_10device_ptrIdEEEEPS6_SG_NS0_5tupleIJSF_S6_EEENSH_IJSG_SG_EEES6_PlJNSB_9not_fun_tINSB_14equal_to_valueIdEEEEEEE10hipError_tPvRmT3_T4_T5_T6_T7_T9_mT8_P12ihipStream_tbDpT10_ENKUlT_T0_E_clISt17integral_constantIbLb1EES18_EEDaS13_S14_EUlS13_E_NS1_11comp_targetILNS1_3genE0ELNS1_11target_archE4294967295ELNS1_3gpuE0ELNS1_3repE0EEENS1_30default_config_static_selectorELNS0_4arch9wavefront6targetE0EEEvT1_
	.globl	_ZN7rocprim17ROCPRIM_400000_NS6detail17trampoline_kernelINS0_14default_configENS1_25partition_config_selectorILNS1_17partition_subalgoE6EdNS0_10empty_typeEbEEZZNS1_14partition_implILS5_6ELb0ES3_mN6thrust23THRUST_200600_302600_NS6detail15normal_iteratorINSA_10device_ptrIdEEEEPS6_SG_NS0_5tupleIJSF_S6_EEENSH_IJSG_SG_EEES6_PlJNSB_9not_fun_tINSB_14equal_to_valueIdEEEEEEE10hipError_tPvRmT3_T4_T5_T6_T7_T9_mT8_P12ihipStream_tbDpT10_ENKUlT_T0_E_clISt17integral_constantIbLb1EES18_EEDaS13_S14_EUlS13_E_NS1_11comp_targetILNS1_3genE0ELNS1_11target_archE4294967295ELNS1_3gpuE0ELNS1_3repE0EEENS1_30default_config_static_selectorELNS0_4arch9wavefront6targetE0EEEvT1_
	.p2align	8
	.type	_ZN7rocprim17ROCPRIM_400000_NS6detail17trampoline_kernelINS0_14default_configENS1_25partition_config_selectorILNS1_17partition_subalgoE6EdNS0_10empty_typeEbEEZZNS1_14partition_implILS5_6ELb0ES3_mN6thrust23THRUST_200600_302600_NS6detail15normal_iteratorINSA_10device_ptrIdEEEEPS6_SG_NS0_5tupleIJSF_S6_EEENSH_IJSG_SG_EEES6_PlJNSB_9not_fun_tINSB_14equal_to_valueIdEEEEEEE10hipError_tPvRmT3_T4_T5_T6_T7_T9_mT8_P12ihipStream_tbDpT10_ENKUlT_T0_E_clISt17integral_constantIbLb1EES18_EEDaS13_S14_EUlS13_E_NS1_11comp_targetILNS1_3genE0ELNS1_11target_archE4294967295ELNS1_3gpuE0ELNS1_3repE0EEENS1_30default_config_static_selectorELNS0_4arch9wavefront6targetE0EEEvT1_,@function
_ZN7rocprim17ROCPRIM_400000_NS6detail17trampoline_kernelINS0_14default_configENS1_25partition_config_selectorILNS1_17partition_subalgoE6EdNS0_10empty_typeEbEEZZNS1_14partition_implILS5_6ELb0ES3_mN6thrust23THRUST_200600_302600_NS6detail15normal_iteratorINSA_10device_ptrIdEEEEPS6_SG_NS0_5tupleIJSF_S6_EEENSH_IJSG_SG_EEES6_PlJNSB_9not_fun_tINSB_14equal_to_valueIdEEEEEEE10hipError_tPvRmT3_T4_T5_T6_T7_T9_mT8_P12ihipStream_tbDpT10_ENKUlT_T0_E_clISt17integral_constantIbLb1EES18_EEDaS13_S14_EUlS13_E_NS1_11comp_targetILNS1_3genE0ELNS1_11target_archE4294967295ELNS1_3gpuE0ELNS1_3repE0EEENS1_30default_config_static_selectorELNS0_4arch9wavefront6targetE0EEEvT1_: ; @_ZN7rocprim17ROCPRIM_400000_NS6detail17trampoline_kernelINS0_14default_configENS1_25partition_config_selectorILNS1_17partition_subalgoE6EdNS0_10empty_typeEbEEZZNS1_14partition_implILS5_6ELb0ES3_mN6thrust23THRUST_200600_302600_NS6detail15normal_iteratorINSA_10device_ptrIdEEEEPS6_SG_NS0_5tupleIJSF_S6_EEENSH_IJSG_SG_EEES6_PlJNSB_9not_fun_tINSB_14equal_to_valueIdEEEEEEE10hipError_tPvRmT3_T4_T5_T6_T7_T9_mT8_P12ihipStream_tbDpT10_ENKUlT_T0_E_clISt17integral_constantIbLb1EES18_EEDaS13_S14_EUlS13_E_NS1_11comp_targetILNS1_3genE0ELNS1_11target_archE4294967295ELNS1_3gpuE0ELNS1_3repE0EEENS1_30default_config_static_selectorELNS0_4arch9wavefront6targetE0EEEvT1_
; %bb.0:
	.section	.rodata,"a",@progbits
	.p2align	6, 0x0
	.amdhsa_kernel _ZN7rocprim17ROCPRIM_400000_NS6detail17trampoline_kernelINS0_14default_configENS1_25partition_config_selectorILNS1_17partition_subalgoE6EdNS0_10empty_typeEbEEZZNS1_14partition_implILS5_6ELb0ES3_mN6thrust23THRUST_200600_302600_NS6detail15normal_iteratorINSA_10device_ptrIdEEEEPS6_SG_NS0_5tupleIJSF_S6_EEENSH_IJSG_SG_EEES6_PlJNSB_9not_fun_tINSB_14equal_to_valueIdEEEEEEE10hipError_tPvRmT3_T4_T5_T6_T7_T9_mT8_P12ihipStream_tbDpT10_ENKUlT_T0_E_clISt17integral_constantIbLb1EES18_EEDaS13_S14_EUlS13_E_NS1_11comp_targetILNS1_3genE0ELNS1_11target_archE4294967295ELNS1_3gpuE0ELNS1_3repE0EEENS1_30default_config_static_selectorELNS0_4arch9wavefront6targetE0EEEvT1_
		.amdhsa_group_segment_fixed_size 0
		.amdhsa_private_segment_fixed_size 0
		.amdhsa_kernarg_size 128
		.amdhsa_user_sgpr_count 2
		.amdhsa_user_sgpr_dispatch_ptr 0
		.amdhsa_user_sgpr_queue_ptr 0
		.amdhsa_user_sgpr_kernarg_segment_ptr 1
		.amdhsa_user_sgpr_dispatch_id 0
		.amdhsa_user_sgpr_private_segment_size 0
		.amdhsa_wavefront_size32 1
		.amdhsa_uses_dynamic_stack 0
		.amdhsa_enable_private_segment 0
		.amdhsa_system_sgpr_workgroup_id_x 1
		.amdhsa_system_sgpr_workgroup_id_y 0
		.amdhsa_system_sgpr_workgroup_id_z 0
		.amdhsa_system_sgpr_workgroup_info 0
		.amdhsa_system_vgpr_workitem_id 0
		.amdhsa_next_free_vgpr 1
		.amdhsa_next_free_sgpr 1
		.amdhsa_reserve_vcc 0
		.amdhsa_float_round_mode_32 0
		.amdhsa_float_round_mode_16_64 0
		.amdhsa_float_denorm_mode_32 3
		.amdhsa_float_denorm_mode_16_64 3
		.amdhsa_fp16_overflow 0
		.amdhsa_workgroup_processor_mode 1
		.amdhsa_memory_ordered 1
		.amdhsa_forward_progress 1
		.amdhsa_inst_pref_size 0
		.amdhsa_round_robin_scheduling 0
		.amdhsa_exception_fp_ieee_invalid_op 0
		.amdhsa_exception_fp_denorm_src 0
		.amdhsa_exception_fp_ieee_div_zero 0
		.amdhsa_exception_fp_ieee_overflow 0
		.amdhsa_exception_fp_ieee_underflow 0
		.amdhsa_exception_fp_ieee_inexact 0
		.amdhsa_exception_int_div_zero 0
	.end_amdhsa_kernel
	.section	.text._ZN7rocprim17ROCPRIM_400000_NS6detail17trampoline_kernelINS0_14default_configENS1_25partition_config_selectorILNS1_17partition_subalgoE6EdNS0_10empty_typeEbEEZZNS1_14partition_implILS5_6ELb0ES3_mN6thrust23THRUST_200600_302600_NS6detail15normal_iteratorINSA_10device_ptrIdEEEEPS6_SG_NS0_5tupleIJSF_S6_EEENSH_IJSG_SG_EEES6_PlJNSB_9not_fun_tINSB_14equal_to_valueIdEEEEEEE10hipError_tPvRmT3_T4_T5_T6_T7_T9_mT8_P12ihipStream_tbDpT10_ENKUlT_T0_E_clISt17integral_constantIbLb1EES18_EEDaS13_S14_EUlS13_E_NS1_11comp_targetILNS1_3genE0ELNS1_11target_archE4294967295ELNS1_3gpuE0ELNS1_3repE0EEENS1_30default_config_static_selectorELNS0_4arch9wavefront6targetE0EEEvT1_,"axG",@progbits,_ZN7rocprim17ROCPRIM_400000_NS6detail17trampoline_kernelINS0_14default_configENS1_25partition_config_selectorILNS1_17partition_subalgoE6EdNS0_10empty_typeEbEEZZNS1_14partition_implILS5_6ELb0ES3_mN6thrust23THRUST_200600_302600_NS6detail15normal_iteratorINSA_10device_ptrIdEEEEPS6_SG_NS0_5tupleIJSF_S6_EEENSH_IJSG_SG_EEES6_PlJNSB_9not_fun_tINSB_14equal_to_valueIdEEEEEEE10hipError_tPvRmT3_T4_T5_T6_T7_T9_mT8_P12ihipStream_tbDpT10_ENKUlT_T0_E_clISt17integral_constantIbLb1EES18_EEDaS13_S14_EUlS13_E_NS1_11comp_targetILNS1_3genE0ELNS1_11target_archE4294967295ELNS1_3gpuE0ELNS1_3repE0EEENS1_30default_config_static_selectorELNS0_4arch9wavefront6targetE0EEEvT1_,comdat
.Lfunc_end285:
	.size	_ZN7rocprim17ROCPRIM_400000_NS6detail17trampoline_kernelINS0_14default_configENS1_25partition_config_selectorILNS1_17partition_subalgoE6EdNS0_10empty_typeEbEEZZNS1_14partition_implILS5_6ELb0ES3_mN6thrust23THRUST_200600_302600_NS6detail15normal_iteratorINSA_10device_ptrIdEEEEPS6_SG_NS0_5tupleIJSF_S6_EEENSH_IJSG_SG_EEES6_PlJNSB_9not_fun_tINSB_14equal_to_valueIdEEEEEEE10hipError_tPvRmT3_T4_T5_T6_T7_T9_mT8_P12ihipStream_tbDpT10_ENKUlT_T0_E_clISt17integral_constantIbLb1EES18_EEDaS13_S14_EUlS13_E_NS1_11comp_targetILNS1_3genE0ELNS1_11target_archE4294967295ELNS1_3gpuE0ELNS1_3repE0EEENS1_30default_config_static_selectorELNS0_4arch9wavefront6targetE0EEEvT1_, .Lfunc_end285-_ZN7rocprim17ROCPRIM_400000_NS6detail17trampoline_kernelINS0_14default_configENS1_25partition_config_selectorILNS1_17partition_subalgoE6EdNS0_10empty_typeEbEEZZNS1_14partition_implILS5_6ELb0ES3_mN6thrust23THRUST_200600_302600_NS6detail15normal_iteratorINSA_10device_ptrIdEEEEPS6_SG_NS0_5tupleIJSF_S6_EEENSH_IJSG_SG_EEES6_PlJNSB_9not_fun_tINSB_14equal_to_valueIdEEEEEEE10hipError_tPvRmT3_T4_T5_T6_T7_T9_mT8_P12ihipStream_tbDpT10_ENKUlT_T0_E_clISt17integral_constantIbLb1EES18_EEDaS13_S14_EUlS13_E_NS1_11comp_targetILNS1_3genE0ELNS1_11target_archE4294967295ELNS1_3gpuE0ELNS1_3repE0EEENS1_30default_config_static_selectorELNS0_4arch9wavefront6targetE0EEEvT1_
                                        ; -- End function
	.set _ZN7rocprim17ROCPRIM_400000_NS6detail17trampoline_kernelINS0_14default_configENS1_25partition_config_selectorILNS1_17partition_subalgoE6EdNS0_10empty_typeEbEEZZNS1_14partition_implILS5_6ELb0ES3_mN6thrust23THRUST_200600_302600_NS6detail15normal_iteratorINSA_10device_ptrIdEEEEPS6_SG_NS0_5tupleIJSF_S6_EEENSH_IJSG_SG_EEES6_PlJNSB_9not_fun_tINSB_14equal_to_valueIdEEEEEEE10hipError_tPvRmT3_T4_T5_T6_T7_T9_mT8_P12ihipStream_tbDpT10_ENKUlT_T0_E_clISt17integral_constantIbLb1EES18_EEDaS13_S14_EUlS13_E_NS1_11comp_targetILNS1_3genE0ELNS1_11target_archE4294967295ELNS1_3gpuE0ELNS1_3repE0EEENS1_30default_config_static_selectorELNS0_4arch9wavefront6targetE0EEEvT1_.num_vgpr, 0
	.set _ZN7rocprim17ROCPRIM_400000_NS6detail17trampoline_kernelINS0_14default_configENS1_25partition_config_selectorILNS1_17partition_subalgoE6EdNS0_10empty_typeEbEEZZNS1_14partition_implILS5_6ELb0ES3_mN6thrust23THRUST_200600_302600_NS6detail15normal_iteratorINSA_10device_ptrIdEEEEPS6_SG_NS0_5tupleIJSF_S6_EEENSH_IJSG_SG_EEES6_PlJNSB_9not_fun_tINSB_14equal_to_valueIdEEEEEEE10hipError_tPvRmT3_T4_T5_T6_T7_T9_mT8_P12ihipStream_tbDpT10_ENKUlT_T0_E_clISt17integral_constantIbLb1EES18_EEDaS13_S14_EUlS13_E_NS1_11comp_targetILNS1_3genE0ELNS1_11target_archE4294967295ELNS1_3gpuE0ELNS1_3repE0EEENS1_30default_config_static_selectorELNS0_4arch9wavefront6targetE0EEEvT1_.num_agpr, 0
	.set _ZN7rocprim17ROCPRIM_400000_NS6detail17trampoline_kernelINS0_14default_configENS1_25partition_config_selectorILNS1_17partition_subalgoE6EdNS0_10empty_typeEbEEZZNS1_14partition_implILS5_6ELb0ES3_mN6thrust23THRUST_200600_302600_NS6detail15normal_iteratorINSA_10device_ptrIdEEEEPS6_SG_NS0_5tupleIJSF_S6_EEENSH_IJSG_SG_EEES6_PlJNSB_9not_fun_tINSB_14equal_to_valueIdEEEEEEE10hipError_tPvRmT3_T4_T5_T6_T7_T9_mT8_P12ihipStream_tbDpT10_ENKUlT_T0_E_clISt17integral_constantIbLb1EES18_EEDaS13_S14_EUlS13_E_NS1_11comp_targetILNS1_3genE0ELNS1_11target_archE4294967295ELNS1_3gpuE0ELNS1_3repE0EEENS1_30default_config_static_selectorELNS0_4arch9wavefront6targetE0EEEvT1_.numbered_sgpr, 0
	.set _ZN7rocprim17ROCPRIM_400000_NS6detail17trampoline_kernelINS0_14default_configENS1_25partition_config_selectorILNS1_17partition_subalgoE6EdNS0_10empty_typeEbEEZZNS1_14partition_implILS5_6ELb0ES3_mN6thrust23THRUST_200600_302600_NS6detail15normal_iteratorINSA_10device_ptrIdEEEEPS6_SG_NS0_5tupleIJSF_S6_EEENSH_IJSG_SG_EEES6_PlJNSB_9not_fun_tINSB_14equal_to_valueIdEEEEEEE10hipError_tPvRmT3_T4_T5_T6_T7_T9_mT8_P12ihipStream_tbDpT10_ENKUlT_T0_E_clISt17integral_constantIbLb1EES18_EEDaS13_S14_EUlS13_E_NS1_11comp_targetILNS1_3genE0ELNS1_11target_archE4294967295ELNS1_3gpuE0ELNS1_3repE0EEENS1_30default_config_static_selectorELNS0_4arch9wavefront6targetE0EEEvT1_.num_named_barrier, 0
	.set _ZN7rocprim17ROCPRIM_400000_NS6detail17trampoline_kernelINS0_14default_configENS1_25partition_config_selectorILNS1_17partition_subalgoE6EdNS0_10empty_typeEbEEZZNS1_14partition_implILS5_6ELb0ES3_mN6thrust23THRUST_200600_302600_NS6detail15normal_iteratorINSA_10device_ptrIdEEEEPS6_SG_NS0_5tupleIJSF_S6_EEENSH_IJSG_SG_EEES6_PlJNSB_9not_fun_tINSB_14equal_to_valueIdEEEEEEE10hipError_tPvRmT3_T4_T5_T6_T7_T9_mT8_P12ihipStream_tbDpT10_ENKUlT_T0_E_clISt17integral_constantIbLb1EES18_EEDaS13_S14_EUlS13_E_NS1_11comp_targetILNS1_3genE0ELNS1_11target_archE4294967295ELNS1_3gpuE0ELNS1_3repE0EEENS1_30default_config_static_selectorELNS0_4arch9wavefront6targetE0EEEvT1_.private_seg_size, 0
	.set _ZN7rocprim17ROCPRIM_400000_NS6detail17trampoline_kernelINS0_14default_configENS1_25partition_config_selectorILNS1_17partition_subalgoE6EdNS0_10empty_typeEbEEZZNS1_14partition_implILS5_6ELb0ES3_mN6thrust23THRUST_200600_302600_NS6detail15normal_iteratorINSA_10device_ptrIdEEEEPS6_SG_NS0_5tupleIJSF_S6_EEENSH_IJSG_SG_EEES6_PlJNSB_9not_fun_tINSB_14equal_to_valueIdEEEEEEE10hipError_tPvRmT3_T4_T5_T6_T7_T9_mT8_P12ihipStream_tbDpT10_ENKUlT_T0_E_clISt17integral_constantIbLb1EES18_EEDaS13_S14_EUlS13_E_NS1_11comp_targetILNS1_3genE0ELNS1_11target_archE4294967295ELNS1_3gpuE0ELNS1_3repE0EEENS1_30default_config_static_selectorELNS0_4arch9wavefront6targetE0EEEvT1_.uses_vcc, 0
	.set _ZN7rocprim17ROCPRIM_400000_NS6detail17trampoline_kernelINS0_14default_configENS1_25partition_config_selectorILNS1_17partition_subalgoE6EdNS0_10empty_typeEbEEZZNS1_14partition_implILS5_6ELb0ES3_mN6thrust23THRUST_200600_302600_NS6detail15normal_iteratorINSA_10device_ptrIdEEEEPS6_SG_NS0_5tupleIJSF_S6_EEENSH_IJSG_SG_EEES6_PlJNSB_9not_fun_tINSB_14equal_to_valueIdEEEEEEE10hipError_tPvRmT3_T4_T5_T6_T7_T9_mT8_P12ihipStream_tbDpT10_ENKUlT_T0_E_clISt17integral_constantIbLb1EES18_EEDaS13_S14_EUlS13_E_NS1_11comp_targetILNS1_3genE0ELNS1_11target_archE4294967295ELNS1_3gpuE0ELNS1_3repE0EEENS1_30default_config_static_selectorELNS0_4arch9wavefront6targetE0EEEvT1_.uses_flat_scratch, 0
	.set _ZN7rocprim17ROCPRIM_400000_NS6detail17trampoline_kernelINS0_14default_configENS1_25partition_config_selectorILNS1_17partition_subalgoE6EdNS0_10empty_typeEbEEZZNS1_14partition_implILS5_6ELb0ES3_mN6thrust23THRUST_200600_302600_NS6detail15normal_iteratorINSA_10device_ptrIdEEEEPS6_SG_NS0_5tupleIJSF_S6_EEENSH_IJSG_SG_EEES6_PlJNSB_9not_fun_tINSB_14equal_to_valueIdEEEEEEE10hipError_tPvRmT3_T4_T5_T6_T7_T9_mT8_P12ihipStream_tbDpT10_ENKUlT_T0_E_clISt17integral_constantIbLb1EES18_EEDaS13_S14_EUlS13_E_NS1_11comp_targetILNS1_3genE0ELNS1_11target_archE4294967295ELNS1_3gpuE0ELNS1_3repE0EEENS1_30default_config_static_selectorELNS0_4arch9wavefront6targetE0EEEvT1_.has_dyn_sized_stack, 0
	.set _ZN7rocprim17ROCPRIM_400000_NS6detail17trampoline_kernelINS0_14default_configENS1_25partition_config_selectorILNS1_17partition_subalgoE6EdNS0_10empty_typeEbEEZZNS1_14partition_implILS5_6ELb0ES3_mN6thrust23THRUST_200600_302600_NS6detail15normal_iteratorINSA_10device_ptrIdEEEEPS6_SG_NS0_5tupleIJSF_S6_EEENSH_IJSG_SG_EEES6_PlJNSB_9not_fun_tINSB_14equal_to_valueIdEEEEEEE10hipError_tPvRmT3_T4_T5_T6_T7_T9_mT8_P12ihipStream_tbDpT10_ENKUlT_T0_E_clISt17integral_constantIbLb1EES18_EEDaS13_S14_EUlS13_E_NS1_11comp_targetILNS1_3genE0ELNS1_11target_archE4294967295ELNS1_3gpuE0ELNS1_3repE0EEENS1_30default_config_static_selectorELNS0_4arch9wavefront6targetE0EEEvT1_.has_recursion, 0
	.set _ZN7rocprim17ROCPRIM_400000_NS6detail17trampoline_kernelINS0_14default_configENS1_25partition_config_selectorILNS1_17partition_subalgoE6EdNS0_10empty_typeEbEEZZNS1_14partition_implILS5_6ELb0ES3_mN6thrust23THRUST_200600_302600_NS6detail15normal_iteratorINSA_10device_ptrIdEEEEPS6_SG_NS0_5tupleIJSF_S6_EEENSH_IJSG_SG_EEES6_PlJNSB_9not_fun_tINSB_14equal_to_valueIdEEEEEEE10hipError_tPvRmT3_T4_T5_T6_T7_T9_mT8_P12ihipStream_tbDpT10_ENKUlT_T0_E_clISt17integral_constantIbLb1EES18_EEDaS13_S14_EUlS13_E_NS1_11comp_targetILNS1_3genE0ELNS1_11target_archE4294967295ELNS1_3gpuE0ELNS1_3repE0EEENS1_30default_config_static_selectorELNS0_4arch9wavefront6targetE0EEEvT1_.has_indirect_call, 0
	.section	.AMDGPU.csdata,"",@progbits
; Kernel info:
; codeLenInByte = 0
; TotalNumSgprs: 0
; NumVgprs: 0
; ScratchSize: 0
; MemoryBound: 0
; FloatMode: 240
; IeeeMode: 1
; LDSByteSize: 0 bytes/workgroup (compile time only)
; SGPRBlocks: 0
; VGPRBlocks: 0
; NumSGPRsForWavesPerEU: 1
; NumVGPRsForWavesPerEU: 1
; Occupancy: 16
; WaveLimiterHint : 0
; COMPUTE_PGM_RSRC2:SCRATCH_EN: 0
; COMPUTE_PGM_RSRC2:USER_SGPR: 2
; COMPUTE_PGM_RSRC2:TRAP_HANDLER: 0
; COMPUTE_PGM_RSRC2:TGID_X_EN: 1
; COMPUTE_PGM_RSRC2:TGID_Y_EN: 0
; COMPUTE_PGM_RSRC2:TGID_Z_EN: 0
; COMPUTE_PGM_RSRC2:TIDIG_COMP_CNT: 0
	.section	.text._ZN7rocprim17ROCPRIM_400000_NS6detail17trampoline_kernelINS0_14default_configENS1_25partition_config_selectorILNS1_17partition_subalgoE6EdNS0_10empty_typeEbEEZZNS1_14partition_implILS5_6ELb0ES3_mN6thrust23THRUST_200600_302600_NS6detail15normal_iteratorINSA_10device_ptrIdEEEEPS6_SG_NS0_5tupleIJSF_S6_EEENSH_IJSG_SG_EEES6_PlJNSB_9not_fun_tINSB_14equal_to_valueIdEEEEEEE10hipError_tPvRmT3_T4_T5_T6_T7_T9_mT8_P12ihipStream_tbDpT10_ENKUlT_T0_E_clISt17integral_constantIbLb1EES18_EEDaS13_S14_EUlS13_E_NS1_11comp_targetILNS1_3genE5ELNS1_11target_archE942ELNS1_3gpuE9ELNS1_3repE0EEENS1_30default_config_static_selectorELNS0_4arch9wavefront6targetE0EEEvT1_,"axG",@progbits,_ZN7rocprim17ROCPRIM_400000_NS6detail17trampoline_kernelINS0_14default_configENS1_25partition_config_selectorILNS1_17partition_subalgoE6EdNS0_10empty_typeEbEEZZNS1_14partition_implILS5_6ELb0ES3_mN6thrust23THRUST_200600_302600_NS6detail15normal_iteratorINSA_10device_ptrIdEEEEPS6_SG_NS0_5tupleIJSF_S6_EEENSH_IJSG_SG_EEES6_PlJNSB_9not_fun_tINSB_14equal_to_valueIdEEEEEEE10hipError_tPvRmT3_T4_T5_T6_T7_T9_mT8_P12ihipStream_tbDpT10_ENKUlT_T0_E_clISt17integral_constantIbLb1EES18_EEDaS13_S14_EUlS13_E_NS1_11comp_targetILNS1_3genE5ELNS1_11target_archE942ELNS1_3gpuE9ELNS1_3repE0EEENS1_30default_config_static_selectorELNS0_4arch9wavefront6targetE0EEEvT1_,comdat
	.protected	_ZN7rocprim17ROCPRIM_400000_NS6detail17trampoline_kernelINS0_14default_configENS1_25partition_config_selectorILNS1_17partition_subalgoE6EdNS0_10empty_typeEbEEZZNS1_14partition_implILS5_6ELb0ES3_mN6thrust23THRUST_200600_302600_NS6detail15normal_iteratorINSA_10device_ptrIdEEEEPS6_SG_NS0_5tupleIJSF_S6_EEENSH_IJSG_SG_EEES6_PlJNSB_9not_fun_tINSB_14equal_to_valueIdEEEEEEE10hipError_tPvRmT3_T4_T5_T6_T7_T9_mT8_P12ihipStream_tbDpT10_ENKUlT_T0_E_clISt17integral_constantIbLb1EES18_EEDaS13_S14_EUlS13_E_NS1_11comp_targetILNS1_3genE5ELNS1_11target_archE942ELNS1_3gpuE9ELNS1_3repE0EEENS1_30default_config_static_selectorELNS0_4arch9wavefront6targetE0EEEvT1_ ; -- Begin function _ZN7rocprim17ROCPRIM_400000_NS6detail17trampoline_kernelINS0_14default_configENS1_25partition_config_selectorILNS1_17partition_subalgoE6EdNS0_10empty_typeEbEEZZNS1_14partition_implILS5_6ELb0ES3_mN6thrust23THRUST_200600_302600_NS6detail15normal_iteratorINSA_10device_ptrIdEEEEPS6_SG_NS0_5tupleIJSF_S6_EEENSH_IJSG_SG_EEES6_PlJNSB_9not_fun_tINSB_14equal_to_valueIdEEEEEEE10hipError_tPvRmT3_T4_T5_T6_T7_T9_mT8_P12ihipStream_tbDpT10_ENKUlT_T0_E_clISt17integral_constantIbLb1EES18_EEDaS13_S14_EUlS13_E_NS1_11comp_targetILNS1_3genE5ELNS1_11target_archE942ELNS1_3gpuE9ELNS1_3repE0EEENS1_30default_config_static_selectorELNS0_4arch9wavefront6targetE0EEEvT1_
	.globl	_ZN7rocprim17ROCPRIM_400000_NS6detail17trampoline_kernelINS0_14default_configENS1_25partition_config_selectorILNS1_17partition_subalgoE6EdNS0_10empty_typeEbEEZZNS1_14partition_implILS5_6ELb0ES3_mN6thrust23THRUST_200600_302600_NS6detail15normal_iteratorINSA_10device_ptrIdEEEEPS6_SG_NS0_5tupleIJSF_S6_EEENSH_IJSG_SG_EEES6_PlJNSB_9not_fun_tINSB_14equal_to_valueIdEEEEEEE10hipError_tPvRmT3_T4_T5_T6_T7_T9_mT8_P12ihipStream_tbDpT10_ENKUlT_T0_E_clISt17integral_constantIbLb1EES18_EEDaS13_S14_EUlS13_E_NS1_11comp_targetILNS1_3genE5ELNS1_11target_archE942ELNS1_3gpuE9ELNS1_3repE0EEENS1_30default_config_static_selectorELNS0_4arch9wavefront6targetE0EEEvT1_
	.p2align	8
	.type	_ZN7rocprim17ROCPRIM_400000_NS6detail17trampoline_kernelINS0_14default_configENS1_25partition_config_selectorILNS1_17partition_subalgoE6EdNS0_10empty_typeEbEEZZNS1_14partition_implILS5_6ELb0ES3_mN6thrust23THRUST_200600_302600_NS6detail15normal_iteratorINSA_10device_ptrIdEEEEPS6_SG_NS0_5tupleIJSF_S6_EEENSH_IJSG_SG_EEES6_PlJNSB_9not_fun_tINSB_14equal_to_valueIdEEEEEEE10hipError_tPvRmT3_T4_T5_T6_T7_T9_mT8_P12ihipStream_tbDpT10_ENKUlT_T0_E_clISt17integral_constantIbLb1EES18_EEDaS13_S14_EUlS13_E_NS1_11comp_targetILNS1_3genE5ELNS1_11target_archE942ELNS1_3gpuE9ELNS1_3repE0EEENS1_30default_config_static_selectorELNS0_4arch9wavefront6targetE0EEEvT1_,@function
_ZN7rocprim17ROCPRIM_400000_NS6detail17trampoline_kernelINS0_14default_configENS1_25partition_config_selectorILNS1_17partition_subalgoE6EdNS0_10empty_typeEbEEZZNS1_14partition_implILS5_6ELb0ES3_mN6thrust23THRUST_200600_302600_NS6detail15normal_iteratorINSA_10device_ptrIdEEEEPS6_SG_NS0_5tupleIJSF_S6_EEENSH_IJSG_SG_EEES6_PlJNSB_9not_fun_tINSB_14equal_to_valueIdEEEEEEE10hipError_tPvRmT3_T4_T5_T6_T7_T9_mT8_P12ihipStream_tbDpT10_ENKUlT_T0_E_clISt17integral_constantIbLb1EES18_EEDaS13_S14_EUlS13_E_NS1_11comp_targetILNS1_3genE5ELNS1_11target_archE942ELNS1_3gpuE9ELNS1_3repE0EEENS1_30default_config_static_selectorELNS0_4arch9wavefront6targetE0EEEvT1_: ; @_ZN7rocprim17ROCPRIM_400000_NS6detail17trampoline_kernelINS0_14default_configENS1_25partition_config_selectorILNS1_17partition_subalgoE6EdNS0_10empty_typeEbEEZZNS1_14partition_implILS5_6ELb0ES3_mN6thrust23THRUST_200600_302600_NS6detail15normal_iteratorINSA_10device_ptrIdEEEEPS6_SG_NS0_5tupleIJSF_S6_EEENSH_IJSG_SG_EEES6_PlJNSB_9not_fun_tINSB_14equal_to_valueIdEEEEEEE10hipError_tPvRmT3_T4_T5_T6_T7_T9_mT8_P12ihipStream_tbDpT10_ENKUlT_T0_E_clISt17integral_constantIbLb1EES18_EEDaS13_S14_EUlS13_E_NS1_11comp_targetILNS1_3genE5ELNS1_11target_archE942ELNS1_3gpuE9ELNS1_3repE0EEENS1_30default_config_static_selectorELNS0_4arch9wavefront6targetE0EEEvT1_
; %bb.0:
	.section	.rodata,"a",@progbits
	.p2align	6, 0x0
	.amdhsa_kernel _ZN7rocprim17ROCPRIM_400000_NS6detail17trampoline_kernelINS0_14default_configENS1_25partition_config_selectorILNS1_17partition_subalgoE6EdNS0_10empty_typeEbEEZZNS1_14partition_implILS5_6ELb0ES3_mN6thrust23THRUST_200600_302600_NS6detail15normal_iteratorINSA_10device_ptrIdEEEEPS6_SG_NS0_5tupleIJSF_S6_EEENSH_IJSG_SG_EEES6_PlJNSB_9not_fun_tINSB_14equal_to_valueIdEEEEEEE10hipError_tPvRmT3_T4_T5_T6_T7_T9_mT8_P12ihipStream_tbDpT10_ENKUlT_T0_E_clISt17integral_constantIbLb1EES18_EEDaS13_S14_EUlS13_E_NS1_11comp_targetILNS1_3genE5ELNS1_11target_archE942ELNS1_3gpuE9ELNS1_3repE0EEENS1_30default_config_static_selectorELNS0_4arch9wavefront6targetE0EEEvT1_
		.amdhsa_group_segment_fixed_size 0
		.amdhsa_private_segment_fixed_size 0
		.amdhsa_kernarg_size 128
		.amdhsa_user_sgpr_count 2
		.amdhsa_user_sgpr_dispatch_ptr 0
		.amdhsa_user_sgpr_queue_ptr 0
		.amdhsa_user_sgpr_kernarg_segment_ptr 1
		.amdhsa_user_sgpr_dispatch_id 0
		.amdhsa_user_sgpr_private_segment_size 0
		.amdhsa_wavefront_size32 1
		.amdhsa_uses_dynamic_stack 0
		.amdhsa_enable_private_segment 0
		.amdhsa_system_sgpr_workgroup_id_x 1
		.amdhsa_system_sgpr_workgroup_id_y 0
		.amdhsa_system_sgpr_workgroup_id_z 0
		.amdhsa_system_sgpr_workgroup_info 0
		.amdhsa_system_vgpr_workitem_id 0
		.amdhsa_next_free_vgpr 1
		.amdhsa_next_free_sgpr 1
		.amdhsa_reserve_vcc 0
		.amdhsa_float_round_mode_32 0
		.amdhsa_float_round_mode_16_64 0
		.amdhsa_float_denorm_mode_32 3
		.amdhsa_float_denorm_mode_16_64 3
		.amdhsa_fp16_overflow 0
		.amdhsa_workgroup_processor_mode 1
		.amdhsa_memory_ordered 1
		.amdhsa_forward_progress 1
		.amdhsa_inst_pref_size 0
		.amdhsa_round_robin_scheduling 0
		.amdhsa_exception_fp_ieee_invalid_op 0
		.amdhsa_exception_fp_denorm_src 0
		.amdhsa_exception_fp_ieee_div_zero 0
		.amdhsa_exception_fp_ieee_overflow 0
		.amdhsa_exception_fp_ieee_underflow 0
		.amdhsa_exception_fp_ieee_inexact 0
		.amdhsa_exception_int_div_zero 0
	.end_amdhsa_kernel
	.section	.text._ZN7rocprim17ROCPRIM_400000_NS6detail17trampoline_kernelINS0_14default_configENS1_25partition_config_selectorILNS1_17partition_subalgoE6EdNS0_10empty_typeEbEEZZNS1_14partition_implILS5_6ELb0ES3_mN6thrust23THRUST_200600_302600_NS6detail15normal_iteratorINSA_10device_ptrIdEEEEPS6_SG_NS0_5tupleIJSF_S6_EEENSH_IJSG_SG_EEES6_PlJNSB_9not_fun_tINSB_14equal_to_valueIdEEEEEEE10hipError_tPvRmT3_T4_T5_T6_T7_T9_mT8_P12ihipStream_tbDpT10_ENKUlT_T0_E_clISt17integral_constantIbLb1EES18_EEDaS13_S14_EUlS13_E_NS1_11comp_targetILNS1_3genE5ELNS1_11target_archE942ELNS1_3gpuE9ELNS1_3repE0EEENS1_30default_config_static_selectorELNS0_4arch9wavefront6targetE0EEEvT1_,"axG",@progbits,_ZN7rocprim17ROCPRIM_400000_NS6detail17trampoline_kernelINS0_14default_configENS1_25partition_config_selectorILNS1_17partition_subalgoE6EdNS0_10empty_typeEbEEZZNS1_14partition_implILS5_6ELb0ES3_mN6thrust23THRUST_200600_302600_NS6detail15normal_iteratorINSA_10device_ptrIdEEEEPS6_SG_NS0_5tupleIJSF_S6_EEENSH_IJSG_SG_EEES6_PlJNSB_9not_fun_tINSB_14equal_to_valueIdEEEEEEE10hipError_tPvRmT3_T4_T5_T6_T7_T9_mT8_P12ihipStream_tbDpT10_ENKUlT_T0_E_clISt17integral_constantIbLb1EES18_EEDaS13_S14_EUlS13_E_NS1_11comp_targetILNS1_3genE5ELNS1_11target_archE942ELNS1_3gpuE9ELNS1_3repE0EEENS1_30default_config_static_selectorELNS0_4arch9wavefront6targetE0EEEvT1_,comdat
.Lfunc_end286:
	.size	_ZN7rocprim17ROCPRIM_400000_NS6detail17trampoline_kernelINS0_14default_configENS1_25partition_config_selectorILNS1_17partition_subalgoE6EdNS0_10empty_typeEbEEZZNS1_14partition_implILS5_6ELb0ES3_mN6thrust23THRUST_200600_302600_NS6detail15normal_iteratorINSA_10device_ptrIdEEEEPS6_SG_NS0_5tupleIJSF_S6_EEENSH_IJSG_SG_EEES6_PlJNSB_9not_fun_tINSB_14equal_to_valueIdEEEEEEE10hipError_tPvRmT3_T4_T5_T6_T7_T9_mT8_P12ihipStream_tbDpT10_ENKUlT_T0_E_clISt17integral_constantIbLb1EES18_EEDaS13_S14_EUlS13_E_NS1_11comp_targetILNS1_3genE5ELNS1_11target_archE942ELNS1_3gpuE9ELNS1_3repE0EEENS1_30default_config_static_selectorELNS0_4arch9wavefront6targetE0EEEvT1_, .Lfunc_end286-_ZN7rocprim17ROCPRIM_400000_NS6detail17trampoline_kernelINS0_14default_configENS1_25partition_config_selectorILNS1_17partition_subalgoE6EdNS0_10empty_typeEbEEZZNS1_14partition_implILS5_6ELb0ES3_mN6thrust23THRUST_200600_302600_NS6detail15normal_iteratorINSA_10device_ptrIdEEEEPS6_SG_NS0_5tupleIJSF_S6_EEENSH_IJSG_SG_EEES6_PlJNSB_9not_fun_tINSB_14equal_to_valueIdEEEEEEE10hipError_tPvRmT3_T4_T5_T6_T7_T9_mT8_P12ihipStream_tbDpT10_ENKUlT_T0_E_clISt17integral_constantIbLb1EES18_EEDaS13_S14_EUlS13_E_NS1_11comp_targetILNS1_3genE5ELNS1_11target_archE942ELNS1_3gpuE9ELNS1_3repE0EEENS1_30default_config_static_selectorELNS0_4arch9wavefront6targetE0EEEvT1_
                                        ; -- End function
	.set _ZN7rocprim17ROCPRIM_400000_NS6detail17trampoline_kernelINS0_14default_configENS1_25partition_config_selectorILNS1_17partition_subalgoE6EdNS0_10empty_typeEbEEZZNS1_14partition_implILS5_6ELb0ES3_mN6thrust23THRUST_200600_302600_NS6detail15normal_iteratorINSA_10device_ptrIdEEEEPS6_SG_NS0_5tupleIJSF_S6_EEENSH_IJSG_SG_EEES6_PlJNSB_9not_fun_tINSB_14equal_to_valueIdEEEEEEE10hipError_tPvRmT3_T4_T5_T6_T7_T9_mT8_P12ihipStream_tbDpT10_ENKUlT_T0_E_clISt17integral_constantIbLb1EES18_EEDaS13_S14_EUlS13_E_NS1_11comp_targetILNS1_3genE5ELNS1_11target_archE942ELNS1_3gpuE9ELNS1_3repE0EEENS1_30default_config_static_selectorELNS0_4arch9wavefront6targetE0EEEvT1_.num_vgpr, 0
	.set _ZN7rocprim17ROCPRIM_400000_NS6detail17trampoline_kernelINS0_14default_configENS1_25partition_config_selectorILNS1_17partition_subalgoE6EdNS0_10empty_typeEbEEZZNS1_14partition_implILS5_6ELb0ES3_mN6thrust23THRUST_200600_302600_NS6detail15normal_iteratorINSA_10device_ptrIdEEEEPS6_SG_NS0_5tupleIJSF_S6_EEENSH_IJSG_SG_EEES6_PlJNSB_9not_fun_tINSB_14equal_to_valueIdEEEEEEE10hipError_tPvRmT3_T4_T5_T6_T7_T9_mT8_P12ihipStream_tbDpT10_ENKUlT_T0_E_clISt17integral_constantIbLb1EES18_EEDaS13_S14_EUlS13_E_NS1_11comp_targetILNS1_3genE5ELNS1_11target_archE942ELNS1_3gpuE9ELNS1_3repE0EEENS1_30default_config_static_selectorELNS0_4arch9wavefront6targetE0EEEvT1_.num_agpr, 0
	.set _ZN7rocprim17ROCPRIM_400000_NS6detail17trampoline_kernelINS0_14default_configENS1_25partition_config_selectorILNS1_17partition_subalgoE6EdNS0_10empty_typeEbEEZZNS1_14partition_implILS5_6ELb0ES3_mN6thrust23THRUST_200600_302600_NS6detail15normal_iteratorINSA_10device_ptrIdEEEEPS6_SG_NS0_5tupleIJSF_S6_EEENSH_IJSG_SG_EEES6_PlJNSB_9not_fun_tINSB_14equal_to_valueIdEEEEEEE10hipError_tPvRmT3_T4_T5_T6_T7_T9_mT8_P12ihipStream_tbDpT10_ENKUlT_T0_E_clISt17integral_constantIbLb1EES18_EEDaS13_S14_EUlS13_E_NS1_11comp_targetILNS1_3genE5ELNS1_11target_archE942ELNS1_3gpuE9ELNS1_3repE0EEENS1_30default_config_static_selectorELNS0_4arch9wavefront6targetE0EEEvT1_.numbered_sgpr, 0
	.set _ZN7rocprim17ROCPRIM_400000_NS6detail17trampoline_kernelINS0_14default_configENS1_25partition_config_selectorILNS1_17partition_subalgoE6EdNS0_10empty_typeEbEEZZNS1_14partition_implILS5_6ELb0ES3_mN6thrust23THRUST_200600_302600_NS6detail15normal_iteratorINSA_10device_ptrIdEEEEPS6_SG_NS0_5tupleIJSF_S6_EEENSH_IJSG_SG_EEES6_PlJNSB_9not_fun_tINSB_14equal_to_valueIdEEEEEEE10hipError_tPvRmT3_T4_T5_T6_T7_T9_mT8_P12ihipStream_tbDpT10_ENKUlT_T0_E_clISt17integral_constantIbLb1EES18_EEDaS13_S14_EUlS13_E_NS1_11comp_targetILNS1_3genE5ELNS1_11target_archE942ELNS1_3gpuE9ELNS1_3repE0EEENS1_30default_config_static_selectorELNS0_4arch9wavefront6targetE0EEEvT1_.num_named_barrier, 0
	.set _ZN7rocprim17ROCPRIM_400000_NS6detail17trampoline_kernelINS0_14default_configENS1_25partition_config_selectorILNS1_17partition_subalgoE6EdNS0_10empty_typeEbEEZZNS1_14partition_implILS5_6ELb0ES3_mN6thrust23THRUST_200600_302600_NS6detail15normal_iteratorINSA_10device_ptrIdEEEEPS6_SG_NS0_5tupleIJSF_S6_EEENSH_IJSG_SG_EEES6_PlJNSB_9not_fun_tINSB_14equal_to_valueIdEEEEEEE10hipError_tPvRmT3_T4_T5_T6_T7_T9_mT8_P12ihipStream_tbDpT10_ENKUlT_T0_E_clISt17integral_constantIbLb1EES18_EEDaS13_S14_EUlS13_E_NS1_11comp_targetILNS1_3genE5ELNS1_11target_archE942ELNS1_3gpuE9ELNS1_3repE0EEENS1_30default_config_static_selectorELNS0_4arch9wavefront6targetE0EEEvT1_.private_seg_size, 0
	.set _ZN7rocprim17ROCPRIM_400000_NS6detail17trampoline_kernelINS0_14default_configENS1_25partition_config_selectorILNS1_17partition_subalgoE6EdNS0_10empty_typeEbEEZZNS1_14partition_implILS5_6ELb0ES3_mN6thrust23THRUST_200600_302600_NS6detail15normal_iteratorINSA_10device_ptrIdEEEEPS6_SG_NS0_5tupleIJSF_S6_EEENSH_IJSG_SG_EEES6_PlJNSB_9not_fun_tINSB_14equal_to_valueIdEEEEEEE10hipError_tPvRmT3_T4_T5_T6_T7_T9_mT8_P12ihipStream_tbDpT10_ENKUlT_T0_E_clISt17integral_constantIbLb1EES18_EEDaS13_S14_EUlS13_E_NS1_11comp_targetILNS1_3genE5ELNS1_11target_archE942ELNS1_3gpuE9ELNS1_3repE0EEENS1_30default_config_static_selectorELNS0_4arch9wavefront6targetE0EEEvT1_.uses_vcc, 0
	.set _ZN7rocprim17ROCPRIM_400000_NS6detail17trampoline_kernelINS0_14default_configENS1_25partition_config_selectorILNS1_17partition_subalgoE6EdNS0_10empty_typeEbEEZZNS1_14partition_implILS5_6ELb0ES3_mN6thrust23THRUST_200600_302600_NS6detail15normal_iteratorINSA_10device_ptrIdEEEEPS6_SG_NS0_5tupleIJSF_S6_EEENSH_IJSG_SG_EEES6_PlJNSB_9not_fun_tINSB_14equal_to_valueIdEEEEEEE10hipError_tPvRmT3_T4_T5_T6_T7_T9_mT8_P12ihipStream_tbDpT10_ENKUlT_T0_E_clISt17integral_constantIbLb1EES18_EEDaS13_S14_EUlS13_E_NS1_11comp_targetILNS1_3genE5ELNS1_11target_archE942ELNS1_3gpuE9ELNS1_3repE0EEENS1_30default_config_static_selectorELNS0_4arch9wavefront6targetE0EEEvT1_.uses_flat_scratch, 0
	.set _ZN7rocprim17ROCPRIM_400000_NS6detail17trampoline_kernelINS0_14default_configENS1_25partition_config_selectorILNS1_17partition_subalgoE6EdNS0_10empty_typeEbEEZZNS1_14partition_implILS5_6ELb0ES3_mN6thrust23THRUST_200600_302600_NS6detail15normal_iteratorINSA_10device_ptrIdEEEEPS6_SG_NS0_5tupleIJSF_S6_EEENSH_IJSG_SG_EEES6_PlJNSB_9not_fun_tINSB_14equal_to_valueIdEEEEEEE10hipError_tPvRmT3_T4_T5_T6_T7_T9_mT8_P12ihipStream_tbDpT10_ENKUlT_T0_E_clISt17integral_constantIbLb1EES18_EEDaS13_S14_EUlS13_E_NS1_11comp_targetILNS1_3genE5ELNS1_11target_archE942ELNS1_3gpuE9ELNS1_3repE0EEENS1_30default_config_static_selectorELNS0_4arch9wavefront6targetE0EEEvT1_.has_dyn_sized_stack, 0
	.set _ZN7rocprim17ROCPRIM_400000_NS6detail17trampoline_kernelINS0_14default_configENS1_25partition_config_selectorILNS1_17partition_subalgoE6EdNS0_10empty_typeEbEEZZNS1_14partition_implILS5_6ELb0ES3_mN6thrust23THRUST_200600_302600_NS6detail15normal_iteratorINSA_10device_ptrIdEEEEPS6_SG_NS0_5tupleIJSF_S6_EEENSH_IJSG_SG_EEES6_PlJNSB_9not_fun_tINSB_14equal_to_valueIdEEEEEEE10hipError_tPvRmT3_T4_T5_T6_T7_T9_mT8_P12ihipStream_tbDpT10_ENKUlT_T0_E_clISt17integral_constantIbLb1EES18_EEDaS13_S14_EUlS13_E_NS1_11comp_targetILNS1_3genE5ELNS1_11target_archE942ELNS1_3gpuE9ELNS1_3repE0EEENS1_30default_config_static_selectorELNS0_4arch9wavefront6targetE0EEEvT1_.has_recursion, 0
	.set _ZN7rocprim17ROCPRIM_400000_NS6detail17trampoline_kernelINS0_14default_configENS1_25partition_config_selectorILNS1_17partition_subalgoE6EdNS0_10empty_typeEbEEZZNS1_14partition_implILS5_6ELb0ES3_mN6thrust23THRUST_200600_302600_NS6detail15normal_iteratorINSA_10device_ptrIdEEEEPS6_SG_NS0_5tupleIJSF_S6_EEENSH_IJSG_SG_EEES6_PlJNSB_9not_fun_tINSB_14equal_to_valueIdEEEEEEE10hipError_tPvRmT3_T4_T5_T6_T7_T9_mT8_P12ihipStream_tbDpT10_ENKUlT_T0_E_clISt17integral_constantIbLb1EES18_EEDaS13_S14_EUlS13_E_NS1_11comp_targetILNS1_3genE5ELNS1_11target_archE942ELNS1_3gpuE9ELNS1_3repE0EEENS1_30default_config_static_selectorELNS0_4arch9wavefront6targetE0EEEvT1_.has_indirect_call, 0
	.section	.AMDGPU.csdata,"",@progbits
; Kernel info:
; codeLenInByte = 0
; TotalNumSgprs: 0
; NumVgprs: 0
; ScratchSize: 0
; MemoryBound: 0
; FloatMode: 240
; IeeeMode: 1
; LDSByteSize: 0 bytes/workgroup (compile time only)
; SGPRBlocks: 0
; VGPRBlocks: 0
; NumSGPRsForWavesPerEU: 1
; NumVGPRsForWavesPerEU: 1
; Occupancy: 16
; WaveLimiterHint : 0
; COMPUTE_PGM_RSRC2:SCRATCH_EN: 0
; COMPUTE_PGM_RSRC2:USER_SGPR: 2
; COMPUTE_PGM_RSRC2:TRAP_HANDLER: 0
; COMPUTE_PGM_RSRC2:TGID_X_EN: 1
; COMPUTE_PGM_RSRC2:TGID_Y_EN: 0
; COMPUTE_PGM_RSRC2:TGID_Z_EN: 0
; COMPUTE_PGM_RSRC2:TIDIG_COMP_CNT: 0
	.section	.text._ZN7rocprim17ROCPRIM_400000_NS6detail17trampoline_kernelINS0_14default_configENS1_25partition_config_selectorILNS1_17partition_subalgoE6EdNS0_10empty_typeEbEEZZNS1_14partition_implILS5_6ELb0ES3_mN6thrust23THRUST_200600_302600_NS6detail15normal_iteratorINSA_10device_ptrIdEEEEPS6_SG_NS0_5tupleIJSF_S6_EEENSH_IJSG_SG_EEES6_PlJNSB_9not_fun_tINSB_14equal_to_valueIdEEEEEEE10hipError_tPvRmT3_T4_T5_T6_T7_T9_mT8_P12ihipStream_tbDpT10_ENKUlT_T0_E_clISt17integral_constantIbLb1EES18_EEDaS13_S14_EUlS13_E_NS1_11comp_targetILNS1_3genE4ELNS1_11target_archE910ELNS1_3gpuE8ELNS1_3repE0EEENS1_30default_config_static_selectorELNS0_4arch9wavefront6targetE0EEEvT1_,"axG",@progbits,_ZN7rocprim17ROCPRIM_400000_NS6detail17trampoline_kernelINS0_14default_configENS1_25partition_config_selectorILNS1_17partition_subalgoE6EdNS0_10empty_typeEbEEZZNS1_14partition_implILS5_6ELb0ES3_mN6thrust23THRUST_200600_302600_NS6detail15normal_iteratorINSA_10device_ptrIdEEEEPS6_SG_NS0_5tupleIJSF_S6_EEENSH_IJSG_SG_EEES6_PlJNSB_9not_fun_tINSB_14equal_to_valueIdEEEEEEE10hipError_tPvRmT3_T4_T5_T6_T7_T9_mT8_P12ihipStream_tbDpT10_ENKUlT_T0_E_clISt17integral_constantIbLb1EES18_EEDaS13_S14_EUlS13_E_NS1_11comp_targetILNS1_3genE4ELNS1_11target_archE910ELNS1_3gpuE8ELNS1_3repE0EEENS1_30default_config_static_selectorELNS0_4arch9wavefront6targetE0EEEvT1_,comdat
	.protected	_ZN7rocprim17ROCPRIM_400000_NS6detail17trampoline_kernelINS0_14default_configENS1_25partition_config_selectorILNS1_17partition_subalgoE6EdNS0_10empty_typeEbEEZZNS1_14partition_implILS5_6ELb0ES3_mN6thrust23THRUST_200600_302600_NS6detail15normal_iteratorINSA_10device_ptrIdEEEEPS6_SG_NS0_5tupleIJSF_S6_EEENSH_IJSG_SG_EEES6_PlJNSB_9not_fun_tINSB_14equal_to_valueIdEEEEEEE10hipError_tPvRmT3_T4_T5_T6_T7_T9_mT8_P12ihipStream_tbDpT10_ENKUlT_T0_E_clISt17integral_constantIbLb1EES18_EEDaS13_S14_EUlS13_E_NS1_11comp_targetILNS1_3genE4ELNS1_11target_archE910ELNS1_3gpuE8ELNS1_3repE0EEENS1_30default_config_static_selectorELNS0_4arch9wavefront6targetE0EEEvT1_ ; -- Begin function _ZN7rocprim17ROCPRIM_400000_NS6detail17trampoline_kernelINS0_14default_configENS1_25partition_config_selectorILNS1_17partition_subalgoE6EdNS0_10empty_typeEbEEZZNS1_14partition_implILS5_6ELb0ES3_mN6thrust23THRUST_200600_302600_NS6detail15normal_iteratorINSA_10device_ptrIdEEEEPS6_SG_NS0_5tupleIJSF_S6_EEENSH_IJSG_SG_EEES6_PlJNSB_9not_fun_tINSB_14equal_to_valueIdEEEEEEE10hipError_tPvRmT3_T4_T5_T6_T7_T9_mT8_P12ihipStream_tbDpT10_ENKUlT_T0_E_clISt17integral_constantIbLb1EES18_EEDaS13_S14_EUlS13_E_NS1_11comp_targetILNS1_3genE4ELNS1_11target_archE910ELNS1_3gpuE8ELNS1_3repE0EEENS1_30default_config_static_selectorELNS0_4arch9wavefront6targetE0EEEvT1_
	.globl	_ZN7rocprim17ROCPRIM_400000_NS6detail17trampoline_kernelINS0_14default_configENS1_25partition_config_selectorILNS1_17partition_subalgoE6EdNS0_10empty_typeEbEEZZNS1_14partition_implILS5_6ELb0ES3_mN6thrust23THRUST_200600_302600_NS6detail15normal_iteratorINSA_10device_ptrIdEEEEPS6_SG_NS0_5tupleIJSF_S6_EEENSH_IJSG_SG_EEES6_PlJNSB_9not_fun_tINSB_14equal_to_valueIdEEEEEEE10hipError_tPvRmT3_T4_T5_T6_T7_T9_mT8_P12ihipStream_tbDpT10_ENKUlT_T0_E_clISt17integral_constantIbLb1EES18_EEDaS13_S14_EUlS13_E_NS1_11comp_targetILNS1_3genE4ELNS1_11target_archE910ELNS1_3gpuE8ELNS1_3repE0EEENS1_30default_config_static_selectorELNS0_4arch9wavefront6targetE0EEEvT1_
	.p2align	8
	.type	_ZN7rocprim17ROCPRIM_400000_NS6detail17trampoline_kernelINS0_14default_configENS1_25partition_config_selectorILNS1_17partition_subalgoE6EdNS0_10empty_typeEbEEZZNS1_14partition_implILS5_6ELb0ES3_mN6thrust23THRUST_200600_302600_NS6detail15normal_iteratorINSA_10device_ptrIdEEEEPS6_SG_NS0_5tupleIJSF_S6_EEENSH_IJSG_SG_EEES6_PlJNSB_9not_fun_tINSB_14equal_to_valueIdEEEEEEE10hipError_tPvRmT3_T4_T5_T6_T7_T9_mT8_P12ihipStream_tbDpT10_ENKUlT_T0_E_clISt17integral_constantIbLb1EES18_EEDaS13_S14_EUlS13_E_NS1_11comp_targetILNS1_3genE4ELNS1_11target_archE910ELNS1_3gpuE8ELNS1_3repE0EEENS1_30default_config_static_selectorELNS0_4arch9wavefront6targetE0EEEvT1_,@function
_ZN7rocprim17ROCPRIM_400000_NS6detail17trampoline_kernelINS0_14default_configENS1_25partition_config_selectorILNS1_17partition_subalgoE6EdNS0_10empty_typeEbEEZZNS1_14partition_implILS5_6ELb0ES3_mN6thrust23THRUST_200600_302600_NS6detail15normal_iteratorINSA_10device_ptrIdEEEEPS6_SG_NS0_5tupleIJSF_S6_EEENSH_IJSG_SG_EEES6_PlJNSB_9not_fun_tINSB_14equal_to_valueIdEEEEEEE10hipError_tPvRmT3_T4_T5_T6_T7_T9_mT8_P12ihipStream_tbDpT10_ENKUlT_T0_E_clISt17integral_constantIbLb1EES18_EEDaS13_S14_EUlS13_E_NS1_11comp_targetILNS1_3genE4ELNS1_11target_archE910ELNS1_3gpuE8ELNS1_3repE0EEENS1_30default_config_static_selectorELNS0_4arch9wavefront6targetE0EEEvT1_: ; @_ZN7rocprim17ROCPRIM_400000_NS6detail17trampoline_kernelINS0_14default_configENS1_25partition_config_selectorILNS1_17partition_subalgoE6EdNS0_10empty_typeEbEEZZNS1_14partition_implILS5_6ELb0ES3_mN6thrust23THRUST_200600_302600_NS6detail15normal_iteratorINSA_10device_ptrIdEEEEPS6_SG_NS0_5tupleIJSF_S6_EEENSH_IJSG_SG_EEES6_PlJNSB_9not_fun_tINSB_14equal_to_valueIdEEEEEEE10hipError_tPvRmT3_T4_T5_T6_T7_T9_mT8_P12ihipStream_tbDpT10_ENKUlT_T0_E_clISt17integral_constantIbLb1EES18_EEDaS13_S14_EUlS13_E_NS1_11comp_targetILNS1_3genE4ELNS1_11target_archE910ELNS1_3gpuE8ELNS1_3repE0EEENS1_30default_config_static_selectorELNS0_4arch9wavefront6targetE0EEEvT1_
; %bb.0:
	.section	.rodata,"a",@progbits
	.p2align	6, 0x0
	.amdhsa_kernel _ZN7rocprim17ROCPRIM_400000_NS6detail17trampoline_kernelINS0_14default_configENS1_25partition_config_selectorILNS1_17partition_subalgoE6EdNS0_10empty_typeEbEEZZNS1_14partition_implILS5_6ELb0ES3_mN6thrust23THRUST_200600_302600_NS6detail15normal_iteratorINSA_10device_ptrIdEEEEPS6_SG_NS0_5tupleIJSF_S6_EEENSH_IJSG_SG_EEES6_PlJNSB_9not_fun_tINSB_14equal_to_valueIdEEEEEEE10hipError_tPvRmT3_T4_T5_T6_T7_T9_mT8_P12ihipStream_tbDpT10_ENKUlT_T0_E_clISt17integral_constantIbLb1EES18_EEDaS13_S14_EUlS13_E_NS1_11comp_targetILNS1_3genE4ELNS1_11target_archE910ELNS1_3gpuE8ELNS1_3repE0EEENS1_30default_config_static_selectorELNS0_4arch9wavefront6targetE0EEEvT1_
		.amdhsa_group_segment_fixed_size 0
		.amdhsa_private_segment_fixed_size 0
		.amdhsa_kernarg_size 128
		.amdhsa_user_sgpr_count 2
		.amdhsa_user_sgpr_dispatch_ptr 0
		.amdhsa_user_sgpr_queue_ptr 0
		.amdhsa_user_sgpr_kernarg_segment_ptr 1
		.amdhsa_user_sgpr_dispatch_id 0
		.amdhsa_user_sgpr_private_segment_size 0
		.amdhsa_wavefront_size32 1
		.amdhsa_uses_dynamic_stack 0
		.amdhsa_enable_private_segment 0
		.amdhsa_system_sgpr_workgroup_id_x 1
		.amdhsa_system_sgpr_workgroup_id_y 0
		.amdhsa_system_sgpr_workgroup_id_z 0
		.amdhsa_system_sgpr_workgroup_info 0
		.amdhsa_system_vgpr_workitem_id 0
		.amdhsa_next_free_vgpr 1
		.amdhsa_next_free_sgpr 1
		.amdhsa_reserve_vcc 0
		.amdhsa_float_round_mode_32 0
		.amdhsa_float_round_mode_16_64 0
		.amdhsa_float_denorm_mode_32 3
		.amdhsa_float_denorm_mode_16_64 3
		.amdhsa_fp16_overflow 0
		.amdhsa_workgroup_processor_mode 1
		.amdhsa_memory_ordered 1
		.amdhsa_forward_progress 1
		.amdhsa_inst_pref_size 0
		.amdhsa_round_robin_scheduling 0
		.amdhsa_exception_fp_ieee_invalid_op 0
		.amdhsa_exception_fp_denorm_src 0
		.amdhsa_exception_fp_ieee_div_zero 0
		.amdhsa_exception_fp_ieee_overflow 0
		.amdhsa_exception_fp_ieee_underflow 0
		.amdhsa_exception_fp_ieee_inexact 0
		.amdhsa_exception_int_div_zero 0
	.end_amdhsa_kernel
	.section	.text._ZN7rocprim17ROCPRIM_400000_NS6detail17trampoline_kernelINS0_14default_configENS1_25partition_config_selectorILNS1_17partition_subalgoE6EdNS0_10empty_typeEbEEZZNS1_14partition_implILS5_6ELb0ES3_mN6thrust23THRUST_200600_302600_NS6detail15normal_iteratorINSA_10device_ptrIdEEEEPS6_SG_NS0_5tupleIJSF_S6_EEENSH_IJSG_SG_EEES6_PlJNSB_9not_fun_tINSB_14equal_to_valueIdEEEEEEE10hipError_tPvRmT3_T4_T5_T6_T7_T9_mT8_P12ihipStream_tbDpT10_ENKUlT_T0_E_clISt17integral_constantIbLb1EES18_EEDaS13_S14_EUlS13_E_NS1_11comp_targetILNS1_3genE4ELNS1_11target_archE910ELNS1_3gpuE8ELNS1_3repE0EEENS1_30default_config_static_selectorELNS0_4arch9wavefront6targetE0EEEvT1_,"axG",@progbits,_ZN7rocprim17ROCPRIM_400000_NS6detail17trampoline_kernelINS0_14default_configENS1_25partition_config_selectorILNS1_17partition_subalgoE6EdNS0_10empty_typeEbEEZZNS1_14partition_implILS5_6ELb0ES3_mN6thrust23THRUST_200600_302600_NS6detail15normal_iteratorINSA_10device_ptrIdEEEEPS6_SG_NS0_5tupleIJSF_S6_EEENSH_IJSG_SG_EEES6_PlJNSB_9not_fun_tINSB_14equal_to_valueIdEEEEEEE10hipError_tPvRmT3_T4_T5_T6_T7_T9_mT8_P12ihipStream_tbDpT10_ENKUlT_T0_E_clISt17integral_constantIbLb1EES18_EEDaS13_S14_EUlS13_E_NS1_11comp_targetILNS1_3genE4ELNS1_11target_archE910ELNS1_3gpuE8ELNS1_3repE0EEENS1_30default_config_static_selectorELNS0_4arch9wavefront6targetE0EEEvT1_,comdat
.Lfunc_end287:
	.size	_ZN7rocprim17ROCPRIM_400000_NS6detail17trampoline_kernelINS0_14default_configENS1_25partition_config_selectorILNS1_17partition_subalgoE6EdNS0_10empty_typeEbEEZZNS1_14partition_implILS5_6ELb0ES3_mN6thrust23THRUST_200600_302600_NS6detail15normal_iteratorINSA_10device_ptrIdEEEEPS6_SG_NS0_5tupleIJSF_S6_EEENSH_IJSG_SG_EEES6_PlJNSB_9not_fun_tINSB_14equal_to_valueIdEEEEEEE10hipError_tPvRmT3_T4_T5_T6_T7_T9_mT8_P12ihipStream_tbDpT10_ENKUlT_T0_E_clISt17integral_constantIbLb1EES18_EEDaS13_S14_EUlS13_E_NS1_11comp_targetILNS1_3genE4ELNS1_11target_archE910ELNS1_3gpuE8ELNS1_3repE0EEENS1_30default_config_static_selectorELNS0_4arch9wavefront6targetE0EEEvT1_, .Lfunc_end287-_ZN7rocprim17ROCPRIM_400000_NS6detail17trampoline_kernelINS0_14default_configENS1_25partition_config_selectorILNS1_17partition_subalgoE6EdNS0_10empty_typeEbEEZZNS1_14partition_implILS5_6ELb0ES3_mN6thrust23THRUST_200600_302600_NS6detail15normal_iteratorINSA_10device_ptrIdEEEEPS6_SG_NS0_5tupleIJSF_S6_EEENSH_IJSG_SG_EEES6_PlJNSB_9not_fun_tINSB_14equal_to_valueIdEEEEEEE10hipError_tPvRmT3_T4_T5_T6_T7_T9_mT8_P12ihipStream_tbDpT10_ENKUlT_T0_E_clISt17integral_constantIbLb1EES18_EEDaS13_S14_EUlS13_E_NS1_11comp_targetILNS1_3genE4ELNS1_11target_archE910ELNS1_3gpuE8ELNS1_3repE0EEENS1_30default_config_static_selectorELNS0_4arch9wavefront6targetE0EEEvT1_
                                        ; -- End function
	.set _ZN7rocprim17ROCPRIM_400000_NS6detail17trampoline_kernelINS0_14default_configENS1_25partition_config_selectorILNS1_17partition_subalgoE6EdNS0_10empty_typeEbEEZZNS1_14partition_implILS5_6ELb0ES3_mN6thrust23THRUST_200600_302600_NS6detail15normal_iteratorINSA_10device_ptrIdEEEEPS6_SG_NS0_5tupleIJSF_S6_EEENSH_IJSG_SG_EEES6_PlJNSB_9not_fun_tINSB_14equal_to_valueIdEEEEEEE10hipError_tPvRmT3_T4_T5_T6_T7_T9_mT8_P12ihipStream_tbDpT10_ENKUlT_T0_E_clISt17integral_constantIbLb1EES18_EEDaS13_S14_EUlS13_E_NS1_11comp_targetILNS1_3genE4ELNS1_11target_archE910ELNS1_3gpuE8ELNS1_3repE0EEENS1_30default_config_static_selectorELNS0_4arch9wavefront6targetE0EEEvT1_.num_vgpr, 0
	.set _ZN7rocprim17ROCPRIM_400000_NS6detail17trampoline_kernelINS0_14default_configENS1_25partition_config_selectorILNS1_17partition_subalgoE6EdNS0_10empty_typeEbEEZZNS1_14partition_implILS5_6ELb0ES3_mN6thrust23THRUST_200600_302600_NS6detail15normal_iteratorINSA_10device_ptrIdEEEEPS6_SG_NS0_5tupleIJSF_S6_EEENSH_IJSG_SG_EEES6_PlJNSB_9not_fun_tINSB_14equal_to_valueIdEEEEEEE10hipError_tPvRmT3_T4_T5_T6_T7_T9_mT8_P12ihipStream_tbDpT10_ENKUlT_T0_E_clISt17integral_constantIbLb1EES18_EEDaS13_S14_EUlS13_E_NS1_11comp_targetILNS1_3genE4ELNS1_11target_archE910ELNS1_3gpuE8ELNS1_3repE0EEENS1_30default_config_static_selectorELNS0_4arch9wavefront6targetE0EEEvT1_.num_agpr, 0
	.set _ZN7rocprim17ROCPRIM_400000_NS6detail17trampoline_kernelINS0_14default_configENS1_25partition_config_selectorILNS1_17partition_subalgoE6EdNS0_10empty_typeEbEEZZNS1_14partition_implILS5_6ELb0ES3_mN6thrust23THRUST_200600_302600_NS6detail15normal_iteratorINSA_10device_ptrIdEEEEPS6_SG_NS0_5tupleIJSF_S6_EEENSH_IJSG_SG_EEES6_PlJNSB_9not_fun_tINSB_14equal_to_valueIdEEEEEEE10hipError_tPvRmT3_T4_T5_T6_T7_T9_mT8_P12ihipStream_tbDpT10_ENKUlT_T0_E_clISt17integral_constantIbLb1EES18_EEDaS13_S14_EUlS13_E_NS1_11comp_targetILNS1_3genE4ELNS1_11target_archE910ELNS1_3gpuE8ELNS1_3repE0EEENS1_30default_config_static_selectorELNS0_4arch9wavefront6targetE0EEEvT1_.numbered_sgpr, 0
	.set _ZN7rocprim17ROCPRIM_400000_NS6detail17trampoline_kernelINS0_14default_configENS1_25partition_config_selectorILNS1_17partition_subalgoE6EdNS0_10empty_typeEbEEZZNS1_14partition_implILS5_6ELb0ES3_mN6thrust23THRUST_200600_302600_NS6detail15normal_iteratorINSA_10device_ptrIdEEEEPS6_SG_NS0_5tupleIJSF_S6_EEENSH_IJSG_SG_EEES6_PlJNSB_9not_fun_tINSB_14equal_to_valueIdEEEEEEE10hipError_tPvRmT3_T4_T5_T6_T7_T9_mT8_P12ihipStream_tbDpT10_ENKUlT_T0_E_clISt17integral_constantIbLb1EES18_EEDaS13_S14_EUlS13_E_NS1_11comp_targetILNS1_3genE4ELNS1_11target_archE910ELNS1_3gpuE8ELNS1_3repE0EEENS1_30default_config_static_selectorELNS0_4arch9wavefront6targetE0EEEvT1_.num_named_barrier, 0
	.set _ZN7rocprim17ROCPRIM_400000_NS6detail17trampoline_kernelINS0_14default_configENS1_25partition_config_selectorILNS1_17partition_subalgoE6EdNS0_10empty_typeEbEEZZNS1_14partition_implILS5_6ELb0ES3_mN6thrust23THRUST_200600_302600_NS6detail15normal_iteratorINSA_10device_ptrIdEEEEPS6_SG_NS0_5tupleIJSF_S6_EEENSH_IJSG_SG_EEES6_PlJNSB_9not_fun_tINSB_14equal_to_valueIdEEEEEEE10hipError_tPvRmT3_T4_T5_T6_T7_T9_mT8_P12ihipStream_tbDpT10_ENKUlT_T0_E_clISt17integral_constantIbLb1EES18_EEDaS13_S14_EUlS13_E_NS1_11comp_targetILNS1_3genE4ELNS1_11target_archE910ELNS1_3gpuE8ELNS1_3repE0EEENS1_30default_config_static_selectorELNS0_4arch9wavefront6targetE0EEEvT1_.private_seg_size, 0
	.set _ZN7rocprim17ROCPRIM_400000_NS6detail17trampoline_kernelINS0_14default_configENS1_25partition_config_selectorILNS1_17partition_subalgoE6EdNS0_10empty_typeEbEEZZNS1_14partition_implILS5_6ELb0ES3_mN6thrust23THRUST_200600_302600_NS6detail15normal_iteratorINSA_10device_ptrIdEEEEPS6_SG_NS0_5tupleIJSF_S6_EEENSH_IJSG_SG_EEES6_PlJNSB_9not_fun_tINSB_14equal_to_valueIdEEEEEEE10hipError_tPvRmT3_T4_T5_T6_T7_T9_mT8_P12ihipStream_tbDpT10_ENKUlT_T0_E_clISt17integral_constantIbLb1EES18_EEDaS13_S14_EUlS13_E_NS1_11comp_targetILNS1_3genE4ELNS1_11target_archE910ELNS1_3gpuE8ELNS1_3repE0EEENS1_30default_config_static_selectorELNS0_4arch9wavefront6targetE0EEEvT1_.uses_vcc, 0
	.set _ZN7rocprim17ROCPRIM_400000_NS6detail17trampoline_kernelINS0_14default_configENS1_25partition_config_selectorILNS1_17partition_subalgoE6EdNS0_10empty_typeEbEEZZNS1_14partition_implILS5_6ELb0ES3_mN6thrust23THRUST_200600_302600_NS6detail15normal_iteratorINSA_10device_ptrIdEEEEPS6_SG_NS0_5tupleIJSF_S6_EEENSH_IJSG_SG_EEES6_PlJNSB_9not_fun_tINSB_14equal_to_valueIdEEEEEEE10hipError_tPvRmT3_T4_T5_T6_T7_T9_mT8_P12ihipStream_tbDpT10_ENKUlT_T0_E_clISt17integral_constantIbLb1EES18_EEDaS13_S14_EUlS13_E_NS1_11comp_targetILNS1_3genE4ELNS1_11target_archE910ELNS1_3gpuE8ELNS1_3repE0EEENS1_30default_config_static_selectorELNS0_4arch9wavefront6targetE0EEEvT1_.uses_flat_scratch, 0
	.set _ZN7rocprim17ROCPRIM_400000_NS6detail17trampoline_kernelINS0_14default_configENS1_25partition_config_selectorILNS1_17partition_subalgoE6EdNS0_10empty_typeEbEEZZNS1_14partition_implILS5_6ELb0ES3_mN6thrust23THRUST_200600_302600_NS6detail15normal_iteratorINSA_10device_ptrIdEEEEPS6_SG_NS0_5tupleIJSF_S6_EEENSH_IJSG_SG_EEES6_PlJNSB_9not_fun_tINSB_14equal_to_valueIdEEEEEEE10hipError_tPvRmT3_T4_T5_T6_T7_T9_mT8_P12ihipStream_tbDpT10_ENKUlT_T0_E_clISt17integral_constantIbLb1EES18_EEDaS13_S14_EUlS13_E_NS1_11comp_targetILNS1_3genE4ELNS1_11target_archE910ELNS1_3gpuE8ELNS1_3repE0EEENS1_30default_config_static_selectorELNS0_4arch9wavefront6targetE0EEEvT1_.has_dyn_sized_stack, 0
	.set _ZN7rocprim17ROCPRIM_400000_NS6detail17trampoline_kernelINS0_14default_configENS1_25partition_config_selectorILNS1_17partition_subalgoE6EdNS0_10empty_typeEbEEZZNS1_14partition_implILS5_6ELb0ES3_mN6thrust23THRUST_200600_302600_NS6detail15normal_iteratorINSA_10device_ptrIdEEEEPS6_SG_NS0_5tupleIJSF_S6_EEENSH_IJSG_SG_EEES6_PlJNSB_9not_fun_tINSB_14equal_to_valueIdEEEEEEE10hipError_tPvRmT3_T4_T5_T6_T7_T9_mT8_P12ihipStream_tbDpT10_ENKUlT_T0_E_clISt17integral_constantIbLb1EES18_EEDaS13_S14_EUlS13_E_NS1_11comp_targetILNS1_3genE4ELNS1_11target_archE910ELNS1_3gpuE8ELNS1_3repE0EEENS1_30default_config_static_selectorELNS0_4arch9wavefront6targetE0EEEvT1_.has_recursion, 0
	.set _ZN7rocprim17ROCPRIM_400000_NS6detail17trampoline_kernelINS0_14default_configENS1_25partition_config_selectorILNS1_17partition_subalgoE6EdNS0_10empty_typeEbEEZZNS1_14partition_implILS5_6ELb0ES3_mN6thrust23THRUST_200600_302600_NS6detail15normal_iteratorINSA_10device_ptrIdEEEEPS6_SG_NS0_5tupleIJSF_S6_EEENSH_IJSG_SG_EEES6_PlJNSB_9not_fun_tINSB_14equal_to_valueIdEEEEEEE10hipError_tPvRmT3_T4_T5_T6_T7_T9_mT8_P12ihipStream_tbDpT10_ENKUlT_T0_E_clISt17integral_constantIbLb1EES18_EEDaS13_S14_EUlS13_E_NS1_11comp_targetILNS1_3genE4ELNS1_11target_archE910ELNS1_3gpuE8ELNS1_3repE0EEENS1_30default_config_static_selectorELNS0_4arch9wavefront6targetE0EEEvT1_.has_indirect_call, 0
	.section	.AMDGPU.csdata,"",@progbits
; Kernel info:
; codeLenInByte = 0
; TotalNumSgprs: 0
; NumVgprs: 0
; ScratchSize: 0
; MemoryBound: 0
; FloatMode: 240
; IeeeMode: 1
; LDSByteSize: 0 bytes/workgroup (compile time only)
; SGPRBlocks: 0
; VGPRBlocks: 0
; NumSGPRsForWavesPerEU: 1
; NumVGPRsForWavesPerEU: 1
; Occupancy: 16
; WaveLimiterHint : 0
; COMPUTE_PGM_RSRC2:SCRATCH_EN: 0
; COMPUTE_PGM_RSRC2:USER_SGPR: 2
; COMPUTE_PGM_RSRC2:TRAP_HANDLER: 0
; COMPUTE_PGM_RSRC2:TGID_X_EN: 1
; COMPUTE_PGM_RSRC2:TGID_Y_EN: 0
; COMPUTE_PGM_RSRC2:TGID_Z_EN: 0
; COMPUTE_PGM_RSRC2:TIDIG_COMP_CNT: 0
	.section	.text._ZN7rocprim17ROCPRIM_400000_NS6detail17trampoline_kernelINS0_14default_configENS1_25partition_config_selectorILNS1_17partition_subalgoE6EdNS0_10empty_typeEbEEZZNS1_14partition_implILS5_6ELb0ES3_mN6thrust23THRUST_200600_302600_NS6detail15normal_iteratorINSA_10device_ptrIdEEEEPS6_SG_NS0_5tupleIJSF_S6_EEENSH_IJSG_SG_EEES6_PlJNSB_9not_fun_tINSB_14equal_to_valueIdEEEEEEE10hipError_tPvRmT3_T4_T5_T6_T7_T9_mT8_P12ihipStream_tbDpT10_ENKUlT_T0_E_clISt17integral_constantIbLb1EES18_EEDaS13_S14_EUlS13_E_NS1_11comp_targetILNS1_3genE3ELNS1_11target_archE908ELNS1_3gpuE7ELNS1_3repE0EEENS1_30default_config_static_selectorELNS0_4arch9wavefront6targetE0EEEvT1_,"axG",@progbits,_ZN7rocprim17ROCPRIM_400000_NS6detail17trampoline_kernelINS0_14default_configENS1_25partition_config_selectorILNS1_17partition_subalgoE6EdNS0_10empty_typeEbEEZZNS1_14partition_implILS5_6ELb0ES3_mN6thrust23THRUST_200600_302600_NS6detail15normal_iteratorINSA_10device_ptrIdEEEEPS6_SG_NS0_5tupleIJSF_S6_EEENSH_IJSG_SG_EEES6_PlJNSB_9not_fun_tINSB_14equal_to_valueIdEEEEEEE10hipError_tPvRmT3_T4_T5_T6_T7_T9_mT8_P12ihipStream_tbDpT10_ENKUlT_T0_E_clISt17integral_constantIbLb1EES18_EEDaS13_S14_EUlS13_E_NS1_11comp_targetILNS1_3genE3ELNS1_11target_archE908ELNS1_3gpuE7ELNS1_3repE0EEENS1_30default_config_static_selectorELNS0_4arch9wavefront6targetE0EEEvT1_,comdat
	.protected	_ZN7rocprim17ROCPRIM_400000_NS6detail17trampoline_kernelINS0_14default_configENS1_25partition_config_selectorILNS1_17partition_subalgoE6EdNS0_10empty_typeEbEEZZNS1_14partition_implILS5_6ELb0ES3_mN6thrust23THRUST_200600_302600_NS6detail15normal_iteratorINSA_10device_ptrIdEEEEPS6_SG_NS0_5tupleIJSF_S6_EEENSH_IJSG_SG_EEES6_PlJNSB_9not_fun_tINSB_14equal_to_valueIdEEEEEEE10hipError_tPvRmT3_T4_T5_T6_T7_T9_mT8_P12ihipStream_tbDpT10_ENKUlT_T0_E_clISt17integral_constantIbLb1EES18_EEDaS13_S14_EUlS13_E_NS1_11comp_targetILNS1_3genE3ELNS1_11target_archE908ELNS1_3gpuE7ELNS1_3repE0EEENS1_30default_config_static_selectorELNS0_4arch9wavefront6targetE0EEEvT1_ ; -- Begin function _ZN7rocprim17ROCPRIM_400000_NS6detail17trampoline_kernelINS0_14default_configENS1_25partition_config_selectorILNS1_17partition_subalgoE6EdNS0_10empty_typeEbEEZZNS1_14partition_implILS5_6ELb0ES3_mN6thrust23THRUST_200600_302600_NS6detail15normal_iteratorINSA_10device_ptrIdEEEEPS6_SG_NS0_5tupleIJSF_S6_EEENSH_IJSG_SG_EEES6_PlJNSB_9not_fun_tINSB_14equal_to_valueIdEEEEEEE10hipError_tPvRmT3_T4_T5_T6_T7_T9_mT8_P12ihipStream_tbDpT10_ENKUlT_T0_E_clISt17integral_constantIbLb1EES18_EEDaS13_S14_EUlS13_E_NS1_11comp_targetILNS1_3genE3ELNS1_11target_archE908ELNS1_3gpuE7ELNS1_3repE0EEENS1_30default_config_static_selectorELNS0_4arch9wavefront6targetE0EEEvT1_
	.globl	_ZN7rocprim17ROCPRIM_400000_NS6detail17trampoline_kernelINS0_14default_configENS1_25partition_config_selectorILNS1_17partition_subalgoE6EdNS0_10empty_typeEbEEZZNS1_14partition_implILS5_6ELb0ES3_mN6thrust23THRUST_200600_302600_NS6detail15normal_iteratorINSA_10device_ptrIdEEEEPS6_SG_NS0_5tupleIJSF_S6_EEENSH_IJSG_SG_EEES6_PlJNSB_9not_fun_tINSB_14equal_to_valueIdEEEEEEE10hipError_tPvRmT3_T4_T5_T6_T7_T9_mT8_P12ihipStream_tbDpT10_ENKUlT_T0_E_clISt17integral_constantIbLb1EES18_EEDaS13_S14_EUlS13_E_NS1_11comp_targetILNS1_3genE3ELNS1_11target_archE908ELNS1_3gpuE7ELNS1_3repE0EEENS1_30default_config_static_selectorELNS0_4arch9wavefront6targetE0EEEvT1_
	.p2align	8
	.type	_ZN7rocprim17ROCPRIM_400000_NS6detail17trampoline_kernelINS0_14default_configENS1_25partition_config_selectorILNS1_17partition_subalgoE6EdNS0_10empty_typeEbEEZZNS1_14partition_implILS5_6ELb0ES3_mN6thrust23THRUST_200600_302600_NS6detail15normal_iteratorINSA_10device_ptrIdEEEEPS6_SG_NS0_5tupleIJSF_S6_EEENSH_IJSG_SG_EEES6_PlJNSB_9not_fun_tINSB_14equal_to_valueIdEEEEEEE10hipError_tPvRmT3_T4_T5_T6_T7_T9_mT8_P12ihipStream_tbDpT10_ENKUlT_T0_E_clISt17integral_constantIbLb1EES18_EEDaS13_S14_EUlS13_E_NS1_11comp_targetILNS1_3genE3ELNS1_11target_archE908ELNS1_3gpuE7ELNS1_3repE0EEENS1_30default_config_static_selectorELNS0_4arch9wavefront6targetE0EEEvT1_,@function
_ZN7rocprim17ROCPRIM_400000_NS6detail17trampoline_kernelINS0_14default_configENS1_25partition_config_selectorILNS1_17partition_subalgoE6EdNS0_10empty_typeEbEEZZNS1_14partition_implILS5_6ELb0ES3_mN6thrust23THRUST_200600_302600_NS6detail15normal_iteratorINSA_10device_ptrIdEEEEPS6_SG_NS0_5tupleIJSF_S6_EEENSH_IJSG_SG_EEES6_PlJNSB_9not_fun_tINSB_14equal_to_valueIdEEEEEEE10hipError_tPvRmT3_T4_T5_T6_T7_T9_mT8_P12ihipStream_tbDpT10_ENKUlT_T0_E_clISt17integral_constantIbLb1EES18_EEDaS13_S14_EUlS13_E_NS1_11comp_targetILNS1_3genE3ELNS1_11target_archE908ELNS1_3gpuE7ELNS1_3repE0EEENS1_30default_config_static_selectorELNS0_4arch9wavefront6targetE0EEEvT1_: ; @_ZN7rocprim17ROCPRIM_400000_NS6detail17trampoline_kernelINS0_14default_configENS1_25partition_config_selectorILNS1_17partition_subalgoE6EdNS0_10empty_typeEbEEZZNS1_14partition_implILS5_6ELb0ES3_mN6thrust23THRUST_200600_302600_NS6detail15normal_iteratorINSA_10device_ptrIdEEEEPS6_SG_NS0_5tupleIJSF_S6_EEENSH_IJSG_SG_EEES6_PlJNSB_9not_fun_tINSB_14equal_to_valueIdEEEEEEE10hipError_tPvRmT3_T4_T5_T6_T7_T9_mT8_P12ihipStream_tbDpT10_ENKUlT_T0_E_clISt17integral_constantIbLb1EES18_EEDaS13_S14_EUlS13_E_NS1_11comp_targetILNS1_3genE3ELNS1_11target_archE908ELNS1_3gpuE7ELNS1_3repE0EEENS1_30default_config_static_selectorELNS0_4arch9wavefront6targetE0EEEvT1_
; %bb.0:
	.section	.rodata,"a",@progbits
	.p2align	6, 0x0
	.amdhsa_kernel _ZN7rocprim17ROCPRIM_400000_NS6detail17trampoline_kernelINS0_14default_configENS1_25partition_config_selectorILNS1_17partition_subalgoE6EdNS0_10empty_typeEbEEZZNS1_14partition_implILS5_6ELb0ES3_mN6thrust23THRUST_200600_302600_NS6detail15normal_iteratorINSA_10device_ptrIdEEEEPS6_SG_NS0_5tupleIJSF_S6_EEENSH_IJSG_SG_EEES6_PlJNSB_9not_fun_tINSB_14equal_to_valueIdEEEEEEE10hipError_tPvRmT3_T4_T5_T6_T7_T9_mT8_P12ihipStream_tbDpT10_ENKUlT_T0_E_clISt17integral_constantIbLb1EES18_EEDaS13_S14_EUlS13_E_NS1_11comp_targetILNS1_3genE3ELNS1_11target_archE908ELNS1_3gpuE7ELNS1_3repE0EEENS1_30default_config_static_selectorELNS0_4arch9wavefront6targetE0EEEvT1_
		.amdhsa_group_segment_fixed_size 0
		.amdhsa_private_segment_fixed_size 0
		.amdhsa_kernarg_size 128
		.amdhsa_user_sgpr_count 2
		.amdhsa_user_sgpr_dispatch_ptr 0
		.amdhsa_user_sgpr_queue_ptr 0
		.amdhsa_user_sgpr_kernarg_segment_ptr 1
		.amdhsa_user_sgpr_dispatch_id 0
		.amdhsa_user_sgpr_private_segment_size 0
		.amdhsa_wavefront_size32 1
		.amdhsa_uses_dynamic_stack 0
		.amdhsa_enable_private_segment 0
		.amdhsa_system_sgpr_workgroup_id_x 1
		.amdhsa_system_sgpr_workgroup_id_y 0
		.amdhsa_system_sgpr_workgroup_id_z 0
		.amdhsa_system_sgpr_workgroup_info 0
		.amdhsa_system_vgpr_workitem_id 0
		.amdhsa_next_free_vgpr 1
		.amdhsa_next_free_sgpr 1
		.amdhsa_reserve_vcc 0
		.amdhsa_float_round_mode_32 0
		.amdhsa_float_round_mode_16_64 0
		.amdhsa_float_denorm_mode_32 3
		.amdhsa_float_denorm_mode_16_64 3
		.amdhsa_fp16_overflow 0
		.amdhsa_workgroup_processor_mode 1
		.amdhsa_memory_ordered 1
		.amdhsa_forward_progress 1
		.amdhsa_inst_pref_size 0
		.amdhsa_round_robin_scheduling 0
		.amdhsa_exception_fp_ieee_invalid_op 0
		.amdhsa_exception_fp_denorm_src 0
		.amdhsa_exception_fp_ieee_div_zero 0
		.amdhsa_exception_fp_ieee_overflow 0
		.amdhsa_exception_fp_ieee_underflow 0
		.amdhsa_exception_fp_ieee_inexact 0
		.amdhsa_exception_int_div_zero 0
	.end_amdhsa_kernel
	.section	.text._ZN7rocprim17ROCPRIM_400000_NS6detail17trampoline_kernelINS0_14default_configENS1_25partition_config_selectorILNS1_17partition_subalgoE6EdNS0_10empty_typeEbEEZZNS1_14partition_implILS5_6ELb0ES3_mN6thrust23THRUST_200600_302600_NS6detail15normal_iteratorINSA_10device_ptrIdEEEEPS6_SG_NS0_5tupleIJSF_S6_EEENSH_IJSG_SG_EEES6_PlJNSB_9not_fun_tINSB_14equal_to_valueIdEEEEEEE10hipError_tPvRmT3_T4_T5_T6_T7_T9_mT8_P12ihipStream_tbDpT10_ENKUlT_T0_E_clISt17integral_constantIbLb1EES18_EEDaS13_S14_EUlS13_E_NS1_11comp_targetILNS1_3genE3ELNS1_11target_archE908ELNS1_3gpuE7ELNS1_3repE0EEENS1_30default_config_static_selectorELNS0_4arch9wavefront6targetE0EEEvT1_,"axG",@progbits,_ZN7rocprim17ROCPRIM_400000_NS6detail17trampoline_kernelINS0_14default_configENS1_25partition_config_selectorILNS1_17partition_subalgoE6EdNS0_10empty_typeEbEEZZNS1_14partition_implILS5_6ELb0ES3_mN6thrust23THRUST_200600_302600_NS6detail15normal_iteratorINSA_10device_ptrIdEEEEPS6_SG_NS0_5tupleIJSF_S6_EEENSH_IJSG_SG_EEES6_PlJNSB_9not_fun_tINSB_14equal_to_valueIdEEEEEEE10hipError_tPvRmT3_T4_T5_T6_T7_T9_mT8_P12ihipStream_tbDpT10_ENKUlT_T0_E_clISt17integral_constantIbLb1EES18_EEDaS13_S14_EUlS13_E_NS1_11comp_targetILNS1_3genE3ELNS1_11target_archE908ELNS1_3gpuE7ELNS1_3repE0EEENS1_30default_config_static_selectorELNS0_4arch9wavefront6targetE0EEEvT1_,comdat
.Lfunc_end288:
	.size	_ZN7rocprim17ROCPRIM_400000_NS6detail17trampoline_kernelINS0_14default_configENS1_25partition_config_selectorILNS1_17partition_subalgoE6EdNS0_10empty_typeEbEEZZNS1_14partition_implILS5_6ELb0ES3_mN6thrust23THRUST_200600_302600_NS6detail15normal_iteratorINSA_10device_ptrIdEEEEPS6_SG_NS0_5tupleIJSF_S6_EEENSH_IJSG_SG_EEES6_PlJNSB_9not_fun_tINSB_14equal_to_valueIdEEEEEEE10hipError_tPvRmT3_T4_T5_T6_T7_T9_mT8_P12ihipStream_tbDpT10_ENKUlT_T0_E_clISt17integral_constantIbLb1EES18_EEDaS13_S14_EUlS13_E_NS1_11comp_targetILNS1_3genE3ELNS1_11target_archE908ELNS1_3gpuE7ELNS1_3repE0EEENS1_30default_config_static_selectorELNS0_4arch9wavefront6targetE0EEEvT1_, .Lfunc_end288-_ZN7rocprim17ROCPRIM_400000_NS6detail17trampoline_kernelINS0_14default_configENS1_25partition_config_selectorILNS1_17partition_subalgoE6EdNS0_10empty_typeEbEEZZNS1_14partition_implILS5_6ELb0ES3_mN6thrust23THRUST_200600_302600_NS6detail15normal_iteratorINSA_10device_ptrIdEEEEPS6_SG_NS0_5tupleIJSF_S6_EEENSH_IJSG_SG_EEES6_PlJNSB_9not_fun_tINSB_14equal_to_valueIdEEEEEEE10hipError_tPvRmT3_T4_T5_T6_T7_T9_mT8_P12ihipStream_tbDpT10_ENKUlT_T0_E_clISt17integral_constantIbLb1EES18_EEDaS13_S14_EUlS13_E_NS1_11comp_targetILNS1_3genE3ELNS1_11target_archE908ELNS1_3gpuE7ELNS1_3repE0EEENS1_30default_config_static_selectorELNS0_4arch9wavefront6targetE0EEEvT1_
                                        ; -- End function
	.set _ZN7rocprim17ROCPRIM_400000_NS6detail17trampoline_kernelINS0_14default_configENS1_25partition_config_selectorILNS1_17partition_subalgoE6EdNS0_10empty_typeEbEEZZNS1_14partition_implILS5_6ELb0ES3_mN6thrust23THRUST_200600_302600_NS6detail15normal_iteratorINSA_10device_ptrIdEEEEPS6_SG_NS0_5tupleIJSF_S6_EEENSH_IJSG_SG_EEES6_PlJNSB_9not_fun_tINSB_14equal_to_valueIdEEEEEEE10hipError_tPvRmT3_T4_T5_T6_T7_T9_mT8_P12ihipStream_tbDpT10_ENKUlT_T0_E_clISt17integral_constantIbLb1EES18_EEDaS13_S14_EUlS13_E_NS1_11comp_targetILNS1_3genE3ELNS1_11target_archE908ELNS1_3gpuE7ELNS1_3repE0EEENS1_30default_config_static_selectorELNS0_4arch9wavefront6targetE0EEEvT1_.num_vgpr, 0
	.set _ZN7rocprim17ROCPRIM_400000_NS6detail17trampoline_kernelINS0_14default_configENS1_25partition_config_selectorILNS1_17partition_subalgoE6EdNS0_10empty_typeEbEEZZNS1_14partition_implILS5_6ELb0ES3_mN6thrust23THRUST_200600_302600_NS6detail15normal_iteratorINSA_10device_ptrIdEEEEPS6_SG_NS0_5tupleIJSF_S6_EEENSH_IJSG_SG_EEES6_PlJNSB_9not_fun_tINSB_14equal_to_valueIdEEEEEEE10hipError_tPvRmT3_T4_T5_T6_T7_T9_mT8_P12ihipStream_tbDpT10_ENKUlT_T0_E_clISt17integral_constantIbLb1EES18_EEDaS13_S14_EUlS13_E_NS1_11comp_targetILNS1_3genE3ELNS1_11target_archE908ELNS1_3gpuE7ELNS1_3repE0EEENS1_30default_config_static_selectorELNS0_4arch9wavefront6targetE0EEEvT1_.num_agpr, 0
	.set _ZN7rocprim17ROCPRIM_400000_NS6detail17trampoline_kernelINS0_14default_configENS1_25partition_config_selectorILNS1_17partition_subalgoE6EdNS0_10empty_typeEbEEZZNS1_14partition_implILS5_6ELb0ES3_mN6thrust23THRUST_200600_302600_NS6detail15normal_iteratorINSA_10device_ptrIdEEEEPS6_SG_NS0_5tupleIJSF_S6_EEENSH_IJSG_SG_EEES6_PlJNSB_9not_fun_tINSB_14equal_to_valueIdEEEEEEE10hipError_tPvRmT3_T4_T5_T6_T7_T9_mT8_P12ihipStream_tbDpT10_ENKUlT_T0_E_clISt17integral_constantIbLb1EES18_EEDaS13_S14_EUlS13_E_NS1_11comp_targetILNS1_3genE3ELNS1_11target_archE908ELNS1_3gpuE7ELNS1_3repE0EEENS1_30default_config_static_selectorELNS0_4arch9wavefront6targetE0EEEvT1_.numbered_sgpr, 0
	.set _ZN7rocprim17ROCPRIM_400000_NS6detail17trampoline_kernelINS0_14default_configENS1_25partition_config_selectorILNS1_17partition_subalgoE6EdNS0_10empty_typeEbEEZZNS1_14partition_implILS5_6ELb0ES3_mN6thrust23THRUST_200600_302600_NS6detail15normal_iteratorINSA_10device_ptrIdEEEEPS6_SG_NS0_5tupleIJSF_S6_EEENSH_IJSG_SG_EEES6_PlJNSB_9not_fun_tINSB_14equal_to_valueIdEEEEEEE10hipError_tPvRmT3_T4_T5_T6_T7_T9_mT8_P12ihipStream_tbDpT10_ENKUlT_T0_E_clISt17integral_constantIbLb1EES18_EEDaS13_S14_EUlS13_E_NS1_11comp_targetILNS1_3genE3ELNS1_11target_archE908ELNS1_3gpuE7ELNS1_3repE0EEENS1_30default_config_static_selectorELNS0_4arch9wavefront6targetE0EEEvT1_.num_named_barrier, 0
	.set _ZN7rocprim17ROCPRIM_400000_NS6detail17trampoline_kernelINS0_14default_configENS1_25partition_config_selectorILNS1_17partition_subalgoE6EdNS0_10empty_typeEbEEZZNS1_14partition_implILS5_6ELb0ES3_mN6thrust23THRUST_200600_302600_NS6detail15normal_iteratorINSA_10device_ptrIdEEEEPS6_SG_NS0_5tupleIJSF_S6_EEENSH_IJSG_SG_EEES6_PlJNSB_9not_fun_tINSB_14equal_to_valueIdEEEEEEE10hipError_tPvRmT3_T4_T5_T6_T7_T9_mT8_P12ihipStream_tbDpT10_ENKUlT_T0_E_clISt17integral_constantIbLb1EES18_EEDaS13_S14_EUlS13_E_NS1_11comp_targetILNS1_3genE3ELNS1_11target_archE908ELNS1_3gpuE7ELNS1_3repE0EEENS1_30default_config_static_selectorELNS0_4arch9wavefront6targetE0EEEvT1_.private_seg_size, 0
	.set _ZN7rocprim17ROCPRIM_400000_NS6detail17trampoline_kernelINS0_14default_configENS1_25partition_config_selectorILNS1_17partition_subalgoE6EdNS0_10empty_typeEbEEZZNS1_14partition_implILS5_6ELb0ES3_mN6thrust23THRUST_200600_302600_NS6detail15normal_iteratorINSA_10device_ptrIdEEEEPS6_SG_NS0_5tupleIJSF_S6_EEENSH_IJSG_SG_EEES6_PlJNSB_9not_fun_tINSB_14equal_to_valueIdEEEEEEE10hipError_tPvRmT3_T4_T5_T6_T7_T9_mT8_P12ihipStream_tbDpT10_ENKUlT_T0_E_clISt17integral_constantIbLb1EES18_EEDaS13_S14_EUlS13_E_NS1_11comp_targetILNS1_3genE3ELNS1_11target_archE908ELNS1_3gpuE7ELNS1_3repE0EEENS1_30default_config_static_selectorELNS0_4arch9wavefront6targetE0EEEvT1_.uses_vcc, 0
	.set _ZN7rocprim17ROCPRIM_400000_NS6detail17trampoline_kernelINS0_14default_configENS1_25partition_config_selectorILNS1_17partition_subalgoE6EdNS0_10empty_typeEbEEZZNS1_14partition_implILS5_6ELb0ES3_mN6thrust23THRUST_200600_302600_NS6detail15normal_iteratorINSA_10device_ptrIdEEEEPS6_SG_NS0_5tupleIJSF_S6_EEENSH_IJSG_SG_EEES6_PlJNSB_9not_fun_tINSB_14equal_to_valueIdEEEEEEE10hipError_tPvRmT3_T4_T5_T6_T7_T9_mT8_P12ihipStream_tbDpT10_ENKUlT_T0_E_clISt17integral_constantIbLb1EES18_EEDaS13_S14_EUlS13_E_NS1_11comp_targetILNS1_3genE3ELNS1_11target_archE908ELNS1_3gpuE7ELNS1_3repE0EEENS1_30default_config_static_selectorELNS0_4arch9wavefront6targetE0EEEvT1_.uses_flat_scratch, 0
	.set _ZN7rocprim17ROCPRIM_400000_NS6detail17trampoline_kernelINS0_14default_configENS1_25partition_config_selectorILNS1_17partition_subalgoE6EdNS0_10empty_typeEbEEZZNS1_14partition_implILS5_6ELb0ES3_mN6thrust23THRUST_200600_302600_NS6detail15normal_iteratorINSA_10device_ptrIdEEEEPS6_SG_NS0_5tupleIJSF_S6_EEENSH_IJSG_SG_EEES6_PlJNSB_9not_fun_tINSB_14equal_to_valueIdEEEEEEE10hipError_tPvRmT3_T4_T5_T6_T7_T9_mT8_P12ihipStream_tbDpT10_ENKUlT_T0_E_clISt17integral_constantIbLb1EES18_EEDaS13_S14_EUlS13_E_NS1_11comp_targetILNS1_3genE3ELNS1_11target_archE908ELNS1_3gpuE7ELNS1_3repE0EEENS1_30default_config_static_selectorELNS0_4arch9wavefront6targetE0EEEvT1_.has_dyn_sized_stack, 0
	.set _ZN7rocprim17ROCPRIM_400000_NS6detail17trampoline_kernelINS0_14default_configENS1_25partition_config_selectorILNS1_17partition_subalgoE6EdNS0_10empty_typeEbEEZZNS1_14partition_implILS5_6ELb0ES3_mN6thrust23THRUST_200600_302600_NS6detail15normal_iteratorINSA_10device_ptrIdEEEEPS6_SG_NS0_5tupleIJSF_S6_EEENSH_IJSG_SG_EEES6_PlJNSB_9not_fun_tINSB_14equal_to_valueIdEEEEEEE10hipError_tPvRmT3_T4_T5_T6_T7_T9_mT8_P12ihipStream_tbDpT10_ENKUlT_T0_E_clISt17integral_constantIbLb1EES18_EEDaS13_S14_EUlS13_E_NS1_11comp_targetILNS1_3genE3ELNS1_11target_archE908ELNS1_3gpuE7ELNS1_3repE0EEENS1_30default_config_static_selectorELNS0_4arch9wavefront6targetE0EEEvT1_.has_recursion, 0
	.set _ZN7rocprim17ROCPRIM_400000_NS6detail17trampoline_kernelINS0_14default_configENS1_25partition_config_selectorILNS1_17partition_subalgoE6EdNS0_10empty_typeEbEEZZNS1_14partition_implILS5_6ELb0ES3_mN6thrust23THRUST_200600_302600_NS6detail15normal_iteratorINSA_10device_ptrIdEEEEPS6_SG_NS0_5tupleIJSF_S6_EEENSH_IJSG_SG_EEES6_PlJNSB_9not_fun_tINSB_14equal_to_valueIdEEEEEEE10hipError_tPvRmT3_T4_T5_T6_T7_T9_mT8_P12ihipStream_tbDpT10_ENKUlT_T0_E_clISt17integral_constantIbLb1EES18_EEDaS13_S14_EUlS13_E_NS1_11comp_targetILNS1_3genE3ELNS1_11target_archE908ELNS1_3gpuE7ELNS1_3repE0EEENS1_30default_config_static_selectorELNS0_4arch9wavefront6targetE0EEEvT1_.has_indirect_call, 0
	.section	.AMDGPU.csdata,"",@progbits
; Kernel info:
; codeLenInByte = 0
; TotalNumSgprs: 0
; NumVgprs: 0
; ScratchSize: 0
; MemoryBound: 0
; FloatMode: 240
; IeeeMode: 1
; LDSByteSize: 0 bytes/workgroup (compile time only)
; SGPRBlocks: 0
; VGPRBlocks: 0
; NumSGPRsForWavesPerEU: 1
; NumVGPRsForWavesPerEU: 1
; Occupancy: 16
; WaveLimiterHint : 0
; COMPUTE_PGM_RSRC2:SCRATCH_EN: 0
; COMPUTE_PGM_RSRC2:USER_SGPR: 2
; COMPUTE_PGM_RSRC2:TRAP_HANDLER: 0
; COMPUTE_PGM_RSRC2:TGID_X_EN: 1
; COMPUTE_PGM_RSRC2:TGID_Y_EN: 0
; COMPUTE_PGM_RSRC2:TGID_Z_EN: 0
; COMPUTE_PGM_RSRC2:TIDIG_COMP_CNT: 0
	.section	.text._ZN7rocprim17ROCPRIM_400000_NS6detail17trampoline_kernelINS0_14default_configENS1_25partition_config_selectorILNS1_17partition_subalgoE6EdNS0_10empty_typeEbEEZZNS1_14partition_implILS5_6ELb0ES3_mN6thrust23THRUST_200600_302600_NS6detail15normal_iteratorINSA_10device_ptrIdEEEEPS6_SG_NS0_5tupleIJSF_S6_EEENSH_IJSG_SG_EEES6_PlJNSB_9not_fun_tINSB_14equal_to_valueIdEEEEEEE10hipError_tPvRmT3_T4_T5_T6_T7_T9_mT8_P12ihipStream_tbDpT10_ENKUlT_T0_E_clISt17integral_constantIbLb1EES18_EEDaS13_S14_EUlS13_E_NS1_11comp_targetILNS1_3genE2ELNS1_11target_archE906ELNS1_3gpuE6ELNS1_3repE0EEENS1_30default_config_static_selectorELNS0_4arch9wavefront6targetE0EEEvT1_,"axG",@progbits,_ZN7rocprim17ROCPRIM_400000_NS6detail17trampoline_kernelINS0_14default_configENS1_25partition_config_selectorILNS1_17partition_subalgoE6EdNS0_10empty_typeEbEEZZNS1_14partition_implILS5_6ELb0ES3_mN6thrust23THRUST_200600_302600_NS6detail15normal_iteratorINSA_10device_ptrIdEEEEPS6_SG_NS0_5tupleIJSF_S6_EEENSH_IJSG_SG_EEES6_PlJNSB_9not_fun_tINSB_14equal_to_valueIdEEEEEEE10hipError_tPvRmT3_T4_T5_T6_T7_T9_mT8_P12ihipStream_tbDpT10_ENKUlT_T0_E_clISt17integral_constantIbLb1EES18_EEDaS13_S14_EUlS13_E_NS1_11comp_targetILNS1_3genE2ELNS1_11target_archE906ELNS1_3gpuE6ELNS1_3repE0EEENS1_30default_config_static_selectorELNS0_4arch9wavefront6targetE0EEEvT1_,comdat
	.protected	_ZN7rocprim17ROCPRIM_400000_NS6detail17trampoline_kernelINS0_14default_configENS1_25partition_config_selectorILNS1_17partition_subalgoE6EdNS0_10empty_typeEbEEZZNS1_14partition_implILS5_6ELb0ES3_mN6thrust23THRUST_200600_302600_NS6detail15normal_iteratorINSA_10device_ptrIdEEEEPS6_SG_NS0_5tupleIJSF_S6_EEENSH_IJSG_SG_EEES6_PlJNSB_9not_fun_tINSB_14equal_to_valueIdEEEEEEE10hipError_tPvRmT3_T4_T5_T6_T7_T9_mT8_P12ihipStream_tbDpT10_ENKUlT_T0_E_clISt17integral_constantIbLb1EES18_EEDaS13_S14_EUlS13_E_NS1_11comp_targetILNS1_3genE2ELNS1_11target_archE906ELNS1_3gpuE6ELNS1_3repE0EEENS1_30default_config_static_selectorELNS0_4arch9wavefront6targetE0EEEvT1_ ; -- Begin function _ZN7rocprim17ROCPRIM_400000_NS6detail17trampoline_kernelINS0_14default_configENS1_25partition_config_selectorILNS1_17partition_subalgoE6EdNS0_10empty_typeEbEEZZNS1_14partition_implILS5_6ELb0ES3_mN6thrust23THRUST_200600_302600_NS6detail15normal_iteratorINSA_10device_ptrIdEEEEPS6_SG_NS0_5tupleIJSF_S6_EEENSH_IJSG_SG_EEES6_PlJNSB_9not_fun_tINSB_14equal_to_valueIdEEEEEEE10hipError_tPvRmT3_T4_T5_T6_T7_T9_mT8_P12ihipStream_tbDpT10_ENKUlT_T0_E_clISt17integral_constantIbLb1EES18_EEDaS13_S14_EUlS13_E_NS1_11comp_targetILNS1_3genE2ELNS1_11target_archE906ELNS1_3gpuE6ELNS1_3repE0EEENS1_30default_config_static_selectorELNS0_4arch9wavefront6targetE0EEEvT1_
	.globl	_ZN7rocprim17ROCPRIM_400000_NS6detail17trampoline_kernelINS0_14default_configENS1_25partition_config_selectorILNS1_17partition_subalgoE6EdNS0_10empty_typeEbEEZZNS1_14partition_implILS5_6ELb0ES3_mN6thrust23THRUST_200600_302600_NS6detail15normal_iteratorINSA_10device_ptrIdEEEEPS6_SG_NS0_5tupleIJSF_S6_EEENSH_IJSG_SG_EEES6_PlJNSB_9not_fun_tINSB_14equal_to_valueIdEEEEEEE10hipError_tPvRmT3_T4_T5_T6_T7_T9_mT8_P12ihipStream_tbDpT10_ENKUlT_T0_E_clISt17integral_constantIbLb1EES18_EEDaS13_S14_EUlS13_E_NS1_11comp_targetILNS1_3genE2ELNS1_11target_archE906ELNS1_3gpuE6ELNS1_3repE0EEENS1_30default_config_static_selectorELNS0_4arch9wavefront6targetE0EEEvT1_
	.p2align	8
	.type	_ZN7rocprim17ROCPRIM_400000_NS6detail17trampoline_kernelINS0_14default_configENS1_25partition_config_selectorILNS1_17partition_subalgoE6EdNS0_10empty_typeEbEEZZNS1_14partition_implILS5_6ELb0ES3_mN6thrust23THRUST_200600_302600_NS6detail15normal_iteratorINSA_10device_ptrIdEEEEPS6_SG_NS0_5tupleIJSF_S6_EEENSH_IJSG_SG_EEES6_PlJNSB_9not_fun_tINSB_14equal_to_valueIdEEEEEEE10hipError_tPvRmT3_T4_T5_T6_T7_T9_mT8_P12ihipStream_tbDpT10_ENKUlT_T0_E_clISt17integral_constantIbLb1EES18_EEDaS13_S14_EUlS13_E_NS1_11comp_targetILNS1_3genE2ELNS1_11target_archE906ELNS1_3gpuE6ELNS1_3repE0EEENS1_30default_config_static_selectorELNS0_4arch9wavefront6targetE0EEEvT1_,@function
_ZN7rocprim17ROCPRIM_400000_NS6detail17trampoline_kernelINS0_14default_configENS1_25partition_config_selectorILNS1_17partition_subalgoE6EdNS0_10empty_typeEbEEZZNS1_14partition_implILS5_6ELb0ES3_mN6thrust23THRUST_200600_302600_NS6detail15normal_iteratorINSA_10device_ptrIdEEEEPS6_SG_NS0_5tupleIJSF_S6_EEENSH_IJSG_SG_EEES6_PlJNSB_9not_fun_tINSB_14equal_to_valueIdEEEEEEE10hipError_tPvRmT3_T4_T5_T6_T7_T9_mT8_P12ihipStream_tbDpT10_ENKUlT_T0_E_clISt17integral_constantIbLb1EES18_EEDaS13_S14_EUlS13_E_NS1_11comp_targetILNS1_3genE2ELNS1_11target_archE906ELNS1_3gpuE6ELNS1_3repE0EEENS1_30default_config_static_selectorELNS0_4arch9wavefront6targetE0EEEvT1_: ; @_ZN7rocprim17ROCPRIM_400000_NS6detail17trampoline_kernelINS0_14default_configENS1_25partition_config_selectorILNS1_17partition_subalgoE6EdNS0_10empty_typeEbEEZZNS1_14partition_implILS5_6ELb0ES3_mN6thrust23THRUST_200600_302600_NS6detail15normal_iteratorINSA_10device_ptrIdEEEEPS6_SG_NS0_5tupleIJSF_S6_EEENSH_IJSG_SG_EEES6_PlJNSB_9not_fun_tINSB_14equal_to_valueIdEEEEEEE10hipError_tPvRmT3_T4_T5_T6_T7_T9_mT8_P12ihipStream_tbDpT10_ENKUlT_T0_E_clISt17integral_constantIbLb1EES18_EEDaS13_S14_EUlS13_E_NS1_11comp_targetILNS1_3genE2ELNS1_11target_archE906ELNS1_3gpuE6ELNS1_3repE0EEENS1_30default_config_static_selectorELNS0_4arch9wavefront6targetE0EEEvT1_
; %bb.0:
	.section	.rodata,"a",@progbits
	.p2align	6, 0x0
	.amdhsa_kernel _ZN7rocprim17ROCPRIM_400000_NS6detail17trampoline_kernelINS0_14default_configENS1_25partition_config_selectorILNS1_17partition_subalgoE6EdNS0_10empty_typeEbEEZZNS1_14partition_implILS5_6ELb0ES3_mN6thrust23THRUST_200600_302600_NS6detail15normal_iteratorINSA_10device_ptrIdEEEEPS6_SG_NS0_5tupleIJSF_S6_EEENSH_IJSG_SG_EEES6_PlJNSB_9not_fun_tINSB_14equal_to_valueIdEEEEEEE10hipError_tPvRmT3_T4_T5_T6_T7_T9_mT8_P12ihipStream_tbDpT10_ENKUlT_T0_E_clISt17integral_constantIbLb1EES18_EEDaS13_S14_EUlS13_E_NS1_11comp_targetILNS1_3genE2ELNS1_11target_archE906ELNS1_3gpuE6ELNS1_3repE0EEENS1_30default_config_static_selectorELNS0_4arch9wavefront6targetE0EEEvT1_
		.amdhsa_group_segment_fixed_size 0
		.amdhsa_private_segment_fixed_size 0
		.amdhsa_kernarg_size 128
		.amdhsa_user_sgpr_count 2
		.amdhsa_user_sgpr_dispatch_ptr 0
		.amdhsa_user_sgpr_queue_ptr 0
		.amdhsa_user_sgpr_kernarg_segment_ptr 1
		.amdhsa_user_sgpr_dispatch_id 0
		.amdhsa_user_sgpr_private_segment_size 0
		.amdhsa_wavefront_size32 1
		.amdhsa_uses_dynamic_stack 0
		.amdhsa_enable_private_segment 0
		.amdhsa_system_sgpr_workgroup_id_x 1
		.amdhsa_system_sgpr_workgroup_id_y 0
		.amdhsa_system_sgpr_workgroup_id_z 0
		.amdhsa_system_sgpr_workgroup_info 0
		.amdhsa_system_vgpr_workitem_id 0
		.amdhsa_next_free_vgpr 1
		.amdhsa_next_free_sgpr 1
		.amdhsa_reserve_vcc 0
		.amdhsa_float_round_mode_32 0
		.amdhsa_float_round_mode_16_64 0
		.amdhsa_float_denorm_mode_32 3
		.amdhsa_float_denorm_mode_16_64 3
		.amdhsa_fp16_overflow 0
		.amdhsa_workgroup_processor_mode 1
		.amdhsa_memory_ordered 1
		.amdhsa_forward_progress 1
		.amdhsa_inst_pref_size 0
		.amdhsa_round_robin_scheduling 0
		.amdhsa_exception_fp_ieee_invalid_op 0
		.amdhsa_exception_fp_denorm_src 0
		.amdhsa_exception_fp_ieee_div_zero 0
		.amdhsa_exception_fp_ieee_overflow 0
		.amdhsa_exception_fp_ieee_underflow 0
		.amdhsa_exception_fp_ieee_inexact 0
		.amdhsa_exception_int_div_zero 0
	.end_amdhsa_kernel
	.section	.text._ZN7rocprim17ROCPRIM_400000_NS6detail17trampoline_kernelINS0_14default_configENS1_25partition_config_selectorILNS1_17partition_subalgoE6EdNS0_10empty_typeEbEEZZNS1_14partition_implILS5_6ELb0ES3_mN6thrust23THRUST_200600_302600_NS6detail15normal_iteratorINSA_10device_ptrIdEEEEPS6_SG_NS0_5tupleIJSF_S6_EEENSH_IJSG_SG_EEES6_PlJNSB_9not_fun_tINSB_14equal_to_valueIdEEEEEEE10hipError_tPvRmT3_T4_T5_T6_T7_T9_mT8_P12ihipStream_tbDpT10_ENKUlT_T0_E_clISt17integral_constantIbLb1EES18_EEDaS13_S14_EUlS13_E_NS1_11comp_targetILNS1_3genE2ELNS1_11target_archE906ELNS1_3gpuE6ELNS1_3repE0EEENS1_30default_config_static_selectorELNS0_4arch9wavefront6targetE0EEEvT1_,"axG",@progbits,_ZN7rocprim17ROCPRIM_400000_NS6detail17trampoline_kernelINS0_14default_configENS1_25partition_config_selectorILNS1_17partition_subalgoE6EdNS0_10empty_typeEbEEZZNS1_14partition_implILS5_6ELb0ES3_mN6thrust23THRUST_200600_302600_NS6detail15normal_iteratorINSA_10device_ptrIdEEEEPS6_SG_NS0_5tupleIJSF_S6_EEENSH_IJSG_SG_EEES6_PlJNSB_9not_fun_tINSB_14equal_to_valueIdEEEEEEE10hipError_tPvRmT3_T4_T5_T6_T7_T9_mT8_P12ihipStream_tbDpT10_ENKUlT_T0_E_clISt17integral_constantIbLb1EES18_EEDaS13_S14_EUlS13_E_NS1_11comp_targetILNS1_3genE2ELNS1_11target_archE906ELNS1_3gpuE6ELNS1_3repE0EEENS1_30default_config_static_selectorELNS0_4arch9wavefront6targetE0EEEvT1_,comdat
.Lfunc_end289:
	.size	_ZN7rocprim17ROCPRIM_400000_NS6detail17trampoline_kernelINS0_14default_configENS1_25partition_config_selectorILNS1_17partition_subalgoE6EdNS0_10empty_typeEbEEZZNS1_14partition_implILS5_6ELb0ES3_mN6thrust23THRUST_200600_302600_NS6detail15normal_iteratorINSA_10device_ptrIdEEEEPS6_SG_NS0_5tupleIJSF_S6_EEENSH_IJSG_SG_EEES6_PlJNSB_9not_fun_tINSB_14equal_to_valueIdEEEEEEE10hipError_tPvRmT3_T4_T5_T6_T7_T9_mT8_P12ihipStream_tbDpT10_ENKUlT_T0_E_clISt17integral_constantIbLb1EES18_EEDaS13_S14_EUlS13_E_NS1_11comp_targetILNS1_3genE2ELNS1_11target_archE906ELNS1_3gpuE6ELNS1_3repE0EEENS1_30default_config_static_selectorELNS0_4arch9wavefront6targetE0EEEvT1_, .Lfunc_end289-_ZN7rocprim17ROCPRIM_400000_NS6detail17trampoline_kernelINS0_14default_configENS1_25partition_config_selectorILNS1_17partition_subalgoE6EdNS0_10empty_typeEbEEZZNS1_14partition_implILS5_6ELb0ES3_mN6thrust23THRUST_200600_302600_NS6detail15normal_iteratorINSA_10device_ptrIdEEEEPS6_SG_NS0_5tupleIJSF_S6_EEENSH_IJSG_SG_EEES6_PlJNSB_9not_fun_tINSB_14equal_to_valueIdEEEEEEE10hipError_tPvRmT3_T4_T5_T6_T7_T9_mT8_P12ihipStream_tbDpT10_ENKUlT_T0_E_clISt17integral_constantIbLb1EES18_EEDaS13_S14_EUlS13_E_NS1_11comp_targetILNS1_3genE2ELNS1_11target_archE906ELNS1_3gpuE6ELNS1_3repE0EEENS1_30default_config_static_selectorELNS0_4arch9wavefront6targetE0EEEvT1_
                                        ; -- End function
	.set _ZN7rocprim17ROCPRIM_400000_NS6detail17trampoline_kernelINS0_14default_configENS1_25partition_config_selectorILNS1_17partition_subalgoE6EdNS0_10empty_typeEbEEZZNS1_14partition_implILS5_6ELb0ES3_mN6thrust23THRUST_200600_302600_NS6detail15normal_iteratorINSA_10device_ptrIdEEEEPS6_SG_NS0_5tupleIJSF_S6_EEENSH_IJSG_SG_EEES6_PlJNSB_9not_fun_tINSB_14equal_to_valueIdEEEEEEE10hipError_tPvRmT3_T4_T5_T6_T7_T9_mT8_P12ihipStream_tbDpT10_ENKUlT_T0_E_clISt17integral_constantIbLb1EES18_EEDaS13_S14_EUlS13_E_NS1_11comp_targetILNS1_3genE2ELNS1_11target_archE906ELNS1_3gpuE6ELNS1_3repE0EEENS1_30default_config_static_selectorELNS0_4arch9wavefront6targetE0EEEvT1_.num_vgpr, 0
	.set _ZN7rocprim17ROCPRIM_400000_NS6detail17trampoline_kernelINS0_14default_configENS1_25partition_config_selectorILNS1_17partition_subalgoE6EdNS0_10empty_typeEbEEZZNS1_14partition_implILS5_6ELb0ES3_mN6thrust23THRUST_200600_302600_NS6detail15normal_iteratorINSA_10device_ptrIdEEEEPS6_SG_NS0_5tupleIJSF_S6_EEENSH_IJSG_SG_EEES6_PlJNSB_9not_fun_tINSB_14equal_to_valueIdEEEEEEE10hipError_tPvRmT3_T4_T5_T6_T7_T9_mT8_P12ihipStream_tbDpT10_ENKUlT_T0_E_clISt17integral_constantIbLb1EES18_EEDaS13_S14_EUlS13_E_NS1_11comp_targetILNS1_3genE2ELNS1_11target_archE906ELNS1_3gpuE6ELNS1_3repE0EEENS1_30default_config_static_selectorELNS0_4arch9wavefront6targetE0EEEvT1_.num_agpr, 0
	.set _ZN7rocprim17ROCPRIM_400000_NS6detail17trampoline_kernelINS0_14default_configENS1_25partition_config_selectorILNS1_17partition_subalgoE6EdNS0_10empty_typeEbEEZZNS1_14partition_implILS5_6ELb0ES3_mN6thrust23THRUST_200600_302600_NS6detail15normal_iteratorINSA_10device_ptrIdEEEEPS6_SG_NS0_5tupleIJSF_S6_EEENSH_IJSG_SG_EEES6_PlJNSB_9not_fun_tINSB_14equal_to_valueIdEEEEEEE10hipError_tPvRmT3_T4_T5_T6_T7_T9_mT8_P12ihipStream_tbDpT10_ENKUlT_T0_E_clISt17integral_constantIbLb1EES18_EEDaS13_S14_EUlS13_E_NS1_11comp_targetILNS1_3genE2ELNS1_11target_archE906ELNS1_3gpuE6ELNS1_3repE0EEENS1_30default_config_static_selectorELNS0_4arch9wavefront6targetE0EEEvT1_.numbered_sgpr, 0
	.set _ZN7rocprim17ROCPRIM_400000_NS6detail17trampoline_kernelINS0_14default_configENS1_25partition_config_selectorILNS1_17partition_subalgoE6EdNS0_10empty_typeEbEEZZNS1_14partition_implILS5_6ELb0ES3_mN6thrust23THRUST_200600_302600_NS6detail15normal_iteratorINSA_10device_ptrIdEEEEPS6_SG_NS0_5tupleIJSF_S6_EEENSH_IJSG_SG_EEES6_PlJNSB_9not_fun_tINSB_14equal_to_valueIdEEEEEEE10hipError_tPvRmT3_T4_T5_T6_T7_T9_mT8_P12ihipStream_tbDpT10_ENKUlT_T0_E_clISt17integral_constantIbLb1EES18_EEDaS13_S14_EUlS13_E_NS1_11comp_targetILNS1_3genE2ELNS1_11target_archE906ELNS1_3gpuE6ELNS1_3repE0EEENS1_30default_config_static_selectorELNS0_4arch9wavefront6targetE0EEEvT1_.num_named_barrier, 0
	.set _ZN7rocprim17ROCPRIM_400000_NS6detail17trampoline_kernelINS0_14default_configENS1_25partition_config_selectorILNS1_17partition_subalgoE6EdNS0_10empty_typeEbEEZZNS1_14partition_implILS5_6ELb0ES3_mN6thrust23THRUST_200600_302600_NS6detail15normal_iteratorINSA_10device_ptrIdEEEEPS6_SG_NS0_5tupleIJSF_S6_EEENSH_IJSG_SG_EEES6_PlJNSB_9not_fun_tINSB_14equal_to_valueIdEEEEEEE10hipError_tPvRmT3_T4_T5_T6_T7_T9_mT8_P12ihipStream_tbDpT10_ENKUlT_T0_E_clISt17integral_constantIbLb1EES18_EEDaS13_S14_EUlS13_E_NS1_11comp_targetILNS1_3genE2ELNS1_11target_archE906ELNS1_3gpuE6ELNS1_3repE0EEENS1_30default_config_static_selectorELNS0_4arch9wavefront6targetE0EEEvT1_.private_seg_size, 0
	.set _ZN7rocprim17ROCPRIM_400000_NS6detail17trampoline_kernelINS0_14default_configENS1_25partition_config_selectorILNS1_17partition_subalgoE6EdNS0_10empty_typeEbEEZZNS1_14partition_implILS5_6ELb0ES3_mN6thrust23THRUST_200600_302600_NS6detail15normal_iteratorINSA_10device_ptrIdEEEEPS6_SG_NS0_5tupleIJSF_S6_EEENSH_IJSG_SG_EEES6_PlJNSB_9not_fun_tINSB_14equal_to_valueIdEEEEEEE10hipError_tPvRmT3_T4_T5_T6_T7_T9_mT8_P12ihipStream_tbDpT10_ENKUlT_T0_E_clISt17integral_constantIbLb1EES18_EEDaS13_S14_EUlS13_E_NS1_11comp_targetILNS1_3genE2ELNS1_11target_archE906ELNS1_3gpuE6ELNS1_3repE0EEENS1_30default_config_static_selectorELNS0_4arch9wavefront6targetE0EEEvT1_.uses_vcc, 0
	.set _ZN7rocprim17ROCPRIM_400000_NS6detail17trampoline_kernelINS0_14default_configENS1_25partition_config_selectorILNS1_17partition_subalgoE6EdNS0_10empty_typeEbEEZZNS1_14partition_implILS5_6ELb0ES3_mN6thrust23THRUST_200600_302600_NS6detail15normal_iteratorINSA_10device_ptrIdEEEEPS6_SG_NS0_5tupleIJSF_S6_EEENSH_IJSG_SG_EEES6_PlJNSB_9not_fun_tINSB_14equal_to_valueIdEEEEEEE10hipError_tPvRmT3_T4_T5_T6_T7_T9_mT8_P12ihipStream_tbDpT10_ENKUlT_T0_E_clISt17integral_constantIbLb1EES18_EEDaS13_S14_EUlS13_E_NS1_11comp_targetILNS1_3genE2ELNS1_11target_archE906ELNS1_3gpuE6ELNS1_3repE0EEENS1_30default_config_static_selectorELNS0_4arch9wavefront6targetE0EEEvT1_.uses_flat_scratch, 0
	.set _ZN7rocprim17ROCPRIM_400000_NS6detail17trampoline_kernelINS0_14default_configENS1_25partition_config_selectorILNS1_17partition_subalgoE6EdNS0_10empty_typeEbEEZZNS1_14partition_implILS5_6ELb0ES3_mN6thrust23THRUST_200600_302600_NS6detail15normal_iteratorINSA_10device_ptrIdEEEEPS6_SG_NS0_5tupleIJSF_S6_EEENSH_IJSG_SG_EEES6_PlJNSB_9not_fun_tINSB_14equal_to_valueIdEEEEEEE10hipError_tPvRmT3_T4_T5_T6_T7_T9_mT8_P12ihipStream_tbDpT10_ENKUlT_T0_E_clISt17integral_constantIbLb1EES18_EEDaS13_S14_EUlS13_E_NS1_11comp_targetILNS1_3genE2ELNS1_11target_archE906ELNS1_3gpuE6ELNS1_3repE0EEENS1_30default_config_static_selectorELNS0_4arch9wavefront6targetE0EEEvT1_.has_dyn_sized_stack, 0
	.set _ZN7rocprim17ROCPRIM_400000_NS6detail17trampoline_kernelINS0_14default_configENS1_25partition_config_selectorILNS1_17partition_subalgoE6EdNS0_10empty_typeEbEEZZNS1_14partition_implILS5_6ELb0ES3_mN6thrust23THRUST_200600_302600_NS6detail15normal_iteratorINSA_10device_ptrIdEEEEPS6_SG_NS0_5tupleIJSF_S6_EEENSH_IJSG_SG_EEES6_PlJNSB_9not_fun_tINSB_14equal_to_valueIdEEEEEEE10hipError_tPvRmT3_T4_T5_T6_T7_T9_mT8_P12ihipStream_tbDpT10_ENKUlT_T0_E_clISt17integral_constantIbLb1EES18_EEDaS13_S14_EUlS13_E_NS1_11comp_targetILNS1_3genE2ELNS1_11target_archE906ELNS1_3gpuE6ELNS1_3repE0EEENS1_30default_config_static_selectorELNS0_4arch9wavefront6targetE0EEEvT1_.has_recursion, 0
	.set _ZN7rocprim17ROCPRIM_400000_NS6detail17trampoline_kernelINS0_14default_configENS1_25partition_config_selectorILNS1_17partition_subalgoE6EdNS0_10empty_typeEbEEZZNS1_14partition_implILS5_6ELb0ES3_mN6thrust23THRUST_200600_302600_NS6detail15normal_iteratorINSA_10device_ptrIdEEEEPS6_SG_NS0_5tupleIJSF_S6_EEENSH_IJSG_SG_EEES6_PlJNSB_9not_fun_tINSB_14equal_to_valueIdEEEEEEE10hipError_tPvRmT3_T4_T5_T6_T7_T9_mT8_P12ihipStream_tbDpT10_ENKUlT_T0_E_clISt17integral_constantIbLb1EES18_EEDaS13_S14_EUlS13_E_NS1_11comp_targetILNS1_3genE2ELNS1_11target_archE906ELNS1_3gpuE6ELNS1_3repE0EEENS1_30default_config_static_selectorELNS0_4arch9wavefront6targetE0EEEvT1_.has_indirect_call, 0
	.section	.AMDGPU.csdata,"",@progbits
; Kernel info:
; codeLenInByte = 0
; TotalNumSgprs: 0
; NumVgprs: 0
; ScratchSize: 0
; MemoryBound: 0
; FloatMode: 240
; IeeeMode: 1
; LDSByteSize: 0 bytes/workgroup (compile time only)
; SGPRBlocks: 0
; VGPRBlocks: 0
; NumSGPRsForWavesPerEU: 1
; NumVGPRsForWavesPerEU: 1
; Occupancy: 16
; WaveLimiterHint : 0
; COMPUTE_PGM_RSRC2:SCRATCH_EN: 0
; COMPUTE_PGM_RSRC2:USER_SGPR: 2
; COMPUTE_PGM_RSRC2:TRAP_HANDLER: 0
; COMPUTE_PGM_RSRC2:TGID_X_EN: 1
; COMPUTE_PGM_RSRC2:TGID_Y_EN: 0
; COMPUTE_PGM_RSRC2:TGID_Z_EN: 0
; COMPUTE_PGM_RSRC2:TIDIG_COMP_CNT: 0
	.section	.text._ZN7rocprim17ROCPRIM_400000_NS6detail17trampoline_kernelINS0_14default_configENS1_25partition_config_selectorILNS1_17partition_subalgoE6EdNS0_10empty_typeEbEEZZNS1_14partition_implILS5_6ELb0ES3_mN6thrust23THRUST_200600_302600_NS6detail15normal_iteratorINSA_10device_ptrIdEEEEPS6_SG_NS0_5tupleIJSF_S6_EEENSH_IJSG_SG_EEES6_PlJNSB_9not_fun_tINSB_14equal_to_valueIdEEEEEEE10hipError_tPvRmT3_T4_T5_T6_T7_T9_mT8_P12ihipStream_tbDpT10_ENKUlT_T0_E_clISt17integral_constantIbLb1EES18_EEDaS13_S14_EUlS13_E_NS1_11comp_targetILNS1_3genE10ELNS1_11target_archE1200ELNS1_3gpuE4ELNS1_3repE0EEENS1_30default_config_static_selectorELNS0_4arch9wavefront6targetE0EEEvT1_,"axG",@progbits,_ZN7rocprim17ROCPRIM_400000_NS6detail17trampoline_kernelINS0_14default_configENS1_25partition_config_selectorILNS1_17partition_subalgoE6EdNS0_10empty_typeEbEEZZNS1_14partition_implILS5_6ELb0ES3_mN6thrust23THRUST_200600_302600_NS6detail15normal_iteratorINSA_10device_ptrIdEEEEPS6_SG_NS0_5tupleIJSF_S6_EEENSH_IJSG_SG_EEES6_PlJNSB_9not_fun_tINSB_14equal_to_valueIdEEEEEEE10hipError_tPvRmT3_T4_T5_T6_T7_T9_mT8_P12ihipStream_tbDpT10_ENKUlT_T0_E_clISt17integral_constantIbLb1EES18_EEDaS13_S14_EUlS13_E_NS1_11comp_targetILNS1_3genE10ELNS1_11target_archE1200ELNS1_3gpuE4ELNS1_3repE0EEENS1_30default_config_static_selectorELNS0_4arch9wavefront6targetE0EEEvT1_,comdat
	.protected	_ZN7rocprim17ROCPRIM_400000_NS6detail17trampoline_kernelINS0_14default_configENS1_25partition_config_selectorILNS1_17partition_subalgoE6EdNS0_10empty_typeEbEEZZNS1_14partition_implILS5_6ELb0ES3_mN6thrust23THRUST_200600_302600_NS6detail15normal_iteratorINSA_10device_ptrIdEEEEPS6_SG_NS0_5tupleIJSF_S6_EEENSH_IJSG_SG_EEES6_PlJNSB_9not_fun_tINSB_14equal_to_valueIdEEEEEEE10hipError_tPvRmT3_T4_T5_T6_T7_T9_mT8_P12ihipStream_tbDpT10_ENKUlT_T0_E_clISt17integral_constantIbLb1EES18_EEDaS13_S14_EUlS13_E_NS1_11comp_targetILNS1_3genE10ELNS1_11target_archE1200ELNS1_3gpuE4ELNS1_3repE0EEENS1_30default_config_static_selectorELNS0_4arch9wavefront6targetE0EEEvT1_ ; -- Begin function _ZN7rocprim17ROCPRIM_400000_NS6detail17trampoline_kernelINS0_14default_configENS1_25partition_config_selectorILNS1_17partition_subalgoE6EdNS0_10empty_typeEbEEZZNS1_14partition_implILS5_6ELb0ES3_mN6thrust23THRUST_200600_302600_NS6detail15normal_iteratorINSA_10device_ptrIdEEEEPS6_SG_NS0_5tupleIJSF_S6_EEENSH_IJSG_SG_EEES6_PlJNSB_9not_fun_tINSB_14equal_to_valueIdEEEEEEE10hipError_tPvRmT3_T4_T5_T6_T7_T9_mT8_P12ihipStream_tbDpT10_ENKUlT_T0_E_clISt17integral_constantIbLb1EES18_EEDaS13_S14_EUlS13_E_NS1_11comp_targetILNS1_3genE10ELNS1_11target_archE1200ELNS1_3gpuE4ELNS1_3repE0EEENS1_30default_config_static_selectorELNS0_4arch9wavefront6targetE0EEEvT1_
	.globl	_ZN7rocprim17ROCPRIM_400000_NS6detail17trampoline_kernelINS0_14default_configENS1_25partition_config_selectorILNS1_17partition_subalgoE6EdNS0_10empty_typeEbEEZZNS1_14partition_implILS5_6ELb0ES3_mN6thrust23THRUST_200600_302600_NS6detail15normal_iteratorINSA_10device_ptrIdEEEEPS6_SG_NS0_5tupleIJSF_S6_EEENSH_IJSG_SG_EEES6_PlJNSB_9not_fun_tINSB_14equal_to_valueIdEEEEEEE10hipError_tPvRmT3_T4_T5_T6_T7_T9_mT8_P12ihipStream_tbDpT10_ENKUlT_T0_E_clISt17integral_constantIbLb1EES18_EEDaS13_S14_EUlS13_E_NS1_11comp_targetILNS1_3genE10ELNS1_11target_archE1200ELNS1_3gpuE4ELNS1_3repE0EEENS1_30default_config_static_selectorELNS0_4arch9wavefront6targetE0EEEvT1_
	.p2align	8
	.type	_ZN7rocprim17ROCPRIM_400000_NS6detail17trampoline_kernelINS0_14default_configENS1_25partition_config_selectorILNS1_17partition_subalgoE6EdNS0_10empty_typeEbEEZZNS1_14partition_implILS5_6ELb0ES3_mN6thrust23THRUST_200600_302600_NS6detail15normal_iteratorINSA_10device_ptrIdEEEEPS6_SG_NS0_5tupleIJSF_S6_EEENSH_IJSG_SG_EEES6_PlJNSB_9not_fun_tINSB_14equal_to_valueIdEEEEEEE10hipError_tPvRmT3_T4_T5_T6_T7_T9_mT8_P12ihipStream_tbDpT10_ENKUlT_T0_E_clISt17integral_constantIbLb1EES18_EEDaS13_S14_EUlS13_E_NS1_11comp_targetILNS1_3genE10ELNS1_11target_archE1200ELNS1_3gpuE4ELNS1_3repE0EEENS1_30default_config_static_selectorELNS0_4arch9wavefront6targetE0EEEvT1_,@function
_ZN7rocprim17ROCPRIM_400000_NS6detail17trampoline_kernelINS0_14default_configENS1_25partition_config_selectorILNS1_17partition_subalgoE6EdNS0_10empty_typeEbEEZZNS1_14partition_implILS5_6ELb0ES3_mN6thrust23THRUST_200600_302600_NS6detail15normal_iteratorINSA_10device_ptrIdEEEEPS6_SG_NS0_5tupleIJSF_S6_EEENSH_IJSG_SG_EEES6_PlJNSB_9not_fun_tINSB_14equal_to_valueIdEEEEEEE10hipError_tPvRmT3_T4_T5_T6_T7_T9_mT8_P12ihipStream_tbDpT10_ENKUlT_T0_E_clISt17integral_constantIbLb1EES18_EEDaS13_S14_EUlS13_E_NS1_11comp_targetILNS1_3genE10ELNS1_11target_archE1200ELNS1_3gpuE4ELNS1_3repE0EEENS1_30default_config_static_selectorELNS0_4arch9wavefront6targetE0EEEvT1_: ; @_ZN7rocprim17ROCPRIM_400000_NS6detail17trampoline_kernelINS0_14default_configENS1_25partition_config_selectorILNS1_17partition_subalgoE6EdNS0_10empty_typeEbEEZZNS1_14partition_implILS5_6ELb0ES3_mN6thrust23THRUST_200600_302600_NS6detail15normal_iteratorINSA_10device_ptrIdEEEEPS6_SG_NS0_5tupleIJSF_S6_EEENSH_IJSG_SG_EEES6_PlJNSB_9not_fun_tINSB_14equal_to_valueIdEEEEEEE10hipError_tPvRmT3_T4_T5_T6_T7_T9_mT8_P12ihipStream_tbDpT10_ENKUlT_T0_E_clISt17integral_constantIbLb1EES18_EEDaS13_S14_EUlS13_E_NS1_11comp_targetILNS1_3genE10ELNS1_11target_archE1200ELNS1_3gpuE4ELNS1_3repE0EEENS1_30default_config_static_selectorELNS0_4arch9wavefront6targetE0EEEvT1_
; %bb.0:
	s_endpgm
	.section	.rodata,"a",@progbits
	.p2align	6, 0x0
	.amdhsa_kernel _ZN7rocprim17ROCPRIM_400000_NS6detail17trampoline_kernelINS0_14default_configENS1_25partition_config_selectorILNS1_17partition_subalgoE6EdNS0_10empty_typeEbEEZZNS1_14partition_implILS5_6ELb0ES3_mN6thrust23THRUST_200600_302600_NS6detail15normal_iteratorINSA_10device_ptrIdEEEEPS6_SG_NS0_5tupleIJSF_S6_EEENSH_IJSG_SG_EEES6_PlJNSB_9not_fun_tINSB_14equal_to_valueIdEEEEEEE10hipError_tPvRmT3_T4_T5_T6_T7_T9_mT8_P12ihipStream_tbDpT10_ENKUlT_T0_E_clISt17integral_constantIbLb1EES18_EEDaS13_S14_EUlS13_E_NS1_11comp_targetILNS1_3genE10ELNS1_11target_archE1200ELNS1_3gpuE4ELNS1_3repE0EEENS1_30default_config_static_selectorELNS0_4arch9wavefront6targetE0EEEvT1_
		.amdhsa_group_segment_fixed_size 0
		.amdhsa_private_segment_fixed_size 0
		.amdhsa_kernarg_size 128
		.amdhsa_user_sgpr_count 2
		.amdhsa_user_sgpr_dispatch_ptr 0
		.amdhsa_user_sgpr_queue_ptr 0
		.amdhsa_user_sgpr_kernarg_segment_ptr 1
		.amdhsa_user_sgpr_dispatch_id 0
		.amdhsa_user_sgpr_private_segment_size 0
		.amdhsa_wavefront_size32 1
		.amdhsa_uses_dynamic_stack 0
		.amdhsa_enable_private_segment 0
		.amdhsa_system_sgpr_workgroup_id_x 1
		.amdhsa_system_sgpr_workgroup_id_y 0
		.amdhsa_system_sgpr_workgroup_id_z 0
		.amdhsa_system_sgpr_workgroup_info 0
		.amdhsa_system_vgpr_workitem_id 0
		.amdhsa_next_free_vgpr 1
		.amdhsa_next_free_sgpr 1
		.amdhsa_reserve_vcc 0
		.amdhsa_float_round_mode_32 0
		.amdhsa_float_round_mode_16_64 0
		.amdhsa_float_denorm_mode_32 3
		.amdhsa_float_denorm_mode_16_64 3
		.amdhsa_fp16_overflow 0
		.amdhsa_workgroup_processor_mode 1
		.amdhsa_memory_ordered 1
		.amdhsa_forward_progress 1
		.amdhsa_inst_pref_size 1
		.amdhsa_round_robin_scheduling 0
		.amdhsa_exception_fp_ieee_invalid_op 0
		.amdhsa_exception_fp_denorm_src 0
		.amdhsa_exception_fp_ieee_div_zero 0
		.amdhsa_exception_fp_ieee_overflow 0
		.amdhsa_exception_fp_ieee_underflow 0
		.amdhsa_exception_fp_ieee_inexact 0
		.amdhsa_exception_int_div_zero 0
	.end_amdhsa_kernel
	.section	.text._ZN7rocprim17ROCPRIM_400000_NS6detail17trampoline_kernelINS0_14default_configENS1_25partition_config_selectorILNS1_17partition_subalgoE6EdNS0_10empty_typeEbEEZZNS1_14partition_implILS5_6ELb0ES3_mN6thrust23THRUST_200600_302600_NS6detail15normal_iteratorINSA_10device_ptrIdEEEEPS6_SG_NS0_5tupleIJSF_S6_EEENSH_IJSG_SG_EEES6_PlJNSB_9not_fun_tINSB_14equal_to_valueIdEEEEEEE10hipError_tPvRmT3_T4_T5_T6_T7_T9_mT8_P12ihipStream_tbDpT10_ENKUlT_T0_E_clISt17integral_constantIbLb1EES18_EEDaS13_S14_EUlS13_E_NS1_11comp_targetILNS1_3genE10ELNS1_11target_archE1200ELNS1_3gpuE4ELNS1_3repE0EEENS1_30default_config_static_selectorELNS0_4arch9wavefront6targetE0EEEvT1_,"axG",@progbits,_ZN7rocprim17ROCPRIM_400000_NS6detail17trampoline_kernelINS0_14default_configENS1_25partition_config_selectorILNS1_17partition_subalgoE6EdNS0_10empty_typeEbEEZZNS1_14partition_implILS5_6ELb0ES3_mN6thrust23THRUST_200600_302600_NS6detail15normal_iteratorINSA_10device_ptrIdEEEEPS6_SG_NS0_5tupleIJSF_S6_EEENSH_IJSG_SG_EEES6_PlJNSB_9not_fun_tINSB_14equal_to_valueIdEEEEEEE10hipError_tPvRmT3_T4_T5_T6_T7_T9_mT8_P12ihipStream_tbDpT10_ENKUlT_T0_E_clISt17integral_constantIbLb1EES18_EEDaS13_S14_EUlS13_E_NS1_11comp_targetILNS1_3genE10ELNS1_11target_archE1200ELNS1_3gpuE4ELNS1_3repE0EEENS1_30default_config_static_selectorELNS0_4arch9wavefront6targetE0EEEvT1_,comdat
.Lfunc_end290:
	.size	_ZN7rocprim17ROCPRIM_400000_NS6detail17trampoline_kernelINS0_14default_configENS1_25partition_config_selectorILNS1_17partition_subalgoE6EdNS0_10empty_typeEbEEZZNS1_14partition_implILS5_6ELb0ES3_mN6thrust23THRUST_200600_302600_NS6detail15normal_iteratorINSA_10device_ptrIdEEEEPS6_SG_NS0_5tupleIJSF_S6_EEENSH_IJSG_SG_EEES6_PlJNSB_9not_fun_tINSB_14equal_to_valueIdEEEEEEE10hipError_tPvRmT3_T4_T5_T6_T7_T9_mT8_P12ihipStream_tbDpT10_ENKUlT_T0_E_clISt17integral_constantIbLb1EES18_EEDaS13_S14_EUlS13_E_NS1_11comp_targetILNS1_3genE10ELNS1_11target_archE1200ELNS1_3gpuE4ELNS1_3repE0EEENS1_30default_config_static_selectorELNS0_4arch9wavefront6targetE0EEEvT1_, .Lfunc_end290-_ZN7rocprim17ROCPRIM_400000_NS6detail17trampoline_kernelINS0_14default_configENS1_25partition_config_selectorILNS1_17partition_subalgoE6EdNS0_10empty_typeEbEEZZNS1_14partition_implILS5_6ELb0ES3_mN6thrust23THRUST_200600_302600_NS6detail15normal_iteratorINSA_10device_ptrIdEEEEPS6_SG_NS0_5tupleIJSF_S6_EEENSH_IJSG_SG_EEES6_PlJNSB_9not_fun_tINSB_14equal_to_valueIdEEEEEEE10hipError_tPvRmT3_T4_T5_T6_T7_T9_mT8_P12ihipStream_tbDpT10_ENKUlT_T0_E_clISt17integral_constantIbLb1EES18_EEDaS13_S14_EUlS13_E_NS1_11comp_targetILNS1_3genE10ELNS1_11target_archE1200ELNS1_3gpuE4ELNS1_3repE0EEENS1_30default_config_static_selectorELNS0_4arch9wavefront6targetE0EEEvT1_
                                        ; -- End function
	.set _ZN7rocprim17ROCPRIM_400000_NS6detail17trampoline_kernelINS0_14default_configENS1_25partition_config_selectorILNS1_17partition_subalgoE6EdNS0_10empty_typeEbEEZZNS1_14partition_implILS5_6ELb0ES3_mN6thrust23THRUST_200600_302600_NS6detail15normal_iteratorINSA_10device_ptrIdEEEEPS6_SG_NS0_5tupleIJSF_S6_EEENSH_IJSG_SG_EEES6_PlJNSB_9not_fun_tINSB_14equal_to_valueIdEEEEEEE10hipError_tPvRmT3_T4_T5_T6_T7_T9_mT8_P12ihipStream_tbDpT10_ENKUlT_T0_E_clISt17integral_constantIbLb1EES18_EEDaS13_S14_EUlS13_E_NS1_11comp_targetILNS1_3genE10ELNS1_11target_archE1200ELNS1_3gpuE4ELNS1_3repE0EEENS1_30default_config_static_selectorELNS0_4arch9wavefront6targetE0EEEvT1_.num_vgpr, 0
	.set _ZN7rocprim17ROCPRIM_400000_NS6detail17trampoline_kernelINS0_14default_configENS1_25partition_config_selectorILNS1_17partition_subalgoE6EdNS0_10empty_typeEbEEZZNS1_14partition_implILS5_6ELb0ES3_mN6thrust23THRUST_200600_302600_NS6detail15normal_iteratorINSA_10device_ptrIdEEEEPS6_SG_NS0_5tupleIJSF_S6_EEENSH_IJSG_SG_EEES6_PlJNSB_9not_fun_tINSB_14equal_to_valueIdEEEEEEE10hipError_tPvRmT3_T4_T5_T6_T7_T9_mT8_P12ihipStream_tbDpT10_ENKUlT_T0_E_clISt17integral_constantIbLb1EES18_EEDaS13_S14_EUlS13_E_NS1_11comp_targetILNS1_3genE10ELNS1_11target_archE1200ELNS1_3gpuE4ELNS1_3repE0EEENS1_30default_config_static_selectorELNS0_4arch9wavefront6targetE0EEEvT1_.num_agpr, 0
	.set _ZN7rocprim17ROCPRIM_400000_NS6detail17trampoline_kernelINS0_14default_configENS1_25partition_config_selectorILNS1_17partition_subalgoE6EdNS0_10empty_typeEbEEZZNS1_14partition_implILS5_6ELb0ES3_mN6thrust23THRUST_200600_302600_NS6detail15normal_iteratorINSA_10device_ptrIdEEEEPS6_SG_NS0_5tupleIJSF_S6_EEENSH_IJSG_SG_EEES6_PlJNSB_9not_fun_tINSB_14equal_to_valueIdEEEEEEE10hipError_tPvRmT3_T4_T5_T6_T7_T9_mT8_P12ihipStream_tbDpT10_ENKUlT_T0_E_clISt17integral_constantIbLb1EES18_EEDaS13_S14_EUlS13_E_NS1_11comp_targetILNS1_3genE10ELNS1_11target_archE1200ELNS1_3gpuE4ELNS1_3repE0EEENS1_30default_config_static_selectorELNS0_4arch9wavefront6targetE0EEEvT1_.numbered_sgpr, 0
	.set _ZN7rocprim17ROCPRIM_400000_NS6detail17trampoline_kernelINS0_14default_configENS1_25partition_config_selectorILNS1_17partition_subalgoE6EdNS0_10empty_typeEbEEZZNS1_14partition_implILS5_6ELb0ES3_mN6thrust23THRUST_200600_302600_NS6detail15normal_iteratorINSA_10device_ptrIdEEEEPS6_SG_NS0_5tupleIJSF_S6_EEENSH_IJSG_SG_EEES6_PlJNSB_9not_fun_tINSB_14equal_to_valueIdEEEEEEE10hipError_tPvRmT3_T4_T5_T6_T7_T9_mT8_P12ihipStream_tbDpT10_ENKUlT_T0_E_clISt17integral_constantIbLb1EES18_EEDaS13_S14_EUlS13_E_NS1_11comp_targetILNS1_3genE10ELNS1_11target_archE1200ELNS1_3gpuE4ELNS1_3repE0EEENS1_30default_config_static_selectorELNS0_4arch9wavefront6targetE0EEEvT1_.num_named_barrier, 0
	.set _ZN7rocprim17ROCPRIM_400000_NS6detail17trampoline_kernelINS0_14default_configENS1_25partition_config_selectorILNS1_17partition_subalgoE6EdNS0_10empty_typeEbEEZZNS1_14partition_implILS5_6ELb0ES3_mN6thrust23THRUST_200600_302600_NS6detail15normal_iteratorINSA_10device_ptrIdEEEEPS6_SG_NS0_5tupleIJSF_S6_EEENSH_IJSG_SG_EEES6_PlJNSB_9not_fun_tINSB_14equal_to_valueIdEEEEEEE10hipError_tPvRmT3_T4_T5_T6_T7_T9_mT8_P12ihipStream_tbDpT10_ENKUlT_T0_E_clISt17integral_constantIbLb1EES18_EEDaS13_S14_EUlS13_E_NS1_11comp_targetILNS1_3genE10ELNS1_11target_archE1200ELNS1_3gpuE4ELNS1_3repE0EEENS1_30default_config_static_selectorELNS0_4arch9wavefront6targetE0EEEvT1_.private_seg_size, 0
	.set _ZN7rocprim17ROCPRIM_400000_NS6detail17trampoline_kernelINS0_14default_configENS1_25partition_config_selectorILNS1_17partition_subalgoE6EdNS0_10empty_typeEbEEZZNS1_14partition_implILS5_6ELb0ES3_mN6thrust23THRUST_200600_302600_NS6detail15normal_iteratorINSA_10device_ptrIdEEEEPS6_SG_NS0_5tupleIJSF_S6_EEENSH_IJSG_SG_EEES6_PlJNSB_9not_fun_tINSB_14equal_to_valueIdEEEEEEE10hipError_tPvRmT3_T4_T5_T6_T7_T9_mT8_P12ihipStream_tbDpT10_ENKUlT_T0_E_clISt17integral_constantIbLb1EES18_EEDaS13_S14_EUlS13_E_NS1_11comp_targetILNS1_3genE10ELNS1_11target_archE1200ELNS1_3gpuE4ELNS1_3repE0EEENS1_30default_config_static_selectorELNS0_4arch9wavefront6targetE0EEEvT1_.uses_vcc, 0
	.set _ZN7rocprim17ROCPRIM_400000_NS6detail17trampoline_kernelINS0_14default_configENS1_25partition_config_selectorILNS1_17partition_subalgoE6EdNS0_10empty_typeEbEEZZNS1_14partition_implILS5_6ELb0ES3_mN6thrust23THRUST_200600_302600_NS6detail15normal_iteratorINSA_10device_ptrIdEEEEPS6_SG_NS0_5tupleIJSF_S6_EEENSH_IJSG_SG_EEES6_PlJNSB_9not_fun_tINSB_14equal_to_valueIdEEEEEEE10hipError_tPvRmT3_T4_T5_T6_T7_T9_mT8_P12ihipStream_tbDpT10_ENKUlT_T0_E_clISt17integral_constantIbLb1EES18_EEDaS13_S14_EUlS13_E_NS1_11comp_targetILNS1_3genE10ELNS1_11target_archE1200ELNS1_3gpuE4ELNS1_3repE0EEENS1_30default_config_static_selectorELNS0_4arch9wavefront6targetE0EEEvT1_.uses_flat_scratch, 0
	.set _ZN7rocprim17ROCPRIM_400000_NS6detail17trampoline_kernelINS0_14default_configENS1_25partition_config_selectorILNS1_17partition_subalgoE6EdNS0_10empty_typeEbEEZZNS1_14partition_implILS5_6ELb0ES3_mN6thrust23THRUST_200600_302600_NS6detail15normal_iteratorINSA_10device_ptrIdEEEEPS6_SG_NS0_5tupleIJSF_S6_EEENSH_IJSG_SG_EEES6_PlJNSB_9not_fun_tINSB_14equal_to_valueIdEEEEEEE10hipError_tPvRmT3_T4_T5_T6_T7_T9_mT8_P12ihipStream_tbDpT10_ENKUlT_T0_E_clISt17integral_constantIbLb1EES18_EEDaS13_S14_EUlS13_E_NS1_11comp_targetILNS1_3genE10ELNS1_11target_archE1200ELNS1_3gpuE4ELNS1_3repE0EEENS1_30default_config_static_selectorELNS0_4arch9wavefront6targetE0EEEvT1_.has_dyn_sized_stack, 0
	.set _ZN7rocprim17ROCPRIM_400000_NS6detail17trampoline_kernelINS0_14default_configENS1_25partition_config_selectorILNS1_17partition_subalgoE6EdNS0_10empty_typeEbEEZZNS1_14partition_implILS5_6ELb0ES3_mN6thrust23THRUST_200600_302600_NS6detail15normal_iteratorINSA_10device_ptrIdEEEEPS6_SG_NS0_5tupleIJSF_S6_EEENSH_IJSG_SG_EEES6_PlJNSB_9not_fun_tINSB_14equal_to_valueIdEEEEEEE10hipError_tPvRmT3_T4_T5_T6_T7_T9_mT8_P12ihipStream_tbDpT10_ENKUlT_T0_E_clISt17integral_constantIbLb1EES18_EEDaS13_S14_EUlS13_E_NS1_11comp_targetILNS1_3genE10ELNS1_11target_archE1200ELNS1_3gpuE4ELNS1_3repE0EEENS1_30default_config_static_selectorELNS0_4arch9wavefront6targetE0EEEvT1_.has_recursion, 0
	.set _ZN7rocprim17ROCPRIM_400000_NS6detail17trampoline_kernelINS0_14default_configENS1_25partition_config_selectorILNS1_17partition_subalgoE6EdNS0_10empty_typeEbEEZZNS1_14partition_implILS5_6ELb0ES3_mN6thrust23THRUST_200600_302600_NS6detail15normal_iteratorINSA_10device_ptrIdEEEEPS6_SG_NS0_5tupleIJSF_S6_EEENSH_IJSG_SG_EEES6_PlJNSB_9not_fun_tINSB_14equal_to_valueIdEEEEEEE10hipError_tPvRmT3_T4_T5_T6_T7_T9_mT8_P12ihipStream_tbDpT10_ENKUlT_T0_E_clISt17integral_constantIbLb1EES18_EEDaS13_S14_EUlS13_E_NS1_11comp_targetILNS1_3genE10ELNS1_11target_archE1200ELNS1_3gpuE4ELNS1_3repE0EEENS1_30default_config_static_selectorELNS0_4arch9wavefront6targetE0EEEvT1_.has_indirect_call, 0
	.section	.AMDGPU.csdata,"",@progbits
; Kernel info:
; codeLenInByte = 4
; TotalNumSgprs: 0
; NumVgprs: 0
; ScratchSize: 0
; MemoryBound: 0
; FloatMode: 240
; IeeeMode: 1
; LDSByteSize: 0 bytes/workgroup (compile time only)
; SGPRBlocks: 0
; VGPRBlocks: 0
; NumSGPRsForWavesPerEU: 1
; NumVGPRsForWavesPerEU: 1
; Occupancy: 16
; WaveLimiterHint : 0
; COMPUTE_PGM_RSRC2:SCRATCH_EN: 0
; COMPUTE_PGM_RSRC2:USER_SGPR: 2
; COMPUTE_PGM_RSRC2:TRAP_HANDLER: 0
; COMPUTE_PGM_RSRC2:TGID_X_EN: 1
; COMPUTE_PGM_RSRC2:TGID_Y_EN: 0
; COMPUTE_PGM_RSRC2:TGID_Z_EN: 0
; COMPUTE_PGM_RSRC2:TIDIG_COMP_CNT: 0
	.section	.text._ZN7rocprim17ROCPRIM_400000_NS6detail17trampoline_kernelINS0_14default_configENS1_25partition_config_selectorILNS1_17partition_subalgoE6EdNS0_10empty_typeEbEEZZNS1_14partition_implILS5_6ELb0ES3_mN6thrust23THRUST_200600_302600_NS6detail15normal_iteratorINSA_10device_ptrIdEEEEPS6_SG_NS0_5tupleIJSF_S6_EEENSH_IJSG_SG_EEES6_PlJNSB_9not_fun_tINSB_14equal_to_valueIdEEEEEEE10hipError_tPvRmT3_T4_T5_T6_T7_T9_mT8_P12ihipStream_tbDpT10_ENKUlT_T0_E_clISt17integral_constantIbLb1EES18_EEDaS13_S14_EUlS13_E_NS1_11comp_targetILNS1_3genE9ELNS1_11target_archE1100ELNS1_3gpuE3ELNS1_3repE0EEENS1_30default_config_static_selectorELNS0_4arch9wavefront6targetE0EEEvT1_,"axG",@progbits,_ZN7rocprim17ROCPRIM_400000_NS6detail17trampoline_kernelINS0_14default_configENS1_25partition_config_selectorILNS1_17partition_subalgoE6EdNS0_10empty_typeEbEEZZNS1_14partition_implILS5_6ELb0ES3_mN6thrust23THRUST_200600_302600_NS6detail15normal_iteratorINSA_10device_ptrIdEEEEPS6_SG_NS0_5tupleIJSF_S6_EEENSH_IJSG_SG_EEES6_PlJNSB_9not_fun_tINSB_14equal_to_valueIdEEEEEEE10hipError_tPvRmT3_T4_T5_T6_T7_T9_mT8_P12ihipStream_tbDpT10_ENKUlT_T0_E_clISt17integral_constantIbLb1EES18_EEDaS13_S14_EUlS13_E_NS1_11comp_targetILNS1_3genE9ELNS1_11target_archE1100ELNS1_3gpuE3ELNS1_3repE0EEENS1_30default_config_static_selectorELNS0_4arch9wavefront6targetE0EEEvT1_,comdat
	.protected	_ZN7rocprim17ROCPRIM_400000_NS6detail17trampoline_kernelINS0_14default_configENS1_25partition_config_selectorILNS1_17partition_subalgoE6EdNS0_10empty_typeEbEEZZNS1_14partition_implILS5_6ELb0ES3_mN6thrust23THRUST_200600_302600_NS6detail15normal_iteratorINSA_10device_ptrIdEEEEPS6_SG_NS0_5tupleIJSF_S6_EEENSH_IJSG_SG_EEES6_PlJNSB_9not_fun_tINSB_14equal_to_valueIdEEEEEEE10hipError_tPvRmT3_T4_T5_T6_T7_T9_mT8_P12ihipStream_tbDpT10_ENKUlT_T0_E_clISt17integral_constantIbLb1EES18_EEDaS13_S14_EUlS13_E_NS1_11comp_targetILNS1_3genE9ELNS1_11target_archE1100ELNS1_3gpuE3ELNS1_3repE0EEENS1_30default_config_static_selectorELNS0_4arch9wavefront6targetE0EEEvT1_ ; -- Begin function _ZN7rocprim17ROCPRIM_400000_NS6detail17trampoline_kernelINS0_14default_configENS1_25partition_config_selectorILNS1_17partition_subalgoE6EdNS0_10empty_typeEbEEZZNS1_14partition_implILS5_6ELb0ES3_mN6thrust23THRUST_200600_302600_NS6detail15normal_iteratorINSA_10device_ptrIdEEEEPS6_SG_NS0_5tupleIJSF_S6_EEENSH_IJSG_SG_EEES6_PlJNSB_9not_fun_tINSB_14equal_to_valueIdEEEEEEE10hipError_tPvRmT3_T4_T5_T6_T7_T9_mT8_P12ihipStream_tbDpT10_ENKUlT_T0_E_clISt17integral_constantIbLb1EES18_EEDaS13_S14_EUlS13_E_NS1_11comp_targetILNS1_3genE9ELNS1_11target_archE1100ELNS1_3gpuE3ELNS1_3repE0EEENS1_30default_config_static_selectorELNS0_4arch9wavefront6targetE0EEEvT1_
	.globl	_ZN7rocprim17ROCPRIM_400000_NS6detail17trampoline_kernelINS0_14default_configENS1_25partition_config_selectorILNS1_17partition_subalgoE6EdNS0_10empty_typeEbEEZZNS1_14partition_implILS5_6ELb0ES3_mN6thrust23THRUST_200600_302600_NS6detail15normal_iteratorINSA_10device_ptrIdEEEEPS6_SG_NS0_5tupleIJSF_S6_EEENSH_IJSG_SG_EEES6_PlJNSB_9not_fun_tINSB_14equal_to_valueIdEEEEEEE10hipError_tPvRmT3_T4_T5_T6_T7_T9_mT8_P12ihipStream_tbDpT10_ENKUlT_T0_E_clISt17integral_constantIbLb1EES18_EEDaS13_S14_EUlS13_E_NS1_11comp_targetILNS1_3genE9ELNS1_11target_archE1100ELNS1_3gpuE3ELNS1_3repE0EEENS1_30default_config_static_selectorELNS0_4arch9wavefront6targetE0EEEvT1_
	.p2align	8
	.type	_ZN7rocprim17ROCPRIM_400000_NS6detail17trampoline_kernelINS0_14default_configENS1_25partition_config_selectorILNS1_17partition_subalgoE6EdNS0_10empty_typeEbEEZZNS1_14partition_implILS5_6ELb0ES3_mN6thrust23THRUST_200600_302600_NS6detail15normal_iteratorINSA_10device_ptrIdEEEEPS6_SG_NS0_5tupleIJSF_S6_EEENSH_IJSG_SG_EEES6_PlJNSB_9not_fun_tINSB_14equal_to_valueIdEEEEEEE10hipError_tPvRmT3_T4_T5_T6_T7_T9_mT8_P12ihipStream_tbDpT10_ENKUlT_T0_E_clISt17integral_constantIbLb1EES18_EEDaS13_S14_EUlS13_E_NS1_11comp_targetILNS1_3genE9ELNS1_11target_archE1100ELNS1_3gpuE3ELNS1_3repE0EEENS1_30default_config_static_selectorELNS0_4arch9wavefront6targetE0EEEvT1_,@function
_ZN7rocprim17ROCPRIM_400000_NS6detail17trampoline_kernelINS0_14default_configENS1_25partition_config_selectorILNS1_17partition_subalgoE6EdNS0_10empty_typeEbEEZZNS1_14partition_implILS5_6ELb0ES3_mN6thrust23THRUST_200600_302600_NS6detail15normal_iteratorINSA_10device_ptrIdEEEEPS6_SG_NS0_5tupleIJSF_S6_EEENSH_IJSG_SG_EEES6_PlJNSB_9not_fun_tINSB_14equal_to_valueIdEEEEEEE10hipError_tPvRmT3_T4_T5_T6_T7_T9_mT8_P12ihipStream_tbDpT10_ENKUlT_T0_E_clISt17integral_constantIbLb1EES18_EEDaS13_S14_EUlS13_E_NS1_11comp_targetILNS1_3genE9ELNS1_11target_archE1100ELNS1_3gpuE3ELNS1_3repE0EEENS1_30default_config_static_selectorELNS0_4arch9wavefront6targetE0EEEvT1_: ; @_ZN7rocprim17ROCPRIM_400000_NS6detail17trampoline_kernelINS0_14default_configENS1_25partition_config_selectorILNS1_17partition_subalgoE6EdNS0_10empty_typeEbEEZZNS1_14partition_implILS5_6ELb0ES3_mN6thrust23THRUST_200600_302600_NS6detail15normal_iteratorINSA_10device_ptrIdEEEEPS6_SG_NS0_5tupleIJSF_S6_EEENSH_IJSG_SG_EEES6_PlJNSB_9not_fun_tINSB_14equal_to_valueIdEEEEEEE10hipError_tPvRmT3_T4_T5_T6_T7_T9_mT8_P12ihipStream_tbDpT10_ENKUlT_T0_E_clISt17integral_constantIbLb1EES18_EEDaS13_S14_EUlS13_E_NS1_11comp_targetILNS1_3genE9ELNS1_11target_archE1100ELNS1_3gpuE3ELNS1_3repE0EEENS1_30default_config_static_selectorELNS0_4arch9wavefront6targetE0EEEvT1_
; %bb.0:
	.section	.rodata,"a",@progbits
	.p2align	6, 0x0
	.amdhsa_kernel _ZN7rocprim17ROCPRIM_400000_NS6detail17trampoline_kernelINS0_14default_configENS1_25partition_config_selectorILNS1_17partition_subalgoE6EdNS0_10empty_typeEbEEZZNS1_14partition_implILS5_6ELb0ES3_mN6thrust23THRUST_200600_302600_NS6detail15normal_iteratorINSA_10device_ptrIdEEEEPS6_SG_NS0_5tupleIJSF_S6_EEENSH_IJSG_SG_EEES6_PlJNSB_9not_fun_tINSB_14equal_to_valueIdEEEEEEE10hipError_tPvRmT3_T4_T5_T6_T7_T9_mT8_P12ihipStream_tbDpT10_ENKUlT_T0_E_clISt17integral_constantIbLb1EES18_EEDaS13_S14_EUlS13_E_NS1_11comp_targetILNS1_3genE9ELNS1_11target_archE1100ELNS1_3gpuE3ELNS1_3repE0EEENS1_30default_config_static_selectorELNS0_4arch9wavefront6targetE0EEEvT1_
		.amdhsa_group_segment_fixed_size 0
		.amdhsa_private_segment_fixed_size 0
		.amdhsa_kernarg_size 128
		.amdhsa_user_sgpr_count 2
		.amdhsa_user_sgpr_dispatch_ptr 0
		.amdhsa_user_sgpr_queue_ptr 0
		.amdhsa_user_sgpr_kernarg_segment_ptr 1
		.amdhsa_user_sgpr_dispatch_id 0
		.amdhsa_user_sgpr_private_segment_size 0
		.amdhsa_wavefront_size32 1
		.amdhsa_uses_dynamic_stack 0
		.amdhsa_enable_private_segment 0
		.amdhsa_system_sgpr_workgroup_id_x 1
		.amdhsa_system_sgpr_workgroup_id_y 0
		.amdhsa_system_sgpr_workgroup_id_z 0
		.amdhsa_system_sgpr_workgroup_info 0
		.amdhsa_system_vgpr_workitem_id 0
		.amdhsa_next_free_vgpr 1
		.amdhsa_next_free_sgpr 1
		.amdhsa_reserve_vcc 0
		.amdhsa_float_round_mode_32 0
		.amdhsa_float_round_mode_16_64 0
		.amdhsa_float_denorm_mode_32 3
		.amdhsa_float_denorm_mode_16_64 3
		.amdhsa_fp16_overflow 0
		.amdhsa_workgroup_processor_mode 1
		.amdhsa_memory_ordered 1
		.amdhsa_forward_progress 1
		.amdhsa_inst_pref_size 0
		.amdhsa_round_robin_scheduling 0
		.amdhsa_exception_fp_ieee_invalid_op 0
		.amdhsa_exception_fp_denorm_src 0
		.amdhsa_exception_fp_ieee_div_zero 0
		.amdhsa_exception_fp_ieee_overflow 0
		.amdhsa_exception_fp_ieee_underflow 0
		.amdhsa_exception_fp_ieee_inexact 0
		.amdhsa_exception_int_div_zero 0
	.end_amdhsa_kernel
	.section	.text._ZN7rocprim17ROCPRIM_400000_NS6detail17trampoline_kernelINS0_14default_configENS1_25partition_config_selectorILNS1_17partition_subalgoE6EdNS0_10empty_typeEbEEZZNS1_14partition_implILS5_6ELb0ES3_mN6thrust23THRUST_200600_302600_NS6detail15normal_iteratorINSA_10device_ptrIdEEEEPS6_SG_NS0_5tupleIJSF_S6_EEENSH_IJSG_SG_EEES6_PlJNSB_9not_fun_tINSB_14equal_to_valueIdEEEEEEE10hipError_tPvRmT3_T4_T5_T6_T7_T9_mT8_P12ihipStream_tbDpT10_ENKUlT_T0_E_clISt17integral_constantIbLb1EES18_EEDaS13_S14_EUlS13_E_NS1_11comp_targetILNS1_3genE9ELNS1_11target_archE1100ELNS1_3gpuE3ELNS1_3repE0EEENS1_30default_config_static_selectorELNS0_4arch9wavefront6targetE0EEEvT1_,"axG",@progbits,_ZN7rocprim17ROCPRIM_400000_NS6detail17trampoline_kernelINS0_14default_configENS1_25partition_config_selectorILNS1_17partition_subalgoE6EdNS0_10empty_typeEbEEZZNS1_14partition_implILS5_6ELb0ES3_mN6thrust23THRUST_200600_302600_NS6detail15normal_iteratorINSA_10device_ptrIdEEEEPS6_SG_NS0_5tupleIJSF_S6_EEENSH_IJSG_SG_EEES6_PlJNSB_9not_fun_tINSB_14equal_to_valueIdEEEEEEE10hipError_tPvRmT3_T4_T5_T6_T7_T9_mT8_P12ihipStream_tbDpT10_ENKUlT_T0_E_clISt17integral_constantIbLb1EES18_EEDaS13_S14_EUlS13_E_NS1_11comp_targetILNS1_3genE9ELNS1_11target_archE1100ELNS1_3gpuE3ELNS1_3repE0EEENS1_30default_config_static_selectorELNS0_4arch9wavefront6targetE0EEEvT1_,comdat
.Lfunc_end291:
	.size	_ZN7rocprim17ROCPRIM_400000_NS6detail17trampoline_kernelINS0_14default_configENS1_25partition_config_selectorILNS1_17partition_subalgoE6EdNS0_10empty_typeEbEEZZNS1_14partition_implILS5_6ELb0ES3_mN6thrust23THRUST_200600_302600_NS6detail15normal_iteratorINSA_10device_ptrIdEEEEPS6_SG_NS0_5tupleIJSF_S6_EEENSH_IJSG_SG_EEES6_PlJNSB_9not_fun_tINSB_14equal_to_valueIdEEEEEEE10hipError_tPvRmT3_T4_T5_T6_T7_T9_mT8_P12ihipStream_tbDpT10_ENKUlT_T0_E_clISt17integral_constantIbLb1EES18_EEDaS13_S14_EUlS13_E_NS1_11comp_targetILNS1_3genE9ELNS1_11target_archE1100ELNS1_3gpuE3ELNS1_3repE0EEENS1_30default_config_static_selectorELNS0_4arch9wavefront6targetE0EEEvT1_, .Lfunc_end291-_ZN7rocprim17ROCPRIM_400000_NS6detail17trampoline_kernelINS0_14default_configENS1_25partition_config_selectorILNS1_17partition_subalgoE6EdNS0_10empty_typeEbEEZZNS1_14partition_implILS5_6ELb0ES3_mN6thrust23THRUST_200600_302600_NS6detail15normal_iteratorINSA_10device_ptrIdEEEEPS6_SG_NS0_5tupleIJSF_S6_EEENSH_IJSG_SG_EEES6_PlJNSB_9not_fun_tINSB_14equal_to_valueIdEEEEEEE10hipError_tPvRmT3_T4_T5_T6_T7_T9_mT8_P12ihipStream_tbDpT10_ENKUlT_T0_E_clISt17integral_constantIbLb1EES18_EEDaS13_S14_EUlS13_E_NS1_11comp_targetILNS1_3genE9ELNS1_11target_archE1100ELNS1_3gpuE3ELNS1_3repE0EEENS1_30default_config_static_selectorELNS0_4arch9wavefront6targetE0EEEvT1_
                                        ; -- End function
	.set _ZN7rocprim17ROCPRIM_400000_NS6detail17trampoline_kernelINS0_14default_configENS1_25partition_config_selectorILNS1_17partition_subalgoE6EdNS0_10empty_typeEbEEZZNS1_14partition_implILS5_6ELb0ES3_mN6thrust23THRUST_200600_302600_NS6detail15normal_iteratorINSA_10device_ptrIdEEEEPS6_SG_NS0_5tupleIJSF_S6_EEENSH_IJSG_SG_EEES6_PlJNSB_9not_fun_tINSB_14equal_to_valueIdEEEEEEE10hipError_tPvRmT3_T4_T5_T6_T7_T9_mT8_P12ihipStream_tbDpT10_ENKUlT_T0_E_clISt17integral_constantIbLb1EES18_EEDaS13_S14_EUlS13_E_NS1_11comp_targetILNS1_3genE9ELNS1_11target_archE1100ELNS1_3gpuE3ELNS1_3repE0EEENS1_30default_config_static_selectorELNS0_4arch9wavefront6targetE0EEEvT1_.num_vgpr, 0
	.set _ZN7rocprim17ROCPRIM_400000_NS6detail17trampoline_kernelINS0_14default_configENS1_25partition_config_selectorILNS1_17partition_subalgoE6EdNS0_10empty_typeEbEEZZNS1_14partition_implILS5_6ELb0ES3_mN6thrust23THRUST_200600_302600_NS6detail15normal_iteratorINSA_10device_ptrIdEEEEPS6_SG_NS0_5tupleIJSF_S6_EEENSH_IJSG_SG_EEES6_PlJNSB_9not_fun_tINSB_14equal_to_valueIdEEEEEEE10hipError_tPvRmT3_T4_T5_T6_T7_T9_mT8_P12ihipStream_tbDpT10_ENKUlT_T0_E_clISt17integral_constantIbLb1EES18_EEDaS13_S14_EUlS13_E_NS1_11comp_targetILNS1_3genE9ELNS1_11target_archE1100ELNS1_3gpuE3ELNS1_3repE0EEENS1_30default_config_static_selectorELNS0_4arch9wavefront6targetE0EEEvT1_.num_agpr, 0
	.set _ZN7rocprim17ROCPRIM_400000_NS6detail17trampoline_kernelINS0_14default_configENS1_25partition_config_selectorILNS1_17partition_subalgoE6EdNS0_10empty_typeEbEEZZNS1_14partition_implILS5_6ELb0ES3_mN6thrust23THRUST_200600_302600_NS6detail15normal_iteratorINSA_10device_ptrIdEEEEPS6_SG_NS0_5tupleIJSF_S6_EEENSH_IJSG_SG_EEES6_PlJNSB_9not_fun_tINSB_14equal_to_valueIdEEEEEEE10hipError_tPvRmT3_T4_T5_T6_T7_T9_mT8_P12ihipStream_tbDpT10_ENKUlT_T0_E_clISt17integral_constantIbLb1EES18_EEDaS13_S14_EUlS13_E_NS1_11comp_targetILNS1_3genE9ELNS1_11target_archE1100ELNS1_3gpuE3ELNS1_3repE0EEENS1_30default_config_static_selectorELNS0_4arch9wavefront6targetE0EEEvT1_.numbered_sgpr, 0
	.set _ZN7rocprim17ROCPRIM_400000_NS6detail17trampoline_kernelINS0_14default_configENS1_25partition_config_selectorILNS1_17partition_subalgoE6EdNS0_10empty_typeEbEEZZNS1_14partition_implILS5_6ELb0ES3_mN6thrust23THRUST_200600_302600_NS6detail15normal_iteratorINSA_10device_ptrIdEEEEPS6_SG_NS0_5tupleIJSF_S6_EEENSH_IJSG_SG_EEES6_PlJNSB_9not_fun_tINSB_14equal_to_valueIdEEEEEEE10hipError_tPvRmT3_T4_T5_T6_T7_T9_mT8_P12ihipStream_tbDpT10_ENKUlT_T0_E_clISt17integral_constantIbLb1EES18_EEDaS13_S14_EUlS13_E_NS1_11comp_targetILNS1_3genE9ELNS1_11target_archE1100ELNS1_3gpuE3ELNS1_3repE0EEENS1_30default_config_static_selectorELNS0_4arch9wavefront6targetE0EEEvT1_.num_named_barrier, 0
	.set _ZN7rocprim17ROCPRIM_400000_NS6detail17trampoline_kernelINS0_14default_configENS1_25partition_config_selectorILNS1_17partition_subalgoE6EdNS0_10empty_typeEbEEZZNS1_14partition_implILS5_6ELb0ES3_mN6thrust23THRUST_200600_302600_NS6detail15normal_iteratorINSA_10device_ptrIdEEEEPS6_SG_NS0_5tupleIJSF_S6_EEENSH_IJSG_SG_EEES6_PlJNSB_9not_fun_tINSB_14equal_to_valueIdEEEEEEE10hipError_tPvRmT3_T4_T5_T6_T7_T9_mT8_P12ihipStream_tbDpT10_ENKUlT_T0_E_clISt17integral_constantIbLb1EES18_EEDaS13_S14_EUlS13_E_NS1_11comp_targetILNS1_3genE9ELNS1_11target_archE1100ELNS1_3gpuE3ELNS1_3repE0EEENS1_30default_config_static_selectorELNS0_4arch9wavefront6targetE0EEEvT1_.private_seg_size, 0
	.set _ZN7rocprim17ROCPRIM_400000_NS6detail17trampoline_kernelINS0_14default_configENS1_25partition_config_selectorILNS1_17partition_subalgoE6EdNS0_10empty_typeEbEEZZNS1_14partition_implILS5_6ELb0ES3_mN6thrust23THRUST_200600_302600_NS6detail15normal_iteratorINSA_10device_ptrIdEEEEPS6_SG_NS0_5tupleIJSF_S6_EEENSH_IJSG_SG_EEES6_PlJNSB_9not_fun_tINSB_14equal_to_valueIdEEEEEEE10hipError_tPvRmT3_T4_T5_T6_T7_T9_mT8_P12ihipStream_tbDpT10_ENKUlT_T0_E_clISt17integral_constantIbLb1EES18_EEDaS13_S14_EUlS13_E_NS1_11comp_targetILNS1_3genE9ELNS1_11target_archE1100ELNS1_3gpuE3ELNS1_3repE0EEENS1_30default_config_static_selectorELNS0_4arch9wavefront6targetE0EEEvT1_.uses_vcc, 0
	.set _ZN7rocprim17ROCPRIM_400000_NS6detail17trampoline_kernelINS0_14default_configENS1_25partition_config_selectorILNS1_17partition_subalgoE6EdNS0_10empty_typeEbEEZZNS1_14partition_implILS5_6ELb0ES3_mN6thrust23THRUST_200600_302600_NS6detail15normal_iteratorINSA_10device_ptrIdEEEEPS6_SG_NS0_5tupleIJSF_S6_EEENSH_IJSG_SG_EEES6_PlJNSB_9not_fun_tINSB_14equal_to_valueIdEEEEEEE10hipError_tPvRmT3_T4_T5_T6_T7_T9_mT8_P12ihipStream_tbDpT10_ENKUlT_T0_E_clISt17integral_constantIbLb1EES18_EEDaS13_S14_EUlS13_E_NS1_11comp_targetILNS1_3genE9ELNS1_11target_archE1100ELNS1_3gpuE3ELNS1_3repE0EEENS1_30default_config_static_selectorELNS0_4arch9wavefront6targetE0EEEvT1_.uses_flat_scratch, 0
	.set _ZN7rocprim17ROCPRIM_400000_NS6detail17trampoline_kernelINS0_14default_configENS1_25partition_config_selectorILNS1_17partition_subalgoE6EdNS0_10empty_typeEbEEZZNS1_14partition_implILS5_6ELb0ES3_mN6thrust23THRUST_200600_302600_NS6detail15normal_iteratorINSA_10device_ptrIdEEEEPS6_SG_NS0_5tupleIJSF_S6_EEENSH_IJSG_SG_EEES6_PlJNSB_9not_fun_tINSB_14equal_to_valueIdEEEEEEE10hipError_tPvRmT3_T4_T5_T6_T7_T9_mT8_P12ihipStream_tbDpT10_ENKUlT_T0_E_clISt17integral_constantIbLb1EES18_EEDaS13_S14_EUlS13_E_NS1_11comp_targetILNS1_3genE9ELNS1_11target_archE1100ELNS1_3gpuE3ELNS1_3repE0EEENS1_30default_config_static_selectorELNS0_4arch9wavefront6targetE0EEEvT1_.has_dyn_sized_stack, 0
	.set _ZN7rocprim17ROCPRIM_400000_NS6detail17trampoline_kernelINS0_14default_configENS1_25partition_config_selectorILNS1_17partition_subalgoE6EdNS0_10empty_typeEbEEZZNS1_14partition_implILS5_6ELb0ES3_mN6thrust23THRUST_200600_302600_NS6detail15normal_iteratorINSA_10device_ptrIdEEEEPS6_SG_NS0_5tupleIJSF_S6_EEENSH_IJSG_SG_EEES6_PlJNSB_9not_fun_tINSB_14equal_to_valueIdEEEEEEE10hipError_tPvRmT3_T4_T5_T6_T7_T9_mT8_P12ihipStream_tbDpT10_ENKUlT_T0_E_clISt17integral_constantIbLb1EES18_EEDaS13_S14_EUlS13_E_NS1_11comp_targetILNS1_3genE9ELNS1_11target_archE1100ELNS1_3gpuE3ELNS1_3repE0EEENS1_30default_config_static_selectorELNS0_4arch9wavefront6targetE0EEEvT1_.has_recursion, 0
	.set _ZN7rocprim17ROCPRIM_400000_NS6detail17trampoline_kernelINS0_14default_configENS1_25partition_config_selectorILNS1_17partition_subalgoE6EdNS0_10empty_typeEbEEZZNS1_14partition_implILS5_6ELb0ES3_mN6thrust23THRUST_200600_302600_NS6detail15normal_iteratorINSA_10device_ptrIdEEEEPS6_SG_NS0_5tupleIJSF_S6_EEENSH_IJSG_SG_EEES6_PlJNSB_9not_fun_tINSB_14equal_to_valueIdEEEEEEE10hipError_tPvRmT3_T4_T5_T6_T7_T9_mT8_P12ihipStream_tbDpT10_ENKUlT_T0_E_clISt17integral_constantIbLb1EES18_EEDaS13_S14_EUlS13_E_NS1_11comp_targetILNS1_3genE9ELNS1_11target_archE1100ELNS1_3gpuE3ELNS1_3repE0EEENS1_30default_config_static_selectorELNS0_4arch9wavefront6targetE0EEEvT1_.has_indirect_call, 0
	.section	.AMDGPU.csdata,"",@progbits
; Kernel info:
; codeLenInByte = 0
; TotalNumSgprs: 0
; NumVgprs: 0
; ScratchSize: 0
; MemoryBound: 0
; FloatMode: 240
; IeeeMode: 1
; LDSByteSize: 0 bytes/workgroup (compile time only)
; SGPRBlocks: 0
; VGPRBlocks: 0
; NumSGPRsForWavesPerEU: 1
; NumVGPRsForWavesPerEU: 1
; Occupancy: 16
; WaveLimiterHint : 0
; COMPUTE_PGM_RSRC2:SCRATCH_EN: 0
; COMPUTE_PGM_RSRC2:USER_SGPR: 2
; COMPUTE_PGM_RSRC2:TRAP_HANDLER: 0
; COMPUTE_PGM_RSRC2:TGID_X_EN: 1
; COMPUTE_PGM_RSRC2:TGID_Y_EN: 0
; COMPUTE_PGM_RSRC2:TGID_Z_EN: 0
; COMPUTE_PGM_RSRC2:TIDIG_COMP_CNT: 0
	.section	.text._ZN7rocprim17ROCPRIM_400000_NS6detail17trampoline_kernelINS0_14default_configENS1_25partition_config_selectorILNS1_17partition_subalgoE6EdNS0_10empty_typeEbEEZZNS1_14partition_implILS5_6ELb0ES3_mN6thrust23THRUST_200600_302600_NS6detail15normal_iteratorINSA_10device_ptrIdEEEEPS6_SG_NS0_5tupleIJSF_S6_EEENSH_IJSG_SG_EEES6_PlJNSB_9not_fun_tINSB_14equal_to_valueIdEEEEEEE10hipError_tPvRmT3_T4_T5_T6_T7_T9_mT8_P12ihipStream_tbDpT10_ENKUlT_T0_E_clISt17integral_constantIbLb1EES18_EEDaS13_S14_EUlS13_E_NS1_11comp_targetILNS1_3genE8ELNS1_11target_archE1030ELNS1_3gpuE2ELNS1_3repE0EEENS1_30default_config_static_selectorELNS0_4arch9wavefront6targetE0EEEvT1_,"axG",@progbits,_ZN7rocprim17ROCPRIM_400000_NS6detail17trampoline_kernelINS0_14default_configENS1_25partition_config_selectorILNS1_17partition_subalgoE6EdNS0_10empty_typeEbEEZZNS1_14partition_implILS5_6ELb0ES3_mN6thrust23THRUST_200600_302600_NS6detail15normal_iteratorINSA_10device_ptrIdEEEEPS6_SG_NS0_5tupleIJSF_S6_EEENSH_IJSG_SG_EEES6_PlJNSB_9not_fun_tINSB_14equal_to_valueIdEEEEEEE10hipError_tPvRmT3_T4_T5_T6_T7_T9_mT8_P12ihipStream_tbDpT10_ENKUlT_T0_E_clISt17integral_constantIbLb1EES18_EEDaS13_S14_EUlS13_E_NS1_11comp_targetILNS1_3genE8ELNS1_11target_archE1030ELNS1_3gpuE2ELNS1_3repE0EEENS1_30default_config_static_selectorELNS0_4arch9wavefront6targetE0EEEvT1_,comdat
	.protected	_ZN7rocprim17ROCPRIM_400000_NS6detail17trampoline_kernelINS0_14default_configENS1_25partition_config_selectorILNS1_17partition_subalgoE6EdNS0_10empty_typeEbEEZZNS1_14partition_implILS5_6ELb0ES3_mN6thrust23THRUST_200600_302600_NS6detail15normal_iteratorINSA_10device_ptrIdEEEEPS6_SG_NS0_5tupleIJSF_S6_EEENSH_IJSG_SG_EEES6_PlJNSB_9not_fun_tINSB_14equal_to_valueIdEEEEEEE10hipError_tPvRmT3_T4_T5_T6_T7_T9_mT8_P12ihipStream_tbDpT10_ENKUlT_T0_E_clISt17integral_constantIbLb1EES18_EEDaS13_S14_EUlS13_E_NS1_11comp_targetILNS1_3genE8ELNS1_11target_archE1030ELNS1_3gpuE2ELNS1_3repE0EEENS1_30default_config_static_selectorELNS0_4arch9wavefront6targetE0EEEvT1_ ; -- Begin function _ZN7rocprim17ROCPRIM_400000_NS6detail17trampoline_kernelINS0_14default_configENS1_25partition_config_selectorILNS1_17partition_subalgoE6EdNS0_10empty_typeEbEEZZNS1_14partition_implILS5_6ELb0ES3_mN6thrust23THRUST_200600_302600_NS6detail15normal_iteratorINSA_10device_ptrIdEEEEPS6_SG_NS0_5tupleIJSF_S6_EEENSH_IJSG_SG_EEES6_PlJNSB_9not_fun_tINSB_14equal_to_valueIdEEEEEEE10hipError_tPvRmT3_T4_T5_T6_T7_T9_mT8_P12ihipStream_tbDpT10_ENKUlT_T0_E_clISt17integral_constantIbLb1EES18_EEDaS13_S14_EUlS13_E_NS1_11comp_targetILNS1_3genE8ELNS1_11target_archE1030ELNS1_3gpuE2ELNS1_3repE0EEENS1_30default_config_static_selectorELNS0_4arch9wavefront6targetE0EEEvT1_
	.globl	_ZN7rocprim17ROCPRIM_400000_NS6detail17trampoline_kernelINS0_14default_configENS1_25partition_config_selectorILNS1_17partition_subalgoE6EdNS0_10empty_typeEbEEZZNS1_14partition_implILS5_6ELb0ES3_mN6thrust23THRUST_200600_302600_NS6detail15normal_iteratorINSA_10device_ptrIdEEEEPS6_SG_NS0_5tupleIJSF_S6_EEENSH_IJSG_SG_EEES6_PlJNSB_9not_fun_tINSB_14equal_to_valueIdEEEEEEE10hipError_tPvRmT3_T4_T5_T6_T7_T9_mT8_P12ihipStream_tbDpT10_ENKUlT_T0_E_clISt17integral_constantIbLb1EES18_EEDaS13_S14_EUlS13_E_NS1_11comp_targetILNS1_3genE8ELNS1_11target_archE1030ELNS1_3gpuE2ELNS1_3repE0EEENS1_30default_config_static_selectorELNS0_4arch9wavefront6targetE0EEEvT1_
	.p2align	8
	.type	_ZN7rocprim17ROCPRIM_400000_NS6detail17trampoline_kernelINS0_14default_configENS1_25partition_config_selectorILNS1_17partition_subalgoE6EdNS0_10empty_typeEbEEZZNS1_14partition_implILS5_6ELb0ES3_mN6thrust23THRUST_200600_302600_NS6detail15normal_iteratorINSA_10device_ptrIdEEEEPS6_SG_NS0_5tupleIJSF_S6_EEENSH_IJSG_SG_EEES6_PlJNSB_9not_fun_tINSB_14equal_to_valueIdEEEEEEE10hipError_tPvRmT3_T4_T5_T6_T7_T9_mT8_P12ihipStream_tbDpT10_ENKUlT_T0_E_clISt17integral_constantIbLb1EES18_EEDaS13_S14_EUlS13_E_NS1_11comp_targetILNS1_3genE8ELNS1_11target_archE1030ELNS1_3gpuE2ELNS1_3repE0EEENS1_30default_config_static_selectorELNS0_4arch9wavefront6targetE0EEEvT1_,@function
_ZN7rocprim17ROCPRIM_400000_NS6detail17trampoline_kernelINS0_14default_configENS1_25partition_config_selectorILNS1_17partition_subalgoE6EdNS0_10empty_typeEbEEZZNS1_14partition_implILS5_6ELb0ES3_mN6thrust23THRUST_200600_302600_NS6detail15normal_iteratorINSA_10device_ptrIdEEEEPS6_SG_NS0_5tupleIJSF_S6_EEENSH_IJSG_SG_EEES6_PlJNSB_9not_fun_tINSB_14equal_to_valueIdEEEEEEE10hipError_tPvRmT3_T4_T5_T6_T7_T9_mT8_P12ihipStream_tbDpT10_ENKUlT_T0_E_clISt17integral_constantIbLb1EES18_EEDaS13_S14_EUlS13_E_NS1_11comp_targetILNS1_3genE8ELNS1_11target_archE1030ELNS1_3gpuE2ELNS1_3repE0EEENS1_30default_config_static_selectorELNS0_4arch9wavefront6targetE0EEEvT1_: ; @_ZN7rocprim17ROCPRIM_400000_NS6detail17trampoline_kernelINS0_14default_configENS1_25partition_config_selectorILNS1_17partition_subalgoE6EdNS0_10empty_typeEbEEZZNS1_14partition_implILS5_6ELb0ES3_mN6thrust23THRUST_200600_302600_NS6detail15normal_iteratorINSA_10device_ptrIdEEEEPS6_SG_NS0_5tupleIJSF_S6_EEENSH_IJSG_SG_EEES6_PlJNSB_9not_fun_tINSB_14equal_to_valueIdEEEEEEE10hipError_tPvRmT3_T4_T5_T6_T7_T9_mT8_P12ihipStream_tbDpT10_ENKUlT_T0_E_clISt17integral_constantIbLb1EES18_EEDaS13_S14_EUlS13_E_NS1_11comp_targetILNS1_3genE8ELNS1_11target_archE1030ELNS1_3gpuE2ELNS1_3repE0EEENS1_30default_config_static_selectorELNS0_4arch9wavefront6targetE0EEEvT1_
; %bb.0:
	.section	.rodata,"a",@progbits
	.p2align	6, 0x0
	.amdhsa_kernel _ZN7rocprim17ROCPRIM_400000_NS6detail17trampoline_kernelINS0_14default_configENS1_25partition_config_selectorILNS1_17partition_subalgoE6EdNS0_10empty_typeEbEEZZNS1_14partition_implILS5_6ELb0ES3_mN6thrust23THRUST_200600_302600_NS6detail15normal_iteratorINSA_10device_ptrIdEEEEPS6_SG_NS0_5tupleIJSF_S6_EEENSH_IJSG_SG_EEES6_PlJNSB_9not_fun_tINSB_14equal_to_valueIdEEEEEEE10hipError_tPvRmT3_T4_T5_T6_T7_T9_mT8_P12ihipStream_tbDpT10_ENKUlT_T0_E_clISt17integral_constantIbLb1EES18_EEDaS13_S14_EUlS13_E_NS1_11comp_targetILNS1_3genE8ELNS1_11target_archE1030ELNS1_3gpuE2ELNS1_3repE0EEENS1_30default_config_static_selectorELNS0_4arch9wavefront6targetE0EEEvT1_
		.amdhsa_group_segment_fixed_size 0
		.amdhsa_private_segment_fixed_size 0
		.amdhsa_kernarg_size 128
		.amdhsa_user_sgpr_count 2
		.amdhsa_user_sgpr_dispatch_ptr 0
		.amdhsa_user_sgpr_queue_ptr 0
		.amdhsa_user_sgpr_kernarg_segment_ptr 1
		.amdhsa_user_sgpr_dispatch_id 0
		.amdhsa_user_sgpr_private_segment_size 0
		.amdhsa_wavefront_size32 1
		.amdhsa_uses_dynamic_stack 0
		.amdhsa_enable_private_segment 0
		.amdhsa_system_sgpr_workgroup_id_x 1
		.amdhsa_system_sgpr_workgroup_id_y 0
		.amdhsa_system_sgpr_workgroup_id_z 0
		.amdhsa_system_sgpr_workgroup_info 0
		.amdhsa_system_vgpr_workitem_id 0
		.amdhsa_next_free_vgpr 1
		.amdhsa_next_free_sgpr 1
		.amdhsa_reserve_vcc 0
		.amdhsa_float_round_mode_32 0
		.amdhsa_float_round_mode_16_64 0
		.amdhsa_float_denorm_mode_32 3
		.amdhsa_float_denorm_mode_16_64 3
		.amdhsa_fp16_overflow 0
		.amdhsa_workgroup_processor_mode 1
		.amdhsa_memory_ordered 1
		.amdhsa_forward_progress 1
		.amdhsa_inst_pref_size 0
		.amdhsa_round_robin_scheduling 0
		.amdhsa_exception_fp_ieee_invalid_op 0
		.amdhsa_exception_fp_denorm_src 0
		.amdhsa_exception_fp_ieee_div_zero 0
		.amdhsa_exception_fp_ieee_overflow 0
		.amdhsa_exception_fp_ieee_underflow 0
		.amdhsa_exception_fp_ieee_inexact 0
		.amdhsa_exception_int_div_zero 0
	.end_amdhsa_kernel
	.section	.text._ZN7rocprim17ROCPRIM_400000_NS6detail17trampoline_kernelINS0_14default_configENS1_25partition_config_selectorILNS1_17partition_subalgoE6EdNS0_10empty_typeEbEEZZNS1_14partition_implILS5_6ELb0ES3_mN6thrust23THRUST_200600_302600_NS6detail15normal_iteratorINSA_10device_ptrIdEEEEPS6_SG_NS0_5tupleIJSF_S6_EEENSH_IJSG_SG_EEES6_PlJNSB_9not_fun_tINSB_14equal_to_valueIdEEEEEEE10hipError_tPvRmT3_T4_T5_T6_T7_T9_mT8_P12ihipStream_tbDpT10_ENKUlT_T0_E_clISt17integral_constantIbLb1EES18_EEDaS13_S14_EUlS13_E_NS1_11comp_targetILNS1_3genE8ELNS1_11target_archE1030ELNS1_3gpuE2ELNS1_3repE0EEENS1_30default_config_static_selectorELNS0_4arch9wavefront6targetE0EEEvT1_,"axG",@progbits,_ZN7rocprim17ROCPRIM_400000_NS6detail17trampoline_kernelINS0_14default_configENS1_25partition_config_selectorILNS1_17partition_subalgoE6EdNS0_10empty_typeEbEEZZNS1_14partition_implILS5_6ELb0ES3_mN6thrust23THRUST_200600_302600_NS6detail15normal_iteratorINSA_10device_ptrIdEEEEPS6_SG_NS0_5tupleIJSF_S6_EEENSH_IJSG_SG_EEES6_PlJNSB_9not_fun_tINSB_14equal_to_valueIdEEEEEEE10hipError_tPvRmT3_T4_T5_T6_T7_T9_mT8_P12ihipStream_tbDpT10_ENKUlT_T0_E_clISt17integral_constantIbLb1EES18_EEDaS13_S14_EUlS13_E_NS1_11comp_targetILNS1_3genE8ELNS1_11target_archE1030ELNS1_3gpuE2ELNS1_3repE0EEENS1_30default_config_static_selectorELNS0_4arch9wavefront6targetE0EEEvT1_,comdat
.Lfunc_end292:
	.size	_ZN7rocprim17ROCPRIM_400000_NS6detail17trampoline_kernelINS0_14default_configENS1_25partition_config_selectorILNS1_17partition_subalgoE6EdNS0_10empty_typeEbEEZZNS1_14partition_implILS5_6ELb0ES3_mN6thrust23THRUST_200600_302600_NS6detail15normal_iteratorINSA_10device_ptrIdEEEEPS6_SG_NS0_5tupleIJSF_S6_EEENSH_IJSG_SG_EEES6_PlJNSB_9not_fun_tINSB_14equal_to_valueIdEEEEEEE10hipError_tPvRmT3_T4_T5_T6_T7_T9_mT8_P12ihipStream_tbDpT10_ENKUlT_T0_E_clISt17integral_constantIbLb1EES18_EEDaS13_S14_EUlS13_E_NS1_11comp_targetILNS1_3genE8ELNS1_11target_archE1030ELNS1_3gpuE2ELNS1_3repE0EEENS1_30default_config_static_selectorELNS0_4arch9wavefront6targetE0EEEvT1_, .Lfunc_end292-_ZN7rocprim17ROCPRIM_400000_NS6detail17trampoline_kernelINS0_14default_configENS1_25partition_config_selectorILNS1_17partition_subalgoE6EdNS0_10empty_typeEbEEZZNS1_14partition_implILS5_6ELb0ES3_mN6thrust23THRUST_200600_302600_NS6detail15normal_iteratorINSA_10device_ptrIdEEEEPS6_SG_NS0_5tupleIJSF_S6_EEENSH_IJSG_SG_EEES6_PlJNSB_9not_fun_tINSB_14equal_to_valueIdEEEEEEE10hipError_tPvRmT3_T4_T5_T6_T7_T9_mT8_P12ihipStream_tbDpT10_ENKUlT_T0_E_clISt17integral_constantIbLb1EES18_EEDaS13_S14_EUlS13_E_NS1_11comp_targetILNS1_3genE8ELNS1_11target_archE1030ELNS1_3gpuE2ELNS1_3repE0EEENS1_30default_config_static_selectorELNS0_4arch9wavefront6targetE0EEEvT1_
                                        ; -- End function
	.set _ZN7rocprim17ROCPRIM_400000_NS6detail17trampoline_kernelINS0_14default_configENS1_25partition_config_selectorILNS1_17partition_subalgoE6EdNS0_10empty_typeEbEEZZNS1_14partition_implILS5_6ELb0ES3_mN6thrust23THRUST_200600_302600_NS6detail15normal_iteratorINSA_10device_ptrIdEEEEPS6_SG_NS0_5tupleIJSF_S6_EEENSH_IJSG_SG_EEES6_PlJNSB_9not_fun_tINSB_14equal_to_valueIdEEEEEEE10hipError_tPvRmT3_T4_T5_T6_T7_T9_mT8_P12ihipStream_tbDpT10_ENKUlT_T0_E_clISt17integral_constantIbLb1EES18_EEDaS13_S14_EUlS13_E_NS1_11comp_targetILNS1_3genE8ELNS1_11target_archE1030ELNS1_3gpuE2ELNS1_3repE0EEENS1_30default_config_static_selectorELNS0_4arch9wavefront6targetE0EEEvT1_.num_vgpr, 0
	.set _ZN7rocprim17ROCPRIM_400000_NS6detail17trampoline_kernelINS0_14default_configENS1_25partition_config_selectorILNS1_17partition_subalgoE6EdNS0_10empty_typeEbEEZZNS1_14partition_implILS5_6ELb0ES3_mN6thrust23THRUST_200600_302600_NS6detail15normal_iteratorINSA_10device_ptrIdEEEEPS6_SG_NS0_5tupleIJSF_S6_EEENSH_IJSG_SG_EEES6_PlJNSB_9not_fun_tINSB_14equal_to_valueIdEEEEEEE10hipError_tPvRmT3_T4_T5_T6_T7_T9_mT8_P12ihipStream_tbDpT10_ENKUlT_T0_E_clISt17integral_constantIbLb1EES18_EEDaS13_S14_EUlS13_E_NS1_11comp_targetILNS1_3genE8ELNS1_11target_archE1030ELNS1_3gpuE2ELNS1_3repE0EEENS1_30default_config_static_selectorELNS0_4arch9wavefront6targetE0EEEvT1_.num_agpr, 0
	.set _ZN7rocprim17ROCPRIM_400000_NS6detail17trampoline_kernelINS0_14default_configENS1_25partition_config_selectorILNS1_17partition_subalgoE6EdNS0_10empty_typeEbEEZZNS1_14partition_implILS5_6ELb0ES3_mN6thrust23THRUST_200600_302600_NS6detail15normal_iteratorINSA_10device_ptrIdEEEEPS6_SG_NS0_5tupleIJSF_S6_EEENSH_IJSG_SG_EEES6_PlJNSB_9not_fun_tINSB_14equal_to_valueIdEEEEEEE10hipError_tPvRmT3_T4_T5_T6_T7_T9_mT8_P12ihipStream_tbDpT10_ENKUlT_T0_E_clISt17integral_constantIbLb1EES18_EEDaS13_S14_EUlS13_E_NS1_11comp_targetILNS1_3genE8ELNS1_11target_archE1030ELNS1_3gpuE2ELNS1_3repE0EEENS1_30default_config_static_selectorELNS0_4arch9wavefront6targetE0EEEvT1_.numbered_sgpr, 0
	.set _ZN7rocprim17ROCPRIM_400000_NS6detail17trampoline_kernelINS0_14default_configENS1_25partition_config_selectorILNS1_17partition_subalgoE6EdNS0_10empty_typeEbEEZZNS1_14partition_implILS5_6ELb0ES3_mN6thrust23THRUST_200600_302600_NS6detail15normal_iteratorINSA_10device_ptrIdEEEEPS6_SG_NS0_5tupleIJSF_S6_EEENSH_IJSG_SG_EEES6_PlJNSB_9not_fun_tINSB_14equal_to_valueIdEEEEEEE10hipError_tPvRmT3_T4_T5_T6_T7_T9_mT8_P12ihipStream_tbDpT10_ENKUlT_T0_E_clISt17integral_constantIbLb1EES18_EEDaS13_S14_EUlS13_E_NS1_11comp_targetILNS1_3genE8ELNS1_11target_archE1030ELNS1_3gpuE2ELNS1_3repE0EEENS1_30default_config_static_selectorELNS0_4arch9wavefront6targetE0EEEvT1_.num_named_barrier, 0
	.set _ZN7rocprim17ROCPRIM_400000_NS6detail17trampoline_kernelINS0_14default_configENS1_25partition_config_selectorILNS1_17partition_subalgoE6EdNS0_10empty_typeEbEEZZNS1_14partition_implILS5_6ELb0ES3_mN6thrust23THRUST_200600_302600_NS6detail15normal_iteratorINSA_10device_ptrIdEEEEPS6_SG_NS0_5tupleIJSF_S6_EEENSH_IJSG_SG_EEES6_PlJNSB_9not_fun_tINSB_14equal_to_valueIdEEEEEEE10hipError_tPvRmT3_T4_T5_T6_T7_T9_mT8_P12ihipStream_tbDpT10_ENKUlT_T0_E_clISt17integral_constantIbLb1EES18_EEDaS13_S14_EUlS13_E_NS1_11comp_targetILNS1_3genE8ELNS1_11target_archE1030ELNS1_3gpuE2ELNS1_3repE0EEENS1_30default_config_static_selectorELNS0_4arch9wavefront6targetE0EEEvT1_.private_seg_size, 0
	.set _ZN7rocprim17ROCPRIM_400000_NS6detail17trampoline_kernelINS0_14default_configENS1_25partition_config_selectorILNS1_17partition_subalgoE6EdNS0_10empty_typeEbEEZZNS1_14partition_implILS5_6ELb0ES3_mN6thrust23THRUST_200600_302600_NS6detail15normal_iteratorINSA_10device_ptrIdEEEEPS6_SG_NS0_5tupleIJSF_S6_EEENSH_IJSG_SG_EEES6_PlJNSB_9not_fun_tINSB_14equal_to_valueIdEEEEEEE10hipError_tPvRmT3_T4_T5_T6_T7_T9_mT8_P12ihipStream_tbDpT10_ENKUlT_T0_E_clISt17integral_constantIbLb1EES18_EEDaS13_S14_EUlS13_E_NS1_11comp_targetILNS1_3genE8ELNS1_11target_archE1030ELNS1_3gpuE2ELNS1_3repE0EEENS1_30default_config_static_selectorELNS0_4arch9wavefront6targetE0EEEvT1_.uses_vcc, 0
	.set _ZN7rocprim17ROCPRIM_400000_NS6detail17trampoline_kernelINS0_14default_configENS1_25partition_config_selectorILNS1_17partition_subalgoE6EdNS0_10empty_typeEbEEZZNS1_14partition_implILS5_6ELb0ES3_mN6thrust23THRUST_200600_302600_NS6detail15normal_iteratorINSA_10device_ptrIdEEEEPS6_SG_NS0_5tupleIJSF_S6_EEENSH_IJSG_SG_EEES6_PlJNSB_9not_fun_tINSB_14equal_to_valueIdEEEEEEE10hipError_tPvRmT3_T4_T5_T6_T7_T9_mT8_P12ihipStream_tbDpT10_ENKUlT_T0_E_clISt17integral_constantIbLb1EES18_EEDaS13_S14_EUlS13_E_NS1_11comp_targetILNS1_3genE8ELNS1_11target_archE1030ELNS1_3gpuE2ELNS1_3repE0EEENS1_30default_config_static_selectorELNS0_4arch9wavefront6targetE0EEEvT1_.uses_flat_scratch, 0
	.set _ZN7rocprim17ROCPRIM_400000_NS6detail17trampoline_kernelINS0_14default_configENS1_25partition_config_selectorILNS1_17partition_subalgoE6EdNS0_10empty_typeEbEEZZNS1_14partition_implILS5_6ELb0ES3_mN6thrust23THRUST_200600_302600_NS6detail15normal_iteratorINSA_10device_ptrIdEEEEPS6_SG_NS0_5tupleIJSF_S6_EEENSH_IJSG_SG_EEES6_PlJNSB_9not_fun_tINSB_14equal_to_valueIdEEEEEEE10hipError_tPvRmT3_T4_T5_T6_T7_T9_mT8_P12ihipStream_tbDpT10_ENKUlT_T0_E_clISt17integral_constantIbLb1EES18_EEDaS13_S14_EUlS13_E_NS1_11comp_targetILNS1_3genE8ELNS1_11target_archE1030ELNS1_3gpuE2ELNS1_3repE0EEENS1_30default_config_static_selectorELNS0_4arch9wavefront6targetE0EEEvT1_.has_dyn_sized_stack, 0
	.set _ZN7rocprim17ROCPRIM_400000_NS6detail17trampoline_kernelINS0_14default_configENS1_25partition_config_selectorILNS1_17partition_subalgoE6EdNS0_10empty_typeEbEEZZNS1_14partition_implILS5_6ELb0ES3_mN6thrust23THRUST_200600_302600_NS6detail15normal_iteratorINSA_10device_ptrIdEEEEPS6_SG_NS0_5tupleIJSF_S6_EEENSH_IJSG_SG_EEES6_PlJNSB_9not_fun_tINSB_14equal_to_valueIdEEEEEEE10hipError_tPvRmT3_T4_T5_T6_T7_T9_mT8_P12ihipStream_tbDpT10_ENKUlT_T0_E_clISt17integral_constantIbLb1EES18_EEDaS13_S14_EUlS13_E_NS1_11comp_targetILNS1_3genE8ELNS1_11target_archE1030ELNS1_3gpuE2ELNS1_3repE0EEENS1_30default_config_static_selectorELNS0_4arch9wavefront6targetE0EEEvT1_.has_recursion, 0
	.set _ZN7rocprim17ROCPRIM_400000_NS6detail17trampoline_kernelINS0_14default_configENS1_25partition_config_selectorILNS1_17partition_subalgoE6EdNS0_10empty_typeEbEEZZNS1_14partition_implILS5_6ELb0ES3_mN6thrust23THRUST_200600_302600_NS6detail15normal_iteratorINSA_10device_ptrIdEEEEPS6_SG_NS0_5tupleIJSF_S6_EEENSH_IJSG_SG_EEES6_PlJNSB_9not_fun_tINSB_14equal_to_valueIdEEEEEEE10hipError_tPvRmT3_T4_T5_T6_T7_T9_mT8_P12ihipStream_tbDpT10_ENKUlT_T0_E_clISt17integral_constantIbLb1EES18_EEDaS13_S14_EUlS13_E_NS1_11comp_targetILNS1_3genE8ELNS1_11target_archE1030ELNS1_3gpuE2ELNS1_3repE0EEENS1_30default_config_static_selectorELNS0_4arch9wavefront6targetE0EEEvT1_.has_indirect_call, 0
	.section	.AMDGPU.csdata,"",@progbits
; Kernel info:
; codeLenInByte = 0
; TotalNumSgprs: 0
; NumVgprs: 0
; ScratchSize: 0
; MemoryBound: 0
; FloatMode: 240
; IeeeMode: 1
; LDSByteSize: 0 bytes/workgroup (compile time only)
; SGPRBlocks: 0
; VGPRBlocks: 0
; NumSGPRsForWavesPerEU: 1
; NumVGPRsForWavesPerEU: 1
; Occupancy: 16
; WaveLimiterHint : 0
; COMPUTE_PGM_RSRC2:SCRATCH_EN: 0
; COMPUTE_PGM_RSRC2:USER_SGPR: 2
; COMPUTE_PGM_RSRC2:TRAP_HANDLER: 0
; COMPUTE_PGM_RSRC2:TGID_X_EN: 1
; COMPUTE_PGM_RSRC2:TGID_Y_EN: 0
; COMPUTE_PGM_RSRC2:TGID_Z_EN: 0
; COMPUTE_PGM_RSRC2:TIDIG_COMP_CNT: 0
	.section	.text._ZN7rocprim17ROCPRIM_400000_NS6detail17trampoline_kernelINS0_14default_configENS1_25partition_config_selectorILNS1_17partition_subalgoE6EdNS0_10empty_typeEbEEZZNS1_14partition_implILS5_6ELb0ES3_mN6thrust23THRUST_200600_302600_NS6detail15normal_iteratorINSA_10device_ptrIdEEEEPS6_SG_NS0_5tupleIJSF_S6_EEENSH_IJSG_SG_EEES6_PlJNSB_9not_fun_tINSB_14equal_to_valueIdEEEEEEE10hipError_tPvRmT3_T4_T5_T6_T7_T9_mT8_P12ihipStream_tbDpT10_ENKUlT_T0_E_clISt17integral_constantIbLb1EES17_IbLb0EEEEDaS13_S14_EUlS13_E_NS1_11comp_targetILNS1_3genE0ELNS1_11target_archE4294967295ELNS1_3gpuE0ELNS1_3repE0EEENS1_30default_config_static_selectorELNS0_4arch9wavefront6targetE0EEEvT1_,"axG",@progbits,_ZN7rocprim17ROCPRIM_400000_NS6detail17trampoline_kernelINS0_14default_configENS1_25partition_config_selectorILNS1_17partition_subalgoE6EdNS0_10empty_typeEbEEZZNS1_14partition_implILS5_6ELb0ES3_mN6thrust23THRUST_200600_302600_NS6detail15normal_iteratorINSA_10device_ptrIdEEEEPS6_SG_NS0_5tupleIJSF_S6_EEENSH_IJSG_SG_EEES6_PlJNSB_9not_fun_tINSB_14equal_to_valueIdEEEEEEE10hipError_tPvRmT3_T4_T5_T6_T7_T9_mT8_P12ihipStream_tbDpT10_ENKUlT_T0_E_clISt17integral_constantIbLb1EES17_IbLb0EEEEDaS13_S14_EUlS13_E_NS1_11comp_targetILNS1_3genE0ELNS1_11target_archE4294967295ELNS1_3gpuE0ELNS1_3repE0EEENS1_30default_config_static_selectorELNS0_4arch9wavefront6targetE0EEEvT1_,comdat
	.protected	_ZN7rocprim17ROCPRIM_400000_NS6detail17trampoline_kernelINS0_14default_configENS1_25partition_config_selectorILNS1_17partition_subalgoE6EdNS0_10empty_typeEbEEZZNS1_14partition_implILS5_6ELb0ES3_mN6thrust23THRUST_200600_302600_NS6detail15normal_iteratorINSA_10device_ptrIdEEEEPS6_SG_NS0_5tupleIJSF_S6_EEENSH_IJSG_SG_EEES6_PlJNSB_9not_fun_tINSB_14equal_to_valueIdEEEEEEE10hipError_tPvRmT3_T4_T5_T6_T7_T9_mT8_P12ihipStream_tbDpT10_ENKUlT_T0_E_clISt17integral_constantIbLb1EES17_IbLb0EEEEDaS13_S14_EUlS13_E_NS1_11comp_targetILNS1_3genE0ELNS1_11target_archE4294967295ELNS1_3gpuE0ELNS1_3repE0EEENS1_30default_config_static_selectorELNS0_4arch9wavefront6targetE0EEEvT1_ ; -- Begin function _ZN7rocprim17ROCPRIM_400000_NS6detail17trampoline_kernelINS0_14default_configENS1_25partition_config_selectorILNS1_17partition_subalgoE6EdNS0_10empty_typeEbEEZZNS1_14partition_implILS5_6ELb0ES3_mN6thrust23THRUST_200600_302600_NS6detail15normal_iteratorINSA_10device_ptrIdEEEEPS6_SG_NS0_5tupleIJSF_S6_EEENSH_IJSG_SG_EEES6_PlJNSB_9not_fun_tINSB_14equal_to_valueIdEEEEEEE10hipError_tPvRmT3_T4_T5_T6_T7_T9_mT8_P12ihipStream_tbDpT10_ENKUlT_T0_E_clISt17integral_constantIbLb1EES17_IbLb0EEEEDaS13_S14_EUlS13_E_NS1_11comp_targetILNS1_3genE0ELNS1_11target_archE4294967295ELNS1_3gpuE0ELNS1_3repE0EEENS1_30default_config_static_selectorELNS0_4arch9wavefront6targetE0EEEvT1_
	.globl	_ZN7rocprim17ROCPRIM_400000_NS6detail17trampoline_kernelINS0_14default_configENS1_25partition_config_selectorILNS1_17partition_subalgoE6EdNS0_10empty_typeEbEEZZNS1_14partition_implILS5_6ELb0ES3_mN6thrust23THRUST_200600_302600_NS6detail15normal_iteratorINSA_10device_ptrIdEEEEPS6_SG_NS0_5tupleIJSF_S6_EEENSH_IJSG_SG_EEES6_PlJNSB_9not_fun_tINSB_14equal_to_valueIdEEEEEEE10hipError_tPvRmT3_T4_T5_T6_T7_T9_mT8_P12ihipStream_tbDpT10_ENKUlT_T0_E_clISt17integral_constantIbLb1EES17_IbLb0EEEEDaS13_S14_EUlS13_E_NS1_11comp_targetILNS1_3genE0ELNS1_11target_archE4294967295ELNS1_3gpuE0ELNS1_3repE0EEENS1_30default_config_static_selectorELNS0_4arch9wavefront6targetE0EEEvT1_
	.p2align	8
	.type	_ZN7rocprim17ROCPRIM_400000_NS6detail17trampoline_kernelINS0_14default_configENS1_25partition_config_selectorILNS1_17partition_subalgoE6EdNS0_10empty_typeEbEEZZNS1_14partition_implILS5_6ELb0ES3_mN6thrust23THRUST_200600_302600_NS6detail15normal_iteratorINSA_10device_ptrIdEEEEPS6_SG_NS0_5tupleIJSF_S6_EEENSH_IJSG_SG_EEES6_PlJNSB_9not_fun_tINSB_14equal_to_valueIdEEEEEEE10hipError_tPvRmT3_T4_T5_T6_T7_T9_mT8_P12ihipStream_tbDpT10_ENKUlT_T0_E_clISt17integral_constantIbLb1EES17_IbLb0EEEEDaS13_S14_EUlS13_E_NS1_11comp_targetILNS1_3genE0ELNS1_11target_archE4294967295ELNS1_3gpuE0ELNS1_3repE0EEENS1_30default_config_static_selectorELNS0_4arch9wavefront6targetE0EEEvT1_,@function
_ZN7rocprim17ROCPRIM_400000_NS6detail17trampoline_kernelINS0_14default_configENS1_25partition_config_selectorILNS1_17partition_subalgoE6EdNS0_10empty_typeEbEEZZNS1_14partition_implILS5_6ELb0ES3_mN6thrust23THRUST_200600_302600_NS6detail15normal_iteratorINSA_10device_ptrIdEEEEPS6_SG_NS0_5tupleIJSF_S6_EEENSH_IJSG_SG_EEES6_PlJNSB_9not_fun_tINSB_14equal_to_valueIdEEEEEEE10hipError_tPvRmT3_T4_T5_T6_T7_T9_mT8_P12ihipStream_tbDpT10_ENKUlT_T0_E_clISt17integral_constantIbLb1EES17_IbLb0EEEEDaS13_S14_EUlS13_E_NS1_11comp_targetILNS1_3genE0ELNS1_11target_archE4294967295ELNS1_3gpuE0ELNS1_3repE0EEENS1_30default_config_static_selectorELNS0_4arch9wavefront6targetE0EEEvT1_: ; @_ZN7rocprim17ROCPRIM_400000_NS6detail17trampoline_kernelINS0_14default_configENS1_25partition_config_selectorILNS1_17partition_subalgoE6EdNS0_10empty_typeEbEEZZNS1_14partition_implILS5_6ELb0ES3_mN6thrust23THRUST_200600_302600_NS6detail15normal_iteratorINSA_10device_ptrIdEEEEPS6_SG_NS0_5tupleIJSF_S6_EEENSH_IJSG_SG_EEES6_PlJNSB_9not_fun_tINSB_14equal_to_valueIdEEEEEEE10hipError_tPvRmT3_T4_T5_T6_T7_T9_mT8_P12ihipStream_tbDpT10_ENKUlT_T0_E_clISt17integral_constantIbLb1EES17_IbLb0EEEEDaS13_S14_EUlS13_E_NS1_11comp_targetILNS1_3genE0ELNS1_11target_archE4294967295ELNS1_3gpuE0ELNS1_3repE0EEENS1_30default_config_static_selectorELNS0_4arch9wavefront6targetE0EEEvT1_
; %bb.0:
	.section	.rodata,"a",@progbits
	.p2align	6, 0x0
	.amdhsa_kernel _ZN7rocprim17ROCPRIM_400000_NS6detail17trampoline_kernelINS0_14default_configENS1_25partition_config_selectorILNS1_17partition_subalgoE6EdNS0_10empty_typeEbEEZZNS1_14partition_implILS5_6ELb0ES3_mN6thrust23THRUST_200600_302600_NS6detail15normal_iteratorINSA_10device_ptrIdEEEEPS6_SG_NS0_5tupleIJSF_S6_EEENSH_IJSG_SG_EEES6_PlJNSB_9not_fun_tINSB_14equal_to_valueIdEEEEEEE10hipError_tPvRmT3_T4_T5_T6_T7_T9_mT8_P12ihipStream_tbDpT10_ENKUlT_T0_E_clISt17integral_constantIbLb1EES17_IbLb0EEEEDaS13_S14_EUlS13_E_NS1_11comp_targetILNS1_3genE0ELNS1_11target_archE4294967295ELNS1_3gpuE0ELNS1_3repE0EEENS1_30default_config_static_selectorELNS0_4arch9wavefront6targetE0EEEvT1_
		.amdhsa_group_segment_fixed_size 0
		.amdhsa_private_segment_fixed_size 0
		.amdhsa_kernarg_size 120
		.amdhsa_user_sgpr_count 2
		.amdhsa_user_sgpr_dispatch_ptr 0
		.amdhsa_user_sgpr_queue_ptr 0
		.amdhsa_user_sgpr_kernarg_segment_ptr 1
		.amdhsa_user_sgpr_dispatch_id 0
		.amdhsa_user_sgpr_private_segment_size 0
		.amdhsa_wavefront_size32 1
		.amdhsa_uses_dynamic_stack 0
		.amdhsa_enable_private_segment 0
		.amdhsa_system_sgpr_workgroup_id_x 1
		.amdhsa_system_sgpr_workgroup_id_y 0
		.amdhsa_system_sgpr_workgroup_id_z 0
		.amdhsa_system_sgpr_workgroup_info 0
		.amdhsa_system_vgpr_workitem_id 0
		.amdhsa_next_free_vgpr 1
		.amdhsa_next_free_sgpr 1
		.amdhsa_reserve_vcc 0
		.amdhsa_float_round_mode_32 0
		.amdhsa_float_round_mode_16_64 0
		.amdhsa_float_denorm_mode_32 3
		.amdhsa_float_denorm_mode_16_64 3
		.amdhsa_fp16_overflow 0
		.amdhsa_workgroup_processor_mode 1
		.amdhsa_memory_ordered 1
		.amdhsa_forward_progress 1
		.amdhsa_inst_pref_size 0
		.amdhsa_round_robin_scheduling 0
		.amdhsa_exception_fp_ieee_invalid_op 0
		.amdhsa_exception_fp_denorm_src 0
		.amdhsa_exception_fp_ieee_div_zero 0
		.amdhsa_exception_fp_ieee_overflow 0
		.amdhsa_exception_fp_ieee_underflow 0
		.amdhsa_exception_fp_ieee_inexact 0
		.amdhsa_exception_int_div_zero 0
	.end_amdhsa_kernel
	.section	.text._ZN7rocprim17ROCPRIM_400000_NS6detail17trampoline_kernelINS0_14default_configENS1_25partition_config_selectorILNS1_17partition_subalgoE6EdNS0_10empty_typeEbEEZZNS1_14partition_implILS5_6ELb0ES3_mN6thrust23THRUST_200600_302600_NS6detail15normal_iteratorINSA_10device_ptrIdEEEEPS6_SG_NS0_5tupleIJSF_S6_EEENSH_IJSG_SG_EEES6_PlJNSB_9not_fun_tINSB_14equal_to_valueIdEEEEEEE10hipError_tPvRmT3_T4_T5_T6_T7_T9_mT8_P12ihipStream_tbDpT10_ENKUlT_T0_E_clISt17integral_constantIbLb1EES17_IbLb0EEEEDaS13_S14_EUlS13_E_NS1_11comp_targetILNS1_3genE0ELNS1_11target_archE4294967295ELNS1_3gpuE0ELNS1_3repE0EEENS1_30default_config_static_selectorELNS0_4arch9wavefront6targetE0EEEvT1_,"axG",@progbits,_ZN7rocprim17ROCPRIM_400000_NS6detail17trampoline_kernelINS0_14default_configENS1_25partition_config_selectorILNS1_17partition_subalgoE6EdNS0_10empty_typeEbEEZZNS1_14partition_implILS5_6ELb0ES3_mN6thrust23THRUST_200600_302600_NS6detail15normal_iteratorINSA_10device_ptrIdEEEEPS6_SG_NS0_5tupleIJSF_S6_EEENSH_IJSG_SG_EEES6_PlJNSB_9not_fun_tINSB_14equal_to_valueIdEEEEEEE10hipError_tPvRmT3_T4_T5_T6_T7_T9_mT8_P12ihipStream_tbDpT10_ENKUlT_T0_E_clISt17integral_constantIbLb1EES17_IbLb0EEEEDaS13_S14_EUlS13_E_NS1_11comp_targetILNS1_3genE0ELNS1_11target_archE4294967295ELNS1_3gpuE0ELNS1_3repE0EEENS1_30default_config_static_selectorELNS0_4arch9wavefront6targetE0EEEvT1_,comdat
.Lfunc_end293:
	.size	_ZN7rocprim17ROCPRIM_400000_NS6detail17trampoline_kernelINS0_14default_configENS1_25partition_config_selectorILNS1_17partition_subalgoE6EdNS0_10empty_typeEbEEZZNS1_14partition_implILS5_6ELb0ES3_mN6thrust23THRUST_200600_302600_NS6detail15normal_iteratorINSA_10device_ptrIdEEEEPS6_SG_NS0_5tupleIJSF_S6_EEENSH_IJSG_SG_EEES6_PlJNSB_9not_fun_tINSB_14equal_to_valueIdEEEEEEE10hipError_tPvRmT3_T4_T5_T6_T7_T9_mT8_P12ihipStream_tbDpT10_ENKUlT_T0_E_clISt17integral_constantIbLb1EES17_IbLb0EEEEDaS13_S14_EUlS13_E_NS1_11comp_targetILNS1_3genE0ELNS1_11target_archE4294967295ELNS1_3gpuE0ELNS1_3repE0EEENS1_30default_config_static_selectorELNS0_4arch9wavefront6targetE0EEEvT1_, .Lfunc_end293-_ZN7rocprim17ROCPRIM_400000_NS6detail17trampoline_kernelINS0_14default_configENS1_25partition_config_selectorILNS1_17partition_subalgoE6EdNS0_10empty_typeEbEEZZNS1_14partition_implILS5_6ELb0ES3_mN6thrust23THRUST_200600_302600_NS6detail15normal_iteratorINSA_10device_ptrIdEEEEPS6_SG_NS0_5tupleIJSF_S6_EEENSH_IJSG_SG_EEES6_PlJNSB_9not_fun_tINSB_14equal_to_valueIdEEEEEEE10hipError_tPvRmT3_T4_T5_T6_T7_T9_mT8_P12ihipStream_tbDpT10_ENKUlT_T0_E_clISt17integral_constantIbLb1EES17_IbLb0EEEEDaS13_S14_EUlS13_E_NS1_11comp_targetILNS1_3genE0ELNS1_11target_archE4294967295ELNS1_3gpuE0ELNS1_3repE0EEENS1_30default_config_static_selectorELNS0_4arch9wavefront6targetE0EEEvT1_
                                        ; -- End function
	.set _ZN7rocprim17ROCPRIM_400000_NS6detail17trampoline_kernelINS0_14default_configENS1_25partition_config_selectorILNS1_17partition_subalgoE6EdNS0_10empty_typeEbEEZZNS1_14partition_implILS5_6ELb0ES3_mN6thrust23THRUST_200600_302600_NS6detail15normal_iteratorINSA_10device_ptrIdEEEEPS6_SG_NS0_5tupleIJSF_S6_EEENSH_IJSG_SG_EEES6_PlJNSB_9not_fun_tINSB_14equal_to_valueIdEEEEEEE10hipError_tPvRmT3_T4_T5_T6_T7_T9_mT8_P12ihipStream_tbDpT10_ENKUlT_T0_E_clISt17integral_constantIbLb1EES17_IbLb0EEEEDaS13_S14_EUlS13_E_NS1_11comp_targetILNS1_3genE0ELNS1_11target_archE4294967295ELNS1_3gpuE0ELNS1_3repE0EEENS1_30default_config_static_selectorELNS0_4arch9wavefront6targetE0EEEvT1_.num_vgpr, 0
	.set _ZN7rocprim17ROCPRIM_400000_NS6detail17trampoline_kernelINS0_14default_configENS1_25partition_config_selectorILNS1_17partition_subalgoE6EdNS0_10empty_typeEbEEZZNS1_14partition_implILS5_6ELb0ES3_mN6thrust23THRUST_200600_302600_NS6detail15normal_iteratorINSA_10device_ptrIdEEEEPS6_SG_NS0_5tupleIJSF_S6_EEENSH_IJSG_SG_EEES6_PlJNSB_9not_fun_tINSB_14equal_to_valueIdEEEEEEE10hipError_tPvRmT3_T4_T5_T6_T7_T9_mT8_P12ihipStream_tbDpT10_ENKUlT_T0_E_clISt17integral_constantIbLb1EES17_IbLb0EEEEDaS13_S14_EUlS13_E_NS1_11comp_targetILNS1_3genE0ELNS1_11target_archE4294967295ELNS1_3gpuE0ELNS1_3repE0EEENS1_30default_config_static_selectorELNS0_4arch9wavefront6targetE0EEEvT1_.num_agpr, 0
	.set _ZN7rocprim17ROCPRIM_400000_NS6detail17trampoline_kernelINS0_14default_configENS1_25partition_config_selectorILNS1_17partition_subalgoE6EdNS0_10empty_typeEbEEZZNS1_14partition_implILS5_6ELb0ES3_mN6thrust23THRUST_200600_302600_NS6detail15normal_iteratorINSA_10device_ptrIdEEEEPS6_SG_NS0_5tupleIJSF_S6_EEENSH_IJSG_SG_EEES6_PlJNSB_9not_fun_tINSB_14equal_to_valueIdEEEEEEE10hipError_tPvRmT3_T4_T5_T6_T7_T9_mT8_P12ihipStream_tbDpT10_ENKUlT_T0_E_clISt17integral_constantIbLb1EES17_IbLb0EEEEDaS13_S14_EUlS13_E_NS1_11comp_targetILNS1_3genE0ELNS1_11target_archE4294967295ELNS1_3gpuE0ELNS1_3repE0EEENS1_30default_config_static_selectorELNS0_4arch9wavefront6targetE0EEEvT1_.numbered_sgpr, 0
	.set _ZN7rocprim17ROCPRIM_400000_NS6detail17trampoline_kernelINS0_14default_configENS1_25partition_config_selectorILNS1_17partition_subalgoE6EdNS0_10empty_typeEbEEZZNS1_14partition_implILS5_6ELb0ES3_mN6thrust23THRUST_200600_302600_NS6detail15normal_iteratorINSA_10device_ptrIdEEEEPS6_SG_NS0_5tupleIJSF_S6_EEENSH_IJSG_SG_EEES6_PlJNSB_9not_fun_tINSB_14equal_to_valueIdEEEEEEE10hipError_tPvRmT3_T4_T5_T6_T7_T9_mT8_P12ihipStream_tbDpT10_ENKUlT_T0_E_clISt17integral_constantIbLb1EES17_IbLb0EEEEDaS13_S14_EUlS13_E_NS1_11comp_targetILNS1_3genE0ELNS1_11target_archE4294967295ELNS1_3gpuE0ELNS1_3repE0EEENS1_30default_config_static_selectorELNS0_4arch9wavefront6targetE0EEEvT1_.num_named_barrier, 0
	.set _ZN7rocprim17ROCPRIM_400000_NS6detail17trampoline_kernelINS0_14default_configENS1_25partition_config_selectorILNS1_17partition_subalgoE6EdNS0_10empty_typeEbEEZZNS1_14partition_implILS5_6ELb0ES3_mN6thrust23THRUST_200600_302600_NS6detail15normal_iteratorINSA_10device_ptrIdEEEEPS6_SG_NS0_5tupleIJSF_S6_EEENSH_IJSG_SG_EEES6_PlJNSB_9not_fun_tINSB_14equal_to_valueIdEEEEEEE10hipError_tPvRmT3_T4_T5_T6_T7_T9_mT8_P12ihipStream_tbDpT10_ENKUlT_T0_E_clISt17integral_constantIbLb1EES17_IbLb0EEEEDaS13_S14_EUlS13_E_NS1_11comp_targetILNS1_3genE0ELNS1_11target_archE4294967295ELNS1_3gpuE0ELNS1_3repE0EEENS1_30default_config_static_selectorELNS0_4arch9wavefront6targetE0EEEvT1_.private_seg_size, 0
	.set _ZN7rocprim17ROCPRIM_400000_NS6detail17trampoline_kernelINS0_14default_configENS1_25partition_config_selectorILNS1_17partition_subalgoE6EdNS0_10empty_typeEbEEZZNS1_14partition_implILS5_6ELb0ES3_mN6thrust23THRUST_200600_302600_NS6detail15normal_iteratorINSA_10device_ptrIdEEEEPS6_SG_NS0_5tupleIJSF_S6_EEENSH_IJSG_SG_EEES6_PlJNSB_9not_fun_tINSB_14equal_to_valueIdEEEEEEE10hipError_tPvRmT3_T4_T5_T6_T7_T9_mT8_P12ihipStream_tbDpT10_ENKUlT_T0_E_clISt17integral_constantIbLb1EES17_IbLb0EEEEDaS13_S14_EUlS13_E_NS1_11comp_targetILNS1_3genE0ELNS1_11target_archE4294967295ELNS1_3gpuE0ELNS1_3repE0EEENS1_30default_config_static_selectorELNS0_4arch9wavefront6targetE0EEEvT1_.uses_vcc, 0
	.set _ZN7rocprim17ROCPRIM_400000_NS6detail17trampoline_kernelINS0_14default_configENS1_25partition_config_selectorILNS1_17partition_subalgoE6EdNS0_10empty_typeEbEEZZNS1_14partition_implILS5_6ELb0ES3_mN6thrust23THRUST_200600_302600_NS6detail15normal_iteratorINSA_10device_ptrIdEEEEPS6_SG_NS0_5tupleIJSF_S6_EEENSH_IJSG_SG_EEES6_PlJNSB_9not_fun_tINSB_14equal_to_valueIdEEEEEEE10hipError_tPvRmT3_T4_T5_T6_T7_T9_mT8_P12ihipStream_tbDpT10_ENKUlT_T0_E_clISt17integral_constantIbLb1EES17_IbLb0EEEEDaS13_S14_EUlS13_E_NS1_11comp_targetILNS1_3genE0ELNS1_11target_archE4294967295ELNS1_3gpuE0ELNS1_3repE0EEENS1_30default_config_static_selectorELNS0_4arch9wavefront6targetE0EEEvT1_.uses_flat_scratch, 0
	.set _ZN7rocprim17ROCPRIM_400000_NS6detail17trampoline_kernelINS0_14default_configENS1_25partition_config_selectorILNS1_17partition_subalgoE6EdNS0_10empty_typeEbEEZZNS1_14partition_implILS5_6ELb0ES3_mN6thrust23THRUST_200600_302600_NS6detail15normal_iteratorINSA_10device_ptrIdEEEEPS6_SG_NS0_5tupleIJSF_S6_EEENSH_IJSG_SG_EEES6_PlJNSB_9not_fun_tINSB_14equal_to_valueIdEEEEEEE10hipError_tPvRmT3_T4_T5_T6_T7_T9_mT8_P12ihipStream_tbDpT10_ENKUlT_T0_E_clISt17integral_constantIbLb1EES17_IbLb0EEEEDaS13_S14_EUlS13_E_NS1_11comp_targetILNS1_3genE0ELNS1_11target_archE4294967295ELNS1_3gpuE0ELNS1_3repE0EEENS1_30default_config_static_selectorELNS0_4arch9wavefront6targetE0EEEvT1_.has_dyn_sized_stack, 0
	.set _ZN7rocprim17ROCPRIM_400000_NS6detail17trampoline_kernelINS0_14default_configENS1_25partition_config_selectorILNS1_17partition_subalgoE6EdNS0_10empty_typeEbEEZZNS1_14partition_implILS5_6ELb0ES3_mN6thrust23THRUST_200600_302600_NS6detail15normal_iteratorINSA_10device_ptrIdEEEEPS6_SG_NS0_5tupleIJSF_S6_EEENSH_IJSG_SG_EEES6_PlJNSB_9not_fun_tINSB_14equal_to_valueIdEEEEEEE10hipError_tPvRmT3_T4_T5_T6_T7_T9_mT8_P12ihipStream_tbDpT10_ENKUlT_T0_E_clISt17integral_constantIbLb1EES17_IbLb0EEEEDaS13_S14_EUlS13_E_NS1_11comp_targetILNS1_3genE0ELNS1_11target_archE4294967295ELNS1_3gpuE0ELNS1_3repE0EEENS1_30default_config_static_selectorELNS0_4arch9wavefront6targetE0EEEvT1_.has_recursion, 0
	.set _ZN7rocprim17ROCPRIM_400000_NS6detail17trampoline_kernelINS0_14default_configENS1_25partition_config_selectorILNS1_17partition_subalgoE6EdNS0_10empty_typeEbEEZZNS1_14partition_implILS5_6ELb0ES3_mN6thrust23THRUST_200600_302600_NS6detail15normal_iteratorINSA_10device_ptrIdEEEEPS6_SG_NS0_5tupleIJSF_S6_EEENSH_IJSG_SG_EEES6_PlJNSB_9not_fun_tINSB_14equal_to_valueIdEEEEEEE10hipError_tPvRmT3_T4_T5_T6_T7_T9_mT8_P12ihipStream_tbDpT10_ENKUlT_T0_E_clISt17integral_constantIbLb1EES17_IbLb0EEEEDaS13_S14_EUlS13_E_NS1_11comp_targetILNS1_3genE0ELNS1_11target_archE4294967295ELNS1_3gpuE0ELNS1_3repE0EEENS1_30default_config_static_selectorELNS0_4arch9wavefront6targetE0EEEvT1_.has_indirect_call, 0
	.section	.AMDGPU.csdata,"",@progbits
; Kernel info:
; codeLenInByte = 0
; TotalNumSgprs: 0
; NumVgprs: 0
; ScratchSize: 0
; MemoryBound: 0
; FloatMode: 240
; IeeeMode: 1
; LDSByteSize: 0 bytes/workgroup (compile time only)
; SGPRBlocks: 0
; VGPRBlocks: 0
; NumSGPRsForWavesPerEU: 1
; NumVGPRsForWavesPerEU: 1
; Occupancy: 16
; WaveLimiterHint : 0
; COMPUTE_PGM_RSRC2:SCRATCH_EN: 0
; COMPUTE_PGM_RSRC2:USER_SGPR: 2
; COMPUTE_PGM_RSRC2:TRAP_HANDLER: 0
; COMPUTE_PGM_RSRC2:TGID_X_EN: 1
; COMPUTE_PGM_RSRC2:TGID_Y_EN: 0
; COMPUTE_PGM_RSRC2:TGID_Z_EN: 0
; COMPUTE_PGM_RSRC2:TIDIG_COMP_CNT: 0
	.section	.text._ZN7rocprim17ROCPRIM_400000_NS6detail17trampoline_kernelINS0_14default_configENS1_25partition_config_selectorILNS1_17partition_subalgoE6EdNS0_10empty_typeEbEEZZNS1_14partition_implILS5_6ELb0ES3_mN6thrust23THRUST_200600_302600_NS6detail15normal_iteratorINSA_10device_ptrIdEEEEPS6_SG_NS0_5tupleIJSF_S6_EEENSH_IJSG_SG_EEES6_PlJNSB_9not_fun_tINSB_14equal_to_valueIdEEEEEEE10hipError_tPvRmT3_T4_T5_T6_T7_T9_mT8_P12ihipStream_tbDpT10_ENKUlT_T0_E_clISt17integral_constantIbLb1EES17_IbLb0EEEEDaS13_S14_EUlS13_E_NS1_11comp_targetILNS1_3genE5ELNS1_11target_archE942ELNS1_3gpuE9ELNS1_3repE0EEENS1_30default_config_static_selectorELNS0_4arch9wavefront6targetE0EEEvT1_,"axG",@progbits,_ZN7rocprim17ROCPRIM_400000_NS6detail17trampoline_kernelINS0_14default_configENS1_25partition_config_selectorILNS1_17partition_subalgoE6EdNS0_10empty_typeEbEEZZNS1_14partition_implILS5_6ELb0ES3_mN6thrust23THRUST_200600_302600_NS6detail15normal_iteratorINSA_10device_ptrIdEEEEPS6_SG_NS0_5tupleIJSF_S6_EEENSH_IJSG_SG_EEES6_PlJNSB_9not_fun_tINSB_14equal_to_valueIdEEEEEEE10hipError_tPvRmT3_T4_T5_T6_T7_T9_mT8_P12ihipStream_tbDpT10_ENKUlT_T0_E_clISt17integral_constantIbLb1EES17_IbLb0EEEEDaS13_S14_EUlS13_E_NS1_11comp_targetILNS1_3genE5ELNS1_11target_archE942ELNS1_3gpuE9ELNS1_3repE0EEENS1_30default_config_static_selectorELNS0_4arch9wavefront6targetE0EEEvT1_,comdat
	.protected	_ZN7rocprim17ROCPRIM_400000_NS6detail17trampoline_kernelINS0_14default_configENS1_25partition_config_selectorILNS1_17partition_subalgoE6EdNS0_10empty_typeEbEEZZNS1_14partition_implILS5_6ELb0ES3_mN6thrust23THRUST_200600_302600_NS6detail15normal_iteratorINSA_10device_ptrIdEEEEPS6_SG_NS0_5tupleIJSF_S6_EEENSH_IJSG_SG_EEES6_PlJNSB_9not_fun_tINSB_14equal_to_valueIdEEEEEEE10hipError_tPvRmT3_T4_T5_T6_T7_T9_mT8_P12ihipStream_tbDpT10_ENKUlT_T0_E_clISt17integral_constantIbLb1EES17_IbLb0EEEEDaS13_S14_EUlS13_E_NS1_11comp_targetILNS1_3genE5ELNS1_11target_archE942ELNS1_3gpuE9ELNS1_3repE0EEENS1_30default_config_static_selectorELNS0_4arch9wavefront6targetE0EEEvT1_ ; -- Begin function _ZN7rocprim17ROCPRIM_400000_NS6detail17trampoline_kernelINS0_14default_configENS1_25partition_config_selectorILNS1_17partition_subalgoE6EdNS0_10empty_typeEbEEZZNS1_14partition_implILS5_6ELb0ES3_mN6thrust23THRUST_200600_302600_NS6detail15normal_iteratorINSA_10device_ptrIdEEEEPS6_SG_NS0_5tupleIJSF_S6_EEENSH_IJSG_SG_EEES6_PlJNSB_9not_fun_tINSB_14equal_to_valueIdEEEEEEE10hipError_tPvRmT3_T4_T5_T6_T7_T9_mT8_P12ihipStream_tbDpT10_ENKUlT_T0_E_clISt17integral_constantIbLb1EES17_IbLb0EEEEDaS13_S14_EUlS13_E_NS1_11comp_targetILNS1_3genE5ELNS1_11target_archE942ELNS1_3gpuE9ELNS1_3repE0EEENS1_30default_config_static_selectorELNS0_4arch9wavefront6targetE0EEEvT1_
	.globl	_ZN7rocprim17ROCPRIM_400000_NS6detail17trampoline_kernelINS0_14default_configENS1_25partition_config_selectorILNS1_17partition_subalgoE6EdNS0_10empty_typeEbEEZZNS1_14partition_implILS5_6ELb0ES3_mN6thrust23THRUST_200600_302600_NS6detail15normal_iteratorINSA_10device_ptrIdEEEEPS6_SG_NS0_5tupleIJSF_S6_EEENSH_IJSG_SG_EEES6_PlJNSB_9not_fun_tINSB_14equal_to_valueIdEEEEEEE10hipError_tPvRmT3_T4_T5_T6_T7_T9_mT8_P12ihipStream_tbDpT10_ENKUlT_T0_E_clISt17integral_constantIbLb1EES17_IbLb0EEEEDaS13_S14_EUlS13_E_NS1_11comp_targetILNS1_3genE5ELNS1_11target_archE942ELNS1_3gpuE9ELNS1_3repE0EEENS1_30default_config_static_selectorELNS0_4arch9wavefront6targetE0EEEvT1_
	.p2align	8
	.type	_ZN7rocprim17ROCPRIM_400000_NS6detail17trampoline_kernelINS0_14default_configENS1_25partition_config_selectorILNS1_17partition_subalgoE6EdNS0_10empty_typeEbEEZZNS1_14partition_implILS5_6ELb0ES3_mN6thrust23THRUST_200600_302600_NS6detail15normal_iteratorINSA_10device_ptrIdEEEEPS6_SG_NS0_5tupleIJSF_S6_EEENSH_IJSG_SG_EEES6_PlJNSB_9not_fun_tINSB_14equal_to_valueIdEEEEEEE10hipError_tPvRmT3_T4_T5_T6_T7_T9_mT8_P12ihipStream_tbDpT10_ENKUlT_T0_E_clISt17integral_constantIbLb1EES17_IbLb0EEEEDaS13_S14_EUlS13_E_NS1_11comp_targetILNS1_3genE5ELNS1_11target_archE942ELNS1_3gpuE9ELNS1_3repE0EEENS1_30default_config_static_selectorELNS0_4arch9wavefront6targetE0EEEvT1_,@function
_ZN7rocprim17ROCPRIM_400000_NS6detail17trampoline_kernelINS0_14default_configENS1_25partition_config_selectorILNS1_17partition_subalgoE6EdNS0_10empty_typeEbEEZZNS1_14partition_implILS5_6ELb0ES3_mN6thrust23THRUST_200600_302600_NS6detail15normal_iteratorINSA_10device_ptrIdEEEEPS6_SG_NS0_5tupleIJSF_S6_EEENSH_IJSG_SG_EEES6_PlJNSB_9not_fun_tINSB_14equal_to_valueIdEEEEEEE10hipError_tPvRmT3_T4_T5_T6_T7_T9_mT8_P12ihipStream_tbDpT10_ENKUlT_T0_E_clISt17integral_constantIbLb1EES17_IbLb0EEEEDaS13_S14_EUlS13_E_NS1_11comp_targetILNS1_3genE5ELNS1_11target_archE942ELNS1_3gpuE9ELNS1_3repE0EEENS1_30default_config_static_selectorELNS0_4arch9wavefront6targetE0EEEvT1_: ; @_ZN7rocprim17ROCPRIM_400000_NS6detail17trampoline_kernelINS0_14default_configENS1_25partition_config_selectorILNS1_17partition_subalgoE6EdNS0_10empty_typeEbEEZZNS1_14partition_implILS5_6ELb0ES3_mN6thrust23THRUST_200600_302600_NS6detail15normal_iteratorINSA_10device_ptrIdEEEEPS6_SG_NS0_5tupleIJSF_S6_EEENSH_IJSG_SG_EEES6_PlJNSB_9not_fun_tINSB_14equal_to_valueIdEEEEEEE10hipError_tPvRmT3_T4_T5_T6_T7_T9_mT8_P12ihipStream_tbDpT10_ENKUlT_T0_E_clISt17integral_constantIbLb1EES17_IbLb0EEEEDaS13_S14_EUlS13_E_NS1_11comp_targetILNS1_3genE5ELNS1_11target_archE942ELNS1_3gpuE9ELNS1_3repE0EEENS1_30default_config_static_selectorELNS0_4arch9wavefront6targetE0EEEvT1_
; %bb.0:
	.section	.rodata,"a",@progbits
	.p2align	6, 0x0
	.amdhsa_kernel _ZN7rocprim17ROCPRIM_400000_NS6detail17trampoline_kernelINS0_14default_configENS1_25partition_config_selectorILNS1_17partition_subalgoE6EdNS0_10empty_typeEbEEZZNS1_14partition_implILS5_6ELb0ES3_mN6thrust23THRUST_200600_302600_NS6detail15normal_iteratorINSA_10device_ptrIdEEEEPS6_SG_NS0_5tupleIJSF_S6_EEENSH_IJSG_SG_EEES6_PlJNSB_9not_fun_tINSB_14equal_to_valueIdEEEEEEE10hipError_tPvRmT3_T4_T5_T6_T7_T9_mT8_P12ihipStream_tbDpT10_ENKUlT_T0_E_clISt17integral_constantIbLb1EES17_IbLb0EEEEDaS13_S14_EUlS13_E_NS1_11comp_targetILNS1_3genE5ELNS1_11target_archE942ELNS1_3gpuE9ELNS1_3repE0EEENS1_30default_config_static_selectorELNS0_4arch9wavefront6targetE0EEEvT1_
		.amdhsa_group_segment_fixed_size 0
		.amdhsa_private_segment_fixed_size 0
		.amdhsa_kernarg_size 120
		.amdhsa_user_sgpr_count 2
		.amdhsa_user_sgpr_dispatch_ptr 0
		.amdhsa_user_sgpr_queue_ptr 0
		.amdhsa_user_sgpr_kernarg_segment_ptr 1
		.amdhsa_user_sgpr_dispatch_id 0
		.amdhsa_user_sgpr_private_segment_size 0
		.amdhsa_wavefront_size32 1
		.amdhsa_uses_dynamic_stack 0
		.amdhsa_enable_private_segment 0
		.amdhsa_system_sgpr_workgroup_id_x 1
		.amdhsa_system_sgpr_workgroup_id_y 0
		.amdhsa_system_sgpr_workgroup_id_z 0
		.amdhsa_system_sgpr_workgroup_info 0
		.amdhsa_system_vgpr_workitem_id 0
		.amdhsa_next_free_vgpr 1
		.amdhsa_next_free_sgpr 1
		.amdhsa_reserve_vcc 0
		.amdhsa_float_round_mode_32 0
		.amdhsa_float_round_mode_16_64 0
		.amdhsa_float_denorm_mode_32 3
		.amdhsa_float_denorm_mode_16_64 3
		.amdhsa_fp16_overflow 0
		.amdhsa_workgroup_processor_mode 1
		.amdhsa_memory_ordered 1
		.amdhsa_forward_progress 1
		.amdhsa_inst_pref_size 0
		.amdhsa_round_robin_scheduling 0
		.amdhsa_exception_fp_ieee_invalid_op 0
		.amdhsa_exception_fp_denorm_src 0
		.amdhsa_exception_fp_ieee_div_zero 0
		.amdhsa_exception_fp_ieee_overflow 0
		.amdhsa_exception_fp_ieee_underflow 0
		.amdhsa_exception_fp_ieee_inexact 0
		.amdhsa_exception_int_div_zero 0
	.end_amdhsa_kernel
	.section	.text._ZN7rocprim17ROCPRIM_400000_NS6detail17trampoline_kernelINS0_14default_configENS1_25partition_config_selectorILNS1_17partition_subalgoE6EdNS0_10empty_typeEbEEZZNS1_14partition_implILS5_6ELb0ES3_mN6thrust23THRUST_200600_302600_NS6detail15normal_iteratorINSA_10device_ptrIdEEEEPS6_SG_NS0_5tupleIJSF_S6_EEENSH_IJSG_SG_EEES6_PlJNSB_9not_fun_tINSB_14equal_to_valueIdEEEEEEE10hipError_tPvRmT3_T4_T5_T6_T7_T9_mT8_P12ihipStream_tbDpT10_ENKUlT_T0_E_clISt17integral_constantIbLb1EES17_IbLb0EEEEDaS13_S14_EUlS13_E_NS1_11comp_targetILNS1_3genE5ELNS1_11target_archE942ELNS1_3gpuE9ELNS1_3repE0EEENS1_30default_config_static_selectorELNS0_4arch9wavefront6targetE0EEEvT1_,"axG",@progbits,_ZN7rocprim17ROCPRIM_400000_NS6detail17trampoline_kernelINS0_14default_configENS1_25partition_config_selectorILNS1_17partition_subalgoE6EdNS0_10empty_typeEbEEZZNS1_14partition_implILS5_6ELb0ES3_mN6thrust23THRUST_200600_302600_NS6detail15normal_iteratorINSA_10device_ptrIdEEEEPS6_SG_NS0_5tupleIJSF_S6_EEENSH_IJSG_SG_EEES6_PlJNSB_9not_fun_tINSB_14equal_to_valueIdEEEEEEE10hipError_tPvRmT3_T4_T5_T6_T7_T9_mT8_P12ihipStream_tbDpT10_ENKUlT_T0_E_clISt17integral_constantIbLb1EES17_IbLb0EEEEDaS13_S14_EUlS13_E_NS1_11comp_targetILNS1_3genE5ELNS1_11target_archE942ELNS1_3gpuE9ELNS1_3repE0EEENS1_30default_config_static_selectorELNS0_4arch9wavefront6targetE0EEEvT1_,comdat
.Lfunc_end294:
	.size	_ZN7rocprim17ROCPRIM_400000_NS6detail17trampoline_kernelINS0_14default_configENS1_25partition_config_selectorILNS1_17partition_subalgoE6EdNS0_10empty_typeEbEEZZNS1_14partition_implILS5_6ELb0ES3_mN6thrust23THRUST_200600_302600_NS6detail15normal_iteratorINSA_10device_ptrIdEEEEPS6_SG_NS0_5tupleIJSF_S6_EEENSH_IJSG_SG_EEES6_PlJNSB_9not_fun_tINSB_14equal_to_valueIdEEEEEEE10hipError_tPvRmT3_T4_T5_T6_T7_T9_mT8_P12ihipStream_tbDpT10_ENKUlT_T0_E_clISt17integral_constantIbLb1EES17_IbLb0EEEEDaS13_S14_EUlS13_E_NS1_11comp_targetILNS1_3genE5ELNS1_11target_archE942ELNS1_3gpuE9ELNS1_3repE0EEENS1_30default_config_static_selectorELNS0_4arch9wavefront6targetE0EEEvT1_, .Lfunc_end294-_ZN7rocprim17ROCPRIM_400000_NS6detail17trampoline_kernelINS0_14default_configENS1_25partition_config_selectorILNS1_17partition_subalgoE6EdNS0_10empty_typeEbEEZZNS1_14partition_implILS5_6ELb0ES3_mN6thrust23THRUST_200600_302600_NS6detail15normal_iteratorINSA_10device_ptrIdEEEEPS6_SG_NS0_5tupleIJSF_S6_EEENSH_IJSG_SG_EEES6_PlJNSB_9not_fun_tINSB_14equal_to_valueIdEEEEEEE10hipError_tPvRmT3_T4_T5_T6_T7_T9_mT8_P12ihipStream_tbDpT10_ENKUlT_T0_E_clISt17integral_constantIbLb1EES17_IbLb0EEEEDaS13_S14_EUlS13_E_NS1_11comp_targetILNS1_3genE5ELNS1_11target_archE942ELNS1_3gpuE9ELNS1_3repE0EEENS1_30default_config_static_selectorELNS0_4arch9wavefront6targetE0EEEvT1_
                                        ; -- End function
	.set _ZN7rocprim17ROCPRIM_400000_NS6detail17trampoline_kernelINS0_14default_configENS1_25partition_config_selectorILNS1_17partition_subalgoE6EdNS0_10empty_typeEbEEZZNS1_14partition_implILS5_6ELb0ES3_mN6thrust23THRUST_200600_302600_NS6detail15normal_iteratorINSA_10device_ptrIdEEEEPS6_SG_NS0_5tupleIJSF_S6_EEENSH_IJSG_SG_EEES6_PlJNSB_9not_fun_tINSB_14equal_to_valueIdEEEEEEE10hipError_tPvRmT3_T4_T5_T6_T7_T9_mT8_P12ihipStream_tbDpT10_ENKUlT_T0_E_clISt17integral_constantIbLb1EES17_IbLb0EEEEDaS13_S14_EUlS13_E_NS1_11comp_targetILNS1_3genE5ELNS1_11target_archE942ELNS1_3gpuE9ELNS1_3repE0EEENS1_30default_config_static_selectorELNS0_4arch9wavefront6targetE0EEEvT1_.num_vgpr, 0
	.set _ZN7rocprim17ROCPRIM_400000_NS6detail17trampoline_kernelINS0_14default_configENS1_25partition_config_selectorILNS1_17partition_subalgoE6EdNS0_10empty_typeEbEEZZNS1_14partition_implILS5_6ELb0ES3_mN6thrust23THRUST_200600_302600_NS6detail15normal_iteratorINSA_10device_ptrIdEEEEPS6_SG_NS0_5tupleIJSF_S6_EEENSH_IJSG_SG_EEES6_PlJNSB_9not_fun_tINSB_14equal_to_valueIdEEEEEEE10hipError_tPvRmT3_T4_T5_T6_T7_T9_mT8_P12ihipStream_tbDpT10_ENKUlT_T0_E_clISt17integral_constantIbLb1EES17_IbLb0EEEEDaS13_S14_EUlS13_E_NS1_11comp_targetILNS1_3genE5ELNS1_11target_archE942ELNS1_3gpuE9ELNS1_3repE0EEENS1_30default_config_static_selectorELNS0_4arch9wavefront6targetE0EEEvT1_.num_agpr, 0
	.set _ZN7rocprim17ROCPRIM_400000_NS6detail17trampoline_kernelINS0_14default_configENS1_25partition_config_selectorILNS1_17partition_subalgoE6EdNS0_10empty_typeEbEEZZNS1_14partition_implILS5_6ELb0ES3_mN6thrust23THRUST_200600_302600_NS6detail15normal_iteratorINSA_10device_ptrIdEEEEPS6_SG_NS0_5tupleIJSF_S6_EEENSH_IJSG_SG_EEES6_PlJNSB_9not_fun_tINSB_14equal_to_valueIdEEEEEEE10hipError_tPvRmT3_T4_T5_T6_T7_T9_mT8_P12ihipStream_tbDpT10_ENKUlT_T0_E_clISt17integral_constantIbLb1EES17_IbLb0EEEEDaS13_S14_EUlS13_E_NS1_11comp_targetILNS1_3genE5ELNS1_11target_archE942ELNS1_3gpuE9ELNS1_3repE0EEENS1_30default_config_static_selectorELNS0_4arch9wavefront6targetE0EEEvT1_.numbered_sgpr, 0
	.set _ZN7rocprim17ROCPRIM_400000_NS6detail17trampoline_kernelINS0_14default_configENS1_25partition_config_selectorILNS1_17partition_subalgoE6EdNS0_10empty_typeEbEEZZNS1_14partition_implILS5_6ELb0ES3_mN6thrust23THRUST_200600_302600_NS6detail15normal_iteratorINSA_10device_ptrIdEEEEPS6_SG_NS0_5tupleIJSF_S6_EEENSH_IJSG_SG_EEES6_PlJNSB_9not_fun_tINSB_14equal_to_valueIdEEEEEEE10hipError_tPvRmT3_T4_T5_T6_T7_T9_mT8_P12ihipStream_tbDpT10_ENKUlT_T0_E_clISt17integral_constantIbLb1EES17_IbLb0EEEEDaS13_S14_EUlS13_E_NS1_11comp_targetILNS1_3genE5ELNS1_11target_archE942ELNS1_3gpuE9ELNS1_3repE0EEENS1_30default_config_static_selectorELNS0_4arch9wavefront6targetE0EEEvT1_.num_named_barrier, 0
	.set _ZN7rocprim17ROCPRIM_400000_NS6detail17trampoline_kernelINS0_14default_configENS1_25partition_config_selectorILNS1_17partition_subalgoE6EdNS0_10empty_typeEbEEZZNS1_14partition_implILS5_6ELb0ES3_mN6thrust23THRUST_200600_302600_NS6detail15normal_iteratorINSA_10device_ptrIdEEEEPS6_SG_NS0_5tupleIJSF_S6_EEENSH_IJSG_SG_EEES6_PlJNSB_9not_fun_tINSB_14equal_to_valueIdEEEEEEE10hipError_tPvRmT3_T4_T5_T6_T7_T9_mT8_P12ihipStream_tbDpT10_ENKUlT_T0_E_clISt17integral_constantIbLb1EES17_IbLb0EEEEDaS13_S14_EUlS13_E_NS1_11comp_targetILNS1_3genE5ELNS1_11target_archE942ELNS1_3gpuE9ELNS1_3repE0EEENS1_30default_config_static_selectorELNS0_4arch9wavefront6targetE0EEEvT1_.private_seg_size, 0
	.set _ZN7rocprim17ROCPRIM_400000_NS6detail17trampoline_kernelINS0_14default_configENS1_25partition_config_selectorILNS1_17partition_subalgoE6EdNS0_10empty_typeEbEEZZNS1_14partition_implILS5_6ELb0ES3_mN6thrust23THRUST_200600_302600_NS6detail15normal_iteratorINSA_10device_ptrIdEEEEPS6_SG_NS0_5tupleIJSF_S6_EEENSH_IJSG_SG_EEES6_PlJNSB_9not_fun_tINSB_14equal_to_valueIdEEEEEEE10hipError_tPvRmT3_T4_T5_T6_T7_T9_mT8_P12ihipStream_tbDpT10_ENKUlT_T0_E_clISt17integral_constantIbLb1EES17_IbLb0EEEEDaS13_S14_EUlS13_E_NS1_11comp_targetILNS1_3genE5ELNS1_11target_archE942ELNS1_3gpuE9ELNS1_3repE0EEENS1_30default_config_static_selectorELNS0_4arch9wavefront6targetE0EEEvT1_.uses_vcc, 0
	.set _ZN7rocprim17ROCPRIM_400000_NS6detail17trampoline_kernelINS0_14default_configENS1_25partition_config_selectorILNS1_17partition_subalgoE6EdNS0_10empty_typeEbEEZZNS1_14partition_implILS5_6ELb0ES3_mN6thrust23THRUST_200600_302600_NS6detail15normal_iteratorINSA_10device_ptrIdEEEEPS6_SG_NS0_5tupleIJSF_S6_EEENSH_IJSG_SG_EEES6_PlJNSB_9not_fun_tINSB_14equal_to_valueIdEEEEEEE10hipError_tPvRmT3_T4_T5_T6_T7_T9_mT8_P12ihipStream_tbDpT10_ENKUlT_T0_E_clISt17integral_constantIbLb1EES17_IbLb0EEEEDaS13_S14_EUlS13_E_NS1_11comp_targetILNS1_3genE5ELNS1_11target_archE942ELNS1_3gpuE9ELNS1_3repE0EEENS1_30default_config_static_selectorELNS0_4arch9wavefront6targetE0EEEvT1_.uses_flat_scratch, 0
	.set _ZN7rocprim17ROCPRIM_400000_NS6detail17trampoline_kernelINS0_14default_configENS1_25partition_config_selectorILNS1_17partition_subalgoE6EdNS0_10empty_typeEbEEZZNS1_14partition_implILS5_6ELb0ES3_mN6thrust23THRUST_200600_302600_NS6detail15normal_iteratorINSA_10device_ptrIdEEEEPS6_SG_NS0_5tupleIJSF_S6_EEENSH_IJSG_SG_EEES6_PlJNSB_9not_fun_tINSB_14equal_to_valueIdEEEEEEE10hipError_tPvRmT3_T4_T5_T6_T7_T9_mT8_P12ihipStream_tbDpT10_ENKUlT_T0_E_clISt17integral_constantIbLb1EES17_IbLb0EEEEDaS13_S14_EUlS13_E_NS1_11comp_targetILNS1_3genE5ELNS1_11target_archE942ELNS1_3gpuE9ELNS1_3repE0EEENS1_30default_config_static_selectorELNS0_4arch9wavefront6targetE0EEEvT1_.has_dyn_sized_stack, 0
	.set _ZN7rocprim17ROCPRIM_400000_NS6detail17trampoline_kernelINS0_14default_configENS1_25partition_config_selectorILNS1_17partition_subalgoE6EdNS0_10empty_typeEbEEZZNS1_14partition_implILS5_6ELb0ES3_mN6thrust23THRUST_200600_302600_NS6detail15normal_iteratorINSA_10device_ptrIdEEEEPS6_SG_NS0_5tupleIJSF_S6_EEENSH_IJSG_SG_EEES6_PlJNSB_9not_fun_tINSB_14equal_to_valueIdEEEEEEE10hipError_tPvRmT3_T4_T5_T6_T7_T9_mT8_P12ihipStream_tbDpT10_ENKUlT_T0_E_clISt17integral_constantIbLb1EES17_IbLb0EEEEDaS13_S14_EUlS13_E_NS1_11comp_targetILNS1_3genE5ELNS1_11target_archE942ELNS1_3gpuE9ELNS1_3repE0EEENS1_30default_config_static_selectorELNS0_4arch9wavefront6targetE0EEEvT1_.has_recursion, 0
	.set _ZN7rocprim17ROCPRIM_400000_NS6detail17trampoline_kernelINS0_14default_configENS1_25partition_config_selectorILNS1_17partition_subalgoE6EdNS0_10empty_typeEbEEZZNS1_14partition_implILS5_6ELb0ES3_mN6thrust23THRUST_200600_302600_NS6detail15normal_iteratorINSA_10device_ptrIdEEEEPS6_SG_NS0_5tupleIJSF_S6_EEENSH_IJSG_SG_EEES6_PlJNSB_9not_fun_tINSB_14equal_to_valueIdEEEEEEE10hipError_tPvRmT3_T4_T5_T6_T7_T9_mT8_P12ihipStream_tbDpT10_ENKUlT_T0_E_clISt17integral_constantIbLb1EES17_IbLb0EEEEDaS13_S14_EUlS13_E_NS1_11comp_targetILNS1_3genE5ELNS1_11target_archE942ELNS1_3gpuE9ELNS1_3repE0EEENS1_30default_config_static_selectorELNS0_4arch9wavefront6targetE0EEEvT1_.has_indirect_call, 0
	.section	.AMDGPU.csdata,"",@progbits
; Kernel info:
; codeLenInByte = 0
; TotalNumSgprs: 0
; NumVgprs: 0
; ScratchSize: 0
; MemoryBound: 0
; FloatMode: 240
; IeeeMode: 1
; LDSByteSize: 0 bytes/workgroup (compile time only)
; SGPRBlocks: 0
; VGPRBlocks: 0
; NumSGPRsForWavesPerEU: 1
; NumVGPRsForWavesPerEU: 1
; Occupancy: 16
; WaveLimiterHint : 0
; COMPUTE_PGM_RSRC2:SCRATCH_EN: 0
; COMPUTE_PGM_RSRC2:USER_SGPR: 2
; COMPUTE_PGM_RSRC2:TRAP_HANDLER: 0
; COMPUTE_PGM_RSRC2:TGID_X_EN: 1
; COMPUTE_PGM_RSRC2:TGID_Y_EN: 0
; COMPUTE_PGM_RSRC2:TGID_Z_EN: 0
; COMPUTE_PGM_RSRC2:TIDIG_COMP_CNT: 0
	.section	.text._ZN7rocprim17ROCPRIM_400000_NS6detail17trampoline_kernelINS0_14default_configENS1_25partition_config_selectorILNS1_17partition_subalgoE6EdNS0_10empty_typeEbEEZZNS1_14partition_implILS5_6ELb0ES3_mN6thrust23THRUST_200600_302600_NS6detail15normal_iteratorINSA_10device_ptrIdEEEEPS6_SG_NS0_5tupleIJSF_S6_EEENSH_IJSG_SG_EEES6_PlJNSB_9not_fun_tINSB_14equal_to_valueIdEEEEEEE10hipError_tPvRmT3_T4_T5_T6_T7_T9_mT8_P12ihipStream_tbDpT10_ENKUlT_T0_E_clISt17integral_constantIbLb1EES17_IbLb0EEEEDaS13_S14_EUlS13_E_NS1_11comp_targetILNS1_3genE4ELNS1_11target_archE910ELNS1_3gpuE8ELNS1_3repE0EEENS1_30default_config_static_selectorELNS0_4arch9wavefront6targetE0EEEvT1_,"axG",@progbits,_ZN7rocprim17ROCPRIM_400000_NS6detail17trampoline_kernelINS0_14default_configENS1_25partition_config_selectorILNS1_17partition_subalgoE6EdNS0_10empty_typeEbEEZZNS1_14partition_implILS5_6ELb0ES3_mN6thrust23THRUST_200600_302600_NS6detail15normal_iteratorINSA_10device_ptrIdEEEEPS6_SG_NS0_5tupleIJSF_S6_EEENSH_IJSG_SG_EEES6_PlJNSB_9not_fun_tINSB_14equal_to_valueIdEEEEEEE10hipError_tPvRmT3_T4_T5_T6_T7_T9_mT8_P12ihipStream_tbDpT10_ENKUlT_T0_E_clISt17integral_constantIbLb1EES17_IbLb0EEEEDaS13_S14_EUlS13_E_NS1_11comp_targetILNS1_3genE4ELNS1_11target_archE910ELNS1_3gpuE8ELNS1_3repE0EEENS1_30default_config_static_selectorELNS0_4arch9wavefront6targetE0EEEvT1_,comdat
	.protected	_ZN7rocprim17ROCPRIM_400000_NS6detail17trampoline_kernelINS0_14default_configENS1_25partition_config_selectorILNS1_17partition_subalgoE6EdNS0_10empty_typeEbEEZZNS1_14partition_implILS5_6ELb0ES3_mN6thrust23THRUST_200600_302600_NS6detail15normal_iteratorINSA_10device_ptrIdEEEEPS6_SG_NS0_5tupleIJSF_S6_EEENSH_IJSG_SG_EEES6_PlJNSB_9not_fun_tINSB_14equal_to_valueIdEEEEEEE10hipError_tPvRmT3_T4_T5_T6_T7_T9_mT8_P12ihipStream_tbDpT10_ENKUlT_T0_E_clISt17integral_constantIbLb1EES17_IbLb0EEEEDaS13_S14_EUlS13_E_NS1_11comp_targetILNS1_3genE4ELNS1_11target_archE910ELNS1_3gpuE8ELNS1_3repE0EEENS1_30default_config_static_selectorELNS0_4arch9wavefront6targetE0EEEvT1_ ; -- Begin function _ZN7rocprim17ROCPRIM_400000_NS6detail17trampoline_kernelINS0_14default_configENS1_25partition_config_selectorILNS1_17partition_subalgoE6EdNS0_10empty_typeEbEEZZNS1_14partition_implILS5_6ELb0ES3_mN6thrust23THRUST_200600_302600_NS6detail15normal_iteratorINSA_10device_ptrIdEEEEPS6_SG_NS0_5tupleIJSF_S6_EEENSH_IJSG_SG_EEES6_PlJNSB_9not_fun_tINSB_14equal_to_valueIdEEEEEEE10hipError_tPvRmT3_T4_T5_T6_T7_T9_mT8_P12ihipStream_tbDpT10_ENKUlT_T0_E_clISt17integral_constantIbLb1EES17_IbLb0EEEEDaS13_S14_EUlS13_E_NS1_11comp_targetILNS1_3genE4ELNS1_11target_archE910ELNS1_3gpuE8ELNS1_3repE0EEENS1_30default_config_static_selectorELNS0_4arch9wavefront6targetE0EEEvT1_
	.globl	_ZN7rocprim17ROCPRIM_400000_NS6detail17trampoline_kernelINS0_14default_configENS1_25partition_config_selectorILNS1_17partition_subalgoE6EdNS0_10empty_typeEbEEZZNS1_14partition_implILS5_6ELb0ES3_mN6thrust23THRUST_200600_302600_NS6detail15normal_iteratorINSA_10device_ptrIdEEEEPS6_SG_NS0_5tupleIJSF_S6_EEENSH_IJSG_SG_EEES6_PlJNSB_9not_fun_tINSB_14equal_to_valueIdEEEEEEE10hipError_tPvRmT3_T4_T5_T6_T7_T9_mT8_P12ihipStream_tbDpT10_ENKUlT_T0_E_clISt17integral_constantIbLb1EES17_IbLb0EEEEDaS13_S14_EUlS13_E_NS1_11comp_targetILNS1_3genE4ELNS1_11target_archE910ELNS1_3gpuE8ELNS1_3repE0EEENS1_30default_config_static_selectorELNS0_4arch9wavefront6targetE0EEEvT1_
	.p2align	8
	.type	_ZN7rocprim17ROCPRIM_400000_NS6detail17trampoline_kernelINS0_14default_configENS1_25partition_config_selectorILNS1_17partition_subalgoE6EdNS0_10empty_typeEbEEZZNS1_14partition_implILS5_6ELb0ES3_mN6thrust23THRUST_200600_302600_NS6detail15normal_iteratorINSA_10device_ptrIdEEEEPS6_SG_NS0_5tupleIJSF_S6_EEENSH_IJSG_SG_EEES6_PlJNSB_9not_fun_tINSB_14equal_to_valueIdEEEEEEE10hipError_tPvRmT3_T4_T5_T6_T7_T9_mT8_P12ihipStream_tbDpT10_ENKUlT_T0_E_clISt17integral_constantIbLb1EES17_IbLb0EEEEDaS13_S14_EUlS13_E_NS1_11comp_targetILNS1_3genE4ELNS1_11target_archE910ELNS1_3gpuE8ELNS1_3repE0EEENS1_30default_config_static_selectorELNS0_4arch9wavefront6targetE0EEEvT1_,@function
_ZN7rocprim17ROCPRIM_400000_NS6detail17trampoline_kernelINS0_14default_configENS1_25partition_config_selectorILNS1_17partition_subalgoE6EdNS0_10empty_typeEbEEZZNS1_14partition_implILS5_6ELb0ES3_mN6thrust23THRUST_200600_302600_NS6detail15normal_iteratorINSA_10device_ptrIdEEEEPS6_SG_NS0_5tupleIJSF_S6_EEENSH_IJSG_SG_EEES6_PlJNSB_9not_fun_tINSB_14equal_to_valueIdEEEEEEE10hipError_tPvRmT3_T4_T5_T6_T7_T9_mT8_P12ihipStream_tbDpT10_ENKUlT_T0_E_clISt17integral_constantIbLb1EES17_IbLb0EEEEDaS13_S14_EUlS13_E_NS1_11comp_targetILNS1_3genE4ELNS1_11target_archE910ELNS1_3gpuE8ELNS1_3repE0EEENS1_30default_config_static_selectorELNS0_4arch9wavefront6targetE0EEEvT1_: ; @_ZN7rocprim17ROCPRIM_400000_NS6detail17trampoline_kernelINS0_14default_configENS1_25partition_config_selectorILNS1_17partition_subalgoE6EdNS0_10empty_typeEbEEZZNS1_14partition_implILS5_6ELb0ES3_mN6thrust23THRUST_200600_302600_NS6detail15normal_iteratorINSA_10device_ptrIdEEEEPS6_SG_NS0_5tupleIJSF_S6_EEENSH_IJSG_SG_EEES6_PlJNSB_9not_fun_tINSB_14equal_to_valueIdEEEEEEE10hipError_tPvRmT3_T4_T5_T6_T7_T9_mT8_P12ihipStream_tbDpT10_ENKUlT_T0_E_clISt17integral_constantIbLb1EES17_IbLb0EEEEDaS13_S14_EUlS13_E_NS1_11comp_targetILNS1_3genE4ELNS1_11target_archE910ELNS1_3gpuE8ELNS1_3repE0EEENS1_30default_config_static_selectorELNS0_4arch9wavefront6targetE0EEEvT1_
; %bb.0:
	.section	.rodata,"a",@progbits
	.p2align	6, 0x0
	.amdhsa_kernel _ZN7rocprim17ROCPRIM_400000_NS6detail17trampoline_kernelINS0_14default_configENS1_25partition_config_selectorILNS1_17partition_subalgoE6EdNS0_10empty_typeEbEEZZNS1_14partition_implILS5_6ELb0ES3_mN6thrust23THRUST_200600_302600_NS6detail15normal_iteratorINSA_10device_ptrIdEEEEPS6_SG_NS0_5tupleIJSF_S6_EEENSH_IJSG_SG_EEES6_PlJNSB_9not_fun_tINSB_14equal_to_valueIdEEEEEEE10hipError_tPvRmT3_T4_T5_T6_T7_T9_mT8_P12ihipStream_tbDpT10_ENKUlT_T0_E_clISt17integral_constantIbLb1EES17_IbLb0EEEEDaS13_S14_EUlS13_E_NS1_11comp_targetILNS1_3genE4ELNS1_11target_archE910ELNS1_3gpuE8ELNS1_3repE0EEENS1_30default_config_static_selectorELNS0_4arch9wavefront6targetE0EEEvT1_
		.amdhsa_group_segment_fixed_size 0
		.amdhsa_private_segment_fixed_size 0
		.amdhsa_kernarg_size 120
		.amdhsa_user_sgpr_count 2
		.amdhsa_user_sgpr_dispatch_ptr 0
		.amdhsa_user_sgpr_queue_ptr 0
		.amdhsa_user_sgpr_kernarg_segment_ptr 1
		.amdhsa_user_sgpr_dispatch_id 0
		.amdhsa_user_sgpr_private_segment_size 0
		.amdhsa_wavefront_size32 1
		.amdhsa_uses_dynamic_stack 0
		.amdhsa_enable_private_segment 0
		.amdhsa_system_sgpr_workgroup_id_x 1
		.amdhsa_system_sgpr_workgroup_id_y 0
		.amdhsa_system_sgpr_workgroup_id_z 0
		.amdhsa_system_sgpr_workgroup_info 0
		.amdhsa_system_vgpr_workitem_id 0
		.amdhsa_next_free_vgpr 1
		.amdhsa_next_free_sgpr 1
		.amdhsa_reserve_vcc 0
		.amdhsa_float_round_mode_32 0
		.amdhsa_float_round_mode_16_64 0
		.amdhsa_float_denorm_mode_32 3
		.amdhsa_float_denorm_mode_16_64 3
		.amdhsa_fp16_overflow 0
		.amdhsa_workgroup_processor_mode 1
		.amdhsa_memory_ordered 1
		.amdhsa_forward_progress 1
		.amdhsa_inst_pref_size 0
		.amdhsa_round_robin_scheduling 0
		.amdhsa_exception_fp_ieee_invalid_op 0
		.amdhsa_exception_fp_denorm_src 0
		.amdhsa_exception_fp_ieee_div_zero 0
		.amdhsa_exception_fp_ieee_overflow 0
		.amdhsa_exception_fp_ieee_underflow 0
		.amdhsa_exception_fp_ieee_inexact 0
		.amdhsa_exception_int_div_zero 0
	.end_amdhsa_kernel
	.section	.text._ZN7rocprim17ROCPRIM_400000_NS6detail17trampoline_kernelINS0_14default_configENS1_25partition_config_selectorILNS1_17partition_subalgoE6EdNS0_10empty_typeEbEEZZNS1_14partition_implILS5_6ELb0ES3_mN6thrust23THRUST_200600_302600_NS6detail15normal_iteratorINSA_10device_ptrIdEEEEPS6_SG_NS0_5tupleIJSF_S6_EEENSH_IJSG_SG_EEES6_PlJNSB_9not_fun_tINSB_14equal_to_valueIdEEEEEEE10hipError_tPvRmT3_T4_T5_T6_T7_T9_mT8_P12ihipStream_tbDpT10_ENKUlT_T0_E_clISt17integral_constantIbLb1EES17_IbLb0EEEEDaS13_S14_EUlS13_E_NS1_11comp_targetILNS1_3genE4ELNS1_11target_archE910ELNS1_3gpuE8ELNS1_3repE0EEENS1_30default_config_static_selectorELNS0_4arch9wavefront6targetE0EEEvT1_,"axG",@progbits,_ZN7rocprim17ROCPRIM_400000_NS6detail17trampoline_kernelINS0_14default_configENS1_25partition_config_selectorILNS1_17partition_subalgoE6EdNS0_10empty_typeEbEEZZNS1_14partition_implILS5_6ELb0ES3_mN6thrust23THRUST_200600_302600_NS6detail15normal_iteratorINSA_10device_ptrIdEEEEPS6_SG_NS0_5tupleIJSF_S6_EEENSH_IJSG_SG_EEES6_PlJNSB_9not_fun_tINSB_14equal_to_valueIdEEEEEEE10hipError_tPvRmT3_T4_T5_T6_T7_T9_mT8_P12ihipStream_tbDpT10_ENKUlT_T0_E_clISt17integral_constantIbLb1EES17_IbLb0EEEEDaS13_S14_EUlS13_E_NS1_11comp_targetILNS1_3genE4ELNS1_11target_archE910ELNS1_3gpuE8ELNS1_3repE0EEENS1_30default_config_static_selectorELNS0_4arch9wavefront6targetE0EEEvT1_,comdat
.Lfunc_end295:
	.size	_ZN7rocprim17ROCPRIM_400000_NS6detail17trampoline_kernelINS0_14default_configENS1_25partition_config_selectorILNS1_17partition_subalgoE6EdNS0_10empty_typeEbEEZZNS1_14partition_implILS5_6ELb0ES3_mN6thrust23THRUST_200600_302600_NS6detail15normal_iteratorINSA_10device_ptrIdEEEEPS6_SG_NS0_5tupleIJSF_S6_EEENSH_IJSG_SG_EEES6_PlJNSB_9not_fun_tINSB_14equal_to_valueIdEEEEEEE10hipError_tPvRmT3_T4_T5_T6_T7_T9_mT8_P12ihipStream_tbDpT10_ENKUlT_T0_E_clISt17integral_constantIbLb1EES17_IbLb0EEEEDaS13_S14_EUlS13_E_NS1_11comp_targetILNS1_3genE4ELNS1_11target_archE910ELNS1_3gpuE8ELNS1_3repE0EEENS1_30default_config_static_selectorELNS0_4arch9wavefront6targetE0EEEvT1_, .Lfunc_end295-_ZN7rocprim17ROCPRIM_400000_NS6detail17trampoline_kernelINS0_14default_configENS1_25partition_config_selectorILNS1_17partition_subalgoE6EdNS0_10empty_typeEbEEZZNS1_14partition_implILS5_6ELb0ES3_mN6thrust23THRUST_200600_302600_NS6detail15normal_iteratorINSA_10device_ptrIdEEEEPS6_SG_NS0_5tupleIJSF_S6_EEENSH_IJSG_SG_EEES6_PlJNSB_9not_fun_tINSB_14equal_to_valueIdEEEEEEE10hipError_tPvRmT3_T4_T5_T6_T7_T9_mT8_P12ihipStream_tbDpT10_ENKUlT_T0_E_clISt17integral_constantIbLb1EES17_IbLb0EEEEDaS13_S14_EUlS13_E_NS1_11comp_targetILNS1_3genE4ELNS1_11target_archE910ELNS1_3gpuE8ELNS1_3repE0EEENS1_30default_config_static_selectorELNS0_4arch9wavefront6targetE0EEEvT1_
                                        ; -- End function
	.set _ZN7rocprim17ROCPRIM_400000_NS6detail17trampoline_kernelINS0_14default_configENS1_25partition_config_selectorILNS1_17partition_subalgoE6EdNS0_10empty_typeEbEEZZNS1_14partition_implILS5_6ELb0ES3_mN6thrust23THRUST_200600_302600_NS6detail15normal_iteratorINSA_10device_ptrIdEEEEPS6_SG_NS0_5tupleIJSF_S6_EEENSH_IJSG_SG_EEES6_PlJNSB_9not_fun_tINSB_14equal_to_valueIdEEEEEEE10hipError_tPvRmT3_T4_T5_T6_T7_T9_mT8_P12ihipStream_tbDpT10_ENKUlT_T0_E_clISt17integral_constantIbLb1EES17_IbLb0EEEEDaS13_S14_EUlS13_E_NS1_11comp_targetILNS1_3genE4ELNS1_11target_archE910ELNS1_3gpuE8ELNS1_3repE0EEENS1_30default_config_static_selectorELNS0_4arch9wavefront6targetE0EEEvT1_.num_vgpr, 0
	.set _ZN7rocprim17ROCPRIM_400000_NS6detail17trampoline_kernelINS0_14default_configENS1_25partition_config_selectorILNS1_17partition_subalgoE6EdNS0_10empty_typeEbEEZZNS1_14partition_implILS5_6ELb0ES3_mN6thrust23THRUST_200600_302600_NS6detail15normal_iteratorINSA_10device_ptrIdEEEEPS6_SG_NS0_5tupleIJSF_S6_EEENSH_IJSG_SG_EEES6_PlJNSB_9not_fun_tINSB_14equal_to_valueIdEEEEEEE10hipError_tPvRmT3_T4_T5_T6_T7_T9_mT8_P12ihipStream_tbDpT10_ENKUlT_T0_E_clISt17integral_constantIbLb1EES17_IbLb0EEEEDaS13_S14_EUlS13_E_NS1_11comp_targetILNS1_3genE4ELNS1_11target_archE910ELNS1_3gpuE8ELNS1_3repE0EEENS1_30default_config_static_selectorELNS0_4arch9wavefront6targetE0EEEvT1_.num_agpr, 0
	.set _ZN7rocprim17ROCPRIM_400000_NS6detail17trampoline_kernelINS0_14default_configENS1_25partition_config_selectorILNS1_17partition_subalgoE6EdNS0_10empty_typeEbEEZZNS1_14partition_implILS5_6ELb0ES3_mN6thrust23THRUST_200600_302600_NS6detail15normal_iteratorINSA_10device_ptrIdEEEEPS6_SG_NS0_5tupleIJSF_S6_EEENSH_IJSG_SG_EEES6_PlJNSB_9not_fun_tINSB_14equal_to_valueIdEEEEEEE10hipError_tPvRmT3_T4_T5_T6_T7_T9_mT8_P12ihipStream_tbDpT10_ENKUlT_T0_E_clISt17integral_constantIbLb1EES17_IbLb0EEEEDaS13_S14_EUlS13_E_NS1_11comp_targetILNS1_3genE4ELNS1_11target_archE910ELNS1_3gpuE8ELNS1_3repE0EEENS1_30default_config_static_selectorELNS0_4arch9wavefront6targetE0EEEvT1_.numbered_sgpr, 0
	.set _ZN7rocprim17ROCPRIM_400000_NS6detail17trampoline_kernelINS0_14default_configENS1_25partition_config_selectorILNS1_17partition_subalgoE6EdNS0_10empty_typeEbEEZZNS1_14partition_implILS5_6ELb0ES3_mN6thrust23THRUST_200600_302600_NS6detail15normal_iteratorINSA_10device_ptrIdEEEEPS6_SG_NS0_5tupleIJSF_S6_EEENSH_IJSG_SG_EEES6_PlJNSB_9not_fun_tINSB_14equal_to_valueIdEEEEEEE10hipError_tPvRmT3_T4_T5_T6_T7_T9_mT8_P12ihipStream_tbDpT10_ENKUlT_T0_E_clISt17integral_constantIbLb1EES17_IbLb0EEEEDaS13_S14_EUlS13_E_NS1_11comp_targetILNS1_3genE4ELNS1_11target_archE910ELNS1_3gpuE8ELNS1_3repE0EEENS1_30default_config_static_selectorELNS0_4arch9wavefront6targetE0EEEvT1_.num_named_barrier, 0
	.set _ZN7rocprim17ROCPRIM_400000_NS6detail17trampoline_kernelINS0_14default_configENS1_25partition_config_selectorILNS1_17partition_subalgoE6EdNS0_10empty_typeEbEEZZNS1_14partition_implILS5_6ELb0ES3_mN6thrust23THRUST_200600_302600_NS6detail15normal_iteratorINSA_10device_ptrIdEEEEPS6_SG_NS0_5tupleIJSF_S6_EEENSH_IJSG_SG_EEES6_PlJNSB_9not_fun_tINSB_14equal_to_valueIdEEEEEEE10hipError_tPvRmT3_T4_T5_T6_T7_T9_mT8_P12ihipStream_tbDpT10_ENKUlT_T0_E_clISt17integral_constantIbLb1EES17_IbLb0EEEEDaS13_S14_EUlS13_E_NS1_11comp_targetILNS1_3genE4ELNS1_11target_archE910ELNS1_3gpuE8ELNS1_3repE0EEENS1_30default_config_static_selectorELNS0_4arch9wavefront6targetE0EEEvT1_.private_seg_size, 0
	.set _ZN7rocprim17ROCPRIM_400000_NS6detail17trampoline_kernelINS0_14default_configENS1_25partition_config_selectorILNS1_17partition_subalgoE6EdNS0_10empty_typeEbEEZZNS1_14partition_implILS5_6ELb0ES3_mN6thrust23THRUST_200600_302600_NS6detail15normal_iteratorINSA_10device_ptrIdEEEEPS6_SG_NS0_5tupleIJSF_S6_EEENSH_IJSG_SG_EEES6_PlJNSB_9not_fun_tINSB_14equal_to_valueIdEEEEEEE10hipError_tPvRmT3_T4_T5_T6_T7_T9_mT8_P12ihipStream_tbDpT10_ENKUlT_T0_E_clISt17integral_constantIbLb1EES17_IbLb0EEEEDaS13_S14_EUlS13_E_NS1_11comp_targetILNS1_3genE4ELNS1_11target_archE910ELNS1_3gpuE8ELNS1_3repE0EEENS1_30default_config_static_selectorELNS0_4arch9wavefront6targetE0EEEvT1_.uses_vcc, 0
	.set _ZN7rocprim17ROCPRIM_400000_NS6detail17trampoline_kernelINS0_14default_configENS1_25partition_config_selectorILNS1_17partition_subalgoE6EdNS0_10empty_typeEbEEZZNS1_14partition_implILS5_6ELb0ES3_mN6thrust23THRUST_200600_302600_NS6detail15normal_iteratorINSA_10device_ptrIdEEEEPS6_SG_NS0_5tupleIJSF_S6_EEENSH_IJSG_SG_EEES6_PlJNSB_9not_fun_tINSB_14equal_to_valueIdEEEEEEE10hipError_tPvRmT3_T4_T5_T6_T7_T9_mT8_P12ihipStream_tbDpT10_ENKUlT_T0_E_clISt17integral_constantIbLb1EES17_IbLb0EEEEDaS13_S14_EUlS13_E_NS1_11comp_targetILNS1_3genE4ELNS1_11target_archE910ELNS1_3gpuE8ELNS1_3repE0EEENS1_30default_config_static_selectorELNS0_4arch9wavefront6targetE0EEEvT1_.uses_flat_scratch, 0
	.set _ZN7rocprim17ROCPRIM_400000_NS6detail17trampoline_kernelINS0_14default_configENS1_25partition_config_selectorILNS1_17partition_subalgoE6EdNS0_10empty_typeEbEEZZNS1_14partition_implILS5_6ELb0ES3_mN6thrust23THRUST_200600_302600_NS6detail15normal_iteratorINSA_10device_ptrIdEEEEPS6_SG_NS0_5tupleIJSF_S6_EEENSH_IJSG_SG_EEES6_PlJNSB_9not_fun_tINSB_14equal_to_valueIdEEEEEEE10hipError_tPvRmT3_T4_T5_T6_T7_T9_mT8_P12ihipStream_tbDpT10_ENKUlT_T0_E_clISt17integral_constantIbLb1EES17_IbLb0EEEEDaS13_S14_EUlS13_E_NS1_11comp_targetILNS1_3genE4ELNS1_11target_archE910ELNS1_3gpuE8ELNS1_3repE0EEENS1_30default_config_static_selectorELNS0_4arch9wavefront6targetE0EEEvT1_.has_dyn_sized_stack, 0
	.set _ZN7rocprim17ROCPRIM_400000_NS6detail17trampoline_kernelINS0_14default_configENS1_25partition_config_selectorILNS1_17partition_subalgoE6EdNS0_10empty_typeEbEEZZNS1_14partition_implILS5_6ELb0ES3_mN6thrust23THRUST_200600_302600_NS6detail15normal_iteratorINSA_10device_ptrIdEEEEPS6_SG_NS0_5tupleIJSF_S6_EEENSH_IJSG_SG_EEES6_PlJNSB_9not_fun_tINSB_14equal_to_valueIdEEEEEEE10hipError_tPvRmT3_T4_T5_T6_T7_T9_mT8_P12ihipStream_tbDpT10_ENKUlT_T0_E_clISt17integral_constantIbLb1EES17_IbLb0EEEEDaS13_S14_EUlS13_E_NS1_11comp_targetILNS1_3genE4ELNS1_11target_archE910ELNS1_3gpuE8ELNS1_3repE0EEENS1_30default_config_static_selectorELNS0_4arch9wavefront6targetE0EEEvT1_.has_recursion, 0
	.set _ZN7rocprim17ROCPRIM_400000_NS6detail17trampoline_kernelINS0_14default_configENS1_25partition_config_selectorILNS1_17partition_subalgoE6EdNS0_10empty_typeEbEEZZNS1_14partition_implILS5_6ELb0ES3_mN6thrust23THRUST_200600_302600_NS6detail15normal_iteratorINSA_10device_ptrIdEEEEPS6_SG_NS0_5tupleIJSF_S6_EEENSH_IJSG_SG_EEES6_PlJNSB_9not_fun_tINSB_14equal_to_valueIdEEEEEEE10hipError_tPvRmT3_T4_T5_T6_T7_T9_mT8_P12ihipStream_tbDpT10_ENKUlT_T0_E_clISt17integral_constantIbLb1EES17_IbLb0EEEEDaS13_S14_EUlS13_E_NS1_11comp_targetILNS1_3genE4ELNS1_11target_archE910ELNS1_3gpuE8ELNS1_3repE0EEENS1_30default_config_static_selectorELNS0_4arch9wavefront6targetE0EEEvT1_.has_indirect_call, 0
	.section	.AMDGPU.csdata,"",@progbits
; Kernel info:
; codeLenInByte = 0
; TotalNumSgprs: 0
; NumVgprs: 0
; ScratchSize: 0
; MemoryBound: 0
; FloatMode: 240
; IeeeMode: 1
; LDSByteSize: 0 bytes/workgroup (compile time only)
; SGPRBlocks: 0
; VGPRBlocks: 0
; NumSGPRsForWavesPerEU: 1
; NumVGPRsForWavesPerEU: 1
; Occupancy: 16
; WaveLimiterHint : 0
; COMPUTE_PGM_RSRC2:SCRATCH_EN: 0
; COMPUTE_PGM_RSRC2:USER_SGPR: 2
; COMPUTE_PGM_RSRC2:TRAP_HANDLER: 0
; COMPUTE_PGM_RSRC2:TGID_X_EN: 1
; COMPUTE_PGM_RSRC2:TGID_Y_EN: 0
; COMPUTE_PGM_RSRC2:TGID_Z_EN: 0
; COMPUTE_PGM_RSRC2:TIDIG_COMP_CNT: 0
	.section	.text._ZN7rocprim17ROCPRIM_400000_NS6detail17trampoline_kernelINS0_14default_configENS1_25partition_config_selectorILNS1_17partition_subalgoE6EdNS0_10empty_typeEbEEZZNS1_14partition_implILS5_6ELb0ES3_mN6thrust23THRUST_200600_302600_NS6detail15normal_iteratorINSA_10device_ptrIdEEEEPS6_SG_NS0_5tupleIJSF_S6_EEENSH_IJSG_SG_EEES6_PlJNSB_9not_fun_tINSB_14equal_to_valueIdEEEEEEE10hipError_tPvRmT3_T4_T5_T6_T7_T9_mT8_P12ihipStream_tbDpT10_ENKUlT_T0_E_clISt17integral_constantIbLb1EES17_IbLb0EEEEDaS13_S14_EUlS13_E_NS1_11comp_targetILNS1_3genE3ELNS1_11target_archE908ELNS1_3gpuE7ELNS1_3repE0EEENS1_30default_config_static_selectorELNS0_4arch9wavefront6targetE0EEEvT1_,"axG",@progbits,_ZN7rocprim17ROCPRIM_400000_NS6detail17trampoline_kernelINS0_14default_configENS1_25partition_config_selectorILNS1_17partition_subalgoE6EdNS0_10empty_typeEbEEZZNS1_14partition_implILS5_6ELb0ES3_mN6thrust23THRUST_200600_302600_NS6detail15normal_iteratorINSA_10device_ptrIdEEEEPS6_SG_NS0_5tupleIJSF_S6_EEENSH_IJSG_SG_EEES6_PlJNSB_9not_fun_tINSB_14equal_to_valueIdEEEEEEE10hipError_tPvRmT3_T4_T5_T6_T7_T9_mT8_P12ihipStream_tbDpT10_ENKUlT_T0_E_clISt17integral_constantIbLb1EES17_IbLb0EEEEDaS13_S14_EUlS13_E_NS1_11comp_targetILNS1_3genE3ELNS1_11target_archE908ELNS1_3gpuE7ELNS1_3repE0EEENS1_30default_config_static_selectorELNS0_4arch9wavefront6targetE0EEEvT1_,comdat
	.protected	_ZN7rocprim17ROCPRIM_400000_NS6detail17trampoline_kernelINS0_14default_configENS1_25partition_config_selectorILNS1_17partition_subalgoE6EdNS0_10empty_typeEbEEZZNS1_14partition_implILS5_6ELb0ES3_mN6thrust23THRUST_200600_302600_NS6detail15normal_iteratorINSA_10device_ptrIdEEEEPS6_SG_NS0_5tupleIJSF_S6_EEENSH_IJSG_SG_EEES6_PlJNSB_9not_fun_tINSB_14equal_to_valueIdEEEEEEE10hipError_tPvRmT3_T4_T5_T6_T7_T9_mT8_P12ihipStream_tbDpT10_ENKUlT_T0_E_clISt17integral_constantIbLb1EES17_IbLb0EEEEDaS13_S14_EUlS13_E_NS1_11comp_targetILNS1_3genE3ELNS1_11target_archE908ELNS1_3gpuE7ELNS1_3repE0EEENS1_30default_config_static_selectorELNS0_4arch9wavefront6targetE0EEEvT1_ ; -- Begin function _ZN7rocprim17ROCPRIM_400000_NS6detail17trampoline_kernelINS0_14default_configENS1_25partition_config_selectorILNS1_17partition_subalgoE6EdNS0_10empty_typeEbEEZZNS1_14partition_implILS5_6ELb0ES3_mN6thrust23THRUST_200600_302600_NS6detail15normal_iteratorINSA_10device_ptrIdEEEEPS6_SG_NS0_5tupleIJSF_S6_EEENSH_IJSG_SG_EEES6_PlJNSB_9not_fun_tINSB_14equal_to_valueIdEEEEEEE10hipError_tPvRmT3_T4_T5_T6_T7_T9_mT8_P12ihipStream_tbDpT10_ENKUlT_T0_E_clISt17integral_constantIbLb1EES17_IbLb0EEEEDaS13_S14_EUlS13_E_NS1_11comp_targetILNS1_3genE3ELNS1_11target_archE908ELNS1_3gpuE7ELNS1_3repE0EEENS1_30default_config_static_selectorELNS0_4arch9wavefront6targetE0EEEvT1_
	.globl	_ZN7rocprim17ROCPRIM_400000_NS6detail17trampoline_kernelINS0_14default_configENS1_25partition_config_selectorILNS1_17partition_subalgoE6EdNS0_10empty_typeEbEEZZNS1_14partition_implILS5_6ELb0ES3_mN6thrust23THRUST_200600_302600_NS6detail15normal_iteratorINSA_10device_ptrIdEEEEPS6_SG_NS0_5tupleIJSF_S6_EEENSH_IJSG_SG_EEES6_PlJNSB_9not_fun_tINSB_14equal_to_valueIdEEEEEEE10hipError_tPvRmT3_T4_T5_T6_T7_T9_mT8_P12ihipStream_tbDpT10_ENKUlT_T0_E_clISt17integral_constantIbLb1EES17_IbLb0EEEEDaS13_S14_EUlS13_E_NS1_11comp_targetILNS1_3genE3ELNS1_11target_archE908ELNS1_3gpuE7ELNS1_3repE0EEENS1_30default_config_static_selectorELNS0_4arch9wavefront6targetE0EEEvT1_
	.p2align	8
	.type	_ZN7rocprim17ROCPRIM_400000_NS6detail17trampoline_kernelINS0_14default_configENS1_25partition_config_selectorILNS1_17partition_subalgoE6EdNS0_10empty_typeEbEEZZNS1_14partition_implILS5_6ELb0ES3_mN6thrust23THRUST_200600_302600_NS6detail15normal_iteratorINSA_10device_ptrIdEEEEPS6_SG_NS0_5tupleIJSF_S6_EEENSH_IJSG_SG_EEES6_PlJNSB_9not_fun_tINSB_14equal_to_valueIdEEEEEEE10hipError_tPvRmT3_T4_T5_T6_T7_T9_mT8_P12ihipStream_tbDpT10_ENKUlT_T0_E_clISt17integral_constantIbLb1EES17_IbLb0EEEEDaS13_S14_EUlS13_E_NS1_11comp_targetILNS1_3genE3ELNS1_11target_archE908ELNS1_3gpuE7ELNS1_3repE0EEENS1_30default_config_static_selectorELNS0_4arch9wavefront6targetE0EEEvT1_,@function
_ZN7rocprim17ROCPRIM_400000_NS6detail17trampoline_kernelINS0_14default_configENS1_25partition_config_selectorILNS1_17partition_subalgoE6EdNS0_10empty_typeEbEEZZNS1_14partition_implILS5_6ELb0ES3_mN6thrust23THRUST_200600_302600_NS6detail15normal_iteratorINSA_10device_ptrIdEEEEPS6_SG_NS0_5tupleIJSF_S6_EEENSH_IJSG_SG_EEES6_PlJNSB_9not_fun_tINSB_14equal_to_valueIdEEEEEEE10hipError_tPvRmT3_T4_T5_T6_T7_T9_mT8_P12ihipStream_tbDpT10_ENKUlT_T0_E_clISt17integral_constantIbLb1EES17_IbLb0EEEEDaS13_S14_EUlS13_E_NS1_11comp_targetILNS1_3genE3ELNS1_11target_archE908ELNS1_3gpuE7ELNS1_3repE0EEENS1_30default_config_static_selectorELNS0_4arch9wavefront6targetE0EEEvT1_: ; @_ZN7rocprim17ROCPRIM_400000_NS6detail17trampoline_kernelINS0_14default_configENS1_25partition_config_selectorILNS1_17partition_subalgoE6EdNS0_10empty_typeEbEEZZNS1_14partition_implILS5_6ELb0ES3_mN6thrust23THRUST_200600_302600_NS6detail15normal_iteratorINSA_10device_ptrIdEEEEPS6_SG_NS0_5tupleIJSF_S6_EEENSH_IJSG_SG_EEES6_PlJNSB_9not_fun_tINSB_14equal_to_valueIdEEEEEEE10hipError_tPvRmT3_T4_T5_T6_T7_T9_mT8_P12ihipStream_tbDpT10_ENKUlT_T0_E_clISt17integral_constantIbLb1EES17_IbLb0EEEEDaS13_S14_EUlS13_E_NS1_11comp_targetILNS1_3genE3ELNS1_11target_archE908ELNS1_3gpuE7ELNS1_3repE0EEENS1_30default_config_static_selectorELNS0_4arch9wavefront6targetE0EEEvT1_
; %bb.0:
	.section	.rodata,"a",@progbits
	.p2align	6, 0x0
	.amdhsa_kernel _ZN7rocprim17ROCPRIM_400000_NS6detail17trampoline_kernelINS0_14default_configENS1_25partition_config_selectorILNS1_17partition_subalgoE6EdNS0_10empty_typeEbEEZZNS1_14partition_implILS5_6ELb0ES3_mN6thrust23THRUST_200600_302600_NS6detail15normal_iteratorINSA_10device_ptrIdEEEEPS6_SG_NS0_5tupleIJSF_S6_EEENSH_IJSG_SG_EEES6_PlJNSB_9not_fun_tINSB_14equal_to_valueIdEEEEEEE10hipError_tPvRmT3_T4_T5_T6_T7_T9_mT8_P12ihipStream_tbDpT10_ENKUlT_T0_E_clISt17integral_constantIbLb1EES17_IbLb0EEEEDaS13_S14_EUlS13_E_NS1_11comp_targetILNS1_3genE3ELNS1_11target_archE908ELNS1_3gpuE7ELNS1_3repE0EEENS1_30default_config_static_selectorELNS0_4arch9wavefront6targetE0EEEvT1_
		.amdhsa_group_segment_fixed_size 0
		.amdhsa_private_segment_fixed_size 0
		.amdhsa_kernarg_size 120
		.amdhsa_user_sgpr_count 2
		.amdhsa_user_sgpr_dispatch_ptr 0
		.amdhsa_user_sgpr_queue_ptr 0
		.amdhsa_user_sgpr_kernarg_segment_ptr 1
		.amdhsa_user_sgpr_dispatch_id 0
		.amdhsa_user_sgpr_private_segment_size 0
		.amdhsa_wavefront_size32 1
		.amdhsa_uses_dynamic_stack 0
		.amdhsa_enable_private_segment 0
		.amdhsa_system_sgpr_workgroup_id_x 1
		.amdhsa_system_sgpr_workgroup_id_y 0
		.amdhsa_system_sgpr_workgroup_id_z 0
		.amdhsa_system_sgpr_workgroup_info 0
		.amdhsa_system_vgpr_workitem_id 0
		.amdhsa_next_free_vgpr 1
		.amdhsa_next_free_sgpr 1
		.amdhsa_reserve_vcc 0
		.amdhsa_float_round_mode_32 0
		.amdhsa_float_round_mode_16_64 0
		.amdhsa_float_denorm_mode_32 3
		.amdhsa_float_denorm_mode_16_64 3
		.amdhsa_fp16_overflow 0
		.amdhsa_workgroup_processor_mode 1
		.amdhsa_memory_ordered 1
		.amdhsa_forward_progress 1
		.amdhsa_inst_pref_size 0
		.amdhsa_round_robin_scheduling 0
		.amdhsa_exception_fp_ieee_invalid_op 0
		.amdhsa_exception_fp_denorm_src 0
		.amdhsa_exception_fp_ieee_div_zero 0
		.amdhsa_exception_fp_ieee_overflow 0
		.amdhsa_exception_fp_ieee_underflow 0
		.amdhsa_exception_fp_ieee_inexact 0
		.amdhsa_exception_int_div_zero 0
	.end_amdhsa_kernel
	.section	.text._ZN7rocprim17ROCPRIM_400000_NS6detail17trampoline_kernelINS0_14default_configENS1_25partition_config_selectorILNS1_17partition_subalgoE6EdNS0_10empty_typeEbEEZZNS1_14partition_implILS5_6ELb0ES3_mN6thrust23THRUST_200600_302600_NS6detail15normal_iteratorINSA_10device_ptrIdEEEEPS6_SG_NS0_5tupleIJSF_S6_EEENSH_IJSG_SG_EEES6_PlJNSB_9not_fun_tINSB_14equal_to_valueIdEEEEEEE10hipError_tPvRmT3_T4_T5_T6_T7_T9_mT8_P12ihipStream_tbDpT10_ENKUlT_T0_E_clISt17integral_constantIbLb1EES17_IbLb0EEEEDaS13_S14_EUlS13_E_NS1_11comp_targetILNS1_3genE3ELNS1_11target_archE908ELNS1_3gpuE7ELNS1_3repE0EEENS1_30default_config_static_selectorELNS0_4arch9wavefront6targetE0EEEvT1_,"axG",@progbits,_ZN7rocprim17ROCPRIM_400000_NS6detail17trampoline_kernelINS0_14default_configENS1_25partition_config_selectorILNS1_17partition_subalgoE6EdNS0_10empty_typeEbEEZZNS1_14partition_implILS5_6ELb0ES3_mN6thrust23THRUST_200600_302600_NS6detail15normal_iteratorINSA_10device_ptrIdEEEEPS6_SG_NS0_5tupleIJSF_S6_EEENSH_IJSG_SG_EEES6_PlJNSB_9not_fun_tINSB_14equal_to_valueIdEEEEEEE10hipError_tPvRmT3_T4_T5_T6_T7_T9_mT8_P12ihipStream_tbDpT10_ENKUlT_T0_E_clISt17integral_constantIbLb1EES17_IbLb0EEEEDaS13_S14_EUlS13_E_NS1_11comp_targetILNS1_3genE3ELNS1_11target_archE908ELNS1_3gpuE7ELNS1_3repE0EEENS1_30default_config_static_selectorELNS0_4arch9wavefront6targetE0EEEvT1_,comdat
.Lfunc_end296:
	.size	_ZN7rocprim17ROCPRIM_400000_NS6detail17trampoline_kernelINS0_14default_configENS1_25partition_config_selectorILNS1_17partition_subalgoE6EdNS0_10empty_typeEbEEZZNS1_14partition_implILS5_6ELb0ES3_mN6thrust23THRUST_200600_302600_NS6detail15normal_iteratorINSA_10device_ptrIdEEEEPS6_SG_NS0_5tupleIJSF_S6_EEENSH_IJSG_SG_EEES6_PlJNSB_9not_fun_tINSB_14equal_to_valueIdEEEEEEE10hipError_tPvRmT3_T4_T5_T6_T7_T9_mT8_P12ihipStream_tbDpT10_ENKUlT_T0_E_clISt17integral_constantIbLb1EES17_IbLb0EEEEDaS13_S14_EUlS13_E_NS1_11comp_targetILNS1_3genE3ELNS1_11target_archE908ELNS1_3gpuE7ELNS1_3repE0EEENS1_30default_config_static_selectorELNS0_4arch9wavefront6targetE0EEEvT1_, .Lfunc_end296-_ZN7rocprim17ROCPRIM_400000_NS6detail17trampoline_kernelINS0_14default_configENS1_25partition_config_selectorILNS1_17partition_subalgoE6EdNS0_10empty_typeEbEEZZNS1_14partition_implILS5_6ELb0ES3_mN6thrust23THRUST_200600_302600_NS6detail15normal_iteratorINSA_10device_ptrIdEEEEPS6_SG_NS0_5tupleIJSF_S6_EEENSH_IJSG_SG_EEES6_PlJNSB_9not_fun_tINSB_14equal_to_valueIdEEEEEEE10hipError_tPvRmT3_T4_T5_T6_T7_T9_mT8_P12ihipStream_tbDpT10_ENKUlT_T0_E_clISt17integral_constantIbLb1EES17_IbLb0EEEEDaS13_S14_EUlS13_E_NS1_11comp_targetILNS1_3genE3ELNS1_11target_archE908ELNS1_3gpuE7ELNS1_3repE0EEENS1_30default_config_static_selectorELNS0_4arch9wavefront6targetE0EEEvT1_
                                        ; -- End function
	.set _ZN7rocprim17ROCPRIM_400000_NS6detail17trampoline_kernelINS0_14default_configENS1_25partition_config_selectorILNS1_17partition_subalgoE6EdNS0_10empty_typeEbEEZZNS1_14partition_implILS5_6ELb0ES3_mN6thrust23THRUST_200600_302600_NS6detail15normal_iteratorINSA_10device_ptrIdEEEEPS6_SG_NS0_5tupleIJSF_S6_EEENSH_IJSG_SG_EEES6_PlJNSB_9not_fun_tINSB_14equal_to_valueIdEEEEEEE10hipError_tPvRmT3_T4_T5_T6_T7_T9_mT8_P12ihipStream_tbDpT10_ENKUlT_T0_E_clISt17integral_constantIbLb1EES17_IbLb0EEEEDaS13_S14_EUlS13_E_NS1_11comp_targetILNS1_3genE3ELNS1_11target_archE908ELNS1_3gpuE7ELNS1_3repE0EEENS1_30default_config_static_selectorELNS0_4arch9wavefront6targetE0EEEvT1_.num_vgpr, 0
	.set _ZN7rocprim17ROCPRIM_400000_NS6detail17trampoline_kernelINS0_14default_configENS1_25partition_config_selectorILNS1_17partition_subalgoE6EdNS0_10empty_typeEbEEZZNS1_14partition_implILS5_6ELb0ES3_mN6thrust23THRUST_200600_302600_NS6detail15normal_iteratorINSA_10device_ptrIdEEEEPS6_SG_NS0_5tupleIJSF_S6_EEENSH_IJSG_SG_EEES6_PlJNSB_9not_fun_tINSB_14equal_to_valueIdEEEEEEE10hipError_tPvRmT3_T4_T5_T6_T7_T9_mT8_P12ihipStream_tbDpT10_ENKUlT_T0_E_clISt17integral_constantIbLb1EES17_IbLb0EEEEDaS13_S14_EUlS13_E_NS1_11comp_targetILNS1_3genE3ELNS1_11target_archE908ELNS1_3gpuE7ELNS1_3repE0EEENS1_30default_config_static_selectorELNS0_4arch9wavefront6targetE0EEEvT1_.num_agpr, 0
	.set _ZN7rocprim17ROCPRIM_400000_NS6detail17trampoline_kernelINS0_14default_configENS1_25partition_config_selectorILNS1_17partition_subalgoE6EdNS0_10empty_typeEbEEZZNS1_14partition_implILS5_6ELb0ES3_mN6thrust23THRUST_200600_302600_NS6detail15normal_iteratorINSA_10device_ptrIdEEEEPS6_SG_NS0_5tupleIJSF_S6_EEENSH_IJSG_SG_EEES6_PlJNSB_9not_fun_tINSB_14equal_to_valueIdEEEEEEE10hipError_tPvRmT3_T4_T5_T6_T7_T9_mT8_P12ihipStream_tbDpT10_ENKUlT_T0_E_clISt17integral_constantIbLb1EES17_IbLb0EEEEDaS13_S14_EUlS13_E_NS1_11comp_targetILNS1_3genE3ELNS1_11target_archE908ELNS1_3gpuE7ELNS1_3repE0EEENS1_30default_config_static_selectorELNS0_4arch9wavefront6targetE0EEEvT1_.numbered_sgpr, 0
	.set _ZN7rocprim17ROCPRIM_400000_NS6detail17trampoline_kernelINS0_14default_configENS1_25partition_config_selectorILNS1_17partition_subalgoE6EdNS0_10empty_typeEbEEZZNS1_14partition_implILS5_6ELb0ES3_mN6thrust23THRUST_200600_302600_NS6detail15normal_iteratorINSA_10device_ptrIdEEEEPS6_SG_NS0_5tupleIJSF_S6_EEENSH_IJSG_SG_EEES6_PlJNSB_9not_fun_tINSB_14equal_to_valueIdEEEEEEE10hipError_tPvRmT3_T4_T5_T6_T7_T9_mT8_P12ihipStream_tbDpT10_ENKUlT_T0_E_clISt17integral_constantIbLb1EES17_IbLb0EEEEDaS13_S14_EUlS13_E_NS1_11comp_targetILNS1_3genE3ELNS1_11target_archE908ELNS1_3gpuE7ELNS1_3repE0EEENS1_30default_config_static_selectorELNS0_4arch9wavefront6targetE0EEEvT1_.num_named_barrier, 0
	.set _ZN7rocprim17ROCPRIM_400000_NS6detail17trampoline_kernelINS0_14default_configENS1_25partition_config_selectorILNS1_17partition_subalgoE6EdNS0_10empty_typeEbEEZZNS1_14partition_implILS5_6ELb0ES3_mN6thrust23THRUST_200600_302600_NS6detail15normal_iteratorINSA_10device_ptrIdEEEEPS6_SG_NS0_5tupleIJSF_S6_EEENSH_IJSG_SG_EEES6_PlJNSB_9not_fun_tINSB_14equal_to_valueIdEEEEEEE10hipError_tPvRmT3_T4_T5_T6_T7_T9_mT8_P12ihipStream_tbDpT10_ENKUlT_T0_E_clISt17integral_constantIbLb1EES17_IbLb0EEEEDaS13_S14_EUlS13_E_NS1_11comp_targetILNS1_3genE3ELNS1_11target_archE908ELNS1_3gpuE7ELNS1_3repE0EEENS1_30default_config_static_selectorELNS0_4arch9wavefront6targetE0EEEvT1_.private_seg_size, 0
	.set _ZN7rocprim17ROCPRIM_400000_NS6detail17trampoline_kernelINS0_14default_configENS1_25partition_config_selectorILNS1_17partition_subalgoE6EdNS0_10empty_typeEbEEZZNS1_14partition_implILS5_6ELb0ES3_mN6thrust23THRUST_200600_302600_NS6detail15normal_iteratorINSA_10device_ptrIdEEEEPS6_SG_NS0_5tupleIJSF_S6_EEENSH_IJSG_SG_EEES6_PlJNSB_9not_fun_tINSB_14equal_to_valueIdEEEEEEE10hipError_tPvRmT3_T4_T5_T6_T7_T9_mT8_P12ihipStream_tbDpT10_ENKUlT_T0_E_clISt17integral_constantIbLb1EES17_IbLb0EEEEDaS13_S14_EUlS13_E_NS1_11comp_targetILNS1_3genE3ELNS1_11target_archE908ELNS1_3gpuE7ELNS1_3repE0EEENS1_30default_config_static_selectorELNS0_4arch9wavefront6targetE0EEEvT1_.uses_vcc, 0
	.set _ZN7rocprim17ROCPRIM_400000_NS6detail17trampoline_kernelINS0_14default_configENS1_25partition_config_selectorILNS1_17partition_subalgoE6EdNS0_10empty_typeEbEEZZNS1_14partition_implILS5_6ELb0ES3_mN6thrust23THRUST_200600_302600_NS6detail15normal_iteratorINSA_10device_ptrIdEEEEPS6_SG_NS0_5tupleIJSF_S6_EEENSH_IJSG_SG_EEES6_PlJNSB_9not_fun_tINSB_14equal_to_valueIdEEEEEEE10hipError_tPvRmT3_T4_T5_T6_T7_T9_mT8_P12ihipStream_tbDpT10_ENKUlT_T0_E_clISt17integral_constantIbLb1EES17_IbLb0EEEEDaS13_S14_EUlS13_E_NS1_11comp_targetILNS1_3genE3ELNS1_11target_archE908ELNS1_3gpuE7ELNS1_3repE0EEENS1_30default_config_static_selectorELNS0_4arch9wavefront6targetE0EEEvT1_.uses_flat_scratch, 0
	.set _ZN7rocprim17ROCPRIM_400000_NS6detail17trampoline_kernelINS0_14default_configENS1_25partition_config_selectorILNS1_17partition_subalgoE6EdNS0_10empty_typeEbEEZZNS1_14partition_implILS5_6ELb0ES3_mN6thrust23THRUST_200600_302600_NS6detail15normal_iteratorINSA_10device_ptrIdEEEEPS6_SG_NS0_5tupleIJSF_S6_EEENSH_IJSG_SG_EEES6_PlJNSB_9not_fun_tINSB_14equal_to_valueIdEEEEEEE10hipError_tPvRmT3_T4_T5_T6_T7_T9_mT8_P12ihipStream_tbDpT10_ENKUlT_T0_E_clISt17integral_constantIbLb1EES17_IbLb0EEEEDaS13_S14_EUlS13_E_NS1_11comp_targetILNS1_3genE3ELNS1_11target_archE908ELNS1_3gpuE7ELNS1_3repE0EEENS1_30default_config_static_selectorELNS0_4arch9wavefront6targetE0EEEvT1_.has_dyn_sized_stack, 0
	.set _ZN7rocprim17ROCPRIM_400000_NS6detail17trampoline_kernelINS0_14default_configENS1_25partition_config_selectorILNS1_17partition_subalgoE6EdNS0_10empty_typeEbEEZZNS1_14partition_implILS5_6ELb0ES3_mN6thrust23THRUST_200600_302600_NS6detail15normal_iteratorINSA_10device_ptrIdEEEEPS6_SG_NS0_5tupleIJSF_S6_EEENSH_IJSG_SG_EEES6_PlJNSB_9not_fun_tINSB_14equal_to_valueIdEEEEEEE10hipError_tPvRmT3_T4_T5_T6_T7_T9_mT8_P12ihipStream_tbDpT10_ENKUlT_T0_E_clISt17integral_constantIbLb1EES17_IbLb0EEEEDaS13_S14_EUlS13_E_NS1_11comp_targetILNS1_3genE3ELNS1_11target_archE908ELNS1_3gpuE7ELNS1_3repE0EEENS1_30default_config_static_selectorELNS0_4arch9wavefront6targetE0EEEvT1_.has_recursion, 0
	.set _ZN7rocprim17ROCPRIM_400000_NS6detail17trampoline_kernelINS0_14default_configENS1_25partition_config_selectorILNS1_17partition_subalgoE6EdNS0_10empty_typeEbEEZZNS1_14partition_implILS5_6ELb0ES3_mN6thrust23THRUST_200600_302600_NS6detail15normal_iteratorINSA_10device_ptrIdEEEEPS6_SG_NS0_5tupleIJSF_S6_EEENSH_IJSG_SG_EEES6_PlJNSB_9not_fun_tINSB_14equal_to_valueIdEEEEEEE10hipError_tPvRmT3_T4_T5_T6_T7_T9_mT8_P12ihipStream_tbDpT10_ENKUlT_T0_E_clISt17integral_constantIbLb1EES17_IbLb0EEEEDaS13_S14_EUlS13_E_NS1_11comp_targetILNS1_3genE3ELNS1_11target_archE908ELNS1_3gpuE7ELNS1_3repE0EEENS1_30default_config_static_selectorELNS0_4arch9wavefront6targetE0EEEvT1_.has_indirect_call, 0
	.section	.AMDGPU.csdata,"",@progbits
; Kernel info:
; codeLenInByte = 0
; TotalNumSgprs: 0
; NumVgprs: 0
; ScratchSize: 0
; MemoryBound: 0
; FloatMode: 240
; IeeeMode: 1
; LDSByteSize: 0 bytes/workgroup (compile time only)
; SGPRBlocks: 0
; VGPRBlocks: 0
; NumSGPRsForWavesPerEU: 1
; NumVGPRsForWavesPerEU: 1
; Occupancy: 16
; WaveLimiterHint : 0
; COMPUTE_PGM_RSRC2:SCRATCH_EN: 0
; COMPUTE_PGM_RSRC2:USER_SGPR: 2
; COMPUTE_PGM_RSRC2:TRAP_HANDLER: 0
; COMPUTE_PGM_RSRC2:TGID_X_EN: 1
; COMPUTE_PGM_RSRC2:TGID_Y_EN: 0
; COMPUTE_PGM_RSRC2:TGID_Z_EN: 0
; COMPUTE_PGM_RSRC2:TIDIG_COMP_CNT: 0
	.section	.text._ZN7rocprim17ROCPRIM_400000_NS6detail17trampoline_kernelINS0_14default_configENS1_25partition_config_selectorILNS1_17partition_subalgoE6EdNS0_10empty_typeEbEEZZNS1_14partition_implILS5_6ELb0ES3_mN6thrust23THRUST_200600_302600_NS6detail15normal_iteratorINSA_10device_ptrIdEEEEPS6_SG_NS0_5tupleIJSF_S6_EEENSH_IJSG_SG_EEES6_PlJNSB_9not_fun_tINSB_14equal_to_valueIdEEEEEEE10hipError_tPvRmT3_T4_T5_T6_T7_T9_mT8_P12ihipStream_tbDpT10_ENKUlT_T0_E_clISt17integral_constantIbLb1EES17_IbLb0EEEEDaS13_S14_EUlS13_E_NS1_11comp_targetILNS1_3genE2ELNS1_11target_archE906ELNS1_3gpuE6ELNS1_3repE0EEENS1_30default_config_static_selectorELNS0_4arch9wavefront6targetE0EEEvT1_,"axG",@progbits,_ZN7rocprim17ROCPRIM_400000_NS6detail17trampoline_kernelINS0_14default_configENS1_25partition_config_selectorILNS1_17partition_subalgoE6EdNS0_10empty_typeEbEEZZNS1_14partition_implILS5_6ELb0ES3_mN6thrust23THRUST_200600_302600_NS6detail15normal_iteratorINSA_10device_ptrIdEEEEPS6_SG_NS0_5tupleIJSF_S6_EEENSH_IJSG_SG_EEES6_PlJNSB_9not_fun_tINSB_14equal_to_valueIdEEEEEEE10hipError_tPvRmT3_T4_T5_T6_T7_T9_mT8_P12ihipStream_tbDpT10_ENKUlT_T0_E_clISt17integral_constantIbLb1EES17_IbLb0EEEEDaS13_S14_EUlS13_E_NS1_11comp_targetILNS1_3genE2ELNS1_11target_archE906ELNS1_3gpuE6ELNS1_3repE0EEENS1_30default_config_static_selectorELNS0_4arch9wavefront6targetE0EEEvT1_,comdat
	.protected	_ZN7rocprim17ROCPRIM_400000_NS6detail17trampoline_kernelINS0_14default_configENS1_25partition_config_selectorILNS1_17partition_subalgoE6EdNS0_10empty_typeEbEEZZNS1_14partition_implILS5_6ELb0ES3_mN6thrust23THRUST_200600_302600_NS6detail15normal_iteratorINSA_10device_ptrIdEEEEPS6_SG_NS0_5tupleIJSF_S6_EEENSH_IJSG_SG_EEES6_PlJNSB_9not_fun_tINSB_14equal_to_valueIdEEEEEEE10hipError_tPvRmT3_T4_T5_T6_T7_T9_mT8_P12ihipStream_tbDpT10_ENKUlT_T0_E_clISt17integral_constantIbLb1EES17_IbLb0EEEEDaS13_S14_EUlS13_E_NS1_11comp_targetILNS1_3genE2ELNS1_11target_archE906ELNS1_3gpuE6ELNS1_3repE0EEENS1_30default_config_static_selectorELNS0_4arch9wavefront6targetE0EEEvT1_ ; -- Begin function _ZN7rocprim17ROCPRIM_400000_NS6detail17trampoline_kernelINS0_14default_configENS1_25partition_config_selectorILNS1_17partition_subalgoE6EdNS0_10empty_typeEbEEZZNS1_14partition_implILS5_6ELb0ES3_mN6thrust23THRUST_200600_302600_NS6detail15normal_iteratorINSA_10device_ptrIdEEEEPS6_SG_NS0_5tupleIJSF_S6_EEENSH_IJSG_SG_EEES6_PlJNSB_9not_fun_tINSB_14equal_to_valueIdEEEEEEE10hipError_tPvRmT3_T4_T5_T6_T7_T9_mT8_P12ihipStream_tbDpT10_ENKUlT_T0_E_clISt17integral_constantIbLb1EES17_IbLb0EEEEDaS13_S14_EUlS13_E_NS1_11comp_targetILNS1_3genE2ELNS1_11target_archE906ELNS1_3gpuE6ELNS1_3repE0EEENS1_30default_config_static_selectorELNS0_4arch9wavefront6targetE0EEEvT1_
	.globl	_ZN7rocprim17ROCPRIM_400000_NS6detail17trampoline_kernelINS0_14default_configENS1_25partition_config_selectorILNS1_17partition_subalgoE6EdNS0_10empty_typeEbEEZZNS1_14partition_implILS5_6ELb0ES3_mN6thrust23THRUST_200600_302600_NS6detail15normal_iteratorINSA_10device_ptrIdEEEEPS6_SG_NS0_5tupleIJSF_S6_EEENSH_IJSG_SG_EEES6_PlJNSB_9not_fun_tINSB_14equal_to_valueIdEEEEEEE10hipError_tPvRmT3_T4_T5_T6_T7_T9_mT8_P12ihipStream_tbDpT10_ENKUlT_T0_E_clISt17integral_constantIbLb1EES17_IbLb0EEEEDaS13_S14_EUlS13_E_NS1_11comp_targetILNS1_3genE2ELNS1_11target_archE906ELNS1_3gpuE6ELNS1_3repE0EEENS1_30default_config_static_selectorELNS0_4arch9wavefront6targetE0EEEvT1_
	.p2align	8
	.type	_ZN7rocprim17ROCPRIM_400000_NS6detail17trampoline_kernelINS0_14default_configENS1_25partition_config_selectorILNS1_17partition_subalgoE6EdNS0_10empty_typeEbEEZZNS1_14partition_implILS5_6ELb0ES3_mN6thrust23THRUST_200600_302600_NS6detail15normal_iteratorINSA_10device_ptrIdEEEEPS6_SG_NS0_5tupleIJSF_S6_EEENSH_IJSG_SG_EEES6_PlJNSB_9not_fun_tINSB_14equal_to_valueIdEEEEEEE10hipError_tPvRmT3_T4_T5_T6_T7_T9_mT8_P12ihipStream_tbDpT10_ENKUlT_T0_E_clISt17integral_constantIbLb1EES17_IbLb0EEEEDaS13_S14_EUlS13_E_NS1_11comp_targetILNS1_3genE2ELNS1_11target_archE906ELNS1_3gpuE6ELNS1_3repE0EEENS1_30default_config_static_selectorELNS0_4arch9wavefront6targetE0EEEvT1_,@function
_ZN7rocprim17ROCPRIM_400000_NS6detail17trampoline_kernelINS0_14default_configENS1_25partition_config_selectorILNS1_17partition_subalgoE6EdNS0_10empty_typeEbEEZZNS1_14partition_implILS5_6ELb0ES3_mN6thrust23THRUST_200600_302600_NS6detail15normal_iteratorINSA_10device_ptrIdEEEEPS6_SG_NS0_5tupleIJSF_S6_EEENSH_IJSG_SG_EEES6_PlJNSB_9not_fun_tINSB_14equal_to_valueIdEEEEEEE10hipError_tPvRmT3_T4_T5_T6_T7_T9_mT8_P12ihipStream_tbDpT10_ENKUlT_T0_E_clISt17integral_constantIbLb1EES17_IbLb0EEEEDaS13_S14_EUlS13_E_NS1_11comp_targetILNS1_3genE2ELNS1_11target_archE906ELNS1_3gpuE6ELNS1_3repE0EEENS1_30default_config_static_selectorELNS0_4arch9wavefront6targetE0EEEvT1_: ; @_ZN7rocprim17ROCPRIM_400000_NS6detail17trampoline_kernelINS0_14default_configENS1_25partition_config_selectorILNS1_17partition_subalgoE6EdNS0_10empty_typeEbEEZZNS1_14partition_implILS5_6ELb0ES3_mN6thrust23THRUST_200600_302600_NS6detail15normal_iteratorINSA_10device_ptrIdEEEEPS6_SG_NS0_5tupleIJSF_S6_EEENSH_IJSG_SG_EEES6_PlJNSB_9not_fun_tINSB_14equal_to_valueIdEEEEEEE10hipError_tPvRmT3_T4_T5_T6_T7_T9_mT8_P12ihipStream_tbDpT10_ENKUlT_T0_E_clISt17integral_constantIbLb1EES17_IbLb0EEEEDaS13_S14_EUlS13_E_NS1_11comp_targetILNS1_3genE2ELNS1_11target_archE906ELNS1_3gpuE6ELNS1_3repE0EEENS1_30default_config_static_selectorELNS0_4arch9wavefront6targetE0EEEvT1_
; %bb.0:
	.section	.rodata,"a",@progbits
	.p2align	6, 0x0
	.amdhsa_kernel _ZN7rocprim17ROCPRIM_400000_NS6detail17trampoline_kernelINS0_14default_configENS1_25partition_config_selectorILNS1_17partition_subalgoE6EdNS0_10empty_typeEbEEZZNS1_14partition_implILS5_6ELb0ES3_mN6thrust23THRUST_200600_302600_NS6detail15normal_iteratorINSA_10device_ptrIdEEEEPS6_SG_NS0_5tupleIJSF_S6_EEENSH_IJSG_SG_EEES6_PlJNSB_9not_fun_tINSB_14equal_to_valueIdEEEEEEE10hipError_tPvRmT3_T4_T5_T6_T7_T9_mT8_P12ihipStream_tbDpT10_ENKUlT_T0_E_clISt17integral_constantIbLb1EES17_IbLb0EEEEDaS13_S14_EUlS13_E_NS1_11comp_targetILNS1_3genE2ELNS1_11target_archE906ELNS1_3gpuE6ELNS1_3repE0EEENS1_30default_config_static_selectorELNS0_4arch9wavefront6targetE0EEEvT1_
		.amdhsa_group_segment_fixed_size 0
		.amdhsa_private_segment_fixed_size 0
		.amdhsa_kernarg_size 120
		.amdhsa_user_sgpr_count 2
		.amdhsa_user_sgpr_dispatch_ptr 0
		.amdhsa_user_sgpr_queue_ptr 0
		.amdhsa_user_sgpr_kernarg_segment_ptr 1
		.amdhsa_user_sgpr_dispatch_id 0
		.amdhsa_user_sgpr_private_segment_size 0
		.amdhsa_wavefront_size32 1
		.amdhsa_uses_dynamic_stack 0
		.amdhsa_enable_private_segment 0
		.amdhsa_system_sgpr_workgroup_id_x 1
		.amdhsa_system_sgpr_workgroup_id_y 0
		.amdhsa_system_sgpr_workgroup_id_z 0
		.amdhsa_system_sgpr_workgroup_info 0
		.amdhsa_system_vgpr_workitem_id 0
		.amdhsa_next_free_vgpr 1
		.amdhsa_next_free_sgpr 1
		.amdhsa_reserve_vcc 0
		.amdhsa_float_round_mode_32 0
		.amdhsa_float_round_mode_16_64 0
		.amdhsa_float_denorm_mode_32 3
		.amdhsa_float_denorm_mode_16_64 3
		.amdhsa_fp16_overflow 0
		.amdhsa_workgroup_processor_mode 1
		.amdhsa_memory_ordered 1
		.amdhsa_forward_progress 1
		.amdhsa_inst_pref_size 0
		.amdhsa_round_robin_scheduling 0
		.amdhsa_exception_fp_ieee_invalid_op 0
		.amdhsa_exception_fp_denorm_src 0
		.amdhsa_exception_fp_ieee_div_zero 0
		.amdhsa_exception_fp_ieee_overflow 0
		.amdhsa_exception_fp_ieee_underflow 0
		.amdhsa_exception_fp_ieee_inexact 0
		.amdhsa_exception_int_div_zero 0
	.end_amdhsa_kernel
	.section	.text._ZN7rocprim17ROCPRIM_400000_NS6detail17trampoline_kernelINS0_14default_configENS1_25partition_config_selectorILNS1_17partition_subalgoE6EdNS0_10empty_typeEbEEZZNS1_14partition_implILS5_6ELb0ES3_mN6thrust23THRUST_200600_302600_NS6detail15normal_iteratorINSA_10device_ptrIdEEEEPS6_SG_NS0_5tupleIJSF_S6_EEENSH_IJSG_SG_EEES6_PlJNSB_9not_fun_tINSB_14equal_to_valueIdEEEEEEE10hipError_tPvRmT3_T4_T5_T6_T7_T9_mT8_P12ihipStream_tbDpT10_ENKUlT_T0_E_clISt17integral_constantIbLb1EES17_IbLb0EEEEDaS13_S14_EUlS13_E_NS1_11comp_targetILNS1_3genE2ELNS1_11target_archE906ELNS1_3gpuE6ELNS1_3repE0EEENS1_30default_config_static_selectorELNS0_4arch9wavefront6targetE0EEEvT1_,"axG",@progbits,_ZN7rocprim17ROCPRIM_400000_NS6detail17trampoline_kernelINS0_14default_configENS1_25partition_config_selectorILNS1_17partition_subalgoE6EdNS0_10empty_typeEbEEZZNS1_14partition_implILS5_6ELb0ES3_mN6thrust23THRUST_200600_302600_NS6detail15normal_iteratorINSA_10device_ptrIdEEEEPS6_SG_NS0_5tupleIJSF_S6_EEENSH_IJSG_SG_EEES6_PlJNSB_9not_fun_tINSB_14equal_to_valueIdEEEEEEE10hipError_tPvRmT3_T4_T5_T6_T7_T9_mT8_P12ihipStream_tbDpT10_ENKUlT_T0_E_clISt17integral_constantIbLb1EES17_IbLb0EEEEDaS13_S14_EUlS13_E_NS1_11comp_targetILNS1_3genE2ELNS1_11target_archE906ELNS1_3gpuE6ELNS1_3repE0EEENS1_30default_config_static_selectorELNS0_4arch9wavefront6targetE0EEEvT1_,comdat
.Lfunc_end297:
	.size	_ZN7rocprim17ROCPRIM_400000_NS6detail17trampoline_kernelINS0_14default_configENS1_25partition_config_selectorILNS1_17partition_subalgoE6EdNS0_10empty_typeEbEEZZNS1_14partition_implILS5_6ELb0ES3_mN6thrust23THRUST_200600_302600_NS6detail15normal_iteratorINSA_10device_ptrIdEEEEPS6_SG_NS0_5tupleIJSF_S6_EEENSH_IJSG_SG_EEES6_PlJNSB_9not_fun_tINSB_14equal_to_valueIdEEEEEEE10hipError_tPvRmT3_T4_T5_T6_T7_T9_mT8_P12ihipStream_tbDpT10_ENKUlT_T0_E_clISt17integral_constantIbLb1EES17_IbLb0EEEEDaS13_S14_EUlS13_E_NS1_11comp_targetILNS1_3genE2ELNS1_11target_archE906ELNS1_3gpuE6ELNS1_3repE0EEENS1_30default_config_static_selectorELNS0_4arch9wavefront6targetE0EEEvT1_, .Lfunc_end297-_ZN7rocprim17ROCPRIM_400000_NS6detail17trampoline_kernelINS0_14default_configENS1_25partition_config_selectorILNS1_17partition_subalgoE6EdNS0_10empty_typeEbEEZZNS1_14partition_implILS5_6ELb0ES3_mN6thrust23THRUST_200600_302600_NS6detail15normal_iteratorINSA_10device_ptrIdEEEEPS6_SG_NS0_5tupleIJSF_S6_EEENSH_IJSG_SG_EEES6_PlJNSB_9not_fun_tINSB_14equal_to_valueIdEEEEEEE10hipError_tPvRmT3_T4_T5_T6_T7_T9_mT8_P12ihipStream_tbDpT10_ENKUlT_T0_E_clISt17integral_constantIbLb1EES17_IbLb0EEEEDaS13_S14_EUlS13_E_NS1_11comp_targetILNS1_3genE2ELNS1_11target_archE906ELNS1_3gpuE6ELNS1_3repE0EEENS1_30default_config_static_selectorELNS0_4arch9wavefront6targetE0EEEvT1_
                                        ; -- End function
	.set _ZN7rocprim17ROCPRIM_400000_NS6detail17trampoline_kernelINS0_14default_configENS1_25partition_config_selectorILNS1_17partition_subalgoE6EdNS0_10empty_typeEbEEZZNS1_14partition_implILS5_6ELb0ES3_mN6thrust23THRUST_200600_302600_NS6detail15normal_iteratorINSA_10device_ptrIdEEEEPS6_SG_NS0_5tupleIJSF_S6_EEENSH_IJSG_SG_EEES6_PlJNSB_9not_fun_tINSB_14equal_to_valueIdEEEEEEE10hipError_tPvRmT3_T4_T5_T6_T7_T9_mT8_P12ihipStream_tbDpT10_ENKUlT_T0_E_clISt17integral_constantIbLb1EES17_IbLb0EEEEDaS13_S14_EUlS13_E_NS1_11comp_targetILNS1_3genE2ELNS1_11target_archE906ELNS1_3gpuE6ELNS1_3repE0EEENS1_30default_config_static_selectorELNS0_4arch9wavefront6targetE0EEEvT1_.num_vgpr, 0
	.set _ZN7rocprim17ROCPRIM_400000_NS6detail17trampoline_kernelINS0_14default_configENS1_25partition_config_selectorILNS1_17partition_subalgoE6EdNS0_10empty_typeEbEEZZNS1_14partition_implILS5_6ELb0ES3_mN6thrust23THRUST_200600_302600_NS6detail15normal_iteratorINSA_10device_ptrIdEEEEPS6_SG_NS0_5tupleIJSF_S6_EEENSH_IJSG_SG_EEES6_PlJNSB_9not_fun_tINSB_14equal_to_valueIdEEEEEEE10hipError_tPvRmT3_T4_T5_T6_T7_T9_mT8_P12ihipStream_tbDpT10_ENKUlT_T0_E_clISt17integral_constantIbLb1EES17_IbLb0EEEEDaS13_S14_EUlS13_E_NS1_11comp_targetILNS1_3genE2ELNS1_11target_archE906ELNS1_3gpuE6ELNS1_3repE0EEENS1_30default_config_static_selectorELNS0_4arch9wavefront6targetE0EEEvT1_.num_agpr, 0
	.set _ZN7rocprim17ROCPRIM_400000_NS6detail17trampoline_kernelINS0_14default_configENS1_25partition_config_selectorILNS1_17partition_subalgoE6EdNS0_10empty_typeEbEEZZNS1_14partition_implILS5_6ELb0ES3_mN6thrust23THRUST_200600_302600_NS6detail15normal_iteratorINSA_10device_ptrIdEEEEPS6_SG_NS0_5tupleIJSF_S6_EEENSH_IJSG_SG_EEES6_PlJNSB_9not_fun_tINSB_14equal_to_valueIdEEEEEEE10hipError_tPvRmT3_T4_T5_T6_T7_T9_mT8_P12ihipStream_tbDpT10_ENKUlT_T0_E_clISt17integral_constantIbLb1EES17_IbLb0EEEEDaS13_S14_EUlS13_E_NS1_11comp_targetILNS1_3genE2ELNS1_11target_archE906ELNS1_3gpuE6ELNS1_3repE0EEENS1_30default_config_static_selectorELNS0_4arch9wavefront6targetE0EEEvT1_.numbered_sgpr, 0
	.set _ZN7rocprim17ROCPRIM_400000_NS6detail17trampoline_kernelINS0_14default_configENS1_25partition_config_selectorILNS1_17partition_subalgoE6EdNS0_10empty_typeEbEEZZNS1_14partition_implILS5_6ELb0ES3_mN6thrust23THRUST_200600_302600_NS6detail15normal_iteratorINSA_10device_ptrIdEEEEPS6_SG_NS0_5tupleIJSF_S6_EEENSH_IJSG_SG_EEES6_PlJNSB_9not_fun_tINSB_14equal_to_valueIdEEEEEEE10hipError_tPvRmT3_T4_T5_T6_T7_T9_mT8_P12ihipStream_tbDpT10_ENKUlT_T0_E_clISt17integral_constantIbLb1EES17_IbLb0EEEEDaS13_S14_EUlS13_E_NS1_11comp_targetILNS1_3genE2ELNS1_11target_archE906ELNS1_3gpuE6ELNS1_3repE0EEENS1_30default_config_static_selectorELNS0_4arch9wavefront6targetE0EEEvT1_.num_named_barrier, 0
	.set _ZN7rocprim17ROCPRIM_400000_NS6detail17trampoline_kernelINS0_14default_configENS1_25partition_config_selectorILNS1_17partition_subalgoE6EdNS0_10empty_typeEbEEZZNS1_14partition_implILS5_6ELb0ES3_mN6thrust23THRUST_200600_302600_NS6detail15normal_iteratorINSA_10device_ptrIdEEEEPS6_SG_NS0_5tupleIJSF_S6_EEENSH_IJSG_SG_EEES6_PlJNSB_9not_fun_tINSB_14equal_to_valueIdEEEEEEE10hipError_tPvRmT3_T4_T5_T6_T7_T9_mT8_P12ihipStream_tbDpT10_ENKUlT_T0_E_clISt17integral_constantIbLb1EES17_IbLb0EEEEDaS13_S14_EUlS13_E_NS1_11comp_targetILNS1_3genE2ELNS1_11target_archE906ELNS1_3gpuE6ELNS1_3repE0EEENS1_30default_config_static_selectorELNS0_4arch9wavefront6targetE0EEEvT1_.private_seg_size, 0
	.set _ZN7rocprim17ROCPRIM_400000_NS6detail17trampoline_kernelINS0_14default_configENS1_25partition_config_selectorILNS1_17partition_subalgoE6EdNS0_10empty_typeEbEEZZNS1_14partition_implILS5_6ELb0ES3_mN6thrust23THRUST_200600_302600_NS6detail15normal_iteratorINSA_10device_ptrIdEEEEPS6_SG_NS0_5tupleIJSF_S6_EEENSH_IJSG_SG_EEES6_PlJNSB_9not_fun_tINSB_14equal_to_valueIdEEEEEEE10hipError_tPvRmT3_T4_T5_T6_T7_T9_mT8_P12ihipStream_tbDpT10_ENKUlT_T0_E_clISt17integral_constantIbLb1EES17_IbLb0EEEEDaS13_S14_EUlS13_E_NS1_11comp_targetILNS1_3genE2ELNS1_11target_archE906ELNS1_3gpuE6ELNS1_3repE0EEENS1_30default_config_static_selectorELNS0_4arch9wavefront6targetE0EEEvT1_.uses_vcc, 0
	.set _ZN7rocprim17ROCPRIM_400000_NS6detail17trampoline_kernelINS0_14default_configENS1_25partition_config_selectorILNS1_17partition_subalgoE6EdNS0_10empty_typeEbEEZZNS1_14partition_implILS5_6ELb0ES3_mN6thrust23THRUST_200600_302600_NS6detail15normal_iteratorINSA_10device_ptrIdEEEEPS6_SG_NS0_5tupleIJSF_S6_EEENSH_IJSG_SG_EEES6_PlJNSB_9not_fun_tINSB_14equal_to_valueIdEEEEEEE10hipError_tPvRmT3_T4_T5_T6_T7_T9_mT8_P12ihipStream_tbDpT10_ENKUlT_T0_E_clISt17integral_constantIbLb1EES17_IbLb0EEEEDaS13_S14_EUlS13_E_NS1_11comp_targetILNS1_3genE2ELNS1_11target_archE906ELNS1_3gpuE6ELNS1_3repE0EEENS1_30default_config_static_selectorELNS0_4arch9wavefront6targetE0EEEvT1_.uses_flat_scratch, 0
	.set _ZN7rocprim17ROCPRIM_400000_NS6detail17trampoline_kernelINS0_14default_configENS1_25partition_config_selectorILNS1_17partition_subalgoE6EdNS0_10empty_typeEbEEZZNS1_14partition_implILS5_6ELb0ES3_mN6thrust23THRUST_200600_302600_NS6detail15normal_iteratorINSA_10device_ptrIdEEEEPS6_SG_NS0_5tupleIJSF_S6_EEENSH_IJSG_SG_EEES6_PlJNSB_9not_fun_tINSB_14equal_to_valueIdEEEEEEE10hipError_tPvRmT3_T4_T5_T6_T7_T9_mT8_P12ihipStream_tbDpT10_ENKUlT_T0_E_clISt17integral_constantIbLb1EES17_IbLb0EEEEDaS13_S14_EUlS13_E_NS1_11comp_targetILNS1_3genE2ELNS1_11target_archE906ELNS1_3gpuE6ELNS1_3repE0EEENS1_30default_config_static_selectorELNS0_4arch9wavefront6targetE0EEEvT1_.has_dyn_sized_stack, 0
	.set _ZN7rocprim17ROCPRIM_400000_NS6detail17trampoline_kernelINS0_14default_configENS1_25partition_config_selectorILNS1_17partition_subalgoE6EdNS0_10empty_typeEbEEZZNS1_14partition_implILS5_6ELb0ES3_mN6thrust23THRUST_200600_302600_NS6detail15normal_iteratorINSA_10device_ptrIdEEEEPS6_SG_NS0_5tupleIJSF_S6_EEENSH_IJSG_SG_EEES6_PlJNSB_9not_fun_tINSB_14equal_to_valueIdEEEEEEE10hipError_tPvRmT3_T4_T5_T6_T7_T9_mT8_P12ihipStream_tbDpT10_ENKUlT_T0_E_clISt17integral_constantIbLb1EES17_IbLb0EEEEDaS13_S14_EUlS13_E_NS1_11comp_targetILNS1_3genE2ELNS1_11target_archE906ELNS1_3gpuE6ELNS1_3repE0EEENS1_30default_config_static_selectorELNS0_4arch9wavefront6targetE0EEEvT1_.has_recursion, 0
	.set _ZN7rocprim17ROCPRIM_400000_NS6detail17trampoline_kernelINS0_14default_configENS1_25partition_config_selectorILNS1_17partition_subalgoE6EdNS0_10empty_typeEbEEZZNS1_14partition_implILS5_6ELb0ES3_mN6thrust23THRUST_200600_302600_NS6detail15normal_iteratorINSA_10device_ptrIdEEEEPS6_SG_NS0_5tupleIJSF_S6_EEENSH_IJSG_SG_EEES6_PlJNSB_9not_fun_tINSB_14equal_to_valueIdEEEEEEE10hipError_tPvRmT3_T4_T5_T6_T7_T9_mT8_P12ihipStream_tbDpT10_ENKUlT_T0_E_clISt17integral_constantIbLb1EES17_IbLb0EEEEDaS13_S14_EUlS13_E_NS1_11comp_targetILNS1_3genE2ELNS1_11target_archE906ELNS1_3gpuE6ELNS1_3repE0EEENS1_30default_config_static_selectorELNS0_4arch9wavefront6targetE0EEEvT1_.has_indirect_call, 0
	.section	.AMDGPU.csdata,"",@progbits
; Kernel info:
; codeLenInByte = 0
; TotalNumSgprs: 0
; NumVgprs: 0
; ScratchSize: 0
; MemoryBound: 0
; FloatMode: 240
; IeeeMode: 1
; LDSByteSize: 0 bytes/workgroup (compile time only)
; SGPRBlocks: 0
; VGPRBlocks: 0
; NumSGPRsForWavesPerEU: 1
; NumVGPRsForWavesPerEU: 1
; Occupancy: 16
; WaveLimiterHint : 0
; COMPUTE_PGM_RSRC2:SCRATCH_EN: 0
; COMPUTE_PGM_RSRC2:USER_SGPR: 2
; COMPUTE_PGM_RSRC2:TRAP_HANDLER: 0
; COMPUTE_PGM_RSRC2:TGID_X_EN: 1
; COMPUTE_PGM_RSRC2:TGID_Y_EN: 0
; COMPUTE_PGM_RSRC2:TGID_Z_EN: 0
; COMPUTE_PGM_RSRC2:TIDIG_COMP_CNT: 0
	.section	.text._ZN7rocprim17ROCPRIM_400000_NS6detail17trampoline_kernelINS0_14default_configENS1_25partition_config_selectorILNS1_17partition_subalgoE6EdNS0_10empty_typeEbEEZZNS1_14partition_implILS5_6ELb0ES3_mN6thrust23THRUST_200600_302600_NS6detail15normal_iteratorINSA_10device_ptrIdEEEEPS6_SG_NS0_5tupleIJSF_S6_EEENSH_IJSG_SG_EEES6_PlJNSB_9not_fun_tINSB_14equal_to_valueIdEEEEEEE10hipError_tPvRmT3_T4_T5_T6_T7_T9_mT8_P12ihipStream_tbDpT10_ENKUlT_T0_E_clISt17integral_constantIbLb1EES17_IbLb0EEEEDaS13_S14_EUlS13_E_NS1_11comp_targetILNS1_3genE10ELNS1_11target_archE1200ELNS1_3gpuE4ELNS1_3repE0EEENS1_30default_config_static_selectorELNS0_4arch9wavefront6targetE0EEEvT1_,"axG",@progbits,_ZN7rocprim17ROCPRIM_400000_NS6detail17trampoline_kernelINS0_14default_configENS1_25partition_config_selectorILNS1_17partition_subalgoE6EdNS0_10empty_typeEbEEZZNS1_14partition_implILS5_6ELb0ES3_mN6thrust23THRUST_200600_302600_NS6detail15normal_iteratorINSA_10device_ptrIdEEEEPS6_SG_NS0_5tupleIJSF_S6_EEENSH_IJSG_SG_EEES6_PlJNSB_9not_fun_tINSB_14equal_to_valueIdEEEEEEE10hipError_tPvRmT3_T4_T5_T6_T7_T9_mT8_P12ihipStream_tbDpT10_ENKUlT_T0_E_clISt17integral_constantIbLb1EES17_IbLb0EEEEDaS13_S14_EUlS13_E_NS1_11comp_targetILNS1_3genE10ELNS1_11target_archE1200ELNS1_3gpuE4ELNS1_3repE0EEENS1_30default_config_static_selectorELNS0_4arch9wavefront6targetE0EEEvT1_,comdat
	.protected	_ZN7rocprim17ROCPRIM_400000_NS6detail17trampoline_kernelINS0_14default_configENS1_25partition_config_selectorILNS1_17partition_subalgoE6EdNS0_10empty_typeEbEEZZNS1_14partition_implILS5_6ELb0ES3_mN6thrust23THRUST_200600_302600_NS6detail15normal_iteratorINSA_10device_ptrIdEEEEPS6_SG_NS0_5tupleIJSF_S6_EEENSH_IJSG_SG_EEES6_PlJNSB_9not_fun_tINSB_14equal_to_valueIdEEEEEEE10hipError_tPvRmT3_T4_T5_T6_T7_T9_mT8_P12ihipStream_tbDpT10_ENKUlT_T0_E_clISt17integral_constantIbLb1EES17_IbLb0EEEEDaS13_S14_EUlS13_E_NS1_11comp_targetILNS1_3genE10ELNS1_11target_archE1200ELNS1_3gpuE4ELNS1_3repE0EEENS1_30default_config_static_selectorELNS0_4arch9wavefront6targetE0EEEvT1_ ; -- Begin function _ZN7rocprim17ROCPRIM_400000_NS6detail17trampoline_kernelINS0_14default_configENS1_25partition_config_selectorILNS1_17partition_subalgoE6EdNS0_10empty_typeEbEEZZNS1_14partition_implILS5_6ELb0ES3_mN6thrust23THRUST_200600_302600_NS6detail15normal_iteratorINSA_10device_ptrIdEEEEPS6_SG_NS0_5tupleIJSF_S6_EEENSH_IJSG_SG_EEES6_PlJNSB_9not_fun_tINSB_14equal_to_valueIdEEEEEEE10hipError_tPvRmT3_T4_T5_T6_T7_T9_mT8_P12ihipStream_tbDpT10_ENKUlT_T0_E_clISt17integral_constantIbLb1EES17_IbLb0EEEEDaS13_S14_EUlS13_E_NS1_11comp_targetILNS1_3genE10ELNS1_11target_archE1200ELNS1_3gpuE4ELNS1_3repE0EEENS1_30default_config_static_selectorELNS0_4arch9wavefront6targetE0EEEvT1_
	.globl	_ZN7rocprim17ROCPRIM_400000_NS6detail17trampoline_kernelINS0_14default_configENS1_25partition_config_selectorILNS1_17partition_subalgoE6EdNS0_10empty_typeEbEEZZNS1_14partition_implILS5_6ELb0ES3_mN6thrust23THRUST_200600_302600_NS6detail15normal_iteratorINSA_10device_ptrIdEEEEPS6_SG_NS0_5tupleIJSF_S6_EEENSH_IJSG_SG_EEES6_PlJNSB_9not_fun_tINSB_14equal_to_valueIdEEEEEEE10hipError_tPvRmT3_T4_T5_T6_T7_T9_mT8_P12ihipStream_tbDpT10_ENKUlT_T0_E_clISt17integral_constantIbLb1EES17_IbLb0EEEEDaS13_S14_EUlS13_E_NS1_11comp_targetILNS1_3genE10ELNS1_11target_archE1200ELNS1_3gpuE4ELNS1_3repE0EEENS1_30default_config_static_selectorELNS0_4arch9wavefront6targetE0EEEvT1_
	.p2align	8
	.type	_ZN7rocprim17ROCPRIM_400000_NS6detail17trampoline_kernelINS0_14default_configENS1_25partition_config_selectorILNS1_17partition_subalgoE6EdNS0_10empty_typeEbEEZZNS1_14partition_implILS5_6ELb0ES3_mN6thrust23THRUST_200600_302600_NS6detail15normal_iteratorINSA_10device_ptrIdEEEEPS6_SG_NS0_5tupleIJSF_S6_EEENSH_IJSG_SG_EEES6_PlJNSB_9not_fun_tINSB_14equal_to_valueIdEEEEEEE10hipError_tPvRmT3_T4_T5_T6_T7_T9_mT8_P12ihipStream_tbDpT10_ENKUlT_T0_E_clISt17integral_constantIbLb1EES17_IbLb0EEEEDaS13_S14_EUlS13_E_NS1_11comp_targetILNS1_3genE10ELNS1_11target_archE1200ELNS1_3gpuE4ELNS1_3repE0EEENS1_30default_config_static_selectorELNS0_4arch9wavefront6targetE0EEEvT1_,@function
_ZN7rocprim17ROCPRIM_400000_NS6detail17trampoline_kernelINS0_14default_configENS1_25partition_config_selectorILNS1_17partition_subalgoE6EdNS0_10empty_typeEbEEZZNS1_14partition_implILS5_6ELb0ES3_mN6thrust23THRUST_200600_302600_NS6detail15normal_iteratorINSA_10device_ptrIdEEEEPS6_SG_NS0_5tupleIJSF_S6_EEENSH_IJSG_SG_EEES6_PlJNSB_9not_fun_tINSB_14equal_to_valueIdEEEEEEE10hipError_tPvRmT3_T4_T5_T6_T7_T9_mT8_P12ihipStream_tbDpT10_ENKUlT_T0_E_clISt17integral_constantIbLb1EES17_IbLb0EEEEDaS13_S14_EUlS13_E_NS1_11comp_targetILNS1_3genE10ELNS1_11target_archE1200ELNS1_3gpuE4ELNS1_3repE0EEENS1_30default_config_static_selectorELNS0_4arch9wavefront6targetE0EEEvT1_: ; @_ZN7rocprim17ROCPRIM_400000_NS6detail17trampoline_kernelINS0_14default_configENS1_25partition_config_selectorILNS1_17partition_subalgoE6EdNS0_10empty_typeEbEEZZNS1_14partition_implILS5_6ELb0ES3_mN6thrust23THRUST_200600_302600_NS6detail15normal_iteratorINSA_10device_ptrIdEEEEPS6_SG_NS0_5tupleIJSF_S6_EEENSH_IJSG_SG_EEES6_PlJNSB_9not_fun_tINSB_14equal_to_valueIdEEEEEEE10hipError_tPvRmT3_T4_T5_T6_T7_T9_mT8_P12ihipStream_tbDpT10_ENKUlT_T0_E_clISt17integral_constantIbLb1EES17_IbLb0EEEEDaS13_S14_EUlS13_E_NS1_11comp_targetILNS1_3genE10ELNS1_11target_archE1200ELNS1_3gpuE4ELNS1_3repE0EEENS1_30default_config_static_selectorELNS0_4arch9wavefront6targetE0EEEvT1_
; %bb.0:
	s_endpgm
	.section	.rodata,"a",@progbits
	.p2align	6, 0x0
	.amdhsa_kernel _ZN7rocprim17ROCPRIM_400000_NS6detail17trampoline_kernelINS0_14default_configENS1_25partition_config_selectorILNS1_17partition_subalgoE6EdNS0_10empty_typeEbEEZZNS1_14partition_implILS5_6ELb0ES3_mN6thrust23THRUST_200600_302600_NS6detail15normal_iteratorINSA_10device_ptrIdEEEEPS6_SG_NS0_5tupleIJSF_S6_EEENSH_IJSG_SG_EEES6_PlJNSB_9not_fun_tINSB_14equal_to_valueIdEEEEEEE10hipError_tPvRmT3_T4_T5_T6_T7_T9_mT8_P12ihipStream_tbDpT10_ENKUlT_T0_E_clISt17integral_constantIbLb1EES17_IbLb0EEEEDaS13_S14_EUlS13_E_NS1_11comp_targetILNS1_3genE10ELNS1_11target_archE1200ELNS1_3gpuE4ELNS1_3repE0EEENS1_30default_config_static_selectorELNS0_4arch9wavefront6targetE0EEEvT1_
		.amdhsa_group_segment_fixed_size 0
		.amdhsa_private_segment_fixed_size 0
		.amdhsa_kernarg_size 120
		.amdhsa_user_sgpr_count 2
		.amdhsa_user_sgpr_dispatch_ptr 0
		.amdhsa_user_sgpr_queue_ptr 0
		.amdhsa_user_sgpr_kernarg_segment_ptr 1
		.amdhsa_user_sgpr_dispatch_id 0
		.amdhsa_user_sgpr_private_segment_size 0
		.amdhsa_wavefront_size32 1
		.amdhsa_uses_dynamic_stack 0
		.amdhsa_enable_private_segment 0
		.amdhsa_system_sgpr_workgroup_id_x 1
		.amdhsa_system_sgpr_workgroup_id_y 0
		.amdhsa_system_sgpr_workgroup_id_z 0
		.amdhsa_system_sgpr_workgroup_info 0
		.amdhsa_system_vgpr_workitem_id 0
		.amdhsa_next_free_vgpr 1
		.amdhsa_next_free_sgpr 1
		.amdhsa_reserve_vcc 0
		.amdhsa_float_round_mode_32 0
		.amdhsa_float_round_mode_16_64 0
		.amdhsa_float_denorm_mode_32 3
		.amdhsa_float_denorm_mode_16_64 3
		.amdhsa_fp16_overflow 0
		.amdhsa_workgroup_processor_mode 1
		.amdhsa_memory_ordered 1
		.amdhsa_forward_progress 1
		.amdhsa_inst_pref_size 1
		.amdhsa_round_robin_scheduling 0
		.amdhsa_exception_fp_ieee_invalid_op 0
		.amdhsa_exception_fp_denorm_src 0
		.amdhsa_exception_fp_ieee_div_zero 0
		.amdhsa_exception_fp_ieee_overflow 0
		.amdhsa_exception_fp_ieee_underflow 0
		.amdhsa_exception_fp_ieee_inexact 0
		.amdhsa_exception_int_div_zero 0
	.end_amdhsa_kernel
	.section	.text._ZN7rocprim17ROCPRIM_400000_NS6detail17trampoline_kernelINS0_14default_configENS1_25partition_config_selectorILNS1_17partition_subalgoE6EdNS0_10empty_typeEbEEZZNS1_14partition_implILS5_6ELb0ES3_mN6thrust23THRUST_200600_302600_NS6detail15normal_iteratorINSA_10device_ptrIdEEEEPS6_SG_NS0_5tupleIJSF_S6_EEENSH_IJSG_SG_EEES6_PlJNSB_9not_fun_tINSB_14equal_to_valueIdEEEEEEE10hipError_tPvRmT3_T4_T5_T6_T7_T9_mT8_P12ihipStream_tbDpT10_ENKUlT_T0_E_clISt17integral_constantIbLb1EES17_IbLb0EEEEDaS13_S14_EUlS13_E_NS1_11comp_targetILNS1_3genE10ELNS1_11target_archE1200ELNS1_3gpuE4ELNS1_3repE0EEENS1_30default_config_static_selectorELNS0_4arch9wavefront6targetE0EEEvT1_,"axG",@progbits,_ZN7rocprim17ROCPRIM_400000_NS6detail17trampoline_kernelINS0_14default_configENS1_25partition_config_selectorILNS1_17partition_subalgoE6EdNS0_10empty_typeEbEEZZNS1_14partition_implILS5_6ELb0ES3_mN6thrust23THRUST_200600_302600_NS6detail15normal_iteratorINSA_10device_ptrIdEEEEPS6_SG_NS0_5tupleIJSF_S6_EEENSH_IJSG_SG_EEES6_PlJNSB_9not_fun_tINSB_14equal_to_valueIdEEEEEEE10hipError_tPvRmT3_T4_T5_T6_T7_T9_mT8_P12ihipStream_tbDpT10_ENKUlT_T0_E_clISt17integral_constantIbLb1EES17_IbLb0EEEEDaS13_S14_EUlS13_E_NS1_11comp_targetILNS1_3genE10ELNS1_11target_archE1200ELNS1_3gpuE4ELNS1_3repE0EEENS1_30default_config_static_selectorELNS0_4arch9wavefront6targetE0EEEvT1_,comdat
.Lfunc_end298:
	.size	_ZN7rocprim17ROCPRIM_400000_NS6detail17trampoline_kernelINS0_14default_configENS1_25partition_config_selectorILNS1_17partition_subalgoE6EdNS0_10empty_typeEbEEZZNS1_14partition_implILS5_6ELb0ES3_mN6thrust23THRUST_200600_302600_NS6detail15normal_iteratorINSA_10device_ptrIdEEEEPS6_SG_NS0_5tupleIJSF_S6_EEENSH_IJSG_SG_EEES6_PlJNSB_9not_fun_tINSB_14equal_to_valueIdEEEEEEE10hipError_tPvRmT3_T4_T5_T6_T7_T9_mT8_P12ihipStream_tbDpT10_ENKUlT_T0_E_clISt17integral_constantIbLb1EES17_IbLb0EEEEDaS13_S14_EUlS13_E_NS1_11comp_targetILNS1_3genE10ELNS1_11target_archE1200ELNS1_3gpuE4ELNS1_3repE0EEENS1_30default_config_static_selectorELNS0_4arch9wavefront6targetE0EEEvT1_, .Lfunc_end298-_ZN7rocprim17ROCPRIM_400000_NS6detail17trampoline_kernelINS0_14default_configENS1_25partition_config_selectorILNS1_17partition_subalgoE6EdNS0_10empty_typeEbEEZZNS1_14partition_implILS5_6ELb0ES3_mN6thrust23THRUST_200600_302600_NS6detail15normal_iteratorINSA_10device_ptrIdEEEEPS6_SG_NS0_5tupleIJSF_S6_EEENSH_IJSG_SG_EEES6_PlJNSB_9not_fun_tINSB_14equal_to_valueIdEEEEEEE10hipError_tPvRmT3_T4_T5_T6_T7_T9_mT8_P12ihipStream_tbDpT10_ENKUlT_T0_E_clISt17integral_constantIbLb1EES17_IbLb0EEEEDaS13_S14_EUlS13_E_NS1_11comp_targetILNS1_3genE10ELNS1_11target_archE1200ELNS1_3gpuE4ELNS1_3repE0EEENS1_30default_config_static_selectorELNS0_4arch9wavefront6targetE0EEEvT1_
                                        ; -- End function
	.set _ZN7rocprim17ROCPRIM_400000_NS6detail17trampoline_kernelINS0_14default_configENS1_25partition_config_selectorILNS1_17partition_subalgoE6EdNS0_10empty_typeEbEEZZNS1_14partition_implILS5_6ELb0ES3_mN6thrust23THRUST_200600_302600_NS6detail15normal_iteratorINSA_10device_ptrIdEEEEPS6_SG_NS0_5tupleIJSF_S6_EEENSH_IJSG_SG_EEES6_PlJNSB_9not_fun_tINSB_14equal_to_valueIdEEEEEEE10hipError_tPvRmT3_T4_T5_T6_T7_T9_mT8_P12ihipStream_tbDpT10_ENKUlT_T0_E_clISt17integral_constantIbLb1EES17_IbLb0EEEEDaS13_S14_EUlS13_E_NS1_11comp_targetILNS1_3genE10ELNS1_11target_archE1200ELNS1_3gpuE4ELNS1_3repE0EEENS1_30default_config_static_selectorELNS0_4arch9wavefront6targetE0EEEvT1_.num_vgpr, 0
	.set _ZN7rocprim17ROCPRIM_400000_NS6detail17trampoline_kernelINS0_14default_configENS1_25partition_config_selectorILNS1_17partition_subalgoE6EdNS0_10empty_typeEbEEZZNS1_14partition_implILS5_6ELb0ES3_mN6thrust23THRUST_200600_302600_NS6detail15normal_iteratorINSA_10device_ptrIdEEEEPS6_SG_NS0_5tupleIJSF_S6_EEENSH_IJSG_SG_EEES6_PlJNSB_9not_fun_tINSB_14equal_to_valueIdEEEEEEE10hipError_tPvRmT3_T4_T5_T6_T7_T9_mT8_P12ihipStream_tbDpT10_ENKUlT_T0_E_clISt17integral_constantIbLb1EES17_IbLb0EEEEDaS13_S14_EUlS13_E_NS1_11comp_targetILNS1_3genE10ELNS1_11target_archE1200ELNS1_3gpuE4ELNS1_3repE0EEENS1_30default_config_static_selectorELNS0_4arch9wavefront6targetE0EEEvT1_.num_agpr, 0
	.set _ZN7rocprim17ROCPRIM_400000_NS6detail17trampoline_kernelINS0_14default_configENS1_25partition_config_selectorILNS1_17partition_subalgoE6EdNS0_10empty_typeEbEEZZNS1_14partition_implILS5_6ELb0ES3_mN6thrust23THRUST_200600_302600_NS6detail15normal_iteratorINSA_10device_ptrIdEEEEPS6_SG_NS0_5tupleIJSF_S6_EEENSH_IJSG_SG_EEES6_PlJNSB_9not_fun_tINSB_14equal_to_valueIdEEEEEEE10hipError_tPvRmT3_T4_T5_T6_T7_T9_mT8_P12ihipStream_tbDpT10_ENKUlT_T0_E_clISt17integral_constantIbLb1EES17_IbLb0EEEEDaS13_S14_EUlS13_E_NS1_11comp_targetILNS1_3genE10ELNS1_11target_archE1200ELNS1_3gpuE4ELNS1_3repE0EEENS1_30default_config_static_selectorELNS0_4arch9wavefront6targetE0EEEvT1_.numbered_sgpr, 0
	.set _ZN7rocprim17ROCPRIM_400000_NS6detail17trampoline_kernelINS0_14default_configENS1_25partition_config_selectorILNS1_17partition_subalgoE6EdNS0_10empty_typeEbEEZZNS1_14partition_implILS5_6ELb0ES3_mN6thrust23THRUST_200600_302600_NS6detail15normal_iteratorINSA_10device_ptrIdEEEEPS6_SG_NS0_5tupleIJSF_S6_EEENSH_IJSG_SG_EEES6_PlJNSB_9not_fun_tINSB_14equal_to_valueIdEEEEEEE10hipError_tPvRmT3_T4_T5_T6_T7_T9_mT8_P12ihipStream_tbDpT10_ENKUlT_T0_E_clISt17integral_constantIbLb1EES17_IbLb0EEEEDaS13_S14_EUlS13_E_NS1_11comp_targetILNS1_3genE10ELNS1_11target_archE1200ELNS1_3gpuE4ELNS1_3repE0EEENS1_30default_config_static_selectorELNS0_4arch9wavefront6targetE0EEEvT1_.num_named_barrier, 0
	.set _ZN7rocprim17ROCPRIM_400000_NS6detail17trampoline_kernelINS0_14default_configENS1_25partition_config_selectorILNS1_17partition_subalgoE6EdNS0_10empty_typeEbEEZZNS1_14partition_implILS5_6ELb0ES3_mN6thrust23THRUST_200600_302600_NS6detail15normal_iteratorINSA_10device_ptrIdEEEEPS6_SG_NS0_5tupleIJSF_S6_EEENSH_IJSG_SG_EEES6_PlJNSB_9not_fun_tINSB_14equal_to_valueIdEEEEEEE10hipError_tPvRmT3_T4_T5_T6_T7_T9_mT8_P12ihipStream_tbDpT10_ENKUlT_T0_E_clISt17integral_constantIbLb1EES17_IbLb0EEEEDaS13_S14_EUlS13_E_NS1_11comp_targetILNS1_3genE10ELNS1_11target_archE1200ELNS1_3gpuE4ELNS1_3repE0EEENS1_30default_config_static_selectorELNS0_4arch9wavefront6targetE0EEEvT1_.private_seg_size, 0
	.set _ZN7rocprim17ROCPRIM_400000_NS6detail17trampoline_kernelINS0_14default_configENS1_25partition_config_selectorILNS1_17partition_subalgoE6EdNS0_10empty_typeEbEEZZNS1_14partition_implILS5_6ELb0ES3_mN6thrust23THRUST_200600_302600_NS6detail15normal_iteratorINSA_10device_ptrIdEEEEPS6_SG_NS0_5tupleIJSF_S6_EEENSH_IJSG_SG_EEES6_PlJNSB_9not_fun_tINSB_14equal_to_valueIdEEEEEEE10hipError_tPvRmT3_T4_T5_T6_T7_T9_mT8_P12ihipStream_tbDpT10_ENKUlT_T0_E_clISt17integral_constantIbLb1EES17_IbLb0EEEEDaS13_S14_EUlS13_E_NS1_11comp_targetILNS1_3genE10ELNS1_11target_archE1200ELNS1_3gpuE4ELNS1_3repE0EEENS1_30default_config_static_selectorELNS0_4arch9wavefront6targetE0EEEvT1_.uses_vcc, 0
	.set _ZN7rocprim17ROCPRIM_400000_NS6detail17trampoline_kernelINS0_14default_configENS1_25partition_config_selectorILNS1_17partition_subalgoE6EdNS0_10empty_typeEbEEZZNS1_14partition_implILS5_6ELb0ES3_mN6thrust23THRUST_200600_302600_NS6detail15normal_iteratorINSA_10device_ptrIdEEEEPS6_SG_NS0_5tupleIJSF_S6_EEENSH_IJSG_SG_EEES6_PlJNSB_9not_fun_tINSB_14equal_to_valueIdEEEEEEE10hipError_tPvRmT3_T4_T5_T6_T7_T9_mT8_P12ihipStream_tbDpT10_ENKUlT_T0_E_clISt17integral_constantIbLb1EES17_IbLb0EEEEDaS13_S14_EUlS13_E_NS1_11comp_targetILNS1_3genE10ELNS1_11target_archE1200ELNS1_3gpuE4ELNS1_3repE0EEENS1_30default_config_static_selectorELNS0_4arch9wavefront6targetE0EEEvT1_.uses_flat_scratch, 0
	.set _ZN7rocprim17ROCPRIM_400000_NS6detail17trampoline_kernelINS0_14default_configENS1_25partition_config_selectorILNS1_17partition_subalgoE6EdNS0_10empty_typeEbEEZZNS1_14partition_implILS5_6ELb0ES3_mN6thrust23THRUST_200600_302600_NS6detail15normal_iteratorINSA_10device_ptrIdEEEEPS6_SG_NS0_5tupleIJSF_S6_EEENSH_IJSG_SG_EEES6_PlJNSB_9not_fun_tINSB_14equal_to_valueIdEEEEEEE10hipError_tPvRmT3_T4_T5_T6_T7_T9_mT8_P12ihipStream_tbDpT10_ENKUlT_T0_E_clISt17integral_constantIbLb1EES17_IbLb0EEEEDaS13_S14_EUlS13_E_NS1_11comp_targetILNS1_3genE10ELNS1_11target_archE1200ELNS1_3gpuE4ELNS1_3repE0EEENS1_30default_config_static_selectorELNS0_4arch9wavefront6targetE0EEEvT1_.has_dyn_sized_stack, 0
	.set _ZN7rocprim17ROCPRIM_400000_NS6detail17trampoline_kernelINS0_14default_configENS1_25partition_config_selectorILNS1_17partition_subalgoE6EdNS0_10empty_typeEbEEZZNS1_14partition_implILS5_6ELb0ES3_mN6thrust23THRUST_200600_302600_NS6detail15normal_iteratorINSA_10device_ptrIdEEEEPS6_SG_NS0_5tupleIJSF_S6_EEENSH_IJSG_SG_EEES6_PlJNSB_9not_fun_tINSB_14equal_to_valueIdEEEEEEE10hipError_tPvRmT3_T4_T5_T6_T7_T9_mT8_P12ihipStream_tbDpT10_ENKUlT_T0_E_clISt17integral_constantIbLb1EES17_IbLb0EEEEDaS13_S14_EUlS13_E_NS1_11comp_targetILNS1_3genE10ELNS1_11target_archE1200ELNS1_3gpuE4ELNS1_3repE0EEENS1_30default_config_static_selectorELNS0_4arch9wavefront6targetE0EEEvT1_.has_recursion, 0
	.set _ZN7rocprim17ROCPRIM_400000_NS6detail17trampoline_kernelINS0_14default_configENS1_25partition_config_selectorILNS1_17partition_subalgoE6EdNS0_10empty_typeEbEEZZNS1_14partition_implILS5_6ELb0ES3_mN6thrust23THRUST_200600_302600_NS6detail15normal_iteratorINSA_10device_ptrIdEEEEPS6_SG_NS0_5tupleIJSF_S6_EEENSH_IJSG_SG_EEES6_PlJNSB_9not_fun_tINSB_14equal_to_valueIdEEEEEEE10hipError_tPvRmT3_T4_T5_T6_T7_T9_mT8_P12ihipStream_tbDpT10_ENKUlT_T0_E_clISt17integral_constantIbLb1EES17_IbLb0EEEEDaS13_S14_EUlS13_E_NS1_11comp_targetILNS1_3genE10ELNS1_11target_archE1200ELNS1_3gpuE4ELNS1_3repE0EEENS1_30default_config_static_selectorELNS0_4arch9wavefront6targetE0EEEvT1_.has_indirect_call, 0
	.section	.AMDGPU.csdata,"",@progbits
; Kernel info:
; codeLenInByte = 4
; TotalNumSgprs: 0
; NumVgprs: 0
; ScratchSize: 0
; MemoryBound: 0
; FloatMode: 240
; IeeeMode: 1
; LDSByteSize: 0 bytes/workgroup (compile time only)
; SGPRBlocks: 0
; VGPRBlocks: 0
; NumSGPRsForWavesPerEU: 1
; NumVGPRsForWavesPerEU: 1
; Occupancy: 16
; WaveLimiterHint : 0
; COMPUTE_PGM_RSRC2:SCRATCH_EN: 0
; COMPUTE_PGM_RSRC2:USER_SGPR: 2
; COMPUTE_PGM_RSRC2:TRAP_HANDLER: 0
; COMPUTE_PGM_RSRC2:TGID_X_EN: 1
; COMPUTE_PGM_RSRC2:TGID_Y_EN: 0
; COMPUTE_PGM_RSRC2:TGID_Z_EN: 0
; COMPUTE_PGM_RSRC2:TIDIG_COMP_CNT: 0
	.section	.text._ZN7rocprim17ROCPRIM_400000_NS6detail17trampoline_kernelINS0_14default_configENS1_25partition_config_selectorILNS1_17partition_subalgoE6EdNS0_10empty_typeEbEEZZNS1_14partition_implILS5_6ELb0ES3_mN6thrust23THRUST_200600_302600_NS6detail15normal_iteratorINSA_10device_ptrIdEEEEPS6_SG_NS0_5tupleIJSF_S6_EEENSH_IJSG_SG_EEES6_PlJNSB_9not_fun_tINSB_14equal_to_valueIdEEEEEEE10hipError_tPvRmT3_T4_T5_T6_T7_T9_mT8_P12ihipStream_tbDpT10_ENKUlT_T0_E_clISt17integral_constantIbLb1EES17_IbLb0EEEEDaS13_S14_EUlS13_E_NS1_11comp_targetILNS1_3genE9ELNS1_11target_archE1100ELNS1_3gpuE3ELNS1_3repE0EEENS1_30default_config_static_selectorELNS0_4arch9wavefront6targetE0EEEvT1_,"axG",@progbits,_ZN7rocprim17ROCPRIM_400000_NS6detail17trampoline_kernelINS0_14default_configENS1_25partition_config_selectorILNS1_17partition_subalgoE6EdNS0_10empty_typeEbEEZZNS1_14partition_implILS5_6ELb0ES3_mN6thrust23THRUST_200600_302600_NS6detail15normal_iteratorINSA_10device_ptrIdEEEEPS6_SG_NS0_5tupleIJSF_S6_EEENSH_IJSG_SG_EEES6_PlJNSB_9not_fun_tINSB_14equal_to_valueIdEEEEEEE10hipError_tPvRmT3_T4_T5_T6_T7_T9_mT8_P12ihipStream_tbDpT10_ENKUlT_T0_E_clISt17integral_constantIbLb1EES17_IbLb0EEEEDaS13_S14_EUlS13_E_NS1_11comp_targetILNS1_3genE9ELNS1_11target_archE1100ELNS1_3gpuE3ELNS1_3repE0EEENS1_30default_config_static_selectorELNS0_4arch9wavefront6targetE0EEEvT1_,comdat
	.protected	_ZN7rocprim17ROCPRIM_400000_NS6detail17trampoline_kernelINS0_14default_configENS1_25partition_config_selectorILNS1_17partition_subalgoE6EdNS0_10empty_typeEbEEZZNS1_14partition_implILS5_6ELb0ES3_mN6thrust23THRUST_200600_302600_NS6detail15normal_iteratorINSA_10device_ptrIdEEEEPS6_SG_NS0_5tupleIJSF_S6_EEENSH_IJSG_SG_EEES6_PlJNSB_9not_fun_tINSB_14equal_to_valueIdEEEEEEE10hipError_tPvRmT3_T4_T5_T6_T7_T9_mT8_P12ihipStream_tbDpT10_ENKUlT_T0_E_clISt17integral_constantIbLb1EES17_IbLb0EEEEDaS13_S14_EUlS13_E_NS1_11comp_targetILNS1_3genE9ELNS1_11target_archE1100ELNS1_3gpuE3ELNS1_3repE0EEENS1_30default_config_static_selectorELNS0_4arch9wavefront6targetE0EEEvT1_ ; -- Begin function _ZN7rocprim17ROCPRIM_400000_NS6detail17trampoline_kernelINS0_14default_configENS1_25partition_config_selectorILNS1_17partition_subalgoE6EdNS0_10empty_typeEbEEZZNS1_14partition_implILS5_6ELb0ES3_mN6thrust23THRUST_200600_302600_NS6detail15normal_iteratorINSA_10device_ptrIdEEEEPS6_SG_NS0_5tupleIJSF_S6_EEENSH_IJSG_SG_EEES6_PlJNSB_9not_fun_tINSB_14equal_to_valueIdEEEEEEE10hipError_tPvRmT3_T4_T5_T6_T7_T9_mT8_P12ihipStream_tbDpT10_ENKUlT_T0_E_clISt17integral_constantIbLb1EES17_IbLb0EEEEDaS13_S14_EUlS13_E_NS1_11comp_targetILNS1_3genE9ELNS1_11target_archE1100ELNS1_3gpuE3ELNS1_3repE0EEENS1_30default_config_static_selectorELNS0_4arch9wavefront6targetE0EEEvT1_
	.globl	_ZN7rocprim17ROCPRIM_400000_NS6detail17trampoline_kernelINS0_14default_configENS1_25partition_config_selectorILNS1_17partition_subalgoE6EdNS0_10empty_typeEbEEZZNS1_14partition_implILS5_6ELb0ES3_mN6thrust23THRUST_200600_302600_NS6detail15normal_iteratorINSA_10device_ptrIdEEEEPS6_SG_NS0_5tupleIJSF_S6_EEENSH_IJSG_SG_EEES6_PlJNSB_9not_fun_tINSB_14equal_to_valueIdEEEEEEE10hipError_tPvRmT3_T4_T5_T6_T7_T9_mT8_P12ihipStream_tbDpT10_ENKUlT_T0_E_clISt17integral_constantIbLb1EES17_IbLb0EEEEDaS13_S14_EUlS13_E_NS1_11comp_targetILNS1_3genE9ELNS1_11target_archE1100ELNS1_3gpuE3ELNS1_3repE0EEENS1_30default_config_static_selectorELNS0_4arch9wavefront6targetE0EEEvT1_
	.p2align	8
	.type	_ZN7rocprim17ROCPRIM_400000_NS6detail17trampoline_kernelINS0_14default_configENS1_25partition_config_selectorILNS1_17partition_subalgoE6EdNS0_10empty_typeEbEEZZNS1_14partition_implILS5_6ELb0ES3_mN6thrust23THRUST_200600_302600_NS6detail15normal_iteratorINSA_10device_ptrIdEEEEPS6_SG_NS0_5tupleIJSF_S6_EEENSH_IJSG_SG_EEES6_PlJNSB_9not_fun_tINSB_14equal_to_valueIdEEEEEEE10hipError_tPvRmT3_T4_T5_T6_T7_T9_mT8_P12ihipStream_tbDpT10_ENKUlT_T0_E_clISt17integral_constantIbLb1EES17_IbLb0EEEEDaS13_S14_EUlS13_E_NS1_11comp_targetILNS1_3genE9ELNS1_11target_archE1100ELNS1_3gpuE3ELNS1_3repE0EEENS1_30default_config_static_selectorELNS0_4arch9wavefront6targetE0EEEvT1_,@function
_ZN7rocprim17ROCPRIM_400000_NS6detail17trampoline_kernelINS0_14default_configENS1_25partition_config_selectorILNS1_17partition_subalgoE6EdNS0_10empty_typeEbEEZZNS1_14partition_implILS5_6ELb0ES3_mN6thrust23THRUST_200600_302600_NS6detail15normal_iteratorINSA_10device_ptrIdEEEEPS6_SG_NS0_5tupleIJSF_S6_EEENSH_IJSG_SG_EEES6_PlJNSB_9not_fun_tINSB_14equal_to_valueIdEEEEEEE10hipError_tPvRmT3_T4_T5_T6_T7_T9_mT8_P12ihipStream_tbDpT10_ENKUlT_T0_E_clISt17integral_constantIbLb1EES17_IbLb0EEEEDaS13_S14_EUlS13_E_NS1_11comp_targetILNS1_3genE9ELNS1_11target_archE1100ELNS1_3gpuE3ELNS1_3repE0EEENS1_30default_config_static_selectorELNS0_4arch9wavefront6targetE0EEEvT1_: ; @_ZN7rocprim17ROCPRIM_400000_NS6detail17trampoline_kernelINS0_14default_configENS1_25partition_config_selectorILNS1_17partition_subalgoE6EdNS0_10empty_typeEbEEZZNS1_14partition_implILS5_6ELb0ES3_mN6thrust23THRUST_200600_302600_NS6detail15normal_iteratorINSA_10device_ptrIdEEEEPS6_SG_NS0_5tupleIJSF_S6_EEENSH_IJSG_SG_EEES6_PlJNSB_9not_fun_tINSB_14equal_to_valueIdEEEEEEE10hipError_tPvRmT3_T4_T5_T6_T7_T9_mT8_P12ihipStream_tbDpT10_ENKUlT_T0_E_clISt17integral_constantIbLb1EES17_IbLb0EEEEDaS13_S14_EUlS13_E_NS1_11comp_targetILNS1_3genE9ELNS1_11target_archE1100ELNS1_3gpuE3ELNS1_3repE0EEENS1_30default_config_static_selectorELNS0_4arch9wavefront6targetE0EEEvT1_
; %bb.0:
	.section	.rodata,"a",@progbits
	.p2align	6, 0x0
	.amdhsa_kernel _ZN7rocprim17ROCPRIM_400000_NS6detail17trampoline_kernelINS0_14default_configENS1_25partition_config_selectorILNS1_17partition_subalgoE6EdNS0_10empty_typeEbEEZZNS1_14partition_implILS5_6ELb0ES3_mN6thrust23THRUST_200600_302600_NS6detail15normal_iteratorINSA_10device_ptrIdEEEEPS6_SG_NS0_5tupleIJSF_S6_EEENSH_IJSG_SG_EEES6_PlJNSB_9not_fun_tINSB_14equal_to_valueIdEEEEEEE10hipError_tPvRmT3_T4_T5_T6_T7_T9_mT8_P12ihipStream_tbDpT10_ENKUlT_T0_E_clISt17integral_constantIbLb1EES17_IbLb0EEEEDaS13_S14_EUlS13_E_NS1_11comp_targetILNS1_3genE9ELNS1_11target_archE1100ELNS1_3gpuE3ELNS1_3repE0EEENS1_30default_config_static_selectorELNS0_4arch9wavefront6targetE0EEEvT1_
		.amdhsa_group_segment_fixed_size 0
		.amdhsa_private_segment_fixed_size 0
		.amdhsa_kernarg_size 120
		.amdhsa_user_sgpr_count 2
		.amdhsa_user_sgpr_dispatch_ptr 0
		.amdhsa_user_sgpr_queue_ptr 0
		.amdhsa_user_sgpr_kernarg_segment_ptr 1
		.amdhsa_user_sgpr_dispatch_id 0
		.amdhsa_user_sgpr_private_segment_size 0
		.amdhsa_wavefront_size32 1
		.amdhsa_uses_dynamic_stack 0
		.amdhsa_enable_private_segment 0
		.amdhsa_system_sgpr_workgroup_id_x 1
		.amdhsa_system_sgpr_workgroup_id_y 0
		.amdhsa_system_sgpr_workgroup_id_z 0
		.amdhsa_system_sgpr_workgroup_info 0
		.amdhsa_system_vgpr_workitem_id 0
		.amdhsa_next_free_vgpr 1
		.amdhsa_next_free_sgpr 1
		.amdhsa_reserve_vcc 0
		.amdhsa_float_round_mode_32 0
		.amdhsa_float_round_mode_16_64 0
		.amdhsa_float_denorm_mode_32 3
		.amdhsa_float_denorm_mode_16_64 3
		.amdhsa_fp16_overflow 0
		.amdhsa_workgroup_processor_mode 1
		.amdhsa_memory_ordered 1
		.amdhsa_forward_progress 1
		.amdhsa_inst_pref_size 0
		.amdhsa_round_robin_scheduling 0
		.amdhsa_exception_fp_ieee_invalid_op 0
		.amdhsa_exception_fp_denorm_src 0
		.amdhsa_exception_fp_ieee_div_zero 0
		.amdhsa_exception_fp_ieee_overflow 0
		.amdhsa_exception_fp_ieee_underflow 0
		.amdhsa_exception_fp_ieee_inexact 0
		.amdhsa_exception_int_div_zero 0
	.end_amdhsa_kernel
	.section	.text._ZN7rocprim17ROCPRIM_400000_NS6detail17trampoline_kernelINS0_14default_configENS1_25partition_config_selectorILNS1_17partition_subalgoE6EdNS0_10empty_typeEbEEZZNS1_14partition_implILS5_6ELb0ES3_mN6thrust23THRUST_200600_302600_NS6detail15normal_iteratorINSA_10device_ptrIdEEEEPS6_SG_NS0_5tupleIJSF_S6_EEENSH_IJSG_SG_EEES6_PlJNSB_9not_fun_tINSB_14equal_to_valueIdEEEEEEE10hipError_tPvRmT3_T4_T5_T6_T7_T9_mT8_P12ihipStream_tbDpT10_ENKUlT_T0_E_clISt17integral_constantIbLb1EES17_IbLb0EEEEDaS13_S14_EUlS13_E_NS1_11comp_targetILNS1_3genE9ELNS1_11target_archE1100ELNS1_3gpuE3ELNS1_3repE0EEENS1_30default_config_static_selectorELNS0_4arch9wavefront6targetE0EEEvT1_,"axG",@progbits,_ZN7rocprim17ROCPRIM_400000_NS6detail17trampoline_kernelINS0_14default_configENS1_25partition_config_selectorILNS1_17partition_subalgoE6EdNS0_10empty_typeEbEEZZNS1_14partition_implILS5_6ELb0ES3_mN6thrust23THRUST_200600_302600_NS6detail15normal_iteratorINSA_10device_ptrIdEEEEPS6_SG_NS0_5tupleIJSF_S6_EEENSH_IJSG_SG_EEES6_PlJNSB_9not_fun_tINSB_14equal_to_valueIdEEEEEEE10hipError_tPvRmT3_T4_T5_T6_T7_T9_mT8_P12ihipStream_tbDpT10_ENKUlT_T0_E_clISt17integral_constantIbLb1EES17_IbLb0EEEEDaS13_S14_EUlS13_E_NS1_11comp_targetILNS1_3genE9ELNS1_11target_archE1100ELNS1_3gpuE3ELNS1_3repE0EEENS1_30default_config_static_selectorELNS0_4arch9wavefront6targetE0EEEvT1_,comdat
.Lfunc_end299:
	.size	_ZN7rocprim17ROCPRIM_400000_NS6detail17trampoline_kernelINS0_14default_configENS1_25partition_config_selectorILNS1_17partition_subalgoE6EdNS0_10empty_typeEbEEZZNS1_14partition_implILS5_6ELb0ES3_mN6thrust23THRUST_200600_302600_NS6detail15normal_iteratorINSA_10device_ptrIdEEEEPS6_SG_NS0_5tupleIJSF_S6_EEENSH_IJSG_SG_EEES6_PlJNSB_9not_fun_tINSB_14equal_to_valueIdEEEEEEE10hipError_tPvRmT3_T4_T5_T6_T7_T9_mT8_P12ihipStream_tbDpT10_ENKUlT_T0_E_clISt17integral_constantIbLb1EES17_IbLb0EEEEDaS13_S14_EUlS13_E_NS1_11comp_targetILNS1_3genE9ELNS1_11target_archE1100ELNS1_3gpuE3ELNS1_3repE0EEENS1_30default_config_static_selectorELNS0_4arch9wavefront6targetE0EEEvT1_, .Lfunc_end299-_ZN7rocprim17ROCPRIM_400000_NS6detail17trampoline_kernelINS0_14default_configENS1_25partition_config_selectorILNS1_17partition_subalgoE6EdNS0_10empty_typeEbEEZZNS1_14partition_implILS5_6ELb0ES3_mN6thrust23THRUST_200600_302600_NS6detail15normal_iteratorINSA_10device_ptrIdEEEEPS6_SG_NS0_5tupleIJSF_S6_EEENSH_IJSG_SG_EEES6_PlJNSB_9not_fun_tINSB_14equal_to_valueIdEEEEEEE10hipError_tPvRmT3_T4_T5_T6_T7_T9_mT8_P12ihipStream_tbDpT10_ENKUlT_T0_E_clISt17integral_constantIbLb1EES17_IbLb0EEEEDaS13_S14_EUlS13_E_NS1_11comp_targetILNS1_3genE9ELNS1_11target_archE1100ELNS1_3gpuE3ELNS1_3repE0EEENS1_30default_config_static_selectorELNS0_4arch9wavefront6targetE0EEEvT1_
                                        ; -- End function
	.set _ZN7rocprim17ROCPRIM_400000_NS6detail17trampoline_kernelINS0_14default_configENS1_25partition_config_selectorILNS1_17partition_subalgoE6EdNS0_10empty_typeEbEEZZNS1_14partition_implILS5_6ELb0ES3_mN6thrust23THRUST_200600_302600_NS6detail15normal_iteratorINSA_10device_ptrIdEEEEPS6_SG_NS0_5tupleIJSF_S6_EEENSH_IJSG_SG_EEES6_PlJNSB_9not_fun_tINSB_14equal_to_valueIdEEEEEEE10hipError_tPvRmT3_T4_T5_T6_T7_T9_mT8_P12ihipStream_tbDpT10_ENKUlT_T0_E_clISt17integral_constantIbLb1EES17_IbLb0EEEEDaS13_S14_EUlS13_E_NS1_11comp_targetILNS1_3genE9ELNS1_11target_archE1100ELNS1_3gpuE3ELNS1_3repE0EEENS1_30default_config_static_selectorELNS0_4arch9wavefront6targetE0EEEvT1_.num_vgpr, 0
	.set _ZN7rocprim17ROCPRIM_400000_NS6detail17trampoline_kernelINS0_14default_configENS1_25partition_config_selectorILNS1_17partition_subalgoE6EdNS0_10empty_typeEbEEZZNS1_14partition_implILS5_6ELb0ES3_mN6thrust23THRUST_200600_302600_NS6detail15normal_iteratorINSA_10device_ptrIdEEEEPS6_SG_NS0_5tupleIJSF_S6_EEENSH_IJSG_SG_EEES6_PlJNSB_9not_fun_tINSB_14equal_to_valueIdEEEEEEE10hipError_tPvRmT3_T4_T5_T6_T7_T9_mT8_P12ihipStream_tbDpT10_ENKUlT_T0_E_clISt17integral_constantIbLb1EES17_IbLb0EEEEDaS13_S14_EUlS13_E_NS1_11comp_targetILNS1_3genE9ELNS1_11target_archE1100ELNS1_3gpuE3ELNS1_3repE0EEENS1_30default_config_static_selectorELNS0_4arch9wavefront6targetE0EEEvT1_.num_agpr, 0
	.set _ZN7rocprim17ROCPRIM_400000_NS6detail17trampoline_kernelINS0_14default_configENS1_25partition_config_selectorILNS1_17partition_subalgoE6EdNS0_10empty_typeEbEEZZNS1_14partition_implILS5_6ELb0ES3_mN6thrust23THRUST_200600_302600_NS6detail15normal_iteratorINSA_10device_ptrIdEEEEPS6_SG_NS0_5tupleIJSF_S6_EEENSH_IJSG_SG_EEES6_PlJNSB_9not_fun_tINSB_14equal_to_valueIdEEEEEEE10hipError_tPvRmT3_T4_T5_T6_T7_T9_mT8_P12ihipStream_tbDpT10_ENKUlT_T0_E_clISt17integral_constantIbLb1EES17_IbLb0EEEEDaS13_S14_EUlS13_E_NS1_11comp_targetILNS1_3genE9ELNS1_11target_archE1100ELNS1_3gpuE3ELNS1_3repE0EEENS1_30default_config_static_selectorELNS0_4arch9wavefront6targetE0EEEvT1_.numbered_sgpr, 0
	.set _ZN7rocprim17ROCPRIM_400000_NS6detail17trampoline_kernelINS0_14default_configENS1_25partition_config_selectorILNS1_17partition_subalgoE6EdNS0_10empty_typeEbEEZZNS1_14partition_implILS5_6ELb0ES3_mN6thrust23THRUST_200600_302600_NS6detail15normal_iteratorINSA_10device_ptrIdEEEEPS6_SG_NS0_5tupleIJSF_S6_EEENSH_IJSG_SG_EEES6_PlJNSB_9not_fun_tINSB_14equal_to_valueIdEEEEEEE10hipError_tPvRmT3_T4_T5_T6_T7_T9_mT8_P12ihipStream_tbDpT10_ENKUlT_T0_E_clISt17integral_constantIbLb1EES17_IbLb0EEEEDaS13_S14_EUlS13_E_NS1_11comp_targetILNS1_3genE9ELNS1_11target_archE1100ELNS1_3gpuE3ELNS1_3repE0EEENS1_30default_config_static_selectorELNS0_4arch9wavefront6targetE0EEEvT1_.num_named_barrier, 0
	.set _ZN7rocprim17ROCPRIM_400000_NS6detail17trampoline_kernelINS0_14default_configENS1_25partition_config_selectorILNS1_17partition_subalgoE6EdNS0_10empty_typeEbEEZZNS1_14partition_implILS5_6ELb0ES3_mN6thrust23THRUST_200600_302600_NS6detail15normal_iteratorINSA_10device_ptrIdEEEEPS6_SG_NS0_5tupleIJSF_S6_EEENSH_IJSG_SG_EEES6_PlJNSB_9not_fun_tINSB_14equal_to_valueIdEEEEEEE10hipError_tPvRmT3_T4_T5_T6_T7_T9_mT8_P12ihipStream_tbDpT10_ENKUlT_T0_E_clISt17integral_constantIbLb1EES17_IbLb0EEEEDaS13_S14_EUlS13_E_NS1_11comp_targetILNS1_3genE9ELNS1_11target_archE1100ELNS1_3gpuE3ELNS1_3repE0EEENS1_30default_config_static_selectorELNS0_4arch9wavefront6targetE0EEEvT1_.private_seg_size, 0
	.set _ZN7rocprim17ROCPRIM_400000_NS6detail17trampoline_kernelINS0_14default_configENS1_25partition_config_selectorILNS1_17partition_subalgoE6EdNS0_10empty_typeEbEEZZNS1_14partition_implILS5_6ELb0ES3_mN6thrust23THRUST_200600_302600_NS6detail15normal_iteratorINSA_10device_ptrIdEEEEPS6_SG_NS0_5tupleIJSF_S6_EEENSH_IJSG_SG_EEES6_PlJNSB_9not_fun_tINSB_14equal_to_valueIdEEEEEEE10hipError_tPvRmT3_T4_T5_T6_T7_T9_mT8_P12ihipStream_tbDpT10_ENKUlT_T0_E_clISt17integral_constantIbLb1EES17_IbLb0EEEEDaS13_S14_EUlS13_E_NS1_11comp_targetILNS1_3genE9ELNS1_11target_archE1100ELNS1_3gpuE3ELNS1_3repE0EEENS1_30default_config_static_selectorELNS0_4arch9wavefront6targetE0EEEvT1_.uses_vcc, 0
	.set _ZN7rocprim17ROCPRIM_400000_NS6detail17trampoline_kernelINS0_14default_configENS1_25partition_config_selectorILNS1_17partition_subalgoE6EdNS0_10empty_typeEbEEZZNS1_14partition_implILS5_6ELb0ES3_mN6thrust23THRUST_200600_302600_NS6detail15normal_iteratorINSA_10device_ptrIdEEEEPS6_SG_NS0_5tupleIJSF_S6_EEENSH_IJSG_SG_EEES6_PlJNSB_9not_fun_tINSB_14equal_to_valueIdEEEEEEE10hipError_tPvRmT3_T4_T5_T6_T7_T9_mT8_P12ihipStream_tbDpT10_ENKUlT_T0_E_clISt17integral_constantIbLb1EES17_IbLb0EEEEDaS13_S14_EUlS13_E_NS1_11comp_targetILNS1_3genE9ELNS1_11target_archE1100ELNS1_3gpuE3ELNS1_3repE0EEENS1_30default_config_static_selectorELNS0_4arch9wavefront6targetE0EEEvT1_.uses_flat_scratch, 0
	.set _ZN7rocprim17ROCPRIM_400000_NS6detail17trampoline_kernelINS0_14default_configENS1_25partition_config_selectorILNS1_17partition_subalgoE6EdNS0_10empty_typeEbEEZZNS1_14partition_implILS5_6ELb0ES3_mN6thrust23THRUST_200600_302600_NS6detail15normal_iteratorINSA_10device_ptrIdEEEEPS6_SG_NS0_5tupleIJSF_S6_EEENSH_IJSG_SG_EEES6_PlJNSB_9not_fun_tINSB_14equal_to_valueIdEEEEEEE10hipError_tPvRmT3_T4_T5_T6_T7_T9_mT8_P12ihipStream_tbDpT10_ENKUlT_T0_E_clISt17integral_constantIbLb1EES17_IbLb0EEEEDaS13_S14_EUlS13_E_NS1_11comp_targetILNS1_3genE9ELNS1_11target_archE1100ELNS1_3gpuE3ELNS1_3repE0EEENS1_30default_config_static_selectorELNS0_4arch9wavefront6targetE0EEEvT1_.has_dyn_sized_stack, 0
	.set _ZN7rocprim17ROCPRIM_400000_NS6detail17trampoline_kernelINS0_14default_configENS1_25partition_config_selectorILNS1_17partition_subalgoE6EdNS0_10empty_typeEbEEZZNS1_14partition_implILS5_6ELb0ES3_mN6thrust23THRUST_200600_302600_NS6detail15normal_iteratorINSA_10device_ptrIdEEEEPS6_SG_NS0_5tupleIJSF_S6_EEENSH_IJSG_SG_EEES6_PlJNSB_9not_fun_tINSB_14equal_to_valueIdEEEEEEE10hipError_tPvRmT3_T4_T5_T6_T7_T9_mT8_P12ihipStream_tbDpT10_ENKUlT_T0_E_clISt17integral_constantIbLb1EES17_IbLb0EEEEDaS13_S14_EUlS13_E_NS1_11comp_targetILNS1_3genE9ELNS1_11target_archE1100ELNS1_3gpuE3ELNS1_3repE0EEENS1_30default_config_static_selectorELNS0_4arch9wavefront6targetE0EEEvT1_.has_recursion, 0
	.set _ZN7rocprim17ROCPRIM_400000_NS6detail17trampoline_kernelINS0_14default_configENS1_25partition_config_selectorILNS1_17partition_subalgoE6EdNS0_10empty_typeEbEEZZNS1_14partition_implILS5_6ELb0ES3_mN6thrust23THRUST_200600_302600_NS6detail15normal_iteratorINSA_10device_ptrIdEEEEPS6_SG_NS0_5tupleIJSF_S6_EEENSH_IJSG_SG_EEES6_PlJNSB_9not_fun_tINSB_14equal_to_valueIdEEEEEEE10hipError_tPvRmT3_T4_T5_T6_T7_T9_mT8_P12ihipStream_tbDpT10_ENKUlT_T0_E_clISt17integral_constantIbLb1EES17_IbLb0EEEEDaS13_S14_EUlS13_E_NS1_11comp_targetILNS1_3genE9ELNS1_11target_archE1100ELNS1_3gpuE3ELNS1_3repE0EEENS1_30default_config_static_selectorELNS0_4arch9wavefront6targetE0EEEvT1_.has_indirect_call, 0
	.section	.AMDGPU.csdata,"",@progbits
; Kernel info:
; codeLenInByte = 0
; TotalNumSgprs: 0
; NumVgprs: 0
; ScratchSize: 0
; MemoryBound: 0
; FloatMode: 240
; IeeeMode: 1
; LDSByteSize: 0 bytes/workgroup (compile time only)
; SGPRBlocks: 0
; VGPRBlocks: 0
; NumSGPRsForWavesPerEU: 1
; NumVGPRsForWavesPerEU: 1
; Occupancy: 16
; WaveLimiterHint : 0
; COMPUTE_PGM_RSRC2:SCRATCH_EN: 0
; COMPUTE_PGM_RSRC2:USER_SGPR: 2
; COMPUTE_PGM_RSRC2:TRAP_HANDLER: 0
; COMPUTE_PGM_RSRC2:TGID_X_EN: 1
; COMPUTE_PGM_RSRC2:TGID_Y_EN: 0
; COMPUTE_PGM_RSRC2:TGID_Z_EN: 0
; COMPUTE_PGM_RSRC2:TIDIG_COMP_CNT: 0
	.section	.text._ZN7rocprim17ROCPRIM_400000_NS6detail17trampoline_kernelINS0_14default_configENS1_25partition_config_selectorILNS1_17partition_subalgoE6EdNS0_10empty_typeEbEEZZNS1_14partition_implILS5_6ELb0ES3_mN6thrust23THRUST_200600_302600_NS6detail15normal_iteratorINSA_10device_ptrIdEEEEPS6_SG_NS0_5tupleIJSF_S6_EEENSH_IJSG_SG_EEES6_PlJNSB_9not_fun_tINSB_14equal_to_valueIdEEEEEEE10hipError_tPvRmT3_T4_T5_T6_T7_T9_mT8_P12ihipStream_tbDpT10_ENKUlT_T0_E_clISt17integral_constantIbLb1EES17_IbLb0EEEEDaS13_S14_EUlS13_E_NS1_11comp_targetILNS1_3genE8ELNS1_11target_archE1030ELNS1_3gpuE2ELNS1_3repE0EEENS1_30default_config_static_selectorELNS0_4arch9wavefront6targetE0EEEvT1_,"axG",@progbits,_ZN7rocprim17ROCPRIM_400000_NS6detail17trampoline_kernelINS0_14default_configENS1_25partition_config_selectorILNS1_17partition_subalgoE6EdNS0_10empty_typeEbEEZZNS1_14partition_implILS5_6ELb0ES3_mN6thrust23THRUST_200600_302600_NS6detail15normal_iteratorINSA_10device_ptrIdEEEEPS6_SG_NS0_5tupleIJSF_S6_EEENSH_IJSG_SG_EEES6_PlJNSB_9not_fun_tINSB_14equal_to_valueIdEEEEEEE10hipError_tPvRmT3_T4_T5_T6_T7_T9_mT8_P12ihipStream_tbDpT10_ENKUlT_T0_E_clISt17integral_constantIbLb1EES17_IbLb0EEEEDaS13_S14_EUlS13_E_NS1_11comp_targetILNS1_3genE8ELNS1_11target_archE1030ELNS1_3gpuE2ELNS1_3repE0EEENS1_30default_config_static_selectorELNS0_4arch9wavefront6targetE0EEEvT1_,comdat
	.protected	_ZN7rocprim17ROCPRIM_400000_NS6detail17trampoline_kernelINS0_14default_configENS1_25partition_config_selectorILNS1_17partition_subalgoE6EdNS0_10empty_typeEbEEZZNS1_14partition_implILS5_6ELb0ES3_mN6thrust23THRUST_200600_302600_NS6detail15normal_iteratorINSA_10device_ptrIdEEEEPS6_SG_NS0_5tupleIJSF_S6_EEENSH_IJSG_SG_EEES6_PlJNSB_9not_fun_tINSB_14equal_to_valueIdEEEEEEE10hipError_tPvRmT3_T4_T5_T6_T7_T9_mT8_P12ihipStream_tbDpT10_ENKUlT_T0_E_clISt17integral_constantIbLb1EES17_IbLb0EEEEDaS13_S14_EUlS13_E_NS1_11comp_targetILNS1_3genE8ELNS1_11target_archE1030ELNS1_3gpuE2ELNS1_3repE0EEENS1_30default_config_static_selectorELNS0_4arch9wavefront6targetE0EEEvT1_ ; -- Begin function _ZN7rocprim17ROCPRIM_400000_NS6detail17trampoline_kernelINS0_14default_configENS1_25partition_config_selectorILNS1_17partition_subalgoE6EdNS0_10empty_typeEbEEZZNS1_14partition_implILS5_6ELb0ES3_mN6thrust23THRUST_200600_302600_NS6detail15normal_iteratorINSA_10device_ptrIdEEEEPS6_SG_NS0_5tupleIJSF_S6_EEENSH_IJSG_SG_EEES6_PlJNSB_9not_fun_tINSB_14equal_to_valueIdEEEEEEE10hipError_tPvRmT3_T4_T5_T6_T7_T9_mT8_P12ihipStream_tbDpT10_ENKUlT_T0_E_clISt17integral_constantIbLb1EES17_IbLb0EEEEDaS13_S14_EUlS13_E_NS1_11comp_targetILNS1_3genE8ELNS1_11target_archE1030ELNS1_3gpuE2ELNS1_3repE0EEENS1_30default_config_static_selectorELNS0_4arch9wavefront6targetE0EEEvT1_
	.globl	_ZN7rocprim17ROCPRIM_400000_NS6detail17trampoline_kernelINS0_14default_configENS1_25partition_config_selectorILNS1_17partition_subalgoE6EdNS0_10empty_typeEbEEZZNS1_14partition_implILS5_6ELb0ES3_mN6thrust23THRUST_200600_302600_NS6detail15normal_iteratorINSA_10device_ptrIdEEEEPS6_SG_NS0_5tupleIJSF_S6_EEENSH_IJSG_SG_EEES6_PlJNSB_9not_fun_tINSB_14equal_to_valueIdEEEEEEE10hipError_tPvRmT3_T4_T5_T6_T7_T9_mT8_P12ihipStream_tbDpT10_ENKUlT_T0_E_clISt17integral_constantIbLb1EES17_IbLb0EEEEDaS13_S14_EUlS13_E_NS1_11comp_targetILNS1_3genE8ELNS1_11target_archE1030ELNS1_3gpuE2ELNS1_3repE0EEENS1_30default_config_static_selectorELNS0_4arch9wavefront6targetE0EEEvT1_
	.p2align	8
	.type	_ZN7rocprim17ROCPRIM_400000_NS6detail17trampoline_kernelINS0_14default_configENS1_25partition_config_selectorILNS1_17partition_subalgoE6EdNS0_10empty_typeEbEEZZNS1_14partition_implILS5_6ELb0ES3_mN6thrust23THRUST_200600_302600_NS6detail15normal_iteratorINSA_10device_ptrIdEEEEPS6_SG_NS0_5tupleIJSF_S6_EEENSH_IJSG_SG_EEES6_PlJNSB_9not_fun_tINSB_14equal_to_valueIdEEEEEEE10hipError_tPvRmT3_T4_T5_T6_T7_T9_mT8_P12ihipStream_tbDpT10_ENKUlT_T0_E_clISt17integral_constantIbLb1EES17_IbLb0EEEEDaS13_S14_EUlS13_E_NS1_11comp_targetILNS1_3genE8ELNS1_11target_archE1030ELNS1_3gpuE2ELNS1_3repE0EEENS1_30default_config_static_selectorELNS0_4arch9wavefront6targetE0EEEvT1_,@function
_ZN7rocprim17ROCPRIM_400000_NS6detail17trampoline_kernelINS0_14default_configENS1_25partition_config_selectorILNS1_17partition_subalgoE6EdNS0_10empty_typeEbEEZZNS1_14partition_implILS5_6ELb0ES3_mN6thrust23THRUST_200600_302600_NS6detail15normal_iteratorINSA_10device_ptrIdEEEEPS6_SG_NS0_5tupleIJSF_S6_EEENSH_IJSG_SG_EEES6_PlJNSB_9not_fun_tINSB_14equal_to_valueIdEEEEEEE10hipError_tPvRmT3_T4_T5_T6_T7_T9_mT8_P12ihipStream_tbDpT10_ENKUlT_T0_E_clISt17integral_constantIbLb1EES17_IbLb0EEEEDaS13_S14_EUlS13_E_NS1_11comp_targetILNS1_3genE8ELNS1_11target_archE1030ELNS1_3gpuE2ELNS1_3repE0EEENS1_30default_config_static_selectorELNS0_4arch9wavefront6targetE0EEEvT1_: ; @_ZN7rocprim17ROCPRIM_400000_NS6detail17trampoline_kernelINS0_14default_configENS1_25partition_config_selectorILNS1_17partition_subalgoE6EdNS0_10empty_typeEbEEZZNS1_14partition_implILS5_6ELb0ES3_mN6thrust23THRUST_200600_302600_NS6detail15normal_iteratorINSA_10device_ptrIdEEEEPS6_SG_NS0_5tupleIJSF_S6_EEENSH_IJSG_SG_EEES6_PlJNSB_9not_fun_tINSB_14equal_to_valueIdEEEEEEE10hipError_tPvRmT3_T4_T5_T6_T7_T9_mT8_P12ihipStream_tbDpT10_ENKUlT_T0_E_clISt17integral_constantIbLb1EES17_IbLb0EEEEDaS13_S14_EUlS13_E_NS1_11comp_targetILNS1_3genE8ELNS1_11target_archE1030ELNS1_3gpuE2ELNS1_3repE0EEENS1_30default_config_static_selectorELNS0_4arch9wavefront6targetE0EEEvT1_
; %bb.0:
	.section	.rodata,"a",@progbits
	.p2align	6, 0x0
	.amdhsa_kernel _ZN7rocprim17ROCPRIM_400000_NS6detail17trampoline_kernelINS0_14default_configENS1_25partition_config_selectorILNS1_17partition_subalgoE6EdNS0_10empty_typeEbEEZZNS1_14partition_implILS5_6ELb0ES3_mN6thrust23THRUST_200600_302600_NS6detail15normal_iteratorINSA_10device_ptrIdEEEEPS6_SG_NS0_5tupleIJSF_S6_EEENSH_IJSG_SG_EEES6_PlJNSB_9not_fun_tINSB_14equal_to_valueIdEEEEEEE10hipError_tPvRmT3_T4_T5_T6_T7_T9_mT8_P12ihipStream_tbDpT10_ENKUlT_T0_E_clISt17integral_constantIbLb1EES17_IbLb0EEEEDaS13_S14_EUlS13_E_NS1_11comp_targetILNS1_3genE8ELNS1_11target_archE1030ELNS1_3gpuE2ELNS1_3repE0EEENS1_30default_config_static_selectorELNS0_4arch9wavefront6targetE0EEEvT1_
		.amdhsa_group_segment_fixed_size 0
		.amdhsa_private_segment_fixed_size 0
		.amdhsa_kernarg_size 120
		.amdhsa_user_sgpr_count 2
		.amdhsa_user_sgpr_dispatch_ptr 0
		.amdhsa_user_sgpr_queue_ptr 0
		.amdhsa_user_sgpr_kernarg_segment_ptr 1
		.amdhsa_user_sgpr_dispatch_id 0
		.amdhsa_user_sgpr_private_segment_size 0
		.amdhsa_wavefront_size32 1
		.amdhsa_uses_dynamic_stack 0
		.amdhsa_enable_private_segment 0
		.amdhsa_system_sgpr_workgroup_id_x 1
		.amdhsa_system_sgpr_workgroup_id_y 0
		.amdhsa_system_sgpr_workgroup_id_z 0
		.amdhsa_system_sgpr_workgroup_info 0
		.amdhsa_system_vgpr_workitem_id 0
		.amdhsa_next_free_vgpr 1
		.amdhsa_next_free_sgpr 1
		.amdhsa_reserve_vcc 0
		.amdhsa_float_round_mode_32 0
		.amdhsa_float_round_mode_16_64 0
		.amdhsa_float_denorm_mode_32 3
		.amdhsa_float_denorm_mode_16_64 3
		.amdhsa_fp16_overflow 0
		.amdhsa_workgroup_processor_mode 1
		.amdhsa_memory_ordered 1
		.amdhsa_forward_progress 1
		.amdhsa_inst_pref_size 0
		.amdhsa_round_robin_scheduling 0
		.amdhsa_exception_fp_ieee_invalid_op 0
		.amdhsa_exception_fp_denorm_src 0
		.amdhsa_exception_fp_ieee_div_zero 0
		.amdhsa_exception_fp_ieee_overflow 0
		.amdhsa_exception_fp_ieee_underflow 0
		.amdhsa_exception_fp_ieee_inexact 0
		.amdhsa_exception_int_div_zero 0
	.end_amdhsa_kernel
	.section	.text._ZN7rocprim17ROCPRIM_400000_NS6detail17trampoline_kernelINS0_14default_configENS1_25partition_config_selectorILNS1_17partition_subalgoE6EdNS0_10empty_typeEbEEZZNS1_14partition_implILS5_6ELb0ES3_mN6thrust23THRUST_200600_302600_NS6detail15normal_iteratorINSA_10device_ptrIdEEEEPS6_SG_NS0_5tupleIJSF_S6_EEENSH_IJSG_SG_EEES6_PlJNSB_9not_fun_tINSB_14equal_to_valueIdEEEEEEE10hipError_tPvRmT3_T4_T5_T6_T7_T9_mT8_P12ihipStream_tbDpT10_ENKUlT_T0_E_clISt17integral_constantIbLb1EES17_IbLb0EEEEDaS13_S14_EUlS13_E_NS1_11comp_targetILNS1_3genE8ELNS1_11target_archE1030ELNS1_3gpuE2ELNS1_3repE0EEENS1_30default_config_static_selectorELNS0_4arch9wavefront6targetE0EEEvT1_,"axG",@progbits,_ZN7rocprim17ROCPRIM_400000_NS6detail17trampoline_kernelINS0_14default_configENS1_25partition_config_selectorILNS1_17partition_subalgoE6EdNS0_10empty_typeEbEEZZNS1_14partition_implILS5_6ELb0ES3_mN6thrust23THRUST_200600_302600_NS6detail15normal_iteratorINSA_10device_ptrIdEEEEPS6_SG_NS0_5tupleIJSF_S6_EEENSH_IJSG_SG_EEES6_PlJNSB_9not_fun_tINSB_14equal_to_valueIdEEEEEEE10hipError_tPvRmT3_T4_T5_T6_T7_T9_mT8_P12ihipStream_tbDpT10_ENKUlT_T0_E_clISt17integral_constantIbLb1EES17_IbLb0EEEEDaS13_S14_EUlS13_E_NS1_11comp_targetILNS1_3genE8ELNS1_11target_archE1030ELNS1_3gpuE2ELNS1_3repE0EEENS1_30default_config_static_selectorELNS0_4arch9wavefront6targetE0EEEvT1_,comdat
.Lfunc_end300:
	.size	_ZN7rocprim17ROCPRIM_400000_NS6detail17trampoline_kernelINS0_14default_configENS1_25partition_config_selectorILNS1_17partition_subalgoE6EdNS0_10empty_typeEbEEZZNS1_14partition_implILS5_6ELb0ES3_mN6thrust23THRUST_200600_302600_NS6detail15normal_iteratorINSA_10device_ptrIdEEEEPS6_SG_NS0_5tupleIJSF_S6_EEENSH_IJSG_SG_EEES6_PlJNSB_9not_fun_tINSB_14equal_to_valueIdEEEEEEE10hipError_tPvRmT3_T4_T5_T6_T7_T9_mT8_P12ihipStream_tbDpT10_ENKUlT_T0_E_clISt17integral_constantIbLb1EES17_IbLb0EEEEDaS13_S14_EUlS13_E_NS1_11comp_targetILNS1_3genE8ELNS1_11target_archE1030ELNS1_3gpuE2ELNS1_3repE0EEENS1_30default_config_static_selectorELNS0_4arch9wavefront6targetE0EEEvT1_, .Lfunc_end300-_ZN7rocprim17ROCPRIM_400000_NS6detail17trampoline_kernelINS0_14default_configENS1_25partition_config_selectorILNS1_17partition_subalgoE6EdNS0_10empty_typeEbEEZZNS1_14partition_implILS5_6ELb0ES3_mN6thrust23THRUST_200600_302600_NS6detail15normal_iteratorINSA_10device_ptrIdEEEEPS6_SG_NS0_5tupleIJSF_S6_EEENSH_IJSG_SG_EEES6_PlJNSB_9not_fun_tINSB_14equal_to_valueIdEEEEEEE10hipError_tPvRmT3_T4_T5_T6_T7_T9_mT8_P12ihipStream_tbDpT10_ENKUlT_T0_E_clISt17integral_constantIbLb1EES17_IbLb0EEEEDaS13_S14_EUlS13_E_NS1_11comp_targetILNS1_3genE8ELNS1_11target_archE1030ELNS1_3gpuE2ELNS1_3repE0EEENS1_30default_config_static_selectorELNS0_4arch9wavefront6targetE0EEEvT1_
                                        ; -- End function
	.set _ZN7rocprim17ROCPRIM_400000_NS6detail17trampoline_kernelINS0_14default_configENS1_25partition_config_selectorILNS1_17partition_subalgoE6EdNS0_10empty_typeEbEEZZNS1_14partition_implILS5_6ELb0ES3_mN6thrust23THRUST_200600_302600_NS6detail15normal_iteratorINSA_10device_ptrIdEEEEPS6_SG_NS0_5tupleIJSF_S6_EEENSH_IJSG_SG_EEES6_PlJNSB_9not_fun_tINSB_14equal_to_valueIdEEEEEEE10hipError_tPvRmT3_T4_T5_T6_T7_T9_mT8_P12ihipStream_tbDpT10_ENKUlT_T0_E_clISt17integral_constantIbLb1EES17_IbLb0EEEEDaS13_S14_EUlS13_E_NS1_11comp_targetILNS1_3genE8ELNS1_11target_archE1030ELNS1_3gpuE2ELNS1_3repE0EEENS1_30default_config_static_selectorELNS0_4arch9wavefront6targetE0EEEvT1_.num_vgpr, 0
	.set _ZN7rocprim17ROCPRIM_400000_NS6detail17trampoline_kernelINS0_14default_configENS1_25partition_config_selectorILNS1_17partition_subalgoE6EdNS0_10empty_typeEbEEZZNS1_14partition_implILS5_6ELb0ES3_mN6thrust23THRUST_200600_302600_NS6detail15normal_iteratorINSA_10device_ptrIdEEEEPS6_SG_NS0_5tupleIJSF_S6_EEENSH_IJSG_SG_EEES6_PlJNSB_9not_fun_tINSB_14equal_to_valueIdEEEEEEE10hipError_tPvRmT3_T4_T5_T6_T7_T9_mT8_P12ihipStream_tbDpT10_ENKUlT_T0_E_clISt17integral_constantIbLb1EES17_IbLb0EEEEDaS13_S14_EUlS13_E_NS1_11comp_targetILNS1_3genE8ELNS1_11target_archE1030ELNS1_3gpuE2ELNS1_3repE0EEENS1_30default_config_static_selectorELNS0_4arch9wavefront6targetE0EEEvT1_.num_agpr, 0
	.set _ZN7rocprim17ROCPRIM_400000_NS6detail17trampoline_kernelINS0_14default_configENS1_25partition_config_selectorILNS1_17partition_subalgoE6EdNS0_10empty_typeEbEEZZNS1_14partition_implILS5_6ELb0ES3_mN6thrust23THRUST_200600_302600_NS6detail15normal_iteratorINSA_10device_ptrIdEEEEPS6_SG_NS0_5tupleIJSF_S6_EEENSH_IJSG_SG_EEES6_PlJNSB_9not_fun_tINSB_14equal_to_valueIdEEEEEEE10hipError_tPvRmT3_T4_T5_T6_T7_T9_mT8_P12ihipStream_tbDpT10_ENKUlT_T0_E_clISt17integral_constantIbLb1EES17_IbLb0EEEEDaS13_S14_EUlS13_E_NS1_11comp_targetILNS1_3genE8ELNS1_11target_archE1030ELNS1_3gpuE2ELNS1_3repE0EEENS1_30default_config_static_selectorELNS0_4arch9wavefront6targetE0EEEvT1_.numbered_sgpr, 0
	.set _ZN7rocprim17ROCPRIM_400000_NS6detail17trampoline_kernelINS0_14default_configENS1_25partition_config_selectorILNS1_17partition_subalgoE6EdNS0_10empty_typeEbEEZZNS1_14partition_implILS5_6ELb0ES3_mN6thrust23THRUST_200600_302600_NS6detail15normal_iteratorINSA_10device_ptrIdEEEEPS6_SG_NS0_5tupleIJSF_S6_EEENSH_IJSG_SG_EEES6_PlJNSB_9not_fun_tINSB_14equal_to_valueIdEEEEEEE10hipError_tPvRmT3_T4_T5_T6_T7_T9_mT8_P12ihipStream_tbDpT10_ENKUlT_T0_E_clISt17integral_constantIbLb1EES17_IbLb0EEEEDaS13_S14_EUlS13_E_NS1_11comp_targetILNS1_3genE8ELNS1_11target_archE1030ELNS1_3gpuE2ELNS1_3repE0EEENS1_30default_config_static_selectorELNS0_4arch9wavefront6targetE0EEEvT1_.num_named_barrier, 0
	.set _ZN7rocprim17ROCPRIM_400000_NS6detail17trampoline_kernelINS0_14default_configENS1_25partition_config_selectorILNS1_17partition_subalgoE6EdNS0_10empty_typeEbEEZZNS1_14partition_implILS5_6ELb0ES3_mN6thrust23THRUST_200600_302600_NS6detail15normal_iteratorINSA_10device_ptrIdEEEEPS6_SG_NS0_5tupleIJSF_S6_EEENSH_IJSG_SG_EEES6_PlJNSB_9not_fun_tINSB_14equal_to_valueIdEEEEEEE10hipError_tPvRmT3_T4_T5_T6_T7_T9_mT8_P12ihipStream_tbDpT10_ENKUlT_T0_E_clISt17integral_constantIbLb1EES17_IbLb0EEEEDaS13_S14_EUlS13_E_NS1_11comp_targetILNS1_3genE8ELNS1_11target_archE1030ELNS1_3gpuE2ELNS1_3repE0EEENS1_30default_config_static_selectorELNS0_4arch9wavefront6targetE0EEEvT1_.private_seg_size, 0
	.set _ZN7rocprim17ROCPRIM_400000_NS6detail17trampoline_kernelINS0_14default_configENS1_25partition_config_selectorILNS1_17partition_subalgoE6EdNS0_10empty_typeEbEEZZNS1_14partition_implILS5_6ELb0ES3_mN6thrust23THRUST_200600_302600_NS6detail15normal_iteratorINSA_10device_ptrIdEEEEPS6_SG_NS0_5tupleIJSF_S6_EEENSH_IJSG_SG_EEES6_PlJNSB_9not_fun_tINSB_14equal_to_valueIdEEEEEEE10hipError_tPvRmT3_T4_T5_T6_T7_T9_mT8_P12ihipStream_tbDpT10_ENKUlT_T0_E_clISt17integral_constantIbLb1EES17_IbLb0EEEEDaS13_S14_EUlS13_E_NS1_11comp_targetILNS1_3genE8ELNS1_11target_archE1030ELNS1_3gpuE2ELNS1_3repE0EEENS1_30default_config_static_selectorELNS0_4arch9wavefront6targetE0EEEvT1_.uses_vcc, 0
	.set _ZN7rocprim17ROCPRIM_400000_NS6detail17trampoline_kernelINS0_14default_configENS1_25partition_config_selectorILNS1_17partition_subalgoE6EdNS0_10empty_typeEbEEZZNS1_14partition_implILS5_6ELb0ES3_mN6thrust23THRUST_200600_302600_NS6detail15normal_iteratorINSA_10device_ptrIdEEEEPS6_SG_NS0_5tupleIJSF_S6_EEENSH_IJSG_SG_EEES6_PlJNSB_9not_fun_tINSB_14equal_to_valueIdEEEEEEE10hipError_tPvRmT3_T4_T5_T6_T7_T9_mT8_P12ihipStream_tbDpT10_ENKUlT_T0_E_clISt17integral_constantIbLb1EES17_IbLb0EEEEDaS13_S14_EUlS13_E_NS1_11comp_targetILNS1_3genE8ELNS1_11target_archE1030ELNS1_3gpuE2ELNS1_3repE0EEENS1_30default_config_static_selectorELNS0_4arch9wavefront6targetE0EEEvT1_.uses_flat_scratch, 0
	.set _ZN7rocprim17ROCPRIM_400000_NS6detail17trampoline_kernelINS0_14default_configENS1_25partition_config_selectorILNS1_17partition_subalgoE6EdNS0_10empty_typeEbEEZZNS1_14partition_implILS5_6ELb0ES3_mN6thrust23THRUST_200600_302600_NS6detail15normal_iteratorINSA_10device_ptrIdEEEEPS6_SG_NS0_5tupleIJSF_S6_EEENSH_IJSG_SG_EEES6_PlJNSB_9not_fun_tINSB_14equal_to_valueIdEEEEEEE10hipError_tPvRmT3_T4_T5_T6_T7_T9_mT8_P12ihipStream_tbDpT10_ENKUlT_T0_E_clISt17integral_constantIbLb1EES17_IbLb0EEEEDaS13_S14_EUlS13_E_NS1_11comp_targetILNS1_3genE8ELNS1_11target_archE1030ELNS1_3gpuE2ELNS1_3repE0EEENS1_30default_config_static_selectorELNS0_4arch9wavefront6targetE0EEEvT1_.has_dyn_sized_stack, 0
	.set _ZN7rocprim17ROCPRIM_400000_NS6detail17trampoline_kernelINS0_14default_configENS1_25partition_config_selectorILNS1_17partition_subalgoE6EdNS0_10empty_typeEbEEZZNS1_14partition_implILS5_6ELb0ES3_mN6thrust23THRUST_200600_302600_NS6detail15normal_iteratorINSA_10device_ptrIdEEEEPS6_SG_NS0_5tupleIJSF_S6_EEENSH_IJSG_SG_EEES6_PlJNSB_9not_fun_tINSB_14equal_to_valueIdEEEEEEE10hipError_tPvRmT3_T4_T5_T6_T7_T9_mT8_P12ihipStream_tbDpT10_ENKUlT_T0_E_clISt17integral_constantIbLb1EES17_IbLb0EEEEDaS13_S14_EUlS13_E_NS1_11comp_targetILNS1_3genE8ELNS1_11target_archE1030ELNS1_3gpuE2ELNS1_3repE0EEENS1_30default_config_static_selectorELNS0_4arch9wavefront6targetE0EEEvT1_.has_recursion, 0
	.set _ZN7rocprim17ROCPRIM_400000_NS6detail17trampoline_kernelINS0_14default_configENS1_25partition_config_selectorILNS1_17partition_subalgoE6EdNS0_10empty_typeEbEEZZNS1_14partition_implILS5_6ELb0ES3_mN6thrust23THRUST_200600_302600_NS6detail15normal_iteratorINSA_10device_ptrIdEEEEPS6_SG_NS0_5tupleIJSF_S6_EEENSH_IJSG_SG_EEES6_PlJNSB_9not_fun_tINSB_14equal_to_valueIdEEEEEEE10hipError_tPvRmT3_T4_T5_T6_T7_T9_mT8_P12ihipStream_tbDpT10_ENKUlT_T0_E_clISt17integral_constantIbLb1EES17_IbLb0EEEEDaS13_S14_EUlS13_E_NS1_11comp_targetILNS1_3genE8ELNS1_11target_archE1030ELNS1_3gpuE2ELNS1_3repE0EEENS1_30default_config_static_selectorELNS0_4arch9wavefront6targetE0EEEvT1_.has_indirect_call, 0
	.section	.AMDGPU.csdata,"",@progbits
; Kernel info:
; codeLenInByte = 0
; TotalNumSgprs: 0
; NumVgprs: 0
; ScratchSize: 0
; MemoryBound: 0
; FloatMode: 240
; IeeeMode: 1
; LDSByteSize: 0 bytes/workgroup (compile time only)
; SGPRBlocks: 0
; VGPRBlocks: 0
; NumSGPRsForWavesPerEU: 1
; NumVGPRsForWavesPerEU: 1
; Occupancy: 16
; WaveLimiterHint : 0
; COMPUTE_PGM_RSRC2:SCRATCH_EN: 0
; COMPUTE_PGM_RSRC2:USER_SGPR: 2
; COMPUTE_PGM_RSRC2:TRAP_HANDLER: 0
; COMPUTE_PGM_RSRC2:TGID_X_EN: 1
; COMPUTE_PGM_RSRC2:TGID_Y_EN: 0
; COMPUTE_PGM_RSRC2:TGID_Z_EN: 0
; COMPUTE_PGM_RSRC2:TIDIG_COMP_CNT: 0
	.section	.text._ZN7rocprim17ROCPRIM_400000_NS6detail17trampoline_kernelINS0_14default_configENS1_25partition_config_selectorILNS1_17partition_subalgoE6EdNS0_10empty_typeEbEEZZNS1_14partition_implILS5_6ELb0ES3_mN6thrust23THRUST_200600_302600_NS6detail15normal_iteratorINSA_10device_ptrIdEEEEPS6_SG_NS0_5tupleIJSF_S6_EEENSH_IJSG_SG_EEES6_PlJNSB_9not_fun_tINSB_14equal_to_valueIdEEEEEEE10hipError_tPvRmT3_T4_T5_T6_T7_T9_mT8_P12ihipStream_tbDpT10_ENKUlT_T0_E_clISt17integral_constantIbLb0EES17_IbLb1EEEEDaS13_S14_EUlS13_E_NS1_11comp_targetILNS1_3genE0ELNS1_11target_archE4294967295ELNS1_3gpuE0ELNS1_3repE0EEENS1_30default_config_static_selectorELNS0_4arch9wavefront6targetE0EEEvT1_,"axG",@progbits,_ZN7rocprim17ROCPRIM_400000_NS6detail17trampoline_kernelINS0_14default_configENS1_25partition_config_selectorILNS1_17partition_subalgoE6EdNS0_10empty_typeEbEEZZNS1_14partition_implILS5_6ELb0ES3_mN6thrust23THRUST_200600_302600_NS6detail15normal_iteratorINSA_10device_ptrIdEEEEPS6_SG_NS0_5tupleIJSF_S6_EEENSH_IJSG_SG_EEES6_PlJNSB_9not_fun_tINSB_14equal_to_valueIdEEEEEEE10hipError_tPvRmT3_T4_T5_T6_T7_T9_mT8_P12ihipStream_tbDpT10_ENKUlT_T0_E_clISt17integral_constantIbLb0EES17_IbLb1EEEEDaS13_S14_EUlS13_E_NS1_11comp_targetILNS1_3genE0ELNS1_11target_archE4294967295ELNS1_3gpuE0ELNS1_3repE0EEENS1_30default_config_static_selectorELNS0_4arch9wavefront6targetE0EEEvT1_,comdat
	.protected	_ZN7rocprim17ROCPRIM_400000_NS6detail17trampoline_kernelINS0_14default_configENS1_25partition_config_selectorILNS1_17partition_subalgoE6EdNS0_10empty_typeEbEEZZNS1_14partition_implILS5_6ELb0ES3_mN6thrust23THRUST_200600_302600_NS6detail15normal_iteratorINSA_10device_ptrIdEEEEPS6_SG_NS0_5tupleIJSF_S6_EEENSH_IJSG_SG_EEES6_PlJNSB_9not_fun_tINSB_14equal_to_valueIdEEEEEEE10hipError_tPvRmT3_T4_T5_T6_T7_T9_mT8_P12ihipStream_tbDpT10_ENKUlT_T0_E_clISt17integral_constantIbLb0EES17_IbLb1EEEEDaS13_S14_EUlS13_E_NS1_11comp_targetILNS1_3genE0ELNS1_11target_archE4294967295ELNS1_3gpuE0ELNS1_3repE0EEENS1_30default_config_static_selectorELNS0_4arch9wavefront6targetE0EEEvT1_ ; -- Begin function _ZN7rocprim17ROCPRIM_400000_NS6detail17trampoline_kernelINS0_14default_configENS1_25partition_config_selectorILNS1_17partition_subalgoE6EdNS0_10empty_typeEbEEZZNS1_14partition_implILS5_6ELb0ES3_mN6thrust23THRUST_200600_302600_NS6detail15normal_iteratorINSA_10device_ptrIdEEEEPS6_SG_NS0_5tupleIJSF_S6_EEENSH_IJSG_SG_EEES6_PlJNSB_9not_fun_tINSB_14equal_to_valueIdEEEEEEE10hipError_tPvRmT3_T4_T5_T6_T7_T9_mT8_P12ihipStream_tbDpT10_ENKUlT_T0_E_clISt17integral_constantIbLb0EES17_IbLb1EEEEDaS13_S14_EUlS13_E_NS1_11comp_targetILNS1_3genE0ELNS1_11target_archE4294967295ELNS1_3gpuE0ELNS1_3repE0EEENS1_30default_config_static_selectorELNS0_4arch9wavefront6targetE0EEEvT1_
	.globl	_ZN7rocprim17ROCPRIM_400000_NS6detail17trampoline_kernelINS0_14default_configENS1_25partition_config_selectorILNS1_17partition_subalgoE6EdNS0_10empty_typeEbEEZZNS1_14partition_implILS5_6ELb0ES3_mN6thrust23THRUST_200600_302600_NS6detail15normal_iteratorINSA_10device_ptrIdEEEEPS6_SG_NS0_5tupleIJSF_S6_EEENSH_IJSG_SG_EEES6_PlJNSB_9not_fun_tINSB_14equal_to_valueIdEEEEEEE10hipError_tPvRmT3_T4_T5_T6_T7_T9_mT8_P12ihipStream_tbDpT10_ENKUlT_T0_E_clISt17integral_constantIbLb0EES17_IbLb1EEEEDaS13_S14_EUlS13_E_NS1_11comp_targetILNS1_3genE0ELNS1_11target_archE4294967295ELNS1_3gpuE0ELNS1_3repE0EEENS1_30default_config_static_selectorELNS0_4arch9wavefront6targetE0EEEvT1_
	.p2align	8
	.type	_ZN7rocprim17ROCPRIM_400000_NS6detail17trampoline_kernelINS0_14default_configENS1_25partition_config_selectorILNS1_17partition_subalgoE6EdNS0_10empty_typeEbEEZZNS1_14partition_implILS5_6ELb0ES3_mN6thrust23THRUST_200600_302600_NS6detail15normal_iteratorINSA_10device_ptrIdEEEEPS6_SG_NS0_5tupleIJSF_S6_EEENSH_IJSG_SG_EEES6_PlJNSB_9not_fun_tINSB_14equal_to_valueIdEEEEEEE10hipError_tPvRmT3_T4_T5_T6_T7_T9_mT8_P12ihipStream_tbDpT10_ENKUlT_T0_E_clISt17integral_constantIbLb0EES17_IbLb1EEEEDaS13_S14_EUlS13_E_NS1_11comp_targetILNS1_3genE0ELNS1_11target_archE4294967295ELNS1_3gpuE0ELNS1_3repE0EEENS1_30default_config_static_selectorELNS0_4arch9wavefront6targetE0EEEvT1_,@function
_ZN7rocprim17ROCPRIM_400000_NS6detail17trampoline_kernelINS0_14default_configENS1_25partition_config_selectorILNS1_17partition_subalgoE6EdNS0_10empty_typeEbEEZZNS1_14partition_implILS5_6ELb0ES3_mN6thrust23THRUST_200600_302600_NS6detail15normal_iteratorINSA_10device_ptrIdEEEEPS6_SG_NS0_5tupleIJSF_S6_EEENSH_IJSG_SG_EEES6_PlJNSB_9not_fun_tINSB_14equal_to_valueIdEEEEEEE10hipError_tPvRmT3_T4_T5_T6_T7_T9_mT8_P12ihipStream_tbDpT10_ENKUlT_T0_E_clISt17integral_constantIbLb0EES17_IbLb1EEEEDaS13_S14_EUlS13_E_NS1_11comp_targetILNS1_3genE0ELNS1_11target_archE4294967295ELNS1_3gpuE0ELNS1_3repE0EEENS1_30default_config_static_selectorELNS0_4arch9wavefront6targetE0EEEvT1_: ; @_ZN7rocprim17ROCPRIM_400000_NS6detail17trampoline_kernelINS0_14default_configENS1_25partition_config_selectorILNS1_17partition_subalgoE6EdNS0_10empty_typeEbEEZZNS1_14partition_implILS5_6ELb0ES3_mN6thrust23THRUST_200600_302600_NS6detail15normal_iteratorINSA_10device_ptrIdEEEEPS6_SG_NS0_5tupleIJSF_S6_EEENSH_IJSG_SG_EEES6_PlJNSB_9not_fun_tINSB_14equal_to_valueIdEEEEEEE10hipError_tPvRmT3_T4_T5_T6_T7_T9_mT8_P12ihipStream_tbDpT10_ENKUlT_T0_E_clISt17integral_constantIbLb0EES17_IbLb1EEEEDaS13_S14_EUlS13_E_NS1_11comp_targetILNS1_3genE0ELNS1_11target_archE4294967295ELNS1_3gpuE0ELNS1_3repE0EEENS1_30default_config_static_selectorELNS0_4arch9wavefront6targetE0EEEvT1_
; %bb.0:
	.section	.rodata,"a",@progbits
	.p2align	6, 0x0
	.amdhsa_kernel _ZN7rocprim17ROCPRIM_400000_NS6detail17trampoline_kernelINS0_14default_configENS1_25partition_config_selectorILNS1_17partition_subalgoE6EdNS0_10empty_typeEbEEZZNS1_14partition_implILS5_6ELb0ES3_mN6thrust23THRUST_200600_302600_NS6detail15normal_iteratorINSA_10device_ptrIdEEEEPS6_SG_NS0_5tupleIJSF_S6_EEENSH_IJSG_SG_EEES6_PlJNSB_9not_fun_tINSB_14equal_to_valueIdEEEEEEE10hipError_tPvRmT3_T4_T5_T6_T7_T9_mT8_P12ihipStream_tbDpT10_ENKUlT_T0_E_clISt17integral_constantIbLb0EES17_IbLb1EEEEDaS13_S14_EUlS13_E_NS1_11comp_targetILNS1_3genE0ELNS1_11target_archE4294967295ELNS1_3gpuE0ELNS1_3repE0EEENS1_30default_config_static_selectorELNS0_4arch9wavefront6targetE0EEEvT1_
		.amdhsa_group_segment_fixed_size 0
		.amdhsa_private_segment_fixed_size 0
		.amdhsa_kernarg_size 128
		.amdhsa_user_sgpr_count 2
		.amdhsa_user_sgpr_dispatch_ptr 0
		.amdhsa_user_sgpr_queue_ptr 0
		.amdhsa_user_sgpr_kernarg_segment_ptr 1
		.amdhsa_user_sgpr_dispatch_id 0
		.amdhsa_user_sgpr_private_segment_size 0
		.amdhsa_wavefront_size32 1
		.amdhsa_uses_dynamic_stack 0
		.amdhsa_enable_private_segment 0
		.amdhsa_system_sgpr_workgroup_id_x 1
		.amdhsa_system_sgpr_workgroup_id_y 0
		.amdhsa_system_sgpr_workgroup_id_z 0
		.amdhsa_system_sgpr_workgroup_info 0
		.amdhsa_system_vgpr_workitem_id 0
		.amdhsa_next_free_vgpr 1
		.amdhsa_next_free_sgpr 1
		.amdhsa_reserve_vcc 0
		.amdhsa_float_round_mode_32 0
		.amdhsa_float_round_mode_16_64 0
		.amdhsa_float_denorm_mode_32 3
		.amdhsa_float_denorm_mode_16_64 3
		.amdhsa_fp16_overflow 0
		.amdhsa_workgroup_processor_mode 1
		.amdhsa_memory_ordered 1
		.amdhsa_forward_progress 1
		.amdhsa_inst_pref_size 0
		.amdhsa_round_robin_scheduling 0
		.amdhsa_exception_fp_ieee_invalid_op 0
		.amdhsa_exception_fp_denorm_src 0
		.amdhsa_exception_fp_ieee_div_zero 0
		.amdhsa_exception_fp_ieee_overflow 0
		.amdhsa_exception_fp_ieee_underflow 0
		.amdhsa_exception_fp_ieee_inexact 0
		.amdhsa_exception_int_div_zero 0
	.end_amdhsa_kernel
	.section	.text._ZN7rocprim17ROCPRIM_400000_NS6detail17trampoline_kernelINS0_14default_configENS1_25partition_config_selectorILNS1_17partition_subalgoE6EdNS0_10empty_typeEbEEZZNS1_14partition_implILS5_6ELb0ES3_mN6thrust23THRUST_200600_302600_NS6detail15normal_iteratorINSA_10device_ptrIdEEEEPS6_SG_NS0_5tupleIJSF_S6_EEENSH_IJSG_SG_EEES6_PlJNSB_9not_fun_tINSB_14equal_to_valueIdEEEEEEE10hipError_tPvRmT3_T4_T5_T6_T7_T9_mT8_P12ihipStream_tbDpT10_ENKUlT_T0_E_clISt17integral_constantIbLb0EES17_IbLb1EEEEDaS13_S14_EUlS13_E_NS1_11comp_targetILNS1_3genE0ELNS1_11target_archE4294967295ELNS1_3gpuE0ELNS1_3repE0EEENS1_30default_config_static_selectorELNS0_4arch9wavefront6targetE0EEEvT1_,"axG",@progbits,_ZN7rocprim17ROCPRIM_400000_NS6detail17trampoline_kernelINS0_14default_configENS1_25partition_config_selectorILNS1_17partition_subalgoE6EdNS0_10empty_typeEbEEZZNS1_14partition_implILS5_6ELb0ES3_mN6thrust23THRUST_200600_302600_NS6detail15normal_iteratorINSA_10device_ptrIdEEEEPS6_SG_NS0_5tupleIJSF_S6_EEENSH_IJSG_SG_EEES6_PlJNSB_9not_fun_tINSB_14equal_to_valueIdEEEEEEE10hipError_tPvRmT3_T4_T5_T6_T7_T9_mT8_P12ihipStream_tbDpT10_ENKUlT_T0_E_clISt17integral_constantIbLb0EES17_IbLb1EEEEDaS13_S14_EUlS13_E_NS1_11comp_targetILNS1_3genE0ELNS1_11target_archE4294967295ELNS1_3gpuE0ELNS1_3repE0EEENS1_30default_config_static_selectorELNS0_4arch9wavefront6targetE0EEEvT1_,comdat
.Lfunc_end301:
	.size	_ZN7rocprim17ROCPRIM_400000_NS6detail17trampoline_kernelINS0_14default_configENS1_25partition_config_selectorILNS1_17partition_subalgoE6EdNS0_10empty_typeEbEEZZNS1_14partition_implILS5_6ELb0ES3_mN6thrust23THRUST_200600_302600_NS6detail15normal_iteratorINSA_10device_ptrIdEEEEPS6_SG_NS0_5tupleIJSF_S6_EEENSH_IJSG_SG_EEES6_PlJNSB_9not_fun_tINSB_14equal_to_valueIdEEEEEEE10hipError_tPvRmT3_T4_T5_T6_T7_T9_mT8_P12ihipStream_tbDpT10_ENKUlT_T0_E_clISt17integral_constantIbLb0EES17_IbLb1EEEEDaS13_S14_EUlS13_E_NS1_11comp_targetILNS1_3genE0ELNS1_11target_archE4294967295ELNS1_3gpuE0ELNS1_3repE0EEENS1_30default_config_static_selectorELNS0_4arch9wavefront6targetE0EEEvT1_, .Lfunc_end301-_ZN7rocprim17ROCPRIM_400000_NS6detail17trampoline_kernelINS0_14default_configENS1_25partition_config_selectorILNS1_17partition_subalgoE6EdNS0_10empty_typeEbEEZZNS1_14partition_implILS5_6ELb0ES3_mN6thrust23THRUST_200600_302600_NS6detail15normal_iteratorINSA_10device_ptrIdEEEEPS6_SG_NS0_5tupleIJSF_S6_EEENSH_IJSG_SG_EEES6_PlJNSB_9not_fun_tINSB_14equal_to_valueIdEEEEEEE10hipError_tPvRmT3_T4_T5_T6_T7_T9_mT8_P12ihipStream_tbDpT10_ENKUlT_T0_E_clISt17integral_constantIbLb0EES17_IbLb1EEEEDaS13_S14_EUlS13_E_NS1_11comp_targetILNS1_3genE0ELNS1_11target_archE4294967295ELNS1_3gpuE0ELNS1_3repE0EEENS1_30default_config_static_selectorELNS0_4arch9wavefront6targetE0EEEvT1_
                                        ; -- End function
	.set _ZN7rocprim17ROCPRIM_400000_NS6detail17trampoline_kernelINS0_14default_configENS1_25partition_config_selectorILNS1_17partition_subalgoE6EdNS0_10empty_typeEbEEZZNS1_14partition_implILS5_6ELb0ES3_mN6thrust23THRUST_200600_302600_NS6detail15normal_iteratorINSA_10device_ptrIdEEEEPS6_SG_NS0_5tupleIJSF_S6_EEENSH_IJSG_SG_EEES6_PlJNSB_9not_fun_tINSB_14equal_to_valueIdEEEEEEE10hipError_tPvRmT3_T4_T5_T6_T7_T9_mT8_P12ihipStream_tbDpT10_ENKUlT_T0_E_clISt17integral_constantIbLb0EES17_IbLb1EEEEDaS13_S14_EUlS13_E_NS1_11comp_targetILNS1_3genE0ELNS1_11target_archE4294967295ELNS1_3gpuE0ELNS1_3repE0EEENS1_30default_config_static_selectorELNS0_4arch9wavefront6targetE0EEEvT1_.num_vgpr, 0
	.set _ZN7rocprim17ROCPRIM_400000_NS6detail17trampoline_kernelINS0_14default_configENS1_25partition_config_selectorILNS1_17partition_subalgoE6EdNS0_10empty_typeEbEEZZNS1_14partition_implILS5_6ELb0ES3_mN6thrust23THRUST_200600_302600_NS6detail15normal_iteratorINSA_10device_ptrIdEEEEPS6_SG_NS0_5tupleIJSF_S6_EEENSH_IJSG_SG_EEES6_PlJNSB_9not_fun_tINSB_14equal_to_valueIdEEEEEEE10hipError_tPvRmT3_T4_T5_T6_T7_T9_mT8_P12ihipStream_tbDpT10_ENKUlT_T0_E_clISt17integral_constantIbLb0EES17_IbLb1EEEEDaS13_S14_EUlS13_E_NS1_11comp_targetILNS1_3genE0ELNS1_11target_archE4294967295ELNS1_3gpuE0ELNS1_3repE0EEENS1_30default_config_static_selectorELNS0_4arch9wavefront6targetE0EEEvT1_.num_agpr, 0
	.set _ZN7rocprim17ROCPRIM_400000_NS6detail17trampoline_kernelINS0_14default_configENS1_25partition_config_selectorILNS1_17partition_subalgoE6EdNS0_10empty_typeEbEEZZNS1_14partition_implILS5_6ELb0ES3_mN6thrust23THRUST_200600_302600_NS6detail15normal_iteratorINSA_10device_ptrIdEEEEPS6_SG_NS0_5tupleIJSF_S6_EEENSH_IJSG_SG_EEES6_PlJNSB_9not_fun_tINSB_14equal_to_valueIdEEEEEEE10hipError_tPvRmT3_T4_T5_T6_T7_T9_mT8_P12ihipStream_tbDpT10_ENKUlT_T0_E_clISt17integral_constantIbLb0EES17_IbLb1EEEEDaS13_S14_EUlS13_E_NS1_11comp_targetILNS1_3genE0ELNS1_11target_archE4294967295ELNS1_3gpuE0ELNS1_3repE0EEENS1_30default_config_static_selectorELNS0_4arch9wavefront6targetE0EEEvT1_.numbered_sgpr, 0
	.set _ZN7rocprim17ROCPRIM_400000_NS6detail17trampoline_kernelINS0_14default_configENS1_25partition_config_selectorILNS1_17partition_subalgoE6EdNS0_10empty_typeEbEEZZNS1_14partition_implILS5_6ELb0ES3_mN6thrust23THRUST_200600_302600_NS6detail15normal_iteratorINSA_10device_ptrIdEEEEPS6_SG_NS0_5tupleIJSF_S6_EEENSH_IJSG_SG_EEES6_PlJNSB_9not_fun_tINSB_14equal_to_valueIdEEEEEEE10hipError_tPvRmT3_T4_T5_T6_T7_T9_mT8_P12ihipStream_tbDpT10_ENKUlT_T0_E_clISt17integral_constantIbLb0EES17_IbLb1EEEEDaS13_S14_EUlS13_E_NS1_11comp_targetILNS1_3genE0ELNS1_11target_archE4294967295ELNS1_3gpuE0ELNS1_3repE0EEENS1_30default_config_static_selectorELNS0_4arch9wavefront6targetE0EEEvT1_.num_named_barrier, 0
	.set _ZN7rocprim17ROCPRIM_400000_NS6detail17trampoline_kernelINS0_14default_configENS1_25partition_config_selectorILNS1_17partition_subalgoE6EdNS0_10empty_typeEbEEZZNS1_14partition_implILS5_6ELb0ES3_mN6thrust23THRUST_200600_302600_NS6detail15normal_iteratorINSA_10device_ptrIdEEEEPS6_SG_NS0_5tupleIJSF_S6_EEENSH_IJSG_SG_EEES6_PlJNSB_9not_fun_tINSB_14equal_to_valueIdEEEEEEE10hipError_tPvRmT3_T4_T5_T6_T7_T9_mT8_P12ihipStream_tbDpT10_ENKUlT_T0_E_clISt17integral_constantIbLb0EES17_IbLb1EEEEDaS13_S14_EUlS13_E_NS1_11comp_targetILNS1_3genE0ELNS1_11target_archE4294967295ELNS1_3gpuE0ELNS1_3repE0EEENS1_30default_config_static_selectorELNS0_4arch9wavefront6targetE0EEEvT1_.private_seg_size, 0
	.set _ZN7rocprim17ROCPRIM_400000_NS6detail17trampoline_kernelINS0_14default_configENS1_25partition_config_selectorILNS1_17partition_subalgoE6EdNS0_10empty_typeEbEEZZNS1_14partition_implILS5_6ELb0ES3_mN6thrust23THRUST_200600_302600_NS6detail15normal_iteratorINSA_10device_ptrIdEEEEPS6_SG_NS0_5tupleIJSF_S6_EEENSH_IJSG_SG_EEES6_PlJNSB_9not_fun_tINSB_14equal_to_valueIdEEEEEEE10hipError_tPvRmT3_T4_T5_T6_T7_T9_mT8_P12ihipStream_tbDpT10_ENKUlT_T0_E_clISt17integral_constantIbLb0EES17_IbLb1EEEEDaS13_S14_EUlS13_E_NS1_11comp_targetILNS1_3genE0ELNS1_11target_archE4294967295ELNS1_3gpuE0ELNS1_3repE0EEENS1_30default_config_static_selectorELNS0_4arch9wavefront6targetE0EEEvT1_.uses_vcc, 0
	.set _ZN7rocprim17ROCPRIM_400000_NS6detail17trampoline_kernelINS0_14default_configENS1_25partition_config_selectorILNS1_17partition_subalgoE6EdNS0_10empty_typeEbEEZZNS1_14partition_implILS5_6ELb0ES3_mN6thrust23THRUST_200600_302600_NS6detail15normal_iteratorINSA_10device_ptrIdEEEEPS6_SG_NS0_5tupleIJSF_S6_EEENSH_IJSG_SG_EEES6_PlJNSB_9not_fun_tINSB_14equal_to_valueIdEEEEEEE10hipError_tPvRmT3_T4_T5_T6_T7_T9_mT8_P12ihipStream_tbDpT10_ENKUlT_T0_E_clISt17integral_constantIbLb0EES17_IbLb1EEEEDaS13_S14_EUlS13_E_NS1_11comp_targetILNS1_3genE0ELNS1_11target_archE4294967295ELNS1_3gpuE0ELNS1_3repE0EEENS1_30default_config_static_selectorELNS0_4arch9wavefront6targetE0EEEvT1_.uses_flat_scratch, 0
	.set _ZN7rocprim17ROCPRIM_400000_NS6detail17trampoline_kernelINS0_14default_configENS1_25partition_config_selectorILNS1_17partition_subalgoE6EdNS0_10empty_typeEbEEZZNS1_14partition_implILS5_6ELb0ES3_mN6thrust23THRUST_200600_302600_NS6detail15normal_iteratorINSA_10device_ptrIdEEEEPS6_SG_NS0_5tupleIJSF_S6_EEENSH_IJSG_SG_EEES6_PlJNSB_9not_fun_tINSB_14equal_to_valueIdEEEEEEE10hipError_tPvRmT3_T4_T5_T6_T7_T9_mT8_P12ihipStream_tbDpT10_ENKUlT_T0_E_clISt17integral_constantIbLb0EES17_IbLb1EEEEDaS13_S14_EUlS13_E_NS1_11comp_targetILNS1_3genE0ELNS1_11target_archE4294967295ELNS1_3gpuE0ELNS1_3repE0EEENS1_30default_config_static_selectorELNS0_4arch9wavefront6targetE0EEEvT1_.has_dyn_sized_stack, 0
	.set _ZN7rocprim17ROCPRIM_400000_NS6detail17trampoline_kernelINS0_14default_configENS1_25partition_config_selectorILNS1_17partition_subalgoE6EdNS0_10empty_typeEbEEZZNS1_14partition_implILS5_6ELb0ES3_mN6thrust23THRUST_200600_302600_NS6detail15normal_iteratorINSA_10device_ptrIdEEEEPS6_SG_NS0_5tupleIJSF_S6_EEENSH_IJSG_SG_EEES6_PlJNSB_9not_fun_tINSB_14equal_to_valueIdEEEEEEE10hipError_tPvRmT3_T4_T5_T6_T7_T9_mT8_P12ihipStream_tbDpT10_ENKUlT_T0_E_clISt17integral_constantIbLb0EES17_IbLb1EEEEDaS13_S14_EUlS13_E_NS1_11comp_targetILNS1_3genE0ELNS1_11target_archE4294967295ELNS1_3gpuE0ELNS1_3repE0EEENS1_30default_config_static_selectorELNS0_4arch9wavefront6targetE0EEEvT1_.has_recursion, 0
	.set _ZN7rocprim17ROCPRIM_400000_NS6detail17trampoline_kernelINS0_14default_configENS1_25partition_config_selectorILNS1_17partition_subalgoE6EdNS0_10empty_typeEbEEZZNS1_14partition_implILS5_6ELb0ES3_mN6thrust23THRUST_200600_302600_NS6detail15normal_iteratorINSA_10device_ptrIdEEEEPS6_SG_NS0_5tupleIJSF_S6_EEENSH_IJSG_SG_EEES6_PlJNSB_9not_fun_tINSB_14equal_to_valueIdEEEEEEE10hipError_tPvRmT3_T4_T5_T6_T7_T9_mT8_P12ihipStream_tbDpT10_ENKUlT_T0_E_clISt17integral_constantIbLb0EES17_IbLb1EEEEDaS13_S14_EUlS13_E_NS1_11comp_targetILNS1_3genE0ELNS1_11target_archE4294967295ELNS1_3gpuE0ELNS1_3repE0EEENS1_30default_config_static_selectorELNS0_4arch9wavefront6targetE0EEEvT1_.has_indirect_call, 0
	.section	.AMDGPU.csdata,"",@progbits
; Kernel info:
; codeLenInByte = 0
; TotalNumSgprs: 0
; NumVgprs: 0
; ScratchSize: 0
; MemoryBound: 0
; FloatMode: 240
; IeeeMode: 1
; LDSByteSize: 0 bytes/workgroup (compile time only)
; SGPRBlocks: 0
; VGPRBlocks: 0
; NumSGPRsForWavesPerEU: 1
; NumVGPRsForWavesPerEU: 1
; Occupancy: 16
; WaveLimiterHint : 0
; COMPUTE_PGM_RSRC2:SCRATCH_EN: 0
; COMPUTE_PGM_RSRC2:USER_SGPR: 2
; COMPUTE_PGM_RSRC2:TRAP_HANDLER: 0
; COMPUTE_PGM_RSRC2:TGID_X_EN: 1
; COMPUTE_PGM_RSRC2:TGID_Y_EN: 0
; COMPUTE_PGM_RSRC2:TGID_Z_EN: 0
; COMPUTE_PGM_RSRC2:TIDIG_COMP_CNT: 0
	.section	.text._ZN7rocprim17ROCPRIM_400000_NS6detail17trampoline_kernelINS0_14default_configENS1_25partition_config_selectorILNS1_17partition_subalgoE6EdNS0_10empty_typeEbEEZZNS1_14partition_implILS5_6ELb0ES3_mN6thrust23THRUST_200600_302600_NS6detail15normal_iteratorINSA_10device_ptrIdEEEEPS6_SG_NS0_5tupleIJSF_S6_EEENSH_IJSG_SG_EEES6_PlJNSB_9not_fun_tINSB_14equal_to_valueIdEEEEEEE10hipError_tPvRmT3_T4_T5_T6_T7_T9_mT8_P12ihipStream_tbDpT10_ENKUlT_T0_E_clISt17integral_constantIbLb0EES17_IbLb1EEEEDaS13_S14_EUlS13_E_NS1_11comp_targetILNS1_3genE5ELNS1_11target_archE942ELNS1_3gpuE9ELNS1_3repE0EEENS1_30default_config_static_selectorELNS0_4arch9wavefront6targetE0EEEvT1_,"axG",@progbits,_ZN7rocprim17ROCPRIM_400000_NS6detail17trampoline_kernelINS0_14default_configENS1_25partition_config_selectorILNS1_17partition_subalgoE6EdNS0_10empty_typeEbEEZZNS1_14partition_implILS5_6ELb0ES3_mN6thrust23THRUST_200600_302600_NS6detail15normal_iteratorINSA_10device_ptrIdEEEEPS6_SG_NS0_5tupleIJSF_S6_EEENSH_IJSG_SG_EEES6_PlJNSB_9not_fun_tINSB_14equal_to_valueIdEEEEEEE10hipError_tPvRmT3_T4_T5_T6_T7_T9_mT8_P12ihipStream_tbDpT10_ENKUlT_T0_E_clISt17integral_constantIbLb0EES17_IbLb1EEEEDaS13_S14_EUlS13_E_NS1_11comp_targetILNS1_3genE5ELNS1_11target_archE942ELNS1_3gpuE9ELNS1_3repE0EEENS1_30default_config_static_selectorELNS0_4arch9wavefront6targetE0EEEvT1_,comdat
	.protected	_ZN7rocprim17ROCPRIM_400000_NS6detail17trampoline_kernelINS0_14default_configENS1_25partition_config_selectorILNS1_17partition_subalgoE6EdNS0_10empty_typeEbEEZZNS1_14partition_implILS5_6ELb0ES3_mN6thrust23THRUST_200600_302600_NS6detail15normal_iteratorINSA_10device_ptrIdEEEEPS6_SG_NS0_5tupleIJSF_S6_EEENSH_IJSG_SG_EEES6_PlJNSB_9not_fun_tINSB_14equal_to_valueIdEEEEEEE10hipError_tPvRmT3_T4_T5_T6_T7_T9_mT8_P12ihipStream_tbDpT10_ENKUlT_T0_E_clISt17integral_constantIbLb0EES17_IbLb1EEEEDaS13_S14_EUlS13_E_NS1_11comp_targetILNS1_3genE5ELNS1_11target_archE942ELNS1_3gpuE9ELNS1_3repE0EEENS1_30default_config_static_selectorELNS0_4arch9wavefront6targetE0EEEvT1_ ; -- Begin function _ZN7rocprim17ROCPRIM_400000_NS6detail17trampoline_kernelINS0_14default_configENS1_25partition_config_selectorILNS1_17partition_subalgoE6EdNS0_10empty_typeEbEEZZNS1_14partition_implILS5_6ELb0ES3_mN6thrust23THRUST_200600_302600_NS6detail15normal_iteratorINSA_10device_ptrIdEEEEPS6_SG_NS0_5tupleIJSF_S6_EEENSH_IJSG_SG_EEES6_PlJNSB_9not_fun_tINSB_14equal_to_valueIdEEEEEEE10hipError_tPvRmT3_T4_T5_T6_T7_T9_mT8_P12ihipStream_tbDpT10_ENKUlT_T0_E_clISt17integral_constantIbLb0EES17_IbLb1EEEEDaS13_S14_EUlS13_E_NS1_11comp_targetILNS1_3genE5ELNS1_11target_archE942ELNS1_3gpuE9ELNS1_3repE0EEENS1_30default_config_static_selectorELNS0_4arch9wavefront6targetE0EEEvT1_
	.globl	_ZN7rocprim17ROCPRIM_400000_NS6detail17trampoline_kernelINS0_14default_configENS1_25partition_config_selectorILNS1_17partition_subalgoE6EdNS0_10empty_typeEbEEZZNS1_14partition_implILS5_6ELb0ES3_mN6thrust23THRUST_200600_302600_NS6detail15normal_iteratorINSA_10device_ptrIdEEEEPS6_SG_NS0_5tupleIJSF_S6_EEENSH_IJSG_SG_EEES6_PlJNSB_9not_fun_tINSB_14equal_to_valueIdEEEEEEE10hipError_tPvRmT3_T4_T5_T6_T7_T9_mT8_P12ihipStream_tbDpT10_ENKUlT_T0_E_clISt17integral_constantIbLb0EES17_IbLb1EEEEDaS13_S14_EUlS13_E_NS1_11comp_targetILNS1_3genE5ELNS1_11target_archE942ELNS1_3gpuE9ELNS1_3repE0EEENS1_30default_config_static_selectorELNS0_4arch9wavefront6targetE0EEEvT1_
	.p2align	8
	.type	_ZN7rocprim17ROCPRIM_400000_NS6detail17trampoline_kernelINS0_14default_configENS1_25partition_config_selectorILNS1_17partition_subalgoE6EdNS0_10empty_typeEbEEZZNS1_14partition_implILS5_6ELb0ES3_mN6thrust23THRUST_200600_302600_NS6detail15normal_iteratorINSA_10device_ptrIdEEEEPS6_SG_NS0_5tupleIJSF_S6_EEENSH_IJSG_SG_EEES6_PlJNSB_9not_fun_tINSB_14equal_to_valueIdEEEEEEE10hipError_tPvRmT3_T4_T5_T6_T7_T9_mT8_P12ihipStream_tbDpT10_ENKUlT_T0_E_clISt17integral_constantIbLb0EES17_IbLb1EEEEDaS13_S14_EUlS13_E_NS1_11comp_targetILNS1_3genE5ELNS1_11target_archE942ELNS1_3gpuE9ELNS1_3repE0EEENS1_30default_config_static_selectorELNS0_4arch9wavefront6targetE0EEEvT1_,@function
_ZN7rocprim17ROCPRIM_400000_NS6detail17trampoline_kernelINS0_14default_configENS1_25partition_config_selectorILNS1_17partition_subalgoE6EdNS0_10empty_typeEbEEZZNS1_14partition_implILS5_6ELb0ES3_mN6thrust23THRUST_200600_302600_NS6detail15normal_iteratorINSA_10device_ptrIdEEEEPS6_SG_NS0_5tupleIJSF_S6_EEENSH_IJSG_SG_EEES6_PlJNSB_9not_fun_tINSB_14equal_to_valueIdEEEEEEE10hipError_tPvRmT3_T4_T5_T6_T7_T9_mT8_P12ihipStream_tbDpT10_ENKUlT_T0_E_clISt17integral_constantIbLb0EES17_IbLb1EEEEDaS13_S14_EUlS13_E_NS1_11comp_targetILNS1_3genE5ELNS1_11target_archE942ELNS1_3gpuE9ELNS1_3repE0EEENS1_30default_config_static_selectorELNS0_4arch9wavefront6targetE0EEEvT1_: ; @_ZN7rocprim17ROCPRIM_400000_NS6detail17trampoline_kernelINS0_14default_configENS1_25partition_config_selectorILNS1_17partition_subalgoE6EdNS0_10empty_typeEbEEZZNS1_14partition_implILS5_6ELb0ES3_mN6thrust23THRUST_200600_302600_NS6detail15normal_iteratorINSA_10device_ptrIdEEEEPS6_SG_NS0_5tupleIJSF_S6_EEENSH_IJSG_SG_EEES6_PlJNSB_9not_fun_tINSB_14equal_to_valueIdEEEEEEE10hipError_tPvRmT3_T4_T5_T6_T7_T9_mT8_P12ihipStream_tbDpT10_ENKUlT_T0_E_clISt17integral_constantIbLb0EES17_IbLb1EEEEDaS13_S14_EUlS13_E_NS1_11comp_targetILNS1_3genE5ELNS1_11target_archE942ELNS1_3gpuE9ELNS1_3repE0EEENS1_30default_config_static_selectorELNS0_4arch9wavefront6targetE0EEEvT1_
; %bb.0:
	.section	.rodata,"a",@progbits
	.p2align	6, 0x0
	.amdhsa_kernel _ZN7rocprim17ROCPRIM_400000_NS6detail17trampoline_kernelINS0_14default_configENS1_25partition_config_selectorILNS1_17partition_subalgoE6EdNS0_10empty_typeEbEEZZNS1_14partition_implILS5_6ELb0ES3_mN6thrust23THRUST_200600_302600_NS6detail15normal_iteratorINSA_10device_ptrIdEEEEPS6_SG_NS0_5tupleIJSF_S6_EEENSH_IJSG_SG_EEES6_PlJNSB_9not_fun_tINSB_14equal_to_valueIdEEEEEEE10hipError_tPvRmT3_T4_T5_T6_T7_T9_mT8_P12ihipStream_tbDpT10_ENKUlT_T0_E_clISt17integral_constantIbLb0EES17_IbLb1EEEEDaS13_S14_EUlS13_E_NS1_11comp_targetILNS1_3genE5ELNS1_11target_archE942ELNS1_3gpuE9ELNS1_3repE0EEENS1_30default_config_static_selectorELNS0_4arch9wavefront6targetE0EEEvT1_
		.amdhsa_group_segment_fixed_size 0
		.amdhsa_private_segment_fixed_size 0
		.amdhsa_kernarg_size 128
		.amdhsa_user_sgpr_count 2
		.amdhsa_user_sgpr_dispatch_ptr 0
		.amdhsa_user_sgpr_queue_ptr 0
		.amdhsa_user_sgpr_kernarg_segment_ptr 1
		.amdhsa_user_sgpr_dispatch_id 0
		.amdhsa_user_sgpr_private_segment_size 0
		.amdhsa_wavefront_size32 1
		.amdhsa_uses_dynamic_stack 0
		.amdhsa_enable_private_segment 0
		.amdhsa_system_sgpr_workgroup_id_x 1
		.amdhsa_system_sgpr_workgroup_id_y 0
		.amdhsa_system_sgpr_workgroup_id_z 0
		.amdhsa_system_sgpr_workgroup_info 0
		.amdhsa_system_vgpr_workitem_id 0
		.amdhsa_next_free_vgpr 1
		.amdhsa_next_free_sgpr 1
		.amdhsa_reserve_vcc 0
		.amdhsa_float_round_mode_32 0
		.amdhsa_float_round_mode_16_64 0
		.amdhsa_float_denorm_mode_32 3
		.amdhsa_float_denorm_mode_16_64 3
		.amdhsa_fp16_overflow 0
		.amdhsa_workgroup_processor_mode 1
		.amdhsa_memory_ordered 1
		.amdhsa_forward_progress 1
		.amdhsa_inst_pref_size 0
		.amdhsa_round_robin_scheduling 0
		.amdhsa_exception_fp_ieee_invalid_op 0
		.amdhsa_exception_fp_denorm_src 0
		.amdhsa_exception_fp_ieee_div_zero 0
		.amdhsa_exception_fp_ieee_overflow 0
		.amdhsa_exception_fp_ieee_underflow 0
		.amdhsa_exception_fp_ieee_inexact 0
		.amdhsa_exception_int_div_zero 0
	.end_amdhsa_kernel
	.section	.text._ZN7rocprim17ROCPRIM_400000_NS6detail17trampoline_kernelINS0_14default_configENS1_25partition_config_selectorILNS1_17partition_subalgoE6EdNS0_10empty_typeEbEEZZNS1_14partition_implILS5_6ELb0ES3_mN6thrust23THRUST_200600_302600_NS6detail15normal_iteratorINSA_10device_ptrIdEEEEPS6_SG_NS0_5tupleIJSF_S6_EEENSH_IJSG_SG_EEES6_PlJNSB_9not_fun_tINSB_14equal_to_valueIdEEEEEEE10hipError_tPvRmT3_T4_T5_T6_T7_T9_mT8_P12ihipStream_tbDpT10_ENKUlT_T0_E_clISt17integral_constantIbLb0EES17_IbLb1EEEEDaS13_S14_EUlS13_E_NS1_11comp_targetILNS1_3genE5ELNS1_11target_archE942ELNS1_3gpuE9ELNS1_3repE0EEENS1_30default_config_static_selectorELNS0_4arch9wavefront6targetE0EEEvT1_,"axG",@progbits,_ZN7rocprim17ROCPRIM_400000_NS6detail17trampoline_kernelINS0_14default_configENS1_25partition_config_selectorILNS1_17partition_subalgoE6EdNS0_10empty_typeEbEEZZNS1_14partition_implILS5_6ELb0ES3_mN6thrust23THRUST_200600_302600_NS6detail15normal_iteratorINSA_10device_ptrIdEEEEPS6_SG_NS0_5tupleIJSF_S6_EEENSH_IJSG_SG_EEES6_PlJNSB_9not_fun_tINSB_14equal_to_valueIdEEEEEEE10hipError_tPvRmT3_T4_T5_T6_T7_T9_mT8_P12ihipStream_tbDpT10_ENKUlT_T0_E_clISt17integral_constantIbLb0EES17_IbLb1EEEEDaS13_S14_EUlS13_E_NS1_11comp_targetILNS1_3genE5ELNS1_11target_archE942ELNS1_3gpuE9ELNS1_3repE0EEENS1_30default_config_static_selectorELNS0_4arch9wavefront6targetE0EEEvT1_,comdat
.Lfunc_end302:
	.size	_ZN7rocprim17ROCPRIM_400000_NS6detail17trampoline_kernelINS0_14default_configENS1_25partition_config_selectorILNS1_17partition_subalgoE6EdNS0_10empty_typeEbEEZZNS1_14partition_implILS5_6ELb0ES3_mN6thrust23THRUST_200600_302600_NS6detail15normal_iteratorINSA_10device_ptrIdEEEEPS6_SG_NS0_5tupleIJSF_S6_EEENSH_IJSG_SG_EEES6_PlJNSB_9not_fun_tINSB_14equal_to_valueIdEEEEEEE10hipError_tPvRmT3_T4_T5_T6_T7_T9_mT8_P12ihipStream_tbDpT10_ENKUlT_T0_E_clISt17integral_constantIbLb0EES17_IbLb1EEEEDaS13_S14_EUlS13_E_NS1_11comp_targetILNS1_3genE5ELNS1_11target_archE942ELNS1_3gpuE9ELNS1_3repE0EEENS1_30default_config_static_selectorELNS0_4arch9wavefront6targetE0EEEvT1_, .Lfunc_end302-_ZN7rocprim17ROCPRIM_400000_NS6detail17trampoline_kernelINS0_14default_configENS1_25partition_config_selectorILNS1_17partition_subalgoE6EdNS0_10empty_typeEbEEZZNS1_14partition_implILS5_6ELb0ES3_mN6thrust23THRUST_200600_302600_NS6detail15normal_iteratorINSA_10device_ptrIdEEEEPS6_SG_NS0_5tupleIJSF_S6_EEENSH_IJSG_SG_EEES6_PlJNSB_9not_fun_tINSB_14equal_to_valueIdEEEEEEE10hipError_tPvRmT3_T4_T5_T6_T7_T9_mT8_P12ihipStream_tbDpT10_ENKUlT_T0_E_clISt17integral_constantIbLb0EES17_IbLb1EEEEDaS13_S14_EUlS13_E_NS1_11comp_targetILNS1_3genE5ELNS1_11target_archE942ELNS1_3gpuE9ELNS1_3repE0EEENS1_30default_config_static_selectorELNS0_4arch9wavefront6targetE0EEEvT1_
                                        ; -- End function
	.set _ZN7rocprim17ROCPRIM_400000_NS6detail17trampoline_kernelINS0_14default_configENS1_25partition_config_selectorILNS1_17partition_subalgoE6EdNS0_10empty_typeEbEEZZNS1_14partition_implILS5_6ELb0ES3_mN6thrust23THRUST_200600_302600_NS6detail15normal_iteratorINSA_10device_ptrIdEEEEPS6_SG_NS0_5tupleIJSF_S6_EEENSH_IJSG_SG_EEES6_PlJNSB_9not_fun_tINSB_14equal_to_valueIdEEEEEEE10hipError_tPvRmT3_T4_T5_T6_T7_T9_mT8_P12ihipStream_tbDpT10_ENKUlT_T0_E_clISt17integral_constantIbLb0EES17_IbLb1EEEEDaS13_S14_EUlS13_E_NS1_11comp_targetILNS1_3genE5ELNS1_11target_archE942ELNS1_3gpuE9ELNS1_3repE0EEENS1_30default_config_static_selectorELNS0_4arch9wavefront6targetE0EEEvT1_.num_vgpr, 0
	.set _ZN7rocprim17ROCPRIM_400000_NS6detail17trampoline_kernelINS0_14default_configENS1_25partition_config_selectorILNS1_17partition_subalgoE6EdNS0_10empty_typeEbEEZZNS1_14partition_implILS5_6ELb0ES3_mN6thrust23THRUST_200600_302600_NS6detail15normal_iteratorINSA_10device_ptrIdEEEEPS6_SG_NS0_5tupleIJSF_S6_EEENSH_IJSG_SG_EEES6_PlJNSB_9not_fun_tINSB_14equal_to_valueIdEEEEEEE10hipError_tPvRmT3_T4_T5_T6_T7_T9_mT8_P12ihipStream_tbDpT10_ENKUlT_T0_E_clISt17integral_constantIbLb0EES17_IbLb1EEEEDaS13_S14_EUlS13_E_NS1_11comp_targetILNS1_3genE5ELNS1_11target_archE942ELNS1_3gpuE9ELNS1_3repE0EEENS1_30default_config_static_selectorELNS0_4arch9wavefront6targetE0EEEvT1_.num_agpr, 0
	.set _ZN7rocprim17ROCPRIM_400000_NS6detail17trampoline_kernelINS0_14default_configENS1_25partition_config_selectorILNS1_17partition_subalgoE6EdNS0_10empty_typeEbEEZZNS1_14partition_implILS5_6ELb0ES3_mN6thrust23THRUST_200600_302600_NS6detail15normal_iteratorINSA_10device_ptrIdEEEEPS6_SG_NS0_5tupleIJSF_S6_EEENSH_IJSG_SG_EEES6_PlJNSB_9not_fun_tINSB_14equal_to_valueIdEEEEEEE10hipError_tPvRmT3_T4_T5_T6_T7_T9_mT8_P12ihipStream_tbDpT10_ENKUlT_T0_E_clISt17integral_constantIbLb0EES17_IbLb1EEEEDaS13_S14_EUlS13_E_NS1_11comp_targetILNS1_3genE5ELNS1_11target_archE942ELNS1_3gpuE9ELNS1_3repE0EEENS1_30default_config_static_selectorELNS0_4arch9wavefront6targetE0EEEvT1_.numbered_sgpr, 0
	.set _ZN7rocprim17ROCPRIM_400000_NS6detail17trampoline_kernelINS0_14default_configENS1_25partition_config_selectorILNS1_17partition_subalgoE6EdNS0_10empty_typeEbEEZZNS1_14partition_implILS5_6ELb0ES3_mN6thrust23THRUST_200600_302600_NS6detail15normal_iteratorINSA_10device_ptrIdEEEEPS6_SG_NS0_5tupleIJSF_S6_EEENSH_IJSG_SG_EEES6_PlJNSB_9not_fun_tINSB_14equal_to_valueIdEEEEEEE10hipError_tPvRmT3_T4_T5_T6_T7_T9_mT8_P12ihipStream_tbDpT10_ENKUlT_T0_E_clISt17integral_constantIbLb0EES17_IbLb1EEEEDaS13_S14_EUlS13_E_NS1_11comp_targetILNS1_3genE5ELNS1_11target_archE942ELNS1_3gpuE9ELNS1_3repE0EEENS1_30default_config_static_selectorELNS0_4arch9wavefront6targetE0EEEvT1_.num_named_barrier, 0
	.set _ZN7rocprim17ROCPRIM_400000_NS6detail17trampoline_kernelINS0_14default_configENS1_25partition_config_selectorILNS1_17partition_subalgoE6EdNS0_10empty_typeEbEEZZNS1_14partition_implILS5_6ELb0ES3_mN6thrust23THRUST_200600_302600_NS6detail15normal_iteratorINSA_10device_ptrIdEEEEPS6_SG_NS0_5tupleIJSF_S6_EEENSH_IJSG_SG_EEES6_PlJNSB_9not_fun_tINSB_14equal_to_valueIdEEEEEEE10hipError_tPvRmT3_T4_T5_T6_T7_T9_mT8_P12ihipStream_tbDpT10_ENKUlT_T0_E_clISt17integral_constantIbLb0EES17_IbLb1EEEEDaS13_S14_EUlS13_E_NS1_11comp_targetILNS1_3genE5ELNS1_11target_archE942ELNS1_3gpuE9ELNS1_3repE0EEENS1_30default_config_static_selectorELNS0_4arch9wavefront6targetE0EEEvT1_.private_seg_size, 0
	.set _ZN7rocprim17ROCPRIM_400000_NS6detail17trampoline_kernelINS0_14default_configENS1_25partition_config_selectorILNS1_17partition_subalgoE6EdNS0_10empty_typeEbEEZZNS1_14partition_implILS5_6ELb0ES3_mN6thrust23THRUST_200600_302600_NS6detail15normal_iteratorINSA_10device_ptrIdEEEEPS6_SG_NS0_5tupleIJSF_S6_EEENSH_IJSG_SG_EEES6_PlJNSB_9not_fun_tINSB_14equal_to_valueIdEEEEEEE10hipError_tPvRmT3_T4_T5_T6_T7_T9_mT8_P12ihipStream_tbDpT10_ENKUlT_T0_E_clISt17integral_constantIbLb0EES17_IbLb1EEEEDaS13_S14_EUlS13_E_NS1_11comp_targetILNS1_3genE5ELNS1_11target_archE942ELNS1_3gpuE9ELNS1_3repE0EEENS1_30default_config_static_selectorELNS0_4arch9wavefront6targetE0EEEvT1_.uses_vcc, 0
	.set _ZN7rocprim17ROCPRIM_400000_NS6detail17trampoline_kernelINS0_14default_configENS1_25partition_config_selectorILNS1_17partition_subalgoE6EdNS0_10empty_typeEbEEZZNS1_14partition_implILS5_6ELb0ES3_mN6thrust23THRUST_200600_302600_NS6detail15normal_iteratorINSA_10device_ptrIdEEEEPS6_SG_NS0_5tupleIJSF_S6_EEENSH_IJSG_SG_EEES6_PlJNSB_9not_fun_tINSB_14equal_to_valueIdEEEEEEE10hipError_tPvRmT3_T4_T5_T6_T7_T9_mT8_P12ihipStream_tbDpT10_ENKUlT_T0_E_clISt17integral_constantIbLb0EES17_IbLb1EEEEDaS13_S14_EUlS13_E_NS1_11comp_targetILNS1_3genE5ELNS1_11target_archE942ELNS1_3gpuE9ELNS1_3repE0EEENS1_30default_config_static_selectorELNS0_4arch9wavefront6targetE0EEEvT1_.uses_flat_scratch, 0
	.set _ZN7rocprim17ROCPRIM_400000_NS6detail17trampoline_kernelINS0_14default_configENS1_25partition_config_selectorILNS1_17partition_subalgoE6EdNS0_10empty_typeEbEEZZNS1_14partition_implILS5_6ELb0ES3_mN6thrust23THRUST_200600_302600_NS6detail15normal_iteratorINSA_10device_ptrIdEEEEPS6_SG_NS0_5tupleIJSF_S6_EEENSH_IJSG_SG_EEES6_PlJNSB_9not_fun_tINSB_14equal_to_valueIdEEEEEEE10hipError_tPvRmT3_T4_T5_T6_T7_T9_mT8_P12ihipStream_tbDpT10_ENKUlT_T0_E_clISt17integral_constantIbLb0EES17_IbLb1EEEEDaS13_S14_EUlS13_E_NS1_11comp_targetILNS1_3genE5ELNS1_11target_archE942ELNS1_3gpuE9ELNS1_3repE0EEENS1_30default_config_static_selectorELNS0_4arch9wavefront6targetE0EEEvT1_.has_dyn_sized_stack, 0
	.set _ZN7rocprim17ROCPRIM_400000_NS6detail17trampoline_kernelINS0_14default_configENS1_25partition_config_selectorILNS1_17partition_subalgoE6EdNS0_10empty_typeEbEEZZNS1_14partition_implILS5_6ELb0ES3_mN6thrust23THRUST_200600_302600_NS6detail15normal_iteratorINSA_10device_ptrIdEEEEPS6_SG_NS0_5tupleIJSF_S6_EEENSH_IJSG_SG_EEES6_PlJNSB_9not_fun_tINSB_14equal_to_valueIdEEEEEEE10hipError_tPvRmT3_T4_T5_T6_T7_T9_mT8_P12ihipStream_tbDpT10_ENKUlT_T0_E_clISt17integral_constantIbLb0EES17_IbLb1EEEEDaS13_S14_EUlS13_E_NS1_11comp_targetILNS1_3genE5ELNS1_11target_archE942ELNS1_3gpuE9ELNS1_3repE0EEENS1_30default_config_static_selectorELNS0_4arch9wavefront6targetE0EEEvT1_.has_recursion, 0
	.set _ZN7rocprim17ROCPRIM_400000_NS6detail17trampoline_kernelINS0_14default_configENS1_25partition_config_selectorILNS1_17partition_subalgoE6EdNS0_10empty_typeEbEEZZNS1_14partition_implILS5_6ELb0ES3_mN6thrust23THRUST_200600_302600_NS6detail15normal_iteratorINSA_10device_ptrIdEEEEPS6_SG_NS0_5tupleIJSF_S6_EEENSH_IJSG_SG_EEES6_PlJNSB_9not_fun_tINSB_14equal_to_valueIdEEEEEEE10hipError_tPvRmT3_T4_T5_T6_T7_T9_mT8_P12ihipStream_tbDpT10_ENKUlT_T0_E_clISt17integral_constantIbLb0EES17_IbLb1EEEEDaS13_S14_EUlS13_E_NS1_11comp_targetILNS1_3genE5ELNS1_11target_archE942ELNS1_3gpuE9ELNS1_3repE0EEENS1_30default_config_static_selectorELNS0_4arch9wavefront6targetE0EEEvT1_.has_indirect_call, 0
	.section	.AMDGPU.csdata,"",@progbits
; Kernel info:
; codeLenInByte = 0
; TotalNumSgprs: 0
; NumVgprs: 0
; ScratchSize: 0
; MemoryBound: 0
; FloatMode: 240
; IeeeMode: 1
; LDSByteSize: 0 bytes/workgroup (compile time only)
; SGPRBlocks: 0
; VGPRBlocks: 0
; NumSGPRsForWavesPerEU: 1
; NumVGPRsForWavesPerEU: 1
; Occupancy: 16
; WaveLimiterHint : 0
; COMPUTE_PGM_RSRC2:SCRATCH_EN: 0
; COMPUTE_PGM_RSRC2:USER_SGPR: 2
; COMPUTE_PGM_RSRC2:TRAP_HANDLER: 0
; COMPUTE_PGM_RSRC2:TGID_X_EN: 1
; COMPUTE_PGM_RSRC2:TGID_Y_EN: 0
; COMPUTE_PGM_RSRC2:TGID_Z_EN: 0
; COMPUTE_PGM_RSRC2:TIDIG_COMP_CNT: 0
	.section	.text._ZN7rocprim17ROCPRIM_400000_NS6detail17trampoline_kernelINS0_14default_configENS1_25partition_config_selectorILNS1_17partition_subalgoE6EdNS0_10empty_typeEbEEZZNS1_14partition_implILS5_6ELb0ES3_mN6thrust23THRUST_200600_302600_NS6detail15normal_iteratorINSA_10device_ptrIdEEEEPS6_SG_NS0_5tupleIJSF_S6_EEENSH_IJSG_SG_EEES6_PlJNSB_9not_fun_tINSB_14equal_to_valueIdEEEEEEE10hipError_tPvRmT3_T4_T5_T6_T7_T9_mT8_P12ihipStream_tbDpT10_ENKUlT_T0_E_clISt17integral_constantIbLb0EES17_IbLb1EEEEDaS13_S14_EUlS13_E_NS1_11comp_targetILNS1_3genE4ELNS1_11target_archE910ELNS1_3gpuE8ELNS1_3repE0EEENS1_30default_config_static_selectorELNS0_4arch9wavefront6targetE0EEEvT1_,"axG",@progbits,_ZN7rocprim17ROCPRIM_400000_NS6detail17trampoline_kernelINS0_14default_configENS1_25partition_config_selectorILNS1_17partition_subalgoE6EdNS0_10empty_typeEbEEZZNS1_14partition_implILS5_6ELb0ES3_mN6thrust23THRUST_200600_302600_NS6detail15normal_iteratorINSA_10device_ptrIdEEEEPS6_SG_NS0_5tupleIJSF_S6_EEENSH_IJSG_SG_EEES6_PlJNSB_9not_fun_tINSB_14equal_to_valueIdEEEEEEE10hipError_tPvRmT3_T4_T5_T6_T7_T9_mT8_P12ihipStream_tbDpT10_ENKUlT_T0_E_clISt17integral_constantIbLb0EES17_IbLb1EEEEDaS13_S14_EUlS13_E_NS1_11comp_targetILNS1_3genE4ELNS1_11target_archE910ELNS1_3gpuE8ELNS1_3repE0EEENS1_30default_config_static_selectorELNS0_4arch9wavefront6targetE0EEEvT1_,comdat
	.protected	_ZN7rocprim17ROCPRIM_400000_NS6detail17trampoline_kernelINS0_14default_configENS1_25partition_config_selectorILNS1_17partition_subalgoE6EdNS0_10empty_typeEbEEZZNS1_14partition_implILS5_6ELb0ES3_mN6thrust23THRUST_200600_302600_NS6detail15normal_iteratorINSA_10device_ptrIdEEEEPS6_SG_NS0_5tupleIJSF_S6_EEENSH_IJSG_SG_EEES6_PlJNSB_9not_fun_tINSB_14equal_to_valueIdEEEEEEE10hipError_tPvRmT3_T4_T5_T6_T7_T9_mT8_P12ihipStream_tbDpT10_ENKUlT_T0_E_clISt17integral_constantIbLb0EES17_IbLb1EEEEDaS13_S14_EUlS13_E_NS1_11comp_targetILNS1_3genE4ELNS1_11target_archE910ELNS1_3gpuE8ELNS1_3repE0EEENS1_30default_config_static_selectorELNS0_4arch9wavefront6targetE0EEEvT1_ ; -- Begin function _ZN7rocprim17ROCPRIM_400000_NS6detail17trampoline_kernelINS0_14default_configENS1_25partition_config_selectorILNS1_17partition_subalgoE6EdNS0_10empty_typeEbEEZZNS1_14partition_implILS5_6ELb0ES3_mN6thrust23THRUST_200600_302600_NS6detail15normal_iteratorINSA_10device_ptrIdEEEEPS6_SG_NS0_5tupleIJSF_S6_EEENSH_IJSG_SG_EEES6_PlJNSB_9not_fun_tINSB_14equal_to_valueIdEEEEEEE10hipError_tPvRmT3_T4_T5_T6_T7_T9_mT8_P12ihipStream_tbDpT10_ENKUlT_T0_E_clISt17integral_constantIbLb0EES17_IbLb1EEEEDaS13_S14_EUlS13_E_NS1_11comp_targetILNS1_3genE4ELNS1_11target_archE910ELNS1_3gpuE8ELNS1_3repE0EEENS1_30default_config_static_selectorELNS0_4arch9wavefront6targetE0EEEvT1_
	.globl	_ZN7rocprim17ROCPRIM_400000_NS6detail17trampoline_kernelINS0_14default_configENS1_25partition_config_selectorILNS1_17partition_subalgoE6EdNS0_10empty_typeEbEEZZNS1_14partition_implILS5_6ELb0ES3_mN6thrust23THRUST_200600_302600_NS6detail15normal_iteratorINSA_10device_ptrIdEEEEPS6_SG_NS0_5tupleIJSF_S6_EEENSH_IJSG_SG_EEES6_PlJNSB_9not_fun_tINSB_14equal_to_valueIdEEEEEEE10hipError_tPvRmT3_T4_T5_T6_T7_T9_mT8_P12ihipStream_tbDpT10_ENKUlT_T0_E_clISt17integral_constantIbLb0EES17_IbLb1EEEEDaS13_S14_EUlS13_E_NS1_11comp_targetILNS1_3genE4ELNS1_11target_archE910ELNS1_3gpuE8ELNS1_3repE0EEENS1_30default_config_static_selectorELNS0_4arch9wavefront6targetE0EEEvT1_
	.p2align	8
	.type	_ZN7rocprim17ROCPRIM_400000_NS6detail17trampoline_kernelINS0_14default_configENS1_25partition_config_selectorILNS1_17partition_subalgoE6EdNS0_10empty_typeEbEEZZNS1_14partition_implILS5_6ELb0ES3_mN6thrust23THRUST_200600_302600_NS6detail15normal_iteratorINSA_10device_ptrIdEEEEPS6_SG_NS0_5tupleIJSF_S6_EEENSH_IJSG_SG_EEES6_PlJNSB_9not_fun_tINSB_14equal_to_valueIdEEEEEEE10hipError_tPvRmT3_T4_T5_T6_T7_T9_mT8_P12ihipStream_tbDpT10_ENKUlT_T0_E_clISt17integral_constantIbLb0EES17_IbLb1EEEEDaS13_S14_EUlS13_E_NS1_11comp_targetILNS1_3genE4ELNS1_11target_archE910ELNS1_3gpuE8ELNS1_3repE0EEENS1_30default_config_static_selectorELNS0_4arch9wavefront6targetE0EEEvT1_,@function
_ZN7rocprim17ROCPRIM_400000_NS6detail17trampoline_kernelINS0_14default_configENS1_25partition_config_selectorILNS1_17partition_subalgoE6EdNS0_10empty_typeEbEEZZNS1_14partition_implILS5_6ELb0ES3_mN6thrust23THRUST_200600_302600_NS6detail15normal_iteratorINSA_10device_ptrIdEEEEPS6_SG_NS0_5tupleIJSF_S6_EEENSH_IJSG_SG_EEES6_PlJNSB_9not_fun_tINSB_14equal_to_valueIdEEEEEEE10hipError_tPvRmT3_T4_T5_T6_T7_T9_mT8_P12ihipStream_tbDpT10_ENKUlT_T0_E_clISt17integral_constantIbLb0EES17_IbLb1EEEEDaS13_S14_EUlS13_E_NS1_11comp_targetILNS1_3genE4ELNS1_11target_archE910ELNS1_3gpuE8ELNS1_3repE0EEENS1_30default_config_static_selectorELNS0_4arch9wavefront6targetE0EEEvT1_: ; @_ZN7rocprim17ROCPRIM_400000_NS6detail17trampoline_kernelINS0_14default_configENS1_25partition_config_selectorILNS1_17partition_subalgoE6EdNS0_10empty_typeEbEEZZNS1_14partition_implILS5_6ELb0ES3_mN6thrust23THRUST_200600_302600_NS6detail15normal_iteratorINSA_10device_ptrIdEEEEPS6_SG_NS0_5tupleIJSF_S6_EEENSH_IJSG_SG_EEES6_PlJNSB_9not_fun_tINSB_14equal_to_valueIdEEEEEEE10hipError_tPvRmT3_T4_T5_T6_T7_T9_mT8_P12ihipStream_tbDpT10_ENKUlT_T0_E_clISt17integral_constantIbLb0EES17_IbLb1EEEEDaS13_S14_EUlS13_E_NS1_11comp_targetILNS1_3genE4ELNS1_11target_archE910ELNS1_3gpuE8ELNS1_3repE0EEENS1_30default_config_static_selectorELNS0_4arch9wavefront6targetE0EEEvT1_
; %bb.0:
	.section	.rodata,"a",@progbits
	.p2align	6, 0x0
	.amdhsa_kernel _ZN7rocprim17ROCPRIM_400000_NS6detail17trampoline_kernelINS0_14default_configENS1_25partition_config_selectorILNS1_17partition_subalgoE6EdNS0_10empty_typeEbEEZZNS1_14partition_implILS5_6ELb0ES3_mN6thrust23THRUST_200600_302600_NS6detail15normal_iteratorINSA_10device_ptrIdEEEEPS6_SG_NS0_5tupleIJSF_S6_EEENSH_IJSG_SG_EEES6_PlJNSB_9not_fun_tINSB_14equal_to_valueIdEEEEEEE10hipError_tPvRmT3_T4_T5_T6_T7_T9_mT8_P12ihipStream_tbDpT10_ENKUlT_T0_E_clISt17integral_constantIbLb0EES17_IbLb1EEEEDaS13_S14_EUlS13_E_NS1_11comp_targetILNS1_3genE4ELNS1_11target_archE910ELNS1_3gpuE8ELNS1_3repE0EEENS1_30default_config_static_selectorELNS0_4arch9wavefront6targetE0EEEvT1_
		.amdhsa_group_segment_fixed_size 0
		.amdhsa_private_segment_fixed_size 0
		.amdhsa_kernarg_size 128
		.amdhsa_user_sgpr_count 2
		.amdhsa_user_sgpr_dispatch_ptr 0
		.amdhsa_user_sgpr_queue_ptr 0
		.amdhsa_user_sgpr_kernarg_segment_ptr 1
		.amdhsa_user_sgpr_dispatch_id 0
		.amdhsa_user_sgpr_private_segment_size 0
		.amdhsa_wavefront_size32 1
		.amdhsa_uses_dynamic_stack 0
		.amdhsa_enable_private_segment 0
		.amdhsa_system_sgpr_workgroup_id_x 1
		.amdhsa_system_sgpr_workgroup_id_y 0
		.amdhsa_system_sgpr_workgroup_id_z 0
		.amdhsa_system_sgpr_workgroup_info 0
		.amdhsa_system_vgpr_workitem_id 0
		.amdhsa_next_free_vgpr 1
		.amdhsa_next_free_sgpr 1
		.amdhsa_reserve_vcc 0
		.amdhsa_float_round_mode_32 0
		.amdhsa_float_round_mode_16_64 0
		.amdhsa_float_denorm_mode_32 3
		.amdhsa_float_denorm_mode_16_64 3
		.amdhsa_fp16_overflow 0
		.amdhsa_workgroup_processor_mode 1
		.amdhsa_memory_ordered 1
		.amdhsa_forward_progress 1
		.amdhsa_inst_pref_size 0
		.amdhsa_round_robin_scheduling 0
		.amdhsa_exception_fp_ieee_invalid_op 0
		.amdhsa_exception_fp_denorm_src 0
		.amdhsa_exception_fp_ieee_div_zero 0
		.amdhsa_exception_fp_ieee_overflow 0
		.amdhsa_exception_fp_ieee_underflow 0
		.amdhsa_exception_fp_ieee_inexact 0
		.amdhsa_exception_int_div_zero 0
	.end_amdhsa_kernel
	.section	.text._ZN7rocprim17ROCPRIM_400000_NS6detail17trampoline_kernelINS0_14default_configENS1_25partition_config_selectorILNS1_17partition_subalgoE6EdNS0_10empty_typeEbEEZZNS1_14partition_implILS5_6ELb0ES3_mN6thrust23THRUST_200600_302600_NS6detail15normal_iteratorINSA_10device_ptrIdEEEEPS6_SG_NS0_5tupleIJSF_S6_EEENSH_IJSG_SG_EEES6_PlJNSB_9not_fun_tINSB_14equal_to_valueIdEEEEEEE10hipError_tPvRmT3_T4_T5_T6_T7_T9_mT8_P12ihipStream_tbDpT10_ENKUlT_T0_E_clISt17integral_constantIbLb0EES17_IbLb1EEEEDaS13_S14_EUlS13_E_NS1_11comp_targetILNS1_3genE4ELNS1_11target_archE910ELNS1_3gpuE8ELNS1_3repE0EEENS1_30default_config_static_selectorELNS0_4arch9wavefront6targetE0EEEvT1_,"axG",@progbits,_ZN7rocprim17ROCPRIM_400000_NS6detail17trampoline_kernelINS0_14default_configENS1_25partition_config_selectorILNS1_17partition_subalgoE6EdNS0_10empty_typeEbEEZZNS1_14partition_implILS5_6ELb0ES3_mN6thrust23THRUST_200600_302600_NS6detail15normal_iteratorINSA_10device_ptrIdEEEEPS6_SG_NS0_5tupleIJSF_S6_EEENSH_IJSG_SG_EEES6_PlJNSB_9not_fun_tINSB_14equal_to_valueIdEEEEEEE10hipError_tPvRmT3_T4_T5_T6_T7_T9_mT8_P12ihipStream_tbDpT10_ENKUlT_T0_E_clISt17integral_constantIbLb0EES17_IbLb1EEEEDaS13_S14_EUlS13_E_NS1_11comp_targetILNS1_3genE4ELNS1_11target_archE910ELNS1_3gpuE8ELNS1_3repE0EEENS1_30default_config_static_selectorELNS0_4arch9wavefront6targetE0EEEvT1_,comdat
.Lfunc_end303:
	.size	_ZN7rocprim17ROCPRIM_400000_NS6detail17trampoline_kernelINS0_14default_configENS1_25partition_config_selectorILNS1_17partition_subalgoE6EdNS0_10empty_typeEbEEZZNS1_14partition_implILS5_6ELb0ES3_mN6thrust23THRUST_200600_302600_NS6detail15normal_iteratorINSA_10device_ptrIdEEEEPS6_SG_NS0_5tupleIJSF_S6_EEENSH_IJSG_SG_EEES6_PlJNSB_9not_fun_tINSB_14equal_to_valueIdEEEEEEE10hipError_tPvRmT3_T4_T5_T6_T7_T9_mT8_P12ihipStream_tbDpT10_ENKUlT_T0_E_clISt17integral_constantIbLb0EES17_IbLb1EEEEDaS13_S14_EUlS13_E_NS1_11comp_targetILNS1_3genE4ELNS1_11target_archE910ELNS1_3gpuE8ELNS1_3repE0EEENS1_30default_config_static_selectorELNS0_4arch9wavefront6targetE0EEEvT1_, .Lfunc_end303-_ZN7rocprim17ROCPRIM_400000_NS6detail17trampoline_kernelINS0_14default_configENS1_25partition_config_selectorILNS1_17partition_subalgoE6EdNS0_10empty_typeEbEEZZNS1_14partition_implILS5_6ELb0ES3_mN6thrust23THRUST_200600_302600_NS6detail15normal_iteratorINSA_10device_ptrIdEEEEPS6_SG_NS0_5tupleIJSF_S6_EEENSH_IJSG_SG_EEES6_PlJNSB_9not_fun_tINSB_14equal_to_valueIdEEEEEEE10hipError_tPvRmT3_T4_T5_T6_T7_T9_mT8_P12ihipStream_tbDpT10_ENKUlT_T0_E_clISt17integral_constantIbLb0EES17_IbLb1EEEEDaS13_S14_EUlS13_E_NS1_11comp_targetILNS1_3genE4ELNS1_11target_archE910ELNS1_3gpuE8ELNS1_3repE0EEENS1_30default_config_static_selectorELNS0_4arch9wavefront6targetE0EEEvT1_
                                        ; -- End function
	.set _ZN7rocprim17ROCPRIM_400000_NS6detail17trampoline_kernelINS0_14default_configENS1_25partition_config_selectorILNS1_17partition_subalgoE6EdNS0_10empty_typeEbEEZZNS1_14partition_implILS5_6ELb0ES3_mN6thrust23THRUST_200600_302600_NS6detail15normal_iteratorINSA_10device_ptrIdEEEEPS6_SG_NS0_5tupleIJSF_S6_EEENSH_IJSG_SG_EEES6_PlJNSB_9not_fun_tINSB_14equal_to_valueIdEEEEEEE10hipError_tPvRmT3_T4_T5_T6_T7_T9_mT8_P12ihipStream_tbDpT10_ENKUlT_T0_E_clISt17integral_constantIbLb0EES17_IbLb1EEEEDaS13_S14_EUlS13_E_NS1_11comp_targetILNS1_3genE4ELNS1_11target_archE910ELNS1_3gpuE8ELNS1_3repE0EEENS1_30default_config_static_selectorELNS0_4arch9wavefront6targetE0EEEvT1_.num_vgpr, 0
	.set _ZN7rocprim17ROCPRIM_400000_NS6detail17trampoline_kernelINS0_14default_configENS1_25partition_config_selectorILNS1_17partition_subalgoE6EdNS0_10empty_typeEbEEZZNS1_14partition_implILS5_6ELb0ES3_mN6thrust23THRUST_200600_302600_NS6detail15normal_iteratorINSA_10device_ptrIdEEEEPS6_SG_NS0_5tupleIJSF_S6_EEENSH_IJSG_SG_EEES6_PlJNSB_9not_fun_tINSB_14equal_to_valueIdEEEEEEE10hipError_tPvRmT3_T4_T5_T6_T7_T9_mT8_P12ihipStream_tbDpT10_ENKUlT_T0_E_clISt17integral_constantIbLb0EES17_IbLb1EEEEDaS13_S14_EUlS13_E_NS1_11comp_targetILNS1_3genE4ELNS1_11target_archE910ELNS1_3gpuE8ELNS1_3repE0EEENS1_30default_config_static_selectorELNS0_4arch9wavefront6targetE0EEEvT1_.num_agpr, 0
	.set _ZN7rocprim17ROCPRIM_400000_NS6detail17trampoline_kernelINS0_14default_configENS1_25partition_config_selectorILNS1_17partition_subalgoE6EdNS0_10empty_typeEbEEZZNS1_14partition_implILS5_6ELb0ES3_mN6thrust23THRUST_200600_302600_NS6detail15normal_iteratorINSA_10device_ptrIdEEEEPS6_SG_NS0_5tupleIJSF_S6_EEENSH_IJSG_SG_EEES6_PlJNSB_9not_fun_tINSB_14equal_to_valueIdEEEEEEE10hipError_tPvRmT3_T4_T5_T6_T7_T9_mT8_P12ihipStream_tbDpT10_ENKUlT_T0_E_clISt17integral_constantIbLb0EES17_IbLb1EEEEDaS13_S14_EUlS13_E_NS1_11comp_targetILNS1_3genE4ELNS1_11target_archE910ELNS1_3gpuE8ELNS1_3repE0EEENS1_30default_config_static_selectorELNS0_4arch9wavefront6targetE0EEEvT1_.numbered_sgpr, 0
	.set _ZN7rocprim17ROCPRIM_400000_NS6detail17trampoline_kernelINS0_14default_configENS1_25partition_config_selectorILNS1_17partition_subalgoE6EdNS0_10empty_typeEbEEZZNS1_14partition_implILS5_6ELb0ES3_mN6thrust23THRUST_200600_302600_NS6detail15normal_iteratorINSA_10device_ptrIdEEEEPS6_SG_NS0_5tupleIJSF_S6_EEENSH_IJSG_SG_EEES6_PlJNSB_9not_fun_tINSB_14equal_to_valueIdEEEEEEE10hipError_tPvRmT3_T4_T5_T6_T7_T9_mT8_P12ihipStream_tbDpT10_ENKUlT_T0_E_clISt17integral_constantIbLb0EES17_IbLb1EEEEDaS13_S14_EUlS13_E_NS1_11comp_targetILNS1_3genE4ELNS1_11target_archE910ELNS1_3gpuE8ELNS1_3repE0EEENS1_30default_config_static_selectorELNS0_4arch9wavefront6targetE0EEEvT1_.num_named_barrier, 0
	.set _ZN7rocprim17ROCPRIM_400000_NS6detail17trampoline_kernelINS0_14default_configENS1_25partition_config_selectorILNS1_17partition_subalgoE6EdNS0_10empty_typeEbEEZZNS1_14partition_implILS5_6ELb0ES3_mN6thrust23THRUST_200600_302600_NS6detail15normal_iteratorINSA_10device_ptrIdEEEEPS6_SG_NS0_5tupleIJSF_S6_EEENSH_IJSG_SG_EEES6_PlJNSB_9not_fun_tINSB_14equal_to_valueIdEEEEEEE10hipError_tPvRmT3_T4_T5_T6_T7_T9_mT8_P12ihipStream_tbDpT10_ENKUlT_T0_E_clISt17integral_constantIbLb0EES17_IbLb1EEEEDaS13_S14_EUlS13_E_NS1_11comp_targetILNS1_3genE4ELNS1_11target_archE910ELNS1_3gpuE8ELNS1_3repE0EEENS1_30default_config_static_selectorELNS0_4arch9wavefront6targetE0EEEvT1_.private_seg_size, 0
	.set _ZN7rocprim17ROCPRIM_400000_NS6detail17trampoline_kernelINS0_14default_configENS1_25partition_config_selectorILNS1_17partition_subalgoE6EdNS0_10empty_typeEbEEZZNS1_14partition_implILS5_6ELb0ES3_mN6thrust23THRUST_200600_302600_NS6detail15normal_iteratorINSA_10device_ptrIdEEEEPS6_SG_NS0_5tupleIJSF_S6_EEENSH_IJSG_SG_EEES6_PlJNSB_9not_fun_tINSB_14equal_to_valueIdEEEEEEE10hipError_tPvRmT3_T4_T5_T6_T7_T9_mT8_P12ihipStream_tbDpT10_ENKUlT_T0_E_clISt17integral_constantIbLb0EES17_IbLb1EEEEDaS13_S14_EUlS13_E_NS1_11comp_targetILNS1_3genE4ELNS1_11target_archE910ELNS1_3gpuE8ELNS1_3repE0EEENS1_30default_config_static_selectorELNS0_4arch9wavefront6targetE0EEEvT1_.uses_vcc, 0
	.set _ZN7rocprim17ROCPRIM_400000_NS6detail17trampoline_kernelINS0_14default_configENS1_25partition_config_selectorILNS1_17partition_subalgoE6EdNS0_10empty_typeEbEEZZNS1_14partition_implILS5_6ELb0ES3_mN6thrust23THRUST_200600_302600_NS6detail15normal_iteratorINSA_10device_ptrIdEEEEPS6_SG_NS0_5tupleIJSF_S6_EEENSH_IJSG_SG_EEES6_PlJNSB_9not_fun_tINSB_14equal_to_valueIdEEEEEEE10hipError_tPvRmT3_T4_T5_T6_T7_T9_mT8_P12ihipStream_tbDpT10_ENKUlT_T0_E_clISt17integral_constantIbLb0EES17_IbLb1EEEEDaS13_S14_EUlS13_E_NS1_11comp_targetILNS1_3genE4ELNS1_11target_archE910ELNS1_3gpuE8ELNS1_3repE0EEENS1_30default_config_static_selectorELNS0_4arch9wavefront6targetE0EEEvT1_.uses_flat_scratch, 0
	.set _ZN7rocprim17ROCPRIM_400000_NS6detail17trampoline_kernelINS0_14default_configENS1_25partition_config_selectorILNS1_17partition_subalgoE6EdNS0_10empty_typeEbEEZZNS1_14partition_implILS5_6ELb0ES3_mN6thrust23THRUST_200600_302600_NS6detail15normal_iteratorINSA_10device_ptrIdEEEEPS6_SG_NS0_5tupleIJSF_S6_EEENSH_IJSG_SG_EEES6_PlJNSB_9not_fun_tINSB_14equal_to_valueIdEEEEEEE10hipError_tPvRmT3_T4_T5_T6_T7_T9_mT8_P12ihipStream_tbDpT10_ENKUlT_T0_E_clISt17integral_constantIbLb0EES17_IbLb1EEEEDaS13_S14_EUlS13_E_NS1_11comp_targetILNS1_3genE4ELNS1_11target_archE910ELNS1_3gpuE8ELNS1_3repE0EEENS1_30default_config_static_selectorELNS0_4arch9wavefront6targetE0EEEvT1_.has_dyn_sized_stack, 0
	.set _ZN7rocprim17ROCPRIM_400000_NS6detail17trampoline_kernelINS0_14default_configENS1_25partition_config_selectorILNS1_17partition_subalgoE6EdNS0_10empty_typeEbEEZZNS1_14partition_implILS5_6ELb0ES3_mN6thrust23THRUST_200600_302600_NS6detail15normal_iteratorINSA_10device_ptrIdEEEEPS6_SG_NS0_5tupleIJSF_S6_EEENSH_IJSG_SG_EEES6_PlJNSB_9not_fun_tINSB_14equal_to_valueIdEEEEEEE10hipError_tPvRmT3_T4_T5_T6_T7_T9_mT8_P12ihipStream_tbDpT10_ENKUlT_T0_E_clISt17integral_constantIbLb0EES17_IbLb1EEEEDaS13_S14_EUlS13_E_NS1_11comp_targetILNS1_3genE4ELNS1_11target_archE910ELNS1_3gpuE8ELNS1_3repE0EEENS1_30default_config_static_selectorELNS0_4arch9wavefront6targetE0EEEvT1_.has_recursion, 0
	.set _ZN7rocprim17ROCPRIM_400000_NS6detail17trampoline_kernelINS0_14default_configENS1_25partition_config_selectorILNS1_17partition_subalgoE6EdNS0_10empty_typeEbEEZZNS1_14partition_implILS5_6ELb0ES3_mN6thrust23THRUST_200600_302600_NS6detail15normal_iteratorINSA_10device_ptrIdEEEEPS6_SG_NS0_5tupleIJSF_S6_EEENSH_IJSG_SG_EEES6_PlJNSB_9not_fun_tINSB_14equal_to_valueIdEEEEEEE10hipError_tPvRmT3_T4_T5_T6_T7_T9_mT8_P12ihipStream_tbDpT10_ENKUlT_T0_E_clISt17integral_constantIbLb0EES17_IbLb1EEEEDaS13_S14_EUlS13_E_NS1_11comp_targetILNS1_3genE4ELNS1_11target_archE910ELNS1_3gpuE8ELNS1_3repE0EEENS1_30default_config_static_selectorELNS0_4arch9wavefront6targetE0EEEvT1_.has_indirect_call, 0
	.section	.AMDGPU.csdata,"",@progbits
; Kernel info:
; codeLenInByte = 0
; TotalNumSgprs: 0
; NumVgprs: 0
; ScratchSize: 0
; MemoryBound: 0
; FloatMode: 240
; IeeeMode: 1
; LDSByteSize: 0 bytes/workgroup (compile time only)
; SGPRBlocks: 0
; VGPRBlocks: 0
; NumSGPRsForWavesPerEU: 1
; NumVGPRsForWavesPerEU: 1
; Occupancy: 16
; WaveLimiterHint : 0
; COMPUTE_PGM_RSRC2:SCRATCH_EN: 0
; COMPUTE_PGM_RSRC2:USER_SGPR: 2
; COMPUTE_PGM_RSRC2:TRAP_HANDLER: 0
; COMPUTE_PGM_RSRC2:TGID_X_EN: 1
; COMPUTE_PGM_RSRC2:TGID_Y_EN: 0
; COMPUTE_PGM_RSRC2:TGID_Z_EN: 0
; COMPUTE_PGM_RSRC2:TIDIG_COMP_CNT: 0
	.section	.text._ZN7rocprim17ROCPRIM_400000_NS6detail17trampoline_kernelINS0_14default_configENS1_25partition_config_selectorILNS1_17partition_subalgoE6EdNS0_10empty_typeEbEEZZNS1_14partition_implILS5_6ELb0ES3_mN6thrust23THRUST_200600_302600_NS6detail15normal_iteratorINSA_10device_ptrIdEEEEPS6_SG_NS0_5tupleIJSF_S6_EEENSH_IJSG_SG_EEES6_PlJNSB_9not_fun_tINSB_14equal_to_valueIdEEEEEEE10hipError_tPvRmT3_T4_T5_T6_T7_T9_mT8_P12ihipStream_tbDpT10_ENKUlT_T0_E_clISt17integral_constantIbLb0EES17_IbLb1EEEEDaS13_S14_EUlS13_E_NS1_11comp_targetILNS1_3genE3ELNS1_11target_archE908ELNS1_3gpuE7ELNS1_3repE0EEENS1_30default_config_static_selectorELNS0_4arch9wavefront6targetE0EEEvT1_,"axG",@progbits,_ZN7rocprim17ROCPRIM_400000_NS6detail17trampoline_kernelINS0_14default_configENS1_25partition_config_selectorILNS1_17partition_subalgoE6EdNS0_10empty_typeEbEEZZNS1_14partition_implILS5_6ELb0ES3_mN6thrust23THRUST_200600_302600_NS6detail15normal_iteratorINSA_10device_ptrIdEEEEPS6_SG_NS0_5tupleIJSF_S6_EEENSH_IJSG_SG_EEES6_PlJNSB_9not_fun_tINSB_14equal_to_valueIdEEEEEEE10hipError_tPvRmT3_T4_T5_T6_T7_T9_mT8_P12ihipStream_tbDpT10_ENKUlT_T0_E_clISt17integral_constantIbLb0EES17_IbLb1EEEEDaS13_S14_EUlS13_E_NS1_11comp_targetILNS1_3genE3ELNS1_11target_archE908ELNS1_3gpuE7ELNS1_3repE0EEENS1_30default_config_static_selectorELNS0_4arch9wavefront6targetE0EEEvT1_,comdat
	.protected	_ZN7rocprim17ROCPRIM_400000_NS6detail17trampoline_kernelINS0_14default_configENS1_25partition_config_selectorILNS1_17partition_subalgoE6EdNS0_10empty_typeEbEEZZNS1_14partition_implILS5_6ELb0ES3_mN6thrust23THRUST_200600_302600_NS6detail15normal_iteratorINSA_10device_ptrIdEEEEPS6_SG_NS0_5tupleIJSF_S6_EEENSH_IJSG_SG_EEES6_PlJNSB_9not_fun_tINSB_14equal_to_valueIdEEEEEEE10hipError_tPvRmT3_T4_T5_T6_T7_T9_mT8_P12ihipStream_tbDpT10_ENKUlT_T0_E_clISt17integral_constantIbLb0EES17_IbLb1EEEEDaS13_S14_EUlS13_E_NS1_11comp_targetILNS1_3genE3ELNS1_11target_archE908ELNS1_3gpuE7ELNS1_3repE0EEENS1_30default_config_static_selectorELNS0_4arch9wavefront6targetE0EEEvT1_ ; -- Begin function _ZN7rocprim17ROCPRIM_400000_NS6detail17trampoline_kernelINS0_14default_configENS1_25partition_config_selectorILNS1_17partition_subalgoE6EdNS0_10empty_typeEbEEZZNS1_14partition_implILS5_6ELb0ES3_mN6thrust23THRUST_200600_302600_NS6detail15normal_iteratorINSA_10device_ptrIdEEEEPS6_SG_NS0_5tupleIJSF_S6_EEENSH_IJSG_SG_EEES6_PlJNSB_9not_fun_tINSB_14equal_to_valueIdEEEEEEE10hipError_tPvRmT3_T4_T5_T6_T7_T9_mT8_P12ihipStream_tbDpT10_ENKUlT_T0_E_clISt17integral_constantIbLb0EES17_IbLb1EEEEDaS13_S14_EUlS13_E_NS1_11comp_targetILNS1_3genE3ELNS1_11target_archE908ELNS1_3gpuE7ELNS1_3repE0EEENS1_30default_config_static_selectorELNS0_4arch9wavefront6targetE0EEEvT1_
	.globl	_ZN7rocprim17ROCPRIM_400000_NS6detail17trampoline_kernelINS0_14default_configENS1_25partition_config_selectorILNS1_17partition_subalgoE6EdNS0_10empty_typeEbEEZZNS1_14partition_implILS5_6ELb0ES3_mN6thrust23THRUST_200600_302600_NS6detail15normal_iteratorINSA_10device_ptrIdEEEEPS6_SG_NS0_5tupleIJSF_S6_EEENSH_IJSG_SG_EEES6_PlJNSB_9not_fun_tINSB_14equal_to_valueIdEEEEEEE10hipError_tPvRmT3_T4_T5_T6_T7_T9_mT8_P12ihipStream_tbDpT10_ENKUlT_T0_E_clISt17integral_constantIbLb0EES17_IbLb1EEEEDaS13_S14_EUlS13_E_NS1_11comp_targetILNS1_3genE3ELNS1_11target_archE908ELNS1_3gpuE7ELNS1_3repE0EEENS1_30default_config_static_selectorELNS0_4arch9wavefront6targetE0EEEvT1_
	.p2align	8
	.type	_ZN7rocprim17ROCPRIM_400000_NS6detail17trampoline_kernelINS0_14default_configENS1_25partition_config_selectorILNS1_17partition_subalgoE6EdNS0_10empty_typeEbEEZZNS1_14partition_implILS5_6ELb0ES3_mN6thrust23THRUST_200600_302600_NS6detail15normal_iteratorINSA_10device_ptrIdEEEEPS6_SG_NS0_5tupleIJSF_S6_EEENSH_IJSG_SG_EEES6_PlJNSB_9not_fun_tINSB_14equal_to_valueIdEEEEEEE10hipError_tPvRmT3_T4_T5_T6_T7_T9_mT8_P12ihipStream_tbDpT10_ENKUlT_T0_E_clISt17integral_constantIbLb0EES17_IbLb1EEEEDaS13_S14_EUlS13_E_NS1_11comp_targetILNS1_3genE3ELNS1_11target_archE908ELNS1_3gpuE7ELNS1_3repE0EEENS1_30default_config_static_selectorELNS0_4arch9wavefront6targetE0EEEvT1_,@function
_ZN7rocprim17ROCPRIM_400000_NS6detail17trampoline_kernelINS0_14default_configENS1_25partition_config_selectorILNS1_17partition_subalgoE6EdNS0_10empty_typeEbEEZZNS1_14partition_implILS5_6ELb0ES3_mN6thrust23THRUST_200600_302600_NS6detail15normal_iteratorINSA_10device_ptrIdEEEEPS6_SG_NS0_5tupleIJSF_S6_EEENSH_IJSG_SG_EEES6_PlJNSB_9not_fun_tINSB_14equal_to_valueIdEEEEEEE10hipError_tPvRmT3_T4_T5_T6_T7_T9_mT8_P12ihipStream_tbDpT10_ENKUlT_T0_E_clISt17integral_constantIbLb0EES17_IbLb1EEEEDaS13_S14_EUlS13_E_NS1_11comp_targetILNS1_3genE3ELNS1_11target_archE908ELNS1_3gpuE7ELNS1_3repE0EEENS1_30default_config_static_selectorELNS0_4arch9wavefront6targetE0EEEvT1_: ; @_ZN7rocprim17ROCPRIM_400000_NS6detail17trampoline_kernelINS0_14default_configENS1_25partition_config_selectorILNS1_17partition_subalgoE6EdNS0_10empty_typeEbEEZZNS1_14partition_implILS5_6ELb0ES3_mN6thrust23THRUST_200600_302600_NS6detail15normal_iteratorINSA_10device_ptrIdEEEEPS6_SG_NS0_5tupleIJSF_S6_EEENSH_IJSG_SG_EEES6_PlJNSB_9not_fun_tINSB_14equal_to_valueIdEEEEEEE10hipError_tPvRmT3_T4_T5_T6_T7_T9_mT8_P12ihipStream_tbDpT10_ENKUlT_T0_E_clISt17integral_constantIbLb0EES17_IbLb1EEEEDaS13_S14_EUlS13_E_NS1_11comp_targetILNS1_3genE3ELNS1_11target_archE908ELNS1_3gpuE7ELNS1_3repE0EEENS1_30default_config_static_selectorELNS0_4arch9wavefront6targetE0EEEvT1_
; %bb.0:
	.section	.rodata,"a",@progbits
	.p2align	6, 0x0
	.amdhsa_kernel _ZN7rocprim17ROCPRIM_400000_NS6detail17trampoline_kernelINS0_14default_configENS1_25partition_config_selectorILNS1_17partition_subalgoE6EdNS0_10empty_typeEbEEZZNS1_14partition_implILS5_6ELb0ES3_mN6thrust23THRUST_200600_302600_NS6detail15normal_iteratorINSA_10device_ptrIdEEEEPS6_SG_NS0_5tupleIJSF_S6_EEENSH_IJSG_SG_EEES6_PlJNSB_9not_fun_tINSB_14equal_to_valueIdEEEEEEE10hipError_tPvRmT3_T4_T5_T6_T7_T9_mT8_P12ihipStream_tbDpT10_ENKUlT_T0_E_clISt17integral_constantIbLb0EES17_IbLb1EEEEDaS13_S14_EUlS13_E_NS1_11comp_targetILNS1_3genE3ELNS1_11target_archE908ELNS1_3gpuE7ELNS1_3repE0EEENS1_30default_config_static_selectorELNS0_4arch9wavefront6targetE0EEEvT1_
		.amdhsa_group_segment_fixed_size 0
		.amdhsa_private_segment_fixed_size 0
		.amdhsa_kernarg_size 128
		.amdhsa_user_sgpr_count 2
		.amdhsa_user_sgpr_dispatch_ptr 0
		.amdhsa_user_sgpr_queue_ptr 0
		.amdhsa_user_sgpr_kernarg_segment_ptr 1
		.amdhsa_user_sgpr_dispatch_id 0
		.amdhsa_user_sgpr_private_segment_size 0
		.amdhsa_wavefront_size32 1
		.amdhsa_uses_dynamic_stack 0
		.amdhsa_enable_private_segment 0
		.amdhsa_system_sgpr_workgroup_id_x 1
		.amdhsa_system_sgpr_workgroup_id_y 0
		.amdhsa_system_sgpr_workgroup_id_z 0
		.amdhsa_system_sgpr_workgroup_info 0
		.amdhsa_system_vgpr_workitem_id 0
		.amdhsa_next_free_vgpr 1
		.amdhsa_next_free_sgpr 1
		.amdhsa_reserve_vcc 0
		.amdhsa_float_round_mode_32 0
		.amdhsa_float_round_mode_16_64 0
		.amdhsa_float_denorm_mode_32 3
		.amdhsa_float_denorm_mode_16_64 3
		.amdhsa_fp16_overflow 0
		.amdhsa_workgroup_processor_mode 1
		.amdhsa_memory_ordered 1
		.amdhsa_forward_progress 1
		.amdhsa_inst_pref_size 0
		.amdhsa_round_robin_scheduling 0
		.amdhsa_exception_fp_ieee_invalid_op 0
		.amdhsa_exception_fp_denorm_src 0
		.amdhsa_exception_fp_ieee_div_zero 0
		.amdhsa_exception_fp_ieee_overflow 0
		.amdhsa_exception_fp_ieee_underflow 0
		.amdhsa_exception_fp_ieee_inexact 0
		.amdhsa_exception_int_div_zero 0
	.end_amdhsa_kernel
	.section	.text._ZN7rocprim17ROCPRIM_400000_NS6detail17trampoline_kernelINS0_14default_configENS1_25partition_config_selectorILNS1_17partition_subalgoE6EdNS0_10empty_typeEbEEZZNS1_14partition_implILS5_6ELb0ES3_mN6thrust23THRUST_200600_302600_NS6detail15normal_iteratorINSA_10device_ptrIdEEEEPS6_SG_NS0_5tupleIJSF_S6_EEENSH_IJSG_SG_EEES6_PlJNSB_9not_fun_tINSB_14equal_to_valueIdEEEEEEE10hipError_tPvRmT3_T4_T5_T6_T7_T9_mT8_P12ihipStream_tbDpT10_ENKUlT_T0_E_clISt17integral_constantIbLb0EES17_IbLb1EEEEDaS13_S14_EUlS13_E_NS1_11comp_targetILNS1_3genE3ELNS1_11target_archE908ELNS1_3gpuE7ELNS1_3repE0EEENS1_30default_config_static_selectorELNS0_4arch9wavefront6targetE0EEEvT1_,"axG",@progbits,_ZN7rocprim17ROCPRIM_400000_NS6detail17trampoline_kernelINS0_14default_configENS1_25partition_config_selectorILNS1_17partition_subalgoE6EdNS0_10empty_typeEbEEZZNS1_14partition_implILS5_6ELb0ES3_mN6thrust23THRUST_200600_302600_NS6detail15normal_iteratorINSA_10device_ptrIdEEEEPS6_SG_NS0_5tupleIJSF_S6_EEENSH_IJSG_SG_EEES6_PlJNSB_9not_fun_tINSB_14equal_to_valueIdEEEEEEE10hipError_tPvRmT3_T4_T5_T6_T7_T9_mT8_P12ihipStream_tbDpT10_ENKUlT_T0_E_clISt17integral_constantIbLb0EES17_IbLb1EEEEDaS13_S14_EUlS13_E_NS1_11comp_targetILNS1_3genE3ELNS1_11target_archE908ELNS1_3gpuE7ELNS1_3repE0EEENS1_30default_config_static_selectorELNS0_4arch9wavefront6targetE0EEEvT1_,comdat
.Lfunc_end304:
	.size	_ZN7rocprim17ROCPRIM_400000_NS6detail17trampoline_kernelINS0_14default_configENS1_25partition_config_selectorILNS1_17partition_subalgoE6EdNS0_10empty_typeEbEEZZNS1_14partition_implILS5_6ELb0ES3_mN6thrust23THRUST_200600_302600_NS6detail15normal_iteratorINSA_10device_ptrIdEEEEPS6_SG_NS0_5tupleIJSF_S6_EEENSH_IJSG_SG_EEES6_PlJNSB_9not_fun_tINSB_14equal_to_valueIdEEEEEEE10hipError_tPvRmT3_T4_T5_T6_T7_T9_mT8_P12ihipStream_tbDpT10_ENKUlT_T0_E_clISt17integral_constantIbLb0EES17_IbLb1EEEEDaS13_S14_EUlS13_E_NS1_11comp_targetILNS1_3genE3ELNS1_11target_archE908ELNS1_3gpuE7ELNS1_3repE0EEENS1_30default_config_static_selectorELNS0_4arch9wavefront6targetE0EEEvT1_, .Lfunc_end304-_ZN7rocprim17ROCPRIM_400000_NS6detail17trampoline_kernelINS0_14default_configENS1_25partition_config_selectorILNS1_17partition_subalgoE6EdNS0_10empty_typeEbEEZZNS1_14partition_implILS5_6ELb0ES3_mN6thrust23THRUST_200600_302600_NS6detail15normal_iteratorINSA_10device_ptrIdEEEEPS6_SG_NS0_5tupleIJSF_S6_EEENSH_IJSG_SG_EEES6_PlJNSB_9not_fun_tINSB_14equal_to_valueIdEEEEEEE10hipError_tPvRmT3_T4_T5_T6_T7_T9_mT8_P12ihipStream_tbDpT10_ENKUlT_T0_E_clISt17integral_constantIbLb0EES17_IbLb1EEEEDaS13_S14_EUlS13_E_NS1_11comp_targetILNS1_3genE3ELNS1_11target_archE908ELNS1_3gpuE7ELNS1_3repE0EEENS1_30default_config_static_selectorELNS0_4arch9wavefront6targetE0EEEvT1_
                                        ; -- End function
	.set _ZN7rocprim17ROCPRIM_400000_NS6detail17trampoline_kernelINS0_14default_configENS1_25partition_config_selectorILNS1_17partition_subalgoE6EdNS0_10empty_typeEbEEZZNS1_14partition_implILS5_6ELb0ES3_mN6thrust23THRUST_200600_302600_NS6detail15normal_iteratorINSA_10device_ptrIdEEEEPS6_SG_NS0_5tupleIJSF_S6_EEENSH_IJSG_SG_EEES6_PlJNSB_9not_fun_tINSB_14equal_to_valueIdEEEEEEE10hipError_tPvRmT3_T4_T5_T6_T7_T9_mT8_P12ihipStream_tbDpT10_ENKUlT_T0_E_clISt17integral_constantIbLb0EES17_IbLb1EEEEDaS13_S14_EUlS13_E_NS1_11comp_targetILNS1_3genE3ELNS1_11target_archE908ELNS1_3gpuE7ELNS1_3repE0EEENS1_30default_config_static_selectorELNS0_4arch9wavefront6targetE0EEEvT1_.num_vgpr, 0
	.set _ZN7rocprim17ROCPRIM_400000_NS6detail17trampoline_kernelINS0_14default_configENS1_25partition_config_selectorILNS1_17partition_subalgoE6EdNS0_10empty_typeEbEEZZNS1_14partition_implILS5_6ELb0ES3_mN6thrust23THRUST_200600_302600_NS6detail15normal_iteratorINSA_10device_ptrIdEEEEPS6_SG_NS0_5tupleIJSF_S6_EEENSH_IJSG_SG_EEES6_PlJNSB_9not_fun_tINSB_14equal_to_valueIdEEEEEEE10hipError_tPvRmT3_T4_T5_T6_T7_T9_mT8_P12ihipStream_tbDpT10_ENKUlT_T0_E_clISt17integral_constantIbLb0EES17_IbLb1EEEEDaS13_S14_EUlS13_E_NS1_11comp_targetILNS1_3genE3ELNS1_11target_archE908ELNS1_3gpuE7ELNS1_3repE0EEENS1_30default_config_static_selectorELNS0_4arch9wavefront6targetE0EEEvT1_.num_agpr, 0
	.set _ZN7rocprim17ROCPRIM_400000_NS6detail17trampoline_kernelINS0_14default_configENS1_25partition_config_selectorILNS1_17partition_subalgoE6EdNS0_10empty_typeEbEEZZNS1_14partition_implILS5_6ELb0ES3_mN6thrust23THRUST_200600_302600_NS6detail15normal_iteratorINSA_10device_ptrIdEEEEPS6_SG_NS0_5tupleIJSF_S6_EEENSH_IJSG_SG_EEES6_PlJNSB_9not_fun_tINSB_14equal_to_valueIdEEEEEEE10hipError_tPvRmT3_T4_T5_T6_T7_T9_mT8_P12ihipStream_tbDpT10_ENKUlT_T0_E_clISt17integral_constantIbLb0EES17_IbLb1EEEEDaS13_S14_EUlS13_E_NS1_11comp_targetILNS1_3genE3ELNS1_11target_archE908ELNS1_3gpuE7ELNS1_3repE0EEENS1_30default_config_static_selectorELNS0_4arch9wavefront6targetE0EEEvT1_.numbered_sgpr, 0
	.set _ZN7rocprim17ROCPRIM_400000_NS6detail17trampoline_kernelINS0_14default_configENS1_25partition_config_selectorILNS1_17partition_subalgoE6EdNS0_10empty_typeEbEEZZNS1_14partition_implILS5_6ELb0ES3_mN6thrust23THRUST_200600_302600_NS6detail15normal_iteratorINSA_10device_ptrIdEEEEPS6_SG_NS0_5tupleIJSF_S6_EEENSH_IJSG_SG_EEES6_PlJNSB_9not_fun_tINSB_14equal_to_valueIdEEEEEEE10hipError_tPvRmT3_T4_T5_T6_T7_T9_mT8_P12ihipStream_tbDpT10_ENKUlT_T0_E_clISt17integral_constantIbLb0EES17_IbLb1EEEEDaS13_S14_EUlS13_E_NS1_11comp_targetILNS1_3genE3ELNS1_11target_archE908ELNS1_3gpuE7ELNS1_3repE0EEENS1_30default_config_static_selectorELNS0_4arch9wavefront6targetE0EEEvT1_.num_named_barrier, 0
	.set _ZN7rocprim17ROCPRIM_400000_NS6detail17trampoline_kernelINS0_14default_configENS1_25partition_config_selectorILNS1_17partition_subalgoE6EdNS0_10empty_typeEbEEZZNS1_14partition_implILS5_6ELb0ES3_mN6thrust23THRUST_200600_302600_NS6detail15normal_iteratorINSA_10device_ptrIdEEEEPS6_SG_NS0_5tupleIJSF_S6_EEENSH_IJSG_SG_EEES6_PlJNSB_9not_fun_tINSB_14equal_to_valueIdEEEEEEE10hipError_tPvRmT3_T4_T5_T6_T7_T9_mT8_P12ihipStream_tbDpT10_ENKUlT_T0_E_clISt17integral_constantIbLb0EES17_IbLb1EEEEDaS13_S14_EUlS13_E_NS1_11comp_targetILNS1_3genE3ELNS1_11target_archE908ELNS1_3gpuE7ELNS1_3repE0EEENS1_30default_config_static_selectorELNS0_4arch9wavefront6targetE0EEEvT1_.private_seg_size, 0
	.set _ZN7rocprim17ROCPRIM_400000_NS6detail17trampoline_kernelINS0_14default_configENS1_25partition_config_selectorILNS1_17partition_subalgoE6EdNS0_10empty_typeEbEEZZNS1_14partition_implILS5_6ELb0ES3_mN6thrust23THRUST_200600_302600_NS6detail15normal_iteratorINSA_10device_ptrIdEEEEPS6_SG_NS0_5tupleIJSF_S6_EEENSH_IJSG_SG_EEES6_PlJNSB_9not_fun_tINSB_14equal_to_valueIdEEEEEEE10hipError_tPvRmT3_T4_T5_T6_T7_T9_mT8_P12ihipStream_tbDpT10_ENKUlT_T0_E_clISt17integral_constantIbLb0EES17_IbLb1EEEEDaS13_S14_EUlS13_E_NS1_11comp_targetILNS1_3genE3ELNS1_11target_archE908ELNS1_3gpuE7ELNS1_3repE0EEENS1_30default_config_static_selectorELNS0_4arch9wavefront6targetE0EEEvT1_.uses_vcc, 0
	.set _ZN7rocprim17ROCPRIM_400000_NS6detail17trampoline_kernelINS0_14default_configENS1_25partition_config_selectorILNS1_17partition_subalgoE6EdNS0_10empty_typeEbEEZZNS1_14partition_implILS5_6ELb0ES3_mN6thrust23THRUST_200600_302600_NS6detail15normal_iteratorINSA_10device_ptrIdEEEEPS6_SG_NS0_5tupleIJSF_S6_EEENSH_IJSG_SG_EEES6_PlJNSB_9not_fun_tINSB_14equal_to_valueIdEEEEEEE10hipError_tPvRmT3_T4_T5_T6_T7_T9_mT8_P12ihipStream_tbDpT10_ENKUlT_T0_E_clISt17integral_constantIbLb0EES17_IbLb1EEEEDaS13_S14_EUlS13_E_NS1_11comp_targetILNS1_3genE3ELNS1_11target_archE908ELNS1_3gpuE7ELNS1_3repE0EEENS1_30default_config_static_selectorELNS0_4arch9wavefront6targetE0EEEvT1_.uses_flat_scratch, 0
	.set _ZN7rocprim17ROCPRIM_400000_NS6detail17trampoline_kernelINS0_14default_configENS1_25partition_config_selectorILNS1_17partition_subalgoE6EdNS0_10empty_typeEbEEZZNS1_14partition_implILS5_6ELb0ES3_mN6thrust23THRUST_200600_302600_NS6detail15normal_iteratorINSA_10device_ptrIdEEEEPS6_SG_NS0_5tupleIJSF_S6_EEENSH_IJSG_SG_EEES6_PlJNSB_9not_fun_tINSB_14equal_to_valueIdEEEEEEE10hipError_tPvRmT3_T4_T5_T6_T7_T9_mT8_P12ihipStream_tbDpT10_ENKUlT_T0_E_clISt17integral_constantIbLb0EES17_IbLb1EEEEDaS13_S14_EUlS13_E_NS1_11comp_targetILNS1_3genE3ELNS1_11target_archE908ELNS1_3gpuE7ELNS1_3repE0EEENS1_30default_config_static_selectorELNS0_4arch9wavefront6targetE0EEEvT1_.has_dyn_sized_stack, 0
	.set _ZN7rocprim17ROCPRIM_400000_NS6detail17trampoline_kernelINS0_14default_configENS1_25partition_config_selectorILNS1_17partition_subalgoE6EdNS0_10empty_typeEbEEZZNS1_14partition_implILS5_6ELb0ES3_mN6thrust23THRUST_200600_302600_NS6detail15normal_iteratorINSA_10device_ptrIdEEEEPS6_SG_NS0_5tupleIJSF_S6_EEENSH_IJSG_SG_EEES6_PlJNSB_9not_fun_tINSB_14equal_to_valueIdEEEEEEE10hipError_tPvRmT3_T4_T5_T6_T7_T9_mT8_P12ihipStream_tbDpT10_ENKUlT_T0_E_clISt17integral_constantIbLb0EES17_IbLb1EEEEDaS13_S14_EUlS13_E_NS1_11comp_targetILNS1_3genE3ELNS1_11target_archE908ELNS1_3gpuE7ELNS1_3repE0EEENS1_30default_config_static_selectorELNS0_4arch9wavefront6targetE0EEEvT1_.has_recursion, 0
	.set _ZN7rocprim17ROCPRIM_400000_NS6detail17trampoline_kernelINS0_14default_configENS1_25partition_config_selectorILNS1_17partition_subalgoE6EdNS0_10empty_typeEbEEZZNS1_14partition_implILS5_6ELb0ES3_mN6thrust23THRUST_200600_302600_NS6detail15normal_iteratorINSA_10device_ptrIdEEEEPS6_SG_NS0_5tupleIJSF_S6_EEENSH_IJSG_SG_EEES6_PlJNSB_9not_fun_tINSB_14equal_to_valueIdEEEEEEE10hipError_tPvRmT3_T4_T5_T6_T7_T9_mT8_P12ihipStream_tbDpT10_ENKUlT_T0_E_clISt17integral_constantIbLb0EES17_IbLb1EEEEDaS13_S14_EUlS13_E_NS1_11comp_targetILNS1_3genE3ELNS1_11target_archE908ELNS1_3gpuE7ELNS1_3repE0EEENS1_30default_config_static_selectorELNS0_4arch9wavefront6targetE0EEEvT1_.has_indirect_call, 0
	.section	.AMDGPU.csdata,"",@progbits
; Kernel info:
; codeLenInByte = 0
; TotalNumSgprs: 0
; NumVgprs: 0
; ScratchSize: 0
; MemoryBound: 0
; FloatMode: 240
; IeeeMode: 1
; LDSByteSize: 0 bytes/workgroup (compile time only)
; SGPRBlocks: 0
; VGPRBlocks: 0
; NumSGPRsForWavesPerEU: 1
; NumVGPRsForWavesPerEU: 1
; Occupancy: 16
; WaveLimiterHint : 0
; COMPUTE_PGM_RSRC2:SCRATCH_EN: 0
; COMPUTE_PGM_RSRC2:USER_SGPR: 2
; COMPUTE_PGM_RSRC2:TRAP_HANDLER: 0
; COMPUTE_PGM_RSRC2:TGID_X_EN: 1
; COMPUTE_PGM_RSRC2:TGID_Y_EN: 0
; COMPUTE_PGM_RSRC2:TGID_Z_EN: 0
; COMPUTE_PGM_RSRC2:TIDIG_COMP_CNT: 0
	.section	.text._ZN7rocprim17ROCPRIM_400000_NS6detail17trampoline_kernelINS0_14default_configENS1_25partition_config_selectorILNS1_17partition_subalgoE6EdNS0_10empty_typeEbEEZZNS1_14partition_implILS5_6ELb0ES3_mN6thrust23THRUST_200600_302600_NS6detail15normal_iteratorINSA_10device_ptrIdEEEEPS6_SG_NS0_5tupleIJSF_S6_EEENSH_IJSG_SG_EEES6_PlJNSB_9not_fun_tINSB_14equal_to_valueIdEEEEEEE10hipError_tPvRmT3_T4_T5_T6_T7_T9_mT8_P12ihipStream_tbDpT10_ENKUlT_T0_E_clISt17integral_constantIbLb0EES17_IbLb1EEEEDaS13_S14_EUlS13_E_NS1_11comp_targetILNS1_3genE2ELNS1_11target_archE906ELNS1_3gpuE6ELNS1_3repE0EEENS1_30default_config_static_selectorELNS0_4arch9wavefront6targetE0EEEvT1_,"axG",@progbits,_ZN7rocprim17ROCPRIM_400000_NS6detail17trampoline_kernelINS0_14default_configENS1_25partition_config_selectorILNS1_17partition_subalgoE6EdNS0_10empty_typeEbEEZZNS1_14partition_implILS5_6ELb0ES3_mN6thrust23THRUST_200600_302600_NS6detail15normal_iteratorINSA_10device_ptrIdEEEEPS6_SG_NS0_5tupleIJSF_S6_EEENSH_IJSG_SG_EEES6_PlJNSB_9not_fun_tINSB_14equal_to_valueIdEEEEEEE10hipError_tPvRmT3_T4_T5_T6_T7_T9_mT8_P12ihipStream_tbDpT10_ENKUlT_T0_E_clISt17integral_constantIbLb0EES17_IbLb1EEEEDaS13_S14_EUlS13_E_NS1_11comp_targetILNS1_3genE2ELNS1_11target_archE906ELNS1_3gpuE6ELNS1_3repE0EEENS1_30default_config_static_selectorELNS0_4arch9wavefront6targetE0EEEvT1_,comdat
	.protected	_ZN7rocprim17ROCPRIM_400000_NS6detail17trampoline_kernelINS0_14default_configENS1_25partition_config_selectorILNS1_17partition_subalgoE6EdNS0_10empty_typeEbEEZZNS1_14partition_implILS5_6ELb0ES3_mN6thrust23THRUST_200600_302600_NS6detail15normal_iteratorINSA_10device_ptrIdEEEEPS6_SG_NS0_5tupleIJSF_S6_EEENSH_IJSG_SG_EEES6_PlJNSB_9not_fun_tINSB_14equal_to_valueIdEEEEEEE10hipError_tPvRmT3_T4_T5_T6_T7_T9_mT8_P12ihipStream_tbDpT10_ENKUlT_T0_E_clISt17integral_constantIbLb0EES17_IbLb1EEEEDaS13_S14_EUlS13_E_NS1_11comp_targetILNS1_3genE2ELNS1_11target_archE906ELNS1_3gpuE6ELNS1_3repE0EEENS1_30default_config_static_selectorELNS0_4arch9wavefront6targetE0EEEvT1_ ; -- Begin function _ZN7rocprim17ROCPRIM_400000_NS6detail17trampoline_kernelINS0_14default_configENS1_25partition_config_selectorILNS1_17partition_subalgoE6EdNS0_10empty_typeEbEEZZNS1_14partition_implILS5_6ELb0ES3_mN6thrust23THRUST_200600_302600_NS6detail15normal_iteratorINSA_10device_ptrIdEEEEPS6_SG_NS0_5tupleIJSF_S6_EEENSH_IJSG_SG_EEES6_PlJNSB_9not_fun_tINSB_14equal_to_valueIdEEEEEEE10hipError_tPvRmT3_T4_T5_T6_T7_T9_mT8_P12ihipStream_tbDpT10_ENKUlT_T0_E_clISt17integral_constantIbLb0EES17_IbLb1EEEEDaS13_S14_EUlS13_E_NS1_11comp_targetILNS1_3genE2ELNS1_11target_archE906ELNS1_3gpuE6ELNS1_3repE0EEENS1_30default_config_static_selectorELNS0_4arch9wavefront6targetE0EEEvT1_
	.globl	_ZN7rocprim17ROCPRIM_400000_NS6detail17trampoline_kernelINS0_14default_configENS1_25partition_config_selectorILNS1_17partition_subalgoE6EdNS0_10empty_typeEbEEZZNS1_14partition_implILS5_6ELb0ES3_mN6thrust23THRUST_200600_302600_NS6detail15normal_iteratorINSA_10device_ptrIdEEEEPS6_SG_NS0_5tupleIJSF_S6_EEENSH_IJSG_SG_EEES6_PlJNSB_9not_fun_tINSB_14equal_to_valueIdEEEEEEE10hipError_tPvRmT3_T4_T5_T6_T7_T9_mT8_P12ihipStream_tbDpT10_ENKUlT_T0_E_clISt17integral_constantIbLb0EES17_IbLb1EEEEDaS13_S14_EUlS13_E_NS1_11comp_targetILNS1_3genE2ELNS1_11target_archE906ELNS1_3gpuE6ELNS1_3repE0EEENS1_30default_config_static_selectorELNS0_4arch9wavefront6targetE0EEEvT1_
	.p2align	8
	.type	_ZN7rocprim17ROCPRIM_400000_NS6detail17trampoline_kernelINS0_14default_configENS1_25partition_config_selectorILNS1_17partition_subalgoE6EdNS0_10empty_typeEbEEZZNS1_14partition_implILS5_6ELb0ES3_mN6thrust23THRUST_200600_302600_NS6detail15normal_iteratorINSA_10device_ptrIdEEEEPS6_SG_NS0_5tupleIJSF_S6_EEENSH_IJSG_SG_EEES6_PlJNSB_9not_fun_tINSB_14equal_to_valueIdEEEEEEE10hipError_tPvRmT3_T4_T5_T6_T7_T9_mT8_P12ihipStream_tbDpT10_ENKUlT_T0_E_clISt17integral_constantIbLb0EES17_IbLb1EEEEDaS13_S14_EUlS13_E_NS1_11comp_targetILNS1_3genE2ELNS1_11target_archE906ELNS1_3gpuE6ELNS1_3repE0EEENS1_30default_config_static_selectorELNS0_4arch9wavefront6targetE0EEEvT1_,@function
_ZN7rocprim17ROCPRIM_400000_NS6detail17trampoline_kernelINS0_14default_configENS1_25partition_config_selectorILNS1_17partition_subalgoE6EdNS0_10empty_typeEbEEZZNS1_14partition_implILS5_6ELb0ES3_mN6thrust23THRUST_200600_302600_NS6detail15normal_iteratorINSA_10device_ptrIdEEEEPS6_SG_NS0_5tupleIJSF_S6_EEENSH_IJSG_SG_EEES6_PlJNSB_9not_fun_tINSB_14equal_to_valueIdEEEEEEE10hipError_tPvRmT3_T4_T5_T6_T7_T9_mT8_P12ihipStream_tbDpT10_ENKUlT_T0_E_clISt17integral_constantIbLb0EES17_IbLb1EEEEDaS13_S14_EUlS13_E_NS1_11comp_targetILNS1_3genE2ELNS1_11target_archE906ELNS1_3gpuE6ELNS1_3repE0EEENS1_30default_config_static_selectorELNS0_4arch9wavefront6targetE0EEEvT1_: ; @_ZN7rocprim17ROCPRIM_400000_NS6detail17trampoline_kernelINS0_14default_configENS1_25partition_config_selectorILNS1_17partition_subalgoE6EdNS0_10empty_typeEbEEZZNS1_14partition_implILS5_6ELb0ES3_mN6thrust23THRUST_200600_302600_NS6detail15normal_iteratorINSA_10device_ptrIdEEEEPS6_SG_NS0_5tupleIJSF_S6_EEENSH_IJSG_SG_EEES6_PlJNSB_9not_fun_tINSB_14equal_to_valueIdEEEEEEE10hipError_tPvRmT3_T4_T5_T6_T7_T9_mT8_P12ihipStream_tbDpT10_ENKUlT_T0_E_clISt17integral_constantIbLb0EES17_IbLb1EEEEDaS13_S14_EUlS13_E_NS1_11comp_targetILNS1_3genE2ELNS1_11target_archE906ELNS1_3gpuE6ELNS1_3repE0EEENS1_30default_config_static_selectorELNS0_4arch9wavefront6targetE0EEEvT1_
; %bb.0:
	.section	.rodata,"a",@progbits
	.p2align	6, 0x0
	.amdhsa_kernel _ZN7rocprim17ROCPRIM_400000_NS6detail17trampoline_kernelINS0_14default_configENS1_25partition_config_selectorILNS1_17partition_subalgoE6EdNS0_10empty_typeEbEEZZNS1_14partition_implILS5_6ELb0ES3_mN6thrust23THRUST_200600_302600_NS6detail15normal_iteratorINSA_10device_ptrIdEEEEPS6_SG_NS0_5tupleIJSF_S6_EEENSH_IJSG_SG_EEES6_PlJNSB_9not_fun_tINSB_14equal_to_valueIdEEEEEEE10hipError_tPvRmT3_T4_T5_T6_T7_T9_mT8_P12ihipStream_tbDpT10_ENKUlT_T0_E_clISt17integral_constantIbLb0EES17_IbLb1EEEEDaS13_S14_EUlS13_E_NS1_11comp_targetILNS1_3genE2ELNS1_11target_archE906ELNS1_3gpuE6ELNS1_3repE0EEENS1_30default_config_static_selectorELNS0_4arch9wavefront6targetE0EEEvT1_
		.amdhsa_group_segment_fixed_size 0
		.amdhsa_private_segment_fixed_size 0
		.amdhsa_kernarg_size 128
		.amdhsa_user_sgpr_count 2
		.amdhsa_user_sgpr_dispatch_ptr 0
		.amdhsa_user_sgpr_queue_ptr 0
		.amdhsa_user_sgpr_kernarg_segment_ptr 1
		.amdhsa_user_sgpr_dispatch_id 0
		.amdhsa_user_sgpr_private_segment_size 0
		.amdhsa_wavefront_size32 1
		.amdhsa_uses_dynamic_stack 0
		.amdhsa_enable_private_segment 0
		.amdhsa_system_sgpr_workgroup_id_x 1
		.amdhsa_system_sgpr_workgroup_id_y 0
		.amdhsa_system_sgpr_workgroup_id_z 0
		.amdhsa_system_sgpr_workgroup_info 0
		.amdhsa_system_vgpr_workitem_id 0
		.amdhsa_next_free_vgpr 1
		.amdhsa_next_free_sgpr 1
		.amdhsa_reserve_vcc 0
		.amdhsa_float_round_mode_32 0
		.amdhsa_float_round_mode_16_64 0
		.amdhsa_float_denorm_mode_32 3
		.amdhsa_float_denorm_mode_16_64 3
		.amdhsa_fp16_overflow 0
		.amdhsa_workgroup_processor_mode 1
		.amdhsa_memory_ordered 1
		.amdhsa_forward_progress 1
		.amdhsa_inst_pref_size 0
		.amdhsa_round_robin_scheduling 0
		.amdhsa_exception_fp_ieee_invalid_op 0
		.amdhsa_exception_fp_denorm_src 0
		.amdhsa_exception_fp_ieee_div_zero 0
		.amdhsa_exception_fp_ieee_overflow 0
		.amdhsa_exception_fp_ieee_underflow 0
		.amdhsa_exception_fp_ieee_inexact 0
		.amdhsa_exception_int_div_zero 0
	.end_amdhsa_kernel
	.section	.text._ZN7rocprim17ROCPRIM_400000_NS6detail17trampoline_kernelINS0_14default_configENS1_25partition_config_selectorILNS1_17partition_subalgoE6EdNS0_10empty_typeEbEEZZNS1_14partition_implILS5_6ELb0ES3_mN6thrust23THRUST_200600_302600_NS6detail15normal_iteratorINSA_10device_ptrIdEEEEPS6_SG_NS0_5tupleIJSF_S6_EEENSH_IJSG_SG_EEES6_PlJNSB_9not_fun_tINSB_14equal_to_valueIdEEEEEEE10hipError_tPvRmT3_T4_T5_T6_T7_T9_mT8_P12ihipStream_tbDpT10_ENKUlT_T0_E_clISt17integral_constantIbLb0EES17_IbLb1EEEEDaS13_S14_EUlS13_E_NS1_11comp_targetILNS1_3genE2ELNS1_11target_archE906ELNS1_3gpuE6ELNS1_3repE0EEENS1_30default_config_static_selectorELNS0_4arch9wavefront6targetE0EEEvT1_,"axG",@progbits,_ZN7rocprim17ROCPRIM_400000_NS6detail17trampoline_kernelINS0_14default_configENS1_25partition_config_selectorILNS1_17partition_subalgoE6EdNS0_10empty_typeEbEEZZNS1_14partition_implILS5_6ELb0ES3_mN6thrust23THRUST_200600_302600_NS6detail15normal_iteratorINSA_10device_ptrIdEEEEPS6_SG_NS0_5tupleIJSF_S6_EEENSH_IJSG_SG_EEES6_PlJNSB_9not_fun_tINSB_14equal_to_valueIdEEEEEEE10hipError_tPvRmT3_T4_T5_T6_T7_T9_mT8_P12ihipStream_tbDpT10_ENKUlT_T0_E_clISt17integral_constantIbLb0EES17_IbLb1EEEEDaS13_S14_EUlS13_E_NS1_11comp_targetILNS1_3genE2ELNS1_11target_archE906ELNS1_3gpuE6ELNS1_3repE0EEENS1_30default_config_static_selectorELNS0_4arch9wavefront6targetE0EEEvT1_,comdat
.Lfunc_end305:
	.size	_ZN7rocprim17ROCPRIM_400000_NS6detail17trampoline_kernelINS0_14default_configENS1_25partition_config_selectorILNS1_17partition_subalgoE6EdNS0_10empty_typeEbEEZZNS1_14partition_implILS5_6ELb0ES3_mN6thrust23THRUST_200600_302600_NS6detail15normal_iteratorINSA_10device_ptrIdEEEEPS6_SG_NS0_5tupleIJSF_S6_EEENSH_IJSG_SG_EEES6_PlJNSB_9not_fun_tINSB_14equal_to_valueIdEEEEEEE10hipError_tPvRmT3_T4_T5_T6_T7_T9_mT8_P12ihipStream_tbDpT10_ENKUlT_T0_E_clISt17integral_constantIbLb0EES17_IbLb1EEEEDaS13_S14_EUlS13_E_NS1_11comp_targetILNS1_3genE2ELNS1_11target_archE906ELNS1_3gpuE6ELNS1_3repE0EEENS1_30default_config_static_selectorELNS0_4arch9wavefront6targetE0EEEvT1_, .Lfunc_end305-_ZN7rocprim17ROCPRIM_400000_NS6detail17trampoline_kernelINS0_14default_configENS1_25partition_config_selectorILNS1_17partition_subalgoE6EdNS0_10empty_typeEbEEZZNS1_14partition_implILS5_6ELb0ES3_mN6thrust23THRUST_200600_302600_NS6detail15normal_iteratorINSA_10device_ptrIdEEEEPS6_SG_NS0_5tupleIJSF_S6_EEENSH_IJSG_SG_EEES6_PlJNSB_9not_fun_tINSB_14equal_to_valueIdEEEEEEE10hipError_tPvRmT3_T4_T5_T6_T7_T9_mT8_P12ihipStream_tbDpT10_ENKUlT_T0_E_clISt17integral_constantIbLb0EES17_IbLb1EEEEDaS13_S14_EUlS13_E_NS1_11comp_targetILNS1_3genE2ELNS1_11target_archE906ELNS1_3gpuE6ELNS1_3repE0EEENS1_30default_config_static_selectorELNS0_4arch9wavefront6targetE0EEEvT1_
                                        ; -- End function
	.set _ZN7rocprim17ROCPRIM_400000_NS6detail17trampoline_kernelINS0_14default_configENS1_25partition_config_selectorILNS1_17partition_subalgoE6EdNS0_10empty_typeEbEEZZNS1_14partition_implILS5_6ELb0ES3_mN6thrust23THRUST_200600_302600_NS6detail15normal_iteratorINSA_10device_ptrIdEEEEPS6_SG_NS0_5tupleIJSF_S6_EEENSH_IJSG_SG_EEES6_PlJNSB_9not_fun_tINSB_14equal_to_valueIdEEEEEEE10hipError_tPvRmT3_T4_T5_T6_T7_T9_mT8_P12ihipStream_tbDpT10_ENKUlT_T0_E_clISt17integral_constantIbLb0EES17_IbLb1EEEEDaS13_S14_EUlS13_E_NS1_11comp_targetILNS1_3genE2ELNS1_11target_archE906ELNS1_3gpuE6ELNS1_3repE0EEENS1_30default_config_static_selectorELNS0_4arch9wavefront6targetE0EEEvT1_.num_vgpr, 0
	.set _ZN7rocprim17ROCPRIM_400000_NS6detail17trampoline_kernelINS0_14default_configENS1_25partition_config_selectorILNS1_17partition_subalgoE6EdNS0_10empty_typeEbEEZZNS1_14partition_implILS5_6ELb0ES3_mN6thrust23THRUST_200600_302600_NS6detail15normal_iteratorINSA_10device_ptrIdEEEEPS6_SG_NS0_5tupleIJSF_S6_EEENSH_IJSG_SG_EEES6_PlJNSB_9not_fun_tINSB_14equal_to_valueIdEEEEEEE10hipError_tPvRmT3_T4_T5_T6_T7_T9_mT8_P12ihipStream_tbDpT10_ENKUlT_T0_E_clISt17integral_constantIbLb0EES17_IbLb1EEEEDaS13_S14_EUlS13_E_NS1_11comp_targetILNS1_3genE2ELNS1_11target_archE906ELNS1_3gpuE6ELNS1_3repE0EEENS1_30default_config_static_selectorELNS0_4arch9wavefront6targetE0EEEvT1_.num_agpr, 0
	.set _ZN7rocprim17ROCPRIM_400000_NS6detail17trampoline_kernelINS0_14default_configENS1_25partition_config_selectorILNS1_17partition_subalgoE6EdNS0_10empty_typeEbEEZZNS1_14partition_implILS5_6ELb0ES3_mN6thrust23THRUST_200600_302600_NS6detail15normal_iteratorINSA_10device_ptrIdEEEEPS6_SG_NS0_5tupleIJSF_S6_EEENSH_IJSG_SG_EEES6_PlJNSB_9not_fun_tINSB_14equal_to_valueIdEEEEEEE10hipError_tPvRmT3_T4_T5_T6_T7_T9_mT8_P12ihipStream_tbDpT10_ENKUlT_T0_E_clISt17integral_constantIbLb0EES17_IbLb1EEEEDaS13_S14_EUlS13_E_NS1_11comp_targetILNS1_3genE2ELNS1_11target_archE906ELNS1_3gpuE6ELNS1_3repE0EEENS1_30default_config_static_selectorELNS0_4arch9wavefront6targetE0EEEvT1_.numbered_sgpr, 0
	.set _ZN7rocprim17ROCPRIM_400000_NS6detail17trampoline_kernelINS0_14default_configENS1_25partition_config_selectorILNS1_17partition_subalgoE6EdNS0_10empty_typeEbEEZZNS1_14partition_implILS5_6ELb0ES3_mN6thrust23THRUST_200600_302600_NS6detail15normal_iteratorINSA_10device_ptrIdEEEEPS6_SG_NS0_5tupleIJSF_S6_EEENSH_IJSG_SG_EEES6_PlJNSB_9not_fun_tINSB_14equal_to_valueIdEEEEEEE10hipError_tPvRmT3_T4_T5_T6_T7_T9_mT8_P12ihipStream_tbDpT10_ENKUlT_T0_E_clISt17integral_constantIbLb0EES17_IbLb1EEEEDaS13_S14_EUlS13_E_NS1_11comp_targetILNS1_3genE2ELNS1_11target_archE906ELNS1_3gpuE6ELNS1_3repE0EEENS1_30default_config_static_selectorELNS0_4arch9wavefront6targetE0EEEvT1_.num_named_barrier, 0
	.set _ZN7rocprim17ROCPRIM_400000_NS6detail17trampoline_kernelINS0_14default_configENS1_25partition_config_selectorILNS1_17partition_subalgoE6EdNS0_10empty_typeEbEEZZNS1_14partition_implILS5_6ELb0ES3_mN6thrust23THRUST_200600_302600_NS6detail15normal_iteratorINSA_10device_ptrIdEEEEPS6_SG_NS0_5tupleIJSF_S6_EEENSH_IJSG_SG_EEES6_PlJNSB_9not_fun_tINSB_14equal_to_valueIdEEEEEEE10hipError_tPvRmT3_T4_T5_T6_T7_T9_mT8_P12ihipStream_tbDpT10_ENKUlT_T0_E_clISt17integral_constantIbLb0EES17_IbLb1EEEEDaS13_S14_EUlS13_E_NS1_11comp_targetILNS1_3genE2ELNS1_11target_archE906ELNS1_3gpuE6ELNS1_3repE0EEENS1_30default_config_static_selectorELNS0_4arch9wavefront6targetE0EEEvT1_.private_seg_size, 0
	.set _ZN7rocprim17ROCPRIM_400000_NS6detail17trampoline_kernelINS0_14default_configENS1_25partition_config_selectorILNS1_17partition_subalgoE6EdNS0_10empty_typeEbEEZZNS1_14partition_implILS5_6ELb0ES3_mN6thrust23THRUST_200600_302600_NS6detail15normal_iteratorINSA_10device_ptrIdEEEEPS6_SG_NS0_5tupleIJSF_S6_EEENSH_IJSG_SG_EEES6_PlJNSB_9not_fun_tINSB_14equal_to_valueIdEEEEEEE10hipError_tPvRmT3_T4_T5_T6_T7_T9_mT8_P12ihipStream_tbDpT10_ENKUlT_T0_E_clISt17integral_constantIbLb0EES17_IbLb1EEEEDaS13_S14_EUlS13_E_NS1_11comp_targetILNS1_3genE2ELNS1_11target_archE906ELNS1_3gpuE6ELNS1_3repE0EEENS1_30default_config_static_selectorELNS0_4arch9wavefront6targetE0EEEvT1_.uses_vcc, 0
	.set _ZN7rocprim17ROCPRIM_400000_NS6detail17trampoline_kernelINS0_14default_configENS1_25partition_config_selectorILNS1_17partition_subalgoE6EdNS0_10empty_typeEbEEZZNS1_14partition_implILS5_6ELb0ES3_mN6thrust23THRUST_200600_302600_NS6detail15normal_iteratorINSA_10device_ptrIdEEEEPS6_SG_NS0_5tupleIJSF_S6_EEENSH_IJSG_SG_EEES6_PlJNSB_9not_fun_tINSB_14equal_to_valueIdEEEEEEE10hipError_tPvRmT3_T4_T5_T6_T7_T9_mT8_P12ihipStream_tbDpT10_ENKUlT_T0_E_clISt17integral_constantIbLb0EES17_IbLb1EEEEDaS13_S14_EUlS13_E_NS1_11comp_targetILNS1_3genE2ELNS1_11target_archE906ELNS1_3gpuE6ELNS1_3repE0EEENS1_30default_config_static_selectorELNS0_4arch9wavefront6targetE0EEEvT1_.uses_flat_scratch, 0
	.set _ZN7rocprim17ROCPRIM_400000_NS6detail17trampoline_kernelINS0_14default_configENS1_25partition_config_selectorILNS1_17partition_subalgoE6EdNS0_10empty_typeEbEEZZNS1_14partition_implILS5_6ELb0ES3_mN6thrust23THRUST_200600_302600_NS6detail15normal_iteratorINSA_10device_ptrIdEEEEPS6_SG_NS0_5tupleIJSF_S6_EEENSH_IJSG_SG_EEES6_PlJNSB_9not_fun_tINSB_14equal_to_valueIdEEEEEEE10hipError_tPvRmT3_T4_T5_T6_T7_T9_mT8_P12ihipStream_tbDpT10_ENKUlT_T0_E_clISt17integral_constantIbLb0EES17_IbLb1EEEEDaS13_S14_EUlS13_E_NS1_11comp_targetILNS1_3genE2ELNS1_11target_archE906ELNS1_3gpuE6ELNS1_3repE0EEENS1_30default_config_static_selectorELNS0_4arch9wavefront6targetE0EEEvT1_.has_dyn_sized_stack, 0
	.set _ZN7rocprim17ROCPRIM_400000_NS6detail17trampoline_kernelINS0_14default_configENS1_25partition_config_selectorILNS1_17partition_subalgoE6EdNS0_10empty_typeEbEEZZNS1_14partition_implILS5_6ELb0ES3_mN6thrust23THRUST_200600_302600_NS6detail15normal_iteratorINSA_10device_ptrIdEEEEPS6_SG_NS0_5tupleIJSF_S6_EEENSH_IJSG_SG_EEES6_PlJNSB_9not_fun_tINSB_14equal_to_valueIdEEEEEEE10hipError_tPvRmT3_T4_T5_T6_T7_T9_mT8_P12ihipStream_tbDpT10_ENKUlT_T0_E_clISt17integral_constantIbLb0EES17_IbLb1EEEEDaS13_S14_EUlS13_E_NS1_11comp_targetILNS1_3genE2ELNS1_11target_archE906ELNS1_3gpuE6ELNS1_3repE0EEENS1_30default_config_static_selectorELNS0_4arch9wavefront6targetE0EEEvT1_.has_recursion, 0
	.set _ZN7rocprim17ROCPRIM_400000_NS6detail17trampoline_kernelINS0_14default_configENS1_25partition_config_selectorILNS1_17partition_subalgoE6EdNS0_10empty_typeEbEEZZNS1_14partition_implILS5_6ELb0ES3_mN6thrust23THRUST_200600_302600_NS6detail15normal_iteratorINSA_10device_ptrIdEEEEPS6_SG_NS0_5tupleIJSF_S6_EEENSH_IJSG_SG_EEES6_PlJNSB_9not_fun_tINSB_14equal_to_valueIdEEEEEEE10hipError_tPvRmT3_T4_T5_T6_T7_T9_mT8_P12ihipStream_tbDpT10_ENKUlT_T0_E_clISt17integral_constantIbLb0EES17_IbLb1EEEEDaS13_S14_EUlS13_E_NS1_11comp_targetILNS1_3genE2ELNS1_11target_archE906ELNS1_3gpuE6ELNS1_3repE0EEENS1_30default_config_static_selectorELNS0_4arch9wavefront6targetE0EEEvT1_.has_indirect_call, 0
	.section	.AMDGPU.csdata,"",@progbits
; Kernel info:
; codeLenInByte = 0
; TotalNumSgprs: 0
; NumVgprs: 0
; ScratchSize: 0
; MemoryBound: 0
; FloatMode: 240
; IeeeMode: 1
; LDSByteSize: 0 bytes/workgroup (compile time only)
; SGPRBlocks: 0
; VGPRBlocks: 0
; NumSGPRsForWavesPerEU: 1
; NumVGPRsForWavesPerEU: 1
; Occupancy: 16
; WaveLimiterHint : 0
; COMPUTE_PGM_RSRC2:SCRATCH_EN: 0
; COMPUTE_PGM_RSRC2:USER_SGPR: 2
; COMPUTE_PGM_RSRC2:TRAP_HANDLER: 0
; COMPUTE_PGM_RSRC2:TGID_X_EN: 1
; COMPUTE_PGM_RSRC2:TGID_Y_EN: 0
; COMPUTE_PGM_RSRC2:TGID_Z_EN: 0
; COMPUTE_PGM_RSRC2:TIDIG_COMP_CNT: 0
	.section	.text._ZN7rocprim17ROCPRIM_400000_NS6detail17trampoline_kernelINS0_14default_configENS1_25partition_config_selectorILNS1_17partition_subalgoE6EdNS0_10empty_typeEbEEZZNS1_14partition_implILS5_6ELb0ES3_mN6thrust23THRUST_200600_302600_NS6detail15normal_iteratorINSA_10device_ptrIdEEEEPS6_SG_NS0_5tupleIJSF_S6_EEENSH_IJSG_SG_EEES6_PlJNSB_9not_fun_tINSB_14equal_to_valueIdEEEEEEE10hipError_tPvRmT3_T4_T5_T6_T7_T9_mT8_P12ihipStream_tbDpT10_ENKUlT_T0_E_clISt17integral_constantIbLb0EES17_IbLb1EEEEDaS13_S14_EUlS13_E_NS1_11comp_targetILNS1_3genE10ELNS1_11target_archE1200ELNS1_3gpuE4ELNS1_3repE0EEENS1_30default_config_static_selectorELNS0_4arch9wavefront6targetE0EEEvT1_,"axG",@progbits,_ZN7rocprim17ROCPRIM_400000_NS6detail17trampoline_kernelINS0_14default_configENS1_25partition_config_selectorILNS1_17partition_subalgoE6EdNS0_10empty_typeEbEEZZNS1_14partition_implILS5_6ELb0ES3_mN6thrust23THRUST_200600_302600_NS6detail15normal_iteratorINSA_10device_ptrIdEEEEPS6_SG_NS0_5tupleIJSF_S6_EEENSH_IJSG_SG_EEES6_PlJNSB_9not_fun_tINSB_14equal_to_valueIdEEEEEEE10hipError_tPvRmT3_T4_T5_T6_T7_T9_mT8_P12ihipStream_tbDpT10_ENKUlT_T0_E_clISt17integral_constantIbLb0EES17_IbLb1EEEEDaS13_S14_EUlS13_E_NS1_11comp_targetILNS1_3genE10ELNS1_11target_archE1200ELNS1_3gpuE4ELNS1_3repE0EEENS1_30default_config_static_selectorELNS0_4arch9wavefront6targetE0EEEvT1_,comdat
	.protected	_ZN7rocprim17ROCPRIM_400000_NS6detail17trampoline_kernelINS0_14default_configENS1_25partition_config_selectorILNS1_17partition_subalgoE6EdNS0_10empty_typeEbEEZZNS1_14partition_implILS5_6ELb0ES3_mN6thrust23THRUST_200600_302600_NS6detail15normal_iteratorINSA_10device_ptrIdEEEEPS6_SG_NS0_5tupleIJSF_S6_EEENSH_IJSG_SG_EEES6_PlJNSB_9not_fun_tINSB_14equal_to_valueIdEEEEEEE10hipError_tPvRmT3_T4_T5_T6_T7_T9_mT8_P12ihipStream_tbDpT10_ENKUlT_T0_E_clISt17integral_constantIbLb0EES17_IbLb1EEEEDaS13_S14_EUlS13_E_NS1_11comp_targetILNS1_3genE10ELNS1_11target_archE1200ELNS1_3gpuE4ELNS1_3repE0EEENS1_30default_config_static_selectorELNS0_4arch9wavefront6targetE0EEEvT1_ ; -- Begin function _ZN7rocprim17ROCPRIM_400000_NS6detail17trampoline_kernelINS0_14default_configENS1_25partition_config_selectorILNS1_17partition_subalgoE6EdNS0_10empty_typeEbEEZZNS1_14partition_implILS5_6ELb0ES3_mN6thrust23THRUST_200600_302600_NS6detail15normal_iteratorINSA_10device_ptrIdEEEEPS6_SG_NS0_5tupleIJSF_S6_EEENSH_IJSG_SG_EEES6_PlJNSB_9not_fun_tINSB_14equal_to_valueIdEEEEEEE10hipError_tPvRmT3_T4_T5_T6_T7_T9_mT8_P12ihipStream_tbDpT10_ENKUlT_T0_E_clISt17integral_constantIbLb0EES17_IbLb1EEEEDaS13_S14_EUlS13_E_NS1_11comp_targetILNS1_3genE10ELNS1_11target_archE1200ELNS1_3gpuE4ELNS1_3repE0EEENS1_30default_config_static_selectorELNS0_4arch9wavefront6targetE0EEEvT1_
	.globl	_ZN7rocprim17ROCPRIM_400000_NS6detail17trampoline_kernelINS0_14default_configENS1_25partition_config_selectorILNS1_17partition_subalgoE6EdNS0_10empty_typeEbEEZZNS1_14partition_implILS5_6ELb0ES3_mN6thrust23THRUST_200600_302600_NS6detail15normal_iteratorINSA_10device_ptrIdEEEEPS6_SG_NS0_5tupleIJSF_S6_EEENSH_IJSG_SG_EEES6_PlJNSB_9not_fun_tINSB_14equal_to_valueIdEEEEEEE10hipError_tPvRmT3_T4_T5_T6_T7_T9_mT8_P12ihipStream_tbDpT10_ENKUlT_T0_E_clISt17integral_constantIbLb0EES17_IbLb1EEEEDaS13_S14_EUlS13_E_NS1_11comp_targetILNS1_3genE10ELNS1_11target_archE1200ELNS1_3gpuE4ELNS1_3repE0EEENS1_30default_config_static_selectorELNS0_4arch9wavefront6targetE0EEEvT1_
	.p2align	8
	.type	_ZN7rocprim17ROCPRIM_400000_NS6detail17trampoline_kernelINS0_14default_configENS1_25partition_config_selectorILNS1_17partition_subalgoE6EdNS0_10empty_typeEbEEZZNS1_14partition_implILS5_6ELb0ES3_mN6thrust23THRUST_200600_302600_NS6detail15normal_iteratorINSA_10device_ptrIdEEEEPS6_SG_NS0_5tupleIJSF_S6_EEENSH_IJSG_SG_EEES6_PlJNSB_9not_fun_tINSB_14equal_to_valueIdEEEEEEE10hipError_tPvRmT3_T4_T5_T6_T7_T9_mT8_P12ihipStream_tbDpT10_ENKUlT_T0_E_clISt17integral_constantIbLb0EES17_IbLb1EEEEDaS13_S14_EUlS13_E_NS1_11comp_targetILNS1_3genE10ELNS1_11target_archE1200ELNS1_3gpuE4ELNS1_3repE0EEENS1_30default_config_static_selectorELNS0_4arch9wavefront6targetE0EEEvT1_,@function
_ZN7rocprim17ROCPRIM_400000_NS6detail17trampoline_kernelINS0_14default_configENS1_25partition_config_selectorILNS1_17partition_subalgoE6EdNS0_10empty_typeEbEEZZNS1_14partition_implILS5_6ELb0ES3_mN6thrust23THRUST_200600_302600_NS6detail15normal_iteratorINSA_10device_ptrIdEEEEPS6_SG_NS0_5tupleIJSF_S6_EEENSH_IJSG_SG_EEES6_PlJNSB_9not_fun_tINSB_14equal_to_valueIdEEEEEEE10hipError_tPvRmT3_T4_T5_T6_T7_T9_mT8_P12ihipStream_tbDpT10_ENKUlT_T0_E_clISt17integral_constantIbLb0EES17_IbLb1EEEEDaS13_S14_EUlS13_E_NS1_11comp_targetILNS1_3genE10ELNS1_11target_archE1200ELNS1_3gpuE4ELNS1_3repE0EEENS1_30default_config_static_selectorELNS0_4arch9wavefront6targetE0EEEvT1_: ; @_ZN7rocprim17ROCPRIM_400000_NS6detail17trampoline_kernelINS0_14default_configENS1_25partition_config_selectorILNS1_17partition_subalgoE6EdNS0_10empty_typeEbEEZZNS1_14partition_implILS5_6ELb0ES3_mN6thrust23THRUST_200600_302600_NS6detail15normal_iteratorINSA_10device_ptrIdEEEEPS6_SG_NS0_5tupleIJSF_S6_EEENSH_IJSG_SG_EEES6_PlJNSB_9not_fun_tINSB_14equal_to_valueIdEEEEEEE10hipError_tPvRmT3_T4_T5_T6_T7_T9_mT8_P12ihipStream_tbDpT10_ENKUlT_T0_E_clISt17integral_constantIbLb0EES17_IbLb1EEEEDaS13_S14_EUlS13_E_NS1_11comp_targetILNS1_3genE10ELNS1_11target_archE1200ELNS1_3gpuE4ELNS1_3repE0EEENS1_30default_config_static_selectorELNS0_4arch9wavefront6targetE0EEEvT1_
; %bb.0:
	s_clause 0x3
	s_load_b64 s[12:13], s[0:1], 0x28
	s_load_b128 s[8:11], s[0:1], 0x40
	s_load_b64 s[18:19], s[0:1], 0x50
	s_load_b64 s[14:15], s[0:1], 0x60
	v_cmp_eq_u32_e64 s2, 0, v0
	s_and_saveexec_b32 s3, s2
	s_cbranch_execz .LBB306_4
; %bb.1:
	s_mov_b32 s5, exec_lo
	s_mov_b32 s4, exec_lo
	v_mbcnt_lo_u32_b32 v1, s5, 0
                                        ; implicit-def: $vgpr2
	s_delay_alu instid0(VALU_DEP_1)
	v_cmpx_eq_u32_e32 0, v1
	s_cbranch_execz .LBB306_3
; %bb.2:
	s_load_b64 s[6:7], s[0:1], 0x70
	s_bcnt1_i32_b32 s5, s5
	s_wait_alu 0xfffe
	v_dual_mov_b32 v2, 0 :: v_dual_mov_b32 v3, s5
	s_wait_kmcnt 0x0
	global_atomic_add_u32 v2, v2, v3, s[6:7] th:TH_ATOMIC_RETURN scope:SCOPE_DEV
.LBB306_3:
	s_or_b32 exec_lo, exec_lo, s4
	s_wait_loadcnt 0x0
	v_readfirstlane_b32 s4, v2
	s_wait_alu 0xf1ff
	s_delay_alu instid0(VALU_DEP_1)
	v_dual_mov_b32 v2, 0 :: v_dual_add_nc_u32 v1, s4, v1
	ds_store_b32 v2, v1
.LBB306_4:
	s_or_b32 exec_lo, exec_lo, s3
	v_mov_b32_e32 v2, 0
	s_clause 0x2
	s_load_b128 s[4:7], s[0:1], 0x8
	s_load_b32 s3, s[0:1], 0x68
	s_load_b64 s[16:17], s[0:1], 0x78
	s_wait_dscnt 0x0
	s_barrier_signal -1
	s_barrier_wait -1
	global_inv scope:SCOPE_SE
	ds_load_b32 v1, v2
	s_wait_loadcnt_dscnt 0x0
	s_barrier_signal -1
	s_barrier_wait -1
	global_inv scope:SCOPE_SE
	s_wait_kmcnt 0x0
	global_load_b64 v[17:18], v2, s[10:11]
	s_mov_b32 s1, 0
	v_lshrrev_b32_e32 v9, 2, v0
	v_or_b32_e32 v11, 0x200, v0
	v_or_b32_e32 v10, 0x300, v0
	s_lshl_b64 s[20:21], s[6:7], 3
	s_lshl_b32 s0, s3, 10
	s_add_co_i32 s10, s3, -1
	s_add_nc_u64 s[22:23], s[6:7], s[0:1]
	s_lshl_b32 s3, s10, 10
	v_cmp_le_u64_e64 s1, s[18:19], s[22:23]
	s_add_co_i32 s0, s6, s3
	v_readfirstlane_b32 s11, v1
	v_lshlrev_b32_e32 v1, 10, v1
	s_add_nc_u64 s[4:5], s[4:5], s[20:21]
	s_cmp_eq_u32 s11, s10
	s_delay_alu instid0(VALU_DEP_1) | instskip(SKIP_1) | instid1(SALU_CYCLE_1)
	v_lshlrev_b64_e32 v[1:2], 3, v[1:2]
	s_cselect_b32 s6, -1, 0
	s_and_b32 s1, s1, s6
	s_delay_alu instid0(SALU_CYCLE_1) | instskip(SKIP_1) | instid1(VALU_DEP_1)
	s_xor_b32 s7, s1, -1
	s_wait_alu 0xfffe
	v_add_co_u32 v12, vcc_lo, s4, v1
	s_delay_alu instid0(VALU_DEP_1)
	v_add_co_ci_u32_e64 v13, null, s5, v2, vcc_lo
	s_and_b32 vcc_lo, exec_lo, s7
	s_mov_b32 s1, -1
	s_wait_alu 0xfffe
	s_cbranch_vccz .LBB306_6
; %bb.5:
	v_lshlrev_b32_e32 v14, 3, v0
	v_or_b32_e32 v15, 0x100, v0
	v_lshrrev_b32_e32 v16, 2, v11
	v_lshrrev_b32_e32 v19, 2, v10
	v_and_b32_e32 v20, 56, v9
	v_add_co_u32 v1, vcc_lo, v12, v14
	s_wait_alu 0xfffd
	v_add_co_ci_u32_e64 v2, null, 0, v13, vcc_lo
	v_lshrrev_b32_e32 v15, 2, v15
	v_and_b32_e32 v16, 0xb8, v16
	v_and_b32_e32 v19, 0xf8, v19
	s_clause 0x3
	flat_load_b64 v[3:4], v[1:2]
	flat_load_b64 v[5:6], v[1:2] offset:2048
	flat_load_b64 v[7:8], v[1:2] offset:4096
	;; [unrolled: 1-line block ×3, first 2 shown]
	v_add_nc_u32_e32 v20, v20, v14
	v_and_b32_e32 v15, 0x78, v15
	v_add_nc_u32_e32 v16, v16, v14
	s_mov_b32 s1, 0
	s_delay_alu instid0(VALU_DEP_2)
	v_add_nc_u32_e32 v15, v15, v14
	v_add_nc_u32_e32 v14, v19, v14
	s_wait_loadcnt_dscnt 0x303
	ds_store_b64 v20, v[3:4]
	s_wait_loadcnt_dscnt 0x203
	ds_store_b64 v15, v[5:6] offset:2048
	s_wait_loadcnt_dscnt 0x103
	ds_store_b64 v16, v[7:8] offset:4096
	;; [unrolled: 2-line block ×3, first 2 shown]
	s_wait_dscnt 0x0
	s_barrier_signal -1
	s_barrier_wait -1
.LBB306_6:
	s_and_not1_b32 vcc_lo, exec_lo, s1
	s_sub_co_i32 s18, s18, s0
	s_wait_alu 0xfffe
	s_cbranch_vccnz .LBB306_14
; %bb.7:
	v_mov_b32_e32 v1, 0
	s_mov_b32 s0, exec_lo
	s_delay_alu instid0(VALU_DEP_1)
	v_dual_mov_b32 v2, v1 :: v_dual_mov_b32 v3, v1
	v_dual_mov_b32 v4, v1 :: v_dual_mov_b32 v5, v1
	;; [unrolled: 1-line block ×3, first 2 shown]
	v_mov_b32_e32 v8, v1
	v_cmpx_gt_u32_e64 s18, v0
	s_cbranch_execz .LBB306_9
; %bb.8:
	v_dual_mov_b32 v21, v1 :: v_dual_lshlrev_b32 v2, 3, v0
	v_dual_mov_b32 v22, v1 :: v_dual_mov_b32 v23, v1
	v_dual_mov_b32 v24, v1 :: v_dual_mov_b32 v25, v1
	s_delay_alu instid0(VALU_DEP_3)
	v_add_co_u32 v2, vcc_lo, v12, v2
	s_wait_alu 0xfffd
	v_add_co_ci_u32_e64 v3, null, 0, v13, vcc_lo
	v_mov_b32_e32 v26, v1
	flat_load_b64 v[19:20], v[2:3]
	s_wait_loadcnt_dscnt 0x0
	v_dual_mov_b32 v1, v19 :: v_dual_mov_b32 v2, v20
	v_dual_mov_b32 v3, v21 :: v_dual_mov_b32 v4, v22
	;; [unrolled: 1-line block ×4, first 2 shown]
.LBB306_9:
	s_or_b32 exec_lo, exec_lo, s0
	v_or_b32_e32 v14, 0x100, v0
	s_mov_b32 s0, exec_lo
	s_delay_alu instid0(VALU_DEP_1)
	v_cmpx_gt_u32_e64 s18, v14
	s_cbranch_execnz .LBB306_132
; %bb.10:
	s_or_b32 exec_lo, exec_lo, s0
	s_delay_alu instid0(SALU_CYCLE_1)
	s_mov_b32 s0, exec_lo
	v_cmpx_gt_u32_e64 s18, v11
	s_cbranch_execnz .LBB306_133
.LBB306_11:
	s_or_b32 exec_lo, exec_lo, s0
	s_delay_alu instid0(SALU_CYCLE_1)
	s_mov_b32 s0, exec_lo
	v_cmpx_gt_u32_e64 s18, v10
	s_cbranch_execz .LBB306_13
.LBB306_12:
	v_lshlrev_b32_e32 v7, 3, v0
	s_delay_alu instid0(VALU_DEP_1)
	v_add_co_u32 v7, vcc_lo, v12, v7
	s_wait_alu 0xfffd
	v_add_co_ci_u32_e64 v8, null, 0, v13, vcc_lo
	flat_load_b64 v[7:8], v[7:8] offset:6144
.LBB306_13:
	s_or_b32 exec_lo, exec_lo, s0
	v_lshrrev_b32_e32 v12, 2, v14
	v_lshrrev_b32_e32 v11, 2, v11
	v_lshrrev_b32_e32 v10, 2, v10
	v_and_b32_e32 v9, 56, v9
	v_lshlrev_b32_e32 v13, 3, v0
	v_and_b32_e32 v12, 0x78, v12
	v_and_b32_e32 v11, 0xf8, v11
	;; [unrolled: 1-line block ×3, first 2 shown]
	s_delay_alu instid0(VALU_DEP_4) | instskip(NEXT) | instid1(VALU_DEP_4)
	v_add_nc_u32_e32 v9, v9, v13
	v_add_nc_u32_e32 v12, v12, v13
	s_delay_alu instid0(VALU_DEP_4) | instskip(NEXT) | instid1(VALU_DEP_4)
	v_add_nc_u32_e32 v11, v11, v13
	v_add_nc_u32_e32 v10, v10, v13
	ds_store_b64 v9, v[1:2]
	s_wait_loadcnt_dscnt 0x1
	ds_store_b64 v12, v[3:4] offset:2048
	ds_store_b64 v11, v[5:6] offset:4096
	;; [unrolled: 1-line block ×3, first 2 shown]
	s_wait_dscnt 0x0
	s_barrier_signal -1
	s_barrier_wait -1
.LBB306_14:
	v_and_b32_e32 v1, 0xf8, v0
	s_wait_loadcnt 0x0
	global_inv scope:SCOPE_SE
	s_and_not1_b32 vcc_lo, exec_lo, s7
	v_lshl_add_u32 v5, v0, 5, v1
	ds_load_2addr_b64 v[1:4], v5 offset1:3
	ds_load_2addr_b64 v[5:8], v5 offset0:1 offset1:2
	s_wait_loadcnt_dscnt 0x0
	s_barrier_signal -1
	s_barrier_wait -1
	global_inv scope:SCOPE_SE
	v_cmp_neq_f64_e64 s0, s[16:17], v[1:2]
	v_cmp_neq_f64_e64 s10, s[16:17], v[3:4]
	s_wait_alu 0xfffe
	s_cbranch_vccnz .LBB306_16
; %bb.15:
	v_cmp_neq_f64_e32 vcc_lo, s[16:17], v[7:8]
	v_cndmask_b32_e64 v29, 0, 1, s0
	s_wait_alu 0xfffd
	v_cndmask_b32_e64 v27, 0, 1, vcc_lo
	v_cmp_neq_f64_e32 vcc_lo, s[16:17], v[5:6]
	s_delay_alu instid0(VALU_DEP_2) | instskip(SKIP_2) | instid1(VALU_DEP_1)
	v_lshlrev_b16 v10, 8, v27
	s_wait_alu 0xfffd
	v_cndmask_b32_e64 v9, 0, 1, vcc_lo
	v_or_b32_e32 v28, v9, v10
	s_cbranch_execz .LBB306_17
	s_branch .LBB306_18
.LBB306_16:
                                        ; implicit-def: $sgpr10
                                        ; implicit-def: $vgpr29
                                        ; implicit-def: $vgpr28
                                        ; implicit-def: $vgpr27
.LBB306_17:
	v_cmp_neq_f64_e32 vcc_lo, s[16:17], v[7:8]
	v_cmp_neq_f64_e64 s0, s[16:17], v[5:6]
	v_cmp_neq_f64_e64 s1, s[16:17], v[1:2]
	;; [unrolled: 1-line block ×3, first 2 shown]
	v_lshlrev_b32_e32 v9, 2, v0
	s_delay_alu instid0(VALU_DEP_1) | instskip(SKIP_1) | instid1(VALU_DEP_2)
	v_or_b32_e32 v10, 2, v9
	v_or_b32_e32 v11, 1, v9
	v_cmp_gt_u32_e64 s4, s18, v10
	s_delay_alu instid0(VALU_DEP_2)
	v_cmp_gt_u32_e64 s5, s18, v11
	v_or_b32_e32 v10, 3, v9
	s_and_b32 s4, s4, vcc_lo
	v_cmp_gt_u32_e32 vcc_lo, s18, v9
	s_wait_alu 0xfffe
	v_cndmask_b32_e64 v27, 0, 1, s4
	s_and_b32 s0, s5, s0
	v_cmp_gt_u32_e64 s4, s18, v10
	s_wait_alu 0xfffe
	v_cndmask_b32_e64 v9, 0, 1, s0
	s_and_b32 s0, vcc_lo, s1
	v_lshlrev_b16 v10, 8, v27
	s_wait_alu 0xfffe
	v_cndmask_b32_e64 v29, 0, 1, s0
	s_and_b32 s0, s4, s3
	s_and_not1_b32 s1, s10, exec_lo
	s_wait_alu 0xfffe
	s_and_b32 s0, s0, exec_lo
	v_or_b32_e32 v28, v9, v10
	s_wait_alu 0xfffe
	s_or_b32 s10, s1, s0
.LBB306_18:
	v_and_b32_e32 v32, 0xff, v29
	s_delay_alu instid0(VALU_DEP_2)
	v_dual_mov_b32 v10, 0 :: v_dual_and_b32 v31, 0xff, v28
	v_cndmask_b32_e64 v9, 0, 1, s10
	v_mbcnt_lo_u32_b32 v33, -1, 0
	v_and_b32_e32 v30, 0xff, v27
	s_cmp_lg_u32 s11, 0
	s_mov_b32 s1, -1
	v_add3_u32 v9, v32, v9, v31
	v_and_b32_e32 v34, 15, v33
	s_delay_alu instid0(VALU_DEP_2) | instskip(SKIP_2) | instid1(VALU_DEP_3)
	v_add_co_u32 v19, s0, v9, v30
	s_wait_alu 0xf1ff
	v_add_co_ci_u32_e64 v20, null, 0, 0, s0
	v_cmp_ne_u32_e64 s0, 0, v34
	s_cbranch_scc0 .LBB306_75
; %bb.19:
	v_mov_b32_e32 v11, v19
	v_mov_b32_dpp v9, v19 row_shr:1 row_mask:0xf bank_mask:0xf
	v_mov_b32_dpp v14, v10 row_shr:1 row_mask:0xf bank_mask:0xf
	v_dual_mov_b32 v13, v19 :: v_dual_mov_b32 v12, v20
	s_and_saveexec_b32 s1, s0
; %bb.20:
	s_delay_alu instid0(VALU_DEP_3) | instskip(SKIP_2) | instid1(VALU_DEP_2)
	v_add_co_u32 v13, vcc_lo, v19, v9
	s_wait_alu 0xfffd
	v_add_co_ci_u32_e64 v10, null, 0, v20, vcc_lo
	v_add_co_u32 v9, vcc_lo, 0, v13
	s_wait_alu 0xfffd
	s_delay_alu instid0(VALU_DEP_2) | instskip(NEXT) | instid1(VALU_DEP_1)
	v_add_co_ci_u32_e64 v10, null, v14, v10, vcc_lo
	v_dual_mov_b32 v12, v10 :: v_dual_mov_b32 v11, v9
; %bb.21:
	s_wait_alu 0xfffe
	s_or_b32 exec_lo, exec_lo, s1
	v_mov_b32_dpp v9, v13 row_shr:2 row_mask:0xf bank_mask:0xf
	v_mov_b32_dpp v14, v10 row_shr:2 row_mask:0xf bank_mask:0xf
	s_mov_b32 s1, exec_lo
	v_cmpx_lt_u32_e32 1, v34
; %bb.22:
	s_delay_alu instid0(VALU_DEP_3) | instskip(SKIP_2) | instid1(VALU_DEP_2)
	v_add_co_u32 v13, vcc_lo, v11, v9
	s_wait_alu 0xfffd
	v_add_co_ci_u32_e64 v10, null, 0, v12, vcc_lo
	v_add_co_u32 v9, vcc_lo, 0, v13
	s_wait_alu 0xfffd
	s_delay_alu instid0(VALU_DEP_2) | instskip(NEXT) | instid1(VALU_DEP_1)
	v_add_co_ci_u32_e64 v10, null, v14, v10, vcc_lo
	v_dual_mov_b32 v12, v10 :: v_dual_mov_b32 v11, v9
; %bb.23:
	s_wait_alu 0xfffe
	s_or_b32 exec_lo, exec_lo, s1
	v_mov_b32_dpp v9, v13 row_shr:4 row_mask:0xf bank_mask:0xf
	v_mov_b32_dpp v14, v10 row_shr:4 row_mask:0xf bank_mask:0xf
	s_mov_b32 s1, exec_lo
	v_cmpx_lt_u32_e32 3, v34
	;; [unrolled: 17-line block ×3, first 2 shown]
; %bb.26:
	s_delay_alu instid0(VALU_DEP_3) | instskip(SKIP_2) | instid1(VALU_DEP_2)
	v_add_co_u32 v13, vcc_lo, v11, v14
	s_wait_alu 0xfffd
	v_add_co_ci_u32_e64 v10, null, 0, v12, vcc_lo
	v_add_co_u32 v11, vcc_lo, 0, v13
	s_wait_alu 0xfffd
	s_delay_alu instid0(VALU_DEP_2) | instskip(NEXT) | instid1(VALU_DEP_1)
	v_add_co_ci_u32_e64 v12, null, v9, v10, vcc_lo
	v_mov_b32_e32 v10, v12
; %bb.27:
	s_wait_alu 0xfffe
	s_or_b32 exec_lo, exec_lo, s1
	ds_swizzle_b32 v9, v13 offset:swizzle(BROADCAST,32,15)
	ds_swizzle_b32 v14, v10 offset:swizzle(BROADCAST,32,15)
	v_and_b32_e32 v15, 16, v33
	s_mov_b32 s1, exec_lo
	s_delay_alu instid0(VALU_DEP_1)
	v_cmpx_ne_u32_e32 0, v15
	s_cbranch_execz .LBB306_29
; %bb.28:
	s_wait_dscnt 0x1
	v_add_co_u32 v13, vcc_lo, v11, v9
	s_wait_alu 0xfffd
	v_add_co_ci_u32_e64 v10, null, 0, v12, vcc_lo
	s_delay_alu instid0(VALU_DEP_2) | instskip(SKIP_2) | instid1(VALU_DEP_2)
	v_add_co_u32 v9, vcc_lo, 0, v13
	s_wait_dscnt 0x0
	s_wait_alu 0xfffd
	v_add_co_ci_u32_e64 v10, null, v14, v10, vcc_lo
	s_delay_alu instid0(VALU_DEP_1)
	v_dual_mov_b32 v12, v10 :: v_dual_mov_b32 v11, v9
.LBB306_29:
	s_wait_alu 0xfffe
	s_or_b32 exec_lo, exec_lo, s1
	s_wait_dscnt 0x0
	v_or_b32_e32 v14, 31, v0
	v_lshrrev_b32_e32 v9, 5, v0
	s_mov_b32 s1, exec_lo
	s_delay_alu instid0(VALU_DEP_2)
	v_cmpx_eq_u32_e64 v0, v14
; %bb.30:
	s_delay_alu instid0(VALU_DEP_2)
	v_lshlrev_b32_e32 v14, 3, v9
	ds_store_b64 v14, v[11:12]
; %bb.31:
	s_wait_alu 0xfffe
	s_or_b32 exec_lo, exec_lo, s1
	s_delay_alu instid0(SALU_CYCLE_1)
	s_mov_b32 s1, exec_lo
	s_wait_loadcnt_dscnt 0x0
	s_barrier_signal -1
	s_barrier_wait -1
	global_inv scope:SCOPE_SE
	v_cmpx_gt_u32_e32 8, v0
	s_cbranch_execz .LBB306_39
; %bb.32:
	v_lshlrev_b32_e32 v14, 3, v0
	s_mov_b32 s3, exec_lo
	ds_load_b64 v[11:12], v14
	s_wait_dscnt 0x0
	v_dual_mov_b32 v16, v11 :: v_dual_and_b32 v15, 7, v33
	v_mov_b32_dpp v22, v11 row_shr:1 row_mask:0xf bank_mask:0xf
	v_mov_b32_dpp v21, v12 row_shr:1 row_mask:0xf bank_mask:0xf
	s_delay_alu instid0(VALU_DEP_3)
	v_cmpx_ne_u32_e32 0, v15
; %bb.33:
	s_delay_alu instid0(VALU_DEP_3) | instskip(SKIP_2) | instid1(VALU_DEP_2)
	v_add_co_u32 v16, vcc_lo, v11, v22
	s_wait_alu 0xfffd
	v_add_co_ci_u32_e64 v12, null, 0, v12, vcc_lo
	v_add_co_u32 v11, vcc_lo, 0, v16
	s_wait_alu 0xfffd
	s_delay_alu instid0(VALU_DEP_2)
	v_add_co_ci_u32_e64 v12, null, v21, v12, vcc_lo
; %bb.34:
	s_or_b32 exec_lo, exec_lo, s3
	v_mov_b32_dpp v22, v16 row_shr:2 row_mask:0xf bank_mask:0xf
	s_delay_alu instid0(VALU_DEP_2)
	v_mov_b32_dpp v21, v12 row_shr:2 row_mask:0xf bank_mask:0xf
	s_mov_b32 s3, exec_lo
	v_cmpx_lt_u32_e32 1, v15
; %bb.35:
	s_delay_alu instid0(VALU_DEP_3) | instskip(SKIP_2) | instid1(VALU_DEP_2)
	v_add_co_u32 v16, vcc_lo, v11, v22
	s_wait_alu 0xfffd
	v_add_co_ci_u32_e64 v12, null, 0, v12, vcc_lo
	v_add_co_u32 v11, vcc_lo, 0, v16
	s_wait_alu 0xfffd
	s_delay_alu instid0(VALU_DEP_2)
	v_add_co_ci_u32_e64 v12, null, v21, v12, vcc_lo
; %bb.36:
	s_or_b32 exec_lo, exec_lo, s3
	v_mov_b32_dpp v21, v16 row_shr:4 row_mask:0xf bank_mask:0xf
	s_delay_alu instid0(VALU_DEP_2)
	v_mov_b32_dpp v16, v12 row_shr:4 row_mask:0xf bank_mask:0xf
	s_mov_b32 s3, exec_lo
	v_cmpx_lt_u32_e32 3, v15
; %bb.37:
	s_delay_alu instid0(VALU_DEP_3) | instskip(SKIP_2) | instid1(VALU_DEP_2)
	v_add_co_u32 v11, vcc_lo, v11, v21
	s_wait_alu 0xfffd
	v_add_co_ci_u32_e64 v12, null, 0, v12, vcc_lo
	v_add_co_u32 v11, vcc_lo, v11, 0
	s_wait_alu 0xfffd
	s_delay_alu instid0(VALU_DEP_2)
	v_add_co_ci_u32_e64 v12, null, v12, v16, vcc_lo
; %bb.38:
	s_or_b32 exec_lo, exec_lo, s3
	ds_store_b64 v14, v[11:12]
.LBB306_39:
	s_wait_alu 0xfffe
	s_or_b32 exec_lo, exec_lo, s1
	s_delay_alu instid0(SALU_CYCLE_1)
	s_mov_b32 s3, exec_lo
	v_cmp_gt_u32_e32 vcc_lo, 32, v0
	s_wait_loadcnt_dscnt 0x0
	s_barrier_signal -1
	s_barrier_wait -1
	global_inv scope:SCOPE_SE
                                        ; implicit-def: $vgpr21_vgpr22
	v_cmpx_lt_u32_e32 31, v0
	s_cbranch_execz .LBB306_41
; %bb.40:
	v_lshl_add_u32 v9, v9, 3, -8
	ds_load_b64 v[21:22], v9
	s_wait_dscnt 0x0
	v_add_co_u32 v13, s1, v13, v21
	s_wait_alu 0xf1ff
	v_add_co_ci_u32_e64 v10, null, v10, v22, s1
.LBB306_41:
	s_or_b32 exec_lo, exec_lo, s3
	v_sub_co_u32 v9, s1, v33, 1
	s_delay_alu instid0(VALU_DEP_1) | instskip(NEXT) | instid1(VALU_DEP_1)
	v_cmp_gt_i32_e64 s3, 0, v9
	v_cndmask_b32_e64 v9, v9, v33, s3
	s_delay_alu instid0(VALU_DEP_1)
	v_lshlrev_b32_e32 v9, 2, v9
	ds_bpermute_b32 v35, v9, v13
	ds_bpermute_b32 v36, v9, v10
	s_and_saveexec_b32 s3, vcc_lo
	s_cbranch_execz .LBB306_80
; %bb.42:
	v_mov_b32_e32 v12, 0
	ds_load_b64 v[9:10], v12 offset:56
	s_and_saveexec_b32 s4, s1
	s_cbranch_execz .LBB306_44
; %bb.43:
	s_add_co_i32 s16, s11, 32
	s_mov_b32 s17, 0
	s_wait_alu 0xfffe
	s_lshl_b64 s[16:17], s[16:17], 4
	s_wait_alu 0xfffe
	s_add_nc_u64 s[16:17], s[14:15], s[16:17]
	v_mov_b32_e32 v11, 1
	s_wait_alu 0xfffe
	v_dual_mov_b32 v13, s16 :: v_dual_mov_b32 v14, s17
	s_wait_dscnt 0x0
	;;#ASMSTART
	global_store_b128 v[13:14], v[9:12] off scope:SCOPE_DEV	
s_wait_storecnt 0x0
	;;#ASMEND
.LBB306_44:
	s_wait_alu 0xfffe
	s_or_b32 exec_lo, exec_lo, s4
	v_xad_u32 v23, v33, -1, s11
	s_mov_b32 s5, 0
	s_mov_b32 s4, exec_lo
	s_delay_alu instid0(VALU_DEP_1) | instskip(NEXT) | instid1(VALU_DEP_1)
	v_add_nc_u32_e32 v11, 32, v23
	v_lshlrev_b64_e32 v[11:12], 4, v[11:12]
	s_delay_alu instid0(VALU_DEP_1) | instskip(SKIP_1) | instid1(VALU_DEP_2)
	v_add_co_u32 v11, vcc_lo, s14, v11
	s_wait_alu 0xfffd
	v_add_co_ci_u32_e64 v12, null, s15, v12, vcc_lo
	;;#ASMSTART
	global_load_b128 v[13:16], v[11:12] off scope:SCOPE_DEV	
s_wait_loadcnt 0x0
	;;#ASMEND
	v_and_b32_e32 v16, 0xff, v15
	s_delay_alu instid0(VALU_DEP_1)
	v_cmpx_eq_u16_e32 0, v16
	s_cbranch_execz .LBB306_47
.LBB306_45:                             ; =>This Inner Loop Header: Depth=1
	;;#ASMSTART
	global_load_b128 v[13:16], v[11:12] off scope:SCOPE_DEV	
s_wait_loadcnt 0x0
	;;#ASMEND
	v_and_b32_e32 v16, 0xff, v15
	s_delay_alu instid0(VALU_DEP_1)
	v_cmp_ne_u16_e32 vcc_lo, 0, v16
	s_wait_alu 0xfffe
	s_or_b32 s5, vcc_lo, s5
	s_wait_alu 0xfffe
	s_and_not1_b32 exec_lo, exec_lo, s5
	s_cbranch_execnz .LBB306_45
; %bb.46:
	s_or_b32 exec_lo, exec_lo, s5
.LBB306_47:
	s_wait_alu 0xfffe
	s_or_b32 exec_lo, exec_lo, s4
	v_cmp_ne_u32_e32 vcc_lo, 31, v33
	v_and_b32_e32 v12, 0xff, v15
	v_lshlrev_b32_e64 v38, v33, -1
	s_mov_b32 s4, exec_lo
	s_wait_alu 0xfffd
	v_add_co_ci_u32_e64 v11, null, 0, v33, vcc_lo
	v_cmp_eq_u16_e32 vcc_lo, 2, v12
	s_delay_alu instid0(VALU_DEP_2)
	v_dual_mov_b32 v12, v13 :: v_dual_lshlrev_b32 v37, 2, v11
	s_wait_alu 0xfffd
	v_and_or_b32 v11, vcc_lo, v38, 0x80000000
	ds_bpermute_b32 v24, v37, v13
	ds_bpermute_b32 v16, v37, v14
	v_ctz_i32_b32_e32 v11, v11
	s_delay_alu instid0(VALU_DEP_1)
	v_cmpx_lt_u32_e64 v33, v11
	s_cbranch_execz .LBB306_49
; %bb.48:
	s_wait_dscnt 0x1
	v_add_co_u32 v12, vcc_lo, v13, v24
	s_wait_alu 0xfffd
	v_add_co_ci_u32_e64 v14, null, 0, v14, vcc_lo
	s_delay_alu instid0(VALU_DEP_2) | instskip(SKIP_2) | instid1(VALU_DEP_2)
	v_add_co_u32 v13, vcc_lo, 0, v12
	s_wait_dscnt 0x0
	s_wait_alu 0xfffd
	v_add_co_ci_u32_e64 v14, null, v16, v14, vcc_lo
.LBB306_49:
	s_wait_alu 0xfffe
	s_or_b32 exec_lo, exec_lo, s4
	v_cmp_gt_u32_e32 vcc_lo, 30, v33
	v_add_nc_u32_e32 v40, 2, v33
	s_mov_b32 s4, exec_lo
	s_wait_dscnt 0x0
	s_wait_alu 0xfffd
	v_cndmask_b32_e64 v16, 0, 2, vcc_lo
	s_delay_alu instid0(VALU_DEP_1)
	v_add_lshl_u32 v39, v16, v33, 2
	ds_bpermute_b32 v24, v39, v12
	ds_bpermute_b32 v16, v39, v14
	v_cmpx_le_u32_e64 v40, v11
	s_cbranch_execz .LBB306_51
; %bb.50:
	s_wait_dscnt 0x1
	v_add_co_u32 v12, vcc_lo, v13, v24
	s_wait_alu 0xfffd
	v_add_co_ci_u32_e64 v14, null, 0, v14, vcc_lo
	s_delay_alu instid0(VALU_DEP_2) | instskip(SKIP_2) | instid1(VALU_DEP_2)
	v_add_co_u32 v13, vcc_lo, 0, v12
	s_wait_dscnt 0x0
	s_wait_alu 0xfffd
	v_add_co_ci_u32_e64 v14, null, v16, v14, vcc_lo
.LBB306_51:
	s_wait_alu 0xfffe
	s_or_b32 exec_lo, exec_lo, s4
	v_cmp_gt_u32_e32 vcc_lo, 28, v33
	v_add_nc_u32_e32 v42, 4, v33
	s_mov_b32 s4, exec_lo
	s_wait_dscnt 0x0
	s_wait_alu 0xfffd
	v_cndmask_b32_e64 v16, 0, 4, vcc_lo
	s_delay_alu instid0(VALU_DEP_1)
	v_add_lshl_u32 v41, v16, v33, 2
	ds_bpermute_b32 v24, v41, v12
	ds_bpermute_b32 v16, v41, v14
	v_cmpx_le_u32_e64 v42, v11
	;; [unrolled: 25-line block ×3, first 2 shown]
	s_cbranch_execz .LBB306_55
; %bb.54:
	s_wait_dscnt 0x1
	v_add_co_u32 v12, vcc_lo, v13, v24
	s_wait_alu 0xfffd
	v_add_co_ci_u32_e64 v14, null, 0, v14, vcc_lo
	s_delay_alu instid0(VALU_DEP_2) | instskip(SKIP_2) | instid1(VALU_DEP_2)
	v_add_co_u32 v13, vcc_lo, 0, v12
	s_wait_dscnt 0x0
	s_wait_alu 0xfffd
	v_add_co_ci_u32_e64 v14, null, v16, v14, vcc_lo
.LBB306_55:
	s_wait_alu 0xfffe
	s_or_b32 exec_lo, exec_lo, s4
	v_lshl_or_b32 v45, v33, 2, 64
	v_add_nc_u32_e32 v46, 16, v33
	s_mov_b32 s4, exec_lo
	s_wait_dscnt 0x0
	ds_bpermute_b32 v16, v45, v12
	ds_bpermute_b32 v12, v45, v14
	v_cmpx_le_u32_e64 v46, v11
	s_cbranch_execz .LBB306_57
; %bb.56:
	s_wait_dscnt 0x1
	v_add_co_u32 v11, vcc_lo, v13, v16
	s_wait_alu 0xfffd
	v_add_co_ci_u32_e64 v14, null, 0, v14, vcc_lo
	s_delay_alu instid0(VALU_DEP_2) | instskip(SKIP_2) | instid1(VALU_DEP_2)
	v_add_co_u32 v13, vcc_lo, v11, 0
	s_wait_dscnt 0x0
	s_wait_alu 0xfffd
	v_add_co_ci_u32_e64 v14, null, v14, v12, vcc_lo
.LBB306_57:
	s_wait_alu 0xfffe
	s_or_b32 exec_lo, exec_lo, s4
	v_mov_b32_e32 v24, 0
	s_branch .LBB306_60
.LBB306_58:                             ;   in Loop: Header=BB306_60 Depth=1
	s_wait_alu 0xfffe
	s_or_b32 exec_lo, exec_lo, s4
	v_add_co_u32 v13, vcc_lo, v13, v11
	v_subrev_nc_u32_e32 v23, 32, v23
	s_wait_alu 0xfffd
	v_add_co_ci_u32_e64 v14, null, v14, v12, vcc_lo
	s_mov_b32 s4, 0
.LBB306_59:                             ;   in Loop: Header=BB306_60 Depth=1
	s_wait_alu 0xfffe
	s_and_b32 vcc_lo, exec_lo, s4
	s_wait_alu 0xfffe
	s_cbranch_vccnz .LBB306_76
.LBB306_60:                             ; =>This Loop Header: Depth=1
                                        ;     Child Loop BB306_63 Depth 2
	v_and_b32_e32 v11, 0xff, v15
	s_mov_b32 s4, -1
	s_delay_alu instid0(VALU_DEP_1)
	v_cmp_ne_u16_e32 vcc_lo, 2, v11
	s_wait_dscnt 0x0
	v_dual_mov_b32 v11, v13 :: v_dual_mov_b32 v12, v14
                                        ; implicit-def: $vgpr13_vgpr14
	s_cmp_lg_u32 vcc_lo, exec_lo
	s_cbranch_scc1 .LBB306_59
; %bb.61:                               ;   in Loop: Header=BB306_60 Depth=1
	v_lshlrev_b64_e32 v[13:14], 4, v[23:24]
	s_mov_b32 s4, exec_lo
	s_delay_alu instid0(VALU_DEP_1) | instskip(SKIP_1) | instid1(VALU_DEP_2)
	v_add_co_u32 v25, vcc_lo, s14, v13
	s_wait_alu 0xfffd
	v_add_co_ci_u32_e64 v26, null, s15, v14, vcc_lo
	;;#ASMSTART
	global_load_b128 v[13:16], v[25:26] off scope:SCOPE_DEV	
s_wait_loadcnt 0x0
	;;#ASMEND
	v_and_b32_e32 v16, 0xff, v15
	s_delay_alu instid0(VALU_DEP_1)
	v_cmpx_eq_u16_e32 0, v16
	s_cbranch_execz .LBB306_65
; %bb.62:                               ;   in Loop: Header=BB306_60 Depth=1
	s_mov_b32 s5, 0
.LBB306_63:                             ;   Parent Loop BB306_60 Depth=1
                                        ; =>  This Inner Loop Header: Depth=2
	;;#ASMSTART
	global_load_b128 v[13:16], v[25:26] off scope:SCOPE_DEV	
s_wait_loadcnt 0x0
	;;#ASMEND
	v_and_b32_e32 v16, 0xff, v15
	s_delay_alu instid0(VALU_DEP_1)
	v_cmp_ne_u16_e32 vcc_lo, 0, v16
	s_wait_alu 0xfffe
	s_or_b32 s5, vcc_lo, s5
	s_wait_alu 0xfffe
	s_and_not1_b32 exec_lo, exec_lo, s5
	s_cbranch_execnz .LBB306_63
; %bb.64:                               ;   in Loop: Header=BB306_60 Depth=1
	s_or_b32 exec_lo, exec_lo, s5
.LBB306_65:                             ;   in Loop: Header=BB306_60 Depth=1
	s_wait_alu 0xfffe
	s_or_b32 exec_lo, exec_lo, s4
	v_dual_mov_b32 v25, v13 :: v_dual_and_b32 v16, 0xff, v15
	ds_bpermute_b32 v47, v37, v13
	ds_bpermute_b32 v26, v37, v14
	s_mov_b32 s4, exec_lo
	v_cmp_eq_u16_e32 vcc_lo, 2, v16
	s_wait_alu 0xfffd
	v_and_or_b32 v16, vcc_lo, v38, 0x80000000
	s_delay_alu instid0(VALU_DEP_1) | instskip(NEXT) | instid1(VALU_DEP_1)
	v_ctz_i32_b32_e32 v16, v16
	v_cmpx_lt_u32_e64 v33, v16
	s_cbranch_execz .LBB306_67
; %bb.66:                               ;   in Loop: Header=BB306_60 Depth=1
	s_wait_dscnt 0x1
	v_add_co_u32 v25, vcc_lo, v13, v47
	s_wait_alu 0xfffd
	v_add_co_ci_u32_e64 v14, null, 0, v14, vcc_lo
	s_delay_alu instid0(VALU_DEP_2) | instskip(SKIP_2) | instid1(VALU_DEP_2)
	v_add_co_u32 v13, vcc_lo, 0, v25
	s_wait_dscnt 0x0
	s_wait_alu 0xfffd
	v_add_co_ci_u32_e64 v14, null, v26, v14, vcc_lo
.LBB306_67:                             ;   in Loop: Header=BB306_60 Depth=1
	s_wait_alu 0xfffe
	s_or_b32 exec_lo, exec_lo, s4
	s_wait_dscnt 0x1
	ds_bpermute_b32 v47, v39, v25
	s_wait_dscnt 0x1
	ds_bpermute_b32 v26, v39, v14
	s_mov_b32 s4, exec_lo
	v_cmpx_le_u32_e64 v40, v16
	s_cbranch_execz .LBB306_69
; %bb.68:                               ;   in Loop: Header=BB306_60 Depth=1
	s_wait_dscnt 0x1
	v_add_co_u32 v25, vcc_lo, v13, v47
	s_wait_alu 0xfffd
	v_add_co_ci_u32_e64 v14, null, 0, v14, vcc_lo
	s_delay_alu instid0(VALU_DEP_2) | instskip(SKIP_2) | instid1(VALU_DEP_2)
	v_add_co_u32 v13, vcc_lo, 0, v25
	s_wait_dscnt 0x0
	s_wait_alu 0xfffd
	v_add_co_ci_u32_e64 v14, null, v26, v14, vcc_lo
.LBB306_69:                             ;   in Loop: Header=BB306_60 Depth=1
	s_wait_alu 0xfffe
	s_or_b32 exec_lo, exec_lo, s4
	s_wait_dscnt 0x1
	ds_bpermute_b32 v47, v41, v25
	s_wait_dscnt 0x1
	ds_bpermute_b32 v26, v41, v14
	s_mov_b32 s4, exec_lo
	v_cmpx_le_u32_e64 v42, v16
	;; [unrolled: 20-line block ×3, first 2 shown]
	s_cbranch_execz .LBB306_73
; %bb.72:                               ;   in Loop: Header=BB306_60 Depth=1
	s_wait_dscnt 0x1
	v_add_co_u32 v25, vcc_lo, v13, v47
	s_wait_alu 0xfffd
	v_add_co_ci_u32_e64 v14, null, 0, v14, vcc_lo
	s_delay_alu instid0(VALU_DEP_2) | instskip(SKIP_2) | instid1(VALU_DEP_2)
	v_add_co_u32 v13, vcc_lo, 0, v25
	s_wait_dscnt 0x0
	s_wait_alu 0xfffd
	v_add_co_ci_u32_e64 v14, null, v26, v14, vcc_lo
.LBB306_73:                             ;   in Loop: Header=BB306_60 Depth=1
	s_wait_alu 0xfffe
	s_or_b32 exec_lo, exec_lo, s4
	s_wait_dscnt 0x0
	ds_bpermute_b32 v26, v45, v25
	ds_bpermute_b32 v25, v45, v14
	s_mov_b32 s4, exec_lo
	v_cmpx_le_u32_e64 v46, v16
	s_cbranch_execz .LBB306_58
; %bb.74:                               ;   in Loop: Header=BB306_60 Depth=1
	s_wait_dscnt 0x1
	v_add_co_u32 v13, vcc_lo, v13, v26
	s_wait_alu 0xfffd
	v_add_co_ci_u32_e64 v14, null, 0, v14, vcc_lo
	s_delay_alu instid0(VALU_DEP_2) | instskip(SKIP_2) | instid1(VALU_DEP_2)
	v_add_co_u32 v13, vcc_lo, v13, 0
	s_wait_dscnt 0x0
	s_wait_alu 0xfffd
	v_add_co_ci_u32_e64 v14, null, v14, v25, vcc_lo
	s_branch .LBB306_58
.LBB306_75:
                                        ; implicit-def: $vgpr15_vgpr16
                                        ; implicit-def: $vgpr13_vgpr14
                                        ; implicit-def: $vgpr21_vgpr22
                                        ; implicit-def: $vgpr23_vgpr24
                                        ; implicit-def: $vgpr11_vgpr12
	s_wait_alu 0xfffe
	s_and_b32 vcc_lo, exec_lo, s1
	s_wait_alu 0xfffe
	s_cbranch_vccnz .LBB306_81
	s_branch .LBB306_106
.LBB306_76:
	s_and_saveexec_b32 s4, s1
	s_cbranch_execz .LBB306_78
; %bb.77:
	s_add_co_i32 s16, s11, 32
	s_mov_b32 s17, 0
	v_add_co_u32 v13, vcc_lo, v11, v9
	s_wait_alu 0xfffe
	s_lshl_b64 s[16:17], s[16:17], 4
	v_dual_mov_b32 v15, 2 :: v_dual_mov_b32 v16, 0
	s_wait_alu 0xfffe
	s_add_nc_u64 s[16:17], s[14:15], s[16:17]
	s_wait_alu 0xfffd
	v_add_co_ci_u32_e64 v14, null, v12, v10, vcc_lo
	s_wait_alu 0xfffe
	v_dual_mov_b32 v24, s17 :: v_dual_mov_b32 v23, s16
	;;#ASMSTART
	global_store_b128 v[23:24], v[13:16] off scope:SCOPE_DEV	
s_wait_storecnt 0x0
	;;#ASMEND
	ds_store_b128 v16, v[9:12] offset:8448
.LBB306_78:
	s_wait_alu 0xfffe
	s_or_b32 exec_lo, exec_lo, s4
	s_delay_alu instid0(SALU_CYCLE_1)
	s_and_b32 exec_lo, exec_lo, s2
; %bb.79:
	v_mov_b32_e32 v9, 0
	ds_store_b64 v9, v[11:12] offset:56
.LBB306_80:
	s_wait_alu 0xfffe
	s_or_b32 exec_lo, exec_lo, s3
	v_mov_b32_e32 v9, 0
	s_wait_loadcnt_dscnt 0x0
	s_barrier_signal -1
	s_barrier_wait -1
	global_inv scope:SCOPE_SE
	ds_load_b64 v[13:14], v9 offset:56
	v_cndmask_b32_e64 v11, v35, v21, s1
	v_cndmask_b32_e64 v10, v36, v22, s1
	s_wait_loadcnt_dscnt 0x0
	s_barrier_signal -1
	s_barrier_wait -1
	v_cndmask_b32_e64 v16, v11, 0, s2
	v_cndmask_b32_e64 v15, v10, 0, s2
	global_inv scope:SCOPE_SE
	ds_load_b128 v[9:12], v9 offset:8448
	v_add_co_u32 v23, vcc_lo, v13, v16
	s_wait_alu 0xfffd
	v_add_co_ci_u32_e64 v24, null, v14, v15, vcc_lo
	s_delay_alu instid0(VALU_DEP_2) | instskip(SKIP_1) | instid1(VALU_DEP_2)
	v_add_co_u32 v21, vcc_lo, v23, v32
	s_wait_alu 0xfffd
	v_add_co_ci_u32_e64 v22, null, 0, v24, vcc_lo
	s_delay_alu instid0(VALU_DEP_2) | instskip(SKIP_1) | instid1(VALU_DEP_2)
	v_add_co_u32 v13, vcc_lo, v21, v31
	s_wait_alu 0xfffd
	v_add_co_ci_u32_e64 v14, null, 0, v22, vcc_lo
	s_delay_alu instid0(VALU_DEP_2) | instskip(SKIP_1) | instid1(VALU_DEP_2)
	v_add_co_u32 v15, vcc_lo, v13, v30
	s_wait_alu 0xfffd
	v_add_co_ci_u32_e64 v16, null, 0, v14, vcc_lo
	s_branch .LBB306_106
.LBB306_81:
	s_wait_dscnt 0x0
	v_dual_mov_b32 v10, 0 :: v_dual_mov_b32 v11, v19
	v_mov_b32_dpp v12, v19 row_shr:1 row_mask:0xf bank_mask:0xf
	s_delay_alu instid0(VALU_DEP_2)
	v_mov_b32_dpp v9, v10 row_shr:1 row_mask:0xf bank_mask:0xf
	s_and_saveexec_b32 s1, s0
; %bb.82:
	s_delay_alu instid0(VALU_DEP_2) | instskip(SKIP_2) | instid1(VALU_DEP_2)
	v_add_co_u32 v11, vcc_lo, v19, v12
	s_wait_alu 0xfffd
	v_add_co_ci_u32_e64 v10, null, 0, v20, vcc_lo
	v_add_co_u32 v19, vcc_lo, 0, v11
	s_wait_alu 0xfffd
	s_delay_alu instid0(VALU_DEP_2) | instskip(NEXT) | instid1(VALU_DEP_1)
	v_add_co_ci_u32_e64 v20, null, v9, v10, vcc_lo
	v_mov_b32_e32 v10, v20
; %bb.83:
	s_wait_alu 0xfffe
	s_or_b32 exec_lo, exec_lo, s1
	v_mov_b32_dpp v9, v11 row_shr:2 row_mask:0xf bank_mask:0xf
	s_delay_alu instid0(VALU_DEP_2)
	v_mov_b32_dpp v12, v10 row_shr:2 row_mask:0xf bank_mask:0xf
	s_mov_b32 s0, exec_lo
	v_cmpx_lt_u32_e32 1, v34
; %bb.84:
	s_delay_alu instid0(VALU_DEP_3) | instskip(SKIP_2) | instid1(VALU_DEP_2)
	v_add_co_u32 v11, vcc_lo, v19, v9
	s_wait_alu 0xfffd
	v_add_co_ci_u32_e64 v10, null, 0, v20, vcc_lo
	v_add_co_u32 v9, vcc_lo, 0, v11
	s_wait_alu 0xfffd
	s_delay_alu instid0(VALU_DEP_2) | instskip(NEXT) | instid1(VALU_DEP_1)
	v_add_co_ci_u32_e64 v10, null, v12, v10, vcc_lo
	v_dual_mov_b32 v20, v10 :: v_dual_mov_b32 v19, v9
; %bb.85:
	s_wait_alu 0xfffe
	s_or_b32 exec_lo, exec_lo, s0
	v_mov_b32_dpp v9, v11 row_shr:4 row_mask:0xf bank_mask:0xf
	v_mov_b32_dpp v12, v10 row_shr:4 row_mask:0xf bank_mask:0xf
	s_mov_b32 s0, exec_lo
	v_cmpx_lt_u32_e32 3, v34
; %bb.86:
	s_delay_alu instid0(VALU_DEP_3) | instskip(SKIP_2) | instid1(VALU_DEP_2)
	v_add_co_u32 v11, vcc_lo, v19, v9
	s_wait_alu 0xfffd
	v_add_co_ci_u32_e64 v10, null, 0, v20, vcc_lo
	v_add_co_u32 v9, vcc_lo, 0, v11
	s_wait_alu 0xfffd
	s_delay_alu instid0(VALU_DEP_2) | instskip(NEXT) | instid1(VALU_DEP_1)
	v_add_co_ci_u32_e64 v10, null, v12, v10, vcc_lo
	v_dual_mov_b32 v20, v10 :: v_dual_mov_b32 v19, v9
; %bb.87:
	s_wait_alu 0xfffe
	s_or_b32 exec_lo, exec_lo, s0
	v_mov_b32_dpp v12, v11 row_shr:8 row_mask:0xf bank_mask:0xf
	v_mov_b32_dpp v9, v10 row_shr:8 row_mask:0xf bank_mask:0xf
	s_mov_b32 s0, exec_lo
	v_cmpx_lt_u32_e32 7, v34
; %bb.88:
	s_delay_alu instid0(VALU_DEP_3) | instskip(SKIP_2) | instid1(VALU_DEP_2)
	v_add_co_u32 v11, vcc_lo, v19, v12
	s_wait_alu 0xfffd
	v_add_co_ci_u32_e64 v10, null, 0, v20, vcc_lo
	v_add_co_u32 v19, vcc_lo, 0, v11
	s_wait_alu 0xfffd
	s_delay_alu instid0(VALU_DEP_2) | instskip(NEXT) | instid1(VALU_DEP_1)
	v_add_co_ci_u32_e64 v20, null, v9, v10, vcc_lo
	v_mov_b32_e32 v10, v20
; %bb.89:
	s_wait_alu 0xfffe
	s_or_b32 exec_lo, exec_lo, s0
	ds_swizzle_b32 v11, v11 offset:swizzle(BROADCAST,32,15)
	ds_swizzle_b32 v9, v10 offset:swizzle(BROADCAST,32,15)
	v_and_b32_e32 v10, 16, v33
	s_mov_b32 s0, exec_lo
	s_delay_alu instid0(VALU_DEP_1)
	v_cmpx_ne_u32_e32 0, v10
	s_cbranch_execz .LBB306_91
; %bb.90:
	s_wait_dscnt 0x1
	v_add_co_u32 v10, vcc_lo, v19, v11
	s_wait_alu 0xfffd
	v_add_co_ci_u32_e64 v11, null, 0, v20, vcc_lo
	s_delay_alu instid0(VALU_DEP_2) | instskip(SKIP_2) | instid1(VALU_DEP_2)
	v_add_co_u32 v19, vcc_lo, v10, 0
	s_wait_dscnt 0x0
	s_wait_alu 0xfffd
	v_add_co_ci_u32_e64 v20, null, v11, v9, vcc_lo
.LBB306_91:
	s_wait_alu 0xfffe
	s_or_b32 exec_lo, exec_lo, s0
	s_wait_dscnt 0x0
	v_or_b32_e32 v9, 31, v0
	v_lshrrev_b32_e32 v11, 5, v0
	s_mov_b32 s0, exec_lo
	s_delay_alu instid0(VALU_DEP_2)
	v_cmpx_eq_u32_e64 v0, v9
; %bb.92:
	s_delay_alu instid0(VALU_DEP_2)
	v_lshlrev_b32_e32 v9, 3, v11
	ds_store_b64 v9, v[19:20]
; %bb.93:
	s_wait_alu 0xfffe
	s_or_b32 exec_lo, exec_lo, s0
	s_delay_alu instid0(SALU_CYCLE_1)
	s_mov_b32 s0, exec_lo
	s_wait_loadcnt_dscnt 0x0
	s_barrier_signal -1
	s_barrier_wait -1
	global_inv scope:SCOPE_SE
	v_cmpx_gt_u32_e32 8, v0
	s_cbranch_execz .LBB306_101
; %bb.94:
	v_lshlrev_b32_e32 v12, 3, v0
	s_mov_b32 s1, exec_lo
	ds_load_b64 v[9:10], v12
	s_wait_dscnt 0x0
	v_dual_mov_b32 v14, v9 :: v_dual_and_b32 v13, 7, v33
	v_mov_b32_dpp v16, v9 row_shr:1 row_mask:0xf bank_mask:0xf
	v_mov_b32_dpp v15, v10 row_shr:1 row_mask:0xf bank_mask:0xf
	s_delay_alu instid0(VALU_DEP_3)
	v_cmpx_ne_u32_e32 0, v13
; %bb.95:
	s_delay_alu instid0(VALU_DEP_3) | instskip(SKIP_2) | instid1(VALU_DEP_2)
	v_add_co_u32 v14, vcc_lo, v9, v16
	s_wait_alu 0xfffd
	v_add_co_ci_u32_e64 v10, null, 0, v10, vcc_lo
	v_add_co_u32 v9, vcc_lo, 0, v14
	s_wait_alu 0xfffd
	s_delay_alu instid0(VALU_DEP_2)
	v_add_co_ci_u32_e64 v10, null, v15, v10, vcc_lo
; %bb.96:
	s_wait_alu 0xfffe
	s_or_b32 exec_lo, exec_lo, s1
	v_mov_b32_dpp v16, v14 row_shr:2 row_mask:0xf bank_mask:0xf
	s_delay_alu instid0(VALU_DEP_2)
	v_mov_b32_dpp v15, v10 row_shr:2 row_mask:0xf bank_mask:0xf
	s_mov_b32 s1, exec_lo
	v_cmpx_lt_u32_e32 1, v13
; %bb.97:
	s_delay_alu instid0(VALU_DEP_3) | instskip(SKIP_2) | instid1(VALU_DEP_2)
	v_add_co_u32 v14, vcc_lo, v9, v16
	s_wait_alu 0xfffd
	v_add_co_ci_u32_e64 v10, null, 0, v10, vcc_lo
	v_add_co_u32 v9, vcc_lo, 0, v14
	s_wait_alu 0xfffd
	s_delay_alu instid0(VALU_DEP_2)
	v_add_co_ci_u32_e64 v10, null, v15, v10, vcc_lo
; %bb.98:
	s_wait_alu 0xfffe
	s_or_b32 exec_lo, exec_lo, s1
	v_mov_b32_dpp v15, v14 row_shr:4 row_mask:0xf bank_mask:0xf
	s_delay_alu instid0(VALU_DEP_2)
	v_mov_b32_dpp v14, v10 row_shr:4 row_mask:0xf bank_mask:0xf
	s_mov_b32 s1, exec_lo
	v_cmpx_lt_u32_e32 3, v13
; %bb.99:
	s_delay_alu instid0(VALU_DEP_3) | instskip(SKIP_2) | instid1(VALU_DEP_2)
	v_add_co_u32 v9, vcc_lo, v9, v15
	s_wait_alu 0xfffd
	v_add_co_ci_u32_e64 v10, null, 0, v10, vcc_lo
	v_add_co_u32 v9, vcc_lo, v9, 0
	s_wait_alu 0xfffd
	s_delay_alu instid0(VALU_DEP_2)
	v_add_co_ci_u32_e64 v10, null, v10, v14, vcc_lo
; %bb.100:
	s_wait_alu 0xfffe
	s_or_b32 exec_lo, exec_lo, s1
	ds_store_b64 v12, v[9:10]
.LBB306_101:
	s_wait_alu 0xfffe
	s_or_b32 exec_lo, exec_lo, s0
	v_mov_b32_e32 v13, 0
	v_mov_b32_e32 v14, 0
	s_mov_b32 s0, exec_lo
	s_wait_loadcnt_dscnt 0x0
	s_barrier_signal -1
	s_barrier_wait -1
	global_inv scope:SCOPE_SE
	v_cmpx_lt_u32_e32 31, v0
; %bb.102:
	v_lshl_add_u32 v9, v11, 3, -8
	ds_load_b64 v[13:14], v9
; %bb.103:
	s_wait_alu 0xfffe
	s_or_b32 exec_lo, exec_lo, s0
	v_sub_co_u32 v9, vcc_lo, v33, 1
	v_mov_b32_e32 v12, 0
	s_delay_alu instid0(VALU_DEP_2) | instskip(SKIP_1) | instid1(VALU_DEP_1)
	v_cmp_gt_i32_e64 s0, 0, v9
	s_wait_alu 0xf1ff
	v_cndmask_b32_e64 v9, v9, v33, s0
	s_wait_dscnt 0x0
	v_add_co_u32 v10, s0, v13, v19
	s_wait_alu 0xf1ff
	v_add_co_ci_u32_e64 v11, null, v14, v20, s0
	v_lshlrev_b32_e32 v9, 2, v9
	ds_bpermute_b32 v15, v9, v10
	ds_bpermute_b32 v16, v9, v11
	ds_load_b64 v[9:10], v12 offset:56
	s_and_saveexec_b32 s0, s2
	s_cbranch_execz .LBB306_105
; %bb.104:
	s_add_nc_u64 s[4:5], s[14:15], 0x200
	s_wait_alu 0xfffe
	v_dual_mov_b32 v11, 2 :: v_dual_mov_b32 v20, s5
	v_mov_b32_e32 v19, s4
	s_wait_dscnt 0x0
	;;#ASMSTART
	global_store_b128 v[19:20], v[9:12] off scope:SCOPE_DEV	
s_wait_storecnt 0x0
	;;#ASMEND
.LBB306_105:
	s_wait_alu 0xfffe
	s_or_b32 exec_lo, exec_lo, s0
	s_wait_dscnt 0x1
	s_wait_alu 0xfffd
	v_dual_cndmask_b32 v11, v15, v13 :: v_dual_cndmask_b32 v12, v16, v14
	s_wait_loadcnt_dscnt 0x0
	s_barrier_signal -1
	s_barrier_wait -1
	s_delay_alu instid0(VALU_DEP_1)
	v_cndmask_b32_e64 v23, v11, 0, s2
	v_cndmask_b32_e64 v24, v12, 0, s2
	v_mov_b32_e32 v11, 0
	v_mov_b32_e32 v12, 0
	global_inv scope:SCOPE_SE
	v_add_co_u32 v21, vcc_lo, v23, v32
	s_wait_alu 0xfffd
	v_add_co_ci_u32_e64 v22, null, 0, v24, vcc_lo
	s_delay_alu instid0(VALU_DEP_2) | instskip(SKIP_1) | instid1(VALU_DEP_2)
	v_add_co_u32 v13, vcc_lo, v21, v31
	s_wait_alu 0xfffd
	v_add_co_ci_u32_e64 v14, null, 0, v22, vcc_lo
	s_delay_alu instid0(VALU_DEP_2) | instskip(SKIP_1) | instid1(VALU_DEP_2)
	v_add_co_u32 v15, vcc_lo, v13, v30
	s_wait_alu 0xfffd
	v_add_co_ci_u32_e64 v16, null, 0, v14, vcc_lo
.LBB306_106:
	v_and_b32_e32 v25, 1, v29
	s_wait_dscnt 0x0
	v_cmp_gt_u64_e32 vcc_lo, 0x101, v[9:10]
	s_mov_b32 s1, -1
	s_delay_alu instid0(VALU_DEP_2)
	v_cmp_eq_u32_e64 s0, 1, v25
	s_cbranch_vccnz .LBB306_110
; %bb.107:
	s_wait_alu 0xfffe
	s_and_b32 vcc_lo, exec_lo, s1
	s_wait_alu 0xfffe
	s_cbranch_vccnz .LBB306_119
.LBB306_108:
	s_and_b32 s0, s2, s6
	s_wait_alu 0xfffe
	s_and_saveexec_b32 s1, s0
	s_cbranch_execnz .LBB306_131
.LBB306_109:
	s_endpgm
.LBB306_110:
	v_add_co_u32 v19, vcc_lo, v11, v9
	s_wait_alu 0xfffd
	v_add_co_ci_u32_e64 v20, null, v12, v10, vcc_lo
	v_lshlrev_b64_e32 v[29:30], 3, v[17:18]
	s_delay_alu instid0(VALU_DEP_2) | instskip(NEXT) | instid1(VALU_DEP_2)
	v_cmp_lt_u64_e32 vcc_lo, v[23:24], v[19:20]
	v_add_co_u32 v26, s1, s12, v29
	s_wait_alu 0xf1fe
	s_delay_alu instid0(VALU_DEP_3)
	v_add_co_ci_u32_e64 v29, null, s13, v30, s1
	s_or_b32 s1, s7, vcc_lo
	s_wait_alu 0xfffe
	s_and_b32 s1, s1, s0
	s_wait_alu 0xfffe
	s_and_saveexec_b32 s0, s1
	s_cbranch_execz .LBB306_112
; %bb.111:
	v_lshlrev_b64_e32 v[30:31], 3, v[23:24]
	s_delay_alu instid0(VALU_DEP_1) | instskip(SKIP_1) | instid1(VALU_DEP_2)
	v_add_co_u32 v30, vcc_lo, v26, v30
	s_wait_alu 0xfffd
	v_add_co_ci_u32_e64 v31, null, v29, v31, vcc_lo
	global_store_b64 v[30:31], v[1:2], off
.LBB306_112:
	s_wait_alu 0xfffe
	s_or_b32 exec_lo, exec_lo, s0
	v_and_b32_e32 v24, 1, v28
	v_cmp_lt_u64_e32 vcc_lo, v[21:22], v[19:20]
	s_delay_alu instid0(VALU_DEP_2)
	v_cmp_eq_u32_e64 s0, 1, v24
	s_or_b32 s1, s7, vcc_lo
	s_wait_alu 0xfffe
	s_and_b32 s1, s1, s0
	s_wait_alu 0xfffe
	s_and_saveexec_b32 s0, s1
	s_cbranch_execz .LBB306_114
; %bb.113:
	v_lshlrev_b64_e32 v[30:31], 3, v[21:22]
	s_delay_alu instid0(VALU_DEP_1) | instskip(SKIP_1) | instid1(VALU_DEP_2)
	v_add_co_u32 v30, vcc_lo, v26, v30
	s_wait_alu 0xfffd
	v_add_co_ci_u32_e64 v31, null, v29, v31, vcc_lo
	global_store_b64 v[30:31], v[5:6], off
.LBB306_114:
	s_wait_alu 0xfffe
	s_or_b32 exec_lo, exec_lo, s0
	v_and_b32_e32 v22, 1, v27
	v_cmp_lt_u64_e32 vcc_lo, v[13:14], v[19:20]
	s_delay_alu instid0(VALU_DEP_2)
	v_cmp_eq_u32_e64 s0, 1, v22
	s_or_b32 s1, s7, vcc_lo
	s_wait_alu 0xfffe
	s_and_b32 s1, s1, s0
	s_wait_alu 0xfffe
	s_and_saveexec_b32 s0, s1
	s_cbranch_execz .LBB306_116
; %bb.115:
	v_lshlrev_b64_e32 v[30:31], 3, v[13:14]
	s_delay_alu instid0(VALU_DEP_1) | instskip(SKIP_1) | instid1(VALU_DEP_2)
	v_add_co_u32 v30, vcc_lo, v26, v30
	s_wait_alu 0xfffd
	v_add_co_ci_u32_e64 v31, null, v29, v31, vcc_lo
	global_store_b64 v[30:31], v[7:8], off
.LBB306_116:
	s_wait_alu 0xfffe
	s_or_b32 exec_lo, exec_lo, s0
	v_cmp_lt_u64_e32 vcc_lo, v[15:16], v[19:20]
	s_or_b32 s0, s7, vcc_lo
	s_wait_alu 0xfffe
	s_and_b32 s1, s0, s10
	s_wait_alu 0xfffe
	s_and_saveexec_b32 s0, s1
	s_cbranch_execz .LBB306_118
; %bb.117:
	v_lshlrev_b64_e32 v[19:20], 3, v[15:16]
	s_delay_alu instid0(VALU_DEP_1) | instskip(SKIP_1) | instid1(VALU_DEP_2)
	v_add_co_u32 v19, vcc_lo, v26, v19
	s_wait_alu 0xfffd
	v_add_co_ci_u32_e64 v20, null, v29, v20, vcc_lo
	global_store_b64 v[19:20], v[3:4], off
.LBB306_118:
	s_wait_alu 0xfffe
	s_or_b32 exec_lo, exec_lo, s0
	s_branch .LBB306_108
.LBB306_119:
	s_mov_b32 s0, exec_lo
	v_cmpx_eq_u32_e32 1, v25
; %bb.120:
	v_sub_nc_u32_e32 v14, v23, v11
	s_delay_alu instid0(VALU_DEP_1)
	v_lshlrev_b32_e32 v14, 3, v14
	ds_store_b64 v14, v[1:2]
; %bb.121:
	s_wait_alu 0xfffe
	s_or_b32 exec_lo, exec_lo, s0
	v_and_b32_e32 v1, 1, v28
	s_mov_b32 s0, exec_lo
	s_delay_alu instid0(VALU_DEP_1)
	v_cmpx_eq_u32_e32 1, v1
; %bb.122:
	v_sub_nc_u32_e32 v1, v21, v11
	s_delay_alu instid0(VALU_DEP_1)
	v_lshlrev_b32_e32 v1, 3, v1
	ds_store_b64 v1, v[5:6]
; %bb.123:
	s_wait_alu 0xfffe
	s_or_b32 exec_lo, exec_lo, s0
	v_and_b32_e32 v1, 1, v27
	s_mov_b32 s0, exec_lo
	s_delay_alu instid0(VALU_DEP_1)
	v_cmpx_eq_u32_e32 1, v1
; %bb.124:
	v_sub_nc_u32_e32 v1, v13, v11
	s_delay_alu instid0(VALU_DEP_1)
	v_lshlrev_b32_e32 v1, 3, v1
	ds_store_b64 v1, v[7:8]
; %bb.125:
	s_wait_alu 0xfffe
	s_or_b32 exec_lo, exec_lo, s0
	s_and_saveexec_b32 s0, s10
; %bb.126:
	v_sub_nc_u32_e32 v1, v15, v11
	s_delay_alu instid0(VALU_DEP_1)
	v_lshlrev_b32_e32 v1, 3, v1
	ds_store_b64 v1, v[3:4]
; %bb.127:
	s_wait_alu 0xfffe
	s_or_b32 exec_lo, exec_lo, s0
	v_mov_b32_e32 v1, 0
	s_mov_b32 s1, exec_lo
	s_wait_storecnt 0x0
	s_wait_loadcnt_dscnt 0x0
	s_barrier_signal -1
	s_barrier_wait -1
	global_inv scope:SCOPE_SE
	v_cmpx_gt_u64_e64 v[9:10], v[0:1]
	s_cbranch_execz .LBB306_130
; %bb.128:
	v_lshlrev_b64_e32 v[2:3], 3, v[11:12]
	v_lshlrev_b64_e32 v[4:5], 3, v[17:18]
	s_mov_b32 s3, 0
	s_delay_alu instid0(VALU_DEP_2) | instskip(SKIP_1) | instid1(VALU_DEP_3)
	v_add_co_u32 v6, vcc_lo, s12, v2
	s_wait_alu 0xfffd
	v_add_co_ci_u32_e64 v7, null, s13, v3, vcc_lo
	v_dual_mov_b32 v3, v1 :: v_dual_mov_b32 v2, v0
	s_delay_alu instid0(VALU_DEP_3) | instskip(SKIP_1) | instid1(VALU_DEP_3)
	v_add_co_u32 v4, vcc_lo, v6, v4
	s_wait_alu 0xfffd
	v_add_co_ci_u32_e64 v5, null, v7, v5, vcc_lo
	v_or_b32_e32 v0, 0x100, v0
.LBB306_129:                            ; =>This Inner Loop Header: Depth=1
	v_lshlrev_b32_e32 v6, 3, v2
	v_lshlrev_b64_e32 v[13:14], 3, v[2:3]
	v_mov_b32_e32 v3, v1
	s_delay_alu instid0(VALU_DEP_4)
	v_cmp_le_u64_e32 vcc_lo, v[9:10], v[0:1]
	v_mov_b32_e32 v2, v0
	ds_load_b64 v[6:7], v6
	v_add_nc_u32_e32 v0, 0x100, v0
	v_add_co_u32 v13, s0, v4, v13
	s_wait_alu 0xf1ff
	v_add_co_ci_u32_e64 v14, null, v5, v14, s0
	s_wait_alu 0xfffe
	s_or_b32 s3, vcc_lo, s3
	s_wait_dscnt 0x0
	global_store_b64 v[13:14], v[6:7], off
	s_wait_alu 0xfffe
	s_and_not1_b32 exec_lo, exec_lo, s3
	s_cbranch_execnz .LBB306_129
.LBB306_130:
	s_wait_alu 0xfffe
	s_or_b32 exec_lo, exec_lo, s1
	s_and_b32 s0, s2, s6
	s_wait_alu 0xfffe
	s_and_saveexec_b32 s1, s0
	s_cbranch_execz .LBB306_109
.LBB306_131:
	v_add_co_u32 v0, vcc_lo, v11, v9
	s_wait_alu 0xfffd
	v_add_co_ci_u32_e64 v1, null, v12, v10, vcc_lo
	v_mov_b32_e32 v2, 0
	s_delay_alu instid0(VALU_DEP_3) | instskip(SKIP_1) | instid1(VALU_DEP_3)
	v_add_co_u32 v0, vcc_lo, v0, v17
	s_wait_alu 0xfffd
	v_add_co_ci_u32_e64 v1, null, v1, v18, vcc_lo
	global_store_b64 v2, v[0:1], s[8:9]
	s_endpgm
.LBB306_132:
	v_lshlrev_b32_e32 v3, 3, v0
	s_delay_alu instid0(VALU_DEP_1) | instskip(SKIP_4) | instid1(SALU_CYCLE_1)
	v_add_co_u32 v3, vcc_lo, v12, v3
	s_wait_alu 0xfffd
	v_add_co_ci_u32_e64 v4, null, 0, v13, vcc_lo
	flat_load_b64 v[3:4], v[3:4] offset:2048
	s_or_b32 exec_lo, exec_lo, s0
	s_mov_b32 s0, exec_lo
	v_cmpx_gt_u32_e64 s18, v11
	s_cbranch_execz .LBB306_11
.LBB306_133:
	v_lshlrev_b32_e32 v5, 3, v0
	s_delay_alu instid0(VALU_DEP_1) | instskip(SKIP_4) | instid1(SALU_CYCLE_1)
	v_add_co_u32 v5, vcc_lo, v12, v5
	s_wait_alu 0xfffd
	v_add_co_ci_u32_e64 v6, null, 0, v13, vcc_lo
	flat_load_b64 v[5:6], v[5:6] offset:4096
	s_or_b32 exec_lo, exec_lo, s0
	s_mov_b32 s0, exec_lo
	v_cmpx_gt_u32_e64 s18, v10
	s_cbranch_execnz .LBB306_12
	s_branch .LBB306_13
	.section	.rodata,"a",@progbits
	.p2align	6, 0x0
	.amdhsa_kernel _ZN7rocprim17ROCPRIM_400000_NS6detail17trampoline_kernelINS0_14default_configENS1_25partition_config_selectorILNS1_17partition_subalgoE6EdNS0_10empty_typeEbEEZZNS1_14partition_implILS5_6ELb0ES3_mN6thrust23THRUST_200600_302600_NS6detail15normal_iteratorINSA_10device_ptrIdEEEEPS6_SG_NS0_5tupleIJSF_S6_EEENSH_IJSG_SG_EEES6_PlJNSB_9not_fun_tINSB_14equal_to_valueIdEEEEEEE10hipError_tPvRmT3_T4_T5_T6_T7_T9_mT8_P12ihipStream_tbDpT10_ENKUlT_T0_E_clISt17integral_constantIbLb0EES17_IbLb1EEEEDaS13_S14_EUlS13_E_NS1_11comp_targetILNS1_3genE10ELNS1_11target_archE1200ELNS1_3gpuE4ELNS1_3repE0EEENS1_30default_config_static_selectorELNS0_4arch9wavefront6targetE0EEEvT1_
		.amdhsa_group_segment_fixed_size 8464
		.amdhsa_private_segment_fixed_size 0
		.amdhsa_kernarg_size 128
		.amdhsa_user_sgpr_count 2
		.amdhsa_user_sgpr_dispatch_ptr 0
		.amdhsa_user_sgpr_queue_ptr 0
		.amdhsa_user_sgpr_kernarg_segment_ptr 1
		.amdhsa_user_sgpr_dispatch_id 0
		.amdhsa_user_sgpr_private_segment_size 0
		.amdhsa_wavefront_size32 1
		.amdhsa_uses_dynamic_stack 0
		.amdhsa_enable_private_segment 0
		.amdhsa_system_sgpr_workgroup_id_x 1
		.amdhsa_system_sgpr_workgroup_id_y 0
		.amdhsa_system_sgpr_workgroup_id_z 0
		.amdhsa_system_sgpr_workgroup_info 0
		.amdhsa_system_vgpr_workitem_id 0
		.amdhsa_next_free_vgpr 48
		.amdhsa_next_free_sgpr 24
		.amdhsa_reserve_vcc 1
		.amdhsa_float_round_mode_32 0
		.amdhsa_float_round_mode_16_64 0
		.amdhsa_float_denorm_mode_32 3
		.amdhsa_float_denorm_mode_16_64 3
		.amdhsa_fp16_overflow 0
		.amdhsa_workgroup_processor_mode 1
		.amdhsa_memory_ordered 1
		.amdhsa_forward_progress 1
		.amdhsa_inst_pref_size 52
		.amdhsa_round_robin_scheduling 0
		.amdhsa_exception_fp_ieee_invalid_op 0
		.amdhsa_exception_fp_denorm_src 0
		.amdhsa_exception_fp_ieee_div_zero 0
		.amdhsa_exception_fp_ieee_overflow 0
		.amdhsa_exception_fp_ieee_underflow 0
		.amdhsa_exception_fp_ieee_inexact 0
		.amdhsa_exception_int_div_zero 0
	.end_amdhsa_kernel
	.section	.text._ZN7rocprim17ROCPRIM_400000_NS6detail17trampoline_kernelINS0_14default_configENS1_25partition_config_selectorILNS1_17partition_subalgoE6EdNS0_10empty_typeEbEEZZNS1_14partition_implILS5_6ELb0ES3_mN6thrust23THRUST_200600_302600_NS6detail15normal_iteratorINSA_10device_ptrIdEEEEPS6_SG_NS0_5tupleIJSF_S6_EEENSH_IJSG_SG_EEES6_PlJNSB_9not_fun_tINSB_14equal_to_valueIdEEEEEEE10hipError_tPvRmT3_T4_T5_T6_T7_T9_mT8_P12ihipStream_tbDpT10_ENKUlT_T0_E_clISt17integral_constantIbLb0EES17_IbLb1EEEEDaS13_S14_EUlS13_E_NS1_11comp_targetILNS1_3genE10ELNS1_11target_archE1200ELNS1_3gpuE4ELNS1_3repE0EEENS1_30default_config_static_selectorELNS0_4arch9wavefront6targetE0EEEvT1_,"axG",@progbits,_ZN7rocprim17ROCPRIM_400000_NS6detail17trampoline_kernelINS0_14default_configENS1_25partition_config_selectorILNS1_17partition_subalgoE6EdNS0_10empty_typeEbEEZZNS1_14partition_implILS5_6ELb0ES3_mN6thrust23THRUST_200600_302600_NS6detail15normal_iteratorINSA_10device_ptrIdEEEEPS6_SG_NS0_5tupleIJSF_S6_EEENSH_IJSG_SG_EEES6_PlJNSB_9not_fun_tINSB_14equal_to_valueIdEEEEEEE10hipError_tPvRmT3_T4_T5_T6_T7_T9_mT8_P12ihipStream_tbDpT10_ENKUlT_T0_E_clISt17integral_constantIbLb0EES17_IbLb1EEEEDaS13_S14_EUlS13_E_NS1_11comp_targetILNS1_3genE10ELNS1_11target_archE1200ELNS1_3gpuE4ELNS1_3repE0EEENS1_30default_config_static_selectorELNS0_4arch9wavefront6targetE0EEEvT1_,comdat
.Lfunc_end306:
	.size	_ZN7rocprim17ROCPRIM_400000_NS6detail17trampoline_kernelINS0_14default_configENS1_25partition_config_selectorILNS1_17partition_subalgoE6EdNS0_10empty_typeEbEEZZNS1_14partition_implILS5_6ELb0ES3_mN6thrust23THRUST_200600_302600_NS6detail15normal_iteratorINSA_10device_ptrIdEEEEPS6_SG_NS0_5tupleIJSF_S6_EEENSH_IJSG_SG_EEES6_PlJNSB_9not_fun_tINSB_14equal_to_valueIdEEEEEEE10hipError_tPvRmT3_T4_T5_T6_T7_T9_mT8_P12ihipStream_tbDpT10_ENKUlT_T0_E_clISt17integral_constantIbLb0EES17_IbLb1EEEEDaS13_S14_EUlS13_E_NS1_11comp_targetILNS1_3genE10ELNS1_11target_archE1200ELNS1_3gpuE4ELNS1_3repE0EEENS1_30default_config_static_selectorELNS0_4arch9wavefront6targetE0EEEvT1_, .Lfunc_end306-_ZN7rocprim17ROCPRIM_400000_NS6detail17trampoline_kernelINS0_14default_configENS1_25partition_config_selectorILNS1_17partition_subalgoE6EdNS0_10empty_typeEbEEZZNS1_14partition_implILS5_6ELb0ES3_mN6thrust23THRUST_200600_302600_NS6detail15normal_iteratorINSA_10device_ptrIdEEEEPS6_SG_NS0_5tupleIJSF_S6_EEENSH_IJSG_SG_EEES6_PlJNSB_9not_fun_tINSB_14equal_to_valueIdEEEEEEE10hipError_tPvRmT3_T4_T5_T6_T7_T9_mT8_P12ihipStream_tbDpT10_ENKUlT_T0_E_clISt17integral_constantIbLb0EES17_IbLb1EEEEDaS13_S14_EUlS13_E_NS1_11comp_targetILNS1_3genE10ELNS1_11target_archE1200ELNS1_3gpuE4ELNS1_3repE0EEENS1_30default_config_static_selectorELNS0_4arch9wavefront6targetE0EEEvT1_
                                        ; -- End function
	.set _ZN7rocprim17ROCPRIM_400000_NS6detail17trampoline_kernelINS0_14default_configENS1_25partition_config_selectorILNS1_17partition_subalgoE6EdNS0_10empty_typeEbEEZZNS1_14partition_implILS5_6ELb0ES3_mN6thrust23THRUST_200600_302600_NS6detail15normal_iteratorINSA_10device_ptrIdEEEEPS6_SG_NS0_5tupleIJSF_S6_EEENSH_IJSG_SG_EEES6_PlJNSB_9not_fun_tINSB_14equal_to_valueIdEEEEEEE10hipError_tPvRmT3_T4_T5_T6_T7_T9_mT8_P12ihipStream_tbDpT10_ENKUlT_T0_E_clISt17integral_constantIbLb0EES17_IbLb1EEEEDaS13_S14_EUlS13_E_NS1_11comp_targetILNS1_3genE10ELNS1_11target_archE1200ELNS1_3gpuE4ELNS1_3repE0EEENS1_30default_config_static_selectorELNS0_4arch9wavefront6targetE0EEEvT1_.num_vgpr, 48
	.set _ZN7rocprim17ROCPRIM_400000_NS6detail17trampoline_kernelINS0_14default_configENS1_25partition_config_selectorILNS1_17partition_subalgoE6EdNS0_10empty_typeEbEEZZNS1_14partition_implILS5_6ELb0ES3_mN6thrust23THRUST_200600_302600_NS6detail15normal_iteratorINSA_10device_ptrIdEEEEPS6_SG_NS0_5tupleIJSF_S6_EEENSH_IJSG_SG_EEES6_PlJNSB_9not_fun_tINSB_14equal_to_valueIdEEEEEEE10hipError_tPvRmT3_T4_T5_T6_T7_T9_mT8_P12ihipStream_tbDpT10_ENKUlT_T0_E_clISt17integral_constantIbLb0EES17_IbLb1EEEEDaS13_S14_EUlS13_E_NS1_11comp_targetILNS1_3genE10ELNS1_11target_archE1200ELNS1_3gpuE4ELNS1_3repE0EEENS1_30default_config_static_selectorELNS0_4arch9wavefront6targetE0EEEvT1_.num_agpr, 0
	.set _ZN7rocprim17ROCPRIM_400000_NS6detail17trampoline_kernelINS0_14default_configENS1_25partition_config_selectorILNS1_17partition_subalgoE6EdNS0_10empty_typeEbEEZZNS1_14partition_implILS5_6ELb0ES3_mN6thrust23THRUST_200600_302600_NS6detail15normal_iteratorINSA_10device_ptrIdEEEEPS6_SG_NS0_5tupleIJSF_S6_EEENSH_IJSG_SG_EEES6_PlJNSB_9not_fun_tINSB_14equal_to_valueIdEEEEEEE10hipError_tPvRmT3_T4_T5_T6_T7_T9_mT8_P12ihipStream_tbDpT10_ENKUlT_T0_E_clISt17integral_constantIbLb0EES17_IbLb1EEEEDaS13_S14_EUlS13_E_NS1_11comp_targetILNS1_3genE10ELNS1_11target_archE1200ELNS1_3gpuE4ELNS1_3repE0EEENS1_30default_config_static_selectorELNS0_4arch9wavefront6targetE0EEEvT1_.numbered_sgpr, 24
	.set _ZN7rocprim17ROCPRIM_400000_NS6detail17trampoline_kernelINS0_14default_configENS1_25partition_config_selectorILNS1_17partition_subalgoE6EdNS0_10empty_typeEbEEZZNS1_14partition_implILS5_6ELb0ES3_mN6thrust23THRUST_200600_302600_NS6detail15normal_iteratorINSA_10device_ptrIdEEEEPS6_SG_NS0_5tupleIJSF_S6_EEENSH_IJSG_SG_EEES6_PlJNSB_9not_fun_tINSB_14equal_to_valueIdEEEEEEE10hipError_tPvRmT3_T4_T5_T6_T7_T9_mT8_P12ihipStream_tbDpT10_ENKUlT_T0_E_clISt17integral_constantIbLb0EES17_IbLb1EEEEDaS13_S14_EUlS13_E_NS1_11comp_targetILNS1_3genE10ELNS1_11target_archE1200ELNS1_3gpuE4ELNS1_3repE0EEENS1_30default_config_static_selectorELNS0_4arch9wavefront6targetE0EEEvT1_.num_named_barrier, 0
	.set _ZN7rocprim17ROCPRIM_400000_NS6detail17trampoline_kernelINS0_14default_configENS1_25partition_config_selectorILNS1_17partition_subalgoE6EdNS0_10empty_typeEbEEZZNS1_14partition_implILS5_6ELb0ES3_mN6thrust23THRUST_200600_302600_NS6detail15normal_iteratorINSA_10device_ptrIdEEEEPS6_SG_NS0_5tupleIJSF_S6_EEENSH_IJSG_SG_EEES6_PlJNSB_9not_fun_tINSB_14equal_to_valueIdEEEEEEE10hipError_tPvRmT3_T4_T5_T6_T7_T9_mT8_P12ihipStream_tbDpT10_ENKUlT_T0_E_clISt17integral_constantIbLb0EES17_IbLb1EEEEDaS13_S14_EUlS13_E_NS1_11comp_targetILNS1_3genE10ELNS1_11target_archE1200ELNS1_3gpuE4ELNS1_3repE0EEENS1_30default_config_static_selectorELNS0_4arch9wavefront6targetE0EEEvT1_.private_seg_size, 0
	.set _ZN7rocprim17ROCPRIM_400000_NS6detail17trampoline_kernelINS0_14default_configENS1_25partition_config_selectorILNS1_17partition_subalgoE6EdNS0_10empty_typeEbEEZZNS1_14partition_implILS5_6ELb0ES3_mN6thrust23THRUST_200600_302600_NS6detail15normal_iteratorINSA_10device_ptrIdEEEEPS6_SG_NS0_5tupleIJSF_S6_EEENSH_IJSG_SG_EEES6_PlJNSB_9not_fun_tINSB_14equal_to_valueIdEEEEEEE10hipError_tPvRmT3_T4_T5_T6_T7_T9_mT8_P12ihipStream_tbDpT10_ENKUlT_T0_E_clISt17integral_constantIbLb0EES17_IbLb1EEEEDaS13_S14_EUlS13_E_NS1_11comp_targetILNS1_3genE10ELNS1_11target_archE1200ELNS1_3gpuE4ELNS1_3repE0EEENS1_30default_config_static_selectorELNS0_4arch9wavefront6targetE0EEEvT1_.uses_vcc, 1
	.set _ZN7rocprim17ROCPRIM_400000_NS6detail17trampoline_kernelINS0_14default_configENS1_25partition_config_selectorILNS1_17partition_subalgoE6EdNS0_10empty_typeEbEEZZNS1_14partition_implILS5_6ELb0ES3_mN6thrust23THRUST_200600_302600_NS6detail15normal_iteratorINSA_10device_ptrIdEEEEPS6_SG_NS0_5tupleIJSF_S6_EEENSH_IJSG_SG_EEES6_PlJNSB_9not_fun_tINSB_14equal_to_valueIdEEEEEEE10hipError_tPvRmT3_T4_T5_T6_T7_T9_mT8_P12ihipStream_tbDpT10_ENKUlT_T0_E_clISt17integral_constantIbLb0EES17_IbLb1EEEEDaS13_S14_EUlS13_E_NS1_11comp_targetILNS1_3genE10ELNS1_11target_archE1200ELNS1_3gpuE4ELNS1_3repE0EEENS1_30default_config_static_selectorELNS0_4arch9wavefront6targetE0EEEvT1_.uses_flat_scratch, 1
	.set _ZN7rocprim17ROCPRIM_400000_NS6detail17trampoline_kernelINS0_14default_configENS1_25partition_config_selectorILNS1_17partition_subalgoE6EdNS0_10empty_typeEbEEZZNS1_14partition_implILS5_6ELb0ES3_mN6thrust23THRUST_200600_302600_NS6detail15normal_iteratorINSA_10device_ptrIdEEEEPS6_SG_NS0_5tupleIJSF_S6_EEENSH_IJSG_SG_EEES6_PlJNSB_9not_fun_tINSB_14equal_to_valueIdEEEEEEE10hipError_tPvRmT3_T4_T5_T6_T7_T9_mT8_P12ihipStream_tbDpT10_ENKUlT_T0_E_clISt17integral_constantIbLb0EES17_IbLb1EEEEDaS13_S14_EUlS13_E_NS1_11comp_targetILNS1_3genE10ELNS1_11target_archE1200ELNS1_3gpuE4ELNS1_3repE0EEENS1_30default_config_static_selectorELNS0_4arch9wavefront6targetE0EEEvT1_.has_dyn_sized_stack, 0
	.set _ZN7rocprim17ROCPRIM_400000_NS6detail17trampoline_kernelINS0_14default_configENS1_25partition_config_selectorILNS1_17partition_subalgoE6EdNS0_10empty_typeEbEEZZNS1_14partition_implILS5_6ELb0ES3_mN6thrust23THRUST_200600_302600_NS6detail15normal_iteratorINSA_10device_ptrIdEEEEPS6_SG_NS0_5tupleIJSF_S6_EEENSH_IJSG_SG_EEES6_PlJNSB_9not_fun_tINSB_14equal_to_valueIdEEEEEEE10hipError_tPvRmT3_T4_T5_T6_T7_T9_mT8_P12ihipStream_tbDpT10_ENKUlT_T0_E_clISt17integral_constantIbLb0EES17_IbLb1EEEEDaS13_S14_EUlS13_E_NS1_11comp_targetILNS1_3genE10ELNS1_11target_archE1200ELNS1_3gpuE4ELNS1_3repE0EEENS1_30default_config_static_selectorELNS0_4arch9wavefront6targetE0EEEvT1_.has_recursion, 0
	.set _ZN7rocprim17ROCPRIM_400000_NS6detail17trampoline_kernelINS0_14default_configENS1_25partition_config_selectorILNS1_17partition_subalgoE6EdNS0_10empty_typeEbEEZZNS1_14partition_implILS5_6ELb0ES3_mN6thrust23THRUST_200600_302600_NS6detail15normal_iteratorINSA_10device_ptrIdEEEEPS6_SG_NS0_5tupleIJSF_S6_EEENSH_IJSG_SG_EEES6_PlJNSB_9not_fun_tINSB_14equal_to_valueIdEEEEEEE10hipError_tPvRmT3_T4_T5_T6_T7_T9_mT8_P12ihipStream_tbDpT10_ENKUlT_T0_E_clISt17integral_constantIbLb0EES17_IbLb1EEEEDaS13_S14_EUlS13_E_NS1_11comp_targetILNS1_3genE10ELNS1_11target_archE1200ELNS1_3gpuE4ELNS1_3repE0EEENS1_30default_config_static_selectorELNS0_4arch9wavefront6targetE0EEEvT1_.has_indirect_call, 0
	.section	.AMDGPU.csdata,"",@progbits
; Kernel info:
; codeLenInByte = 6564
; TotalNumSgprs: 26
; NumVgprs: 48
; ScratchSize: 0
; MemoryBound: 0
; FloatMode: 240
; IeeeMode: 1
; LDSByteSize: 8464 bytes/workgroup (compile time only)
; SGPRBlocks: 0
; VGPRBlocks: 5
; NumSGPRsForWavesPerEU: 26
; NumVGPRsForWavesPerEU: 48
; Occupancy: 16
; WaveLimiterHint : 1
; COMPUTE_PGM_RSRC2:SCRATCH_EN: 0
; COMPUTE_PGM_RSRC2:USER_SGPR: 2
; COMPUTE_PGM_RSRC2:TRAP_HANDLER: 0
; COMPUTE_PGM_RSRC2:TGID_X_EN: 1
; COMPUTE_PGM_RSRC2:TGID_Y_EN: 0
; COMPUTE_PGM_RSRC2:TGID_Z_EN: 0
; COMPUTE_PGM_RSRC2:TIDIG_COMP_CNT: 0
	.section	.text._ZN7rocprim17ROCPRIM_400000_NS6detail17trampoline_kernelINS0_14default_configENS1_25partition_config_selectorILNS1_17partition_subalgoE6EdNS0_10empty_typeEbEEZZNS1_14partition_implILS5_6ELb0ES3_mN6thrust23THRUST_200600_302600_NS6detail15normal_iteratorINSA_10device_ptrIdEEEEPS6_SG_NS0_5tupleIJSF_S6_EEENSH_IJSG_SG_EEES6_PlJNSB_9not_fun_tINSB_14equal_to_valueIdEEEEEEE10hipError_tPvRmT3_T4_T5_T6_T7_T9_mT8_P12ihipStream_tbDpT10_ENKUlT_T0_E_clISt17integral_constantIbLb0EES17_IbLb1EEEEDaS13_S14_EUlS13_E_NS1_11comp_targetILNS1_3genE9ELNS1_11target_archE1100ELNS1_3gpuE3ELNS1_3repE0EEENS1_30default_config_static_selectorELNS0_4arch9wavefront6targetE0EEEvT1_,"axG",@progbits,_ZN7rocprim17ROCPRIM_400000_NS6detail17trampoline_kernelINS0_14default_configENS1_25partition_config_selectorILNS1_17partition_subalgoE6EdNS0_10empty_typeEbEEZZNS1_14partition_implILS5_6ELb0ES3_mN6thrust23THRUST_200600_302600_NS6detail15normal_iteratorINSA_10device_ptrIdEEEEPS6_SG_NS0_5tupleIJSF_S6_EEENSH_IJSG_SG_EEES6_PlJNSB_9not_fun_tINSB_14equal_to_valueIdEEEEEEE10hipError_tPvRmT3_T4_T5_T6_T7_T9_mT8_P12ihipStream_tbDpT10_ENKUlT_T0_E_clISt17integral_constantIbLb0EES17_IbLb1EEEEDaS13_S14_EUlS13_E_NS1_11comp_targetILNS1_3genE9ELNS1_11target_archE1100ELNS1_3gpuE3ELNS1_3repE0EEENS1_30default_config_static_selectorELNS0_4arch9wavefront6targetE0EEEvT1_,comdat
	.protected	_ZN7rocprim17ROCPRIM_400000_NS6detail17trampoline_kernelINS0_14default_configENS1_25partition_config_selectorILNS1_17partition_subalgoE6EdNS0_10empty_typeEbEEZZNS1_14partition_implILS5_6ELb0ES3_mN6thrust23THRUST_200600_302600_NS6detail15normal_iteratorINSA_10device_ptrIdEEEEPS6_SG_NS0_5tupleIJSF_S6_EEENSH_IJSG_SG_EEES6_PlJNSB_9not_fun_tINSB_14equal_to_valueIdEEEEEEE10hipError_tPvRmT3_T4_T5_T6_T7_T9_mT8_P12ihipStream_tbDpT10_ENKUlT_T0_E_clISt17integral_constantIbLb0EES17_IbLb1EEEEDaS13_S14_EUlS13_E_NS1_11comp_targetILNS1_3genE9ELNS1_11target_archE1100ELNS1_3gpuE3ELNS1_3repE0EEENS1_30default_config_static_selectorELNS0_4arch9wavefront6targetE0EEEvT1_ ; -- Begin function _ZN7rocprim17ROCPRIM_400000_NS6detail17trampoline_kernelINS0_14default_configENS1_25partition_config_selectorILNS1_17partition_subalgoE6EdNS0_10empty_typeEbEEZZNS1_14partition_implILS5_6ELb0ES3_mN6thrust23THRUST_200600_302600_NS6detail15normal_iteratorINSA_10device_ptrIdEEEEPS6_SG_NS0_5tupleIJSF_S6_EEENSH_IJSG_SG_EEES6_PlJNSB_9not_fun_tINSB_14equal_to_valueIdEEEEEEE10hipError_tPvRmT3_T4_T5_T6_T7_T9_mT8_P12ihipStream_tbDpT10_ENKUlT_T0_E_clISt17integral_constantIbLb0EES17_IbLb1EEEEDaS13_S14_EUlS13_E_NS1_11comp_targetILNS1_3genE9ELNS1_11target_archE1100ELNS1_3gpuE3ELNS1_3repE0EEENS1_30default_config_static_selectorELNS0_4arch9wavefront6targetE0EEEvT1_
	.globl	_ZN7rocprim17ROCPRIM_400000_NS6detail17trampoline_kernelINS0_14default_configENS1_25partition_config_selectorILNS1_17partition_subalgoE6EdNS0_10empty_typeEbEEZZNS1_14partition_implILS5_6ELb0ES3_mN6thrust23THRUST_200600_302600_NS6detail15normal_iteratorINSA_10device_ptrIdEEEEPS6_SG_NS0_5tupleIJSF_S6_EEENSH_IJSG_SG_EEES6_PlJNSB_9not_fun_tINSB_14equal_to_valueIdEEEEEEE10hipError_tPvRmT3_T4_T5_T6_T7_T9_mT8_P12ihipStream_tbDpT10_ENKUlT_T0_E_clISt17integral_constantIbLb0EES17_IbLb1EEEEDaS13_S14_EUlS13_E_NS1_11comp_targetILNS1_3genE9ELNS1_11target_archE1100ELNS1_3gpuE3ELNS1_3repE0EEENS1_30default_config_static_selectorELNS0_4arch9wavefront6targetE0EEEvT1_
	.p2align	8
	.type	_ZN7rocprim17ROCPRIM_400000_NS6detail17trampoline_kernelINS0_14default_configENS1_25partition_config_selectorILNS1_17partition_subalgoE6EdNS0_10empty_typeEbEEZZNS1_14partition_implILS5_6ELb0ES3_mN6thrust23THRUST_200600_302600_NS6detail15normal_iteratorINSA_10device_ptrIdEEEEPS6_SG_NS0_5tupleIJSF_S6_EEENSH_IJSG_SG_EEES6_PlJNSB_9not_fun_tINSB_14equal_to_valueIdEEEEEEE10hipError_tPvRmT3_T4_T5_T6_T7_T9_mT8_P12ihipStream_tbDpT10_ENKUlT_T0_E_clISt17integral_constantIbLb0EES17_IbLb1EEEEDaS13_S14_EUlS13_E_NS1_11comp_targetILNS1_3genE9ELNS1_11target_archE1100ELNS1_3gpuE3ELNS1_3repE0EEENS1_30default_config_static_selectorELNS0_4arch9wavefront6targetE0EEEvT1_,@function
_ZN7rocprim17ROCPRIM_400000_NS6detail17trampoline_kernelINS0_14default_configENS1_25partition_config_selectorILNS1_17partition_subalgoE6EdNS0_10empty_typeEbEEZZNS1_14partition_implILS5_6ELb0ES3_mN6thrust23THRUST_200600_302600_NS6detail15normal_iteratorINSA_10device_ptrIdEEEEPS6_SG_NS0_5tupleIJSF_S6_EEENSH_IJSG_SG_EEES6_PlJNSB_9not_fun_tINSB_14equal_to_valueIdEEEEEEE10hipError_tPvRmT3_T4_T5_T6_T7_T9_mT8_P12ihipStream_tbDpT10_ENKUlT_T0_E_clISt17integral_constantIbLb0EES17_IbLb1EEEEDaS13_S14_EUlS13_E_NS1_11comp_targetILNS1_3genE9ELNS1_11target_archE1100ELNS1_3gpuE3ELNS1_3repE0EEENS1_30default_config_static_selectorELNS0_4arch9wavefront6targetE0EEEvT1_: ; @_ZN7rocprim17ROCPRIM_400000_NS6detail17trampoline_kernelINS0_14default_configENS1_25partition_config_selectorILNS1_17partition_subalgoE6EdNS0_10empty_typeEbEEZZNS1_14partition_implILS5_6ELb0ES3_mN6thrust23THRUST_200600_302600_NS6detail15normal_iteratorINSA_10device_ptrIdEEEEPS6_SG_NS0_5tupleIJSF_S6_EEENSH_IJSG_SG_EEES6_PlJNSB_9not_fun_tINSB_14equal_to_valueIdEEEEEEE10hipError_tPvRmT3_T4_T5_T6_T7_T9_mT8_P12ihipStream_tbDpT10_ENKUlT_T0_E_clISt17integral_constantIbLb0EES17_IbLb1EEEEDaS13_S14_EUlS13_E_NS1_11comp_targetILNS1_3genE9ELNS1_11target_archE1100ELNS1_3gpuE3ELNS1_3repE0EEENS1_30default_config_static_selectorELNS0_4arch9wavefront6targetE0EEEvT1_
; %bb.0:
	.section	.rodata,"a",@progbits
	.p2align	6, 0x0
	.amdhsa_kernel _ZN7rocprim17ROCPRIM_400000_NS6detail17trampoline_kernelINS0_14default_configENS1_25partition_config_selectorILNS1_17partition_subalgoE6EdNS0_10empty_typeEbEEZZNS1_14partition_implILS5_6ELb0ES3_mN6thrust23THRUST_200600_302600_NS6detail15normal_iteratorINSA_10device_ptrIdEEEEPS6_SG_NS0_5tupleIJSF_S6_EEENSH_IJSG_SG_EEES6_PlJNSB_9not_fun_tINSB_14equal_to_valueIdEEEEEEE10hipError_tPvRmT3_T4_T5_T6_T7_T9_mT8_P12ihipStream_tbDpT10_ENKUlT_T0_E_clISt17integral_constantIbLb0EES17_IbLb1EEEEDaS13_S14_EUlS13_E_NS1_11comp_targetILNS1_3genE9ELNS1_11target_archE1100ELNS1_3gpuE3ELNS1_3repE0EEENS1_30default_config_static_selectorELNS0_4arch9wavefront6targetE0EEEvT1_
		.amdhsa_group_segment_fixed_size 0
		.amdhsa_private_segment_fixed_size 0
		.amdhsa_kernarg_size 128
		.amdhsa_user_sgpr_count 2
		.amdhsa_user_sgpr_dispatch_ptr 0
		.amdhsa_user_sgpr_queue_ptr 0
		.amdhsa_user_sgpr_kernarg_segment_ptr 1
		.amdhsa_user_sgpr_dispatch_id 0
		.amdhsa_user_sgpr_private_segment_size 0
		.amdhsa_wavefront_size32 1
		.amdhsa_uses_dynamic_stack 0
		.amdhsa_enable_private_segment 0
		.amdhsa_system_sgpr_workgroup_id_x 1
		.amdhsa_system_sgpr_workgroup_id_y 0
		.amdhsa_system_sgpr_workgroup_id_z 0
		.amdhsa_system_sgpr_workgroup_info 0
		.amdhsa_system_vgpr_workitem_id 0
		.amdhsa_next_free_vgpr 1
		.amdhsa_next_free_sgpr 1
		.amdhsa_reserve_vcc 0
		.amdhsa_float_round_mode_32 0
		.amdhsa_float_round_mode_16_64 0
		.amdhsa_float_denorm_mode_32 3
		.amdhsa_float_denorm_mode_16_64 3
		.amdhsa_fp16_overflow 0
		.amdhsa_workgroup_processor_mode 1
		.amdhsa_memory_ordered 1
		.amdhsa_forward_progress 1
		.amdhsa_inst_pref_size 0
		.amdhsa_round_robin_scheduling 0
		.amdhsa_exception_fp_ieee_invalid_op 0
		.amdhsa_exception_fp_denorm_src 0
		.amdhsa_exception_fp_ieee_div_zero 0
		.amdhsa_exception_fp_ieee_overflow 0
		.amdhsa_exception_fp_ieee_underflow 0
		.amdhsa_exception_fp_ieee_inexact 0
		.amdhsa_exception_int_div_zero 0
	.end_amdhsa_kernel
	.section	.text._ZN7rocprim17ROCPRIM_400000_NS6detail17trampoline_kernelINS0_14default_configENS1_25partition_config_selectorILNS1_17partition_subalgoE6EdNS0_10empty_typeEbEEZZNS1_14partition_implILS5_6ELb0ES3_mN6thrust23THRUST_200600_302600_NS6detail15normal_iteratorINSA_10device_ptrIdEEEEPS6_SG_NS0_5tupleIJSF_S6_EEENSH_IJSG_SG_EEES6_PlJNSB_9not_fun_tINSB_14equal_to_valueIdEEEEEEE10hipError_tPvRmT3_T4_T5_T6_T7_T9_mT8_P12ihipStream_tbDpT10_ENKUlT_T0_E_clISt17integral_constantIbLb0EES17_IbLb1EEEEDaS13_S14_EUlS13_E_NS1_11comp_targetILNS1_3genE9ELNS1_11target_archE1100ELNS1_3gpuE3ELNS1_3repE0EEENS1_30default_config_static_selectorELNS0_4arch9wavefront6targetE0EEEvT1_,"axG",@progbits,_ZN7rocprim17ROCPRIM_400000_NS6detail17trampoline_kernelINS0_14default_configENS1_25partition_config_selectorILNS1_17partition_subalgoE6EdNS0_10empty_typeEbEEZZNS1_14partition_implILS5_6ELb0ES3_mN6thrust23THRUST_200600_302600_NS6detail15normal_iteratorINSA_10device_ptrIdEEEEPS6_SG_NS0_5tupleIJSF_S6_EEENSH_IJSG_SG_EEES6_PlJNSB_9not_fun_tINSB_14equal_to_valueIdEEEEEEE10hipError_tPvRmT3_T4_T5_T6_T7_T9_mT8_P12ihipStream_tbDpT10_ENKUlT_T0_E_clISt17integral_constantIbLb0EES17_IbLb1EEEEDaS13_S14_EUlS13_E_NS1_11comp_targetILNS1_3genE9ELNS1_11target_archE1100ELNS1_3gpuE3ELNS1_3repE0EEENS1_30default_config_static_selectorELNS0_4arch9wavefront6targetE0EEEvT1_,comdat
.Lfunc_end307:
	.size	_ZN7rocprim17ROCPRIM_400000_NS6detail17trampoline_kernelINS0_14default_configENS1_25partition_config_selectorILNS1_17partition_subalgoE6EdNS0_10empty_typeEbEEZZNS1_14partition_implILS5_6ELb0ES3_mN6thrust23THRUST_200600_302600_NS6detail15normal_iteratorINSA_10device_ptrIdEEEEPS6_SG_NS0_5tupleIJSF_S6_EEENSH_IJSG_SG_EEES6_PlJNSB_9not_fun_tINSB_14equal_to_valueIdEEEEEEE10hipError_tPvRmT3_T4_T5_T6_T7_T9_mT8_P12ihipStream_tbDpT10_ENKUlT_T0_E_clISt17integral_constantIbLb0EES17_IbLb1EEEEDaS13_S14_EUlS13_E_NS1_11comp_targetILNS1_3genE9ELNS1_11target_archE1100ELNS1_3gpuE3ELNS1_3repE0EEENS1_30default_config_static_selectorELNS0_4arch9wavefront6targetE0EEEvT1_, .Lfunc_end307-_ZN7rocprim17ROCPRIM_400000_NS6detail17trampoline_kernelINS0_14default_configENS1_25partition_config_selectorILNS1_17partition_subalgoE6EdNS0_10empty_typeEbEEZZNS1_14partition_implILS5_6ELb0ES3_mN6thrust23THRUST_200600_302600_NS6detail15normal_iteratorINSA_10device_ptrIdEEEEPS6_SG_NS0_5tupleIJSF_S6_EEENSH_IJSG_SG_EEES6_PlJNSB_9not_fun_tINSB_14equal_to_valueIdEEEEEEE10hipError_tPvRmT3_T4_T5_T6_T7_T9_mT8_P12ihipStream_tbDpT10_ENKUlT_T0_E_clISt17integral_constantIbLb0EES17_IbLb1EEEEDaS13_S14_EUlS13_E_NS1_11comp_targetILNS1_3genE9ELNS1_11target_archE1100ELNS1_3gpuE3ELNS1_3repE0EEENS1_30default_config_static_selectorELNS0_4arch9wavefront6targetE0EEEvT1_
                                        ; -- End function
	.set _ZN7rocprim17ROCPRIM_400000_NS6detail17trampoline_kernelINS0_14default_configENS1_25partition_config_selectorILNS1_17partition_subalgoE6EdNS0_10empty_typeEbEEZZNS1_14partition_implILS5_6ELb0ES3_mN6thrust23THRUST_200600_302600_NS6detail15normal_iteratorINSA_10device_ptrIdEEEEPS6_SG_NS0_5tupleIJSF_S6_EEENSH_IJSG_SG_EEES6_PlJNSB_9not_fun_tINSB_14equal_to_valueIdEEEEEEE10hipError_tPvRmT3_T4_T5_T6_T7_T9_mT8_P12ihipStream_tbDpT10_ENKUlT_T0_E_clISt17integral_constantIbLb0EES17_IbLb1EEEEDaS13_S14_EUlS13_E_NS1_11comp_targetILNS1_3genE9ELNS1_11target_archE1100ELNS1_3gpuE3ELNS1_3repE0EEENS1_30default_config_static_selectorELNS0_4arch9wavefront6targetE0EEEvT1_.num_vgpr, 0
	.set _ZN7rocprim17ROCPRIM_400000_NS6detail17trampoline_kernelINS0_14default_configENS1_25partition_config_selectorILNS1_17partition_subalgoE6EdNS0_10empty_typeEbEEZZNS1_14partition_implILS5_6ELb0ES3_mN6thrust23THRUST_200600_302600_NS6detail15normal_iteratorINSA_10device_ptrIdEEEEPS6_SG_NS0_5tupleIJSF_S6_EEENSH_IJSG_SG_EEES6_PlJNSB_9not_fun_tINSB_14equal_to_valueIdEEEEEEE10hipError_tPvRmT3_T4_T5_T6_T7_T9_mT8_P12ihipStream_tbDpT10_ENKUlT_T0_E_clISt17integral_constantIbLb0EES17_IbLb1EEEEDaS13_S14_EUlS13_E_NS1_11comp_targetILNS1_3genE9ELNS1_11target_archE1100ELNS1_3gpuE3ELNS1_3repE0EEENS1_30default_config_static_selectorELNS0_4arch9wavefront6targetE0EEEvT1_.num_agpr, 0
	.set _ZN7rocprim17ROCPRIM_400000_NS6detail17trampoline_kernelINS0_14default_configENS1_25partition_config_selectorILNS1_17partition_subalgoE6EdNS0_10empty_typeEbEEZZNS1_14partition_implILS5_6ELb0ES3_mN6thrust23THRUST_200600_302600_NS6detail15normal_iteratorINSA_10device_ptrIdEEEEPS6_SG_NS0_5tupleIJSF_S6_EEENSH_IJSG_SG_EEES6_PlJNSB_9not_fun_tINSB_14equal_to_valueIdEEEEEEE10hipError_tPvRmT3_T4_T5_T6_T7_T9_mT8_P12ihipStream_tbDpT10_ENKUlT_T0_E_clISt17integral_constantIbLb0EES17_IbLb1EEEEDaS13_S14_EUlS13_E_NS1_11comp_targetILNS1_3genE9ELNS1_11target_archE1100ELNS1_3gpuE3ELNS1_3repE0EEENS1_30default_config_static_selectorELNS0_4arch9wavefront6targetE0EEEvT1_.numbered_sgpr, 0
	.set _ZN7rocprim17ROCPRIM_400000_NS6detail17trampoline_kernelINS0_14default_configENS1_25partition_config_selectorILNS1_17partition_subalgoE6EdNS0_10empty_typeEbEEZZNS1_14partition_implILS5_6ELb0ES3_mN6thrust23THRUST_200600_302600_NS6detail15normal_iteratorINSA_10device_ptrIdEEEEPS6_SG_NS0_5tupleIJSF_S6_EEENSH_IJSG_SG_EEES6_PlJNSB_9not_fun_tINSB_14equal_to_valueIdEEEEEEE10hipError_tPvRmT3_T4_T5_T6_T7_T9_mT8_P12ihipStream_tbDpT10_ENKUlT_T0_E_clISt17integral_constantIbLb0EES17_IbLb1EEEEDaS13_S14_EUlS13_E_NS1_11comp_targetILNS1_3genE9ELNS1_11target_archE1100ELNS1_3gpuE3ELNS1_3repE0EEENS1_30default_config_static_selectorELNS0_4arch9wavefront6targetE0EEEvT1_.num_named_barrier, 0
	.set _ZN7rocprim17ROCPRIM_400000_NS6detail17trampoline_kernelINS0_14default_configENS1_25partition_config_selectorILNS1_17partition_subalgoE6EdNS0_10empty_typeEbEEZZNS1_14partition_implILS5_6ELb0ES3_mN6thrust23THRUST_200600_302600_NS6detail15normal_iteratorINSA_10device_ptrIdEEEEPS6_SG_NS0_5tupleIJSF_S6_EEENSH_IJSG_SG_EEES6_PlJNSB_9not_fun_tINSB_14equal_to_valueIdEEEEEEE10hipError_tPvRmT3_T4_T5_T6_T7_T9_mT8_P12ihipStream_tbDpT10_ENKUlT_T0_E_clISt17integral_constantIbLb0EES17_IbLb1EEEEDaS13_S14_EUlS13_E_NS1_11comp_targetILNS1_3genE9ELNS1_11target_archE1100ELNS1_3gpuE3ELNS1_3repE0EEENS1_30default_config_static_selectorELNS0_4arch9wavefront6targetE0EEEvT1_.private_seg_size, 0
	.set _ZN7rocprim17ROCPRIM_400000_NS6detail17trampoline_kernelINS0_14default_configENS1_25partition_config_selectorILNS1_17partition_subalgoE6EdNS0_10empty_typeEbEEZZNS1_14partition_implILS5_6ELb0ES3_mN6thrust23THRUST_200600_302600_NS6detail15normal_iteratorINSA_10device_ptrIdEEEEPS6_SG_NS0_5tupleIJSF_S6_EEENSH_IJSG_SG_EEES6_PlJNSB_9not_fun_tINSB_14equal_to_valueIdEEEEEEE10hipError_tPvRmT3_T4_T5_T6_T7_T9_mT8_P12ihipStream_tbDpT10_ENKUlT_T0_E_clISt17integral_constantIbLb0EES17_IbLb1EEEEDaS13_S14_EUlS13_E_NS1_11comp_targetILNS1_3genE9ELNS1_11target_archE1100ELNS1_3gpuE3ELNS1_3repE0EEENS1_30default_config_static_selectorELNS0_4arch9wavefront6targetE0EEEvT1_.uses_vcc, 0
	.set _ZN7rocprim17ROCPRIM_400000_NS6detail17trampoline_kernelINS0_14default_configENS1_25partition_config_selectorILNS1_17partition_subalgoE6EdNS0_10empty_typeEbEEZZNS1_14partition_implILS5_6ELb0ES3_mN6thrust23THRUST_200600_302600_NS6detail15normal_iteratorINSA_10device_ptrIdEEEEPS6_SG_NS0_5tupleIJSF_S6_EEENSH_IJSG_SG_EEES6_PlJNSB_9not_fun_tINSB_14equal_to_valueIdEEEEEEE10hipError_tPvRmT3_T4_T5_T6_T7_T9_mT8_P12ihipStream_tbDpT10_ENKUlT_T0_E_clISt17integral_constantIbLb0EES17_IbLb1EEEEDaS13_S14_EUlS13_E_NS1_11comp_targetILNS1_3genE9ELNS1_11target_archE1100ELNS1_3gpuE3ELNS1_3repE0EEENS1_30default_config_static_selectorELNS0_4arch9wavefront6targetE0EEEvT1_.uses_flat_scratch, 0
	.set _ZN7rocprim17ROCPRIM_400000_NS6detail17trampoline_kernelINS0_14default_configENS1_25partition_config_selectorILNS1_17partition_subalgoE6EdNS0_10empty_typeEbEEZZNS1_14partition_implILS5_6ELb0ES3_mN6thrust23THRUST_200600_302600_NS6detail15normal_iteratorINSA_10device_ptrIdEEEEPS6_SG_NS0_5tupleIJSF_S6_EEENSH_IJSG_SG_EEES6_PlJNSB_9not_fun_tINSB_14equal_to_valueIdEEEEEEE10hipError_tPvRmT3_T4_T5_T6_T7_T9_mT8_P12ihipStream_tbDpT10_ENKUlT_T0_E_clISt17integral_constantIbLb0EES17_IbLb1EEEEDaS13_S14_EUlS13_E_NS1_11comp_targetILNS1_3genE9ELNS1_11target_archE1100ELNS1_3gpuE3ELNS1_3repE0EEENS1_30default_config_static_selectorELNS0_4arch9wavefront6targetE0EEEvT1_.has_dyn_sized_stack, 0
	.set _ZN7rocprim17ROCPRIM_400000_NS6detail17trampoline_kernelINS0_14default_configENS1_25partition_config_selectorILNS1_17partition_subalgoE6EdNS0_10empty_typeEbEEZZNS1_14partition_implILS5_6ELb0ES3_mN6thrust23THRUST_200600_302600_NS6detail15normal_iteratorINSA_10device_ptrIdEEEEPS6_SG_NS0_5tupleIJSF_S6_EEENSH_IJSG_SG_EEES6_PlJNSB_9not_fun_tINSB_14equal_to_valueIdEEEEEEE10hipError_tPvRmT3_T4_T5_T6_T7_T9_mT8_P12ihipStream_tbDpT10_ENKUlT_T0_E_clISt17integral_constantIbLb0EES17_IbLb1EEEEDaS13_S14_EUlS13_E_NS1_11comp_targetILNS1_3genE9ELNS1_11target_archE1100ELNS1_3gpuE3ELNS1_3repE0EEENS1_30default_config_static_selectorELNS0_4arch9wavefront6targetE0EEEvT1_.has_recursion, 0
	.set _ZN7rocprim17ROCPRIM_400000_NS6detail17trampoline_kernelINS0_14default_configENS1_25partition_config_selectorILNS1_17partition_subalgoE6EdNS0_10empty_typeEbEEZZNS1_14partition_implILS5_6ELb0ES3_mN6thrust23THRUST_200600_302600_NS6detail15normal_iteratorINSA_10device_ptrIdEEEEPS6_SG_NS0_5tupleIJSF_S6_EEENSH_IJSG_SG_EEES6_PlJNSB_9not_fun_tINSB_14equal_to_valueIdEEEEEEE10hipError_tPvRmT3_T4_T5_T6_T7_T9_mT8_P12ihipStream_tbDpT10_ENKUlT_T0_E_clISt17integral_constantIbLb0EES17_IbLb1EEEEDaS13_S14_EUlS13_E_NS1_11comp_targetILNS1_3genE9ELNS1_11target_archE1100ELNS1_3gpuE3ELNS1_3repE0EEENS1_30default_config_static_selectorELNS0_4arch9wavefront6targetE0EEEvT1_.has_indirect_call, 0
	.section	.AMDGPU.csdata,"",@progbits
; Kernel info:
; codeLenInByte = 0
; TotalNumSgprs: 0
; NumVgprs: 0
; ScratchSize: 0
; MemoryBound: 0
; FloatMode: 240
; IeeeMode: 1
; LDSByteSize: 0 bytes/workgroup (compile time only)
; SGPRBlocks: 0
; VGPRBlocks: 0
; NumSGPRsForWavesPerEU: 1
; NumVGPRsForWavesPerEU: 1
; Occupancy: 16
; WaveLimiterHint : 0
; COMPUTE_PGM_RSRC2:SCRATCH_EN: 0
; COMPUTE_PGM_RSRC2:USER_SGPR: 2
; COMPUTE_PGM_RSRC2:TRAP_HANDLER: 0
; COMPUTE_PGM_RSRC2:TGID_X_EN: 1
; COMPUTE_PGM_RSRC2:TGID_Y_EN: 0
; COMPUTE_PGM_RSRC2:TGID_Z_EN: 0
; COMPUTE_PGM_RSRC2:TIDIG_COMP_CNT: 0
	.section	.text._ZN7rocprim17ROCPRIM_400000_NS6detail17trampoline_kernelINS0_14default_configENS1_25partition_config_selectorILNS1_17partition_subalgoE6EdNS0_10empty_typeEbEEZZNS1_14partition_implILS5_6ELb0ES3_mN6thrust23THRUST_200600_302600_NS6detail15normal_iteratorINSA_10device_ptrIdEEEEPS6_SG_NS0_5tupleIJSF_S6_EEENSH_IJSG_SG_EEES6_PlJNSB_9not_fun_tINSB_14equal_to_valueIdEEEEEEE10hipError_tPvRmT3_T4_T5_T6_T7_T9_mT8_P12ihipStream_tbDpT10_ENKUlT_T0_E_clISt17integral_constantIbLb0EES17_IbLb1EEEEDaS13_S14_EUlS13_E_NS1_11comp_targetILNS1_3genE8ELNS1_11target_archE1030ELNS1_3gpuE2ELNS1_3repE0EEENS1_30default_config_static_selectorELNS0_4arch9wavefront6targetE0EEEvT1_,"axG",@progbits,_ZN7rocprim17ROCPRIM_400000_NS6detail17trampoline_kernelINS0_14default_configENS1_25partition_config_selectorILNS1_17partition_subalgoE6EdNS0_10empty_typeEbEEZZNS1_14partition_implILS5_6ELb0ES3_mN6thrust23THRUST_200600_302600_NS6detail15normal_iteratorINSA_10device_ptrIdEEEEPS6_SG_NS0_5tupleIJSF_S6_EEENSH_IJSG_SG_EEES6_PlJNSB_9not_fun_tINSB_14equal_to_valueIdEEEEEEE10hipError_tPvRmT3_T4_T5_T6_T7_T9_mT8_P12ihipStream_tbDpT10_ENKUlT_T0_E_clISt17integral_constantIbLb0EES17_IbLb1EEEEDaS13_S14_EUlS13_E_NS1_11comp_targetILNS1_3genE8ELNS1_11target_archE1030ELNS1_3gpuE2ELNS1_3repE0EEENS1_30default_config_static_selectorELNS0_4arch9wavefront6targetE0EEEvT1_,comdat
	.protected	_ZN7rocprim17ROCPRIM_400000_NS6detail17trampoline_kernelINS0_14default_configENS1_25partition_config_selectorILNS1_17partition_subalgoE6EdNS0_10empty_typeEbEEZZNS1_14partition_implILS5_6ELb0ES3_mN6thrust23THRUST_200600_302600_NS6detail15normal_iteratorINSA_10device_ptrIdEEEEPS6_SG_NS0_5tupleIJSF_S6_EEENSH_IJSG_SG_EEES6_PlJNSB_9not_fun_tINSB_14equal_to_valueIdEEEEEEE10hipError_tPvRmT3_T4_T5_T6_T7_T9_mT8_P12ihipStream_tbDpT10_ENKUlT_T0_E_clISt17integral_constantIbLb0EES17_IbLb1EEEEDaS13_S14_EUlS13_E_NS1_11comp_targetILNS1_3genE8ELNS1_11target_archE1030ELNS1_3gpuE2ELNS1_3repE0EEENS1_30default_config_static_selectorELNS0_4arch9wavefront6targetE0EEEvT1_ ; -- Begin function _ZN7rocprim17ROCPRIM_400000_NS6detail17trampoline_kernelINS0_14default_configENS1_25partition_config_selectorILNS1_17partition_subalgoE6EdNS0_10empty_typeEbEEZZNS1_14partition_implILS5_6ELb0ES3_mN6thrust23THRUST_200600_302600_NS6detail15normal_iteratorINSA_10device_ptrIdEEEEPS6_SG_NS0_5tupleIJSF_S6_EEENSH_IJSG_SG_EEES6_PlJNSB_9not_fun_tINSB_14equal_to_valueIdEEEEEEE10hipError_tPvRmT3_T4_T5_T6_T7_T9_mT8_P12ihipStream_tbDpT10_ENKUlT_T0_E_clISt17integral_constantIbLb0EES17_IbLb1EEEEDaS13_S14_EUlS13_E_NS1_11comp_targetILNS1_3genE8ELNS1_11target_archE1030ELNS1_3gpuE2ELNS1_3repE0EEENS1_30default_config_static_selectorELNS0_4arch9wavefront6targetE0EEEvT1_
	.globl	_ZN7rocprim17ROCPRIM_400000_NS6detail17trampoline_kernelINS0_14default_configENS1_25partition_config_selectorILNS1_17partition_subalgoE6EdNS0_10empty_typeEbEEZZNS1_14partition_implILS5_6ELb0ES3_mN6thrust23THRUST_200600_302600_NS6detail15normal_iteratorINSA_10device_ptrIdEEEEPS6_SG_NS0_5tupleIJSF_S6_EEENSH_IJSG_SG_EEES6_PlJNSB_9not_fun_tINSB_14equal_to_valueIdEEEEEEE10hipError_tPvRmT3_T4_T5_T6_T7_T9_mT8_P12ihipStream_tbDpT10_ENKUlT_T0_E_clISt17integral_constantIbLb0EES17_IbLb1EEEEDaS13_S14_EUlS13_E_NS1_11comp_targetILNS1_3genE8ELNS1_11target_archE1030ELNS1_3gpuE2ELNS1_3repE0EEENS1_30default_config_static_selectorELNS0_4arch9wavefront6targetE0EEEvT1_
	.p2align	8
	.type	_ZN7rocprim17ROCPRIM_400000_NS6detail17trampoline_kernelINS0_14default_configENS1_25partition_config_selectorILNS1_17partition_subalgoE6EdNS0_10empty_typeEbEEZZNS1_14partition_implILS5_6ELb0ES3_mN6thrust23THRUST_200600_302600_NS6detail15normal_iteratorINSA_10device_ptrIdEEEEPS6_SG_NS0_5tupleIJSF_S6_EEENSH_IJSG_SG_EEES6_PlJNSB_9not_fun_tINSB_14equal_to_valueIdEEEEEEE10hipError_tPvRmT3_T4_T5_T6_T7_T9_mT8_P12ihipStream_tbDpT10_ENKUlT_T0_E_clISt17integral_constantIbLb0EES17_IbLb1EEEEDaS13_S14_EUlS13_E_NS1_11comp_targetILNS1_3genE8ELNS1_11target_archE1030ELNS1_3gpuE2ELNS1_3repE0EEENS1_30default_config_static_selectorELNS0_4arch9wavefront6targetE0EEEvT1_,@function
_ZN7rocprim17ROCPRIM_400000_NS6detail17trampoline_kernelINS0_14default_configENS1_25partition_config_selectorILNS1_17partition_subalgoE6EdNS0_10empty_typeEbEEZZNS1_14partition_implILS5_6ELb0ES3_mN6thrust23THRUST_200600_302600_NS6detail15normal_iteratorINSA_10device_ptrIdEEEEPS6_SG_NS0_5tupleIJSF_S6_EEENSH_IJSG_SG_EEES6_PlJNSB_9not_fun_tINSB_14equal_to_valueIdEEEEEEE10hipError_tPvRmT3_T4_T5_T6_T7_T9_mT8_P12ihipStream_tbDpT10_ENKUlT_T0_E_clISt17integral_constantIbLb0EES17_IbLb1EEEEDaS13_S14_EUlS13_E_NS1_11comp_targetILNS1_3genE8ELNS1_11target_archE1030ELNS1_3gpuE2ELNS1_3repE0EEENS1_30default_config_static_selectorELNS0_4arch9wavefront6targetE0EEEvT1_: ; @_ZN7rocprim17ROCPRIM_400000_NS6detail17trampoline_kernelINS0_14default_configENS1_25partition_config_selectorILNS1_17partition_subalgoE6EdNS0_10empty_typeEbEEZZNS1_14partition_implILS5_6ELb0ES3_mN6thrust23THRUST_200600_302600_NS6detail15normal_iteratorINSA_10device_ptrIdEEEEPS6_SG_NS0_5tupleIJSF_S6_EEENSH_IJSG_SG_EEES6_PlJNSB_9not_fun_tINSB_14equal_to_valueIdEEEEEEE10hipError_tPvRmT3_T4_T5_T6_T7_T9_mT8_P12ihipStream_tbDpT10_ENKUlT_T0_E_clISt17integral_constantIbLb0EES17_IbLb1EEEEDaS13_S14_EUlS13_E_NS1_11comp_targetILNS1_3genE8ELNS1_11target_archE1030ELNS1_3gpuE2ELNS1_3repE0EEENS1_30default_config_static_selectorELNS0_4arch9wavefront6targetE0EEEvT1_
; %bb.0:
	.section	.rodata,"a",@progbits
	.p2align	6, 0x0
	.amdhsa_kernel _ZN7rocprim17ROCPRIM_400000_NS6detail17trampoline_kernelINS0_14default_configENS1_25partition_config_selectorILNS1_17partition_subalgoE6EdNS0_10empty_typeEbEEZZNS1_14partition_implILS5_6ELb0ES3_mN6thrust23THRUST_200600_302600_NS6detail15normal_iteratorINSA_10device_ptrIdEEEEPS6_SG_NS0_5tupleIJSF_S6_EEENSH_IJSG_SG_EEES6_PlJNSB_9not_fun_tINSB_14equal_to_valueIdEEEEEEE10hipError_tPvRmT3_T4_T5_T6_T7_T9_mT8_P12ihipStream_tbDpT10_ENKUlT_T0_E_clISt17integral_constantIbLb0EES17_IbLb1EEEEDaS13_S14_EUlS13_E_NS1_11comp_targetILNS1_3genE8ELNS1_11target_archE1030ELNS1_3gpuE2ELNS1_3repE0EEENS1_30default_config_static_selectorELNS0_4arch9wavefront6targetE0EEEvT1_
		.amdhsa_group_segment_fixed_size 0
		.amdhsa_private_segment_fixed_size 0
		.amdhsa_kernarg_size 128
		.amdhsa_user_sgpr_count 2
		.amdhsa_user_sgpr_dispatch_ptr 0
		.amdhsa_user_sgpr_queue_ptr 0
		.amdhsa_user_sgpr_kernarg_segment_ptr 1
		.amdhsa_user_sgpr_dispatch_id 0
		.amdhsa_user_sgpr_private_segment_size 0
		.amdhsa_wavefront_size32 1
		.amdhsa_uses_dynamic_stack 0
		.amdhsa_enable_private_segment 0
		.amdhsa_system_sgpr_workgroup_id_x 1
		.amdhsa_system_sgpr_workgroup_id_y 0
		.amdhsa_system_sgpr_workgroup_id_z 0
		.amdhsa_system_sgpr_workgroup_info 0
		.amdhsa_system_vgpr_workitem_id 0
		.amdhsa_next_free_vgpr 1
		.amdhsa_next_free_sgpr 1
		.amdhsa_reserve_vcc 0
		.amdhsa_float_round_mode_32 0
		.amdhsa_float_round_mode_16_64 0
		.amdhsa_float_denorm_mode_32 3
		.amdhsa_float_denorm_mode_16_64 3
		.amdhsa_fp16_overflow 0
		.amdhsa_workgroup_processor_mode 1
		.amdhsa_memory_ordered 1
		.amdhsa_forward_progress 1
		.amdhsa_inst_pref_size 0
		.amdhsa_round_robin_scheduling 0
		.amdhsa_exception_fp_ieee_invalid_op 0
		.amdhsa_exception_fp_denorm_src 0
		.amdhsa_exception_fp_ieee_div_zero 0
		.amdhsa_exception_fp_ieee_overflow 0
		.amdhsa_exception_fp_ieee_underflow 0
		.amdhsa_exception_fp_ieee_inexact 0
		.amdhsa_exception_int_div_zero 0
	.end_amdhsa_kernel
	.section	.text._ZN7rocprim17ROCPRIM_400000_NS6detail17trampoline_kernelINS0_14default_configENS1_25partition_config_selectorILNS1_17partition_subalgoE6EdNS0_10empty_typeEbEEZZNS1_14partition_implILS5_6ELb0ES3_mN6thrust23THRUST_200600_302600_NS6detail15normal_iteratorINSA_10device_ptrIdEEEEPS6_SG_NS0_5tupleIJSF_S6_EEENSH_IJSG_SG_EEES6_PlJNSB_9not_fun_tINSB_14equal_to_valueIdEEEEEEE10hipError_tPvRmT3_T4_T5_T6_T7_T9_mT8_P12ihipStream_tbDpT10_ENKUlT_T0_E_clISt17integral_constantIbLb0EES17_IbLb1EEEEDaS13_S14_EUlS13_E_NS1_11comp_targetILNS1_3genE8ELNS1_11target_archE1030ELNS1_3gpuE2ELNS1_3repE0EEENS1_30default_config_static_selectorELNS0_4arch9wavefront6targetE0EEEvT1_,"axG",@progbits,_ZN7rocprim17ROCPRIM_400000_NS6detail17trampoline_kernelINS0_14default_configENS1_25partition_config_selectorILNS1_17partition_subalgoE6EdNS0_10empty_typeEbEEZZNS1_14partition_implILS5_6ELb0ES3_mN6thrust23THRUST_200600_302600_NS6detail15normal_iteratorINSA_10device_ptrIdEEEEPS6_SG_NS0_5tupleIJSF_S6_EEENSH_IJSG_SG_EEES6_PlJNSB_9not_fun_tINSB_14equal_to_valueIdEEEEEEE10hipError_tPvRmT3_T4_T5_T6_T7_T9_mT8_P12ihipStream_tbDpT10_ENKUlT_T0_E_clISt17integral_constantIbLb0EES17_IbLb1EEEEDaS13_S14_EUlS13_E_NS1_11comp_targetILNS1_3genE8ELNS1_11target_archE1030ELNS1_3gpuE2ELNS1_3repE0EEENS1_30default_config_static_selectorELNS0_4arch9wavefront6targetE0EEEvT1_,comdat
.Lfunc_end308:
	.size	_ZN7rocprim17ROCPRIM_400000_NS6detail17trampoline_kernelINS0_14default_configENS1_25partition_config_selectorILNS1_17partition_subalgoE6EdNS0_10empty_typeEbEEZZNS1_14partition_implILS5_6ELb0ES3_mN6thrust23THRUST_200600_302600_NS6detail15normal_iteratorINSA_10device_ptrIdEEEEPS6_SG_NS0_5tupleIJSF_S6_EEENSH_IJSG_SG_EEES6_PlJNSB_9not_fun_tINSB_14equal_to_valueIdEEEEEEE10hipError_tPvRmT3_T4_T5_T6_T7_T9_mT8_P12ihipStream_tbDpT10_ENKUlT_T0_E_clISt17integral_constantIbLb0EES17_IbLb1EEEEDaS13_S14_EUlS13_E_NS1_11comp_targetILNS1_3genE8ELNS1_11target_archE1030ELNS1_3gpuE2ELNS1_3repE0EEENS1_30default_config_static_selectorELNS0_4arch9wavefront6targetE0EEEvT1_, .Lfunc_end308-_ZN7rocprim17ROCPRIM_400000_NS6detail17trampoline_kernelINS0_14default_configENS1_25partition_config_selectorILNS1_17partition_subalgoE6EdNS0_10empty_typeEbEEZZNS1_14partition_implILS5_6ELb0ES3_mN6thrust23THRUST_200600_302600_NS6detail15normal_iteratorINSA_10device_ptrIdEEEEPS6_SG_NS0_5tupleIJSF_S6_EEENSH_IJSG_SG_EEES6_PlJNSB_9not_fun_tINSB_14equal_to_valueIdEEEEEEE10hipError_tPvRmT3_T4_T5_T6_T7_T9_mT8_P12ihipStream_tbDpT10_ENKUlT_T0_E_clISt17integral_constantIbLb0EES17_IbLb1EEEEDaS13_S14_EUlS13_E_NS1_11comp_targetILNS1_3genE8ELNS1_11target_archE1030ELNS1_3gpuE2ELNS1_3repE0EEENS1_30default_config_static_selectorELNS0_4arch9wavefront6targetE0EEEvT1_
                                        ; -- End function
	.set _ZN7rocprim17ROCPRIM_400000_NS6detail17trampoline_kernelINS0_14default_configENS1_25partition_config_selectorILNS1_17partition_subalgoE6EdNS0_10empty_typeEbEEZZNS1_14partition_implILS5_6ELb0ES3_mN6thrust23THRUST_200600_302600_NS6detail15normal_iteratorINSA_10device_ptrIdEEEEPS6_SG_NS0_5tupleIJSF_S6_EEENSH_IJSG_SG_EEES6_PlJNSB_9not_fun_tINSB_14equal_to_valueIdEEEEEEE10hipError_tPvRmT3_T4_T5_T6_T7_T9_mT8_P12ihipStream_tbDpT10_ENKUlT_T0_E_clISt17integral_constantIbLb0EES17_IbLb1EEEEDaS13_S14_EUlS13_E_NS1_11comp_targetILNS1_3genE8ELNS1_11target_archE1030ELNS1_3gpuE2ELNS1_3repE0EEENS1_30default_config_static_selectorELNS0_4arch9wavefront6targetE0EEEvT1_.num_vgpr, 0
	.set _ZN7rocprim17ROCPRIM_400000_NS6detail17trampoline_kernelINS0_14default_configENS1_25partition_config_selectorILNS1_17partition_subalgoE6EdNS0_10empty_typeEbEEZZNS1_14partition_implILS5_6ELb0ES3_mN6thrust23THRUST_200600_302600_NS6detail15normal_iteratorINSA_10device_ptrIdEEEEPS6_SG_NS0_5tupleIJSF_S6_EEENSH_IJSG_SG_EEES6_PlJNSB_9not_fun_tINSB_14equal_to_valueIdEEEEEEE10hipError_tPvRmT3_T4_T5_T6_T7_T9_mT8_P12ihipStream_tbDpT10_ENKUlT_T0_E_clISt17integral_constantIbLb0EES17_IbLb1EEEEDaS13_S14_EUlS13_E_NS1_11comp_targetILNS1_3genE8ELNS1_11target_archE1030ELNS1_3gpuE2ELNS1_3repE0EEENS1_30default_config_static_selectorELNS0_4arch9wavefront6targetE0EEEvT1_.num_agpr, 0
	.set _ZN7rocprim17ROCPRIM_400000_NS6detail17trampoline_kernelINS0_14default_configENS1_25partition_config_selectorILNS1_17partition_subalgoE6EdNS0_10empty_typeEbEEZZNS1_14partition_implILS5_6ELb0ES3_mN6thrust23THRUST_200600_302600_NS6detail15normal_iteratorINSA_10device_ptrIdEEEEPS6_SG_NS0_5tupleIJSF_S6_EEENSH_IJSG_SG_EEES6_PlJNSB_9not_fun_tINSB_14equal_to_valueIdEEEEEEE10hipError_tPvRmT3_T4_T5_T6_T7_T9_mT8_P12ihipStream_tbDpT10_ENKUlT_T0_E_clISt17integral_constantIbLb0EES17_IbLb1EEEEDaS13_S14_EUlS13_E_NS1_11comp_targetILNS1_3genE8ELNS1_11target_archE1030ELNS1_3gpuE2ELNS1_3repE0EEENS1_30default_config_static_selectorELNS0_4arch9wavefront6targetE0EEEvT1_.numbered_sgpr, 0
	.set _ZN7rocprim17ROCPRIM_400000_NS6detail17trampoline_kernelINS0_14default_configENS1_25partition_config_selectorILNS1_17partition_subalgoE6EdNS0_10empty_typeEbEEZZNS1_14partition_implILS5_6ELb0ES3_mN6thrust23THRUST_200600_302600_NS6detail15normal_iteratorINSA_10device_ptrIdEEEEPS6_SG_NS0_5tupleIJSF_S6_EEENSH_IJSG_SG_EEES6_PlJNSB_9not_fun_tINSB_14equal_to_valueIdEEEEEEE10hipError_tPvRmT3_T4_T5_T6_T7_T9_mT8_P12ihipStream_tbDpT10_ENKUlT_T0_E_clISt17integral_constantIbLb0EES17_IbLb1EEEEDaS13_S14_EUlS13_E_NS1_11comp_targetILNS1_3genE8ELNS1_11target_archE1030ELNS1_3gpuE2ELNS1_3repE0EEENS1_30default_config_static_selectorELNS0_4arch9wavefront6targetE0EEEvT1_.num_named_barrier, 0
	.set _ZN7rocprim17ROCPRIM_400000_NS6detail17trampoline_kernelINS0_14default_configENS1_25partition_config_selectorILNS1_17partition_subalgoE6EdNS0_10empty_typeEbEEZZNS1_14partition_implILS5_6ELb0ES3_mN6thrust23THRUST_200600_302600_NS6detail15normal_iteratorINSA_10device_ptrIdEEEEPS6_SG_NS0_5tupleIJSF_S6_EEENSH_IJSG_SG_EEES6_PlJNSB_9not_fun_tINSB_14equal_to_valueIdEEEEEEE10hipError_tPvRmT3_T4_T5_T6_T7_T9_mT8_P12ihipStream_tbDpT10_ENKUlT_T0_E_clISt17integral_constantIbLb0EES17_IbLb1EEEEDaS13_S14_EUlS13_E_NS1_11comp_targetILNS1_3genE8ELNS1_11target_archE1030ELNS1_3gpuE2ELNS1_3repE0EEENS1_30default_config_static_selectorELNS0_4arch9wavefront6targetE0EEEvT1_.private_seg_size, 0
	.set _ZN7rocprim17ROCPRIM_400000_NS6detail17trampoline_kernelINS0_14default_configENS1_25partition_config_selectorILNS1_17partition_subalgoE6EdNS0_10empty_typeEbEEZZNS1_14partition_implILS5_6ELb0ES3_mN6thrust23THRUST_200600_302600_NS6detail15normal_iteratorINSA_10device_ptrIdEEEEPS6_SG_NS0_5tupleIJSF_S6_EEENSH_IJSG_SG_EEES6_PlJNSB_9not_fun_tINSB_14equal_to_valueIdEEEEEEE10hipError_tPvRmT3_T4_T5_T6_T7_T9_mT8_P12ihipStream_tbDpT10_ENKUlT_T0_E_clISt17integral_constantIbLb0EES17_IbLb1EEEEDaS13_S14_EUlS13_E_NS1_11comp_targetILNS1_3genE8ELNS1_11target_archE1030ELNS1_3gpuE2ELNS1_3repE0EEENS1_30default_config_static_selectorELNS0_4arch9wavefront6targetE0EEEvT1_.uses_vcc, 0
	.set _ZN7rocprim17ROCPRIM_400000_NS6detail17trampoline_kernelINS0_14default_configENS1_25partition_config_selectorILNS1_17partition_subalgoE6EdNS0_10empty_typeEbEEZZNS1_14partition_implILS5_6ELb0ES3_mN6thrust23THRUST_200600_302600_NS6detail15normal_iteratorINSA_10device_ptrIdEEEEPS6_SG_NS0_5tupleIJSF_S6_EEENSH_IJSG_SG_EEES6_PlJNSB_9not_fun_tINSB_14equal_to_valueIdEEEEEEE10hipError_tPvRmT3_T4_T5_T6_T7_T9_mT8_P12ihipStream_tbDpT10_ENKUlT_T0_E_clISt17integral_constantIbLb0EES17_IbLb1EEEEDaS13_S14_EUlS13_E_NS1_11comp_targetILNS1_3genE8ELNS1_11target_archE1030ELNS1_3gpuE2ELNS1_3repE0EEENS1_30default_config_static_selectorELNS0_4arch9wavefront6targetE0EEEvT1_.uses_flat_scratch, 0
	.set _ZN7rocprim17ROCPRIM_400000_NS6detail17trampoline_kernelINS0_14default_configENS1_25partition_config_selectorILNS1_17partition_subalgoE6EdNS0_10empty_typeEbEEZZNS1_14partition_implILS5_6ELb0ES3_mN6thrust23THRUST_200600_302600_NS6detail15normal_iteratorINSA_10device_ptrIdEEEEPS6_SG_NS0_5tupleIJSF_S6_EEENSH_IJSG_SG_EEES6_PlJNSB_9not_fun_tINSB_14equal_to_valueIdEEEEEEE10hipError_tPvRmT3_T4_T5_T6_T7_T9_mT8_P12ihipStream_tbDpT10_ENKUlT_T0_E_clISt17integral_constantIbLb0EES17_IbLb1EEEEDaS13_S14_EUlS13_E_NS1_11comp_targetILNS1_3genE8ELNS1_11target_archE1030ELNS1_3gpuE2ELNS1_3repE0EEENS1_30default_config_static_selectorELNS0_4arch9wavefront6targetE0EEEvT1_.has_dyn_sized_stack, 0
	.set _ZN7rocprim17ROCPRIM_400000_NS6detail17trampoline_kernelINS0_14default_configENS1_25partition_config_selectorILNS1_17partition_subalgoE6EdNS0_10empty_typeEbEEZZNS1_14partition_implILS5_6ELb0ES3_mN6thrust23THRUST_200600_302600_NS6detail15normal_iteratorINSA_10device_ptrIdEEEEPS6_SG_NS0_5tupleIJSF_S6_EEENSH_IJSG_SG_EEES6_PlJNSB_9not_fun_tINSB_14equal_to_valueIdEEEEEEE10hipError_tPvRmT3_T4_T5_T6_T7_T9_mT8_P12ihipStream_tbDpT10_ENKUlT_T0_E_clISt17integral_constantIbLb0EES17_IbLb1EEEEDaS13_S14_EUlS13_E_NS1_11comp_targetILNS1_3genE8ELNS1_11target_archE1030ELNS1_3gpuE2ELNS1_3repE0EEENS1_30default_config_static_selectorELNS0_4arch9wavefront6targetE0EEEvT1_.has_recursion, 0
	.set _ZN7rocprim17ROCPRIM_400000_NS6detail17trampoline_kernelINS0_14default_configENS1_25partition_config_selectorILNS1_17partition_subalgoE6EdNS0_10empty_typeEbEEZZNS1_14partition_implILS5_6ELb0ES3_mN6thrust23THRUST_200600_302600_NS6detail15normal_iteratorINSA_10device_ptrIdEEEEPS6_SG_NS0_5tupleIJSF_S6_EEENSH_IJSG_SG_EEES6_PlJNSB_9not_fun_tINSB_14equal_to_valueIdEEEEEEE10hipError_tPvRmT3_T4_T5_T6_T7_T9_mT8_P12ihipStream_tbDpT10_ENKUlT_T0_E_clISt17integral_constantIbLb0EES17_IbLb1EEEEDaS13_S14_EUlS13_E_NS1_11comp_targetILNS1_3genE8ELNS1_11target_archE1030ELNS1_3gpuE2ELNS1_3repE0EEENS1_30default_config_static_selectorELNS0_4arch9wavefront6targetE0EEEvT1_.has_indirect_call, 0
	.section	.AMDGPU.csdata,"",@progbits
; Kernel info:
; codeLenInByte = 0
; TotalNumSgprs: 0
; NumVgprs: 0
; ScratchSize: 0
; MemoryBound: 0
; FloatMode: 240
; IeeeMode: 1
; LDSByteSize: 0 bytes/workgroup (compile time only)
; SGPRBlocks: 0
; VGPRBlocks: 0
; NumSGPRsForWavesPerEU: 1
; NumVGPRsForWavesPerEU: 1
; Occupancy: 16
; WaveLimiterHint : 0
; COMPUTE_PGM_RSRC2:SCRATCH_EN: 0
; COMPUTE_PGM_RSRC2:USER_SGPR: 2
; COMPUTE_PGM_RSRC2:TRAP_HANDLER: 0
; COMPUTE_PGM_RSRC2:TGID_X_EN: 1
; COMPUTE_PGM_RSRC2:TGID_Y_EN: 0
; COMPUTE_PGM_RSRC2:TGID_Z_EN: 0
; COMPUTE_PGM_RSRC2:TIDIG_COMP_CNT: 0
	.section	.text._ZN7rocprim17ROCPRIM_400000_NS6detail17trampoline_kernelINS0_14default_configENS1_25partition_config_selectorILNS1_17partition_subalgoE6EfNS0_10empty_typeEbEEZZNS1_14partition_implILS5_6ELb0ES3_mN6thrust23THRUST_200600_302600_NS6detail15normal_iteratorINSA_10device_ptrIfEEEEPS6_SG_NS0_5tupleIJSF_S6_EEENSH_IJSG_SG_EEES6_PlJNSB_9not_fun_tINSB_14equal_to_valueIfEEEEEEE10hipError_tPvRmT3_T4_T5_T6_T7_T9_mT8_P12ihipStream_tbDpT10_ENKUlT_T0_E_clISt17integral_constantIbLb0EES18_EEDaS13_S14_EUlS13_E_NS1_11comp_targetILNS1_3genE0ELNS1_11target_archE4294967295ELNS1_3gpuE0ELNS1_3repE0EEENS1_30default_config_static_selectorELNS0_4arch9wavefront6targetE0EEEvT1_,"axG",@progbits,_ZN7rocprim17ROCPRIM_400000_NS6detail17trampoline_kernelINS0_14default_configENS1_25partition_config_selectorILNS1_17partition_subalgoE6EfNS0_10empty_typeEbEEZZNS1_14partition_implILS5_6ELb0ES3_mN6thrust23THRUST_200600_302600_NS6detail15normal_iteratorINSA_10device_ptrIfEEEEPS6_SG_NS0_5tupleIJSF_S6_EEENSH_IJSG_SG_EEES6_PlJNSB_9not_fun_tINSB_14equal_to_valueIfEEEEEEE10hipError_tPvRmT3_T4_T5_T6_T7_T9_mT8_P12ihipStream_tbDpT10_ENKUlT_T0_E_clISt17integral_constantIbLb0EES18_EEDaS13_S14_EUlS13_E_NS1_11comp_targetILNS1_3genE0ELNS1_11target_archE4294967295ELNS1_3gpuE0ELNS1_3repE0EEENS1_30default_config_static_selectorELNS0_4arch9wavefront6targetE0EEEvT1_,comdat
	.protected	_ZN7rocprim17ROCPRIM_400000_NS6detail17trampoline_kernelINS0_14default_configENS1_25partition_config_selectorILNS1_17partition_subalgoE6EfNS0_10empty_typeEbEEZZNS1_14partition_implILS5_6ELb0ES3_mN6thrust23THRUST_200600_302600_NS6detail15normal_iteratorINSA_10device_ptrIfEEEEPS6_SG_NS0_5tupleIJSF_S6_EEENSH_IJSG_SG_EEES6_PlJNSB_9not_fun_tINSB_14equal_to_valueIfEEEEEEE10hipError_tPvRmT3_T4_T5_T6_T7_T9_mT8_P12ihipStream_tbDpT10_ENKUlT_T0_E_clISt17integral_constantIbLb0EES18_EEDaS13_S14_EUlS13_E_NS1_11comp_targetILNS1_3genE0ELNS1_11target_archE4294967295ELNS1_3gpuE0ELNS1_3repE0EEENS1_30default_config_static_selectorELNS0_4arch9wavefront6targetE0EEEvT1_ ; -- Begin function _ZN7rocprim17ROCPRIM_400000_NS6detail17trampoline_kernelINS0_14default_configENS1_25partition_config_selectorILNS1_17partition_subalgoE6EfNS0_10empty_typeEbEEZZNS1_14partition_implILS5_6ELb0ES3_mN6thrust23THRUST_200600_302600_NS6detail15normal_iteratorINSA_10device_ptrIfEEEEPS6_SG_NS0_5tupleIJSF_S6_EEENSH_IJSG_SG_EEES6_PlJNSB_9not_fun_tINSB_14equal_to_valueIfEEEEEEE10hipError_tPvRmT3_T4_T5_T6_T7_T9_mT8_P12ihipStream_tbDpT10_ENKUlT_T0_E_clISt17integral_constantIbLb0EES18_EEDaS13_S14_EUlS13_E_NS1_11comp_targetILNS1_3genE0ELNS1_11target_archE4294967295ELNS1_3gpuE0ELNS1_3repE0EEENS1_30default_config_static_selectorELNS0_4arch9wavefront6targetE0EEEvT1_
	.globl	_ZN7rocprim17ROCPRIM_400000_NS6detail17trampoline_kernelINS0_14default_configENS1_25partition_config_selectorILNS1_17partition_subalgoE6EfNS0_10empty_typeEbEEZZNS1_14partition_implILS5_6ELb0ES3_mN6thrust23THRUST_200600_302600_NS6detail15normal_iteratorINSA_10device_ptrIfEEEEPS6_SG_NS0_5tupleIJSF_S6_EEENSH_IJSG_SG_EEES6_PlJNSB_9not_fun_tINSB_14equal_to_valueIfEEEEEEE10hipError_tPvRmT3_T4_T5_T6_T7_T9_mT8_P12ihipStream_tbDpT10_ENKUlT_T0_E_clISt17integral_constantIbLb0EES18_EEDaS13_S14_EUlS13_E_NS1_11comp_targetILNS1_3genE0ELNS1_11target_archE4294967295ELNS1_3gpuE0ELNS1_3repE0EEENS1_30default_config_static_selectorELNS0_4arch9wavefront6targetE0EEEvT1_
	.p2align	8
	.type	_ZN7rocprim17ROCPRIM_400000_NS6detail17trampoline_kernelINS0_14default_configENS1_25partition_config_selectorILNS1_17partition_subalgoE6EfNS0_10empty_typeEbEEZZNS1_14partition_implILS5_6ELb0ES3_mN6thrust23THRUST_200600_302600_NS6detail15normal_iteratorINSA_10device_ptrIfEEEEPS6_SG_NS0_5tupleIJSF_S6_EEENSH_IJSG_SG_EEES6_PlJNSB_9not_fun_tINSB_14equal_to_valueIfEEEEEEE10hipError_tPvRmT3_T4_T5_T6_T7_T9_mT8_P12ihipStream_tbDpT10_ENKUlT_T0_E_clISt17integral_constantIbLb0EES18_EEDaS13_S14_EUlS13_E_NS1_11comp_targetILNS1_3genE0ELNS1_11target_archE4294967295ELNS1_3gpuE0ELNS1_3repE0EEENS1_30default_config_static_selectorELNS0_4arch9wavefront6targetE0EEEvT1_,@function
_ZN7rocprim17ROCPRIM_400000_NS6detail17trampoline_kernelINS0_14default_configENS1_25partition_config_selectorILNS1_17partition_subalgoE6EfNS0_10empty_typeEbEEZZNS1_14partition_implILS5_6ELb0ES3_mN6thrust23THRUST_200600_302600_NS6detail15normal_iteratorINSA_10device_ptrIfEEEEPS6_SG_NS0_5tupleIJSF_S6_EEENSH_IJSG_SG_EEES6_PlJNSB_9not_fun_tINSB_14equal_to_valueIfEEEEEEE10hipError_tPvRmT3_T4_T5_T6_T7_T9_mT8_P12ihipStream_tbDpT10_ENKUlT_T0_E_clISt17integral_constantIbLb0EES18_EEDaS13_S14_EUlS13_E_NS1_11comp_targetILNS1_3genE0ELNS1_11target_archE4294967295ELNS1_3gpuE0ELNS1_3repE0EEENS1_30default_config_static_selectorELNS0_4arch9wavefront6targetE0EEEvT1_: ; @_ZN7rocprim17ROCPRIM_400000_NS6detail17trampoline_kernelINS0_14default_configENS1_25partition_config_selectorILNS1_17partition_subalgoE6EfNS0_10empty_typeEbEEZZNS1_14partition_implILS5_6ELb0ES3_mN6thrust23THRUST_200600_302600_NS6detail15normal_iteratorINSA_10device_ptrIfEEEEPS6_SG_NS0_5tupleIJSF_S6_EEENSH_IJSG_SG_EEES6_PlJNSB_9not_fun_tINSB_14equal_to_valueIfEEEEEEE10hipError_tPvRmT3_T4_T5_T6_T7_T9_mT8_P12ihipStream_tbDpT10_ENKUlT_T0_E_clISt17integral_constantIbLb0EES18_EEDaS13_S14_EUlS13_E_NS1_11comp_targetILNS1_3genE0ELNS1_11target_archE4294967295ELNS1_3gpuE0ELNS1_3repE0EEENS1_30default_config_static_selectorELNS0_4arch9wavefront6targetE0EEEvT1_
; %bb.0:
	.section	.rodata,"a",@progbits
	.p2align	6, 0x0
	.amdhsa_kernel _ZN7rocprim17ROCPRIM_400000_NS6detail17trampoline_kernelINS0_14default_configENS1_25partition_config_selectorILNS1_17partition_subalgoE6EfNS0_10empty_typeEbEEZZNS1_14partition_implILS5_6ELb0ES3_mN6thrust23THRUST_200600_302600_NS6detail15normal_iteratorINSA_10device_ptrIfEEEEPS6_SG_NS0_5tupleIJSF_S6_EEENSH_IJSG_SG_EEES6_PlJNSB_9not_fun_tINSB_14equal_to_valueIfEEEEEEE10hipError_tPvRmT3_T4_T5_T6_T7_T9_mT8_P12ihipStream_tbDpT10_ENKUlT_T0_E_clISt17integral_constantIbLb0EES18_EEDaS13_S14_EUlS13_E_NS1_11comp_targetILNS1_3genE0ELNS1_11target_archE4294967295ELNS1_3gpuE0ELNS1_3repE0EEENS1_30default_config_static_selectorELNS0_4arch9wavefront6targetE0EEEvT1_
		.amdhsa_group_segment_fixed_size 0
		.amdhsa_private_segment_fixed_size 0
		.amdhsa_kernarg_size 120
		.amdhsa_user_sgpr_count 2
		.amdhsa_user_sgpr_dispatch_ptr 0
		.amdhsa_user_sgpr_queue_ptr 0
		.amdhsa_user_sgpr_kernarg_segment_ptr 1
		.amdhsa_user_sgpr_dispatch_id 0
		.amdhsa_user_sgpr_private_segment_size 0
		.amdhsa_wavefront_size32 1
		.amdhsa_uses_dynamic_stack 0
		.amdhsa_enable_private_segment 0
		.amdhsa_system_sgpr_workgroup_id_x 1
		.amdhsa_system_sgpr_workgroup_id_y 0
		.amdhsa_system_sgpr_workgroup_id_z 0
		.amdhsa_system_sgpr_workgroup_info 0
		.amdhsa_system_vgpr_workitem_id 0
		.amdhsa_next_free_vgpr 1
		.amdhsa_next_free_sgpr 1
		.amdhsa_reserve_vcc 0
		.amdhsa_float_round_mode_32 0
		.amdhsa_float_round_mode_16_64 0
		.amdhsa_float_denorm_mode_32 3
		.amdhsa_float_denorm_mode_16_64 3
		.amdhsa_fp16_overflow 0
		.amdhsa_workgroup_processor_mode 1
		.amdhsa_memory_ordered 1
		.amdhsa_forward_progress 1
		.amdhsa_inst_pref_size 0
		.amdhsa_round_robin_scheduling 0
		.amdhsa_exception_fp_ieee_invalid_op 0
		.amdhsa_exception_fp_denorm_src 0
		.amdhsa_exception_fp_ieee_div_zero 0
		.amdhsa_exception_fp_ieee_overflow 0
		.amdhsa_exception_fp_ieee_underflow 0
		.amdhsa_exception_fp_ieee_inexact 0
		.amdhsa_exception_int_div_zero 0
	.end_amdhsa_kernel
	.section	.text._ZN7rocprim17ROCPRIM_400000_NS6detail17trampoline_kernelINS0_14default_configENS1_25partition_config_selectorILNS1_17partition_subalgoE6EfNS0_10empty_typeEbEEZZNS1_14partition_implILS5_6ELb0ES3_mN6thrust23THRUST_200600_302600_NS6detail15normal_iteratorINSA_10device_ptrIfEEEEPS6_SG_NS0_5tupleIJSF_S6_EEENSH_IJSG_SG_EEES6_PlJNSB_9not_fun_tINSB_14equal_to_valueIfEEEEEEE10hipError_tPvRmT3_T4_T5_T6_T7_T9_mT8_P12ihipStream_tbDpT10_ENKUlT_T0_E_clISt17integral_constantIbLb0EES18_EEDaS13_S14_EUlS13_E_NS1_11comp_targetILNS1_3genE0ELNS1_11target_archE4294967295ELNS1_3gpuE0ELNS1_3repE0EEENS1_30default_config_static_selectorELNS0_4arch9wavefront6targetE0EEEvT1_,"axG",@progbits,_ZN7rocprim17ROCPRIM_400000_NS6detail17trampoline_kernelINS0_14default_configENS1_25partition_config_selectorILNS1_17partition_subalgoE6EfNS0_10empty_typeEbEEZZNS1_14partition_implILS5_6ELb0ES3_mN6thrust23THRUST_200600_302600_NS6detail15normal_iteratorINSA_10device_ptrIfEEEEPS6_SG_NS0_5tupleIJSF_S6_EEENSH_IJSG_SG_EEES6_PlJNSB_9not_fun_tINSB_14equal_to_valueIfEEEEEEE10hipError_tPvRmT3_T4_T5_T6_T7_T9_mT8_P12ihipStream_tbDpT10_ENKUlT_T0_E_clISt17integral_constantIbLb0EES18_EEDaS13_S14_EUlS13_E_NS1_11comp_targetILNS1_3genE0ELNS1_11target_archE4294967295ELNS1_3gpuE0ELNS1_3repE0EEENS1_30default_config_static_selectorELNS0_4arch9wavefront6targetE0EEEvT1_,comdat
.Lfunc_end309:
	.size	_ZN7rocprim17ROCPRIM_400000_NS6detail17trampoline_kernelINS0_14default_configENS1_25partition_config_selectorILNS1_17partition_subalgoE6EfNS0_10empty_typeEbEEZZNS1_14partition_implILS5_6ELb0ES3_mN6thrust23THRUST_200600_302600_NS6detail15normal_iteratorINSA_10device_ptrIfEEEEPS6_SG_NS0_5tupleIJSF_S6_EEENSH_IJSG_SG_EEES6_PlJNSB_9not_fun_tINSB_14equal_to_valueIfEEEEEEE10hipError_tPvRmT3_T4_T5_T6_T7_T9_mT8_P12ihipStream_tbDpT10_ENKUlT_T0_E_clISt17integral_constantIbLb0EES18_EEDaS13_S14_EUlS13_E_NS1_11comp_targetILNS1_3genE0ELNS1_11target_archE4294967295ELNS1_3gpuE0ELNS1_3repE0EEENS1_30default_config_static_selectorELNS0_4arch9wavefront6targetE0EEEvT1_, .Lfunc_end309-_ZN7rocprim17ROCPRIM_400000_NS6detail17trampoline_kernelINS0_14default_configENS1_25partition_config_selectorILNS1_17partition_subalgoE6EfNS0_10empty_typeEbEEZZNS1_14partition_implILS5_6ELb0ES3_mN6thrust23THRUST_200600_302600_NS6detail15normal_iteratorINSA_10device_ptrIfEEEEPS6_SG_NS0_5tupleIJSF_S6_EEENSH_IJSG_SG_EEES6_PlJNSB_9not_fun_tINSB_14equal_to_valueIfEEEEEEE10hipError_tPvRmT3_T4_T5_T6_T7_T9_mT8_P12ihipStream_tbDpT10_ENKUlT_T0_E_clISt17integral_constantIbLb0EES18_EEDaS13_S14_EUlS13_E_NS1_11comp_targetILNS1_3genE0ELNS1_11target_archE4294967295ELNS1_3gpuE0ELNS1_3repE0EEENS1_30default_config_static_selectorELNS0_4arch9wavefront6targetE0EEEvT1_
                                        ; -- End function
	.set _ZN7rocprim17ROCPRIM_400000_NS6detail17trampoline_kernelINS0_14default_configENS1_25partition_config_selectorILNS1_17partition_subalgoE6EfNS0_10empty_typeEbEEZZNS1_14partition_implILS5_6ELb0ES3_mN6thrust23THRUST_200600_302600_NS6detail15normal_iteratorINSA_10device_ptrIfEEEEPS6_SG_NS0_5tupleIJSF_S6_EEENSH_IJSG_SG_EEES6_PlJNSB_9not_fun_tINSB_14equal_to_valueIfEEEEEEE10hipError_tPvRmT3_T4_T5_T6_T7_T9_mT8_P12ihipStream_tbDpT10_ENKUlT_T0_E_clISt17integral_constantIbLb0EES18_EEDaS13_S14_EUlS13_E_NS1_11comp_targetILNS1_3genE0ELNS1_11target_archE4294967295ELNS1_3gpuE0ELNS1_3repE0EEENS1_30default_config_static_selectorELNS0_4arch9wavefront6targetE0EEEvT1_.num_vgpr, 0
	.set _ZN7rocprim17ROCPRIM_400000_NS6detail17trampoline_kernelINS0_14default_configENS1_25partition_config_selectorILNS1_17partition_subalgoE6EfNS0_10empty_typeEbEEZZNS1_14partition_implILS5_6ELb0ES3_mN6thrust23THRUST_200600_302600_NS6detail15normal_iteratorINSA_10device_ptrIfEEEEPS6_SG_NS0_5tupleIJSF_S6_EEENSH_IJSG_SG_EEES6_PlJNSB_9not_fun_tINSB_14equal_to_valueIfEEEEEEE10hipError_tPvRmT3_T4_T5_T6_T7_T9_mT8_P12ihipStream_tbDpT10_ENKUlT_T0_E_clISt17integral_constantIbLb0EES18_EEDaS13_S14_EUlS13_E_NS1_11comp_targetILNS1_3genE0ELNS1_11target_archE4294967295ELNS1_3gpuE0ELNS1_3repE0EEENS1_30default_config_static_selectorELNS0_4arch9wavefront6targetE0EEEvT1_.num_agpr, 0
	.set _ZN7rocprim17ROCPRIM_400000_NS6detail17trampoline_kernelINS0_14default_configENS1_25partition_config_selectorILNS1_17partition_subalgoE6EfNS0_10empty_typeEbEEZZNS1_14partition_implILS5_6ELb0ES3_mN6thrust23THRUST_200600_302600_NS6detail15normal_iteratorINSA_10device_ptrIfEEEEPS6_SG_NS0_5tupleIJSF_S6_EEENSH_IJSG_SG_EEES6_PlJNSB_9not_fun_tINSB_14equal_to_valueIfEEEEEEE10hipError_tPvRmT3_T4_T5_T6_T7_T9_mT8_P12ihipStream_tbDpT10_ENKUlT_T0_E_clISt17integral_constantIbLb0EES18_EEDaS13_S14_EUlS13_E_NS1_11comp_targetILNS1_3genE0ELNS1_11target_archE4294967295ELNS1_3gpuE0ELNS1_3repE0EEENS1_30default_config_static_selectorELNS0_4arch9wavefront6targetE0EEEvT1_.numbered_sgpr, 0
	.set _ZN7rocprim17ROCPRIM_400000_NS6detail17trampoline_kernelINS0_14default_configENS1_25partition_config_selectorILNS1_17partition_subalgoE6EfNS0_10empty_typeEbEEZZNS1_14partition_implILS5_6ELb0ES3_mN6thrust23THRUST_200600_302600_NS6detail15normal_iteratorINSA_10device_ptrIfEEEEPS6_SG_NS0_5tupleIJSF_S6_EEENSH_IJSG_SG_EEES6_PlJNSB_9not_fun_tINSB_14equal_to_valueIfEEEEEEE10hipError_tPvRmT3_T4_T5_T6_T7_T9_mT8_P12ihipStream_tbDpT10_ENKUlT_T0_E_clISt17integral_constantIbLb0EES18_EEDaS13_S14_EUlS13_E_NS1_11comp_targetILNS1_3genE0ELNS1_11target_archE4294967295ELNS1_3gpuE0ELNS1_3repE0EEENS1_30default_config_static_selectorELNS0_4arch9wavefront6targetE0EEEvT1_.num_named_barrier, 0
	.set _ZN7rocprim17ROCPRIM_400000_NS6detail17trampoline_kernelINS0_14default_configENS1_25partition_config_selectorILNS1_17partition_subalgoE6EfNS0_10empty_typeEbEEZZNS1_14partition_implILS5_6ELb0ES3_mN6thrust23THRUST_200600_302600_NS6detail15normal_iteratorINSA_10device_ptrIfEEEEPS6_SG_NS0_5tupleIJSF_S6_EEENSH_IJSG_SG_EEES6_PlJNSB_9not_fun_tINSB_14equal_to_valueIfEEEEEEE10hipError_tPvRmT3_T4_T5_T6_T7_T9_mT8_P12ihipStream_tbDpT10_ENKUlT_T0_E_clISt17integral_constantIbLb0EES18_EEDaS13_S14_EUlS13_E_NS1_11comp_targetILNS1_3genE0ELNS1_11target_archE4294967295ELNS1_3gpuE0ELNS1_3repE0EEENS1_30default_config_static_selectorELNS0_4arch9wavefront6targetE0EEEvT1_.private_seg_size, 0
	.set _ZN7rocprim17ROCPRIM_400000_NS6detail17trampoline_kernelINS0_14default_configENS1_25partition_config_selectorILNS1_17partition_subalgoE6EfNS0_10empty_typeEbEEZZNS1_14partition_implILS5_6ELb0ES3_mN6thrust23THRUST_200600_302600_NS6detail15normal_iteratorINSA_10device_ptrIfEEEEPS6_SG_NS0_5tupleIJSF_S6_EEENSH_IJSG_SG_EEES6_PlJNSB_9not_fun_tINSB_14equal_to_valueIfEEEEEEE10hipError_tPvRmT3_T4_T5_T6_T7_T9_mT8_P12ihipStream_tbDpT10_ENKUlT_T0_E_clISt17integral_constantIbLb0EES18_EEDaS13_S14_EUlS13_E_NS1_11comp_targetILNS1_3genE0ELNS1_11target_archE4294967295ELNS1_3gpuE0ELNS1_3repE0EEENS1_30default_config_static_selectorELNS0_4arch9wavefront6targetE0EEEvT1_.uses_vcc, 0
	.set _ZN7rocprim17ROCPRIM_400000_NS6detail17trampoline_kernelINS0_14default_configENS1_25partition_config_selectorILNS1_17partition_subalgoE6EfNS0_10empty_typeEbEEZZNS1_14partition_implILS5_6ELb0ES3_mN6thrust23THRUST_200600_302600_NS6detail15normal_iteratorINSA_10device_ptrIfEEEEPS6_SG_NS0_5tupleIJSF_S6_EEENSH_IJSG_SG_EEES6_PlJNSB_9not_fun_tINSB_14equal_to_valueIfEEEEEEE10hipError_tPvRmT3_T4_T5_T6_T7_T9_mT8_P12ihipStream_tbDpT10_ENKUlT_T0_E_clISt17integral_constantIbLb0EES18_EEDaS13_S14_EUlS13_E_NS1_11comp_targetILNS1_3genE0ELNS1_11target_archE4294967295ELNS1_3gpuE0ELNS1_3repE0EEENS1_30default_config_static_selectorELNS0_4arch9wavefront6targetE0EEEvT1_.uses_flat_scratch, 0
	.set _ZN7rocprim17ROCPRIM_400000_NS6detail17trampoline_kernelINS0_14default_configENS1_25partition_config_selectorILNS1_17partition_subalgoE6EfNS0_10empty_typeEbEEZZNS1_14partition_implILS5_6ELb0ES3_mN6thrust23THRUST_200600_302600_NS6detail15normal_iteratorINSA_10device_ptrIfEEEEPS6_SG_NS0_5tupleIJSF_S6_EEENSH_IJSG_SG_EEES6_PlJNSB_9not_fun_tINSB_14equal_to_valueIfEEEEEEE10hipError_tPvRmT3_T4_T5_T6_T7_T9_mT8_P12ihipStream_tbDpT10_ENKUlT_T0_E_clISt17integral_constantIbLb0EES18_EEDaS13_S14_EUlS13_E_NS1_11comp_targetILNS1_3genE0ELNS1_11target_archE4294967295ELNS1_3gpuE0ELNS1_3repE0EEENS1_30default_config_static_selectorELNS0_4arch9wavefront6targetE0EEEvT1_.has_dyn_sized_stack, 0
	.set _ZN7rocprim17ROCPRIM_400000_NS6detail17trampoline_kernelINS0_14default_configENS1_25partition_config_selectorILNS1_17partition_subalgoE6EfNS0_10empty_typeEbEEZZNS1_14partition_implILS5_6ELb0ES3_mN6thrust23THRUST_200600_302600_NS6detail15normal_iteratorINSA_10device_ptrIfEEEEPS6_SG_NS0_5tupleIJSF_S6_EEENSH_IJSG_SG_EEES6_PlJNSB_9not_fun_tINSB_14equal_to_valueIfEEEEEEE10hipError_tPvRmT3_T4_T5_T6_T7_T9_mT8_P12ihipStream_tbDpT10_ENKUlT_T0_E_clISt17integral_constantIbLb0EES18_EEDaS13_S14_EUlS13_E_NS1_11comp_targetILNS1_3genE0ELNS1_11target_archE4294967295ELNS1_3gpuE0ELNS1_3repE0EEENS1_30default_config_static_selectorELNS0_4arch9wavefront6targetE0EEEvT1_.has_recursion, 0
	.set _ZN7rocprim17ROCPRIM_400000_NS6detail17trampoline_kernelINS0_14default_configENS1_25partition_config_selectorILNS1_17partition_subalgoE6EfNS0_10empty_typeEbEEZZNS1_14partition_implILS5_6ELb0ES3_mN6thrust23THRUST_200600_302600_NS6detail15normal_iteratorINSA_10device_ptrIfEEEEPS6_SG_NS0_5tupleIJSF_S6_EEENSH_IJSG_SG_EEES6_PlJNSB_9not_fun_tINSB_14equal_to_valueIfEEEEEEE10hipError_tPvRmT3_T4_T5_T6_T7_T9_mT8_P12ihipStream_tbDpT10_ENKUlT_T0_E_clISt17integral_constantIbLb0EES18_EEDaS13_S14_EUlS13_E_NS1_11comp_targetILNS1_3genE0ELNS1_11target_archE4294967295ELNS1_3gpuE0ELNS1_3repE0EEENS1_30default_config_static_selectorELNS0_4arch9wavefront6targetE0EEEvT1_.has_indirect_call, 0
	.section	.AMDGPU.csdata,"",@progbits
; Kernel info:
; codeLenInByte = 0
; TotalNumSgprs: 0
; NumVgprs: 0
; ScratchSize: 0
; MemoryBound: 0
; FloatMode: 240
; IeeeMode: 1
; LDSByteSize: 0 bytes/workgroup (compile time only)
; SGPRBlocks: 0
; VGPRBlocks: 0
; NumSGPRsForWavesPerEU: 1
; NumVGPRsForWavesPerEU: 1
; Occupancy: 16
; WaveLimiterHint : 0
; COMPUTE_PGM_RSRC2:SCRATCH_EN: 0
; COMPUTE_PGM_RSRC2:USER_SGPR: 2
; COMPUTE_PGM_RSRC2:TRAP_HANDLER: 0
; COMPUTE_PGM_RSRC2:TGID_X_EN: 1
; COMPUTE_PGM_RSRC2:TGID_Y_EN: 0
; COMPUTE_PGM_RSRC2:TGID_Z_EN: 0
; COMPUTE_PGM_RSRC2:TIDIG_COMP_CNT: 0
	.section	.text._ZN7rocprim17ROCPRIM_400000_NS6detail17trampoline_kernelINS0_14default_configENS1_25partition_config_selectorILNS1_17partition_subalgoE6EfNS0_10empty_typeEbEEZZNS1_14partition_implILS5_6ELb0ES3_mN6thrust23THRUST_200600_302600_NS6detail15normal_iteratorINSA_10device_ptrIfEEEEPS6_SG_NS0_5tupleIJSF_S6_EEENSH_IJSG_SG_EEES6_PlJNSB_9not_fun_tINSB_14equal_to_valueIfEEEEEEE10hipError_tPvRmT3_T4_T5_T6_T7_T9_mT8_P12ihipStream_tbDpT10_ENKUlT_T0_E_clISt17integral_constantIbLb0EES18_EEDaS13_S14_EUlS13_E_NS1_11comp_targetILNS1_3genE5ELNS1_11target_archE942ELNS1_3gpuE9ELNS1_3repE0EEENS1_30default_config_static_selectorELNS0_4arch9wavefront6targetE0EEEvT1_,"axG",@progbits,_ZN7rocprim17ROCPRIM_400000_NS6detail17trampoline_kernelINS0_14default_configENS1_25partition_config_selectorILNS1_17partition_subalgoE6EfNS0_10empty_typeEbEEZZNS1_14partition_implILS5_6ELb0ES3_mN6thrust23THRUST_200600_302600_NS6detail15normal_iteratorINSA_10device_ptrIfEEEEPS6_SG_NS0_5tupleIJSF_S6_EEENSH_IJSG_SG_EEES6_PlJNSB_9not_fun_tINSB_14equal_to_valueIfEEEEEEE10hipError_tPvRmT3_T4_T5_T6_T7_T9_mT8_P12ihipStream_tbDpT10_ENKUlT_T0_E_clISt17integral_constantIbLb0EES18_EEDaS13_S14_EUlS13_E_NS1_11comp_targetILNS1_3genE5ELNS1_11target_archE942ELNS1_3gpuE9ELNS1_3repE0EEENS1_30default_config_static_selectorELNS0_4arch9wavefront6targetE0EEEvT1_,comdat
	.protected	_ZN7rocprim17ROCPRIM_400000_NS6detail17trampoline_kernelINS0_14default_configENS1_25partition_config_selectorILNS1_17partition_subalgoE6EfNS0_10empty_typeEbEEZZNS1_14partition_implILS5_6ELb0ES3_mN6thrust23THRUST_200600_302600_NS6detail15normal_iteratorINSA_10device_ptrIfEEEEPS6_SG_NS0_5tupleIJSF_S6_EEENSH_IJSG_SG_EEES6_PlJNSB_9not_fun_tINSB_14equal_to_valueIfEEEEEEE10hipError_tPvRmT3_T4_T5_T6_T7_T9_mT8_P12ihipStream_tbDpT10_ENKUlT_T0_E_clISt17integral_constantIbLb0EES18_EEDaS13_S14_EUlS13_E_NS1_11comp_targetILNS1_3genE5ELNS1_11target_archE942ELNS1_3gpuE9ELNS1_3repE0EEENS1_30default_config_static_selectorELNS0_4arch9wavefront6targetE0EEEvT1_ ; -- Begin function _ZN7rocprim17ROCPRIM_400000_NS6detail17trampoline_kernelINS0_14default_configENS1_25partition_config_selectorILNS1_17partition_subalgoE6EfNS0_10empty_typeEbEEZZNS1_14partition_implILS5_6ELb0ES3_mN6thrust23THRUST_200600_302600_NS6detail15normal_iteratorINSA_10device_ptrIfEEEEPS6_SG_NS0_5tupleIJSF_S6_EEENSH_IJSG_SG_EEES6_PlJNSB_9not_fun_tINSB_14equal_to_valueIfEEEEEEE10hipError_tPvRmT3_T4_T5_T6_T7_T9_mT8_P12ihipStream_tbDpT10_ENKUlT_T0_E_clISt17integral_constantIbLb0EES18_EEDaS13_S14_EUlS13_E_NS1_11comp_targetILNS1_3genE5ELNS1_11target_archE942ELNS1_3gpuE9ELNS1_3repE0EEENS1_30default_config_static_selectorELNS0_4arch9wavefront6targetE0EEEvT1_
	.globl	_ZN7rocprim17ROCPRIM_400000_NS6detail17trampoline_kernelINS0_14default_configENS1_25partition_config_selectorILNS1_17partition_subalgoE6EfNS0_10empty_typeEbEEZZNS1_14partition_implILS5_6ELb0ES3_mN6thrust23THRUST_200600_302600_NS6detail15normal_iteratorINSA_10device_ptrIfEEEEPS6_SG_NS0_5tupleIJSF_S6_EEENSH_IJSG_SG_EEES6_PlJNSB_9not_fun_tINSB_14equal_to_valueIfEEEEEEE10hipError_tPvRmT3_T4_T5_T6_T7_T9_mT8_P12ihipStream_tbDpT10_ENKUlT_T0_E_clISt17integral_constantIbLb0EES18_EEDaS13_S14_EUlS13_E_NS1_11comp_targetILNS1_3genE5ELNS1_11target_archE942ELNS1_3gpuE9ELNS1_3repE0EEENS1_30default_config_static_selectorELNS0_4arch9wavefront6targetE0EEEvT1_
	.p2align	8
	.type	_ZN7rocprim17ROCPRIM_400000_NS6detail17trampoline_kernelINS0_14default_configENS1_25partition_config_selectorILNS1_17partition_subalgoE6EfNS0_10empty_typeEbEEZZNS1_14partition_implILS5_6ELb0ES3_mN6thrust23THRUST_200600_302600_NS6detail15normal_iteratorINSA_10device_ptrIfEEEEPS6_SG_NS0_5tupleIJSF_S6_EEENSH_IJSG_SG_EEES6_PlJNSB_9not_fun_tINSB_14equal_to_valueIfEEEEEEE10hipError_tPvRmT3_T4_T5_T6_T7_T9_mT8_P12ihipStream_tbDpT10_ENKUlT_T0_E_clISt17integral_constantIbLb0EES18_EEDaS13_S14_EUlS13_E_NS1_11comp_targetILNS1_3genE5ELNS1_11target_archE942ELNS1_3gpuE9ELNS1_3repE0EEENS1_30default_config_static_selectorELNS0_4arch9wavefront6targetE0EEEvT1_,@function
_ZN7rocprim17ROCPRIM_400000_NS6detail17trampoline_kernelINS0_14default_configENS1_25partition_config_selectorILNS1_17partition_subalgoE6EfNS0_10empty_typeEbEEZZNS1_14partition_implILS5_6ELb0ES3_mN6thrust23THRUST_200600_302600_NS6detail15normal_iteratorINSA_10device_ptrIfEEEEPS6_SG_NS0_5tupleIJSF_S6_EEENSH_IJSG_SG_EEES6_PlJNSB_9not_fun_tINSB_14equal_to_valueIfEEEEEEE10hipError_tPvRmT3_T4_T5_T6_T7_T9_mT8_P12ihipStream_tbDpT10_ENKUlT_T0_E_clISt17integral_constantIbLb0EES18_EEDaS13_S14_EUlS13_E_NS1_11comp_targetILNS1_3genE5ELNS1_11target_archE942ELNS1_3gpuE9ELNS1_3repE0EEENS1_30default_config_static_selectorELNS0_4arch9wavefront6targetE0EEEvT1_: ; @_ZN7rocprim17ROCPRIM_400000_NS6detail17trampoline_kernelINS0_14default_configENS1_25partition_config_selectorILNS1_17partition_subalgoE6EfNS0_10empty_typeEbEEZZNS1_14partition_implILS5_6ELb0ES3_mN6thrust23THRUST_200600_302600_NS6detail15normal_iteratorINSA_10device_ptrIfEEEEPS6_SG_NS0_5tupleIJSF_S6_EEENSH_IJSG_SG_EEES6_PlJNSB_9not_fun_tINSB_14equal_to_valueIfEEEEEEE10hipError_tPvRmT3_T4_T5_T6_T7_T9_mT8_P12ihipStream_tbDpT10_ENKUlT_T0_E_clISt17integral_constantIbLb0EES18_EEDaS13_S14_EUlS13_E_NS1_11comp_targetILNS1_3genE5ELNS1_11target_archE942ELNS1_3gpuE9ELNS1_3repE0EEENS1_30default_config_static_selectorELNS0_4arch9wavefront6targetE0EEEvT1_
; %bb.0:
	.section	.rodata,"a",@progbits
	.p2align	6, 0x0
	.amdhsa_kernel _ZN7rocprim17ROCPRIM_400000_NS6detail17trampoline_kernelINS0_14default_configENS1_25partition_config_selectorILNS1_17partition_subalgoE6EfNS0_10empty_typeEbEEZZNS1_14partition_implILS5_6ELb0ES3_mN6thrust23THRUST_200600_302600_NS6detail15normal_iteratorINSA_10device_ptrIfEEEEPS6_SG_NS0_5tupleIJSF_S6_EEENSH_IJSG_SG_EEES6_PlJNSB_9not_fun_tINSB_14equal_to_valueIfEEEEEEE10hipError_tPvRmT3_T4_T5_T6_T7_T9_mT8_P12ihipStream_tbDpT10_ENKUlT_T0_E_clISt17integral_constantIbLb0EES18_EEDaS13_S14_EUlS13_E_NS1_11comp_targetILNS1_3genE5ELNS1_11target_archE942ELNS1_3gpuE9ELNS1_3repE0EEENS1_30default_config_static_selectorELNS0_4arch9wavefront6targetE0EEEvT1_
		.amdhsa_group_segment_fixed_size 0
		.amdhsa_private_segment_fixed_size 0
		.amdhsa_kernarg_size 120
		.amdhsa_user_sgpr_count 2
		.amdhsa_user_sgpr_dispatch_ptr 0
		.amdhsa_user_sgpr_queue_ptr 0
		.amdhsa_user_sgpr_kernarg_segment_ptr 1
		.amdhsa_user_sgpr_dispatch_id 0
		.amdhsa_user_sgpr_private_segment_size 0
		.amdhsa_wavefront_size32 1
		.amdhsa_uses_dynamic_stack 0
		.amdhsa_enable_private_segment 0
		.amdhsa_system_sgpr_workgroup_id_x 1
		.amdhsa_system_sgpr_workgroup_id_y 0
		.amdhsa_system_sgpr_workgroup_id_z 0
		.amdhsa_system_sgpr_workgroup_info 0
		.amdhsa_system_vgpr_workitem_id 0
		.amdhsa_next_free_vgpr 1
		.amdhsa_next_free_sgpr 1
		.amdhsa_reserve_vcc 0
		.amdhsa_float_round_mode_32 0
		.amdhsa_float_round_mode_16_64 0
		.amdhsa_float_denorm_mode_32 3
		.amdhsa_float_denorm_mode_16_64 3
		.amdhsa_fp16_overflow 0
		.amdhsa_workgroup_processor_mode 1
		.amdhsa_memory_ordered 1
		.amdhsa_forward_progress 1
		.amdhsa_inst_pref_size 0
		.amdhsa_round_robin_scheduling 0
		.amdhsa_exception_fp_ieee_invalid_op 0
		.amdhsa_exception_fp_denorm_src 0
		.amdhsa_exception_fp_ieee_div_zero 0
		.amdhsa_exception_fp_ieee_overflow 0
		.amdhsa_exception_fp_ieee_underflow 0
		.amdhsa_exception_fp_ieee_inexact 0
		.amdhsa_exception_int_div_zero 0
	.end_amdhsa_kernel
	.section	.text._ZN7rocprim17ROCPRIM_400000_NS6detail17trampoline_kernelINS0_14default_configENS1_25partition_config_selectorILNS1_17partition_subalgoE6EfNS0_10empty_typeEbEEZZNS1_14partition_implILS5_6ELb0ES3_mN6thrust23THRUST_200600_302600_NS6detail15normal_iteratorINSA_10device_ptrIfEEEEPS6_SG_NS0_5tupleIJSF_S6_EEENSH_IJSG_SG_EEES6_PlJNSB_9not_fun_tINSB_14equal_to_valueIfEEEEEEE10hipError_tPvRmT3_T4_T5_T6_T7_T9_mT8_P12ihipStream_tbDpT10_ENKUlT_T0_E_clISt17integral_constantIbLb0EES18_EEDaS13_S14_EUlS13_E_NS1_11comp_targetILNS1_3genE5ELNS1_11target_archE942ELNS1_3gpuE9ELNS1_3repE0EEENS1_30default_config_static_selectorELNS0_4arch9wavefront6targetE0EEEvT1_,"axG",@progbits,_ZN7rocprim17ROCPRIM_400000_NS6detail17trampoline_kernelINS0_14default_configENS1_25partition_config_selectorILNS1_17partition_subalgoE6EfNS0_10empty_typeEbEEZZNS1_14partition_implILS5_6ELb0ES3_mN6thrust23THRUST_200600_302600_NS6detail15normal_iteratorINSA_10device_ptrIfEEEEPS6_SG_NS0_5tupleIJSF_S6_EEENSH_IJSG_SG_EEES6_PlJNSB_9not_fun_tINSB_14equal_to_valueIfEEEEEEE10hipError_tPvRmT3_T4_T5_T6_T7_T9_mT8_P12ihipStream_tbDpT10_ENKUlT_T0_E_clISt17integral_constantIbLb0EES18_EEDaS13_S14_EUlS13_E_NS1_11comp_targetILNS1_3genE5ELNS1_11target_archE942ELNS1_3gpuE9ELNS1_3repE0EEENS1_30default_config_static_selectorELNS0_4arch9wavefront6targetE0EEEvT1_,comdat
.Lfunc_end310:
	.size	_ZN7rocprim17ROCPRIM_400000_NS6detail17trampoline_kernelINS0_14default_configENS1_25partition_config_selectorILNS1_17partition_subalgoE6EfNS0_10empty_typeEbEEZZNS1_14partition_implILS5_6ELb0ES3_mN6thrust23THRUST_200600_302600_NS6detail15normal_iteratorINSA_10device_ptrIfEEEEPS6_SG_NS0_5tupleIJSF_S6_EEENSH_IJSG_SG_EEES6_PlJNSB_9not_fun_tINSB_14equal_to_valueIfEEEEEEE10hipError_tPvRmT3_T4_T5_T6_T7_T9_mT8_P12ihipStream_tbDpT10_ENKUlT_T0_E_clISt17integral_constantIbLb0EES18_EEDaS13_S14_EUlS13_E_NS1_11comp_targetILNS1_3genE5ELNS1_11target_archE942ELNS1_3gpuE9ELNS1_3repE0EEENS1_30default_config_static_selectorELNS0_4arch9wavefront6targetE0EEEvT1_, .Lfunc_end310-_ZN7rocprim17ROCPRIM_400000_NS6detail17trampoline_kernelINS0_14default_configENS1_25partition_config_selectorILNS1_17partition_subalgoE6EfNS0_10empty_typeEbEEZZNS1_14partition_implILS5_6ELb0ES3_mN6thrust23THRUST_200600_302600_NS6detail15normal_iteratorINSA_10device_ptrIfEEEEPS6_SG_NS0_5tupleIJSF_S6_EEENSH_IJSG_SG_EEES6_PlJNSB_9not_fun_tINSB_14equal_to_valueIfEEEEEEE10hipError_tPvRmT3_T4_T5_T6_T7_T9_mT8_P12ihipStream_tbDpT10_ENKUlT_T0_E_clISt17integral_constantIbLb0EES18_EEDaS13_S14_EUlS13_E_NS1_11comp_targetILNS1_3genE5ELNS1_11target_archE942ELNS1_3gpuE9ELNS1_3repE0EEENS1_30default_config_static_selectorELNS0_4arch9wavefront6targetE0EEEvT1_
                                        ; -- End function
	.set _ZN7rocprim17ROCPRIM_400000_NS6detail17trampoline_kernelINS0_14default_configENS1_25partition_config_selectorILNS1_17partition_subalgoE6EfNS0_10empty_typeEbEEZZNS1_14partition_implILS5_6ELb0ES3_mN6thrust23THRUST_200600_302600_NS6detail15normal_iteratorINSA_10device_ptrIfEEEEPS6_SG_NS0_5tupleIJSF_S6_EEENSH_IJSG_SG_EEES6_PlJNSB_9not_fun_tINSB_14equal_to_valueIfEEEEEEE10hipError_tPvRmT3_T4_T5_T6_T7_T9_mT8_P12ihipStream_tbDpT10_ENKUlT_T0_E_clISt17integral_constantIbLb0EES18_EEDaS13_S14_EUlS13_E_NS1_11comp_targetILNS1_3genE5ELNS1_11target_archE942ELNS1_3gpuE9ELNS1_3repE0EEENS1_30default_config_static_selectorELNS0_4arch9wavefront6targetE0EEEvT1_.num_vgpr, 0
	.set _ZN7rocprim17ROCPRIM_400000_NS6detail17trampoline_kernelINS0_14default_configENS1_25partition_config_selectorILNS1_17partition_subalgoE6EfNS0_10empty_typeEbEEZZNS1_14partition_implILS5_6ELb0ES3_mN6thrust23THRUST_200600_302600_NS6detail15normal_iteratorINSA_10device_ptrIfEEEEPS6_SG_NS0_5tupleIJSF_S6_EEENSH_IJSG_SG_EEES6_PlJNSB_9not_fun_tINSB_14equal_to_valueIfEEEEEEE10hipError_tPvRmT3_T4_T5_T6_T7_T9_mT8_P12ihipStream_tbDpT10_ENKUlT_T0_E_clISt17integral_constantIbLb0EES18_EEDaS13_S14_EUlS13_E_NS1_11comp_targetILNS1_3genE5ELNS1_11target_archE942ELNS1_3gpuE9ELNS1_3repE0EEENS1_30default_config_static_selectorELNS0_4arch9wavefront6targetE0EEEvT1_.num_agpr, 0
	.set _ZN7rocprim17ROCPRIM_400000_NS6detail17trampoline_kernelINS0_14default_configENS1_25partition_config_selectorILNS1_17partition_subalgoE6EfNS0_10empty_typeEbEEZZNS1_14partition_implILS5_6ELb0ES3_mN6thrust23THRUST_200600_302600_NS6detail15normal_iteratorINSA_10device_ptrIfEEEEPS6_SG_NS0_5tupleIJSF_S6_EEENSH_IJSG_SG_EEES6_PlJNSB_9not_fun_tINSB_14equal_to_valueIfEEEEEEE10hipError_tPvRmT3_T4_T5_T6_T7_T9_mT8_P12ihipStream_tbDpT10_ENKUlT_T0_E_clISt17integral_constantIbLb0EES18_EEDaS13_S14_EUlS13_E_NS1_11comp_targetILNS1_3genE5ELNS1_11target_archE942ELNS1_3gpuE9ELNS1_3repE0EEENS1_30default_config_static_selectorELNS0_4arch9wavefront6targetE0EEEvT1_.numbered_sgpr, 0
	.set _ZN7rocprim17ROCPRIM_400000_NS6detail17trampoline_kernelINS0_14default_configENS1_25partition_config_selectorILNS1_17partition_subalgoE6EfNS0_10empty_typeEbEEZZNS1_14partition_implILS5_6ELb0ES3_mN6thrust23THRUST_200600_302600_NS6detail15normal_iteratorINSA_10device_ptrIfEEEEPS6_SG_NS0_5tupleIJSF_S6_EEENSH_IJSG_SG_EEES6_PlJNSB_9not_fun_tINSB_14equal_to_valueIfEEEEEEE10hipError_tPvRmT3_T4_T5_T6_T7_T9_mT8_P12ihipStream_tbDpT10_ENKUlT_T0_E_clISt17integral_constantIbLb0EES18_EEDaS13_S14_EUlS13_E_NS1_11comp_targetILNS1_3genE5ELNS1_11target_archE942ELNS1_3gpuE9ELNS1_3repE0EEENS1_30default_config_static_selectorELNS0_4arch9wavefront6targetE0EEEvT1_.num_named_barrier, 0
	.set _ZN7rocprim17ROCPRIM_400000_NS6detail17trampoline_kernelINS0_14default_configENS1_25partition_config_selectorILNS1_17partition_subalgoE6EfNS0_10empty_typeEbEEZZNS1_14partition_implILS5_6ELb0ES3_mN6thrust23THRUST_200600_302600_NS6detail15normal_iteratorINSA_10device_ptrIfEEEEPS6_SG_NS0_5tupleIJSF_S6_EEENSH_IJSG_SG_EEES6_PlJNSB_9not_fun_tINSB_14equal_to_valueIfEEEEEEE10hipError_tPvRmT3_T4_T5_T6_T7_T9_mT8_P12ihipStream_tbDpT10_ENKUlT_T0_E_clISt17integral_constantIbLb0EES18_EEDaS13_S14_EUlS13_E_NS1_11comp_targetILNS1_3genE5ELNS1_11target_archE942ELNS1_3gpuE9ELNS1_3repE0EEENS1_30default_config_static_selectorELNS0_4arch9wavefront6targetE0EEEvT1_.private_seg_size, 0
	.set _ZN7rocprim17ROCPRIM_400000_NS6detail17trampoline_kernelINS0_14default_configENS1_25partition_config_selectorILNS1_17partition_subalgoE6EfNS0_10empty_typeEbEEZZNS1_14partition_implILS5_6ELb0ES3_mN6thrust23THRUST_200600_302600_NS6detail15normal_iteratorINSA_10device_ptrIfEEEEPS6_SG_NS0_5tupleIJSF_S6_EEENSH_IJSG_SG_EEES6_PlJNSB_9not_fun_tINSB_14equal_to_valueIfEEEEEEE10hipError_tPvRmT3_T4_T5_T6_T7_T9_mT8_P12ihipStream_tbDpT10_ENKUlT_T0_E_clISt17integral_constantIbLb0EES18_EEDaS13_S14_EUlS13_E_NS1_11comp_targetILNS1_3genE5ELNS1_11target_archE942ELNS1_3gpuE9ELNS1_3repE0EEENS1_30default_config_static_selectorELNS0_4arch9wavefront6targetE0EEEvT1_.uses_vcc, 0
	.set _ZN7rocprim17ROCPRIM_400000_NS6detail17trampoline_kernelINS0_14default_configENS1_25partition_config_selectorILNS1_17partition_subalgoE6EfNS0_10empty_typeEbEEZZNS1_14partition_implILS5_6ELb0ES3_mN6thrust23THRUST_200600_302600_NS6detail15normal_iteratorINSA_10device_ptrIfEEEEPS6_SG_NS0_5tupleIJSF_S6_EEENSH_IJSG_SG_EEES6_PlJNSB_9not_fun_tINSB_14equal_to_valueIfEEEEEEE10hipError_tPvRmT3_T4_T5_T6_T7_T9_mT8_P12ihipStream_tbDpT10_ENKUlT_T0_E_clISt17integral_constantIbLb0EES18_EEDaS13_S14_EUlS13_E_NS1_11comp_targetILNS1_3genE5ELNS1_11target_archE942ELNS1_3gpuE9ELNS1_3repE0EEENS1_30default_config_static_selectorELNS0_4arch9wavefront6targetE0EEEvT1_.uses_flat_scratch, 0
	.set _ZN7rocprim17ROCPRIM_400000_NS6detail17trampoline_kernelINS0_14default_configENS1_25partition_config_selectorILNS1_17partition_subalgoE6EfNS0_10empty_typeEbEEZZNS1_14partition_implILS5_6ELb0ES3_mN6thrust23THRUST_200600_302600_NS6detail15normal_iteratorINSA_10device_ptrIfEEEEPS6_SG_NS0_5tupleIJSF_S6_EEENSH_IJSG_SG_EEES6_PlJNSB_9not_fun_tINSB_14equal_to_valueIfEEEEEEE10hipError_tPvRmT3_T4_T5_T6_T7_T9_mT8_P12ihipStream_tbDpT10_ENKUlT_T0_E_clISt17integral_constantIbLb0EES18_EEDaS13_S14_EUlS13_E_NS1_11comp_targetILNS1_3genE5ELNS1_11target_archE942ELNS1_3gpuE9ELNS1_3repE0EEENS1_30default_config_static_selectorELNS0_4arch9wavefront6targetE0EEEvT1_.has_dyn_sized_stack, 0
	.set _ZN7rocprim17ROCPRIM_400000_NS6detail17trampoline_kernelINS0_14default_configENS1_25partition_config_selectorILNS1_17partition_subalgoE6EfNS0_10empty_typeEbEEZZNS1_14partition_implILS5_6ELb0ES3_mN6thrust23THRUST_200600_302600_NS6detail15normal_iteratorINSA_10device_ptrIfEEEEPS6_SG_NS0_5tupleIJSF_S6_EEENSH_IJSG_SG_EEES6_PlJNSB_9not_fun_tINSB_14equal_to_valueIfEEEEEEE10hipError_tPvRmT3_T4_T5_T6_T7_T9_mT8_P12ihipStream_tbDpT10_ENKUlT_T0_E_clISt17integral_constantIbLb0EES18_EEDaS13_S14_EUlS13_E_NS1_11comp_targetILNS1_3genE5ELNS1_11target_archE942ELNS1_3gpuE9ELNS1_3repE0EEENS1_30default_config_static_selectorELNS0_4arch9wavefront6targetE0EEEvT1_.has_recursion, 0
	.set _ZN7rocprim17ROCPRIM_400000_NS6detail17trampoline_kernelINS0_14default_configENS1_25partition_config_selectorILNS1_17partition_subalgoE6EfNS0_10empty_typeEbEEZZNS1_14partition_implILS5_6ELb0ES3_mN6thrust23THRUST_200600_302600_NS6detail15normal_iteratorINSA_10device_ptrIfEEEEPS6_SG_NS0_5tupleIJSF_S6_EEENSH_IJSG_SG_EEES6_PlJNSB_9not_fun_tINSB_14equal_to_valueIfEEEEEEE10hipError_tPvRmT3_T4_T5_T6_T7_T9_mT8_P12ihipStream_tbDpT10_ENKUlT_T0_E_clISt17integral_constantIbLb0EES18_EEDaS13_S14_EUlS13_E_NS1_11comp_targetILNS1_3genE5ELNS1_11target_archE942ELNS1_3gpuE9ELNS1_3repE0EEENS1_30default_config_static_selectorELNS0_4arch9wavefront6targetE0EEEvT1_.has_indirect_call, 0
	.section	.AMDGPU.csdata,"",@progbits
; Kernel info:
; codeLenInByte = 0
; TotalNumSgprs: 0
; NumVgprs: 0
; ScratchSize: 0
; MemoryBound: 0
; FloatMode: 240
; IeeeMode: 1
; LDSByteSize: 0 bytes/workgroup (compile time only)
; SGPRBlocks: 0
; VGPRBlocks: 0
; NumSGPRsForWavesPerEU: 1
; NumVGPRsForWavesPerEU: 1
; Occupancy: 16
; WaveLimiterHint : 0
; COMPUTE_PGM_RSRC2:SCRATCH_EN: 0
; COMPUTE_PGM_RSRC2:USER_SGPR: 2
; COMPUTE_PGM_RSRC2:TRAP_HANDLER: 0
; COMPUTE_PGM_RSRC2:TGID_X_EN: 1
; COMPUTE_PGM_RSRC2:TGID_Y_EN: 0
; COMPUTE_PGM_RSRC2:TGID_Z_EN: 0
; COMPUTE_PGM_RSRC2:TIDIG_COMP_CNT: 0
	.section	.text._ZN7rocprim17ROCPRIM_400000_NS6detail17trampoline_kernelINS0_14default_configENS1_25partition_config_selectorILNS1_17partition_subalgoE6EfNS0_10empty_typeEbEEZZNS1_14partition_implILS5_6ELb0ES3_mN6thrust23THRUST_200600_302600_NS6detail15normal_iteratorINSA_10device_ptrIfEEEEPS6_SG_NS0_5tupleIJSF_S6_EEENSH_IJSG_SG_EEES6_PlJNSB_9not_fun_tINSB_14equal_to_valueIfEEEEEEE10hipError_tPvRmT3_T4_T5_T6_T7_T9_mT8_P12ihipStream_tbDpT10_ENKUlT_T0_E_clISt17integral_constantIbLb0EES18_EEDaS13_S14_EUlS13_E_NS1_11comp_targetILNS1_3genE4ELNS1_11target_archE910ELNS1_3gpuE8ELNS1_3repE0EEENS1_30default_config_static_selectorELNS0_4arch9wavefront6targetE0EEEvT1_,"axG",@progbits,_ZN7rocprim17ROCPRIM_400000_NS6detail17trampoline_kernelINS0_14default_configENS1_25partition_config_selectorILNS1_17partition_subalgoE6EfNS0_10empty_typeEbEEZZNS1_14partition_implILS5_6ELb0ES3_mN6thrust23THRUST_200600_302600_NS6detail15normal_iteratorINSA_10device_ptrIfEEEEPS6_SG_NS0_5tupleIJSF_S6_EEENSH_IJSG_SG_EEES6_PlJNSB_9not_fun_tINSB_14equal_to_valueIfEEEEEEE10hipError_tPvRmT3_T4_T5_T6_T7_T9_mT8_P12ihipStream_tbDpT10_ENKUlT_T0_E_clISt17integral_constantIbLb0EES18_EEDaS13_S14_EUlS13_E_NS1_11comp_targetILNS1_3genE4ELNS1_11target_archE910ELNS1_3gpuE8ELNS1_3repE0EEENS1_30default_config_static_selectorELNS0_4arch9wavefront6targetE0EEEvT1_,comdat
	.protected	_ZN7rocprim17ROCPRIM_400000_NS6detail17trampoline_kernelINS0_14default_configENS1_25partition_config_selectorILNS1_17partition_subalgoE6EfNS0_10empty_typeEbEEZZNS1_14partition_implILS5_6ELb0ES3_mN6thrust23THRUST_200600_302600_NS6detail15normal_iteratorINSA_10device_ptrIfEEEEPS6_SG_NS0_5tupleIJSF_S6_EEENSH_IJSG_SG_EEES6_PlJNSB_9not_fun_tINSB_14equal_to_valueIfEEEEEEE10hipError_tPvRmT3_T4_T5_T6_T7_T9_mT8_P12ihipStream_tbDpT10_ENKUlT_T0_E_clISt17integral_constantIbLb0EES18_EEDaS13_S14_EUlS13_E_NS1_11comp_targetILNS1_3genE4ELNS1_11target_archE910ELNS1_3gpuE8ELNS1_3repE0EEENS1_30default_config_static_selectorELNS0_4arch9wavefront6targetE0EEEvT1_ ; -- Begin function _ZN7rocprim17ROCPRIM_400000_NS6detail17trampoline_kernelINS0_14default_configENS1_25partition_config_selectorILNS1_17partition_subalgoE6EfNS0_10empty_typeEbEEZZNS1_14partition_implILS5_6ELb0ES3_mN6thrust23THRUST_200600_302600_NS6detail15normal_iteratorINSA_10device_ptrIfEEEEPS6_SG_NS0_5tupleIJSF_S6_EEENSH_IJSG_SG_EEES6_PlJNSB_9not_fun_tINSB_14equal_to_valueIfEEEEEEE10hipError_tPvRmT3_T4_T5_T6_T7_T9_mT8_P12ihipStream_tbDpT10_ENKUlT_T0_E_clISt17integral_constantIbLb0EES18_EEDaS13_S14_EUlS13_E_NS1_11comp_targetILNS1_3genE4ELNS1_11target_archE910ELNS1_3gpuE8ELNS1_3repE0EEENS1_30default_config_static_selectorELNS0_4arch9wavefront6targetE0EEEvT1_
	.globl	_ZN7rocprim17ROCPRIM_400000_NS6detail17trampoline_kernelINS0_14default_configENS1_25partition_config_selectorILNS1_17partition_subalgoE6EfNS0_10empty_typeEbEEZZNS1_14partition_implILS5_6ELb0ES3_mN6thrust23THRUST_200600_302600_NS6detail15normal_iteratorINSA_10device_ptrIfEEEEPS6_SG_NS0_5tupleIJSF_S6_EEENSH_IJSG_SG_EEES6_PlJNSB_9not_fun_tINSB_14equal_to_valueIfEEEEEEE10hipError_tPvRmT3_T4_T5_T6_T7_T9_mT8_P12ihipStream_tbDpT10_ENKUlT_T0_E_clISt17integral_constantIbLb0EES18_EEDaS13_S14_EUlS13_E_NS1_11comp_targetILNS1_3genE4ELNS1_11target_archE910ELNS1_3gpuE8ELNS1_3repE0EEENS1_30default_config_static_selectorELNS0_4arch9wavefront6targetE0EEEvT1_
	.p2align	8
	.type	_ZN7rocprim17ROCPRIM_400000_NS6detail17trampoline_kernelINS0_14default_configENS1_25partition_config_selectorILNS1_17partition_subalgoE6EfNS0_10empty_typeEbEEZZNS1_14partition_implILS5_6ELb0ES3_mN6thrust23THRUST_200600_302600_NS6detail15normal_iteratorINSA_10device_ptrIfEEEEPS6_SG_NS0_5tupleIJSF_S6_EEENSH_IJSG_SG_EEES6_PlJNSB_9not_fun_tINSB_14equal_to_valueIfEEEEEEE10hipError_tPvRmT3_T4_T5_T6_T7_T9_mT8_P12ihipStream_tbDpT10_ENKUlT_T0_E_clISt17integral_constantIbLb0EES18_EEDaS13_S14_EUlS13_E_NS1_11comp_targetILNS1_3genE4ELNS1_11target_archE910ELNS1_3gpuE8ELNS1_3repE0EEENS1_30default_config_static_selectorELNS0_4arch9wavefront6targetE0EEEvT1_,@function
_ZN7rocprim17ROCPRIM_400000_NS6detail17trampoline_kernelINS0_14default_configENS1_25partition_config_selectorILNS1_17partition_subalgoE6EfNS0_10empty_typeEbEEZZNS1_14partition_implILS5_6ELb0ES3_mN6thrust23THRUST_200600_302600_NS6detail15normal_iteratorINSA_10device_ptrIfEEEEPS6_SG_NS0_5tupleIJSF_S6_EEENSH_IJSG_SG_EEES6_PlJNSB_9not_fun_tINSB_14equal_to_valueIfEEEEEEE10hipError_tPvRmT3_T4_T5_T6_T7_T9_mT8_P12ihipStream_tbDpT10_ENKUlT_T0_E_clISt17integral_constantIbLb0EES18_EEDaS13_S14_EUlS13_E_NS1_11comp_targetILNS1_3genE4ELNS1_11target_archE910ELNS1_3gpuE8ELNS1_3repE0EEENS1_30default_config_static_selectorELNS0_4arch9wavefront6targetE0EEEvT1_: ; @_ZN7rocprim17ROCPRIM_400000_NS6detail17trampoline_kernelINS0_14default_configENS1_25partition_config_selectorILNS1_17partition_subalgoE6EfNS0_10empty_typeEbEEZZNS1_14partition_implILS5_6ELb0ES3_mN6thrust23THRUST_200600_302600_NS6detail15normal_iteratorINSA_10device_ptrIfEEEEPS6_SG_NS0_5tupleIJSF_S6_EEENSH_IJSG_SG_EEES6_PlJNSB_9not_fun_tINSB_14equal_to_valueIfEEEEEEE10hipError_tPvRmT3_T4_T5_T6_T7_T9_mT8_P12ihipStream_tbDpT10_ENKUlT_T0_E_clISt17integral_constantIbLb0EES18_EEDaS13_S14_EUlS13_E_NS1_11comp_targetILNS1_3genE4ELNS1_11target_archE910ELNS1_3gpuE8ELNS1_3repE0EEENS1_30default_config_static_selectorELNS0_4arch9wavefront6targetE0EEEvT1_
; %bb.0:
	.section	.rodata,"a",@progbits
	.p2align	6, 0x0
	.amdhsa_kernel _ZN7rocprim17ROCPRIM_400000_NS6detail17trampoline_kernelINS0_14default_configENS1_25partition_config_selectorILNS1_17partition_subalgoE6EfNS0_10empty_typeEbEEZZNS1_14partition_implILS5_6ELb0ES3_mN6thrust23THRUST_200600_302600_NS6detail15normal_iteratorINSA_10device_ptrIfEEEEPS6_SG_NS0_5tupleIJSF_S6_EEENSH_IJSG_SG_EEES6_PlJNSB_9not_fun_tINSB_14equal_to_valueIfEEEEEEE10hipError_tPvRmT3_T4_T5_T6_T7_T9_mT8_P12ihipStream_tbDpT10_ENKUlT_T0_E_clISt17integral_constantIbLb0EES18_EEDaS13_S14_EUlS13_E_NS1_11comp_targetILNS1_3genE4ELNS1_11target_archE910ELNS1_3gpuE8ELNS1_3repE0EEENS1_30default_config_static_selectorELNS0_4arch9wavefront6targetE0EEEvT1_
		.amdhsa_group_segment_fixed_size 0
		.amdhsa_private_segment_fixed_size 0
		.amdhsa_kernarg_size 120
		.amdhsa_user_sgpr_count 2
		.amdhsa_user_sgpr_dispatch_ptr 0
		.amdhsa_user_sgpr_queue_ptr 0
		.amdhsa_user_sgpr_kernarg_segment_ptr 1
		.amdhsa_user_sgpr_dispatch_id 0
		.amdhsa_user_sgpr_private_segment_size 0
		.amdhsa_wavefront_size32 1
		.amdhsa_uses_dynamic_stack 0
		.amdhsa_enable_private_segment 0
		.amdhsa_system_sgpr_workgroup_id_x 1
		.amdhsa_system_sgpr_workgroup_id_y 0
		.amdhsa_system_sgpr_workgroup_id_z 0
		.amdhsa_system_sgpr_workgroup_info 0
		.amdhsa_system_vgpr_workitem_id 0
		.amdhsa_next_free_vgpr 1
		.amdhsa_next_free_sgpr 1
		.amdhsa_reserve_vcc 0
		.amdhsa_float_round_mode_32 0
		.amdhsa_float_round_mode_16_64 0
		.amdhsa_float_denorm_mode_32 3
		.amdhsa_float_denorm_mode_16_64 3
		.amdhsa_fp16_overflow 0
		.amdhsa_workgroup_processor_mode 1
		.amdhsa_memory_ordered 1
		.amdhsa_forward_progress 1
		.amdhsa_inst_pref_size 0
		.amdhsa_round_robin_scheduling 0
		.amdhsa_exception_fp_ieee_invalid_op 0
		.amdhsa_exception_fp_denorm_src 0
		.amdhsa_exception_fp_ieee_div_zero 0
		.amdhsa_exception_fp_ieee_overflow 0
		.amdhsa_exception_fp_ieee_underflow 0
		.amdhsa_exception_fp_ieee_inexact 0
		.amdhsa_exception_int_div_zero 0
	.end_amdhsa_kernel
	.section	.text._ZN7rocprim17ROCPRIM_400000_NS6detail17trampoline_kernelINS0_14default_configENS1_25partition_config_selectorILNS1_17partition_subalgoE6EfNS0_10empty_typeEbEEZZNS1_14partition_implILS5_6ELb0ES3_mN6thrust23THRUST_200600_302600_NS6detail15normal_iteratorINSA_10device_ptrIfEEEEPS6_SG_NS0_5tupleIJSF_S6_EEENSH_IJSG_SG_EEES6_PlJNSB_9not_fun_tINSB_14equal_to_valueIfEEEEEEE10hipError_tPvRmT3_T4_T5_T6_T7_T9_mT8_P12ihipStream_tbDpT10_ENKUlT_T0_E_clISt17integral_constantIbLb0EES18_EEDaS13_S14_EUlS13_E_NS1_11comp_targetILNS1_3genE4ELNS1_11target_archE910ELNS1_3gpuE8ELNS1_3repE0EEENS1_30default_config_static_selectorELNS0_4arch9wavefront6targetE0EEEvT1_,"axG",@progbits,_ZN7rocprim17ROCPRIM_400000_NS6detail17trampoline_kernelINS0_14default_configENS1_25partition_config_selectorILNS1_17partition_subalgoE6EfNS0_10empty_typeEbEEZZNS1_14partition_implILS5_6ELb0ES3_mN6thrust23THRUST_200600_302600_NS6detail15normal_iteratorINSA_10device_ptrIfEEEEPS6_SG_NS0_5tupleIJSF_S6_EEENSH_IJSG_SG_EEES6_PlJNSB_9not_fun_tINSB_14equal_to_valueIfEEEEEEE10hipError_tPvRmT3_T4_T5_T6_T7_T9_mT8_P12ihipStream_tbDpT10_ENKUlT_T0_E_clISt17integral_constantIbLb0EES18_EEDaS13_S14_EUlS13_E_NS1_11comp_targetILNS1_3genE4ELNS1_11target_archE910ELNS1_3gpuE8ELNS1_3repE0EEENS1_30default_config_static_selectorELNS0_4arch9wavefront6targetE0EEEvT1_,comdat
.Lfunc_end311:
	.size	_ZN7rocprim17ROCPRIM_400000_NS6detail17trampoline_kernelINS0_14default_configENS1_25partition_config_selectorILNS1_17partition_subalgoE6EfNS0_10empty_typeEbEEZZNS1_14partition_implILS5_6ELb0ES3_mN6thrust23THRUST_200600_302600_NS6detail15normal_iteratorINSA_10device_ptrIfEEEEPS6_SG_NS0_5tupleIJSF_S6_EEENSH_IJSG_SG_EEES6_PlJNSB_9not_fun_tINSB_14equal_to_valueIfEEEEEEE10hipError_tPvRmT3_T4_T5_T6_T7_T9_mT8_P12ihipStream_tbDpT10_ENKUlT_T0_E_clISt17integral_constantIbLb0EES18_EEDaS13_S14_EUlS13_E_NS1_11comp_targetILNS1_3genE4ELNS1_11target_archE910ELNS1_3gpuE8ELNS1_3repE0EEENS1_30default_config_static_selectorELNS0_4arch9wavefront6targetE0EEEvT1_, .Lfunc_end311-_ZN7rocprim17ROCPRIM_400000_NS6detail17trampoline_kernelINS0_14default_configENS1_25partition_config_selectorILNS1_17partition_subalgoE6EfNS0_10empty_typeEbEEZZNS1_14partition_implILS5_6ELb0ES3_mN6thrust23THRUST_200600_302600_NS6detail15normal_iteratorINSA_10device_ptrIfEEEEPS6_SG_NS0_5tupleIJSF_S6_EEENSH_IJSG_SG_EEES6_PlJNSB_9not_fun_tINSB_14equal_to_valueIfEEEEEEE10hipError_tPvRmT3_T4_T5_T6_T7_T9_mT8_P12ihipStream_tbDpT10_ENKUlT_T0_E_clISt17integral_constantIbLb0EES18_EEDaS13_S14_EUlS13_E_NS1_11comp_targetILNS1_3genE4ELNS1_11target_archE910ELNS1_3gpuE8ELNS1_3repE0EEENS1_30default_config_static_selectorELNS0_4arch9wavefront6targetE0EEEvT1_
                                        ; -- End function
	.set _ZN7rocprim17ROCPRIM_400000_NS6detail17trampoline_kernelINS0_14default_configENS1_25partition_config_selectorILNS1_17partition_subalgoE6EfNS0_10empty_typeEbEEZZNS1_14partition_implILS5_6ELb0ES3_mN6thrust23THRUST_200600_302600_NS6detail15normal_iteratorINSA_10device_ptrIfEEEEPS6_SG_NS0_5tupleIJSF_S6_EEENSH_IJSG_SG_EEES6_PlJNSB_9not_fun_tINSB_14equal_to_valueIfEEEEEEE10hipError_tPvRmT3_T4_T5_T6_T7_T9_mT8_P12ihipStream_tbDpT10_ENKUlT_T0_E_clISt17integral_constantIbLb0EES18_EEDaS13_S14_EUlS13_E_NS1_11comp_targetILNS1_3genE4ELNS1_11target_archE910ELNS1_3gpuE8ELNS1_3repE0EEENS1_30default_config_static_selectorELNS0_4arch9wavefront6targetE0EEEvT1_.num_vgpr, 0
	.set _ZN7rocprim17ROCPRIM_400000_NS6detail17trampoline_kernelINS0_14default_configENS1_25partition_config_selectorILNS1_17partition_subalgoE6EfNS0_10empty_typeEbEEZZNS1_14partition_implILS5_6ELb0ES3_mN6thrust23THRUST_200600_302600_NS6detail15normal_iteratorINSA_10device_ptrIfEEEEPS6_SG_NS0_5tupleIJSF_S6_EEENSH_IJSG_SG_EEES6_PlJNSB_9not_fun_tINSB_14equal_to_valueIfEEEEEEE10hipError_tPvRmT3_T4_T5_T6_T7_T9_mT8_P12ihipStream_tbDpT10_ENKUlT_T0_E_clISt17integral_constantIbLb0EES18_EEDaS13_S14_EUlS13_E_NS1_11comp_targetILNS1_3genE4ELNS1_11target_archE910ELNS1_3gpuE8ELNS1_3repE0EEENS1_30default_config_static_selectorELNS0_4arch9wavefront6targetE0EEEvT1_.num_agpr, 0
	.set _ZN7rocprim17ROCPRIM_400000_NS6detail17trampoline_kernelINS0_14default_configENS1_25partition_config_selectorILNS1_17partition_subalgoE6EfNS0_10empty_typeEbEEZZNS1_14partition_implILS5_6ELb0ES3_mN6thrust23THRUST_200600_302600_NS6detail15normal_iteratorINSA_10device_ptrIfEEEEPS6_SG_NS0_5tupleIJSF_S6_EEENSH_IJSG_SG_EEES6_PlJNSB_9not_fun_tINSB_14equal_to_valueIfEEEEEEE10hipError_tPvRmT3_T4_T5_T6_T7_T9_mT8_P12ihipStream_tbDpT10_ENKUlT_T0_E_clISt17integral_constantIbLb0EES18_EEDaS13_S14_EUlS13_E_NS1_11comp_targetILNS1_3genE4ELNS1_11target_archE910ELNS1_3gpuE8ELNS1_3repE0EEENS1_30default_config_static_selectorELNS0_4arch9wavefront6targetE0EEEvT1_.numbered_sgpr, 0
	.set _ZN7rocprim17ROCPRIM_400000_NS6detail17trampoline_kernelINS0_14default_configENS1_25partition_config_selectorILNS1_17partition_subalgoE6EfNS0_10empty_typeEbEEZZNS1_14partition_implILS5_6ELb0ES3_mN6thrust23THRUST_200600_302600_NS6detail15normal_iteratorINSA_10device_ptrIfEEEEPS6_SG_NS0_5tupleIJSF_S6_EEENSH_IJSG_SG_EEES6_PlJNSB_9not_fun_tINSB_14equal_to_valueIfEEEEEEE10hipError_tPvRmT3_T4_T5_T6_T7_T9_mT8_P12ihipStream_tbDpT10_ENKUlT_T0_E_clISt17integral_constantIbLb0EES18_EEDaS13_S14_EUlS13_E_NS1_11comp_targetILNS1_3genE4ELNS1_11target_archE910ELNS1_3gpuE8ELNS1_3repE0EEENS1_30default_config_static_selectorELNS0_4arch9wavefront6targetE0EEEvT1_.num_named_barrier, 0
	.set _ZN7rocprim17ROCPRIM_400000_NS6detail17trampoline_kernelINS0_14default_configENS1_25partition_config_selectorILNS1_17partition_subalgoE6EfNS0_10empty_typeEbEEZZNS1_14partition_implILS5_6ELb0ES3_mN6thrust23THRUST_200600_302600_NS6detail15normal_iteratorINSA_10device_ptrIfEEEEPS6_SG_NS0_5tupleIJSF_S6_EEENSH_IJSG_SG_EEES6_PlJNSB_9not_fun_tINSB_14equal_to_valueIfEEEEEEE10hipError_tPvRmT3_T4_T5_T6_T7_T9_mT8_P12ihipStream_tbDpT10_ENKUlT_T0_E_clISt17integral_constantIbLb0EES18_EEDaS13_S14_EUlS13_E_NS1_11comp_targetILNS1_3genE4ELNS1_11target_archE910ELNS1_3gpuE8ELNS1_3repE0EEENS1_30default_config_static_selectorELNS0_4arch9wavefront6targetE0EEEvT1_.private_seg_size, 0
	.set _ZN7rocprim17ROCPRIM_400000_NS6detail17trampoline_kernelINS0_14default_configENS1_25partition_config_selectorILNS1_17partition_subalgoE6EfNS0_10empty_typeEbEEZZNS1_14partition_implILS5_6ELb0ES3_mN6thrust23THRUST_200600_302600_NS6detail15normal_iteratorINSA_10device_ptrIfEEEEPS6_SG_NS0_5tupleIJSF_S6_EEENSH_IJSG_SG_EEES6_PlJNSB_9not_fun_tINSB_14equal_to_valueIfEEEEEEE10hipError_tPvRmT3_T4_T5_T6_T7_T9_mT8_P12ihipStream_tbDpT10_ENKUlT_T0_E_clISt17integral_constantIbLb0EES18_EEDaS13_S14_EUlS13_E_NS1_11comp_targetILNS1_3genE4ELNS1_11target_archE910ELNS1_3gpuE8ELNS1_3repE0EEENS1_30default_config_static_selectorELNS0_4arch9wavefront6targetE0EEEvT1_.uses_vcc, 0
	.set _ZN7rocprim17ROCPRIM_400000_NS6detail17trampoline_kernelINS0_14default_configENS1_25partition_config_selectorILNS1_17partition_subalgoE6EfNS0_10empty_typeEbEEZZNS1_14partition_implILS5_6ELb0ES3_mN6thrust23THRUST_200600_302600_NS6detail15normal_iteratorINSA_10device_ptrIfEEEEPS6_SG_NS0_5tupleIJSF_S6_EEENSH_IJSG_SG_EEES6_PlJNSB_9not_fun_tINSB_14equal_to_valueIfEEEEEEE10hipError_tPvRmT3_T4_T5_T6_T7_T9_mT8_P12ihipStream_tbDpT10_ENKUlT_T0_E_clISt17integral_constantIbLb0EES18_EEDaS13_S14_EUlS13_E_NS1_11comp_targetILNS1_3genE4ELNS1_11target_archE910ELNS1_3gpuE8ELNS1_3repE0EEENS1_30default_config_static_selectorELNS0_4arch9wavefront6targetE0EEEvT1_.uses_flat_scratch, 0
	.set _ZN7rocprim17ROCPRIM_400000_NS6detail17trampoline_kernelINS0_14default_configENS1_25partition_config_selectorILNS1_17partition_subalgoE6EfNS0_10empty_typeEbEEZZNS1_14partition_implILS5_6ELb0ES3_mN6thrust23THRUST_200600_302600_NS6detail15normal_iteratorINSA_10device_ptrIfEEEEPS6_SG_NS0_5tupleIJSF_S6_EEENSH_IJSG_SG_EEES6_PlJNSB_9not_fun_tINSB_14equal_to_valueIfEEEEEEE10hipError_tPvRmT3_T4_T5_T6_T7_T9_mT8_P12ihipStream_tbDpT10_ENKUlT_T0_E_clISt17integral_constantIbLb0EES18_EEDaS13_S14_EUlS13_E_NS1_11comp_targetILNS1_3genE4ELNS1_11target_archE910ELNS1_3gpuE8ELNS1_3repE0EEENS1_30default_config_static_selectorELNS0_4arch9wavefront6targetE0EEEvT1_.has_dyn_sized_stack, 0
	.set _ZN7rocprim17ROCPRIM_400000_NS6detail17trampoline_kernelINS0_14default_configENS1_25partition_config_selectorILNS1_17partition_subalgoE6EfNS0_10empty_typeEbEEZZNS1_14partition_implILS5_6ELb0ES3_mN6thrust23THRUST_200600_302600_NS6detail15normal_iteratorINSA_10device_ptrIfEEEEPS6_SG_NS0_5tupleIJSF_S6_EEENSH_IJSG_SG_EEES6_PlJNSB_9not_fun_tINSB_14equal_to_valueIfEEEEEEE10hipError_tPvRmT3_T4_T5_T6_T7_T9_mT8_P12ihipStream_tbDpT10_ENKUlT_T0_E_clISt17integral_constantIbLb0EES18_EEDaS13_S14_EUlS13_E_NS1_11comp_targetILNS1_3genE4ELNS1_11target_archE910ELNS1_3gpuE8ELNS1_3repE0EEENS1_30default_config_static_selectorELNS0_4arch9wavefront6targetE0EEEvT1_.has_recursion, 0
	.set _ZN7rocprim17ROCPRIM_400000_NS6detail17trampoline_kernelINS0_14default_configENS1_25partition_config_selectorILNS1_17partition_subalgoE6EfNS0_10empty_typeEbEEZZNS1_14partition_implILS5_6ELb0ES3_mN6thrust23THRUST_200600_302600_NS6detail15normal_iteratorINSA_10device_ptrIfEEEEPS6_SG_NS0_5tupleIJSF_S6_EEENSH_IJSG_SG_EEES6_PlJNSB_9not_fun_tINSB_14equal_to_valueIfEEEEEEE10hipError_tPvRmT3_T4_T5_T6_T7_T9_mT8_P12ihipStream_tbDpT10_ENKUlT_T0_E_clISt17integral_constantIbLb0EES18_EEDaS13_S14_EUlS13_E_NS1_11comp_targetILNS1_3genE4ELNS1_11target_archE910ELNS1_3gpuE8ELNS1_3repE0EEENS1_30default_config_static_selectorELNS0_4arch9wavefront6targetE0EEEvT1_.has_indirect_call, 0
	.section	.AMDGPU.csdata,"",@progbits
; Kernel info:
; codeLenInByte = 0
; TotalNumSgprs: 0
; NumVgprs: 0
; ScratchSize: 0
; MemoryBound: 0
; FloatMode: 240
; IeeeMode: 1
; LDSByteSize: 0 bytes/workgroup (compile time only)
; SGPRBlocks: 0
; VGPRBlocks: 0
; NumSGPRsForWavesPerEU: 1
; NumVGPRsForWavesPerEU: 1
; Occupancy: 16
; WaveLimiterHint : 0
; COMPUTE_PGM_RSRC2:SCRATCH_EN: 0
; COMPUTE_PGM_RSRC2:USER_SGPR: 2
; COMPUTE_PGM_RSRC2:TRAP_HANDLER: 0
; COMPUTE_PGM_RSRC2:TGID_X_EN: 1
; COMPUTE_PGM_RSRC2:TGID_Y_EN: 0
; COMPUTE_PGM_RSRC2:TGID_Z_EN: 0
; COMPUTE_PGM_RSRC2:TIDIG_COMP_CNT: 0
	.section	.text._ZN7rocprim17ROCPRIM_400000_NS6detail17trampoline_kernelINS0_14default_configENS1_25partition_config_selectorILNS1_17partition_subalgoE6EfNS0_10empty_typeEbEEZZNS1_14partition_implILS5_6ELb0ES3_mN6thrust23THRUST_200600_302600_NS6detail15normal_iteratorINSA_10device_ptrIfEEEEPS6_SG_NS0_5tupleIJSF_S6_EEENSH_IJSG_SG_EEES6_PlJNSB_9not_fun_tINSB_14equal_to_valueIfEEEEEEE10hipError_tPvRmT3_T4_T5_T6_T7_T9_mT8_P12ihipStream_tbDpT10_ENKUlT_T0_E_clISt17integral_constantIbLb0EES18_EEDaS13_S14_EUlS13_E_NS1_11comp_targetILNS1_3genE3ELNS1_11target_archE908ELNS1_3gpuE7ELNS1_3repE0EEENS1_30default_config_static_selectorELNS0_4arch9wavefront6targetE0EEEvT1_,"axG",@progbits,_ZN7rocprim17ROCPRIM_400000_NS6detail17trampoline_kernelINS0_14default_configENS1_25partition_config_selectorILNS1_17partition_subalgoE6EfNS0_10empty_typeEbEEZZNS1_14partition_implILS5_6ELb0ES3_mN6thrust23THRUST_200600_302600_NS6detail15normal_iteratorINSA_10device_ptrIfEEEEPS6_SG_NS0_5tupleIJSF_S6_EEENSH_IJSG_SG_EEES6_PlJNSB_9not_fun_tINSB_14equal_to_valueIfEEEEEEE10hipError_tPvRmT3_T4_T5_T6_T7_T9_mT8_P12ihipStream_tbDpT10_ENKUlT_T0_E_clISt17integral_constantIbLb0EES18_EEDaS13_S14_EUlS13_E_NS1_11comp_targetILNS1_3genE3ELNS1_11target_archE908ELNS1_3gpuE7ELNS1_3repE0EEENS1_30default_config_static_selectorELNS0_4arch9wavefront6targetE0EEEvT1_,comdat
	.protected	_ZN7rocprim17ROCPRIM_400000_NS6detail17trampoline_kernelINS0_14default_configENS1_25partition_config_selectorILNS1_17partition_subalgoE6EfNS0_10empty_typeEbEEZZNS1_14partition_implILS5_6ELb0ES3_mN6thrust23THRUST_200600_302600_NS6detail15normal_iteratorINSA_10device_ptrIfEEEEPS6_SG_NS0_5tupleIJSF_S6_EEENSH_IJSG_SG_EEES6_PlJNSB_9not_fun_tINSB_14equal_to_valueIfEEEEEEE10hipError_tPvRmT3_T4_T5_T6_T7_T9_mT8_P12ihipStream_tbDpT10_ENKUlT_T0_E_clISt17integral_constantIbLb0EES18_EEDaS13_S14_EUlS13_E_NS1_11comp_targetILNS1_3genE3ELNS1_11target_archE908ELNS1_3gpuE7ELNS1_3repE0EEENS1_30default_config_static_selectorELNS0_4arch9wavefront6targetE0EEEvT1_ ; -- Begin function _ZN7rocprim17ROCPRIM_400000_NS6detail17trampoline_kernelINS0_14default_configENS1_25partition_config_selectorILNS1_17partition_subalgoE6EfNS0_10empty_typeEbEEZZNS1_14partition_implILS5_6ELb0ES3_mN6thrust23THRUST_200600_302600_NS6detail15normal_iteratorINSA_10device_ptrIfEEEEPS6_SG_NS0_5tupleIJSF_S6_EEENSH_IJSG_SG_EEES6_PlJNSB_9not_fun_tINSB_14equal_to_valueIfEEEEEEE10hipError_tPvRmT3_T4_T5_T6_T7_T9_mT8_P12ihipStream_tbDpT10_ENKUlT_T0_E_clISt17integral_constantIbLb0EES18_EEDaS13_S14_EUlS13_E_NS1_11comp_targetILNS1_3genE3ELNS1_11target_archE908ELNS1_3gpuE7ELNS1_3repE0EEENS1_30default_config_static_selectorELNS0_4arch9wavefront6targetE0EEEvT1_
	.globl	_ZN7rocprim17ROCPRIM_400000_NS6detail17trampoline_kernelINS0_14default_configENS1_25partition_config_selectorILNS1_17partition_subalgoE6EfNS0_10empty_typeEbEEZZNS1_14partition_implILS5_6ELb0ES3_mN6thrust23THRUST_200600_302600_NS6detail15normal_iteratorINSA_10device_ptrIfEEEEPS6_SG_NS0_5tupleIJSF_S6_EEENSH_IJSG_SG_EEES6_PlJNSB_9not_fun_tINSB_14equal_to_valueIfEEEEEEE10hipError_tPvRmT3_T4_T5_T6_T7_T9_mT8_P12ihipStream_tbDpT10_ENKUlT_T0_E_clISt17integral_constantIbLb0EES18_EEDaS13_S14_EUlS13_E_NS1_11comp_targetILNS1_3genE3ELNS1_11target_archE908ELNS1_3gpuE7ELNS1_3repE0EEENS1_30default_config_static_selectorELNS0_4arch9wavefront6targetE0EEEvT1_
	.p2align	8
	.type	_ZN7rocprim17ROCPRIM_400000_NS6detail17trampoline_kernelINS0_14default_configENS1_25partition_config_selectorILNS1_17partition_subalgoE6EfNS0_10empty_typeEbEEZZNS1_14partition_implILS5_6ELb0ES3_mN6thrust23THRUST_200600_302600_NS6detail15normal_iteratorINSA_10device_ptrIfEEEEPS6_SG_NS0_5tupleIJSF_S6_EEENSH_IJSG_SG_EEES6_PlJNSB_9not_fun_tINSB_14equal_to_valueIfEEEEEEE10hipError_tPvRmT3_T4_T5_T6_T7_T9_mT8_P12ihipStream_tbDpT10_ENKUlT_T0_E_clISt17integral_constantIbLb0EES18_EEDaS13_S14_EUlS13_E_NS1_11comp_targetILNS1_3genE3ELNS1_11target_archE908ELNS1_3gpuE7ELNS1_3repE0EEENS1_30default_config_static_selectorELNS0_4arch9wavefront6targetE0EEEvT1_,@function
_ZN7rocprim17ROCPRIM_400000_NS6detail17trampoline_kernelINS0_14default_configENS1_25partition_config_selectorILNS1_17partition_subalgoE6EfNS0_10empty_typeEbEEZZNS1_14partition_implILS5_6ELb0ES3_mN6thrust23THRUST_200600_302600_NS6detail15normal_iteratorINSA_10device_ptrIfEEEEPS6_SG_NS0_5tupleIJSF_S6_EEENSH_IJSG_SG_EEES6_PlJNSB_9not_fun_tINSB_14equal_to_valueIfEEEEEEE10hipError_tPvRmT3_T4_T5_T6_T7_T9_mT8_P12ihipStream_tbDpT10_ENKUlT_T0_E_clISt17integral_constantIbLb0EES18_EEDaS13_S14_EUlS13_E_NS1_11comp_targetILNS1_3genE3ELNS1_11target_archE908ELNS1_3gpuE7ELNS1_3repE0EEENS1_30default_config_static_selectorELNS0_4arch9wavefront6targetE0EEEvT1_: ; @_ZN7rocprim17ROCPRIM_400000_NS6detail17trampoline_kernelINS0_14default_configENS1_25partition_config_selectorILNS1_17partition_subalgoE6EfNS0_10empty_typeEbEEZZNS1_14partition_implILS5_6ELb0ES3_mN6thrust23THRUST_200600_302600_NS6detail15normal_iteratorINSA_10device_ptrIfEEEEPS6_SG_NS0_5tupleIJSF_S6_EEENSH_IJSG_SG_EEES6_PlJNSB_9not_fun_tINSB_14equal_to_valueIfEEEEEEE10hipError_tPvRmT3_T4_T5_T6_T7_T9_mT8_P12ihipStream_tbDpT10_ENKUlT_T0_E_clISt17integral_constantIbLb0EES18_EEDaS13_S14_EUlS13_E_NS1_11comp_targetILNS1_3genE3ELNS1_11target_archE908ELNS1_3gpuE7ELNS1_3repE0EEENS1_30default_config_static_selectorELNS0_4arch9wavefront6targetE0EEEvT1_
; %bb.0:
	.section	.rodata,"a",@progbits
	.p2align	6, 0x0
	.amdhsa_kernel _ZN7rocprim17ROCPRIM_400000_NS6detail17trampoline_kernelINS0_14default_configENS1_25partition_config_selectorILNS1_17partition_subalgoE6EfNS0_10empty_typeEbEEZZNS1_14partition_implILS5_6ELb0ES3_mN6thrust23THRUST_200600_302600_NS6detail15normal_iteratorINSA_10device_ptrIfEEEEPS6_SG_NS0_5tupleIJSF_S6_EEENSH_IJSG_SG_EEES6_PlJNSB_9not_fun_tINSB_14equal_to_valueIfEEEEEEE10hipError_tPvRmT3_T4_T5_T6_T7_T9_mT8_P12ihipStream_tbDpT10_ENKUlT_T0_E_clISt17integral_constantIbLb0EES18_EEDaS13_S14_EUlS13_E_NS1_11comp_targetILNS1_3genE3ELNS1_11target_archE908ELNS1_3gpuE7ELNS1_3repE0EEENS1_30default_config_static_selectorELNS0_4arch9wavefront6targetE0EEEvT1_
		.amdhsa_group_segment_fixed_size 0
		.amdhsa_private_segment_fixed_size 0
		.amdhsa_kernarg_size 120
		.amdhsa_user_sgpr_count 2
		.amdhsa_user_sgpr_dispatch_ptr 0
		.amdhsa_user_sgpr_queue_ptr 0
		.amdhsa_user_sgpr_kernarg_segment_ptr 1
		.amdhsa_user_sgpr_dispatch_id 0
		.amdhsa_user_sgpr_private_segment_size 0
		.amdhsa_wavefront_size32 1
		.amdhsa_uses_dynamic_stack 0
		.amdhsa_enable_private_segment 0
		.amdhsa_system_sgpr_workgroup_id_x 1
		.amdhsa_system_sgpr_workgroup_id_y 0
		.amdhsa_system_sgpr_workgroup_id_z 0
		.amdhsa_system_sgpr_workgroup_info 0
		.amdhsa_system_vgpr_workitem_id 0
		.amdhsa_next_free_vgpr 1
		.amdhsa_next_free_sgpr 1
		.amdhsa_reserve_vcc 0
		.amdhsa_float_round_mode_32 0
		.amdhsa_float_round_mode_16_64 0
		.amdhsa_float_denorm_mode_32 3
		.amdhsa_float_denorm_mode_16_64 3
		.amdhsa_fp16_overflow 0
		.amdhsa_workgroup_processor_mode 1
		.amdhsa_memory_ordered 1
		.amdhsa_forward_progress 1
		.amdhsa_inst_pref_size 0
		.amdhsa_round_robin_scheduling 0
		.amdhsa_exception_fp_ieee_invalid_op 0
		.amdhsa_exception_fp_denorm_src 0
		.amdhsa_exception_fp_ieee_div_zero 0
		.amdhsa_exception_fp_ieee_overflow 0
		.amdhsa_exception_fp_ieee_underflow 0
		.amdhsa_exception_fp_ieee_inexact 0
		.amdhsa_exception_int_div_zero 0
	.end_amdhsa_kernel
	.section	.text._ZN7rocprim17ROCPRIM_400000_NS6detail17trampoline_kernelINS0_14default_configENS1_25partition_config_selectorILNS1_17partition_subalgoE6EfNS0_10empty_typeEbEEZZNS1_14partition_implILS5_6ELb0ES3_mN6thrust23THRUST_200600_302600_NS6detail15normal_iteratorINSA_10device_ptrIfEEEEPS6_SG_NS0_5tupleIJSF_S6_EEENSH_IJSG_SG_EEES6_PlJNSB_9not_fun_tINSB_14equal_to_valueIfEEEEEEE10hipError_tPvRmT3_T4_T5_T6_T7_T9_mT8_P12ihipStream_tbDpT10_ENKUlT_T0_E_clISt17integral_constantIbLb0EES18_EEDaS13_S14_EUlS13_E_NS1_11comp_targetILNS1_3genE3ELNS1_11target_archE908ELNS1_3gpuE7ELNS1_3repE0EEENS1_30default_config_static_selectorELNS0_4arch9wavefront6targetE0EEEvT1_,"axG",@progbits,_ZN7rocprim17ROCPRIM_400000_NS6detail17trampoline_kernelINS0_14default_configENS1_25partition_config_selectorILNS1_17partition_subalgoE6EfNS0_10empty_typeEbEEZZNS1_14partition_implILS5_6ELb0ES3_mN6thrust23THRUST_200600_302600_NS6detail15normal_iteratorINSA_10device_ptrIfEEEEPS6_SG_NS0_5tupleIJSF_S6_EEENSH_IJSG_SG_EEES6_PlJNSB_9not_fun_tINSB_14equal_to_valueIfEEEEEEE10hipError_tPvRmT3_T4_T5_T6_T7_T9_mT8_P12ihipStream_tbDpT10_ENKUlT_T0_E_clISt17integral_constantIbLb0EES18_EEDaS13_S14_EUlS13_E_NS1_11comp_targetILNS1_3genE3ELNS1_11target_archE908ELNS1_3gpuE7ELNS1_3repE0EEENS1_30default_config_static_selectorELNS0_4arch9wavefront6targetE0EEEvT1_,comdat
.Lfunc_end312:
	.size	_ZN7rocprim17ROCPRIM_400000_NS6detail17trampoline_kernelINS0_14default_configENS1_25partition_config_selectorILNS1_17partition_subalgoE6EfNS0_10empty_typeEbEEZZNS1_14partition_implILS5_6ELb0ES3_mN6thrust23THRUST_200600_302600_NS6detail15normal_iteratorINSA_10device_ptrIfEEEEPS6_SG_NS0_5tupleIJSF_S6_EEENSH_IJSG_SG_EEES6_PlJNSB_9not_fun_tINSB_14equal_to_valueIfEEEEEEE10hipError_tPvRmT3_T4_T5_T6_T7_T9_mT8_P12ihipStream_tbDpT10_ENKUlT_T0_E_clISt17integral_constantIbLb0EES18_EEDaS13_S14_EUlS13_E_NS1_11comp_targetILNS1_3genE3ELNS1_11target_archE908ELNS1_3gpuE7ELNS1_3repE0EEENS1_30default_config_static_selectorELNS0_4arch9wavefront6targetE0EEEvT1_, .Lfunc_end312-_ZN7rocprim17ROCPRIM_400000_NS6detail17trampoline_kernelINS0_14default_configENS1_25partition_config_selectorILNS1_17partition_subalgoE6EfNS0_10empty_typeEbEEZZNS1_14partition_implILS5_6ELb0ES3_mN6thrust23THRUST_200600_302600_NS6detail15normal_iteratorINSA_10device_ptrIfEEEEPS6_SG_NS0_5tupleIJSF_S6_EEENSH_IJSG_SG_EEES6_PlJNSB_9not_fun_tINSB_14equal_to_valueIfEEEEEEE10hipError_tPvRmT3_T4_T5_T6_T7_T9_mT8_P12ihipStream_tbDpT10_ENKUlT_T0_E_clISt17integral_constantIbLb0EES18_EEDaS13_S14_EUlS13_E_NS1_11comp_targetILNS1_3genE3ELNS1_11target_archE908ELNS1_3gpuE7ELNS1_3repE0EEENS1_30default_config_static_selectorELNS0_4arch9wavefront6targetE0EEEvT1_
                                        ; -- End function
	.set _ZN7rocprim17ROCPRIM_400000_NS6detail17trampoline_kernelINS0_14default_configENS1_25partition_config_selectorILNS1_17partition_subalgoE6EfNS0_10empty_typeEbEEZZNS1_14partition_implILS5_6ELb0ES3_mN6thrust23THRUST_200600_302600_NS6detail15normal_iteratorINSA_10device_ptrIfEEEEPS6_SG_NS0_5tupleIJSF_S6_EEENSH_IJSG_SG_EEES6_PlJNSB_9not_fun_tINSB_14equal_to_valueIfEEEEEEE10hipError_tPvRmT3_T4_T5_T6_T7_T9_mT8_P12ihipStream_tbDpT10_ENKUlT_T0_E_clISt17integral_constantIbLb0EES18_EEDaS13_S14_EUlS13_E_NS1_11comp_targetILNS1_3genE3ELNS1_11target_archE908ELNS1_3gpuE7ELNS1_3repE0EEENS1_30default_config_static_selectorELNS0_4arch9wavefront6targetE0EEEvT1_.num_vgpr, 0
	.set _ZN7rocprim17ROCPRIM_400000_NS6detail17trampoline_kernelINS0_14default_configENS1_25partition_config_selectorILNS1_17partition_subalgoE6EfNS0_10empty_typeEbEEZZNS1_14partition_implILS5_6ELb0ES3_mN6thrust23THRUST_200600_302600_NS6detail15normal_iteratorINSA_10device_ptrIfEEEEPS6_SG_NS0_5tupleIJSF_S6_EEENSH_IJSG_SG_EEES6_PlJNSB_9not_fun_tINSB_14equal_to_valueIfEEEEEEE10hipError_tPvRmT3_T4_T5_T6_T7_T9_mT8_P12ihipStream_tbDpT10_ENKUlT_T0_E_clISt17integral_constantIbLb0EES18_EEDaS13_S14_EUlS13_E_NS1_11comp_targetILNS1_3genE3ELNS1_11target_archE908ELNS1_3gpuE7ELNS1_3repE0EEENS1_30default_config_static_selectorELNS0_4arch9wavefront6targetE0EEEvT1_.num_agpr, 0
	.set _ZN7rocprim17ROCPRIM_400000_NS6detail17trampoline_kernelINS0_14default_configENS1_25partition_config_selectorILNS1_17partition_subalgoE6EfNS0_10empty_typeEbEEZZNS1_14partition_implILS5_6ELb0ES3_mN6thrust23THRUST_200600_302600_NS6detail15normal_iteratorINSA_10device_ptrIfEEEEPS6_SG_NS0_5tupleIJSF_S6_EEENSH_IJSG_SG_EEES6_PlJNSB_9not_fun_tINSB_14equal_to_valueIfEEEEEEE10hipError_tPvRmT3_T4_T5_T6_T7_T9_mT8_P12ihipStream_tbDpT10_ENKUlT_T0_E_clISt17integral_constantIbLb0EES18_EEDaS13_S14_EUlS13_E_NS1_11comp_targetILNS1_3genE3ELNS1_11target_archE908ELNS1_3gpuE7ELNS1_3repE0EEENS1_30default_config_static_selectorELNS0_4arch9wavefront6targetE0EEEvT1_.numbered_sgpr, 0
	.set _ZN7rocprim17ROCPRIM_400000_NS6detail17trampoline_kernelINS0_14default_configENS1_25partition_config_selectorILNS1_17partition_subalgoE6EfNS0_10empty_typeEbEEZZNS1_14partition_implILS5_6ELb0ES3_mN6thrust23THRUST_200600_302600_NS6detail15normal_iteratorINSA_10device_ptrIfEEEEPS6_SG_NS0_5tupleIJSF_S6_EEENSH_IJSG_SG_EEES6_PlJNSB_9not_fun_tINSB_14equal_to_valueIfEEEEEEE10hipError_tPvRmT3_T4_T5_T6_T7_T9_mT8_P12ihipStream_tbDpT10_ENKUlT_T0_E_clISt17integral_constantIbLb0EES18_EEDaS13_S14_EUlS13_E_NS1_11comp_targetILNS1_3genE3ELNS1_11target_archE908ELNS1_3gpuE7ELNS1_3repE0EEENS1_30default_config_static_selectorELNS0_4arch9wavefront6targetE0EEEvT1_.num_named_barrier, 0
	.set _ZN7rocprim17ROCPRIM_400000_NS6detail17trampoline_kernelINS0_14default_configENS1_25partition_config_selectorILNS1_17partition_subalgoE6EfNS0_10empty_typeEbEEZZNS1_14partition_implILS5_6ELb0ES3_mN6thrust23THRUST_200600_302600_NS6detail15normal_iteratorINSA_10device_ptrIfEEEEPS6_SG_NS0_5tupleIJSF_S6_EEENSH_IJSG_SG_EEES6_PlJNSB_9not_fun_tINSB_14equal_to_valueIfEEEEEEE10hipError_tPvRmT3_T4_T5_T6_T7_T9_mT8_P12ihipStream_tbDpT10_ENKUlT_T0_E_clISt17integral_constantIbLb0EES18_EEDaS13_S14_EUlS13_E_NS1_11comp_targetILNS1_3genE3ELNS1_11target_archE908ELNS1_3gpuE7ELNS1_3repE0EEENS1_30default_config_static_selectorELNS0_4arch9wavefront6targetE0EEEvT1_.private_seg_size, 0
	.set _ZN7rocprim17ROCPRIM_400000_NS6detail17trampoline_kernelINS0_14default_configENS1_25partition_config_selectorILNS1_17partition_subalgoE6EfNS0_10empty_typeEbEEZZNS1_14partition_implILS5_6ELb0ES3_mN6thrust23THRUST_200600_302600_NS6detail15normal_iteratorINSA_10device_ptrIfEEEEPS6_SG_NS0_5tupleIJSF_S6_EEENSH_IJSG_SG_EEES6_PlJNSB_9not_fun_tINSB_14equal_to_valueIfEEEEEEE10hipError_tPvRmT3_T4_T5_T6_T7_T9_mT8_P12ihipStream_tbDpT10_ENKUlT_T0_E_clISt17integral_constantIbLb0EES18_EEDaS13_S14_EUlS13_E_NS1_11comp_targetILNS1_3genE3ELNS1_11target_archE908ELNS1_3gpuE7ELNS1_3repE0EEENS1_30default_config_static_selectorELNS0_4arch9wavefront6targetE0EEEvT1_.uses_vcc, 0
	.set _ZN7rocprim17ROCPRIM_400000_NS6detail17trampoline_kernelINS0_14default_configENS1_25partition_config_selectorILNS1_17partition_subalgoE6EfNS0_10empty_typeEbEEZZNS1_14partition_implILS5_6ELb0ES3_mN6thrust23THRUST_200600_302600_NS6detail15normal_iteratorINSA_10device_ptrIfEEEEPS6_SG_NS0_5tupleIJSF_S6_EEENSH_IJSG_SG_EEES6_PlJNSB_9not_fun_tINSB_14equal_to_valueIfEEEEEEE10hipError_tPvRmT3_T4_T5_T6_T7_T9_mT8_P12ihipStream_tbDpT10_ENKUlT_T0_E_clISt17integral_constantIbLb0EES18_EEDaS13_S14_EUlS13_E_NS1_11comp_targetILNS1_3genE3ELNS1_11target_archE908ELNS1_3gpuE7ELNS1_3repE0EEENS1_30default_config_static_selectorELNS0_4arch9wavefront6targetE0EEEvT1_.uses_flat_scratch, 0
	.set _ZN7rocprim17ROCPRIM_400000_NS6detail17trampoline_kernelINS0_14default_configENS1_25partition_config_selectorILNS1_17partition_subalgoE6EfNS0_10empty_typeEbEEZZNS1_14partition_implILS5_6ELb0ES3_mN6thrust23THRUST_200600_302600_NS6detail15normal_iteratorINSA_10device_ptrIfEEEEPS6_SG_NS0_5tupleIJSF_S6_EEENSH_IJSG_SG_EEES6_PlJNSB_9not_fun_tINSB_14equal_to_valueIfEEEEEEE10hipError_tPvRmT3_T4_T5_T6_T7_T9_mT8_P12ihipStream_tbDpT10_ENKUlT_T0_E_clISt17integral_constantIbLb0EES18_EEDaS13_S14_EUlS13_E_NS1_11comp_targetILNS1_3genE3ELNS1_11target_archE908ELNS1_3gpuE7ELNS1_3repE0EEENS1_30default_config_static_selectorELNS0_4arch9wavefront6targetE0EEEvT1_.has_dyn_sized_stack, 0
	.set _ZN7rocprim17ROCPRIM_400000_NS6detail17trampoline_kernelINS0_14default_configENS1_25partition_config_selectorILNS1_17partition_subalgoE6EfNS0_10empty_typeEbEEZZNS1_14partition_implILS5_6ELb0ES3_mN6thrust23THRUST_200600_302600_NS6detail15normal_iteratorINSA_10device_ptrIfEEEEPS6_SG_NS0_5tupleIJSF_S6_EEENSH_IJSG_SG_EEES6_PlJNSB_9not_fun_tINSB_14equal_to_valueIfEEEEEEE10hipError_tPvRmT3_T4_T5_T6_T7_T9_mT8_P12ihipStream_tbDpT10_ENKUlT_T0_E_clISt17integral_constantIbLb0EES18_EEDaS13_S14_EUlS13_E_NS1_11comp_targetILNS1_3genE3ELNS1_11target_archE908ELNS1_3gpuE7ELNS1_3repE0EEENS1_30default_config_static_selectorELNS0_4arch9wavefront6targetE0EEEvT1_.has_recursion, 0
	.set _ZN7rocprim17ROCPRIM_400000_NS6detail17trampoline_kernelINS0_14default_configENS1_25partition_config_selectorILNS1_17partition_subalgoE6EfNS0_10empty_typeEbEEZZNS1_14partition_implILS5_6ELb0ES3_mN6thrust23THRUST_200600_302600_NS6detail15normal_iteratorINSA_10device_ptrIfEEEEPS6_SG_NS0_5tupleIJSF_S6_EEENSH_IJSG_SG_EEES6_PlJNSB_9not_fun_tINSB_14equal_to_valueIfEEEEEEE10hipError_tPvRmT3_T4_T5_T6_T7_T9_mT8_P12ihipStream_tbDpT10_ENKUlT_T0_E_clISt17integral_constantIbLb0EES18_EEDaS13_S14_EUlS13_E_NS1_11comp_targetILNS1_3genE3ELNS1_11target_archE908ELNS1_3gpuE7ELNS1_3repE0EEENS1_30default_config_static_selectorELNS0_4arch9wavefront6targetE0EEEvT1_.has_indirect_call, 0
	.section	.AMDGPU.csdata,"",@progbits
; Kernel info:
; codeLenInByte = 0
; TotalNumSgprs: 0
; NumVgprs: 0
; ScratchSize: 0
; MemoryBound: 0
; FloatMode: 240
; IeeeMode: 1
; LDSByteSize: 0 bytes/workgroup (compile time only)
; SGPRBlocks: 0
; VGPRBlocks: 0
; NumSGPRsForWavesPerEU: 1
; NumVGPRsForWavesPerEU: 1
; Occupancy: 16
; WaveLimiterHint : 0
; COMPUTE_PGM_RSRC2:SCRATCH_EN: 0
; COMPUTE_PGM_RSRC2:USER_SGPR: 2
; COMPUTE_PGM_RSRC2:TRAP_HANDLER: 0
; COMPUTE_PGM_RSRC2:TGID_X_EN: 1
; COMPUTE_PGM_RSRC2:TGID_Y_EN: 0
; COMPUTE_PGM_RSRC2:TGID_Z_EN: 0
; COMPUTE_PGM_RSRC2:TIDIG_COMP_CNT: 0
	.section	.text._ZN7rocprim17ROCPRIM_400000_NS6detail17trampoline_kernelINS0_14default_configENS1_25partition_config_selectorILNS1_17partition_subalgoE6EfNS0_10empty_typeEbEEZZNS1_14partition_implILS5_6ELb0ES3_mN6thrust23THRUST_200600_302600_NS6detail15normal_iteratorINSA_10device_ptrIfEEEEPS6_SG_NS0_5tupleIJSF_S6_EEENSH_IJSG_SG_EEES6_PlJNSB_9not_fun_tINSB_14equal_to_valueIfEEEEEEE10hipError_tPvRmT3_T4_T5_T6_T7_T9_mT8_P12ihipStream_tbDpT10_ENKUlT_T0_E_clISt17integral_constantIbLb0EES18_EEDaS13_S14_EUlS13_E_NS1_11comp_targetILNS1_3genE2ELNS1_11target_archE906ELNS1_3gpuE6ELNS1_3repE0EEENS1_30default_config_static_selectorELNS0_4arch9wavefront6targetE0EEEvT1_,"axG",@progbits,_ZN7rocprim17ROCPRIM_400000_NS6detail17trampoline_kernelINS0_14default_configENS1_25partition_config_selectorILNS1_17partition_subalgoE6EfNS0_10empty_typeEbEEZZNS1_14partition_implILS5_6ELb0ES3_mN6thrust23THRUST_200600_302600_NS6detail15normal_iteratorINSA_10device_ptrIfEEEEPS6_SG_NS0_5tupleIJSF_S6_EEENSH_IJSG_SG_EEES6_PlJNSB_9not_fun_tINSB_14equal_to_valueIfEEEEEEE10hipError_tPvRmT3_T4_T5_T6_T7_T9_mT8_P12ihipStream_tbDpT10_ENKUlT_T0_E_clISt17integral_constantIbLb0EES18_EEDaS13_S14_EUlS13_E_NS1_11comp_targetILNS1_3genE2ELNS1_11target_archE906ELNS1_3gpuE6ELNS1_3repE0EEENS1_30default_config_static_selectorELNS0_4arch9wavefront6targetE0EEEvT1_,comdat
	.protected	_ZN7rocprim17ROCPRIM_400000_NS6detail17trampoline_kernelINS0_14default_configENS1_25partition_config_selectorILNS1_17partition_subalgoE6EfNS0_10empty_typeEbEEZZNS1_14partition_implILS5_6ELb0ES3_mN6thrust23THRUST_200600_302600_NS6detail15normal_iteratorINSA_10device_ptrIfEEEEPS6_SG_NS0_5tupleIJSF_S6_EEENSH_IJSG_SG_EEES6_PlJNSB_9not_fun_tINSB_14equal_to_valueIfEEEEEEE10hipError_tPvRmT3_T4_T5_T6_T7_T9_mT8_P12ihipStream_tbDpT10_ENKUlT_T0_E_clISt17integral_constantIbLb0EES18_EEDaS13_S14_EUlS13_E_NS1_11comp_targetILNS1_3genE2ELNS1_11target_archE906ELNS1_3gpuE6ELNS1_3repE0EEENS1_30default_config_static_selectorELNS0_4arch9wavefront6targetE0EEEvT1_ ; -- Begin function _ZN7rocprim17ROCPRIM_400000_NS6detail17trampoline_kernelINS0_14default_configENS1_25partition_config_selectorILNS1_17partition_subalgoE6EfNS0_10empty_typeEbEEZZNS1_14partition_implILS5_6ELb0ES3_mN6thrust23THRUST_200600_302600_NS6detail15normal_iteratorINSA_10device_ptrIfEEEEPS6_SG_NS0_5tupleIJSF_S6_EEENSH_IJSG_SG_EEES6_PlJNSB_9not_fun_tINSB_14equal_to_valueIfEEEEEEE10hipError_tPvRmT3_T4_T5_T6_T7_T9_mT8_P12ihipStream_tbDpT10_ENKUlT_T0_E_clISt17integral_constantIbLb0EES18_EEDaS13_S14_EUlS13_E_NS1_11comp_targetILNS1_3genE2ELNS1_11target_archE906ELNS1_3gpuE6ELNS1_3repE0EEENS1_30default_config_static_selectorELNS0_4arch9wavefront6targetE0EEEvT1_
	.globl	_ZN7rocprim17ROCPRIM_400000_NS6detail17trampoline_kernelINS0_14default_configENS1_25partition_config_selectorILNS1_17partition_subalgoE6EfNS0_10empty_typeEbEEZZNS1_14partition_implILS5_6ELb0ES3_mN6thrust23THRUST_200600_302600_NS6detail15normal_iteratorINSA_10device_ptrIfEEEEPS6_SG_NS0_5tupleIJSF_S6_EEENSH_IJSG_SG_EEES6_PlJNSB_9not_fun_tINSB_14equal_to_valueIfEEEEEEE10hipError_tPvRmT3_T4_T5_T6_T7_T9_mT8_P12ihipStream_tbDpT10_ENKUlT_T0_E_clISt17integral_constantIbLb0EES18_EEDaS13_S14_EUlS13_E_NS1_11comp_targetILNS1_3genE2ELNS1_11target_archE906ELNS1_3gpuE6ELNS1_3repE0EEENS1_30default_config_static_selectorELNS0_4arch9wavefront6targetE0EEEvT1_
	.p2align	8
	.type	_ZN7rocprim17ROCPRIM_400000_NS6detail17trampoline_kernelINS0_14default_configENS1_25partition_config_selectorILNS1_17partition_subalgoE6EfNS0_10empty_typeEbEEZZNS1_14partition_implILS5_6ELb0ES3_mN6thrust23THRUST_200600_302600_NS6detail15normal_iteratorINSA_10device_ptrIfEEEEPS6_SG_NS0_5tupleIJSF_S6_EEENSH_IJSG_SG_EEES6_PlJNSB_9not_fun_tINSB_14equal_to_valueIfEEEEEEE10hipError_tPvRmT3_T4_T5_T6_T7_T9_mT8_P12ihipStream_tbDpT10_ENKUlT_T0_E_clISt17integral_constantIbLb0EES18_EEDaS13_S14_EUlS13_E_NS1_11comp_targetILNS1_3genE2ELNS1_11target_archE906ELNS1_3gpuE6ELNS1_3repE0EEENS1_30default_config_static_selectorELNS0_4arch9wavefront6targetE0EEEvT1_,@function
_ZN7rocprim17ROCPRIM_400000_NS6detail17trampoline_kernelINS0_14default_configENS1_25partition_config_selectorILNS1_17partition_subalgoE6EfNS0_10empty_typeEbEEZZNS1_14partition_implILS5_6ELb0ES3_mN6thrust23THRUST_200600_302600_NS6detail15normal_iteratorINSA_10device_ptrIfEEEEPS6_SG_NS0_5tupleIJSF_S6_EEENSH_IJSG_SG_EEES6_PlJNSB_9not_fun_tINSB_14equal_to_valueIfEEEEEEE10hipError_tPvRmT3_T4_T5_T6_T7_T9_mT8_P12ihipStream_tbDpT10_ENKUlT_T0_E_clISt17integral_constantIbLb0EES18_EEDaS13_S14_EUlS13_E_NS1_11comp_targetILNS1_3genE2ELNS1_11target_archE906ELNS1_3gpuE6ELNS1_3repE0EEENS1_30default_config_static_selectorELNS0_4arch9wavefront6targetE0EEEvT1_: ; @_ZN7rocprim17ROCPRIM_400000_NS6detail17trampoline_kernelINS0_14default_configENS1_25partition_config_selectorILNS1_17partition_subalgoE6EfNS0_10empty_typeEbEEZZNS1_14partition_implILS5_6ELb0ES3_mN6thrust23THRUST_200600_302600_NS6detail15normal_iteratorINSA_10device_ptrIfEEEEPS6_SG_NS0_5tupleIJSF_S6_EEENSH_IJSG_SG_EEES6_PlJNSB_9not_fun_tINSB_14equal_to_valueIfEEEEEEE10hipError_tPvRmT3_T4_T5_T6_T7_T9_mT8_P12ihipStream_tbDpT10_ENKUlT_T0_E_clISt17integral_constantIbLb0EES18_EEDaS13_S14_EUlS13_E_NS1_11comp_targetILNS1_3genE2ELNS1_11target_archE906ELNS1_3gpuE6ELNS1_3repE0EEENS1_30default_config_static_selectorELNS0_4arch9wavefront6targetE0EEEvT1_
; %bb.0:
	.section	.rodata,"a",@progbits
	.p2align	6, 0x0
	.amdhsa_kernel _ZN7rocprim17ROCPRIM_400000_NS6detail17trampoline_kernelINS0_14default_configENS1_25partition_config_selectorILNS1_17partition_subalgoE6EfNS0_10empty_typeEbEEZZNS1_14partition_implILS5_6ELb0ES3_mN6thrust23THRUST_200600_302600_NS6detail15normal_iteratorINSA_10device_ptrIfEEEEPS6_SG_NS0_5tupleIJSF_S6_EEENSH_IJSG_SG_EEES6_PlJNSB_9not_fun_tINSB_14equal_to_valueIfEEEEEEE10hipError_tPvRmT3_T4_T5_T6_T7_T9_mT8_P12ihipStream_tbDpT10_ENKUlT_T0_E_clISt17integral_constantIbLb0EES18_EEDaS13_S14_EUlS13_E_NS1_11comp_targetILNS1_3genE2ELNS1_11target_archE906ELNS1_3gpuE6ELNS1_3repE0EEENS1_30default_config_static_selectorELNS0_4arch9wavefront6targetE0EEEvT1_
		.amdhsa_group_segment_fixed_size 0
		.amdhsa_private_segment_fixed_size 0
		.amdhsa_kernarg_size 120
		.amdhsa_user_sgpr_count 2
		.amdhsa_user_sgpr_dispatch_ptr 0
		.amdhsa_user_sgpr_queue_ptr 0
		.amdhsa_user_sgpr_kernarg_segment_ptr 1
		.amdhsa_user_sgpr_dispatch_id 0
		.amdhsa_user_sgpr_private_segment_size 0
		.amdhsa_wavefront_size32 1
		.amdhsa_uses_dynamic_stack 0
		.amdhsa_enable_private_segment 0
		.amdhsa_system_sgpr_workgroup_id_x 1
		.amdhsa_system_sgpr_workgroup_id_y 0
		.amdhsa_system_sgpr_workgroup_id_z 0
		.amdhsa_system_sgpr_workgroup_info 0
		.amdhsa_system_vgpr_workitem_id 0
		.amdhsa_next_free_vgpr 1
		.amdhsa_next_free_sgpr 1
		.amdhsa_reserve_vcc 0
		.amdhsa_float_round_mode_32 0
		.amdhsa_float_round_mode_16_64 0
		.amdhsa_float_denorm_mode_32 3
		.amdhsa_float_denorm_mode_16_64 3
		.amdhsa_fp16_overflow 0
		.amdhsa_workgroup_processor_mode 1
		.amdhsa_memory_ordered 1
		.amdhsa_forward_progress 1
		.amdhsa_inst_pref_size 0
		.amdhsa_round_robin_scheduling 0
		.amdhsa_exception_fp_ieee_invalid_op 0
		.amdhsa_exception_fp_denorm_src 0
		.amdhsa_exception_fp_ieee_div_zero 0
		.amdhsa_exception_fp_ieee_overflow 0
		.amdhsa_exception_fp_ieee_underflow 0
		.amdhsa_exception_fp_ieee_inexact 0
		.amdhsa_exception_int_div_zero 0
	.end_amdhsa_kernel
	.section	.text._ZN7rocprim17ROCPRIM_400000_NS6detail17trampoline_kernelINS0_14default_configENS1_25partition_config_selectorILNS1_17partition_subalgoE6EfNS0_10empty_typeEbEEZZNS1_14partition_implILS5_6ELb0ES3_mN6thrust23THRUST_200600_302600_NS6detail15normal_iteratorINSA_10device_ptrIfEEEEPS6_SG_NS0_5tupleIJSF_S6_EEENSH_IJSG_SG_EEES6_PlJNSB_9not_fun_tINSB_14equal_to_valueIfEEEEEEE10hipError_tPvRmT3_T4_T5_T6_T7_T9_mT8_P12ihipStream_tbDpT10_ENKUlT_T0_E_clISt17integral_constantIbLb0EES18_EEDaS13_S14_EUlS13_E_NS1_11comp_targetILNS1_3genE2ELNS1_11target_archE906ELNS1_3gpuE6ELNS1_3repE0EEENS1_30default_config_static_selectorELNS0_4arch9wavefront6targetE0EEEvT1_,"axG",@progbits,_ZN7rocprim17ROCPRIM_400000_NS6detail17trampoline_kernelINS0_14default_configENS1_25partition_config_selectorILNS1_17partition_subalgoE6EfNS0_10empty_typeEbEEZZNS1_14partition_implILS5_6ELb0ES3_mN6thrust23THRUST_200600_302600_NS6detail15normal_iteratorINSA_10device_ptrIfEEEEPS6_SG_NS0_5tupleIJSF_S6_EEENSH_IJSG_SG_EEES6_PlJNSB_9not_fun_tINSB_14equal_to_valueIfEEEEEEE10hipError_tPvRmT3_T4_T5_T6_T7_T9_mT8_P12ihipStream_tbDpT10_ENKUlT_T0_E_clISt17integral_constantIbLb0EES18_EEDaS13_S14_EUlS13_E_NS1_11comp_targetILNS1_3genE2ELNS1_11target_archE906ELNS1_3gpuE6ELNS1_3repE0EEENS1_30default_config_static_selectorELNS0_4arch9wavefront6targetE0EEEvT1_,comdat
.Lfunc_end313:
	.size	_ZN7rocprim17ROCPRIM_400000_NS6detail17trampoline_kernelINS0_14default_configENS1_25partition_config_selectorILNS1_17partition_subalgoE6EfNS0_10empty_typeEbEEZZNS1_14partition_implILS5_6ELb0ES3_mN6thrust23THRUST_200600_302600_NS6detail15normal_iteratorINSA_10device_ptrIfEEEEPS6_SG_NS0_5tupleIJSF_S6_EEENSH_IJSG_SG_EEES6_PlJNSB_9not_fun_tINSB_14equal_to_valueIfEEEEEEE10hipError_tPvRmT3_T4_T5_T6_T7_T9_mT8_P12ihipStream_tbDpT10_ENKUlT_T0_E_clISt17integral_constantIbLb0EES18_EEDaS13_S14_EUlS13_E_NS1_11comp_targetILNS1_3genE2ELNS1_11target_archE906ELNS1_3gpuE6ELNS1_3repE0EEENS1_30default_config_static_selectorELNS0_4arch9wavefront6targetE0EEEvT1_, .Lfunc_end313-_ZN7rocprim17ROCPRIM_400000_NS6detail17trampoline_kernelINS0_14default_configENS1_25partition_config_selectorILNS1_17partition_subalgoE6EfNS0_10empty_typeEbEEZZNS1_14partition_implILS5_6ELb0ES3_mN6thrust23THRUST_200600_302600_NS6detail15normal_iteratorINSA_10device_ptrIfEEEEPS6_SG_NS0_5tupleIJSF_S6_EEENSH_IJSG_SG_EEES6_PlJNSB_9not_fun_tINSB_14equal_to_valueIfEEEEEEE10hipError_tPvRmT3_T4_T5_T6_T7_T9_mT8_P12ihipStream_tbDpT10_ENKUlT_T0_E_clISt17integral_constantIbLb0EES18_EEDaS13_S14_EUlS13_E_NS1_11comp_targetILNS1_3genE2ELNS1_11target_archE906ELNS1_3gpuE6ELNS1_3repE0EEENS1_30default_config_static_selectorELNS0_4arch9wavefront6targetE0EEEvT1_
                                        ; -- End function
	.set _ZN7rocprim17ROCPRIM_400000_NS6detail17trampoline_kernelINS0_14default_configENS1_25partition_config_selectorILNS1_17partition_subalgoE6EfNS0_10empty_typeEbEEZZNS1_14partition_implILS5_6ELb0ES3_mN6thrust23THRUST_200600_302600_NS6detail15normal_iteratorINSA_10device_ptrIfEEEEPS6_SG_NS0_5tupleIJSF_S6_EEENSH_IJSG_SG_EEES6_PlJNSB_9not_fun_tINSB_14equal_to_valueIfEEEEEEE10hipError_tPvRmT3_T4_T5_T6_T7_T9_mT8_P12ihipStream_tbDpT10_ENKUlT_T0_E_clISt17integral_constantIbLb0EES18_EEDaS13_S14_EUlS13_E_NS1_11comp_targetILNS1_3genE2ELNS1_11target_archE906ELNS1_3gpuE6ELNS1_3repE0EEENS1_30default_config_static_selectorELNS0_4arch9wavefront6targetE0EEEvT1_.num_vgpr, 0
	.set _ZN7rocprim17ROCPRIM_400000_NS6detail17trampoline_kernelINS0_14default_configENS1_25partition_config_selectorILNS1_17partition_subalgoE6EfNS0_10empty_typeEbEEZZNS1_14partition_implILS5_6ELb0ES3_mN6thrust23THRUST_200600_302600_NS6detail15normal_iteratorINSA_10device_ptrIfEEEEPS6_SG_NS0_5tupleIJSF_S6_EEENSH_IJSG_SG_EEES6_PlJNSB_9not_fun_tINSB_14equal_to_valueIfEEEEEEE10hipError_tPvRmT3_T4_T5_T6_T7_T9_mT8_P12ihipStream_tbDpT10_ENKUlT_T0_E_clISt17integral_constantIbLb0EES18_EEDaS13_S14_EUlS13_E_NS1_11comp_targetILNS1_3genE2ELNS1_11target_archE906ELNS1_3gpuE6ELNS1_3repE0EEENS1_30default_config_static_selectorELNS0_4arch9wavefront6targetE0EEEvT1_.num_agpr, 0
	.set _ZN7rocprim17ROCPRIM_400000_NS6detail17trampoline_kernelINS0_14default_configENS1_25partition_config_selectorILNS1_17partition_subalgoE6EfNS0_10empty_typeEbEEZZNS1_14partition_implILS5_6ELb0ES3_mN6thrust23THRUST_200600_302600_NS6detail15normal_iteratorINSA_10device_ptrIfEEEEPS6_SG_NS0_5tupleIJSF_S6_EEENSH_IJSG_SG_EEES6_PlJNSB_9not_fun_tINSB_14equal_to_valueIfEEEEEEE10hipError_tPvRmT3_T4_T5_T6_T7_T9_mT8_P12ihipStream_tbDpT10_ENKUlT_T0_E_clISt17integral_constantIbLb0EES18_EEDaS13_S14_EUlS13_E_NS1_11comp_targetILNS1_3genE2ELNS1_11target_archE906ELNS1_3gpuE6ELNS1_3repE0EEENS1_30default_config_static_selectorELNS0_4arch9wavefront6targetE0EEEvT1_.numbered_sgpr, 0
	.set _ZN7rocprim17ROCPRIM_400000_NS6detail17trampoline_kernelINS0_14default_configENS1_25partition_config_selectorILNS1_17partition_subalgoE6EfNS0_10empty_typeEbEEZZNS1_14partition_implILS5_6ELb0ES3_mN6thrust23THRUST_200600_302600_NS6detail15normal_iteratorINSA_10device_ptrIfEEEEPS6_SG_NS0_5tupleIJSF_S6_EEENSH_IJSG_SG_EEES6_PlJNSB_9not_fun_tINSB_14equal_to_valueIfEEEEEEE10hipError_tPvRmT3_T4_T5_T6_T7_T9_mT8_P12ihipStream_tbDpT10_ENKUlT_T0_E_clISt17integral_constantIbLb0EES18_EEDaS13_S14_EUlS13_E_NS1_11comp_targetILNS1_3genE2ELNS1_11target_archE906ELNS1_3gpuE6ELNS1_3repE0EEENS1_30default_config_static_selectorELNS0_4arch9wavefront6targetE0EEEvT1_.num_named_barrier, 0
	.set _ZN7rocprim17ROCPRIM_400000_NS6detail17trampoline_kernelINS0_14default_configENS1_25partition_config_selectorILNS1_17partition_subalgoE6EfNS0_10empty_typeEbEEZZNS1_14partition_implILS5_6ELb0ES3_mN6thrust23THRUST_200600_302600_NS6detail15normal_iteratorINSA_10device_ptrIfEEEEPS6_SG_NS0_5tupleIJSF_S6_EEENSH_IJSG_SG_EEES6_PlJNSB_9not_fun_tINSB_14equal_to_valueIfEEEEEEE10hipError_tPvRmT3_T4_T5_T6_T7_T9_mT8_P12ihipStream_tbDpT10_ENKUlT_T0_E_clISt17integral_constantIbLb0EES18_EEDaS13_S14_EUlS13_E_NS1_11comp_targetILNS1_3genE2ELNS1_11target_archE906ELNS1_3gpuE6ELNS1_3repE0EEENS1_30default_config_static_selectorELNS0_4arch9wavefront6targetE0EEEvT1_.private_seg_size, 0
	.set _ZN7rocprim17ROCPRIM_400000_NS6detail17trampoline_kernelINS0_14default_configENS1_25partition_config_selectorILNS1_17partition_subalgoE6EfNS0_10empty_typeEbEEZZNS1_14partition_implILS5_6ELb0ES3_mN6thrust23THRUST_200600_302600_NS6detail15normal_iteratorINSA_10device_ptrIfEEEEPS6_SG_NS0_5tupleIJSF_S6_EEENSH_IJSG_SG_EEES6_PlJNSB_9not_fun_tINSB_14equal_to_valueIfEEEEEEE10hipError_tPvRmT3_T4_T5_T6_T7_T9_mT8_P12ihipStream_tbDpT10_ENKUlT_T0_E_clISt17integral_constantIbLb0EES18_EEDaS13_S14_EUlS13_E_NS1_11comp_targetILNS1_3genE2ELNS1_11target_archE906ELNS1_3gpuE6ELNS1_3repE0EEENS1_30default_config_static_selectorELNS0_4arch9wavefront6targetE0EEEvT1_.uses_vcc, 0
	.set _ZN7rocprim17ROCPRIM_400000_NS6detail17trampoline_kernelINS0_14default_configENS1_25partition_config_selectorILNS1_17partition_subalgoE6EfNS0_10empty_typeEbEEZZNS1_14partition_implILS5_6ELb0ES3_mN6thrust23THRUST_200600_302600_NS6detail15normal_iteratorINSA_10device_ptrIfEEEEPS6_SG_NS0_5tupleIJSF_S6_EEENSH_IJSG_SG_EEES6_PlJNSB_9not_fun_tINSB_14equal_to_valueIfEEEEEEE10hipError_tPvRmT3_T4_T5_T6_T7_T9_mT8_P12ihipStream_tbDpT10_ENKUlT_T0_E_clISt17integral_constantIbLb0EES18_EEDaS13_S14_EUlS13_E_NS1_11comp_targetILNS1_3genE2ELNS1_11target_archE906ELNS1_3gpuE6ELNS1_3repE0EEENS1_30default_config_static_selectorELNS0_4arch9wavefront6targetE0EEEvT1_.uses_flat_scratch, 0
	.set _ZN7rocprim17ROCPRIM_400000_NS6detail17trampoline_kernelINS0_14default_configENS1_25partition_config_selectorILNS1_17partition_subalgoE6EfNS0_10empty_typeEbEEZZNS1_14partition_implILS5_6ELb0ES3_mN6thrust23THRUST_200600_302600_NS6detail15normal_iteratorINSA_10device_ptrIfEEEEPS6_SG_NS0_5tupleIJSF_S6_EEENSH_IJSG_SG_EEES6_PlJNSB_9not_fun_tINSB_14equal_to_valueIfEEEEEEE10hipError_tPvRmT3_T4_T5_T6_T7_T9_mT8_P12ihipStream_tbDpT10_ENKUlT_T0_E_clISt17integral_constantIbLb0EES18_EEDaS13_S14_EUlS13_E_NS1_11comp_targetILNS1_3genE2ELNS1_11target_archE906ELNS1_3gpuE6ELNS1_3repE0EEENS1_30default_config_static_selectorELNS0_4arch9wavefront6targetE0EEEvT1_.has_dyn_sized_stack, 0
	.set _ZN7rocprim17ROCPRIM_400000_NS6detail17trampoline_kernelINS0_14default_configENS1_25partition_config_selectorILNS1_17partition_subalgoE6EfNS0_10empty_typeEbEEZZNS1_14partition_implILS5_6ELb0ES3_mN6thrust23THRUST_200600_302600_NS6detail15normal_iteratorINSA_10device_ptrIfEEEEPS6_SG_NS0_5tupleIJSF_S6_EEENSH_IJSG_SG_EEES6_PlJNSB_9not_fun_tINSB_14equal_to_valueIfEEEEEEE10hipError_tPvRmT3_T4_T5_T6_T7_T9_mT8_P12ihipStream_tbDpT10_ENKUlT_T0_E_clISt17integral_constantIbLb0EES18_EEDaS13_S14_EUlS13_E_NS1_11comp_targetILNS1_3genE2ELNS1_11target_archE906ELNS1_3gpuE6ELNS1_3repE0EEENS1_30default_config_static_selectorELNS0_4arch9wavefront6targetE0EEEvT1_.has_recursion, 0
	.set _ZN7rocprim17ROCPRIM_400000_NS6detail17trampoline_kernelINS0_14default_configENS1_25partition_config_selectorILNS1_17partition_subalgoE6EfNS0_10empty_typeEbEEZZNS1_14partition_implILS5_6ELb0ES3_mN6thrust23THRUST_200600_302600_NS6detail15normal_iteratorINSA_10device_ptrIfEEEEPS6_SG_NS0_5tupleIJSF_S6_EEENSH_IJSG_SG_EEES6_PlJNSB_9not_fun_tINSB_14equal_to_valueIfEEEEEEE10hipError_tPvRmT3_T4_T5_T6_T7_T9_mT8_P12ihipStream_tbDpT10_ENKUlT_T0_E_clISt17integral_constantIbLb0EES18_EEDaS13_S14_EUlS13_E_NS1_11comp_targetILNS1_3genE2ELNS1_11target_archE906ELNS1_3gpuE6ELNS1_3repE0EEENS1_30default_config_static_selectorELNS0_4arch9wavefront6targetE0EEEvT1_.has_indirect_call, 0
	.section	.AMDGPU.csdata,"",@progbits
; Kernel info:
; codeLenInByte = 0
; TotalNumSgprs: 0
; NumVgprs: 0
; ScratchSize: 0
; MemoryBound: 0
; FloatMode: 240
; IeeeMode: 1
; LDSByteSize: 0 bytes/workgroup (compile time only)
; SGPRBlocks: 0
; VGPRBlocks: 0
; NumSGPRsForWavesPerEU: 1
; NumVGPRsForWavesPerEU: 1
; Occupancy: 16
; WaveLimiterHint : 0
; COMPUTE_PGM_RSRC2:SCRATCH_EN: 0
; COMPUTE_PGM_RSRC2:USER_SGPR: 2
; COMPUTE_PGM_RSRC2:TRAP_HANDLER: 0
; COMPUTE_PGM_RSRC2:TGID_X_EN: 1
; COMPUTE_PGM_RSRC2:TGID_Y_EN: 0
; COMPUTE_PGM_RSRC2:TGID_Z_EN: 0
; COMPUTE_PGM_RSRC2:TIDIG_COMP_CNT: 0
	.section	.text._ZN7rocprim17ROCPRIM_400000_NS6detail17trampoline_kernelINS0_14default_configENS1_25partition_config_selectorILNS1_17partition_subalgoE6EfNS0_10empty_typeEbEEZZNS1_14partition_implILS5_6ELb0ES3_mN6thrust23THRUST_200600_302600_NS6detail15normal_iteratorINSA_10device_ptrIfEEEEPS6_SG_NS0_5tupleIJSF_S6_EEENSH_IJSG_SG_EEES6_PlJNSB_9not_fun_tINSB_14equal_to_valueIfEEEEEEE10hipError_tPvRmT3_T4_T5_T6_T7_T9_mT8_P12ihipStream_tbDpT10_ENKUlT_T0_E_clISt17integral_constantIbLb0EES18_EEDaS13_S14_EUlS13_E_NS1_11comp_targetILNS1_3genE10ELNS1_11target_archE1200ELNS1_3gpuE4ELNS1_3repE0EEENS1_30default_config_static_selectorELNS0_4arch9wavefront6targetE0EEEvT1_,"axG",@progbits,_ZN7rocprim17ROCPRIM_400000_NS6detail17trampoline_kernelINS0_14default_configENS1_25partition_config_selectorILNS1_17partition_subalgoE6EfNS0_10empty_typeEbEEZZNS1_14partition_implILS5_6ELb0ES3_mN6thrust23THRUST_200600_302600_NS6detail15normal_iteratorINSA_10device_ptrIfEEEEPS6_SG_NS0_5tupleIJSF_S6_EEENSH_IJSG_SG_EEES6_PlJNSB_9not_fun_tINSB_14equal_to_valueIfEEEEEEE10hipError_tPvRmT3_T4_T5_T6_T7_T9_mT8_P12ihipStream_tbDpT10_ENKUlT_T0_E_clISt17integral_constantIbLb0EES18_EEDaS13_S14_EUlS13_E_NS1_11comp_targetILNS1_3genE10ELNS1_11target_archE1200ELNS1_3gpuE4ELNS1_3repE0EEENS1_30default_config_static_selectorELNS0_4arch9wavefront6targetE0EEEvT1_,comdat
	.protected	_ZN7rocprim17ROCPRIM_400000_NS6detail17trampoline_kernelINS0_14default_configENS1_25partition_config_selectorILNS1_17partition_subalgoE6EfNS0_10empty_typeEbEEZZNS1_14partition_implILS5_6ELb0ES3_mN6thrust23THRUST_200600_302600_NS6detail15normal_iteratorINSA_10device_ptrIfEEEEPS6_SG_NS0_5tupleIJSF_S6_EEENSH_IJSG_SG_EEES6_PlJNSB_9not_fun_tINSB_14equal_to_valueIfEEEEEEE10hipError_tPvRmT3_T4_T5_T6_T7_T9_mT8_P12ihipStream_tbDpT10_ENKUlT_T0_E_clISt17integral_constantIbLb0EES18_EEDaS13_S14_EUlS13_E_NS1_11comp_targetILNS1_3genE10ELNS1_11target_archE1200ELNS1_3gpuE4ELNS1_3repE0EEENS1_30default_config_static_selectorELNS0_4arch9wavefront6targetE0EEEvT1_ ; -- Begin function _ZN7rocprim17ROCPRIM_400000_NS6detail17trampoline_kernelINS0_14default_configENS1_25partition_config_selectorILNS1_17partition_subalgoE6EfNS0_10empty_typeEbEEZZNS1_14partition_implILS5_6ELb0ES3_mN6thrust23THRUST_200600_302600_NS6detail15normal_iteratorINSA_10device_ptrIfEEEEPS6_SG_NS0_5tupleIJSF_S6_EEENSH_IJSG_SG_EEES6_PlJNSB_9not_fun_tINSB_14equal_to_valueIfEEEEEEE10hipError_tPvRmT3_T4_T5_T6_T7_T9_mT8_P12ihipStream_tbDpT10_ENKUlT_T0_E_clISt17integral_constantIbLb0EES18_EEDaS13_S14_EUlS13_E_NS1_11comp_targetILNS1_3genE10ELNS1_11target_archE1200ELNS1_3gpuE4ELNS1_3repE0EEENS1_30default_config_static_selectorELNS0_4arch9wavefront6targetE0EEEvT1_
	.globl	_ZN7rocprim17ROCPRIM_400000_NS6detail17trampoline_kernelINS0_14default_configENS1_25partition_config_selectorILNS1_17partition_subalgoE6EfNS0_10empty_typeEbEEZZNS1_14partition_implILS5_6ELb0ES3_mN6thrust23THRUST_200600_302600_NS6detail15normal_iteratorINSA_10device_ptrIfEEEEPS6_SG_NS0_5tupleIJSF_S6_EEENSH_IJSG_SG_EEES6_PlJNSB_9not_fun_tINSB_14equal_to_valueIfEEEEEEE10hipError_tPvRmT3_T4_T5_T6_T7_T9_mT8_P12ihipStream_tbDpT10_ENKUlT_T0_E_clISt17integral_constantIbLb0EES18_EEDaS13_S14_EUlS13_E_NS1_11comp_targetILNS1_3genE10ELNS1_11target_archE1200ELNS1_3gpuE4ELNS1_3repE0EEENS1_30default_config_static_selectorELNS0_4arch9wavefront6targetE0EEEvT1_
	.p2align	8
	.type	_ZN7rocprim17ROCPRIM_400000_NS6detail17trampoline_kernelINS0_14default_configENS1_25partition_config_selectorILNS1_17partition_subalgoE6EfNS0_10empty_typeEbEEZZNS1_14partition_implILS5_6ELb0ES3_mN6thrust23THRUST_200600_302600_NS6detail15normal_iteratorINSA_10device_ptrIfEEEEPS6_SG_NS0_5tupleIJSF_S6_EEENSH_IJSG_SG_EEES6_PlJNSB_9not_fun_tINSB_14equal_to_valueIfEEEEEEE10hipError_tPvRmT3_T4_T5_T6_T7_T9_mT8_P12ihipStream_tbDpT10_ENKUlT_T0_E_clISt17integral_constantIbLb0EES18_EEDaS13_S14_EUlS13_E_NS1_11comp_targetILNS1_3genE10ELNS1_11target_archE1200ELNS1_3gpuE4ELNS1_3repE0EEENS1_30default_config_static_selectorELNS0_4arch9wavefront6targetE0EEEvT1_,@function
_ZN7rocprim17ROCPRIM_400000_NS6detail17trampoline_kernelINS0_14default_configENS1_25partition_config_selectorILNS1_17partition_subalgoE6EfNS0_10empty_typeEbEEZZNS1_14partition_implILS5_6ELb0ES3_mN6thrust23THRUST_200600_302600_NS6detail15normal_iteratorINSA_10device_ptrIfEEEEPS6_SG_NS0_5tupleIJSF_S6_EEENSH_IJSG_SG_EEES6_PlJNSB_9not_fun_tINSB_14equal_to_valueIfEEEEEEE10hipError_tPvRmT3_T4_T5_T6_T7_T9_mT8_P12ihipStream_tbDpT10_ENKUlT_T0_E_clISt17integral_constantIbLb0EES18_EEDaS13_S14_EUlS13_E_NS1_11comp_targetILNS1_3genE10ELNS1_11target_archE1200ELNS1_3gpuE4ELNS1_3repE0EEENS1_30default_config_static_selectorELNS0_4arch9wavefront6targetE0EEEvT1_: ; @_ZN7rocprim17ROCPRIM_400000_NS6detail17trampoline_kernelINS0_14default_configENS1_25partition_config_selectorILNS1_17partition_subalgoE6EfNS0_10empty_typeEbEEZZNS1_14partition_implILS5_6ELb0ES3_mN6thrust23THRUST_200600_302600_NS6detail15normal_iteratorINSA_10device_ptrIfEEEEPS6_SG_NS0_5tupleIJSF_S6_EEENSH_IJSG_SG_EEES6_PlJNSB_9not_fun_tINSB_14equal_to_valueIfEEEEEEE10hipError_tPvRmT3_T4_T5_T6_T7_T9_mT8_P12ihipStream_tbDpT10_ENKUlT_T0_E_clISt17integral_constantIbLb0EES18_EEDaS13_S14_EUlS13_E_NS1_11comp_targetILNS1_3genE10ELNS1_11target_archE1200ELNS1_3gpuE4ELNS1_3repE0EEENS1_30default_config_static_selectorELNS0_4arch9wavefront6targetE0EEEvT1_
; %bb.0:
	s_clause 0x3
	s_load_b128 s[4:7], s[0:1], 0x8
	s_load_b128 s[8:11], s[0:1], 0x40
	s_load_b32 s12, s[0:1], 0x68
	s_load_b64 s[2:3], s[0:1], 0x50
	s_mov_b32 s13, 0
	v_lshlrev_b32_e32 v8, 2, v0
	s_wait_kmcnt 0x0
	s_lshl_b64 s[14:15], s[6:7], 2
	s_load_b64 s[10:11], s[10:11], 0x0
	s_add_co_i32 s17, s12, -1
	s_mulk_i32 s12, 0xa80
	s_add_nc_u64 s[14:15], s[4:5], s[14:15]
	s_add_nc_u64 s[4:5], s[6:7], s[12:13]
	s_add_co_i32 s6, s12, s6
	v_cmp_le_u64_e64 s3, s[2:3], s[4:5]
	s_sub_co_i32 s16, s2, s6
	s_cmp_eq_u32 ttmp9, s17
	s_mul_i32 s2, ttmp9, 0xa80
	s_cselect_b32 s12, -1, 0
	s_mov_b32 s4, -1
	s_and_b32 s5, s12, s3
	s_mov_b32 s3, s13
	s_wait_alu 0xfffe
	s_xor_b32 s13, s5, -1
	s_lshl_b64 s[2:3], s[2:3], 2
	s_and_b32 vcc_lo, exec_lo, s13
	s_wait_alu 0xfffe
	s_add_nc_u64 s[2:3], s[14:15], s[2:3]
	s_cbranch_vccz .LBB314_2
; %bb.1:
	s_wait_alu 0xfffe
	v_add_co_u32 v1, s4, s2, v8
	s_wait_alu 0xf1ff
	v_add_co_ci_u32_e64 v2, null, s3, 0, s4
	s_mov_b32 s4, 0
	s_clause 0x6
	flat_load_b32 v3, v[1:2]
	flat_load_b32 v4, v[1:2] offset:1536
	flat_load_b32 v5, v[1:2] offset:3072
	;; [unrolled: 1-line block ×6, first 2 shown]
	s_wait_loadcnt_dscnt 0x505
	ds_store_2addr_stride64_b32 v8, v3, v4 offset1:6
	s_wait_loadcnt_dscnt 0x304
	ds_store_2addr_stride64_b32 v8, v5, v6 offset0:12 offset1:18
	s_wait_loadcnt_dscnt 0x103
	ds_store_2addr_stride64_b32 v8, v7, v9 offset0:24 offset1:30
	s_wait_loadcnt_dscnt 0x3
	ds_store_b32 v8, v1 offset:9216
	s_wait_dscnt 0x0
	s_barrier_signal -1
	s_barrier_wait -1
.LBB314_2:
	s_load_b32 s15, s[0:1], 0x70
	s_and_not1_b32 vcc_lo, exec_lo, s4
	s_addk_co_i32 s16, 0xa80
	s_cbranch_vccnz .LBB314_18
; %bb.3:
	v_mov_b32_e32 v1, 0
	s_mov_b32 s4, exec_lo
	s_delay_alu instid0(VALU_DEP_1)
	v_dual_mov_b32 v2, v1 :: v_dual_mov_b32 v3, v1
	v_dual_mov_b32 v4, v1 :: v_dual_mov_b32 v5, v1
	;; [unrolled: 1-line block ×3, first 2 shown]
	v_cmpx_gt_u32_e64 s16, v0
	s_cbranch_execz .LBB314_5
; %bb.4:
	v_add_co_u32 v2, s5, s2, v8
	s_wait_alu 0xf1ff
	v_add_co_ci_u32_e64 v3, null, s3, 0, s5
	v_dual_mov_b32 v10, v1 :: v_dual_mov_b32 v11, v1
	v_dual_mov_b32 v12, v1 :: v_dual_mov_b32 v13, v1
	flat_load_b32 v9, v[2:3]
	v_dual_mov_b32 v14, v1 :: v_dual_mov_b32 v15, v1
	s_wait_loadcnt_dscnt 0x0
	v_dual_mov_b32 v1, v9 :: v_dual_mov_b32 v2, v10
	v_dual_mov_b32 v3, v11 :: v_dual_mov_b32 v4, v12
	s_delay_alu instid0(VALU_DEP_3)
	v_dual_mov_b32 v5, v13 :: v_dual_mov_b32 v6, v14
	v_mov_b32_e32 v7, v15
.LBB314_5:
	s_wait_alu 0xfffe
	s_or_b32 exec_lo, exec_lo, s4
	v_add_nc_u32_e32 v9, 0x180, v0
	s_mov_b32 s4, exec_lo
	s_delay_alu instid0(VALU_DEP_1)
	v_cmpx_gt_u32_e64 s16, v9
	s_cbranch_execz .LBB314_7
; %bb.6:
	v_add_co_u32 v9, s5, s2, v8
	s_wait_alu 0xf1ff
	v_add_co_ci_u32_e64 v10, null, s3, 0, s5
	flat_load_b32 v2, v[9:10] offset:1536
.LBB314_7:
	s_wait_alu 0xfffe
	s_or_b32 exec_lo, exec_lo, s4
	v_add_nc_u32_e32 v9, 0x300, v0
	s_mov_b32 s4, exec_lo
	s_delay_alu instid0(VALU_DEP_1)
	v_cmpx_gt_u32_e64 s16, v9
	s_cbranch_execz .LBB314_9
; %bb.8:
	v_add_co_u32 v9, s5, s2, v8
	s_wait_alu 0xf1ff
	v_add_co_ci_u32_e64 v10, null, s3, 0, s5
	flat_load_b32 v3, v[9:10] offset:3072
.LBB314_9:
	;; [unrolled: 13-line block ×3, first 2 shown]
	s_wait_alu 0xfffe
	s_or_b32 exec_lo, exec_lo, s4
	v_or_b32_e32 v9, 0x600, v0
	s_mov_b32 s4, exec_lo
	s_delay_alu instid0(VALU_DEP_1)
	v_cmpx_gt_u32_e64 s16, v9
	s_cbranch_execz .LBB314_13
; %bb.12:
	v_add_co_u32 v9, s5, s2, v8
	s_wait_alu 0xf1ff
	v_add_co_ci_u32_e64 v10, null, s3, 0, s5
	flat_load_b32 v5, v[9:10] offset:6144
.LBB314_13:
	s_wait_alu 0xfffe
	s_or_b32 exec_lo, exec_lo, s4
	v_add_nc_u32_e32 v9, 0x780, v0
	s_mov_b32 s4, exec_lo
	s_delay_alu instid0(VALU_DEP_1)
	v_cmpx_gt_u32_e64 s16, v9
	s_cbranch_execz .LBB314_15
; %bb.14:
	v_add_co_u32 v9, s5, s2, v8
	s_wait_alu 0xf1ff
	v_add_co_ci_u32_e64 v10, null, s3, 0, s5
	flat_load_b32 v6, v[9:10] offset:7680
.LBB314_15:
	s_wait_alu 0xfffe
	s_or_b32 exec_lo, exec_lo, s4
	v_add_nc_u32_e32 v9, 0x900, v0
	s_mov_b32 s4, exec_lo
	s_delay_alu instid0(VALU_DEP_1)
	v_cmpx_gt_u32_e64 s16, v9
	s_cbranch_execz .LBB314_17
; %bb.16:
	v_add_co_u32 v9, s2, s2, v8
	s_wait_alu 0xf1ff
	v_add_co_ci_u32_e64 v10, null, s3, 0, s2
	flat_load_b32 v7, v[9:10] offset:9216
.LBB314_17:
	s_wait_alu 0xfffe
	s_or_b32 exec_lo, exec_lo, s4
	s_wait_loadcnt_dscnt 0x0
	ds_store_2addr_stride64_b32 v8, v1, v2 offset1:6
	ds_store_2addr_stride64_b32 v8, v3, v4 offset0:12 offset1:18
	ds_store_2addr_stride64_b32 v8, v5, v6 offset0:24 offset1:30
	ds_store_b32 v8, v7 offset:9216
	s_wait_dscnt 0x0
	s_barrier_signal -1
	s_barrier_wait -1
.LBB314_18:
	v_mul_u32_u24_e32 v1, 7, v0
	global_inv scope:SCOPE_SE
	s_and_not1_b32 vcc_lo, exec_lo, s13
	v_lshlrev_b32_e32 v34, 2, v1
	ds_load_2addr_b32 v[9:10], v34 offset0:4 offset1:5
	ds_load_b32 v29, v34 offset:24
	ds_load_2addr_b32 v[13:14], v34 offset1:1
	ds_load_2addr_b32 v[11:12], v34 offset0:2 offset1:3
	s_wait_loadcnt_dscnt 0x0
	s_barrier_signal -1
	s_barrier_wait -1
	global_inv scope:SCOPE_SE
	s_wait_kmcnt 0x0
	v_cmp_neq_f32_e64 s2, s15, v9
	v_cmp_neq_f32_e64 s14, s15, v29
	;; [unrolled: 1-line block ×7, first 2 shown]
	s_cbranch_vccnz .LBB314_20
; %bb.19:
	v_cndmask_b32_e64 v2, 0, 1, s6
	v_cndmask_b32_e64 v3, 0, 1, s7
	s_wait_alu 0xf1ff
	v_cndmask_b32_e64 v4, 0, 1, s4
	v_cndmask_b32_e64 v5, 0, 1, s5
	;; [unrolled: 1-line block ×3, first 2 shown]
	v_lshlrev_b16 v2, 8, v2
	v_lshlrev_b16 v3, 8, v3
	v_cndmask_b32_e64 v30, 0, 1, s3
	s_delay_alu instid0(VALU_DEP_3) | instskip(NEXT) | instid1(VALU_DEP_3)
	v_or_b32_e32 v2, v4, v2
	v_or_b32_e32 v3, v5, v3
	s_delay_alu instid0(VALU_DEP_2) | instskip(NEXT) | instid1(VALU_DEP_2)
	v_and_b32_e32 v2, 0xffff, v2
	v_lshlrev_b32_e32 v3, 16, v3
	s_delay_alu instid0(VALU_DEP_1)
	v_or_b32_e32 v33, v2, v3
	s_cbranch_execz .LBB314_21
	s_branch .LBB314_22
.LBB314_20:
                                        ; implicit-def: $sgpr14
                                        ; implicit-def: $vgpr30
                                        ; implicit-def: $vgpr31
                                        ; implicit-def: $vgpr33
.LBB314_21:
	v_add_nc_u32_e32 v2, 1, v1
	v_cmp_neq_f32_e32 vcc_lo, s15, v14
	v_add_nc_u32_e32 v3, 3, v1
	v_cmp_neq_f32_e64 s2, s15, v13
	v_cmp_neq_f32_e64 s4, s15, v12
	v_cmp_gt_u32_e64 s3, s16, v2
	v_add_nc_u32_e32 v2, 2, v1
	v_cmp_gt_u32_e64 s6, s16, v3
	v_cmp_neq_f32_e64 s5, s15, v11
	v_add_nc_u32_e32 v5, 5, v1
	s_and_b32 s3, s3, vcc_lo
	v_cmp_gt_u32_e32 vcc_lo, s16, v1
	s_wait_alu 0xfffe
	v_cndmask_b32_e64 v3, 0, 1, s3
	v_cmp_gt_u32_e64 s3, s16, v2
	s_and_b32 s4, s6, s4
	s_and_b32 s2, vcc_lo, s2
	v_lshlrev_b16 v3, 8, v3
	s_wait_alu 0xfffe
	v_cndmask_b32_e64 v4, 0, 1, s2
	v_cndmask_b32_e64 v2, 0, 1, s4
	s_and_b32 s2, s3, s5
	v_cmp_neq_f32_e32 vcc_lo, s15, v10
	s_wait_alu 0xfffe
	v_cndmask_b32_e64 v6, 0, 1, s2
	v_cmp_gt_u32_e64 s2, s16, v5
	v_or_b32_e32 v3, v4, v3
	v_add_nc_u32_e32 v4, 4, v1
	v_lshlrev_b16 v2, 8, v2
	v_cmp_neq_f32_e64 s3, s15, v9
	s_and_b32 s2, s2, vcc_lo
	v_add_nc_u32_e32 v1, 6, v1
	v_cmp_gt_u32_e32 vcc_lo, s16, v4
	v_or_b32_e32 v2, v6, v2
	s_wait_alu 0xfffe
	v_cndmask_b32_e64 v30, 0, 1, s2
	v_and_b32_e32 v3, 0xffff, v3
	s_and_b32 s2, vcc_lo, s3
	v_cmp_gt_u32_e32 vcc_lo, s16, v1
	s_wait_alu 0xfffe
	v_cndmask_b32_e64 v5, 0, 1, s2
	v_cmp_neq_f32_e64 s2, s15, v29
	v_lshlrev_b32_e32 v2, 16, v2
	v_lshlrev_b16 v4, 8, v30
	s_and_not1_b32 s3, s14, exec_lo
	s_and_b32 s2, vcc_lo, s2
	s_delay_alu instid0(VALU_DEP_2) | instskip(NEXT) | instid1(VALU_DEP_2)
	v_or_b32_e32 v33, v3, v2
	v_or_b32_e32 v31, v5, v4
	s_wait_alu 0xfffe
	s_and_b32 s2, s2, exec_lo
	s_wait_alu 0xfffe
	s_or_b32 s14, s3, s2
.LBB314_22:
	s_delay_alu instid0(VALU_DEP_1)
	v_dual_mov_b32 v2, 0 :: v_dual_and_b32 v37, 0xff, v33
	v_bfe_u32 v36, v33, 8, 8
	s_wait_alu 0xfffe
	v_cndmask_b32_e64 v1, 0, 1, s14
	v_bfe_u32 v39, v33, 16, 8
	v_lshrrev_b32_e32 v32, 24, v33
	s_load_b64 s[6:7], s[0:1], 0x60
	v_and_b32_e32 v38, 0xff, v31
	v_add3_u32 v1, v37, v1, v36
	v_mbcnt_lo_u32_b32 v40, -1, 0
	v_and_b32_e32 v35, 0xff, v30
	s_cmp_lg_u32 ttmp9, 0
	s_mov_b32 s3, -1
	v_add_co_u32 v1, s2, v1, v39
	s_wait_alu 0xf1ff
	v_add_co_ci_u32_e64 v3, null, 0, 0, s2
	v_and_b32_e32 v41, 15, v40
	s_delay_alu instid0(VALU_DEP_3) | instskip(NEXT) | instid1(VALU_DEP_1)
	v_add_co_u32 v1, vcc_lo, v1, v32
	v_add_co_ci_u32_e64 v3, null, 0, v3, vcc_lo
	s_delay_alu instid0(VALU_DEP_3) | instskip(NEXT) | instid1(VALU_DEP_3)
	v_cmp_ne_u32_e64 s2, 0, v41
	v_add_co_u32 v1, vcc_lo, v1, v38
	s_wait_alu 0xfffd
	s_delay_alu instid0(VALU_DEP_3) | instskip(NEXT) | instid1(VALU_DEP_2)
	v_add_co_ci_u32_e64 v3, null, 0, v3, vcc_lo
	v_add_co_u32 v15, vcc_lo, v1, v35
	s_wait_alu 0xfffd
	s_delay_alu instid0(VALU_DEP_2)
	v_add_co_ci_u32_e64 v16, null, 0, v3, vcc_lo
	s_cbranch_scc0 .LBB314_81
; %bb.23:
	v_mov_b32_e32 v3, v15
	v_mov_b32_dpp v1, v15 row_shr:1 row_mask:0xf bank_mask:0xf
	v_mov_b32_dpp v6, v2 row_shr:1 row_mask:0xf bank_mask:0xf
	v_dual_mov_b32 v5, v15 :: v_dual_mov_b32 v4, v16
	s_and_saveexec_b32 s3, s2
; %bb.24:
	s_delay_alu instid0(VALU_DEP_3) | instskip(SKIP_2) | instid1(VALU_DEP_2)
	v_add_co_u32 v5, vcc_lo, v15, v1
	s_wait_alu 0xfffd
	v_add_co_ci_u32_e64 v2, null, 0, v16, vcc_lo
	v_add_co_u32 v1, vcc_lo, 0, v5
	s_wait_alu 0xfffd
	s_delay_alu instid0(VALU_DEP_2) | instskip(NEXT) | instid1(VALU_DEP_1)
	v_add_co_ci_u32_e64 v2, null, v6, v2, vcc_lo
	v_dual_mov_b32 v4, v2 :: v_dual_mov_b32 v3, v1
; %bb.25:
	s_wait_alu 0xfffe
	s_or_b32 exec_lo, exec_lo, s3
	v_mov_b32_dpp v1, v5 row_shr:2 row_mask:0xf bank_mask:0xf
	v_mov_b32_dpp v6, v2 row_shr:2 row_mask:0xf bank_mask:0xf
	v_cmp_lt_u32_e32 vcc_lo, 1, v41
	s_and_saveexec_b32 s4, vcc_lo
; %bb.26:
	s_delay_alu instid0(VALU_DEP_3) | instskip(SKIP_2) | instid1(VALU_DEP_2)
	v_add_co_u32 v5, s3, v3, v1
	s_wait_alu 0xf1ff
	v_add_co_ci_u32_e64 v2, null, 0, v4, s3
	v_add_co_u32 v1, s3, 0, v5
	s_wait_alu 0xf1ff
	s_delay_alu instid0(VALU_DEP_2) | instskip(NEXT) | instid1(VALU_DEP_1)
	v_add_co_ci_u32_e64 v2, null, v6, v2, s3
	v_dual_mov_b32 v4, v2 :: v_dual_mov_b32 v3, v1
; %bb.27:
	s_wait_alu 0xfffe
	s_or_b32 exec_lo, exec_lo, s4
	v_mov_b32_dpp v1, v5 row_shr:4 row_mask:0xf bank_mask:0xf
	v_mov_b32_dpp v6, v2 row_shr:4 row_mask:0xf bank_mask:0xf
	v_cmp_lt_u32_e64 s3, 3, v41
	s_and_saveexec_b32 s5, s3
; %bb.28:
	v_add_co_u32 v5, s4, v3, v1
	s_wait_alu 0xf1ff
	v_add_co_ci_u32_e64 v2, null, 0, v4, s4
	s_delay_alu instid0(VALU_DEP_2) | instskip(SKIP_1) | instid1(VALU_DEP_2)
	v_add_co_u32 v1, s4, 0, v5
	s_wait_alu 0xf1ff
	v_add_co_ci_u32_e64 v2, null, v6, v2, s4
	s_delay_alu instid0(VALU_DEP_1)
	v_dual_mov_b32 v4, v2 :: v_dual_mov_b32 v3, v1
; %bb.29:
	s_wait_alu 0xfffe
	s_or_b32 exec_lo, exec_lo, s5
	v_mov_b32_dpp v6, v5 row_shr:8 row_mask:0xf bank_mask:0xf
	v_mov_b32_dpp v1, v2 row_shr:8 row_mask:0xf bank_mask:0xf
	v_cmp_lt_u32_e64 s4, 7, v41
	s_and_saveexec_b32 s15, s4
; %bb.30:
	v_add_co_u32 v5, s5, v3, v6
	s_wait_alu 0xf1ff
	v_add_co_ci_u32_e64 v2, null, 0, v4, s5
	s_delay_alu instid0(VALU_DEP_2) | instskip(SKIP_1) | instid1(VALU_DEP_2)
	v_add_co_u32 v3, s5, 0, v5
	s_wait_alu 0xf1ff
	v_add_co_ci_u32_e64 v4, null, v1, v2, s5
	s_delay_alu instid0(VALU_DEP_1)
	v_mov_b32_e32 v2, v4
; %bb.31:
	s_wait_alu 0xfffe
	s_or_b32 exec_lo, exec_lo, s15
	ds_swizzle_b32 v1, v5 offset:swizzle(BROADCAST,32,15)
	ds_swizzle_b32 v6, v2 offset:swizzle(BROADCAST,32,15)
	v_and_b32_e32 v7, 16, v40
	s_mov_b32 s15, exec_lo
	s_delay_alu instid0(VALU_DEP_1)
	v_cmpx_ne_u32_e32 0, v7
	s_cbranch_execz .LBB314_33
; %bb.32:
	s_wait_dscnt 0x1
	v_add_co_u32 v5, s5, v3, v1
	s_wait_alu 0xf1ff
	v_add_co_ci_u32_e64 v2, null, 0, v4, s5
	s_delay_alu instid0(VALU_DEP_2) | instskip(SKIP_2) | instid1(VALU_DEP_2)
	v_add_co_u32 v1, s5, 0, v5
	s_wait_dscnt 0x0
	s_wait_alu 0xf1ff
	v_add_co_ci_u32_e64 v2, null, v6, v2, s5
	s_delay_alu instid0(VALU_DEP_1)
	v_dual_mov_b32 v4, v2 :: v_dual_mov_b32 v3, v1
.LBB314_33:
	s_wait_alu 0xfffe
	s_or_b32 exec_lo, exec_lo, s15
	s_wait_dscnt 0x1
	v_and_b32_e32 v1, 0x1e0, v0
	s_mov_b32 s15, exec_lo
	s_delay_alu instid0(VALU_DEP_1) | instskip(SKIP_1) | instid1(VALU_DEP_1)
	v_min_u32_e32 v1, 0x160, v1
	s_wait_dscnt 0x0
	v_or_b32_e32 v6, 31, v1
	v_lshrrev_b32_e32 v1, 5, v0
	s_delay_alu instid0(VALU_DEP_2)
	v_cmpx_eq_u32_e64 v0, v6
; %bb.34:
	s_delay_alu instid0(VALU_DEP_2)
	v_lshlrev_b32_e32 v6, 3, v1
	ds_store_b64 v6, v[3:4]
; %bb.35:
	s_wait_alu 0xfffe
	s_or_b32 exec_lo, exec_lo, s15
	s_delay_alu instid0(SALU_CYCLE_1)
	s_mov_b32 s15, exec_lo
	s_wait_loadcnt_dscnt 0x0
	s_barrier_signal -1
	s_barrier_wait -1
	global_inv scope:SCOPE_SE
	v_cmpx_gt_u32_e32 12, v0
	s_cbranch_execz .LBB314_45
; %bb.36:
	v_lshlrev_b32_e32 v6, 3, v0
	ds_load_b64 v[3:4], v6
	s_wait_dscnt 0x0
	v_mov_b32_dpp v17, v3 row_shr:1 row_mask:0xf bank_mask:0xf
	v_mov_b32_dpp v8, v4 row_shr:1 row_mask:0xf bank_mask:0xf
	v_mov_b32_e32 v7, v3
	s_and_saveexec_b32 s16, s2
; %bb.37:
	s_delay_alu instid0(VALU_DEP_3) | instskip(SKIP_2) | instid1(VALU_DEP_2)
	v_add_co_u32 v7, s5, v3, v17
	s_wait_alu 0xf1ff
	v_add_co_ci_u32_e64 v4, null, 0, v4, s5
	v_add_co_u32 v3, s5, 0, v7
	s_wait_alu 0xf1ff
	s_delay_alu instid0(VALU_DEP_2)
	v_add_co_ci_u32_e64 v4, null, v8, v4, s5
; %bb.38:
	s_wait_alu 0xfffe
	s_or_b32 exec_lo, exec_lo, s16
	v_mov_b32_dpp v17, v7 row_shr:2 row_mask:0xf bank_mask:0xf
	s_delay_alu instid0(VALU_DEP_2)
	v_mov_b32_dpp v8, v4 row_shr:2 row_mask:0xf bank_mask:0xf
	s_and_saveexec_b32 s5, vcc_lo
; %bb.39:
	s_delay_alu instid0(VALU_DEP_2) | instskip(SKIP_2) | instid1(VALU_DEP_2)
	v_add_co_u32 v7, vcc_lo, v3, v17
	s_wait_alu 0xfffd
	v_add_co_ci_u32_e64 v4, null, 0, v4, vcc_lo
	v_add_co_u32 v3, vcc_lo, 0, v7
	s_wait_alu 0xfffd
	s_delay_alu instid0(VALU_DEP_2)
	v_add_co_ci_u32_e64 v4, null, v8, v4, vcc_lo
; %bb.40:
	s_wait_alu 0xfffe
	s_or_b32 exec_lo, exec_lo, s5
	v_mov_b32_dpp v17, v7 row_shr:4 row_mask:0xf bank_mask:0xf
	s_delay_alu instid0(VALU_DEP_2)
	v_mov_b32_dpp v8, v4 row_shr:4 row_mask:0xf bank_mask:0xf
	s_and_saveexec_b32 s5, s3
; %bb.41:
	s_delay_alu instid0(VALU_DEP_2) | instskip(SKIP_2) | instid1(VALU_DEP_2)
	v_add_co_u32 v7, vcc_lo, v3, v17
	s_wait_alu 0xfffd
	v_add_co_ci_u32_e64 v4, null, 0, v4, vcc_lo
	v_add_co_u32 v3, vcc_lo, 0, v7
	s_wait_alu 0xfffd
	s_delay_alu instid0(VALU_DEP_2)
	v_add_co_ci_u32_e64 v4, null, v8, v4, vcc_lo
; %bb.42:
	s_wait_alu 0xfffe
	s_or_b32 exec_lo, exec_lo, s5
	v_mov_b32_dpp v8, v7 row_shr:8 row_mask:0xf bank_mask:0xf
	s_delay_alu instid0(VALU_DEP_2)
	v_mov_b32_dpp v7, v4 row_shr:8 row_mask:0xf bank_mask:0xf
	s_and_saveexec_b32 s3, s4
; %bb.43:
	s_delay_alu instid0(VALU_DEP_2) | instskip(SKIP_2) | instid1(VALU_DEP_2)
	v_add_co_u32 v3, vcc_lo, v3, v8
	s_wait_alu 0xfffd
	v_add_co_ci_u32_e64 v4, null, 0, v4, vcc_lo
	v_add_co_u32 v3, vcc_lo, v3, 0
	s_wait_alu 0xfffd
	s_delay_alu instid0(VALU_DEP_2)
	v_add_co_ci_u32_e64 v4, null, v4, v7, vcc_lo
; %bb.44:
	s_wait_alu 0xfffe
	s_or_b32 exec_lo, exec_lo, s3
	ds_store_b64 v6, v[3:4]
.LBB314_45:
	s_wait_alu 0xfffe
	s_or_b32 exec_lo, exec_lo, s15
	s_delay_alu instid0(SALU_CYCLE_1)
	s_mov_b32 s4, exec_lo
	v_cmp_gt_u32_e32 vcc_lo, 32, v0
	s_wait_loadcnt_dscnt 0x0
	s_barrier_signal -1
	s_barrier_wait -1
	global_inv scope:SCOPE_SE
                                        ; implicit-def: $vgpr17_vgpr18
	v_cmpx_lt_u32_e32 31, v0
	s_cbranch_execz .LBB314_47
; %bb.46:
	v_lshl_add_u32 v1, v1, 3, -8
	ds_load_b64 v[17:18], v1
	s_wait_dscnt 0x0
	v_add_co_u32 v5, s3, v5, v17
	s_wait_alu 0xf1ff
	v_add_co_ci_u32_e64 v2, null, v2, v18, s3
.LBB314_47:
	s_wait_alu 0xfffe
	s_or_b32 exec_lo, exec_lo, s4
	v_sub_co_u32 v1, s3, v40, 1
	s_delay_alu instid0(VALU_DEP_1) | instskip(SKIP_1) | instid1(VALU_DEP_1)
	v_cmp_gt_i32_e64 s4, 0, v1
	s_wait_alu 0xf1ff
	v_cndmask_b32_e64 v1, v1, v40, s4
	s_delay_alu instid0(VALU_DEP_1)
	v_lshlrev_b32_e32 v1, 2, v1
	ds_bpermute_b32 v23, v1, v5
	ds_bpermute_b32 v24, v1, v2
	s_and_saveexec_b32 s4, vcc_lo
	s_cbranch_execz .LBB314_86
; %bb.48:
	v_mov_b32_e32 v4, 0
	ds_load_b64 v[1:2], v4 offset:88
	s_and_saveexec_b32 s5, s3
	s_cbranch_execz .LBB314_50
; %bb.49:
	s_add_co_i32 s16, ttmp9, 32
	s_mov_b32 s17, 0
	s_wait_alu 0xfffe
	s_lshl_b64 s[16:17], s[16:17], 4
	s_wait_kmcnt 0x0
	s_wait_alu 0xfffe
	s_add_nc_u64 s[16:17], s[6:7], s[16:17]
	v_mov_b32_e32 v3, 1
	s_wait_alu 0xfffe
	v_dual_mov_b32 v5, s16 :: v_dual_mov_b32 v6, s17
	s_wait_dscnt 0x0
	;;#ASMSTART
	global_store_b128 v[5:6], v[1:4] off scope:SCOPE_DEV	
s_wait_storecnt 0x0
	;;#ASMEND
.LBB314_50:
	s_wait_alu 0xfffe
	s_or_b32 exec_lo, exec_lo, s5
	v_xad_u32 v19, v40, -1, ttmp9
	s_mov_b32 s15, 0
	s_mov_b32 s5, exec_lo
	s_delay_alu instid0(VALU_DEP_1) | instskip(NEXT) | instid1(VALU_DEP_1)
	v_add_nc_u32_e32 v3, 32, v19
	v_lshlrev_b64_e32 v[3:4], 4, v[3:4]
	s_wait_kmcnt 0x0
	s_delay_alu instid0(VALU_DEP_1) | instskip(SKIP_1) | instid1(VALU_DEP_2)
	v_add_co_u32 v3, vcc_lo, s6, v3
	s_wait_alu 0xfffd
	v_add_co_ci_u32_e64 v4, null, s7, v4, vcc_lo
	;;#ASMSTART
	global_load_b128 v[5:8], v[3:4] off scope:SCOPE_DEV	
s_wait_loadcnt 0x0
	;;#ASMEND
	v_and_b32_e32 v8, 0xff, v7
	s_delay_alu instid0(VALU_DEP_1)
	v_cmpx_eq_u16_e32 0, v8
	s_cbranch_execz .LBB314_53
.LBB314_51:                             ; =>This Inner Loop Header: Depth=1
	;;#ASMSTART
	global_load_b128 v[5:8], v[3:4] off scope:SCOPE_DEV	
s_wait_loadcnt 0x0
	;;#ASMEND
	v_and_b32_e32 v8, 0xff, v7
	s_delay_alu instid0(VALU_DEP_1)
	v_cmp_ne_u16_e32 vcc_lo, 0, v8
	s_wait_alu 0xfffe
	s_or_b32 s15, vcc_lo, s15
	s_wait_alu 0xfffe
	s_and_not1_b32 exec_lo, exec_lo, s15
	s_cbranch_execnz .LBB314_51
; %bb.52:
	s_or_b32 exec_lo, exec_lo, s15
.LBB314_53:
	s_wait_alu 0xfffe
	s_or_b32 exec_lo, exec_lo, s5
	v_cmp_ne_u32_e32 vcc_lo, 31, v40
	v_and_b32_e32 v4, 0xff, v7
	v_lshlrev_b32_e64 v26, v40, -1
	s_mov_b32 s5, exec_lo
	s_wait_alu 0xfffd
	v_add_co_ci_u32_e64 v3, null, 0, v40, vcc_lo
	v_cmp_eq_u16_e32 vcc_lo, 2, v4
	s_delay_alu instid0(VALU_DEP_2)
	v_dual_mov_b32 v4, v5 :: v_dual_lshlrev_b32 v25, 2, v3
	s_wait_alu 0xfffd
	v_and_or_b32 v3, vcc_lo, v26, 0x80000000
	ds_bpermute_b32 v20, v25, v5
	ds_bpermute_b32 v8, v25, v6
	v_ctz_i32_b32_e32 v3, v3
	s_delay_alu instid0(VALU_DEP_1)
	v_cmpx_lt_u32_e64 v40, v3
	s_cbranch_execz .LBB314_55
; %bb.54:
	s_wait_dscnt 0x1
	v_add_co_u32 v4, vcc_lo, v5, v20
	s_wait_alu 0xfffd
	v_add_co_ci_u32_e64 v6, null, 0, v6, vcc_lo
	s_delay_alu instid0(VALU_DEP_2) | instskip(SKIP_2) | instid1(VALU_DEP_2)
	v_add_co_u32 v5, vcc_lo, 0, v4
	s_wait_dscnt 0x0
	s_wait_alu 0xfffd
	v_add_co_ci_u32_e64 v6, null, v8, v6, vcc_lo
.LBB314_55:
	s_wait_alu 0xfffe
	s_or_b32 exec_lo, exec_lo, s5
	v_cmp_gt_u32_e32 vcc_lo, 30, v40
	v_add_nc_u32_e32 v28, 2, v40
	s_mov_b32 s5, exec_lo
	s_wait_dscnt 0x0
	s_wait_alu 0xfffd
	v_cndmask_b32_e64 v8, 0, 2, vcc_lo
	s_delay_alu instid0(VALU_DEP_1)
	v_add_lshl_u32 v27, v8, v40, 2
	ds_bpermute_b32 v20, v27, v4
	ds_bpermute_b32 v8, v27, v6
	v_cmpx_le_u32_e64 v28, v3
	s_cbranch_execz .LBB314_57
; %bb.56:
	s_wait_dscnt 0x1
	v_add_co_u32 v4, vcc_lo, v5, v20
	s_wait_alu 0xfffd
	v_add_co_ci_u32_e64 v6, null, 0, v6, vcc_lo
	s_delay_alu instid0(VALU_DEP_2) | instskip(SKIP_2) | instid1(VALU_DEP_2)
	v_add_co_u32 v5, vcc_lo, 0, v4
	s_wait_dscnt 0x0
	s_wait_alu 0xfffd
	v_add_co_ci_u32_e64 v6, null, v8, v6, vcc_lo
.LBB314_57:
	s_wait_alu 0xfffe
	s_or_b32 exec_lo, exec_lo, s5
	v_cmp_gt_u32_e32 vcc_lo, 28, v40
	v_add_nc_u32_e32 v43, 4, v40
	s_mov_b32 s5, exec_lo
	s_wait_dscnt 0x0
	s_wait_alu 0xfffd
	v_cndmask_b32_e64 v8, 0, 4, vcc_lo
	s_delay_alu instid0(VALU_DEP_1)
	v_add_lshl_u32 v42, v8, v40, 2
	ds_bpermute_b32 v20, v42, v4
	ds_bpermute_b32 v8, v42, v6
	v_cmpx_le_u32_e64 v43, v3
	;; [unrolled: 25-line block ×3, first 2 shown]
	s_cbranch_execz .LBB314_61
; %bb.60:
	s_wait_dscnt 0x1
	v_add_co_u32 v4, vcc_lo, v5, v20
	s_wait_alu 0xfffd
	v_add_co_ci_u32_e64 v6, null, 0, v6, vcc_lo
	s_delay_alu instid0(VALU_DEP_2) | instskip(SKIP_2) | instid1(VALU_DEP_2)
	v_add_co_u32 v5, vcc_lo, 0, v4
	s_wait_dscnt 0x0
	s_wait_alu 0xfffd
	v_add_co_ci_u32_e64 v6, null, v8, v6, vcc_lo
.LBB314_61:
	s_wait_alu 0xfffe
	s_or_b32 exec_lo, exec_lo, s5
	v_lshl_or_b32 v46, v40, 2, 64
	v_add_nc_u32_e32 v47, 16, v40
	s_mov_b32 s5, exec_lo
	s_wait_dscnt 0x0
	ds_bpermute_b32 v8, v46, v4
	ds_bpermute_b32 v4, v46, v6
	v_cmpx_le_u32_e64 v47, v3
	s_cbranch_execz .LBB314_63
; %bb.62:
	s_wait_dscnt 0x1
	v_add_co_u32 v3, vcc_lo, v5, v8
	s_wait_alu 0xfffd
	v_add_co_ci_u32_e64 v6, null, 0, v6, vcc_lo
	s_delay_alu instid0(VALU_DEP_2) | instskip(SKIP_2) | instid1(VALU_DEP_2)
	v_add_co_u32 v5, vcc_lo, v3, 0
	s_wait_dscnt 0x0
	s_wait_alu 0xfffd
	v_add_co_ci_u32_e64 v6, null, v6, v4, vcc_lo
.LBB314_63:
	s_wait_alu 0xfffe
	s_or_b32 exec_lo, exec_lo, s5
	v_mov_b32_e32 v20, 0
	s_branch .LBB314_66
.LBB314_64:                             ;   in Loop: Header=BB314_66 Depth=1
	s_wait_alu 0xfffe
	s_or_b32 exec_lo, exec_lo, s5
	v_add_co_u32 v5, vcc_lo, v5, v3
	v_subrev_nc_u32_e32 v19, 32, v19
	s_wait_alu 0xfffd
	v_add_co_ci_u32_e64 v6, null, v6, v4, vcc_lo
	s_mov_b32 s5, 0
.LBB314_65:                             ;   in Loop: Header=BB314_66 Depth=1
	s_wait_alu 0xfffe
	s_and_b32 vcc_lo, exec_lo, s5
	s_wait_alu 0xfffe
	s_cbranch_vccnz .LBB314_82
.LBB314_66:                             ; =>This Loop Header: Depth=1
                                        ;     Child Loop BB314_69 Depth 2
	v_and_b32_e32 v3, 0xff, v7
	s_mov_b32 s5, -1
	s_delay_alu instid0(VALU_DEP_1)
	v_cmp_ne_u16_e32 vcc_lo, 2, v3
	s_wait_dscnt 0x0
	v_dual_mov_b32 v3, v5 :: v_dual_mov_b32 v4, v6
                                        ; implicit-def: $vgpr5_vgpr6
	s_cmp_lg_u32 vcc_lo, exec_lo
	s_cbranch_scc1 .LBB314_65
; %bb.67:                               ;   in Loop: Header=BB314_66 Depth=1
	v_lshlrev_b64_e32 v[5:6], 4, v[19:20]
	s_mov_b32 s5, exec_lo
	s_delay_alu instid0(VALU_DEP_1) | instskip(SKIP_1) | instid1(VALU_DEP_2)
	v_add_co_u32 v21, vcc_lo, s6, v5
	s_wait_alu 0xfffd
	v_add_co_ci_u32_e64 v22, null, s7, v6, vcc_lo
	;;#ASMSTART
	global_load_b128 v[5:8], v[21:22] off scope:SCOPE_DEV	
s_wait_loadcnt 0x0
	;;#ASMEND
	v_and_b32_e32 v8, 0xff, v7
	s_delay_alu instid0(VALU_DEP_1)
	v_cmpx_eq_u16_e32 0, v8
	s_cbranch_execz .LBB314_71
; %bb.68:                               ;   in Loop: Header=BB314_66 Depth=1
	s_mov_b32 s15, 0
.LBB314_69:                             ;   Parent Loop BB314_66 Depth=1
                                        ; =>  This Inner Loop Header: Depth=2
	;;#ASMSTART
	global_load_b128 v[5:8], v[21:22] off scope:SCOPE_DEV	
s_wait_loadcnt 0x0
	;;#ASMEND
	v_and_b32_e32 v8, 0xff, v7
	s_delay_alu instid0(VALU_DEP_1)
	v_cmp_ne_u16_e32 vcc_lo, 0, v8
	s_wait_alu 0xfffe
	s_or_b32 s15, vcc_lo, s15
	s_wait_alu 0xfffe
	s_and_not1_b32 exec_lo, exec_lo, s15
	s_cbranch_execnz .LBB314_69
; %bb.70:                               ;   in Loop: Header=BB314_66 Depth=1
	s_or_b32 exec_lo, exec_lo, s15
.LBB314_71:                             ;   in Loop: Header=BB314_66 Depth=1
	s_wait_alu 0xfffe
	s_or_b32 exec_lo, exec_lo, s5
	v_dual_mov_b32 v21, v5 :: v_dual_and_b32 v8, 0xff, v7
	ds_bpermute_b32 v48, v25, v5
	ds_bpermute_b32 v22, v25, v6
	s_mov_b32 s5, exec_lo
	v_cmp_eq_u16_e32 vcc_lo, 2, v8
	s_wait_alu 0xfffd
	v_and_or_b32 v8, vcc_lo, v26, 0x80000000
	s_delay_alu instid0(VALU_DEP_1) | instskip(NEXT) | instid1(VALU_DEP_1)
	v_ctz_i32_b32_e32 v8, v8
	v_cmpx_lt_u32_e64 v40, v8
	s_cbranch_execz .LBB314_73
; %bb.72:                               ;   in Loop: Header=BB314_66 Depth=1
	s_wait_dscnt 0x1
	v_add_co_u32 v21, vcc_lo, v5, v48
	s_wait_alu 0xfffd
	v_add_co_ci_u32_e64 v6, null, 0, v6, vcc_lo
	s_delay_alu instid0(VALU_DEP_2) | instskip(SKIP_2) | instid1(VALU_DEP_2)
	v_add_co_u32 v5, vcc_lo, 0, v21
	s_wait_dscnt 0x0
	s_wait_alu 0xfffd
	v_add_co_ci_u32_e64 v6, null, v22, v6, vcc_lo
.LBB314_73:                             ;   in Loop: Header=BB314_66 Depth=1
	s_wait_alu 0xfffe
	s_or_b32 exec_lo, exec_lo, s5
	s_wait_dscnt 0x1
	ds_bpermute_b32 v48, v27, v21
	s_wait_dscnt 0x1
	ds_bpermute_b32 v22, v27, v6
	s_mov_b32 s5, exec_lo
	v_cmpx_le_u32_e64 v28, v8
	s_cbranch_execz .LBB314_75
; %bb.74:                               ;   in Loop: Header=BB314_66 Depth=1
	s_wait_dscnt 0x1
	v_add_co_u32 v21, vcc_lo, v5, v48
	s_wait_alu 0xfffd
	v_add_co_ci_u32_e64 v6, null, 0, v6, vcc_lo
	s_delay_alu instid0(VALU_DEP_2) | instskip(SKIP_2) | instid1(VALU_DEP_2)
	v_add_co_u32 v5, vcc_lo, 0, v21
	s_wait_dscnt 0x0
	s_wait_alu 0xfffd
	v_add_co_ci_u32_e64 v6, null, v22, v6, vcc_lo
.LBB314_75:                             ;   in Loop: Header=BB314_66 Depth=1
	s_wait_alu 0xfffe
	s_or_b32 exec_lo, exec_lo, s5
	s_wait_dscnt 0x1
	ds_bpermute_b32 v48, v42, v21
	s_wait_dscnt 0x1
	ds_bpermute_b32 v22, v42, v6
	s_mov_b32 s5, exec_lo
	v_cmpx_le_u32_e64 v43, v8
	;; [unrolled: 20-line block ×3, first 2 shown]
	s_cbranch_execz .LBB314_79
; %bb.78:                               ;   in Loop: Header=BB314_66 Depth=1
	s_wait_dscnt 0x1
	v_add_co_u32 v21, vcc_lo, v5, v48
	s_wait_alu 0xfffd
	v_add_co_ci_u32_e64 v6, null, 0, v6, vcc_lo
	s_delay_alu instid0(VALU_DEP_2) | instskip(SKIP_2) | instid1(VALU_DEP_2)
	v_add_co_u32 v5, vcc_lo, 0, v21
	s_wait_dscnt 0x0
	s_wait_alu 0xfffd
	v_add_co_ci_u32_e64 v6, null, v22, v6, vcc_lo
.LBB314_79:                             ;   in Loop: Header=BB314_66 Depth=1
	s_wait_alu 0xfffe
	s_or_b32 exec_lo, exec_lo, s5
	s_wait_dscnt 0x0
	ds_bpermute_b32 v22, v46, v21
	ds_bpermute_b32 v21, v46, v6
	s_mov_b32 s5, exec_lo
	v_cmpx_le_u32_e64 v47, v8
	s_cbranch_execz .LBB314_64
; %bb.80:                               ;   in Loop: Header=BB314_66 Depth=1
	s_wait_dscnt 0x1
	v_add_co_u32 v5, vcc_lo, v5, v22
	s_wait_alu 0xfffd
	v_add_co_ci_u32_e64 v6, null, 0, v6, vcc_lo
	s_delay_alu instid0(VALU_DEP_2) | instskip(SKIP_2) | instid1(VALU_DEP_2)
	v_add_co_u32 v5, vcc_lo, v5, 0
	s_wait_dscnt 0x0
	s_wait_alu 0xfffd
	v_add_co_ci_u32_e64 v6, null, v6, v21, vcc_lo
	s_branch .LBB314_64
.LBB314_81:
                                        ; implicit-def: $vgpr17_vgpr18
                                        ; implicit-def: $vgpr6_vgpr7
                                        ; implicit-def: $vgpr19_vgpr20
                                        ; implicit-def: $vgpr21_vgpr22
                                        ; implicit-def: $vgpr23_vgpr24
                                        ; implicit-def: $vgpr25_vgpr26
                                        ; implicit-def: $vgpr27_vgpr28
                                        ; implicit-def: $vgpr4_vgpr5
	s_load_b64 s[4:5], s[0:1], 0x28
	s_and_b32 vcc_lo, exec_lo, s3
	s_wait_alu 0xfffe
	s_cbranch_vccnz .LBB314_87
	s_branch .LBB314_114
.LBB314_82:
	s_and_saveexec_b32 s5, s3
	s_cbranch_execz .LBB314_84
; %bb.83:
	s_add_co_i32 s16, ttmp9, 32
	s_mov_b32 s17, 0
	v_add_co_u32 v5, vcc_lo, v3, v1
	s_wait_alu 0xfffe
	s_lshl_b64 s[16:17], s[16:17], 4
	v_dual_mov_b32 v7, 2 :: v_dual_mov_b32 v8, 0
	s_wait_alu 0xfffe
	s_add_nc_u64 s[16:17], s[6:7], s[16:17]
	s_wait_alu 0xfffd
	v_add_co_ci_u32_e64 v6, null, v4, v2, vcc_lo
	s_wait_alu 0xfffe
	v_dual_mov_b32 v20, s17 :: v_dual_mov_b32 v19, s16
	;;#ASMSTART
	global_store_b128 v[19:20], v[5:8] off scope:SCOPE_DEV	
s_wait_storecnt 0x0
	;;#ASMEND
	ds_store_b128 v8, v[1:4] offset:10752
.LBB314_84:
	s_wait_alu 0xfffe
	s_or_b32 exec_lo, exec_lo, s5
	v_cmp_eq_u32_e32 vcc_lo, 0, v0
	s_and_b32 exec_lo, exec_lo, vcc_lo
; %bb.85:
	v_mov_b32_e32 v1, 0
	ds_store_b64 v1, v[3:4] offset:88
.LBB314_86:
	s_wait_alu 0xfffe
	s_or_b32 exec_lo, exec_lo, s4
	s_wait_dscnt 0x1
	v_cndmask_b32_e64 v4, v23, v17, s3
	v_cmp_ne_u32_e32 vcc_lo, 0, v0
	v_mov_b32_e32 v3, 0
	s_wait_loadcnt_dscnt 0x0
	s_barrier_signal -1
	s_barrier_wait -1
	global_inv scope:SCOPE_SE
	s_wait_alu 0xfffd
	v_cndmask_b32_e32 v4, 0, v4, vcc_lo
	ds_load_b64 v[1:2], v3 offset:88
	v_cndmask_b32_e64 v5, v24, v18, s3
	s_wait_loadcnt_dscnt 0x0
	s_barrier_signal -1
	s_barrier_wait -1
	global_inv scope:SCOPE_SE
	v_cndmask_b32_e32 v5, 0, v5, vcc_lo
	v_add_co_u32 v27, vcc_lo, v1, v4
	s_wait_alu 0xfffd
	s_delay_alu instid0(VALU_DEP_2) | instskip(SKIP_4) | instid1(VALU_DEP_2)
	v_add_co_ci_u32_e64 v28, null, v2, v5, vcc_lo
	ds_load_b128 v[2:5], v3 offset:10752
	v_add_co_u32 v25, vcc_lo, v27, v37
	s_wait_alu 0xfffd
	v_add_co_ci_u32_e64 v26, null, 0, v28, vcc_lo
	v_add_co_u32 v23, vcc_lo, v25, v36
	s_wait_alu 0xfffd
	s_delay_alu instid0(VALU_DEP_2) | instskip(NEXT) | instid1(VALU_DEP_2)
	v_add_co_ci_u32_e64 v24, null, 0, v26, vcc_lo
	v_add_co_u32 v21, vcc_lo, v23, v39
	s_wait_alu 0xfffd
	s_delay_alu instid0(VALU_DEP_2) | instskip(NEXT) | instid1(VALU_DEP_2)
	;; [unrolled: 4-line block ×4, first 2 shown]
	v_add_co_ci_u32_e64 v7, null, 0, v20, vcc_lo
	v_add_co_u32 v17, vcc_lo, v6, v35
	s_wait_alu 0xfffd
	s_delay_alu instid0(VALU_DEP_2)
	v_add_co_ci_u32_e64 v18, null, 0, v7, vcc_lo
	s_load_b64 s[4:5], s[0:1], 0x28
	s_branch .LBB314_114
.LBB314_87:
	s_wait_dscnt 0x0
	v_dual_mov_b32 v2, 0 :: v_dual_mov_b32 v3, v15
	v_mov_b32_dpp v4, v15 row_shr:1 row_mask:0xf bank_mask:0xf
	s_delay_alu instid0(VALU_DEP_2)
	v_mov_b32_dpp v1, v2 row_shr:1 row_mask:0xf bank_mask:0xf
	s_and_saveexec_b32 s0, s2
; %bb.88:
	s_delay_alu instid0(VALU_DEP_2) | instskip(SKIP_2) | instid1(VALU_DEP_2)
	v_add_co_u32 v3, vcc_lo, v15, v4
	s_wait_alu 0xfffd
	v_add_co_ci_u32_e64 v2, null, 0, v16, vcc_lo
	v_add_co_u32 v15, vcc_lo, 0, v3
	s_wait_alu 0xfffd
	s_delay_alu instid0(VALU_DEP_2) | instskip(NEXT) | instid1(VALU_DEP_1)
	v_add_co_ci_u32_e64 v16, null, v1, v2, vcc_lo
	v_mov_b32_e32 v2, v16
; %bb.89:
	s_or_b32 exec_lo, exec_lo, s0
	v_mov_b32_dpp v1, v3 row_shr:2 row_mask:0xf bank_mask:0xf
	s_delay_alu instid0(VALU_DEP_2)
	v_mov_b32_dpp v4, v2 row_shr:2 row_mask:0xf bank_mask:0xf
	v_cmp_lt_u32_e32 vcc_lo, 1, v41
	s_and_saveexec_b32 s1, vcc_lo
; %bb.90:
	s_delay_alu instid0(VALU_DEP_3) | instskip(NEXT) | instid1(VALU_DEP_1)
	v_add_co_u32 v3, s0, v15, v1
	v_add_co_ci_u32_e64 v2, null, 0, v16, s0
	s_delay_alu instid0(VALU_DEP_2) | instskip(SKIP_1) | instid1(VALU_DEP_2)
	v_add_co_u32 v1, s0, 0, v3
	s_wait_alu 0xf1ff
	v_add_co_ci_u32_e64 v2, null, v4, v2, s0
	s_delay_alu instid0(VALU_DEP_1)
	v_dual_mov_b32 v16, v2 :: v_dual_mov_b32 v15, v1
; %bb.91:
	s_or_b32 exec_lo, exec_lo, s1
	v_mov_b32_dpp v1, v3 row_shr:4 row_mask:0xf bank_mask:0xf
	v_mov_b32_dpp v4, v2 row_shr:4 row_mask:0xf bank_mask:0xf
	v_cmp_lt_u32_e64 s0, 3, v41
	s_and_saveexec_b32 s3, s0
; %bb.92:
	v_add_co_u32 v3, s1, v15, v1
	s_wait_alu 0xf1ff
	v_add_co_ci_u32_e64 v2, null, 0, v16, s1
	s_delay_alu instid0(VALU_DEP_2) | instskip(SKIP_1) | instid1(VALU_DEP_2)
	v_add_co_u32 v1, s1, 0, v3
	s_wait_alu 0xf1ff
	v_add_co_ci_u32_e64 v2, null, v4, v2, s1
	s_delay_alu instid0(VALU_DEP_1)
	v_dual_mov_b32 v16, v2 :: v_dual_mov_b32 v15, v1
; %bb.93:
	s_wait_alu 0xfffe
	s_or_b32 exec_lo, exec_lo, s3
	v_mov_b32_dpp v4, v3 row_shr:8 row_mask:0xf bank_mask:0xf
	v_mov_b32_dpp v1, v2 row_shr:8 row_mask:0xf bank_mask:0xf
	v_cmp_lt_u32_e64 s1, 7, v41
	s_and_saveexec_b32 s15, s1
; %bb.94:
	v_add_co_u32 v3, s3, v15, v4
	s_wait_alu 0xf1ff
	v_add_co_ci_u32_e64 v2, null, 0, v16, s3
	s_delay_alu instid0(VALU_DEP_2) | instskip(SKIP_1) | instid1(VALU_DEP_2)
	v_add_co_u32 v15, s3, 0, v3
	s_wait_alu 0xf1ff
	v_add_co_ci_u32_e64 v16, null, v1, v2, s3
	s_delay_alu instid0(VALU_DEP_1)
	v_mov_b32_e32 v2, v16
; %bb.95:
	s_wait_alu 0xfffe
	s_or_b32 exec_lo, exec_lo, s15
	ds_swizzle_b32 v3, v3 offset:swizzle(BROADCAST,32,15)
	ds_swizzle_b32 v1, v2 offset:swizzle(BROADCAST,32,15)
	v_and_b32_e32 v2, 16, v40
	s_mov_b32 s15, exec_lo
	s_delay_alu instid0(VALU_DEP_1)
	v_cmpx_ne_u32_e32 0, v2
	s_cbranch_execz .LBB314_97
; %bb.96:
	s_wait_dscnt 0x1
	v_add_co_u32 v2, s3, v15, v3
	s_wait_alu 0xf1ff
	v_add_co_ci_u32_e64 v3, null, 0, v16, s3
	s_delay_alu instid0(VALU_DEP_2) | instskip(SKIP_2) | instid1(VALU_DEP_2)
	v_add_co_u32 v15, s3, v2, 0
	s_wait_dscnt 0x0
	s_wait_alu 0xf1ff
	v_add_co_ci_u32_e64 v16, null, v3, v1, s3
.LBB314_97:
	s_wait_alu 0xfffe
	s_or_b32 exec_lo, exec_lo, s15
	s_wait_dscnt 0x0
	v_and_b32_e32 v1, 0x1e0, v0
	v_lshrrev_b32_e32 v3, 5, v0
	s_mov_b32 s15, exec_lo
	s_delay_alu instid0(VALU_DEP_2) | instskip(NEXT) | instid1(VALU_DEP_1)
	v_min_u32_e32 v1, 0x160, v1
	v_or_b32_e32 v1, 31, v1
	s_delay_alu instid0(VALU_DEP_1)
	v_cmpx_eq_u32_e64 v0, v1
; %bb.98:
	v_lshlrev_b32_e32 v1, 3, v3
	ds_store_b64 v1, v[15:16]
; %bb.99:
	s_wait_alu 0xfffe
	s_or_b32 exec_lo, exec_lo, s15
	s_delay_alu instid0(SALU_CYCLE_1)
	s_mov_b32 s15, exec_lo
	s_wait_loadcnt_dscnt 0x0
	s_barrier_signal -1
	s_barrier_wait -1
	global_inv scope:SCOPE_SE
	v_cmpx_gt_u32_e32 12, v0
	s_cbranch_execz .LBB314_109
; %bb.100:
	v_mad_i32_i24 v1, 0xffffffec, v0, v34
	ds_load_b64 v[1:2], v1
	s_wait_dscnt 0x0
	v_mov_b32_dpp v6, v1 row_shr:1 row_mask:0xf bank_mask:0xf
	v_mov_b32_dpp v5, v2 row_shr:1 row_mask:0xf bank_mask:0xf
	v_mov_b32_e32 v4, v1
	s_and_saveexec_b32 s3, s2
; %bb.101:
	s_delay_alu instid0(VALU_DEP_3) | instskip(SKIP_2) | instid1(VALU_DEP_2)
	v_add_co_u32 v4, s2, v1, v6
	s_wait_alu 0xf1ff
	v_add_co_ci_u32_e64 v2, null, 0, v2, s2
	v_add_co_u32 v1, s2, 0, v4
	s_wait_alu 0xf1ff
	s_delay_alu instid0(VALU_DEP_2)
	v_add_co_ci_u32_e64 v2, null, v5, v2, s2
; %bb.102:
	s_wait_alu 0xfffe
	s_or_b32 exec_lo, exec_lo, s3
	v_mov_b32_dpp v6, v4 row_shr:2 row_mask:0xf bank_mask:0xf
	s_delay_alu instid0(VALU_DEP_2)
	v_mov_b32_dpp v5, v2 row_shr:2 row_mask:0xf bank_mask:0xf
	s_and_saveexec_b32 s2, vcc_lo
; %bb.103:
	s_delay_alu instid0(VALU_DEP_2) | instskip(SKIP_2) | instid1(VALU_DEP_2)
	v_add_co_u32 v4, vcc_lo, v1, v6
	s_wait_alu 0xfffd
	v_add_co_ci_u32_e64 v2, null, 0, v2, vcc_lo
	v_add_co_u32 v1, vcc_lo, 0, v4
	s_wait_alu 0xfffd
	s_delay_alu instid0(VALU_DEP_2)
	v_add_co_ci_u32_e64 v2, null, v5, v2, vcc_lo
; %bb.104:
	s_wait_alu 0xfffe
	s_or_b32 exec_lo, exec_lo, s2
	v_mov_b32_dpp v6, v4 row_shr:4 row_mask:0xf bank_mask:0xf
	s_delay_alu instid0(VALU_DEP_2)
	v_mov_b32_dpp v5, v2 row_shr:4 row_mask:0xf bank_mask:0xf
	s_and_saveexec_b32 s2, s0
; %bb.105:
	s_delay_alu instid0(VALU_DEP_2) | instskip(SKIP_2) | instid1(VALU_DEP_2)
	v_add_co_u32 v4, vcc_lo, v1, v6
	s_wait_alu 0xfffd
	v_add_co_ci_u32_e64 v2, null, 0, v2, vcc_lo
	v_add_co_u32 v1, vcc_lo, 0, v4
	s_wait_alu 0xfffd
	s_delay_alu instid0(VALU_DEP_2)
	v_add_co_ci_u32_e64 v2, null, v5, v2, vcc_lo
; %bb.106:
	s_wait_alu 0xfffe
	s_or_b32 exec_lo, exec_lo, s2
	v_mul_i32_i24_e32 v5, 0xffffffec, v0
	v_mov_b32_dpp v6, v4 row_shr:8 row_mask:0xf bank_mask:0xf
	v_mov_b32_dpp v4, v2 row_shr:8 row_mask:0xf bank_mask:0xf
	s_and_saveexec_b32 s0, s1
; %bb.107:
	s_delay_alu instid0(VALU_DEP_2) | instskip(SKIP_2) | instid1(VALU_DEP_2)
	v_add_co_u32 v1, vcc_lo, v1, v6
	s_wait_alu 0xfffd
	v_add_co_ci_u32_e64 v2, null, 0, v2, vcc_lo
	v_add_co_u32 v1, vcc_lo, v1, 0
	s_wait_alu 0xfffd
	s_delay_alu instid0(VALU_DEP_2)
	v_add_co_ci_u32_e64 v2, null, v2, v4, vcc_lo
; %bb.108:
	s_wait_alu 0xfffe
	s_or_b32 exec_lo, exec_lo, s0
	v_add_nc_u32_e32 v4, v34, v5
	ds_store_b64 v4, v[1:2]
.LBB314_109:
	s_wait_alu 0xfffe
	s_or_b32 exec_lo, exec_lo, s15
	v_mov_b32_e32 v6, 0
	v_mov_b32_e32 v7, 0
	s_mov_b32 s0, exec_lo
	s_wait_loadcnt_dscnt 0x0
	s_barrier_signal -1
	s_barrier_wait -1
	global_inv scope:SCOPE_SE
	v_cmpx_lt_u32_e32 31, v0
; %bb.110:
	v_lshl_add_u32 v1, v3, 3, -8
	ds_load_b64 v[6:7], v1
; %bb.111:
	s_wait_alu 0xfffe
	s_or_b32 exec_lo, exec_lo, s0
	v_sub_co_u32 v1, vcc_lo, v40, 1
	v_mov_b32_e32 v5, 0
	s_delay_alu instid0(VALU_DEP_2) | instskip(SKIP_1) | instid1(VALU_DEP_1)
	v_cmp_gt_i32_e64 s0, 0, v1
	s_wait_alu 0xf1ff
	v_cndmask_b32_e64 v1, v1, v40, s0
	s_delay_alu instid0(VALU_DEP_1)
	v_lshlrev_b32_e32 v2, 2, v1
	s_wait_dscnt 0x0
	v_add_co_u32 v1, s0, v6, v15
	s_wait_alu 0xf1ff
	v_add_co_ci_u32_e64 v3, null, v7, v16, s0
	v_cmp_eq_u32_e64 s0, 0, v0
	ds_bpermute_b32 v1, v2, v1
	ds_bpermute_b32 v8, v2, v3
	ds_load_b64 v[2:3], v5 offset:88
	s_and_saveexec_b32 s1, s0
	s_cbranch_execz .LBB314_113
; %bb.112:
	s_wait_kmcnt 0x0
	s_add_nc_u64 s[2:3], s[6:7], 0x200
	v_mov_b32_e32 v4, 2
	s_wait_alu 0xfffe
	v_dual_mov_b32 v16, s3 :: v_dual_mov_b32 v15, s2
	s_wait_dscnt 0x0
	;;#ASMSTART
	global_store_b128 v[15:16], v[2:5] off scope:SCOPE_DEV	
s_wait_storecnt 0x0
	;;#ASMEND
.LBB314_113:
	s_wait_alu 0xfffe
	s_or_b32 exec_lo, exec_lo, s1
	s_wait_dscnt 0x1
	s_wait_alu 0xfffd
	v_dual_cndmask_b32 v1, v1, v6 :: v_dual_cndmask_b32 v4, v8, v7
	s_wait_loadcnt_dscnt 0x0
	s_barrier_signal -1
	s_barrier_wait -1
	s_delay_alu instid0(VALU_DEP_1)
	v_cndmask_b32_e64 v27, v1, 0, s0
	v_cndmask_b32_e64 v28, v4, 0, s0
	v_mov_b32_e32 v4, 0
	v_mov_b32_e32 v5, 0
	global_inv scope:SCOPE_SE
	v_add_co_u32 v25, vcc_lo, v27, v37
	s_wait_alu 0xfffd
	v_add_co_ci_u32_e64 v26, null, 0, v28, vcc_lo
	s_delay_alu instid0(VALU_DEP_2) | instskip(SKIP_1) | instid1(VALU_DEP_2)
	v_add_co_u32 v23, vcc_lo, v25, v36
	s_wait_alu 0xfffd
	v_add_co_ci_u32_e64 v24, null, 0, v26, vcc_lo
	s_delay_alu instid0(VALU_DEP_2) | instskip(SKIP_1) | instid1(VALU_DEP_2)
	;; [unrolled: 4-line block ×5, first 2 shown]
	v_add_co_u32 v17, vcc_lo, v6, v35
	s_wait_alu 0xfffd
	v_add_co_ci_u32_e64 v18, null, 0, v7, vcc_lo
.LBB314_114:
	v_lshrrev_b32_e32 v8, 8, v33
	v_lshrrev_b32_e32 v1, 16, v33
	v_and_b32_e32 v33, 1, v33
	s_wait_dscnt 0x0
	v_cmp_gt_u64_e32 vcc_lo, 0x181, v[2:3]
	s_mov_b32 s1, -1
	s_delay_alu instid0(VALU_DEP_2)
	v_cmp_eq_u32_e64 s0, 1, v33
	s_cbranch_vccnz .LBB314_118
; %bb.115:
	s_wait_alu 0xfffe
	s_and_b32 vcc_lo, exec_lo, s1
	s_wait_alu 0xfffe
	s_cbranch_vccnz .LBB314_133
.LBB314_116:
	v_cmp_eq_u32_e32 vcc_lo, 0, v0
	s_and_b32 s0, vcc_lo, s12
	s_wait_alu 0xfffe
	s_and_saveexec_b32 s1, s0
	s_cbranch_execnz .LBB314_150
.LBB314_117:
	s_endpgm
.LBB314_118:
	v_add_co_u32 v15, vcc_lo, v4, v2
	s_wait_alu 0xfffd
	v_add_co_ci_u32_e64 v16, null, v5, v3, vcc_lo
	s_lshl_b64 s[2:3], s[10:11], 2
	s_wait_kmcnt 0x0
	s_wait_alu 0xfffe
	s_add_nc_u64 s[2:3], s[4:5], s[2:3]
	v_cmp_lt_u64_e32 vcc_lo, v[27:28], v[15:16]
	s_or_b32 s1, s13, vcc_lo
	s_wait_alu 0xfffe
	s_and_b32 s1, s1, s0
	s_wait_alu 0xfffe
	s_and_saveexec_b32 s0, s1
	s_cbranch_execz .LBB314_120
; %bb.119:
	v_lshlrev_b64_e32 v[34:35], 2, v[27:28]
	s_delay_alu instid0(VALU_DEP_1) | instskip(SKIP_1) | instid1(VALU_DEP_2)
	v_add_co_u32 v34, vcc_lo, s2, v34
	s_wait_alu 0xfffd
	v_add_co_ci_u32_e64 v35, null, s3, v35, vcc_lo
	global_store_b32 v[34:35], v13, off
.LBB314_120:
	s_wait_alu 0xfffe
	s_or_b32 exec_lo, exec_lo, s0
	v_and_b32_e32 v28, 1, v8
	v_cmp_lt_u64_e32 vcc_lo, v[25:26], v[15:16]
	s_delay_alu instid0(VALU_DEP_2)
	v_cmp_eq_u32_e64 s0, 1, v28
	s_or_b32 s1, s13, vcc_lo
	s_wait_alu 0xfffe
	s_and_b32 s1, s1, s0
	s_wait_alu 0xfffe
	s_and_saveexec_b32 s0, s1
	s_cbranch_execz .LBB314_122
; %bb.121:
	v_lshlrev_b64_e32 v[34:35], 2, v[25:26]
	s_delay_alu instid0(VALU_DEP_1) | instskip(SKIP_1) | instid1(VALU_DEP_2)
	v_add_co_u32 v34, vcc_lo, s2, v34
	s_wait_alu 0xfffd
	v_add_co_ci_u32_e64 v35, null, s3, v35, vcc_lo
	global_store_b32 v[34:35], v14, off
.LBB314_122:
	s_wait_alu 0xfffe
	s_or_b32 exec_lo, exec_lo, s0
	v_and_b32_e32 v26, 1, v1
	v_cmp_lt_u64_e32 vcc_lo, v[23:24], v[15:16]
	s_delay_alu instid0(VALU_DEP_2)
	v_cmp_eq_u32_e64 s0, 1, v26
	;; [unrolled: 20-line block ×5, first 2 shown]
	s_or_b32 s1, s13, vcc_lo
	s_wait_alu 0xfffe
	s_and_b32 s1, s1, s0
	s_wait_alu 0xfffe
	s_and_saveexec_b32 s0, s1
	s_cbranch_execz .LBB314_130
; %bb.129:
	v_lshlrev_b64_e32 v[34:35], 2, v[6:7]
	s_delay_alu instid0(VALU_DEP_1) | instskip(SKIP_1) | instid1(VALU_DEP_2)
	v_add_co_u32 v34, vcc_lo, s2, v34
	s_wait_alu 0xfffd
	v_add_co_ci_u32_e64 v35, null, s3, v35, vcc_lo
	global_store_b32 v[34:35], v10, off
.LBB314_130:
	s_wait_alu 0xfffe
	s_or_b32 exec_lo, exec_lo, s0
	v_cmp_lt_u64_e32 vcc_lo, v[17:18], v[15:16]
	s_or_b32 s0, s13, vcc_lo
	s_wait_alu 0xfffe
	s_and_b32 s1, s0, s14
	s_wait_alu 0xfffe
	s_and_saveexec_b32 s0, s1
	s_cbranch_execz .LBB314_132
; %bb.131:
	v_lshlrev_b64_e32 v[15:16], 2, v[17:18]
	s_delay_alu instid0(VALU_DEP_1) | instskip(SKIP_1) | instid1(VALU_DEP_2)
	v_add_co_u32 v15, vcc_lo, s2, v15
	s_wait_alu 0xfffd
	v_add_co_ci_u32_e64 v16, null, s3, v16, vcc_lo
	global_store_b32 v[15:16], v29, off
.LBB314_132:
	s_wait_alu 0xfffe
	s_or_b32 exec_lo, exec_lo, s0
	s_branch .LBB314_116
.LBB314_133:
	s_mov_b32 s0, exec_lo
	v_cmpx_eq_u32_e32 1, v33
; %bb.134:
	v_sub_nc_u32_e32 v7, v27, v4
	s_delay_alu instid0(VALU_DEP_1)
	v_lshlrev_b32_e32 v7, 2, v7
	ds_store_b32 v7, v13
; %bb.135:
	s_wait_alu 0xfffe
	s_or_b32 exec_lo, exec_lo, s0
	v_and_b32_e32 v7, 1, v8
	s_mov_b32 s0, exec_lo
	s_delay_alu instid0(VALU_DEP_1)
	v_cmpx_eq_u32_e32 1, v7
; %bb.136:
	v_sub_nc_u32_e32 v7, v25, v4
	s_delay_alu instid0(VALU_DEP_1)
	v_lshlrev_b32_e32 v7, 2, v7
	ds_store_b32 v7, v14
; %bb.137:
	s_wait_alu 0xfffe
	s_or_b32 exec_lo, exec_lo, s0
	v_and_b32_e32 v1, 1, v1
	s_mov_b32 s0, exec_lo
	s_delay_alu instid0(VALU_DEP_1)
	;; [unrolled: 12-line block ×5, first 2 shown]
	v_cmpx_eq_u32_e32 1, v1
; %bb.144:
	v_sub_nc_u32_e32 v1, v6, v4
	s_delay_alu instid0(VALU_DEP_1)
	v_lshlrev_b32_e32 v1, 2, v1
	ds_store_b32 v1, v10
; %bb.145:
	s_wait_alu 0xfffe
	s_or_b32 exec_lo, exec_lo, s0
	s_and_saveexec_b32 s0, s14
; %bb.146:
	v_sub_nc_u32_e32 v1, v17, v4
	s_delay_alu instid0(VALU_DEP_1)
	v_lshlrev_b32_e32 v1, 2, v1
	ds_store_b32 v1, v29
; %bb.147:
	s_wait_alu 0xfffe
	s_or_b32 exec_lo, exec_lo, s0
	v_lshlrev_b64_e32 v[8:9], 2, v[4:5]
	v_mov_b32_e32 v7, 0
	s_lshl_b64 s[0:1], s[10:11], 2
	s_wait_storecnt 0x0
	s_wait_loadcnt_dscnt 0x0
	s_barrier_signal -1
	s_barrier_wait -1
	s_wait_kmcnt 0x0
	v_add_co_u32 v6, vcc_lo, s4, v8
	s_wait_alu 0xfffd
	v_add_co_ci_u32_e64 v8, null, s5, v9, vcc_lo
	global_inv scope:SCOPE_SE
	s_wait_alu 0xfffe
	v_add_co_u32 v10, vcc_lo, v6, s0
	v_dual_mov_b32 v1, v7 :: v_dual_add_nc_u32 v6, 0x180, v0
	s_wait_alu 0xfffd
	v_add_co_ci_u32_e64 v11, null, s1, v8, vcc_lo
	s_mov_b32 s1, 0
	v_dual_mov_b32 v9, v1 :: v_dual_mov_b32 v8, v0
.LBB314_148:                            ; =>This Inner Loop Header: Depth=1
	s_delay_alu instid0(VALU_DEP_1) | instskip(NEXT) | instid1(VALU_DEP_2)
	v_lshlrev_b32_e32 v1, 2, v8
	v_lshlrev_b64_e32 v[12:13], 2, v[8:9]
	v_dual_mov_b32 v9, v7 :: v_dual_mov_b32 v8, v6
	v_cmp_le_u64_e32 vcc_lo, v[2:3], v[6:7]
	ds_load_b32 v1, v1
	v_add_nc_u32_e32 v6, 0x180, v6
	v_add_co_u32 v12, s0, v10, v12
	s_wait_alu 0xf1ff
	v_add_co_ci_u32_e64 v13, null, v11, v13, s0
	s_wait_alu 0xfffe
	s_or_b32 s1, vcc_lo, s1
	s_wait_dscnt 0x0
	global_store_b32 v[12:13], v1, off
	s_wait_alu 0xfffe
	s_and_not1_b32 exec_lo, exec_lo, s1
	s_cbranch_execnz .LBB314_148
; %bb.149:
	s_or_b32 exec_lo, exec_lo, s1
	v_cmp_eq_u32_e32 vcc_lo, 0, v0
	s_and_b32 s0, vcc_lo, s12
	s_wait_alu 0xfffe
	s_and_saveexec_b32 s1, s0
	s_cbranch_execz .LBB314_117
.LBB314_150:
	v_add_co_u32 v0, vcc_lo, v4, v2
	s_wait_alu 0xfffd
	v_add_co_ci_u32_e64 v1, null, v5, v3, vcc_lo
	v_mov_b32_e32 v2, 0
	s_delay_alu instid0(VALU_DEP_3) | instskip(SKIP_1) | instid1(VALU_DEP_3)
	v_add_co_u32 v0, vcc_lo, v0, s10
	s_wait_alu 0xfffd
	v_add_co_ci_u32_e64 v1, null, s11, v1, vcc_lo
	global_store_b64 v2, v[0:1], s[8:9]
	s_endpgm
	.section	.rodata,"a",@progbits
	.p2align	6, 0x0
	.amdhsa_kernel _ZN7rocprim17ROCPRIM_400000_NS6detail17trampoline_kernelINS0_14default_configENS1_25partition_config_selectorILNS1_17partition_subalgoE6EfNS0_10empty_typeEbEEZZNS1_14partition_implILS5_6ELb0ES3_mN6thrust23THRUST_200600_302600_NS6detail15normal_iteratorINSA_10device_ptrIfEEEEPS6_SG_NS0_5tupleIJSF_S6_EEENSH_IJSG_SG_EEES6_PlJNSB_9not_fun_tINSB_14equal_to_valueIfEEEEEEE10hipError_tPvRmT3_T4_T5_T6_T7_T9_mT8_P12ihipStream_tbDpT10_ENKUlT_T0_E_clISt17integral_constantIbLb0EES18_EEDaS13_S14_EUlS13_E_NS1_11comp_targetILNS1_3genE10ELNS1_11target_archE1200ELNS1_3gpuE4ELNS1_3repE0EEENS1_30default_config_static_selectorELNS0_4arch9wavefront6targetE0EEEvT1_
		.amdhsa_group_segment_fixed_size 10768
		.amdhsa_private_segment_fixed_size 0
		.amdhsa_kernarg_size 120
		.amdhsa_user_sgpr_count 2
		.amdhsa_user_sgpr_dispatch_ptr 0
		.amdhsa_user_sgpr_queue_ptr 0
		.amdhsa_user_sgpr_kernarg_segment_ptr 1
		.amdhsa_user_sgpr_dispatch_id 0
		.amdhsa_user_sgpr_private_segment_size 0
		.amdhsa_wavefront_size32 1
		.amdhsa_uses_dynamic_stack 0
		.amdhsa_enable_private_segment 0
		.amdhsa_system_sgpr_workgroup_id_x 1
		.amdhsa_system_sgpr_workgroup_id_y 0
		.amdhsa_system_sgpr_workgroup_id_z 0
		.amdhsa_system_sgpr_workgroup_info 0
		.amdhsa_system_vgpr_workitem_id 0
		.amdhsa_next_free_vgpr 49
		.amdhsa_next_free_sgpr 18
		.amdhsa_reserve_vcc 1
		.amdhsa_float_round_mode_32 0
		.amdhsa_float_round_mode_16_64 0
		.amdhsa_float_denorm_mode_32 3
		.amdhsa_float_denorm_mode_16_64 3
		.amdhsa_fp16_overflow 0
		.amdhsa_workgroup_processor_mode 1
		.amdhsa_memory_ordered 1
		.amdhsa_forward_progress 1
		.amdhsa_inst_pref_size 59
		.amdhsa_round_robin_scheduling 0
		.amdhsa_exception_fp_ieee_invalid_op 0
		.amdhsa_exception_fp_denorm_src 0
		.amdhsa_exception_fp_ieee_div_zero 0
		.amdhsa_exception_fp_ieee_overflow 0
		.amdhsa_exception_fp_ieee_underflow 0
		.amdhsa_exception_fp_ieee_inexact 0
		.amdhsa_exception_int_div_zero 0
	.end_amdhsa_kernel
	.section	.text._ZN7rocprim17ROCPRIM_400000_NS6detail17trampoline_kernelINS0_14default_configENS1_25partition_config_selectorILNS1_17partition_subalgoE6EfNS0_10empty_typeEbEEZZNS1_14partition_implILS5_6ELb0ES3_mN6thrust23THRUST_200600_302600_NS6detail15normal_iteratorINSA_10device_ptrIfEEEEPS6_SG_NS0_5tupleIJSF_S6_EEENSH_IJSG_SG_EEES6_PlJNSB_9not_fun_tINSB_14equal_to_valueIfEEEEEEE10hipError_tPvRmT3_T4_T5_T6_T7_T9_mT8_P12ihipStream_tbDpT10_ENKUlT_T0_E_clISt17integral_constantIbLb0EES18_EEDaS13_S14_EUlS13_E_NS1_11comp_targetILNS1_3genE10ELNS1_11target_archE1200ELNS1_3gpuE4ELNS1_3repE0EEENS1_30default_config_static_selectorELNS0_4arch9wavefront6targetE0EEEvT1_,"axG",@progbits,_ZN7rocprim17ROCPRIM_400000_NS6detail17trampoline_kernelINS0_14default_configENS1_25partition_config_selectorILNS1_17partition_subalgoE6EfNS0_10empty_typeEbEEZZNS1_14partition_implILS5_6ELb0ES3_mN6thrust23THRUST_200600_302600_NS6detail15normal_iteratorINSA_10device_ptrIfEEEEPS6_SG_NS0_5tupleIJSF_S6_EEENSH_IJSG_SG_EEES6_PlJNSB_9not_fun_tINSB_14equal_to_valueIfEEEEEEE10hipError_tPvRmT3_T4_T5_T6_T7_T9_mT8_P12ihipStream_tbDpT10_ENKUlT_T0_E_clISt17integral_constantIbLb0EES18_EEDaS13_S14_EUlS13_E_NS1_11comp_targetILNS1_3genE10ELNS1_11target_archE1200ELNS1_3gpuE4ELNS1_3repE0EEENS1_30default_config_static_selectorELNS0_4arch9wavefront6targetE0EEEvT1_,comdat
.Lfunc_end314:
	.size	_ZN7rocprim17ROCPRIM_400000_NS6detail17trampoline_kernelINS0_14default_configENS1_25partition_config_selectorILNS1_17partition_subalgoE6EfNS0_10empty_typeEbEEZZNS1_14partition_implILS5_6ELb0ES3_mN6thrust23THRUST_200600_302600_NS6detail15normal_iteratorINSA_10device_ptrIfEEEEPS6_SG_NS0_5tupleIJSF_S6_EEENSH_IJSG_SG_EEES6_PlJNSB_9not_fun_tINSB_14equal_to_valueIfEEEEEEE10hipError_tPvRmT3_T4_T5_T6_T7_T9_mT8_P12ihipStream_tbDpT10_ENKUlT_T0_E_clISt17integral_constantIbLb0EES18_EEDaS13_S14_EUlS13_E_NS1_11comp_targetILNS1_3genE10ELNS1_11target_archE1200ELNS1_3gpuE4ELNS1_3repE0EEENS1_30default_config_static_selectorELNS0_4arch9wavefront6targetE0EEEvT1_, .Lfunc_end314-_ZN7rocprim17ROCPRIM_400000_NS6detail17trampoline_kernelINS0_14default_configENS1_25partition_config_selectorILNS1_17partition_subalgoE6EfNS0_10empty_typeEbEEZZNS1_14partition_implILS5_6ELb0ES3_mN6thrust23THRUST_200600_302600_NS6detail15normal_iteratorINSA_10device_ptrIfEEEEPS6_SG_NS0_5tupleIJSF_S6_EEENSH_IJSG_SG_EEES6_PlJNSB_9not_fun_tINSB_14equal_to_valueIfEEEEEEE10hipError_tPvRmT3_T4_T5_T6_T7_T9_mT8_P12ihipStream_tbDpT10_ENKUlT_T0_E_clISt17integral_constantIbLb0EES18_EEDaS13_S14_EUlS13_E_NS1_11comp_targetILNS1_3genE10ELNS1_11target_archE1200ELNS1_3gpuE4ELNS1_3repE0EEENS1_30default_config_static_selectorELNS0_4arch9wavefront6targetE0EEEvT1_
                                        ; -- End function
	.set _ZN7rocprim17ROCPRIM_400000_NS6detail17trampoline_kernelINS0_14default_configENS1_25partition_config_selectorILNS1_17partition_subalgoE6EfNS0_10empty_typeEbEEZZNS1_14partition_implILS5_6ELb0ES3_mN6thrust23THRUST_200600_302600_NS6detail15normal_iteratorINSA_10device_ptrIfEEEEPS6_SG_NS0_5tupleIJSF_S6_EEENSH_IJSG_SG_EEES6_PlJNSB_9not_fun_tINSB_14equal_to_valueIfEEEEEEE10hipError_tPvRmT3_T4_T5_T6_T7_T9_mT8_P12ihipStream_tbDpT10_ENKUlT_T0_E_clISt17integral_constantIbLb0EES18_EEDaS13_S14_EUlS13_E_NS1_11comp_targetILNS1_3genE10ELNS1_11target_archE1200ELNS1_3gpuE4ELNS1_3repE0EEENS1_30default_config_static_selectorELNS0_4arch9wavefront6targetE0EEEvT1_.num_vgpr, 49
	.set _ZN7rocprim17ROCPRIM_400000_NS6detail17trampoline_kernelINS0_14default_configENS1_25partition_config_selectorILNS1_17partition_subalgoE6EfNS0_10empty_typeEbEEZZNS1_14partition_implILS5_6ELb0ES3_mN6thrust23THRUST_200600_302600_NS6detail15normal_iteratorINSA_10device_ptrIfEEEEPS6_SG_NS0_5tupleIJSF_S6_EEENSH_IJSG_SG_EEES6_PlJNSB_9not_fun_tINSB_14equal_to_valueIfEEEEEEE10hipError_tPvRmT3_T4_T5_T6_T7_T9_mT8_P12ihipStream_tbDpT10_ENKUlT_T0_E_clISt17integral_constantIbLb0EES18_EEDaS13_S14_EUlS13_E_NS1_11comp_targetILNS1_3genE10ELNS1_11target_archE1200ELNS1_3gpuE4ELNS1_3repE0EEENS1_30default_config_static_selectorELNS0_4arch9wavefront6targetE0EEEvT1_.num_agpr, 0
	.set _ZN7rocprim17ROCPRIM_400000_NS6detail17trampoline_kernelINS0_14default_configENS1_25partition_config_selectorILNS1_17partition_subalgoE6EfNS0_10empty_typeEbEEZZNS1_14partition_implILS5_6ELb0ES3_mN6thrust23THRUST_200600_302600_NS6detail15normal_iteratorINSA_10device_ptrIfEEEEPS6_SG_NS0_5tupleIJSF_S6_EEENSH_IJSG_SG_EEES6_PlJNSB_9not_fun_tINSB_14equal_to_valueIfEEEEEEE10hipError_tPvRmT3_T4_T5_T6_T7_T9_mT8_P12ihipStream_tbDpT10_ENKUlT_T0_E_clISt17integral_constantIbLb0EES18_EEDaS13_S14_EUlS13_E_NS1_11comp_targetILNS1_3genE10ELNS1_11target_archE1200ELNS1_3gpuE4ELNS1_3repE0EEENS1_30default_config_static_selectorELNS0_4arch9wavefront6targetE0EEEvT1_.numbered_sgpr, 18
	.set _ZN7rocprim17ROCPRIM_400000_NS6detail17trampoline_kernelINS0_14default_configENS1_25partition_config_selectorILNS1_17partition_subalgoE6EfNS0_10empty_typeEbEEZZNS1_14partition_implILS5_6ELb0ES3_mN6thrust23THRUST_200600_302600_NS6detail15normal_iteratorINSA_10device_ptrIfEEEEPS6_SG_NS0_5tupleIJSF_S6_EEENSH_IJSG_SG_EEES6_PlJNSB_9not_fun_tINSB_14equal_to_valueIfEEEEEEE10hipError_tPvRmT3_T4_T5_T6_T7_T9_mT8_P12ihipStream_tbDpT10_ENKUlT_T0_E_clISt17integral_constantIbLb0EES18_EEDaS13_S14_EUlS13_E_NS1_11comp_targetILNS1_3genE10ELNS1_11target_archE1200ELNS1_3gpuE4ELNS1_3repE0EEENS1_30default_config_static_selectorELNS0_4arch9wavefront6targetE0EEEvT1_.num_named_barrier, 0
	.set _ZN7rocprim17ROCPRIM_400000_NS6detail17trampoline_kernelINS0_14default_configENS1_25partition_config_selectorILNS1_17partition_subalgoE6EfNS0_10empty_typeEbEEZZNS1_14partition_implILS5_6ELb0ES3_mN6thrust23THRUST_200600_302600_NS6detail15normal_iteratorINSA_10device_ptrIfEEEEPS6_SG_NS0_5tupleIJSF_S6_EEENSH_IJSG_SG_EEES6_PlJNSB_9not_fun_tINSB_14equal_to_valueIfEEEEEEE10hipError_tPvRmT3_T4_T5_T6_T7_T9_mT8_P12ihipStream_tbDpT10_ENKUlT_T0_E_clISt17integral_constantIbLb0EES18_EEDaS13_S14_EUlS13_E_NS1_11comp_targetILNS1_3genE10ELNS1_11target_archE1200ELNS1_3gpuE4ELNS1_3repE0EEENS1_30default_config_static_selectorELNS0_4arch9wavefront6targetE0EEEvT1_.private_seg_size, 0
	.set _ZN7rocprim17ROCPRIM_400000_NS6detail17trampoline_kernelINS0_14default_configENS1_25partition_config_selectorILNS1_17partition_subalgoE6EfNS0_10empty_typeEbEEZZNS1_14partition_implILS5_6ELb0ES3_mN6thrust23THRUST_200600_302600_NS6detail15normal_iteratorINSA_10device_ptrIfEEEEPS6_SG_NS0_5tupleIJSF_S6_EEENSH_IJSG_SG_EEES6_PlJNSB_9not_fun_tINSB_14equal_to_valueIfEEEEEEE10hipError_tPvRmT3_T4_T5_T6_T7_T9_mT8_P12ihipStream_tbDpT10_ENKUlT_T0_E_clISt17integral_constantIbLb0EES18_EEDaS13_S14_EUlS13_E_NS1_11comp_targetILNS1_3genE10ELNS1_11target_archE1200ELNS1_3gpuE4ELNS1_3repE0EEENS1_30default_config_static_selectorELNS0_4arch9wavefront6targetE0EEEvT1_.uses_vcc, 1
	.set _ZN7rocprim17ROCPRIM_400000_NS6detail17trampoline_kernelINS0_14default_configENS1_25partition_config_selectorILNS1_17partition_subalgoE6EfNS0_10empty_typeEbEEZZNS1_14partition_implILS5_6ELb0ES3_mN6thrust23THRUST_200600_302600_NS6detail15normal_iteratorINSA_10device_ptrIfEEEEPS6_SG_NS0_5tupleIJSF_S6_EEENSH_IJSG_SG_EEES6_PlJNSB_9not_fun_tINSB_14equal_to_valueIfEEEEEEE10hipError_tPvRmT3_T4_T5_T6_T7_T9_mT8_P12ihipStream_tbDpT10_ENKUlT_T0_E_clISt17integral_constantIbLb0EES18_EEDaS13_S14_EUlS13_E_NS1_11comp_targetILNS1_3genE10ELNS1_11target_archE1200ELNS1_3gpuE4ELNS1_3repE0EEENS1_30default_config_static_selectorELNS0_4arch9wavefront6targetE0EEEvT1_.uses_flat_scratch, 1
	.set _ZN7rocprim17ROCPRIM_400000_NS6detail17trampoline_kernelINS0_14default_configENS1_25partition_config_selectorILNS1_17partition_subalgoE6EfNS0_10empty_typeEbEEZZNS1_14partition_implILS5_6ELb0ES3_mN6thrust23THRUST_200600_302600_NS6detail15normal_iteratorINSA_10device_ptrIfEEEEPS6_SG_NS0_5tupleIJSF_S6_EEENSH_IJSG_SG_EEES6_PlJNSB_9not_fun_tINSB_14equal_to_valueIfEEEEEEE10hipError_tPvRmT3_T4_T5_T6_T7_T9_mT8_P12ihipStream_tbDpT10_ENKUlT_T0_E_clISt17integral_constantIbLb0EES18_EEDaS13_S14_EUlS13_E_NS1_11comp_targetILNS1_3genE10ELNS1_11target_archE1200ELNS1_3gpuE4ELNS1_3repE0EEENS1_30default_config_static_selectorELNS0_4arch9wavefront6targetE0EEEvT1_.has_dyn_sized_stack, 0
	.set _ZN7rocprim17ROCPRIM_400000_NS6detail17trampoline_kernelINS0_14default_configENS1_25partition_config_selectorILNS1_17partition_subalgoE6EfNS0_10empty_typeEbEEZZNS1_14partition_implILS5_6ELb0ES3_mN6thrust23THRUST_200600_302600_NS6detail15normal_iteratorINSA_10device_ptrIfEEEEPS6_SG_NS0_5tupleIJSF_S6_EEENSH_IJSG_SG_EEES6_PlJNSB_9not_fun_tINSB_14equal_to_valueIfEEEEEEE10hipError_tPvRmT3_T4_T5_T6_T7_T9_mT8_P12ihipStream_tbDpT10_ENKUlT_T0_E_clISt17integral_constantIbLb0EES18_EEDaS13_S14_EUlS13_E_NS1_11comp_targetILNS1_3genE10ELNS1_11target_archE1200ELNS1_3gpuE4ELNS1_3repE0EEENS1_30default_config_static_selectorELNS0_4arch9wavefront6targetE0EEEvT1_.has_recursion, 0
	.set _ZN7rocprim17ROCPRIM_400000_NS6detail17trampoline_kernelINS0_14default_configENS1_25partition_config_selectorILNS1_17partition_subalgoE6EfNS0_10empty_typeEbEEZZNS1_14partition_implILS5_6ELb0ES3_mN6thrust23THRUST_200600_302600_NS6detail15normal_iteratorINSA_10device_ptrIfEEEEPS6_SG_NS0_5tupleIJSF_S6_EEENSH_IJSG_SG_EEES6_PlJNSB_9not_fun_tINSB_14equal_to_valueIfEEEEEEE10hipError_tPvRmT3_T4_T5_T6_T7_T9_mT8_P12ihipStream_tbDpT10_ENKUlT_T0_E_clISt17integral_constantIbLb0EES18_EEDaS13_S14_EUlS13_E_NS1_11comp_targetILNS1_3genE10ELNS1_11target_archE1200ELNS1_3gpuE4ELNS1_3repE0EEENS1_30default_config_static_selectorELNS0_4arch9wavefront6targetE0EEEvT1_.has_indirect_call, 0
	.section	.AMDGPU.csdata,"",@progbits
; Kernel info:
; codeLenInByte = 7468
; TotalNumSgprs: 20
; NumVgprs: 49
; ScratchSize: 0
; MemoryBound: 0
; FloatMode: 240
; IeeeMode: 1
; LDSByteSize: 10768 bytes/workgroup (compile time only)
; SGPRBlocks: 0
; VGPRBlocks: 6
; NumSGPRsForWavesPerEU: 20
; NumVGPRsForWavesPerEU: 49
; Occupancy: 15
; WaveLimiterHint : 1
; COMPUTE_PGM_RSRC2:SCRATCH_EN: 0
; COMPUTE_PGM_RSRC2:USER_SGPR: 2
; COMPUTE_PGM_RSRC2:TRAP_HANDLER: 0
; COMPUTE_PGM_RSRC2:TGID_X_EN: 1
; COMPUTE_PGM_RSRC2:TGID_Y_EN: 0
; COMPUTE_PGM_RSRC2:TGID_Z_EN: 0
; COMPUTE_PGM_RSRC2:TIDIG_COMP_CNT: 0
	.section	.text._ZN7rocprim17ROCPRIM_400000_NS6detail17trampoline_kernelINS0_14default_configENS1_25partition_config_selectorILNS1_17partition_subalgoE6EfNS0_10empty_typeEbEEZZNS1_14partition_implILS5_6ELb0ES3_mN6thrust23THRUST_200600_302600_NS6detail15normal_iteratorINSA_10device_ptrIfEEEEPS6_SG_NS0_5tupleIJSF_S6_EEENSH_IJSG_SG_EEES6_PlJNSB_9not_fun_tINSB_14equal_to_valueIfEEEEEEE10hipError_tPvRmT3_T4_T5_T6_T7_T9_mT8_P12ihipStream_tbDpT10_ENKUlT_T0_E_clISt17integral_constantIbLb0EES18_EEDaS13_S14_EUlS13_E_NS1_11comp_targetILNS1_3genE9ELNS1_11target_archE1100ELNS1_3gpuE3ELNS1_3repE0EEENS1_30default_config_static_selectorELNS0_4arch9wavefront6targetE0EEEvT1_,"axG",@progbits,_ZN7rocprim17ROCPRIM_400000_NS6detail17trampoline_kernelINS0_14default_configENS1_25partition_config_selectorILNS1_17partition_subalgoE6EfNS0_10empty_typeEbEEZZNS1_14partition_implILS5_6ELb0ES3_mN6thrust23THRUST_200600_302600_NS6detail15normal_iteratorINSA_10device_ptrIfEEEEPS6_SG_NS0_5tupleIJSF_S6_EEENSH_IJSG_SG_EEES6_PlJNSB_9not_fun_tINSB_14equal_to_valueIfEEEEEEE10hipError_tPvRmT3_T4_T5_T6_T7_T9_mT8_P12ihipStream_tbDpT10_ENKUlT_T0_E_clISt17integral_constantIbLb0EES18_EEDaS13_S14_EUlS13_E_NS1_11comp_targetILNS1_3genE9ELNS1_11target_archE1100ELNS1_3gpuE3ELNS1_3repE0EEENS1_30default_config_static_selectorELNS0_4arch9wavefront6targetE0EEEvT1_,comdat
	.protected	_ZN7rocprim17ROCPRIM_400000_NS6detail17trampoline_kernelINS0_14default_configENS1_25partition_config_selectorILNS1_17partition_subalgoE6EfNS0_10empty_typeEbEEZZNS1_14partition_implILS5_6ELb0ES3_mN6thrust23THRUST_200600_302600_NS6detail15normal_iteratorINSA_10device_ptrIfEEEEPS6_SG_NS0_5tupleIJSF_S6_EEENSH_IJSG_SG_EEES6_PlJNSB_9not_fun_tINSB_14equal_to_valueIfEEEEEEE10hipError_tPvRmT3_T4_T5_T6_T7_T9_mT8_P12ihipStream_tbDpT10_ENKUlT_T0_E_clISt17integral_constantIbLb0EES18_EEDaS13_S14_EUlS13_E_NS1_11comp_targetILNS1_3genE9ELNS1_11target_archE1100ELNS1_3gpuE3ELNS1_3repE0EEENS1_30default_config_static_selectorELNS0_4arch9wavefront6targetE0EEEvT1_ ; -- Begin function _ZN7rocprim17ROCPRIM_400000_NS6detail17trampoline_kernelINS0_14default_configENS1_25partition_config_selectorILNS1_17partition_subalgoE6EfNS0_10empty_typeEbEEZZNS1_14partition_implILS5_6ELb0ES3_mN6thrust23THRUST_200600_302600_NS6detail15normal_iteratorINSA_10device_ptrIfEEEEPS6_SG_NS0_5tupleIJSF_S6_EEENSH_IJSG_SG_EEES6_PlJNSB_9not_fun_tINSB_14equal_to_valueIfEEEEEEE10hipError_tPvRmT3_T4_T5_T6_T7_T9_mT8_P12ihipStream_tbDpT10_ENKUlT_T0_E_clISt17integral_constantIbLb0EES18_EEDaS13_S14_EUlS13_E_NS1_11comp_targetILNS1_3genE9ELNS1_11target_archE1100ELNS1_3gpuE3ELNS1_3repE0EEENS1_30default_config_static_selectorELNS0_4arch9wavefront6targetE0EEEvT1_
	.globl	_ZN7rocprim17ROCPRIM_400000_NS6detail17trampoline_kernelINS0_14default_configENS1_25partition_config_selectorILNS1_17partition_subalgoE6EfNS0_10empty_typeEbEEZZNS1_14partition_implILS5_6ELb0ES3_mN6thrust23THRUST_200600_302600_NS6detail15normal_iteratorINSA_10device_ptrIfEEEEPS6_SG_NS0_5tupleIJSF_S6_EEENSH_IJSG_SG_EEES6_PlJNSB_9not_fun_tINSB_14equal_to_valueIfEEEEEEE10hipError_tPvRmT3_T4_T5_T6_T7_T9_mT8_P12ihipStream_tbDpT10_ENKUlT_T0_E_clISt17integral_constantIbLb0EES18_EEDaS13_S14_EUlS13_E_NS1_11comp_targetILNS1_3genE9ELNS1_11target_archE1100ELNS1_3gpuE3ELNS1_3repE0EEENS1_30default_config_static_selectorELNS0_4arch9wavefront6targetE0EEEvT1_
	.p2align	8
	.type	_ZN7rocprim17ROCPRIM_400000_NS6detail17trampoline_kernelINS0_14default_configENS1_25partition_config_selectorILNS1_17partition_subalgoE6EfNS0_10empty_typeEbEEZZNS1_14partition_implILS5_6ELb0ES3_mN6thrust23THRUST_200600_302600_NS6detail15normal_iteratorINSA_10device_ptrIfEEEEPS6_SG_NS0_5tupleIJSF_S6_EEENSH_IJSG_SG_EEES6_PlJNSB_9not_fun_tINSB_14equal_to_valueIfEEEEEEE10hipError_tPvRmT3_T4_T5_T6_T7_T9_mT8_P12ihipStream_tbDpT10_ENKUlT_T0_E_clISt17integral_constantIbLb0EES18_EEDaS13_S14_EUlS13_E_NS1_11comp_targetILNS1_3genE9ELNS1_11target_archE1100ELNS1_3gpuE3ELNS1_3repE0EEENS1_30default_config_static_selectorELNS0_4arch9wavefront6targetE0EEEvT1_,@function
_ZN7rocprim17ROCPRIM_400000_NS6detail17trampoline_kernelINS0_14default_configENS1_25partition_config_selectorILNS1_17partition_subalgoE6EfNS0_10empty_typeEbEEZZNS1_14partition_implILS5_6ELb0ES3_mN6thrust23THRUST_200600_302600_NS6detail15normal_iteratorINSA_10device_ptrIfEEEEPS6_SG_NS0_5tupleIJSF_S6_EEENSH_IJSG_SG_EEES6_PlJNSB_9not_fun_tINSB_14equal_to_valueIfEEEEEEE10hipError_tPvRmT3_T4_T5_T6_T7_T9_mT8_P12ihipStream_tbDpT10_ENKUlT_T0_E_clISt17integral_constantIbLb0EES18_EEDaS13_S14_EUlS13_E_NS1_11comp_targetILNS1_3genE9ELNS1_11target_archE1100ELNS1_3gpuE3ELNS1_3repE0EEENS1_30default_config_static_selectorELNS0_4arch9wavefront6targetE0EEEvT1_: ; @_ZN7rocprim17ROCPRIM_400000_NS6detail17trampoline_kernelINS0_14default_configENS1_25partition_config_selectorILNS1_17partition_subalgoE6EfNS0_10empty_typeEbEEZZNS1_14partition_implILS5_6ELb0ES3_mN6thrust23THRUST_200600_302600_NS6detail15normal_iteratorINSA_10device_ptrIfEEEEPS6_SG_NS0_5tupleIJSF_S6_EEENSH_IJSG_SG_EEES6_PlJNSB_9not_fun_tINSB_14equal_to_valueIfEEEEEEE10hipError_tPvRmT3_T4_T5_T6_T7_T9_mT8_P12ihipStream_tbDpT10_ENKUlT_T0_E_clISt17integral_constantIbLb0EES18_EEDaS13_S14_EUlS13_E_NS1_11comp_targetILNS1_3genE9ELNS1_11target_archE1100ELNS1_3gpuE3ELNS1_3repE0EEENS1_30default_config_static_selectorELNS0_4arch9wavefront6targetE0EEEvT1_
; %bb.0:
	.section	.rodata,"a",@progbits
	.p2align	6, 0x0
	.amdhsa_kernel _ZN7rocprim17ROCPRIM_400000_NS6detail17trampoline_kernelINS0_14default_configENS1_25partition_config_selectorILNS1_17partition_subalgoE6EfNS0_10empty_typeEbEEZZNS1_14partition_implILS5_6ELb0ES3_mN6thrust23THRUST_200600_302600_NS6detail15normal_iteratorINSA_10device_ptrIfEEEEPS6_SG_NS0_5tupleIJSF_S6_EEENSH_IJSG_SG_EEES6_PlJNSB_9not_fun_tINSB_14equal_to_valueIfEEEEEEE10hipError_tPvRmT3_T4_T5_T6_T7_T9_mT8_P12ihipStream_tbDpT10_ENKUlT_T0_E_clISt17integral_constantIbLb0EES18_EEDaS13_S14_EUlS13_E_NS1_11comp_targetILNS1_3genE9ELNS1_11target_archE1100ELNS1_3gpuE3ELNS1_3repE0EEENS1_30default_config_static_selectorELNS0_4arch9wavefront6targetE0EEEvT1_
		.amdhsa_group_segment_fixed_size 0
		.amdhsa_private_segment_fixed_size 0
		.amdhsa_kernarg_size 120
		.amdhsa_user_sgpr_count 2
		.amdhsa_user_sgpr_dispatch_ptr 0
		.amdhsa_user_sgpr_queue_ptr 0
		.amdhsa_user_sgpr_kernarg_segment_ptr 1
		.amdhsa_user_sgpr_dispatch_id 0
		.amdhsa_user_sgpr_private_segment_size 0
		.amdhsa_wavefront_size32 1
		.amdhsa_uses_dynamic_stack 0
		.amdhsa_enable_private_segment 0
		.amdhsa_system_sgpr_workgroup_id_x 1
		.amdhsa_system_sgpr_workgroup_id_y 0
		.amdhsa_system_sgpr_workgroup_id_z 0
		.amdhsa_system_sgpr_workgroup_info 0
		.amdhsa_system_vgpr_workitem_id 0
		.amdhsa_next_free_vgpr 1
		.amdhsa_next_free_sgpr 1
		.amdhsa_reserve_vcc 0
		.amdhsa_float_round_mode_32 0
		.amdhsa_float_round_mode_16_64 0
		.amdhsa_float_denorm_mode_32 3
		.amdhsa_float_denorm_mode_16_64 3
		.amdhsa_fp16_overflow 0
		.amdhsa_workgroup_processor_mode 1
		.amdhsa_memory_ordered 1
		.amdhsa_forward_progress 1
		.amdhsa_inst_pref_size 0
		.amdhsa_round_robin_scheduling 0
		.amdhsa_exception_fp_ieee_invalid_op 0
		.amdhsa_exception_fp_denorm_src 0
		.amdhsa_exception_fp_ieee_div_zero 0
		.amdhsa_exception_fp_ieee_overflow 0
		.amdhsa_exception_fp_ieee_underflow 0
		.amdhsa_exception_fp_ieee_inexact 0
		.amdhsa_exception_int_div_zero 0
	.end_amdhsa_kernel
	.section	.text._ZN7rocprim17ROCPRIM_400000_NS6detail17trampoline_kernelINS0_14default_configENS1_25partition_config_selectorILNS1_17partition_subalgoE6EfNS0_10empty_typeEbEEZZNS1_14partition_implILS5_6ELb0ES3_mN6thrust23THRUST_200600_302600_NS6detail15normal_iteratorINSA_10device_ptrIfEEEEPS6_SG_NS0_5tupleIJSF_S6_EEENSH_IJSG_SG_EEES6_PlJNSB_9not_fun_tINSB_14equal_to_valueIfEEEEEEE10hipError_tPvRmT3_T4_T5_T6_T7_T9_mT8_P12ihipStream_tbDpT10_ENKUlT_T0_E_clISt17integral_constantIbLb0EES18_EEDaS13_S14_EUlS13_E_NS1_11comp_targetILNS1_3genE9ELNS1_11target_archE1100ELNS1_3gpuE3ELNS1_3repE0EEENS1_30default_config_static_selectorELNS0_4arch9wavefront6targetE0EEEvT1_,"axG",@progbits,_ZN7rocprim17ROCPRIM_400000_NS6detail17trampoline_kernelINS0_14default_configENS1_25partition_config_selectorILNS1_17partition_subalgoE6EfNS0_10empty_typeEbEEZZNS1_14partition_implILS5_6ELb0ES3_mN6thrust23THRUST_200600_302600_NS6detail15normal_iteratorINSA_10device_ptrIfEEEEPS6_SG_NS0_5tupleIJSF_S6_EEENSH_IJSG_SG_EEES6_PlJNSB_9not_fun_tINSB_14equal_to_valueIfEEEEEEE10hipError_tPvRmT3_T4_T5_T6_T7_T9_mT8_P12ihipStream_tbDpT10_ENKUlT_T0_E_clISt17integral_constantIbLb0EES18_EEDaS13_S14_EUlS13_E_NS1_11comp_targetILNS1_3genE9ELNS1_11target_archE1100ELNS1_3gpuE3ELNS1_3repE0EEENS1_30default_config_static_selectorELNS0_4arch9wavefront6targetE0EEEvT1_,comdat
.Lfunc_end315:
	.size	_ZN7rocprim17ROCPRIM_400000_NS6detail17trampoline_kernelINS0_14default_configENS1_25partition_config_selectorILNS1_17partition_subalgoE6EfNS0_10empty_typeEbEEZZNS1_14partition_implILS5_6ELb0ES3_mN6thrust23THRUST_200600_302600_NS6detail15normal_iteratorINSA_10device_ptrIfEEEEPS6_SG_NS0_5tupleIJSF_S6_EEENSH_IJSG_SG_EEES6_PlJNSB_9not_fun_tINSB_14equal_to_valueIfEEEEEEE10hipError_tPvRmT3_T4_T5_T6_T7_T9_mT8_P12ihipStream_tbDpT10_ENKUlT_T0_E_clISt17integral_constantIbLb0EES18_EEDaS13_S14_EUlS13_E_NS1_11comp_targetILNS1_3genE9ELNS1_11target_archE1100ELNS1_3gpuE3ELNS1_3repE0EEENS1_30default_config_static_selectorELNS0_4arch9wavefront6targetE0EEEvT1_, .Lfunc_end315-_ZN7rocprim17ROCPRIM_400000_NS6detail17trampoline_kernelINS0_14default_configENS1_25partition_config_selectorILNS1_17partition_subalgoE6EfNS0_10empty_typeEbEEZZNS1_14partition_implILS5_6ELb0ES3_mN6thrust23THRUST_200600_302600_NS6detail15normal_iteratorINSA_10device_ptrIfEEEEPS6_SG_NS0_5tupleIJSF_S6_EEENSH_IJSG_SG_EEES6_PlJNSB_9not_fun_tINSB_14equal_to_valueIfEEEEEEE10hipError_tPvRmT3_T4_T5_T6_T7_T9_mT8_P12ihipStream_tbDpT10_ENKUlT_T0_E_clISt17integral_constantIbLb0EES18_EEDaS13_S14_EUlS13_E_NS1_11comp_targetILNS1_3genE9ELNS1_11target_archE1100ELNS1_3gpuE3ELNS1_3repE0EEENS1_30default_config_static_selectorELNS0_4arch9wavefront6targetE0EEEvT1_
                                        ; -- End function
	.set _ZN7rocprim17ROCPRIM_400000_NS6detail17trampoline_kernelINS0_14default_configENS1_25partition_config_selectorILNS1_17partition_subalgoE6EfNS0_10empty_typeEbEEZZNS1_14partition_implILS5_6ELb0ES3_mN6thrust23THRUST_200600_302600_NS6detail15normal_iteratorINSA_10device_ptrIfEEEEPS6_SG_NS0_5tupleIJSF_S6_EEENSH_IJSG_SG_EEES6_PlJNSB_9not_fun_tINSB_14equal_to_valueIfEEEEEEE10hipError_tPvRmT3_T4_T5_T6_T7_T9_mT8_P12ihipStream_tbDpT10_ENKUlT_T0_E_clISt17integral_constantIbLb0EES18_EEDaS13_S14_EUlS13_E_NS1_11comp_targetILNS1_3genE9ELNS1_11target_archE1100ELNS1_3gpuE3ELNS1_3repE0EEENS1_30default_config_static_selectorELNS0_4arch9wavefront6targetE0EEEvT1_.num_vgpr, 0
	.set _ZN7rocprim17ROCPRIM_400000_NS6detail17trampoline_kernelINS0_14default_configENS1_25partition_config_selectorILNS1_17partition_subalgoE6EfNS0_10empty_typeEbEEZZNS1_14partition_implILS5_6ELb0ES3_mN6thrust23THRUST_200600_302600_NS6detail15normal_iteratorINSA_10device_ptrIfEEEEPS6_SG_NS0_5tupleIJSF_S6_EEENSH_IJSG_SG_EEES6_PlJNSB_9not_fun_tINSB_14equal_to_valueIfEEEEEEE10hipError_tPvRmT3_T4_T5_T6_T7_T9_mT8_P12ihipStream_tbDpT10_ENKUlT_T0_E_clISt17integral_constantIbLb0EES18_EEDaS13_S14_EUlS13_E_NS1_11comp_targetILNS1_3genE9ELNS1_11target_archE1100ELNS1_3gpuE3ELNS1_3repE0EEENS1_30default_config_static_selectorELNS0_4arch9wavefront6targetE0EEEvT1_.num_agpr, 0
	.set _ZN7rocprim17ROCPRIM_400000_NS6detail17trampoline_kernelINS0_14default_configENS1_25partition_config_selectorILNS1_17partition_subalgoE6EfNS0_10empty_typeEbEEZZNS1_14partition_implILS5_6ELb0ES3_mN6thrust23THRUST_200600_302600_NS6detail15normal_iteratorINSA_10device_ptrIfEEEEPS6_SG_NS0_5tupleIJSF_S6_EEENSH_IJSG_SG_EEES6_PlJNSB_9not_fun_tINSB_14equal_to_valueIfEEEEEEE10hipError_tPvRmT3_T4_T5_T6_T7_T9_mT8_P12ihipStream_tbDpT10_ENKUlT_T0_E_clISt17integral_constantIbLb0EES18_EEDaS13_S14_EUlS13_E_NS1_11comp_targetILNS1_3genE9ELNS1_11target_archE1100ELNS1_3gpuE3ELNS1_3repE0EEENS1_30default_config_static_selectorELNS0_4arch9wavefront6targetE0EEEvT1_.numbered_sgpr, 0
	.set _ZN7rocprim17ROCPRIM_400000_NS6detail17trampoline_kernelINS0_14default_configENS1_25partition_config_selectorILNS1_17partition_subalgoE6EfNS0_10empty_typeEbEEZZNS1_14partition_implILS5_6ELb0ES3_mN6thrust23THRUST_200600_302600_NS6detail15normal_iteratorINSA_10device_ptrIfEEEEPS6_SG_NS0_5tupleIJSF_S6_EEENSH_IJSG_SG_EEES6_PlJNSB_9not_fun_tINSB_14equal_to_valueIfEEEEEEE10hipError_tPvRmT3_T4_T5_T6_T7_T9_mT8_P12ihipStream_tbDpT10_ENKUlT_T0_E_clISt17integral_constantIbLb0EES18_EEDaS13_S14_EUlS13_E_NS1_11comp_targetILNS1_3genE9ELNS1_11target_archE1100ELNS1_3gpuE3ELNS1_3repE0EEENS1_30default_config_static_selectorELNS0_4arch9wavefront6targetE0EEEvT1_.num_named_barrier, 0
	.set _ZN7rocprim17ROCPRIM_400000_NS6detail17trampoline_kernelINS0_14default_configENS1_25partition_config_selectorILNS1_17partition_subalgoE6EfNS0_10empty_typeEbEEZZNS1_14partition_implILS5_6ELb0ES3_mN6thrust23THRUST_200600_302600_NS6detail15normal_iteratorINSA_10device_ptrIfEEEEPS6_SG_NS0_5tupleIJSF_S6_EEENSH_IJSG_SG_EEES6_PlJNSB_9not_fun_tINSB_14equal_to_valueIfEEEEEEE10hipError_tPvRmT3_T4_T5_T6_T7_T9_mT8_P12ihipStream_tbDpT10_ENKUlT_T0_E_clISt17integral_constantIbLb0EES18_EEDaS13_S14_EUlS13_E_NS1_11comp_targetILNS1_3genE9ELNS1_11target_archE1100ELNS1_3gpuE3ELNS1_3repE0EEENS1_30default_config_static_selectorELNS0_4arch9wavefront6targetE0EEEvT1_.private_seg_size, 0
	.set _ZN7rocprim17ROCPRIM_400000_NS6detail17trampoline_kernelINS0_14default_configENS1_25partition_config_selectorILNS1_17partition_subalgoE6EfNS0_10empty_typeEbEEZZNS1_14partition_implILS5_6ELb0ES3_mN6thrust23THRUST_200600_302600_NS6detail15normal_iteratorINSA_10device_ptrIfEEEEPS6_SG_NS0_5tupleIJSF_S6_EEENSH_IJSG_SG_EEES6_PlJNSB_9not_fun_tINSB_14equal_to_valueIfEEEEEEE10hipError_tPvRmT3_T4_T5_T6_T7_T9_mT8_P12ihipStream_tbDpT10_ENKUlT_T0_E_clISt17integral_constantIbLb0EES18_EEDaS13_S14_EUlS13_E_NS1_11comp_targetILNS1_3genE9ELNS1_11target_archE1100ELNS1_3gpuE3ELNS1_3repE0EEENS1_30default_config_static_selectorELNS0_4arch9wavefront6targetE0EEEvT1_.uses_vcc, 0
	.set _ZN7rocprim17ROCPRIM_400000_NS6detail17trampoline_kernelINS0_14default_configENS1_25partition_config_selectorILNS1_17partition_subalgoE6EfNS0_10empty_typeEbEEZZNS1_14partition_implILS5_6ELb0ES3_mN6thrust23THRUST_200600_302600_NS6detail15normal_iteratorINSA_10device_ptrIfEEEEPS6_SG_NS0_5tupleIJSF_S6_EEENSH_IJSG_SG_EEES6_PlJNSB_9not_fun_tINSB_14equal_to_valueIfEEEEEEE10hipError_tPvRmT3_T4_T5_T6_T7_T9_mT8_P12ihipStream_tbDpT10_ENKUlT_T0_E_clISt17integral_constantIbLb0EES18_EEDaS13_S14_EUlS13_E_NS1_11comp_targetILNS1_3genE9ELNS1_11target_archE1100ELNS1_3gpuE3ELNS1_3repE0EEENS1_30default_config_static_selectorELNS0_4arch9wavefront6targetE0EEEvT1_.uses_flat_scratch, 0
	.set _ZN7rocprim17ROCPRIM_400000_NS6detail17trampoline_kernelINS0_14default_configENS1_25partition_config_selectorILNS1_17partition_subalgoE6EfNS0_10empty_typeEbEEZZNS1_14partition_implILS5_6ELb0ES3_mN6thrust23THRUST_200600_302600_NS6detail15normal_iteratorINSA_10device_ptrIfEEEEPS6_SG_NS0_5tupleIJSF_S6_EEENSH_IJSG_SG_EEES6_PlJNSB_9not_fun_tINSB_14equal_to_valueIfEEEEEEE10hipError_tPvRmT3_T4_T5_T6_T7_T9_mT8_P12ihipStream_tbDpT10_ENKUlT_T0_E_clISt17integral_constantIbLb0EES18_EEDaS13_S14_EUlS13_E_NS1_11comp_targetILNS1_3genE9ELNS1_11target_archE1100ELNS1_3gpuE3ELNS1_3repE0EEENS1_30default_config_static_selectorELNS0_4arch9wavefront6targetE0EEEvT1_.has_dyn_sized_stack, 0
	.set _ZN7rocprim17ROCPRIM_400000_NS6detail17trampoline_kernelINS0_14default_configENS1_25partition_config_selectorILNS1_17partition_subalgoE6EfNS0_10empty_typeEbEEZZNS1_14partition_implILS5_6ELb0ES3_mN6thrust23THRUST_200600_302600_NS6detail15normal_iteratorINSA_10device_ptrIfEEEEPS6_SG_NS0_5tupleIJSF_S6_EEENSH_IJSG_SG_EEES6_PlJNSB_9not_fun_tINSB_14equal_to_valueIfEEEEEEE10hipError_tPvRmT3_T4_T5_T6_T7_T9_mT8_P12ihipStream_tbDpT10_ENKUlT_T0_E_clISt17integral_constantIbLb0EES18_EEDaS13_S14_EUlS13_E_NS1_11comp_targetILNS1_3genE9ELNS1_11target_archE1100ELNS1_3gpuE3ELNS1_3repE0EEENS1_30default_config_static_selectorELNS0_4arch9wavefront6targetE0EEEvT1_.has_recursion, 0
	.set _ZN7rocprim17ROCPRIM_400000_NS6detail17trampoline_kernelINS0_14default_configENS1_25partition_config_selectorILNS1_17partition_subalgoE6EfNS0_10empty_typeEbEEZZNS1_14partition_implILS5_6ELb0ES3_mN6thrust23THRUST_200600_302600_NS6detail15normal_iteratorINSA_10device_ptrIfEEEEPS6_SG_NS0_5tupleIJSF_S6_EEENSH_IJSG_SG_EEES6_PlJNSB_9not_fun_tINSB_14equal_to_valueIfEEEEEEE10hipError_tPvRmT3_T4_T5_T6_T7_T9_mT8_P12ihipStream_tbDpT10_ENKUlT_T0_E_clISt17integral_constantIbLb0EES18_EEDaS13_S14_EUlS13_E_NS1_11comp_targetILNS1_3genE9ELNS1_11target_archE1100ELNS1_3gpuE3ELNS1_3repE0EEENS1_30default_config_static_selectorELNS0_4arch9wavefront6targetE0EEEvT1_.has_indirect_call, 0
	.section	.AMDGPU.csdata,"",@progbits
; Kernel info:
; codeLenInByte = 0
; TotalNumSgprs: 0
; NumVgprs: 0
; ScratchSize: 0
; MemoryBound: 0
; FloatMode: 240
; IeeeMode: 1
; LDSByteSize: 0 bytes/workgroup (compile time only)
; SGPRBlocks: 0
; VGPRBlocks: 0
; NumSGPRsForWavesPerEU: 1
; NumVGPRsForWavesPerEU: 1
; Occupancy: 16
; WaveLimiterHint : 0
; COMPUTE_PGM_RSRC2:SCRATCH_EN: 0
; COMPUTE_PGM_RSRC2:USER_SGPR: 2
; COMPUTE_PGM_RSRC2:TRAP_HANDLER: 0
; COMPUTE_PGM_RSRC2:TGID_X_EN: 1
; COMPUTE_PGM_RSRC2:TGID_Y_EN: 0
; COMPUTE_PGM_RSRC2:TGID_Z_EN: 0
; COMPUTE_PGM_RSRC2:TIDIG_COMP_CNT: 0
	.section	.text._ZN7rocprim17ROCPRIM_400000_NS6detail17trampoline_kernelINS0_14default_configENS1_25partition_config_selectorILNS1_17partition_subalgoE6EfNS0_10empty_typeEbEEZZNS1_14partition_implILS5_6ELb0ES3_mN6thrust23THRUST_200600_302600_NS6detail15normal_iteratorINSA_10device_ptrIfEEEEPS6_SG_NS0_5tupleIJSF_S6_EEENSH_IJSG_SG_EEES6_PlJNSB_9not_fun_tINSB_14equal_to_valueIfEEEEEEE10hipError_tPvRmT3_T4_T5_T6_T7_T9_mT8_P12ihipStream_tbDpT10_ENKUlT_T0_E_clISt17integral_constantIbLb0EES18_EEDaS13_S14_EUlS13_E_NS1_11comp_targetILNS1_3genE8ELNS1_11target_archE1030ELNS1_3gpuE2ELNS1_3repE0EEENS1_30default_config_static_selectorELNS0_4arch9wavefront6targetE0EEEvT1_,"axG",@progbits,_ZN7rocprim17ROCPRIM_400000_NS6detail17trampoline_kernelINS0_14default_configENS1_25partition_config_selectorILNS1_17partition_subalgoE6EfNS0_10empty_typeEbEEZZNS1_14partition_implILS5_6ELb0ES3_mN6thrust23THRUST_200600_302600_NS6detail15normal_iteratorINSA_10device_ptrIfEEEEPS6_SG_NS0_5tupleIJSF_S6_EEENSH_IJSG_SG_EEES6_PlJNSB_9not_fun_tINSB_14equal_to_valueIfEEEEEEE10hipError_tPvRmT3_T4_T5_T6_T7_T9_mT8_P12ihipStream_tbDpT10_ENKUlT_T0_E_clISt17integral_constantIbLb0EES18_EEDaS13_S14_EUlS13_E_NS1_11comp_targetILNS1_3genE8ELNS1_11target_archE1030ELNS1_3gpuE2ELNS1_3repE0EEENS1_30default_config_static_selectorELNS0_4arch9wavefront6targetE0EEEvT1_,comdat
	.protected	_ZN7rocprim17ROCPRIM_400000_NS6detail17trampoline_kernelINS0_14default_configENS1_25partition_config_selectorILNS1_17partition_subalgoE6EfNS0_10empty_typeEbEEZZNS1_14partition_implILS5_6ELb0ES3_mN6thrust23THRUST_200600_302600_NS6detail15normal_iteratorINSA_10device_ptrIfEEEEPS6_SG_NS0_5tupleIJSF_S6_EEENSH_IJSG_SG_EEES6_PlJNSB_9not_fun_tINSB_14equal_to_valueIfEEEEEEE10hipError_tPvRmT3_T4_T5_T6_T7_T9_mT8_P12ihipStream_tbDpT10_ENKUlT_T0_E_clISt17integral_constantIbLb0EES18_EEDaS13_S14_EUlS13_E_NS1_11comp_targetILNS1_3genE8ELNS1_11target_archE1030ELNS1_3gpuE2ELNS1_3repE0EEENS1_30default_config_static_selectorELNS0_4arch9wavefront6targetE0EEEvT1_ ; -- Begin function _ZN7rocprim17ROCPRIM_400000_NS6detail17trampoline_kernelINS0_14default_configENS1_25partition_config_selectorILNS1_17partition_subalgoE6EfNS0_10empty_typeEbEEZZNS1_14partition_implILS5_6ELb0ES3_mN6thrust23THRUST_200600_302600_NS6detail15normal_iteratorINSA_10device_ptrIfEEEEPS6_SG_NS0_5tupleIJSF_S6_EEENSH_IJSG_SG_EEES6_PlJNSB_9not_fun_tINSB_14equal_to_valueIfEEEEEEE10hipError_tPvRmT3_T4_T5_T6_T7_T9_mT8_P12ihipStream_tbDpT10_ENKUlT_T0_E_clISt17integral_constantIbLb0EES18_EEDaS13_S14_EUlS13_E_NS1_11comp_targetILNS1_3genE8ELNS1_11target_archE1030ELNS1_3gpuE2ELNS1_3repE0EEENS1_30default_config_static_selectorELNS0_4arch9wavefront6targetE0EEEvT1_
	.globl	_ZN7rocprim17ROCPRIM_400000_NS6detail17trampoline_kernelINS0_14default_configENS1_25partition_config_selectorILNS1_17partition_subalgoE6EfNS0_10empty_typeEbEEZZNS1_14partition_implILS5_6ELb0ES3_mN6thrust23THRUST_200600_302600_NS6detail15normal_iteratorINSA_10device_ptrIfEEEEPS6_SG_NS0_5tupleIJSF_S6_EEENSH_IJSG_SG_EEES6_PlJNSB_9not_fun_tINSB_14equal_to_valueIfEEEEEEE10hipError_tPvRmT3_T4_T5_T6_T7_T9_mT8_P12ihipStream_tbDpT10_ENKUlT_T0_E_clISt17integral_constantIbLb0EES18_EEDaS13_S14_EUlS13_E_NS1_11comp_targetILNS1_3genE8ELNS1_11target_archE1030ELNS1_3gpuE2ELNS1_3repE0EEENS1_30default_config_static_selectorELNS0_4arch9wavefront6targetE0EEEvT1_
	.p2align	8
	.type	_ZN7rocprim17ROCPRIM_400000_NS6detail17trampoline_kernelINS0_14default_configENS1_25partition_config_selectorILNS1_17partition_subalgoE6EfNS0_10empty_typeEbEEZZNS1_14partition_implILS5_6ELb0ES3_mN6thrust23THRUST_200600_302600_NS6detail15normal_iteratorINSA_10device_ptrIfEEEEPS6_SG_NS0_5tupleIJSF_S6_EEENSH_IJSG_SG_EEES6_PlJNSB_9not_fun_tINSB_14equal_to_valueIfEEEEEEE10hipError_tPvRmT3_T4_T5_T6_T7_T9_mT8_P12ihipStream_tbDpT10_ENKUlT_T0_E_clISt17integral_constantIbLb0EES18_EEDaS13_S14_EUlS13_E_NS1_11comp_targetILNS1_3genE8ELNS1_11target_archE1030ELNS1_3gpuE2ELNS1_3repE0EEENS1_30default_config_static_selectorELNS0_4arch9wavefront6targetE0EEEvT1_,@function
_ZN7rocprim17ROCPRIM_400000_NS6detail17trampoline_kernelINS0_14default_configENS1_25partition_config_selectorILNS1_17partition_subalgoE6EfNS0_10empty_typeEbEEZZNS1_14partition_implILS5_6ELb0ES3_mN6thrust23THRUST_200600_302600_NS6detail15normal_iteratorINSA_10device_ptrIfEEEEPS6_SG_NS0_5tupleIJSF_S6_EEENSH_IJSG_SG_EEES6_PlJNSB_9not_fun_tINSB_14equal_to_valueIfEEEEEEE10hipError_tPvRmT3_T4_T5_T6_T7_T9_mT8_P12ihipStream_tbDpT10_ENKUlT_T0_E_clISt17integral_constantIbLb0EES18_EEDaS13_S14_EUlS13_E_NS1_11comp_targetILNS1_3genE8ELNS1_11target_archE1030ELNS1_3gpuE2ELNS1_3repE0EEENS1_30default_config_static_selectorELNS0_4arch9wavefront6targetE0EEEvT1_: ; @_ZN7rocprim17ROCPRIM_400000_NS6detail17trampoline_kernelINS0_14default_configENS1_25partition_config_selectorILNS1_17partition_subalgoE6EfNS0_10empty_typeEbEEZZNS1_14partition_implILS5_6ELb0ES3_mN6thrust23THRUST_200600_302600_NS6detail15normal_iteratorINSA_10device_ptrIfEEEEPS6_SG_NS0_5tupleIJSF_S6_EEENSH_IJSG_SG_EEES6_PlJNSB_9not_fun_tINSB_14equal_to_valueIfEEEEEEE10hipError_tPvRmT3_T4_T5_T6_T7_T9_mT8_P12ihipStream_tbDpT10_ENKUlT_T0_E_clISt17integral_constantIbLb0EES18_EEDaS13_S14_EUlS13_E_NS1_11comp_targetILNS1_3genE8ELNS1_11target_archE1030ELNS1_3gpuE2ELNS1_3repE0EEENS1_30default_config_static_selectorELNS0_4arch9wavefront6targetE0EEEvT1_
; %bb.0:
	.section	.rodata,"a",@progbits
	.p2align	6, 0x0
	.amdhsa_kernel _ZN7rocprim17ROCPRIM_400000_NS6detail17trampoline_kernelINS0_14default_configENS1_25partition_config_selectorILNS1_17partition_subalgoE6EfNS0_10empty_typeEbEEZZNS1_14partition_implILS5_6ELb0ES3_mN6thrust23THRUST_200600_302600_NS6detail15normal_iteratorINSA_10device_ptrIfEEEEPS6_SG_NS0_5tupleIJSF_S6_EEENSH_IJSG_SG_EEES6_PlJNSB_9not_fun_tINSB_14equal_to_valueIfEEEEEEE10hipError_tPvRmT3_T4_T5_T6_T7_T9_mT8_P12ihipStream_tbDpT10_ENKUlT_T0_E_clISt17integral_constantIbLb0EES18_EEDaS13_S14_EUlS13_E_NS1_11comp_targetILNS1_3genE8ELNS1_11target_archE1030ELNS1_3gpuE2ELNS1_3repE0EEENS1_30default_config_static_selectorELNS0_4arch9wavefront6targetE0EEEvT1_
		.amdhsa_group_segment_fixed_size 0
		.amdhsa_private_segment_fixed_size 0
		.amdhsa_kernarg_size 120
		.amdhsa_user_sgpr_count 2
		.amdhsa_user_sgpr_dispatch_ptr 0
		.amdhsa_user_sgpr_queue_ptr 0
		.amdhsa_user_sgpr_kernarg_segment_ptr 1
		.amdhsa_user_sgpr_dispatch_id 0
		.amdhsa_user_sgpr_private_segment_size 0
		.amdhsa_wavefront_size32 1
		.amdhsa_uses_dynamic_stack 0
		.amdhsa_enable_private_segment 0
		.amdhsa_system_sgpr_workgroup_id_x 1
		.amdhsa_system_sgpr_workgroup_id_y 0
		.amdhsa_system_sgpr_workgroup_id_z 0
		.amdhsa_system_sgpr_workgroup_info 0
		.amdhsa_system_vgpr_workitem_id 0
		.amdhsa_next_free_vgpr 1
		.amdhsa_next_free_sgpr 1
		.amdhsa_reserve_vcc 0
		.amdhsa_float_round_mode_32 0
		.amdhsa_float_round_mode_16_64 0
		.amdhsa_float_denorm_mode_32 3
		.amdhsa_float_denorm_mode_16_64 3
		.amdhsa_fp16_overflow 0
		.amdhsa_workgroup_processor_mode 1
		.amdhsa_memory_ordered 1
		.amdhsa_forward_progress 1
		.amdhsa_inst_pref_size 0
		.amdhsa_round_robin_scheduling 0
		.amdhsa_exception_fp_ieee_invalid_op 0
		.amdhsa_exception_fp_denorm_src 0
		.amdhsa_exception_fp_ieee_div_zero 0
		.amdhsa_exception_fp_ieee_overflow 0
		.amdhsa_exception_fp_ieee_underflow 0
		.amdhsa_exception_fp_ieee_inexact 0
		.amdhsa_exception_int_div_zero 0
	.end_amdhsa_kernel
	.section	.text._ZN7rocprim17ROCPRIM_400000_NS6detail17trampoline_kernelINS0_14default_configENS1_25partition_config_selectorILNS1_17partition_subalgoE6EfNS0_10empty_typeEbEEZZNS1_14partition_implILS5_6ELb0ES3_mN6thrust23THRUST_200600_302600_NS6detail15normal_iteratorINSA_10device_ptrIfEEEEPS6_SG_NS0_5tupleIJSF_S6_EEENSH_IJSG_SG_EEES6_PlJNSB_9not_fun_tINSB_14equal_to_valueIfEEEEEEE10hipError_tPvRmT3_T4_T5_T6_T7_T9_mT8_P12ihipStream_tbDpT10_ENKUlT_T0_E_clISt17integral_constantIbLb0EES18_EEDaS13_S14_EUlS13_E_NS1_11comp_targetILNS1_3genE8ELNS1_11target_archE1030ELNS1_3gpuE2ELNS1_3repE0EEENS1_30default_config_static_selectorELNS0_4arch9wavefront6targetE0EEEvT1_,"axG",@progbits,_ZN7rocprim17ROCPRIM_400000_NS6detail17trampoline_kernelINS0_14default_configENS1_25partition_config_selectorILNS1_17partition_subalgoE6EfNS0_10empty_typeEbEEZZNS1_14partition_implILS5_6ELb0ES3_mN6thrust23THRUST_200600_302600_NS6detail15normal_iteratorINSA_10device_ptrIfEEEEPS6_SG_NS0_5tupleIJSF_S6_EEENSH_IJSG_SG_EEES6_PlJNSB_9not_fun_tINSB_14equal_to_valueIfEEEEEEE10hipError_tPvRmT3_T4_T5_T6_T7_T9_mT8_P12ihipStream_tbDpT10_ENKUlT_T0_E_clISt17integral_constantIbLb0EES18_EEDaS13_S14_EUlS13_E_NS1_11comp_targetILNS1_3genE8ELNS1_11target_archE1030ELNS1_3gpuE2ELNS1_3repE0EEENS1_30default_config_static_selectorELNS0_4arch9wavefront6targetE0EEEvT1_,comdat
.Lfunc_end316:
	.size	_ZN7rocprim17ROCPRIM_400000_NS6detail17trampoline_kernelINS0_14default_configENS1_25partition_config_selectorILNS1_17partition_subalgoE6EfNS0_10empty_typeEbEEZZNS1_14partition_implILS5_6ELb0ES3_mN6thrust23THRUST_200600_302600_NS6detail15normal_iteratorINSA_10device_ptrIfEEEEPS6_SG_NS0_5tupleIJSF_S6_EEENSH_IJSG_SG_EEES6_PlJNSB_9not_fun_tINSB_14equal_to_valueIfEEEEEEE10hipError_tPvRmT3_T4_T5_T6_T7_T9_mT8_P12ihipStream_tbDpT10_ENKUlT_T0_E_clISt17integral_constantIbLb0EES18_EEDaS13_S14_EUlS13_E_NS1_11comp_targetILNS1_3genE8ELNS1_11target_archE1030ELNS1_3gpuE2ELNS1_3repE0EEENS1_30default_config_static_selectorELNS0_4arch9wavefront6targetE0EEEvT1_, .Lfunc_end316-_ZN7rocprim17ROCPRIM_400000_NS6detail17trampoline_kernelINS0_14default_configENS1_25partition_config_selectorILNS1_17partition_subalgoE6EfNS0_10empty_typeEbEEZZNS1_14partition_implILS5_6ELb0ES3_mN6thrust23THRUST_200600_302600_NS6detail15normal_iteratorINSA_10device_ptrIfEEEEPS6_SG_NS0_5tupleIJSF_S6_EEENSH_IJSG_SG_EEES6_PlJNSB_9not_fun_tINSB_14equal_to_valueIfEEEEEEE10hipError_tPvRmT3_T4_T5_T6_T7_T9_mT8_P12ihipStream_tbDpT10_ENKUlT_T0_E_clISt17integral_constantIbLb0EES18_EEDaS13_S14_EUlS13_E_NS1_11comp_targetILNS1_3genE8ELNS1_11target_archE1030ELNS1_3gpuE2ELNS1_3repE0EEENS1_30default_config_static_selectorELNS0_4arch9wavefront6targetE0EEEvT1_
                                        ; -- End function
	.set _ZN7rocprim17ROCPRIM_400000_NS6detail17trampoline_kernelINS0_14default_configENS1_25partition_config_selectorILNS1_17partition_subalgoE6EfNS0_10empty_typeEbEEZZNS1_14partition_implILS5_6ELb0ES3_mN6thrust23THRUST_200600_302600_NS6detail15normal_iteratorINSA_10device_ptrIfEEEEPS6_SG_NS0_5tupleIJSF_S6_EEENSH_IJSG_SG_EEES6_PlJNSB_9not_fun_tINSB_14equal_to_valueIfEEEEEEE10hipError_tPvRmT3_T4_T5_T6_T7_T9_mT8_P12ihipStream_tbDpT10_ENKUlT_T0_E_clISt17integral_constantIbLb0EES18_EEDaS13_S14_EUlS13_E_NS1_11comp_targetILNS1_3genE8ELNS1_11target_archE1030ELNS1_3gpuE2ELNS1_3repE0EEENS1_30default_config_static_selectorELNS0_4arch9wavefront6targetE0EEEvT1_.num_vgpr, 0
	.set _ZN7rocprim17ROCPRIM_400000_NS6detail17trampoline_kernelINS0_14default_configENS1_25partition_config_selectorILNS1_17partition_subalgoE6EfNS0_10empty_typeEbEEZZNS1_14partition_implILS5_6ELb0ES3_mN6thrust23THRUST_200600_302600_NS6detail15normal_iteratorINSA_10device_ptrIfEEEEPS6_SG_NS0_5tupleIJSF_S6_EEENSH_IJSG_SG_EEES6_PlJNSB_9not_fun_tINSB_14equal_to_valueIfEEEEEEE10hipError_tPvRmT3_T4_T5_T6_T7_T9_mT8_P12ihipStream_tbDpT10_ENKUlT_T0_E_clISt17integral_constantIbLb0EES18_EEDaS13_S14_EUlS13_E_NS1_11comp_targetILNS1_3genE8ELNS1_11target_archE1030ELNS1_3gpuE2ELNS1_3repE0EEENS1_30default_config_static_selectorELNS0_4arch9wavefront6targetE0EEEvT1_.num_agpr, 0
	.set _ZN7rocprim17ROCPRIM_400000_NS6detail17trampoline_kernelINS0_14default_configENS1_25partition_config_selectorILNS1_17partition_subalgoE6EfNS0_10empty_typeEbEEZZNS1_14partition_implILS5_6ELb0ES3_mN6thrust23THRUST_200600_302600_NS6detail15normal_iteratorINSA_10device_ptrIfEEEEPS6_SG_NS0_5tupleIJSF_S6_EEENSH_IJSG_SG_EEES6_PlJNSB_9not_fun_tINSB_14equal_to_valueIfEEEEEEE10hipError_tPvRmT3_T4_T5_T6_T7_T9_mT8_P12ihipStream_tbDpT10_ENKUlT_T0_E_clISt17integral_constantIbLb0EES18_EEDaS13_S14_EUlS13_E_NS1_11comp_targetILNS1_3genE8ELNS1_11target_archE1030ELNS1_3gpuE2ELNS1_3repE0EEENS1_30default_config_static_selectorELNS0_4arch9wavefront6targetE0EEEvT1_.numbered_sgpr, 0
	.set _ZN7rocprim17ROCPRIM_400000_NS6detail17trampoline_kernelINS0_14default_configENS1_25partition_config_selectorILNS1_17partition_subalgoE6EfNS0_10empty_typeEbEEZZNS1_14partition_implILS5_6ELb0ES3_mN6thrust23THRUST_200600_302600_NS6detail15normal_iteratorINSA_10device_ptrIfEEEEPS6_SG_NS0_5tupleIJSF_S6_EEENSH_IJSG_SG_EEES6_PlJNSB_9not_fun_tINSB_14equal_to_valueIfEEEEEEE10hipError_tPvRmT3_T4_T5_T6_T7_T9_mT8_P12ihipStream_tbDpT10_ENKUlT_T0_E_clISt17integral_constantIbLb0EES18_EEDaS13_S14_EUlS13_E_NS1_11comp_targetILNS1_3genE8ELNS1_11target_archE1030ELNS1_3gpuE2ELNS1_3repE0EEENS1_30default_config_static_selectorELNS0_4arch9wavefront6targetE0EEEvT1_.num_named_barrier, 0
	.set _ZN7rocprim17ROCPRIM_400000_NS6detail17trampoline_kernelINS0_14default_configENS1_25partition_config_selectorILNS1_17partition_subalgoE6EfNS0_10empty_typeEbEEZZNS1_14partition_implILS5_6ELb0ES3_mN6thrust23THRUST_200600_302600_NS6detail15normal_iteratorINSA_10device_ptrIfEEEEPS6_SG_NS0_5tupleIJSF_S6_EEENSH_IJSG_SG_EEES6_PlJNSB_9not_fun_tINSB_14equal_to_valueIfEEEEEEE10hipError_tPvRmT3_T4_T5_T6_T7_T9_mT8_P12ihipStream_tbDpT10_ENKUlT_T0_E_clISt17integral_constantIbLb0EES18_EEDaS13_S14_EUlS13_E_NS1_11comp_targetILNS1_3genE8ELNS1_11target_archE1030ELNS1_3gpuE2ELNS1_3repE0EEENS1_30default_config_static_selectorELNS0_4arch9wavefront6targetE0EEEvT1_.private_seg_size, 0
	.set _ZN7rocprim17ROCPRIM_400000_NS6detail17trampoline_kernelINS0_14default_configENS1_25partition_config_selectorILNS1_17partition_subalgoE6EfNS0_10empty_typeEbEEZZNS1_14partition_implILS5_6ELb0ES3_mN6thrust23THRUST_200600_302600_NS6detail15normal_iteratorINSA_10device_ptrIfEEEEPS6_SG_NS0_5tupleIJSF_S6_EEENSH_IJSG_SG_EEES6_PlJNSB_9not_fun_tINSB_14equal_to_valueIfEEEEEEE10hipError_tPvRmT3_T4_T5_T6_T7_T9_mT8_P12ihipStream_tbDpT10_ENKUlT_T0_E_clISt17integral_constantIbLb0EES18_EEDaS13_S14_EUlS13_E_NS1_11comp_targetILNS1_3genE8ELNS1_11target_archE1030ELNS1_3gpuE2ELNS1_3repE0EEENS1_30default_config_static_selectorELNS0_4arch9wavefront6targetE0EEEvT1_.uses_vcc, 0
	.set _ZN7rocprim17ROCPRIM_400000_NS6detail17trampoline_kernelINS0_14default_configENS1_25partition_config_selectorILNS1_17partition_subalgoE6EfNS0_10empty_typeEbEEZZNS1_14partition_implILS5_6ELb0ES3_mN6thrust23THRUST_200600_302600_NS6detail15normal_iteratorINSA_10device_ptrIfEEEEPS6_SG_NS0_5tupleIJSF_S6_EEENSH_IJSG_SG_EEES6_PlJNSB_9not_fun_tINSB_14equal_to_valueIfEEEEEEE10hipError_tPvRmT3_T4_T5_T6_T7_T9_mT8_P12ihipStream_tbDpT10_ENKUlT_T0_E_clISt17integral_constantIbLb0EES18_EEDaS13_S14_EUlS13_E_NS1_11comp_targetILNS1_3genE8ELNS1_11target_archE1030ELNS1_3gpuE2ELNS1_3repE0EEENS1_30default_config_static_selectorELNS0_4arch9wavefront6targetE0EEEvT1_.uses_flat_scratch, 0
	.set _ZN7rocprim17ROCPRIM_400000_NS6detail17trampoline_kernelINS0_14default_configENS1_25partition_config_selectorILNS1_17partition_subalgoE6EfNS0_10empty_typeEbEEZZNS1_14partition_implILS5_6ELb0ES3_mN6thrust23THRUST_200600_302600_NS6detail15normal_iteratorINSA_10device_ptrIfEEEEPS6_SG_NS0_5tupleIJSF_S6_EEENSH_IJSG_SG_EEES6_PlJNSB_9not_fun_tINSB_14equal_to_valueIfEEEEEEE10hipError_tPvRmT3_T4_T5_T6_T7_T9_mT8_P12ihipStream_tbDpT10_ENKUlT_T0_E_clISt17integral_constantIbLb0EES18_EEDaS13_S14_EUlS13_E_NS1_11comp_targetILNS1_3genE8ELNS1_11target_archE1030ELNS1_3gpuE2ELNS1_3repE0EEENS1_30default_config_static_selectorELNS0_4arch9wavefront6targetE0EEEvT1_.has_dyn_sized_stack, 0
	.set _ZN7rocprim17ROCPRIM_400000_NS6detail17trampoline_kernelINS0_14default_configENS1_25partition_config_selectorILNS1_17partition_subalgoE6EfNS0_10empty_typeEbEEZZNS1_14partition_implILS5_6ELb0ES3_mN6thrust23THRUST_200600_302600_NS6detail15normal_iteratorINSA_10device_ptrIfEEEEPS6_SG_NS0_5tupleIJSF_S6_EEENSH_IJSG_SG_EEES6_PlJNSB_9not_fun_tINSB_14equal_to_valueIfEEEEEEE10hipError_tPvRmT3_T4_T5_T6_T7_T9_mT8_P12ihipStream_tbDpT10_ENKUlT_T0_E_clISt17integral_constantIbLb0EES18_EEDaS13_S14_EUlS13_E_NS1_11comp_targetILNS1_3genE8ELNS1_11target_archE1030ELNS1_3gpuE2ELNS1_3repE0EEENS1_30default_config_static_selectorELNS0_4arch9wavefront6targetE0EEEvT1_.has_recursion, 0
	.set _ZN7rocprim17ROCPRIM_400000_NS6detail17trampoline_kernelINS0_14default_configENS1_25partition_config_selectorILNS1_17partition_subalgoE6EfNS0_10empty_typeEbEEZZNS1_14partition_implILS5_6ELb0ES3_mN6thrust23THRUST_200600_302600_NS6detail15normal_iteratorINSA_10device_ptrIfEEEEPS6_SG_NS0_5tupleIJSF_S6_EEENSH_IJSG_SG_EEES6_PlJNSB_9not_fun_tINSB_14equal_to_valueIfEEEEEEE10hipError_tPvRmT3_T4_T5_T6_T7_T9_mT8_P12ihipStream_tbDpT10_ENKUlT_T0_E_clISt17integral_constantIbLb0EES18_EEDaS13_S14_EUlS13_E_NS1_11comp_targetILNS1_3genE8ELNS1_11target_archE1030ELNS1_3gpuE2ELNS1_3repE0EEENS1_30default_config_static_selectorELNS0_4arch9wavefront6targetE0EEEvT1_.has_indirect_call, 0
	.section	.AMDGPU.csdata,"",@progbits
; Kernel info:
; codeLenInByte = 0
; TotalNumSgprs: 0
; NumVgprs: 0
; ScratchSize: 0
; MemoryBound: 0
; FloatMode: 240
; IeeeMode: 1
; LDSByteSize: 0 bytes/workgroup (compile time only)
; SGPRBlocks: 0
; VGPRBlocks: 0
; NumSGPRsForWavesPerEU: 1
; NumVGPRsForWavesPerEU: 1
; Occupancy: 16
; WaveLimiterHint : 0
; COMPUTE_PGM_RSRC2:SCRATCH_EN: 0
; COMPUTE_PGM_RSRC2:USER_SGPR: 2
; COMPUTE_PGM_RSRC2:TRAP_HANDLER: 0
; COMPUTE_PGM_RSRC2:TGID_X_EN: 1
; COMPUTE_PGM_RSRC2:TGID_Y_EN: 0
; COMPUTE_PGM_RSRC2:TGID_Z_EN: 0
; COMPUTE_PGM_RSRC2:TIDIG_COMP_CNT: 0
	.section	.text._ZN7rocprim17ROCPRIM_400000_NS6detail17trampoline_kernelINS0_14default_configENS1_25partition_config_selectorILNS1_17partition_subalgoE6EfNS0_10empty_typeEbEEZZNS1_14partition_implILS5_6ELb0ES3_mN6thrust23THRUST_200600_302600_NS6detail15normal_iteratorINSA_10device_ptrIfEEEEPS6_SG_NS0_5tupleIJSF_S6_EEENSH_IJSG_SG_EEES6_PlJNSB_9not_fun_tINSB_14equal_to_valueIfEEEEEEE10hipError_tPvRmT3_T4_T5_T6_T7_T9_mT8_P12ihipStream_tbDpT10_ENKUlT_T0_E_clISt17integral_constantIbLb1EES18_EEDaS13_S14_EUlS13_E_NS1_11comp_targetILNS1_3genE0ELNS1_11target_archE4294967295ELNS1_3gpuE0ELNS1_3repE0EEENS1_30default_config_static_selectorELNS0_4arch9wavefront6targetE0EEEvT1_,"axG",@progbits,_ZN7rocprim17ROCPRIM_400000_NS6detail17trampoline_kernelINS0_14default_configENS1_25partition_config_selectorILNS1_17partition_subalgoE6EfNS0_10empty_typeEbEEZZNS1_14partition_implILS5_6ELb0ES3_mN6thrust23THRUST_200600_302600_NS6detail15normal_iteratorINSA_10device_ptrIfEEEEPS6_SG_NS0_5tupleIJSF_S6_EEENSH_IJSG_SG_EEES6_PlJNSB_9not_fun_tINSB_14equal_to_valueIfEEEEEEE10hipError_tPvRmT3_T4_T5_T6_T7_T9_mT8_P12ihipStream_tbDpT10_ENKUlT_T0_E_clISt17integral_constantIbLb1EES18_EEDaS13_S14_EUlS13_E_NS1_11comp_targetILNS1_3genE0ELNS1_11target_archE4294967295ELNS1_3gpuE0ELNS1_3repE0EEENS1_30default_config_static_selectorELNS0_4arch9wavefront6targetE0EEEvT1_,comdat
	.protected	_ZN7rocprim17ROCPRIM_400000_NS6detail17trampoline_kernelINS0_14default_configENS1_25partition_config_selectorILNS1_17partition_subalgoE6EfNS0_10empty_typeEbEEZZNS1_14partition_implILS5_6ELb0ES3_mN6thrust23THRUST_200600_302600_NS6detail15normal_iteratorINSA_10device_ptrIfEEEEPS6_SG_NS0_5tupleIJSF_S6_EEENSH_IJSG_SG_EEES6_PlJNSB_9not_fun_tINSB_14equal_to_valueIfEEEEEEE10hipError_tPvRmT3_T4_T5_T6_T7_T9_mT8_P12ihipStream_tbDpT10_ENKUlT_T0_E_clISt17integral_constantIbLb1EES18_EEDaS13_S14_EUlS13_E_NS1_11comp_targetILNS1_3genE0ELNS1_11target_archE4294967295ELNS1_3gpuE0ELNS1_3repE0EEENS1_30default_config_static_selectorELNS0_4arch9wavefront6targetE0EEEvT1_ ; -- Begin function _ZN7rocprim17ROCPRIM_400000_NS6detail17trampoline_kernelINS0_14default_configENS1_25partition_config_selectorILNS1_17partition_subalgoE6EfNS0_10empty_typeEbEEZZNS1_14partition_implILS5_6ELb0ES3_mN6thrust23THRUST_200600_302600_NS6detail15normal_iteratorINSA_10device_ptrIfEEEEPS6_SG_NS0_5tupleIJSF_S6_EEENSH_IJSG_SG_EEES6_PlJNSB_9not_fun_tINSB_14equal_to_valueIfEEEEEEE10hipError_tPvRmT3_T4_T5_T6_T7_T9_mT8_P12ihipStream_tbDpT10_ENKUlT_T0_E_clISt17integral_constantIbLb1EES18_EEDaS13_S14_EUlS13_E_NS1_11comp_targetILNS1_3genE0ELNS1_11target_archE4294967295ELNS1_3gpuE0ELNS1_3repE0EEENS1_30default_config_static_selectorELNS0_4arch9wavefront6targetE0EEEvT1_
	.globl	_ZN7rocprim17ROCPRIM_400000_NS6detail17trampoline_kernelINS0_14default_configENS1_25partition_config_selectorILNS1_17partition_subalgoE6EfNS0_10empty_typeEbEEZZNS1_14partition_implILS5_6ELb0ES3_mN6thrust23THRUST_200600_302600_NS6detail15normal_iteratorINSA_10device_ptrIfEEEEPS6_SG_NS0_5tupleIJSF_S6_EEENSH_IJSG_SG_EEES6_PlJNSB_9not_fun_tINSB_14equal_to_valueIfEEEEEEE10hipError_tPvRmT3_T4_T5_T6_T7_T9_mT8_P12ihipStream_tbDpT10_ENKUlT_T0_E_clISt17integral_constantIbLb1EES18_EEDaS13_S14_EUlS13_E_NS1_11comp_targetILNS1_3genE0ELNS1_11target_archE4294967295ELNS1_3gpuE0ELNS1_3repE0EEENS1_30default_config_static_selectorELNS0_4arch9wavefront6targetE0EEEvT1_
	.p2align	8
	.type	_ZN7rocprim17ROCPRIM_400000_NS6detail17trampoline_kernelINS0_14default_configENS1_25partition_config_selectorILNS1_17partition_subalgoE6EfNS0_10empty_typeEbEEZZNS1_14partition_implILS5_6ELb0ES3_mN6thrust23THRUST_200600_302600_NS6detail15normal_iteratorINSA_10device_ptrIfEEEEPS6_SG_NS0_5tupleIJSF_S6_EEENSH_IJSG_SG_EEES6_PlJNSB_9not_fun_tINSB_14equal_to_valueIfEEEEEEE10hipError_tPvRmT3_T4_T5_T6_T7_T9_mT8_P12ihipStream_tbDpT10_ENKUlT_T0_E_clISt17integral_constantIbLb1EES18_EEDaS13_S14_EUlS13_E_NS1_11comp_targetILNS1_3genE0ELNS1_11target_archE4294967295ELNS1_3gpuE0ELNS1_3repE0EEENS1_30default_config_static_selectorELNS0_4arch9wavefront6targetE0EEEvT1_,@function
_ZN7rocprim17ROCPRIM_400000_NS6detail17trampoline_kernelINS0_14default_configENS1_25partition_config_selectorILNS1_17partition_subalgoE6EfNS0_10empty_typeEbEEZZNS1_14partition_implILS5_6ELb0ES3_mN6thrust23THRUST_200600_302600_NS6detail15normal_iteratorINSA_10device_ptrIfEEEEPS6_SG_NS0_5tupleIJSF_S6_EEENSH_IJSG_SG_EEES6_PlJNSB_9not_fun_tINSB_14equal_to_valueIfEEEEEEE10hipError_tPvRmT3_T4_T5_T6_T7_T9_mT8_P12ihipStream_tbDpT10_ENKUlT_T0_E_clISt17integral_constantIbLb1EES18_EEDaS13_S14_EUlS13_E_NS1_11comp_targetILNS1_3genE0ELNS1_11target_archE4294967295ELNS1_3gpuE0ELNS1_3repE0EEENS1_30default_config_static_selectorELNS0_4arch9wavefront6targetE0EEEvT1_: ; @_ZN7rocprim17ROCPRIM_400000_NS6detail17trampoline_kernelINS0_14default_configENS1_25partition_config_selectorILNS1_17partition_subalgoE6EfNS0_10empty_typeEbEEZZNS1_14partition_implILS5_6ELb0ES3_mN6thrust23THRUST_200600_302600_NS6detail15normal_iteratorINSA_10device_ptrIfEEEEPS6_SG_NS0_5tupleIJSF_S6_EEENSH_IJSG_SG_EEES6_PlJNSB_9not_fun_tINSB_14equal_to_valueIfEEEEEEE10hipError_tPvRmT3_T4_T5_T6_T7_T9_mT8_P12ihipStream_tbDpT10_ENKUlT_T0_E_clISt17integral_constantIbLb1EES18_EEDaS13_S14_EUlS13_E_NS1_11comp_targetILNS1_3genE0ELNS1_11target_archE4294967295ELNS1_3gpuE0ELNS1_3repE0EEENS1_30default_config_static_selectorELNS0_4arch9wavefront6targetE0EEEvT1_
; %bb.0:
	.section	.rodata,"a",@progbits
	.p2align	6, 0x0
	.amdhsa_kernel _ZN7rocprim17ROCPRIM_400000_NS6detail17trampoline_kernelINS0_14default_configENS1_25partition_config_selectorILNS1_17partition_subalgoE6EfNS0_10empty_typeEbEEZZNS1_14partition_implILS5_6ELb0ES3_mN6thrust23THRUST_200600_302600_NS6detail15normal_iteratorINSA_10device_ptrIfEEEEPS6_SG_NS0_5tupleIJSF_S6_EEENSH_IJSG_SG_EEES6_PlJNSB_9not_fun_tINSB_14equal_to_valueIfEEEEEEE10hipError_tPvRmT3_T4_T5_T6_T7_T9_mT8_P12ihipStream_tbDpT10_ENKUlT_T0_E_clISt17integral_constantIbLb1EES18_EEDaS13_S14_EUlS13_E_NS1_11comp_targetILNS1_3genE0ELNS1_11target_archE4294967295ELNS1_3gpuE0ELNS1_3repE0EEENS1_30default_config_static_selectorELNS0_4arch9wavefront6targetE0EEEvT1_
		.amdhsa_group_segment_fixed_size 0
		.amdhsa_private_segment_fixed_size 0
		.amdhsa_kernarg_size 128
		.amdhsa_user_sgpr_count 2
		.amdhsa_user_sgpr_dispatch_ptr 0
		.amdhsa_user_sgpr_queue_ptr 0
		.amdhsa_user_sgpr_kernarg_segment_ptr 1
		.amdhsa_user_sgpr_dispatch_id 0
		.amdhsa_user_sgpr_private_segment_size 0
		.amdhsa_wavefront_size32 1
		.amdhsa_uses_dynamic_stack 0
		.amdhsa_enable_private_segment 0
		.amdhsa_system_sgpr_workgroup_id_x 1
		.amdhsa_system_sgpr_workgroup_id_y 0
		.amdhsa_system_sgpr_workgroup_id_z 0
		.amdhsa_system_sgpr_workgroup_info 0
		.amdhsa_system_vgpr_workitem_id 0
		.amdhsa_next_free_vgpr 1
		.amdhsa_next_free_sgpr 1
		.amdhsa_reserve_vcc 0
		.amdhsa_float_round_mode_32 0
		.amdhsa_float_round_mode_16_64 0
		.amdhsa_float_denorm_mode_32 3
		.amdhsa_float_denorm_mode_16_64 3
		.amdhsa_fp16_overflow 0
		.amdhsa_workgroup_processor_mode 1
		.amdhsa_memory_ordered 1
		.amdhsa_forward_progress 1
		.amdhsa_inst_pref_size 0
		.amdhsa_round_robin_scheduling 0
		.amdhsa_exception_fp_ieee_invalid_op 0
		.amdhsa_exception_fp_denorm_src 0
		.amdhsa_exception_fp_ieee_div_zero 0
		.amdhsa_exception_fp_ieee_overflow 0
		.amdhsa_exception_fp_ieee_underflow 0
		.amdhsa_exception_fp_ieee_inexact 0
		.amdhsa_exception_int_div_zero 0
	.end_amdhsa_kernel
	.section	.text._ZN7rocprim17ROCPRIM_400000_NS6detail17trampoline_kernelINS0_14default_configENS1_25partition_config_selectorILNS1_17partition_subalgoE6EfNS0_10empty_typeEbEEZZNS1_14partition_implILS5_6ELb0ES3_mN6thrust23THRUST_200600_302600_NS6detail15normal_iteratorINSA_10device_ptrIfEEEEPS6_SG_NS0_5tupleIJSF_S6_EEENSH_IJSG_SG_EEES6_PlJNSB_9not_fun_tINSB_14equal_to_valueIfEEEEEEE10hipError_tPvRmT3_T4_T5_T6_T7_T9_mT8_P12ihipStream_tbDpT10_ENKUlT_T0_E_clISt17integral_constantIbLb1EES18_EEDaS13_S14_EUlS13_E_NS1_11comp_targetILNS1_3genE0ELNS1_11target_archE4294967295ELNS1_3gpuE0ELNS1_3repE0EEENS1_30default_config_static_selectorELNS0_4arch9wavefront6targetE0EEEvT1_,"axG",@progbits,_ZN7rocprim17ROCPRIM_400000_NS6detail17trampoline_kernelINS0_14default_configENS1_25partition_config_selectorILNS1_17partition_subalgoE6EfNS0_10empty_typeEbEEZZNS1_14partition_implILS5_6ELb0ES3_mN6thrust23THRUST_200600_302600_NS6detail15normal_iteratorINSA_10device_ptrIfEEEEPS6_SG_NS0_5tupleIJSF_S6_EEENSH_IJSG_SG_EEES6_PlJNSB_9not_fun_tINSB_14equal_to_valueIfEEEEEEE10hipError_tPvRmT3_T4_T5_T6_T7_T9_mT8_P12ihipStream_tbDpT10_ENKUlT_T0_E_clISt17integral_constantIbLb1EES18_EEDaS13_S14_EUlS13_E_NS1_11comp_targetILNS1_3genE0ELNS1_11target_archE4294967295ELNS1_3gpuE0ELNS1_3repE0EEENS1_30default_config_static_selectorELNS0_4arch9wavefront6targetE0EEEvT1_,comdat
.Lfunc_end317:
	.size	_ZN7rocprim17ROCPRIM_400000_NS6detail17trampoline_kernelINS0_14default_configENS1_25partition_config_selectorILNS1_17partition_subalgoE6EfNS0_10empty_typeEbEEZZNS1_14partition_implILS5_6ELb0ES3_mN6thrust23THRUST_200600_302600_NS6detail15normal_iteratorINSA_10device_ptrIfEEEEPS6_SG_NS0_5tupleIJSF_S6_EEENSH_IJSG_SG_EEES6_PlJNSB_9not_fun_tINSB_14equal_to_valueIfEEEEEEE10hipError_tPvRmT3_T4_T5_T6_T7_T9_mT8_P12ihipStream_tbDpT10_ENKUlT_T0_E_clISt17integral_constantIbLb1EES18_EEDaS13_S14_EUlS13_E_NS1_11comp_targetILNS1_3genE0ELNS1_11target_archE4294967295ELNS1_3gpuE0ELNS1_3repE0EEENS1_30default_config_static_selectorELNS0_4arch9wavefront6targetE0EEEvT1_, .Lfunc_end317-_ZN7rocprim17ROCPRIM_400000_NS6detail17trampoline_kernelINS0_14default_configENS1_25partition_config_selectorILNS1_17partition_subalgoE6EfNS0_10empty_typeEbEEZZNS1_14partition_implILS5_6ELb0ES3_mN6thrust23THRUST_200600_302600_NS6detail15normal_iteratorINSA_10device_ptrIfEEEEPS6_SG_NS0_5tupleIJSF_S6_EEENSH_IJSG_SG_EEES6_PlJNSB_9not_fun_tINSB_14equal_to_valueIfEEEEEEE10hipError_tPvRmT3_T4_T5_T6_T7_T9_mT8_P12ihipStream_tbDpT10_ENKUlT_T0_E_clISt17integral_constantIbLb1EES18_EEDaS13_S14_EUlS13_E_NS1_11comp_targetILNS1_3genE0ELNS1_11target_archE4294967295ELNS1_3gpuE0ELNS1_3repE0EEENS1_30default_config_static_selectorELNS0_4arch9wavefront6targetE0EEEvT1_
                                        ; -- End function
	.set _ZN7rocprim17ROCPRIM_400000_NS6detail17trampoline_kernelINS0_14default_configENS1_25partition_config_selectorILNS1_17partition_subalgoE6EfNS0_10empty_typeEbEEZZNS1_14partition_implILS5_6ELb0ES3_mN6thrust23THRUST_200600_302600_NS6detail15normal_iteratorINSA_10device_ptrIfEEEEPS6_SG_NS0_5tupleIJSF_S6_EEENSH_IJSG_SG_EEES6_PlJNSB_9not_fun_tINSB_14equal_to_valueIfEEEEEEE10hipError_tPvRmT3_T4_T5_T6_T7_T9_mT8_P12ihipStream_tbDpT10_ENKUlT_T0_E_clISt17integral_constantIbLb1EES18_EEDaS13_S14_EUlS13_E_NS1_11comp_targetILNS1_3genE0ELNS1_11target_archE4294967295ELNS1_3gpuE0ELNS1_3repE0EEENS1_30default_config_static_selectorELNS0_4arch9wavefront6targetE0EEEvT1_.num_vgpr, 0
	.set _ZN7rocprim17ROCPRIM_400000_NS6detail17trampoline_kernelINS0_14default_configENS1_25partition_config_selectorILNS1_17partition_subalgoE6EfNS0_10empty_typeEbEEZZNS1_14partition_implILS5_6ELb0ES3_mN6thrust23THRUST_200600_302600_NS6detail15normal_iteratorINSA_10device_ptrIfEEEEPS6_SG_NS0_5tupleIJSF_S6_EEENSH_IJSG_SG_EEES6_PlJNSB_9not_fun_tINSB_14equal_to_valueIfEEEEEEE10hipError_tPvRmT3_T4_T5_T6_T7_T9_mT8_P12ihipStream_tbDpT10_ENKUlT_T0_E_clISt17integral_constantIbLb1EES18_EEDaS13_S14_EUlS13_E_NS1_11comp_targetILNS1_3genE0ELNS1_11target_archE4294967295ELNS1_3gpuE0ELNS1_3repE0EEENS1_30default_config_static_selectorELNS0_4arch9wavefront6targetE0EEEvT1_.num_agpr, 0
	.set _ZN7rocprim17ROCPRIM_400000_NS6detail17trampoline_kernelINS0_14default_configENS1_25partition_config_selectorILNS1_17partition_subalgoE6EfNS0_10empty_typeEbEEZZNS1_14partition_implILS5_6ELb0ES3_mN6thrust23THRUST_200600_302600_NS6detail15normal_iteratorINSA_10device_ptrIfEEEEPS6_SG_NS0_5tupleIJSF_S6_EEENSH_IJSG_SG_EEES6_PlJNSB_9not_fun_tINSB_14equal_to_valueIfEEEEEEE10hipError_tPvRmT3_T4_T5_T6_T7_T9_mT8_P12ihipStream_tbDpT10_ENKUlT_T0_E_clISt17integral_constantIbLb1EES18_EEDaS13_S14_EUlS13_E_NS1_11comp_targetILNS1_3genE0ELNS1_11target_archE4294967295ELNS1_3gpuE0ELNS1_3repE0EEENS1_30default_config_static_selectorELNS0_4arch9wavefront6targetE0EEEvT1_.numbered_sgpr, 0
	.set _ZN7rocprim17ROCPRIM_400000_NS6detail17trampoline_kernelINS0_14default_configENS1_25partition_config_selectorILNS1_17partition_subalgoE6EfNS0_10empty_typeEbEEZZNS1_14partition_implILS5_6ELb0ES3_mN6thrust23THRUST_200600_302600_NS6detail15normal_iteratorINSA_10device_ptrIfEEEEPS6_SG_NS0_5tupleIJSF_S6_EEENSH_IJSG_SG_EEES6_PlJNSB_9not_fun_tINSB_14equal_to_valueIfEEEEEEE10hipError_tPvRmT3_T4_T5_T6_T7_T9_mT8_P12ihipStream_tbDpT10_ENKUlT_T0_E_clISt17integral_constantIbLb1EES18_EEDaS13_S14_EUlS13_E_NS1_11comp_targetILNS1_3genE0ELNS1_11target_archE4294967295ELNS1_3gpuE0ELNS1_3repE0EEENS1_30default_config_static_selectorELNS0_4arch9wavefront6targetE0EEEvT1_.num_named_barrier, 0
	.set _ZN7rocprim17ROCPRIM_400000_NS6detail17trampoline_kernelINS0_14default_configENS1_25partition_config_selectorILNS1_17partition_subalgoE6EfNS0_10empty_typeEbEEZZNS1_14partition_implILS5_6ELb0ES3_mN6thrust23THRUST_200600_302600_NS6detail15normal_iteratorINSA_10device_ptrIfEEEEPS6_SG_NS0_5tupleIJSF_S6_EEENSH_IJSG_SG_EEES6_PlJNSB_9not_fun_tINSB_14equal_to_valueIfEEEEEEE10hipError_tPvRmT3_T4_T5_T6_T7_T9_mT8_P12ihipStream_tbDpT10_ENKUlT_T0_E_clISt17integral_constantIbLb1EES18_EEDaS13_S14_EUlS13_E_NS1_11comp_targetILNS1_3genE0ELNS1_11target_archE4294967295ELNS1_3gpuE0ELNS1_3repE0EEENS1_30default_config_static_selectorELNS0_4arch9wavefront6targetE0EEEvT1_.private_seg_size, 0
	.set _ZN7rocprim17ROCPRIM_400000_NS6detail17trampoline_kernelINS0_14default_configENS1_25partition_config_selectorILNS1_17partition_subalgoE6EfNS0_10empty_typeEbEEZZNS1_14partition_implILS5_6ELb0ES3_mN6thrust23THRUST_200600_302600_NS6detail15normal_iteratorINSA_10device_ptrIfEEEEPS6_SG_NS0_5tupleIJSF_S6_EEENSH_IJSG_SG_EEES6_PlJNSB_9not_fun_tINSB_14equal_to_valueIfEEEEEEE10hipError_tPvRmT3_T4_T5_T6_T7_T9_mT8_P12ihipStream_tbDpT10_ENKUlT_T0_E_clISt17integral_constantIbLb1EES18_EEDaS13_S14_EUlS13_E_NS1_11comp_targetILNS1_3genE0ELNS1_11target_archE4294967295ELNS1_3gpuE0ELNS1_3repE0EEENS1_30default_config_static_selectorELNS0_4arch9wavefront6targetE0EEEvT1_.uses_vcc, 0
	.set _ZN7rocprim17ROCPRIM_400000_NS6detail17trampoline_kernelINS0_14default_configENS1_25partition_config_selectorILNS1_17partition_subalgoE6EfNS0_10empty_typeEbEEZZNS1_14partition_implILS5_6ELb0ES3_mN6thrust23THRUST_200600_302600_NS6detail15normal_iteratorINSA_10device_ptrIfEEEEPS6_SG_NS0_5tupleIJSF_S6_EEENSH_IJSG_SG_EEES6_PlJNSB_9not_fun_tINSB_14equal_to_valueIfEEEEEEE10hipError_tPvRmT3_T4_T5_T6_T7_T9_mT8_P12ihipStream_tbDpT10_ENKUlT_T0_E_clISt17integral_constantIbLb1EES18_EEDaS13_S14_EUlS13_E_NS1_11comp_targetILNS1_3genE0ELNS1_11target_archE4294967295ELNS1_3gpuE0ELNS1_3repE0EEENS1_30default_config_static_selectorELNS0_4arch9wavefront6targetE0EEEvT1_.uses_flat_scratch, 0
	.set _ZN7rocprim17ROCPRIM_400000_NS6detail17trampoline_kernelINS0_14default_configENS1_25partition_config_selectorILNS1_17partition_subalgoE6EfNS0_10empty_typeEbEEZZNS1_14partition_implILS5_6ELb0ES3_mN6thrust23THRUST_200600_302600_NS6detail15normal_iteratorINSA_10device_ptrIfEEEEPS6_SG_NS0_5tupleIJSF_S6_EEENSH_IJSG_SG_EEES6_PlJNSB_9not_fun_tINSB_14equal_to_valueIfEEEEEEE10hipError_tPvRmT3_T4_T5_T6_T7_T9_mT8_P12ihipStream_tbDpT10_ENKUlT_T0_E_clISt17integral_constantIbLb1EES18_EEDaS13_S14_EUlS13_E_NS1_11comp_targetILNS1_3genE0ELNS1_11target_archE4294967295ELNS1_3gpuE0ELNS1_3repE0EEENS1_30default_config_static_selectorELNS0_4arch9wavefront6targetE0EEEvT1_.has_dyn_sized_stack, 0
	.set _ZN7rocprim17ROCPRIM_400000_NS6detail17trampoline_kernelINS0_14default_configENS1_25partition_config_selectorILNS1_17partition_subalgoE6EfNS0_10empty_typeEbEEZZNS1_14partition_implILS5_6ELb0ES3_mN6thrust23THRUST_200600_302600_NS6detail15normal_iteratorINSA_10device_ptrIfEEEEPS6_SG_NS0_5tupleIJSF_S6_EEENSH_IJSG_SG_EEES6_PlJNSB_9not_fun_tINSB_14equal_to_valueIfEEEEEEE10hipError_tPvRmT3_T4_T5_T6_T7_T9_mT8_P12ihipStream_tbDpT10_ENKUlT_T0_E_clISt17integral_constantIbLb1EES18_EEDaS13_S14_EUlS13_E_NS1_11comp_targetILNS1_3genE0ELNS1_11target_archE4294967295ELNS1_3gpuE0ELNS1_3repE0EEENS1_30default_config_static_selectorELNS0_4arch9wavefront6targetE0EEEvT1_.has_recursion, 0
	.set _ZN7rocprim17ROCPRIM_400000_NS6detail17trampoline_kernelINS0_14default_configENS1_25partition_config_selectorILNS1_17partition_subalgoE6EfNS0_10empty_typeEbEEZZNS1_14partition_implILS5_6ELb0ES3_mN6thrust23THRUST_200600_302600_NS6detail15normal_iteratorINSA_10device_ptrIfEEEEPS6_SG_NS0_5tupleIJSF_S6_EEENSH_IJSG_SG_EEES6_PlJNSB_9not_fun_tINSB_14equal_to_valueIfEEEEEEE10hipError_tPvRmT3_T4_T5_T6_T7_T9_mT8_P12ihipStream_tbDpT10_ENKUlT_T0_E_clISt17integral_constantIbLb1EES18_EEDaS13_S14_EUlS13_E_NS1_11comp_targetILNS1_3genE0ELNS1_11target_archE4294967295ELNS1_3gpuE0ELNS1_3repE0EEENS1_30default_config_static_selectorELNS0_4arch9wavefront6targetE0EEEvT1_.has_indirect_call, 0
	.section	.AMDGPU.csdata,"",@progbits
; Kernel info:
; codeLenInByte = 0
; TotalNumSgprs: 0
; NumVgprs: 0
; ScratchSize: 0
; MemoryBound: 0
; FloatMode: 240
; IeeeMode: 1
; LDSByteSize: 0 bytes/workgroup (compile time only)
; SGPRBlocks: 0
; VGPRBlocks: 0
; NumSGPRsForWavesPerEU: 1
; NumVGPRsForWavesPerEU: 1
; Occupancy: 16
; WaveLimiterHint : 0
; COMPUTE_PGM_RSRC2:SCRATCH_EN: 0
; COMPUTE_PGM_RSRC2:USER_SGPR: 2
; COMPUTE_PGM_RSRC2:TRAP_HANDLER: 0
; COMPUTE_PGM_RSRC2:TGID_X_EN: 1
; COMPUTE_PGM_RSRC2:TGID_Y_EN: 0
; COMPUTE_PGM_RSRC2:TGID_Z_EN: 0
; COMPUTE_PGM_RSRC2:TIDIG_COMP_CNT: 0
	.section	.text._ZN7rocprim17ROCPRIM_400000_NS6detail17trampoline_kernelINS0_14default_configENS1_25partition_config_selectorILNS1_17partition_subalgoE6EfNS0_10empty_typeEbEEZZNS1_14partition_implILS5_6ELb0ES3_mN6thrust23THRUST_200600_302600_NS6detail15normal_iteratorINSA_10device_ptrIfEEEEPS6_SG_NS0_5tupleIJSF_S6_EEENSH_IJSG_SG_EEES6_PlJNSB_9not_fun_tINSB_14equal_to_valueIfEEEEEEE10hipError_tPvRmT3_T4_T5_T6_T7_T9_mT8_P12ihipStream_tbDpT10_ENKUlT_T0_E_clISt17integral_constantIbLb1EES18_EEDaS13_S14_EUlS13_E_NS1_11comp_targetILNS1_3genE5ELNS1_11target_archE942ELNS1_3gpuE9ELNS1_3repE0EEENS1_30default_config_static_selectorELNS0_4arch9wavefront6targetE0EEEvT1_,"axG",@progbits,_ZN7rocprim17ROCPRIM_400000_NS6detail17trampoline_kernelINS0_14default_configENS1_25partition_config_selectorILNS1_17partition_subalgoE6EfNS0_10empty_typeEbEEZZNS1_14partition_implILS5_6ELb0ES3_mN6thrust23THRUST_200600_302600_NS6detail15normal_iteratorINSA_10device_ptrIfEEEEPS6_SG_NS0_5tupleIJSF_S6_EEENSH_IJSG_SG_EEES6_PlJNSB_9not_fun_tINSB_14equal_to_valueIfEEEEEEE10hipError_tPvRmT3_T4_T5_T6_T7_T9_mT8_P12ihipStream_tbDpT10_ENKUlT_T0_E_clISt17integral_constantIbLb1EES18_EEDaS13_S14_EUlS13_E_NS1_11comp_targetILNS1_3genE5ELNS1_11target_archE942ELNS1_3gpuE9ELNS1_3repE0EEENS1_30default_config_static_selectorELNS0_4arch9wavefront6targetE0EEEvT1_,comdat
	.protected	_ZN7rocprim17ROCPRIM_400000_NS6detail17trampoline_kernelINS0_14default_configENS1_25partition_config_selectorILNS1_17partition_subalgoE6EfNS0_10empty_typeEbEEZZNS1_14partition_implILS5_6ELb0ES3_mN6thrust23THRUST_200600_302600_NS6detail15normal_iteratorINSA_10device_ptrIfEEEEPS6_SG_NS0_5tupleIJSF_S6_EEENSH_IJSG_SG_EEES6_PlJNSB_9not_fun_tINSB_14equal_to_valueIfEEEEEEE10hipError_tPvRmT3_T4_T5_T6_T7_T9_mT8_P12ihipStream_tbDpT10_ENKUlT_T0_E_clISt17integral_constantIbLb1EES18_EEDaS13_S14_EUlS13_E_NS1_11comp_targetILNS1_3genE5ELNS1_11target_archE942ELNS1_3gpuE9ELNS1_3repE0EEENS1_30default_config_static_selectorELNS0_4arch9wavefront6targetE0EEEvT1_ ; -- Begin function _ZN7rocprim17ROCPRIM_400000_NS6detail17trampoline_kernelINS0_14default_configENS1_25partition_config_selectorILNS1_17partition_subalgoE6EfNS0_10empty_typeEbEEZZNS1_14partition_implILS5_6ELb0ES3_mN6thrust23THRUST_200600_302600_NS6detail15normal_iteratorINSA_10device_ptrIfEEEEPS6_SG_NS0_5tupleIJSF_S6_EEENSH_IJSG_SG_EEES6_PlJNSB_9not_fun_tINSB_14equal_to_valueIfEEEEEEE10hipError_tPvRmT3_T4_T5_T6_T7_T9_mT8_P12ihipStream_tbDpT10_ENKUlT_T0_E_clISt17integral_constantIbLb1EES18_EEDaS13_S14_EUlS13_E_NS1_11comp_targetILNS1_3genE5ELNS1_11target_archE942ELNS1_3gpuE9ELNS1_3repE0EEENS1_30default_config_static_selectorELNS0_4arch9wavefront6targetE0EEEvT1_
	.globl	_ZN7rocprim17ROCPRIM_400000_NS6detail17trampoline_kernelINS0_14default_configENS1_25partition_config_selectorILNS1_17partition_subalgoE6EfNS0_10empty_typeEbEEZZNS1_14partition_implILS5_6ELb0ES3_mN6thrust23THRUST_200600_302600_NS6detail15normal_iteratorINSA_10device_ptrIfEEEEPS6_SG_NS0_5tupleIJSF_S6_EEENSH_IJSG_SG_EEES6_PlJNSB_9not_fun_tINSB_14equal_to_valueIfEEEEEEE10hipError_tPvRmT3_T4_T5_T6_T7_T9_mT8_P12ihipStream_tbDpT10_ENKUlT_T0_E_clISt17integral_constantIbLb1EES18_EEDaS13_S14_EUlS13_E_NS1_11comp_targetILNS1_3genE5ELNS1_11target_archE942ELNS1_3gpuE9ELNS1_3repE0EEENS1_30default_config_static_selectorELNS0_4arch9wavefront6targetE0EEEvT1_
	.p2align	8
	.type	_ZN7rocprim17ROCPRIM_400000_NS6detail17trampoline_kernelINS0_14default_configENS1_25partition_config_selectorILNS1_17partition_subalgoE6EfNS0_10empty_typeEbEEZZNS1_14partition_implILS5_6ELb0ES3_mN6thrust23THRUST_200600_302600_NS6detail15normal_iteratorINSA_10device_ptrIfEEEEPS6_SG_NS0_5tupleIJSF_S6_EEENSH_IJSG_SG_EEES6_PlJNSB_9not_fun_tINSB_14equal_to_valueIfEEEEEEE10hipError_tPvRmT3_T4_T5_T6_T7_T9_mT8_P12ihipStream_tbDpT10_ENKUlT_T0_E_clISt17integral_constantIbLb1EES18_EEDaS13_S14_EUlS13_E_NS1_11comp_targetILNS1_3genE5ELNS1_11target_archE942ELNS1_3gpuE9ELNS1_3repE0EEENS1_30default_config_static_selectorELNS0_4arch9wavefront6targetE0EEEvT1_,@function
_ZN7rocprim17ROCPRIM_400000_NS6detail17trampoline_kernelINS0_14default_configENS1_25partition_config_selectorILNS1_17partition_subalgoE6EfNS0_10empty_typeEbEEZZNS1_14partition_implILS5_6ELb0ES3_mN6thrust23THRUST_200600_302600_NS6detail15normal_iteratorINSA_10device_ptrIfEEEEPS6_SG_NS0_5tupleIJSF_S6_EEENSH_IJSG_SG_EEES6_PlJNSB_9not_fun_tINSB_14equal_to_valueIfEEEEEEE10hipError_tPvRmT3_T4_T5_T6_T7_T9_mT8_P12ihipStream_tbDpT10_ENKUlT_T0_E_clISt17integral_constantIbLb1EES18_EEDaS13_S14_EUlS13_E_NS1_11comp_targetILNS1_3genE5ELNS1_11target_archE942ELNS1_3gpuE9ELNS1_3repE0EEENS1_30default_config_static_selectorELNS0_4arch9wavefront6targetE0EEEvT1_: ; @_ZN7rocprim17ROCPRIM_400000_NS6detail17trampoline_kernelINS0_14default_configENS1_25partition_config_selectorILNS1_17partition_subalgoE6EfNS0_10empty_typeEbEEZZNS1_14partition_implILS5_6ELb0ES3_mN6thrust23THRUST_200600_302600_NS6detail15normal_iteratorINSA_10device_ptrIfEEEEPS6_SG_NS0_5tupleIJSF_S6_EEENSH_IJSG_SG_EEES6_PlJNSB_9not_fun_tINSB_14equal_to_valueIfEEEEEEE10hipError_tPvRmT3_T4_T5_T6_T7_T9_mT8_P12ihipStream_tbDpT10_ENKUlT_T0_E_clISt17integral_constantIbLb1EES18_EEDaS13_S14_EUlS13_E_NS1_11comp_targetILNS1_3genE5ELNS1_11target_archE942ELNS1_3gpuE9ELNS1_3repE0EEENS1_30default_config_static_selectorELNS0_4arch9wavefront6targetE0EEEvT1_
; %bb.0:
	.section	.rodata,"a",@progbits
	.p2align	6, 0x0
	.amdhsa_kernel _ZN7rocprim17ROCPRIM_400000_NS6detail17trampoline_kernelINS0_14default_configENS1_25partition_config_selectorILNS1_17partition_subalgoE6EfNS0_10empty_typeEbEEZZNS1_14partition_implILS5_6ELb0ES3_mN6thrust23THRUST_200600_302600_NS6detail15normal_iteratorINSA_10device_ptrIfEEEEPS6_SG_NS0_5tupleIJSF_S6_EEENSH_IJSG_SG_EEES6_PlJNSB_9not_fun_tINSB_14equal_to_valueIfEEEEEEE10hipError_tPvRmT3_T4_T5_T6_T7_T9_mT8_P12ihipStream_tbDpT10_ENKUlT_T0_E_clISt17integral_constantIbLb1EES18_EEDaS13_S14_EUlS13_E_NS1_11comp_targetILNS1_3genE5ELNS1_11target_archE942ELNS1_3gpuE9ELNS1_3repE0EEENS1_30default_config_static_selectorELNS0_4arch9wavefront6targetE0EEEvT1_
		.amdhsa_group_segment_fixed_size 0
		.amdhsa_private_segment_fixed_size 0
		.amdhsa_kernarg_size 128
		.amdhsa_user_sgpr_count 2
		.amdhsa_user_sgpr_dispatch_ptr 0
		.amdhsa_user_sgpr_queue_ptr 0
		.amdhsa_user_sgpr_kernarg_segment_ptr 1
		.amdhsa_user_sgpr_dispatch_id 0
		.amdhsa_user_sgpr_private_segment_size 0
		.amdhsa_wavefront_size32 1
		.amdhsa_uses_dynamic_stack 0
		.amdhsa_enable_private_segment 0
		.amdhsa_system_sgpr_workgroup_id_x 1
		.amdhsa_system_sgpr_workgroup_id_y 0
		.amdhsa_system_sgpr_workgroup_id_z 0
		.amdhsa_system_sgpr_workgroup_info 0
		.amdhsa_system_vgpr_workitem_id 0
		.amdhsa_next_free_vgpr 1
		.amdhsa_next_free_sgpr 1
		.amdhsa_reserve_vcc 0
		.amdhsa_float_round_mode_32 0
		.amdhsa_float_round_mode_16_64 0
		.amdhsa_float_denorm_mode_32 3
		.amdhsa_float_denorm_mode_16_64 3
		.amdhsa_fp16_overflow 0
		.amdhsa_workgroup_processor_mode 1
		.amdhsa_memory_ordered 1
		.amdhsa_forward_progress 1
		.amdhsa_inst_pref_size 0
		.amdhsa_round_robin_scheduling 0
		.amdhsa_exception_fp_ieee_invalid_op 0
		.amdhsa_exception_fp_denorm_src 0
		.amdhsa_exception_fp_ieee_div_zero 0
		.amdhsa_exception_fp_ieee_overflow 0
		.amdhsa_exception_fp_ieee_underflow 0
		.amdhsa_exception_fp_ieee_inexact 0
		.amdhsa_exception_int_div_zero 0
	.end_amdhsa_kernel
	.section	.text._ZN7rocprim17ROCPRIM_400000_NS6detail17trampoline_kernelINS0_14default_configENS1_25partition_config_selectorILNS1_17partition_subalgoE6EfNS0_10empty_typeEbEEZZNS1_14partition_implILS5_6ELb0ES3_mN6thrust23THRUST_200600_302600_NS6detail15normal_iteratorINSA_10device_ptrIfEEEEPS6_SG_NS0_5tupleIJSF_S6_EEENSH_IJSG_SG_EEES6_PlJNSB_9not_fun_tINSB_14equal_to_valueIfEEEEEEE10hipError_tPvRmT3_T4_T5_T6_T7_T9_mT8_P12ihipStream_tbDpT10_ENKUlT_T0_E_clISt17integral_constantIbLb1EES18_EEDaS13_S14_EUlS13_E_NS1_11comp_targetILNS1_3genE5ELNS1_11target_archE942ELNS1_3gpuE9ELNS1_3repE0EEENS1_30default_config_static_selectorELNS0_4arch9wavefront6targetE0EEEvT1_,"axG",@progbits,_ZN7rocprim17ROCPRIM_400000_NS6detail17trampoline_kernelINS0_14default_configENS1_25partition_config_selectorILNS1_17partition_subalgoE6EfNS0_10empty_typeEbEEZZNS1_14partition_implILS5_6ELb0ES3_mN6thrust23THRUST_200600_302600_NS6detail15normal_iteratorINSA_10device_ptrIfEEEEPS6_SG_NS0_5tupleIJSF_S6_EEENSH_IJSG_SG_EEES6_PlJNSB_9not_fun_tINSB_14equal_to_valueIfEEEEEEE10hipError_tPvRmT3_T4_T5_T6_T7_T9_mT8_P12ihipStream_tbDpT10_ENKUlT_T0_E_clISt17integral_constantIbLb1EES18_EEDaS13_S14_EUlS13_E_NS1_11comp_targetILNS1_3genE5ELNS1_11target_archE942ELNS1_3gpuE9ELNS1_3repE0EEENS1_30default_config_static_selectorELNS0_4arch9wavefront6targetE0EEEvT1_,comdat
.Lfunc_end318:
	.size	_ZN7rocprim17ROCPRIM_400000_NS6detail17trampoline_kernelINS0_14default_configENS1_25partition_config_selectorILNS1_17partition_subalgoE6EfNS0_10empty_typeEbEEZZNS1_14partition_implILS5_6ELb0ES3_mN6thrust23THRUST_200600_302600_NS6detail15normal_iteratorINSA_10device_ptrIfEEEEPS6_SG_NS0_5tupleIJSF_S6_EEENSH_IJSG_SG_EEES6_PlJNSB_9not_fun_tINSB_14equal_to_valueIfEEEEEEE10hipError_tPvRmT3_T4_T5_T6_T7_T9_mT8_P12ihipStream_tbDpT10_ENKUlT_T0_E_clISt17integral_constantIbLb1EES18_EEDaS13_S14_EUlS13_E_NS1_11comp_targetILNS1_3genE5ELNS1_11target_archE942ELNS1_3gpuE9ELNS1_3repE0EEENS1_30default_config_static_selectorELNS0_4arch9wavefront6targetE0EEEvT1_, .Lfunc_end318-_ZN7rocprim17ROCPRIM_400000_NS6detail17trampoline_kernelINS0_14default_configENS1_25partition_config_selectorILNS1_17partition_subalgoE6EfNS0_10empty_typeEbEEZZNS1_14partition_implILS5_6ELb0ES3_mN6thrust23THRUST_200600_302600_NS6detail15normal_iteratorINSA_10device_ptrIfEEEEPS6_SG_NS0_5tupleIJSF_S6_EEENSH_IJSG_SG_EEES6_PlJNSB_9not_fun_tINSB_14equal_to_valueIfEEEEEEE10hipError_tPvRmT3_T4_T5_T6_T7_T9_mT8_P12ihipStream_tbDpT10_ENKUlT_T0_E_clISt17integral_constantIbLb1EES18_EEDaS13_S14_EUlS13_E_NS1_11comp_targetILNS1_3genE5ELNS1_11target_archE942ELNS1_3gpuE9ELNS1_3repE0EEENS1_30default_config_static_selectorELNS0_4arch9wavefront6targetE0EEEvT1_
                                        ; -- End function
	.set _ZN7rocprim17ROCPRIM_400000_NS6detail17trampoline_kernelINS0_14default_configENS1_25partition_config_selectorILNS1_17partition_subalgoE6EfNS0_10empty_typeEbEEZZNS1_14partition_implILS5_6ELb0ES3_mN6thrust23THRUST_200600_302600_NS6detail15normal_iteratorINSA_10device_ptrIfEEEEPS6_SG_NS0_5tupleIJSF_S6_EEENSH_IJSG_SG_EEES6_PlJNSB_9not_fun_tINSB_14equal_to_valueIfEEEEEEE10hipError_tPvRmT3_T4_T5_T6_T7_T9_mT8_P12ihipStream_tbDpT10_ENKUlT_T0_E_clISt17integral_constantIbLb1EES18_EEDaS13_S14_EUlS13_E_NS1_11comp_targetILNS1_3genE5ELNS1_11target_archE942ELNS1_3gpuE9ELNS1_3repE0EEENS1_30default_config_static_selectorELNS0_4arch9wavefront6targetE0EEEvT1_.num_vgpr, 0
	.set _ZN7rocprim17ROCPRIM_400000_NS6detail17trampoline_kernelINS0_14default_configENS1_25partition_config_selectorILNS1_17partition_subalgoE6EfNS0_10empty_typeEbEEZZNS1_14partition_implILS5_6ELb0ES3_mN6thrust23THRUST_200600_302600_NS6detail15normal_iteratorINSA_10device_ptrIfEEEEPS6_SG_NS0_5tupleIJSF_S6_EEENSH_IJSG_SG_EEES6_PlJNSB_9not_fun_tINSB_14equal_to_valueIfEEEEEEE10hipError_tPvRmT3_T4_T5_T6_T7_T9_mT8_P12ihipStream_tbDpT10_ENKUlT_T0_E_clISt17integral_constantIbLb1EES18_EEDaS13_S14_EUlS13_E_NS1_11comp_targetILNS1_3genE5ELNS1_11target_archE942ELNS1_3gpuE9ELNS1_3repE0EEENS1_30default_config_static_selectorELNS0_4arch9wavefront6targetE0EEEvT1_.num_agpr, 0
	.set _ZN7rocprim17ROCPRIM_400000_NS6detail17trampoline_kernelINS0_14default_configENS1_25partition_config_selectorILNS1_17partition_subalgoE6EfNS0_10empty_typeEbEEZZNS1_14partition_implILS5_6ELb0ES3_mN6thrust23THRUST_200600_302600_NS6detail15normal_iteratorINSA_10device_ptrIfEEEEPS6_SG_NS0_5tupleIJSF_S6_EEENSH_IJSG_SG_EEES6_PlJNSB_9not_fun_tINSB_14equal_to_valueIfEEEEEEE10hipError_tPvRmT3_T4_T5_T6_T7_T9_mT8_P12ihipStream_tbDpT10_ENKUlT_T0_E_clISt17integral_constantIbLb1EES18_EEDaS13_S14_EUlS13_E_NS1_11comp_targetILNS1_3genE5ELNS1_11target_archE942ELNS1_3gpuE9ELNS1_3repE0EEENS1_30default_config_static_selectorELNS0_4arch9wavefront6targetE0EEEvT1_.numbered_sgpr, 0
	.set _ZN7rocprim17ROCPRIM_400000_NS6detail17trampoline_kernelINS0_14default_configENS1_25partition_config_selectorILNS1_17partition_subalgoE6EfNS0_10empty_typeEbEEZZNS1_14partition_implILS5_6ELb0ES3_mN6thrust23THRUST_200600_302600_NS6detail15normal_iteratorINSA_10device_ptrIfEEEEPS6_SG_NS0_5tupleIJSF_S6_EEENSH_IJSG_SG_EEES6_PlJNSB_9not_fun_tINSB_14equal_to_valueIfEEEEEEE10hipError_tPvRmT3_T4_T5_T6_T7_T9_mT8_P12ihipStream_tbDpT10_ENKUlT_T0_E_clISt17integral_constantIbLb1EES18_EEDaS13_S14_EUlS13_E_NS1_11comp_targetILNS1_3genE5ELNS1_11target_archE942ELNS1_3gpuE9ELNS1_3repE0EEENS1_30default_config_static_selectorELNS0_4arch9wavefront6targetE0EEEvT1_.num_named_barrier, 0
	.set _ZN7rocprim17ROCPRIM_400000_NS6detail17trampoline_kernelINS0_14default_configENS1_25partition_config_selectorILNS1_17partition_subalgoE6EfNS0_10empty_typeEbEEZZNS1_14partition_implILS5_6ELb0ES3_mN6thrust23THRUST_200600_302600_NS6detail15normal_iteratorINSA_10device_ptrIfEEEEPS6_SG_NS0_5tupleIJSF_S6_EEENSH_IJSG_SG_EEES6_PlJNSB_9not_fun_tINSB_14equal_to_valueIfEEEEEEE10hipError_tPvRmT3_T4_T5_T6_T7_T9_mT8_P12ihipStream_tbDpT10_ENKUlT_T0_E_clISt17integral_constantIbLb1EES18_EEDaS13_S14_EUlS13_E_NS1_11comp_targetILNS1_3genE5ELNS1_11target_archE942ELNS1_3gpuE9ELNS1_3repE0EEENS1_30default_config_static_selectorELNS0_4arch9wavefront6targetE0EEEvT1_.private_seg_size, 0
	.set _ZN7rocprim17ROCPRIM_400000_NS6detail17trampoline_kernelINS0_14default_configENS1_25partition_config_selectorILNS1_17partition_subalgoE6EfNS0_10empty_typeEbEEZZNS1_14partition_implILS5_6ELb0ES3_mN6thrust23THRUST_200600_302600_NS6detail15normal_iteratorINSA_10device_ptrIfEEEEPS6_SG_NS0_5tupleIJSF_S6_EEENSH_IJSG_SG_EEES6_PlJNSB_9not_fun_tINSB_14equal_to_valueIfEEEEEEE10hipError_tPvRmT3_T4_T5_T6_T7_T9_mT8_P12ihipStream_tbDpT10_ENKUlT_T0_E_clISt17integral_constantIbLb1EES18_EEDaS13_S14_EUlS13_E_NS1_11comp_targetILNS1_3genE5ELNS1_11target_archE942ELNS1_3gpuE9ELNS1_3repE0EEENS1_30default_config_static_selectorELNS0_4arch9wavefront6targetE0EEEvT1_.uses_vcc, 0
	.set _ZN7rocprim17ROCPRIM_400000_NS6detail17trampoline_kernelINS0_14default_configENS1_25partition_config_selectorILNS1_17partition_subalgoE6EfNS0_10empty_typeEbEEZZNS1_14partition_implILS5_6ELb0ES3_mN6thrust23THRUST_200600_302600_NS6detail15normal_iteratorINSA_10device_ptrIfEEEEPS6_SG_NS0_5tupleIJSF_S6_EEENSH_IJSG_SG_EEES6_PlJNSB_9not_fun_tINSB_14equal_to_valueIfEEEEEEE10hipError_tPvRmT3_T4_T5_T6_T7_T9_mT8_P12ihipStream_tbDpT10_ENKUlT_T0_E_clISt17integral_constantIbLb1EES18_EEDaS13_S14_EUlS13_E_NS1_11comp_targetILNS1_3genE5ELNS1_11target_archE942ELNS1_3gpuE9ELNS1_3repE0EEENS1_30default_config_static_selectorELNS0_4arch9wavefront6targetE0EEEvT1_.uses_flat_scratch, 0
	.set _ZN7rocprim17ROCPRIM_400000_NS6detail17trampoline_kernelINS0_14default_configENS1_25partition_config_selectorILNS1_17partition_subalgoE6EfNS0_10empty_typeEbEEZZNS1_14partition_implILS5_6ELb0ES3_mN6thrust23THRUST_200600_302600_NS6detail15normal_iteratorINSA_10device_ptrIfEEEEPS6_SG_NS0_5tupleIJSF_S6_EEENSH_IJSG_SG_EEES6_PlJNSB_9not_fun_tINSB_14equal_to_valueIfEEEEEEE10hipError_tPvRmT3_T4_T5_T6_T7_T9_mT8_P12ihipStream_tbDpT10_ENKUlT_T0_E_clISt17integral_constantIbLb1EES18_EEDaS13_S14_EUlS13_E_NS1_11comp_targetILNS1_3genE5ELNS1_11target_archE942ELNS1_3gpuE9ELNS1_3repE0EEENS1_30default_config_static_selectorELNS0_4arch9wavefront6targetE0EEEvT1_.has_dyn_sized_stack, 0
	.set _ZN7rocprim17ROCPRIM_400000_NS6detail17trampoline_kernelINS0_14default_configENS1_25partition_config_selectorILNS1_17partition_subalgoE6EfNS0_10empty_typeEbEEZZNS1_14partition_implILS5_6ELb0ES3_mN6thrust23THRUST_200600_302600_NS6detail15normal_iteratorINSA_10device_ptrIfEEEEPS6_SG_NS0_5tupleIJSF_S6_EEENSH_IJSG_SG_EEES6_PlJNSB_9not_fun_tINSB_14equal_to_valueIfEEEEEEE10hipError_tPvRmT3_T4_T5_T6_T7_T9_mT8_P12ihipStream_tbDpT10_ENKUlT_T0_E_clISt17integral_constantIbLb1EES18_EEDaS13_S14_EUlS13_E_NS1_11comp_targetILNS1_3genE5ELNS1_11target_archE942ELNS1_3gpuE9ELNS1_3repE0EEENS1_30default_config_static_selectorELNS0_4arch9wavefront6targetE0EEEvT1_.has_recursion, 0
	.set _ZN7rocprim17ROCPRIM_400000_NS6detail17trampoline_kernelINS0_14default_configENS1_25partition_config_selectorILNS1_17partition_subalgoE6EfNS0_10empty_typeEbEEZZNS1_14partition_implILS5_6ELb0ES3_mN6thrust23THRUST_200600_302600_NS6detail15normal_iteratorINSA_10device_ptrIfEEEEPS6_SG_NS0_5tupleIJSF_S6_EEENSH_IJSG_SG_EEES6_PlJNSB_9not_fun_tINSB_14equal_to_valueIfEEEEEEE10hipError_tPvRmT3_T4_T5_T6_T7_T9_mT8_P12ihipStream_tbDpT10_ENKUlT_T0_E_clISt17integral_constantIbLb1EES18_EEDaS13_S14_EUlS13_E_NS1_11comp_targetILNS1_3genE5ELNS1_11target_archE942ELNS1_3gpuE9ELNS1_3repE0EEENS1_30default_config_static_selectorELNS0_4arch9wavefront6targetE0EEEvT1_.has_indirect_call, 0
	.section	.AMDGPU.csdata,"",@progbits
; Kernel info:
; codeLenInByte = 0
; TotalNumSgprs: 0
; NumVgprs: 0
; ScratchSize: 0
; MemoryBound: 0
; FloatMode: 240
; IeeeMode: 1
; LDSByteSize: 0 bytes/workgroup (compile time only)
; SGPRBlocks: 0
; VGPRBlocks: 0
; NumSGPRsForWavesPerEU: 1
; NumVGPRsForWavesPerEU: 1
; Occupancy: 16
; WaveLimiterHint : 0
; COMPUTE_PGM_RSRC2:SCRATCH_EN: 0
; COMPUTE_PGM_RSRC2:USER_SGPR: 2
; COMPUTE_PGM_RSRC2:TRAP_HANDLER: 0
; COMPUTE_PGM_RSRC2:TGID_X_EN: 1
; COMPUTE_PGM_RSRC2:TGID_Y_EN: 0
; COMPUTE_PGM_RSRC2:TGID_Z_EN: 0
; COMPUTE_PGM_RSRC2:TIDIG_COMP_CNT: 0
	.section	.text._ZN7rocprim17ROCPRIM_400000_NS6detail17trampoline_kernelINS0_14default_configENS1_25partition_config_selectorILNS1_17partition_subalgoE6EfNS0_10empty_typeEbEEZZNS1_14partition_implILS5_6ELb0ES3_mN6thrust23THRUST_200600_302600_NS6detail15normal_iteratorINSA_10device_ptrIfEEEEPS6_SG_NS0_5tupleIJSF_S6_EEENSH_IJSG_SG_EEES6_PlJNSB_9not_fun_tINSB_14equal_to_valueIfEEEEEEE10hipError_tPvRmT3_T4_T5_T6_T7_T9_mT8_P12ihipStream_tbDpT10_ENKUlT_T0_E_clISt17integral_constantIbLb1EES18_EEDaS13_S14_EUlS13_E_NS1_11comp_targetILNS1_3genE4ELNS1_11target_archE910ELNS1_3gpuE8ELNS1_3repE0EEENS1_30default_config_static_selectorELNS0_4arch9wavefront6targetE0EEEvT1_,"axG",@progbits,_ZN7rocprim17ROCPRIM_400000_NS6detail17trampoline_kernelINS0_14default_configENS1_25partition_config_selectorILNS1_17partition_subalgoE6EfNS0_10empty_typeEbEEZZNS1_14partition_implILS5_6ELb0ES3_mN6thrust23THRUST_200600_302600_NS6detail15normal_iteratorINSA_10device_ptrIfEEEEPS6_SG_NS0_5tupleIJSF_S6_EEENSH_IJSG_SG_EEES6_PlJNSB_9not_fun_tINSB_14equal_to_valueIfEEEEEEE10hipError_tPvRmT3_T4_T5_T6_T7_T9_mT8_P12ihipStream_tbDpT10_ENKUlT_T0_E_clISt17integral_constantIbLb1EES18_EEDaS13_S14_EUlS13_E_NS1_11comp_targetILNS1_3genE4ELNS1_11target_archE910ELNS1_3gpuE8ELNS1_3repE0EEENS1_30default_config_static_selectorELNS0_4arch9wavefront6targetE0EEEvT1_,comdat
	.protected	_ZN7rocprim17ROCPRIM_400000_NS6detail17trampoline_kernelINS0_14default_configENS1_25partition_config_selectorILNS1_17partition_subalgoE6EfNS0_10empty_typeEbEEZZNS1_14partition_implILS5_6ELb0ES3_mN6thrust23THRUST_200600_302600_NS6detail15normal_iteratorINSA_10device_ptrIfEEEEPS6_SG_NS0_5tupleIJSF_S6_EEENSH_IJSG_SG_EEES6_PlJNSB_9not_fun_tINSB_14equal_to_valueIfEEEEEEE10hipError_tPvRmT3_T4_T5_T6_T7_T9_mT8_P12ihipStream_tbDpT10_ENKUlT_T0_E_clISt17integral_constantIbLb1EES18_EEDaS13_S14_EUlS13_E_NS1_11comp_targetILNS1_3genE4ELNS1_11target_archE910ELNS1_3gpuE8ELNS1_3repE0EEENS1_30default_config_static_selectorELNS0_4arch9wavefront6targetE0EEEvT1_ ; -- Begin function _ZN7rocprim17ROCPRIM_400000_NS6detail17trampoline_kernelINS0_14default_configENS1_25partition_config_selectorILNS1_17partition_subalgoE6EfNS0_10empty_typeEbEEZZNS1_14partition_implILS5_6ELb0ES3_mN6thrust23THRUST_200600_302600_NS6detail15normal_iteratorINSA_10device_ptrIfEEEEPS6_SG_NS0_5tupleIJSF_S6_EEENSH_IJSG_SG_EEES6_PlJNSB_9not_fun_tINSB_14equal_to_valueIfEEEEEEE10hipError_tPvRmT3_T4_T5_T6_T7_T9_mT8_P12ihipStream_tbDpT10_ENKUlT_T0_E_clISt17integral_constantIbLb1EES18_EEDaS13_S14_EUlS13_E_NS1_11comp_targetILNS1_3genE4ELNS1_11target_archE910ELNS1_3gpuE8ELNS1_3repE0EEENS1_30default_config_static_selectorELNS0_4arch9wavefront6targetE0EEEvT1_
	.globl	_ZN7rocprim17ROCPRIM_400000_NS6detail17trampoline_kernelINS0_14default_configENS1_25partition_config_selectorILNS1_17partition_subalgoE6EfNS0_10empty_typeEbEEZZNS1_14partition_implILS5_6ELb0ES3_mN6thrust23THRUST_200600_302600_NS6detail15normal_iteratorINSA_10device_ptrIfEEEEPS6_SG_NS0_5tupleIJSF_S6_EEENSH_IJSG_SG_EEES6_PlJNSB_9not_fun_tINSB_14equal_to_valueIfEEEEEEE10hipError_tPvRmT3_T4_T5_T6_T7_T9_mT8_P12ihipStream_tbDpT10_ENKUlT_T0_E_clISt17integral_constantIbLb1EES18_EEDaS13_S14_EUlS13_E_NS1_11comp_targetILNS1_3genE4ELNS1_11target_archE910ELNS1_3gpuE8ELNS1_3repE0EEENS1_30default_config_static_selectorELNS0_4arch9wavefront6targetE0EEEvT1_
	.p2align	8
	.type	_ZN7rocprim17ROCPRIM_400000_NS6detail17trampoline_kernelINS0_14default_configENS1_25partition_config_selectorILNS1_17partition_subalgoE6EfNS0_10empty_typeEbEEZZNS1_14partition_implILS5_6ELb0ES3_mN6thrust23THRUST_200600_302600_NS6detail15normal_iteratorINSA_10device_ptrIfEEEEPS6_SG_NS0_5tupleIJSF_S6_EEENSH_IJSG_SG_EEES6_PlJNSB_9not_fun_tINSB_14equal_to_valueIfEEEEEEE10hipError_tPvRmT3_T4_T5_T6_T7_T9_mT8_P12ihipStream_tbDpT10_ENKUlT_T0_E_clISt17integral_constantIbLb1EES18_EEDaS13_S14_EUlS13_E_NS1_11comp_targetILNS1_3genE4ELNS1_11target_archE910ELNS1_3gpuE8ELNS1_3repE0EEENS1_30default_config_static_selectorELNS0_4arch9wavefront6targetE0EEEvT1_,@function
_ZN7rocprim17ROCPRIM_400000_NS6detail17trampoline_kernelINS0_14default_configENS1_25partition_config_selectorILNS1_17partition_subalgoE6EfNS0_10empty_typeEbEEZZNS1_14partition_implILS5_6ELb0ES3_mN6thrust23THRUST_200600_302600_NS6detail15normal_iteratorINSA_10device_ptrIfEEEEPS6_SG_NS0_5tupleIJSF_S6_EEENSH_IJSG_SG_EEES6_PlJNSB_9not_fun_tINSB_14equal_to_valueIfEEEEEEE10hipError_tPvRmT3_T4_T5_T6_T7_T9_mT8_P12ihipStream_tbDpT10_ENKUlT_T0_E_clISt17integral_constantIbLb1EES18_EEDaS13_S14_EUlS13_E_NS1_11comp_targetILNS1_3genE4ELNS1_11target_archE910ELNS1_3gpuE8ELNS1_3repE0EEENS1_30default_config_static_selectorELNS0_4arch9wavefront6targetE0EEEvT1_: ; @_ZN7rocprim17ROCPRIM_400000_NS6detail17trampoline_kernelINS0_14default_configENS1_25partition_config_selectorILNS1_17partition_subalgoE6EfNS0_10empty_typeEbEEZZNS1_14partition_implILS5_6ELb0ES3_mN6thrust23THRUST_200600_302600_NS6detail15normal_iteratorINSA_10device_ptrIfEEEEPS6_SG_NS0_5tupleIJSF_S6_EEENSH_IJSG_SG_EEES6_PlJNSB_9not_fun_tINSB_14equal_to_valueIfEEEEEEE10hipError_tPvRmT3_T4_T5_T6_T7_T9_mT8_P12ihipStream_tbDpT10_ENKUlT_T0_E_clISt17integral_constantIbLb1EES18_EEDaS13_S14_EUlS13_E_NS1_11comp_targetILNS1_3genE4ELNS1_11target_archE910ELNS1_3gpuE8ELNS1_3repE0EEENS1_30default_config_static_selectorELNS0_4arch9wavefront6targetE0EEEvT1_
; %bb.0:
	.section	.rodata,"a",@progbits
	.p2align	6, 0x0
	.amdhsa_kernel _ZN7rocprim17ROCPRIM_400000_NS6detail17trampoline_kernelINS0_14default_configENS1_25partition_config_selectorILNS1_17partition_subalgoE6EfNS0_10empty_typeEbEEZZNS1_14partition_implILS5_6ELb0ES3_mN6thrust23THRUST_200600_302600_NS6detail15normal_iteratorINSA_10device_ptrIfEEEEPS6_SG_NS0_5tupleIJSF_S6_EEENSH_IJSG_SG_EEES6_PlJNSB_9not_fun_tINSB_14equal_to_valueIfEEEEEEE10hipError_tPvRmT3_T4_T5_T6_T7_T9_mT8_P12ihipStream_tbDpT10_ENKUlT_T0_E_clISt17integral_constantIbLb1EES18_EEDaS13_S14_EUlS13_E_NS1_11comp_targetILNS1_3genE4ELNS1_11target_archE910ELNS1_3gpuE8ELNS1_3repE0EEENS1_30default_config_static_selectorELNS0_4arch9wavefront6targetE0EEEvT1_
		.amdhsa_group_segment_fixed_size 0
		.amdhsa_private_segment_fixed_size 0
		.amdhsa_kernarg_size 128
		.amdhsa_user_sgpr_count 2
		.amdhsa_user_sgpr_dispatch_ptr 0
		.amdhsa_user_sgpr_queue_ptr 0
		.amdhsa_user_sgpr_kernarg_segment_ptr 1
		.amdhsa_user_sgpr_dispatch_id 0
		.amdhsa_user_sgpr_private_segment_size 0
		.amdhsa_wavefront_size32 1
		.amdhsa_uses_dynamic_stack 0
		.amdhsa_enable_private_segment 0
		.amdhsa_system_sgpr_workgroup_id_x 1
		.amdhsa_system_sgpr_workgroup_id_y 0
		.amdhsa_system_sgpr_workgroup_id_z 0
		.amdhsa_system_sgpr_workgroup_info 0
		.amdhsa_system_vgpr_workitem_id 0
		.amdhsa_next_free_vgpr 1
		.amdhsa_next_free_sgpr 1
		.amdhsa_reserve_vcc 0
		.amdhsa_float_round_mode_32 0
		.amdhsa_float_round_mode_16_64 0
		.amdhsa_float_denorm_mode_32 3
		.amdhsa_float_denorm_mode_16_64 3
		.amdhsa_fp16_overflow 0
		.amdhsa_workgroup_processor_mode 1
		.amdhsa_memory_ordered 1
		.amdhsa_forward_progress 1
		.amdhsa_inst_pref_size 0
		.amdhsa_round_robin_scheduling 0
		.amdhsa_exception_fp_ieee_invalid_op 0
		.amdhsa_exception_fp_denorm_src 0
		.amdhsa_exception_fp_ieee_div_zero 0
		.amdhsa_exception_fp_ieee_overflow 0
		.amdhsa_exception_fp_ieee_underflow 0
		.amdhsa_exception_fp_ieee_inexact 0
		.amdhsa_exception_int_div_zero 0
	.end_amdhsa_kernel
	.section	.text._ZN7rocprim17ROCPRIM_400000_NS6detail17trampoline_kernelINS0_14default_configENS1_25partition_config_selectorILNS1_17partition_subalgoE6EfNS0_10empty_typeEbEEZZNS1_14partition_implILS5_6ELb0ES3_mN6thrust23THRUST_200600_302600_NS6detail15normal_iteratorINSA_10device_ptrIfEEEEPS6_SG_NS0_5tupleIJSF_S6_EEENSH_IJSG_SG_EEES6_PlJNSB_9not_fun_tINSB_14equal_to_valueIfEEEEEEE10hipError_tPvRmT3_T4_T5_T6_T7_T9_mT8_P12ihipStream_tbDpT10_ENKUlT_T0_E_clISt17integral_constantIbLb1EES18_EEDaS13_S14_EUlS13_E_NS1_11comp_targetILNS1_3genE4ELNS1_11target_archE910ELNS1_3gpuE8ELNS1_3repE0EEENS1_30default_config_static_selectorELNS0_4arch9wavefront6targetE0EEEvT1_,"axG",@progbits,_ZN7rocprim17ROCPRIM_400000_NS6detail17trampoline_kernelINS0_14default_configENS1_25partition_config_selectorILNS1_17partition_subalgoE6EfNS0_10empty_typeEbEEZZNS1_14partition_implILS5_6ELb0ES3_mN6thrust23THRUST_200600_302600_NS6detail15normal_iteratorINSA_10device_ptrIfEEEEPS6_SG_NS0_5tupleIJSF_S6_EEENSH_IJSG_SG_EEES6_PlJNSB_9not_fun_tINSB_14equal_to_valueIfEEEEEEE10hipError_tPvRmT3_T4_T5_T6_T7_T9_mT8_P12ihipStream_tbDpT10_ENKUlT_T0_E_clISt17integral_constantIbLb1EES18_EEDaS13_S14_EUlS13_E_NS1_11comp_targetILNS1_3genE4ELNS1_11target_archE910ELNS1_3gpuE8ELNS1_3repE0EEENS1_30default_config_static_selectorELNS0_4arch9wavefront6targetE0EEEvT1_,comdat
.Lfunc_end319:
	.size	_ZN7rocprim17ROCPRIM_400000_NS6detail17trampoline_kernelINS0_14default_configENS1_25partition_config_selectorILNS1_17partition_subalgoE6EfNS0_10empty_typeEbEEZZNS1_14partition_implILS5_6ELb0ES3_mN6thrust23THRUST_200600_302600_NS6detail15normal_iteratorINSA_10device_ptrIfEEEEPS6_SG_NS0_5tupleIJSF_S6_EEENSH_IJSG_SG_EEES6_PlJNSB_9not_fun_tINSB_14equal_to_valueIfEEEEEEE10hipError_tPvRmT3_T4_T5_T6_T7_T9_mT8_P12ihipStream_tbDpT10_ENKUlT_T0_E_clISt17integral_constantIbLb1EES18_EEDaS13_S14_EUlS13_E_NS1_11comp_targetILNS1_3genE4ELNS1_11target_archE910ELNS1_3gpuE8ELNS1_3repE0EEENS1_30default_config_static_selectorELNS0_4arch9wavefront6targetE0EEEvT1_, .Lfunc_end319-_ZN7rocprim17ROCPRIM_400000_NS6detail17trampoline_kernelINS0_14default_configENS1_25partition_config_selectorILNS1_17partition_subalgoE6EfNS0_10empty_typeEbEEZZNS1_14partition_implILS5_6ELb0ES3_mN6thrust23THRUST_200600_302600_NS6detail15normal_iteratorINSA_10device_ptrIfEEEEPS6_SG_NS0_5tupleIJSF_S6_EEENSH_IJSG_SG_EEES6_PlJNSB_9not_fun_tINSB_14equal_to_valueIfEEEEEEE10hipError_tPvRmT3_T4_T5_T6_T7_T9_mT8_P12ihipStream_tbDpT10_ENKUlT_T0_E_clISt17integral_constantIbLb1EES18_EEDaS13_S14_EUlS13_E_NS1_11comp_targetILNS1_3genE4ELNS1_11target_archE910ELNS1_3gpuE8ELNS1_3repE0EEENS1_30default_config_static_selectorELNS0_4arch9wavefront6targetE0EEEvT1_
                                        ; -- End function
	.set _ZN7rocprim17ROCPRIM_400000_NS6detail17trampoline_kernelINS0_14default_configENS1_25partition_config_selectorILNS1_17partition_subalgoE6EfNS0_10empty_typeEbEEZZNS1_14partition_implILS5_6ELb0ES3_mN6thrust23THRUST_200600_302600_NS6detail15normal_iteratorINSA_10device_ptrIfEEEEPS6_SG_NS0_5tupleIJSF_S6_EEENSH_IJSG_SG_EEES6_PlJNSB_9not_fun_tINSB_14equal_to_valueIfEEEEEEE10hipError_tPvRmT3_T4_T5_T6_T7_T9_mT8_P12ihipStream_tbDpT10_ENKUlT_T0_E_clISt17integral_constantIbLb1EES18_EEDaS13_S14_EUlS13_E_NS1_11comp_targetILNS1_3genE4ELNS1_11target_archE910ELNS1_3gpuE8ELNS1_3repE0EEENS1_30default_config_static_selectorELNS0_4arch9wavefront6targetE0EEEvT1_.num_vgpr, 0
	.set _ZN7rocprim17ROCPRIM_400000_NS6detail17trampoline_kernelINS0_14default_configENS1_25partition_config_selectorILNS1_17partition_subalgoE6EfNS0_10empty_typeEbEEZZNS1_14partition_implILS5_6ELb0ES3_mN6thrust23THRUST_200600_302600_NS6detail15normal_iteratorINSA_10device_ptrIfEEEEPS6_SG_NS0_5tupleIJSF_S6_EEENSH_IJSG_SG_EEES6_PlJNSB_9not_fun_tINSB_14equal_to_valueIfEEEEEEE10hipError_tPvRmT3_T4_T5_T6_T7_T9_mT8_P12ihipStream_tbDpT10_ENKUlT_T0_E_clISt17integral_constantIbLb1EES18_EEDaS13_S14_EUlS13_E_NS1_11comp_targetILNS1_3genE4ELNS1_11target_archE910ELNS1_3gpuE8ELNS1_3repE0EEENS1_30default_config_static_selectorELNS0_4arch9wavefront6targetE0EEEvT1_.num_agpr, 0
	.set _ZN7rocprim17ROCPRIM_400000_NS6detail17trampoline_kernelINS0_14default_configENS1_25partition_config_selectorILNS1_17partition_subalgoE6EfNS0_10empty_typeEbEEZZNS1_14partition_implILS5_6ELb0ES3_mN6thrust23THRUST_200600_302600_NS6detail15normal_iteratorINSA_10device_ptrIfEEEEPS6_SG_NS0_5tupleIJSF_S6_EEENSH_IJSG_SG_EEES6_PlJNSB_9not_fun_tINSB_14equal_to_valueIfEEEEEEE10hipError_tPvRmT3_T4_T5_T6_T7_T9_mT8_P12ihipStream_tbDpT10_ENKUlT_T0_E_clISt17integral_constantIbLb1EES18_EEDaS13_S14_EUlS13_E_NS1_11comp_targetILNS1_3genE4ELNS1_11target_archE910ELNS1_3gpuE8ELNS1_3repE0EEENS1_30default_config_static_selectorELNS0_4arch9wavefront6targetE0EEEvT1_.numbered_sgpr, 0
	.set _ZN7rocprim17ROCPRIM_400000_NS6detail17trampoline_kernelINS0_14default_configENS1_25partition_config_selectorILNS1_17partition_subalgoE6EfNS0_10empty_typeEbEEZZNS1_14partition_implILS5_6ELb0ES3_mN6thrust23THRUST_200600_302600_NS6detail15normal_iteratorINSA_10device_ptrIfEEEEPS6_SG_NS0_5tupleIJSF_S6_EEENSH_IJSG_SG_EEES6_PlJNSB_9not_fun_tINSB_14equal_to_valueIfEEEEEEE10hipError_tPvRmT3_T4_T5_T6_T7_T9_mT8_P12ihipStream_tbDpT10_ENKUlT_T0_E_clISt17integral_constantIbLb1EES18_EEDaS13_S14_EUlS13_E_NS1_11comp_targetILNS1_3genE4ELNS1_11target_archE910ELNS1_3gpuE8ELNS1_3repE0EEENS1_30default_config_static_selectorELNS0_4arch9wavefront6targetE0EEEvT1_.num_named_barrier, 0
	.set _ZN7rocprim17ROCPRIM_400000_NS6detail17trampoline_kernelINS0_14default_configENS1_25partition_config_selectorILNS1_17partition_subalgoE6EfNS0_10empty_typeEbEEZZNS1_14partition_implILS5_6ELb0ES3_mN6thrust23THRUST_200600_302600_NS6detail15normal_iteratorINSA_10device_ptrIfEEEEPS6_SG_NS0_5tupleIJSF_S6_EEENSH_IJSG_SG_EEES6_PlJNSB_9not_fun_tINSB_14equal_to_valueIfEEEEEEE10hipError_tPvRmT3_T4_T5_T6_T7_T9_mT8_P12ihipStream_tbDpT10_ENKUlT_T0_E_clISt17integral_constantIbLb1EES18_EEDaS13_S14_EUlS13_E_NS1_11comp_targetILNS1_3genE4ELNS1_11target_archE910ELNS1_3gpuE8ELNS1_3repE0EEENS1_30default_config_static_selectorELNS0_4arch9wavefront6targetE0EEEvT1_.private_seg_size, 0
	.set _ZN7rocprim17ROCPRIM_400000_NS6detail17trampoline_kernelINS0_14default_configENS1_25partition_config_selectorILNS1_17partition_subalgoE6EfNS0_10empty_typeEbEEZZNS1_14partition_implILS5_6ELb0ES3_mN6thrust23THRUST_200600_302600_NS6detail15normal_iteratorINSA_10device_ptrIfEEEEPS6_SG_NS0_5tupleIJSF_S6_EEENSH_IJSG_SG_EEES6_PlJNSB_9not_fun_tINSB_14equal_to_valueIfEEEEEEE10hipError_tPvRmT3_T4_T5_T6_T7_T9_mT8_P12ihipStream_tbDpT10_ENKUlT_T0_E_clISt17integral_constantIbLb1EES18_EEDaS13_S14_EUlS13_E_NS1_11comp_targetILNS1_3genE4ELNS1_11target_archE910ELNS1_3gpuE8ELNS1_3repE0EEENS1_30default_config_static_selectorELNS0_4arch9wavefront6targetE0EEEvT1_.uses_vcc, 0
	.set _ZN7rocprim17ROCPRIM_400000_NS6detail17trampoline_kernelINS0_14default_configENS1_25partition_config_selectorILNS1_17partition_subalgoE6EfNS0_10empty_typeEbEEZZNS1_14partition_implILS5_6ELb0ES3_mN6thrust23THRUST_200600_302600_NS6detail15normal_iteratorINSA_10device_ptrIfEEEEPS6_SG_NS0_5tupleIJSF_S6_EEENSH_IJSG_SG_EEES6_PlJNSB_9not_fun_tINSB_14equal_to_valueIfEEEEEEE10hipError_tPvRmT3_T4_T5_T6_T7_T9_mT8_P12ihipStream_tbDpT10_ENKUlT_T0_E_clISt17integral_constantIbLb1EES18_EEDaS13_S14_EUlS13_E_NS1_11comp_targetILNS1_3genE4ELNS1_11target_archE910ELNS1_3gpuE8ELNS1_3repE0EEENS1_30default_config_static_selectorELNS0_4arch9wavefront6targetE0EEEvT1_.uses_flat_scratch, 0
	.set _ZN7rocprim17ROCPRIM_400000_NS6detail17trampoline_kernelINS0_14default_configENS1_25partition_config_selectorILNS1_17partition_subalgoE6EfNS0_10empty_typeEbEEZZNS1_14partition_implILS5_6ELb0ES3_mN6thrust23THRUST_200600_302600_NS6detail15normal_iteratorINSA_10device_ptrIfEEEEPS6_SG_NS0_5tupleIJSF_S6_EEENSH_IJSG_SG_EEES6_PlJNSB_9not_fun_tINSB_14equal_to_valueIfEEEEEEE10hipError_tPvRmT3_T4_T5_T6_T7_T9_mT8_P12ihipStream_tbDpT10_ENKUlT_T0_E_clISt17integral_constantIbLb1EES18_EEDaS13_S14_EUlS13_E_NS1_11comp_targetILNS1_3genE4ELNS1_11target_archE910ELNS1_3gpuE8ELNS1_3repE0EEENS1_30default_config_static_selectorELNS0_4arch9wavefront6targetE0EEEvT1_.has_dyn_sized_stack, 0
	.set _ZN7rocprim17ROCPRIM_400000_NS6detail17trampoline_kernelINS0_14default_configENS1_25partition_config_selectorILNS1_17partition_subalgoE6EfNS0_10empty_typeEbEEZZNS1_14partition_implILS5_6ELb0ES3_mN6thrust23THRUST_200600_302600_NS6detail15normal_iteratorINSA_10device_ptrIfEEEEPS6_SG_NS0_5tupleIJSF_S6_EEENSH_IJSG_SG_EEES6_PlJNSB_9not_fun_tINSB_14equal_to_valueIfEEEEEEE10hipError_tPvRmT3_T4_T5_T6_T7_T9_mT8_P12ihipStream_tbDpT10_ENKUlT_T0_E_clISt17integral_constantIbLb1EES18_EEDaS13_S14_EUlS13_E_NS1_11comp_targetILNS1_3genE4ELNS1_11target_archE910ELNS1_3gpuE8ELNS1_3repE0EEENS1_30default_config_static_selectorELNS0_4arch9wavefront6targetE0EEEvT1_.has_recursion, 0
	.set _ZN7rocprim17ROCPRIM_400000_NS6detail17trampoline_kernelINS0_14default_configENS1_25partition_config_selectorILNS1_17partition_subalgoE6EfNS0_10empty_typeEbEEZZNS1_14partition_implILS5_6ELb0ES3_mN6thrust23THRUST_200600_302600_NS6detail15normal_iteratorINSA_10device_ptrIfEEEEPS6_SG_NS0_5tupleIJSF_S6_EEENSH_IJSG_SG_EEES6_PlJNSB_9not_fun_tINSB_14equal_to_valueIfEEEEEEE10hipError_tPvRmT3_T4_T5_T6_T7_T9_mT8_P12ihipStream_tbDpT10_ENKUlT_T0_E_clISt17integral_constantIbLb1EES18_EEDaS13_S14_EUlS13_E_NS1_11comp_targetILNS1_3genE4ELNS1_11target_archE910ELNS1_3gpuE8ELNS1_3repE0EEENS1_30default_config_static_selectorELNS0_4arch9wavefront6targetE0EEEvT1_.has_indirect_call, 0
	.section	.AMDGPU.csdata,"",@progbits
; Kernel info:
; codeLenInByte = 0
; TotalNumSgprs: 0
; NumVgprs: 0
; ScratchSize: 0
; MemoryBound: 0
; FloatMode: 240
; IeeeMode: 1
; LDSByteSize: 0 bytes/workgroup (compile time only)
; SGPRBlocks: 0
; VGPRBlocks: 0
; NumSGPRsForWavesPerEU: 1
; NumVGPRsForWavesPerEU: 1
; Occupancy: 16
; WaveLimiterHint : 0
; COMPUTE_PGM_RSRC2:SCRATCH_EN: 0
; COMPUTE_PGM_RSRC2:USER_SGPR: 2
; COMPUTE_PGM_RSRC2:TRAP_HANDLER: 0
; COMPUTE_PGM_RSRC2:TGID_X_EN: 1
; COMPUTE_PGM_RSRC2:TGID_Y_EN: 0
; COMPUTE_PGM_RSRC2:TGID_Z_EN: 0
; COMPUTE_PGM_RSRC2:TIDIG_COMP_CNT: 0
	.section	.text._ZN7rocprim17ROCPRIM_400000_NS6detail17trampoline_kernelINS0_14default_configENS1_25partition_config_selectorILNS1_17partition_subalgoE6EfNS0_10empty_typeEbEEZZNS1_14partition_implILS5_6ELb0ES3_mN6thrust23THRUST_200600_302600_NS6detail15normal_iteratorINSA_10device_ptrIfEEEEPS6_SG_NS0_5tupleIJSF_S6_EEENSH_IJSG_SG_EEES6_PlJNSB_9not_fun_tINSB_14equal_to_valueIfEEEEEEE10hipError_tPvRmT3_T4_T5_T6_T7_T9_mT8_P12ihipStream_tbDpT10_ENKUlT_T0_E_clISt17integral_constantIbLb1EES18_EEDaS13_S14_EUlS13_E_NS1_11comp_targetILNS1_3genE3ELNS1_11target_archE908ELNS1_3gpuE7ELNS1_3repE0EEENS1_30default_config_static_selectorELNS0_4arch9wavefront6targetE0EEEvT1_,"axG",@progbits,_ZN7rocprim17ROCPRIM_400000_NS6detail17trampoline_kernelINS0_14default_configENS1_25partition_config_selectorILNS1_17partition_subalgoE6EfNS0_10empty_typeEbEEZZNS1_14partition_implILS5_6ELb0ES3_mN6thrust23THRUST_200600_302600_NS6detail15normal_iteratorINSA_10device_ptrIfEEEEPS6_SG_NS0_5tupleIJSF_S6_EEENSH_IJSG_SG_EEES6_PlJNSB_9not_fun_tINSB_14equal_to_valueIfEEEEEEE10hipError_tPvRmT3_T4_T5_T6_T7_T9_mT8_P12ihipStream_tbDpT10_ENKUlT_T0_E_clISt17integral_constantIbLb1EES18_EEDaS13_S14_EUlS13_E_NS1_11comp_targetILNS1_3genE3ELNS1_11target_archE908ELNS1_3gpuE7ELNS1_3repE0EEENS1_30default_config_static_selectorELNS0_4arch9wavefront6targetE0EEEvT1_,comdat
	.protected	_ZN7rocprim17ROCPRIM_400000_NS6detail17trampoline_kernelINS0_14default_configENS1_25partition_config_selectorILNS1_17partition_subalgoE6EfNS0_10empty_typeEbEEZZNS1_14partition_implILS5_6ELb0ES3_mN6thrust23THRUST_200600_302600_NS6detail15normal_iteratorINSA_10device_ptrIfEEEEPS6_SG_NS0_5tupleIJSF_S6_EEENSH_IJSG_SG_EEES6_PlJNSB_9not_fun_tINSB_14equal_to_valueIfEEEEEEE10hipError_tPvRmT3_T4_T5_T6_T7_T9_mT8_P12ihipStream_tbDpT10_ENKUlT_T0_E_clISt17integral_constantIbLb1EES18_EEDaS13_S14_EUlS13_E_NS1_11comp_targetILNS1_3genE3ELNS1_11target_archE908ELNS1_3gpuE7ELNS1_3repE0EEENS1_30default_config_static_selectorELNS0_4arch9wavefront6targetE0EEEvT1_ ; -- Begin function _ZN7rocprim17ROCPRIM_400000_NS6detail17trampoline_kernelINS0_14default_configENS1_25partition_config_selectorILNS1_17partition_subalgoE6EfNS0_10empty_typeEbEEZZNS1_14partition_implILS5_6ELb0ES3_mN6thrust23THRUST_200600_302600_NS6detail15normal_iteratorINSA_10device_ptrIfEEEEPS6_SG_NS0_5tupleIJSF_S6_EEENSH_IJSG_SG_EEES6_PlJNSB_9not_fun_tINSB_14equal_to_valueIfEEEEEEE10hipError_tPvRmT3_T4_T5_T6_T7_T9_mT8_P12ihipStream_tbDpT10_ENKUlT_T0_E_clISt17integral_constantIbLb1EES18_EEDaS13_S14_EUlS13_E_NS1_11comp_targetILNS1_3genE3ELNS1_11target_archE908ELNS1_3gpuE7ELNS1_3repE0EEENS1_30default_config_static_selectorELNS0_4arch9wavefront6targetE0EEEvT1_
	.globl	_ZN7rocprim17ROCPRIM_400000_NS6detail17trampoline_kernelINS0_14default_configENS1_25partition_config_selectorILNS1_17partition_subalgoE6EfNS0_10empty_typeEbEEZZNS1_14partition_implILS5_6ELb0ES3_mN6thrust23THRUST_200600_302600_NS6detail15normal_iteratorINSA_10device_ptrIfEEEEPS6_SG_NS0_5tupleIJSF_S6_EEENSH_IJSG_SG_EEES6_PlJNSB_9not_fun_tINSB_14equal_to_valueIfEEEEEEE10hipError_tPvRmT3_T4_T5_T6_T7_T9_mT8_P12ihipStream_tbDpT10_ENKUlT_T0_E_clISt17integral_constantIbLb1EES18_EEDaS13_S14_EUlS13_E_NS1_11comp_targetILNS1_3genE3ELNS1_11target_archE908ELNS1_3gpuE7ELNS1_3repE0EEENS1_30default_config_static_selectorELNS0_4arch9wavefront6targetE0EEEvT1_
	.p2align	8
	.type	_ZN7rocprim17ROCPRIM_400000_NS6detail17trampoline_kernelINS0_14default_configENS1_25partition_config_selectorILNS1_17partition_subalgoE6EfNS0_10empty_typeEbEEZZNS1_14partition_implILS5_6ELb0ES3_mN6thrust23THRUST_200600_302600_NS6detail15normal_iteratorINSA_10device_ptrIfEEEEPS6_SG_NS0_5tupleIJSF_S6_EEENSH_IJSG_SG_EEES6_PlJNSB_9not_fun_tINSB_14equal_to_valueIfEEEEEEE10hipError_tPvRmT3_T4_T5_T6_T7_T9_mT8_P12ihipStream_tbDpT10_ENKUlT_T0_E_clISt17integral_constantIbLb1EES18_EEDaS13_S14_EUlS13_E_NS1_11comp_targetILNS1_3genE3ELNS1_11target_archE908ELNS1_3gpuE7ELNS1_3repE0EEENS1_30default_config_static_selectorELNS0_4arch9wavefront6targetE0EEEvT1_,@function
_ZN7rocprim17ROCPRIM_400000_NS6detail17trampoline_kernelINS0_14default_configENS1_25partition_config_selectorILNS1_17partition_subalgoE6EfNS0_10empty_typeEbEEZZNS1_14partition_implILS5_6ELb0ES3_mN6thrust23THRUST_200600_302600_NS6detail15normal_iteratorINSA_10device_ptrIfEEEEPS6_SG_NS0_5tupleIJSF_S6_EEENSH_IJSG_SG_EEES6_PlJNSB_9not_fun_tINSB_14equal_to_valueIfEEEEEEE10hipError_tPvRmT3_T4_T5_T6_T7_T9_mT8_P12ihipStream_tbDpT10_ENKUlT_T0_E_clISt17integral_constantIbLb1EES18_EEDaS13_S14_EUlS13_E_NS1_11comp_targetILNS1_3genE3ELNS1_11target_archE908ELNS1_3gpuE7ELNS1_3repE0EEENS1_30default_config_static_selectorELNS0_4arch9wavefront6targetE0EEEvT1_: ; @_ZN7rocprim17ROCPRIM_400000_NS6detail17trampoline_kernelINS0_14default_configENS1_25partition_config_selectorILNS1_17partition_subalgoE6EfNS0_10empty_typeEbEEZZNS1_14partition_implILS5_6ELb0ES3_mN6thrust23THRUST_200600_302600_NS6detail15normal_iteratorINSA_10device_ptrIfEEEEPS6_SG_NS0_5tupleIJSF_S6_EEENSH_IJSG_SG_EEES6_PlJNSB_9not_fun_tINSB_14equal_to_valueIfEEEEEEE10hipError_tPvRmT3_T4_T5_T6_T7_T9_mT8_P12ihipStream_tbDpT10_ENKUlT_T0_E_clISt17integral_constantIbLb1EES18_EEDaS13_S14_EUlS13_E_NS1_11comp_targetILNS1_3genE3ELNS1_11target_archE908ELNS1_3gpuE7ELNS1_3repE0EEENS1_30default_config_static_selectorELNS0_4arch9wavefront6targetE0EEEvT1_
; %bb.0:
	.section	.rodata,"a",@progbits
	.p2align	6, 0x0
	.amdhsa_kernel _ZN7rocprim17ROCPRIM_400000_NS6detail17trampoline_kernelINS0_14default_configENS1_25partition_config_selectorILNS1_17partition_subalgoE6EfNS0_10empty_typeEbEEZZNS1_14partition_implILS5_6ELb0ES3_mN6thrust23THRUST_200600_302600_NS6detail15normal_iteratorINSA_10device_ptrIfEEEEPS6_SG_NS0_5tupleIJSF_S6_EEENSH_IJSG_SG_EEES6_PlJNSB_9not_fun_tINSB_14equal_to_valueIfEEEEEEE10hipError_tPvRmT3_T4_T5_T6_T7_T9_mT8_P12ihipStream_tbDpT10_ENKUlT_T0_E_clISt17integral_constantIbLb1EES18_EEDaS13_S14_EUlS13_E_NS1_11comp_targetILNS1_3genE3ELNS1_11target_archE908ELNS1_3gpuE7ELNS1_3repE0EEENS1_30default_config_static_selectorELNS0_4arch9wavefront6targetE0EEEvT1_
		.amdhsa_group_segment_fixed_size 0
		.amdhsa_private_segment_fixed_size 0
		.amdhsa_kernarg_size 128
		.amdhsa_user_sgpr_count 2
		.amdhsa_user_sgpr_dispatch_ptr 0
		.amdhsa_user_sgpr_queue_ptr 0
		.amdhsa_user_sgpr_kernarg_segment_ptr 1
		.amdhsa_user_sgpr_dispatch_id 0
		.amdhsa_user_sgpr_private_segment_size 0
		.amdhsa_wavefront_size32 1
		.amdhsa_uses_dynamic_stack 0
		.amdhsa_enable_private_segment 0
		.amdhsa_system_sgpr_workgroup_id_x 1
		.amdhsa_system_sgpr_workgroup_id_y 0
		.amdhsa_system_sgpr_workgroup_id_z 0
		.amdhsa_system_sgpr_workgroup_info 0
		.amdhsa_system_vgpr_workitem_id 0
		.amdhsa_next_free_vgpr 1
		.amdhsa_next_free_sgpr 1
		.amdhsa_reserve_vcc 0
		.amdhsa_float_round_mode_32 0
		.amdhsa_float_round_mode_16_64 0
		.amdhsa_float_denorm_mode_32 3
		.amdhsa_float_denorm_mode_16_64 3
		.amdhsa_fp16_overflow 0
		.amdhsa_workgroup_processor_mode 1
		.amdhsa_memory_ordered 1
		.amdhsa_forward_progress 1
		.amdhsa_inst_pref_size 0
		.amdhsa_round_robin_scheduling 0
		.amdhsa_exception_fp_ieee_invalid_op 0
		.amdhsa_exception_fp_denorm_src 0
		.amdhsa_exception_fp_ieee_div_zero 0
		.amdhsa_exception_fp_ieee_overflow 0
		.amdhsa_exception_fp_ieee_underflow 0
		.amdhsa_exception_fp_ieee_inexact 0
		.amdhsa_exception_int_div_zero 0
	.end_amdhsa_kernel
	.section	.text._ZN7rocprim17ROCPRIM_400000_NS6detail17trampoline_kernelINS0_14default_configENS1_25partition_config_selectorILNS1_17partition_subalgoE6EfNS0_10empty_typeEbEEZZNS1_14partition_implILS5_6ELb0ES3_mN6thrust23THRUST_200600_302600_NS6detail15normal_iteratorINSA_10device_ptrIfEEEEPS6_SG_NS0_5tupleIJSF_S6_EEENSH_IJSG_SG_EEES6_PlJNSB_9not_fun_tINSB_14equal_to_valueIfEEEEEEE10hipError_tPvRmT3_T4_T5_T6_T7_T9_mT8_P12ihipStream_tbDpT10_ENKUlT_T0_E_clISt17integral_constantIbLb1EES18_EEDaS13_S14_EUlS13_E_NS1_11comp_targetILNS1_3genE3ELNS1_11target_archE908ELNS1_3gpuE7ELNS1_3repE0EEENS1_30default_config_static_selectorELNS0_4arch9wavefront6targetE0EEEvT1_,"axG",@progbits,_ZN7rocprim17ROCPRIM_400000_NS6detail17trampoline_kernelINS0_14default_configENS1_25partition_config_selectorILNS1_17partition_subalgoE6EfNS0_10empty_typeEbEEZZNS1_14partition_implILS5_6ELb0ES3_mN6thrust23THRUST_200600_302600_NS6detail15normal_iteratorINSA_10device_ptrIfEEEEPS6_SG_NS0_5tupleIJSF_S6_EEENSH_IJSG_SG_EEES6_PlJNSB_9not_fun_tINSB_14equal_to_valueIfEEEEEEE10hipError_tPvRmT3_T4_T5_T6_T7_T9_mT8_P12ihipStream_tbDpT10_ENKUlT_T0_E_clISt17integral_constantIbLb1EES18_EEDaS13_S14_EUlS13_E_NS1_11comp_targetILNS1_3genE3ELNS1_11target_archE908ELNS1_3gpuE7ELNS1_3repE0EEENS1_30default_config_static_selectorELNS0_4arch9wavefront6targetE0EEEvT1_,comdat
.Lfunc_end320:
	.size	_ZN7rocprim17ROCPRIM_400000_NS6detail17trampoline_kernelINS0_14default_configENS1_25partition_config_selectorILNS1_17partition_subalgoE6EfNS0_10empty_typeEbEEZZNS1_14partition_implILS5_6ELb0ES3_mN6thrust23THRUST_200600_302600_NS6detail15normal_iteratorINSA_10device_ptrIfEEEEPS6_SG_NS0_5tupleIJSF_S6_EEENSH_IJSG_SG_EEES6_PlJNSB_9not_fun_tINSB_14equal_to_valueIfEEEEEEE10hipError_tPvRmT3_T4_T5_T6_T7_T9_mT8_P12ihipStream_tbDpT10_ENKUlT_T0_E_clISt17integral_constantIbLb1EES18_EEDaS13_S14_EUlS13_E_NS1_11comp_targetILNS1_3genE3ELNS1_11target_archE908ELNS1_3gpuE7ELNS1_3repE0EEENS1_30default_config_static_selectorELNS0_4arch9wavefront6targetE0EEEvT1_, .Lfunc_end320-_ZN7rocprim17ROCPRIM_400000_NS6detail17trampoline_kernelINS0_14default_configENS1_25partition_config_selectorILNS1_17partition_subalgoE6EfNS0_10empty_typeEbEEZZNS1_14partition_implILS5_6ELb0ES3_mN6thrust23THRUST_200600_302600_NS6detail15normal_iteratorINSA_10device_ptrIfEEEEPS6_SG_NS0_5tupleIJSF_S6_EEENSH_IJSG_SG_EEES6_PlJNSB_9not_fun_tINSB_14equal_to_valueIfEEEEEEE10hipError_tPvRmT3_T4_T5_T6_T7_T9_mT8_P12ihipStream_tbDpT10_ENKUlT_T0_E_clISt17integral_constantIbLb1EES18_EEDaS13_S14_EUlS13_E_NS1_11comp_targetILNS1_3genE3ELNS1_11target_archE908ELNS1_3gpuE7ELNS1_3repE0EEENS1_30default_config_static_selectorELNS0_4arch9wavefront6targetE0EEEvT1_
                                        ; -- End function
	.set _ZN7rocprim17ROCPRIM_400000_NS6detail17trampoline_kernelINS0_14default_configENS1_25partition_config_selectorILNS1_17partition_subalgoE6EfNS0_10empty_typeEbEEZZNS1_14partition_implILS5_6ELb0ES3_mN6thrust23THRUST_200600_302600_NS6detail15normal_iteratorINSA_10device_ptrIfEEEEPS6_SG_NS0_5tupleIJSF_S6_EEENSH_IJSG_SG_EEES6_PlJNSB_9not_fun_tINSB_14equal_to_valueIfEEEEEEE10hipError_tPvRmT3_T4_T5_T6_T7_T9_mT8_P12ihipStream_tbDpT10_ENKUlT_T0_E_clISt17integral_constantIbLb1EES18_EEDaS13_S14_EUlS13_E_NS1_11comp_targetILNS1_3genE3ELNS1_11target_archE908ELNS1_3gpuE7ELNS1_3repE0EEENS1_30default_config_static_selectorELNS0_4arch9wavefront6targetE0EEEvT1_.num_vgpr, 0
	.set _ZN7rocprim17ROCPRIM_400000_NS6detail17trampoline_kernelINS0_14default_configENS1_25partition_config_selectorILNS1_17partition_subalgoE6EfNS0_10empty_typeEbEEZZNS1_14partition_implILS5_6ELb0ES3_mN6thrust23THRUST_200600_302600_NS6detail15normal_iteratorINSA_10device_ptrIfEEEEPS6_SG_NS0_5tupleIJSF_S6_EEENSH_IJSG_SG_EEES6_PlJNSB_9not_fun_tINSB_14equal_to_valueIfEEEEEEE10hipError_tPvRmT3_T4_T5_T6_T7_T9_mT8_P12ihipStream_tbDpT10_ENKUlT_T0_E_clISt17integral_constantIbLb1EES18_EEDaS13_S14_EUlS13_E_NS1_11comp_targetILNS1_3genE3ELNS1_11target_archE908ELNS1_3gpuE7ELNS1_3repE0EEENS1_30default_config_static_selectorELNS0_4arch9wavefront6targetE0EEEvT1_.num_agpr, 0
	.set _ZN7rocprim17ROCPRIM_400000_NS6detail17trampoline_kernelINS0_14default_configENS1_25partition_config_selectorILNS1_17partition_subalgoE6EfNS0_10empty_typeEbEEZZNS1_14partition_implILS5_6ELb0ES3_mN6thrust23THRUST_200600_302600_NS6detail15normal_iteratorINSA_10device_ptrIfEEEEPS6_SG_NS0_5tupleIJSF_S6_EEENSH_IJSG_SG_EEES6_PlJNSB_9not_fun_tINSB_14equal_to_valueIfEEEEEEE10hipError_tPvRmT3_T4_T5_T6_T7_T9_mT8_P12ihipStream_tbDpT10_ENKUlT_T0_E_clISt17integral_constantIbLb1EES18_EEDaS13_S14_EUlS13_E_NS1_11comp_targetILNS1_3genE3ELNS1_11target_archE908ELNS1_3gpuE7ELNS1_3repE0EEENS1_30default_config_static_selectorELNS0_4arch9wavefront6targetE0EEEvT1_.numbered_sgpr, 0
	.set _ZN7rocprim17ROCPRIM_400000_NS6detail17trampoline_kernelINS0_14default_configENS1_25partition_config_selectorILNS1_17partition_subalgoE6EfNS0_10empty_typeEbEEZZNS1_14partition_implILS5_6ELb0ES3_mN6thrust23THRUST_200600_302600_NS6detail15normal_iteratorINSA_10device_ptrIfEEEEPS6_SG_NS0_5tupleIJSF_S6_EEENSH_IJSG_SG_EEES6_PlJNSB_9not_fun_tINSB_14equal_to_valueIfEEEEEEE10hipError_tPvRmT3_T4_T5_T6_T7_T9_mT8_P12ihipStream_tbDpT10_ENKUlT_T0_E_clISt17integral_constantIbLb1EES18_EEDaS13_S14_EUlS13_E_NS1_11comp_targetILNS1_3genE3ELNS1_11target_archE908ELNS1_3gpuE7ELNS1_3repE0EEENS1_30default_config_static_selectorELNS0_4arch9wavefront6targetE0EEEvT1_.num_named_barrier, 0
	.set _ZN7rocprim17ROCPRIM_400000_NS6detail17trampoline_kernelINS0_14default_configENS1_25partition_config_selectorILNS1_17partition_subalgoE6EfNS0_10empty_typeEbEEZZNS1_14partition_implILS5_6ELb0ES3_mN6thrust23THRUST_200600_302600_NS6detail15normal_iteratorINSA_10device_ptrIfEEEEPS6_SG_NS0_5tupleIJSF_S6_EEENSH_IJSG_SG_EEES6_PlJNSB_9not_fun_tINSB_14equal_to_valueIfEEEEEEE10hipError_tPvRmT3_T4_T5_T6_T7_T9_mT8_P12ihipStream_tbDpT10_ENKUlT_T0_E_clISt17integral_constantIbLb1EES18_EEDaS13_S14_EUlS13_E_NS1_11comp_targetILNS1_3genE3ELNS1_11target_archE908ELNS1_3gpuE7ELNS1_3repE0EEENS1_30default_config_static_selectorELNS0_4arch9wavefront6targetE0EEEvT1_.private_seg_size, 0
	.set _ZN7rocprim17ROCPRIM_400000_NS6detail17trampoline_kernelINS0_14default_configENS1_25partition_config_selectorILNS1_17partition_subalgoE6EfNS0_10empty_typeEbEEZZNS1_14partition_implILS5_6ELb0ES3_mN6thrust23THRUST_200600_302600_NS6detail15normal_iteratorINSA_10device_ptrIfEEEEPS6_SG_NS0_5tupleIJSF_S6_EEENSH_IJSG_SG_EEES6_PlJNSB_9not_fun_tINSB_14equal_to_valueIfEEEEEEE10hipError_tPvRmT3_T4_T5_T6_T7_T9_mT8_P12ihipStream_tbDpT10_ENKUlT_T0_E_clISt17integral_constantIbLb1EES18_EEDaS13_S14_EUlS13_E_NS1_11comp_targetILNS1_3genE3ELNS1_11target_archE908ELNS1_3gpuE7ELNS1_3repE0EEENS1_30default_config_static_selectorELNS0_4arch9wavefront6targetE0EEEvT1_.uses_vcc, 0
	.set _ZN7rocprim17ROCPRIM_400000_NS6detail17trampoline_kernelINS0_14default_configENS1_25partition_config_selectorILNS1_17partition_subalgoE6EfNS0_10empty_typeEbEEZZNS1_14partition_implILS5_6ELb0ES3_mN6thrust23THRUST_200600_302600_NS6detail15normal_iteratorINSA_10device_ptrIfEEEEPS6_SG_NS0_5tupleIJSF_S6_EEENSH_IJSG_SG_EEES6_PlJNSB_9not_fun_tINSB_14equal_to_valueIfEEEEEEE10hipError_tPvRmT3_T4_T5_T6_T7_T9_mT8_P12ihipStream_tbDpT10_ENKUlT_T0_E_clISt17integral_constantIbLb1EES18_EEDaS13_S14_EUlS13_E_NS1_11comp_targetILNS1_3genE3ELNS1_11target_archE908ELNS1_3gpuE7ELNS1_3repE0EEENS1_30default_config_static_selectorELNS0_4arch9wavefront6targetE0EEEvT1_.uses_flat_scratch, 0
	.set _ZN7rocprim17ROCPRIM_400000_NS6detail17trampoline_kernelINS0_14default_configENS1_25partition_config_selectorILNS1_17partition_subalgoE6EfNS0_10empty_typeEbEEZZNS1_14partition_implILS5_6ELb0ES3_mN6thrust23THRUST_200600_302600_NS6detail15normal_iteratorINSA_10device_ptrIfEEEEPS6_SG_NS0_5tupleIJSF_S6_EEENSH_IJSG_SG_EEES6_PlJNSB_9not_fun_tINSB_14equal_to_valueIfEEEEEEE10hipError_tPvRmT3_T4_T5_T6_T7_T9_mT8_P12ihipStream_tbDpT10_ENKUlT_T0_E_clISt17integral_constantIbLb1EES18_EEDaS13_S14_EUlS13_E_NS1_11comp_targetILNS1_3genE3ELNS1_11target_archE908ELNS1_3gpuE7ELNS1_3repE0EEENS1_30default_config_static_selectorELNS0_4arch9wavefront6targetE0EEEvT1_.has_dyn_sized_stack, 0
	.set _ZN7rocprim17ROCPRIM_400000_NS6detail17trampoline_kernelINS0_14default_configENS1_25partition_config_selectorILNS1_17partition_subalgoE6EfNS0_10empty_typeEbEEZZNS1_14partition_implILS5_6ELb0ES3_mN6thrust23THRUST_200600_302600_NS6detail15normal_iteratorINSA_10device_ptrIfEEEEPS6_SG_NS0_5tupleIJSF_S6_EEENSH_IJSG_SG_EEES6_PlJNSB_9not_fun_tINSB_14equal_to_valueIfEEEEEEE10hipError_tPvRmT3_T4_T5_T6_T7_T9_mT8_P12ihipStream_tbDpT10_ENKUlT_T0_E_clISt17integral_constantIbLb1EES18_EEDaS13_S14_EUlS13_E_NS1_11comp_targetILNS1_3genE3ELNS1_11target_archE908ELNS1_3gpuE7ELNS1_3repE0EEENS1_30default_config_static_selectorELNS0_4arch9wavefront6targetE0EEEvT1_.has_recursion, 0
	.set _ZN7rocprim17ROCPRIM_400000_NS6detail17trampoline_kernelINS0_14default_configENS1_25partition_config_selectorILNS1_17partition_subalgoE6EfNS0_10empty_typeEbEEZZNS1_14partition_implILS5_6ELb0ES3_mN6thrust23THRUST_200600_302600_NS6detail15normal_iteratorINSA_10device_ptrIfEEEEPS6_SG_NS0_5tupleIJSF_S6_EEENSH_IJSG_SG_EEES6_PlJNSB_9not_fun_tINSB_14equal_to_valueIfEEEEEEE10hipError_tPvRmT3_T4_T5_T6_T7_T9_mT8_P12ihipStream_tbDpT10_ENKUlT_T0_E_clISt17integral_constantIbLb1EES18_EEDaS13_S14_EUlS13_E_NS1_11comp_targetILNS1_3genE3ELNS1_11target_archE908ELNS1_3gpuE7ELNS1_3repE0EEENS1_30default_config_static_selectorELNS0_4arch9wavefront6targetE0EEEvT1_.has_indirect_call, 0
	.section	.AMDGPU.csdata,"",@progbits
; Kernel info:
; codeLenInByte = 0
; TotalNumSgprs: 0
; NumVgprs: 0
; ScratchSize: 0
; MemoryBound: 0
; FloatMode: 240
; IeeeMode: 1
; LDSByteSize: 0 bytes/workgroup (compile time only)
; SGPRBlocks: 0
; VGPRBlocks: 0
; NumSGPRsForWavesPerEU: 1
; NumVGPRsForWavesPerEU: 1
; Occupancy: 16
; WaveLimiterHint : 0
; COMPUTE_PGM_RSRC2:SCRATCH_EN: 0
; COMPUTE_PGM_RSRC2:USER_SGPR: 2
; COMPUTE_PGM_RSRC2:TRAP_HANDLER: 0
; COMPUTE_PGM_RSRC2:TGID_X_EN: 1
; COMPUTE_PGM_RSRC2:TGID_Y_EN: 0
; COMPUTE_PGM_RSRC2:TGID_Z_EN: 0
; COMPUTE_PGM_RSRC2:TIDIG_COMP_CNT: 0
	.section	.text._ZN7rocprim17ROCPRIM_400000_NS6detail17trampoline_kernelINS0_14default_configENS1_25partition_config_selectorILNS1_17partition_subalgoE6EfNS0_10empty_typeEbEEZZNS1_14partition_implILS5_6ELb0ES3_mN6thrust23THRUST_200600_302600_NS6detail15normal_iteratorINSA_10device_ptrIfEEEEPS6_SG_NS0_5tupleIJSF_S6_EEENSH_IJSG_SG_EEES6_PlJNSB_9not_fun_tINSB_14equal_to_valueIfEEEEEEE10hipError_tPvRmT3_T4_T5_T6_T7_T9_mT8_P12ihipStream_tbDpT10_ENKUlT_T0_E_clISt17integral_constantIbLb1EES18_EEDaS13_S14_EUlS13_E_NS1_11comp_targetILNS1_3genE2ELNS1_11target_archE906ELNS1_3gpuE6ELNS1_3repE0EEENS1_30default_config_static_selectorELNS0_4arch9wavefront6targetE0EEEvT1_,"axG",@progbits,_ZN7rocprim17ROCPRIM_400000_NS6detail17trampoline_kernelINS0_14default_configENS1_25partition_config_selectorILNS1_17partition_subalgoE6EfNS0_10empty_typeEbEEZZNS1_14partition_implILS5_6ELb0ES3_mN6thrust23THRUST_200600_302600_NS6detail15normal_iteratorINSA_10device_ptrIfEEEEPS6_SG_NS0_5tupleIJSF_S6_EEENSH_IJSG_SG_EEES6_PlJNSB_9not_fun_tINSB_14equal_to_valueIfEEEEEEE10hipError_tPvRmT3_T4_T5_T6_T7_T9_mT8_P12ihipStream_tbDpT10_ENKUlT_T0_E_clISt17integral_constantIbLb1EES18_EEDaS13_S14_EUlS13_E_NS1_11comp_targetILNS1_3genE2ELNS1_11target_archE906ELNS1_3gpuE6ELNS1_3repE0EEENS1_30default_config_static_selectorELNS0_4arch9wavefront6targetE0EEEvT1_,comdat
	.protected	_ZN7rocprim17ROCPRIM_400000_NS6detail17trampoline_kernelINS0_14default_configENS1_25partition_config_selectorILNS1_17partition_subalgoE6EfNS0_10empty_typeEbEEZZNS1_14partition_implILS5_6ELb0ES3_mN6thrust23THRUST_200600_302600_NS6detail15normal_iteratorINSA_10device_ptrIfEEEEPS6_SG_NS0_5tupleIJSF_S6_EEENSH_IJSG_SG_EEES6_PlJNSB_9not_fun_tINSB_14equal_to_valueIfEEEEEEE10hipError_tPvRmT3_T4_T5_T6_T7_T9_mT8_P12ihipStream_tbDpT10_ENKUlT_T0_E_clISt17integral_constantIbLb1EES18_EEDaS13_S14_EUlS13_E_NS1_11comp_targetILNS1_3genE2ELNS1_11target_archE906ELNS1_3gpuE6ELNS1_3repE0EEENS1_30default_config_static_selectorELNS0_4arch9wavefront6targetE0EEEvT1_ ; -- Begin function _ZN7rocprim17ROCPRIM_400000_NS6detail17trampoline_kernelINS0_14default_configENS1_25partition_config_selectorILNS1_17partition_subalgoE6EfNS0_10empty_typeEbEEZZNS1_14partition_implILS5_6ELb0ES3_mN6thrust23THRUST_200600_302600_NS6detail15normal_iteratorINSA_10device_ptrIfEEEEPS6_SG_NS0_5tupleIJSF_S6_EEENSH_IJSG_SG_EEES6_PlJNSB_9not_fun_tINSB_14equal_to_valueIfEEEEEEE10hipError_tPvRmT3_T4_T5_T6_T7_T9_mT8_P12ihipStream_tbDpT10_ENKUlT_T0_E_clISt17integral_constantIbLb1EES18_EEDaS13_S14_EUlS13_E_NS1_11comp_targetILNS1_3genE2ELNS1_11target_archE906ELNS1_3gpuE6ELNS1_3repE0EEENS1_30default_config_static_selectorELNS0_4arch9wavefront6targetE0EEEvT1_
	.globl	_ZN7rocprim17ROCPRIM_400000_NS6detail17trampoline_kernelINS0_14default_configENS1_25partition_config_selectorILNS1_17partition_subalgoE6EfNS0_10empty_typeEbEEZZNS1_14partition_implILS5_6ELb0ES3_mN6thrust23THRUST_200600_302600_NS6detail15normal_iteratorINSA_10device_ptrIfEEEEPS6_SG_NS0_5tupleIJSF_S6_EEENSH_IJSG_SG_EEES6_PlJNSB_9not_fun_tINSB_14equal_to_valueIfEEEEEEE10hipError_tPvRmT3_T4_T5_T6_T7_T9_mT8_P12ihipStream_tbDpT10_ENKUlT_T0_E_clISt17integral_constantIbLb1EES18_EEDaS13_S14_EUlS13_E_NS1_11comp_targetILNS1_3genE2ELNS1_11target_archE906ELNS1_3gpuE6ELNS1_3repE0EEENS1_30default_config_static_selectorELNS0_4arch9wavefront6targetE0EEEvT1_
	.p2align	8
	.type	_ZN7rocprim17ROCPRIM_400000_NS6detail17trampoline_kernelINS0_14default_configENS1_25partition_config_selectorILNS1_17partition_subalgoE6EfNS0_10empty_typeEbEEZZNS1_14partition_implILS5_6ELb0ES3_mN6thrust23THRUST_200600_302600_NS6detail15normal_iteratorINSA_10device_ptrIfEEEEPS6_SG_NS0_5tupleIJSF_S6_EEENSH_IJSG_SG_EEES6_PlJNSB_9not_fun_tINSB_14equal_to_valueIfEEEEEEE10hipError_tPvRmT3_T4_T5_T6_T7_T9_mT8_P12ihipStream_tbDpT10_ENKUlT_T0_E_clISt17integral_constantIbLb1EES18_EEDaS13_S14_EUlS13_E_NS1_11comp_targetILNS1_3genE2ELNS1_11target_archE906ELNS1_3gpuE6ELNS1_3repE0EEENS1_30default_config_static_selectorELNS0_4arch9wavefront6targetE0EEEvT1_,@function
_ZN7rocprim17ROCPRIM_400000_NS6detail17trampoline_kernelINS0_14default_configENS1_25partition_config_selectorILNS1_17partition_subalgoE6EfNS0_10empty_typeEbEEZZNS1_14partition_implILS5_6ELb0ES3_mN6thrust23THRUST_200600_302600_NS6detail15normal_iteratorINSA_10device_ptrIfEEEEPS6_SG_NS0_5tupleIJSF_S6_EEENSH_IJSG_SG_EEES6_PlJNSB_9not_fun_tINSB_14equal_to_valueIfEEEEEEE10hipError_tPvRmT3_T4_T5_T6_T7_T9_mT8_P12ihipStream_tbDpT10_ENKUlT_T0_E_clISt17integral_constantIbLb1EES18_EEDaS13_S14_EUlS13_E_NS1_11comp_targetILNS1_3genE2ELNS1_11target_archE906ELNS1_3gpuE6ELNS1_3repE0EEENS1_30default_config_static_selectorELNS0_4arch9wavefront6targetE0EEEvT1_: ; @_ZN7rocprim17ROCPRIM_400000_NS6detail17trampoline_kernelINS0_14default_configENS1_25partition_config_selectorILNS1_17partition_subalgoE6EfNS0_10empty_typeEbEEZZNS1_14partition_implILS5_6ELb0ES3_mN6thrust23THRUST_200600_302600_NS6detail15normal_iteratorINSA_10device_ptrIfEEEEPS6_SG_NS0_5tupleIJSF_S6_EEENSH_IJSG_SG_EEES6_PlJNSB_9not_fun_tINSB_14equal_to_valueIfEEEEEEE10hipError_tPvRmT3_T4_T5_T6_T7_T9_mT8_P12ihipStream_tbDpT10_ENKUlT_T0_E_clISt17integral_constantIbLb1EES18_EEDaS13_S14_EUlS13_E_NS1_11comp_targetILNS1_3genE2ELNS1_11target_archE906ELNS1_3gpuE6ELNS1_3repE0EEENS1_30default_config_static_selectorELNS0_4arch9wavefront6targetE0EEEvT1_
; %bb.0:
	.section	.rodata,"a",@progbits
	.p2align	6, 0x0
	.amdhsa_kernel _ZN7rocprim17ROCPRIM_400000_NS6detail17trampoline_kernelINS0_14default_configENS1_25partition_config_selectorILNS1_17partition_subalgoE6EfNS0_10empty_typeEbEEZZNS1_14partition_implILS5_6ELb0ES3_mN6thrust23THRUST_200600_302600_NS6detail15normal_iteratorINSA_10device_ptrIfEEEEPS6_SG_NS0_5tupleIJSF_S6_EEENSH_IJSG_SG_EEES6_PlJNSB_9not_fun_tINSB_14equal_to_valueIfEEEEEEE10hipError_tPvRmT3_T4_T5_T6_T7_T9_mT8_P12ihipStream_tbDpT10_ENKUlT_T0_E_clISt17integral_constantIbLb1EES18_EEDaS13_S14_EUlS13_E_NS1_11comp_targetILNS1_3genE2ELNS1_11target_archE906ELNS1_3gpuE6ELNS1_3repE0EEENS1_30default_config_static_selectorELNS0_4arch9wavefront6targetE0EEEvT1_
		.amdhsa_group_segment_fixed_size 0
		.amdhsa_private_segment_fixed_size 0
		.amdhsa_kernarg_size 128
		.amdhsa_user_sgpr_count 2
		.amdhsa_user_sgpr_dispatch_ptr 0
		.amdhsa_user_sgpr_queue_ptr 0
		.amdhsa_user_sgpr_kernarg_segment_ptr 1
		.amdhsa_user_sgpr_dispatch_id 0
		.amdhsa_user_sgpr_private_segment_size 0
		.amdhsa_wavefront_size32 1
		.amdhsa_uses_dynamic_stack 0
		.amdhsa_enable_private_segment 0
		.amdhsa_system_sgpr_workgroup_id_x 1
		.amdhsa_system_sgpr_workgroup_id_y 0
		.amdhsa_system_sgpr_workgroup_id_z 0
		.amdhsa_system_sgpr_workgroup_info 0
		.amdhsa_system_vgpr_workitem_id 0
		.amdhsa_next_free_vgpr 1
		.amdhsa_next_free_sgpr 1
		.amdhsa_reserve_vcc 0
		.amdhsa_float_round_mode_32 0
		.amdhsa_float_round_mode_16_64 0
		.amdhsa_float_denorm_mode_32 3
		.amdhsa_float_denorm_mode_16_64 3
		.amdhsa_fp16_overflow 0
		.amdhsa_workgroup_processor_mode 1
		.amdhsa_memory_ordered 1
		.amdhsa_forward_progress 1
		.amdhsa_inst_pref_size 0
		.amdhsa_round_robin_scheduling 0
		.amdhsa_exception_fp_ieee_invalid_op 0
		.amdhsa_exception_fp_denorm_src 0
		.amdhsa_exception_fp_ieee_div_zero 0
		.amdhsa_exception_fp_ieee_overflow 0
		.amdhsa_exception_fp_ieee_underflow 0
		.amdhsa_exception_fp_ieee_inexact 0
		.amdhsa_exception_int_div_zero 0
	.end_amdhsa_kernel
	.section	.text._ZN7rocprim17ROCPRIM_400000_NS6detail17trampoline_kernelINS0_14default_configENS1_25partition_config_selectorILNS1_17partition_subalgoE6EfNS0_10empty_typeEbEEZZNS1_14partition_implILS5_6ELb0ES3_mN6thrust23THRUST_200600_302600_NS6detail15normal_iteratorINSA_10device_ptrIfEEEEPS6_SG_NS0_5tupleIJSF_S6_EEENSH_IJSG_SG_EEES6_PlJNSB_9not_fun_tINSB_14equal_to_valueIfEEEEEEE10hipError_tPvRmT3_T4_T5_T6_T7_T9_mT8_P12ihipStream_tbDpT10_ENKUlT_T0_E_clISt17integral_constantIbLb1EES18_EEDaS13_S14_EUlS13_E_NS1_11comp_targetILNS1_3genE2ELNS1_11target_archE906ELNS1_3gpuE6ELNS1_3repE0EEENS1_30default_config_static_selectorELNS0_4arch9wavefront6targetE0EEEvT1_,"axG",@progbits,_ZN7rocprim17ROCPRIM_400000_NS6detail17trampoline_kernelINS0_14default_configENS1_25partition_config_selectorILNS1_17partition_subalgoE6EfNS0_10empty_typeEbEEZZNS1_14partition_implILS5_6ELb0ES3_mN6thrust23THRUST_200600_302600_NS6detail15normal_iteratorINSA_10device_ptrIfEEEEPS6_SG_NS0_5tupleIJSF_S6_EEENSH_IJSG_SG_EEES6_PlJNSB_9not_fun_tINSB_14equal_to_valueIfEEEEEEE10hipError_tPvRmT3_T4_T5_T6_T7_T9_mT8_P12ihipStream_tbDpT10_ENKUlT_T0_E_clISt17integral_constantIbLb1EES18_EEDaS13_S14_EUlS13_E_NS1_11comp_targetILNS1_3genE2ELNS1_11target_archE906ELNS1_3gpuE6ELNS1_3repE0EEENS1_30default_config_static_selectorELNS0_4arch9wavefront6targetE0EEEvT1_,comdat
.Lfunc_end321:
	.size	_ZN7rocprim17ROCPRIM_400000_NS6detail17trampoline_kernelINS0_14default_configENS1_25partition_config_selectorILNS1_17partition_subalgoE6EfNS0_10empty_typeEbEEZZNS1_14partition_implILS5_6ELb0ES3_mN6thrust23THRUST_200600_302600_NS6detail15normal_iteratorINSA_10device_ptrIfEEEEPS6_SG_NS0_5tupleIJSF_S6_EEENSH_IJSG_SG_EEES6_PlJNSB_9not_fun_tINSB_14equal_to_valueIfEEEEEEE10hipError_tPvRmT3_T4_T5_T6_T7_T9_mT8_P12ihipStream_tbDpT10_ENKUlT_T0_E_clISt17integral_constantIbLb1EES18_EEDaS13_S14_EUlS13_E_NS1_11comp_targetILNS1_3genE2ELNS1_11target_archE906ELNS1_3gpuE6ELNS1_3repE0EEENS1_30default_config_static_selectorELNS0_4arch9wavefront6targetE0EEEvT1_, .Lfunc_end321-_ZN7rocprim17ROCPRIM_400000_NS6detail17trampoline_kernelINS0_14default_configENS1_25partition_config_selectorILNS1_17partition_subalgoE6EfNS0_10empty_typeEbEEZZNS1_14partition_implILS5_6ELb0ES3_mN6thrust23THRUST_200600_302600_NS6detail15normal_iteratorINSA_10device_ptrIfEEEEPS6_SG_NS0_5tupleIJSF_S6_EEENSH_IJSG_SG_EEES6_PlJNSB_9not_fun_tINSB_14equal_to_valueIfEEEEEEE10hipError_tPvRmT3_T4_T5_T6_T7_T9_mT8_P12ihipStream_tbDpT10_ENKUlT_T0_E_clISt17integral_constantIbLb1EES18_EEDaS13_S14_EUlS13_E_NS1_11comp_targetILNS1_3genE2ELNS1_11target_archE906ELNS1_3gpuE6ELNS1_3repE0EEENS1_30default_config_static_selectorELNS0_4arch9wavefront6targetE0EEEvT1_
                                        ; -- End function
	.set _ZN7rocprim17ROCPRIM_400000_NS6detail17trampoline_kernelINS0_14default_configENS1_25partition_config_selectorILNS1_17partition_subalgoE6EfNS0_10empty_typeEbEEZZNS1_14partition_implILS5_6ELb0ES3_mN6thrust23THRUST_200600_302600_NS6detail15normal_iteratorINSA_10device_ptrIfEEEEPS6_SG_NS0_5tupleIJSF_S6_EEENSH_IJSG_SG_EEES6_PlJNSB_9not_fun_tINSB_14equal_to_valueIfEEEEEEE10hipError_tPvRmT3_T4_T5_T6_T7_T9_mT8_P12ihipStream_tbDpT10_ENKUlT_T0_E_clISt17integral_constantIbLb1EES18_EEDaS13_S14_EUlS13_E_NS1_11comp_targetILNS1_3genE2ELNS1_11target_archE906ELNS1_3gpuE6ELNS1_3repE0EEENS1_30default_config_static_selectorELNS0_4arch9wavefront6targetE0EEEvT1_.num_vgpr, 0
	.set _ZN7rocprim17ROCPRIM_400000_NS6detail17trampoline_kernelINS0_14default_configENS1_25partition_config_selectorILNS1_17partition_subalgoE6EfNS0_10empty_typeEbEEZZNS1_14partition_implILS5_6ELb0ES3_mN6thrust23THRUST_200600_302600_NS6detail15normal_iteratorINSA_10device_ptrIfEEEEPS6_SG_NS0_5tupleIJSF_S6_EEENSH_IJSG_SG_EEES6_PlJNSB_9not_fun_tINSB_14equal_to_valueIfEEEEEEE10hipError_tPvRmT3_T4_T5_T6_T7_T9_mT8_P12ihipStream_tbDpT10_ENKUlT_T0_E_clISt17integral_constantIbLb1EES18_EEDaS13_S14_EUlS13_E_NS1_11comp_targetILNS1_3genE2ELNS1_11target_archE906ELNS1_3gpuE6ELNS1_3repE0EEENS1_30default_config_static_selectorELNS0_4arch9wavefront6targetE0EEEvT1_.num_agpr, 0
	.set _ZN7rocprim17ROCPRIM_400000_NS6detail17trampoline_kernelINS0_14default_configENS1_25partition_config_selectorILNS1_17partition_subalgoE6EfNS0_10empty_typeEbEEZZNS1_14partition_implILS5_6ELb0ES3_mN6thrust23THRUST_200600_302600_NS6detail15normal_iteratorINSA_10device_ptrIfEEEEPS6_SG_NS0_5tupleIJSF_S6_EEENSH_IJSG_SG_EEES6_PlJNSB_9not_fun_tINSB_14equal_to_valueIfEEEEEEE10hipError_tPvRmT3_T4_T5_T6_T7_T9_mT8_P12ihipStream_tbDpT10_ENKUlT_T0_E_clISt17integral_constantIbLb1EES18_EEDaS13_S14_EUlS13_E_NS1_11comp_targetILNS1_3genE2ELNS1_11target_archE906ELNS1_3gpuE6ELNS1_3repE0EEENS1_30default_config_static_selectorELNS0_4arch9wavefront6targetE0EEEvT1_.numbered_sgpr, 0
	.set _ZN7rocprim17ROCPRIM_400000_NS6detail17trampoline_kernelINS0_14default_configENS1_25partition_config_selectorILNS1_17partition_subalgoE6EfNS0_10empty_typeEbEEZZNS1_14partition_implILS5_6ELb0ES3_mN6thrust23THRUST_200600_302600_NS6detail15normal_iteratorINSA_10device_ptrIfEEEEPS6_SG_NS0_5tupleIJSF_S6_EEENSH_IJSG_SG_EEES6_PlJNSB_9not_fun_tINSB_14equal_to_valueIfEEEEEEE10hipError_tPvRmT3_T4_T5_T6_T7_T9_mT8_P12ihipStream_tbDpT10_ENKUlT_T0_E_clISt17integral_constantIbLb1EES18_EEDaS13_S14_EUlS13_E_NS1_11comp_targetILNS1_3genE2ELNS1_11target_archE906ELNS1_3gpuE6ELNS1_3repE0EEENS1_30default_config_static_selectorELNS0_4arch9wavefront6targetE0EEEvT1_.num_named_barrier, 0
	.set _ZN7rocprim17ROCPRIM_400000_NS6detail17trampoline_kernelINS0_14default_configENS1_25partition_config_selectorILNS1_17partition_subalgoE6EfNS0_10empty_typeEbEEZZNS1_14partition_implILS5_6ELb0ES3_mN6thrust23THRUST_200600_302600_NS6detail15normal_iteratorINSA_10device_ptrIfEEEEPS6_SG_NS0_5tupleIJSF_S6_EEENSH_IJSG_SG_EEES6_PlJNSB_9not_fun_tINSB_14equal_to_valueIfEEEEEEE10hipError_tPvRmT3_T4_T5_T6_T7_T9_mT8_P12ihipStream_tbDpT10_ENKUlT_T0_E_clISt17integral_constantIbLb1EES18_EEDaS13_S14_EUlS13_E_NS1_11comp_targetILNS1_3genE2ELNS1_11target_archE906ELNS1_3gpuE6ELNS1_3repE0EEENS1_30default_config_static_selectorELNS0_4arch9wavefront6targetE0EEEvT1_.private_seg_size, 0
	.set _ZN7rocprim17ROCPRIM_400000_NS6detail17trampoline_kernelINS0_14default_configENS1_25partition_config_selectorILNS1_17partition_subalgoE6EfNS0_10empty_typeEbEEZZNS1_14partition_implILS5_6ELb0ES3_mN6thrust23THRUST_200600_302600_NS6detail15normal_iteratorINSA_10device_ptrIfEEEEPS6_SG_NS0_5tupleIJSF_S6_EEENSH_IJSG_SG_EEES6_PlJNSB_9not_fun_tINSB_14equal_to_valueIfEEEEEEE10hipError_tPvRmT3_T4_T5_T6_T7_T9_mT8_P12ihipStream_tbDpT10_ENKUlT_T0_E_clISt17integral_constantIbLb1EES18_EEDaS13_S14_EUlS13_E_NS1_11comp_targetILNS1_3genE2ELNS1_11target_archE906ELNS1_3gpuE6ELNS1_3repE0EEENS1_30default_config_static_selectorELNS0_4arch9wavefront6targetE0EEEvT1_.uses_vcc, 0
	.set _ZN7rocprim17ROCPRIM_400000_NS6detail17trampoline_kernelINS0_14default_configENS1_25partition_config_selectorILNS1_17partition_subalgoE6EfNS0_10empty_typeEbEEZZNS1_14partition_implILS5_6ELb0ES3_mN6thrust23THRUST_200600_302600_NS6detail15normal_iteratorINSA_10device_ptrIfEEEEPS6_SG_NS0_5tupleIJSF_S6_EEENSH_IJSG_SG_EEES6_PlJNSB_9not_fun_tINSB_14equal_to_valueIfEEEEEEE10hipError_tPvRmT3_T4_T5_T6_T7_T9_mT8_P12ihipStream_tbDpT10_ENKUlT_T0_E_clISt17integral_constantIbLb1EES18_EEDaS13_S14_EUlS13_E_NS1_11comp_targetILNS1_3genE2ELNS1_11target_archE906ELNS1_3gpuE6ELNS1_3repE0EEENS1_30default_config_static_selectorELNS0_4arch9wavefront6targetE0EEEvT1_.uses_flat_scratch, 0
	.set _ZN7rocprim17ROCPRIM_400000_NS6detail17trampoline_kernelINS0_14default_configENS1_25partition_config_selectorILNS1_17partition_subalgoE6EfNS0_10empty_typeEbEEZZNS1_14partition_implILS5_6ELb0ES3_mN6thrust23THRUST_200600_302600_NS6detail15normal_iteratorINSA_10device_ptrIfEEEEPS6_SG_NS0_5tupleIJSF_S6_EEENSH_IJSG_SG_EEES6_PlJNSB_9not_fun_tINSB_14equal_to_valueIfEEEEEEE10hipError_tPvRmT3_T4_T5_T6_T7_T9_mT8_P12ihipStream_tbDpT10_ENKUlT_T0_E_clISt17integral_constantIbLb1EES18_EEDaS13_S14_EUlS13_E_NS1_11comp_targetILNS1_3genE2ELNS1_11target_archE906ELNS1_3gpuE6ELNS1_3repE0EEENS1_30default_config_static_selectorELNS0_4arch9wavefront6targetE0EEEvT1_.has_dyn_sized_stack, 0
	.set _ZN7rocprim17ROCPRIM_400000_NS6detail17trampoline_kernelINS0_14default_configENS1_25partition_config_selectorILNS1_17partition_subalgoE6EfNS0_10empty_typeEbEEZZNS1_14partition_implILS5_6ELb0ES3_mN6thrust23THRUST_200600_302600_NS6detail15normal_iteratorINSA_10device_ptrIfEEEEPS6_SG_NS0_5tupleIJSF_S6_EEENSH_IJSG_SG_EEES6_PlJNSB_9not_fun_tINSB_14equal_to_valueIfEEEEEEE10hipError_tPvRmT3_T4_T5_T6_T7_T9_mT8_P12ihipStream_tbDpT10_ENKUlT_T0_E_clISt17integral_constantIbLb1EES18_EEDaS13_S14_EUlS13_E_NS1_11comp_targetILNS1_3genE2ELNS1_11target_archE906ELNS1_3gpuE6ELNS1_3repE0EEENS1_30default_config_static_selectorELNS0_4arch9wavefront6targetE0EEEvT1_.has_recursion, 0
	.set _ZN7rocprim17ROCPRIM_400000_NS6detail17trampoline_kernelINS0_14default_configENS1_25partition_config_selectorILNS1_17partition_subalgoE6EfNS0_10empty_typeEbEEZZNS1_14partition_implILS5_6ELb0ES3_mN6thrust23THRUST_200600_302600_NS6detail15normal_iteratorINSA_10device_ptrIfEEEEPS6_SG_NS0_5tupleIJSF_S6_EEENSH_IJSG_SG_EEES6_PlJNSB_9not_fun_tINSB_14equal_to_valueIfEEEEEEE10hipError_tPvRmT3_T4_T5_T6_T7_T9_mT8_P12ihipStream_tbDpT10_ENKUlT_T0_E_clISt17integral_constantIbLb1EES18_EEDaS13_S14_EUlS13_E_NS1_11comp_targetILNS1_3genE2ELNS1_11target_archE906ELNS1_3gpuE6ELNS1_3repE0EEENS1_30default_config_static_selectorELNS0_4arch9wavefront6targetE0EEEvT1_.has_indirect_call, 0
	.section	.AMDGPU.csdata,"",@progbits
; Kernel info:
; codeLenInByte = 0
; TotalNumSgprs: 0
; NumVgprs: 0
; ScratchSize: 0
; MemoryBound: 0
; FloatMode: 240
; IeeeMode: 1
; LDSByteSize: 0 bytes/workgroup (compile time only)
; SGPRBlocks: 0
; VGPRBlocks: 0
; NumSGPRsForWavesPerEU: 1
; NumVGPRsForWavesPerEU: 1
; Occupancy: 16
; WaveLimiterHint : 0
; COMPUTE_PGM_RSRC2:SCRATCH_EN: 0
; COMPUTE_PGM_RSRC2:USER_SGPR: 2
; COMPUTE_PGM_RSRC2:TRAP_HANDLER: 0
; COMPUTE_PGM_RSRC2:TGID_X_EN: 1
; COMPUTE_PGM_RSRC2:TGID_Y_EN: 0
; COMPUTE_PGM_RSRC2:TGID_Z_EN: 0
; COMPUTE_PGM_RSRC2:TIDIG_COMP_CNT: 0
	.section	.text._ZN7rocprim17ROCPRIM_400000_NS6detail17trampoline_kernelINS0_14default_configENS1_25partition_config_selectorILNS1_17partition_subalgoE6EfNS0_10empty_typeEbEEZZNS1_14partition_implILS5_6ELb0ES3_mN6thrust23THRUST_200600_302600_NS6detail15normal_iteratorINSA_10device_ptrIfEEEEPS6_SG_NS0_5tupleIJSF_S6_EEENSH_IJSG_SG_EEES6_PlJNSB_9not_fun_tINSB_14equal_to_valueIfEEEEEEE10hipError_tPvRmT3_T4_T5_T6_T7_T9_mT8_P12ihipStream_tbDpT10_ENKUlT_T0_E_clISt17integral_constantIbLb1EES18_EEDaS13_S14_EUlS13_E_NS1_11comp_targetILNS1_3genE10ELNS1_11target_archE1200ELNS1_3gpuE4ELNS1_3repE0EEENS1_30default_config_static_selectorELNS0_4arch9wavefront6targetE0EEEvT1_,"axG",@progbits,_ZN7rocprim17ROCPRIM_400000_NS6detail17trampoline_kernelINS0_14default_configENS1_25partition_config_selectorILNS1_17partition_subalgoE6EfNS0_10empty_typeEbEEZZNS1_14partition_implILS5_6ELb0ES3_mN6thrust23THRUST_200600_302600_NS6detail15normal_iteratorINSA_10device_ptrIfEEEEPS6_SG_NS0_5tupleIJSF_S6_EEENSH_IJSG_SG_EEES6_PlJNSB_9not_fun_tINSB_14equal_to_valueIfEEEEEEE10hipError_tPvRmT3_T4_T5_T6_T7_T9_mT8_P12ihipStream_tbDpT10_ENKUlT_T0_E_clISt17integral_constantIbLb1EES18_EEDaS13_S14_EUlS13_E_NS1_11comp_targetILNS1_3genE10ELNS1_11target_archE1200ELNS1_3gpuE4ELNS1_3repE0EEENS1_30default_config_static_selectorELNS0_4arch9wavefront6targetE0EEEvT1_,comdat
	.protected	_ZN7rocprim17ROCPRIM_400000_NS6detail17trampoline_kernelINS0_14default_configENS1_25partition_config_selectorILNS1_17partition_subalgoE6EfNS0_10empty_typeEbEEZZNS1_14partition_implILS5_6ELb0ES3_mN6thrust23THRUST_200600_302600_NS6detail15normal_iteratorINSA_10device_ptrIfEEEEPS6_SG_NS0_5tupleIJSF_S6_EEENSH_IJSG_SG_EEES6_PlJNSB_9not_fun_tINSB_14equal_to_valueIfEEEEEEE10hipError_tPvRmT3_T4_T5_T6_T7_T9_mT8_P12ihipStream_tbDpT10_ENKUlT_T0_E_clISt17integral_constantIbLb1EES18_EEDaS13_S14_EUlS13_E_NS1_11comp_targetILNS1_3genE10ELNS1_11target_archE1200ELNS1_3gpuE4ELNS1_3repE0EEENS1_30default_config_static_selectorELNS0_4arch9wavefront6targetE0EEEvT1_ ; -- Begin function _ZN7rocprim17ROCPRIM_400000_NS6detail17trampoline_kernelINS0_14default_configENS1_25partition_config_selectorILNS1_17partition_subalgoE6EfNS0_10empty_typeEbEEZZNS1_14partition_implILS5_6ELb0ES3_mN6thrust23THRUST_200600_302600_NS6detail15normal_iteratorINSA_10device_ptrIfEEEEPS6_SG_NS0_5tupleIJSF_S6_EEENSH_IJSG_SG_EEES6_PlJNSB_9not_fun_tINSB_14equal_to_valueIfEEEEEEE10hipError_tPvRmT3_T4_T5_T6_T7_T9_mT8_P12ihipStream_tbDpT10_ENKUlT_T0_E_clISt17integral_constantIbLb1EES18_EEDaS13_S14_EUlS13_E_NS1_11comp_targetILNS1_3genE10ELNS1_11target_archE1200ELNS1_3gpuE4ELNS1_3repE0EEENS1_30default_config_static_selectorELNS0_4arch9wavefront6targetE0EEEvT1_
	.globl	_ZN7rocprim17ROCPRIM_400000_NS6detail17trampoline_kernelINS0_14default_configENS1_25partition_config_selectorILNS1_17partition_subalgoE6EfNS0_10empty_typeEbEEZZNS1_14partition_implILS5_6ELb0ES3_mN6thrust23THRUST_200600_302600_NS6detail15normal_iteratorINSA_10device_ptrIfEEEEPS6_SG_NS0_5tupleIJSF_S6_EEENSH_IJSG_SG_EEES6_PlJNSB_9not_fun_tINSB_14equal_to_valueIfEEEEEEE10hipError_tPvRmT3_T4_T5_T6_T7_T9_mT8_P12ihipStream_tbDpT10_ENKUlT_T0_E_clISt17integral_constantIbLb1EES18_EEDaS13_S14_EUlS13_E_NS1_11comp_targetILNS1_3genE10ELNS1_11target_archE1200ELNS1_3gpuE4ELNS1_3repE0EEENS1_30default_config_static_selectorELNS0_4arch9wavefront6targetE0EEEvT1_
	.p2align	8
	.type	_ZN7rocprim17ROCPRIM_400000_NS6detail17trampoline_kernelINS0_14default_configENS1_25partition_config_selectorILNS1_17partition_subalgoE6EfNS0_10empty_typeEbEEZZNS1_14partition_implILS5_6ELb0ES3_mN6thrust23THRUST_200600_302600_NS6detail15normal_iteratorINSA_10device_ptrIfEEEEPS6_SG_NS0_5tupleIJSF_S6_EEENSH_IJSG_SG_EEES6_PlJNSB_9not_fun_tINSB_14equal_to_valueIfEEEEEEE10hipError_tPvRmT3_T4_T5_T6_T7_T9_mT8_P12ihipStream_tbDpT10_ENKUlT_T0_E_clISt17integral_constantIbLb1EES18_EEDaS13_S14_EUlS13_E_NS1_11comp_targetILNS1_3genE10ELNS1_11target_archE1200ELNS1_3gpuE4ELNS1_3repE0EEENS1_30default_config_static_selectorELNS0_4arch9wavefront6targetE0EEEvT1_,@function
_ZN7rocprim17ROCPRIM_400000_NS6detail17trampoline_kernelINS0_14default_configENS1_25partition_config_selectorILNS1_17partition_subalgoE6EfNS0_10empty_typeEbEEZZNS1_14partition_implILS5_6ELb0ES3_mN6thrust23THRUST_200600_302600_NS6detail15normal_iteratorINSA_10device_ptrIfEEEEPS6_SG_NS0_5tupleIJSF_S6_EEENSH_IJSG_SG_EEES6_PlJNSB_9not_fun_tINSB_14equal_to_valueIfEEEEEEE10hipError_tPvRmT3_T4_T5_T6_T7_T9_mT8_P12ihipStream_tbDpT10_ENKUlT_T0_E_clISt17integral_constantIbLb1EES18_EEDaS13_S14_EUlS13_E_NS1_11comp_targetILNS1_3genE10ELNS1_11target_archE1200ELNS1_3gpuE4ELNS1_3repE0EEENS1_30default_config_static_selectorELNS0_4arch9wavefront6targetE0EEEvT1_: ; @_ZN7rocprim17ROCPRIM_400000_NS6detail17trampoline_kernelINS0_14default_configENS1_25partition_config_selectorILNS1_17partition_subalgoE6EfNS0_10empty_typeEbEEZZNS1_14partition_implILS5_6ELb0ES3_mN6thrust23THRUST_200600_302600_NS6detail15normal_iteratorINSA_10device_ptrIfEEEEPS6_SG_NS0_5tupleIJSF_S6_EEENSH_IJSG_SG_EEES6_PlJNSB_9not_fun_tINSB_14equal_to_valueIfEEEEEEE10hipError_tPvRmT3_T4_T5_T6_T7_T9_mT8_P12ihipStream_tbDpT10_ENKUlT_T0_E_clISt17integral_constantIbLb1EES18_EEDaS13_S14_EUlS13_E_NS1_11comp_targetILNS1_3genE10ELNS1_11target_archE1200ELNS1_3gpuE4ELNS1_3repE0EEENS1_30default_config_static_selectorELNS0_4arch9wavefront6targetE0EEEvT1_
; %bb.0:
	s_endpgm
	.section	.rodata,"a",@progbits
	.p2align	6, 0x0
	.amdhsa_kernel _ZN7rocprim17ROCPRIM_400000_NS6detail17trampoline_kernelINS0_14default_configENS1_25partition_config_selectorILNS1_17partition_subalgoE6EfNS0_10empty_typeEbEEZZNS1_14partition_implILS5_6ELb0ES3_mN6thrust23THRUST_200600_302600_NS6detail15normal_iteratorINSA_10device_ptrIfEEEEPS6_SG_NS0_5tupleIJSF_S6_EEENSH_IJSG_SG_EEES6_PlJNSB_9not_fun_tINSB_14equal_to_valueIfEEEEEEE10hipError_tPvRmT3_T4_T5_T6_T7_T9_mT8_P12ihipStream_tbDpT10_ENKUlT_T0_E_clISt17integral_constantIbLb1EES18_EEDaS13_S14_EUlS13_E_NS1_11comp_targetILNS1_3genE10ELNS1_11target_archE1200ELNS1_3gpuE4ELNS1_3repE0EEENS1_30default_config_static_selectorELNS0_4arch9wavefront6targetE0EEEvT1_
		.amdhsa_group_segment_fixed_size 0
		.amdhsa_private_segment_fixed_size 0
		.amdhsa_kernarg_size 128
		.amdhsa_user_sgpr_count 2
		.amdhsa_user_sgpr_dispatch_ptr 0
		.amdhsa_user_sgpr_queue_ptr 0
		.amdhsa_user_sgpr_kernarg_segment_ptr 1
		.amdhsa_user_sgpr_dispatch_id 0
		.amdhsa_user_sgpr_private_segment_size 0
		.amdhsa_wavefront_size32 1
		.amdhsa_uses_dynamic_stack 0
		.amdhsa_enable_private_segment 0
		.amdhsa_system_sgpr_workgroup_id_x 1
		.amdhsa_system_sgpr_workgroup_id_y 0
		.amdhsa_system_sgpr_workgroup_id_z 0
		.amdhsa_system_sgpr_workgroup_info 0
		.amdhsa_system_vgpr_workitem_id 0
		.amdhsa_next_free_vgpr 1
		.amdhsa_next_free_sgpr 1
		.amdhsa_reserve_vcc 0
		.amdhsa_float_round_mode_32 0
		.amdhsa_float_round_mode_16_64 0
		.amdhsa_float_denorm_mode_32 3
		.amdhsa_float_denorm_mode_16_64 3
		.amdhsa_fp16_overflow 0
		.amdhsa_workgroup_processor_mode 1
		.amdhsa_memory_ordered 1
		.amdhsa_forward_progress 1
		.amdhsa_inst_pref_size 1
		.amdhsa_round_robin_scheduling 0
		.amdhsa_exception_fp_ieee_invalid_op 0
		.amdhsa_exception_fp_denorm_src 0
		.amdhsa_exception_fp_ieee_div_zero 0
		.amdhsa_exception_fp_ieee_overflow 0
		.amdhsa_exception_fp_ieee_underflow 0
		.amdhsa_exception_fp_ieee_inexact 0
		.amdhsa_exception_int_div_zero 0
	.end_amdhsa_kernel
	.section	.text._ZN7rocprim17ROCPRIM_400000_NS6detail17trampoline_kernelINS0_14default_configENS1_25partition_config_selectorILNS1_17partition_subalgoE6EfNS0_10empty_typeEbEEZZNS1_14partition_implILS5_6ELb0ES3_mN6thrust23THRUST_200600_302600_NS6detail15normal_iteratorINSA_10device_ptrIfEEEEPS6_SG_NS0_5tupleIJSF_S6_EEENSH_IJSG_SG_EEES6_PlJNSB_9not_fun_tINSB_14equal_to_valueIfEEEEEEE10hipError_tPvRmT3_T4_T5_T6_T7_T9_mT8_P12ihipStream_tbDpT10_ENKUlT_T0_E_clISt17integral_constantIbLb1EES18_EEDaS13_S14_EUlS13_E_NS1_11comp_targetILNS1_3genE10ELNS1_11target_archE1200ELNS1_3gpuE4ELNS1_3repE0EEENS1_30default_config_static_selectorELNS0_4arch9wavefront6targetE0EEEvT1_,"axG",@progbits,_ZN7rocprim17ROCPRIM_400000_NS6detail17trampoline_kernelINS0_14default_configENS1_25partition_config_selectorILNS1_17partition_subalgoE6EfNS0_10empty_typeEbEEZZNS1_14partition_implILS5_6ELb0ES3_mN6thrust23THRUST_200600_302600_NS6detail15normal_iteratorINSA_10device_ptrIfEEEEPS6_SG_NS0_5tupleIJSF_S6_EEENSH_IJSG_SG_EEES6_PlJNSB_9not_fun_tINSB_14equal_to_valueIfEEEEEEE10hipError_tPvRmT3_T4_T5_T6_T7_T9_mT8_P12ihipStream_tbDpT10_ENKUlT_T0_E_clISt17integral_constantIbLb1EES18_EEDaS13_S14_EUlS13_E_NS1_11comp_targetILNS1_3genE10ELNS1_11target_archE1200ELNS1_3gpuE4ELNS1_3repE0EEENS1_30default_config_static_selectorELNS0_4arch9wavefront6targetE0EEEvT1_,comdat
.Lfunc_end322:
	.size	_ZN7rocprim17ROCPRIM_400000_NS6detail17trampoline_kernelINS0_14default_configENS1_25partition_config_selectorILNS1_17partition_subalgoE6EfNS0_10empty_typeEbEEZZNS1_14partition_implILS5_6ELb0ES3_mN6thrust23THRUST_200600_302600_NS6detail15normal_iteratorINSA_10device_ptrIfEEEEPS6_SG_NS0_5tupleIJSF_S6_EEENSH_IJSG_SG_EEES6_PlJNSB_9not_fun_tINSB_14equal_to_valueIfEEEEEEE10hipError_tPvRmT3_T4_T5_T6_T7_T9_mT8_P12ihipStream_tbDpT10_ENKUlT_T0_E_clISt17integral_constantIbLb1EES18_EEDaS13_S14_EUlS13_E_NS1_11comp_targetILNS1_3genE10ELNS1_11target_archE1200ELNS1_3gpuE4ELNS1_3repE0EEENS1_30default_config_static_selectorELNS0_4arch9wavefront6targetE0EEEvT1_, .Lfunc_end322-_ZN7rocprim17ROCPRIM_400000_NS6detail17trampoline_kernelINS0_14default_configENS1_25partition_config_selectorILNS1_17partition_subalgoE6EfNS0_10empty_typeEbEEZZNS1_14partition_implILS5_6ELb0ES3_mN6thrust23THRUST_200600_302600_NS6detail15normal_iteratorINSA_10device_ptrIfEEEEPS6_SG_NS0_5tupleIJSF_S6_EEENSH_IJSG_SG_EEES6_PlJNSB_9not_fun_tINSB_14equal_to_valueIfEEEEEEE10hipError_tPvRmT3_T4_T5_T6_T7_T9_mT8_P12ihipStream_tbDpT10_ENKUlT_T0_E_clISt17integral_constantIbLb1EES18_EEDaS13_S14_EUlS13_E_NS1_11comp_targetILNS1_3genE10ELNS1_11target_archE1200ELNS1_3gpuE4ELNS1_3repE0EEENS1_30default_config_static_selectorELNS0_4arch9wavefront6targetE0EEEvT1_
                                        ; -- End function
	.set _ZN7rocprim17ROCPRIM_400000_NS6detail17trampoline_kernelINS0_14default_configENS1_25partition_config_selectorILNS1_17partition_subalgoE6EfNS0_10empty_typeEbEEZZNS1_14partition_implILS5_6ELb0ES3_mN6thrust23THRUST_200600_302600_NS6detail15normal_iteratorINSA_10device_ptrIfEEEEPS6_SG_NS0_5tupleIJSF_S6_EEENSH_IJSG_SG_EEES6_PlJNSB_9not_fun_tINSB_14equal_to_valueIfEEEEEEE10hipError_tPvRmT3_T4_T5_T6_T7_T9_mT8_P12ihipStream_tbDpT10_ENKUlT_T0_E_clISt17integral_constantIbLb1EES18_EEDaS13_S14_EUlS13_E_NS1_11comp_targetILNS1_3genE10ELNS1_11target_archE1200ELNS1_3gpuE4ELNS1_3repE0EEENS1_30default_config_static_selectorELNS0_4arch9wavefront6targetE0EEEvT1_.num_vgpr, 0
	.set _ZN7rocprim17ROCPRIM_400000_NS6detail17trampoline_kernelINS0_14default_configENS1_25partition_config_selectorILNS1_17partition_subalgoE6EfNS0_10empty_typeEbEEZZNS1_14partition_implILS5_6ELb0ES3_mN6thrust23THRUST_200600_302600_NS6detail15normal_iteratorINSA_10device_ptrIfEEEEPS6_SG_NS0_5tupleIJSF_S6_EEENSH_IJSG_SG_EEES6_PlJNSB_9not_fun_tINSB_14equal_to_valueIfEEEEEEE10hipError_tPvRmT3_T4_T5_T6_T7_T9_mT8_P12ihipStream_tbDpT10_ENKUlT_T0_E_clISt17integral_constantIbLb1EES18_EEDaS13_S14_EUlS13_E_NS1_11comp_targetILNS1_3genE10ELNS1_11target_archE1200ELNS1_3gpuE4ELNS1_3repE0EEENS1_30default_config_static_selectorELNS0_4arch9wavefront6targetE0EEEvT1_.num_agpr, 0
	.set _ZN7rocprim17ROCPRIM_400000_NS6detail17trampoline_kernelINS0_14default_configENS1_25partition_config_selectorILNS1_17partition_subalgoE6EfNS0_10empty_typeEbEEZZNS1_14partition_implILS5_6ELb0ES3_mN6thrust23THRUST_200600_302600_NS6detail15normal_iteratorINSA_10device_ptrIfEEEEPS6_SG_NS0_5tupleIJSF_S6_EEENSH_IJSG_SG_EEES6_PlJNSB_9not_fun_tINSB_14equal_to_valueIfEEEEEEE10hipError_tPvRmT3_T4_T5_T6_T7_T9_mT8_P12ihipStream_tbDpT10_ENKUlT_T0_E_clISt17integral_constantIbLb1EES18_EEDaS13_S14_EUlS13_E_NS1_11comp_targetILNS1_3genE10ELNS1_11target_archE1200ELNS1_3gpuE4ELNS1_3repE0EEENS1_30default_config_static_selectorELNS0_4arch9wavefront6targetE0EEEvT1_.numbered_sgpr, 0
	.set _ZN7rocprim17ROCPRIM_400000_NS6detail17trampoline_kernelINS0_14default_configENS1_25partition_config_selectorILNS1_17partition_subalgoE6EfNS0_10empty_typeEbEEZZNS1_14partition_implILS5_6ELb0ES3_mN6thrust23THRUST_200600_302600_NS6detail15normal_iteratorINSA_10device_ptrIfEEEEPS6_SG_NS0_5tupleIJSF_S6_EEENSH_IJSG_SG_EEES6_PlJNSB_9not_fun_tINSB_14equal_to_valueIfEEEEEEE10hipError_tPvRmT3_T4_T5_T6_T7_T9_mT8_P12ihipStream_tbDpT10_ENKUlT_T0_E_clISt17integral_constantIbLb1EES18_EEDaS13_S14_EUlS13_E_NS1_11comp_targetILNS1_3genE10ELNS1_11target_archE1200ELNS1_3gpuE4ELNS1_3repE0EEENS1_30default_config_static_selectorELNS0_4arch9wavefront6targetE0EEEvT1_.num_named_barrier, 0
	.set _ZN7rocprim17ROCPRIM_400000_NS6detail17trampoline_kernelINS0_14default_configENS1_25partition_config_selectorILNS1_17partition_subalgoE6EfNS0_10empty_typeEbEEZZNS1_14partition_implILS5_6ELb0ES3_mN6thrust23THRUST_200600_302600_NS6detail15normal_iteratorINSA_10device_ptrIfEEEEPS6_SG_NS0_5tupleIJSF_S6_EEENSH_IJSG_SG_EEES6_PlJNSB_9not_fun_tINSB_14equal_to_valueIfEEEEEEE10hipError_tPvRmT3_T4_T5_T6_T7_T9_mT8_P12ihipStream_tbDpT10_ENKUlT_T0_E_clISt17integral_constantIbLb1EES18_EEDaS13_S14_EUlS13_E_NS1_11comp_targetILNS1_3genE10ELNS1_11target_archE1200ELNS1_3gpuE4ELNS1_3repE0EEENS1_30default_config_static_selectorELNS0_4arch9wavefront6targetE0EEEvT1_.private_seg_size, 0
	.set _ZN7rocprim17ROCPRIM_400000_NS6detail17trampoline_kernelINS0_14default_configENS1_25partition_config_selectorILNS1_17partition_subalgoE6EfNS0_10empty_typeEbEEZZNS1_14partition_implILS5_6ELb0ES3_mN6thrust23THRUST_200600_302600_NS6detail15normal_iteratorINSA_10device_ptrIfEEEEPS6_SG_NS0_5tupleIJSF_S6_EEENSH_IJSG_SG_EEES6_PlJNSB_9not_fun_tINSB_14equal_to_valueIfEEEEEEE10hipError_tPvRmT3_T4_T5_T6_T7_T9_mT8_P12ihipStream_tbDpT10_ENKUlT_T0_E_clISt17integral_constantIbLb1EES18_EEDaS13_S14_EUlS13_E_NS1_11comp_targetILNS1_3genE10ELNS1_11target_archE1200ELNS1_3gpuE4ELNS1_3repE0EEENS1_30default_config_static_selectorELNS0_4arch9wavefront6targetE0EEEvT1_.uses_vcc, 0
	.set _ZN7rocprim17ROCPRIM_400000_NS6detail17trampoline_kernelINS0_14default_configENS1_25partition_config_selectorILNS1_17partition_subalgoE6EfNS0_10empty_typeEbEEZZNS1_14partition_implILS5_6ELb0ES3_mN6thrust23THRUST_200600_302600_NS6detail15normal_iteratorINSA_10device_ptrIfEEEEPS6_SG_NS0_5tupleIJSF_S6_EEENSH_IJSG_SG_EEES6_PlJNSB_9not_fun_tINSB_14equal_to_valueIfEEEEEEE10hipError_tPvRmT3_T4_T5_T6_T7_T9_mT8_P12ihipStream_tbDpT10_ENKUlT_T0_E_clISt17integral_constantIbLb1EES18_EEDaS13_S14_EUlS13_E_NS1_11comp_targetILNS1_3genE10ELNS1_11target_archE1200ELNS1_3gpuE4ELNS1_3repE0EEENS1_30default_config_static_selectorELNS0_4arch9wavefront6targetE0EEEvT1_.uses_flat_scratch, 0
	.set _ZN7rocprim17ROCPRIM_400000_NS6detail17trampoline_kernelINS0_14default_configENS1_25partition_config_selectorILNS1_17partition_subalgoE6EfNS0_10empty_typeEbEEZZNS1_14partition_implILS5_6ELb0ES3_mN6thrust23THRUST_200600_302600_NS6detail15normal_iteratorINSA_10device_ptrIfEEEEPS6_SG_NS0_5tupleIJSF_S6_EEENSH_IJSG_SG_EEES6_PlJNSB_9not_fun_tINSB_14equal_to_valueIfEEEEEEE10hipError_tPvRmT3_T4_T5_T6_T7_T9_mT8_P12ihipStream_tbDpT10_ENKUlT_T0_E_clISt17integral_constantIbLb1EES18_EEDaS13_S14_EUlS13_E_NS1_11comp_targetILNS1_3genE10ELNS1_11target_archE1200ELNS1_3gpuE4ELNS1_3repE0EEENS1_30default_config_static_selectorELNS0_4arch9wavefront6targetE0EEEvT1_.has_dyn_sized_stack, 0
	.set _ZN7rocprim17ROCPRIM_400000_NS6detail17trampoline_kernelINS0_14default_configENS1_25partition_config_selectorILNS1_17partition_subalgoE6EfNS0_10empty_typeEbEEZZNS1_14partition_implILS5_6ELb0ES3_mN6thrust23THRUST_200600_302600_NS6detail15normal_iteratorINSA_10device_ptrIfEEEEPS6_SG_NS0_5tupleIJSF_S6_EEENSH_IJSG_SG_EEES6_PlJNSB_9not_fun_tINSB_14equal_to_valueIfEEEEEEE10hipError_tPvRmT3_T4_T5_T6_T7_T9_mT8_P12ihipStream_tbDpT10_ENKUlT_T0_E_clISt17integral_constantIbLb1EES18_EEDaS13_S14_EUlS13_E_NS1_11comp_targetILNS1_3genE10ELNS1_11target_archE1200ELNS1_3gpuE4ELNS1_3repE0EEENS1_30default_config_static_selectorELNS0_4arch9wavefront6targetE0EEEvT1_.has_recursion, 0
	.set _ZN7rocprim17ROCPRIM_400000_NS6detail17trampoline_kernelINS0_14default_configENS1_25partition_config_selectorILNS1_17partition_subalgoE6EfNS0_10empty_typeEbEEZZNS1_14partition_implILS5_6ELb0ES3_mN6thrust23THRUST_200600_302600_NS6detail15normal_iteratorINSA_10device_ptrIfEEEEPS6_SG_NS0_5tupleIJSF_S6_EEENSH_IJSG_SG_EEES6_PlJNSB_9not_fun_tINSB_14equal_to_valueIfEEEEEEE10hipError_tPvRmT3_T4_T5_T6_T7_T9_mT8_P12ihipStream_tbDpT10_ENKUlT_T0_E_clISt17integral_constantIbLb1EES18_EEDaS13_S14_EUlS13_E_NS1_11comp_targetILNS1_3genE10ELNS1_11target_archE1200ELNS1_3gpuE4ELNS1_3repE0EEENS1_30default_config_static_selectorELNS0_4arch9wavefront6targetE0EEEvT1_.has_indirect_call, 0
	.section	.AMDGPU.csdata,"",@progbits
; Kernel info:
; codeLenInByte = 4
; TotalNumSgprs: 0
; NumVgprs: 0
; ScratchSize: 0
; MemoryBound: 0
; FloatMode: 240
; IeeeMode: 1
; LDSByteSize: 0 bytes/workgroup (compile time only)
; SGPRBlocks: 0
; VGPRBlocks: 0
; NumSGPRsForWavesPerEU: 1
; NumVGPRsForWavesPerEU: 1
; Occupancy: 16
; WaveLimiterHint : 0
; COMPUTE_PGM_RSRC2:SCRATCH_EN: 0
; COMPUTE_PGM_RSRC2:USER_SGPR: 2
; COMPUTE_PGM_RSRC2:TRAP_HANDLER: 0
; COMPUTE_PGM_RSRC2:TGID_X_EN: 1
; COMPUTE_PGM_RSRC2:TGID_Y_EN: 0
; COMPUTE_PGM_RSRC2:TGID_Z_EN: 0
; COMPUTE_PGM_RSRC2:TIDIG_COMP_CNT: 0
	.section	.text._ZN7rocprim17ROCPRIM_400000_NS6detail17trampoline_kernelINS0_14default_configENS1_25partition_config_selectorILNS1_17partition_subalgoE6EfNS0_10empty_typeEbEEZZNS1_14partition_implILS5_6ELb0ES3_mN6thrust23THRUST_200600_302600_NS6detail15normal_iteratorINSA_10device_ptrIfEEEEPS6_SG_NS0_5tupleIJSF_S6_EEENSH_IJSG_SG_EEES6_PlJNSB_9not_fun_tINSB_14equal_to_valueIfEEEEEEE10hipError_tPvRmT3_T4_T5_T6_T7_T9_mT8_P12ihipStream_tbDpT10_ENKUlT_T0_E_clISt17integral_constantIbLb1EES18_EEDaS13_S14_EUlS13_E_NS1_11comp_targetILNS1_3genE9ELNS1_11target_archE1100ELNS1_3gpuE3ELNS1_3repE0EEENS1_30default_config_static_selectorELNS0_4arch9wavefront6targetE0EEEvT1_,"axG",@progbits,_ZN7rocprim17ROCPRIM_400000_NS6detail17trampoline_kernelINS0_14default_configENS1_25partition_config_selectorILNS1_17partition_subalgoE6EfNS0_10empty_typeEbEEZZNS1_14partition_implILS5_6ELb0ES3_mN6thrust23THRUST_200600_302600_NS6detail15normal_iteratorINSA_10device_ptrIfEEEEPS6_SG_NS0_5tupleIJSF_S6_EEENSH_IJSG_SG_EEES6_PlJNSB_9not_fun_tINSB_14equal_to_valueIfEEEEEEE10hipError_tPvRmT3_T4_T5_T6_T7_T9_mT8_P12ihipStream_tbDpT10_ENKUlT_T0_E_clISt17integral_constantIbLb1EES18_EEDaS13_S14_EUlS13_E_NS1_11comp_targetILNS1_3genE9ELNS1_11target_archE1100ELNS1_3gpuE3ELNS1_3repE0EEENS1_30default_config_static_selectorELNS0_4arch9wavefront6targetE0EEEvT1_,comdat
	.protected	_ZN7rocprim17ROCPRIM_400000_NS6detail17trampoline_kernelINS0_14default_configENS1_25partition_config_selectorILNS1_17partition_subalgoE6EfNS0_10empty_typeEbEEZZNS1_14partition_implILS5_6ELb0ES3_mN6thrust23THRUST_200600_302600_NS6detail15normal_iteratorINSA_10device_ptrIfEEEEPS6_SG_NS0_5tupleIJSF_S6_EEENSH_IJSG_SG_EEES6_PlJNSB_9not_fun_tINSB_14equal_to_valueIfEEEEEEE10hipError_tPvRmT3_T4_T5_T6_T7_T9_mT8_P12ihipStream_tbDpT10_ENKUlT_T0_E_clISt17integral_constantIbLb1EES18_EEDaS13_S14_EUlS13_E_NS1_11comp_targetILNS1_3genE9ELNS1_11target_archE1100ELNS1_3gpuE3ELNS1_3repE0EEENS1_30default_config_static_selectorELNS0_4arch9wavefront6targetE0EEEvT1_ ; -- Begin function _ZN7rocprim17ROCPRIM_400000_NS6detail17trampoline_kernelINS0_14default_configENS1_25partition_config_selectorILNS1_17partition_subalgoE6EfNS0_10empty_typeEbEEZZNS1_14partition_implILS5_6ELb0ES3_mN6thrust23THRUST_200600_302600_NS6detail15normal_iteratorINSA_10device_ptrIfEEEEPS6_SG_NS0_5tupleIJSF_S6_EEENSH_IJSG_SG_EEES6_PlJNSB_9not_fun_tINSB_14equal_to_valueIfEEEEEEE10hipError_tPvRmT3_T4_T5_T6_T7_T9_mT8_P12ihipStream_tbDpT10_ENKUlT_T0_E_clISt17integral_constantIbLb1EES18_EEDaS13_S14_EUlS13_E_NS1_11comp_targetILNS1_3genE9ELNS1_11target_archE1100ELNS1_3gpuE3ELNS1_3repE0EEENS1_30default_config_static_selectorELNS0_4arch9wavefront6targetE0EEEvT1_
	.globl	_ZN7rocprim17ROCPRIM_400000_NS6detail17trampoline_kernelINS0_14default_configENS1_25partition_config_selectorILNS1_17partition_subalgoE6EfNS0_10empty_typeEbEEZZNS1_14partition_implILS5_6ELb0ES3_mN6thrust23THRUST_200600_302600_NS6detail15normal_iteratorINSA_10device_ptrIfEEEEPS6_SG_NS0_5tupleIJSF_S6_EEENSH_IJSG_SG_EEES6_PlJNSB_9not_fun_tINSB_14equal_to_valueIfEEEEEEE10hipError_tPvRmT3_T4_T5_T6_T7_T9_mT8_P12ihipStream_tbDpT10_ENKUlT_T0_E_clISt17integral_constantIbLb1EES18_EEDaS13_S14_EUlS13_E_NS1_11comp_targetILNS1_3genE9ELNS1_11target_archE1100ELNS1_3gpuE3ELNS1_3repE0EEENS1_30default_config_static_selectorELNS0_4arch9wavefront6targetE0EEEvT1_
	.p2align	8
	.type	_ZN7rocprim17ROCPRIM_400000_NS6detail17trampoline_kernelINS0_14default_configENS1_25partition_config_selectorILNS1_17partition_subalgoE6EfNS0_10empty_typeEbEEZZNS1_14partition_implILS5_6ELb0ES3_mN6thrust23THRUST_200600_302600_NS6detail15normal_iteratorINSA_10device_ptrIfEEEEPS6_SG_NS0_5tupleIJSF_S6_EEENSH_IJSG_SG_EEES6_PlJNSB_9not_fun_tINSB_14equal_to_valueIfEEEEEEE10hipError_tPvRmT3_T4_T5_T6_T7_T9_mT8_P12ihipStream_tbDpT10_ENKUlT_T0_E_clISt17integral_constantIbLb1EES18_EEDaS13_S14_EUlS13_E_NS1_11comp_targetILNS1_3genE9ELNS1_11target_archE1100ELNS1_3gpuE3ELNS1_3repE0EEENS1_30default_config_static_selectorELNS0_4arch9wavefront6targetE0EEEvT1_,@function
_ZN7rocprim17ROCPRIM_400000_NS6detail17trampoline_kernelINS0_14default_configENS1_25partition_config_selectorILNS1_17partition_subalgoE6EfNS0_10empty_typeEbEEZZNS1_14partition_implILS5_6ELb0ES3_mN6thrust23THRUST_200600_302600_NS6detail15normal_iteratorINSA_10device_ptrIfEEEEPS6_SG_NS0_5tupleIJSF_S6_EEENSH_IJSG_SG_EEES6_PlJNSB_9not_fun_tINSB_14equal_to_valueIfEEEEEEE10hipError_tPvRmT3_T4_T5_T6_T7_T9_mT8_P12ihipStream_tbDpT10_ENKUlT_T0_E_clISt17integral_constantIbLb1EES18_EEDaS13_S14_EUlS13_E_NS1_11comp_targetILNS1_3genE9ELNS1_11target_archE1100ELNS1_3gpuE3ELNS1_3repE0EEENS1_30default_config_static_selectorELNS0_4arch9wavefront6targetE0EEEvT1_: ; @_ZN7rocprim17ROCPRIM_400000_NS6detail17trampoline_kernelINS0_14default_configENS1_25partition_config_selectorILNS1_17partition_subalgoE6EfNS0_10empty_typeEbEEZZNS1_14partition_implILS5_6ELb0ES3_mN6thrust23THRUST_200600_302600_NS6detail15normal_iteratorINSA_10device_ptrIfEEEEPS6_SG_NS0_5tupleIJSF_S6_EEENSH_IJSG_SG_EEES6_PlJNSB_9not_fun_tINSB_14equal_to_valueIfEEEEEEE10hipError_tPvRmT3_T4_T5_T6_T7_T9_mT8_P12ihipStream_tbDpT10_ENKUlT_T0_E_clISt17integral_constantIbLb1EES18_EEDaS13_S14_EUlS13_E_NS1_11comp_targetILNS1_3genE9ELNS1_11target_archE1100ELNS1_3gpuE3ELNS1_3repE0EEENS1_30default_config_static_selectorELNS0_4arch9wavefront6targetE0EEEvT1_
; %bb.0:
	.section	.rodata,"a",@progbits
	.p2align	6, 0x0
	.amdhsa_kernel _ZN7rocprim17ROCPRIM_400000_NS6detail17trampoline_kernelINS0_14default_configENS1_25partition_config_selectorILNS1_17partition_subalgoE6EfNS0_10empty_typeEbEEZZNS1_14partition_implILS5_6ELb0ES3_mN6thrust23THRUST_200600_302600_NS6detail15normal_iteratorINSA_10device_ptrIfEEEEPS6_SG_NS0_5tupleIJSF_S6_EEENSH_IJSG_SG_EEES6_PlJNSB_9not_fun_tINSB_14equal_to_valueIfEEEEEEE10hipError_tPvRmT3_T4_T5_T6_T7_T9_mT8_P12ihipStream_tbDpT10_ENKUlT_T0_E_clISt17integral_constantIbLb1EES18_EEDaS13_S14_EUlS13_E_NS1_11comp_targetILNS1_3genE9ELNS1_11target_archE1100ELNS1_3gpuE3ELNS1_3repE0EEENS1_30default_config_static_selectorELNS0_4arch9wavefront6targetE0EEEvT1_
		.amdhsa_group_segment_fixed_size 0
		.amdhsa_private_segment_fixed_size 0
		.amdhsa_kernarg_size 128
		.amdhsa_user_sgpr_count 2
		.amdhsa_user_sgpr_dispatch_ptr 0
		.amdhsa_user_sgpr_queue_ptr 0
		.amdhsa_user_sgpr_kernarg_segment_ptr 1
		.amdhsa_user_sgpr_dispatch_id 0
		.amdhsa_user_sgpr_private_segment_size 0
		.amdhsa_wavefront_size32 1
		.amdhsa_uses_dynamic_stack 0
		.amdhsa_enable_private_segment 0
		.amdhsa_system_sgpr_workgroup_id_x 1
		.amdhsa_system_sgpr_workgroup_id_y 0
		.amdhsa_system_sgpr_workgroup_id_z 0
		.amdhsa_system_sgpr_workgroup_info 0
		.amdhsa_system_vgpr_workitem_id 0
		.amdhsa_next_free_vgpr 1
		.amdhsa_next_free_sgpr 1
		.amdhsa_reserve_vcc 0
		.amdhsa_float_round_mode_32 0
		.amdhsa_float_round_mode_16_64 0
		.amdhsa_float_denorm_mode_32 3
		.amdhsa_float_denorm_mode_16_64 3
		.amdhsa_fp16_overflow 0
		.amdhsa_workgroup_processor_mode 1
		.amdhsa_memory_ordered 1
		.amdhsa_forward_progress 1
		.amdhsa_inst_pref_size 0
		.amdhsa_round_robin_scheduling 0
		.amdhsa_exception_fp_ieee_invalid_op 0
		.amdhsa_exception_fp_denorm_src 0
		.amdhsa_exception_fp_ieee_div_zero 0
		.amdhsa_exception_fp_ieee_overflow 0
		.amdhsa_exception_fp_ieee_underflow 0
		.amdhsa_exception_fp_ieee_inexact 0
		.amdhsa_exception_int_div_zero 0
	.end_amdhsa_kernel
	.section	.text._ZN7rocprim17ROCPRIM_400000_NS6detail17trampoline_kernelINS0_14default_configENS1_25partition_config_selectorILNS1_17partition_subalgoE6EfNS0_10empty_typeEbEEZZNS1_14partition_implILS5_6ELb0ES3_mN6thrust23THRUST_200600_302600_NS6detail15normal_iteratorINSA_10device_ptrIfEEEEPS6_SG_NS0_5tupleIJSF_S6_EEENSH_IJSG_SG_EEES6_PlJNSB_9not_fun_tINSB_14equal_to_valueIfEEEEEEE10hipError_tPvRmT3_T4_T5_T6_T7_T9_mT8_P12ihipStream_tbDpT10_ENKUlT_T0_E_clISt17integral_constantIbLb1EES18_EEDaS13_S14_EUlS13_E_NS1_11comp_targetILNS1_3genE9ELNS1_11target_archE1100ELNS1_3gpuE3ELNS1_3repE0EEENS1_30default_config_static_selectorELNS0_4arch9wavefront6targetE0EEEvT1_,"axG",@progbits,_ZN7rocprim17ROCPRIM_400000_NS6detail17trampoline_kernelINS0_14default_configENS1_25partition_config_selectorILNS1_17partition_subalgoE6EfNS0_10empty_typeEbEEZZNS1_14partition_implILS5_6ELb0ES3_mN6thrust23THRUST_200600_302600_NS6detail15normal_iteratorINSA_10device_ptrIfEEEEPS6_SG_NS0_5tupleIJSF_S6_EEENSH_IJSG_SG_EEES6_PlJNSB_9not_fun_tINSB_14equal_to_valueIfEEEEEEE10hipError_tPvRmT3_T4_T5_T6_T7_T9_mT8_P12ihipStream_tbDpT10_ENKUlT_T0_E_clISt17integral_constantIbLb1EES18_EEDaS13_S14_EUlS13_E_NS1_11comp_targetILNS1_3genE9ELNS1_11target_archE1100ELNS1_3gpuE3ELNS1_3repE0EEENS1_30default_config_static_selectorELNS0_4arch9wavefront6targetE0EEEvT1_,comdat
.Lfunc_end323:
	.size	_ZN7rocprim17ROCPRIM_400000_NS6detail17trampoline_kernelINS0_14default_configENS1_25partition_config_selectorILNS1_17partition_subalgoE6EfNS0_10empty_typeEbEEZZNS1_14partition_implILS5_6ELb0ES3_mN6thrust23THRUST_200600_302600_NS6detail15normal_iteratorINSA_10device_ptrIfEEEEPS6_SG_NS0_5tupleIJSF_S6_EEENSH_IJSG_SG_EEES6_PlJNSB_9not_fun_tINSB_14equal_to_valueIfEEEEEEE10hipError_tPvRmT3_T4_T5_T6_T7_T9_mT8_P12ihipStream_tbDpT10_ENKUlT_T0_E_clISt17integral_constantIbLb1EES18_EEDaS13_S14_EUlS13_E_NS1_11comp_targetILNS1_3genE9ELNS1_11target_archE1100ELNS1_3gpuE3ELNS1_3repE0EEENS1_30default_config_static_selectorELNS0_4arch9wavefront6targetE0EEEvT1_, .Lfunc_end323-_ZN7rocprim17ROCPRIM_400000_NS6detail17trampoline_kernelINS0_14default_configENS1_25partition_config_selectorILNS1_17partition_subalgoE6EfNS0_10empty_typeEbEEZZNS1_14partition_implILS5_6ELb0ES3_mN6thrust23THRUST_200600_302600_NS6detail15normal_iteratorINSA_10device_ptrIfEEEEPS6_SG_NS0_5tupleIJSF_S6_EEENSH_IJSG_SG_EEES6_PlJNSB_9not_fun_tINSB_14equal_to_valueIfEEEEEEE10hipError_tPvRmT3_T4_T5_T6_T7_T9_mT8_P12ihipStream_tbDpT10_ENKUlT_T0_E_clISt17integral_constantIbLb1EES18_EEDaS13_S14_EUlS13_E_NS1_11comp_targetILNS1_3genE9ELNS1_11target_archE1100ELNS1_3gpuE3ELNS1_3repE0EEENS1_30default_config_static_selectorELNS0_4arch9wavefront6targetE0EEEvT1_
                                        ; -- End function
	.set _ZN7rocprim17ROCPRIM_400000_NS6detail17trampoline_kernelINS0_14default_configENS1_25partition_config_selectorILNS1_17partition_subalgoE6EfNS0_10empty_typeEbEEZZNS1_14partition_implILS5_6ELb0ES3_mN6thrust23THRUST_200600_302600_NS6detail15normal_iteratorINSA_10device_ptrIfEEEEPS6_SG_NS0_5tupleIJSF_S6_EEENSH_IJSG_SG_EEES6_PlJNSB_9not_fun_tINSB_14equal_to_valueIfEEEEEEE10hipError_tPvRmT3_T4_T5_T6_T7_T9_mT8_P12ihipStream_tbDpT10_ENKUlT_T0_E_clISt17integral_constantIbLb1EES18_EEDaS13_S14_EUlS13_E_NS1_11comp_targetILNS1_3genE9ELNS1_11target_archE1100ELNS1_3gpuE3ELNS1_3repE0EEENS1_30default_config_static_selectorELNS0_4arch9wavefront6targetE0EEEvT1_.num_vgpr, 0
	.set _ZN7rocprim17ROCPRIM_400000_NS6detail17trampoline_kernelINS0_14default_configENS1_25partition_config_selectorILNS1_17partition_subalgoE6EfNS0_10empty_typeEbEEZZNS1_14partition_implILS5_6ELb0ES3_mN6thrust23THRUST_200600_302600_NS6detail15normal_iteratorINSA_10device_ptrIfEEEEPS6_SG_NS0_5tupleIJSF_S6_EEENSH_IJSG_SG_EEES6_PlJNSB_9not_fun_tINSB_14equal_to_valueIfEEEEEEE10hipError_tPvRmT3_T4_T5_T6_T7_T9_mT8_P12ihipStream_tbDpT10_ENKUlT_T0_E_clISt17integral_constantIbLb1EES18_EEDaS13_S14_EUlS13_E_NS1_11comp_targetILNS1_3genE9ELNS1_11target_archE1100ELNS1_3gpuE3ELNS1_3repE0EEENS1_30default_config_static_selectorELNS0_4arch9wavefront6targetE0EEEvT1_.num_agpr, 0
	.set _ZN7rocprim17ROCPRIM_400000_NS6detail17trampoline_kernelINS0_14default_configENS1_25partition_config_selectorILNS1_17partition_subalgoE6EfNS0_10empty_typeEbEEZZNS1_14partition_implILS5_6ELb0ES3_mN6thrust23THRUST_200600_302600_NS6detail15normal_iteratorINSA_10device_ptrIfEEEEPS6_SG_NS0_5tupleIJSF_S6_EEENSH_IJSG_SG_EEES6_PlJNSB_9not_fun_tINSB_14equal_to_valueIfEEEEEEE10hipError_tPvRmT3_T4_T5_T6_T7_T9_mT8_P12ihipStream_tbDpT10_ENKUlT_T0_E_clISt17integral_constantIbLb1EES18_EEDaS13_S14_EUlS13_E_NS1_11comp_targetILNS1_3genE9ELNS1_11target_archE1100ELNS1_3gpuE3ELNS1_3repE0EEENS1_30default_config_static_selectorELNS0_4arch9wavefront6targetE0EEEvT1_.numbered_sgpr, 0
	.set _ZN7rocprim17ROCPRIM_400000_NS6detail17trampoline_kernelINS0_14default_configENS1_25partition_config_selectorILNS1_17partition_subalgoE6EfNS0_10empty_typeEbEEZZNS1_14partition_implILS5_6ELb0ES3_mN6thrust23THRUST_200600_302600_NS6detail15normal_iteratorINSA_10device_ptrIfEEEEPS6_SG_NS0_5tupleIJSF_S6_EEENSH_IJSG_SG_EEES6_PlJNSB_9not_fun_tINSB_14equal_to_valueIfEEEEEEE10hipError_tPvRmT3_T4_T5_T6_T7_T9_mT8_P12ihipStream_tbDpT10_ENKUlT_T0_E_clISt17integral_constantIbLb1EES18_EEDaS13_S14_EUlS13_E_NS1_11comp_targetILNS1_3genE9ELNS1_11target_archE1100ELNS1_3gpuE3ELNS1_3repE0EEENS1_30default_config_static_selectorELNS0_4arch9wavefront6targetE0EEEvT1_.num_named_barrier, 0
	.set _ZN7rocprim17ROCPRIM_400000_NS6detail17trampoline_kernelINS0_14default_configENS1_25partition_config_selectorILNS1_17partition_subalgoE6EfNS0_10empty_typeEbEEZZNS1_14partition_implILS5_6ELb0ES3_mN6thrust23THRUST_200600_302600_NS6detail15normal_iteratorINSA_10device_ptrIfEEEEPS6_SG_NS0_5tupleIJSF_S6_EEENSH_IJSG_SG_EEES6_PlJNSB_9not_fun_tINSB_14equal_to_valueIfEEEEEEE10hipError_tPvRmT3_T4_T5_T6_T7_T9_mT8_P12ihipStream_tbDpT10_ENKUlT_T0_E_clISt17integral_constantIbLb1EES18_EEDaS13_S14_EUlS13_E_NS1_11comp_targetILNS1_3genE9ELNS1_11target_archE1100ELNS1_3gpuE3ELNS1_3repE0EEENS1_30default_config_static_selectorELNS0_4arch9wavefront6targetE0EEEvT1_.private_seg_size, 0
	.set _ZN7rocprim17ROCPRIM_400000_NS6detail17trampoline_kernelINS0_14default_configENS1_25partition_config_selectorILNS1_17partition_subalgoE6EfNS0_10empty_typeEbEEZZNS1_14partition_implILS5_6ELb0ES3_mN6thrust23THRUST_200600_302600_NS6detail15normal_iteratorINSA_10device_ptrIfEEEEPS6_SG_NS0_5tupleIJSF_S6_EEENSH_IJSG_SG_EEES6_PlJNSB_9not_fun_tINSB_14equal_to_valueIfEEEEEEE10hipError_tPvRmT3_T4_T5_T6_T7_T9_mT8_P12ihipStream_tbDpT10_ENKUlT_T0_E_clISt17integral_constantIbLb1EES18_EEDaS13_S14_EUlS13_E_NS1_11comp_targetILNS1_3genE9ELNS1_11target_archE1100ELNS1_3gpuE3ELNS1_3repE0EEENS1_30default_config_static_selectorELNS0_4arch9wavefront6targetE0EEEvT1_.uses_vcc, 0
	.set _ZN7rocprim17ROCPRIM_400000_NS6detail17trampoline_kernelINS0_14default_configENS1_25partition_config_selectorILNS1_17partition_subalgoE6EfNS0_10empty_typeEbEEZZNS1_14partition_implILS5_6ELb0ES3_mN6thrust23THRUST_200600_302600_NS6detail15normal_iteratorINSA_10device_ptrIfEEEEPS6_SG_NS0_5tupleIJSF_S6_EEENSH_IJSG_SG_EEES6_PlJNSB_9not_fun_tINSB_14equal_to_valueIfEEEEEEE10hipError_tPvRmT3_T4_T5_T6_T7_T9_mT8_P12ihipStream_tbDpT10_ENKUlT_T0_E_clISt17integral_constantIbLb1EES18_EEDaS13_S14_EUlS13_E_NS1_11comp_targetILNS1_3genE9ELNS1_11target_archE1100ELNS1_3gpuE3ELNS1_3repE0EEENS1_30default_config_static_selectorELNS0_4arch9wavefront6targetE0EEEvT1_.uses_flat_scratch, 0
	.set _ZN7rocprim17ROCPRIM_400000_NS6detail17trampoline_kernelINS0_14default_configENS1_25partition_config_selectorILNS1_17partition_subalgoE6EfNS0_10empty_typeEbEEZZNS1_14partition_implILS5_6ELb0ES3_mN6thrust23THRUST_200600_302600_NS6detail15normal_iteratorINSA_10device_ptrIfEEEEPS6_SG_NS0_5tupleIJSF_S6_EEENSH_IJSG_SG_EEES6_PlJNSB_9not_fun_tINSB_14equal_to_valueIfEEEEEEE10hipError_tPvRmT3_T4_T5_T6_T7_T9_mT8_P12ihipStream_tbDpT10_ENKUlT_T0_E_clISt17integral_constantIbLb1EES18_EEDaS13_S14_EUlS13_E_NS1_11comp_targetILNS1_3genE9ELNS1_11target_archE1100ELNS1_3gpuE3ELNS1_3repE0EEENS1_30default_config_static_selectorELNS0_4arch9wavefront6targetE0EEEvT1_.has_dyn_sized_stack, 0
	.set _ZN7rocprim17ROCPRIM_400000_NS6detail17trampoline_kernelINS0_14default_configENS1_25partition_config_selectorILNS1_17partition_subalgoE6EfNS0_10empty_typeEbEEZZNS1_14partition_implILS5_6ELb0ES3_mN6thrust23THRUST_200600_302600_NS6detail15normal_iteratorINSA_10device_ptrIfEEEEPS6_SG_NS0_5tupleIJSF_S6_EEENSH_IJSG_SG_EEES6_PlJNSB_9not_fun_tINSB_14equal_to_valueIfEEEEEEE10hipError_tPvRmT3_T4_T5_T6_T7_T9_mT8_P12ihipStream_tbDpT10_ENKUlT_T0_E_clISt17integral_constantIbLb1EES18_EEDaS13_S14_EUlS13_E_NS1_11comp_targetILNS1_3genE9ELNS1_11target_archE1100ELNS1_3gpuE3ELNS1_3repE0EEENS1_30default_config_static_selectorELNS0_4arch9wavefront6targetE0EEEvT1_.has_recursion, 0
	.set _ZN7rocprim17ROCPRIM_400000_NS6detail17trampoline_kernelINS0_14default_configENS1_25partition_config_selectorILNS1_17partition_subalgoE6EfNS0_10empty_typeEbEEZZNS1_14partition_implILS5_6ELb0ES3_mN6thrust23THRUST_200600_302600_NS6detail15normal_iteratorINSA_10device_ptrIfEEEEPS6_SG_NS0_5tupleIJSF_S6_EEENSH_IJSG_SG_EEES6_PlJNSB_9not_fun_tINSB_14equal_to_valueIfEEEEEEE10hipError_tPvRmT3_T4_T5_T6_T7_T9_mT8_P12ihipStream_tbDpT10_ENKUlT_T0_E_clISt17integral_constantIbLb1EES18_EEDaS13_S14_EUlS13_E_NS1_11comp_targetILNS1_3genE9ELNS1_11target_archE1100ELNS1_3gpuE3ELNS1_3repE0EEENS1_30default_config_static_selectorELNS0_4arch9wavefront6targetE0EEEvT1_.has_indirect_call, 0
	.section	.AMDGPU.csdata,"",@progbits
; Kernel info:
; codeLenInByte = 0
; TotalNumSgprs: 0
; NumVgprs: 0
; ScratchSize: 0
; MemoryBound: 0
; FloatMode: 240
; IeeeMode: 1
; LDSByteSize: 0 bytes/workgroup (compile time only)
; SGPRBlocks: 0
; VGPRBlocks: 0
; NumSGPRsForWavesPerEU: 1
; NumVGPRsForWavesPerEU: 1
; Occupancy: 16
; WaveLimiterHint : 0
; COMPUTE_PGM_RSRC2:SCRATCH_EN: 0
; COMPUTE_PGM_RSRC2:USER_SGPR: 2
; COMPUTE_PGM_RSRC2:TRAP_HANDLER: 0
; COMPUTE_PGM_RSRC2:TGID_X_EN: 1
; COMPUTE_PGM_RSRC2:TGID_Y_EN: 0
; COMPUTE_PGM_RSRC2:TGID_Z_EN: 0
; COMPUTE_PGM_RSRC2:TIDIG_COMP_CNT: 0
	.section	.text._ZN7rocprim17ROCPRIM_400000_NS6detail17trampoline_kernelINS0_14default_configENS1_25partition_config_selectorILNS1_17partition_subalgoE6EfNS0_10empty_typeEbEEZZNS1_14partition_implILS5_6ELb0ES3_mN6thrust23THRUST_200600_302600_NS6detail15normal_iteratorINSA_10device_ptrIfEEEEPS6_SG_NS0_5tupleIJSF_S6_EEENSH_IJSG_SG_EEES6_PlJNSB_9not_fun_tINSB_14equal_to_valueIfEEEEEEE10hipError_tPvRmT3_T4_T5_T6_T7_T9_mT8_P12ihipStream_tbDpT10_ENKUlT_T0_E_clISt17integral_constantIbLb1EES18_EEDaS13_S14_EUlS13_E_NS1_11comp_targetILNS1_3genE8ELNS1_11target_archE1030ELNS1_3gpuE2ELNS1_3repE0EEENS1_30default_config_static_selectorELNS0_4arch9wavefront6targetE0EEEvT1_,"axG",@progbits,_ZN7rocprim17ROCPRIM_400000_NS6detail17trampoline_kernelINS0_14default_configENS1_25partition_config_selectorILNS1_17partition_subalgoE6EfNS0_10empty_typeEbEEZZNS1_14partition_implILS5_6ELb0ES3_mN6thrust23THRUST_200600_302600_NS6detail15normal_iteratorINSA_10device_ptrIfEEEEPS6_SG_NS0_5tupleIJSF_S6_EEENSH_IJSG_SG_EEES6_PlJNSB_9not_fun_tINSB_14equal_to_valueIfEEEEEEE10hipError_tPvRmT3_T4_T5_T6_T7_T9_mT8_P12ihipStream_tbDpT10_ENKUlT_T0_E_clISt17integral_constantIbLb1EES18_EEDaS13_S14_EUlS13_E_NS1_11comp_targetILNS1_3genE8ELNS1_11target_archE1030ELNS1_3gpuE2ELNS1_3repE0EEENS1_30default_config_static_selectorELNS0_4arch9wavefront6targetE0EEEvT1_,comdat
	.protected	_ZN7rocprim17ROCPRIM_400000_NS6detail17trampoline_kernelINS0_14default_configENS1_25partition_config_selectorILNS1_17partition_subalgoE6EfNS0_10empty_typeEbEEZZNS1_14partition_implILS5_6ELb0ES3_mN6thrust23THRUST_200600_302600_NS6detail15normal_iteratorINSA_10device_ptrIfEEEEPS6_SG_NS0_5tupleIJSF_S6_EEENSH_IJSG_SG_EEES6_PlJNSB_9not_fun_tINSB_14equal_to_valueIfEEEEEEE10hipError_tPvRmT3_T4_T5_T6_T7_T9_mT8_P12ihipStream_tbDpT10_ENKUlT_T0_E_clISt17integral_constantIbLb1EES18_EEDaS13_S14_EUlS13_E_NS1_11comp_targetILNS1_3genE8ELNS1_11target_archE1030ELNS1_3gpuE2ELNS1_3repE0EEENS1_30default_config_static_selectorELNS0_4arch9wavefront6targetE0EEEvT1_ ; -- Begin function _ZN7rocprim17ROCPRIM_400000_NS6detail17trampoline_kernelINS0_14default_configENS1_25partition_config_selectorILNS1_17partition_subalgoE6EfNS0_10empty_typeEbEEZZNS1_14partition_implILS5_6ELb0ES3_mN6thrust23THRUST_200600_302600_NS6detail15normal_iteratorINSA_10device_ptrIfEEEEPS6_SG_NS0_5tupleIJSF_S6_EEENSH_IJSG_SG_EEES6_PlJNSB_9not_fun_tINSB_14equal_to_valueIfEEEEEEE10hipError_tPvRmT3_T4_T5_T6_T7_T9_mT8_P12ihipStream_tbDpT10_ENKUlT_T0_E_clISt17integral_constantIbLb1EES18_EEDaS13_S14_EUlS13_E_NS1_11comp_targetILNS1_3genE8ELNS1_11target_archE1030ELNS1_3gpuE2ELNS1_3repE0EEENS1_30default_config_static_selectorELNS0_4arch9wavefront6targetE0EEEvT1_
	.globl	_ZN7rocprim17ROCPRIM_400000_NS6detail17trampoline_kernelINS0_14default_configENS1_25partition_config_selectorILNS1_17partition_subalgoE6EfNS0_10empty_typeEbEEZZNS1_14partition_implILS5_6ELb0ES3_mN6thrust23THRUST_200600_302600_NS6detail15normal_iteratorINSA_10device_ptrIfEEEEPS6_SG_NS0_5tupleIJSF_S6_EEENSH_IJSG_SG_EEES6_PlJNSB_9not_fun_tINSB_14equal_to_valueIfEEEEEEE10hipError_tPvRmT3_T4_T5_T6_T7_T9_mT8_P12ihipStream_tbDpT10_ENKUlT_T0_E_clISt17integral_constantIbLb1EES18_EEDaS13_S14_EUlS13_E_NS1_11comp_targetILNS1_3genE8ELNS1_11target_archE1030ELNS1_3gpuE2ELNS1_3repE0EEENS1_30default_config_static_selectorELNS0_4arch9wavefront6targetE0EEEvT1_
	.p2align	8
	.type	_ZN7rocprim17ROCPRIM_400000_NS6detail17trampoline_kernelINS0_14default_configENS1_25partition_config_selectorILNS1_17partition_subalgoE6EfNS0_10empty_typeEbEEZZNS1_14partition_implILS5_6ELb0ES3_mN6thrust23THRUST_200600_302600_NS6detail15normal_iteratorINSA_10device_ptrIfEEEEPS6_SG_NS0_5tupleIJSF_S6_EEENSH_IJSG_SG_EEES6_PlJNSB_9not_fun_tINSB_14equal_to_valueIfEEEEEEE10hipError_tPvRmT3_T4_T5_T6_T7_T9_mT8_P12ihipStream_tbDpT10_ENKUlT_T0_E_clISt17integral_constantIbLb1EES18_EEDaS13_S14_EUlS13_E_NS1_11comp_targetILNS1_3genE8ELNS1_11target_archE1030ELNS1_3gpuE2ELNS1_3repE0EEENS1_30default_config_static_selectorELNS0_4arch9wavefront6targetE0EEEvT1_,@function
_ZN7rocprim17ROCPRIM_400000_NS6detail17trampoline_kernelINS0_14default_configENS1_25partition_config_selectorILNS1_17partition_subalgoE6EfNS0_10empty_typeEbEEZZNS1_14partition_implILS5_6ELb0ES3_mN6thrust23THRUST_200600_302600_NS6detail15normal_iteratorINSA_10device_ptrIfEEEEPS6_SG_NS0_5tupleIJSF_S6_EEENSH_IJSG_SG_EEES6_PlJNSB_9not_fun_tINSB_14equal_to_valueIfEEEEEEE10hipError_tPvRmT3_T4_T5_T6_T7_T9_mT8_P12ihipStream_tbDpT10_ENKUlT_T0_E_clISt17integral_constantIbLb1EES18_EEDaS13_S14_EUlS13_E_NS1_11comp_targetILNS1_3genE8ELNS1_11target_archE1030ELNS1_3gpuE2ELNS1_3repE0EEENS1_30default_config_static_selectorELNS0_4arch9wavefront6targetE0EEEvT1_: ; @_ZN7rocprim17ROCPRIM_400000_NS6detail17trampoline_kernelINS0_14default_configENS1_25partition_config_selectorILNS1_17partition_subalgoE6EfNS0_10empty_typeEbEEZZNS1_14partition_implILS5_6ELb0ES3_mN6thrust23THRUST_200600_302600_NS6detail15normal_iteratorINSA_10device_ptrIfEEEEPS6_SG_NS0_5tupleIJSF_S6_EEENSH_IJSG_SG_EEES6_PlJNSB_9not_fun_tINSB_14equal_to_valueIfEEEEEEE10hipError_tPvRmT3_T4_T5_T6_T7_T9_mT8_P12ihipStream_tbDpT10_ENKUlT_T0_E_clISt17integral_constantIbLb1EES18_EEDaS13_S14_EUlS13_E_NS1_11comp_targetILNS1_3genE8ELNS1_11target_archE1030ELNS1_3gpuE2ELNS1_3repE0EEENS1_30default_config_static_selectorELNS0_4arch9wavefront6targetE0EEEvT1_
; %bb.0:
	.section	.rodata,"a",@progbits
	.p2align	6, 0x0
	.amdhsa_kernel _ZN7rocprim17ROCPRIM_400000_NS6detail17trampoline_kernelINS0_14default_configENS1_25partition_config_selectorILNS1_17partition_subalgoE6EfNS0_10empty_typeEbEEZZNS1_14partition_implILS5_6ELb0ES3_mN6thrust23THRUST_200600_302600_NS6detail15normal_iteratorINSA_10device_ptrIfEEEEPS6_SG_NS0_5tupleIJSF_S6_EEENSH_IJSG_SG_EEES6_PlJNSB_9not_fun_tINSB_14equal_to_valueIfEEEEEEE10hipError_tPvRmT3_T4_T5_T6_T7_T9_mT8_P12ihipStream_tbDpT10_ENKUlT_T0_E_clISt17integral_constantIbLb1EES18_EEDaS13_S14_EUlS13_E_NS1_11comp_targetILNS1_3genE8ELNS1_11target_archE1030ELNS1_3gpuE2ELNS1_3repE0EEENS1_30default_config_static_selectorELNS0_4arch9wavefront6targetE0EEEvT1_
		.amdhsa_group_segment_fixed_size 0
		.amdhsa_private_segment_fixed_size 0
		.amdhsa_kernarg_size 128
		.amdhsa_user_sgpr_count 2
		.amdhsa_user_sgpr_dispatch_ptr 0
		.amdhsa_user_sgpr_queue_ptr 0
		.amdhsa_user_sgpr_kernarg_segment_ptr 1
		.amdhsa_user_sgpr_dispatch_id 0
		.amdhsa_user_sgpr_private_segment_size 0
		.amdhsa_wavefront_size32 1
		.amdhsa_uses_dynamic_stack 0
		.amdhsa_enable_private_segment 0
		.amdhsa_system_sgpr_workgroup_id_x 1
		.amdhsa_system_sgpr_workgroup_id_y 0
		.amdhsa_system_sgpr_workgroup_id_z 0
		.amdhsa_system_sgpr_workgroup_info 0
		.amdhsa_system_vgpr_workitem_id 0
		.amdhsa_next_free_vgpr 1
		.amdhsa_next_free_sgpr 1
		.amdhsa_reserve_vcc 0
		.amdhsa_float_round_mode_32 0
		.amdhsa_float_round_mode_16_64 0
		.amdhsa_float_denorm_mode_32 3
		.amdhsa_float_denorm_mode_16_64 3
		.amdhsa_fp16_overflow 0
		.amdhsa_workgroup_processor_mode 1
		.amdhsa_memory_ordered 1
		.amdhsa_forward_progress 1
		.amdhsa_inst_pref_size 0
		.amdhsa_round_robin_scheduling 0
		.amdhsa_exception_fp_ieee_invalid_op 0
		.amdhsa_exception_fp_denorm_src 0
		.amdhsa_exception_fp_ieee_div_zero 0
		.amdhsa_exception_fp_ieee_overflow 0
		.amdhsa_exception_fp_ieee_underflow 0
		.amdhsa_exception_fp_ieee_inexact 0
		.amdhsa_exception_int_div_zero 0
	.end_amdhsa_kernel
	.section	.text._ZN7rocprim17ROCPRIM_400000_NS6detail17trampoline_kernelINS0_14default_configENS1_25partition_config_selectorILNS1_17partition_subalgoE6EfNS0_10empty_typeEbEEZZNS1_14partition_implILS5_6ELb0ES3_mN6thrust23THRUST_200600_302600_NS6detail15normal_iteratorINSA_10device_ptrIfEEEEPS6_SG_NS0_5tupleIJSF_S6_EEENSH_IJSG_SG_EEES6_PlJNSB_9not_fun_tINSB_14equal_to_valueIfEEEEEEE10hipError_tPvRmT3_T4_T5_T6_T7_T9_mT8_P12ihipStream_tbDpT10_ENKUlT_T0_E_clISt17integral_constantIbLb1EES18_EEDaS13_S14_EUlS13_E_NS1_11comp_targetILNS1_3genE8ELNS1_11target_archE1030ELNS1_3gpuE2ELNS1_3repE0EEENS1_30default_config_static_selectorELNS0_4arch9wavefront6targetE0EEEvT1_,"axG",@progbits,_ZN7rocprim17ROCPRIM_400000_NS6detail17trampoline_kernelINS0_14default_configENS1_25partition_config_selectorILNS1_17partition_subalgoE6EfNS0_10empty_typeEbEEZZNS1_14partition_implILS5_6ELb0ES3_mN6thrust23THRUST_200600_302600_NS6detail15normal_iteratorINSA_10device_ptrIfEEEEPS6_SG_NS0_5tupleIJSF_S6_EEENSH_IJSG_SG_EEES6_PlJNSB_9not_fun_tINSB_14equal_to_valueIfEEEEEEE10hipError_tPvRmT3_T4_T5_T6_T7_T9_mT8_P12ihipStream_tbDpT10_ENKUlT_T0_E_clISt17integral_constantIbLb1EES18_EEDaS13_S14_EUlS13_E_NS1_11comp_targetILNS1_3genE8ELNS1_11target_archE1030ELNS1_3gpuE2ELNS1_3repE0EEENS1_30default_config_static_selectorELNS0_4arch9wavefront6targetE0EEEvT1_,comdat
.Lfunc_end324:
	.size	_ZN7rocprim17ROCPRIM_400000_NS6detail17trampoline_kernelINS0_14default_configENS1_25partition_config_selectorILNS1_17partition_subalgoE6EfNS0_10empty_typeEbEEZZNS1_14partition_implILS5_6ELb0ES3_mN6thrust23THRUST_200600_302600_NS6detail15normal_iteratorINSA_10device_ptrIfEEEEPS6_SG_NS0_5tupleIJSF_S6_EEENSH_IJSG_SG_EEES6_PlJNSB_9not_fun_tINSB_14equal_to_valueIfEEEEEEE10hipError_tPvRmT3_T4_T5_T6_T7_T9_mT8_P12ihipStream_tbDpT10_ENKUlT_T0_E_clISt17integral_constantIbLb1EES18_EEDaS13_S14_EUlS13_E_NS1_11comp_targetILNS1_3genE8ELNS1_11target_archE1030ELNS1_3gpuE2ELNS1_3repE0EEENS1_30default_config_static_selectorELNS0_4arch9wavefront6targetE0EEEvT1_, .Lfunc_end324-_ZN7rocprim17ROCPRIM_400000_NS6detail17trampoline_kernelINS0_14default_configENS1_25partition_config_selectorILNS1_17partition_subalgoE6EfNS0_10empty_typeEbEEZZNS1_14partition_implILS5_6ELb0ES3_mN6thrust23THRUST_200600_302600_NS6detail15normal_iteratorINSA_10device_ptrIfEEEEPS6_SG_NS0_5tupleIJSF_S6_EEENSH_IJSG_SG_EEES6_PlJNSB_9not_fun_tINSB_14equal_to_valueIfEEEEEEE10hipError_tPvRmT3_T4_T5_T6_T7_T9_mT8_P12ihipStream_tbDpT10_ENKUlT_T0_E_clISt17integral_constantIbLb1EES18_EEDaS13_S14_EUlS13_E_NS1_11comp_targetILNS1_3genE8ELNS1_11target_archE1030ELNS1_3gpuE2ELNS1_3repE0EEENS1_30default_config_static_selectorELNS0_4arch9wavefront6targetE0EEEvT1_
                                        ; -- End function
	.set _ZN7rocprim17ROCPRIM_400000_NS6detail17trampoline_kernelINS0_14default_configENS1_25partition_config_selectorILNS1_17partition_subalgoE6EfNS0_10empty_typeEbEEZZNS1_14partition_implILS5_6ELb0ES3_mN6thrust23THRUST_200600_302600_NS6detail15normal_iteratorINSA_10device_ptrIfEEEEPS6_SG_NS0_5tupleIJSF_S6_EEENSH_IJSG_SG_EEES6_PlJNSB_9not_fun_tINSB_14equal_to_valueIfEEEEEEE10hipError_tPvRmT3_T4_T5_T6_T7_T9_mT8_P12ihipStream_tbDpT10_ENKUlT_T0_E_clISt17integral_constantIbLb1EES18_EEDaS13_S14_EUlS13_E_NS1_11comp_targetILNS1_3genE8ELNS1_11target_archE1030ELNS1_3gpuE2ELNS1_3repE0EEENS1_30default_config_static_selectorELNS0_4arch9wavefront6targetE0EEEvT1_.num_vgpr, 0
	.set _ZN7rocprim17ROCPRIM_400000_NS6detail17trampoline_kernelINS0_14default_configENS1_25partition_config_selectorILNS1_17partition_subalgoE6EfNS0_10empty_typeEbEEZZNS1_14partition_implILS5_6ELb0ES3_mN6thrust23THRUST_200600_302600_NS6detail15normal_iteratorINSA_10device_ptrIfEEEEPS6_SG_NS0_5tupleIJSF_S6_EEENSH_IJSG_SG_EEES6_PlJNSB_9not_fun_tINSB_14equal_to_valueIfEEEEEEE10hipError_tPvRmT3_T4_T5_T6_T7_T9_mT8_P12ihipStream_tbDpT10_ENKUlT_T0_E_clISt17integral_constantIbLb1EES18_EEDaS13_S14_EUlS13_E_NS1_11comp_targetILNS1_3genE8ELNS1_11target_archE1030ELNS1_3gpuE2ELNS1_3repE0EEENS1_30default_config_static_selectorELNS0_4arch9wavefront6targetE0EEEvT1_.num_agpr, 0
	.set _ZN7rocprim17ROCPRIM_400000_NS6detail17trampoline_kernelINS0_14default_configENS1_25partition_config_selectorILNS1_17partition_subalgoE6EfNS0_10empty_typeEbEEZZNS1_14partition_implILS5_6ELb0ES3_mN6thrust23THRUST_200600_302600_NS6detail15normal_iteratorINSA_10device_ptrIfEEEEPS6_SG_NS0_5tupleIJSF_S6_EEENSH_IJSG_SG_EEES6_PlJNSB_9not_fun_tINSB_14equal_to_valueIfEEEEEEE10hipError_tPvRmT3_T4_T5_T6_T7_T9_mT8_P12ihipStream_tbDpT10_ENKUlT_T0_E_clISt17integral_constantIbLb1EES18_EEDaS13_S14_EUlS13_E_NS1_11comp_targetILNS1_3genE8ELNS1_11target_archE1030ELNS1_3gpuE2ELNS1_3repE0EEENS1_30default_config_static_selectorELNS0_4arch9wavefront6targetE0EEEvT1_.numbered_sgpr, 0
	.set _ZN7rocprim17ROCPRIM_400000_NS6detail17trampoline_kernelINS0_14default_configENS1_25partition_config_selectorILNS1_17partition_subalgoE6EfNS0_10empty_typeEbEEZZNS1_14partition_implILS5_6ELb0ES3_mN6thrust23THRUST_200600_302600_NS6detail15normal_iteratorINSA_10device_ptrIfEEEEPS6_SG_NS0_5tupleIJSF_S6_EEENSH_IJSG_SG_EEES6_PlJNSB_9not_fun_tINSB_14equal_to_valueIfEEEEEEE10hipError_tPvRmT3_T4_T5_T6_T7_T9_mT8_P12ihipStream_tbDpT10_ENKUlT_T0_E_clISt17integral_constantIbLb1EES18_EEDaS13_S14_EUlS13_E_NS1_11comp_targetILNS1_3genE8ELNS1_11target_archE1030ELNS1_3gpuE2ELNS1_3repE0EEENS1_30default_config_static_selectorELNS0_4arch9wavefront6targetE0EEEvT1_.num_named_barrier, 0
	.set _ZN7rocprim17ROCPRIM_400000_NS6detail17trampoline_kernelINS0_14default_configENS1_25partition_config_selectorILNS1_17partition_subalgoE6EfNS0_10empty_typeEbEEZZNS1_14partition_implILS5_6ELb0ES3_mN6thrust23THRUST_200600_302600_NS6detail15normal_iteratorINSA_10device_ptrIfEEEEPS6_SG_NS0_5tupleIJSF_S6_EEENSH_IJSG_SG_EEES6_PlJNSB_9not_fun_tINSB_14equal_to_valueIfEEEEEEE10hipError_tPvRmT3_T4_T5_T6_T7_T9_mT8_P12ihipStream_tbDpT10_ENKUlT_T0_E_clISt17integral_constantIbLb1EES18_EEDaS13_S14_EUlS13_E_NS1_11comp_targetILNS1_3genE8ELNS1_11target_archE1030ELNS1_3gpuE2ELNS1_3repE0EEENS1_30default_config_static_selectorELNS0_4arch9wavefront6targetE0EEEvT1_.private_seg_size, 0
	.set _ZN7rocprim17ROCPRIM_400000_NS6detail17trampoline_kernelINS0_14default_configENS1_25partition_config_selectorILNS1_17partition_subalgoE6EfNS0_10empty_typeEbEEZZNS1_14partition_implILS5_6ELb0ES3_mN6thrust23THRUST_200600_302600_NS6detail15normal_iteratorINSA_10device_ptrIfEEEEPS6_SG_NS0_5tupleIJSF_S6_EEENSH_IJSG_SG_EEES6_PlJNSB_9not_fun_tINSB_14equal_to_valueIfEEEEEEE10hipError_tPvRmT3_T4_T5_T6_T7_T9_mT8_P12ihipStream_tbDpT10_ENKUlT_T0_E_clISt17integral_constantIbLb1EES18_EEDaS13_S14_EUlS13_E_NS1_11comp_targetILNS1_3genE8ELNS1_11target_archE1030ELNS1_3gpuE2ELNS1_3repE0EEENS1_30default_config_static_selectorELNS0_4arch9wavefront6targetE0EEEvT1_.uses_vcc, 0
	.set _ZN7rocprim17ROCPRIM_400000_NS6detail17trampoline_kernelINS0_14default_configENS1_25partition_config_selectorILNS1_17partition_subalgoE6EfNS0_10empty_typeEbEEZZNS1_14partition_implILS5_6ELb0ES3_mN6thrust23THRUST_200600_302600_NS6detail15normal_iteratorINSA_10device_ptrIfEEEEPS6_SG_NS0_5tupleIJSF_S6_EEENSH_IJSG_SG_EEES6_PlJNSB_9not_fun_tINSB_14equal_to_valueIfEEEEEEE10hipError_tPvRmT3_T4_T5_T6_T7_T9_mT8_P12ihipStream_tbDpT10_ENKUlT_T0_E_clISt17integral_constantIbLb1EES18_EEDaS13_S14_EUlS13_E_NS1_11comp_targetILNS1_3genE8ELNS1_11target_archE1030ELNS1_3gpuE2ELNS1_3repE0EEENS1_30default_config_static_selectorELNS0_4arch9wavefront6targetE0EEEvT1_.uses_flat_scratch, 0
	.set _ZN7rocprim17ROCPRIM_400000_NS6detail17trampoline_kernelINS0_14default_configENS1_25partition_config_selectorILNS1_17partition_subalgoE6EfNS0_10empty_typeEbEEZZNS1_14partition_implILS5_6ELb0ES3_mN6thrust23THRUST_200600_302600_NS6detail15normal_iteratorINSA_10device_ptrIfEEEEPS6_SG_NS0_5tupleIJSF_S6_EEENSH_IJSG_SG_EEES6_PlJNSB_9not_fun_tINSB_14equal_to_valueIfEEEEEEE10hipError_tPvRmT3_T4_T5_T6_T7_T9_mT8_P12ihipStream_tbDpT10_ENKUlT_T0_E_clISt17integral_constantIbLb1EES18_EEDaS13_S14_EUlS13_E_NS1_11comp_targetILNS1_3genE8ELNS1_11target_archE1030ELNS1_3gpuE2ELNS1_3repE0EEENS1_30default_config_static_selectorELNS0_4arch9wavefront6targetE0EEEvT1_.has_dyn_sized_stack, 0
	.set _ZN7rocprim17ROCPRIM_400000_NS6detail17trampoline_kernelINS0_14default_configENS1_25partition_config_selectorILNS1_17partition_subalgoE6EfNS0_10empty_typeEbEEZZNS1_14partition_implILS5_6ELb0ES3_mN6thrust23THRUST_200600_302600_NS6detail15normal_iteratorINSA_10device_ptrIfEEEEPS6_SG_NS0_5tupleIJSF_S6_EEENSH_IJSG_SG_EEES6_PlJNSB_9not_fun_tINSB_14equal_to_valueIfEEEEEEE10hipError_tPvRmT3_T4_T5_T6_T7_T9_mT8_P12ihipStream_tbDpT10_ENKUlT_T0_E_clISt17integral_constantIbLb1EES18_EEDaS13_S14_EUlS13_E_NS1_11comp_targetILNS1_3genE8ELNS1_11target_archE1030ELNS1_3gpuE2ELNS1_3repE0EEENS1_30default_config_static_selectorELNS0_4arch9wavefront6targetE0EEEvT1_.has_recursion, 0
	.set _ZN7rocprim17ROCPRIM_400000_NS6detail17trampoline_kernelINS0_14default_configENS1_25partition_config_selectorILNS1_17partition_subalgoE6EfNS0_10empty_typeEbEEZZNS1_14partition_implILS5_6ELb0ES3_mN6thrust23THRUST_200600_302600_NS6detail15normal_iteratorINSA_10device_ptrIfEEEEPS6_SG_NS0_5tupleIJSF_S6_EEENSH_IJSG_SG_EEES6_PlJNSB_9not_fun_tINSB_14equal_to_valueIfEEEEEEE10hipError_tPvRmT3_T4_T5_T6_T7_T9_mT8_P12ihipStream_tbDpT10_ENKUlT_T0_E_clISt17integral_constantIbLb1EES18_EEDaS13_S14_EUlS13_E_NS1_11comp_targetILNS1_3genE8ELNS1_11target_archE1030ELNS1_3gpuE2ELNS1_3repE0EEENS1_30default_config_static_selectorELNS0_4arch9wavefront6targetE0EEEvT1_.has_indirect_call, 0
	.section	.AMDGPU.csdata,"",@progbits
; Kernel info:
; codeLenInByte = 0
; TotalNumSgprs: 0
; NumVgprs: 0
; ScratchSize: 0
; MemoryBound: 0
; FloatMode: 240
; IeeeMode: 1
; LDSByteSize: 0 bytes/workgroup (compile time only)
; SGPRBlocks: 0
; VGPRBlocks: 0
; NumSGPRsForWavesPerEU: 1
; NumVGPRsForWavesPerEU: 1
; Occupancy: 16
; WaveLimiterHint : 0
; COMPUTE_PGM_RSRC2:SCRATCH_EN: 0
; COMPUTE_PGM_RSRC2:USER_SGPR: 2
; COMPUTE_PGM_RSRC2:TRAP_HANDLER: 0
; COMPUTE_PGM_RSRC2:TGID_X_EN: 1
; COMPUTE_PGM_RSRC2:TGID_Y_EN: 0
; COMPUTE_PGM_RSRC2:TGID_Z_EN: 0
; COMPUTE_PGM_RSRC2:TIDIG_COMP_CNT: 0
	.section	.text._ZN7rocprim17ROCPRIM_400000_NS6detail17trampoline_kernelINS0_14default_configENS1_25partition_config_selectorILNS1_17partition_subalgoE6EfNS0_10empty_typeEbEEZZNS1_14partition_implILS5_6ELb0ES3_mN6thrust23THRUST_200600_302600_NS6detail15normal_iteratorINSA_10device_ptrIfEEEEPS6_SG_NS0_5tupleIJSF_S6_EEENSH_IJSG_SG_EEES6_PlJNSB_9not_fun_tINSB_14equal_to_valueIfEEEEEEE10hipError_tPvRmT3_T4_T5_T6_T7_T9_mT8_P12ihipStream_tbDpT10_ENKUlT_T0_E_clISt17integral_constantIbLb1EES17_IbLb0EEEEDaS13_S14_EUlS13_E_NS1_11comp_targetILNS1_3genE0ELNS1_11target_archE4294967295ELNS1_3gpuE0ELNS1_3repE0EEENS1_30default_config_static_selectorELNS0_4arch9wavefront6targetE0EEEvT1_,"axG",@progbits,_ZN7rocprim17ROCPRIM_400000_NS6detail17trampoline_kernelINS0_14default_configENS1_25partition_config_selectorILNS1_17partition_subalgoE6EfNS0_10empty_typeEbEEZZNS1_14partition_implILS5_6ELb0ES3_mN6thrust23THRUST_200600_302600_NS6detail15normal_iteratorINSA_10device_ptrIfEEEEPS6_SG_NS0_5tupleIJSF_S6_EEENSH_IJSG_SG_EEES6_PlJNSB_9not_fun_tINSB_14equal_to_valueIfEEEEEEE10hipError_tPvRmT3_T4_T5_T6_T7_T9_mT8_P12ihipStream_tbDpT10_ENKUlT_T0_E_clISt17integral_constantIbLb1EES17_IbLb0EEEEDaS13_S14_EUlS13_E_NS1_11comp_targetILNS1_3genE0ELNS1_11target_archE4294967295ELNS1_3gpuE0ELNS1_3repE0EEENS1_30default_config_static_selectorELNS0_4arch9wavefront6targetE0EEEvT1_,comdat
	.protected	_ZN7rocprim17ROCPRIM_400000_NS6detail17trampoline_kernelINS0_14default_configENS1_25partition_config_selectorILNS1_17partition_subalgoE6EfNS0_10empty_typeEbEEZZNS1_14partition_implILS5_6ELb0ES3_mN6thrust23THRUST_200600_302600_NS6detail15normal_iteratorINSA_10device_ptrIfEEEEPS6_SG_NS0_5tupleIJSF_S6_EEENSH_IJSG_SG_EEES6_PlJNSB_9not_fun_tINSB_14equal_to_valueIfEEEEEEE10hipError_tPvRmT3_T4_T5_T6_T7_T9_mT8_P12ihipStream_tbDpT10_ENKUlT_T0_E_clISt17integral_constantIbLb1EES17_IbLb0EEEEDaS13_S14_EUlS13_E_NS1_11comp_targetILNS1_3genE0ELNS1_11target_archE4294967295ELNS1_3gpuE0ELNS1_3repE0EEENS1_30default_config_static_selectorELNS0_4arch9wavefront6targetE0EEEvT1_ ; -- Begin function _ZN7rocprim17ROCPRIM_400000_NS6detail17trampoline_kernelINS0_14default_configENS1_25partition_config_selectorILNS1_17partition_subalgoE6EfNS0_10empty_typeEbEEZZNS1_14partition_implILS5_6ELb0ES3_mN6thrust23THRUST_200600_302600_NS6detail15normal_iteratorINSA_10device_ptrIfEEEEPS6_SG_NS0_5tupleIJSF_S6_EEENSH_IJSG_SG_EEES6_PlJNSB_9not_fun_tINSB_14equal_to_valueIfEEEEEEE10hipError_tPvRmT3_T4_T5_T6_T7_T9_mT8_P12ihipStream_tbDpT10_ENKUlT_T0_E_clISt17integral_constantIbLb1EES17_IbLb0EEEEDaS13_S14_EUlS13_E_NS1_11comp_targetILNS1_3genE0ELNS1_11target_archE4294967295ELNS1_3gpuE0ELNS1_3repE0EEENS1_30default_config_static_selectorELNS0_4arch9wavefront6targetE0EEEvT1_
	.globl	_ZN7rocprim17ROCPRIM_400000_NS6detail17trampoline_kernelINS0_14default_configENS1_25partition_config_selectorILNS1_17partition_subalgoE6EfNS0_10empty_typeEbEEZZNS1_14partition_implILS5_6ELb0ES3_mN6thrust23THRUST_200600_302600_NS6detail15normal_iteratorINSA_10device_ptrIfEEEEPS6_SG_NS0_5tupleIJSF_S6_EEENSH_IJSG_SG_EEES6_PlJNSB_9not_fun_tINSB_14equal_to_valueIfEEEEEEE10hipError_tPvRmT3_T4_T5_T6_T7_T9_mT8_P12ihipStream_tbDpT10_ENKUlT_T0_E_clISt17integral_constantIbLb1EES17_IbLb0EEEEDaS13_S14_EUlS13_E_NS1_11comp_targetILNS1_3genE0ELNS1_11target_archE4294967295ELNS1_3gpuE0ELNS1_3repE0EEENS1_30default_config_static_selectorELNS0_4arch9wavefront6targetE0EEEvT1_
	.p2align	8
	.type	_ZN7rocprim17ROCPRIM_400000_NS6detail17trampoline_kernelINS0_14default_configENS1_25partition_config_selectorILNS1_17partition_subalgoE6EfNS0_10empty_typeEbEEZZNS1_14partition_implILS5_6ELb0ES3_mN6thrust23THRUST_200600_302600_NS6detail15normal_iteratorINSA_10device_ptrIfEEEEPS6_SG_NS0_5tupleIJSF_S6_EEENSH_IJSG_SG_EEES6_PlJNSB_9not_fun_tINSB_14equal_to_valueIfEEEEEEE10hipError_tPvRmT3_T4_T5_T6_T7_T9_mT8_P12ihipStream_tbDpT10_ENKUlT_T0_E_clISt17integral_constantIbLb1EES17_IbLb0EEEEDaS13_S14_EUlS13_E_NS1_11comp_targetILNS1_3genE0ELNS1_11target_archE4294967295ELNS1_3gpuE0ELNS1_3repE0EEENS1_30default_config_static_selectorELNS0_4arch9wavefront6targetE0EEEvT1_,@function
_ZN7rocprim17ROCPRIM_400000_NS6detail17trampoline_kernelINS0_14default_configENS1_25partition_config_selectorILNS1_17partition_subalgoE6EfNS0_10empty_typeEbEEZZNS1_14partition_implILS5_6ELb0ES3_mN6thrust23THRUST_200600_302600_NS6detail15normal_iteratorINSA_10device_ptrIfEEEEPS6_SG_NS0_5tupleIJSF_S6_EEENSH_IJSG_SG_EEES6_PlJNSB_9not_fun_tINSB_14equal_to_valueIfEEEEEEE10hipError_tPvRmT3_T4_T5_T6_T7_T9_mT8_P12ihipStream_tbDpT10_ENKUlT_T0_E_clISt17integral_constantIbLb1EES17_IbLb0EEEEDaS13_S14_EUlS13_E_NS1_11comp_targetILNS1_3genE0ELNS1_11target_archE4294967295ELNS1_3gpuE0ELNS1_3repE0EEENS1_30default_config_static_selectorELNS0_4arch9wavefront6targetE0EEEvT1_: ; @_ZN7rocprim17ROCPRIM_400000_NS6detail17trampoline_kernelINS0_14default_configENS1_25partition_config_selectorILNS1_17partition_subalgoE6EfNS0_10empty_typeEbEEZZNS1_14partition_implILS5_6ELb0ES3_mN6thrust23THRUST_200600_302600_NS6detail15normal_iteratorINSA_10device_ptrIfEEEEPS6_SG_NS0_5tupleIJSF_S6_EEENSH_IJSG_SG_EEES6_PlJNSB_9not_fun_tINSB_14equal_to_valueIfEEEEEEE10hipError_tPvRmT3_T4_T5_T6_T7_T9_mT8_P12ihipStream_tbDpT10_ENKUlT_T0_E_clISt17integral_constantIbLb1EES17_IbLb0EEEEDaS13_S14_EUlS13_E_NS1_11comp_targetILNS1_3genE0ELNS1_11target_archE4294967295ELNS1_3gpuE0ELNS1_3repE0EEENS1_30default_config_static_selectorELNS0_4arch9wavefront6targetE0EEEvT1_
; %bb.0:
	.section	.rodata,"a",@progbits
	.p2align	6, 0x0
	.amdhsa_kernel _ZN7rocprim17ROCPRIM_400000_NS6detail17trampoline_kernelINS0_14default_configENS1_25partition_config_selectorILNS1_17partition_subalgoE6EfNS0_10empty_typeEbEEZZNS1_14partition_implILS5_6ELb0ES3_mN6thrust23THRUST_200600_302600_NS6detail15normal_iteratorINSA_10device_ptrIfEEEEPS6_SG_NS0_5tupleIJSF_S6_EEENSH_IJSG_SG_EEES6_PlJNSB_9not_fun_tINSB_14equal_to_valueIfEEEEEEE10hipError_tPvRmT3_T4_T5_T6_T7_T9_mT8_P12ihipStream_tbDpT10_ENKUlT_T0_E_clISt17integral_constantIbLb1EES17_IbLb0EEEEDaS13_S14_EUlS13_E_NS1_11comp_targetILNS1_3genE0ELNS1_11target_archE4294967295ELNS1_3gpuE0ELNS1_3repE0EEENS1_30default_config_static_selectorELNS0_4arch9wavefront6targetE0EEEvT1_
		.amdhsa_group_segment_fixed_size 0
		.amdhsa_private_segment_fixed_size 0
		.amdhsa_kernarg_size 120
		.amdhsa_user_sgpr_count 2
		.amdhsa_user_sgpr_dispatch_ptr 0
		.amdhsa_user_sgpr_queue_ptr 0
		.amdhsa_user_sgpr_kernarg_segment_ptr 1
		.amdhsa_user_sgpr_dispatch_id 0
		.amdhsa_user_sgpr_private_segment_size 0
		.amdhsa_wavefront_size32 1
		.amdhsa_uses_dynamic_stack 0
		.amdhsa_enable_private_segment 0
		.amdhsa_system_sgpr_workgroup_id_x 1
		.amdhsa_system_sgpr_workgroup_id_y 0
		.amdhsa_system_sgpr_workgroup_id_z 0
		.amdhsa_system_sgpr_workgroup_info 0
		.amdhsa_system_vgpr_workitem_id 0
		.amdhsa_next_free_vgpr 1
		.amdhsa_next_free_sgpr 1
		.amdhsa_reserve_vcc 0
		.amdhsa_float_round_mode_32 0
		.amdhsa_float_round_mode_16_64 0
		.amdhsa_float_denorm_mode_32 3
		.amdhsa_float_denorm_mode_16_64 3
		.amdhsa_fp16_overflow 0
		.amdhsa_workgroup_processor_mode 1
		.amdhsa_memory_ordered 1
		.amdhsa_forward_progress 1
		.amdhsa_inst_pref_size 0
		.amdhsa_round_robin_scheduling 0
		.amdhsa_exception_fp_ieee_invalid_op 0
		.amdhsa_exception_fp_denorm_src 0
		.amdhsa_exception_fp_ieee_div_zero 0
		.amdhsa_exception_fp_ieee_overflow 0
		.amdhsa_exception_fp_ieee_underflow 0
		.amdhsa_exception_fp_ieee_inexact 0
		.amdhsa_exception_int_div_zero 0
	.end_amdhsa_kernel
	.section	.text._ZN7rocprim17ROCPRIM_400000_NS6detail17trampoline_kernelINS0_14default_configENS1_25partition_config_selectorILNS1_17partition_subalgoE6EfNS0_10empty_typeEbEEZZNS1_14partition_implILS5_6ELb0ES3_mN6thrust23THRUST_200600_302600_NS6detail15normal_iteratorINSA_10device_ptrIfEEEEPS6_SG_NS0_5tupleIJSF_S6_EEENSH_IJSG_SG_EEES6_PlJNSB_9not_fun_tINSB_14equal_to_valueIfEEEEEEE10hipError_tPvRmT3_T4_T5_T6_T7_T9_mT8_P12ihipStream_tbDpT10_ENKUlT_T0_E_clISt17integral_constantIbLb1EES17_IbLb0EEEEDaS13_S14_EUlS13_E_NS1_11comp_targetILNS1_3genE0ELNS1_11target_archE4294967295ELNS1_3gpuE0ELNS1_3repE0EEENS1_30default_config_static_selectorELNS0_4arch9wavefront6targetE0EEEvT1_,"axG",@progbits,_ZN7rocprim17ROCPRIM_400000_NS6detail17trampoline_kernelINS0_14default_configENS1_25partition_config_selectorILNS1_17partition_subalgoE6EfNS0_10empty_typeEbEEZZNS1_14partition_implILS5_6ELb0ES3_mN6thrust23THRUST_200600_302600_NS6detail15normal_iteratorINSA_10device_ptrIfEEEEPS6_SG_NS0_5tupleIJSF_S6_EEENSH_IJSG_SG_EEES6_PlJNSB_9not_fun_tINSB_14equal_to_valueIfEEEEEEE10hipError_tPvRmT3_T4_T5_T6_T7_T9_mT8_P12ihipStream_tbDpT10_ENKUlT_T0_E_clISt17integral_constantIbLb1EES17_IbLb0EEEEDaS13_S14_EUlS13_E_NS1_11comp_targetILNS1_3genE0ELNS1_11target_archE4294967295ELNS1_3gpuE0ELNS1_3repE0EEENS1_30default_config_static_selectorELNS0_4arch9wavefront6targetE0EEEvT1_,comdat
.Lfunc_end325:
	.size	_ZN7rocprim17ROCPRIM_400000_NS6detail17trampoline_kernelINS0_14default_configENS1_25partition_config_selectorILNS1_17partition_subalgoE6EfNS0_10empty_typeEbEEZZNS1_14partition_implILS5_6ELb0ES3_mN6thrust23THRUST_200600_302600_NS6detail15normal_iteratorINSA_10device_ptrIfEEEEPS6_SG_NS0_5tupleIJSF_S6_EEENSH_IJSG_SG_EEES6_PlJNSB_9not_fun_tINSB_14equal_to_valueIfEEEEEEE10hipError_tPvRmT3_T4_T5_T6_T7_T9_mT8_P12ihipStream_tbDpT10_ENKUlT_T0_E_clISt17integral_constantIbLb1EES17_IbLb0EEEEDaS13_S14_EUlS13_E_NS1_11comp_targetILNS1_3genE0ELNS1_11target_archE4294967295ELNS1_3gpuE0ELNS1_3repE0EEENS1_30default_config_static_selectorELNS0_4arch9wavefront6targetE0EEEvT1_, .Lfunc_end325-_ZN7rocprim17ROCPRIM_400000_NS6detail17trampoline_kernelINS0_14default_configENS1_25partition_config_selectorILNS1_17partition_subalgoE6EfNS0_10empty_typeEbEEZZNS1_14partition_implILS5_6ELb0ES3_mN6thrust23THRUST_200600_302600_NS6detail15normal_iteratorINSA_10device_ptrIfEEEEPS6_SG_NS0_5tupleIJSF_S6_EEENSH_IJSG_SG_EEES6_PlJNSB_9not_fun_tINSB_14equal_to_valueIfEEEEEEE10hipError_tPvRmT3_T4_T5_T6_T7_T9_mT8_P12ihipStream_tbDpT10_ENKUlT_T0_E_clISt17integral_constantIbLb1EES17_IbLb0EEEEDaS13_S14_EUlS13_E_NS1_11comp_targetILNS1_3genE0ELNS1_11target_archE4294967295ELNS1_3gpuE0ELNS1_3repE0EEENS1_30default_config_static_selectorELNS0_4arch9wavefront6targetE0EEEvT1_
                                        ; -- End function
	.set _ZN7rocprim17ROCPRIM_400000_NS6detail17trampoline_kernelINS0_14default_configENS1_25partition_config_selectorILNS1_17partition_subalgoE6EfNS0_10empty_typeEbEEZZNS1_14partition_implILS5_6ELb0ES3_mN6thrust23THRUST_200600_302600_NS6detail15normal_iteratorINSA_10device_ptrIfEEEEPS6_SG_NS0_5tupleIJSF_S6_EEENSH_IJSG_SG_EEES6_PlJNSB_9not_fun_tINSB_14equal_to_valueIfEEEEEEE10hipError_tPvRmT3_T4_T5_T6_T7_T9_mT8_P12ihipStream_tbDpT10_ENKUlT_T0_E_clISt17integral_constantIbLb1EES17_IbLb0EEEEDaS13_S14_EUlS13_E_NS1_11comp_targetILNS1_3genE0ELNS1_11target_archE4294967295ELNS1_3gpuE0ELNS1_3repE0EEENS1_30default_config_static_selectorELNS0_4arch9wavefront6targetE0EEEvT1_.num_vgpr, 0
	.set _ZN7rocprim17ROCPRIM_400000_NS6detail17trampoline_kernelINS0_14default_configENS1_25partition_config_selectorILNS1_17partition_subalgoE6EfNS0_10empty_typeEbEEZZNS1_14partition_implILS5_6ELb0ES3_mN6thrust23THRUST_200600_302600_NS6detail15normal_iteratorINSA_10device_ptrIfEEEEPS6_SG_NS0_5tupleIJSF_S6_EEENSH_IJSG_SG_EEES6_PlJNSB_9not_fun_tINSB_14equal_to_valueIfEEEEEEE10hipError_tPvRmT3_T4_T5_T6_T7_T9_mT8_P12ihipStream_tbDpT10_ENKUlT_T0_E_clISt17integral_constantIbLb1EES17_IbLb0EEEEDaS13_S14_EUlS13_E_NS1_11comp_targetILNS1_3genE0ELNS1_11target_archE4294967295ELNS1_3gpuE0ELNS1_3repE0EEENS1_30default_config_static_selectorELNS0_4arch9wavefront6targetE0EEEvT1_.num_agpr, 0
	.set _ZN7rocprim17ROCPRIM_400000_NS6detail17trampoline_kernelINS0_14default_configENS1_25partition_config_selectorILNS1_17partition_subalgoE6EfNS0_10empty_typeEbEEZZNS1_14partition_implILS5_6ELb0ES3_mN6thrust23THRUST_200600_302600_NS6detail15normal_iteratorINSA_10device_ptrIfEEEEPS6_SG_NS0_5tupleIJSF_S6_EEENSH_IJSG_SG_EEES6_PlJNSB_9not_fun_tINSB_14equal_to_valueIfEEEEEEE10hipError_tPvRmT3_T4_T5_T6_T7_T9_mT8_P12ihipStream_tbDpT10_ENKUlT_T0_E_clISt17integral_constantIbLb1EES17_IbLb0EEEEDaS13_S14_EUlS13_E_NS1_11comp_targetILNS1_3genE0ELNS1_11target_archE4294967295ELNS1_3gpuE0ELNS1_3repE0EEENS1_30default_config_static_selectorELNS0_4arch9wavefront6targetE0EEEvT1_.numbered_sgpr, 0
	.set _ZN7rocprim17ROCPRIM_400000_NS6detail17trampoline_kernelINS0_14default_configENS1_25partition_config_selectorILNS1_17partition_subalgoE6EfNS0_10empty_typeEbEEZZNS1_14partition_implILS5_6ELb0ES3_mN6thrust23THRUST_200600_302600_NS6detail15normal_iteratorINSA_10device_ptrIfEEEEPS6_SG_NS0_5tupleIJSF_S6_EEENSH_IJSG_SG_EEES6_PlJNSB_9not_fun_tINSB_14equal_to_valueIfEEEEEEE10hipError_tPvRmT3_T4_T5_T6_T7_T9_mT8_P12ihipStream_tbDpT10_ENKUlT_T0_E_clISt17integral_constantIbLb1EES17_IbLb0EEEEDaS13_S14_EUlS13_E_NS1_11comp_targetILNS1_3genE0ELNS1_11target_archE4294967295ELNS1_3gpuE0ELNS1_3repE0EEENS1_30default_config_static_selectorELNS0_4arch9wavefront6targetE0EEEvT1_.num_named_barrier, 0
	.set _ZN7rocprim17ROCPRIM_400000_NS6detail17trampoline_kernelINS0_14default_configENS1_25partition_config_selectorILNS1_17partition_subalgoE6EfNS0_10empty_typeEbEEZZNS1_14partition_implILS5_6ELb0ES3_mN6thrust23THRUST_200600_302600_NS6detail15normal_iteratorINSA_10device_ptrIfEEEEPS6_SG_NS0_5tupleIJSF_S6_EEENSH_IJSG_SG_EEES6_PlJNSB_9not_fun_tINSB_14equal_to_valueIfEEEEEEE10hipError_tPvRmT3_T4_T5_T6_T7_T9_mT8_P12ihipStream_tbDpT10_ENKUlT_T0_E_clISt17integral_constantIbLb1EES17_IbLb0EEEEDaS13_S14_EUlS13_E_NS1_11comp_targetILNS1_3genE0ELNS1_11target_archE4294967295ELNS1_3gpuE0ELNS1_3repE0EEENS1_30default_config_static_selectorELNS0_4arch9wavefront6targetE0EEEvT1_.private_seg_size, 0
	.set _ZN7rocprim17ROCPRIM_400000_NS6detail17trampoline_kernelINS0_14default_configENS1_25partition_config_selectorILNS1_17partition_subalgoE6EfNS0_10empty_typeEbEEZZNS1_14partition_implILS5_6ELb0ES3_mN6thrust23THRUST_200600_302600_NS6detail15normal_iteratorINSA_10device_ptrIfEEEEPS6_SG_NS0_5tupleIJSF_S6_EEENSH_IJSG_SG_EEES6_PlJNSB_9not_fun_tINSB_14equal_to_valueIfEEEEEEE10hipError_tPvRmT3_T4_T5_T6_T7_T9_mT8_P12ihipStream_tbDpT10_ENKUlT_T0_E_clISt17integral_constantIbLb1EES17_IbLb0EEEEDaS13_S14_EUlS13_E_NS1_11comp_targetILNS1_3genE0ELNS1_11target_archE4294967295ELNS1_3gpuE0ELNS1_3repE0EEENS1_30default_config_static_selectorELNS0_4arch9wavefront6targetE0EEEvT1_.uses_vcc, 0
	.set _ZN7rocprim17ROCPRIM_400000_NS6detail17trampoline_kernelINS0_14default_configENS1_25partition_config_selectorILNS1_17partition_subalgoE6EfNS0_10empty_typeEbEEZZNS1_14partition_implILS5_6ELb0ES3_mN6thrust23THRUST_200600_302600_NS6detail15normal_iteratorINSA_10device_ptrIfEEEEPS6_SG_NS0_5tupleIJSF_S6_EEENSH_IJSG_SG_EEES6_PlJNSB_9not_fun_tINSB_14equal_to_valueIfEEEEEEE10hipError_tPvRmT3_T4_T5_T6_T7_T9_mT8_P12ihipStream_tbDpT10_ENKUlT_T0_E_clISt17integral_constantIbLb1EES17_IbLb0EEEEDaS13_S14_EUlS13_E_NS1_11comp_targetILNS1_3genE0ELNS1_11target_archE4294967295ELNS1_3gpuE0ELNS1_3repE0EEENS1_30default_config_static_selectorELNS0_4arch9wavefront6targetE0EEEvT1_.uses_flat_scratch, 0
	.set _ZN7rocprim17ROCPRIM_400000_NS6detail17trampoline_kernelINS0_14default_configENS1_25partition_config_selectorILNS1_17partition_subalgoE6EfNS0_10empty_typeEbEEZZNS1_14partition_implILS5_6ELb0ES3_mN6thrust23THRUST_200600_302600_NS6detail15normal_iteratorINSA_10device_ptrIfEEEEPS6_SG_NS0_5tupleIJSF_S6_EEENSH_IJSG_SG_EEES6_PlJNSB_9not_fun_tINSB_14equal_to_valueIfEEEEEEE10hipError_tPvRmT3_T4_T5_T6_T7_T9_mT8_P12ihipStream_tbDpT10_ENKUlT_T0_E_clISt17integral_constantIbLb1EES17_IbLb0EEEEDaS13_S14_EUlS13_E_NS1_11comp_targetILNS1_3genE0ELNS1_11target_archE4294967295ELNS1_3gpuE0ELNS1_3repE0EEENS1_30default_config_static_selectorELNS0_4arch9wavefront6targetE0EEEvT1_.has_dyn_sized_stack, 0
	.set _ZN7rocprim17ROCPRIM_400000_NS6detail17trampoline_kernelINS0_14default_configENS1_25partition_config_selectorILNS1_17partition_subalgoE6EfNS0_10empty_typeEbEEZZNS1_14partition_implILS5_6ELb0ES3_mN6thrust23THRUST_200600_302600_NS6detail15normal_iteratorINSA_10device_ptrIfEEEEPS6_SG_NS0_5tupleIJSF_S6_EEENSH_IJSG_SG_EEES6_PlJNSB_9not_fun_tINSB_14equal_to_valueIfEEEEEEE10hipError_tPvRmT3_T4_T5_T6_T7_T9_mT8_P12ihipStream_tbDpT10_ENKUlT_T0_E_clISt17integral_constantIbLb1EES17_IbLb0EEEEDaS13_S14_EUlS13_E_NS1_11comp_targetILNS1_3genE0ELNS1_11target_archE4294967295ELNS1_3gpuE0ELNS1_3repE0EEENS1_30default_config_static_selectorELNS0_4arch9wavefront6targetE0EEEvT1_.has_recursion, 0
	.set _ZN7rocprim17ROCPRIM_400000_NS6detail17trampoline_kernelINS0_14default_configENS1_25partition_config_selectorILNS1_17partition_subalgoE6EfNS0_10empty_typeEbEEZZNS1_14partition_implILS5_6ELb0ES3_mN6thrust23THRUST_200600_302600_NS6detail15normal_iteratorINSA_10device_ptrIfEEEEPS6_SG_NS0_5tupleIJSF_S6_EEENSH_IJSG_SG_EEES6_PlJNSB_9not_fun_tINSB_14equal_to_valueIfEEEEEEE10hipError_tPvRmT3_T4_T5_T6_T7_T9_mT8_P12ihipStream_tbDpT10_ENKUlT_T0_E_clISt17integral_constantIbLb1EES17_IbLb0EEEEDaS13_S14_EUlS13_E_NS1_11comp_targetILNS1_3genE0ELNS1_11target_archE4294967295ELNS1_3gpuE0ELNS1_3repE0EEENS1_30default_config_static_selectorELNS0_4arch9wavefront6targetE0EEEvT1_.has_indirect_call, 0
	.section	.AMDGPU.csdata,"",@progbits
; Kernel info:
; codeLenInByte = 0
; TotalNumSgprs: 0
; NumVgprs: 0
; ScratchSize: 0
; MemoryBound: 0
; FloatMode: 240
; IeeeMode: 1
; LDSByteSize: 0 bytes/workgroup (compile time only)
; SGPRBlocks: 0
; VGPRBlocks: 0
; NumSGPRsForWavesPerEU: 1
; NumVGPRsForWavesPerEU: 1
; Occupancy: 16
; WaveLimiterHint : 0
; COMPUTE_PGM_RSRC2:SCRATCH_EN: 0
; COMPUTE_PGM_RSRC2:USER_SGPR: 2
; COMPUTE_PGM_RSRC2:TRAP_HANDLER: 0
; COMPUTE_PGM_RSRC2:TGID_X_EN: 1
; COMPUTE_PGM_RSRC2:TGID_Y_EN: 0
; COMPUTE_PGM_RSRC2:TGID_Z_EN: 0
; COMPUTE_PGM_RSRC2:TIDIG_COMP_CNT: 0
	.section	.text._ZN7rocprim17ROCPRIM_400000_NS6detail17trampoline_kernelINS0_14default_configENS1_25partition_config_selectorILNS1_17partition_subalgoE6EfNS0_10empty_typeEbEEZZNS1_14partition_implILS5_6ELb0ES3_mN6thrust23THRUST_200600_302600_NS6detail15normal_iteratorINSA_10device_ptrIfEEEEPS6_SG_NS0_5tupleIJSF_S6_EEENSH_IJSG_SG_EEES6_PlJNSB_9not_fun_tINSB_14equal_to_valueIfEEEEEEE10hipError_tPvRmT3_T4_T5_T6_T7_T9_mT8_P12ihipStream_tbDpT10_ENKUlT_T0_E_clISt17integral_constantIbLb1EES17_IbLb0EEEEDaS13_S14_EUlS13_E_NS1_11comp_targetILNS1_3genE5ELNS1_11target_archE942ELNS1_3gpuE9ELNS1_3repE0EEENS1_30default_config_static_selectorELNS0_4arch9wavefront6targetE0EEEvT1_,"axG",@progbits,_ZN7rocprim17ROCPRIM_400000_NS6detail17trampoline_kernelINS0_14default_configENS1_25partition_config_selectorILNS1_17partition_subalgoE6EfNS0_10empty_typeEbEEZZNS1_14partition_implILS5_6ELb0ES3_mN6thrust23THRUST_200600_302600_NS6detail15normal_iteratorINSA_10device_ptrIfEEEEPS6_SG_NS0_5tupleIJSF_S6_EEENSH_IJSG_SG_EEES6_PlJNSB_9not_fun_tINSB_14equal_to_valueIfEEEEEEE10hipError_tPvRmT3_T4_T5_T6_T7_T9_mT8_P12ihipStream_tbDpT10_ENKUlT_T0_E_clISt17integral_constantIbLb1EES17_IbLb0EEEEDaS13_S14_EUlS13_E_NS1_11comp_targetILNS1_3genE5ELNS1_11target_archE942ELNS1_3gpuE9ELNS1_3repE0EEENS1_30default_config_static_selectorELNS0_4arch9wavefront6targetE0EEEvT1_,comdat
	.protected	_ZN7rocprim17ROCPRIM_400000_NS6detail17trampoline_kernelINS0_14default_configENS1_25partition_config_selectorILNS1_17partition_subalgoE6EfNS0_10empty_typeEbEEZZNS1_14partition_implILS5_6ELb0ES3_mN6thrust23THRUST_200600_302600_NS6detail15normal_iteratorINSA_10device_ptrIfEEEEPS6_SG_NS0_5tupleIJSF_S6_EEENSH_IJSG_SG_EEES6_PlJNSB_9not_fun_tINSB_14equal_to_valueIfEEEEEEE10hipError_tPvRmT3_T4_T5_T6_T7_T9_mT8_P12ihipStream_tbDpT10_ENKUlT_T0_E_clISt17integral_constantIbLb1EES17_IbLb0EEEEDaS13_S14_EUlS13_E_NS1_11comp_targetILNS1_3genE5ELNS1_11target_archE942ELNS1_3gpuE9ELNS1_3repE0EEENS1_30default_config_static_selectorELNS0_4arch9wavefront6targetE0EEEvT1_ ; -- Begin function _ZN7rocprim17ROCPRIM_400000_NS6detail17trampoline_kernelINS0_14default_configENS1_25partition_config_selectorILNS1_17partition_subalgoE6EfNS0_10empty_typeEbEEZZNS1_14partition_implILS5_6ELb0ES3_mN6thrust23THRUST_200600_302600_NS6detail15normal_iteratorINSA_10device_ptrIfEEEEPS6_SG_NS0_5tupleIJSF_S6_EEENSH_IJSG_SG_EEES6_PlJNSB_9not_fun_tINSB_14equal_to_valueIfEEEEEEE10hipError_tPvRmT3_T4_T5_T6_T7_T9_mT8_P12ihipStream_tbDpT10_ENKUlT_T0_E_clISt17integral_constantIbLb1EES17_IbLb0EEEEDaS13_S14_EUlS13_E_NS1_11comp_targetILNS1_3genE5ELNS1_11target_archE942ELNS1_3gpuE9ELNS1_3repE0EEENS1_30default_config_static_selectorELNS0_4arch9wavefront6targetE0EEEvT1_
	.globl	_ZN7rocprim17ROCPRIM_400000_NS6detail17trampoline_kernelINS0_14default_configENS1_25partition_config_selectorILNS1_17partition_subalgoE6EfNS0_10empty_typeEbEEZZNS1_14partition_implILS5_6ELb0ES3_mN6thrust23THRUST_200600_302600_NS6detail15normal_iteratorINSA_10device_ptrIfEEEEPS6_SG_NS0_5tupleIJSF_S6_EEENSH_IJSG_SG_EEES6_PlJNSB_9not_fun_tINSB_14equal_to_valueIfEEEEEEE10hipError_tPvRmT3_T4_T5_T6_T7_T9_mT8_P12ihipStream_tbDpT10_ENKUlT_T0_E_clISt17integral_constantIbLb1EES17_IbLb0EEEEDaS13_S14_EUlS13_E_NS1_11comp_targetILNS1_3genE5ELNS1_11target_archE942ELNS1_3gpuE9ELNS1_3repE0EEENS1_30default_config_static_selectorELNS0_4arch9wavefront6targetE0EEEvT1_
	.p2align	8
	.type	_ZN7rocprim17ROCPRIM_400000_NS6detail17trampoline_kernelINS0_14default_configENS1_25partition_config_selectorILNS1_17partition_subalgoE6EfNS0_10empty_typeEbEEZZNS1_14partition_implILS5_6ELb0ES3_mN6thrust23THRUST_200600_302600_NS6detail15normal_iteratorINSA_10device_ptrIfEEEEPS6_SG_NS0_5tupleIJSF_S6_EEENSH_IJSG_SG_EEES6_PlJNSB_9not_fun_tINSB_14equal_to_valueIfEEEEEEE10hipError_tPvRmT3_T4_T5_T6_T7_T9_mT8_P12ihipStream_tbDpT10_ENKUlT_T0_E_clISt17integral_constantIbLb1EES17_IbLb0EEEEDaS13_S14_EUlS13_E_NS1_11comp_targetILNS1_3genE5ELNS1_11target_archE942ELNS1_3gpuE9ELNS1_3repE0EEENS1_30default_config_static_selectorELNS0_4arch9wavefront6targetE0EEEvT1_,@function
_ZN7rocprim17ROCPRIM_400000_NS6detail17trampoline_kernelINS0_14default_configENS1_25partition_config_selectorILNS1_17partition_subalgoE6EfNS0_10empty_typeEbEEZZNS1_14partition_implILS5_6ELb0ES3_mN6thrust23THRUST_200600_302600_NS6detail15normal_iteratorINSA_10device_ptrIfEEEEPS6_SG_NS0_5tupleIJSF_S6_EEENSH_IJSG_SG_EEES6_PlJNSB_9not_fun_tINSB_14equal_to_valueIfEEEEEEE10hipError_tPvRmT3_T4_T5_T6_T7_T9_mT8_P12ihipStream_tbDpT10_ENKUlT_T0_E_clISt17integral_constantIbLb1EES17_IbLb0EEEEDaS13_S14_EUlS13_E_NS1_11comp_targetILNS1_3genE5ELNS1_11target_archE942ELNS1_3gpuE9ELNS1_3repE0EEENS1_30default_config_static_selectorELNS0_4arch9wavefront6targetE0EEEvT1_: ; @_ZN7rocprim17ROCPRIM_400000_NS6detail17trampoline_kernelINS0_14default_configENS1_25partition_config_selectorILNS1_17partition_subalgoE6EfNS0_10empty_typeEbEEZZNS1_14partition_implILS5_6ELb0ES3_mN6thrust23THRUST_200600_302600_NS6detail15normal_iteratorINSA_10device_ptrIfEEEEPS6_SG_NS0_5tupleIJSF_S6_EEENSH_IJSG_SG_EEES6_PlJNSB_9not_fun_tINSB_14equal_to_valueIfEEEEEEE10hipError_tPvRmT3_T4_T5_T6_T7_T9_mT8_P12ihipStream_tbDpT10_ENKUlT_T0_E_clISt17integral_constantIbLb1EES17_IbLb0EEEEDaS13_S14_EUlS13_E_NS1_11comp_targetILNS1_3genE5ELNS1_11target_archE942ELNS1_3gpuE9ELNS1_3repE0EEENS1_30default_config_static_selectorELNS0_4arch9wavefront6targetE0EEEvT1_
; %bb.0:
	.section	.rodata,"a",@progbits
	.p2align	6, 0x0
	.amdhsa_kernel _ZN7rocprim17ROCPRIM_400000_NS6detail17trampoline_kernelINS0_14default_configENS1_25partition_config_selectorILNS1_17partition_subalgoE6EfNS0_10empty_typeEbEEZZNS1_14partition_implILS5_6ELb0ES3_mN6thrust23THRUST_200600_302600_NS6detail15normal_iteratorINSA_10device_ptrIfEEEEPS6_SG_NS0_5tupleIJSF_S6_EEENSH_IJSG_SG_EEES6_PlJNSB_9not_fun_tINSB_14equal_to_valueIfEEEEEEE10hipError_tPvRmT3_T4_T5_T6_T7_T9_mT8_P12ihipStream_tbDpT10_ENKUlT_T0_E_clISt17integral_constantIbLb1EES17_IbLb0EEEEDaS13_S14_EUlS13_E_NS1_11comp_targetILNS1_3genE5ELNS1_11target_archE942ELNS1_3gpuE9ELNS1_3repE0EEENS1_30default_config_static_selectorELNS0_4arch9wavefront6targetE0EEEvT1_
		.amdhsa_group_segment_fixed_size 0
		.amdhsa_private_segment_fixed_size 0
		.amdhsa_kernarg_size 120
		.amdhsa_user_sgpr_count 2
		.amdhsa_user_sgpr_dispatch_ptr 0
		.amdhsa_user_sgpr_queue_ptr 0
		.amdhsa_user_sgpr_kernarg_segment_ptr 1
		.amdhsa_user_sgpr_dispatch_id 0
		.amdhsa_user_sgpr_private_segment_size 0
		.amdhsa_wavefront_size32 1
		.amdhsa_uses_dynamic_stack 0
		.amdhsa_enable_private_segment 0
		.amdhsa_system_sgpr_workgroup_id_x 1
		.amdhsa_system_sgpr_workgroup_id_y 0
		.amdhsa_system_sgpr_workgroup_id_z 0
		.amdhsa_system_sgpr_workgroup_info 0
		.amdhsa_system_vgpr_workitem_id 0
		.amdhsa_next_free_vgpr 1
		.amdhsa_next_free_sgpr 1
		.amdhsa_reserve_vcc 0
		.amdhsa_float_round_mode_32 0
		.amdhsa_float_round_mode_16_64 0
		.amdhsa_float_denorm_mode_32 3
		.amdhsa_float_denorm_mode_16_64 3
		.amdhsa_fp16_overflow 0
		.amdhsa_workgroup_processor_mode 1
		.amdhsa_memory_ordered 1
		.amdhsa_forward_progress 1
		.amdhsa_inst_pref_size 0
		.amdhsa_round_robin_scheduling 0
		.amdhsa_exception_fp_ieee_invalid_op 0
		.amdhsa_exception_fp_denorm_src 0
		.amdhsa_exception_fp_ieee_div_zero 0
		.amdhsa_exception_fp_ieee_overflow 0
		.amdhsa_exception_fp_ieee_underflow 0
		.amdhsa_exception_fp_ieee_inexact 0
		.amdhsa_exception_int_div_zero 0
	.end_amdhsa_kernel
	.section	.text._ZN7rocprim17ROCPRIM_400000_NS6detail17trampoline_kernelINS0_14default_configENS1_25partition_config_selectorILNS1_17partition_subalgoE6EfNS0_10empty_typeEbEEZZNS1_14partition_implILS5_6ELb0ES3_mN6thrust23THRUST_200600_302600_NS6detail15normal_iteratorINSA_10device_ptrIfEEEEPS6_SG_NS0_5tupleIJSF_S6_EEENSH_IJSG_SG_EEES6_PlJNSB_9not_fun_tINSB_14equal_to_valueIfEEEEEEE10hipError_tPvRmT3_T4_T5_T6_T7_T9_mT8_P12ihipStream_tbDpT10_ENKUlT_T0_E_clISt17integral_constantIbLb1EES17_IbLb0EEEEDaS13_S14_EUlS13_E_NS1_11comp_targetILNS1_3genE5ELNS1_11target_archE942ELNS1_3gpuE9ELNS1_3repE0EEENS1_30default_config_static_selectorELNS0_4arch9wavefront6targetE0EEEvT1_,"axG",@progbits,_ZN7rocprim17ROCPRIM_400000_NS6detail17trampoline_kernelINS0_14default_configENS1_25partition_config_selectorILNS1_17partition_subalgoE6EfNS0_10empty_typeEbEEZZNS1_14partition_implILS5_6ELb0ES3_mN6thrust23THRUST_200600_302600_NS6detail15normal_iteratorINSA_10device_ptrIfEEEEPS6_SG_NS0_5tupleIJSF_S6_EEENSH_IJSG_SG_EEES6_PlJNSB_9not_fun_tINSB_14equal_to_valueIfEEEEEEE10hipError_tPvRmT3_T4_T5_T6_T7_T9_mT8_P12ihipStream_tbDpT10_ENKUlT_T0_E_clISt17integral_constantIbLb1EES17_IbLb0EEEEDaS13_S14_EUlS13_E_NS1_11comp_targetILNS1_3genE5ELNS1_11target_archE942ELNS1_3gpuE9ELNS1_3repE0EEENS1_30default_config_static_selectorELNS0_4arch9wavefront6targetE0EEEvT1_,comdat
.Lfunc_end326:
	.size	_ZN7rocprim17ROCPRIM_400000_NS6detail17trampoline_kernelINS0_14default_configENS1_25partition_config_selectorILNS1_17partition_subalgoE6EfNS0_10empty_typeEbEEZZNS1_14partition_implILS5_6ELb0ES3_mN6thrust23THRUST_200600_302600_NS6detail15normal_iteratorINSA_10device_ptrIfEEEEPS6_SG_NS0_5tupleIJSF_S6_EEENSH_IJSG_SG_EEES6_PlJNSB_9not_fun_tINSB_14equal_to_valueIfEEEEEEE10hipError_tPvRmT3_T4_T5_T6_T7_T9_mT8_P12ihipStream_tbDpT10_ENKUlT_T0_E_clISt17integral_constantIbLb1EES17_IbLb0EEEEDaS13_S14_EUlS13_E_NS1_11comp_targetILNS1_3genE5ELNS1_11target_archE942ELNS1_3gpuE9ELNS1_3repE0EEENS1_30default_config_static_selectorELNS0_4arch9wavefront6targetE0EEEvT1_, .Lfunc_end326-_ZN7rocprim17ROCPRIM_400000_NS6detail17trampoline_kernelINS0_14default_configENS1_25partition_config_selectorILNS1_17partition_subalgoE6EfNS0_10empty_typeEbEEZZNS1_14partition_implILS5_6ELb0ES3_mN6thrust23THRUST_200600_302600_NS6detail15normal_iteratorINSA_10device_ptrIfEEEEPS6_SG_NS0_5tupleIJSF_S6_EEENSH_IJSG_SG_EEES6_PlJNSB_9not_fun_tINSB_14equal_to_valueIfEEEEEEE10hipError_tPvRmT3_T4_T5_T6_T7_T9_mT8_P12ihipStream_tbDpT10_ENKUlT_T0_E_clISt17integral_constantIbLb1EES17_IbLb0EEEEDaS13_S14_EUlS13_E_NS1_11comp_targetILNS1_3genE5ELNS1_11target_archE942ELNS1_3gpuE9ELNS1_3repE0EEENS1_30default_config_static_selectorELNS0_4arch9wavefront6targetE0EEEvT1_
                                        ; -- End function
	.set _ZN7rocprim17ROCPRIM_400000_NS6detail17trampoline_kernelINS0_14default_configENS1_25partition_config_selectorILNS1_17partition_subalgoE6EfNS0_10empty_typeEbEEZZNS1_14partition_implILS5_6ELb0ES3_mN6thrust23THRUST_200600_302600_NS6detail15normal_iteratorINSA_10device_ptrIfEEEEPS6_SG_NS0_5tupleIJSF_S6_EEENSH_IJSG_SG_EEES6_PlJNSB_9not_fun_tINSB_14equal_to_valueIfEEEEEEE10hipError_tPvRmT3_T4_T5_T6_T7_T9_mT8_P12ihipStream_tbDpT10_ENKUlT_T0_E_clISt17integral_constantIbLb1EES17_IbLb0EEEEDaS13_S14_EUlS13_E_NS1_11comp_targetILNS1_3genE5ELNS1_11target_archE942ELNS1_3gpuE9ELNS1_3repE0EEENS1_30default_config_static_selectorELNS0_4arch9wavefront6targetE0EEEvT1_.num_vgpr, 0
	.set _ZN7rocprim17ROCPRIM_400000_NS6detail17trampoline_kernelINS0_14default_configENS1_25partition_config_selectorILNS1_17partition_subalgoE6EfNS0_10empty_typeEbEEZZNS1_14partition_implILS5_6ELb0ES3_mN6thrust23THRUST_200600_302600_NS6detail15normal_iteratorINSA_10device_ptrIfEEEEPS6_SG_NS0_5tupleIJSF_S6_EEENSH_IJSG_SG_EEES6_PlJNSB_9not_fun_tINSB_14equal_to_valueIfEEEEEEE10hipError_tPvRmT3_T4_T5_T6_T7_T9_mT8_P12ihipStream_tbDpT10_ENKUlT_T0_E_clISt17integral_constantIbLb1EES17_IbLb0EEEEDaS13_S14_EUlS13_E_NS1_11comp_targetILNS1_3genE5ELNS1_11target_archE942ELNS1_3gpuE9ELNS1_3repE0EEENS1_30default_config_static_selectorELNS0_4arch9wavefront6targetE0EEEvT1_.num_agpr, 0
	.set _ZN7rocprim17ROCPRIM_400000_NS6detail17trampoline_kernelINS0_14default_configENS1_25partition_config_selectorILNS1_17partition_subalgoE6EfNS0_10empty_typeEbEEZZNS1_14partition_implILS5_6ELb0ES3_mN6thrust23THRUST_200600_302600_NS6detail15normal_iteratorINSA_10device_ptrIfEEEEPS6_SG_NS0_5tupleIJSF_S6_EEENSH_IJSG_SG_EEES6_PlJNSB_9not_fun_tINSB_14equal_to_valueIfEEEEEEE10hipError_tPvRmT3_T4_T5_T6_T7_T9_mT8_P12ihipStream_tbDpT10_ENKUlT_T0_E_clISt17integral_constantIbLb1EES17_IbLb0EEEEDaS13_S14_EUlS13_E_NS1_11comp_targetILNS1_3genE5ELNS1_11target_archE942ELNS1_3gpuE9ELNS1_3repE0EEENS1_30default_config_static_selectorELNS0_4arch9wavefront6targetE0EEEvT1_.numbered_sgpr, 0
	.set _ZN7rocprim17ROCPRIM_400000_NS6detail17trampoline_kernelINS0_14default_configENS1_25partition_config_selectorILNS1_17partition_subalgoE6EfNS0_10empty_typeEbEEZZNS1_14partition_implILS5_6ELb0ES3_mN6thrust23THRUST_200600_302600_NS6detail15normal_iteratorINSA_10device_ptrIfEEEEPS6_SG_NS0_5tupleIJSF_S6_EEENSH_IJSG_SG_EEES6_PlJNSB_9not_fun_tINSB_14equal_to_valueIfEEEEEEE10hipError_tPvRmT3_T4_T5_T6_T7_T9_mT8_P12ihipStream_tbDpT10_ENKUlT_T0_E_clISt17integral_constantIbLb1EES17_IbLb0EEEEDaS13_S14_EUlS13_E_NS1_11comp_targetILNS1_3genE5ELNS1_11target_archE942ELNS1_3gpuE9ELNS1_3repE0EEENS1_30default_config_static_selectorELNS0_4arch9wavefront6targetE0EEEvT1_.num_named_barrier, 0
	.set _ZN7rocprim17ROCPRIM_400000_NS6detail17trampoline_kernelINS0_14default_configENS1_25partition_config_selectorILNS1_17partition_subalgoE6EfNS0_10empty_typeEbEEZZNS1_14partition_implILS5_6ELb0ES3_mN6thrust23THRUST_200600_302600_NS6detail15normal_iteratorINSA_10device_ptrIfEEEEPS6_SG_NS0_5tupleIJSF_S6_EEENSH_IJSG_SG_EEES6_PlJNSB_9not_fun_tINSB_14equal_to_valueIfEEEEEEE10hipError_tPvRmT3_T4_T5_T6_T7_T9_mT8_P12ihipStream_tbDpT10_ENKUlT_T0_E_clISt17integral_constantIbLb1EES17_IbLb0EEEEDaS13_S14_EUlS13_E_NS1_11comp_targetILNS1_3genE5ELNS1_11target_archE942ELNS1_3gpuE9ELNS1_3repE0EEENS1_30default_config_static_selectorELNS0_4arch9wavefront6targetE0EEEvT1_.private_seg_size, 0
	.set _ZN7rocprim17ROCPRIM_400000_NS6detail17trampoline_kernelINS0_14default_configENS1_25partition_config_selectorILNS1_17partition_subalgoE6EfNS0_10empty_typeEbEEZZNS1_14partition_implILS5_6ELb0ES3_mN6thrust23THRUST_200600_302600_NS6detail15normal_iteratorINSA_10device_ptrIfEEEEPS6_SG_NS0_5tupleIJSF_S6_EEENSH_IJSG_SG_EEES6_PlJNSB_9not_fun_tINSB_14equal_to_valueIfEEEEEEE10hipError_tPvRmT3_T4_T5_T6_T7_T9_mT8_P12ihipStream_tbDpT10_ENKUlT_T0_E_clISt17integral_constantIbLb1EES17_IbLb0EEEEDaS13_S14_EUlS13_E_NS1_11comp_targetILNS1_3genE5ELNS1_11target_archE942ELNS1_3gpuE9ELNS1_3repE0EEENS1_30default_config_static_selectorELNS0_4arch9wavefront6targetE0EEEvT1_.uses_vcc, 0
	.set _ZN7rocprim17ROCPRIM_400000_NS6detail17trampoline_kernelINS0_14default_configENS1_25partition_config_selectorILNS1_17partition_subalgoE6EfNS0_10empty_typeEbEEZZNS1_14partition_implILS5_6ELb0ES3_mN6thrust23THRUST_200600_302600_NS6detail15normal_iteratorINSA_10device_ptrIfEEEEPS6_SG_NS0_5tupleIJSF_S6_EEENSH_IJSG_SG_EEES6_PlJNSB_9not_fun_tINSB_14equal_to_valueIfEEEEEEE10hipError_tPvRmT3_T4_T5_T6_T7_T9_mT8_P12ihipStream_tbDpT10_ENKUlT_T0_E_clISt17integral_constantIbLb1EES17_IbLb0EEEEDaS13_S14_EUlS13_E_NS1_11comp_targetILNS1_3genE5ELNS1_11target_archE942ELNS1_3gpuE9ELNS1_3repE0EEENS1_30default_config_static_selectorELNS0_4arch9wavefront6targetE0EEEvT1_.uses_flat_scratch, 0
	.set _ZN7rocprim17ROCPRIM_400000_NS6detail17trampoline_kernelINS0_14default_configENS1_25partition_config_selectorILNS1_17partition_subalgoE6EfNS0_10empty_typeEbEEZZNS1_14partition_implILS5_6ELb0ES3_mN6thrust23THRUST_200600_302600_NS6detail15normal_iteratorINSA_10device_ptrIfEEEEPS6_SG_NS0_5tupleIJSF_S6_EEENSH_IJSG_SG_EEES6_PlJNSB_9not_fun_tINSB_14equal_to_valueIfEEEEEEE10hipError_tPvRmT3_T4_T5_T6_T7_T9_mT8_P12ihipStream_tbDpT10_ENKUlT_T0_E_clISt17integral_constantIbLb1EES17_IbLb0EEEEDaS13_S14_EUlS13_E_NS1_11comp_targetILNS1_3genE5ELNS1_11target_archE942ELNS1_3gpuE9ELNS1_3repE0EEENS1_30default_config_static_selectorELNS0_4arch9wavefront6targetE0EEEvT1_.has_dyn_sized_stack, 0
	.set _ZN7rocprim17ROCPRIM_400000_NS6detail17trampoline_kernelINS0_14default_configENS1_25partition_config_selectorILNS1_17partition_subalgoE6EfNS0_10empty_typeEbEEZZNS1_14partition_implILS5_6ELb0ES3_mN6thrust23THRUST_200600_302600_NS6detail15normal_iteratorINSA_10device_ptrIfEEEEPS6_SG_NS0_5tupleIJSF_S6_EEENSH_IJSG_SG_EEES6_PlJNSB_9not_fun_tINSB_14equal_to_valueIfEEEEEEE10hipError_tPvRmT3_T4_T5_T6_T7_T9_mT8_P12ihipStream_tbDpT10_ENKUlT_T0_E_clISt17integral_constantIbLb1EES17_IbLb0EEEEDaS13_S14_EUlS13_E_NS1_11comp_targetILNS1_3genE5ELNS1_11target_archE942ELNS1_3gpuE9ELNS1_3repE0EEENS1_30default_config_static_selectorELNS0_4arch9wavefront6targetE0EEEvT1_.has_recursion, 0
	.set _ZN7rocprim17ROCPRIM_400000_NS6detail17trampoline_kernelINS0_14default_configENS1_25partition_config_selectorILNS1_17partition_subalgoE6EfNS0_10empty_typeEbEEZZNS1_14partition_implILS5_6ELb0ES3_mN6thrust23THRUST_200600_302600_NS6detail15normal_iteratorINSA_10device_ptrIfEEEEPS6_SG_NS0_5tupleIJSF_S6_EEENSH_IJSG_SG_EEES6_PlJNSB_9not_fun_tINSB_14equal_to_valueIfEEEEEEE10hipError_tPvRmT3_T4_T5_T6_T7_T9_mT8_P12ihipStream_tbDpT10_ENKUlT_T0_E_clISt17integral_constantIbLb1EES17_IbLb0EEEEDaS13_S14_EUlS13_E_NS1_11comp_targetILNS1_3genE5ELNS1_11target_archE942ELNS1_3gpuE9ELNS1_3repE0EEENS1_30default_config_static_selectorELNS0_4arch9wavefront6targetE0EEEvT1_.has_indirect_call, 0
	.section	.AMDGPU.csdata,"",@progbits
; Kernel info:
; codeLenInByte = 0
; TotalNumSgprs: 0
; NumVgprs: 0
; ScratchSize: 0
; MemoryBound: 0
; FloatMode: 240
; IeeeMode: 1
; LDSByteSize: 0 bytes/workgroup (compile time only)
; SGPRBlocks: 0
; VGPRBlocks: 0
; NumSGPRsForWavesPerEU: 1
; NumVGPRsForWavesPerEU: 1
; Occupancy: 16
; WaveLimiterHint : 0
; COMPUTE_PGM_RSRC2:SCRATCH_EN: 0
; COMPUTE_PGM_RSRC2:USER_SGPR: 2
; COMPUTE_PGM_RSRC2:TRAP_HANDLER: 0
; COMPUTE_PGM_RSRC2:TGID_X_EN: 1
; COMPUTE_PGM_RSRC2:TGID_Y_EN: 0
; COMPUTE_PGM_RSRC2:TGID_Z_EN: 0
; COMPUTE_PGM_RSRC2:TIDIG_COMP_CNT: 0
	.section	.text._ZN7rocprim17ROCPRIM_400000_NS6detail17trampoline_kernelINS0_14default_configENS1_25partition_config_selectorILNS1_17partition_subalgoE6EfNS0_10empty_typeEbEEZZNS1_14partition_implILS5_6ELb0ES3_mN6thrust23THRUST_200600_302600_NS6detail15normal_iteratorINSA_10device_ptrIfEEEEPS6_SG_NS0_5tupleIJSF_S6_EEENSH_IJSG_SG_EEES6_PlJNSB_9not_fun_tINSB_14equal_to_valueIfEEEEEEE10hipError_tPvRmT3_T4_T5_T6_T7_T9_mT8_P12ihipStream_tbDpT10_ENKUlT_T0_E_clISt17integral_constantIbLb1EES17_IbLb0EEEEDaS13_S14_EUlS13_E_NS1_11comp_targetILNS1_3genE4ELNS1_11target_archE910ELNS1_3gpuE8ELNS1_3repE0EEENS1_30default_config_static_selectorELNS0_4arch9wavefront6targetE0EEEvT1_,"axG",@progbits,_ZN7rocprim17ROCPRIM_400000_NS6detail17trampoline_kernelINS0_14default_configENS1_25partition_config_selectorILNS1_17partition_subalgoE6EfNS0_10empty_typeEbEEZZNS1_14partition_implILS5_6ELb0ES3_mN6thrust23THRUST_200600_302600_NS6detail15normal_iteratorINSA_10device_ptrIfEEEEPS6_SG_NS0_5tupleIJSF_S6_EEENSH_IJSG_SG_EEES6_PlJNSB_9not_fun_tINSB_14equal_to_valueIfEEEEEEE10hipError_tPvRmT3_T4_T5_T6_T7_T9_mT8_P12ihipStream_tbDpT10_ENKUlT_T0_E_clISt17integral_constantIbLb1EES17_IbLb0EEEEDaS13_S14_EUlS13_E_NS1_11comp_targetILNS1_3genE4ELNS1_11target_archE910ELNS1_3gpuE8ELNS1_3repE0EEENS1_30default_config_static_selectorELNS0_4arch9wavefront6targetE0EEEvT1_,comdat
	.protected	_ZN7rocprim17ROCPRIM_400000_NS6detail17trampoline_kernelINS0_14default_configENS1_25partition_config_selectorILNS1_17partition_subalgoE6EfNS0_10empty_typeEbEEZZNS1_14partition_implILS5_6ELb0ES3_mN6thrust23THRUST_200600_302600_NS6detail15normal_iteratorINSA_10device_ptrIfEEEEPS6_SG_NS0_5tupleIJSF_S6_EEENSH_IJSG_SG_EEES6_PlJNSB_9not_fun_tINSB_14equal_to_valueIfEEEEEEE10hipError_tPvRmT3_T4_T5_T6_T7_T9_mT8_P12ihipStream_tbDpT10_ENKUlT_T0_E_clISt17integral_constantIbLb1EES17_IbLb0EEEEDaS13_S14_EUlS13_E_NS1_11comp_targetILNS1_3genE4ELNS1_11target_archE910ELNS1_3gpuE8ELNS1_3repE0EEENS1_30default_config_static_selectorELNS0_4arch9wavefront6targetE0EEEvT1_ ; -- Begin function _ZN7rocprim17ROCPRIM_400000_NS6detail17trampoline_kernelINS0_14default_configENS1_25partition_config_selectorILNS1_17partition_subalgoE6EfNS0_10empty_typeEbEEZZNS1_14partition_implILS5_6ELb0ES3_mN6thrust23THRUST_200600_302600_NS6detail15normal_iteratorINSA_10device_ptrIfEEEEPS6_SG_NS0_5tupleIJSF_S6_EEENSH_IJSG_SG_EEES6_PlJNSB_9not_fun_tINSB_14equal_to_valueIfEEEEEEE10hipError_tPvRmT3_T4_T5_T6_T7_T9_mT8_P12ihipStream_tbDpT10_ENKUlT_T0_E_clISt17integral_constantIbLb1EES17_IbLb0EEEEDaS13_S14_EUlS13_E_NS1_11comp_targetILNS1_3genE4ELNS1_11target_archE910ELNS1_3gpuE8ELNS1_3repE0EEENS1_30default_config_static_selectorELNS0_4arch9wavefront6targetE0EEEvT1_
	.globl	_ZN7rocprim17ROCPRIM_400000_NS6detail17trampoline_kernelINS0_14default_configENS1_25partition_config_selectorILNS1_17partition_subalgoE6EfNS0_10empty_typeEbEEZZNS1_14partition_implILS5_6ELb0ES3_mN6thrust23THRUST_200600_302600_NS6detail15normal_iteratorINSA_10device_ptrIfEEEEPS6_SG_NS0_5tupleIJSF_S6_EEENSH_IJSG_SG_EEES6_PlJNSB_9not_fun_tINSB_14equal_to_valueIfEEEEEEE10hipError_tPvRmT3_T4_T5_T6_T7_T9_mT8_P12ihipStream_tbDpT10_ENKUlT_T0_E_clISt17integral_constantIbLb1EES17_IbLb0EEEEDaS13_S14_EUlS13_E_NS1_11comp_targetILNS1_3genE4ELNS1_11target_archE910ELNS1_3gpuE8ELNS1_3repE0EEENS1_30default_config_static_selectorELNS0_4arch9wavefront6targetE0EEEvT1_
	.p2align	8
	.type	_ZN7rocprim17ROCPRIM_400000_NS6detail17trampoline_kernelINS0_14default_configENS1_25partition_config_selectorILNS1_17partition_subalgoE6EfNS0_10empty_typeEbEEZZNS1_14partition_implILS5_6ELb0ES3_mN6thrust23THRUST_200600_302600_NS6detail15normal_iteratorINSA_10device_ptrIfEEEEPS6_SG_NS0_5tupleIJSF_S6_EEENSH_IJSG_SG_EEES6_PlJNSB_9not_fun_tINSB_14equal_to_valueIfEEEEEEE10hipError_tPvRmT3_T4_T5_T6_T7_T9_mT8_P12ihipStream_tbDpT10_ENKUlT_T0_E_clISt17integral_constantIbLb1EES17_IbLb0EEEEDaS13_S14_EUlS13_E_NS1_11comp_targetILNS1_3genE4ELNS1_11target_archE910ELNS1_3gpuE8ELNS1_3repE0EEENS1_30default_config_static_selectorELNS0_4arch9wavefront6targetE0EEEvT1_,@function
_ZN7rocprim17ROCPRIM_400000_NS6detail17trampoline_kernelINS0_14default_configENS1_25partition_config_selectorILNS1_17partition_subalgoE6EfNS0_10empty_typeEbEEZZNS1_14partition_implILS5_6ELb0ES3_mN6thrust23THRUST_200600_302600_NS6detail15normal_iteratorINSA_10device_ptrIfEEEEPS6_SG_NS0_5tupleIJSF_S6_EEENSH_IJSG_SG_EEES6_PlJNSB_9not_fun_tINSB_14equal_to_valueIfEEEEEEE10hipError_tPvRmT3_T4_T5_T6_T7_T9_mT8_P12ihipStream_tbDpT10_ENKUlT_T0_E_clISt17integral_constantIbLb1EES17_IbLb0EEEEDaS13_S14_EUlS13_E_NS1_11comp_targetILNS1_3genE4ELNS1_11target_archE910ELNS1_3gpuE8ELNS1_3repE0EEENS1_30default_config_static_selectorELNS0_4arch9wavefront6targetE0EEEvT1_: ; @_ZN7rocprim17ROCPRIM_400000_NS6detail17trampoline_kernelINS0_14default_configENS1_25partition_config_selectorILNS1_17partition_subalgoE6EfNS0_10empty_typeEbEEZZNS1_14partition_implILS5_6ELb0ES3_mN6thrust23THRUST_200600_302600_NS6detail15normal_iteratorINSA_10device_ptrIfEEEEPS6_SG_NS0_5tupleIJSF_S6_EEENSH_IJSG_SG_EEES6_PlJNSB_9not_fun_tINSB_14equal_to_valueIfEEEEEEE10hipError_tPvRmT3_T4_T5_T6_T7_T9_mT8_P12ihipStream_tbDpT10_ENKUlT_T0_E_clISt17integral_constantIbLb1EES17_IbLb0EEEEDaS13_S14_EUlS13_E_NS1_11comp_targetILNS1_3genE4ELNS1_11target_archE910ELNS1_3gpuE8ELNS1_3repE0EEENS1_30default_config_static_selectorELNS0_4arch9wavefront6targetE0EEEvT1_
; %bb.0:
	.section	.rodata,"a",@progbits
	.p2align	6, 0x0
	.amdhsa_kernel _ZN7rocprim17ROCPRIM_400000_NS6detail17trampoline_kernelINS0_14default_configENS1_25partition_config_selectorILNS1_17partition_subalgoE6EfNS0_10empty_typeEbEEZZNS1_14partition_implILS5_6ELb0ES3_mN6thrust23THRUST_200600_302600_NS6detail15normal_iteratorINSA_10device_ptrIfEEEEPS6_SG_NS0_5tupleIJSF_S6_EEENSH_IJSG_SG_EEES6_PlJNSB_9not_fun_tINSB_14equal_to_valueIfEEEEEEE10hipError_tPvRmT3_T4_T5_T6_T7_T9_mT8_P12ihipStream_tbDpT10_ENKUlT_T0_E_clISt17integral_constantIbLb1EES17_IbLb0EEEEDaS13_S14_EUlS13_E_NS1_11comp_targetILNS1_3genE4ELNS1_11target_archE910ELNS1_3gpuE8ELNS1_3repE0EEENS1_30default_config_static_selectorELNS0_4arch9wavefront6targetE0EEEvT1_
		.amdhsa_group_segment_fixed_size 0
		.amdhsa_private_segment_fixed_size 0
		.amdhsa_kernarg_size 120
		.amdhsa_user_sgpr_count 2
		.amdhsa_user_sgpr_dispatch_ptr 0
		.amdhsa_user_sgpr_queue_ptr 0
		.amdhsa_user_sgpr_kernarg_segment_ptr 1
		.amdhsa_user_sgpr_dispatch_id 0
		.amdhsa_user_sgpr_private_segment_size 0
		.amdhsa_wavefront_size32 1
		.amdhsa_uses_dynamic_stack 0
		.amdhsa_enable_private_segment 0
		.amdhsa_system_sgpr_workgroup_id_x 1
		.amdhsa_system_sgpr_workgroup_id_y 0
		.amdhsa_system_sgpr_workgroup_id_z 0
		.amdhsa_system_sgpr_workgroup_info 0
		.amdhsa_system_vgpr_workitem_id 0
		.amdhsa_next_free_vgpr 1
		.amdhsa_next_free_sgpr 1
		.amdhsa_reserve_vcc 0
		.amdhsa_float_round_mode_32 0
		.amdhsa_float_round_mode_16_64 0
		.amdhsa_float_denorm_mode_32 3
		.amdhsa_float_denorm_mode_16_64 3
		.amdhsa_fp16_overflow 0
		.amdhsa_workgroup_processor_mode 1
		.amdhsa_memory_ordered 1
		.amdhsa_forward_progress 1
		.amdhsa_inst_pref_size 0
		.amdhsa_round_robin_scheduling 0
		.amdhsa_exception_fp_ieee_invalid_op 0
		.amdhsa_exception_fp_denorm_src 0
		.amdhsa_exception_fp_ieee_div_zero 0
		.amdhsa_exception_fp_ieee_overflow 0
		.amdhsa_exception_fp_ieee_underflow 0
		.amdhsa_exception_fp_ieee_inexact 0
		.amdhsa_exception_int_div_zero 0
	.end_amdhsa_kernel
	.section	.text._ZN7rocprim17ROCPRIM_400000_NS6detail17trampoline_kernelINS0_14default_configENS1_25partition_config_selectorILNS1_17partition_subalgoE6EfNS0_10empty_typeEbEEZZNS1_14partition_implILS5_6ELb0ES3_mN6thrust23THRUST_200600_302600_NS6detail15normal_iteratorINSA_10device_ptrIfEEEEPS6_SG_NS0_5tupleIJSF_S6_EEENSH_IJSG_SG_EEES6_PlJNSB_9not_fun_tINSB_14equal_to_valueIfEEEEEEE10hipError_tPvRmT3_T4_T5_T6_T7_T9_mT8_P12ihipStream_tbDpT10_ENKUlT_T0_E_clISt17integral_constantIbLb1EES17_IbLb0EEEEDaS13_S14_EUlS13_E_NS1_11comp_targetILNS1_3genE4ELNS1_11target_archE910ELNS1_3gpuE8ELNS1_3repE0EEENS1_30default_config_static_selectorELNS0_4arch9wavefront6targetE0EEEvT1_,"axG",@progbits,_ZN7rocprim17ROCPRIM_400000_NS6detail17trampoline_kernelINS0_14default_configENS1_25partition_config_selectorILNS1_17partition_subalgoE6EfNS0_10empty_typeEbEEZZNS1_14partition_implILS5_6ELb0ES3_mN6thrust23THRUST_200600_302600_NS6detail15normal_iteratorINSA_10device_ptrIfEEEEPS6_SG_NS0_5tupleIJSF_S6_EEENSH_IJSG_SG_EEES6_PlJNSB_9not_fun_tINSB_14equal_to_valueIfEEEEEEE10hipError_tPvRmT3_T4_T5_T6_T7_T9_mT8_P12ihipStream_tbDpT10_ENKUlT_T0_E_clISt17integral_constantIbLb1EES17_IbLb0EEEEDaS13_S14_EUlS13_E_NS1_11comp_targetILNS1_3genE4ELNS1_11target_archE910ELNS1_3gpuE8ELNS1_3repE0EEENS1_30default_config_static_selectorELNS0_4arch9wavefront6targetE0EEEvT1_,comdat
.Lfunc_end327:
	.size	_ZN7rocprim17ROCPRIM_400000_NS6detail17trampoline_kernelINS0_14default_configENS1_25partition_config_selectorILNS1_17partition_subalgoE6EfNS0_10empty_typeEbEEZZNS1_14partition_implILS5_6ELb0ES3_mN6thrust23THRUST_200600_302600_NS6detail15normal_iteratorINSA_10device_ptrIfEEEEPS6_SG_NS0_5tupleIJSF_S6_EEENSH_IJSG_SG_EEES6_PlJNSB_9not_fun_tINSB_14equal_to_valueIfEEEEEEE10hipError_tPvRmT3_T4_T5_T6_T7_T9_mT8_P12ihipStream_tbDpT10_ENKUlT_T0_E_clISt17integral_constantIbLb1EES17_IbLb0EEEEDaS13_S14_EUlS13_E_NS1_11comp_targetILNS1_3genE4ELNS1_11target_archE910ELNS1_3gpuE8ELNS1_3repE0EEENS1_30default_config_static_selectorELNS0_4arch9wavefront6targetE0EEEvT1_, .Lfunc_end327-_ZN7rocprim17ROCPRIM_400000_NS6detail17trampoline_kernelINS0_14default_configENS1_25partition_config_selectorILNS1_17partition_subalgoE6EfNS0_10empty_typeEbEEZZNS1_14partition_implILS5_6ELb0ES3_mN6thrust23THRUST_200600_302600_NS6detail15normal_iteratorINSA_10device_ptrIfEEEEPS6_SG_NS0_5tupleIJSF_S6_EEENSH_IJSG_SG_EEES6_PlJNSB_9not_fun_tINSB_14equal_to_valueIfEEEEEEE10hipError_tPvRmT3_T4_T5_T6_T7_T9_mT8_P12ihipStream_tbDpT10_ENKUlT_T0_E_clISt17integral_constantIbLb1EES17_IbLb0EEEEDaS13_S14_EUlS13_E_NS1_11comp_targetILNS1_3genE4ELNS1_11target_archE910ELNS1_3gpuE8ELNS1_3repE0EEENS1_30default_config_static_selectorELNS0_4arch9wavefront6targetE0EEEvT1_
                                        ; -- End function
	.set _ZN7rocprim17ROCPRIM_400000_NS6detail17trampoline_kernelINS0_14default_configENS1_25partition_config_selectorILNS1_17partition_subalgoE6EfNS0_10empty_typeEbEEZZNS1_14partition_implILS5_6ELb0ES3_mN6thrust23THRUST_200600_302600_NS6detail15normal_iteratorINSA_10device_ptrIfEEEEPS6_SG_NS0_5tupleIJSF_S6_EEENSH_IJSG_SG_EEES6_PlJNSB_9not_fun_tINSB_14equal_to_valueIfEEEEEEE10hipError_tPvRmT3_T4_T5_T6_T7_T9_mT8_P12ihipStream_tbDpT10_ENKUlT_T0_E_clISt17integral_constantIbLb1EES17_IbLb0EEEEDaS13_S14_EUlS13_E_NS1_11comp_targetILNS1_3genE4ELNS1_11target_archE910ELNS1_3gpuE8ELNS1_3repE0EEENS1_30default_config_static_selectorELNS0_4arch9wavefront6targetE0EEEvT1_.num_vgpr, 0
	.set _ZN7rocprim17ROCPRIM_400000_NS6detail17trampoline_kernelINS0_14default_configENS1_25partition_config_selectorILNS1_17partition_subalgoE6EfNS0_10empty_typeEbEEZZNS1_14partition_implILS5_6ELb0ES3_mN6thrust23THRUST_200600_302600_NS6detail15normal_iteratorINSA_10device_ptrIfEEEEPS6_SG_NS0_5tupleIJSF_S6_EEENSH_IJSG_SG_EEES6_PlJNSB_9not_fun_tINSB_14equal_to_valueIfEEEEEEE10hipError_tPvRmT3_T4_T5_T6_T7_T9_mT8_P12ihipStream_tbDpT10_ENKUlT_T0_E_clISt17integral_constantIbLb1EES17_IbLb0EEEEDaS13_S14_EUlS13_E_NS1_11comp_targetILNS1_3genE4ELNS1_11target_archE910ELNS1_3gpuE8ELNS1_3repE0EEENS1_30default_config_static_selectorELNS0_4arch9wavefront6targetE0EEEvT1_.num_agpr, 0
	.set _ZN7rocprim17ROCPRIM_400000_NS6detail17trampoline_kernelINS0_14default_configENS1_25partition_config_selectorILNS1_17partition_subalgoE6EfNS0_10empty_typeEbEEZZNS1_14partition_implILS5_6ELb0ES3_mN6thrust23THRUST_200600_302600_NS6detail15normal_iteratorINSA_10device_ptrIfEEEEPS6_SG_NS0_5tupleIJSF_S6_EEENSH_IJSG_SG_EEES6_PlJNSB_9not_fun_tINSB_14equal_to_valueIfEEEEEEE10hipError_tPvRmT3_T4_T5_T6_T7_T9_mT8_P12ihipStream_tbDpT10_ENKUlT_T0_E_clISt17integral_constantIbLb1EES17_IbLb0EEEEDaS13_S14_EUlS13_E_NS1_11comp_targetILNS1_3genE4ELNS1_11target_archE910ELNS1_3gpuE8ELNS1_3repE0EEENS1_30default_config_static_selectorELNS0_4arch9wavefront6targetE0EEEvT1_.numbered_sgpr, 0
	.set _ZN7rocprim17ROCPRIM_400000_NS6detail17trampoline_kernelINS0_14default_configENS1_25partition_config_selectorILNS1_17partition_subalgoE6EfNS0_10empty_typeEbEEZZNS1_14partition_implILS5_6ELb0ES3_mN6thrust23THRUST_200600_302600_NS6detail15normal_iteratorINSA_10device_ptrIfEEEEPS6_SG_NS0_5tupleIJSF_S6_EEENSH_IJSG_SG_EEES6_PlJNSB_9not_fun_tINSB_14equal_to_valueIfEEEEEEE10hipError_tPvRmT3_T4_T5_T6_T7_T9_mT8_P12ihipStream_tbDpT10_ENKUlT_T0_E_clISt17integral_constantIbLb1EES17_IbLb0EEEEDaS13_S14_EUlS13_E_NS1_11comp_targetILNS1_3genE4ELNS1_11target_archE910ELNS1_3gpuE8ELNS1_3repE0EEENS1_30default_config_static_selectorELNS0_4arch9wavefront6targetE0EEEvT1_.num_named_barrier, 0
	.set _ZN7rocprim17ROCPRIM_400000_NS6detail17trampoline_kernelINS0_14default_configENS1_25partition_config_selectorILNS1_17partition_subalgoE6EfNS0_10empty_typeEbEEZZNS1_14partition_implILS5_6ELb0ES3_mN6thrust23THRUST_200600_302600_NS6detail15normal_iteratorINSA_10device_ptrIfEEEEPS6_SG_NS0_5tupleIJSF_S6_EEENSH_IJSG_SG_EEES6_PlJNSB_9not_fun_tINSB_14equal_to_valueIfEEEEEEE10hipError_tPvRmT3_T4_T5_T6_T7_T9_mT8_P12ihipStream_tbDpT10_ENKUlT_T0_E_clISt17integral_constantIbLb1EES17_IbLb0EEEEDaS13_S14_EUlS13_E_NS1_11comp_targetILNS1_3genE4ELNS1_11target_archE910ELNS1_3gpuE8ELNS1_3repE0EEENS1_30default_config_static_selectorELNS0_4arch9wavefront6targetE0EEEvT1_.private_seg_size, 0
	.set _ZN7rocprim17ROCPRIM_400000_NS6detail17trampoline_kernelINS0_14default_configENS1_25partition_config_selectorILNS1_17partition_subalgoE6EfNS0_10empty_typeEbEEZZNS1_14partition_implILS5_6ELb0ES3_mN6thrust23THRUST_200600_302600_NS6detail15normal_iteratorINSA_10device_ptrIfEEEEPS6_SG_NS0_5tupleIJSF_S6_EEENSH_IJSG_SG_EEES6_PlJNSB_9not_fun_tINSB_14equal_to_valueIfEEEEEEE10hipError_tPvRmT3_T4_T5_T6_T7_T9_mT8_P12ihipStream_tbDpT10_ENKUlT_T0_E_clISt17integral_constantIbLb1EES17_IbLb0EEEEDaS13_S14_EUlS13_E_NS1_11comp_targetILNS1_3genE4ELNS1_11target_archE910ELNS1_3gpuE8ELNS1_3repE0EEENS1_30default_config_static_selectorELNS0_4arch9wavefront6targetE0EEEvT1_.uses_vcc, 0
	.set _ZN7rocprim17ROCPRIM_400000_NS6detail17trampoline_kernelINS0_14default_configENS1_25partition_config_selectorILNS1_17partition_subalgoE6EfNS0_10empty_typeEbEEZZNS1_14partition_implILS5_6ELb0ES3_mN6thrust23THRUST_200600_302600_NS6detail15normal_iteratorINSA_10device_ptrIfEEEEPS6_SG_NS0_5tupleIJSF_S6_EEENSH_IJSG_SG_EEES6_PlJNSB_9not_fun_tINSB_14equal_to_valueIfEEEEEEE10hipError_tPvRmT3_T4_T5_T6_T7_T9_mT8_P12ihipStream_tbDpT10_ENKUlT_T0_E_clISt17integral_constantIbLb1EES17_IbLb0EEEEDaS13_S14_EUlS13_E_NS1_11comp_targetILNS1_3genE4ELNS1_11target_archE910ELNS1_3gpuE8ELNS1_3repE0EEENS1_30default_config_static_selectorELNS0_4arch9wavefront6targetE0EEEvT1_.uses_flat_scratch, 0
	.set _ZN7rocprim17ROCPRIM_400000_NS6detail17trampoline_kernelINS0_14default_configENS1_25partition_config_selectorILNS1_17partition_subalgoE6EfNS0_10empty_typeEbEEZZNS1_14partition_implILS5_6ELb0ES3_mN6thrust23THRUST_200600_302600_NS6detail15normal_iteratorINSA_10device_ptrIfEEEEPS6_SG_NS0_5tupleIJSF_S6_EEENSH_IJSG_SG_EEES6_PlJNSB_9not_fun_tINSB_14equal_to_valueIfEEEEEEE10hipError_tPvRmT3_T4_T5_T6_T7_T9_mT8_P12ihipStream_tbDpT10_ENKUlT_T0_E_clISt17integral_constantIbLb1EES17_IbLb0EEEEDaS13_S14_EUlS13_E_NS1_11comp_targetILNS1_3genE4ELNS1_11target_archE910ELNS1_3gpuE8ELNS1_3repE0EEENS1_30default_config_static_selectorELNS0_4arch9wavefront6targetE0EEEvT1_.has_dyn_sized_stack, 0
	.set _ZN7rocprim17ROCPRIM_400000_NS6detail17trampoline_kernelINS0_14default_configENS1_25partition_config_selectorILNS1_17partition_subalgoE6EfNS0_10empty_typeEbEEZZNS1_14partition_implILS5_6ELb0ES3_mN6thrust23THRUST_200600_302600_NS6detail15normal_iteratorINSA_10device_ptrIfEEEEPS6_SG_NS0_5tupleIJSF_S6_EEENSH_IJSG_SG_EEES6_PlJNSB_9not_fun_tINSB_14equal_to_valueIfEEEEEEE10hipError_tPvRmT3_T4_T5_T6_T7_T9_mT8_P12ihipStream_tbDpT10_ENKUlT_T0_E_clISt17integral_constantIbLb1EES17_IbLb0EEEEDaS13_S14_EUlS13_E_NS1_11comp_targetILNS1_3genE4ELNS1_11target_archE910ELNS1_3gpuE8ELNS1_3repE0EEENS1_30default_config_static_selectorELNS0_4arch9wavefront6targetE0EEEvT1_.has_recursion, 0
	.set _ZN7rocprim17ROCPRIM_400000_NS6detail17trampoline_kernelINS0_14default_configENS1_25partition_config_selectorILNS1_17partition_subalgoE6EfNS0_10empty_typeEbEEZZNS1_14partition_implILS5_6ELb0ES3_mN6thrust23THRUST_200600_302600_NS6detail15normal_iteratorINSA_10device_ptrIfEEEEPS6_SG_NS0_5tupleIJSF_S6_EEENSH_IJSG_SG_EEES6_PlJNSB_9not_fun_tINSB_14equal_to_valueIfEEEEEEE10hipError_tPvRmT3_T4_T5_T6_T7_T9_mT8_P12ihipStream_tbDpT10_ENKUlT_T0_E_clISt17integral_constantIbLb1EES17_IbLb0EEEEDaS13_S14_EUlS13_E_NS1_11comp_targetILNS1_3genE4ELNS1_11target_archE910ELNS1_3gpuE8ELNS1_3repE0EEENS1_30default_config_static_selectorELNS0_4arch9wavefront6targetE0EEEvT1_.has_indirect_call, 0
	.section	.AMDGPU.csdata,"",@progbits
; Kernel info:
; codeLenInByte = 0
; TotalNumSgprs: 0
; NumVgprs: 0
; ScratchSize: 0
; MemoryBound: 0
; FloatMode: 240
; IeeeMode: 1
; LDSByteSize: 0 bytes/workgroup (compile time only)
; SGPRBlocks: 0
; VGPRBlocks: 0
; NumSGPRsForWavesPerEU: 1
; NumVGPRsForWavesPerEU: 1
; Occupancy: 16
; WaveLimiterHint : 0
; COMPUTE_PGM_RSRC2:SCRATCH_EN: 0
; COMPUTE_PGM_RSRC2:USER_SGPR: 2
; COMPUTE_PGM_RSRC2:TRAP_HANDLER: 0
; COMPUTE_PGM_RSRC2:TGID_X_EN: 1
; COMPUTE_PGM_RSRC2:TGID_Y_EN: 0
; COMPUTE_PGM_RSRC2:TGID_Z_EN: 0
; COMPUTE_PGM_RSRC2:TIDIG_COMP_CNT: 0
	.section	.text._ZN7rocprim17ROCPRIM_400000_NS6detail17trampoline_kernelINS0_14default_configENS1_25partition_config_selectorILNS1_17partition_subalgoE6EfNS0_10empty_typeEbEEZZNS1_14partition_implILS5_6ELb0ES3_mN6thrust23THRUST_200600_302600_NS6detail15normal_iteratorINSA_10device_ptrIfEEEEPS6_SG_NS0_5tupleIJSF_S6_EEENSH_IJSG_SG_EEES6_PlJNSB_9not_fun_tINSB_14equal_to_valueIfEEEEEEE10hipError_tPvRmT3_T4_T5_T6_T7_T9_mT8_P12ihipStream_tbDpT10_ENKUlT_T0_E_clISt17integral_constantIbLb1EES17_IbLb0EEEEDaS13_S14_EUlS13_E_NS1_11comp_targetILNS1_3genE3ELNS1_11target_archE908ELNS1_3gpuE7ELNS1_3repE0EEENS1_30default_config_static_selectorELNS0_4arch9wavefront6targetE0EEEvT1_,"axG",@progbits,_ZN7rocprim17ROCPRIM_400000_NS6detail17trampoline_kernelINS0_14default_configENS1_25partition_config_selectorILNS1_17partition_subalgoE6EfNS0_10empty_typeEbEEZZNS1_14partition_implILS5_6ELb0ES3_mN6thrust23THRUST_200600_302600_NS6detail15normal_iteratorINSA_10device_ptrIfEEEEPS6_SG_NS0_5tupleIJSF_S6_EEENSH_IJSG_SG_EEES6_PlJNSB_9not_fun_tINSB_14equal_to_valueIfEEEEEEE10hipError_tPvRmT3_T4_T5_T6_T7_T9_mT8_P12ihipStream_tbDpT10_ENKUlT_T0_E_clISt17integral_constantIbLb1EES17_IbLb0EEEEDaS13_S14_EUlS13_E_NS1_11comp_targetILNS1_3genE3ELNS1_11target_archE908ELNS1_3gpuE7ELNS1_3repE0EEENS1_30default_config_static_selectorELNS0_4arch9wavefront6targetE0EEEvT1_,comdat
	.protected	_ZN7rocprim17ROCPRIM_400000_NS6detail17trampoline_kernelINS0_14default_configENS1_25partition_config_selectorILNS1_17partition_subalgoE6EfNS0_10empty_typeEbEEZZNS1_14partition_implILS5_6ELb0ES3_mN6thrust23THRUST_200600_302600_NS6detail15normal_iteratorINSA_10device_ptrIfEEEEPS6_SG_NS0_5tupleIJSF_S6_EEENSH_IJSG_SG_EEES6_PlJNSB_9not_fun_tINSB_14equal_to_valueIfEEEEEEE10hipError_tPvRmT3_T4_T5_T6_T7_T9_mT8_P12ihipStream_tbDpT10_ENKUlT_T0_E_clISt17integral_constantIbLb1EES17_IbLb0EEEEDaS13_S14_EUlS13_E_NS1_11comp_targetILNS1_3genE3ELNS1_11target_archE908ELNS1_3gpuE7ELNS1_3repE0EEENS1_30default_config_static_selectorELNS0_4arch9wavefront6targetE0EEEvT1_ ; -- Begin function _ZN7rocprim17ROCPRIM_400000_NS6detail17trampoline_kernelINS0_14default_configENS1_25partition_config_selectorILNS1_17partition_subalgoE6EfNS0_10empty_typeEbEEZZNS1_14partition_implILS5_6ELb0ES3_mN6thrust23THRUST_200600_302600_NS6detail15normal_iteratorINSA_10device_ptrIfEEEEPS6_SG_NS0_5tupleIJSF_S6_EEENSH_IJSG_SG_EEES6_PlJNSB_9not_fun_tINSB_14equal_to_valueIfEEEEEEE10hipError_tPvRmT3_T4_T5_T6_T7_T9_mT8_P12ihipStream_tbDpT10_ENKUlT_T0_E_clISt17integral_constantIbLb1EES17_IbLb0EEEEDaS13_S14_EUlS13_E_NS1_11comp_targetILNS1_3genE3ELNS1_11target_archE908ELNS1_3gpuE7ELNS1_3repE0EEENS1_30default_config_static_selectorELNS0_4arch9wavefront6targetE0EEEvT1_
	.globl	_ZN7rocprim17ROCPRIM_400000_NS6detail17trampoline_kernelINS0_14default_configENS1_25partition_config_selectorILNS1_17partition_subalgoE6EfNS0_10empty_typeEbEEZZNS1_14partition_implILS5_6ELb0ES3_mN6thrust23THRUST_200600_302600_NS6detail15normal_iteratorINSA_10device_ptrIfEEEEPS6_SG_NS0_5tupleIJSF_S6_EEENSH_IJSG_SG_EEES6_PlJNSB_9not_fun_tINSB_14equal_to_valueIfEEEEEEE10hipError_tPvRmT3_T4_T5_T6_T7_T9_mT8_P12ihipStream_tbDpT10_ENKUlT_T0_E_clISt17integral_constantIbLb1EES17_IbLb0EEEEDaS13_S14_EUlS13_E_NS1_11comp_targetILNS1_3genE3ELNS1_11target_archE908ELNS1_3gpuE7ELNS1_3repE0EEENS1_30default_config_static_selectorELNS0_4arch9wavefront6targetE0EEEvT1_
	.p2align	8
	.type	_ZN7rocprim17ROCPRIM_400000_NS6detail17trampoline_kernelINS0_14default_configENS1_25partition_config_selectorILNS1_17partition_subalgoE6EfNS0_10empty_typeEbEEZZNS1_14partition_implILS5_6ELb0ES3_mN6thrust23THRUST_200600_302600_NS6detail15normal_iteratorINSA_10device_ptrIfEEEEPS6_SG_NS0_5tupleIJSF_S6_EEENSH_IJSG_SG_EEES6_PlJNSB_9not_fun_tINSB_14equal_to_valueIfEEEEEEE10hipError_tPvRmT3_T4_T5_T6_T7_T9_mT8_P12ihipStream_tbDpT10_ENKUlT_T0_E_clISt17integral_constantIbLb1EES17_IbLb0EEEEDaS13_S14_EUlS13_E_NS1_11comp_targetILNS1_3genE3ELNS1_11target_archE908ELNS1_3gpuE7ELNS1_3repE0EEENS1_30default_config_static_selectorELNS0_4arch9wavefront6targetE0EEEvT1_,@function
_ZN7rocprim17ROCPRIM_400000_NS6detail17trampoline_kernelINS0_14default_configENS1_25partition_config_selectorILNS1_17partition_subalgoE6EfNS0_10empty_typeEbEEZZNS1_14partition_implILS5_6ELb0ES3_mN6thrust23THRUST_200600_302600_NS6detail15normal_iteratorINSA_10device_ptrIfEEEEPS6_SG_NS0_5tupleIJSF_S6_EEENSH_IJSG_SG_EEES6_PlJNSB_9not_fun_tINSB_14equal_to_valueIfEEEEEEE10hipError_tPvRmT3_T4_T5_T6_T7_T9_mT8_P12ihipStream_tbDpT10_ENKUlT_T0_E_clISt17integral_constantIbLb1EES17_IbLb0EEEEDaS13_S14_EUlS13_E_NS1_11comp_targetILNS1_3genE3ELNS1_11target_archE908ELNS1_3gpuE7ELNS1_3repE0EEENS1_30default_config_static_selectorELNS0_4arch9wavefront6targetE0EEEvT1_: ; @_ZN7rocprim17ROCPRIM_400000_NS6detail17trampoline_kernelINS0_14default_configENS1_25partition_config_selectorILNS1_17partition_subalgoE6EfNS0_10empty_typeEbEEZZNS1_14partition_implILS5_6ELb0ES3_mN6thrust23THRUST_200600_302600_NS6detail15normal_iteratorINSA_10device_ptrIfEEEEPS6_SG_NS0_5tupleIJSF_S6_EEENSH_IJSG_SG_EEES6_PlJNSB_9not_fun_tINSB_14equal_to_valueIfEEEEEEE10hipError_tPvRmT3_T4_T5_T6_T7_T9_mT8_P12ihipStream_tbDpT10_ENKUlT_T0_E_clISt17integral_constantIbLb1EES17_IbLb0EEEEDaS13_S14_EUlS13_E_NS1_11comp_targetILNS1_3genE3ELNS1_11target_archE908ELNS1_3gpuE7ELNS1_3repE0EEENS1_30default_config_static_selectorELNS0_4arch9wavefront6targetE0EEEvT1_
; %bb.0:
	.section	.rodata,"a",@progbits
	.p2align	6, 0x0
	.amdhsa_kernel _ZN7rocprim17ROCPRIM_400000_NS6detail17trampoline_kernelINS0_14default_configENS1_25partition_config_selectorILNS1_17partition_subalgoE6EfNS0_10empty_typeEbEEZZNS1_14partition_implILS5_6ELb0ES3_mN6thrust23THRUST_200600_302600_NS6detail15normal_iteratorINSA_10device_ptrIfEEEEPS6_SG_NS0_5tupleIJSF_S6_EEENSH_IJSG_SG_EEES6_PlJNSB_9not_fun_tINSB_14equal_to_valueIfEEEEEEE10hipError_tPvRmT3_T4_T5_T6_T7_T9_mT8_P12ihipStream_tbDpT10_ENKUlT_T0_E_clISt17integral_constantIbLb1EES17_IbLb0EEEEDaS13_S14_EUlS13_E_NS1_11comp_targetILNS1_3genE3ELNS1_11target_archE908ELNS1_3gpuE7ELNS1_3repE0EEENS1_30default_config_static_selectorELNS0_4arch9wavefront6targetE0EEEvT1_
		.amdhsa_group_segment_fixed_size 0
		.amdhsa_private_segment_fixed_size 0
		.amdhsa_kernarg_size 120
		.amdhsa_user_sgpr_count 2
		.amdhsa_user_sgpr_dispatch_ptr 0
		.amdhsa_user_sgpr_queue_ptr 0
		.amdhsa_user_sgpr_kernarg_segment_ptr 1
		.amdhsa_user_sgpr_dispatch_id 0
		.amdhsa_user_sgpr_private_segment_size 0
		.amdhsa_wavefront_size32 1
		.amdhsa_uses_dynamic_stack 0
		.amdhsa_enable_private_segment 0
		.amdhsa_system_sgpr_workgroup_id_x 1
		.amdhsa_system_sgpr_workgroup_id_y 0
		.amdhsa_system_sgpr_workgroup_id_z 0
		.amdhsa_system_sgpr_workgroup_info 0
		.amdhsa_system_vgpr_workitem_id 0
		.amdhsa_next_free_vgpr 1
		.amdhsa_next_free_sgpr 1
		.amdhsa_reserve_vcc 0
		.amdhsa_float_round_mode_32 0
		.amdhsa_float_round_mode_16_64 0
		.amdhsa_float_denorm_mode_32 3
		.amdhsa_float_denorm_mode_16_64 3
		.amdhsa_fp16_overflow 0
		.amdhsa_workgroup_processor_mode 1
		.amdhsa_memory_ordered 1
		.amdhsa_forward_progress 1
		.amdhsa_inst_pref_size 0
		.amdhsa_round_robin_scheduling 0
		.amdhsa_exception_fp_ieee_invalid_op 0
		.amdhsa_exception_fp_denorm_src 0
		.amdhsa_exception_fp_ieee_div_zero 0
		.amdhsa_exception_fp_ieee_overflow 0
		.amdhsa_exception_fp_ieee_underflow 0
		.amdhsa_exception_fp_ieee_inexact 0
		.amdhsa_exception_int_div_zero 0
	.end_amdhsa_kernel
	.section	.text._ZN7rocprim17ROCPRIM_400000_NS6detail17trampoline_kernelINS0_14default_configENS1_25partition_config_selectorILNS1_17partition_subalgoE6EfNS0_10empty_typeEbEEZZNS1_14partition_implILS5_6ELb0ES3_mN6thrust23THRUST_200600_302600_NS6detail15normal_iteratorINSA_10device_ptrIfEEEEPS6_SG_NS0_5tupleIJSF_S6_EEENSH_IJSG_SG_EEES6_PlJNSB_9not_fun_tINSB_14equal_to_valueIfEEEEEEE10hipError_tPvRmT3_T4_T5_T6_T7_T9_mT8_P12ihipStream_tbDpT10_ENKUlT_T0_E_clISt17integral_constantIbLb1EES17_IbLb0EEEEDaS13_S14_EUlS13_E_NS1_11comp_targetILNS1_3genE3ELNS1_11target_archE908ELNS1_3gpuE7ELNS1_3repE0EEENS1_30default_config_static_selectorELNS0_4arch9wavefront6targetE0EEEvT1_,"axG",@progbits,_ZN7rocprim17ROCPRIM_400000_NS6detail17trampoline_kernelINS0_14default_configENS1_25partition_config_selectorILNS1_17partition_subalgoE6EfNS0_10empty_typeEbEEZZNS1_14partition_implILS5_6ELb0ES3_mN6thrust23THRUST_200600_302600_NS6detail15normal_iteratorINSA_10device_ptrIfEEEEPS6_SG_NS0_5tupleIJSF_S6_EEENSH_IJSG_SG_EEES6_PlJNSB_9not_fun_tINSB_14equal_to_valueIfEEEEEEE10hipError_tPvRmT3_T4_T5_T6_T7_T9_mT8_P12ihipStream_tbDpT10_ENKUlT_T0_E_clISt17integral_constantIbLb1EES17_IbLb0EEEEDaS13_S14_EUlS13_E_NS1_11comp_targetILNS1_3genE3ELNS1_11target_archE908ELNS1_3gpuE7ELNS1_3repE0EEENS1_30default_config_static_selectorELNS0_4arch9wavefront6targetE0EEEvT1_,comdat
.Lfunc_end328:
	.size	_ZN7rocprim17ROCPRIM_400000_NS6detail17trampoline_kernelINS0_14default_configENS1_25partition_config_selectorILNS1_17partition_subalgoE6EfNS0_10empty_typeEbEEZZNS1_14partition_implILS5_6ELb0ES3_mN6thrust23THRUST_200600_302600_NS6detail15normal_iteratorINSA_10device_ptrIfEEEEPS6_SG_NS0_5tupleIJSF_S6_EEENSH_IJSG_SG_EEES6_PlJNSB_9not_fun_tINSB_14equal_to_valueIfEEEEEEE10hipError_tPvRmT3_T4_T5_T6_T7_T9_mT8_P12ihipStream_tbDpT10_ENKUlT_T0_E_clISt17integral_constantIbLb1EES17_IbLb0EEEEDaS13_S14_EUlS13_E_NS1_11comp_targetILNS1_3genE3ELNS1_11target_archE908ELNS1_3gpuE7ELNS1_3repE0EEENS1_30default_config_static_selectorELNS0_4arch9wavefront6targetE0EEEvT1_, .Lfunc_end328-_ZN7rocprim17ROCPRIM_400000_NS6detail17trampoline_kernelINS0_14default_configENS1_25partition_config_selectorILNS1_17partition_subalgoE6EfNS0_10empty_typeEbEEZZNS1_14partition_implILS5_6ELb0ES3_mN6thrust23THRUST_200600_302600_NS6detail15normal_iteratorINSA_10device_ptrIfEEEEPS6_SG_NS0_5tupleIJSF_S6_EEENSH_IJSG_SG_EEES6_PlJNSB_9not_fun_tINSB_14equal_to_valueIfEEEEEEE10hipError_tPvRmT3_T4_T5_T6_T7_T9_mT8_P12ihipStream_tbDpT10_ENKUlT_T0_E_clISt17integral_constantIbLb1EES17_IbLb0EEEEDaS13_S14_EUlS13_E_NS1_11comp_targetILNS1_3genE3ELNS1_11target_archE908ELNS1_3gpuE7ELNS1_3repE0EEENS1_30default_config_static_selectorELNS0_4arch9wavefront6targetE0EEEvT1_
                                        ; -- End function
	.set _ZN7rocprim17ROCPRIM_400000_NS6detail17trampoline_kernelINS0_14default_configENS1_25partition_config_selectorILNS1_17partition_subalgoE6EfNS0_10empty_typeEbEEZZNS1_14partition_implILS5_6ELb0ES3_mN6thrust23THRUST_200600_302600_NS6detail15normal_iteratorINSA_10device_ptrIfEEEEPS6_SG_NS0_5tupleIJSF_S6_EEENSH_IJSG_SG_EEES6_PlJNSB_9not_fun_tINSB_14equal_to_valueIfEEEEEEE10hipError_tPvRmT3_T4_T5_T6_T7_T9_mT8_P12ihipStream_tbDpT10_ENKUlT_T0_E_clISt17integral_constantIbLb1EES17_IbLb0EEEEDaS13_S14_EUlS13_E_NS1_11comp_targetILNS1_3genE3ELNS1_11target_archE908ELNS1_3gpuE7ELNS1_3repE0EEENS1_30default_config_static_selectorELNS0_4arch9wavefront6targetE0EEEvT1_.num_vgpr, 0
	.set _ZN7rocprim17ROCPRIM_400000_NS6detail17trampoline_kernelINS0_14default_configENS1_25partition_config_selectorILNS1_17partition_subalgoE6EfNS0_10empty_typeEbEEZZNS1_14partition_implILS5_6ELb0ES3_mN6thrust23THRUST_200600_302600_NS6detail15normal_iteratorINSA_10device_ptrIfEEEEPS6_SG_NS0_5tupleIJSF_S6_EEENSH_IJSG_SG_EEES6_PlJNSB_9not_fun_tINSB_14equal_to_valueIfEEEEEEE10hipError_tPvRmT3_T4_T5_T6_T7_T9_mT8_P12ihipStream_tbDpT10_ENKUlT_T0_E_clISt17integral_constantIbLb1EES17_IbLb0EEEEDaS13_S14_EUlS13_E_NS1_11comp_targetILNS1_3genE3ELNS1_11target_archE908ELNS1_3gpuE7ELNS1_3repE0EEENS1_30default_config_static_selectorELNS0_4arch9wavefront6targetE0EEEvT1_.num_agpr, 0
	.set _ZN7rocprim17ROCPRIM_400000_NS6detail17trampoline_kernelINS0_14default_configENS1_25partition_config_selectorILNS1_17partition_subalgoE6EfNS0_10empty_typeEbEEZZNS1_14partition_implILS5_6ELb0ES3_mN6thrust23THRUST_200600_302600_NS6detail15normal_iteratorINSA_10device_ptrIfEEEEPS6_SG_NS0_5tupleIJSF_S6_EEENSH_IJSG_SG_EEES6_PlJNSB_9not_fun_tINSB_14equal_to_valueIfEEEEEEE10hipError_tPvRmT3_T4_T5_T6_T7_T9_mT8_P12ihipStream_tbDpT10_ENKUlT_T0_E_clISt17integral_constantIbLb1EES17_IbLb0EEEEDaS13_S14_EUlS13_E_NS1_11comp_targetILNS1_3genE3ELNS1_11target_archE908ELNS1_3gpuE7ELNS1_3repE0EEENS1_30default_config_static_selectorELNS0_4arch9wavefront6targetE0EEEvT1_.numbered_sgpr, 0
	.set _ZN7rocprim17ROCPRIM_400000_NS6detail17trampoline_kernelINS0_14default_configENS1_25partition_config_selectorILNS1_17partition_subalgoE6EfNS0_10empty_typeEbEEZZNS1_14partition_implILS5_6ELb0ES3_mN6thrust23THRUST_200600_302600_NS6detail15normal_iteratorINSA_10device_ptrIfEEEEPS6_SG_NS0_5tupleIJSF_S6_EEENSH_IJSG_SG_EEES6_PlJNSB_9not_fun_tINSB_14equal_to_valueIfEEEEEEE10hipError_tPvRmT3_T4_T5_T6_T7_T9_mT8_P12ihipStream_tbDpT10_ENKUlT_T0_E_clISt17integral_constantIbLb1EES17_IbLb0EEEEDaS13_S14_EUlS13_E_NS1_11comp_targetILNS1_3genE3ELNS1_11target_archE908ELNS1_3gpuE7ELNS1_3repE0EEENS1_30default_config_static_selectorELNS0_4arch9wavefront6targetE0EEEvT1_.num_named_barrier, 0
	.set _ZN7rocprim17ROCPRIM_400000_NS6detail17trampoline_kernelINS0_14default_configENS1_25partition_config_selectorILNS1_17partition_subalgoE6EfNS0_10empty_typeEbEEZZNS1_14partition_implILS5_6ELb0ES3_mN6thrust23THRUST_200600_302600_NS6detail15normal_iteratorINSA_10device_ptrIfEEEEPS6_SG_NS0_5tupleIJSF_S6_EEENSH_IJSG_SG_EEES6_PlJNSB_9not_fun_tINSB_14equal_to_valueIfEEEEEEE10hipError_tPvRmT3_T4_T5_T6_T7_T9_mT8_P12ihipStream_tbDpT10_ENKUlT_T0_E_clISt17integral_constantIbLb1EES17_IbLb0EEEEDaS13_S14_EUlS13_E_NS1_11comp_targetILNS1_3genE3ELNS1_11target_archE908ELNS1_3gpuE7ELNS1_3repE0EEENS1_30default_config_static_selectorELNS0_4arch9wavefront6targetE0EEEvT1_.private_seg_size, 0
	.set _ZN7rocprim17ROCPRIM_400000_NS6detail17trampoline_kernelINS0_14default_configENS1_25partition_config_selectorILNS1_17partition_subalgoE6EfNS0_10empty_typeEbEEZZNS1_14partition_implILS5_6ELb0ES3_mN6thrust23THRUST_200600_302600_NS6detail15normal_iteratorINSA_10device_ptrIfEEEEPS6_SG_NS0_5tupleIJSF_S6_EEENSH_IJSG_SG_EEES6_PlJNSB_9not_fun_tINSB_14equal_to_valueIfEEEEEEE10hipError_tPvRmT3_T4_T5_T6_T7_T9_mT8_P12ihipStream_tbDpT10_ENKUlT_T0_E_clISt17integral_constantIbLb1EES17_IbLb0EEEEDaS13_S14_EUlS13_E_NS1_11comp_targetILNS1_3genE3ELNS1_11target_archE908ELNS1_3gpuE7ELNS1_3repE0EEENS1_30default_config_static_selectorELNS0_4arch9wavefront6targetE0EEEvT1_.uses_vcc, 0
	.set _ZN7rocprim17ROCPRIM_400000_NS6detail17trampoline_kernelINS0_14default_configENS1_25partition_config_selectorILNS1_17partition_subalgoE6EfNS0_10empty_typeEbEEZZNS1_14partition_implILS5_6ELb0ES3_mN6thrust23THRUST_200600_302600_NS6detail15normal_iteratorINSA_10device_ptrIfEEEEPS6_SG_NS0_5tupleIJSF_S6_EEENSH_IJSG_SG_EEES6_PlJNSB_9not_fun_tINSB_14equal_to_valueIfEEEEEEE10hipError_tPvRmT3_T4_T5_T6_T7_T9_mT8_P12ihipStream_tbDpT10_ENKUlT_T0_E_clISt17integral_constantIbLb1EES17_IbLb0EEEEDaS13_S14_EUlS13_E_NS1_11comp_targetILNS1_3genE3ELNS1_11target_archE908ELNS1_3gpuE7ELNS1_3repE0EEENS1_30default_config_static_selectorELNS0_4arch9wavefront6targetE0EEEvT1_.uses_flat_scratch, 0
	.set _ZN7rocprim17ROCPRIM_400000_NS6detail17trampoline_kernelINS0_14default_configENS1_25partition_config_selectorILNS1_17partition_subalgoE6EfNS0_10empty_typeEbEEZZNS1_14partition_implILS5_6ELb0ES3_mN6thrust23THRUST_200600_302600_NS6detail15normal_iteratorINSA_10device_ptrIfEEEEPS6_SG_NS0_5tupleIJSF_S6_EEENSH_IJSG_SG_EEES6_PlJNSB_9not_fun_tINSB_14equal_to_valueIfEEEEEEE10hipError_tPvRmT3_T4_T5_T6_T7_T9_mT8_P12ihipStream_tbDpT10_ENKUlT_T0_E_clISt17integral_constantIbLb1EES17_IbLb0EEEEDaS13_S14_EUlS13_E_NS1_11comp_targetILNS1_3genE3ELNS1_11target_archE908ELNS1_3gpuE7ELNS1_3repE0EEENS1_30default_config_static_selectorELNS0_4arch9wavefront6targetE0EEEvT1_.has_dyn_sized_stack, 0
	.set _ZN7rocprim17ROCPRIM_400000_NS6detail17trampoline_kernelINS0_14default_configENS1_25partition_config_selectorILNS1_17partition_subalgoE6EfNS0_10empty_typeEbEEZZNS1_14partition_implILS5_6ELb0ES3_mN6thrust23THRUST_200600_302600_NS6detail15normal_iteratorINSA_10device_ptrIfEEEEPS6_SG_NS0_5tupleIJSF_S6_EEENSH_IJSG_SG_EEES6_PlJNSB_9not_fun_tINSB_14equal_to_valueIfEEEEEEE10hipError_tPvRmT3_T4_T5_T6_T7_T9_mT8_P12ihipStream_tbDpT10_ENKUlT_T0_E_clISt17integral_constantIbLb1EES17_IbLb0EEEEDaS13_S14_EUlS13_E_NS1_11comp_targetILNS1_3genE3ELNS1_11target_archE908ELNS1_3gpuE7ELNS1_3repE0EEENS1_30default_config_static_selectorELNS0_4arch9wavefront6targetE0EEEvT1_.has_recursion, 0
	.set _ZN7rocprim17ROCPRIM_400000_NS6detail17trampoline_kernelINS0_14default_configENS1_25partition_config_selectorILNS1_17partition_subalgoE6EfNS0_10empty_typeEbEEZZNS1_14partition_implILS5_6ELb0ES3_mN6thrust23THRUST_200600_302600_NS6detail15normal_iteratorINSA_10device_ptrIfEEEEPS6_SG_NS0_5tupleIJSF_S6_EEENSH_IJSG_SG_EEES6_PlJNSB_9not_fun_tINSB_14equal_to_valueIfEEEEEEE10hipError_tPvRmT3_T4_T5_T6_T7_T9_mT8_P12ihipStream_tbDpT10_ENKUlT_T0_E_clISt17integral_constantIbLb1EES17_IbLb0EEEEDaS13_S14_EUlS13_E_NS1_11comp_targetILNS1_3genE3ELNS1_11target_archE908ELNS1_3gpuE7ELNS1_3repE0EEENS1_30default_config_static_selectorELNS0_4arch9wavefront6targetE0EEEvT1_.has_indirect_call, 0
	.section	.AMDGPU.csdata,"",@progbits
; Kernel info:
; codeLenInByte = 0
; TotalNumSgprs: 0
; NumVgprs: 0
; ScratchSize: 0
; MemoryBound: 0
; FloatMode: 240
; IeeeMode: 1
; LDSByteSize: 0 bytes/workgroup (compile time only)
; SGPRBlocks: 0
; VGPRBlocks: 0
; NumSGPRsForWavesPerEU: 1
; NumVGPRsForWavesPerEU: 1
; Occupancy: 16
; WaveLimiterHint : 0
; COMPUTE_PGM_RSRC2:SCRATCH_EN: 0
; COMPUTE_PGM_RSRC2:USER_SGPR: 2
; COMPUTE_PGM_RSRC2:TRAP_HANDLER: 0
; COMPUTE_PGM_RSRC2:TGID_X_EN: 1
; COMPUTE_PGM_RSRC2:TGID_Y_EN: 0
; COMPUTE_PGM_RSRC2:TGID_Z_EN: 0
; COMPUTE_PGM_RSRC2:TIDIG_COMP_CNT: 0
	.section	.text._ZN7rocprim17ROCPRIM_400000_NS6detail17trampoline_kernelINS0_14default_configENS1_25partition_config_selectorILNS1_17partition_subalgoE6EfNS0_10empty_typeEbEEZZNS1_14partition_implILS5_6ELb0ES3_mN6thrust23THRUST_200600_302600_NS6detail15normal_iteratorINSA_10device_ptrIfEEEEPS6_SG_NS0_5tupleIJSF_S6_EEENSH_IJSG_SG_EEES6_PlJNSB_9not_fun_tINSB_14equal_to_valueIfEEEEEEE10hipError_tPvRmT3_T4_T5_T6_T7_T9_mT8_P12ihipStream_tbDpT10_ENKUlT_T0_E_clISt17integral_constantIbLb1EES17_IbLb0EEEEDaS13_S14_EUlS13_E_NS1_11comp_targetILNS1_3genE2ELNS1_11target_archE906ELNS1_3gpuE6ELNS1_3repE0EEENS1_30default_config_static_selectorELNS0_4arch9wavefront6targetE0EEEvT1_,"axG",@progbits,_ZN7rocprim17ROCPRIM_400000_NS6detail17trampoline_kernelINS0_14default_configENS1_25partition_config_selectorILNS1_17partition_subalgoE6EfNS0_10empty_typeEbEEZZNS1_14partition_implILS5_6ELb0ES3_mN6thrust23THRUST_200600_302600_NS6detail15normal_iteratorINSA_10device_ptrIfEEEEPS6_SG_NS0_5tupleIJSF_S6_EEENSH_IJSG_SG_EEES6_PlJNSB_9not_fun_tINSB_14equal_to_valueIfEEEEEEE10hipError_tPvRmT3_T4_T5_T6_T7_T9_mT8_P12ihipStream_tbDpT10_ENKUlT_T0_E_clISt17integral_constantIbLb1EES17_IbLb0EEEEDaS13_S14_EUlS13_E_NS1_11comp_targetILNS1_3genE2ELNS1_11target_archE906ELNS1_3gpuE6ELNS1_3repE0EEENS1_30default_config_static_selectorELNS0_4arch9wavefront6targetE0EEEvT1_,comdat
	.protected	_ZN7rocprim17ROCPRIM_400000_NS6detail17trampoline_kernelINS0_14default_configENS1_25partition_config_selectorILNS1_17partition_subalgoE6EfNS0_10empty_typeEbEEZZNS1_14partition_implILS5_6ELb0ES3_mN6thrust23THRUST_200600_302600_NS6detail15normal_iteratorINSA_10device_ptrIfEEEEPS6_SG_NS0_5tupleIJSF_S6_EEENSH_IJSG_SG_EEES6_PlJNSB_9not_fun_tINSB_14equal_to_valueIfEEEEEEE10hipError_tPvRmT3_T4_T5_T6_T7_T9_mT8_P12ihipStream_tbDpT10_ENKUlT_T0_E_clISt17integral_constantIbLb1EES17_IbLb0EEEEDaS13_S14_EUlS13_E_NS1_11comp_targetILNS1_3genE2ELNS1_11target_archE906ELNS1_3gpuE6ELNS1_3repE0EEENS1_30default_config_static_selectorELNS0_4arch9wavefront6targetE0EEEvT1_ ; -- Begin function _ZN7rocprim17ROCPRIM_400000_NS6detail17trampoline_kernelINS0_14default_configENS1_25partition_config_selectorILNS1_17partition_subalgoE6EfNS0_10empty_typeEbEEZZNS1_14partition_implILS5_6ELb0ES3_mN6thrust23THRUST_200600_302600_NS6detail15normal_iteratorINSA_10device_ptrIfEEEEPS6_SG_NS0_5tupleIJSF_S6_EEENSH_IJSG_SG_EEES6_PlJNSB_9not_fun_tINSB_14equal_to_valueIfEEEEEEE10hipError_tPvRmT3_T4_T5_T6_T7_T9_mT8_P12ihipStream_tbDpT10_ENKUlT_T0_E_clISt17integral_constantIbLb1EES17_IbLb0EEEEDaS13_S14_EUlS13_E_NS1_11comp_targetILNS1_3genE2ELNS1_11target_archE906ELNS1_3gpuE6ELNS1_3repE0EEENS1_30default_config_static_selectorELNS0_4arch9wavefront6targetE0EEEvT1_
	.globl	_ZN7rocprim17ROCPRIM_400000_NS6detail17trampoline_kernelINS0_14default_configENS1_25partition_config_selectorILNS1_17partition_subalgoE6EfNS0_10empty_typeEbEEZZNS1_14partition_implILS5_6ELb0ES3_mN6thrust23THRUST_200600_302600_NS6detail15normal_iteratorINSA_10device_ptrIfEEEEPS6_SG_NS0_5tupleIJSF_S6_EEENSH_IJSG_SG_EEES6_PlJNSB_9not_fun_tINSB_14equal_to_valueIfEEEEEEE10hipError_tPvRmT3_T4_T5_T6_T7_T9_mT8_P12ihipStream_tbDpT10_ENKUlT_T0_E_clISt17integral_constantIbLb1EES17_IbLb0EEEEDaS13_S14_EUlS13_E_NS1_11comp_targetILNS1_3genE2ELNS1_11target_archE906ELNS1_3gpuE6ELNS1_3repE0EEENS1_30default_config_static_selectorELNS0_4arch9wavefront6targetE0EEEvT1_
	.p2align	8
	.type	_ZN7rocprim17ROCPRIM_400000_NS6detail17trampoline_kernelINS0_14default_configENS1_25partition_config_selectorILNS1_17partition_subalgoE6EfNS0_10empty_typeEbEEZZNS1_14partition_implILS5_6ELb0ES3_mN6thrust23THRUST_200600_302600_NS6detail15normal_iteratorINSA_10device_ptrIfEEEEPS6_SG_NS0_5tupleIJSF_S6_EEENSH_IJSG_SG_EEES6_PlJNSB_9not_fun_tINSB_14equal_to_valueIfEEEEEEE10hipError_tPvRmT3_T4_T5_T6_T7_T9_mT8_P12ihipStream_tbDpT10_ENKUlT_T0_E_clISt17integral_constantIbLb1EES17_IbLb0EEEEDaS13_S14_EUlS13_E_NS1_11comp_targetILNS1_3genE2ELNS1_11target_archE906ELNS1_3gpuE6ELNS1_3repE0EEENS1_30default_config_static_selectorELNS0_4arch9wavefront6targetE0EEEvT1_,@function
_ZN7rocprim17ROCPRIM_400000_NS6detail17trampoline_kernelINS0_14default_configENS1_25partition_config_selectorILNS1_17partition_subalgoE6EfNS0_10empty_typeEbEEZZNS1_14partition_implILS5_6ELb0ES3_mN6thrust23THRUST_200600_302600_NS6detail15normal_iteratorINSA_10device_ptrIfEEEEPS6_SG_NS0_5tupleIJSF_S6_EEENSH_IJSG_SG_EEES6_PlJNSB_9not_fun_tINSB_14equal_to_valueIfEEEEEEE10hipError_tPvRmT3_T4_T5_T6_T7_T9_mT8_P12ihipStream_tbDpT10_ENKUlT_T0_E_clISt17integral_constantIbLb1EES17_IbLb0EEEEDaS13_S14_EUlS13_E_NS1_11comp_targetILNS1_3genE2ELNS1_11target_archE906ELNS1_3gpuE6ELNS1_3repE0EEENS1_30default_config_static_selectorELNS0_4arch9wavefront6targetE0EEEvT1_: ; @_ZN7rocprim17ROCPRIM_400000_NS6detail17trampoline_kernelINS0_14default_configENS1_25partition_config_selectorILNS1_17partition_subalgoE6EfNS0_10empty_typeEbEEZZNS1_14partition_implILS5_6ELb0ES3_mN6thrust23THRUST_200600_302600_NS6detail15normal_iteratorINSA_10device_ptrIfEEEEPS6_SG_NS0_5tupleIJSF_S6_EEENSH_IJSG_SG_EEES6_PlJNSB_9not_fun_tINSB_14equal_to_valueIfEEEEEEE10hipError_tPvRmT3_T4_T5_T6_T7_T9_mT8_P12ihipStream_tbDpT10_ENKUlT_T0_E_clISt17integral_constantIbLb1EES17_IbLb0EEEEDaS13_S14_EUlS13_E_NS1_11comp_targetILNS1_3genE2ELNS1_11target_archE906ELNS1_3gpuE6ELNS1_3repE0EEENS1_30default_config_static_selectorELNS0_4arch9wavefront6targetE0EEEvT1_
; %bb.0:
	.section	.rodata,"a",@progbits
	.p2align	6, 0x0
	.amdhsa_kernel _ZN7rocprim17ROCPRIM_400000_NS6detail17trampoline_kernelINS0_14default_configENS1_25partition_config_selectorILNS1_17partition_subalgoE6EfNS0_10empty_typeEbEEZZNS1_14partition_implILS5_6ELb0ES3_mN6thrust23THRUST_200600_302600_NS6detail15normal_iteratorINSA_10device_ptrIfEEEEPS6_SG_NS0_5tupleIJSF_S6_EEENSH_IJSG_SG_EEES6_PlJNSB_9not_fun_tINSB_14equal_to_valueIfEEEEEEE10hipError_tPvRmT3_T4_T5_T6_T7_T9_mT8_P12ihipStream_tbDpT10_ENKUlT_T0_E_clISt17integral_constantIbLb1EES17_IbLb0EEEEDaS13_S14_EUlS13_E_NS1_11comp_targetILNS1_3genE2ELNS1_11target_archE906ELNS1_3gpuE6ELNS1_3repE0EEENS1_30default_config_static_selectorELNS0_4arch9wavefront6targetE0EEEvT1_
		.amdhsa_group_segment_fixed_size 0
		.amdhsa_private_segment_fixed_size 0
		.amdhsa_kernarg_size 120
		.amdhsa_user_sgpr_count 2
		.amdhsa_user_sgpr_dispatch_ptr 0
		.amdhsa_user_sgpr_queue_ptr 0
		.amdhsa_user_sgpr_kernarg_segment_ptr 1
		.amdhsa_user_sgpr_dispatch_id 0
		.amdhsa_user_sgpr_private_segment_size 0
		.amdhsa_wavefront_size32 1
		.amdhsa_uses_dynamic_stack 0
		.amdhsa_enable_private_segment 0
		.amdhsa_system_sgpr_workgroup_id_x 1
		.amdhsa_system_sgpr_workgroup_id_y 0
		.amdhsa_system_sgpr_workgroup_id_z 0
		.amdhsa_system_sgpr_workgroup_info 0
		.amdhsa_system_vgpr_workitem_id 0
		.amdhsa_next_free_vgpr 1
		.amdhsa_next_free_sgpr 1
		.amdhsa_reserve_vcc 0
		.amdhsa_float_round_mode_32 0
		.amdhsa_float_round_mode_16_64 0
		.amdhsa_float_denorm_mode_32 3
		.amdhsa_float_denorm_mode_16_64 3
		.amdhsa_fp16_overflow 0
		.amdhsa_workgroup_processor_mode 1
		.amdhsa_memory_ordered 1
		.amdhsa_forward_progress 1
		.amdhsa_inst_pref_size 0
		.amdhsa_round_robin_scheduling 0
		.amdhsa_exception_fp_ieee_invalid_op 0
		.amdhsa_exception_fp_denorm_src 0
		.amdhsa_exception_fp_ieee_div_zero 0
		.amdhsa_exception_fp_ieee_overflow 0
		.amdhsa_exception_fp_ieee_underflow 0
		.amdhsa_exception_fp_ieee_inexact 0
		.amdhsa_exception_int_div_zero 0
	.end_amdhsa_kernel
	.section	.text._ZN7rocprim17ROCPRIM_400000_NS6detail17trampoline_kernelINS0_14default_configENS1_25partition_config_selectorILNS1_17partition_subalgoE6EfNS0_10empty_typeEbEEZZNS1_14partition_implILS5_6ELb0ES3_mN6thrust23THRUST_200600_302600_NS6detail15normal_iteratorINSA_10device_ptrIfEEEEPS6_SG_NS0_5tupleIJSF_S6_EEENSH_IJSG_SG_EEES6_PlJNSB_9not_fun_tINSB_14equal_to_valueIfEEEEEEE10hipError_tPvRmT3_T4_T5_T6_T7_T9_mT8_P12ihipStream_tbDpT10_ENKUlT_T0_E_clISt17integral_constantIbLb1EES17_IbLb0EEEEDaS13_S14_EUlS13_E_NS1_11comp_targetILNS1_3genE2ELNS1_11target_archE906ELNS1_3gpuE6ELNS1_3repE0EEENS1_30default_config_static_selectorELNS0_4arch9wavefront6targetE0EEEvT1_,"axG",@progbits,_ZN7rocprim17ROCPRIM_400000_NS6detail17trampoline_kernelINS0_14default_configENS1_25partition_config_selectorILNS1_17partition_subalgoE6EfNS0_10empty_typeEbEEZZNS1_14partition_implILS5_6ELb0ES3_mN6thrust23THRUST_200600_302600_NS6detail15normal_iteratorINSA_10device_ptrIfEEEEPS6_SG_NS0_5tupleIJSF_S6_EEENSH_IJSG_SG_EEES6_PlJNSB_9not_fun_tINSB_14equal_to_valueIfEEEEEEE10hipError_tPvRmT3_T4_T5_T6_T7_T9_mT8_P12ihipStream_tbDpT10_ENKUlT_T0_E_clISt17integral_constantIbLb1EES17_IbLb0EEEEDaS13_S14_EUlS13_E_NS1_11comp_targetILNS1_3genE2ELNS1_11target_archE906ELNS1_3gpuE6ELNS1_3repE0EEENS1_30default_config_static_selectorELNS0_4arch9wavefront6targetE0EEEvT1_,comdat
.Lfunc_end329:
	.size	_ZN7rocprim17ROCPRIM_400000_NS6detail17trampoline_kernelINS0_14default_configENS1_25partition_config_selectorILNS1_17partition_subalgoE6EfNS0_10empty_typeEbEEZZNS1_14partition_implILS5_6ELb0ES3_mN6thrust23THRUST_200600_302600_NS6detail15normal_iteratorINSA_10device_ptrIfEEEEPS6_SG_NS0_5tupleIJSF_S6_EEENSH_IJSG_SG_EEES6_PlJNSB_9not_fun_tINSB_14equal_to_valueIfEEEEEEE10hipError_tPvRmT3_T4_T5_T6_T7_T9_mT8_P12ihipStream_tbDpT10_ENKUlT_T0_E_clISt17integral_constantIbLb1EES17_IbLb0EEEEDaS13_S14_EUlS13_E_NS1_11comp_targetILNS1_3genE2ELNS1_11target_archE906ELNS1_3gpuE6ELNS1_3repE0EEENS1_30default_config_static_selectorELNS0_4arch9wavefront6targetE0EEEvT1_, .Lfunc_end329-_ZN7rocprim17ROCPRIM_400000_NS6detail17trampoline_kernelINS0_14default_configENS1_25partition_config_selectorILNS1_17partition_subalgoE6EfNS0_10empty_typeEbEEZZNS1_14partition_implILS5_6ELb0ES3_mN6thrust23THRUST_200600_302600_NS6detail15normal_iteratorINSA_10device_ptrIfEEEEPS6_SG_NS0_5tupleIJSF_S6_EEENSH_IJSG_SG_EEES6_PlJNSB_9not_fun_tINSB_14equal_to_valueIfEEEEEEE10hipError_tPvRmT3_T4_T5_T6_T7_T9_mT8_P12ihipStream_tbDpT10_ENKUlT_T0_E_clISt17integral_constantIbLb1EES17_IbLb0EEEEDaS13_S14_EUlS13_E_NS1_11comp_targetILNS1_3genE2ELNS1_11target_archE906ELNS1_3gpuE6ELNS1_3repE0EEENS1_30default_config_static_selectorELNS0_4arch9wavefront6targetE0EEEvT1_
                                        ; -- End function
	.set _ZN7rocprim17ROCPRIM_400000_NS6detail17trampoline_kernelINS0_14default_configENS1_25partition_config_selectorILNS1_17partition_subalgoE6EfNS0_10empty_typeEbEEZZNS1_14partition_implILS5_6ELb0ES3_mN6thrust23THRUST_200600_302600_NS6detail15normal_iteratorINSA_10device_ptrIfEEEEPS6_SG_NS0_5tupleIJSF_S6_EEENSH_IJSG_SG_EEES6_PlJNSB_9not_fun_tINSB_14equal_to_valueIfEEEEEEE10hipError_tPvRmT3_T4_T5_T6_T7_T9_mT8_P12ihipStream_tbDpT10_ENKUlT_T0_E_clISt17integral_constantIbLb1EES17_IbLb0EEEEDaS13_S14_EUlS13_E_NS1_11comp_targetILNS1_3genE2ELNS1_11target_archE906ELNS1_3gpuE6ELNS1_3repE0EEENS1_30default_config_static_selectorELNS0_4arch9wavefront6targetE0EEEvT1_.num_vgpr, 0
	.set _ZN7rocprim17ROCPRIM_400000_NS6detail17trampoline_kernelINS0_14default_configENS1_25partition_config_selectorILNS1_17partition_subalgoE6EfNS0_10empty_typeEbEEZZNS1_14partition_implILS5_6ELb0ES3_mN6thrust23THRUST_200600_302600_NS6detail15normal_iteratorINSA_10device_ptrIfEEEEPS6_SG_NS0_5tupleIJSF_S6_EEENSH_IJSG_SG_EEES6_PlJNSB_9not_fun_tINSB_14equal_to_valueIfEEEEEEE10hipError_tPvRmT3_T4_T5_T6_T7_T9_mT8_P12ihipStream_tbDpT10_ENKUlT_T0_E_clISt17integral_constantIbLb1EES17_IbLb0EEEEDaS13_S14_EUlS13_E_NS1_11comp_targetILNS1_3genE2ELNS1_11target_archE906ELNS1_3gpuE6ELNS1_3repE0EEENS1_30default_config_static_selectorELNS0_4arch9wavefront6targetE0EEEvT1_.num_agpr, 0
	.set _ZN7rocprim17ROCPRIM_400000_NS6detail17trampoline_kernelINS0_14default_configENS1_25partition_config_selectorILNS1_17partition_subalgoE6EfNS0_10empty_typeEbEEZZNS1_14partition_implILS5_6ELb0ES3_mN6thrust23THRUST_200600_302600_NS6detail15normal_iteratorINSA_10device_ptrIfEEEEPS6_SG_NS0_5tupleIJSF_S6_EEENSH_IJSG_SG_EEES6_PlJNSB_9not_fun_tINSB_14equal_to_valueIfEEEEEEE10hipError_tPvRmT3_T4_T5_T6_T7_T9_mT8_P12ihipStream_tbDpT10_ENKUlT_T0_E_clISt17integral_constantIbLb1EES17_IbLb0EEEEDaS13_S14_EUlS13_E_NS1_11comp_targetILNS1_3genE2ELNS1_11target_archE906ELNS1_3gpuE6ELNS1_3repE0EEENS1_30default_config_static_selectorELNS0_4arch9wavefront6targetE0EEEvT1_.numbered_sgpr, 0
	.set _ZN7rocprim17ROCPRIM_400000_NS6detail17trampoline_kernelINS0_14default_configENS1_25partition_config_selectorILNS1_17partition_subalgoE6EfNS0_10empty_typeEbEEZZNS1_14partition_implILS5_6ELb0ES3_mN6thrust23THRUST_200600_302600_NS6detail15normal_iteratorINSA_10device_ptrIfEEEEPS6_SG_NS0_5tupleIJSF_S6_EEENSH_IJSG_SG_EEES6_PlJNSB_9not_fun_tINSB_14equal_to_valueIfEEEEEEE10hipError_tPvRmT3_T4_T5_T6_T7_T9_mT8_P12ihipStream_tbDpT10_ENKUlT_T0_E_clISt17integral_constantIbLb1EES17_IbLb0EEEEDaS13_S14_EUlS13_E_NS1_11comp_targetILNS1_3genE2ELNS1_11target_archE906ELNS1_3gpuE6ELNS1_3repE0EEENS1_30default_config_static_selectorELNS0_4arch9wavefront6targetE0EEEvT1_.num_named_barrier, 0
	.set _ZN7rocprim17ROCPRIM_400000_NS6detail17trampoline_kernelINS0_14default_configENS1_25partition_config_selectorILNS1_17partition_subalgoE6EfNS0_10empty_typeEbEEZZNS1_14partition_implILS5_6ELb0ES3_mN6thrust23THRUST_200600_302600_NS6detail15normal_iteratorINSA_10device_ptrIfEEEEPS6_SG_NS0_5tupleIJSF_S6_EEENSH_IJSG_SG_EEES6_PlJNSB_9not_fun_tINSB_14equal_to_valueIfEEEEEEE10hipError_tPvRmT3_T4_T5_T6_T7_T9_mT8_P12ihipStream_tbDpT10_ENKUlT_T0_E_clISt17integral_constantIbLb1EES17_IbLb0EEEEDaS13_S14_EUlS13_E_NS1_11comp_targetILNS1_3genE2ELNS1_11target_archE906ELNS1_3gpuE6ELNS1_3repE0EEENS1_30default_config_static_selectorELNS0_4arch9wavefront6targetE0EEEvT1_.private_seg_size, 0
	.set _ZN7rocprim17ROCPRIM_400000_NS6detail17trampoline_kernelINS0_14default_configENS1_25partition_config_selectorILNS1_17partition_subalgoE6EfNS0_10empty_typeEbEEZZNS1_14partition_implILS5_6ELb0ES3_mN6thrust23THRUST_200600_302600_NS6detail15normal_iteratorINSA_10device_ptrIfEEEEPS6_SG_NS0_5tupleIJSF_S6_EEENSH_IJSG_SG_EEES6_PlJNSB_9not_fun_tINSB_14equal_to_valueIfEEEEEEE10hipError_tPvRmT3_T4_T5_T6_T7_T9_mT8_P12ihipStream_tbDpT10_ENKUlT_T0_E_clISt17integral_constantIbLb1EES17_IbLb0EEEEDaS13_S14_EUlS13_E_NS1_11comp_targetILNS1_3genE2ELNS1_11target_archE906ELNS1_3gpuE6ELNS1_3repE0EEENS1_30default_config_static_selectorELNS0_4arch9wavefront6targetE0EEEvT1_.uses_vcc, 0
	.set _ZN7rocprim17ROCPRIM_400000_NS6detail17trampoline_kernelINS0_14default_configENS1_25partition_config_selectorILNS1_17partition_subalgoE6EfNS0_10empty_typeEbEEZZNS1_14partition_implILS5_6ELb0ES3_mN6thrust23THRUST_200600_302600_NS6detail15normal_iteratorINSA_10device_ptrIfEEEEPS6_SG_NS0_5tupleIJSF_S6_EEENSH_IJSG_SG_EEES6_PlJNSB_9not_fun_tINSB_14equal_to_valueIfEEEEEEE10hipError_tPvRmT3_T4_T5_T6_T7_T9_mT8_P12ihipStream_tbDpT10_ENKUlT_T0_E_clISt17integral_constantIbLb1EES17_IbLb0EEEEDaS13_S14_EUlS13_E_NS1_11comp_targetILNS1_3genE2ELNS1_11target_archE906ELNS1_3gpuE6ELNS1_3repE0EEENS1_30default_config_static_selectorELNS0_4arch9wavefront6targetE0EEEvT1_.uses_flat_scratch, 0
	.set _ZN7rocprim17ROCPRIM_400000_NS6detail17trampoline_kernelINS0_14default_configENS1_25partition_config_selectorILNS1_17partition_subalgoE6EfNS0_10empty_typeEbEEZZNS1_14partition_implILS5_6ELb0ES3_mN6thrust23THRUST_200600_302600_NS6detail15normal_iteratorINSA_10device_ptrIfEEEEPS6_SG_NS0_5tupleIJSF_S6_EEENSH_IJSG_SG_EEES6_PlJNSB_9not_fun_tINSB_14equal_to_valueIfEEEEEEE10hipError_tPvRmT3_T4_T5_T6_T7_T9_mT8_P12ihipStream_tbDpT10_ENKUlT_T0_E_clISt17integral_constantIbLb1EES17_IbLb0EEEEDaS13_S14_EUlS13_E_NS1_11comp_targetILNS1_3genE2ELNS1_11target_archE906ELNS1_3gpuE6ELNS1_3repE0EEENS1_30default_config_static_selectorELNS0_4arch9wavefront6targetE0EEEvT1_.has_dyn_sized_stack, 0
	.set _ZN7rocprim17ROCPRIM_400000_NS6detail17trampoline_kernelINS0_14default_configENS1_25partition_config_selectorILNS1_17partition_subalgoE6EfNS0_10empty_typeEbEEZZNS1_14partition_implILS5_6ELb0ES3_mN6thrust23THRUST_200600_302600_NS6detail15normal_iteratorINSA_10device_ptrIfEEEEPS6_SG_NS0_5tupleIJSF_S6_EEENSH_IJSG_SG_EEES6_PlJNSB_9not_fun_tINSB_14equal_to_valueIfEEEEEEE10hipError_tPvRmT3_T4_T5_T6_T7_T9_mT8_P12ihipStream_tbDpT10_ENKUlT_T0_E_clISt17integral_constantIbLb1EES17_IbLb0EEEEDaS13_S14_EUlS13_E_NS1_11comp_targetILNS1_3genE2ELNS1_11target_archE906ELNS1_3gpuE6ELNS1_3repE0EEENS1_30default_config_static_selectorELNS0_4arch9wavefront6targetE0EEEvT1_.has_recursion, 0
	.set _ZN7rocprim17ROCPRIM_400000_NS6detail17trampoline_kernelINS0_14default_configENS1_25partition_config_selectorILNS1_17partition_subalgoE6EfNS0_10empty_typeEbEEZZNS1_14partition_implILS5_6ELb0ES3_mN6thrust23THRUST_200600_302600_NS6detail15normal_iteratorINSA_10device_ptrIfEEEEPS6_SG_NS0_5tupleIJSF_S6_EEENSH_IJSG_SG_EEES6_PlJNSB_9not_fun_tINSB_14equal_to_valueIfEEEEEEE10hipError_tPvRmT3_T4_T5_T6_T7_T9_mT8_P12ihipStream_tbDpT10_ENKUlT_T0_E_clISt17integral_constantIbLb1EES17_IbLb0EEEEDaS13_S14_EUlS13_E_NS1_11comp_targetILNS1_3genE2ELNS1_11target_archE906ELNS1_3gpuE6ELNS1_3repE0EEENS1_30default_config_static_selectorELNS0_4arch9wavefront6targetE0EEEvT1_.has_indirect_call, 0
	.section	.AMDGPU.csdata,"",@progbits
; Kernel info:
; codeLenInByte = 0
; TotalNumSgprs: 0
; NumVgprs: 0
; ScratchSize: 0
; MemoryBound: 0
; FloatMode: 240
; IeeeMode: 1
; LDSByteSize: 0 bytes/workgroup (compile time only)
; SGPRBlocks: 0
; VGPRBlocks: 0
; NumSGPRsForWavesPerEU: 1
; NumVGPRsForWavesPerEU: 1
; Occupancy: 16
; WaveLimiterHint : 0
; COMPUTE_PGM_RSRC2:SCRATCH_EN: 0
; COMPUTE_PGM_RSRC2:USER_SGPR: 2
; COMPUTE_PGM_RSRC2:TRAP_HANDLER: 0
; COMPUTE_PGM_RSRC2:TGID_X_EN: 1
; COMPUTE_PGM_RSRC2:TGID_Y_EN: 0
; COMPUTE_PGM_RSRC2:TGID_Z_EN: 0
; COMPUTE_PGM_RSRC2:TIDIG_COMP_CNT: 0
	.section	.text._ZN7rocprim17ROCPRIM_400000_NS6detail17trampoline_kernelINS0_14default_configENS1_25partition_config_selectorILNS1_17partition_subalgoE6EfNS0_10empty_typeEbEEZZNS1_14partition_implILS5_6ELb0ES3_mN6thrust23THRUST_200600_302600_NS6detail15normal_iteratorINSA_10device_ptrIfEEEEPS6_SG_NS0_5tupleIJSF_S6_EEENSH_IJSG_SG_EEES6_PlJNSB_9not_fun_tINSB_14equal_to_valueIfEEEEEEE10hipError_tPvRmT3_T4_T5_T6_T7_T9_mT8_P12ihipStream_tbDpT10_ENKUlT_T0_E_clISt17integral_constantIbLb1EES17_IbLb0EEEEDaS13_S14_EUlS13_E_NS1_11comp_targetILNS1_3genE10ELNS1_11target_archE1200ELNS1_3gpuE4ELNS1_3repE0EEENS1_30default_config_static_selectorELNS0_4arch9wavefront6targetE0EEEvT1_,"axG",@progbits,_ZN7rocprim17ROCPRIM_400000_NS6detail17trampoline_kernelINS0_14default_configENS1_25partition_config_selectorILNS1_17partition_subalgoE6EfNS0_10empty_typeEbEEZZNS1_14partition_implILS5_6ELb0ES3_mN6thrust23THRUST_200600_302600_NS6detail15normal_iteratorINSA_10device_ptrIfEEEEPS6_SG_NS0_5tupleIJSF_S6_EEENSH_IJSG_SG_EEES6_PlJNSB_9not_fun_tINSB_14equal_to_valueIfEEEEEEE10hipError_tPvRmT3_T4_T5_T6_T7_T9_mT8_P12ihipStream_tbDpT10_ENKUlT_T0_E_clISt17integral_constantIbLb1EES17_IbLb0EEEEDaS13_S14_EUlS13_E_NS1_11comp_targetILNS1_3genE10ELNS1_11target_archE1200ELNS1_3gpuE4ELNS1_3repE0EEENS1_30default_config_static_selectorELNS0_4arch9wavefront6targetE0EEEvT1_,comdat
	.protected	_ZN7rocprim17ROCPRIM_400000_NS6detail17trampoline_kernelINS0_14default_configENS1_25partition_config_selectorILNS1_17partition_subalgoE6EfNS0_10empty_typeEbEEZZNS1_14partition_implILS5_6ELb0ES3_mN6thrust23THRUST_200600_302600_NS6detail15normal_iteratorINSA_10device_ptrIfEEEEPS6_SG_NS0_5tupleIJSF_S6_EEENSH_IJSG_SG_EEES6_PlJNSB_9not_fun_tINSB_14equal_to_valueIfEEEEEEE10hipError_tPvRmT3_T4_T5_T6_T7_T9_mT8_P12ihipStream_tbDpT10_ENKUlT_T0_E_clISt17integral_constantIbLb1EES17_IbLb0EEEEDaS13_S14_EUlS13_E_NS1_11comp_targetILNS1_3genE10ELNS1_11target_archE1200ELNS1_3gpuE4ELNS1_3repE0EEENS1_30default_config_static_selectorELNS0_4arch9wavefront6targetE0EEEvT1_ ; -- Begin function _ZN7rocprim17ROCPRIM_400000_NS6detail17trampoline_kernelINS0_14default_configENS1_25partition_config_selectorILNS1_17partition_subalgoE6EfNS0_10empty_typeEbEEZZNS1_14partition_implILS5_6ELb0ES3_mN6thrust23THRUST_200600_302600_NS6detail15normal_iteratorINSA_10device_ptrIfEEEEPS6_SG_NS0_5tupleIJSF_S6_EEENSH_IJSG_SG_EEES6_PlJNSB_9not_fun_tINSB_14equal_to_valueIfEEEEEEE10hipError_tPvRmT3_T4_T5_T6_T7_T9_mT8_P12ihipStream_tbDpT10_ENKUlT_T0_E_clISt17integral_constantIbLb1EES17_IbLb0EEEEDaS13_S14_EUlS13_E_NS1_11comp_targetILNS1_3genE10ELNS1_11target_archE1200ELNS1_3gpuE4ELNS1_3repE0EEENS1_30default_config_static_selectorELNS0_4arch9wavefront6targetE0EEEvT1_
	.globl	_ZN7rocprim17ROCPRIM_400000_NS6detail17trampoline_kernelINS0_14default_configENS1_25partition_config_selectorILNS1_17partition_subalgoE6EfNS0_10empty_typeEbEEZZNS1_14partition_implILS5_6ELb0ES3_mN6thrust23THRUST_200600_302600_NS6detail15normal_iteratorINSA_10device_ptrIfEEEEPS6_SG_NS0_5tupleIJSF_S6_EEENSH_IJSG_SG_EEES6_PlJNSB_9not_fun_tINSB_14equal_to_valueIfEEEEEEE10hipError_tPvRmT3_T4_T5_T6_T7_T9_mT8_P12ihipStream_tbDpT10_ENKUlT_T0_E_clISt17integral_constantIbLb1EES17_IbLb0EEEEDaS13_S14_EUlS13_E_NS1_11comp_targetILNS1_3genE10ELNS1_11target_archE1200ELNS1_3gpuE4ELNS1_3repE0EEENS1_30default_config_static_selectorELNS0_4arch9wavefront6targetE0EEEvT1_
	.p2align	8
	.type	_ZN7rocprim17ROCPRIM_400000_NS6detail17trampoline_kernelINS0_14default_configENS1_25partition_config_selectorILNS1_17partition_subalgoE6EfNS0_10empty_typeEbEEZZNS1_14partition_implILS5_6ELb0ES3_mN6thrust23THRUST_200600_302600_NS6detail15normal_iteratorINSA_10device_ptrIfEEEEPS6_SG_NS0_5tupleIJSF_S6_EEENSH_IJSG_SG_EEES6_PlJNSB_9not_fun_tINSB_14equal_to_valueIfEEEEEEE10hipError_tPvRmT3_T4_T5_T6_T7_T9_mT8_P12ihipStream_tbDpT10_ENKUlT_T0_E_clISt17integral_constantIbLb1EES17_IbLb0EEEEDaS13_S14_EUlS13_E_NS1_11comp_targetILNS1_3genE10ELNS1_11target_archE1200ELNS1_3gpuE4ELNS1_3repE0EEENS1_30default_config_static_selectorELNS0_4arch9wavefront6targetE0EEEvT1_,@function
_ZN7rocprim17ROCPRIM_400000_NS6detail17trampoline_kernelINS0_14default_configENS1_25partition_config_selectorILNS1_17partition_subalgoE6EfNS0_10empty_typeEbEEZZNS1_14partition_implILS5_6ELb0ES3_mN6thrust23THRUST_200600_302600_NS6detail15normal_iteratorINSA_10device_ptrIfEEEEPS6_SG_NS0_5tupleIJSF_S6_EEENSH_IJSG_SG_EEES6_PlJNSB_9not_fun_tINSB_14equal_to_valueIfEEEEEEE10hipError_tPvRmT3_T4_T5_T6_T7_T9_mT8_P12ihipStream_tbDpT10_ENKUlT_T0_E_clISt17integral_constantIbLb1EES17_IbLb0EEEEDaS13_S14_EUlS13_E_NS1_11comp_targetILNS1_3genE10ELNS1_11target_archE1200ELNS1_3gpuE4ELNS1_3repE0EEENS1_30default_config_static_selectorELNS0_4arch9wavefront6targetE0EEEvT1_: ; @_ZN7rocprim17ROCPRIM_400000_NS6detail17trampoline_kernelINS0_14default_configENS1_25partition_config_selectorILNS1_17partition_subalgoE6EfNS0_10empty_typeEbEEZZNS1_14partition_implILS5_6ELb0ES3_mN6thrust23THRUST_200600_302600_NS6detail15normal_iteratorINSA_10device_ptrIfEEEEPS6_SG_NS0_5tupleIJSF_S6_EEENSH_IJSG_SG_EEES6_PlJNSB_9not_fun_tINSB_14equal_to_valueIfEEEEEEE10hipError_tPvRmT3_T4_T5_T6_T7_T9_mT8_P12ihipStream_tbDpT10_ENKUlT_T0_E_clISt17integral_constantIbLb1EES17_IbLb0EEEEDaS13_S14_EUlS13_E_NS1_11comp_targetILNS1_3genE10ELNS1_11target_archE1200ELNS1_3gpuE4ELNS1_3repE0EEENS1_30default_config_static_selectorELNS0_4arch9wavefront6targetE0EEEvT1_
; %bb.0:
	s_endpgm
	.section	.rodata,"a",@progbits
	.p2align	6, 0x0
	.amdhsa_kernel _ZN7rocprim17ROCPRIM_400000_NS6detail17trampoline_kernelINS0_14default_configENS1_25partition_config_selectorILNS1_17partition_subalgoE6EfNS0_10empty_typeEbEEZZNS1_14partition_implILS5_6ELb0ES3_mN6thrust23THRUST_200600_302600_NS6detail15normal_iteratorINSA_10device_ptrIfEEEEPS6_SG_NS0_5tupleIJSF_S6_EEENSH_IJSG_SG_EEES6_PlJNSB_9not_fun_tINSB_14equal_to_valueIfEEEEEEE10hipError_tPvRmT3_T4_T5_T6_T7_T9_mT8_P12ihipStream_tbDpT10_ENKUlT_T0_E_clISt17integral_constantIbLb1EES17_IbLb0EEEEDaS13_S14_EUlS13_E_NS1_11comp_targetILNS1_3genE10ELNS1_11target_archE1200ELNS1_3gpuE4ELNS1_3repE0EEENS1_30default_config_static_selectorELNS0_4arch9wavefront6targetE0EEEvT1_
		.amdhsa_group_segment_fixed_size 0
		.amdhsa_private_segment_fixed_size 0
		.amdhsa_kernarg_size 120
		.amdhsa_user_sgpr_count 2
		.amdhsa_user_sgpr_dispatch_ptr 0
		.amdhsa_user_sgpr_queue_ptr 0
		.amdhsa_user_sgpr_kernarg_segment_ptr 1
		.amdhsa_user_sgpr_dispatch_id 0
		.amdhsa_user_sgpr_private_segment_size 0
		.amdhsa_wavefront_size32 1
		.amdhsa_uses_dynamic_stack 0
		.amdhsa_enable_private_segment 0
		.amdhsa_system_sgpr_workgroup_id_x 1
		.amdhsa_system_sgpr_workgroup_id_y 0
		.amdhsa_system_sgpr_workgroup_id_z 0
		.amdhsa_system_sgpr_workgroup_info 0
		.amdhsa_system_vgpr_workitem_id 0
		.amdhsa_next_free_vgpr 1
		.amdhsa_next_free_sgpr 1
		.amdhsa_reserve_vcc 0
		.amdhsa_float_round_mode_32 0
		.amdhsa_float_round_mode_16_64 0
		.amdhsa_float_denorm_mode_32 3
		.amdhsa_float_denorm_mode_16_64 3
		.amdhsa_fp16_overflow 0
		.amdhsa_workgroup_processor_mode 1
		.amdhsa_memory_ordered 1
		.amdhsa_forward_progress 1
		.amdhsa_inst_pref_size 1
		.amdhsa_round_robin_scheduling 0
		.amdhsa_exception_fp_ieee_invalid_op 0
		.amdhsa_exception_fp_denorm_src 0
		.amdhsa_exception_fp_ieee_div_zero 0
		.amdhsa_exception_fp_ieee_overflow 0
		.amdhsa_exception_fp_ieee_underflow 0
		.amdhsa_exception_fp_ieee_inexact 0
		.amdhsa_exception_int_div_zero 0
	.end_amdhsa_kernel
	.section	.text._ZN7rocprim17ROCPRIM_400000_NS6detail17trampoline_kernelINS0_14default_configENS1_25partition_config_selectorILNS1_17partition_subalgoE6EfNS0_10empty_typeEbEEZZNS1_14partition_implILS5_6ELb0ES3_mN6thrust23THRUST_200600_302600_NS6detail15normal_iteratorINSA_10device_ptrIfEEEEPS6_SG_NS0_5tupleIJSF_S6_EEENSH_IJSG_SG_EEES6_PlJNSB_9not_fun_tINSB_14equal_to_valueIfEEEEEEE10hipError_tPvRmT3_T4_T5_T6_T7_T9_mT8_P12ihipStream_tbDpT10_ENKUlT_T0_E_clISt17integral_constantIbLb1EES17_IbLb0EEEEDaS13_S14_EUlS13_E_NS1_11comp_targetILNS1_3genE10ELNS1_11target_archE1200ELNS1_3gpuE4ELNS1_3repE0EEENS1_30default_config_static_selectorELNS0_4arch9wavefront6targetE0EEEvT1_,"axG",@progbits,_ZN7rocprim17ROCPRIM_400000_NS6detail17trampoline_kernelINS0_14default_configENS1_25partition_config_selectorILNS1_17partition_subalgoE6EfNS0_10empty_typeEbEEZZNS1_14partition_implILS5_6ELb0ES3_mN6thrust23THRUST_200600_302600_NS6detail15normal_iteratorINSA_10device_ptrIfEEEEPS6_SG_NS0_5tupleIJSF_S6_EEENSH_IJSG_SG_EEES6_PlJNSB_9not_fun_tINSB_14equal_to_valueIfEEEEEEE10hipError_tPvRmT3_T4_T5_T6_T7_T9_mT8_P12ihipStream_tbDpT10_ENKUlT_T0_E_clISt17integral_constantIbLb1EES17_IbLb0EEEEDaS13_S14_EUlS13_E_NS1_11comp_targetILNS1_3genE10ELNS1_11target_archE1200ELNS1_3gpuE4ELNS1_3repE0EEENS1_30default_config_static_selectorELNS0_4arch9wavefront6targetE0EEEvT1_,comdat
.Lfunc_end330:
	.size	_ZN7rocprim17ROCPRIM_400000_NS6detail17trampoline_kernelINS0_14default_configENS1_25partition_config_selectorILNS1_17partition_subalgoE6EfNS0_10empty_typeEbEEZZNS1_14partition_implILS5_6ELb0ES3_mN6thrust23THRUST_200600_302600_NS6detail15normal_iteratorINSA_10device_ptrIfEEEEPS6_SG_NS0_5tupleIJSF_S6_EEENSH_IJSG_SG_EEES6_PlJNSB_9not_fun_tINSB_14equal_to_valueIfEEEEEEE10hipError_tPvRmT3_T4_T5_T6_T7_T9_mT8_P12ihipStream_tbDpT10_ENKUlT_T0_E_clISt17integral_constantIbLb1EES17_IbLb0EEEEDaS13_S14_EUlS13_E_NS1_11comp_targetILNS1_3genE10ELNS1_11target_archE1200ELNS1_3gpuE4ELNS1_3repE0EEENS1_30default_config_static_selectorELNS0_4arch9wavefront6targetE0EEEvT1_, .Lfunc_end330-_ZN7rocprim17ROCPRIM_400000_NS6detail17trampoline_kernelINS0_14default_configENS1_25partition_config_selectorILNS1_17partition_subalgoE6EfNS0_10empty_typeEbEEZZNS1_14partition_implILS5_6ELb0ES3_mN6thrust23THRUST_200600_302600_NS6detail15normal_iteratorINSA_10device_ptrIfEEEEPS6_SG_NS0_5tupleIJSF_S6_EEENSH_IJSG_SG_EEES6_PlJNSB_9not_fun_tINSB_14equal_to_valueIfEEEEEEE10hipError_tPvRmT3_T4_T5_T6_T7_T9_mT8_P12ihipStream_tbDpT10_ENKUlT_T0_E_clISt17integral_constantIbLb1EES17_IbLb0EEEEDaS13_S14_EUlS13_E_NS1_11comp_targetILNS1_3genE10ELNS1_11target_archE1200ELNS1_3gpuE4ELNS1_3repE0EEENS1_30default_config_static_selectorELNS0_4arch9wavefront6targetE0EEEvT1_
                                        ; -- End function
	.set _ZN7rocprim17ROCPRIM_400000_NS6detail17trampoline_kernelINS0_14default_configENS1_25partition_config_selectorILNS1_17partition_subalgoE6EfNS0_10empty_typeEbEEZZNS1_14partition_implILS5_6ELb0ES3_mN6thrust23THRUST_200600_302600_NS6detail15normal_iteratorINSA_10device_ptrIfEEEEPS6_SG_NS0_5tupleIJSF_S6_EEENSH_IJSG_SG_EEES6_PlJNSB_9not_fun_tINSB_14equal_to_valueIfEEEEEEE10hipError_tPvRmT3_T4_T5_T6_T7_T9_mT8_P12ihipStream_tbDpT10_ENKUlT_T0_E_clISt17integral_constantIbLb1EES17_IbLb0EEEEDaS13_S14_EUlS13_E_NS1_11comp_targetILNS1_3genE10ELNS1_11target_archE1200ELNS1_3gpuE4ELNS1_3repE0EEENS1_30default_config_static_selectorELNS0_4arch9wavefront6targetE0EEEvT1_.num_vgpr, 0
	.set _ZN7rocprim17ROCPRIM_400000_NS6detail17trampoline_kernelINS0_14default_configENS1_25partition_config_selectorILNS1_17partition_subalgoE6EfNS0_10empty_typeEbEEZZNS1_14partition_implILS5_6ELb0ES3_mN6thrust23THRUST_200600_302600_NS6detail15normal_iteratorINSA_10device_ptrIfEEEEPS6_SG_NS0_5tupleIJSF_S6_EEENSH_IJSG_SG_EEES6_PlJNSB_9not_fun_tINSB_14equal_to_valueIfEEEEEEE10hipError_tPvRmT3_T4_T5_T6_T7_T9_mT8_P12ihipStream_tbDpT10_ENKUlT_T0_E_clISt17integral_constantIbLb1EES17_IbLb0EEEEDaS13_S14_EUlS13_E_NS1_11comp_targetILNS1_3genE10ELNS1_11target_archE1200ELNS1_3gpuE4ELNS1_3repE0EEENS1_30default_config_static_selectorELNS0_4arch9wavefront6targetE0EEEvT1_.num_agpr, 0
	.set _ZN7rocprim17ROCPRIM_400000_NS6detail17trampoline_kernelINS0_14default_configENS1_25partition_config_selectorILNS1_17partition_subalgoE6EfNS0_10empty_typeEbEEZZNS1_14partition_implILS5_6ELb0ES3_mN6thrust23THRUST_200600_302600_NS6detail15normal_iteratorINSA_10device_ptrIfEEEEPS6_SG_NS0_5tupleIJSF_S6_EEENSH_IJSG_SG_EEES6_PlJNSB_9not_fun_tINSB_14equal_to_valueIfEEEEEEE10hipError_tPvRmT3_T4_T5_T6_T7_T9_mT8_P12ihipStream_tbDpT10_ENKUlT_T0_E_clISt17integral_constantIbLb1EES17_IbLb0EEEEDaS13_S14_EUlS13_E_NS1_11comp_targetILNS1_3genE10ELNS1_11target_archE1200ELNS1_3gpuE4ELNS1_3repE0EEENS1_30default_config_static_selectorELNS0_4arch9wavefront6targetE0EEEvT1_.numbered_sgpr, 0
	.set _ZN7rocprim17ROCPRIM_400000_NS6detail17trampoline_kernelINS0_14default_configENS1_25partition_config_selectorILNS1_17partition_subalgoE6EfNS0_10empty_typeEbEEZZNS1_14partition_implILS5_6ELb0ES3_mN6thrust23THRUST_200600_302600_NS6detail15normal_iteratorINSA_10device_ptrIfEEEEPS6_SG_NS0_5tupleIJSF_S6_EEENSH_IJSG_SG_EEES6_PlJNSB_9not_fun_tINSB_14equal_to_valueIfEEEEEEE10hipError_tPvRmT3_T4_T5_T6_T7_T9_mT8_P12ihipStream_tbDpT10_ENKUlT_T0_E_clISt17integral_constantIbLb1EES17_IbLb0EEEEDaS13_S14_EUlS13_E_NS1_11comp_targetILNS1_3genE10ELNS1_11target_archE1200ELNS1_3gpuE4ELNS1_3repE0EEENS1_30default_config_static_selectorELNS0_4arch9wavefront6targetE0EEEvT1_.num_named_barrier, 0
	.set _ZN7rocprim17ROCPRIM_400000_NS6detail17trampoline_kernelINS0_14default_configENS1_25partition_config_selectorILNS1_17partition_subalgoE6EfNS0_10empty_typeEbEEZZNS1_14partition_implILS5_6ELb0ES3_mN6thrust23THRUST_200600_302600_NS6detail15normal_iteratorINSA_10device_ptrIfEEEEPS6_SG_NS0_5tupleIJSF_S6_EEENSH_IJSG_SG_EEES6_PlJNSB_9not_fun_tINSB_14equal_to_valueIfEEEEEEE10hipError_tPvRmT3_T4_T5_T6_T7_T9_mT8_P12ihipStream_tbDpT10_ENKUlT_T0_E_clISt17integral_constantIbLb1EES17_IbLb0EEEEDaS13_S14_EUlS13_E_NS1_11comp_targetILNS1_3genE10ELNS1_11target_archE1200ELNS1_3gpuE4ELNS1_3repE0EEENS1_30default_config_static_selectorELNS0_4arch9wavefront6targetE0EEEvT1_.private_seg_size, 0
	.set _ZN7rocprim17ROCPRIM_400000_NS6detail17trampoline_kernelINS0_14default_configENS1_25partition_config_selectorILNS1_17partition_subalgoE6EfNS0_10empty_typeEbEEZZNS1_14partition_implILS5_6ELb0ES3_mN6thrust23THRUST_200600_302600_NS6detail15normal_iteratorINSA_10device_ptrIfEEEEPS6_SG_NS0_5tupleIJSF_S6_EEENSH_IJSG_SG_EEES6_PlJNSB_9not_fun_tINSB_14equal_to_valueIfEEEEEEE10hipError_tPvRmT3_T4_T5_T6_T7_T9_mT8_P12ihipStream_tbDpT10_ENKUlT_T0_E_clISt17integral_constantIbLb1EES17_IbLb0EEEEDaS13_S14_EUlS13_E_NS1_11comp_targetILNS1_3genE10ELNS1_11target_archE1200ELNS1_3gpuE4ELNS1_3repE0EEENS1_30default_config_static_selectorELNS0_4arch9wavefront6targetE0EEEvT1_.uses_vcc, 0
	.set _ZN7rocprim17ROCPRIM_400000_NS6detail17trampoline_kernelINS0_14default_configENS1_25partition_config_selectorILNS1_17partition_subalgoE6EfNS0_10empty_typeEbEEZZNS1_14partition_implILS5_6ELb0ES3_mN6thrust23THRUST_200600_302600_NS6detail15normal_iteratorINSA_10device_ptrIfEEEEPS6_SG_NS0_5tupleIJSF_S6_EEENSH_IJSG_SG_EEES6_PlJNSB_9not_fun_tINSB_14equal_to_valueIfEEEEEEE10hipError_tPvRmT3_T4_T5_T6_T7_T9_mT8_P12ihipStream_tbDpT10_ENKUlT_T0_E_clISt17integral_constantIbLb1EES17_IbLb0EEEEDaS13_S14_EUlS13_E_NS1_11comp_targetILNS1_3genE10ELNS1_11target_archE1200ELNS1_3gpuE4ELNS1_3repE0EEENS1_30default_config_static_selectorELNS0_4arch9wavefront6targetE0EEEvT1_.uses_flat_scratch, 0
	.set _ZN7rocprim17ROCPRIM_400000_NS6detail17trampoline_kernelINS0_14default_configENS1_25partition_config_selectorILNS1_17partition_subalgoE6EfNS0_10empty_typeEbEEZZNS1_14partition_implILS5_6ELb0ES3_mN6thrust23THRUST_200600_302600_NS6detail15normal_iteratorINSA_10device_ptrIfEEEEPS6_SG_NS0_5tupleIJSF_S6_EEENSH_IJSG_SG_EEES6_PlJNSB_9not_fun_tINSB_14equal_to_valueIfEEEEEEE10hipError_tPvRmT3_T4_T5_T6_T7_T9_mT8_P12ihipStream_tbDpT10_ENKUlT_T0_E_clISt17integral_constantIbLb1EES17_IbLb0EEEEDaS13_S14_EUlS13_E_NS1_11comp_targetILNS1_3genE10ELNS1_11target_archE1200ELNS1_3gpuE4ELNS1_3repE0EEENS1_30default_config_static_selectorELNS0_4arch9wavefront6targetE0EEEvT1_.has_dyn_sized_stack, 0
	.set _ZN7rocprim17ROCPRIM_400000_NS6detail17trampoline_kernelINS0_14default_configENS1_25partition_config_selectorILNS1_17partition_subalgoE6EfNS0_10empty_typeEbEEZZNS1_14partition_implILS5_6ELb0ES3_mN6thrust23THRUST_200600_302600_NS6detail15normal_iteratorINSA_10device_ptrIfEEEEPS6_SG_NS0_5tupleIJSF_S6_EEENSH_IJSG_SG_EEES6_PlJNSB_9not_fun_tINSB_14equal_to_valueIfEEEEEEE10hipError_tPvRmT3_T4_T5_T6_T7_T9_mT8_P12ihipStream_tbDpT10_ENKUlT_T0_E_clISt17integral_constantIbLb1EES17_IbLb0EEEEDaS13_S14_EUlS13_E_NS1_11comp_targetILNS1_3genE10ELNS1_11target_archE1200ELNS1_3gpuE4ELNS1_3repE0EEENS1_30default_config_static_selectorELNS0_4arch9wavefront6targetE0EEEvT1_.has_recursion, 0
	.set _ZN7rocprim17ROCPRIM_400000_NS6detail17trampoline_kernelINS0_14default_configENS1_25partition_config_selectorILNS1_17partition_subalgoE6EfNS0_10empty_typeEbEEZZNS1_14partition_implILS5_6ELb0ES3_mN6thrust23THRUST_200600_302600_NS6detail15normal_iteratorINSA_10device_ptrIfEEEEPS6_SG_NS0_5tupleIJSF_S6_EEENSH_IJSG_SG_EEES6_PlJNSB_9not_fun_tINSB_14equal_to_valueIfEEEEEEE10hipError_tPvRmT3_T4_T5_T6_T7_T9_mT8_P12ihipStream_tbDpT10_ENKUlT_T0_E_clISt17integral_constantIbLb1EES17_IbLb0EEEEDaS13_S14_EUlS13_E_NS1_11comp_targetILNS1_3genE10ELNS1_11target_archE1200ELNS1_3gpuE4ELNS1_3repE0EEENS1_30default_config_static_selectorELNS0_4arch9wavefront6targetE0EEEvT1_.has_indirect_call, 0
	.section	.AMDGPU.csdata,"",@progbits
; Kernel info:
; codeLenInByte = 4
; TotalNumSgprs: 0
; NumVgprs: 0
; ScratchSize: 0
; MemoryBound: 0
; FloatMode: 240
; IeeeMode: 1
; LDSByteSize: 0 bytes/workgroup (compile time only)
; SGPRBlocks: 0
; VGPRBlocks: 0
; NumSGPRsForWavesPerEU: 1
; NumVGPRsForWavesPerEU: 1
; Occupancy: 16
; WaveLimiterHint : 0
; COMPUTE_PGM_RSRC2:SCRATCH_EN: 0
; COMPUTE_PGM_RSRC2:USER_SGPR: 2
; COMPUTE_PGM_RSRC2:TRAP_HANDLER: 0
; COMPUTE_PGM_RSRC2:TGID_X_EN: 1
; COMPUTE_PGM_RSRC2:TGID_Y_EN: 0
; COMPUTE_PGM_RSRC2:TGID_Z_EN: 0
; COMPUTE_PGM_RSRC2:TIDIG_COMP_CNT: 0
	.section	.text._ZN7rocprim17ROCPRIM_400000_NS6detail17trampoline_kernelINS0_14default_configENS1_25partition_config_selectorILNS1_17partition_subalgoE6EfNS0_10empty_typeEbEEZZNS1_14partition_implILS5_6ELb0ES3_mN6thrust23THRUST_200600_302600_NS6detail15normal_iteratorINSA_10device_ptrIfEEEEPS6_SG_NS0_5tupleIJSF_S6_EEENSH_IJSG_SG_EEES6_PlJNSB_9not_fun_tINSB_14equal_to_valueIfEEEEEEE10hipError_tPvRmT3_T4_T5_T6_T7_T9_mT8_P12ihipStream_tbDpT10_ENKUlT_T0_E_clISt17integral_constantIbLb1EES17_IbLb0EEEEDaS13_S14_EUlS13_E_NS1_11comp_targetILNS1_3genE9ELNS1_11target_archE1100ELNS1_3gpuE3ELNS1_3repE0EEENS1_30default_config_static_selectorELNS0_4arch9wavefront6targetE0EEEvT1_,"axG",@progbits,_ZN7rocprim17ROCPRIM_400000_NS6detail17trampoline_kernelINS0_14default_configENS1_25partition_config_selectorILNS1_17partition_subalgoE6EfNS0_10empty_typeEbEEZZNS1_14partition_implILS5_6ELb0ES3_mN6thrust23THRUST_200600_302600_NS6detail15normal_iteratorINSA_10device_ptrIfEEEEPS6_SG_NS0_5tupleIJSF_S6_EEENSH_IJSG_SG_EEES6_PlJNSB_9not_fun_tINSB_14equal_to_valueIfEEEEEEE10hipError_tPvRmT3_T4_T5_T6_T7_T9_mT8_P12ihipStream_tbDpT10_ENKUlT_T0_E_clISt17integral_constantIbLb1EES17_IbLb0EEEEDaS13_S14_EUlS13_E_NS1_11comp_targetILNS1_3genE9ELNS1_11target_archE1100ELNS1_3gpuE3ELNS1_3repE0EEENS1_30default_config_static_selectorELNS0_4arch9wavefront6targetE0EEEvT1_,comdat
	.protected	_ZN7rocprim17ROCPRIM_400000_NS6detail17trampoline_kernelINS0_14default_configENS1_25partition_config_selectorILNS1_17partition_subalgoE6EfNS0_10empty_typeEbEEZZNS1_14partition_implILS5_6ELb0ES3_mN6thrust23THRUST_200600_302600_NS6detail15normal_iteratorINSA_10device_ptrIfEEEEPS6_SG_NS0_5tupleIJSF_S6_EEENSH_IJSG_SG_EEES6_PlJNSB_9not_fun_tINSB_14equal_to_valueIfEEEEEEE10hipError_tPvRmT3_T4_T5_T6_T7_T9_mT8_P12ihipStream_tbDpT10_ENKUlT_T0_E_clISt17integral_constantIbLb1EES17_IbLb0EEEEDaS13_S14_EUlS13_E_NS1_11comp_targetILNS1_3genE9ELNS1_11target_archE1100ELNS1_3gpuE3ELNS1_3repE0EEENS1_30default_config_static_selectorELNS0_4arch9wavefront6targetE0EEEvT1_ ; -- Begin function _ZN7rocprim17ROCPRIM_400000_NS6detail17trampoline_kernelINS0_14default_configENS1_25partition_config_selectorILNS1_17partition_subalgoE6EfNS0_10empty_typeEbEEZZNS1_14partition_implILS5_6ELb0ES3_mN6thrust23THRUST_200600_302600_NS6detail15normal_iteratorINSA_10device_ptrIfEEEEPS6_SG_NS0_5tupleIJSF_S6_EEENSH_IJSG_SG_EEES6_PlJNSB_9not_fun_tINSB_14equal_to_valueIfEEEEEEE10hipError_tPvRmT3_T4_T5_T6_T7_T9_mT8_P12ihipStream_tbDpT10_ENKUlT_T0_E_clISt17integral_constantIbLb1EES17_IbLb0EEEEDaS13_S14_EUlS13_E_NS1_11comp_targetILNS1_3genE9ELNS1_11target_archE1100ELNS1_3gpuE3ELNS1_3repE0EEENS1_30default_config_static_selectorELNS0_4arch9wavefront6targetE0EEEvT1_
	.globl	_ZN7rocprim17ROCPRIM_400000_NS6detail17trampoline_kernelINS0_14default_configENS1_25partition_config_selectorILNS1_17partition_subalgoE6EfNS0_10empty_typeEbEEZZNS1_14partition_implILS5_6ELb0ES3_mN6thrust23THRUST_200600_302600_NS6detail15normal_iteratorINSA_10device_ptrIfEEEEPS6_SG_NS0_5tupleIJSF_S6_EEENSH_IJSG_SG_EEES6_PlJNSB_9not_fun_tINSB_14equal_to_valueIfEEEEEEE10hipError_tPvRmT3_T4_T5_T6_T7_T9_mT8_P12ihipStream_tbDpT10_ENKUlT_T0_E_clISt17integral_constantIbLb1EES17_IbLb0EEEEDaS13_S14_EUlS13_E_NS1_11comp_targetILNS1_3genE9ELNS1_11target_archE1100ELNS1_3gpuE3ELNS1_3repE0EEENS1_30default_config_static_selectorELNS0_4arch9wavefront6targetE0EEEvT1_
	.p2align	8
	.type	_ZN7rocprim17ROCPRIM_400000_NS6detail17trampoline_kernelINS0_14default_configENS1_25partition_config_selectorILNS1_17partition_subalgoE6EfNS0_10empty_typeEbEEZZNS1_14partition_implILS5_6ELb0ES3_mN6thrust23THRUST_200600_302600_NS6detail15normal_iteratorINSA_10device_ptrIfEEEEPS6_SG_NS0_5tupleIJSF_S6_EEENSH_IJSG_SG_EEES6_PlJNSB_9not_fun_tINSB_14equal_to_valueIfEEEEEEE10hipError_tPvRmT3_T4_T5_T6_T7_T9_mT8_P12ihipStream_tbDpT10_ENKUlT_T0_E_clISt17integral_constantIbLb1EES17_IbLb0EEEEDaS13_S14_EUlS13_E_NS1_11comp_targetILNS1_3genE9ELNS1_11target_archE1100ELNS1_3gpuE3ELNS1_3repE0EEENS1_30default_config_static_selectorELNS0_4arch9wavefront6targetE0EEEvT1_,@function
_ZN7rocprim17ROCPRIM_400000_NS6detail17trampoline_kernelINS0_14default_configENS1_25partition_config_selectorILNS1_17partition_subalgoE6EfNS0_10empty_typeEbEEZZNS1_14partition_implILS5_6ELb0ES3_mN6thrust23THRUST_200600_302600_NS6detail15normal_iteratorINSA_10device_ptrIfEEEEPS6_SG_NS0_5tupleIJSF_S6_EEENSH_IJSG_SG_EEES6_PlJNSB_9not_fun_tINSB_14equal_to_valueIfEEEEEEE10hipError_tPvRmT3_T4_T5_T6_T7_T9_mT8_P12ihipStream_tbDpT10_ENKUlT_T0_E_clISt17integral_constantIbLb1EES17_IbLb0EEEEDaS13_S14_EUlS13_E_NS1_11comp_targetILNS1_3genE9ELNS1_11target_archE1100ELNS1_3gpuE3ELNS1_3repE0EEENS1_30default_config_static_selectorELNS0_4arch9wavefront6targetE0EEEvT1_: ; @_ZN7rocprim17ROCPRIM_400000_NS6detail17trampoline_kernelINS0_14default_configENS1_25partition_config_selectorILNS1_17partition_subalgoE6EfNS0_10empty_typeEbEEZZNS1_14partition_implILS5_6ELb0ES3_mN6thrust23THRUST_200600_302600_NS6detail15normal_iteratorINSA_10device_ptrIfEEEEPS6_SG_NS0_5tupleIJSF_S6_EEENSH_IJSG_SG_EEES6_PlJNSB_9not_fun_tINSB_14equal_to_valueIfEEEEEEE10hipError_tPvRmT3_T4_T5_T6_T7_T9_mT8_P12ihipStream_tbDpT10_ENKUlT_T0_E_clISt17integral_constantIbLb1EES17_IbLb0EEEEDaS13_S14_EUlS13_E_NS1_11comp_targetILNS1_3genE9ELNS1_11target_archE1100ELNS1_3gpuE3ELNS1_3repE0EEENS1_30default_config_static_selectorELNS0_4arch9wavefront6targetE0EEEvT1_
; %bb.0:
	.section	.rodata,"a",@progbits
	.p2align	6, 0x0
	.amdhsa_kernel _ZN7rocprim17ROCPRIM_400000_NS6detail17trampoline_kernelINS0_14default_configENS1_25partition_config_selectorILNS1_17partition_subalgoE6EfNS0_10empty_typeEbEEZZNS1_14partition_implILS5_6ELb0ES3_mN6thrust23THRUST_200600_302600_NS6detail15normal_iteratorINSA_10device_ptrIfEEEEPS6_SG_NS0_5tupleIJSF_S6_EEENSH_IJSG_SG_EEES6_PlJNSB_9not_fun_tINSB_14equal_to_valueIfEEEEEEE10hipError_tPvRmT3_T4_T5_T6_T7_T9_mT8_P12ihipStream_tbDpT10_ENKUlT_T0_E_clISt17integral_constantIbLb1EES17_IbLb0EEEEDaS13_S14_EUlS13_E_NS1_11comp_targetILNS1_3genE9ELNS1_11target_archE1100ELNS1_3gpuE3ELNS1_3repE0EEENS1_30default_config_static_selectorELNS0_4arch9wavefront6targetE0EEEvT1_
		.amdhsa_group_segment_fixed_size 0
		.amdhsa_private_segment_fixed_size 0
		.amdhsa_kernarg_size 120
		.amdhsa_user_sgpr_count 2
		.amdhsa_user_sgpr_dispatch_ptr 0
		.amdhsa_user_sgpr_queue_ptr 0
		.amdhsa_user_sgpr_kernarg_segment_ptr 1
		.amdhsa_user_sgpr_dispatch_id 0
		.amdhsa_user_sgpr_private_segment_size 0
		.amdhsa_wavefront_size32 1
		.amdhsa_uses_dynamic_stack 0
		.amdhsa_enable_private_segment 0
		.amdhsa_system_sgpr_workgroup_id_x 1
		.amdhsa_system_sgpr_workgroup_id_y 0
		.amdhsa_system_sgpr_workgroup_id_z 0
		.amdhsa_system_sgpr_workgroup_info 0
		.amdhsa_system_vgpr_workitem_id 0
		.amdhsa_next_free_vgpr 1
		.amdhsa_next_free_sgpr 1
		.amdhsa_reserve_vcc 0
		.amdhsa_float_round_mode_32 0
		.amdhsa_float_round_mode_16_64 0
		.amdhsa_float_denorm_mode_32 3
		.amdhsa_float_denorm_mode_16_64 3
		.amdhsa_fp16_overflow 0
		.amdhsa_workgroup_processor_mode 1
		.amdhsa_memory_ordered 1
		.amdhsa_forward_progress 1
		.amdhsa_inst_pref_size 0
		.amdhsa_round_robin_scheduling 0
		.amdhsa_exception_fp_ieee_invalid_op 0
		.amdhsa_exception_fp_denorm_src 0
		.amdhsa_exception_fp_ieee_div_zero 0
		.amdhsa_exception_fp_ieee_overflow 0
		.amdhsa_exception_fp_ieee_underflow 0
		.amdhsa_exception_fp_ieee_inexact 0
		.amdhsa_exception_int_div_zero 0
	.end_amdhsa_kernel
	.section	.text._ZN7rocprim17ROCPRIM_400000_NS6detail17trampoline_kernelINS0_14default_configENS1_25partition_config_selectorILNS1_17partition_subalgoE6EfNS0_10empty_typeEbEEZZNS1_14partition_implILS5_6ELb0ES3_mN6thrust23THRUST_200600_302600_NS6detail15normal_iteratorINSA_10device_ptrIfEEEEPS6_SG_NS0_5tupleIJSF_S6_EEENSH_IJSG_SG_EEES6_PlJNSB_9not_fun_tINSB_14equal_to_valueIfEEEEEEE10hipError_tPvRmT3_T4_T5_T6_T7_T9_mT8_P12ihipStream_tbDpT10_ENKUlT_T0_E_clISt17integral_constantIbLb1EES17_IbLb0EEEEDaS13_S14_EUlS13_E_NS1_11comp_targetILNS1_3genE9ELNS1_11target_archE1100ELNS1_3gpuE3ELNS1_3repE0EEENS1_30default_config_static_selectorELNS0_4arch9wavefront6targetE0EEEvT1_,"axG",@progbits,_ZN7rocprim17ROCPRIM_400000_NS6detail17trampoline_kernelINS0_14default_configENS1_25partition_config_selectorILNS1_17partition_subalgoE6EfNS0_10empty_typeEbEEZZNS1_14partition_implILS5_6ELb0ES3_mN6thrust23THRUST_200600_302600_NS6detail15normal_iteratorINSA_10device_ptrIfEEEEPS6_SG_NS0_5tupleIJSF_S6_EEENSH_IJSG_SG_EEES6_PlJNSB_9not_fun_tINSB_14equal_to_valueIfEEEEEEE10hipError_tPvRmT3_T4_T5_T6_T7_T9_mT8_P12ihipStream_tbDpT10_ENKUlT_T0_E_clISt17integral_constantIbLb1EES17_IbLb0EEEEDaS13_S14_EUlS13_E_NS1_11comp_targetILNS1_3genE9ELNS1_11target_archE1100ELNS1_3gpuE3ELNS1_3repE0EEENS1_30default_config_static_selectorELNS0_4arch9wavefront6targetE0EEEvT1_,comdat
.Lfunc_end331:
	.size	_ZN7rocprim17ROCPRIM_400000_NS6detail17trampoline_kernelINS0_14default_configENS1_25partition_config_selectorILNS1_17partition_subalgoE6EfNS0_10empty_typeEbEEZZNS1_14partition_implILS5_6ELb0ES3_mN6thrust23THRUST_200600_302600_NS6detail15normal_iteratorINSA_10device_ptrIfEEEEPS6_SG_NS0_5tupleIJSF_S6_EEENSH_IJSG_SG_EEES6_PlJNSB_9not_fun_tINSB_14equal_to_valueIfEEEEEEE10hipError_tPvRmT3_T4_T5_T6_T7_T9_mT8_P12ihipStream_tbDpT10_ENKUlT_T0_E_clISt17integral_constantIbLb1EES17_IbLb0EEEEDaS13_S14_EUlS13_E_NS1_11comp_targetILNS1_3genE9ELNS1_11target_archE1100ELNS1_3gpuE3ELNS1_3repE0EEENS1_30default_config_static_selectorELNS0_4arch9wavefront6targetE0EEEvT1_, .Lfunc_end331-_ZN7rocprim17ROCPRIM_400000_NS6detail17trampoline_kernelINS0_14default_configENS1_25partition_config_selectorILNS1_17partition_subalgoE6EfNS0_10empty_typeEbEEZZNS1_14partition_implILS5_6ELb0ES3_mN6thrust23THRUST_200600_302600_NS6detail15normal_iteratorINSA_10device_ptrIfEEEEPS6_SG_NS0_5tupleIJSF_S6_EEENSH_IJSG_SG_EEES6_PlJNSB_9not_fun_tINSB_14equal_to_valueIfEEEEEEE10hipError_tPvRmT3_T4_T5_T6_T7_T9_mT8_P12ihipStream_tbDpT10_ENKUlT_T0_E_clISt17integral_constantIbLb1EES17_IbLb0EEEEDaS13_S14_EUlS13_E_NS1_11comp_targetILNS1_3genE9ELNS1_11target_archE1100ELNS1_3gpuE3ELNS1_3repE0EEENS1_30default_config_static_selectorELNS0_4arch9wavefront6targetE0EEEvT1_
                                        ; -- End function
	.set _ZN7rocprim17ROCPRIM_400000_NS6detail17trampoline_kernelINS0_14default_configENS1_25partition_config_selectorILNS1_17partition_subalgoE6EfNS0_10empty_typeEbEEZZNS1_14partition_implILS5_6ELb0ES3_mN6thrust23THRUST_200600_302600_NS6detail15normal_iteratorINSA_10device_ptrIfEEEEPS6_SG_NS0_5tupleIJSF_S6_EEENSH_IJSG_SG_EEES6_PlJNSB_9not_fun_tINSB_14equal_to_valueIfEEEEEEE10hipError_tPvRmT3_T4_T5_T6_T7_T9_mT8_P12ihipStream_tbDpT10_ENKUlT_T0_E_clISt17integral_constantIbLb1EES17_IbLb0EEEEDaS13_S14_EUlS13_E_NS1_11comp_targetILNS1_3genE9ELNS1_11target_archE1100ELNS1_3gpuE3ELNS1_3repE0EEENS1_30default_config_static_selectorELNS0_4arch9wavefront6targetE0EEEvT1_.num_vgpr, 0
	.set _ZN7rocprim17ROCPRIM_400000_NS6detail17trampoline_kernelINS0_14default_configENS1_25partition_config_selectorILNS1_17partition_subalgoE6EfNS0_10empty_typeEbEEZZNS1_14partition_implILS5_6ELb0ES3_mN6thrust23THRUST_200600_302600_NS6detail15normal_iteratorINSA_10device_ptrIfEEEEPS6_SG_NS0_5tupleIJSF_S6_EEENSH_IJSG_SG_EEES6_PlJNSB_9not_fun_tINSB_14equal_to_valueIfEEEEEEE10hipError_tPvRmT3_T4_T5_T6_T7_T9_mT8_P12ihipStream_tbDpT10_ENKUlT_T0_E_clISt17integral_constantIbLb1EES17_IbLb0EEEEDaS13_S14_EUlS13_E_NS1_11comp_targetILNS1_3genE9ELNS1_11target_archE1100ELNS1_3gpuE3ELNS1_3repE0EEENS1_30default_config_static_selectorELNS0_4arch9wavefront6targetE0EEEvT1_.num_agpr, 0
	.set _ZN7rocprim17ROCPRIM_400000_NS6detail17trampoline_kernelINS0_14default_configENS1_25partition_config_selectorILNS1_17partition_subalgoE6EfNS0_10empty_typeEbEEZZNS1_14partition_implILS5_6ELb0ES3_mN6thrust23THRUST_200600_302600_NS6detail15normal_iteratorINSA_10device_ptrIfEEEEPS6_SG_NS0_5tupleIJSF_S6_EEENSH_IJSG_SG_EEES6_PlJNSB_9not_fun_tINSB_14equal_to_valueIfEEEEEEE10hipError_tPvRmT3_T4_T5_T6_T7_T9_mT8_P12ihipStream_tbDpT10_ENKUlT_T0_E_clISt17integral_constantIbLb1EES17_IbLb0EEEEDaS13_S14_EUlS13_E_NS1_11comp_targetILNS1_3genE9ELNS1_11target_archE1100ELNS1_3gpuE3ELNS1_3repE0EEENS1_30default_config_static_selectorELNS0_4arch9wavefront6targetE0EEEvT1_.numbered_sgpr, 0
	.set _ZN7rocprim17ROCPRIM_400000_NS6detail17trampoline_kernelINS0_14default_configENS1_25partition_config_selectorILNS1_17partition_subalgoE6EfNS0_10empty_typeEbEEZZNS1_14partition_implILS5_6ELb0ES3_mN6thrust23THRUST_200600_302600_NS6detail15normal_iteratorINSA_10device_ptrIfEEEEPS6_SG_NS0_5tupleIJSF_S6_EEENSH_IJSG_SG_EEES6_PlJNSB_9not_fun_tINSB_14equal_to_valueIfEEEEEEE10hipError_tPvRmT3_T4_T5_T6_T7_T9_mT8_P12ihipStream_tbDpT10_ENKUlT_T0_E_clISt17integral_constantIbLb1EES17_IbLb0EEEEDaS13_S14_EUlS13_E_NS1_11comp_targetILNS1_3genE9ELNS1_11target_archE1100ELNS1_3gpuE3ELNS1_3repE0EEENS1_30default_config_static_selectorELNS0_4arch9wavefront6targetE0EEEvT1_.num_named_barrier, 0
	.set _ZN7rocprim17ROCPRIM_400000_NS6detail17trampoline_kernelINS0_14default_configENS1_25partition_config_selectorILNS1_17partition_subalgoE6EfNS0_10empty_typeEbEEZZNS1_14partition_implILS5_6ELb0ES3_mN6thrust23THRUST_200600_302600_NS6detail15normal_iteratorINSA_10device_ptrIfEEEEPS6_SG_NS0_5tupleIJSF_S6_EEENSH_IJSG_SG_EEES6_PlJNSB_9not_fun_tINSB_14equal_to_valueIfEEEEEEE10hipError_tPvRmT3_T4_T5_T6_T7_T9_mT8_P12ihipStream_tbDpT10_ENKUlT_T0_E_clISt17integral_constantIbLb1EES17_IbLb0EEEEDaS13_S14_EUlS13_E_NS1_11comp_targetILNS1_3genE9ELNS1_11target_archE1100ELNS1_3gpuE3ELNS1_3repE0EEENS1_30default_config_static_selectorELNS0_4arch9wavefront6targetE0EEEvT1_.private_seg_size, 0
	.set _ZN7rocprim17ROCPRIM_400000_NS6detail17trampoline_kernelINS0_14default_configENS1_25partition_config_selectorILNS1_17partition_subalgoE6EfNS0_10empty_typeEbEEZZNS1_14partition_implILS5_6ELb0ES3_mN6thrust23THRUST_200600_302600_NS6detail15normal_iteratorINSA_10device_ptrIfEEEEPS6_SG_NS0_5tupleIJSF_S6_EEENSH_IJSG_SG_EEES6_PlJNSB_9not_fun_tINSB_14equal_to_valueIfEEEEEEE10hipError_tPvRmT3_T4_T5_T6_T7_T9_mT8_P12ihipStream_tbDpT10_ENKUlT_T0_E_clISt17integral_constantIbLb1EES17_IbLb0EEEEDaS13_S14_EUlS13_E_NS1_11comp_targetILNS1_3genE9ELNS1_11target_archE1100ELNS1_3gpuE3ELNS1_3repE0EEENS1_30default_config_static_selectorELNS0_4arch9wavefront6targetE0EEEvT1_.uses_vcc, 0
	.set _ZN7rocprim17ROCPRIM_400000_NS6detail17trampoline_kernelINS0_14default_configENS1_25partition_config_selectorILNS1_17partition_subalgoE6EfNS0_10empty_typeEbEEZZNS1_14partition_implILS5_6ELb0ES3_mN6thrust23THRUST_200600_302600_NS6detail15normal_iteratorINSA_10device_ptrIfEEEEPS6_SG_NS0_5tupleIJSF_S6_EEENSH_IJSG_SG_EEES6_PlJNSB_9not_fun_tINSB_14equal_to_valueIfEEEEEEE10hipError_tPvRmT3_T4_T5_T6_T7_T9_mT8_P12ihipStream_tbDpT10_ENKUlT_T0_E_clISt17integral_constantIbLb1EES17_IbLb0EEEEDaS13_S14_EUlS13_E_NS1_11comp_targetILNS1_3genE9ELNS1_11target_archE1100ELNS1_3gpuE3ELNS1_3repE0EEENS1_30default_config_static_selectorELNS0_4arch9wavefront6targetE0EEEvT1_.uses_flat_scratch, 0
	.set _ZN7rocprim17ROCPRIM_400000_NS6detail17trampoline_kernelINS0_14default_configENS1_25partition_config_selectorILNS1_17partition_subalgoE6EfNS0_10empty_typeEbEEZZNS1_14partition_implILS5_6ELb0ES3_mN6thrust23THRUST_200600_302600_NS6detail15normal_iteratorINSA_10device_ptrIfEEEEPS6_SG_NS0_5tupleIJSF_S6_EEENSH_IJSG_SG_EEES6_PlJNSB_9not_fun_tINSB_14equal_to_valueIfEEEEEEE10hipError_tPvRmT3_T4_T5_T6_T7_T9_mT8_P12ihipStream_tbDpT10_ENKUlT_T0_E_clISt17integral_constantIbLb1EES17_IbLb0EEEEDaS13_S14_EUlS13_E_NS1_11comp_targetILNS1_3genE9ELNS1_11target_archE1100ELNS1_3gpuE3ELNS1_3repE0EEENS1_30default_config_static_selectorELNS0_4arch9wavefront6targetE0EEEvT1_.has_dyn_sized_stack, 0
	.set _ZN7rocprim17ROCPRIM_400000_NS6detail17trampoline_kernelINS0_14default_configENS1_25partition_config_selectorILNS1_17partition_subalgoE6EfNS0_10empty_typeEbEEZZNS1_14partition_implILS5_6ELb0ES3_mN6thrust23THRUST_200600_302600_NS6detail15normal_iteratorINSA_10device_ptrIfEEEEPS6_SG_NS0_5tupleIJSF_S6_EEENSH_IJSG_SG_EEES6_PlJNSB_9not_fun_tINSB_14equal_to_valueIfEEEEEEE10hipError_tPvRmT3_T4_T5_T6_T7_T9_mT8_P12ihipStream_tbDpT10_ENKUlT_T0_E_clISt17integral_constantIbLb1EES17_IbLb0EEEEDaS13_S14_EUlS13_E_NS1_11comp_targetILNS1_3genE9ELNS1_11target_archE1100ELNS1_3gpuE3ELNS1_3repE0EEENS1_30default_config_static_selectorELNS0_4arch9wavefront6targetE0EEEvT1_.has_recursion, 0
	.set _ZN7rocprim17ROCPRIM_400000_NS6detail17trampoline_kernelINS0_14default_configENS1_25partition_config_selectorILNS1_17partition_subalgoE6EfNS0_10empty_typeEbEEZZNS1_14partition_implILS5_6ELb0ES3_mN6thrust23THRUST_200600_302600_NS6detail15normal_iteratorINSA_10device_ptrIfEEEEPS6_SG_NS0_5tupleIJSF_S6_EEENSH_IJSG_SG_EEES6_PlJNSB_9not_fun_tINSB_14equal_to_valueIfEEEEEEE10hipError_tPvRmT3_T4_T5_T6_T7_T9_mT8_P12ihipStream_tbDpT10_ENKUlT_T0_E_clISt17integral_constantIbLb1EES17_IbLb0EEEEDaS13_S14_EUlS13_E_NS1_11comp_targetILNS1_3genE9ELNS1_11target_archE1100ELNS1_3gpuE3ELNS1_3repE0EEENS1_30default_config_static_selectorELNS0_4arch9wavefront6targetE0EEEvT1_.has_indirect_call, 0
	.section	.AMDGPU.csdata,"",@progbits
; Kernel info:
; codeLenInByte = 0
; TotalNumSgprs: 0
; NumVgprs: 0
; ScratchSize: 0
; MemoryBound: 0
; FloatMode: 240
; IeeeMode: 1
; LDSByteSize: 0 bytes/workgroup (compile time only)
; SGPRBlocks: 0
; VGPRBlocks: 0
; NumSGPRsForWavesPerEU: 1
; NumVGPRsForWavesPerEU: 1
; Occupancy: 16
; WaveLimiterHint : 0
; COMPUTE_PGM_RSRC2:SCRATCH_EN: 0
; COMPUTE_PGM_RSRC2:USER_SGPR: 2
; COMPUTE_PGM_RSRC2:TRAP_HANDLER: 0
; COMPUTE_PGM_RSRC2:TGID_X_EN: 1
; COMPUTE_PGM_RSRC2:TGID_Y_EN: 0
; COMPUTE_PGM_RSRC2:TGID_Z_EN: 0
; COMPUTE_PGM_RSRC2:TIDIG_COMP_CNT: 0
	.section	.text._ZN7rocprim17ROCPRIM_400000_NS6detail17trampoline_kernelINS0_14default_configENS1_25partition_config_selectorILNS1_17partition_subalgoE6EfNS0_10empty_typeEbEEZZNS1_14partition_implILS5_6ELb0ES3_mN6thrust23THRUST_200600_302600_NS6detail15normal_iteratorINSA_10device_ptrIfEEEEPS6_SG_NS0_5tupleIJSF_S6_EEENSH_IJSG_SG_EEES6_PlJNSB_9not_fun_tINSB_14equal_to_valueIfEEEEEEE10hipError_tPvRmT3_T4_T5_T6_T7_T9_mT8_P12ihipStream_tbDpT10_ENKUlT_T0_E_clISt17integral_constantIbLb1EES17_IbLb0EEEEDaS13_S14_EUlS13_E_NS1_11comp_targetILNS1_3genE8ELNS1_11target_archE1030ELNS1_3gpuE2ELNS1_3repE0EEENS1_30default_config_static_selectorELNS0_4arch9wavefront6targetE0EEEvT1_,"axG",@progbits,_ZN7rocprim17ROCPRIM_400000_NS6detail17trampoline_kernelINS0_14default_configENS1_25partition_config_selectorILNS1_17partition_subalgoE6EfNS0_10empty_typeEbEEZZNS1_14partition_implILS5_6ELb0ES3_mN6thrust23THRUST_200600_302600_NS6detail15normal_iteratorINSA_10device_ptrIfEEEEPS6_SG_NS0_5tupleIJSF_S6_EEENSH_IJSG_SG_EEES6_PlJNSB_9not_fun_tINSB_14equal_to_valueIfEEEEEEE10hipError_tPvRmT3_T4_T5_T6_T7_T9_mT8_P12ihipStream_tbDpT10_ENKUlT_T0_E_clISt17integral_constantIbLb1EES17_IbLb0EEEEDaS13_S14_EUlS13_E_NS1_11comp_targetILNS1_3genE8ELNS1_11target_archE1030ELNS1_3gpuE2ELNS1_3repE0EEENS1_30default_config_static_selectorELNS0_4arch9wavefront6targetE0EEEvT1_,comdat
	.protected	_ZN7rocprim17ROCPRIM_400000_NS6detail17trampoline_kernelINS0_14default_configENS1_25partition_config_selectorILNS1_17partition_subalgoE6EfNS0_10empty_typeEbEEZZNS1_14partition_implILS5_6ELb0ES3_mN6thrust23THRUST_200600_302600_NS6detail15normal_iteratorINSA_10device_ptrIfEEEEPS6_SG_NS0_5tupleIJSF_S6_EEENSH_IJSG_SG_EEES6_PlJNSB_9not_fun_tINSB_14equal_to_valueIfEEEEEEE10hipError_tPvRmT3_T4_T5_T6_T7_T9_mT8_P12ihipStream_tbDpT10_ENKUlT_T0_E_clISt17integral_constantIbLb1EES17_IbLb0EEEEDaS13_S14_EUlS13_E_NS1_11comp_targetILNS1_3genE8ELNS1_11target_archE1030ELNS1_3gpuE2ELNS1_3repE0EEENS1_30default_config_static_selectorELNS0_4arch9wavefront6targetE0EEEvT1_ ; -- Begin function _ZN7rocprim17ROCPRIM_400000_NS6detail17trampoline_kernelINS0_14default_configENS1_25partition_config_selectorILNS1_17partition_subalgoE6EfNS0_10empty_typeEbEEZZNS1_14partition_implILS5_6ELb0ES3_mN6thrust23THRUST_200600_302600_NS6detail15normal_iteratorINSA_10device_ptrIfEEEEPS6_SG_NS0_5tupleIJSF_S6_EEENSH_IJSG_SG_EEES6_PlJNSB_9not_fun_tINSB_14equal_to_valueIfEEEEEEE10hipError_tPvRmT3_T4_T5_T6_T7_T9_mT8_P12ihipStream_tbDpT10_ENKUlT_T0_E_clISt17integral_constantIbLb1EES17_IbLb0EEEEDaS13_S14_EUlS13_E_NS1_11comp_targetILNS1_3genE8ELNS1_11target_archE1030ELNS1_3gpuE2ELNS1_3repE0EEENS1_30default_config_static_selectorELNS0_4arch9wavefront6targetE0EEEvT1_
	.globl	_ZN7rocprim17ROCPRIM_400000_NS6detail17trampoline_kernelINS0_14default_configENS1_25partition_config_selectorILNS1_17partition_subalgoE6EfNS0_10empty_typeEbEEZZNS1_14partition_implILS5_6ELb0ES3_mN6thrust23THRUST_200600_302600_NS6detail15normal_iteratorINSA_10device_ptrIfEEEEPS6_SG_NS0_5tupleIJSF_S6_EEENSH_IJSG_SG_EEES6_PlJNSB_9not_fun_tINSB_14equal_to_valueIfEEEEEEE10hipError_tPvRmT3_T4_T5_T6_T7_T9_mT8_P12ihipStream_tbDpT10_ENKUlT_T0_E_clISt17integral_constantIbLb1EES17_IbLb0EEEEDaS13_S14_EUlS13_E_NS1_11comp_targetILNS1_3genE8ELNS1_11target_archE1030ELNS1_3gpuE2ELNS1_3repE0EEENS1_30default_config_static_selectorELNS0_4arch9wavefront6targetE0EEEvT1_
	.p2align	8
	.type	_ZN7rocprim17ROCPRIM_400000_NS6detail17trampoline_kernelINS0_14default_configENS1_25partition_config_selectorILNS1_17partition_subalgoE6EfNS0_10empty_typeEbEEZZNS1_14partition_implILS5_6ELb0ES3_mN6thrust23THRUST_200600_302600_NS6detail15normal_iteratorINSA_10device_ptrIfEEEEPS6_SG_NS0_5tupleIJSF_S6_EEENSH_IJSG_SG_EEES6_PlJNSB_9not_fun_tINSB_14equal_to_valueIfEEEEEEE10hipError_tPvRmT3_T4_T5_T6_T7_T9_mT8_P12ihipStream_tbDpT10_ENKUlT_T0_E_clISt17integral_constantIbLb1EES17_IbLb0EEEEDaS13_S14_EUlS13_E_NS1_11comp_targetILNS1_3genE8ELNS1_11target_archE1030ELNS1_3gpuE2ELNS1_3repE0EEENS1_30default_config_static_selectorELNS0_4arch9wavefront6targetE0EEEvT1_,@function
_ZN7rocprim17ROCPRIM_400000_NS6detail17trampoline_kernelINS0_14default_configENS1_25partition_config_selectorILNS1_17partition_subalgoE6EfNS0_10empty_typeEbEEZZNS1_14partition_implILS5_6ELb0ES3_mN6thrust23THRUST_200600_302600_NS6detail15normal_iteratorINSA_10device_ptrIfEEEEPS6_SG_NS0_5tupleIJSF_S6_EEENSH_IJSG_SG_EEES6_PlJNSB_9not_fun_tINSB_14equal_to_valueIfEEEEEEE10hipError_tPvRmT3_T4_T5_T6_T7_T9_mT8_P12ihipStream_tbDpT10_ENKUlT_T0_E_clISt17integral_constantIbLb1EES17_IbLb0EEEEDaS13_S14_EUlS13_E_NS1_11comp_targetILNS1_3genE8ELNS1_11target_archE1030ELNS1_3gpuE2ELNS1_3repE0EEENS1_30default_config_static_selectorELNS0_4arch9wavefront6targetE0EEEvT1_: ; @_ZN7rocprim17ROCPRIM_400000_NS6detail17trampoline_kernelINS0_14default_configENS1_25partition_config_selectorILNS1_17partition_subalgoE6EfNS0_10empty_typeEbEEZZNS1_14partition_implILS5_6ELb0ES3_mN6thrust23THRUST_200600_302600_NS6detail15normal_iteratorINSA_10device_ptrIfEEEEPS6_SG_NS0_5tupleIJSF_S6_EEENSH_IJSG_SG_EEES6_PlJNSB_9not_fun_tINSB_14equal_to_valueIfEEEEEEE10hipError_tPvRmT3_T4_T5_T6_T7_T9_mT8_P12ihipStream_tbDpT10_ENKUlT_T0_E_clISt17integral_constantIbLb1EES17_IbLb0EEEEDaS13_S14_EUlS13_E_NS1_11comp_targetILNS1_3genE8ELNS1_11target_archE1030ELNS1_3gpuE2ELNS1_3repE0EEENS1_30default_config_static_selectorELNS0_4arch9wavefront6targetE0EEEvT1_
; %bb.0:
	.section	.rodata,"a",@progbits
	.p2align	6, 0x0
	.amdhsa_kernel _ZN7rocprim17ROCPRIM_400000_NS6detail17trampoline_kernelINS0_14default_configENS1_25partition_config_selectorILNS1_17partition_subalgoE6EfNS0_10empty_typeEbEEZZNS1_14partition_implILS5_6ELb0ES3_mN6thrust23THRUST_200600_302600_NS6detail15normal_iteratorINSA_10device_ptrIfEEEEPS6_SG_NS0_5tupleIJSF_S6_EEENSH_IJSG_SG_EEES6_PlJNSB_9not_fun_tINSB_14equal_to_valueIfEEEEEEE10hipError_tPvRmT3_T4_T5_T6_T7_T9_mT8_P12ihipStream_tbDpT10_ENKUlT_T0_E_clISt17integral_constantIbLb1EES17_IbLb0EEEEDaS13_S14_EUlS13_E_NS1_11comp_targetILNS1_3genE8ELNS1_11target_archE1030ELNS1_3gpuE2ELNS1_3repE0EEENS1_30default_config_static_selectorELNS0_4arch9wavefront6targetE0EEEvT1_
		.amdhsa_group_segment_fixed_size 0
		.amdhsa_private_segment_fixed_size 0
		.amdhsa_kernarg_size 120
		.amdhsa_user_sgpr_count 2
		.amdhsa_user_sgpr_dispatch_ptr 0
		.amdhsa_user_sgpr_queue_ptr 0
		.amdhsa_user_sgpr_kernarg_segment_ptr 1
		.amdhsa_user_sgpr_dispatch_id 0
		.amdhsa_user_sgpr_private_segment_size 0
		.amdhsa_wavefront_size32 1
		.amdhsa_uses_dynamic_stack 0
		.amdhsa_enable_private_segment 0
		.amdhsa_system_sgpr_workgroup_id_x 1
		.amdhsa_system_sgpr_workgroup_id_y 0
		.amdhsa_system_sgpr_workgroup_id_z 0
		.amdhsa_system_sgpr_workgroup_info 0
		.amdhsa_system_vgpr_workitem_id 0
		.amdhsa_next_free_vgpr 1
		.amdhsa_next_free_sgpr 1
		.amdhsa_reserve_vcc 0
		.amdhsa_float_round_mode_32 0
		.amdhsa_float_round_mode_16_64 0
		.amdhsa_float_denorm_mode_32 3
		.amdhsa_float_denorm_mode_16_64 3
		.amdhsa_fp16_overflow 0
		.amdhsa_workgroup_processor_mode 1
		.amdhsa_memory_ordered 1
		.amdhsa_forward_progress 1
		.amdhsa_inst_pref_size 0
		.amdhsa_round_robin_scheduling 0
		.amdhsa_exception_fp_ieee_invalid_op 0
		.amdhsa_exception_fp_denorm_src 0
		.amdhsa_exception_fp_ieee_div_zero 0
		.amdhsa_exception_fp_ieee_overflow 0
		.amdhsa_exception_fp_ieee_underflow 0
		.amdhsa_exception_fp_ieee_inexact 0
		.amdhsa_exception_int_div_zero 0
	.end_amdhsa_kernel
	.section	.text._ZN7rocprim17ROCPRIM_400000_NS6detail17trampoline_kernelINS0_14default_configENS1_25partition_config_selectorILNS1_17partition_subalgoE6EfNS0_10empty_typeEbEEZZNS1_14partition_implILS5_6ELb0ES3_mN6thrust23THRUST_200600_302600_NS6detail15normal_iteratorINSA_10device_ptrIfEEEEPS6_SG_NS0_5tupleIJSF_S6_EEENSH_IJSG_SG_EEES6_PlJNSB_9not_fun_tINSB_14equal_to_valueIfEEEEEEE10hipError_tPvRmT3_T4_T5_T6_T7_T9_mT8_P12ihipStream_tbDpT10_ENKUlT_T0_E_clISt17integral_constantIbLb1EES17_IbLb0EEEEDaS13_S14_EUlS13_E_NS1_11comp_targetILNS1_3genE8ELNS1_11target_archE1030ELNS1_3gpuE2ELNS1_3repE0EEENS1_30default_config_static_selectorELNS0_4arch9wavefront6targetE0EEEvT1_,"axG",@progbits,_ZN7rocprim17ROCPRIM_400000_NS6detail17trampoline_kernelINS0_14default_configENS1_25partition_config_selectorILNS1_17partition_subalgoE6EfNS0_10empty_typeEbEEZZNS1_14partition_implILS5_6ELb0ES3_mN6thrust23THRUST_200600_302600_NS6detail15normal_iteratorINSA_10device_ptrIfEEEEPS6_SG_NS0_5tupleIJSF_S6_EEENSH_IJSG_SG_EEES6_PlJNSB_9not_fun_tINSB_14equal_to_valueIfEEEEEEE10hipError_tPvRmT3_T4_T5_T6_T7_T9_mT8_P12ihipStream_tbDpT10_ENKUlT_T0_E_clISt17integral_constantIbLb1EES17_IbLb0EEEEDaS13_S14_EUlS13_E_NS1_11comp_targetILNS1_3genE8ELNS1_11target_archE1030ELNS1_3gpuE2ELNS1_3repE0EEENS1_30default_config_static_selectorELNS0_4arch9wavefront6targetE0EEEvT1_,comdat
.Lfunc_end332:
	.size	_ZN7rocprim17ROCPRIM_400000_NS6detail17trampoline_kernelINS0_14default_configENS1_25partition_config_selectorILNS1_17partition_subalgoE6EfNS0_10empty_typeEbEEZZNS1_14partition_implILS5_6ELb0ES3_mN6thrust23THRUST_200600_302600_NS6detail15normal_iteratorINSA_10device_ptrIfEEEEPS6_SG_NS0_5tupleIJSF_S6_EEENSH_IJSG_SG_EEES6_PlJNSB_9not_fun_tINSB_14equal_to_valueIfEEEEEEE10hipError_tPvRmT3_T4_T5_T6_T7_T9_mT8_P12ihipStream_tbDpT10_ENKUlT_T0_E_clISt17integral_constantIbLb1EES17_IbLb0EEEEDaS13_S14_EUlS13_E_NS1_11comp_targetILNS1_3genE8ELNS1_11target_archE1030ELNS1_3gpuE2ELNS1_3repE0EEENS1_30default_config_static_selectorELNS0_4arch9wavefront6targetE0EEEvT1_, .Lfunc_end332-_ZN7rocprim17ROCPRIM_400000_NS6detail17trampoline_kernelINS0_14default_configENS1_25partition_config_selectorILNS1_17partition_subalgoE6EfNS0_10empty_typeEbEEZZNS1_14partition_implILS5_6ELb0ES3_mN6thrust23THRUST_200600_302600_NS6detail15normal_iteratorINSA_10device_ptrIfEEEEPS6_SG_NS0_5tupleIJSF_S6_EEENSH_IJSG_SG_EEES6_PlJNSB_9not_fun_tINSB_14equal_to_valueIfEEEEEEE10hipError_tPvRmT3_T4_T5_T6_T7_T9_mT8_P12ihipStream_tbDpT10_ENKUlT_T0_E_clISt17integral_constantIbLb1EES17_IbLb0EEEEDaS13_S14_EUlS13_E_NS1_11comp_targetILNS1_3genE8ELNS1_11target_archE1030ELNS1_3gpuE2ELNS1_3repE0EEENS1_30default_config_static_selectorELNS0_4arch9wavefront6targetE0EEEvT1_
                                        ; -- End function
	.set _ZN7rocprim17ROCPRIM_400000_NS6detail17trampoline_kernelINS0_14default_configENS1_25partition_config_selectorILNS1_17partition_subalgoE6EfNS0_10empty_typeEbEEZZNS1_14partition_implILS5_6ELb0ES3_mN6thrust23THRUST_200600_302600_NS6detail15normal_iteratorINSA_10device_ptrIfEEEEPS6_SG_NS0_5tupleIJSF_S6_EEENSH_IJSG_SG_EEES6_PlJNSB_9not_fun_tINSB_14equal_to_valueIfEEEEEEE10hipError_tPvRmT3_T4_T5_T6_T7_T9_mT8_P12ihipStream_tbDpT10_ENKUlT_T0_E_clISt17integral_constantIbLb1EES17_IbLb0EEEEDaS13_S14_EUlS13_E_NS1_11comp_targetILNS1_3genE8ELNS1_11target_archE1030ELNS1_3gpuE2ELNS1_3repE0EEENS1_30default_config_static_selectorELNS0_4arch9wavefront6targetE0EEEvT1_.num_vgpr, 0
	.set _ZN7rocprim17ROCPRIM_400000_NS6detail17trampoline_kernelINS0_14default_configENS1_25partition_config_selectorILNS1_17partition_subalgoE6EfNS0_10empty_typeEbEEZZNS1_14partition_implILS5_6ELb0ES3_mN6thrust23THRUST_200600_302600_NS6detail15normal_iteratorINSA_10device_ptrIfEEEEPS6_SG_NS0_5tupleIJSF_S6_EEENSH_IJSG_SG_EEES6_PlJNSB_9not_fun_tINSB_14equal_to_valueIfEEEEEEE10hipError_tPvRmT3_T4_T5_T6_T7_T9_mT8_P12ihipStream_tbDpT10_ENKUlT_T0_E_clISt17integral_constantIbLb1EES17_IbLb0EEEEDaS13_S14_EUlS13_E_NS1_11comp_targetILNS1_3genE8ELNS1_11target_archE1030ELNS1_3gpuE2ELNS1_3repE0EEENS1_30default_config_static_selectorELNS0_4arch9wavefront6targetE0EEEvT1_.num_agpr, 0
	.set _ZN7rocprim17ROCPRIM_400000_NS6detail17trampoline_kernelINS0_14default_configENS1_25partition_config_selectorILNS1_17partition_subalgoE6EfNS0_10empty_typeEbEEZZNS1_14partition_implILS5_6ELb0ES3_mN6thrust23THRUST_200600_302600_NS6detail15normal_iteratorINSA_10device_ptrIfEEEEPS6_SG_NS0_5tupleIJSF_S6_EEENSH_IJSG_SG_EEES6_PlJNSB_9not_fun_tINSB_14equal_to_valueIfEEEEEEE10hipError_tPvRmT3_T4_T5_T6_T7_T9_mT8_P12ihipStream_tbDpT10_ENKUlT_T0_E_clISt17integral_constantIbLb1EES17_IbLb0EEEEDaS13_S14_EUlS13_E_NS1_11comp_targetILNS1_3genE8ELNS1_11target_archE1030ELNS1_3gpuE2ELNS1_3repE0EEENS1_30default_config_static_selectorELNS0_4arch9wavefront6targetE0EEEvT1_.numbered_sgpr, 0
	.set _ZN7rocprim17ROCPRIM_400000_NS6detail17trampoline_kernelINS0_14default_configENS1_25partition_config_selectorILNS1_17partition_subalgoE6EfNS0_10empty_typeEbEEZZNS1_14partition_implILS5_6ELb0ES3_mN6thrust23THRUST_200600_302600_NS6detail15normal_iteratorINSA_10device_ptrIfEEEEPS6_SG_NS0_5tupleIJSF_S6_EEENSH_IJSG_SG_EEES6_PlJNSB_9not_fun_tINSB_14equal_to_valueIfEEEEEEE10hipError_tPvRmT3_T4_T5_T6_T7_T9_mT8_P12ihipStream_tbDpT10_ENKUlT_T0_E_clISt17integral_constantIbLb1EES17_IbLb0EEEEDaS13_S14_EUlS13_E_NS1_11comp_targetILNS1_3genE8ELNS1_11target_archE1030ELNS1_3gpuE2ELNS1_3repE0EEENS1_30default_config_static_selectorELNS0_4arch9wavefront6targetE0EEEvT1_.num_named_barrier, 0
	.set _ZN7rocprim17ROCPRIM_400000_NS6detail17trampoline_kernelINS0_14default_configENS1_25partition_config_selectorILNS1_17partition_subalgoE6EfNS0_10empty_typeEbEEZZNS1_14partition_implILS5_6ELb0ES3_mN6thrust23THRUST_200600_302600_NS6detail15normal_iteratorINSA_10device_ptrIfEEEEPS6_SG_NS0_5tupleIJSF_S6_EEENSH_IJSG_SG_EEES6_PlJNSB_9not_fun_tINSB_14equal_to_valueIfEEEEEEE10hipError_tPvRmT3_T4_T5_T6_T7_T9_mT8_P12ihipStream_tbDpT10_ENKUlT_T0_E_clISt17integral_constantIbLb1EES17_IbLb0EEEEDaS13_S14_EUlS13_E_NS1_11comp_targetILNS1_3genE8ELNS1_11target_archE1030ELNS1_3gpuE2ELNS1_3repE0EEENS1_30default_config_static_selectorELNS0_4arch9wavefront6targetE0EEEvT1_.private_seg_size, 0
	.set _ZN7rocprim17ROCPRIM_400000_NS6detail17trampoline_kernelINS0_14default_configENS1_25partition_config_selectorILNS1_17partition_subalgoE6EfNS0_10empty_typeEbEEZZNS1_14partition_implILS5_6ELb0ES3_mN6thrust23THRUST_200600_302600_NS6detail15normal_iteratorINSA_10device_ptrIfEEEEPS6_SG_NS0_5tupleIJSF_S6_EEENSH_IJSG_SG_EEES6_PlJNSB_9not_fun_tINSB_14equal_to_valueIfEEEEEEE10hipError_tPvRmT3_T4_T5_T6_T7_T9_mT8_P12ihipStream_tbDpT10_ENKUlT_T0_E_clISt17integral_constantIbLb1EES17_IbLb0EEEEDaS13_S14_EUlS13_E_NS1_11comp_targetILNS1_3genE8ELNS1_11target_archE1030ELNS1_3gpuE2ELNS1_3repE0EEENS1_30default_config_static_selectorELNS0_4arch9wavefront6targetE0EEEvT1_.uses_vcc, 0
	.set _ZN7rocprim17ROCPRIM_400000_NS6detail17trampoline_kernelINS0_14default_configENS1_25partition_config_selectorILNS1_17partition_subalgoE6EfNS0_10empty_typeEbEEZZNS1_14partition_implILS5_6ELb0ES3_mN6thrust23THRUST_200600_302600_NS6detail15normal_iteratorINSA_10device_ptrIfEEEEPS6_SG_NS0_5tupleIJSF_S6_EEENSH_IJSG_SG_EEES6_PlJNSB_9not_fun_tINSB_14equal_to_valueIfEEEEEEE10hipError_tPvRmT3_T4_T5_T6_T7_T9_mT8_P12ihipStream_tbDpT10_ENKUlT_T0_E_clISt17integral_constantIbLb1EES17_IbLb0EEEEDaS13_S14_EUlS13_E_NS1_11comp_targetILNS1_3genE8ELNS1_11target_archE1030ELNS1_3gpuE2ELNS1_3repE0EEENS1_30default_config_static_selectorELNS0_4arch9wavefront6targetE0EEEvT1_.uses_flat_scratch, 0
	.set _ZN7rocprim17ROCPRIM_400000_NS6detail17trampoline_kernelINS0_14default_configENS1_25partition_config_selectorILNS1_17partition_subalgoE6EfNS0_10empty_typeEbEEZZNS1_14partition_implILS5_6ELb0ES3_mN6thrust23THRUST_200600_302600_NS6detail15normal_iteratorINSA_10device_ptrIfEEEEPS6_SG_NS0_5tupleIJSF_S6_EEENSH_IJSG_SG_EEES6_PlJNSB_9not_fun_tINSB_14equal_to_valueIfEEEEEEE10hipError_tPvRmT3_T4_T5_T6_T7_T9_mT8_P12ihipStream_tbDpT10_ENKUlT_T0_E_clISt17integral_constantIbLb1EES17_IbLb0EEEEDaS13_S14_EUlS13_E_NS1_11comp_targetILNS1_3genE8ELNS1_11target_archE1030ELNS1_3gpuE2ELNS1_3repE0EEENS1_30default_config_static_selectorELNS0_4arch9wavefront6targetE0EEEvT1_.has_dyn_sized_stack, 0
	.set _ZN7rocprim17ROCPRIM_400000_NS6detail17trampoline_kernelINS0_14default_configENS1_25partition_config_selectorILNS1_17partition_subalgoE6EfNS0_10empty_typeEbEEZZNS1_14partition_implILS5_6ELb0ES3_mN6thrust23THRUST_200600_302600_NS6detail15normal_iteratorINSA_10device_ptrIfEEEEPS6_SG_NS0_5tupleIJSF_S6_EEENSH_IJSG_SG_EEES6_PlJNSB_9not_fun_tINSB_14equal_to_valueIfEEEEEEE10hipError_tPvRmT3_T4_T5_T6_T7_T9_mT8_P12ihipStream_tbDpT10_ENKUlT_T0_E_clISt17integral_constantIbLb1EES17_IbLb0EEEEDaS13_S14_EUlS13_E_NS1_11comp_targetILNS1_3genE8ELNS1_11target_archE1030ELNS1_3gpuE2ELNS1_3repE0EEENS1_30default_config_static_selectorELNS0_4arch9wavefront6targetE0EEEvT1_.has_recursion, 0
	.set _ZN7rocprim17ROCPRIM_400000_NS6detail17trampoline_kernelINS0_14default_configENS1_25partition_config_selectorILNS1_17partition_subalgoE6EfNS0_10empty_typeEbEEZZNS1_14partition_implILS5_6ELb0ES3_mN6thrust23THRUST_200600_302600_NS6detail15normal_iteratorINSA_10device_ptrIfEEEEPS6_SG_NS0_5tupleIJSF_S6_EEENSH_IJSG_SG_EEES6_PlJNSB_9not_fun_tINSB_14equal_to_valueIfEEEEEEE10hipError_tPvRmT3_T4_T5_T6_T7_T9_mT8_P12ihipStream_tbDpT10_ENKUlT_T0_E_clISt17integral_constantIbLb1EES17_IbLb0EEEEDaS13_S14_EUlS13_E_NS1_11comp_targetILNS1_3genE8ELNS1_11target_archE1030ELNS1_3gpuE2ELNS1_3repE0EEENS1_30default_config_static_selectorELNS0_4arch9wavefront6targetE0EEEvT1_.has_indirect_call, 0
	.section	.AMDGPU.csdata,"",@progbits
; Kernel info:
; codeLenInByte = 0
; TotalNumSgprs: 0
; NumVgprs: 0
; ScratchSize: 0
; MemoryBound: 0
; FloatMode: 240
; IeeeMode: 1
; LDSByteSize: 0 bytes/workgroup (compile time only)
; SGPRBlocks: 0
; VGPRBlocks: 0
; NumSGPRsForWavesPerEU: 1
; NumVGPRsForWavesPerEU: 1
; Occupancy: 16
; WaveLimiterHint : 0
; COMPUTE_PGM_RSRC2:SCRATCH_EN: 0
; COMPUTE_PGM_RSRC2:USER_SGPR: 2
; COMPUTE_PGM_RSRC2:TRAP_HANDLER: 0
; COMPUTE_PGM_RSRC2:TGID_X_EN: 1
; COMPUTE_PGM_RSRC2:TGID_Y_EN: 0
; COMPUTE_PGM_RSRC2:TGID_Z_EN: 0
; COMPUTE_PGM_RSRC2:TIDIG_COMP_CNT: 0
	.section	.text._ZN7rocprim17ROCPRIM_400000_NS6detail17trampoline_kernelINS0_14default_configENS1_25partition_config_selectorILNS1_17partition_subalgoE6EfNS0_10empty_typeEbEEZZNS1_14partition_implILS5_6ELb0ES3_mN6thrust23THRUST_200600_302600_NS6detail15normal_iteratorINSA_10device_ptrIfEEEEPS6_SG_NS0_5tupleIJSF_S6_EEENSH_IJSG_SG_EEES6_PlJNSB_9not_fun_tINSB_14equal_to_valueIfEEEEEEE10hipError_tPvRmT3_T4_T5_T6_T7_T9_mT8_P12ihipStream_tbDpT10_ENKUlT_T0_E_clISt17integral_constantIbLb0EES17_IbLb1EEEEDaS13_S14_EUlS13_E_NS1_11comp_targetILNS1_3genE0ELNS1_11target_archE4294967295ELNS1_3gpuE0ELNS1_3repE0EEENS1_30default_config_static_selectorELNS0_4arch9wavefront6targetE0EEEvT1_,"axG",@progbits,_ZN7rocprim17ROCPRIM_400000_NS6detail17trampoline_kernelINS0_14default_configENS1_25partition_config_selectorILNS1_17partition_subalgoE6EfNS0_10empty_typeEbEEZZNS1_14partition_implILS5_6ELb0ES3_mN6thrust23THRUST_200600_302600_NS6detail15normal_iteratorINSA_10device_ptrIfEEEEPS6_SG_NS0_5tupleIJSF_S6_EEENSH_IJSG_SG_EEES6_PlJNSB_9not_fun_tINSB_14equal_to_valueIfEEEEEEE10hipError_tPvRmT3_T4_T5_T6_T7_T9_mT8_P12ihipStream_tbDpT10_ENKUlT_T0_E_clISt17integral_constantIbLb0EES17_IbLb1EEEEDaS13_S14_EUlS13_E_NS1_11comp_targetILNS1_3genE0ELNS1_11target_archE4294967295ELNS1_3gpuE0ELNS1_3repE0EEENS1_30default_config_static_selectorELNS0_4arch9wavefront6targetE0EEEvT1_,comdat
	.protected	_ZN7rocprim17ROCPRIM_400000_NS6detail17trampoline_kernelINS0_14default_configENS1_25partition_config_selectorILNS1_17partition_subalgoE6EfNS0_10empty_typeEbEEZZNS1_14partition_implILS5_6ELb0ES3_mN6thrust23THRUST_200600_302600_NS6detail15normal_iteratorINSA_10device_ptrIfEEEEPS6_SG_NS0_5tupleIJSF_S6_EEENSH_IJSG_SG_EEES6_PlJNSB_9not_fun_tINSB_14equal_to_valueIfEEEEEEE10hipError_tPvRmT3_T4_T5_T6_T7_T9_mT8_P12ihipStream_tbDpT10_ENKUlT_T0_E_clISt17integral_constantIbLb0EES17_IbLb1EEEEDaS13_S14_EUlS13_E_NS1_11comp_targetILNS1_3genE0ELNS1_11target_archE4294967295ELNS1_3gpuE0ELNS1_3repE0EEENS1_30default_config_static_selectorELNS0_4arch9wavefront6targetE0EEEvT1_ ; -- Begin function _ZN7rocprim17ROCPRIM_400000_NS6detail17trampoline_kernelINS0_14default_configENS1_25partition_config_selectorILNS1_17partition_subalgoE6EfNS0_10empty_typeEbEEZZNS1_14partition_implILS5_6ELb0ES3_mN6thrust23THRUST_200600_302600_NS6detail15normal_iteratorINSA_10device_ptrIfEEEEPS6_SG_NS0_5tupleIJSF_S6_EEENSH_IJSG_SG_EEES6_PlJNSB_9not_fun_tINSB_14equal_to_valueIfEEEEEEE10hipError_tPvRmT3_T4_T5_T6_T7_T9_mT8_P12ihipStream_tbDpT10_ENKUlT_T0_E_clISt17integral_constantIbLb0EES17_IbLb1EEEEDaS13_S14_EUlS13_E_NS1_11comp_targetILNS1_3genE0ELNS1_11target_archE4294967295ELNS1_3gpuE0ELNS1_3repE0EEENS1_30default_config_static_selectorELNS0_4arch9wavefront6targetE0EEEvT1_
	.globl	_ZN7rocprim17ROCPRIM_400000_NS6detail17trampoline_kernelINS0_14default_configENS1_25partition_config_selectorILNS1_17partition_subalgoE6EfNS0_10empty_typeEbEEZZNS1_14partition_implILS5_6ELb0ES3_mN6thrust23THRUST_200600_302600_NS6detail15normal_iteratorINSA_10device_ptrIfEEEEPS6_SG_NS0_5tupleIJSF_S6_EEENSH_IJSG_SG_EEES6_PlJNSB_9not_fun_tINSB_14equal_to_valueIfEEEEEEE10hipError_tPvRmT3_T4_T5_T6_T7_T9_mT8_P12ihipStream_tbDpT10_ENKUlT_T0_E_clISt17integral_constantIbLb0EES17_IbLb1EEEEDaS13_S14_EUlS13_E_NS1_11comp_targetILNS1_3genE0ELNS1_11target_archE4294967295ELNS1_3gpuE0ELNS1_3repE0EEENS1_30default_config_static_selectorELNS0_4arch9wavefront6targetE0EEEvT1_
	.p2align	8
	.type	_ZN7rocprim17ROCPRIM_400000_NS6detail17trampoline_kernelINS0_14default_configENS1_25partition_config_selectorILNS1_17partition_subalgoE6EfNS0_10empty_typeEbEEZZNS1_14partition_implILS5_6ELb0ES3_mN6thrust23THRUST_200600_302600_NS6detail15normal_iteratorINSA_10device_ptrIfEEEEPS6_SG_NS0_5tupleIJSF_S6_EEENSH_IJSG_SG_EEES6_PlJNSB_9not_fun_tINSB_14equal_to_valueIfEEEEEEE10hipError_tPvRmT3_T4_T5_T6_T7_T9_mT8_P12ihipStream_tbDpT10_ENKUlT_T0_E_clISt17integral_constantIbLb0EES17_IbLb1EEEEDaS13_S14_EUlS13_E_NS1_11comp_targetILNS1_3genE0ELNS1_11target_archE4294967295ELNS1_3gpuE0ELNS1_3repE0EEENS1_30default_config_static_selectorELNS0_4arch9wavefront6targetE0EEEvT1_,@function
_ZN7rocprim17ROCPRIM_400000_NS6detail17trampoline_kernelINS0_14default_configENS1_25partition_config_selectorILNS1_17partition_subalgoE6EfNS0_10empty_typeEbEEZZNS1_14partition_implILS5_6ELb0ES3_mN6thrust23THRUST_200600_302600_NS6detail15normal_iteratorINSA_10device_ptrIfEEEEPS6_SG_NS0_5tupleIJSF_S6_EEENSH_IJSG_SG_EEES6_PlJNSB_9not_fun_tINSB_14equal_to_valueIfEEEEEEE10hipError_tPvRmT3_T4_T5_T6_T7_T9_mT8_P12ihipStream_tbDpT10_ENKUlT_T0_E_clISt17integral_constantIbLb0EES17_IbLb1EEEEDaS13_S14_EUlS13_E_NS1_11comp_targetILNS1_3genE0ELNS1_11target_archE4294967295ELNS1_3gpuE0ELNS1_3repE0EEENS1_30default_config_static_selectorELNS0_4arch9wavefront6targetE0EEEvT1_: ; @_ZN7rocprim17ROCPRIM_400000_NS6detail17trampoline_kernelINS0_14default_configENS1_25partition_config_selectorILNS1_17partition_subalgoE6EfNS0_10empty_typeEbEEZZNS1_14partition_implILS5_6ELb0ES3_mN6thrust23THRUST_200600_302600_NS6detail15normal_iteratorINSA_10device_ptrIfEEEEPS6_SG_NS0_5tupleIJSF_S6_EEENSH_IJSG_SG_EEES6_PlJNSB_9not_fun_tINSB_14equal_to_valueIfEEEEEEE10hipError_tPvRmT3_T4_T5_T6_T7_T9_mT8_P12ihipStream_tbDpT10_ENKUlT_T0_E_clISt17integral_constantIbLb0EES17_IbLb1EEEEDaS13_S14_EUlS13_E_NS1_11comp_targetILNS1_3genE0ELNS1_11target_archE4294967295ELNS1_3gpuE0ELNS1_3repE0EEENS1_30default_config_static_selectorELNS0_4arch9wavefront6targetE0EEEvT1_
; %bb.0:
	.section	.rodata,"a",@progbits
	.p2align	6, 0x0
	.amdhsa_kernel _ZN7rocprim17ROCPRIM_400000_NS6detail17trampoline_kernelINS0_14default_configENS1_25partition_config_selectorILNS1_17partition_subalgoE6EfNS0_10empty_typeEbEEZZNS1_14partition_implILS5_6ELb0ES3_mN6thrust23THRUST_200600_302600_NS6detail15normal_iteratorINSA_10device_ptrIfEEEEPS6_SG_NS0_5tupleIJSF_S6_EEENSH_IJSG_SG_EEES6_PlJNSB_9not_fun_tINSB_14equal_to_valueIfEEEEEEE10hipError_tPvRmT3_T4_T5_T6_T7_T9_mT8_P12ihipStream_tbDpT10_ENKUlT_T0_E_clISt17integral_constantIbLb0EES17_IbLb1EEEEDaS13_S14_EUlS13_E_NS1_11comp_targetILNS1_3genE0ELNS1_11target_archE4294967295ELNS1_3gpuE0ELNS1_3repE0EEENS1_30default_config_static_selectorELNS0_4arch9wavefront6targetE0EEEvT1_
		.amdhsa_group_segment_fixed_size 0
		.amdhsa_private_segment_fixed_size 0
		.amdhsa_kernarg_size 128
		.amdhsa_user_sgpr_count 2
		.amdhsa_user_sgpr_dispatch_ptr 0
		.amdhsa_user_sgpr_queue_ptr 0
		.amdhsa_user_sgpr_kernarg_segment_ptr 1
		.amdhsa_user_sgpr_dispatch_id 0
		.amdhsa_user_sgpr_private_segment_size 0
		.amdhsa_wavefront_size32 1
		.amdhsa_uses_dynamic_stack 0
		.amdhsa_enable_private_segment 0
		.amdhsa_system_sgpr_workgroup_id_x 1
		.amdhsa_system_sgpr_workgroup_id_y 0
		.amdhsa_system_sgpr_workgroup_id_z 0
		.amdhsa_system_sgpr_workgroup_info 0
		.amdhsa_system_vgpr_workitem_id 0
		.amdhsa_next_free_vgpr 1
		.amdhsa_next_free_sgpr 1
		.amdhsa_reserve_vcc 0
		.amdhsa_float_round_mode_32 0
		.amdhsa_float_round_mode_16_64 0
		.amdhsa_float_denorm_mode_32 3
		.amdhsa_float_denorm_mode_16_64 3
		.amdhsa_fp16_overflow 0
		.amdhsa_workgroup_processor_mode 1
		.amdhsa_memory_ordered 1
		.amdhsa_forward_progress 1
		.amdhsa_inst_pref_size 0
		.amdhsa_round_robin_scheduling 0
		.amdhsa_exception_fp_ieee_invalid_op 0
		.amdhsa_exception_fp_denorm_src 0
		.amdhsa_exception_fp_ieee_div_zero 0
		.amdhsa_exception_fp_ieee_overflow 0
		.amdhsa_exception_fp_ieee_underflow 0
		.amdhsa_exception_fp_ieee_inexact 0
		.amdhsa_exception_int_div_zero 0
	.end_amdhsa_kernel
	.section	.text._ZN7rocprim17ROCPRIM_400000_NS6detail17trampoline_kernelINS0_14default_configENS1_25partition_config_selectorILNS1_17partition_subalgoE6EfNS0_10empty_typeEbEEZZNS1_14partition_implILS5_6ELb0ES3_mN6thrust23THRUST_200600_302600_NS6detail15normal_iteratorINSA_10device_ptrIfEEEEPS6_SG_NS0_5tupleIJSF_S6_EEENSH_IJSG_SG_EEES6_PlJNSB_9not_fun_tINSB_14equal_to_valueIfEEEEEEE10hipError_tPvRmT3_T4_T5_T6_T7_T9_mT8_P12ihipStream_tbDpT10_ENKUlT_T0_E_clISt17integral_constantIbLb0EES17_IbLb1EEEEDaS13_S14_EUlS13_E_NS1_11comp_targetILNS1_3genE0ELNS1_11target_archE4294967295ELNS1_3gpuE0ELNS1_3repE0EEENS1_30default_config_static_selectorELNS0_4arch9wavefront6targetE0EEEvT1_,"axG",@progbits,_ZN7rocprim17ROCPRIM_400000_NS6detail17trampoline_kernelINS0_14default_configENS1_25partition_config_selectorILNS1_17partition_subalgoE6EfNS0_10empty_typeEbEEZZNS1_14partition_implILS5_6ELb0ES3_mN6thrust23THRUST_200600_302600_NS6detail15normal_iteratorINSA_10device_ptrIfEEEEPS6_SG_NS0_5tupleIJSF_S6_EEENSH_IJSG_SG_EEES6_PlJNSB_9not_fun_tINSB_14equal_to_valueIfEEEEEEE10hipError_tPvRmT3_T4_T5_T6_T7_T9_mT8_P12ihipStream_tbDpT10_ENKUlT_T0_E_clISt17integral_constantIbLb0EES17_IbLb1EEEEDaS13_S14_EUlS13_E_NS1_11comp_targetILNS1_3genE0ELNS1_11target_archE4294967295ELNS1_3gpuE0ELNS1_3repE0EEENS1_30default_config_static_selectorELNS0_4arch9wavefront6targetE0EEEvT1_,comdat
.Lfunc_end333:
	.size	_ZN7rocprim17ROCPRIM_400000_NS6detail17trampoline_kernelINS0_14default_configENS1_25partition_config_selectorILNS1_17partition_subalgoE6EfNS0_10empty_typeEbEEZZNS1_14partition_implILS5_6ELb0ES3_mN6thrust23THRUST_200600_302600_NS6detail15normal_iteratorINSA_10device_ptrIfEEEEPS6_SG_NS0_5tupleIJSF_S6_EEENSH_IJSG_SG_EEES6_PlJNSB_9not_fun_tINSB_14equal_to_valueIfEEEEEEE10hipError_tPvRmT3_T4_T5_T6_T7_T9_mT8_P12ihipStream_tbDpT10_ENKUlT_T0_E_clISt17integral_constantIbLb0EES17_IbLb1EEEEDaS13_S14_EUlS13_E_NS1_11comp_targetILNS1_3genE0ELNS1_11target_archE4294967295ELNS1_3gpuE0ELNS1_3repE0EEENS1_30default_config_static_selectorELNS0_4arch9wavefront6targetE0EEEvT1_, .Lfunc_end333-_ZN7rocprim17ROCPRIM_400000_NS6detail17trampoline_kernelINS0_14default_configENS1_25partition_config_selectorILNS1_17partition_subalgoE6EfNS0_10empty_typeEbEEZZNS1_14partition_implILS5_6ELb0ES3_mN6thrust23THRUST_200600_302600_NS6detail15normal_iteratorINSA_10device_ptrIfEEEEPS6_SG_NS0_5tupleIJSF_S6_EEENSH_IJSG_SG_EEES6_PlJNSB_9not_fun_tINSB_14equal_to_valueIfEEEEEEE10hipError_tPvRmT3_T4_T5_T6_T7_T9_mT8_P12ihipStream_tbDpT10_ENKUlT_T0_E_clISt17integral_constantIbLb0EES17_IbLb1EEEEDaS13_S14_EUlS13_E_NS1_11comp_targetILNS1_3genE0ELNS1_11target_archE4294967295ELNS1_3gpuE0ELNS1_3repE0EEENS1_30default_config_static_selectorELNS0_4arch9wavefront6targetE0EEEvT1_
                                        ; -- End function
	.set _ZN7rocprim17ROCPRIM_400000_NS6detail17trampoline_kernelINS0_14default_configENS1_25partition_config_selectorILNS1_17partition_subalgoE6EfNS0_10empty_typeEbEEZZNS1_14partition_implILS5_6ELb0ES3_mN6thrust23THRUST_200600_302600_NS6detail15normal_iteratorINSA_10device_ptrIfEEEEPS6_SG_NS0_5tupleIJSF_S6_EEENSH_IJSG_SG_EEES6_PlJNSB_9not_fun_tINSB_14equal_to_valueIfEEEEEEE10hipError_tPvRmT3_T4_T5_T6_T7_T9_mT8_P12ihipStream_tbDpT10_ENKUlT_T0_E_clISt17integral_constantIbLb0EES17_IbLb1EEEEDaS13_S14_EUlS13_E_NS1_11comp_targetILNS1_3genE0ELNS1_11target_archE4294967295ELNS1_3gpuE0ELNS1_3repE0EEENS1_30default_config_static_selectorELNS0_4arch9wavefront6targetE0EEEvT1_.num_vgpr, 0
	.set _ZN7rocprim17ROCPRIM_400000_NS6detail17trampoline_kernelINS0_14default_configENS1_25partition_config_selectorILNS1_17partition_subalgoE6EfNS0_10empty_typeEbEEZZNS1_14partition_implILS5_6ELb0ES3_mN6thrust23THRUST_200600_302600_NS6detail15normal_iteratorINSA_10device_ptrIfEEEEPS6_SG_NS0_5tupleIJSF_S6_EEENSH_IJSG_SG_EEES6_PlJNSB_9not_fun_tINSB_14equal_to_valueIfEEEEEEE10hipError_tPvRmT3_T4_T5_T6_T7_T9_mT8_P12ihipStream_tbDpT10_ENKUlT_T0_E_clISt17integral_constantIbLb0EES17_IbLb1EEEEDaS13_S14_EUlS13_E_NS1_11comp_targetILNS1_3genE0ELNS1_11target_archE4294967295ELNS1_3gpuE0ELNS1_3repE0EEENS1_30default_config_static_selectorELNS0_4arch9wavefront6targetE0EEEvT1_.num_agpr, 0
	.set _ZN7rocprim17ROCPRIM_400000_NS6detail17trampoline_kernelINS0_14default_configENS1_25partition_config_selectorILNS1_17partition_subalgoE6EfNS0_10empty_typeEbEEZZNS1_14partition_implILS5_6ELb0ES3_mN6thrust23THRUST_200600_302600_NS6detail15normal_iteratorINSA_10device_ptrIfEEEEPS6_SG_NS0_5tupleIJSF_S6_EEENSH_IJSG_SG_EEES6_PlJNSB_9not_fun_tINSB_14equal_to_valueIfEEEEEEE10hipError_tPvRmT3_T4_T5_T6_T7_T9_mT8_P12ihipStream_tbDpT10_ENKUlT_T0_E_clISt17integral_constantIbLb0EES17_IbLb1EEEEDaS13_S14_EUlS13_E_NS1_11comp_targetILNS1_3genE0ELNS1_11target_archE4294967295ELNS1_3gpuE0ELNS1_3repE0EEENS1_30default_config_static_selectorELNS0_4arch9wavefront6targetE0EEEvT1_.numbered_sgpr, 0
	.set _ZN7rocprim17ROCPRIM_400000_NS6detail17trampoline_kernelINS0_14default_configENS1_25partition_config_selectorILNS1_17partition_subalgoE6EfNS0_10empty_typeEbEEZZNS1_14partition_implILS5_6ELb0ES3_mN6thrust23THRUST_200600_302600_NS6detail15normal_iteratorINSA_10device_ptrIfEEEEPS6_SG_NS0_5tupleIJSF_S6_EEENSH_IJSG_SG_EEES6_PlJNSB_9not_fun_tINSB_14equal_to_valueIfEEEEEEE10hipError_tPvRmT3_T4_T5_T6_T7_T9_mT8_P12ihipStream_tbDpT10_ENKUlT_T0_E_clISt17integral_constantIbLb0EES17_IbLb1EEEEDaS13_S14_EUlS13_E_NS1_11comp_targetILNS1_3genE0ELNS1_11target_archE4294967295ELNS1_3gpuE0ELNS1_3repE0EEENS1_30default_config_static_selectorELNS0_4arch9wavefront6targetE0EEEvT1_.num_named_barrier, 0
	.set _ZN7rocprim17ROCPRIM_400000_NS6detail17trampoline_kernelINS0_14default_configENS1_25partition_config_selectorILNS1_17partition_subalgoE6EfNS0_10empty_typeEbEEZZNS1_14partition_implILS5_6ELb0ES3_mN6thrust23THRUST_200600_302600_NS6detail15normal_iteratorINSA_10device_ptrIfEEEEPS6_SG_NS0_5tupleIJSF_S6_EEENSH_IJSG_SG_EEES6_PlJNSB_9not_fun_tINSB_14equal_to_valueIfEEEEEEE10hipError_tPvRmT3_T4_T5_T6_T7_T9_mT8_P12ihipStream_tbDpT10_ENKUlT_T0_E_clISt17integral_constantIbLb0EES17_IbLb1EEEEDaS13_S14_EUlS13_E_NS1_11comp_targetILNS1_3genE0ELNS1_11target_archE4294967295ELNS1_3gpuE0ELNS1_3repE0EEENS1_30default_config_static_selectorELNS0_4arch9wavefront6targetE0EEEvT1_.private_seg_size, 0
	.set _ZN7rocprim17ROCPRIM_400000_NS6detail17trampoline_kernelINS0_14default_configENS1_25partition_config_selectorILNS1_17partition_subalgoE6EfNS0_10empty_typeEbEEZZNS1_14partition_implILS5_6ELb0ES3_mN6thrust23THRUST_200600_302600_NS6detail15normal_iteratorINSA_10device_ptrIfEEEEPS6_SG_NS0_5tupleIJSF_S6_EEENSH_IJSG_SG_EEES6_PlJNSB_9not_fun_tINSB_14equal_to_valueIfEEEEEEE10hipError_tPvRmT3_T4_T5_T6_T7_T9_mT8_P12ihipStream_tbDpT10_ENKUlT_T0_E_clISt17integral_constantIbLb0EES17_IbLb1EEEEDaS13_S14_EUlS13_E_NS1_11comp_targetILNS1_3genE0ELNS1_11target_archE4294967295ELNS1_3gpuE0ELNS1_3repE0EEENS1_30default_config_static_selectorELNS0_4arch9wavefront6targetE0EEEvT1_.uses_vcc, 0
	.set _ZN7rocprim17ROCPRIM_400000_NS6detail17trampoline_kernelINS0_14default_configENS1_25partition_config_selectorILNS1_17partition_subalgoE6EfNS0_10empty_typeEbEEZZNS1_14partition_implILS5_6ELb0ES3_mN6thrust23THRUST_200600_302600_NS6detail15normal_iteratorINSA_10device_ptrIfEEEEPS6_SG_NS0_5tupleIJSF_S6_EEENSH_IJSG_SG_EEES6_PlJNSB_9not_fun_tINSB_14equal_to_valueIfEEEEEEE10hipError_tPvRmT3_T4_T5_T6_T7_T9_mT8_P12ihipStream_tbDpT10_ENKUlT_T0_E_clISt17integral_constantIbLb0EES17_IbLb1EEEEDaS13_S14_EUlS13_E_NS1_11comp_targetILNS1_3genE0ELNS1_11target_archE4294967295ELNS1_3gpuE0ELNS1_3repE0EEENS1_30default_config_static_selectorELNS0_4arch9wavefront6targetE0EEEvT1_.uses_flat_scratch, 0
	.set _ZN7rocprim17ROCPRIM_400000_NS6detail17trampoline_kernelINS0_14default_configENS1_25partition_config_selectorILNS1_17partition_subalgoE6EfNS0_10empty_typeEbEEZZNS1_14partition_implILS5_6ELb0ES3_mN6thrust23THRUST_200600_302600_NS6detail15normal_iteratorINSA_10device_ptrIfEEEEPS6_SG_NS0_5tupleIJSF_S6_EEENSH_IJSG_SG_EEES6_PlJNSB_9not_fun_tINSB_14equal_to_valueIfEEEEEEE10hipError_tPvRmT3_T4_T5_T6_T7_T9_mT8_P12ihipStream_tbDpT10_ENKUlT_T0_E_clISt17integral_constantIbLb0EES17_IbLb1EEEEDaS13_S14_EUlS13_E_NS1_11comp_targetILNS1_3genE0ELNS1_11target_archE4294967295ELNS1_3gpuE0ELNS1_3repE0EEENS1_30default_config_static_selectorELNS0_4arch9wavefront6targetE0EEEvT1_.has_dyn_sized_stack, 0
	.set _ZN7rocprim17ROCPRIM_400000_NS6detail17trampoline_kernelINS0_14default_configENS1_25partition_config_selectorILNS1_17partition_subalgoE6EfNS0_10empty_typeEbEEZZNS1_14partition_implILS5_6ELb0ES3_mN6thrust23THRUST_200600_302600_NS6detail15normal_iteratorINSA_10device_ptrIfEEEEPS6_SG_NS0_5tupleIJSF_S6_EEENSH_IJSG_SG_EEES6_PlJNSB_9not_fun_tINSB_14equal_to_valueIfEEEEEEE10hipError_tPvRmT3_T4_T5_T6_T7_T9_mT8_P12ihipStream_tbDpT10_ENKUlT_T0_E_clISt17integral_constantIbLb0EES17_IbLb1EEEEDaS13_S14_EUlS13_E_NS1_11comp_targetILNS1_3genE0ELNS1_11target_archE4294967295ELNS1_3gpuE0ELNS1_3repE0EEENS1_30default_config_static_selectorELNS0_4arch9wavefront6targetE0EEEvT1_.has_recursion, 0
	.set _ZN7rocprim17ROCPRIM_400000_NS6detail17trampoline_kernelINS0_14default_configENS1_25partition_config_selectorILNS1_17partition_subalgoE6EfNS0_10empty_typeEbEEZZNS1_14partition_implILS5_6ELb0ES3_mN6thrust23THRUST_200600_302600_NS6detail15normal_iteratorINSA_10device_ptrIfEEEEPS6_SG_NS0_5tupleIJSF_S6_EEENSH_IJSG_SG_EEES6_PlJNSB_9not_fun_tINSB_14equal_to_valueIfEEEEEEE10hipError_tPvRmT3_T4_T5_T6_T7_T9_mT8_P12ihipStream_tbDpT10_ENKUlT_T0_E_clISt17integral_constantIbLb0EES17_IbLb1EEEEDaS13_S14_EUlS13_E_NS1_11comp_targetILNS1_3genE0ELNS1_11target_archE4294967295ELNS1_3gpuE0ELNS1_3repE0EEENS1_30default_config_static_selectorELNS0_4arch9wavefront6targetE0EEEvT1_.has_indirect_call, 0
	.section	.AMDGPU.csdata,"",@progbits
; Kernel info:
; codeLenInByte = 0
; TotalNumSgprs: 0
; NumVgprs: 0
; ScratchSize: 0
; MemoryBound: 0
; FloatMode: 240
; IeeeMode: 1
; LDSByteSize: 0 bytes/workgroup (compile time only)
; SGPRBlocks: 0
; VGPRBlocks: 0
; NumSGPRsForWavesPerEU: 1
; NumVGPRsForWavesPerEU: 1
; Occupancy: 16
; WaveLimiterHint : 0
; COMPUTE_PGM_RSRC2:SCRATCH_EN: 0
; COMPUTE_PGM_RSRC2:USER_SGPR: 2
; COMPUTE_PGM_RSRC2:TRAP_HANDLER: 0
; COMPUTE_PGM_RSRC2:TGID_X_EN: 1
; COMPUTE_PGM_RSRC2:TGID_Y_EN: 0
; COMPUTE_PGM_RSRC2:TGID_Z_EN: 0
; COMPUTE_PGM_RSRC2:TIDIG_COMP_CNT: 0
	.section	.text._ZN7rocprim17ROCPRIM_400000_NS6detail17trampoline_kernelINS0_14default_configENS1_25partition_config_selectorILNS1_17partition_subalgoE6EfNS0_10empty_typeEbEEZZNS1_14partition_implILS5_6ELb0ES3_mN6thrust23THRUST_200600_302600_NS6detail15normal_iteratorINSA_10device_ptrIfEEEEPS6_SG_NS0_5tupleIJSF_S6_EEENSH_IJSG_SG_EEES6_PlJNSB_9not_fun_tINSB_14equal_to_valueIfEEEEEEE10hipError_tPvRmT3_T4_T5_T6_T7_T9_mT8_P12ihipStream_tbDpT10_ENKUlT_T0_E_clISt17integral_constantIbLb0EES17_IbLb1EEEEDaS13_S14_EUlS13_E_NS1_11comp_targetILNS1_3genE5ELNS1_11target_archE942ELNS1_3gpuE9ELNS1_3repE0EEENS1_30default_config_static_selectorELNS0_4arch9wavefront6targetE0EEEvT1_,"axG",@progbits,_ZN7rocprim17ROCPRIM_400000_NS6detail17trampoline_kernelINS0_14default_configENS1_25partition_config_selectorILNS1_17partition_subalgoE6EfNS0_10empty_typeEbEEZZNS1_14partition_implILS5_6ELb0ES3_mN6thrust23THRUST_200600_302600_NS6detail15normal_iteratorINSA_10device_ptrIfEEEEPS6_SG_NS0_5tupleIJSF_S6_EEENSH_IJSG_SG_EEES6_PlJNSB_9not_fun_tINSB_14equal_to_valueIfEEEEEEE10hipError_tPvRmT3_T4_T5_T6_T7_T9_mT8_P12ihipStream_tbDpT10_ENKUlT_T0_E_clISt17integral_constantIbLb0EES17_IbLb1EEEEDaS13_S14_EUlS13_E_NS1_11comp_targetILNS1_3genE5ELNS1_11target_archE942ELNS1_3gpuE9ELNS1_3repE0EEENS1_30default_config_static_selectorELNS0_4arch9wavefront6targetE0EEEvT1_,comdat
	.protected	_ZN7rocprim17ROCPRIM_400000_NS6detail17trampoline_kernelINS0_14default_configENS1_25partition_config_selectorILNS1_17partition_subalgoE6EfNS0_10empty_typeEbEEZZNS1_14partition_implILS5_6ELb0ES3_mN6thrust23THRUST_200600_302600_NS6detail15normal_iteratorINSA_10device_ptrIfEEEEPS6_SG_NS0_5tupleIJSF_S6_EEENSH_IJSG_SG_EEES6_PlJNSB_9not_fun_tINSB_14equal_to_valueIfEEEEEEE10hipError_tPvRmT3_T4_T5_T6_T7_T9_mT8_P12ihipStream_tbDpT10_ENKUlT_T0_E_clISt17integral_constantIbLb0EES17_IbLb1EEEEDaS13_S14_EUlS13_E_NS1_11comp_targetILNS1_3genE5ELNS1_11target_archE942ELNS1_3gpuE9ELNS1_3repE0EEENS1_30default_config_static_selectorELNS0_4arch9wavefront6targetE0EEEvT1_ ; -- Begin function _ZN7rocprim17ROCPRIM_400000_NS6detail17trampoline_kernelINS0_14default_configENS1_25partition_config_selectorILNS1_17partition_subalgoE6EfNS0_10empty_typeEbEEZZNS1_14partition_implILS5_6ELb0ES3_mN6thrust23THRUST_200600_302600_NS6detail15normal_iteratorINSA_10device_ptrIfEEEEPS6_SG_NS0_5tupleIJSF_S6_EEENSH_IJSG_SG_EEES6_PlJNSB_9not_fun_tINSB_14equal_to_valueIfEEEEEEE10hipError_tPvRmT3_T4_T5_T6_T7_T9_mT8_P12ihipStream_tbDpT10_ENKUlT_T0_E_clISt17integral_constantIbLb0EES17_IbLb1EEEEDaS13_S14_EUlS13_E_NS1_11comp_targetILNS1_3genE5ELNS1_11target_archE942ELNS1_3gpuE9ELNS1_3repE0EEENS1_30default_config_static_selectorELNS0_4arch9wavefront6targetE0EEEvT1_
	.globl	_ZN7rocprim17ROCPRIM_400000_NS6detail17trampoline_kernelINS0_14default_configENS1_25partition_config_selectorILNS1_17partition_subalgoE6EfNS0_10empty_typeEbEEZZNS1_14partition_implILS5_6ELb0ES3_mN6thrust23THRUST_200600_302600_NS6detail15normal_iteratorINSA_10device_ptrIfEEEEPS6_SG_NS0_5tupleIJSF_S6_EEENSH_IJSG_SG_EEES6_PlJNSB_9not_fun_tINSB_14equal_to_valueIfEEEEEEE10hipError_tPvRmT3_T4_T5_T6_T7_T9_mT8_P12ihipStream_tbDpT10_ENKUlT_T0_E_clISt17integral_constantIbLb0EES17_IbLb1EEEEDaS13_S14_EUlS13_E_NS1_11comp_targetILNS1_3genE5ELNS1_11target_archE942ELNS1_3gpuE9ELNS1_3repE0EEENS1_30default_config_static_selectorELNS0_4arch9wavefront6targetE0EEEvT1_
	.p2align	8
	.type	_ZN7rocprim17ROCPRIM_400000_NS6detail17trampoline_kernelINS0_14default_configENS1_25partition_config_selectorILNS1_17partition_subalgoE6EfNS0_10empty_typeEbEEZZNS1_14partition_implILS5_6ELb0ES3_mN6thrust23THRUST_200600_302600_NS6detail15normal_iteratorINSA_10device_ptrIfEEEEPS6_SG_NS0_5tupleIJSF_S6_EEENSH_IJSG_SG_EEES6_PlJNSB_9not_fun_tINSB_14equal_to_valueIfEEEEEEE10hipError_tPvRmT3_T4_T5_T6_T7_T9_mT8_P12ihipStream_tbDpT10_ENKUlT_T0_E_clISt17integral_constantIbLb0EES17_IbLb1EEEEDaS13_S14_EUlS13_E_NS1_11comp_targetILNS1_3genE5ELNS1_11target_archE942ELNS1_3gpuE9ELNS1_3repE0EEENS1_30default_config_static_selectorELNS0_4arch9wavefront6targetE0EEEvT1_,@function
_ZN7rocprim17ROCPRIM_400000_NS6detail17trampoline_kernelINS0_14default_configENS1_25partition_config_selectorILNS1_17partition_subalgoE6EfNS0_10empty_typeEbEEZZNS1_14partition_implILS5_6ELb0ES3_mN6thrust23THRUST_200600_302600_NS6detail15normal_iteratorINSA_10device_ptrIfEEEEPS6_SG_NS0_5tupleIJSF_S6_EEENSH_IJSG_SG_EEES6_PlJNSB_9not_fun_tINSB_14equal_to_valueIfEEEEEEE10hipError_tPvRmT3_T4_T5_T6_T7_T9_mT8_P12ihipStream_tbDpT10_ENKUlT_T0_E_clISt17integral_constantIbLb0EES17_IbLb1EEEEDaS13_S14_EUlS13_E_NS1_11comp_targetILNS1_3genE5ELNS1_11target_archE942ELNS1_3gpuE9ELNS1_3repE0EEENS1_30default_config_static_selectorELNS0_4arch9wavefront6targetE0EEEvT1_: ; @_ZN7rocprim17ROCPRIM_400000_NS6detail17trampoline_kernelINS0_14default_configENS1_25partition_config_selectorILNS1_17partition_subalgoE6EfNS0_10empty_typeEbEEZZNS1_14partition_implILS5_6ELb0ES3_mN6thrust23THRUST_200600_302600_NS6detail15normal_iteratorINSA_10device_ptrIfEEEEPS6_SG_NS0_5tupleIJSF_S6_EEENSH_IJSG_SG_EEES6_PlJNSB_9not_fun_tINSB_14equal_to_valueIfEEEEEEE10hipError_tPvRmT3_T4_T5_T6_T7_T9_mT8_P12ihipStream_tbDpT10_ENKUlT_T0_E_clISt17integral_constantIbLb0EES17_IbLb1EEEEDaS13_S14_EUlS13_E_NS1_11comp_targetILNS1_3genE5ELNS1_11target_archE942ELNS1_3gpuE9ELNS1_3repE0EEENS1_30default_config_static_selectorELNS0_4arch9wavefront6targetE0EEEvT1_
; %bb.0:
	.section	.rodata,"a",@progbits
	.p2align	6, 0x0
	.amdhsa_kernel _ZN7rocprim17ROCPRIM_400000_NS6detail17trampoline_kernelINS0_14default_configENS1_25partition_config_selectorILNS1_17partition_subalgoE6EfNS0_10empty_typeEbEEZZNS1_14partition_implILS5_6ELb0ES3_mN6thrust23THRUST_200600_302600_NS6detail15normal_iteratorINSA_10device_ptrIfEEEEPS6_SG_NS0_5tupleIJSF_S6_EEENSH_IJSG_SG_EEES6_PlJNSB_9not_fun_tINSB_14equal_to_valueIfEEEEEEE10hipError_tPvRmT3_T4_T5_T6_T7_T9_mT8_P12ihipStream_tbDpT10_ENKUlT_T0_E_clISt17integral_constantIbLb0EES17_IbLb1EEEEDaS13_S14_EUlS13_E_NS1_11comp_targetILNS1_3genE5ELNS1_11target_archE942ELNS1_3gpuE9ELNS1_3repE0EEENS1_30default_config_static_selectorELNS0_4arch9wavefront6targetE0EEEvT1_
		.amdhsa_group_segment_fixed_size 0
		.amdhsa_private_segment_fixed_size 0
		.amdhsa_kernarg_size 128
		.amdhsa_user_sgpr_count 2
		.amdhsa_user_sgpr_dispatch_ptr 0
		.amdhsa_user_sgpr_queue_ptr 0
		.amdhsa_user_sgpr_kernarg_segment_ptr 1
		.amdhsa_user_sgpr_dispatch_id 0
		.amdhsa_user_sgpr_private_segment_size 0
		.amdhsa_wavefront_size32 1
		.amdhsa_uses_dynamic_stack 0
		.amdhsa_enable_private_segment 0
		.amdhsa_system_sgpr_workgroup_id_x 1
		.amdhsa_system_sgpr_workgroup_id_y 0
		.amdhsa_system_sgpr_workgroup_id_z 0
		.amdhsa_system_sgpr_workgroup_info 0
		.amdhsa_system_vgpr_workitem_id 0
		.amdhsa_next_free_vgpr 1
		.amdhsa_next_free_sgpr 1
		.amdhsa_reserve_vcc 0
		.amdhsa_float_round_mode_32 0
		.amdhsa_float_round_mode_16_64 0
		.amdhsa_float_denorm_mode_32 3
		.amdhsa_float_denorm_mode_16_64 3
		.amdhsa_fp16_overflow 0
		.amdhsa_workgroup_processor_mode 1
		.amdhsa_memory_ordered 1
		.amdhsa_forward_progress 1
		.amdhsa_inst_pref_size 0
		.amdhsa_round_robin_scheduling 0
		.amdhsa_exception_fp_ieee_invalid_op 0
		.amdhsa_exception_fp_denorm_src 0
		.amdhsa_exception_fp_ieee_div_zero 0
		.amdhsa_exception_fp_ieee_overflow 0
		.amdhsa_exception_fp_ieee_underflow 0
		.amdhsa_exception_fp_ieee_inexact 0
		.amdhsa_exception_int_div_zero 0
	.end_amdhsa_kernel
	.section	.text._ZN7rocprim17ROCPRIM_400000_NS6detail17trampoline_kernelINS0_14default_configENS1_25partition_config_selectorILNS1_17partition_subalgoE6EfNS0_10empty_typeEbEEZZNS1_14partition_implILS5_6ELb0ES3_mN6thrust23THRUST_200600_302600_NS6detail15normal_iteratorINSA_10device_ptrIfEEEEPS6_SG_NS0_5tupleIJSF_S6_EEENSH_IJSG_SG_EEES6_PlJNSB_9not_fun_tINSB_14equal_to_valueIfEEEEEEE10hipError_tPvRmT3_T4_T5_T6_T7_T9_mT8_P12ihipStream_tbDpT10_ENKUlT_T0_E_clISt17integral_constantIbLb0EES17_IbLb1EEEEDaS13_S14_EUlS13_E_NS1_11comp_targetILNS1_3genE5ELNS1_11target_archE942ELNS1_3gpuE9ELNS1_3repE0EEENS1_30default_config_static_selectorELNS0_4arch9wavefront6targetE0EEEvT1_,"axG",@progbits,_ZN7rocprim17ROCPRIM_400000_NS6detail17trampoline_kernelINS0_14default_configENS1_25partition_config_selectorILNS1_17partition_subalgoE6EfNS0_10empty_typeEbEEZZNS1_14partition_implILS5_6ELb0ES3_mN6thrust23THRUST_200600_302600_NS6detail15normal_iteratorINSA_10device_ptrIfEEEEPS6_SG_NS0_5tupleIJSF_S6_EEENSH_IJSG_SG_EEES6_PlJNSB_9not_fun_tINSB_14equal_to_valueIfEEEEEEE10hipError_tPvRmT3_T4_T5_T6_T7_T9_mT8_P12ihipStream_tbDpT10_ENKUlT_T0_E_clISt17integral_constantIbLb0EES17_IbLb1EEEEDaS13_S14_EUlS13_E_NS1_11comp_targetILNS1_3genE5ELNS1_11target_archE942ELNS1_3gpuE9ELNS1_3repE0EEENS1_30default_config_static_selectorELNS0_4arch9wavefront6targetE0EEEvT1_,comdat
.Lfunc_end334:
	.size	_ZN7rocprim17ROCPRIM_400000_NS6detail17trampoline_kernelINS0_14default_configENS1_25partition_config_selectorILNS1_17partition_subalgoE6EfNS0_10empty_typeEbEEZZNS1_14partition_implILS5_6ELb0ES3_mN6thrust23THRUST_200600_302600_NS6detail15normal_iteratorINSA_10device_ptrIfEEEEPS6_SG_NS0_5tupleIJSF_S6_EEENSH_IJSG_SG_EEES6_PlJNSB_9not_fun_tINSB_14equal_to_valueIfEEEEEEE10hipError_tPvRmT3_T4_T5_T6_T7_T9_mT8_P12ihipStream_tbDpT10_ENKUlT_T0_E_clISt17integral_constantIbLb0EES17_IbLb1EEEEDaS13_S14_EUlS13_E_NS1_11comp_targetILNS1_3genE5ELNS1_11target_archE942ELNS1_3gpuE9ELNS1_3repE0EEENS1_30default_config_static_selectorELNS0_4arch9wavefront6targetE0EEEvT1_, .Lfunc_end334-_ZN7rocprim17ROCPRIM_400000_NS6detail17trampoline_kernelINS0_14default_configENS1_25partition_config_selectorILNS1_17partition_subalgoE6EfNS0_10empty_typeEbEEZZNS1_14partition_implILS5_6ELb0ES3_mN6thrust23THRUST_200600_302600_NS6detail15normal_iteratorINSA_10device_ptrIfEEEEPS6_SG_NS0_5tupleIJSF_S6_EEENSH_IJSG_SG_EEES6_PlJNSB_9not_fun_tINSB_14equal_to_valueIfEEEEEEE10hipError_tPvRmT3_T4_T5_T6_T7_T9_mT8_P12ihipStream_tbDpT10_ENKUlT_T0_E_clISt17integral_constantIbLb0EES17_IbLb1EEEEDaS13_S14_EUlS13_E_NS1_11comp_targetILNS1_3genE5ELNS1_11target_archE942ELNS1_3gpuE9ELNS1_3repE0EEENS1_30default_config_static_selectorELNS0_4arch9wavefront6targetE0EEEvT1_
                                        ; -- End function
	.set _ZN7rocprim17ROCPRIM_400000_NS6detail17trampoline_kernelINS0_14default_configENS1_25partition_config_selectorILNS1_17partition_subalgoE6EfNS0_10empty_typeEbEEZZNS1_14partition_implILS5_6ELb0ES3_mN6thrust23THRUST_200600_302600_NS6detail15normal_iteratorINSA_10device_ptrIfEEEEPS6_SG_NS0_5tupleIJSF_S6_EEENSH_IJSG_SG_EEES6_PlJNSB_9not_fun_tINSB_14equal_to_valueIfEEEEEEE10hipError_tPvRmT3_T4_T5_T6_T7_T9_mT8_P12ihipStream_tbDpT10_ENKUlT_T0_E_clISt17integral_constantIbLb0EES17_IbLb1EEEEDaS13_S14_EUlS13_E_NS1_11comp_targetILNS1_3genE5ELNS1_11target_archE942ELNS1_3gpuE9ELNS1_3repE0EEENS1_30default_config_static_selectorELNS0_4arch9wavefront6targetE0EEEvT1_.num_vgpr, 0
	.set _ZN7rocprim17ROCPRIM_400000_NS6detail17trampoline_kernelINS0_14default_configENS1_25partition_config_selectorILNS1_17partition_subalgoE6EfNS0_10empty_typeEbEEZZNS1_14partition_implILS5_6ELb0ES3_mN6thrust23THRUST_200600_302600_NS6detail15normal_iteratorINSA_10device_ptrIfEEEEPS6_SG_NS0_5tupleIJSF_S6_EEENSH_IJSG_SG_EEES6_PlJNSB_9not_fun_tINSB_14equal_to_valueIfEEEEEEE10hipError_tPvRmT3_T4_T5_T6_T7_T9_mT8_P12ihipStream_tbDpT10_ENKUlT_T0_E_clISt17integral_constantIbLb0EES17_IbLb1EEEEDaS13_S14_EUlS13_E_NS1_11comp_targetILNS1_3genE5ELNS1_11target_archE942ELNS1_3gpuE9ELNS1_3repE0EEENS1_30default_config_static_selectorELNS0_4arch9wavefront6targetE0EEEvT1_.num_agpr, 0
	.set _ZN7rocprim17ROCPRIM_400000_NS6detail17trampoline_kernelINS0_14default_configENS1_25partition_config_selectorILNS1_17partition_subalgoE6EfNS0_10empty_typeEbEEZZNS1_14partition_implILS5_6ELb0ES3_mN6thrust23THRUST_200600_302600_NS6detail15normal_iteratorINSA_10device_ptrIfEEEEPS6_SG_NS0_5tupleIJSF_S6_EEENSH_IJSG_SG_EEES6_PlJNSB_9not_fun_tINSB_14equal_to_valueIfEEEEEEE10hipError_tPvRmT3_T4_T5_T6_T7_T9_mT8_P12ihipStream_tbDpT10_ENKUlT_T0_E_clISt17integral_constantIbLb0EES17_IbLb1EEEEDaS13_S14_EUlS13_E_NS1_11comp_targetILNS1_3genE5ELNS1_11target_archE942ELNS1_3gpuE9ELNS1_3repE0EEENS1_30default_config_static_selectorELNS0_4arch9wavefront6targetE0EEEvT1_.numbered_sgpr, 0
	.set _ZN7rocprim17ROCPRIM_400000_NS6detail17trampoline_kernelINS0_14default_configENS1_25partition_config_selectorILNS1_17partition_subalgoE6EfNS0_10empty_typeEbEEZZNS1_14partition_implILS5_6ELb0ES3_mN6thrust23THRUST_200600_302600_NS6detail15normal_iteratorINSA_10device_ptrIfEEEEPS6_SG_NS0_5tupleIJSF_S6_EEENSH_IJSG_SG_EEES6_PlJNSB_9not_fun_tINSB_14equal_to_valueIfEEEEEEE10hipError_tPvRmT3_T4_T5_T6_T7_T9_mT8_P12ihipStream_tbDpT10_ENKUlT_T0_E_clISt17integral_constantIbLb0EES17_IbLb1EEEEDaS13_S14_EUlS13_E_NS1_11comp_targetILNS1_3genE5ELNS1_11target_archE942ELNS1_3gpuE9ELNS1_3repE0EEENS1_30default_config_static_selectorELNS0_4arch9wavefront6targetE0EEEvT1_.num_named_barrier, 0
	.set _ZN7rocprim17ROCPRIM_400000_NS6detail17trampoline_kernelINS0_14default_configENS1_25partition_config_selectorILNS1_17partition_subalgoE6EfNS0_10empty_typeEbEEZZNS1_14partition_implILS5_6ELb0ES3_mN6thrust23THRUST_200600_302600_NS6detail15normal_iteratorINSA_10device_ptrIfEEEEPS6_SG_NS0_5tupleIJSF_S6_EEENSH_IJSG_SG_EEES6_PlJNSB_9not_fun_tINSB_14equal_to_valueIfEEEEEEE10hipError_tPvRmT3_T4_T5_T6_T7_T9_mT8_P12ihipStream_tbDpT10_ENKUlT_T0_E_clISt17integral_constantIbLb0EES17_IbLb1EEEEDaS13_S14_EUlS13_E_NS1_11comp_targetILNS1_3genE5ELNS1_11target_archE942ELNS1_3gpuE9ELNS1_3repE0EEENS1_30default_config_static_selectorELNS0_4arch9wavefront6targetE0EEEvT1_.private_seg_size, 0
	.set _ZN7rocprim17ROCPRIM_400000_NS6detail17trampoline_kernelINS0_14default_configENS1_25partition_config_selectorILNS1_17partition_subalgoE6EfNS0_10empty_typeEbEEZZNS1_14partition_implILS5_6ELb0ES3_mN6thrust23THRUST_200600_302600_NS6detail15normal_iteratorINSA_10device_ptrIfEEEEPS6_SG_NS0_5tupleIJSF_S6_EEENSH_IJSG_SG_EEES6_PlJNSB_9not_fun_tINSB_14equal_to_valueIfEEEEEEE10hipError_tPvRmT3_T4_T5_T6_T7_T9_mT8_P12ihipStream_tbDpT10_ENKUlT_T0_E_clISt17integral_constantIbLb0EES17_IbLb1EEEEDaS13_S14_EUlS13_E_NS1_11comp_targetILNS1_3genE5ELNS1_11target_archE942ELNS1_3gpuE9ELNS1_3repE0EEENS1_30default_config_static_selectorELNS0_4arch9wavefront6targetE0EEEvT1_.uses_vcc, 0
	.set _ZN7rocprim17ROCPRIM_400000_NS6detail17trampoline_kernelINS0_14default_configENS1_25partition_config_selectorILNS1_17partition_subalgoE6EfNS0_10empty_typeEbEEZZNS1_14partition_implILS5_6ELb0ES3_mN6thrust23THRUST_200600_302600_NS6detail15normal_iteratorINSA_10device_ptrIfEEEEPS6_SG_NS0_5tupleIJSF_S6_EEENSH_IJSG_SG_EEES6_PlJNSB_9not_fun_tINSB_14equal_to_valueIfEEEEEEE10hipError_tPvRmT3_T4_T5_T6_T7_T9_mT8_P12ihipStream_tbDpT10_ENKUlT_T0_E_clISt17integral_constantIbLb0EES17_IbLb1EEEEDaS13_S14_EUlS13_E_NS1_11comp_targetILNS1_3genE5ELNS1_11target_archE942ELNS1_3gpuE9ELNS1_3repE0EEENS1_30default_config_static_selectorELNS0_4arch9wavefront6targetE0EEEvT1_.uses_flat_scratch, 0
	.set _ZN7rocprim17ROCPRIM_400000_NS6detail17trampoline_kernelINS0_14default_configENS1_25partition_config_selectorILNS1_17partition_subalgoE6EfNS0_10empty_typeEbEEZZNS1_14partition_implILS5_6ELb0ES3_mN6thrust23THRUST_200600_302600_NS6detail15normal_iteratorINSA_10device_ptrIfEEEEPS6_SG_NS0_5tupleIJSF_S6_EEENSH_IJSG_SG_EEES6_PlJNSB_9not_fun_tINSB_14equal_to_valueIfEEEEEEE10hipError_tPvRmT3_T4_T5_T6_T7_T9_mT8_P12ihipStream_tbDpT10_ENKUlT_T0_E_clISt17integral_constantIbLb0EES17_IbLb1EEEEDaS13_S14_EUlS13_E_NS1_11comp_targetILNS1_3genE5ELNS1_11target_archE942ELNS1_3gpuE9ELNS1_3repE0EEENS1_30default_config_static_selectorELNS0_4arch9wavefront6targetE0EEEvT1_.has_dyn_sized_stack, 0
	.set _ZN7rocprim17ROCPRIM_400000_NS6detail17trampoline_kernelINS0_14default_configENS1_25partition_config_selectorILNS1_17partition_subalgoE6EfNS0_10empty_typeEbEEZZNS1_14partition_implILS5_6ELb0ES3_mN6thrust23THRUST_200600_302600_NS6detail15normal_iteratorINSA_10device_ptrIfEEEEPS6_SG_NS0_5tupleIJSF_S6_EEENSH_IJSG_SG_EEES6_PlJNSB_9not_fun_tINSB_14equal_to_valueIfEEEEEEE10hipError_tPvRmT3_T4_T5_T6_T7_T9_mT8_P12ihipStream_tbDpT10_ENKUlT_T0_E_clISt17integral_constantIbLb0EES17_IbLb1EEEEDaS13_S14_EUlS13_E_NS1_11comp_targetILNS1_3genE5ELNS1_11target_archE942ELNS1_3gpuE9ELNS1_3repE0EEENS1_30default_config_static_selectorELNS0_4arch9wavefront6targetE0EEEvT1_.has_recursion, 0
	.set _ZN7rocprim17ROCPRIM_400000_NS6detail17trampoline_kernelINS0_14default_configENS1_25partition_config_selectorILNS1_17partition_subalgoE6EfNS0_10empty_typeEbEEZZNS1_14partition_implILS5_6ELb0ES3_mN6thrust23THRUST_200600_302600_NS6detail15normal_iteratorINSA_10device_ptrIfEEEEPS6_SG_NS0_5tupleIJSF_S6_EEENSH_IJSG_SG_EEES6_PlJNSB_9not_fun_tINSB_14equal_to_valueIfEEEEEEE10hipError_tPvRmT3_T4_T5_T6_T7_T9_mT8_P12ihipStream_tbDpT10_ENKUlT_T0_E_clISt17integral_constantIbLb0EES17_IbLb1EEEEDaS13_S14_EUlS13_E_NS1_11comp_targetILNS1_3genE5ELNS1_11target_archE942ELNS1_3gpuE9ELNS1_3repE0EEENS1_30default_config_static_selectorELNS0_4arch9wavefront6targetE0EEEvT1_.has_indirect_call, 0
	.section	.AMDGPU.csdata,"",@progbits
; Kernel info:
; codeLenInByte = 0
; TotalNumSgprs: 0
; NumVgprs: 0
; ScratchSize: 0
; MemoryBound: 0
; FloatMode: 240
; IeeeMode: 1
; LDSByteSize: 0 bytes/workgroup (compile time only)
; SGPRBlocks: 0
; VGPRBlocks: 0
; NumSGPRsForWavesPerEU: 1
; NumVGPRsForWavesPerEU: 1
; Occupancy: 16
; WaveLimiterHint : 0
; COMPUTE_PGM_RSRC2:SCRATCH_EN: 0
; COMPUTE_PGM_RSRC2:USER_SGPR: 2
; COMPUTE_PGM_RSRC2:TRAP_HANDLER: 0
; COMPUTE_PGM_RSRC2:TGID_X_EN: 1
; COMPUTE_PGM_RSRC2:TGID_Y_EN: 0
; COMPUTE_PGM_RSRC2:TGID_Z_EN: 0
; COMPUTE_PGM_RSRC2:TIDIG_COMP_CNT: 0
	.section	.text._ZN7rocprim17ROCPRIM_400000_NS6detail17trampoline_kernelINS0_14default_configENS1_25partition_config_selectorILNS1_17partition_subalgoE6EfNS0_10empty_typeEbEEZZNS1_14partition_implILS5_6ELb0ES3_mN6thrust23THRUST_200600_302600_NS6detail15normal_iteratorINSA_10device_ptrIfEEEEPS6_SG_NS0_5tupleIJSF_S6_EEENSH_IJSG_SG_EEES6_PlJNSB_9not_fun_tINSB_14equal_to_valueIfEEEEEEE10hipError_tPvRmT3_T4_T5_T6_T7_T9_mT8_P12ihipStream_tbDpT10_ENKUlT_T0_E_clISt17integral_constantIbLb0EES17_IbLb1EEEEDaS13_S14_EUlS13_E_NS1_11comp_targetILNS1_3genE4ELNS1_11target_archE910ELNS1_3gpuE8ELNS1_3repE0EEENS1_30default_config_static_selectorELNS0_4arch9wavefront6targetE0EEEvT1_,"axG",@progbits,_ZN7rocprim17ROCPRIM_400000_NS6detail17trampoline_kernelINS0_14default_configENS1_25partition_config_selectorILNS1_17partition_subalgoE6EfNS0_10empty_typeEbEEZZNS1_14partition_implILS5_6ELb0ES3_mN6thrust23THRUST_200600_302600_NS6detail15normal_iteratorINSA_10device_ptrIfEEEEPS6_SG_NS0_5tupleIJSF_S6_EEENSH_IJSG_SG_EEES6_PlJNSB_9not_fun_tINSB_14equal_to_valueIfEEEEEEE10hipError_tPvRmT3_T4_T5_T6_T7_T9_mT8_P12ihipStream_tbDpT10_ENKUlT_T0_E_clISt17integral_constantIbLb0EES17_IbLb1EEEEDaS13_S14_EUlS13_E_NS1_11comp_targetILNS1_3genE4ELNS1_11target_archE910ELNS1_3gpuE8ELNS1_3repE0EEENS1_30default_config_static_selectorELNS0_4arch9wavefront6targetE0EEEvT1_,comdat
	.protected	_ZN7rocprim17ROCPRIM_400000_NS6detail17trampoline_kernelINS0_14default_configENS1_25partition_config_selectorILNS1_17partition_subalgoE6EfNS0_10empty_typeEbEEZZNS1_14partition_implILS5_6ELb0ES3_mN6thrust23THRUST_200600_302600_NS6detail15normal_iteratorINSA_10device_ptrIfEEEEPS6_SG_NS0_5tupleIJSF_S6_EEENSH_IJSG_SG_EEES6_PlJNSB_9not_fun_tINSB_14equal_to_valueIfEEEEEEE10hipError_tPvRmT3_T4_T5_T6_T7_T9_mT8_P12ihipStream_tbDpT10_ENKUlT_T0_E_clISt17integral_constantIbLb0EES17_IbLb1EEEEDaS13_S14_EUlS13_E_NS1_11comp_targetILNS1_3genE4ELNS1_11target_archE910ELNS1_3gpuE8ELNS1_3repE0EEENS1_30default_config_static_selectorELNS0_4arch9wavefront6targetE0EEEvT1_ ; -- Begin function _ZN7rocprim17ROCPRIM_400000_NS6detail17trampoline_kernelINS0_14default_configENS1_25partition_config_selectorILNS1_17partition_subalgoE6EfNS0_10empty_typeEbEEZZNS1_14partition_implILS5_6ELb0ES3_mN6thrust23THRUST_200600_302600_NS6detail15normal_iteratorINSA_10device_ptrIfEEEEPS6_SG_NS0_5tupleIJSF_S6_EEENSH_IJSG_SG_EEES6_PlJNSB_9not_fun_tINSB_14equal_to_valueIfEEEEEEE10hipError_tPvRmT3_T4_T5_T6_T7_T9_mT8_P12ihipStream_tbDpT10_ENKUlT_T0_E_clISt17integral_constantIbLb0EES17_IbLb1EEEEDaS13_S14_EUlS13_E_NS1_11comp_targetILNS1_3genE4ELNS1_11target_archE910ELNS1_3gpuE8ELNS1_3repE0EEENS1_30default_config_static_selectorELNS0_4arch9wavefront6targetE0EEEvT1_
	.globl	_ZN7rocprim17ROCPRIM_400000_NS6detail17trampoline_kernelINS0_14default_configENS1_25partition_config_selectorILNS1_17partition_subalgoE6EfNS0_10empty_typeEbEEZZNS1_14partition_implILS5_6ELb0ES3_mN6thrust23THRUST_200600_302600_NS6detail15normal_iteratorINSA_10device_ptrIfEEEEPS6_SG_NS0_5tupleIJSF_S6_EEENSH_IJSG_SG_EEES6_PlJNSB_9not_fun_tINSB_14equal_to_valueIfEEEEEEE10hipError_tPvRmT3_T4_T5_T6_T7_T9_mT8_P12ihipStream_tbDpT10_ENKUlT_T0_E_clISt17integral_constantIbLb0EES17_IbLb1EEEEDaS13_S14_EUlS13_E_NS1_11comp_targetILNS1_3genE4ELNS1_11target_archE910ELNS1_3gpuE8ELNS1_3repE0EEENS1_30default_config_static_selectorELNS0_4arch9wavefront6targetE0EEEvT1_
	.p2align	8
	.type	_ZN7rocprim17ROCPRIM_400000_NS6detail17trampoline_kernelINS0_14default_configENS1_25partition_config_selectorILNS1_17partition_subalgoE6EfNS0_10empty_typeEbEEZZNS1_14partition_implILS5_6ELb0ES3_mN6thrust23THRUST_200600_302600_NS6detail15normal_iteratorINSA_10device_ptrIfEEEEPS6_SG_NS0_5tupleIJSF_S6_EEENSH_IJSG_SG_EEES6_PlJNSB_9not_fun_tINSB_14equal_to_valueIfEEEEEEE10hipError_tPvRmT3_T4_T5_T6_T7_T9_mT8_P12ihipStream_tbDpT10_ENKUlT_T0_E_clISt17integral_constantIbLb0EES17_IbLb1EEEEDaS13_S14_EUlS13_E_NS1_11comp_targetILNS1_3genE4ELNS1_11target_archE910ELNS1_3gpuE8ELNS1_3repE0EEENS1_30default_config_static_selectorELNS0_4arch9wavefront6targetE0EEEvT1_,@function
_ZN7rocprim17ROCPRIM_400000_NS6detail17trampoline_kernelINS0_14default_configENS1_25partition_config_selectorILNS1_17partition_subalgoE6EfNS0_10empty_typeEbEEZZNS1_14partition_implILS5_6ELb0ES3_mN6thrust23THRUST_200600_302600_NS6detail15normal_iteratorINSA_10device_ptrIfEEEEPS6_SG_NS0_5tupleIJSF_S6_EEENSH_IJSG_SG_EEES6_PlJNSB_9not_fun_tINSB_14equal_to_valueIfEEEEEEE10hipError_tPvRmT3_T4_T5_T6_T7_T9_mT8_P12ihipStream_tbDpT10_ENKUlT_T0_E_clISt17integral_constantIbLb0EES17_IbLb1EEEEDaS13_S14_EUlS13_E_NS1_11comp_targetILNS1_3genE4ELNS1_11target_archE910ELNS1_3gpuE8ELNS1_3repE0EEENS1_30default_config_static_selectorELNS0_4arch9wavefront6targetE0EEEvT1_: ; @_ZN7rocprim17ROCPRIM_400000_NS6detail17trampoline_kernelINS0_14default_configENS1_25partition_config_selectorILNS1_17partition_subalgoE6EfNS0_10empty_typeEbEEZZNS1_14partition_implILS5_6ELb0ES3_mN6thrust23THRUST_200600_302600_NS6detail15normal_iteratorINSA_10device_ptrIfEEEEPS6_SG_NS0_5tupleIJSF_S6_EEENSH_IJSG_SG_EEES6_PlJNSB_9not_fun_tINSB_14equal_to_valueIfEEEEEEE10hipError_tPvRmT3_T4_T5_T6_T7_T9_mT8_P12ihipStream_tbDpT10_ENKUlT_T0_E_clISt17integral_constantIbLb0EES17_IbLb1EEEEDaS13_S14_EUlS13_E_NS1_11comp_targetILNS1_3genE4ELNS1_11target_archE910ELNS1_3gpuE8ELNS1_3repE0EEENS1_30default_config_static_selectorELNS0_4arch9wavefront6targetE0EEEvT1_
; %bb.0:
	.section	.rodata,"a",@progbits
	.p2align	6, 0x0
	.amdhsa_kernel _ZN7rocprim17ROCPRIM_400000_NS6detail17trampoline_kernelINS0_14default_configENS1_25partition_config_selectorILNS1_17partition_subalgoE6EfNS0_10empty_typeEbEEZZNS1_14partition_implILS5_6ELb0ES3_mN6thrust23THRUST_200600_302600_NS6detail15normal_iteratorINSA_10device_ptrIfEEEEPS6_SG_NS0_5tupleIJSF_S6_EEENSH_IJSG_SG_EEES6_PlJNSB_9not_fun_tINSB_14equal_to_valueIfEEEEEEE10hipError_tPvRmT3_T4_T5_T6_T7_T9_mT8_P12ihipStream_tbDpT10_ENKUlT_T0_E_clISt17integral_constantIbLb0EES17_IbLb1EEEEDaS13_S14_EUlS13_E_NS1_11comp_targetILNS1_3genE4ELNS1_11target_archE910ELNS1_3gpuE8ELNS1_3repE0EEENS1_30default_config_static_selectorELNS0_4arch9wavefront6targetE0EEEvT1_
		.amdhsa_group_segment_fixed_size 0
		.amdhsa_private_segment_fixed_size 0
		.amdhsa_kernarg_size 128
		.amdhsa_user_sgpr_count 2
		.amdhsa_user_sgpr_dispatch_ptr 0
		.amdhsa_user_sgpr_queue_ptr 0
		.amdhsa_user_sgpr_kernarg_segment_ptr 1
		.amdhsa_user_sgpr_dispatch_id 0
		.amdhsa_user_sgpr_private_segment_size 0
		.amdhsa_wavefront_size32 1
		.amdhsa_uses_dynamic_stack 0
		.amdhsa_enable_private_segment 0
		.amdhsa_system_sgpr_workgroup_id_x 1
		.amdhsa_system_sgpr_workgroup_id_y 0
		.amdhsa_system_sgpr_workgroup_id_z 0
		.amdhsa_system_sgpr_workgroup_info 0
		.amdhsa_system_vgpr_workitem_id 0
		.amdhsa_next_free_vgpr 1
		.amdhsa_next_free_sgpr 1
		.amdhsa_reserve_vcc 0
		.amdhsa_float_round_mode_32 0
		.amdhsa_float_round_mode_16_64 0
		.amdhsa_float_denorm_mode_32 3
		.amdhsa_float_denorm_mode_16_64 3
		.amdhsa_fp16_overflow 0
		.amdhsa_workgroup_processor_mode 1
		.amdhsa_memory_ordered 1
		.amdhsa_forward_progress 1
		.amdhsa_inst_pref_size 0
		.amdhsa_round_robin_scheduling 0
		.amdhsa_exception_fp_ieee_invalid_op 0
		.amdhsa_exception_fp_denorm_src 0
		.amdhsa_exception_fp_ieee_div_zero 0
		.amdhsa_exception_fp_ieee_overflow 0
		.amdhsa_exception_fp_ieee_underflow 0
		.amdhsa_exception_fp_ieee_inexact 0
		.amdhsa_exception_int_div_zero 0
	.end_amdhsa_kernel
	.section	.text._ZN7rocprim17ROCPRIM_400000_NS6detail17trampoline_kernelINS0_14default_configENS1_25partition_config_selectorILNS1_17partition_subalgoE6EfNS0_10empty_typeEbEEZZNS1_14partition_implILS5_6ELb0ES3_mN6thrust23THRUST_200600_302600_NS6detail15normal_iteratorINSA_10device_ptrIfEEEEPS6_SG_NS0_5tupleIJSF_S6_EEENSH_IJSG_SG_EEES6_PlJNSB_9not_fun_tINSB_14equal_to_valueIfEEEEEEE10hipError_tPvRmT3_T4_T5_T6_T7_T9_mT8_P12ihipStream_tbDpT10_ENKUlT_T0_E_clISt17integral_constantIbLb0EES17_IbLb1EEEEDaS13_S14_EUlS13_E_NS1_11comp_targetILNS1_3genE4ELNS1_11target_archE910ELNS1_3gpuE8ELNS1_3repE0EEENS1_30default_config_static_selectorELNS0_4arch9wavefront6targetE0EEEvT1_,"axG",@progbits,_ZN7rocprim17ROCPRIM_400000_NS6detail17trampoline_kernelINS0_14default_configENS1_25partition_config_selectorILNS1_17partition_subalgoE6EfNS0_10empty_typeEbEEZZNS1_14partition_implILS5_6ELb0ES3_mN6thrust23THRUST_200600_302600_NS6detail15normal_iteratorINSA_10device_ptrIfEEEEPS6_SG_NS0_5tupleIJSF_S6_EEENSH_IJSG_SG_EEES6_PlJNSB_9not_fun_tINSB_14equal_to_valueIfEEEEEEE10hipError_tPvRmT3_T4_T5_T6_T7_T9_mT8_P12ihipStream_tbDpT10_ENKUlT_T0_E_clISt17integral_constantIbLb0EES17_IbLb1EEEEDaS13_S14_EUlS13_E_NS1_11comp_targetILNS1_3genE4ELNS1_11target_archE910ELNS1_3gpuE8ELNS1_3repE0EEENS1_30default_config_static_selectorELNS0_4arch9wavefront6targetE0EEEvT1_,comdat
.Lfunc_end335:
	.size	_ZN7rocprim17ROCPRIM_400000_NS6detail17trampoline_kernelINS0_14default_configENS1_25partition_config_selectorILNS1_17partition_subalgoE6EfNS0_10empty_typeEbEEZZNS1_14partition_implILS5_6ELb0ES3_mN6thrust23THRUST_200600_302600_NS6detail15normal_iteratorINSA_10device_ptrIfEEEEPS6_SG_NS0_5tupleIJSF_S6_EEENSH_IJSG_SG_EEES6_PlJNSB_9not_fun_tINSB_14equal_to_valueIfEEEEEEE10hipError_tPvRmT3_T4_T5_T6_T7_T9_mT8_P12ihipStream_tbDpT10_ENKUlT_T0_E_clISt17integral_constantIbLb0EES17_IbLb1EEEEDaS13_S14_EUlS13_E_NS1_11comp_targetILNS1_3genE4ELNS1_11target_archE910ELNS1_3gpuE8ELNS1_3repE0EEENS1_30default_config_static_selectorELNS0_4arch9wavefront6targetE0EEEvT1_, .Lfunc_end335-_ZN7rocprim17ROCPRIM_400000_NS6detail17trampoline_kernelINS0_14default_configENS1_25partition_config_selectorILNS1_17partition_subalgoE6EfNS0_10empty_typeEbEEZZNS1_14partition_implILS5_6ELb0ES3_mN6thrust23THRUST_200600_302600_NS6detail15normal_iteratorINSA_10device_ptrIfEEEEPS6_SG_NS0_5tupleIJSF_S6_EEENSH_IJSG_SG_EEES6_PlJNSB_9not_fun_tINSB_14equal_to_valueIfEEEEEEE10hipError_tPvRmT3_T4_T5_T6_T7_T9_mT8_P12ihipStream_tbDpT10_ENKUlT_T0_E_clISt17integral_constantIbLb0EES17_IbLb1EEEEDaS13_S14_EUlS13_E_NS1_11comp_targetILNS1_3genE4ELNS1_11target_archE910ELNS1_3gpuE8ELNS1_3repE0EEENS1_30default_config_static_selectorELNS0_4arch9wavefront6targetE0EEEvT1_
                                        ; -- End function
	.set _ZN7rocprim17ROCPRIM_400000_NS6detail17trampoline_kernelINS0_14default_configENS1_25partition_config_selectorILNS1_17partition_subalgoE6EfNS0_10empty_typeEbEEZZNS1_14partition_implILS5_6ELb0ES3_mN6thrust23THRUST_200600_302600_NS6detail15normal_iteratorINSA_10device_ptrIfEEEEPS6_SG_NS0_5tupleIJSF_S6_EEENSH_IJSG_SG_EEES6_PlJNSB_9not_fun_tINSB_14equal_to_valueIfEEEEEEE10hipError_tPvRmT3_T4_T5_T6_T7_T9_mT8_P12ihipStream_tbDpT10_ENKUlT_T0_E_clISt17integral_constantIbLb0EES17_IbLb1EEEEDaS13_S14_EUlS13_E_NS1_11comp_targetILNS1_3genE4ELNS1_11target_archE910ELNS1_3gpuE8ELNS1_3repE0EEENS1_30default_config_static_selectorELNS0_4arch9wavefront6targetE0EEEvT1_.num_vgpr, 0
	.set _ZN7rocprim17ROCPRIM_400000_NS6detail17trampoline_kernelINS0_14default_configENS1_25partition_config_selectorILNS1_17partition_subalgoE6EfNS0_10empty_typeEbEEZZNS1_14partition_implILS5_6ELb0ES3_mN6thrust23THRUST_200600_302600_NS6detail15normal_iteratorINSA_10device_ptrIfEEEEPS6_SG_NS0_5tupleIJSF_S6_EEENSH_IJSG_SG_EEES6_PlJNSB_9not_fun_tINSB_14equal_to_valueIfEEEEEEE10hipError_tPvRmT3_T4_T5_T6_T7_T9_mT8_P12ihipStream_tbDpT10_ENKUlT_T0_E_clISt17integral_constantIbLb0EES17_IbLb1EEEEDaS13_S14_EUlS13_E_NS1_11comp_targetILNS1_3genE4ELNS1_11target_archE910ELNS1_3gpuE8ELNS1_3repE0EEENS1_30default_config_static_selectorELNS0_4arch9wavefront6targetE0EEEvT1_.num_agpr, 0
	.set _ZN7rocprim17ROCPRIM_400000_NS6detail17trampoline_kernelINS0_14default_configENS1_25partition_config_selectorILNS1_17partition_subalgoE6EfNS0_10empty_typeEbEEZZNS1_14partition_implILS5_6ELb0ES3_mN6thrust23THRUST_200600_302600_NS6detail15normal_iteratorINSA_10device_ptrIfEEEEPS6_SG_NS0_5tupleIJSF_S6_EEENSH_IJSG_SG_EEES6_PlJNSB_9not_fun_tINSB_14equal_to_valueIfEEEEEEE10hipError_tPvRmT3_T4_T5_T6_T7_T9_mT8_P12ihipStream_tbDpT10_ENKUlT_T0_E_clISt17integral_constantIbLb0EES17_IbLb1EEEEDaS13_S14_EUlS13_E_NS1_11comp_targetILNS1_3genE4ELNS1_11target_archE910ELNS1_3gpuE8ELNS1_3repE0EEENS1_30default_config_static_selectorELNS0_4arch9wavefront6targetE0EEEvT1_.numbered_sgpr, 0
	.set _ZN7rocprim17ROCPRIM_400000_NS6detail17trampoline_kernelINS0_14default_configENS1_25partition_config_selectorILNS1_17partition_subalgoE6EfNS0_10empty_typeEbEEZZNS1_14partition_implILS5_6ELb0ES3_mN6thrust23THRUST_200600_302600_NS6detail15normal_iteratorINSA_10device_ptrIfEEEEPS6_SG_NS0_5tupleIJSF_S6_EEENSH_IJSG_SG_EEES6_PlJNSB_9not_fun_tINSB_14equal_to_valueIfEEEEEEE10hipError_tPvRmT3_T4_T5_T6_T7_T9_mT8_P12ihipStream_tbDpT10_ENKUlT_T0_E_clISt17integral_constantIbLb0EES17_IbLb1EEEEDaS13_S14_EUlS13_E_NS1_11comp_targetILNS1_3genE4ELNS1_11target_archE910ELNS1_3gpuE8ELNS1_3repE0EEENS1_30default_config_static_selectorELNS0_4arch9wavefront6targetE0EEEvT1_.num_named_barrier, 0
	.set _ZN7rocprim17ROCPRIM_400000_NS6detail17trampoline_kernelINS0_14default_configENS1_25partition_config_selectorILNS1_17partition_subalgoE6EfNS0_10empty_typeEbEEZZNS1_14partition_implILS5_6ELb0ES3_mN6thrust23THRUST_200600_302600_NS6detail15normal_iteratorINSA_10device_ptrIfEEEEPS6_SG_NS0_5tupleIJSF_S6_EEENSH_IJSG_SG_EEES6_PlJNSB_9not_fun_tINSB_14equal_to_valueIfEEEEEEE10hipError_tPvRmT3_T4_T5_T6_T7_T9_mT8_P12ihipStream_tbDpT10_ENKUlT_T0_E_clISt17integral_constantIbLb0EES17_IbLb1EEEEDaS13_S14_EUlS13_E_NS1_11comp_targetILNS1_3genE4ELNS1_11target_archE910ELNS1_3gpuE8ELNS1_3repE0EEENS1_30default_config_static_selectorELNS0_4arch9wavefront6targetE0EEEvT1_.private_seg_size, 0
	.set _ZN7rocprim17ROCPRIM_400000_NS6detail17trampoline_kernelINS0_14default_configENS1_25partition_config_selectorILNS1_17partition_subalgoE6EfNS0_10empty_typeEbEEZZNS1_14partition_implILS5_6ELb0ES3_mN6thrust23THRUST_200600_302600_NS6detail15normal_iteratorINSA_10device_ptrIfEEEEPS6_SG_NS0_5tupleIJSF_S6_EEENSH_IJSG_SG_EEES6_PlJNSB_9not_fun_tINSB_14equal_to_valueIfEEEEEEE10hipError_tPvRmT3_T4_T5_T6_T7_T9_mT8_P12ihipStream_tbDpT10_ENKUlT_T0_E_clISt17integral_constantIbLb0EES17_IbLb1EEEEDaS13_S14_EUlS13_E_NS1_11comp_targetILNS1_3genE4ELNS1_11target_archE910ELNS1_3gpuE8ELNS1_3repE0EEENS1_30default_config_static_selectorELNS0_4arch9wavefront6targetE0EEEvT1_.uses_vcc, 0
	.set _ZN7rocprim17ROCPRIM_400000_NS6detail17trampoline_kernelINS0_14default_configENS1_25partition_config_selectorILNS1_17partition_subalgoE6EfNS0_10empty_typeEbEEZZNS1_14partition_implILS5_6ELb0ES3_mN6thrust23THRUST_200600_302600_NS6detail15normal_iteratorINSA_10device_ptrIfEEEEPS6_SG_NS0_5tupleIJSF_S6_EEENSH_IJSG_SG_EEES6_PlJNSB_9not_fun_tINSB_14equal_to_valueIfEEEEEEE10hipError_tPvRmT3_T4_T5_T6_T7_T9_mT8_P12ihipStream_tbDpT10_ENKUlT_T0_E_clISt17integral_constantIbLb0EES17_IbLb1EEEEDaS13_S14_EUlS13_E_NS1_11comp_targetILNS1_3genE4ELNS1_11target_archE910ELNS1_3gpuE8ELNS1_3repE0EEENS1_30default_config_static_selectorELNS0_4arch9wavefront6targetE0EEEvT1_.uses_flat_scratch, 0
	.set _ZN7rocprim17ROCPRIM_400000_NS6detail17trampoline_kernelINS0_14default_configENS1_25partition_config_selectorILNS1_17partition_subalgoE6EfNS0_10empty_typeEbEEZZNS1_14partition_implILS5_6ELb0ES3_mN6thrust23THRUST_200600_302600_NS6detail15normal_iteratorINSA_10device_ptrIfEEEEPS6_SG_NS0_5tupleIJSF_S6_EEENSH_IJSG_SG_EEES6_PlJNSB_9not_fun_tINSB_14equal_to_valueIfEEEEEEE10hipError_tPvRmT3_T4_T5_T6_T7_T9_mT8_P12ihipStream_tbDpT10_ENKUlT_T0_E_clISt17integral_constantIbLb0EES17_IbLb1EEEEDaS13_S14_EUlS13_E_NS1_11comp_targetILNS1_3genE4ELNS1_11target_archE910ELNS1_3gpuE8ELNS1_3repE0EEENS1_30default_config_static_selectorELNS0_4arch9wavefront6targetE0EEEvT1_.has_dyn_sized_stack, 0
	.set _ZN7rocprim17ROCPRIM_400000_NS6detail17trampoline_kernelINS0_14default_configENS1_25partition_config_selectorILNS1_17partition_subalgoE6EfNS0_10empty_typeEbEEZZNS1_14partition_implILS5_6ELb0ES3_mN6thrust23THRUST_200600_302600_NS6detail15normal_iteratorINSA_10device_ptrIfEEEEPS6_SG_NS0_5tupleIJSF_S6_EEENSH_IJSG_SG_EEES6_PlJNSB_9not_fun_tINSB_14equal_to_valueIfEEEEEEE10hipError_tPvRmT3_T4_T5_T6_T7_T9_mT8_P12ihipStream_tbDpT10_ENKUlT_T0_E_clISt17integral_constantIbLb0EES17_IbLb1EEEEDaS13_S14_EUlS13_E_NS1_11comp_targetILNS1_3genE4ELNS1_11target_archE910ELNS1_3gpuE8ELNS1_3repE0EEENS1_30default_config_static_selectorELNS0_4arch9wavefront6targetE0EEEvT1_.has_recursion, 0
	.set _ZN7rocprim17ROCPRIM_400000_NS6detail17trampoline_kernelINS0_14default_configENS1_25partition_config_selectorILNS1_17partition_subalgoE6EfNS0_10empty_typeEbEEZZNS1_14partition_implILS5_6ELb0ES3_mN6thrust23THRUST_200600_302600_NS6detail15normal_iteratorINSA_10device_ptrIfEEEEPS6_SG_NS0_5tupleIJSF_S6_EEENSH_IJSG_SG_EEES6_PlJNSB_9not_fun_tINSB_14equal_to_valueIfEEEEEEE10hipError_tPvRmT3_T4_T5_T6_T7_T9_mT8_P12ihipStream_tbDpT10_ENKUlT_T0_E_clISt17integral_constantIbLb0EES17_IbLb1EEEEDaS13_S14_EUlS13_E_NS1_11comp_targetILNS1_3genE4ELNS1_11target_archE910ELNS1_3gpuE8ELNS1_3repE0EEENS1_30default_config_static_selectorELNS0_4arch9wavefront6targetE0EEEvT1_.has_indirect_call, 0
	.section	.AMDGPU.csdata,"",@progbits
; Kernel info:
; codeLenInByte = 0
; TotalNumSgprs: 0
; NumVgprs: 0
; ScratchSize: 0
; MemoryBound: 0
; FloatMode: 240
; IeeeMode: 1
; LDSByteSize: 0 bytes/workgroup (compile time only)
; SGPRBlocks: 0
; VGPRBlocks: 0
; NumSGPRsForWavesPerEU: 1
; NumVGPRsForWavesPerEU: 1
; Occupancy: 16
; WaveLimiterHint : 0
; COMPUTE_PGM_RSRC2:SCRATCH_EN: 0
; COMPUTE_PGM_RSRC2:USER_SGPR: 2
; COMPUTE_PGM_RSRC2:TRAP_HANDLER: 0
; COMPUTE_PGM_RSRC2:TGID_X_EN: 1
; COMPUTE_PGM_RSRC2:TGID_Y_EN: 0
; COMPUTE_PGM_RSRC2:TGID_Z_EN: 0
; COMPUTE_PGM_RSRC2:TIDIG_COMP_CNT: 0
	.section	.text._ZN7rocprim17ROCPRIM_400000_NS6detail17trampoline_kernelINS0_14default_configENS1_25partition_config_selectorILNS1_17partition_subalgoE6EfNS0_10empty_typeEbEEZZNS1_14partition_implILS5_6ELb0ES3_mN6thrust23THRUST_200600_302600_NS6detail15normal_iteratorINSA_10device_ptrIfEEEEPS6_SG_NS0_5tupleIJSF_S6_EEENSH_IJSG_SG_EEES6_PlJNSB_9not_fun_tINSB_14equal_to_valueIfEEEEEEE10hipError_tPvRmT3_T4_T5_T6_T7_T9_mT8_P12ihipStream_tbDpT10_ENKUlT_T0_E_clISt17integral_constantIbLb0EES17_IbLb1EEEEDaS13_S14_EUlS13_E_NS1_11comp_targetILNS1_3genE3ELNS1_11target_archE908ELNS1_3gpuE7ELNS1_3repE0EEENS1_30default_config_static_selectorELNS0_4arch9wavefront6targetE0EEEvT1_,"axG",@progbits,_ZN7rocprim17ROCPRIM_400000_NS6detail17trampoline_kernelINS0_14default_configENS1_25partition_config_selectorILNS1_17partition_subalgoE6EfNS0_10empty_typeEbEEZZNS1_14partition_implILS5_6ELb0ES3_mN6thrust23THRUST_200600_302600_NS6detail15normal_iteratorINSA_10device_ptrIfEEEEPS6_SG_NS0_5tupleIJSF_S6_EEENSH_IJSG_SG_EEES6_PlJNSB_9not_fun_tINSB_14equal_to_valueIfEEEEEEE10hipError_tPvRmT3_T4_T5_T6_T7_T9_mT8_P12ihipStream_tbDpT10_ENKUlT_T0_E_clISt17integral_constantIbLb0EES17_IbLb1EEEEDaS13_S14_EUlS13_E_NS1_11comp_targetILNS1_3genE3ELNS1_11target_archE908ELNS1_3gpuE7ELNS1_3repE0EEENS1_30default_config_static_selectorELNS0_4arch9wavefront6targetE0EEEvT1_,comdat
	.protected	_ZN7rocprim17ROCPRIM_400000_NS6detail17trampoline_kernelINS0_14default_configENS1_25partition_config_selectorILNS1_17partition_subalgoE6EfNS0_10empty_typeEbEEZZNS1_14partition_implILS5_6ELb0ES3_mN6thrust23THRUST_200600_302600_NS6detail15normal_iteratorINSA_10device_ptrIfEEEEPS6_SG_NS0_5tupleIJSF_S6_EEENSH_IJSG_SG_EEES6_PlJNSB_9not_fun_tINSB_14equal_to_valueIfEEEEEEE10hipError_tPvRmT3_T4_T5_T6_T7_T9_mT8_P12ihipStream_tbDpT10_ENKUlT_T0_E_clISt17integral_constantIbLb0EES17_IbLb1EEEEDaS13_S14_EUlS13_E_NS1_11comp_targetILNS1_3genE3ELNS1_11target_archE908ELNS1_3gpuE7ELNS1_3repE0EEENS1_30default_config_static_selectorELNS0_4arch9wavefront6targetE0EEEvT1_ ; -- Begin function _ZN7rocprim17ROCPRIM_400000_NS6detail17trampoline_kernelINS0_14default_configENS1_25partition_config_selectorILNS1_17partition_subalgoE6EfNS0_10empty_typeEbEEZZNS1_14partition_implILS5_6ELb0ES3_mN6thrust23THRUST_200600_302600_NS6detail15normal_iteratorINSA_10device_ptrIfEEEEPS6_SG_NS0_5tupleIJSF_S6_EEENSH_IJSG_SG_EEES6_PlJNSB_9not_fun_tINSB_14equal_to_valueIfEEEEEEE10hipError_tPvRmT3_T4_T5_T6_T7_T9_mT8_P12ihipStream_tbDpT10_ENKUlT_T0_E_clISt17integral_constantIbLb0EES17_IbLb1EEEEDaS13_S14_EUlS13_E_NS1_11comp_targetILNS1_3genE3ELNS1_11target_archE908ELNS1_3gpuE7ELNS1_3repE0EEENS1_30default_config_static_selectorELNS0_4arch9wavefront6targetE0EEEvT1_
	.globl	_ZN7rocprim17ROCPRIM_400000_NS6detail17trampoline_kernelINS0_14default_configENS1_25partition_config_selectorILNS1_17partition_subalgoE6EfNS0_10empty_typeEbEEZZNS1_14partition_implILS5_6ELb0ES3_mN6thrust23THRUST_200600_302600_NS6detail15normal_iteratorINSA_10device_ptrIfEEEEPS6_SG_NS0_5tupleIJSF_S6_EEENSH_IJSG_SG_EEES6_PlJNSB_9not_fun_tINSB_14equal_to_valueIfEEEEEEE10hipError_tPvRmT3_T4_T5_T6_T7_T9_mT8_P12ihipStream_tbDpT10_ENKUlT_T0_E_clISt17integral_constantIbLb0EES17_IbLb1EEEEDaS13_S14_EUlS13_E_NS1_11comp_targetILNS1_3genE3ELNS1_11target_archE908ELNS1_3gpuE7ELNS1_3repE0EEENS1_30default_config_static_selectorELNS0_4arch9wavefront6targetE0EEEvT1_
	.p2align	8
	.type	_ZN7rocprim17ROCPRIM_400000_NS6detail17trampoline_kernelINS0_14default_configENS1_25partition_config_selectorILNS1_17partition_subalgoE6EfNS0_10empty_typeEbEEZZNS1_14partition_implILS5_6ELb0ES3_mN6thrust23THRUST_200600_302600_NS6detail15normal_iteratorINSA_10device_ptrIfEEEEPS6_SG_NS0_5tupleIJSF_S6_EEENSH_IJSG_SG_EEES6_PlJNSB_9not_fun_tINSB_14equal_to_valueIfEEEEEEE10hipError_tPvRmT3_T4_T5_T6_T7_T9_mT8_P12ihipStream_tbDpT10_ENKUlT_T0_E_clISt17integral_constantIbLb0EES17_IbLb1EEEEDaS13_S14_EUlS13_E_NS1_11comp_targetILNS1_3genE3ELNS1_11target_archE908ELNS1_3gpuE7ELNS1_3repE0EEENS1_30default_config_static_selectorELNS0_4arch9wavefront6targetE0EEEvT1_,@function
_ZN7rocprim17ROCPRIM_400000_NS6detail17trampoline_kernelINS0_14default_configENS1_25partition_config_selectorILNS1_17partition_subalgoE6EfNS0_10empty_typeEbEEZZNS1_14partition_implILS5_6ELb0ES3_mN6thrust23THRUST_200600_302600_NS6detail15normal_iteratorINSA_10device_ptrIfEEEEPS6_SG_NS0_5tupleIJSF_S6_EEENSH_IJSG_SG_EEES6_PlJNSB_9not_fun_tINSB_14equal_to_valueIfEEEEEEE10hipError_tPvRmT3_T4_T5_T6_T7_T9_mT8_P12ihipStream_tbDpT10_ENKUlT_T0_E_clISt17integral_constantIbLb0EES17_IbLb1EEEEDaS13_S14_EUlS13_E_NS1_11comp_targetILNS1_3genE3ELNS1_11target_archE908ELNS1_3gpuE7ELNS1_3repE0EEENS1_30default_config_static_selectorELNS0_4arch9wavefront6targetE0EEEvT1_: ; @_ZN7rocprim17ROCPRIM_400000_NS6detail17trampoline_kernelINS0_14default_configENS1_25partition_config_selectorILNS1_17partition_subalgoE6EfNS0_10empty_typeEbEEZZNS1_14partition_implILS5_6ELb0ES3_mN6thrust23THRUST_200600_302600_NS6detail15normal_iteratorINSA_10device_ptrIfEEEEPS6_SG_NS0_5tupleIJSF_S6_EEENSH_IJSG_SG_EEES6_PlJNSB_9not_fun_tINSB_14equal_to_valueIfEEEEEEE10hipError_tPvRmT3_T4_T5_T6_T7_T9_mT8_P12ihipStream_tbDpT10_ENKUlT_T0_E_clISt17integral_constantIbLb0EES17_IbLb1EEEEDaS13_S14_EUlS13_E_NS1_11comp_targetILNS1_3genE3ELNS1_11target_archE908ELNS1_3gpuE7ELNS1_3repE0EEENS1_30default_config_static_selectorELNS0_4arch9wavefront6targetE0EEEvT1_
; %bb.0:
	.section	.rodata,"a",@progbits
	.p2align	6, 0x0
	.amdhsa_kernel _ZN7rocprim17ROCPRIM_400000_NS6detail17trampoline_kernelINS0_14default_configENS1_25partition_config_selectorILNS1_17partition_subalgoE6EfNS0_10empty_typeEbEEZZNS1_14partition_implILS5_6ELb0ES3_mN6thrust23THRUST_200600_302600_NS6detail15normal_iteratorINSA_10device_ptrIfEEEEPS6_SG_NS0_5tupleIJSF_S6_EEENSH_IJSG_SG_EEES6_PlJNSB_9not_fun_tINSB_14equal_to_valueIfEEEEEEE10hipError_tPvRmT3_T4_T5_T6_T7_T9_mT8_P12ihipStream_tbDpT10_ENKUlT_T0_E_clISt17integral_constantIbLb0EES17_IbLb1EEEEDaS13_S14_EUlS13_E_NS1_11comp_targetILNS1_3genE3ELNS1_11target_archE908ELNS1_3gpuE7ELNS1_3repE0EEENS1_30default_config_static_selectorELNS0_4arch9wavefront6targetE0EEEvT1_
		.amdhsa_group_segment_fixed_size 0
		.amdhsa_private_segment_fixed_size 0
		.amdhsa_kernarg_size 128
		.amdhsa_user_sgpr_count 2
		.amdhsa_user_sgpr_dispatch_ptr 0
		.amdhsa_user_sgpr_queue_ptr 0
		.amdhsa_user_sgpr_kernarg_segment_ptr 1
		.amdhsa_user_sgpr_dispatch_id 0
		.amdhsa_user_sgpr_private_segment_size 0
		.amdhsa_wavefront_size32 1
		.amdhsa_uses_dynamic_stack 0
		.amdhsa_enable_private_segment 0
		.amdhsa_system_sgpr_workgroup_id_x 1
		.amdhsa_system_sgpr_workgroup_id_y 0
		.amdhsa_system_sgpr_workgroup_id_z 0
		.amdhsa_system_sgpr_workgroup_info 0
		.amdhsa_system_vgpr_workitem_id 0
		.amdhsa_next_free_vgpr 1
		.amdhsa_next_free_sgpr 1
		.amdhsa_reserve_vcc 0
		.amdhsa_float_round_mode_32 0
		.amdhsa_float_round_mode_16_64 0
		.amdhsa_float_denorm_mode_32 3
		.amdhsa_float_denorm_mode_16_64 3
		.amdhsa_fp16_overflow 0
		.amdhsa_workgroup_processor_mode 1
		.amdhsa_memory_ordered 1
		.amdhsa_forward_progress 1
		.amdhsa_inst_pref_size 0
		.amdhsa_round_robin_scheduling 0
		.amdhsa_exception_fp_ieee_invalid_op 0
		.amdhsa_exception_fp_denorm_src 0
		.amdhsa_exception_fp_ieee_div_zero 0
		.amdhsa_exception_fp_ieee_overflow 0
		.amdhsa_exception_fp_ieee_underflow 0
		.amdhsa_exception_fp_ieee_inexact 0
		.amdhsa_exception_int_div_zero 0
	.end_amdhsa_kernel
	.section	.text._ZN7rocprim17ROCPRIM_400000_NS6detail17trampoline_kernelINS0_14default_configENS1_25partition_config_selectorILNS1_17partition_subalgoE6EfNS0_10empty_typeEbEEZZNS1_14partition_implILS5_6ELb0ES3_mN6thrust23THRUST_200600_302600_NS6detail15normal_iteratorINSA_10device_ptrIfEEEEPS6_SG_NS0_5tupleIJSF_S6_EEENSH_IJSG_SG_EEES6_PlJNSB_9not_fun_tINSB_14equal_to_valueIfEEEEEEE10hipError_tPvRmT3_T4_T5_T6_T7_T9_mT8_P12ihipStream_tbDpT10_ENKUlT_T0_E_clISt17integral_constantIbLb0EES17_IbLb1EEEEDaS13_S14_EUlS13_E_NS1_11comp_targetILNS1_3genE3ELNS1_11target_archE908ELNS1_3gpuE7ELNS1_3repE0EEENS1_30default_config_static_selectorELNS0_4arch9wavefront6targetE0EEEvT1_,"axG",@progbits,_ZN7rocprim17ROCPRIM_400000_NS6detail17trampoline_kernelINS0_14default_configENS1_25partition_config_selectorILNS1_17partition_subalgoE6EfNS0_10empty_typeEbEEZZNS1_14partition_implILS5_6ELb0ES3_mN6thrust23THRUST_200600_302600_NS6detail15normal_iteratorINSA_10device_ptrIfEEEEPS6_SG_NS0_5tupleIJSF_S6_EEENSH_IJSG_SG_EEES6_PlJNSB_9not_fun_tINSB_14equal_to_valueIfEEEEEEE10hipError_tPvRmT3_T4_T5_T6_T7_T9_mT8_P12ihipStream_tbDpT10_ENKUlT_T0_E_clISt17integral_constantIbLb0EES17_IbLb1EEEEDaS13_S14_EUlS13_E_NS1_11comp_targetILNS1_3genE3ELNS1_11target_archE908ELNS1_3gpuE7ELNS1_3repE0EEENS1_30default_config_static_selectorELNS0_4arch9wavefront6targetE0EEEvT1_,comdat
.Lfunc_end336:
	.size	_ZN7rocprim17ROCPRIM_400000_NS6detail17trampoline_kernelINS0_14default_configENS1_25partition_config_selectorILNS1_17partition_subalgoE6EfNS0_10empty_typeEbEEZZNS1_14partition_implILS5_6ELb0ES3_mN6thrust23THRUST_200600_302600_NS6detail15normal_iteratorINSA_10device_ptrIfEEEEPS6_SG_NS0_5tupleIJSF_S6_EEENSH_IJSG_SG_EEES6_PlJNSB_9not_fun_tINSB_14equal_to_valueIfEEEEEEE10hipError_tPvRmT3_T4_T5_T6_T7_T9_mT8_P12ihipStream_tbDpT10_ENKUlT_T0_E_clISt17integral_constantIbLb0EES17_IbLb1EEEEDaS13_S14_EUlS13_E_NS1_11comp_targetILNS1_3genE3ELNS1_11target_archE908ELNS1_3gpuE7ELNS1_3repE0EEENS1_30default_config_static_selectorELNS0_4arch9wavefront6targetE0EEEvT1_, .Lfunc_end336-_ZN7rocprim17ROCPRIM_400000_NS6detail17trampoline_kernelINS0_14default_configENS1_25partition_config_selectorILNS1_17partition_subalgoE6EfNS0_10empty_typeEbEEZZNS1_14partition_implILS5_6ELb0ES3_mN6thrust23THRUST_200600_302600_NS6detail15normal_iteratorINSA_10device_ptrIfEEEEPS6_SG_NS0_5tupleIJSF_S6_EEENSH_IJSG_SG_EEES6_PlJNSB_9not_fun_tINSB_14equal_to_valueIfEEEEEEE10hipError_tPvRmT3_T4_T5_T6_T7_T9_mT8_P12ihipStream_tbDpT10_ENKUlT_T0_E_clISt17integral_constantIbLb0EES17_IbLb1EEEEDaS13_S14_EUlS13_E_NS1_11comp_targetILNS1_3genE3ELNS1_11target_archE908ELNS1_3gpuE7ELNS1_3repE0EEENS1_30default_config_static_selectorELNS0_4arch9wavefront6targetE0EEEvT1_
                                        ; -- End function
	.set _ZN7rocprim17ROCPRIM_400000_NS6detail17trampoline_kernelINS0_14default_configENS1_25partition_config_selectorILNS1_17partition_subalgoE6EfNS0_10empty_typeEbEEZZNS1_14partition_implILS5_6ELb0ES3_mN6thrust23THRUST_200600_302600_NS6detail15normal_iteratorINSA_10device_ptrIfEEEEPS6_SG_NS0_5tupleIJSF_S6_EEENSH_IJSG_SG_EEES6_PlJNSB_9not_fun_tINSB_14equal_to_valueIfEEEEEEE10hipError_tPvRmT3_T4_T5_T6_T7_T9_mT8_P12ihipStream_tbDpT10_ENKUlT_T0_E_clISt17integral_constantIbLb0EES17_IbLb1EEEEDaS13_S14_EUlS13_E_NS1_11comp_targetILNS1_3genE3ELNS1_11target_archE908ELNS1_3gpuE7ELNS1_3repE0EEENS1_30default_config_static_selectorELNS0_4arch9wavefront6targetE0EEEvT1_.num_vgpr, 0
	.set _ZN7rocprim17ROCPRIM_400000_NS6detail17trampoline_kernelINS0_14default_configENS1_25partition_config_selectorILNS1_17partition_subalgoE6EfNS0_10empty_typeEbEEZZNS1_14partition_implILS5_6ELb0ES3_mN6thrust23THRUST_200600_302600_NS6detail15normal_iteratorINSA_10device_ptrIfEEEEPS6_SG_NS0_5tupleIJSF_S6_EEENSH_IJSG_SG_EEES6_PlJNSB_9not_fun_tINSB_14equal_to_valueIfEEEEEEE10hipError_tPvRmT3_T4_T5_T6_T7_T9_mT8_P12ihipStream_tbDpT10_ENKUlT_T0_E_clISt17integral_constantIbLb0EES17_IbLb1EEEEDaS13_S14_EUlS13_E_NS1_11comp_targetILNS1_3genE3ELNS1_11target_archE908ELNS1_3gpuE7ELNS1_3repE0EEENS1_30default_config_static_selectorELNS0_4arch9wavefront6targetE0EEEvT1_.num_agpr, 0
	.set _ZN7rocprim17ROCPRIM_400000_NS6detail17trampoline_kernelINS0_14default_configENS1_25partition_config_selectorILNS1_17partition_subalgoE6EfNS0_10empty_typeEbEEZZNS1_14partition_implILS5_6ELb0ES3_mN6thrust23THRUST_200600_302600_NS6detail15normal_iteratorINSA_10device_ptrIfEEEEPS6_SG_NS0_5tupleIJSF_S6_EEENSH_IJSG_SG_EEES6_PlJNSB_9not_fun_tINSB_14equal_to_valueIfEEEEEEE10hipError_tPvRmT3_T4_T5_T6_T7_T9_mT8_P12ihipStream_tbDpT10_ENKUlT_T0_E_clISt17integral_constantIbLb0EES17_IbLb1EEEEDaS13_S14_EUlS13_E_NS1_11comp_targetILNS1_3genE3ELNS1_11target_archE908ELNS1_3gpuE7ELNS1_3repE0EEENS1_30default_config_static_selectorELNS0_4arch9wavefront6targetE0EEEvT1_.numbered_sgpr, 0
	.set _ZN7rocprim17ROCPRIM_400000_NS6detail17trampoline_kernelINS0_14default_configENS1_25partition_config_selectorILNS1_17partition_subalgoE6EfNS0_10empty_typeEbEEZZNS1_14partition_implILS5_6ELb0ES3_mN6thrust23THRUST_200600_302600_NS6detail15normal_iteratorINSA_10device_ptrIfEEEEPS6_SG_NS0_5tupleIJSF_S6_EEENSH_IJSG_SG_EEES6_PlJNSB_9not_fun_tINSB_14equal_to_valueIfEEEEEEE10hipError_tPvRmT3_T4_T5_T6_T7_T9_mT8_P12ihipStream_tbDpT10_ENKUlT_T0_E_clISt17integral_constantIbLb0EES17_IbLb1EEEEDaS13_S14_EUlS13_E_NS1_11comp_targetILNS1_3genE3ELNS1_11target_archE908ELNS1_3gpuE7ELNS1_3repE0EEENS1_30default_config_static_selectorELNS0_4arch9wavefront6targetE0EEEvT1_.num_named_barrier, 0
	.set _ZN7rocprim17ROCPRIM_400000_NS6detail17trampoline_kernelINS0_14default_configENS1_25partition_config_selectorILNS1_17partition_subalgoE6EfNS0_10empty_typeEbEEZZNS1_14partition_implILS5_6ELb0ES3_mN6thrust23THRUST_200600_302600_NS6detail15normal_iteratorINSA_10device_ptrIfEEEEPS6_SG_NS0_5tupleIJSF_S6_EEENSH_IJSG_SG_EEES6_PlJNSB_9not_fun_tINSB_14equal_to_valueIfEEEEEEE10hipError_tPvRmT3_T4_T5_T6_T7_T9_mT8_P12ihipStream_tbDpT10_ENKUlT_T0_E_clISt17integral_constantIbLb0EES17_IbLb1EEEEDaS13_S14_EUlS13_E_NS1_11comp_targetILNS1_3genE3ELNS1_11target_archE908ELNS1_3gpuE7ELNS1_3repE0EEENS1_30default_config_static_selectorELNS0_4arch9wavefront6targetE0EEEvT1_.private_seg_size, 0
	.set _ZN7rocprim17ROCPRIM_400000_NS6detail17trampoline_kernelINS0_14default_configENS1_25partition_config_selectorILNS1_17partition_subalgoE6EfNS0_10empty_typeEbEEZZNS1_14partition_implILS5_6ELb0ES3_mN6thrust23THRUST_200600_302600_NS6detail15normal_iteratorINSA_10device_ptrIfEEEEPS6_SG_NS0_5tupleIJSF_S6_EEENSH_IJSG_SG_EEES6_PlJNSB_9not_fun_tINSB_14equal_to_valueIfEEEEEEE10hipError_tPvRmT3_T4_T5_T6_T7_T9_mT8_P12ihipStream_tbDpT10_ENKUlT_T0_E_clISt17integral_constantIbLb0EES17_IbLb1EEEEDaS13_S14_EUlS13_E_NS1_11comp_targetILNS1_3genE3ELNS1_11target_archE908ELNS1_3gpuE7ELNS1_3repE0EEENS1_30default_config_static_selectorELNS0_4arch9wavefront6targetE0EEEvT1_.uses_vcc, 0
	.set _ZN7rocprim17ROCPRIM_400000_NS6detail17trampoline_kernelINS0_14default_configENS1_25partition_config_selectorILNS1_17partition_subalgoE6EfNS0_10empty_typeEbEEZZNS1_14partition_implILS5_6ELb0ES3_mN6thrust23THRUST_200600_302600_NS6detail15normal_iteratorINSA_10device_ptrIfEEEEPS6_SG_NS0_5tupleIJSF_S6_EEENSH_IJSG_SG_EEES6_PlJNSB_9not_fun_tINSB_14equal_to_valueIfEEEEEEE10hipError_tPvRmT3_T4_T5_T6_T7_T9_mT8_P12ihipStream_tbDpT10_ENKUlT_T0_E_clISt17integral_constantIbLb0EES17_IbLb1EEEEDaS13_S14_EUlS13_E_NS1_11comp_targetILNS1_3genE3ELNS1_11target_archE908ELNS1_3gpuE7ELNS1_3repE0EEENS1_30default_config_static_selectorELNS0_4arch9wavefront6targetE0EEEvT1_.uses_flat_scratch, 0
	.set _ZN7rocprim17ROCPRIM_400000_NS6detail17trampoline_kernelINS0_14default_configENS1_25partition_config_selectorILNS1_17partition_subalgoE6EfNS0_10empty_typeEbEEZZNS1_14partition_implILS5_6ELb0ES3_mN6thrust23THRUST_200600_302600_NS6detail15normal_iteratorINSA_10device_ptrIfEEEEPS6_SG_NS0_5tupleIJSF_S6_EEENSH_IJSG_SG_EEES6_PlJNSB_9not_fun_tINSB_14equal_to_valueIfEEEEEEE10hipError_tPvRmT3_T4_T5_T6_T7_T9_mT8_P12ihipStream_tbDpT10_ENKUlT_T0_E_clISt17integral_constantIbLb0EES17_IbLb1EEEEDaS13_S14_EUlS13_E_NS1_11comp_targetILNS1_3genE3ELNS1_11target_archE908ELNS1_3gpuE7ELNS1_3repE0EEENS1_30default_config_static_selectorELNS0_4arch9wavefront6targetE0EEEvT1_.has_dyn_sized_stack, 0
	.set _ZN7rocprim17ROCPRIM_400000_NS6detail17trampoline_kernelINS0_14default_configENS1_25partition_config_selectorILNS1_17partition_subalgoE6EfNS0_10empty_typeEbEEZZNS1_14partition_implILS5_6ELb0ES3_mN6thrust23THRUST_200600_302600_NS6detail15normal_iteratorINSA_10device_ptrIfEEEEPS6_SG_NS0_5tupleIJSF_S6_EEENSH_IJSG_SG_EEES6_PlJNSB_9not_fun_tINSB_14equal_to_valueIfEEEEEEE10hipError_tPvRmT3_T4_T5_T6_T7_T9_mT8_P12ihipStream_tbDpT10_ENKUlT_T0_E_clISt17integral_constantIbLb0EES17_IbLb1EEEEDaS13_S14_EUlS13_E_NS1_11comp_targetILNS1_3genE3ELNS1_11target_archE908ELNS1_3gpuE7ELNS1_3repE0EEENS1_30default_config_static_selectorELNS0_4arch9wavefront6targetE0EEEvT1_.has_recursion, 0
	.set _ZN7rocprim17ROCPRIM_400000_NS6detail17trampoline_kernelINS0_14default_configENS1_25partition_config_selectorILNS1_17partition_subalgoE6EfNS0_10empty_typeEbEEZZNS1_14partition_implILS5_6ELb0ES3_mN6thrust23THRUST_200600_302600_NS6detail15normal_iteratorINSA_10device_ptrIfEEEEPS6_SG_NS0_5tupleIJSF_S6_EEENSH_IJSG_SG_EEES6_PlJNSB_9not_fun_tINSB_14equal_to_valueIfEEEEEEE10hipError_tPvRmT3_T4_T5_T6_T7_T9_mT8_P12ihipStream_tbDpT10_ENKUlT_T0_E_clISt17integral_constantIbLb0EES17_IbLb1EEEEDaS13_S14_EUlS13_E_NS1_11comp_targetILNS1_3genE3ELNS1_11target_archE908ELNS1_3gpuE7ELNS1_3repE0EEENS1_30default_config_static_selectorELNS0_4arch9wavefront6targetE0EEEvT1_.has_indirect_call, 0
	.section	.AMDGPU.csdata,"",@progbits
; Kernel info:
; codeLenInByte = 0
; TotalNumSgprs: 0
; NumVgprs: 0
; ScratchSize: 0
; MemoryBound: 0
; FloatMode: 240
; IeeeMode: 1
; LDSByteSize: 0 bytes/workgroup (compile time only)
; SGPRBlocks: 0
; VGPRBlocks: 0
; NumSGPRsForWavesPerEU: 1
; NumVGPRsForWavesPerEU: 1
; Occupancy: 16
; WaveLimiterHint : 0
; COMPUTE_PGM_RSRC2:SCRATCH_EN: 0
; COMPUTE_PGM_RSRC2:USER_SGPR: 2
; COMPUTE_PGM_RSRC2:TRAP_HANDLER: 0
; COMPUTE_PGM_RSRC2:TGID_X_EN: 1
; COMPUTE_PGM_RSRC2:TGID_Y_EN: 0
; COMPUTE_PGM_RSRC2:TGID_Z_EN: 0
; COMPUTE_PGM_RSRC2:TIDIG_COMP_CNT: 0
	.section	.text._ZN7rocprim17ROCPRIM_400000_NS6detail17trampoline_kernelINS0_14default_configENS1_25partition_config_selectorILNS1_17partition_subalgoE6EfNS0_10empty_typeEbEEZZNS1_14partition_implILS5_6ELb0ES3_mN6thrust23THRUST_200600_302600_NS6detail15normal_iteratorINSA_10device_ptrIfEEEEPS6_SG_NS0_5tupleIJSF_S6_EEENSH_IJSG_SG_EEES6_PlJNSB_9not_fun_tINSB_14equal_to_valueIfEEEEEEE10hipError_tPvRmT3_T4_T5_T6_T7_T9_mT8_P12ihipStream_tbDpT10_ENKUlT_T0_E_clISt17integral_constantIbLb0EES17_IbLb1EEEEDaS13_S14_EUlS13_E_NS1_11comp_targetILNS1_3genE2ELNS1_11target_archE906ELNS1_3gpuE6ELNS1_3repE0EEENS1_30default_config_static_selectorELNS0_4arch9wavefront6targetE0EEEvT1_,"axG",@progbits,_ZN7rocprim17ROCPRIM_400000_NS6detail17trampoline_kernelINS0_14default_configENS1_25partition_config_selectorILNS1_17partition_subalgoE6EfNS0_10empty_typeEbEEZZNS1_14partition_implILS5_6ELb0ES3_mN6thrust23THRUST_200600_302600_NS6detail15normal_iteratorINSA_10device_ptrIfEEEEPS6_SG_NS0_5tupleIJSF_S6_EEENSH_IJSG_SG_EEES6_PlJNSB_9not_fun_tINSB_14equal_to_valueIfEEEEEEE10hipError_tPvRmT3_T4_T5_T6_T7_T9_mT8_P12ihipStream_tbDpT10_ENKUlT_T0_E_clISt17integral_constantIbLb0EES17_IbLb1EEEEDaS13_S14_EUlS13_E_NS1_11comp_targetILNS1_3genE2ELNS1_11target_archE906ELNS1_3gpuE6ELNS1_3repE0EEENS1_30default_config_static_selectorELNS0_4arch9wavefront6targetE0EEEvT1_,comdat
	.protected	_ZN7rocprim17ROCPRIM_400000_NS6detail17trampoline_kernelINS0_14default_configENS1_25partition_config_selectorILNS1_17partition_subalgoE6EfNS0_10empty_typeEbEEZZNS1_14partition_implILS5_6ELb0ES3_mN6thrust23THRUST_200600_302600_NS6detail15normal_iteratorINSA_10device_ptrIfEEEEPS6_SG_NS0_5tupleIJSF_S6_EEENSH_IJSG_SG_EEES6_PlJNSB_9not_fun_tINSB_14equal_to_valueIfEEEEEEE10hipError_tPvRmT3_T4_T5_T6_T7_T9_mT8_P12ihipStream_tbDpT10_ENKUlT_T0_E_clISt17integral_constantIbLb0EES17_IbLb1EEEEDaS13_S14_EUlS13_E_NS1_11comp_targetILNS1_3genE2ELNS1_11target_archE906ELNS1_3gpuE6ELNS1_3repE0EEENS1_30default_config_static_selectorELNS0_4arch9wavefront6targetE0EEEvT1_ ; -- Begin function _ZN7rocprim17ROCPRIM_400000_NS6detail17trampoline_kernelINS0_14default_configENS1_25partition_config_selectorILNS1_17partition_subalgoE6EfNS0_10empty_typeEbEEZZNS1_14partition_implILS5_6ELb0ES3_mN6thrust23THRUST_200600_302600_NS6detail15normal_iteratorINSA_10device_ptrIfEEEEPS6_SG_NS0_5tupleIJSF_S6_EEENSH_IJSG_SG_EEES6_PlJNSB_9not_fun_tINSB_14equal_to_valueIfEEEEEEE10hipError_tPvRmT3_T4_T5_T6_T7_T9_mT8_P12ihipStream_tbDpT10_ENKUlT_T0_E_clISt17integral_constantIbLb0EES17_IbLb1EEEEDaS13_S14_EUlS13_E_NS1_11comp_targetILNS1_3genE2ELNS1_11target_archE906ELNS1_3gpuE6ELNS1_3repE0EEENS1_30default_config_static_selectorELNS0_4arch9wavefront6targetE0EEEvT1_
	.globl	_ZN7rocprim17ROCPRIM_400000_NS6detail17trampoline_kernelINS0_14default_configENS1_25partition_config_selectorILNS1_17partition_subalgoE6EfNS0_10empty_typeEbEEZZNS1_14partition_implILS5_6ELb0ES3_mN6thrust23THRUST_200600_302600_NS6detail15normal_iteratorINSA_10device_ptrIfEEEEPS6_SG_NS0_5tupleIJSF_S6_EEENSH_IJSG_SG_EEES6_PlJNSB_9not_fun_tINSB_14equal_to_valueIfEEEEEEE10hipError_tPvRmT3_T4_T5_T6_T7_T9_mT8_P12ihipStream_tbDpT10_ENKUlT_T0_E_clISt17integral_constantIbLb0EES17_IbLb1EEEEDaS13_S14_EUlS13_E_NS1_11comp_targetILNS1_3genE2ELNS1_11target_archE906ELNS1_3gpuE6ELNS1_3repE0EEENS1_30default_config_static_selectorELNS0_4arch9wavefront6targetE0EEEvT1_
	.p2align	8
	.type	_ZN7rocprim17ROCPRIM_400000_NS6detail17trampoline_kernelINS0_14default_configENS1_25partition_config_selectorILNS1_17partition_subalgoE6EfNS0_10empty_typeEbEEZZNS1_14partition_implILS5_6ELb0ES3_mN6thrust23THRUST_200600_302600_NS6detail15normal_iteratorINSA_10device_ptrIfEEEEPS6_SG_NS0_5tupleIJSF_S6_EEENSH_IJSG_SG_EEES6_PlJNSB_9not_fun_tINSB_14equal_to_valueIfEEEEEEE10hipError_tPvRmT3_T4_T5_T6_T7_T9_mT8_P12ihipStream_tbDpT10_ENKUlT_T0_E_clISt17integral_constantIbLb0EES17_IbLb1EEEEDaS13_S14_EUlS13_E_NS1_11comp_targetILNS1_3genE2ELNS1_11target_archE906ELNS1_3gpuE6ELNS1_3repE0EEENS1_30default_config_static_selectorELNS0_4arch9wavefront6targetE0EEEvT1_,@function
_ZN7rocprim17ROCPRIM_400000_NS6detail17trampoline_kernelINS0_14default_configENS1_25partition_config_selectorILNS1_17partition_subalgoE6EfNS0_10empty_typeEbEEZZNS1_14partition_implILS5_6ELb0ES3_mN6thrust23THRUST_200600_302600_NS6detail15normal_iteratorINSA_10device_ptrIfEEEEPS6_SG_NS0_5tupleIJSF_S6_EEENSH_IJSG_SG_EEES6_PlJNSB_9not_fun_tINSB_14equal_to_valueIfEEEEEEE10hipError_tPvRmT3_T4_T5_T6_T7_T9_mT8_P12ihipStream_tbDpT10_ENKUlT_T0_E_clISt17integral_constantIbLb0EES17_IbLb1EEEEDaS13_S14_EUlS13_E_NS1_11comp_targetILNS1_3genE2ELNS1_11target_archE906ELNS1_3gpuE6ELNS1_3repE0EEENS1_30default_config_static_selectorELNS0_4arch9wavefront6targetE0EEEvT1_: ; @_ZN7rocprim17ROCPRIM_400000_NS6detail17trampoline_kernelINS0_14default_configENS1_25partition_config_selectorILNS1_17partition_subalgoE6EfNS0_10empty_typeEbEEZZNS1_14partition_implILS5_6ELb0ES3_mN6thrust23THRUST_200600_302600_NS6detail15normal_iteratorINSA_10device_ptrIfEEEEPS6_SG_NS0_5tupleIJSF_S6_EEENSH_IJSG_SG_EEES6_PlJNSB_9not_fun_tINSB_14equal_to_valueIfEEEEEEE10hipError_tPvRmT3_T4_T5_T6_T7_T9_mT8_P12ihipStream_tbDpT10_ENKUlT_T0_E_clISt17integral_constantIbLb0EES17_IbLb1EEEEDaS13_S14_EUlS13_E_NS1_11comp_targetILNS1_3genE2ELNS1_11target_archE906ELNS1_3gpuE6ELNS1_3repE0EEENS1_30default_config_static_selectorELNS0_4arch9wavefront6targetE0EEEvT1_
; %bb.0:
	.section	.rodata,"a",@progbits
	.p2align	6, 0x0
	.amdhsa_kernel _ZN7rocprim17ROCPRIM_400000_NS6detail17trampoline_kernelINS0_14default_configENS1_25partition_config_selectorILNS1_17partition_subalgoE6EfNS0_10empty_typeEbEEZZNS1_14partition_implILS5_6ELb0ES3_mN6thrust23THRUST_200600_302600_NS6detail15normal_iteratorINSA_10device_ptrIfEEEEPS6_SG_NS0_5tupleIJSF_S6_EEENSH_IJSG_SG_EEES6_PlJNSB_9not_fun_tINSB_14equal_to_valueIfEEEEEEE10hipError_tPvRmT3_T4_T5_T6_T7_T9_mT8_P12ihipStream_tbDpT10_ENKUlT_T0_E_clISt17integral_constantIbLb0EES17_IbLb1EEEEDaS13_S14_EUlS13_E_NS1_11comp_targetILNS1_3genE2ELNS1_11target_archE906ELNS1_3gpuE6ELNS1_3repE0EEENS1_30default_config_static_selectorELNS0_4arch9wavefront6targetE0EEEvT1_
		.amdhsa_group_segment_fixed_size 0
		.amdhsa_private_segment_fixed_size 0
		.amdhsa_kernarg_size 128
		.amdhsa_user_sgpr_count 2
		.amdhsa_user_sgpr_dispatch_ptr 0
		.amdhsa_user_sgpr_queue_ptr 0
		.amdhsa_user_sgpr_kernarg_segment_ptr 1
		.amdhsa_user_sgpr_dispatch_id 0
		.amdhsa_user_sgpr_private_segment_size 0
		.amdhsa_wavefront_size32 1
		.amdhsa_uses_dynamic_stack 0
		.amdhsa_enable_private_segment 0
		.amdhsa_system_sgpr_workgroup_id_x 1
		.amdhsa_system_sgpr_workgroup_id_y 0
		.amdhsa_system_sgpr_workgroup_id_z 0
		.amdhsa_system_sgpr_workgroup_info 0
		.amdhsa_system_vgpr_workitem_id 0
		.amdhsa_next_free_vgpr 1
		.amdhsa_next_free_sgpr 1
		.amdhsa_reserve_vcc 0
		.amdhsa_float_round_mode_32 0
		.amdhsa_float_round_mode_16_64 0
		.amdhsa_float_denorm_mode_32 3
		.amdhsa_float_denorm_mode_16_64 3
		.amdhsa_fp16_overflow 0
		.amdhsa_workgroup_processor_mode 1
		.amdhsa_memory_ordered 1
		.amdhsa_forward_progress 1
		.amdhsa_inst_pref_size 0
		.amdhsa_round_robin_scheduling 0
		.amdhsa_exception_fp_ieee_invalid_op 0
		.amdhsa_exception_fp_denorm_src 0
		.amdhsa_exception_fp_ieee_div_zero 0
		.amdhsa_exception_fp_ieee_overflow 0
		.amdhsa_exception_fp_ieee_underflow 0
		.amdhsa_exception_fp_ieee_inexact 0
		.amdhsa_exception_int_div_zero 0
	.end_amdhsa_kernel
	.section	.text._ZN7rocprim17ROCPRIM_400000_NS6detail17trampoline_kernelINS0_14default_configENS1_25partition_config_selectorILNS1_17partition_subalgoE6EfNS0_10empty_typeEbEEZZNS1_14partition_implILS5_6ELb0ES3_mN6thrust23THRUST_200600_302600_NS6detail15normal_iteratorINSA_10device_ptrIfEEEEPS6_SG_NS0_5tupleIJSF_S6_EEENSH_IJSG_SG_EEES6_PlJNSB_9not_fun_tINSB_14equal_to_valueIfEEEEEEE10hipError_tPvRmT3_T4_T5_T6_T7_T9_mT8_P12ihipStream_tbDpT10_ENKUlT_T0_E_clISt17integral_constantIbLb0EES17_IbLb1EEEEDaS13_S14_EUlS13_E_NS1_11comp_targetILNS1_3genE2ELNS1_11target_archE906ELNS1_3gpuE6ELNS1_3repE0EEENS1_30default_config_static_selectorELNS0_4arch9wavefront6targetE0EEEvT1_,"axG",@progbits,_ZN7rocprim17ROCPRIM_400000_NS6detail17trampoline_kernelINS0_14default_configENS1_25partition_config_selectorILNS1_17partition_subalgoE6EfNS0_10empty_typeEbEEZZNS1_14partition_implILS5_6ELb0ES3_mN6thrust23THRUST_200600_302600_NS6detail15normal_iteratorINSA_10device_ptrIfEEEEPS6_SG_NS0_5tupleIJSF_S6_EEENSH_IJSG_SG_EEES6_PlJNSB_9not_fun_tINSB_14equal_to_valueIfEEEEEEE10hipError_tPvRmT3_T4_T5_T6_T7_T9_mT8_P12ihipStream_tbDpT10_ENKUlT_T0_E_clISt17integral_constantIbLb0EES17_IbLb1EEEEDaS13_S14_EUlS13_E_NS1_11comp_targetILNS1_3genE2ELNS1_11target_archE906ELNS1_3gpuE6ELNS1_3repE0EEENS1_30default_config_static_selectorELNS0_4arch9wavefront6targetE0EEEvT1_,comdat
.Lfunc_end337:
	.size	_ZN7rocprim17ROCPRIM_400000_NS6detail17trampoline_kernelINS0_14default_configENS1_25partition_config_selectorILNS1_17partition_subalgoE6EfNS0_10empty_typeEbEEZZNS1_14partition_implILS5_6ELb0ES3_mN6thrust23THRUST_200600_302600_NS6detail15normal_iteratorINSA_10device_ptrIfEEEEPS6_SG_NS0_5tupleIJSF_S6_EEENSH_IJSG_SG_EEES6_PlJNSB_9not_fun_tINSB_14equal_to_valueIfEEEEEEE10hipError_tPvRmT3_T4_T5_T6_T7_T9_mT8_P12ihipStream_tbDpT10_ENKUlT_T0_E_clISt17integral_constantIbLb0EES17_IbLb1EEEEDaS13_S14_EUlS13_E_NS1_11comp_targetILNS1_3genE2ELNS1_11target_archE906ELNS1_3gpuE6ELNS1_3repE0EEENS1_30default_config_static_selectorELNS0_4arch9wavefront6targetE0EEEvT1_, .Lfunc_end337-_ZN7rocprim17ROCPRIM_400000_NS6detail17trampoline_kernelINS0_14default_configENS1_25partition_config_selectorILNS1_17partition_subalgoE6EfNS0_10empty_typeEbEEZZNS1_14partition_implILS5_6ELb0ES3_mN6thrust23THRUST_200600_302600_NS6detail15normal_iteratorINSA_10device_ptrIfEEEEPS6_SG_NS0_5tupleIJSF_S6_EEENSH_IJSG_SG_EEES6_PlJNSB_9not_fun_tINSB_14equal_to_valueIfEEEEEEE10hipError_tPvRmT3_T4_T5_T6_T7_T9_mT8_P12ihipStream_tbDpT10_ENKUlT_T0_E_clISt17integral_constantIbLb0EES17_IbLb1EEEEDaS13_S14_EUlS13_E_NS1_11comp_targetILNS1_3genE2ELNS1_11target_archE906ELNS1_3gpuE6ELNS1_3repE0EEENS1_30default_config_static_selectorELNS0_4arch9wavefront6targetE0EEEvT1_
                                        ; -- End function
	.set _ZN7rocprim17ROCPRIM_400000_NS6detail17trampoline_kernelINS0_14default_configENS1_25partition_config_selectorILNS1_17partition_subalgoE6EfNS0_10empty_typeEbEEZZNS1_14partition_implILS5_6ELb0ES3_mN6thrust23THRUST_200600_302600_NS6detail15normal_iteratorINSA_10device_ptrIfEEEEPS6_SG_NS0_5tupleIJSF_S6_EEENSH_IJSG_SG_EEES6_PlJNSB_9not_fun_tINSB_14equal_to_valueIfEEEEEEE10hipError_tPvRmT3_T4_T5_T6_T7_T9_mT8_P12ihipStream_tbDpT10_ENKUlT_T0_E_clISt17integral_constantIbLb0EES17_IbLb1EEEEDaS13_S14_EUlS13_E_NS1_11comp_targetILNS1_3genE2ELNS1_11target_archE906ELNS1_3gpuE6ELNS1_3repE0EEENS1_30default_config_static_selectorELNS0_4arch9wavefront6targetE0EEEvT1_.num_vgpr, 0
	.set _ZN7rocprim17ROCPRIM_400000_NS6detail17trampoline_kernelINS0_14default_configENS1_25partition_config_selectorILNS1_17partition_subalgoE6EfNS0_10empty_typeEbEEZZNS1_14partition_implILS5_6ELb0ES3_mN6thrust23THRUST_200600_302600_NS6detail15normal_iteratorINSA_10device_ptrIfEEEEPS6_SG_NS0_5tupleIJSF_S6_EEENSH_IJSG_SG_EEES6_PlJNSB_9not_fun_tINSB_14equal_to_valueIfEEEEEEE10hipError_tPvRmT3_T4_T5_T6_T7_T9_mT8_P12ihipStream_tbDpT10_ENKUlT_T0_E_clISt17integral_constantIbLb0EES17_IbLb1EEEEDaS13_S14_EUlS13_E_NS1_11comp_targetILNS1_3genE2ELNS1_11target_archE906ELNS1_3gpuE6ELNS1_3repE0EEENS1_30default_config_static_selectorELNS0_4arch9wavefront6targetE0EEEvT1_.num_agpr, 0
	.set _ZN7rocprim17ROCPRIM_400000_NS6detail17trampoline_kernelINS0_14default_configENS1_25partition_config_selectorILNS1_17partition_subalgoE6EfNS0_10empty_typeEbEEZZNS1_14partition_implILS5_6ELb0ES3_mN6thrust23THRUST_200600_302600_NS6detail15normal_iteratorINSA_10device_ptrIfEEEEPS6_SG_NS0_5tupleIJSF_S6_EEENSH_IJSG_SG_EEES6_PlJNSB_9not_fun_tINSB_14equal_to_valueIfEEEEEEE10hipError_tPvRmT3_T4_T5_T6_T7_T9_mT8_P12ihipStream_tbDpT10_ENKUlT_T0_E_clISt17integral_constantIbLb0EES17_IbLb1EEEEDaS13_S14_EUlS13_E_NS1_11comp_targetILNS1_3genE2ELNS1_11target_archE906ELNS1_3gpuE6ELNS1_3repE0EEENS1_30default_config_static_selectorELNS0_4arch9wavefront6targetE0EEEvT1_.numbered_sgpr, 0
	.set _ZN7rocprim17ROCPRIM_400000_NS6detail17trampoline_kernelINS0_14default_configENS1_25partition_config_selectorILNS1_17partition_subalgoE6EfNS0_10empty_typeEbEEZZNS1_14partition_implILS5_6ELb0ES3_mN6thrust23THRUST_200600_302600_NS6detail15normal_iteratorINSA_10device_ptrIfEEEEPS6_SG_NS0_5tupleIJSF_S6_EEENSH_IJSG_SG_EEES6_PlJNSB_9not_fun_tINSB_14equal_to_valueIfEEEEEEE10hipError_tPvRmT3_T4_T5_T6_T7_T9_mT8_P12ihipStream_tbDpT10_ENKUlT_T0_E_clISt17integral_constantIbLb0EES17_IbLb1EEEEDaS13_S14_EUlS13_E_NS1_11comp_targetILNS1_3genE2ELNS1_11target_archE906ELNS1_3gpuE6ELNS1_3repE0EEENS1_30default_config_static_selectorELNS0_4arch9wavefront6targetE0EEEvT1_.num_named_barrier, 0
	.set _ZN7rocprim17ROCPRIM_400000_NS6detail17trampoline_kernelINS0_14default_configENS1_25partition_config_selectorILNS1_17partition_subalgoE6EfNS0_10empty_typeEbEEZZNS1_14partition_implILS5_6ELb0ES3_mN6thrust23THRUST_200600_302600_NS6detail15normal_iteratorINSA_10device_ptrIfEEEEPS6_SG_NS0_5tupleIJSF_S6_EEENSH_IJSG_SG_EEES6_PlJNSB_9not_fun_tINSB_14equal_to_valueIfEEEEEEE10hipError_tPvRmT3_T4_T5_T6_T7_T9_mT8_P12ihipStream_tbDpT10_ENKUlT_T0_E_clISt17integral_constantIbLb0EES17_IbLb1EEEEDaS13_S14_EUlS13_E_NS1_11comp_targetILNS1_3genE2ELNS1_11target_archE906ELNS1_3gpuE6ELNS1_3repE0EEENS1_30default_config_static_selectorELNS0_4arch9wavefront6targetE0EEEvT1_.private_seg_size, 0
	.set _ZN7rocprim17ROCPRIM_400000_NS6detail17trampoline_kernelINS0_14default_configENS1_25partition_config_selectorILNS1_17partition_subalgoE6EfNS0_10empty_typeEbEEZZNS1_14partition_implILS5_6ELb0ES3_mN6thrust23THRUST_200600_302600_NS6detail15normal_iteratorINSA_10device_ptrIfEEEEPS6_SG_NS0_5tupleIJSF_S6_EEENSH_IJSG_SG_EEES6_PlJNSB_9not_fun_tINSB_14equal_to_valueIfEEEEEEE10hipError_tPvRmT3_T4_T5_T6_T7_T9_mT8_P12ihipStream_tbDpT10_ENKUlT_T0_E_clISt17integral_constantIbLb0EES17_IbLb1EEEEDaS13_S14_EUlS13_E_NS1_11comp_targetILNS1_3genE2ELNS1_11target_archE906ELNS1_3gpuE6ELNS1_3repE0EEENS1_30default_config_static_selectorELNS0_4arch9wavefront6targetE0EEEvT1_.uses_vcc, 0
	.set _ZN7rocprim17ROCPRIM_400000_NS6detail17trampoline_kernelINS0_14default_configENS1_25partition_config_selectorILNS1_17partition_subalgoE6EfNS0_10empty_typeEbEEZZNS1_14partition_implILS5_6ELb0ES3_mN6thrust23THRUST_200600_302600_NS6detail15normal_iteratorINSA_10device_ptrIfEEEEPS6_SG_NS0_5tupleIJSF_S6_EEENSH_IJSG_SG_EEES6_PlJNSB_9not_fun_tINSB_14equal_to_valueIfEEEEEEE10hipError_tPvRmT3_T4_T5_T6_T7_T9_mT8_P12ihipStream_tbDpT10_ENKUlT_T0_E_clISt17integral_constantIbLb0EES17_IbLb1EEEEDaS13_S14_EUlS13_E_NS1_11comp_targetILNS1_3genE2ELNS1_11target_archE906ELNS1_3gpuE6ELNS1_3repE0EEENS1_30default_config_static_selectorELNS0_4arch9wavefront6targetE0EEEvT1_.uses_flat_scratch, 0
	.set _ZN7rocprim17ROCPRIM_400000_NS6detail17trampoline_kernelINS0_14default_configENS1_25partition_config_selectorILNS1_17partition_subalgoE6EfNS0_10empty_typeEbEEZZNS1_14partition_implILS5_6ELb0ES3_mN6thrust23THRUST_200600_302600_NS6detail15normal_iteratorINSA_10device_ptrIfEEEEPS6_SG_NS0_5tupleIJSF_S6_EEENSH_IJSG_SG_EEES6_PlJNSB_9not_fun_tINSB_14equal_to_valueIfEEEEEEE10hipError_tPvRmT3_T4_T5_T6_T7_T9_mT8_P12ihipStream_tbDpT10_ENKUlT_T0_E_clISt17integral_constantIbLb0EES17_IbLb1EEEEDaS13_S14_EUlS13_E_NS1_11comp_targetILNS1_3genE2ELNS1_11target_archE906ELNS1_3gpuE6ELNS1_3repE0EEENS1_30default_config_static_selectorELNS0_4arch9wavefront6targetE0EEEvT1_.has_dyn_sized_stack, 0
	.set _ZN7rocprim17ROCPRIM_400000_NS6detail17trampoline_kernelINS0_14default_configENS1_25partition_config_selectorILNS1_17partition_subalgoE6EfNS0_10empty_typeEbEEZZNS1_14partition_implILS5_6ELb0ES3_mN6thrust23THRUST_200600_302600_NS6detail15normal_iteratorINSA_10device_ptrIfEEEEPS6_SG_NS0_5tupleIJSF_S6_EEENSH_IJSG_SG_EEES6_PlJNSB_9not_fun_tINSB_14equal_to_valueIfEEEEEEE10hipError_tPvRmT3_T4_T5_T6_T7_T9_mT8_P12ihipStream_tbDpT10_ENKUlT_T0_E_clISt17integral_constantIbLb0EES17_IbLb1EEEEDaS13_S14_EUlS13_E_NS1_11comp_targetILNS1_3genE2ELNS1_11target_archE906ELNS1_3gpuE6ELNS1_3repE0EEENS1_30default_config_static_selectorELNS0_4arch9wavefront6targetE0EEEvT1_.has_recursion, 0
	.set _ZN7rocprim17ROCPRIM_400000_NS6detail17trampoline_kernelINS0_14default_configENS1_25partition_config_selectorILNS1_17partition_subalgoE6EfNS0_10empty_typeEbEEZZNS1_14partition_implILS5_6ELb0ES3_mN6thrust23THRUST_200600_302600_NS6detail15normal_iteratorINSA_10device_ptrIfEEEEPS6_SG_NS0_5tupleIJSF_S6_EEENSH_IJSG_SG_EEES6_PlJNSB_9not_fun_tINSB_14equal_to_valueIfEEEEEEE10hipError_tPvRmT3_T4_T5_T6_T7_T9_mT8_P12ihipStream_tbDpT10_ENKUlT_T0_E_clISt17integral_constantIbLb0EES17_IbLb1EEEEDaS13_S14_EUlS13_E_NS1_11comp_targetILNS1_3genE2ELNS1_11target_archE906ELNS1_3gpuE6ELNS1_3repE0EEENS1_30default_config_static_selectorELNS0_4arch9wavefront6targetE0EEEvT1_.has_indirect_call, 0
	.section	.AMDGPU.csdata,"",@progbits
; Kernel info:
; codeLenInByte = 0
; TotalNumSgprs: 0
; NumVgprs: 0
; ScratchSize: 0
; MemoryBound: 0
; FloatMode: 240
; IeeeMode: 1
; LDSByteSize: 0 bytes/workgroup (compile time only)
; SGPRBlocks: 0
; VGPRBlocks: 0
; NumSGPRsForWavesPerEU: 1
; NumVGPRsForWavesPerEU: 1
; Occupancy: 16
; WaveLimiterHint : 0
; COMPUTE_PGM_RSRC2:SCRATCH_EN: 0
; COMPUTE_PGM_RSRC2:USER_SGPR: 2
; COMPUTE_PGM_RSRC2:TRAP_HANDLER: 0
; COMPUTE_PGM_RSRC2:TGID_X_EN: 1
; COMPUTE_PGM_RSRC2:TGID_Y_EN: 0
; COMPUTE_PGM_RSRC2:TGID_Z_EN: 0
; COMPUTE_PGM_RSRC2:TIDIG_COMP_CNT: 0
	.section	.text._ZN7rocprim17ROCPRIM_400000_NS6detail17trampoline_kernelINS0_14default_configENS1_25partition_config_selectorILNS1_17partition_subalgoE6EfNS0_10empty_typeEbEEZZNS1_14partition_implILS5_6ELb0ES3_mN6thrust23THRUST_200600_302600_NS6detail15normal_iteratorINSA_10device_ptrIfEEEEPS6_SG_NS0_5tupleIJSF_S6_EEENSH_IJSG_SG_EEES6_PlJNSB_9not_fun_tINSB_14equal_to_valueIfEEEEEEE10hipError_tPvRmT3_T4_T5_T6_T7_T9_mT8_P12ihipStream_tbDpT10_ENKUlT_T0_E_clISt17integral_constantIbLb0EES17_IbLb1EEEEDaS13_S14_EUlS13_E_NS1_11comp_targetILNS1_3genE10ELNS1_11target_archE1200ELNS1_3gpuE4ELNS1_3repE0EEENS1_30default_config_static_selectorELNS0_4arch9wavefront6targetE0EEEvT1_,"axG",@progbits,_ZN7rocprim17ROCPRIM_400000_NS6detail17trampoline_kernelINS0_14default_configENS1_25partition_config_selectorILNS1_17partition_subalgoE6EfNS0_10empty_typeEbEEZZNS1_14partition_implILS5_6ELb0ES3_mN6thrust23THRUST_200600_302600_NS6detail15normal_iteratorINSA_10device_ptrIfEEEEPS6_SG_NS0_5tupleIJSF_S6_EEENSH_IJSG_SG_EEES6_PlJNSB_9not_fun_tINSB_14equal_to_valueIfEEEEEEE10hipError_tPvRmT3_T4_T5_T6_T7_T9_mT8_P12ihipStream_tbDpT10_ENKUlT_T0_E_clISt17integral_constantIbLb0EES17_IbLb1EEEEDaS13_S14_EUlS13_E_NS1_11comp_targetILNS1_3genE10ELNS1_11target_archE1200ELNS1_3gpuE4ELNS1_3repE0EEENS1_30default_config_static_selectorELNS0_4arch9wavefront6targetE0EEEvT1_,comdat
	.protected	_ZN7rocprim17ROCPRIM_400000_NS6detail17trampoline_kernelINS0_14default_configENS1_25partition_config_selectorILNS1_17partition_subalgoE6EfNS0_10empty_typeEbEEZZNS1_14partition_implILS5_6ELb0ES3_mN6thrust23THRUST_200600_302600_NS6detail15normal_iteratorINSA_10device_ptrIfEEEEPS6_SG_NS0_5tupleIJSF_S6_EEENSH_IJSG_SG_EEES6_PlJNSB_9not_fun_tINSB_14equal_to_valueIfEEEEEEE10hipError_tPvRmT3_T4_T5_T6_T7_T9_mT8_P12ihipStream_tbDpT10_ENKUlT_T0_E_clISt17integral_constantIbLb0EES17_IbLb1EEEEDaS13_S14_EUlS13_E_NS1_11comp_targetILNS1_3genE10ELNS1_11target_archE1200ELNS1_3gpuE4ELNS1_3repE0EEENS1_30default_config_static_selectorELNS0_4arch9wavefront6targetE0EEEvT1_ ; -- Begin function _ZN7rocprim17ROCPRIM_400000_NS6detail17trampoline_kernelINS0_14default_configENS1_25partition_config_selectorILNS1_17partition_subalgoE6EfNS0_10empty_typeEbEEZZNS1_14partition_implILS5_6ELb0ES3_mN6thrust23THRUST_200600_302600_NS6detail15normal_iteratorINSA_10device_ptrIfEEEEPS6_SG_NS0_5tupleIJSF_S6_EEENSH_IJSG_SG_EEES6_PlJNSB_9not_fun_tINSB_14equal_to_valueIfEEEEEEE10hipError_tPvRmT3_T4_T5_T6_T7_T9_mT8_P12ihipStream_tbDpT10_ENKUlT_T0_E_clISt17integral_constantIbLb0EES17_IbLb1EEEEDaS13_S14_EUlS13_E_NS1_11comp_targetILNS1_3genE10ELNS1_11target_archE1200ELNS1_3gpuE4ELNS1_3repE0EEENS1_30default_config_static_selectorELNS0_4arch9wavefront6targetE0EEEvT1_
	.globl	_ZN7rocprim17ROCPRIM_400000_NS6detail17trampoline_kernelINS0_14default_configENS1_25partition_config_selectorILNS1_17partition_subalgoE6EfNS0_10empty_typeEbEEZZNS1_14partition_implILS5_6ELb0ES3_mN6thrust23THRUST_200600_302600_NS6detail15normal_iteratorINSA_10device_ptrIfEEEEPS6_SG_NS0_5tupleIJSF_S6_EEENSH_IJSG_SG_EEES6_PlJNSB_9not_fun_tINSB_14equal_to_valueIfEEEEEEE10hipError_tPvRmT3_T4_T5_T6_T7_T9_mT8_P12ihipStream_tbDpT10_ENKUlT_T0_E_clISt17integral_constantIbLb0EES17_IbLb1EEEEDaS13_S14_EUlS13_E_NS1_11comp_targetILNS1_3genE10ELNS1_11target_archE1200ELNS1_3gpuE4ELNS1_3repE0EEENS1_30default_config_static_selectorELNS0_4arch9wavefront6targetE0EEEvT1_
	.p2align	8
	.type	_ZN7rocprim17ROCPRIM_400000_NS6detail17trampoline_kernelINS0_14default_configENS1_25partition_config_selectorILNS1_17partition_subalgoE6EfNS0_10empty_typeEbEEZZNS1_14partition_implILS5_6ELb0ES3_mN6thrust23THRUST_200600_302600_NS6detail15normal_iteratorINSA_10device_ptrIfEEEEPS6_SG_NS0_5tupleIJSF_S6_EEENSH_IJSG_SG_EEES6_PlJNSB_9not_fun_tINSB_14equal_to_valueIfEEEEEEE10hipError_tPvRmT3_T4_T5_T6_T7_T9_mT8_P12ihipStream_tbDpT10_ENKUlT_T0_E_clISt17integral_constantIbLb0EES17_IbLb1EEEEDaS13_S14_EUlS13_E_NS1_11comp_targetILNS1_3genE10ELNS1_11target_archE1200ELNS1_3gpuE4ELNS1_3repE0EEENS1_30default_config_static_selectorELNS0_4arch9wavefront6targetE0EEEvT1_,@function
_ZN7rocprim17ROCPRIM_400000_NS6detail17trampoline_kernelINS0_14default_configENS1_25partition_config_selectorILNS1_17partition_subalgoE6EfNS0_10empty_typeEbEEZZNS1_14partition_implILS5_6ELb0ES3_mN6thrust23THRUST_200600_302600_NS6detail15normal_iteratorINSA_10device_ptrIfEEEEPS6_SG_NS0_5tupleIJSF_S6_EEENSH_IJSG_SG_EEES6_PlJNSB_9not_fun_tINSB_14equal_to_valueIfEEEEEEE10hipError_tPvRmT3_T4_T5_T6_T7_T9_mT8_P12ihipStream_tbDpT10_ENKUlT_T0_E_clISt17integral_constantIbLb0EES17_IbLb1EEEEDaS13_S14_EUlS13_E_NS1_11comp_targetILNS1_3genE10ELNS1_11target_archE1200ELNS1_3gpuE4ELNS1_3repE0EEENS1_30default_config_static_selectorELNS0_4arch9wavefront6targetE0EEEvT1_: ; @_ZN7rocprim17ROCPRIM_400000_NS6detail17trampoline_kernelINS0_14default_configENS1_25partition_config_selectorILNS1_17partition_subalgoE6EfNS0_10empty_typeEbEEZZNS1_14partition_implILS5_6ELb0ES3_mN6thrust23THRUST_200600_302600_NS6detail15normal_iteratorINSA_10device_ptrIfEEEEPS6_SG_NS0_5tupleIJSF_S6_EEENSH_IJSG_SG_EEES6_PlJNSB_9not_fun_tINSB_14equal_to_valueIfEEEEEEE10hipError_tPvRmT3_T4_T5_T6_T7_T9_mT8_P12ihipStream_tbDpT10_ENKUlT_T0_E_clISt17integral_constantIbLb0EES17_IbLb1EEEEDaS13_S14_EUlS13_E_NS1_11comp_targetILNS1_3genE10ELNS1_11target_archE1200ELNS1_3gpuE4ELNS1_3repE0EEENS1_30default_config_static_selectorELNS0_4arch9wavefront6targetE0EEEvT1_
; %bb.0:
	s_clause 0x3
	s_load_b64 s[12:13], s[0:1], 0x28
	s_load_b128 s[8:11], s[0:1], 0x40
	s_load_b64 s[16:17], s[0:1], 0x50
	s_load_b64 s[14:15], s[0:1], 0x60
	v_cmp_eq_u32_e64 s2, 0, v0
	s_and_saveexec_b32 s3, s2
	s_cbranch_execz .LBB338_4
; %bb.1:
	s_mov_b32 s5, exec_lo
	s_mov_b32 s4, exec_lo
	v_mbcnt_lo_u32_b32 v1, s5, 0
                                        ; implicit-def: $vgpr2
	s_delay_alu instid0(VALU_DEP_1)
	v_cmpx_eq_u32_e32 0, v1
	s_cbranch_execz .LBB338_3
; %bb.2:
	s_load_b64 s[6:7], s[0:1], 0x70
	s_bcnt1_i32_b32 s5, s5
	s_wait_alu 0xfffe
	v_dual_mov_b32 v2, 0 :: v_dual_mov_b32 v3, s5
	s_wait_kmcnt 0x0
	global_atomic_add_u32 v2, v2, v3, s[6:7] th:TH_ATOMIC_RETURN scope:SCOPE_DEV
.LBB338_3:
	s_or_b32 exec_lo, exec_lo, s4
	s_wait_loadcnt 0x0
	v_readfirstlane_b32 s4, v2
	s_wait_alu 0xf1ff
	s_delay_alu instid0(VALU_DEP_1)
	v_dual_mov_b32 v2, 0 :: v_dual_add_nc_u32 v1, s4, v1
	ds_store_b32 v2, v1
.LBB338_4:
	s_or_b32 exec_lo, exec_lo, s3
	v_mov_b32_e32 v2, 0
	s_clause 0x2
	s_load_b128 s[4:7], s[0:1], 0x8
	s_load_b32 s3, s[0:1], 0x68
	s_load_b32 s19, s[0:1], 0x78
	s_wait_dscnt 0x0
	s_barrier_signal -1
	s_barrier_wait -1
	global_inv scope:SCOPE_SE
	ds_load_b32 v1, v2
	s_wait_loadcnt_dscnt 0x0
	s_barrier_signal -1
	s_barrier_wait -1
	global_inv scope:SCOPE_SE
	s_wait_kmcnt 0x0
	global_load_b64 v[9:10], v2, s[10:11]
	s_mov_b32 s1, 0
	v_lshlrev_b32_e32 v8, 2, v0
	s_lshl_b64 s[10:11], s[6:7], 2
	s_mul_i32 s0, s3, 0xa80
	s_add_co_i32 s20, s3, -1
	s_add_co_i32 s3, s0, s6
	s_add_nc_u64 s[6:7], s[6:7], s[0:1]
	s_sub_co_i32 s0, s16, s3
	v_cmp_le_u64_e64 s1, s[16:17], s[6:7]
	v_readfirstlane_b32 s18, v1
	v_mul_lo_u32 v1, 0xa80, v1
	s_add_nc_u64 s[4:5], s[4:5], s[10:11]
	s_cmp_eq_u32 s18, s20
	s_cselect_b32 s7, -1, 0
	s_delay_alu instid0(VALU_DEP_1) | instskip(SKIP_2) | instid1(SALU_CYCLE_1)
	v_lshlrev_b64_e32 v[1:2], 2, v[1:2]
	s_wait_alu 0xfffe
	s_and_b32 s1, s1, s7
	s_xor_b32 s10, s1, -1
	s_mov_b32 s1, -1
	s_delay_alu instid0(VALU_DEP_1) | instskip(NEXT) | instid1(VALU_DEP_1)
	v_add_co_u32 v11, vcc_lo, s4, v1
	v_add_co_ci_u32_e64 v12, null, s5, v2, vcc_lo
	s_and_b32 vcc_lo, exec_lo, s10
	s_wait_alu 0xfffe
	s_cbranch_vccz .LBB338_6
; %bb.5:
	v_add_co_u32 v1, vcc_lo, v11, v8
	s_wait_alu 0xfffd
	v_add_co_ci_u32_e64 v2, null, 0, v12, vcc_lo
	s_mov_b32 s1, 0
	s_clause 0x6
	flat_load_b32 v3, v[1:2]
	flat_load_b32 v4, v[1:2] offset:1536
	flat_load_b32 v5, v[1:2] offset:3072
	;; [unrolled: 1-line block ×6, first 2 shown]
	s_wait_loadcnt_dscnt 0x505
	ds_store_2addr_stride64_b32 v8, v3, v4 offset1:6
	s_wait_loadcnt_dscnt 0x304
	ds_store_2addr_stride64_b32 v8, v5, v6 offset0:12 offset1:18
	s_wait_loadcnt_dscnt 0x103
	ds_store_2addr_stride64_b32 v8, v7, v13 offset0:24 offset1:30
	s_wait_loadcnt_dscnt 0x3
	ds_store_b32 v8, v1 offset:9216
	s_wait_dscnt 0x0
	s_barrier_signal -1
	s_barrier_wait -1
.LBB338_6:
	s_and_not1_b32 vcc_lo, exec_lo, s1
	s_add_co_i32 s16, s0, 0xa80
	s_wait_alu 0xfffe
	s_cbranch_vccnz .LBB338_22
; %bb.7:
	v_mov_b32_e32 v1, 0
	s_mov_b32 s0, exec_lo
	s_delay_alu instid0(VALU_DEP_1)
	v_dual_mov_b32 v2, v1 :: v_dual_mov_b32 v3, v1
	v_dual_mov_b32 v4, v1 :: v_dual_mov_b32 v5, v1
	;; [unrolled: 1-line block ×3, first 2 shown]
	v_cmpx_gt_u32_e64 s16, v0
	s_cbranch_execz .LBB338_9
; %bb.8:
	v_add_co_u32 v2, vcc_lo, v11, v8
	s_wait_alu 0xfffd
	v_add_co_ci_u32_e64 v3, null, 0, v12, vcc_lo
	v_dual_mov_b32 v14, v1 :: v_dual_mov_b32 v15, v1
	v_dual_mov_b32 v16, v1 :: v_dual_mov_b32 v17, v1
	flat_load_b32 v13, v[2:3]
	v_dual_mov_b32 v18, v1 :: v_dual_mov_b32 v19, v1
	s_wait_loadcnt_dscnt 0x0
	v_dual_mov_b32 v1, v13 :: v_dual_mov_b32 v2, v14
	v_dual_mov_b32 v3, v15 :: v_dual_mov_b32 v4, v16
	s_delay_alu instid0(VALU_DEP_3)
	v_dual_mov_b32 v5, v17 :: v_dual_mov_b32 v6, v18
	v_mov_b32_e32 v7, v19
.LBB338_9:
	s_or_b32 exec_lo, exec_lo, s0
	v_add_nc_u32_e32 v13, 0x180, v0
	s_mov_b32 s0, exec_lo
	s_delay_alu instid0(VALU_DEP_1)
	v_cmpx_gt_u32_e64 s16, v13
	s_cbranch_execz .LBB338_11
; %bb.10:
	v_add_co_u32 v13, vcc_lo, v11, v8
	s_wait_alu 0xfffd
	v_add_co_ci_u32_e64 v14, null, 0, v12, vcc_lo
	flat_load_b32 v2, v[13:14] offset:1536
.LBB338_11:
	s_or_b32 exec_lo, exec_lo, s0
	v_add_nc_u32_e32 v13, 0x300, v0
	s_mov_b32 s0, exec_lo
	s_delay_alu instid0(VALU_DEP_1)
	v_cmpx_gt_u32_e64 s16, v13
	s_cbranch_execz .LBB338_13
; %bb.12:
	v_add_co_u32 v13, vcc_lo, v11, v8
	s_wait_alu 0xfffd
	v_add_co_ci_u32_e64 v14, null, 0, v12, vcc_lo
	flat_load_b32 v3, v[13:14] offset:3072
.LBB338_13:
	;; [unrolled: 12-line block ×3, first 2 shown]
	s_or_b32 exec_lo, exec_lo, s0
	v_or_b32_e32 v13, 0x600, v0
	s_mov_b32 s0, exec_lo
	s_delay_alu instid0(VALU_DEP_1)
	v_cmpx_gt_u32_e64 s16, v13
	s_cbranch_execz .LBB338_17
; %bb.16:
	v_add_co_u32 v13, vcc_lo, v11, v8
	s_wait_alu 0xfffd
	v_add_co_ci_u32_e64 v14, null, 0, v12, vcc_lo
	flat_load_b32 v5, v[13:14] offset:6144
.LBB338_17:
	s_or_b32 exec_lo, exec_lo, s0
	v_add_nc_u32_e32 v13, 0x780, v0
	s_mov_b32 s0, exec_lo
	s_delay_alu instid0(VALU_DEP_1)
	v_cmpx_gt_u32_e64 s16, v13
	s_cbranch_execz .LBB338_19
; %bb.18:
	v_add_co_u32 v13, vcc_lo, v11, v8
	s_wait_alu 0xfffd
	v_add_co_ci_u32_e64 v14, null, 0, v12, vcc_lo
	flat_load_b32 v6, v[13:14] offset:7680
.LBB338_19:
	s_or_b32 exec_lo, exec_lo, s0
	v_add_nc_u32_e32 v13, 0x900, v0
	s_mov_b32 s0, exec_lo
	s_delay_alu instid0(VALU_DEP_1)
	v_cmpx_gt_u32_e64 s16, v13
	s_cbranch_execz .LBB338_21
; %bb.20:
	v_add_co_u32 v11, vcc_lo, v11, v8
	s_wait_alu 0xfffd
	v_add_co_ci_u32_e64 v12, null, 0, v12, vcc_lo
	flat_load_b32 v7, v[11:12] offset:9216
.LBB338_21:
	s_or_b32 exec_lo, exec_lo, s0
	s_wait_loadcnt_dscnt 0x0
	ds_store_2addr_stride64_b32 v8, v1, v2 offset1:6
	ds_store_2addr_stride64_b32 v8, v3, v4 offset0:12 offset1:18
	ds_store_2addr_stride64_b32 v8, v5, v6 offset0:24 offset1:30
	ds_store_b32 v8, v7 offset:9216
	s_wait_dscnt 0x0
	s_barrier_signal -1
	s_barrier_wait -1
.LBB338_22:
	v_mul_u32_u24_e32 v1, 7, v0
	s_wait_loadcnt 0x0
	global_inv scope:SCOPE_SE
	s_and_not1_b32 vcc_lo, exec_lo, s10
	v_lshlrev_b32_e32 v32, 2, v1
	ds_load_2addr_b32 v[11:12], v32 offset0:4 offset1:5
	ds_load_b32 v33, v32 offset:24
	ds_load_2addr_b32 v[15:16], v32 offset1:1
	ds_load_2addr_b32 v[13:14], v32 offset0:2 offset1:3
	s_wait_loadcnt_dscnt 0x0
	s_barrier_signal -1
	s_barrier_wait -1
	global_inv scope:SCOPE_SE
	v_cmp_neq_f32_e64 s0, s19, v11
	v_cmp_neq_f32_e64 s11, s19, v33
	;; [unrolled: 1-line block ×7, first 2 shown]
	s_wait_alu 0xfffe
	s_cbranch_vccnz .LBB338_24
; %bb.23:
	s_wait_alu 0xf1ff
	v_cndmask_b32_e64 v2, 0, 1, s5
	v_cndmask_b32_e64 v3, 0, 1, s6
	;; [unrolled: 1-line block ×5, first 2 shown]
	v_lshlrev_b16 v2, 8, v2
	v_lshlrev_b16 v3, 8, v3
	v_cndmask_b32_e64 v34, 0, 1, s1
	s_delay_alu instid0(VALU_DEP_3) | instskip(NEXT) | instid1(VALU_DEP_3)
	v_or_b32_e32 v2, v4, v2
	v_or_b32_e32 v3, v5, v3
	s_delay_alu instid0(VALU_DEP_2) | instskip(NEXT) | instid1(VALU_DEP_2)
	v_and_b32_e32 v2, 0xffff, v2
	v_lshlrev_b32_e32 v3, 16, v3
	s_delay_alu instid0(VALU_DEP_1)
	v_or_b32_e32 v31, v2, v3
	s_cbranch_execz .LBB338_25
	s_branch .LBB338_26
.LBB338_24:
                                        ; implicit-def: $sgpr11
                                        ; implicit-def: $vgpr34
                                        ; implicit-def: $vgpr35
                                        ; implicit-def: $vgpr31
.LBB338_25:
	v_add_nc_u32_e32 v2, 1, v1
	v_cmp_neq_f32_e32 vcc_lo, s19, v16
	v_add_nc_u32_e32 v3, 3, v1
	v_cmp_neq_f32_e64 s0, s19, v15
	v_cmp_neq_f32_e64 s3, s19, v14
	v_cmp_gt_u32_e64 s1, s16, v2
	v_add_nc_u32_e32 v2, 2, v1
	v_cmp_gt_u32_e64 s5, s16, v3
	v_cmp_neq_f32_e64 s4, s19, v13
	v_add_nc_u32_e32 v5, 5, v1
	s_and_b32 s1, s1, vcc_lo
	v_cmp_gt_u32_e32 vcc_lo, s16, v1
	s_wait_alu 0xfffe
	v_cndmask_b32_e64 v3, 0, 1, s1
	v_cmp_gt_u32_e64 s1, s16, v2
	s_and_b32 s3, s5, s3
	s_and_b32 s0, vcc_lo, s0
	v_lshlrev_b16 v3, 8, v3
	s_wait_alu 0xfffe
	v_cndmask_b32_e64 v4, 0, 1, s0
	v_cndmask_b32_e64 v2, 0, 1, s3
	s_and_b32 s0, s1, s4
	v_cmp_neq_f32_e32 vcc_lo, s19, v12
	s_wait_alu 0xfffe
	v_cndmask_b32_e64 v6, 0, 1, s0
	v_cmp_gt_u32_e64 s0, s16, v5
	v_or_b32_e32 v3, v4, v3
	v_add_nc_u32_e32 v4, 4, v1
	v_lshlrev_b16 v2, 8, v2
	v_cmp_neq_f32_e64 s1, s19, v11
	s_and_b32 s0, s0, vcc_lo
	v_add_nc_u32_e32 v1, 6, v1
	v_cmp_gt_u32_e32 vcc_lo, s16, v4
	v_or_b32_e32 v2, v6, v2
	s_wait_alu 0xfffe
	v_cndmask_b32_e64 v34, 0, 1, s0
	v_and_b32_e32 v3, 0xffff, v3
	s_and_b32 s0, vcc_lo, s1
	v_cmp_gt_u32_e32 vcc_lo, s16, v1
	s_wait_alu 0xfffe
	v_cndmask_b32_e64 v5, 0, 1, s0
	v_cmp_neq_f32_e64 s0, s19, v33
	v_lshlrev_b32_e32 v2, 16, v2
	v_lshlrev_b16 v4, 8, v34
	s_and_not1_b32 s1, s11, exec_lo
	s_and_b32 s0, vcc_lo, s0
	s_delay_alu instid0(VALU_DEP_2) | instskip(NEXT) | instid1(VALU_DEP_2)
	v_or_b32_e32 v31, v3, v2
	v_or_b32_e32 v35, v5, v4
	s_wait_alu 0xfffe
	s_and_b32 s0, s0, exec_lo
	s_wait_alu 0xfffe
	s_or_b32 s11, s1, s0
.LBB338_26:
	s_delay_alu instid0(VALU_DEP_1)
	v_dual_mov_b32 v2, 0 :: v_dual_and_b32 v39, 0xff, v31
	v_bfe_u32 v38, v31, 8, 8
	v_cndmask_b32_e64 v1, 0, 1, s11
	v_bfe_u32 v41, v31, 16, 8
	v_lshrrev_b32_e32 v36, 24, v31
	v_and_b32_e32 v40, 0xff, v35
	v_mbcnt_lo_u32_b32 v42, -1, 0
	v_add3_u32 v1, v39, v1, v38
	v_and_b32_e32 v37, 0xff, v34
	s_cmp_lg_u32 s18, 0
	s_mov_b32 s1, -1
	v_and_b32_e32 v43, 15, v42
	v_add_co_u32 v1, s0, v1, v41
	s_wait_alu 0xf1ff
	v_add_co_ci_u32_e64 v3, null, 0, 0, s0
	s_delay_alu instid0(VALU_DEP_3) | instskip(NEXT) | instid1(VALU_DEP_3)
	v_cmp_ne_u32_e64 s0, 0, v43
	v_add_co_u32 v1, vcc_lo, v1, v36
	s_wait_alu 0xfffd
	s_delay_alu instid0(VALU_DEP_3) | instskip(NEXT) | instid1(VALU_DEP_2)
	v_add_co_ci_u32_e64 v3, null, 0, v3, vcc_lo
	v_add_co_u32 v1, vcc_lo, v1, v40
	s_wait_alu 0xfffd
	s_delay_alu instid0(VALU_DEP_2) | instskip(NEXT) | instid1(VALU_DEP_2)
	v_add_co_ci_u32_e64 v3, null, 0, v3, vcc_lo
	v_add_co_u32 v17, vcc_lo, v1, v37
	s_wait_alu 0xfffd
	s_delay_alu instid0(VALU_DEP_2)
	v_add_co_ci_u32_e64 v18, null, 0, v3, vcc_lo
	s_cbranch_scc0 .LBB338_85
; %bb.27:
	v_mov_b32_e32 v3, v17
	v_mov_b32_dpp v1, v17 row_shr:1 row_mask:0xf bank_mask:0xf
	v_mov_b32_dpp v6, v2 row_shr:1 row_mask:0xf bank_mask:0xf
	v_dual_mov_b32 v5, v17 :: v_dual_mov_b32 v4, v18
	s_and_saveexec_b32 s1, s0
; %bb.28:
	s_delay_alu instid0(VALU_DEP_3) | instskip(SKIP_2) | instid1(VALU_DEP_2)
	v_add_co_u32 v5, vcc_lo, v17, v1
	s_wait_alu 0xfffd
	v_add_co_ci_u32_e64 v2, null, 0, v18, vcc_lo
	v_add_co_u32 v1, vcc_lo, 0, v5
	s_wait_alu 0xfffd
	s_delay_alu instid0(VALU_DEP_2) | instskip(NEXT) | instid1(VALU_DEP_1)
	v_add_co_ci_u32_e64 v2, null, v6, v2, vcc_lo
	v_dual_mov_b32 v4, v2 :: v_dual_mov_b32 v3, v1
; %bb.29:
	s_wait_alu 0xfffe
	s_or_b32 exec_lo, exec_lo, s1
	v_mov_b32_dpp v1, v5 row_shr:2 row_mask:0xf bank_mask:0xf
	v_mov_b32_dpp v6, v2 row_shr:2 row_mask:0xf bank_mask:0xf
	v_cmp_lt_u32_e32 vcc_lo, 1, v43
	s_and_saveexec_b32 s3, vcc_lo
; %bb.30:
	s_delay_alu instid0(VALU_DEP_3) | instskip(SKIP_2) | instid1(VALU_DEP_2)
	v_add_co_u32 v5, s1, v3, v1
	s_wait_alu 0xf1ff
	v_add_co_ci_u32_e64 v2, null, 0, v4, s1
	v_add_co_u32 v1, s1, 0, v5
	s_wait_alu 0xf1ff
	s_delay_alu instid0(VALU_DEP_2) | instskip(NEXT) | instid1(VALU_DEP_1)
	v_add_co_ci_u32_e64 v2, null, v6, v2, s1
	v_dual_mov_b32 v4, v2 :: v_dual_mov_b32 v3, v1
; %bb.31:
	s_wait_alu 0xfffe
	s_or_b32 exec_lo, exec_lo, s3
	v_mov_b32_dpp v1, v5 row_shr:4 row_mask:0xf bank_mask:0xf
	v_mov_b32_dpp v6, v2 row_shr:4 row_mask:0xf bank_mask:0xf
	v_cmp_lt_u32_e64 s1, 3, v43
	s_and_saveexec_b32 s4, s1
; %bb.32:
	v_add_co_u32 v5, s3, v3, v1
	s_wait_alu 0xf1ff
	v_add_co_ci_u32_e64 v2, null, 0, v4, s3
	s_delay_alu instid0(VALU_DEP_2) | instskip(SKIP_1) | instid1(VALU_DEP_2)
	v_add_co_u32 v1, s3, 0, v5
	s_wait_alu 0xf1ff
	v_add_co_ci_u32_e64 v2, null, v6, v2, s3
	s_delay_alu instid0(VALU_DEP_1)
	v_dual_mov_b32 v4, v2 :: v_dual_mov_b32 v3, v1
; %bb.33:
	s_wait_alu 0xfffe
	s_or_b32 exec_lo, exec_lo, s4
	v_mov_b32_dpp v6, v5 row_shr:8 row_mask:0xf bank_mask:0xf
	v_mov_b32_dpp v1, v2 row_shr:8 row_mask:0xf bank_mask:0xf
	v_cmp_lt_u32_e64 s3, 7, v43
	s_and_saveexec_b32 s5, s3
; %bb.34:
	v_add_co_u32 v5, s4, v3, v6
	s_wait_alu 0xf1ff
	v_add_co_ci_u32_e64 v2, null, 0, v4, s4
	s_delay_alu instid0(VALU_DEP_2) | instskip(SKIP_1) | instid1(VALU_DEP_2)
	v_add_co_u32 v3, s4, 0, v5
	s_wait_alu 0xf1ff
	v_add_co_ci_u32_e64 v4, null, v1, v2, s4
	s_delay_alu instid0(VALU_DEP_1)
	v_mov_b32_e32 v2, v4
; %bb.35:
	s_wait_alu 0xfffe
	s_or_b32 exec_lo, exec_lo, s5
	ds_swizzle_b32 v1, v5 offset:swizzle(BROADCAST,32,15)
	ds_swizzle_b32 v6, v2 offset:swizzle(BROADCAST,32,15)
	v_and_b32_e32 v7, 16, v42
	s_mov_b32 s5, exec_lo
	s_delay_alu instid0(VALU_DEP_1)
	v_cmpx_ne_u32_e32 0, v7
	s_cbranch_execz .LBB338_37
; %bb.36:
	s_wait_dscnt 0x1
	v_add_co_u32 v5, s4, v3, v1
	s_wait_alu 0xf1ff
	v_add_co_ci_u32_e64 v2, null, 0, v4, s4
	s_delay_alu instid0(VALU_DEP_2) | instskip(SKIP_2) | instid1(VALU_DEP_2)
	v_add_co_u32 v1, s4, 0, v5
	s_wait_dscnt 0x0
	s_wait_alu 0xf1ff
	v_add_co_ci_u32_e64 v2, null, v6, v2, s4
	s_delay_alu instid0(VALU_DEP_1)
	v_dual_mov_b32 v4, v2 :: v_dual_mov_b32 v3, v1
.LBB338_37:
	s_wait_alu 0xfffe
	s_or_b32 exec_lo, exec_lo, s5
	s_wait_dscnt 0x1
	v_and_b32_e32 v1, 0x1e0, v0
	s_mov_b32 s5, exec_lo
	s_delay_alu instid0(VALU_DEP_1) | instskip(SKIP_1) | instid1(VALU_DEP_1)
	v_min_u32_e32 v1, 0x160, v1
	s_wait_dscnt 0x0
	v_or_b32_e32 v6, 31, v1
	v_lshrrev_b32_e32 v1, 5, v0
	s_delay_alu instid0(VALU_DEP_2)
	v_cmpx_eq_u32_e64 v0, v6
; %bb.38:
	s_delay_alu instid0(VALU_DEP_2)
	v_lshlrev_b32_e32 v6, 3, v1
	ds_store_b64 v6, v[3:4]
; %bb.39:
	s_wait_alu 0xfffe
	s_or_b32 exec_lo, exec_lo, s5
	s_delay_alu instid0(SALU_CYCLE_1)
	s_mov_b32 s5, exec_lo
	s_wait_loadcnt_dscnt 0x0
	s_barrier_signal -1
	s_barrier_wait -1
	global_inv scope:SCOPE_SE
	v_cmpx_gt_u32_e32 12, v0
	s_cbranch_execz .LBB338_49
; %bb.40:
	v_lshlrev_b32_e32 v6, 3, v0
	ds_load_b64 v[3:4], v6
	s_wait_dscnt 0x0
	v_mov_b32_dpp v19, v3 row_shr:1 row_mask:0xf bank_mask:0xf
	v_mov_b32_dpp v8, v4 row_shr:1 row_mask:0xf bank_mask:0xf
	v_mov_b32_e32 v7, v3
	s_and_saveexec_b32 s6, s0
; %bb.41:
	s_delay_alu instid0(VALU_DEP_3) | instskip(SKIP_2) | instid1(VALU_DEP_2)
	v_add_co_u32 v7, s4, v3, v19
	s_wait_alu 0xf1ff
	v_add_co_ci_u32_e64 v4, null, 0, v4, s4
	v_add_co_u32 v3, s4, 0, v7
	s_wait_alu 0xf1ff
	s_delay_alu instid0(VALU_DEP_2)
	v_add_co_ci_u32_e64 v4, null, v8, v4, s4
; %bb.42:
	s_wait_alu 0xfffe
	s_or_b32 exec_lo, exec_lo, s6
	v_mov_b32_dpp v19, v7 row_shr:2 row_mask:0xf bank_mask:0xf
	s_delay_alu instid0(VALU_DEP_2)
	v_mov_b32_dpp v8, v4 row_shr:2 row_mask:0xf bank_mask:0xf
	s_and_saveexec_b32 s4, vcc_lo
; %bb.43:
	s_delay_alu instid0(VALU_DEP_2) | instskip(SKIP_2) | instid1(VALU_DEP_2)
	v_add_co_u32 v7, vcc_lo, v3, v19
	s_wait_alu 0xfffd
	v_add_co_ci_u32_e64 v4, null, 0, v4, vcc_lo
	v_add_co_u32 v3, vcc_lo, 0, v7
	s_wait_alu 0xfffd
	s_delay_alu instid0(VALU_DEP_2)
	v_add_co_ci_u32_e64 v4, null, v8, v4, vcc_lo
; %bb.44:
	s_wait_alu 0xfffe
	s_or_b32 exec_lo, exec_lo, s4
	v_mov_b32_dpp v19, v7 row_shr:4 row_mask:0xf bank_mask:0xf
	s_delay_alu instid0(VALU_DEP_2)
	v_mov_b32_dpp v8, v4 row_shr:4 row_mask:0xf bank_mask:0xf
	s_and_saveexec_b32 s4, s1
; %bb.45:
	s_delay_alu instid0(VALU_DEP_2) | instskip(SKIP_2) | instid1(VALU_DEP_2)
	v_add_co_u32 v7, vcc_lo, v3, v19
	s_wait_alu 0xfffd
	v_add_co_ci_u32_e64 v4, null, 0, v4, vcc_lo
	v_add_co_u32 v3, vcc_lo, 0, v7
	s_wait_alu 0xfffd
	s_delay_alu instid0(VALU_DEP_2)
	v_add_co_ci_u32_e64 v4, null, v8, v4, vcc_lo
; %bb.46:
	s_wait_alu 0xfffe
	s_or_b32 exec_lo, exec_lo, s4
	v_mov_b32_dpp v8, v7 row_shr:8 row_mask:0xf bank_mask:0xf
	s_delay_alu instid0(VALU_DEP_2)
	v_mov_b32_dpp v7, v4 row_shr:8 row_mask:0xf bank_mask:0xf
	s_and_saveexec_b32 s1, s3
; %bb.47:
	s_delay_alu instid0(VALU_DEP_2) | instskip(SKIP_2) | instid1(VALU_DEP_2)
	v_add_co_u32 v3, vcc_lo, v3, v8
	s_wait_alu 0xfffd
	v_add_co_ci_u32_e64 v4, null, 0, v4, vcc_lo
	v_add_co_u32 v3, vcc_lo, v3, 0
	s_wait_alu 0xfffd
	s_delay_alu instid0(VALU_DEP_2)
	v_add_co_ci_u32_e64 v4, null, v4, v7, vcc_lo
; %bb.48:
	s_wait_alu 0xfffe
	s_or_b32 exec_lo, exec_lo, s1
	ds_store_b64 v6, v[3:4]
.LBB338_49:
	s_wait_alu 0xfffe
	s_or_b32 exec_lo, exec_lo, s5
	s_delay_alu instid0(SALU_CYCLE_1)
	s_mov_b32 s3, exec_lo
	v_cmp_gt_u32_e32 vcc_lo, 32, v0
	s_wait_loadcnt_dscnt 0x0
	s_barrier_signal -1
	s_barrier_wait -1
	global_inv scope:SCOPE_SE
                                        ; implicit-def: $vgpr19_vgpr20
	v_cmpx_lt_u32_e32 31, v0
	s_cbranch_execz .LBB338_51
; %bb.50:
	v_lshl_add_u32 v1, v1, 3, -8
	ds_load_b64 v[19:20], v1
	s_wait_dscnt 0x0
	v_add_co_u32 v5, s1, v5, v19
	s_wait_alu 0xf1ff
	v_add_co_ci_u32_e64 v2, null, v2, v20, s1
.LBB338_51:
	s_wait_alu 0xfffe
	s_or_b32 exec_lo, exec_lo, s3
	v_sub_co_u32 v1, s1, v42, 1
	s_delay_alu instid0(VALU_DEP_1) | instskip(SKIP_1) | instid1(VALU_DEP_1)
	v_cmp_gt_i32_e64 s3, 0, v1
	s_wait_alu 0xf1ff
	v_cndmask_b32_e64 v1, v1, v42, s3
	s_delay_alu instid0(VALU_DEP_1)
	v_lshlrev_b32_e32 v1, 2, v1
	ds_bpermute_b32 v25, v1, v5
	ds_bpermute_b32 v26, v1, v2
	s_and_saveexec_b32 s3, vcc_lo
	s_cbranch_execz .LBB338_90
; %bb.52:
	v_mov_b32_e32 v4, 0
	ds_load_b64 v[1:2], v4 offset:88
	s_and_saveexec_b32 s4, s1
	s_cbranch_execz .LBB338_54
; %bb.53:
	s_add_co_i32 s16, s18, 32
	s_mov_b32 s17, 0
	s_wait_alu 0xfffe
	s_lshl_b64 s[16:17], s[16:17], 4
	s_wait_alu 0xfffe
	s_add_nc_u64 s[16:17], s[14:15], s[16:17]
	v_mov_b32_e32 v3, 1
	s_wait_alu 0xfffe
	v_dual_mov_b32 v5, s16 :: v_dual_mov_b32 v6, s17
	s_wait_dscnt 0x0
	;;#ASMSTART
	global_store_b128 v[5:6], v[1:4] off scope:SCOPE_DEV	
s_wait_storecnt 0x0
	;;#ASMEND
.LBB338_54:
	s_wait_alu 0xfffe
	s_or_b32 exec_lo, exec_lo, s4
	v_xad_u32 v21, v42, -1, s18
	s_mov_b32 s5, 0
	s_mov_b32 s4, exec_lo
	s_delay_alu instid0(VALU_DEP_1) | instskip(NEXT) | instid1(VALU_DEP_1)
	v_add_nc_u32_e32 v3, 32, v21
	v_lshlrev_b64_e32 v[3:4], 4, v[3:4]
	s_delay_alu instid0(VALU_DEP_1) | instskip(SKIP_1) | instid1(VALU_DEP_2)
	v_add_co_u32 v3, vcc_lo, s14, v3
	s_wait_alu 0xfffd
	v_add_co_ci_u32_e64 v4, null, s15, v4, vcc_lo
	;;#ASMSTART
	global_load_b128 v[5:8], v[3:4] off scope:SCOPE_DEV	
s_wait_loadcnt 0x0
	;;#ASMEND
	v_and_b32_e32 v8, 0xff, v7
	s_delay_alu instid0(VALU_DEP_1)
	v_cmpx_eq_u16_e32 0, v8
	s_cbranch_execz .LBB338_57
.LBB338_55:                             ; =>This Inner Loop Header: Depth=1
	;;#ASMSTART
	global_load_b128 v[5:8], v[3:4] off scope:SCOPE_DEV	
s_wait_loadcnt 0x0
	;;#ASMEND
	v_and_b32_e32 v8, 0xff, v7
	s_delay_alu instid0(VALU_DEP_1)
	v_cmp_ne_u16_e32 vcc_lo, 0, v8
	s_wait_alu 0xfffe
	s_or_b32 s5, vcc_lo, s5
	s_wait_alu 0xfffe
	s_and_not1_b32 exec_lo, exec_lo, s5
	s_cbranch_execnz .LBB338_55
; %bb.56:
	s_or_b32 exec_lo, exec_lo, s5
.LBB338_57:
	s_wait_alu 0xfffe
	s_or_b32 exec_lo, exec_lo, s4
	v_cmp_ne_u32_e32 vcc_lo, 31, v42
	v_and_b32_e32 v4, 0xff, v7
	v_lshlrev_b32_e64 v28, v42, -1
	s_mov_b32 s4, exec_lo
	s_wait_alu 0xfffd
	v_add_co_ci_u32_e64 v3, null, 0, v42, vcc_lo
	v_cmp_eq_u16_e32 vcc_lo, 2, v4
	s_delay_alu instid0(VALU_DEP_2)
	v_dual_mov_b32 v4, v5 :: v_dual_lshlrev_b32 v27, 2, v3
	s_wait_alu 0xfffd
	v_and_or_b32 v3, vcc_lo, v28, 0x80000000
	ds_bpermute_b32 v22, v27, v5
	ds_bpermute_b32 v8, v27, v6
	v_ctz_i32_b32_e32 v3, v3
	s_delay_alu instid0(VALU_DEP_1)
	v_cmpx_lt_u32_e64 v42, v3
	s_cbranch_execz .LBB338_59
; %bb.58:
	s_wait_dscnt 0x1
	v_add_co_u32 v4, vcc_lo, v5, v22
	s_wait_alu 0xfffd
	v_add_co_ci_u32_e64 v6, null, 0, v6, vcc_lo
	s_delay_alu instid0(VALU_DEP_2) | instskip(SKIP_2) | instid1(VALU_DEP_2)
	v_add_co_u32 v5, vcc_lo, 0, v4
	s_wait_dscnt 0x0
	s_wait_alu 0xfffd
	v_add_co_ci_u32_e64 v6, null, v8, v6, vcc_lo
.LBB338_59:
	s_wait_alu 0xfffe
	s_or_b32 exec_lo, exec_lo, s4
	v_cmp_gt_u32_e32 vcc_lo, 30, v42
	v_add_nc_u32_e32 v30, 2, v42
	s_mov_b32 s4, exec_lo
	s_wait_dscnt 0x0
	s_wait_alu 0xfffd
	v_cndmask_b32_e64 v8, 0, 2, vcc_lo
	s_delay_alu instid0(VALU_DEP_1)
	v_add_lshl_u32 v29, v8, v42, 2
	ds_bpermute_b32 v22, v29, v4
	ds_bpermute_b32 v8, v29, v6
	v_cmpx_le_u32_e64 v30, v3
	s_cbranch_execz .LBB338_61
; %bb.60:
	s_wait_dscnt 0x1
	v_add_co_u32 v4, vcc_lo, v5, v22
	s_wait_alu 0xfffd
	v_add_co_ci_u32_e64 v6, null, 0, v6, vcc_lo
	s_delay_alu instid0(VALU_DEP_2) | instskip(SKIP_2) | instid1(VALU_DEP_2)
	v_add_co_u32 v5, vcc_lo, 0, v4
	s_wait_dscnt 0x0
	s_wait_alu 0xfffd
	v_add_co_ci_u32_e64 v6, null, v8, v6, vcc_lo
.LBB338_61:
	s_wait_alu 0xfffe
	s_or_b32 exec_lo, exec_lo, s4
	v_cmp_gt_u32_e32 vcc_lo, 28, v42
	v_add_nc_u32_e32 v45, 4, v42
	s_mov_b32 s4, exec_lo
	s_wait_dscnt 0x0
	s_wait_alu 0xfffd
	v_cndmask_b32_e64 v8, 0, 4, vcc_lo
	s_delay_alu instid0(VALU_DEP_1)
	v_add_lshl_u32 v44, v8, v42, 2
	ds_bpermute_b32 v22, v44, v4
	ds_bpermute_b32 v8, v44, v6
	v_cmpx_le_u32_e64 v45, v3
	;; [unrolled: 25-line block ×3, first 2 shown]
	s_cbranch_execz .LBB338_65
; %bb.64:
	s_wait_dscnt 0x1
	v_add_co_u32 v4, vcc_lo, v5, v22
	s_wait_alu 0xfffd
	v_add_co_ci_u32_e64 v6, null, 0, v6, vcc_lo
	s_delay_alu instid0(VALU_DEP_2) | instskip(SKIP_2) | instid1(VALU_DEP_2)
	v_add_co_u32 v5, vcc_lo, 0, v4
	s_wait_dscnt 0x0
	s_wait_alu 0xfffd
	v_add_co_ci_u32_e64 v6, null, v8, v6, vcc_lo
.LBB338_65:
	s_wait_alu 0xfffe
	s_or_b32 exec_lo, exec_lo, s4
	v_lshl_or_b32 v48, v42, 2, 64
	v_add_nc_u32_e32 v49, 16, v42
	s_mov_b32 s4, exec_lo
	s_wait_dscnt 0x0
	ds_bpermute_b32 v8, v48, v4
	ds_bpermute_b32 v4, v48, v6
	v_cmpx_le_u32_e64 v49, v3
	s_cbranch_execz .LBB338_67
; %bb.66:
	s_wait_dscnt 0x1
	v_add_co_u32 v3, vcc_lo, v5, v8
	s_wait_alu 0xfffd
	v_add_co_ci_u32_e64 v6, null, 0, v6, vcc_lo
	s_delay_alu instid0(VALU_DEP_2) | instskip(SKIP_2) | instid1(VALU_DEP_2)
	v_add_co_u32 v5, vcc_lo, v3, 0
	s_wait_dscnt 0x0
	s_wait_alu 0xfffd
	v_add_co_ci_u32_e64 v6, null, v6, v4, vcc_lo
.LBB338_67:
	s_wait_alu 0xfffe
	s_or_b32 exec_lo, exec_lo, s4
	v_mov_b32_e32 v22, 0
	s_branch .LBB338_70
.LBB338_68:                             ;   in Loop: Header=BB338_70 Depth=1
	s_wait_alu 0xfffe
	s_or_b32 exec_lo, exec_lo, s4
	v_add_co_u32 v5, vcc_lo, v5, v3
	v_subrev_nc_u32_e32 v21, 32, v21
	s_wait_alu 0xfffd
	v_add_co_ci_u32_e64 v6, null, v6, v4, vcc_lo
	s_mov_b32 s4, 0
.LBB338_69:                             ;   in Loop: Header=BB338_70 Depth=1
	s_wait_alu 0xfffe
	s_and_b32 vcc_lo, exec_lo, s4
	s_wait_alu 0xfffe
	s_cbranch_vccnz .LBB338_86
.LBB338_70:                             ; =>This Loop Header: Depth=1
                                        ;     Child Loop BB338_73 Depth 2
	v_and_b32_e32 v3, 0xff, v7
	s_mov_b32 s4, -1
	s_delay_alu instid0(VALU_DEP_1)
	v_cmp_ne_u16_e32 vcc_lo, 2, v3
	s_wait_dscnt 0x0
	v_dual_mov_b32 v3, v5 :: v_dual_mov_b32 v4, v6
                                        ; implicit-def: $vgpr5_vgpr6
	s_cmp_lg_u32 vcc_lo, exec_lo
	s_cbranch_scc1 .LBB338_69
; %bb.71:                               ;   in Loop: Header=BB338_70 Depth=1
	v_lshlrev_b64_e32 v[5:6], 4, v[21:22]
	s_mov_b32 s4, exec_lo
	s_delay_alu instid0(VALU_DEP_1) | instskip(SKIP_1) | instid1(VALU_DEP_2)
	v_add_co_u32 v23, vcc_lo, s14, v5
	s_wait_alu 0xfffd
	v_add_co_ci_u32_e64 v24, null, s15, v6, vcc_lo
	;;#ASMSTART
	global_load_b128 v[5:8], v[23:24] off scope:SCOPE_DEV	
s_wait_loadcnt 0x0
	;;#ASMEND
	v_and_b32_e32 v8, 0xff, v7
	s_delay_alu instid0(VALU_DEP_1)
	v_cmpx_eq_u16_e32 0, v8
	s_cbranch_execz .LBB338_75
; %bb.72:                               ;   in Loop: Header=BB338_70 Depth=1
	s_mov_b32 s5, 0
.LBB338_73:                             ;   Parent Loop BB338_70 Depth=1
                                        ; =>  This Inner Loop Header: Depth=2
	;;#ASMSTART
	global_load_b128 v[5:8], v[23:24] off scope:SCOPE_DEV	
s_wait_loadcnt 0x0
	;;#ASMEND
	v_and_b32_e32 v8, 0xff, v7
	s_delay_alu instid0(VALU_DEP_1)
	v_cmp_ne_u16_e32 vcc_lo, 0, v8
	s_wait_alu 0xfffe
	s_or_b32 s5, vcc_lo, s5
	s_wait_alu 0xfffe
	s_and_not1_b32 exec_lo, exec_lo, s5
	s_cbranch_execnz .LBB338_73
; %bb.74:                               ;   in Loop: Header=BB338_70 Depth=1
	s_or_b32 exec_lo, exec_lo, s5
.LBB338_75:                             ;   in Loop: Header=BB338_70 Depth=1
	s_wait_alu 0xfffe
	s_or_b32 exec_lo, exec_lo, s4
	v_dual_mov_b32 v23, v5 :: v_dual_and_b32 v8, 0xff, v7
	ds_bpermute_b32 v50, v27, v5
	ds_bpermute_b32 v24, v27, v6
	s_mov_b32 s4, exec_lo
	v_cmp_eq_u16_e32 vcc_lo, 2, v8
	s_wait_alu 0xfffd
	v_and_or_b32 v8, vcc_lo, v28, 0x80000000
	s_delay_alu instid0(VALU_DEP_1) | instskip(NEXT) | instid1(VALU_DEP_1)
	v_ctz_i32_b32_e32 v8, v8
	v_cmpx_lt_u32_e64 v42, v8
	s_cbranch_execz .LBB338_77
; %bb.76:                               ;   in Loop: Header=BB338_70 Depth=1
	s_wait_dscnt 0x1
	v_add_co_u32 v23, vcc_lo, v5, v50
	s_wait_alu 0xfffd
	v_add_co_ci_u32_e64 v6, null, 0, v6, vcc_lo
	s_delay_alu instid0(VALU_DEP_2) | instskip(SKIP_2) | instid1(VALU_DEP_2)
	v_add_co_u32 v5, vcc_lo, 0, v23
	s_wait_dscnt 0x0
	s_wait_alu 0xfffd
	v_add_co_ci_u32_e64 v6, null, v24, v6, vcc_lo
.LBB338_77:                             ;   in Loop: Header=BB338_70 Depth=1
	s_wait_alu 0xfffe
	s_or_b32 exec_lo, exec_lo, s4
	s_wait_dscnt 0x1
	ds_bpermute_b32 v50, v29, v23
	s_wait_dscnt 0x1
	ds_bpermute_b32 v24, v29, v6
	s_mov_b32 s4, exec_lo
	v_cmpx_le_u32_e64 v30, v8
	s_cbranch_execz .LBB338_79
; %bb.78:                               ;   in Loop: Header=BB338_70 Depth=1
	s_wait_dscnt 0x1
	v_add_co_u32 v23, vcc_lo, v5, v50
	s_wait_alu 0xfffd
	v_add_co_ci_u32_e64 v6, null, 0, v6, vcc_lo
	s_delay_alu instid0(VALU_DEP_2) | instskip(SKIP_2) | instid1(VALU_DEP_2)
	v_add_co_u32 v5, vcc_lo, 0, v23
	s_wait_dscnt 0x0
	s_wait_alu 0xfffd
	v_add_co_ci_u32_e64 v6, null, v24, v6, vcc_lo
.LBB338_79:                             ;   in Loop: Header=BB338_70 Depth=1
	s_wait_alu 0xfffe
	s_or_b32 exec_lo, exec_lo, s4
	s_wait_dscnt 0x1
	ds_bpermute_b32 v50, v44, v23
	s_wait_dscnt 0x1
	ds_bpermute_b32 v24, v44, v6
	s_mov_b32 s4, exec_lo
	v_cmpx_le_u32_e64 v45, v8
	;; [unrolled: 20-line block ×3, first 2 shown]
	s_cbranch_execz .LBB338_83
; %bb.82:                               ;   in Loop: Header=BB338_70 Depth=1
	s_wait_dscnt 0x1
	v_add_co_u32 v23, vcc_lo, v5, v50
	s_wait_alu 0xfffd
	v_add_co_ci_u32_e64 v6, null, 0, v6, vcc_lo
	s_delay_alu instid0(VALU_DEP_2) | instskip(SKIP_2) | instid1(VALU_DEP_2)
	v_add_co_u32 v5, vcc_lo, 0, v23
	s_wait_dscnt 0x0
	s_wait_alu 0xfffd
	v_add_co_ci_u32_e64 v6, null, v24, v6, vcc_lo
.LBB338_83:                             ;   in Loop: Header=BB338_70 Depth=1
	s_wait_alu 0xfffe
	s_or_b32 exec_lo, exec_lo, s4
	s_wait_dscnt 0x0
	ds_bpermute_b32 v24, v48, v23
	ds_bpermute_b32 v23, v48, v6
	s_mov_b32 s4, exec_lo
	v_cmpx_le_u32_e64 v49, v8
	s_cbranch_execz .LBB338_68
; %bb.84:                               ;   in Loop: Header=BB338_70 Depth=1
	s_wait_dscnt 0x1
	v_add_co_u32 v5, vcc_lo, v5, v24
	s_wait_alu 0xfffd
	v_add_co_ci_u32_e64 v6, null, 0, v6, vcc_lo
	s_delay_alu instid0(VALU_DEP_2) | instskip(SKIP_2) | instid1(VALU_DEP_2)
	v_add_co_u32 v5, vcc_lo, v5, 0
	s_wait_dscnt 0x0
	s_wait_alu 0xfffd
	v_add_co_ci_u32_e64 v6, null, v6, v23, vcc_lo
	s_branch .LBB338_68
.LBB338_85:
                                        ; implicit-def: $vgpr19_vgpr20
                                        ; implicit-def: $vgpr6_vgpr7
                                        ; implicit-def: $vgpr21_vgpr22
                                        ; implicit-def: $vgpr23_vgpr24
                                        ; implicit-def: $vgpr25_vgpr26
                                        ; implicit-def: $vgpr27_vgpr28
                                        ; implicit-def: $vgpr29_vgpr30
                                        ; implicit-def: $vgpr4_vgpr5
	s_wait_alu 0xfffe
	s_and_b32 vcc_lo, exec_lo, s1
	s_wait_alu 0xfffe
	s_cbranch_vccnz .LBB338_91
	s_branch .LBB338_118
.LBB338_86:
	s_and_saveexec_b32 s4, s1
	s_cbranch_execz .LBB338_88
; %bb.87:
	s_add_co_i32 s16, s18, 32
	s_mov_b32 s17, 0
	v_add_co_u32 v5, vcc_lo, v3, v1
	s_wait_alu 0xfffe
	s_lshl_b64 s[16:17], s[16:17], 4
	v_dual_mov_b32 v7, 2 :: v_dual_mov_b32 v8, 0
	s_wait_alu 0xfffe
	s_add_nc_u64 s[16:17], s[14:15], s[16:17]
	s_wait_alu 0xfffd
	v_add_co_ci_u32_e64 v6, null, v4, v2, vcc_lo
	s_wait_alu 0xfffe
	v_dual_mov_b32 v22, s17 :: v_dual_mov_b32 v21, s16
	;;#ASMSTART
	global_store_b128 v[21:22], v[5:8] off scope:SCOPE_DEV	
s_wait_storecnt 0x0
	;;#ASMEND
	ds_store_b128 v8, v[1:4] offset:10752
.LBB338_88:
	s_wait_alu 0xfffe
	s_or_b32 exec_lo, exec_lo, s4
	s_delay_alu instid0(SALU_CYCLE_1)
	s_and_b32 exec_lo, exec_lo, s2
; %bb.89:
	v_mov_b32_e32 v1, 0
	ds_store_b64 v1, v[3:4] offset:88
.LBB338_90:
	s_wait_alu 0xfffe
	s_or_b32 exec_lo, exec_lo, s3
	v_mov_b32_e32 v3, 0
	s_wait_loadcnt_dscnt 0x0
	s_barrier_signal -1
	s_barrier_wait -1
	global_inv scope:SCOPE_SE
	ds_load_b64 v[1:2], v3 offset:88
	v_cndmask_b32_e64 v4, v25, v19, s1
	v_cndmask_b32_e64 v5, v26, v20, s1
	s_wait_loadcnt_dscnt 0x0
	s_barrier_signal -1
	s_barrier_wait -1
	v_cndmask_b32_e64 v4, v4, 0, s2
	v_cndmask_b32_e64 v5, v5, 0, s2
	global_inv scope:SCOPE_SE
	v_add_co_u32 v29, vcc_lo, v1, v4
	s_wait_alu 0xfffd
	v_add_co_ci_u32_e64 v30, null, v2, v5, vcc_lo
	ds_load_b128 v[2:5], v3 offset:10752
	v_add_co_u32 v27, vcc_lo, v29, v39
	s_wait_alu 0xfffd
	v_add_co_ci_u32_e64 v28, null, 0, v30, vcc_lo
	s_delay_alu instid0(VALU_DEP_2) | instskip(SKIP_1) | instid1(VALU_DEP_2)
	v_add_co_u32 v25, vcc_lo, v27, v38
	s_wait_alu 0xfffd
	v_add_co_ci_u32_e64 v26, null, 0, v28, vcc_lo
	s_delay_alu instid0(VALU_DEP_2) | instskip(SKIP_1) | instid1(VALU_DEP_2)
	;; [unrolled: 4-line block ×5, first 2 shown]
	v_add_co_u32 v19, vcc_lo, v6, v37
	s_wait_alu 0xfffd
	v_add_co_ci_u32_e64 v20, null, 0, v7, vcc_lo
	s_branch .LBB338_118
.LBB338_91:
	s_wait_dscnt 0x0
	v_dual_mov_b32 v2, 0 :: v_dual_mov_b32 v3, v17
	v_mov_b32_dpp v4, v17 row_shr:1 row_mask:0xf bank_mask:0xf
	s_delay_alu instid0(VALU_DEP_2)
	v_mov_b32_dpp v1, v2 row_shr:1 row_mask:0xf bank_mask:0xf
	s_and_saveexec_b32 s1, s0
; %bb.92:
	s_delay_alu instid0(VALU_DEP_2) | instskip(SKIP_2) | instid1(VALU_DEP_2)
	v_add_co_u32 v3, vcc_lo, v17, v4
	s_wait_alu 0xfffd
	v_add_co_ci_u32_e64 v2, null, 0, v18, vcc_lo
	v_add_co_u32 v17, vcc_lo, 0, v3
	s_wait_alu 0xfffd
	s_delay_alu instid0(VALU_DEP_2) | instskip(NEXT) | instid1(VALU_DEP_1)
	v_add_co_ci_u32_e64 v18, null, v1, v2, vcc_lo
	v_mov_b32_e32 v2, v18
; %bb.93:
	s_wait_alu 0xfffe
	s_or_b32 exec_lo, exec_lo, s1
	v_mov_b32_dpp v1, v3 row_shr:2 row_mask:0xf bank_mask:0xf
	s_delay_alu instid0(VALU_DEP_2)
	v_mov_b32_dpp v4, v2 row_shr:2 row_mask:0xf bank_mask:0xf
	v_cmp_lt_u32_e32 vcc_lo, 1, v43
	s_and_saveexec_b32 s3, vcc_lo
; %bb.94:
	s_delay_alu instid0(VALU_DEP_3) | instskip(SKIP_2) | instid1(VALU_DEP_2)
	v_add_co_u32 v3, s1, v17, v1
	s_wait_alu 0xf1ff
	v_add_co_ci_u32_e64 v2, null, 0, v18, s1
	v_add_co_u32 v1, s1, 0, v3
	s_wait_alu 0xf1ff
	s_delay_alu instid0(VALU_DEP_2) | instskip(NEXT) | instid1(VALU_DEP_1)
	v_add_co_ci_u32_e64 v2, null, v4, v2, s1
	v_dual_mov_b32 v18, v2 :: v_dual_mov_b32 v17, v1
; %bb.95:
	s_wait_alu 0xfffe
	s_or_b32 exec_lo, exec_lo, s3
	v_mov_b32_dpp v1, v3 row_shr:4 row_mask:0xf bank_mask:0xf
	v_mov_b32_dpp v4, v2 row_shr:4 row_mask:0xf bank_mask:0xf
	v_cmp_lt_u32_e64 s1, 3, v43
	s_and_saveexec_b32 s4, s1
; %bb.96:
	v_add_co_u32 v3, s3, v17, v1
	s_wait_alu 0xf1ff
	v_add_co_ci_u32_e64 v2, null, 0, v18, s3
	s_delay_alu instid0(VALU_DEP_2) | instskip(SKIP_1) | instid1(VALU_DEP_2)
	v_add_co_u32 v1, s3, 0, v3
	s_wait_alu 0xf1ff
	v_add_co_ci_u32_e64 v2, null, v4, v2, s3
	s_delay_alu instid0(VALU_DEP_1)
	v_dual_mov_b32 v18, v2 :: v_dual_mov_b32 v17, v1
; %bb.97:
	s_wait_alu 0xfffe
	s_or_b32 exec_lo, exec_lo, s4
	v_mov_b32_dpp v4, v3 row_shr:8 row_mask:0xf bank_mask:0xf
	v_mov_b32_dpp v1, v2 row_shr:8 row_mask:0xf bank_mask:0xf
	v_cmp_lt_u32_e64 s3, 7, v43
	s_and_saveexec_b32 s5, s3
; %bb.98:
	v_add_co_u32 v3, s4, v17, v4
	s_wait_alu 0xf1ff
	v_add_co_ci_u32_e64 v2, null, 0, v18, s4
	s_delay_alu instid0(VALU_DEP_2) | instskip(SKIP_1) | instid1(VALU_DEP_2)
	v_add_co_u32 v17, s4, 0, v3
	s_wait_alu 0xf1ff
	v_add_co_ci_u32_e64 v18, null, v1, v2, s4
	s_delay_alu instid0(VALU_DEP_1)
	v_mov_b32_e32 v2, v18
; %bb.99:
	s_wait_alu 0xfffe
	s_or_b32 exec_lo, exec_lo, s5
	ds_swizzle_b32 v3, v3 offset:swizzle(BROADCAST,32,15)
	ds_swizzle_b32 v1, v2 offset:swizzle(BROADCAST,32,15)
	v_and_b32_e32 v2, 16, v42
	s_mov_b32 s5, exec_lo
	s_delay_alu instid0(VALU_DEP_1)
	v_cmpx_ne_u32_e32 0, v2
	s_cbranch_execz .LBB338_101
; %bb.100:
	s_wait_dscnt 0x1
	v_add_co_u32 v2, s4, v17, v3
	s_wait_alu 0xf1ff
	v_add_co_ci_u32_e64 v3, null, 0, v18, s4
	s_delay_alu instid0(VALU_DEP_2) | instskip(SKIP_2) | instid1(VALU_DEP_2)
	v_add_co_u32 v17, s4, v2, 0
	s_wait_dscnt 0x0
	s_wait_alu 0xf1ff
	v_add_co_ci_u32_e64 v18, null, v3, v1, s4
.LBB338_101:
	s_wait_alu 0xfffe
	s_or_b32 exec_lo, exec_lo, s5
	s_wait_dscnt 0x0
	v_and_b32_e32 v1, 0x1e0, v0
	v_lshrrev_b32_e32 v3, 5, v0
	s_mov_b32 s5, exec_lo
	s_delay_alu instid0(VALU_DEP_2) | instskip(NEXT) | instid1(VALU_DEP_1)
	v_min_u32_e32 v1, 0x160, v1
	v_or_b32_e32 v1, 31, v1
	s_delay_alu instid0(VALU_DEP_1)
	v_cmpx_eq_u32_e64 v0, v1
; %bb.102:
	v_lshlrev_b32_e32 v1, 3, v3
	ds_store_b64 v1, v[17:18]
; %bb.103:
	s_wait_alu 0xfffe
	s_or_b32 exec_lo, exec_lo, s5
	s_delay_alu instid0(SALU_CYCLE_1)
	s_mov_b32 s5, exec_lo
	s_wait_loadcnt_dscnt 0x0
	s_barrier_signal -1
	s_barrier_wait -1
	global_inv scope:SCOPE_SE
	v_cmpx_gt_u32_e32 12, v0
	s_cbranch_execz .LBB338_113
; %bb.104:
	v_mad_i32_i24 v1, 0xffffffec, v0, v32
	ds_load_b64 v[1:2], v1
	s_wait_dscnt 0x0
	v_mov_b32_dpp v6, v1 row_shr:1 row_mask:0xf bank_mask:0xf
	v_mov_b32_dpp v5, v2 row_shr:1 row_mask:0xf bank_mask:0xf
	v_mov_b32_e32 v4, v1
	s_and_saveexec_b32 s4, s0
; %bb.105:
	s_delay_alu instid0(VALU_DEP_3) | instskip(SKIP_2) | instid1(VALU_DEP_2)
	v_add_co_u32 v4, s0, v1, v6
	s_wait_alu 0xf1ff
	v_add_co_ci_u32_e64 v2, null, 0, v2, s0
	v_add_co_u32 v1, s0, 0, v4
	s_wait_alu 0xf1ff
	s_delay_alu instid0(VALU_DEP_2)
	v_add_co_ci_u32_e64 v2, null, v5, v2, s0
; %bb.106:
	s_wait_alu 0xfffe
	s_or_b32 exec_lo, exec_lo, s4
	v_mov_b32_dpp v6, v4 row_shr:2 row_mask:0xf bank_mask:0xf
	s_delay_alu instid0(VALU_DEP_2)
	v_mov_b32_dpp v5, v2 row_shr:2 row_mask:0xf bank_mask:0xf
	s_and_saveexec_b32 s0, vcc_lo
; %bb.107:
	s_delay_alu instid0(VALU_DEP_2) | instskip(SKIP_2) | instid1(VALU_DEP_2)
	v_add_co_u32 v4, vcc_lo, v1, v6
	s_wait_alu 0xfffd
	v_add_co_ci_u32_e64 v2, null, 0, v2, vcc_lo
	v_add_co_u32 v1, vcc_lo, 0, v4
	s_wait_alu 0xfffd
	s_delay_alu instid0(VALU_DEP_2)
	v_add_co_ci_u32_e64 v2, null, v5, v2, vcc_lo
; %bb.108:
	s_wait_alu 0xfffe
	s_or_b32 exec_lo, exec_lo, s0
	v_mov_b32_dpp v6, v4 row_shr:4 row_mask:0xf bank_mask:0xf
	s_delay_alu instid0(VALU_DEP_2)
	v_mov_b32_dpp v5, v2 row_shr:4 row_mask:0xf bank_mask:0xf
	s_and_saveexec_b32 s0, s1
; %bb.109:
	s_delay_alu instid0(VALU_DEP_2) | instskip(SKIP_2) | instid1(VALU_DEP_2)
	v_add_co_u32 v4, vcc_lo, v1, v6
	s_wait_alu 0xfffd
	v_add_co_ci_u32_e64 v2, null, 0, v2, vcc_lo
	v_add_co_u32 v1, vcc_lo, 0, v4
	s_wait_alu 0xfffd
	s_delay_alu instid0(VALU_DEP_2)
	v_add_co_ci_u32_e64 v2, null, v5, v2, vcc_lo
; %bb.110:
	s_wait_alu 0xfffe
	s_or_b32 exec_lo, exec_lo, s0
	v_mul_i32_i24_e32 v5, 0xffffffec, v0
	v_mov_b32_dpp v6, v4 row_shr:8 row_mask:0xf bank_mask:0xf
	v_mov_b32_dpp v4, v2 row_shr:8 row_mask:0xf bank_mask:0xf
	s_and_saveexec_b32 s0, s3
; %bb.111:
	s_delay_alu instid0(VALU_DEP_2) | instskip(SKIP_2) | instid1(VALU_DEP_2)
	v_add_co_u32 v1, vcc_lo, v1, v6
	s_wait_alu 0xfffd
	v_add_co_ci_u32_e64 v2, null, 0, v2, vcc_lo
	v_add_co_u32 v1, vcc_lo, v1, 0
	s_wait_alu 0xfffd
	s_delay_alu instid0(VALU_DEP_2)
	v_add_co_ci_u32_e64 v2, null, v2, v4, vcc_lo
; %bb.112:
	s_wait_alu 0xfffe
	s_or_b32 exec_lo, exec_lo, s0
	v_add_nc_u32_e32 v4, v32, v5
	ds_store_b64 v4, v[1:2]
.LBB338_113:
	s_wait_alu 0xfffe
	s_or_b32 exec_lo, exec_lo, s5
	v_mov_b32_e32 v6, 0
	v_mov_b32_e32 v7, 0
	s_mov_b32 s0, exec_lo
	s_wait_loadcnt_dscnt 0x0
	s_barrier_signal -1
	s_barrier_wait -1
	global_inv scope:SCOPE_SE
	v_cmpx_lt_u32_e32 31, v0
; %bb.114:
	v_lshl_add_u32 v1, v3, 3, -8
	ds_load_b64 v[6:7], v1
; %bb.115:
	s_wait_alu 0xfffe
	s_or_b32 exec_lo, exec_lo, s0
	v_sub_co_u32 v1, vcc_lo, v42, 1
	v_mov_b32_e32 v5, 0
	s_delay_alu instid0(VALU_DEP_2) | instskip(SKIP_1) | instid1(VALU_DEP_1)
	v_cmp_gt_i32_e64 s0, 0, v1
	s_wait_alu 0xf1ff
	v_cndmask_b32_e64 v1, v1, v42, s0
	s_delay_alu instid0(VALU_DEP_1)
	v_lshlrev_b32_e32 v2, 2, v1
	s_wait_dscnt 0x0
	v_add_co_u32 v1, s0, v6, v17
	s_wait_alu 0xf1ff
	v_add_co_ci_u32_e64 v3, null, v7, v18, s0
	ds_bpermute_b32 v1, v2, v1
	ds_bpermute_b32 v8, v2, v3
	ds_load_b64 v[2:3], v5 offset:88
	s_and_saveexec_b32 s0, s2
	s_cbranch_execz .LBB338_117
; %bb.116:
	s_add_nc_u64 s[4:5], s[14:15], 0x200
	v_mov_b32_e32 v4, 2
	s_wait_alu 0xfffe
	v_dual_mov_b32 v18, s5 :: v_dual_mov_b32 v17, s4
	s_wait_dscnt 0x0
	;;#ASMSTART
	global_store_b128 v[17:18], v[2:5] off scope:SCOPE_DEV	
s_wait_storecnt 0x0
	;;#ASMEND
.LBB338_117:
	s_wait_alu 0xfffe
	s_or_b32 exec_lo, exec_lo, s0
	s_wait_dscnt 0x1
	s_wait_alu 0xfffd
	v_dual_cndmask_b32 v1, v1, v6 :: v_dual_cndmask_b32 v4, v8, v7
	s_wait_loadcnt_dscnt 0x0
	s_barrier_signal -1
	s_barrier_wait -1
	s_delay_alu instid0(VALU_DEP_1)
	v_cndmask_b32_e64 v29, v1, 0, s2
	v_cndmask_b32_e64 v30, v4, 0, s2
	v_mov_b32_e32 v4, 0
	v_mov_b32_e32 v5, 0
	global_inv scope:SCOPE_SE
	v_add_co_u32 v27, vcc_lo, v29, v39
	s_wait_alu 0xfffd
	v_add_co_ci_u32_e64 v28, null, 0, v30, vcc_lo
	s_delay_alu instid0(VALU_DEP_2) | instskip(SKIP_1) | instid1(VALU_DEP_2)
	v_add_co_u32 v25, vcc_lo, v27, v38
	s_wait_alu 0xfffd
	v_add_co_ci_u32_e64 v26, null, 0, v28, vcc_lo
	s_delay_alu instid0(VALU_DEP_2) | instskip(SKIP_1) | instid1(VALU_DEP_2)
	;; [unrolled: 4-line block ×5, first 2 shown]
	v_add_co_u32 v19, vcc_lo, v6, v37
	s_wait_alu 0xfffd
	v_add_co_ci_u32_e64 v20, null, 0, v7, vcc_lo
.LBB338_118:
	v_and_b32_e32 v37, 1, v31
	s_wait_dscnt 0x0
	v_cmp_gt_u64_e32 vcc_lo, 0x181, v[2:3]
	v_lshlrev_b64_e32 v[17:18], 2, v[9:10]
	v_lshrrev_b32_e32 v8, 8, v31
	v_lshrrev_b32_e32 v1, 16, v31
	v_cmp_eq_u32_e64 s0, 1, v37
	s_mov_b32 s1, -1
	s_cbranch_vccnz .LBB338_122
; %bb.119:
	s_wait_alu 0xfffe
	s_and_b32 vcc_lo, exec_lo, s1
	s_wait_alu 0xfffe
	s_cbranch_vccnz .LBB338_137
.LBB338_120:
	s_and_b32 s0, s2, s7
	s_wait_alu 0xfffe
	s_and_saveexec_b32 s1, s0
	s_cbranch_execnz .LBB338_154
.LBB338_121:
	s_endpgm
.LBB338_122:
	v_add_co_u32 v31, vcc_lo, v4, v2
	s_wait_alu 0xfffd
	v_add_co_ci_u32_e64 v32, null, v5, v3, vcc_lo
	v_add_co_u32 v38, s1, s12, v17
	s_wait_alu 0xf1fe
	v_add_co_ci_u32_e64 v39, null, s13, v18, s1
	s_delay_alu instid0(VALU_DEP_3)
	v_cmp_lt_u64_e32 vcc_lo, v[29:30], v[31:32]
	s_or_b32 s1, s10, vcc_lo
	s_wait_alu 0xfffe
	s_and_b32 s1, s1, s0
	s_wait_alu 0xfffe
	s_and_saveexec_b32 s0, s1
	s_cbranch_execz .LBB338_124
; %bb.123:
	v_lshlrev_b64_e32 v[40:41], 2, v[29:30]
	s_delay_alu instid0(VALU_DEP_1) | instskip(SKIP_1) | instid1(VALU_DEP_2)
	v_add_co_u32 v40, vcc_lo, v38, v40
	s_wait_alu 0xfffd
	v_add_co_ci_u32_e64 v41, null, v39, v41, vcc_lo
	global_store_b32 v[40:41], v15, off
.LBB338_124:
	s_wait_alu 0xfffe
	s_or_b32 exec_lo, exec_lo, s0
	v_and_b32_e32 v30, 1, v8
	v_cmp_lt_u64_e32 vcc_lo, v[27:28], v[31:32]
	s_delay_alu instid0(VALU_DEP_2)
	v_cmp_eq_u32_e64 s0, 1, v30
	s_or_b32 s1, s10, vcc_lo
	s_wait_alu 0xfffe
	s_and_b32 s1, s1, s0
	s_wait_alu 0xfffe
	s_and_saveexec_b32 s0, s1
	s_cbranch_execz .LBB338_126
; %bb.125:
	v_lshlrev_b64_e32 v[40:41], 2, v[27:28]
	s_delay_alu instid0(VALU_DEP_1) | instskip(SKIP_1) | instid1(VALU_DEP_2)
	v_add_co_u32 v40, vcc_lo, v38, v40
	s_wait_alu 0xfffd
	v_add_co_ci_u32_e64 v41, null, v39, v41, vcc_lo
	global_store_b32 v[40:41], v16, off
.LBB338_126:
	s_wait_alu 0xfffe
	s_or_b32 exec_lo, exec_lo, s0
	v_and_b32_e32 v28, 1, v1
	v_cmp_lt_u64_e32 vcc_lo, v[25:26], v[31:32]
	s_delay_alu instid0(VALU_DEP_2)
	v_cmp_eq_u32_e64 s0, 1, v28
	;; [unrolled: 20-line block ×5, first 2 shown]
	s_or_b32 s1, s10, vcc_lo
	s_wait_alu 0xfffe
	s_and_b32 s1, s1, s0
	s_wait_alu 0xfffe
	s_and_saveexec_b32 s0, s1
	s_cbranch_execz .LBB338_134
; %bb.133:
	v_lshlrev_b64_e32 v[40:41], 2, v[6:7]
	s_delay_alu instid0(VALU_DEP_1) | instskip(SKIP_1) | instid1(VALU_DEP_2)
	v_add_co_u32 v40, vcc_lo, v38, v40
	s_wait_alu 0xfffd
	v_add_co_ci_u32_e64 v41, null, v39, v41, vcc_lo
	global_store_b32 v[40:41], v12, off
.LBB338_134:
	s_wait_alu 0xfffe
	s_or_b32 exec_lo, exec_lo, s0
	v_cmp_lt_u64_e32 vcc_lo, v[19:20], v[31:32]
	s_or_b32 s0, s10, vcc_lo
	s_wait_alu 0xfffe
	s_and_b32 s1, s0, s11
	s_wait_alu 0xfffe
	s_and_saveexec_b32 s0, s1
	s_cbranch_execz .LBB338_136
; %bb.135:
	v_lshlrev_b64_e32 v[30:31], 2, v[19:20]
	s_delay_alu instid0(VALU_DEP_1) | instskip(SKIP_1) | instid1(VALU_DEP_2)
	v_add_co_u32 v30, vcc_lo, v38, v30
	s_wait_alu 0xfffd
	v_add_co_ci_u32_e64 v31, null, v39, v31, vcc_lo
	global_store_b32 v[30:31], v33, off
.LBB338_136:
	s_wait_alu 0xfffe
	s_or_b32 exec_lo, exec_lo, s0
	s_branch .LBB338_120
.LBB338_137:
	s_mov_b32 s0, exec_lo
	v_cmpx_eq_u32_e32 1, v37
; %bb.138:
	v_sub_nc_u32_e32 v7, v29, v4
	s_delay_alu instid0(VALU_DEP_1)
	v_lshlrev_b32_e32 v7, 2, v7
	ds_store_b32 v7, v15
; %bb.139:
	s_wait_alu 0xfffe
	s_or_b32 exec_lo, exec_lo, s0
	v_and_b32_e32 v7, 1, v8
	s_mov_b32 s0, exec_lo
	s_delay_alu instid0(VALU_DEP_1)
	v_cmpx_eq_u32_e32 1, v7
; %bb.140:
	v_sub_nc_u32_e32 v7, v27, v4
	s_delay_alu instid0(VALU_DEP_1)
	v_lshlrev_b32_e32 v7, 2, v7
	ds_store_b32 v7, v16
; %bb.141:
	s_wait_alu 0xfffe
	s_or_b32 exec_lo, exec_lo, s0
	v_and_b32_e32 v1, 1, v1
	s_mov_b32 s0, exec_lo
	s_delay_alu instid0(VALU_DEP_1)
	;; [unrolled: 12-line block ×5, first 2 shown]
	v_cmpx_eq_u32_e32 1, v1
; %bb.148:
	v_sub_nc_u32_e32 v1, v6, v4
	s_delay_alu instid0(VALU_DEP_1)
	v_lshlrev_b32_e32 v1, 2, v1
	ds_store_b32 v1, v12
; %bb.149:
	s_wait_alu 0xfffe
	s_or_b32 exec_lo, exec_lo, s0
	s_and_saveexec_b32 s0, s11
; %bb.150:
	v_sub_nc_u32_e32 v1, v19, v4
	s_delay_alu instid0(VALU_DEP_1)
	v_lshlrev_b32_e32 v1, 2, v1
	ds_store_b32 v1, v33
; %bb.151:
	s_wait_alu 0xfffe
	s_or_b32 exec_lo, exec_lo, s0
	v_lshlrev_b64_e32 v[6:7], 2, v[4:5]
	v_mov_b32_e32 v1, 0
	s_mov_b32 s1, 0
	s_wait_storecnt 0x0
	s_wait_loadcnt_dscnt 0x0
	s_barrier_signal -1
	s_barrier_wait -1
	v_add_co_u32 v8, vcc_lo, s12, v6
	s_wait_alu 0xfffd
	v_add_co_ci_u32_e64 v11, null, s13, v7, vcc_lo
	v_dual_mov_b32 v7, v1 :: v_dual_mov_b32 v6, v0
	s_delay_alu instid0(VALU_DEP_3) | instskip(SKIP_1) | instid1(VALU_DEP_3)
	v_add_co_u32 v8, vcc_lo, v8, v17
	s_wait_alu 0xfffd
	v_add_co_ci_u32_e64 v11, null, v11, v18, vcc_lo
	v_add_nc_u32_e32 v0, 0x180, v0
	global_inv scope:SCOPE_SE
.LBB338_152:                            ; =>This Inner Loop Header: Depth=1
	v_lshlrev_b32_e32 v12, 2, v6
	v_cmp_le_u64_e32 vcc_lo, v[2:3], v[0:1]
	ds_load_b32 v14, v12
	v_lshlrev_b64_e32 v[12:13], 2, v[6:7]
	v_dual_mov_b32 v7, v1 :: v_dual_mov_b32 v6, v0
	v_add_nc_u32_e32 v0, 0x180, v0
	s_wait_alu 0xfffe
	s_or_b32 s1, vcc_lo, s1
	s_delay_alu instid0(VALU_DEP_3)
	v_add_co_u32 v12, s0, v8, v12
	s_wait_alu 0xf1ff
	v_add_co_ci_u32_e64 v13, null, v11, v13, s0
	s_wait_dscnt 0x0
	global_store_b32 v[12:13], v14, off
	s_wait_alu 0xfffe
	s_and_not1_b32 exec_lo, exec_lo, s1
	s_cbranch_execnz .LBB338_152
; %bb.153:
	s_or_b32 exec_lo, exec_lo, s1
	s_and_b32 s0, s2, s7
	s_wait_alu 0xfffe
	s_and_saveexec_b32 s1, s0
	s_cbranch_execz .LBB338_121
.LBB338_154:
	v_add_co_u32 v0, vcc_lo, v4, v2
	s_wait_alu 0xfffd
	v_add_co_ci_u32_e64 v1, null, v5, v3, vcc_lo
	v_mov_b32_e32 v2, 0
	s_delay_alu instid0(VALU_DEP_3) | instskip(SKIP_1) | instid1(VALU_DEP_3)
	v_add_co_u32 v0, vcc_lo, v0, v9
	s_wait_alu 0xfffd
	v_add_co_ci_u32_e64 v1, null, v1, v10, vcc_lo
	global_store_b64 v2, v[0:1], s[8:9]
	s_endpgm
	.section	.rodata,"a",@progbits
	.p2align	6, 0x0
	.amdhsa_kernel _ZN7rocprim17ROCPRIM_400000_NS6detail17trampoline_kernelINS0_14default_configENS1_25partition_config_selectorILNS1_17partition_subalgoE6EfNS0_10empty_typeEbEEZZNS1_14partition_implILS5_6ELb0ES3_mN6thrust23THRUST_200600_302600_NS6detail15normal_iteratorINSA_10device_ptrIfEEEEPS6_SG_NS0_5tupleIJSF_S6_EEENSH_IJSG_SG_EEES6_PlJNSB_9not_fun_tINSB_14equal_to_valueIfEEEEEEE10hipError_tPvRmT3_T4_T5_T6_T7_T9_mT8_P12ihipStream_tbDpT10_ENKUlT_T0_E_clISt17integral_constantIbLb0EES17_IbLb1EEEEDaS13_S14_EUlS13_E_NS1_11comp_targetILNS1_3genE10ELNS1_11target_archE1200ELNS1_3gpuE4ELNS1_3repE0EEENS1_30default_config_static_selectorELNS0_4arch9wavefront6targetE0EEEvT1_
		.amdhsa_group_segment_fixed_size 10768
		.amdhsa_private_segment_fixed_size 0
		.amdhsa_kernarg_size 128
		.amdhsa_user_sgpr_count 2
		.amdhsa_user_sgpr_dispatch_ptr 0
		.amdhsa_user_sgpr_queue_ptr 0
		.amdhsa_user_sgpr_kernarg_segment_ptr 1
		.amdhsa_user_sgpr_dispatch_id 0
		.amdhsa_user_sgpr_private_segment_size 0
		.amdhsa_wavefront_size32 1
		.amdhsa_uses_dynamic_stack 0
		.amdhsa_enable_private_segment 0
		.amdhsa_system_sgpr_workgroup_id_x 1
		.amdhsa_system_sgpr_workgroup_id_y 0
		.amdhsa_system_sgpr_workgroup_id_z 0
		.amdhsa_system_sgpr_workgroup_info 0
		.amdhsa_system_vgpr_workitem_id 0
		.amdhsa_next_free_vgpr 51
		.amdhsa_next_free_sgpr 21
		.amdhsa_reserve_vcc 1
		.amdhsa_float_round_mode_32 0
		.amdhsa_float_round_mode_16_64 0
		.amdhsa_float_denorm_mode_32 3
		.amdhsa_float_denorm_mode_16_64 3
		.amdhsa_fp16_overflow 0
		.amdhsa_workgroup_processor_mode 1
		.amdhsa_memory_ordered 1
		.amdhsa_forward_progress 1
		.amdhsa_inst_pref_size 60
		.amdhsa_round_robin_scheduling 0
		.amdhsa_exception_fp_ieee_invalid_op 0
		.amdhsa_exception_fp_denorm_src 0
		.amdhsa_exception_fp_ieee_div_zero 0
		.amdhsa_exception_fp_ieee_overflow 0
		.amdhsa_exception_fp_ieee_underflow 0
		.amdhsa_exception_fp_ieee_inexact 0
		.amdhsa_exception_int_div_zero 0
	.end_amdhsa_kernel
	.section	.text._ZN7rocprim17ROCPRIM_400000_NS6detail17trampoline_kernelINS0_14default_configENS1_25partition_config_selectorILNS1_17partition_subalgoE6EfNS0_10empty_typeEbEEZZNS1_14partition_implILS5_6ELb0ES3_mN6thrust23THRUST_200600_302600_NS6detail15normal_iteratorINSA_10device_ptrIfEEEEPS6_SG_NS0_5tupleIJSF_S6_EEENSH_IJSG_SG_EEES6_PlJNSB_9not_fun_tINSB_14equal_to_valueIfEEEEEEE10hipError_tPvRmT3_T4_T5_T6_T7_T9_mT8_P12ihipStream_tbDpT10_ENKUlT_T0_E_clISt17integral_constantIbLb0EES17_IbLb1EEEEDaS13_S14_EUlS13_E_NS1_11comp_targetILNS1_3genE10ELNS1_11target_archE1200ELNS1_3gpuE4ELNS1_3repE0EEENS1_30default_config_static_selectorELNS0_4arch9wavefront6targetE0EEEvT1_,"axG",@progbits,_ZN7rocprim17ROCPRIM_400000_NS6detail17trampoline_kernelINS0_14default_configENS1_25partition_config_selectorILNS1_17partition_subalgoE6EfNS0_10empty_typeEbEEZZNS1_14partition_implILS5_6ELb0ES3_mN6thrust23THRUST_200600_302600_NS6detail15normal_iteratorINSA_10device_ptrIfEEEEPS6_SG_NS0_5tupleIJSF_S6_EEENSH_IJSG_SG_EEES6_PlJNSB_9not_fun_tINSB_14equal_to_valueIfEEEEEEE10hipError_tPvRmT3_T4_T5_T6_T7_T9_mT8_P12ihipStream_tbDpT10_ENKUlT_T0_E_clISt17integral_constantIbLb0EES17_IbLb1EEEEDaS13_S14_EUlS13_E_NS1_11comp_targetILNS1_3genE10ELNS1_11target_archE1200ELNS1_3gpuE4ELNS1_3repE0EEENS1_30default_config_static_selectorELNS0_4arch9wavefront6targetE0EEEvT1_,comdat
.Lfunc_end338:
	.size	_ZN7rocprim17ROCPRIM_400000_NS6detail17trampoline_kernelINS0_14default_configENS1_25partition_config_selectorILNS1_17partition_subalgoE6EfNS0_10empty_typeEbEEZZNS1_14partition_implILS5_6ELb0ES3_mN6thrust23THRUST_200600_302600_NS6detail15normal_iteratorINSA_10device_ptrIfEEEEPS6_SG_NS0_5tupleIJSF_S6_EEENSH_IJSG_SG_EEES6_PlJNSB_9not_fun_tINSB_14equal_to_valueIfEEEEEEE10hipError_tPvRmT3_T4_T5_T6_T7_T9_mT8_P12ihipStream_tbDpT10_ENKUlT_T0_E_clISt17integral_constantIbLb0EES17_IbLb1EEEEDaS13_S14_EUlS13_E_NS1_11comp_targetILNS1_3genE10ELNS1_11target_archE1200ELNS1_3gpuE4ELNS1_3repE0EEENS1_30default_config_static_selectorELNS0_4arch9wavefront6targetE0EEEvT1_, .Lfunc_end338-_ZN7rocprim17ROCPRIM_400000_NS6detail17trampoline_kernelINS0_14default_configENS1_25partition_config_selectorILNS1_17partition_subalgoE6EfNS0_10empty_typeEbEEZZNS1_14partition_implILS5_6ELb0ES3_mN6thrust23THRUST_200600_302600_NS6detail15normal_iteratorINSA_10device_ptrIfEEEEPS6_SG_NS0_5tupleIJSF_S6_EEENSH_IJSG_SG_EEES6_PlJNSB_9not_fun_tINSB_14equal_to_valueIfEEEEEEE10hipError_tPvRmT3_T4_T5_T6_T7_T9_mT8_P12ihipStream_tbDpT10_ENKUlT_T0_E_clISt17integral_constantIbLb0EES17_IbLb1EEEEDaS13_S14_EUlS13_E_NS1_11comp_targetILNS1_3genE10ELNS1_11target_archE1200ELNS1_3gpuE4ELNS1_3repE0EEENS1_30default_config_static_selectorELNS0_4arch9wavefront6targetE0EEEvT1_
                                        ; -- End function
	.set _ZN7rocprim17ROCPRIM_400000_NS6detail17trampoline_kernelINS0_14default_configENS1_25partition_config_selectorILNS1_17partition_subalgoE6EfNS0_10empty_typeEbEEZZNS1_14partition_implILS5_6ELb0ES3_mN6thrust23THRUST_200600_302600_NS6detail15normal_iteratorINSA_10device_ptrIfEEEEPS6_SG_NS0_5tupleIJSF_S6_EEENSH_IJSG_SG_EEES6_PlJNSB_9not_fun_tINSB_14equal_to_valueIfEEEEEEE10hipError_tPvRmT3_T4_T5_T6_T7_T9_mT8_P12ihipStream_tbDpT10_ENKUlT_T0_E_clISt17integral_constantIbLb0EES17_IbLb1EEEEDaS13_S14_EUlS13_E_NS1_11comp_targetILNS1_3genE10ELNS1_11target_archE1200ELNS1_3gpuE4ELNS1_3repE0EEENS1_30default_config_static_selectorELNS0_4arch9wavefront6targetE0EEEvT1_.num_vgpr, 51
	.set _ZN7rocprim17ROCPRIM_400000_NS6detail17trampoline_kernelINS0_14default_configENS1_25partition_config_selectorILNS1_17partition_subalgoE6EfNS0_10empty_typeEbEEZZNS1_14partition_implILS5_6ELb0ES3_mN6thrust23THRUST_200600_302600_NS6detail15normal_iteratorINSA_10device_ptrIfEEEEPS6_SG_NS0_5tupleIJSF_S6_EEENSH_IJSG_SG_EEES6_PlJNSB_9not_fun_tINSB_14equal_to_valueIfEEEEEEE10hipError_tPvRmT3_T4_T5_T6_T7_T9_mT8_P12ihipStream_tbDpT10_ENKUlT_T0_E_clISt17integral_constantIbLb0EES17_IbLb1EEEEDaS13_S14_EUlS13_E_NS1_11comp_targetILNS1_3genE10ELNS1_11target_archE1200ELNS1_3gpuE4ELNS1_3repE0EEENS1_30default_config_static_selectorELNS0_4arch9wavefront6targetE0EEEvT1_.num_agpr, 0
	.set _ZN7rocprim17ROCPRIM_400000_NS6detail17trampoline_kernelINS0_14default_configENS1_25partition_config_selectorILNS1_17partition_subalgoE6EfNS0_10empty_typeEbEEZZNS1_14partition_implILS5_6ELb0ES3_mN6thrust23THRUST_200600_302600_NS6detail15normal_iteratorINSA_10device_ptrIfEEEEPS6_SG_NS0_5tupleIJSF_S6_EEENSH_IJSG_SG_EEES6_PlJNSB_9not_fun_tINSB_14equal_to_valueIfEEEEEEE10hipError_tPvRmT3_T4_T5_T6_T7_T9_mT8_P12ihipStream_tbDpT10_ENKUlT_T0_E_clISt17integral_constantIbLb0EES17_IbLb1EEEEDaS13_S14_EUlS13_E_NS1_11comp_targetILNS1_3genE10ELNS1_11target_archE1200ELNS1_3gpuE4ELNS1_3repE0EEENS1_30default_config_static_selectorELNS0_4arch9wavefront6targetE0EEEvT1_.numbered_sgpr, 21
	.set _ZN7rocprim17ROCPRIM_400000_NS6detail17trampoline_kernelINS0_14default_configENS1_25partition_config_selectorILNS1_17partition_subalgoE6EfNS0_10empty_typeEbEEZZNS1_14partition_implILS5_6ELb0ES3_mN6thrust23THRUST_200600_302600_NS6detail15normal_iteratorINSA_10device_ptrIfEEEEPS6_SG_NS0_5tupleIJSF_S6_EEENSH_IJSG_SG_EEES6_PlJNSB_9not_fun_tINSB_14equal_to_valueIfEEEEEEE10hipError_tPvRmT3_T4_T5_T6_T7_T9_mT8_P12ihipStream_tbDpT10_ENKUlT_T0_E_clISt17integral_constantIbLb0EES17_IbLb1EEEEDaS13_S14_EUlS13_E_NS1_11comp_targetILNS1_3genE10ELNS1_11target_archE1200ELNS1_3gpuE4ELNS1_3repE0EEENS1_30default_config_static_selectorELNS0_4arch9wavefront6targetE0EEEvT1_.num_named_barrier, 0
	.set _ZN7rocprim17ROCPRIM_400000_NS6detail17trampoline_kernelINS0_14default_configENS1_25partition_config_selectorILNS1_17partition_subalgoE6EfNS0_10empty_typeEbEEZZNS1_14partition_implILS5_6ELb0ES3_mN6thrust23THRUST_200600_302600_NS6detail15normal_iteratorINSA_10device_ptrIfEEEEPS6_SG_NS0_5tupleIJSF_S6_EEENSH_IJSG_SG_EEES6_PlJNSB_9not_fun_tINSB_14equal_to_valueIfEEEEEEE10hipError_tPvRmT3_T4_T5_T6_T7_T9_mT8_P12ihipStream_tbDpT10_ENKUlT_T0_E_clISt17integral_constantIbLb0EES17_IbLb1EEEEDaS13_S14_EUlS13_E_NS1_11comp_targetILNS1_3genE10ELNS1_11target_archE1200ELNS1_3gpuE4ELNS1_3repE0EEENS1_30default_config_static_selectorELNS0_4arch9wavefront6targetE0EEEvT1_.private_seg_size, 0
	.set _ZN7rocprim17ROCPRIM_400000_NS6detail17trampoline_kernelINS0_14default_configENS1_25partition_config_selectorILNS1_17partition_subalgoE6EfNS0_10empty_typeEbEEZZNS1_14partition_implILS5_6ELb0ES3_mN6thrust23THRUST_200600_302600_NS6detail15normal_iteratorINSA_10device_ptrIfEEEEPS6_SG_NS0_5tupleIJSF_S6_EEENSH_IJSG_SG_EEES6_PlJNSB_9not_fun_tINSB_14equal_to_valueIfEEEEEEE10hipError_tPvRmT3_T4_T5_T6_T7_T9_mT8_P12ihipStream_tbDpT10_ENKUlT_T0_E_clISt17integral_constantIbLb0EES17_IbLb1EEEEDaS13_S14_EUlS13_E_NS1_11comp_targetILNS1_3genE10ELNS1_11target_archE1200ELNS1_3gpuE4ELNS1_3repE0EEENS1_30default_config_static_selectorELNS0_4arch9wavefront6targetE0EEEvT1_.uses_vcc, 1
	.set _ZN7rocprim17ROCPRIM_400000_NS6detail17trampoline_kernelINS0_14default_configENS1_25partition_config_selectorILNS1_17partition_subalgoE6EfNS0_10empty_typeEbEEZZNS1_14partition_implILS5_6ELb0ES3_mN6thrust23THRUST_200600_302600_NS6detail15normal_iteratorINSA_10device_ptrIfEEEEPS6_SG_NS0_5tupleIJSF_S6_EEENSH_IJSG_SG_EEES6_PlJNSB_9not_fun_tINSB_14equal_to_valueIfEEEEEEE10hipError_tPvRmT3_T4_T5_T6_T7_T9_mT8_P12ihipStream_tbDpT10_ENKUlT_T0_E_clISt17integral_constantIbLb0EES17_IbLb1EEEEDaS13_S14_EUlS13_E_NS1_11comp_targetILNS1_3genE10ELNS1_11target_archE1200ELNS1_3gpuE4ELNS1_3repE0EEENS1_30default_config_static_selectorELNS0_4arch9wavefront6targetE0EEEvT1_.uses_flat_scratch, 1
	.set _ZN7rocprim17ROCPRIM_400000_NS6detail17trampoline_kernelINS0_14default_configENS1_25partition_config_selectorILNS1_17partition_subalgoE6EfNS0_10empty_typeEbEEZZNS1_14partition_implILS5_6ELb0ES3_mN6thrust23THRUST_200600_302600_NS6detail15normal_iteratorINSA_10device_ptrIfEEEEPS6_SG_NS0_5tupleIJSF_S6_EEENSH_IJSG_SG_EEES6_PlJNSB_9not_fun_tINSB_14equal_to_valueIfEEEEEEE10hipError_tPvRmT3_T4_T5_T6_T7_T9_mT8_P12ihipStream_tbDpT10_ENKUlT_T0_E_clISt17integral_constantIbLb0EES17_IbLb1EEEEDaS13_S14_EUlS13_E_NS1_11comp_targetILNS1_3genE10ELNS1_11target_archE1200ELNS1_3gpuE4ELNS1_3repE0EEENS1_30default_config_static_selectorELNS0_4arch9wavefront6targetE0EEEvT1_.has_dyn_sized_stack, 0
	.set _ZN7rocprim17ROCPRIM_400000_NS6detail17trampoline_kernelINS0_14default_configENS1_25partition_config_selectorILNS1_17partition_subalgoE6EfNS0_10empty_typeEbEEZZNS1_14partition_implILS5_6ELb0ES3_mN6thrust23THRUST_200600_302600_NS6detail15normal_iteratorINSA_10device_ptrIfEEEEPS6_SG_NS0_5tupleIJSF_S6_EEENSH_IJSG_SG_EEES6_PlJNSB_9not_fun_tINSB_14equal_to_valueIfEEEEEEE10hipError_tPvRmT3_T4_T5_T6_T7_T9_mT8_P12ihipStream_tbDpT10_ENKUlT_T0_E_clISt17integral_constantIbLb0EES17_IbLb1EEEEDaS13_S14_EUlS13_E_NS1_11comp_targetILNS1_3genE10ELNS1_11target_archE1200ELNS1_3gpuE4ELNS1_3repE0EEENS1_30default_config_static_selectorELNS0_4arch9wavefront6targetE0EEEvT1_.has_recursion, 0
	.set _ZN7rocprim17ROCPRIM_400000_NS6detail17trampoline_kernelINS0_14default_configENS1_25partition_config_selectorILNS1_17partition_subalgoE6EfNS0_10empty_typeEbEEZZNS1_14partition_implILS5_6ELb0ES3_mN6thrust23THRUST_200600_302600_NS6detail15normal_iteratorINSA_10device_ptrIfEEEEPS6_SG_NS0_5tupleIJSF_S6_EEENSH_IJSG_SG_EEES6_PlJNSB_9not_fun_tINSB_14equal_to_valueIfEEEEEEE10hipError_tPvRmT3_T4_T5_T6_T7_T9_mT8_P12ihipStream_tbDpT10_ENKUlT_T0_E_clISt17integral_constantIbLb0EES17_IbLb1EEEEDaS13_S14_EUlS13_E_NS1_11comp_targetILNS1_3genE10ELNS1_11target_archE1200ELNS1_3gpuE4ELNS1_3repE0EEENS1_30default_config_static_selectorELNS0_4arch9wavefront6targetE0EEEvT1_.has_indirect_call, 0
	.section	.AMDGPU.csdata,"",@progbits
; Kernel info:
; codeLenInByte = 7632
; TotalNumSgprs: 23
; NumVgprs: 51
; ScratchSize: 0
; MemoryBound: 0
; FloatMode: 240
; IeeeMode: 1
; LDSByteSize: 10768 bytes/workgroup (compile time only)
; SGPRBlocks: 0
; VGPRBlocks: 6
; NumSGPRsForWavesPerEU: 23
; NumVGPRsForWavesPerEU: 51
; Occupancy: 15
; WaveLimiterHint : 1
; COMPUTE_PGM_RSRC2:SCRATCH_EN: 0
; COMPUTE_PGM_RSRC2:USER_SGPR: 2
; COMPUTE_PGM_RSRC2:TRAP_HANDLER: 0
; COMPUTE_PGM_RSRC2:TGID_X_EN: 1
; COMPUTE_PGM_RSRC2:TGID_Y_EN: 0
; COMPUTE_PGM_RSRC2:TGID_Z_EN: 0
; COMPUTE_PGM_RSRC2:TIDIG_COMP_CNT: 0
	.section	.text._ZN7rocprim17ROCPRIM_400000_NS6detail17trampoline_kernelINS0_14default_configENS1_25partition_config_selectorILNS1_17partition_subalgoE6EfNS0_10empty_typeEbEEZZNS1_14partition_implILS5_6ELb0ES3_mN6thrust23THRUST_200600_302600_NS6detail15normal_iteratorINSA_10device_ptrIfEEEEPS6_SG_NS0_5tupleIJSF_S6_EEENSH_IJSG_SG_EEES6_PlJNSB_9not_fun_tINSB_14equal_to_valueIfEEEEEEE10hipError_tPvRmT3_T4_T5_T6_T7_T9_mT8_P12ihipStream_tbDpT10_ENKUlT_T0_E_clISt17integral_constantIbLb0EES17_IbLb1EEEEDaS13_S14_EUlS13_E_NS1_11comp_targetILNS1_3genE9ELNS1_11target_archE1100ELNS1_3gpuE3ELNS1_3repE0EEENS1_30default_config_static_selectorELNS0_4arch9wavefront6targetE0EEEvT1_,"axG",@progbits,_ZN7rocprim17ROCPRIM_400000_NS6detail17trampoline_kernelINS0_14default_configENS1_25partition_config_selectorILNS1_17partition_subalgoE6EfNS0_10empty_typeEbEEZZNS1_14partition_implILS5_6ELb0ES3_mN6thrust23THRUST_200600_302600_NS6detail15normal_iteratorINSA_10device_ptrIfEEEEPS6_SG_NS0_5tupleIJSF_S6_EEENSH_IJSG_SG_EEES6_PlJNSB_9not_fun_tINSB_14equal_to_valueIfEEEEEEE10hipError_tPvRmT3_T4_T5_T6_T7_T9_mT8_P12ihipStream_tbDpT10_ENKUlT_T0_E_clISt17integral_constantIbLb0EES17_IbLb1EEEEDaS13_S14_EUlS13_E_NS1_11comp_targetILNS1_3genE9ELNS1_11target_archE1100ELNS1_3gpuE3ELNS1_3repE0EEENS1_30default_config_static_selectorELNS0_4arch9wavefront6targetE0EEEvT1_,comdat
	.protected	_ZN7rocprim17ROCPRIM_400000_NS6detail17trampoline_kernelINS0_14default_configENS1_25partition_config_selectorILNS1_17partition_subalgoE6EfNS0_10empty_typeEbEEZZNS1_14partition_implILS5_6ELb0ES3_mN6thrust23THRUST_200600_302600_NS6detail15normal_iteratorINSA_10device_ptrIfEEEEPS6_SG_NS0_5tupleIJSF_S6_EEENSH_IJSG_SG_EEES6_PlJNSB_9not_fun_tINSB_14equal_to_valueIfEEEEEEE10hipError_tPvRmT3_T4_T5_T6_T7_T9_mT8_P12ihipStream_tbDpT10_ENKUlT_T0_E_clISt17integral_constantIbLb0EES17_IbLb1EEEEDaS13_S14_EUlS13_E_NS1_11comp_targetILNS1_3genE9ELNS1_11target_archE1100ELNS1_3gpuE3ELNS1_3repE0EEENS1_30default_config_static_selectorELNS0_4arch9wavefront6targetE0EEEvT1_ ; -- Begin function _ZN7rocprim17ROCPRIM_400000_NS6detail17trampoline_kernelINS0_14default_configENS1_25partition_config_selectorILNS1_17partition_subalgoE6EfNS0_10empty_typeEbEEZZNS1_14partition_implILS5_6ELb0ES3_mN6thrust23THRUST_200600_302600_NS6detail15normal_iteratorINSA_10device_ptrIfEEEEPS6_SG_NS0_5tupleIJSF_S6_EEENSH_IJSG_SG_EEES6_PlJNSB_9not_fun_tINSB_14equal_to_valueIfEEEEEEE10hipError_tPvRmT3_T4_T5_T6_T7_T9_mT8_P12ihipStream_tbDpT10_ENKUlT_T0_E_clISt17integral_constantIbLb0EES17_IbLb1EEEEDaS13_S14_EUlS13_E_NS1_11comp_targetILNS1_3genE9ELNS1_11target_archE1100ELNS1_3gpuE3ELNS1_3repE0EEENS1_30default_config_static_selectorELNS0_4arch9wavefront6targetE0EEEvT1_
	.globl	_ZN7rocprim17ROCPRIM_400000_NS6detail17trampoline_kernelINS0_14default_configENS1_25partition_config_selectorILNS1_17partition_subalgoE6EfNS0_10empty_typeEbEEZZNS1_14partition_implILS5_6ELb0ES3_mN6thrust23THRUST_200600_302600_NS6detail15normal_iteratorINSA_10device_ptrIfEEEEPS6_SG_NS0_5tupleIJSF_S6_EEENSH_IJSG_SG_EEES6_PlJNSB_9not_fun_tINSB_14equal_to_valueIfEEEEEEE10hipError_tPvRmT3_T4_T5_T6_T7_T9_mT8_P12ihipStream_tbDpT10_ENKUlT_T0_E_clISt17integral_constantIbLb0EES17_IbLb1EEEEDaS13_S14_EUlS13_E_NS1_11comp_targetILNS1_3genE9ELNS1_11target_archE1100ELNS1_3gpuE3ELNS1_3repE0EEENS1_30default_config_static_selectorELNS0_4arch9wavefront6targetE0EEEvT1_
	.p2align	8
	.type	_ZN7rocprim17ROCPRIM_400000_NS6detail17trampoline_kernelINS0_14default_configENS1_25partition_config_selectorILNS1_17partition_subalgoE6EfNS0_10empty_typeEbEEZZNS1_14partition_implILS5_6ELb0ES3_mN6thrust23THRUST_200600_302600_NS6detail15normal_iteratorINSA_10device_ptrIfEEEEPS6_SG_NS0_5tupleIJSF_S6_EEENSH_IJSG_SG_EEES6_PlJNSB_9not_fun_tINSB_14equal_to_valueIfEEEEEEE10hipError_tPvRmT3_T4_T5_T6_T7_T9_mT8_P12ihipStream_tbDpT10_ENKUlT_T0_E_clISt17integral_constantIbLb0EES17_IbLb1EEEEDaS13_S14_EUlS13_E_NS1_11comp_targetILNS1_3genE9ELNS1_11target_archE1100ELNS1_3gpuE3ELNS1_3repE0EEENS1_30default_config_static_selectorELNS0_4arch9wavefront6targetE0EEEvT1_,@function
_ZN7rocprim17ROCPRIM_400000_NS6detail17trampoline_kernelINS0_14default_configENS1_25partition_config_selectorILNS1_17partition_subalgoE6EfNS0_10empty_typeEbEEZZNS1_14partition_implILS5_6ELb0ES3_mN6thrust23THRUST_200600_302600_NS6detail15normal_iteratorINSA_10device_ptrIfEEEEPS6_SG_NS0_5tupleIJSF_S6_EEENSH_IJSG_SG_EEES6_PlJNSB_9not_fun_tINSB_14equal_to_valueIfEEEEEEE10hipError_tPvRmT3_T4_T5_T6_T7_T9_mT8_P12ihipStream_tbDpT10_ENKUlT_T0_E_clISt17integral_constantIbLb0EES17_IbLb1EEEEDaS13_S14_EUlS13_E_NS1_11comp_targetILNS1_3genE9ELNS1_11target_archE1100ELNS1_3gpuE3ELNS1_3repE0EEENS1_30default_config_static_selectorELNS0_4arch9wavefront6targetE0EEEvT1_: ; @_ZN7rocprim17ROCPRIM_400000_NS6detail17trampoline_kernelINS0_14default_configENS1_25partition_config_selectorILNS1_17partition_subalgoE6EfNS0_10empty_typeEbEEZZNS1_14partition_implILS5_6ELb0ES3_mN6thrust23THRUST_200600_302600_NS6detail15normal_iteratorINSA_10device_ptrIfEEEEPS6_SG_NS0_5tupleIJSF_S6_EEENSH_IJSG_SG_EEES6_PlJNSB_9not_fun_tINSB_14equal_to_valueIfEEEEEEE10hipError_tPvRmT3_T4_T5_T6_T7_T9_mT8_P12ihipStream_tbDpT10_ENKUlT_T0_E_clISt17integral_constantIbLb0EES17_IbLb1EEEEDaS13_S14_EUlS13_E_NS1_11comp_targetILNS1_3genE9ELNS1_11target_archE1100ELNS1_3gpuE3ELNS1_3repE0EEENS1_30default_config_static_selectorELNS0_4arch9wavefront6targetE0EEEvT1_
; %bb.0:
	.section	.rodata,"a",@progbits
	.p2align	6, 0x0
	.amdhsa_kernel _ZN7rocprim17ROCPRIM_400000_NS6detail17trampoline_kernelINS0_14default_configENS1_25partition_config_selectorILNS1_17partition_subalgoE6EfNS0_10empty_typeEbEEZZNS1_14partition_implILS5_6ELb0ES3_mN6thrust23THRUST_200600_302600_NS6detail15normal_iteratorINSA_10device_ptrIfEEEEPS6_SG_NS0_5tupleIJSF_S6_EEENSH_IJSG_SG_EEES6_PlJNSB_9not_fun_tINSB_14equal_to_valueIfEEEEEEE10hipError_tPvRmT3_T4_T5_T6_T7_T9_mT8_P12ihipStream_tbDpT10_ENKUlT_T0_E_clISt17integral_constantIbLb0EES17_IbLb1EEEEDaS13_S14_EUlS13_E_NS1_11comp_targetILNS1_3genE9ELNS1_11target_archE1100ELNS1_3gpuE3ELNS1_3repE0EEENS1_30default_config_static_selectorELNS0_4arch9wavefront6targetE0EEEvT1_
		.amdhsa_group_segment_fixed_size 0
		.amdhsa_private_segment_fixed_size 0
		.amdhsa_kernarg_size 128
		.amdhsa_user_sgpr_count 2
		.amdhsa_user_sgpr_dispatch_ptr 0
		.amdhsa_user_sgpr_queue_ptr 0
		.amdhsa_user_sgpr_kernarg_segment_ptr 1
		.amdhsa_user_sgpr_dispatch_id 0
		.amdhsa_user_sgpr_private_segment_size 0
		.amdhsa_wavefront_size32 1
		.amdhsa_uses_dynamic_stack 0
		.amdhsa_enable_private_segment 0
		.amdhsa_system_sgpr_workgroup_id_x 1
		.amdhsa_system_sgpr_workgroup_id_y 0
		.amdhsa_system_sgpr_workgroup_id_z 0
		.amdhsa_system_sgpr_workgroup_info 0
		.amdhsa_system_vgpr_workitem_id 0
		.amdhsa_next_free_vgpr 1
		.amdhsa_next_free_sgpr 1
		.amdhsa_reserve_vcc 0
		.amdhsa_float_round_mode_32 0
		.amdhsa_float_round_mode_16_64 0
		.amdhsa_float_denorm_mode_32 3
		.amdhsa_float_denorm_mode_16_64 3
		.amdhsa_fp16_overflow 0
		.amdhsa_workgroup_processor_mode 1
		.amdhsa_memory_ordered 1
		.amdhsa_forward_progress 1
		.amdhsa_inst_pref_size 0
		.amdhsa_round_robin_scheduling 0
		.amdhsa_exception_fp_ieee_invalid_op 0
		.amdhsa_exception_fp_denorm_src 0
		.amdhsa_exception_fp_ieee_div_zero 0
		.amdhsa_exception_fp_ieee_overflow 0
		.amdhsa_exception_fp_ieee_underflow 0
		.amdhsa_exception_fp_ieee_inexact 0
		.amdhsa_exception_int_div_zero 0
	.end_amdhsa_kernel
	.section	.text._ZN7rocprim17ROCPRIM_400000_NS6detail17trampoline_kernelINS0_14default_configENS1_25partition_config_selectorILNS1_17partition_subalgoE6EfNS0_10empty_typeEbEEZZNS1_14partition_implILS5_6ELb0ES3_mN6thrust23THRUST_200600_302600_NS6detail15normal_iteratorINSA_10device_ptrIfEEEEPS6_SG_NS0_5tupleIJSF_S6_EEENSH_IJSG_SG_EEES6_PlJNSB_9not_fun_tINSB_14equal_to_valueIfEEEEEEE10hipError_tPvRmT3_T4_T5_T6_T7_T9_mT8_P12ihipStream_tbDpT10_ENKUlT_T0_E_clISt17integral_constantIbLb0EES17_IbLb1EEEEDaS13_S14_EUlS13_E_NS1_11comp_targetILNS1_3genE9ELNS1_11target_archE1100ELNS1_3gpuE3ELNS1_3repE0EEENS1_30default_config_static_selectorELNS0_4arch9wavefront6targetE0EEEvT1_,"axG",@progbits,_ZN7rocprim17ROCPRIM_400000_NS6detail17trampoline_kernelINS0_14default_configENS1_25partition_config_selectorILNS1_17partition_subalgoE6EfNS0_10empty_typeEbEEZZNS1_14partition_implILS5_6ELb0ES3_mN6thrust23THRUST_200600_302600_NS6detail15normal_iteratorINSA_10device_ptrIfEEEEPS6_SG_NS0_5tupleIJSF_S6_EEENSH_IJSG_SG_EEES6_PlJNSB_9not_fun_tINSB_14equal_to_valueIfEEEEEEE10hipError_tPvRmT3_T4_T5_T6_T7_T9_mT8_P12ihipStream_tbDpT10_ENKUlT_T0_E_clISt17integral_constantIbLb0EES17_IbLb1EEEEDaS13_S14_EUlS13_E_NS1_11comp_targetILNS1_3genE9ELNS1_11target_archE1100ELNS1_3gpuE3ELNS1_3repE0EEENS1_30default_config_static_selectorELNS0_4arch9wavefront6targetE0EEEvT1_,comdat
.Lfunc_end339:
	.size	_ZN7rocprim17ROCPRIM_400000_NS6detail17trampoline_kernelINS0_14default_configENS1_25partition_config_selectorILNS1_17partition_subalgoE6EfNS0_10empty_typeEbEEZZNS1_14partition_implILS5_6ELb0ES3_mN6thrust23THRUST_200600_302600_NS6detail15normal_iteratorINSA_10device_ptrIfEEEEPS6_SG_NS0_5tupleIJSF_S6_EEENSH_IJSG_SG_EEES6_PlJNSB_9not_fun_tINSB_14equal_to_valueIfEEEEEEE10hipError_tPvRmT3_T4_T5_T6_T7_T9_mT8_P12ihipStream_tbDpT10_ENKUlT_T0_E_clISt17integral_constantIbLb0EES17_IbLb1EEEEDaS13_S14_EUlS13_E_NS1_11comp_targetILNS1_3genE9ELNS1_11target_archE1100ELNS1_3gpuE3ELNS1_3repE0EEENS1_30default_config_static_selectorELNS0_4arch9wavefront6targetE0EEEvT1_, .Lfunc_end339-_ZN7rocprim17ROCPRIM_400000_NS6detail17trampoline_kernelINS0_14default_configENS1_25partition_config_selectorILNS1_17partition_subalgoE6EfNS0_10empty_typeEbEEZZNS1_14partition_implILS5_6ELb0ES3_mN6thrust23THRUST_200600_302600_NS6detail15normal_iteratorINSA_10device_ptrIfEEEEPS6_SG_NS0_5tupleIJSF_S6_EEENSH_IJSG_SG_EEES6_PlJNSB_9not_fun_tINSB_14equal_to_valueIfEEEEEEE10hipError_tPvRmT3_T4_T5_T6_T7_T9_mT8_P12ihipStream_tbDpT10_ENKUlT_T0_E_clISt17integral_constantIbLb0EES17_IbLb1EEEEDaS13_S14_EUlS13_E_NS1_11comp_targetILNS1_3genE9ELNS1_11target_archE1100ELNS1_3gpuE3ELNS1_3repE0EEENS1_30default_config_static_selectorELNS0_4arch9wavefront6targetE0EEEvT1_
                                        ; -- End function
	.set _ZN7rocprim17ROCPRIM_400000_NS6detail17trampoline_kernelINS0_14default_configENS1_25partition_config_selectorILNS1_17partition_subalgoE6EfNS0_10empty_typeEbEEZZNS1_14partition_implILS5_6ELb0ES3_mN6thrust23THRUST_200600_302600_NS6detail15normal_iteratorINSA_10device_ptrIfEEEEPS6_SG_NS0_5tupleIJSF_S6_EEENSH_IJSG_SG_EEES6_PlJNSB_9not_fun_tINSB_14equal_to_valueIfEEEEEEE10hipError_tPvRmT3_T4_T5_T6_T7_T9_mT8_P12ihipStream_tbDpT10_ENKUlT_T0_E_clISt17integral_constantIbLb0EES17_IbLb1EEEEDaS13_S14_EUlS13_E_NS1_11comp_targetILNS1_3genE9ELNS1_11target_archE1100ELNS1_3gpuE3ELNS1_3repE0EEENS1_30default_config_static_selectorELNS0_4arch9wavefront6targetE0EEEvT1_.num_vgpr, 0
	.set _ZN7rocprim17ROCPRIM_400000_NS6detail17trampoline_kernelINS0_14default_configENS1_25partition_config_selectorILNS1_17partition_subalgoE6EfNS0_10empty_typeEbEEZZNS1_14partition_implILS5_6ELb0ES3_mN6thrust23THRUST_200600_302600_NS6detail15normal_iteratorINSA_10device_ptrIfEEEEPS6_SG_NS0_5tupleIJSF_S6_EEENSH_IJSG_SG_EEES6_PlJNSB_9not_fun_tINSB_14equal_to_valueIfEEEEEEE10hipError_tPvRmT3_T4_T5_T6_T7_T9_mT8_P12ihipStream_tbDpT10_ENKUlT_T0_E_clISt17integral_constantIbLb0EES17_IbLb1EEEEDaS13_S14_EUlS13_E_NS1_11comp_targetILNS1_3genE9ELNS1_11target_archE1100ELNS1_3gpuE3ELNS1_3repE0EEENS1_30default_config_static_selectorELNS0_4arch9wavefront6targetE0EEEvT1_.num_agpr, 0
	.set _ZN7rocprim17ROCPRIM_400000_NS6detail17trampoline_kernelINS0_14default_configENS1_25partition_config_selectorILNS1_17partition_subalgoE6EfNS0_10empty_typeEbEEZZNS1_14partition_implILS5_6ELb0ES3_mN6thrust23THRUST_200600_302600_NS6detail15normal_iteratorINSA_10device_ptrIfEEEEPS6_SG_NS0_5tupleIJSF_S6_EEENSH_IJSG_SG_EEES6_PlJNSB_9not_fun_tINSB_14equal_to_valueIfEEEEEEE10hipError_tPvRmT3_T4_T5_T6_T7_T9_mT8_P12ihipStream_tbDpT10_ENKUlT_T0_E_clISt17integral_constantIbLb0EES17_IbLb1EEEEDaS13_S14_EUlS13_E_NS1_11comp_targetILNS1_3genE9ELNS1_11target_archE1100ELNS1_3gpuE3ELNS1_3repE0EEENS1_30default_config_static_selectorELNS0_4arch9wavefront6targetE0EEEvT1_.numbered_sgpr, 0
	.set _ZN7rocprim17ROCPRIM_400000_NS6detail17trampoline_kernelINS0_14default_configENS1_25partition_config_selectorILNS1_17partition_subalgoE6EfNS0_10empty_typeEbEEZZNS1_14partition_implILS5_6ELb0ES3_mN6thrust23THRUST_200600_302600_NS6detail15normal_iteratorINSA_10device_ptrIfEEEEPS6_SG_NS0_5tupleIJSF_S6_EEENSH_IJSG_SG_EEES6_PlJNSB_9not_fun_tINSB_14equal_to_valueIfEEEEEEE10hipError_tPvRmT3_T4_T5_T6_T7_T9_mT8_P12ihipStream_tbDpT10_ENKUlT_T0_E_clISt17integral_constantIbLb0EES17_IbLb1EEEEDaS13_S14_EUlS13_E_NS1_11comp_targetILNS1_3genE9ELNS1_11target_archE1100ELNS1_3gpuE3ELNS1_3repE0EEENS1_30default_config_static_selectorELNS0_4arch9wavefront6targetE0EEEvT1_.num_named_barrier, 0
	.set _ZN7rocprim17ROCPRIM_400000_NS6detail17trampoline_kernelINS0_14default_configENS1_25partition_config_selectorILNS1_17partition_subalgoE6EfNS0_10empty_typeEbEEZZNS1_14partition_implILS5_6ELb0ES3_mN6thrust23THRUST_200600_302600_NS6detail15normal_iteratorINSA_10device_ptrIfEEEEPS6_SG_NS0_5tupleIJSF_S6_EEENSH_IJSG_SG_EEES6_PlJNSB_9not_fun_tINSB_14equal_to_valueIfEEEEEEE10hipError_tPvRmT3_T4_T5_T6_T7_T9_mT8_P12ihipStream_tbDpT10_ENKUlT_T0_E_clISt17integral_constantIbLb0EES17_IbLb1EEEEDaS13_S14_EUlS13_E_NS1_11comp_targetILNS1_3genE9ELNS1_11target_archE1100ELNS1_3gpuE3ELNS1_3repE0EEENS1_30default_config_static_selectorELNS0_4arch9wavefront6targetE0EEEvT1_.private_seg_size, 0
	.set _ZN7rocprim17ROCPRIM_400000_NS6detail17trampoline_kernelINS0_14default_configENS1_25partition_config_selectorILNS1_17partition_subalgoE6EfNS0_10empty_typeEbEEZZNS1_14partition_implILS5_6ELb0ES3_mN6thrust23THRUST_200600_302600_NS6detail15normal_iteratorINSA_10device_ptrIfEEEEPS6_SG_NS0_5tupleIJSF_S6_EEENSH_IJSG_SG_EEES6_PlJNSB_9not_fun_tINSB_14equal_to_valueIfEEEEEEE10hipError_tPvRmT3_T4_T5_T6_T7_T9_mT8_P12ihipStream_tbDpT10_ENKUlT_T0_E_clISt17integral_constantIbLb0EES17_IbLb1EEEEDaS13_S14_EUlS13_E_NS1_11comp_targetILNS1_3genE9ELNS1_11target_archE1100ELNS1_3gpuE3ELNS1_3repE0EEENS1_30default_config_static_selectorELNS0_4arch9wavefront6targetE0EEEvT1_.uses_vcc, 0
	.set _ZN7rocprim17ROCPRIM_400000_NS6detail17trampoline_kernelINS0_14default_configENS1_25partition_config_selectorILNS1_17partition_subalgoE6EfNS0_10empty_typeEbEEZZNS1_14partition_implILS5_6ELb0ES3_mN6thrust23THRUST_200600_302600_NS6detail15normal_iteratorINSA_10device_ptrIfEEEEPS6_SG_NS0_5tupleIJSF_S6_EEENSH_IJSG_SG_EEES6_PlJNSB_9not_fun_tINSB_14equal_to_valueIfEEEEEEE10hipError_tPvRmT3_T4_T5_T6_T7_T9_mT8_P12ihipStream_tbDpT10_ENKUlT_T0_E_clISt17integral_constantIbLb0EES17_IbLb1EEEEDaS13_S14_EUlS13_E_NS1_11comp_targetILNS1_3genE9ELNS1_11target_archE1100ELNS1_3gpuE3ELNS1_3repE0EEENS1_30default_config_static_selectorELNS0_4arch9wavefront6targetE0EEEvT1_.uses_flat_scratch, 0
	.set _ZN7rocprim17ROCPRIM_400000_NS6detail17trampoline_kernelINS0_14default_configENS1_25partition_config_selectorILNS1_17partition_subalgoE6EfNS0_10empty_typeEbEEZZNS1_14partition_implILS5_6ELb0ES3_mN6thrust23THRUST_200600_302600_NS6detail15normal_iteratorINSA_10device_ptrIfEEEEPS6_SG_NS0_5tupleIJSF_S6_EEENSH_IJSG_SG_EEES6_PlJNSB_9not_fun_tINSB_14equal_to_valueIfEEEEEEE10hipError_tPvRmT3_T4_T5_T6_T7_T9_mT8_P12ihipStream_tbDpT10_ENKUlT_T0_E_clISt17integral_constantIbLb0EES17_IbLb1EEEEDaS13_S14_EUlS13_E_NS1_11comp_targetILNS1_3genE9ELNS1_11target_archE1100ELNS1_3gpuE3ELNS1_3repE0EEENS1_30default_config_static_selectorELNS0_4arch9wavefront6targetE0EEEvT1_.has_dyn_sized_stack, 0
	.set _ZN7rocprim17ROCPRIM_400000_NS6detail17trampoline_kernelINS0_14default_configENS1_25partition_config_selectorILNS1_17partition_subalgoE6EfNS0_10empty_typeEbEEZZNS1_14partition_implILS5_6ELb0ES3_mN6thrust23THRUST_200600_302600_NS6detail15normal_iteratorINSA_10device_ptrIfEEEEPS6_SG_NS0_5tupleIJSF_S6_EEENSH_IJSG_SG_EEES6_PlJNSB_9not_fun_tINSB_14equal_to_valueIfEEEEEEE10hipError_tPvRmT3_T4_T5_T6_T7_T9_mT8_P12ihipStream_tbDpT10_ENKUlT_T0_E_clISt17integral_constantIbLb0EES17_IbLb1EEEEDaS13_S14_EUlS13_E_NS1_11comp_targetILNS1_3genE9ELNS1_11target_archE1100ELNS1_3gpuE3ELNS1_3repE0EEENS1_30default_config_static_selectorELNS0_4arch9wavefront6targetE0EEEvT1_.has_recursion, 0
	.set _ZN7rocprim17ROCPRIM_400000_NS6detail17trampoline_kernelINS0_14default_configENS1_25partition_config_selectorILNS1_17partition_subalgoE6EfNS0_10empty_typeEbEEZZNS1_14partition_implILS5_6ELb0ES3_mN6thrust23THRUST_200600_302600_NS6detail15normal_iteratorINSA_10device_ptrIfEEEEPS6_SG_NS0_5tupleIJSF_S6_EEENSH_IJSG_SG_EEES6_PlJNSB_9not_fun_tINSB_14equal_to_valueIfEEEEEEE10hipError_tPvRmT3_T4_T5_T6_T7_T9_mT8_P12ihipStream_tbDpT10_ENKUlT_T0_E_clISt17integral_constantIbLb0EES17_IbLb1EEEEDaS13_S14_EUlS13_E_NS1_11comp_targetILNS1_3genE9ELNS1_11target_archE1100ELNS1_3gpuE3ELNS1_3repE0EEENS1_30default_config_static_selectorELNS0_4arch9wavefront6targetE0EEEvT1_.has_indirect_call, 0
	.section	.AMDGPU.csdata,"",@progbits
; Kernel info:
; codeLenInByte = 0
; TotalNumSgprs: 0
; NumVgprs: 0
; ScratchSize: 0
; MemoryBound: 0
; FloatMode: 240
; IeeeMode: 1
; LDSByteSize: 0 bytes/workgroup (compile time only)
; SGPRBlocks: 0
; VGPRBlocks: 0
; NumSGPRsForWavesPerEU: 1
; NumVGPRsForWavesPerEU: 1
; Occupancy: 16
; WaveLimiterHint : 0
; COMPUTE_PGM_RSRC2:SCRATCH_EN: 0
; COMPUTE_PGM_RSRC2:USER_SGPR: 2
; COMPUTE_PGM_RSRC2:TRAP_HANDLER: 0
; COMPUTE_PGM_RSRC2:TGID_X_EN: 1
; COMPUTE_PGM_RSRC2:TGID_Y_EN: 0
; COMPUTE_PGM_RSRC2:TGID_Z_EN: 0
; COMPUTE_PGM_RSRC2:TIDIG_COMP_CNT: 0
	.section	.text._ZN7rocprim17ROCPRIM_400000_NS6detail17trampoline_kernelINS0_14default_configENS1_25partition_config_selectorILNS1_17partition_subalgoE6EfNS0_10empty_typeEbEEZZNS1_14partition_implILS5_6ELb0ES3_mN6thrust23THRUST_200600_302600_NS6detail15normal_iteratorINSA_10device_ptrIfEEEEPS6_SG_NS0_5tupleIJSF_S6_EEENSH_IJSG_SG_EEES6_PlJNSB_9not_fun_tINSB_14equal_to_valueIfEEEEEEE10hipError_tPvRmT3_T4_T5_T6_T7_T9_mT8_P12ihipStream_tbDpT10_ENKUlT_T0_E_clISt17integral_constantIbLb0EES17_IbLb1EEEEDaS13_S14_EUlS13_E_NS1_11comp_targetILNS1_3genE8ELNS1_11target_archE1030ELNS1_3gpuE2ELNS1_3repE0EEENS1_30default_config_static_selectorELNS0_4arch9wavefront6targetE0EEEvT1_,"axG",@progbits,_ZN7rocprim17ROCPRIM_400000_NS6detail17trampoline_kernelINS0_14default_configENS1_25partition_config_selectorILNS1_17partition_subalgoE6EfNS0_10empty_typeEbEEZZNS1_14partition_implILS5_6ELb0ES3_mN6thrust23THRUST_200600_302600_NS6detail15normal_iteratorINSA_10device_ptrIfEEEEPS6_SG_NS0_5tupleIJSF_S6_EEENSH_IJSG_SG_EEES6_PlJNSB_9not_fun_tINSB_14equal_to_valueIfEEEEEEE10hipError_tPvRmT3_T4_T5_T6_T7_T9_mT8_P12ihipStream_tbDpT10_ENKUlT_T0_E_clISt17integral_constantIbLb0EES17_IbLb1EEEEDaS13_S14_EUlS13_E_NS1_11comp_targetILNS1_3genE8ELNS1_11target_archE1030ELNS1_3gpuE2ELNS1_3repE0EEENS1_30default_config_static_selectorELNS0_4arch9wavefront6targetE0EEEvT1_,comdat
	.protected	_ZN7rocprim17ROCPRIM_400000_NS6detail17trampoline_kernelINS0_14default_configENS1_25partition_config_selectorILNS1_17partition_subalgoE6EfNS0_10empty_typeEbEEZZNS1_14partition_implILS5_6ELb0ES3_mN6thrust23THRUST_200600_302600_NS6detail15normal_iteratorINSA_10device_ptrIfEEEEPS6_SG_NS0_5tupleIJSF_S6_EEENSH_IJSG_SG_EEES6_PlJNSB_9not_fun_tINSB_14equal_to_valueIfEEEEEEE10hipError_tPvRmT3_T4_T5_T6_T7_T9_mT8_P12ihipStream_tbDpT10_ENKUlT_T0_E_clISt17integral_constantIbLb0EES17_IbLb1EEEEDaS13_S14_EUlS13_E_NS1_11comp_targetILNS1_3genE8ELNS1_11target_archE1030ELNS1_3gpuE2ELNS1_3repE0EEENS1_30default_config_static_selectorELNS0_4arch9wavefront6targetE0EEEvT1_ ; -- Begin function _ZN7rocprim17ROCPRIM_400000_NS6detail17trampoline_kernelINS0_14default_configENS1_25partition_config_selectorILNS1_17partition_subalgoE6EfNS0_10empty_typeEbEEZZNS1_14partition_implILS5_6ELb0ES3_mN6thrust23THRUST_200600_302600_NS6detail15normal_iteratorINSA_10device_ptrIfEEEEPS6_SG_NS0_5tupleIJSF_S6_EEENSH_IJSG_SG_EEES6_PlJNSB_9not_fun_tINSB_14equal_to_valueIfEEEEEEE10hipError_tPvRmT3_T4_T5_T6_T7_T9_mT8_P12ihipStream_tbDpT10_ENKUlT_T0_E_clISt17integral_constantIbLb0EES17_IbLb1EEEEDaS13_S14_EUlS13_E_NS1_11comp_targetILNS1_3genE8ELNS1_11target_archE1030ELNS1_3gpuE2ELNS1_3repE0EEENS1_30default_config_static_selectorELNS0_4arch9wavefront6targetE0EEEvT1_
	.globl	_ZN7rocprim17ROCPRIM_400000_NS6detail17trampoline_kernelINS0_14default_configENS1_25partition_config_selectorILNS1_17partition_subalgoE6EfNS0_10empty_typeEbEEZZNS1_14partition_implILS5_6ELb0ES3_mN6thrust23THRUST_200600_302600_NS6detail15normal_iteratorINSA_10device_ptrIfEEEEPS6_SG_NS0_5tupleIJSF_S6_EEENSH_IJSG_SG_EEES6_PlJNSB_9not_fun_tINSB_14equal_to_valueIfEEEEEEE10hipError_tPvRmT3_T4_T5_T6_T7_T9_mT8_P12ihipStream_tbDpT10_ENKUlT_T0_E_clISt17integral_constantIbLb0EES17_IbLb1EEEEDaS13_S14_EUlS13_E_NS1_11comp_targetILNS1_3genE8ELNS1_11target_archE1030ELNS1_3gpuE2ELNS1_3repE0EEENS1_30default_config_static_selectorELNS0_4arch9wavefront6targetE0EEEvT1_
	.p2align	8
	.type	_ZN7rocprim17ROCPRIM_400000_NS6detail17trampoline_kernelINS0_14default_configENS1_25partition_config_selectorILNS1_17partition_subalgoE6EfNS0_10empty_typeEbEEZZNS1_14partition_implILS5_6ELb0ES3_mN6thrust23THRUST_200600_302600_NS6detail15normal_iteratorINSA_10device_ptrIfEEEEPS6_SG_NS0_5tupleIJSF_S6_EEENSH_IJSG_SG_EEES6_PlJNSB_9not_fun_tINSB_14equal_to_valueIfEEEEEEE10hipError_tPvRmT3_T4_T5_T6_T7_T9_mT8_P12ihipStream_tbDpT10_ENKUlT_T0_E_clISt17integral_constantIbLb0EES17_IbLb1EEEEDaS13_S14_EUlS13_E_NS1_11comp_targetILNS1_3genE8ELNS1_11target_archE1030ELNS1_3gpuE2ELNS1_3repE0EEENS1_30default_config_static_selectorELNS0_4arch9wavefront6targetE0EEEvT1_,@function
_ZN7rocprim17ROCPRIM_400000_NS6detail17trampoline_kernelINS0_14default_configENS1_25partition_config_selectorILNS1_17partition_subalgoE6EfNS0_10empty_typeEbEEZZNS1_14partition_implILS5_6ELb0ES3_mN6thrust23THRUST_200600_302600_NS6detail15normal_iteratorINSA_10device_ptrIfEEEEPS6_SG_NS0_5tupleIJSF_S6_EEENSH_IJSG_SG_EEES6_PlJNSB_9not_fun_tINSB_14equal_to_valueIfEEEEEEE10hipError_tPvRmT3_T4_T5_T6_T7_T9_mT8_P12ihipStream_tbDpT10_ENKUlT_T0_E_clISt17integral_constantIbLb0EES17_IbLb1EEEEDaS13_S14_EUlS13_E_NS1_11comp_targetILNS1_3genE8ELNS1_11target_archE1030ELNS1_3gpuE2ELNS1_3repE0EEENS1_30default_config_static_selectorELNS0_4arch9wavefront6targetE0EEEvT1_: ; @_ZN7rocprim17ROCPRIM_400000_NS6detail17trampoline_kernelINS0_14default_configENS1_25partition_config_selectorILNS1_17partition_subalgoE6EfNS0_10empty_typeEbEEZZNS1_14partition_implILS5_6ELb0ES3_mN6thrust23THRUST_200600_302600_NS6detail15normal_iteratorINSA_10device_ptrIfEEEEPS6_SG_NS0_5tupleIJSF_S6_EEENSH_IJSG_SG_EEES6_PlJNSB_9not_fun_tINSB_14equal_to_valueIfEEEEEEE10hipError_tPvRmT3_T4_T5_T6_T7_T9_mT8_P12ihipStream_tbDpT10_ENKUlT_T0_E_clISt17integral_constantIbLb0EES17_IbLb1EEEEDaS13_S14_EUlS13_E_NS1_11comp_targetILNS1_3genE8ELNS1_11target_archE1030ELNS1_3gpuE2ELNS1_3repE0EEENS1_30default_config_static_selectorELNS0_4arch9wavefront6targetE0EEEvT1_
; %bb.0:
	.section	.rodata,"a",@progbits
	.p2align	6, 0x0
	.amdhsa_kernel _ZN7rocprim17ROCPRIM_400000_NS6detail17trampoline_kernelINS0_14default_configENS1_25partition_config_selectorILNS1_17partition_subalgoE6EfNS0_10empty_typeEbEEZZNS1_14partition_implILS5_6ELb0ES3_mN6thrust23THRUST_200600_302600_NS6detail15normal_iteratorINSA_10device_ptrIfEEEEPS6_SG_NS0_5tupleIJSF_S6_EEENSH_IJSG_SG_EEES6_PlJNSB_9not_fun_tINSB_14equal_to_valueIfEEEEEEE10hipError_tPvRmT3_T4_T5_T6_T7_T9_mT8_P12ihipStream_tbDpT10_ENKUlT_T0_E_clISt17integral_constantIbLb0EES17_IbLb1EEEEDaS13_S14_EUlS13_E_NS1_11comp_targetILNS1_3genE8ELNS1_11target_archE1030ELNS1_3gpuE2ELNS1_3repE0EEENS1_30default_config_static_selectorELNS0_4arch9wavefront6targetE0EEEvT1_
		.amdhsa_group_segment_fixed_size 0
		.amdhsa_private_segment_fixed_size 0
		.amdhsa_kernarg_size 128
		.amdhsa_user_sgpr_count 2
		.amdhsa_user_sgpr_dispatch_ptr 0
		.amdhsa_user_sgpr_queue_ptr 0
		.amdhsa_user_sgpr_kernarg_segment_ptr 1
		.amdhsa_user_sgpr_dispatch_id 0
		.amdhsa_user_sgpr_private_segment_size 0
		.amdhsa_wavefront_size32 1
		.amdhsa_uses_dynamic_stack 0
		.amdhsa_enable_private_segment 0
		.amdhsa_system_sgpr_workgroup_id_x 1
		.amdhsa_system_sgpr_workgroup_id_y 0
		.amdhsa_system_sgpr_workgroup_id_z 0
		.amdhsa_system_sgpr_workgroup_info 0
		.amdhsa_system_vgpr_workitem_id 0
		.amdhsa_next_free_vgpr 1
		.amdhsa_next_free_sgpr 1
		.amdhsa_reserve_vcc 0
		.amdhsa_float_round_mode_32 0
		.amdhsa_float_round_mode_16_64 0
		.amdhsa_float_denorm_mode_32 3
		.amdhsa_float_denorm_mode_16_64 3
		.amdhsa_fp16_overflow 0
		.amdhsa_workgroup_processor_mode 1
		.amdhsa_memory_ordered 1
		.amdhsa_forward_progress 1
		.amdhsa_inst_pref_size 0
		.amdhsa_round_robin_scheduling 0
		.amdhsa_exception_fp_ieee_invalid_op 0
		.amdhsa_exception_fp_denorm_src 0
		.amdhsa_exception_fp_ieee_div_zero 0
		.amdhsa_exception_fp_ieee_overflow 0
		.amdhsa_exception_fp_ieee_underflow 0
		.amdhsa_exception_fp_ieee_inexact 0
		.amdhsa_exception_int_div_zero 0
	.end_amdhsa_kernel
	.section	.text._ZN7rocprim17ROCPRIM_400000_NS6detail17trampoline_kernelINS0_14default_configENS1_25partition_config_selectorILNS1_17partition_subalgoE6EfNS0_10empty_typeEbEEZZNS1_14partition_implILS5_6ELb0ES3_mN6thrust23THRUST_200600_302600_NS6detail15normal_iteratorINSA_10device_ptrIfEEEEPS6_SG_NS0_5tupleIJSF_S6_EEENSH_IJSG_SG_EEES6_PlJNSB_9not_fun_tINSB_14equal_to_valueIfEEEEEEE10hipError_tPvRmT3_T4_T5_T6_T7_T9_mT8_P12ihipStream_tbDpT10_ENKUlT_T0_E_clISt17integral_constantIbLb0EES17_IbLb1EEEEDaS13_S14_EUlS13_E_NS1_11comp_targetILNS1_3genE8ELNS1_11target_archE1030ELNS1_3gpuE2ELNS1_3repE0EEENS1_30default_config_static_selectorELNS0_4arch9wavefront6targetE0EEEvT1_,"axG",@progbits,_ZN7rocprim17ROCPRIM_400000_NS6detail17trampoline_kernelINS0_14default_configENS1_25partition_config_selectorILNS1_17partition_subalgoE6EfNS0_10empty_typeEbEEZZNS1_14partition_implILS5_6ELb0ES3_mN6thrust23THRUST_200600_302600_NS6detail15normal_iteratorINSA_10device_ptrIfEEEEPS6_SG_NS0_5tupleIJSF_S6_EEENSH_IJSG_SG_EEES6_PlJNSB_9not_fun_tINSB_14equal_to_valueIfEEEEEEE10hipError_tPvRmT3_T4_T5_T6_T7_T9_mT8_P12ihipStream_tbDpT10_ENKUlT_T0_E_clISt17integral_constantIbLb0EES17_IbLb1EEEEDaS13_S14_EUlS13_E_NS1_11comp_targetILNS1_3genE8ELNS1_11target_archE1030ELNS1_3gpuE2ELNS1_3repE0EEENS1_30default_config_static_selectorELNS0_4arch9wavefront6targetE0EEEvT1_,comdat
.Lfunc_end340:
	.size	_ZN7rocprim17ROCPRIM_400000_NS6detail17trampoline_kernelINS0_14default_configENS1_25partition_config_selectorILNS1_17partition_subalgoE6EfNS0_10empty_typeEbEEZZNS1_14partition_implILS5_6ELb0ES3_mN6thrust23THRUST_200600_302600_NS6detail15normal_iteratorINSA_10device_ptrIfEEEEPS6_SG_NS0_5tupleIJSF_S6_EEENSH_IJSG_SG_EEES6_PlJNSB_9not_fun_tINSB_14equal_to_valueIfEEEEEEE10hipError_tPvRmT3_T4_T5_T6_T7_T9_mT8_P12ihipStream_tbDpT10_ENKUlT_T0_E_clISt17integral_constantIbLb0EES17_IbLb1EEEEDaS13_S14_EUlS13_E_NS1_11comp_targetILNS1_3genE8ELNS1_11target_archE1030ELNS1_3gpuE2ELNS1_3repE0EEENS1_30default_config_static_selectorELNS0_4arch9wavefront6targetE0EEEvT1_, .Lfunc_end340-_ZN7rocprim17ROCPRIM_400000_NS6detail17trampoline_kernelINS0_14default_configENS1_25partition_config_selectorILNS1_17partition_subalgoE6EfNS0_10empty_typeEbEEZZNS1_14partition_implILS5_6ELb0ES3_mN6thrust23THRUST_200600_302600_NS6detail15normal_iteratorINSA_10device_ptrIfEEEEPS6_SG_NS0_5tupleIJSF_S6_EEENSH_IJSG_SG_EEES6_PlJNSB_9not_fun_tINSB_14equal_to_valueIfEEEEEEE10hipError_tPvRmT3_T4_T5_T6_T7_T9_mT8_P12ihipStream_tbDpT10_ENKUlT_T0_E_clISt17integral_constantIbLb0EES17_IbLb1EEEEDaS13_S14_EUlS13_E_NS1_11comp_targetILNS1_3genE8ELNS1_11target_archE1030ELNS1_3gpuE2ELNS1_3repE0EEENS1_30default_config_static_selectorELNS0_4arch9wavefront6targetE0EEEvT1_
                                        ; -- End function
	.set _ZN7rocprim17ROCPRIM_400000_NS6detail17trampoline_kernelINS0_14default_configENS1_25partition_config_selectorILNS1_17partition_subalgoE6EfNS0_10empty_typeEbEEZZNS1_14partition_implILS5_6ELb0ES3_mN6thrust23THRUST_200600_302600_NS6detail15normal_iteratorINSA_10device_ptrIfEEEEPS6_SG_NS0_5tupleIJSF_S6_EEENSH_IJSG_SG_EEES6_PlJNSB_9not_fun_tINSB_14equal_to_valueIfEEEEEEE10hipError_tPvRmT3_T4_T5_T6_T7_T9_mT8_P12ihipStream_tbDpT10_ENKUlT_T0_E_clISt17integral_constantIbLb0EES17_IbLb1EEEEDaS13_S14_EUlS13_E_NS1_11comp_targetILNS1_3genE8ELNS1_11target_archE1030ELNS1_3gpuE2ELNS1_3repE0EEENS1_30default_config_static_selectorELNS0_4arch9wavefront6targetE0EEEvT1_.num_vgpr, 0
	.set _ZN7rocprim17ROCPRIM_400000_NS6detail17trampoline_kernelINS0_14default_configENS1_25partition_config_selectorILNS1_17partition_subalgoE6EfNS0_10empty_typeEbEEZZNS1_14partition_implILS5_6ELb0ES3_mN6thrust23THRUST_200600_302600_NS6detail15normal_iteratorINSA_10device_ptrIfEEEEPS6_SG_NS0_5tupleIJSF_S6_EEENSH_IJSG_SG_EEES6_PlJNSB_9not_fun_tINSB_14equal_to_valueIfEEEEEEE10hipError_tPvRmT3_T4_T5_T6_T7_T9_mT8_P12ihipStream_tbDpT10_ENKUlT_T0_E_clISt17integral_constantIbLb0EES17_IbLb1EEEEDaS13_S14_EUlS13_E_NS1_11comp_targetILNS1_3genE8ELNS1_11target_archE1030ELNS1_3gpuE2ELNS1_3repE0EEENS1_30default_config_static_selectorELNS0_4arch9wavefront6targetE0EEEvT1_.num_agpr, 0
	.set _ZN7rocprim17ROCPRIM_400000_NS6detail17trampoline_kernelINS0_14default_configENS1_25partition_config_selectorILNS1_17partition_subalgoE6EfNS0_10empty_typeEbEEZZNS1_14partition_implILS5_6ELb0ES3_mN6thrust23THRUST_200600_302600_NS6detail15normal_iteratorINSA_10device_ptrIfEEEEPS6_SG_NS0_5tupleIJSF_S6_EEENSH_IJSG_SG_EEES6_PlJNSB_9not_fun_tINSB_14equal_to_valueIfEEEEEEE10hipError_tPvRmT3_T4_T5_T6_T7_T9_mT8_P12ihipStream_tbDpT10_ENKUlT_T0_E_clISt17integral_constantIbLb0EES17_IbLb1EEEEDaS13_S14_EUlS13_E_NS1_11comp_targetILNS1_3genE8ELNS1_11target_archE1030ELNS1_3gpuE2ELNS1_3repE0EEENS1_30default_config_static_selectorELNS0_4arch9wavefront6targetE0EEEvT1_.numbered_sgpr, 0
	.set _ZN7rocprim17ROCPRIM_400000_NS6detail17trampoline_kernelINS0_14default_configENS1_25partition_config_selectorILNS1_17partition_subalgoE6EfNS0_10empty_typeEbEEZZNS1_14partition_implILS5_6ELb0ES3_mN6thrust23THRUST_200600_302600_NS6detail15normal_iteratorINSA_10device_ptrIfEEEEPS6_SG_NS0_5tupleIJSF_S6_EEENSH_IJSG_SG_EEES6_PlJNSB_9not_fun_tINSB_14equal_to_valueIfEEEEEEE10hipError_tPvRmT3_T4_T5_T6_T7_T9_mT8_P12ihipStream_tbDpT10_ENKUlT_T0_E_clISt17integral_constantIbLb0EES17_IbLb1EEEEDaS13_S14_EUlS13_E_NS1_11comp_targetILNS1_3genE8ELNS1_11target_archE1030ELNS1_3gpuE2ELNS1_3repE0EEENS1_30default_config_static_selectorELNS0_4arch9wavefront6targetE0EEEvT1_.num_named_barrier, 0
	.set _ZN7rocprim17ROCPRIM_400000_NS6detail17trampoline_kernelINS0_14default_configENS1_25partition_config_selectorILNS1_17partition_subalgoE6EfNS0_10empty_typeEbEEZZNS1_14partition_implILS5_6ELb0ES3_mN6thrust23THRUST_200600_302600_NS6detail15normal_iteratorINSA_10device_ptrIfEEEEPS6_SG_NS0_5tupleIJSF_S6_EEENSH_IJSG_SG_EEES6_PlJNSB_9not_fun_tINSB_14equal_to_valueIfEEEEEEE10hipError_tPvRmT3_T4_T5_T6_T7_T9_mT8_P12ihipStream_tbDpT10_ENKUlT_T0_E_clISt17integral_constantIbLb0EES17_IbLb1EEEEDaS13_S14_EUlS13_E_NS1_11comp_targetILNS1_3genE8ELNS1_11target_archE1030ELNS1_3gpuE2ELNS1_3repE0EEENS1_30default_config_static_selectorELNS0_4arch9wavefront6targetE0EEEvT1_.private_seg_size, 0
	.set _ZN7rocprim17ROCPRIM_400000_NS6detail17trampoline_kernelINS0_14default_configENS1_25partition_config_selectorILNS1_17partition_subalgoE6EfNS0_10empty_typeEbEEZZNS1_14partition_implILS5_6ELb0ES3_mN6thrust23THRUST_200600_302600_NS6detail15normal_iteratorINSA_10device_ptrIfEEEEPS6_SG_NS0_5tupleIJSF_S6_EEENSH_IJSG_SG_EEES6_PlJNSB_9not_fun_tINSB_14equal_to_valueIfEEEEEEE10hipError_tPvRmT3_T4_T5_T6_T7_T9_mT8_P12ihipStream_tbDpT10_ENKUlT_T0_E_clISt17integral_constantIbLb0EES17_IbLb1EEEEDaS13_S14_EUlS13_E_NS1_11comp_targetILNS1_3genE8ELNS1_11target_archE1030ELNS1_3gpuE2ELNS1_3repE0EEENS1_30default_config_static_selectorELNS0_4arch9wavefront6targetE0EEEvT1_.uses_vcc, 0
	.set _ZN7rocprim17ROCPRIM_400000_NS6detail17trampoline_kernelINS0_14default_configENS1_25partition_config_selectorILNS1_17partition_subalgoE6EfNS0_10empty_typeEbEEZZNS1_14partition_implILS5_6ELb0ES3_mN6thrust23THRUST_200600_302600_NS6detail15normal_iteratorINSA_10device_ptrIfEEEEPS6_SG_NS0_5tupleIJSF_S6_EEENSH_IJSG_SG_EEES6_PlJNSB_9not_fun_tINSB_14equal_to_valueIfEEEEEEE10hipError_tPvRmT3_T4_T5_T6_T7_T9_mT8_P12ihipStream_tbDpT10_ENKUlT_T0_E_clISt17integral_constantIbLb0EES17_IbLb1EEEEDaS13_S14_EUlS13_E_NS1_11comp_targetILNS1_3genE8ELNS1_11target_archE1030ELNS1_3gpuE2ELNS1_3repE0EEENS1_30default_config_static_selectorELNS0_4arch9wavefront6targetE0EEEvT1_.uses_flat_scratch, 0
	.set _ZN7rocprim17ROCPRIM_400000_NS6detail17trampoline_kernelINS0_14default_configENS1_25partition_config_selectorILNS1_17partition_subalgoE6EfNS0_10empty_typeEbEEZZNS1_14partition_implILS5_6ELb0ES3_mN6thrust23THRUST_200600_302600_NS6detail15normal_iteratorINSA_10device_ptrIfEEEEPS6_SG_NS0_5tupleIJSF_S6_EEENSH_IJSG_SG_EEES6_PlJNSB_9not_fun_tINSB_14equal_to_valueIfEEEEEEE10hipError_tPvRmT3_T4_T5_T6_T7_T9_mT8_P12ihipStream_tbDpT10_ENKUlT_T0_E_clISt17integral_constantIbLb0EES17_IbLb1EEEEDaS13_S14_EUlS13_E_NS1_11comp_targetILNS1_3genE8ELNS1_11target_archE1030ELNS1_3gpuE2ELNS1_3repE0EEENS1_30default_config_static_selectorELNS0_4arch9wavefront6targetE0EEEvT1_.has_dyn_sized_stack, 0
	.set _ZN7rocprim17ROCPRIM_400000_NS6detail17trampoline_kernelINS0_14default_configENS1_25partition_config_selectorILNS1_17partition_subalgoE6EfNS0_10empty_typeEbEEZZNS1_14partition_implILS5_6ELb0ES3_mN6thrust23THRUST_200600_302600_NS6detail15normal_iteratorINSA_10device_ptrIfEEEEPS6_SG_NS0_5tupleIJSF_S6_EEENSH_IJSG_SG_EEES6_PlJNSB_9not_fun_tINSB_14equal_to_valueIfEEEEEEE10hipError_tPvRmT3_T4_T5_T6_T7_T9_mT8_P12ihipStream_tbDpT10_ENKUlT_T0_E_clISt17integral_constantIbLb0EES17_IbLb1EEEEDaS13_S14_EUlS13_E_NS1_11comp_targetILNS1_3genE8ELNS1_11target_archE1030ELNS1_3gpuE2ELNS1_3repE0EEENS1_30default_config_static_selectorELNS0_4arch9wavefront6targetE0EEEvT1_.has_recursion, 0
	.set _ZN7rocprim17ROCPRIM_400000_NS6detail17trampoline_kernelINS0_14default_configENS1_25partition_config_selectorILNS1_17partition_subalgoE6EfNS0_10empty_typeEbEEZZNS1_14partition_implILS5_6ELb0ES3_mN6thrust23THRUST_200600_302600_NS6detail15normal_iteratorINSA_10device_ptrIfEEEEPS6_SG_NS0_5tupleIJSF_S6_EEENSH_IJSG_SG_EEES6_PlJNSB_9not_fun_tINSB_14equal_to_valueIfEEEEEEE10hipError_tPvRmT3_T4_T5_T6_T7_T9_mT8_P12ihipStream_tbDpT10_ENKUlT_T0_E_clISt17integral_constantIbLb0EES17_IbLb1EEEEDaS13_S14_EUlS13_E_NS1_11comp_targetILNS1_3genE8ELNS1_11target_archE1030ELNS1_3gpuE2ELNS1_3repE0EEENS1_30default_config_static_selectorELNS0_4arch9wavefront6targetE0EEEvT1_.has_indirect_call, 0
	.section	.AMDGPU.csdata,"",@progbits
; Kernel info:
; codeLenInByte = 0
; TotalNumSgprs: 0
; NumVgprs: 0
; ScratchSize: 0
; MemoryBound: 0
; FloatMode: 240
; IeeeMode: 1
; LDSByteSize: 0 bytes/workgroup (compile time only)
; SGPRBlocks: 0
; VGPRBlocks: 0
; NumSGPRsForWavesPerEU: 1
; NumVGPRsForWavesPerEU: 1
; Occupancy: 16
; WaveLimiterHint : 0
; COMPUTE_PGM_RSRC2:SCRATCH_EN: 0
; COMPUTE_PGM_RSRC2:USER_SGPR: 2
; COMPUTE_PGM_RSRC2:TRAP_HANDLER: 0
; COMPUTE_PGM_RSRC2:TGID_X_EN: 1
; COMPUTE_PGM_RSRC2:TGID_Y_EN: 0
; COMPUTE_PGM_RSRC2:TGID_Z_EN: 0
; COMPUTE_PGM_RSRC2:TIDIG_COMP_CNT: 0
	.section	.text._ZN7rocprim17ROCPRIM_400000_NS6detail17trampoline_kernelINS0_14default_configENS1_25partition_config_selectorILNS1_17partition_subalgoE6EyNS0_10empty_typeEbEEZZNS1_14partition_implILS5_6ELb0ES3_mN6thrust23THRUST_200600_302600_NS6detail15normal_iteratorINSA_10device_ptrIyEEEEPS6_SG_NS0_5tupleIJSF_S6_EEENSH_IJSG_SG_EEES6_PlJNSB_9not_fun_tINSB_14equal_to_valueIyEEEEEEE10hipError_tPvRmT3_T4_T5_T6_T7_T9_mT8_P12ihipStream_tbDpT10_ENKUlT_T0_E_clISt17integral_constantIbLb0EES18_EEDaS13_S14_EUlS13_E_NS1_11comp_targetILNS1_3genE0ELNS1_11target_archE4294967295ELNS1_3gpuE0ELNS1_3repE0EEENS1_30default_config_static_selectorELNS0_4arch9wavefront6targetE0EEEvT1_,"axG",@progbits,_ZN7rocprim17ROCPRIM_400000_NS6detail17trampoline_kernelINS0_14default_configENS1_25partition_config_selectorILNS1_17partition_subalgoE6EyNS0_10empty_typeEbEEZZNS1_14partition_implILS5_6ELb0ES3_mN6thrust23THRUST_200600_302600_NS6detail15normal_iteratorINSA_10device_ptrIyEEEEPS6_SG_NS0_5tupleIJSF_S6_EEENSH_IJSG_SG_EEES6_PlJNSB_9not_fun_tINSB_14equal_to_valueIyEEEEEEE10hipError_tPvRmT3_T4_T5_T6_T7_T9_mT8_P12ihipStream_tbDpT10_ENKUlT_T0_E_clISt17integral_constantIbLb0EES18_EEDaS13_S14_EUlS13_E_NS1_11comp_targetILNS1_3genE0ELNS1_11target_archE4294967295ELNS1_3gpuE0ELNS1_3repE0EEENS1_30default_config_static_selectorELNS0_4arch9wavefront6targetE0EEEvT1_,comdat
	.protected	_ZN7rocprim17ROCPRIM_400000_NS6detail17trampoline_kernelINS0_14default_configENS1_25partition_config_selectorILNS1_17partition_subalgoE6EyNS0_10empty_typeEbEEZZNS1_14partition_implILS5_6ELb0ES3_mN6thrust23THRUST_200600_302600_NS6detail15normal_iteratorINSA_10device_ptrIyEEEEPS6_SG_NS0_5tupleIJSF_S6_EEENSH_IJSG_SG_EEES6_PlJNSB_9not_fun_tINSB_14equal_to_valueIyEEEEEEE10hipError_tPvRmT3_T4_T5_T6_T7_T9_mT8_P12ihipStream_tbDpT10_ENKUlT_T0_E_clISt17integral_constantIbLb0EES18_EEDaS13_S14_EUlS13_E_NS1_11comp_targetILNS1_3genE0ELNS1_11target_archE4294967295ELNS1_3gpuE0ELNS1_3repE0EEENS1_30default_config_static_selectorELNS0_4arch9wavefront6targetE0EEEvT1_ ; -- Begin function _ZN7rocprim17ROCPRIM_400000_NS6detail17trampoline_kernelINS0_14default_configENS1_25partition_config_selectorILNS1_17partition_subalgoE6EyNS0_10empty_typeEbEEZZNS1_14partition_implILS5_6ELb0ES3_mN6thrust23THRUST_200600_302600_NS6detail15normal_iteratorINSA_10device_ptrIyEEEEPS6_SG_NS0_5tupleIJSF_S6_EEENSH_IJSG_SG_EEES6_PlJNSB_9not_fun_tINSB_14equal_to_valueIyEEEEEEE10hipError_tPvRmT3_T4_T5_T6_T7_T9_mT8_P12ihipStream_tbDpT10_ENKUlT_T0_E_clISt17integral_constantIbLb0EES18_EEDaS13_S14_EUlS13_E_NS1_11comp_targetILNS1_3genE0ELNS1_11target_archE4294967295ELNS1_3gpuE0ELNS1_3repE0EEENS1_30default_config_static_selectorELNS0_4arch9wavefront6targetE0EEEvT1_
	.globl	_ZN7rocprim17ROCPRIM_400000_NS6detail17trampoline_kernelINS0_14default_configENS1_25partition_config_selectorILNS1_17partition_subalgoE6EyNS0_10empty_typeEbEEZZNS1_14partition_implILS5_6ELb0ES3_mN6thrust23THRUST_200600_302600_NS6detail15normal_iteratorINSA_10device_ptrIyEEEEPS6_SG_NS0_5tupleIJSF_S6_EEENSH_IJSG_SG_EEES6_PlJNSB_9not_fun_tINSB_14equal_to_valueIyEEEEEEE10hipError_tPvRmT3_T4_T5_T6_T7_T9_mT8_P12ihipStream_tbDpT10_ENKUlT_T0_E_clISt17integral_constantIbLb0EES18_EEDaS13_S14_EUlS13_E_NS1_11comp_targetILNS1_3genE0ELNS1_11target_archE4294967295ELNS1_3gpuE0ELNS1_3repE0EEENS1_30default_config_static_selectorELNS0_4arch9wavefront6targetE0EEEvT1_
	.p2align	8
	.type	_ZN7rocprim17ROCPRIM_400000_NS6detail17trampoline_kernelINS0_14default_configENS1_25partition_config_selectorILNS1_17partition_subalgoE6EyNS0_10empty_typeEbEEZZNS1_14partition_implILS5_6ELb0ES3_mN6thrust23THRUST_200600_302600_NS6detail15normal_iteratorINSA_10device_ptrIyEEEEPS6_SG_NS0_5tupleIJSF_S6_EEENSH_IJSG_SG_EEES6_PlJNSB_9not_fun_tINSB_14equal_to_valueIyEEEEEEE10hipError_tPvRmT3_T4_T5_T6_T7_T9_mT8_P12ihipStream_tbDpT10_ENKUlT_T0_E_clISt17integral_constantIbLb0EES18_EEDaS13_S14_EUlS13_E_NS1_11comp_targetILNS1_3genE0ELNS1_11target_archE4294967295ELNS1_3gpuE0ELNS1_3repE0EEENS1_30default_config_static_selectorELNS0_4arch9wavefront6targetE0EEEvT1_,@function
_ZN7rocprim17ROCPRIM_400000_NS6detail17trampoline_kernelINS0_14default_configENS1_25partition_config_selectorILNS1_17partition_subalgoE6EyNS0_10empty_typeEbEEZZNS1_14partition_implILS5_6ELb0ES3_mN6thrust23THRUST_200600_302600_NS6detail15normal_iteratorINSA_10device_ptrIyEEEEPS6_SG_NS0_5tupleIJSF_S6_EEENSH_IJSG_SG_EEES6_PlJNSB_9not_fun_tINSB_14equal_to_valueIyEEEEEEE10hipError_tPvRmT3_T4_T5_T6_T7_T9_mT8_P12ihipStream_tbDpT10_ENKUlT_T0_E_clISt17integral_constantIbLb0EES18_EEDaS13_S14_EUlS13_E_NS1_11comp_targetILNS1_3genE0ELNS1_11target_archE4294967295ELNS1_3gpuE0ELNS1_3repE0EEENS1_30default_config_static_selectorELNS0_4arch9wavefront6targetE0EEEvT1_: ; @_ZN7rocprim17ROCPRIM_400000_NS6detail17trampoline_kernelINS0_14default_configENS1_25partition_config_selectorILNS1_17partition_subalgoE6EyNS0_10empty_typeEbEEZZNS1_14partition_implILS5_6ELb0ES3_mN6thrust23THRUST_200600_302600_NS6detail15normal_iteratorINSA_10device_ptrIyEEEEPS6_SG_NS0_5tupleIJSF_S6_EEENSH_IJSG_SG_EEES6_PlJNSB_9not_fun_tINSB_14equal_to_valueIyEEEEEEE10hipError_tPvRmT3_T4_T5_T6_T7_T9_mT8_P12ihipStream_tbDpT10_ENKUlT_T0_E_clISt17integral_constantIbLb0EES18_EEDaS13_S14_EUlS13_E_NS1_11comp_targetILNS1_3genE0ELNS1_11target_archE4294967295ELNS1_3gpuE0ELNS1_3repE0EEENS1_30default_config_static_selectorELNS0_4arch9wavefront6targetE0EEEvT1_
; %bb.0:
	.section	.rodata,"a",@progbits
	.p2align	6, 0x0
	.amdhsa_kernel _ZN7rocprim17ROCPRIM_400000_NS6detail17trampoline_kernelINS0_14default_configENS1_25partition_config_selectorILNS1_17partition_subalgoE6EyNS0_10empty_typeEbEEZZNS1_14partition_implILS5_6ELb0ES3_mN6thrust23THRUST_200600_302600_NS6detail15normal_iteratorINSA_10device_ptrIyEEEEPS6_SG_NS0_5tupleIJSF_S6_EEENSH_IJSG_SG_EEES6_PlJNSB_9not_fun_tINSB_14equal_to_valueIyEEEEEEE10hipError_tPvRmT3_T4_T5_T6_T7_T9_mT8_P12ihipStream_tbDpT10_ENKUlT_T0_E_clISt17integral_constantIbLb0EES18_EEDaS13_S14_EUlS13_E_NS1_11comp_targetILNS1_3genE0ELNS1_11target_archE4294967295ELNS1_3gpuE0ELNS1_3repE0EEENS1_30default_config_static_selectorELNS0_4arch9wavefront6targetE0EEEvT1_
		.amdhsa_group_segment_fixed_size 0
		.amdhsa_private_segment_fixed_size 0
		.amdhsa_kernarg_size 120
		.amdhsa_user_sgpr_count 2
		.amdhsa_user_sgpr_dispatch_ptr 0
		.amdhsa_user_sgpr_queue_ptr 0
		.amdhsa_user_sgpr_kernarg_segment_ptr 1
		.amdhsa_user_sgpr_dispatch_id 0
		.amdhsa_user_sgpr_private_segment_size 0
		.amdhsa_wavefront_size32 1
		.amdhsa_uses_dynamic_stack 0
		.amdhsa_enable_private_segment 0
		.amdhsa_system_sgpr_workgroup_id_x 1
		.amdhsa_system_sgpr_workgroup_id_y 0
		.amdhsa_system_sgpr_workgroup_id_z 0
		.amdhsa_system_sgpr_workgroup_info 0
		.amdhsa_system_vgpr_workitem_id 0
		.amdhsa_next_free_vgpr 1
		.amdhsa_next_free_sgpr 1
		.amdhsa_reserve_vcc 0
		.amdhsa_float_round_mode_32 0
		.amdhsa_float_round_mode_16_64 0
		.amdhsa_float_denorm_mode_32 3
		.amdhsa_float_denorm_mode_16_64 3
		.amdhsa_fp16_overflow 0
		.amdhsa_workgroup_processor_mode 1
		.amdhsa_memory_ordered 1
		.amdhsa_forward_progress 1
		.amdhsa_inst_pref_size 0
		.amdhsa_round_robin_scheduling 0
		.amdhsa_exception_fp_ieee_invalid_op 0
		.amdhsa_exception_fp_denorm_src 0
		.amdhsa_exception_fp_ieee_div_zero 0
		.amdhsa_exception_fp_ieee_overflow 0
		.amdhsa_exception_fp_ieee_underflow 0
		.amdhsa_exception_fp_ieee_inexact 0
		.amdhsa_exception_int_div_zero 0
	.end_amdhsa_kernel
	.section	.text._ZN7rocprim17ROCPRIM_400000_NS6detail17trampoline_kernelINS0_14default_configENS1_25partition_config_selectorILNS1_17partition_subalgoE6EyNS0_10empty_typeEbEEZZNS1_14partition_implILS5_6ELb0ES3_mN6thrust23THRUST_200600_302600_NS6detail15normal_iteratorINSA_10device_ptrIyEEEEPS6_SG_NS0_5tupleIJSF_S6_EEENSH_IJSG_SG_EEES6_PlJNSB_9not_fun_tINSB_14equal_to_valueIyEEEEEEE10hipError_tPvRmT3_T4_T5_T6_T7_T9_mT8_P12ihipStream_tbDpT10_ENKUlT_T0_E_clISt17integral_constantIbLb0EES18_EEDaS13_S14_EUlS13_E_NS1_11comp_targetILNS1_3genE0ELNS1_11target_archE4294967295ELNS1_3gpuE0ELNS1_3repE0EEENS1_30default_config_static_selectorELNS0_4arch9wavefront6targetE0EEEvT1_,"axG",@progbits,_ZN7rocprim17ROCPRIM_400000_NS6detail17trampoline_kernelINS0_14default_configENS1_25partition_config_selectorILNS1_17partition_subalgoE6EyNS0_10empty_typeEbEEZZNS1_14partition_implILS5_6ELb0ES3_mN6thrust23THRUST_200600_302600_NS6detail15normal_iteratorINSA_10device_ptrIyEEEEPS6_SG_NS0_5tupleIJSF_S6_EEENSH_IJSG_SG_EEES6_PlJNSB_9not_fun_tINSB_14equal_to_valueIyEEEEEEE10hipError_tPvRmT3_T4_T5_T6_T7_T9_mT8_P12ihipStream_tbDpT10_ENKUlT_T0_E_clISt17integral_constantIbLb0EES18_EEDaS13_S14_EUlS13_E_NS1_11comp_targetILNS1_3genE0ELNS1_11target_archE4294967295ELNS1_3gpuE0ELNS1_3repE0EEENS1_30default_config_static_selectorELNS0_4arch9wavefront6targetE0EEEvT1_,comdat
.Lfunc_end341:
	.size	_ZN7rocprim17ROCPRIM_400000_NS6detail17trampoline_kernelINS0_14default_configENS1_25partition_config_selectorILNS1_17partition_subalgoE6EyNS0_10empty_typeEbEEZZNS1_14partition_implILS5_6ELb0ES3_mN6thrust23THRUST_200600_302600_NS6detail15normal_iteratorINSA_10device_ptrIyEEEEPS6_SG_NS0_5tupleIJSF_S6_EEENSH_IJSG_SG_EEES6_PlJNSB_9not_fun_tINSB_14equal_to_valueIyEEEEEEE10hipError_tPvRmT3_T4_T5_T6_T7_T9_mT8_P12ihipStream_tbDpT10_ENKUlT_T0_E_clISt17integral_constantIbLb0EES18_EEDaS13_S14_EUlS13_E_NS1_11comp_targetILNS1_3genE0ELNS1_11target_archE4294967295ELNS1_3gpuE0ELNS1_3repE0EEENS1_30default_config_static_selectorELNS0_4arch9wavefront6targetE0EEEvT1_, .Lfunc_end341-_ZN7rocprim17ROCPRIM_400000_NS6detail17trampoline_kernelINS0_14default_configENS1_25partition_config_selectorILNS1_17partition_subalgoE6EyNS0_10empty_typeEbEEZZNS1_14partition_implILS5_6ELb0ES3_mN6thrust23THRUST_200600_302600_NS6detail15normal_iteratorINSA_10device_ptrIyEEEEPS6_SG_NS0_5tupleIJSF_S6_EEENSH_IJSG_SG_EEES6_PlJNSB_9not_fun_tINSB_14equal_to_valueIyEEEEEEE10hipError_tPvRmT3_T4_T5_T6_T7_T9_mT8_P12ihipStream_tbDpT10_ENKUlT_T0_E_clISt17integral_constantIbLb0EES18_EEDaS13_S14_EUlS13_E_NS1_11comp_targetILNS1_3genE0ELNS1_11target_archE4294967295ELNS1_3gpuE0ELNS1_3repE0EEENS1_30default_config_static_selectorELNS0_4arch9wavefront6targetE0EEEvT1_
                                        ; -- End function
	.set _ZN7rocprim17ROCPRIM_400000_NS6detail17trampoline_kernelINS0_14default_configENS1_25partition_config_selectorILNS1_17partition_subalgoE6EyNS0_10empty_typeEbEEZZNS1_14partition_implILS5_6ELb0ES3_mN6thrust23THRUST_200600_302600_NS6detail15normal_iteratorINSA_10device_ptrIyEEEEPS6_SG_NS0_5tupleIJSF_S6_EEENSH_IJSG_SG_EEES6_PlJNSB_9not_fun_tINSB_14equal_to_valueIyEEEEEEE10hipError_tPvRmT3_T4_T5_T6_T7_T9_mT8_P12ihipStream_tbDpT10_ENKUlT_T0_E_clISt17integral_constantIbLb0EES18_EEDaS13_S14_EUlS13_E_NS1_11comp_targetILNS1_3genE0ELNS1_11target_archE4294967295ELNS1_3gpuE0ELNS1_3repE0EEENS1_30default_config_static_selectorELNS0_4arch9wavefront6targetE0EEEvT1_.num_vgpr, 0
	.set _ZN7rocprim17ROCPRIM_400000_NS6detail17trampoline_kernelINS0_14default_configENS1_25partition_config_selectorILNS1_17partition_subalgoE6EyNS0_10empty_typeEbEEZZNS1_14partition_implILS5_6ELb0ES3_mN6thrust23THRUST_200600_302600_NS6detail15normal_iteratorINSA_10device_ptrIyEEEEPS6_SG_NS0_5tupleIJSF_S6_EEENSH_IJSG_SG_EEES6_PlJNSB_9not_fun_tINSB_14equal_to_valueIyEEEEEEE10hipError_tPvRmT3_T4_T5_T6_T7_T9_mT8_P12ihipStream_tbDpT10_ENKUlT_T0_E_clISt17integral_constantIbLb0EES18_EEDaS13_S14_EUlS13_E_NS1_11comp_targetILNS1_3genE0ELNS1_11target_archE4294967295ELNS1_3gpuE0ELNS1_3repE0EEENS1_30default_config_static_selectorELNS0_4arch9wavefront6targetE0EEEvT1_.num_agpr, 0
	.set _ZN7rocprim17ROCPRIM_400000_NS6detail17trampoline_kernelINS0_14default_configENS1_25partition_config_selectorILNS1_17partition_subalgoE6EyNS0_10empty_typeEbEEZZNS1_14partition_implILS5_6ELb0ES3_mN6thrust23THRUST_200600_302600_NS6detail15normal_iteratorINSA_10device_ptrIyEEEEPS6_SG_NS0_5tupleIJSF_S6_EEENSH_IJSG_SG_EEES6_PlJNSB_9not_fun_tINSB_14equal_to_valueIyEEEEEEE10hipError_tPvRmT3_T4_T5_T6_T7_T9_mT8_P12ihipStream_tbDpT10_ENKUlT_T0_E_clISt17integral_constantIbLb0EES18_EEDaS13_S14_EUlS13_E_NS1_11comp_targetILNS1_3genE0ELNS1_11target_archE4294967295ELNS1_3gpuE0ELNS1_3repE0EEENS1_30default_config_static_selectorELNS0_4arch9wavefront6targetE0EEEvT1_.numbered_sgpr, 0
	.set _ZN7rocprim17ROCPRIM_400000_NS6detail17trampoline_kernelINS0_14default_configENS1_25partition_config_selectorILNS1_17partition_subalgoE6EyNS0_10empty_typeEbEEZZNS1_14partition_implILS5_6ELb0ES3_mN6thrust23THRUST_200600_302600_NS6detail15normal_iteratorINSA_10device_ptrIyEEEEPS6_SG_NS0_5tupleIJSF_S6_EEENSH_IJSG_SG_EEES6_PlJNSB_9not_fun_tINSB_14equal_to_valueIyEEEEEEE10hipError_tPvRmT3_T4_T5_T6_T7_T9_mT8_P12ihipStream_tbDpT10_ENKUlT_T0_E_clISt17integral_constantIbLb0EES18_EEDaS13_S14_EUlS13_E_NS1_11comp_targetILNS1_3genE0ELNS1_11target_archE4294967295ELNS1_3gpuE0ELNS1_3repE0EEENS1_30default_config_static_selectorELNS0_4arch9wavefront6targetE0EEEvT1_.num_named_barrier, 0
	.set _ZN7rocprim17ROCPRIM_400000_NS6detail17trampoline_kernelINS0_14default_configENS1_25partition_config_selectorILNS1_17partition_subalgoE6EyNS0_10empty_typeEbEEZZNS1_14partition_implILS5_6ELb0ES3_mN6thrust23THRUST_200600_302600_NS6detail15normal_iteratorINSA_10device_ptrIyEEEEPS6_SG_NS0_5tupleIJSF_S6_EEENSH_IJSG_SG_EEES6_PlJNSB_9not_fun_tINSB_14equal_to_valueIyEEEEEEE10hipError_tPvRmT3_T4_T5_T6_T7_T9_mT8_P12ihipStream_tbDpT10_ENKUlT_T0_E_clISt17integral_constantIbLb0EES18_EEDaS13_S14_EUlS13_E_NS1_11comp_targetILNS1_3genE0ELNS1_11target_archE4294967295ELNS1_3gpuE0ELNS1_3repE0EEENS1_30default_config_static_selectorELNS0_4arch9wavefront6targetE0EEEvT1_.private_seg_size, 0
	.set _ZN7rocprim17ROCPRIM_400000_NS6detail17trampoline_kernelINS0_14default_configENS1_25partition_config_selectorILNS1_17partition_subalgoE6EyNS0_10empty_typeEbEEZZNS1_14partition_implILS5_6ELb0ES3_mN6thrust23THRUST_200600_302600_NS6detail15normal_iteratorINSA_10device_ptrIyEEEEPS6_SG_NS0_5tupleIJSF_S6_EEENSH_IJSG_SG_EEES6_PlJNSB_9not_fun_tINSB_14equal_to_valueIyEEEEEEE10hipError_tPvRmT3_T4_T5_T6_T7_T9_mT8_P12ihipStream_tbDpT10_ENKUlT_T0_E_clISt17integral_constantIbLb0EES18_EEDaS13_S14_EUlS13_E_NS1_11comp_targetILNS1_3genE0ELNS1_11target_archE4294967295ELNS1_3gpuE0ELNS1_3repE0EEENS1_30default_config_static_selectorELNS0_4arch9wavefront6targetE0EEEvT1_.uses_vcc, 0
	.set _ZN7rocprim17ROCPRIM_400000_NS6detail17trampoline_kernelINS0_14default_configENS1_25partition_config_selectorILNS1_17partition_subalgoE6EyNS0_10empty_typeEbEEZZNS1_14partition_implILS5_6ELb0ES3_mN6thrust23THRUST_200600_302600_NS6detail15normal_iteratorINSA_10device_ptrIyEEEEPS6_SG_NS0_5tupleIJSF_S6_EEENSH_IJSG_SG_EEES6_PlJNSB_9not_fun_tINSB_14equal_to_valueIyEEEEEEE10hipError_tPvRmT3_T4_T5_T6_T7_T9_mT8_P12ihipStream_tbDpT10_ENKUlT_T0_E_clISt17integral_constantIbLb0EES18_EEDaS13_S14_EUlS13_E_NS1_11comp_targetILNS1_3genE0ELNS1_11target_archE4294967295ELNS1_3gpuE0ELNS1_3repE0EEENS1_30default_config_static_selectorELNS0_4arch9wavefront6targetE0EEEvT1_.uses_flat_scratch, 0
	.set _ZN7rocprim17ROCPRIM_400000_NS6detail17trampoline_kernelINS0_14default_configENS1_25partition_config_selectorILNS1_17partition_subalgoE6EyNS0_10empty_typeEbEEZZNS1_14partition_implILS5_6ELb0ES3_mN6thrust23THRUST_200600_302600_NS6detail15normal_iteratorINSA_10device_ptrIyEEEEPS6_SG_NS0_5tupleIJSF_S6_EEENSH_IJSG_SG_EEES6_PlJNSB_9not_fun_tINSB_14equal_to_valueIyEEEEEEE10hipError_tPvRmT3_T4_T5_T6_T7_T9_mT8_P12ihipStream_tbDpT10_ENKUlT_T0_E_clISt17integral_constantIbLb0EES18_EEDaS13_S14_EUlS13_E_NS1_11comp_targetILNS1_3genE0ELNS1_11target_archE4294967295ELNS1_3gpuE0ELNS1_3repE0EEENS1_30default_config_static_selectorELNS0_4arch9wavefront6targetE0EEEvT1_.has_dyn_sized_stack, 0
	.set _ZN7rocprim17ROCPRIM_400000_NS6detail17trampoline_kernelINS0_14default_configENS1_25partition_config_selectorILNS1_17partition_subalgoE6EyNS0_10empty_typeEbEEZZNS1_14partition_implILS5_6ELb0ES3_mN6thrust23THRUST_200600_302600_NS6detail15normal_iteratorINSA_10device_ptrIyEEEEPS6_SG_NS0_5tupleIJSF_S6_EEENSH_IJSG_SG_EEES6_PlJNSB_9not_fun_tINSB_14equal_to_valueIyEEEEEEE10hipError_tPvRmT3_T4_T5_T6_T7_T9_mT8_P12ihipStream_tbDpT10_ENKUlT_T0_E_clISt17integral_constantIbLb0EES18_EEDaS13_S14_EUlS13_E_NS1_11comp_targetILNS1_3genE0ELNS1_11target_archE4294967295ELNS1_3gpuE0ELNS1_3repE0EEENS1_30default_config_static_selectorELNS0_4arch9wavefront6targetE0EEEvT1_.has_recursion, 0
	.set _ZN7rocprim17ROCPRIM_400000_NS6detail17trampoline_kernelINS0_14default_configENS1_25partition_config_selectorILNS1_17partition_subalgoE6EyNS0_10empty_typeEbEEZZNS1_14partition_implILS5_6ELb0ES3_mN6thrust23THRUST_200600_302600_NS6detail15normal_iteratorINSA_10device_ptrIyEEEEPS6_SG_NS0_5tupleIJSF_S6_EEENSH_IJSG_SG_EEES6_PlJNSB_9not_fun_tINSB_14equal_to_valueIyEEEEEEE10hipError_tPvRmT3_T4_T5_T6_T7_T9_mT8_P12ihipStream_tbDpT10_ENKUlT_T0_E_clISt17integral_constantIbLb0EES18_EEDaS13_S14_EUlS13_E_NS1_11comp_targetILNS1_3genE0ELNS1_11target_archE4294967295ELNS1_3gpuE0ELNS1_3repE0EEENS1_30default_config_static_selectorELNS0_4arch9wavefront6targetE0EEEvT1_.has_indirect_call, 0
	.section	.AMDGPU.csdata,"",@progbits
; Kernel info:
; codeLenInByte = 0
; TotalNumSgprs: 0
; NumVgprs: 0
; ScratchSize: 0
; MemoryBound: 0
; FloatMode: 240
; IeeeMode: 1
; LDSByteSize: 0 bytes/workgroup (compile time only)
; SGPRBlocks: 0
; VGPRBlocks: 0
; NumSGPRsForWavesPerEU: 1
; NumVGPRsForWavesPerEU: 1
; Occupancy: 16
; WaveLimiterHint : 0
; COMPUTE_PGM_RSRC2:SCRATCH_EN: 0
; COMPUTE_PGM_RSRC2:USER_SGPR: 2
; COMPUTE_PGM_RSRC2:TRAP_HANDLER: 0
; COMPUTE_PGM_RSRC2:TGID_X_EN: 1
; COMPUTE_PGM_RSRC2:TGID_Y_EN: 0
; COMPUTE_PGM_RSRC2:TGID_Z_EN: 0
; COMPUTE_PGM_RSRC2:TIDIG_COMP_CNT: 0
	.section	.text._ZN7rocprim17ROCPRIM_400000_NS6detail17trampoline_kernelINS0_14default_configENS1_25partition_config_selectorILNS1_17partition_subalgoE6EyNS0_10empty_typeEbEEZZNS1_14partition_implILS5_6ELb0ES3_mN6thrust23THRUST_200600_302600_NS6detail15normal_iteratorINSA_10device_ptrIyEEEEPS6_SG_NS0_5tupleIJSF_S6_EEENSH_IJSG_SG_EEES6_PlJNSB_9not_fun_tINSB_14equal_to_valueIyEEEEEEE10hipError_tPvRmT3_T4_T5_T6_T7_T9_mT8_P12ihipStream_tbDpT10_ENKUlT_T0_E_clISt17integral_constantIbLb0EES18_EEDaS13_S14_EUlS13_E_NS1_11comp_targetILNS1_3genE5ELNS1_11target_archE942ELNS1_3gpuE9ELNS1_3repE0EEENS1_30default_config_static_selectorELNS0_4arch9wavefront6targetE0EEEvT1_,"axG",@progbits,_ZN7rocprim17ROCPRIM_400000_NS6detail17trampoline_kernelINS0_14default_configENS1_25partition_config_selectorILNS1_17partition_subalgoE6EyNS0_10empty_typeEbEEZZNS1_14partition_implILS5_6ELb0ES3_mN6thrust23THRUST_200600_302600_NS6detail15normal_iteratorINSA_10device_ptrIyEEEEPS6_SG_NS0_5tupleIJSF_S6_EEENSH_IJSG_SG_EEES6_PlJNSB_9not_fun_tINSB_14equal_to_valueIyEEEEEEE10hipError_tPvRmT3_T4_T5_T6_T7_T9_mT8_P12ihipStream_tbDpT10_ENKUlT_T0_E_clISt17integral_constantIbLb0EES18_EEDaS13_S14_EUlS13_E_NS1_11comp_targetILNS1_3genE5ELNS1_11target_archE942ELNS1_3gpuE9ELNS1_3repE0EEENS1_30default_config_static_selectorELNS0_4arch9wavefront6targetE0EEEvT1_,comdat
	.protected	_ZN7rocprim17ROCPRIM_400000_NS6detail17trampoline_kernelINS0_14default_configENS1_25partition_config_selectorILNS1_17partition_subalgoE6EyNS0_10empty_typeEbEEZZNS1_14partition_implILS5_6ELb0ES3_mN6thrust23THRUST_200600_302600_NS6detail15normal_iteratorINSA_10device_ptrIyEEEEPS6_SG_NS0_5tupleIJSF_S6_EEENSH_IJSG_SG_EEES6_PlJNSB_9not_fun_tINSB_14equal_to_valueIyEEEEEEE10hipError_tPvRmT3_T4_T5_T6_T7_T9_mT8_P12ihipStream_tbDpT10_ENKUlT_T0_E_clISt17integral_constantIbLb0EES18_EEDaS13_S14_EUlS13_E_NS1_11comp_targetILNS1_3genE5ELNS1_11target_archE942ELNS1_3gpuE9ELNS1_3repE0EEENS1_30default_config_static_selectorELNS0_4arch9wavefront6targetE0EEEvT1_ ; -- Begin function _ZN7rocprim17ROCPRIM_400000_NS6detail17trampoline_kernelINS0_14default_configENS1_25partition_config_selectorILNS1_17partition_subalgoE6EyNS0_10empty_typeEbEEZZNS1_14partition_implILS5_6ELb0ES3_mN6thrust23THRUST_200600_302600_NS6detail15normal_iteratorINSA_10device_ptrIyEEEEPS6_SG_NS0_5tupleIJSF_S6_EEENSH_IJSG_SG_EEES6_PlJNSB_9not_fun_tINSB_14equal_to_valueIyEEEEEEE10hipError_tPvRmT3_T4_T5_T6_T7_T9_mT8_P12ihipStream_tbDpT10_ENKUlT_T0_E_clISt17integral_constantIbLb0EES18_EEDaS13_S14_EUlS13_E_NS1_11comp_targetILNS1_3genE5ELNS1_11target_archE942ELNS1_3gpuE9ELNS1_3repE0EEENS1_30default_config_static_selectorELNS0_4arch9wavefront6targetE0EEEvT1_
	.globl	_ZN7rocprim17ROCPRIM_400000_NS6detail17trampoline_kernelINS0_14default_configENS1_25partition_config_selectorILNS1_17partition_subalgoE6EyNS0_10empty_typeEbEEZZNS1_14partition_implILS5_6ELb0ES3_mN6thrust23THRUST_200600_302600_NS6detail15normal_iteratorINSA_10device_ptrIyEEEEPS6_SG_NS0_5tupleIJSF_S6_EEENSH_IJSG_SG_EEES6_PlJNSB_9not_fun_tINSB_14equal_to_valueIyEEEEEEE10hipError_tPvRmT3_T4_T5_T6_T7_T9_mT8_P12ihipStream_tbDpT10_ENKUlT_T0_E_clISt17integral_constantIbLb0EES18_EEDaS13_S14_EUlS13_E_NS1_11comp_targetILNS1_3genE5ELNS1_11target_archE942ELNS1_3gpuE9ELNS1_3repE0EEENS1_30default_config_static_selectorELNS0_4arch9wavefront6targetE0EEEvT1_
	.p2align	8
	.type	_ZN7rocprim17ROCPRIM_400000_NS6detail17trampoline_kernelINS0_14default_configENS1_25partition_config_selectorILNS1_17partition_subalgoE6EyNS0_10empty_typeEbEEZZNS1_14partition_implILS5_6ELb0ES3_mN6thrust23THRUST_200600_302600_NS6detail15normal_iteratorINSA_10device_ptrIyEEEEPS6_SG_NS0_5tupleIJSF_S6_EEENSH_IJSG_SG_EEES6_PlJNSB_9not_fun_tINSB_14equal_to_valueIyEEEEEEE10hipError_tPvRmT3_T4_T5_T6_T7_T9_mT8_P12ihipStream_tbDpT10_ENKUlT_T0_E_clISt17integral_constantIbLb0EES18_EEDaS13_S14_EUlS13_E_NS1_11comp_targetILNS1_3genE5ELNS1_11target_archE942ELNS1_3gpuE9ELNS1_3repE0EEENS1_30default_config_static_selectorELNS0_4arch9wavefront6targetE0EEEvT1_,@function
_ZN7rocprim17ROCPRIM_400000_NS6detail17trampoline_kernelINS0_14default_configENS1_25partition_config_selectorILNS1_17partition_subalgoE6EyNS0_10empty_typeEbEEZZNS1_14partition_implILS5_6ELb0ES3_mN6thrust23THRUST_200600_302600_NS6detail15normal_iteratorINSA_10device_ptrIyEEEEPS6_SG_NS0_5tupleIJSF_S6_EEENSH_IJSG_SG_EEES6_PlJNSB_9not_fun_tINSB_14equal_to_valueIyEEEEEEE10hipError_tPvRmT3_T4_T5_T6_T7_T9_mT8_P12ihipStream_tbDpT10_ENKUlT_T0_E_clISt17integral_constantIbLb0EES18_EEDaS13_S14_EUlS13_E_NS1_11comp_targetILNS1_3genE5ELNS1_11target_archE942ELNS1_3gpuE9ELNS1_3repE0EEENS1_30default_config_static_selectorELNS0_4arch9wavefront6targetE0EEEvT1_: ; @_ZN7rocprim17ROCPRIM_400000_NS6detail17trampoline_kernelINS0_14default_configENS1_25partition_config_selectorILNS1_17partition_subalgoE6EyNS0_10empty_typeEbEEZZNS1_14partition_implILS5_6ELb0ES3_mN6thrust23THRUST_200600_302600_NS6detail15normal_iteratorINSA_10device_ptrIyEEEEPS6_SG_NS0_5tupleIJSF_S6_EEENSH_IJSG_SG_EEES6_PlJNSB_9not_fun_tINSB_14equal_to_valueIyEEEEEEE10hipError_tPvRmT3_T4_T5_T6_T7_T9_mT8_P12ihipStream_tbDpT10_ENKUlT_T0_E_clISt17integral_constantIbLb0EES18_EEDaS13_S14_EUlS13_E_NS1_11comp_targetILNS1_3genE5ELNS1_11target_archE942ELNS1_3gpuE9ELNS1_3repE0EEENS1_30default_config_static_selectorELNS0_4arch9wavefront6targetE0EEEvT1_
; %bb.0:
	.section	.rodata,"a",@progbits
	.p2align	6, 0x0
	.amdhsa_kernel _ZN7rocprim17ROCPRIM_400000_NS6detail17trampoline_kernelINS0_14default_configENS1_25partition_config_selectorILNS1_17partition_subalgoE6EyNS0_10empty_typeEbEEZZNS1_14partition_implILS5_6ELb0ES3_mN6thrust23THRUST_200600_302600_NS6detail15normal_iteratorINSA_10device_ptrIyEEEEPS6_SG_NS0_5tupleIJSF_S6_EEENSH_IJSG_SG_EEES6_PlJNSB_9not_fun_tINSB_14equal_to_valueIyEEEEEEE10hipError_tPvRmT3_T4_T5_T6_T7_T9_mT8_P12ihipStream_tbDpT10_ENKUlT_T0_E_clISt17integral_constantIbLb0EES18_EEDaS13_S14_EUlS13_E_NS1_11comp_targetILNS1_3genE5ELNS1_11target_archE942ELNS1_3gpuE9ELNS1_3repE0EEENS1_30default_config_static_selectorELNS0_4arch9wavefront6targetE0EEEvT1_
		.amdhsa_group_segment_fixed_size 0
		.amdhsa_private_segment_fixed_size 0
		.amdhsa_kernarg_size 120
		.amdhsa_user_sgpr_count 2
		.amdhsa_user_sgpr_dispatch_ptr 0
		.amdhsa_user_sgpr_queue_ptr 0
		.amdhsa_user_sgpr_kernarg_segment_ptr 1
		.amdhsa_user_sgpr_dispatch_id 0
		.amdhsa_user_sgpr_private_segment_size 0
		.amdhsa_wavefront_size32 1
		.amdhsa_uses_dynamic_stack 0
		.amdhsa_enable_private_segment 0
		.amdhsa_system_sgpr_workgroup_id_x 1
		.amdhsa_system_sgpr_workgroup_id_y 0
		.amdhsa_system_sgpr_workgroup_id_z 0
		.amdhsa_system_sgpr_workgroup_info 0
		.amdhsa_system_vgpr_workitem_id 0
		.amdhsa_next_free_vgpr 1
		.amdhsa_next_free_sgpr 1
		.amdhsa_reserve_vcc 0
		.amdhsa_float_round_mode_32 0
		.amdhsa_float_round_mode_16_64 0
		.amdhsa_float_denorm_mode_32 3
		.amdhsa_float_denorm_mode_16_64 3
		.amdhsa_fp16_overflow 0
		.amdhsa_workgroup_processor_mode 1
		.amdhsa_memory_ordered 1
		.amdhsa_forward_progress 1
		.amdhsa_inst_pref_size 0
		.amdhsa_round_robin_scheduling 0
		.amdhsa_exception_fp_ieee_invalid_op 0
		.amdhsa_exception_fp_denorm_src 0
		.amdhsa_exception_fp_ieee_div_zero 0
		.amdhsa_exception_fp_ieee_overflow 0
		.amdhsa_exception_fp_ieee_underflow 0
		.amdhsa_exception_fp_ieee_inexact 0
		.amdhsa_exception_int_div_zero 0
	.end_amdhsa_kernel
	.section	.text._ZN7rocprim17ROCPRIM_400000_NS6detail17trampoline_kernelINS0_14default_configENS1_25partition_config_selectorILNS1_17partition_subalgoE6EyNS0_10empty_typeEbEEZZNS1_14partition_implILS5_6ELb0ES3_mN6thrust23THRUST_200600_302600_NS6detail15normal_iteratorINSA_10device_ptrIyEEEEPS6_SG_NS0_5tupleIJSF_S6_EEENSH_IJSG_SG_EEES6_PlJNSB_9not_fun_tINSB_14equal_to_valueIyEEEEEEE10hipError_tPvRmT3_T4_T5_T6_T7_T9_mT8_P12ihipStream_tbDpT10_ENKUlT_T0_E_clISt17integral_constantIbLb0EES18_EEDaS13_S14_EUlS13_E_NS1_11comp_targetILNS1_3genE5ELNS1_11target_archE942ELNS1_3gpuE9ELNS1_3repE0EEENS1_30default_config_static_selectorELNS0_4arch9wavefront6targetE0EEEvT1_,"axG",@progbits,_ZN7rocprim17ROCPRIM_400000_NS6detail17trampoline_kernelINS0_14default_configENS1_25partition_config_selectorILNS1_17partition_subalgoE6EyNS0_10empty_typeEbEEZZNS1_14partition_implILS5_6ELb0ES3_mN6thrust23THRUST_200600_302600_NS6detail15normal_iteratorINSA_10device_ptrIyEEEEPS6_SG_NS0_5tupleIJSF_S6_EEENSH_IJSG_SG_EEES6_PlJNSB_9not_fun_tINSB_14equal_to_valueIyEEEEEEE10hipError_tPvRmT3_T4_T5_T6_T7_T9_mT8_P12ihipStream_tbDpT10_ENKUlT_T0_E_clISt17integral_constantIbLb0EES18_EEDaS13_S14_EUlS13_E_NS1_11comp_targetILNS1_3genE5ELNS1_11target_archE942ELNS1_3gpuE9ELNS1_3repE0EEENS1_30default_config_static_selectorELNS0_4arch9wavefront6targetE0EEEvT1_,comdat
.Lfunc_end342:
	.size	_ZN7rocprim17ROCPRIM_400000_NS6detail17trampoline_kernelINS0_14default_configENS1_25partition_config_selectorILNS1_17partition_subalgoE6EyNS0_10empty_typeEbEEZZNS1_14partition_implILS5_6ELb0ES3_mN6thrust23THRUST_200600_302600_NS6detail15normal_iteratorINSA_10device_ptrIyEEEEPS6_SG_NS0_5tupleIJSF_S6_EEENSH_IJSG_SG_EEES6_PlJNSB_9not_fun_tINSB_14equal_to_valueIyEEEEEEE10hipError_tPvRmT3_T4_T5_T6_T7_T9_mT8_P12ihipStream_tbDpT10_ENKUlT_T0_E_clISt17integral_constantIbLb0EES18_EEDaS13_S14_EUlS13_E_NS1_11comp_targetILNS1_3genE5ELNS1_11target_archE942ELNS1_3gpuE9ELNS1_3repE0EEENS1_30default_config_static_selectorELNS0_4arch9wavefront6targetE0EEEvT1_, .Lfunc_end342-_ZN7rocprim17ROCPRIM_400000_NS6detail17trampoline_kernelINS0_14default_configENS1_25partition_config_selectorILNS1_17partition_subalgoE6EyNS0_10empty_typeEbEEZZNS1_14partition_implILS5_6ELb0ES3_mN6thrust23THRUST_200600_302600_NS6detail15normal_iteratorINSA_10device_ptrIyEEEEPS6_SG_NS0_5tupleIJSF_S6_EEENSH_IJSG_SG_EEES6_PlJNSB_9not_fun_tINSB_14equal_to_valueIyEEEEEEE10hipError_tPvRmT3_T4_T5_T6_T7_T9_mT8_P12ihipStream_tbDpT10_ENKUlT_T0_E_clISt17integral_constantIbLb0EES18_EEDaS13_S14_EUlS13_E_NS1_11comp_targetILNS1_3genE5ELNS1_11target_archE942ELNS1_3gpuE9ELNS1_3repE0EEENS1_30default_config_static_selectorELNS0_4arch9wavefront6targetE0EEEvT1_
                                        ; -- End function
	.set _ZN7rocprim17ROCPRIM_400000_NS6detail17trampoline_kernelINS0_14default_configENS1_25partition_config_selectorILNS1_17partition_subalgoE6EyNS0_10empty_typeEbEEZZNS1_14partition_implILS5_6ELb0ES3_mN6thrust23THRUST_200600_302600_NS6detail15normal_iteratorINSA_10device_ptrIyEEEEPS6_SG_NS0_5tupleIJSF_S6_EEENSH_IJSG_SG_EEES6_PlJNSB_9not_fun_tINSB_14equal_to_valueIyEEEEEEE10hipError_tPvRmT3_T4_T5_T6_T7_T9_mT8_P12ihipStream_tbDpT10_ENKUlT_T0_E_clISt17integral_constantIbLb0EES18_EEDaS13_S14_EUlS13_E_NS1_11comp_targetILNS1_3genE5ELNS1_11target_archE942ELNS1_3gpuE9ELNS1_3repE0EEENS1_30default_config_static_selectorELNS0_4arch9wavefront6targetE0EEEvT1_.num_vgpr, 0
	.set _ZN7rocprim17ROCPRIM_400000_NS6detail17trampoline_kernelINS0_14default_configENS1_25partition_config_selectorILNS1_17partition_subalgoE6EyNS0_10empty_typeEbEEZZNS1_14partition_implILS5_6ELb0ES3_mN6thrust23THRUST_200600_302600_NS6detail15normal_iteratorINSA_10device_ptrIyEEEEPS6_SG_NS0_5tupleIJSF_S6_EEENSH_IJSG_SG_EEES6_PlJNSB_9not_fun_tINSB_14equal_to_valueIyEEEEEEE10hipError_tPvRmT3_T4_T5_T6_T7_T9_mT8_P12ihipStream_tbDpT10_ENKUlT_T0_E_clISt17integral_constantIbLb0EES18_EEDaS13_S14_EUlS13_E_NS1_11comp_targetILNS1_3genE5ELNS1_11target_archE942ELNS1_3gpuE9ELNS1_3repE0EEENS1_30default_config_static_selectorELNS0_4arch9wavefront6targetE0EEEvT1_.num_agpr, 0
	.set _ZN7rocprim17ROCPRIM_400000_NS6detail17trampoline_kernelINS0_14default_configENS1_25partition_config_selectorILNS1_17partition_subalgoE6EyNS0_10empty_typeEbEEZZNS1_14partition_implILS5_6ELb0ES3_mN6thrust23THRUST_200600_302600_NS6detail15normal_iteratorINSA_10device_ptrIyEEEEPS6_SG_NS0_5tupleIJSF_S6_EEENSH_IJSG_SG_EEES6_PlJNSB_9not_fun_tINSB_14equal_to_valueIyEEEEEEE10hipError_tPvRmT3_T4_T5_T6_T7_T9_mT8_P12ihipStream_tbDpT10_ENKUlT_T0_E_clISt17integral_constantIbLb0EES18_EEDaS13_S14_EUlS13_E_NS1_11comp_targetILNS1_3genE5ELNS1_11target_archE942ELNS1_3gpuE9ELNS1_3repE0EEENS1_30default_config_static_selectorELNS0_4arch9wavefront6targetE0EEEvT1_.numbered_sgpr, 0
	.set _ZN7rocprim17ROCPRIM_400000_NS6detail17trampoline_kernelINS0_14default_configENS1_25partition_config_selectorILNS1_17partition_subalgoE6EyNS0_10empty_typeEbEEZZNS1_14partition_implILS5_6ELb0ES3_mN6thrust23THRUST_200600_302600_NS6detail15normal_iteratorINSA_10device_ptrIyEEEEPS6_SG_NS0_5tupleIJSF_S6_EEENSH_IJSG_SG_EEES6_PlJNSB_9not_fun_tINSB_14equal_to_valueIyEEEEEEE10hipError_tPvRmT3_T4_T5_T6_T7_T9_mT8_P12ihipStream_tbDpT10_ENKUlT_T0_E_clISt17integral_constantIbLb0EES18_EEDaS13_S14_EUlS13_E_NS1_11comp_targetILNS1_3genE5ELNS1_11target_archE942ELNS1_3gpuE9ELNS1_3repE0EEENS1_30default_config_static_selectorELNS0_4arch9wavefront6targetE0EEEvT1_.num_named_barrier, 0
	.set _ZN7rocprim17ROCPRIM_400000_NS6detail17trampoline_kernelINS0_14default_configENS1_25partition_config_selectorILNS1_17partition_subalgoE6EyNS0_10empty_typeEbEEZZNS1_14partition_implILS5_6ELb0ES3_mN6thrust23THRUST_200600_302600_NS6detail15normal_iteratorINSA_10device_ptrIyEEEEPS6_SG_NS0_5tupleIJSF_S6_EEENSH_IJSG_SG_EEES6_PlJNSB_9not_fun_tINSB_14equal_to_valueIyEEEEEEE10hipError_tPvRmT3_T4_T5_T6_T7_T9_mT8_P12ihipStream_tbDpT10_ENKUlT_T0_E_clISt17integral_constantIbLb0EES18_EEDaS13_S14_EUlS13_E_NS1_11comp_targetILNS1_3genE5ELNS1_11target_archE942ELNS1_3gpuE9ELNS1_3repE0EEENS1_30default_config_static_selectorELNS0_4arch9wavefront6targetE0EEEvT1_.private_seg_size, 0
	.set _ZN7rocprim17ROCPRIM_400000_NS6detail17trampoline_kernelINS0_14default_configENS1_25partition_config_selectorILNS1_17partition_subalgoE6EyNS0_10empty_typeEbEEZZNS1_14partition_implILS5_6ELb0ES3_mN6thrust23THRUST_200600_302600_NS6detail15normal_iteratorINSA_10device_ptrIyEEEEPS6_SG_NS0_5tupleIJSF_S6_EEENSH_IJSG_SG_EEES6_PlJNSB_9not_fun_tINSB_14equal_to_valueIyEEEEEEE10hipError_tPvRmT3_T4_T5_T6_T7_T9_mT8_P12ihipStream_tbDpT10_ENKUlT_T0_E_clISt17integral_constantIbLb0EES18_EEDaS13_S14_EUlS13_E_NS1_11comp_targetILNS1_3genE5ELNS1_11target_archE942ELNS1_3gpuE9ELNS1_3repE0EEENS1_30default_config_static_selectorELNS0_4arch9wavefront6targetE0EEEvT1_.uses_vcc, 0
	.set _ZN7rocprim17ROCPRIM_400000_NS6detail17trampoline_kernelINS0_14default_configENS1_25partition_config_selectorILNS1_17partition_subalgoE6EyNS0_10empty_typeEbEEZZNS1_14partition_implILS5_6ELb0ES3_mN6thrust23THRUST_200600_302600_NS6detail15normal_iteratorINSA_10device_ptrIyEEEEPS6_SG_NS0_5tupleIJSF_S6_EEENSH_IJSG_SG_EEES6_PlJNSB_9not_fun_tINSB_14equal_to_valueIyEEEEEEE10hipError_tPvRmT3_T4_T5_T6_T7_T9_mT8_P12ihipStream_tbDpT10_ENKUlT_T0_E_clISt17integral_constantIbLb0EES18_EEDaS13_S14_EUlS13_E_NS1_11comp_targetILNS1_3genE5ELNS1_11target_archE942ELNS1_3gpuE9ELNS1_3repE0EEENS1_30default_config_static_selectorELNS0_4arch9wavefront6targetE0EEEvT1_.uses_flat_scratch, 0
	.set _ZN7rocprim17ROCPRIM_400000_NS6detail17trampoline_kernelINS0_14default_configENS1_25partition_config_selectorILNS1_17partition_subalgoE6EyNS0_10empty_typeEbEEZZNS1_14partition_implILS5_6ELb0ES3_mN6thrust23THRUST_200600_302600_NS6detail15normal_iteratorINSA_10device_ptrIyEEEEPS6_SG_NS0_5tupleIJSF_S6_EEENSH_IJSG_SG_EEES6_PlJNSB_9not_fun_tINSB_14equal_to_valueIyEEEEEEE10hipError_tPvRmT3_T4_T5_T6_T7_T9_mT8_P12ihipStream_tbDpT10_ENKUlT_T0_E_clISt17integral_constantIbLb0EES18_EEDaS13_S14_EUlS13_E_NS1_11comp_targetILNS1_3genE5ELNS1_11target_archE942ELNS1_3gpuE9ELNS1_3repE0EEENS1_30default_config_static_selectorELNS0_4arch9wavefront6targetE0EEEvT1_.has_dyn_sized_stack, 0
	.set _ZN7rocprim17ROCPRIM_400000_NS6detail17trampoline_kernelINS0_14default_configENS1_25partition_config_selectorILNS1_17partition_subalgoE6EyNS0_10empty_typeEbEEZZNS1_14partition_implILS5_6ELb0ES3_mN6thrust23THRUST_200600_302600_NS6detail15normal_iteratorINSA_10device_ptrIyEEEEPS6_SG_NS0_5tupleIJSF_S6_EEENSH_IJSG_SG_EEES6_PlJNSB_9not_fun_tINSB_14equal_to_valueIyEEEEEEE10hipError_tPvRmT3_T4_T5_T6_T7_T9_mT8_P12ihipStream_tbDpT10_ENKUlT_T0_E_clISt17integral_constantIbLb0EES18_EEDaS13_S14_EUlS13_E_NS1_11comp_targetILNS1_3genE5ELNS1_11target_archE942ELNS1_3gpuE9ELNS1_3repE0EEENS1_30default_config_static_selectorELNS0_4arch9wavefront6targetE0EEEvT1_.has_recursion, 0
	.set _ZN7rocprim17ROCPRIM_400000_NS6detail17trampoline_kernelINS0_14default_configENS1_25partition_config_selectorILNS1_17partition_subalgoE6EyNS0_10empty_typeEbEEZZNS1_14partition_implILS5_6ELb0ES3_mN6thrust23THRUST_200600_302600_NS6detail15normal_iteratorINSA_10device_ptrIyEEEEPS6_SG_NS0_5tupleIJSF_S6_EEENSH_IJSG_SG_EEES6_PlJNSB_9not_fun_tINSB_14equal_to_valueIyEEEEEEE10hipError_tPvRmT3_T4_T5_T6_T7_T9_mT8_P12ihipStream_tbDpT10_ENKUlT_T0_E_clISt17integral_constantIbLb0EES18_EEDaS13_S14_EUlS13_E_NS1_11comp_targetILNS1_3genE5ELNS1_11target_archE942ELNS1_3gpuE9ELNS1_3repE0EEENS1_30default_config_static_selectorELNS0_4arch9wavefront6targetE0EEEvT1_.has_indirect_call, 0
	.section	.AMDGPU.csdata,"",@progbits
; Kernel info:
; codeLenInByte = 0
; TotalNumSgprs: 0
; NumVgprs: 0
; ScratchSize: 0
; MemoryBound: 0
; FloatMode: 240
; IeeeMode: 1
; LDSByteSize: 0 bytes/workgroup (compile time only)
; SGPRBlocks: 0
; VGPRBlocks: 0
; NumSGPRsForWavesPerEU: 1
; NumVGPRsForWavesPerEU: 1
; Occupancy: 16
; WaveLimiterHint : 0
; COMPUTE_PGM_RSRC2:SCRATCH_EN: 0
; COMPUTE_PGM_RSRC2:USER_SGPR: 2
; COMPUTE_PGM_RSRC2:TRAP_HANDLER: 0
; COMPUTE_PGM_RSRC2:TGID_X_EN: 1
; COMPUTE_PGM_RSRC2:TGID_Y_EN: 0
; COMPUTE_PGM_RSRC2:TGID_Z_EN: 0
; COMPUTE_PGM_RSRC2:TIDIG_COMP_CNT: 0
	.section	.text._ZN7rocprim17ROCPRIM_400000_NS6detail17trampoline_kernelINS0_14default_configENS1_25partition_config_selectorILNS1_17partition_subalgoE6EyNS0_10empty_typeEbEEZZNS1_14partition_implILS5_6ELb0ES3_mN6thrust23THRUST_200600_302600_NS6detail15normal_iteratorINSA_10device_ptrIyEEEEPS6_SG_NS0_5tupleIJSF_S6_EEENSH_IJSG_SG_EEES6_PlJNSB_9not_fun_tINSB_14equal_to_valueIyEEEEEEE10hipError_tPvRmT3_T4_T5_T6_T7_T9_mT8_P12ihipStream_tbDpT10_ENKUlT_T0_E_clISt17integral_constantIbLb0EES18_EEDaS13_S14_EUlS13_E_NS1_11comp_targetILNS1_3genE4ELNS1_11target_archE910ELNS1_3gpuE8ELNS1_3repE0EEENS1_30default_config_static_selectorELNS0_4arch9wavefront6targetE0EEEvT1_,"axG",@progbits,_ZN7rocprim17ROCPRIM_400000_NS6detail17trampoline_kernelINS0_14default_configENS1_25partition_config_selectorILNS1_17partition_subalgoE6EyNS0_10empty_typeEbEEZZNS1_14partition_implILS5_6ELb0ES3_mN6thrust23THRUST_200600_302600_NS6detail15normal_iteratorINSA_10device_ptrIyEEEEPS6_SG_NS0_5tupleIJSF_S6_EEENSH_IJSG_SG_EEES6_PlJNSB_9not_fun_tINSB_14equal_to_valueIyEEEEEEE10hipError_tPvRmT3_T4_T5_T6_T7_T9_mT8_P12ihipStream_tbDpT10_ENKUlT_T0_E_clISt17integral_constantIbLb0EES18_EEDaS13_S14_EUlS13_E_NS1_11comp_targetILNS1_3genE4ELNS1_11target_archE910ELNS1_3gpuE8ELNS1_3repE0EEENS1_30default_config_static_selectorELNS0_4arch9wavefront6targetE0EEEvT1_,comdat
	.protected	_ZN7rocprim17ROCPRIM_400000_NS6detail17trampoline_kernelINS0_14default_configENS1_25partition_config_selectorILNS1_17partition_subalgoE6EyNS0_10empty_typeEbEEZZNS1_14partition_implILS5_6ELb0ES3_mN6thrust23THRUST_200600_302600_NS6detail15normal_iteratorINSA_10device_ptrIyEEEEPS6_SG_NS0_5tupleIJSF_S6_EEENSH_IJSG_SG_EEES6_PlJNSB_9not_fun_tINSB_14equal_to_valueIyEEEEEEE10hipError_tPvRmT3_T4_T5_T6_T7_T9_mT8_P12ihipStream_tbDpT10_ENKUlT_T0_E_clISt17integral_constantIbLb0EES18_EEDaS13_S14_EUlS13_E_NS1_11comp_targetILNS1_3genE4ELNS1_11target_archE910ELNS1_3gpuE8ELNS1_3repE0EEENS1_30default_config_static_selectorELNS0_4arch9wavefront6targetE0EEEvT1_ ; -- Begin function _ZN7rocprim17ROCPRIM_400000_NS6detail17trampoline_kernelINS0_14default_configENS1_25partition_config_selectorILNS1_17partition_subalgoE6EyNS0_10empty_typeEbEEZZNS1_14partition_implILS5_6ELb0ES3_mN6thrust23THRUST_200600_302600_NS6detail15normal_iteratorINSA_10device_ptrIyEEEEPS6_SG_NS0_5tupleIJSF_S6_EEENSH_IJSG_SG_EEES6_PlJNSB_9not_fun_tINSB_14equal_to_valueIyEEEEEEE10hipError_tPvRmT3_T4_T5_T6_T7_T9_mT8_P12ihipStream_tbDpT10_ENKUlT_T0_E_clISt17integral_constantIbLb0EES18_EEDaS13_S14_EUlS13_E_NS1_11comp_targetILNS1_3genE4ELNS1_11target_archE910ELNS1_3gpuE8ELNS1_3repE0EEENS1_30default_config_static_selectorELNS0_4arch9wavefront6targetE0EEEvT1_
	.globl	_ZN7rocprim17ROCPRIM_400000_NS6detail17trampoline_kernelINS0_14default_configENS1_25partition_config_selectorILNS1_17partition_subalgoE6EyNS0_10empty_typeEbEEZZNS1_14partition_implILS5_6ELb0ES3_mN6thrust23THRUST_200600_302600_NS6detail15normal_iteratorINSA_10device_ptrIyEEEEPS6_SG_NS0_5tupleIJSF_S6_EEENSH_IJSG_SG_EEES6_PlJNSB_9not_fun_tINSB_14equal_to_valueIyEEEEEEE10hipError_tPvRmT3_T4_T5_T6_T7_T9_mT8_P12ihipStream_tbDpT10_ENKUlT_T0_E_clISt17integral_constantIbLb0EES18_EEDaS13_S14_EUlS13_E_NS1_11comp_targetILNS1_3genE4ELNS1_11target_archE910ELNS1_3gpuE8ELNS1_3repE0EEENS1_30default_config_static_selectorELNS0_4arch9wavefront6targetE0EEEvT1_
	.p2align	8
	.type	_ZN7rocprim17ROCPRIM_400000_NS6detail17trampoline_kernelINS0_14default_configENS1_25partition_config_selectorILNS1_17partition_subalgoE6EyNS0_10empty_typeEbEEZZNS1_14partition_implILS5_6ELb0ES3_mN6thrust23THRUST_200600_302600_NS6detail15normal_iteratorINSA_10device_ptrIyEEEEPS6_SG_NS0_5tupleIJSF_S6_EEENSH_IJSG_SG_EEES6_PlJNSB_9not_fun_tINSB_14equal_to_valueIyEEEEEEE10hipError_tPvRmT3_T4_T5_T6_T7_T9_mT8_P12ihipStream_tbDpT10_ENKUlT_T0_E_clISt17integral_constantIbLb0EES18_EEDaS13_S14_EUlS13_E_NS1_11comp_targetILNS1_3genE4ELNS1_11target_archE910ELNS1_3gpuE8ELNS1_3repE0EEENS1_30default_config_static_selectorELNS0_4arch9wavefront6targetE0EEEvT1_,@function
_ZN7rocprim17ROCPRIM_400000_NS6detail17trampoline_kernelINS0_14default_configENS1_25partition_config_selectorILNS1_17partition_subalgoE6EyNS0_10empty_typeEbEEZZNS1_14partition_implILS5_6ELb0ES3_mN6thrust23THRUST_200600_302600_NS6detail15normal_iteratorINSA_10device_ptrIyEEEEPS6_SG_NS0_5tupleIJSF_S6_EEENSH_IJSG_SG_EEES6_PlJNSB_9not_fun_tINSB_14equal_to_valueIyEEEEEEE10hipError_tPvRmT3_T4_T5_T6_T7_T9_mT8_P12ihipStream_tbDpT10_ENKUlT_T0_E_clISt17integral_constantIbLb0EES18_EEDaS13_S14_EUlS13_E_NS1_11comp_targetILNS1_3genE4ELNS1_11target_archE910ELNS1_3gpuE8ELNS1_3repE0EEENS1_30default_config_static_selectorELNS0_4arch9wavefront6targetE0EEEvT1_: ; @_ZN7rocprim17ROCPRIM_400000_NS6detail17trampoline_kernelINS0_14default_configENS1_25partition_config_selectorILNS1_17partition_subalgoE6EyNS0_10empty_typeEbEEZZNS1_14partition_implILS5_6ELb0ES3_mN6thrust23THRUST_200600_302600_NS6detail15normal_iteratorINSA_10device_ptrIyEEEEPS6_SG_NS0_5tupleIJSF_S6_EEENSH_IJSG_SG_EEES6_PlJNSB_9not_fun_tINSB_14equal_to_valueIyEEEEEEE10hipError_tPvRmT3_T4_T5_T6_T7_T9_mT8_P12ihipStream_tbDpT10_ENKUlT_T0_E_clISt17integral_constantIbLb0EES18_EEDaS13_S14_EUlS13_E_NS1_11comp_targetILNS1_3genE4ELNS1_11target_archE910ELNS1_3gpuE8ELNS1_3repE0EEENS1_30default_config_static_selectorELNS0_4arch9wavefront6targetE0EEEvT1_
; %bb.0:
	.section	.rodata,"a",@progbits
	.p2align	6, 0x0
	.amdhsa_kernel _ZN7rocprim17ROCPRIM_400000_NS6detail17trampoline_kernelINS0_14default_configENS1_25partition_config_selectorILNS1_17partition_subalgoE6EyNS0_10empty_typeEbEEZZNS1_14partition_implILS5_6ELb0ES3_mN6thrust23THRUST_200600_302600_NS6detail15normal_iteratorINSA_10device_ptrIyEEEEPS6_SG_NS0_5tupleIJSF_S6_EEENSH_IJSG_SG_EEES6_PlJNSB_9not_fun_tINSB_14equal_to_valueIyEEEEEEE10hipError_tPvRmT3_T4_T5_T6_T7_T9_mT8_P12ihipStream_tbDpT10_ENKUlT_T0_E_clISt17integral_constantIbLb0EES18_EEDaS13_S14_EUlS13_E_NS1_11comp_targetILNS1_3genE4ELNS1_11target_archE910ELNS1_3gpuE8ELNS1_3repE0EEENS1_30default_config_static_selectorELNS0_4arch9wavefront6targetE0EEEvT1_
		.amdhsa_group_segment_fixed_size 0
		.amdhsa_private_segment_fixed_size 0
		.amdhsa_kernarg_size 120
		.amdhsa_user_sgpr_count 2
		.amdhsa_user_sgpr_dispatch_ptr 0
		.amdhsa_user_sgpr_queue_ptr 0
		.amdhsa_user_sgpr_kernarg_segment_ptr 1
		.amdhsa_user_sgpr_dispatch_id 0
		.amdhsa_user_sgpr_private_segment_size 0
		.amdhsa_wavefront_size32 1
		.amdhsa_uses_dynamic_stack 0
		.amdhsa_enable_private_segment 0
		.amdhsa_system_sgpr_workgroup_id_x 1
		.amdhsa_system_sgpr_workgroup_id_y 0
		.amdhsa_system_sgpr_workgroup_id_z 0
		.amdhsa_system_sgpr_workgroup_info 0
		.amdhsa_system_vgpr_workitem_id 0
		.amdhsa_next_free_vgpr 1
		.amdhsa_next_free_sgpr 1
		.amdhsa_reserve_vcc 0
		.amdhsa_float_round_mode_32 0
		.amdhsa_float_round_mode_16_64 0
		.amdhsa_float_denorm_mode_32 3
		.amdhsa_float_denorm_mode_16_64 3
		.amdhsa_fp16_overflow 0
		.amdhsa_workgroup_processor_mode 1
		.amdhsa_memory_ordered 1
		.amdhsa_forward_progress 1
		.amdhsa_inst_pref_size 0
		.amdhsa_round_robin_scheduling 0
		.amdhsa_exception_fp_ieee_invalid_op 0
		.amdhsa_exception_fp_denorm_src 0
		.amdhsa_exception_fp_ieee_div_zero 0
		.amdhsa_exception_fp_ieee_overflow 0
		.amdhsa_exception_fp_ieee_underflow 0
		.amdhsa_exception_fp_ieee_inexact 0
		.amdhsa_exception_int_div_zero 0
	.end_amdhsa_kernel
	.section	.text._ZN7rocprim17ROCPRIM_400000_NS6detail17trampoline_kernelINS0_14default_configENS1_25partition_config_selectorILNS1_17partition_subalgoE6EyNS0_10empty_typeEbEEZZNS1_14partition_implILS5_6ELb0ES3_mN6thrust23THRUST_200600_302600_NS6detail15normal_iteratorINSA_10device_ptrIyEEEEPS6_SG_NS0_5tupleIJSF_S6_EEENSH_IJSG_SG_EEES6_PlJNSB_9not_fun_tINSB_14equal_to_valueIyEEEEEEE10hipError_tPvRmT3_T4_T5_T6_T7_T9_mT8_P12ihipStream_tbDpT10_ENKUlT_T0_E_clISt17integral_constantIbLb0EES18_EEDaS13_S14_EUlS13_E_NS1_11comp_targetILNS1_3genE4ELNS1_11target_archE910ELNS1_3gpuE8ELNS1_3repE0EEENS1_30default_config_static_selectorELNS0_4arch9wavefront6targetE0EEEvT1_,"axG",@progbits,_ZN7rocprim17ROCPRIM_400000_NS6detail17trampoline_kernelINS0_14default_configENS1_25partition_config_selectorILNS1_17partition_subalgoE6EyNS0_10empty_typeEbEEZZNS1_14partition_implILS5_6ELb0ES3_mN6thrust23THRUST_200600_302600_NS6detail15normal_iteratorINSA_10device_ptrIyEEEEPS6_SG_NS0_5tupleIJSF_S6_EEENSH_IJSG_SG_EEES6_PlJNSB_9not_fun_tINSB_14equal_to_valueIyEEEEEEE10hipError_tPvRmT3_T4_T5_T6_T7_T9_mT8_P12ihipStream_tbDpT10_ENKUlT_T0_E_clISt17integral_constantIbLb0EES18_EEDaS13_S14_EUlS13_E_NS1_11comp_targetILNS1_3genE4ELNS1_11target_archE910ELNS1_3gpuE8ELNS1_3repE0EEENS1_30default_config_static_selectorELNS0_4arch9wavefront6targetE0EEEvT1_,comdat
.Lfunc_end343:
	.size	_ZN7rocprim17ROCPRIM_400000_NS6detail17trampoline_kernelINS0_14default_configENS1_25partition_config_selectorILNS1_17partition_subalgoE6EyNS0_10empty_typeEbEEZZNS1_14partition_implILS5_6ELb0ES3_mN6thrust23THRUST_200600_302600_NS6detail15normal_iteratorINSA_10device_ptrIyEEEEPS6_SG_NS0_5tupleIJSF_S6_EEENSH_IJSG_SG_EEES6_PlJNSB_9not_fun_tINSB_14equal_to_valueIyEEEEEEE10hipError_tPvRmT3_T4_T5_T6_T7_T9_mT8_P12ihipStream_tbDpT10_ENKUlT_T0_E_clISt17integral_constantIbLb0EES18_EEDaS13_S14_EUlS13_E_NS1_11comp_targetILNS1_3genE4ELNS1_11target_archE910ELNS1_3gpuE8ELNS1_3repE0EEENS1_30default_config_static_selectorELNS0_4arch9wavefront6targetE0EEEvT1_, .Lfunc_end343-_ZN7rocprim17ROCPRIM_400000_NS6detail17trampoline_kernelINS0_14default_configENS1_25partition_config_selectorILNS1_17partition_subalgoE6EyNS0_10empty_typeEbEEZZNS1_14partition_implILS5_6ELb0ES3_mN6thrust23THRUST_200600_302600_NS6detail15normal_iteratorINSA_10device_ptrIyEEEEPS6_SG_NS0_5tupleIJSF_S6_EEENSH_IJSG_SG_EEES6_PlJNSB_9not_fun_tINSB_14equal_to_valueIyEEEEEEE10hipError_tPvRmT3_T4_T5_T6_T7_T9_mT8_P12ihipStream_tbDpT10_ENKUlT_T0_E_clISt17integral_constantIbLb0EES18_EEDaS13_S14_EUlS13_E_NS1_11comp_targetILNS1_3genE4ELNS1_11target_archE910ELNS1_3gpuE8ELNS1_3repE0EEENS1_30default_config_static_selectorELNS0_4arch9wavefront6targetE0EEEvT1_
                                        ; -- End function
	.set _ZN7rocprim17ROCPRIM_400000_NS6detail17trampoline_kernelINS0_14default_configENS1_25partition_config_selectorILNS1_17partition_subalgoE6EyNS0_10empty_typeEbEEZZNS1_14partition_implILS5_6ELb0ES3_mN6thrust23THRUST_200600_302600_NS6detail15normal_iteratorINSA_10device_ptrIyEEEEPS6_SG_NS0_5tupleIJSF_S6_EEENSH_IJSG_SG_EEES6_PlJNSB_9not_fun_tINSB_14equal_to_valueIyEEEEEEE10hipError_tPvRmT3_T4_T5_T6_T7_T9_mT8_P12ihipStream_tbDpT10_ENKUlT_T0_E_clISt17integral_constantIbLb0EES18_EEDaS13_S14_EUlS13_E_NS1_11comp_targetILNS1_3genE4ELNS1_11target_archE910ELNS1_3gpuE8ELNS1_3repE0EEENS1_30default_config_static_selectorELNS0_4arch9wavefront6targetE0EEEvT1_.num_vgpr, 0
	.set _ZN7rocprim17ROCPRIM_400000_NS6detail17trampoline_kernelINS0_14default_configENS1_25partition_config_selectorILNS1_17partition_subalgoE6EyNS0_10empty_typeEbEEZZNS1_14partition_implILS5_6ELb0ES3_mN6thrust23THRUST_200600_302600_NS6detail15normal_iteratorINSA_10device_ptrIyEEEEPS6_SG_NS0_5tupleIJSF_S6_EEENSH_IJSG_SG_EEES6_PlJNSB_9not_fun_tINSB_14equal_to_valueIyEEEEEEE10hipError_tPvRmT3_T4_T5_T6_T7_T9_mT8_P12ihipStream_tbDpT10_ENKUlT_T0_E_clISt17integral_constantIbLb0EES18_EEDaS13_S14_EUlS13_E_NS1_11comp_targetILNS1_3genE4ELNS1_11target_archE910ELNS1_3gpuE8ELNS1_3repE0EEENS1_30default_config_static_selectorELNS0_4arch9wavefront6targetE0EEEvT1_.num_agpr, 0
	.set _ZN7rocprim17ROCPRIM_400000_NS6detail17trampoline_kernelINS0_14default_configENS1_25partition_config_selectorILNS1_17partition_subalgoE6EyNS0_10empty_typeEbEEZZNS1_14partition_implILS5_6ELb0ES3_mN6thrust23THRUST_200600_302600_NS6detail15normal_iteratorINSA_10device_ptrIyEEEEPS6_SG_NS0_5tupleIJSF_S6_EEENSH_IJSG_SG_EEES6_PlJNSB_9not_fun_tINSB_14equal_to_valueIyEEEEEEE10hipError_tPvRmT3_T4_T5_T6_T7_T9_mT8_P12ihipStream_tbDpT10_ENKUlT_T0_E_clISt17integral_constantIbLb0EES18_EEDaS13_S14_EUlS13_E_NS1_11comp_targetILNS1_3genE4ELNS1_11target_archE910ELNS1_3gpuE8ELNS1_3repE0EEENS1_30default_config_static_selectorELNS0_4arch9wavefront6targetE0EEEvT1_.numbered_sgpr, 0
	.set _ZN7rocprim17ROCPRIM_400000_NS6detail17trampoline_kernelINS0_14default_configENS1_25partition_config_selectorILNS1_17partition_subalgoE6EyNS0_10empty_typeEbEEZZNS1_14partition_implILS5_6ELb0ES3_mN6thrust23THRUST_200600_302600_NS6detail15normal_iteratorINSA_10device_ptrIyEEEEPS6_SG_NS0_5tupleIJSF_S6_EEENSH_IJSG_SG_EEES6_PlJNSB_9not_fun_tINSB_14equal_to_valueIyEEEEEEE10hipError_tPvRmT3_T4_T5_T6_T7_T9_mT8_P12ihipStream_tbDpT10_ENKUlT_T0_E_clISt17integral_constantIbLb0EES18_EEDaS13_S14_EUlS13_E_NS1_11comp_targetILNS1_3genE4ELNS1_11target_archE910ELNS1_3gpuE8ELNS1_3repE0EEENS1_30default_config_static_selectorELNS0_4arch9wavefront6targetE0EEEvT1_.num_named_barrier, 0
	.set _ZN7rocprim17ROCPRIM_400000_NS6detail17trampoline_kernelINS0_14default_configENS1_25partition_config_selectorILNS1_17partition_subalgoE6EyNS0_10empty_typeEbEEZZNS1_14partition_implILS5_6ELb0ES3_mN6thrust23THRUST_200600_302600_NS6detail15normal_iteratorINSA_10device_ptrIyEEEEPS6_SG_NS0_5tupleIJSF_S6_EEENSH_IJSG_SG_EEES6_PlJNSB_9not_fun_tINSB_14equal_to_valueIyEEEEEEE10hipError_tPvRmT3_T4_T5_T6_T7_T9_mT8_P12ihipStream_tbDpT10_ENKUlT_T0_E_clISt17integral_constantIbLb0EES18_EEDaS13_S14_EUlS13_E_NS1_11comp_targetILNS1_3genE4ELNS1_11target_archE910ELNS1_3gpuE8ELNS1_3repE0EEENS1_30default_config_static_selectorELNS0_4arch9wavefront6targetE0EEEvT1_.private_seg_size, 0
	.set _ZN7rocprim17ROCPRIM_400000_NS6detail17trampoline_kernelINS0_14default_configENS1_25partition_config_selectorILNS1_17partition_subalgoE6EyNS0_10empty_typeEbEEZZNS1_14partition_implILS5_6ELb0ES3_mN6thrust23THRUST_200600_302600_NS6detail15normal_iteratorINSA_10device_ptrIyEEEEPS6_SG_NS0_5tupleIJSF_S6_EEENSH_IJSG_SG_EEES6_PlJNSB_9not_fun_tINSB_14equal_to_valueIyEEEEEEE10hipError_tPvRmT3_T4_T5_T6_T7_T9_mT8_P12ihipStream_tbDpT10_ENKUlT_T0_E_clISt17integral_constantIbLb0EES18_EEDaS13_S14_EUlS13_E_NS1_11comp_targetILNS1_3genE4ELNS1_11target_archE910ELNS1_3gpuE8ELNS1_3repE0EEENS1_30default_config_static_selectorELNS0_4arch9wavefront6targetE0EEEvT1_.uses_vcc, 0
	.set _ZN7rocprim17ROCPRIM_400000_NS6detail17trampoline_kernelINS0_14default_configENS1_25partition_config_selectorILNS1_17partition_subalgoE6EyNS0_10empty_typeEbEEZZNS1_14partition_implILS5_6ELb0ES3_mN6thrust23THRUST_200600_302600_NS6detail15normal_iteratorINSA_10device_ptrIyEEEEPS6_SG_NS0_5tupleIJSF_S6_EEENSH_IJSG_SG_EEES6_PlJNSB_9not_fun_tINSB_14equal_to_valueIyEEEEEEE10hipError_tPvRmT3_T4_T5_T6_T7_T9_mT8_P12ihipStream_tbDpT10_ENKUlT_T0_E_clISt17integral_constantIbLb0EES18_EEDaS13_S14_EUlS13_E_NS1_11comp_targetILNS1_3genE4ELNS1_11target_archE910ELNS1_3gpuE8ELNS1_3repE0EEENS1_30default_config_static_selectorELNS0_4arch9wavefront6targetE0EEEvT1_.uses_flat_scratch, 0
	.set _ZN7rocprim17ROCPRIM_400000_NS6detail17trampoline_kernelINS0_14default_configENS1_25partition_config_selectorILNS1_17partition_subalgoE6EyNS0_10empty_typeEbEEZZNS1_14partition_implILS5_6ELb0ES3_mN6thrust23THRUST_200600_302600_NS6detail15normal_iteratorINSA_10device_ptrIyEEEEPS6_SG_NS0_5tupleIJSF_S6_EEENSH_IJSG_SG_EEES6_PlJNSB_9not_fun_tINSB_14equal_to_valueIyEEEEEEE10hipError_tPvRmT3_T4_T5_T6_T7_T9_mT8_P12ihipStream_tbDpT10_ENKUlT_T0_E_clISt17integral_constantIbLb0EES18_EEDaS13_S14_EUlS13_E_NS1_11comp_targetILNS1_3genE4ELNS1_11target_archE910ELNS1_3gpuE8ELNS1_3repE0EEENS1_30default_config_static_selectorELNS0_4arch9wavefront6targetE0EEEvT1_.has_dyn_sized_stack, 0
	.set _ZN7rocprim17ROCPRIM_400000_NS6detail17trampoline_kernelINS0_14default_configENS1_25partition_config_selectorILNS1_17partition_subalgoE6EyNS0_10empty_typeEbEEZZNS1_14partition_implILS5_6ELb0ES3_mN6thrust23THRUST_200600_302600_NS6detail15normal_iteratorINSA_10device_ptrIyEEEEPS6_SG_NS0_5tupleIJSF_S6_EEENSH_IJSG_SG_EEES6_PlJNSB_9not_fun_tINSB_14equal_to_valueIyEEEEEEE10hipError_tPvRmT3_T4_T5_T6_T7_T9_mT8_P12ihipStream_tbDpT10_ENKUlT_T0_E_clISt17integral_constantIbLb0EES18_EEDaS13_S14_EUlS13_E_NS1_11comp_targetILNS1_3genE4ELNS1_11target_archE910ELNS1_3gpuE8ELNS1_3repE0EEENS1_30default_config_static_selectorELNS0_4arch9wavefront6targetE0EEEvT1_.has_recursion, 0
	.set _ZN7rocprim17ROCPRIM_400000_NS6detail17trampoline_kernelINS0_14default_configENS1_25partition_config_selectorILNS1_17partition_subalgoE6EyNS0_10empty_typeEbEEZZNS1_14partition_implILS5_6ELb0ES3_mN6thrust23THRUST_200600_302600_NS6detail15normal_iteratorINSA_10device_ptrIyEEEEPS6_SG_NS0_5tupleIJSF_S6_EEENSH_IJSG_SG_EEES6_PlJNSB_9not_fun_tINSB_14equal_to_valueIyEEEEEEE10hipError_tPvRmT3_T4_T5_T6_T7_T9_mT8_P12ihipStream_tbDpT10_ENKUlT_T0_E_clISt17integral_constantIbLb0EES18_EEDaS13_S14_EUlS13_E_NS1_11comp_targetILNS1_3genE4ELNS1_11target_archE910ELNS1_3gpuE8ELNS1_3repE0EEENS1_30default_config_static_selectorELNS0_4arch9wavefront6targetE0EEEvT1_.has_indirect_call, 0
	.section	.AMDGPU.csdata,"",@progbits
; Kernel info:
; codeLenInByte = 0
; TotalNumSgprs: 0
; NumVgprs: 0
; ScratchSize: 0
; MemoryBound: 0
; FloatMode: 240
; IeeeMode: 1
; LDSByteSize: 0 bytes/workgroup (compile time only)
; SGPRBlocks: 0
; VGPRBlocks: 0
; NumSGPRsForWavesPerEU: 1
; NumVGPRsForWavesPerEU: 1
; Occupancy: 16
; WaveLimiterHint : 0
; COMPUTE_PGM_RSRC2:SCRATCH_EN: 0
; COMPUTE_PGM_RSRC2:USER_SGPR: 2
; COMPUTE_PGM_RSRC2:TRAP_HANDLER: 0
; COMPUTE_PGM_RSRC2:TGID_X_EN: 1
; COMPUTE_PGM_RSRC2:TGID_Y_EN: 0
; COMPUTE_PGM_RSRC2:TGID_Z_EN: 0
; COMPUTE_PGM_RSRC2:TIDIG_COMP_CNT: 0
	.section	.text._ZN7rocprim17ROCPRIM_400000_NS6detail17trampoline_kernelINS0_14default_configENS1_25partition_config_selectorILNS1_17partition_subalgoE6EyNS0_10empty_typeEbEEZZNS1_14partition_implILS5_6ELb0ES3_mN6thrust23THRUST_200600_302600_NS6detail15normal_iteratorINSA_10device_ptrIyEEEEPS6_SG_NS0_5tupleIJSF_S6_EEENSH_IJSG_SG_EEES6_PlJNSB_9not_fun_tINSB_14equal_to_valueIyEEEEEEE10hipError_tPvRmT3_T4_T5_T6_T7_T9_mT8_P12ihipStream_tbDpT10_ENKUlT_T0_E_clISt17integral_constantIbLb0EES18_EEDaS13_S14_EUlS13_E_NS1_11comp_targetILNS1_3genE3ELNS1_11target_archE908ELNS1_3gpuE7ELNS1_3repE0EEENS1_30default_config_static_selectorELNS0_4arch9wavefront6targetE0EEEvT1_,"axG",@progbits,_ZN7rocprim17ROCPRIM_400000_NS6detail17trampoline_kernelINS0_14default_configENS1_25partition_config_selectorILNS1_17partition_subalgoE6EyNS0_10empty_typeEbEEZZNS1_14partition_implILS5_6ELb0ES3_mN6thrust23THRUST_200600_302600_NS6detail15normal_iteratorINSA_10device_ptrIyEEEEPS6_SG_NS0_5tupleIJSF_S6_EEENSH_IJSG_SG_EEES6_PlJNSB_9not_fun_tINSB_14equal_to_valueIyEEEEEEE10hipError_tPvRmT3_T4_T5_T6_T7_T9_mT8_P12ihipStream_tbDpT10_ENKUlT_T0_E_clISt17integral_constantIbLb0EES18_EEDaS13_S14_EUlS13_E_NS1_11comp_targetILNS1_3genE3ELNS1_11target_archE908ELNS1_3gpuE7ELNS1_3repE0EEENS1_30default_config_static_selectorELNS0_4arch9wavefront6targetE0EEEvT1_,comdat
	.protected	_ZN7rocprim17ROCPRIM_400000_NS6detail17trampoline_kernelINS0_14default_configENS1_25partition_config_selectorILNS1_17partition_subalgoE6EyNS0_10empty_typeEbEEZZNS1_14partition_implILS5_6ELb0ES3_mN6thrust23THRUST_200600_302600_NS6detail15normal_iteratorINSA_10device_ptrIyEEEEPS6_SG_NS0_5tupleIJSF_S6_EEENSH_IJSG_SG_EEES6_PlJNSB_9not_fun_tINSB_14equal_to_valueIyEEEEEEE10hipError_tPvRmT3_T4_T5_T6_T7_T9_mT8_P12ihipStream_tbDpT10_ENKUlT_T0_E_clISt17integral_constantIbLb0EES18_EEDaS13_S14_EUlS13_E_NS1_11comp_targetILNS1_3genE3ELNS1_11target_archE908ELNS1_3gpuE7ELNS1_3repE0EEENS1_30default_config_static_selectorELNS0_4arch9wavefront6targetE0EEEvT1_ ; -- Begin function _ZN7rocprim17ROCPRIM_400000_NS6detail17trampoline_kernelINS0_14default_configENS1_25partition_config_selectorILNS1_17partition_subalgoE6EyNS0_10empty_typeEbEEZZNS1_14partition_implILS5_6ELb0ES3_mN6thrust23THRUST_200600_302600_NS6detail15normal_iteratorINSA_10device_ptrIyEEEEPS6_SG_NS0_5tupleIJSF_S6_EEENSH_IJSG_SG_EEES6_PlJNSB_9not_fun_tINSB_14equal_to_valueIyEEEEEEE10hipError_tPvRmT3_T4_T5_T6_T7_T9_mT8_P12ihipStream_tbDpT10_ENKUlT_T0_E_clISt17integral_constantIbLb0EES18_EEDaS13_S14_EUlS13_E_NS1_11comp_targetILNS1_3genE3ELNS1_11target_archE908ELNS1_3gpuE7ELNS1_3repE0EEENS1_30default_config_static_selectorELNS0_4arch9wavefront6targetE0EEEvT1_
	.globl	_ZN7rocprim17ROCPRIM_400000_NS6detail17trampoline_kernelINS0_14default_configENS1_25partition_config_selectorILNS1_17partition_subalgoE6EyNS0_10empty_typeEbEEZZNS1_14partition_implILS5_6ELb0ES3_mN6thrust23THRUST_200600_302600_NS6detail15normal_iteratorINSA_10device_ptrIyEEEEPS6_SG_NS0_5tupleIJSF_S6_EEENSH_IJSG_SG_EEES6_PlJNSB_9not_fun_tINSB_14equal_to_valueIyEEEEEEE10hipError_tPvRmT3_T4_T5_T6_T7_T9_mT8_P12ihipStream_tbDpT10_ENKUlT_T0_E_clISt17integral_constantIbLb0EES18_EEDaS13_S14_EUlS13_E_NS1_11comp_targetILNS1_3genE3ELNS1_11target_archE908ELNS1_3gpuE7ELNS1_3repE0EEENS1_30default_config_static_selectorELNS0_4arch9wavefront6targetE0EEEvT1_
	.p2align	8
	.type	_ZN7rocprim17ROCPRIM_400000_NS6detail17trampoline_kernelINS0_14default_configENS1_25partition_config_selectorILNS1_17partition_subalgoE6EyNS0_10empty_typeEbEEZZNS1_14partition_implILS5_6ELb0ES3_mN6thrust23THRUST_200600_302600_NS6detail15normal_iteratorINSA_10device_ptrIyEEEEPS6_SG_NS0_5tupleIJSF_S6_EEENSH_IJSG_SG_EEES6_PlJNSB_9not_fun_tINSB_14equal_to_valueIyEEEEEEE10hipError_tPvRmT3_T4_T5_T6_T7_T9_mT8_P12ihipStream_tbDpT10_ENKUlT_T0_E_clISt17integral_constantIbLb0EES18_EEDaS13_S14_EUlS13_E_NS1_11comp_targetILNS1_3genE3ELNS1_11target_archE908ELNS1_3gpuE7ELNS1_3repE0EEENS1_30default_config_static_selectorELNS0_4arch9wavefront6targetE0EEEvT1_,@function
_ZN7rocprim17ROCPRIM_400000_NS6detail17trampoline_kernelINS0_14default_configENS1_25partition_config_selectorILNS1_17partition_subalgoE6EyNS0_10empty_typeEbEEZZNS1_14partition_implILS5_6ELb0ES3_mN6thrust23THRUST_200600_302600_NS6detail15normal_iteratorINSA_10device_ptrIyEEEEPS6_SG_NS0_5tupleIJSF_S6_EEENSH_IJSG_SG_EEES6_PlJNSB_9not_fun_tINSB_14equal_to_valueIyEEEEEEE10hipError_tPvRmT3_T4_T5_T6_T7_T9_mT8_P12ihipStream_tbDpT10_ENKUlT_T0_E_clISt17integral_constantIbLb0EES18_EEDaS13_S14_EUlS13_E_NS1_11comp_targetILNS1_3genE3ELNS1_11target_archE908ELNS1_3gpuE7ELNS1_3repE0EEENS1_30default_config_static_selectorELNS0_4arch9wavefront6targetE0EEEvT1_: ; @_ZN7rocprim17ROCPRIM_400000_NS6detail17trampoline_kernelINS0_14default_configENS1_25partition_config_selectorILNS1_17partition_subalgoE6EyNS0_10empty_typeEbEEZZNS1_14partition_implILS5_6ELb0ES3_mN6thrust23THRUST_200600_302600_NS6detail15normal_iteratorINSA_10device_ptrIyEEEEPS6_SG_NS0_5tupleIJSF_S6_EEENSH_IJSG_SG_EEES6_PlJNSB_9not_fun_tINSB_14equal_to_valueIyEEEEEEE10hipError_tPvRmT3_T4_T5_T6_T7_T9_mT8_P12ihipStream_tbDpT10_ENKUlT_T0_E_clISt17integral_constantIbLb0EES18_EEDaS13_S14_EUlS13_E_NS1_11comp_targetILNS1_3genE3ELNS1_11target_archE908ELNS1_3gpuE7ELNS1_3repE0EEENS1_30default_config_static_selectorELNS0_4arch9wavefront6targetE0EEEvT1_
; %bb.0:
	.section	.rodata,"a",@progbits
	.p2align	6, 0x0
	.amdhsa_kernel _ZN7rocprim17ROCPRIM_400000_NS6detail17trampoline_kernelINS0_14default_configENS1_25partition_config_selectorILNS1_17partition_subalgoE6EyNS0_10empty_typeEbEEZZNS1_14partition_implILS5_6ELb0ES3_mN6thrust23THRUST_200600_302600_NS6detail15normal_iteratorINSA_10device_ptrIyEEEEPS6_SG_NS0_5tupleIJSF_S6_EEENSH_IJSG_SG_EEES6_PlJNSB_9not_fun_tINSB_14equal_to_valueIyEEEEEEE10hipError_tPvRmT3_T4_T5_T6_T7_T9_mT8_P12ihipStream_tbDpT10_ENKUlT_T0_E_clISt17integral_constantIbLb0EES18_EEDaS13_S14_EUlS13_E_NS1_11comp_targetILNS1_3genE3ELNS1_11target_archE908ELNS1_3gpuE7ELNS1_3repE0EEENS1_30default_config_static_selectorELNS0_4arch9wavefront6targetE0EEEvT1_
		.amdhsa_group_segment_fixed_size 0
		.amdhsa_private_segment_fixed_size 0
		.amdhsa_kernarg_size 120
		.amdhsa_user_sgpr_count 2
		.amdhsa_user_sgpr_dispatch_ptr 0
		.amdhsa_user_sgpr_queue_ptr 0
		.amdhsa_user_sgpr_kernarg_segment_ptr 1
		.amdhsa_user_sgpr_dispatch_id 0
		.amdhsa_user_sgpr_private_segment_size 0
		.amdhsa_wavefront_size32 1
		.amdhsa_uses_dynamic_stack 0
		.amdhsa_enable_private_segment 0
		.amdhsa_system_sgpr_workgroup_id_x 1
		.amdhsa_system_sgpr_workgroup_id_y 0
		.amdhsa_system_sgpr_workgroup_id_z 0
		.amdhsa_system_sgpr_workgroup_info 0
		.amdhsa_system_vgpr_workitem_id 0
		.amdhsa_next_free_vgpr 1
		.amdhsa_next_free_sgpr 1
		.amdhsa_reserve_vcc 0
		.amdhsa_float_round_mode_32 0
		.amdhsa_float_round_mode_16_64 0
		.amdhsa_float_denorm_mode_32 3
		.amdhsa_float_denorm_mode_16_64 3
		.amdhsa_fp16_overflow 0
		.amdhsa_workgroup_processor_mode 1
		.amdhsa_memory_ordered 1
		.amdhsa_forward_progress 1
		.amdhsa_inst_pref_size 0
		.amdhsa_round_robin_scheduling 0
		.amdhsa_exception_fp_ieee_invalid_op 0
		.amdhsa_exception_fp_denorm_src 0
		.amdhsa_exception_fp_ieee_div_zero 0
		.amdhsa_exception_fp_ieee_overflow 0
		.amdhsa_exception_fp_ieee_underflow 0
		.amdhsa_exception_fp_ieee_inexact 0
		.amdhsa_exception_int_div_zero 0
	.end_amdhsa_kernel
	.section	.text._ZN7rocprim17ROCPRIM_400000_NS6detail17trampoline_kernelINS0_14default_configENS1_25partition_config_selectorILNS1_17partition_subalgoE6EyNS0_10empty_typeEbEEZZNS1_14partition_implILS5_6ELb0ES3_mN6thrust23THRUST_200600_302600_NS6detail15normal_iteratorINSA_10device_ptrIyEEEEPS6_SG_NS0_5tupleIJSF_S6_EEENSH_IJSG_SG_EEES6_PlJNSB_9not_fun_tINSB_14equal_to_valueIyEEEEEEE10hipError_tPvRmT3_T4_T5_T6_T7_T9_mT8_P12ihipStream_tbDpT10_ENKUlT_T0_E_clISt17integral_constantIbLb0EES18_EEDaS13_S14_EUlS13_E_NS1_11comp_targetILNS1_3genE3ELNS1_11target_archE908ELNS1_3gpuE7ELNS1_3repE0EEENS1_30default_config_static_selectorELNS0_4arch9wavefront6targetE0EEEvT1_,"axG",@progbits,_ZN7rocprim17ROCPRIM_400000_NS6detail17trampoline_kernelINS0_14default_configENS1_25partition_config_selectorILNS1_17partition_subalgoE6EyNS0_10empty_typeEbEEZZNS1_14partition_implILS5_6ELb0ES3_mN6thrust23THRUST_200600_302600_NS6detail15normal_iteratorINSA_10device_ptrIyEEEEPS6_SG_NS0_5tupleIJSF_S6_EEENSH_IJSG_SG_EEES6_PlJNSB_9not_fun_tINSB_14equal_to_valueIyEEEEEEE10hipError_tPvRmT3_T4_T5_T6_T7_T9_mT8_P12ihipStream_tbDpT10_ENKUlT_T0_E_clISt17integral_constantIbLb0EES18_EEDaS13_S14_EUlS13_E_NS1_11comp_targetILNS1_3genE3ELNS1_11target_archE908ELNS1_3gpuE7ELNS1_3repE0EEENS1_30default_config_static_selectorELNS0_4arch9wavefront6targetE0EEEvT1_,comdat
.Lfunc_end344:
	.size	_ZN7rocprim17ROCPRIM_400000_NS6detail17trampoline_kernelINS0_14default_configENS1_25partition_config_selectorILNS1_17partition_subalgoE6EyNS0_10empty_typeEbEEZZNS1_14partition_implILS5_6ELb0ES3_mN6thrust23THRUST_200600_302600_NS6detail15normal_iteratorINSA_10device_ptrIyEEEEPS6_SG_NS0_5tupleIJSF_S6_EEENSH_IJSG_SG_EEES6_PlJNSB_9not_fun_tINSB_14equal_to_valueIyEEEEEEE10hipError_tPvRmT3_T4_T5_T6_T7_T9_mT8_P12ihipStream_tbDpT10_ENKUlT_T0_E_clISt17integral_constantIbLb0EES18_EEDaS13_S14_EUlS13_E_NS1_11comp_targetILNS1_3genE3ELNS1_11target_archE908ELNS1_3gpuE7ELNS1_3repE0EEENS1_30default_config_static_selectorELNS0_4arch9wavefront6targetE0EEEvT1_, .Lfunc_end344-_ZN7rocprim17ROCPRIM_400000_NS6detail17trampoline_kernelINS0_14default_configENS1_25partition_config_selectorILNS1_17partition_subalgoE6EyNS0_10empty_typeEbEEZZNS1_14partition_implILS5_6ELb0ES3_mN6thrust23THRUST_200600_302600_NS6detail15normal_iteratorINSA_10device_ptrIyEEEEPS6_SG_NS0_5tupleIJSF_S6_EEENSH_IJSG_SG_EEES6_PlJNSB_9not_fun_tINSB_14equal_to_valueIyEEEEEEE10hipError_tPvRmT3_T4_T5_T6_T7_T9_mT8_P12ihipStream_tbDpT10_ENKUlT_T0_E_clISt17integral_constantIbLb0EES18_EEDaS13_S14_EUlS13_E_NS1_11comp_targetILNS1_3genE3ELNS1_11target_archE908ELNS1_3gpuE7ELNS1_3repE0EEENS1_30default_config_static_selectorELNS0_4arch9wavefront6targetE0EEEvT1_
                                        ; -- End function
	.set _ZN7rocprim17ROCPRIM_400000_NS6detail17trampoline_kernelINS0_14default_configENS1_25partition_config_selectorILNS1_17partition_subalgoE6EyNS0_10empty_typeEbEEZZNS1_14partition_implILS5_6ELb0ES3_mN6thrust23THRUST_200600_302600_NS6detail15normal_iteratorINSA_10device_ptrIyEEEEPS6_SG_NS0_5tupleIJSF_S6_EEENSH_IJSG_SG_EEES6_PlJNSB_9not_fun_tINSB_14equal_to_valueIyEEEEEEE10hipError_tPvRmT3_T4_T5_T6_T7_T9_mT8_P12ihipStream_tbDpT10_ENKUlT_T0_E_clISt17integral_constantIbLb0EES18_EEDaS13_S14_EUlS13_E_NS1_11comp_targetILNS1_3genE3ELNS1_11target_archE908ELNS1_3gpuE7ELNS1_3repE0EEENS1_30default_config_static_selectorELNS0_4arch9wavefront6targetE0EEEvT1_.num_vgpr, 0
	.set _ZN7rocprim17ROCPRIM_400000_NS6detail17trampoline_kernelINS0_14default_configENS1_25partition_config_selectorILNS1_17partition_subalgoE6EyNS0_10empty_typeEbEEZZNS1_14partition_implILS5_6ELb0ES3_mN6thrust23THRUST_200600_302600_NS6detail15normal_iteratorINSA_10device_ptrIyEEEEPS6_SG_NS0_5tupleIJSF_S6_EEENSH_IJSG_SG_EEES6_PlJNSB_9not_fun_tINSB_14equal_to_valueIyEEEEEEE10hipError_tPvRmT3_T4_T5_T6_T7_T9_mT8_P12ihipStream_tbDpT10_ENKUlT_T0_E_clISt17integral_constantIbLb0EES18_EEDaS13_S14_EUlS13_E_NS1_11comp_targetILNS1_3genE3ELNS1_11target_archE908ELNS1_3gpuE7ELNS1_3repE0EEENS1_30default_config_static_selectorELNS0_4arch9wavefront6targetE0EEEvT1_.num_agpr, 0
	.set _ZN7rocprim17ROCPRIM_400000_NS6detail17trampoline_kernelINS0_14default_configENS1_25partition_config_selectorILNS1_17partition_subalgoE6EyNS0_10empty_typeEbEEZZNS1_14partition_implILS5_6ELb0ES3_mN6thrust23THRUST_200600_302600_NS6detail15normal_iteratorINSA_10device_ptrIyEEEEPS6_SG_NS0_5tupleIJSF_S6_EEENSH_IJSG_SG_EEES6_PlJNSB_9not_fun_tINSB_14equal_to_valueIyEEEEEEE10hipError_tPvRmT3_T4_T5_T6_T7_T9_mT8_P12ihipStream_tbDpT10_ENKUlT_T0_E_clISt17integral_constantIbLb0EES18_EEDaS13_S14_EUlS13_E_NS1_11comp_targetILNS1_3genE3ELNS1_11target_archE908ELNS1_3gpuE7ELNS1_3repE0EEENS1_30default_config_static_selectorELNS0_4arch9wavefront6targetE0EEEvT1_.numbered_sgpr, 0
	.set _ZN7rocprim17ROCPRIM_400000_NS6detail17trampoline_kernelINS0_14default_configENS1_25partition_config_selectorILNS1_17partition_subalgoE6EyNS0_10empty_typeEbEEZZNS1_14partition_implILS5_6ELb0ES3_mN6thrust23THRUST_200600_302600_NS6detail15normal_iteratorINSA_10device_ptrIyEEEEPS6_SG_NS0_5tupleIJSF_S6_EEENSH_IJSG_SG_EEES6_PlJNSB_9not_fun_tINSB_14equal_to_valueIyEEEEEEE10hipError_tPvRmT3_T4_T5_T6_T7_T9_mT8_P12ihipStream_tbDpT10_ENKUlT_T0_E_clISt17integral_constantIbLb0EES18_EEDaS13_S14_EUlS13_E_NS1_11comp_targetILNS1_3genE3ELNS1_11target_archE908ELNS1_3gpuE7ELNS1_3repE0EEENS1_30default_config_static_selectorELNS0_4arch9wavefront6targetE0EEEvT1_.num_named_barrier, 0
	.set _ZN7rocprim17ROCPRIM_400000_NS6detail17trampoline_kernelINS0_14default_configENS1_25partition_config_selectorILNS1_17partition_subalgoE6EyNS0_10empty_typeEbEEZZNS1_14partition_implILS5_6ELb0ES3_mN6thrust23THRUST_200600_302600_NS6detail15normal_iteratorINSA_10device_ptrIyEEEEPS6_SG_NS0_5tupleIJSF_S6_EEENSH_IJSG_SG_EEES6_PlJNSB_9not_fun_tINSB_14equal_to_valueIyEEEEEEE10hipError_tPvRmT3_T4_T5_T6_T7_T9_mT8_P12ihipStream_tbDpT10_ENKUlT_T0_E_clISt17integral_constantIbLb0EES18_EEDaS13_S14_EUlS13_E_NS1_11comp_targetILNS1_3genE3ELNS1_11target_archE908ELNS1_3gpuE7ELNS1_3repE0EEENS1_30default_config_static_selectorELNS0_4arch9wavefront6targetE0EEEvT1_.private_seg_size, 0
	.set _ZN7rocprim17ROCPRIM_400000_NS6detail17trampoline_kernelINS0_14default_configENS1_25partition_config_selectorILNS1_17partition_subalgoE6EyNS0_10empty_typeEbEEZZNS1_14partition_implILS5_6ELb0ES3_mN6thrust23THRUST_200600_302600_NS6detail15normal_iteratorINSA_10device_ptrIyEEEEPS6_SG_NS0_5tupleIJSF_S6_EEENSH_IJSG_SG_EEES6_PlJNSB_9not_fun_tINSB_14equal_to_valueIyEEEEEEE10hipError_tPvRmT3_T4_T5_T6_T7_T9_mT8_P12ihipStream_tbDpT10_ENKUlT_T0_E_clISt17integral_constantIbLb0EES18_EEDaS13_S14_EUlS13_E_NS1_11comp_targetILNS1_3genE3ELNS1_11target_archE908ELNS1_3gpuE7ELNS1_3repE0EEENS1_30default_config_static_selectorELNS0_4arch9wavefront6targetE0EEEvT1_.uses_vcc, 0
	.set _ZN7rocprim17ROCPRIM_400000_NS6detail17trampoline_kernelINS0_14default_configENS1_25partition_config_selectorILNS1_17partition_subalgoE6EyNS0_10empty_typeEbEEZZNS1_14partition_implILS5_6ELb0ES3_mN6thrust23THRUST_200600_302600_NS6detail15normal_iteratorINSA_10device_ptrIyEEEEPS6_SG_NS0_5tupleIJSF_S6_EEENSH_IJSG_SG_EEES6_PlJNSB_9not_fun_tINSB_14equal_to_valueIyEEEEEEE10hipError_tPvRmT3_T4_T5_T6_T7_T9_mT8_P12ihipStream_tbDpT10_ENKUlT_T0_E_clISt17integral_constantIbLb0EES18_EEDaS13_S14_EUlS13_E_NS1_11comp_targetILNS1_3genE3ELNS1_11target_archE908ELNS1_3gpuE7ELNS1_3repE0EEENS1_30default_config_static_selectorELNS0_4arch9wavefront6targetE0EEEvT1_.uses_flat_scratch, 0
	.set _ZN7rocprim17ROCPRIM_400000_NS6detail17trampoline_kernelINS0_14default_configENS1_25partition_config_selectorILNS1_17partition_subalgoE6EyNS0_10empty_typeEbEEZZNS1_14partition_implILS5_6ELb0ES3_mN6thrust23THRUST_200600_302600_NS6detail15normal_iteratorINSA_10device_ptrIyEEEEPS6_SG_NS0_5tupleIJSF_S6_EEENSH_IJSG_SG_EEES6_PlJNSB_9not_fun_tINSB_14equal_to_valueIyEEEEEEE10hipError_tPvRmT3_T4_T5_T6_T7_T9_mT8_P12ihipStream_tbDpT10_ENKUlT_T0_E_clISt17integral_constantIbLb0EES18_EEDaS13_S14_EUlS13_E_NS1_11comp_targetILNS1_3genE3ELNS1_11target_archE908ELNS1_3gpuE7ELNS1_3repE0EEENS1_30default_config_static_selectorELNS0_4arch9wavefront6targetE0EEEvT1_.has_dyn_sized_stack, 0
	.set _ZN7rocprim17ROCPRIM_400000_NS6detail17trampoline_kernelINS0_14default_configENS1_25partition_config_selectorILNS1_17partition_subalgoE6EyNS0_10empty_typeEbEEZZNS1_14partition_implILS5_6ELb0ES3_mN6thrust23THRUST_200600_302600_NS6detail15normal_iteratorINSA_10device_ptrIyEEEEPS6_SG_NS0_5tupleIJSF_S6_EEENSH_IJSG_SG_EEES6_PlJNSB_9not_fun_tINSB_14equal_to_valueIyEEEEEEE10hipError_tPvRmT3_T4_T5_T6_T7_T9_mT8_P12ihipStream_tbDpT10_ENKUlT_T0_E_clISt17integral_constantIbLb0EES18_EEDaS13_S14_EUlS13_E_NS1_11comp_targetILNS1_3genE3ELNS1_11target_archE908ELNS1_3gpuE7ELNS1_3repE0EEENS1_30default_config_static_selectorELNS0_4arch9wavefront6targetE0EEEvT1_.has_recursion, 0
	.set _ZN7rocprim17ROCPRIM_400000_NS6detail17trampoline_kernelINS0_14default_configENS1_25partition_config_selectorILNS1_17partition_subalgoE6EyNS0_10empty_typeEbEEZZNS1_14partition_implILS5_6ELb0ES3_mN6thrust23THRUST_200600_302600_NS6detail15normal_iteratorINSA_10device_ptrIyEEEEPS6_SG_NS0_5tupleIJSF_S6_EEENSH_IJSG_SG_EEES6_PlJNSB_9not_fun_tINSB_14equal_to_valueIyEEEEEEE10hipError_tPvRmT3_T4_T5_T6_T7_T9_mT8_P12ihipStream_tbDpT10_ENKUlT_T0_E_clISt17integral_constantIbLb0EES18_EEDaS13_S14_EUlS13_E_NS1_11comp_targetILNS1_3genE3ELNS1_11target_archE908ELNS1_3gpuE7ELNS1_3repE0EEENS1_30default_config_static_selectorELNS0_4arch9wavefront6targetE0EEEvT1_.has_indirect_call, 0
	.section	.AMDGPU.csdata,"",@progbits
; Kernel info:
; codeLenInByte = 0
; TotalNumSgprs: 0
; NumVgprs: 0
; ScratchSize: 0
; MemoryBound: 0
; FloatMode: 240
; IeeeMode: 1
; LDSByteSize: 0 bytes/workgroup (compile time only)
; SGPRBlocks: 0
; VGPRBlocks: 0
; NumSGPRsForWavesPerEU: 1
; NumVGPRsForWavesPerEU: 1
; Occupancy: 16
; WaveLimiterHint : 0
; COMPUTE_PGM_RSRC2:SCRATCH_EN: 0
; COMPUTE_PGM_RSRC2:USER_SGPR: 2
; COMPUTE_PGM_RSRC2:TRAP_HANDLER: 0
; COMPUTE_PGM_RSRC2:TGID_X_EN: 1
; COMPUTE_PGM_RSRC2:TGID_Y_EN: 0
; COMPUTE_PGM_RSRC2:TGID_Z_EN: 0
; COMPUTE_PGM_RSRC2:TIDIG_COMP_CNT: 0
	.section	.text._ZN7rocprim17ROCPRIM_400000_NS6detail17trampoline_kernelINS0_14default_configENS1_25partition_config_selectorILNS1_17partition_subalgoE6EyNS0_10empty_typeEbEEZZNS1_14partition_implILS5_6ELb0ES3_mN6thrust23THRUST_200600_302600_NS6detail15normal_iteratorINSA_10device_ptrIyEEEEPS6_SG_NS0_5tupleIJSF_S6_EEENSH_IJSG_SG_EEES6_PlJNSB_9not_fun_tINSB_14equal_to_valueIyEEEEEEE10hipError_tPvRmT3_T4_T5_T6_T7_T9_mT8_P12ihipStream_tbDpT10_ENKUlT_T0_E_clISt17integral_constantIbLb0EES18_EEDaS13_S14_EUlS13_E_NS1_11comp_targetILNS1_3genE2ELNS1_11target_archE906ELNS1_3gpuE6ELNS1_3repE0EEENS1_30default_config_static_selectorELNS0_4arch9wavefront6targetE0EEEvT1_,"axG",@progbits,_ZN7rocprim17ROCPRIM_400000_NS6detail17trampoline_kernelINS0_14default_configENS1_25partition_config_selectorILNS1_17partition_subalgoE6EyNS0_10empty_typeEbEEZZNS1_14partition_implILS5_6ELb0ES3_mN6thrust23THRUST_200600_302600_NS6detail15normal_iteratorINSA_10device_ptrIyEEEEPS6_SG_NS0_5tupleIJSF_S6_EEENSH_IJSG_SG_EEES6_PlJNSB_9not_fun_tINSB_14equal_to_valueIyEEEEEEE10hipError_tPvRmT3_T4_T5_T6_T7_T9_mT8_P12ihipStream_tbDpT10_ENKUlT_T0_E_clISt17integral_constantIbLb0EES18_EEDaS13_S14_EUlS13_E_NS1_11comp_targetILNS1_3genE2ELNS1_11target_archE906ELNS1_3gpuE6ELNS1_3repE0EEENS1_30default_config_static_selectorELNS0_4arch9wavefront6targetE0EEEvT1_,comdat
	.protected	_ZN7rocprim17ROCPRIM_400000_NS6detail17trampoline_kernelINS0_14default_configENS1_25partition_config_selectorILNS1_17partition_subalgoE6EyNS0_10empty_typeEbEEZZNS1_14partition_implILS5_6ELb0ES3_mN6thrust23THRUST_200600_302600_NS6detail15normal_iteratorINSA_10device_ptrIyEEEEPS6_SG_NS0_5tupleIJSF_S6_EEENSH_IJSG_SG_EEES6_PlJNSB_9not_fun_tINSB_14equal_to_valueIyEEEEEEE10hipError_tPvRmT3_T4_T5_T6_T7_T9_mT8_P12ihipStream_tbDpT10_ENKUlT_T0_E_clISt17integral_constantIbLb0EES18_EEDaS13_S14_EUlS13_E_NS1_11comp_targetILNS1_3genE2ELNS1_11target_archE906ELNS1_3gpuE6ELNS1_3repE0EEENS1_30default_config_static_selectorELNS0_4arch9wavefront6targetE0EEEvT1_ ; -- Begin function _ZN7rocprim17ROCPRIM_400000_NS6detail17trampoline_kernelINS0_14default_configENS1_25partition_config_selectorILNS1_17partition_subalgoE6EyNS0_10empty_typeEbEEZZNS1_14partition_implILS5_6ELb0ES3_mN6thrust23THRUST_200600_302600_NS6detail15normal_iteratorINSA_10device_ptrIyEEEEPS6_SG_NS0_5tupleIJSF_S6_EEENSH_IJSG_SG_EEES6_PlJNSB_9not_fun_tINSB_14equal_to_valueIyEEEEEEE10hipError_tPvRmT3_T4_T5_T6_T7_T9_mT8_P12ihipStream_tbDpT10_ENKUlT_T0_E_clISt17integral_constantIbLb0EES18_EEDaS13_S14_EUlS13_E_NS1_11comp_targetILNS1_3genE2ELNS1_11target_archE906ELNS1_3gpuE6ELNS1_3repE0EEENS1_30default_config_static_selectorELNS0_4arch9wavefront6targetE0EEEvT1_
	.globl	_ZN7rocprim17ROCPRIM_400000_NS6detail17trampoline_kernelINS0_14default_configENS1_25partition_config_selectorILNS1_17partition_subalgoE6EyNS0_10empty_typeEbEEZZNS1_14partition_implILS5_6ELb0ES3_mN6thrust23THRUST_200600_302600_NS6detail15normal_iteratorINSA_10device_ptrIyEEEEPS6_SG_NS0_5tupleIJSF_S6_EEENSH_IJSG_SG_EEES6_PlJNSB_9not_fun_tINSB_14equal_to_valueIyEEEEEEE10hipError_tPvRmT3_T4_T5_T6_T7_T9_mT8_P12ihipStream_tbDpT10_ENKUlT_T0_E_clISt17integral_constantIbLb0EES18_EEDaS13_S14_EUlS13_E_NS1_11comp_targetILNS1_3genE2ELNS1_11target_archE906ELNS1_3gpuE6ELNS1_3repE0EEENS1_30default_config_static_selectorELNS0_4arch9wavefront6targetE0EEEvT1_
	.p2align	8
	.type	_ZN7rocprim17ROCPRIM_400000_NS6detail17trampoline_kernelINS0_14default_configENS1_25partition_config_selectorILNS1_17partition_subalgoE6EyNS0_10empty_typeEbEEZZNS1_14partition_implILS5_6ELb0ES3_mN6thrust23THRUST_200600_302600_NS6detail15normal_iteratorINSA_10device_ptrIyEEEEPS6_SG_NS0_5tupleIJSF_S6_EEENSH_IJSG_SG_EEES6_PlJNSB_9not_fun_tINSB_14equal_to_valueIyEEEEEEE10hipError_tPvRmT3_T4_T5_T6_T7_T9_mT8_P12ihipStream_tbDpT10_ENKUlT_T0_E_clISt17integral_constantIbLb0EES18_EEDaS13_S14_EUlS13_E_NS1_11comp_targetILNS1_3genE2ELNS1_11target_archE906ELNS1_3gpuE6ELNS1_3repE0EEENS1_30default_config_static_selectorELNS0_4arch9wavefront6targetE0EEEvT1_,@function
_ZN7rocprim17ROCPRIM_400000_NS6detail17trampoline_kernelINS0_14default_configENS1_25partition_config_selectorILNS1_17partition_subalgoE6EyNS0_10empty_typeEbEEZZNS1_14partition_implILS5_6ELb0ES3_mN6thrust23THRUST_200600_302600_NS6detail15normal_iteratorINSA_10device_ptrIyEEEEPS6_SG_NS0_5tupleIJSF_S6_EEENSH_IJSG_SG_EEES6_PlJNSB_9not_fun_tINSB_14equal_to_valueIyEEEEEEE10hipError_tPvRmT3_T4_T5_T6_T7_T9_mT8_P12ihipStream_tbDpT10_ENKUlT_T0_E_clISt17integral_constantIbLb0EES18_EEDaS13_S14_EUlS13_E_NS1_11comp_targetILNS1_3genE2ELNS1_11target_archE906ELNS1_3gpuE6ELNS1_3repE0EEENS1_30default_config_static_selectorELNS0_4arch9wavefront6targetE0EEEvT1_: ; @_ZN7rocprim17ROCPRIM_400000_NS6detail17trampoline_kernelINS0_14default_configENS1_25partition_config_selectorILNS1_17partition_subalgoE6EyNS0_10empty_typeEbEEZZNS1_14partition_implILS5_6ELb0ES3_mN6thrust23THRUST_200600_302600_NS6detail15normal_iteratorINSA_10device_ptrIyEEEEPS6_SG_NS0_5tupleIJSF_S6_EEENSH_IJSG_SG_EEES6_PlJNSB_9not_fun_tINSB_14equal_to_valueIyEEEEEEE10hipError_tPvRmT3_T4_T5_T6_T7_T9_mT8_P12ihipStream_tbDpT10_ENKUlT_T0_E_clISt17integral_constantIbLb0EES18_EEDaS13_S14_EUlS13_E_NS1_11comp_targetILNS1_3genE2ELNS1_11target_archE906ELNS1_3gpuE6ELNS1_3repE0EEENS1_30default_config_static_selectorELNS0_4arch9wavefront6targetE0EEEvT1_
; %bb.0:
	.section	.rodata,"a",@progbits
	.p2align	6, 0x0
	.amdhsa_kernel _ZN7rocprim17ROCPRIM_400000_NS6detail17trampoline_kernelINS0_14default_configENS1_25partition_config_selectorILNS1_17partition_subalgoE6EyNS0_10empty_typeEbEEZZNS1_14partition_implILS5_6ELb0ES3_mN6thrust23THRUST_200600_302600_NS6detail15normal_iteratorINSA_10device_ptrIyEEEEPS6_SG_NS0_5tupleIJSF_S6_EEENSH_IJSG_SG_EEES6_PlJNSB_9not_fun_tINSB_14equal_to_valueIyEEEEEEE10hipError_tPvRmT3_T4_T5_T6_T7_T9_mT8_P12ihipStream_tbDpT10_ENKUlT_T0_E_clISt17integral_constantIbLb0EES18_EEDaS13_S14_EUlS13_E_NS1_11comp_targetILNS1_3genE2ELNS1_11target_archE906ELNS1_3gpuE6ELNS1_3repE0EEENS1_30default_config_static_selectorELNS0_4arch9wavefront6targetE0EEEvT1_
		.amdhsa_group_segment_fixed_size 0
		.amdhsa_private_segment_fixed_size 0
		.amdhsa_kernarg_size 120
		.amdhsa_user_sgpr_count 2
		.amdhsa_user_sgpr_dispatch_ptr 0
		.amdhsa_user_sgpr_queue_ptr 0
		.amdhsa_user_sgpr_kernarg_segment_ptr 1
		.amdhsa_user_sgpr_dispatch_id 0
		.amdhsa_user_sgpr_private_segment_size 0
		.amdhsa_wavefront_size32 1
		.amdhsa_uses_dynamic_stack 0
		.amdhsa_enable_private_segment 0
		.amdhsa_system_sgpr_workgroup_id_x 1
		.amdhsa_system_sgpr_workgroup_id_y 0
		.amdhsa_system_sgpr_workgroup_id_z 0
		.amdhsa_system_sgpr_workgroup_info 0
		.amdhsa_system_vgpr_workitem_id 0
		.amdhsa_next_free_vgpr 1
		.amdhsa_next_free_sgpr 1
		.amdhsa_reserve_vcc 0
		.amdhsa_float_round_mode_32 0
		.amdhsa_float_round_mode_16_64 0
		.amdhsa_float_denorm_mode_32 3
		.amdhsa_float_denorm_mode_16_64 3
		.amdhsa_fp16_overflow 0
		.amdhsa_workgroup_processor_mode 1
		.amdhsa_memory_ordered 1
		.amdhsa_forward_progress 1
		.amdhsa_inst_pref_size 0
		.amdhsa_round_robin_scheduling 0
		.amdhsa_exception_fp_ieee_invalid_op 0
		.amdhsa_exception_fp_denorm_src 0
		.amdhsa_exception_fp_ieee_div_zero 0
		.amdhsa_exception_fp_ieee_overflow 0
		.amdhsa_exception_fp_ieee_underflow 0
		.amdhsa_exception_fp_ieee_inexact 0
		.amdhsa_exception_int_div_zero 0
	.end_amdhsa_kernel
	.section	.text._ZN7rocprim17ROCPRIM_400000_NS6detail17trampoline_kernelINS0_14default_configENS1_25partition_config_selectorILNS1_17partition_subalgoE6EyNS0_10empty_typeEbEEZZNS1_14partition_implILS5_6ELb0ES3_mN6thrust23THRUST_200600_302600_NS6detail15normal_iteratorINSA_10device_ptrIyEEEEPS6_SG_NS0_5tupleIJSF_S6_EEENSH_IJSG_SG_EEES6_PlJNSB_9not_fun_tINSB_14equal_to_valueIyEEEEEEE10hipError_tPvRmT3_T4_T5_T6_T7_T9_mT8_P12ihipStream_tbDpT10_ENKUlT_T0_E_clISt17integral_constantIbLb0EES18_EEDaS13_S14_EUlS13_E_NS1_11comp_targetILNS1_3genE2ELNS1_11target_archE906ELNS1_3gpuE6ELNS1_3repE0EEENS1_30default_config_static_selectorELNS0_4arch9wavefront6targetE0EEEvT1_,"axG",@progbits,_ZN7rocprim17ROCPRIM_400000_NS6detail17trampoline_kernelINS0_14default_configENS1_25partition_config_selectorILNS1_17partition_subalgoE6EyNS0_10empty_typeEbEEZZNS1_14partition_implILS5_6ELb0ES3_mN6thrust23THRUST_200600_302600_NS6detail15normal_iteratorINSA_10device_ptrIyEEEEPS6_SG_NS0_5tupleIJSF_S6_EEENSH_IJSG_SG_EEES6_PlJNSB_9not_fun_tINSB_14equal_to_valueIyEEEEEEE10hipError_tPvRmT3_T4_T5_T6_T7_T9_mT8_P12ihipStream_tbDpT10_ENKUlT_T0_E_clISt17integral_constantIbLb0EES18_EEDaS13_S14_EUlS13_E_NS1_11comp_targetILNS1_3genE2ELNS1_11target_archE906ELNS1_3gpuE6ELNS1_3repE0EEENS1_30default_config_static_selectorELNS0_4arch9wavefront6targetE0EEEvT1_,comdat
.Lfunc_end345:
	.size	_ZN7rocprim17ROCPRIM_400000_NS6detail17trampoline_kernelINS0_14default_configENS1_25partition_config_selectorILNS1_17partition_subalgoE6EyNS0_10empty_typeEbEEZZNS1_14partition_implILS5_6ELb0ES3_mN6thrust23THRUST_200600_302600_NS6detail15normal_iteratorINSA_10device_ptrIyEEEEPS6_SG_NS0_5tupleIJSF_S6_EEENSH_IJSG_SG_EEES6_PlJNSB_9not_fun_tINSB_14equal_to_valueIyEEEEEEE10hipError_tPvRmT3_T4_T5_T6_T7_T9_mT8_P12ihipStream_tbDpT10_ENKUlT_T0_E_clISt17integral_constantIbLb0EES18_EEDaS13_S14_EUlS13_E_NS1_11comp_targetILNS1_3genE2ELNS1_11target_archE906ELNS1_3gpuE6ELNS1_3repE0EEENS1_30default_config_static_selectorELNS0_4arch9wavefront6targetE0EEEvT1_, .Lfunc_end345-_ZN7rocprim17ROCPRIM_400000_NS6detail17trampoline_kernelINS0_14default_configENS1_25partition_config_selectorILNS1_17partition_subalgoE6EyNS0_10empty_typeEbEEZZNS1_14partition_implILS5_6ELb0ES3_mN6thrust23THRUST_200600_302600_NS6detail15normal_iteratorINSA_10device_ptrIyEEEEPS6_SG_NS0_5tupleIJSF_S6_EEENSH_IJSG_SG_EEES6_PlJNSB_9not_fun_tINSB_14equal_to_valueIyEEEEEEE10hipError_tPvRmT3_T4_T5_T6_T7_T9_mT8_P12ihipStream_tbDpT10_ENKUlT_T0_E_clISt17integral_constantIbLb0EES18_EEDaS13_S14_EUlS13_E_NS1_11comp_targetILNS1_3genE2ELNS1_11target_archE906ELNS1_3gpuE6ELNS1_3repE0EEENS1_30default_config_static_selectorELNS0_4arch9wavefront6targetE0EEEvT1_
                                        ; -- End function
	.set _ZN7rocprim17ROCPRIM_400000_NS6detail17trampoline_kernelINS0_14default_configENS1_25partition_config_selectorILNS1_17partition_subalgoE6EyNS0_10empty_typeEbEEZZNS1_14partition_implILS5_6ELb0ES3_mN6thrust23THRUST_200600_302600_NS6detail15normal_iteratorINSA_10device_ptrIyEEEEPS6_SG_NS0_5tupleIJSF_S6_EEENSH_IJSG_SG_EEES6_PlJNSB_9not_fun_tINSB_14equal_to_valueIyEEEEEEE10hipError_tPvRmT3_T4_T5_T6_T7_T9_mT8_P12ihipStream_tbDpT10_ENKUlT_T0_E_clISt17integral_constantIbLb0EES18_EEDaS13_S14_EUlS13_E_NS1_11comp_targetILNS1_3genE2ELNS1_11target_archE906ELNS1_3gpuE6ELNS1_3repE0EEENS1_30default_config_static_selectorELNS0_4arch9wavefront6targetE0EEEvT1_.num_vgpr, 0
	.set _ZN7rocprim17ROCPRIM_400000_NS6detail17trampoline_kernelINS0_14default_configENS1_25partition_config_selectorILNS1_17partition_subalgoE6EyNS0_10empty_typeEbEEZZNS1_14partition_implILS5_6ELb0ES3_mN6thrust23THRUST_200600_302600_NS6detail15normal_iteratorINSA_10device_ptrIyEEEEPS6_SG_NS0_5tupleIJSF_S6_EEENSH_IJSG_SG_EEES6_PlJNSB_9not_fun_tINSB_14equal_to_valueIyEEEEEEE10hipError_tPvRmT3_T4_T5_T6_T7_T9_mT8_P12ihipStream_tbDpT10_ENKUlT_T0_E_clISt17integral_constantIbLb0EES18_EEDaS13_S14_EUlS13_E_NS1_11comp_targetILNS1_3genE2ELNS1_11target_archE906ELNS1_3gpuE6ELNS1_3repE0EEENS1_30default_config_static_selectorELNS0_4arch9wavefront6targetE0EEEvT1_.num_agpr, 0
	.set _ZN7rocprim17ROCPRIM_400000_NS6detail17trampoline_kernelINS0_14default_configENS1_25partition_config_selectorILNS1_17partition_subalgoE6EyNS0_10empty_typeEbEEZZNS1_14partition_implILS5_6ELb0ES3_mN6thrust23THRUST_200600_302600_NS6detail15normal_iteratorINSA_10device_ptrIyEEEEPS6_SG_NS0_5tupleIJSF_S6_EEENSH_IJSG_SG_EEES6_PlJNSB_9not_fun_tINSB_14equal_to_valueIyEEEEEEE10hipError_tPvRmT3_T4_T5_T6_T7_T9_mT8_P12ihipStream_tbDpT10_ENKUlT_T0_E_clISt17integral_constantIbLb0EES18_EEDaS13_S14_EUlS13_E_NS1_11comp_targetILNS1_3genE2ELNS1_11target_archE906ELNS1_3gpuE6ELNS1_3repE0EEENS1_30default_config_static_selectorELNS0_4arch9wavefront6targetE0EEEvT1_.numbered_sgpr, 0
	.set _ZN7rocprim17ROCPRIM_400000_NS6detail17trampoline_kernelINS0_14default_configENS1_25partition_config_selectorILNS1_17partition_subalgoE6EyNS0_10empty_typeEbEEZZNS1_14partition_implILS5_6ELb0ES3_mN6thrust23THRUST_200600_302600_NS6detail15normal_iteratorINSA_10device_ptrIyEEEEPS6_SG_NS0_5tupleIJSF_S6_EEENSH_IJSG_SG_EEES6_PlJNSB_9not_fun_tINSB_14equal_to_valueIyEEEEEEE10hipError_tPvRmT3_T4_T5_T6_T7_T9_mT8_P12ihipStream_tbDpT10_ENKUlT_T0_E_clISt17integral_constantIbLb0EES18_EEDaS13_S14_EUlS13_E_NS1_11comp_targetILNS1_3genE2ELNS1_11target_archE906ELNS1_3gpuE6ELNS1_3repE0EEENS1_30default_config_static_selectorELNS0_4arch9wavefront6targetE0EEEvT1_.num_named_barrier, 0
	.set _ZN7rocprim17ROCPRIM_400000_NS6detail17trampoline_kernelINS0_14default_configENS1_25partition_config_selectorILNS1_17partition_subalgoE6EyNS0_10empty_typeEbEEZZNS1_14partition_implILS5_6ELb0ES3_mN6thrust23THRUST_200600_302600_NS6detail15normal_iteratorINSA_10device_ptrIyEEEEPS6_SG_NS0_5tupleIJSF_S6_EEENSH_IJSG_SG_EEES6_PlJNSB_9not_fun_tINSB_14equal_to_valueIyEEEEEEE10hipError_tPvRmT3_T4_T5_T6_T7_T9_mT8_P12ihipStream_tbDpT10_ENKUlT_T0_E_clISt17integral_constantIbLb0EES18_EEDaS13_S14_EUlS13_E_NS1_11comp_targetILNS1_3genE2ELNS1_11target_archE906ELNS1_3gpuE6ELNS1_3repE0EEENS1_30default_config_static_selectorELNS0_4arch9wavefront6targetE0EEEvT1_.private_seg_size, 0
	.set _ZN7rocprim17ROCPRIM_400000_NS6detail17trampoline_kernelINS0_14default_configENS1_25partition_config_selectorILNS1_17partition_subalgoE6EyNS0_10empty_typeEbEEZZNS1_14partition_implILS5_6ELb0ES3_mN6thrust23THRUST_200600_302600_NS6detail15normal_iteratorINSA_10device_ptrIyEEEEPS6_SG_NS0_5tupleIJSF_S6_EEENSH_IJSG_SG_EEES6_PlJNSB_9not_fun_tINSB_14equal_to_valueIyEEEEEEE10hipError_tPvRmT3_T4_T5_T6_T7_T9_mT8_P12ihipStream_tbDpT10_ENKUlT_T0_E_clISt17integral_constantIbLb0EES18_EEDaS13_S14_EUlS13_E_NS1_11comp_targetILNS1_3genE2ELNS1_11target_archE906ELNS1_3gpuE6ELNS1_3repE0EEENS1_30default_config_static_selectorELNS0_4arch9wavefront6targetE0EEEvT1_.uses_vcc, 0
	.set _ZN7rocprim17ROCPRIM_400000_NS6detail17trampoline_kernelINS0_14default_configENS1_25partition_config_selectorILNS1_17partition_subalgoE6EyNS0_10empty_typeEbEEZZNS1_14partition_implILS5_6ELb0ES3_mN6thrust23THRUST_200600_302600_NS6detail15normal_iteratorINSA_10device_ptrIyEEEEPS6_SG_NS0_5tupleIJSF_S6_EEENSH_IJSG_SG_EEES6_PlJNSB_9not_fun_tINSB_14equal_to_valueIyEEEEEEE10hipError_tPvRmT3_T4_T5_T6_T7_T9_mT8_P12ihipStream_tbDpT10_ENKUlT_T0_E_clISt17integral_constantIbLb0EES18_EEDaS13_S14_EUlS13_E_NS1_11comp_targetILNS1_3genE2ELNS1_11target_archE906ELNS1_3gpuE6ELNS1_3repE0EEENS1_30default_config_static_selectorELNS0_4arch9wavefront6targetE0EEEvT1_.uses_flat_scratch, 0
	.set _ZN7rocprim17ROCPRIM_400000_NS6detail17trampoline_kernelINS0_14default_configENS1_25partition_config_selectorILNS1_17partition_subalgoE6EyNS0_10empty_typeEbEEZZNS1_14partition_implILS5_6ELb0ES3_mN6thrust23THRUST_200600_302600_NS6detail15normal_iteratorINSA_10device_ptrIyEEEEPS6_SG_NS0_5tupleIJSF_S6_EEENSH_IJSG_SG_EEES6_PlJNSB_9not_fun_tINSB_14equal_to_valueIyEEEEEEE10hipError_tPvRmT3_T4_T5_T6_T7_T9_mT8_P12ihipStream_tbDpT10_ENKUlT_T0_E_clISt17integral_constantIbLb0EES18_EEDaS13_S14_EUlS13_E_NS1_11comp_targetILNS1_3genE2ELNS1_11target_archE906ELNS1_3gpuE6ELNS1_3repE0EEENS1_30default_config_static_selectorELNS0_4arch9wavefront6targetE0EEEvT1_.has_dyn_sized_stack, 0
	.set _ZN7rocprim17ROCPRIM_400000_NS6detail17trampoline_kernelINS0_14default_configENS1_25partition_config_selectorILNS1_17partition_subalgoE6EyNS0_10empty_typeEbEEZZNS1_14partition_implILS5_6ELb0ES3_mN6thrust23THRUST_200600_302600_NS6detail15normal_iteratorINSA_10device_ptrIyEEEEPS6_SG_NS0_5tupleIJSF_S6_EEENSH_IJSG_SG_EEES6_PlJNSB_9not_fun_tINSB_14equal_to_valueIyEEEEEEE10hipError_tPvRmT3_T4_T5_T6_T7_T9_mT8_P12ihipStream_tbDpT10_ENKUlT_T0_E_clISt17integral_constantIbLb0EES18_EEDaS13_S14_EUlS13_E_NS1_11comp_targetILNS1_3genE2ELNS1_11target_archE906ELNS1_3gpuE6ELNS1_3repE0EEENS1_30default_config_static_selectorELNS0_4arch9wavefront6targetE0EEEvT1_.has_recursion, 0
	.set _ZN7rocprim17ROCPRIM_400000_NS6detail17trampoline_kernelINS0_14default_configENS1_25partition_config_selectorILNS1_17partition_subalgoE6EyNS0_10empty_typeEbEEZZNS1_14partition_implILS5_6ELb0ES3_mN6thrust23THRUST_200600_302600_NS6detail15normal_iteratorINSA_10device_ptrIyEEEEPS6_SG_NS0_5tupleIJSF_S6_EEENSH_IJSG_SG_EEES6_PlJNSB_9not_fun_tINSB_14equal_to_valueIyEEEEEEE10hipError_tPvRmT3_T4_T5_T6_T7_T9_mT8_P12ihipStream_tbDpT10_ENKUlT_T0_E_clISt17integral_constantIbLb0EES18_EEDaS13_S14_EUlS13_E_NS1_11comp_targetILNS1_3genE2ELNS1_11target_archE906ELNS1_3gpuE6ELNS1_3repE0EEENS1_30default_config_static_selectorELNS0_4arch9wavefront6targetE0EEEvT1_.has_indirect_call, 0
	.section	.AMDGPU.csdata,"",@progbits
; Kernel info:
; codeLenInByte = 0
; TotalNumSgprs: 0
; NumVgprs: 0
; ScratchSize: 0
; MemoryBound: 0
; FloatMode: 240
; IeeeMode: 1
; LDSByteSize: 0 bytes/workgroup (compile time only)
; SGPRBlocks: 0
; VGPRBlocks: 0
; NumSGPRsForWavesPerEU: 1
; NumVGPRsForWavesPerEU: 1
; Occupancy: 16
; WaveLimiterHint : 0
; COMPUTE_PGM_RSRC2:SCRATCH_EN: 0
; COMPUTE_PGM_RSRC2:USER_SGPR: 2
; COMPUTE_PGM_RSRC2:TRAP_HANDLER: 0
; COMPUTE_PGM_RSRC2:TGID_X_EN: 1
; COMPUTE_PGM_RSRC2:TGID_Y_EN: 0
; COMPUTE_PGM_RSRC2:TGID_Z_EN: 0
; COMPUTE_PGM_RSRC2:TIDIG_COMP_CNT: 0
	.section	.text._ZN7rocprim17ROCPRIM_400000_NS6detail17trampoline_kernelINS0_14default_configENS1_25partition_config_selectorILNS1_17partition_subalgoE6EyNS0_10empty_typeEbEEZZNS1_14partition_implILS5_6ELb0ES3_mN6thrust23THRUST_200600_302600_NS6detail15normal_iteratorINSA_10device_ptrIyEEEEPS6_SG_NS0_5tupleIJSF_S6_EEENSH_IJSG_SG_EEES6_PlJNSB_9not_fun_tINSB_14equal_to_valueIyEEEEEEE10hipError_tPvRmT3_T4_T5_T6_T7_T9_mT8_P12ihipStream_tbDpT10_ENKUlT_T0_E_clISt17integral_constantIbLb0EES18_EEDaS13_S14_EUlS13_E_NS1_11comp_targetILNS1_3genE10ELNS1_11target_archE1200ELNS1_3gpuE4ELNS1_3repE0EEENS1_30default_config_static_selectorELNS0_4arch9wavefront6targetE0EEEvT1_,"axG",@progbits,_ZN7rocprim17ROCPRIM_400000_NS6detail17trampoline_kernelINS0_14default_configENS1_25partition_config_selectorILNS1_17partition_subalgoE6EyNS0_10empty_typeEbEEZZNS1_14partition_implILS5_6ELb0ES3_mN6thrust23THRUST_200600_302600_NS6detail15normal_iteratorINSA_10device_ptrIyEEEEPS6_SG_NS0_5tupleIJSF_S6_EEENSH_IJSG_SG_EEES6_PlJNSB_9not_fun_tINSB_14equal_to_valueIyEEEEEEE10hipError_tPvRmT3_T4_T5_T6_T7_T9_mT8_P12ihipStream_tbDpT10_ENKUlT_T0_E_clISt17integral_constantIbLb0EES18_EEDaS13_S14_EUlS13_E_NS1_11comp_targetILNS1_3genE10ELNS1_11target_archE1200ELNS1_3gpuE4ELNS1_3repE0EEENS1_30default_config_static_selectorELNS0_4arch9wavefront6targetE0EEEvT1_,comdat
	.protected	_ZN7rocprim17ROCPRIM_400000_NS6detail17trampoline_kernelINS0_14default_configENS1_25partition_config_selectorILNS1_17partition_subalgoE6EyNS0_10empty_typeEbEEZZNS1_14partition_implILS5_6ELb0ES3_mN6thrust23THRUST_200600_302600_NS6detail15normal_iteratorINSA_10device_ptrIyEEEEPS6_SG_NS0_5tupleIJSF_S6_EEENSH_IJSG_SG_EEES6_PlJNSB_9not_fun_tINSB_14equal_to_valueIyEEEEEEE10hipError_tPvRmT3_T4_T5_T6_T7_T9_mT8_P12ihipStream_tbDpT10_ENKUlT_T0_E_clISt17integral_constantIbLb0EES18_EEDaS13_S14_EUlS13_E_NS1_11comp_targetILNS1_3genE10ELNS1_11target_archE1200ELNS1_3gpuE4ELNS1_3repE0EEENS1_30default_config_static_selectorELNS0_4arch9wavefront6targetE0EEEvT1_ ; -- Begin function _ZN7rocprim17ROCPRIM_400000_NS6detail17trampoline_kernelINS0_14default_configENS1_25partition_config_selectorILNS1_17partition_subalgoE6EyNS0_10empty_typeEbEEZZNS1_14partition_implILS5_6ELb0ES3_mN6thrust23THRUST_200600_302600_NS6detail15normal_iteratorINSA_10device_ptrIyEEEEPS6_SG_NS0_5tupleIJSF_S6_EEENSH_IJSG_SG_EEES6_PlJNSB_9not_fun_tINSB_14equal_to_valueIyEEEEEEE10hipError_tPvRmT3_T4_T5_T6_T7_T9_mT8_P12ihipStream_tbDpT10_ENKUlT_T0_E_clISt17integral_constantIbLb0EES18_EEDaS13_S14_EUlS13_E_NS1_11comp_targetILNS1_3genE10ELNS1_11target_archE1200ELNS1_3gpuE4ELNS1_3repE0EEENS1_30default_config_static_selectorELNS0_4arch9wavefront6targetE0EEEvT1_
	.globl	_ZN7rocprim17ROCPRIM_400000_NS6detail17trampoline_kernelINS0_14default_configENS1_25partition_config_selectorILNS1_17partition_subalgoE6EyNS0_10empty_typeEbEEZZNS1_14partition_implILS5_6ELb0ES3_mN6thrust23THRUST_200600_302600_NS6detail15normal_iteratorINSA_10device_ptrIyEEEEPS6_SG_NS0_5tupleIJSF_S6_EEENSH_IJSG_SG_EEES6_PlJNSB_9not_fun_tINSB_14equal_to_valueIyEEEEEEE10hipError_tPvRmT3_T4_T5_T6_T7_T9_mT8_P12ihipStream_tbDpT10_ENKUlT_T0_E_clISt17integral_constantIbLb0EES18_EEDaS13_S14_EUlS13_E_NS1_11comp_targetILNS1_3genE10ELNS1_11target_archE1200ELNS1_3gpuE4ELNS1_3repE0EEENS1_30default_config_static_selectorELNS0_4arch9wavefront6targetE0EEEvT1_
	.p2align	8
	.type	_ZN7rocprim17ROCPRIM_400000_NS6detail17trampoline_kernelINS0_14default_configENS1_25partition_config_selectorILNS1_17partition_subalgoE6EyNS0_10empty_typeEbEEZZNS1_14partition_implILS5_6ELb0ES3_mN6thrust23THRUST_200600_302600_NS6detail15normal_iteratorINSA_10device_ptrIyEEEEPS6_SG_NS0_5tupleIJSF_S6_EEENSH_IJSG_SG_EEES6_PlJNSB_9not_fun_tINSB_14equal_to_valueIyEEEEEEE10hipError_tPvRmT3_T4_T5_T6_T7_T9_mT8_P12ihipStream_tbDpT10_ENKUlT_T0_E_clISt17integral_constantIbLb0EES18_EEDaS13_S14_EUlS13_E_NS1_11comp_targetILNS1_3genE10ELNS1_11target_archE1200ELNS1_3gpuE4ELNS1_3repE0EEENS1_30default_config_static_selectorELNS0_4arch9wavefront6targetE0EEEvT1_,@function
_ZN7rocprim17ROCPRIM_400000_NS6detail17trampoline_kernelINS0_14default_configENS1_25partition_config_selectorILNS1_17partition_subalgoE6EyNS0_10empty_typeEbEEZZNS1_14partition_implILS5_6ELb0ES3_mN6thrust23THRUST_200600_302600_NS6detail15normal_iteratorINSA_10device_ptrIyEEEEPS6_SG_NS0_5tupleIJSF_S6_EEENSH_IJSG_SG_EEES6_PlJNSB_9not_fun_tINSB_14equal_to_valueIyEEEEEEE10hipError_tPvRmT3_T4_T5_T6_T7_T9_mT8_P12ihipStream_tbDpT10_ENKUlT_T0_E_clISt17integral_constantIbLb0EES18_EEDaS13_S14_EUlS13_E_NS1_11comp_targetILNS1_3genE10ELNS1_11target_archE1200ELNS1_3gpuE4ELNS1_3repE0EEENS1_30default_config_static_selectorELNS0_4arch9wavefront6targetE0EEEvT1_: ; @_ZN7rocprim17ROCPRIM_400000_NS6detail17trampoline_kernelINS0_14default_configENS1_25partition_config_selectorILNS1_17partition_subalgoE6EyNS0_10empty_typeEbEEZZNS1_14partition_implILS5_6ELb0ES3_mN6thrust23THRUST_200600_302600_NS6detail15normal_iteratorINSA_10device_ptrIyEEEEPS6_SG_NS0_5tupleIJSF_S6_EEENSH_IJSG_SG_EEES6_PlJNSB_9not_fun_tINSB_14equal_to_valueIyEEEEEEE10hipError_tPvRmT3_T4_T5_T6_T7_T9_mT8_P12ihipStream_tbDpT10_ENKUlT_T0_E_clISt17integral_constantIbLb0EES18_EEDaS13_S14_EUlS13_E_NS1_11comp_targetILNS1_3genE10ELNS1_11target_archE1200ELNS1_3gpuE4ELNS1_3repE0EEENS1_30default_config_static_selectorELNS0_4arch9wavefront6targetE0EEEvT1_
; %bb.0:
	s_clause 0x3
	s_load_b128 s[16:19], s[0:1], 0x8
	s_load_b128 s[8:11], s[0:1], 0x40
	s_load_b32 s3, s[0:1], 0x68
	s_load_b64 s[4:5], s[0:1], 0x50
	s_mov_b32 s7, 0
	s_lshl_b32 s2, ttmp9, 10
	v_lshrrev_b32_e32 v9, 2, v0
	v_or_b32_e32 v11, 0x200, v0
	v_or_b32_e32 v10, 0x300, v0
	s_mov_b32 s14, -1
	s_wait_kmcnt 0x0
	s_lshl_b64 s[20:21], s[18:19], 3
	s_load_b64 s[10:11], s[10:11], 0x0
	s_lshl_b32 s6, s3, 10
	s_add_co_i32 s3, s3, -1
	s_add_nc_u64 s[12:13], s[18:19], s[6:7]
	s_lshl_b32 s6, s3, 10
	v_cmp_le_u64_e64 s13, s[4:5], s[12:13]
	s_add_co_i32 s5, s18, s6
	s_cmp_eq_u32 ttmp9, s3
	s_mov_b32 s3, s7
	s_cselect_b32 s12, -1, 0
	s_add_nc_u64 s[6:7], s[16:17], s[20:21]
	s_wait_alu 0xfffe
	s_and_b32 s13, s12, s13
	s_lshl_b64 s[2:3], s[2:3], 3
	s_wait_alu 0xfffe
	s_xor_b32 s13, s13, -1
	s_add_nc_u64 s[2:3], s[6:7], s[2:3]
	s_wait_alu 0xfffe
	s_and_b32 vcc_lo, exec_lo, s13
	s_cbranch_vccz .LBB346_2
; %bb.1:
	v_lshlrev_b32_e32 v12, 3, v0
	v_or_b32_e32 v13, 0x100, v0
	v_lshrrev_b32_e32 v14, 2, v11
	v_lshrrev_b32_e32 v15, 2, v10
	v_and_b32_e32 v16, 56, v9
	v_add_co_u32 v1, s6, s2, v12
	s_delay_alu instid0(VALU_DEP_1)
	v_add_co_ci_u32_e64 v2, null, s3, 0, s6
	v_lshrrev_b32_e32 v13, 2, v13
	v_and_b32_e32 v14, 0xb8, v14
	v_and_b32_e32 v15, 0xf8, v15
	s_clause 0x3
	flat_load_b64 v[3:4], v[1:2]
	flat_load_b64 v[5:6], v[1:2] offset:2048
	flat_load_b64 v[7:8], v[1:2] offset:4096
	;; [unrolled: 1-line block ×3, first 2 shown]
	v_add_nc_u32_e32 v16, v16, v12
	v_and_b32_e32 v13, 0x78, v13
	v_add_nc_u32_e32 v14, v14, v12
	s_mov_b32 s14, 0
	s_delay_alu instid0(VALU_DEP_2)
	v_add_nc_u32_e32 v13, v13, v12
	v_add_nc_u32_e32 v12, v15, v12
	s_wait_loadcnt_dscnt 0x303
	ds_store_b64 v16, v[3:4]
	s_wait_loadcnt_dscnt 0x203
	ds_store_b64 v13, v[5:6] offset:2048
	s_wait_loadcnt_dscnt 0x103
	ds_store_b64 v14, v[7:8] offset:4096
	;; [unrolled: 2-line block ×3, first 2 shown]
	s_wait_dscnt 0x0
	s_barrier_signal -1
	s_barrier_wait -1
.LBB346_2:
	s_load_b64 s[6:7], s[0:1], 0x70
	s_and_not1_b32 vcc_lo, exec_lo, s14
	s_sub_co_i32 s15, s4, s5
	s_cbranch_vccnz .LBB346_10
; %bb.3:
	v_mov_b32_e32 v1, 0
	s_mov_b32 s4, exec_lo
	s_delay_alu instid0(VALU_DEP_1)
	v_dual_mov_b32 v2, v1 :: v_dual_mov_b32 v3, v1
	v_dual_mov_b32 v4, v1 :: v_dual_mov_b32 v5, v1
	;; [unrolled: 1-line block ×3, first 2 shown]
	v_mov_b32_e32 v8, v1
	v_cmpx_gt_u32_e64 s15, v0
	s_cbranch_execz .LBB346_5
; %bb.4:
	v_dual_mov_b32 v15, v1 :: v_dual_lshlrev_b32 v2, 3, v0
	v_dual_mov_b32 v14, v1 :: v_dual_mov_b32 v17, v1
	v_dual_mov_b32 v16, v1 :: v_dual_mov_b32 v19, v1
	s_delay_alu instid0(VALU_DEP_3)
	v_add_co_u32 v2, s5, s2, v2
	s_wait_alu 0xf1ff
	v_add_co_ci_u32_e64 v3, null, s3, 0, s5
	v_mov_b32_e32 v18, v1
	flat_load_b64 v[12:13], v[2:3]
	s_wait_loadcnt_dscnt 0x0
	v_dual_mov_b32 v1, v12 :: v_dual_mov_b32 v2, v13
	v_dual_mov_b32 v3, v14 :: v_dual_mov_b32 v4, v15
	v_dual_mov_b32 v5, v16 :: v_dual_mov_b32 v6, v17
	v_dual_mov_b32 v7, v18 :: v_dual_mov_b32 v8, v19
.LBB346_5:
	s_wait_alu 0xfffe
	s_or_b32 exec_lo, exec_lo, s4
	v_or_b32_e32 v12, 0x100, v0
	s_mov_b32 s4, exec_lo
	s_delay_alu instid0(VALU_DEP_1)
	v_cmpx_gt_u32_e64 s15, v12
	s_cbranch_execnz .LBB346_128
; %bb.6:
	s_wait_alu 0xfffe
	s_or_b32 exec_lo, exec_lo, s4
	s_delay_alu instid0(SALU_CYCLE_1)
	s_mov_b32 s4, exec_lo
	v_cmpx_gt_u32_e64 s15, v11
	s_cbranch_execnz .LBB346_129
.LBB346_7:
	s_wait_alu 0xfffe
	s_or_b32 exec_lo, exec_lo, s4
	s_delay_alu instid0(SALU_CYCLE_1)
	s_mov_b32 s4, exec_lo
	v_cmpx_gt_u32_e64 s15, v10
	s_cbranch_execz .LBB346_9
.LBB346_8:
	v_lshlrev_b32_e32 v7, 3, v0
	s_delay_alu instid0(VALU_DEP_1)
	v_add_co_u32 v7, s2, s2, v7
	s_wait_alu 0xf1ff
	v_add_co_ci_u32_e64 v8, null, s3, 0, s2
	flat_load_b64 v[7:8], v[7:8] offset:6144
.LBB346_9:
	s_wait_alu 0xfffe
	s_or_b32 exec_lo, exec_lo, s4
	v_lshrrev_b32_e32 v12, 2, v12
	v_lshrrev_b32_e32 v11, 2, v11
	;; [unrolled: 1-line block ×3, first 2 shown]
	v_and_b32_e32 v9, 56, v9
	v_lshlrev_b32_e32 v13, 3, v0
	v_and_b32_e32 v12, 0x78, v12
	v_and_b32_e32 v11, 0xf8, v11
	;; [unrolled: 1-line block ×3, first 2 shown]
	s_delay_alu instid0(VALU_DEP_4) | instskip(NEXT) | instid1(VALU_DEP_4)
	v_add_nc_u32_e32 v9, v9, v13
	v_add_nc_u32_e32 v12, v12, v13
	s_delay_alu instid0(VALU_DEP_4) | instskip(NEXT) | instid1(VALU_DEP_4)
	v_add_nc_u32_e32 v11, v11, v13
	v_add_nc_u32_e32 v10, v10, v13
	ds_store_b64 v9, v[1:2]
	s_wait_loadcnt_dscnt 0x1
	ds_store_b64 v12, v[3:4] offset:2048
	ds_store_b64 v11, v[5:6] offset:4096
	;; [unrolled: 1-line block ×3, first 2 shown]
	s_wait_dscnt 0x0
	s_barrier_signal -1
	s_barrier_wait -1
.LBB346_10:
	v_and_b32_e32 v1, 0xf8, v0
	global_inv scope:SCOPE_SE
	s_and_not1_b32 vcc_lo, exec_lo, s13
	v_lshl_add_u32 v5, v0, 5, v1
	ds_load_2addr_b64 v[1:4], v5 offset1:3
	ds_load_2addr_b64 v[5:8], v5 offset0:1 offset1:2
	s_wait_loadcnt_dscnt 0x0
	s_barrier_signal -1
	s_barrier_wait -1
	global_inv scope:SCOPE_SE
	s_wait_kmcnt 0x0
	v_cmp_ne_u64_e64 s2, s[6:7], v[1:2]
	v_cmp_ne_u64_e64 s14, s[6:7], v[3:4]
	s_cbranch_vccnz .LBB346_12
; %bb.11:
	v_cmp_ne_u64_e32 vcc_lo, s[6:7], v[7:8]
	s_wait_alu 0xf1ff
	v_cndmask_b32_e64 v27, 0, 1, s2
	v_cndmask_b32_e64 v25, 0, 1, vcc_lo
	v_cmp_ne_u64_e32 vcc_lo, s[6:7], v[5:6]
	s_delay_alu instid0(VALU_DEP_2) | instskip(SKIP_2) | instid1(VALU_DEP_1)
	v_lshlrev_b16 v10, 8, v25
	s_wait_alu 0xfffd
	v_cndmask_b32_e64 v9, 0, 1, vcc_lo
	v_or_b32_e32 v26, v9, v10
	s_cbranch_execz .LBB346_13
	s_branch .LBB346_14
.LBB346_12:
                                        ; implicit-def: $sgpr14
                                        ; implicit-def: $vgpr27
                                        ; implicit-def: $vgpr26
                                        ; implicit-def: $vgpr25
.LBB346_13:
	v_lshlrev_b32_e32 v9, 2, v0
	v_cmp_ne_u64_e64 s2, s[6:7], v[7:8]
	v_cmp_ne_u64_e64 s4, s[6:7], v[5:6]
	v_cmp_ne_u64_e32 vcc_lo, s[6:7], v[1:2]
	v_cmp_ne_u64_e64 s5, s[6:7], v[3:4]
	v_or_b32_e32 v10, 2, v9
	v_or_b32_e32 v11, 1, v9
	s_delay_alu instid0(VALU_DEP_2) | instskip(NEXT) | instid1(VALU_DEP_2)
	v_cmp_gt_u32_e64 s3, s15, v10
	v_cmp_gt_u32_e64 s6, s15, v11
	v_or_b32_e32 v10, 3, v9
	s_and_b32 s2, s3, s2
	s_and_b32 s4, s6, s4
	s_wait_alu 0xfffe
	v_cndmask_b32_e64 v25, 0, 1, s2
	v_cmp_gt_u32_e64 s2, s15, v9
	v_cmp_gt_u32_e64 s3, s15, v10
	v_cndmask_b32_e64 v9, 0, 1, s4
	s_delay_alu instid0(VALU_DEP_4)
	v_lshlrev_b16 v10, 8, v25
	s_and_b32 s2, s2, vcc_lo
	s_wait_alu 0xfffe
	v_cndmask_b32_e64 v27, 0, 1, s2
	s_and_b32 s2, s3, s5
	v_or_b32_e32 v26, v9, v10
	s_and_not1_b32 s3, s14, exec_lo
	s_wait_alu 0xfffe
	s_and_b32 s2, s2, exec_lo
	s_wait_alu 0xfffe
	s_or_b32 s14, s3, s2
.LBB346_14:
	s_load_b64 s[6:7], s[0:1], 0x60
	v_and_b32_e32 v30, 0xff, v27
	v_dual_mov_b32 v10, 0 :: v_dual_and_b32 v29, 0xff, v26
	v_cndmask_b32_e64 v9, 0, 1, s14
	v_mbcnt_lo_u32_b32 v31, -1, 0
	v_and_b32_e32 v28, 0xff, v25
	s_cmp_lg_u32 ttmp9, 0
	s_mov_b32 s3, -1
	v_add3_u32 v9, v30, v9, v29
	v_and_b32_e32 v32, 15, v31
	s_delay_alu instid0(VALU_DEP_2) | instskip(SKIP_2) | instid1(VALU_DEP_3)
	v_add_co_u32 v17, s2, v9, v28
	s_wait_alu 0xf1ff
	v_add_co_ci_u32_e64 v18, null, 0, 0, s2
	v_cmp_ne_u32_e64 s2, 0, v32
	s_cbranch_scc0 .LBB346_71
; %bb.15:
	v_mov_b32_e32 v11, v17
	v_mov_b32_dpp v9, v17 row_shr:1 row_mask:0xf bank_mask:0xf
	v_mov_b32_dpp v14, v10 row_shr:1 row_mask:0xf bank_mask:0xf
	v_dual_mov_b32 v13, v17 :: v_dual_mov_b32 v12, v18
	s_and_saveexec_b32 s3, s2
; %bb.16:
	s_delay_alu instid0(VALU_DEP_3) | instskip(SKIP_2) | instid1(VALU_DEP_2)
	v_add_co_u32 v13, vcc_lo, v17, v9
	s_wait_alu 0xfffd
	v_add_co_ci_u32_e64 v10, null, 0, v18, vcc_lo
	v_add_co_u32 v9, vcc_lo, 0, v13
	s_wait_alu 0xfffd
	s_delay_alu instid0(VALU_DEP_2) | instskip(NEXT) | instid1(VALU_DEP_1)
	v_add_co_ci_u32_e64 v10, null, v14, v10, vcc_lo
	v_dual_mov_b32 v12, v10 :: v_dual_mov_b32 v11, v9
; %bb.17:
	s_wait_alu 0xfffe
	s_or_b32 exec_lo, exec_lo, s3
	v_mov_b32_dpp v9, v13 row_shr:2 row_mask:0xf bank_mask:0xf
	v_mov_b32_dpp v14, v10 row_shr:2 row_mask:0xf bank_mask:0xf
	s_mov_b32 s3, exec_lo
	v_cmpx_lt_u32_e32 1, v32
; %bb.18:
	s_delay_alu instid0(VALU_DEP_3) | instskip(SKIP_2) | instid1(VALU_DEP_2)
	v_add_co_u32 v13, vcc_lo, v11, v9
	s_wait_alu 0xfffd
	v_add_co_ci_u32_e64 v10, null, 0, v12, vcc_lo
	v_add_co_u32 v9, vcc_lo, 0, v13
	s_wait_alu 0xfffd
	s_delay_alu instid0(VALU_DEP_2) | instskip(NEXT) | instid1(VALU_DEP_1)
	v_add_co_ci_u32_e64 v10, null, v14, v10, vcc_lo
	v_dual_mov_b32 v12, v10 :: v_dual_mov_b32 v11, v9
; %bb.19:
	s_wait_alu 0xfffe
	s_or_b32 exec_lo, exec_lo, s3
	v_mov_b32_dpp v9, v13 row_shr:4 row_mask:0xf bank_mask:0xf
	v_mov_b32_dpp v14, v10 row_shr:4 row_mask:0xf bank_mask:0xf
	s_mov_b32 s3, exec_lo
	v_cmpx_lt_u32_e32 3, v32
	;; [unrolled: 17-line block ×3, first 2 shown]
; %bb.22:
	s_delay_alu instid0(VALU_DEP_3) | instskip(SKIP_2) | instid1(VALU_DEP_2)
	v_add_co_u32 v13, vcc_lo, v11, v14
	s_wait_alu 0xfffd
	v_add_co_ci_u32_e64 v10, null, 0, v12, vcc_lo
	v_add_co_u32 v11, vcc_lo, 0, v13
	s_wait_alu 0xfffd
	s_delay_alu instid0(VALU_DEP_2) | instskip(NEXT) | instid1(VALU_DEP_1)
	v_add_co_ci_u32_e64 v12, null, v9, v10, vcc_lo
	v_mov_b32_e32 v10, v12
; %bb.23:
	s_wait_alu 0xfffe
	s_or_b32 exec_lo, exec_lo, s3
	ds_swizzle_b32 v9, v13 offset:swizzle(BROADCAST,32,15)
	ds_swizzle_b32 v14, v10 offset:swizzle(BROADCAST,32,15)
	v_and_b32_e32 v15, 16, v31
	s_mov_b32 s3, exec_lo
	s_delay_alu instid0(VALU_DEP_1)
	v_cmpx_ne_u32_e32 0, v15
	s_cbranch_execz .LBB346_25
; %bb.24:
	s_wait_dscnt 0x1
	v_add_co_u32 v13, vcc_lo, v11, v9
	s_wait_alu 0xfffd
	v_add_co_ci_u32_e64 v10, null, 0, v12, vcc_lo
	s_delay_alu instid0(VALU_DEP_2) | instskip(SKIP_2) | instid1(VALU_DEP_2)
	v_add_co_u32 v9, vcc_lo, 0, v13
	s_wait_dscnt 0x0
	s_wait_alu 0xfffd
	v_add_co_ci_u32_e64 v10, null, v14, v10, vcc_lo
	s_delay_alu instid0(VALU_DEP_1)
	v_dual_mov_b32 v12, v10 :: v_dual_mov_b32 v11, v9
.LBB346_25:
	s_wait_alu 0xfffe
	s_or_b32 exec_lo, exec_lo, s3
	s_wait_dscnt 0x0
	v_or_b32_e32 v14, 31, v0
	v_lshrrev_b32_e32 v9, 5, v0
	s_mov_b32 s3, exec_lo
	s_delay_alu instid0(VALU_DEP_2)
	v_cmpx_eq_u32_e64 v0, v14
; %bb.26:
	s_delay_alu instid0(VALU_DEP_2)
	v_lshlrev_b32_e32 v14, 3, v9
	ds_store_b64 v14, v[11:12]
; %bb.27:
	s_wait_alu 0xfffe
	s_or_b32 exec_lo, exec_lo, s3
	s_delay_alu instid0(SALU_CYCLE_1)
	s_mov_b32 s3, exec_lo
	s_wait_loadcnt_dscnt 0x0
	s_barrier_signal -1
	s_barrier_wait -1
	global_inv scope:SCOPE_SE
	v_cmpx_gt_u32_e32 8, v0
	s_cbranch_execz .LBB346_35
; %bb.28:
	v_lshlrev_b32_e32 v14, 3, v0
	s_mov_b32 s4, exec_lo
	ds_load_b64 v[11:12], v14
	s_wait_dscnt 0x0
	v_dual_mov_b32 v16, v11 :: v_dual_and_b32 v15, 7, v31
	v_mov_b32_dpp v20, v11 row_shr:1 row_mask:0xf bank_mask:0xf
	v_mov_b32_dpp v19, v12 row_shr:1 row_mask:0xf bank_mask:0xf
	s_delay_alu instid0(VALU_DEP_3)
	v_cmpx_ne_u32_e32 0, v15
; %bb.29:
	s_delay_alu instid0(VALU_DEP_3) | instskip(SKIP_2) | instid1(VALU_DEP_2)
	v_add_co_u32 v16, vcc_lo, v11, v20
	s_wait_alu 0xfffd
	v_add_co_ci_u32_e64 v12, null, 0, v12, vcc_lo
	v_add_co_u32 v11, vcc_lo, 0, v16
	s_wait_alu 0xfffd
	s_delay_alu instid0(VALU_DEP_2)
	v_add_co_ci_u32_e64 v12, null, v19, v12, vcc_lo
; %bb.30:
	s_wait_alu 0xfffe
	s_or_b32 exec_lo, exec_lo, s4
	v_mov_b32_dpp v20, v16 row_shr:2 row_mask:0xf bank_mask:0xf
	s_delay_alu instid0(VALU_DEP_2)
	v_mov_b32_dpp v19, v12 row_shr:2 row_mask:0xf bank_mask:0xf
	s_mov_b32 s4, exec_lo
	v_cmpx_lt_u32_e32 1, v15
; %bb.31:
	s_delay_alu instid0(VALU_DEP_3) | instskip(SKIP_2) | instid1(VALU_DEP_2)
	v_add_co_u32 v16, vcc_lo, v11, v20
	s_wait_alu 0xfffd
	v_add_co_ci_u32_e64 v12, null, 0, v12, vcc_lo
	v_add_co_u32 v11, vcc_lo, 0, v16
	s_wait_alu 0xfffd
	s_delay_alu instid0(VALU_DEP_2)
	v_add_co_ci_u32_e64 v12, null, v19, v12, vcc_lo
; %bb.32:
	s_wait_alu 0xfffe
	s_or_b32 exec_lo, exec_lo, s4
	v_mov_b32_dpp v19, v16 row_shr:4 row_mask:0xf bank_mask:0xf
	s_delay_alu instid0(VALU_DEP_2)
	v_mov_b32_dpp v16, v12 row_shr:4 row_mask:0xf bank_mask:0xf
	s_mov_b32 s4, exec_lo
	v_cmpx_lt_u32_e32 3, v15
; %bb.33:
	s_delay_alu instid0(VALU_DEP_3) | instskip(SKIP_2) | instid1(VALU_DEP_2)
	v_add_co_u32 v11, vcc_lo, v11, v19
	s_wait_alu 0xfffd
	v_add_co_ci_u32_e64 v12, null, 0, v12, vcc_lo
	v_add_co_u32 v11, vcc_lo, v11, 0
	s_wait_alu 0xfffd
	s_delay_alu instid0(VALU_DEP_2)
	v_add_co_ci_u32_e64 v12, null, v12, v16, vcc_lo
; %bb.34:
	s_wait_alu 0xfffe
	s_or_b32 exec_lo, exec_lo, s4
	ds_store_b64 v14, v[11:12]
.LBB346_35:
	s_wait_alu 0xfffe
	s_or_b32 exec_lo, exec_lo, s3
	s_delay_alu instid0(SALU_CYCLE_1)
	s_mov_b32 s4, exec_lo
	v_cmp_gt_u32_e32 vcc_lo, 32, v0
	s_wait_loadcnt_dscnt 0x0
	s_barrier_signal -1
	s_barrier_wait -1
	global_inv scope:SCOPE_SE
                                        ; implicit-def: $vgpr19_vgpr20
	v_cmpx_lt_u32_e32 31, v0
	s_cbranch_execz .LBB346_37
; %bb.36:
	v_lshl_add_u32 v9, v9, 3, -8
	ds_load_b64 v[19:20], v9
	s_wait_dscnt 0x0
	v_add_co_u32 v13, s3, v13, v19
	s_wait_alu 0xf1ff
	v_add_co_ci_u32_e64 v10, null, v10, v20, s3
.LBB346_37:
	s_wait_alu 0xfffe
	s_or_b32 exec_lo, exec_lo, s4
	v_sub_co_u32 v9, s3, v31, 1
	s_delay_alu instid0(VALU_DEP_1) | instskip(SKIP_1) | instid1(VALU_DEP_1)
	v_cmp_gt_i32_e64 s4, 0, v9
	s_wait_alu 0xf1ff
	v_cndmask_b32_e64 v9, v9, v31, s4
	s_delay_alu instid0(VALU_DEP_1)
	v_lshlrev_b32_e32 v9, 2, v9
	ds_bpermute_b32 v33, v9, v13
	ds_bpermute_b32 v34, v9, v10
	s_and_saveexec_b32 s4, vcc_lo
	s_cbranch_execz .LBB346_76
; %bb.38:
	v_mov_b32_e32 v12, 0
	ds_load_b64 v[9:10], v12 offset:56
	s_and_saveexec_b32 s5, s3
	s_cbranch_execz .LBB346_40
; %bb.39:
	s_add_co_i32 s16, ttmp9, 32
	s_mov_b32 s17, 0
	s_delay_alu instid0(SALU_CYCLE_1)
	s_lshl_b64 s[16:17], s[16:17], 4
	s_wait_kmcnt 0x0
	s_add_nc_u64 s[16:17], s[6:7], s[16:17]
	v_mov_b32_e32 v11, 1
	v_dual_mov_b32 v13, s16 :: v_dual_mov_b32 v14, s17
	s_wait_dscnt 0x0
	;;#ASMSTART
	global_store_b128 v[13:14], v[9:12] off scope:SCOPE_DEV	
s_wait_storecnt 0x0
	;;#ASMEND
.LBB346_40:
	s_wait_alu 0xfffe
	s_or_b32 exec_lo, exec_lo, s5
	v_xad_u32 v21, v31, -1, ttmp9
	s_mov_b32 s15, 0
	s_mov_b32 s5, exec_lo
	s_delay_alu instid0(VALU_DEP_1) | instskip(NEXT) | instid1(VALU_DEP_1)
	v_add_nc_u32_e32 v11, 32, v21
	v_lshlrev_b64_e32 v[11:12], 4, v[11:12]
	s_wait_kmcnt 0x0
	s_delay_alu instid0(VALU_DEP_1) | instskip(SKIP_1) | instid1(VALU_DEP_2)
	v_add_co_u32 v11, vcc_lo, s6, v11
	s_wait_alu 0xfffd
	v_add_co_ci_u32_e64 v12, null, s7, v12, vcc_lo
	;;#ASMSTART
	global_load_b128 v[13:16], v[11:12] off scope:SCOPE_DEV	
s_wait_loadcnt 0x0
	;;#ASMEND
	v_and_b32_e32 v16, 0xff, v15
	s_delay_alu instid0(VALU_DEP_1)
	v_cmpx_eq_u16_e32 0, v16
	s_cbranch_execz .LBB346_43
.LBB346_41:                             ; =>This Inner Loop Header: Depth=1
	;;#ASMSTART
	global_load_b128 v[13:16], v[11:12] off scope:SCOPE_DEV	
s_wait_loadcnt 0x0
	;;#ASMEND
	v_and_b32_e32 v16, 0xff, v15
	s_delay_alu instid0(VALU_DEP_1)
	v_cmp_ne_u16_e32 vcc_lo, 0, v16
	s_wait_alu 0xfffe
	s_or_b32 s15, vcc_lo, s15
	s_wait_alu 0xfffe
	s_and_not1_b32 exec_lo, exec_lo, s15
	s_cbranch_execnz .LBB346_41
; %bb.42:
	s_or_b32 exec_lo, exec_lo, s15
.LBB346_43:
	s_wait_alu 0xfffe
	s_or_b32 exec_lo, exec_lo, s5
	v_cmp_ne_u32_e32 vcc_lo, 31, v31
	v_and_b32_e32 v12, 0xff, v15
	v_lshlrev_b32_e64 v36, v31, -1
	s_mov_b32 s5, exec_lo
	s_wait_alu 0xfffd
	v_add_co_ci_u32_e64 v11, null, 0, v31, vcc_lo
	v_cmp_eq_u16_e32 vcc_lo, 2, v12
	s_delay_alu instid0(VALU_DEP_2)
	v_dual_mov_b32 v12, v13 :: v_dual_lshlrev_b32 v35, 2, v11
	s_wait_alu 0xfffd
	v_and_or_b32 v11, vcc_lo, v36, 0x80000000
	ds_bpermute_b32 v22, v35, v13
	ds_bpermute_b32 v16, v35, v14
	v_ctz_i32_b32_e32 v11, v11
	s_delay_alu instid0(VALU_DEP_1)
	v_cmpx_lt_u32_e64 v31, v11
	s_cbranch_execz .LBB346_45
; %bb.44:
	s_wait_dscnt 0x1
	v_add_co_u32 v12, vcc_lo, v13, v22
	s_wait_alu 0xfffd
	v_add_co_ci_u32_e64 v14, null, 0, v14, vcc_lo
	s_delay_alu instid0(VALU_DEP_2) | instskip(SKIP_2) | instid1(VALU_DEP_2)
	v_add_co_u32 v13, vcc_lo, 0, v12
	s_wait_dscnt 0x0
	s_wait_alu 0xfffd
	v_add_co_ci_u32_e64 v14, null, v16, v14, vcc_lo
.LBB346_45:
	s_wait_alu 0xfffe
	s_or_b32 exec_lo, exec_lo, s5
	v_cmp_gt_u32_e32 vcc_lo, 30, v31
	v_add_nc_u32_e32 v38, 2, v31
	s_mov_b32 s5, exec_lo
	s_wait_dscnt 0x0
	s_wait_alu 0xfffd
	v_cndmask_b32_e64 v16, 0, 2, vcc_lo
	s_delay_alu instid0(VALU_DEP_1)
	v_add_lshl_u32 v37, v16, v31, 2
	ds_bpermute_b32 v22, v37, v12
	ds_bpermute_b32 v16, v37, v14
	v_cmpx_le_u32_e64 v38, v11
	s_cbranch_execz .LBB346_47
; %bb.46:
	s_wait_dscnt 0x1
	v_add_co_u32 v12, vcc_lo, v13, v22
	s_wait_alu 0xfffd
	v_add_co_ci_u32_e64 v14, null, 0, v14, vcc_lo
	s_delay_alu instid0(VALU_DEP_2) | instskip(SKIP_2) | instid1(VALU_DEP_2)
	v_add_co_u32 v13, vcc_lo, 0, v12
	s_wait_dscnt 0x0
	s_wait_alu 0xfffd
	v_add_co_ci_u32_e64 v14, null, v16, v14, vcc_lo
.LBB346_47:
	s_wait_alu 0xfffe
	s_or_b32 exec_lo, exec_lo, s5
	v_cmp_gt_u32_e32 vcc_lo, 28, v31
	v_add_nc_u32_e32 v40, 4, v31
	s_mov_b32 s5, exec_lo
	s_wait_dscnt 0x0
	s_wait_alu 0xfffd
	v_cndmask_b32_e64 v16, 0, 4, vcc_lo
	s_delay_alu instid0(VALU_DEP_1)
	v_add_lshl_u32 v39, v16, v31, 2
	ds_bpermute_b32 v22, v39, v12
	ds_bpermute_b32 v16, v39, v14
	v_cmpx_le_u32_e64 v40, v11
	s_cbranch_execz .LBB346_49
; %bb.48:
	s_wait_dscnt 0x1
	v_add_co_u32 v12, vcc_lo, v13, v22
	s_wait_alu 0xfffd
	v_add_co_ci_u32_e64 v14, null, 0, v14, vcc_lo
	s_delay_alu instid0(VALU_DEP_2) | instskip(SKIP_2) | instid1(VALU_DEP_2)
	v_add_co_u32 v13, vcc_lo, 0, v12
	s_wait_dscnt 0x0
	s_wait_alu 0xfffd
	v_add_co_ci_u32_e64 v14, null, v16, v14, vcc_lo
.LBB346_49:
	s_wait_alu 0xfffe
	s_or_b32 exec_lo, exec_lo, s5
	v_cmp_gt_u32_e32 vcc_lo, 24, v31
	v_add_nc_u32_e32 v42, 8, v31
	s_mov_b32 s5, exec_lo
	s_wait_dscnt 0x0
	s_wait_alu 0xfffd
	v_cndmask_b32_e64 v16, 0, 8, vcc_lo
	s_delay_alu instid0(VALU_DEP_1)
	v_add_lshl_u32 v41, v16, v31, 2
	ds_bpermute_b32 v22, v41, v12
	ds_bpermute_b32 v16, v41, v14
	v_cmpx_le_u32_e64 v42, v11
	s_cbranch_execz .LBB346_51
; %bb.50:
	s_wait_dscnt 0x1
	v_add_co_u32 v12, vcc_lo, v13, v22
	s_wait_alu 0xfffd
	v_add_co_ci_u32_e64 v14, null, 0, v14, vcc_lo
	s_delay_alu instid0(VALU_DEP_2) | instskip(SKIP_2) | instid1(VALU_DEP_2)
	v_add_co_u32 v13, vcc_lo, 0, v12
	s_wait_dscnt 0x0
	s_wait_alu 0xfffd
	v_add_co_ci_u32_e64 v14, null, v16, v14, vcc_lo
.LBB346_51:
	s_wait_alu 0xfffe
	s_or_b32 exec_lo, exec_lo, s5
	v_lshl_or_b32 v43, v31, 2, 64
	v_add_nc_u32_e32 v44, 16, v31
	s_mov_b32 s5, exec_lo
	s_wait_dscnt 0x0
	ds_bpermute_b32 v16, v43, v12
	ds_bpermute_b32 v12, v43, v14
	v_cmpx_le_u32_e64 v44, v11
	s_cbranch_execz .LBB346_53
; %bb.52:
	s_wait_dscnt 0x1
	v_add_co_u32 v11, vcc_lo, v13, v16
	s_wait_alu 0xfffd
	v_add_co_ci_u32_e64 v14, null, 0, v14, vcc_lo
	s_delay_alu instid0(VALU_DEP_2) | instskip(SKIP_2) | instid1(VALU_DEP_2)
	v_add_co_u32 v13, vcc_lo, v11, 0
	s_wait_dscnt 0x0
	s_wait_alu 0xfffd
	v_add_co_ci_u32_e64 v14, null, v14, v12, vcc_lo
.LBB346_53:
	s_wait_alu 0xfffe
	s_or_b32 exec_lo, exec_lo, s5
	v_mov_b32_e32 v22, 0
	s_branch .LBB346_56
.LBB346_54:                             ;   in Loop: Header=BB346_56 Depth=1
	s_wait_alu 0xfffe
	s_or_b32 exec_lo, exec_lo, s5
	v_add_co_u32 v13, vcc_lo, v13, v11
	v_subrev_nc_u32_e32 v21, 32, v21
	s_wait_alu 0xfffd
	v_add_co_ci_u32_e64 v14, null, v14, v12, vcc_lo
	s_mov_b32 s5, 0
.LBB346_55:                             ;   in Loop: Header=BB346_56 Depth=1
	s_wait_alu 0xfffe
	s_and_b32 vcc_lo, exec_lo, s5
	s_wait_alu 0xfffe
	s_cbranch_vccnz .LBB346_72
.LBB346_56:                             ; =>This Loop Header: Depth=1
                                        ;     Child Loop BB346_59 Depth 2
	v_and_b32_e32 v11, 0xff, v15
	s_mov_b32 s5, -1
	s_delay_alu instid0(VALU_DEP_1)
	v_cmp_ne_u16_e32 vcc_lo, 2, v11
	s_wait_dscnt 0x0
	v_dual_mov_b32 v11, v13 :: v_dual_mov_b32 v12, v14
                                        ; implicit-def: $vgpr13_vgpr14
	s_cmp_lg_u32 vcc_lo, exec_lo
	s_cbranch_scc1 .LBB346_55
; %bb.57:                               ;   in Loop: Header=BB346_56 Depth=1
	v_lshlrev_b64_e32 v[13:14], 4, v[21:22]
	s_mov_b32 s5, exec_lo
	s_delay_alu instid0(VALU_DEP_1) | instskip(SKIP_1) | instid1(VALU_DEP_2)
	v_add_co_u32 v23, vcc_lo, s6, v13
	s_wait_alu 0xfffd
	v_add_co_ci_u32_e64 v24, null, s7, v14, vcc_lo
	;;#ASMSTART
	global_load_b128 v[13:16], v[23:24] off scope:SCOPE_DEV	
s_wait_loadcnt 0x0
	;;#ASMEND
	v_and_b32_e32 v16, 0xff, v15
	s_delay_alu instid0(VALU_DEP_1)
	v_cmpx_eq_u16_e32 0, v16
	s_cbranch_execz .LBB346_61
; %bb.58:                               ;   in Loop: Header=BB346_56 Depth=1
	s_mov_b32 s15, 0
.LBB346_59:                             ;   Parent Loop BB346_56 Depth=1
                                        ; =>  This Inner Loop Header: Depth=2
	;;#ASMSTART
	global_load_b128 v[13:16], v[23:24] off scope:SCOPE_DEV	
s_wait_loadcnt 0x0
	;;#ASMEND
	v_and_b32_e32 v16, 0xff, v15
	s_delay_alu instid0(VALU_DEP_1)
	v_cmp_ne_u16_e32 vcc_lo, 0, v16
	s_wait_alu 0xfffe
	s_or_b32 s15, vcc_lo, s15
	s_wait_alu 0xfffe
	s_and_not1_b32 exec_lo, exec_lo, s15
	s_cbranch_execnz .LBB346_59
; %bb.60:                               ;   in Loop: Header=BB346_56 Depth=1
	s_or_b32 exec_lo, exec_lo, s15
.LBB346_61:                             ;   in Loop: Header=BB346_56 Depth=1
	s_wait_alu 0xfffe
	s_or_b32 exec_lo, exec_lo, s5
	v_dual_mov_b32 v23, v13 :: v_dual_and_b32 v16, 0xff, v15
	ds_bpermute_b32 v45, v35, v13
	ds_bpermute_b32 v24, v35, v14
	s_mov_b32 s5, exec_lo
	v_cmp_eq_u16_e32 vcc_lo, 2, v16
	s_wait_alu 0xfffd
	v_and_or_b32 v16, vcc_lo, v36, 0x80000000
	s_delay_alu instid0(VALU_DEP_1) | instskip(NEXT) | instid1(VALU_DEP_1)
	v_ctz_i32_b32_e32 v16, v16
	v_cmpx_lt_u32_e64 v31, v16
	s_cbranch_execz .LBB346_63
; %bb.62:                               ;   in Loop: Header=BB346_56 Depth=1
	s_wait_dscnt 0x1
	v_add_co_u32 v23, vcc_lo, v13, v45
	s_wait_alu 0xfffd
	v_add_co_ci_u32_e64 v14, null, 0, v14, vcc_lo
	s_delay_alu instid0(VALU_DEP_2) | instskip(SKIP_2) | instid1(VALU_DEP_2)
	v_add_co_u32 v13, vcc_lo, 0, v23
	s_wait_dscnt 0x0
	s_wait_alu 0xfffd
	v_add_co_ci_u32_e64 v14, null, v24, v14, vcc_lo
.LBB346_63:                             ;   in Loop: Header=BB346_56 Depth=1
	s_wait_alu 0xfffe
	s_or_b32 exec_lo, exec_lo, s5
	s_wait_dscnt 0x1
	ds_bpermute_b32 v45, v37, v23
	s_wait_dscnt 0x1
	ds_bpermute_b32 v24, v37, v14
	s_mov_b32 s5, exec_lo
	v_cmpx_le_u32_e64 v38, v16
	s_cbranch_execz .LBB346_65
; %bb.64:                               ;   in Loop: Header=BB346_56 Depth=1
	s_wait_dscnt 0x1
	v_add_co_u32 v23, vcc_lo, v13, v45
	s_wait_alu 0xfffd
	v_add_co_ci_u32_e64 v14, null, 0, v14, vcc_lo
	s_delay_alu instid0(VALU_DEP_2) | instskip(SKIP_2) | instid1(VALU_DEP_2)
	v_add_co_u32 v13, vcc_lo, 0, v23
	s_wait_dscnt 0x0
	s_wait_alu 0xfffd
	v_add_co_ci_u32_e64 v14, null, v24, v14, vcc_lo
.LBB346_65:                             ;   in Loop: Header=BB346_56 Depth=1
	s_wait_alu 0xfffe
	s_or_b32 exec_lo, exec_lo, s5
	s_wait_dscnt 0x1
	ds_bpermute_b32 v45, v39, v23
	s_wait_dscnt 0x1
	ds_bpermute_b32 v24, v39, v14
	s_mov_b32 s5, exec_lo
	v_cmpx_le_u32_e64 v40, v16
	;; [unrolled: 20-line block ×3, first 2 shown]
	s_cbranch_execz .LBB346_69
; %bb.68:                               ;   in Loop: Header=BB346_56 Depth=1
	s_wait_dscnt 0x1
	v_add_co_u32 v23, vcc_lo, v13, v45
	s_wait_alu 0xfffd
	v_add_co_ci_u32_e64 v14, null, 0, v14, vcc_lo
	s_delay_alu instid0(VALU_DEP_2) | instskip(SKIP_2) | instid1(VALU_DEP_2)
	v_add_co_u32 v13, vcc_lo, 0, v23
	s_wait_dscnt 0x0
	s_wait_alu 0xfffd
	v_add_co_ci_u32_e64 v14, null, v24, v14, vcc_lo
.LBB346_69:                             ;   in Loop: Header=BB346_56 Depth=1
	s_wait_alu 0xfffe
	s_or_b32 exec_lo, exec_lo, s5
	s_wait_dscnt 0x0
	ds_bpermute_b32 v24, v43, v23
	ds_bpermute_b32 v23, v43, v14
	s_mov_b32 s5, exec_lo
	v_cmpx_le_u32_e64 v44, v16
	s_cbranch_execz .LBB346_54
; %bb.70:                               ;   in Loop: Header=BB346_56 Depth=1
	s_wait_dscnt 0x1
	v_add_co_u32 v13, vcc_lo, v13, v24
	s_wait_alu 0xfffd
	v_add_co_ci_u32_e64 v14, null, 0, v14, vcc_lo
	s_delay_alu instid0(VALU_DEP_2) | instskip(SKIP_2) | instid1(VALU_DEP_2)
	v_add_co_u32 v13, vcc_lo, v13, 0
	s_wait_dscnt 0x0
	s_wait_alu 0xfffd
	v_add_co_ci_u32_e64 v14, null, v14, v23, vcc_lo
	s_branch .LBB346_54
.LBB346_71:
                                        ; implicit-def: $vgpr15_vgpr16
                                        ; implicit-def: $vgpr13_vgpr14
                                        ; implicit-def: $vgpr19_vgpr20
                                        ; implicit-def: $vgpr21_vgpr22
                                        ; implicit-def: $vgpr11_vgpr12
	s_wait_alu 0xfffe
	s_and_b32 vcc_lo, exec_lo, s3
	s_wait_alu 0xfffe
	s_cbranch_vccnz .LBB346_77
	s_branch .LBB346_102
.LBB346_72:
	s_and_saveexec_b32 s5, s3
	s_cbranch_execz .LBB346_74
; %bb.73:
	s_add_co_i32 s16, ttmp9, 32
	s_mov_b32 s17, 0
	v_add_co_u32 v13, vcc_lo, v11, v9
	s_wait_alu 0xfffe
	s_lshl_b64 s[16:17], s[16:17], 4
	v_dual_mov_b32 v15, 2 :: v_dual_mov_b32 v16, 0
	s_wait_alu 0xfffe
	s_add_nc_u64 s[16:17], s[6:7], s[16:17]
	s_wait_alu 0xfffd
	v_add_co_ci_u32_e64 v14, null, v12, v10, vcc_lo
	s_wait_alu 0xfffe
	v_dual_mov_b32 v22, s17 :: v_dual_mov_b32 v21, s16
	;;#ASMSTART
	global_store_b128 v[21:22], v[13:16] off scope:SCOPE_DEV	
s_wait_storecnt 0x0
	;;#ASMEND
	ds_store_b128 v16, v[9:12] offset:8448
.LBB346_74:
	s_wait_alu 0xfffe
	s_or_b32 exec_lo, exec_lo, s5
	v_cmp_eq_u32_e32 vcc_lo, 0, v0
	s_and_b32 exec_lo, exec_lo, vcc_lo
; %bb.75:
	v_mov_b32_e32 v9, 0
	ds_store_b64 v9, v[11:12] offset:56
.LBB346_76:
	s_wait_alu 0xfffe
	s_or_b32 exec_lo, exec_lo, s4
	s_wait_dscnt 0x1
	v_cndmask_b32_e64 v10, v33, v19, s3
	v_cmp_ne_u32_e32 vcc_lo, 0, v0
	v_mov_b32_e32 v9, 0
	s_wait_loadcnt_dscnt 0x0
	s_barrier_signal -1
	s_barrier_wait -1
	global_inv scope:SCOPE_SE
	s_wait_alu 0xfffd
	v_cndmask_b32_e32 v16, 0, v10, vcc_lo
	ds_load_b64 v[13:14], v9 offset:56
	v_cndmask_b32_e64 v11, v34, v20, s3
	s_wait_loadcnt_dscnt 0x0
	s_barrier_signal -1
	s_barrier_wait -1
	global_inv scope:SCOPE_SE
	v_cndmask_b32_e32 v15, 0, v11, vcc_lo
	ds_load_b128 v[9:12], v9 offset:8448
	v_add_co_u32 v21, vcc_lo, v13, v16
	s_wait_alu 0xfffd
	v_add_co_ci_u32_e64 v22, null, v14, v15, vcc_lo
	s_delay_alu instid0(VALU_DEP_2) | instskip(SKIP_1) | instid1(VALU_DEP_2)
	v_add_co_u32 v19, vcc_lo, v21, v30
	s_wait_alu 0xfffd
	v_add_co_ci_u32_e64 v20, null, 0, v22, vcc_lo
	s_delay_alu instid0(VALU_DEP_2) | instskip(SKIP_1) | instid1(VALU_DEP_2)
	;; [unrolled: 4-line block ×3, first 2 shown]
	v_add_co_u32 v15, vcc_lo, v13, v28
	s_wait_alu 0xfffd
	v_add_co_ci_u32_e64 v16, null, 0, v14, vcc_lo
	s_branch .LBB346_102
.LBB346_77:
	s_wait_dscnt 0x0
	v_dual_mov_b32 v10, 0 :: v_dual_mov_b32 v11, v17
	v_mov_b32_dpp v12, v17 row_shr:1 row_mask:0xf bank_mask:0xf
	s_delay_alu instid0(VALU_DEP_2)
	v_mov_b32_dpp v9, v10 row_shr:1 row_mask:0xf bank_mask:0xf
	s_and_saveexec_b32 s3, s2
; %bb.78:
	s_delay_alu instid0(VALU_DEP_2) | instskip(SKIP_2) | instid1(VALU_DEP_2)
	v_add_co_u32 v11, vcc_lo, v17, v12
	s_wait_alu 0xfffd
	v_add_co_ci_u32_e64 v10, null, 0, v18, vcc_lo
	v_add_co_u32 v17, vcc_lo, 0, v11
	s_wait_alu 0xfffd
	s_delay_alu instid0(VALU_DEP_2) | instskip(NEXT) | instid1(VALU_DEP_1)
	v_add_co_ci_u32_e64 v18, null, v9, v10, vcc_lo
	v_mov_b32_e32 v10, v18
; %bb.79:
	s_wait_alu 0xfffe
	s_or_b32 exec_lo, exec_lo, s3
	v_mov_b32_dpp v9, v11 row_shr:2 row_mask:0xf bank_mask:0xf
	s_delay_alu instid0(VALU_DEP_2)
	v_mov_b32_dpp v12, v10 row_shr:2 row_mask:0xf bank_mask:0xf
	s_mov_b32 s2, exec_lo
	v_cmpx_lt_u32_e32 1, v32
; %bb.80:
	s_delay_alu instid0(VALU_DEP_3) | instskip(SKIP_2) | instid1(VALU_DEP_2)
	v_add_co_u32 v11, vcc_lo, v17, v9
	s_wait_alu 0xfffd
	v_add_co_ci_u32_e64 v10, null, 0, v18, vcc_lo
	v_add_co_u32 v9, vcc_lo, 0, v11
	s_wait_alu 0xfffd
	s_delay_alu instid0(VALU_DEP_2) | instskip(NEXT) | instid1(VALU_DEP_1)
	v_add_co_ci_u32_e64 v10, null, v12, v10, vcc_lo
	v_dual_mov_b32 v18, v10 :: v_dual_mov_b32 v17, v9
; %bb.81:
	s_wait_alu 0xfffe
	s_or_b32 exec_lo, exec_lo, s2
	v_mov_b32_dpp v9, v11 row_shr:4 row_mask:0xf bank_mask:0xf
	v_mov_b32_dpp v12, v10 row_shr:4 row_mask:0xf bank_mask:0xf
	s_mov_b32 s2, exec_lo
	v_cmpx_lt_u32_e32 3, v32
; %bb.82:
	s_delay_alu instid0(VALU_DEP_3) | instskip(SKIP_2) | instid1(VALU_DEP_2)
	v_add_co_u32 v11, vcc_lo, v17, v9
	s_wait_alu 0xfffd
	v_add_co_ci_u32_e64 v10, null, 0, v18, vcc_lo
	v_add_co_u32 v9, vcc_lo, 0, v11
	s_wait_alu 0xfffd
	s_delay_alu instid0(VALU_DEP_2) | instskip(NEXT) | instid1(VALU_DEP_1)
	v_add_co_ci_u32_e64 v10, null, v12, v10, vcc_lo
	v_dual_mov_b32 v18, v10 :: v_dual_mov_b32 v17, v9
; %bb.83:
	s_wait_alu 0xfffe
	s_or_b32 exec_lo, exec_lo, s2
	v_mov_b32_dpp v12, v11 row_shr:8 row_mask:0xf bank_mask:0xf
	v_mov_b32_dpp v9, v10 row_shr:8 row_mask:0xf bank_mask:0xf
	s_mov_b32 s2, exec_lo
	v_cmpx_lt_u32_e32 7, v32
; %bb.84:
	s_delay_alu instid0(VALU_DEP_3) | instskip(SKIP_2) | instid1(VALU_DEP_2)
	v_add_co_u32 v11, vcc_lo, v17, v12
	s_wait_alu 0xfffd
	v_add_co_ci_u32_e64 v10, null, 0, v18, vcc_lo
	v_add_co_u32 v17, vcc_lo, 0, v11
	s_wait_alu 0xfffd
	s_delay_alu instid0(VALU_DEP_2) | instskip(NEXT) | instid1(VALU_DEP_1)
	v_add_co_ci_u32_e64 v18, null, v9, v10, vcc_lo
	v_mov_b32_e32 v10, v18
; %bb.85:
	s_wait_alu 0xfffe
	s_or_b32 exec_lo, exec_lo, s2
	ds_swizzle_b32 v11, v11 offset:swizzle(BROADCAST,32,15)
	ds_swizzle_b32 v9, v10 offset:swizzle(BROADCAST,32,15)
	v_and_b32_e32 v10, 16, v31
	s_mov_b32 s2, exec_lo
	s_delay_alu instid0(VALU_DEP_1)
	v_cmpx_ne_u32_e32 0, v10
	s_cbranch_execz .LBB346_87
; %bb.86:
	s_wait_dscnt 0x1
	v_add_co_u32 v10, vcc_lo, v17, v11
	s_wait_alu 0xfffd
	v_add_co_ci_u32_e64 v11, null, 0, v18, vcc_lo
	s_delay_alu instid0(VALU_DEP_2) | instskip(SKIP_2) | instid1(VALU_DEP_2)
	v_add_co_u32 v17, vcc_lo, v10, 0
	s_wait_dscnt 0x0
	s_wait_alu 0xfffd
	v_add_co_ci_u32_e64 v18, null, v11, v9, vcc_lo
.LBB346_87:
	s_wait_alu 0xfffe
	s_or_b32 exec_lo, exec_lo, s2
	s_wait_dscnt 0x0
	v_or_b32_e32 v9, 31, v0
	v_lshrrev_b32_e32 v11, 5, v0
	s_mov_b32 s2, exec_lo
	s_delay_alu instid0(VALU_DEP_2)
	v_cmpx_eq_u32_e64 v0, v9
; %bb.88:
	s_delay_alu instid0(VALU_DEP_2)
	v_lshlrev_b32_e32 v9, 3, v11
	ds_store_b64 v9, v[17:18]
; %bb.89:
	s_wait_alu 0xfffe
	s_or_b32 exec_lo, exec_lo, s2
	s_delay_alu instid0(SALU_CYCLE_1)
	s_mov_b32 s2, exec_lo
	s_wait_loadcnt_dscnt 0x0
	s_barrier_signal -1
	s_barrier_wait -1
	global_inv scope:SCOPE_SE
	v_cmpx_gt_u32_e32 8, v0
	s_cbranch_execz .LBB346_97
; %bb.90:
	v_lshlrev_b32_e32 v12, 3, v0
	s_mov_b32 s3, exec_lo
	ds_load_b64 v[9:10], v12
	s_wait_dscnt 0x0
	v_dual_mov_b32 v14, v9 :: v_dual_and_b32 v13, 7, v31
	v_mov_b32_dpp v16, v9 row_shr:1 row_mask:0xf bank_mask:0xf
	v_mov_b32_dpp v15, v10 row_shr:1 row_mask:0xf bank_mask:0xf
	s_delay_alu instid0(VALU_DEP_3)
	v_cmpx_ne_u32_e32 0, v13
; %bb.91:
	s_delay_alu instid0(VALU_DEP_3) | instskip(SKIP_2) | instid1(VALU_DEP_2)
	v_add_co_u32 v14, vcc_lo, v9, v16
	s_wait_alu 0xfffd
	v_add_co_ci_u32_e64 v10, null, 0, v10, vcc_lo
	v_add_co_u32 v9, vcc_lo, 0, v14
	s_wait_alu 0xfffd
	s_delay_alu instid0(VALU_DEP_2)
	v_add_co_ci_u32_e64 v10, null, v15, v10, vcc_lo
; %bb.92:
	s_wait_alu 0xfffe
	s_or_b32 exec_lo, exec_lo, s3
	v_mov_b32_dpp v16, v14 row_shr:2 row_mask:0xf bank_mask:0xf
	s_delay_alu instid0(VALU_DEP_2)
	v_mov_b32_dpp v15, v10 row_shr:2 row_mask:0xf bank_mask:0xf
	s_mov_b32 s3, exec_lo
	v_cmpx_lt_u32_e32 1, v13
; %bb.93:
	s_delay_alu instid0(VALU_DEP_3) | instskip(SKIP_2) | instid1(VALU_DEP_2)
	v_add_co_u32 v14, vcc_lo, v9, v16
	s_wait_alu 0xfffd
	v_add_co_ci_u32_e64 v10, null, 0, v10, vcc_lo
	v_add_co_u32 v9, vcc_lo, 0, v14
	s_wait_alu 0xfffd
	s_delay_alu instid0(VALU_DEP_2)
	v_add_co_ci_u32_e64 v10, null, v15, v10, vcc_lo
; %bb.94:
	s_wait_alu 0xfffe
	s_or_b32 exec_lo, exec_lo, s3
	v_mov_b32_dpp v15, v14 row_shr:4 row_mask:0xf bank_mask:0xf
	s_delay_alu instid0(VALU_DEP_2)
	v_mov_b32_dpp v14, v10 row_shr:4 row_mask:0xf bank_mask:0xf
	s_mov_b32 s3, exec_lo
	v_cmpx_lt_u32_e32 3, v13
; %bb.95:
	s_delay_alu instid0(VALU_DEP_3) | instskip(SKIP_2) | instid1(VALU_DEP_2)
	v_add_co_u32 v9, vcc_lo, v9, v15
	s_wait_alu 0xfffd
	v_add_co_ci_u32_e64 v10, null, 0, v10, vcc_lo
	v_add_co_u32 v9, vcc_lo, v9, 0
	s_wait_alu 0xfffd
	s_delay_alu instid0(VALU_DEP_2)
	v_add_co_ci_u32_e64 v10, null, v10, v14, vcc_lo
; %bb.96:
	s_wait_alu 0xfffe
	s_or_b32 exec_lo, exec_lo, s3
	ds_store_b64 v12, v[9:10]
.LBB346_97:
	s_wait_alu 0xfffe
	s_or_b32 exec_lo, exec_lo, s2
	v_mov_b32_e32 v13, 0
	v_mov_b32_e32 v14, 0
	s_mov_b32 s2, exec_lo
	s_wait_loadcnt_dscnt 0x0
	s_barrier_signal -1
	s_barrier_wait -1
	global_inv scope:SCOPE_SE
	v_cmpx_lt_u32_e32 31, v0
; %bb.98:
	v_lshl_add_u32 v9, v11, 3, -8
	ds_load_b64 v[13:14], v9
; %bb.99:
	s_wait_alu 0xfffe
	s_or_b32 exec_lo, exec_lo, s2
	v_sub_co_u32 v9, vcc_lo, v31, 1
	v_mov_b32_e32 v12, 0
	s_delay_alu instid0(VALU_DEP_2) | instskip(SKIP_1) | instid1(VALU_DEP_1)
	v_cmp_gt_i32_e64 s2, 0, v9
	s_wait_alu 0xf1ff
	v_cndmask_b32_e64 v9, v9, v31, s2
	s_wait_dscnt 0x0
	v_add_co_u32 v10, s2, v13, v17
	s_wait_alu 0xf1ff
	v_add_co_ci_u32_e64 v11, null, v14, v18, s2
	v_lshlrev_b32_e32 v9, 2, v9
	v_cmp_eq_u32_e64 s2, 0, v0
	ds_bpermute_b32 v15, v9, v10
	ds_bpermute_b32 v16, v9, v11
	ds_load_b64 v[9:10], v12 offset:56
	s_and_saveexec_b32 s3, s2
	s_cbranch_execz .LBB346_101
; %bb.100:
	s_wait_kmcnt 0x0
	s_add_nc_u64 s[4:5], s[6:7], 0x200
	s_wait_alu 0xfffe
	v_dual_mov_b32 v11, 2 :: v_dual_mov_b32 v18, s5
	v_mov_b32_e32 v17, s4
	s_wait_dscnt 0x0
	;;#ASMSTART
	global_store_b128 v[17:18], v[9:12] off scope:SCOPE_DEV	
s_wait_storecnt 0x0
	;;#ASMEND
.LBB346_101:
	s_wait_alu 0xfffe
	s_or_b32 exec_lo, exec_lo, s3
	s_wait_dscnt 0x1
	s_wait_alu 0xfffd
	v_dual_cndmask_b32 v11, v15, v13 :: v_dual_cndmask_b32 v12, v16, v14
	s_wait_loadcnt_dscnt 0x0
	s_barrier_signal -1
	s_barrier_wait -1
	s_delay_alu instid0(VALU_DEP_1)
	v_cndmask_b32_e64 v21, v11, 0, s2
	v_cndmask_b32_e64 v22, v12, 0, s2
	v_mov_b32_e32 v11, 0
	v_mov_b32_e32 v12, 0
	global_inv scope:SCOPE_SE
	v_add_co_u32 v19, vcc_lo, v21, v30
	s_wait_alu 0xfffd
	v_add_co_ci_u32_e64 v20, null, 0, v22, vcc_lo
	s_delay_alu instid0(VALU_DEP_2) | instskip(SKIP_1) | instid1(VALU_DEP_2)
	v_add_co_u32 v13, vcc_lo, v19, v29
	s_wait_alu 0xfffd
	v_add_co_ci_u32_e64 v14, null, 0, v20, vcc_lo
	s_delay_alu instid0(VALU_DEP_2) | instskip(SKIP_1) | instid1(VALU_DEP_2)
	v_add_co_u32 v15, vcc_lo, v13, v28
	s_wait_alu 0xfffd
	v_add_co_ci_u32_e64 v16, null, 0, v14, vcc_lo
.LBB346_102:
	s_load_b64 s[2:3], s[0:1], 0x28
	v_and_b32_e32 v23, 1, v27
	s_wait_dscnt 0x0
	v_cmp_gt_u64_e32 vcc_lo, 0x101, v[9:10]
	s_mov_b32 s1, -1
	s_delay_alu instid0(VALU_DEP_2)
	v_cmp_eq_u32_e64 s0, 1, v23
	s_cbranch_vccnz .LBB346_106
; %bb.103:
	s_wait_alu 0xfffe
	s_and_b32 vcc_lo, exec_lo, s1
	s_wait_alu 0xfffe
	s_cbranch_vccnz .LBB346_115
.LBB346_104:
	v_cmp_eq_u32_e32 vcc_lo, 0, v0
	s_and_b32 s0, vcc_lo, s12
	s_wait_alu 0xfffe
	s_and_saveexec_b32 s1, s0
	s_cbranch_execnz .LBB346_127
.LBB346_105:
	s_endpgm
.LBB346_106:
	v_add_co_u32 v17, vcc_lo, v11, v9
	s_wait_alu 0xfffd
	v_add_co_ci_u32_e64 v18, null, v12, v10, vcc_lo
	s_lshl_b64 s[4:5], s[10:11], 3
	s_wait_kmcnt 0x0
	s_wait_alu 0xfffe
	s_add_nc_u64 s[4:5], s[2:3], s[4:5]
	v_cmp_lt_u64_e32 vcc_lo, v[21:22], v[17:18]
	s_or_b32 s1, s13, vcc_lo
	s_wait_alu 0xfffe
	s_and_b32 s1, s1, s0
	s_wait_alu 0xfffe
	s_and_saveexec_b32 s0, s1
	s_cbranch_execz .LBB346_108
; %bb.107:
	v_lshlrev_b64_e32 v[27:28], 3, v[21:22]
	s_delay_alu instid0(VALU_DEP_1) | instskip(SKIP_1) | instid1(VALU_DEP_2)
	v_add_co_u32 v27, vcc_lo, s4, v27
	s_wait_alu 0xfffd
	v_add_co_ci_u32_e64 v28, null, s5, v28, vcc_lo
	global_store_b64 v[27:28], v[1:2], off
.LBB346_108:
	s_wait_alu 0xfffe
	s_or_b32 exec_lo, exec_lo, s0
	v_and_b32_e32 v22, 1, v26
	v_cmp_lt_u64_e32 vcc_lo, v[19:20], v[17:18]
	s_delay_alu instid0(VALU_DEP_2)
	v_cmp_eq_u32_e64 s0, 1, v22
	s_or_b32 s1, s13, vcc_lo
	s_wait_alu 0xfffe
	s_and_b32 s1, s1, s0
	s_wait_alu 0xfffe
	s_and_saveexec_b32 s0, s1
	s_cbranch_execz .LBB346_110
; %bb.109:
	v_lshlrev_b64_e32 v[27:28], 3, v[19:20]
	s_delay_alu instid0(VALU_DEP_1) | instskip(SKIP_1) | instid1(VALU_DEP_2)
	v_add_co_u32 v27, vcc_lo, s4, v27
	s_wait_alu 0xfffd
	v_add_co_ci_u32_e64 v28, null, s5, v28, vcc_lo
	global_store_b64 v[27:28], v[5:6], off
.LBB346_110:
	s_wait_alu 0xfffe
	s_or_b32 exec_lo, exec_lo, s0
	v_and_b32_e32 v20, 1, v25
	v_cmp_lt_u64_e32 vcc_lo, v[13:14], v[17:18]
	s_delay_alu instid0(VALU_DEP_2)
	v_cmp_eq_u32_e64 s0, 1, v20
	s_or_b32 s1, s13, vcc_lo
	s_wait_alu 0xfffe
	s_and_b32 s1, s1, s0
	s_wait_alu 0xfffe
	s_and_saveexec_b32 s0, s1
	s_cbranch_execz .LBB346_112
; %bb.111:
	v_lshlrev_b64_e32 v[27:28], 3, v[13:14]
	s_delay_alu instid0(VALU_DEP_1) | instskip(SKIP_1) | instid1(VALU_DEP_2)
	v_add_co_u32 v27, vcc_lo, s4, v27
	s_wait_alu 0xfffd
	v_add_co_ci_u32_e64 v28, null, s5, v28, vcc_lo
	global_store_b64 v[27:28], v[7:8], off
.LBB346_112:
	s_wait_alu 0xfffe
	s_or_b32 exec_lo, exec_lo, s0
	v_cmp_lt_u64_e32 vcc_lo, v[15:16], v[17:18]
	s_or_b32 s0, s13, vcc_lo
	s_wait_alu 0xfffe
	s_and_b32 s1, s0, s14
	s_wait_alu 0xfffe
	s_and_saveexec_b32 s0, s1
	s_cbranch_execz .LBB346_114
; %bb.113:
	v_lshlrev_b64_e32 v[16:17], 3, v[15:16]
	s_delay_alu instid0(VALU_DEP_1) | instskip(SKIP_1) | instid1(VALU_DEP_2)
	v_add_co_u32 v16, vcc_lo, s4, v16
	s_wait_alu 0xfffd
	v_add_co_ci_u32_e64 v17, null, s5, v17, vcc_lo
	global_store_b64 v[16:17], v[3:4], off
.LBB346_114:
	s_wait_alu 0xfffe
	s_or_b32 exec_lo, exec_lo, s0
	s_branch .LBB346_104
.LBB346_115:
	s_mov_b32 s0, exec_lo
	v_cmpx_eq_u32_e32 1, v23
; %bb.116:
	v_sub_nc_u32_e32 v14, v21, v11
	s_delay_alu instid0(VALU_DEP_1)
	v_lshlrev_b32_e32 v14, 3, v14
	ds_store_b64 v14, v[1:2]
; %bb.117:
	s_wait_alu 0xfffe
	s_or_b32 exec_lo, exec_lo, s0
	v_and_b32_e32 v1, 1, v26
	s_mov_b32 s0, exec_lo
	s_delay_alu instid0(VALU_DEP_1)
	v_cmpx_eq_u32_e32 1, v1
; %bb.118:
	v_sub_nc_u32_e32 v1, v19, v11
	s_delay_alu instid0(VALU_DEP_1)
	v_lshlrev_b32_e32 v1, 3, v1
	ds_store_b64 v1, v[5:6]
; %bb.119:
	s_wait_alu 0xfffe
	s_or_b32 exec_lo, exec_lo, s0
	v_and_b32_e32 v1, 1, v25
	s_mov_b32 s0, exec_lo
	s_delay_alu instid0(VALU_DEP_1)
	v_cmpx_eq_u32_e32 1, v1
; %bb.120:
	v_sub_nc_u32_e32 v1, v13, v11
	s_delay_alu instid0(VALU_DEP_1)
	v_lshlrev_b32_e32 v1, 3, v1
	ds_store_b64 v1, v[7:8]
; %bb.121:
	s_wait_alu 0xfffe
	s_or_b32 exec_lo, exec_lo, s0
	s_and_saveexec_b32 s0, s14
; %bb.122:
	v_sub_nc_u32_e32 v1, v15, v11
	s_delay_alu instid0(VALU_DEP_1)
	v_lshlrev_b32_e32 v1, 3, v1
	ds_store_b64 v1, v[3:4]
; %bb.123:
	s_wait_alu 0xfffe
	s_or_b32 exec_lo, exec_lo, s0
	v_mov_b32_e32 v3, 0
	s_mov_b32 s1, exec_lo
	s_wait_storecnt 0x0
	s_wait_loadcnt_dscnt 0x0
	s_barrier_signal -1
	s_barrier_wait -1
	v_mov_b32_e32 v1, v3
	global_inv scope:SCOPE_SE
	v_cmpx_gt_u64_e64 v[9:10], v[0:1]
	s_cbranch_execz .LBB346_126
; %bb.124:
	v_lshlrev_b64_e32 v[4:5], 3, v[11:12]
	s_lshl_b64 s[4:5], s[10:11], 3
	v_or_b32_e32 v2, 0x100, v0
	s_wait_kmcnt 0x0
	s_wait_alu 0xfffe
	s_add_nc_u64 s[2:3], s[2:3], s[4:5]
	s_wait_alu 0xfffe
	v_add_co_u32 v6, vcc_lo, s2, v4
	s_wait_alu 0xfffd
	v_add_co_ci_u32_e64 v7, null, s3, v5, vcc_lo
	v_dual_mov_b32 v5, v1 :: v_dual_mov_b32 v4, v0
	s_mov_b32 s2, 0
.LBB346_125:                            ; =>This Inner Loop Header: Depth=1
	s_delay_alu instid0(VALU_DEP_1) | instskip(NEXT) | instid1(VALU_DEP_2)
	v_lshlrev_b32_e32 v1, 3, v4
	v_lshlrev_b64_e32 v[15:16], 3, v[4:5]
	v_dual_mov_b32 v5, v3 :: v_dual_mov_b32 v4, v2
	v_cmp_le_u64_e32 vcc_lo, v[9:10], v[2:3]
	ds_load_b64 v[13:14], v1
	v_add_nc_u32_e32 v2, 0x100, v2
	v_add_co_u32 v15, s0, v6, v15
	s_wait_alu 0xf1ff
	v_add_co_ci_u32_e64 v16, null, v7, v16, s0
	s_wait_alu 0xfffe
	s_or_b32 s2, vcc_lo, s2
	s_wait_dscnt 0x0
	global_store_b64 v[15:16], v[13:14], off
	s_wait_alu 0xfffe
	s_and_not1_b32 exec_lo, exec_lo, s2
	s_cbranch_execnz .LBB346_125
.LBB346_126:
	s_wait_alu 0xfffe
	s_or_b32 exec_lo, exec_lo, s1
	v_cmp_eq_u32_e32 vcc_lo, 0, v0
	s_and_b32 s0, vcc_lo, s12
	s_wait_alu 0xfffe
	s_and_saveexec_b32 s1, s0
	s_cbranch_execz .LBB346_105
.LBB346_127:
	v_add_co_u32 v0, vcc_lo, v11, v9
	s_wait_alu 0xfffd
	v_add_co_ci_u32_e64 v1, null, v12, v10, vcc_lo
	v_mov_b32_e32 v2, 0
	s_delay_alu instid0(VALU_DEP_3) | instskip(SKIP_1) | instid1(VALU_DEP_3)
	v_add_co_u32 v0, vcc_lo, v0, s10
	s_wait_alu 0xfffd
	v_add_co_ci_u32_e64 v1, null, s11, v1, vcc_lo
	global_store_b64 v2, v[0:1], s[8:9]
	s_endpgm
.LBB346_128:
	v_lshlrev_b32_e32 v3, 3, v0
	s_delay_alu instid0(VALU_DEP_1)
	v_add_co_u32 v3, s5, s2, v3
	s_wait_alu 0xf1ff
	v_add_co_ci_u32_e64 v4, null, s3, 0, s5
	flat_load_b64 v[3:4], v[3:4] offset:2048
	s_wait_alu 0xfffe
	s_or_b32 exec_lo, exec_lo, s4
	s_delay_alu instid0(SALU_CYCLE_1)
	s_mov_b32 s4, exec_lo
	v_cmpx_gt_u32_e64 s15, v11
	s_cbranch_execz .LBB346_7
.LBB346_129:
	v_lshlrev_b32_e32 v5, 3, v0
	s_delay_alu instid0(VALU_DEP_1)
	v_add_co_u32 v5, s5, s2, v5
	s_wait_alu 0xf1ff
	v_add_co_ci_u32_e64 v6, null, s3, 0, s5
	flat_load_b64 v[5:6], v[5:6] offset:4096
	s_wait_alu 0xfffe
	s_or_b32 exec_lo, exec_lo, s4
	s_delay_alu instid0(SALU_CYCLE_1)
	s_mov_b32 s4, exec_lo
	v_cmpx_gt_u32_e64 s15, v10
	s_cbranch_execnz .LBB346_8
	s_branch .LBB346_9
	.section	.rodata,"a",@progbits
	.p2align	6, 0x0
	.amdhsa_kernel _ZN7rocprim17ROCPRIM_400000_NS6detail17trampoline_kernelINS0_14default_configENS1_25partition_config_selectorILNS1_17partition_subalgoE6EyNS0_10empty_typeEbEEZZNS1_14partition_implILS5_6ELb0ES3_mN6thrust23THRUST_200600_302600_NS6detail15normal_iteratorINSA_10device_ptrIyEEEEPS6_SG_NS0_5tupleIJSF_S6_EEENSH_IJSG_SG_EEES6_PlJNSB_9not_fun_tINSB_14equal_to_valueIyEEEEEEE10hipError_tPvRmT3_T4_T5_T6_T7_T9_mT8_P12ihipStream_tbDpT10_ENKUlT_T0_E_clISt17integral_constantIbLb0EES18_EEDaS13_S14_EUlS13_E_NS1_11comp_targetILNS1_3genE10ELNS1_11target_archE1200ELNS1_3gpuE4ELNS1_3repE0EEENS1_30default_config_static_selectorELNS0_4arch9wavefront6targetE0EEEvT1_
		.amdhsa_group_segment_fixed_size 8464
		.amdhsa_private_segment_fixed_size 0
		.amdhsa_kernarg_size 120
		.amdhsa_user_sgpr_count 2
		.amdhsa_user_sgpr_dispatch_ptr 0
		.amdhsa_user_sgpr_queue_ptr 0
		.amdhsa_user_sgpr_kernarg_segment_ptr 1
		.amdhsa_user_sgpr_dispatch_id 0
		.amdhsa_user_sgpr_private_segment_size 0
		.amdhsa_wavefront_size32 1
		.amdhsa_uses_dynamic_stack 0
		.amdhsa_enable_private_segment 0
		.amdhsa_system_sgpr_workgroup_id_x 1
		.amdhsa_system_sgpr_workgroup_id_y 0
		.amdhsa_system_sgpr_workgroup_id_z 0
		.amdhsa_system_sgpr_workgroup_info 0
		.amdhsa_system_vgpr_workitem_id 0
		.amdhsa_next_free_vgpr 46
		.amdhsa_next_free_sgpr 22
		.amdhsa_reserve_vcc 1
		.amdhsa_float_round_mode_32 0
		.amdhsa_float_round_mode_16_64 0
		.amdhsa_float_denorm_mode_32 3
		.amdhsa_float_denorm_mode_16_64 3
		.amdhsa_fp16_overflow 0
		.amdhsa_workgroup_processor_mode 1
		.amdhsa_memory_ordered 1
		.amdhsa_forward_progress 1
		.amdhsa_inst_pref_size 50
		.amdhsa_round_robin_scheduling 0
		.amdhsa_exception_fp_ieee_invalid_op 0
		.amdhsa_exception_fp_denorm_src 0
		.amdhsa_exception_fp_ieee_div_zero 0
		.amdhsa_exception_fp_ieee_overflow 0
		.amdhsa_exception_fp_ieee_underflow 0
		.amdhsa_exception_fp_ieee_inexact 0
		.amdhsa_exception_int_div_zero 0
	.end_amdhsa_kernel
	.section	.text._ZN7rocprim17ROCPRIM_400000_NS6detail17trampoline_kernelINS0_14default_configENS1_25partition_config_selectorILNS1_17partition_subalgoE6EyNS0_10empty_typeEbEEZZNS1_14partition_implILS5_6ELb0ES3_mN6thrust23THRUST_200600_302600_NS6detail15normal_iteratorINSA_10device_ptrIyEEEEPS6_SG_NS0_5tupleIJSF_S6_EEENSH_IJSG_SG_EEES6_PlJNSB_9not_fun_tINSB_14equal_to_valueIyEEEEEEE10hipError_tPvRmT3_T4_T5_T6_T7_T9_mT8_P12ihipStream_tbDpT10_ENKUlT_T0_E_clISt17integral_constantIbLb0EES18_EEDaS13_S14_EUlS13_E_NS1_11comp_targetILNS1_3genE10ELNS1_11target_archE1200ELNS1_3gpuE4ELNS1_3repE0EEENS1_30default_config_static_selectorELNS0_4arch9wavefront6targetE0EEEvT1_,"axG",@progbits,_ZN7rocprim17ROCPRIM_400000_NS6detail17trampoline_kernelINS0_14default_configENS1_25partition_config_selectorILNS1_17partition_subalgoE6EyNS0_10empty_typeEbEEZZNS1_14partition_implILS5_6ELb0ES3_mN6thrust23THRUST_200600_302600_NS6detail15normal_iteratorINSA_10device_ptrIyEEEEPS6_SG_NS0_5tupleIJSF_S6_EEENSH_IJSG_SG_EEES6_PlJNSB_9not_fun_tINSB_14equal_to_valueIyEEEEEEE10hipError_tPvRmT3_T4_T5_T6_T7_T9_mT8_P12ihipStream_tbDpT10_ENKUlT_T0_E_clISt17integral_constantIbLb0EES18_EEDaS13_S14_EUlS13_E_NS1_11comp_targetILNS1_3genE10ELNS1_11target_archE1200ELNS1_3gpuE4ELNS1_3repE0EEENS1_30default_config_static_selectorELNS0_4arch9wavefront6targetE0EEEvT1_,comdat
.Lfunc_end346:
	.size	_ZN7rocprim17ROCPRIM_400000_NS6detail17trampoline_kernelINS0_14default_configENS1_25partition_config_selectorILNS1_17partition_subalgoE6EyNS0_10empty_typeEbEEZZNS1_14partition_implILS5_6ELb0ES3_mN6thrust23THRUST_200600_302600_NS6detail15normal_iteratorINSA_10device_ptrIyEEEEPS6_SG_NS0_5tupleIJSF_S6_EEENSH_IJSG_SG_EEES6_PlJNSB_9not_fun_tINSB_14equal_to_valueIyEEEEEEE10hipError_tPvRmT3_T4_T5_T6_T7_T9_mT8_P12ihipStream_tbDpT10_ENKUlT_T0_E_clISt17integral_constantIbLb0EES18_EEDaS13_S14_EUlS13_E_NS1_11comp_targetILNS1_3genE10ELNS1_11target_archE1200ELNS1_3gpuE4ELNS1_3repE0EEENS1_30default_config_static_selectorELNS0_4arch9wavefront6targetE0EEEvT1_, .Lfunc_end346-_ZN7rocprim17ROCPRIM_400000_NS6detail17trampoline_kernelINS0_14default_configENS1_25partition_config_selectorILNS1_17partition_subalgoE6EyNS0_10empty_typeEbEEZZNS1_14partition_implILS5_6ELb0ES3_mN6thrust23THRUST_200600_302600_NS6detail15normal_iteratorINSA_10device_ptrIyEEEEPS6_SG_NS0_5tupleIJSF_S6_EEENSH_IJSG_SG_EEES6_PlJNSB_9not_fun_tINSB_14equal_to_valueIyEEEEEEE10hipError_tPvRmT3_T4_T5_T6_T7_T9_mT8_P12ihipStream_tbDpT10_ENKUlT_T0_E_clISt17integral_constantIbLb0EES18_EEDaS13_S14_EUlS13_E_NS1_11comp_targetILNS1_3genE10ELNS1_11target_archE1200ELNS1_3gpuE4ELNS1_3repE0EEENS1_30default_config_static_selectorELNS0_4arch9wavefront6targetE0EEEvT1_
                                        ; -- End function
	.set _ZN7rocprim17ROCPRIM_400000_NS6detail17trampoline_kernelINS0_14default_configENS1_25partition_config_selectorILNS1_17partition_subalgoE6EyNS0_10empty_typeEbEEZZNS1_14partition_implILS5_6ELb0ES3_mN6thrust23THRUST_200600_302600_NS6detail15normal_iteratorINSA_10device_ptrIyEEEEPS6_SG_NS0_5tupleIJSF_S6_EEENSH_IJSG_SG_EEES6_PlJNSB_9not_fun_tINSB_14equal_to_valueIyEEEEEEE10hipError_tPvRmT3_T4_T5_T6_T7_T9_mT8_P12ihipStream_tbDpT10_ENKUlT_T0_E_clISt17integral_constantIbLb0EES18_EEDaS13_S14_EUlS13_E_NS1_11comp_targetILNS1_3genE10ELNS1_11target_archE1200ELNS1_3gpuE4ELNS1_3repE0EEENS1_30default_config_static_selectorELNS0_4arch9wavefront6targetE0EEEvT1_.num_vgpr, 46
	.set _ZN7rocprim17ROCPRIM_400000_NS6detail17trampoline_kernelINS0_14default_configENS1_25partition_config_selectorILNS1_17partition_subalgoE6EyNS0_10empty_typeEbEEZZNS1_14partition_implILS5_6ELb0ES3_mN6thrust23THRUST_200600_302600_NS6detail15normal_iteratorINSA_10device_ptrIyEEEEPS6_SG_NS0_5tupleIJSF_S6_EEENSH_IJSG_SG_EEES6_PlJNSB_9not_fun_tINSB_14equal_to_valueIyEEEEEEE10hipError_tPvRmT3_T4_T5_T6_T7_T9_mT8_P12ihipStream_tbDpT10_ENKUlT_T0_E_clISt17integral_constantIbLb0EES18_EEDaS13_S14_EUlS13_E_NS1_11comp_targetILNS1_3genE10ELNS1_11target_archE1200ELNS1_3gpuE4ELNS1_3repE0EEENS1_30default_config_static_selectorELNS0_4arch9wavefront6targetE0EEEvT1_.num_agpr, 0
	.set _ZN7rocprim17ROCPRIM_400000_NS6detail17trampoline_kernelINS0_14default_configENS1_25partition_config_selectorILNS1_17partition_subalgoE6EyNS0_10empty_typeEbEEZZNS1_14partition_implILS5_6ELb0ES3_mN6thrust23THRUST_200600_302600_NS6detail15normal_iteratorINSA_10device_ptrIyEEEEPS6_SG_NS0_5tupleIJSF_S6_EEENSH_IJSG_SG_EEES6_PlJNSB_9not_fun_tINSB_14equal_to_valueIyEEEEEEE10hipError_tPvRmT3_T4_T5_T6_T7_T9_mT8_P12ihipStream_tbDpT10_ENKUlT_T0_E_clISt17integral_constantIbLb0EES18_EEDaS13_S14_EUlS13_E_NS1_11comp_targetILNS1_3genE10ELNS1_11target_archE1200ELNS1_3gpuE4ELNS1_3repE0EEENS1_30default_config_static_selectorELNS0_4arch9wavefront6targetE0EEEvT1_.numbered_sgpr, 22
	.set _ZN7rocprim17ROCPRIM_400000_NS6detail17trampoline_kernelINS0_14default_configENS1_25partition_config_selectorILNS1_17partition_subalgoE6EyNS0_10empty_typeEbEEZZNS1_14partition_implILS5_6ELb0ES3_mN6thrust23THRUST_200600_302600_NS6detail15normal_iteratorINSA_10device_ptrIyEEEEPS6_SG_NS0_5tupleIJSF_S6_EEENSH_IJSG_SG_EEES6_PlJNSB_9not_fun_tINSB_14equal_to_valueIyEEEEEEE10hipError_tPvRmT3_T4_T5_T6_T7_T9_mT8_P12ihipStream_tbDpT10_ENKUlT_T0_E_clISt17integral_constantIbLb0EES18_EEDaS13_S14_EUlS13_E_NS1_11comp_targetILNS1_3genE10ELNS1_11target_archE1200ELNS1_3gpuE4ELNS1_3repE0EEENS1_30default_config_static_selectorELNS0_4arch9wavefront6targetE0EEEvT1_.num_named_barrier, 0
	.set _ZN7rocprim17ROCPRIM_400000_NS6detail17trampoline_kernelINS0_14default_configENS1_25partition_config_selectorILNS1_17partition_subalgoE6EyNS0_10empty_typeEbEEZZNS1_14partition_implILS5_6ELb0ES3_mN6thrust23THRUST_200600_302600_NS6detail15normal_iteratorINSA_10device_ptrIyEEEEPS6_SG_NS0_5tupleIJSF_S6_EEENSH_IJSG_SG_EEES6_PlJNSB_9not_fun_tINSB_14equal_to_valueIyEEEEEEE10hipError_tPvRmT3_T4_T5_T6_T7_T9_mT8_P12ihipStream_tbDpT10_ENKUlT_T0_E_clISt17integral_constantIbLb0EES18_EEDaS13_S14_EUlS13_E_NS1_11comp_targetILNS1_3genE10ELNS1_11target_archE1200ELNS1_3gpuE4ELNS1_3repE0EEENS1_30default_config_static_selectorELNS0_4arch9wavefront6targetE0EEEvT1_.private_seg_size, 0
	.set _ZN7rocprim17ROCPRIM_400000_NS6detail17trampoline_kernelINS0_14default_configENS1_25partition_config_selectorILNS1_17partition_subalgoE6EyNS0_10empty_typeEbEEZZNS1_14partition_implILS5_6ELb0ES3_mN6thrust23THRUST_200600_302600_NS6detail15normal_iteratorINSA_10device_ptrIyEEEEPS6_SG_NS0_5tupleIJSF_S6_EEENSH_IJSG_SG_EEES6_PlJNSB_9not_fun_tINSB_14equal_to_valueIyEEEEEEE10hipError_tPvRmT3_T4_T5_T6_T7_T9_mT8_P12ihipStream_tbDpT10_ENKUlT_T0_E_clISt17integral_constantIbLb0EES18_EEDaS13_S14_EUlS13_E_NS1_11comp_targetILNS1_3genE10ELNS1_11target_archE1200ELNS1_3gpuE4ELNS1_3repE0EEENS1_30default_config_static_selectorELNS0_4arch9wavefront6targetE0EEEvT1_.uses_vcc, 1
	.set _ZN7rocprim17ROCPRIM_400000_NS6detail17trampoline_kernelINS0_14default_configENS1_25partition_config_selectorILNS1_17partition_subalgoE6EyNS0_10empty_typeEbEEZZNS1_14partition_implILS5_6ELb0ES3_mN6thrust23THRUST_200600_302600_NS6detail15normal_iteratorINSA_10device_ptrIyEEEEPS6_SG_NS0_5tupleIJSF_S6_EEENSH_IJSG_SG_EEES6_PlJNSB_9not_fun_tINSB_14equal_to_valueIyEEEEEEE10hipError_tPvRmT3_T4_T5_T6_T7_T9_mT8_P12ihipStream_tbDpT10_ENKUlT_T0_E_clISt17integral_constantIbLb0EES18_EEDaS13_S14_EUlS13_E_NS1_11comp_targetILNS1_3genE10ELNS1_11target_archE1200ELNS1_3gpuE4ELNS1_3repE0EEENS1_30default_config_static_selectorELNS0_4arch9wavefront6targetE0EEEvT1_.uses_flat_scratch, 1
	.set _ZN7rocprim17ROCPRIM_400000_NS6detail17trampoline_kernelINS0_14default_configENS1_25partition_config_selectorILNS1_17partition_subalgoE6EyNS0_10empty_typeEbEEZZNS1_14partition_implILS5_6ELb0ES3_mN6thrust23THRUST_200600_302600_NS6detail15normal_iteratorINSA_10device_ptrIyEEEEPS6_SG_NS0_5tupleIJSF_S6_EEENSH_IJSG_SG_EEES6_PlJNSB_9not_fun_tINSB_14equal_to_valueIyEEEEEEE10hipError_tPvRmT3_T4_T5_T6_T7_T9_mT8_P12ihipStream_tbDpT10_ENKUlT_T0_E_clISt17integral_constantIbLb0EES18_EEDaS13_S14_EUlS13_E_NS1_11comp_targetILNS1_3genE10ELNS1_11target_archE1200ELNS1_3gpuE4ELNS1_3repE0EEENS1_30default_config_static_selectorELNS0_4arch9wavefront6targetE0EEEvT1_.has_dyn_sized_stack, 0
	.set _ZN7rocprim17ROCPRIM_400000_NS6detail17trampoline_kernelINS0_14default_configENS1_25partition_config_selectorILNS1_17partition_subalgoE6EyNS0_10empty_typeEbEEZZNS1_14partition_implILS5_6ELb0ES3_mN6thrust23THRUST_200600_302600_NS6detail15normal_iteratorINSA_10device_ptrIyEEEEPS6_SG_NS0_5tupleIJSF_S6_EEENSH_IJSG_SG_EEES6_PlJNSB_9not_fun_tINSB_14equal_to_valueIyEEEEEEE10hipError_tPvRmT3_T4_T5_T6_T7_T9_mT8_P12ihipStream_tbDpT10_ENKUlT_T0_E_clISt17integral_constantIbLb0EES18_EEDaS13_S14_EUlS13_E_NS1_11comp_targetILNS1_3genE10ELNS1_11target_archE1200ELNS1_3gpuE4ELNS1_3repE0EEENS1_30default_config_static_selectorELNS0_4arch9wavefront6targetE0EEEvT1_.has_recursion, 0
	.set _ZN7rocprim17ROCPRIM_400000_NS6detail17trampoline_kernelINS0_14default_configENS1_25partition_config_selectorILNS1_17partition_subalgoE6EyNS0_10empty_typeEbEEZZNS1_14partition_implILS5_6ELb0ES3_mN6thrust23THRUST_200600_302600_NS6detail15normal_iteratorINSA_10device_ptrIyEEEEPS6_SG_NS0_5tupleIJSF_S6_EEENSH_IJSG_SG_EEES6_PlJNSB_9not_fun_tINSB_14equal_to_valueIyEEEEEEE10hipError_tPvRmT3_T4_T5_T6_T7_T9_mT8_P12ihipStream_tbDpT10_ENKUlT_T0_E_clISt17integral_constantIbLb0EES18_EEDaS13_S14_EUlS13_E_NS1_11comp_targetILNS1_3genE10ELNS1_11target_archE1200ELNS1_3gpuE4ELNS1_3repE0EEENS1_30default_config_static_selectorELNS0_4arch9wavefront6targetE0EEEvT1_.has_indirect_call, 0
	.section	.AMDGPU.csdata,"",@progbits
; Kernel info:
; codeLenInByte = 6392
; TotalNumSgprs: 24
; NumVgprs: 46
; ScratchSize: 0
; MemoryBound: 0
; FloatMode: 240
; IeeeMode: 1
; LDSByteSize: 8464 bytes/workgroup (compile time only)
; SGPRBlocks: 0
; VGPRBlocks: 5
; NumSGPRsForWavesPerEU: 24
; NumVGPRsForWavesPerEU: 46
; Occupancy: 16
; WaveLimiterHint : 1
; COMPUTE_PGM_RSRC2:SCRATCH_EN: 0
; COMPUTE_PGM_RSRC2:USER_SGPR: 2
; COMPUTE_PGM_RSRC2:TRAP_HANDLER: 0
; COMPUTE_PGM_RSRC2:TGID_X_EN: 1
; COMPUTE_PGM_RSRC2:TGID_Y_EN: 0
; COMPUTE_PGM_RSRC2:TGID_Z_EN: 0
; COMPUTE_PGM_RSRC2:TIDIG_COMP_CNT: 0
	.section	.text._ZN7rocprim17ROCPRIM_400000_NS6detail17trampoline_kernelINS0_14default_configENS1_25partition_config_selectorILNS1_17partition_subalgoE6EyNS0_10empty_typeEbEEZZNS1_14partition_implILS5_6ELb0ES3_mN6thrust23THRUST_200600_302600_NS6detail15normal_iteratorINSA_10device_ptrIyEEEEPS6_SG_NS0_5tupleIJSF_S6_EEENSH_IJSG_SG_EEES6_PlJNSB_9not_fun_tINSB_14equal_to_valueIyEEEEEEE10hipError_tPvRmT3_T4_T5_T6_T7_T9_mT8_P12ihipStream_tbDpT10_ENKUlT_T0_E_clISt17integral_constantIbLb0EES18_EEDaS13_S14_EUlS13_E_NS1_11comp_targetILNS1_3genE9ELNS1_11target_archE1100ELNS1_3gpuE3ELNS1_3repE0EEENS1_30default_config_static_selectorELNS0_4arch9wavefront6targetE0EEEvT1_,"axG",@progbits,_ZN7rocprim17ROCPRIM_400000_NS6detail17trampoline_kernelINS0_14default_configENS1_25partition_config_selectorILNS1_17partition_subalgoE6EyNS0_10empty_typeEbEEZZNS1_14partition_implILS5_6ELb0ES3_mN6thrust23THRUST_200600_302600_NS6detail15normal_iteratorINSA_10device_ptrIyEEEEPS6_SG_NS0_5tupleIJSF_S6_EEENSH_IJSG_SG_EEES6_PlJNSB_9not_fun_tINSB_14equal_to_valueIyEEEEEEE10hipError_tPvRmT3_T4_T5_T6_T7_T9_mT8_P12ihipStream_tbDpT10_ENKUlT_T0_E_clISt17integral_constantIbLb0EES18_EEDaS13_S14_EUlS13_E_NS1_11comp_targetILNS1_3genE9ELNS1_11target_archE1100ELNS1_3gpuE3ELNS1_3repE0EEENS1_30default_config_static_selectorELNS0_4arch9wavefront6targetE0EEEvT1_,comdat
	.protected	_ZN7rocprim17ROCPRIM_400000_NS6detail17trampoline_kernelINS0_14default_configENS1_25partition_config_selectorILNS1_17partition_subalgoE6EyNS0_10empty_typeEbEEZZNS1_14partition_implILS5_6ELb0ES3_mN6thrust23THRUST_200600_302600_NS6detail15normal_iteratorINSA_10device_ptrIyEEEEPS6_SG_NS0_5tupleIJSF_S6_EEENSH_IJSG_SG_EEES6_PlJNSB_9not_fun_tINSB_14equal_to_valueIyEEEEEEE10hipError_tPvRmT3_T4_T5_T6_T7_T9_mT8_P12ihipStream_tbDpT10_ENKUlT_T0_E_clISt17integral_constantIbLb0EES18_EEDaS13_S14_EUlS13_E_NS1_11comp_targetILNS1_3genE9ELNS1_11target_archE1100ELNS1_3gpuE3ELNS1_3repE0EEENS1_30default_config_static_selectorELNS0_4arch9wavefront6targetE0EEEvT1_ ; -- Begin function _ZN7rocprim17ROCPRIM_400000_NS6detail17trampoline_kernelINS0_14default_configENS1_25partition_config_selectorILNS1_17partition_subalgoE6EyNS0_10empty_typeEbEEZZNS1_14partition_implILS5_6ELb0ES3_mN6thrust23THRUST_200600_302600_NS6detail15normal_iteratorINSA_10device_ptrIyEEEEPS6_SG_NS0_5tupleIJSF_S6_EEENSH_IJSG_SG_EEES6_PlJNSB_9not_fun_tINSB_14equal_to_valueIyEEEEEEE10hipError_tPvRmT3_T4_T5_T6_T7_T9_mT8_P12ihipStream_tbDpT10_ENKUlT_T0_E_clISt17integral_constantIbLb0EES18_EEDaS13_S14_EUlS13_E_NS1_11comp_targetILNS1_3genE9ELNS1_11target_archE1100ELNS1_3gpuE3ELNS1_3repE0EEENS1_30default_config_static_selectorELNS0_4arch9wavefront6targetE0EEEvT1_
	.globl	_ZN7rocprim17ROCPRIM_400000_NS6detail17trampoline_kernelINS0_14default_configENS1_25partition_config_selectorILNS1_17partition_subalgoE6EyNS0_10empty_typeEbEEZZNS1_14partition_implILS5_6ELb0ES3_mN6thrust23THRUST_200600_302600_NS6detail15normal_iteratorINSA_10device_ptrIyEEEEPS6_SG_NS0_5tupleIJSF_S6_EEENSH_IJSG_SG_EEES6_PlJNSB_9not_fun_tINSB_14equal_to_valueIyEEEEEEE10hipError_tPvRmT3_T4_T5_T6_T7_T9_mT8_P12ihipStream_tbDpT10_ENKUlT_T0_E_clISt17integral_constantIbLb0EES18_EEDaS13_S14_EUlS13_E_NS1_11comp_targetILNS1_3genE9ELNS1_11target_archE1100ELNS1_3gpuE3ELNS1_3repE0EEENS1_30default_config_static_selectorELNS0_4arch9wavefront6targetE0EEEvT1_
	.p2align	8
	.type	_ZN7rocprim17ROCPRIM_400000_NS6detail17trampoline_kernelINS0_14default_configENS1_25partition_config_selectorILNS1_17partition_subalgoE6EyNS0_10empty_typeEbEEZZNS1_14partition_implILS5_6ELb0ES3_mN6thrust23THRUST_200600_302600_NS6detail15normal_iteratorINSA_10device_ptrIyEEEEPS6_SG_NS0_5tupleIJSF_S6_EEENSH_IJSG_SG_EEES6_PlJNSB_9not_fun_tINSB_14equal_to_valueIyEEEEEEE10hipError_tPvRmT3_T4_T5_T6_T7_T9_mT8_P12ihipStream_tbDpT10_ENKUlT_T0_E_clISt17integral_constantIbLb0EES18_EEDaS13_S14_EUlS13_E_NS1_11comp_targetILNS1_3genE9ELNS1_11target_archE1100ELNS1_3gpuE3ELNS1_3repE0EEENS1_30default_config_static_selectorELNS0_4arch9wavefront6targetE0EEEvT1_,@function
_ZN7rocprim17ROCPRIM_400000_NS6detail17trampoline_kernelINS0_14default_configENS1_25partition_config_selectorILNS1_17partition_subalgoE6EyNS0_10empty_typeEbEEZZNS1_14partition_implILS5_6ELb0ES3_mN6thrust23THRUST_200600_302600_NS6detail15normal_iteratorINSA_10device_ptrIyEEEEPS6_SG_NS0_5tupleIJSF_S6_EEENSH_IJSG_SG_EEES6_PlJNSB_9not_fun_tINSB_14equal_to_valueIyEEEEEEE10hipError_tPvRmT3_T4_T5_T6_T7_T9_mT8_P12ihipStream_tbDpT10_ENKUlT_T0_E_clISt17integral_constantIbLb0EES18_EEDaS13_S14_EUlS13_E_NS1_11comp_targetILNS1_3genE9ELNS1_11target_archE1100ELNS1_3gpuE3ELNS1_3repE0EEENS1_30default_config_static_selectorELNS0_4arch9wavefront6targetE0EEEvT1_: ; @_ZN7rocprim17ROCPRIM_400000_NS6detail17trampoline_kernelINS0_14default_configENS1_25partition_config_selectorILNS1_17partition_subalgoE6EyNS0_10empty_typeEbEEZZNS1_14partition_implILS5_6ELb0ES3_mN6thrust23THRUST_200600_302600_NS6detail15normal_iteratorINSA_10device_ptrIyEEEEPS6_SG_NS0_5tupleIJSF_S6_EEENSH_IJSG_SG_EEES6_PlJNSB_9not_fun_tINSB_14equal_to_valueIyEEEEEEE10hipError_tPvRmT3_T4_T5_T6_T7_T9_mT8_P12ihipStream_tbDpT10_ENKUlT_T0_E_clISt17integral_constantIbLb0EES18_EEDaS13_S14_EUlS13_E_NS1_11comp_targetILNS1_3genE9ELNS1_11target_archE1100ELNS1_3gpuE3ELNS1_3repE0EEENS1_30default_config_static_selectorELNS0_4arch9wavefront6targetE0EEEvT1_
; %bb.0:
	.section	.rodata,"a",@progbits
	.p2align	6, 0x0
	.amdhsa_kernel _ZN7rocprim17ROCPRIM_400000_NS6detail17trampoline_kernelINS0_14default_configENS1_25partition_config_selectorILNS1_17partition_subalgoE6EyNS0_10empty_typeEbEEZZNS1_14partition_implILS5_6ELb0ES3_mN6thrust23THRUST_200600_302600_NS6detail15normal_iteratorINSA_10device_ptrIyEEEEPS6_SG_NS0_5tupleIJSF_S6_EEENSH_IJSG_SG_EEES6_PlJNSB_9not_fun_tINSB_14equal_to_valueIyEEEEEEE10hipError_tPvRmT3_T4_T5_T6_T7_T9_mT8_P12ihipStream_tbDpT10_ENKUlT_T0_E_clISt17integral_constantIbLb0EES18_EEDaS13_S14_EUlS13_E_NS1_11comp_targetILNS1_3genE9ELNS1_11target_archE1100ELNS1_3gpuE3ELNS1_3repE0EEENS1_30default_config_static_selectorELNS0_4arch9wavefront6targetE0EEEvT1_
		.amdhsa_group_segment_fixed_size 0
		.amdhsa_private_segment_fixed_size 0
		.amdhsa_kernarg_size 120
		.amdhsa_user_sgpr_count 2
		.amdhsa_user_sgpr_dispatch_ptr 0
		.amdhsa_user_sgpr_queue_ptr 0
		.amdhsa_user_sgpr_kernarg_segment_ptr 1
		.amdhsa_user_sgpr_dispatch_id 0
		.amdhsa_user_sgpr_private_segment_size 0
		.amdhsa_wavefront_size32 1
		.amdhsa_uses_dynamic_stack 0
		.amdhsa_enable_private_segment 0
		.amdhsa_system_sgpr_workgroup_id_x 1
		.amdhsa_system_sgpr_workgroup_id_y 0
		.amdhsa_system_sgpr_workgroup_id_z 0
		.amdhsa_system_sgpr_workgroup_info 0
		.amdhsa_system_vgpr_workitem_id 0
		.amdhsa_next_free_vgpr 1
		.amdhsa_next_free_sgpr 1
		.amdhsa_reserve_vcc 0
		.amdhsa_float_round_mode_32 0
		.amdhsa_float_round_mode_16_64 0
		.amdhsa_float_denorm_mode_32 3
		.amdhsa_float_denorm_mode_16_64 3
		.amdhsa_fp16_overflow 0
		.amdhsa_workgroup_processor_mode 1
		.amdhsa_memory_ordered 1
		.amdhsa_forward_progress 1
		.amdhsa_inst_pref_size 0
		.amdhsa_round_robin_scheduling 0
		.amdhsa_exception_fp_ieee_invalid_op 0
		.amdhsa_exception_fp_denorm_src 0
		.amdhsa_exception_fp_ieee_div_zero 0
		.amdhsa_exception_fp_ieee_overflow 0
		.amdhsa_exception_fp_ieee_underflow 0
		.amdhsa_exception_fp_ieee_inexact 0
		.amdhsa_exception_int_div_zero 0
	.end_amdhsa_kernel
	.section	.text._ZN7rocprim17ROCPRIM_400000_NS6detail17trampoline_kernelINS0_14default_configENS1_25partition_config_selectorILNS1_17partition_subalgoE6EyNS0_10empty_typeEbEEZZNS1_14partition_implILS5_6ELb0ES3_mN6thrust23THRUST_200600_302600_NS6detail15normal_iteratorINSA_10device_ptrIyEEEEPS6_SG_NS0_5tupleIJSF_S6_EEENSH_IJSG_SG_EEES6_PlJNSB_9not_fun_tINSB_14equal_to_valueIyEEEEEEE10hipError_tPvRmT3_T4_T5_T6_T7_T9_mT8_P12ihipStream_tbDpT10_ENKUlT_T0_E_clISt17integral_constantIbLb0EES18_EEDaS13_S14_EUlS13_E_NS1_11comp_targetILNS1_3genE9ELNS1_11target_archE1100ELNS1_3gpuE3ELNS1_3repE0EEENS1_30default_config_static_selectorELNS0_4arch9wavefront6targetE0EEEvT1_,"axG",@progbits,_ZN7rocprim17ROCPRIM_400000_NS6detail17trampoline_kernelINS0_14default_configENS1_25partition_config_selectorILNS1_17partition_subalgoE6EyNS0_10empty_typeEbEEZZNS1_14partition_implILS5_6ELb0ES3_mN6thrust23THRUST_200600_302600_NS6detail15normal_iteratorINSA_10device_ptrIyEEEEPS6_SG_NS0_5tupleIJSF_S6_EEENSH_IJSG_SG_EEES6_PlJNSB_9not_fun_tINSB_14equal_to_valueIyEEEEEEE10hipError_tPvRmT3_T4_T5_T6_T7_T9_mT8_P12ihipStream_tbDpT10_ENKUlT_T0_E_clISt17integral_constantIbLb0EES18_EEDaS13_S14_EUlS13_E_NS1_11comp_targetILNS1_3genE9ELNS1_11target_archE1100ELNS1_3gpuE3ELNS1_3repE0EEENS1_30default_config_static_selectorELNS0_4arch9wavefront6targetE0EEEvT1_,comdat
.Lfunc_end347:
	.size	_ZN7rocprim17ROCPRIM_400000_NS6detail17trampoline_kernelINS0_14default_configENS1_25partition_config_selectorILNS1_17partition_subalgoE6EyNS0_10empty_typeEbEEZZNS1_14partition_implILS5_6ELb0ES3_mN6thrust23THRUST_200600_302600_NS6detail15normal_iteratorINSA_10device_ptrIyEEEEPS6_SG_NS0_5tupleIJSF_S6_EEENSH_IJSG_SG_EEES6_PlJNSB_9not_fun_tINSB_14equal_to_valueIyEEEEEEE10hipError_tPvRmT3_T4_T5_T6_T7_T9_mT8_P12ihipStream_tbDpT10_ENKUlT_T0_E_clISt17integral_constantIbLb0EES18_EEDaS13_S14_EUlS13_E_NS1_11comp_targetILNS1_3genE9ELNS1_11target_archE1100ELNS1_3gpuE3ELNS1_3repE0EEENS1_30default_config_static_selectorELNS0_4arch9wavefront6targetE0EEEvT1_, .Lfunc_end347-_ZN7rocprim17ROCPRIM_400000_NS6detail17trampoline_kernelINS0_14default_configENS1_25partition_config_selectorILNS1_17partition_subalgoE6EyNS0_10empty_typeEbEEZZNS1_14partition_implILS5_6ELb0ES3_mN6thrust23THRUST_200600_302600_NS6detail15normal_iteratorINSA_10device_ptrIyEEEEPS6_SG_NS0_5tupleIJSF_S6_EEENSH_IJSG_SG_EEES6_PlJNSB_9not_fun_tINSB_14equal_to_valueIyEEEEEEE10hipError_tPvRmT3_T4_T5_T6_T7_T9_mT8_P12ihipStream_tbDpT10_ENKUlT_T0_E_clISt17integral_constantIbLb0EES18_EEDaS13_S14_EUlS13_E_NS1_11comp_targetILNS1_3genE9ELNS1_11target_archE1100ELNS1_3gpuE3ELNS1_3repE0EEENS1_30default_config_static_selectorELNS0_4arch9wavefront6targetE0EEEvT1_
                                        ; -- End function
	.set _ZN7rocprim17ROCPRIM_400000_NS6detail17trampoline_kernelINS0_14default_configENS1_25partition_config_selectorILNS1_17partition_subalgoE6EyNS0_10empty_typeEbEEZZNS1_14partition_implILS5_6ELb0ES3_mN6thrust23THRUST_200600_302600_NS6detail15normal_iteratorINSA_10device_ptrIyEEEEPS6_SG_NS0_5tupleIJSF_S6_EEENSH_IJSG_SG_EEES6_PlJNSB_9not_fun_tINSB_14equal_to_valueIyEEEEEEE10hipError_tPvRmT3_T4_T5_T6_T7_T9_mT8_P12ihipStream_tbDpT10_ENKUlT_T0_E_clISt17integral_constantIbLb0EES18_EEDaS13_S14_EUlS13_E_NS1_11comp_targetILNS1_3genE9ELNS1_11target_archE1100ELNS1_3gpuE3ELNS1_3repE0EEENS1_30default_config_static_selectorELNS0_4arch9wavefront6targetE0EEEvT1_.num_vgpr, 0
	.set _ZN7rocprim17ROCPRIM_400000_NS6detail17trampoline_kernelINS0_14default_configENS1_25partition_config_selectorILNS1_17partition_subalgoE6EyNS0_10empty_typeEbEEZZNS1_14partition_implILS5_6ELb0ES3_mN6thrust23THRUST_200600_302600_NS6detail15normal_iteratorINSA_10device_ptrIyEEEEPS6_SG_NS0_5tupleIJSF_S6_EEENSH_IJSG_SG_EEES6_PlJNSB_9not_fun_tINSB_14equal_to_valueIyEEEEEEE10hipError_tPvRmT3_T4_T5_T6_T7_T9_mT8_P12ihipStream_tbDpT10_ENKUlT_T0_E_clISt17integral_constantIbLb0EES18_EEDaS13_S14_EUlS13_E_NS1_11comp_targetILNS1_3genE9ELNS1_11target_archE1100ELNS1_3gpuE3ELNS1_3repE0EEENS1_30default_config_static_selectorELNS0_4arch9wavefront6targetE0EEEvT1_.num_agpr, 0
	.set _ZN7rocprim17ROCPRIM_400000_NS6detail17trampoline_kernelINS0_14default_configENS1_25partition_config_selectorILNS1_17partition_subalgoE6EyNS0_10empty_typeEbEEZZNS1_14partition_implILS5_6ELb0ES3_mN6thrust23THRUST_200600_302600_NS6detail15normal_iteratorINSA_10device_ptrIyEEEEPS6_SG_NS0_5tupleIJSF_S6_EEENSH_IJSG_SG_EEES6_PlJNSB_9not_fun_tINSB_14equal_to_valueIyEEEEEEE10hipError_tPvRmT3_T4_T5_T6_T7_T9_mT8_P12ihipStream_tbDpT10_ENKUlT_T0_E_clISt17integral_constantIbLb0EES18_EEDaS13_S14_EUlS13_E_NS1_11comp_targetILNS1_3genE9ELNS1_11target_archE1100ELNS1_3gpuE3ELNS1_3repE0EEENS1_30default_config_static_selectorELNS0_4arch9wavefront6targetE0EEEvT1_.numbered_sgpr, 0
	.set _ZN7rocprim17ROCPRIM_400000_NS6detail17trampoline_kernelINS0_14default_configENS1_25partition_config_selectorILNS1_17partition_subalgoE6EyNS0_10empty_typeEbEEZZNS1_14partition_implILS5_6ELb0ES3_mN6thrust23THRUST_200600_302600_NS6detail15normal_iteratorINSA_10device_ptrIyEEEEPS6_SG_NS0_5tupleIJSF_S6_EEENSH_IJSG_SG_EEES6_PlJNSB_9not_fun_tINSB_14equal_to_valueIyEEEEEEE10hipError_tPvRmT3_T4_T5_T6_T7_T9_mT8_P12ihipStream_tbDpT10_ENKUlT_T0_E_clISt17integral_constantIbLb0EES18_EEDaS13_S14_EUlS13_E_NS1_11comp_targetILNS1_3genE9ELNS1_11target_archE1100ELNS1_3gpuE3ELNS1_3repE0EEENS1_30default_config_static_selectorELNS0_4arch9wavefront6targetE0EEEvT1_.num_named_barrier, 0
	.set _ZN7rocprim17ROCPRIM_400000_NS6detail17trampoline_kernelINS0_14default_configENS1_25partition_config_selectorILNS1_17partition_subalgoE6EyNS0_10empty_typeEbEEZZNS1_14partition_implILS5_6ELb0ES3_mN6thrust23THRUST_200600_302600_NS6detail15normal_iteratorINSA_10device_ptrIyEEEEPS6_SG_NS0_5tupleIJSF_S6_EEENSH_IJSG_SG_EEES6_PlJNSB_9not_fun_tINSB_14equal_to_valueIyEEEEEEE10hipError_tPvRmT3_T4_T5_T6_T7_T9_mT8_P12ihipStream_tbDpT10_ENKUlT_T0_E_clISt17integral_constantIbLb0EES18_EEDaS13_S14_EUlS13_E_NS1_11comp_targetILNS1_3genE9ELNS1_11target_archE1100ELNS1_3gpuE3ELNS1_3repE0EEENS1_30default_config_static_selectorELNS0_4arch9wavefront6targetE0EEEvT1_.private_seg_size, 0
	.set _ZN7rocprim17ROCPRIM_400000_NS6detail17trampoline_kernelINS0_14default_configENS1_25partition_config_selectorILNS1_17partition_subalgoE6EyNS0_10empty_typeEbEEZZNS1_14partition_implILS5_6ELb0ES3_mN6thrust23THRUST_200600_302600_NS6detail15normal_iteratorINSA_10device_ptrIyEEEEPS6_SG_NS0_5tupleIJSF_S6_EEENSH_IJSG_SG_EEES6_PlJNSB_9not_fun_tINSB_14equal_to_valueIyEEEEEEE10hipError_tPvRmT3_T4_T5_T6_T7_T9_mT8_P12ihipStream_tbDpT10_ENKUlT_T0_E_clISt17integral_constantIbLb0EES18_EEDaS13_S14_EUlS13_E_NS1_11comp_targetILNS1_3genE9ELNS1_11target_archE1100ELNS1_3gpuE3ELNS1_3repE0EEENS1_30default_config_static_selectorELNS0_4arch9wavefront6targetE0EEEvT1_.uses_vcc, 0
	.set _ZN7rocprim17ROCPRIM_400000_NS6detail17trampoline_kernelINS0_14default_configENS1_25partition_config_selectorILNS1_17partition_subalgoE6EyNS0_10empty_typeEbEEZZNS1_14partition_implILS5_6ELb0ES3_mN6thrust23THRUST_200600_302600_NS6detail15normal_iteratorINSA_10device_ptrIyEEEEPS6_SG_NS0_5tupleIJSF_S6_EEENSH_IJSG_SG_EEES6_PlJNSB_9not_fun_tINSB_14equal_to_valueIyEEEEEEE10hipError_tPvRmT3_T4_T5_T6_T7_T9_mT8_P12ihipStream_tbDpT10_ENKUlT_T0_E_clISt17integral_constantIbLb0EES18_EEDaS13_S14_EUlS13_E_NS1_11comp_targetILNS1_3genE9ELNS1_11target_archE1100ELNS1_3gpuE3ELNS1_3repE0EEENS1_30default_config_static_selectorELNS0_4arch9wavefront6targetE0EEEvT1_.uses_flat_scratch, 0
	.set _ZN7rocprim17ROCPRIM_400000_NS6detail17trampoline_kernelINS0_14default_configENS1_25partition_config_selectorILNS1_17partition_subalgoE6EyNS0_10empty_typeEbEEZZNS1_14partition_implILS5_6ELb0ES3_mN6thrust23THRUST_200600_302600_NS6detail15normal_iteratorINSA_10device_ptrIyEEEEPS6_SG_NS0_5tupleIJSF_S6_EEENSH_IJSG_SG_EEES6_PlJNSB_9not_fun_tINSB_14equal_to_valueIyEEEEEEE10hipError_tPvRmT3_T4_T5_T6_T7_T9_mT8_P12ihipStream_tbDpT10_ENKUlT_T0_E_clISt17integral_constantIbLb0EES18_EEDaS13_S14_EUlS13_E_NS1_11comp_targetILNS1_3genE9ELNS1_11target_archE1100ELNS1_3gpuE3ELNS1_3repE0EEENS1_30default_config_static_selectorELNS0_4arch9wavefront6targetE0EEEvT1_.has_dyn_sized_stack, 0
	.set _ZN7rocprim17ROCPRIM_400000_NS6detail17trampoline_kernelINS0_14default_configENS1_25partition_config_selectorILNS1_17partition_subalgoE6EyNS0_10empty_typeEbEEZZNS1_14partition_implILS5_6ELb0ES3_mN6thrust23THRUST_200600_302600_NS6detail15normal_iteratorINSA_10device_ptrIyEEEEPS6_SG_NS0_5tupleIJSF_S6_EEENSH_IJSG_SG_EEES6_PlJNSB_9not_fun_tINSB_14equal_to_valueIyEEEEEEE10hipError_tPvRmT3_T4_T5_T6_T7_T9_mT8_P12ihipStream_tbDpT10_ENKUlT_T0_E_clISt17integral_constantIbLb0EES18_EEDaS13_S14_EUlS13_E_NS1_11comp_targetILNS1_3genE9ELNS1_11target_archE1100ELNS1_3gpuE3ELNS1_3repE0EEENS1_30default_config_static_selectorELNS0_4arch9wavefront6targetE0EEEvT1_.has_recursion, 0
	.set _ZN7rocprim17ROCPRIM_400000_NS6detail17trampoline_kernelINS0_14default_configENS1_25partition_config_selectorILNS1_17partition_subalgoE6EyNS0_10empty_typeEbEEZZNS1_14partition_implILS5_6ELb0ES3_mN6thrust23THRUST_200600_302600_NS6detail15normal_iteratorINSA_10device_ptrIyEEEEPS6_SG_NS0_5tupleIJSF_S6_EEENSH_IJSG_SG_EEES6_PlJNSB_9not_fun_tINSB_14equal_to_valueIyEEEEEEE10hipError_tPvRmT3_T4_T5_T6_T7_T9_mT8_P12ihipStream_tbDpT10_ENKUlT_T0_E_clISt17integral_constantIbLb0EES18_EEDaS13_S14_EUlS13_E_NS1_11comp_targetILNS1_3genE9ELNS1_11target_archE1100ELNS1_3gpuE3ELNS1_3repE0EEENS1_30default_config_static_selectorELNS0_4arch9wavefront6targetE0EEEvT1_.has_indirect_call, 0
	.section	.AMDGPU.csdata,"",@progbits
; Kernel info:
; codeLenInByte = 0
; TotalNumSgprs: 0
; NumVgprs: 0
; ScratchSize: 0
; MemoryBound: 0
; FloatMode: 240
; IeeeMode: 1
; LDSByteSize: 0 bytes/workgroup (compile time only)
; SGPRBlocks: 0
; VGPRBlocks: 0
; NumSGPRsForWavesPerEU: 1
; NumVGPRsForWavesPerEU: 1
; Occupancy: 16
; WaveLimiterHint : 0
; COMPUTE_PGM_RSRC2:SCRATCH_EN: 0
; COMPUTE_PGM_RSRC2:USER_SGPR: 2
; COMPUTE_PGM_RSRC2:TRAP_HANDLER: 0
; COMPUTE_PGM_RSRC2:TGID_X_EN: 1
; COMPUTE_PGM_RSRC2:TGID_Y_EN: 0
; COMPUTE_PGM_RSRC2:TGID_Z_EN: 0
; COMPUTE_PGM_RSRC2:TIDIG_COMP_CNT: 0
	.section	.text._ZN7rocprim17ROCPRIM_400000_NS6detail17trampoline_kernelINS0_14default_configENS1_25partition_config_selectorILNS1_17partition_subalgoE6EyNS0_10empty_typeEbEEZZNS1_14partition_implILS5_6ELb0ES3_mN6thrust23THRUST_200600_302600_NS6detail15normal_iteratorINSA_10device_ptrIyEEEEPS6_SG_NS0_5tupleIJSF_S6_EEENSH_IJSG_SG_EEES6_PlJNSB_9not_fun_tINSB_14equal_to_valueIyEEEEEEE10hipError_tPvRmT3_T4_T5_T6_T7_T9_mT8_P12ihipStream_tbDpT10_ENKUlT_T0_E_clISt17integral_constantIbLb0EES18_EEDaS13_S14_EUlS13_E_NS1_11comp_targetILNS1_3genE8ELNS1_11target_archE1030ELNS1_3gpuE2ELNS1_3repE0EEENS1_30default_config_static_selectorELNS0_4arch9wavefront6targetE0EEEvT1_,"axG",@progbits,_ZN7rocprim17ROCPRIM_400000_NS6detail17trampoline_kernelINS0_14default_configENS1_25partition_config_selectorILNS1_17partition_subalgoE6EyNS0_10empty_typeEbEEZZNS1_14partition_implILS5_6ELb0ES3_mN6thrust23THRUST_200600_302600_NS6detail15normal_iteratorINSA_10device_ptrIyEEEEPS6_SG_NS0_5tupleIJSF_S6_EEENSH_IJSG_SG_EEES6_PlJNSB_9not_fun_tINSB_14equal_to_valueIyEEEEEEE10hipError_tPvRmT3_T4_T5_T6_T7_T9_mT8_P12ihipStream_tbDpT10_ENKUlT_T0_E_clISt17integral_constantIbLb0EES18_EEDaS13_S14_EUlS13_E_NS1_11comp_targetILNS1_3genE8ELNS1_11target_archE1030ELNS1_3gpuE2ELNS1_3repE0EEENS1_30default_config_static_selectorELNS0_4arch9wavefront6targetE0EEEvT1_,comdat
	.protected	_ZN7rocprim17ROCPRIM_400000_NS6detail17trampoline_kernelINS0_14default_configENS1_25partition_config_selectorILNS1_17partition_subalgoE6EyNS0_10empty_typeEbEEZZNS1_14partition_implILS5_6ELb0ES3_mN6thrust23THRUST_200600_302600_NS6detail15normal_iteratorINSA_10device_ptrIyEEEEPS6_SG_NS0_5tupleIJSF_S6_EEENSH_IJSG_SG_EEES6_PlJNSB_9not_fun_tINSB_14equal_to_valueIyEEEEEEE10hipError_tPvRmT3_T4_T5_T6_T7_T9_mT8_P12ihipStream_tbDpT10_ENKUlT_T0_E_clISt17integral_constantIbLb0EES18_EEDaS13_S14_EUlS13_E_NS1_11comp_targetILNS1_3genE8ELNS1_11target_archE1030ELNS1_3gpuE2ELNS1_3repE0EEENS1_30default_config_static_selectorELNS0_4arch9wavefront6targetE0EEEvT1_ ; -- Begin function _ZN7rocprim17ROCPRIM_400000_NS6detail17trampoline_kernelINS0_14default_configENS1_25partition_config_selectorILNS1_17partition_subalgoE6EyNS0_10empty_typeEbEEZZNS1_14partition_implILS5_6ELb0ES3_mN6thrust23THRUST_200600_302600_NS6detail15normal_iteratorINSA_10device_ptrIyEEEEPS6_SG_NS0_5tupleIJSF_S6_EEENSH_IJSG_SG_EEES6_PlJNSB_9not_fun_tINSB_14equal_to_valueIyEEEEEEE10hipError_tPvRmT3_T4_T5_T6_T7_T9_mT8_P12ihipStream_tbDpT10_ENKUlT_T0_E_clISt17integral_constantIbLb0EES18_EEDaS13_S14_EUlS13_E_NS1_11comp_targetILNS1_3genE8ELNS1_11target_archE1030ELNS1_3gpuE2ELNS1_3repE0EEENS1_30default_config_static_selectorELNS0_4arch9wavefront6targetE0EEEvT1_
	.globl	_ZN7rocprim17ROCPRIM_400000_NS6detail17trampoline_kernelINS0_14default_configENS1_25partition_config_selectorILNS1_17partition_subalgoE6EyNS0_10empty_typeEbEEZZNS1_14partition_implILS5_6ELb0ES3_mN6thrust23THRUST_200600_302600_NS6detail15normal_iteratorINSA_10device_ptrIyEEEEPS6_SG_NS0_5tupleIJSF_S6_EEENSH_IJSG_SG_EEES6_PlJNSB_9not_fun_tINSB_14equal_to_valueIyEEEEEEE10hipError_tPvRmT3_T4_T5_T6_T7_T9_mT8_P12ihipStream_tbDpT10_ENKUlT_T0_E_clISt17integral_constantIbLb0EES18_EEDaS13_S14_EUlS13_E_NS1_11comp_targetILNS1_3genE8ELNS1_11target_archE1030ELNS1_3gpuE2ELNS1_3repE0EEENS1_30default_config_static_selectorELNS0_4arch9wavefront6targetE0EEEvT1_
	.p2align	8
	.type	_ZN7rocprim17ROCPRIM_400000_NS6detail17trampoline_kernelINS0_14default_configENS1_25partition_config_selectorILNS1_17partition_subalgoE6EyNS0_10empty_typeEbEEZZNS1_14partition_implILS5_6ELb0ES3_mN6thrust23THRUST_200600_302600_NS6detail15normal_iteratorINSA_10device_ptrIyEEEEPS6_SG_NS0_5tupleIJSF_S6_EEENSH_IJSG_SG_EEES6_PlJNSB_9not_fun_tINSB_14equal_to_valueIyEEEEEEE10hipError_tPvRmT3_T4_T5_T6_T7_T9_mT8_P12ihipStream_tbDpT10_ENKUlT_T0_E_clISt17integral_constantIbLb0EES18_EEDaS13_S14_EUlS13_E_NS1_11comp_targetILNS1_3genE8ELNS1_11target_archE1030ELNS1_3gpuE2ELNS1_3repE0EEENS1_30default_config_static_selectorELNS0_4arch9wavefront6targetE0EEEvT1_,@function
_ZN7rocprim17ROCPRIM_400000_NS6detail17trampoline_kernelINS0_14default_configENS1_25partition_config_selectorILNS1_17partition_subalgoE6EyNS0_10empty_typeEbEEZZNS1_14partition_implILS5_6ELb0ES3_mN6thrust23THRUST_200600_302600_NS6detail15normal_iteratorINSA_10device_ptrIyEEEEPS6_SG_NS0_5tupleIJSF_S6_EEENSH_IJSG_SG_EEES6_PlJNSB_9not_fun_tINSB_14equal_to_valueIyEEEEEEE10hipError_tPvRmT3_T4_T5_T6_T7_T9_mT8_P12ihipStream_tbDpT10_ENKUlT_T0_E_clISt17integral_constantIbLb0EES18_EEDaS13_S14_EUlS13_E_NS1_11comp_targetILNS1_3genE8ELNS1_11target_archE1030ELNS1_3gpuE2ELNS1_3repE0EEENS1_30default_config_static_selectorELNS0_4arch9wavefront6targetE0EEEvT1_: ; @_ZN7rocprim17ROCPRIM_400000_NS6detail17trampoline_kernelINS0_14default_configENS1_25partition_config_selectorILNS1_17partition_subalgoE6EyNS0_10empty_typeEbEEZZNS1_14partition_implILS5_6ELb0ES3_mN6thrust23THRUST_200600_302600_NS6detail15normal_iteratorINSA_10device_ptrIyEEEEPS6_SG_NS0_5tupleIJSF_S6_EEENSH_IJSG_SG_EEES6_PlJNSB_9not_fun_tINSB_14equal_to_valueIyEEEEEEE10hipError_tPvRmT3_T4_T5_T6_T7_T9_mT8_P12ihipStream_tbDpT10_ENKUlT_T0_E_clISt17integral_constantIbLb0EES18_EEDaS13_S14_EUlS13_E_NS1_11comp_targetILNS1_3genE8ELNS1_11target_archE1030ELNS1_3gpuE2ELNS1_3repE0EEENS1_30default_config_static_selectorELNS0_4arch9wavefront6targetE0EEEvT1_
; %bb.0:
	.section	.rodata,"a",@progbits
	.p2align	6, 0x0
	.amdhsa_kernel _ZN7rocprim17ROCPRIM_400000_NS6detail17trampoline_kernelINS0_14default_configENS1_25partition_config_selectorILNS1_17partition_subalgoE6EyNS0_10empty_typeEbEEZZNS1_14partition_implILS5_6ELb0ES3_mN6thrust23THRUST_200600_302600_NS6detail15normal_iteratorINSA_10device_ptrIyEEEEPS6_SG_NS0_5tupleIJSF_S6_EEENSH_IJSG_SG_EEES6_PlJNSB_9not_fun_tINSB_14equal_to_valueIyEEEEEEE10hipError_tPvRmT3_T4_T5_T6_T7_T9_mT8_P12ihipStream_tbDpT10_ENKUlT_T0_E_clISt17integral_constantIbLb0EES18_EEDaS13_S14_EUlS13_E_NS1_11comp_targetILNS1_3genE8ELNS1_11target_archE1030ELNS1_3gpuE2ELNS1_3repE0EEENS1_30default_config_static_selectorELNS0_4arch9wavefront6targetE0EEEvT1_
		.amdhsa_group_segment_fixed_size 0
		.amdhsa_private_segment_fixed_size 0
		.amdhsa_kernarg_size 120
		.amdhsa_user_sgpr_count 2
		.amdhsa_user_sgpr_dispatch_ptr 0
		.amdhsa_user_sgpr_queue_ptr 0
		.amdhsa_user_sgpr_kernarg_segment_ptr 1
		.amdhsa_user_sgpr_dispatch_id 0
		.amdhsa_user_sgpr_private_segment_size 0
		.amdhsa_wavefront_size32 1
		.amdhsa_uses_dynamic_stack 0
		.amdhsa_enable_private_segment 0
		.amdhsa_system_sgpr_workgroup_id_x 1
		.amdhsa_system_sgpr_workgroup_id_y 0
		.amdhsa_system_sgpr_workgroup_id_z 0
		.amdhsa_system_sgpr_workgroup_info 0
		.amdhsa_system_vgpr_workitem_id 0
		.amdhsa_next_free_vgpr 1
		.amdhsa_next_free_sgpr 1
		.amdhsa_reserve_vcc 0
		.amdhsa_float_round_mode_32 0
		.amdhsa_float_round_mode_16_64 0
		.amdhsa_float_denorm_mode_32 3
		.amdhsa_float_denorm_mode_16_64 3
		.amdhsa_fp16_overflow 0
		.amdhsa_workgroup_processor_mode 1
		.amdhsa_memory_ordered 1
		.amdhsa_forward_progress 1
		.amdhsa_inst_pref_size 0
		.amdhsa_round_robin_scheduling 0
		.amdhsa_exception_fp_ieee_invalid_op 0
		.amdhsa_exception_fp_denorm_src 0
		.amdhsa_exception_fp_ieee_div_zero 0
		.amdhsa_exception_fp_ieee_overflow 0
		.amdhsa_exception_fp_ieee_underflow 0
		.amdhsa_exception_fp_ieee_inexact 0
		.amdhsa_exception_int_div_zero 0
	.end_amdhsa_kernel
	.section	.text._ZN7rocprim17ROCPRIM_400000_NS6detail17trampoline_kernelINS0_14default_configENS1_25partition_config_selectorILNS1_17partition_subalgoE6EyNS0_10empty_typeEbEEZZNS1_14partition_implILS5_6ELb0ES3_mN6thrust23THRUST_200600_302600_NS6detail15normal_iteratorINSA_10device_ptrIyEEEEPS6_SG_NS0_5tupleIJSF_S6_EEENSH_IJSG_SG_EEES6_PlJNSB_9not_fun_tINSB_14equal_to_valueIyEEEEEEE10hipError_tPvRmT3_T4_T5_T6_T7_T9_mT8_P12ihipStream_tbDpT10_ENKUlT_T0_E_clISt17integral_constantIbLb0EES18_EEDaS13_S14_EUlS13_E_NS1_11comp_targetILNS1_3genE8ELNS1_11target_archE1030ELNS1_3gpuE2ELNS1_3repE0EEENS1_30default_config_static_selectorELNS0_4arch9wavefront6targetE0EEEvT1_,"axG",@progbits,_ZN7rocprim17ROCPRIM_400000_NS6detail17trampoline_kernelINS0_14default_configENS1_25partition_config_selectorILNS1_17partition_subalgoE6EyNS0_10empty_typeEbEEZZNS1_14partition_implILS5_6ELb0ES3_mN6thrust23THRUST_200600_302600_NS6detail15normal_iteratorINSA_10device_ptrIyEEEEPS6_SG_NS0_5tupleIJSF_S6_EEENSH_IJSG_SG_EEES6_PlJNSB_9not_fun_tINSB_14equal_to_valueIyEEEEEEE10hipError_tPvRmT3_T4_T5_T6_T7_T9_mT8_P12ihipStream_tbDpT10_ENKUlT_T0_E_clISt17integral_constantIbLb0EES18_EEDaS13_S14_EUlS13_E_NS1_11comp_targetILNS1_3genE8ELNS1_11target_archE1030ELNS1_3gpuE2ELNS1_3repE0EEENS1_30default_config_static_selectorELNS0_4arch9wavefront6targetE0EEEvT1_,comdat
.Lfunc_end348:
	.size	_ZN7rocprim17ROCPRIM_400000_NS6detail17trampoline_kernelINS0_14default_configENS1_25partition_config_selectorILNS1_17partition_subalgoE6EyNS0_10empty_typeEbEEZZNS1_14partition_implILS5_6ELb0ES3_mN6thrust23THRUST_200600_302600_NS6detail15normal_iteratorINSA_10device_ptrIyEEEEPS6_SG_NS0_5tupleIJSF_S6_EEENSH_IJSG_SG_EEES6_PlJNSB_9not_fun_tINSB_14equal_to_valueIyEEEEEEE10hipError_tPvRmT3_T4_T5_T6_T7_T9_mT8_P12ihipStream_tbDpT10_ENKUlT_T0_E_clISt17integral_constantIbLb0EES18_EEDaS13_S14_EUlS13_E_NS1_11comp_targetILNS1_3genE8ELNS1_11target_archE1030ELNS1_3gpuE2ELNS1_3repE0EEENS1_30default_config_static_selectorELNS0_4arch9wavefront6targetE0EEEvT1_, .Lfunc_end348-_ZN7rocprim17ROCPRIM_400000_NS6detail17trampoline_kernelINS0_14default_configENS1_25partition_config_selectorILNS1_17partition_subalgoE6EyNS0_10empty_typeEbEEZZNS1_14partition_implILS5_6ELb0ES3_mN6thrust23THRUST_200600_302600_NS6detail15normal_iteratorINSA_10device_ptrIyEEEEPS6_SG_NS0_5tupleIJSF_S6_EEENSH_IJSG_SG_EEES6_PlJNSB_9not_fun_tINSB_14equal_to_valueIyEEEEEEE10hipError_tPvRmT3_T4_T5_T6_T7_T9_mT8_P12ihipStream_tbDpT10_ENKUlT_T0_E_clISt17integral_constantIbLb0EES18_EEDaS13_S14_EUlS13_E_NS1_11comp_targetILNS1_3genE8ELNS1_11target_archE1030ELNS1_3gpuE2ELNS1_3repE0EEENS1_30default_config_static_selectorELNS0_4arch9wavefront6targetE0EEEvT1_
                                        ; -- End function
	.set _ZN7rocprim17ROCPRIM_400000_NS6detail17trampoline_kernelINS0_14default_configENS1_25partition_config_selectorILNS1_17partition_subalgoE6EyNS0_10empty_typeEbEEZZNS1_14partition_implILS5_6ELb0ES3_mN6thrust23THRUST_200600_302600_NS6detail15normal_iteratorINSA_10device_ptrIyEEEEPS6_SG_NS0_5tupleIJSF_S6_EEENSH_IJSG_SG_EEES6_PlJNSB_9not_fun_tINSB_14equal_to_valueIyEEEEEEE10hipError_tPvRmT3_T4_T5_T6_T7_T9_mT8_P12ihipStream_tbDpT10_ENKUlT_T0_E_clISt17integral_constantIbLb0EES18_EEDaS13_S14_EUlS13_E_NS1_11comp_targetILNS1_3genE8ELNS1_11target_archE1030ELNS1_3gpuE2ELNS1_3repE0EEENS1_30default_config_static_selectorELNS0_4arch9wavefront6targetE0EEEvT1_.num_vgpr, 0
	.set _ZN7rocprim17ROCPRIM_400000_NS6detail17trampoline_kernelINS0_14default_configENS1_25partition_config_selectorILNS1_17partition_subalgoE6EyNS0_10empty_typeEbEEZZNS1_14partition_implILS5_6ELb0ES3_mN6thrust23THRUST_200600_302600_NS6detail15normal_iteratorINSA_10device_ptrIyEEEEPS6_SG_NS0_5tupleIJSF_S6_EEENSH_IJSG_SG_EEES6_PlJNSB_9not_fun_tINSB_14equal_to_valueIyEEEEEEE10hipError_tPvRmT3_T4_T5_T6_T7_T9_mT8_P12ihipStream_tbDpT10_ENKUlT_T0_E_clISt17integral_constantIbLb0EES18_EEDaS13_S14_EUlS13_E_NS1_11comp_targetILNS1_3genE8ELNS1_11target_archE1030ELNS1_3gpuE2ELNS1_3repE0EEENS1_30default_config_static_selectorELNS0_4arch9wavefront6targetE0EEEvT1_.num_agpr, 0
	.set _ZN7rocprim17ROCPRIM_400000_NS6detail17trampoline_kernelINS0_14default_configENS1_25partition_config_selectorILNS1_17partition_subalgoE6EyNS0_10empty_typeEbEEZZNS1_14partition_implILS5_6ELb0ES3_mN6thrust23THRUST_200600_302600_NS6detail15normal_iteratorINSA_10device_ptrIyEEEEPS6_SG_NS0_5tupleIJSF_S6_EEENSH_IJSG_SG_EEES6_PlJNSB_9not_fun_tINSB_14equal_to_valueIyEEEEEEE10hipError_tPvRmT3_T4_T5_T6_T7_T9_mT8_P12ihipStream_tbDpT10_ENKUlT_T0_E_clISt17integral_constantIbLb0EES18_EEDaS13_S14_EUlS13_E_NS1_11comp_targetILNS1_3genE8ELNS1_11target_archE1030ELNS1_3gpuE2ELNS1_3repE0EEENS1_30default_config_static_selectorELNS0_4arch9wavefront6targetE0EEEvT1_.numbered_sgpr, 0
	.set _ZN7rocprim17ROCPRIM_400000_NS6detail17trampoline_kernelINS0_14default_configENS1_25partition_config_selectorILNS1_17partition_subalgoE6EyNS0_10empty_typeEbEEZZNS1_14partition_implILS5_6ELb0ES3_mN6thrust23THRUST_200600_302600_NS6detail15normal_iteratorINSA_10device_ptrIyEEEEPS6_SG_NS0_5tupleIJSF_S6_EEENSH_IJSG_SG_EEES6_PlJNSB_9not_fun_tINSB_14equal_to_valueIyEEEEEEE10hipError_tPvRmT3_T4_T5_T6_T7_T9_mT8_P12ihipStream_tbDpT10_ENKUlT_T0_E_clISt17integral_constantIbLb0EES18_EEDaS13_S14_EUlS13_E_NS1_11comp_targetILNS1_3genE8ELNS1_11target_archE1030ELNS1_3gpuE2ELNS1_3repE0EEENS1_30default_config_static_selectorELNS0_4arch9wavefront6targetE0EEEvT1_.num_named_barrier, 0
	.set _ZN7rocprim17ROCPRIM_400000_NS6detail17trampoline_kernelINS0_14default_configENS1_25partition_config_selectorILNS1_17partition_subalgoE6EyNS0_10empty_typeEbEEZZNS1_14partition_implILS5_6ELb0ES3_mN6thrust23THRUST_200600_302600_NS6detail15normal_iteratorINSA_10device_ptrIyEEEEPS6_SG_NS0_5tupleIJSF_S6_EEENSH_IJSG_SG_EEES6_PlJNSB_9not_fun_tINSB_14equal_to_valueIyEEEEEEE10hipError_tPvRmT3_T4_T5_T6_T7_T9_mT8_P12ihipStream_tbDpT10_ENKUlT_T0_E_clISt17integral_constantIbLb0EES18_EEDaS13_S14_EUlS13_E_NS1_11comp_targetILNS1_3genE8ELNS1_11target_archE1030ELNS1_3gpuE2ELNS1_3repE0EEENS1_30default_config_static_selectorELNS0_4arch9wavefront6targetE0EEEvT1_.private_seg_size, 0
	.set _ZN7rocprim17ROCPRIM_400000_NS6detail17trampoline_kernelINS0_14default_configENS1_25partition_config_selectorILNS1_17partition_subalgoE6EyNS0_10empty_typeEbEEZZNS1_14partition_implILS5_6ELb0ES3_mN6thrust23THRUST_200600_302600_NS6detail15normal_iteratorINSA_10device_ptrIyEEEEPS6_SG_NS0_5tupleIJSF_S6_EEENSH_IJSG_SG_EEES6_PlJNSB_9not_fun_tINSB_14equal_to_valueIyEEEEEEE10hipError_tPvRmT3_T4_T5_T6_T7_T9_mT8_P12ihipStream_tbDpT10_ENKUlT_T0_E_clISt17integral_constantIbLb0EES18_EEDaS13_S14_EUlS13_E_NS1_11comp_targetILNS1_3genE8ELNS1_11target_archE1030ELNS1_3gpuE2ELNS1_3repE0EEENS1_30default_config_static_selectorELNS0_4arch9wavefront6targetE0EEEvT1_.uses_vcc, 0
	.set _ZN7rocprim17ROCPRIM_400000_NS6detail17trampoline_kernelINS0_14default_configENS1_25partition_config_selectorILNS1_17partition_subalgoE6EyNS0_10empty_typeEbEEZZNS1_14partition_implILS5_6ELb0ES3_mN6thrust23THRUST_200600_302600_NS6detail15normal_iteratorINSA_10device_ptrIyEEEEPS6_SG_NS0_5tupleIJSF_S6_EEENSH_IJSG_SG_EEES6_PlJNSB_9not_fun_tINSB_14equal_to_valueIyEEEEEEE10hipError_tPvRmT3_T4_T5_T6_T7_T9_mT8_P12ihipStream_tbDpT10_ENKUlT_T0_E_clISt17integral_constantIbLb0EES18_EEDaS13_S14_EUlS13_E_NS1_11comp_targetILNS1_3genE8ELNS1_11target_archE1030ELNS1_3gpuE2ELNS1_3repE0EEENS1_30default_config_static_selectorELNS0_4arch9wavefront6targetE0EEEvT1_.uses_flat_scratch, 0
	.set _ZN7rocprim17ROCPRIM_400000_NS6detail17trampoline_kernelINS0_14default_configENS1_25partition_config_selectorILNS1_17partition_subalgoE6EyNS0_10empty_typeEbEEZZNS1_14partition_implILS5_6ELb0ES3_mN6thrust23THRUST_200600_302600_NS6detail15normal_iteratorINSA_10device_ptrIyEEEEPS6_SG_NS0_5tupleIJSF_S6_EEENSH_IJSG_SG_EEES6_PlJNSB_9not_fun_tINSB_14equal_to_valueIyEEEEEEE10hipError_tPvRmT3_T4_T5_T6_T7_T9_mT8_P12ihipStream_tbDpT10_ENKUlT_T0_E_clISt17integral_constantIbLb0EES18_EEDaS13_S14_EUlS13_E_NS1_11comp_targetILNS1_3genE8ELNS1_11target_archE1030ELNS1_3gpuE2ELNS1_3repE0EEENS1_30default_config_static_selectorELNS0_4arch9wavefront6targetE0EEEvT1_.has_dyn_sized_stack, 0
	.set _ZN7rocprim17ROCPRIM_400000_NS6detail17trampoline_kernelINS0_14default_configENS1_25partition_config_selectorILNS1_17partition_subalgoE6EyNS0_10empty_typeEbEEZZNS1_14partition_implILS5_6ELb0ES3_mN6thrust23THRUST_200600_302600_NS6detail15normal_iteratorINSA_10device_ptrIyEEEEPS6_SG_NS0_5tupleIJSF_S6_EEENSH_IJSG_SG_EEES6_PlJNSB_9not_fun_tINSB_14equal_to_valueIyEEEEEEE10hipError_tPvRmT3_T4_T5_T6_T7_T9_mT8_P12ihipStream_tbDpT10_ENKUlT_T0_E_clISt17integral_constantIbLb0EES18_EEDaS13_S14_EUlS13_E_NS1_11comp_targetILNS1_3genE8ELNS1_11target_archE1030ELNS1_3gpuE2ELNS1_3repE0EEENS1_30default_config_static_selectorELNS0_4arch9wavefront6targetE0EEEvT1_.has_recursion, 0
	.set _ZN7rocprim17ROCPRIM_400000_NS6detail17trampoline_kernelINS0_14default_configENS1_25partition_config_selectorILNS1_17partition_subalgoE6EyNS0_10empty_typeEbEEZZNS1_14partition_implILS5_6ELb0ES3_mN6thrust23THRUST_200600_302600_NS6detail15normal_iteratorINSA_10device_ptrIyEEEEPS6_SG_NS0_5tupleIJSF_S6_EEENSH_IJSG_SG_EEES6_PlJNSB_9not_fun_tINSB_14equal_to_valueIyEEEEEEE10hipError_tPvRmT3_T4_T5_T6_T7_T9_mT8_P12ihipStream_tbDpT10_ENKUlT_T0_E_clISt17integral_constantIbLb0EES18_EEDaS13_S14_EUlS13_E_NS1_11comp_targetILNS1_3genE8ELNS1_11target_archE1030ELNS1_3gpuE2ELNS1_3repE0EEENS1_30default_config_static_selectorELNS0_4arch9wavefront6targetE0EEEvT1_.has_indirect_call, 0
	.section	.AMDGPU.csdata,"",@progbits
; Kernel info:
; codeLenInByte = 0
; TotalNumSgprs: 0
; NumVgprs: 0
; ScratchSize: 0
; MemoryBound: 0
; FloatMode: 240
; IeeeMode: 1
; LDSByteSize: 0 bytes/workgroup (compile time only)
; SGPRBlocks: 0
; VGPRBlocks: 0
; NumSGPRsForWavesPerEU: 1
; NumVGPRsForWavesPerEU: 1
; Occupancy: 16
; WaveLimiterHint : 0
; COMPUTE_PGM_RSRC2:SCRATCH_EN: 0
; COMPUTE_PGM_RSRC2:USER_SGPR: 2
; COMPUTE_PGM_RSRC2:TRAP_HANDLER: 0
; COMPUTE_PGM_RSRC2:TGID_X_EN: 1
; COMPUTE_PGM_RSRC2:TGID_Y_EN: 0
; COMPUTE_PGM_RSRC2:TGID_Z_EN: 0
; COMPUTE_PGM_RSRC2:TIDIG_COMP_CNT: 0
	.section	.text._ZN7rocprim17ROCPRIM_400000_NS6detail17trampoline_kernelINS0_14default_configENS1_25partition_config_selectorILNS1_17partition_subalgoE6EyNS0_10empty_typeEbEEZZNS1_14partition_implILS5_6ELb0ES3_mN6thrust23THRUST_200600_302600_NS6detail15normal_iteratorINSA_10device_ptrIyEEEEPS6_SG_NS0_5tupleIJSF_S6_EEENSH_IJSG_SG_EEES6_PlJNSB_9not_fun_tINSB_14equal_to_valueIyEEEEEEE10hipError_tPvRmT3_T4_T5_T6_T7_T9_mT8_P12ihipStream_tbDpT10_ENKUlT_T0_E_clISt17integral_constantIbLb1EES18_EEDaS13_S14_EUlS13_E_NS1_11comp_targetILNS1_3genE0ELNS1_11target_archE4294967295ELNS1_3gpuE0ELNS1_3repE0EEENS1_30default_config_static_selectorELNS0_4arch9wavefront6targetE0EEEvT1_,"axG",@progbits,_ZN7rocprim17ROCPRIM_400000_NS6detail17trampoline_kernelINS0_14default_configENS1_25partition_config_selectorILNS1_17partition_subalgoE6EyNS0_10empty_typeEbEEZZNS1_14partition_implILS5_6ELb0ES3_mN6thrust23THRUST_200600_302600_NS6detail15normal_iteratorINSA_10device_ptrIyEEEEPS6_SG_NS0_5tupleIJSF_S6_EEENSH_IJSG_SG_EEES6_PlJNSB_9not_fun_tINSB_14equal_to_valueIyEEEEEEE10hipError_tPvRmT3_T4_T5_T6_T7_T9_mT8_P12ihipStream_tbDpT10_ENKUlT_T0_E_clISt17integral_constantIbLb1EES18_EEDaS13_S14_EUlS13_E_NS1_11comp_targetILNS1_3genE0ELNS1_11target_archE4294967295ELNS1_3gpuE0ELNS1_3repE0EEENS1_30default_config_static_selectorELNS0_4arch9wavefront6targetE0EEEvT1_,comdat
	.protected	_ZN7rocprim17ROCPRIM_400000_NS6detail17trampoline_kernelINS0_14default_configENS1_25partition_config_selectorILNS1_17partition_subalgoE6EyNS0_10empty_typeEbEEZZNS1_14partition_implILS5_6ELb0ES3_mN6thrust23THRUST_200600_302600_NS6detail15normal_iteratorINSA_10device_ptrIyEEEEPS6_SG_NS0_5tupleIJSF_S6_EEENSH_IJSG_SG_EEES6_PlJNSB_9not_fun_tINSB_14equal_to_valueIyEEEEEEE10hipError_tPvRmT3_T4_T5_T6_T7_T9_mT8_P12ihipStream_tbDpT10_ENKUlT_T0_E_clISt17integral_constantIbLb1EES18_EEDaS13_S14_EUlS13_E_NS1_11comp_targetILNS1_3genE0ELNS1_11target_archE4294967295ELNS1_3gpuE0ELNS1_3repE0EEENS1_30default_config_static_selectorELNS0_4arch9wavefront6targetE0EEEvT1_ ; -- Begin function _ZN7rocprim17ROCPRIM_400000_NS6detail17trampoline_kernelINS0_14default_configENS1_25partition_config_selectorILNS1_17partition_subalgoE6EyNS0_10empty_typeEbEEZZNS1_14partition_implILS5_6ELb0ES3_mN6thrust23THRUST_200600_302600_NS6detail15normal_iteratorINSA_10device_ptrIyEEEEPS6_SG_NS0_5tupleIJSF_S6_EEENSH_IJSG_SG_EEES6_PlJNSB_9not_fun_tINSB_14equal_to_valueIyEEEEEEE10hipError_tPvRmT3_T4_T5_T6_T7_T9_mT8_P12ihipStream_tbDpT10_ENKUlT_T0_E_clISt17integral_constantIbLb1EES18_EEDaS13_S14_EUlS13_E_NS1_11comp_targetILNS1_3genE0ELNS1_11target_archE4294967295ELNS1_3gpuE0ELNS1_3repE0EEENS1_30default_config_static_selectorELNS0_4arch9wavefront6targetE0EEEvT1_
	.globl	_ZN7rocprim17ROCPRIM_400000_NS6detail17trampoline_kernelINS0_14default_configENS1_25partition_config_selectorILNS1_17partition_subalgoE6EyNS0_10empty_typeEbEEZZNS1_14partition_implILS5_6ELb0ES3_mN6thrust23THRUST_200600_302600_NS6detail15normal_iteratorINSA_10device_ptrIyEEEEPS6_SG_NS0_5tupleIJSF_S6_EEENSH_IJSG_SG_EEES6_PlJNSB_9not_fun_tINSB_14equal_to_valueIyEEEEEEE10hipError_tPvRmT3_T4_T5_T6_T7_T9_mT8_P12ihipStream_tbDpT10_ENKUlT_T0_E_clISt17integral_constantIbLb1EES18_EEDaS13_S14_EUlS13_E_NS1_11comp_targetILNS1_3genE0ELNS1_11target_archE4294967295ELNS1_3gpuE0ELNS1_3repE0EEENS1_30default_config_static_selectorELNS0_4arch9wavefront6targetE0EEEvT1_
	.p2align	8
	.type	_ZN7rocprim17ROCPRIM_400000_NS6detail17trampoline_kernelINS0_14default_configENS1_25partition_config_selectorILNS1_17partition_subalgoE6EyNS0_10empty_typeEbEEZZNS1_14partition_implILS5_6ELb0ES3_mN6thrust23THRUST_200600_302600_NS6detail15normal_iteratorINSA_10device_ptrIyEEEEPS6_SG_NS0_5tupleIJSF_S6_EEENSH_IJSG_SG_EEES6_PlJNSB_9not_fun_tINSB_14equal_to_valueIyEEEEEEE10hipError_tPvRmT3_T4_T5_T6_T7_T9_mT8_P12ihipStream_tbDpT10_ENKUlT_T0_E_clISt17integral_constantIbLb1EES18_EEDaS13_S14_EUlS13_E_NS1_11comp_targetILNS1_3genE0ELNS1_11target_archE4294967295ELNS1_3gpuE0ELNS1_3repE0EEENS1_30default_config_static_selectorELNS0_4arch9wavefront6targetE0EEEvT1_,@function
_ZN7rocprim17ROCPRIM_400000_NS6detail17trampoline_kernelINS0_14default_configENS1_25partition_config_selectorILNS1_17partition_subalgoE6EyNS0_10empty_typeEbEEZZNS1_14partition_implILS5_6ELb0ES3_mN6thrust23THRUST_200600_302600_NS6detail15normal_iteratorINSA_10device_ptrIyEEEEPS6_SG_NS0_5tupleIJSF_S6_EEENSH_IJSG_SG_EEES6_PlJNSB_9not_fun_tINSB_14equal_to_valueIyEEEEEEE10hipError_tPvRmT3_T4_T5_T6_T7_T9_mT8_P12ihipStream_tbDpT10_ENKUlT_T0_E_clISt17integral_constantIbLb1EES18_EEDaS13_S14_EUlS13_E_NS1_11comp_targetILNS1_3genE0ELNS1_11target_archE4294967295ELNS1_3gpuE0ELNS1_3repE0EEENS1_30default_config_static_selectorELNS0_4arch9wavefront6targetE0EEEvT1_: ; @_ZN7rocprim17ROCPRIM_400000_NS6detail17trampoline_kernelINS0_14default_configENS1_25partition_config_selectorILNS1_17partition_subalgoE6EyNS0_10empty_typeEbEEZZNS1_14partition_implILS5_6ELb0ES3_mN6thrust23THRUST_200600_302600_NS6detail15normal_iteratorINSA_10device_ptrIyEEEEPS6_SG_NS0_5tupleIJSF_S6_EEENSH_IJSG_SG_EEES6_PlJNSB_9not_fun_tINSB_14equal_to_valueIyEEEEEEE10hipError_tPvRmT3_T4_T5_T6_T7_T9_mT8_P12ihipStream_tbDpT10_ENKUlT_T0_E_clISt17integral_constantIbLb1EES18_EEDaS13_S14_EUlS13_E_NS1_11comp_targetILNS1_3genE0ELNS1_11target_archE4294967295ELNS1_3gpuE0ELNS1_3repE0EEENS1_30default_config_static_selectorELNS0_4arch9wavefront6targetE0EEEvT1_
; %bb.0:
	.section	.rodata,"a",@progbits
	.p2align	6, 0x0
	.amdhsa_kernel _ZN7rocprim17ROCPRIM_400000_NS6detail17trampoline_kernelINS0_14default_configENS1_25partition_config_selectorILNS1_17partition_subalgoE6EyNS0_10empty_typeEbEEZZNS1_14partition_implILS5_6ELb0ES3_mN6thrust23THRUST_200600_302600_NS6detail15normal_iteratorINSA_10device_ptrIyEEEEPS6_SG_NS0_5tupleIJSF_S6_EEENSH_IJSG_SG_EEES6_PlJNSB_9not_fun_tINSB_14equal_to_valueIyEEEEEEE10hipError_tPvRmT3_T4_T5_T6_T7_T9_mT8_P12ihipStream_tbDpT10_ENKUlT_T0_E_clISt17integral_constantIbLb1EES18_EEDaS13_S14_EUlS13_E_NS1_11comp_targetILNS1_3genE0ELNS1_11target_archE4294967295ELNS1_3gpuE0ELNS1_3repE0EEENS1_30default_config_static_selectorELNS0_4arch9wavefront6targetE0EEEvT1_
		.amdhsa_group_segment_fixed_size 0
		.amdhsa_private_segment_fixed_size 0
		.amdhsa_kernarg_size 128
		.amdhsa_user_sgpr_count 2
		.amdhsa_user_sgpr_dispatch_ptr 0
		.amdhsa_user_sgpr_queue_ptr 0
		.amdhsa_user_sgpr_kernarg_segment_ptr 1
		.amdhsa_user_sgpr_dispatch_id 0
		.amdhsa_user_sgpr_private_segment_size 0
		.amdhsa_wavefront_size32 1
		.amdhsa_uses_dynamic_stack 0
		.amdhsa_enable_private_segment 0
		.amdhsa_system_sgpr_workgroup_id_x 1
		.amdhsa_system_sgpr_workgroup_id_y 0
		.amdhsa_system_sgpr_workgroup_id_z 0
		.amdhsa_system_sgpr_workgroup_info 0
		.amdhsa_system_vgpr_workitem_id 0
		.amdhsa_next_free_vgpr 1
		.amdhsa_next_free_sgpr 1
		.amdhsa_reserve_vcc 0
		.amdhsa_float_round_mode_32 0
		.amdhsa_float_round_mode_16_64 0
		.amdhsa_float_denorm_mode_32 3
		.amdhsa_float_denorm_mode_16_64 3
		.amdhsa_fp16_overflow 0
		.amdhsa_workgroup_processor_mode 1
		.amdhsa_memory_ordered 1
		.amdhsa_forward_progress 1
		.amdhsa_inst_pref_size 0
		.amdhsa_round_robin_scheduling 0
		.amdhsa_exception_fp_ieee_invalid_op 0
		.amdhsa_exception_fp_denorm_src 0
		.amdhsa_exception_fp_ieee_div_zero 0
		.amdhsa_exception_fp_ieee_overflow 0
		.amdhsa_exception_fp_ieee_underflow 0
		.amdhsa_exception_fp_ieee_inexact 0
		.amdhsa_exception_int_div_zero 0
	.end_amdhsa_kernel
	.section	.text._ZN7rocprim17ROCPRIM_400000_NS6detail17trampoline_kernelINS0_14default_configENS1_25partition_config_selectorILNS1_17partition_subalgoE6EyNS0_10empty_typeEbEEZZNS1_14partition_implILS5_6ELb0ES3_mN6thrust23THRUST_200600_302600_NS6detail15normal_iteratorINSA_10device_ptrIyEEEEPS6_SG_NS0_5tupleIJSF_S6_EEENSH_IJSG_SG_EEES6_PlJNSB_9not_fun_tINSB_14equal_to_valueIyEEEEEEE10hipError_tPvRmT3_T4_T5_T6_T7_T9_mT8_P12ihipStream_tbDpT10_ENKUlT_T0_E_clISt17integral_constantIbLb1EES18_EEDaS13_S14_EUlS13_E_NS1_11comp_targetILNS1_3genE0ELNS1_11target_archE4294967295ELNS1_3gpuE0ELNS1_3repE0EEENS1_30default_config_static_selectorELNS0_4arch9wavefront6targetE0EEEvT1_,"axG",@progbits,_ZN7rocprim17ROCPRIM_400000_NS6detail17trampoline_kernelINS0_14default_configENS1_25partition_config_selectorILNS1_17partition_subalgoE6EyNS0_10empty_typeEbEEZZNS1_14partition_implILS5_6ELb0ES3_mN6thrust23THRUST_200600_302600_NS6detail15normal_iteratorINSA_10device_ptrIyEEEEPS6_SG_NS0_5tupleIJSF_S6_EEENSH_IJSG_SG_EEES6_PlJNSB_9not_fun_tINSB_14equal_to_valueIyEEEEEEE10hipError_tPvRmT3_T4_T5_T6_T7_T9_mT8_P12ihipStream_tbDpT10_ENKUlT_T0_E_clISt17integral_constantIbLb1EES18_EEDaS13_S14_EUlS13_E_NS1_11comp_targetILNS1_3genE0ELNS1_11target_archE4294967295ELNS1_3gpuE0ELNS1_3repE0EEENS1_30default_config_static_selectorELNS0_4arch9wavefront6targetE0EEEvT1_,comdat
.Lfunc_end349:
	.size	_ZN7rocprim17ROCPRIM_400000_NS6detail17trampoline_kernelINS0_14default_configENS1_25partition_config_selectorILNS1_17partition_subalgoE6EyNS0_10empty_typeEbEEZZNS1_14partition_implILS5_6ELb0ES3_mN6thrust23THRUST_200600_302600_NS6detail15normal_iteratorINSA_10device_ptrIyEEEEPS6_SG_NS0_5tupleIJSF_S6_EEENSH_IJSG_SG_EEES6_PlJNSB_9not_fun_tINSB_14equal_to_valueIyEEEEEEE10hipError_tPvRmT3_T4_T5_T6_T7_T9_mT8_P12ihipStream_tbDpT10_ENKUlT_T0_E_clISt17integral_constantIbLb1EES18_EEDaS13_S14_EUlS13_E_NS1_11comp_targetILNS1_3genE0ELNS1_11target_archE4294967295ELNS1_3gpuE0ELNS1_3repE0EEENS1_30default_config_static_selectorELNS0_4arch9wavefront6targetE0EEEvT1_, .Lfunc_end349-_ZN7rocprim17ROCPRIM_400000_NS6detail17trampoline_kernelINS0_14default_configENS1_25partition_config_selectorILNS1_17partition_subalgoE6EyNS0_10empty_typeEbEEZZNS1_14partition_implILS5_6ELb0ES3_mN6thrust23THRUST_200600_302600_NS6detail15normal_iteratorINSA_10device_ptrIyEEEEPS6_SG_NS0_5tupleIJSF_S6_EEENSH_IJSG_SG_EEES6_PlJNSB_9not_fun_tINSB_14equal_to_valueIyEEEEEEE10hipError_tPvRmT3_T4_T5_T6_T7_T9_mT8_P12ihipStream_tbDpT10_ENKUlT_T0_E_clISt17integral_constantIbLb1EES18_EEDaS13_S14_EUlS13_E_NS1_11comp_targetILNS1_3genE0ELNS1_11target_archE4294967295ELNS1_3gpuE0ELNS1_3repE0EEENS1_30default_config_static_selectorELNS0_4arch9wavefront6targetE0EEEvT1_
                                        ; -- End function
	.set _ZN7rocprim17ROCPRIM_400000_NS6detail17trampoline_kernelINS0_14default_configENS1_25partition_config_selectorILNS1_17partition_subalgoE6EyNS0_10empty_typeEbEEZZNS1_14partition_implILS5_6ELb0ES3_mN6thrust23THRUST_200600_302600_NS6detail15normal_iteratorINSA_10device_ptrIyEEEEPS6_SG_NS0_5tupleIJSF_S6_EEENSH_IJSG_SG_EEES6_PlJNSB_9not_fun_tINSB_14equal_to_valueIyEEEEEEE10hipError_tPvRmT3_T4_T5_T6_T7_T9_mT8_P12ihipStream_tbDpT10_ENKUlT_T0_E_clISt17integral_constantIbLb1EES18_EEDaS13_S14_EUlS13_E_NS1_11comp_targetILNS1_3genE0ELNS1_11target_archE4294967295ELNS1_3gpuE0ELNS1_3repE0EEENS1_30default_config_static_selectorELNS0_4arch9wavefront6targetE0EEEvT1_.num_vgpr, 0
	.set _ZN7rocprim17ROCPRIM_400000_NS6detail17trampoline_kernelINS0_14default_configENS1_25partition_config_selectorILNS1_17partition_subalgoE6EyNS0_10empty_typeEbEEZZNS1_14partition_implILS5_6ELb0ES3_mN6thrust23THRUST_200600_302600_NS6detail15normal_iteratorINSA_10device_ptrIyEEEEPS6_SG_NS0_5tupleIJSF_S6_EEENSH_IJSG_SG_EEES6_PlJNSB_9not_fun_tINSB_14equal_to_valueIyEEEEEEE10hipError_tPvRmT3_T4_T5_T6_T7_T9_mT8_P12ihipStream_tbDpT10_ENKUlT_T0_E_clISt17integral_constantIbLb1EES18_EEDaS13_S14_EUlS13_E_NS1_11comp_targetILNS1_3genE0ELNS1_11target_archE4294967295ELNS1_3gpuE0ELNS1_3repE0EEENS1_30default_config_static_selectorELNS0_4arch9wavefront6targetE0EEEvT1_.num_agpr, 0
	.set _ZN7rocprim17ROCPRIM_400000_NS6detail17trampoline_kernelINS0_14default_configENS1_25partition_config_selectorILNS1_17partition_subalgoE6EyNS0_10empty_typeEbEEZZNS1_14partition_implILS5_6ELb0ES3_mN6thrust23THRUST_200600_302600_NS6detail15normal_iteratorINSA_10device_ptrIyEEEEPS6_SG_NS0_5tupleIJSF_S6_EEENSH_IJSG_SG_EEES6_PlJNSB_9not_fun_tINSB_14equal_to_valueIyEEEEEEE10hipError_tPvRmT3_T4_T5_T6_T7_T9_mT8_P12ihipStream_tbDpT10_ENKUlT_T0_E_clISt17integral_constantIbLb1EES18_EEDaS13_S14_EUlS13_E_NS1_11comp_targetILNS1_3genE0ELNS1_11target_archE4294967295ELNS1_3gpuE0ELNS1_3repE0EEENS1_30default_config_static_selectorELNS0_4arch9wavefront6targetE0EEEvT1_.numbered_sgpr, 0
	.set _ZN7rocprim17ROCPRIM_400000_NS6detail17trampoline_kernelINS0_14default_configENS1_25partition_config_selectorILNS1_17partition_subalgoE6EyNS0_10empty_typeEbEEZZNS1_14partition_implILS5_6ELb0ES3_mN6thrust23THRUST_200600_302600_NS6detail15normal_iteratorINSA_10device_ptrIyEEEEPS6_SG_NS0_5tupleIJSF_S6_EEENSH_IJSG_SG_EEES6_PlJNSB_9not_fun_tINSB_14equal_to_valueIyEEEEEEE10hipError_tPvRmT3_T4_T5_T6_T7_T9_mT8_P12ihipStream_tbDpT10_ENKUlT_T0_E_clISt17integral_constantIbLb1EES18_EEDaS13_S14_EUlS13_E_NS1_11comp_targetILNS1_3genE0ELNS1_11target_archE4294967295ELNS1_3gpuE0ELNS1_3repE0EEENS1_30default_config_static_selectorELNS0_4arch9wavefront6targetE0EEEvT1_.num_named_barrier, 0
	.set _ZN7rocprim17ROCPRIM_400000_NS6detail17trampoline_kernelINS0_14default_configENS1_25partition_config_selectorILNS1_17partition_subalgoE6EyNS0_10empty_typeEbEEZZNS1_14partition_implILS5_6ELb0ES3_mN6thrust23THRUST_200600_302600_NS6detail15normal_iteratorINSA_10device_ptrIyEEEEPS6_SG_NS0_5tupleIJSF_S6_EEENSH_IJSG_SG_EEES6_PlJNSB_9not_fun_tINSB_14equal_to_valueIyEEEEEEE10hipError_tPvRmT3_T4_T5_T6_T7_T9_mT8_P12ihipStream_tbDpT10_ENKUlT_T0_E_clISt17integral_constantIbLb1EES18_EEDaS13_S14_EUlS13_E_NS1_11comp_targetILNS1_3genE0ELNS1_11target_archE4294967295ELNS1_3gpuE0ELNS1_3repE0EEENS1_30default_config_static_selectorELNS0_4arch9wavefront6targetE0EEEvT1_.private_seg_size, 0
	.set _ZN7rocprim17ROCPRIM_400000_NS6detail17trampoline_kernelINS0_14default_configENS1_25partition_config_selectorILNS1_17partition_subalgoE6EyNS0_10empty_typeEbEEZZNS1_14partition_implILS5_6ELb0ES3_mN6thrust23THRUST_200600_302600_NS6detail15normal_iteratorINSA_10device_ptrIyEEEEPS6_SG_NS0_5tupleIJSF_S6_EEENSH_IJSG_SG_EEES6_PlJNSB_9not_fun_tINSB_14equal_to_valueIyEEEEEEE10hipError_tPvRmT3_T4_T5_T6_T7_T9_mT8_P12ihipStream_tbDpT10_ENKUlT_T0_E_clISt17integral_constantIbLb1EES18_EEDaS13_S14_EUlS13_E_NS1_11comp_targetILNS1_3genE0ELNS1_11target_archE4294967295ELNS1_3gpuE0ELNS1_3repE0EEENS1_30default_config_static_selectorELNS0_4arch9wavefront6targetE0EEEvT1_.uses_vcc, 0
	.set _ZN7rocprim17ROCPRIM_400000_NS6detail17trampoline_kernelINS0_14default_configENS1_25partition_config_selectorILNS1_17partition_subalgoE6EyNS0_10empty_typeEbEEZZNS1_14partition_implILS5_6ELb0ES3_mN6thrust23THRUST_200600_302600_NS6detail15normal_iteratorINSA_10device_ptrIyEEEEPS6_SG_NS0_5tupleIJSF_S6_EEENSH_IJSG_SG_EEES6_PlJNSB_9not_fun_tINSB_14equal_to_valueIyEEEEEEE10hipError_tPvRmT3_T4_T5_T6_T7_T9_mT8_P12ihipStream_tbDpT10_ENKUlT_T0_E_clISt17integral_constantIbLb1EES18_EEDaS13_S14_EUlS13_E_NS1_11comp_targetILNS1_3genE0ELNS1_11target_archE4294967295ELNS1_3gpuE0ELNS1_3repE0EEENS1_30default_config_static_selectorELNS0_4arch9wavefront6targetE0EEEvT1_.uses_flat_scratch, 0
	.set _ZN7rocprim17ROCPRIM_400000_NS6detail17trampoline_kernelINS0_14default_configENS1_25partition_config_selectorILNS1_17partition_subalgoE6EyNS0_10empty_typeEbEEZZNS1_14partition_implILS5_6ELb0ES3_mN6thrust23THRUST_200600_302600_NS6detail15normal_iteratorINSA_10device_ptrIyEEEEPS6_SG_NS0_5tupleIJSF_S6_EEENSH_IJSG_SG_EEES6_PlJNSB_9not_fun_tINSB_14equal_to_valueIyEEEEEEE10hipError_tPvRmT3_T4_T5_T6_T7_T9_mT8_P12ihipStream_tbDpT10_ENKUlT_T0_E_clISt17integral_constantIbLb1EES18_EEDaS13_S14_EUlS13_E_NS1_11comp_targetILNS1_3genE0ELNS1_11target_archE4294967295ELNS1_3gpuE0ELNS1_3repE0EEENS1_30default_config_static_selectorELNS0_4arch9wavefront6targetE0EEEvT1_.has_dyn_sized_stack, 0
	.set _ZN7rocprim17ROCPRIM_400000_NS6detail17trampoline_kernelINS0_14default_configENS1_25partition_config_selectorILNS1_17partition_subalgoE6EyNS0_10empty_typeEbEEZZNS1_14partition_implILS5_6ELb0ES3_mN6thrust23THRUST_200600_302600_NS6detail15normal_iteratorINSA_10device_ptrIyEEEEPS6_SG_NS0_5tupleIJSF_S6_EEENSH_IJSG_SG_EEES6_PlJNSB_9not_fun_tINSB_14equal_to_valueIyEEEEEEE10hipError_tPvRmT3_T4_T5_T6_T7_T9_mT8_P12ihipStream_tbDpT10_ENKUlT_T0_E_clISt17integral_constantIbLb1EES18_EEDaS13_S14_EUlS13_E_NS1_11comp_targetILNS1_3genE0ELNS1_11target_archE4294967295ELNS1_3gpuE0ELNS1_3repE0EEENS1_30default_config_static_selectorELNS0_4arch9wavefront6targetE0EEEvT1_.has_recursion, 0
	.set _ZN7rocprim17ROCPRIM_400000_NS6detail17trampoline_kernelINS0_14default_configENS1_25partition_config_selectorILNS1_17partition_subalgoE6EyNS0_10empty_typeEbEEZZNS1_14partition_implILS5_6ELb0ES3_mN6thrust23THRUST_200600_302600_NS6detail15normal_iteratorINSA_10device_ptrIyEEEEPS6_SG_NS0_5tupleIJSF_S6_EEENSH_IJSG_SG_EEES6_PlJNSB_9not_fun_tINSB_14equal_to_valueIyEEEEEEE10hipError_tPvRmT3_T4_T5_T6_T7_T9_mT8_P12ihipStream_tbDpT10_ENKUlT_T0_E_clISt17integral_constantIbLb1EES18_EEDaS13_S14_EUlS13_E_NS1_11comp_targetILNS1_3genE0ELNS1_11target_archE4294967295ELNS1_3gpuE0ELNS1_3repE0EEENS1_30default_config_static_selectorELNS0_4arch9wavefront6targetE0EEEvT1_.has_indirect_call, 0
	.section	.AMDGPU.csdata,"",@progbits
; Kernel info:
; codeLenInByte = 0
; TotalNumSgprs: 0
; NumVgprs: 0
; ScratchSize: 0
; MemoryBound: 0
; FloatMode: 240
; IeeeMode: 1
; LDSByteSize: 0 bytes/workgroup (compile time only)
; SGPRBlocks: 0
; VGPRBlocks: 0
; NumSGPRsForWavesPerEU: 1
; NumVGPRsForWavesPerEU: 1
; Occupancy: 16
; WaveLimiterHint : 0
; COMPUTE_PGM_RSRC2:SCRATCH_EN: 0
; COMPUTE_PGM_RSRC2:USER_SGPR: 2
; COMPUTE_PGM_RSRC2:TRAP_HANDLER: 0
; COMPUTE_PGM_RSRC2:TGID_X_EN: 1
; COMPUTE_PGM_RSRC2:TGID_Y_EN: 0
; COMPUTE_PGM_RSRC2:TGID_Z_EN: 0
; COMPUTE_PGM_RSRC2:TIDIG_COMP_CNT: 0
	.section	.text._ZN7rocprim17ROCPRIM_400000_NS6detail17trampoline_kernelINS0_14default_configENS1_25partition_config_selectorILNS1_17partition_subalgoE6EyNS0_10empty_typeEbEEZZNS1_14partition_implILS5_6ELb0ES3_mN6thrust23THRUST_200600_302600_NS6detail15normal_iteratorINSA_10device_ptrIyEEEEPS6_SG_NS0_5tupleIJSF_S6_EEENSH_IJSG_SG_EEES6_PlJNSB_9not_fun_tINSB_14equal_to_valueIyEEEEEEE10hipError_tPvRmT3_T4_T5_T6_T7_T9_mT8_P12ihipStream_tbDpT10_ENKUlT_T0_E_clISt17integral_constantIbLb1EES18_EEDaS13_S14_EUlS13_E_NS1_11comp_targetILNS1_3genE5ELNS1_11target_archE942ELNS1_3gpuE9ELNS1_3repE0EEENS1_30default_config_static_selectorELNS0_4arch9wavefront6targetE0EEEvT1_,"axG",@progbits,_ZN7rocprim17ROCPRIM_400000_NS6detail17trampoline_kernelINS0_14default_configENS1_25partition_config_selectorILNS1_17partition_subalgoE6EyNS0_10empty_typeEbEEZZNS1_14partition_implILS5_6ELb0ES3_mN6thrust23THRUST_200600_302600_NS6detail15normal_iteratorINSA_10device_ptrIyEEEEPS6_SG_NS0_5tupleIJSF_S6_EEENSH_IJSG_SG_EEES6_PlJNSB_9not_fun_tINSB_14equal_to_valueIyEEEEEEE10hipError_tPvRmT3_T4_T5_T6_T7_T9_mT8_P12ihipStream_tbDpT10_ENKUlT_T0_E_clISt17integral_constantIbLb1EES18_EEDaS13_S14_EUlS13_E_NS1_11comp_targetILNS1_3genE5ELNS1_11target_archE942ELNS1_3gpuE9ELNS1_3repE0EEENS1_30default_config_static_selectorELNS0_4arch9wavefront6targetE0EEEvT1_,comdat
	.protected	_ZN7rocprim17ROCPRIM_400000_NS6detail17trampoline_kernelINS0_14default_configENS1_25partition_config_selectorILNS1_17partition_subalgoE6EyNS0_10empty_typeEbEEZZNS1_14partition_implILS5_6ELb0ES3_mN6thrust23THRUST_200600_302600_NS6detail15normal_iteratorINSA_10device_ptrIyEEEEPS6_SG_NS0_5tupleIJSF_S6_EEENSH_IJSG_SG_EEES6_PlJNSB_9not_fun_tINSB_14equal_to_valueIyEEEEEEE10hipError_tPvRmT3_T4_T5_T6_T7_T9_mT8_P12ihipStream_tbDpT10_ENKUlT_T0_E_clISt17integral_constantIbLb1EES18_EEDaS13_S14_EUlS13_E_NS1_11comp_targetILNS1_3genE5ELNS1_11target_archE942ELNS1_3gpuE9ELNS1_3repE0EEENS1_30default_config_static_selectorELNS0_4arch9wavefront6targetE0EEEvT1_ ; -- Begin function _ZN7rocprim17ROCPRIM_400000_NS6detail17trampoline_kernelINS0_14default_configENS1_25partition_config_selectorILNS1_17partition_subalgoE6EyNS0_10empty_typeEbEEZZNS1_14partition_implILS5_6ELb0ES3_mN6thrust23THRUST_200600_302600_NS6detail15normal_iteratorINSA_10device_ptrIyEEEEPS6_SG_NS0_5tupleIJSF_S6_EEENSH_IJSG_SG_EEES6_PlJNSB_9not_fun_tINSB_14equal_to_valueIyEEEEEEE10hipError_tPvRmT3_T4_T5_T6_T7_T9_mT8_P12ihipStream_tbDpT10_ENKUlT_T0_E_clISt17integral_constantIbLb1EES18_EEDaS13_S14_EUlS13_E_NS1_11comp_targetILNS1_3genE5ELNS1_11target_archE942ELNS1_3gpuE9ELNS1_3repE0EEENS1_30default_config_static_selectorELNS0_4arch9wavefront6targetE0EEEvT1_
	.globl	_ZN7rocprim17ROCPRIM_400000_NS6detail17trampoline_kernelINS0_14default_configENS1_25partition_config_selectorILNS1_17partition_subalgoE6EyNS0_10empty_typeEbEEZZNS1_14partition_implILS5_6ELb0ES3_mN6thrust23THRUST_200600_302600_NS6detail15normal_iteratorINSA_10device_ptrIyEEEEPS6_SG_NS0_5tupleIJSF_S6_EEENSH_IJSG_SG_EEES6_PlJNSB_9not_fun_tINSB_14equal_to_valueIyEEEEEEE10hipError_tPvRmT3_T4_T5_T6_T7_T9_mT8_P12ihipStream_tbDpT10_ENKUlT_T0_E_clISt17integral_constantIbLb1EES18_EEDaS13_S14_EUlS13_E_NS1_11comp_targetILNS1_3genE5ELNS1_11target_archE942ELNS1_3gpuE9ELNS1_3repE0EEENS1_30default_config_static_selectorELNS0_4arch9wavefront6targetE0EEEvT1_
	.p2align	8
	.type	_ZN7rocprim17ROCPRIM_400000_NS6detail17trampoline_kernelINS0_14default_configENS1_25partition_config_selectorILNS1_17partition_subalgoE6EyNS0_10empty_typeEbEEZZNS1_14partition_implILS5_6ELb0ES3_mN6thrust23THRUST_200600_302600_NS6detail15normal_iteratorINSA_10device_ptrIyEEEEPS6_SG_NS0_5tupleIJSF_S6_EEENSH_IJSG_SG_EEES6_PlJNSB_9not_fun_tINSB_14equal_to_valueIyEEEEEEE10hipError_tPvRmT3_T4_T5_T6_T7_T9_mT8_P12ihipStream_tbDpT10_ENKUlT_T0_E_clISt17integral_constantIbLb1EES18_EEDaS13_S14_EUlS13_E_NS1_11comp_targetILNS1_3genE5ELNS1_11target_archE942ELNS1_3gpuE9ELNS1_3repE0EEENS1_30default_config_static_selectorELNS0_4arch9wavefront6targetE0EEEvT1_,@function
_ZN7rocprim17ROCPRIM_400000_NS6detail17trampoline_kernelINS0_14default_configENS1_25partition_config_selectorILNS1_17partition_subalgoE6EyNS0_10empty_typeEbEEZZNS1_14partition_implILS5_6ELb0ES3_mN6thrust23THRUST_200600_302600_NS6detail15normal_iteratorINSA_10device_ptrIyEEEEPS6_SG_NS0_5tupleIJSF_S6_EEENSH_IJSG_SG_EEES6_PlJNSB_9not_fun_tINSB_14equal_to_valueIyEEEEEEE10hipError_tPvRmT3_T4_T5_T6_T7_T9_mT8_P12ihipStream_tbDpT10_ENKUlT_T0_E_clISt17integral_constantIbLb1EES18_EEDaS13_S14_EUlS13_E_NS1_11comp_targetILNS1_3genE5ELNS1_11target_archE942ELNS1_3gpuE9ELNS1_3repE0EEENS1_30default_config_static_selectorELNS0_4arch9wavefront6targetE0EEEvT1_: ; @_ZN7rocprim17ROCPRIM_400000_NS6detail17trampoline_kernelINS0_14default_configENS1_25partition_config_selectorILNS1_17partition_subalgoE6EyNS0_10empty_typeEbEEZZNS1_14partition_implILS5_6ELb0ES3_mN6thrust23THRUST_200600_302600_NS6detail15normal_iteratorINSA_10device_ptrIyEEEEPS6_SG_NS0_5tupleIJSF_S6_EEENSH_IJSG_SG_EEES6_PlJNSB_9not_fun_tINSB_14equal_to_valueIyEEEEEEE10hipError_tPvRmT3_T4_T5_T6_T7_T9_mT8_P12ihipStream_tbDpT10_ENKUlT_T0_E_clISt17integral_constantIbLb1EES18_EEDaS13_S14_EUlS13_E_NS1_11comp_targetILNS1_3genE5ELNS1_11target_archE942ELNS1_3gpuE9ELNS1_3repE0EEENS1_30default_config_static_selectorELNS0_4arch9wavefront6targetE0EEEvT1_
; %bb.0:
	.section	.rodata,"a",@progbits
	.p2align	6, 0x0
	.amdhsa_kernel _ZN7rocprim17ROCPRIM_400000_NS6detail17trampoline_kernelINS0_14default_configENS1_25partition_config_selectorILNS1_17partition_subalgoE6EyNS0_10empty_typeEbEEZZNS1_14partition_implILS5_6ELb0ES3_mN6thrust23THRUST_200600_302600_NS6detail15normal_iteratorINSA_10device_ptrIyEEEEPS6_SG_NS0_5tupleIJSF_S6_EEENSH_IJSG_SG_EEES6_PlJNSB_9not_fun_tINSB_14equal_to_valueIyEEEEEEE10hipError_tPvRmT3_T4_T5_T6_T7_T9_mT8_P12ihipStream_tbDpT10_ENKUlT_T0_E_clISt17integral_constantIbLb1EES18_EEDaS13_S14_EUlS13_E_NS1_11comp_targetILNS1_3genE5ELNS1_11target_archE942ELNS1_3gpuE9ELNS1_3repE0EEENS1_30default_config_static_selectorELNS0_4arch9wavefront6targetE0EEEvT1_
		.amdhsa_group_segment_fixed_size 0
		.amdhsa_private_segment_fixed_size 0
		.amdhsa_kernarg_size 128
		.amdhsa_user_sgpr_count 2
		.amdhsa_user_sgpr_dispatch_ptr 0
		.amdhsa_user_sgpr_queue_ptr 0
		.amdhsa_user_sgpr_kernarg_segment_ptr 1
		.amdhsa_user_sgpr_dispatch_id 0
		.amdhsa_user_sgpr_private_segment_size 0
		.amdhsa_wavefront_size32 1
		.amdhsa_uses_dynamic_stack 0
		.amdhsa_enable_private_segment 0
		.amdhsa_system_sgpr_workgroup_id_x 1
		.amdhsa_system_sgpr_workgroup_id_y 0
		.amdhsa_system_sgpr_workgroup_id_z 0
		.amdhsa_system_sgpr_workgroup_info 0
		.amdhsa_system_vgpr_workitem_id 0
		.amdhsa_next_free_vgpr 1
		.amdhsa_next_free_sgpr 1
		.amdhsa_reserve_vcc 0
		.amdhsa_float_round_mode_32 0
		.amdhsa_float_round_mode_16_64 0
		.amdhsa_float_denorm_mode_32 3
		.amdhsa_float_denorm_mode_16_64 3
		.amdhsa_fp16_overflow 0
		.amdhsa_workgroup_processor_mode 1
		.amdhsa_memory_ordered 1
		.amdhsa_forward_progress 1
		.amdhsa_inst_pref_size 0
		.amdhsa_round_robin_scheduling 0
		.amdhsa_exception_fp_ieee_invalid_op 0
		.amdhsa_exception_fp_denorm_src 0
		.amdhsa_exception_fp_ieee_div_zero 0
		.amdhsa_exception_fp_ieee_overflow 0
		.amdhsa_exception_fp_ieee_underflow 0
		.amdhsa_exception_fp_ieee_inexact 0
		.amdhsa_exception_int_div_zero 0
	.end_amdhsa_kernel
	.section	.text._ZN7rocprim17ROCPRIM_400000_NS6detail17trampoline_kernelINS0_14default_configENS1_25partition_config_selectorILNS1_17partition_subalgoE6EyNS0_10empty_typeEbEEZZNS1_14partition_implILS5_6ELb0ES3_mN6thrust23THRUST_200600_302600_NS6detail15normal_iteratorINSA_10device_ptrIyEEEEPS6_SG_NS0_5tupleIJSF_S6_EEENSH_IJSG_SG_EEES6_PlJNSB_9not_fun_tINSB_14equal_to_valueIyEEEEEEE10hipError_tPvRmT3_T4_T5_T6_T7_T9_mT8_P12ihipStream_tbDpT10_ENKUlT_T0_E_clISt17integral_constantIbLb1EES18_EEDaS13_S14_EUlS13_E_NS1_11comp_targetILNS1_3genE5ELNS1_11target_archE942ELNS1_3gpuE9ELNS1_3repE0EEENS1_30default_config_static_selectorELNS0_4arch9wavefront6targetE0EEEvT1_,"axG",@progbits,_ZN7rocprim17ROCPRIM_400000_NS6detail17trampoline_kernelINS0_14default_configENS1_25partition_config_selectorILNS1_17partition_subalgoE6EyNS0_10empty_typeEbEEZZNS1_14partition_implILS5_6ELb0ES3_mN6thrust23THRUST_200600_302600_NS6detail15normal_iteratorINSA_10device_ptrIyEEEEPS6_SG_NS0_5tupleIJSF_S6_EEENSH_IJSG_SG_EEES6_PlJNSB_9not_fun_tINSB_14equal_to_valueIyEEEEEEE10hipError_tPvRmT3_T4_T5_T6_T7_T9_mT8_P12ihipStream_tbDpT10_ENKUlT_T0_E_clISt17integral_constantIbLb1EES18_EEDaS13_S14_EUlS13_E_NS1_11comp_targetILNS1_3genE5ELNS1_11target_archE942ELNS1_3gpuE9ELNS1_3repE0EEENS1_30default_config_static_selectorELNS0_4arch9wavefront6targetE0EEEvT1_,comdat
.Lfunc_end350:
	.size	_ZN7rocprim17ROCPRIM_400000_NS6detail17trampoline_kernelINS0_14default_configENS1_25partition_config_selectorILNS1_17partition_subalgoE6EyNS0_10empty_typeEbEEZZNS1_14partition_implILS5_6ELb0ES3_mN6thrust23THRUST_200600_302600_NS6detail15normal_iteratorINSA_10device_ptrIyEEEEPS6_SG_NS0_5tupleIJSF_S6_EEENSH_IJSG_SG_EEES6_PlJNSB_9not_fun_tINSB_14equal_to_valueIyEEEEEEE10hipError_tPvRmT3_T4_T5_T6_T7_T9_mT8_P12ihipStream_tbDpT10_ENKUlT_T0_E_clISt17integral_constantIbLb1EES18_EEDaS13_S14_EUlS13_E_NS1_11comp_targetILNS1_3genE5ELNS1_11target_archE942ELNS1_3gpuE9ELNS1_3repE0EEENS1_30default_config_static_selectorELNS0_4arch9wavefront6targetE0EEEvT1_, .Lfunc_end350-_ZN7rocprim17ROCPRIM_400000_NS6detail17trampoline_kernelINS0_14default_configENS1_25partition_config_selectorILNS1_17partition_subalgoE6EyNS0_10empty_typeEbEEZZNS1_14partition_implILS5_6ELb0ES3_mN6thrust23THRUST_200600_302600_NS6detail15normal_iteratorINSA_10device_ptrIyEEEEPS6_SG_NS0_5tupleIJSF_S6_EEENSH_IJSG_SG_EEES6_PlJNSB_9not_fun_tINSB_14equal_to_valueIyEEEEEEE10hipError_tPvRmT3_T4_T5_T6_T7_T9_mT8_P12ihipStream_tbDpT10_ENKUlT_T0_E_clISt17integral_constantIbLb1EES18_EEDaS13_S14_EUlS13_E_NS1_11comp_targetILNS1_3genE5ELNS1_11target_archE942ELNS1_3gpuE9ELNS1_3repE0EEENS1_30default_config_static_selectorELNS0_4arch9wavefront6targetE0EEEvT1_
                                        ; -- End function
	.set _ZN7rocprim17ROCPRIM_400000_NS6detail17trampoline_kernelINS0_14default_configENS1_25partition_config_selectorILNS1_17partition_subalgoE6EyNS0_10empty_typeEbEEZZNS1_14partition_implILS5_6ELb0ES3_mN6thrust23THRUST_200600_302600_NS6detail15normal_iteratorINSA_10device_ptrIyEEEEPS6_SG_NS0_5tupleIJSF_S6_EEENSH_IJSG_SG_EEES6_PlJNSB_9not_fun_tINSB_14equal_to_valueIyEEEEEEE10hipError_tPvRmT3_T4_T5_T6_T7_T9_mT8_P12ihipStream_tbDpT10_ENKUlT_T0_E_clISt17integral_constantIbLb1EES18_EEDaS13_S14_EUlS13_E_NS1_11comp_targetILNS1_3genE5ELNS1_11target_archE942ELNS1_3gpuE9ELNS1_3repE0EEENS1_30default_config_static_selectorELNS0_4arch9wavefront6targetE0EEEvT1_.num_vgpr, 0
	.set _ZN7rocprim17ROCPRIM_400000_NS6detail17trampoline_kernelINS0_14default_configENS1_25partition_config_selectorILNS1_17partition_subalgoE6EyNS0_10empty_typeEbEEZZNS1_14partition_implILS5_6ELb0ES3_mN6thrust23THRUST_200600_302600_NS6detail15normal_iteratorINSA_10device_ptrIyEEEEPS6_SG_NS0_5tupleIJSF_S6_EEENSH_IJSG_SG_EEES6_PlJNSB_9not_fun_tINSB_14equal_to_valueIyEEEEEEE10hipError_tPvRmT3_T4_T5_T6_T7_T9_mT8_P12ihipStream_tbDpT10_ENKUlT_T0_E_clISt17integral_constantIbLb1EES18_EEDaS13_S14_EUlS13_E_NS1_11comp_targetILNS1_3genE5ELNS1_11target_archE942ELNS1_3gpuE9ELNS1_3repE0EEENS1_30default_config_static_selectorELNS0_4arch9wavefront6targetE0EEEvT1_.num_agpr, 0
	.set _ZN7rocprim17ROCPRIM_400000_NS6detail17trampoline_kernelINS0_14default_configENS1_25partition_config_selectorILNS1_17partition_subalgoE6EyNS0_10empty_typeEbEEZZNS1_14partition_implILS5_6ELb0ES3_mN6thrust23THRUST_200600_302600_NS6detail15normal_iteratorINSA_10device_ptrIyEEEEPS6_SG_NS0_5tupleIJSF_S6_EEENSH_IJSG_SG_EEES6_PlJNSB_9not_fun_tINSB_14equal_to_valueIyEEEEEEE10hipError_tPvRmT3_T4_T5_T6_T7_T9_mT8_P12ihipStream_tbDpT10_ENKUlT_T0_E_clISt17integral_constantIbLb1EES18_EEDaS13_S14_EUlS13_E_NS1_11comp_targetILNS1_3genE5ELNS1_11target_archE942ELNS1_3gpuE9ELNS1_3repE0EEENS1_30default_config_static_selectorELNS0_4arch9wavefront6targetE0EEEvT1_.numbered_sgpr, 0
	.set _ZN7rocprim17ROCPRIM_400000_NS6detail17trampoline_kernelINS0_14default_configENS1_25partition_config_selectorILNS1_17partition_subalgoE6EyNS0_10empty_typeEbEEZZNS1_14partition_implILS5_6ELb0ES3_mN6thrust23THRUST_200600_302600_NS6detail15normal_iteratorINSA_10device_ptrIyEEEEPS6_SG_NS0_5tupleIJSF_S6_EEENSH_IJSG_SG_EEES6_PlJNSB_9not_fun_tINSB_14equal_to_valueIyEEEEEEE10hipError_tPvRmT3_T4_T5_T6_T7_T9_mT8_P12ihipStream_tbDpT10_ENKUlT_T0_E_clISt17integral_constantIbLb1EES18_EEDaS13_S14_EUlS13_E_NS1_11comp_targetILNS1_3genE5ELNS1_11target_archE942ELNS1_3gpuE9ELNS1_3repE0EEENS1_30default_config_static_selectorELNS0_4arch9wavefront6targetE0EEEvT1_.num_named_barrier, 0
	.set _ZN7rocprim17ROCPRIM_400000_NS6detail17trampoline_kernelINS0_14default_configENS1_25partition_config_selectorILNS1_17partition_subalgoE6EyNS0_10empty_typeEbEEZZNS1_14partition_implILS5_6ELb0ES3_mN6thrust23THRUST_200600_302600_NS6detail15normal_iteratorINSA_10device_ptrIyEEEEPS6_SG_NS0_5tupleIJSF_S6_EEENSH_IJSG_SG_EEES6_PlJNSB_9not_fun_tINSB_14equal_to_valueIyEEEEEEE10hipError_tPvRmT3_T4_T5_T6_T7_T9_mT8_P12ihipStream_tbDpT10_ENKUlT_T0_E_clISt17integral_constantIbLb1EES18_EEDaS13_S14_EUlS13_E_NS1_11comp_targetILNS1_3genE5ELNS1_11target_archE942ELNS1_3gpuE9ELNS1_3repE0EEENS1_30default_config_static_selectorELNS0_4arch9wavefront6targetE0EEEvT1_.private_seg_size, 0
	.set _ZN7rocprim17ROCPRIM_400000_NS6detail17trampoline_kernelINS0_14default_configENS1_25partition_config_selectorILNS1_17partition_subalgoE6EyNS0_10empty_typeEbEEZZNS1_14partition_implILS5_6ELb0ES3_mN6thrust23THRUST_200600_302600_NS6detail15normal_iteratorINSA_10device_ptrIyEEEEPS6_SG_NS0_5tupleIJSF_S6_EEENSH_IJSG_SG_EEES6_PlJNSB_9not_fun_tINSB_14equal_to_valueIyEEEEEEE10hipError_tPvRmT3_T4_T5_T6_T7_T9_mT8_P12ihipStream_tbDpT10_ENKUlT_T0_E_clISt17integral_constantIbLb1EES18_EEDaS13_S14_EUlS13_E_NS1_11comp_targetILNS1_3genE5ELNS1_11target_archE942ELNS1_3gpuE9ELNS1_3repE0EEENS1_30default_config_static_selectorELNS0_4arch9wavefront6targetE0EEEvT1_.uses_vcc, 0
	.set _ZN7rocprim17ROCPRIM_400000_NS6detail17trampoline_kernelINS0_14default_configENS1_25partition_config_selectorILNS1_17partition_subalgoE6EyNS0_10empty_typeEbEEZZNS1_14partition_implILS5_6ELb0ES3_mN6thrust23THRUST_200600_302600_NS6detail15normal_iteratorINSA_10device_ptrIyEEEEPS6_SG_NS0_5tupleIJSF_S6_EEENSH_IJSG_SG_EEES6_PlJNSB_9not_fun_tINSB_14equal_to_valueIyEEEEEEE10hipError_tPvRmT3_T4_T5_T6_T7_T9_mT8_P12ihipStream_tbDpT10_ENKUlT_T0_E_clISt17integral_constantIbLb1EES18_EEDaS13_S14_EUlS13_E_NS1_11comp_targetILNS1_3genE5ELNS1_11target_archE942ELNS1_3gpuE9ELNS1_3repE0EEENS1_30default_config_static_selectorELNS0_4arch9wavefront6targetE0EEEvT1_.uses_flat_scratch, 0
	.set _ZN7rocprim17ROCPRIM_400000_NS6detail17trampoline_kernelINS0_14default_configENS1_25partition_config_selectorILNS1_17partition_subalgoE6EyNS0_10empty_typeEbEEZZNS1_14partition_implILS5_6ELb0ES3_mN6thrust23THRUST_200600_302600_NS6detail15normal_iteratorINSA_10device_ptrIyEEEEPS6_SG_NS0_5tupleIJSF_S6_EEENSH_IJSG_SG_EEES6_PlJNSB_9not_fun_tINSB_14equal_to_valueIyEEEEEEE10hipError_tPvRmT3_T4_T5_T6_T7_T9_mT8_P12ihipStream_tbDpT10_ENKUlT_T0_E_clISt17integral_constantIbLb1EES18_EEDaS13_S14_EUlS13_E_NS1_11comp_targetILNS1_3genE5ELNS1_11target_archE942ELNS1_3gpuE9ELNS1_3repE0EEENS1_30default_config_static_selectorELNS0_4arch9wavefront6targetE0EEEvT1_.has_dyn_sized_stack, 0
	.set _ZN7rocprim17ROCPRIM_400000_NS6detail17trampoline_kernelINS0_14default_configENS1_25partition_config_selectorILNS1_17partition_subalgoE6EyNS0_10empty_typeEbEEZZNS1_14partition_implILS5_6ELb0ES3_mN6thrust23THRUST_200600_302600_NS6detail15normal_iteratorINSA_10device_ptrIyEEEEPS6_SG_NS0_5tupleIJSF_S6_EEENSH_IJSG_SG_EEES6_PlJNSB_9not_fun_tINSB_14equal_to_valueIyEEEEEEE10hipError_tPvRmT3_T4_T5_T6_T7_T9_mT8_P12ihipStream_tbDpT10_ENKUlT_T0_E_clISt17integral_constantIbLb1EES18_EEDaS13_S14_EUlS13_E_NS1_11comp_targetILNS1_3genE5ELNS1_11target_archE942ELNS1_3gpuE9ELNS1_3repE0EEENS1_30default_config_static_selectorELNS0_4arch9wavefront6targetE0EEEvT1_.has_recursion, 0
	.set _ZN7rocprim17ROCPRIM_400000_NS6detail17trampoline_kernelINS0_14default_configENS1_25partition_config_selectorILNS1_17partition_subalgoE6EyNS0_10empty_typeEbEEZZNS1_14partition_implILS5_6ELb0ES3_mN6thrust23THRUST_200600_302600_NS6detail15normal_iteratorINSA_10device_ptrIyEEEEPS6_SG_NS0_5tupleIJSF_S6_EEENSH_IJSG_SG_EEES6_PlJNSB_9not_fun_tINSB_14equal_to_valueIyEEEEEEE10hipError_tPvRmT3_T4_T5_T6_T7_T9_mT8_P12ihipStream_tbDpT10_ENKUlT_T0_E_clISt17integral_constantIbLb1EES18_EEDaS13_S14_EUlS13_E_NS1_11comp_targetILNS1_3genE5ELNS1_11target_archE942ELNS1_3gpuE9ELNS1_3repE0EEENS1_30default_config_static_selectorELNS0_4arch9wavefront6targetE0EEEvT1_.has_indirect_call, 0
	.section	.AMDGPU.csdata,"",@progbits
; Kernel info:
; codeLenInByte = 0
; TotalNumSgprs: 0
; NumVgprs: 0
; ScratchSize: 0
; MemoryBound: 0
; FloatMode: 240
; IeeeMode: 1
; LDSByteSize: 0 bytes/workgroup (compile time only)
; SGPRBlocks: 0
; VGPRBlocks: 0
; NumSGPRsForWavesPerEU: 1
; NumVGPRsForWavesPerEU: 1
; Occupancy: 16
; WaveLimiterHint : 0
; COMPUTE_PGM_RSRC2:SCRATCH_EN: 0
; COMPUTE_PGM_RSRC2:USER_SGPR: 2
; COMPUTE_PGM_RSRC2:TRAP_HANDLER: 0
; COMPUTE_PGM_RSRC2:TGID_X_EN: 1
; COMPUTE_PGM_RSRC2:TGID_Y_EN: 0
; COMPUTE_PGM_RSRC2:TGID_Z_EN: 0
; COMPUTE_PGM_RSRC2:TIDIG_COMP_CNT: 0
	.section	.text._ZN7rocprim17ROCPRIM_400000_NS6detail17trampoline_kernelINS0_14default_configENS1_25partition_config_selectorILNS1_17partition_subalgoE6EyNS0_10empty_typeEbEEZZNS1_14partition_implILS5_6ELb0ES3_mN6thrust23THRUST_200600_302600_NS6detail15normal_iteratorINSA_10device_ptrIyEEEEPS6_SG_NS0_5tupleIJSF_S6_EEENSH_IJSG_SG_EEES6_PlJNSB_9not_fun_tINSB_14equal_to_valueIyEEEEEEE10hipError_tPvRmT3_T4_T5_T6_T7_T9_mT8_P12ihipStream_tbDpT10_ENKUlT_T0_E_clISt17integral_constantIbLb1EES18_EEDaS13_S14_EUlS13_E_NS1_11comp_targetILNS1_3genE4ELNS1_11target_archE910ELNS1_3gpuE8ELNS1_3repE0EEENS1_30default_config_static_selectorELNS0_4arch9wavefront6targetE0EEEvT1_,"axG",@progbits,_ZN7rocprim17ROCPRIM_400000_NS6detail17trampoline_kernelINS0_14default_configENS1_25partition_config_selectorILNS1_17partition_subalgoE6EyNS0_10empty_typeEbEEZZNS1_14partition_implILS5_6ELb0ES3_mN6thrust23THRUST_200600_302600_NS6detail15normal_iteratorINSA_10device_ptrIyEEEEPS6_SG_NS0_5tupleIJSF_S6_EEENSH_IJSG_SG_EEES6_PlJNSB_9not_fun_tINSB_14equal_to_valueIyEEEEEEE10hipError_tPvRmT3_T4_T5_T6_T7_T9_mT8_P12ihipStream_tbDpT10_ENKUlT_T0_E_clISt17integral_constantIbLb1EES18_EEDaS13_S14_EUlS13_E_NS1_11comp_targetILNS1_3genE4ELNS1_11target_archE910ELNS1_3gpuE8ELNS1_3repE0EEENS1_30default_config_static_selectorELNS0_4arch9wavefront6targetE0EEEvT1_,comdat
	.protected	_ZN7rocprim17ROCPRIM_400000_NS6detail17trampoline_kernelINS0_14default_configENS1_25partition_config_selectorILNS1_17partition_subalgoE6EyNS0_10empty_typeEbEEZZNS1_14partition_implILS5_6ELb0ES3_mN6thrust23THRUST_200600_302600_NS6detail15normal_iteratorINSA_10device_ptrIyEEEEPS6_SG_NS0_5tupleIJSF_S6_EEENSH_IJSG_SG_EEES6_PlJNSB_9not_fun_tINSB_14equal_to_valueIyEEEEEEE10hipError_tPvRmT3_T4_T5_T6_T7_T9_mT8_P12ihipStream_tbDpT10_ENKUlT_T0_E_clISt17integral_constantIbLb1EES18_EEDaS13_S14_EUlS13_E_NS1_11comp_targetILNS1_3genE4ELNS1_11target_archE910ELNS1_3gpuE8ELNS1_3repE0EEENS1_30default_config_static_selectorELNS0_4arch9wavefront6targetE0EEEvT1_ ; -- Begin function _ZN7rocprim17ROCPRIM_400000_NS6detail17trampoline_kernelINS0_14default_configENS1_25partition_config_selectorILNS1_17partition_subalgoE6EyNS0_10empty_typeEbEEZZNS1_14partition_implILS5_6ELb0ES3_mN6thrust23THRUST_200600_302600_NS6detail15normal_iteratorINSA_10device_ptrIyEEEEPS6_SG_NS0_5tupleIJSF_S6_EEENSH_IJSG_SG_EEES6_PlJNSB_9not_fun_tINSB_14equal_to_valueIyEEEEEEE10hipError_tPvRmT3_T4_T5_T6_T7_T9_mT8_P12ihipStream_tbDpT10_ENKUlT_T0_E_clISt17integral_constantIbLb1EES18_EEDaS13_S14_EUlS13_E_NS1_11comp_targetILNS1_3genE4ELNS1_11target_archE910ELNS1_3gpuE8ELNS1_3repE0EEENS1_30default_config_static_selectorELNS0_4arch9wavefront6targetE0EEEvT1_
	.globl	_ZN7rocprim17ROCPRIM_400000_NS6detail17trampoline_kernelINS0_14default_configENS1_25partition_config_selectorILNS1_17partition_subalgoE6EyNS0_10empty_typeEbEEZZNS1_14partition_implILS5_6ELb0ES3_mN6thrust23THRUST_200600_302600_NS6detail15normal_iteratorINSA_10device_ptrIyEEEEPS6_SG_NS0_5tupleIJSF_S6_EEENSH_IJSG_SG_EEES6_PlJNSB_9not_fun_tINSB_14equal_to_valueIyEEEEEEE10hipError_tPvRmT3_T4_T5_T6_T7_T9_mT8_P12ihipStream_tbDpT10_ENKUlT_T0_E_clISt17integral_constantIbLb1EES18_EEDaS13_S14_EUlS13_E_NS1_11comp_targetILNS1_3genE4ELNS1_11target_archE910ELNS1_3gpuE8ELNS1_3repE0EEENS1_30default_config_static_selectorELNS0_4arch9wavefront6targetE0EEEvT1_
	.p2align	8
	.type	_ZN7rocprim17ROCPRIM_400000_NS6detail17trampoline_kernelINS0_14default_configENS1_25partition_config_selectorILNS1_17partition_subalgoE6EyNS0_10empty_typeEbEEZZNS1_14partition_implILS5_6ELb0ES3_mN6thrust23THRUST_200600_302600_NS6detail15normal_iteratorINSA_10device_ptrIyEEEEPS6_SG_NS0_5tupleIJSF_S6_EEENSH_IJSG_SG_EEES6_PlJNSB_9not_fun_tINSB_14equal_to_valueIyEEEEEEE10hipError_tPvRmT3_T4_T5_T6_T7_T9_mT8_P12ihipStream_tbDpT10_ENKUlT_T0_E_clISt17integral_constantIbLb1EES18_EEDaS13_S14_EUlS13_E_NS1_11comp_targetILNS1_3genE4ELNS1_11target_archE910ELNS1_3gpuE8ELNS1_3repE0EEENS1_30default_config_static_selectorELNS0_4arch9wavefront6targetE0EEEvT1_,@function
_ZN7rocprim17ROCPRIM_400000_NS6detail17trampoline_kernelINS0_14default_configENS1_25partition_config_selectorILNS1_17partition_subalgoE6EyNS0_10empty_typeEbEEZZNS1_14partition_implILS5_6ELb0ES3_mN6thrust23THRUST_200600_302600_NS6detail15normal_iteratorINSA_10device_ptrIyEEEEPS6_SG_NS0_5tupleIJSF_S6_EEENSH_IJSG_SG_EEES6_PlJNSB_9not_fun_tINSB_14equal_to_valueIyEEEEEEE10hipError_tPvRmT3_T4_T5_T6_T7_T9_mT8_P12ihipStream_tbDpT10_ENKUlT_T0_E_clISt17integral_constantIbLb1EES18_EEDaS13_S14_EUlS13_E_NS1_11comp_targetILNS1_3genE4ELNS1_11target_archE910ELNS1_3gpuE8ELNS1_3repE0EEENS1_30default_config_static_selectorELNS0_4arch9wavefront6targetE0EEEvT1_: ; @_ZN7rocprim17ROCPRIM_400000_NS6detail17trampoline_kernelINS0_14default_configENS1_25partition_config_selectorILNS1_17partition_subalgoE6EyNS0_10empty_typeEbEEZZNS1_14partition_implILS5_6ELb0ES3_mN6thrust23THRUST_200600_302600_NS6detail15normal_iteratorINSA_10device_ptrIyEEEEPS6_SG_NS0_5tupleIJSF_S6_EEENSH_IJSG_SG_EEES6_PlJNSB_9not_fun_tINSB_14equal_to_valueIyEEEEEEE10hipError_tPvRmT3_T4_T5_T6_T7_T9_mT8_P12ihipStream_tbDpT10_ENKUlT_T0_E_clISt17integral_constantIbLb1EES18_EEDaS13_S14_EUlS13_E_NS1_11comp_targetILNS1_3genE4ELNS1_11target_archE910ELNS1_3gpuE8ELNS1_3repE0EEENS1_30default_config_static_selectorELNS0_4arch9wavefront6targetE0EEEvT1_
; %bb.0:
	.section	.rodata,"a",@progbits
	.p2align	6, 0x0
	.amdhsa_kernel _ZN7rocprim17ROCPRIM_400000_NS6detail17trampoline_kernelINS0_14default_configENS1_25partition_config_selectorILNS1_17partition_subalgoE6EyNS0_10empty_typeEbEEZZNS1_14partition_implILS5_6ELb0ES3_mN6thrust23THRUST_200600_302600_NS6detail15normal_iteratorINSA_10device_ptrIyEEEEPS6_SG_NS0_5tupleIJSF_S6_EEENSH_IJSG_SG_EEES6_PlJNSB_9not_fun_tINSB_14equal_to_valueIyEEEEEEE10hipError_tPvRmT3_T4_T5_T6_T7_T9_mT8_P12ihipStream_tbDpT10_ENKUlT_T0_E_clISt17integral_constantIbLb1EES18_EEDaS13_S14_EUlS13_E_NS1_11comp_targetILNS1_3genE4ELNS1_11target_archE910ELNS1_3gpuE8ELNS1_3repE0EEENS1_30default_config_static_selectorELNS0_4arch9wavefront6targetE0EEEvT1_
		.amdhsa_group_segment_fixed_size 0
		.amdhsa_private_segment_fixed_size 0
		.amdhsa_kernarg_size 128
		.amdhsa_user_sgpr_count 2
		.amdhsa_user_sgpr_dispatch_ptr 0
		.amdhsa_user_sgpr_queue_ptr 0
		.amdhsa_user_sgpr_kernarg_segment_ptr 1
		.amdhsa_user_sgpr_dispatch_id 0
		.amdhsa_user_sgpr_private_segment_size 0
		.amdhsa_wavefront_size32 1
		.amdhsa_uses_dynamic_stack 0
		.amdhsa_enable_private_segment 0
		.amdhsa_system_sgpr_workgroup_id_x 1
		.amdhsa_system_sgpr_workgroup_id_y 0
		.amdhsa_system_sgpr_workgroup_id_z 0
		.amdhsa_system_sgpr_workgroup_info 0
		.amdhsa_system_vgpr_workitem_id 0
		.amdhsa_next_free_vgpr 1
		.amdhsa_next_free_sgpr 1
		.amdhsa_reserve_vcc 0
		.amdhsa_float_round_mode_32 0
		.amdhsa_float_round_mode_16_64 0
		.amdhsa_float_denorm_mode_32 3
		.amdhsa_float_denorm_mode_16_64 3
		.amdhsa_fp16_overflow 0
		.amdhsa_workgroup_processor_mode 1
		.amdhsa_memory_ordered 1
		.amdhsa_forward_progress 1
		.amdhsa_inst_pref_size 0
		.amdhsa_round_robin_scheduling 0
		.amdhsa_exception_fp_ieee_invalid_op 0
		.amdhsa_exception_fp_denorm_src 0
		.amdhsa_exception_fp_ieee_div_zero 0
		.amdhsa_exception_fp_ieee_overflow 0
		.amdhsa_exception_fp_ieee_underflow 0
		.amdhsa_exception_fp_ieee_inexact 0
		.amdhsa_exception_int_div_zero 0
	.end_amdhsa_kernel
	.section	.text._ZN7rocprim17ROCPRIM_400000_NS6detail17trampoline_kernelINS0_14default_configENS1_25partition_config_selectorILNS1_17partition_subalgoE6EyNS0_10empty_typeEbEEZZNS1_14partition_implILS5_6ELb0ES3_mN6thrust23THRUST_200600_302600_NS6detail15normal_iteratorINSA_10device_ptrIyEEEEPS6_SG_NS0_5tupleIJSF_S6_EEENSH_IJSG_SG_EEES6_PlJNSB_9not_fun_tINSB_14equal_to_valueIyEEEEEEE10hipError_tPvRmT3_T4_T5_T6_T7_T9_mT8_P12ihipStream_tbDpT10_ENKUlT_T0_E_clISt17integral_constantIbLb1EES18_EEDaS13_S14_EUlS13_E_NS1_11comp_targetILNS1_3genE4ELNS1_11target_archE910ELNS1_3gpuE8ELNS1_3repE0EEENS1_30default_config_static_selectorELNS0_4arch9wavefront6targetE0EEEvT1_,"axG",@progbits,_ZN7rocprim17ROCPRIM_400000_NS6detail17trampoline_kernelINS0_14default_configENS1_25partition_config_selectorILNS1_17partition_subalgoE6EyNS0_10empty_typeEbEEZZNS1_14partition_implILS5_6ELb0ES3_mN6thrust23THRUST_200600_302600_NS6detail15normal_iteratorINSA_10device_ptrIyEEEEPS6_SG_NS0_5tupleIJSF_S6_EEENSH_IJSG_SG_EEES6_PlJNSB_9not_fun_tINSB_14equal_to_valueIyEEEEEEE10hipError_tPvRmT3_T4_T5_T6_T7_T9_mT8_P12ihipStream_tbDpT10_ENKUlT_T0_E_clISt17integral_constantIbLb1EES18_EEDaS13_S14_EUlS13_E_NS1_11comp_targetILNS1_3genE4ELNS1_11target_archE910ELNS1_3gpuE8ELNS1_3repE0EEENS1_30default_config_static_selectorELNS0_4arch9wavefront6targetE0EEEvT1_,comdat
.Lfunc_end351:
	.size	_ZN7rocprim17ROCPRIM_400000_NS6detail17trampoline_kernelINS0_14default_configENS1_25partition_config_selectorILNS1_17partition_subalgoE6EyNS0_10empty_typeEbEEZZNS1_14partition_implILS5_6ELb0ES3_mN6thrust23THRUST_200600_302600_NS6detail15normal_iteratorINSA_10device_ptrIyEEEEPS6_SG_NS0_5tupleIJSF_S6_EEENSH_IJSG_SG_EEES6_PlJNSB_9not_fun_tINSB_14equal_to_valueIyEEEEEEE10hipError_tPvRmT3_T4_T5_T6_T7_T9_mT8_P12ihipStream_tbDpT10_ENKUlT_T0_E_clISt17integral_constantIbLb1EES18_EEDaS13_S14_EUlS13_E_NS1_11comp_targetILNS1_3genE4ELNS1_11target_archE910ELNS1_3gpuE8ELNS1_3repE0EEENS1_30default_config_static_selectorELNS0_4arch9wavefront6targetE0EEEvT1_, .Lfunc_end351-_ZN7rocprim17ROCPRIM_400000_NS6detail17trampoline_kernelINS0_14default_configENS1_25partition_config_selectorILNS1_17partition_subalgoE6EyNS0_10empty_typeEbEEZZNS1_14partition_implILS5_6ELb0ES3_mN6thrust23THRUST_200600_302600_NS6detail15normal_iteratorINSA_10device_ptrIyEEEEPS6_SG_NS0_5tupleIJSF_S6_EEENSH_IJSG_SG_EEES6_PlJNSB_9not_fun_tINSB_14equal_to_valueIyEEEEEEE10hipError_tPvRmT3_T4_T5_T6_T7_T9_mT8_P12ihipStream_tbDpT10_ENKUlT_T0_E_clISt17integral_constantIbLb1EES18_EEDaS13_S14_EUlS13_E_NS1_11comp_targetILNS1_3genE4ELNS1_11target_archE910ELNS1_3gpuE8ELNS1_3repE0EEENS1_30default_config_static_selectorELNS0_4arch9wavefront6targetE0EEEvT1_
                                        ; -- End function
	.set _ZN7rocprim17ROCPRIM_400000_NS6detail17trampoline_kernelINS0_14default_configENS1_25partition_config_selectorILNS1_17partition_subalgoE6EyNS0_10empty_typeEbEEZZNS1_14partition_implILS5_6ELb0ES3_mN6thrust23THRUST_200600_302600_NS6detail15normal_iteratorINSA_10device_ptrIyEEEEPS6_SG_NS0_5tupleIJSF_S6_EEENSH_IJSG_SG_EEES6_PlJNSB_9not_fun_tINSB_14equal_to_valueIyEEEEEEE10hipError_tPvRmT3_T4_T5_T6_T7_T9_mT8_P12ihipStream_tbDpT10_ENKUlT_T0_E_clISt17integral_constantIbLb1EES18_EEDaS13_S14_EUlS13_E_NS1_11comp_targetILNS1_3genE4ELNS1_11target_archE910ELNS1_3gpuE8ELNS1_3repE0EEENS1_30default_config_static_selectorELNS0_4arch9wavefront6targetE0EEEvT1_.num_vgpr, 0
	.set _ZN7rocprim17ROCPRIM_400000_NS6detail17trampoline_kernelINS0_14default_configENS1_25partition_config_selectorILNS1_17partition_subalgoE6EyNS0_10empty_typeEbEEZZNS1_14partition_implILS5_6ELb0ES3_mN6thrust23THRUST_200600_302600_NS6detail15normal_iteratorINSA_10device_ptrIyEEEEPS6_SG_NS0_5tupleIJSF_S6_EEENSH_IJSG_SG_EEES6_PlJNSB_9not_fun_tINSB_14equal_to_valueIyEEEEEEE10hipError_tPvRmT3_T4_T5_T6_T7_T9_mT8_P12ihipStream_tbDpT10_ENKUlT_T0_E_clISt17integral_constantIbLb1EES18_EEDaS13_S14_EUlS13_E_NS1_11comp_targetILNS1_3genE4ELNS1_11target_archE910ELNS1_3gpuE8ELNS1_3repE0EEENS1_30default_config_static_selectorELNS0_4arch9wavefront6targetE0EEEvT1_.num_agpr, 0
	.set _ZN7rocprim17ROCPRIM_400000_NS6detail17trampoline_kernelINS0_14default_configENS1_25partition_config_selectorILNS1_17partition_subalgoE6EyNS0_10empty_typeEbEEZZNS1_14partition_implILS5_6ELb0ES3_mN6thrust23THRUST_200600_302600_NS6detail15normal_iteratorINSA_10device_ptrIyEEEEPS6_SG_NS0_5tupleIJSF_S6_EEENSH_IJSG_SG_EEES6_PlJNSB_9not_fun_tINSB_14equal_to_valueIyEEEEEEE10hipError_tPvRmT3_T4_T5_T6_T7_T9_mT8_P12ihipStream_tbDpT10_ENKUlT_T0_E_clISt17integral_constantIbLb1EES18_EEDaS13_S14_EUlS13_E_NS1_11comp_targetILNS1_3genE4ELNS1_11target_archE910ELNS1_3gpuE8ELNS1_3repE0EEENS1_30default_config_static_selectorELNS0_4arch9wavefront6targetE0EEEvT1_.numbered_sgpr, 0
	.set _ZN7rocprim17ROCPRIM_400000_NS6detail17trampoline_kernelINS0_14default_configENS1_25partition_config_selectorILNS1_17partition_subalgoE6EyNS0_10empty_typeEbEEZZNS1_14partition_implILS5_6ELb0ES3_mN6thrust23THRUST_200600_302600_NS6detail15normal_iteratorINSA_10device_ptrIyEEEEPS6_SG_NS0_5tupleIJSF_S6_EEENSH_IJSG_SG_EEES6_PlJNSB_9not_fun_tINSB_14equal_to_valueIyEEEEEEE10hipError_tPvRmT3_T4_T5_T6_T7_T9_mT8_P12ihipStream_tbDpT10_ENKUlT_T0_E_clISt17integral_constantIbLb1EES18_EEDaS13_S14_EUlS13_E_NS1_11comp_targetILNS1_3genE4ELNS1_11target_archE910ELNS1_3gpuE8ELNS1_3repE0EEENS1_30default_config_static_selectorELNS0_4arch9wavefront6targetE0EEEvT1_.num_named_barrier, 0
	.set _ZN7rocprim17ROCPRIM_400000_NS6detail17trampoline_kernelINS0_14default_configENS1_25partition_config_selectorILNS1_17partition_subalgoE6EyNS0_10empty_typeEbEEZZNS1_14partition_implILS5_6ELb0ES3_mN6thrust23THRUST_200600_302600_NS6detail15normal_iteratorINSA_10device_ptrIyEEEEPS6_SG_NS0_5tupleIJSF_S6_EEENSH_IJSG_SG_EEES6_PlJNSB_9not_fun_tINSB_14equal_to_valueIyEEEEEEE10hipError_tPvRmT3_T4_T5_T6_T7_T9_mT8_P12ihipStream_tbDpT10_ENKUlT_T0_E_clISt17integral_constantIbLb1EES18_EEDaS13_S14_EUlS13_E_NS1_11comp_targetILNS1_3genE4ELNS1_11target_archE910ELNS1_3gpuE8ELNS1_3repE0EEENS1_30default_config_static_selectorELNS0_4arch9wavefront6targetE0EEEvT1_.private_seg_size, 0
	.set _ZN7rocprim17ROCPRIM_400000_NS6detail17trampoline_kernelINS0_14default_configENS1_25partition_config_selectorILNS1_17partition_subalgoE6EyNS0_10empty_typeEbEEZZNS1_14partition_implILS5_6ELb0ES3_mN6thrust23THRUST_200600_302600_NS6detail15normal_iteratorINSA_10device_ptrIyEEEEPS6_SG_NS0_5tupleIJSF_S6_EEENSH_IJSG_SG_EEES6_PlJNSB_9not_fun_tINSB_14equal_to_valueIyEEEEEEE10hipError_tPvRmT3_T4_T5_T6_T7_T9_mT8_P12ihipStream_tbDpT10_ENKUlT_T0_E_clISt17integral_constantIbLb1EES18_EEDaS13_S14_EUlS13_E_NS1_11comp_targetILNS1_3genE4ELNS1_11target_archE910ELNS1_3gpuE8ELNS1_3repE0EEENS1_30default_config_static_selectorELNS0_4arch9wavefront6targetE0EEEvT1_.uses_vcc, 0
	.set _ZN7rocprim17ROCPRIM_400000_NS6detail17trampoline_kernelINS0_14default_configENS1_25partition_config_selectorILNS1_17partition_subalgoE6EyNS0_10empty_typeEbEEZZNS1_14partition_implILS5_6ELb0ES3_mN6thrust23THRUST_200600_302600_NS6detail15normal_iteratorINSA_10device_ptrIyEEEEPS6_SG_NS0_5tupleIJSF_S6_EEENSH_IJSG_SG_EEES6_PlJNSB_9not_fun_tINSB_14equal_to_valueIyEEEEEEE10hipError_tPvRmT3_T4_T5_T6_T7_T9_mT8_P12ihipStream_tbDpT10_ENKUlT_T0_E_clISt17integral_constantIbLb1EES18_EEDaS13_S14_EUlS13_E_NS1_11comp_targetILNS1_3genE4ELNS1_11target_archE910ELNS1_3gpuE8ELNS1_3repE0EEENS1_30default_config_static_selectorELNS0_4arch9wavefront6targetE0EEEvT1_.uses_flat_scratch, 0
	.set _ZN7rocprim17ROCPRIM_400000_NS6detail17trampoline_kernelINS0_14default_configENS1_25partition_config_selectorILNS1_17partition_subalgoE6EyNS0_10empty_typeEbEEZZNS1_14partition_implILS5_6ELb0ES3_mN6thrust23THRUST_200600_302600_NS6detail15normal_iteratorINSA_10device_ptrIyEEEEPS6_SG_NS0_5tupleIJSF_S6_EEENSH_IJSG_SG_EEES6_PlJNSB_9not_fun_tINSB_14equal_to_valueIyEEEEEEE10hipError_tPvRmT3_T4_T5_T6_T7_T9_mT8_P12ihipStream_tbDpT10_ENKUlT_T0_E_clISt17integral_constantIbLb1EES18_EEDaS13_S14_EUlS13_E_NS1_11comp_targetILNS1_3genE4ELNS1_11target_archE910ELNS1_3gpuE8ELNS1_3repE0EEENS1_30default_config_static_selectorELNS0_4arch9wavefront6targetE0EEEvT1_.has_dyn_sized_stack, 0
	.set _ZN7rocprim17ROCPRIM_400000_NS6detail17trampoline_kernelINS0_14default_configENS1_25partition_config_selectorILNS1_17partition_subalgoE6EyNS0_10empty_typeEbEEZZNS1_14partition_implILS5_6ELb0ES3_mN6thrust23THRUST_200600_302600_NS6detail15normal_iteratorINSA_10device_ptrIyEEEEPS6_SG_NS0_5tupleIJSF_S6_EEENSH_IJSG_SG_EEES6_PlJNSB_9not_fun_tINSB_14equal_to_valueIyEEEEEEE10hipError_tPvRmT3_T4_T5_T6_T7_T9_mT8_P12ihipStream_tbDpT10_ENKUlT_T0_E_clISt17integral_constantIbLb1EES18_EEDaS13_S14_EUlS13_E_NS1_11comp_targetILNS1_3genE4ELNS1_11target_archE910ELNS1_3gpuE8ELNS1_3repE0EEENS1_30default_config_static_selectorELNS0_4arch9wavefront6targetE0EEEvT1_.has_recursion, 0
	.set _ZN7rocprim17ROCPRIM_400000_NS6detail17trampoline_kernelINS0_14default_configENS1_25partition_config_selectorILNS1_17partition_subalgoE6EyNS0_10empty_typeEbEEZZNS1_14partition_implILS5_6ELb0ES3_mN6thrust23THRUST_200600_302600_NS6detail15normal_iteratorINSA_10device_ptrIyEEEEPS6_SG_NS0_5tupleIJSF_S6_EEENSH_IJSG_SG_EEES6_PlJNSB_9not_fun_tINSB_14equal_to_valueIyEEEEEEE10hipError_tPvRmT3_T4_T5_T6_T7_T9_mT8_P12ihipStream_tbDpT10_ENKUlT_T0_E_clISt17integral_constantIbLb1EES18_EEDaS13_S14_EUlS13_E_NS1_11comp_targetILNS1_3genE4ELNS1_11target_archE910ELNS1_3gpuE8ELNS1_3repE0EEENS1_30default_config_static_selectorELNS0_4arch9wavefront6targetE0EEEvT1_.has_indirect_call, 0
	.section	.AMDGPU.csdata,"",@progbits
; Kernel info:
; codeLenInByte = 0
; TotalNumSgprs: 0
; NumVgprs: 0
; ScratchSize: 0
; MemoryBound: 0
; FloatMode: 240
; IeeeMode: 1
; LDSByteSize: 0 bytes/workgroup (compile time only)
; SGPRBlocks: 0
; VGPRBlocks: 0
; NumSGPRsForWavesPerEU: 1
; NumVGPRsForWavesPerEU: 1
; Occupancy: 16
; WaveLimiterHint : 0
; COMPUTE_PGM_RSRC2:SCRATCH_EN: 0
; COMPUTE_PGM_RSRC2:USER_SGPR: 2
; COMPUTE_PGM_RSRC2:TRAP_HANDLER: 0
; COMPUTE_PGM_RSRC2:TGID_X_EN: 1
; COMPUTE_PGM_RSRC2:TGID_Y_EN: 0
; COMPUTE_PGM_RSRC2:TGID_Z_EN: 0
; COMPUTE_PGM_RSRC2:TIDIG_COMP_CNT: 0
	.section	.text._ZN7rocprim17ROCPRIM_400000_NS6detail17trampoline_kernelINS0_14default_configENS1_25partition_config_selectorILNS1_17partition_subalgoE6EyNS0_10empty_typeEbEEZZNS1_14partition_implILS5_6ELb0ES3_mN6thrust23THRUST_200600_302600_NS6detail15normal_iteratorINSA_10device_ptrIyEEEEPS6_SG_NS0_5tupleIJSF_S6_EEENSH_IJSG_SG_EEES6_PlJNSB_9not_fun_tINSB_14equal_to_valueIyEEEEEEE10hipError_tPvRmT3_T4_T5_T6_T7_T9_mT8_P12ihipStream_tbDpT10_ENKUlT_T0_E_clISt17integral_constantIbLb1EES18_EEDaS13_S14_EUlS13_E_NS1_11comp_targetILNS1_3genE3ELNS1_11target_archE908ELNS1_3gpuE7ELNS1_3repE0EEENS1_30default_config_static_selectorELNS0_4arch9wavefront6targetE0EEEvT1_,"axG",@progbits,_ZN7rocprim17ROCPRIM_400000_NS6detail17trampoline_kernelINS0_14default_configENS1_25partition_config_selectorILNS1_17partition_subalgoE6EyNS0_10empty_typeEbEEZZNS1_14partition_implILS5_6ELb0ES3_mN6thrust23THRUST_200600_302600_NS6detail15normal_iteratorINSA_10device_ptrIyEEEEPS6_SG_NS0_5tupleIJSF_S6_EEENSH_IJSG_SG_EEES6_PlJNSB_9not_fun_tINSB_14equal_to_valueIyEEEEEEE10hipError_tPvRmT3_T4_T5_T6_T7_T9_mT8_P12ihipStream_tbDpT10_ENKUlT_T0_E_clISt17integral_constantIbLb1EES18_EEDaS13_S14_EUlS13_E_NS1_11comp_targetILNS1_3genE3ELNS1_11target_archE908ELNS1_3gpuE7ELNS1_3repE0EEENS1_30default_config_static_selectorELNS0_4arch9wavefront6targetE0EEEvT1_,comdat
	.protected	_ZN7rocprim17ROCPRIM_400000_NS6detail17trampoline_kernelINS0_14default_configENS1_25partition_config_selectorILNS1_17partition_subalgoE6EyNS0_10empty_typeEbEEZZNS1_14partition_implILS5_6ELb0ES3_mN6thrust23THRUST_200600_302600_NS6detail15normal_iteratorINSA_10device_ptrIyEEEEPS6_SG_NS0_5tupleIJSF_S6_EEENSH_IJSG_SG_EEES6_PlJNSB_9not_fun_tINSB_14equal_to_valueIyEEEEEEE10hipError_tPvRmT3_T4_T5_T6_T7_T9_mT8_P12ihipStream_tbDpT10_ENKUlT_T0_E_clISt17integral_constantIbLb1EES18_EEDaS13_S14_EUlS13_E_NS1_11comp_targetILNS1_3genE3ELNS1_11target_archE908ELNS1_3gpuE7ELNS1_3repE0EEENS1_30default_config_static_selectorELNS0_4arch9wavefront6targetE0EEEvT1_ ; -- Begin function _ZN7rocprim17ROCPRIM_400000_NS6detail17trampoline_kernelINS0_14default_configENS1_25partition_config_selectorILNS1_17partition_subalgoE6EyNS0_10empty_typeEbEEZZNS1_14partition_implILS5_6ELb0ES3_mN6thrust23THRUST_200600_302600_NS6detail15normal_iteratorINSA_10device_ptrIyEEEEPS6_SG_NS0_5tupleIJSF_S6_EEENSH_IJSG_SG_EEES6_PlJNSB_9not_fun_tINSB_14equal_to_valueIyEEEEEEE10hipError_tPvRmT3_T4_T5_T6_T7_T9_mT8_P12ihipStream_tbDpT10_ENKUlT_T0_E_clISt17integral_constantIbLb1EES18_EEDaS13_S14_EUlS13_E_NS1_11comp_targetILNS1_3genE3ELNS1_11target_archE908ELNS1_3gpuE7ELNS1_3repE0EEENS1_30default_config_static_selectorELNS0_4arch9wavefront6targetE0EEEvT1_
	.globl	_ZN7rocprim17ROCPRIM_400000_NS6detail17trampoline_kernelINS0_14default_configENS1_25partition_config_selectorILNS1_17partition_subalgoE6EyNS0_10empty_typeEbEEZZNS1_14partition_implILS5_6ELb0ES3_mN6thrust23THRUST_200600_302600_NS6detail15normal_iteratorINSA_10device_ptrIyEEEEPS6_SG_NS0_5tupleIJSF_S6_EEENSH_IJSG_SG_EEES6_PlJNSB_9not_fun_tINSB_14equal_to_valueIyEEEEEEE10hipError_tPvRmT3_T4_T5_T6_T7_T9_mT8_P12ihipStream_tbDpT10_ENKUlT_T0_E_clISt17integral_constantIbLb1EES18_EEDaS13_S14_EUlS13_E_NS1_11comp_targetILNS1_3genE3ELNS1_11target_archE908ELNS1_3gpuE7ELNS1_3repE0EEENS1_30default_config_static_selectorELNS0_4arch9wavefront6targetE0EEEvT1_
	.p2align	8
	.type	_ZN7rocprim17ROCPRIM_400000_NS6detail17trampoline_kernelINS0_14default_configENS1_25partition_config_selectorILNS1_17partition_subalgoE6EyNS0_10empty_typeEbEEZZNS1_14partition_implILS5_6ELb0ES3_mN6thrust23THRUST_200600_302600_NS6detail15normal_iteratorINSA_10device_ptrIyEEEEPS6_SG_NS0_5tupleIJSF_S6_EEENSH_IJSG_SG_EEES6_PlJNSB_9not_fun_tINSB_14equal_to_valueIyEEEEEEE10hipError_tPvRmT3_T4_T5_T6_T7_T9_mT8_P12ihipStream_tbDpT10_ENKUlT_T0_E_clISt17integral_constantIbLb1EES18_EEDaS13_S14_EUlS13_E_NS1_11comp_targetILNS1_3genE3ELNS1_11target_archE908ELNS1_3gpuE7ELNS1_3repE0EEENS1_30default_config_static_selectorELNS0_4arch9wavefront6targetE0EEEvT1_,@function
_ZN7rocprim17ROCPRIM_400000_NS6detail17trampoline_kernelINS0_14default_configENS1_25partition_config_selectorILNS1_17partition_subalgoE6EyNS0_10empty_typeEbEEZZNS1_14partition_implILS5_6ELb0ES3_mN6thrust23THRUST_200600_302600_NS6detail15normal_iteratorINSA_10device_ptrIyEEEEPS6_SG_NS0_5tupleIJSF_S6_EEENSH_IJSG_SG_EEES6_PlJNSB_9not_fun_tINSB_14equal_to_valueIyEEEEEEE10hipError_tPvRmT3_T4_T5_T6_T7_T9_mT8_P12ihipStream_tbDpT10_ENKUlT_T0_E_clISt17integral_constantIbLb1EES18_EEDaS13_S14_EUlS13_E_NS1_11comp_targetILNS1_3genE3ELNS1_11target_archE908ELNS1_3gpuE7ELNS1_3repE0EEENS1_30default_config_static_selectorELNS0_4arch9wavefront6targetE0EEEvT1_: ; @_ZN7rocprim17ROCPRIM_400000_NS6detail17trampoline_kernelINS0_14default_configENS1_25partition_config_selectorILNS1_17partition_subalgoE6EyNS0_10empty_typeEbEEZZNS1_14partition_implILS5_6ELb0ES3_mN6thrust23THRUST_200600_302600_NS6detail15normal_iteratorINSA_10device_ptrIyEEEEPS6_SG_NS0_5tupleIJSF_S6_EEENSH_IJSG_SG_EEES6_PlJNSB_9not_fun_tINSB_14equal_to_valueIyEEEEEEE10hipError_tPvRmT3_T4_T5_T6_T7_T9_mT8_P12ihipStream_tbDpT10_ENKUlT_T0_E_clISt17integral_constantIbLb1EES18_EEDaS13_S14_EUlS13_E_NS1_11comp_targetILNS1_3genE3ELNS1_11target_archE908ELNS1_3gpuE7ELNS1_3repE0EEENS1_30default_config_static_selectorELNS0_4arch9wavefront6targetE0EEEvT1_
; %bb.0:
	.section	.rodata,"a",@progbits
	.p2align	6, 0x0
	.amdhsa_kernel _ZN7rocprim17ROCPRIM_400000_NS6detail17trampoline_kernelINS0_14default_configENS1_25partition_config_selectorILNS1_17partition_subalgoE6EyNS0_10empty_typeEbEEZZNS1_14partition_implILS5_6ELb0ES3_mN6thrust23THRUST_200600_302600_NS6detail15normal_iteratorINSA_10device_ptrIyEEEEPS6_SG_NS0_5tupleIJSF_S6_EEENSH_IJSG_SG_EEES6_PlJNSB_9not_fun_tINSB_14equal_to_valueIyEEEEEEE10hipError_tPvRmT3_T4_T5_T6_T7_T9_mT8_P12ihipStream_tbDpT10_ENKUlT_T0_E_clISt17integral_constantIbLb1EES18_EEDaS13_S14_EUlS13_E_NS1_11comp_targetILNS1_3genE3ELNS1_11target_archE908ELNS1_3gpuE7ELNS1_3repE0EEENS1_30default_config_static_selectorELNS0_4arch9wavefront6targetE0EEEvT1_
		.amdhsa_group_segment_fixed_size 0
		.amdhsa_private_segment_fixed_size 0
		.amdhsa_kernarg_size 128
		.amdhsa_user_sgpr_count 2
		.amdhsa_user_sgpr_dispatch_ptr 0
		.amdhsa_user_sgpr_queue_ptr 0
		.amdhsa_user_sgpr_kernarg_segment_ptr 1
		.amdhsa_user_sgpr_dispatch_id 0
		.amdhsa_user_sgpr_private_segment_size 0
		.amdhsa_wavefront_size32 1
		.amdhsa_uses_dynamic_stack 0
		.amdhsa_enable_private_segment 0
		.amdhsa_system_sgpr_workgroup_id_x 1
		.amdhsa_system_sgpr_workgroup_id_y 0
		.amdhsa_system_sgpr_workgroup_id_z 0
		.amdhsa_system_sgpr_workgroup_info 0
		.amdhsa_system_vgpr_workitem_id 0
		.amdhsa_next_free_vgpr 1
		.amdhsa_next_free_sgpr 1
		.amdhsa_reserve_vcc 0
		.amdhsa_float_round_mode_32 0
		.amdhsa_float_round_mode_16_64 0
		.amdhsa_float_denorm_mode_32 3
		.amdhsa_float_denorm_mode_16_64 3
		.amdhsa_fp16_overflow 0
		.amdhsa_workgroup_processor_mode 1
		.amdhsa_memory_ordered 1
		.amdhsa_forward_progress 1
		.amdhsa_inst_pref_size 0
		.amdhsa_round_robin_scheduling 0
		.amdhsa_exception_fp_ieee_invalid_op 0
		.amdhsa_exception_fp_denorm_src 0
		.amdhsa_exception_fp_ieee_div_zero 0
		.amdhsa_exception_fp_ieee_overflow 0
		.amdhsa_exception_fp_ieee_underflow 0
		.amdhsa_exception_fp_ieee_inexact 0
		.amdhsa_exception_int_div_zero 0
	.end_amdhsa_kernel
	.section	.text._ZN7rocprim17ROCPRIM_400000_NS6detail17trampoline_kernelINS0_14default_configENS1_25partition_config_selectorILNS1_17partition_subalgoE6EyNS0_10empty_typeEbEEZZNS1_14partition_implILS5_6ELb0ES3_mN6thrust23THRUST_200600_302600_NS6detail15normal_iteratorINSA_10device_ptrIyEEEEPS6_SG_NS0_5tupleIJSF_S6_EEENSH_IJSG_SG_EEES6_PlJNSB_9not_fun_tINSB_14equal_to_valueIyEEEEEEE10hipError_tPvRmT3_T4_T5_T6_T7_T9_mT8_P12ihipStream_tbDpT10_ENKUlT_T0_E_clISt17integral_constantIbLb1EES18_EEDaS13_S14_EUlS13_E_NS1_11comp_targetILNS1_3genE3ELNS1_11target_archE908ELNS1_3gpuE7ELNS1_3repE0EEENS1_30default_config_static_selectorELNS0_4arch9wavefront6targetE0EEEvT1_,"axG",@progbits,_ZN7rocprim17ROCPRIM_400000_NS6detail17trampoline_kernelINS0_14default_configENS1_25partition_config_selectorILNS1_17partition_subalgoE6EyNS0_10empty_typeEbEEZZNS1_14partition_implILS5_6ELb0ES3_mN6thrust23THRUST_200600_302600_NS6detail15normal_iteratorINSA_10device_ptrIyEEEEPS6_SG_NS0_5tupleIJSF_S6_EEENSH_IJSG_SG_EEES6_PlJNSB_9not_fun_tINSB_14equal_to_valueIyEEEEEEE10hipError_tPvRmT3_T4_T5_T6_T7_T9_mT8_P12ihipStream_tbDpT10_ENKUlT_T0_E_clISt17integral_constantIbLb1EES18_EEDaS13_S14_EUlS13_E_NS1_11comp_targetILNS1_3genE3ELNS1_11target_archE908ELNS1_3gpuE7ELNS1_3repE0EEENS1_30default_config_static_selectorELNS0_4arch9wavefront6targetE0EEEvT1_,comdat
.Lfunc_end352:
	.size	_ZN7rocprim17ROCPRIM_400000_NS6detail17trampoline_kernelINS0_14default_configENS1_25partition_config_selectorILNS1_17partition_subalgoE6EyNS0_10empty_typeEbEEZZNS1_14partition_implILS5_6ELb0ES3_mN6thrust23THRUST_200600_302600_NS6detail15normal_iteratorINSA_10device_ptrIyEEEEPS6_SG_NS0_5tupleIJSF_S6_EEENSH_IJSG_SG_EEES6_PlJNSB_9not_fun_tINSB_14equal_to_valueIyEEEEEEE10hipError_tPvRmT3_T4_T5_T6_T7_T9_mT8_P12ihipStream_tbDpT10_ENKUlT_T0_E_clISt17integral_constantIbLb1EES18_EEDaS13_S14_EUlS13_E_NS1_11comp_targetILNS1_3genE3ELNS1_11target_archE908ELNS1_3gpuE7ELNS1_3repE0EEENS1_30default_config_static_selectorELNS0_4arch9wavefront6targetE0EEEvT1_, .Lfunc_end352-_ZN7rocprim17ROCPRIM_400000_NS6detail17trampoline_kernelINS0_14default_configENS1_25partition_config_selectorILNS1_17partition_subalgoE6EyNS0_10empty_typeEbEEZZNS1_14partition_implILS5_6ELb0ES3_mN6thrust23THRUST_200600_302600_NS6detail15normal_iteratorINSA_10device_ptrIyEEEEPS6_SG_NS0_5tupleIJSF_S6_EEENSH_IJSG_SG_EEES6_PlJNSB_9not_fun_tINSB_14equal_to_valueIyEEEEEEE10hipError_tPvRmT3_T4_T5_T6_T7_T9_mT8_P12ihipStream_tbDpT10_ENKUlT_T0_E_clISt17integral_constantIbLb1EES18_EEDaS13_S14_EUlS13_E_NS1_11comp_targetILNS1_3genE3ELNS1_11target_archE908ELNS1_3gpuE7ELNS1_3repE0EEENS1_30default_config_static_selectorELNS0_4arch9wavefront6targetE0EEEvT1_
                                        ; -- End function
	.set _ZN7rocprim17ROCPRIM_400000_NS6detail17trampoline_kernelINS0_14default_configENS1_25partition_config_selectorILNS1_17partition_subalgoE6EyNS0_10empty_typeEbEEZZNS1_14partition_implILS5_6ELb0ES3_mN6thrust23THRUST_200600_302600_NS6detail15normal_iteratorINSA_10device_ptrIyEEEEPS6_SG_NS0_5tupleIJSF_S6_EEENSH_IJSG_SG_EEES6_PlJNSB_9not_fun_tINSB_14equal_to_valueIyEEEEEEE10hipError_tPvRmT3_T4_T5_T6_T7_T9_mT8_P12ihipStream_tbDpT10_ENKUlT_T0_E_clISt17integral_constantIbLb1EES18_EEDaS13_S14_EUlS13_E_NS1_11comp_targetILNS1_3genE3ELNS1_11target_archE908ELNS1_3gpuE7ELNS1_3repE0EEENS1_30default_config_static_selectorELNS0_4arch9wavefront6targetE0EEEvT1_.num_vgpr, 0
	.set _ZN7rocprim17ROCPRIM_400000_NS6detail17trampoline_kernelINS0_14default_configENS1_25partition_config_selectorILNS1_17partition_subalgoE6EyNS0_10empty_typeEbEEZZNS1_14partition_implILS5_6ELb0ES3_mN6thrust23THRUST_200600_302600_NS6detail15normal_iteratorINSA_10device_ptrIyEEEEPS6_SG_NS0_5tupleIJSF_S6_EEENSH_IJSG_SG_EEES6_PlJNSB_9not_fun_tINSB_14equal_to_valueIyEEEEEEE10hipError_tPvRmT3_T4_T5_T6_T7_T9_mT8_P12ihipStream_tbDpT10_ENKUlT_T0_E_clISt17integral_constantIbLb1EES18_EEDaS13_S14_EUlS13_E_NS1_11comp_targetILNS1_3genE3ELNS1_11target_archE908ELNS1_3gpuE7ELNS1_3repE0EEENS1_30default_config_static_selectorELNS0_4arch9wavefront6targetE0EEEvT1_.num_agpr, 0
	.set _ZN7rocprim17ROCPRIM_400000_NS6detail17trampoline_kernelINS0_14default_configENS1_25partition_config_selectorILNS1_17partition_subalgoE6EyNS0_10empty_typeEbEEZZNS1_14partition_implILS5_6ELb0ES3_mN6thrust23THRUST_200600_302600_NS6detail15normal_iteratorINSA_10device_ptrIyEEEEPS6_SG_NS0_5tupleIJSF_S6_EEENSH_IJSG_SG_EEES6_PlJNSB_9not_fun_tINSB_14equal_to_valueIyEEEEEEE10hipError_tPvRmT3_T4_T5_T6_T7_T9_mT8_P12ihipStream_tbDpT10_ENKUlT_T0_E_clISt17integral_constantIbLb1EES18_EEDaS13_S14_EUlS13_E_NS1_11comp_targetILNS1_3genE3ELNS1_11target_archE908ELNS1_3gpuE7ELNS1_3repE0EEENS1_30default_config_static_selectorELNS0_4arch9wavefront6targetE0EEEvT1_.numbered_sgpr, 0
	.set _ZN7rocprim17ROCPRIM_400000_NS6detail17trampoline_kernelINS0_14default_configENS1_25partition_config_selectorILNS1_17partition_subalgoE6EyNS0_10empty_typeEbEEZZNS1_14partition_implILS5_6ELb0ES3_mN6thrust23THRUST_200600_302600_NS6detail15normal_iteratorINSA_10device_ptrIyEEEEPS6_SG_NS0_5tupleIJSF_S6_EEENSH_IJSG_SG_EEES6_PlJNSB_9not_fun_tINSB_14equal_to_valueIyEEEEEEE10hipError_tPvRmT3_T4_T5_T6_T7_T9_mT8_P12ihipStream_tbDpT10_ENKUlT_T0_E_clISt17integral_constantIbLb1EES18_EEDaS13_S14_EUlS13_E_NS1_11comp_targetILNS1_3genE3ELNS1_11target_archE908ELNS1_3gpuE7ELNS1_3repE0EEENS1_30default_config_static_selectorELNS0_4arch9wavefront6targetE0EEEvT1_.num_named_barrier, 0
	.set _ZN7rocprim17ROCPRIM_400000_NS6detail17trampoline_kernelINS0_14default_configENS1_25partition_config_selectorILNS1_17partition_subalgoE6EyNS0_10empty_typeEbEEZZNS1_14partition_implILS5_6ELb0ES3_mN6thrust23THRUST_200600_302600_NS6detail15normal_iteratorINSA_10device_ptrIyEEEEPS6_SG_NS0_5tupleIJSF_S6_EEENSH_IJSG_SG_EEES6_PlJNSB_9not_fun_tINSB_14equal_to_valueIyEEEEEEE10hipError_tPvRmT3_T4_T5_T6_T7_T9_mT8_P12ihipStream_tbDpT10_ENKUlT_T0_E_clISt17integral_constantIbLb1EES18_EEDaS13_S14_EUlS13_E_NS1_11comp_targetILNS1_3genE3ELNS1_11target_archE908ELNS1_3gpuE7ELNS1_3repE0EEENS1_30default_config_static_selectorELNS0_4arch9wavefront6targetE0EEEvT1_.private_seg_size, 0
	.set _ZN7rocprim17ROCPRIM_400000_NS6detail17trampoline_kernelINS0_14default_configENS1_25partition_config_selectorILNS1_17partition_subalgoE6EyNS0_10empty_typeEbEEZZNS1_14partition_implILS5_6ELb0ES3_mN6thrust23THRUST_200600_302600_NS6detail15normal_iteratorINSA_10device_ptrIyEEEEPS6_SG_NS0_5tupleIJSF_S6_EEENSH_IJSG_SG_EEES6_PlJNSB_9not_fun_tINSB_14equal_to_valueIyEEEEEEE10hipError_tPvRmT3_T4_T5_T6_T7_T9_mT8_P12ihipStream_tbDpT10_ENKUlT_T0_E_clISt17integral_constantIbLb1EES18_EEDaS13_S14_EUlS13_E_NS1_11comp_targetILNS1_3genE3ELNS1_11target_archE908ELNS1_3gpuE7ELNS1_3repE0EEENS1_30default_config_static_selectorELNS0_4arch9wavefront6targetE0EEEvT1_.uses_vcc, 0
	.set _ZN7rocprim17ROCPRIM_400000_NS6detail17trampoline_kernelINS0_14default_configENS1_25partition_config_selectorILNS1_17partition_subalgoE6EyNS0_10empty_typeEbEEZZNS1_14partition_implILS5_6ELb0ES3_mN6thrust23THRUST_200600_302600_NS6detail15normal_iteratorINSA_10device_ptrIyEEEEPS6_SG_NS0_5tupleIJSF_S6_EEENSH_IJSG_SG_EEES6_PlJNSB_9not_fun_tINSB_14equal_to_valueIyEEEEEEE10hipError_tPvRmT3_T4_T5_T6_T7_T9_mT8_P12ihipStream_tbDpT10_ENKUlT_T0_E_clISt17integral_constantIbLb1EES18_EEDaS13_S14_EUlS13_E_NS1_11comp_targetILNS1_3genE3ELNS1_11target_archE908ELNS1_3gpuE7ELNS1_3repE0EEENS1_30default_config_static_selectorELNS0_4arch9wavefront6targetE0EEEvT1_.uses_flat_scratch, 0
	.set _ZN7rocprim17ROCPRIM_400000_NS6detail17trampoline_kernelINS0_14default_configENS1_25partition_config_selectorILNS1_17partition_subalgoE6EyNS0_10empty_typeEbEEZZNS1_14partition_implILS5_6ELb0ES3_mN6thrust23THRUST_200600_302600_NS6detail15normal_iteratorINSA_10device_ptrIyEEEEPS6_SG_NS0_5tupleIJSF_S6_EEENSH_IJSG_SG_EEES6_PlJNSB_9not_fun_tINSB_14equal_to_valueIyEEEEEEE10hipError_tPvRmT3_T4_T5_T6_T7_T9_mT8_P12ihipStream_tbDpT10_ENKUlT_T0_E_clISt17integral_constantIbLb1EES18_EEDaS13_S14_EUlS13_E_NS1_11comp_targetILNS1_3genE3ELNS1_11target_archE908ELNS1_3gpuE7ELNS1_3repE0EEENS1_30default_config_static_selectorELNS0_4arch9wavefront6targetE0EEEvT1_.has_dyn_sized_stack, 0
	.set _ZN7rocprim17ROCPRIM_400000_NS6detail17trampoline_kernelINS0_14default_configENS1_25partition_config_selectorILNS1_17partition_subalgoE6EyNS0_10empty_typeEbEEZZNS1_14partition_implILS5_6ELb0ES3_mN6thrust23THRUST_200600_302600_NS6detail15normal_iteratorINSA_10device_ptrIyEEEEPS6_SG_NS0_5tupleIJSF_S6_EEENSH_IJSG_SG_EEES6_PlJNSB_9not_fun_tINSB_14equal_to_valueIyEEEEEEE10hipError_tPvRmT3_T4_T5_T6_T7_T9_mT8_P12ihipStream_tbDpT10_ENKUlT_T0_E_clISt17integral_constantIbLb1EES18_EEDaS13_S14_EUlS13_E_NS1_11comp_targetILNS1_3genE3ELNS1_11target_archE908ELNS1_3gpuE7ELNS1_3repE0EEENS1_30default_config_static_selectorELNS0_4arch9wavefront6targetE0EEEvT1_.has_recursion, 0
	.set _ZN7rocprim17ROCPRIM_400000_NS6detail17trampoline_kernelINS0_14default_configENS1_25partition_config_selectorILNS1_17partition_subalgoE6EyNS0_10empty_typeEbEEZZNS1_14partition_implILS5_6ELb0ES3_mN6thrust23THRUST_200600_302600_NS6detail15normal_iteratorINSA_10device_ptrIyEEEEPS6_SG_NS0_5tupleIJSF_S6_EEENSH_IJSG_SG_EEES6_PlJNSB_9not_fun_tINSB_14equal_to_valueIyEEEEEEE10hipError_tPvRmT3_T4_T5_T6_T7_T9_mT8_P12ihipStream_tbDpT10_ENKUlT_T0_E_clISt17integral_constantIbLb1EES18_EEDaS13_S14_EUlS13_E_NS1_11comp_targetILNS1_3genE3ELNS1_11target_archE908ELNS1_3gpuE7ELNS1_3repE0EEENS1_30default_config_static_selectorELNS0_4arch9wavefront6targetE0EEEvT1_.has_indirect_call, 0
	.section	.AMDGPU.csdata,"",@progbits
; Kernel info:
; codeLenInByte = 0
; TotalNumSgprs: 0
; NumVgprs: 0
; ScratchSize: 0
; MemoryBound: 0
; FloatMode: 240
; IeeeMode: 1
; LDSByteSize: 0 bytes/workgroup (compile time only)
; SGPRBlocks: 0
; VGPRBlocks: 0
; NumSGPRsForWavesPerEU: 1
; NumVGPRsForWavesPerEU: 1
; Occupancy: 16
; WaveLimiterHint : 0
; COMPUTE_PGM_RSRC2:SCRATCH_EN: 0
; COMPUTE_PGM_RSRC2:USER_SGPR: 2
; COMPUTE_PGM_RSRC2:TRAP_HANDLER: 0
; COMPUTE_PGM_RSRC2:TGID_X_EN: 1
; COMPUTE_PGM_RSRC2:TGID_Y_EN: 0
; COMPUTE_PGM_RSRC2:TGID_Z_EN: 0
; COMPUTE_PGM_RSRC2:TIDIG_COMP_CNT: 0
	.section	.text._ZN7rocprim17ROCPRIM_400000_NS6detail17trampoline_kernelINS0_14default_configENS1_25partition_config_selectorILNS1_17partition_subalgoE6EyNS0_10empty_typeEbEEZZNS1_14partition_implILS5_6ELb0ES3_mN6thrust23THRUST_200600_302600_NS6detail15normal_iteratorINSA_10device_ptrIyEEEEPS6_SG_NS0_5tupleIJSF_S6_EEENSH_IJSG_SG_EEES6_PlJNSB_9not_fun_tINSB_14equal_to_valueIyEEEEEEE10hipError_tPvRmT3_T4_T5_T6_T7_T9_mT8_P12ihipStream_tbDpT10_ENKUlT_T0_E_clISt17integral_constantIbLb1EES18_EEDaS13_S14_EUlS13_E_NS1_11comp_targetILNS1_3genE2ELNS1_11target_archE906ELNS1_3gpuE6ELNS1_3repE0EEENS1_30default_config_static_selectorELNS0_4arch9wavefront6targetE0EEEvT1_,"axG",@progbits,_ZN7rocprim17ROCPRIM_400000_NS6detail17trampoline_kernelINS0_14default_configENS1_25partition_config_selectorILNS1_17partition_subalgoE6EyNS0_10empty_typeEbEEZZNS1_14partition_implILS5_6ELb0ES3_mN6thrust23THRUST_200600_302600_NS6detail15normal_iteratorINSA_10device_ptrIyEEEEPS6_SG_NS0_5tupleIJSF_S6_EEENSH_IJSG_SG_EEES6_PlJNSB_9not_fun_tINSB_14equal_to_valueIyEEEEEEE10hipError_tPvRmT3_T4_T5_T6_T7_T9_mT8_P12ihipStream_tbDpT10_ENKUlT_T0_E_clISt17integral_constantIbLb1EES18_EEDaS13_S14_EUlS13_E_NS1_11comp_targetILNS1_3genE2ELNS1_11target_archE906ELNS1_3gpuE6ELNS1_3repE0EEENS1_30default_config_static_selectorELNS0_4arch9wavefront6targetE0EEEvT1_,comdat
	.protected	_ZN7rocprim17ROCPRIM_400000_NS6detail17trampoline_kernelINS0_14default_configENS1_25partition_config_selectorILNS1_17partition_subalgoE6EyNS0_10empty_typeEbEEZZNS1_14partition_implILS5_6ELb0ES3_mN6thrust23THRUST_200600_302600_NS6detail15normal_iteratorINSA_10device_ptrIyEEEEPS6_SG_NS0_5tupleIJSF_S6_EEENSH_IJSG_SG_EEES6_PlJNSB_9not_fun_tINSB_14equal_to_valueIyEEEEEEE10hipError_tPvRmT3_T4_T5_T6_T7_T9_mT8_P12ihipStream_tbDpT10_ENKUlT_T0_E_clISt17integral_constantIbLb1EES18_EEDaS13_S14_EUlS13_E_NS1_11comp_targetILNS1_3genE2ELNS1_11target_archE906ELNS1_3gpuE6ELNS1_3repE0EEENS1_30default_config_static_selectorELNS0_4arch9wavefront6targetE0EEEvT1_ ; -- Begin function _ZN7rocprim17ROCPRIM_400000_NS6detail17trampoline_kernelINS0_14default_configENS1_25partition_config_selectorILNS1_17partition_subalgoE6EyNS0_10empty_typeEbEEZZNS1_14partition_implILS5_6ELb0ES3_mN6thrust23THRUST_200600_302600_NS6detail15normal_iteratorINSA_10device_ptrIyEEEEPS6_SG_NS0_5tupleIJSF_S6_EEENSH_IJSG_SG_EEES6_PlJNSB_9not_fun_tINSB_14equal_to_valueIyEEEEEEE10hipError_tPvRmT3_T4_T5_T6_T7_T9_mT8_P12ihipStream_tbDpT10_ENKUlT_T0_E_clISt17integral_constantIbLb1EES18_EEDaS13_S14_EUlS13_E_NS1_11comp_targetILNS1_3genE2ELNS1_11target_archE906ELNS1_3gpuE6ELNS1_3repE0EEENS1_30default_config_static_selectorELNS0_4arch9wavefront6targetE0EEEvT1_
	.globl	_ZN7rocprim17ROCPRIM_400000_NS6detail17trampoline_kernelINS0_14default_configENS1_25partition_config_selectorILNS1_17partition_subalgoE6EyNS0_10empty_typeEbEEZZNS1_14partition_implILS5_6ELb0ES3_mN6thrust23THRUST_200600_302600_NS6detail15normal_iteratorINSA_10device_ptrIyEEEEPS6_SG_NS0_5tupleIJSF_S6_EEENSH_IJSG_SG_EEES6_PlJNSB_9not_fun_tINSB_14equal_to_valueIyEEEEEEE10hipError_tPvRmT3_T4_T5_T6_T7_T9_mT8_P12ihipStream_tbDpT10_ENKUlT_T0_E_clISt17integral_constantIbLb1EES18_EEDaS13_S14_EUlS13_E_NS1_11comp_targetILNS1_3genE2ELNS1_11target_archE906ELNS1_3gpuE6ELNS1_3repE0EEENS1_30default_config_static_selectorELNS0_4arch9wavefront6targetE0EEEvT1_
	.p2align	8
	.type	_ZN7rocprim17ROCPRIM_400000_NS6detail17trampoline_kernelINS0_14default_configENS1_25partition_config_selectorILNS1_17partition_subalgoE6EyNS0_10empty_typeEbEEZZNS1_14partition_implILS5_6ELb0ES3_mN6thrust23THRUST_200600_302600_NS6detail15normal_iteratorINSA_10device_ptrIyEEEEPS6_SG_NS0_5tupleIJSF_S6_EEENSH_IJSG_SG_EEES6_PlJNSB_9not_fun_tINSB_14equal_to_valueIyEEEEEEE10hipError_tPvRmT3_T4_T5_T6_T7_T9_mT8_P12ihipStream_tbDpT10_ENKUlT_T0_E_clISt17integral_constantIbLb1EES18_EEDaS13_S14_EUlS13_E_NS1_11comp_targetILNS1_3genE2ELNS1_11target_archE906ELNS1_3gpuE6ELNS1_3repE0EEENS1_30default_config_static_selectorELNS0_4arch9wavefront6targetE0EEEvT1_,@function
_ZN7rocprim17ROCPRIM_400000_NS6detail17trampoline_kernelINS0_14default_configENS1_25partition_config_selectorILNS1_17partition_subalgoE6EyNS0_10empty_typeEbEEZZNS1_14partition_implILS5_6ELb0ES3_mN6thrust23THRUST_200600_302600_NS6detail15normal_iteratorINSA_10device_ptrIyEEEEPS6_SG_NS0_5tupleIJSF_S6_EEENSH_IJSG_SG_EEES6_PlJNSB_9not_fun_tINSB_14equal_to_valueIyEEEEEEE10hipError_tPvRmT3_T4_T5_T6_T7_T9_mT8_P12ihipStream_tbDpT10_ENKUlT_T0_E_clISt17integral_constantIbLb1EES18_EEDaS13_S14_EUlS13_E_NS1_11comp_targetILNS1_3genE2ELNS1_11target_archE906ELNS1_3gpuE6ELNS1_3repE0EEENS1_30default_config_static_selectorELNS0_4arch9wavefront6targetE0EEEvT1_: ; @_ZN7rocprim17ROCPRIM_400000_NS6detail17trampoline_kernelINS0_14default_configENS1_25partition_config_selectorILNS1_17partition_subalgoE6EyNS0_10empty_typeEbEEZZNS1_14partition_implILS5_6ELb0ES3_mN6thrust23THRUST_200600_302600_NS6detail15normal_iteratorINSA_10device_ptrIyEEEEPS6_SG_NS0_5tupleIJSF_S6_EEENSH_IJSG_SG_EEES6_PlJNSB_9not_fun_tINSB_14equal_to_valueIyEEEEEEE10hipError_tPvRmT3_T4_T5_T6_T7_T9_mT8_P12ihipStream_tbDpT10_ENKUlT_T0_E_clISt17integral_constantIbLb1EES18_EEDaS13_S14_EUlS13_E_NS1_11comp_targetILNS1_3genE2ELNS1_11target_archE906ELNS1_3gpuE6ELNS1_3repE0EEENS1_30default_config_static_selectorELNS0_4arch9wavefront6targetE0EEEvT1_
; %bb.0:
	.section	.rodata,"a",@progbits
	.p2align	6, 0x0
	.amdhsa_kernel _ZN7rocprim17ROCPRIM_400000_NS6detail17trampoline_kernelINS0_14default_configENS1_25partition_config_selectorILNS1_17partition_subalgoE6EyNS0_10empty_typeEbEEZZNS1_14partition_implILS5_6ELb0ES3_mN6thrust23THRUST_200600_302600_NS6detail15normal_iteratorINSA_10device_ptrIyEEEEPS6_SG_NS0_5tupleIJSF_S6_EEENSH_IJSG_SG_EEES6_PlJNSB_9not_fun_tINSB_14equal_to_valueIyEEEEEEE10hipError_tPvRmT3_T4_T5_T6_T7_T9_mT8_P12ihipStream_tbDpT10_ENKUlT_T0_E_clISt17integral_constantIbLb1EES18_EEDaS13_S14_EUlS13_E_NS1_11comp_targetILNS1_3genE2ELNS1_11target_archE906ELNS1_3gpuE6ELNS1_3repE0EEENS1_30default_config_static_selectorELNS0_4arch9wavefront6targetE0EEEvT1_
		.amdhsa_group_segment_fixed_size 0
		.amdhsa_private_segment_fixed_size 0
		.amdhsa_kernarg_size 128
		.amdhsa_user_sgpr_count 2
		.amdhsa_user_sgpr_dispatch_ptr 0
		.amdhsa_user_sgpr_queue_ptr 0
		.amdhsa_user_sgpr_kernarg_segment_ptr 1
		.amdhsa_user_sgpr_dispatch_id 0
		.amdhsa_user_sgpr_private_segment_size 0
		.amdhsa_wavefront_size32 1
		.amdhsa_uses_dynamic_stack 0
		.amdhsa_enable_private_segment 0
		.amdhsa_system_sgpr_workgroup_id_x 1
		.amdhsa_system_sgpr_workgroup_id_y 0
		.amdhsa_system_sgpr_workgroup_id_z 0
		.amdhsa_system_sgpr_workgroup_info 0
		.amdhsa_system_vgpr_workitem_id 0
		.amdhsa_next_free_vgpr 1
		.amdhsa_next_free_sgpr 1
		.amdhsa_reserve_vcc 0
		.amdhsa_float_round_mode_32 0
		.amdhsa_float_round_mode_16_64 0
		.amdhsa_float_denorm_mode_32 3
		.amdhsa_float_denorm_mode_16_64 3
		.amdhsa_fp16_overflow 0
		.amdhsa_workgroup_processor_mode 1
		.amdhsa_memory_ordered 1
		.amdhsa_forward_progress 1
		.amdhsa_inst_pref_size 0
		.amdhsa_round_robin_scheduling 0
		.amdhsa_exception_fp_ieee_invalid_op 0
		.amdhsa_exception_fp_denorm_src 0
		.amdhsa_exception_fp_ieee_div_zero 0
		.amdhsa_exception_fp_ieee_overflow 0
		.amdhsa_exception_fp_ieee_underflow 0
		.amdhsa_exception_fp_ieee_inexact 0
		.amdhsa_exception_int_div_zero 0
	.end_amdhsa_kernel
	.section	.text._ZN7rocprim17ROCPRIM_400000_NS6detail17trampoline_kernelINS0_14default_configENS1_25partition_config_selectorILNS1_17partition_subalgoE6EyNS0_10empty_typeEbEEZZNS1_14partition_implILS5_6ELb0ES3_mN6thrust23THRUST_200600_302600_NS6detail15normal_iteratorINSA_10device_ptrIyEEEEPS6_SG_NS0_5tupleIJSF_S6_EEENSH_IJSG_SG_EEES6_PlJNSB_9not_fun_tINSB_14equal_to_valueIyEEEEEEE10hipError_tPvRmT3_T4_T5_T6_T7_T9_mT8_P12ihipStream_tbDpT10_ENKUlT_T0_E_clISt17integral_constantIbLb1EES18_EEDaS13_S14_EUlS13_E_NS1_11comp_targetILNS1_3genE2ELNS1_11target_archE906ELNS1_3gpuE6ELNS1_3repE0EEENS1_30default_config_static_selectorELNS0_4arch9wavefront6targetE0EEEvT1_,"axG",@progbits,_ZN7rocprim17ROCPRIM_400000_NS6detail17trampoline_kernelINS0_14default_configENS1_25partition_config_selectorILNS1_17partition_subalgoE6EyNS0_10empty_typeEbEEZZNS1_14partition_implILS5_6ELb0ES3_mN6thrust23THRUST_200600_302600_NS6detail15normal_iteratorINSA_10device_ptrIyEEEEPS6_SG_NS0_5tupleIJSF_S6_EEENSH_IJSG_SG_EEES6_PlJNSB_9not_fun_tINSB_14equal_to_valueIyEEEEEEE10hipError_tPvRmT3_T4_T5_T6_T7_T9_mT8_P12ihipStream_tbDpT10_ENKUlT_T0_E_clISt17integral_constantIbLb1EES18_EEDaS13_S14_EUlS13_E_NS1_11comp_targetILNS1_3genE2ELNS1_11target_archE906ELNS1_3gpuE6ELNS1_3repE0EEENS1_30default_config_static_selectorELNS0_4arch9wavefront6targetE0EEEvT1_,comdat
.Lfunc_end353:
	.size	_ZN7rocprim17ROCPRIM_400000_NS6detail17trampoline_kernelINS0_14default_configENS1_25partition_config_selectorILNS1_17partition_subalgoE6EyNS0_10empty_typeEbEEZZNS1_14partition_implILS5_6ELb0ES3_mN6thrust23THRUST_200600_302600_NS6detail15normal_iteratorINSA_10device_ptrIyEEEEPS6_SG_NS0_5tupleIJSF_S6_EEENSH_IJSG_SG_EEES6_PlJNSB_9not_fun_tINSB_14equal_to_valueIyEEEEEEE10hipError_tPvRmT3_T4_T5_T6_T7_T9_mT8_P12ihipStream_tbDpT10_ENKUlT_T0_E_clISt17integral_constantIbLb1EES18_EEDaS13_S14_EUlS13_E_NS1_11comp_targetILNS1_3genE2ELNS1_11target_archE906ELNS1_3gpuE6ELNS1_3repE0EEENS1_30default_config_static_selectorELNS0_4arch9wavefront6targetE0EEEvT1_, .Lfunc_end353-_ZN7rocprim17ROCPRIM_400000_NS6detail17trampoline_kernelINS0_14default_configENS1_25partition_config_selectorILNS1_17partition_subalgoE6EyNS0_10empty_typeEbEEZZNS1_14partition_implILS5_6ELb0ES3_mN6thrust23THRUST_200600_302600_NS6detail15normal_iteratorINSA_10device_ptrIyEEEEPS6_SG_NS0_5tupleIJSF_S6_EEENSH_IJSG_SG_EEES6_PlJNSB_9not_fun_tINSB_14equal_to_valueIyEEEEEEE10hipError_tPvRmT3_T4_T5_T6_T7_T9_mT8_P12ihipStream_tbDpT10_ENKUlT_T0_E_clISt17integral_constantIbLb1EES18_EEDaS13_S14_EUlS13_E_NS1_11comp_targetILNS1_3genE2ELNS1_11target_archE906ELNS1_3gpuE6ELNS1_3repE0EEENS1_30default_config_static_selectorELNS0_4arch9wavefront6targetE0EEEvT1_
                                        ; -- End function
	.set _ZN7rocprim17ROCPRIM_400000_NS6detail17trampoline_kernelINS0_14default_configENS1_25partition_config_selectorILNS1_17partition_subalgoE6EyNS0_10empty_typeEbEEZZNS1_14partition_implILS5_6ELb0ES3_mN6thrust23THRUST_200600_302600_NS6detail15normal_iteratorINSA_10device_ptrIyEEEEPS6_SG_NS0_5tupleIJSF_S6_EEENSH_IJSG_SG_EEES6_PlJNSB_9not_fun_tINSB_14equal_to_valueIyEEEEEEE10hipError_tPvRmT3_T4_T5_T6_T7_T9_mT8_P12ihipStream_tbDpT10_ENKUlT_T0_E_clISt17integral_constantIbLb1EES18_EEDaS13_S14_EUlS13_E_NS1_11comp_targetILNS1_3genE2ELNS1_11target_archE906ELNS1_3gpuE6ELNS1_3repE0EEENS1_30default_config_static_selectorELNS0_4arch9wavefront6targetE0EEEvT1_.num_vgpr, 0
	.set _ZN7rocprim17ROCPRIM_400000_NS6detail17trampoline_kernelINS0_14default_configENS1_25partition_config_selectorILNS1_17partition_subalgoE6EyNS0_10empty_typeEbEEZZNS1_14partition_implILS5_6ELb0ES3_mN6thrust23THRUST_200600_302600_NS6detail15normal_iteratorINSA_10device_ptrIyEEEEPS6_SG_NS0_5tupleIJSF_S6_EEENSH_IJSG_SG_EEES6_PlJNSB_9not_fun_tINSB_14equal_to_valueIyEEEEEEE10hipError_tPvRmT3_T4_T5_T6_T7_T9_mT8_P12ihipStream_tbDpT10_ENKUlT_T0_E_clISt17integral_constantIbLb1EES18_EEDaS13_S14_EUlS13_E_NS1_11comp_targetILNS1_3genE2ELNS1_11target_archE906ELNS1_3gpuE6ELNS1_3repE0EEENS1_30default_config_static_selectorELNS0_4arch9wavefront6targetE0EEEvT1_.num_agpr, 0
	.set _ZN7rocprim17ROCPRIM_400000_NS6detail17trampoline_kernelINS0_14default_configENS1_25partition_config_selectorILNS1_17partition_subalgoE6EyNS0_10empty_typeEbEEZZNS1_14partition_implILS5_6ELb0ES3_mN6thrust23THRUST_200600_302600_NS6detail15normal_iteratorINSA_10device_ptrIyEEEEPS6_SG_NS0_5tupleIJSF_S6_EEENSH_IJSG_SG_EEES6_PlJNSB_9not_fun_tINSB_14equal_to_valueIyEEEEEEE10hipError_tPvRmT3_T4_T5_T6_T7_T9_mT8_P12ihipStream_tbDpT10_ENKUlT_T0_E_clISt17integral_constantIbLb1EES18_EEDaS13_S14_EUlS13_E_NS1_11comp_targetILNS1_3genE2ELNS1_11target_archE906ELNS1_3gpuE6ELNS1_3repE0EEENS1_30default_config_static_selectorELNS0_4arch9wavefront6targetE0EEEvT1_.numbered_sgpr, 0
	.set _ZN7rocprim17ROCPRIM_400000_NS6detail17trampoline_kernelINS0_14default_configENS1_25partition_config_selectorILNS1_17partition_subalgoE6EyNS0_10empty_typeEbEEZZNS1_14partition_implILS5_6ELb0ES3_mN6thrust23THRUST_200600_302600_NS6detail15normal_iteratorINSA_10device_ptrIyEEEEPS6_SG_NS0_5tupleIJSF_S6_EEENSH_IJSG_SG_EEES6_PlJNSB_9not_fun_tINSB_14equal_to_valueIyEEEEEEE10hipError_tPvRmT3_T4_T5_T6_T7_T9_mT8_P12ihipStream_tbDpT10_ENKUlT_T0_E_clISt17integral_constantIbLb1EES18_EEDaS13_S14_EUlS13_E_NS1_11comp_targetILNS1_3genE2ELNS1_11target_archE906ELNS1_3gpuE6ELNS1_3repE0EEENS1_30default_config_static_selectorELNS0_4arch9wavefront6targetE0EEEvT1_.num_named_barrier, 0
	.set _ZN7rocprim17ROCPRIM_400000_NS6detail17trampoline_kernelINS0_14default_configENS1_25partition_config_selectorILNS1_17partition_subalgoE6EyNS0_10empty_typeEbEEZZNS1_14partition_implILS5_6ELb0ES3_mN6thrust23THRUST_200600_302600_NS6detail15normal_iteratorINSA_10device_ptrIyEEEEPS6_SG_NS0_5tupleIJSF_S6_EEENSH_IJSG_SG_EEES6_PlJNSB_9not_fun_tINSB_14equal_to_valueIyEEEEEEE10hipError_tPvRmT3_T4_T5_T6_T7_T9_mT8_P12ihipStream_tbDpT10_ENKUlT_T0_E_clISt17integral_constantIbLb1EES18_EEDaS13_S14_EUlS13_E_NS1_11comp_targetILNS1_3genE2ELNS1_11target_archE906ELNS1_3gpuE6ELNS1_3repE0EEENS1_30default_config_static_selectorELNS0_4arch9wavefront6targetE0EEEvT1_.private_seg_size, 0
	.set _ZN7rocprim17ROCPRIM_400000_NS6detail17trampoline_kernelINS0_14default_configENS1_25partition_config_selectorILNS1_17partition_subalgoE6EyNS0_10empty_typeEbEEZZNS1_14partition_implILS5_6ELb0ES3_mN6thrust23THRUST_200600_302600_NS6detail15normal_iteratorINSA_10device_ptrIyEEEEPS6_SG_NS0_5tupleIJSF_S6_EEENSH_IJSG_SG_EEES6_PlJNSB_9not_fun_tINSB_14equal_to_valueIyEEEEEEE10hipError_tPvRmT3_T4_T5_T6_T7_T9_mT8_P12ihipStream_tbDpT10_ENKUlT_T0_E_clISt17integral_constantIbLb1EES18_EEDaS13_S14_EUlS13_E_NS1_11comp_targetILNS1_3genE2ELNS1_11target_archE906ELNS1_3gpuE6ELNS1_3repE0EEENS1_30default_config_static_selectorELNS0_4arch9wavefront6targetE0EEEvT1_.uses_vcc, 0
	.set _ZN7rocprim17ROCPRIM_400000_NS6detail17trampoline_kernelINS0_14default_configENS1_25partition_config_selectorILNS1_17partition_subalgoE6EyNS0_10empty_typeEbEEZZNS1_14partition_implILS5_6ELb0ES3_mN6thrust23THRUST_200600_302600_NS6detail15normal_iteratorINSA_10device_ptrIyEEEEPS6_SG_NS0_5tupleIJSF_S6_EEENSH_IJSG_SG_EEES6_PlJNSB_9not_fun_tINSB_14equal_to_valueIyEEEEEEE10hipError_tPvRmT3_T4_T5_T6_T7_T9_mT8_P12ihipStream_tbDpT10_ENKUlT_T0_E_clISt17integral_constantIbLb1EES18_EEDaS13_S14_EUlS13_E_NS1_11comp_targetILNS1_3genE2ELNS1_11target_archE906ELNS1_3gpuE6ELNS1_3repE0EEENS1_30default_config_static_selectorELNS0_4arch9wavefront6targetE0EEEvT1_.uses_flat_scratch, 0
	.set _ZN7rocprim17ROCPRIM_400000_NS6detail17trampoline_kernelINS0_14default_configENS1_25partition_config_selectorILNS1_17partition_subalgoE6EyNS0_10empty_typeEbEEZZNS1_14partition_implILS5_6ELb0ES3_mN6thrust23THRUST_200600_302600_NS6detail15normal_iteratorINSA_10device_ptrIyEEEEPS6_SG_NS0_5tupleIJSF_S6_EEENSH_IJSG_SG_EEES6_PlJNSB_9not_fun_tINSB_14equal_to_valueIyEEEEEEE10hipError_tPvRmT3_T4_T5_T6_T7_T9_mT8_P12ihipStream_tbDpT10_ENKUlT_T0_E_clISt17integral_constantIbLb1EES18_EEDaS13_S14_EUlS13_E_NS1_11comp_targetILNS1_3genE2ELNS1_11target_archE906ELNS1_3gpuE6ELNS1_3repE0EEENS1_30default_config_static_selectorELNS0_4arch9wavefront6targetE0EEEvT1_.has_dyn_sized_stack, 0
	.set _ZN7rocprim17ROCPRIM_400000_NS6detail17trampoline_kernelINS0_14default_configENS1_25partition_config_selectorILNS1_17partition_subalgoE6EyNS0_10empty_typeEbEEZZNS1_14partition_implILS5_6ELb0ES3_mN6thrust23THRUST_200600_302600_NS6detail15normal_iteratorINSA_10device_ptrIyEEEEPS6_SG_NS0_5tupleIJSF_S6_EEENSH_IJSG_SG_EEES6_PlJNSB_9not_fun_tINSB_14equal_to_valueIyEEEEEEE10hipError_tPvRmT3_T4_T5_T6_T7_T9_mT8_P12ihipStream_tbDpT10_ENKUlT_T0_E_clISt17integral_constantIbLb1EES18_EEDaS13_S14_EUlS13_E_NS1_11comp_targetILNS1_3genE2ELNS1_11target_archE906ELNS1_3gpuE6ELNS1_3repE0EEENS1_30default_config_static_selectorELNS0_4arch9wavefront6targetE0EEEvT1_.has_recursion, 0
	.set _ZN7rocprim17ROCPRIM_400000_NS6detail17trampoline_kernelINS0_14default_configENS1_25partition_config_selectorILNS1_17partition_subalgoE6EyNS0_10empty_typeEbEEZZNS1_14partition_implILS5_6ELb0ES3_mN6thrust23THRUST_200600_302600_NS6detail15normal_iteratorINSA_10device_ptrIyEEEEPS6_SG_NS0_5tupleIJSF_S6_EEENSH_IJSG_SG_EEES6_PlJNSB_9not_fun_tINSB_14equal_to_valueIyEEEEEEE10hipError_tPvRmT3_T4_T5_T6_T7_T9_mT8_P12ihipStream_tbDpT10_ENKUlT_T0_E_clISt17integral_constantIbLb1EES18_EEDaS13_S14_EUlS13_E_NS1_11comp_targetILNS1_3genE2ELNS1_11target_archE906ELNS1_3gpuE6ELNS1_3repE0EEENS1_30default_config_static_selectorELNS0_4arch9wavefront6targetE0EEEvT1_.has_indirect_call, 0
	.section	.AMDGPU.csdata,"",@progbits
; Kernel info:
; codeLenInByte = 0
; TotalNumSgprs: 0
; NumVgprs: 0
; ScratchSize: 0
; MemoryBound: 0
; FloatMode: 240
; IeeeMode: 1
; LDSByteSize: 0 bytes/workgroup (compile time only)
; SGPRBlocks: 0
; VGPRBlocks: 0
; NumSGPRsForWavesPerEU: 1
; NumVGPRsForWavesPerEU: 1
; Occupancy: 16
; WaveLimiterHint : 0
; COMPUTE_PGM_RSRC2:SCRATCH_EN: 0
; COMPUTE_PGM_RSRC2:USER_SGPR: 2
; COMPUTE_PGM_RSRC2:TRAP_HANDLER: 0
; COMPUTE_PGM_RSRC2:TGID_X_EN: 1
; COMPUTE_PGM_RSRC2:TGID_Y_EN: 0
; COMPUTE_PGM_RSRC2:TGID_Z_EN: 0
; COMPUTE_PGM_RSRC2:TIDIG_COMP_CNT: 0
	.section	.text._ZN7rocprim17ROCPRIM_400000_NS6detail17trampoline_kernelINS0_14default_configENS1_25partition_config_selectorILNS1_17partition_subalgoE6EyNS0_10empty_typeEbEEZZNS1_14partition_implILS5_6ELb0ES3_mN6thrust23THRUST_200600_302600_NS6detail15normal_iteratorINSA_10device_ptrIyEEEEPS6_SG_NS0_5tupleIJSF_S6_EEENSH_IJSG_SG_EEES6_PlJNSB_9not_fun_tINSB_14equal_to_valueIyEEEEEEE10hipError_tPvRmT3_T4_T5_T6_T7_T9_mT8_P12ihipStream_tbDpT10_ENKUlT_T0_E_clISt17integral_constantIbLb1EES18_EEDaS13_S14_EUlS13_E_NS1_11comp_targetILNS1_3genE10ELNS1_11target_archE1200ELNS1_3gpuE4ELNS1_3repE0EEENS1_30default_config_static_selectorELNS0_4arch9wavefront6targetE0EEEvT1_,"axG",@progbits,_ZN7rocprim17ROCPRIM_400000_NS6detail17trampoline_kernelINS0_14default_configENS1_25partition_config_selectorILNS1_17partition_subalgoE6EyNS0_10empty_typeEbEEZZNS1_14partition_implILS5_6ELb0ES3_mN6thrust23THRUST_200600_302600_NS6detail15normal_iteratorINSA_10device_ptrIyEEEEPS6_SG_NS0_5tupleIJSF_S6_EEENSH_IJSG_SG_EEES6_PlJNSB_9not_fun_tINSB_14equal_to_valueIyEEEEEEE10hipError_tPvRmT3_T4_T5_T6_T7_T9_mT8_P12ihipStream_tbDpT10_ENKUlT_T0_E_clISt17integral_constantIbLb1EES18_EEDaS13_S14_EUlS13_E_NS1_11comp_targetILNS1_3genE10ELNS1_11target_archE1200ELNS1_3gpuE4ELNS1_3repE0EEENS1_30default_config_static_selectorELNS0_4arch9wavefront6targetE0EEEvT1_,comdat
	.protected	_ZN7rocprim17ROCPRIM_400000_NS6detail17trampoline_kernelINS0_14default_configENS1_25partition_config_selectorILNS1_17partition_subalgoE6EyNS0_10empty_typeEbEEZZNS1_14partition_implILS5_6ELb0ES3_mN6thrust23THRUST_200600_302600_NS6detail15normal_iteratorINSA_10device_ptrIyEEEEPS6_SG_NS0_5tupleIJSF_S6_EEENSH_IJSG_SG_EEES6_PlJNSB_9not_fun_tINSB_14equal_to_valueIyEEEEEEE10hipError_tPvRmT3_T4_T5_T6_T7_T9_mT8_P12ihipStream_tbDpT10_ENKUlT_T0_E_clISt17integral_constantIbLb1EES18_EEDaS13_S14_EUlS13_E_NS1_11comp_targetILNS1_3genE10ELNS1_11target_archE1200ELNS1_3gpuE4ELNS1_3repE0EEENS1_30default_config_static_selectorELNS0_4arch9wavefront6targetE0EEEvT1_ ; -- Begin function _ZN7rocprim17ROCPRIM_400000_NS6detail17trampoline_kernelINS0_14default_configENS1_25partition_config_selectorILNS1_17partition_subalgoE6EyNS0_10empty_typeEbEEZZNS1_14partition_implILS5_6ELb0ES3_mN6thrust23THRUST_200600_302600_NS6detail15normal_iteratorINSA_10device_ptrIyEEEEPS6_SG_NS0_5tupleIJSF_S6_EEENSH_IJSG_SG_EEES6_PlJNSB_9not_fun_tINSB_14equal_to_valueIyEEEEEEE10hipError_tPvRmT3_T4_T5_T6_T7_T9_mT8_P12ihipStream_tbDpT10_ENKUlT_T0_E_clISt17integral_constantIbLb1EES18_EEDaS13_S14_EUlS13_E_NS1_11comp_targetILNS1_3genE10ELNS1_11target_archE1200ELNS1_3gpuE4ELNS1_3repE0EEENS1_30default_config_static_selectorELNS0_4arch9wavefront6targetE0EEEvT1_
	.globl	_ZN7rocprim17ROCPRIM_400000_NS6detail17trampoline_kernelINS0_14default_configENS1_25partition_config_selectorILNS1_17partition_subalgoE6EyNS0_10empty_typeEbEEZZNS1_14partition_implILS5_6ELb0ES3_mN6thrust23THRUST_200600_302600_NS6detail15normal_iteratorINSA_10device_ptrIyEEEEPS6_SG_NS0_5tupleIJSF_S6_EEENSH_IJSG_SG_EEES6_PlJNSB_9not_fun_tINSB_14equal_to_valueIyEEEEEEE10hipError_tPvRmT3_T4_T5_T6_T7_T9_mT8_P12ihipStream_tbDpT10_ENKUlT_T0_E_clISt17integral_constantIbLb1EES18_EEDaS13_S14_EUlS13_E_NS1_11comp_targetILNS1_3genE10ELNS1_11target_archE1200ELNS1_3gpuE4ELNS1_3repE0EEENS1_30default_config_static_selectorELNS0_4arch9wavefront6targetE0EEEvT1_
	.p2align	8
	.type	_ZN7rocprim17ROCPRIM_400000_NS6detail17trampoline_kernelINS0_14default_configENS1_25partition_config_selectorILNS1_17partition_subalgoE6EyNS0_10empty_typeEbEEZZNS1_14partition_implILS5_6ELb0ES3_mN6thrust23THRUST_200600_302600_NS6detail15normal_iteratorINSA_10device_ptrIyEEEEPS6_SG_NS0_5tupleIJSF_S6_EEENSH_IJSG_SG_EEES6_PlJNSB_9not_fun_tINSB_14equal_to_valueIyEEEEEEE10hipError_tPvRmT3_T4_T5_T6_T7_T9_mT8_P12ihipStream_tbDpT10_ENKUlT_T0_E_clISt17integral_constantIbLb1EES18_EEDaS13_S14_EUlS13_E_NS1_11comp_targetILNS1_3genE10ELNS1_11target_archE1200ELNS1_3gpuE4ELNS1_3repE0EEENS1_30default_config_static_selectorELNS0_4arch9wavefront6targetE0EEEvT1_,@function
_ZN7rocprim17ROCPRIM_400000_NS6detail17trampoline_kernelINS0_14default_configENS1_25partition_config_selectorILNS1_17partition_subalgoE6EyNS0_10empty_typeEbEEZZNS1_14partition_implILS5_6ELb0ES3_mN6thrust23THRUST_200600_302600_NS6detail15normal_iteratorINSA_10device_ptrIyEEEEPS6_SG_NS0_5tupleIJSF_S6_EEENSH_IJSG_SG_EEES6_PlJNSB_9not_fun_tINSB_14equal_to_valueIyEEEEEEE10hipError_tPvRmT3_T4_T5_T6_T7_T9_mT8_P12ihipStream_tbDpT10_ENKUlT_T0_E_clISt17integral_constantIbLb1EES18_EEDaS13_S14_EUlS13_E_NS1_11comp_targetILNS1_3genE10ELNS1_11target_archE1200ELNS1_3gpuE4ELNS1_3repE0EEENS1_30default_config_static_selectorELNS0_4arch9wavefront6targetE0EEEvT1_: ; @_ZN7rocprim17ROCPRIM_400000_NS6detail17trampoline_kernelINS0_14default_configENS1_25partition_config_selectorILNS1_17partition_subalgoE6EyNS0_10empty_typeEbEEZZNS1_14partition_implILS5_6ELb0ES3_mN6thrust23THRUST_200600_302600_NS6detail15normal_iteratorINSA_10device_ptrIyEEEEPS6_SG_NS0_5tupleIJSF_S6_EEENSH_IJSG_SG_EEES6_PlJNSB_9not_fun_tINSB_14equal_to_valueIyEEEEEEE10hipError_tPvRmT3_T4_T5_T6_T7_T9_mT8_P12ihipStream_tbDpT10_ENKUlT_T0_E_clISt17integral_constantIbLb1EES18_EEDaS13_S14_EUlS13_E_NS1_11comp_targetILNS1_3genE10ELNS1_11target_archE1200ELNS1_3gpuE4ELNS1_3repE0EEENS1_30default_config_static_selectorELNS0_4arch9wavefront6targetE0EEEvT1_
; %bb.0:
	s_endpgm
	.section	.rodata,"a",@progbits
	.p2align	6, 0x0
	.amdhsa_kernel _ZN7rocprim17ROCPRIM_400000_NS6detail17trampoline_kernelINS0_14default_configENS1_25partition_config_selectorILNS1_17partition_subalgoE6EyNS0_10empty_typeEbEEZZNS1_14partition_implILS5_6ELb0ES3_mN6thrust23THRUST_200600_302600_NS6detail15normal_iteratorINSA_10device_ptrIyEEEEPS6_SG_NS0_5tupleIJSF_S6_EEENSH_IJSG_SG_EEES6_PlJNSB_9not_fun_tINSB_14equal_to_valueIyEEEEEEE10hipError_tPvRmT3_T4_T5_T6_T7_T9_mT8_P12ihipStream_tbDpT10_ENKUlT_T0_E_clISt17integral_constantIbLb1EES18_EEDaS13_S14_EUlS13_E_NS1_11comp_targetILNS1_3genE10ELNS1_11target_archE1200ELNS1_3gpuE4ELNS1_3repE0EEENS1_30default_config_static_selectorELNS0_4arch9wavefront6targetE0EEEvT1_
		.amdhsa_group_segment_fixed_size 0
		.amdhsa_private_segment_fixed_size 0
		.amdhsa_kernarg_size 128
		.amdhsa_user_sgpr_count 2
		.amdhsa_user_sgpr_dispatch_ptr 0
		.amdhsa_user_sgpr_queue_ptr 0
		.amdhsa_user_sgpr_kernarg_segment_ptr 1
		.amdhsa_user_sgpr_dispatch_id 0
		.amdhsa_user_sgpr_private_segment_size 0
		.amdhsa_wavefront_size32 1
		.amdhsa_uses_dynamic_stack 0
		.amdhsa_enable_private_segment 0
		.amdhsa_system_sgpr_workgroup_id_x 1
		.amdhsa_system_sgpr_workgroup_id_y 0
		.amdhsa_system_sgpr_workgroup_id_z 0
		.amdhsa_system_sgpr_workgroup_info 0
		.amdhsa_system_vgpr_workitem_id 0
		.amdhsa_next_free_vgpr 1
		.amdhsa_next_free_sgpr 1
		.amdhsa_reserve_vcc 0
		.amdhsa_float_round_mode_32 0
		.amdhsa_float_round_mode_16_64 0
		.amdhsa_float_denorm_mode_32 3
		.amdhsa_float_denorm_mode_16_64 3
		.amdhsa_fp16_overflow 0
		.amdhsa_workgroup_processor_mode 1
		.amdhsa_memory_ordered 1
		.amdhsa_forward_progress 1
		.amdhsa_inst_pref_size 1
		.amdhsa_round_robin_scheduling 0
		.amdhsa_exception_fp_ieee_invalid_op 0
		.amdhsa_exception_fp_denorm_src 0
		.amdhsa_exception_fp_ieee_div_zero 0
		.amdhsa_exception_fp_ieee_overflow 0
		.amdhsa_exception_fp_ieee_underflow 0
		.amdhsa_exception_fp_ieee_inexact 0
		.amdhsa_exception_int_div_zero 0
	.end_amdhsa_kernel
	.section	.text._ZN7rocprim17ROCPRIM_400000_NS6detail17trampoline_kernelINS0_14default_configENS1_25partition_config_selectorILNS1_17partition_subalgoE6EyNS0_10empty_typeEbEEZZNS1_14partition_implILS5_6ELb0ES3_mN6thrust23THRUST_200600_302600_NS6detail15normal_iteratorINSA_10device_ptrIyEEEEPS6_SG_NS0_5tupleIJSF_S6_EEENSH_IJSG_SG_EEES6_PlJNSB_9not_fun_tINSB_14equal_to_valueIyEEEEEEE10hipError_tPvRmT3_T4_T5_T6_T7_T9_mT8_P12ihipStream_tbDpT10_ENKUlT_T0_E_clISt17integral_constantIbLb1EES18_EEDaS13_S14_EUlS13_E_NS1_11comp_targetILNS1_3genE10ELNS1_11target_archE1200ELNS1_3gpuE4ELNS1_3repE0EEENS1_30default_config_static_selectorELNS0_4arch9wavefront6targetE0EEEvT1_,"axG",@progbits,_ZN7rocprim17ROCPRIM_400000_NS6detail17trampoline_kernelINS0_14default_configENS1_25partition_config_selectorILNS1_17partition_subalgoE6EyNS0_10empty_typeEbEEZZNS1_14partition_implILS5_6ELb0ES3_mN6thrust23THRUST_200600_302600_NS6detail15normal_iteratorINSA_10device_ptrIyEEEEPS6_SG_NS0_5tupleIJSF_S6_EEENSH_IJSG_SG_EEES6_PlJNSB_9not_fun_tINSB_14equal_to_valueIyEEEEEEE10hipError_tPvRmT3_T4_T5_T6_T7_T9_mT8_P12ihipStream_tbDpT10_ENKUlT_T0_E_clISt17integral_constantIbLb1EES18_EEDaS13_S14_EUlS13_E_NS1_11comp_targetILNS1_3genE10ELNS1_11target_archE1200ELNS1_3gpuE4ELNS1_3repE0EEENS1_30default_config_static_selectorELNS0_4arch9wavefront6targetE0EEEvT1_,comdat
.Lfunc_end354:
	.size	_ZN7rocprim17ROCPRIM_400000_NS6detail17trampoline_kernelINS0_14default_configENS1_25partition_config_selectorILNS1_17partition_subalgoE6EyNS0_10empty_typeEbEEZZNS1_14partition_implILS5_6ELb0ES3_mN6thrust23THRUST_200600_302600_NS6detail15normal_iteratorINSA_10device_ptrIyEEEEPS6_SG_NS0_5tupleIJSF_S6_EEENSH_IJSG_SG_EEES6_PlJNSB_9not_fun_tINSB_14equal_to_valueIyEEEEEEE10hipError_tPvRmT3_T4_T5_T6_T7_T9_mT8_P12ihipStream_tbDpT10_ENKUlT_T0_E_clISt17integral_constantIbLb1EES18_EEDaS13_S14_EUlS13_E_NS1_11comp_targetILNS1_3genE10ELNS1_11target_archE1200ELNS1_3gpuE4ELNS1_3repE0EEENS1_30default_config_static_selectorELNS0_4arch9wavefront6targetE0EEEvT1_, .Lfunc_end354-_ZN7rocprim17ROCPRIM_400000_NS6detail17trampoline_kernelINS0_14default_configENS1_25partition_config_selectorILNS1_17partition_subalgoE6EyNS0_10empty_typeEbEEZZNS1_14partition_implILS5_6ELb0ES3_mN6thrust23THRUST_200600_302600_NS6detail15normal_iteratorINSA_10device_ptrIyEEEEPS6_SG_NS0_5tupleIJSF_S6_EEENSH_IJSG_SG_EEES6_PlJNSB_9not_fun_tINSB_14equal_to_valueIyEEEEEEE10hipError_tPvRmT3_T4_T5_T6_T7_T9_mT8_P12ihipStream_tbDpT10_ENKUlT_T0_E_clISt17integral_constantIbLb1EES18_EEDaS13_S14_EUlS13_E_NS1_11comp_targetILNS1_3genE10ELNS1_11target_archE1200ELNS1_3gpuE4ELNS1_3repE0EEENS1_30default_config_static_selectorELNS0_4arch9wavefront6targetE0EEEvT1_
                                        ; -- End function
	.set _ZN7rocprim17ROCPRIM_400000_NS6detail17trampoline_kernelINS0_14default_configENS1_25partition_config_selectorILNS1_17partition_subalgoE6EyNS0_10empty_typeEbEEZZNS1_14partition_implILS5_6ELb0ES3_mN6thrust23THRUST_200600_302600_NS6detail15normal_iteratorINSA_10device_ptrIyEEEEPS6_SG_NS0_5tupleIJSF_S6_EEENSH_IJSG_SG_EEES6_PlJNSB_9not_fun_tINSB_14equal_to_valueIyEEEEEEE10hipError_tPvRmT3_T4_T5_T6_T7_T9_mT8_P12ihipStream_tbDpT10_ENKUlT_T0_E_clISt17integral_constantIbLb1EES18_EEDaS13_S14_EUlS13_E_NS1_11comp_targetILNS1_3genE10ELNS1_11target_archE1200ELNS1_3gpuE4ELNS1_3repE0EEENS1_30default_config_static_selectorELNS0_4arch9wavefront6targetE0EEEvT1_.num_vgpr, 0
	.set _ZN7rocprim17ROCPRIM_400000_NS6detail17trampoline_kernelINS0_14default_configENS1_25partition_config_selectorILNS1_17partition_subalgoE6EyNS0_10empty_typeEbEEZZNS1_14partition_implILS5_6ELb0ES3_mN6thrust23THRUST_200600_302600_NS6detail15normal_iteratorINSA_10device_ptrIyEEEEPS6_SG_NS0_5tupleIJSF_S6_EEENSH_IJSG_SG_EEES6_PlJNSB_9not_fun_tINSB_14equal_to_valueIyEEEEEEE10hipError_tPvRmT3_T4_T5_T6_T7_T9_mT8_P12ihipStream_tbDpT10_ENKUlT_T0_E_clISt17integral_constantIbLb1EES18_EEDaS13_S14_EUlS13_E_NS1_11comp_targetILNS1_3genE10ELNS1_11target_archE1200ELNS1_3gpuE4ELNS1_3repE0EEENS1_30default_config_static_selectorELNS0_4arch9wavefront6targetE0EEEvT1_.num_agpr, 0
	.set _ZN7rocprim17ROCPRIM_400000_NS6detail17trampoline_kernelINS0_14default_configENS1_25partition_config_selectorILNS1_17partition_subalgoE6EyNS0_10empty_typeEbEEZZNS1_14partition_implILS5_6ELb0ES3_mN6thrust23THRUST_200600_302600_NS6detail15normal_iteratorINSA_10device_ptrIyEEEEPS6_SG_NS0_5tupleIJSF_S6_EEENSH_IJSG_SG_EEES6_PlJNSB_9not_fun_tINSB_14equal_to_valueIyEEEEEEE10hipError_tPvRmT3_T4_T5_T6_T7_T9_mT8_P12ihipStream_tbDpT10_ENKUlT_T0_E_clISt17integral_constantIbLb1EES18_EEDaS13_S14_EUlS13_E_NS1_11comp_targetILNS1_3genE10ELNS1_11target_archE1200ELNS1_3gpuE4ELNS1_3repE0EEENS1_30default_config_static_selectorELNS0_4arch9wavefront6targetE0EEEvT1_.numbered_sgpr, 0
	.set _ZN7rocprim17ROCPRIM_400000_NS6detail17trampoline_kernelINS0_14default_configENS1_25partition_config_selectorILNS1_17partition_subalgoE6EyNS0_10empty_typeEbEEZZNS1_14partition_implILS5_6ELb0ES3_mN6thrust23THRUST_200600_302600_NS6detail15normal_iteratorINSA_10device_ptrIyEEEEPS6_SG_NS0_5tupleIJSF_S6_EEENSH_IJSG_SG_EEES6_PlJNSB_9not_fun_tINSB_14equal_to_valueIyEEEEEEE10hipError_tPvRmT3_T4_T5_T6_T7_T9_mT8_P12ihipStream_tbDpT10_ENKUlT_T0_E_clISt17integral_constantIbLb1EES18_EEDaS13_S14_EUlS13_E_NS1_11comp_targetILNS1_3genE10ELNS1_11target_archE1200ELNS1_3gpuE4ELNS1_3repE0EEENS1_30default_config_static_selectorELNS0_4arch9wavefront6targetE0EEEvT1_.num_named_barrier, 0
	.set _ZN7rocprim17ROCPRIM_400000_NS6detail17trampoline_kernelINS0_14default_configENS1_25partition_config_selectorILNS1_17partition_subalgoE6EyNS0_10empty_typeEbEEZZNS1_14partition_implILS5_6ELb0ES3_mN6thrust23THRUST_200600_302600_NS6detail15normal_iteratorINSA_10device_ptrIyEEEEPS6_SG_NS0_5tupleIJSF_S6_EEENSH_IJSG_SG_EEES6_PlJNSB_9not_fun_tINSB_14equal_to_valueIyEEEEEEE10hipError_tPvRmT3_T4_T5_T6_T7_T9_mT8_P12ihipStream_tbDpT10_ENKUlT_T0_E_clISt17integral_constantIbLb1EES18_EEDaS13_S14_EUlS13_E_NS1_11comp_targetILNS1_3genE10ELNS1_11target_archE1200ELNS1_3gpuE4ELNS1_3repE0EEENS1_30default_config_static_selectorELNS0_4arch9wavefront6targetE0EEEvT1_.private_seg_size, 0
	.set _ZN7rocprim17ROCPRIM_400000_NS6detail17trampoline_kernelINS0_14default_configENS1_25partition_config_selectorILNS1_17partition_subalgoE6EyNS0_10empty_typeEbEEZZNS1_14partition_implILS5_6ELb0ES3_mN6thrust23THRUST_200600_302600_NS6detail15normal_iteratorINSA_10device_ptrIyEEEEPS6_SG_NS0_5tupleIJSF_S6_EEENSH_IJSG_SG_EEES6_PlJNSB_9not_fun_tINSB_14equal_to_valueIyEEEEEEE10hipError_tPvRmT3_T4_T5_T6_T7_T9_mT8_P12ihipStream_tbDpT10_ENKUlT_T0_E_clISt17integral_constantIbLb1EES18_EEDaS13_S14_EUlS13_E_NS1_11comp_targetILNS1_3genE10ELNS1_11target_archE1200ELNS1_3gpuE4ELNS1_3repE0EEENS1_30default_config_static_selectorELNS0_4arch9wavefront6targetE0EEEvT1_.uses_vcc, 0
	.set _ZN7rocprim17ROCPRIM_400000_NS6detail17trampoline_kernelINS0_14default_configENS1_25partition_config_selectorILNS1_17partition_subalgoE6EyNS0_10empty_typeEbEEZZNS1_14partition_implILS5_6ELb0ES3_mN6thrust23THRUST_200600_302600_NS6detail15normal_iteratorINSA_10device_ptrIyEEEEPS6_SG_NS0_5tupleIJSF_S6_EEENSH_IJSG_SG_EEES6_PlJNSB_9not_fun_tINSB_14equal_to_valueIyEEEEEEE10hipError_tPvRmT3_T4_T5_T6_T7_T9_mT8_P12ihipStream_tbDpT10_ENKUlT_T0_E_clISt17integral_constantIbLb1EES18_EEDaS13_S14_EUlS13_E_NS1_11comp_targetILNS1_3genE10ELNS1_11target_archE1200ELNS1_3gpuE4ELNS1_3repE0EEENS1_30default_config_static_selectorELNS0_4arch9wavefront6targetE0EEEvT1_.uses_flat_scratch, 0
	.set _ZN7rocprim17ROCPRIM_400000_NS6detail17trampoline_kernelINS0_14default_configENS1_25partition_config_selectorILNS1_17partition_subalgoE6EyNS0_10empty_typeEbEEZZNS1_14partition_implILS5_6ELb0ES3_mN6thrust23THRUST_200600_302600_NS6detail15normal_iteratorINSA_10device_ptrIyEEEEPS6_SG_NS0_5tupleIJSF_S6_EEENSH_IJSG_SG_EEES6_PlJNSB_9not_fun_tINSB_14equal_to_valueIyEEEEEEE10hipError_tPvRmT3_T4_T5_T6_T7_T9_mT8_P12ihipStream_tbDpT10_ENKUlT_T0_E_clISt17integral_constantIbLb1EES18_EEDaS13_S14_EUlS13_E_NS1_11comp_targetILNS1_3genE10ELNS1_11target_archE1200ELNS1_3gpuE4ELNS1_3repE0EEENS1_30default_config_static_selectorELNS0_4arch9wavefront6targetE0EEEvT1_.has_dyn_sized_stack, 0
	.set _ZN7rocprim17ROCPRIM_400000_NS6detail17trampoline_kernelINS0_14default_configENS1_25partition_config_selectorILNS1_17partition_subalgoE6EyNS0_10empty_typeEbEEZZNS1_14partition_implILS5_6ELb0ES3_mN6thrust23THRUST_200600_302600_NS6detail15normal_iteratorINSA_10device_ptrIyEEEEPS6_SG_NS0_5tupleIJSF_S6_EEENSH_IJSG_SG_EEES6_PlJNSB_9not_fun_tINSB_14equal_to_valueIyEEEEEEE10hipError_tPvRmT3_T4_T5_T6_T7_T9_mT8_P12ihipStream_tbDpT10_ENKUlT_T0_E_clISt17integral_constantIbLb1EES18_EEDaS13_S14_EUlS13_E_NS1_11comp_targetILNS1_3genE10ELNS1_11target_archE1200ELNS1_3gpuE4ELNS1_3repE0EEENS1_30default_config_static_selectorELNS0_4arch9wavefront6targetE0EEEvT1_.has_recursion, 0
	.set _ZN7rocprim17ROCPRIM_400000_NS6detail17trampoline_kernelINS0_14default_configENS1_25partition_config_selectorILNS1_17partition_subalgoE6EyNS0_10empty_typeEbEEZZNS1_14partition_implILS5_6ELb0ES3_mN6thrust23THRUST_200600_302600_NS6detail15normal_iteratorINSA_10device_ptrIyEEEEPS6_SG_NS0_5tupleIJSF_S6_EEENSH_IJSG_SG_EEES6_PlJNSB_9not_fun_tINSB_14equal_to_valueIyEEEEEEE10hipError_tPvRmT3_T4_T5_T6_T7_T9_mT8_P12ihipStream_tbDpT10_ENKUlT_T0_E_clISt17integral_constantIbLb1EES18_EEDaS13_S14_EUlS13_E_NS1_11comp_targetILNS1_3genE10ELNS1_11target_archE1200ELNS1_3gpuE4ELNS1_3repE0EEENS1_30default_config_static_selectorELNS0_4arch9wavefront6targetE0EEEvT1_.has_indirect_call, 0
	.section	.AMDGPU.csdata,"",@progbits
; Kernel info:
; codeLenInByte = 4
; TotalNumSgprs: 0
; NumVgprs: 0
; ScratchSize: 0
; MemoryBound: 0
; FloatMode: 240
; IeeeMode: 1
; LDSByteSize: 0 bytes/workgroup (compile time only)
; SGPRBlocks: 0
; VGPRBlocks: 0
; NumSGPRsForWavesPerEU: 1
; NumVGPRsForWavesPerEU: 1
; Occupancy: 16
; WaveLimiterHint : 0
; COMPUTE_PGM_RSRC2:SCRATCH_EN: 0
; COMPUTE_PGM_RSRC2:USER_SGPR: 2
; COMPUTE_PGM_RSRC2:TRAP_HANDLER: 0
; COMPUTE_PGM_RSRC2:TGID_X_EN: 1
; COMPUTE_PGM_RSRC2:TGID_Y_EN: 0
; COMPUTE_PGM_RSRC2:TGID_Z_EN: 0
; COMPUTE_PGM_RSRC2:TIDIG_COMP_CNT: 0
	.section	.text._ZN7rocprim17ROCPRIM_400000_NS6detail17trampoline_kernelINS0_14default_configENS1_25partition_config_selectorILNS1_17partition_subalgoE6EyNS0_10empty_typeEbEEZZNS1_14partition_implILS5_6ELb0ES3_mN6thrust23THRUST_200600_302600_NS6detail15normal_iteratorINSA_10device_ptrIyEEEEPS6_SG_NS0_5tupleIJSF_S6_EEENSH_IJSG_SG_EEES6_PlJNSB_9not_fun_tINSB_14equal_to_valueIyEEEEEEE10hipError_tPvRmT3_T4_T5_T6_T7_T9_mT8_P12ihipStream_tbDpT10_ENKUlT_T0_E_clISt17integral_constantIbLb1EES18_EEDaS13_S14_EUlS13_E_NS1_11comp_targetILNS1_3genE9ELNS1_11target_archE1100ELNS1_3gpuE3ELNS1_3repE0EEENS1_30default_config_static_selectorELNS0_4arch9wavefront6targetE0EEEvT1_,"axG",@progbits,_ZN7rocprim17ROCPRIM_400000_NS6detail17trampoline_kernelINS0_14default_configENS1_25partition_config_selectorILNS1_17partition_subalgoE6EyNS0_10empty_typeEbEEZZNS1_14partition_implILS5_6ELb0ES3_mN6thrust23THRUST_200600_302600_NS6detail15normal_iteratorINSA_10device_ptrIyEEEEPS6_SG_NS0_5tupleIJSF_S6_EEENSH_IJSG_SG_EEES6_PlJNSB_9not_fun_tINSB_14equal_to_valueIyEEEEEEE10hipError_tPvRmT3_T4_T5_T6_T7_T9_mT8_P12ihipStream_tbDpT10_ENKUlT_T0_E_clISt17integral_constantIbLb1EES18_EEDaS13_S14_EUlS13_E_NS1_11comp_targetILNS1_3genE9ELNS1_11target_archE1100ELNS1_3gpuE3ELNS1_3repE0EEENS1_30default_config_static_selectorELNS0_4arch9wavefront6targetE0EEEvT1_,comdat
	.protected	_ZN7rocprim17ROCPRIM_400000_NS6detail17trampoline_kernelINS0_14default_configENS1_25partition_config_selectorILNS1_17partition_subalgoE6EyNS0_10empty_typeEbEEZZNS1_14partition_implILS5_6ELb0ES3_mN6thrust23THRUST_200600_302600_NS6detail15normal_iteratorINSA_10device_ptrIyEEEEPS6_SG_NS0_5tupleIJSF_S6_EEENSH_IJSG_SG_EEES6_PlJNSB_9not_fun_tINSB_14equal_to_valueIyEEEEEEE10hipError_tPvRmT3_T4_T5_T6_T7_T9_mT8_P12ihipStream_tbDpT10_ENKUlT_T0_E_clISt17integral_constantIbLb1EES18_EEDaS13_S14_EUlS13_E_NS1_11comp_targetILNS1_3genE9ELNS1_11target_archE1100ELNS1_3gpuE3ELNS1_3repE0EEENS1_30default_config_static_selectorELNS0_4arch9wavefront6targetE0EEEvT1_ ; -- Begin function _ZN7rocprim17ROCPRIM_400000_NS6detail17trampoline_kernelINS0_14default_configENS1_25partition_config_selectorILNS1_17partition_subalgoE6EyNS0_10empty_typeEbEEZZNS1_14partition_implILS5_6ELb0ES3_mN6thrust23THRUST_200600_302600_NS6detail15normal_iteratorINSA_10device_ptrIyEEEEPS6_SG_NS0_5tupleIJSF_S6_EEENSH_IJSG_SG_EEES6_PlJNSB_9not_fun_tINSB_14equal_to_valueIyEEEEEEE10hipError_tPvRmT3_T4_T5_T6_T7_T9_mT8_P12ihipStream_tbDpT10_ENKUlT_T0_E_clISt17integral_constantIbLb1EES18_EEDaS13_S14_EUlS13_E_NS1_11comp_targetILNS1_3genE9ELNS1_11target_archE1100ELNS1_3gpuE3ELNS1_3repE0EEENS1_30default_config_static_selectorELNS0_4arch9wavefront6targetE0EEEvT1_
	.globl	_ZN7rocprim17ROCPRIM_400000_NS6detail17trampoline_kernelINS0_14default_configENS1_25partition_config_selectorILNS1_17partition_subalgoE6EyNS0_10empty_typeEbEEZZNS1_14partition_implILS5_6ELb0ES3_mN6thrust23THRUST_200600_302600_NS6detail15normal_iteratorINSA_10device_ptrIyEEEEPS6_SG_NS0_5tupleIJSF_S6_EEENSH_IJSG_SG_EEES6_PlJNSB_9not_fun_tINSB_14equal_to_valueIyEEEEEEE10hipError_tPvRmT3_T4_T5_T6_T7_T9_mT8_P12ihipStream_tbDpT10_ENKUlT_T0_E_clISt17integral_constantIbLb1EES18_EEDaS13_S14_EUlS13_E_NS1_11comp_targetILNS1_3genE9ELNS1_11target_archE1100ELNS1_3gpuE3ELNS1_3repE0EEENS1_30default_config_static_selectorELNS0_4arch9wavefront6targetE0EEEvT1_
	.p2align	8
	.type	_ZN7rocprim17ROCPRIM_400000_NS6detail17trampoline_kernelINS0_14default_configENS1_25partition_config_selectorILNS1_17partition_subalgoE6EyNS0_10empty_typeEbEEZZNS1_14partition_implILS5_6ELb0ES3_mN6thrust23THRUST_200600_302600_NS6detail15normal_iteratorINSA_10device_ptrIyEEEEPS6_SG_NS0_5tupleIJSF_S6_EEENSH_IJSG_SG_EEES6_PlJNSB_9not_fun_tINSB_14equal_to_valueIyEEEEEEE10hipError_tPvRmT3_T4_T5_T6_T7_T9_mT8_P12ihipStream_tbDpT10_ENKUlT_T0_E_clISt17integral_constantIbLb1EES18_EEDaS13_S14_EUlS13_E_NS1_11comp_targetILNS1_3genE9ELNS1_11target_archE1100ELNS1_3gpuE3ELNS1_3repE0EEENS1_30default_config_static_selectorELNS0_4arch9wavefront6targetE0EEEvT1_,@function
_ZN7rocprim17ROCPRIM_400000_NS6detail17trampoline_kernelINS0_14default_configENS1_25partition_config_selectorILNS1_17partition_subalgoE6EyNS0_10empty_typeEbEEZZNS1_14partition_implILS5_6ELb0ES3_mN6thrust23THRUST_200600_302600_NS6detail15normal_iteratorINSA_10device_ptrIyEEEEPS6_SG_NS0_5tupleIJSF_S6_EEENSH_IJSG_SG_EEES6_PlJNSB_9not_fun_tINSB_14equal_to_valueIyEEEEEEE10hipError_tPvRmT3_T4_T5_T6_T7_T9_mT8_P12ihipStream_tbDpT10_ENKUlT_T0_E_clISt17integral_constantIbLb1EES18_EEDaS13_S14_EUlS13_E_NS1_11comp_targetILNS1_3genE9ELNS1_11target_archE1100ELNS1_3gpuE3ELNS1_3repE0EEENS1_30default_config_static_selectorELNS0_4arch9wavefront6targetE0EEEvT1_: ; @_ZN7rocprim17ROCPRIM_400000_NS6detail17trampoline_kernelINS0_14default_configENS1_25partition_config_selectorILNS1_17partition_subalgoE6EyNS0_10empty_typeEbEEZZNS1_14partition_implILS5_6ELb0ES3_mN6thrust23THRUST_200600_302600_NS6detail15normal_iteratorINSA_10device_ptrIyEEEEPS6_SG_NS0_5tupleIJSF_S6_EEENSH_IJSG_SG_EEES6_PlJNSB_9not_fun_tINSB_14equal_to_valueIyEEEEEEE10hipError_tPvRmT3_T4_T5_T6_T7_T9_mT8_P12ihipStream_tbDpT10_ENKUlT_T0_E_clISt17integral_constantIbLb1EES18_EEDaS13_S14_EUlS13_E_NS1_11comp_targetILNS1_3genE9ELNS1_11target_archE1100ELNS1_3gpuE3ELNS1_3repE0EEENS1_30default_config_static_selectorELNS0_4arch9wavefront6targetE0EEEvT1_
; %bb.0:
	.section	.rodata,"a",@progbits
	.p2align	6, 0x0
	.amdhsa_kernel _ZN7rocprim17ROCPRIM_400000_NS6detail17trampoline_kernelINS0_14default_configENS1_25partition_config_selectorILNS1_17partition_subalgoE6EyNS0_10empty_typeEbEEZZNS1_14partition_implILS5_6ELb0ES3_mN6thrust23THRUST_200600_302600_NS6detail15normal_iteratorINSA_10device_ptrIyEEEEPS6_SG_NS0_5tupleIJSF_S6_EEENSH_IJSG_SG_EEES6_PlJNSB_9not_fun_tINSB_14equal_to_valueIyEEEEEEE10hipError_tPvRmT3_T4_T5_T6_T7_T9_mT8_P12ihipStream_tbDpT10_ENKUlT_T0_E_clISt17integral_constantIbLb1EES18_EEDaS13_S14_EUlS13_E_NS1_11comp_targetILNS1_3genE9ELNS1_11target_archE1100ELNS1_3gpuE3ELNS1_3repE0EEENS1_30default_config_static_selectorELNS0_4arch9wavefront6targetE0EEEvT1_
		.amdhsa_group_segment_fixed_size 0
		.amdhsa_private_segment_fixed_size 0
		.amdhsa_kernarg_size 128
		.amdhsa_user_sgpr_count 2
		.amdhsa_user_sgpr_dispatch_ptr 0
		.amdhsa_user_sgpr_queue_ptr 0
		.amdhsa_user_sgpr_kernarg_segment_ptr 1
		.amdhsa_user_sgpr_dispatch_id 0
		.amdhsa_user_sgpr_private_segment_size 0
		.amdhsa_wavefront_size32 1
		.amdhsa_uses_dynamic_stack 0
		.amdhsa_enable_private_segment 0
		.amdhsa_system_sgpr_workgroup_id_x 1
		.amdhsa_system_sgpr_workgroup_id_y 0
		.amdhsa_system_sgpr_workgroup_id_z 0
		.amdhsa_system_sgpr_workgroup_info 0
		.amdhsa_system_vgpr_workitem_id 0
		.amdhsa_next_free_vgpr 1
		.amdhsa_next_free_sgpr 1
		.amdhsa_reserve_vcc 0
		.amdhsa_float_round_mode_32 0
		.amdhsa_float_round_mode_16_64 0
		.amdhsa_float_denorm_mode_32 3
		.amdhsa_float_denorm_mode_16_64 3
		.amdhsa_fp16_overflow 0
		.amdhsa_workgroup_processor_mode 1
		.amdhsa_memory_ordered 1
		.amdhsa_forward_progress 1
		.amdhsa_inst_pref_size 0
		.amdhsa_round_robin_scheduling 0
		.amdhsa_exception_fp_ieee_invalid_op 0
		.amdhsa_exception_fp_denorm_src 0
		.amdhsa_exception_fp_ieee_div_zero 0
		.amdhsa_exception_fp_ieee_overflow 0
		.amdhsa_exception_fp_ieee_underflow 0
		.amdhsa_exception_fp_ieee_inexact 0
		.amdhsa_exception_int_div_zero 0
	.end_amdhsa_kernel
	.section	.text._ZN7rocprim17ROCPRIM_400000_NS6detail17trampoline_kernelINS0_14default_configENS1_25partition_config_selectorILNS1_17partition_subalgoE6EyNS0_10empty_typeEbEEZZNS1_14partition_implILS5_6ELb0ES3_mN6thrust23THRUST_200600_302600_NS6detail15normal_iteratorINSA_10device_ptrIyEEEEPS6_SG_NS0_5tupleIJSF_S6_EEENSH_IJSG_SG_EEES6_PlJNSB_9not_fun_tINSB_14equal_to_valueIyEEEEEEE10hipError_tPvRmT3_T4_T5_T6_T7_T9_mT8_P12ihipStream_tbDpT10_ENKUlT_T0_E_clISt17integral_constantIbLb1EES18_EEDaS13_S14_EUlS13_E_NS1_11comp_targetILNS1_3genE9ELNS1_11target_archE1100ELNS1_3gpuE3ELNS1_3repE0EEENS1_30default_config_static_selectorELNS0_4arch9wavefront6targetE0EEEvT1_,"axG",@progbits,_ZN7rocprim17ROCPRIM_400000_NS6detail17trampoline_kernelINS0_14default_configENS1_25partition_config_selectorILNS1_17partition_subalgoE6EyNS0_10empty_typeEbEEZZNS1_14partition_implILS5_6ELb0ES3_mN6thrust23THRUST_200600_302600_NS6detail15normal_iteratorINSA_10device_ptrIyEEEEPS6_SG_NS0_5tupleIJSF_S6_EEENSH_IJSG_SG_EEES6_PlJNSB_9not_fun_tINSB_14equal_to_valueIyEEEEEEE10hipError_tPvRmT3_T4_T5_T6_T7_T9_mT8_P12ihipStream_tbDpT10_ENKUlT_T0_E_clISt17integral_constantIbLb1EES18_EEDaS13_S14_EUlS13_E_NS1_11comp_targetILNS1_3genE9ELNS1_11target_archE1100ELNS1_3gpuE3ELNS1_3repE0EEENS1_30default_config_static_selectorELNS0_4arch9wavefront6targetE0EEEvT1_,comdat
.Lfunc_end355:
	.size	_ZN7rocprim17ROCPRIM_400000_NS6detail17trampoline_kernelINS0_14default_configENS1_25partition_config_selectorILNS1_17partition_subalgoE6EyNS0_10empty_typeEbEEZZNS1_14partition_implILS5_6ELb0ES3_mN6thrust23THRUST_200600_302600_NS6detail15normal_iteratorINSA_10device_ptrIyEEEEPS6_SG_NS0_5tupleIJSF_S6_EEENSH_IJSG_SG_EEES6_PlJNSB_9not_fun_tINSB_14equal_to_valueIyEEEEEEE10hipError_tPvRmT3_T4_T5_T6_T7_T9_mT8_P12ihipStream_tbDpT10_ENKUlT_T0_E_clISt17integral_constantIbLb1EES18_EEDaS13_S14_EUlS13_E_NS1_11comp_targetILNS1_3genE9ELNS1_11target_archE1100ELNS1_3gpuE3ELNS1_3repE0EEENS1_30default_config_static_selectorELNS0_4arch9wavefront6targetE0EEEvT1_, .Lfunc_end355-_ZN7rocprim17ROCPRIM_400000_NS6detail17trampoline_kernelINS0_14default_configENS1_25partition_config_selectorILNS1_17partition_subalgoE6EyNS0_10empty_typeEbEEZZNS1_14partition_implILS5_6ELb0ES3_mN6thrust23THRUST_200600_302600_NS6detail15normal_iteratorINSA_10device_ptrIyEEEEPS6_SG_NS0_5tupleIJSF_S6_EEENSH_IJSG_SG_EEES6_PlJNSB_9not_fun_tINSB_14equal_to_valueIyEEEEEEE10hipError_tPvRmT3_T4_T5_T6_T7_T9_mT8_P12ihipStream_tbDpT10_ENKUlT_T0_E_clISt17integral_constantIbLb1EES18_EEDaS13_S14_EUlS13_E_NS1_11comp_targetILNS1_3genE9ELNS1_11target_archE1100ELNS1_3gpuE3ELNS1_3repE0EEENS1_30default_config_static_selectorELNS0_4arch9wavefront6targetE0EEEvT1_
                                        ; -- End function
	.set _ZN7rocprim17ROCPRIM_400000_NS6detail17trampoline_kernelINS0_14default_configENS1_25partition_config_selectorILNS1_17partition_subalgoE6EyNS0_10empty_typeEbEEZZNS1_14partition_implILS5_6ELb0ES3_mN6thrust23THRUST_200600_302600_NS6detail15normal_iteratorINSA_10device_ptrIyEEEEPS6_SG_NS0_5tupleIJSF_S6_EEENSH_IJSG_SG_EEES6_PlJNSB_9not_fun_tINSB_14equal_to_valueIyEEEEEEE10hipError_tPvRmT3_T4_T5_T6_T7_T9_mT8_P12ihipStream_tbDpT10_ENKUlT_T0_E_clISt17integral_constantIbLb1EES18_EEDaS13_S14_EUlS13_E_NS1_11comp_targetILNS1_3genE9ELNS1_11target_archE1100ELNS1_3gpuE3ELNS1_3repE0EEENS1_30default_config_static_selectorELNS0_4arch9wavefront6targetE0EEEvT1_.num_vgpr, 0
	.set _ZN7rocprim17ROCPRIM_400000_NS6detail17trampoline_kernelINS0_14default_configENS1_25partition_config_selectorILNS1_17partition_subalgoE6EyNS0_10empty_typeEbEEZZNS1_14partition_implILS5_6ELb0ES3_mN6thrust23THRUST_200600_302600_NS6detail15normal_iteratorINSA_10device_ptrIyEEEEPS6_SG_NS0_5tupleIJSF_S6_EEENSH_IJSG_SG_EEES6_PlJNSB_9not_fun_tINSB_14equal_to_valueIyEEEEEEE10hipError_tPvRmT3_T4_T5_T6_T7_T9_mT8_P12ihipStream_tbDpT10_ENKUlT_T0_E_clISt17integral_constantIbLb1EES18_EEDaS13_S14_EUlS13_E_NS1_11comp_targetILNS1_3genE9ELNS1_11target_archE1100ELNS1_3gpuE3ELNS1_3repE0EEENS1_30default_config_static_selectorELNS0_4arch9wavefront6targetE0EEEvT1_.num_agpr, 0
	.set _ZN7rocprim17ROCPRIM_400000_NS6detail17trampoline_kernelINS0_14default_configENS1_25partition_config_selectorILNS1_17partition_subalgoE6EyNS0_10empty_typeEbEEZZNS1_14partition_implILS5_6ELb0ES3_mN6thrust23THRUST_200600_302600_NS6detail15normal_iteratorINSA_10device_ptrIyEEEEPS6_SG_NS0_5tupleIJSF_S6_EEENSH_IJSG_SG_EEES6_PlJNSB_9not_fun_tINSB_14equal_to_valueIyEEEEEEE10hipError_tPvRmT3_T4_T5_T6_T7_T9_mT8_P12ihipStream_tbDpT10_ENKUlT_T0_E_clISt17integral_constantIbLb1EES18_EEDaS13_S14_EUlS13_E_NS1_11comp_targetILNS1_3genE9ELNS1_11target_archE1100ELNS1_3gpuE3ELNS1_3repE0EEENS1_30default_config_static_selectorELNS0_4arch9wavefront6targetE0EEEvT1_.numbered_sgpr, 0
	.set _ZN7rocprim17ROCPRIM_400000_NS6detail17trampoline_kernelINS0_14default_configENS1_25partition_config_selectorILNS1_17partition_subalgoE6EyNS0_10empty_typeEbEEZZNS1_14partition_implILS5_6ELb0ES3_mN6thrust23THRUST_200600_302600_NS6detail15normal_iteratorINSA_10device_ptrIyEEEEPS6_SG_NS0_5tupleIJSF_S6_EEENSH_IJSG_SG_EEES6_PlJNSB_9not_fun_tINSB_14equal_to_valueIyEEEEEEE10hipError_tPvRmT3_T4_T5_T6_T7_T9_mT8_P12ihipStream_tbDpT10_ENKUlT_T0_E_clISt17integral_constantIbLb1EES18_EEDaS13_S14_EUlS13_E_NS1_11comp_targetILNS1_3genE9ELNS1_11target_archE1100ELNS1_3gpuE3ELNS1_3repE0EEENS1_30default_config_static_selectorELNS0_4arch9wavefront6targetE0EEEvT1_.num_named_barrier, 0
	.set _ZN7rocprim17ROCPRIM_400000_NS6detail17trampoline_kernelINS0_14default_configENS1_25partition_config_selectorILNS1_17partition_subalgoE6EyNS0_10empty_typeEbEEZZNS1_14partition_implILS5_6ELb0ES3_mN6thrust23THRUST_200600_302600_NS6detail15normal_iteratorINSA_10device_ptrIyEEEEPS6_SG_NS0_5tupleIJSF_S6_EEENSH_IJSG_SG_EEES6_PlJNSB_9not_fun_tINSB_14equal_to_valueIyEEEEEEE10hipError_tPvRmT3_T4_T5_T6_T7_T9_mT8_P12ihipStream_tbDpT10_ENKUlT_T0_E_clISt17integral_constantIbLb1EES18_EEDaS13_S14_EUlS13_E_NS1_11comp_targetILNS1_3genE9ELNS1_11target_archE1100ELNS1_3gpuE3ELNS1_3repE0EEENS1_30default_config_static_selectorELNS0_4arch9wavefront6targetE0EEEvT1_.private_seg_size, 0
	.set _ZN7rocprim17ROCPRIM_400000_NS6detail17trampoline_kernelINS0_14default_configENS1_25partition_config_selectorILNS1_17partition_subalgoE6EyNS0_10empty_typeEbEEZZNS1_14partition_implILS5_6ELb0ES3_mN6thrust23THRUST_200600_302600_NS6detail15normal_iteratorINSA_10device_ptrIyEEEEPS6_SG_NS0_5tupleIJSF_S6_EEENSH_IJSG_SG_EEES6_PlJNSB_9not_fun_tINSB_14equal_to_valueIyEEEEEEE10hipError_tPvRmT3_T4_T5_T6_T7_T9_mT8_P12ihipStream_tbDpT10_ENKUlT_T0_E_clISt17integral_constantIbLb1EES18_EEDaS13_S14_EUlS13_E_NS1_11comp_targetILNS1_3genE9ELNS1_11target_archE1100ELNS1_3gpuE3ELNS1_3repE0EEENS1_30default_config_static_selectorELNS0_4arch9wavefront6targetE0EEEvT1_.uses_vcc, 0
	.set _ZN7rocprim17ROCPRIM_400000_NS6detail17trampoline_kernelINS0_14default_configENS1_25partition_config_selectorILNS1_17partition_subalgoE6EyNS0_10empty_typeEbEEZZNS1_14partition_implILS5_6ELb0ES3_mN6thrust23THRUST_200600_302600_NS6detail15normal_iteratorINSA_10device_ptrIyEEEEPS6_SG_NS0_5tupleIJSF_S6_EEENSH_IJSG_SG_EEES6_PlJNSB_9not_fun_tINSB_14equal_to_valueIyEEEEEEE10hipError_tPvRmT3_T4_T5_T6_T7_T9_mT8_P12ihipStream_tbDpT10_ENKUlT_T0_E_clISt17integral_constantIbLb1EES18_EEDaS13_S14_EUlS13_E_NS1_11comp_targetILNS1_3genE9ELNS1_11target_archE1100ELNS1_3gpuE3ELNS1_3repE0EEENS1_30default_config_static_selectorELNS0_4arch9wavefront6targetE0EEEvT1_.uses_flat_scratch, 0
	.set _ZN7rocprim17ROCPRIM_400000_NS6detail17trampoline_kernelINS0_14default_configENS1_25partition_config_selectorILNS1_17partition_subalgoE6EyNS0_10empty_typeEbEEZZNS1_14partition_implILS5_6ELb0ES3_mN6thrust23THRUST_200600_302600_NS6detail15normal_iteratorINSA_10device_ptrIyEEEEPS6_SG_NS0_5tupleIJSF_S6_EEENSH_IJSG_SG_EEES6_PlJNSB_9not_fun_tINSB_14equal_to_valueIyEEEEEEE10hipError_tPvRmT3_T4_T5_T6_T7_T9_mT8_P12ihipStream_tbDpT10_ENKUlT_T0_E_clISt17integral_constantIbLb1EES18_EEDaS13_S14_EUlS13_E_NS1_11comp_targetILNS1_3genE9ELNS1_11target_archE1100ELNS1_3gpuE3ELNS1_3repE0EEENS1_30default_config_static_selectorELNS0_4arch9wavefront6targetE0EEEvT1_.has_dyn_sized_stack, 0
	.set _ZN7rocprim17ROCPRIM_400000_NS6detail17trampoline_kernelINS0_14default_configENS1_25partition_config_selectorILNS1_17partition_subalgoE6EyNS0_10empty_typeEbEEZZNS1_14partition_implILS5_6ELb0ES3_mN6thrust23THRUST_200600_302600_NS6detail15normal_iteratorINSA_10device_ptrIyEEEEPS6_SG_NS0_5tupleIJSF_S6_EEENSH_IJSG_SG_EEES6_PlJNSB_9not_fun_tINSB_14equal_to_valueIyEEEEEEE10hipError_tPvRmT3_T4_T5_T6_T7_T9_mT8_P12ihipStream_tbDpT10_ENKUlT_T0_E_clISt17integral_constantIbLb1EES18_EEDaS13_S14_EUlS13_E_NS1_11comp_targetILNS1_3genE9ELNS1_11target_archE1100ELNS1_3gpuE3ELNS1_3repE0EEENS1_30default_config_static_selectorELNS0_4arch9wavefront6targetE0EEEvT1_.has_recursion, 0
	.set _ZN7rocprim17ROCPRIM_400000_NS6detail17trampoline_kernelINS0_14default_configENS1_25partition_config_selectorILNS1_17partition_subalgoE6EyNS0_10empty_typeEbEEZZNS1_14partition_implILS5_6ELb0ES3_mN6thrust23THRUST_200600_302600_NS6detail15normal_iteratorINSA_10device_ptrIyEEEEPS6_SG_NS0_5tupleIJSF_S6_EEENSH_IJSG_SG_EEES6_PlJNSB_9not_fun_tINSB_14equal_to_valueIyEEEEEEE10hipError_tPvRmT3_T4_T5_T6_T7_T9_mT8_P12ihipStream_tbDpT10_ENKUlT_T0_E_clISt17integral_constantIbLb1EES18_EEDaS13_S14_EUlS13_E_NS1_11comp_targetILNS1_3genE9ELNS1_11target_archE1100ELNS1_3gpuE3ELNS1_3repE0EEENS1_30default_config_static_selectorELNS0_4arch9wavefront6targetE0EEEvT1_.has_indirect_call, 0
	.section	.AMDGPU.csdata,"",@progbits
; Kernel info:
; codeLenInByte = 0
; TotalNumSgprs: 0
; NumVgprs: 0
; ScratchSize: 0
; MemoryBound: 0
; FloatMode: 240
; IeeeMode: 1
; LDSByteSize: 0 bytes/workgroup (compile time only)
; SGPRBlocks: 0
; VGPRBlocks: 0
; NumSGPRsForWavesPerEU: 1
; NumVGPRsForWavesPerEU: 1
; Occupancy: 16
; WaveLimiterHint : 0
; COMPUTE_PGM_RSRC2:SCRATCH_EN: 0
; COMPUTE_PGM_RSRC2:USER_SGPR: 2
; COMPUTE_PGM_RSRC2:TRAP_HANDLER: 0
; COMPUTE_PGM_RSRC2:TGID_X_EN: 1
; COMPUTE_PGM_RSRC2:TGID_Y_EN: 0
; COMPUTE_PGM_RSRC2:TGID_Z_EN: 0
; COMPUTE_PGM_RSRC2:TIDIG_COMP_CNT: 0
	.section	.text._ZN7rocprim17ROCPRIM_400000_NS6detail17trampoline_kernelINS0_14default_configENS1_25partition_config_selectorILNS1_17partition_subalgoE6EyNS0_10empty_typeEbEEZZNS1_14partition_implILS5_6ELb0ES3_mN6thrust23THRUST_200600_302600_NS6detail15normal_iteratorINSA_10device_ptrIyEEEEPS6_SG_NS0_5tupleIJSF_S6_EEENSH_IJSG_SG_EEES6_PlJNSB_9not_fun_tINSB_14equal_to_valueIyEEEEEEE10hipError_tPvRmT3_T4_T5_T6_T7_T9_mT8_P12ihipStream_tbDpT10_ENKUlT_T0_E_clISt17integral_constantIbLb1EES18_EEDaS13_S14_EUlS13_E_NS1_11comp_targetILNS1_3genE8ELNS1_11target_archE1030ELNS1_3gpuE2ELNS1_3repE0EEENS1_30default_config_static_selectorELNS0_4arch9wavefront6targetE0EEEvT1_,"axG",@progbits,_ZN7rocprim17ROCPRIM_400000_NS6detail17trampoline_kernelINS0_14default_configENS1_25partition_config_selectorILNS1_17partition_subalgoE6EyNS0_10empty_typeEbEEZZNS1_14partition_implILS5_6ELb0ES3_mN6thrust23THRUST_200600_302600_NS6detail15normal_iteratorINSA_10device_ptrIyEEEEPS6_SG_NS0_5tupleIJSF_S6_EEENSH_IJSG_SG_EEES6_PlJNSB_9not_fun_tINSB_14equal_to_valueIyEEEEEEE10hipError_tPvRmT3_T4_T5_T6_T7_T9_mT8_P12ihipStream_tbDpT10_ENKUlT_T0_E_clISt17integral_constantIbLb1EES18_EEDaS13_S14_EUlS13_E_NS1_11comp_targetILNS1_3genE8ELNS1_11target_archE1030ELNS1_3gpuE2ELNS1_3repE0EEENS1_30default_config_static_selectorELNS0_4arch9wavefront6targetE0EEEvT1_,comdat
	.protected	_ZN7rocprim17ROCPRIM_400000_NS6detail17trampoline_kernelINS0_14default_configENS1_25partition_config_selectorILNS1_17partition_subalgoE6EyNS0_10empty_typeEbEEZZNS1_14partition_implILS5_6ELb0ES3_mN6thrust23THRUST_200600_302600_NS6detail15normal_iteratorINSA_10device_ptrIyEEEEPS6_SG_NS0_5tupleIJSF_S6_EEENSH_IJSG_SG_EEES6_PlJNSB_9not_fun_tINSB_14equal_to_valueIyEEEEEEE10hipError_tPvRmT3_T4_T5_T6_T7_T9_mT8_P12ihipStream_tbDpT10_ENKUlT_T0_E_clISt17integral_constantIbLb1EES18_EEDaS13_S14_EUlS13_E_NS1_11comp_targetILNS1_3genE8ELNS1_11target_archE1030ELNS1_3gpuE2ELNS1_3repE0EEENS1_30default_config_static_selectorELNS0_4arch9wavefront6targetE0EEEvT1_ ; -- Begin function _ZN7rocprim17ROCPRIM_400000_NS6detail17trampoline_kernelINS0_14default_configENS1_25partition_config_selectorILNS1_17partition_subalgoE6EyNS0_10empty_typeEbEEZZNS1_14partition_implILS5_6ELb0ES3_mN6thrust23THRUST_200600_302600_NS6detail15normal_iteratorINSA_10device_ptrIyEEEEPS6_SG_NS0_5tupleIJSF_S6_EEENSH_IJSG_SG_EEES6_PlJNSB_9not_fun_tINSB_14equal_to_valueIyEEEEEEE10hipError_tPvRmT3_T4_T5_T6_T7_T9_mT8_P12ihipStream_tbDpT10_ENKUlT_T0_E_clISt17integral_constantIbLb1EES18_EEDaS13_S14_EUlS13_E_NS1_11comp_targetILNS1_3genE8ELNS1_11target_archE1030ELNS1_3gpuE2ELNS1_3repE0EEENS1_30default_config_static_selectorELNS0_4arch9wavefront6targetE0EEEvT1_
	.globl	_ZN7rocprim17ROCPRIM_400000_NS6detail17trampoline_kernelINS0_14default_configENS1_25partition_config_selectorILNS1_17partition_subalgoE6EyNS0_10empty_typeEbEEZZNS1_14partition_implILS5_6ELb0ES3_mN6thrust23THRUST_200600_302600_NS6detail15normal_iteratorINSA_10device_ptrIyEEEEPS6_SG_NS0_5tupleIJSF_S6_EEENSH_IJSG_SG_EEES6_PlJNSB_9not_fun_tINSB_14equal_to_valueIyEEEEEEE10hipError_tPvRmT3_T4_T5_T6_T7_T9_mT8_P12ihipStream_tbDpT10_ENKUlT_T0_E_clISt17integral_constantIbLb1EES18_EEDaS13_S14_EUlS13_E_NS1_11comp_targetILNS1_3genE8ELNS1_11target_archE1030ELNS1_3gpuE2ELNS1_3repE0EEENS1_30default_config_static_selectorELNS0_4arch9wavefront6targetE0EEEvT1_
	.p2align	8
	.type	_ZN7rocprim17ROCPRIM_400000_NS6detail17trampoline_kernelINS0_14default_configENS1_25partition_config_selectorILNS1_17partition_subalgoE6EyNS0_10empty_typeEbEEZZNS1_14partition_implILS5_6ELb0ES3_mN6thrust23THRUST_200600_302600_NS6detail15normal_iteratorINSA_10device_ptrIyEEEEPS6_SG_NS0_5tupleIJSF_S6_EEENSH_IJSG_SG_EEES6_PlJNSB_9not_fun_tINSB_14equal_to_valueIyEEEEEEE10hipError_tPvRmT3_T4_T5_T6_T7_T9_mT8_P12ihipStream_tbDpT10_ENKUlT_T0_E_clISt17integral_constantIbLb1EES18_EEDaS13_S14_EUlS13_E_NS1_11comp_targetILNS1_3genE8ELNS1_11target_archE1030ELNS1_3gpuE2ELNS1_3repE0EEENS1_30default_config_static_selectorELNS0_4arch9wavefront6targetE0EEEvT1_,@function
_ZN7rocprim17ROCPRIM_400000_NS6detail17trampoline_kernelINS0_14default_configENS1_25partition_config_selectorILNS1_17partition_subalgoE6EyNS0_10empty_typeEbEEZZNS1_14partition_implILS5_6ELb0ES3_mN6thrust23THRUST_200600_302600_NS6detail15normal_iteratorINSA_10device_ptrIyEEEEPS6_SG_NS0_5tupleIJSF_S6_EEENSH_IJSG_SG_EEES6_PlJNSB_9not_fun_tINSB_14equal_to_valueIyEEEEEEE10hipError_tPvRmT3_T4_T5_T6_T7_T9_mT8_P12ihipStream_tbDpT10_ENKUlT_T0_E_clISt17integral_constantIbLb1EES18_EEDaS13_S14_EUlS13_E_NS1_11comp_targetILNS1_3genE8ELNS1_11target_archE1030ELNS1_3gpuE2ELNS1_3repE0EEENS1_30default_config_static_selectorELNS0_4arch9wavefront6targetE0EEEvT1_: ; @_ZN7rocprim17ROCPRIM_400000_NS6detail17trampoline_kernelINS0_14default_configENS1_25partition_config_selectorILNS1_17partition_subalgoE6EyNS0_10empty_typeEbEEZZNS1_14partition_implILS5_6ELb0ES3_mN6thrust23THRUST_200600_302600_NS6detail15normal_iteratorINSA_10device_ptrIyEEEEPS6_SG_NS0_5tupleIJSF_S6_EEENSH_IJSG_SG_EEES6_PlJNSB_9not_fun_tINSB_14equal_to_valueIyEEEEEEE10hipError_tPvRmT3_T4_T5_T6_T7_T9_mT8_P12ihipStream_tbDpT10_ENKUlT_T0_E_clISt17integral_constantIbLb1EES18_EEDaS13_S14_EUlS13_E_NS1_11comp_targetILNS1_3genE8ELNS1_11target_archE1030ELNS1_3gpuE2ELNS1_3repE0EEENS1_30default_config_static_selectorELNS0_4arch9wavefront6targetE0EEEvT1_
; %bb.0:
	.section	.rodata,"a",@progbits
	.p2align	6, 0x0
	.amdhsa_kernel _ZN7rocprim17ROCPRIM_400000_NS6detail17trampoline_kernelINS0_14default_configENS1_25partition_config_selectorILNS1_17partition_subalgoE6EyNS0_10empty_typeEbEEZZNS1_14partition_implILS5_6ELb0ES3_mN6thrust23THRUST_200600_302600_NS6detail15normal_iteratorINSA_10device_ptrIyEEEEPS6_SG_NS0_5tupleIJSF_S6_EEENSH_IJSG_SG_EEES6_PlJNSB_9not_fun_tINSB_14equal_to_valueIyEEEEEEE10hipError_tPvRmT3_T4_T5_T6_T7_T9_mT8_P12ihipStream_tbDpT10_ENKUlT_T0_E_clISt17integral_constantIbLb1EES18_EEDaS13_S14_EUlS13_E_NS1_11comp_targetILNS1_3genE8ELNS1_11target_archE1030ELNS1_3gpuE2ELNS1_3repE0EEENS1_30default_config_static_selectorELNS0_4arch9wavefront6targetE0EEEvT1_
		.amdhsa_group_segment_fixed_size 0
		.amdhsa_private_segment_fixed_size 0
		.amdhsa_kernarg_size 128
		.amdhsa_user_sgpr_count 2
		.amdhsa_user_sgpr_dispatch_ptr 0
		.amdhsa_user_sgpr_queue_ptr 0
		.amdhsa_user_sgpr_kernarg_segment_ptr 1
		.amdhsa_user_sgpr_dispatch_id 0
		.amdhsa_user_sgpr_private_segment_size 0
		.amdhsa_wavefront_size32 1
		.amdhsa_uses_dynamic_stack 0
		.amdhsa_enable_private_segment 0
		.amdhsa_system_sgpr_workgroup_id_x 1
		.amdhsa_system_sgpr_workgroup_id_y 0
		.amdhsa_system_sgpr_workgroup_id_z 0
		.amdhsa_system_sgpr_workgroup_info 0
		.amdhsa_system_vgpr_workitem_id 0
		.amdhsa_next_free_vgpr 1
		.amdhsa_next_free_sgpr 1
		.amdhsa_reserve_vcc 0
		.amdhsa_float_round_mode_32 0
		.amdhsa_float_round_mode_16_64 0
		.amdhsa_float_denorm_mode_32 3
		.amdhsa_float_denorm_mode_16_64 3
		.amdhsa_fp16_overflow 0
		.amdhsa_workgroup_processor_mode 1
		.amdhsa_memory_ordered 1
		.amdhsa_forward_progress 1
		.amdhsa_inst_pref_size 0
		.amdhsa_round_robin_scheduling 0
		.amdhsa_exception_fp_ieee_invalid_op 0
		.amdhsa_exception_fp_denorm_src 0
		.amdhsa_exception_fp_ieee_div_zero 0
		.amdhsa_exception_fp_ieee_overflow 0
		.amdhsa_exception_fp_ieee_underflow 0
		.amdhsa_exception_fp_ieee_inexact 0
		.amdhsa_exception_int_div_zero 0
	.end_amdhsa_kernel
	.section	.text._ZN7rocprim17ROCPRIM_400000_NS6detail17trampoline_kernelINS0_14default_configENS1_25partition_config_selectorILNS1_17partition_subalgoE6EyNS0_10empty_typeEbEEZZNS1_14partition_implILS5_6ELb0ES3_mN6thrust23THRUST_200600_302600_NS6detail15normal_iteratorINSA_10device_ptrIyEEEEPS6_SG_NS0_5tupleIJSF_S6_EEENSH_IJSG_SG_EEES6_PlJNSB_9not_fun_tINSB_14equal_to_valueIyEEEEEEE10hipError_tPvRmT3_T4_T5_T6_T7_T9_mT8_P12ihipStream_tbDpT10_ENKUlT_T0_E_clISt17integral_constantIbLb1EES18_EEDaS13_S14_EUlS13_E_NS1_11comp_targetILNS1_3genE8ELNS1_11target_archE1030ELNS1_3gpuE2ELNS1_3repE0EEENS1_30default_config_static_selectorELNS0_4arch9wavefront6targetE0EEEvT1_,"axG",@progbits,_ZN7rocprim17ROCPRIM_400000_NS6detail17trampoline_kernelINS0_14default_configENS1_25partition_config_selectorILNS1_17partition_subalgoE6EyNS0_10empty_typeEbEEZZNS1_14partition_implILS5_6ELb0ES3_mN6thrust23THRUST_200600_302600_NS6detail15normal_iteratorINSA_10device_ptrIyEEEEPS6_SG_NS0_5tupleIJSF_S6_EEENSH_IJSG_SG_EEES6_PlJNSB_9not_fun_tINSB_14equal_to_valueIyEEEEEEE10hipError_tPvRmT3_T4_T5_T6_T7_T9_mT8_P12ihipStream_tbDpT10_ENKUlT_T0_E_clISt17integral_constantIbLb1EES18_EEDaS13_S14_EUlS13_E_NS1_11comp_targetILNS1_3genE8ELNS1_11target_archE1030ELNS1_3gpuE2ELNS1_3repE0EEENS1_30default_config_static_selectorELNS0_4arch9wavefront6targetE0EEEvT1_,comdat
.Lfunc_end356:
	.size	_ZN7rocprim17ROCPRIM_400000_NS6detail17trampoline_kernelINS0_14default_configENS1_25partition_config_selectorILNS1_17partition_subalgoE6EyNS0_10empty_typeEbEEZZNS1_14partition_implILS5_6ELb0ES3_mN6thrust23THRUST_200600_302600_NS6detail15normal_iteratorINSA_10device_ptrIyEEEEPS6_SG_NS0_5tupleIJSF_S6_EEENSH_IJSG_SG_EEES6_PlJNSB_9not_fun_tINSB_14equal_to_valueIyEEEEEEE10hipError_tPvRmT3_T4_T5_T6_T7_T9_mT8_P12ihipStream_tbDpT10_ENKUlT_T0_E_clISt17integral_constantIbLb1EES18_EEDaS13_S14_EUlS13_E_NS1_11comp_targetILNS1_3genE8ELNS1_11target_archE1030ELNS1_3gpuE2ELNS1_3repE0EEENS1_30default_config_static_selectorELNS0_4arch9wavefront6targetE0EEEvT1_, .Lfunc_end356-_ZN7rocprim17ROCPRIM_400000_NS6detail17trampoline_kernelINS0_14default_configENS1_25partition_config_selectorILNS1_17partition_subalgoE6EyNS0_10empty_typeEbEEZZNS1_14partition_implILS5_6ELb0ES3_mN6thrust23THRUST_200600_302600_NS6detail15normal_iteratorINSA_10device_ptrIyEEEEPS6_SG_NS0_5tupleIJSF_S6_EEENSH_IJSG_SG_EEES6_PlJNSB_9not_fun_tINSB_14equal_to_valueIyEEEEEEE10hipError_tPvRmT3_T4_T5_T6_T7_T9_mT8_P12ihipStream_tbDpT10_ENKUlT_T0_E_clISt17integral_constantIbLb1EES18_EEDaS13_S14_EUlS13_E_NS1_11comp_targetILNS1_3genE8ELNS1_11target_archE1030ELNS1_3gpuE2ELNS1_3repE0EEENS1_30default_config_static_selectorELNS0_4arch9wavefront6targetE0EEEvT1_
                                        ; -- End function
	.set _ZN7rocprim17ROCPRIM_400000_NS6detail17trampoline_kernelINS0_14default_configENS1_25partition_config_selectorILNS1_17partition_subalgoE6EyNS0_10empty_typeEbEEZZNS1_14partition_implILS5_6ELb0ES3_mN6thrust23THRUST_200600_302600_NS6detail15normal_iteratorINSA_10device_ptrIyEEEEPS6_SG_NS0_5tupleIJSF_S6_EEENSH_IJSG_SG_EEES6_PlJNSB_9not_fun_tINSB_14equal_to_valueIyEEEEEEE10hipError_tPvRmT3_T4_T5_T6_T7_T9_mT8_P12ihipStream_tbDpT10_ENKUlT_T0_E_clISt17integral_constantIbLb1EES18_EEDaS13_S14_EUlS13_E_NS1_11comp_targetILNS1_3genE8ELNS1_11target_archE1030ELNS1_3gpuE2ELNS1_3repE0EEENS1_30default_config_static_selectorELNS0_4arch9wavefront6targetE0EEEvT1_.num_vgpr, 0
	.set _ZN7rocprim17ROCPRIM_400000_NS6detail17trampoline_kernelINS0_14default_configENS1_25partition_config_selectorILNS1_17partition_subalgoE6EyNS0_10empty_typeEbEEZZNS1_14partition_implILS5_6ELb0ES3_mN6thrust23THRUST_200600_302600_NS6detail15normal_iteratorINSA_10device_ptrIyEEEEPS6_SG_NS0_5tupleIJSF_S6_EEENSH_IJSG_SG_EEES6_PlJNSB_9not_fun_tINSB_14equal_to_valueIyEEEEEEE10hipError_tPvRmT3_T4_T5_T6_T7_T9_mT8_P12ihipStream_tbDpT10_ENKUlT_T0_E_clISt17integral_constantIbLb1EES18_EEDaS13_S14_EUlS13_E_NS1_11comp_targetILNS1_3genE8ELNS1_11target_archE1030ELNS1_3gpuE2ELNS1_3repE0EEENS1_30default_config_static_selectorELNS0_4arch9wavefront6targetE0EEEvT1_.num_agpr, 0
	.set _ZN7rocprim17ROCPRIM_400000_NS6detail17trampoline_kernelINS0_14default_configENS1_25partition_config_selectorILNS1_17partition_subalgoE6EyNS0_10empty_typeEbEEZZNS1_14partition_implILS5_6ELb0ES3_mN6thrust23THRUST_200600_302600_NS6detail15normal_iteratorINSA_10device_ptrIyEEEEPS6_SG_NS0_5tupleIJSF_S6_EEENSH_IJSG_SG_EEES6_PlJNSB_9not_fun_tINSB_14equal_to_valueIyEEEEEEE10hipError_tPvRmT3_T4_T5_T6_T7_T9_mT8_P12ihipStream_tbDpT10_ENKUlT_T0_E_clISt17integral_constantIbLb1EES18_EEDaS13_S14_EUlS13_E_NS1_11comp_targetILNS1_3genE8ELNS1_11target_archE1030ELNS1_3gpuE2ELNS1_3repE0EEENS1_30default_config_static_selectorELNS0_4arch9wavefront6targetE0EEEvT1_.numbered_sgpr, 0
	.set _ZN7rocprim17ROCPRIM_400000_NS6detail17trampoline_kernelINS0_14default_configENS1_25partition_config_selectorILNS1_17partition_subalgoE6EyNS0_10empty_typeEbEEZZNS1_14partition_implILS5_6ELb0ES3_mN6thrust23THRUST_200600_302600_NS6detail15normal_iteratorINSA_10device_ptrIyEEEEPS6_SG_NS0_5tupleIJSF_S6_EEENSH_IJSG_SG_EEES6_PlJNSB_9not_fun_tINSB_14equal_to_valueIyEEEEEEE10hipError_tPvRmT3_T4_T5_T6_T7_T9_mT8_P12ihipStream_tbDpT10_ENKUlT_T0_E_clISt17integral_constantIbLb1EES18_EEDaS13_S14_EUlS13_E_NS1_11comp_targetILNS1_3genE8ELNS1_11target_archE1030ELNS1_3gpuE2ELNS1_3repE0EEENS1_30default_config_static_selectorELNS0_4arch9wavefront6targetE0EEEvT1_.num_named_barrier, 0
	.set _ZN7rocprim17ROCPRIM_400000_NS6detail17trampoline_kernelINS0_14default_configENS1_25partition_config_selectorILNS1_17partition_subalgoE6EyNS0_10empty_typeEbEEZZNS1_14partition_implILS5_6ELb0ES3_mN6thrust23THRUST_200600_302600_NS6detail15normal_iteratorINSA_10device_ptrIyEEEEPS6_SG_NS0_5tupleIJSF_S6_EEENSH_IJSG_SG_EEES6_PlJNSB_9not_fun_tINSB_14equal_to_valueIyEEEEEEE10hipError_tPvRmT3_T4_T5_T6_T7_T9_mT8_P12ihipStream_tbDpT10_ENKUlT_T0_E_clISt17integral_constantIbLb1EES18_EEDaS13_S14_EUlS13_E_NS1_11comp_targetILNS1_3genE8ELNS1_11target_archE1030ELNS1_3gpuE2ELNS1_3repE0EEENS1_30default_config_static_selectorELNS0_4arch9wavefront6targetE0EEEvT1_.private_seg_size, 0
	.set _ZN7rocprim17ROCPRIM_400000_NS6detail17trampoline_kernelINS0_14default_configENS1_25partition_config_selectorILNS1_17partition_subalgoE6EyNS0_10empty_typeEbEEZZNS1_14partition_implILS5_6ELb0ES3_mN6thrust23THRUST_200600_302600_NS6detail15normal_iteratorINSA_10device_ptrIyEEEEPS6_SG_NS0_5tupleIJSF_S6_EEENSH_IJSG_SG_EEES6_PlJNSB_9not_fun_tINSB_14equal_to_valueIyEEEEEEE10hipError_tPvRmT3_T4_T5_T6_T7_T9_mT8_P12ihipStream_tbDpT10_ENKUlT_T0_E_clISt17integral_constantIbLb1EES18_EEDaS13_S14_EUlS13_E_NS1_11comp_targetILNS1_3genE8ELNS1_11target_archE1030ELNS1_3gpuE2ELNS1_3repE0EEENS1_30default_config_static_selectorELNS0_4arch9wavefront6targetE0EEEvT1_.uses_vcc, 0
	.set _ZN7rocprim17ROCPRIM_400000_NS6detail17trampoline_kernelINS0_14default_configENS1_25partition_config_selectorILNS1_17partition_subalgoE6EyNS0_10empty_typeEbEEZZNS1_14partition_implILS5_6ELb0ES3_mN6thrust23THRUST_200600_302600_NS6detail15normal_iteratorINSA_10device_ptrIyEEEEPS6_SG_NS0_5tupleIJSF_S6_EEENSH_IJSG_SG_EEES6_PlJNSB_9not_fun_tINSB_14equal_to_valueIyEEEEEEE10hipError_tPvRmT3_T4_T5_T6_T7_T9_mT8_P12ihipStream_tbDpT10_ENKUlT_T0_E_clISt17integral_constantIbLb1EES18_EEDaS13_S14_EUlS13_E_NS1_11comp_targetILNS1_3genE8ELNS1_11target_archE1030ELNS1_3gpuE2ELNS1_3repE0EEENS1_30default_config_static_selectorELNS0_4arch9wavefront6targetE0EEEvT1_.uses_flat_scratch, 0
	.set _ZN7rocprim17ROCPRIM_400000_NS6detail17trampoline_kernelINS0_14default_configENS1_25partition_config_selectorILNS1_17partition_subalgoE6EyNS0_10empty_typeEbEEZZNS1_14partition_implILS5_6ELb0ES3_mN6thrust23THRUST_200600_302600_NS6detail15normal_iteratorINSA_10device_ptrIyEEEEPS6_SG_NS0_5tupleIJSF_S6_EEENSH_IJSG_SG_EEES6_PlJNSB_9not_fun_tINSB_14equal_to_valueIyEEEEEEE10hipError_tPvRmT3_T4_T5_T6_T7_T9_mT8_P12ihipStream_tbDpT10_ENKUlT_T0_E_clISt17integral_constantIbLb1EES18_EEDaS13_S14_EUlS13_E_NS1_11comp_targetILNS1_3genE8ELNS1_11target_archE1030ELNS1_3gpuE2ELNS1_3repE0EEENS1_30default_config_static_selectorELNS0_4arch9wavefront6targetE0EEEvT1_.has_dyn_sized_stack, 0
	.set _ZN7rocprim17ROCPRIM_400000_NS6detail17trampoline_kernelINS0_14default_configENS1_25partition_config_selectorILNS1_17partition_subalgoE6EyNS0_10empty_typeEbEEZZNS1_14partition_implILS5_6ELb0ES3_mN6thrust23THRUST_200600_302600_NS6detail15normal_iteratorINSA_10device_ptrIyEEEEPS6_SG_NS0_5tupleIJSF_S6_EEENSH_IJSG_SG_EEES6_PlJNSB_9not_fun_tINSB_14equal_to_valueIyEEEEEEE10hipError_tPvRmT3_T4_T5_T6_T7_T9_mT8_P12ihipStream_tbDpT10_ENKUlT_T0_E_clISt17integral_constantIbLb1EES18_EEDaS13_S14_EUlS13_E_NS1_11comp_targetILNS1_3genE8ELNS1_11target_archE1030ELNS1_3gpuE2ELNS1_3repE0EEENS1_30default_config_static_selectorELNS0_4arch9wavefront6targetE0EEEvT1_.has_recursion, 0
	.set _ZN7rocprim17ROCPRIM_400000_NS6detail17trampoline_kernelINS0_14default_configENS1_25partition_config_selectorILNS1_17partition_subalgoE6EyNS0_10empty_typeEbEEZZNS1_14partition_implILS5_6ELb0ES3_mN6thrust23THRUST_200600_302600_NS6detail15normal_iteratorINSA_10device_ptrIyEEEEPS6_SG_NS0_5tupleIJSF_S6_EEENSH_IJSG_SG_EEES6_PlJNSB_9not_fun_tINSB_14equal_to_valueIyEEEEEEE10hipError_tPvRmT3_T4_T5_T6_T7_T9_mT8_P12ihipStream_tbDpT10_ENKUlT_T0_E_clISt17integral_constantIbLb1EES18_EEDaS13_S14_EUlS13_E_NS1_11comp_targetILNS1_3genE8ELNS1_11target_archE1030ELNS1_3gpuE2ELNS1_3repE0EEENS1_30default_config_static_selectorELNS0_4arch9wavefront6targetE0EEEvT1_.has_indirect_call, 0
	.section	.AMDGPU.csdata,"",@progbits
; Kernel info:
; codeLenInByte = 0
; TotalNumSgprs: 0
; NumVgprs: 0
; ScratchSize: 0
; MemoryBound: 0
; FloatMode: 240
; IeeeMode: 1
; LDSByteSize: 0 bytes/workgroup (compile time only)
; SGPRBlocks: 0
; VGPRBlocks: 0
; NumSGPRsForWavesPerEU: 1
; NumVGPRsForWavesPerEU: 1
; Occupancy: 16
; WaveLimiterHint : 0
; COMPUTE_PGM_RSRC2:SCRATCH_EN: 0
; COMPUTE_PGM_RSRC2:USER_SGPR: 2
; COMPUTE_PGM_RSRC2:TRAP_HANDLER: 0
; COMPUTE_PGM_RSRC2:TGID_X_EN: 1
; COMPUTE_PGM_RSRC2:TGID_Y_EN: 0
; COMPUTE_PGM_RSRC2:TGID_Z_EN: 0
; COMPUTE_PGM_RSRC2:TIDIG_COMP_CNT: 0
	.section	.text._ZN7rocprim17ROCPRIM_400000_NS6detail17trampoline_kernelINS0_14default_configENS1_25partition_config_selectorILNS1_17partition_subalgoE6EyNS0_10empty_typeEbEEZZNS1_14partition_implILS5_6ELb0ES3_mN6thrust23THRUST_200600_302600_NS6detail15normal_iteratorINSA_10device_ptrIyEEEEPS6_SG_NS0_5tupleIJSF_S6_EEENSH_IJSG_SG_EEES6_PlJNSB_9not_fun_tINSB_14equal_to_valueIyEEEEEEE10hipError_tPvRmT3_T4_T5_T6_T7_T9_mT8_P12ihipStream_tbDpT10_ENKUlT_T0_E_clISt17integral_constantIbLb1EES17_IbLb0EEEEDaS13_S14_EUlS13_E_NS1_11comp_targetILNS1_3genE0ELNS1_11target_archE4294967295ELNS1_3gpuE0ELNS1_3repE0EEENS1_30default_config_static_selectorELNS0_4arch9wavefront6targetE0EEEvT1_,"axG",@progbits,_ZN7rocprim17ROCPRIM_400000_NS6detail17trampoline_kernelINS0_14default_configENS1_25partition_config_selectorILNS1_17partition_subalgoE6EyNS0_10empty_typeEbEEZZNS1_14partition_implILS5_6ELb0ES3_mN6thrust23THRUST_200600_302600_NS6detail15normal_iteratorINSA_10device_ptrIyEEEEPS6_SG_NS0_5tupleIJSF_S6_EEENSH_IJSG_SG_EEES6_PlJNSB_9not_fun_tINSB_14equal_to_valueIyEEEEEEE10hipError_tPvRmT3_T4_T5_T6_T7_T9_mT8_P12ihipStream_tbDpT10_ENKUlT_T0_E_clISt17integral_constantIbLb1EES17_IbLb0EEEEDaS13_S14_EUlS13_E_NS1_11comp_targetILNS1_3genE0ELNS1_11target_archE4294967295ELNS1_3gpuE0ELNS1_3repE0EEENS1_30default_config_static_selectorELNS0_4arch9wavefront6targetE0EEEvT1_,comdat
	.protected	_ZN7rocprim17ROCPRIM_400000_NS6detail17trampoline_kernelINS0_14default_configENS1_25partition_config_selectorILNS1_17partition_subalgoE6EyNS0_10empty_typeEbEEZZNS1_14partition_implILS5_6ELb0ES3_mN6thrust23THRUST_200600_302600_NS6detail15normal_iteratorINSA_10device_ptrIyEEEEPS6_SG_NS0_5tupleIJSF_S6_EEENSH_IJSG_SG_EEES6_PlJNSB_9not_fun_tINSB_14equal_to_valueIyEEEEEEE10hipError_tPvRmT3_T4_T5_T6_T7_T9_mT8_P12ihipStream_tbDpT10_ENKUlT_T0_E_clISt17integral_constantIbLb1EES17_IbLb0EEEEDaS13_S14_EUlS13_E_NS1_11comp_targetILNS1_3genE0ELNS1_11target_archE4294967295ELNS1_3gpuE0ELNS1_3repE0EEENS1_30default_config_static_selectorELNS0_4arch9wavefront6targetE0EEEvT1_ ; -- Begin function _ZN7rocprim17ROCPRIM_400000_NS6detail17trampoline_kernelINS0_14default_configENS1_25partition_config_selectorILNS1_17partition_subalgoE6EyNS0_10empty_typeEbEEZZNS1_14partition_implILS5_6ELb0ES3_mN6thrust23THRUST_200600_302600_NS6detail15normal_iteratorINSA_10device_ptrIyEEEEPS6_SG_NS0_5tupleIJSF_S6_EEENSH_IJSG_SG_EEES6_PlJNSB_9not_fun_tINSB_14equal_to_valueIyEEEEEEE10hipError_tPvRmT3_T4_T5_T6_T7_T9_mT8_P12ihipStream_tbDpT10_ENKUlT_T0_E_clISt17integral_constantIbLb1EES17_IbLb0EEEEDaS13_S14_EUlS13_E_NS1_11comp_targetILNS1_3genE0ELNS1_11target_archE4294967295ELNS1_3gpuE0ELNS1_3repE0EEENS1_30default_config_static_selectorELNS0_4arch9wavefront6targetE0EEEvT1_
	.globl	_ZN7rocprim17ROCPRIM_400000_NS6detail17trampoline_kernelINS0_14default_configENS1_25partition_config_selectorILNS1_17partition_subalgoE6EyNS0_10empty_typeEbEEZZNS1_14partition_implILS5_6ELb0ES3_mN6thrust23THRUST_200600_302600_NS6detail15normal_iteratorINSA_10device_ptrIyEEEEPS6_SG_NS0_5tupleIJSF_S6_EEENSH_IJSG_SG_EEES6_PlJNSB_9not_fun_tINSB_14equal_to_valueIyEEEEEEE10hipError_tPvRmT3_T4_T5_T6_T7_T9_mT8_P12ihipStream_tbDpT10_ENKUlT_T0_E_clISt17integral_constantIbLb1EES17_IbLb0EEEEDaS13_S14_EUlS13_E_NS1_11comp_targetILNS1_3genE0ELNS1_11target_archE4294967295ELNS1_3gpuE0ELNS1_3repE0EEENS1_30default_config_static_selectorELNS0_4arch9wavefront6targetE0EEEvT1_
	.p2align	8
	.type	_ZN7rocprim17ROCPRIM_400000_NS6detail17trampoline_kernelINS0_14default_configENS1_25partition_config_selectorILNS1_17partition_subalgoE6EyNS0_10empty_typeEbEEZZNS1_14partition_implILS5_6ELb0ES3_mN6thrust23THRUST_200600_302600_NS6detail15normal_iteratorINSA_10device_ptrIyEEEEPS6_SG_NS0_5tupleIJSF_S6_EEENSH_IJSG_SG_EEES6_PlJNSB_9not_fun_tINSB_14equal_to_valueIyEEEEEEE10hipError_tPvRmT3_T4_T5_T6_T7_T9_mT8_P12ihipStream_tbDpT10_ENKUlT_T0_E_clISt17integral_constantIbLb1EES17_IbLb0EEEEDaS13_S14_EUlS13_E_NS1_11comp_targetILNS1_3genE0ELNS1_11target_archE4294967295ELNS1_3gpuE0ELNS1_3repE0EEENS1_30default_config_static_selectorELNS0_4arch9wavefront6targetE0EEEvT1_,@function
_ZN7rocprim17ROCPRIM_400000_NS6detail17trampoline_kernelINS0_14default_configENS1_25partition_config_selectorILNS1_17partition_subalgoE6EyNS0_10empty_typeEbEEZZNS1_14partition_implILS5_6ELb0ES3_mN6thrust23THRUST_200600_302600_NS6detail15normal_iteratorINSA_10device_ptrIyEEEEPS6_SG_NS0_5tupleIJSF_S6_EEENSH_IJSG_SG_EEES6_PlJNSB_9not_fun_tINSB_14equal_to_valueIyEEEEEEE10hipError_tPvRmT3_T4_T5_T6_T7_T9_mT8_P12ihipStream_tbDpT10_ENKUlT_T0_E_clISt17integral_constantIbLb1EES17_IbLb0EEEEDaS13_S14_EUlS13_E_NS1_11comp_targetILNS1_3genE0ELNS1_11target_archE4294967295ELNS1_3gpuE0ELNS1_3repE0EEENS1_30default_config_static_selectorELNS0_4arch9wavefront6targetE0EEEvT1_: ; @_ZN7rocprim17ROCPRIM_400000_NS6detail17trampoline_kernelINS0_14default_configENS1_25partition_config_selectorILNS1_17partition_subalgoE6EyNS0_10empty_typeEbEEZZNS1_14partition_implILS5_6ELb0ES3_mN6thrust23THRUST_200600_302600_NS6detail15normal_iteratorINSA_10device_ptrIyEEEEPS6_SG_NS0_5tupleIJSF_S6_EEENSH_IJSG_SG_EEES6_PlJNSB_9not_fun_tINSB_14equal_to_valueIyEEEEEEE10hipError_tPvRmT3_T4_T5_T6_T7_T9_mT8_P12ihipStream_tbDpT10_ENKUlT_T0_E_clISt17integral_constantIbLb1EES17_IbLb0EEEEDaS13_S14_EUlS13_E_NS1_11comp_targetILNS1_3genE0ELNS1_11target_archE4294967295ELNS1_3gpuE0ELNS1_3repE0EEENS1_30default_config_static_selectorELNS0_4arch9wavefront6targetE0EEEvT1_
; %bb.0:
	.section	.rodata,"a",@progbits
	.p2align	6, 0x0
	.amdhsa_kernel _ZN7rocprim17ROCPRIM_400000_NS6detail17trampoline_kernelINS0_14default_configENS1_25partition_config_selectorILNS1_17partition_subalgoE6EyNS0_10empty_typeEbEEZZNS1_14partition_implILS5_6ELb0ES3_mN6thrust23THRUST_200600_302600_NS6detail15normal_iteratorINSA_10device_ptrIyEEEEPS6_SG_NS0_5tupleIJSF_S6_EEENSH_IJSG_SG_EEES6_PlJNSB_9not_fun_tINSB_14equal_to_valueIyEEEEEEE10hipError_tPvRmT3_T4_T5_T6_T7_T9_mT8_P12ihipStream_tbDpT10_ENKUlT_T0_E_clISt17integral_constantIbLb1EES17_IbLb0EEEEDaS13_S14_EUlS13_E_NS1_11comp_targetILNS1_3genE0ELNS1_11target_archE4294967295ELNS1_3gpuE0ELNS1_3repE0EEENS1_30default_config_static_selectorELNS0_4arch9wavefront6targetE0EEEvT1_
		.amdhsa_group_segment_fixed_size 0
		.amdhsa_private_segment_fixed_size 0
		.amdhsa_kernarg_size 120
		.amdhsa_user_sgpr_count 2
		.amdhsa_user_sgpr_dispatch_ptr 0
		.amdhsa_user_sgpr_queue_ptr 0
		.amdhsa_user_sgpr_kernarg_segment_ptr 1
		.amdhsa_user_sgpr_dispatch_id 0
		.amdhsa_user_sgpr_private_segment_size 0
		.amdhsa_wavefront_size32 1
		.amdhsa_uses_dynamic_stack 0
		.amdhsa_enable_private_segment 0
		.amdhsa_system_sgpr_workgroup_id_x 1
		.amdhsa_system_sgpr_workgroup_id_y 0
		.amdhsa_system_sgpr_workgroup_id_z 0
		.amdhsa_system_sgpr_workgroup_info 0
		.amdhsa_system_vgpr_workitem_id 0
		.amdhsa_next_free_vgpr 1
		.amdhsa_next_free_sgpr 1
		.amdhsa_reserve_vcc 0
		.amdhsa_float_round_mode_32 0
		.amdhsa_float_round_mode_16_64 0
		.amdhsa_float_denorm_mode_32 3
		.amdhsa_float_denorm_mode_16_64 3
		.amdhsa_fp16_overflow 0
		.amdhsa_workgroup_processor_mode 1
		.amdhsa_memory_ordered 1
		.amdhsa_forward_progress 1
		.amdhsa_inst_pref_size 0
		.amdhsa_round_robin_scheduling 0
		.amdhsa_exception_fp_ieee_invalid_op 0
		.amdhsa_exception_fp_denorm_src 0
		.amdhsa_exception_fp_ieee_div_zero 0
		.amdhsa_exception_fp_ieee_overflow 0
		.amdhsa_exception_fp_ieee_underflow 0
		.amdhsa_exception_fp_ieee_inexact 0
		.amdhsa_exception_int_div_zero 0
	.end_amdhsa_kernel
	.section	.text._ZN7rocprim17ROCPRIM_400000_NS6detail17trampoline_kernelINS0_14default_configENS1_25partition_config_selectorILNS1_17partition_subalgoE6EyNS0_10empty_typeEbEEZZNS1_14partition_implILS5_6ELb0ES3_mN6thrust23THRUST_200600_302600_NS6detail15normal_iteratorINSA_10device_ptrIyEEEEPS6_SG_NS0_5tupleIJSF_S6_EEENSH_IJSG_SG_EEES6_PlJNSB_9not_fun_tINSB_14equal_to_valueIyEEEEEEE10hipError_tPvRmT3_T4_T5_T6_T7_T9_mT8_P12ihipStream_tbDpT10_ENKUlT_T0_E_clISt17integral_constantIbLb1EES17_IbLb0EEEEDaS13_S14_EUlS13_E_NS1_11comp_targetILNS1_3genE0ELNS1_11target_archE4294967295ELNS1_3gpuE0ELNS1_3repE0EEENS1_30default_config_static_selectorELNS0_4arch9wavefront6targetE0EEEvT1_,"axG",@progbits,_ZN7rocprim17ROCPRIM_400000_NS6detail17trampoline_kernelINS0_14default_configENS1_25partition_config_selectorILNS1_17partition_subalgoE6EyNS0_10empty_typeEbEEZZNS1_14partition_implILS5_6ELb0ES3_mN6thrust23THRUST_200600_302600_NS6detail15normal_iteratorINSA_10device_ptrIyEEEEPS6_SG_NS0_5tupleIJSF_S6_EEENSH_IJSG_SG_EEES6_PlJNSB_9not_fun_tINSB_14equal_to_valueIyEEEEEEE10hipError_tPvRmT3_T4_T5_T6_T7_T9_mT8_P12ihipStream_tbDpT10_ENKUlT_T0_E_clISt17integral_constantIbLb1EES17_IbLb0EEEEDaS13_S14_EUlS13_E_NS1_11comp_targetILNS1_3genE0ELNS1_11target_archE4294967295ELNS1_3gpuE0ELNS1_3repE0EEENS1_30default_config_static_selectorELNS0_4arch9wavefront6targetE0EEEvT1_,comdat
.Lfunc_end357:
	.size	_ZN7rocprim17ROCPRIM_400000_NS6detail17trampoline_kernelINS0_14default_configENS1_25partition_config_selectorILNS1_17partition_subalgoE6EyNS0_10empty_typeEbEEZZNS1_14partition_implILS5_6ELb0ES3_mN6thrust23THRUST_200600_302600_NS6detail15normal_iteratorINSA_10device_ptrIyEEEEPS6_SG_NS0_5tupleIJSF_S6_EEENSH_IJSG_SG_EEES6_PlJNSB_9not_fun_tINSB_14equal_to_valueIyEEEEEEE10hipError_tPvRmT3_T4_T5_T6_T7_T9_mT8_P12ihipStream_tbDpT10_ENKUlT_T0_E_clISt17integral_constantIbLb1EES17_IbLb0EEEEDaS13_S14_EUlS13_E_NS1_11comp_targetILNS1_3genE0ELNS1_11target_archE4294967295ELNS1_3gpuE0ELNS1_3repE0EEENS1_30default_config_static_selectorELNS0_4arch9wavefront6targetE0EEEvT1_, .Lfunc_end357-_ZN7rocprim17ROCPRIM_400000_NS6detail17trampoline_kernelINS0_14default_configENS1_25partition_config_selectorILNS1_17partition_subalgoE6EyNS0_10empty_typeEbEEZZNS1_14partition_implILS5_6ELb0ES3_mN6thrust23THRUST_200600_302600_NS6detail15normal_iteratorINSA_10device_ptrIyEEEEPS6_SG_NS0_5tupleIJSF_S6_EEENSH_IJSG_SG_EEES6_PlJNSB_9not_fun_tINSB_14equal_to_valueIyEEEEEEE10hipError_tPvRmT3_T4_T5_T6_T7_T9_mT8_P12ihipStream_tbDpT10_ENKUlT_T0_E_clISt17integral_constantIbLb1EES17_IbLb0EEEEDaS13_S14_EUlS13_E_NS1_11comp_targetILNS1_3genE0ELNS1_11target_archE4294967295ELNS1_3gpuE0ELNS1_3repE0EEENS1_30default_config_static_selectorELNS0_4arch9wavefront6targetE0EEEvT1_
                                        ; -- End function
	.set _ZN7rocprim17ROCPRIM_400000_NS6detail17trampoline_kernelINS0_14default_configENS1_25partition_config_selectorILNS1_17partition_subalgoE6EyNS0_10empty_typeEbEEZZNS1_14partition_implILS5_6ELb0ES3_mN6thrust23THRUST_200600_302600_NS6detail15normal_iteratorINSA_10device_ptrIyEEEEPS6_SG_NS0_5tupleIJSF_S6_EEENSH_IJSG_SG_EEES6_PlJNSB_9not_fun_tINSB_14equal_to_valueIyEEEEEEE10hipError_tPvRmT3_T4_T5_T6_T7_T9_mT8_P12ihipStream_tbDpT10_ENKUlT_T0_E_clISt17integral_constantIbLb1EES17_IbLb0EEEEDaS13_S14_EUlS13_E_NS1_11comp_targetILNS1_3genE0ELNS1_11target_archE4294967295ELNS1_3gpuE0ELNS1_3repE0EEENS1_30default_config_static_selectorELNS0_4arch9wavefront6targetE0EEEvT1_.num_vgpr, 0
	.set _ZN7rocprim17ROCPRIM_400000_NS6detail17trampoline_kernelINS0_14default_configENS1_25partition_config_selectorILNS1_17partition_subalgoE6EyNS0_10empty_typeEbEEZZNS1_14partition_implILS5_6ELb0ES3_mN6thrust23THRUST_200600_302600_NS6detail15normal_iteratorINSA_10device_ptrIyEEEEPS6_SG_NS0_5tupleIJSF_S6_EEENSH_IJSG_SG_EEES6_PlJNSB_9not_fun_tINSB_14equal_to_valueIyEEEEEEE10hipError_tPvRmT3_T4_T5_T6_T7_T9_mT8_P12ihipStream_tbDpT10_ENKUlT_T0_E_clISt17integral_constantIbLb1EES17_IbLb0EEEEDaS13_S14_EUlS13_E_NS1_11comp_targetILNS1_3genE0ELNS1_11target_archE4294967295ELNS1_3gpuE0ELNS1_3repE0EEENS1_30default_config_static_selectorELNS0_4arch9wavefront6targetE0EEEvT1_.num_agpr, 0
	.set _ZN7rocprim17ROCPRIM_400000_NS6detail17trampoline_kernelINS0_14default_configENS1_25partition_config_selectorILNS1_17partition_subalgoE6EyNS0_10empty_typeEbEEZZNS1_14partition_implILS5_6ELb0ES3_mN6thrust23THRUST_200600_302600_NS6detail15normal_iteratorINSA_10device_ptrIyEEEEPS6_SG_NS0_5tupleIJSF_S6_EEENSH_IJSG_SG_EEES6_PlJNSB_9not_fun_tINSB_14equal_to_valueIyEEEEEEE10hipError_tPvRmT3_T4_T5_T6_T7_T9_mT8_P12ihipStream_tbDpT10_ENKUlT_T0_E_clISt17integral_constantIbLb1EES17_IbLb0EEEEDaS13_S14_EUlS13_E_NS1_11comp_targetILNS1_3genE0ELNS1_11target_archE4294967295ELNS1_3gpuE0ELNS1_3repE0EEENS1_30default_config_static_selectorELNS0_4arch9wavefront6targetE0EEEvT1_.numbered_sgpr, 0
	.set _ZN7rocprim17ROCPRIM_400000_NS6detail17trampoline_kernelINS0_14default_configENS1_25partition_config_selectorILNS1_17partition_subalgoE6EyNS0_10empty_typeEbEEZZNS1_14partition_implILS5_6ELb0ES3_mN6thrust23THRUST_200600_302600_NS6detail15normal_iteratorINSA_10device_ptrIyEEEEPS6_SG_NS0_5tupleIJSF_S6_EEENSH_IJSG_SG_EEES6_PlJNSB_9not_fun_tINSB_14equal_to_valueIyEEEEEEE10hipError_tPvRmT3_T4_T5_T6_T7_T9_mT8_P12ihipStream_tbDpT10_ENKUlT_T0_E_clISt17integral_constantIbLb1EES17_IbLb0EEEEDaS13_S14_EUlS13_E_NS1_11comp_targetILNS1_3genE0ELNS1_11target_archE4294967295ELNS1_3gpuE0ELNS1_3repE0EEENS1_30default_config_static_selectorELNS0_4arch9wavefront6targetE0EEEvT1_.num_named_barrier, 0
	.set _ZN7rocprim17ROCPRIM_400000_NS6detail17trampoline_kernelINS0_14default_configENS1_25partition_config_selectorILNS1_17partition_subalgoE6EyNS0_10empty_typeEbEEZZNS1_14partition_implILS5_6ELb0ES3_mN6thrust23THRUST_200600_302600_NS6detail15normal_iteratorINSA_10device_ptrIyEEEEPS6_SG_NS0_5tupleIJSF_S6_EEENSH_IJSG_SG_EEES6_PlJNSB_9not_fun_tINSB_14equal_to_valueIyEEEEEEE10hipError_tPvRmT3_T4_T5_T6_T7_T9_mT8_P12ihipStream_tbDpT10_ENKUlT_T0_E_clISt17integral_constantIbLb1EES17_IbLb0EEEEDaS13_S14_EUlS13_E_NS1_11comp_targetILNS1_3genE0ELNS1_11target_archE4294967295ELNS1_3gpuE0ELNS1_3repE0EEENS1_30default_config_static_selectorELNS0_4arch9wavefront6targetE0EEEvT1_.private_seg_size, 0
	.set _ZN7rocprim17ROCPRIM_400000_NS6detail17trampoline_kernelINS0_14default_configENS1_25partition_config_selectorILNS1_17partition_subalgoE6EyNS0_10empty_typeEbEEZZNS1_14partition_implILS5_6ELb0ES3_mN6thrust23THRUST_200600_302600_NS6detail15normal_iteratorINSA_10device_ptrIyEEEEPS6_SG_NS0_5tupleIJSF_S6_EEENSH_IJSG_SG_EEES6_PlJNSB_9not_fun_tINSB_14equal_to_valueIyEEEEEEE10hipError_tPvRmT3_T4_T5_T6_T7_T9_mT8_P12ihipStream_tbDpT10_ENKUlT_T0_E_clISt17integral_constantIbLb1EES17_IbLb0EEEEDaS13_S14_EUlS13_E_NS1_11comp_targetILNS1_3genE0ELNS1_11target_archE4294967295ELNS1_3gpuE0ELNS1_3repE0EEENS1_30default_config_static_selectorELNS0_4arch9wavefront6targetE0EEEvT1_.uses_vcc, 0
	.set _ZN7rocprim17ROCPRIM_400000_NS6detail17trampoline_kernelINS0_14default_configENS1_25partition_config_selectorILNS1_17partition_subalgoE6EyNS0_10empty_typeEbEEZZNS1_14partition_implILS5_6ELb0ES3_mN6thrust23THRUST_200600_302600_NS6detail15normal_iteratorINSA_10device_ptrIyEEEEPS6_SG_NS0_5tupleIJSF_S6_EEENSH_IJSG_SG_EEES6_PlJNSB_9not_fun_tINSB_14equal_to_valueIyEEEEEEE10hipError_tPvRmT3_T4_T5_T6_T7_T9_mT8_P12ihipStream_tbDpT10_ENKUlT_T0_E_clISt17integral_constantIbLb1EES17_IbLb0EEEEDaS13_S14_EUlS13_E_NS1_11comp_targetILNS1_3genE0ELNS1_11target_archE4294967295ELNS1_3gpuE0ELNS1_3repE0EEENS1_30default_config_static_selectorELNS0_4arch9wavefront6targetE0EEEvT1_.uses_flat_scratch, 0
	.set _ZN7rocprim17ROCPRIM_400000_NS6detail17trampoline_kernelINS0_14default_configENS1_25partition_config_selectorILNS1_17partition_subalgoE6EyNS0_10empty_typeEbEEZZNS1_14partition_implILS5_6ELb0ES3_mN6thrust23THRUST_200600_302600_NS6detail15normal_iteratorINSA_10device_ptrIyEEEEPS6_SG_NS0_5tupleIJSF_S6_EEENSH_IJSG_SG_EEES6_PlJNSB_9not_fun_tINSB_14equal_to_valueIyEEEEEEE10hipError_tPvRmT3_T4_T5_T6_T7_T9_mT8_P12ihipStream_tbDpT10_ENKUlT_T0_E_clISt17integral_constantIbLb1EES17_IbLb0EEEEDaS13_S14_EUlS13_E_NS1_11comp_targetILNS1_3genE0ELNS1_11target_archE4294967295ELNS1_3gpuE0ELNS1_3repE0EEENS1_30default_config_static_selectorELNS0_4arch9wavefront6targetE0EEEvT1_.has_dyn_sized_stack, 0
	.set _ZN7rocprim17ROCPRIM_400000_NS6detail17trampoline_kernelINS0_14default_configENS1_25partition_config_selectorILNS1_17partition_subalgoE6EyNS0_10empty_typeEbEEZZNS1_14partition_implILS5_6ELb0ES3_mN6thrust23THRUST_200600_302600_NS6detail15normal_iteratorINSA_10device_ptrIyEEEEPS6_SG_NS0_5tupleIJSF_S6_EEENSH_IJSG_SG_EEES6_PlJNSB_9not_fun_tINSB_14equal_to_valueIyEEEEEEE10hipError_tPvRmT3_T4_T5_T6_T7_T9_mT8_P12ihipStream_tbDpT10_ENKUlT_T0_E_clISt17integral_constantIbLb1EES17_IbLb0EEEEDaS13_S14_EUlS13_E_NS1_11comp_targetILNS1_3genE0ELNS1_11target_archE4294967295ELNS1_3gpuE0ELNS1_3repE0EEENS1_30default_config_static_selectorELNS0_4arch9wavefront6targetE0EEEvT1_.has_recursion, 0
	.set _ZN7rocprim17ROCPRIM_400000_NS6detail17trampoline_kernelINS0_14default_configENS1_25partition_config_selectorILNS1_17partition_subalgoE6EyNS0_10empty_typeEbEEZZNS1_14partition_implILS5_6ELb0ES3_mN6thrust23THRUST_200600_302600_NS6detail15normal_iteratorINSA_10device_ptrIyEEEEPS6_SG_NS0_5tupleIJSF_S6_EEENSH_IJSG_SG_EEES6_PlJNSB_9not_fun_tINSB_14equal_to_valueIyEEEEEEE10hipError_tPvRmT3_T4_T5_T6_T7_T9_mT8_P12ihipStream_tbDpT10_ENKUlT_T0_E_clISt17integral_constantIbLb1EES17_IbLb0EEEEDaS13_S14_EUlS13_E_NS1_11comp_targetILNS1_3genE0ELNS1_11target_archE4294967295ELNS1_3gpuE0ELNS1_3repE0EEENS1_30default_config_static_selectorELNS0_4arch9wavefront6targetE0EEEvT1_.has_indirect_call, 0
	.section	.AMDGPU.csdata,"",@progbits
; Kernel info:
; codeLenInByte = 0
; TotalNumSgprs: 0
; NumVgprs: 0
; ScratchSize: 0
; MemoryBound: 0
; FloatMode: 240
; IeeeMode: 1
; LDSByteSize: 0 bytes/workgroup (compile time only)
; SGPRBlocks: 0
; VGPRBlocks: 0
; NumSGPRsForWavesPerEU: 1
; NumVGPRsForWavesPerEU: 1
; Occupancy: 16
; WaveLimiterHint : 0
; COMPUTE_PGM_RSRC2:SCRATCH_EN: 0
; COMPUTE_PGM_RSRC2:USER_SGPR: 2
; COMPUTE_PGM_RSRC2:TRAP_HANDLER: 0
; COMPUTE_PGM_RSRC2:TGID_X_EN: 1
; COMPUTE_PGM_RSRC2:TGID_Y_EN: 0
; COMPUTE_PGM_RSRC2:TGID_Z_EN: 0
; COMPUTE_PGM_RSRC2:TIDIG_COMP_CNT: 0
	.section	.text._ZN7rocprim17ROCPRIM_400000_NS6detail17trampoline_kernelINS0_14default_configENS1_25partition_config_selectorILNS1_17partition_subalgoE6EyNS0_10empty_typeEbEEZZNS1_14partition_implILS5_6ELb0ES3_mN6thrust23THRUST_200600_302600_NS6detail15normal_iteratorINSA_10device_ptrIyEEEEPS6_SG_NS0_5tupleIJSF_S6_EEENSH_IJSG_SG_EEES6_PlJNSB_9not_fun_tINSB_14equal_to_valueIyEEEEEEE10hipError_tPvRmT3_T4_T5_T6_T7_T9_mT8_P12ihipStream_tbDpT10_ENKUlT_T0_E_clISt17integral_constantIbLb1EES17_IbLb0EEEEDaS13_S14_EUlS13_E_NS1_11comp_targetILNS1_3genE5ELNS1_11target_archE942ELNS1_3gpuE9ELNS1_3repE0EEENS1_30default_config_static_selectorELNS0_4arch9wavefront6targetE0EEEvT1_,"axG",@progbits,_ZN7rocprim17ROCPRIM_400000_NS6detail17trampoline_kernelINS0_14default_configENS1_25partition_config_selectorILNS1_17partition_subalgoE6EyNS0_10empty_typeEbEEZZNS1_14partition_implILS5_6ELb0ES3_mN6thrust23THRUST_200600_302600_NS6detail15normal_iteratorINSA_10device_ptrIyEEEEPS6_SG_NS0_5tupleIJSF_S6_EEENSH_IJSG_SG_EEES6_PlJNSB_9not_fun_tINSB_14equal_to_valueIyEEEEEEE10hipError_tPvRmT3_T4_T5_T6_T7_T9_mT8_P12ihipStream_tbDpT10_ENKUlT_T0_E_clISt17integral_constantIbLb1EES17_IbLb0EEEEDaS13_S14_EUlS13_E_NS1_11comp_targetILNS1_3genE5ELNS1_11target_archE942ELNS1_3gpuE9ELNS1_3repE0EEENS1_30default_config_static_selectorELNS0_4arch9wavefront6targetE0EEEvT1_,comdat
	.protected	_ZN7rocprim17ROCPRIM_400000_NS6detail17trampoline_kernelINS0_14default_configENS1_25partition_config_selectorILNS1_17partition_subalgoE6EyNS0_10empty_typeEbEEZZNS1_14partition_implILS5_6ELb0ES3_mN6thrust23THRUST_200600_302600_NS6detail15normal_iteratorINSA_10device_ptrIyEEEEPS6_SG_NS0_5tupleIJSF_S6_EEENSH_IJSG_SG_EEES6_PlJNSB_9not_fun_tINSB_14equal_to_valueIyEEEEEEE10hipError_tPvRmT3_T4_T5_T6_T7_T9_mT8_P12ihipStream_tbDpT10_ENKUlT_T0_E_clISt17integral_constantIbLb1EES17_IbLb0EEEEDaS13_S14_EUlS13_E_NS1_11comp_targetILNS1_3genE5ELNS1_11target_archE942ELNS1_3gpuE9ELNS1_3repE0EEENS1_30default_config_static_selectorELNS0_4arch9wavefront6targetE0EEEvT1_ ; -- Begin function _ZN7rocprim17ROCPRIM_400000_NS6detail17trampoline_kernelINS0_14default_configENS1_25partition_config_selectorILNS1_17partition_subalgoE6EyNS0_10empty_typeEbEEZZNS1_14partition_implILS5_6ELb0ES3_mN6thrust23THRUST_200600_302600_NS6detail15normal_iteratorINSA_10device_ptrIyEEEEPS6_SG_NS0_5tupleIJSF_S6_EEENSH_IJSG_SG_EEES6_PlJNSB_9not_fun_tINSB_14equal_to_valueIyEEEEEEE10hipError_tPvRmT3_T4_T5_T6_T7_T9_mT8_P12ihipStream_tbDpT10_ENKUlT_T0_E_clISt17integral_constantIbLb1EES17_IbLb0EEEEDaS13_S14_EUlS13_E_NS1_11comp_targetILNS1_3genE5ELNS1_11target_archE942ELNS1_3gpuE9ELNS1_3repE0EEENS1_30default_config_static_selectorELNS0_4arch9wavefront6targetE0EEEvT1_
	.globl	_ZN7rocprim17ROCPRIM_400000_NS6detail17trampoline_kernelINS0_14default_configENS1_25partition_config_selectorILNS1_17partition_subalgoE6EyNS0_10empty_typeEbEEZZNS1_14partition_implILS5_6ELb0ES3_mN6thrust23THRUST_200600_302600_NS6detail15normal_iteratorINSA_10device_ptrIyEEEEPS6_SG_NS0_5tupleIJSF_S6_EEENSH_IJSG_SG_EEES6_PlJNSB_9not_fun_tINSB_14equal_to_valueIyEEEEEEE10hipError_tPvRmT3_T4_T5_T6_T7_T9_mT8_P12ihipStream_tbDpT10_ENKUlT_T0_E_clISt17integral_constantIbLb1EES17_IbLb0EEEEDaS13_S14_EUlS13_E_NS1_11comp_targetILNS1_3genE5ELNS1_11target_archE942ELNS1_3gpuE9ELNS1_3repE0EEENS1_30default_config_static_selectorELNS0_4arch9wavefront6targetE0EEEvT1_
	.p2align	8
	.type	_ZN7rocprim17ROCPRIM_400000_NS6detail17trampoline_kernelINS0_14default_configENS1_25partition_config_selectorILNS1_17partition_subalgoE6EyNS0_10empty_typeEbEEZZNS1_14partition_implILS5_6ELb0ES3_mN6thrust23THRUST_200600_302600_NS6detail15normal_iteratorINSA_10device_ptrIyEEEEPS6_SG_NS0_5tupleIJSF_S6_EEENSH_IJSG_SG_EEES6_PlJNSB_9not_fun_tINSB_14equal_to_valueIyEEEEEEE10hipError_tPvRmT3_T4_T5_T6_T7_T9_mT8_P12ihipStream_tbDpT10_ENKUlT_T0_E_clISt17integral_constantIbLb1EES17_IbLb0EEEEDaS13_S14_EUlS13_E_NS1_11comp_targetILNS1_3genE5ELNS1_11target_archE942ELNS1_3gpuE9ELNS1_3repE0EEENS1_30default_config_static_selectorELNS0_4arch9wavefront6targetE0EEEvT1_,@function
_ZN7rocprim17ROCPRIM_400000_NS6detail17trampoline_kernelINS0_14default_configENS1_25partition_config_selectorILNS1_17partition_subalgoE6EyNS0_10empty_typeEbEEZZNS1_14partition_implILS5_6ELb0ES3_mN6thrust23THRUST_200600_302600_NS6detail15normal_iteratorINSA_10device_ptrIyEEEEPS6_SG_NS0_5tupleIJSF_S6_EEENSH_IJSG_SG_EEES6_PlJNSB_9not_fun_tINSB_14equal_to_valueIyEEEEEEE10hipError_tPvRmT3_T4_T5_T6_T7_T9_mT8_P12ihipStream_tbDpT10_ENKUlT_T0_E_clISt17integral_constantIbLb1EES17_IbLb0EEEEDaS13_S14_EUlS13_E_NS1_11comp_targetILNS1_3genE5ELNS1_11target_archE942ELNS1_3gpuE9ELNS1_3repE0EEENS1_30default_config_static_selectorELNS0_4arch9wavefront6targetE0EEEvT1_: ; @_ZN7rocprim17ROCPRIM_400000_NS6detail17trampoline_kernelINS0_14default_configENS1_25partition_config_selectorILNS1_17partition_subalgoE6EyNS0_10empty_typeEbEEZZNS1_14partition_implILS5_6ELb0ES3_mN6thrust23THRUST_200600_302600_NS6detail15normal_iteratorINSA_10device_ptrIyEEEEPS6_SG_NS0_5tupleIJSF_S6_EEENSH_IJSG_SG_EEES6_PlJNSB_9not_fun_tINSB_14equal_to_valueIyEEEEEEE10hipError_tPvRmT3_T4_T5_T6_T7_T9_mT8_P12ihipStream_tbDpT10_ENKUlT_T0_E_clISt17integral_constantIbLb1EES17_IbLb0EEEEDaS13_S14_EUlS13_E_NS1_11comp_targetILNS1_3genE5ELNS1_11target_archE942ELNS1_3gpuE9ELNS1_3repE0EEENS1_30default_config_static_selectorELNS0_4arch9wavefront6targetE0EEEvT1_
; %bb.0:
	.section	.rodata,"a",@progbits
	.p2align	6, 0x0
	.amdhsa_kernel _ZN7rocprim17ROCPRIM_400000_NS6detail17trampoline_kernelINS0_14default_configENS1_25partition_config_selectorILNS1_17partition_subalgoE6EyNS0_10empty_typeEbEEZZNS1_14partition_implILS5_6ELb0ES3_mN6thrust23THRUST_200600_302600_NS6detail15normal_iteratorINSA_10device_ptrIyEEEEPS6_SG_NS0_5tupleIJSF_S6_EEENSH_IJSG_SG_EEES6_PlJNSB_9not_fun_tINSB_14equal_to_valueIyEEEEEEE10hipError_tPvRmT3_T4_T5_T6_T7_T9_mT8_P12ihipStream_tbDpT10_ENKUlT_T0_E_clISt17integral_constantIbLb1EES17_IbLb0EEEEDaS13_S14_EUlS13_E_NS1_11comp_targetILNS1_3genE5ELNS1_11target_archE942ELNS1_3gpuE9ELNS1_3repE0EEENS1_30default_config_static_selectorELNS0_4arch9wavefront6targetE0EEEvT1_
		.amdhsa_group_segment_fixed_size 0
		.amdhsa_private_segment_fixed_size 0
		.amdhsa_kernarg_size 120
		.amdhsa_user_sgpr_count 2
		.amdhsa_user_sgpr_dispatch_ptr 0
		.amdhsa_user_sgpr_queue_ptr 0
		.amdhsa_user_sgpr_kernarg_segment_ptr 1
		.amdhsa_user_sgpr_dispatch_id 0
		.amdhsa_user_sgpr_private_segment_size 0
		.amdhsa_wavefront_size32 1
		.amdhsa_uses_dynamic_stack 0
		.amdhsa_enable_private_segment 0
		.amdhsa_system_sgpr_workgroup_id_x 1
		.amdhsa_system_sgpr_workgroup_id_y 0
		.amdhsa_system_sgpr_workgroup_id_z 0
		.amdhsa_system_sgpr_workgroup_info 0
		.amdhsa_system_vgpr_workitem_id 0
		.amdhsa_next_free_vgpr 1
		.amdhsa_next_free_sgpr 1
		.amdhsa_reserve_vcc 0
		.amdhsa_float_round_mode_32 0
		.amdhsa_float_round_mode_16_64 0
		.amdhsa_float_denorm_mode_32 3
		.amdhsa_float_denorm_mode_16_64 3
		.amdhsa_fp16_overflow 0
		.amdhsa_workgroup_processor_mode 1
		.amdhsa_memory_ordered 1
		.amdhsa_forward_progress 1
		.amdhsa_inst_pref_size 0
		.amdhsa_round_robin_scheduling 0
		.amdhsa_exception_fp_ieee_invalid_op 0
		.amdhsa_exception_fp_denorm_src 0
		.amdhsa_exception_fp_ieee_div_zero 0
		.amdhsa_exception_fp_ieee_overflow 0
		.amdhsa_exception_fp_ieee_underflow 0
		.amdhsa_exception_fp_ieee_inexact 0
		.amdhsa_exception_int_div_zero 0
	.end_amdhsa_kernel
	.section	.text._ZN7rocprim17ROCPRIM_400000_NS6detail17trampoline_kernelINS0_14default_configENS1_25partition_config_selectorILNS1_17partition_subalgoE6EyNS0_10empty_typeEbEEZZNS1_14partition_implILS5_6ELb0ES3_mN6thrust23THRUST_200600_302600_NS6detail15normal_iteratorINSA_10device_ptrIyEEEEPS6_SG_NS0_5tupleIJSF_S6_EEENSH_IJSG_SG_EEES6_PlJNSB_9not_fun_tINSB_14equal_to_valueIyEEEEEEE10hipError_tPvRmT3_T4_T5_T6_T7_T9_mT8_P12ihipStream_tbDpT10_ENKUlT_T0_E_clISt17integral_constantIbLb1EES17_IbLb0EEEEDaS13_S14_EUlS13_E_NS1_11comp_targetILNS1_3genE5ELNS1_11target_archE942ELNS1_3gpuE9ELNS1_3repE0EEENS1_30default_config_static_selectorELNS0_4arch9wavefront6targetE0EEEvT1_,"axG",@progbits,_ZN7rocprim17ROCPRIM_400000_NS6detail17trampoline_kernelINS0_14default_configENS1_25partition_config_selectorILNS1_17partition_subalgoE6EyNS0_10empty_typeEbEEZZNS1_14partition_implILS5_6ELb0ES3_mN6thrust23THRUST_200600_302600_NS6detail15normal_iteratorINSA_10device_ptrIyEEEEPS6_SG_NS0_5tupleIJSF_S6_EEENSH_IJSG_SG_EEES6_PlJNSB_9not_fun_tINSB_14equal_to_valueIyEEEEEEE10hipError_tPvRmT3_T4_T5_T6_T7_T9_mT8_P12ihipStream_tbDpT10_ENKUlT_T0_E_clISt17integral_constantIbLb1EES17_IbLb0EEEEDaS13_S14_EUlS13_E_NS1_11comp_targetILNS1_3genE5ELNS1_11target_archE942ELNS1_3gpuE9ELNS1_3repE0EEENS1_30default_config_static_selectorELNS0_4arch9wavefront6targetE0EEEvT1_,comdat
.Lfunc_end358:
	.size	_ZN7rocprim17ROCPRIM_400000_NS6detail17trampoline_kernelINS0_14default_configENS1_25partition_config_selectorILNS1_17partition_subalgoE6EyNS0_10empty_typeEbEEZZNS1_14partition_implILS5_6ELb0ES3_mN6thrust23THRUST_200600_302600_NS6detail15normal_iteratorINSA_10device_ptrIyEEEEPS6_SG_NS0_5tupleIJSF_S6_EEENSH_IJSG_SG_EEES6_PlJNSB_9not_fun_tINSB_14equal_to_valueIyEEEEEEE10hipError_tPvRmT3_T4_T5_T6_T7_T9_mT8_P12ihipStream_tbDpT10_ENKUlT_T0_E_clISt17integral_constantIbLb1EES17_IbLb0EEEEDaS13_S14_EUlS13_E_NS1_11comp_targetILNS1_3genE5ELNS1_11target_archE942ELNS1_3gpuE9ELNS1_3repE0EEENS1_30default_config_static_selectorELNS0_4arch9wavefront6targetE0EEEvT1_, .Lfunc_end358-_ZN7rocprim17ROCPRIM_400000_NS6detail17trampoline_kernelINS0_14default_configENS1_25partition_config_selectorILNS1_17partition_subalgoE6EyNS0_10empty_typeEbEEZZNS1_14partition_implILS5_6ELb0ES3_mN6thrust23THRUST_200600_302600_NS6detail15normal_iteratorINSA_10device_ptrIyEEEEPS6_SG_NS0_5tupleIJSF_S6_EEENSH_IJSG_SG_EEES6_PlJNSB_9not_fun_tINSB_14equal_to_valueIyEEEEEEE10hipError_tPvRmT3_T4_T5_T6_T7_T9_mT8_P12ihipStream_tbDpT10_ENKUlT_T0_E_clISt17integral_constantIbLb1EES17_IbLb0EEEEDaS13_S14_EUlS13_E_NS1_11comp_targetILNS1_3genE5ELNS1_11target_archE942ELNS1_3gpuE9ELNS1_3repE0EEENS1_30default_config_static_selectorELNS0_4arch9wavefront6targetE0EEEvT1_
                                        ; -- End function
	.set _ZN7rocprim17ROCPRIM_400000_NS6detail17trampoline_kernelINS0_14default_configENS1_25partition_config_selectorILNS1_17partition_subalgoE6EyNS0_10empty_typeEbEEZZNS1_14partition_implILS5_6ELb0ES3_mN6thrust23THRUST_200600_302600_NS6detail15normal_iteratorINSA_10device_ptrIyEEEEPS6_SG_NS0_5tupleIJSF_S6_EEENSH_IJSG_SG_EEES6_PlJNSB_9not_fun_tINSB_14equal_to_valueIyEEEEEEE10hipError_tPvRmT3_T4_T5_T6_T7_T9_mT8_P12ihipStream_tbDpT10_ENKUlT_T0_E_clISt17integral_constantIbLb1EES17_IbLb0EEEEDaS13_S14_EUlS13_E_NS1_11comp_targetILNS1_3genE5ELNS1_11target_archE942ELNS1_3gpuE9ELNS1_3repE0EEENS1_30default_config_static_selectorELNS0_4arch9wavefront6targetE0EEEvT1_.num_vgpr, 0
	.set _ZN7rocprim17ROCPRIM_400000_NS6detail17trampoline_kernelINS0_14default_configENS1_25partition_config_selectorILNS1_17partition_subalgoE6EyNS0_10empty_typeEbEEZZNS1_14partition_implILS5_6ELb0ES3_mN6thrust23THRUST_200600_302600_NS6detail15normal_iteratorINSA_10device_ptrIyEEEEPS6_SG_NS0_5tupleIJSF_S6_EEENSH_IJSG_SG_EEES6_PlJNSB_9not_fun_tINSB_14equal_to_valueIyEEEEEEE10hipError_tPvRmT3_T4_T5_T6_T7_T9_mT8_P12ihipStream_tbDpT10_ENKUlT_T0_E_clISt17integral_constantIbLb1EES17_IbLb0EEEEDaS13_S14_EUlS13_E_NS1_11comp_targetILNS1_3genE5ELNS1_11target_archE942ELNS1_3gpuE9ELNS1_3repE0EEENS1_30default_config_static_selectorELNS0_4arch9wavefront6targetE0EEEvT1_.num_agpr, 0
	.set _ZN7rocprim17ROCPRIM_400000_NS6detail17trampoline_kernelINS0_14default_configENS1_25partition_config_selectorILNS1_17partition_subalgoE6EyNS0_10empty_typeEbEEZZNS1_14partition_implILS5_6ELb0ES3_mN6thrust23THRUST_200600_302600_NS6detail15normal_iteratorINSA_10device_ptrIyEEEEPS6_SG_NS0_5tupleIJSF_S6_EEENSH_IJSG_SG_EEES6_PlJNSB_9not_fun_tINSB_14equal_to_valueIyEEEEEEE10hipError_tPvRmT3_T4_T5_T6_T7_T9_mT8_P12ihipStream_tbDpT10_ENKUlT_T0_E_clISt17integral_constantIbLb1EES17_IbLb0EEEEDaS13_S14_EUlS13_E_NS1_11comp_targetILNS1_3genE5ELNS1_11target_archE942ELNS1_3gpuE9ELNS1_3repE0EEENS1_30default_config_static_selectorELNS0_4arch9wavefront6targetE0EEEvT1_.numbered_sgpr, 0
	.set _ZN7rocprim17ROCPRIM_400000_NS6detail17trampoline_kernelINS0_14default_configENS1_25partition_config_selectorILNS1_17partition_subalgoE6EyNS0_10empty_typeEbEEZZNS1_14partition_implILS5_6ELb0ES3_mN6thrust23THRUST_200600_302600_NS6detail15normal_iteratorINSA_10device_ptrIyEEEEPS6_SG_NS0_5tupleIJSF_S6_EEENSH_IJSG_SG_EEES6_PlJNSB_9not_fun_tINSB_14equal_to_valueIyEEEEEEE10hipError_tPvRmT3_T4_T5_T6_T7_T9_mT8_P12ihipStream_tbDpT10_ENKUlT_T0_E_clISt17integral_constantIbLb1EES17_IbLb0EEEEDaS13_S14_EUlS13_E_NS1_11comp_targetILNS1_3genE5ELNS1_11target_archE942ELNS1_3gpuE9ELNS1_3repE0EEENS1_30default_config_static_selectorELNS0_4arch9wavefront6targetE0EEEvT1_.num_named_barrier, 0
	.set _ZN7rocprim17ROCPRIM_400000_NS6detail17trampoline_kernelINS0_14default_configENS1_25partition_config_selectorILNS1_17partition_subalgoE6EyNS0_10empty_typeEbEEZZNS1_14partition_implILS5_6ELb0ES3_mN6thrust23THRUST_200600_302600_NS6detail15normal_iteratorINSA_10device_ptrIyEEEEPS6_SG_NS0_5tupleIJSF_S6_EEENSH_IJSG_SG_EEES6_PlJNSB_9not_fun_tINSB_14equal_to_valueIyEEEEEEE10hipError_tPvRmT3_T4_T5_T6_T7_T9_mT8_P12ihipStream_tbDpT10_ENKUlT_T0_E_clISt17integral_constantIbLb1EES17_IbLb0EEEEDaS13_S14_EUlS13_E_NS1_11comp_targetILNS1_3genE5ELNS1_11target_archE942ELNS1_3gpuE9ELNS1_3repE0EEENS1_30default_config_static_selectorELNS0_4arch9wavefront6targetE0EEEvT1_.private_seg_size, 0
	.set _ZN7rocprim17ROCPRIM_400000_NS6detail17trampoline_kernelINS0_14default_configENS1_25partition_config_selectorILNS1_17partition_subalgoE6EyNS0_10empty_typeEbEEZZNS1_14partition_implILS5_6ELb0ES3_mN6thrust23THRUST_200600_302600_NS6detail15normal_iteratorINSA_10device_ptrIyEEEEPS6_SG_NS0_5tupleIJSF_S6_EEENSH_IJSG_SG_EEES6_PlJNSB_9not_fun_tINSB_14equal_to_valueIyEEEEEEE10hipError_tPvRmT3_T4_T5_T6_T7_T9_mT8_P12ihipStream_tbDpT10_ENKUlT_T0_E_clISt17integral_constantIbLb1EES17_IbLb0EEEEDaS13_S14_EUlS13_E_NS1_11comp_targetILNS1_3genE5ELNS1_11target_archE942ELNS1_3gpuE9ELNS1_3repE0EEENS1_30default_config_static_selectorELNS0_4arch9wavefront6targetE0EEEvT1_.uses_vcc, 0
	.set _ZN7rocprim17ROCPRIM_400000_NS6detail17trampoline_kernelINS0_14default_configENS1_25partition_config_selectorILNS1_17partition_subalgoE6EyNS0_10empty_typeEbEEZZNS1_14partition_implILS5_6ELb0ES3_mN6thrust23THRUST_200600_302600_NS6detail15normal_iteratorINSA_10device_ptrIyEEEEPS6_SG_NS0_5tupleIJSF_S6_EEENSH_IJSG_SG_EEES6_PlJNSB_9not_fun_tINSB_14equal_to_valueIyEEEEEEE10hipError_tPvRmT3_T4_T5_T6_T7_T9_mT8_P12ihipStream_tbDpT10_ENKUlT_T0_E_clISt17integral_constantIbLb1EES17_IbLb0EEEEDaS13_S14_EUlS13_E_NS1_11comp_targetILNS1_3genE5ELNS1_11target_archE942ELNS1_3gpuE9ELNS1_3repE0EEENS1_30default_config_static_selectorELNS0_4arch9wavefront6targetE0EEEvT1_.uses_flat_scratch, 0
	.set _ZN7rocprim17ROCPRIM_400000_NS6detail17trampoline_kernelINS0_14default_configENS1_25partition_config_selectorILNS1_17partition_subalgoE6EyNS0_10empty_typeEbEEZZNS1_14partition_implILS5_6ELb0ES3_mN6thrust23THRUST_200600_302600_NS6detail15normal_iteratorINSA_10device_ptrIyEEEEPS6_SG_NS0_5tupleIJSF_S6_EEENSH_IJSG_SG_EEES6_PlJNSB_9not_fun_tINSB_14equal_to_valueIyEEEEEEE10hipError_tPvRmT3_T4_T5_T6_T7_T9_mT8_P12ihipStream_tbDpT10_ENKUlT_T0_E_clISt17integral_constantIbLb1EES17_IbLb0EEEEDaS13_S14_EUlS13_E_NS1_11comp_targetILNS1_3genE5ELNS1_11target_archE942ELNS1_3gpuE9ELNS1_3repE0EEENS1_30default_config_static_selectorELNS0_4arch9wavefront6targetE0EEEvT1_.has_dyn_sized_stack, 0
	.set _ZN7rocprim17ROCPRIM_400000_NS6detail17trampoline_kernelINS0_14default_configENS1_25partition_config_selectorILNS1_17partition_subalgoE6EyNS0_10empty_typeEbEEZZNS1_14partition_implILS5_6ELb0ES3_mN6thrust23THRUST_200600_302600_NS6detail15normal_iteratorINSA_10device_ptrIyEEEEPS6_SG_NS0_5tupleIJSF_S6_EEENSH_IJSG_SG_EEES6_PlJNSB_9not_fun_tINSB_14equal_to_valueIyEEEEEEE10hipError_tPvRmT3_T4_T5_T6_T7_T9_mT8_P12ihipStream_tbDpT10_ENKUlT_T0_E_clISt17integral_constantIbLb1EES17_IbLb0EEEEDaS13_S14_EUlS13_E_NS1_11comp_targetILNS1_3genE5ELNS1_11target_archE942ELNS1_3gpuE9ELNS1_3repE0EEENS1_30default_config_static_selectorELNS0_4arch9wavefront6targetE0EEEvT1_.has_recursion, 0
	.set _ZN7rocprim17ROCPRIM_400000_NS6detail17trampoline_kernelINS0_14default_configENS1_25partition_config_selectorILNS1_17partition_subalgoE6EyNS0_10empty_typeEbEEZZNS1_14partition_implILS5_6ELb0ES3_mN6thrust23THRUST_200600_302600_NS6detail15normal_iteratorINSA_10device_ptrIyEEEEPS6_SG_NS0_5tupleIJSF_S6_EEENSH_IJSG_SG_EEES6_PlJNSB_9not_fun_tINSB_14equal_to_valueIyEEEEEEE10hipError_tPvRmT3_T4_T5_T6_T7_T9_mT8_P12ihipStream_tbDpT10_ENKUlT_T0_E_clISt17integral_constantIbLb1EES17_IbLb0EEEEDaS13_S14_EUlS13_E_NS1_11comp_targetILNS1_3genE5ELNS1_11target_archE942ELNS1_3gpuE9ELNS1_3repE0EEENS1_30default_config_static_selectorELNS0_4arch9wavefront6targetE0EEEvT1_.has_indirect_call, 0
	.section	.AMDGPU.csdata,"",@progbits
; Kernel info:
; codeLenInByte = 0
; TotalNumSgprs: 0
; NumVgprs: 0
; ScratchSize: 0
; MemoryBound: 0
; FloatMode: 240
; IeeeMode: 1
; LDSByteSize: 0 bytes/workgroup (compile time only)
; SGPRBlocks: 0
; VGPRBlocks: 0
; NumSGPRsForWavesPerEU: 1
; NumVGPRsForWavesPerEU: 1
; Occupancy: 16
; WaveLimiterHint : 0
; COMPUTE_PGM_RSRC2:SCRATCH_EN: 0
; COMPUTE_PGM_RSRC2:USER_SGPR: 2
; COMPUTE_PGM_RSRC2:TRAP_HANDLER: 0
; COMPUTE_PGM_RSRC2:TGID_X_EN: 1
; COMPUTE_PGM_RSRC2:TGID_Y_EN: 0
; COMPUTE_PGM_RSRC2:TGID_Z_EN: 0
; COMPUTE_PGM_RSRC2:TIDIG_COMP_CNT: 0
	.section	.text._ZN7rocprim17ROCPRIM_400000_NS6detail17trampoline_kernelINS0_14default_configENS1_25partition_config_selectorILNS1_17partition_subalgoE6EyNS0_10empty_typeEbEEZZNS1_14partition_implILS5_6ELb0ES3_mN6thrust23THRUST_200600_302600_NS6detail15normal_iteratorINSA_10device_ptrIyEEEEPS6_SG_NS0_5tupleIJSF_S6_EEENSH_IJSG_SG_EEES6_PlJNSB_9not_fun_tINSB_14equal_to_valueIyEEEEEEE10hipError_tPvRmT3_T4_T5_T6_T7_T9_mT8_P12ihipStream_tbDpT10_ENKUlT_T0_E_clISt17integral_constantIbLb1EES17_IbLb0EEEEDaS13_S14_EUlS13_E_NS1_11comp_targetILNS1_3genE4ELNS1_11target_archE910ELNS1_3gpuE8ELNS1_3repE0EEENS1_30default_config_static_selectorELNS0_4arch9wavefront6targetE0EEEvT1_,"axG",@progbits,_ZN7rocprim17ROCPRIM_400000_NS6detail17trampoline_kernelINS0_14default_configENS1_25partition_config_selectorILNS1_17partition_subalgoE6EyNS0_10empty_typeEbEEZZNS1_14partition_implILS5_6ELb0ES3_mN6thrust23THRUST_200600_302600_NS6detail15normal_iteratorINSA_10device_ptrIyEEEEPS6_SG_NS0_5tupleIJSF_S6_EEENSH_IJSG_SG_EEES6_PlJNSB_9not_fun_tINSB_14equal_to_valueIyEEEEEEE10hipError_tPvRmT3_T4_T5_T6_T7_T9_mT8_P12ihipStream_tbDpT10_ENKUlT_T0_E_clISt17integral_constantIbLb1EES17_IbLb0EEEEDaS13_S14_EUlS13_E_NS1_11comp_targetILNS1_3genE4ELNS1_11target_archE910ELNS1_3gpuE8ELNS1_3repE0EEENS1_30default_config_static_selectorELNS0_4arch9wavefront6targetE0EEEvT1_,comdat
	.protected	_ZN7rocprim17ROCPRIM_400000_NS6detail17trampoline_kernelINS0_14default_configENS1_25partition_config_selectorILNS1_17partition_subalgoE6EyNS0_10empty_typeEbEEZZNS1_14partition_implILS5_6ELb0ES3_mN6thrust23THRUST_200600_302600_NS6detail15normal_iteratorINSA_10device_ptrIyEEEEPS6_SG_NS0_5tupleIJSF_S6_EEENSH_IJSG_SG_EEES6_PlJNSB_9not_fun_tINSB_14equal_to_valueIyEEEEEEE10hipError_tPvRmT3_T4_T5_T6_T7_T9_mT8_P12ihipStream_tbDpT10_ENKUlT_T0_E_clISt17integral_constantIbLb1EES17_IbLb0EEEEDaS13_S14_EUlS13_E_NS1_11comp_targetILNS1_3genE4ELNS1_11target_archE910ELNS1_3gpuE8ELNS1_3repE0EEENS1_30default_config_static_selectorELNS0_4arch9wavefront6targetE0EEEvT1_ ; -- Begin function _ZN7rocprim17ROCPRIM_400000_NS6detail17trampoline_kernelINS0_14default_configENS1_25partition_config_selectorILNS1_17partition_subalgoE6EyNS0_10empty_typeEbEEZZNS1_14partition_implILS5_6ELb0ES3_mN6thrust23THRUST_200600_302600_NS6detail15normal_iteratorINSA_10device_ptrIyEEEEPS6_SG_NS0_5tupleIJSF_S6_EEENSH_IJSG_SG_EEES6_PlJNSB_9not_fun_tINSB_14equal_to_valueIyEEEEEEE10hipError_tPvRmT3_T4_T5_T6_T7_T9_mT8_P12ihipStream_tbDpT10_ENKUlT_T0_E_clISt17integral_constantIbLb1EES17_IbLb0EEEEDaS13_S14_EUlS13_E_NS1_11comp_targetILNS1_3genE4ELNS1_11target_archE910ELNS1_3gpuE8ELNS1_3repE0EEENS1_30default_config_static_selectorELNS0_4arch9wavefront6targetE0EEEvT1_
	.globl	_ZN7rocprim17ROCPRIM_400000_NS6detail17trampoline_kernelINS0_14default_configENS1_25partition_config_selectorILNS1_17partition_subalgoE6EyNS0_10empty_typeEbEEZZNS1_14partition_implILS5_6ELb0ES3_mN6thrust23THRUST_200600_302600_NS6detail15normal_iteratorINSA_10device_ptrIyEEEEPS6_SG_NS0_5tupleIJSF_S6_EEENSH_IJSG_SG_EEES6_PlJNSB_9not_fun_tINSB_14equal_to_valueIyEEEEEEE10hipError_tPvRmT3_T4_T5_T6_T7_T9_mT8_P12ihipStream_tbDpT10_ENKUlT_T0_E_clISt17integral_constantIbLb1EES17_IbLb0EEEEDaS13_S14_EUlS13_E_NS1_11comp_targetILNS1_3genE4ELNS1_11target_archE910ELNS1_3gpuE8ELNS1_3repE0EEENS1_30default_config_static_selectorELNS0_4arch9wavefront6targetE0EEEvT1_
	.p2align	8
	.type	_ZN7rocprim17ROCPRIM_400000_NS6detail17trampoline_kernelINS0_14default_configENS1_25partition_config_selectorILNS1_17partition_subalgoE6EyNS0_10empty_typeEbEEZZNS1_14partition_implILS5_6ELb0ES3_mN6thrust23THRUST_200600_302600_NS6detail15normal_iteratorINSA_10device_ptrIyEEEEPS6_SG_NS0_5tupleIJSF_S6_EEENSH_IJSG_SG_EEES6_PlJNSB_9not_fun_tINSB_14equal_to_valueIyEEEEEEE10hipError_tPvRmT3_T4_T5_T6_T7_T9_mT8_P12ihipStream_tbDpT10_ENKUlT_T0_E_clISt17integral_constantIbLb1EES17_IbLb0EEEEDaS13_S14_EUlS13_E_NS1_11comp_targetILNS1_3genE4ELNS1_11target_archE910ELNS1_3gpuE8ELNS1_3repE0EEENS1_30default_config_static_selectorELNS0_4arch9wavefront6targetE0EEEvT1_,@function
_ZN7rocprim17ROCPRIM_400000_NS6detail17trampoline_kernelINS0_14default_configENS1_25partition_config_selectorILNS1_17partition_subalgoE6EyNS0_10empty_typeEbEEZZNS1_14partition_implILS5_6ELb0ES3_mN6thrust23THRUST_200600_302600_NS6detail15normal_iteratorINSA_10device_ptrIyEEEEPS6_SG_NS0_5tupleIJSF_S6_EEENSH_IJSG_SG_EEES6_PlJNSB_9not_fun_tINSB_14equal_to_valueIyEEEEEEE10hipError_tPvRmT3_T4_T5_T6_T7_T9_mT8_P12ihipStream_tbDpT10_ENKUlT_T0_E_clISt17integral_constantIbLb1EES17_IbLb0EEEEDaS13_S14_EUlS13_E_NS1_11comp_targetILNS1_3genE4ELNS1_11target_archE910ELNS1_3gpuE8ELNS1_3repE0EEENS1_30default_config_static_selectorELNS0_4arch9wavefront6targetE0EEEvT1_: ; @_ZN7rocprim17ROCPRIM_400000_NS6detail17trampoline_kernelINS0_14default_configENS1_25partition_config_selectorILNS1_17partition_subalgoE6EyNS0_10empty_typeEbEEZZNS1_14partition_implILS5_6ELb0ES3_mN6thrust23THRUST_200600_302600_NS6detail15normal_iteratorINSA_10device_ptrIyEEEEPS6_SG_NS0_5tupleIJSF_S6_EEENSH_IJSG_SG_EEES6_PlJNSB_9not_fun_tINSB_14equal_to_valueIyEEEEEEE10hipError_tPvRmT3_T4_T5_T6_T7_T9_mT8_P12ihipStream_tbDpT10_ENKUlT_T0_E_clISt17integral_constantIbLb1EES17_IbLb0EEEEDaS13_S14_EUlS13_E_NS1_11comp_targetILNS1_3genE4ELNS1_11target_archE910ELNS1_3gpuE8ELNS1_3repE0EEENS1_30default_config_static_selectorELNS0_4arch9wavefront6targetE0EEEvT1_
; %bb.0:
	.section	.rodata,"a",@progbits
	.p2align	6, 0x0
	.amdhsa_kernel _ZN7rocprim17ROCPRIM_400000_NS6detail17trampoline_kernelINS0_14default_configENS1_25partition_config_selectorILNS1_17partition_subalgoE6EyNS0_10empty_typeEbEEZZNS1_14partition_implILS5_6ELb0ES3_mN6thrust23THRUST_200600_302600_NS6detail15normal_iteratorINSA_10device_ptrIyEEEEPS6_SG_NS0_5tupleIJSF_S6_EEENSH_IJSG_SG_EEES6_PlJNSB_9not_fun_tINSB_14equal_to_valueIyEEEEEEE10hipError_tPvRmT3_T4_T5_T6_T7_T9_mT8_P12ihipStream_tbDpT10_ENKUlT_T0_E_clISt17integral_constantIbLb1EES17_IbLb0EEEEDaS13_S14_EUlS13_E_NS1_11comp_targetILNS1_3genE4ELNS1_11target_archE910ELNS1_3gpuE8ELNS1_3repE0EEENS1_30default_config_static_selectorELNS0_4arch9wavefront6targetE0EEEvT1_
		.amdhsa_group_segment_fixed_size 0
		.amdhsa_private_segment_fixed_size 0
		.amdhsa_kernarg_size 120
		.amdhsa_user_sgpr_count 2
		.amdhsa_user_sgpr_dispatch_ptr 0
		.amdhsa_user_sgpr_queue_ptr 0
		.amdhsa_user_sgpr_kernarg_segment_ptr 1
		.amdhsa_user_sgpr_dispatch_id 0
		.amdhsa_user_sgpr_private_segment_size 0
		.amdhsa_wavefront_size32 1
		.amdhsa_uses_dynamic_stack 0
		.amdhsa_enable_private_segment 0
		.amdhsa_system_sgpr_workgroup_id_x 1
		.amdhsa_system_sgpr_workgroup_id_y 0
		.amdhsa_system_sgpr_workgroup_id_z 0
		.amdhsa_system_sgpr_workgroup_info 0
		.amdhsa_system_vgpr_workitem_id 0
		.amdhsa_next_free_vgpr 1
		.amdhsa_next_free_sgpr 1
		.amdhsa_reserve_vcc 0
		.amdhsa_float_round_mode_32 0
		.amdhsa_float_round_mode_16_64 0
		.amdhsa_float_denorm_mode_32 3
		.amdhsa_float_denorm_mode_16_64 3
		.amdhsa_fp16_overflow 0
		.amdhsa_workgroup_processor_mode 1
		.amdhsa_memory_ordered 1
		.amdhsa_forward_progress 1
		.amdhsa_inst_pref_size 0
		.amdhsa_round_robin_scheduling 0
		.amdhsa_exception_fp_ieee_invalid_op 0
		.amdhsa_exception_fp_denorm_src 0
		.amdhsa_exception_fp_ieee_div_zero 0
		.amdhsa_exception_fp_ieee_overflow 0
		.amdhsa_exception_fp_ieee_underflow 0
		.amdhsa_exception_fp_ieee_inexact 0
		.amdhsa_exception_int_div_zero 0
	.end_amdhsa_kernel
	.section	.text._ZN7rocprim17ROCPRIM_400000_NS6detail17trampoline_kernelINS0_14default_configENS1_25partition_config_selectorILNS1_17partition_subalgoE6EyNS0_10empty_typeEbEEZZNS1_14partition_implILS5_6ELb0ES3_mN6thrust23THRUST_200600_302600_NS6detail15normal_iteratorINSA_10device_ptrIyEEEEPS6_SG_NS0_5tupleIJSF_S6_EEENSH_IJSG_SG_EEES6_PlJNSB_9not_fun_tINSB_14equal_to_valueIyEEEEEEE10hipError_tPvRmT3_T4_T5_T6_T7_T9_mT8_P12ihipStream_tbDpT10_ENKUlT_T0_E_clISt17integral_constantIbLb1EES17_IbLb0EEEEDaS13_S14_EUlS13_E_NS1_11comp_targetILNS1_3genE4ELNS1_11target_archE910ELNS1_3gpuE8ELNS1_3repE0EEENS1_30default_config_static_selectorELNS0_4arch9wavefront6targetE0EEEvT1_,"axG",@progbits,_ZN7rocprim17ROCPRIM_400000_NS6detail17trampoline_kernelINS0_14default_configENS1_25partition_config_selectorILNS1_17partition_subalgoE6EyNS0_10empty_typeEbEEZZNS1_14partition_implILS5_6ELb0ES3_mN6thrust23THRUST_200600_302600_NS6detail15normal_iteratorINSA_10device_ptrIyEEEEPS6_SG_NS0_5tupleIJSF_S6_EEENSH_IJSG_SG_EEES6_PlJNSB_9not_fun_tINSB_14equal_to_valueIyEEEEEEE10hipError_tPvRmT3_T4_T5_T6_T7_T9_mT8_P12ihipStream_tbDpT10_ENKUlT_T0_E_clISt17integral_constantIbLb1EES17_IbLb0EEEEDaS13_S14_EUlS13_E_NS1_11comp_targetILNS1_3genE4ELNS1_11target_archE910ELNS1_3gpuE8ELNS1_3repE0EEENS1_30default_config_static_selectorELNS0_4arch9wavefront6targetE0EEEvT1_,comdat
.Lfunc_end359:
	.size	_ZN7rocprim17ROCPRIM_400000_NS6detail17trampoline_kernelINS0_14default_configENS1_25partition_config_selectorILNS1_17partition_subalgoE6EyNS0_10empty_typeEbEEZZNS1_14partition_implILS5_6ELb0ES3_mN6thrust23THRUST_200600_302600_NS6detail15normal_iteratorINSA_10device_ptrIyEEEEPS6_SG_NS0_5tupleIJSF_S6_EEENSH_IJSG_SG_EEES6_PlJNSB_9not_fun_tINSB_14equal_to_valueIyEEEEEEE10hipError_tPvRmT3_T4_T5_T6_T7_T9_mT8_P12ihipStream_tbDpT10_ENKUlT_T0_E_clISt17integral_constantIbLb1EES17_IbLb0EEEEDaS13_S14_EUlS13_E_NS1_11comp_targetILNS1_3genE4ELNS1_11target_archE910ELNS1_3gpuE8ELNS1_3repE0EEENS1_30default_config_static_selectorELNS0_4arch9wavefront6targetE0EEEvT1_, .Lfunc_end359-_ZN7rocprim17ROCPRIM_400000_NS6detail17trampoline_kernelINS0_14default_configENS1_25partition_config_selectorILNS1_17partition_subalgoE6EyNS0_10empty_typeEbEEZZNS1_14partition_implILS5_6ELb0ES3_mN6thrust23THRUST_200600_302600_NS6detail15normal_iteratorINSA_10device_ptrIyEEEEPS6_SG_NS0_5tupleIJSF_S6_EEENSH_IJSG_SG_EEES6_PlJNSB_9not_fun_tINSB_14equal_to_valueIyEEEEEEE10hipError_tPvRmT3_T4_T5_T6_T7_T9_mT8_P12ihipStream_tbDpT10_ENKUlT_T0_E_clISt17integral_constantIbLb1EES17_IbLb0EEEEDaS13_S14_EUlS13_E_NS1_11comp_targetILNS1_3genE4ELNS1_11target_archE910ELNS1_3gpuE8ELNS1_3repE0EEENS1_30default_config_static_selectorELNS0_4arch9wavefront6targetE0EEEvT1_
                                        ; -- End function
	.set _ZN7rocprim17ROCPRIM_400000_NS6detail17trampoline_kernelINS0_14default_configENS1_25partition_config_selectorILNS1_17partition_subalgoE6EyNS0_10empty_typeEbEEZZNS1_14partition_implILS5_6ELb0ES3_mN6thrust23THRUST_200600_302600_NS6detail15normal_iteratorINSA_10device_ptrIyEEEEPS6_SG_NS0_5tupleIJSF_S6_EEENSH_IJSG_SG_EEES6_PlJNSB_9not_fun_tINSB_14equal_to_valueIyEEEEEEE10hipError_tPvRmT3_T4_T5_T6_T7_T9_mT8_P12ihipStream_tbDpT10_ENKUlT_T0_E_clISt17integral_constantIbLb1EES17_IbLb0EEEEDaS13_S14_EUlS13_E_NS1_11comp_targetILNS1_3genE4ELNS1_11target_archE910ELNS1_3gpuE8ELNS1_3repE0EEENS1_30default_config_static_selectorELNS0_4arch9wavefront6targetE0EEEvT1_.num_vgpr, 0
	.set _ZN7rocprim17ROCPRIM_400000_NS6detail17trampoline_kernelINS0_14default_configENS1_25partition_config_selectorILNS1_17partition_subalgoE6EyNS0_10empty_typeEbEEZZNS1_14partition_implILS5_6ELb0ES3_mN6thrust23THRUST_200600_302600_NS6detail15normal_iteratorINSA_10device_ptrIyEEEEPS6_SG_NS0_5tupleIJSF_S6_EEENSH_IJSG_SG_EEES6_PlJNSB_9not_fun_tINSB_14equal_to_valueIyEEEEEEE10hipError_tPvRmT3_T4_T5_T6_T7_T9_mT8_P12ihipStream_tbDpT10_ENKUlT_T0_E_clISt17integral_constantIbLb1EES17_IbLb0EEEEDaS13_S14_EUlS13_E_NS1_11comp_targetILNS1_3genE4ELNS1_11target_archE910ELNS1_3gpuE8ELNS1_3repE0EEENS1_30default_config_static_selectorELNS0_4arch9wavefront6targetE0EEEvT1_.num_agpr, 0
	.set _ZN7rocprim17ROCPRIM_400000_NS6detail17trampoline_kernelINS0_14default_configENS1_25partition_config_selectorILNS1_17partition_subalgoE6EyNS0_10empty_typeEbEEZZNS1_14partition_implILS5_6ELb0ES3_mN6thrust23THRUST_200600_302600_NS6detail15normal_iteratorINSA_10device_ptrIyEEEEPS6_SG_NS0_5tupleIJSF_S6_EEENSH_IJSG_SG_EEES6_PlJNSB_9not_fun_tINSB_14equal_to_valueIyEEEEEEE10hipError_tPvRmT3_T4_T5_T6_T7_T9_mT8_P12ihipStream_tbDpT10_ENKUlT_T0_E_clISt17integral_constantIbLb1EES17_IbLb0EEEEDaS13_S14_EUlS13_E_NS1_11comp_targetILNS1_3genE4ELNS1_11target_archE910ELNS1_3gpuE8ELNS1_3repE0EEENS1_30default_config_static_selectorELNS0_4arch9wavefront6targetE0EEEvT1_.numbered_sgpr, 0
	.set _ZN7rocprim17ROCPRIM_400000_NS6detail17trampoline_kernelINS0_14default_configENS1_25partition_config_selectorILNS1_17partition_subalgoE6EyNS0_10empty_typeEbEEZZNS1_14partition_implILS5_6ELb0ES3_mN6thrust23THRUST_200600_302600_NS6detail15normal_iteratorINSA_10device_ptrIyEEEEPS6_SG_NS0_5tupleIJSF_S6_EEENSH_IJSG_SG_EEES6_PlJNSB_9not_fun_tINSB_14equal_to_valueIyEEEEEEE10hipError_tPvRmT3_T4_T5_T6_T7_T9_mT8_P12ihipStream_tbDpT10_ENKUlT_T0_E_clISt17integral_constantIbLb1EES17_IbLb0EEEEDaS13_S14_EUlS13_E_NS1_11comp_targetILNS1_3genE4ELNS1_11target_archE910ELNS1_3gpuE8ELNS1_3repE0EEENS1_30default_config_static_selectorELNS0_4arch9wavefront6targetE0EEEvT1_.num_named_barrier, 0
	.set _ZN7rocprim17ROCPRIM_400000_NS6detail17trampoline_kernelINS0_14default_configENS1_25partition_config_selectorILNS1_17partition_subalgoE6EyNS0_10empty_typeEbEEZZNS1_14partition_implILS5_6ELb0ES3_mN6thrust23THRUST_200600_302600_NS6detail15normal_iteratorINSA_10device_ptrIyEEEEPS6_SG_NS0_5tupleIJSF_S6_EEENSH_IJSG_SG_EEES6_PlJNSB_9not_fun_tINSB_14equal_to_valueIyEEEEEEE10hipError_tPvRmT3_T4_T5_T6_T7_T9_mT8_P12ihipStream_tbDpT10_ENKUlT_T0_E_clISt17integral_constantIbLb1EES17_IbLb0EEEEDaS13_S14_EUlS13_E_NS1_11comp_targetILNS1_3genE4ELNS1_11target_archE910ELNS1_3gpuE8ELNS1_3repE0EEENS1_30default_config_static_selectorELNS0_4arch9wavefront6targetE0EEEvT1_.private_seg_size, 0
	.set _ZN7rocprim17ROCPRIM_400000_NS6detail17trampoline_kernelINS0_14default_configENS1_25partition_config_selectorILNS1_17partition_subalgoE6EyNS0_10empty_typeEbEEZZNS1_14partition_implILS5_6ELb0ES3_mN6thrust23THRUST_200600_302600_NS6detail15normal_iteratorINSA_10device_ptrIyEEEEPS6_SG_NS0_5tupleIJSF_S6_EEENSH_IJSG_SG_EEES6_PlJNSB_9not_fun_tINSB_14equal_to_valueIyEEEEEEE10hipError_tPvRmT3_T4_T5_T6_T7_T9_mT8_P12ihipStream_tbDpT10_ENKUlT_T0_E_clISt17integral_constantIbLb1EES17_IbLb0EEEEDaS13_S14_EUlS13_E_NS1_11comp_targetILNS1_3genE4ELNS1_11target_archE910ELNS1_3gpuE8ELNS1_3repE0EEENS1_30default_config_static_selectorELNS0_4arch9wavefront6targetE0EEEvT1_.uses_vcc, 0
	.set _ZN7rocprim17ROCPRIM_400000_NS6detail17trampoline_kernelINS0_14default_configENS1_25partition_config_selectorILNS1_17partition_subalgoE6EyNS0_10empty_typeEbEEZZNS1_14partition_implILS5_6ELb0ES3_mN6thrust23THRUST_200600_302600_NS6detail15normal_iteratorINSA_10device_ptrIyEEEEPS6_SG_NS0_5tupleIJSF_S6_EEENSH_IJSG_SG_EEES6_PlJNSB_9not_fun_tINSB_14equal_to_valueIyEEEEEEE10hipError_tPvRmT3_T4_T5_T6_T7_T9_mT8_P12ihipStream_tbDpT10_ENKUlT_T0_E_clISt17integral_constantIbLb1EES17_IbLb0EEEEDaS13_S14_EUlS13_E_NS1_11comp_targetILNS1_3genE4ELNS1_11target_archE910ELNS1_3gpuE8ELNS1_3repE0EEENS1_30default_config_static_selectorELNS0_4arch9wavefront6targetE0EEEvT1_.uses_flat_scratch, 0
	.set _ZN7rocprim17ROCPRIM_400000_NS6detail17trampoline_kernelINS0_14default_configENS1_25partition_config_selectorILNS1_17partition_subalgoE6EyNS0_10empty_typeEbEEZZNS1_14partition_implILS5_6ELb0ES3_mN6thrust23THRUST_200600_302600_NS6detail15normal_iteratorINSA_10device_ptrIyEEEEPS6_SG_NS0_5tupleIJSF_S6_EEENSH_IJSG_SG_EEES6_PlJNSB_9not_fun_tINSB_14equal_to_valueIyEEEEEEE10hipError_tPvRmT3_T4_T5_T6_T7_T9_mT8_P12ihipStream_tbDpT10_ENKUlT_T0_E_clISt17integral_constantIbLb1EES17_IbLb0EEEEDaS13_S14_EUlS13_E_NS1_11comp_targetILNS1_3genE4ELNS1_11target_archE910ELNS1_3gpuE8ELNS1_3repE0EEENS1_30default_config_static_selectorELNS0_4arch9wavefront6targetE0EEEvT1_.has_dyn_sized_stack, 0
	.set _ZN7rocprim17ROCPRIM_400000_NS6detail17trampoline_kernelINS0_14default_configENS1_25partition_config_selectorILNS1_17partition_subalgoE6EyNS0_10empty_typeEbEEZZNS1_14partition_implILS5_6ELb0ES3_mN6thrust23THRUST_200600_302600_NS6detail15normal_iteratorINSA_10device_ptrIyEEEEPS6_SG_NS0_5tupleIJSF_S6_EEENSH_IJSG_SG_EEES6_PlJNSB_9not_fun_tINSB_14equal_to_valueIyEEEEEEE10hipError_tPvRmT3_T4_T5_T6_T7_T9_mT8_P12ihipStream_tbDpT10_ENKUlT_T0_E_clISt17integral_constantIbLb1EES17_IbLb0EEEEDaS13_S14_EUlS13_E_NS1_11comp_targetILNS1_3genE4ELNS1_11target_archE910ELNS1_3gpuE8ELNS1_3repE0EEENS1_30default_config_static_selectorELNS0_4arch9wavefront6targetE0EEEvT1_.has_recursion, 0
	.set _ZN7rocprim17ROCPRIM_400000_NS6detail17trampoline_kernelINS0_14default_configENS1_25partition_config_selectorILNS1_17partition_subalgoE6EyNS0_10empty_typeEbEEZZNS1_14partition_implILS5_6ELb0ES3_mN6thrust23THRUST_200600_302600_NS6detail15normal_iteratorINSA_10device_ptrIyEEEEPS6_SG_NS0_5tupleIJSF_S6_EEENSH_IJSG_SG_EEES6_PlJNSB_9not_fun_tINSB_14equal_to_valueIyEEEEEEE10hipError_tPvRmT3_T4_T5_T6_T7_T9_mT8_P12ihipStream_tbDpT10_ENKUlT_T0_E_clISt17integral_constantIbLb1EES17_IbLb0EEEEDaS13_S14_EUlS13_E_NS1_11comp_targetILNS1_3genE4ELNS1_11target_archE910ELNS1_3gpuE8ELNS1_3repE0EEENS1_30default_config_static_selectorELNS0_4arch9wavefront6targetE0EEEvT1_.has_indirect_call, 0
	.section	.AMDGPU.csdata,"",@progbits
; Kernel info:
; codeLenInByte = 0
; TotalNumSgprs: 0
; NumVgprs: 0
; ScratchSize: 0
; MemoryBound: 0
; FloatMode: 240
; IeeeMode: 1
; LDSByteSize: 0 bytes/workgroup (compile time only)
; SGPRBlocks: 0
; VGPRBlocks: 0
; NumSGPRsForWavesPerEU: 1
; NumVGPRsForWavesPerEU: 1
; Occupancy: 16
; WaveLimiterHint : 0
; COMPUTE_PGM_RSRC2:SCRATCH_EN: 0
; COMPUTE_PGM_RSRC2:USER_SGPR: 2
; COMPUTE_PGM_RSRC2:TRAP_HANDLER: 0
; COMPUTE_PGM_RSRC2:TGID_X_EN: 1
; COMPUTE_PGM_RSRC2:TGID_Y_EN: 0
; COMPUTE_PGM_RSRC2:TGID_Z_EN: 0
; COMPUTE_PGM_RSRC2:TIDIG_COMP_CNT: 0
	.section	.text._ZN7rocprim17ROCPRIM_400000_NS6detail17trampoline_kernelINS0_14default_configENS1_25partition_config_selectorILNS1_17partition_subalgoE6EyNS0_10empty_typeEbEEZZNS1_14partition_implILS5_6ELb0ES3_mN6thrust23THRUST_200600_302600_NS6detail15normal_iteratorINSA_10device_ptrIyEEEEPS6_SG_NS0_5tupleIJSF_S6_EEENSH_IJSG_SG_EEES6_PlJNSB_9not_fun_tINSB_14equal_to_valueIyEEEEEEE10hipError_tPvRmT3_T4_T5_T6_T7_T9_mT8_P12ihipStream_tbDpT10_ENKUlT_T0_E_clISt17integral_constantIbLb1EES17_IbLb0EEEEDaS13_S14_EUlS13_E_NS1_11comp_targetILNS1_3genE3ELNS1_11target_archE908ELNS1_3gpuE7ELNS1_3repE0EEENS1_30default_config_static_selectorELNS0_4arch9wavefront6targetE0EEEvT1_,"axG",@progbits,_ZN7rocprim17ROCPRIM_400000_NS6detail17trampoline_kernelINS0_14default_configENS1_25partition_config_selectorILNS1_17partition_subalgoE6EyNS0_10empty_typeEbEEZZNS1_14partition_implILS5_6ELb0ES3_mN6thrust23THRUST_200600_302600_NS6detail15normal_iteratorINSA_10device_ptrIyEEEEPS6_SG_NS0_5tupleIJSF_S6_EEENSH_IJSG_SG_EEES6_PlJNSB_9not_fun_tINSB_14equal_to_valueIyEEEEEEE10hipError_tPvRmT3_T4_T5_T6_T7_T9_mT8_P12ihipStream_tbDpT10_ENKUlT_T0_E_clISt17integral_constantIbLb1EES17_IbLb0EEEEDaS13_S14_EUlS13_E_NS1_11comp_targetILNS1_3genE3ELNS1_11target_archE908ELNS1_3gpuE7ELNS1_3repE0EEENS1_30default_config_static_selectorELNS0_4arch9wavefront6targetE0EEEvT1_,comdat
	.protected	_ZN7rocprim17ROCPRIM_400000_NS6detail17trampoline_kernelINS0_14default_configENS1_25partition_config_selectorILNS1_17partition_subalgoE6EyNS0_10empty_typeEbEEZZNS1_14partition_implILS5_6ELb0ES3_mN6thrust23THRUST_200600_302600_NS6detail15normal_iteratorINSA_10device_ptrIyEEEEPS6_SG_NS0_5tupleIJSF_S6_EEENSH_IJSG_SG_EEES6_PlJNSB_9not_fun_tINSB_14equal_to_valueIyEEEEEEE10hipError_tPvRmT3_T4_T5_T6_T7_T9_mT8_P12ihipStream_tbDpT10_ENKUlT_T0_E_clISt17integral_constantIbLb1EES17_IbLb0EEEEDaS13_S14_EUlS13_E_NS1_11comp_targetILNS1_3genE3ELNS1_11target_archE908ELNS1_3gpuE7ELNS1_3repE0EEENS1_30default_config_static_selectorELNS0_4arch9wavefront6targetE0EEEvT1_ ; -- Begin function _ZN7rocprim17ROCPRIM_400000_NS6detail17trampoline_kernelINS0_14default_configENS1_25partition_config_selectorILNS1_17partition_subalgoE6EyNS0_10empty_typeEbEEZZNS1_14partition_implILS5_6ELb0ES3_mN6thrust23THRUST_200600_302600_NS6detail15normal_iteratorINSA_10device_ptrIyEEEEPS6_SG_NS0_5tupleIJSF_S6_EEENSH_IJSG_SG_EEES6_PlJNSB_9not_fun_tINSB_14equal_to_valueIyEEEEEEE10hipError_tPvRmT3_T4_T5_T6_T7_T9_mT8_P12ihipStream_tbDpT10_ENKUlT_T0_E_clISt17integral_constantIbLb1EES17_IbLb0EEEEDaS13_S14_EUlS13_E_NS1_11comp_targetILNS1_3genE3ELNS1_11target_archE908ELNS1_3gpuE7ELNS1_3repE0EEENS1_30default_config_static_selectorELNS0_4arch9wavefront6targetE0EEEvT1_
	.globl	_ZN7rocprim17ROCPRIM_400000_NS6detail17trampoline_kernelINS0_14default_configENS1_25partition_config_selectorILNS1_17partition_subalgoE6EyNS0_10empty_typeEbEEZZNS1_14partition_implILS5_6ELb0ES3_mN6thrust23THRUST_200600_302600_NS6detail15normal_iteratorINSA_10device_ptrIyEEEEPS6_SG_NS0_5tupleIJSF_S6_EEENSH_IJSG_SG_EEES6_PlJNSB_9not_fun_tINSB_14equal_to_valueIyEEEEEEE10hipError_tPvRmT3_T4_T5_T6_T7_T9_mT8_P12ihipStream_tbDpT10_ENKUlT_T0_E_clISt17integral_constantIbLb1EES17_IbLb0EEEEDaS13_S14_EUlS13_E_NS1_11comp_targetILNS1_3genE3ELNS1_11target_archE908ELNS1_3gpuE7ELNS1_3repE0EEENS1_30default_config_static_selectorELNS0_4arch9wavefront6targetE0EEEvT1_
	.p2align	8
	.type	_ZN7rocprim17ROCPRIM_400000_NS6detail17trampoline_kernelINS0_14default_configENS1_25partition_config_selectorILNS1_17partition_subalgoE6EyNS0_10empty_typeEbEEZZNS1_14partition_implILS5_6ELb0ES3_mN6thrust23THRUST_200600_302600_NS6detail15normal_iteratorINSA_10device_ptrIyEEEEPS6_SG_NS0_5tupleIJSF_S6_EEENSH_IJSG_SG_EEES6_PlJNSB_9not_fun_tINSB_14equal_to_valueIyEEEEEEE10hipError_tPvRmT3_T4_T5_T6_T7_T9_mT8_P12ihipStream_tbDpT10_ENKUlT_T0_E_clISt17integral_constantIbLb1EES17_IbLb0EEEEDaS13_S14_EUlS13_E_NS1_11comp_targetILNS1_3genE3ELNS1_11target_archE908ELNS1_3gpuE7ELNS1_3repE0EEENS1_30default_config_static_selectorELNS0_4arch9wavefront6targetE0EEEvT1_,@function
_ZN7rocprim17ROCPRIM_400000_NS6detail17trampoline_kernelINS0_14default_configENS1_25partition_config_selectorILNS1_17partition_subalgoE6EyNS0_10empty_typeEbEEZZNS1_14partition_implILS5_6ELb0ES3_mN6thrust23THRUST_200600_302600_NS6detail15normal_iteratorINSA_10device_ptrIyEEEEPS6_SG_NS0_5tupleIJSF_S6_EEENSH_IJSG_SG_EEES6_PlJNSB_9not_fun_tINSB_14equal_to_valueIyEEEEEEE10hipError_tPvRmT3_T4_T5_T6_T7_T9_mT8_P12ihipStream_tbDpT10_ENKUlT_T0_E_clISt17integral_constantIbLb1EES17_IbLb0EEEEDaS13_S14_EUlS13_E_NS1_11comp_targetILNS1_3genE3ELNS1_11target_archE908ELNS1_3gpuE7ELNS1_3repE0EEENS1_30default_config_static_selectorELNS0_4arch9wavefront6targetE0EEEvT1_: ; @_ZN7rocprim17ROCPRIM_400000_NS6detail17trampoline_kernelINS0_14default_configENS1_25partition_config_selectorILNS1_17partition_subalgoE6EyNS0_10empty_typeEbEEZZNS1_14partition_implILS5_6ELb0ES3_mN6thrust23THRUST_200600_302600_NS6detail15normal_iteratorINSA_10device_ptrIyEEEEPS6_SG_NS0_5tupleIJSF_S6_EEENSH_IJSG_SG_EEES6_PlJNSB_9not_fun_tINSB_14equal_to_valueIyEEEEEEE10hipError_tPvRmT3_T4_T5_T6_T7_T9_mT8_P12ihipStream_tbDpT10_ENKUlT_T0_E_clISt17integral_constantIbLb1EES17_IbLb0EEEEDaS13_S14_EUlS13_E_NS1_11comp_targetILNS1_3genE3ELNS1_11target_archE908ELNS1_3gpuE7ELNS1_3repE0EEENS1_30default_config_static_selectorELNS0_4arch9wavefront6targetE0EEEvT1_
; %bb.0:
	.section	.rodata,"a",@progbits
	.p2align	6, 0x0
	.amdhsa_kernel _ZN7rocprim17ROCPRIM_400000_NS6detail17trampoline_kernelINS0_14default_configENS1_25partition_config_selectorILNS1_17partition_subalgoE6EyNS0_10empty_typeEbEEZZNS1_14partition_implILS5_6ELb0ES3_mN6thrust23THRUST_200600_302600_NS6detail15normal_iteratorINSA_10device_ptrIyEEEEPS6_SG_NS0_5tupleIJSF_S6_EEENSH_IJSG_SG_EEES6_PlJNSB_9not_fun_tINSB_14equal_to_valueIyEEEEEEE10hipError_tPvRmT3_T4_T5_T6_T7_T9_mT8_P12ihipStream_tbDpT10_ENKUlT_T0_E_clISt17integral_constantIbLb1EES17_IbLb0EEEEDaS13_S14_EUlS13_E_NS1_11comp_targetILNS1_3genE3ELNS1_11target_archE908ELNS1_3gpuE7ELNS1_3repE0EEENS1_30default_config_static_selectorELNS0_4arch9wavefront6targetE0EEEvT1_
		.amdhsa_group_segment_fixed_size 0
		.amdhsa_private_segment_fixed_size 0
		.amdhsa_kernarg_size 120
		.amdhsa_user_sgpr_count 2
		.amdhsa_user_sgpr_dispatch_ptr 0
		.amdhsa_user_sgpr_queue_ptr 0
		.amdhsa_user_sgpr_kernarg_segment_ptr 1
		.amdhsa_user_sgpr_dispatch_id 0
		.amdhsa_user_sgpr_private_segment_size 0
		.amdhsa_wavefront_size32 1
		.amdhsa_uses_dynamic_stack 0
		.amdhsa_enable_private_segment 0
		.amdhsa_system_sgpr_workgroup_id_x 1
		.amdhsa_system_sgpr_workgroup_id_y 0
		.amdhsa_system_sgpr_workgroup_id_z 0
		.amdhsa_system_sgpr_workgroup_info 0
		.amdhsa_system_vgpr_workitem_id 0
		.amdhsa_next_free_vgpr 1
		.amdhsa_next_free_sgpr 1
		.amdhsa_reserve_vcc 0
		.amdhsa_float_round_mode_32 0
		.amdhsa_float_round_mode_16_64 0
		.amdhsa_float_denorm_mode_32 3
		.amdhsa_float_denorm_mode_16_64 3
		.amdhsa_fp16_overflow 0
		.amdhsa_workgroup_processor_mode 1
		.amdhsa_memory_ordered 1
		.amdhsa_forward_progress 1
		.amdhsa_inst_pref_size 0
		.amdhsa_round_robin_scheduling 0
		.amdhsa_exception_fp_ieee_invalid_op 0
		.amdhsa_exception_fp_denorm_src 0
		.amdhsa_exception_fp_ieee_div_zero 0
		.amdhsa_exception_fp_ieee_overflow 0
		.amdhsa_exception_fp_ieee_underflow 0
		.amdhsa_exception_fp_ieee_inexact 0
		.amdhsa_exception_int_div_zero 0
	.end_amdhsa_kernel
	.section	.text._ZN7rocprim17ROCPRIM_400000_NS6detail17trampoline_kernelINS0_14default_configENS1_25partition_config_selectorILNS1_17partition_subalgoE6EyNS0_10empty_typeEbEEZZNS1_14partition_implILS5_6ELb0ES3_mN6thrust23THRUST_200600_302600_NS6detail15normal_iteratorINSA_10device_ptrIyEEEEPS6_SG_NS0_5tupleIJSF_S6_EEENSH_IJSG_SG_EEES6_PlJNSB_9not_fun_tINSB_14equal_to_valueIyEEEEEEE10hipError_tPvRmT3_T4_T5_T6_T7_T9_mT8_P12ihipStream_tbDpT10_ENKUlT_T0_E_clISt17integral_constantIbLb1EES17_IbLb0EEEEDaS13_S14_EUlS13_E_NS1_11comp_targetILNS1_3genE3ELNS1_11target_archE908ELNS1_3gpuE7ELNS1_3repE0EEENS1_30default_config_static_selectorELNS0_4arch9wavefront6targetE0EEEvT1_,"axG",@progbits,_ZN7rocprim17ROCPRIM_400000_NS6detail17trampoline_kernelINS0_14default_configENS1_25partition_config_selectorILNS1_17partition_subalgoE6EyNS0_10empty_typeEbEEZZNS1_14partition_implILS5_6ELb0ES3_mN6thrust23THRUST_200600_302600_NS6detail15normal_iteratorINSA_10device_ptrIyEEEEPS6_SG_NS0_5tupleIJSF_S6_EEENSH_IJSG_SG_EEES6_PlJNSB_9not_fun_tINSB_14equal_to_valueIyEEEEEEE10hipError_tPvRmT3_T4_T5_T6_T7_T9_mT8_P12ihipStream_tbDpT10_ENKUlT_T0_E_clISt17integral_constantIbLb1EES17_IbLb0EEEEDaS13_S14_EUlS13_E_NS1_11comp_targetILNS1_3genE3ELNS1_11target_archE908ELNS1_3gpuE7ELNS1_3repE0EEENS1_30default_config_static_selectorELNS0_4arch9wavefront6targetE0EEEvT1_,comdat
.Lfunc_end360:
	.size	_ZN7rocprim17ROCPRIM_400000_NS6detail17trampoline_kernelINS0_14default_configENS1_25partition_config_selectorILNS1_17partition_subalgoE6EyNS0_10empty_typeEbEEZZNS1_14partition_implILS5_6ELb0ES3_mN6thrust23THRUST_200600_302600_NS6detail15normal_iteratorINSA_10device_ptrIyEEEEPS6_SG_NS0_5tupleIJSF_S6_EEENSH_IJSG_SG_EEES6_PlJNSB_9not_fun_tINSB_14equal_to_valueIyEEEEEEE10hipError_tPvRmT3_T4_T5_T6_T7_T9_mT8_P12ihipStream_tbDpT10_ENKUlT_T0_E_clISt17integral_constantIbLb1EES17_IbLb0EEEEDaS13_S14_EUlS13_E_NS1_11comp_targetILNS1_3genE3ELNS1_11target_archE908ELNS1_3gpuE7ELNS1_3repE0EEENS1_30default_config_static_selectorELNS0_4arch9wavefront6targetE0EEEvT1_, .Lfunc_end360-_ZN7rocprim17ROCPRIM_400000_NS6detail17trampoline_kernelINS0_14default_configENS1_25partition_config_selectorILNS1_17partition_subalgoE6EyNS0_10empty_typeEbEEZZNS1_14partition_implILS5_6ELb0ES3_mN6thrust23THRUST_200600_302600_NS6detail15normal_iteratorINSA_10device_ptrIyEEEEPS6_SG_NS0_5tupleIJSF_S6_EEENSH_IJSG_SG_EEES6_PlJNSB_9not_fun_tINSB_14equal_to_valueIyEEEEEEE10hipError_tPvRmT3_T4_T5_T6_T7_T9_mT8_P12ihipStream_tbDpT10_ENKUlT_T0_E_clISt17integral_constantIbLb1EES17_IbLb0EEEEDaS13_S14_EUlS13_E_NS1_11comp_targetILNS1_3genE3ELNS1_11target_archE908ELNS1_3gpuE7ELNS1_3repE0EEENS1_30default_config_static_selectorELNS0_4arch9wavefront6targetE0EEEvT1_
                                        ; -- End function
	.set _ZN7rocprim17ROCPRIM_400000_NS6detail17trampoline_kernelINS0_14default_configENS1_25partition_config_selectorILNS1_17partition_subalgoE6EyNS0_10empty_typeEbEEZZNS1_14partition_implILS5_6ELb0ES3_mN6thrust23THRUST_200600_302600_NS6detail15normal_iteratorINSA_10device_ptrIyEEEEPS6_SG_NS0_5tupleIJSF_S6_EEENSH_IJSG_SG_EEES6_PlJNSB_9not_fun_tINSB_14equal_to_valueIyEEEEEEE10hipError_tPvRmT3_T4_T5_T6_T7_T9_mT8_P12ihipStream_tbDpT10_ENKUlT_T0_E_clISt17integral_constantIbLb1EES17_IbLb0EEEEDaS13_S14_EUlS13_E_NS1_11comp_targetILNS1_3genE3ELNS1_11target_archE908ELNS1_3gpuE7ELNS1_3repE0EEENS1_30default_config_static_selectorELNS0_4arch9wavefront6targetE0EEEvT1_.num_vgpr, 0
	.set _ZN7rocprim17ROCPRIM_400000_NS6detail17trampoline_kernelINS0_14default_configENS1_25partition_config_selectorILNS1_17partition_subalgoE6EyNS0_10empty_typeEbEEZZNS1_14partition_implILS5_6ELb0ES3_mN6thrust23THRUST_200600_302600_NS6detail15normal_iteratorINSA_10device_ptrIyEEEEPS6_SG_NS0_5tupleIJSF_S6_EEENSH_IJSG_SG_EEES6_PlJNSB_9not_fun_tINSB_14equal_to_valueIyEEEEEEE10hipError_tPvRmT3_T4_T5_T6_T7_T9_mT8_P12ihipStream_tbDpT10_ENKUlT_T0_E_clISt17integral_constantIbLb1EES17_IbLb0EEEEDaS13_S14_EUlS13_E_NS1_11comp_targetILNS1_3genE3ELNS1_11target_archE908ELNS1_3gpuE7ELNS1_3repE0EEENS1_30default_config_static_selectorELNS0_4arch9wavefront6targetE0EEEvT1_.num_agpr, 0
	.set _ZN7rocprim17ROCPRIM_400000_NS6detail17trampoline_kernelINS0_14default_configENS1_25partition_config_selectorILNS1_17partition_subalgoE6EyNS0_10empty_typeEbEEZZNS1_14partition_implILS5_6ELb0ES3_mN6thrust23THRUST_200600_302600_NS6detail15normal_iteratorINSA_10device_ptrIyEEEEPS6_SG_NS0_5tupleIJSF_S6_EEENSH_IJSG_SG_EEES6_PlJNSB_9not_fun_tINSB_14equal_to_valueIyEEEEEEE10hipError_tPvRmT3_T4_T5_T6_T7_T9_mT8_P12ihipStream_tbDpT10_ENKUlT_T0_E_clISt17integral_constantIbLb1EES17_IbLb0EEEEDaS13_S14_EUlS13_E_NS1_11comp_targetILNS1_3genE3ELNS1_11target_archE908ELNS1_3gpuE7ELNS1_3repE0EEENS1_30default_config_static_selectorELNS0_4arch9wavefront6targetE0EEEvT1_.numbered_sgpr, 0
	.set _ZN7rocprim17ROCPRIM_400000_NS6detail17trampoline_kernelINS0_14default_configENS1_25partition_config_selectorILNS1_17partition_subalgoE6EyNS0_10empty_typeEbEEZZNS1_14partition_implILS5_6ELb0ES3_mN6thrust23THRUST_200600_302600_NS6detail15normal_iteratorINSA_10device_ptrIyEEEEPS6_SG_NS0_5tupleIJSF_S6_EEENSH_IJSG_SG_EEES6_PlJNSB_9not_fun_tINSB_14equal_to_valueIyEEEEEEE10hipError_tPvRmT3_T4_T5_T6_T7_T9_mT8_P12ihipStream_tbDpT10_ENKUlT_T0_E_clISt17integral_constantIbLb1EES17_IbLb0EEEEDaS13_S14_EUlS13_E_NS1_11comp_targetILNS1_3genE3ELNS1_11target_archE908ELNS1_3gpuE7ELNS1_3repE0EEENS1_30default_config_static_selectorELNS0_4arch9wavefront6targetE0EEEvT1_.num_named_barrier, 0
	.set _ZN7rocprim17ROCPRIM_400000_NS6detail17trampoline_kernelINS0_14default_configENS1_25partition_config_selectorILNS1_17partition_subalgoE6EyNS0_10empty_typeEbEEZZNS1_14partition_implILS5_6ELb0ES3_mN6thrust23THRUST_200600_302600_NS6detail15normal_iteratorINSA_10device_ptrIyEEEEPS6_SG_NS0_5tupleIJSF_S6_EEENSH_IJSG_SG_EEES6_PlJNSB_9not_fun_tINSB_14equal_to_valueIyEEEEEEE10hipError_tPvRmT3_T4_T5_T6_T7_T9_mT8_P12ihipStream_tbDpT10_ENKUlT_T0_E_clISt17integral_constantIbLb1EES17_IbLb0EEEEDaS13_S14_EUlS13_E_NS1_11comp_targetILNS1_3genE3ELNS1_11target_archE908ELNS1_3gpuE7ELNS1_3repE0EEENS1_30default_config_static_selectorELNS0_4arch9wavefront6targetE0EEEvT1_.private_seg_size, 0
	.set _ZN7rocprim17ROCPRIM_400000_NS6detail17trampoline_kernelINS0_14default_configENS1_25partition_config_selectorILNS1_17partition_subalgoE6EyNS0_10empty_typeEbEEZZNS1_14partition_implILS5_6ELb0ES3_mN6thrust23THRUST_200600_302600_NS6detail15normal_iteratorINSA_10device_ptrIyEEEEPS6_SG_NS0_5tupleIJSF_S6_EEENSH_IJSG_SG_EEES6_PlJNSB_9not_fun_tINSB_14equal_to_valueIyEEEEEEE10hipError_tPvRmT3_T4_T5_T6_T7_T9_mT8_P12ihipStream_tbDpT10_ENKUlT_T0_E_clISt17integral_constantIbLb1EES17_IbLb0EEEEDaS13_S14_EUlS13_E_NS1_11comp_targetILNS1_3genE3ELNS1_11target_archE908ELNS1_3gpuE7ELNS1_3repE0EEENS1_30default_config_static_selectorELNS0_4arch9wavefront6targetE0EEEvT1_.uses_vcc, 0
	.set _ZN7rocprim17ROCPRIM_400000_NS6detail17trampoline_kernelINS0_14default_configENS1_25partition_config_selectorILNS1_17partition_subalgoE6EyNS0_10empty_typeEbEEZZNS1_14partition_implILS5_6ELb0ES3_mN6thrust23THRUST_200600_302600_NS6detail15normal_iteratorINSA_10device_ptrIyEEEEPS6_SG_NS0_5tupleIJSF_S6_EEENSH_IJSG_SG_EEES6_PlJNSB_9not_fun_tINSB_14equal_to_valueIyEEEEEEE10hipError_tPvRmT3_T4_T5_T6_T7_T9_mT8_P12ihipStream_tbDpT10_ENKUlT_T0_E_clISt17integral_constantIbLb1EES17_IbLb0EEEEDaS13_S14_EUlS13_E_NS1_11comp_targetILNS1_3genE3ELNS1_11target_archE908ELNS1_3gpuE7ELNS1_3repE0EEENS1_30default_config_static_selectorELNS0_4arch9wavefront6targetE0EEEvT1_.uses_flat_scratch, 0
	.set _ZN7rocprim17ROCPRIM_400000_NS6detail17trampoline_kernelINS0_14default_configENS1_25partition_config_selectorILNS1_17partition_subalgoE6EyNS0_10empty_typeEbEEZZNS1_14partition_implILS5_6ELb0ES3_mN6thrust23THRUST_200600_302600_NS6detail15normal_iteratorINSA_10device_ptrIyEEEEPS6_SG_NS0_5tupleIJSF_S6_EEENSH_IJSG_SG_EEES6_PlJNSB_9not_fun_tINSB_14equal_to_valueIyEEEEEEE10hipError_tPvRmT3_T4_T5_T6_T7_T9_mT8_P12ihipStream_tbDpT10_ENKUlT_T0_E_clISt17integral_constantIbLb1EES17_IbLb0EEEEDaS13_S14_EUlS13_E_NS1_11comp_targetILNS1_3genE3ELNS1_11target_archE908ELNS1_3gpuE7ELNS1_3repE0EEENS1_30default_config_static_selectorELNS0_4arch9wavefront6targetE0EEEvT1_.has_dyn_sized_stack, 0
	.set _ZN7rocprim17ROCPRIM_400000_NS6detail17trampoline_kernelINS0_14default_configENS1_25partition_config_selectorILNS1_17partition_subalgoE6EyNS0_10empty_typeEbEEZZNS1_14partition_implILS5_6ELb0ES3_mN6thrust23THRUST_200600_302600_NS6detail15normal_iteratorINSA_10device_ptrIyEEEEPS6_SG_NS0_5tupleIJSF_S6_EEENSH_IJSG_SG_EEES6_PlJNSB_9not_fun_tINSB_14equal_to_valueIyEEEEEEE10hipError_tPvRmT3_T4_T5_T6_T7_T9_mT8_P12ihipStream_tbDpT10_ENKUlT_T0_E_clISt17integral_constantIbLb1EES17_IbLb0EEEEDaS13_S14_EUlS13_E_NS1_11comp_targetILNS1_3genE3ELNS1_11target_archE908ELNS1_3gpuE7ELNS1_3repE0EEENS1_30default_config_static_selectorELNS0_4arch9wavefront6targetE0EEEvT1_.has_recursion, 0
	.set _ZN7rocprim17ROCPRIM_400000_NS6detail17trampoline_kernelINS0_14default_configENS1_25partition_config_selectorILNS1_17partition_subalgoE6EyNS0_10empty_typeEbEEZZNS1_14partition_implILS5_6ELb0ES3_mN6thrust23THRUST_200600_302600_NS6detail15normal_iteratorINSA_10device_ptrIyEEEEPS6_SG_NS0_5tupleIJSF_S6_EEENSH_IJSG_SG_EEES6_PlJNSB_9not_fun_tINSB_14equal_to_valueIyEEEEEEE10hipError_tPvRmT3_T4_T5_T6_T7_T9_mT8_P12ihipStream_tbDpT10_ENKUlT_T0_E_clISt17integral_constantIbLb1EES17_IbLb0EEEEDaS13_S14_EUlS13_E_NS1_11comp_targetILNS1_3genE3ELNS1_11target_archE908ELNS1_3gpuE7ELNS1_3repE0EEENS1_30default_config_static_selectorELNS0_4arch9wavefront6targetE0EEEvT1_.has_indirect_call, 0
	.section	.AMDGPU.csdata,"",@progbits
; Kernel info:
; codeLenInByte = 0
; TotalNumSgprs: 0
; NumVgprs: 0
; ScratchSize: 0
; MemoryBound: 0
; FloatMode: 240
; IeeeMode: 1
; LDSByteSize: 0 bytes/workgroup (compile time only)
; SGPRBlocks: 0
; VGPRBlocks: 0
; NumSGPRsForWavesPerEU: 1
; NumVGPRsForWavesPerEU: 1
; Occupancy: 16
; WaveLimiterHint : 0
; COMPUTE_PGM_RSRC2:SCRATCH_EN: 0
; COMPUTE_PGM_RSRC2:USER_SGPR: 2
; COMPUTE_PGM_RSRC2:TRAP_HANDLER: 0
; COMPUTE_PGM_RSRC2:TGID_X_EN: 1
; COMPUTE_PGM_RSRC2:TGID_Y_EN: 0
; COMPUTE_PGM_RSRC2:TGID_Z_EN: 0
; COMPUTE_PGM_RSRC2:TIDIG_COMP_CNT: 0
	.section	.text._ZN7rocprim17ROCPRIM_400000_NS6detail17trampoline_kernelINS0_14default_configENS1_25partition_config_selectorILNS1_17partition_subalgoE6EyNS0_10empty_typeEbEEZZNS1_14partition_implILS5_6ELb0ES3_mN6thrust23THRUST_200600_302600_NS6detail15normal_iteratorINSA_10device_ptrIyEEEEPS6_SG_NS0_5tupleIJSF_S6_EEENSH_IJSG_SG_EEES6_PlJNSB_9not_fun_tINSB_14equal_to_valueIyEEEEEEE10hipError_tPvRmT3_T4_T5_T6_T7_T9_mT8_P12ihipStream_tbDpT10_ENKUlT_T0_E_clISt17integral_constantIbLb1EES17_IbLb0EEEEDaS13_S14_EUlS13_E_NS1_11comp_targetILNS1_3genE2ELNS1_11target_archE906ELNS1_3gpuE6ELNS1_3repE0EEENS1_30default_config_static_selectorELNS0_4arch9wavefront6targetE0EEEvT1_,"axG",@progbits,_ZN7rocprim17ROCPRIM_400000_NS6detail17trampoline_kernelINS0_14default_configENS1_25partition_config_selectorILNS1_17partition_subalgoE6EyNS0_10empty_typeEbEEZZNS1_14partition_implILS5_6ELb0ES3_mN6thrust23THRUST_200600_302600_NS6detail15normal_iteratorINSA_10device_ptrIyEEEEPS6_SG_NS0_5tupleIJSF_S6_EEENSH_IJSG_SG_EEES6_PlJNSB_9not_fun_tINSB_14equal_to_valueIyEEEEEEE10hipError_tPvRmT3_T4_T5_T6_T7_T9_mT8_P12ihipStream_tbDpT10_ENKUlT_T0_E_clISt17integral_constantIbLb1EES17_IbLb0EEEEDaS13_S14_EUlS13_E_NS1_11comp_targetILNS1_3genE2ELNS1_11target_archE906ELNS1_3gpuE6ELNS1_3repE0EEENS1_30default_config_static_selectorELNS0_4arch9wavefront6targetE0EEEvT1_,comdat
	.protected	_ZN7rocprim17ROCPRIM_400000_NS6detail17trampoline_kernelINS0_14default_configENS1_25partition_config_selectorILNS1_17partition_subalgoE6EyNS0_10empty_typeEbEEZZNS1_14partition_implILS5_6ELb0ES3_mN6thrust23THRUST_200600_302600_NS6detail15normal_iteratorINSA_10device_ptrIyEEEEPS6_SG_NS0_5tupleIJSF_S6_EEENSH_IJSG_SG_EEES6_PlJNSB_9not_fun_tINSB_14equal_to_valueIyEEEEEEE10hipError_tPvRmT3_T4_T5_T6_T7_T9_mT8_P12ihipStream_tbDpT10_ENKUlT_T0_E_clISt17integral_constantIbLb1EES17_IbLb0EEEEDaS13_S14_EUlS13_E_NS1_11comp_targetILNS1_3genE2ELNS1_11target_archE906ELNS1_3gpuE6ELNS1_3repE0EEENS1_30default_config_static_selectorELNS0_4arch9wavefront6targetE0EEEvT1_ ; -- Begin function _ZN7rocprim17ROCPRIM_400000_NS6detail17trampoline_kernelINS0_14default_configENS1_25partition_config_selectorILNS1_17partition_subalgoE6EyNS0_10empty_typeEbEEZZNS1_14partition_implILS5_6ELb0ES3_mN6thrust23THRUST_200600_302600_NS6detail15normal_iteratorINSA_10device_ptrIyEEEEPS6_SG_NS0_5tupleIJSF_S6_EEENSH_IJSG_SG_EEES6_PlJNSB_9not_fun_tINSB_14equal_to_valueIyEEEEEEE10hipError_tPvRmT3_T4_T5_T6_T7_T9_mT8_P12ihipStream_tbDpT10_ENKUlT_T0_E_clISt17integral_constantIbLb1EES17_IbLb0EEEEDaS13_S14_EUlS13_E_NS1_11comp_targetILNS1_3genE2ELNS1_11target_archE906ELNS1_3gpuE6ELNS1_3repE0EEENS1_30default_config_static_selectorELNS0_4arch9wavefront6targetE0EEEvT1_
	.globl	_ZN7rocprim17ROCPRIM_400000_NS6detail17trampoline_kernelINS0_14default_configENS1_25partition_config_selectorILNS1_17partition_subalgoE6EyNS0_10empty_typeEbEEZZNS1_14partition_implILS5_6ELb0ES3_mN6thrust23THRUST_200600_302600_NS6detail15normal_iteratorINSA_10device_ptrIyEEEEPS6_SG_NS0_5tupleIJSF_S6_EEENSH_IJSG_SG_EEES6_PlJNSB_9not_fun_tINSB_14equal_to_valueIyEEEEEEE10hipError_tPvRmT3_T4_T5_T6_T7_T9_mT8_P12ihipStream_tbDpT10_ENKUlT_T0_E_clISt17integral_constantIbLb1EES17_IbLb0EEEEDaS13_S14_EUlS13_E_NS1_11comp_targetILNS1_3genE2ELNS1_11target_archE906ELNS1_3gpuE6ELNS1_3repE0EEENS1_30default_config_static_selectorELNS0_4arch9wavefront6targetE0EEEvT1_
	.p2align	8
	.type	_ZN7rocprim17ROCPRIM_400000_NS6detail17trampoline_kernelINS0_14default_configENS1_25partition_config_selectorILNS1_17partition_subalgoE6EyNS0_10empty_typeEbEEZZNS1_14partition_implILS5_6ELb0ES3_mN6thrust23THRUST_200600_302600_NS6detail15normal_iteratorINSA_10device_ptrIyEEEEPS6_SG_NS0_5tupleIJSF_S6_EEENSH_IJSG_SG_EEES6_PlJNSB_9not_fun_tINSB_14equal_to_valueIyEEEEEEE10hipError_tPvRmT3_T4_T5_T6_T7_T9_mT8_P12ihipStream_tbDpT10_ENKUlT_T0_E_clISt17integral_constantIbLb1EES17_IbLb0EEEEDaS13_S14_EUlS13_E_NS1_11comp_targetILNS1_3genE2ELNS1_11target_archE906ELNS1_3gpuE6ELNS1_3repE0EEENS1_30default_config_static_selectorELNS0_4arch9wavefront6targetE0EEEvT1_,@function
_ZN7rocprim17ROCPRIM_400000_NS6detail17trampoline_kernelINS0_14default_configENS1_25partition_config_selectorILNS1_17partition_subalgoE6EyNS0_10empty_typeEbEEZZNS1_14partition_implILS5_6ELb0ES3_mN6thrust23THRUST_200600_302600_NS6detail15normal_iteratorINSA_10device_ptrIyEEEEPS6_SG_NS0_5tupleIJSF_S6_EEENSH_IJSG_SG_EEES6_PlJNSB_9not_fun_tINSB_14equal_to_valueIyEEEEEEE10hipError_tPvRmT3_T4_T5_T6_T7_T9_mT8_P12ihipStream_tbDpT10_ENKUlT_T0_E_clISt17integral_constantIbLb1EES17_IbLb0EEEEDaS13_S14_EUlS13_E_NS1_11comp_targetILNS1_3genE2ELNS1_11target_archE906ELNS1_3gpuE6ELNS1_3repE0EEENS1_30default_config_static_selectorELNS0_4arch9wavefront6targetE0EEEvT1_: ; @_ZN7rocprim17ROCPRIM_400000_NS6detail17trampoline_kernelINS0_14default_configENS1_25partition_config_selectorILNS1_17partition_subalgoE6EyNS0_10empty_typeEbEEZZNS1_14partition_implILS5_6ELb0ES3_mN6thrust23THRUST_200600_302600_NS6detail15normal_iteratorINSA_10device_ptrIyEEEEPS6_SG_NS0_5tupleIJSF_S6_EEENSH_IJSG_SG_EEES6_PlJNSB_9not_fun_tINSB_14equal_to_valueIyEEEEEEE10hipError_tPvRmT3_T4_T5_T6_T7_T9_mT8_P12ihipStream_tbDpT10_ENKUlT_T0_E_clISt17integral_constantIbLb1EES17_IbLb0EEEEDaS13_S14_EUlS13_E_NS1_11comp_targetILNS1_3genE2ELNS1_11target_archE906ELNS1_3gpuE6ELNS1_3repE0EEENS1_30default_config_static_selectorELNS0_4arch9wavefront6targetE0EEEvT1_
; %bb.0:
	.section	.rodata,"a",@progbits
	.p2align	6, 0x0
	.amdhsa_kernel _ZN7rocprim17ROCPRIM_400000_NS6detail17trampoline_kernelINS0_14default_configENS1_25partition_config_selectorILNS1_17partition_subalgoE6EyNS0_10empty_typeEbEEZZNS1_14partition_implILS5_6ELb0ES3_mN6thrust23THRUST_200600_302600_NS6detail15normal_iteratorINSA_10device_ptrIyEEEEPS6_SG_NS0_5tupleIJSF_S6_EEENSH_IJSG_SG_EEES6_PlJNSB_9not_fun_tINSB_14equal_to_valueIyEEEEEEE10hipError_tPvRmT3_T4_T5_T6_T7_T9_mT8_P12ihipStream_tbDpT10_ENKUlT_T0_E_clISt17integral_constantIbLb1EES17_IbLb0EEEEDaS13_S14_EUlS13_E_NS1_11comp_targetILNS1_3genE2ELNS1_11target_archE906ELNS1_3gpuE6ELNS1_3repE0EEENS1_30default_config_static_selectorELNS0_4arch9wavefront6targetE0EEEvT1_
		.amdhsa_group_segment_fixed_size 0
		.amdhsa_private_segment_fixed_size 0
		.amdhsa_kernarg_size 120
		.amdhsa_user_sgpr_count 2
		.amdhsa_user_sgpr_dispatch_ptr 0
		.amdhsa_user_sgpr_queue_ptr 0
		.amdhsa_user_sgpr_kernarg_segment_ptr 1
		.amdhsa_user_sgpr_dispatch_id 0
		.amdhsa_user_sgpr_private_segment_size 0
		.amdhsa_wavefront_size32 1
		.amdhsa_uses_dynamic_stack 0
		.amdhsa_enable_private_segment 0
		.amdhsa_system_sgpr_workgroup_id_x 1
		.amdhsa_system_sgpr_workgroup_id_y 0
		.amdhsa_system_sgpr_workgroup_id_z 0
		.amdhsa_system_sgpr_workgroup_info 0
		.amdhsa_system_vgpr_workitem_id 0
		.amdhsa_next_free_vgpr 1
		.amdhsa_next_free_sgpr 1
		.amdhsa_reserve_vcc 0
		.amdhsa_float_round_mode_32 0
		.amdhsa_float_round_mode_16_64 0
		.amdhsa_float_denorm_mode_32 3
		.amdhsa_float_denorm_mode_16_64 3
		.amdhsa_fp16_overflow 0
		.amdhsa_workgroup_processor_mode 1
		.amdhsa_memory_ordered 1
		.amdhsa_forward_progress 1
		.amdhsa_inst_pref_size 0
		.amdhsa_round_robin_scheduling 0
		.amdhsa_exception_fp_ieee_invalid_op 0
		.amdhsa_exception_fp_denorm_src 0
		.amdhsa_exception_fp_ieee_div_zero 0
		.amdhsa_exception_fp_ieee_overflow 0
		.amdhsa_exception_fp_ieee_underflow 0
		.amdhsa_exception_fp_ieee_inexact 0
		.amdhsa_exception_int_div_zero 0
	.end_amdhsa_kernel
	.section	.text._ZN7rocprim17ROCPRIM_400000_NS6detail17trampoline_kernelINS0_14default_configENS1_25partition_config_selectorILNS1_17partition_subalgoE6EyNS0_10empty_typeEbEEZZNS1_14partition_implILS5_6ELb0ES3_mN6thrust23THRUST_200600_302600_NS6detail15normal_iteratorINSA_10device_ptrIyEEEEPS6_SG_NS0_5tupleIJSF_S6_EEENSH_IJSG_SG_EEES6_PlJNSB_9not_fun_tINSB_14equal_to_valueIyEEEEEEE10hipError_tPvRmT3_T4_T5_T6_T7_T9_mT8_P12ihipStream_tbDpT10_ENKUlT_T0_E_clISt17integral_constantIbLb1EES17_IbLb0EEEEDaS13_S14_EUlS13_E_NS1_11comp_targetILNS1_3genE2ELNS1_11target_archE906ELNS1_3gpuE6ELNS1_3repE0EEENS1_30default_config_static_selectorELNS0_4arch9wavefront6targetE0EEEvT1_,"axG",@progbits,_ZN7rocprim17ROCPRIM_400000_NS6detail17trampoline_kernelINS0_14default_configENS1_25partition_config_selectorILNS1_17partition_subalgoE6EyNS0_10empty_typeEbEEZZNS1_14partition_implILS5_6ELb0ES3_mN6thrust23THRUST_200600_302600_NS6detail15normal_iteratorINSA_10device_ptrIyEEEEPS6_SG_NS0_5tupleIJSF_S6_EEENSH_IJSG_SG_EEES6_PlJNSB_9not_fun_tINSB_14equal_to_valueIyEEEEEEE10hipError_tPvRmT3_T4_T5_T6_T7_T9_mT8_P12ihipStream_tbDpT10_ENKUlT_T0_E_clISt17integral_constantIbLb1EES17_IbLb0EEEEDaS13_S14_EUlS13_E_NS1_11comp_targetILNS1_3genE2ELNS1_11target_archE906ELNS1_3gpuE6ELNS1_3repE0EEENS1_30default_config_static_selectorELNS0_4arch9wavefront6targetE0EEEvT1_,comdat
.Lfunc_end361:
	.size	_ZN7rocprim17ROCPRIM_400000_NS6detail17trampoline_kernelINS0_14default_configENS1_25partition_config_selectorILNS1_17partition_subalgoE6EyNS0_10empty_typeEbEEZZNS1_14partition_implILS5_6ELb0ES3_mN6thrust23THRUST_200600_302600_NS6detail15normal_iteratorINSA_10device_ptrIyEEEEPS6_SG_NS0_5tupleIJSF_S6_EEENSH_IJSG_SG_EEES6_PlJNSB_9not_fun_tINSB_14equal_to_valueIyEEEEEEE10hipError_tPvRmT3_T4_T5_T6_T7_T9_mT8_P12ihipStream_tbDpT10_ENKUlT_T0_E_clISt17integral_constantIbLb1EES17_IbLb0EEEEDaS13_S14_EUlS13_E_NS1_11comp_targetILNS1_3genE2ELNS1_11target_archE906ELNS1_3gpuE6ELNS1_3repE0EEENS1_30default_config_static_selectorELNS0_4arch9wavefront6targetE0EEEvT1_, .Lfunc_end361-_ZN7rocprim17ROCPRIM_400000_NS6detail17trampoline_kernelINS0_14default_configENS1_25partition_config_selectorILNS1_17partition_subalgoE6EyNS0_10empty_typeEbEEZZNS1_14partition_implILS5_6ELb0ES3_mN6thrust23THRUST_200600_302600_NS6detail15normal_iteratorINSA_10device_ptrIyEEEEPS6_SG_NS0_5tupleIJSF_S6_EEENSH_IJSG_SG_EEES6_PlJNSB_9not_fun_tINSB_14equal_to_valueIyEEEEEEE10hipError_tPvRmT3_T4_T5_T6_T7_T9_mT8_P12ihipStream_tbDpT10_ENKUlT_T0_E_clISt17integral_constantIbLb1EES17_IbLb0EEEEDaS13_S14_EUlS13_E_NS1_11comp_targetILNS1_3genE2ELNS1_11target_archE906ELNS1_3gpuE6ELNS1_3repE0EEENS1_30default_config_static_selectorELNS0_4arch9wavefront6targetE0EEEvT1_
                                        ; -- End function
	.set _ZN7rocprim17ROCPRIM_400000_NS6detail17trampoline_kernelINS0_14default_configENS1_25partition_config_selectorILNS1_17partition_subalgoE6EyNS0_10empty_typeEbEEZZNS1_14partition_implILS5_6ELb0ES3_mN6thrust23THRUST_200600_302600_NS6detail15normal_iteratorINSA_10device_ptrIyEEEEPS6_SG_NS0_5tupleIJSF_S6_EEENSH_IJSG_SG_EEES6_PlJNSB_9not_fun_tINSB_14equal_to_valueIyEEEEEEE10hipError_tPvRmT3_T4_T5_T6_T7_T9_mT8_P12ihipStream_tbDpT10_ENKUlT_T0_E_clISt17integral_constantIbLb1EES17_IbLb0EEEEDaS13_S14_EUlS13_E_NS1_11comp_targetILNS1_3genE2ELNS1_11target_archE906ELNS1_3gpuE6ELNS1_3repE0EEENS1_30default_config_static_selectorELNS0_4arch9wavefront6targetE0EEEvT1_.num_vgpr, 0
	.set _ZN7rocprim17ROCPRIM_400000_NS6detail17trampoline_kernelINS0_14default_configENS1_25partition_config_selectorILNS1_17partition_subalgoE6EyNS0_10empty_typeEbEEZZNS1_14partition_implILS5_6ELb0ES3_mN6thrust23THRUST_200600_302600_NS6detail15normal_iteratorINSA_10device_ptrIyEEEEPS6_SG_NS0_5tupleIJSF_S6_EEENSH_IJSG_SG_EEES6_PlJNSB_9not_fun_tINSB_14equal_to_valueIyEEEEEEE10hipError_tPvRmT3_T4_T5_T6_T7_T9_mT8_P12ihipStream_tbDpT10_ENKUlT_T0_E_clISt17integral_constantIbLb1EES17_IbLb0EEEEDaS13_S14_EUlS13_E_NS1_11comp_targetILNS1_3genE2ELNS1_11target_archE906ELNS1_3gpuE6ELNS1_3repE0EEENS1_30default_config_static_selectorELNS0_4arch9wavefront6targetE0EEEvT1_.num_agpr, 0
	.set _ZN7rocprim17ROCPRIM_400000_NS6detail17trampoline_kernelINS0_14default_configENS1_25partition_config_selectorILNS1_17partition_subalgoE6EyNS0_10empty_typeEbEEZZNS1_14partition_implILS5_6ELb0ES3_mN6thrust23THRUST_200600_302600_NS6detail15normal_iteratorINSA_10device_ptrIyEEEEPS6_SG_NS0_5tupleIJSF_S6_EEENSH_IJSG_SG_EEES6_PlJNSB_9not_fun_tINSB_14equal_to_valueIyEEEEEEE10hipError_tPvRmT3_T4_T5_T6_T7_T9_mT8_P12ihipStream_tbDpT10_ENKUlT_T0_E_clISt17integral_constantIbLb1EES17_IbLb0EEEEDaS13_S14_EUlS13_E_NS1_11comp_targetILNS1_3genE2ELNS1_11target_archE906ELNS1_3gpuE6ELNS1_3repE0EEENS1_30default_config_static_selectorELNS0_4arch9wavefront6targetE0EEEvT1_.numbered_sgpr, 0
	.set _ZN7rocprim17ROCPRIM_400000_NS6detail17trampoline_kernelINS0_14default_configENS1_25partition_config_selectorILNS1_17partition_subalgoE6EyNS0_10empty_typeEbEEZZNS1_14partition_implILS5_6ELb0ES3_mN6thrust23THRUST_200600_302600_NS6detail15normal_iteratorINSA_10device_ptrIyEEEEPS6_SG_NS0_5tupleIJSF_S6_EEENSH_IJSG_SG_EEES6_PlJNSB_9not_fun_tINSB_14equal_to_valueIyEEEEEEE10hipError_tPvRmT3_T4_T5_T6_T7_T9_mT8_P12ihipStream_tbDpT10_ENKUlT_T0_E_clISt17integral_constantIbLb1EES17_IbLb0EEEEDaS13_S14_EUlS13_E_NS1_11comp_targetILNS1_3genE2ELNS1_11target_archE906ELNS1_3gpuE6ELNS1_3repE0EEENS1_30default_config_static_selectorELNS0_4arch9wavefront6targetE0EEEvT1_.num_named_barrier, 0
	.set _ZN7rocprim17ROCPRIM_400000_NS6detail17trampoline_kernelINS0_14default_configENS1_25partition_config_selectorILNS1_17partition_subalgoE6EyNS0_10empty_typeEbEEZZNS1_14partition_implILS5_6ELb0ES3_mN6thrust23THRUST_200600_302600_NS6detail15normal_iteratorINSA_10device_ptrIyEEEEPS6_SG_NS0_5tupleIJSF_S6_EEENSH_IJSG_SG_EEES6_PlJNSB_9not_fun_tINSB_14equal_to_valueIyEEEEEEE10hipError_tPvRmT3_T4_T5_T6_T7_T9_mT8_P12ihipStream_tbDpT10_ENKUlT_T0_E_clISt17integral_constantIbLb1EES17_IbLb0EEEEDaS13_S14_EUlS13_E_NS1_11comp_targetILNS1_3genE2ELNS1_11target_archE906ELNS1_3gpuE6ELNS1_3repE0EEENS1_30default_config_static_selectorELNS0_4arch9wavefront6targetE0EEEvT1_.private_seg_size, 0
	.set _ZN7rocprim17ROCPRIM_400000_NS6detail17trampoline_kernelINS0_14default_configENS1_25partition_config_selectorILNS1_17partition_subalgoE6EyNS0_10empty_typeEbEEZZNS1_14partition_implILS5_6ELb0ES3_mN6thrust23THRUST_200600_302600_NS6detail15normal_iteratorINSA_10device_ptrIyEEEEPS6_SG_NS0_5tupleIJSF_S6_EEENSH_IJSG_SG_EEES6_PlJNSB_9not_fun_tINSB_14equal_to_valueIyEEEEEEE10hipError_tPvRmT3_T4_T5_T6_T7_T9_mT8_P12ihipStream_tbDpT10_ENKUlT_T0_E_clISt17integral_constantIbLb1EES17_IbLb0EEEEDaS13_S14_EUlS13_E_NS1_11comp_targetILNS1_3genE2ELNS1_11target_archE906ELNS1_3gpuE6ELNS1_3repE0EEENS1_30default_config_static_selectorELNS0_4arch9wavefront6targetE0EEEvT1_.uses_vcc, 0
	.set _ZN7rocprim17ROCPRIM_400000_NS6detail17trampoline_kernelINS0_14default_configENS1_25partition_config_selectorILNS1_17partition_subalgoE6EyNS0_10empty_typeEbEEZZNS1_14partition_implILS5_6ELb0ES3_mN6thrust23THRUST_200600_302600_NS6detail15normal_iteratorINSA_10device_ptrIyEEEEPS6_SG_NS0_5tupleIJSF_S6_EEENSH_IJSG_SG_EEES6_PlJNSB_9not_fun_tINSB_14equal_to_valueIyEEEEEEE10hipError_tPvRmT3_T4_T5_T6_T7_T9_mT8_P12ihipStream_tbDpT10_ENKUlT_T0_E_clISt17integral_constantIbLb1EES17_IbLb0EEEEDaS13_S14_EUlS13_E_NS1_11comp_targetILNS1_3genE2ELNS1_11target_archE906ELNS1_3gpuE6ELNS1_3repE0EEENS1_30default_config_static_selectorELNS0_4arch9wavefront6targetE0EEEvT1_.uses_flat_scratch, 0
	.set _ZN7rocprim17ROCPRIM_400000_NS6detail17trampoline_kernelINS0_14default_configENS1_25partition_config_selectorILNS1_17partition_subalgoE6EyNS0_10empty_typeEbEEZZNS1_14partition_implILS5_6ELb0ES3_mN6thrust23THRUST_200600_302600_NS6detail15normal_iteratorINSA_10device_ptrIyEEEEPS6_SG_NS0_5tupleIJSF_S6_EEENSH_IJSG_SG_EEES6_PlJNSB_9not_fun_tINSB_14equal_to_valueIyEEEEEEE10hipError_tPvRmT3_T4_T5_T6_T7_T9_mT8_P12ihipStream_tbDpT10_ENKUlT_T0_E_clISt17integral_constantIbLb1EES17_IbLb0EEEEDaS13_S14_EUlS13_E_NS1_11comp_targetILNS1_3genE2ELNS1_11target_archE906ELNS1_3gpuE6ELNS1_3repE0EEENS1_30default_config_static_selectorELNS0_4arch9wavefront6targetE0EEEvT1_.has_dyn_sized_stack, 0
	.set _ZN7rocprim17ROCPRIM_400000_NS6detail17trampoline_kernelINS0_14default_configENS1_25partition_config_selectorILNS1_17partition_subalgoE6EyNS0_10empty_typeEbEEZZNS1_14partition_implILS5_6ELb0ES3_mN6thrust23THRUST_200600_302600_NS6detail15normal_iteratorINSA_10device_ptrIyEEEEPS6_SG_NS0_5tupleIJSF_S6_EEENSH_IJSG_SG_EEES6_PlJNSB_9not_fun_tINSB_14equal_to_valueIyEEEEEEE10hipError_tPvRmT3_T4_T5_T6_T7_T9_mT8_P12ihipStream_tbDpT10_ENKUlT_T0_E_clISt17integral_constantIbLb1EES17_IbLb0EEEEDaS13_S14_EUlS13_E_NS1_11comp_targetILNS1_3genE2ELNS1_11target_archE906ELNS1_3gpuE6ELNS1_3repE0EEENS1_30default_config_static_selectorELNS0_4arch9wavefront6targetE0EEEvT1_.has_recursion, 0
	.set _ZN7rocprim17ROCPRIM_400000_NS6detail17trampoline_kernelINS0_14default_configENS1_25partition_config_selectorILNS1_17partition_subalgoE6EyNS0_10empty_typeEbEEZZNS1_14partition_implILS5_6ELb0ES3_mN6thrust23THRUST_200600_302600_NS6detail15normal_iteratorINSA_10device_ptrIyEEEEPS6_SG_NS0_5tupleIJSF_S6_EEENSH_IJSG_SG_EEES6_PlJNSB_9not_fun_tINSB_14equal_to_valueIyEEEEEEE10hipError_tPvRmT3_T4_T5_T6_T7_T9_mT8_P12ihipStream_tbDpT10_ENKUlT_T0_E_clISt17integral_constantIbLb1EES17_IbLb0EEEEDaS13_S14_EUlS13_E_NS1_11comp_targetILNS1_3genE2ELNS1_11target_archE906ELNS1_3gpuE6ELNS1_3repE0EEENS1_30default_config_static_selectorELNS0_4arch9wavefront6targetE0EEEvT1_.has_indirect_call, 0
	.section	.AMDGPU.csdata,"",@progbits
; Kernel info:
; codeLenInByte = 0
; TotalNumSgprs: 0
; NumVgprs: 0
; ScratchSize: 0
; MemoryBound: 0
; FloatMode: 240
; IeeeMode: 1
; LDSByteSize: 0 bytes/workgroup (compile time only)
; SGPRBlocks: 0
; VGPRBlocks: 0
; NumSGPRsForWavesPerEU: 1
; NumVGPRsForWavesPerEU: 1
; Occupancy: 16
; WaveLimiterHint : 0
; COMPUTE_PGM_RSRC2:SCRATCH_EN: 0
; COMPUTE_PGM_RSRC2:USER_SGPR: 2
; COMPUTE_PGM_RSRC2:TRAP_HANDLER: 0
; COMPUTE_PGM_RSRC2:TGID_X_EN: 1
; COMPUTE_PGM_RSRC2:TGID_Y_EN: 0
; COMPUTE_PGM_RSRC2:TGID_Z_EN: 0
; COMPUTE_PGM_RSRC2:TIDIG_COMP_CNT: 0
	.section	.text._ZN7rocprim17ROCPRIM_400000_NS6detail17trampoline_kernelINS0_14default_configENS1_25partition_config_selectorILNS1_17partition_subalgoE6EyNS0_10empty_typeEbEEZZNS1_14partition_implILS5_6ELb0ES3_mN6thrust23THRUST_200600_302600_NS6detail15normal_iteratorINSA_10device_ptrIyEEEEPS6_SG_NS0_5tupleIJSF_S6_EEENSH_IJSG_SG_EEES6_PlJNSB_9not_fun_tINSB_14equal_to_valueIyEEEEEEE10hipError_tPvRmT3_T4_T5_T6_T7_T9_mT8_P12ihipStream_tbDpT10_ENKUlT_T0_E_clISt17integral_constantIbLb1EES17_IbLb0EEEEDaS13_S14_EUlS13_E_NS1_11comp_targetILNS1_3genE10ELNS1_11target_archE1200ELNS1_3gpuE4ELNS1_3repE0EEENS1_30default_config_static_selectorELNS0_4arch9wavefront6targetE0EEEvT1_,"axG",@progbits,_ZN7rocprim17ROCPRIM_400000_NS6detail17trampoline_kernelINS0_14default_configENS1_25partition_config_selectorILNS1_17partition_subalgoE6EyNS0_10empty_typeEbEEZZNS1_14partition_implILS5_6ELb0ES3_mN6thrust23THRUST_200600_302600_NS6detail15normal_iteratorINSA_10device_ptrIyEEEEPS6_SG_NS0_5tupleIJSF_S6_EEENSH_IJSG_SG_EEES6_PlJNSB_9not_fun_tINSB_14equal_to_valueIyEEEEEEE10hipError_tPvRmT3_T4_T5_T6_T7_T9_mT8_P12ihipStream_tbDpT10_ENKUlT_T0_E_clISt17integral_constantIbLb1EES17_IbLb0EEEEDaS13_S14_EUlS13_E_NS1_11comp_targetILNS1_3genE10ELNS1_11target_archE1200ELNS1_3gpuE4ELNS1_3repE0EEENS1_30default_config_static_selectorELNS0_4arch9wavefront6targetE0EEEvT1_,comdat
	.protected	_ZN7rocprim17ROCPRIM_400000_NS6detail17trampoline_kernelINS0_14default_configENS1_25partition_config_selectorILNS1_17partition_subalgoE6EyNS0_10empty_typeEbEEZZNS1_14partition_implILS5_6ELb0ES3_mN6thrust23THRUST_200600_302600_NS6detail15normal_iteratorINSA_10device_ptrIyEEEEPS6_SG_NS0_5tupleIJSF_S6_EEENSH_IJSG_SG_EEES6_PlJNSB_9not_fun_tINSB_14equal_to_valueIyEEEEEEE10hipError_tPvRmT3_T4_T5_T6_T7_T9_mT8_P12ihipStream_tbDpT10_ENKUlT_T0_E_clISt17integral_constantIbLb1EES17_IbLb0EEEEDaS13_S14_EUlS13_E_NS1_11comp_targetILNS1_3genE10ELNS1_11target_archE1200ELNS1_3gpuE4ELNS1_3repE0EEENS1_30default_config_static_selectorELNS0_4arch9wavefront6targetE0EEEvT1_ ; -- Begin function _ZN7rocprim17ROCPRIM_400000_NS6detail17trampoline_kernelINS0_14default_configENS1_25partition_config_selectorILNS1_17partition_subalgoE6EyNS0_10empty_typeEbEEZZNS1_14partition_implILS5_6ELb0ES3_mN6thrust23THRUST_200600_302600_NS6detail15normal_iteratorINSA_10device_ptrIyEEEEPS6_SG_NS0_5tupleIJSF_S6_EEENSH_IJSG_SG_EEES6_PlJNSB_9not_fun_tINSB_14equal_to_valueIyEEEEEEE10hipError_tPvRmT3_T4_T5_T6_T7_T9_mT8_P12ihipStream_tbDpT10_ENKUlT_T0_E_clISt17integral_constantIbLb1EES17_IbLb0EEEEDaS13_S14_EUlS13_E_NS1_11comp_targetILNS1_3genE10ELNS1_11target_archE1200ELNS1_3gpuE4ELNS1_3repE0EEENS1_30default_config_static_selectorELNS0_4arch9wavefront6targetE0EEEvT1_
	.globl	_ZN7rocprim17ROCPRIM_400000_NS6detail17trampoline_kernelINS0_14default_configENS1_25partition_config_selectorILNS1_17partition_subalgoE6EyNS0_10empty_typeEbEEZZNS1_14partition_implILS5_6ELb0ES3_mN6thrust23THRUST_200600_302600_NS6detail15normal_iteratorINSA_10device_ptrIyEEEEPS6_SG_NS0_5tupleIJSF_S6_EEENSH_IJSG_SG_EEES6_PlJNSB_9not_fun_tINSB_14equal_to_valueIyEEEEEEE10hipError_tPvRmT3_T4_T5_T6_T7_T9_mT8_P12ihipStream_tbDpT10_ENKUlT_T0_E_clISt17integral_constantIbLb1EES17_IbLb0EEEEDaS13_S14_EUlS13_E_NS1_11comp_targetILNS1_3genE10ELNS1_11target_archE1200ELNS1_3gpuE4ELNS1_3repE0EEENS1_30default_config_static_selectorELNS0_4arch9wavefront6targetE0EEEvT1_
	.p2align	8
	.type	_ZN7rocprim17ROCPRIM_400000_NS6detail17trampoline_kernelINS0_14default_configENS1_25partition_config_selectorILNS1_17partition_subalgoE6EyNS0_10empty_typeEbEEZZNS1_14partition_implILS5_6ELb0ES3_mN6thrust23THRUST_200600_302600_NS6detail15normal_iteratorINSA_10device_ptrIyEEEEPS6_SG_NS0_5tupleIJSF_S6_EEENSH_IJSG_SG_EEES6_PlJNSB_9not_fun_tINSB_14equal_to_valueIyEEEEEEE10hipError_tPvRmT3_T4_T5_T6_T7_T9_mT8_P12ihipStream_tbDpT10_ENKUlT_T0_E_clISt17integral_constantIbLb1EES17_IbLb0EEEEDaS13_S14_EUlS13_E_NS1_11comp_targetILNS1_3genE10ELNS1_11target_archE1200ELNS1_3gpuE4ELNS1_3repE0EEENS1_30default_config_static_selectorELNS0_4arch9wavefront6targetE0EEEvT1_,@function
_ZN7rocprim17ROCPRIM_400000_NS6detail17trampoline_kernelINS0_14default_configENS1_25partition_config_selectorILNS1_17partition_subalgoE6EyNS0_10empty_typeEbEEZZNS1_14partition_implILS5_6ELb0ES3_mN6thrust23THRUST_200600_302600_NS6detail15normal_iteratorINSA_10device_ptrIyEEEEPS6_SG_NS0_5tupleIJSF_S6_EEENSH_IJSG_SG_EEES6_PlJNSB_9not_fun_tINSB_14equal_to_valueIyEEEEEEE10hipError_tPvRmT3_T4_T5_T6_T7_T9_mT8_P12ihipStream_tbDpT10_ENKUlT_T0_E_clISt17integral_constantIbLb1EES17_IbLb0EEEEDaS13_S14_EUlS13_E_NS1_11comp_targetILNS1_3genE10ELNS1_11target_archE1200ELNS1_3gpuE4ELNS1_3repE0EEENS1_30default_config_static_selectorELNS0_4arch9wavefront6targetE0EEEvT1_: ; @_ZN7rocprim17ROCPRIM_400000_NS6detail17trampoline_kernelINS0_14default_configENS1_25partition_config_selectorILNS1_17partition_subalgoE6EyNS0_10empty_typeEbEEZZNS1_14partition_implILS5_6ELb0ES3_mN6thrust23THRUST_200600_302600_NS6detail15normal_iteratorINSA_10device_ptrIyEEEEPS6_SG_NS0_5tupleIJSF_S6_EEENSH_IJSG_SG_EEES6_PlJNSB_9not_fun_tINSB_14equal_to_valueIyEEEEEEE10hipError_tPvRmT3_T4_T5_T6_T7_T9_mT8_P12ihipStream_tbDpT10_ENKUlT_T0_E_clISt17integral_constantIbLb1EES17_IbLb0EEEEDaS13_S14_EUlS13_E_NS1_11comp_targetILNS1_3genE10ELNS1_11target_archE1200ELNS1_3gpuE4ELNS1_3repE0EEENS1_30default_config_static_selectorELNS0_4arch9wavefront6targetE0EEEvT1_
; %bb.0:
	s_endpgm
	.section	.rodata,"a",@progbits
	.p2align	6, 0x0
	.amdhsa_kernel _ZN7rocprim17ROCPRIM_400000_NS6detail17trampoline_kernelINS0_14default_configENS1_25partition_config_selectorILNS1_17partition_subalgoE6EyNS0_10empty_typeEbEEZZNS1_14partition_implILS5_6ELb0ES3_mN6thrust23THRUST_200600_302600_NS6detail15normal_iteratorINSA_10device_ptrIyEEEEPS6_SG_NS0_5tupleIJSF_S6_EEENSH_IJSG_SG_EEES6_PlJNSB_9not_fun_tINSB_14equal_to_valueIyEEEEEEE10hipError_tPvRmT3_T4_T5_T6_T7_T9_mT8_P12ihipStream_tbDpT10_ENKUlT_T0_E_clISt17integral_constantIbLb1EES17_IbLb0EEEEDaS13_S14_EUlS13_E_NS1_11comp_targetILNS1_3genE10ELNS1_11target_archE1200ELNS1_3gpuE4ELNS1_3repE0EEENS1_30default_config_static_selectorELNS0_4arch9wavefront6targetE0EEEvT1_
		.amdhsa_group_segment_fixed_size 0
		.amdhsa_private_segment_fixed_size 0
		.amdhsa_kernarg_size 120
		.amdhsa_user_sgpr_count 2
		.amdhsa_user_sgpr_dispatch_ptr 0
		.amdhsa_user_sgpr_queue_ptr 0
		.amdhsa_user_sgpr_kernarg_segment_ptr 1
		.amdhsa_user_sgpr_dispatch_id 0
		.amdhsa_user_sgpr_private_segment_size 0
		.amdhsa_wavefront_size32 1
		.amdhsa_uses_dynamic_stack 0
		.amdhsa_enable_private_segment 0
		.amdhsa_system_sgpr_workgroup_id_x 1
		.amdhsa_system_sgpr_workgroup_id_y 0
		.amdhsa_system_sgpr_workgroup_id_z 0
		.amdhsa_system_sgpr_workgroup_info 0
		.amdhsa_system_vgpr_workitem_id 0
		.amdhsa_next_free_vgpr 1
		.amdhsa_next_free_sgpr 1
		.amdhsa_reserve_vcc 0
		.amdhsa_float_round_mode_32 0
		.amdhsa_float_round_mode_16_64 0
		.amdhsa_float_denorm_mode_32 3
		.amdhsa_float_denorm_mode_16_64 3
		.amdhsa_fp16_overflow 0
		.amdhsa_workgroup_processor_mode 1
		.amdhsa_memory_ordered 1
		.amdhsa_forward_progress 1
		.amdhsa_inst_pref_size 1
		.amdhsa_round_robin_scheduling 0
		.amdhsa_exception_fp_ieee_invalid_op 0
		.amdhsa_exception_fp_denorm_src 0
		.amdhsa_exception_fp_ieee_div_zero 0
		.amdhsa_exception_fp_ieee_overflow 0
		.amdhsa_exception_fp_ieee_underflow 0
		.amdhsa_exception_fp_ieee_inexact 0
		.amdhsa_exception_int_div_zero 0
	.end_amdhsa_kernel
	.section	.text._ZN7rocprim17ROCPRIM_400000_NS6detail17trampoline_kernelINS0_14default_configENS1_25partition_config_selectorILNS1_17partition_subalgoE6EyNS0_10empty_typeEbEEZZNS1_14partition_implILS5_6ELb0ES3_mN6thrust23THRUST_200600_302600_NS6detail15normal_iteratorINSA_10device_ptrIyEEEEPS6_SG_NS0_5tupleIJSF_S6_EEENSH_IJSG_SG_EEES6_PlJNSB_9not_fun_tINSB_14equal_to_valueIyEEEEEEE10hipError_tPvRmT3_T4_T5_T6_T7_T9_mT8_P12ihipStream_tbDpT10_ENKUlT_T0_E_clISt17integral_constantIbLb1EES17_IbLb0EEEEDaS13_S14_EUlS13_E_NS1_11comp_targetILNS1_3genE10ELNS1_11target_archE1200ELNS1_3gpuE4ELNS1_3repE0EEENS1_30default_config_static_selectorELNS0_4arch9wavefront6targetE0EEEvT1_,"axG",@progbits,_ZN7rocprim17ROCPRIM_400000_NS6detail17trampoline_kernelINS0_14default_configENS1_25partition_config_selectorILNS1_17partition_subalgoE6EyNS0_10empty_typeEbEEZZNS1_14partition_implILS5_6ELb0ES3_mN6thrust23THRUST_200600_302600_NS6detail15normal_iteratorINSA_10device_ptrIyEEEEPS6_SG_NS0_5tupleIJSF_S6_EEENSH_IJSG_SG_EEES6_PlJNSB_9not_fun_tINSB_14equal_to_valueIyEEEEEEE10hipError_tPvRmT3_T4_T5_T6_T7_T9_mT8_P12ihipStream_tbDpT10_ENKUlT_T0_E_clISt17integral_constantIbLb1EES17_IbLb0EEEEDaS13_S14_EUlS13_E_NS1_11comp_targetILNS1_3genE10ELNS1_11target_archE1200ELNS1_3gpuE4ELNS1_3repE0EEENS1_30default_config_static_selectorELNS0_4arch9wavefront6targetE0EEEvT1_,comdat
.Lfunc_end362:
	.size	_ZN7rocprim17ROCPRIM_400000_NS6detail17trampoline_kernelINS0_14default_configENS1_25partition_config_selectorILNS1_17partition_subalgoE6EyNS0_10empty_typeEbEEZZNS1_14partition_implILS5_6ELb0ES3_mN6thrust23THRUST_200600_302600_NS6detail15normal_iteratorINSA_10device_ptrIyEEEEPS6_SG_NS0_5tupleIJSF_S6_EEENSH_IJSG_SG_EEES6_PlJNSB_9not_fun_tINSB_14equal_to_valueIyEEEEEEE10hipError_tPvRmT3_T4_T5_T6_T7_T9_mT8_P12ihipStream_tbDpT10_ENKUlT_T0_E_clISt17integral_constantIbLb1EES17_IbLb0EEEEDaS13_S14_EUlS13_E_NS1_11comp_targetILNS1_3genE10ELNS1_11target_archE1200ELNS1_3gpuE4ELNS1_3repE0EEENS1_30default_config_static_selectorELNS0_4arch9wavefront6targetE0EEEvT1_, .Lfunc_end362-_ZN7rocprim17ROCPRIM_400000_NS6detail17trampoline_kernelINS0_14default_configENS1_25partition_config_selectorILNS1_17partition_subalgoE6EyNS0_10empty_typeEbEEZZNS1_14partition_implILS5_6ELb0ES3_mN6thrust23THRUST_200600_302600_NS6detail15normal_iteratorINSA_10device_ptrIyEEEEPS6_SG_NS0_5tupleIJSF_S6_EEENSH_IJSG_SG_EEES6_PlJNSB_9not_fun_tINSB_14equal_to_valueIyEEEEEEE10hipError_tPvRmT3_T4_T5_T6_T7_T9_mT8_P12ihipStream_tbDpT10_ENKUlT_T0_E_clISt17integral_constantIbLb1EES17_IbLb0EEEEDaS13_S14_EUlS13_E_NS1_11comp_targetILNS1_3genE10ELNS1_11target_archE1200ELNS1_3gpuE4ELNS1_3repE0EEENS1_30default_config_static_selectorELNS0_4arch9wavefront6targetE0EEEvT1_
                                        ; -- End function
	.set _ZN7rocprim17ROCPRIM_400000_NS6detail17trampoline_kernelINS0_14default_configENS1_25partition_config_selectorILNS1_17partition_subalgoE6EyNS0_10empty_typeEbEEZZNS1_14partition_implILS5_6ELb0ES3_mN6thrust23THRUST_200600_302600_NS6detail15normal_iteratorINSA_10device_ptrIyEEEEPS6_SG_NS0_5tupleIJSF_S6_EEENSH_IJSG_SG_EEES6_PlJNSB_9not_fun_tINSB_14equal_to_valueIyEEEEEEE10hipError_tPvRmT3_T4_T5_T6_T7_T9_mT8_P12ihipStream_tbDpT10_ENKUlT_T0_E_clISt17integral_constantIbLb1EES17_IbLb0EEEEDaS13_S14_EUlS13_E_NS1_11comp_targetILNS1_3genE10ELNS1_11target_archE1200ELNS1_3gpuE4ELNS1_3repE0EEENS1_30default_config_static_selectorELNS0_4arch9wavefront6targetE0EEEvT1_.num_vgpr, 0
	.set _ZN7rocprim17ROCPRIM_400000_NS6detail17trampoline_kernelINS0_14default_configENS1_25partition_config_selectorILNS1_17partition_subalgoE6EyNS0_10empty_typeEbEEZZNS1_14partition_implILS5_6ELb0ES3_mN6thrust23THRUST_200600_302600_NS6detail15normal_iteratorINSA_10device_ptrIyEEEEPS6_SG_NS0_5tupleIJSF_S6_EEENSH_IJSG_SG_EEES6_PlJNSB_9not_fun_tINSB_14equal_to_valueIyEEEEEEE10hipError_tPvRmT3_T4_T5_T6_T7_T9_mT8_P12ihipStream_tbDpT10_ENKUlT_T0_E_clISt17integral_constantIbLb1EES17_IbLb0EEEEDaS13_S14_EUlS13_E_NS1_11comp_targetILNS1_3genE10ELNS1_11target_archE1200ELNS1_3gpuE4ELNS1_3repE0EEENS1_30default_config_static_selectorELNS0_4arch9wavefront6targetE0EEEvT1_.num_agpr, 0
	.set _ZN7rocprim17ROCPRIM_400000_NS6detail17trampoline_kernelINS0_14default_configENS1_25partition_config_selectorILNS1_17partition_subalgoE6EyNS0_10empty_typeEbEEZZNS1_14partition_implILS5_6ELb0ES3_mN6thrust23THRUST_200600_302600_NS6detail15normal_iteratorINSA_10device_ptrIyEEEEPS6_SG_NS0_5tupleIJSF_S6_EEENSH_IJSG_SG_EEES6_PlJNSB_9not_fun_tINSB_14equal_to_valueIyEEEEEEE10hipError_tPvRmT3_T4_T5_T6_T7_T9_mT8_P12ihipStream_tbDpT10_ENKUlT_T0_E_clISt17integral_constantIbLb1EES17_IbLb0EEEEDaS13_S14_EUlS13_E_NS1_11comp_targetILNS1_3genE10ELNS1_11target_archE1200ELNS1_3gpuE4ELNS1_3repE0EEENS1_30default_config_static_selectorELNS0_4arch9wavefront6targetE0EEEvT1_.numbered_sgpr, 0
	.set _ZN7rocprim17ROCPRIM_400000_NS6detail17trampoline_kernelINS0_14default_configENS1_25partition_config_selectorILNS1_17partition_subalgoE6EyNS0_10empty_typeEbEEZZNS1_14partition_implILS5_6ELb0ES3_mN6thrust23THRUST_200600_302600_NS6detail15normal_iteratorINSA_10device_ptrIyEEEEPS6_SG_NS0_5tupleIJSF_S6_EEENSH_IJSG_SG_EEES6_PlJNSB_9not_fun_tINSB_14equal_to_valueIyEEEEEEE10hipError_tPvRmT3_T4_T5_T6_T7_T9_mT8_P12ihipStream_tbDpT10_ENKUlT_T0_E_clISt17integral_constantIbLb1EES17_IbLb0EEEEDaS13_S14_EUlS13_E_NS1_11comp_targetILNS1_3genE10ELNS1_11target_archE1200ELNS1_3gpuE4ELNS1_3repE0EEENS1_30default_config_static_selectorELNS0_4arch9wavefront6targetE0EEEvT1_.num_named_barrier, 0
	.set _ZN7rocprim17ROCPRIM_400000_NS6detail17trampoline_kernelINS0_14default_configENS1_25partition_config_selectorILNS1_17partition_subalgoE6EyNS0_10empty_typeEbEEZZNS1_14partition_implILS5_6ELb0ES3_mN6thrust23THRUST_200600_302600_NS6detail15normal_iteratorINSA_10device_ptrIyEEEEPS6_SG_NS0_5tupleIJSF_S6_EEENSH_IJSG_SG_EEES6_PlJNSB_9not_fun_tINSB_14equal_to_valueIyEEEEEEE10hipError_tPvRmT3_T4_T5_T6_T7_T9_mT8_P12ihipStream_tbDpT10_ENKUlT_T0_E_clISt17integral_constantIbLb1EES17_IbLb0EEEEDaS13_S14_EUlS13_E_NS1_11comp_targetILNS1_3genE10ELNS1_11target_archE1200ELNS1_3gpuE4ELNS1_3repE0EEENS1_30default_config_static_selectorELNS0_4arch9wavefront6targetE0EEEvT1_.private_seg_size, 0
	.set _ZN7rocprim17ROCPRIM_400000_NS6detail17trampoline_kernelINS0_14default_configENS1_25partition_config_selectorILNS1_17partition_subalgoE6EyNS0_10empty_typeEbEEZZNS1_14partition_implILS5_6ELb0ES3_mN6thrust23THRUST_200600_302600_NS6detail15normal_iteratorINSA_10device_ptrIyEEEEPS6_SG_NS0_5tupleIJSF_S6_EEENSH_IJSG_SG_EEES6_PlJNSB_9not_fun_tINSB_14equal_to_valueIyEEEEEEE10hipError_tPvRmT3_T4_T5_T6_T7_T9_mT8_P12ihipStream_tbDpT10_ENKUlT_T0_E_clISt17integral_constantIbLb1EES17_IbLb0EEEEDaS13_S14_EUlS13_E_NS1_11comp_targetILNS1_3genE10ELNS1_11target_archE1200ELNS1_3gpuE4ELNS1_3repE0EEENS1_30default_config_static_selectorELNS0_4arch9wavefront6targetE0EEEvT1_.uses_vcc, 0
	.set _ZN7rocprim17ROCPRIM_400000_NS6detail17trampoline_kernelINS0_14default_configENS1_25partition_config_selectorILNS1_17partition_subalgoE6EyNS0_10empty_typeEbEEZZNS1_14partition_implILS5_6ELb0ES3_mN6thrust23THRUST_200600_302600_NS6detail15normal_iteratorINSA_10device_ptrIyEEEEPS6_SG_NS0_5tupleIJSF_S6_EEENSH_IJSG_SG_EEES6_PlJNSB_9not_fun_tINSB_14equal_to_valueIyEEEEEEE10hipError_tPvRmT3_T4_T5_T6_T7_T9_mT8_P12ihipStream_tbDpT10_ENKUlT_T0_E_clISt17integral_constantIbLb1EES17_IbLb0EEEEDaS13_S14_EUlS13_E_NS1_11comp_targetILNS1_3genE10ELNS1_11target_archE1200ELNS1_3gpuE4ELNS1_3repE0EEENS1_30default_config_static_selectorELNS0_4arch9wavefront6targetE0EEEvT1_.uses_flat_scratch, 0
	.set _ZN7rocprim17ROCPRIM_400000_NS6detail17trampoline_kernelINS0_14default_configENS1_25partition_config_selectorILNS1_17partition_subalgoE6EyNS0_10empty_typeEbEEZZNS1_14partition_implILS5_6ELb0ES3_mN6thrust23THRUST_200600_302600_NS6detail15normal_iteratorINSA_10device_ptrIyEEEEPS6_SG_NS0_5tupleIJSF_S6_EEENSH_IJSG_SG_EEES6_PlJNSB_9not_fun_tINSB_14equal_to_valueIyEEEEEEE10hipError_tPvRmT3_T4_T5_T6_T7_T9_mT8_P12ihipStream_tbDpT10_ENKUlT_T0_E_clISt17integral_constantIbLb1EES17_IbLb0EEEEDaS13_S14_EUlS13_E_NS1_11comp_targetILNS1_3genE10ELNS1_11target_archE1200ELNS1_3gpuE4ELNS1_3repE0EEENS1_30default_config_static_selectorELNS0_4arch9wavefront6targetE0EEEvT1_.has_dyn_sized_stack, 0
	.set _ZN7rocprim17ROCPRIM_400000_NS6detail17trampoline_kernelINS0_14default_configENS1_25partition_config_selectorILNS1_17partition_subalgoE6EyNS0_10empty_typeEbEEZZNS1_14partition_implILS5_6ELb0ES3_mN6thrust23THRUST_200600_302600_NS6detail15normal_iteratorINSA_10device_ptrIyEEEEPS6_SG_NS0_5tupleIJSF_S6_EEENSH_IJSG_SG_EEES6_PlJNSB_9not_fun_tINSB_14equal_to_valueIyEEEEEEE10hipError_tPvRmT3_T4_T5_T6_T7_T9_mT8_P12ihipStream_tbDpT10_ENKUlT_T0_E_clISt17integral_constantIbLb1EES17_IbLb0EEEEDaS13_S14_EUlS13_E_NS1_11comp_targetILNS1_3genE10ELNS1_11target_archE1200ELNS1_3gpuE4ELNS1_3repE0EEENS1_30default_config_static_selectorELNS0_4arch9wavefront6targetE0EEEvT1_.has_recursion, 0
	.set _ZN7rocprim17ROCPRIM_400000_NS6detail17trampoline_kernelINS0_14default_configENS1_25partition_config_selectorILNS1_17partition_subalgoE6EyNS0_10empty_typeEbEEZZNS1_14partition_implILS5_6ELb0ES3_mN6thrust23THRUST_200600_302600_NS6detail15normal_iteratorINSA_10device_ptrIyEEEEPS6_SG_NS0_5tupleIJSF_S6_EEENSH_IJSG_SG_EEES6_PlJNSB_9not_fun_tINSB_14equal_to_valueIyEEEEEEE10hipError_tPvRmT3_T4_T5_T6_T7_T9_mT8_P12ihipStream_tbDpT10_ENKUlT_T0_E_clISt17integral_constantIbLb1EES17_IbLb0EEEEDaS13_S14_EUlS13_E_NS1_11comp_targetILNS1_3genE10ELNS1_11target_archE1200ELNS1_3gpuE4ELNS1_3repE0EEENS1_30default_config_static_selectorELNS0_4arch9wavefront6targetE0EEEvT1_.has_indirect_call, 0
	.section	.AMDGPU.csdata,"",@progbits
; Kernel info:
; codeLenInByte = 4
; TotalNumSgprs: 0
; NumVgprs: 0
; ScratchSize: 0
; MemoryBound: 0
; FloatMode: 240
; IeeeMode: 1
; LDSByteSize: 0 bytes/workgroup (compile time only)
; SGPRBlocks: 0
; VGPRBlocks: 0
; NumSGPRsForWavesPerEU: 1
; NumVGPRsForWavesPerEU: 1
; Occupancy: 16
; WaveLimiterHint : 0
; COMPUTE_PGM_RSRC2:SCRATCH_EN: 0
; COMPUTE_PGM_RSRC2:USER_SGPR: 2
; COMPUTE_PGM_RSRC2:TRAP_HANDLER: 0
; COMPUTE_PGM_RSRC2:TGID_X_EN: 1
; COMPUTE_PGM_RSRC2:TGID_Y_EN: 0
; COMPUTE_PGM_RSRC2:TGID_Z_EN: 0
; COMPUTE_PGM_RSRC2:TIDIG_COMP_CNT: 0
	.section	.text._ZN7rocprim17ROCPRIM_400000_NS6detail17trampoline_kernelINS0_14default_configENS1_25partition_config_selectorILNS1_17partition_subalgoE6EyNS0_10empty_typeEbEEZZNS1_14partition_implILS5_6ELb0ES3_mN6thrust23THRUST_200600_302600_NS6detail15normal_iteratorINSA_10device_ptrIyEEEEPS6_SG_NS0_5tupleIJSF_S6_EEENSH_IJSG_SG_EEES6_PlJNSB_9not_fun_tINSB_14equal_to_valueIyEEEEEEE10hipError_tPvRmT3_T4_T5_T6_T7_T9_mT8_P12ihipStream_tbDpT10_ENKUlT_T0_E_clISt17integral_constantIbLb1EES17_IbLb0EEEEDaS13_S14_EUlS13_E_NS1_11comp_targetILNS1_3genE9ELNS1_11target_archE1100ELNS1_3gpuE3ELNS1_3repE0EEENS1_30default_config_static_selectorELNS0_4arch9wavefront6targetE0EEEvT1_,"axG",@progbits,_ZN7rocprim17ROCPRIM_400000_NS6detail17trampoline_kernelINS0_14default_configENS1_25partition_config_selectorILNS1_17partition_subalgoE6EyNS0_10empty_typeEbEEZZNS1_14partition_implILS5_6ELb0ES3_mN6thrust23THRUST_200600_302600_NS6detail15normal_iteratorINSA_10device_ptrIyEEEEPS6_SG_NS0_5tupleIJSF_S6_EEENSH_IJSG_SG_EEES6_PlJNSB_9not_fun_tINSB_14equal_to_valueIyEEEEEEE10hipError_tPvRmT3_T4_T5_T6_T7_T9_mT8_P12ihipStream_tbDpT10_ENKUlT_T0_E_clISt17integral_constantIbLb1EES17_IbLb0EEEEDaS13_S14_EUlS13_E_NS1_11comp_targetILNS1_3genE9ELNS1_11target_archE1100ELNS1_3gpuE3ELNS1_3repE0EEENS1_30default_config_static_selectorELNS0_4arch9wavefront6targetE0EEEvT1_,comdat
	.protected	_ZN7rocprim17ROCPRIM_400000_NS6detail17trampoline_kernelINS0_14default_configENS1_25partition_config_selectorILNS1_17partition_subalgoE6EyNS0_10empty_typeEbEEZZNS1_14partition_implILS5_6ELb0ES3_mN6thrust23THRUST_200600_302600_NS6detail15normal_iteratorINSA_10device_ptrIyEEEEPS6_SG_NS0_5tupleIJSF_S6_EEENSH_IJSG_SG_EEES6_PlJNSB_9not_fun_tINSB_14equal_to_valueIyEEEEEEE10hipError_tPvRmT3_T4_T5_T6_T7_T9_mT8_P12ihipStream_tbDpT10_ENKUlT_T0_E_clISt17integral_constantIbLb1EES17_IbLb0EEEEDaS13_S14_EUlS13_E_NS1_11comp_targetILNS1_3genE9ELNS1_11target_archE1100ELNS1_3gpuE3ELNS1_3repE0EEENS1_30default_config_static_selectorELNS0_4arch9wavefront6targetE0EEEvT1_ ; -- Begin function _ZN7rocprim17ROCPRIM_400000_NS6detail17trampoline_kernelINS0_14default_configENS1_25partition_config_selectorILNS1_17partition_subalgoE6EyNS0_10empty_typeEbEEZZNS1_14partition_implILS5_6ELb0ES3_mN6thrust23THRUST_200600_302600_NS6detail15normal_iteratorINSA_10device_ptrIyEEEEPS6_SG_NS0_5tupleIJSF_S6_EEENSH_IJSG_SG_EEES6_PlJNSB_9not_fun_tINSB_14equal_to_valueIyEEEEEEE10hipError_tPvRmT3_T4_T5_T6_T7_T9_mT8_P12ihipStream_tbDpT10_ENKUlT_T0_E_clISt17integral_constantIbLb1EES17_IbLb0EEEEDaS13_S14_EUlS13_E_NS1_11comp_targetILNS1_3genE9ELNS1_11target_archE1100ELNS1_3gpuE3ELNS1_3repE0EEENS1_30default_config_static_selectorELNS0_4arch9wavefront6targetE0EEEvT1_
	.globl	_ZN7rocprim17ROCPRIM_400000_NS6detail17trampoline_kernelINS0_14default_configENS1_25partition_config_selectorILNS1_17partition_subalgoE6EyNS0_10empty_typeEbEEZZNS1_14partition_implILS5_6ELb0ES3_mN6thrust23THRUST_200600_302600_NS6detail15normal_iteratorINSA_10device_ptrIyEEEEPS6_SG_NS0_5tupleIJSF_S6_EEENSH_IJSG_SG_EEES6_PlJNSB_9not_fun_tINSB_14equal_to_valueIyEEEEEEE10hipError_tPvRmT3_T4_T5_T6_T7_T9_mT8_P12ihipStream_tbDpT10_ENKUlT_T0_E_clISt17integral_constantIbLb1EES17_IbLb0EEEEDaS13_S14_EUlS13_E_NS1_11comp_targetILNS1_3genE9ELNS1_11target_archE1100ELNS1_3gpuE3ELNS1_3repE0EEENS1_30default_config_static_selectorELNS0_4arch9wavefront6targetE0EEEvT1_
	.p2align	8
	.type	_ZN7rocprim17ROCPRIM_400000_NS6detail17trampoline_kernelINS0_14default_configENS1_25partition_config_selectorILNS1_17partition_subalgoE6EyNS0_10empty_typeEbEEZZNS1_14partition_implILS5_6ELb0ES3_mN6thrust23THRUST_200600_302600_NS6detail15normal_iteratorINSA_10device_ptrIyEEEEPS6_SG_NS0_5tupleIJSF_S6_EEENSH_IJSG_SG_EEES6_PlJNSB_9not_fun_tINSB_14equal_to_valueIyEEEEEEE10hipError_tPvRmT3_T4_T5_T6_T7_T9_mT8_P12ihipStream_tbDpT10_ENKUlT_T0_E_clISt17integral_constantIbLb1EES17_IbLb0EEEEDaS13_S14_EUlS13_E_NS1_11comp_targetILNS1_3genE9ELNS1_11target_archE1100ELNS1_3gpuE3ELNS1_3repE0EEENS1_30default_config_static_selectorELNS0_4arch9wavefront6targetE0EEEvT1_,@function
_ZN7rocprim17ROCPRIM_400000_NS6detail17trampoline_kernelINS0_14default_configENS1_25partition_config_selectorILNS1_17partition_subalgoE6EyNS0_10empty_typeEbEEZZNS1_14partition_implILS5_6ELb0ES3_mN6thrust23THRUST_200600_302600_NS6detail15normal_iteratorINSA_10device_ptrIyEEEEPS6_SG_NS0_5tupleIJSF_S6_EEENSH_IJSG_SG_EEES6_PlJNSB_9not_fun_tINSB_14equal_to_valueIyEEEEEEE10hipError_tPvRmT3_T4_T5_T6_T7_T9_mT8_P12ihipStream_tbDpT10_ENKUlT_T0_E_clISt17integral_constantIbLb1EES17_IbLb0EEEEDaS13_S14_EUlS13_E_NS1_11comp_targetILNS1_3genE9ELNS1_11target_archE1100ELNS1_3gpuE3ELNS1_3repE0EEENS1_30default_config_static_selectorELNS0_4arch9wavefront6targetE0EEEvT1_: ; @_ZN7rocprim17ROCPRIM_400000_NS6detail17trampoline_kernelINS0_14default_configENS1_25partition_config_selectorILNS1_17partition_subalgoE6EyNS0_10empty_typeEbEEZZNS1_14partition_implILS5_6ELb0ES3_mN6thrust23THRUST_200600_302600_NS6detail15normal_iteratorINSA_10device_ptrIyEEEEPS6_SG_NS0_5tupleIJSF_S6_EEENSH_IJSG_SG_EEES6_PlJNSB_9not_fun_tINSB_14equal_to_valueIyEEEEEEE10hipError_tPvRmT3_T4_T5_T6_T7_T9_mT8_P12ihipStream_tbDpT10_ENKUlT_T0_E_clISt17integral_constantIbLb1EES17_IbLb0EEEEDaS13_S14_EUlS13_E_NS1_11comp_targetILNS1_3genE9ELNS1_11target_archE1100ELNS1_3gpuE3ELNS1_3repE0EEENS1_30default_config_static_selectorELNS0_4arch9wavefront6targetE0EEEvT1_
; %bb.0:
	.section	.rodata,"a",@progbits
	.p2align	6, 0x0
	.amdhsa_kernel _ZN7rocprim17ROCPRIM_400000_NS6detail17trampoline_kernelINS0_14default_configENS1_25partition_config_selectorILNS1_17partition_subalgoE6EyNS0_10empty_typeEbEEZZNS1_14partition_implILS5_6ELb0ES3_mN6thrust23THRUST_200600_302600_NS6detail15normal_iteratorINSA_10device_ptrIyEEEEPS6_SG_NS0_5tupleIJSF_S6_EEENSH_IJSG_SG_EEES6_PlJNSB_9not_fun_tINSB_14equal_to_valueIyEEEEEEE10hipError_tPvRmT3_T4_T5_T6_T7_T9_mT8_P12ihipStream_tbDpT10_ENKUlT_T0_E_clISt17integral_constantIbLb1EES17_IbLb0EEEEDaS13_S14_EUlS13_E_NS1_11comp_targetILNS1_3genE9ELNS1_11target_archE1100ELNS1_3gpuE3ELNS1_3repE0EEENS1_30default_config_static_selectorELNS0_4arch9wavefront6targetE0EEEvT1_
		.amdhsa_group_segment_fixed_size 0
		.amdhsa_private_segment_fixed_size 0
		.amdhsa_kernarg_size 120
		.amdhsa_user_sgpr_count 2
		.amdhsa_user_sgpr_dispatch_ptr 0
		.amdhsa_user_sgpr_queue_ptr 0
		.amdhsa_user_sgpr_kernarg_segment_ptr 1
		.amdhsa_user_sgpr_dispatch_id 0
		.amdhsa_user_sgpr_private_segment_size 0
		.amdhsa_wavefront_size32 1
		.amdhsa_uses_dynamic_stack 0
		.amdhsa_enable_private_segment 0
		.amdhsa_system_sgpr_workgroup_id_x 1
		.amdhsa_system_sgpr_workgroup_id_y 0
		.amdhsa_system_sgpr_workgroup_id_z 0
		.amdhsa_system_sgpr_workgroup_info 0
		.amdhsa_system_vgpr_workitem_id 0
		.amdhsa_next_free_vgpr 1
		.amdhsa_next_free_sgpr 1
		.amdhsa_reserve_vcc 0
		.amdhsa_float_round_mode_32 0
		.amdhsa_float_round_mode_16_64 0
		.amdhsa_float_denorm_mode_32 3
		.amdhsa_float_denorm_mode_16_64 3
		.amdhsa_fp16_overflow 0
		.amdhsa_workgroup_processor_mode 1
		.amdhsa_memory_ordered 1
		.amdhsa_forward_progress 1
		.amdhsa_inst_pref_size 0
		.amdhsa_round_robin_scheduling 0
		.amdhsa_exception_fp_ieee_invalid_op 0
		.amdhsa_exception_fp_denorm_src 0
		.amdhsa_exception_fp_ieee_div_zero 0
		.amdhsa_exception_fp_ieee_overflow 0
		.amdhsa_exception_fp_ieee_underflow 0
		.amdhsa_exception_fp_ieee_inexact 0
		.amdhsa_exception_int_div_zero 0
	.end_amdhsa_kernel
	.section	.text._ZN7rocprim17ROCPRIM_400000_NS6detail17trampoline_kernelINS0_14default_configENS1_25partition_config_selectorILNS1_17partition_subalgoE6EyNS0_10empty_typeEbEEZZNS1_14partition_implILS5_6ELb0ES3_mN6thrust23THRUST_200600_302600_NS6detail15normal_iteratorINSA_10device_ptrIyEEEEPS6_SG_NS0_5tupleIJSF_S6_EEENSH_IJSG_SG_EEES6_PlJNSB_9not_fun_tINSB_14equal_to_valueIyEEEEEEE10hipError_tPvRmT3_T4_T5_T6_T7_T9_mT8_P12ihipStream_tbDpT10_ENKUlT_T0_E_clISt17integral_constantIbLb1EES17_IbLb0EEEEDaS13_S14_EUlS13_E_NS1_11comp_targetILNS1_3genE9ELNS1_11target_archE1100ELNS1_3gpuE3ELNS1_3repE0EEENS1_30default_config_static_selectorELNS0_4arch9wavefront6targetE0EEEvT1_,"axG",@progbits,_ZN7rocprim17ROCPRIM_400000_NS6detail17trampoline_kernelINS0_14default_configENS1_25partition_config_selectorILNS1_17partition_subalgoE6EyNS0_10empty_typeEbEEZZNS1_14partition_implILS5_6ELb0ES3_mN6thrust23THRUST_200600_302600_NS6detail15normal_iteratorINSA_10device_ptrIyEEEEPS6_SG_NS0_5tupleIJSF_S6_EEENSH_IJSG_SG_EEES6_PlJNSB_9not_fun_tINSB_14equal_to_valueIyEEEEEEE10hipError_tPvRmT3_T4_T5_T6_T7_T9_mT8_P12ihipStream_tbDpT10_ENKUlT_T0_E_clISt17integral_constantIbLb1EES17_IbLb0EEEEDaS13_S14_EUlS13_E_NS1_11comp_targetILNS1_3genE9ELNS1_11target_archE1100ELNS1_3gpuE3ELNS1_3repE0EEENS1_30default_config_static_selectorELNS0_4arch9wavefront6targetE0EEEvT1_,comdat
.Lfunc_end363:
	.size	_ZN7rocprim17ROCPRIM_400000_NS6detail17trampoline_kernelINS0_14default_configENS1_25partition_config_selectorILNS1_17partition_subalgoE6EyNS0_10empty_typeEbEEZZNS1_14partition_implILS5_6ELb0ES3_mN6thrust23THRUST_200600_302600_NS6detail15normal_iteratorINSA_10device_ptrIyEEEEPS6_SG_NS0_5tupleIJSF_S6_EEENSH_IJSG_SG_EEES6_PlJNSB_9not_fun_tINSB_14equal_to_valueIyEEEEEEE10hipError_tPvRmT3_T4_T5_T6_T7_T9_mT8_P12ihipStream_tbDpT10_ENKUlT_T0_E_clISt17integral_constantIbLb1EES17_IbLb0EEEEDaS13_S14_EUlS13_E_NS1_11comp_targetILNS1_3genE9ELNS1_11target_archE1100ELNS1_3gpuE3ELNS1_3repE0EEENS1_30default_config_static_selectorELNS0_4arch9wavefront6targetE0EEEvT1_, .Lfunc_end363-_ZN7rocprim17ROCPRIM_400000_NS6detail17trampoline_kernelINS0_14default_configENS1_25partition_config_selectorILNS1_17partition_subalgoE6EyNS0_10empty_typeEbEEZZNS1_14partition_implILS5_6ELb0ES3_mN6thrust23THRUST_200600_302600_NS6detail15normal_iteratorINSA_10device_ptrIyEEEEPS6_SG_NS0_5tupleIJSF_S6_EEENSH_IJSG_SG_EEES6_PlJNSB_9not_fun_tINSB_14equal_to_valueIyEEEEEEE10hipError_tPvRmT3_T4_T5_T6_T7_T9_mT8_P12ihipStream_tbDpT10_ENKUlT_T0_E_clISt17integral_constantIbLb1EES17_IbLb0EEEEDaS13_S14_EUlS13_E_NS1_11comp_targetILNS1_3genE9ELNS1_11target_archE1100ELNS1_3gpuE3ELNS1_3repE0EEENS1_30default_config_static_selectorELNS0_4arch9wavefront6targetE0EEEvT1_
                                        ; -- End function
	.set _ZN7rocprim17ROCPRIM_400000_NS6detail17trampoline_kernelINS0_14default_configENS1_25partition_config_selectorILNS1_17partition_subalgoE6EyNS0_10empty_typeEbEEZZNS1_14partition_implILS5_6ELb0ES3_mN6thrust23THRUST_200600_302600_NS6detail15normal_iteratorINSA_10device_ptrIyEEEEPS6_SG_NS0_5tupleIJSF_S6_EEENSH_IJSG_SG_EEES6_PlJNSB_9not_fun_tINSB_14equal_to_valueIyEEEEEEE10hipError_tPvRmT3_T4_T5_T6_T7_T9_mT8_P12ihipStream_tbDpT10_ENKUlT_T0_E_clISt17integral_constantIbLb1EES17_IbLb0EEEEDaS13_S14_EUlS13_E_NS1_11comp_targetILNS1_3genE9ELNS1_11target_archE1100ELNS1_3gpuE3ELNS1_3repE0EEENS1_30default_config_static_selectorELNS0_4arch9wavefront6targetE0EEEvT1_.num_vgpr, 0
	.set _ZN7rocprim17ROCPRIM_400000_NS6detail17trampoline_kernelINS0_14default_configENS1_25partition_config_selectorILNS1_17partition_subalgoE6EyNS0_10empty_typeEbEEZZNS1_14partition_implILS5_6ELb0ES3_mN6thrust23THRUST_200600_302600_NS6detail15normal_iteratorINSA_10device_ptrIyEEEEPS6_SG_NS0_5tupleIJSF_S6_EEENSH_IJSG_SG_EEES6_PlJNSB_9not_fun_tINSB_14equal_to_valueIyEEEEEEE10hipError_tPvRmT3_T4_T5_T6_T7_T9_mT8_P12ihipStream_tbDpT10_ENKUlT_T0_E_clISt17integral_constantIbLb1EES17_IbLb0EEEEDaS13_S14_EUlS13_E_NS1_11comp_targetILNS1_3genE9ELNS1_11target_archE1100ELNS1_3gpuE3ELNS1_3repE0EEENS1_30default_config_static_selectorELNS0_4arch9wavefront6targetE0EEEvT1_.num_agpr, 0
	.set _ZN7rocprim17ROCPRIM_400000_NS6detail17trampoline_kernelINS0_14default_configENS1_25partition_config_selectorILNS1_17partition_subalgoE6EyNS0_10empty_typeEbEEZZNS1_14partition_implILS5_6ELb0ES3_mN6thrust23THRUST_200600_302600_NS6detail15normal_iteratorINSA_10device_ptrIyEEEEPS6_SG_NS0_5tupleIJSF_S6_EEENSH_IJSG_SG_EEES6_PlJNSB_9not_fun_tINSB_14equal_to_valueIyEEEEEEE10hipError_tPvRmT3_T4_T5_T6_T7_T9_mT8_P12ihipStream_tbDpT10_ENKUlT_T0_E_clISt17integral_constantIbLb1EES17_IbLb0EEEEDaS13_S14_EUlS13_E_NS1_11comp_targetILNS1_3genE9ELNS1_11target_archE1100ELNS1_3gpuE3ELNS1_3repE0EEENS1_30default_config_static_selectorELNS0_4arch9wavefront6targetE0EEEvT1_.numbered_sgpr, 0
	.set _ZN7rocprim17ROCPRIM_400000_NS6detail17trampoline_kernelINS0_14default_configENS1_25partition_config_selectorILNS1_17partition_subalgoE6EyNS0_10empty_typeEbEEZZNS1_14partition_implILS5_6ELb0ES3_mN6thrust23THRUST_200600_302600_NS6detail15normal_iteratorINSA_10device_ptrIyEEEEPS6_SG_NS0_5tupleIJSF_S6_EEENSH_IJSG_SG_EEES6_PlJNSB_9not_fun_tINSB_14equal_to_valueIyEEEEEEE10hipError_tPvRmT3_T4_T5_T6_T7_T9_mT8_P12ihipStream_tbDpT10_ENKUlT_T0_E_clISt17integral_constantIbLb1EES17_IbLb0EEEEDaS13_S14_EUlS13_E_NS1_11comp_targetILNS1_3genE9ELNS1_11target_archE1100ELNS1_3gpuE3ELNS1_3repE0EEENS1_30default_config_static_selectorELNS0_4arch9wavefront6targetE0EEEvT1_.num_named_barrier, 0
	.set _ZN7rocprim17ROCPRIM_400000_NS6detail17trampoline_kernelINS0_14default_configENS1_25partition_config_selectorILNS1_17partition_subalgoE6EyNS0_10empty_typeEbEEZZNS1_14partition_implILS5_6ELb0ES3_mN6thrust23THRUST_200600_302600_NS6detail15normal_iteratorINSA_10device_ptrIyEEEEPS6_SG_NS0_5tupleIJSF_S6_EEENSH_IJSG_SG_EEES6_PlJNSB_9not_fun_tINSB_14equal_to_valueIyEEEEEEE10hipError_tPvRmT3_T4_T5_T6_T7_T9_mT8_P12ihipStream_tbDpT10_ENKUlT_T0_E_clISt17integral_constantIbLb1EES17_IbLb0EEEEDaS13_S14_EUlS13_E_NS1_11comp_targetILNS1_3genE9ELNS1_11target_archE1100ELNS1_3gpuE3ELNS1_3repE0EEENS1_30default_config_static_selectorELNS0_4arch9wavefront6targetE0EEEvT1_.private_seg_size, 0
	.set _ZN7rocprim17ROCPRIM_400000_NS6detail17trampoline_kernelINS0_14default_configENS1_25partition_config_selectorILNS1_17partition_subalgoE6EyNS0_10empty_typeEbEEZZNS1_14partition_implILS5_6ELb0ES3_mN6thrust23THRUST_200600_302600_NS6detail15normal_iteratorINSA_10device_ptrIyEEEEPS6_SG_NS0_5tupleIJSF_S6_EEENSH_IJSG_SG_EEES6_PlJNSB_9not_fun_tINSB_14equal_to_valueIyEEEEEEE10hipError_tPvRmT3_T4_T5_T6_T7_T9_mT8_P12ihipStream_tbDpT10_ENKUlT_T0_E_clISt17integral_constantIbLb1EES17_IbLb0EEEEDaS13_S14_EUlS13_E_NS1_11comp_targetILNS1_3genE9ELNS1_11target_archE1100ELNS1_3gpuE3ELNS1_3repE0EEENS1_30default_config_static_selectorELNS0_4arch9wavefront6targetE0EEEvT1_.uses_vcc, 0
	.set _ZN7rocprim17ROCPRIM_400000_NS6detail17trampoline_kernelINS0_14default_configENS1_25partition_config_selectorILNS1_17partition_subalgoE6EyNS0_10empty_typeEbEEZZNS1_14partition_implILS5_6ELb0ES3_mN6thrust23THRUST_200600_302600_NS6detail15normal_iteratorINSA_10device_ptrIyEEEEPS6_SG_NS0_5tupleIJSF_S6_EEENSH_IJSG_SG_EEES6_PlJNSB_9not_fun_tINSB_14equal_to_valueIyEEEEEEE10hipError_tPvRmT3_T4_T5_T6_T7_T9_mT8_P12ihipStream_tbDpT10_ENKUlT_T0_E_clISt17integral_constantIbLb1EES17_IbLb0EEEEDaS13_S14_EUlS13_E_NS1_11comp_targetILNS1_3genE9ELNS1_11target_archE1100ELNS1_3gpuE3ELNS1_3repE0EEENS1_30default_config_static_selectorELNS0_4arch9wavefront6targetE0EEEvT1_.uses_flat_scratch, 0
	.set _ZN7rocprim17ROCPRIM_400000_NS6detail17trampoline_kernelINS0_14default_configENS1_25partition_config_selectorILNS1_17partition_subalgoE6EyNS0_10empty_typeEbEEZZNS1_14partition_implILS5_6ELb0ES3_mN6thrust23THRUST_200600_302600_NS6detail15normal_iteratorINSA_10device_ptrIyEEEEPS6_SG_NS0_5tupleIJSF_S6_EEENSH_IJSG_SG_EEES6_PlJNSB_9not_fun_tINSB_14equal_to_valueIyEEEEEEE10hipError_tPvRmT3_T4_T5_T6_T7_T9_mT8_P12ihipStream_tbDpT10_ENKUlT_T0_E_clISt17integral_constantIbLb1EES17_IbLb0EEEEDaS13_S14_EUlS13_E_NS1_11comp_targetILNS1_3genE9ELNS1_11target_archE1100ELNS1_3gpuE3ELNS1_3repE0EEENS1_30default_config_static_selectorELNS0_4arch9wavefront6targetE0EEEvT1_.has_dyn_sized_stack, 0
	.set _ZN7rocprim17ROCPRIM_400000_NS6detail17trampoline_kernelINS0_14default_configENS1_25partition_config_selectorILNS1_17partition_subalgoE6EyNS0_10empty_typeEbEEZZNS1_14partition_implILS5_6ELb0ES3_mN6thrust23THRUST_200600_302600_NS6detail15normal_iteratorINSA_10device_ptrIyEEEEPS6_SG_NS0_5tupleIJSF_S6_EEENSH_IJSG_SG_EEES6_PlJNSB_9not_fun_tINSB_14equal_to_valueIyEEEEEEE10hipError_tPvRmT3_T4_T5_T6_T7_T9_mT8_P12ihipStream_tbDpT10_ENKUlT_T0_E_clISt17integral_constantIbLb1EES17_IbLb0EEEEDaS13_S14_EUlS13_E_NS1_11comp_targetILNS1_3genE9ELNS1_11target_archE1100ELNS1_3gpuE3ELNS1_3repE0EEENS1_30default_config_static_selectorELNS0_4arch9wavefront6targetE0EEEvT1_.has_recursion, 0
	.set _ZN7rocprim17ROCPRIM_400000_NS6detail17trampoline_kernelINS0_14default_configENS1_25partition_config_selectorILNS1_17partition_subalgoE6EyNS0_10empty_typeEbEEZZNS1_14partition_implILS5_6ELb0ES3_mN6thrust23THRUST_200600_302600_NS6detail15normal_iteratorINSA_10device_ptrIyEEEEPS6_SG_NS0_5tupleIJSF_S6_EEENSH_IJSG_SG_EEES6_PlJNSB_9not_fun_tINSB_14equal_to_valueIyEEEEEEE10hipError_tPvRmT3_T4_T5_T6_T7_T9_mT8_P12ihipStream_tbDpT10_ENKUlT_T0_E_clISt17integral_constantIbLb1EES17_IbLb0EEEEDaS13_S14_EUlS13_E_NS1_11comp_targetILNS1_3genE9ELNS1_11target_archE1100ELNS1_3gpuE3ELNS1_3repE0EEENS1_30default_config_static_selectorELNS0_4arch9wavefront6targetE0EEEvT1_.has_indirect_call, 0
	.section	.AMDGPU.csdata,"",@progbits
; Kernel info:
; codeLenInByte = 0
; TotalNumSgprs: 0
; NumVgprs: 0
; ScratchSize: 0
; MemoryBound: 0
; FloatMode: 240
; IeeeMode: 1
; LDSByteSize: 0 bytes/workgroup (compile time only)
; SGPRBlocks: 0
; VGPRBlocks: 0
; NumSGPRsForWavesPerEU: 1
; NumVGPRsForWavesPerEU: 1
; Occupancy: 16
; WaveLimiterHint : 0
; COMPUTE_PGM_RSRC2:SCRATCH_EN: 0
; COMPUTE_PGM_RSRC2:USER_SGPR: 2
; COMPUTE_PGM_RSRC2:TRAP_HANDLER: 0
; COMPUTE_PGM_RSRC2:TGID_X_EN: 1
; COMPUTE_PGM_RSRC2:TGID_Y_EN: 0
; COMPUTE_PGM_RSRC2:TGID_Z_EN: 0
; COMPUTE_PGM_RSRC2:TIDIG_COMP_CNT: 0
	.section	.text._ZN7rocprim17ROCPRIM_400000_NS6detail17trampoline_kernelINS0_14default_configENS1_25partition_config_selectorILNS1_17partition_subalgoE6EyNS0_10empty_typeEbEEZZNS1_14partition_implILS5_6ELb0ES3_mN6thrust23THRUST_200600_302600_NS6detail15normal_iteratorINSA_10device_ptrIyEEEEPS6_SG_NS0_5tupleIJSF_S6_EEENSH_IJSG_SG_EEES6_PlJNSB_9not_fun_tINSB_14equal_to_valueIyEEEEEEE10hipError_tPvRmT3_T4_T5_T6_T7_T9_mT8_P12ihipStream_tbDpT10_ENKUlT_T0_E_clISt17integral_constantIbLb1EES17_IbLb0EEEEDaS13_S14_EUlS13_E_NS1_11comp_targetILNS1_3genE8ELNS1_11target_archE1030ELNS1_3gpuE2ELNS1_3repE0EEENS1_30default_config_static_selectorELNS0_4arch9wavefront6targetE0EEEvT1_,"axG",@progbits,_ZN7rocprim17ROCPRIM_400000_NS6detail17trampoline_kernelINS0_14default_configENS1_25partition_config_selectorILNS1_17partition_subalgoE6EyNS0_10empty_typeEbEEZZNS1_14partition_implILS5_6ELb0ES3_mN6thrust23THRUST_200600_302600_NS6detail15normal_iteratorINSA_10device_ptrIyEEEEPS6_SG_NS0_5tupleIJSF_S6_EEENSH_IJSG_SG_EEES6_PlJNSB_9not_fun_tINSB_14equal_to_valueIyEEEEEEE10hipError_tPvRmT3_T4_T5_T6_T7_T9_mT8_P12ihipStream_tbDpT10_ENKUlT_T0_E_clISt17integral_constantIbLb1EES17_IbLb0EEEEDaS13_S14_EUlS13_E_NS1_11comp_targetILNS1_3genE8ELNS1_11target_archE1030ELNS1_3gpuE2ELNS1_3repE0EEENS1_30default_config_static_selectorELNS0_4arch9wavefront6targetE0EEEvT1_,comdat
	.protected	_ZN7rocprim17ROCPRIM_400000_NS6detail17trampoline_kernelINS0_14default_configENS1_25partition_config_selectorILNS1_17partition_subalgoE6EyNS0_10empty_typeEbEEZZNS1_14partition_implILS5_6ELb0ES3_mN6thrust23THRUST_200600_302600_NS6detail15normal_iteratorINSA_10device_ptrIyEEEEPS6_SG_NS0_5tupleIJSF_S6_EEENSH_IJSG_SG_EEES6_PlJNSB_9not_fun_tINSB_14equal_to_valueIyEEEEEEE10hipError_tPvRmT3_T4_T5_T6_T7_T9_mT8_P12ihipStream_tbDpT10_ENKUlT_T0_E_clISt17integral_constantIbLb1EES17_IbLb0EEEEDaS13_S14_EUlS13_E_NS1_11comp_targetILNS1_3genE8ELNS1_11target_archE1030ELNS1_3gpuE2ELNS1_3repE0EEENS1_30default_config_static_selectorELNS0_4arch9wavefront6targetE0EEEvT1_ ; -- Begin function _ZN7rocprim17ROCPRIM_400000_NS6detail17trampoline_kernelINS0_14default_configENS1_25partition_config_selectorILNS1_17partition_subalgoE6EyNS0_10empty_typeEbEEZZNS1_14partition_implILS5_6ELb0ES3_mN6thrust23THRUST_200600_302600_NS6detail15normal_iteratorINSA_10device_ptrIyEEEEPS6_SG_NS0_5tupleIJSF_S6_EEENSH_IJSG_SG_EEES6_PlJNSB_9not_fun_tINSB_14equal_to_valueIyEEEEEEE10hipError_tPvRmT3_T4_T5_T6_T7_T9_mT8_P12ihipStream_tbDpT10_ENKUlT_T0_E_clISt17integral_constantIbLb1EES17_IbLb0EEEEDaS13_S14_EUlS13_E_NS1_11comp_targetILNS1_3genE8ELNS1_11target_archE1030ELNS1_3gpuE2ELNS1_3repE0EEENS1_30default_config_static_selectorELNS0_4arch9wavefront6targetE0EEEvT1_
	.globl	_ZN7rocprim17ROCPRIM_400000_NS6detail17trampoline_kernelINS0_14default_configENS1_25partition_config_selectorILNS1_17partition_subalgoE6EyNS0_10empty_typeEbEEZZNS1_14partition_implILS5_6ELb0ES3_mN6thrust23THRUST_200600_302600_NS6detail15normal_iteratorINSA_10device_ptrIyEEEEPS6_SG_NS0_5tupleIJSF_S6_EEENSH_IJSG_SG_EEES6_PlJNSB_9not_fun_tINSB_14equal_to_valueIyEEEEEEE10hipError_tPvRmT3_T4_T5_T6_T7_T9_mT8_P12ihipStream_tbDpT10_ENKUlT_T0_E_clISt17integral_constantIbLb1EES17_IbLb0EEEEDaS13_S14_EUlS13_E_NS1_11comp_targetILNS1_3genE8ELNS1_11target_archE1030ELNS1_3gpuE2ELNS1_3repE0EEENS1_30default_config_static_selectorELNS0_4arch9wavefront6targetE0EEEvT1_
	.p2align	8
	.type	_ZN7rocprim17ROCPRIM_400000_NS6detail17trampoline_kernelINS0_14default_configENS1_25partition_config_selectorILNS1_17partition_subalgoE6EyNS0_10empty_typeEbEEZZNS1_14partition_implILS5_6ELb0ES3_mN6thrust23THRUST_200600_302600_NS6detail15normal_iteratorINSA_10device_ptrIyEEEEPS6_SG_NS0_5tupleIJSF_S6_EEENSH_IJSG_SG_EEES6_PlJNSB_9not_fun_tINSB_14equal_to_valueIyEEEEEEE10hipError_tPvRmT3_T4_T5_T6_T7_T9_mT8_P12ihipStream_tbDpT10_ENKUlT_T0_E_clISt17integral_constantIbLb1EES17_IbLb0EEEEDaS13_S14_EUlS13_E_NS1_11comp_targetILNS1_3genE8ELNS1_11target_archE1030ELNS1_3gpuE2ELNS1_3repE0EEENS1_30default_config_static_selectorELNS0_4arch9wavefront6targetE0EEEvT1_,@function
_ZN7rocprim17ROCPRIM_400000_NS6detail17trampoline_kernelINS0_14default_configENS1_25partition_config_selectorILNS1_17partition_subalgoE6EyNS0_10empty_typeEbEEZZNS1_14partition_implILS5_6ELb0ES3_mN6thrust23THRUST_200600_302600_NS6detail15normal_iteratorINSA_10device_ptrIyEEEEPS6_SG_NS0_5tupleIJSF_S6_EEENSH_IJSG_SG_EEES6_PlJNSB_9not_fun_tINSB_14equal_to_valueIyEEEEEEE10hipError_tPvRmT3_T4_T5_T6_T7_T9_mT8_P12ihipStream_tbDpT10_ENKUlT_T0_E_clISt17integral_constantIbLb1EES17_IbLb0EEEEDaS13_S14_EUlS13_E_NS1_11comp_targetILNS1_3genE8ELNS1_11target_archE1030ELNS1_3gpuE2ELNS1_3repE0EEENS1_30default_config_static_selectorELNS0_4arch9wavefront6targetE0EEEvT1_: ; @_ZN7rocprim17ROCPRIM_400000_NS6detail17trampoline_kernelINS0_14default_configENS1_25partition_config_selectorILNS1_17partition_subalgoE6EyNS0_10empty_typeEbEEZZNS1_14partition_implILS5_6ELb0ES3_mN6thrust23THRUST_200600_302600_NS6detail15normal_iteratorINSA_10device_ptrIyEEEEPS6_SG_NS0_5tupleIJSF_S6_EEENSH_IJSG_SG_EEES6_PlJNSB_9not_fun_tINSB_14equal_to_valueIyEEEEEEE10hipError_tPvRmT3_T4_T5_T6_T7_T9_mT8_P12ihipStream_tbDpT10_ENKUlT_T0_E_clISt17integral_constantIbLb1EES17_IbLb0EEEEDaS13_S14_EUlS13_E_NS1_11comp_targetILNS1_3genE8ELNS1_11target_archE1030ELNS1_3gpuE2ELNS1_3repE0EEENS1_30default_config_static_selectorELNS0_4arch9wavefront6targetE0EEEvT1_
; %bb.0:
	.section	.rodata,"a",@progbits
	.p2align	6, 0x0
	.amdhsa_kernel _ZN7rocprim17ROCPRIM_400000_NS6detail17trampoline_kernelINS0_14default_configENS1_25partition_config_selectorILNS1_17partition_subalgoE6EyNS0_10empty_typeEbEEZZNS1_14partition_implILS5_6ELb0ES3_mN6thrust23THRUST_200600_302600_NS6detail15normal_iteratorINSA_10device_ptrIyEEEEPS6_SG_NS0_5tupleIJSF_S6_EEENSH_IJSG_SG_EEES6_PlJNSB_9not_fun_tINSB_14equal_to_valueIyEEEEEEE10hipError_tPvRmT3_T4_T5_T6_T7_T9_mT8_P12ihipStream_tbDpT10_ENKUlT_T0_E_clISt17integral_constantIbLb1EES17_IbLb0EEEEDaS13_S14_EUlS13_E_NS1_11comp_targetILNS1_3genE8ELNS1_11target_archE1030ELNS1_3gpuE2ELNS1_3repE0EEENS1_30default_config_static_selectorELNS0_4arch9wavefront6targetE0EEEvT1_
		.amdhsa_group_segment_fixed_size 0
		.amdhsa_private_segment_fixed_size 0
		.amdhsa_kernarg_size 120
		.amdhsa_user_sgpr_count 2
		.amdhsa_user_sgpr_dispatch_ptr 0
		.amdhsa_user_sgpr_queue_ptr 0
		.amdhsa_user_sgpr_kernarg_segment_ptr 1
		.amdhsa_user_sgpr_dispatch_id 0
		.amdhsa_user_sgpr_private_segment_size 0
		.amdhsa_wavefront_size32 1
		.amdhsa_uses_dynamic_stack 0
		.amdhsa_enable_private_segment 0
		.amdhsa_system_sgpr_workgroup_id_x 1
		.amdhsa_system_sgpr_workgroup_id_y 0
		.amdhsa_system_sgpr_workgroup_id_z 0
		.amdhsa_system_sgpr_workgroup_info 0
		.amdhsa_system_vgpr_workitem_id 0
		.amdhsa_next_free_vgpr 1
		.amdhsa_next_free_sgpr 1
		.amdhsa_reserve_vcc 0
		.amdhsa_float_round_mode_32 0
		.amdhsa_float_round_mode_16_64 0
		.amdhsa_float_denorm_mode_32 3
		.amdhsa_float_denorm_mode_16_64 3
		.amdhsa_fp16_overflow 0
		.amdhsa_workgroup_processor_mode 1
		.amdhsa_memory_ordered 1
		.amdhsa_forward_progress 1
		.amdhsa_inst_pref_size 0
		.amdhsa_round_robin_scheduling 0
		.amdhsa_exception_fp_ieee_invalid_op 0
		.amdhsa_exception_fp_denorm_src 0
		.amdhsa_exception_fp_ieee_div_zero 0
		.amdhsa_exception_fp_ieee_overflow 0
		.amdhsa_exception_fp_ieee_underflow 0
		.amdhsa_exception_fp_ieee_inexact 0
		.amdhsa_exception_int_div_zero 0
	.end_amdhsa_kernel
	.section	.text._ZN7rocprim17ROCPRIM_400000_NS6detail17trampoline_kernelINS0_14default_configENS1_25partition_config_selectorILNS1_17partition_subalgoE6EyNS0_10empty_typeEbEEZZNS1_14partition_implILS5_6ELb0ES3_mN6thrust23THRUST_200600_302600_NS6detail15normal_iteratorINSA_10device_ptrIyEEEEPS6_SG_NS0_5tupleIJSF_S6_EEENSH_IJSG_SG_EEES6_PlJNSB_9not_fun_tINSB_14equal_to_valueIyEEEEEEE10hipError_tPvRmT3_T4_T5_T6_T7_T9_mT8_P12ihipStream_tbDpT10_ENKUlT_T0_E_clISt17integral_constantIbLb1EES17_IbLb0EEEEDaS13_S14_EUlS13_E_NS1_11comp_targetILNS1_3genE8ELNS1_11target_archE1030ELNS1_3gpuE2ELNS1_3repE0EEENS1_30default_config_static_selectorELNS0_4arch9wavefront6targetE0EEEvT1_,"axG",@progbits,_ZN7rocprim17ROCPRIM_400000_NS6detail17trampoline_kernelINS0_14default_configENS1_25partition_config_selectorILNS1_17partition_subalgoE6EyNS0_10empty_typeEbEEZZNS1_14partition_implILS5_6ELb0ES3_mN6thrust23THRUST_200600_302600_NS6detail15normal_iteratorINSA_10device_ptrIyEEEEPS6_SG_NS0_5tupleIJSF_S6_EEENSH_IJSG_SG_EEES6_PlJNSB_9not_fun_tINSB_14equal_to_valueIyEEEEEEE10hipError_tPvRmT3_T4_T5_T6_T7_T9_mT8_P12ihipStream_tbDpT10_ENKUlT_T0_E_clISt17integral_constantIbLb1EES17_IbLb0EEEEDaS13_S14_EUlS13_E_NS1_11comp_targetILNS1_3genE8ELNS1_11target_archE1030ELNS1_3gpuE2ELNS1_3repE0EEENS1_30default_config_static_selectorELNS0_4arch9wavefront6targetE0EEEvT1_,comdat
.Lfunc_end364:
	.size	_ZN7rocprim17ROCPRIM_400000_NS6detail17trampoline_kernelINS0_14default_configENS1_25partition_config_selectorILNS1_17partition_subalgoE6EyNS0_10empty_typeEbEEZZNS1_14partition_implILS5_6ELb0ES3_mN6thrust23THRUST_200600_302600_NS6detail15normal_iteratorINSA_10device_ptrIyEEEEPS6_SG_NS0_5tupleIJSF_S6_EEENSH_IJSG_SG_EEES6_PlJNSB_9not_fun_tINSB_14equal_to_valueIyEEEEEEE10hipError_tPvRmT3_T4_T5_T6_T7_T9_mT8_P12ihipStream_tbDpT10_ENKUlT_T0_E_clISt17integral_constantIbLb1EES17_IbLb0EEEEDaS13_S14_EUlS13_E_NS1_11comp_targetILNS1_3genE8ELNS1_11target_archE1030ELNS1_3gpuE2ELNS1_3repE0EEENS1_30default_config_static_selectorELNS0_4arch9wavefront6targetE0EEEvT1_, .Lfunc_end364-_ZN7rocprim17ROCPRIM_400000_NS6detail17trampoline_kernelINS0_14default_configENS1_25partition_config_selectorILNS1_17partition_subalgoE6EyNS0_10empty_typeEbEEZZNS1_14partition_implILS5_6ELb0ES3_mN6thrust23THRUST_200600_302600_NS6detail15normal_iteratorINSA_10device_ptrIyEEEEPS6_SG_NS0_5tupleIJSF_S6_EEENSH_IJSG_SG_EEES6_PlJNSB_9not_fun_tINSB_14equal_to_valueIyEEEEEEE10hipError_tPvRmT3_T4_T5_T6_T7_T9_mT8_P12ihipStream_tbDpT10_ENKUlT_T0_E_clISt17integral_constantIbLb1EES17_IbLb0EEEEDaS13_S14_EUlS13_E_NS1_11comp_targetILNS1_3genE8ELNS1_11target_archE1030ELNS1_3gpuE2ELNS1_3repE0EEENS1_30default_config_static_selectorELNS0_4arch9wavefront6targetE0EEEvT1_
                                        ; -- End function
	.set _ZN7rocprim17ROCPRIM_400000_NS6detail17trampoline_kernelINS0_14default_configENS1_25partition_config_selectorILNS1_17partition_subalgoE6EyNS0_10empty_typeEbEEZZNS1_14partition_implILS5_6ELb0ES3_mN6thrust23THRUST_200600_302600_NS6detail15normal_iteratorINSA_10device_ptrIyEEEEPS6_SG_NS0_5tupleIJSF_S6_EEENSH_IJSG_SG_EEES6_PlJNSB_9not_fun_tINSB_14equal_to_valueIyEEEEEEE10hipError_tPvRmT3_T4_T5_T6_T7_T9_mT8_P12ihipStream_tbDpT10_ENKUlT_T0_E_clISt17integral_constantIbLb1EES17_IbLb0EEEEDaS13_S14_EUlS13_E_NS1_11comp_targetILNS1_3genE8ELNS1_11target_archE1030ELNS1_3gpuE2ELNS1_3repE0EEENS1_30default_config_static_selectorELNS0_4arch9wavefront6targetE0EEEvT1_.num_vgpr, 0
	.set _ZN7rocprim17ROCPRIM_400000_NS6detail17trampoline_kernelINS0_14default_configENS1_25partition_config_selectorILNS1_17partition_subalgoE6EyNS0_10empty_typeEbEEZZNS1_14partition_implILS5_6ELb0ES3_mN6thrust23THRUST_200600_302600_NS6detail15normal_iteratorINSA_10device_ptrIyEEEEPS6_SG_NS0_5tupleIJSF_S6_EEENSH_IJSG_SG_EEES6_PlJNSB_9not_fun_tINSB_14equal_to_valueIyEEEEEEE10hipError_tPvRmT3_T4_T5_T6_T7_T9_mT8_P12ihipStream_tbDpT10_ENKUlT_T0_E_clISt17integral_constantIbLb1EES17_IbLb0EEEEDaS13_S14_EUlS13_E_NS1_11comp_targetILNS1_3genE8ELNS1_11target_archE1030ELNS1_3gpuE2ELNS1_3repE0EEENS1_30default_config_static_selectorELNS0_4arch9wavefront6targetE0EEEvT1_.num_agpr, 0
	.set _ZN7rocprim17ROCPRIM_400000_NS6detail17trampoline_kernelINS0_14default_configENS1_25partition_config_selectorILNS1_17partition_subalgoE6EyNS0_10empty_typeEbEEZZNS1_14partition_implILS5_6ELb0ES3_mN6thrust23THRUST_200600_302600_NS6detail15normal_iteratorINSA_10device_ptrIyEEEEPS6_SG_NS0_5tupleIJSF_S6_EEENSH_IJSG_SG_EEES6_PlJNSB_9not_fun_tINSB_14equal_to_valueIyEEEEEEE10hipError_tPvRmT3_T4_T5_T6_T7_T9_mT8_P12ihipStream_tbDpT10_ENKUlT_T0_E_clISt17integral_constantIbLb1EES17_IbLb0EEEEDaS13_S14_EUlS13_E_NS1_11comp_targetILNS1_3genE8ELNS1_11target_archE1030ELNS1_3gpuE2ELNS1_3repE0EEENS1_30default_config_static_selectorELNS0_4arch9wavefront6targetE0EEEvT1_.numbered_sgpr, 0
	.set _ZN7rocprim17ROCPRIM_400000_NS6detail17trampoline_kernelINS0_14default_configENS1_25partition_config_selectorILNS1_17partition_subalgoE6EyNS0_10empty_typeEbEEZZNS1_14partition_implILS5_6ELb0ES3_mN6thrust23THRUST_200600_302600_NS6detail15normal_iteratorINSA_10device_ptrIyEEEEPS6_SG_NS0_5tupleIJSF_S6_EEENSH_IJSG_SG_EEES6_PlJNSB_9not_fun_tINSB_14equal_to_valueIyEEEEEEE10hipError_tPvRmT3_T4_T5_T6_T7_T9_mT8_P12ihipStream_tbDpT10_ENKUlT_T0_E_clISt17integral_constantIbLb1EES17_IbLb0EEEEDaS13_S14_EUlS13_E_NS1_11comp_targetILNS1_3genE8ELNS1_11target_archE1030ELNS1_3gpuE2ELNS1_3repE0EEENS1_30default_config_static_selectorELNS0_4arch9wavefront6targetE0EEEvT1_.num_named_barrier, 0
	.set _ZN7rocprim17ROCPRIM_400000_NS6detail17trampoline_kernelINS0_14default_configENS1_25partition_config_selectorILNS1_17partition_subalgoE6EyNS0_10empty_typeEbEEZZNS1_14partition_implILS5_6ELb0ES3_mN6thrust23THRUST_200600_302600_NS6detail15normal_iteratorINSA_10device_ptrIyEEEEPS6_SG_NS0_5tupleIJSF_S6_EEENSH_IJSG_SG_EEES6_PlJNSB_9not_fun_tINSB_14equal_to_valueIyEEEEEEE10hipError_tPvRmT3_T4_T5_T6_T7_T9_mT8_P12ihipStream_tbDpT10_ENKUlT_T0_E_clISt17integral_constantIbLb1EES17_IbLb0EEEEDaS13_S14_EUlS13_E_NS1_11comp_targetILNS1_3genE8ELNS1_11target_archE1030ELNS1_3gpuE2ELNS1_3repE0EEENS1_30default_config_static_selectorELNS0_4arch9wavefront6targetE0EEEvT1_.private_seg_size, 0
	.set _ZN7rocprim17ROCPRIM_400000_NS6detail17trampoline_kernelINS0_14default_configENS1_25partition_config_selectorILNS1_17partition_subalgoE6EyNS0_10empty_typeEbEEZZNS1_14partition_implILS5_6ELb0ES3_mN6thrust23THRUST_200600_302600_NS6detail15normal_iteratorINSA_10device_ptrIyEEEEPS6_SG_NS0_5tupleIJSF_S6_EEENSH_IJSG_SG_EEES6_PlJNSB_9not_fun_tINSB_14equal_to_valueIyEEEEEEE10hipError_tPvRmT3_T4_T5_T6_T7_T9_mT8_P12ihipStream_tbDpT10_ENKUlT_T0_E_clISt17integral_constantIbLb1EES17_IbLb0EEEEDaS13_S14_EUlS13_E_NS1_11comp_targetILNS1_3genE8ELNS1_11target_archE1030ELNS1_3gpuE2ELNS1_3repE0EEENS1_30default_config_static_selectorELNS0_4arch9wavefront6targetE0EEEvT1_.uses_vcc, 0
	.set _ZN7rocprim17ROCPRIM_400000_NS6detail17trampoline_kernelINS0_14default_configENS1_25partition_config_selectorILNS1_17partition_subalgoE6EyNS0_10empty_typeEbEEZZNS1_14partition_implILS5_6ELb0ES3_mN6thrust23THRUST_200600_302600_NS6detail15normal_iteratorINSA_10device_ptrIyEEEEPS6_SG_NS0_5tupleIJSF_S6_EEENSH_IJSG_SG_EEES6_PlJNSB_9not_fun_tINSB_14equal_to_valueIyEEEEEEE10hipError_tPvRmT3_T4_T5_T6_T7_T9_mT8_P12ihipStream_tbDpT10_ENKUlT_T0_E_clISt17integral_constantIbLb1EES17_IbLb0EEEEDaS13_S14_EUlS13_E_NS1_11comp_targetILNS1_3genE8ELNS1_11target_archE1030ELNS1_3gpuE2ELNS1_3repE0EEENS1_30default_config_static_selectorELNS0_4arch9wavefront6targetE0EEEvT1_.uses_flat_scratch, 0
	.set _ZN7rocprim17ROCPRIM_400000_NS6detail17trampoline_kernelINS0_14default_configENS1_25partition_config_selectorILNS1_17partition_subalgoE6EyNS0_10empty_typeEbEEZZNS1_14partition_implILS5_6ELb0ES3_mN6thrust23THRUST_200600_302600_NS6detail15normal_iteratorINSA_10device_ptrIyEEEEPS6_SG_NS0_5tupleIJSF_S6_EEENSH_IJSG_SG_EEES6_PlJNSB_9not_fun_tINSB_14equal_to_valueIyEEEEEEE10hipError_tPvRmT3_T4_T5_T6_T7_T9_mT8_P12ihipStream_tbDpT10_ENKUlT_T0_E_clISt17integral_constantIbLb1EES17_IbLb0EEEEDaS13_S14_EUlS13_E_NS1_11comp_targetILNS1_3genE8ELNS1_11target_archE1030ELNS1_3gpuE2ELNS1_3repE0EEENS1_30default_config_static_selectorELNS0_4arch9wavefront6targetE0EEEvT1_.has_dyn_sized_stack, 0
	.set _ZN7rocprim17ROCPRIM_400000_NS6detail17trampoline_kernelINS0_14default_configENS1_25partition_config_selectorILNS1_17partition_subalgoE6EyNS0_10empty_typeEbEEZZNS1_14partition_implILS5_6ELb0ES3_mN6thrust23THRUST_200600_302600_NS6detail15normal_iteratorINSA_10device_ptrIyEEEEPS6_SG_NS0_5tupleIJSF_S6_EEENSH_IJSG_SG_EEES6_PlJNSB_9not_fun_tINSB_14equal_to_valueIyEEEEEEE10hipError_tPvRmT3_T4_T5_T6_T7_T9_mT8_P12ihipStream_tbDpT10_ENKUlT_T0_E_clISt17integral_constantIbLb1EES17_IbLb0EEEEDaS13_S14_EUlS13_E_NS1_11comp_targetILNS1_3genE8ELNS1_11target_archE1030ELNS1_3gpuE2ELNS1_3repE0EEENS1_30default_config_static_selectorELNS0_4arch9wavefront6targetE0EEEvT1_.has_recursion, 0
	.set _ZN7rocprim17ROCPRIM_400000_NS6detail17trampoline_kernelINS0_14default_configENS1_25partition_config_selectorILNS1_17partition_subalgoE6EyNS0_10empty_typeEbEEZZNS1_14partition_implILS5_6ELb0ES3_mN6thrust23THRUST_200600_302600_NS6detail15normal_iteratorINSA_10device_ptrIyEEEEPS6_SG_NS0_5tupleIJSF_S6_EEENSH_IJSG_SG_EEES6_PlJNSB_9not_fun_tINSB_14equal_to_valueIyEEEEEEE10hipError_tPvRmT3_T4_T5_T6_T7_T9_mT8_P12ihipStream_tbDpT10_ENKUlT_T0_E_clISt17integral_constantIbLb1EES17_IbLb0EEEEDaS13_S14_EUlS13_E_NS1_11comp_targetILNS1_3genE8ELNS1_11target_archE1030ELNS1_3gpuE2ELNS1_3repE0EEENS1_30default_config_static_selectorELNS0_4arch9wavefront6targetE0EEEvT1_.has_indirect_call, 0
	.section	.AMDGPU.csdata,"",@progbits
; Kernel info:
; codeLenInByte = 0
; TotalNumSgprs: 0
; NumVgprs: 0
; ScratchSize: 0
; MemoryBound: 0
; FloatMode: 240
; IeeeMode: 1
; LDSByteSize: 0 bytes/workgroup (compile time only)
; SGPRBlocks: 0
; VGPRBlocks: 0
; NumSGPRsForWavesPerEU: 1
; NumVGPRsForWavesPerEU: 1
; Occupancy: 16
; WaveLimiterHint : 0
; COMPUTE_PGM_RSRC2:SCRATCH_EN: 0
; COMPUTE_PGM_RSRC2:USER_SGPR: 2
; COMPUTE_PGM_RSRC2:TRAP_HANDLER: 0
; COMPUTE_PGM_RSRC2:TGID_X_EN: 1
; COMPUTE_PGM_RSRC2:TGID_Y_EN: 0
; COMPUTE_PGM_RSRC2:TGID_Z_EN: 0
; COMPUTE_PGM_RSRC2:TIDIG_COMP_CNT: 0
	.section	.text._ZN7rocprim17ROCPRIM_400000_NS6detail17trampoline_kernelINS0_14default_configENS1_25partition_config_selectorILNS1_17partition_subalgoE6EyNS0_10empty_typeEbEEZZNS1_14partition_implILS5_6ELb0ES3_mN6thrust23THRUST_200600_302600_NS6detail15normal_iteratorINSA_10device_ptrIyEEEEPS6_SG_NS0_5tupleIJSF_S6_EEENSH_IJSG_SG_EEES6_PlJNSB_9not_fun_tINSB_14equal_to_valueIyEEEEEEE10hipError_tPvRmT3_T4_T5_T6_T7_T9_mT8_P12ihipStream_tbDpT10_ENKUlT_T0_E_clISt17integral_constantIbLb0EES17_IbLb1EEEEDaS13_S14_EUlS13_E_NS1_11comp_targetILNS1_3genE0ELNS1_11target_archE4294967295ELNS1_3gpuE0ELNS1_3repE0EEENS1_30default_config_static_selectorELNS0_4arch9wavefront6targetE0EEEvT1_,"axG",@progbits,_ZN7rocprim17ROCPRIM_400000_NS6detail17trampoline_kernelINS0_14default_configENS1_25partition_config_selectorILNS1_17partition_subalgoE6EyNS0_10empty_typeEbEEZZNS1_14partition_implILS5_6ELb0ES3_mN6thrust23THRUST_200600_302600_NS6detail15normal_iteratorINSA_10device_ptrIyEEEEPS6_SG_NS0_5tupleIJSF_S6_EEENSH_IJSG_SG_EEES6_PlJNSB_9not_fun_tINSB_14equal_to_valueIyEEEEEEE10hipError_tPvRmT3_T4_T5_T6_T7_T9_mT8_P12ihipStream_tbDpT10_ENKUlT_T0_E_clISt17integral_constantIbLb0EES17_IbLb1EEEEDaS13_S14_EUlS13_E_NS1_11comp_targetILNS1_3genE0ELNS1_11target_archE4294967295ELNS1_3gpuE0ELNS1_3repE0EEENS1_30default_config_static_selectorELNS0_4arch9wavefront6targetE0EEEvT1_,comdat
	.protected	_ZN7rocprim17ROCPRIM_400000_NS6detail17trampoline_kernelINS0_14default_configENS1_25partition_config_selectorILNS1_17partition_subalgoE6EyNS0_10empty_typeEbEEZZNS1_14partition_implILS5_6ELb0ES3_mN6thrust23THRUST_200600_302600_NS6detail15normal_iteratorINSA_10device_ptrIyEEEEPS6_SG_NS0_5tupleIJSF_S6_EEENSH_IJSG_SG_EEES6_PlJNSB_9not_fun_tINSB_14equal_to_valueIyEEEEEEE10hipError_tPvRmT3_T4_T5_T6_T7_T9_mT8_P12ihipStream_tbDpT10_ENKUlT_T0_E_clISt17integral_constantIbLb0EES17_IbLb1EEEEDaS13_S14_EUlS13_E_NS1_11comp_targetILNS1_3genE0ELNS1_11target_archE4294967295ELNS1_3gpuE0ELNS1_3repE0EEENS1_30default_config_static_selectorELNS0_4arch9wavefront6targetE0EEEvT1_ ; -- Begin function _ZN7rocprim17ROCPRIM_400000_NS6detail17trampoline_kernelINS0_14default_configENS1_25partition_config_selectorILNS1_17partition_subalgoE6EyNS0_10empty_typeEbEEZZNS1_14partition_implILS5_6ELb0ES3_mN6thrust23THRUST_200600_302600_NS6detail15normal_iteratorINSA_10device_ptrIyEEEEPS6_SG_NS0_5tupleIJSF_S6_EEENSH_IJSG_SG_EEES6_PlJNSB_9not_fun_tINSB_14equal_to_valueIyEEEEEEE10hipError_tPvRmT3_T4_T5_T6_T7_T9_mT8_P12ihipStream_tbDpT10_ENKUlT_T0_E_clISt17integral_constantIbLb0EES17_IbLb1EEEEDaS13_S14_EUlS13_E_NS1_11comp_targetILNS1_3genE0ELNS1_11target_archE4294967295ELNS1_3gpuE0ELNS1_3repE0EEENS1_30default_config_static_selectorELNS0_4arch9wavefront6targetE0EEEvT1_
	.globl	_ZN7rocprim17ROCPRIM_400000_NS6detail17trampoline_kernelINS0_14default_configENS1_25partition_config_selectorILNS1_17partition_subalgoE6EyNS0_10empty_typeEbEEZZNS1_14partition_implILS5_6ELb0ES3_mN6thrust23THRUST_200600_302600_NS6detail15normal_iteratorINSA_10device_ptrIyEEEEPS6_SG_NS0_5tupleIJSF_S6_EEENSH_IJSG_SG_EEES6_PlJNSB_9not_fun_tINSB_14equal_to_valueIyEEEEEEE10hipError_tPvRmT3_T4_T5_T6_T7_T9_mT8_P12ihipStream_tbDpT10_ENKUlT_T0_E_clISt17integral_constantIbLb0EES17_IbLb1EEEEDaS13_S14_EUlS13_E_NS1_11comp_targetILNS1_3genE0ELNS1_11target_archE4294967295ELNS1_3gpuE0ELNS1_3repE0EEENS1_30default_config_static_selectorELNS0_4arch9wavefront6targetE0EEEvT1_
	.p2align	8
	.type	_ZN7rocprim17ROCPRIM_400000_NS6detail17trampoline_kernelINS0_14default_configENS1_25partition_config_selectorILNS1_17partition_subalgoE6EyNS0_10empty_typeEbEEZZNS1_14partition_implILS5_6ELb0ES3_mN6thrust23THRUST_200600_302600_NS6detail15normal_iteratorINSA_10device_ptrIyEEEEPS6_SG_NS0_5tupleIJSF_S6_EEENSH_IJSG_SG_EEES6_PlJNSB_9not_fun_tINSB_14equal_to_valueIyEEEEEEE10hipError_tPvRmT3_T4_T5_T6_T7_T9_mT8_P12ihipStream_tbDpT10_ENKUlT_T0_E_clISt17integral_constantIbLb0EES17_IbLb1EEEEDaS13_S14_EUlS13_E_NS1_11comp_targetILNS1_3genE0ELNS1_11target_archE4294967295ELNS1_3gpuE0ELNS1_3repE0EEENS1_30default_config_static_selectorELNS0_4arch9wavefront6targetE0EEEvT1_,@function
_ZN7rocprim17ROCPRIM_400000_NS6detail17trampoline_kernelINS0_14default_configENS1_25partition_config_selectorILNS1_17partition_subalgoE6EyNS0_10empty_typeEbEEZZNS1_14partition_implILS5_6ELb0ES3_mN6thrust23THRUST_200600_302600_NS6detail15normal_iteratorINSA_10device_ptrIyEEEEPS6_SG_NS0_5tupleIJSF_S6_EEENSH_IJSG_SG_EEES6_PlJNSB_9not_fun_tINSB_14equal_to_valueIyEEEEEEE10hipError_tPvRmT3_T4_T5_T6_T7_T9_mT8_P12ihipStream_tbDpT10_ENKUlT_T0_E_clISt17integral_constantIbLb0EES17_IbLb1EEEEDaS13_S14_EUlS13_E_NS1_11comp_targetILNS1_3genE0ELNS1_11target_archE4294967295ELNS1_3gpuE0ELNS1_3repE0EEENS1_30default_config_static_selectorELNS0_4arch9wavefront6targetE0EEEvT1_: ; @_ZN7rocprim17ROCPRIM_400000_NS6detail17trampoline_kernelINS0_14default_configENS1_25partition_config_selectorILNS1_17partition_subalgoE6EyNS0_10empty_typeEbEEZZNS1_14partition_implILS5_6ELb0ES3_mN6thrust23THRUST_200600_302600_NS6detail15normal_iteratorINSA_10device_ptrIyEEEEPS6_SG_NS0_5tupleIJSF_S6_EEENSH_IJSG_SG_EEES6_PlJNSB_9not_fun_tINSB_14equal_to_valueIyEEEEEEE10hipError_tPvRmT3_T4_T5_T6_T7_T9_mT8_P12ihipStream_tbDpT10_ENKUlT_T0_E_clISt17integral_constantIbLb0EES17_IbLb1EEEEDaS13_S14_EUlS13_E_NS1_11comp_targetILNS1_3genE0ELNS1_11target_archE4294967295ELNS1_3gpuE0ELNS1_3repE0EEENS1_30default_config_static_selectorELNS0_4arch9wavefront6targetE0EEEvT1_
; %bb.0:
	.section	.rodata,"a",@progbits
	.p2align	6, 0x0
	.amdhsa_kernel _ZN7rocprim17ROCPRIM_400000_NS6detail17trampoline_kernelINS0_14default_configENS1_25partition_config_selectorILNS1_17partition_subalgoE6EyNS0_10empty_typeEbEEZZNS1_14partition_implILS5_6ELb0ES3_mN6thrust23THRUST_200600_302600_NS6detail15normal_iteratorINSA_10device_ptrIyEEEEPS6_SG_NS0_5tupleIJSF_S6_EEENSH_IJSG_SG_EEES6_PlJNSB_9not_fun_tINSB_14equal_to_valueIyEEEEEEE10hipError_tPvRmT3_T4_T5_T6_T7_T9_mT8_P12ihipStream_tbDpT10_ENKUlT_T0_E_clISt17integral_constantIbLb0EES17_IbLb1EEEEDaS13_S14_EUlS13_E_NS1_11comp_targetILNS1_3genE0ELNS1_11target_archE4294967295ELNS1_3gpuE0ELNS1_3repE0EEENS1_30default_config_static_selectorELNS0_4arch9wavefront6targetE0EEEvT1_
		.amdhsa_group_segment_fixed_size 0
		.amdhsa_private_segment_fixed_size 0
		.amdhsa_kernarg_size 128
		.amdhsa_user_sgpr_count 2
		.amdhsa_user_sgpr_dispatch_ptr 0
		.amdhsa_user_sgpr_queue_ptr 0
		.amdhsa_user_sgpr_kernarg_segment_ptr 1
		.amdhsa_user_sgpr_dispatch_id 0
		.amdhsa_user_sgpr_private_segment_size 0
		.amdhsa_wavefront_size32 1
		.amdhsa_uses_dynamic_stack 0
		.amdhsa_enable_private_segment 0
		.amdhsa_system_sgpr_workgroup_id_x 1
		.amdhsa_system_sgpr_workgroup_id_y 0
		.amdhsa_system_sgpr_workgroup_id_z 0
		.amdhsa_system_sgpr_workgroup_info 0
		.amdhsa_system_vgpr_workitem_id 0
		.amdhsa_next_free_vgpr 1
		.amdhsa_next_free_sgpr 1
		.amdhsa_reserve_vcc 0
		.amdhsa_float_round_mode_32 0
		.amdhsa_float_round_mode_16_64 0
		.amdhsa_float_denorm_mode_32 3
		.amdhsa_float_denorm_mode_16_64 3
		.amdhsa_fp16_overflow 0
		.amdhsa_workgroup_processor_mode 1
		.amdhsa_memory_ordered 1
		.amdhsa_forward_progress 1
		.amdhsa_inst_pref_size 0
		.amdhsa_round_robin_scheduling 0
		.amdhsa_exception_fp_ieee_invalid_op 0
		.amdhsa_exception_fp_denorm_src 0
		.amdhsa_exception_fp_ieee_div_zero 0
		.amdhsa_exception_fp_ieee_overflow 0
		.amdhsa_exception_fp_ieee_underflow 0
		.amdhsa_exception_fp_ieee_inexact 0
		.amdhsa_exception_int_div_zero 0
	.end_amdhsa_kernel
	.section	.text._ZN7rocprim17ROCPRIM_400000_NS6detail17trampoline_kernelINS0_14default_configENS1_25partition_config_selectorILNS1_17partition_subalgoE6EyNS0_10empty_typeEbEEZZNS1_14partition_implILS5_6ELb0ES3_mN6thrust23THRUST_200600_302600_NS6detail15normal_iteratorINSA_10device_ptrIyEEEEPS6_SG_NS0_5tupleIJSF_S6_EEENSH_IJSG_SG_EEES6_PlJNSB_9not_fun_tINSB_14equal_to_valueIyEEEEEEE10hipError_tPvRmT3_T4_T5_T6_T7_T9_mT8_P12ihipStream_tbDpT10_ENKUlT_T0_E_clISt17integral_constantIbLb0EES17_IbLb1EEEEDaS13_S14_EUlS13_E_NS1_11comp_targetILNS1_3genE0ELNS1_11target_archE4294967295ELNS1_3gpuE0ELNS1_3repE0EEENS1_30default_config_static_selectorELNS0_4arch9wavefront6targetE0EEEvT1_,"axG",@progbits,_ZN7rocprim17ROCPRIM_400000_NS6detail17trampoline_kernelINS0_14default_configENS1_25partition_config_selectorILNS1_17partition_subalgoE6EyNS0_10empty_typeEbEEZZNS1_14partition_implILS5_6ELb0ES3_mN6thrust23THRUST_200600_302600_NS6detail15normal_iteratorINSA_10device_ptrIyEEEEPS6_SG_NS0_5tupleIJSF_S6_EEENSH_IJSG_SG_EEES6_PlJNSB_9not_fun_tINSB_14equal_to_valueIyEEEEEEE10hipError_tPvRmT3_T4_T5_T6_T7_T9_mT8_P12ihipStream_tbDpT10_ENKUlT_T0_E_clISt17integral_constantIbLb0EES17_IbLb1EEEEDaS13_S14_EUlS13_E_NS1_11comp_targetILNS1_3genE0ELNS1_11target_archE4294967295ELNS1_3gpuE0ELNS1_3repE0EEENS1_30default_config_static_selectorELNS0_4arch9wavefront6targetE0EEEvT1_,comdat
.Lfunc_end365:
	.size	_ZN7rocprim17ROCPRIM_400000_NS6detail17trampoline_kernelINS0_14default_configENS1_25partition_config_selectorILNS1_17partition_subalgoE6EyNS0_10empty_typeEbEEZZNS1_14partition_implILS5_6ELb0ES3_mN6thrust23THRUST_200600_302600_NS6detail15normal_iteratorINSA_10device_ptrIyEEEEPS6_SG_NS0_5tupleIJSF_S6_EEENSH_IJSG_SG_EEES6_PlJNSB_9not_fun_tINSB_14equal_to_valueIyEEEEEEE10hipError_tPvRmT3_T4_T5_T6_T7_T9_mT8_P12ihipStream_tbDpT10_ENKUlT_T0_E_clISt17integral_constantIbLb0EES17_IbLb1EEEEDaS13_S14_EUlS13_E_NS1_11comp_targetILNS1_3genE0ELNS1_11target_archE4294967295ELNS1_3gpuE0ELNS1_3repE0EEENS1_30default_config_static_selectorELNS0_4arch9wavefront6targetE0EEEvT1_, .Lfunc_end365-_ZN7rocprim17ROCPRIM_400000_NS6detail17trampoline_kernelINS0_14default_configENS1_25partition_config_selectorILNS1_17partition_subalgoE6EyNS0_10empty_typeEbEEZZNS1_14partition_implILS5_6ELb0ES3_mN6thrust23THRUST_200600_302600_NS6detail15normal_iteratorINSA_10device_ptrIyEEEEPS6_SG_NS0_5tupleIJSF_S6_EEENSH_IJSG_SG_EEES6_PlJNSB_9not_fun_tINSB_14equal_to_valueIyEEEEEEE10hipError_tPvRmT3_T4_T5_T6_T7_T9_mT8_P12ihipStream_tbDpT10_ENKUlT_T0_E_clISt17integral_constantIbLb0EES17_IbLb1EEEEDaS13_S14_EUlS13_E_NS1_11comp_targetILNS1_3genE0ELNS1_11target_archE4294967295ELNS1_3gpuE0ELNS1_3repE0EEENS1_30default_config_static_selectorELNS0_4arch9wavefront6targetE0EEEvT1_
                                        ; -- End function
	.set _ZN7rocprim17ROCPRIM_400000_NS6detail17trampoline_kernelINS0_14default_configENS1_25partition_config_selectorILNS1_17partition_subalgoE6EyNS0_10empty_typeEbEEZZNS1_14partition_implILS5_6ELb0ES3_mN6thrust23THRUST_200600_302600_NS6detail15normal_iteratorINSA_10device_ptrIyEEEEPS6_SG_NS0_5tupleIJSF_S6_EEENSH_IJSG_SG_EEES6_PlJNSB_9not_fun_tINSB_14equal_to_valueIyEEEEEEE10hipError_tPvRmT3_T4_T5_T6_T7_T9_mT8_P12ihipStream_tbDpT10_ENKUlT_T0_E_clISt17integral_constantIbLb0EES17_IbLb1EEEEDaS13_S14_EUlS13_E_NS1_11comp_targetILNS1_3genE0ELNS1_11target_archE4294967295ELNS1_3gpuE0ELNS1_3repE0EEENS1_30default_config_static_selectorELNS0_4arch9wavefront6targetE0EEEvT1_.num_vgpr, 0
	.set _ZN7rocprim17ROCPRIM_400000_NS6detail17trampoline_kernelINS0_14default_configENS1_25partition_config_selectorILNS1_17partition_subalgoE6EyNS0_10empty_typeEbEEZZNS1_14partition_implILS5_6ELb0ES3_mN6thrust23THRUST_200600_302600_NS6detail15normal_iteratorINSA_10device_ptrIyEEEEPS6_SG_NS0_5tupleIJSF_S6_EEENSH_IJSG_SG_EEES6_PlJNSB_9not_fun_tINSB_14equal_to_valueIyEEEEEEE10hipError_tPvRmT3_T4_T5_T6_T7_T9_mT8_P12ihipStream_tbDpT10_ENKUlT_T0_E_clISt17integral_constantIbLb0EES17_IbLb1EEEEDaS13_S14_EUlS13_E_NS1_11comp_targetILNS1_3genE0ELNS1_11target_archE4294967295ELNS1_3gpuE0ELNS1_3repE0EEENS1_30default_config_static_selectorELNS0_4arch9wavefront6targetE0EEEvT1_.num_agpr, 0
	.set _ZN7rocprim17ROCPRIM_400000_NS6detail17trampoline_kernelINS0_14default_configENS1_25partition_config_selectorILNS1_17partition_subalgoE6EyNS0_10empty_typeEbEEZZNS1_14partition_implILS5_6ELb0ES3_mN6thrust23THRUST_200600_302600_NS6detail15normal_iteratorINSA_10device_ptrIyEEEEPS6_SG_NS0_5tupleIJSF_S6_EEENSH_IJSG_SG_EEES6_PlJNSB_9not_fun_tINSB_14equal_to_valueIyEEEEEEE10hipError_tPvRmT3_T4_T5_T6_T7_T9_mT8_P12ihipStream_tbDpT10_ENKUlT_T0_E_clISt17integral_constantIbLb0EES17_IbLb1EEEEDaS13_S14_EUlS13_E_NS1_11comp_targetILNS1_3genE0ELNS1_11target_archE4294967295ELNS1_3gpuE0ELNS1_3repE0EEENS1_30default_config_static_selectorELNS0_4arch9wavefront6targetE0EEEvT1_.numbered_sgpr, 0
	.set _ZN7rocprim17ROCPRIM_400000_NS6detail17trampoline_kernelINS0_14default_configENS1_25partition_config_selectorILNS1_17partition_subalgoE6EyNS0_10empty_typeEbEEZZNS1_14partition_implILS5_6ELb0ES3_mN6thrust23THRUST_200600_302600_NS6detail15normal_iteratorINSA_10device_ptrIyEEEEPS6_SG_NS0_5tupleIJSF_S6_EEENSH_IJSG_SG_EEES6_PlJNSB_9not_fun_tINSB_14equal_to_valueIyEEEEEEE10hipError_tPvRmT3_T4_T5_T6_T7_T9_mT8_P12ihipStream_tbDpT10_ENKUlT_T0_E_clISt17integral_constantIbLb0EES17_IbLb1EEEEDaS13_S14_EUlS13_E_NS1_11comp_targetILNS1_3genE0ELNS1_11target_archE4294967295ELNS1_3gpuE0ELNS1_3repE0EEENS1_30default_config_static_selectorELNS0_4arch9wavefront6targetE0EEEvT1_.num_named_barrier, 0
	.set _ZN7rocprim17ROCPRIM_400000_NS6detail17trampoline_kernelINS0_14default_configENS1_25partition_config_selectorILNS1_17partition_subalgoE6EyNS0_10empty_typeEbEEZZNS1_14partition_implILS5_6ELb0ES3_mN6thrust23THRUST_200600_302600_NS6detail15normal_iteratorINSA_10device_ptrIyEEEEPS6_SG_NS0_5tupleIJSF_S6_EEENSH_IJSG_SG_EEES6_PlJNSB_9not_fun_tINSB_14equal_to_valueIyEEEEEEE10hipError_tPvRmT3_T4_T5_T6_T7_T9_mT8_P12ihipStream_tbDpT10_ENKUlT_T0_E_clISt17integral_constantIbLb0EES17_IbLb1EEEEDaS13_S14_EUlS13_E_NS1_11comp_targetILNS1_3genE0ELNS1_11target_archE4294967295ELNS1_3gpuE0ELNS1_3repE0EEENS1_30default_config_static_selectorELNS0_4arch9wavefront6targetE0EEEvT1_.private_seg_size, 0
	.set _ZN7rocprim17ROCPRIM_400000_NS6detail17trampoline_kernelINS0_14default_configENS1_25partition_config_selectorILNS1_17partition_subalgoE6EyNS0_10empty_typeEbEEZZNS1_14partition_implILS5_6ELb0ES3_mN6thrust23THRUST_200600_302600_NS6detail15normal_iteratorINSA_10device_ptrIyEEEEPS6_SG_NS0_5tupleIJSF_S6_EEENSH_IJSG_SG_EEES6_PlJNSB_9not_fun_tINSB_14equal_to_valueIyEEEEEEE10hipError_tPvRmT3_T4_T5_T6_T7_T9_mT8_P12ihipStream_tbDpT10_ENKUlT_T0_E_clISt17integral_constantIbLb0EES17_IbLb1EEEEDaS13_S14_EUlS13_E_NS1_11comp_targetILNS1_3genE0ELNS1_11target_archE4294967295ELNS1_3gpuE0ELNS1_3repE0EEENS1_30default_config_static_selectorELNS0_4arch9wavefront6targetE0EEEvT1_.uses_vcc, 0
	.set _ZN7rocprim17ROCPRIM_400000_NS6detail17trampoline_kernelINS0_14default_configENS1_25partition_config_selectorILNS1_17partition_subalgoE6EyNS0_10empty_typeEbEEZZNS1_14partition_implILS5_6ELb0ES3_mN6thrust23THRUST_200600_302600_NS6detail15normal_iteratorINSA_10device_ptrIyEEEEPS6_SG_NS0_5tupleIJSF_S6_EEENSH_IJSG_SG_EEES6_PlJNSB_9not_fun_tINSB_14equal_to_valueIyEEEEEEE10hipError_tPvRmT3_T4_T5_T6_T7_T9_mT8_P12ihipStream_tbDpT10_ENKUlT_T0_E_clISt17integral_constantIbLb0EES17_IbLb1EEEEDaS13_S14_EUlS13_E_NS1_11comp_targetILNS1_3genE0ELNS1_11target_archE4294967295ELNS1_3gpuE0ELNS1_3repE0EEENS1_30default_config_static_selectorELNS0_4arch9wavefront6targetE0EEEvT1_.uses_flat_scratch, 0
	.set _ZN7rocprim17ROCPRIM_400000_NS6detail17trampoline_kernelINS0_14default_configENS1_25partition_config_selectorILNS1_17partition_subalgoE6EyNS0_10empty_typeEbEEZZNS1_14partition_implILS5_6ELb0ES3_mN6thrust23THRUST_200600_302600_NS6detail15normal_iteratorINSA_10device_ptrIyEEEEPS6_SG_NS0_5tupleIJSF_S6_EEENSH_IJSG_SG_EEES6_PlJNSB_9not_fun_tINSB_14equal_to_valueIyEEEEEEE10hipError_tPvRmT3_T4_T5_T6_T7_T9_mT8_P12ihipStream_tbDpT10_ENKUlT_T0_E_clISt17integral_constantIbLb0EES17_IbLb1EEEEDaS13_S14_EUlS13_E_NS1_11comp_targetILNS1_3genE0ELNS1_11target_archE4294967295ELNS1_3gpuE0ELNS1_3repE0EEENS1_30default_config_static_selectorELNS0_4arch9wavefront6targetE0EEEvT1_.has_dyn_sized_stack, 0
	.set _ZN7rocprim17ROCPRIM_400000_NS6detail17trampoline_kernelINS0_14default_configENS1_25partition_config_selectorILNS1_17partition_subalgoE6EyNS0_10empty_typeEbEEZZNS1_14partition_implILS5_6ELb0ES3_mN6thrust23THRUST_200600_302600_NS6detail15normal_iteratorINSA_10device_ptrIyEEEEPS6_SG_NS0_5tupleIJSF_S6_EEENSH_IJSG_SG_EEES6_PlJNSB_9not_fun_tINSB_14equal_to_valueIyEEEEEEE10hipError_tPvRmT3_T4_T5_T6_T7_T9_mT8_P12ihipStream_tbDpT10_ENKUlT_T0_E_clISt17integral_constantIbLb0EES17_IbLb1EEEEDaS13_S14_EUlS13_E_NS1_11comp_targetILNS1_3genE0ELNS1_11target_archE4294967295ELNS1_3gpuE0ELNS1_3repE0EEENS1_30default_config_static_selectorELNS0_4arch9wavefront6targetE0EEEvT1_.has_recursion, 0
	.set _ZN7rocprim17ROCPRIM_400000_NS6detail17trampoline_kernelINS0_14default_configENS1_25partition_config_selectorILNS1_17partition_subalgoE6EyNS0_10empty_typeEbEEZZNS1_14partition_implILS5_6ELb0ES3_mN6thrust23THRUST_200600_302600_NS6detail15normal_iteratorINSA_10device_ptrIyEEEEPS6_SG_NS0_5tupleIJSF_S6_EEENSH_IJSG_SG_EEES6_PlJNSB_9not_fun_tINSB_14equal_to_valueIyEEEEEEE10hipError_tPvRmT3_T4_T5_T6_T7_T9_mT8_P12ihipStream_tbDpT10_ENKUlT_T0_E_clISt17integral_constantIbLb0EES17_IbLb1EEEEDaS13_S14_EUlS13_E_NS1_11comp_targetILNS1_3genE0ELNS1_11target_archE4294967295ELNS1_3gpuE0ELNS1_3repE0EEENS1_30default_config_static_selectorELNS0_4arch9wavefront6targetE0EEEvT1_.has_indirect_call, 0
	.section	.AMDGPU.csdata,"",@progbits
; Kernel info:
; codeLenInByte = 0
; TotalNumSgprs: 0
; NumVgprs: 0
; ScratchSize: 0
; MemoryBound: 0
; FloatMode: 240
; IeeeMode: 1
; LDSByteSize: 0 bytes/workgroup (compile time only)
; SGPRBlocks: 0
; VGPRBlocks: 0
; NumSGPRsForWavesPerEU: 1
; NumVGPRsForWavesPerEU: 1
; Occupancy: 16
; WaveLimiterHint : 0
; COMPUTE_PGM_RSRC2:SCRATCH_EN: 0
; COMPUTE_PGM_RSRC2:USER_SGPR: 2
; COMPUTE_PGM_RSRC2:TRAP_HANDLER: 0
; COMPUTE_PGM_RSRC2:TGID_X_EN: 1
; COMPUTE_PGM_RSRC2:TGID_Y_EN: 0
; COMPUTE_PGM_RSRC2:TGID_Z_EN: 0
; COMPUTE_PGM_RSRC2:TIDIG_COMP_CNT: 0
	.section	.text._ZN7rocprim17ROCPRIM_400000_NS6detail17trampoline_kernelINS0_14default_configENS1_25partition_config_selectorILNS1_17partition_subalgoE6EyNS0_10empty_typeEbEEZZNS1_14partition_implILS5_6ELb0ES3_mN6thrust23THRUST_200600_302600_NS6detail15normal_iteratorINSA_10device_ptrIyEEEEPS6_SG_NS0_5tupleIJSF_S6_EEENSH_IJSG_SG_EEES6_PlJNSB_9not_fun_tINSB_14equal_to_valueIyEEEEEEE10hipError_tPvRmT3_T4_T5_T6_T7_T9_mT8_P12ihipStream_tbDpT10_ENKUlT_T0_E_clISt17integral_constantIbLb0EES17_IbLb1EEEEDaS13_S14_EUlS13_E_NS1_11comp_targetILNS1_3genE5ELNS1_11target_archE942ELNS1_3gpuE9ELNS1_3repE0EEENS1_30default_config_static_selectorELNS0_4arch9wavefront6targetE0EEEvT1_,"axG",@progbits,_ZN7rocprim17ROCPRIM_400000_NS6detail17trampoline_kernelINS0_14default_configENS1_25partition_config_selectorILNS1_17partition_subalgoE6EyNS0_10empty_typeEbEEZZNS1_14partition_implILS5_6ELb0ES3_mN6thrust23THRUST_200600_302600_NS6detail15normal_iteratorINSA_10device_ptrIyEEEEPS6_SG_NS0_5tupleIJSF_S6_EEENSH_IJSG_SG_EEES6_PlJNSB_9not_fun_tINSB_14equal_to_valueIyEEEEEEE10hipError_tPvRmT3_T4_T5_T6_T7_T9_mT8_P12ihipStream_tbDpT10_ENKUlT_T0_E_clISt17integral_constantIbLb0EES17_IbLb1EEEEDaS13_S14_EUlS13_E_NS1_11comp_targetILNS1_3genE5ELNS1_11target_archE942ELNS1_3gpuE9ELNS1_3repE0EEENS1_30default_config_static_selectorELNS0_4arch9wavefront6targetE0EEEvT1_,comdat
	.protected	_ZN7rocprim17ROCPRIM_400000_NS6detail17trampoline_kernelINS0_14default_configENS1_25partition_config_selectorILNS1_17partition_subalgoE6EyNS0_10empty_typeEbEEZZNS1_14partition_implILS5_6ELb0ES3_mN6thrust23THRUST_200600_302600_NS6detail15normal_iteratorINSA_10device_ptrIyEEEEPS6_SG_NS0_5tupleIJSF_S6_EEENSH_IJSG_SG_EEES6_PlJNSB_9not_fun_tINSB_14equal_to_valueIyEEEEEEE10hipError_tPvRmT3_T4_T5_T6_T7_T9_mT8_P12ihipStream_tbDpT10_ENKUlT_T0_E_clISt17integral_constantIbLb0EES17_IbLb1EEEEDaS13_S14_EUlS13_E_NS1_11comp_targetILNS1_3genE5ELNS1_11target_archE942ELNS1_3gpuE9ELNS1_3repE0EEENS1_30default_config_static_selectorELNS0_4arch9wavefront6targetE0EEEvT1_ ; -- Begin function _ZN7rocprim17ROCPRIM_400000_NS6detail17trampoline_kernelINS0_14default_configENS1_25partition_config_selectorILNS1_17partition_subalgoE6EyNS0_10empty_typeEbEEZZNS1_14partition_implILS5_6ELb0ES3_mN6thrust23THRUST_200600_302600_NS6detail15normal_iteratorINSA_10device_ptrIyEEEEPS6_SG_NS0_5tupleIJSF_S6_EEENSH_IJSG_SG_EEES6_PlJNSB_9not_fun_tINSB_14equal_to_valueIyEEEEEEE10hipError_tPvRmT3_T4_T5_T6_T7_T9_mT8_P12ihipStream_tbDpT10_ENKUlT_T0_E_clISt17integral_constantIbLb0EES17_IbLb1EEEEDaS13_S14_EUlS13_E_NS1_11comp_targetILNS1_3genE5ELNS1_11target_archE942ELNS1_3gpuE9ELNS1_3repE0EEENS1_30default_config_static_selectorELNS0_4arch9wavefront6targetE0EEEvT1_
	.globl	_ZN7rocprim17ROCPRIM_400000_NS6detail17trampoline_kernelINS0_14default_configENS1_25partition_config_selectorILNS1_17partition_subalgoE6EyNS0_10empty_typeEbEEZZNS1_14partition_implILS5_6ELb0ES3_mN6thrust23THRUST_200600_302600_NS6detail15normal_iteratorINSA_10device_ptrIyEEEEPS6_SG_NS0_5tupleIJSF_S6_EEENSH_IJSG_SG_EEES6_PlJNSB_9not_fun_tINSB_14equal_to_valueIyEEEEEEE10hipError_tPvRmT3_T4_T5_T6_T7_T9_mT8_P12ihipStream_tbDpT10_ENKUlT_T0_E_clISt17integral_constantIbLb0EES17_IbLb1EEEEDaS13_S14_EUlS13_E_NS1_11comp_targetILNS1_3genE5ELNS1_11target_archE942ELNS1_3gpuE9ELNS1_3repE0EEENS1_30default_config_static_selectorELNS0_4arch9wavefront6targetE0EEEvT1_
	.p2align	8
	.type	_ZN7rocprim17ROCPRIM_400000_NS6detail17trampoline_kernelINS0_14default_configENS1_25partition_config_selectorILNS1_17partition_subalgoE6EyNS0_10empty_typeEbEEZZNS1_14partition_implILS5_6ELb0ES3_mN6thrust23THRUST_200600_302600_NS6detail15normal_iteratorINSA_10device_ptrIyEEEEPS6_SG_NS0_5tupleIJSF_S6_EEENSH_IJSG_SG_EEES6_PlJNSB_9not_fun_tINSB_14equal_to_valueIyEEEEEEE10hipError_tPvRmT3_T4_T5_T6_T7_T9_mT8_P12ihipStream_tbDpT10_ENKUlT_T0_E_clISt17integral_constantIbLb0EES17_IbLb1EEEEDaS13_S14_EUlS13_E_NS1_11comp_targetILNS1_3genE5ELNS1_11target_archE942ELNS1_3gpuE9ELNS1_3repE0EEENS1_30default_config_static_selectorELNS0_4arch9wavefront6targetE0EEEvT1_,@function
_ZN7rocprim17ROCPRIM_400000_NS6detail17trampoline_kernelINS0_14default_configENS1_25partition_config_selectorILNS1_17partition_subalgoE6EyNS0_10empty_typeEbEEZZNS1_14partition_implILS5_6ELb0ES3_mN6thrust23THRUST_200600_302600_NS6detail15normal_iteratorINSA_10device_ptrIyEEEEPS6_SG_NS0_5tupleIJSF_S6_EEENSH_IJSG_SG_EEES6_PlJNSB_9not_fun_tINSB_14equal_to_valueIyEEEEEEE10hipError_tPvRmT3_T4_T5_T6_T7_T9_mT8_P12ihipStream_tbDpT10_ENKUlT_T0_E_clISt17integral_constantIbLb0EES17_IbLb1EEEEDaS13_S14_EUlS13_E_NS1_11comp_targetILNS1_3genE5ELNS1_11target_archE942ELNS1_3gpuE9ELNS1_3repE0EEENS1_30default_config_static_selectorELNS0_4arch9wavefront6targetE0EEEvT1_: ; @_ZN7rocprim17ROCPRIM_400000_NS6detail17trampoline_kernelINS0_14default_configENS1_25partition_config_selectorILNS1_17partition_subalgoE6EyNS0_10empty_typeEbEEZZNS1_14partition_implILS5_6ELb0ES3_mN6thrust23THRUST_200600_302600_NS6detail15normal_iteratorINSA_10device_ptrIyEEEEPS6_SG_NS0_5tupleIJSF_S6_EEENSH_IJSG_SG_EEES6_PlJNSB_9not_fun_tINSB_14equal_to_valueIyEEEEEEE10hipError_tPvRmT3_T4_T5_T6_T7_T9_mT8_P12ihipStream_tbDpT10_ENKUlT_T0_E_clISt17integral_constantIbLb0EES17_IbLb1EEEEDaS13_S14_EUlS13_E_NS1_11comp_targetILNS1_3genE5ELNS1_11target_archE942ELNS1_3gpuE9ELNS1_3repE0EEENS1_30default_config_static_selectorELNS0_4arch9wavefront6targetE0EEEvT1_
; %bb.0:
	.section	.rodata,"a",@progbits
	.p2align	6, 0x0
	.amdhsa_kernel _ZN7rocprim17ROCPRIM_400000_NS6detail17trampoline_kernelINS0_14default_configENS1_25partition_config_selectorILNS1_17partition_subalgoE6EyNS0_10empty_typeEbEEZZNS1_14partition_implILS5_6ELb0ES3_mN6thrust23THRUST_200600_302600_NS6detail15normal_iteratorINSA_10device_ptrIyEEEEPS6_SG_NS0_5tupleIJSF_S6_EEENSH_IJSG_SG_EEES6_PlJNSB_9not_fun_tINSB_14equal_to_valueIyEEEEEEE10hipError_tPvRmT3_T4_T5_T6_T7_T9_mT8_P12ihipStream_tbDpT10_ENKUlT_T0_E_clISt17integral_constantIbLb0EES17_IbLb1EEEEDaS13_S14_EUlS13_E_NS1_11comp_targetILNS1_3genE5ELNS1_11target_archE942ELNS1_3gpuE9ELNS1_3repE0EEENS1_30default_config_static_selectorELNS0_4arch9wavefront6targetE0EEEvT1_
		.amdhsa_group_segment_fixed_size 0
		.amdhsa_private_segment_fixed_size 0
		.amdhsa_kernarg_size 128
		.amdhsa_user_sgpr_count 2
		.amdhsa_user_sgpr_dispatch_ptr 0
		.amdhsa_user_sgpr_queue_ptr 0
		.amdhsa_user_sgpr_kernarg_segment_ptr 1
		.amdhsa_user_sgpr_dispatch_id 0
		.amdhsa_user_sgpr_private_segment_size 0
		.amdhsa_wavefront_size32 1
		.amdhsa_uses_dynamic_stack 0
		.amdhsa_enable_private_segment 0
		.amdhsa_system_sgpr_workgroup_id_x 1
		.amdhsa_system_sgpr_workgroup_id_y 0
		.amdhsa_system_sgpr_workgroup_id_z 0
		.amdhsa_system_sgpr_workgroup_info 0
		.amdhsa_system_vgpr_workitem_id 0
		.amdhsa_next_free_vgpr 1
		.amdhsa_next_free_sgpr 1
		.amdhsa_reserve_vcc 0
		.amdhsa_float_round_mode_32 0
		.amdhsa_float_round_mode_16_64 0
		.amdhsa_float_denorm_mode_32 3
		.amdhsa_float_denorm_mode_16_64 3
		.amdhsa_fp16_overflow 0
		.amdhsa_workgroup_processor_mode 1
		.amdhsa_memory_ordered 1
		.amdhsa_forward_progress 1
		.amdhsa_inst_pref_size 0
		.amdhsa_round_robin_scheduling 0
		.amdhsa_exception_fp_ieee_invalid_op 0
		.amdhsa_exception_fp_denorm_src 0
		.amdhsa_exception_fp_ieee_div_zero 0
		.amdhsa_exception_fp_ieee_overflow 0
		.amdhsa_exception_fp_ieee_underflow 0
		.amdhsa_exception_fp_ieee_inexact 0
		.amdhsa_exception_int_div_zero 0
	.end_amdhsa_kernel
	.section	.text._ZN7rocprim17ROCPRIM_400000_NS6detail17trampoline_kernelINS0_14default_configENS1_25partition_config_selectorILNS1_17partition_subalgoE6EyNS0_10empty_typeEbEEZZNS1_14partition_implILS5_6ELb0ES3_mN6thrust23THRUST_200600_302600_NS6detail15normal_iteratorINSA_10device_ptrIyEEEEPS6_SG_NS0_5tupleIJSF_S6_EEENSH_IJSG_SG_EEES6_PlJNSB_9not_fun_tINSB_14equal_to_valueIyEEEEEEE10hipError_tPvRmT3_T4_T5_T6_T7_T9_mT8_P12ihipStream_tbDpT10_ENKUlT_T0_E_clISt17integral_constantIbLb0EES17_IbLb1EEEEDaS13_S14_EUlS13_E_NS1_11comp_targetILNS1_3genE5ELNS1_11target_archE942ELNS1_3gpuE9ELNS1_3repE0EEENS1_30default_config_static_selectorELNS0_4arch9wavefront6targetE0EEEvT1_,"axG",@progbits,_ZN7rocprim17ROCPRIM_400000_NS6detail17trampoline_kernelINS0_14default_configENS1_25partition_config_selectorILNS1_17partition_subalgoE6EyNS0_10empty_typeEbEEZZNS1_14partition_implILS5_6ELb0ES3_mN6thrust23THRUST_200600_302600_NS6detail15normal_iteratorINSA_10device_ptrIyEEEEPS6_SG_NS0_5tupleIJSF_S6_EEENSH_IJSG_SG_EEES6_PlJNSB_9not_fun_tINSB_14equal_to_valueIyEEEEEEE10hipError_tPvRmT3_T4_T5_T6_T7_T9_mT8_P12ihipStream_tbDpT10_ENKUlT_T0_E_clISt17integral_constantIbLb0EES17_IbLb1EEEEDaS13_S14_EUlS13_E_NS1_11comp_targetILNS1_3genE5ELNS1_11target_archE942ELNS1_3gpuE9ELNS1_3repE0EEENS1_30default_config_static_selectorELNS0_4arch9wavefront6targetE0EEEvT1_,comdat
.Lfunc_end366:
	.size	_ZN7rocprim17ROCPRIM_400000_NS6detail17trampoline_kernelINS0_14default_configENS1_25partition_config_selectorILNS1_17partition_subalgoE6EyNS0_10empty_typeEbEEZZNS1_14partition_implILS5_6ELb0ES3_mN6thrust23THRUST_200600_302600_NS6detail15normal_iteratorINSA_10device_ptrIyEEEEPS6_SG_NS0_5tupleIJSF_S6_EEENSH_IJSG_SG_EEES6_PlJNSB_9not_fun_tINSB_14equal_to_valueIyEEEEEEE10hipError_tPvRmT3_T4_T5_T6_T7_T9_mT8_P12ihipStream_tbDpT10_ENKUlT_T0_E_clISt17integral_constantIbLb0EES17_IbLb1EEEEDaS13_S14_EUlS13_E_NS1_11comp_targetILNS1_3genE5ELNS1_11target_archE942ELNS1_3gpuE9ELNS1_3repE0EEENS1_30default_config_static_selectorELNS0_4arch9wavefront6targetE0EEEvT1_, .Lfunc_end366-_ZN7rocprim17ROCPRIM_400000_NS6detail17trampoline_kernelINS0_14default_configENS1_25partition_config_selectorILNS1_17partition_subalgoE6EyNS0_10empty_typeEbEEZZNS1_14partition_implILS5_6ELb0ES3_mN6thrust23THRUST_200600_302600_NS6detail15normal_iteratorINSA_10device_ptrIyEEEEPS6_SG_NS0_5tupleIJSF_S6_EEENSH_IJSG_SG_EEES6_PlJNSB_9not_fun_tINSB_14equal_to_valueIyEEEEEEE10hipError_tPvRmT3_T4_T5_T6_T7_T9_mT8_P12ihipStream_tbDpT10_ENKUlT_T0_E_clISt17integral_constantIbLb0EES17_IbLb1EEEEDaS13_S14_EUlS13_E_NS1_11comp_targetILNS1_3genE5ELNS1_11target_archE942ELNS1_3gpuE9ELNS1_3repE0EEENS1_30default_config_static_selectorELNS0_4arch9wavefront6targetE0EEEvT1_
                                        ; -- End function
	.set _ZN7rocprim17ROCPRIM_400000_NS6detail17trampoline_kernelINS0_14default_configENS1_25partition_config_selectorILNS1_17partition_subalgoE6EyNS0_10empty_typeEbEEZZNS1_14partition_implILS5_6ELb0ES3_mN6thrust23THRUST_200600_302600_NS6detail15normal_iteratorINSA_10device_ptrIyEEEEPS6_SG_NS0_5tupleIJSF_S6_EEENSH_IJSG_SG_EEES6_PlJNSB_9not_fun_tINSB_14equal_to_valueIyEEEEEEE10hipError_tPvRmT3_T4_T5_T6_T7_T9_mT8_P12ihipStream_tbDpT10_ENKUlT_T0_E_clISt17integral_constantIbLb0EES17_IbLb1EEEEDaS13_S14_EUlS13_E_NS1_11comp_targetILNS1_3genE5ELNS1_11target_archE942ELNS1_3gpuE9ELNS1_3repE0EEENS1_30default_config_static_selectorELNS0_4arch9wavefront6targetE0EEEvT1_.num_vgpr, 0
	.set _ZN7rocprim17ROCPRIM_400000_NS6detail17trampoline_kernelINS0_14default_configENS1_25partition_config_selectorILNS1_17partition_subalgoE6EyNS0_10empty_typeEbEEZZNS1_14partition_implILS5_6ELb0ES3_mN6thrust23THRUST_200600_302600_NS6detail15normal_iteratorINSA_10device_ptrIyEEEEPS6_SG_NS0_5tupleIJSF_S6_EEENSH_IJSG_SG_EEES6_PlJNSB_9not_fun_tINSB_14equal_to_valueIyEEEEEEE10hipError_tPvRmT3_T4_T5_T6_T7_T9_mT8_P12ihipStream_tbDpT10_ENKUlT_T0_E_clISt17integral_constantIbLb0EES17_IbLb1EEEEDaS13_S14_EUlS13_E_NS1_11comp_targetILNS1_3genE5ELNS1_11target_archE942ELNS1_3gpuE9ELNS1_3repE0EEENS1_30default_config_static_selectorELNS0_4arch9wavefront6targetE0EEEvT1_.num_agpr, 0
	.set _ZN7rocprim17ROCPRIM_400000_NS6detail17trampoline_kernelINS0_14default_configENS1_25partition_config_selectorILNS1_17partition_subalgoE6EyNS0_10empty_typeEbEEZZNS1_14partition_implILS5_6ELb0ES3_mN6thrust23THRUST_200600_302600_NS6detail15normal_iteratorINSA_10device_ptrIyEEEEPS6_SG_NS0_5tupleIJSF_S6_EEENSH_IJSG_SG_EEES6_PlJNSB_9not_fun_tINSB_14equal_to_valueIyEEEEEEE10hipError_tPvRmT3_T4_T5_T6_T7_T9_mT8_P12ihipStream_tbDpT10_ENKUlT_T0_E_clISt17integral_constantIbLb0EES17_IbLb1EEEEDaS13_S14_EUlS13_E_NS1_11comp_targetILNS1_3genE5ELNS1_11target_archE942ELNS1_3gpuE9ELNS1_3repE0EEENS1_30default_config_static_selectorELNS0_4arch9wavefront6targetE0EEEvT1_.numbered_sgpr, 0
	.set _ZN7rocprim17ROCPRIM_400000_NS6detail17trampoline_kernelINS0_14default_configENS1_25partition_config_selectorILNS1_17partition_subalgoE6EyNS0_10empty_typeEbEEZZNS1_14partition_implILS5_6ELb0ES3_mN6thrust23THRUST_200600_302600_NS6detail15normal_iteratorINSA_10device_ptrIyEEEEPS6_SG_NS0_5tupleIJSF_S6_EEENSH_IJSG_SG_EEES6_PlJNSB_9not_fun_tINSB_14equal_to_valueIyEEEEEEE10hipError_tPvRmT3_T4_T5_T6_T7_T9_mT8_P12ihipStream_tbDpT10_ENKUlT_T0_E_clISt17integral_constantIbLb0EES17_IbLb1EEEEDaS13_S14_EUlS13_E_NS1_11comp_targetILNS1_3genE5ELNS1_11target_archE942ELNS1_3gpuE9ELNS1_3repE0EEENS1_30default_config_static_selectorELNS0_4arch9wavefront6targetE0EEEvT1_.num_named_barrier, 0
	.set _ZN7rocprim17ROCPRIM_400000_NS6detail17trampoline_kernelINS0_14default_configENS1_25partition_config_selectorILNS1_17partition_subalgoE6EyNS0_10empty_typeEbEEZZNS1_14partition_implILS5_6ELb0ES3_mN6thrust23THRUST_200600_302600_NS6detail15normal_iteratorINSA_10device_ptrIyEEEEPS6_SG_NS0_5tupleIJSF_S6_EEENSH_IJSG_SG_EEES6_PlJNSB_9not_fun_tINSB_14equal_to_valueIyEEEEEEE10hipError_tPvRmT3_T4_T5_T6_T7_T9_mT8_P12ihipStream_tbDpT10_ENKUlT_T0_E_clISt17integral_constantIbLb0EES17_IbLb1EEEEDaS13_S14_EUlS13_E_NS1_11comp_targetILNS1_3genE5ELNS1_11target_archE942ELNS1_3gpuE9ELNS1_3repE0EEENS1_30default_config_static_selectorELNS0_4arch9wavefront6targetE0EEEvT1_.private_seg_size, 0
	.set _ZN7rocprim17ROCPRIM_400000_NS6detail17trampoline_kernelINS0_14default_configENS1_25partition_config_selectorILNS1_17partition_subalgoE6EyNS0_10empty_typeEbEEZZNS1_14partition_implILS5_6ELb0ES3_mN6thrust23THRUST_200600_302600_NS6detail15normal_iteratorINSA_10device_ptrIyEEEEPS6_SG_NS0_5tupleIJSF_S6_EEENSH_IJSG_SG_EEES6_PlJNSB_9not_fun_tINSB_14equal_to_valueIyEEEEEEE10hipError_tPvRmT3_T4_T5_T6_T7_T9_mT8_P12ihipStream_tbDpT10_ENKUlT_T0_E_clISt17integral_constantIbLb0EES17_IbLb1EEEEDaS13_S14_EUlS13_E_NS1_11comp_targetILNS1_3genE5ELNS1_11target_archE942ELNS1_3gpuE9ELNS1_3repE0EEENS1_30default_config_static_selectorELNS0_4arch9wavefront6targetE0EEEvT1_.uses_vcc, 0
	.set _ZN7rocprim17ROCPRIM_400000_NS6detail17trampoline_kernelINS0_14default_configENS1_25partition_config_selectorILNS1_17partition_subalgoE6EyNS0_10empty_typeEbEEZZNS1_14partition_implILS5_6ELb0ES3_mN6thrust23THRUST_200600_302600_NS6detail15normal_iteratorINSA_10device_ptrIyEEEEPS6_SG_NS0_5tupleIJSF_S6_EEENSH_IJSG_SG_EEES6_PlJNSB_9not_fun_tINSB_14equal_to_valueIyEEEEEEE10hipError_tPvRmT3_T4_T5_T6_T7_T9_mT8_P12ihipStream_tbDpT10_ENKUlT_T0_E_clISt17integral_constantIbLb0EES17_IbLb1EEEEDaS13_S14_EUlS13_E_NS1_11comp_targetILNS1_3genE5ELNS1_11target_archE942ELNS1_3gpuE9ELNS1_3repE0EEENS1_30default_config_static_selectorELNS0_4arch9wavefront6targetE0EEEvT1_.uses_flat_scratch, 0
	.set _ZN7rocprim17ROCPRIM_400000_NS6detail17trampoline_kernelINS0_14default_configENS1_25partition_config_selectorILNS1_17partition_subalgoE6EyNS0_10empty_typeEbEEZZNS1_14partition_implILS5_6ELb0ES3_mN6thrust23THRUST_200600_302600_NS6detail15normal_iteratorINSA_10device_ptrIyEEEEPS6_SG_NS0_5tupleIJSF_S6_EEENSH_IJSG_SG_EEES6_PlJNSB_9not_fun_tINSB_14equal_to_valueIyEEEEEEE10hipError_tPvRmT3_T4_T5_T6_T7_T9_mT8_P12ihipStream_tbDpT10_ENKUlT_T0_E_clISt17integral_constantIbLb0EES17_IbLb1EEEEDaS13_S14_EUlS13_E_NS1_11comp_targetILNS1_3genE5ELNS1_11target_archE942ELNS1_3gpuE9ELNS1_3repE0EEENS1_30default_config_static_selectorELNS0_4arch9wavefront6targetE0EEEvT1_.has_dyn_sized_stack, 0
	.set _ZN7rocprim17ROCPRIM_400000_NS6detail17trampoline_kernelINS0_14default_configENS1_25partition_config_selectorILNS1_17partition_subalgoE6EyNS0_10empty_typeEbEEZZNS1_14partition_implILS5_6ELb0ES3_mN6thrust23THRUST_200600_302600_NS6detail15normal_iteratorINSA_10device_ptrIyEEEEPS6_SG_NS0_5tupleIJSF_S6_EEENSH_IJSG_SG_EEES6_PlJNSB_9not_fun_tINSB_14equal_to_valueIyEEEEEEE10hipError_tPvRmT3_T4_T5_T6_T7_T9_mT8_P12ihipStream_tbDpT10_ENKUlT_T0_E_clISt17integral_constantIbLb0EES17_IbLb1EEEEDaS13_S14_EUlS13_E_NS1_11comp_targetILNS1_3genE5ELNS1_11target_archE942ELNS1_3gpuE9ELNS1_3repE0EEENS1_30default_config_static_selectorELNS0_4arch9wavefront6targetE0EEEvT1_.has_recursion, 0
	.set _ZN7rocprim17ROCPRIM_400000_NS6detail17trampoline_kernelINS0_14default_configENS1_25partition_config_selectorILNS1_17partition_subalgoE6EyNS0_10empty_typeEbEEZZNS1_14partition_implILS5_6ELb0ES3_mN6thrust23THRUST_200600_302600_NS6detail15normal_iteratorINSA_10device_ptrIyEEEEPS6_SG_NS0_5tupleIJSF_S6_EEENSH_IJSG_SG_EEES6_PlJNSB_9not_fun_tINSB_14equal_to_valueIyEEEEEEE10hipError_tPvRmT3_T4_T5_T6_T7_T9_mT8_P12ihipStream_tbDpT10_ENKUlT_T0_E_clISt17integral_constantIbLb0EES17_IbLb1EEEEDaS13_S14_EUlS13_E_NS1_11comp_targetILNS1_3genE5ELNS1_11target_archE942ELNS1_3gpuE9ELNS1_3repE0EEENS1_30default_config_static_selectorELNS0_4arch9wavefront6targetE0EEEvT1_.has_indirect_call, 0
	.section	.AMDGPU.csdata,"",@progbits
; Kernel info:
; codeLenInByte = 0
; TotalNumSgprs: 0
; NumVgprs: 0
; ScratchSize: 0
; MemoryBound: 0
; FloatMode: 240
; IeeeMode: 1
; LDSByteSize: 0 bytes/workgroup (compile time only)
; SGPRBlocks: 0
; VGPRBlocks: 0
; NumSGPRsForWavesPerEU: 1
; NumVGPRsForWavesPerEU: 1
; Occupancy: 16
; WaveLimiterHint : 0
; COMPUTE_PGM_RSRC2:SCRATCH_EN: 0
; COMPUTE_PGM_RSRC2:USER_SGPR: 2
; COMPUTE_PGM_RSRC2:TRAP_HANDLER: 0
; COMPUTE_PGM_RSRC2:TGID_X_EN: 1
; COMPUTE_PGM_RSRC2:TGID_Y_EN: 0
; COMPUTE_PGM_RSRC2:TGID_Z_EN: 0
; COMPUTE_PGM_RSRC2:TIDIG_COMP_CNT: 0
	.section	.text._ZN7rocprim17ROCPRIM_400000_NS6detail17trampoline_kernelINS0_14default_configENS1_25partition_config_selectorILNS1_17partition_subalgoE6EyNS0_10empty_typeEbEEZZNS1_14partition_implILS5_6ELb0ES3_mN6thrust23THRUST_200600_302600_NS6detail15normal_iteratorINSA_10device_ptrIyEEEEPS6_SG_NS0_5tupleIJSF_S6_EEENSH_IJSG_SG_EEES6_PlJNSB_9not_fun_tINSB_14equal_to_valueIyEEEEEEE10hipError_tPvRmT3_T4_T5_T6_T7_T9_mT8_P12ihipStream_tbDpT10_ENKUlT_T0_E_clISt17integral_constantIbLb0EES17_IbLb1EEEEDaS13_S14_EUlS13_E_NS1_11comp_targetILNS1_3genE4ELNS1_11target_archE910ELNS1_3gpuE8ELNS1_3repE0EEENS1_30default_config_static_selectorELNS0_4arch9wavefront6targetE0EEEvT1_,"axG",@progbits,_ZN7rocprim17ROCPRIM_400000_NS6detail17trampoline_kernelINS0_14default_configENS1_25partition_config_selectorILNS1_17partition_subalgoE6EyNS0_10empty_typeEbEEZZNS1_14partition_implILS5_6ELb0ES3_mN6thrust23THRUST_200600_302600_NS6detail15normal_iteratorINSA_10device_ptrIyEEEEPS6_SG_NS0_5tupleIJSF_S6_EEENSH_IJSG_SG_EEES6_PlJNSB_9not_fun_tINSB_14equal_to_valueIyEEEEEEE10hipError_tPvRmT3_T4_T5_T6_T7_T9_mT8_P12ihipStream_tbDpT10_ENKUlT_T0_E_clISt17integral_constantIbLb0EES17_IbLb1EEEEDaS13_S14_EUlS13_E_NS1_11comp_targetILNS1_3genE4ELNS1_11target_archE910ELNS1_3gpuE8ELNS1_3repE0EEENS1_30default_config_static_selectorELNS0_4arch9wavefront6targetE0EEEvT1_,comdat
	.protected	_ZN7rocprim17ROCPRIM_400000_NS6detail17trampoline_kernelINS0_14default_configENS1_25partition_config_selectorILNS1_17partition_subalgoE6EyNS0_10empty_typeEbEEZZNS1_14partition_implILS5_6ELb0ES3_mN6thrust23THRUST_200600_302600_NS6detail15normal_iteratorINSA_10device_ptrIyEEEEPS6_SG_NS0_5tupleIJSF_S6_EEENSH_IJSG_SG_EEES6_PlJNSB_9not_fun_tINSB_14equal_to_valueIyEEEEEEE10hipError_tPvRmT3_T4_T5_T6_T7_T9_mT8_P12ihipStream_tbDpT10_ENKUlT_T0_E_clISt17integral_constantIbLb0EES17_IbLb1EEEEDaS13_S14_EUlS13_E_NS1_11comp_targetILNS1_3genE4ELNS1_11target_archE910ELNS1_3gpuE8ELNS1_3repE0EEENS1_30default_config_static_selectorELNS0_4arch9wavefront6targetE0EEEvT1_ ; -- Begin function _ZN7rocprim17ROCPRIM_400000_NS6detail17trampoline_kernelINS0_14default_configENS1_25partition_config_selectorILNS1_17partition_subalgoE6EyNS0_10empty_typeEbEEZZNS1_14partition_implILS5_6ELb0ES3_mN6thrust23THRUST_200600_302600_NS6detail15normal_iteratorINSA_10device_ptrIyEEEEPS6_SG_NS0_5tupleIJSF_S6_EEENSH_IJSG_SG_EEES6_PlJNSB_9not_fun_tINSB_14equal_to_valueIyEEEEEEE10hipError_tPvRmT3_T4_T5_T6_T7_T9_mT8_P12ihipStream_tbDpT10_ENKUlT_T0_E_clISt17integral_constantIbLb0EES17_IbLb1EEEEDaS13_S14_EUlS13_E_NS1_11comp_targetILNS1_3genE4ELNS1_11target_archE910ELNS1_3gpuE8ELNS1_3repE0EEENS1_30default_config_static_selectorELNS0_4arch9wavefront6targetE0EEEvT1_
	.globl	_ZN7rocprim17ROCPRIM_400000_NS6detail17trampoline_kernelINS0_14default_configENS1_25partition_config_selectorILNS1_17partition_subalgoE6EyNS0_10empty_typeEbEEZZNS1_14partition_implILS5_6ELb0ES3_mN6thrust23THRUST_200600_302600_NS6detail15normal_iteratorINSA_10device_ptrIyEEEEPS6_SG_NS0_5tupleIJSF_S6_EEENSH_IJSG_SG_EEES6_PlJNSB_9not_fun_tINSB_14equal_to_valueIyEEEEEEE10hipError_tPvRmT3_T4_T5_T6_T7_T9_mT8_P12ihipStream_tbDpT10_ENKUlT_T0_E_clISt17integral_constantIbLb0EES17_IbLb1EEEEDaS13_S14_EUlS13_E_NS1_11comp_targetILNS1_3genE4ELNS1_11target_archE910ELNS1_3gpuE8ELNS1_3repE0EEENS1_30default_config_static_selectorELNS0_4arch9wavefront6targetE0EEEvT1_
	.p2align	8
	.type	_ZN7rocprim17ROCPRIM_400000_NS6detail17trampoline_kernelINS0_14default_configENS1_25partition_config_selectorILNS1_17partition_subalgoE6EyNS0_10empty_typeEbEEZZNS1_14partition_implILS5_6ELb0ES3_mN6thrust23THRUST_200600_302600_NS6detail15normal_iteratorINSA_10device_ptrIyEEEEPS6_SG_NS0_5tupleIJSF_S6_EEENSH_IJSG_SG_EEES6_PlJNSB_9not_fun_tINSB_14equal_to_valueIyEEEEEEE10hipError_tPvRmT3_T4_T5_T6_T7_T9_mT8_P12ihipStream_tbDpT10_ENKUlT_T0_E_clISt17integral_constantIbLb0EES17_IbLb1EEEEDaS13_S14_EUlS13_E_NS1_11comp_targetILNS1_3genE4ELNS1_11target_archE910ELNS1_3gpuE8ELNS1_3repE0EEENS1_30default_config_static_selectorELNS0_4arch9wavefront6targetE0EEEvT1_,@function
_ZN7rocprim17ROCPRIM_400000_NS6detail17trampoline_kernelINS0_14default_configENS1_25partition_config_selectorILNS1_17partition_subalgoE6EyNS0_10empty_typeEbEEZZNS1_14partition_implILS5_6ELb0ES3_mN6thrust23THRUST_200600_302600_NS6detail15normal_iteratorINSA_10device_ptrIyEEEEPS6_SG_NS0_5tupleIJSF_S6_EEENSH_IJSG_SG_EEES6_PlJNSB_9not_fun_tINSB_14equal_to_valueIyEEEEEEE10hipError_tPvRmT3_T4_T5_T6_T7_T9_mT8_P12ihipStream_tbDpT10_ENKUlT_T0_E_clISt17integral_constantIbLb0EES17_IbLb1EEEEDaS13_S14_EUlS13_E_NS1_11comp_targetILNS1_3genE4ELNS1_11target_archE910ELNS1_3gpuE8ELNS1_3repE0EEENS1_30default_config_static_selectorELNS0_4arch9wavefront6targetE0EEEvT1_: ; @_ZN7rocprim17ROCPRIM_400000_NS6detail17trampoline_kernelINS0_14default_configENS1_25partition_config_selectorILNS1_17partition_subalgoE6EyNS0_10empty_typeEbEEZZNS1_14partition_implILS5_6ELb0ES3_mN6thrust23THRUST_200600_302600_NS6detail15normal_iteratorINSA_10device_ptrIyEEEEPS6_SG_NS0_5tupleIJSF_S6_EEENSH_IJSG_SG_EEES6_PlJNSB_9not_fun_tINSB_14equal_to_valueIyEEEEEEE10hipError_tPvRmT3_T4_T5_T6_T7_T9_mT8_P12ihipStream_tbDpT10_ENKUlT_T0_E_clISt17integral_constantIbLb0EES17_IbLb1EEEEDaS13_S14_EUlS13_E_NS1_11comp_targetILNS1_3genE4ELNS1_11target_archE910ELNS1_3gpuE8ELNS1_3repE0EEENS1_30default_config_static_selectorELNS0_4arch9wavefront6targetE0EEEvT1_
; %bb.0:
	.section	.rodata,"a",@progbits
	.p2align	6, 0x0
	.amdhsa_kernel _ZN7rocprim17ROCPRIM_400000_NS6detail17trampoline_kernelINS0_14default_configENS1_25partition_config_selectorILNS1_17partition_subalgoE6EyNS0_10empty_typeEbEEZZNS1_14partition_implILS5_6ELb0ES3_mN6thrust23THRUST_200600_302600_NS6detail15normal_iteratorINSA_10device_ptrIyEEEEPS6_SG_NS0_5tupleIJSF_S6_EEENSH_IJSG_SG_EEES6_PlJNSB_9not_fun_tINSB_14equal_to_valueIyEEEEEEE10hipError_tPvRmT3_T4_T5_T6_T7_T9_mT8_P12ihipStream_tbDpT10_ENKUlT_T0_E_clISt17integral_constantIbLb0EES17_IbLb1EEEEDaS13_S14_EUlS13_E_NS1_11comp_targetILNS1_3genE4ELNS1_11target_archE910ELNS1_3gpuE8ELNS1_3repE0EEENS1_30default_config_static_selectorELNS0_4arch9wavefront6targetE0EEEvT1_
		.amdhsa_group_segment_fixed_size 0
		.amdhsa_private_segment_fixed_size 0
		.amdhsa_kernarg_size 128
		.amdhsa_user_sgpr_count 2
		.amdhsa_user_sgpr_dispatch_ptr 0
		.amdhsa_user_sgpr_queue_ptr 0
		.amdhsa_user_sgpr_kernarg_segment_ptr 1
		.amdhsa_user_sgpr_dispatch_id 0
		.amdhsa_user_sgpr_private_segment_size 0
		.amdhsa_wavefront_size32 1
		.amdhsa_uses_dynamic_stack 0
		.amdhsa_enable_private_segment 0
		.amdhsa_system_sgpr_workgroup_id_x 1
		.amdhsa_system_sgpr_workgroup_id_y 0
		.amdhsa_system_sgpr_workgroup_id_z 0
		.amdhsa_system_sgpr_workgroup_info 0
		.amdhsa_system_vgpr_workitem_id 0
		.amdhsa_next_free_vgpr 1
		.amdhsa_next_free_sgpr 1
		.amdhsa_reserve_vcc 0
		.amdhsa_float_round_mode_32 0
		.amdhsa_float_round_mode_16_64 0
		.amdhsa_float_denorm_mode_32 3
		.amdhsa_float_denorm_mode_16_64 3
		.amdhsa_fp16_overflow 0
		.amdhsa_workgroup_processor_mode 1
		.amdhsa_memory_ordered 1
		.amdhsa_forward_progress 1
		.amdhsa_inst_pref_size 0
		.amdhsa_round_robin_scheduling 0
		.amdhsa_exception_fp_ieee_invalid_op 0
		.amdhsa_exception_fp_denorm_src 0
		.amdhsa_exception_fp_ieee_div_zero 0
		.amdhsa_exception_fp_ieee_overflow 0
		.amdhsa_exception_fp_ieee_underflow 0
		.amdhsa_exception_fp_ieee_inexact 0
		.amdhsa_exception_int_div_zero 0
	.end_amdhsa_kernel
	.section	.text._ZN7rocprim17ROCPRIM_400000_NS6detail17trampoline_kernelINS0_14default_configENS1_25partition_config_selectorILNS1_17partition_subalgoE6EyNS0_10empty_typeEbEEZZNS1_14partition_implILS5_6ELb0ES3_mN6thrust23THRUST_200600_302600_NS6detail15normal_iteratorINSA_10device_ptrIyEEEEPS6_SG_NS0_5tupleIJSF_S6_EEENSH_IJSG_SG_EEES6_PlJNSB_9not_fun_tINSB_14equal_to_valueIyEEEEEEE10hipError_tPvRmT3_T4_T5_T6_T7_T9_mT8_P12ihipStream_tbDpT10_ENKUlT_T0_E_clISt17integral_constantIbLb0EES17_IbLb1EEEEDaS13_S14_EUlS13_E_NS1_11comp_targetILNS1_3genE4ELNS1_11target_archE910ELNS1_3gpuE8ELNS1_3repE0EEENS1_30default_config_static_selectorELNS0_4arch9wavefront6targetE0EEEvT1_,"axG",@progbits,_ZN7rocprim17ROCPRIM_400000_NS6detail17trampoline_kernelINS0_14default_configENS1_25partition_config_selectorILNS1_17partition_subalgoE6EyNS0_10empty_typeEbEEZZNS1_14partition_implILS5_6ELb0ES3_mN6thrust23THRUST_200600_302600_NS6detail15normal_iteratorINSA_10device_ptrIyEEEEPS6_SG_NS0_5tupleIJSF_S6_EEENSH_IJSG_SG_EEES6_PlJNSB_9not_fun_tINSB_14equal_to_valueIyEEEEEEE10hipError_tPvRmT3_T4_T5_T6_T7_T9_mT8_P12ihipStream_tbDpT10_ENKUlT_T0_E_clISt17integral_constantIbLb0EES17_IbLb1EEEEDaS13_S14_EUlS13_E_NS1_11comp_targetILNS1_3genE4ELNS1_11target_archE910ELNS1_3gpuE8ELNS1_3repE0EEENS1_30default_config_static_selectorELNS0_4arch9wavefront6targetE0EEEvT1_,comdat
.Lfunc_end367:
	.size	_ZN7rocprim17ROCPRIM_400000_NS6detail17trampoline_kernelINS0_14default_configENS1_25partition_config_selectorILNS1_17partition_subalgoE6EyNS0_10empty_typeEbEEZZNS1_14partition_implILS5_6ELb0ES3_mN6thrust23THRUST_200600_302600_NS6detail15normal_iteratorINSA_10device_ptrIyEEEEPS6_SG_NS0_5tupleIJSF_S6_EEENSH_IJSG_SG_EEES6_PlJNSB_9not_fun_tINSB_14equal_to_valueIyEEEEEEE10hipError_tPvRmT3_T4_T5_T6_T7_T9_mT8_P12ihipStream_tbDpT10_ENKUlT_T0_E_clISt17integral_constantIbLb0EES17_IbLb1EEEEDaS13_S14_EUlS13_E_NS1_11comp_targetILNS1_3genE4ELNS1_11target_archE910ELNS1_3gpuE8ELNS1_3repE0EEENS1_30default_config_static_selectorELNS0_4arch9wavefront6targetE0EEEvT1_, .Lfunc_end367-_ZN7rocprim17ROCPRIM_400000_NS6detail17trampoline_kernelINS0_14default_configENS1_25partition_config_selectorILNS1_17partition_subalgoE6EyNS0_10empty_typeEbEEZZNS1_14partition_implILS5_6ELb0ES3_mN6thrust23THRUST_200600_302600_NS6detail15normal_iteratorINSA_10device_ptrIyEEEEPS6_SG_NS0_5tupleIJSF_S6_EEENSH_IJSG_SG_EEES6_PlJNSB_9not_fun_tINSB_14equal_to_valueIyEEEEEEE10hipError_tPvRmT3_T4_T5_T6_T7_T9_mT8_P12ihipStream_tbDpT10_ENKUlT_T0_E_clISt17integral_constantIbLb0EES17_IbLb1EEEEDaS13_S14_EUlS13_E_NS1_11comp_targetILNS1_3genE4ELNS1_11target_archE910ELNS1_3gpuE8ELNS1_3repE0EEENS1_30default_config_static_selectorELNS0_4arch9wavefront6targetE0EEEvT1_
                                        ; -- End function
	.set _ZN7rocprim17ROCPRIM_400000_NS6detail17trampoline_kernelINS0_14default_configENS1_25partition_config_selectorILNS1_17partition_subalgoE6EyNS0_10empty_typeEbEEZZNS1_14partition_implILS5_6ELb0ES3_mN6thrust23THRUST_200600_302600_NS6detail15normal_iteratorINSA_10device_ptrIyEEEEPS6_SG_NS0_5tupleIJSF_S6_EEENSH_IJSG_SG_EEES6_PlJNSB_9not_fun_tINSB_14equal_to_valueIyEEEEEEE10hipError_tPvRmT3_T4_T5_T6_T7_T9_mT8_P12ihipStream_tbDpT10_ENKUlT_T0_E_clISt17integral_constantIbLb0EES17_IbLb1EEEEDaS13_S14_EUlS13_E_NS1_11comp_targetILNS1_3genE4ELNS1_11target_archE910ELNS1_3gpuE8ELNS1_3repE0EEENS1_30default_config_static_selectorELNS0_4arch9wavefront6targetE0EEEvT1_.num_vgpr, 0
	.set _ZN7rocprim17ROCPRIM_400000_NS6detail17trampoline_kernelINS0_14default_configENS1_25partition_config_selectorILNS1_17partition_subalgoE6EyNS0_10empty_typeEbEEZZNS1_14partition_implILS5_6ELb0ES3_mN6thrust23THRUST_200600_302600_NS6detail15normal_iteratorINSA_10device_ptrIyEEEEPS6_SG_NS0_5tupleIJSF_S6_EEENSH_IJSG_SG_EEES6_PlJNSB_9not_fun_tINSB_14equal_to_valueIyEEEEEEE10hipError_tPvRmT3_T4_T5_T6_T7_T9_mT8_P12ihipStream_tbDpT10_ENKUlT_T0_E_clISt17integral_constantIbLb0EES17_IbLb1EEEEDaS13_S14_EUlS13_E_NS1_11comp_targetILNS1_3genE4ELNS1_11target_archE910ELNS1_3gpuE8ELNS1_3repE0EEENS1_30default_config_static_selectorELNS0_4arch9wavefront6targetE0EEEvT1_.num_agpr, 0
	.set _ZN7rocprim17ROCPRIM_400000_NS6detail17trampoline_kernelINS0_14default_configENS1_25partition_config_selectorILNS1_17partition_subalgoE6EyNS0_10empty_typeEbEEZZNS1_14partition_implILS5_6ELb0ES3_mN6thrust23THRUST_200600_302600_NS6detail15normal_iteratorINSA_10device_ptrIyEEEEPS6_SG_NS0_5tupleIJSF_S6_EEENSH_IJSG_SG_EEES6_PlJNSB_9not_fun_tINSB_14equal_to_valueIyEEEEEEE10hipError_tPvRmT3_T4_T5_T6_T7_T9_mT8_P12ihipStream_tbDpT10_ENKUlT_T0_E_clISt17integral_constantIbLb0EES17_IbLb1EEEEDaS13_S14_EUlS13_E_NS1_11comp_targetILNS1_3genE4ELNS1_11target_archE910ELNS1_3gpuE8ELNS1_3repE0EEENS1_30default_config_static_selectorELNS0_4arch9wavefront6targetE0EEEvT1_.numbered_sgpr, 0
	.set _ZN7rocprim17ROCPRIM_400000_NS6detail17trampoline_kernelINS0_14default_configENS1_25partition_config_selectorILNS1_17partition_subalgoE6EyNS0_10empty_typeEbEEZZNS1_14partition_implILS5_6ELb0ES3_mN6thrust23THRUST_200600_302600_NS6detail15normal_iteratorINSA_10device_ptrIyEEEEPS6_SG_NS0_5tupleIJSF_S6_EEENSH_IJSG_SG_EEES6_PlJNSB_9not_fun_tINSB_14equal_to_valueIyEEEEEEE10hipError_tPvRmT3_T4_T5_T6_T7_T9_mT8_P12ihipStream_tbDpT10_ENKUlT_T0_E_clISt17integral_constantIbLb0EES17_IbLb1EEEEDaS13_S14_EUlS13_E_NS1_11comp_targetILNS1_3genE4ELNS1_11target_archE910ELNS1_3gpuE8ELNS1_3repE0EEENS1_30default_config_static_selectorELNS0_4arch9wavefront6targetE0EEEvT1_.num_named_barrier, 0
	.set _ZN7rocprim17ROCPRIM_400000_NS6detail17trampoline_kernelINS0_14default_configENS1_25partition_config_selectorILNS1_17partition_subalgoE6EyNS0_10empty_typeEbEEZZNS1_14partition_implILS5_6ELb0ES3_mN6thrust23THRUST_200600_302600_NS6detail15normal_iteratorINSA_10device_ptrIyEEEEPS6_SG_NS0_5tupleIJSF_S6_EEENSH_IJSG_SG_EEES6_PlJNSB_9not_fun_tINSB_14equal_to_valueIyEEEEEEE10hipError_tPvRmT3_T4_T5_T6_T7_T9_mT8_P12ihipStream_tbDpT10_ENKUlT_T0_E_clISt17integral_constantIbLb0EES17_IbLb1EEEEDaS13_S14_EUlS13_E_NS1_11comp_targetILNS1_3genE4ELNS1_11target_archE910ELNS1_3gpuE8ELNS1_3repE0EEENS1_30default_config_static_selectorELNS0_4arch9wavefront6targetE0EEEvT1_.private_seg_size, 0
	.set _ZN7rocprim17ROCPRIM_400000_NS6detail17trampoline_kernelINS0_14default_configENS1_25partition_config_selectorILNS1_17partition_subalgoE6EyNS0_10empty_typeEbEEZZNS1_14partition_implILS5_6ELb0ES3_mN6thrust23THRUST_200600_302600_NS6detail15normal_iteratorINSA_10device_ptrIyEEEEPS6_SG_NS0_5tupleIJSF_S6_EEENSH_IJSG_SG_EEES6_PlJNSB_9not_fun_tINSB_14equal_to_valueIyEEEEEEE10hipError_tPvRmT3_T4_T5_T6_T7_T9_mT8_P12ihipStream_tbDpT10_ENKUlT_T0_E_clISt17integral_constantIbLb0EES17_IbLb1EEEEDaS13_S14_EUlS13_E_NS1_11comp_targetILNS1_3genE4ELNS1_11target_archE910ELNS1_3gpuE8ELNS1_3repE0EEENS1_30default_config_static_selectorELNS0_4arch9wavefront6targetE0EEEvT1_.uses_vcc, 0
	.set _ZN7rocprim17ROCPRIM_400000_NS6detail17trampoline_kernelINS0_14default_configENS1_25partition_config_selectorILNS1_17partition_subalgoE6EyNS0_10empty_typeEbEEZZNS1_14partition_implILS5_6ELb0ES3_mN6thrust23THRUST_200600_302600_NS6detail15normal_iteratorINSA_10device_ptrIyEEEEPS6_SG_NS0_5tupleIJSF_S6_EEENSH_IJSG_SG_EEES6_PlJNSB_9not_fun_tINSB_14equal_to_valueIyEEEEEEE10hipError_tPvRmT3_T4_T5_T6_T7_T9_mT8_P12ihipStream_tbDpT10_ENKUlT_T0_E_clISt17integral_constantIbLb0EES17_IbLb1EEEEDaS13_S14_EUlS13_E_NS1_11comp_targetILNS1_3genE4ELNS1_11target_archE910ELNS1_3gpuE8ELNS1_3repE0EEENS1_30default_config_static_selectorELNS0_4arch9wavefront6targetE0EEEvT1_.uses_flat_scratch, 0
	.set _ZN7rocprim17ROCPRIM_400000_NS6detail17trampoline_kernelINS0_14default_configENS1_25partition_config_selectorILNS1_17partition_subalgoE6EyNS0_10empty_typeEbEEZZNS1_14partition_implILS5_6ELb0ES3_mN6thrust23THRUST_200600_302600_NS6detail15normal_iteratorINSA_10device_ptrIyEEEEPS6_SG_NS0_5tupleIJSF_S6_EEENSH_IJSG_SG_EEES6_PlJNSB_9not_fun_tINSB_14equal_to_valueIyEEEEEEE10hipError_tPvRmT3_T4_T5_T6_T7_T9_mT8_P12ihipStream_tbDpT10_ENKUlT_T0_E_clISt17integral_constantIbLb0EES17_IbLb1EEEEDaS13_S14_EUlS13_E_NS1_11comp_targetILNS1_3genE4ELNS1_11target_archE910ELNS1_3gpuE8ELNS1_3repE0EEENS1_30default_config_static_selectorELNS0_4arch9wavefront6targetE0EEEvT1_.has_dyn_sized_stack, 0
	.set _ZN7rocprim17ROCPRIM_400000_NS6detail17trampoline_kernelINS0_14default_configENS1_25partition_config_selectorILNS1_17partition_subalgoE6EyNS0_10empty_typeEbEEZZNS1_14partition_implILS5_6ELb0ES3_mN6thrust23THRUST_200600_302600_NS6detail15normal_iteratorINSA_10device_ptrIyEEEEPS6_SG_NS0_5tupleIJSF_S6_EEENSH_IJSG_SG_EEES6_PlJNSB_9not_fun_tINSB_14equal_to_valueIyEEEEEEE10hipError_tPvRmT3_T4_T5_T6_T7_T9_mT8_P12ihipStream_tbDpT10_ENKUlT_T0_E_clISt17integral_constantIbLb0EES17_IbLb1EEEEDaS13_S14_EUlS13_E_NS1_11comp_targetILNS1_3genE4ELNS1_11target_archE910ELNS1_3gpuE8ELNS1_3repE0EEENS1_30default_config_static_selectorELNS0_4arch9wavefront6targetE0EEEvT1_.has_recursion, 0
	.set _ZN7rocprim17ROCPRIM_400000_NS6detail17trampoline_kernelINS0_14default_configENS1_25partition_config_selectorILNS1_17partition_subalgoE6EyNS0_10empty_typeEbEEZZNS1_14partition_implILS5_6ELb0ES3_mN6thrust23THRUST_200600_302600_NS6detail15normal_iteratorINSA_10device_ptrIyEEEEPS6_SG_NS0_5tupleIJSF_S6_EEENSH_IJSG_SG_EEES6_PlJNSB_9not_fun_tINSB_14equal_to_valueIyEEEEEEE10hipError_tPvRmT3_T4_T5_T6_T7_T9_mT8_P12ihipStream_tbDpT10_ENKUlT_T0_E_clISt17integral_constantIbLb0EES17_IbLb1EEEEDaS13_S14_EUlS13_E_NS1_11comp_targetILNS1_3genE4ELNS1_11target_archE910ELNS1_3gpuE8ELNS1_3repE0EEENS1_30default_config_static_selectorELNS0_4arch9wavefront6targetE0EEEvT1_.has_indirect_call, 0
	.section	.AMDGPU.csdata,"",@progbits
; Kernel info:
; codeLenInByte = 0
; TotalNumSgprs: 0
; NumVgprs: 0
; ScratchSize: 0
; MemoryBound: 0
; FloatMode: 240
; IeeeMode: 1
; LDSByteSize: 0 bytes/workgroup (compile time only)
; SGPRBlocks: 0
; VGPRBlocks: 0
; NumSGPRsForWavesPerEU: 1
; NumVGPRsForWavesPerEU: 1
; Occupancy: 16
; WaveLimiterHint : 0
; COMPUTE_PGM_RSRC2:SCRATCH_EN: 0
; COMPUTE_PGM_RSRC2:USER_SGPR: 2
; COMPUTE_PGM_RSRC2:TRAP_HANDLER: 0
; COMPUTE_PGM_RSRC2:TGID_X_EN: 1
; COMPUTE_PGM_RSRC2:TGID_Y_EN: 0
; COMPUTE_PGM_RSRC2:TGID_Z_EN: 0
; COMPUTE_PGM_RSRC2:TIDIG_COMP_CNT: 0
	.section	.text._ZN7rocprim17ROCPRIM_400000_NS6detail17trampoline_kernelINS0_14default_configENS1_25partition_config_selectorILNS1_17partition_subalgoE6EyNS0_10empty_typeEbEEZZNS1_14partition_implILS5_6ELb0ES3_mN6thrust23THRUST_200600_302600_NS6detail15normal_iteratorINSA_10device_ptrIyEEEEPS6_SG_NS0_5tupleIJSF_S6_EEENSH_IJSG_SG_EEES6_PlJNSB_9not_fun_tINSB_14equal_to_valueIyEEEEEEE10hipError_tPvRmT3_T4_T5_T6_T7_T9_mT8_P12ihipStream_tbDpT10_ENKUlT_T0_E_clISt17integral_constantIbLb0EES17_IbLb1EEEEDaS13_S14_EUlS13_E_NS1_11comp_targetILNS1_3genE3ELNS1_11target_archE908ELNS1_3gpuE7ELNS1_3repE0EEENS1_30default_config_static_selectorELNS0_4arch9wavefront6targetE0EEEvT1_,"axG",@progbits,_ZN7rocprim17ROCPRIM_400000_NS6detail17trampoline_kernelINS0_14default_configENS1_25partition_config_selectorILNS1_17partition_subalgoE6EyNS0_10empty_typeEbEEZZNS1_14partition_implILS5_6ELb0ES3_mN6thrust23THRUST_200600_302600_NS6detail15normal_iteratorINSA_10device_ptrIyEEEEPS6_SG_NS0_5tupleIJSF_S6_EEENSH_IJSG_SG_EEES6_PlJNSB_9not_fun_tINSB_14equal_to_valueIyEEEEEEE10hipError_tPvRmT3_T4_T5_T6_T7_T9_mT8_P12ihipStream_tbDpT10_ENKUlT_T0_E_clISt17integral_constantIbLb0EES17_IbLb1EEEEDaS13_S14_EUlS13_E_NS1_11comp_targetILNS1_3genE3ELNS1_11target_archE908ELNS1_3gpuE7ELNS1_3repE0EEENS1_30default_config_static_selectorELNS0_4arch9wavefront6targetE0EEEvT1_,comdat
	.protected	_ZN7rocprim17ROCPRIM_400000_NS6detail17trampoline_kernelINS0_14default_configENS1_25partition_config_selectorILNS1_17partition_subalgoE6EyNS0_10empty_typeEbEEZZNS1_14partition_implILS5_6ELb0ES3_mN6thrust23THRUST_200600_302600_NS6detail15normal_iteratorINSA_10device_ptrIyEEEEPS6_SG_NS0_5tupleIJSF_S6_EEENSH_IJSG_SG_EEES6_PlJNSB_9not_fun_tINSB_14equal_to_valueIyEEEEEEE10hipError_tPvRmT3_T4_T5_T6_T7_T9_mT8_P12ihipStream_tbDpT10_ENKUlT_T0_E_clISt17integral_constantIbLb0EES17_IbLb1EEEEDaS13_S14_EUlS13_E_NS1_11comp_targetILNS1_3genE3ELNS1_11target_archE908ELNS1_3gpuE7ELNS1_3repE0EEENS1_30default_config_static_selectorELNS0_4arch9wavefront6targetE0EEEvT1_ ; -- Begin function _ZN7rocprim17ROCPRIM_400000_NS6detail17trampoline_kernelINS0_14default_configENS1_25partition_config_selectorILNS1_17partition_subalgoE6EyNS0_10empty_typeEbEEZZNS1_14partition_implILS5_6ELb0ES3_mN6thrust23THRUST_200600_302600_NS6detail15normal_iteratorINSA_10device_ptrIyEEEEPS6_SG_NS0_5tupleIJSF_S6_EEENSH_IJSG_SG_EEES6_PlJNSB_9not_fun_tINSB_14equal_to_valueIyEEEEEEE10hipError_tPvRmT3_T4_T5_T6_T7_T9_mT8_P12ihipStream_tbDpT10_ENKUlT_T0_E_clISt17integral_constantIbLb0EES17_IbLb1EEEEDaS13_S14_EUlS13_E_NS1_11comp_targetILNS1_3genE3ELNS1_11target_archE908ELNS1_3gpuE7ELNS1_3repE0EEENS1_30default_config_static_selectorELNS0_4arch9wavefront6targetE0EEEvT1_
	.globl	_ZN7rocprim17ROCPRIM_400000_NS6detail17trampoline_kernelINS0_14default_configENS1_25partition_config_selectorILNS1_17partition_subalgoE6EyNS0_10empty_typeEbEEZZNS1_14partition_implILS5_6ELb0ES3_mN6thrust23THRUST_200600_302600_NS6detail15normal_iteratorINSA_10device_ptrIyEEEEPS6_SG_NS0_5tupleIJSF_S6_EEENSH_IJSG_SG_EEES6_PlJNSB_9not_fun_tINSB_14equal_to_valueIyEEEEEEE10hipError_tPvRmT3_T4_T5_T6_T7_T9_mT8_P12ihipStream_tbDpT10_ENKUlT_T0_E_clISt17integral_constantIbLb0EES17_IbLb1EEEEDaS13_S14_EUlS13_E_NS1_11comp_targetILNS1_3genE3ELNS1_11target_archE908ELNS1_3gpuE7ELNS1_3repE0EEENS1_30default_config_static_selectorELNS0_4arch9wavefront6targetE0EEEvT1_
	.p2align	8
	.type	_ZN7rocprim17ROCPRIM_400000_NS6detail17trampoline_kernelINS0_14default_configENS1_25partition_config_selectorILNS1_17partition_subalgoE6EyNS0_10empty_typeEbEEZZNS1_14partition_implILS5_6ELb0ES3_mN6thrust23THRUST_200600_302600_NS6detail15normal_iteratorINSA_10device_ptrIyEEEEPS6_SG_NS0_5tupleIJSF_S6_EEENSH_IJSG_SG_EEES6_PlJNSB_9not_fun_tINSB_14equal_to_valueIyEEEEEEE10hipError_tPvRmT3_T4_T5_T6_T7_T9_mT8_P12ihipStream_tbDpT10_ENKUlT_T0_E_clISt17integral_constantIbLb0EES17_IbLb1EEEEDaS13_S14_EUlS13_E_NS1_11comp_targetILNS1_3genE3ELNS1_11target_archE908ELNS1_3gpuE7ELNS1_3repE0EEENS1_30default_config_static_selectorELNS0_4arch9wavefront6targetE0EEEvT1_,@function
_ZN7rocprim17ROCPRIM_400000_NS6detail17trampoline_kernelINS0_14default_configENS1_25partition_config_selectorILNS1_17partition_subalgoE6EyNS0_10empty_typeEbEEZZNS1_14partition_implILS5_6ELb0ES3_mN6thrust23THRUST_200600_302600_NS6detail15normal_iteratorINSA_10device_ptrIyEEEEPS6_SG_NS0_5tupleIJSF_S6_EEENSH_IJSG_SG_EEES6_PlJNSB_9not_fun_tINSB_14equal_to_valueIyEEEEEEE10hipError_tPvRmT3_T4_T5_T6_T7_T9_mT8_P12ihipStream_tbDpT10_ENKUlT_T0_E_clISt17integral_constantIbLb0EES17_IbLb1EEEEDaS13_S14_EUlS13_E_NS1_11comp_targetILNS1_3genE3ELNS1_11target_archE908ELNS1_3gpuE7ELNS1_3repE0EEENS1_30default_config_static_selectorELNS0_4arch9wavefront6targetE0EEEvT1_: ; @_ZN7rocprim17ROCPRIM_400000_NS6detail17trampoline_kernelINS0_14default_configENS1_25partition_config_selectorILNS1_17partition_subalgoE6EyNS0_10empty_typeEbEEZZNS1_14partition_implILS5_6ELb0ES3_mN6thrust23THRUST_200600_302600_NS6detail15normal_iteratorINSA_10device_ptrIyEEEEPS6_SG_NS0_5tupleIJSF_S6_EEENSH_IJSG_SG_EEES6_PlJNSB_9not_fun_tINSB_14equal_to_valueIyEEEEEEE10hipError_tPvRmT3_T4_T5_T6_T7_T9_mT8_P12ihipStream_tbDpT10_ENKUlT_T0_E_clISt17integral_constantIbLb0EES17_IbLb1EEEEDaS13_S14_EUlS13_E_NS1_11comp_targetILNS1_3genE3ELNS1_11target_archE908ELNS1_3gpuE7ELNS1_3repE0EEENS1_30default_config_static_selectorELNS0_4arch9wavefront6targetE0EEEvT1_
; %bb.0:
	.section	.rodata,"a",@progbits
	.p2align	6, 0x0
	.amdhsa_kernel _ZN7rocprim17ROCPRIM_400000_NS6detail17trampoline_kernelINS0_14default_configENS1_25partition_config_selectorILNS1_17partition_subalgoE6EyNS0_10empty_typeEbEEZZNS1_14partition_implILS5_6ELb0ES3_mN6thrust23THRUST_200600_302600_NS6detail15normal_iteratorINSA_10device_ptrIyEEEEPS6_SG_NS0_5tupleIJSF_S6_EEENSH_IJSG_SG_EEES6_PlJNSB_9not_fun_tINSB_14equal_to_valueIyEEEEEEE10hipError_tPvRmT3_T4_T5_T6_T7_T9_mT8_P12ihipStream_tbDpT10_ENKUlT_T0_E_clISt17integral_constantIbLb0EES17_IbLb1EEEEDaS13_S14_EUlS13_E_NS1_11comp_targetILNS1_3genE3ELNS1_11target_archE908ELNS1_3gpuE7ELNS1_3repE0EEENS1_30default_config_static_selectorELNS0_4arch9wavefront6targetE0EEEvT1_
		.amdhsa_group_segment_fixed_size 0
		.amdhsa_private_segment_fixed_size 0
		.amdhsa_kernarg_size 128
		.amdhsa_user_sgpr_count 2
		.amdhsa_user_sgpr_dispatch_ptr 0
		.amdhsa_user_sgpr_queue_ptr 0
		.amdhsa_user_sgpr_kernarg_segment_ptr 1
		.amdhsa_user_sgpr_dispatch_id 0
		.amdhsa_user_sgpr_private_segment_size 0
		.amdhsa_wavefront_size32 1
		.amdhsa_uses_dynamic_stack 0
		.amdhsa_enable_private_segment 0
		.amdhsa_system_sgpr_workgroup_id_x 1
		.amdhsa_system_sgpr_workgroup_id_y 0
		.amdhsa_system_sgpr_workgroup_id_z 0
		.amdhsa_system_sgpr_workgroup_info 0
		.amdhsa_system_vgpr_workitem_id 0
		.amdhsa_next_free_vgpr 1
		.amdhsa_next_free_sgpr 1
		.amdhsa_reserve_vcc 0
		.amdhsa_float_round_mode_32 0
		.amdhsa_float_round_mode_16_64 0
		.amdhsa_float_denorm_mode_32 3
		.amdhsa_float_denorm_mode_16_64 3
		.amdhsa_fp16_overflow 0
		.amdhsa_workgroup_processor_mode 1
		.amdhsa_memory_ordered 1
		.amdhsa_forward_progress 1
		.amdhsa_inst_pref_size 0
		.amdhsa_round_robin_scheduling 0
		.amdhsa_exception_fp_ieee_invalid_op 0
		.amdhsa_exception_fp_denorm_src 0
		.amdhsa_exception_fp_ieee_div_zero 0
		.amdhsa_exception_fp_ieee_overflow 0
		.amdhsa_exception_fp_ieee_underflow 0
		.amdhsa_exception_fp_ieee_inexact 0
		.amdhsa_exception_int_div_zero 0
	.end_amdhsa_kernel
	.section	.text._ZN7rocprim17ROCPRIM_400000_NS6detail17trampoline_kernelINS0_14default_configENS1_25partition_config_selectorILNS1_17partition_subalgoE6EyNS0_10empty_typeEbEEZZNS1_14partition_implILS5_6ELb0ES3_mN6thrust23THRUST_200600_302600_NS6detail15normal_iteratorINSA_10device_ptrIyEEEEPS6_SG_NS0_5tupleIJSF_S6_EEENSH_IJSG_SG_EEES6_PlJNSB_9not_fun_tINSB_14equal_to_valueIyEEEEEEE10hipError_tPvRmT3_T4_T5_T6_T7_T9_mT8_P12ihipStream_tbDpT10_ENKUlT_T0_E_clISt17integral_constantIbLb0EES17_IbLb1EEEEDaS13_S14_EUlS13_E_NS1_11comp_targetILNS1_3genE3ELNS1_11target_archE908ELNS1_3gpuE7ELNS1_3repE0EEENS1_30default_config_static_selectorELNS0_4arch9wavefront6targetE0EEEvT1_,"axG",@progbits,_ZN7rocprim17ROCPRIM_400000_NS6detail17trampoline_kernelINS0_14default_configENS1_25partition_config_selectorILNS1_17partition_subalgoE6EyNS0_10empty_typeEbEEZZNS1_14partition_implILS5_6ELb0ES3_mN6thrust23THRUST_200600_302600_NS6detail15normal_iteratorINSA_10device_ptrIyEEEEPS6_SG_NS0_5tupleIJSF_S6_EEENSH_IJSG_SG_EEES6_PlJNSB_9not_fun_tINSB_14equal_to_valueIyEEEEEEE10hipError_tPvRmT3_T4_T5_T6_T7_T9_mT8_P12ihipStream_tbDpT10_ENKUlT_T0_E_clISt17integral_constantIbLb0EES17_IbLb1EEEEDaS13_S14_EUlS13_E_NS1_11comp_targetILNS1_3genE3ELNS1_11target_archE908ELNS1_3gpuE7ELNS1_3repE0EEENS1_30default_config_static_selectorELNS0_4arch9wavefront6targetE0EEEvT1_,comdat
.Lfunc_end368:
	.size	_ZN7rocprim17ROCPRIM_400000_NS6detail17trampoline_kernelINS0_14default_configENS1_25partition_config_selectorILNS1_17partition_subalgoE6EyNS0_10empty_typeEbEEZZNS1_14partition_implILS5_6ELb0ES3_mN6thrust23THRUST_200600_302600_NS6detail15normal_iteratorINSA_10device_ptrIyEEEEPS6_SG_NS0_5tupleIJSF_S6_EEENSH_IJSG_SG_EEES6_PlJNSB_9not_fun_tINSB_14equal_to_valueIyEEEEEEE10hipError_tPvRmT3_T4_T5_T6_T7_T9_mT8_P12ihipStream_tbDpT10_ENKUlT_T0_E_clISt17integral_constantIbLb0EES17_IbLb1EEEEDaS13_S14_EUlS13_E_NS1_11comp_targetILNS1_3genE3ELNS1_11target_archE908ELNS1_3gpuE7ELNS1_3repE0EEENS1_30default_config_static_selectorELNS0_4arch9wavefront6targetE0EEEvT1_, .Lfunc_end368-_ZN7rocprim17ROCPRIM_400000_NS6detail17trampoline_kernelINS0_14default_configENS1_25partition_config_selectorILNS1_17partition_subalgoE6EyNS0_10empty_typeEbEEZZNS1_14partition_implILS5_6ELb0ES3_mN6thrust23THRUST_200600_302600_NS6detail15normal_iteratorINSA_10device_ptrIyEEEEPS6_SG_NS0_5tupleIJSF_S6_EEENSH_IJSG_SG_EEES6_PlJNSB_9not_fun_tINSB_14equal_to_valueIyEEEEEEE10hipError_tPvRmT3_T4_T5_T6_T7_T9_mT8_P12ihipStream_tbDpT10_ENKUlT_T0_E_clISt17integral_constantIbLb0EES17_IbLb1EEEEDaS13_S14_EUlS13_E_NS1_11comp_targetILNS1_3genE3ELNS1_11target_archE908ELNS1_3gpuE7ELNS1_3repE0EEENS1_30default_config_static_selectorELNS0_4arch9wavefront6targetE0EEEvT1_
                                        ; -- End function
	.set _ZN7rocprim17ROCPRIM_400000_NS6detail17trampoline_kernelINS0_14default_configENS1_25partition_config_selectorILNS1_17partition_subalgoE6EyNS0_10empty_typeEbEEZZNS1_14partition_implILS5_6ELb0ES3_mN6thrust23THRUST_200600_302600_NS6detail15normal_iteratorINSA_10device_ptrIyEEEEPS6_SG_NS0_5tupleIJSF_S6_EEENSH_IJSG_SG_EEES6_PlJNSB_9not_fun_tINSB_14equal_to_valueIyEEEEEEE10hipError_tPvRmT3_T4_T5_T6_T7_T9_mT8_P12ihipStream_tbDpT10_ENKUlT_T0_E_clISt17integral_constantIbLb0EES17_IbLb1EEEEDaS13_S14_EUlS13_E_NS1_11comp_targetILNS1_3genE3ELNS1_11target_archE908ELNS1_3gpuE7ELNS1_3repE0EEENS1_30default_config_static_selectorELNS0_4arch9wavefront6targetE0EEEvT1_.num_vgpr, 0
	.set _ZN7rocprim17ROCPRIM_400000_NS6detail17trampoline_kernelINS0_14default_configENS1_25partition_config_selectorILNS1_17partition_subalgoE6EyNS0_10empty_typeEbEEZZNS1_14partition_implILS5_6ELb0ES3_mN6thrust23THRUST_200600_302600_NS6detail15normal_iteratorINSA_10device_ptrIyEEEEPS6_SG_NS0_5tupleIJSF_S6_EEENSH_IJSG_SG_EEES6_PlJNSB_9not_fun_tINSB_14equal_to_valueIyEEEEEEE10hipError_tPvRmT3_T4_T5_T6_T7_T9_mT8_P12ihipStream_tbDpT10_ENKUlT_T0_E_clISt17integral_constantIbLb0EES17_IbLb1EEEEDaS13_S14_EUlS13_E_NS1_11comp_targetILNS1_3genE3ELNS1_11target_archE908ELNS1_3gpuE7ELNS1_3repE0EEENS1_30default_config_static_selectorELNS0_4arch9wavefront6targetE0EEEvT1_.num_agpr, 0
	.set _ZN7rocprim17ROCPRIM_400000_NS6detail17trampoline_kernelINS0_14default_configENS1_25partition_config_selectorILNS1_17partition_subalgoE6EyNS0_10empty_typeEbEEZZNS1_14partition_implILS5_6ELb0ES3_mN6thrust23THRUST_200600_302600_NS6detail15normal_iteratorINSA_10device_ptrIyEEEEPS6_SG_NS0_5tupleIJSF_S6_EEENSH_IJSG_SG_EEES6_PlJNSB_9not_fun_tINSB_14equal_to_valueIyEEEEEEE10hipError_tPvRmT3_T4_T5_T6_T7_T9_mT8_P12ihipStream_tbDpT10_ENKUlT_T0_E_clISt17integral_constantIbLb0EES17_IbLb1EEEEDaS13_S14_EUlS13_E_NS1_11comp_targetILNS1_3genE3ELNS1_11target_archE908ELNS1_3gpuE7ELNS1_3repE0EEENS1_30default_config_static_selectorELNS0_4arch9wavefront6targetE0EEEvT1_.numbered_sgpr, 0
	.set _ZN7rocprim17ROCPRIM_400000_NS6detail17trampoline_kernelINS0_14default_configENS1_25partition_config_selectorILNS1_17partition_subalgoE6EyNS0_10empty_typeEbEEZZNS1_14partition_implILS5_6ELb0ES3_mN6thrust23THRUST_200600_302600_NS6detail15normal_iteratorINSA_10device_ptrIyEEEEPS6_SG_NS0_5tupleIJSF_S6_EEENSH_IJSG_SG_EEES6_PlJNSB_9not_fun_tINSB_14equal_to_valueIyEEEEEEE10hipError_tPvRmT3_T4_T5_T6_T7_T9_mT8_P12ihipStream_tbDpT10_ENKUlT_T0_E_clISt17integral_constantIbLb0EES17_IbLb1EEEEDaS13_S14_EUlS13_E_NS1_11comp_targetILNS1_3genE3ELNS1_11target_archE908ELNS1_3gpuE7ELNS1_3repE0EEENS1_30default_config_static_selectorELNS0_4arch9wavefront6targetE0EEEvT1_.num_named_barrier, 0
	.set _ZN7rocprim17ROCPRIM_400000_NS6detail17trampoline_kernelINS0_14default_configENS1_25partition_config_selectorILNS1_17partition_subalgoE6EyNS0_10empty_typeEbEEZZNS1_14partition_implILS5_6ELb0ES3_mN6thrust23THRUST_200600_302600_NS6detail15normal_iteratorINSA_10device_ptrIyEEEEPS6_SG_NS0_5tupleIJSF_S6_EEENSH_IJSG_SG_EEES6_PlJNSB_9not_fun_tINSB_14equal_to_valueIyEEEEEEE10hipError_tPvRmT3_T4_T5_T6_T7_T9_mT8_P12ihipStream_tbDpT10_ENKUlT_T0_E_clISt17integral_constantIbLb0EES17_IbLb1EEEEDaS13_S14_EUlS13_E_NS1_11comp_targetILNS1_3genE3ELNS1_11target_archE908ELNS1_3gpuE7ELNS1_3repE0EEENS1_30default_config_static_selectorELNS0_4arch9wavefront6targetE0EEEvT1_.private_seg_size, 0
	.set _ZN7rocprim17ROCPRIM_400000_NS6detail17trampoline_kernelINS0_14default_configENS1_25partition_config_selectorILNS1_17partition_subalgoE6EyNS0_10empty_typeEbEEZZNS1_14partition_implILS5_6ELb0ES3_mN6thrust23THRUST_200600_302600_NS6detail15normal_iteratorINSA_10device_ptrIyEEEEPS6_SG_NS0_5tupleIJSF_S6_EEENSH_IJSG_SG_EEES6_PlJNSB_9not_fun_tINSB_14equal_to_valueIyEEEEEEE10hipError_tPvRmT3_T4_T5_T6_T7_T9_mT8_P12ihipStream_tbDpT10_ENKUlT_T0_E_clISt17integral_constantIbLb0EES17_IbLb1EEEEDaS13_S14_EUlS13_E_NS1_11comp_targetILNS1_3genE3ELNS1_11target_archE908ELNS1_3gpuE7ELNS1_3repE0EEENS1_30default_config_static_selectorELNS0_4arch9wavefront6targetE0EEEvT1_.uses_vcc, 0
	.set _ZN7rocprim17ROCPRIM_400000_NS6detail17trampoline_kernelINS0_14default_configENS1_25partition_config_selectorILNS1_17partition_subalgoE6EyNS0_10empty_typeEbEEZZNS1_14partition_implILS5_6ELb0ES3_mN6thrust23THRUST_200600_302600_NS6detail15normal_iteratorINSA_10device_ptrIyEEEEPS6_SG_NS0_5tupleIJSF_S6_EEENSH_IJSG_SG_EEES6_PlJNSB_9not_fun_tINSB_14equal_to_valueIyEEEEEEE10hipError_tPvRmT3_T4_T5_T6_T7_T9_mT8_P12ihipStream_tbDpT10_ENKUlT_T0_E_clISt17integral_constantIbLb0EES17_IbLb1EEEEDaS13_S14_EUlS13_E_NS1_11comp_targetILNS1_3genE3ELNS1_11target_archE908ELNS1_3gpuE7ELNS1_3repE0EEENS1_30default_config_static_selectorELNS0_4arch9wavefront6targetE0EEEvT1_.uses_flat_scratch, 0
	.set _ZN7rocprim17ROCPRIM_400000_NS6detail17trampoline_kernelINS0_14default_configENS1_25partition_config_selectorILNS1_17partition_subalgoE6EyNS0_10empty_typeEbEEZZNS1_14partition_implILS5_6ELb0ES3_mN6thrust23THRUST_200600_302600_NS6detail15normal_iteratorINSA_10device_ptrIyEEEEPS6_SG_NS0_5tupleIJSF_S6_EEENSH_IJSG_SG_EEES6_PlJNSB_9not_fun_tINSB_14equal_to_valueIyEEEEEEE10hipError_tPvRmT3_T4_T5_T6_T7_T9_mT8_P12ihipStream_tbDpT10_ENKUlT_T0_E_clISt17integral_constantIbLb0EES17_IbLb1EEEEDaS13_S14_EUlS13_E_NS1_11comp_targetILNS1_3genE3ELNS1_11target_archE908ELNS1_3gpuE7ELNS1_3repE0EEENS1_30default_config_static_selectorELNS0_4arch9wavefront6targetE0EEEvT1_.has_dyn_sized_stack, 0
	.set _ZN7rocprim17ROCPRIM_400000_NS6detail17trampoline_kernelINS0_14default_configENS1_25partition_config_selectorILNS1_17partition_subalgoE6EyNS0_10empty_typeEbEEZZNS1_14partition_implILS5_6ELb0ES3_mN6thrust23THRUST_200600_302600_NS6detail15normal_iteratorINSA_10device_ptrIyEEEEPS6_SG_NS0_5tupleIJSF_S6_EEENSH_IJSG_SG_EEES6_PlJNSB_9not_fun_tINSB_14equal_to_valueIyEEEEEEE10hipError_tPvRmT3_T4_T5_T6_T7_T9_mT8_P12ihipStream_tbDpT10_ENKUlT_T0_E_clISt17integral_constantIbLb0EES17_IbLb1EEEEDaS13_S14_EUlS13_E_NS1_11comp_targetILNS1_3genE3ELNS1_11target_archE908ELNS1_3gpuE7ELNS1_3repE0EEENS1_30default_config_static_selectorELNS0_4arch9wavefront6targetE0EEEvT1_.has_recursion, 0
	.set _ZN7rocprim17ROCPRIM_400000_NS6detail17trampoline_kernelINS0_14default_configENS1_25partition_config_selectorILNS1_17partition_subalgoE6EyNS0_10empty_typeEbEEZZNS1_14partition_implILS5_6ELb0ES3_mN6thrust23THRUST_200600_302600_NS6detail15normal_iteratorINSA_10device_ptrIyEEEEPS6_SG_NS0_5tupleIJSF_S6_EEENSH_IJSG_SG_EEES6_PlJNSB_9not_fun_tINSB_14equal_to_valueIyEEEEEEE10hipError_tPvRmT3_T4_T5_T6_T7_T9_mT8_P12ihipStream_tbDpT10_ENKUlT_T0_E_clISt17integral_constantIbLb0EES17_IbLb1EEEEDaS13_S14_EUlS13_E_NS1_11comp_targetILNS1_3genE3ELNS1_11target_archE908ELNS1_3gpuE7ELNS1_3repE0EEENS1_30default_config_static_selectorELNS0_4arch9wavefront6targetE0EEEvT1_.has_indirect_call, 0
	.section	.AMDGPU.csdata,"",@progbits
; Kernel info:
; codeLenInByte = 0
; TotalNumSgprs: 0
; NumVgprs: 0
; ScratchSize: 0
; MemoryBound: 0
; FloatMode: 240
; IeeeMode: 1
; LDSByteSize: 0 bytes/workgroup (compile time only)
; SGPRBlocks: 0
; VGPRBlocks: 0
; NumSGPRsForWavesPerEU: 1
; NumVGPRsForWavesPerEU: 1
; Occupancy: 16
; WaveLimiterHint : 0
; COMPUTE_PGM_RSRC2:SCRATCH_EN: 0
; COMPUTE_PGM_RSRC2:USER_SGPR: 2
; COMPUTE_PGM_RSRC2:TRAP_HANDLER: 0
; COMPUTE_PGM_RSRC2:TGID_X_EN: 1
; COMPUTE_PGM_RSRC2:TGID_Y_EN: 0
; COMPUTE_PGM_RSRC2:TGID_Z_EN: 0
; COMPUTE_PGM_RSRC2:TIDIG_COMP_CNT: 0
	.section	.text._ZN7rocprim17ROCPRIM_400000_NS6detail17trampoline_kernelINS0_14default_configENS1_25partition_config_selectorILNS1_17partition_subalgoE6EyNS0_10empty_typeEbEEZZNS1_14partition_implILS5_6ELb0ES3_mN6thrust23THRUST_200600_302600_NS6detail15normal_iteratorINSA_10device_ptrIyEEEEPS6_SG_NS0_5tupleIJSF_S6_EEENSH_IJSG_SG_EEES6_PlJNSB_9not_fun_tINSB_14equal_to_valueIyEEEEEEE10hipError_tPvRmT3_T4_T5_T6_T7_T9_mT8_P12ihipStream_tbDpT10_ENKUlT_T0_E_clISt17integral_constantIbLb0EES17_IbLb1EEEEDaS13_S14_EUlS13_E_NS1_11comp_targetILNS1_3genE2ELNS1_11target_archE906ELNS1_3gpuE6ELNS1_3repE0EEENS1_30default_config_static_selectorELNS0_4arch9wavefront6targetE0EEEvT1_,"axG",@progbits,_ZN7rocprim17ROCPRIM_400000_NS6detail17trampoline_kernelINS0_14default_configENS1_25partition_config_selectorILNS1_17partition_subalgoE6EyNS0_10empty_typeEbEEZZNS1_14partition_implILS5_6ELb0ES3_mN6thrust23THRUST_200600_302600_NS6detail15normal_iteratorINSA_10device_ptrIyEEEEPS6_SG_NS0_5tupleIJSF_S6_EEENSH_IJSG_SG_EEES6_PlJNSB_9not_fun_tINSB_14equal_to_valueIyEEEEEEE10hipError_tPvRmT3_T4_T5_T6_T7_T9_mT8_P12ihipStream_tbDpT10_ENKUlT_T0_E_clISt17integral_constantIbLb0EES17_IbLb1EEEEDaS13_S14_EUlS13_E_NS1_11comp_targetILNS1_3genE2ELNS1_11target_archE906ELNS1_3gpuE6ELNS1_3repE0EEENS1_30default_config_static_selectorELNS0_4arch9wavefront6targetE0EEEvT1_,comdat
	.protected	_ZN7rocprim17ROCPRIM_400000_NS6detail17trampoline_kernelINS0_14default_configENS1_25partition_config_selectorILNS1_17partition_subalgoE6EyNS0_10empty_typeEbEEZZNS1_14partition_implILS5_6ELb0ES3_mN6thrust23THRUST_200600_302600_NS6detail15normal_iteratorINSA_10device_ptrIyEEEEPS6_SG_NS0_5tupleIJSF_S6_EEENSH_IJSG_SG_EEES6_PlJNSB_9not_fun_tINSB_14equal_to_valueIyEEEEEEE10hipError_tPvRmT3_T4_T5_T6_T7_T9_mT8_P12ihipStream_tbDpT10_ENKUlT_T0_E_clISt17integral_constantIbLb0EES17_IbLb1EEEEDaS13_S14_EUlS13_E_NS1_11comp_targetILNS1_3genE2ELNS1_11target_archE906ELNS1_3gpuE6ELNS1_3repE0EEENS1_30default_config_static_selectorELNS0_4arch9wavefront6targetE0EEEvT1_ ; -- Begin function _ZN7rocprim17ROCPRIM_400000_NS6detail17trampoline_kernelINS0_14default_configENS1_25partition_config_selectorILNS1_17partition_subalgoE6EyNS0_10empty_typeEbEEZZNS1_14partition_implILS5_6ELb0ES3_mN6thrust23THRUST_200600_302600_NS6detail15normal_iteratorINSA_10device_ptrIyEEEEPS6_SG_NS0_5tupleIJSF_S6_EEENSH_IJSG_SG_EEES6_PlJNSB_9not_fun_tINSB_14equal_to_valueIyEEEEEEE10hipError_tPvRmT3_T4_T5_T6_T7_T9_mT8_P12ihipStream_tbDpT10_ENKUlT_T0_E_clISt17integral_constantIbLb0EES17_IbLb1EEEEDaS13_S14_EUlS13_E_NS1_11comp_targetILNS1_3genE2ELNS1_11target_archE906ELNS1_3gpuE6ELNS1_3repE0EEENS1_30default_config_static_selectorELNS0_4arch9wavefront6targetE0EEEvT1_
	.globl	_ZN7rocprim17ROCPRIM_400000_NS6detail17trampoline_kernelINS0_14default_configENS1_25partition_config_selectorILNS1_17partition_subalgoE6EyNS0_10empty_typeEbEEZZNS1_14partition_implILS5_6ELb0ES3_mN6thrust23THRUST_200600_302600_NS6detail15normal_iteratorINSA_10device_ptrIyEEEEPS6_SG_NS0_5tupleIJSF_S6_EEENSH_IJSG_SG_EEES6_PlJNSB_9not_fun_tINSB_14equal_to_valueIyEEEEEEE10hipError_tPvRmT3_T4_T5_T6_T7_T9_mT8_P12ihipStream_tbDpT10_ENKUlT_T0_E_clISt17integral_constantIbLb0EES17_IbLb1EEEEDaS13_S14_EUlS13_E_NS1_11comp_targetILNS1_3genE2ELNS1_11target_archE906ELNS1_3gpuE6ELNS1_3repE0EEENS1_30default_config_static_selectorELNS0_4arch9wavefront6targetE0EEEvT1_
	.p2align	8
	.type	_ZN7rocprim17ROCPRIM_400000_NS6detail17trampoline_kernelINS0_14default_configENS1_25partition_config_selectorILNS1_17partition_subalgoE6EyNS0_10empty_typeEbEEZZNS1_14partition_implILS5_6ELb0ES3_mN6thrust23THRUST_200600_302600_NS6detail15normal_iteratorINSA_10device_ptrIyEEEEPS6_SG_NS0_5tupleIJSF_S6_EEENSH_IJSG_SG_EEES6_PlJNSB_9not_fun_tINSB_14equal_to_valueIyEEEEEEE10hipError_tPvRmT3_T4_T5_T6_T7_T9_mT8_P12ihipStream_tbDpT10_ENKUlT_T0_E_clISt17integral_constantIbLb0EES17_IbLb1EEEEDaS13_S14_EUlS13_E_NS1_11comp_targetILNS1_3genE2ELNS1_11target_archE906ELNS1_3gpuE6ELNS1_3repE0EEENS1_30default_config_static_selectorELNS0_4arch9wavefront6targetE0EEEvT1_,@function
_ZN7rocprim17ROCPRIM_400000_NS6detail17trampoline_kernelINS0_14default_configENS1_25partition_config_selectorILNS1_17partition_subalgoE6EyNS0_10empty_typeEbEEZZNS1_14partition_implILS5_6ELb0ES3_mN6thrust23THRUST_200600_302600_NS6detail15normal_iteratorINSA_10device_ptrIyEEEEPS6_SG_NS0_5tupleIJSF_S6_EEENSH_IJSG_SG_EEES6_PlJNSB_9not_fun_tINSB_14equal_to_valueIyEEEEEEE10hipError_tPvRmT3_T4_T5_T6_T7_T9_mT8_P12ihipStream_tbDpT10_ENKUlT_T0_E_clISt17integral_constantIbLb0EES17_IbLb1EEEEDaS13_S14_EUlS13_E_NS1_11comp_targetILNS1_3genE2ELNS1_11target_archE906ELNS1_3gpuE6ELNS1_3repE0EEENS1_30default_config_static_selectorELNS0_4arch9wavefront6targetE0EEEvT1_: ; @_ZN7rocprim17ROCPRIM_400000_NS6detail17trampoline_kernelINS0_14default_configENS1_25partition_config_selectorILNS1_17partition_subalgoE6EyNS0_10empty_typeEbEEZZNS1_14partition_implILS5_6ELb0ES3_mN6thrust23THRUST_200600_302600_NS6detail15normal_iteratorINSA_10device_ptrIyEEEEPS6_SG_NS0_5tupleIJSF_S6_EEENSH_IJSG_SG_EEES6_PlJNSB_9not_fun_tINSB_14equal_to_valueIyEEEEEEE10hipError_tPvRmT3_T4_T5_T6_T7_T9_mT8_P12ihipStream_tbDpT10_ENKUlT_T0_E_clISt17integral_constantIbLb0EES17_IbLb1EEEEDaS13_S14_EUlS13_E_NS1_11comp_targetILNS1_3genE2ELNS1_11target_archE906ELNS1_3gpuE6ELNS1_3repE0EEENS1_30default_config_static_selectorELNS0_4arch9wavefront6targetE0EEEvT1_
; %bb.0:
	.section	.rodata,"a",@progbits
	.p2align	6, 0x0
	.amdhsa_kernel _ZN7rocprim17ROCPRIM_400000_NS6detail17trampoline_kernelINS0_14default_configENS1_25partition_config_selectorILNS1_17partition_subalgoE6EyNS0_10empty_typeEbEEZZNS1_14partition_implILS5_6ELb0ES3_mN6thrust23THRUST_200600_302600_NS6detail15normal_iteratorINSA_10device_ptrIyEEEEPS6_SG_NS0_5tupleIJSF_S6_EEENSH_IJSG_SG_EEES6_PlJNSB_9not_fun_tINSB_14equal_to_valueIyEEEEEEE10hipError_tPvRmT3_T4_T5_T6_T7_T9_mT8_P12ihipStream_tbDpT10_ENKUlT_T0_E_clISt17integral_constantIbLb0EES17_IbLb1EEEEDaS13_S14_EUlS13_E_NS1_11comp_targetILNS1_3genE2ELNS1_11target_archE906ELNS1_3gpuE6ELNS1_3repE0EEENS1_30default_config_static_selectorELNS0_4arch9wavefront6targetE0EEEvT1_
		.amdhsa_group_segment_fixed_size 0
		.amdhsa_private_segment_fixed_size 0
		.amdhsa_kernarg_size 128
		.amdhsa_user_sgpr_count 2
		.amdhsa_user_sgpr_dispatch_ptr 0
		.amdhsa_user_sgpr_queue_ptr 0
		.amdhsa_user_sgpr_kernarg_segment_ptr 1
		.amdhsa_user_sgpr_dispatch_id 0
		.amdhsa_user_sgpr_private_segment_size 0
		.amdhsa_wavefront_size32 1
		.amdhsa_uses_dynamic_stack 0
		.amdhsa_enable_private_segment 0
		.amdhsa_system_sgpr_workgroup_id_x 1
		.amdhsa_system_sgpr_workgroup_id_y 0
		.amdhsa_system_sgpr_workgroup_id_z 0
		.amdhsa_system_sgpr_workgroup_info 0
		.amdhsa_system_vgpr_workitem_id 0
		.amdhsa_next_free_vgpr 1
		.amdhsa_next_free_sgpr 1
		.amdhsa_reserve_vcc 0
		.amdhsa_float_round_mode_32 0
		.amdhsa_float_round_mode_16_64 0
		.amdhsa_float_denorm_mode_32 3
		.amdhsa_float_denorm_mode_16_64 3
		.amdhsa_fp16_overflow 0
		.amdhsa_workgroup_processor_mode 1
		.amdhsa_memory_ordered 1
		.amdhsa_forward_progress 1
		.amdhsa_inst_pref_size 0
		.amdhsa_round_robin_scheduling 0
		.amdhsa_exception_fp_ieee_invalid_op 0
		.amdhsa_exception_fp_denorm_src 0
		.amdhsa_exception_fp_ieee_div_zero 0
		.amdhsa_exception_fp_ieee_overflow 0
		.amdhsa_exception_fp_ieee_underflow 0
		.amdhsa_exception_fp_ieee_inexact 0
		.amdhsa_exception_int_div_zero 0
	.end_amdhsa_kernel
	.section	.text._ZN7rocprim17ROCPRIM_400000_NS6detail17trampoline_kernelINS0_14default_configENS1_25partition_config_selectorILNS1_17partition_subalgoE6EyNS0_10empty_typeEbEEZZNS1_14partition_implILS5_6ELb0ES3_mN6thrust23THRUST_200600_302600_NS6detail15normal_iteratorINSA_10device_ptrIyEEEEPS6_SG_NS0_5tupleIJSF_S6_EEENSH_IJSG_SG_EEES6_PlJNSB_9not_fun_tINSB_14equal_to_valueIyEEEEEEE10hipError_tPvRmT3_T4_T5_T6_T7_T9_mT8_P12ihipStream_tbDpT10_ENKUlT_T0_E_clISt17integral_constantIbLb0EES17_IbLb1EEEEDaS13_S14_EUlS13_E_NS1_11comp_targetILNS1_3genE2ELNS1_11target_archE906ELNS1_3gpuE6ELNS1_3repE0EEENS1_30default_config_static_selectorELNS0_4arch9wavefront6targetE0EEEvT1_,"axG",@progbits,_ZN7rocprim17ROCPRIM_400000_NS6detail17trampoline_kernelINS0_14default_configENS1_25partition_config_selectorILNS1_17partition_subalgoE6EyNS0_10empty_typeEbEEZZNS1_14partition_implILS5_6ELb0ES3_mN6thrust23THRUST_200600_302600_NS6detail15normal_iteratorINSA_10device_ptrIyEEEEPS6_SG_NS0_5tupleIJSF_S6_EEENSH_IJSG_SG_EEES6_PlJNSB_9not_fun_tINSB_14equal_to_valueIyEEEEEEE10hipError_tPvRmT3_T4_T5_T6_T7_T9_mT8_P12ihipStream_tbDpT10_ENKUlT_T0_E_clISt17integral_constantIbLb0EES17_IbLb1EEEEDaS13_S14_EUlS13_E_NS1_11comp_targetILNS1_3genE2ELNS1_11target_archE906ELNS1_3gpuE6ELNS1_3repE0EEENS1_30default_config_static_selectorELNS0_4arch9wavefront6targetE0EEEvT1_,comdat
.Lfunc_end369:
	.size	_ZN7rocprim17ROCPRIM_400000_NS6detail17trampoline_kernelINS0_14default_configENS1_25partition_config_selectorILNS1_17partition_subalgoE6EyNS0_10empty_typeEbEEZZNS1_14partition_implILS5_6ELb0ES3_mN6thrust23THRUST_200600_302600_NS6detail15normal_iteratorINSA_10device_ptrIyEEEEPS6_SG_NS0_5tupleIJSF_S6_EEENSH_IJSG_SG_EEES6_PlJNSB_9not_fun_tINSB_14equal_to_valueIyEEEEEEE10hipError_tPvRmT3_T4_T5_T6_T7_T9_mT8_P12ihipStream_tbDpT10_ENKUlT_T0_E_clISt17integral_constantIbLb0EES17_IbLb1EEEEDaS13_S14_EUlS13_E_NS1_11comp_targetILNS1_3genE2ELNS1_11target_archE906ELNS1_3gpuE6ELNS1_3repE0EEENS1_30default_config_static_selectorELNS0_4arch9wavefront6targetE0EEEvT1_, .Lfunc_end369-_ZN7rocprim17ROCPRIM_400000_NS6detail17trampoline_kernelINS0_14default_configENS1_25partition_config_selectorILNS1_17partition_subalgoE6EyNS0_10empty_typeEbEEZZNS1_14partition_implILS5_6ELb0ES3_mN6thrust23THRUST_200600_302600_NS6detail15normal_iteratorINSA_10device_ptrIyEEEEPS6_SG_NS0_5tupleIJSF_S6_EEENSH_IJSG_SG_EEES6_PlJNSB_9not_fun_tINSB_14equal_to_valueIyEEEEEEE10hipError_tPvRmT3_T4_T5_T6_T7_T9_mT8_P12ihipStream_tbDpT10_ENKUlT_T0_E_clISt17integral_constantIbLb0EES17_IbLb1EEEEDaS13_S14_EUlS13_E_NS1_11comp_targetILNS1_3genE2ELNS1_11target_archE906ELNS1_3gpuE6ELNS1_3repE0EEENS1_30default_config_static_selectorELNS0_4arch9wavefront6targetE0EEEvT1_
                                        ; -- End function
	.set _ZN7rocprim17ROCPRIM_400000_NS6detail17trampoline_kernelINS0_14default_configENS1_25partition_config_selectorILNS1_17partition_subalgoE6EyNS0_10empty_typeEbEEZZNS1_14partition_implILS5_6ELb0ES3_mN6thrust23THRUST_200600_302600_NS6detail15normal_iteratorINSA_10device_ptrIyEEEEPS6_SG_NS0_5tupleIJSF_S6_EEENSH_IJSG_SG_EEES6_PlJNSB_9not_fun_tINSB_14equal_to_valueIyEEEEEEE10hipError_tPvRmT3_T4_T5_T6_T7_T9_mT8_P12ihipStream_tbDpT10_ENKUlT_T0_E_clISt17integral_constantIbLb0EES17_IbLb1EEEEDaS13_S14_EUlS13_E_NS1_11comp_targetILNS1_3genE2ELNS1_11target_archE906ELNS1_3gpuE6ELNS1_3repE0EEENS1_30default_config_static_selectorELNS0_4arch9wavefront6targetE0EEEvT1_.num_vgpr, 0
	.set _ZN7rocprim17ROCPRIM_400000_NS6detail17trampoline_kernelINS0_14default_configENS1_25partition_config_selectorILNS1_17partition_subalgoE6EyNS0_10empty_typeEbEEZZNS1_14partition_implILS5_6ELb0ES3_mN6thrust23THRUST_200600_302600_NS6detail15normal_iteratorINSA_10device_ptrIyEEEEPS6_SG_NS0_5tupleIJSF_S6_EEENSH_IJSG_SG_EEES6_PlJNSB_9not_fun_tINSB_14equal_to_valueIyEEEEEEE10hipError_tPvRmT3_T4_T5_T6_T7_T9_mT8_P12ihipStream_tbDpT10_ENKUlT_T0_E_clISt17integral_constantIbLb0EES17_IbLb1EEEEDaS13_S14_EUlS13_E_NS1_11comp_targetILNS1_3genE2ELNS1_11target_archE906ELNS1_3gpuE6ELNS1_3repE0EEENS1_30default_config_static_selectorELNS0_4arch9wavefront6targetE0EEEvT1_.num_agpr, 0
	.set _ZN7rocprim17ROCPRIM_400000_NS6detail17trampoline_kernelINS0_14default_configENS1_25partition_config_selectorILNS1_17partition_subalgoE6EyNS0_10empty_typeEbEEZZNS1_14partition_implILS5_6ELb0ES3_mN6thrust23THRUST_200600_302600_NS6detail15normal_iteratorINSA_10device_ptrIyEEEEPS6_SG_NS0_5tupleIJSF_S6_EEENSH_IJSG_SG_EEES6_PlJNSB_9not_fun_tINSB_14equal_to_valueIyEEEEEEE10hipError_tPvRmT3_T4_T5_T6_T7_T9_mT8_P12ihipStream_tbDpT10_ENKUlT_T0_E_clISt17integral_constantIbLb0EES17_IbLb1EEEEDaS13_S14_EUlS13_E_NS1_11comp_targetILNS1_3genE2ELNS1_11target_archE906ELNS1_3gpuE6ELNS1_3repE0EEENS1_30default_config_static_selectorELNS0_4arch9wavefront6targetE0EEEvT1_.numbered_sgpr, 0
	.set _ZN7rocprim17ROCPRIM_400000_NS6detail17trampoline_kernelINS0_14default_configENS1_25partition_config_selectorILNS1_17partition_subalgoE6EyNS0_10empty_typeEbEEZZNS1_14partition_implILS5_6ELb0ES3_mN6thrust23THRUST_200600_302600_NS6detail15normal_iteratorINSA_10device_ptrIyEEEEPS6_SG_NS0_5tupleIJSF_S6_EEENSH_IJSG_SG_EEES6_PlJNSB_9not_fun_tINSB_14equal_to_valueIyEEEEEEE10hipError_tPvRmT3_T4_T5_T6_T7_T9_mT8_P12ihipStream_tbDpT10_ENKUlT_T0_E_clISt17integral_constantIbLb0EES17_IbLb1EEEEDaS13_S14_EUlS13_E_NS1_11comp_targetILNS1_3genE2ELNS1_11target_archE906ELNS1_3gpuE6ELNS1_3repE0EEENS1_30default_config_static_selectorELNS0_4arch9wavefront6targetE0EEEvT1_.num_named_barrier, 0
	.set _ZN7rocprim17ROCPRIM_400000_NS6detail17trampoline_kernelINS0_14default_configENS1_25partition_config_selectorILNS1_17partition_subalgoE6EyNS0_10empty_typeEbEEZZNS1_14partition_implILS5_6ELb0ES3_mN6thrust23THRUST_200600_302600_NS6detail15normal_iteratorINSA_10device_ptrIyEEEEPS6_SG_NS0_5tupleIJSF_S6_EEENSH_IJSG_SG_EEES6_PlJNSB_9not_fun_tINSB_14equal_to_valueIyEEEEEEE10hipError_tPvRmT3_T4_T5_T6_T7_T9_mT8_P12ihipStream_tbDpT10_ENKUlT_T0_E_clISt17integral_constantIbLb0EES17_IbLb1EEEEDaS13_S14_EUlS13_E_NS1_11comp_targetILNS1_3genE2ELNS1_11target_archE906ELNS1_3gpuE6ELNS1_3repE0EEENS1_30default_config_static_selectorELNS0_4arch9wavefront6targetE0EEEvT1_.private_seg_size, 0
	.set _ZN7rocprim17ROCPRIM_400000_NS6detail17trampoline_kernelINS0_14default_configENS1_25partition_config_selectorILNS1_17partition_subalgoE6EyNS0_10empty_typeEbEEZZNS1_14partition_implILS5_6ELb0ES3_mN6thrust23THRUST_200600_302600_NS6detail15normal_iteratorINSA_10device_ptrIyEEEEPS6_SG_NS0_5tupleIJSF_S6_EEENSH_IJSG_SG_EEES6_PlJNSB_9not_fun_tINSB_14equal_to_valueIyEEEEEEE10hipError_tPvRmT3_T4_T5_T6_T7_T9_mT8_P12ihipStream_tbDpT10_ENKUlT_T0_E_clISt17integral_constantIbLb0EES17_IbLb1EEEEDaS13_S14_EUlS13_E_NS1_11comp_targetILNS1_3genE2ELNS1_11target_archE906ELNS1_3gpuE6ELNS1_3repE0EEENS1_30default_config_static_selectorELNS0_4arch9wavefront6targetE0EEEvT1_.uses_vcc, 0
	.set _ZN7rocprim17ROCPRIM_400000_NS6detail17trampoline_kernelINS0_14default_configENS1_25partition_config_selectorILNS1_17partition_subalgoE6EyNS0_10empty_typeEbEEZZNS1_14partition_implILS5_6ELb0ES3_mN6thrust23THRUST_200600_302600_NS6detail15normal_iteratorINSA_10device_ptrIyEEEEPS6_SG_NS0_5tupleIJSF_S6_EEENSH_IJSG_SG_EEES6_PlJNSB_9not_fun_tINSB_14equal_to_valueIyEEEEEEE10hipError_tPvRmT3_T4_T5_T6_T7_T9_mT8_P12ihipStream_tbDpT10_ENKUlT_T0_E_clISt17integral_constantIbLb0EES17_IbLb1EEEEDaS13_S14_EUlS13_E_NS1_11comp_targetILNS1_3genE2ELNS1_11target_archE906ELNS1_3gpuE6ELNS1_3repE0EEENS1_30default_config_static_selectorELNS0_4arch9wavefront6targetE0EEEvT1_.uses_flat_scratch, 0
	.set _ZN7rocprim17ROCPRIM_400000_NS6detail17trampoline_kernelINS0_14default_configENS1_25partition_config_selectorILNS1_17partition_subalgoE6EyNS0_10empty_typeEbEEZZNS1_14partition_implILS5_6ELb0ES3_mN6thrust23THRUST_200600_302600_NS6detail15normal_iteratorINSA_10device_ptrIyEEEEPS6_SG_NS0_5tupleIJSF_S6_EEENSH_IJSG_SG_EEES6_PlJNSB_9not_fun_tINSB_14equal_to_valueIyEEEEEEE10hipError_tPvRmT3_T4_T5_T6_T7_T9_mT8_P12ihipStream_tbDpT10_ENKUlT_T0_E_clISt17integral_constantIbLb0EES17_IbLb1EEEEDaS13_S14_EUlS13_E_NS1_11comp_targetILNS1_3genE2ELNS1_11target_archE906ELNS1_3gpuE6ELNS1_3repE0EEENS1_30default_config_static_selectorELNS0_4arch9wavefront6targetE0EEEvT1_.has_dyn_sized_stack, 0
	.set _ZN7rocprim17ROCPRIM_400000_NS6detail17trampoline_kernelINS0_14default_configENS1_25partition_config_selectorILNS1_17partition_subalgoE6EyNS0_10empty_typeEbEEZZNS1_14partition_implILS5_6ELb0ES3_mN6thrust23THRUST_200600_302600_NS6detail15normal_iteratorINSA_10device_ptrIyEEEEPS6_SG_NS0_5tupleIJSF_S6_EEENSH_IJSG_SG_EEES6_PlJNSB_9not_fun_tINSB_14equal_to_valueIyEEEEEEE10hipError_tPvRmT3_T4_T5_T6_T7_T9_mT8_P12ihipStream_tbDpT10_ENKUlT_T0_E_clISt17integral_constantIbLb0EES17_IbLb1EEEEDaS13_S14_EUlS13_E_NS1_11comp_targetILNS1_3genE2ELNS1_11target_archE906ELNS1_3gpuE6ELNS1_3repE0EEENS1_30default_config_static_selectorELNS0_4arch9wavefront6targetE0EEEvT1_.has_recursion, 0
	.set _ZN7rocprim17ROCPRIM_400000_NS6detail17trampoline_kernelINS0_14default_configENS1_25partition_config_selectorILNS1_17partition_subalgoE6EyNS0_10empty_typeEbEEZZNS1_14partition_implILS5_6ELb0ES3_mN6thrust23THRUST_200600_302600_NS6detail15normal_iteratorINSA_10device_ptrIyEEEEPS6_SG_NS0_5tupleIJSF_S6_EEENSH_IJSG_SG_EEES6_PlJNSB_9not_fun_tINSB_14equal_to_valueIyEEEEEEE10hipError_tPvRmT3_T4_T5_T6_T7_T9_mT8_P12ihipStream_tbDpT10_ENKUlT_T0_E_clISt17integral_constantIbLb0EES17_IbLb1EEEEDaS13_S14_EUlS13_E_NS1_11comp_targetILNS1_3genE2ELNS1_11target_archE906ELNS1_3gpuE6ELNS1_3repE0EEENS1_30default_config_static_selectorELNS0_4arch9wavefront6targetE0EEEvT1_.has_indirect_call, 0
	.section	.AMDGPU.csdata,"",@progbits
; Kernel info:
; codeLenInByte = 0
; TotalNumSgprs: 0
; NumVgprs: 0
; ScratchSize: 0
; MemoryBound: 0
; FloatMode: 240
; IeeeMode: 1
; LDSByteSize: 0 bytes/workgroup (compile time only)
; SGPRBlocks: 0
; VGPRBlocks: 0
; NumSGPRsForWavesPerEU: 1
; NumVGPRsForWavesPerEU: 1
; Occupancy: 16
; WaveLimiterHint : 0
; COMPUTE_PGM_RSRC2:SCRATCH_EN: 0
; COMPUTE_PGM_RSRC2:USER_SGPR: 2
; COMPUTE_PGM_RSRC2:TRAP_HANDLER: 0
; COMPUTE_PGM_RSRC2:TGID_X_EN: 1
; COMPUTE_PGM_RSRC2:TGID_Y_EN: 0
; COMPUTE_PGM_RSRC2:TGID_Z_EN: 0
; COMPUTE_PGM_RSRC2:TIDIG_COMP_CNT: 0
	.section	.text._ZN7rocprim17ROCPRIM_400000_NS6detail17trampoline_kernelINS0_14default_configENS1_25partition_config_selectorILNS1_17partition_subalgoE6EyNS0_10empty_typeEbEEZZNS1_14partition_implILS5_6ELb0ES3_mN6thrust23THRUST_200600_302600_NS6detail15normal_iteratorINSA_10device_ptrIyEEEEPS6_SG_NS0_5tupleIJSF_S6_EEENSH_IJSG_SG_EEES6_PlJNSB_9not_fun_tINSB_14equal_to_valueIyEEEEEEE10hipError_tPvRmT3_T4_T5_T6_T7_T9_mT8_P12ihipStream_tbDpT10_ENKUlT_T0_E_clISt17integral_constantIbLb0EES17_IbLb1EEEEDaS13_S14_EUlS13_E_NS1_11comp_targetILNS1_3genE10ELNS1_11target_archE1200ELNS1_3gpuE4ELNS1_3repE0EEENS1_30default_config_static_selectorELNS0_4arch9wavefront6targetE0EEEvT1_,"axG",@progbits,_ZN7rocprim17ROCPRIM_400000_NS6detail17trampoline_kernelINS0_14default_configENS1_25partition_config_selectorILNS1_17partition_subalgoE6EyNS0_10empty_typeEbEEZZNS1_14partition_implILS5_6ELb0ES3_mN6thrust23THRUST_200600_302600_NS6detail15normal_iteratorINSA_10device_ptrIyEEEEPS6_SG_NS0_5tupleIJSF_S6_EEENSH_IJSG_SG_EEES6_PlJNSB_9not_fun_tINSB_14equal_to_valueIyEEEEEEE10hipError_tPvRmT3_T4_T5_T6_T7_T9_mT8_P12ihipStream_tbDpT10_ENKUlT_T0_E_clISt17integral_constantIbLb0EES17_IbLb1EEEEDaS13_S14_EUlS13_E_NS1_11comp_targetILNS1_3genE10ELNS1_11target_archE1200ELNS1_3gpuE4ELNS1_3repE0EEENS1_30default_config_static_selectorELNS0_4arch9wavefront6targetE0EEEvT1_,comdat
	.protected	_ZN7rocprim17ROCPRIM_400000_NS6detail17trampoline_kernelINS0_14default_configENS1_25partition_config_selectorILNS1_17partition_subalgoE6EyNS0_10empty_typeEbEEZZNS1_14partition_implILS5_6ELb0ES3_mN6thrust23THRUST_200600_302600_NS6detail15normal_iteratorINSA_10device_ptrIyEEEEPS6_SG_NS0_5tupleIJSF_S6_EEENSH_IJSG_SG_EEES6_PlJNSB_9not_fun_tINSB_14equal_to_valueIyEEEEEEE10hipError_tPvRmT3_T4_T5_T6_T7_T9_mT8_P12ihipStream_tbDpT10_ENKUlT_T0_E_clISt17integral_constantIbLb0EES17_IbLb1EEEEDaS13_S14_EUlS13_E_NS1_11comp_targetILNS1_3genE10ELNS1_11target_archE1200ELNS1_3gpuE4ELNS1_3repE0EEENS1_30default_config_static_selectorELNS0_4arch9wavefront6targetE0EEEvT1_ ; -- Begin function _ZN7rocprim17ROCPRIM_400000_NS6detail17trampoline_kernelINS0_14default_configENS1_25partition_config_selectorILNS1_17partition_subalgoE6EyNS0_10empty_typeEbEEZZNS1_14partition_implILS5_6ELb0ES3_mN6thrust23THRUST_200600_302600_NS6detail15normal_iteratorINSA_10device_ptrIyEEEEPS6_SG_NS0_5tupleIJSF_S6_EEENSH_IJSG_SG_EEES6_PlJNSB_9not_fun_tINSB_14equal_to_valueIyEEEEEEE10hipError_tPvRmT3_T4_T5_T6_T7_T9_mT8_P12ihipStream_tbDpT10_ENKUlT_T0_E_clISt17integral_constantIbLb0EES17_IbLb1EEEEDaS13_S14_EUlS13_E_NS1_11comp_targetILNS1_3genE10ELNS1_11target_archE1200ELNS1_3gpuE4ELNS1_3repE0EEENS1_30default_config_static_selectorELNS0_4arch9wavefront6targetE0EEEvT1_
	.globl	_ZN7rocprim17ROCPRIM_400000_NS6detail17trampoline_kernelINS0_14default_configENS1_25partition_config_selectorILNS1_17partition_subalgoE6EyNS0_10empty_typeEbEEZZNS1_14partition_implILS5_6ELb0ES3_mN6thrust23THRUST_200600_302600_NS6detail15normal_iteratorINSA_10device_ptrIyEEEEPS6_SG_NS0_5tupleIJSF_S6_EEENSH_IJSG_SG_EEES6_PlJNSB_9not_fun_tINSB_14equal_to_valueIyEEEEEEE10hipError_tPvRmT3_T4_T5_T6_T7_T9_mT8_P12ihipStream_tbDpT10_ENKUlT_T0_E_clISt17integral_constantIbLb0EES17_IbLb1EEEEDaS13_S14_EUlS13_E_NS1_11comp_targetILNS1_3genE10ELNS1_11target_archE1200ELNS1_3gpuE4ELNS1_3repE0EEENS1_30default_config_static_selectorELNS0_4arch9wavefront6targetE0EEEvT1_
	.p2align	8
	.type	_ZN7rocprim17ROCPRIM_400000_NS6detail17trampoline_kernelINS0_14default_configENS1_25partition_config_selectorILNS1_17partition_subalgoE6EyNS0_10empty_typeEbEEZZNS1_14partition_implILS5_6ELb0ES3_mN6thrust23THRUST_200600_302600_NS6detail15normal_iteratorINSA_10device_ptrIyEEEEPS6_SG_NS0_5tupleIJSF_S6_EEENSH_IJSG_SG_EEES6_PlJNSB_9not_fun_tINSB_14equal_to_valueIyEEEEEEE10hipError_tPvRmT3_T4_T5_T6_T7_T9_mT8_P12ihipStream_tbDpT10_ENKUlT_T0_E_clISt17integral_constantIbLb0EES17_IbLb1EEEEDaS13_S14_EUlS13_E_NS1_11comp_targetILNS1_3genE10ELNS1_11target_archE1200ELNS1_3gpuE4ELNS1_3repE0EEENS1_30default_config_static_selectorELNS0_4arch9wavefront6targetE0EEEvT1_,@function
_ZN7rocprim17ROCPRIM_400000_NS6detail17trampoline_kernelINS0_14default_configENS1_25partition_config_selectorILNS1_17partition_subalgoE6EyNS0_10empty_typeEbEEZZNS1_14partition_implILS5_6ELb0ES3_mN6thrust23THRUST_200600_302600_NS6detail15normal_iteratorINSA_10device_ptrIyEEEEPS6_SG_NS0_5tupleIJSF_S6_EEENSH_IJSG_SG_EEES6_PlJNSB_9not_fun_tINSB_14equal_to_valueIyEEEEEEE10hipError_tPvRmT3_T4_T5_T6_T7_T9_mT8_P12ihipStream_tbDpT10_ENKUlT_T0_E_clISt17integral_constantIbLb0EES17_IbLb1EEEEDaS13_S14_EUlS13_E_NS1_11comp_targetILNS1_3genE10ELNS1_11target_archE1200ELNS1_3gpuE4ELNS1_3repE0EEENS1_30default_config_static_selectorELNS0_4arch9wavefront6targetE0EEEvT1_: ; @_ZN7rocprim17ROCPRIM_400000_NS6detail17trampoline_kernelINS0_14default_configENS1_25partition_config_selectorILNS1_17partition_subalgoE6EyNS0_10empty_typeEbEEZZNS1_14partition_implILS5_6ELb0ES3_mN6thrust23THRUST_200600_302600_NS6detail15normal_iteratorINSA_10device_ptrIyEEEEPS6_SG_NS0_5tupleIJSF_S6_EEENSH_IJSG_SG_EEES6_PlJNSB_9not_fun_tINSB_14equal_to_valueIyEEEEEEE10hipError_tPvRmT3_T4_T5_T6_T7_T9_mT8_P12ihipStream_tbDpT10_ENKUlT_T0_E_clISt17integral_constantIbLb0EES17_IbLb1EEEEDaS13_S14_EUlS13_E_NS1_11comp_targetILNS1_3genE10ELNS1_11target_archE1200ELNS1_3gpuE4ELNS1_3repE0EEENS1_30default_config_static_selectorELNS0_4arch9wavefront6targetE0EEEvT1_
; %bb.0:
	s_clause 0x3
	s_load_b64 s[12:13], s[0:1], 0x28
	s_load_b128 s[8:11], s[0:1], 0x40
	s_load_b64 s[18:19], s[0:1], 0x50
	s_load_b64 s[14:15], s[0:1], 0x60
	v_cmp_eq_u32_e64 s2, 0, v0
	s_and_saveexec_b32 s3, s2
	s_cbranch_execz .LBB370_4
; %bb.1:
	s_mov_b32 s5, exec_lo
	s_mov_b32 s4, exec_lo
	v_mbcnt_lo_u32_b32 v1, s5, 0
                                        ; implicit-def: $vgpr2
	s_delay_alu instid0(VALU_DEP_1)
	v_cmpx_eq_u32_e32 0, v1
	s_cbranch_execz .LBB370_3
; %bb.2:
	s_load_b64 s[6:7], s[0:1], 0x70
	s_bcnt1_i32_b32 s5, s5
	s_wait_alu 0xfffe
	v_dual_mov_b32 v2, 0 :: v_dual_mov_b32 v3, s5
	s_wait_kmcnt 0x0
	global_atomic_add_u32 v2, v2, v3, s[6:7] th:TH_ATOMIC_RETURN scope:SCOPE_DEV
.LBB370_3:
	s_or_b32 exec_lo, exec_lo, s4
	s_wait_loadcnt 0x0
	v_readfirstlane_b32 s4, v2
	s_wait_alu 0xf1ff
	s_delay_alu instid0(VALU_DEP_1)
	v_dual_mov_b32 v2, 0 :: v_dual_add_nc_u32 v1, s4, v1
	ds_store_b32 v2, v1
.LBB370_4:
	s_or_b32 exec_lo, exec_lo, s3
	v_mov_b32_e32 v2, 0
	s_clause 0x2
	s_load_b128 s[4:7], s[0:1], 0x8
	s_load_b32 s3, s[0:1], 0x68
	s_load_b64 s[16:17], s[0:1], 0x78
	s_wait_dscnt 0x0
	s_barrier_signal -1
	s_barrier_wait -1
	global_inv scope:SCOPE_SE
	ds_load_b32 v1, v2
	s_wait_loadcnt_dscnt 0x0
	s_barrier_signal -1
	s_barrier_wait -1
	global_inv scope:SCOPE_SE
	s_wait_kmcnt 0x0
	global_load_b64 v[17:18], v2, s[10:11]
	s_mov_b32 s1, 0
	v_lshrrev_b32_e32 v9, 2, v0
	v_or_b32_e32 v11, 0x200, v0
	v_or_b32_e32 v10, 0x300, v0
	s_lshl_b64 s[20:21], s[6:7], 3
	s_lshl_b32 s0, s3, 10
	s_add_co_i32 s10, s3, -1
	s_add_nc_u64 s[22:23], s[6:7], s[0:1]
	s_lshl_b32 s3, s10, 10
	v_cmp_le_u64_e64 s1, s[18:19], s[22:23]
	s_add_co_i32 s0, s6, s3
	v_readfirstlane_b32 s11, v1
	v_lshlrev_b32_e32 v1, 10, v1
	s_add_nc_u64 s[4:5], s[4:5], s[20:21]
	s_cmp_eq_u32 s11, s10
	s_delay_alu instid0(VALU_DEP_1) | instskip(SKIP_1) | instid1(SALU_CYCLE_1)
	v_lshlrev_b64_e32 v[1:2], 3, v[1:2]
	s_cselect_b32 s6, -1, 0
	s_and_b32 s1, s1, s6
	s_delay_alu instid0(SALU_CYCLE_1) | instskip(SKIP_1) | instid1(VALU_DEP_1)
	s_xor_b32 s7, s1, -1
	s_wait_alu 0xfffe
	v_add_co_u32 v12, vcc_lo, s4, v1
	s_delay_alu instid0(VALU_DEP_1)
	v_add_co_ci_u32_e64 v13, null, s5, v2, vcc_lo
	s_and_b32 vcc_lo, exec_lo, s7
	s_mov_b32 s1, -1
	s_wait_alu 0xfffe
	s_cbranch_vccz .LBB370_6
; %bb.5:
	v_lshlrev_b32_e32 v14, 3, v0
	v_or_b32_e32 v15, 0x100, v0
	v_lshrrev_b32_e32 v16, 2, v11
	v_lshrrev_b32_e32 v19, 2, v10
	v_and_b32_e32 v20, 56, v9
	v_add_co_u32 v1, vcc_lo, v12, v14
	s_wait_alu 0xfffd
	v_add_co_ci_u32_e64 v2, null, 0, v13, vcc_lo
	v_lshrrev_b32_e32 v15, 2, v15
	v_and_b32_e32 v16, 0xb8, v16
	v_and_b32_e32 v19, 0xf8, v19
	s_clause 0x3
	flat_load_b64 v[3:4], v[1:2]
	flat_load_b64 v[5:6], v[1:2] offset:2048
	flat_load_b64 v[7:8], v[1:2] offset:4096
	;; [unrolled: 1-line block ×3, first 2 shown]
	v_add_nc_u32_e32 v20, v20, v14
	v_and_b32_e32 v15, 0x78, v15
	v_add_nc_u32_e32 v16, v16, v14
	s_mov_b32 s1, 0
	s_delay_alu instid0(VALU_DEP_2)
	v_add_nc_u32_e32 v15, v15, v14
	v_add_nc_u32_e32 v14, v19, v14
	s_wait_loadcnt_dscnt 0x303
	ds_store_b64 v20, v[3:4]
	s_wait_loadcnt_dscnt 0x203
	ds_store_b64 v15, v[5:6] offset:2048
	s_wait_loadcnt_dscnt 0x103
	ds_store_b64 v16, v[7:8] offset:4096
	;; [unrolled: 2-line block ×3, first 2 shown]
	s_wait_dscnt 0x0
	s_barrier_signal -1
	s_barrier_wait -1
.LBB370_6:
	s_and_not1_b32 vcc_lo, exec_lo, s1
	s_sub_co_i32 s18, s18, s0
	s_wait_alu 0xfffe
	s_cbranch_vccnz .LBB370_14
; %bb.7:
	v_mov_b32_e32 v1, 0
	s_mov_b32 s0, exec_lo
	s_delay_alu instid0(VALU_DEP_1)
	v_dual_mov_b32 v2, v1 :: v_dual_mov_b32 v3, v1
	v_dual_mov_b32 v4, v1 :: v_dual_mov_b32 v5, v1
	;; [unrolled: 1-line block ×3, first 2 shown]
	v_mov_b32_e32 v8, v1
	v_cmpx_gt_u32_e64 s18, v0
	s_cbranch_execz .LBB370_9
; %bb.8:
	v_dual_mov_b32 v21, v1 :: v_dual_lshlrev_b32 v2, 3, v0
	v_dual_mov_b32 v22, v1 :: v_dual_mov_b32 v23, v1
	v_dual_mov_b32 v24, v1 :: v_dual_mov_b32 v25, v1
	s_delay_alu instid0(VALU_DEP_3)
	v_add_co_u32 v2, vcc_lo, v12, v2
	s_wait_alu 0xfffd
	v_add_co_ci_u32_e64 v3, null, 0, v13, vcc_lo
	v_mov_b32_e32 v26, v1
	flat_load_b64 v[19:20], v[2:3]
	s_wait_loadcnt_dscnt 0x0
	v_dual_mov_b32 v1, v19 :: v_dual_mov_b32 v2, v20
	v_dual_mov_b32 v3, v21 :: v_dual_mov_b32 v4, v22
	;; [unrolled: 1-line block ×4, first 2 shown]
.LBB370_9:
	s_or_b32 exec_lo, exec_lo, s0
	v_or_b32_e32 v14, 0x100, v0
	s_mov_b32 s0, exec_lo
	s_delay_alu instid0(VALU_DEP_1)
	v_cmpx_gt_u32_e64 s18, v14
	s_cbranch_execnz .LBB370_132
; %bb.10:
	s_or_b32 exec_lo, exec_lo, s0
	s_delay_alu instid0(SALU_CYCLE_1)
	s_mov_b32 s0, exec_lo
	v_cmpx_gt_u32_e64 s18, v11
	s_cbranch_execnz .LBB370_133
.LBB370_11:
	s_or_b32 exec_lo, exec_lo, s0
	s_delay_alu instid0(SALU_CYCLE_1)
	s_mov_b32 s0, exec_lo
	v_cmpx_gt_u32_e64 s18, v10
	s_cbranch_execz .LBB370_13
.LBB370_12:
	v_lshlrev_b32_e32 v7, 3, v0
	s_delay_alu instid0(VALU_DEP_1)
	v_add_co_u32 v7, vcc_lo, v12, v7
	s_wait_alu 0xfffd
	v_add_co_ci_u32_e64 v8, null, 0, v13, vcc_lo
	flat_load_b64 v[7:8], v[7:8] offset:6144
.LBB370_13:
	s_or_b32 exec_lo, exec_lo, s0
	v_lshrrev_b32_e32 v12, 2, v14
	v_lshrrev_b32_e32 v11, 2, v11
	;; [unrolled: 1-line block ×3, first 2 shown]
	v_and_b32_e32 v9, 56, v9
	v_lshlrev_b32_e32 v13, 3, v0
	v_and_b32_e32 v12, 0x78, v12
	v_and_b32_e32 v11, 0xf8, v11
	;; [unrolled: 1-line block ×3, first 2 shown]
	s_delay_alu instid0(VALU_DEP_4) | instskip(NEXT) | instid1(VALU_DEP_4)
	v_add_nc_u32_e32 v9, v9, v13
	v_add_nc_u32_e32 v12, v12, v13
	s_delay_alu instid0(VALU_DEP_4) | instskip(NEXT) | instid1(VALU_DEP_4)
	v_add_nc_u32_e32 v11, v11, v13
	v_add_nc_u32_e32 v10, v10, v13
	ds_store_b64 v9, v[1:2]
	s_wait_loadcnt_dscnt 0x1
	ds_store_b64 v12, v[3:4] offset:2048
	ds_store_b64 v11, v[5:6] offset:4096
	;; [unrolled: 1-line block ×3, first 2 shown]
	s_wait_dscnt 0x0
	s_barrier_signal -1
	s_barrier_wait -1
.LBB370_14:
	v_and_b32_e32 v1, 0xf8, v0
	s_wait_loadcnt 0x0
	global_inv scope:SCOPE_SE
	s_and_not1_b32 vcc_lo, exec_lo, s7
	v_lshl_add_u32 v5, v0, 5, v1
	ds_load_2addr_b64 v[1:4], v5 offset1:3
	ds_load_2addr_b64 v[5:8], v5 offset0:1 offset1:2
	s_wait_loadcnt_dscnt 0x0
	s_barrier_signal -1
	s_barrier_wait -1
	global_inv scope:SCOPE_SE
	v_cmp_ne_u64_e64 s0, s[16:17], v[1:2]
	v_cmp_ne_u64_e64 s10, s[16:17], v[3:4]
	s_wait_alu 0xfffe
	s_cbranch_vccnz .LBB370_16
; %bb.15:
	v_cmp_ne_u64_e32 vcc_lo, s[16:17], v[7:8]
	v_cndmask_b32_e64 v29, 0, 1, s0
	s_wait_alu 0xfffd
	v_cndmask_b32_e64 v27, 0, 1, vcc_lo
	v_cmp_ne_u64_e32 vcc_lo, s[16:17], v[5:6]
	s_delay_alu instid0(VALU_DEP_2) | instskip(SKIP_2) | instid1(VALU_DEP_1)
	v_lshlrev_b16 v10, 8, v27
	s_wait_alu 0xfffd
	v_cndmask_b32_e64 v9, 0, 1, vcc_lo
	v_or_b32_e32 v28, v9, v10
	s_cbranch_execz .LBB370_17
	s_branch .LBB370_18
.LBB370_16:
                                        ; implicit-def: $sgpr10
                                        ; implicit-def: $vgpr29
                                        ; implicit-def: $vgpr28
                                        ; implicit-def: $vgpr27
.LBB370_17:
	v_lshlrev_b32_e32 v9, 2, v0
	v_cmp_ne_u64_e64 s0, s[16:17], v[7:8]
	v_cmp_ne_u64_e64 s3, s[16:17], v[5:6]
	v_cmp_ne_u64_e32 vcc_lo, s[16:17], v[1:2]
	v_cmp_ne_u64_e64 s4, s[16:17], v[3:4]
	v_or_b32_e32 v10, 2, v9
	v_or_b32_e32 v11, 1, v9
	s_delay_alu instid0(VALU_DEP_2) | instskip(NEXT) | instid1(VALU_DEP_2)
	v_cmp_gt_u32_e64 s1, s18, v10
	v_cmp_gt_u32_e64 s5, s18, v11
	v_or_b32_e32 v10, 3, v9
	s_and_b32 s0, s1, s0
	s_and_b32 s3, s5, s3
	s_wait_alu 0xfffe
	v_cndmask_b32_e64 v27, 0, 1, s0
	v_cmp_gt_u32_e64 s0, s18, v9
	v_cmp_gt_u32_e64 s1, s18, v10
	v_cndmask_b32_e64 v9, 0, 1, s3
	s_delay_alu instid0(VALU_DEP_4)
	v_lshlrev_b16 v10, 8, v27
	s_and_b32 s0, s0, vcc_lo
	s_wait_alu 0xfffe
	v_cndmask_b32_e64 v29, 0, 1, s0
	s_and_b32 s0, s1, s4
	v_or_b32_e32 v28, v9, v10
	s_and_not1_b32 s1, s10, exec_lo
	s_wait_alu 0xfffe
	s_and_b32 s0, s0, exec_lo
	s_wait_alu 0xfffe
	s_or_b32 s10, s1, s0
.LBB370_18:
	v_and_b32_e32 v32, 0xff, v29
	s_delay_alu instid0(VALU_DEP_2)
	v_dual_mov_b32 v10, 0 :: v_dual_and_b32 v31, 0xff, v28
	v_cndmask_b32_e64 v9, 0, 1, s10
	v_mbcnt_lo_u32_b32 v33, -1, 0
	v_and_b32_e32 v30, 0xff, v27
	s_cmp_lg_u32 s11, 0
	s_mov_b32 s1, -1
	v_add3_u32 v9, v32, v9, v31
	v_and_b32_e32 v34, 15, v33
	s_delay_alu instid0(VALU_DEP_2) | instskip(SKIP_2) | instid1(VALU_DEP_3)
	v_add_co_u32 v19, s0, v9, v30
	s_wait_alu 0xf1ff
	v_add_co_ci_u32_e64 v20, null, 0, 0, s0
	v_cmp_ne_u32_e64 s0, 0, v34
	s_cbranch_scc0 .LBB370_75
; %bb.19:
	v_mov_b32_e32 v11, v19
	v_mov_b32_dpp v9, v19 row_shr:1 row_mask:0xf bank_mask:0xf
	v_mov_b32_dpp v14, v10 row_shr:1 row_mask:0xf bank_mask:0xf
	v_dual_mov_b32 v13, v19 :: v_dual_mov_b32 v12, v20
	s_and_saveexec_b32 s1, s0
; %bb.20:
	s_delay_alu instid0(VALU_DEP_3) | instskip(SKIP_2) | instid1(VALU_DEP_2)
	v_add_co_u32 v13, vcc_lo, v19, v9
	s_wait_alu 0xfffd
	v_add_co_ci_u32_e64 v10, null, 0, v20, vcc_lo
	v_add_co_u32 v9, vcc_lo, 0, v13
	s_wait_alu 0xfffd
	s_delay_alu instid0(VALU_DEP_2) | instskip(NEXT) | instid1(VALU_DEP_1)
	v_add_co_ci_u32_e64 v10, null, v14, v10, vcc_lo
	v_dual_mov_b32 v12, v10 :: v_dual_mov_b32 v11, v9
; %bb.21:
	s_wait_alu 0xfffe
	s_or_b32 exec_lo, exec_lo, s1
	v_mov_b32_dpp v9, v13 row_shr:2 row_mask:0xf bank_mask:0xf
	v_mov_b32_dpp v14, v10 row_shr:2 row_mask:0xf bank_mask:0xf
	s_mov_b32 s1, exec_lo
	v_cmpx_lt_u32_e32 1, v34
; %bb.22:
	s_delay_alu instid0(VALU_DEP_3) | instskip(SKIP_2) | instid1(VALU_DEP_2)
	v_add_co_u32 v13, vcc_lo, v11, v9
	s_wait_alu 0xfffd
	v_add_co_ci_u32_e64 v10, null, 0, v12, vcc_lo
	v_add_co_u32 v9, vcc_lo, 0, v13
	s_wait_alu 0xfffd
	s_delay_alu instid0(VALU_DEP_2) | instskip(NEXT) | instid1(VALU_DEP_1)
	v_add_co_ci_u32_e64 v10, null, v14, v10, vcc_lo
	v_dual_mov_b32 v12, v10 :: v_dual_mov_b32 v11, v9
; %bb.23:
	s_wait_alu 0xfffe
	s_or_b32 exec_lo, exec_lo, s1
	v_mov_b32_dpp v9, v13 row_shr:4 row_mask:0xf bank_mask:0xf
	v_mov_b32_dpp v14, v10 row_shr:4 row_mask:0xf bank_mask:0xf
	s_mov_b32 s1, exec_lo
	v_cmpx_lt_u32_e32 3, v34
	;; [unrolled: 17-line block ×3, first 2 shown]
; %bb.26:
	s_delay_alu instid0(VALU_DEP_3) | instskip(SKIP_2) | instid1(VALU_DEP_2)
	v_add_co_u32 v13, vcc_lo, v11, v14
	s_wait_alu 0xfffd
	v_add_co_ci_u32_e64 v10, null, 0, v12, vcc_lo
	v_add_co_u32 v11, vcc_lo, 0, v13
	s_wait_alu 0xfffd
	s_delay_alu instid0(VALU_DEP_2) | instskip(NEXT) | instid1(VALU_DEP_1)
	v_add_co_ci_u32_e64 v12, null, v9, v10, vcc_lo
	v_mov_b32_e32 v10, v12
; %bb.27:
	s_wait_alu 0xfffe
	s_or_b32 exec_lo, exec_lo, s1
	ds_swizzle_b32 v9, v13 offset:swizzle(BROADCAST,32,15)
	ds_swizzle_b32 v14, v10 offset:swizzle(BROADCAST,32,15)
	v_and_b32_e32 v15, 16, v33
	s_mov_b32 s1, exec_lo
	s_delay_alu instid0(VALU_DEP_1)
	v_cmpx_ne_u32_e32 0, v15
	s_cbranch_execz .LBB370_29
; %bb.28:
	s_wait_dscnt 0x1
	v_add_co_u32 v13, vcc_lo, v11, v9
	s_wait_alu 0xfffd
	v_add_co_ci_u32_e64 v10, null, 0, v12, vcc_lo
	s_delay_alu instid0(VALU_DEP_2) | instskip(SKIP_2) | instid1(VALU_DEP_2)
	v_add_co_u32 v9, vcc_lo, 0, v13
	s_wait_dscnt 0x0
	s_wait_alu 0xfffd
	v_add_co_ci_u32_e64 v10, null, v14, v10, vcc_lo
	s_delay_alu instid0(VALU_DEP_1)
	v_dual_mov_b32 v12, v10 :: v_dual_mov_b32 v11, v9
.LBB370_29:
	s_wait_alu 0xfffe
	s_or_b32 exec_lo, exec_lo, s1
	s_wait_dscnt 0x0
	v_or_b32_e32 v14, 31, v0
	v_lshrrev_b32_e32 v9, 5, v0
	s_mov_b32 s1, exec_lo
	s_delay_alu instid0(VALU_DEP_2)
	v_cmpx_eq_u32_e64 v0, v14
; %bb.30:
	s_delay_alu instid0(VALU_DEP_2)
	v_lshlrev_b32_e32 v14, 3, v9
	ds_store_b64 v14, v[11:12]
; %bb.31:
	s_wait_alu 0xfffe
	s_or_b32 exec_lo, exec_lo, s1
	s_delay_alu instid0(SALU_CYCLE_1)
	s_mov_b32 s1, exec_lo
	s_wait_loadcnt_dscnt 0x0
	s_barrier_signal -1
	s_barrier_wait -1
	global_inv scope:SCOPE_SE
	v_cmpx_gt_u32_e32 8, v0
	s_cbranch_execz .LBB370_39
; %bb.32:
	v_lshlrev_b32_e32 v14, 3, v0
	s_mov_b32 s3, exec_lo
	ds_load_b64 v[11:12], v14
	s_wait_dscnt 0x0
	v_dual_mov_b32 v16, v11 :: v_dual_and_b32 v15, 7, v33
	v_mov_b32_dpp v22, v11 row_shr:1 row_mask:0xf bank_mask:0xf
	v_mov_b32_dpp v21, v12 row_shr:1 row_mask:0xf bank_mask:0xf
	s_delay_alu instid0(VALU_DEP_3)
	v_cmpx_ne_u32_e32 0, v15
; %bb.33:
	s_delay_alu instid0(VALU_DEP_3) | instskip(SKIP_2) | instid1(VALU_DEP_2)
	v_add_co_u32 v16, vcc_lo, v11, v22
	s_wait_alu 0xfffd
	v_add_co_ci_u32_e64 v12, null, 0, v12, vcc_lo
	v_add_co_u32 v11, vcc_lo, 0, v16
	s_wait_alu 0xfffd
	s_delay_alu instid0(VALU_DEP_2)
	v_add_co_ci_u32_e64 v12, null, v21, v12, vcc_lo
; %bb.34:
	s_wait_alu 0xfffe
	s_or_b32 exec_lo, exec_lo, s3
	v_mov_b32_dpp v22, v16 row_shr:2 row_mask:0xf bank_mask:0xf
	s_delay_alu instid0(VALU_DEP_2)
	v_mov_b32_dpp v21, v12 row_shr:2 row_mask:0xf bank_mask:0xf
	s_mov_b32 s3, exec_lo
	v_cmpx_lt_u32_e32 1, v15
; %bb.35:
	s_delay_alu instid0(VALU_DEP_3) | instskip(SKIP_2) | instid1(VALU_DEP_2)
	v_add_co_u32 v16, vcc_lo, v11, v22
	s_wait_alu 0xfffd
	v_add_co_ci_u32_e64 v12, null, 0, v12, vcc_lo
	v_add_co_u32 v11, vcc_lo, 0, v16
	s_wait_alu 0xfffd
	s_delay_alu instid0(VALU_DEP_2)
	v_add_co_ci_u32_e64 v12, null, v21, v12, vcc_lo
; %bb.36:
	s_wait_alu 0xfffe
	s_or_b32 exec_lo, exec_lo, s3
	v_mov_b32_dpp v21, v16 row_shr:4 row_mask:0xf bank_mask:0xf
	s_delay_alu instid0(VALU_DEP_2)
	v_mov_b32_dpp v16, v12 row_shr:4 row_mask:0xf bank_mask:0xf
	s_mov_b32 s3, exec_lo
	v_cmpx_lt_u32_e32 3, v15
; %bb.37:
	s_delay_alu instid0(VALU_DEP_3) | instskip(SKIP_2) | instid1(VALU_DEP_2)
	v_add_co_u32 v11, vcc_lo, v11, v21
	s_wait_alu 0xfffd
	v_add_co_ci_u32_e64 v12, null, 0, v12, vcc_lo
	v_add_co_u32 v11, vcc_lo, v11, 0
	s_wait_alu 0xfffd
	s_delay_alu instid0(VALU_DEP_2)
	v_add_co_ci_u32_e64 v12, null, v12, v16, vcc_lo
; %bb.38:
	s_wait_alu 0xfffe
	s_or_b32 exec_lo, exec_lo, s3
	ds_store_b64 v14, v[11:12]
.LBB370_39:
	s_wait_alu 0xfffe
	s_or_b32 exec_lo, exec_lo, s1
	s_delay_alu instid0(SALU_CYCLE_1)
	s_mov_b32 s3, exec_lo
	v_cmp_gt_u32_e32 vcc_lo, 32, v0
	s_wait_loadcnt_dscnt 0x0
	s_barrier_signal -1
	s_barrier_wait -1
	global_inv scope:SCOPE_SE
                                        ; implicit-def: $vgpr21_vgpr22
	v_cmpx_lt_u32_e32 31, v0
	s_cbranch_execz .LBB370_41
; %bb.40:
	v_lshl_add_u32 v9, v9, 3, -8
	ds_load_b64 v[21:22], v9
	s_wait_dscnt 0x0
	v_add_co_u32 v13, s1, v13, v21
	s_wait_alu 0xf1ff
	v_add_co_ci_u32_e64 v10, null, v10, v22, s1
.LBB370_41:
	s_wait_alu 0xfffe
	s_or_b32 exec_lo, exec_lo, s3
	v_sub_co_u32 v9, s1, v33, 1
	s_delay_alu instid0(VALU_DEP_1) | instskip(SKIP_1) | instid1(VALU_DEP_1)
	v_cmp_gt_i32_e64 s3, 0, v9
	s_wait_alu 0xf1ff
	v_cndmask_b32_e64 v9, v9, v33, s3
	s_delay_alu instid0(VALU_DEP_1)
	v_lshlrev_b32_e32 v9, 2, v9
	ds_bpermute_b32 v35, v9, v13
	ds_bpermute_b32 v36, v9, v10
	s_and_saveexec_b32 s3, vcc_lo
	s_cbranch_execz .LBB370_80
; %bb.42:
	v_mov_b32_e32 v12, 0
	ds_load_b64 v[9:10], v12 offset:56
	s_and_saveexec_b32 s4, s1
	s_cbranch_execz .LBB370_44
; %bb.43:
	s_add_co_i32 s16, s11, 32
	s_mov_b32 s17, 0
	s_wait_alu 0xfffe
	s_lshl_b64 s[16:17], s[16:17], 4
	s_wait_alu 0xfffe
	s_add_nc_u64 s[16:17], s[14:15], s[16:17]
	v_mov_b32_e32 v11, 1
	s_wait_alu 0xfffe
	v_dual_mov_b32 v13, s16 :: v_dual_mov_b32 v14, s17
	s_wait_dscnt 0x0
	;;#ASMSTART
	global_store_b128 v[13:14], v[9:12] off scope:SCOPE_DEV	
s_wait_storecnt 0x0
	;;#ASMEND
.LBB370_44:
	s_wait_alu 0xfffe
	s_or_b32 exec_lo, exec_lo, s4
	v_xad_u32 v23, v33, -1, s11
	s_mov_b32 s5, 0
	s_mov_b32 s4, exec_lo
	s_delay_alu instid0(VALU_DEP_1) | instskip(NEXT) | instid1(VALU_DEP_1)
	v_add_nc_u32_e32 v11, 32, v23
	v_lshlrev_b64_e32 v[11:12], 4, v[11:12]
	s_delay_alu instid0(VALU_DEP_1) | instskip(SKIP_1) | instid1(VALU_DEP_2)
	v_add_co_u32 v11, vcc_lo, s14, v11
	s_wait_alu 0xfffd
	v_add_co_ci_u32_e64 v12, null, s15, v12, vcc_lo
	;;#ASMSTART
	global_load_b128 v[13:16], v[11:12] off scope:SCOPE_DEV	
s_wait_loadcnt 0x0
	;;#ASMEND
	v_and_b32_e32 v16, 0xff, v15
	s_delay_alu instid0(VALU_DEP_1)
	v_cmpx_eq_u16_e32 0, v16
	s_cbranch_execz .LBB370_47
.LBB370_45:                             ; =>This Inner Loop Header: Depth=1
	;;#ASMSTART
	global_load_b128 v[13:16], v[11:12] off scope:SCOPE_DEV	
s_wait_loadcnt 0x0
	;;#ASMEND
	v_and_b32_e32 v16, 0xff, v15
	s_delay_alu instid0(VALU_DEP_1)
	v_cmp_ne_u16_e32 vcc_lo, 0, v16
	s_wait_alu 0xfffe
	s_or_b32 s5, vcc_lo, s5
	s_wait_alu 0xfffe
	s_and_not1_b32 exec_lo, exec_lo, s5
	s_cbranch_execnz .LBB370_45
; %bb.46:
	s_or_b32 exec_lo, exec_lo, s5
.LBB370_47:
	s_wait_alu 0xfffe
	s_or_b32 exec_lo, exec_lo, s4
	v_cmp_ne_u32_e32 vcc_lo, 31, v33
	v_and_b32_e32 v12, 0xff, v15
	v_lshlrev_b32_e64 v38, v33, -1
	s_mov_b32 s4, exec_lo
	s_wait_alu 0xfffd
	v_add_co_ci_u32_e64 v11, null, 0, v33, vcc_lo
	v_cmp_eq_u16_e32 vcc_lo, 2, v12
	s_delay_alu instid0(VALU_DEP_2)
	v_dual_mov_b32 v12, v13 :: v_dual_lshlrev_b32 v37, 2, v11
	s_wait_alu 0xfffd
	v_and_or_b32 v11, vcc_lo, v38, 0x80000000
	ds_bpermute_b32 v24, v37, v13
	ds_bpermute_b32 v16, v37, v14
	v_ctz_i32_b32_e32 v11, v11
	s_delay_alu instid0(VALU_DEP_1)
	v_cmpx_lt_u32_e64 v33, v11
	s_cbranch_execz .LBB370_49
; %bb.48:
	s_wait_dscnt 0x1
	v_add_co_u32 v12, vcc_lo, v13, v24
	s_wait_alu 0xfffd
	v_add_co_ci_u32_e64 v14, null, 0, v14, vcc_lo
	s_delay_alu instid0(VALU_DEP_2) | instskip(SKIP_2) | instid1(VALU_DEP_2)
	v_add_co_u32 v13, vcc_lo, 0, v12
	s_wait_dscnt 0x0
	s_wait_alu 0xfffd
	v_add_co_ci_u32_e64 v14, null, v16, v14, vcc_lo
.LBB370_49:
	s_wait_alu 0xfffe
	s_or_b32 exec_lo, exec_lo, s4
	v_cmp_gt_u32_e32 vcc_lo, 30, v33
	v_add_nc_u32_e32 v40, 2, v33
	s_mov_b32 s4, exec_lo
	s_wait_dscnt 0x0
	s_wait_alu 0xfffd
	v_cndmask_b32_e64 v16, 0, 2, vcc_lo
	s_delay_alu instid0(VALU_DEP_1)
	v_add_lshl_u32 v39, v16, v33, 2
	ds_bpermute_b32 v24, v39, v12
	ds_bpermute_b32 v16, v39, v14
	v_cmpx_le_u32_e64 v40, v11
	s_cbranch_execz .LBB370_51
; %bb.50:
	s_wait_dscnt 0x1
	v_add_co_u32 v12, vcc_lo, v13, v24
	s_wait_alu 0xfffd
	v_add_co_ci_u32_e64 v14, null, 0, v14, vcc_lo
	s_delay_alu instid0(VALU_DEP_2) | instskip(SKIP_2) | instid1(VALU_DEP_2)
	v_add_co_u32 v13, vcc_lo, 0, v12
	s_wait_dscnt 0x0
	s_wait_alu 0xfffd
	v_add_co_ci_u32_e64 v14, null, v16, v14, vcc_lo
.LBB370_51:
	s_wait_alu 0xfffe
	s_or_b32 exec_lo, exec_lo, s4
	v_cmp_gt_u32_e32 vcc_lo, 28, v33
	v_add_nc_u32_e32 v42, 4, v33
	s_mov_b32 s4, exec_lo
	s_wait_dscnt 0x0
	s_wait_alu 0xfffd
	v_cndmask_b32_e64 v16, 0, 4, vcc_lo
	s_delay_alu instid0(VALU_DEP_1)
	v_add_lshl_u32 v41, v16, v33, 2
	ds_bpermute_b32 v24, v41, v12
	ds_bpermute_b32 v16, v41, v14
	v_cmpx_le_u32_e64 v42, v11
	;; [unrolled: 25-line block ×3, first 2 shown]
	s_cbranch_execz .LBB370_55
; %bb.54:
	s_wait_dscnt 0x1
	v_add_co_u32 v12, vcc_lo, v13, v24
	s_wait_alu 0xfffd
	v_add_co_ci_u32_e64 v14, null, 0, v14, vcc_lo
	s_delay_alu instid0(VALU_DEP_2) | instskip(SKIP_2) | instid1(VALU_DEP_2)
	v_add_co_u32 v13, vcc_lo, 0, v12
	s_wait_dscnt 0x0
	s_wait_alu 0xfffd
	v_add_co_ci_u32_e64 v14, null, v16, v14, vcc_lo
.LBB370_55:
	s_wait_alu 0xfffe
	s_or_b32 exec_lo, exec_lo, s4
	v_lshl_or_b32 v45, v33, 2, 64
	v_add_nc_u32_e32 v46, 16, v33
	s_mov_b32 s4, exec_lo
	s_wait_dscnt 0x0
	ds_bpermute_b32 v16, v45, v12
	ds_bpermute_b32 v12, v45, v14
	v_cmpx_le_u32_e64 v46, v11
	s_cbranch_execz .LBB370_57
; %bb.56:
	s_wait_dscnt 0x1
	v_add_co_u32 v11, vcc_lo, v13, v16
	s_wait_alu 0xfffd
	v_add_co_ci_u32_e64 v14, null, 0, v14, vcc_lo
	s_delay_alu instid0(VALU_DEP_2) | instskip(SKIP_2) | instid1(VALU_DEP_2)
	v_add_co_u32 v13, vcc_lo, v11, 0
	s_wait_dscnt 0x0
	s_wait_alu 0xfffd
	v_add_co_ci_u32_e64 v14, null, v14, v12, vcc_lo
.LBB370_57:
	s_wait_alu 0xfffe
	s_or_b32 exec_lo, exec_lo, s4
	v_mov_b32_e32 v24, 0
	s_branch .LBB370_60
.LBB370_58:                             ;   in Loop: Header=BB370_60 Depth=1
	s_wait_alu 0xfffe
	s_or_b32 exec_lo, exec_lo, s4
	v_add_co_u32 v13, vcc_lo, v13, v11
	v_subrev_nc_u32_e32 v23, 32, v23
	s_wait_alu 0xfffd
	v_add_co_ci_u32_e64 v14, null, v14, v12, vcc_lo
	s_mov_b32 s4, 0
.LBB370_59:                             ;   in Loop: Header=BB370_60 Depth=1
	s_wait_alu 0xfffe
	s_and_b32 vcc_lo, exec_lo, s4
	s_wait_alu 0xfffe
	s_cbranch_vccnz .LBB370_76
.LBB370_60:                             ; =>This Loop Header: Depth=1
                                        ;     Child Loop BB370_63 Depth 2
	v_and_b32_e32 v11, 0xff, v15
	s_mov_b32 s4, -1
	s_delay_alu instid0(VALU_DEP_1)
	v_cmp_ne_u16_e32 vcc_lo, 2, v11
	s_wait_dscnt 0x0
	v_dual_mov_b32 v11, v13 :: v_dual_mov_b32 v12, v14
                                        ; implicit-def: $vgpr13_vgpr14
	s_cmp_lg_u32 vcc_lo, exec_lo
	s_cbranch_scc1 .LBB370_59
; %bb.61:                               ;   in Loop: Header=BB370_60 Depth=1
	v_lshlrev_b64_e32 v[13:14], 4, v[23:24]
	s_mov_b32 s4, exec_lo
	s_delay_alu instid0(VALU_DEP_1) | instskip(SKIP_1) | instid1(VALU_DEP_2)
	v_add_co_u32 v25, vcc_lo, s14, v13
	s_wait_alu 0xfffd
	v_add_co_ci_u32_e64 v26, null, s15, v14, vcc_lo
	;;#ASMSTART
	global_load_b128 v[13:16], v[25:26] off scope:SCOPE_DEV	
s_wait_loadcnt 0x0
	;;#ASMEND
	v_and_b32_e32 v16, 0xff, v15
	s_delay_alu instid0(VALU_DEP_1)
	v_cmpx_eq_u16_e32 0, v16
	s_cbranch_execz .LBB370_65
; %bb.62:                               ;   in Loop: Header=BB370_60 Depth=1
	s_mov_b32 s5, 0
.LBB370_63:                             ;   Parent Loop BB370_60 Depth=1
                                        ; =>  This Inner Loop Header: Depth=2
	;;#ASMSTART
	global_load_b128 v[13:16], v[25:26] off scope:SCOPE_DEV	
s_wait_loadcnt 0x0
	;;#ASMEND
	v_and_b32_e32 v16, 0xff, v15
	s_delay_alu instid0(VALU_DEP_1)
	v_cmp_ne_u16_e32 vcc_lo, 0, v16
	s_wait_alu 0xfffe
	s_or_b32 s5, vcc_lo, s5
	s_wait_alu 0xfffe
	s_and_not1_b32 exec_lo, exec_lo, s5
	s_cbranch_execnz .LBB370_63
; %bb.64:                               ;   in Loop: Header=BB370_60 Depth=1
	s_or_b32 exec_lo, exec_lo, s5
.LBB370_65:                             ;   in Loop: Header=BB370_60 Depth=1
	s_wait_alu 0xfffe
	s_or_b32 exec_lo, exec_lo, s4
	v_dual_mov_b32 v25, v13 :: v_dual_and_b32 v16, 0xff, v15
	ds_bpermute_b32 v47, v37, v13
	ds_bpermute_b32 v26, v37, v14
	s_mov_b32 s4, exec_lo
	v_cmp_eq_u16_e32 vcc_lo, 2, v16
	s_wait_alu 0xfffd
	v_and_or_b32 v16, vcc_lo, v38, 0x80000000
	s_delay_alu instid0(VALU_DEP_1) | instskip(NEXT) | instid1(VALU_DEP_1)
	v_ctz_i32_b32_e32 v16, v16
	v_cmpx_lt_u32_e64 v33, v16
	s_cbranch_execz .LBB370_67
; %bb.66:                               ;   in Loop: Header=BB370_60 Depth=1
	s_wait_dscnt 0x1
	v_add_co_u32 v25, vcc_lo, v13, v47
	s_wait_alu 0xfffd
	v_add_co_ci_u32_e64 v14, null, 0, v14, vcc_lo
	s_delay_alu instid0(VALU_DEP_2) | instskip(SKIP_2) | instid1(VALU_DEP_2)
	v_add_co_u32 v13, vcc_lo, 0, v25
	s_wait_dscnt 0x0
	s_wait_alu 0xfffd
	v_add_co_ci_u32_e64 v14, null, v26, v14, vcc_lo
.LBB370_67:                             ;   in Loop: Header=BB370_60 Depth=1
	s_wait_alu 0xfffe
	s_or_b32 exec_lo, exec_lo, s4
	s_wait_dscnt 0x1
	ds_bpermute_b32 v47, v39, v25
	s_wait_dscnt 0x1
	ds_bpermute_b32 v26, v39, v14
	s_mov_b32 s4, exec_lo
	v_cmpx_le_u32_e64 v40, v16
	s_cbranch_execz .LBB370_69
; %bb.68:                               ;   in Loop: Header=BB370_60 Depth=1
	s_wait_dscnt 0x1
	v_add_co_u32 v25, vcc_lo, v13, v47
	s_wait_alu 0xfffd
	v_add_co_ci_u32_e64 v14, null, 0, v14, vcc_lo
	s_delay_alu instid0(VALU_DEP_2) | instskip(SKIP_2) | instid1(VALU_DEP_2)
	v_add_co_u32 v13, vcc_lo, 0, v25
	s_wait_dscnt 0x0
	s_wait_alu 0xfffd
	v_add_co_ci_u32_e64 v14, null, v26, v14, vcc_lo
.LBB370_69:                             ;   in Loop: Header=BB370_60 Depth=1
	s_wait_alu 0xfffe
	s_or_b32 exec_lo, exec_lo, s4
	s_wait_dscnt 0x1
	ds_bpermute_b32 v47, v41, v25
	s_wait_dscnt 0x1
	ds_bpermute_b32 v26, v41, v14
	s_mov_b32 s4, exec_lo
	v_cmpx_le_u32_e64 v42, v16
	;; [unrolled: 20-line block ×3, first 2 shown]
	s_cbranch_execz .LBB370_73
; %bb.72:                               ;   in Loop: Header=BB370_60 Depth=1
	s_wait_dscnt 0x1
	v_add_co_u32 v25, vcc_lo, v13, v47
	s_wait_alu 0xfffd
	v_add_co_ci_u32_e64 v14, null, 0, v14, vcc_lo
	s_delay_alu instid0(VALU_DEP_2) | instskip(SKIP_2) | instid1(VALU_DEP_2)
	v_add_co_u32 v13, vcc_lo, 0, v25
	s_wait_dscnt 0x0
	s_wait_alu 0xfffd
	v_add_co_ci_u32_e64 v14, null, v26, v14, vcc_lo
.LBB370_73:                             ;   in Loop: Header=BB370_60 Depth=1
	s_wait_alu 0xfffe
	s_or_b32 exec_lo, exec_lo, s4
	s_wait_dscnt 0x0
	ds_bpermute_b32 v26, v45, v25
	ds_bpermute_b32 v25, v45, v14
	s_mov_b32 s4, exec_lo
	v_cmpx_le_u32_e64 v46, v16
	s_cbranch_execz .LBB370_58
; %bb.74:                               ;   in Loop: Header=BB370_60 Depth=1
	s_wait_dscnt 0x1
	v_add_co_u32 v13, vcc_lo, v13, v26
	s_wait_alu 0xfffd
	v_add_co_ci_u32_e64 v14, null, 0, v14, vcc_lo
	s_delay_alu instid0(VALU_DEP_2) | instskip(SKIP_2) | instid1(VALU_DEP_2)
	v_add_co_u32 v13, vcc_lo, v13, 0
	s_wait_dscnt 0x0
	s_wait_alu 0xfffd
	v_add_co_ci_u32_e64 v14, null, v14, v25, vcc_lo
	s_branch .LBB370_58
.LBB370_75:
                                        ; implicit-def: $vgpr15_vgpr16
                                        ; implicit-def: $vgpr13_vgpr14
                                        ; implicit-def: $vgpr21_vgpr22
                                        ; implicit-def: $vgpr23_vgpr24
                                        ; implicit-def: $vgpr11_vgpr12
	s_wait_alu 0xfffe
	s_and_b32 vcc_lo, exec_lo, s1
	s_wait_alu 0xfffe
	s_cbranch_vccnz .LBB370_81
	s_branch .LBB370_106
.LBB370_76:
	s_and_saveexec_b32 s4, s1
	s_cbranch_execz .LBB370_78
; %bb.77:
	s_add_co_i32 s16, s11, 32
	s_mov_b32 s17, 0
	v_add_co_u32 v13, vcc_lo, v11, v9
	s_wait_alu 0xfffe
	s_lshl_b64 s[16:17], s[16:17], 4
	v_dual_mov_b32 v15, 2 :: v_dual_mov_b32 v16, 0
	s_wait_alu 0xfffe
	s_add_nc_u64 s[16:17], s[14:15], s[16:17]
	s_wait_alu 0xfffd
	v_add_co_ci_u32_e64 v14, null, v12, v10, vcc_lo
	s_wait_alu 0xfffe
	v_dual_mov_b32 v24, s17 :: v_dual_mov_b32 v23, s16
	;;#ASMSTART
	global_store_b128 v[23:24], v[13:16] off scope:SCOPE_DEV	
s_wait_storecnt 0x0
	;;#ASMEND
	ds_store_b128 v16, v[9:12] offset:8448
.LBB370_78:
	s_wait_alu 0xfffe
	s_or_b32 exec_lo, exec_lo, s4
	s_delay_alu instid0(SALU_CYCLE_1)
	s_and_b32 exec_lo, exec_lo, s2
; %bb.79:
	v_mov_b32_e32 v9, 0
	ds_store_b64 v9, v[11:12] offset:56
.LBB370_80:
	s_wait_alu 0xfffe
	s_or_b32 exec_lo, exec_lo, s3
	v_mov_b32_e32 v9, 0
	s_wait_loadcnt_dscnt 0x0
	s_barrier_signal -1
	s_barrier_wait -1
	global_inv scope:SCOPE_SE
	ds_load_b64 v[13:14], v9 offset:56
	v_cndmask_b32_e64 v11, v35, v21, s1
	v_cndmask_b32_e64 v10, v36, v22, s1
	s_wait_loadcnt_dscnt 0x0
	s_barrier_signal -1
	s_barrier_wait -1
	v_cndmask_b32_e64 v16, v11, 0, s2
	v_cndmask_b32_e64 v15, v10, 0, s2
	global_inv scope:SCOPE_SE
	ds_load_b128 v[9:12], v9 offset:8448
	v_add_co_u32 v23, vcc_lo, v13, v16
	s_wait_alu 0xfffd
	v_add_co_ci_u32_e64 v24, null, v14, v15, vcc_lo
	s_delay_alu instid0(VALU_DEP_2) | instskip(SKIP_1) | instid1(VALU_DEP_2)
	v_add_co_u32 v21, vcc_lo, v23, v32
	s_wait_alu 0xfffd
	v_add_co_ci_u32_e64 v22, null, 0, v24, vcc_lo
	s_delay_alu instid0(VALU_DEP_2) | instskip(SKIP_1) | instid1(VALU_DEP_2)
	;; [unrolled: 4-line block ×3, first 2 shown]
	v_add_co_u32 v15, vcc_lo, v13, v30
	s_wait_alu 0xfffd
	v_add_co_ci_u32_e64 v16, null, 0, v14, vcc_lo
	s_branch .LBB370_106
.LBB370_81:
	s_wait_dscnt 0x0
	v_dual_mov_b32 v10, 0 :: v_dual_mov_b32 v11, v19
	v_mov_b32_dpp v12, v19 row_shr:1 row_mask:0xf bank_mask:0xf
	s_delay_alu instid0(VALU_DEP_2)
	v_mov_b32_dpp v9, v10 row_shr:1 row_mask:0xf bank_mask:0xf
	s_and_saveexec_b32 s1, s0
; %bb.82:
	s_delay_alu instid0(VALU_DEP_2) | instskip(SKIP_2) | instid1(VALU_DEP_2)
	v_add_co_u32 v11, vcc_lo, v19, v12
	s_wait_alu 0xfffd
	v_add_co_ci_u32_e64 v10, null, 0, v20, vcc_lo
	v_add_co_u32 v19, vcc_lo, 0, v11
	s_wait_alu 0xfffd
	s_delay_alu instid0(VALU_DEP_2) | instskip(NEXT) | instid1(VALU_DEP_1)
	v_add_co_ci_u32_e64 v20, null, v9, v10, vcc_lo
	v_mov_b32_e32 v10, v20
; %bb.83:
	s_wait_alu 0xfffe
	s_or_b32 exec_lo, exec_lo, s1
	v_mov_b32_dpp v9, v11 row_shr:2 row_mask:0xf bank_mask:0xf
	s_delay_alu instid0(VALU_DEP_2)
	v_mov_b32_dpp v12, v10 row_shr:2 row_mask:0xf bank_mask:0xf
	s_mov_b32 s0, exec_lo
	v_cmpx_lt_u32_e32 1, v34
; %bb.84:
	s_delay_alu instid0(VALU_DEP_3) | instskip(SKIP_2) | instid1(VALU_DEP_2)
	v_add_co_u32 v11, vcc_lo, v19, v9
	s_wait_alu 0xfffd
	v_add_co_ci_u32_e64 v10, null, 0, v20, vcc_lo
	v_add_co_u32 v9, vcc_lo, 0, v11
	s_wait_alu 0xfffd
	s_delay_alu instid0(VALU_DEP_2) | instskip(NEXT) | instid1(VALU_DEP_1)
	v_add_co_ci_u32_e64 v10, null, v12, v10, vcc_lo
	v_dual_mov_b32 v20, v10 :: v_dual_mov_b32 v19, v9
; %bb.85:
	s_wait_alu 0xfffe
	s_or_b32 exec_lo, exec_lo, s0
	v_mov_b32_dpp v9, v11 row_shr:4 row_mask:0xf bank_mask:0xf
	v_mov_b32_dpp v12, v10 row_shr:4 row_mask:0xf bank_mask:0xf
	s_mov_b32 s0, exec_lo
	v_cmpx_lt_u32_e32 3, v34
; %bb.86:
	s_delay_alu instid0(VALU_DEP_3) | instskip(SKIP_2) | instid1(VALU_DEP_2)
	v_add_co_u32 v11, vcc_lo, v19, v9
	s_wait_alu 0xfffd
	v_add_co_ci_u32_e64 v10, null, 0, v20, vcc_lo
	v_add_co_u32 v9, vcc_lo, 0, v11
	s_wait_alu 0xfffd
	s_delay_alu instid0(VALU_DEP_2) | instskip(NEXT) | instid1(VALU_DEP_1)
	v_add_co_ci_u32_e64 v10, null, v12, v10, vcc_lo
	v_dual_mov_b32 v20, v10 :: v_dual_mov_b32 v19, v9
; %bb.87:
	s_wait_alu 0xfffe
	s_or_b32 exec_lo, exec_lo, s0
	v_mov_b32_dpp v12, v11 row_shr:8 row_mask:0xf bank_mask:0xf
	v_mov_b32_dpp v9, v10 row_shr:8 row_mask:0xf bank_mask:0xf
	s_mov_b32 s0, exec_lo
	v_cmpx_lt_u32_e32 7, v34
; %bb.88:
	s_delay_alu instid0(VALU_DEP_3) | instskip(SKIP_2) | instid1(VALU_DEP_2)
	v_add_co_u32 v11, vcc_lo, v19, v12
	s_wait_alu 0xfffd
	v_add_co_ci_u32_e64 v10, null, 0, v20, vcc_lo
	v_add_co_u32 v19, vcc_lo, 0, v11
	s_wait_alu 0xfffd
	s_delay_alu instid0(VALU_DEP_2) | instskip(NEXT) | instid1(VALU_DEP_1)
	v_add_co_ci_u32_e64 v20, null, v9, v10, vcc_lo
	v_mov_b32_e32 v10, v20
; %bb.89:
	s_wait_alu 0xfffe
	s_or_b32 exec_lo, exec_lo, s0
	ds_swizzle_b32 v11, v11 offset:swizzle(BROADCAST,32,15)
	ds_swizzle_b32 v9, v10 offset:swizzle(BROADCAST,32,15)
	v_and_b32_e32 v10, 16, v33
	s_mov_b32 s0, exec_lo
	s_delay_alu instid0(VALU_DEP_1)
	v_cmpx_ne_u32_e32 0, v10
	s_cbranch_execz .LBB370_91
; %bb.90:
	s_wait_dscnt 0x1
	v_add_co_u32 v10, vcc_lo, v19, v11
	s_wait_alu 0xfffd
	v_add_co_ci_u32_e64 v11, null, 0, v20, vcc_lo
	s_delay_alu instid0(VALU_DEP_2) | instskip(SKIP_2) | instid1(VALU_DEP_2)
	v_add_co_u32 v19, vcc_lo, v10, 0
	s_wait_dscnt 0x0
	s_wait_alu 0xfffd
	v_add_co_ci_u32_e64 v20, null, v11, v9, vcc_lo
.LBB370_91:
	s_wait_alu 0xfffe
	s_or_b32 exec_lo, exec_lo, s0
	s_wait_dscnt 0x0
	v_or_b32_e32 v9, 31, v0
	v_lshrrev_b32_e32 v11, 5, v0
	s_mov_b32 s0, exec_lo
	s_delay_alu instid0(VALU_DEP_2)
	v_cmpx_eq_u32_e64 v0, v9
; %bb.92:
	s_delay_alu instid0(VALU_DEP_2)
	v_lshlrev_b32_e32 v9, 3, v11
	ds_store_b64 v9, v[19:20]
; %bb.93:
	s_wait_alu 0xfffe
	s_or_b32 exec_lo, exec_lo, s0
	s_delay_alu instid0(SALU_CYCLE_1)
	s_mov_b32 s0, exec_lo
	s_wait_loadcnt_dscnt 0x0
	s_barrier_signal -1
	s_barrier_wait -1
	global_inv scope:SCOPE_SE
	v_cmpx_gt_u32_e32 8, v0
	s_cbranch_execz .LBB370_101
; %bb.94:
	v_lshlrev_b32_e32 v12, 3, v0
	s_mov_b32 s1, exec_lo
	ds_load_b64 v[9:10], v12
	s_wait_dscnt 0x0
	v_dual_mov_b32 v14, v9 :: v_dual_and_b32 v13, 7, v33
	v_mov_b32_dpp v16, v9 row_shr:1 row_mask:0xf bank_mask:0xf
	v_mov_b32_dpp v15, v10 row_shr:1 row_mask:0xf bank_mask:0xf
	s_delay_alu instid0(VALU_DEP_3)
	v_cmpx_ne_u32_e32 0, v13
; %bb.95:
	s_delay_alu instid0(VALU_DEP_3) | instskip(SKIP_2) | instid1(VALU_DEP_2)
	v_add_co_u32 v14, vcc_lo, v9, v16
	s_wait_alu 0xfffd
	v_add_co_ci_u32_e64 v10, null, 0, v10, vcc_lo
	v_add_co_u32 v9, vcc_lo, 0, v14
	s_wait_alu 0xfffd
	s_delay_alu instid0(VALU_DEP_2)
	v_add_co_ci_u32_e64 v10, null, v15, v10, vcc_lo
; %bb.96:
	s_wait_alu 0xfffe
	s_or_b32 exec_lo, exec_lo, s1
	v_mov_b32_dpp v16, v14 row_shr:2 row_mask:0xf bank_mask:0xf
	s_delay_alu instid0(VALU_DEP_2)
	v_mov_b32_dpp v15, v10 row_shr:2 row_mask:0xf bank_mask:0xf
	s_mov_b32 s1, exec_lo
	v_cmpx_lt_u32_e32 1, v13
; %bb.97:
	s_delay_alu instid0(VALU_DEP_3) | instskip(SKIP_2) | instid1(VALU_DEP_2)
	v_add_co_u32 v14, vcc_lo, v9, v16
	s_wait_alu 0xfffd
	v_add_co_ci_u32_e64 v10, null, 0, v10, vcc_lo
	v_add_co_u32 v9, vcc_lo, 0, v14
	s_wait_alu 0xfffd
	s_delay_alu instid0(VALU_DEP_2)
	v_add_co_ci_u32_e64 v10, null, v15, v10, vcc_lo
; %bb.98:
	s_wait_alu 0xfffe
	s_or_b32 exec_lo, exec_lo, s1
	v_mov_b32_dpp v15, v14 row_shr:4 row_mask:0xf bank_mask:0xf
	s_delay_alu instid0(VALU_DEP_2)
	v_mov_b32_dpp v14, v10 row_shr:4 row_mask:0xf bank_mask:0xf
	s_mov_b32 s1, exec_lo
	v_cmpx_lt_u32_e32 3, v13
; %bb.99:
	s_delay_alu instid0(VALU_DEP_3) | instskip(SKIP_2) | instid1(VALU_DEP_2)
	v_add_co_u32 v9, vcc_lo, v9, v15
	s_wait_alu 0xfffd
	v_add_co_ci_u32_e64 v10, null, 0, v10, vcc_lo
	v_add_co_u32 v9, vcc_lo, v9, 0
	s_wait_alu 0xfffd
	s_delay_alu instid0(VALU_DEP_2)
	v_add_co_ci_u32_e64 v10, null, v10, v14, vcc_lo
; %bb.100:
	s_wait_alu 0xfffe
	s_or_b32 exec_lo, exec_lo, s1
	ds_store_b64 v12, v[9:10]
.LBB370_101:
	s_wait_alu 0xfffe
	s_or_b32 exec_lo, exec_lo, s0
	v_mov_b32_e32 v13, 0
	v_mov_b32_e32 v14, 0
	s_mov_b32 s0, exec_lo
	s_wait_loadcnt_dscnt 0x0
	s_barrier_signal -1
	s_barrier_wait -1
	global_inv scope:SCOPE_SE
	v_cmpx_lt_u32_e32 31, v0
; %bb.102:
	v_lshl_add_u32 v9, v11, 3, -8
	ds_load_b64 v[13:14], v9
; %bb.103:
	s_wait_alu 0xfffe
	s_or_b32 exec_lo, exec_lo, s0
	v_sub_co_u32 v9, vcc_lo, v33, 1
	v_mov_b32_e32 v12, 0
	s_delay_alu instid0(VALU_DEP_2) | instskip(SKIP_1) | instid1(VALU_DEP_1)
	v_cmp_gt_i32_e64 s0, 0, v9
	s_wait_alu 0xf1ff
	v_cndmask_b32_e64 v9, v9, v33, s0
	s_wait_dscnt 0x0
	v_add_co_u32 v10, s0, v13, v19
	s_wait_alu 0xf1ff
	v_add_co_ci_u32_e64 v11, null, v14, v20, s0
	v_lshlrev_b32_e32 v9, 2, v9
	ds_bpermute_b32 v15, v9, v10
	ds_bpermute_b32 v16, v9, v11
	ds_load_b64 v[9:10], v12 offset:56
	s_and_saveexec_b32 s0, s2
	s_cbranch_execz .LBB370_105
; %bb.104:
	s_add_nc_u64 s[4:5], s[14:15], 0x200
	s_wait_alu 0xfffe
	v_dual_mov_b32 v11, 2 :: v_dual_mov_b32 v20, s5
	v_mov_b32_e32 v19, s4
	s_wait_dscnt 0x0
	;;#ASMSTART
	global_store_b128 v[19:20], v[9:12] off scope:SCOPE_DEV	
s_wait_storecnt 0x0
	;;#ASMEND
.LBB370_105:
	s_wait_alu 0xfffe
	s_or_b32 exec_lo, exec_lo, s0
	s_wait_dscnt 0x1
	s_wait_alu 0xfffd
	v_dual_cndmask_b32 v11, v15, v13 :: v_dual_cndmask_b32 v12, v16, v14
	s_wait_loadcnt_dscnt 0x0
	s_barrier_signal -1
	s_barrier_wait -1
	s_delay_alu instid0(VALU_DEP_1)
	v_cndmask_b32_e64 v23, v11, 0, s2
	v_cndmask_b32_e64 v24, v12, 0, s2
	v_mov_b32_e32 v11, 0
	v_mov_b32_e32 v12, 0
	global_inv scope:SCOPE_SE
	v_add_co_u32 v21, vcc_lo, v23, v32
	s_wait_alu 0xfffd
	v_add_co_ci_u32_e64 v22, null, 0, v24, vcc_lo
	s_delay_alu instid0(VALU_DEP_2) | instskip(SKIP_1) | instid1(VALU_DEP_2)
	v_add_co_u32 v13, vcc_lo, v21, v31
	s_wait_alu 0xfffd
	v_add_co_ci_u32_e64 v14, null, 0, v22, vcc_lo
	s_delay_alu instid0(VALU_DEP_2) | instskip(SKIP_1) | instid1(VALU_DEP_2)
	v_add_co_u32 v15, vcc_lo, v13, v30
	s_wait_alu 0xfffd
	v_add_co_ci_u32_e64 v16, null, 0, v14, vcc_lo
.LBB370_106:
	v_and_b32_e32 v25, 1, v29
	s_wait_dscnt 0x0
	v_cmp_gt_u64_e32 vcc_lo, 0x101, v[9:10]
	s_mov_b32 s1, -1
	s_delay_alu instid0(VALU_DEP_2)
	v_cmp_eq_u32_e64 s0, 1, v25
	s_cbranch_vccnz .LBB370_110
; %bb.107:
	s_wait_alu 0xfffe
	s_and_b32 vcc_lo, exec_lo, s1
	s_wait_alu 0xfffe
	s_cbranch_vccnz .LBB370_119
.LBB370_108:
	s_and_b32 s0, s2, s6
	s_wait_alu 0xfffe
	s_and_saveexec_b32 s1, s0
	s_cbranch_execnz .LBB370_131
.LBB370_109:
	s_endpgm
.LBB370_110:
	v_add_co_u32 v19, vcc_lo, v11, v9
	s_wait_alu 0xfffd
	v_add_co_ci_u32_e64 v20, null, v12, v10, vcc_lo
	v_lshlrev_b64_e32 v[29:30], 3, v[17:18]
	s_delay_alu instid0(VALU_DEP_2) | instskip(NEXT) | instid1(VALU_DEP_2)
	v_cmp_lt_u64_e32 vcc_lo, v[23:24], v[19:20]
	v_add_co_u32 v26, s1, s12, v29
	s_wait_alu 0xf1fe
	s_delay_alu instid0(VALU_DEP_3)
	v_add_co_ci_u32_e64 v29, null, s13, v30, s1
	s_or_b32 s1, s7, vcc_lo
	s_wait_alu 0xfffe
	s_and_b32 s1, s1, s0
	s_wait_alu 0xfffe
	s_and_saveexec_b32 s0, s1
	s_cbranch_execz .LBB370_112
; %bb.111:
	v_lshlrev_b64_e32 v[30:31], 3, v[23:24]
	s_delay_alu instid0(VALU_DEP_1) | instskip(SKIP_1) | instid1(VALU_DEP_2)
	v_add_co_u32 v30, vcc_lo, v26, v30
	s_wait_alu 0xfffd
	v_add_co_ci_u32_e64 v31, null, v29, v31, vcc_lo
	global_store_b64 v[30:31], v[1:2], off
.LBB370_112:
	s_wait_alu 0xfffe
	s_or_b32 exec_lo, exec_lo, s0
	v_and_b32_e32 v24, 1, v28
	v_cmp_lt_u64_e32 vcc_lo, v[21:22], v[19:20]
	s_delay_alu instid0(VALU_DEP_2)
	v_cmp_eq_u32_e64 s0, 1, v24
	s_or_b32 s1, s7, vcc_lo
	s_wait_alu 0xfffe
	s_and_b32 s1, s1, s0
	s_wait_alu 0xfffe
	s_and_saveexec_b32 s0, s1
	s_cbranch_execz .LBB370_114
; %bb.113:
	v_lshlrev_b64_e32 v[30:31], 3, v[21:22]
	s_delay_alu instid0(VALU_DEP_1) | instskip(SKIP_1) | instid1(VALU_DEP_2)
	v_add_co_u32 v30, vcc_lo, v26, v30
	s_wait_alu 0xfffd
	v_add_co_ci_u32_e64 v31, null, v29, v31, vcc_lo
	global_store_b64 v[30:31], v[5:6], off
.LBB370_114:
	s_wait_alu 0xfffe
	s_or_b32 exec_lo, exec_lo, s0
	v_and_b32_e32 v22, 1, v27
	v_cmp_lt_u64_e32 vcc_lo, v[13:14], v[19:20]
	s_delay_alu instid0(VALU_DEP_2)
	v_cmp_eq_u32_e64 s0, 1, v22
	s_or_b32 s1, s7, vcc_lo
	s_wait_alu 0xfffe
	s_and_b32 s1, s1, s0
	s_wait_alu 0xfffe
	s_and_saveexec_b32 s0, s1
	s_cbranch_execz .LBB370_116
; %bb.115:
	v_lshlrev_b64_e32 v[30:31], 3, v[13:14]
	s_delay_alu instid0(VALU_DEP_1) | instskip(SKIP_1) | instid1(VALU_DEP_2)
	v_add_co_u32 v30, vcc_lo, v26, v30
	s_wait_alu 0xfffd
	v_add_co_ci_u32_e64 v31, null, v29, v31, vcc_lo
	global_store_b64 v[30:31], v[7:8], off
.LBB370_116:
	s_wait_alu 0xfffe
	s_or_b32 exec_lo, exec_lo, s0
	v_cmp_lt_u64_e32 vcc_lo, v[15:16], v[19:20]
	s_or_b32 s0, s7, vcc_lo
	s_wait_alu 0xfffe
	s_and_b32 s1, s0, s10
	s_wait_alu 0xfffe
	s_and_saveexec_b32 s0, s1
	s_cbranch_execz .LBB370_118
; %bb.117:
	v_lshlrev_b64_e32 v[19:20], 3, v[15:16]
	s_delay_alu instid0(VALU_DEP_1) | instskip(SKIP_1) | instid1(VALU_DEP_2)
	v_add_co_u32 v19, vcc_lo, v26, v19
	s_wait_alu 0xfffd
	v_add_co_ci_u32_e64 v20, null, v29, v20, vcc_lo
	global_store_b64 v[19:20], v[3:4], off
.LBB370_118:
	s_wait_alu 0xfffe
	s_or_b32 exec_lo, exec_lo, s0
	s_branch .LBB370_108
.LBB370_119:
	s_mov_b32 s0, exec_lo
	v_cmpx_eq_u32_e32 1, v25
; %bb.120:
	v_sub_nc_u32_e32 v14, v23, v11
	s_delay_alu instid0(VALU_DEP_1)
	v_lshlrev_b32_e32 v14, 3, v14
	ds_store_b64 v14, v[1:2]
; %bb.121:
	s_wait_alu 0xfffe
	s_or_b32 exec_lo, exec_lo, s0
	v_and_b32_e32 v1, 1, v28
	s_mov_b32 s0, exec_lo
	s_delay_alu instid0(VALU_DEP_1)
	v_cmpx_eq_u32_e32 1, v1
; %bb.122:
	v_sub_nc_u32_e32 v1, v21, v11
	s_delay_alu instid0(VALU_DEP_1)
	v_lshlrev_b32_e32 v1, 3, v1
	ds_store_b64 v1, v[5:6]
; %bb.123:
	s_wait_alu 0xfffe
	s_or_b32 exec_lo, exec_lo, s0
	v_and_b32_e32 v1, 1, v27
	s_mov_b32 s0, exec_lo
	s_delay_alu instid0(VALU_DEP_1)
	v_cmpx_eq_u32_e32 1, v1
; %bb.124:
	v_sub_nc_u32_e32 v1, v13, v11
	s_delay_alu instid0(VALU_DEP_1)
	v_lshlrev_b32_e32 v1, 3, v1
	ds_store_b64 v1, v[7:8]
; %bb.125:
	s_wait_alu 0xfffe
	s_or_b32 exec_lo, exec_lo, s0
	s_and_saveexec_b32 s0, s10
; %bb.126:
	v_sub_nc_u32_e32 v1, v15, v11
	s_delay_alu instid0(VALU_DEP_1)
	v_lshlrev_b32_e32 v1, 3, v1
	ds_store_b64 v1, v[3:4]
; %bb.127:
	s_wait_alu 0xfffe
	s_or_b32 exec_lo, exec_lo, s0
	v_mov_b32_e32 v1, 0
	s_mov_b32 s1, exec_lo
	s_wait_storecnt 0x0
	s_wait_loadcnt_dscnt 0x0
	s_barrier_signal -1
	s_barrier_wait -1
	global_inv scope:SCOPE_SE
	v_cmpx_gt_u64_e64 v[9:10], v[0:1]
	s_cbranch_execz .LBB370_130
; %bb.128:
	v_lshlrev_b64_e32 v[2:3], 3, v[17:18]
	v_lshlrev_b64_e32 v[4:5], 3, v[11:12]
	s_mov_b32 s3, 0
	s_delay_alu instid0(VALU_DEP_2) | instskip(SKIP_1) | instid1(VALU_DEP_3)
	v_add_co_u32 v6, vcc_lo, s12, v2
	s_wait_alu 0xfffd
	v_add_co_ci_u32_e64 v7, null, s13, v3, vcc_lo
	v_dual_mov_b32 v3, v1 :: v_dual_mov_b32 v2, v0
	s_delay_alu instid0(VALU_DEP_3) | instskip(SKIP_1) | instid1(VALU_DEP_3)
	v_add_co_u32 v4, vcc_lo, v6, v4
	s_wait_alu 0xfffd
	v_add_co_ci_u32_e64 v5, null, v7, v5, vcc_lo
	v_or_b32_e32 v0, 0x100, v0
.LBB370_129:                            ; =>This Inner Loop Header: Depth=1
	v_lshlrev_b32_e32 v6, 3, v2
	v_lshlrev_b64_e32 v[13:14], 3, v[2:3]
	v_mov_b32_e32 v3, v1
	s_delay_alu instid0(VALU_DEP_4)
	v_cmp_le_u64_e32 vcc_lo, v[9:10], v[0:1]
	v_mov_b32_e32 v2, v0
	ds_load_b64 v[6:7], v6
	v_add_nc_u32_e32 v0, 0x100, v0
	v_add_co_u32 v13, s0, v4, v13
	s_wait_alu 0xf1ff
	v_add_co_ci_u32_e64 v14, null, v5, v14, s0
	s_wait_alu 0xfffe
	s_or_b32 s3, vcc_lo, s3
	s_wait_dscnt 0x0
	global_store_b64 v[13:14], v[6:7], off
	s_wait_alu 0xfffe
	s_and_not1_b32 exec_lo, exec_lo, s3
	s_cbranch_execnz .LBB370_129
.LBB370_130:
	s_wait_alu 0xfffe
	s_or_b32 exec_lo, exec_lo, s1
	s_and_b32 s0, s2, s6
	s_wait_alu 0xfffe
	s_and_saveexec_b32 s1, s0
	s_cbranch_execz .LBB370_109
.LBB370_131:
	v_add_co_u32 v0, vcc_lo, v11, v9
	s_wait_alu 0xfffd
	v_add_co_ci_u32_e64 v1, null, v12, v10, vcc_lo
	v_mov_b32_e32 v2, 0
	s_delay_alu instid0(VALU_DEP_3) | instskip(SKIP_1) | instid1(VALU_DEP_3)
	v_add_co_u32 v0, vcc_lo, v0, v17
	s_wait_alu 0xfffd
	v_add_co_ci_u32_e64 v1, null, v1, v18, vcc_lo
	global_store_b64 v2, v[0:1], s[8:9]
	s_endpgm
.LBB370_132:
	v_lshlrev_b32_e32 v3, 3, v0
	s_delay_alu instid0(VALU_DEP_1) | instskip(SKIP_4) | instid1(SALU_CYCLE_1)
	v_add_co_u32 v3, vcc_lo, v12, v3
	s_wait_alu 0xfffd
	v_add_co_ci_u32_e64 v4, null, 0, v13, vcc_lo
	flat_load_b64 v[3:4], v[3:4] offset:2048
	s_or_b32 exec_lo, exec_lo, s0
	s_mov_b32 s0, exec_lo
	v_cmpx_gt_u32_e64 s18, v11
	s_cbranch_execz .LBB370_11
.LBB370_133:
	v_lshlrev_b32_e32 v5, 3, v0
	s_delay_alu instid0(VALU_DEP_1) | instskip(SKIP_4) | instid1(SALU_CYCLE_1)
	v_add_co_u32 v5, vcc_lo, v12, v5
	s_wait_alu 0xfffd
	v_add_co_ci_u32_e64 v6, null, 0, v13, vcc_lo
	flat_load_b64 v[5:6], v[5:6] offset:4096
	s_or_b32 exec_lo, exec_lo, s0
	s_mov_b32 s0, exec_lo
	v_cmpx_gt_u32_e64 s18, v10
	s_cbranch_execnz .LBB370_12
	s_branch .LBB370_13
	.section	.rodata,"a",@progbits
	.p2align	6, 0x0
	.amdhsa_kernel _ZN7rocprim17ROCPRIM_400000_NS6detail17trampoline_kernelINS0_14default_configENS1_25partition_config_selectorILNS1_17partition_subalgoE6EyNS0_10empty_typeEbEEZZNS1_14partition_implILS5_6ELb0ES3_mN6thrust23THRUST_200600_302600_NS6detail15normal_iteratorINSA_10device_ptrIyEEEEPS6_SG_NS0_5tupleIJSF_S6_EEENSH_IJSG_SG_EEES6_PlJNSB_9not_fun_tINSB_14equal_to_valueIyEEEEEEE10hipError_tPvRmT3_T4_T5_T6_T7_T9_mT8_P12ihipStream_tbDpT10_ENKUlT_T0_E_clISt17integral_constantIbLb0EES17_IbLb1EEEEDaS13_S14_EUlS13_E_NS1_11comp_targetILNS1_3genE10ELNS1_11target_archE1200ELNS1_3gpuE4ELNS1_3repE0EEENS1_30default_config_static_selectorELNS0_4arch9wavefront6targetE0EEEvT1_
		.amdhsa_group_segment_fixed_size 8464
		.amdhsa_private_segment_fixed_size 0
		.amdhsa_kernarg_size 128
		.amdhsa_user_sgpr_count 2
		.amdhsa_user_sgpr_dispatch_ptr 0
		.amdhsa_user_sgpr_queue_ptr 0
		.amdhsa_user_sgpr_kernarg_segment_ptr 1
		.amdhsa_user_sgpr_dispatch_id 0
		.amdhsa_user_sgpr_private_segment_size 0
		.amdhsa_wavefront_size32 1
		.amdhsa_uses_dynamic_stack 0
		.amdhsa_enable_private_segment 0
		.amdhsa_system_sgpr_workgroup_id_x 1
		.amdhsa_system_sgpr_workgroup_id_y 0
		.amdhsa_system_sgpr_workgroup_id_z 0
		.amdhsa_system_sgpr_workgroup_info 0
		.amdhsa_system_vgpr_workitem_id 0
		.amdhsa_next_free_vgpr 48
		.amdhsa_next_free_sgpr 24
		.amdhsa_reserve_vcc 1
		.amdhsa_float_round_mode_32 0
		.amdhsa_float_round_mode_16_64 0
		.amdhsa_float_denorm_mode_32 3
		.amdhsa_float_denorm_mode_16_64 3
		.amdhsa_fp16_overflow 0
		.amdhsa_workgroup_processor_mode 1
		.amdhsa_memory_ordered 1
		.amdhsa_forward_progress 1
		.amdhsa_inst_pref_size 52
		.amdhsa_round_robin_scheduling 0
		.amdhsa_exception_fp_ieee_invalid_op 0
		.amdhsa_exception_fp_denorm_src 0
		.amdhsa_exception_fp_ieee_div_zero 0
		.amdhsa_exception_fp_ieee_overflow 0
		.amdhsa_exception_fp_ieee_underflow 0
		.amdhsa_exception_fp_ieee_inexact 0
		.amdhsa_exception_int_div_zero 0
	.end_amdhsa_kernel
	.section	.text._ZN7rocprim17ROCPRIM_400000_NS6detail17trampoline_kernelINS0_14default_configENS1_25partition_config_selectorILNS1_17partition_subalgoE6EyNS0_10empty_typeEbEEZZNS1_14partition_implILS5_6ELb0ES3_mN6thrust23THRUST_200600_302600_NS6detail15normal_iteratorINSA_10device_ptrIyEEEEPS6_SG_NS0_5tupleIJSF_S6_EEENSH_IJSG_SG_EEES6_PlJNSB_9not_fun_tINSB_14equal_to_valueIyEEEEEEE10hipError_tPvRmT3_T4_T5_T6_T7_T9_mT8_P12ihipStream_tbDpT10_ENKUlT_T0_E_clISt17integral_constantIbLb0EES17_IbLb1EEEEDaS13_S14_EUlS13_E_NS1_11comp_targetILNS1_3genE10ELNS1_11target_archE1200ELNS1_3gpuE4ELNS1_3repE0EEENS1_30default_config_static_selectorELNS0_4arch9wavefront6targetE0EEEvT1_,"axG",@progbits,_ZN7rocprim17ROCPRIM_400000_NS6detail17trampoline_kernelINS0_14default_configENS1_25partition_config_selectorILNS1_17partition_subalgoE6EyNS0_10empty_typeEbEEZZNS1_14partition_implILS5_6ELb0ES3_mN6thrust23THRUST_200600_302600_NS6detail15normal_iteratorINSA_10device_ptrIyEEEEPS6_SG_NS0_5tupleIJSF_S6_EEENSH_IJSG_SG_EEES6_PlJNSB_9not_fun_tINSB_14equal_to_valueIyEEEEEEE10hipError_tPvRmT3_T4_T5_T6_T7_T9_mT8_P12ihipStream_tbDpT10_ENKUlT_T0_E_clISt17integral_constantIbLb0EES17_IbLb1EEEEDaS13_S14_EUlS13_E_NS1_11comp_targetILNS1_3genE10ELNS1_11target_archE1200ELNS1_3gpuE4ELNS1_3repE0EEENS1_30default_config_static_selectorELNS0_4arch9wavefront6targetE0EEEvT1_,comdat
.Lfunc_end370:
	.size	_ZN7rocprim17ROCPRIM_400000_NS6detail17trampoline_kernelINS0_14default_configENS1_25partition_config_selectorILNS1_17partition_subalgoE6EyNS0_10empty_typeEbEEZZNS1_14partition_implILS5_6ELb0ES3_mN6thrust23THRUST_200600_302600_NS6detail15normal_iteratorINSA_10device_ptrIyEEEEPS6_SG_NS0_5tupleIJSF_S6_EEENSH_IJSG_SG_EEES6_PlJNSB_9not_fun_tINSB_14equal_to_valueIyEEEEEEE10hipError_tPvRmT3_T4_T5_T6_T7_T9_mT8_P12ihipStream_tbDpT10_ENKUlT_T0_E_clISt17integral_constantIbLb0EES17_IbLb1EEEEDaS13_S14_EUlS13_E_NS1_11comp_targetILNS1_3genE10ELNS1_11target_archE1200ELNS1_3gpuE4ELNS1_3repE0EEENS1_30default_config_static_selectorELNS0_4arch9wavefront6targetE0EEEvT1_, .Lfunc_end370-_ZN7rocprim17ROCPRIM_400000_NS6detail17trampoline_kernelINS0_14default_configENS1_25partition_config_selectorILNS1_17partition_subalgoE6EyNS0_10empty_typeEbEEZZNS1_14partition_implILS5_6ELb0ES3_mN6thrust23THRUST_200600_302600_NS6detail15normal_iteratorINSA_10device_ptrIyEEEEPS6_SG_NS0_5tupleIJSF_S6_EEENSH_IJSG_SG_EEES6_PlJNSB_9not_fun_tINSB_14equal_to_valueIyEEEEEEE10hipError_tPvRmT3_T4_T5_T6_T7_T9_mT8_P12ihipStream_tbDpT10_ENKUlT_T0_E_clISt17integral_constantIbLb0EES17_IbLb1EEEEDaS13_S14_EUlS13_E_NS1_11comp_targetILNS1_3genE10ELNS1_11target_archE1200ELNS1_3gpuE4ELNS1_3repE0EEENS1_30default_config_static_selectorELNS0_4arch9wavefront6targetE0EEEvT1_
                                        ; -- End function
	.set _ZN7rocprim17ROCPRIM_400000_NS6detail17trampoline_kernelINS0_14default_configENS1_25partition_config_selectorILNS1_17partition_subalgoE6EyNS0_10empty_typeEbEEZZNS1_14partition_implILS5_6ELb0ES3_mN6thrust23THRUST_200600_302600_NS6detail15normal_iteratorINSA_10device_ptrIyEEEEPS6_SG_NS0_5tupleIJSF_S6_EEENSH_IJSG_SG_EEES6_PlJNSB_9not_fun_tINSB_14equal_to_valueIyEEEEEEE10hipError_tPvRmT3_T4_T5_T6_T7_T9_mT8_P12ihipStream_tbDpT10_ENKUlT_T0_E_clISt17integral_constantIbLb0EES17_IbLb1EEEEDaS13_S14_EUlS13_E_NS1_11comp_targetILNS1_3genE10ELNS1_11target_archE1200ELNS1_3gpuE4ELNS1_3repE0EEENS1_30default_config_static_selectorELNS0_4arch9wavefront6targetE0EEEvT1_.num_vgpr, 48
	.set _ZN7rocprim17ROCPRIM_400000_NS6detail17trampoline_kernelINS0_14default_configENS1_25partition_config_selectorILNS1_17partition_subalgoE6EyNS0_10empty_typeEbEEZZNS1_14partition_implILS5_6ELb0ES3_mN6thrust23THRUST_200600_302600_NS6detail15normal_iteratorINSA_10device_ptrIyEEEEPS6_SG_NS0_5tupleIJSF_S6_EEENSH_IJSG_SG_EEES6_PlJNSB_9not_fun_tINSB_14equal_to_valueIyEEEEEEE10hipError_tPvRmT3_T4_T5_T6_T7_T9_mT8_P12ihipStream_tbDpT10_ENKUlT_T0_E_clISt17integral_constantIbLb0EES17_IbLb1EEEEDaS13_S14_EUlS13_E_NS1_11comp_targetILNS1_3genE10ELNS1_11target_archE1200ELNS1_3gpuE4ELNS1_3repE0EEENS1_30default_config_static_selectorELNS0_4arch9wavefront6targetE0EEEvT1_.num_agpr, 0
	.set _ZN7rocprim17ROCPRIM_400000_NS6detail17trampoline_kernelINS0_14default_configENS1_25partition_config_selectorILNS1_17partition_subalgoE6EyNS0_10empty_typeEbEEZZNS1_14partition_implILS5_6ELb0ES3_mN6thrust23THRUST_200600_302600_NS6detail15normal_iteratorINSA_10device_ptrIyEEEEPS6_SG_NS0_5tupleIJSF_S6_EEENSH_IJSG_SG_EEES6_PlJNSB_9not_fun_tINSB_14equal_to_valueIyEEEEEEE10hipError_tPvRmT3_T4_T5_T6_T7_T9_mT8_P12ihipStream_tbDpT10_ENKUlT_T0_E_clISt17integral_constantIbLb0EES17_IbLb1EEEEDaS13_S14_EUlS13_E_NS1_11comp_targetILNS1_3genE10ELNS1_11target_archE1200ELNS1_3gpuE4ELNS1_3repE0EEENS1_30default_config_static_selectorELNS0_4arch9wavefront6targetE0EEEvT1_.numbered_sgpr, 24
	.set _ZN7rocprim17ROCPRIM_400000_NS6detail17trampoline_kernelINS0_14default_configENS1_25partition_config_selectorILNS1_17partition_subalgoE6EyNS0_10empty_typeEbEEZZNS1_14partition_implILS5_6ELb0ES3_mN6thrust23THRUST_200600_302600_NS6detail15normal_iteratorINSA_10device_ptrIyEEEEPS6_SG_NS0_5tupleIJSF_S6_EEENSH_IJSG_SG_EEES6_PlJNSB_9not_fun_tINSB_14equal_to_valueIyEEEEEEE10hipError_tPvRmT3_T4_T5_T6_T7_T9_mT8_P12ihipStream_tbDpT10_ENKUlT_T0_E_clISt17integral_constantIbLb0EES17_IbLb1EEEEDaS13_S14_EUlS13_E_NS1_11comp_targetILNS1_3genE10ELNS1_11target_archE1200ELNS1_3gpuE4ELNS1_3repE0EEENS1_30default_config_static_selectorELNS0_4arch9wavefront6targetE0EEEvT1_.num_named_barrier, 0
	.set _ZN7rocprim17ROCPRIM_400000_NS6detail17trampoline_kernelINS0_14default_configENS1_25partition_config_selectorILNS1_17partition_subalgoE6EyNS0_10empty_typeEbEEZZNS1_14partition_implILS5_6ELb0ES3_mN6thrust23THRUST_200600_302600_NS6detail15normal_iteratorINSA_10device_ptrIyEEEEPS6_SG_NS0_5tupleIJSF_S6_EEENSH_IJSG_SG_EEES6_PlJNSB_9not_fun_tINSB_14equal_to_valueIyEEEEEEE10hipError_tPvRmT3_T4_T5_T6_T7_T9_mT8_P12ihipStream_tbDpT10_ENKUlT_T0_E_clISt17integral_constantIbLb0EES17_IbLb1EEEEDaS13_S14_EUlS13_E_NS1_11comp_targetILNS1_3genE10ELNS1_11target_archE1200ELNS1_3gpuE4ELNS1_3repE0EEENS1_30default_config_static_selectorELNS0_4arch9wavefront6targetE0EEEvT1_.private_seg_size, 0
	.set _ZN7rocprim17ROCPRIM_400000_NS6detail17trampoline_kernelINS0_14default_configENS1_25partition_config_selectorILNS1_17partition_subalgoE6EyNS0_10empty_typeEbEEZZNS1_14partition_implILS5_6ELb0ES3_mN6thrust23THRUST_200600_302600_NS6detail15normal_iteratorINSA_10device_ptrIyEEEEPS6_SG_NS0_5tupleIJSF_S6_EEENSH_IJSG_SG_EEES6_PlJNSB_9not_fun_tINSB_14equal_to_valueIyEEEEEEE10hipError_tPvRmT3_T4_T5_T6_T7_T9_mT8_P12ihipStream_tbDpT10_ENKUlT_T0_E_clISt17integral_constantIbLb0EES17_IbLb1EEEEDaS13_S14_EUlS13_E_NS1_11comp_targetILNS1_3genE10ELNS1_11target_archE1200ELNS1_3gpuE4ELNS1_3repE0EEENS1_30default_config_static_selectorELNS0_4arch9wavefront6targetE0EEEvT1_.uses_vcc, 1
	.set _ZN7rocprim17ROCPRIM_400000_NS6detail17trampoline_kernelINS0_14default_configENS1_25partition_config_selectorILNS1_17partition_subalgoE6EyNS0_10empty_typeEbEEZZNS1_14partition_implILS5_6ELb0ES3_mN6thrust23THRUST_200600_302600_NS6detail15normal_iteratorINSA_10device_ptrIyEEEEPS6_SG_NS0_5tupleIJSF_S6_EEENSH_IJSG_SG_EEES6_PlJNSB_9not_fun_tINSB_14equal_to_valueIyEEEEEEE10hipError_tPvRmT3_T4_T5_T6_T7_T9_mT8_P12ihipStream_tbDpT10_ENKUlT_T0_E_clISt17integral_constantIbLb0EES17_IbLb1EEEEDaS13_S14_EUlS13_E_NS1_11comp_targetILNS1_3genE10ELNS1_11target_archE1200ELNS1_3gpuE4ELNS1_3repE0EEENS1_30default_config_static_selectorELNS0_4arch9wavefront6targetE0EEEvT1_.uses_flat_scratch, 1
	.set _ZN7rocprim17ROCPRIM_400000_NS6detail17trampoline_kernelINS0_14default_configENS1_25partition_config_selectorILNS1_17partition_subalgoE6EyNS0_10empty_typeEbEEZZNS1_14partition_implILS5_6ELb0ES3_mN6thrust23THRUST_200600_302600_NS6detail15normal_iteratorINSA_10device_ptrIyEEEEPS6_SG_NS0_5tupleIJSF_S6_EEENSH_IJSG_SG_EEES6_PlJNSB_9not_fun_tINSB_14equal_to_valueIyEEEEEEE10hipError_tPvRmT3_T4_T5_T6_T7_T9_mT8_P12ihipStream_tbDpT10_ENKUlT_T0_E_clISt17integral_constantIbLb0EES17_IbLb1EEEEDaS13_S14_EUlS13_E_NS1_11comp_targetILNS1_3genE10ELNS1_11target_archE1200ELNS1_3gpuE4ELNS1_3repE0EEENS1_30default_config_static_selectorELNS0_4arch9wavefront6targetE0EEEvT1_.has_dyn_sized_stack, 0
	.set _ZN7rocprim17ROCPRIM_400000_NS6detail17trampoline_kernelINS0_14default_configENS1_25partition_config_selectorILNS1_17partition_subalgoE6EyNS0_10empty_typeEbEEZZNS1_14partition_implILS5_6ELb0ES3_mN6thrust23THRUST_200600_302600_NS6detail15normal_iteratorINSA_10device_ptrIyEEEEPS6_SG_NS0_5tupleIJSF_S6_EEENSH_IJSG_SG_EEES6_PlJNSB_9not_fun_tINSB_14equal_to_valueIyEEEEEEE10hipError_tPvRmT3_T4_T5_T6_T7_T9_mT8_P12ihipStream_tbDpT10_ENKUlT_T0_E_clISt17integral_constantIbLb0EES17_IbLb1EEEEDaS13_S14_EUlS13_E_NS1_11comp_targetILNS1_3genE10ELNS1_11target_archE1200ELNS1_3gpuE4ELNS1_3repE0EEENS1_30default_config_static_selectorELNS0_4arch9wavefront6targetE0EEEvT1_.has_recursion, 0
	.set _ZN7rocprim17ROCPRIM_400000_NS6detail17trampoline_kernelINS0_14default_configENS1_25partition_config_selectorILNS1_17partition_subalgoE6EyNS0_10empty_typeEbEEZZNS1_14partition_implILS5_6ELb0ES3_mN6thrust23THRUST_200600_302600_NS6detail15normal_iteratorINSA_10device_ptrIyEEEEPS6_SG_NS0_5tupleIJSF_S6_EEENSH_IJSG_SG_EEES6_PlJNSB_9not_fun_tINSB_14equal_to_valueIyEEEEEEE10hipError_tPvRmT3_T4_T5_T6_T7_T9_mT8_P12ihipStream_tbDpT10_ENKUlT_T0_E_clISt17integral_constantIbLb0EES17_IbLb1EEEEDaS13_S14_EUlS13_E_NS1_11comp_targetILNS1_3genE10ELNS1_11target_archE1200ELNS1_3gpuE4ELNS1_3repE0EEENS1_30default_config_static_selectorELNS0_4arch9wavefront6targetE0EEEvT1_.has_indirect_call, 0
	.section	.AMDGPU.csdata,"",@progbits
; Kernel info:
; codeLenInByte = 6584
; TotalNumSgprs: 26
; NumVgprs: 48
; ScratchSize: 0
; MemoryBound: 0
; FloatMode: 240
; IeeeMode: 1
; LDSByteSize: 8464 bytes/workgroup (compile time only)
; SGPRBlocks: 0
; VGPRBlocks: 5
; NumSGPRsForWavesPerEU: 26
; NumVGPRsForWavesPerEU: 48
; Occupancy: 16
; WaveLimiterHint : 1
; COMPUTE_PGM_RSRC2:SCRATCH_EN: 0
; COMPUTE_PGM_RSRC2:USER_SGPR: 2
; COMPUTE_PGM_RSRC2:TRAP_HANDLER: 0
; COMPUTE_PGM_RSRC2:TGID_X_EN: 1
; COMPUTE_PGM_RSRC2:TGID_Y_EN: 0
; COMPUTE_PGM_RSRC2:TGID_Z_EN: 0
; COMPUTE_PGM_RSRC2:TIDIG_COMP_CNT: 0
	.section	.text._ZN7rocprim17ROCPRIM_400000_NS6detail17trampoline_kernelINS0_14default_configENS1_25partition_config_selectorILNS1_17partition_subalgoE6EyNS0_10empty_typeEbEEZZNS1_14partition_implILS5_6ELb0ES3_mN6thrust23THRUST_200600_302600_NS6detail15normal_iteratorINSA_10device_ptrIyEEEEPS6_SG_NS0_5tupleIJSF_S6_EEENSH_IJSG_SG_EEES6_PlJNSB_9not_fun_tINSB_14equal_to_valueIyEEEEEEE10hipError_tPvRmT3_T4_T5_T6_T7_T9_mT8_P12ihipStream_tbDpT10_ENKUlT_T0_E_clISt17integral_constantIbLb0EES17_IbLb1EEEEDaS13_S14_EUlS13_E_NS1_11comp_targetILNS1_3genE9ELNS1_11target_archE1100ELNS1_3gpuE3ELNS1_3repE0EEENS1_30default_config_static_selectorELNS0_4arch9wavefront6targetE0EEEvT1_,"axG",@progbits,_ZN7rocprim17ROCPRIM_400000_NS6detail17trampoline_kernelINS0_14default_configENS1_25partition_config_selectorILNS1_17partition_subalgoE6EyNS0_10empty_typeEbEEZZNS1_14partition_implILS5_6ELb0ES3_mN6thrust23THRUST_200600_302600_NS6detail15normal_iteratorINSA_10device_ptrIyEEEEPS6_SG_NS0_5tupleIJSF_S6_EEENSH_IJSG_SG_EEES6_PlJNSB_9not_fun_tINSB_14equal_to_valueIyEEEEEEE10hipError_tPvRmT3_T4_T5_T6_T7_T9_mT8_P12ihipStream_tbDpT10_ENKUlT_T0_E_clISt17integral_constantIbLb0EES17_IbLb1EEEEDaS13_S14_EUlS13_E_NS1_11comp_targetILNS1_3genE9ELNS1_11target_archE1100ELNS1_3gpuE3ELNS1_3repE0EEENS1_30default_config_static_selectorELNS0_4arch9wavefront6targetE0EEEvT1_,comdat
	.protected	_ZN7rocprim17ROCPRIM_400000_NS6detail17trampoline_kernelINS0_14default_configENS1_25partition_config_selectorILNS1_17partition_subalgoE6EyNS0_10empty_typeEbEEZZNS1_14partition_implILS5_6ELb0ES3_mN6thrust23THRUST_200600_302600_NS6detail15normal_iteratorINSA_10device_ptrIyEEEEPS6_SG_NS0_5tupleIJSF_S6_EEENSH_IJSG_SG_EEES6_PlJNSB_9not_fun_tINSB_14equal_to_valueIyEEEEEEE10hipError_tPvRmT3_T4_T5_T6_T7_T9_mT8_P12ihipStream_tbDpT10_ENKUlT_T0_E_clISt17integral_constantIbLb0EES17_IbLb1EEEEDaS13_S14_EUlS13_E_NS1_11comp_targetILNS1_3genE9ELNS1_11target_archE1100ELNS1_3gpuE3ELNS1_3repE0EEENS1_30default_config_static_selectorELNS0_4arch9wavefront6targetE0EEEvT1_ ; -- Begin function _ZN7rocprim17ROCPRIM_400000_NS6detail17trampoline_kernelINS0_14default_configENS1_25partition_config_selectorILNS1_17partition_subalgoE6EyNS0_10empty_typeEbEEZZNS1_14partition_implILS5_6ELb0ES3_mN6thrust23THRUST_200600_302600_NS6detail15normal_iteratorINSA_10device_ptrIyEEEEPS6_SG_NS0_5tupleIJSF_S6_EEENSH_IJSG_SG_EEES6_PlJNSB_9not_fun_tINSB_14equal_to_valueIyEEEEEEE10hipError_tPvRmT3_T4_T5_T6_T7_T9_mT8_P12ihipStream_tbDpT10_ENKUlT_T0_E_clISt17integral_constantIbLb0EES17_IbLb1EEEEDaS13_S14_EUlS13_E_NS1_11comp_targetILNS1_3genE9ELNS1_11target_archE1100ELNS1_3gpuE3ELNS1_3repE0EEENS1_30default_config_static_selectorELNS0_4arch9wavefront6targetE0EEEvT1_
	.globl	_ZN7rocprim17ROCPRIM_400000_NS6detail17trampoline_kernelINS0_14default_configENS1_25partition_config_selectorILNS1_17partition_subalgoE6EyNS0_10empty_typeEbEEZZNS1_14partition_implILS5_6ELb0ES3_mN6thrust23THRUST_200600_302600_NS6detail15normal_iteratorINSA_10device_ptrIyEEEEPS6_SG_NS0_5tupleIJSF_S6_EEENSH_IJSG_SG_EEES6_PlJNSB_9not_fun_tINSB_14equal_to_valueIyEEEEEEE10hipError_tPvRmT3_T4_T5_T6_T7_T9_mT8_P12ihipStream_tbDpT10_ENKUlT_T0_E_clISt17integral_constantIbLb0EES17_IbLb1EEEEDaS13_S14_EUlS13_E_NS1_11comp_targetILNS1_3genE9ELNS1_11target_archE1100ELNS1_3gpuE3ELNS1_3repE0EEENS1_30default_config_static_selectorELNS0_4arch9wavefront6targetE0EEEvT1_
	.p2align	8
	.type	_ZN7rocprim17ROCPRIM_400000_NS6detail17trampoline_kernelINS0_14default_configENS1_25partition_config_selectorILNS1_17partition_subalgoE6EyNS0_10empty_typeEbEEZZNS1_14partition_implILS5_6ELb0ES3_mN6thrust23THRUST_200600_302600_NS6detail15normal_iteratorINSA_10device_ptrIyEEEEPS6_SG_NS0_5tupleIJSF_S6_EEENSH_IJSG_SG_EEES6_PlJNSB_9not_fun_tINSB_14equal_to_valueIyEEEEEEE10hipError_tPvRmT3_T4_T5_T6_T7_T9_mT8_P12ihipStream_tbDpT10_ENKUlT_T0_E_clISt17integral_constantIbLb0EES17_IbLb1EEEEDaS13_S14_EUlS13_E_NS1_11comp_targetILNS1_3genE9ELNS1_11target_archE1100ELNS1_3gpuE3ELNS1_3repE0EEENS1_30default_config_static_selectorELNS0_4arch9wavefront6targetE0EEEvT1_,@function
_ZN7rocprim17ROCPRIM_400000_NS6detail17trampoline_kernelINS0_14default_configENS1_25partition_config_selectorILNS1_17partition_subalgoE6EyNS0_10empty_typeEbEEZZNS1_14partition_implILS5_6ELb0ES3_mN6thrust23THRUST_200600_302600_NS6detail15normal_iteratorINSA_10device_ptrIyEEEEPS6_SG_NS0_5tupleIJSF_S6_EEENSH_IJSG_SG_EEES6_PlJNSB_9not_fun_tINSB_14equal_to_valueIyEEEEEEE10hipError_tPvRmT3_T4_T5_T6_T7_T9_mT8_P12ihipStream_tbDpT10_ENKUlT_T0_E_clISt17integral_constantIbLb0EES17_IbLb1EEEEDaS13_S14_EUlS13_E_NS1_11comp_targetILNS1_3genE9ELNS1_11target_archE1100ELNS1_3gpuE3ELNS1_3repE0EEENS1_30default_config_static_selectorELNS0_4arch9wavefront6targetE0EEEvT1_: ; @_ZN7rocprim17ROCPRIM_400000_NS6detail17trampoline_kernelINS0_14default_configENS1_25partition_config_selectorILNS1_17partition_subalgoE6EyNS0_10empty_typeEbEEZZNS1_14partition_implILS5_6ELb0ES3_mN6thrust23THRUST_200600_302600_NS6detail15normal_iteratorINSA_10device_ptrIyEEEEPS6_SG_NS0_5tupleIJSF_S6_EEENSH_IJSG_SG_EEES6_PlJNSB_9not_fun_tINSB_14equal_to_valueIyEEEEEEE10hipError_tPvRmT3_T4_T5_T6_T7_T9_mT8_P12ihipStream_tbDpT10_ENKUlT_T0_E_clISt17integral_constantIbLb0EES17_IbLb1EEEEDaS13_S14_EUlS13_E_NS1_11comp_targetILNS1_3genE9ELNS1_11target_archE1100ELNS1_3gpuE3ELNS1_3repE0EEENS1_30default_config_static_selectorELNS0_4arch9wavefront6targetE0EEEvT1_
; %bb.0:
	.section	.rodata,"a",@progbits
	.p2align	6, 0x0
	.amdhsa_kernel _ZN7rocprim17ROCPRIM_400000_NS6detail17trampoline_kernelINS0_14default_configENS1_25partition_config_selectorILNS1_17partition_subalgoE6EyNS0_10empty_typeEbEEZZNS1_14partition_implILS5_6ELb0ES3_mN6thrust23THRUST_200600_302600_NS6detail15normal_iteratorINSA_10device_ptrIyEEEEPS6_SG_NS0_5tupleIJSF_S6_EEENSH_IJSG_SG_EEES6_PlJNSB_9not_fun_tINSB_14equal_to_valueIyEEEEEEE10hipError_tPvRmT3_T4_T5_T6_T7_T9_mT8_P12ihipStream_tbDpT10_ENKUlT_T0_E_clISt17integral_constantIbLb0EES17_IbLb1EEEEDaS13_S14_EUlS13_E_NS1_11comp_targetILNS1_3genE9ELNS1_11target_archE1100ELNS1_3gpuE3ELNS1_3repE0EEENS1_30default_config_static_selectorELNS0_4arch9wavefront6targetE0EEEvT1_
		.amdhsa_group_segment_fixed_size 0
		.amdhsa_private_segment_fixed_size 0
		.amdhsa_kernarg_size 128
		.amdhsa_user_sgpr_count 2
		.amdhsa_user_sgpr_dispatch_ptr 0
		.amdhsa_user_sgpr_queue_ptr 0
		.amdhsa_user_sgpr_kernarg_segment_ptr 1
		.amdhsa_user_sgpr_dispatch_id 0
		.amdhsa_user_sgpr_private_segment_size 0
		.amdhsa_wavefront_size32 1
		.amdhsa_uses_dynamic_stack 0
		.amdhsa_enable_private_segment 0
		.amdhsa_system_sgpr_workgroup_id_x 1
		.amdhsa_system_sgpr_workgroup_id_y 0
		.amdhsa_system_sgpr_workgroup_id_z 0
		.amdhsa_system_sgpr_workgroup_info 0
		.amdhsa_system_vgpr_workitem_id 0
		.amdhsa_next_free_vgpr 1
		.amdhsa_next_free_sgpr 1
		.amdhsa_reserve_vcc 0
		.amdhsa_float_round_mode_32 0
		.amdhsa_float_round_mode_16_64 0
		.amdhsa_float_denorm_mode_32 3
		.amdhsa_float_denorm_mode_16_64 3
		.amdhsa_fp16_overflow 0
		.amdhsa_workgroup_processor_mode 1
		.amdhsa_memory_ordered 1
		.amdhsa_forward_progress 1
		.amdhsa_inst_pref_size 0
		.amdhsa_round_robin_scheduling 0
		.amdhsa_exception_fp_ieee_invalid_op 0
		.amdhsa_exception_fp_denorm_src 0
		.amdhsa_exception_fp_ieee_div_zero 0
		.amdhsa_exception_fp_ieee_overflow 0
		.amdhsa_exception_fp_ieee_underflow 0
		.amdhsa_exception_fp_ieee_inexact 0
		.amdhsa_exception_int_div_zero 0
	.end_amdhsa_kernel
	.section	.text._ZN7rocprim17ROCPRIM_400000_NS6detail17trampoline_kernelINS0_14default_configENS1_25partition_config_selectorILNS1_17partition_subalgoE6EyNS0_10empty_typeEbEEZZNS1_14partition_implILS5_6ELb0ES3_mN6thrust23THRUST_200600_302600_NS6detail15normal_iteratorINSA_10device_ptrIyEEEEPS6_SG_NS0_5tupleIJSF_S6_EEENSH_IJSG_SG_EEES6_PlJNSB_9not_fun_tINSB_14equal_to_valueIyEEEEEEE10hipError_tPvRmT3_T4_T5_T6_T7_T9_mT8_P12ihipStream_tbDpT10_ENKUlT_T0_E_clISt17integral_constantIbLb0EES17_IbLb1EEEEDaS13_S14_EUlS13_E_NS1_11comp_targetILNS1_3genE9ELNS1_11target_archE1100ELNS1_3gpuE3ELNS1_3repE0EEENS1_30default_config_static_selectorELNS0_4arch9wavefront6targetE0EEEvT1_,"axG",@progbits,_ZN7rocprim17ROCPRIM_400000_NS6detail17trampoline_kernelINS0_14default_configENS1_25partition_config_selectorILNS1_17partition_subalgoE6EyNS0_10empty_typeEbEEZZNS1_14partition_implILS5_6ELb0ES3_mN6thrust23THRUST_200600_302600_NS6detail15normal_iteratorINSA_10device_ptrIyEEEEPS6_SG_NS0_5tupleIJSF_S6_EEENSH_IJSG_SG_EEES6_PlJNSB_9not_fun_tINSB_14equal_to_valueIyEEEEEEE10hipError_tPvRmT3_T4_T5_T6_T7_T9_mT8_P12ihipStream_tbDpT10_ENKUlT_T0_E_clISt17integral_constantIbLb0EES17_IbLb1EEEEDaS13_S14_EUlS13_E_NS1_11comp_targetILNS1_3genE9ELNS1_11target_archE1100ELNS1_3gpuE3ELNS1_3repE0EEENS1_30default_config_static_selectorELNS0_4arch9wavefront6targetE0EEEvT1_,comdat
.Lfunc_end371:
	.size	_ZN7rocprim17ROCPRIM_400000_NS6detail17trampoline_kernelINS0_14default_configENS1_25partition_config_selectorILNS1_17partition_subalgoE6EyNS0_10empty_typeEbEEZZNS1_14partition_implILS5_6ELb0ES3_mN6thrust23THRUST_200600_302600_NS6detail15normal_iteratorINSA_10device_ptrIyEEEEPS6_SG_NS0_5tupleIJSF_S6_EEENSH_IJSG_SG_EEES6_PlJNSB_9not_fun_tINSB_14equal_to_valueIyEEEEEEE10hipError_tPvRmT3_T4_T5_T6_T7_T9_mT8_P12ihipStream_tbDpT10_ENKUlT_T0_E_clISt17integral_constantIbLb0EES17_IbLb1EEEEDaS13_S14_EUlS13_E_NS1_11comp_targetILNS1_3genE9ELNS1_11target_archE1100ELNS1_3gpuE3ELNS1_3repE0EEENS1_30default_config_static_selectorELNS0_4arch9wavefront6targetE0EEEvT1_, .Lfunc_end371-_ZN7rocprim17ROCPRIM_400000_NS6detail17trampoline_kernelINS0_14default_configENS1_25partition_config_selectorILNS1_17partition_subalgoE6EyNS0_10empty_typeEbEEZZNS1_14partition_implILS5_6ELb0ES3_mN6thrust23THRUST_200600_302600_NS6detail15normal_iteratorINSA_10device_ptrIyEEEEPS6_SG_NS0_5tupleIJSF_S6_EEENSH_IJSG_SG_EEES6_PlJNSB_9not_fun_tINSB_14equal_to_valueIyEEEEEEE10hipError_tPvRmT3_T4_T5_T6_T7_T9_mT8_P12ihipStream_tbDpT10_ENKUlT_T0_E_clISt17integral_constantIbLb0EES17_IbLb1EEEEDaS13_S14_EUlS13_E_NS1_11comp_targetILNS1_3genE9ELNS1_11target_archE1100ELNS1_3gpuE3ELNS1_3repE0EEENS1_30default_config_static_selectorELNS0_4arch9wavefront6targetE0EEEvT1_
                                        ; -- End function
	.set _ZN7rocprim17ROCPRIM_400000_NS6detail17trampoline_kernelINS0_14default_configENS1_25partition_config_selectorILNS1_17partition_subalgoE6EyNS0_10empty_typeEbEEZZNS1_14partition_implILS5_6ELb0ES3_mN6thrust23THRUST_200600_302600_NS6detail15normal_iteratorINSA_10device_ptrIyEEEEPS6_SG_NS0_5tupleIJSF_S6_EEENSH_IJSG_SG_EEES6_PlJNSB_9not_fun_tINSB_14equal_to_valueIyEEEEEEE10hipError_tPvRmT3_T4_T5_T6_T7_T9_mT8_P12ihipStream_tbDpT10_ENKUlT_T0_E_clISt17integral_constantIbLb0EES17_IbLb1EEEEDaS13_S14_EUlS13_E_NS1_11comp_targetILNS1_3genE9ELNS1_11target_archE1100ELNS1_3gpuE3ELNS1_3repE0EEENS1_30default_config_static_selectorELNS0_4arch9wavefront6targetE0EEEvT1_.num_vgpr, 0
	.set _ZN7rocprim17ROCPRIM_400000_NS6detail17trampoline_kernelINS0_14default_configENS1_25partition_config_selectorILNS1_17partition_subalgoE6EyNS0_10empty_typeEbEEZZNS1_14partition_implILS5_6ELb0ES3_mN6thrust23THRUST_200600_302600_NS6detail15normal_iteratorINSA_10device_ptrIyEEEEPS6_SG_NS0_5tupleIJSF_S6_EEENSH_IJSG_SG_EEES6_PlJNSB_9not_fun_tINSB_14equal_to_valueIyEEEEEEE10hipError_tPvRmT3_T4_T5_T6_T7_T9_mT8_P12ihipStream_tbDpT10_ENKUlT_T0_E_clISt17integral_constantIbLb0EES17_IbLb1EEEEDaS13_S14_EUlS13_E_NS1_11comp_targetILNS1_3genE9ELNS1_11target_archE1100ELNS1_3gpuE3ELNS1_3repE0EEENS1_30default_config_static_selectorELNS0_4arch9wavefront6targetE0EEEvT1_.num_agpr, 0
	.set _ZN7rocprim17ROCPRIM_400000_NS6detail17trampoline_kernelINS0_14default_configENS1_25partition_config_selectorILNS1_17partition_subalgoE6EyNS0_10empty_typeEbEEZZNS1_14partition_implILS5_6ELb0ES3_mN6thrust23THRUST_200600_302600_NS6detail15normal_iteratorINSA_10device_ptrIyEEEEPS6_SG_NS0_5tupleIJSF_S6_EEENSH_IJSG_SG_EEES6_PlJNSB_9not_fun_tINSB_14equal_to_valueIyEEEEEEE10hipError_tPvRmT3_T4_T5_T6_T7_T9_mT8_P12ihipStream_tbDpT10_ENKUlT_T0_E_clISt17integral_constantIbLb0EES17_IbLb1EEEEDaS13_S14_EUlS13_E_NS1_11comp_targetILNS1_3genE9ELNS1_11target_archE1100ELNS1_3gpuE3ELNS1_3repE0EEENS1_30default_config_static_selectorELNS0_4arch9wavefront6targetE0EEEvT1_.numbered_sgpr, 0
	.set _ZN7rocprim17ROCPRIM_400000_NS6detail17trampoline_kernelINS0_14default_configENS1_25partition_config_selectorILNS1_17partition_subalgoE6EyNS0_10empty_typeEbEEZZNS1_14partition_implILS5_6ELb0ES3_mN6thrust23THRUST_200600_302600_NS6detail15normal_iteratorINSA_10device_ptrIyEEEEPS6_SG_NS0_5tupleIJSF_S6_EEENSH_IJSG_SG_EEES6_PlJNSB_9not_fun_tINSB_14equal_to_valueIyEEEEEEE10hipError_tPvRmT3_T4_T5_T6_T7_T9_mT8_P12ihipStream_tbDpT10_ENKUlT_T0_E_clISt17integral_constantIbLb0EES17_IbLb1EEEEDaS13_S14_EUlS13_E_NS1_11comp_targetILNS1_3genE9ELNS1_11target_archE1100ELNS1_3gpuE3ELNS1_3repE0EEENS1_30default_config_static_selectorELNS0_4arch9wavefront6targetE0EEEvT1_.num_named_barrier, 0
	.set _ZN7rocprim17ROCPRIM_400000_NS6detail17trampoline_kernelINS0_14default_configENS1_25partition_config_selectorILNS1_17partition_subalgoE6EyNS0_10empty_typeEbEEZZNS1_14partition_implILS5_6ELb0ES3_mN6thrust23THRUST_200600_302600_NS6detail15normal_iteratorINSA_10device_ptrIyEEEEPS6_SG_NS0_5tupleIJSF_S6_EEENSH_IJSG_SG_EEES6_PlJNSB_9not_fun_tINSB_14equal_to_valueIyEEEEEEE10hipError_tPvRmT3_T4_T5_T6_T7_T9_mT8_P12ihipStream_tbDpT10_ENKUlT_T0_E_clISt17integral_constantIbLb0EES17_IbLb1EEEEDaS13_S14_EUlS13_E_NS1_11comp_targetILNS1_3genE9ELNS1_11target_archE1100ELNS1_3gpuE3ELNS1_3repE0EEENS1_30default_config_static_selectorELNS0_4arch9wavefront6targetE0EEEvT1_.private_seg_size, 0
	.set _ZN7rocprim17ROCPRIM_400000_NS6detail17trampoline_kernelINS0_14default_configENS1_25partition_config_selectorILNS1_17partition_subalgoE6EyNS0_10empty_typeEbEEZZNS1_14partition_implILS5_6ELb0ES3_mN6thrust23THRUST_200600_302600_NS6detail15normal_iteratorINSA_10device_ptrIyEEEEPS6_SG_NS0_5tupleIJSF_S6_EEENSH_IJSG_SG_EEES6_PlJNSB_9not_fun_tINSB_14equal_to_valueIyEEEEEEE10hipError_tPvRmT3_T4_T5_T6_T7_T9_mT8_P12ihipStream_tbDpT10_ENKUlT_T0_E_clISt17integral_constantIbLb0EES17_IbLb1EEEEDaS13_S14_EUlS13_E_NS1_11comp_targetILNS1_3genE9ELNS1_11target_archE1100ELNS1_3gpuE3ELNS1_3repE0EEENS1_30default_config_static_selectorELNS0_4arch9wavefront6targetE0EEEvT1_.uses_vcc, 0
	.set _ZN7rocprim17ROCPRIM_400000_NS6detail17trampoline_kernelINS0_14default_configENS1_25partition_config_selectorILNS1_17partition_subalgoE6EyNS0_10empty_typeEbEEZZNS1_14partition_implILS5_6ELb0ES3_mN6thrust23THRUST_200600_302600_NS6detail15normal_iteratorINSA_10device_ptrIyEEEEPS6_SG_NS0_5tupleIJSF_S6_EEENSH_IJSG_SG_EEES6_PlJNSB_9not_fun_tINSB_14equal_to_valueIyEEEEEEE10hipError_tPvRmT3_T4_T5_T6_T7_T9_mT8_P12ihipStream_tbDpT10_ENKUlT_T0_E_clISt17integral_constantIbLb0EES17_IbLb1EEEEDaS13_S14_EUlS13_E_NS1_11comp_targetILNS1_3genE9ELNS1_11target_archE1100ELNS1_3gpuE3ELNS1_3repE0EEENS1_30default_config_static_selectorELNS0_4arch9wavefront6targetE0EEEvT1_.uses_flat_scratch, 0
	.set _ZN7rocprim17ROCPRIM_400000_NS6detail17trampoline_kernelINS0_14default_configENS1_25partition_config_selectorILNS1_17partition_subalgoE6EyNS0_10empty_typeEbEEZZNS1_14partition_implILS5_6ELb0ES3_mN6thrust23THRUST_200600_302600_NS6detail15normal_iteratorINSA_10device_ptrIyEEEEPS6_SG_NS0_5tupleIJSF_S6_EEENSH_IJSG_SG_EEES6_PlJNSB_9not_fun_tINSB_14equal_to_valueIyEEEEEEE10hipError_tPvRmT3_T4_T5_T6_T7_T9_mT8_P12ihipStream_tbDpT10_ENKUlT_T0_E_clISt17integral_constantIbLb0EES17_IbLb1EEEEDaS13_S14_EUlS13_E_NS1_11comp_targetILNS1_3genE9ELNS1_11target_archE1100ELNS1_3gpuE3ELNS1_3repE0EEENS1_30default_config_static_selectorELNS0_4arch9wavefront6targetE0EEEvT1_.has_dyn_sized_stack, 0
	.set _ZN7rocprim17ROCPRIM_400000_NS6detail17trampoline_kernelINS0_14default_configENS1_25partition_config_selectorILNS1_17partition_subalgoE6EyNS0_10empty_typeEbEEZZNS1_14partition_implILS5_6ELb0ES3_mN6thrust23THRUST_200600_302600_NS6detail15normal_iteratorINSA_10device_ptrIyEEEEPS6_SG_NS0_5tupleIJSF_S6_EEENSH_IJSG_SG_EEES6_PlJNSB_9not_fun_tINSB_14equal_to_valueIyEEEEEEE10hipError_tPvRmT3_T4_T5_T6_T7_T9_mT8_P12ihipStream_tbDpT10_ENKUlT_T0_E_clISt17integral_constantIbLb0EES17_IbLb1EEEEDaS13_S14_EUlS13_E_NS1_11comp_targetILNS1_3genE9ELNS1_11target_archE1100ELNS1_3gpuE3ELNS1_3repE0EEENS1_30default_config_static_selectorELNS0_4arch9wavefront6targetE0EEEvT1_.has_recursion, 0
	.set _ZN7rocprim17ROCPRIM_400000_NS6detail17trampoline_kernelINS0_14default_configENS1_25partition_config_selectorILNS1_17partition_subalgoE6EyNS0_10empty_typeEbEEZZNS1_14partition_implILS5_6ELb0ES3_mN6thrust23THRUST_200600_302600_NS6detail15normal_iteratorINSA_10device_ptrIyEEEEPS6_SG_NS0_5tupleIJSF_S6_EEENSH_IJSG_SG_EEES6_PlJNSB_9not_fun_tINSB_14equal_to_valueIyEEEEEEE10hipError_tPvRmT3_T4_T5_T6_T7_T9_mT8_P12ihipStream_tbDpT10_ENKUlT_T0_E_clISt17integral_constantIbLb0EES17_IbLb1EEEEDaS13_S14_EUlS13_E_NS1_11comp_targetILNS1_3genE9ELNS1_11target_archE1100ELNS1_3gpuE3ELNS1_3repE0EEENS1_30default_config_static_selectorELNS0_4arch9wavefront6targetE0EEEvT1_.has_indirect_call, 0
	.section	.AMDGPU.csdata,"",@progbits
; Kernel info:
; codeLenInByte = 0
; TotalNumSgprs: 0
; NumVgprs: 0
; ScratchSize: 0
; MemoryBound: 0
; FloatMode: 240
; IeeeMode: 1
; LDSByteSize: 0 bytes/workgroup (compile time only)
; SGPRBlocks: 0
; VGPRBlocks: 0
; NumSGPRsForWavesPerEU: 1
; NumVGPRsForWavesPerEU: 1
; Occupancy: 16
; WaveLimiterHint : 0
; COMPUTE_PGM_RSRC2:SCRATCH_EN: 0
; COMPUTE_PGM_RSRC2:USER_SGPR: 2
; COMPUTE_PGM_RSRC2:TRAP_HANDLER: 0
; COMPUTE_PGM_RSRC2:TGID_X_EN: 1
; COMPUTE_PGM_RSRC2:TGID_Y_EN: 0
; COMPUTE_PGM_RSRC2:TGID_Z_EN: 0
; COMPUTE_PGM_RSRC2:TIDIG_COMP_CNT: 0
	.section	.text._ZN7rocprim17ROCPRIM_400000_NS6detail17trampoline_kernelINS0_14default_configENS1_25partition_config_selectorILNS1_17partition_subalgoE6EyNS0_10empty_typeEbEEZZNS1_14partition_implILS5_6ELb0ES3_mN6thrust23THRUST_200600_302600_NS6detail15normal_iteratorINSA_10device_ptrIyEEEEPS6_SG_NS0_5tupleIJSF_S6_EEENSH_IJSG_SG_EEES6_PlJNSB_9not_fun_tINSB_14equal_to_valueIyEEEEEEE10hipError_tPvRmT3_T4_T5_T6_T7_T9_mT8_P12ihipStream_tbDpT10_ENKUlT_T0_E_clISt17integral_constantIbLb0EES17_IbLb1EEEEDaS13_S14_EUlS13_E_NS1_11comp_targetILNS1_3genE8ELNS1_11target_archE1030ELNS1_3gpuE2ELNS1_3repE0EEENS1_30default_config_static_selectorELNS0_4arch9wavefront6targetE0EEEvT1_,"axG",@progbits,_ZN7rocprim17ROCPRIM_400000_NS6detail17trampoline_kernelINS0_14default_configENS1_25partition_config_selectorILNS1_17partition_subalgoE6EyNS0_10empty_typeEbEEZZNS1_14partition_implILS5_6ELb0ES3_mN6thrust23THRUST_200600_302600_NS6detail15normal_iteratorINSA_10device_ptrIyEEEEPS6_SG_NS0_5tupleIJSF_S6_EEENSH_IJSG_SG_EEES6_PlJNSB_9not_fun_tINSB_14equal_to_valueIyEEEEEEE10hipError_tPvRmT3_T4_T5_T6_T7_T9_mT8_P12ihipStream_tbDpT10_ENKUlT_T0_E_clISt17integral_constantIbLb0EES17_IbLb1EEEEDaS13_S14_EUlS13_E_NS1_11comp_targetILNS1_3genE8ELNS1_11target_archE1030ELNS1_3gpuE2ELNS1_3repE0EEENS1_30default_config_static_selectorELNS0_4arch9wavefront6targetE0EEEvT1_,comdat
	.protected	_ZN7rocprim17ROCPRIM_400000_NS6detail17trampoline_kernelINS0_14default_configENS1_25partition_config_selectorILNS1_17partition_subalgoE6EyNS0_10empty_typeEbEEZZNS1_14partition_implILS5_6ELb0ES3_mN6thrust23THRUST_200600_302600_NS6detail15normal_iteratorINSA_10device_ptrIyEEEEPS6_SG_NS0_5tupleIJSF_S6_EEENSH_IJSG_SG_EEES6_PlJNSB_9not_fun_tINSB_14equal_to_valueIyEEEEEEE10hipError_tPvRmT3_T4_T5_T6_T7_T9_mT8_P12ihipStream_tbDpT10_ENKUlT_T0_E_clISt17integral_constantIbLb0EES17_IbLb1EEEEDaS13_S14_EUlS13_E_NS1_11comp_targetILNS1_3genE8ELNS1_11target_archE1030ELNS1_3gpuE2ELNS1_3repE0EEENS1_30default_config_static_selectorELNS0_4arch9wavefront6targetE0EEEvT1_ ; -- Begin function _ZN7rocprim17ROCPRIM_400000_NS6detail17trampoline_kernelINS0_14default_configENS1_25partition_config_selectorILNS1_17partition_subalgoE6EyNS0_10empty_typeEbEEZZNS1_14partition_implILS5_6ELb0ES3_mN6thrust23THRUST_200600_302600_NS6detail15normal_iteratorINSA_10device_ptrIyEEEEPS6_SG_NS0_5tupleIJSF_S6_EEENSH_IJSG_SG_EEES6_PlJNSB_9not_fun_tINSB_14equal_to_valueIyEEEEEEE10hipError_tPvRmT3_T4_T5_T6_T7_T9_mT8_P12ihipStream_tbDpT10_ENKUlT_T0_E_clISt17integral_constantIbLb0EES17_IbLb1EEEEDaS13_S14_EUlS13_E_NS1_11comp_targetILNS1_3genE8ELNS1_11target_archE1030ELNS1_3gpuE2ELNS1_3repE0EEENS1_30default_config_static_selectorELNS0_4arch9wavefront6targetE0EEEvT1_
	.globl	_ZN7rocprim17ROCPRIM_400000_NS6detail17trampoline_kernelINS0_14default_configENS1_25partition_config_selectorILNS1_17partition_subalgoE6EyNS0_10empty_typeEbEEZZNS1_14partition_implILS5_6ELb0ES3_mN6thrust23THRUST_200600_302600_NS6detail15normal_iteratorINSA_10device_ptrIyEEEEPS6_SG_NS0_5tupleIJSF_S6_EEENSH_IJSG_SG_EEES6_PlJNSB_9not_fun_tINSB_14equal_to_valueIyEEEEEEE10hipError_tPvRmT3_T4_T5_T6_T7_T9_mT8_P12ihipStream_tbDpT10_ENKUlT_T0_E_clISt17integral_constantIbLb0EES17_IbLb1EEEEDaS13_S14_EUlS13_E_NS1_11comp_targetILNS1_3genE8ELNS1_11target_archE1030ELNS1_3gpuE2ELNS1_3repE0EEENS1_30default_config_static_selectorELNS0_4arch9wavefront6targetE0EEEvT1_
	.p2align	8
	.type	_ZN7rocprim17ROCPRIM_400000_NS6detail17trampoline_kernelINS0_14default_configENS1_25partition_config_selectorILNS1_17partition_subalgoE6EyNS0_10empty_typeEbEEZZNS1_14partition_implILS5_6ELb0ES3_mN6thrust23THRUST_200600_302600_NS6detail15normal_iteratorINSA_10device_ptrIyEEEEPS6_SG_NS0_5tupleIJSF_S6_EEENSH_IJSG_SG_EEES6_PlJNSB_9not_fun_tINSB_14equal_to_valueIyEEEEEEE10hipError_tPvRmT3_T4_T5_T6_T7_T9_mT8_P12ihipStream_tbDpT10_ENKUlT_T0_E_clISt17integral_constantIbLb0EES17_IbLb1EEEEDaS13_S14_EUlS13_E_NS1_11comp_targetILNS1_3genE8ELNS1_11target_archE1030ELNS1_3gpuE2ELNS1_3repE0EEENS1_30default_config_static_selectorELNS0_4arch9wavefront6targetE0EEEvT1_,@function
_ZN7rocprim17ROCPRIM_400000_NS6detail17trampoline_kernelINS0_14default_configENS1_25partition_config_selectorILNS1_17partition_subalgoE6EyNS0_10empty_typeEbEEZZNS1_14partition_implILS5_6ELb0ES3_mN6thrust23THRUST_200600_302600_NS6detail15normal_iteratorINSA_10device_ptrIyEEEEPS6_SG_NS0_5tupleIJSF_S6_EEENSH_IJSG_SG_EEES6_PlJNSB_9not_fun_tINSB_14equal_to_valueIyEEEEEEE10hipError_tPvRmT3_T4_T5_T6_T7_T9_mT8_P12ihipStream_tbDpT10_ENKUlT_T0_E_clISt17integral_constantIbLb0EES17_IbLb1EEEEDaS13_S14_EUlS13_E_NS1_11comp_targetILNS1_3genE8ELNS1_11target_archE1030ELNS1_3gpuE2ELNS1_3repE0EEENS1_30default_config_static_selectorELNS0_4arch9wavefront6targetE0EEEvT1_: ; @_ZN7rocprim17ROCPRIM_400000_NS6detail17trampoline_kernelINS0_14default_configENS1_25partition_config_selectorILNS1_17partition_subalgoE6EyNS0_10empty_typeEbEEZZNS1_14partition_implILS5_6ELb0ES3_mN6thrust23THRUST_200600_302600_NS6detail15normal_iteratorINSA_10device_ptrIyEEEEPS6_SG_NS0_5tupleIJSF_S6_EEENSH_IJSG_SG_EEES6_PlJNSB_9not_fun_tINSB_14equal_to_valueIyEEEEEEE10hipError_tPvRmT3_T4_T5_T6_T7_T9_mT8_P12ihipStream_tbDpT10_ENKUlT_T0_E_clISt17integral_constantIbLb0EES17_IbLb1EEEEDaS13_S14_EUlS13_E_NS1_11comp_targetILNS1_3genE8ELNS1_11target_archE1030ELNS1_3gpuE2ELNS1_3repE0EEENS1_30default_config_static_selectorELNS0_4arch9wavefront6targetE0EEEvT1_
; %bb.0:
	.section	.rodata,"a",@progbits
	.p2align	6, 0x0
	.amdhsa_kernel _ZN7rocprim17ROCPRIM_400000_NS6detail17trampoline_kernelINS0_14default_configENS1_25partition_config_selectorILNS1_17partition_subalgoE6EyNS0_10empty_typeEbEEZZNS1_14partition_implILS5_6ELb0ES3_mN6thrust23THRUST_200600_302600_NS6detail15normal_iteratorINSA_10device_ptrIyEEEEPS6_SG_NS0_5tupleIJSF_S6_EEENSH_IJSG_SG_EEES6_PlJNSB_9not_fun_tINSB_14equal_to_valueIyEEEEEEE10hipError_tPvRmT3_T4_T5_T6_T7_T9_mT8_P12ihipStream_tbDpT10_ENKUlT_T0_E_clISt17integral_constantIbLb0EES17_IbLb1EEEEDaS13_S14_EUlS13_E_NS1_11comp_targetILNS1_3genE8ELNS1_11target_archE1030ELNS1_3gpuE2ELNS1_3repE0EEENS1_30default_config_static_selectorELNS0_4arch9wavefront6targetE0EEEvT1_
		.amdhsa_group_segment_fixed_size 0
		.amdhsa_private_segment_fixed_size 0
		.amdhsa_kernarg_size 128
		.amdhsa_user_sgpr_count 2
		.amdhsa_user_sgpr_dispatch_ptr 0
		.amdhsa_user_sgpr_queue_ptr 0
		.amdhsa_user_sgpr_kernarg_segment_ptr 1
		.amdhsa_user_sgpr_dispatch_id 0
		.amdhsa_user_sgpr_private_segment_size 0
		.amdhsa_wavefront_size32 1
		.amdhsa_uses_dynamic_stack 0
		.amdhsa_enable_private_segment 0
		.amdhsa_system_sgpr_workgroup_id_x 1
		.amdhsa_system_sgpr_workgroup_id_y 0
		.amdhsa_system_sgpr_workgroup_id_z 0
		.amdhsa_system_sgpr_workgroup_info 0
		.amdhsa_system_vgpr_workitem_id 0
		.amdhsa_next_free_vgpr 1
		.amdhsa_next_free_sgpr 1
		.amdhsa_reserve_vcc 0
		.amdhsa_float_round_mode_32 0
		.amdhsa_float_round_mode_16_64 0
		.amdhsa_float_denorm_mode_32 3
		.amdhsa_float_denorm_mode_16_64 3
		.amdhsa_fp16_overflow 0
		.amdhsa_workgroup_processor_mode 1
		.amdhsa_memory_ordered 1
		.amdhsa_forward_progress 1
		.amdhsa_inst_pref_size 0
		.amdhsa_round_robin_scheduling 0
		.amdhsa_exception_fp_ieee_invalid_op 0
		.amdhsa_exception_fp_denorm_src 0
		.amdhsa_exception_fp_ieee_div_zero 0
		.amdhsa_exception_fp_ieee_overflow 0
		.amdhsa_exception_fp_ieee_underflow 0
		.amdhsa_exception_fp_ieee_inexact 0
		.amdhsa_exception_int_div_zero 0
	.end_amdhsa_kernel
	.section	.text._ZN7rocprim17ROCPRIM_400000_NS6detail17trampoline_kernelINS0_14default_configENS1_25partition_config_selectorILNS1_17partition_subalgoE6EyNS0_10empty_typeEbEEZZNS1_14partition_implILS5_6ELb0ES3_mN6thrust23THRUST_200600_302600_NS6detail15normal_iteratorINSA_10device_ptrIyEEEEPS6_SG_NS0_5tupleIJSF_S6_EEENSH_IJSG_SG_EEES6_PlJNSB_9not_fun_tINSB_14equal_to_valueIyEEEEEEE10hipError_tPvRmT3_T4_T5_T6_T7_T9_mT8_P12ihipStream_tbDpT10_ENKUlT_T0_E_clISt17integral_constantIbLb0EES17_IbLb1EEEEDaS13_S14_EUlS13_E_NS1_11comp_targetILNS1_3genE8ELNS1_11target_archE1030ELNS1_3gpuE2ELNS1_3repE0EEENS1_30default_config_static_selectorELNS0_4arch9wavefront6targetE0EEEvT1_,"axG",@progbits,_ZN7rocprim17ROCPRIM_400000_NS6detail17trampoline_kernelINS0_14default_configENS1_25partition_config_selectorILNS1_17partition_subalgoE6EyNS0_10empty_typeEbEEZZNS1_14partition_implILS5_6ELb0ES3_mN6thrust23THRUST_200600_302600_NS6detail15normal_iteratorINSA_10device_ptrIyEEEEPS6_SG_NS0_5tupleIJSF_S6_EEENSH_IJSG_SG_EEES6_PlJNSB_9not_fun_tINSB_14equal_to_valueIyEEEEEEE10hipError_tPvRmT3_T4_T5_T6_T7_T9_mT8_P12ihipStream_tbDpT10_ENKUlT_T0_E_clISt17integral_constantIbLb0EES17_IbLb1EEEEDaS13_S14_EUlS13_E_NS1_11comp_targetILNS1_3genE8ELNS1_11target_archE1030ELNS1_3gpuE2ELNS1_3repE0EEENS1_30default_config_static_selectorELNS0_4arch9wavefront6targetE0EEEvT1_,comdat
.Lfunc_end372:
	.size	_ZN7rocprim17ROCPRIM_400000_NS6detail17trampoline_kernelINS0_14default_configENS1_25partition_config_selectorILNS1_17partition_subalgoE6EyNS0_10empty_typeEbEEZZNS1_14partition_implILS5_6ELb0ES3_mN6thrust23THRUST_200600_302600_NS6detail15normal_iteratorINSA_10device_ptrIyEEEEPS6_SG_NS0_5tupleIJSF_S6_EEENSH_IJSG_SG_EEES6_PlJNSB_9not_fun_tINSB_14equal_to_valueIyEEEEEEE10hipError_tPvRmT3_T4_T5_T6_T7_T9_mT8_P12ihipStream_tbDpT10_ENKUlT_T0_E_clISt17integral_constantIbLb0EES17_IbLb1EEEEDaS13_S14_EUlS13_E_NS1_11comp_targetILNS1_3genE8ELNS1_11target_archE1030ELNS1_3gpuE2ELNS1_3repE0EEENS1_30default_config_static_selectorELNS0_4arch9wavefront6targetE0EEEvT1_, .Lfunc_end372-_ZN7rocprim17ROCPRIM_400000_NS6detail17trampoline_kernelINS0_14default_configENS1_25partition_config_selectorILNS1_17partition_subalgoE6EyNS0_10empty_typeEbEEZZNS1_14partition_implILS5_6ELb0ES3_mN6thrust23THRUST_200600_302600_NS6detail15normal_iteratorINSA_10device_ptrIyEEEEPS6_SG_NS0_5tupleIJSF_S6_EEENSH_IJSG_SG_EEES6_PlJNSB_9not_fun_tINSB_14equal_to_valueIyEEEEEEE10hipError_tPvRmT3_T4_T5_T6_T7_T9_mT8_P12ihipStream_tbDpT10_ENKUlT_T0_E_clISt17integral_constantIbLb0EES17_IbLb1EEEEDaS13_S14_EUlS13_E_NS1_11comp_targetILNS1_3genE8ELNS1_11target_archE1030ELNS1_3gpuE2ELNS1_3repE0EEENS1_30default_config_static_selectorELNS0_4arch9wavefront6targetE0EEEvT1_
                                        ; -- End function
	.set _ZN7rocprim17ROCPRIM_400000_NS6detail17trampoline_kernelINS0_14default_configENS1_25partition_config_selectorILNS1_17partition_subalgoE6EyNS0_10empty_typeEbEEZZNS1_14partition_implILS5_6ELb0ES3_mN6thrust23THRUST_200600_302600_NS6detail15normal_iteratorINSA_10device_ptrIyEEEEPS6_SG_NS0_5tupleIJSF_S6_EEENSH_IJSG_SG_EEES6_PlJNSB_9not_fun_tINSB_14equal_to_valueIyEEEEEEE10hipError_tPvRmT3_T4_T5_T6_T7_T9_mT8_P12ihipStream_tbDpT10_ENKUlT_T0_E_clISt17integral_constantIbLb0EES17_IbLb1EEEEDaS13_S14_EUlS13_E_NS1_11comp_targetILNS1_3genE8ELNS1_11target_archE1030ELNS1_3gpuE2ELNS1_3repE0EEENS1_30default_config_static_selectorELNS0_4arch9wavefront6targetE0EEEvT1_.num_vgpr, 0
	.set _ZN7rocprim17ROCPRIM_400000_NS6detail17trampoline_kernelINS0_14default_configENS1_25partition_config_selectorILNS1_17partition_subalgoE6EyNS0_10empty_typeEbEEZZNS1_14partition_implILS5_6ELb0ES3_mN6thrust23THRUST_200600_302600_NS6detail15normal_iteratorINSA_10device_ptrIyEEEEPS6_SG_NS0_5tupleIJSF_S6_EEENSH_IJSG_SG_EEES6_PlJNSB_9not_fun_tINSB_14equal_to_valueIyEEEEEEE10hipError_tPvRmT3_T4_T5_T6_T7_T9_mT8_P12ihipStream_tbDpT10_ENKUlT_T0_E_clISt17integral_constantIbLb0EES17_IbLb1EEEEDaS13_S14_EUlS13_E_NS1_11comp_targetILNS1_3genE8ELNS1_11target_archE1030ELNS1_3gpuE2ELNS1_3repE0EEENS1_30default_config_static_selectorELNS0_4arch9wavefront6targetE0EEEvT1_.num_agpr, 0
	.set _ZN7rocprim17ROCPRIM_400000_NS6detail17trampoline_kernelINS0_14default_configENS1_25partition_config_selectorILNS1_17partition_subalgoE6EyNS0_10empty_typeEbEEZZNS1_14partition_implILS5_6ELb0ES3_mN6thrust23THRUST_200600_302600_NS6detail15normal_iteratorINSA_10device_ptrIyEEEEPS6_SG_NS0_5tupleIJSF_S6_EEENSH_IJSG_SG_EEES6_PlJNSB_9not_fun_tINSB_14equal_to_valueIyEEEEEEE10hipError_tPvRmT3_T4_T5_T6_T7_T9_mT8_P12ihipStream_tbDpT10_ENKUlT_T0_E_clISt17integral_constantIbLb0EES17_IbLb1EEEEDaS13_S14_EUlS13_E_NS1_11comp_targetILNS1_3genE8ELNS1_11target_archE1030ELNS1_3gpuE2ELNS1_3repE0EEENS1_30default_config_static_selectorELNS0_4arch9wavefront6targetE0EEEvT1_.numbered_sgpr, 0
	.set _ZN7rocprim17ROCPRIM_400000_NS6detail17trampoline_kernelINS0_14default_configENS1_25partition_config_selectorILNS1_17partition_subalgoE6EyNS0_10empty_typeEbEEZZNS1_14partition_implILS5_6ELb0ES3_mN6thrust23THRUST_200600_302600_NS6detail15normal_iteratorINSA_10device_ptrIyEEEEPS6_SG_NS0_5tupleIJSF_S6_EEENSH_IJSG_SG_EEES6_PlJNSB_9not_fun_tINSB_14equal_to_valueIyEEEEEEE10hipError_tPvRmT3_T4_T5_T6_T7_T9_mT8_P12ihipStream_tbDpT10_ENKUlT_T0_E_clISt17integral_constantIbLb0EES17_IbLb1EEEEDaS13_S14_EUlS13_E_NS1_11comp_targetILNS1_3genE8ELNS1_11target_archE1030ELNS1_3gpuE2ELNS1_3repE0EEENS1_30default_config_static_selectorELNS0_4arch9wavefront6targetE0EEEvT1_.num_named_barrier, 0
	.set _ZN7rocprim17ROCPRIM_400000_NS6detail17trampoline_kernelINS0_14default_configENS1_25partition_config_selectorILNS1_17partition_subalgoE6EyNS0_10empty_typeEbEEZZNS1_14partition_implILS5_6ELb0ES3_mN6thrust23THRUST_200600_302600_NS6detail15normal_iteratorINSA_10device_ptrIyEEEEPS6_SG_NS0_5tupleIJSF_S6_EEENSH_IJSG_SG_EEES6_PlJNSB_9not_fun_tINSB_14equal_to_valueIyEEEEEEE10hipError_tPvRmT3_T4_T5_T6_T7_T9_mT8_P12ihipStream_tbDpT10_ENKUlT_T0_E_clISt17integral_constantIbLb0EES17_IbLb1EEEEDaS13_S14_EUlS13_E_NS1_11comp_targetILNS1_3genE8ELNS1_11target_archE1030ELNS1_3gpuE2ELNS1_3repE0EEENS1_30default_config_static_selectorELNS0_4arch9wavefront6targetE0EEEvT1_.private_seg_size, 0
	.set _ZN7rocprim17ROCPRIM_400000_NS6detail17trampoline_kernelINS0_14default_configENS1_25partition_config_selectorILNS1_17partition_subalgoE6EyNS0_10empty_typeEbEEZZNS1_14partition_implILS5_6ELb0ES3_mN6thrust23THRUST_200600_302600_NS6detail15normal_iteratorINSA_10device_ptrIyEEEEPS6_SG_NS0_5tupleIJSF_S6_EEENSH_IJSG_SG_EEES6_PlJNSB_9not_fun_tINSB_14equal_to_valueIyEEEEEEE10hipError_tPvRmT3_T4_T5_T6_T7_T9_mT8_P12ihipStream_tbDpT10_ENKUlT_T0_E_clISt17integral_constantIbLb0EES17_IbLb1EEEEDaS13_S14_EUlS13_E_NS1_11comp_targetILNS1_3genE8ELNS1_11target_archE1030ELNS1_3gpuE2ELNS1_3repE0EEENS1_30default_config_static_selectorELNS0_4arch9wavefront6targetE0EEEvT1_.uses_vcc, 0
	.set _ZN7rocprim17ROCPRIM_400000_NS6detail17trampoline_kernelINS0_14default_configENS1_25partition_config_selectorILNS1_17partition_subalgoE6EyNS0_10empty_typeEbEEZZNS1_14partition_implILS5_6ELb0ES3_mN6thrust23THRUST_200600_302600_NS6detail15normal_iteratorINSA_10device_ptrIyEEEEPS6_SG_NS0_5tupleIJSF_S6_EEENSH_IJSG_SG_EEES6_PlJNSB_9not_fun_tINSB_14equal_to_valueIyEEEEEEE10hipError_tPvRmT3_T4_T5_T6_T7_T9_mT8_P12ihipStream_tbDpT10_ENKUlT_T0_E_clISt17integral_constantIbLb0EES17_IbLb1EEEEDaS13_S14_EUlS13_E_NS1_11comp_targetILNS1_3genE8ELNS1_11target_archE1030ELNS1_3gpuE2ELNS1_3repE0EEENS1_30default_config_static_selectorELNS0_4arch9wavefront6targetE0EEEvT1_.uses_flat_scratch, 0
	.set _ZN7rocprim17ROCPRIM_400000_NS6detail17trampoline_kernelINS0_14default_configENS1_25partition_config_selectorILNS1_17partition_subalgoE6EyNS0_10empty_typeEbEEZZNS1_14partition_implILS5_6ELb0ES3_mN6thrust23THRUST_200600_302600_NS6detail15normal_iteratorINSA_10device_ptrIyEEEEPS6_SG_NS0_5tupleIJSF_S6_EEENSH_IJSG_SG_EEES6_PlJNSB_9not_fun_tINSB_14equal_to_valueIyEEEEEEE10hipError_tPvRmT3_T4_T5_T6_T7_T9_mT8_P12ihipStream_tbDpT10_ENKUlT_T0_E_clISt17integral_constantIbLb0EES17_IbLb1EEEEDaS13_S14_EUlS13_E_NS1_11comp_targetILNS1_3genE8ELNS1_11target_archE1030ELNS1_3gpuE2ELNS1_3repE0EEENS1_30default_config_static_selectorELNS0_4arch9wavefront6targetE0EEEvT1_.has_dyn_sized_stack, 0
	.set _ZN7rocprim17ROCPRIM_400000_NS6detail17trampoline_kernelINS0_14default_configENS1_25partition_config_selectorILNS1_17partition_subalgoE6EyNS0_10empty_typeEbEEZZNS1_14partition_implILS5_6ELb0ES3_mN6thrust23THRUST_200600_302600_NS6detail15normal_iteratorINSA_10device_ptrIyEEEEPS6_SG_NS0_5tupleIJSF_S6_EEENSH_IJSG_SG_EEES6_PlJNSB_9not_fun_tINSB_14equal_to_valueIyEEEEEEE10hipError_tPvRmT3_T4_T5_T6_T7_T9_mT8_P12ihipStream_tbDpT10_ENKUlT_T0_E_clISt17integral_constantIbLb0EES17_IbLb1EEEEDaS13_S14_EUlS13_E_NS1_11comp_targetILNS1_3genE8ELNS1_11target_archE1030ELNS1_3gpuE2ELNS1_3repE0EEENS1_30default_config_static_selectorELNS0_4arch9wavefront6targetE0EEEvT1_.has_recursion, 0
	.set _ZN7rocprim17ROCPRIM_400000_NS6detail17trampoline_kernelINS0_14default_configENS1_25partition_config_selectorILNS1_17partition_subalgoE6EyNS0_10empty_typeEbEEZZNS1_14partition_implILS5_6ELb0ES3_mN6thrust23THRUST_200600_302600_NS6detail15normal_iteratorINSA_10device_ptrIyEEEEPS6_SG_NS0_5tupleIJSF_S6_EEENSH_IJSG_SG_EEES6_PlJNSB_9not_fun_tINSB_14equal_to_valueIyEEEEEEE10hipError_tPvRmT3_T4_T5_T6_T7_T9_mT8_P12ihipStream_tbDpT10_ENKUlT_T0_E_clISt17integral_constantIbLb0EES17_IbLb1EEEEDaS13_S14_EUlS13_E_NS1_11comp_targetILNS1_3genE8ELNS1_11target_archE1030ELNS1_3gpuE2ELNS1_3repE0EEENS1_30default_config_static_selectorELNS0_4arch9wavefront6targetE0EEEvT1_.has_indirect_call, 0
	.section	.AMDGPU.csdata,"",@progbits
; Kernel info:
; codeLenInByte = 0
; TotalNumSgprs: 0
; NumVgprs: 0
; ScratchSize: 0
; MemoryBound: 0
; FloatMode: 240
; IeeeMode: 1
; LDSByteSize: 0 bytes/workgroup (compile time only)
; SGPRBlocks: 0
; VGPRBlocks: 0
; NumSGPRsForWavesPerEU: 1
; NumVGPRsForWavesPerEU: 1
; Occupancy: 16
; WaveLimiterHint : 0
; COMPUTE_PGM_RSRC2:SCRATCH_EN: 0
; COMPUTE_PGM_RSRC2:USER_SGPR: 2
; COMPUTE_PGM_RSRC2:TRAP_HANDLER: 0
; COMPUTE_PGM_RSRC2:TGID_X_EN: 1
; COMPUTE_PGM_RSRC2:TGID_Y_EN: 0
; COMPUTE_PGM_RSRC2:TGID_Z_EN: 0
; COMPUTE_PGM_RSRC2:TIDIG_COMP_CNT: 0
	.section	.text._ZN7rocprim17ROCPRIM_400000_NS6detail17trampoline_kernelINS0_14default_configENS1_25partition_config_selectorILNS1_17partition_subalgoE6EjNS0_10empty_typeEbEEZZNS1_14partition_implILS5_6ELb0ES3_mN6thrust23THRUST_200600_302600_NS6detail15normal_iteratorINSA_10device_ptrIjEEEEPS6_SG_NS0_5tupleIJSF_S6_EEENSH_IJSG_SG_EEES6_PlJNSB_9not_fun_tINSB_14equal_to_valueIjEEEEEEE10hipError_tPvRmT3_T4_T5_T6_T7_T9_mT8_P12ihipStream_tbDpT10_ENKUlT_T0_E_clISt17integral_constantIbLb0EES18_EEDaS13_S14_EUlS13_E_NS1_11comp_targetILNS1_3genE0ELNS1_11target_archE4294967295ELNS1_3gpuE0ELNS1_3repE0EEENS1_30default_config_static_selectorELNS0_4arch9wavefront6targetE0EEEvT1_,"axG",@progbits,_ZN7rocprim17ROCPRIM_400000_NS6detail17trampoline_kernelINS0_14default_configENS1_25partition_config_selectorILNS1_17partition_subalgoE6EjNS0_10empty_typeEbEEZZNS1_14partition_implILS5_6ELb0ES3_mN6thrust23THRUST_200600_302600_NS6detail15normal_iteratorINSA_10device_ptrIjEEEEPS6_SG_NS0_5tupleIJSF_S6_EEENSH_IJSG_SG_EEES6_PlJNSB_9not_fun_tINSB_14equal_to_valueIjEEEEEEE10hipError_tPvRmT3_T4_T5_T6_T7_T9_mT8_P12ihipStream_tbDpT10_ENKUlT_T0_E_clISt17integral_constantIbLb0EES18_EEDaS13_S14_EUlS13_E_NS1_11comp_targetILNS1_3genE0ELNS1_11target_archE4294967295ELNS1_3gpuE0ELNS1_3repE0EEENS1_30default_config_static_selectorELNS0_4arch9wavefront6targetE0EEEvT1_,comdat
	.protected	_ZN7rocprim17ROCPRIM_400000_NS6detail17trampoline_kernelINS0_14default_configENS1_25partition_config_selectorILNS1_17partition_subalgoE6EjNS0_10empty_typeEbEEZZNS1_14partition_implILS5_6ELb0ES3_mN6thrust23THRUST_200600_302600_NS6detail15normal_iteratorINSA_10device_ptrIjEEEEPS6_SG_NS0_5tupleIJSF_S6_EEENSH_IJSG_SG_EEES6_PlJNSB_9not_fun_tINSB_14equal_to_valueIjEEEEEEE10hipError_tPvRmT3_T4_T5_T6_T7_T9_mT8_P12ihipStream_tbDpT10_ENKUlT_T0_E_clISt17integral_constantIbLb0EES18_EEDaS13_S14_EUlS13_E_NS1_11comp_targetILNS1_3genE0ELNS1_11target_archE4294967295ELNS1_3gpuE0ELNS1_3repE0EEENS1_30default_config_static_selectorELNS0_4arch9wavefront6targetE0EEEvT1_ ; -- Begin function _ZN7rocprim17ROCPRIM_400000_NS6detail17trampoline_kernelINS0_14default_configENS1_25partition_config_selectorILNS1_17partition_subalgoE6EjNS0_10empty_typeEbEEZZNS1_14partition_implILS5_6ELb0ES3_mN6thrust23THRUST_200600_302600_NS6detail15normal_iteratorINSA_10device_ptrIjEEEEPS6_SG_NS0_5tupleIJSF_S6_EEENSH_IJSG_SG_EEES6_PlJNSB_9not_fun_tINSB_14equal_to_valueIjEEEEEEE10hipError_tPvRmT3_T4_T5_T6_T7_T9_mT8_P12ihipStream_tbDpT10_ENKUlT_T0_E_clISt17integral_constantIbLb0EES18_EEDaS13_S14_EUlS13_E_NS1_11comp_targetILNS1_3genE0ELNS1_11target_archE4294967295ELNS1_3gpuE0ELNS1_3repE0EEENS1_30default_config_static_selectorELNS0_4arch9wavefront6targetE0EEEvT1_
	.globl	_ZN7rocprim17ROCPRIM_400000_NS6detail17trampoline_kernelINS0_14default_configENS1_25partition_config_selectorILNS1_17partition_subalgoE6EjNS0_10empty_typeEbEEZZNS1_14partition_implILS5_6ELb0ES3_mN6thrust23THRUST_200600_302600_NS6detail15normal_iteratorINSA_10device_ptrIjEEEEPS6_SG_NS0_5tupleIJSF_S6_EEENSH_IJSG_SG_EEES6_PlJNSB_9not_fun_tINSB_14equal_to_valueIjEEEEEEE10hipError_tPvRmT3_T4_T5_T6_T7_T9_mT8_P12ihipStream_tbDpT10_ENKUlT_T0_E_clISt17integral_constantIbLb0EES18_EEDaS13_S14_EUlS13_E_NS1_11comp_targetILNS1_3genE0ELNS1_11target_archE4294967295ELNS1_3gpuE0ELNS1_3repE0EEENS1_30default_config_static_selectorELNS0_4arch9wavefront6targetE0EEEvT1_
	.p2align	8
	.type	_ZN7rocprim17ROCPRIM_400000_NS6detail17trampoline_kernelINS0_14default_configENS1_25partition_config_selectorILNS1_17partition_subalgoE6EjNS0_10empty_typeEbEEZZNS1_14partition_implILS5_6ELb0ES3_mN6thrust23THRUST_200600_302600_NS6detail15normal_iteratorINSA_10device_ptrIjEEEEPS6_SG_NS0_5tupleIJSF_S6_EEENSH_IJSG_SG_EEES6_PlJNSB_9not_fun_tINSB_14equal_to_valueIjEEEEEEE10hipError_tPvRmT3_T4_T5_T6_T7_T9_mT8_P12ihipStream_tbDpT10_ENKUlT_T0_E_clISt17integral_constantIbLb0EES18_EEDaS13_S14_EUlS13_E_NS1_11comp_targetILNS1_3genE0ELNS1_11target_archE4294967295ELNS1_3gpuE0ELNS1_3repE0EEENS1_30default_config_static_selectorELNS0_4arch9wavefront6targetE0EEEvT1_,@function
_ZN7rocprim17ROCPRIM_400000_NS6detail17trampoline_kernelINS0_14default_configENS1_25partition_config_selectorILNS1_17partition_subalgoE6EjNS0_10empty_typeEbEEZZNS1_14partition_implILS5_6ELb0ES3_mN6thrust23THRUST_200600_302600_NS6detail15normal_iteratorINSA_10device_ptrIjEEEEPS6_SG_NS0_5tupleIJSF_S6_EEENSH_IJSG_SG_EEES6_PlJNSB_9not_fun_tINSB_14equal_to_valueIjEEEEEEE10hipError_tPvRmT3_T4_T5_T6_T7_T9_mT8_P12ihipStream_tbDpT10_ENKUlT_T0_E_clISt17integral_constantIbLb0EES18_EEDaS13_S14_EUlS13_E_NS1_11comp_targetILNS1_3genE0ELNS1_11target_archE4294967295ELNS1_3gpuE0ELNS1_3repE0EEENS1_30default_config_static_selectorELNS0_4arch9wavefront6targetE0EEEvT1_: ; @_ZN7rocprim17ROCPRIM_400000_NS6detail17trampoline_kernelINS0_14default_configENS1_25partition_config_selectorILNS1_17partition_subalgoE6EjNS0_10empty_typeEbEEZZNS1_14partition_implILS5_6ELb0ES3_mN6thrust23THRUST_200600_302600_NS6detail15normal_iteratorINSA_10device_ptrIjEEEEPS6_SG_NS0_5tupleIJSF_S6_EEENSH_IJSG_SG_EEES6_PlJNSB_9not_fun_tINSB_14equal_to_valueIjEEEEEEE10hipError_tPvRmT3_T4_T5_T6_T7_T9_mT8_P12ihipStream_tbDpT10_ENKUlT_T0_E_clISt17integral_constantIbLb0EES18_EEDaS13_S14_EUlS13_E_NS1_11comp_targetILNS1_3genE0ELNS1_11target_archE4294967295ELNS1_3gpuE0ELNS1_3repE0EEENS1_30default_config_static_selectorELNS0_4arch9wavefront6targetE0EEEvT1_
; %bb.0:
	.section	.rodata,"a",@progbits
	.p2align	6, 0x0
	.amdhsa_kernel _ZN7rocprim17ROCPRIM_400000_NS6detail17trampoline_kernelINS0_14default_configENS1_25partition_config_selectorILNS1_17partition_subalgoE6EjNS0_10empty_typeEbEEZZNS1_14partition_implILS5_6ELb0ES3_mN6thrust23THRUST_200600_302600_NS6detail15normal_iteratorINSA_10device_ptrIjEEEEPS6_SG_NS0_5tupleIJSF_S6_EEENSH_IJSG_SG_EEES6_PlJNSB_9not_fun_tINSB_14equal_to_valueIjEEEEEEE10hipError_tPvRmT3_T4_T5_T6_T7_T9_mT8_P12ihipStream_tbDpT10_ENKUlT_T0_E_clISt17integral_constantIbLb0EES18_EEDaS13_S14_EUlS13_E_NS1_11comp_targetILNS1_3genE0ELNS1_11target_archE4294967295ELNS1_3gpuE0ELNS1_3repE0EEENS1_30default_config_static_selectorELNS0_4arch9wavefront6targetE0EEEvT1_
		.amdhsa_group_segment_fixed_size 0
		.amdhsa_private_segment_fixed_size 0
		.amdhsa_kernarg_size 120
		.amdhsa_user_sgpr_count 2
		.amdhsa_user_sgpr_dispatch_ptr 0
		.amdhsa_user_sgpr_queue_ptr 0
		.amdhsa_user_sgpr_kernarg_segment_ptr 1
		.amdhsa_user_sgpr_dispatch_id 0
		.amdhsa_user_sgpr_private_segment_size 0
		.amdhsa_wavefront_size32 1
		.amdhsa_uses_dynamic_stack 0
		.amdhsa_enable_private_segment 0
		.amdhsa_system_sgpr_workgroup_id_x 1
		.amdhsa_system_sgpr_workgroup_id_y 0
		.amdhsa_system_sgpr_workgroup_id_z 0
		.amdhsa_system_sgpr_workgroup_info 0
		.amdhsa_system_vgpr_workitem_id 0
		.amdhsa_next_free_vgpr 1
		.amdhsa_next_free_sgpr 1
		.amdhsa_reserve_vcc 0
		.amdhsa_float_round_mode_32 0
		.amdhsa_float_round_mode_16_64 0
		.amdhsa_float_denorm_mode_32 3
		.amdhsa_float_denorm_mode_16_64 3
		.amdhsa_fp16_overflow 0
		.amdhsa_workgroup_processor_mode 1
		.amdhsa_memory_ordered 1
		.amdhsa_forward_progress 1
		.amdhsa_inst_pref_size 0
		.amdhsa_round_robin_scheduling 0
		.amdhsa_exception_fp_ieee_invalid_op 0
		.amdhsa_exception_fp_denorm_src 0
		.amdhsa_exception_fp_ieee_div_zero 0
		.amdhsa_exception_fp_ieee_overflow 0
		.amdhsa_exception_fp_ieee_underflow 0
		.amdhsa_exception_fp_ieee_inexact 0
		.amdhsa_exception_int_div_zero 0
	.end_amdhsa_kernel
	.section	.text._ZN7rocprim17ROCPRIM_400000_NS6detail17trampoline_kernelINS0_14default_configENS1_25partition_config_selectorILNS1_17partition_subalgoE6EjNS0_10empty_typeEbEEZZNS1_14partition_implILS5_6ELb0ES3_mN6thrust23THRUST_200600_302600_NS6detail15normal_iteratorINSA_10device_ptrIjEEEEPS6_SG_NS0_5tupleIJSF_S6_EEENSH_IJSG_SG_EEES6_PlJNSB_9not_fun_tINSB_14equal_to_valueIjEEEEEEE10hipError_tPvRmT3_T4_T5_T6_T7_T9_mT8_P12ihipStream_tbDpT10_ENKUlT_T0_E_clISt17integral_constantIbLb0EES18_EEDaS13_S14_EUlS13_E_NS1_11comp_targetILNS1_3genE0ELNS1_11target_archE4294967295ELNS1_3gpuE0ELNS1_3repE0EEENS1_30default_config_static_selectorELNS0_4arch9wavefront6targetE0EEEvT1_,"axG",@progbits,_ZN7rocprim17ROCPRIM_400000_NS6detail17trampoline_kernelINS0_14default_configENS1_25partition_config_selectorILNS1_17partition_subalgoE6EjNS0_10empty_typeEbEEZZNS1_14partition_implILS5_6ELb0ES3_mN6thrust23THRUST_200600_302600_NS6detail15normal_iteratorINSA_10device_ptrIjEEEEPS6_SG_NS0_5tupleIJSF_S6_EEENSH_IJSG_SG_EEES6_PlJNSB_9not_fun_tINSB_14equal_to_valueIjEEEEEEE10hipError_tPvRmT3_T4_T5_T6_T7_T9_mT8_P12ihipStream_tbDpT10_ENKUlT_T0_E_clISt17integral_constantIbLb0EES18_EEDaS13_S14_EUlS13_E_NS1_11comp_targetILNS1_3genE0ELNS1_11target_archE4294967295ELNS1_3gpuE0ELNS1_3repE0EEENS1_30default_config_static_selectorELNS0_4arch9wavefront6targetE0EEEvT1_,comdat
.Lfunc_end373:
	.size	_ZN7rocprim17ROCPRIM_400000_NS6detail17trampoline_kernelINS0_14default_configENS1_25partition_config_selectorILNS1_17partition_subalgoE6EjNS0_10empty_typeEbEEZZNS1_14partition_implILS5_6ELb0ES3_mN6thrust23THRUST_200600_302600_NS6detail15normal_iteratorINSA_10device_ptrIjEEEEPS6_SG_NS0_5tupleIJSF_S6_EEENSH_IJSG_SG_EEES6_PlJNSB_9not_fun_tINSB_14equal_to_valueIjEEEEEEE10hipError_tPvRmT3_T4_T5_T6_T7_T9_mT8_P12ihipStream_tbDpT10_ENKUlT_T0_E_clISt17integral_constantIbLb0EES18_EEDaS13_S14_EUlS13_E_NS1_11comp_targetILNS1_3genE0ELNS1_11target_archE4294967295ELNS1_3gpuE0ELNS1_3repE0EEENS1_30default_config_static_selectorELNS0_4arch9wavefront6targetE0EEEvT1_, .Lfunc_end373-_ZN7rocprim17ROCPRIM_400000_NS6detail17trampoline_kernelINS0_14default_configENS1_25partition_config_selectorILNS1_17partition_subalgoE6EjNS0_10empty_typeEbEEZZNS1_14partition_implILS5_6ELb0ES3_mN6thrust23THRUST_200600_302600_NS6detail15normal_iteratorINSA_10device_ptrIjEEEEPS6_SG_NS0_5tupleIJSF_S6_EEENSH_IJSG_SG_EEES6_PlJNSB_9not_fun_tINSB_14equal_to_valueIjEEEEEEE10hipError_tPvRmT3_T4_T5_T6_T7_T9_mT8_P12ihipStream_tbDpT10_ENKUlT_T0_E_clISt17integral_constantIbLb0EES18_EEDaS13_S14_EUlS13_E_NS1_11comp_targetILNS1_3genE0ELNS1_11target_archE4294967295ELNS1_3gpuE0ELNS1_3repE0EEENS1_30default_config_static_selectorELNS0_4arch9wavefront6targetE0EEEvT1_
                                        ; -- End function
	.set _ZN7rocprim17ROCPRIM_400000_NS6detail17trampoline_kernelINS0_14default_configENS1_25partition_config_selectorILNS1_17partition_subalgoE6EjNS0_10empty_typeEbEEZZNS1_14partition_implILS5_6ELb0ES3_mN6thrust23THRUST_200600_302600_NS6detail15normal_iteratorINSA_10device_ptrIjEEEEPS6_SG_NS0_5tupleIJSF_S6_EEENSH_IJSG_SG_EEES6_PlJNSB_9not_fun_tINSB_14equal_to_valueIjEEEEEEE10hipError_tPvRmT3_T4_T5_T6_T7_T9_mT8_P12ihipStream_tbDpT10_ENKUlT_T0_E_clISt17integral_constantIbLb0EES18_EEDaS13_S14_EUlS13_E_NS1_11comp_targetILNS1_3genE0ELNS1_11target_archE4294967295ELNS1_3gpuE0ELNS1_3repE0EEENS1_30default_config_static_selectorELNS0_4arch9wavefront6targetE0EEEvT1_.num_vgpr, 0
	.set _ZN7rocprim17ROCPRIM_400000_NS6detail17trampoline_kernelINS0_14default_configENS1_25partition_config_selectorILNS1_17partition_subalgoE6EjNS0_10empty_typeEbEEZZNS1_14partition_implILS5_6ELb0ES3_mN6thrust23THRUST_200600_302600_NS6detail15normal_iteratorINSA_10device_ptrIjEEEEPS6_SG_NS0_5tupleIJSF_S6_EEENSH_IJSG_SG_EEES6_PlJNSB_9not_fun_tINSB_14equal_to_valueIjEEEEEEE10hipError_tPvRmT3_T4_T5_T6_T7_T9_mT8_P12ihipStream_tbDpT10_ENKUlT_T0_E_clISt17integral_constantIbLb0EES18_EEDaS13_S14_EUlS13_E_NS1_11comp_targetILNS1_3genE0ELNS1_11target_archE4294967295ELNS1_3gpuE0ELNS1_3repE0EEENS1_30default_config_static_selectorELNS0_4arch9wavefront6targetE0EEEvT1_.num_agpr, 0
	.set _ZN7rocprim17ROCPRIM_400000_NS6detail17trampoline_kernelINS0_14default_configENS1_25partition_config_selectorILNS1_17partition_subalgoE6EjNS0_10empty_typeEbEEZZNS1_14partition_implILS5_6ELb0ES3_mN6thrust23THRUST_200600_302600_NS6detail15normal_iteratorINSA_10device_ptrIjEEEEPS6_SG_NS0_5tupleIJSF_S6_EEENSH_IJSG_SG_EEES6_PlJNSB_9not_fun_tINSB_14equal_to_valueIjEEEEEEE10hipError_tPvRmT3_T4_T5_T6_T7_T9_mT8_P12ihipStream_tbDpT10_ENKUlT_T0_E_clISt17integral_constantIbLb0EES18_EEDaS13_S14_EUlS13_E_NS1_11comp_targetILNS1_3genE0ELNS1_11target_archE4294967295ELNS1_3gpuE0ELNS1_3repE0EEENS1_30default_config_static_selectorELNS0_4arch9wavefront6targetE0EEEvT1_.numbered_sgpr, 0
	.set _ZN7rocprim17ROCPRIM_400000_NS6detail17trampoline_kernelINS0_14default_configENS1_25partition_config_selectorILNS1_17partition_subalgoE6EjNS0_10empty_typeEbEEZZNS1_14partition_implILS5_6ELb0ES3_mN6thrust23THRUST_200600_302600_NS6detail15normal_iteratorINSA_10device_ptrIjEEEEPS6_SG_NS0_5tupleIJSF_S6_EEENSH_IJSG_SG_EEES6_PlJNSB_9not_fun_tINSB_14equal_to_valueIjEEEEEEE10hipError_tPvRmT3_T4_T5_T6_T7_T9_mT8_P12ihipStream_tbDpT10_ENKUlT_T0_E_clISt17integral_constantIbLb0EES18_EEDaS13_S14_EUlS13_E_NS1_11comp_targetILNS1_3genE0ELNS1_11target_archE4294967295ELNS1_3gpuE0ELNS1_3repE0EEENS1_30default_config_static_selectorELNS0_4arch9wavefront6targetE0EEEvT1_.num_named_barrier, 0
	.set _ZN7rocprim17ROCPRIM_400000_NS6detail17trampoline_kernelINS0_14default_configENS1_25partition_config_selectorILNS1_17partition_subalgoE6EjNS0_10empty_typeEbEEZZNS1_14partition_implILS5_6ELb0ES3_mN6thrust23THRUST_200600_302600_NS6detail15normal_iteratorINSA_10device_ptrIjEEEEPS6_SG_NS0_5tupleIJSF_S6_EEENSH_IJSG_SG_EEES6_PlJNSB_9not_fun_tINSB_14equal_to_valueIjEEEEEEE10hipError_tPvRmT3_T4_T5_T6_T7_T9_mT8_P12ihipStream_tbDpT10_ENKUlT_T0_E_clISt17integral_constantIbLb0EES18_EEDaS13_S14_EUlS13_E_NS1_11comp_targetILNS1_3genE0ELNS1_11target_archE4294967295ELNS1_3gpuE0ELNS1_3repE0EEENS1_30default_config_static_selectorELNS0_4arch9wavefront6targetE0EEEvT1_.private_seg_size, 0
	.set _ZN7rocprim17ROCPRIM_400000_NS6detail17trampoline_kernelINS0_14default_configENS1_25partition_config_selectorILNS1_17partition_subalgoE6EjNS0_10empty_typeEbEEZZNS1_14partition_implILS5_6ELb0ES3_mN6thrust23THRUST_200600_302600_NS6detail15normal_iteratorINSA_10device_ptrIjEEEEPS6_SG_NS0_5tupleIJSF_S6_EEENSH_IJSG_SG_EEES6_PlJNSB_9not_fun_tINSB_14equal_to_valueIjEEEEEEE10hipError_tPvRmT3_T4_T5_T6_T7_T9_mT8_P12ihipStream_tbDpT10_ENKUlT_T0_E_clISt17integral_constantIbLb0EES18_EEDaS13_S14_EUlS13_E_NS1_11comp_targetILNS1_3genE0ELNS1_11target_archE4294967295ELNS1_3gpuE0ELNS1_3repE0EEENS1_30default_config_static_selectorELNS0_4arch9wavefront6targetE0EEEvT1_.uses_vcc, 0
	.set _ZN7rocprim17ROCPRIM_400000_NS6detail17trampoline_kernelINS0_14default_configENS1_25partition_config_selectorILNS1_17partition_subalgoE6EjNS0_10empty_typeEbEEZZNS1_14partition_implILS5_6ELb0ES3_mN6thrust23THRUST_200600_302600_NS6detail15normal_iteratorINSA_10device_ptrIjEEEEPS6_SG_NS0_5tupleIJSF_S6_EEENSH_IJSG_SG_EEES6_PlJNSB_9not_fun_tINSB_14equal_to_valueIjEEEEEEE10hipError_tPvRmT3_T4_T5_T6_T7_T9_mT8_P12ihipStream_tbDpT10_ENKUlT_T0_E_clISt17integral_constantIbLb0EES18_EEDaS13_S14_EUlS13_E_NS1_11comp_targetILNS1_3genE0ELNS1_11target_archE4294967295ELNS1_3gpuE0ELNS1_3repE0EEENS1_30default_config_static_selectorELNS0_4arch9wavefront6targetE0EEEvT1_.uses_flat_scratch, 0
	.set _ZN7rocprim17ROCPRIM_400000_NS6detail17trampoline_kernelINS0_14default_configENS1_25partition_config_selectorILNS1_17partition_subalgoE6EjNS0_10empty_typeEbEEZZNS1_14partition_implILS5_6ELb0ES3_mN6thrust23THRUST_200600_302600_NS6detail15normal_iteratorINSA_10device_ptrIjEEEEPS6_SG_NS0_5tupleIJSF_S6_EEENSH_IJSG_SG_EEES6_PlJNSB_9not_fun_tINSB_14equal_to_valueIjEEEEEEE10hipError_tPvRmT3_T4_T5_T6_T7_T9_mT8_P12ihipStream_tbDpT10_ENKUlT_T0_E_clISt17integral_constantIbLb0EES18_EEDaS13_S14_EUlS13_E_NS1_11comp_targetILNS1_3genE0ELNS1_11target_archE4294967295ELNS1_3gpuE0ELNS1_3repE0EEENS1_30default_config_static_selectorELNS0_4arch9wavefront6targetE0EEEvT1_.has_dyn_sized_stack, 0
	.set _ZN7rocprim17ROCPRIM_400000_NS6detail17trampoline_kernelINS0_14default_configENS1_25partition_config_selectorILNS1_17partition_subalgoE6EjNS0_10empty_typeEbEEZZNS1_14partition_implILS5_6ELb0ES3_mN6thrust23THRUST_200600_302600_NS6detail15normal_iteratorINSA_10device_ptrIjEEEEPS6_SG_NS0_5tupleIJSF_S6_EEENSH_IJSG_SG_EEES6_PlJNSB_9not_fun_tINSB_14equal_to_valueIjEEEEEEE10hipError_tPvRmT3_T4_T5_T6_T7_T9_mT8_P12ihipStream_tbDpT10_ENKUlT_T0_E_clISt17integral_constantIbLb0EES18_EEDaS13_S14_EUlS13_E_NS1_11comp_targetILNS1_3genE0ELNS1_11target_archE4294967295ELNS1_3gpuE0ELNS1_3repE0EEENS1_30default_config_static_selectorELNS0_4arch9wavefront6targetE0EEEvT1_.has_recursion, 0
	.set _ZN7rocprim17ROCPRIM_400000_NS6detail17trampoline_kernelINS0_14default_configENS1_25partition_config_selectorILNS1_17partition_subalgoE6EjNS0_10empty_typeEbEEZZNS1_14partition_implILS5_6ELb0ES3_mN6thrust23THRUST_200600_302600_NS6detail15normal_iteratorINSA_10device_ptrIjEEEEPS6_SG_NS0_5tupleIJSF_S6_EEENSH_IJSG_SG_EEES6_PlJNSB_9not_fun_tINSB_14equal_to_valueIjEEEEEEE10hipError_tPvRmT3_T4_T5_T6_T7_T9_mT8_P12ihipStream_tbDpT10_ENKUlT_T0_E_clISt17integral_constantIbLb0EES18_EEDaS13_S14_EUlS13_E_NS1_11comp_targetILNS1_3genE0ELNS1_11target_archE4294967295ELNS1_3gpuE0ELNS1_3repE0EEENS1_30default_config_static_selectorELNS0_4arch9wavefront6targetE0EEEvT1_.has_indirect_call, 0
	.section	.AMDGPU.csdata,"",@progbits
; Kernel info:
; codeLenInByte = 0
; TotalNumSgprs: 0
; NumVgprs: 0
; ScratchSize: 0
; MemoryBound: 0
; FloatMode: 240
; IeeeMode: 1
; LDSByteSize: 0 bytes/workgroup (compile time only)
; SGPRBlocks: 0
; VGPRBlocks: 0
; NumSGPRsForWavesPerEU: 1
; NumVGPRsForWavesPerEU: 1
; Occupancy: 16
; WaveLimiterHint : 0
; COMPUTE_PGM_RSRC2:SCRATCH_EN: 0
; COMPUTE_PGM_RSRC2:USER_SGPR: 2
; COMPUTE_PGM_RSRC2:TRAP_HANDLER: 0
; COMPUTE_PGM_RSRC2:TGID_X_EN: 1
; COMPUTE_PGM_RSRC2:TGID_Y_EN: 0
; COMPUTE_PGM_RSRC2:TGID_Z_EN: 0
; COMPUTE_PGM_RSRC2:TIDIG_COMP_CNT: 0
	.section	.text._ZN7rocprim17ROCPRIM_400000_NS6detail17trampoline_kernelINS0_14default_configENS1_25partition_config_selectorILNS1_17partition_subalgoE6EjNS0_10empty_typeEbEEZZNS1_14partition_implILS5_6ELb0ES3_mN6thrust23THRUST_200600_302600_NS6detail15normal_iteratorINSA_10device_ptrIjEEEEPS6_SG_NS0_5tupleIJSF_S6_EEENSH_IJSG_SG_EEES6_PlJNSB_9not_fun_tINSB_14equal_to_valueIjEEEEEEE10hipError_tPvRmT3_T4_T5_T6_T7_T9_mT8_P12ihipStream_tbDpT10_ENKUlT_T0_E_clISt17integral_constantIbLb0EES18_EEDaS13_S14_EUlS13_E_NS1_11comp_targetILNS1_3genE5ELNS1_11target_archE942ELNS1_3gpuE9ELNS1_3repE0EEENS1_30default_config_static_selectorELNS0_4arch9wavefront6targetE0EEEvT1_,"axG",@progbits,_ZN7rocprim17ROCPRIM_400000_NS6detail17trampoline_kernelINS0_14default_configENS1_25partition_config_selectorILNS1_17partition_subalgoE6EjNS0_10empty_typeEbEEZZNS1_14partition_implILS5_6ELb0ES3_mN6thrust23THRUST_200600_302600_NS6detail15normal_iteratorINSA_10device_ptrIjEEEEPS6_SG_NS0_5tupleIJSF_S6_EEENSH_IJSG_SG_EEES6_PlJNSB_9not_fun_tINSB_14equal_to_valueIjEEEEEEE10hipError_tPvRmT3_T4_T5_T6_T7_T9_mT8_P12ihipStream_tbDpT10_ENKUlT_T0_E_clISt17integral_constantIbLb0EES18_EEDaS13_S14_EUlS13_E_NS1_11comp_targetILNS1_3genE5ELNS1_11target_archE942ELNS1_3gpuE9ELNS1_3repE0EEENS1_30default_config_static_selectorELNS0_4arch9wavefront6targetE0EEEvT1_,comdat
	.protected	_ZN7rocprim17ROCPRIM_400000_NS6detail17trampoline_kernelINS0_14default_configENS1_25partition_config_selectorILNS1_17partition_subalgoE6EjNS0_10empty_typeEbEEZZNS1_14partition_implILS5_6ELb0ES3_mN6thrust23THRUST_200600_302600_NS6detail15normal_iteratorINSA_10device_ptrIjEEEEPS6_SG_NS0_5tupleIJSF_S6_EEENSH_IJSG_SG_EEES6_PlJNSB_9not_fun_tINSB_14equal_to_valueIjEEEEEEE10hipError_tPvRmT3_T4_T5_T6_T7_T9_mT8_P12ihipStream_tbDpT10_ENKUlT_T0_E_clISt17integral_constantIbLb0EES18_EEDaS13_S14_EUlS13_E_NS1_11comp_targetILNS1_3genE5ELNS1_11target_archE942ELNS1_3gpuE9ELNS1_3repE0EEENS1_30default_config_static_selectorELNS0_4arch9wavefront6targetE0EEEvT1_ ; -- Begin function _ZN7rocprim17ROCPRIM_400000_NS6detail17trampoline_kernelINS0_14default_configENS1_25partition_config_selectorILNS1_17partition_subalgoE6EjNS0_10empty_typeEbEEZZNS1_14partition_implILS5_6ELb0ES3_mN6thrust23THRUST_200600_302600_NS6detail15normal_iteratorINSA_10device_ptrIjEEEEPS6_SG_NS0_5tupleIJSF_S6_EEENSH_IJSG_SG_EEES6_PlJNSB_9not_fun_tINSB_14equal_to_valueIjEEEEEEE10hipError_tPvRmT3_T4_T5_T6_T7_T9_mT8_P12ihipStream_tbDpT10_ENKUlT_T0_E_clISt17integral_constantIbLb0EES18_EEDaS13_S14_EUlS13_E_NS1_11comp_targetILNS1_3genE5ELNS1_11target_archE942ELNS1_3gpuE9ELNS1_3repE0EEENS1_30default_config_static_selectorELNS0_4arch9wavefront6targetE0EEEvT1_
	.globl	_ZN7rocprim17ROCPRIM_400000_NS6detail17trampoline_kernelINS0_14default_configENS1_25partition_config_selectorILNS1_17partition_subalgoE6EjNS0_10empty_typeEbEEZZNS1_14partition_implILS5_6ELb0ES3_mN6thrust23THRUST_200600_302600_NS6detail15normal_iteratorINSA_10device_ptrIjEEEEPS6_SG_NS0_5tupleIJSF_S6_EEENSH_IJSG_SG_EEES6_PlJNSB_9not_fun_tINSB_14equal_to_valueIjEEEEEEE10hipError_tPvRmT3_T4_T5_T6_T7_T9_mT8_P12ihipStream_tbDpT10_ENKUlT_T0_E_clISt17integral_constantIbLb0EES18_EEDaS13_S14_EUlS13_E_NS1_11comp_targetILNS1_3genE5ELNS1_11target_archE942ELNS1_3gpuE9ELNS1_3repE0EEENS1_30default_config_static_selectorELNS0_4arch9wavefront6targetE0EEEvT1_
	.p2align	8
	.type	_ZN7rocprim17ROCPRIM_400000_NS6detail17trampoline_kernelINS0_14default_configENS1_25partition_config_selectorILNS1_17partition_subalgoE6EjNS0_10empty_typeEbEEZZNS1_14partition_implILS5_6ELb0ES3_mN6thrust23THRUST_200600_302600_NS6detail15normal_iteratorINSA_10device_ptrIjEEEEPS6_SG_NS0_5tupleIJSF_S6_EEENSH_IJSG_SG_EEES6_PlJNSB_9not_fun_tINSB_14equal_to_valueIjEEEEEEE10hipError_tPvRmT3_T4_T5_T6_T7_T9_mT8_P12ihipStream_tbDpT10_ENKUlT_T0_E_clISt17integral_constantIbLb0EES18_EEDaS13_S14_EUlS13_E_NS1_11comp_targetILNS1_3genE5ELNS1_11target_archE942ELNS1_3gpuE9ELNS1_3repE0EEENS1_30default_config_static_selectorELNS0_4arch9wavefront6targetE0EEEvT1_,@function
_ZN7rocprim17ROCPRIM_400000_NS6detail17trampoline_kernelINS0_14default_configENS1_25partition_config_selectorILNS1_17partition_subalgoE6EjNS0_10empty_typeEbEEZZNS1_14partition_implILS5_6ELb0ES3_mN6thrust23THRUST_200600_302600_NS6detail15normal_iteratorINSA_10device_ptrIjEEEEPS6_SG_NS0_5tupleIJSF_S6_EEENSH_IJSG_SG_EEES6_PlJNSB_9not_fun_tINSB_14equal_to_valueIjEEEEEEE10hipError_tPvRmT3_T4_T5_T6_T7_T9_mT8_P12ihipStream_tbDpT10_ENKUlT_T0_E_clISt17integral_constantIbLb0EES18_EEDaS13_S14_EUlS13_E_NS1_11comp_targetILNS1_3genE5ELNS1_11target_archE942ELNS1_3gpuE9ELNS1_3repE0EEENS1_30default_config_static_selectorELNS0_4arch9wavefront6targetE0EEEvT1_: ; @_ZN7rocprim17ROCPRIM_400000_NS6detail17trampoline_kernelINS0_14default_configENS1_25partition_config_selectorILNS1_17partition_subalgoE6EjNS0_10empty_typeEbEEZZNS1_14partition_implILS5_6ELb0ES3_mN6thrust23THRUST_200600_302600_NS6detail15normal_iteratorINSA_10device_ptrIjEEEEPS6_SG_NS0_5tupleIJSF_S6_EEENSH_IJSG_SG_EEES6_PlJNSB_9not_fun_tINSB_14equal_to_valueIjEEEEEEE10hipError_tPvRmT3_T4_T5_T6_T7_T9_mT8_P12ihipStream_tbDpT10_ENKUlT_T0_E_clISt17integral_constantIbLb0EES18_EEDaS13_S14_EUlS13_E_NS1_11comp_targetILNS1_3genE5ELNS1_11target_archE942ELNS1_3gpuE9ELNS1_3repE0EEENS1_30default_config_static_selectorELNS0_4arch9wavefront6targetE0EEEvT1_
; %bb.0:
	.section	.rodata,"a",@progbits
	.p2align	6, 0x0
	.amdhsa_kernel _ZN7rocprim17ROCPRIM_400000_NS6detail17trampoline_kernelINS0_14default_configENS1_25partition_config_selectorILNS1_17partition_subalgoE6EjNS0_10empty_typeEbEEZZNS1_14partition_implILS5_6ELb0ES3_mN6thrust23THRUST_200600_302600_NS6detail15normal_iteratorINSA_10device_ptrIjEEEEPS6_SG_NS0_5tupleIJSF_S6_EEENSH_IJSG_SG_EEES6_PlJNSB_9not_fun_tINSB_14equal_to_valueIjEEEEEEE10hipError_tPvRmT3_T4_T5_T6_T7_T9_mT8_P12ihipStream_tbDpT10_ENKUlT_T0_E_clISt17integral_constantIbLb0EES18_EEDaS13_S14_EUlS13_E_NS1_11comp_targetILNS1_3genE5ELNS1_11target_archE942ELNS1_3gpuE9ELNS1_3repE0EEENS1_30default_config_static_selectorELNS0_4arch9wavefront6targetE0EEEvT1_
		.amdhsa_group_segment_fixed_size 0
		.amdhsa_private_segment_fixed_size 0
		.amdhsa_kernarg_size 120
		.amdhsa_user_sgpr_count 2
		.amdhsa_user_sgpr_dispatch_ptr 0
		.amdhsa_user_sgpr_queue_ptr 0
		.amdhsa_user_sgpr_kernarg_segment_ptr 1
		.amdhsa_user_sgpr_dispatch_id 0
		.amdhsa_user_sgpr_private_segment_size 0
		.amdhsa_wavefront_size32 1
		.amdhsa_uses_dynamic_stack 0
		.amdhsa_enable_private_segment 0
		.amdhsa_system_sgpr_workgroup_id_x 1
		.amdhsa_system_sgpr_workgroup_id_y 0
		.amdhsa_system_sgpr_workgroup_id_z 0
		.amdhsa_system_sgpr_workgroup_info 0
		.amdhsa_system_vgpr_workitem_id 0
		.amdhsa_next_free_vgpr 1
		.amdhsa_next_free_sgpr 1
		.amdhsa_reserve_vcc 0
		.amdhsa_float_round_mode_32 0
		.amdhsa_float_round_mode_16_64 0
		.amdhsa_float_denorm_mode_32 3
		.amdhsa_float_denorm_mode_16_64 3
		.amdhsa_fp16_overflow 0
		.amdhsa_workgroup_processor_mode 1
		.amdhsa_memory_ordered 1
		.amdhsa_forward_progress 1
		.amdhsa_inst_pref_size 0
		.amdhsa_round_robin_scheduling 0
		.amdhsa_exception_fp_ieee_invalid_op 0
		.amdhsa_exception_fp_denorm_src 0
		.amdhsa_exception_fp_ieee_div_zero 0
		.amdhsa_exception_fp_ieee_overflow 0
		.amdhsa_exception_fp_ieee_underflow 0
		.amdhsa_exception_fp_ieee_inexact 0
		.amdhsa_exception_int_div_zero 0
	.end_amdhsa_kernel
	.section	.text._ZN7rocprim17ROCPRIM_400000_NS6detail17trampoline_kernelINS0_14default_configENS1_25partition_config_selectorILNS1_17partition_subalgoE6EjNS0_10empty_typeEbEEZZNS1_14partition_implILS5_6ELb0ES3_mN6thrust23THRUST_200600_302600_NS6detail15normal_iteratorINSA_10device_ptrIjEEEEPS6_SG_NS0_5tupleIJSF_S6_EEENSH_IJSG_SG_EEES6_PlJNSB_9not_fun_tINSB_14equal_to_valueIjEEEEEEE10hipError_tPvRmT3_T4_T5_T6_T7_T9_mT8_P12ihipStream_tbDpT10_ENKUlT_T0_E_clISt17integral_constantIbLb0EES18_EEDaS13_S14_EUlS13_E_NS1_11comp_targetILNS1_3genE5ELNS1_11target_archE942ELNS1_3gpuE9ELNS1_3repE0EEENS1_30default_config_static_selectorELNS0_4arch9wavefront6targetE0EEEvT1_,"axG",@progbits,_ZN7rocprim17ROCPRIM_400000_NS6detail17trampoline_kernelINS0_14default_configENS1_25partition_config_selectorILNS1_17partition_subalgoE6EjNS0_10empty_typeEbEEZZNS1_14partition_implILS5_6ELb0ES3_mN6thrust23THRUST_200600_302600_NS6detail15normal_iteratorINSA_10device_ptrIjEEEEPS6_SG_NS0_5tupleIJSF_S6_EEENSH_IJSG_SG_EEES6_PlJNSB_9not_fun_tINSB_14equal_to_valueIjEEEEEEE10hipError_tPvRmT3_T4_T5_T6_T7_T9_mT8_P12ihipStream_tbDpT10_ENKUlT_T0_E_clISt17integral_constantIbLb0EES18_EEDaS13_S14_EUlS13_E_NS1_11comp_targetILNS1_3genE5ELNS1_11target_archE942ELNS1_3gpuE9ELNS1_3repE0EEENS1_30default_config_static_selectorELNS0_4arch9wavefront6targetE0EEEvT1_,comdat
.Lfunc_end374:
	.size	_ZN7rocprim17ROCPRIM_400000_NS6detail17trampoline_kernelINS0_14default_configENS1_25partition_config_selectorILNS1_17partition_subalgoE6EjNS0_10empty_typeEbEEZZNS1_14partition_implILS5_6ELb0ES3_mN6thrust23THRUST_200600_302600_NS6detail15normal_iteratorINSA_10device_ptrIjEEEEPS6_SG_NS0_5tupleIJSF_S6_EEENSH_IJSG_SG_EEES6_PlJNSB_9not_fun_tINSB_14equal_to_valueIjEEEEEEE10hipError_tPvRmT3_T4_T5_T6_T7_T9_mT8_P12ihipStream_tbDpT10_ENKUlT_T0_E_clISt17integral_constantIbLb0EES18_EEDaS13_S14_EUlS13_E_NS1_11comp_targetILNS1_3genE5ELNS1_11target_archE942ELNS1_3gpuE9ELNS1_3repE0EEENS1_30default_config_static_selectorELNS0_4arch9wavefront6targetE0EEEvT1_, .Lfunc_end374-_ZN7rocprim17ROCPRIM_400000_NS6detail17trampoline_kernelINS0_14default_configENS1_25partition_config_selectorILNS1_17partition_subalgoE6EjNS0_10empty_typeEbEEZZNS1_14partition_implILS5_6ELb0ES3_mN6thrust23THRUST_200600_302600_NS6detail15normal_iteratorINSA_10device_ptrIjEEEEPS6_SG_NS0_5tupleIJSF_S6_EEENSH_IJSG_SG_EEES6_PlJNSB_9not_fun_tINSB_14equal_to_valueIjEEEEEEE10hipError_tPvRmT3_T4_T5_T6_T7_T9_mT8_P12ihipStream_tbDpT10_ENKUlT_T0_E_clISt17integral_constantIbLb0EES18_EEDaS13_S14_EUlS13_E_NS1_11comp_targetILNS1_3genE5ELNS1_11target_archE942ELNS1_3gpuE9ELNS1_3repE0EEENS1_30default_config_static_selectorELNS0_4arch9wavefront6targetE0EEEvT1_
                                        ; -- End function
	.set _ZN7rocprim17ROCPRIM_400000_NS6detail17trampoline_kernelINS0_14default_configENS1_25partition_config_selectorILNS1_17partition_subalgoE6EjNS0_10empty_typeEbEEZZNS1_14partition_implILS5_6ELb0ES3_mN6thrust23THRUST_200600_302600_NS6detail15normal_iteratorINSA_10device_ptrIjEEEEPS6_SG_NS0_5tupleIJSF_S6_EEENSH_IJSG_SG_EEES6_PlJNSB_9not_fun_tINSB_14equal_to_valueIjEEEEEEE10hipError_tPvRmT3_T4_T5_T6_T7_T9_mT8_P12ihipStream_tbDpT10_ENKUlT_T0_E_clISt17integral_constantIbLb0EES18_EEDaS13_S14_EUlS13_E_NS1_11comp_targetILNS1_3genE5ELNS1_11target_archE942ELNS1_3gpuE9ELNS1_3repE0EEENS1_30default_config_static_selectorELNS0_4arch9wavefront6targetE0EEEvT1_.num_vgpr, 0
	.set _ZN7rocprim17ROCPRIM_400000_NS6detail17trampoline_kernelINS0_14default_configENS1_25partition_config_selectorILNS1_17partition_subalgoE6EjNS0_10empty_typeEbEEZZNS1_14partition_implILS5_6ELb0ES3_mN6thrust23THRUST_200600_302600_NS6detail15normal_iteratorINSA_10device_ptrIjEEEEPS6_SG_NS0_5tupleIJSF_S6_EEENSH_IJSG_SG_EEES6_PlJNSB_9not_fun_tINSB_14equal_to_valueIjEEEEEEE10hipError_tPvRmT3_T4_T5_T6_T7_T9_mT8_P12ihipStream_tbDpT10_ENKUlT_T0_E_clISt17integral_constantIbLb0EES18_EEDaS13_S14_EUlS13_E_NS1_11comp_targetILNS1_3genE5ELNS1_11target_archE942ELNS1_3gpuE9ELNS1_3repE0EEENS1_30default_config_static_selectorELNS0_4arch9wavefront6targetE0EEEvT1_.num_agpr, 0
	.set _ZN7rocprim17ROCPRIM_400000_NS6detail17trampoline_kernelINS0_14default_configENS1_25partition_config_selectorILNS1_17partition_subalgoE6EjNS0_10empty_typeEbEEZZNS1_14partition_implILS5_6ELb0ES3_mN6thrust23THRUST_200600_302600_NS6detail15normal_iteratorINSA_10device_ptrIjEEEEPS6_SG_NS0_5tupleIJSF_S6_EEENSH_IJSG_SG_EEES6_PlJNSB_9not_fun_tINSB_14equal_to_valueIjEEEEEEE10hipError_tPvRmT3_T4_T5_T6_T7_T9_mT8_P12ihipStream_tbDpT10_ENKUlT_T0_E_clISt17integral_constantIbLb0EES18_EEDaS13_S14_EUlS13_E_NS1_11comp_targetILNS1_3genE5ELNS1_11target_archE942ELNS1_3gpuE9ELNS1_3repE0EEENS1_30default_config_static_selectorELNS0_4arch9wavefront6targetE0EEEvT1_.numbered_sgpr, 0
	.set _ZN7rocprim17ROCPRIM_400000_NS6detail17trampoline_kernelINS0_14default_configENS1_25partition_config_selectorILNS1_17partition_subalgoE6EjNS0_10empty_typeEbEEZZNS1_14partition_implILS5_6ELb0ES3_mN6thrust23THRUST_200600_302600_NS6detail15normal_iteratorINSA_10device_ptrIjEEEEPS6_SG_NS0_5tupleIJSF_S6_EEENSH_IJSG_SG_EEES6_PlJNSB_9not_fun_tINSB_14equal_to_valueIjEEEEEEE10hipError_tPvRmT3_T4_T5_T6_T7_T9_mT8_P12ihipStream_tbDpT10_ENKUlT_T0_E_clISt17integral_constantIbLb0EES18_EEDaS13_S14_EUlS13_E_NS1_11comp_targetILNS1_3genE5ELNS1_11target_archE942ELNS1_3gpuE9ELNS1_3repE0EEENS1_30default_config_static_selectorELNS0_4arch9wavefront6targetE0EEEvT1_.num_named_barrier, 0
	.set _ZN7rocprim17ROCPRIM_400000_NS6detail17trampoline_kernelINS0_14default_configENS1_25partition_config_selectorILNS1_17partition_subalgoE6EjNS0_10empty_typeEbEEZZNS1_14partition_implILS5_6ELb0ES3_mN6thrust23THRUST_200600_302600_NS6detail15normal_iteratorINSA_10device_ptrIjEEEEPS6_SG_NS0_5tupleIJSF_S6_EEENSH_IJSG_SG_EEES6_PlJNSB_9not_fun_tINSB_14equal_to_valueIjEEEEEEE10hipError_tPvRmT3_T4_T5_T6_T7_T9_mT8_P12ihipStream_tbDpT10_ENKUlT_T0_E_clISt17integral_constantIbLb0EES18_EEDaS13_S14_EUlS13_E_NS1_11comp_targetILNS1_3genE5ELNS1_11target_archE942ELNS1_3gpuE9ELNS1_3repE0EEENS1_30default_config_static_selectorELNS0_4arch9wavefront6targetE0EEEvT1_.private_seg_size, 0
	.set _ZN7rocprim17ROCPRIM_400000_NS6detail17trampoline_kernelINS0_14default_configENS1_25partition_config_selectorILNS1_17partition_subalgoE6EjNS0_10empty_typeEbEEZZNS1_14partition_implILS5_6ELb0ES3_mN6thrust23THRUST_200600_302600_NS6detail15normal_iteratorINSA_10device_ptrIjEEEEPS6_SG_NS0_5tupleIJSF_S6_EEENSH_IJSG_SG_EEES6_PlJNSB_9not_fun_tINSB_14equal_to_valueIjEEEEEEE10hipError_tPvRmT3_T4_T5_T6_T7_T9_mT8_P12ihipStream_tbDpT10_ENKUlT_T0_E_clISt17integral_constantIbLb0EES18_EEDaS13_S14_EUlS13_E_NS1_11comp_targetILNS1_3genE5ELNS1_11target_archE942ELNS1_3gpuE9ELNS1_3repE0EEENS1_30default_config_static_selectorELNS0_4arch9wavefront6targetE0EEEvT1_.uses_vcc, 0
	.set _ZN7rocprim17ROCPRIM_400000_NS6detail17trampoline_kernelINS0_14default_configENS1_25partition_config_selectorILNS1_17partition_subalgoE6EjNS0_10empty_typeEbEEZZNS1_14partition_implILS5_6ELb0ES3_mN6thrust23THRUST_200600_302600_NS6detail15normal_iteratorINSA_10device_ptrIjEEEEPS6_SG_NS0_5tupleIJSF_S6_EEENSH_IJSG_SG_EEES6_PlJNSB_9not_fun_tINSB_14equal_to_valueIjEEEEEEE10hipError_tPvRmT3_T4_T5_T6_T7_T9_mT8_P12ihipStream_tbDpT10_ENKUlT_T0_E_clISt17integral_constantIbLb0EES18_EEDaS13_S14_EUlS13_E_NS1_11comp_targetILNS1_3genE5ELNS1_11target_archE942ELNS1_3gpuE9ELNS1_3repE0EEENS1_30default_config_static_selectorELNS0_4arch9wavefront6targetE0EEEvT1_.uses_flat_scratch, 0
	.set _ZN7rocprim17ROCPRIM_400000_NS6detail17trampoline_kernelINS0_14default_configENS1_25partition_config_selectorILNS1_17partition_subalgoE6EjNS0_10empty_typeEbEEZZNS1_14partition_implILS5_6ELb0ES3_mN6thrust23THRUST_200600_302600_NS6detail15normal_iteratorINSA_10device_ptrIjEEEEPS6_SG_NS0_5tupleIJSF_S6_EEENSH_IJSG_SG_EEES6_PlJNSB_9not_fun_tINSB_14equal_to_valueIjEEEEEEE10hipError_tPvRmT3_T4_T5_T6_T7_T9_mT8_P12ihipStream_tbDpT10_ENKUlT_T0_E_clISt17integral_constantIbLb0EES18_EEDaS13_S14_EUlS13_E_NS1_11comp_targetILNS1_3genE5ELNS1_11target_archE942ELNS1_3gpuE9ELNS1_3repE0EEENS1_30default_config_static_selectorELNS0_4arch9wavefront6targetE0EEEvT1_.has_dyn_sized_stack, 0
	.set _ZN7rocprim17ROCPRIM_400000_NS6detail17trampoline_kernelINS0_14default_configENS1_25partition_config_selectorILNS1_17partition_subalgoE6EjNS0_10empty_typeEbEEZZNS1_14partition_implILS5_6ELb0ES3_mN6thrust23THRUST_200600_302600_NS6detail15normal_iteratorINSA_10device_ptrIjEEEEPS6_SG_NS0_5tupleIJSF_S6_EEENSH_IJSG_SG_EEES6_PlJNSB_9not_fun_tINSB_14equal_to_valueIjEEEEEEE10hipError_tPvRmT3_T4_T5_T6_T7_T9_mT8_P12ihipStream_tbDpT10_ENKUlT_T0_E_clISt17integral_constantIbLb0EES18_EEDaS13_S14_EUlS13_E_NS1_11comp_targetILNS1_3genE5ELNS1_11target_archE942ELNS1_3gpuE9ELNS1_3repE0EEENS1_30default_config_static_selectorELNS0_4arch9wavefront6targetE0EEEvT1_.has_recursion, 0
	.set _ZN7rocprim17ROCPRIM_400000_NS6detail17trampoline_kernelINS0_14default_configENS1_25partition_config_selectorILNS1_17partition_subalgoE6EjNS0_10empty_typeEbEEZZNS1_14partition_implILS5_6ELb0ES3_mN6thrust23THRUST_200600_302600_NS6detail15normal_iteratorINSA_10device_ptrIjEEEEPS6_SG_NS0_5tupleIJSF_S6_EEENSH_IJSG_SG_EEES6_PlJNSB_9not_fun_tINSB_14equal_to_valueIjEEEEEEE10hipError_tPvRmT3_T4_T5_T6_T7_T9_mT8_P12ihipStream_tbDpT10_ENKUlT_T0_E_clISt17integral_constantIbLb0EES18_EEDaS13_S14_EUlS13_E_NS1_11comp_targetILNS1_3genE5ELNS1_11target_archE942ELNS1_3gpuE9ELNS1_3repE0EEENS1_30default_config_static_selectorELNS0_4arch9wavefront6targetE0EEEvT1_.has_indirect_call, 0
	.section	.AMDGPU.csdata,"",@progbits
; Kernel info:
; codeLenInByte = 0
; TotalNumSgprs: 0
; NumVgprs: 0
; ScratchSize: 0
; MemoryBound: 0
; FloatMode: 240
; IeeeMode: 1
; LDSByteSize: 0 bytes/workgroup (compile time only)
; SGPRBlocks: 0
; VGPRBlocks: 0
; NumSGPRsForWavesPerEU: 1
; NumVGPRsForWavesPerEU: 1
; Occupancy: 16
; WaveLimiterHint : 0
; COMPUTE_PGM_RSRC2:SCRATCH_EN: 0
; COMPUTE_PGM_RSRC2:USER_SGPR: 2
; COMPUTE_PGM_RSRC2:TRAP_HANDLER: 0
; COMPUTE_PGM_RSRC2:TGID_X_EN: 1
; COMPUTE_PGM_RSRC2:TGID_Y_EN: 0
; COMPUTE_PGM_RSRC2:TGID_Z_EN: 0
; COMPUTE_PGM_RSRC2:TIDIG_COMP_CNT: 0
	.section	.text._ZN7rocprim17ROCPRIM_400000_NS6detail17trampoline_kernelINS0_14default_configENS1_25partition_config_selectorILNS1_17partition_subalgoE6EjNS0_10empty_typeEbEEZZNS1_14partition_implILS5_6ELb0ES3_mN6thrust23THRUST_200600_302600_NS6detail15normal_iteratorINSA_10device_ptrIjEEEEPS6_SG_NS0_5tupleIJSF_S6_EEENSH_IJSG_SG_EEES6_PlJNSB_9not_fun_tINSB_14equal_to_valueIjEEEEEEE10hipError_tPvRmT3_T4_T5_T6_T7_T9_mT8_P12ihipStream_tbDpT10_ENKUlT_T0_E_clISt17integral_constantIbLb0EES18_EEDaS13_S14_EUlS13_E_NS1_11comp_targetILNS1_3genE4ELNS1_11target_archE910ELNS1_3gpuE8ELNS1_3repE0EEENS1_30default_config_static_selectorELNS0_4arch9wavefront6targetE0EEEvT1_,"axG",@progbits,_ZN7rocprim17ROCPRIM_400000_NS6detail17trampoline_kernelINS0_14default_configENS1_25partition_config_selectorILNS1_17partition_subalgoE6EjNS0_10empty_typeEbEEZZNS1_14partition_implILS5_6ELb0ES3_mN6thrust23THRUST_200600_302600_NS6detail15normal_iteratorINSA_10device_ptrIjEEEEPS6_SG_NS0_5tupleIJSF_S6_EEENSH_IJSG_SG_EEES6_PlJNSB_9not_fun_tINSB_14equal_to_valueIjEEEEEEE10hipError_tPvRmT3_T4_T5_T6_T7_T9_mT8_P12ihipStream_tbDpT10_ENKUlT_T0_E_clISt17integral_constantIbLb0EES18_EEDaS13_S14_EUlS13_E_NS1_11comp_targetILNS1_3genE4ELNS1_11target_archE910ELNS1_3gpuE8ELNS1_3repE0EEENS1_30default_config_static_selectorELNS0_4arch9wavefront6targetE0EEEvT1_,comdat
	.protected	_ZN7rocprim17ROCPRIM_400000_NS6detail17trampoline_kernelINS0_14default_configENS1_25partition_config_selectorILNS1_17partition_subalgoE6EjNS0_10empty_typeEbEEZZNS1_14partition_implILS5_6ELb0ES3_mN6thrust23THRUST_200600_302600_NS6detail15normal_iteratorINSA_10device_ptrIjEEEEPS6_SG_NS0_5tupleIJSF_S6_EEENSH_IJSG_SG_EEES6_PlJNSB_9not_fun_tINSB_14equal_to_valueIjEEEEEEE10hipError_tPvRmT3_T4_T5_T6_T7_T9_mT8_P12ihipStream_tbDpT10_ENKUlT_T0_E_clISt17integral_constantIbLb0EES18_EEDaS13_S14_EUlS13_E_NS1_11comp_targetILNS1_3genE4ELNS1_11target_archE910ELNS1_3gpuE8ELNS1_3repE0EEENS1_30default_config_static_selectorELNS0_4arch9wavefront6targetE0EEEvT1_ ; -- Begin function _ZN7rocprim17ROCPRIM_400000_NS6detail17trampoline_kernelINS0_14default_configENS1_25partition_config_selectorILNS1_17partition_subalgoE6EjNS0_10empty_typeEbEEZZNS1_14partition_implILS5_6ELb0ES3_mN6thrust23THRUST_200600_302600_NS6detail15normal_iteratorINSA_10device_ptrIjEEEEPS6_SG_NS0_5tupleIJSF_S6_EEENSH_IJSG_SG_EEES6_PlJNSB_9not_fun_tINSB_14equal_to_valueIjEEEEEEE10hipError_tPvRmT3_T4_T5_T6_T7_T9_mT8_P12ihipStream_tbDpT10_ENKUlT_T0_E_clISt17integral_constantIbLb0EES18_EEDaS13_S14_EUlS13_E_NS1_11comp_targetILNS1_3genE4ELNS1_11target_archE910ELNS1_3gpuE8ELNS1_3repE0EEENS1_30default_config_static_selectorELNS0_4arch9wavefront6targetE0EEEvT1_
	.globl	_ZN7rocprim17ROCPRIM_400000_NS6detail17trampoline_kernelINS0_14default_configENS1_25partition_config_selectorILNS1_17partition_subalgoE6EjNS0_10empty_typeEbEEZZNS1_14partition_implILS5_6ELb0ES3_mN6thrust23THRUST_200600_302600_NS6detail15normal_iteratorINSA_10device_ptrIjEEEEPS6_SG_NS0_5tupleIJSF_S6_EEENSH_IJSG_SG_EEES6_PlJNSB_9not_fun_tINSB_14equal_to_valueIjEEEEEEE10hipError_tPvRmT3_T4_T5_T6_T7_T9_mT8_P12ihipStream_tbDpT10_ENKUlT_T0_E_clISt17integral_constantIbLb0EES18_EEDaS13_S14_EUlS13_E_NS1_11comp_targetILNS1_3genE4ELNS1_11target_archE910ELNS1_3gpuE8ELNS1_3repE0EEENS1_30default_config_static_selectorELNS0_4arch9wavefront6targetE0EEEvT1_
	.p2align	8
	.type	_ZN7rocprim17ROCPRIM_400000_NS6detail17trampoline_kernelINS0_14default_configENS1_25partition_config_selectorILNS1_17partition_subalgoE6EjNS0_10empty_typeEbEEZZNS1_14partition_implILS5_6ELb0ES3_mN6thrust23THRUST_200600_302600_NS6detail15normal_iteratorINSA_10device_ptrIjEEEEPS6_SG_NS0_5tupleIJSF_S6_EEENSH_IJSG_SG_EEES6_PlJNSB_9not_fun_tINSB_14equal_to_valueIjEEEEEEE10hipError_tPvRmT3_T4_T5_T6_T7_T9_mT8_P12ihipStream_tbDpT10_ENKUlT_T0_E_clISt17integral_constantIbLb0EES18_EEDaS13_S14_EUlS13_E_NS1_11comp_targetILNS1_3genE4ELNS1_11target_archE910ELNS1_3gpuE8ELNS1_3repE0EEENS1_30default_config_static_selectorELNS0_4arch9wavefront6targetE0EEEvT1_,@function
_ZN7rocprim17ROCPRIM_400000_NS6detail17trampoline_kernelINS0_14default_configENS1_25partition_config_selectorILNS1_17partition_subalgoE6EjNS0_10empty_typeEbEEZZNS1_14partition_implILS5_6ELb0ES3_mN6thrust23THRUST_200600_302600_NS6detail15normal_iteratorINSA_10device_ptrIjEEEEPS6_SG_NS0_5tupleIJSF_S6_EEENSH_IJSG_SG_EEES6_PlJNSB_9not_fun_tINSB_14equal_to_valueIjEEEEEEE10hipError_tPvRmT3_T4_T5_T6_T7_T9_mT8_P12ihipStream_tbDpT10_ENKUlT_T0_E_clISt17integral_constantIbLb0EES18_EEDaS13_S14_EUlS13_E_NS1_11comp_targetILNS1_3genE4ELNS1_11target_archE910ELNS1_3gpuE8ELNS1_3repE0EEENS1_30default_config_static_selectorELNS0_4arch9wavefront6targetE0EEEvT1_: ; @_ZN7rocprim17ROCPRIM_400000_NS6detail17trampoline_kernelINS0_14default_configENS1_25partition_config_selectorILNS1_17partition_subalgoE6EjNS0_10empty_typeEbEEZZNS1_14partition_implILS5_6ELb0ES3_mN6thrust23THRUST_200600_302600_NS6detail15normal_iteratorINSA_10device_ptrIjEEEEPS6_SG_NS0_5tupleIJSF_S6_EEENSH_IJSG_SG_EEES6_PlJNSB_9not_fun_tINSB_14equal_to_valueIjEEEEEEE10hipError_tPvRmT3_T4_T5_T6_T7_T9_mT8_P12ihipStream_tbDpT10_ENKUlT_T0_E_clISt17integral_constantIbLb0EES18_EEDaS13_S14_EUlS13_E_NS1_11comp_targetILNS1_3genE4ELNS1_11target_archE910ELNS1_3gpuE8ELNS1_3repE0EEENS1_30default_config_static_selectorELNS0_4arch9wavefront6targetE0EEEvT1_
; %bb.0:
	.section	.rodata,"a",@progbits
	.p2align	6, 0x0
	.amdhsa_kernel _ZN7rocprim17ROCPRIM_400000_NS6detail17trampoline_kernelINS0_14default_configENS1_25partition_config_selectorILNS1_17partition_subalgoE6EjNS0_10empty_typeEbEEZZNS1_14partition_implILS5_6ELb0ES3_mN6thrust23THRUST_200600_302600_NS6detail15normal_iteratorINSA_10device_ptrIjEEEEPS6_SG_NS0_5tupleIJSF_S6_EEENSH_IJSG_SG_EEES6_PlJNSB_9not_fun_tINSB_14equal_to_valueIjEEEEEEE10hipError_tPvRmT3_T4_T5_T6_T7_T9_mT8_P12ihipStream_tbDpT10_ENKUlT_T0_E_clISt17integral_constantIbLb0EES18_EEDaS13_S14_EUlS13_E_NS1_11comp_targetILNS1_3genE4ELNS1_11target_archE910ELNS1_3gpuE8ELNS1_3repE0EEENS1_30default_config_static_selectorELNS0_4arch9wavefront6targetE0EEEvT1_
		.amdhsa_group_segment_fixed_size 0
		.amdhsa_private_segment_fixed_size 0
		.amdhsa_kernarg_size 120
		.amdhsa_user_sgpr_count 2
		.amdhsa_user_sgpr_dispatch_ptr 0
		.amdhsa_user_sgpr_queue_ptr 0
		.amdhsa_user_sgpr_kernarg_segment_ptr 1
		.amdhsa_user_sgpr_dispatch_id 0
		.amdhsa_user_sgpr_private_segment_size 0
		.amdhsa_wavefront_size32 1
		.amdhsa_uses_dynamic_stack 0
		.amdhsa_enable_private_segment 0
		.amdhsa_system_sgpr_workgroup_id_x 1
		.amdhsa_system_sgpr_workgroup_id_y 0
		.amdhsa_system_sgpr_workgroup_id_z 0
		.amdhsa_system_sgpr_workgroup_info 0
		.amdhsa_system_vgpr_workitem_id 0
		.amdhsa_next_free_vgpr 1
		.amdhsa_next_free_sgpr 1
		.amdhsa_reserve_vcc 0
		.amdhsa_float_round_mode_32 0
		.amdhsa_float_round_mode_16_64 0
		.amdhsa_float_denorm_mode_32 3
		.amdhsa_float_denorm_mode_16_64 3
		.amdhsa_fp16_overflow 0
		.amdhsa_workgroup_processor_mode 1
		.amdhsa_memory_ordered 1
		.amdhsa_forward_progress 1
		.amdhsa_inst_pref_size 0
		.amdhsa_round_robin_scheduling 0
		.amdhsa_exception_fp_ieee_invalid_op 0
		.amdhsa_exception_fp_denorm_src 0
		.amdhsa_exception_fp_ieee_div_zero 0
		.amdhsa_exception_fp_ieee_overflow 0
		.amdhsa_exception_fp_ieee_underflow 0
		.amdhsa_exception_fp_ieee_inexact 0
		.amdhsa_exception_int_div_zero 0
	.end_amdhsa_kernel
	.section	.text._ZN7rocprim17ROCPRIM_400000_NS6detail17trampoline_kernelINS0_14default_configENS1_25partition_config_selectorILNS1_17partition_subalgoE6EjNS0_10empty_typeEbEEZZNS1_14partition_implILS5_6ELb0ES3_mN6thrust23THRUST_200600_302600_NS6detail15normal_iteratorINSA_10device_ptrIjEEEEPS6_SG_NS0_5tupleIJSF_S6_EEENSH_IJSG_SG_EEES6_PlJNSB_9not_fun_tINSB_14equal_to_valueIjEEEEEEE10hipError_tPvRmT3_T4_T5_T6_T7_T9_mT8_P12ihipStream_tbDpT10_ENKUlT_T0_E_clISt17integral_constantIbLb0EES18_EEDaS13_S14_EUlS13_E_NS1_11comp_targetILNS1_3genE4ELNS1_11target_archE910ELNS1_3gpuE8ELNS1_3repE0EEENS1_30default_config_static_selectorELNS0_4arch9wavefront6targetE0EEEvT1_,"axG",@progbits,_ZN7rocprim17ROCPRIM_400000_NS6detail17trampoline_kernelINS0_14default_configENS1_25partition_config_selectorILNS1_17partition_subalgoE6EjNS0_10empty_typeEbEEZZNS1_14partition_implILS5_6ELb0ES3_mN6thrust23THRUST_200600_302600_NS6detail15normal_iteratorINSA_10device_ptrIjEEEEPS6_SG_NS0_5tupleIJSF_S6_EEENSH_IJSG_SG_EEES6_PlJNSB_9not_fun_tINSB_14equal_to_valueIjEEEEEEE10hipError_tPvRmT3_T4_T5_T6_T7_T9_mT8_P12ihipStream_tbDpT10_ENKUlT_T0_E_clISt17integral_constantIbLb0EES18_EEDaS13_S14_EUlS13_E_NS1_11comp_targetILNS1_3genE4ELNS1_11target_archE910ELNS1_3gpuE8ELNS1_3repE0EEENS1_30default_config_static_selectorELNS0_4arch9wavefront6targetE0EEEvT1_,comdat
.Lfunc_end375:
	.size	_ZN7rocprim17ROCPRIM_400000_NS6detail17trampoline_kernelINS0_14default_configENS1_25partition_config_selectorILNS1_17partition_subalgoE6EjNS0_10empty_typeEbEEZZNS1_14partition_implILS5_6ELb0ES3_mN6thrust23THRUST_200600_302600_NS6detail15normal_iteratorINSA_10device_ptrIjEEEEPS6_SG_NS0_5tupleIJSF_S6_EEENSH_IJSG_SG_EEES6_PlJNSB_9not_fun_tINSB_14equal_to_valueIjEEEEEEE10hipError_tPvRmT3_T4_T5_T6_T7_T9_mT8_P12ihipStream_tbDpT10_ENKUlT_T0_E_clISt17integral_constantIbLb0EES18_EEDaS13_S14_EUlS13_E_NS1_11comp_targetILNS1_3genE4ELNS1_11target_archE910ELNS1_3gpuE8ELNS1_3repE0EEENS1_30default_config_static_selectorELNS0_4arch9wavefront6targetE0EEEvT1_, .Lfunc_end375-_ZN7rocprim17ROCPRIM_400000_NS6detail17trampoline_kernelINS0_14default_configENS1_25partition_config_selectorILNS1_17partition_subalgoE6EjNS0_10empty_typeEbEEZZNS1_14partition_implILS5_6ELb0ES3_mN6thrust23THRUST_200600_302600_NS6detail15normal_iteratorINSA_10device_ptrIjEEEEPS6_SG_NS0_5tupleIJSF_S6_EEENSH_IJSG_SG_EEES6_PlJNSB_9not_fun_tINSB_14equal_to_valueIjEEEEEEE10hipError_tPvRmT3_T4_T5_T6_T7_T9_mT8_P12ihipStream_tbDpT10_ENKUlT_T0_E_clISt17integral_constantIbLb0EES18_EEDaS13_S14_EUlS13_E_NS1_11comp_targetILNS1_3genE4ELNS1_11target_archE910ELNS1_3gpuE8ELNS1_3repE0EEENS1_30default_config_static_selectorELNS0_4arch9wavefront6targetE0EEEvT1_
                                        ; -- End function
	.set _ZN7rocprim17ROCPRIM_400000_NS6detail17trampoline_kernelINS0_14default_configENS1_25partition_config_selectorILNS1_17partition_subalgoE6EjNS0_10empty_typeEbEEZZNS1_14partition_implILS5_6ELb0ES3_mN6thrust23THRUST_200600_302600_NS6detail15normal_iteratorINSA_10device_ptrIjEEEEPS6_SG_NS0_5tupleIJSF_S6_EEENSH_IJSG_SG_EEES6_PlJNSB_9not_fun_tINSB_14equal_to_valueIjEEEEEEE10hipError_tPvRmT3_T4_T5_T6_T7_T9_mT8_P12ihipStream_tbDpT10_ENKUlT_T0_E_clISt17integral_constantIbLb0EES18_EEDaS13_S14_EUlS13_E_NS1_11comp_targetILNS1_3genE4ELNS1_11target_archE910ELNS1_3gpuE8ELNS1_3repE0EEENS1_30default_config_static_selectorELNS0_4arch9wavefront6targetE0EEEvT1_.num_vgpr, 0
	.set _ZN7rocprim17ROCPRIM_400000_NS6detail17trampoline_kernelINS0_14default_configENS1_25partition_config_selectorILNS1_17partition_subalgoE6EjNS0_10empty_typeEbEEZZNS1_14partition_implILS5_6ELb0ES3_mN6thrust23THRUST_200600_302600_NS6detail15normal_iteratorINSA_10device_ptrIjEEEEPS6_SG_NS0_5tupleIJSF_S6_EEENSH_IJSG_SG_EEES6_PlJNSB_9not_fun_tINSB_14equal_to_valueIjEEEEEEE10hipError_tPvRmT3_T4_T5_T6_T7_T9_mT8_P12ihipStream_tbDpT10_ENKUlT_T0_E_clISt17integral_constantIbLb0EES18_EEDaS13_S14_EUlS13_E_NS1_11comp_targetILNS1_3genE4ELNS1_11target_archE910ELNS1_3gpuE8ELNS1_3repE0EEENS1_30default_config_static_selectorELNS0_4arch9wavefront6targetE0EEEvT1_.num_agpr, 0
	.set _ZN7rocprim17ROCPRIM_400000_NS6detail17trampoline_kernelINS0_14default_configENS1_25partition_config_selectorILNS1_17partition_subalgoE6EjNS0_10empty_typeEbEEZZNS1_14partition_implILS5_6ELb0ES3_mN6thrust23THRUST_200600_302600_NS6detail15normal_iteratorINSA_10device_ptrIjEEEEPS6_SG_NS0_5tupleIJSF_S6_EEENSH_IJSG_SG_EEES6_PlJNSB_9not_fun_tINSB_14equal_to_valueIjEEEEEEE10hipError_tPvRmT3_T4_T5_T6_T7_T9_mT8_P12ihipStream_tbDpT10_ENKUlT_T0_E_clISt17integral_constantIbLb0EES18_EEDaS13_S14_EUlS13_E_NS1_11comp_targetILNS1_3genE4ELNS1_11target_archE910ELNS1_3gpuE8ELNS1_3repE0EEENS1_30default_config_static_selectorELNS0_4arch9wavefront6targetE0EEEvT1_.numbered_sgpr, 0
	.set _ZN7rocprim17ROCPRIM_400000_NS6detail17trampoline_kernelINS0_14default_configENS1_25partition_config_selectorILNS1_17partition_subalgoE6EjNS0_10empty_typeEbEEZZNS1_14partition_implILS5_6ELb0ES3_mN6thrust23THRUST_200600_302600_NS6detail15normal_iteratorINSA_10device_ptrIjEEEEPS6_SG_NS0_5tupleIJSF_S6_EEENSH_IJSG_SG_EEES6_PlJNSB_9not_fun_tINSB_14equal_to_valueIjEEEEEEE10hipError_tPvRmT3_T4_T5_T6_T7_T9_mT8_P12ihipStream_tbDpT10_ENKUlT_T0_E_clISt17integral_constantIbLb0EES18_EEDaS13_S14_EUlS13_E_NS1_11comp_targetILNS1_3genE4ELNS1_11target_archE910ELNS1_3gpuE8ELNS1_3repE0EEENS1_30default_config_static_selectorELNS0_4arch9wavefront6targetE0EEEvT1_.num_named_barrier, 0
	.set _ZN7rocprim17ROCPRIM_400000_NS6detail17trampoline_kernelINS0_14default_configENS1_25partition_config_selectorILNS1_17partition_subalgoE6EjNS0_10empty_typeEbEEZZNS1_14partition_implILS5_6ELb0ES3_mN6thrust23THRUST_200600_302600_NS6detail15normal_iteratorINSA_10device_ptrIjEEEEPS6_SG_NS0_5tupleIJSF_S6_EEENSH_IJSG_SG_EEES6_PlJNSB_9not_fun_tINSB_14equal_to_valueIjEEEEEEE10hipError_tPvRmT3_T4_T5_T6_T7_T9_mT8_P12ihipStream_tbDpT10_ENKUlT_T0_E_clISt17integral_constantIbLb0EES18_EEDaS13_S14_EUlS13_E_NS1_11comp_targetILNS1_3genE4ELNS1_11target_archE910ELNS1_3gpuE8ELNS1_3repE0EEENS1_30default_config_static_selectorELNS0_4arch9wavefront6targetE0EEEvT1_.private_seg_size, 0
	.set _ZN7rocprim17ROCPRIM_400000_NS6detail17trampoline_kernelINS0_14default_configENS1_25partition_config_selectorILNS1_17partition_subalgoE6EjNS0_10empty_typeEbEEZZNS1_14partition_implILS5_6ELb0ES3_mN6thrust23THRUST_200600_302600_NS6detail15normal_iteratorINSA_10device_ptrIjEEEEPS6_SG_NS0_5tupleIJSF_S6_EEENSH_IJSG_SG_EEES6_PlJNSB_9not_fun_tINSB_14equal_to_valueIjEEEEEEE10hipError_tPvRmT3_T4_T5_T6_T7_T9_mT8_P12ihipStream_tbDpT10_ENKUlT_T0_E_clISt17integral_constantIbLb0EES18_EEDaS13_S14_EUlS13_E_NS1_11comp_targetILNS1_3genE4ELNS1_11target_archE910ELNS1_3gpuE8ELNS1_3repE0EEENS1_30default_config_static_selectorELNS0_4arch9wavefront6targetE0EEEvT1_.uses_vcc, 0
	.set _ZN7rocprim17ROCPRIM_400000_NS6detail17trampoline_kernelINS0_14default_configENS1_25partition_config_selectorILNS1_17partition_subalgoE6EjNS0_10empty_typeEbEEZZNS1_14partition_implILS5_6ELb0ES3_mN6thrust23THRUST_200600_302600_NS6detail15normal_iteratorINSA_10device_ptrIjEEEEPS6_SG_NS0_5tupleIJSF_S6_EEENSH_IJSG_SG_EEES6_PlJNSB_9not_fun_tINSB_14equal_to_valueIjEEEEEEE10hipError_tPvRmT3_T4_T5_T6_T7_T9_mT8_P12ihipStream_tbDpT10_ENKUlT_T0_E_clISt17integral_constantIbLb0EES18_EEDaS13_S14_EUlS13_E_NS1_11comp_targetILNS1_3genE4ELNS1_11target_archE910ELNS1_3gpuE8ELNS1_3repE0EEENS1_30default_config_static_selectorELNS0_4arch9wavefront6targetE0EEEvT1_.uses_flat_scratch, 0
	.set _ZN7rocprim17ROCPRIM_400000_NS6detail17trampoline_kernelINS0_14default_configENS1_25partition_config_selectorILNS1_17partition_subalgoE6EjNS0_10empty_typeEbEEZZNS1_14partition_implILS5_6ELb0ES3_mN6thrust23THRUST_200600_302600_NS6detail15normal_iteratorINSA_10device_ptrIjEEEEPS6_SG_NS0_5tupleIJSF_S6_EEENSH_IJSG_SG_EEES6_PlJNSB_9not_fun_tINSB_14equal_to_valueIjEEEEEEE10hipError_tPvRmT3_T4_T5_T6_T7_T9_mT8_P12ihipStream_tbDpT10_ENKUlT_T0_E_clISt17integral_constantIbLb0EES18_EEDaS13_S14_EUlS13_E_NS1_11comp_targetILNS1_3genE4ELNS1_11target_archE910ELNS1_3gpuE8ELNS1_3repE0EEENS1_30default_config_static_selectorELNS0_4arch9wavefront6targetE0EEEvT1_.has_dyn_sized_stack, 0
	.set _ZN7rocprim17ROCPRIM_400000_NS6detail17trampoline_kernelINS0_14default_configENS1_25partition_config_selectorILNS1_17partition_subalgoE6EjNS0_10empty_typeEbEEZZNS1_14partition_implILS5_6ELb0ES3_mN6thrust23THRUST_200600_302600_NS6detail15normal_iteratorINSA_10device_ptrIjEEEEPS6_SG_NS0_5tupleIJSF_S6_EEENSH_IJSG_SG_EEES6_PlJNSB_9not_fun_tINSB_14equal_to_valueIjEEEEEEE10hipError_tPvRmT3_T4_T5_T6_T7_T9_mT8_P12ihipStream_tbDpT10_ENKUlT_T0_E_clISt17integral_constantIbLb0EES18_EEDaS13_S14_EUlS13_E_NS1_11comp_targetILNS1_3genE4ELNS1_11target_archE910ELNS1_3gpuE8ELNS1_3repE0EEENS1_30default_config_static_selectorELNS0_4arch9wavefront6targetE0EEEvT1_.has_recursion, 0
	.set _ZN7rocprim17ROCPRIM_400000_NS6detail17trampoline_kernelINS0_14default_configENS1_25partition_config_selectorILNS1_17partition_subalgoE6EjNS0_10empty_typeEbEEZZNS1_14partition_implILS5_6ELb0ES3_mN6thrust23THRUST_200600_302600_NS6detail15normal_iteratorINSA_10device_ptrIjEEEEPS6_SG_NS0_5tupleIJSF_S6_EEENSH_IJSG_SG_EEES6_PlJNSB_9not_fun_tINSB_14equal_to_valueIjEEEEEEE10hipError_tPvRmT3_T4_T5_T6_T7_T9_mT8_P12ihipStream_tbDpT10_ENKUlT_T0_E_clISt17integral_constantIbLb0EES18_EEDaS13_S14_EUlS13_E_NS1_11comp_targetILNS1_3genE4ELNS1_11target_archE910ELNS1_3gpuE8ELNS1_3repE0EEENS1_30default_config_static_selectorELNS0_4arch9wavefront6targetE0EEEvT1_.has_indirect_call, 0
	.section	.AMDGPU.csdata,"",@progbits
; Kernel info:
; codeLenInByte = 0
; TotalNumSgprs: 0
; NumVgprs: 0
; ScratchSize: 0
; MemoryBound: 0
; FloatMode: 240
; IeeeMode: 1
; LDSByteSize: 0 bytes/workgroup (compile time only)
; SGPRBlocks: 0
; VGPRBlocks: 0
; NumSGPRsForWavesPerEU: 1
; NumVGPRsForWavesPerEU: 1
; Occupancy: 16
; WaveLimiterHint : 0
; COMPUTE_PGM_RSRC2:SCRATCH_EN: 0
; COMPUTE_PGM_RSRC2:USER_SGPR: 2
; COMPUTE_PGM_RSRC2:TRAP_HANDLER: 0
; COMPUTE_PGM_RSRC2:TGID_X_EN: 1
; COMPUTE_PGM_RSRC2:TGID_Y_EN: 0
; COMPUTE_PGM_RSRC2:TGID_Z_EN: 0
; COMPUTE_PGM_RSRC2:TIDIG_COMP_CNT: 0
	.section	.text._ZN7rocprim17ROCPRIM_400000_NS6detail17trampoline_kernelINS0_14default_configENS1_25partition_config_selectorILNS1_17partition_subalgoE6EjNS0_10empty_typeEbEEZZNS1_14partition_implILS5_6ELb0ES3_mN6thrust23THRUST_200600_302600_NS6detail15normal_iteratorINSA_10device_ptrIjEEEEPS6_SG_NS0_5tupleIJSF_S6_EEENSH_IJSG_SG_EEES6_PlJNSB_9not_fun_tINSB_14equal_to_valueIjEEEEEEE10hipError_tPvRmT3_T4_T5_T6_T7_T9_mT8_P12ihipStream_tbDpT10_ENKUlT_T0_E_clISt17integral_constantIbLb0EES18_EEDaS13_S14_EUlS13_E_NS1_11comp_targetILNS1_3genE3ELNS1_11target_archE908ELNS1_3gpuE7ELNS1_3repE0EEENS1_30default_config_static_selectorELNS0_4arch9wavefront6targetE0EEEvT1_,"axG",@progbits,_ZN7rocprim17ROCPRIM_400000_NS6detail17trampoline_kernelINS0_14default_configENS1_25partition_config_selectorILNS1_17partition_subalgoE6EjNS0_10empty_typeEbEEZZNS1_14partition_implILS5_6ELb0ES3_mN6thrust23THRUST_200600_302600_NS6detail15normal_iteratorINSA_10device_ptrIjEEEEPS6_SG_NS0_5tupleIJSF_S6_EEENSH_IJSG_SG_EEES6_PlJNSB_9not_fun_tINSB_14equal_to_valueIjEEEEEEE10hipError_tPvRmT3_T4_T5_T6_T7_T9_mT8_P12ihipStream_tbDpT10_ENKUlT_T0_E_clISt17integral_constantIbLb0EES18_EEDaS13_S14_EUlS13_E_NS1_11comp_targetILNS1_3genE3ELNS1_11target_archE908ELNS1_3gpuE7ELNS1_3repE0EEENS1_30default_config_static_selectorELNS0_4arch9wavefront6targetE0EEEvT1_,comdat
	.protected	_ZN7rocprim17ROCPRIM_400000_NS6detail17trampoline_kernelINS0_14default_configENS1_25partition_config_selectorILNS1_17partition_subalgoE6EjNS0_10empty_typeEbEEZZNS1_14partition_implILS5_6ELb0ES3_mN6thrust23THRUST_200600_302600_NS6detail15normal_iteratorINSA_10device_ptrIjEEEEPS6_SG_NS0_5tupleIJSF_S6_EEENSH_IJSG_SG_EEES6_PlJNSB_9not_fun_tINSB_14equal_to_valueIjEEEEEEE10hipError_tPvRmT3_T4_T5_T6_T7_T9_mT8_P12ihipStream_tbDpT10_ENKUlT_T0_E_clISt17integral_constantIbLb0EES18_EEDaS13_S14_EUlS13_E_NS1_11comp_targetILNS1_3genE3ELNS1_11target_archE908ELNS1_3gpuE7ELNS1_3repE0EEENS1_30default_config_static_selectorELNS0_4arch9wavefront6targetE0EEEvT1_ ; -- Begin function _ZN7rocprim17ROCPRIM_400000_NS6detail17trampoline_kernelINS0_14default_configENS1_25partition_config_selectorILNS1_17partition_subalgoE6EjNS0_10empty_typeEbEEZZNS1_14partition_implILS5_6ELb0ES3_mN6thrust23THRUST_200600_302600_NS6detail15normal_iteratorINSA_10device_ptrIjEEEEPS6_SG_NS0_5tupleIJSF_S6_EEENSH_IJSG_SG_EEES6_PlJNSB_9not_fun_tINSB_14equal_to_valueIjEEEEEEE10hipError_tPvRmT3_T4_T5_T6_T7_T9_mT8_P12ihipStream_tbDpT10_ENKUlT_T0_E_clISt17integral_constantIbLb0EES18_EEDaS13_S14_EUlS13_E_NS1_11comp_targetILNS1_3genE3ELNS1_11target_archE908ELNS1_3gpuE7ELNS1_3repE0EEENS1_30default_config_static_selectorELNS0_4arch9wavefront6targetE0EEEvT1_
	.globl	_ZN7rocprim17ROCPRIM_400000_NS6detail17trampoline_kernelINS0_14default_configENS1_25partition_config_selectorILNS1_17partition_subalgoE6EjNS0_10empty_typeEbEEZZNS1_14partition_implILS5_6ELb0ES3_mN6thrust23THRUST_200600_302600_NS6detail15normal_iteratorINSA_10device_ptrIjEEEEPS6_SG_NS0_5tupleIJSF_S6_EEENSH_IJSG_SG_EEES6_PlJNSB_9not_fun_tINSB_14equal_to_valueIjEEEEEEE10hipError_tPvRmT3_T4_T5_T6_T7_T9_mT8_P12ihipStream_tbDpT10_ENKUlT_T0_E_clISt17integral_constantIbLb0EES18_EEDaS13_S14_EUlS13_E_NS1_11comp_targetILNS1_3genE3ELNS1_11target_archE908ELNS1_3gpuE7ELNS1_3repE0EEENS1_30default_config_static_selectorELNS0_4arch9wavefront6targetE0EEEvT1_
	.p2align	8
	.type	_ZN7rocprim17ROCPRIM_400000_NS6detail17trampoline_kernelINS0_14default_configENS1_25partition_config_selectorILNS1_17partition_subalgoE6EjNS0_10empty_typeEbEEZZNS1_14partition_implILS5_6ELb0ES3_mN6thrust23THRUST_200600_302600_NS6detail15normal_iteratorINSA_10device_ptrIjEEEEPS6_SG_NS0_5tupleIJSF_S6_EEENSH_IJSG_SG_EEES6_PlJNSB_9not_fun_tINSB_14equal_to_valueIjEEEEEEE10hipError_tPvRmT3_T4_T5_T6_T7_T9_mT8_P12ihipStream_tbDpT10_ENKUlT_T0_E_clISt17integral_constantIbLb0EES18_EEDaS13_S14_EUlS13_E_NS1_11comp_targetILNS1_3genE3ELNS1_11target_archE908ELNS1_3gpuE7ELNS1_3repE0EEENS1_30default_config_static_selectorELNS0_4arch9wavefront6targetE0EEEvT1_,@function
_ZN7rocprim17ROCPRIM_400000_NS6detail17trampoline_kernelINS0_14default_configENS1_25partition_config_selectorILNS1_17partition_subalgoE6EjNS0_10empty_typeEbEEZZNS1_14partition_implILS5_6ELb0ES3_mN6thrust23THRUST_200600_302600_NS6detail15normal_iteratorINSA_10device_ptrIjEEEEPS6_SG_NS0_5tupleIJSF_S6_EEENSH_IJSG_SG_EEES6_PlJNSB_9not_fun_tINSB_14equal_to_valueIjEEEEEEE10hipError_tPvRmT3_T4_T5_T6_T7_T9_mT8_P12ihipStream_tbDpT10_ENKUlT_T0_E_clISt17integral_constantIbLb0EES18_EEDaS13_S14_EUlS13_E_NS1_11comp_targetILNS1_3genE3ELNS1_11target_archE908ELNS1_3gpuE7ELNS1_3repE0EEENS1_30default_config_static_selectorELNS0_4arch9wavefront6targetE0EEEvT1_: ; @_ZN7rocprim17ROCPRIM_400000_NS6detail17trampoline_kernelINS0_14default_configENS1_25partition_config_selectorILNS1_17partition_subalgoE6EjNS0_10empty_typeEbEEZZNS1_14partition_implILS5_6ELb0ES3_mN6thrust23THRUST_200600_302600_NS6detail15normal_iteratorINSA_10device_ptrIjEEEEPS6_SG_NS0_5tupleIJSF_S6_EEENSH_IJSG_SG_EEES6_PlJNSB_9not_fun_tINSB_14equal_to_valueIjEEEEEEE10hipError_tPvRmT3_T4_T5_T6_T7_T9_mT8_P12ihipStream_tbDpT10_ENKUlT_T0_E_clISt17integral_constantIbLb0EES18_EEDaS13_S14_EUlS13_E_NS1_11comp_targetILNS1_3genE3ELNS1_11target_archE908ELNS1_3gpuE7ELNS1_3repE0EEENS1_30default_config_static_selectorELNS0_4arch9wavefront6targetE0EEEvT1_
; %bb.0:
	.section	.rodata,"a",@progbits
	.p2align	6, 0x0
	.amdhsa_kernel _ZN7rocprim17ROCPRIM_400000_NS6detail17trampoline_kernelINS0_14default_configENS1_25partition_config_selectorILNS1_17partition_subalgoE6EjNS0_10empty_typeEbEEZZNS1_14partition_implILS5_6ELb0ES3_mN6thrust23THRUST_200600_302600_NS6detail15normal_iteratorINSA_10device_ptrIjEEEEPS6_SG_NS0_5tupleIJSF_S6_EEENSH_IJSG_SG_EEES6_PlJNSB_9not_fun_tINSB_14equal_to_valueIjEEEEEEE10hipError_tPvRmT3_T4_T5_T6_T7_T9_mT8_P12ihipStream_tbDpT10_ENKUlT_T0_E_clISt17integral_constantIbLb0EES18_EEDaS13_S14_EUlS13_E_NS1_11comp_targetILNS1_3genE3ELNS1_11target_archE908ELNS1_3gpuE7ELNS1_3repE0EEENS1_30default_config_static_selectorELNS0_4arch9wavefront6targetE0EEEvT1_
		.amdhsa_group_segment_fixed_size 0
		.amdhsa_private_segment_fixed_size 0
		.amdhsa_kernarg_size 120
		.amdhsa_user_sgpr_count 2
		.amdhsa_user_sgpr_dispatch_ptr 0
		.amdhsa_user_sgpr_queue_ptr 0
		.amdhsa_user_sgpr_kernarg_segment_ptr 1
		.amdhsa_user_sgpr_dispatch_id 0
		.amdhsa_user_sgpr_private_segment_size 0
		.amdhsa_wavefront_size32 1
		.amdhsa_uses_dynamic_stack 0
		.amdhsa_enable_private_segment 0
		.amdhsa_system_sgpr_workgroup_id_x 1
		.amdhsa_system_sgpr_workgroup_id_y 0
		.amdhsa_system_sgpr_workgroup_id_z 0
		.amdhsa_system_sgpr_workgroup_info 0
		.amdhsa_system_vgpr_workitem_id 0
		.amdhsa_next_free_vgpr 1
		.amdhsa_next_free_sgpr 1
		.amdhsa_reserve_vcc 0
		.amdhsa_float_round_mode_32 0
		.amdhsa_float_round_mode_16_64 0
		.amdhsa_float_denorm_mode_32 3
		.amdhsa_float_denorm_mode_16_64 3
		.amdhsa_fp16_overflow 0
		.amdhsa_workgroup_processor_mode 1
		.amdhsa_memory_ordered 1
		.amdhsa_forward_progress 1
		.amdhsa_inst_pref_size 0
		.amdhsa_round_robin_scheduling 0
		.amdhsa_exception_fp_ieee_invalid_op 0
		.amdhsa_exception_fp_denorm_src 0
		.amdhsa_exception_fp_ieee_div_zero 0
		.amdhsa_exception_fp_ieee_overflow 0
		.amdhsa_exception_fp_ieee_underflow 0
		.amdhsa_exception_fp_ieee_inexact 0
		.amdhsa_exception_int_div_zero 0
	.end_amdhsa_kernel
	.section	.text._ZN7rocprim17ROCPRIM_400000_NS6detail17trampoline_kernelINS0_14default_configENS1_25partition_config_selectorILNS1_17partition_subalgoE6EjNS0_10empty_typeEbEEZZNS1_14partition_implILS5_6ELb0ES3_mN6thrust23THRUST_200600_302600_NS6detail15normal_iteratorINSA_10device_ptrIjEEEEPS6_SG_NS0_5tupleIJSF_S6_EEENSH_IJSG_SG_EEES6_PlJNSB_9not_fun_tINSB_14equal_to_valueIjEEEEEEE10hipError_tPvRmT3_T4_T5_T6_T7_T9_mT8_P12ihipStream_tbDpT10_ENKUlT_T0_E_clISt17integral_constantIbLb0EES18_EEDaS13_S14_EUlS13_E_NS1_11comp_targetILNS1_3genE3ELNS1_11target_archE908ELNS1_3gpuE7ELNS1_3repE0EEENS1_30default_config_static_selectorELNS0_4arch9wavefront6targetE0EEEvT1_,"axG",@progbits,_ZN7rocprim17ROCPRIM_400000_NS6detail17trampoline_kernelINS0_14default_configENS1_25partition_config_selectorILNS1_17partition_subalgoE6EjNS0_10empty_typeEbEEZZNS1_14partition_implILS5_6ELb0ES3_mN6thrust23THRUST_200600_302600_NS6detail15normal_iteratorINSA_10device_ptrIjEEEEPS6_SG_NS0_5tupleIJSF_S6_EEENSH_IJSG_SG_EEES6_PlJNSB_9not_fun_tINSB_14equal_to_valueIjEEEEEEE10hipError_tPvRmT3_T4_T5_T6_T7_T9_mT8_P12ihipStream_tbDpT10_ENKUlT_T0_E_clISt17integral_constantIbLb0EES18_EEDaS13_S14_EUlS13_E_NS1_11comp_targetILNS1_3genE3ELNS1_11target_archE908ELNS1_3gpuE7ELNS1_3repE0EEENS1_30default_config_static_selectorELNS0_4arch9wavefront6targetE0EEEvT1_,comdat
.Lfunc_end376:
	.size	_ZN7rocprim17ROCPRIM_400000_NS6detail17trampoline_kernelINS0_14default_configENS1_25partition_config_selectorILNS1_17partition_subalgoE6EjNS0_10empty_typeEbEEZZNS1_14partition_implILS5_6ELb0ES3_mN6thrust23THRUST_200600_302600_NS6detail15normal_iteratorINSA_10device_ptrIjEEEEPS6_SG_NS0_5tupleIJSF_S6_EEENSH_IJSG_SG_EEES6_PlJNSB_9not_fun_tINSB_14equal_to_valueIjEEEEEEE10hipError_tPvRmT3_T4_T5_T6_T7_T9_mT8_P12ihipStream_tbDpT10_ENKUlT_T0_E_clISt17integral_constantIbLb0EES18_EEDaS13_S14_EUlS13_E_NS1_11comp_targetILNS1_3genE3ELNS1_11target_archE908ELNS1_3gpuE7ELNS1_3repE0EEENS1_30default_config_static_selectorELNS0_4arch9wavefront6targetE0EEEvT1_, .Lfunc_end376-_ZN7rocprim17ROCPRIM_400000_NS6detail17trampoline_kernelINS0_14default_configENS1_25partition_config_selectorILNS1_17partition_subalgoE6EjNS0_10empty_typeEbEEZZNS1_14partition_implILS5_6ELb0ES3_mN6thrust23THRUST_200600_302600_NS6detail15normal_iteratorINSA_10device_ptrIjEEEEPS6_SG_NS0_5tupleIJSF_S6_EEENSH_IJSG_SG_EEES6_PlJNSB_9not_fun_tINSB_14equal_to_valueIjEEEEEEE10hipError_tPvRmT3_T4_T5_T6_T7_T9_mT8_P12ihipStream_tbDpT10_ENKUlT_T0_E_clISt17integral_constantIbLb0EES18_EEDaS13_S14_EUlS13_E_NS1_11comp_targetILNS1_3genE3ELNS1_11target_archE908ELNS1_3gpuE7ELNS1_3repE0EEENS1_30default_config_static_selectorELNS0_4arch9wavefront6targetE0EEEvT1_
                                        ; -- End function
	.set _ZN7rocprim17ROCPRIM_400000_NS6detail17trampoline_kernelINS0_14default_configENS1_25partition_config_selectorILNS1_17partition_subalgoE6EjNS0_10empty_typeEbEEZZNS1_14partition_implILS5_6ELb0ES3_mN6thrust23THRUST_200600_302600_NS6detail15normal_iteratorINSA_10device_ptrIjEEEEPS6_SG_NS0_5tupleIJSF_S6_EEENSH_IJSG_SG_EEES6_PlJNSB_9not_fun_tINSB_14equal_to_valueIjEEEEEEE10hipError_tPvRmT3_T4_T5_T6_T7_T9_mT8_P12ihipStream_tbDpT10_ENKUlT_T0_E_clISt17integral_constantIbLb0EES18_EEDaS13_S14_EUlS13_E_NS1_11comp_targetILNS1_3genE3ELNS1_11target_archE908ELNS1_3gpuE7ELNS1_3repE0EEENS1_30default_config_static_selectorELNS0_4arch9wavefront6targetE0EEEvT1_.num_vgpr, 0
	.set _ZN7rocprim17ROCPRIM_400000_NS6detail17trampoline_kernelINS0_14default_configENS1_25partition_config_selectorILNS1_17partition_subalgoE6EjNS0_10empty_typeEbEEZZNS1_14partition_implILS5_6ELb0ES3_mN6thrust23THRUST_200600_302600_NS6detail15normal_iteratorINSA_10device_ptrIjEEEEPS6_SG_NS0_5tupleIJSF_S6_EEENSH_IJSG_SG_EEES6_PlJNSB_9not_fun_tINSB_14equal_to_valueIjEEEEEEE10hipError_tPvRmT3_T4_T5_T6_T7_T9_mT8_P12ihipStream_tbDpT10_ENKUlT_T0_E_clISt17integral_constantIbLb0EES18_EEDaS13_S14_EUlS13_E_NS1_11comp_targetILNS1_3genE3ELNS1_11target_archE908ELNS1_3gpuE7ELNS1_3repE0EEENS1_30default_config_static_selectorELNS0_4arch9wavefront6targetE0EEEvT1_.num_agpr, 0
	.set _ZN7rocprim17ROCPRIM_400000_NS6detail17trampoline_kernelINS0_14default_configENS1_25partition_config_selectorILNS1_17partition_subalgoE6EjNS0_10empty_typeEbEEZZNS1_14partition_implILS5_6ELb0ES3_mN6thrust23THRUST_200600_302600_NS6detail15normal_iteratorINSA_10device_ptrIjEEEEPS6_SG_NS0_5tupleIJSF_S6_EEENSH_IJSG_SG_EEES6_PlJNSB_9not_fun_tINSB_14equal_to_valueIjEEEEEEE10hipError_tPvRmT3_T4_T5_T6_T7_T9_mT8_P12ihipStream_tbDpT10_ENKUlT_T0_E_clISt17integral_constantIbLb0EES18_EEDaS13_S14_EUlS13_E_NS1_11comp_targetILNS1_3genE3ELNS1_11target_archE908ELNS1_3gpuE7ELNS1_3repE0EEENS1_30default_config_static_selectorELNS0_4arch9wavefront6targetE0EEEvT1_.numbered_sgpr, 0
	.set _ZN7rocprim17ROCPRIM_400000_NS6detail17trampoline_kernelINS0_14default_configENS1_25partition_config_selectorILNS1_17partition_subalgoE6EjNS0_10empty_typeEbEEZZNS1_14partition_implILS5_6ELb0ES3_mN6thrust23THRUST_200600_302600_NS6detail15normal_iteratorINSA_10device_ptrIjEEEEPS6_SG_NS0_5tupleIJSF_S6_EEENSH_IJSG_SG_EEES6_PlJNSB_9not_fun_tINSB_14equal_to_valueIjEEEEEEE10hipError_tPvRmT3_T4_T5_T6_T7_T9_mT8_P12ihipStream_tbDpT10_ENKUlT_T0_E_clISt17integral_constantIbLb0EES18_EEDaS13_S14_EUlS13_E_NS1_11comp_targetILNS1_3genE3ELNS1_11target_archE908ELNS1_3gpuE7ELNS1_3repE0EEENS1_30default_config_static_selectorELNS0_4arch9wavefront6targetE0EEEvT1_.num_named_barrier, 0
	.set _ZN7rocprim17ROCPRIM_400000_NS6detail17trampoline_kernelINS0_14default_configENS1_25partition_config_selectorILNS1_17partition_subalgoE6EjNS0_10empty_typeEbEEZZNS1_14partition_implILS5_6ELb0ES3_mN6thrust23THRUST_200600_302600_NS6detail15normal_iteratorINSA_10device_ptrIjEEEEPS6_SG_NS0_5tupleIJSF_S6_EEENSH_IJSG_SG_EEES6_PlJNSB_9not_fun_tINSB_14equal_to_valueIjEEEEEEE10hipError_tPvRmT3_T4_T5_T6_T7_T9_mT8_P12ihipStream_tbDpT10_ENKUlT_T0_E_clISt17integral_constantIbLb0EES18_EEDaS13_S14_EUlS13_E_NS1_11comp_targetILNS1_3genE3ELNS1_11target_archE908ELNS1_3gpuE7ELNS1_3repE0EEENS1_30default_config_static_selectorELNS0_4arch9wavefront6targetE0EEEvT1_.private_seg_size, 0
	.set _ZN7rocprim17ROCPRIM_400000_NS6detail17trampoline_kernelINS0_14default_configENS1_25partition_config_selectorILNS1_17partition_subalgoE6EjNS0_10empty_typeEbEEZZNS1_14partition_implILS5_6ELb0ES3_mN6thrust23THRUST_200600_302600_NS6detail15normal_iteratorINSA_10device_ptrIjEEEEPS6_SG_NS0_5tupleIJSF_S6_EEENSH_IJSG_SG_EEES6_PlJNSB_9not_fun_tINSB_14equal_to_valueIjEEEEEEE10hipError_tPvRmT3_T4_T5_T6_T7_T9_mT8_P12ihipStream_tbDpT10_ENKUlT_T0_E_clISt17integral_constantIbLb0EES18_EEDaS13_S14_EUlS13_E_NS1_11comp_targetILNS1_3genE3ELNS1_11target_archE908ELNS1_3gpuE7ELNS1_3repE0EEENS1_30default_config_static_selectorELNS0_4arch9wavefront6targetE0EEEvT1_.uses_vcc, 0
	.set _ZN7rocprim17ROCPRIM_400000_NS6detail17trampoline_kernelINS0_14default_configENS1_25partition_config_selectorILNS1_17partition_subalgoE6EjNS0_10empty_typeEbEEZZNS1_14partition_implILS5_6ELb0ES3_mN6thrust23THRUST_200600_302600_NS6detail15normal_iteratorINSA_10device_ptrIjEEEEPS6_SG_NS0_5tupleIJSF_S6_EEENSH_IJSG_SG_EEES6_PlJNSB_9not_fun_tINSB_14equal_to_valueIjEEEEEEE10hipError_tPvRmT3_T4_T5_T6_T7_T9_mT8_P12ihipStream_tbDpT10_ENKUlT_T0_E_clISt17integral_constantIbLb0EES18_EEDaS13_S14_EUlS13_E_NS1_11comp_targetILNS1_3genE3ELNS1_11target_archE908ELNS1_3gpuE7ELNS1_3repE0EEENS1_30default_config_static_selectorELNS0_4arch9wavefront6targetE0EEEvT1_.uses_flat_scratch, 0
	.set _ZN7rocprim17ROCPRIM_400000_NS6detail17trampoline_kernelINS0_14default_configENS1_25partition_config_selectorILNS1_17partition_subalgoE6EjNS0_10empty_typeEbEEZZNS1_14partition_implILS5_6ELb0ES3_mN6thrust23THRUST_200600_302600_NS6detail15normal_iteratorINSA_10device_ptrIjEEEEPS6_SG_NS0_5tupleIJSF_S6_EEENSH_IJSG_SG_EEES6_PlJNSB_9not_fun_tINSB_14equal_to_valueIjEEEEEEE10hipError_tPvRmT3_T4_T5_T6_T7_T9_mT8_P12ihipStream_tbDpT10_ENKUlT_T0_E_clISt17integral_constantIbLb0EES18_EEDaS13_S14_EUlS13_E_NS1_11comp_targetILNS1_3genE3ELNS1_11target_archE908ELNS1_3gpuE7ELNS1_3repE0EEENS1_30default_config_static_selectorELNS0_4arch9wavefront6targetE0EEEvT1_.has_dyn_sized_stack, 0
	.set _ZN7rocprim17ROCPRIM_400000_NS6detail17trampoline_kernelINS0_14default_configENS1_25partition_config_selectorILNS1_17partition_subalgoE6EjNS0_10empty_typeEbEEZZNS1_14partition_implILS5_6ELb0ES3_mN6thrust23THRUST_200600_302600_NS6detail15normal_iteratorINSA_10device_ptrIjEEEEPS6_SG_NS0_5tupleIJSF_S6_EEENSH_IJSG_SG_EEES6_PlJNSB_9not_fun_tINSB_14equal_to_valueIjEEEEEEE10hipError_tPvRmT3_T4_T5_T6_T7_T9_mT8_P12ihipStream_tbDpT10_ENKUlT_T0_E_clISt17integral_constantIbLb0EES18_EEDaS13_S14_EUlS13_E_NS1_11comp_targetILNS1_3genE3ELNS1_11target_archE908ELNS1_3gpuE7ELNS1_3repE0EEENS1_30default_config_static_selectorELNS0_4arch9wavefront6targetE0EEEvT1_.has_recursion, 0
	.set _ZN7rocprim17ROCPRIM_400000_NS6detail17trampoline_kernelINS0_14default_configENS1_25partition_config_selectorILNS1_17partition_subalgoE6EjNS0_10empty_typeEbEEZZNS1_14partition_implILS5_6ELb0ES3_mN6thrust23THRUST_200600_302600_NS6detail15normal_iteratorINSA_10device_ptrIjEEEEPS6_SG_NS0_5tupleIJSF_S6_EEENSH_IJSG_SG_EEES6_PlJNSB_9not_fun_tINSB_14equal_to_valueIjEEEEEEE10hipError_tPvRmT3_T4_T5_T6_T7_T9_mT8_P12ihipStream_tbDpT10_ENKUlT_T0_E_clISt17integral_constantIbLb0EES18_EEDaS13_S14_EUlS13_E_NS1_11comp_targetILNS1_3genE3ELNS1_11target_archE908ELNS1_3gpuE7ELNS1_3repE0EEENS1_30default_config_static_selectorELNS0_4arch9wavefront6targetE0EEEvT1_.has_indirect_call, 0
	.section	.AMDGPU.csdata,"",@progbits
; Kernel info:
; codeLenInByte = 0
; TotalNumSgprs: 0
; NumVgprs: 0
; ScratchSize: 0
; MemoryBound: 0
; FloatMode: 240
; IeeeMode: 1
; LDSByteSize: 0 bytes/workgroup (compile time only)
; SGPRBlocks: 0
; VGPRBlocks: 0
; NumSGPRsForWavesPerEU: 1
; NumVGPRsForWavesPerEU: 1
; Occupancy: 16
; WaveLimiterHint : 0
; COMPUTE_PGM_RSRC2:SCRATCH_EN: 0
; COMPUTE_PGM_RSRC2:USER_SGPR: 2
; COMPUTE_PGM_RSRC2:TRAP_HANDLER: 0
; COMPUTE_PGM_RSRC2:TGID_X_EN: 1
; COMPUTE_PGM_RSRC2:TGID_Y_EN: 0
; COMPUTE_PGM_RSRC2:TGID_Z_EN: 0
; COMPUTE_PGM_RSRC2:TIDIG_COMP_CNT: 0
	.section	.text._ZN7rocprim17ROCPRIM_400000_NS6detail17trampoline_kernelINS0_14default_configENS1_25partition_config_selectorILNS1_17partition_subalgoE6EjNS0_10empty_typeEbEEZZNS1_14partition_implILS5_6ELb0ES3_mN6thrust23THRUST_200600_302600_NS6detail15normal_iteratorINSA_10device_ptrIjEEEEPS6_SG_NS0_5tupleIJSF_S6_EEENSH_IJSG_SG_EEES6_PlJNSB_9not_fun_tINSB_14equal_to_valueIjEEEEEEE10hipError_tPvRmT3_T4_T5_T6_T7_T9_mT8_P12ihipStream_tbDpT10_ENKUlT_T0_E_clISt17integral_constantIbLb0EES18_EEDaS13_S14_EUlS13_E_NS1_11comp_targetILNS1_3genE2ELNS1_11target_archE906ELNS1_3gpuE6ELNS1_3repE0EEENS1_30default_config_static_selectorELNS0_4arch9wavefront6targetE0EEEvT1_,"axG",@progbits,_ZN7rocprim17ROCPRIM_400000_NS6detail17trampoline_kernelINS0_14default_configENS1_25partition_config_selectorILNS1_17partition_subalgoE6EjNS0_10empty_typeEbEEZZNS1_14partition_implILS5_6ELb0ES3_mN6thrust23THRUST_200600_302600_NS6detail15normal_iteratorINSA_10device_ptrIjEEEEPS6_SG_NS0_5tupleIJSF_S6_EEENSH_IJSG_SG_EEES6_PlJNSB_9not_fun_tINSB_14equal_to_valueIjEEEEEEE10hipError_tPvRmT3_T4_T5_T6_T7_T9_mT8_P12ihipStream_tbDpT10_ENKUlT_T0_E_clISt17integral_constantIbLb0EES18_EEDaS13_S14_EUlS13_E_NS1_11comp_targetILNS1_3genE2ELNS1_11target_archE906ELNS1_3gpuE6ELNS1_3repE0EEENS1_30default_config_static_selectorELNS0_4arch9wavefront6targetE0EEEvT1_,comdat
	.protected	_ZN7rocprim17ROCPRIM_400000_NS6detail17trampoline_kernelINS0_14default_configENS1_25partition_config_selectorILNS1_17partition_subalgoE6EjNS0_10empty_typeEbEEZZNS1_14partition_implILS5_6ELb0ES3_mN6thrust23THRUST_200600_302600_NS6detail15normal_iteratorINSA_10device_ptrIjEEEEPS6_SG_NS0_5tupleIJSF_S6_EEENSH_IJSG_SG_EEES6_PlJNSB_9not_fun_tINSB_14equal_to_valueIjEEEEEEE10hipError_tPvRmT3_T4_T5_T6_T7_T9_mT8_P12ihipStream_tbDpT10_ENKUlT_T0_E_clISt17integral_constantIbLb0EES18_EEDaS13_S14_EUlS13_E_NS1_11comp_targetILNS1_3genE2ELNS1_11target_archE906ELNS1_3gpuE6ELNS1_3repE0EEENS1_30default_config_static_selectorELNS0_4arch9wavefront6targetE0EEEvT1_ ; -- Begin function _ZN7rocprim17ROCPRIM_400000_NS6detail17trampoline_kernelINS0_14default_configENS1_25partition_config_selectorILNS1_17partition_subalgoE6EjNS0_10empty_typeEbEEZZNS1_14partition_implILS5_6ELb0ES3_mN6thrust23THRUST_200600_302600_NS6detail15normal_iteratorINSA_10device_ptrIjEEEEPS6_SG_NS0_5tupleIJSF_S6_EEENSH_IJSG_SG_EEES6_PlJNSB_9not_fun_tINSB_14equal_to_valueIjEEEEEEE10hipError_tPvRmT3_T4_T5_T6_T7_T9_mT8_P12ihipStream_tbDpT10_ENKUlT_T0_E_clISt17integral_constantIbLb0EES18_EEDaS13_S14_EUlS13_E_NS1_11comp_targetILNS1_3genE2ELNS1_11target_archE906ELNS1_3gpuE6ELNS1_3repE0EEENS1_30default_config_static_selectorELNS0_4arch9wavefront6targetE0EEEvT1_
	.globl	_ZN7rocprim17ROCPRIM_400000_NS6detail17trampoline_kernelINS0_14default_configENS1_25partition_config_selectorILNS1_17partition_subalgoE6EjNS0_10empty_typeEbEEZZNS1_14partition_implILS5_6ELb0ES3_mN6thrust23THRUST_200600_302600_NS6detail15normal_iteratorINSA_10device_ptrIjEEEEPS6_SG_NS0_5tupleIJSF_S6_EEENSH_IJSG_SG_EEES6_PlJNSB_9not_fun_tINSB_14equal_to_valueIjEEEEEEE10hipError_tPvRmT3_T4_T5_T6_T7_T9_mT8_P12ihipStream_tbDpT10_ENKUlT_T0_E_clISt17integral_constantIbLb0EES18_EEDaS13_S14_EUlS13_E_NS1_11comp_targetILNS1_3genE2ELNS1_11target_archE906ELNS1_3gpuE6ELNS1_3repE0EEENS1_30default_config_static_selectorELNS0_4arch9wavefront6targetE0EEEvT1_
	.p2align	8
	.type	_ZN7rocprim17ROCPRIM_400000_NS6detail17trampoline_kernelINS0_14default_configENS1_25partition_config_selectorILNS1_17partition_subalgoE6EjNS0_10empty_typeEbEEZZNS1_14partition_implILS5_6ELb0ES3_mN6thrust23THRUST_200600_302600_NS6detail15normal_iteratorINSA_10device_ptrIjEEEEPS6_SG_NS0_5tupleIJSF_S6_EEENSH_IJSG_SG_EEES6_PlJNSB_9not_fun_tINSB_14equal_to_valueIjEEEEEEE10hipError_tPvRmT3_T4_T5_T6_T7_T9_mT8_P12ihipStream_tbDpT10_ENKUlT_T0_E_clISt17integral_constantIbLb0EES18_EEDaS13_S14_EUlS13_E_NS1_11comp_targetILNS1_3genE2ELNS1_11target_archE906ELNS1_3gpuE6ELNS1_3repE0EEENS1_30default_config_static_selectorELNS0_4arch9wavefront6targetE0EEEvT1_,@function
_ZN7rocprim17ROCPRIM_400000_NS6detail17trampoline_kernelINS0_14default_configENS1_25partition_config_selectorILNS1_17partition_subalgoE6EjNS0_10empty_typeEbEEZZNS1_14partition_implILS5_6ELb0ES3_mN6thrust23THRUST_200600_302600_NS6detail15normal_iteratorINSA_10device_ptrIjEEEEPS6_SG_NS0_5tupleIJSF_S6_EEENSH_IJSG_SG_EEES6_PlJNSB_9not_fun_tINSB_14equal_to_valueIjEEEEEEE10hipError_tPvRmT3_T4_T5_T6_T7_T9_mT8_P12ihipStream_tbDpT10_ENKUlT_T0_E_clISt17integral_constantIbLb0EES18_EEDaS13_S14_EUlS13_E_NS1_11comp_targetILNS1_3genE2ELNS1_11target_archE906ELNS1_3gpuE6ELNS1_3repE0EEENS1_30default_config_static_selectorELNS0_4arch9wavefront6targetE0EEEvT1_: ; @_ZN7rocprim17ROCPRIM_400000_NS6detail17trampoline_kernelINS0_14default_configENS1_25partition_config_selectorILNS1_17partition_subalgoE6EjNS0_10empty_typeEbEEZZNS1_14partition_implILS5_6ELb0ES3_mN6thrust23THRUST_200600_302600_NS6detail15normal_iteratorINSA_10device_ptrIjEEEEPS6_SG_NS0_5tupleIJSF_S6_EEENSH_IJSG_SG_EEES6_PlJNSB_9not_fun_tINSB_14equal_to_valueIjEEEEEEE10hipError_tPvRmT3_T4_T5_T6_T7_T9_mT8_P12ihipStream_tbDpT10_ENKUlT_T0_E_clISt17integral_constantIbLb0EES18_EEDaS13_S14_EUlS13_E_NS1_11comp_targetILNS1_3genE2ELNS1_11target_archE906ELNS1_3gpuE6ELNS1_3repE0EEENS1_30default_config_static_selectorELNS0_4arch9wavefront6targetE0EEEvT1_
; %bb.0:
	.section	.rodata,"a",@progbits
	.p2align	6, 0x0
	.amdhsa_kernel _ZN7rocprim17ROCPRIM_400000_NS6detail17trampoline_kernelINS0_14default_configENS1_25partition_config_selectorILNS1_17partition_subalgoE6EjNS0_10empty_typeEbEEZZNS1_14partition_implILS5_6ELb0ES3_mN6thrust23THRUST_200600_302600_NS6detail15normal_iteratorINSA_10device_ptrIjEEEEPS6_SG_NS0_5tupleIJSF_S6_EEENSH_IJSG_SG_EEES6_PlJNSB_9not_fun_tINSB_14equal_to_valueIjEEEEEEE10hipError_tPvRmT3_T4_T5_T6_T7_T9_mT8_P12ihipStream_tbDpT10_ENKUlT_T0_E_clISt17integral_constantIbLb0EES18_EEDaS13_S14_EUlS13_E_NS1_11comp_targetILNS1_3genE2ELNS1_11target_archE906ELNS1_3gpuE6ELNS1_3repE0EEENS1_30default_config_static_selectorELNS0_4arch9wavefront6targetE0EEEvT1_
		.amdhsa_group_segment_fixed_size 0
		.amdhsa_private_segment_fixed_size 0
		.amdhsa_kernarg_size 120
		.amdhsa_user_sgpr_count 2
		.amdhsa_user_sgpr_dispatch_ptr 0
		.amdhsa_user_sgpr_queue_ptr 0
		.amdhsa_user_sgpr_kernarg_segment_ptr 1
		.amdhsa_user_sgpr_dispatch_id 0
		.amdhsa_user_sgpr_private_segment_size 0
		.amdhsa_wavefront_size32 1
		.amdhsa_uses_dynamic_stack 0
		.amdhsa_enable_private_segment 0
		.amdhsa_system_sgpr_workgroup_id_x 1
		.amdhsa_system_sgpr_workgroup_id_y 0
		.amdhsa_system_sgpr_workgroup_id_z 0
		.amdhsa_system_sgpr_workgroup_info 0
		.amdhsa_system_vgpr_workitem_id 0
		.amdhsa_next_free_vgpr 1
		.amdhsa_next_free_sgpr 1
		.amdhsa_reserve_vcc 0
		.amdhsa_float_round_mode_32 0
		.amdhsa_float_round_mode_16_64 0
		.amdhsa_float_denorm_mode_32 3
		.amdhsa_float_denorm_mode_16_64 3
		.amdhsa_fp16_overflow 0
		.amdhsa_workgroup_processor_mode 1
		.amdhsa_memory_ordered 1
		.amdhsa_forward_progress 1
		.amdhsa_inst_pref_size 0
		.amdhsa_round_robin_scheduling 0
		.amdhsa_exception_fp_ieee_invalid_op 0
		.amdhsa_exception_fp_denorm_src 0
		.amdhsa_exception_fp_ieee_div_zero 0
		.amdhsa_exception_fp_ieee_overflow 0
		.amdhsa_exception_fp_ieee_underflow 0
		.amdhsa_exception_fp_ieee_inexact 0
		.amdhsa_exception_int_div_zero 0
	.end_amdhsa_kernel
	.section	.text._ZN7rocprim17ROCPRIM_400000_NS6detail17trampoline_kernelINS0_14default_configENS1_25partition_config_selectorILNS1_17partition_subalgoE6EjNS0_10empty_typeEbEEZZNS1_14partition_implILS5_6ELb0ES3_mN6thrust23THRUST_200600_302600_NS6detail15normal_iteratorINSA_10device_ptrIjEEEEPS6_SG_NS0_5tupleIJSF_S6_EEENSH_IJSG_SG_EEES6_PlJNSB_9not_fun_tINSB_14equal_to_valueIjEEEEEEE10hipError_tPvRmT3_T4_T5_T6_T7_T9_mT8_P12ihipStream_tbDpT10_ENKUlT_T0_E_clISt17integral_constantIbLb0EES18_EEDaS13_S14_EUlS13_E_NS1_11comp_targetILNS1_3genE2ELNS1_11target_archE906ELNS1_3gpuE6ELNS1_3repE0EEENS1_30default_config_static_selectorELNS0_4arch9wavefront6targetE0EEEvT1_,"axG",@progbits,_ZN7rocprim17ROCPRIM_400000_NS6detail17trampoline_kernelINS0_14default_configENS1_25partition_config_selectorILNS1_17partition_subalgoE6EjNS0_10empty_typeEbEEZZNS1_14partition_implILS5_6ELb0ES3_mN6thrust23THRUST_200600_302600_NS6detail15normal_iteratorINSA_10device_ptrIjEEEEPS6_SG_NS0_5tupleIJSF_S6_EEENSH_IJSG_SG_EEES6_PlJNSB_9not_fun_tINSB_14equal_to_valueIjEEEEEEE10hipError_tPvRmT3_T4_T5_T6_T7_T9_mT8_P12ihipStream_tbDpT10_ENKUlT_T0_E_clISt17integral_constantIbLb0EES18_EEDaS13_S14_EUlS13_E_NS1_11comp_targetILNS1_3genE2ELNS1_11target_archE906ELNS1_3gpuE6ELNS1_3repE0EEENS1_30default_config_static_selectorELNS0_4arch9wavefront6targetE0EEEvT1_,comdat
.Lfunc_end377:
	.size	_ZN7rocprim17ROCPRIM_400000_NS6detail17trampoline_kernelINS0_14default_configENS1_25partition_config_selectorILNS1_17partition_subalgoE6EjNS0_10empty_typeEbEEZZNS1_14partition_implILS5_6ELb0ES3_mN6thrust23THRUST_200600_302600_NS6detail15normal_iteratorINSA_10device_ptrIjEEEEPS6_SG_NS0_5tupleIJSF_S6_EEENSH_IJSG_SG_EEES6_PlJNSB_9not_fun_tINSB_14equal_to_valueIjEEEEEEE10hipError_tPvRmT3_T4_T5_T6_T7_T9_mT8_P12ihipStream_tbDpT10_ENKUlT_T0_E_clISt17integral_constantIbLb0EES18_EEDaS13_S14_EUlS13_E_NS1_11comp_targetILNS1_3genE2ELNS1_11target_archE906ELNS1_3gpuE6ELNS1_3repE0EEENS1_30default_config_static_selectorELNS0_4arch9wavefront6targetE0EEEvT1_, .Lfunc_end377-_ZN7rocprim17ROCPRIM_400000_NS6detail17trampoline_kernelINS0_14default_configENS1_25partition_config_selectorILNS1_17partition_subalgoE6EjNS0_10empty_typeEbEEZZNS1_14partition_implILS5_6ELb0ES3_mN6thrust23THRUST_200600_302600_NS6detail15normal_iteratorINSA_10device_ptrIjEEEEPS6_SG_NS0_5tupleIJSF_S6_EEENSH_IJSG_SG_EEES6_PlJNSB_9not_fun_tINSB_14equal_to_valueIjEEEEEEE10hipError_tPvRmT3_T4_T5_T6_T7_T9_mT8_P12ihipStream_tbDpT10_ENKUlT_T0_E_clISt17integral_constantIbLb0EES18_EEDaS13_S14_EUlS13_E_NS1_11comp_targetILNS1_3genE2ELNS1_11target_archE906ELNS1_3gpuE6ELNS1_3repE0EEENS1_30default_config_static_selectorELNS0_4arch9wavefront6targetE0EEEvT1_
                                        ; -- End function
	.set _ZN7rocprim17ROCPRIM_400000_NS6detail17trampoline_kernelINS0_14default_configENS1_25partition_config_selectorILNS1_17partition_subalgoE6EjNS0_10empty_typeEbEEZZNS1_14partition_implILS5_6ELb0ES3_mN6thrust23THRUST_200600_302600_NS6detail15normal_iteratorINSA_10device_ptrIjEEEEPS6_SG_NS0_5tupleIJSF_S6_EEENSH_IJSG_SG_EEES6_PlJNSB_9not_fun_tINSB_14equal_to_valueIjEEEEEEE10hipError_tPvRmT3_T4_T5_T6_T7_T9_mT8_P12ihipStream_tbDpT10_ENKUlT_T0_E_clISt17integral_constantIbLb0EES18_EEDaS13_S14_EUlS13_E_NS1_11comp_targetILNS1_3genE2ELNS1_11target_archE906ELNS1_3gpuE6ELNS1_3repE0EEENS1_30default_config_static_selectorELNS0_4arch9wavefront6targetE0EEEvT1_.num_vgpr, 0
	.set _ZN7rocprim17ROCPRIM_400000_NS6detail17trampoline_kernelINS0_14default_configENS1_25partition_config_selectorILNS1_17partition_subalgoE6EjNS0_10empty_typeEbEEZZNS1_14partition_implILS5_6ELb0ES3_mN6thrust23THRUST_200600_302600_NS6detail15normal_iteratorINSA_10device_ptrIjEEEEPS6_SG_NS0_5tupleIJSF_S6_EEENSH_IJSG_SG_EEES6_PlJNSB_9not_fun_tINSB_14equal_to_valueIjEEEEEEE10hipError_tPvRmT3_T4_T5_T6_T7_T9_mT8_P12ihipStream_tbDpT10_ENKUlT_T0_E_clISt17integral_constantIbLb0EES18_EEDaS13_S14_EUlS13_E_NS1_11comp_targetILNS1_3genE2ELNS1_11target_archE906ELNS1_3gpuE6ELNS1_3repE0EEENS1_30default_config_static_selectorELNS0_4arch9wavefront6targetE0EEEvT1_.num_agpr, 0
	.set _ZN7rocprim17ROCPRIM_400000_NS6detail17trampoline_kernelINS0_14default_configENS1_25partition_config_selectorILNS1_17partition_subalgoE6EjNS0_10empty_typeEbEEZZNS1_14partition_implILS5_6ELb0ES3_mN6thrust23THRUST_200600_302600_NS6detail15normal_iteratorINSA_10device_ptrIjEEEEPS6_SG_NS0_5tupleIJSF_S6_EEENSH_IJSG_SG_EEES6_PlJNSB_9not_fun_tINSB_14equal_to_valueIjEEEEEEE10hipError_tPvRmT3_T4_T5_T6_T7_T9_mT8_P12ihipStream_tbDpT10_ENKUlT_T0_E_clISt17integral_constantIbLb0EES18_EEDaS13_S14_EUlS13_E_NS1_11comp_targetILNS1_3genE2ELNS1_11target_archE906ELNS1_3gpuE6ELNS1_3repE0EEENS1_30default_config_static_selectorELNS0_4arch9wavefront6targetE0EEEvT1_.numbered_sgpr, 0
	.set _ZN7rocprim17ROCPRIM_400000_NS6detail17trampoline_kernelINS0_14default_configENS1_25partition_config_selectorILNS1_17partition_subalgoE6EjNS0_10empty_typeEbEEZZNS1_14partition_implILS5_6ELb0ES3_mN6thrust23THRUST_200600_302600_NS6detail15normal_iteratorINSA_10device_ptrIjEEEEPS6_SG_NS0_5tupleIJSF_S6_EEENSH_IJSG_SG_EEES6_PlJNSB_9not_fun_tINSB_14equal_to_valueIjEEEEEEE10hipError_tPvRmT3_T4_T5_T6_T7_T9_mT8_P12ihipStream_tbDpT10_ENKUlT_T0_E_clISt17integral_constantIbLb0EES18_EEDaS13_S14_EUlS13_E_NS1_11comp_targetILNS1_3genE2ELNS1_11target_archE906ELNS1_3gpuE6ELNS1_3repE0EEENS1_30default_config_static_selectorELNS0_4arch9wavefront6targetE0EEEvT1_.num_named_barrier, 0
	.set _ZN7rocprim17ROCPRIM_400000_NS6detail17trampoline_kernelINS0_14default_configENS1_25partition_config_selectorILNS1_17partition_subalgoE6EjNS0_10empty_typeEbEEZZNS1_14partition_implILS5_6ELb0ES3_mN6thrust23THRUST_200600_302600_NS6detail15normal_iteratorINSA_10device_ptrIjEEEEPS6_SG_NS0_5tupleIJSF_S6_EEENSH_IJSG_SG_EEES6_PlJNSB_9not_fun_tINSB_14equal_to_valueIjEEEEEEE10hipError_tPvRmT3_T4_T5_T6_T7_T9_mT8_P12ihipStream_tbDpT10_ENKUlT_T0_E_clISt17integral_constantIbLb0EES18_EEDaS13_S14_EUlS13_E_NS1_11comp_targetILNS1_3genE2ELNS1_11target_archE906ELNS1_3gpuE6ELNS1_3repE0EEENS1_30default_config_static_selectorELNS0_4arch9wavefront6targetE0EEEvT1_.private_seg_size, 0
	.set _ZN7rocprim17ROCPRIM_400000_NS6detail17trampoline_kernelINS0_14default_configENS1_25partition_config_selectorILNS1_17partition_subalgoE6EjNS0_10empty_typeEbEEZZNS1_14partition_implILS5_6ELb0ES3_mN6thrust23THRUST_200600_302600_NS6detail15normal_iteratorINSA_10device_ptrIjEEEEPS6_SG_NS0_5tupleIJSF_S6_EEENSH_IJSG_SG_EEES6_PlJNSB_9not_fun_tINSB_14equal_to_valueIjEEEEEEE10hipError_tPvRmT3_T4_T5_T6_T7_T9_mT8_P12ihipStream_tbDpT10_ENKUlT_T0_E_clISt17integral_constantIbLb0EES18_EEDaS13_S14_EUlS13_E_NS1_11comp_targetILNS1_3genE2ELNS1_11target_archE906ELNS1_3gpuE6ELNS1_3repE0EEENS1_30default_config_static_selectorELNS0_4arch9wavefront6targetE0EEEvT1_.uses_vcc, 0
	.set _ZN7rocprim17ROCPRIM_400000_NS6detail17trampoline_kernelINS0_14default_configENS1_25partition_config_selectorILNS1_17partition_subalgoE6EjNS0_10empty_typeEbEEZZNS1_14partition_implILS5_6ELb0ES3_mN6thrust23THRUST_200600_302600_NS6detail15normal_iteratorINSA_10device_ptrIjEEEEPS6_SG_NS0_5tupleIJSF_S6_EEENSH_IJSG_SG_EEES6_PlJNSB_9not_fun_tINSB_14equal_to_valueIjEEEEEEE10hipError_tPvRmT3_T4_T5_T6_T7_T9_mT8_P12ihipStream_tbDpT10_ENKUlT_T0_E_clISt17integral_constantIbLb0EES18_EEDaS13_S14_EUlS13_E_NS1_11comp_targetILNS1_3genE2ELNS1_11target_archE906ELNS1_3gpuE6ELNS1_3repE0EEENS1_30default_config_static_selectorELNS0_4arch9wavefront6targetE0EEEvT1_.uses_flat_scratch, 0
	.set _ZN7rocprim17ROCPRIM_400000_NS6detail17trampoline_kernelINS0_14default_configENS1_25partition_config_selectorILNS1_17partition_subalgoE6EjNS0_10empty_typeEbEEZZNS1_14partition_implILS5_6ELb0ES3_mN6thrust23THRUST_200600_302600_NS6detail15normal_iteratorINSA_10device_ptrIjEEEEPS6_SG_NS0_5tupleIJSF_S6_EEENSH_IJSG_SG_EEES6_PlJNSB_9not_fun_tINSB_14equal_to_valueIjEEEEEEE10hipError_tPvRmT3_T4_T5_T6_T7_T9_mT8_P12ihipStream_tbDpT10_ENKUlT_T0_E_clISt17integral_constantIbLb0EES18_EEDaS13_S14_EUlS13_E_NS1_11comp_targetILNS1_3genE2ELNS1_11target_archE906ELNS1_3gpuE6ELNS1_3repE0EEENS1_30default_config_static_selectorELNS0_4arch9wavefront6targetE0EEEvT1_.has_dyn_sized_stack, 0
	.set _ZN7rocprim17ROCPRIM_400000_NS6detail17trampoline_kernelINS0_14default_configENS1_25partition_config_selectorILNS1_17partition_subalgoE6EjNS0_10empty_typeEbEEZZNS1_14partition_implILS5_6ELb0ES3_mN6thrust23THRUST_200600_302600_NS6detail15normal_iteratorINSA_10device_ptrIjEEEEPS6_SG_NS0_5tupleIJSF_S6_EEENSH_IJSG_SG_EEES6_PlJNSB_9not_fun_tINSB_14equal_to_valueIjEEEEEEE10hipError_tPvRmT3_T4_T5_T6_T7_T9_mT8_P12ihipStream_tbDpT10_ENKUlT_T0_E_clISt17integral_constantIbLb0EES18_EEDaS13_S14_EUlS13_E_NS1_11comp_targetILNS1_3genE2ELNS1_11target_archE906ELNS1_3gpuE6ELNS1_3repE0EEENS1_30default_config_static_selectorELNS0_4arch9wavefront6targetE0EEEvT1_.has_recursion, 0
	.set _ZN7rocprim17ROCPRIM_400000_NS6detail17trampoline_kernelINS0_14default_configENS1_25partition_config_selectorILNS1_17partition_subalgoE6EjNS0_10empty_typeEbEEZZNS1_14partition_implILS5_6ELb0ES3_mN6thrust23THRUST_200600_302600_NS6detail15normal_iteratorINSA_10device_ptrIjEEEEPS6_SG_NS0_5tupleIJSF_S6_EEENSH_IJSG_SG_EEES6_PlJNSB_9not_fun_tINSB_14equal_to_valueIjEEEEEEE10hipError_tPvRmT3_T4_T5_T6_T7_T9_mT8_P12ihipStream_tbDpT10_ENKUlT_T0_E_clISt17integral_constantIbLb0EES18_EEDaS13_S14_EUlS13_E_NS1_11comp_targetILNS1_3genE2ELNS1_11target_archE906ELNS1_3gpuE6ELNS1_3repE0EEENS1_30default_config_static_selectorELNS0_4arch9wavefront6targetE0EEEvT1_.has_indirect_call, 0
	.section	.AMDGPU.csdata,"",@progbits
; Kernel info:
; codeLenInByte = 0
; TotalNumSgprs: 0
; NumVgprs: 0
; ScratchSize: 0
; MemoryBound: 0
; FloatMode: 240
; IeeeMode: 1
; LDSByteSize: 0 bytes/workgroup (compile time only)
; SGPRBlocks: 0
; VGPRBlocks: 0
; NumSGPRsForWavesPerEU: 1
; NumVGPRsForWavesPerEU: 1
; Occupancy: 16
; WaveLimiterHint : 0
; COMPUTE_PGM_RSRC2:SCRATCH_EN: 0
; COMPUTE_PGM_RSRC2:USER_SGPR: 2
; COMPUTE_PGM_RSRC2:TRAP_HANDLER: 0
; COMPUTE_PGM_RSRC2:TGID_X_EN: 1
; COMPUTE_PGM_RSRC2:TGID_Y_EN: 0
; COMPUTE_PGM_RSRC2:TGID_Z_EN: 0
; COMPUTE_PGM_RSRC2:TIDIG_COMP_CNT: 0
	.section	.text._ZN7rocprim17ROCPRIM_400000_NS6detail17trampoline_kernelINS0_14default_configENS1_25partition_config_selectorILNS1_17partition_subalgoE6EjNS0_10empty_typeEbEEZZNS1_14partition_implILS5_6ELb0ES3_mN6thrust23THRUST_200600_302600_NS6detail15normal_iteratorINSA_10device_ptrIjEEEEPS6_SG_NS0_5tupleIJSF_S6_EEENSH_IJSG_SG_EEES6_PlJNSB_9not_fun_tINSB_14equal_to_valueIjEEEEEEE10hipError_tPvRmT3_T4_T5_T6_T7_T9_mT8_P12ihipStream_tbDpT10_ENKUlT_T0_E_clISt17integral_constantIbLb0EES18_EEDaS13_S14_EUlS13_E_NS1_11comp_targetILNS1_3genE10ELNS1_11target_archE1200ELNS1_3gpuE4ELNS1_3repE0EEENS1_30default_config_static_selectorELNS0_4arch9wavefront6targetE0EEEvT1_,"axG",@progbits,_ZN7rocprim17ROCPRIM_400000_NS6detail17trampoline_kernelINS0_14default_configENS1_25partition_config_selectorILNS1_17partition_subalgoE6EjNS0_10empty_typeEbEEZZNS1_14partition_implILS5_6ELb0ES3_mN6thrust23THRUST_200600_302600_NS6detail15normal_iteratorINSA_10device_ptrIjEEEEPS6_SG_NS0_5tupleIJSF_S6_EEENSH_IJSG_SG_EEES6_PlJNSB_9not_fun_tINSB_14equal_to_valueIjEEEEEEE10hipError_tPvRmT3_T4_T5_T6_T7_T9_mT8_P12ihipStream_tbDpT10_ENKUlT_T0_E_clISt17integral_constantIbLb0EES18_EEDaS13_S14_EUlS13_E_NS1_11comp_targetILNS1_3genE10ELNS1_11target_archE1200ELNS1_3gpuE4ELNS1_3repE0EEENS1_30default_config_static_selectorELNS0_4arch9wavefront6targetE0EEEvT1_,comdat
	.protected	_ZN7rocprim17ROCPRIM_400000_NS6detail17trampoline_kernelINS0_14default_configENS1_25partition_config_selectorILNS1_17partition_subalgoE6EjNS0_10empty_typeEbEEZZNS1_14partition_implILS5_6ELb0ES3_mN6thrust23THRUST_200600_302600_NS6detail15normal_iteratorINSA_10device_ptrIjEEEEPS6_SG_NS0_5tupleIJSF_S6_EEENSH_IJSG_SG_EEES6_PlJNSB_9not_fun_tINSB_14equal_to_valueIjEEEEEEE10hipError_tPvRmT3_T4_T5_T6_T7_T9_mT8_P12ihipStream_tbDpT10_ENKUlT_T0_E_clISt17integral_constantIbLb0EES18_EEDaS13_S14_EUlS13_E_NS1_11comp_targetILNS1_3genE10ELNS1_11target_archE1200ELNS1_3gpuE4ELNS1_3repE0EEENS1_30default_config_static_selectorELNS0_4arch9wavefront6targetE0EEEvT1_ ; -- Begin function _ZN7rocprim17ROCPRIM_400000_NS6detail17trampoline_kernelINS0_14default_configENS1_25partition_config_selectorILNS1_17partition_subalgoE6EjNS0_10empty_typeEbEEZZNS1_14partition_implILS5_6ELb0ES3_mN6thrust23THRUST_200600_302600_NS6detail15normal_iteratorINSA_10device_ptrIjEEEEPS6_SG_NS0_5tupleIJSF_S6_EEENSH_IJSG_SG_EEES6_PlJNSB_9not_fun_tINSB_14equal_to_valueIjEEEEEEE10hipError_tPvRmT3_T4_T5_T6_T7_T9_mT8_P12ihipStream_tbDpT10_ENKUlT_T0_E_clISt17integral_constantIbLb0EES18_EEDaS13_S14_EUlS13_E_NS1_11comp_targetILNS1_3genE10ELNS1_11target_archE1200ELNS1_3gpuE4ELNS1_3repE0EEENS1_30default_config_static_selectorELNS0_4arch9wavefront6targetE0EEEvT1_
	.globl	_ZN7rocprim17ROCPRIM_400000_NS6detail17trampoline_kernelINS0_14default_configENS1_25partition_config_selectorILNS1_17partition_subalgoE6EjNS0_10empty_typeEbEEZZNS1_14partition_implILS5_6ELb0ES3_mN6thrust23THRUST_200600_302600_NS6detail15normal_iteratorINSA_10device_ptrIjEEEEPS6_SG_NS0_5tupleIJSF_S6_EEENSH_IJSG_SG_EEES6_PlJNSB_9not_fun_tINSB_14equal_to_valueIjEEEEEEE10hipError_tPvRmT3_T4_T5_T6_T7_T9_mT8_P12ihipStream_tbDpT10_ENKUlT_T0_E_clISt17integral_constantIbLb0EES18_EEDaS13_S14_EUlS13_E_NS1_11comp_targetILNS1_3genE10ELNS1_11target_archE1200ELNS1_3gpuE4ELNS1_3repE0EEENS1_30default_config_static_selectorELNS0_4arch9wavefront6targetE0EEEvT1_
	.p2align	8
	.type	_ZN7rocprim17ROCPRIM_400000_NS6detail17trampoline_kernelINS0_14default_configENS1_25partition_config_selectorILNS1_17partition_subalgoE6EjNS0_10empty_typeEbEEZZNS1_14partition_implILS5_6ELb0ES3_mN6thrust23THRUST_200600_302600_NS6detail15normal_iteratorINSA_10device_ptrIjEEEEPS6_SG_NS0_5tupleIJSF_S6_EEENSH_IJSG_SG_EEES6_PlJNSB_9not_fun_tINSB_14equal_to_valueIjEEEEEEE10hipError_tPvRmT3_T4_T5_T6_T7_T9_mT8_P12ihipStream_tbDpT10_ENKUlT_T0_E_clISt17integral_constantIbLb0EES18_EEDaS13_S14_EUlS13_E_NS1_11comp_targetILNS1_3genE10ELNS1_11target_archE1200ELNS1_3gpuE4ELNS1_3repE0EEENS1_30default_config_static_selectorELNS0_4arch9wavefront6targetE0EEEvT1_,@function
_ZN7rocprim17ROCPRIM_400000_NS6detail17trampoline_kernelINS0_14default_configENS1_25partition_config_selectorILNS1_17partition_subalgoE6EjNS0_10empty_typeEbEEZZNS1_14partition_implILS5_6ELb0ES3_mN6thrust23THRUST_200600_302600_NS6detail15normal_iteratorINSA_10device_ptrIjEEEEPS6_SG_NS0_5tupleIJSF_S6_EEENSH_IJSG_SG_EEES6_PlJNSB_9not_fun_tINSB_14equal_to_valueIjEEEEEEE10hipError_tPvRmT3_T4_T5_T6_T7_T9_mT8_P12ihipStream_tbDpT10_ENKUlT_T0_E_clISt17integral_constantIbLb0EES18_EEDaS13_S14_EUlS13_E_NS1_11comp_targetILNS1_3genE10ELNS1_11target_archE1200ELNS1_3gpuE4ELNS1_3repE0EEENS1_30default_config_static_selectorELNS0_4arch9wavefront6targetE0EEEvT1_: ; @_ZN7rocprim17ROCPRIM_400000_NS6detail17trampoline_kernelINS0_14default_configENS1_25partition_config_selectorILNS1_17partition_subalgoE6EjNS0_10empty_typeEbEEZZNS1_14partition_implILS5_6ELb0ES3_mN6thrust23THRUST_200600_302600_NS6detail15normal_iteratorINSA_10device_ptrIjEEEEPS6_SG_NS0_5tupleIJSF_S6_EEENSH_IJSG_SG_EEES6_PlJNSB_9not_fun_tINSB_14equal_to_valueIjEEEEEEE10hipError_tPvRmT3_T4_T5_T6_T7_T9_mT8_P12ihipStream_tbDpT10_ENKUlT_T0_E_clISt17integral_constantIbLb0EES18_EEDaS13_S14_EUlS13_E_NS1_11comp_targetILNS1_3genE10ELNS1_11target_archE1200ELNS1_3gpuE4ELNS1_3repE0EEENS1_30default_config_static_selectorELNS0_4arch9wavefront6targetE0EEEvT1_
; %bb.0:
	s_clause 0x3
	s_load_b128 s[4:7], s[0:1], 0x8
	s_load_b128 s[8:11], s[0:1], 0x40
	s_load_b32 s12, s[0:1], 0x68
	s_load_b64 s[2:3], s[0:1], 0x50
	s_mov_b32 s13, 0
	v_lshlrev_b32_e32 v8, 2, v0
	s_wait_kmcnt 0x0
	s_lshl_b64 s[14:15], s[6:7], 2
	s_load_b64 s[10:11], s[10:11], 0x0
	s_add_co_i32 s17, s12, -1
	s_mulk_i32 s12, 0xa80
	s_add_nc_u64 s[14:15], s[4:5], s[14:15]
	s_add_nc_u64 s[4:5], s[6:7], s[12:13]
	s_add_co_i32 s6, s12, s6
	v_cmp_le_u64_e64 s3, s[2:3], s[4:5]
	s_sub_co_i32 s16, s2, s6
	s_cmp_eq_u32 ttmp9, s17
	s_mul_i32 s2, ttmp9, 0xa80
	s_cselect_b32 s12, -1, 0
	s_mov_b32 s4, -1
	s_and_b32 s5, s12, s3
	s_mov_b32 s3, s13
	s_wait_alu 0xfffe
	s_xor_b32 s13, s5, -1
	s_lshl_b64 s[2:3], s[2:3], 2
	s_and_b32 vcc_lo, exec_lo, s13
	s_wait_alu 0xfffe
	s_add_nc_u64 s[2:3], s[14:15], s[2:3]
	s_cbranch_vccz .LBB378_2
; %bb.1:
	s_wait_alu 0xfffe
	v_add_co_u32 v1, s4, s2, v8
	s_wait_alu 0xf1ff
	v_add_co_ci_u32_e64 v2, null, s3, 0, s4
	s_mov_b32 s4, 0
	s_clause 0x6
	flat_load_b32 v3, v[1:2]
	flat_load_b32 v4, v[1:2] offset:1536
	flat_load_b32 v5, v[1:2] offset:3072
	flat_load_b32 v6, v[1:2] offset:4608
	flat_load_b32 v7, v[1:2] offset:6144
	flat_load_b32 v9, v[1:2] offset:7680
	flat_load_b32 v1, v[1:2] offset:9216
	s_wait_loadcnt_dscnt 0x505
	ds_store_2addr_stride64_b32 v8, v3, v4 offset1:6
	s_wait_loadcnt_dscnt 0x304
	ds_store_2addr_stride64_b32 v8, v5, v6 offset0:12 offset1:18
	s_wait_loadcnt_dscnt 0x103
	ds_store_2addr_stride64_b32 v8, v7, v9 offset0:24 offset1:30
	s_wait_loadcnt_dscnt 0x3
	ds_store_b32 v8, v1 offset:9216
	s_wait_dscnt 0x0
	s_barrier_signal -1
	s_barrier_wait -1
.LBB378_2:
	s_load_b32 s15, s[0:1], 0x70
	s_and_not1_b32 vcc_lo, exec_lo, s4
	s_addk_co_i32 s16, 0xa80
	s_cbranch_vccnz .LBB378_18
; %bb.3:
	v_mov_b32_e32 v1, 0
	s_mov_b32 s4, exec_lo
	s_delay_alu instid0(VALU_DEP_1)
	v_dual_mov_b32 v2, v1 :: v_dual_mov_b32 v3, v1
	v_dual_mov_b32 v4, v1 :: v_dual_mov_b32 v5, v1
	;; [unrolled: 1-line block ×3, first 2 shown]
	v_cmpx_gt_u32_e64 s16, v0
	s_cbranch_execz .LBB378_5
; %bb.4:
	v_add_co_u32 v2, s5, s2, v8
	s_wait_alu 0xf1ff
	v_add_co_ci_u32_e64 v3, null, s3, 0, s5
	v_dual_mov_b32 v10, v1 :: v_dual_mov_b32 v11, v1
	v_dual_mov_b32 v12, v1 :: v_dual_mov_b32 v13, v1
	flat_load_b32 v9, v[2:3]
	v_dual_mov_b32 v14, v1 :: v_dual_mov_b32 v15, v1
	s_wait_loadcnt_dscnt 0x0
	v_dual_mov_b32 v1, v9 :: v_dual_mov_b32 v2, v10
	v_dual_mov_b32 v3, v11 :: v_dual_mov_b32 v4, v12
	s_delay_alu instid0(VALU_DEP_3)
	v_dual_mov_b32 v5, v13 :: v_dual_mov_b32 v6, v14
	v_mov_b32_e32 v7, v15
.LBB378_5:
	s_wait_alu 0xfffe
	s_or_b32 exec_lo, exec_lo, s4
	v_add_nc_u32_e32 v9, 0x180, v0
	s_mov_b32 s4, exec_lo
	s_delay_alu instid0(VALU_DEP_1)
	v_cmpx_gt_u32_e64 s16, v9
	s_cbranch_execz .LBB378_7
; %bb.6:
	v_add_co_u32 v9, s5, s2, v8
	s_wait_alu 0xf1ff
	v_add_co_ci_u32_e64 v10, null, s3, 0, s5
	flat_load_b32 v2, v[9:10] offset:1536
.LBB378_7:
	s_wait_alu 0xfffe
	s_or_b32 exec_lo, exec_lo, s4
	v_add_nc_u32_e32 v9, 0x300, v0
	s_mov_b32 s4, exec_lo
	s_delay_alu instid0(VALU_DEP_1)
	v_cmpx_gt_u32_e64 s16, v9
	s_cbranch_execz .LBB378_9
; %bb.8:
	v_add_co_u32 v9, s5, s2, v8
	s_wait_alu 0xf1ff
	v_add_co_ci_u32_e64 v10, null, s3, 0, s5
	flat_load_b32 v3, v[9:10] offset:3072
.LBB378_9:
	;; [unrolled: 13-line block ×3, first 2 shown]
	s_wait_alu 0xfffe
	s_or_b32 exec_lo, exec_lo, s4
	v_or_b32_e32 v9, 0x600, v0
	s_mov_b32 s4, exec_lo
	s_delay_alu instid0(VALU_DEP_1)
	v_cmpx_gt_u32_e64 s16, v9
	s_cbranch_execz .LBB378_13
; %bb.12:
	v_add_co_u32 v9, s5, s2, v8
	s_wait_alu 0xf1ff
	v_add_co_ci_u32_e64 v10, null, s3, 0, s5
	flat_load_b32 v5, v[9:10] offset:6144
.LBB378_13:
	s_wait_alu 0xfffe
	s_or_b32 exec_lo, exec_lo, s4
	v_add_nc_u32_e32 v9, 0x780, v0
	s_mov_b32 s4, exec_lo
	s_delay_alu instid0(VALU_DEP_1)
	v_cmpx_gt_u32_e64 s16, v9
	s_cbranch_execz .LBB378_15
; %bb.14:
	v_add_co_u32 v9, s5, s2, v8
	s_wait_alu 0xf1ff
	v_add_co_ci_u32_e64 v10, null, s3, 0, s5
	flat_load_b32 v6, v[9:10] offset:7680
.LBB378_15:
	s_wait_alu 0xfffe
	s_or_b32 exec_lo, exec_lo, s4
	v_add_nc_u32_e32 v9, 0x900, v0
	s_mov_b32 s4, exec_lo
	s_delay_alu instid0(VALU_DEP_1)
	v_cmpx_gt_u32_e64 s16, v9
	s_cbranch_execz .LBB378_17
; %bb.16:
	v_add_co_u32 v9, s2, s2, v8
	s_wait_alu 0xf1ff
	v_add_co_ci_u32_e64 v10, null, s3, 0, s2
	flat_load_b32 v7, v[9:10] offset:9216
.LBB378_17:
	s_wait_alu 0xfffe
	s_or_b32 exec_lo, exec_lo, s4
	s_wait_loadcnt_dscnt 0x0
	ds_store_2addr_stride64_b32 v8, v1, v2 offset1:6
	ds_store_2addr_stride64_b32 v8, v3, v4 offset0:12 offset1:18
	ds_store_2addr_stride64_b32 v8, v5, v6 offset0:24 offset1:30
	ds_store_b32 v8, v7 offset:9216
	s_wait_dscnt 0x0
	s_barrier_signal -1
	s_barrier_wait -1
.LBB378_18:
	v_mul_u32_u24_e32 v1, 7, v0
	global_inv scope:SCOPE_SE
	s_and_not1_b32 vcc_lo, exec_lo, s13
	v_lshlrev_b32_e32 v34, 2, v1
	ds_load_2addr_b32 v[9:10], v34 offset0:4 offset1:5
	ds_load_b32 v29, v34 offset:24
	ds_load_2addr_b32 v[13:14], v34 offset1:1
	ds_load_2addr_b32 v[11:12], v34 offset0:2 offset1:3
	s_wait_loadcnt_dscnt 0x0
	s_barrier_signal -1
	s_barrier_wait -1
	global_inv scope:SCOPE_SE
	s_wait_kmcnt 0x0
	v_cmp_ne_u32_e64 s2, s15, v9
	v_cmp_ne_u32_e64 s14, s15, v29
	v_cmp_ne_u32_e64 s4, s15, v13
	v_cmp_ne_u32_e64 s6, s15, v14
	v_cmp_ne_u32_e64 s5, s15, v11
	v_cmp_ne_u32_e64 s7, s15, v12
	v_cmp_ne_u32_e64 s3, s15, v10
	s_cbranch_vccnz .LBB378_20
; %bb.19:
	v_cndmask_b32_e64 v2, 0, 1, s6
	v_cndmask_b32_e64 v3, 0, 1, s7
	s_wait_alu 0xf1ff
	v_cndmask_b32_e64 v4, 0, 1, s4
	v_cndmask_b32_e64 v5, 0, 1, s5
	;; [unrolled: 1-line block ×3, first 2 shown]
	v_lshlrev_b16 v2, 8, v2
	v_lshlrev_b16 v3, 8, v3
	v_cndmask_b32_e64 v30, 0, 1, s3
	s_delay_alu instid0(VALU_DEP_3) | instskip(NEXT) | instid1(VALU_DEP_3)
	v_or_b32_e32 v2, v4, v2
	v_or_b32_e32 v3, v5, v3
	s_delay_alu instid0(VALU_DEP_2) | instskip(NEXT) | instid1(VALU_DEP_2)
	v_and_b32_e32 v2, 0xffff, v2
	v_lshlrev_b32_e32 v3, 16, v3
	s_delay_alu instid0(VALU_DEP_1)
	v_or_b32_e32 v33, v2, v3
	s_cbranch_execz .LBB378_21
	s_branch .LBB378_22
.LBB378_20:
                                        ; implicit-def: $sgpr14
                                        ; implicit-def: $vgpr30
                                        ; implicit-def: $vgpr31
                                        ; implicit-def: $vgpr33
.LBB378_21:
	v_add_nc_u32_e32 v2, 1, v1
	v_cmp_ne_u32_e32 vcc_lo, s15, v14
	v_add_nc_u32_e32 v3, 3, v1
	v_cmp_ne_u32_e64 s2, s15, v13
	v_cmp_ne_u32_e64 s4, s15, v12
	v_cmp_gt_u32_e64 s3, s16, v2
	v_add_nc_u32_e32 v2, 2, v1
	v_cmp_gt_u32_e64 s6, s16, v3
	v_cmp_ne_u32_e64 s5, s15, v11
	v_add_nc_u32_e32 v5, 5, v1
	s_and_b32 s3, s3, vcc_lo
	v_cmp_gt_u32_e32 vcc_lo, s16, v1
	s_wait_alu 0xfffe
	v_cndmask_b32_e64 v3, 0, 1, s3
	v_cmp_gt_u32_e64 s3, s16, v2
	s_and_b32 s4, s6, s4
	s_and_b32 s2, vcc_lo, s2
	v_lshlrev_b16 v3, 8, v3
	s_wait_alu 0xfffe
	v_cndmask_b32_e64 v4, 0, 1, s2
	v_cndmask_b32_e64 v2, 0, 1, s4
	s_and_b32 s2, s3, s5
	v_cmp_ne_u32_e32 vcc_lo, s15, v10
	s_wait_alu 0xfffe
	v_cndmask_b32_e64 v6, 0, 1, s2
	v_cmp_gt_u32_e64 s2, s16, v5
	v_or_b32_e32 v3, v4, v3
	v_add_nc_u32_e32 v4, 4, v1
	v_lshlrev_b16 v2, 8, v2
	v_cmp_ne_u32_e64 s3, s15, v9
	s_and_b32 s2, s2, vcc_lo
	v_add_nc_u32_e32 v1, 6, v1
	v_cmp_gt_u32_e32 vcc_lo, s16, v4
	v_or_b32_e32 v2, v6, v2
	s_wait_alu 0xfffe
	v_cndmask_b32_e64 v30, 0, 1, s2
	v_and_b32_e32 v3, 0xffff, v3
	s_and_b32 s2, vcc_lo, s3
	v_cmp_gt_u32_e32 vcc_lo, s16, v1
	s_wait_alu 0xfffe
	v_cndmask_b32_e64 v5, 0, 1, s2
	v_cmp_ne_u32_e64 s2, s15, v29
	v_lshlrev_b32_e32 v2, 16, v2
	v_lshlrev_b16 v4, 8, v30
	s_and_not1_b32 s3, s14, exec_lo
	s_and_b32 s2, vcc_lo, s2
	s_delay_alu instid0(VALU_DEP_2) | instskip(NEXT) | instid1(VALU_DEP_2)
	v_or_b32_e32 v33, v3, v2
	v_or_b32_e32 v31, v5, v4
	s_wait_alu 0xfffe
	s_and_b32 s2, s2, exec_lo
	s_wait_alu 0xfffe
	s_or_b32 s14, s3, s2
.LBB378_22:
	s_delay_alu instid0(VALU_DEP_1)
	v_dual_mov_b32 v2, 0 :: v_dual_and_b32 v37, 0xff, v33
	v_bfe_u32 v36, v33, 8, 8
	s_wait_alu 0xfffe
	v_cndmask_b32_e64 v1, 0, 1, s14
	v_bfe_u32 v39, v33, 16, 8
	v_lshrrev_b32_e32 v32, 24, v33
	s_load_b64 s[6:7], s[0:1], 0x60
	v_and_b32_e32 v38, 0xff, v31
	v_add3_u32 v1, v37, v1, v36
	v_mbcnt_lo_u32_b32 v40, -1, 0
	v_and_b32_e32 v35, 0xff, v30
	s_cmp_lg_u32 ttmp9, 0
	s_mov_b32 s3, -1
	v_add_co_u32 v1, s2, v1, v39
	s_wait_alu 0xf1ff
	v_add_co_ci_u32_e64 v3, null, 0, 0, s2
	v_and_b32_e32 v41, 15, v40
	s_delay_alu instid0(VALU_DEP_3) | instskip(NEXT) | instid1(VALU_DEP_1)
	v_add_co_u32 v1, vcc_lo, v1, v32
	v_add_co_ci_u32_e64 v3, null, 0, v3, vcc_lo
	s_delay_alu instid0(VALU_DEP_3) | instskip(NEXT) | instid1(VALU_DEP_3)
	v_cmp_ne_u32_e64 s2, 0, v41
	v_add_co_u32 v1, vcc_lo, v1, v38
	s_wait_alu 0xfffd
	s_delay_alu instid0(VALU_DEP_3) | instskip(NEXT) | instid1(VALU_DEP_2)
	v_add_co_ci_u32_e64 v3, null, 0, v3, vcc_lo
	v_add_co_u32 v15, vcc_lo, v1, v35
	s_wait_alu 0xfffd
	s_delay_alu instid0(VALU_DEP_2)
	v_add_co_ci_u32_e64 v16, null, 0, v3, vcc_lo
	s_cbranch_scc0 .LBB378_81
; %bb.23:
	v_mov_b32_e32 v3, v15
	v_mov_b32_dpp v1, v15 row_shr:1 row_mask:0xf bank_mask:0xf
	v_mov_b32_dpp v6, v2 row_shr:1 row_mask:0xf bank_mask:0xf
	v_dual_mov_b32 v5, v15 :: v_dual_mov_b32 v4, v16
	s_and_saveexec_b32 s3, s2
; %bb.24:
	s_delay_alu instid0(VALU_DEP_3) | instskip(SKIP_2) | instid1(VALU_DEP_2)
	v_add_co_u32 v5, vcc_lo, v15, v1
	s_wait_alu 0xfffd
	v_add_co_ci_u32_e64 v2, null, 0, v16, vcc_lo
	v_add_co_u32 v1, vcc_lo, 0, v5
	s_wait_alu 0xfffd
	s_delay_alu instid0(VALU_DEP_2) | instskip(NEXT) | instid1(VALU_DEP_1)
	v_add_co_ci_u32_e64 v2, null, v6, v2, vcc_lo
	v_dual_mov_b32 v4, v2 :: v_dual_mov_b32 v3, v1
; %bb.25:
	s_wait_alu 0xfffe
	s_or_b32 exec_lo, exec_lo, s3
	v_mov_b32_dpp v1, v5 row_shr:2 row_mask:0xf bank_mask:0xf
	v_mov_b32_dpp v6, v2 row_shr:2 row_mask:0xf bank_mask:0xf
	v_cmp_lt_u32_e32 vcc_lo, 1, v41
	s_and_saveexec_b32 s4, vcc_lo
; %bb.26:
	s_delay_alu instid0(VALU_DEP_3) | instskip(SKIP_2) | instid1(VALU_DEP_2)
	v_add_co_u32 v5, s3, v3, v1
	s_wait_alu 0xf1ff
	v_add_co_ci_u32_e64 v2, null, 0, v4, s3
	v_add_co_u32 v1, s3, 0, v5
	s_wait_alu 0xf1ff
	s_delay_alu instid0(VALU_DEP_2) | instskip(NEXT) | instid1(VALU_DEP_1)
	v_add_co_ci_u32_e64 v2, null, v6, v2, s3
	v_dual_mov_b32 v4, v2 :: v_dual_mov_b32 v3, v1
; %bb.27:
	s_wait_alu 0xfffe
	s_or_b32 exec_lo, exec_lo, s4
	v_mov_b32_dpp v1, v5 row_shr:4 row_mask:0xf bank_mask:0xf
	v_mov_b32_dpp v6, v2 row_shr:4 row_mask:0xf bank_mask:0xf
	v_cmp_lt_u32_e64 s3, 3, v41
	s_and_saveexec_b32 s5, s3
; %bb.28:
	v_add_co_u32 v5, s4, v3, v1
	s_wait_alu 0xf1ff
	v_add_co_ci_u32_e64 v2, null, 0, v4, s4
	s_delay_alu instid0(VALU_DEP_2) | instskip(SKIP_1) | instid1(VALU_DEP_2)
	v_add_co_u32 v1, s4, 0, v5
	s_wait_alu 0xf1ff
	v_add_co_ci_u32_e64 v2, null, v6, v2, s4
	s_delay_alu instid0(VALU_DEP_1)
	v_dual_mov_b32 v4, v2 :: v_dual_mov_b32 v3, v1
; %bb.29:
	s_wait_alu 0xfffe
	s_or_b32 exec_lo, exec_lo, s5
	v_mov_b32_dpp v6, v5 row_shr:8 row_mask:0xf bank_mask:0xf
	v_mov_b32_dpp v1, v2 row_shr:8 row_mask:0xf bank_mask:0xf
	v_cmp_lt_u32_e64 s4, 7, v41
	s_and_saveexec_b32 s15, s4
; %bb.30:
	v_add_co_u32 v5, s5, v3, v6
	s_wait_alu 0xf1ff
	v_add_co_ci_u32_e64 v2, null, 0, v4, s5
	s_delay_alu instid0(VALU_DEP_2) | instskip(SKIP_1) | instid1(VALU_DEP_2)
	v_add_co_u32 v3, s5, 0, v5
	s_wait_alu 0xf1ff
	v_add_co_ci_u32_e64 v4, null, v1, v2, s5
	s_delay_alu instid0(VALU_DEP_1)
	v_mov_b32_e32 v2, v4
; %bb.31:
	s_wait_alu 0xfffe
	s_or_b32 exec_lo, exec_lo, s15
	ds_swizzle_b32 v1, v5 offset:swizzle(BROADCAST,32,15)
	ds_swizzle_b32 v6, v2 offset:swizzle(BROADCAST,32,15)
	v_and_b32_e32 v7, 16, v40
	s_mov_b32 s15, exec_lo
	s_delay_alu instid0(VALU_DEP_1)
	v_cmpx_ne_u32_e32 0, v7
	s_cbranch_execz .LBB378_33
; %bb.32:
	s_wait_dscnt 0x1
	v_add_co_u32 v5, s5, v3, v1
	s_wait_alu 0xf1ff
	v_add_co_ci_u32_e64 v2, null, 0, v4, s5
	s_delay_alu instid0(VALU_DEP_2) | instskip(SKIP_2) | instid1(VALU_DEP_2)
	v_add_co_u32 v1, s5, 0, v5
	s_wait_dscnt 0x0
	s_wait_alu 0xf1ff
	v_add_co_ci_u32_e64 v2, null, v6, v2, s5
	s_delay_alu instid0(VALU_DEP_1)
	v_dual_mov_b32 v4, v2 :: v_dual_mov_b32 v3, v1
.LBB378_33:
	s_wait_alu 0xfffe
	s_or_b32 exec_lo, exec_lo, s15
	s_wait_dscnt 0x1
	v_and_b32_e32 v1, 0x1e0, v0
	s_mov_b32 s15, exec_lo
	s_delay_alu instid0(VALU_DEP_1) | instskip(SKIP_1) | instid1(VALU_DEP_1)
	v_min_u32_e32 v1, 0x160, v1
	s_wait_dscnt 0x0
	v_or_b32_e32 v6, 31, v1
	v_lshrrev_b32_e32 v1, 5, v0
	s_delay_alu instid0(VALU_DEP_2)
	v_cmpx_eq_u32_e64 v0, v6
; %bb.34:
	s_delay_alu instid0(VALU_DEP_2)
	v_lshlrev_b32_e32 v6, 3, v1
	ds_store_b64 v6, v[3:4]
; %bb.35:
	s_wait_alu 0xfffe
	s_or_b32 exec_lo, exec_lo, s15
	s_delay_alu instid0(SALU_CYCLE_1)
	s_mov_b32 s15, exec_lo
	s_wait_loadcnt_dscnt 0x0
	s_barrier_signal -1
	s_barrier_wait -1
	global_inv scope:SCOPE_SE
	v_cmpx_gt_u32_e32 12, v0
	s_cbranch_execz .LBB378_45
; %bb.36:
	v_lshlrev_b32_e32 v6, 3, v0
	ds_load_b64 v[3:4], v6
	s_wait_dscnt 0x0
	v_mov_b32_dpp v17, v3 row_shr:1 row_mask:0xf bank_mask:0xf
	v_mov_b32_dpp v8, v4 row_shr:1 row_mask:0xf bank_mask:0xf
	v_mov_b32_e32 v7, v3
	s_and_saveexec_b32 s16, s2
; %bb.37:
	s_delay_alu instid0(VALU_DEP_3) | instskip(SKIP_2) | instid1(VALU_DEP_2)
	v_add_co_u32 v7, s5, v3, v17
	s_wait_alu 0xf1ff
	v_add_co_ci_u32_e64 v4, null, 0, v4, s5
	v_add_co_u32 v3, s5, 0, v7
	s_wait_alu 0xf1ff
	s_delay_alu instid0(VALU_DEP_2)
	v_add_co_ci_u32_e64 v4, null, v8, v4, s5
; %bb.38:
	s_wait_alu 0xfffe
	s_or_b32 exec_lo, exec_lo, s16
	v_mov_b32_dpp v17, v7 row_shr:2 row_mask:0xf bank_mask:0xf
	s_delay_alu instid0(VALU_DEP_2)
	v_mov_b32_dpp v8, v4 row_shr:2 row_mask:0xf bank_mask:0xf
	s_and_saveexec_b32 s5, vcc_lo
; %bb.39:
	s_delay_alu instid0(VALU_DEP_2) | instskip(SKIP_2) | instid1(VALU_DEP_2)
	v_add_co_u32 v7, vcc_lo, v3, v17
	s_wait_alu 0xfffd
	v_add_co_ci_u32_e64 v4, null, 0, v4, vcc_lo
	v_add_co_u32 v3, vcc_lo, 0, v7
	s_wait_alu 0xfffd
	s_delay_alu instid0(VALU_DEP_2)
	v_add_co_ci_u32_e64 v4, null, v8, v4, vcc_lo
; %bb.40:
	s_wait_alu 0xfffe
	s_or_b32 exec_lo, exec_lo, s5
	v_mov_b32_dpp v17, v7 row_shr:4 row_mask:0xf bank_mask:0xf
	s_delay_alu instid0(VALU_DEP_2)
	v_mov_b32_dpp v8, v4 row_shr:4 row_mask:0xf bank_mask:0xf
	s_and_saveexec_b32 s5, s3
; %bb.41:
	s_delay_alu instid0(VALU_DEP_2) | instskip(SKIP_2) | instid1(VALU_DEP_2)
	v_add_co_u32 v7, vcc_lo, v3, v17
	s_wait_alu 0xfffd
	v_add_co_ci_u32_e64 v4, null, 0, v4, vcc_lo
	v_add_co_u32 v3, vcc_lo, 0, v7
	s_wait_alu 0xfffd
	s_delay_alu instid0(VALU_DEP_2)
	v_add_co_ci_u32_e64 v4, null, v8, v4, vcc_lo
; %bb.42:
	s_wait_alu 0xfffe
	s_or_b32 exec_lo, exec_lo, s5
	v_mov_b32_dpp v8, v7 row_shr:8 row_mask:0xf bank_mask:0xf
	s_delay_alu instid0(VALU_DEP_2)
	v_mov_b32_dpp v7, v4 row_shr:8 row_mask:0xf bank_mask:0xf
	s_and_saveexec_b32 s3, s4
; %bb.43:
	s_delay_alu instid0(VALU_DEP_2) | instskip(SKIP_2) | instid1(VALU_DEP_2)
	v_add_co_u32 v3, vcc_lo, v3, v8
	s_wait_alu 0xfffd
	v_add_co_ci_u32_e64 v4, null, 0, v4, vcc_lo
	v_add_co_u32 v3, vcc_lo, v3, 0
	s_wait_alu 0xfffd
	s_delay_alu instid0(VALU_DEP_2)
	v_add_co_ci_u32_e64 v4, null, v4, v7, vcc_lo
; %bb.44:
	s_wait_alu 0xfffe
	s_or_b32 exec_lo, exec_lo, s3
	ds_store_b64 v6, v[3:4]
.LBB378_45:
	s_wait_alu 0xfffe
	s_or_b32 exec_lo, exec_lo, s15
	s_delay_alu instid0(SALU_CYCLE_1)
	s_mov_b32 s4, exec_lo
	v_cmp_gt_u32_e32 vcc_lo, 32, v0
	s_wait_loadcnt_dscnt 0x0
	s_barrier_signal -1
	s_barrier_wait -1
	global_inv scope:SCOPE_SE
                                        ; implicit-def: $vgpr17_vgpr18
	v_cmpx_lt_u32_e32 31, v0
	s_cbranch_execz .LBB378_47
; %bb.46:
	v_lshl_add_u32 v1, v1, 3, -8
	ds_load_b64 v[17:18], v1
	s_wait_dscnt 0x0
	v_add_co_u32 v5, s3, v5, v17
	s_wait_alu 0xf1ff
	v_add_co_ci_u32_e64 v2, null, v2, v18, s3
.LBB378_47:
	s_wait_alu 0xfffe
	s_or_b32 exec_lo, exec_lo, s4
	v_sub_co_u32 v1, s3, v40, 1
	s_delay_alu instid0(VALU_DEP_1) | instskip(SKIP_1) | instid1(VALU_DEP_1)
	v_cmp_gt_i32_e64 s4, 0, v1
	s_wait_alu 0xf1ff
	v_cndmask_b32_e64 v1, v1, v40, s4
	s_delay_alu instid0(VALU_DEP_1)
	v_lshlrev_b32_e32 v1, 2, v1
	ds_bpermute_b32 v23, v1, v5
	ds_bpermute_b32 v24, v1, v2
	s_and_saveexec_b32 s4, vcc_lo
	s_cbranch_execz .LBB378_86
; %bb.48:
	v_mov_b32_e32 v4, 0
	ds_load_b64 v[1:2], v4 offset:88
	s_and_saveexec_b32 s5, s3
	s_cbranch_execz .LBB378_50
; %bb.49:
	s_add_co_i32 s16, ttmp9, 32
	s_mov_b32 s17, 0
	s_wait_alu 0xfffe
	s_lshl_b64 s[16:17], s[16:17], 4
	s_wait_kmcnt 0x0
	s_wait_alu 0xfffe
	s_add_nc_u64 s[16:17], s[6:7], s[16:17]
	v_mov_b32_e32 v3, 1
	s_wait_alu 0xfffe
	v_dual_mov_b32 v5, s16 :: v_dual_mov_b32 v6, s17
	s_wait_dscnt 0x0
	;;#ASMSTART
	global_store_b128 v[5:6], v[1:4] off scope:SCOPE_DEV	
s_wait_storecnt 0x0
	;;#ASMEND
.LBB378_50:
	s_wait_alu 0xfffe
	s_or_b32 exec_lo, exec_lo, s5
	v_xad_u32 v19, v40, -1, ttmp9
	s_mov_b32 s15, 0
	s_mov_b32 s5, exec_lo
	s_delay_alu instid0(VALU_DEP_1) | instskip(NEXT) | instid1(VALU_DEP_1)
	v_add_nc_u32_e32 v3, 32, v19
	v_lshlrev_b64_e32 v[3:4], 4, v[3:4]
	s_wait_kmcnt 0x0
	s_delay_alu instid0(VALU_DEP_1) | instskip(SKIP_1) | instid1(VALU_DEP_2)
	v_add_co_u32 v3, vcc_lo, s6, v3
	s_wait_alu 0xfffd
	v_add_co_ci_u32_e64 v4, null, s7, v4, vcc_lo
	;;#ASMSTART
	global_load_b128 v[5:8], v[3:4] off scope:SCOPE_DEV	
s_wait_loadcnt 0x0
	;;#ASMEND
	v_and_b32_e32 v8, 0xff, v7
	s_delay_alu instid0(VALU_DEP_1)
	v_cmpx_eq_u16_e32 0, v8
	s_cbranch_execz .LBB378_53
.LBB378_51:                             ; =>This Inner Loop Header: Depth=1
	;;#ASMSTART
	global_load_b128 v[5:8], v[3:4] off scope:SCOPE_DEV	
s_wait_loadcnt 0x0
	;;#ASMEND
	v_and_b32_e32 v8, 0xff, v7
	s_delay_alu instid0(VALU_DEP_1)
	v_cmp_ne_u16_e32 vcc_lo, 0, v8
	s_wait_alu 0xfffe
	s_or_b32 s15, vcc_lo, s15
	s_wait_alu 0xfffe
	s_and_not1_b32 exec_lo, exec_lo, s15
	s_cbranch_execnz .LBB378_51
; %bb.52:
	s_or_b32 exec_lo, exec_lo, s15
.LBB378_53:
	s_wait_alu 0xfffe
	s_or_b32 exec_lo, exec_lo, s5
	v_cmp_ne_u32_e32 vcc_lo, 31, v40
	v_and_b32_e32 v4, 0xff, v7
	v_lshlrev_b32_e64 v26, v40, -1
	s_mov_b32 s5, exec_lo
	s_wait_alu 0xfffd
	v_add_co_ci_u32_e64 v3, null, 0, v40, vcc_lo
	v_cmp_eq_u16_e32 vcc_lo, 2, v4
	s_delay_alu instid0(VALU_DEP_2)
	v_dual_mov_b32 v4, v5 :: v_dual_lshlrev_b32 v25, 2, v3
	s_wait_alu 0xfffd
	v_and_or_b32 v3, vcc_lo, v26, 0x80000000
	ds_bpermute_b32 v20, v25, v5
	ds_bpermute_b32 v8, v25, v6
	v_ctz_i32_b32_e32 v3, v3
	s_delay_alu instid0(VALU_DEP_1)
	v_cmpx_lt_u32_e64 v40, v3
	s_cbranch_execz .LBB378_55
; %bb.54:
	s_wait_dscnt 0x1
	v_add_co_u32 v4, vcc_lo, v5, v20
	s_wait_alu 0xfffd
	v_add_co_ci_u32_e64 v6, null, 0, v6, vcc_lo
	s_delay_alu instid0(VALU_DEP_2) | instskip(SKIP_2) | instid1(VALU_DEP_2)
	v_add_co_u32 v5, vcc_lo, 0, v4
	s_wait_dscnt 0x0
	s_wait_alu 0xfffd
	v_add_co_ci_u32_e64 v6, null, v8, v6, vcc_lo
.LBB378_55:
	s_wait_alu 0xfffe
	s_or_b32 exec_lo, exec_lo, s5
	v_cmp_gt_u32_e32 vcc_lo, 30, v40
	v_add_nc_u32_e32 v28, 2, v40
	s_mov_b32 s5, exec_lo
	s_wait_dscnt 0x0
	s_wait_alu 0xfffd
	v_cndmask_b32_e64 v8, 0, 2, vcc_lo
	s_delay_alu instid0(VALU_DEP_1)
	v_add_lshl_u32 v27, v8, v40, 2
	ds_bpermute_b32 v20, v27, v4
	ds_bpermute_b32 v8, v27, v6
	v_cmpx_le_u32_e64 v28, v3
	s_cbranch_execz .LBB378_57
; %bb.56:
	s_wait_dscnt 0x1
	v_add_co_u32 v4, vcc_lo, v5, v20
	s_wait_alu 0xfffd
	v_add_co_ci_u32_e64 v6, null, 0, v6, vcc_lo
	s_delay_alu instid0(VALU_DEP_2) | instskip(SKIP_2) | instid1(VALU_DEP_2)
	v_add_co_u32 v5, vcc_lo, 0, v4
	s_wait_dscnt 0x0
	s_wait_alu 0xfffd
	v_add_co_ci_u32_e64 v6, null, v8, v6, vcc_lo
.LBB378_57:
	s_wait_alu 0xfffe
	s_or_b32 exec_lo, exec_lo, s5
	v_cmp_gt_u32_e32 vcc_lo, 28, v40
	v_add_nc_u32_e32 v43, 4, v40
	s_mov_b32 s5, exec_lo
	s_wait_dscnt 0x0
	s_wait_alu 0xfffd
	v_cndmask_b32_e64 v8, 0, 4, vcc_lo
	s_delay_alu instid0(VALU_DEP_1)
	v_add_lshl_u32 v42, v8, v40, 2
	ds_bpermute_b32 v20, v42, v4
	ds_bpermute_b32 v8, v42, v6
	v_cmpx_le_u32_e64 v43, v3
	;; [unrolled: 25-line block ×3, first 2 shown]
	s_cbranch_execz .LBB378_61
; %bb.60:
	s_wait_dscnt 0x1
	v_add_co_u32 v4, vcc_lo, v5, v20
	s_wait_alu 0xfffd
	v_add_co_ci_u32_e64 v6, null, 0, v6, vcc_lo
	s_delay_alu instid0(VALU_DEP_2) | instskip(SKIP_2) | instid1(VALU_DEP_2)
	v_add_co_u32 v5, vcc_lo, 0, v4
	s_wait_dscnt 0x0
	s_wait_alu 0xfffd
	v_add_co_ci_u32_e64 v6, null, v8, v6, vcc_lo
.LBB378_61:
	s_wait_alu 0xfffe
	s_or_b32 exec_lo, exec_lo, s5
	v_lshl_or_b32 v46, v40, 2, 64
	v_add_nc_u32_e32 v47, 16, v40
	s_mov_b32 s5, exec_lo
	s_wait_dscnt 0x0
	ds_bpermute_b32 v8, v46, v4
	ds_bpermute_b32 v4, v46, v6
	v_cmpx_le_u32_e64 v47, v3
	s_cbranch_execz .LBB378_63
; %bb.62:
	s_wait_dscnt 0x1
	v_add_co_u32 v3, vcc_lo, v5, v8
	s_wait_alu 0xfffd
	v_add_co_ci_u32_e64 v6, null, 0, v6, vcc_lo
	s_delay_alu instid0(VALU_DEP_2) | instskip(SKIP_2) | instid1(VALU_DEP_2)
	v_add_co_u32 v5, vcc_lo, v3, 0
	s_wait_dscnt 0x0
	s_wait_alu 0xfffd
	v_add_co_ci_u32_e64 v6, null, v6, v4, vcc_lo
.LBB378_63:
	s_wait_alu 0xfffe
	s_or_b32 exec_lo, exec_lo, s5
	v_mov_b32_e32 v20, 0
	s_branch .LBB378_66
.LBB378_64:                             ;   in Loop: Header=BB378_66 Depth=1
	s_wait_alu 0xfffe
	s_or_b32 exec_lo, exec_lo, s5
	v_add_co_u32 v5, vcc_lo, v5, v3
	v_subrev_nc_u32_e32 v19, 32, v19
	s_wait_alu 0xfffd
	v_add_co_ci_u32_e64 v6, null, v6, v4, vcc_lo
	s_mov_b32 s5, 0
.LBB378_65:                             ;   in Loop: Header=BB378_66 Depth=1
	s_wait_alu 0xfffe
	s_and_b32 vcc_lo, exec_lo, s5
	s_wait_alu 0xfffe
	s_cbranch_vccnz .LBB378_82
.LBB378_66:                             ; =>This Loop Header: Depth=1
                                        ;     Child Loop BB378_69 Depth 2
	v_and_b32_e32 v3, 0xff, v7
	s_mov_b32 s5, -1
	s_delay_alu instid0(VALU_DEP_1)
	v_cmp_ne_u16_e32 vcc_lo, 2, v3
	s_wait_dscnt 0x0
	v_dual_mov_b32 v3, v5 :: v_dual_mov_b32 v4, v6
                                        ; implicit-def: $vgpr5_vgpr6
	s_cmp_lg_u32 vcc_lo, exec_lo
	s_cbranch_scc1 .LBB378_65
; %bb.67:                               ;   in Loop: Header=BB378_66 Depth=1
	v_lshlrev_b64_e32 v[5:6], 4, v[19:20]
	s_mov_b32 s5, exec_lo
	s_delay_alu instid0(VALU_DEP_1) | instskip(SKIP_1) | instid1(VALU_DEP_2)
	v_add_co_u32 v21, vcc_lo, s6, v5
	s_wait_alu 0xfffd
	v_add_co_ci_u32_e64 v22, null, s7, v6, vcc_lo
	;;#ASMSTART
	global_load_b128 v[5:8], v[21:22] off scope:SCOPE_DEV	
s_wait_loadcnt 0x0
	;;#ASMEND
	v_and_b32_e32 v8, 0xff, v7
	s_delay_alu instid0(VALU_DEP_1)
	v_cmpx_eq_u16_e32 0, v8
	s_cbranch_execz .LBB378_71
; %bb.68:                               ;   in Loop: Header=BB378_66 Depth=1
	s_mov_b32 s15, 0
.LBB378_69:                             ;   Parent Loop BB378_66 Depth=1
                                        ; =>  This Inner Loop Header: Depth=2
	;;#ASMSTART
	global_load_b128 v[5:8], v[21:22] off scope:SCOPE_DEV	
s_wait_loadcnt 0x0
	;;#ASMEND
	v_and_b32_e32 v8, 0xff, v7
	s_delay_alu instid0(VALU_DEP_1)
	v_cmp_ne_u16_e32 vcc_lo, 0, v8
	s_wait_alu 0xfffe
	s_or_b32 s15, vcc_lo, s15
	s_wait_alu 0xfffe
	s_and_not1_b32 exec_lo, exec_lo, s15
	s_cbranch_execnz .LBB378_69
; %bb.70:                               ;   in Loop: Header=BB378_66 Depth=1
	s_or_b32 exec_lo, exec_lo, s15
.LBB378_71:                             ;   in Loop: Header=BB378_66 Depth=1
	s_wait_alu 0xfffe
	s_or_b32 exec_lo, exec_lo, s5
	v_dual_mov_b32 v21, v5 :: v_dual_and_b32 v8, 0xff, v7
	ds_bpermute_b32 v48, v25, v5
	ds_bpermute_b32 v22, v25, v6
	s_mov_b32 s5, exec_lo
	v_cmp_eq_u16_e32 vcc_lo, 2, v8
	s_wait_alu 0xfffd
	v_and_or_b32 v8, vcc_lo, v26, 0x80000000
	s_delay_alu instid0(VALU_DEP_1) | instskip(NEXT) | instid1(VALU_DEP_1)
	v_ctz_i32_b32_e32 v8, v8
	v_cmpx_lt_u32_e64 v40, v8
	s_cbranch_execz .LBB378_73
; %bb.72:                               ;   in Loop: Header=BB378_66 Depth=1
	s_wait_dscnt 0x1
	v_add_co_u32 v21, vcc_lo, v5, v48
	s_wait_alu 0xfffd
	v_add_co_ci_u32_e64 v6, null, 0, v6, vcc_lo
	s_delay_alu instid0(VALU_DEP_2) | instskip(SKIP_2) | instid1(VALU_DEP_2)
	v_add_co_u32 v5, vcc_lo, 0, v21
	s_wait_dscnt 0x0
	s_wait_alu 0xfffd
	v_add_co_ci_u32_e64 v6, null, v22, v6, vcc_lo
.LBB378_73:                             ;   in Loop: Header=BB378_66 Depth=1
	s_wait_alu 0xfffe
	s_or_b32 exec_lo, exec_lo, s5
	s_wait_dscnt 0x1
	ds_bpermute_b32 v48, v27, v21
	s_wait_dscnt 0x1
	ds_bpermute_b32 v22, v27, v6
	s_mov_b32 s5, exec_lo
	v_cmpx_le_u32_e64 v28, v8
	s_cbranch_execz .LBB378_75
; %bb.74:                               ;   in Loop: Header=BB378_66 Depth=1
	s_wait_dscnt 0x1
	v_add_co_u32 v21, vcc_lo, v5, v48
	s_wait_alu 0xfffd
	v_add_co_ci_u32_e64 v6, null, 0, v6, vcc_lo
	s_delay_alu instid0(VALU_DEP_2) | instskip(SKIP_2) | instid1(VALU_DEP_2)
	v_add_co_u32 v5, vcc_lo, 0, v21
	s_wait_dscnt 0x0
	s_wait_alu 0xfffd
	v_add_co_ci_u32_e64 v6, null, v22, v6, vcc_lo
.LBB378_75:                             ;   in Loop: Header=BB378_66 Depth=1
	s_wait_alu 0xfffe
	s_or_b32 exec_lo, exec_lo, s5
	s_wait_dscnt 0x1
	ds_bpermute_b32 v48, v42, v21
	s_wait_dscnt 0x1
	ds_bpermute_b32 v22, v42, v6
	s_mov_b32 s5, exec_lo
	v_cmpx_le_u32_e64 v43, v8
	;; [unrolled: 20-line block ×3, first 2 shown]
	s_cbranch_execz .LBB378_79
; %bb.78:                               ;   in Loop: Header=BB378_66 Depth=1
	s_wait_dscnt 0x1
	v_add_co_u32 v21, vcc_lo, v5, v48
	s_wait_alu 0xfffd
	v_add_co_ci_u32_e64 v6, null, 0, v6, vcc_lo
	s_delay_alu instid0(VALU_DEP_2) | instskip(SKIP_2) | instid1(VALU_DEP_2)
	v_add_co_u32 v5, vcc_lo, 0, v21
	s_wait_dscnt 0x0
	s_wait_alu 0xfffd
	v_add_co_ci_u32_e64 v6, null, v22, v6, vcc_lo
.LBB378_79:                             ;   in Loop: Header=BB378_66 Depth=1
	s_wait_alu 0xfffe
	s_or_b32 exec_lo, exec_lo, s5
	s_wait_dscnt 0x0
	ds_bpermute_b32 v22, v46, v21
	ds_bpermute_b32 v21, v46, v6
	s_mov_b32 s5, exec_lo
	v_cmpx_le_u32_e64 v47, v8
	s_cbranch_execz .LBB378_64
; %bb.80:                               ;   in Loop: Header=BB378_66 Depth=1
	s_wait_dscnt 0x1
	v_add_co_u32 v5, vcc_lo, v5, v22
	s_wait_alu 0xfffd
	v_add_co_ci_u32_e64 v6, null, 0, v6, vcc_lo
	s_delay_alu instid0(VALU_DEP_2) | instskip(SKIP_2) | instid1(VALU_DEP_2)
	v_add_co_u32 v5, vcc_lo, v5, 0
	s_wait_dscnt 0x0
	s_wait_alu 0xfffd
	v_add_co_ci_u32_e64 v6, null, v6, v21, vcc_lo
	s_branch .LBB378_64
.LBB378_81:
                                        ; implicit-def: $vgpr17_vgpr18
                                        ; implicit-def: $vgpr6_vgpr7
                                        ; implicit-def: $vgpr19_vgpr20
                                        ; implicit-def: $vgpr21_vgpr22
                                        ; implicit-def: $vgpr23_vgpr24
                                        ; implicit-def: $vgpr25_vgpr26
                                        ; implicit-def: $vgpr27_vgpr28
                                        ; implicit-def: $vgpr4_vgpr5
	s_wait_alu 0xfffe
	s_and_b32 vcc_lo, exec_lo, s3
	s_wait_alu 0xfffe
	s_cbranch_vccnz .LBB378_87
	s_branch .LBB378_114
.LBB378_82:
	s_and_saveexec_b32 s5, s3
	s_cbranch_execz .LBB378_84
; %bb.83:
	s_add_co_i32 s16, ttmp9, 32
	s_mov_b32 s17, 0
	v_add_co_u32 v5, vcc_lo, v3, v1
	s_wait_alu 0xfffe
	s_lshl_b64 s[16:17], s[16:17], 4
	v_dual_mov_b32 v7, 2 :: v_dual_mov_b32 v8, 0
	s_wait_alu 0xfffe
	s_add_nc_u64 s[16:17], s[6:7], s[16:17]
	s_wait_alu 0xfffd
	v_add_co_ci_u32_e64 v6, null, v4, v2, vcc_lo
	s_wait_alu 0xfffe
	v_dual_mov_b32 v20, s17 :: v_dual_mov_b32 v19, s16
	;;#ASMSTART
	global_store_b128 v[19:20], v[5:8] off scope:SCOPE_DEV	
s_wait_storecnt 0x0
	;;#ASMEND
	ds_store_b128 v8, v[1:4] offset:10752
.LBB378_84:
	s_wait_alu 0xfffe
	s_or_b32 exec_lo, exec_lo, s5
	v_cmp_eq_u32_e32 vcc_lo, 0, v0
	s_and_b32 exec_lo, exec_lo, vcc_lo
; %bb.85:
	v_mov_b32_e32 v1, 0
	ds_store_b64 v1, v[3:4] offset:88
.LBB378_86:
	s_wait_alu 0xfffe
	s_or_b32 exec_lo, exec_lo, s4
	s_wait_dscnt 0x1
	v_cndmask_b32_e64 v4, v23, v17, s3
	v_cmp_ne_u32_e32 vcc_lo, 0, v0
	v_mov_b32_e32 v3, 0
	s_wait_loadcnt_dscnt 0x0
	s_barrier_signal -1
	s_barrier_wait -1
	global_inv scope:SCOPE_SE
	s_wait_alu 0xfffd
	v_cndmask_b32_e32 v4, 0, v4, vcc_lo
	ds_load_b64 v[1:2], v3 offset:88
	v_cndmask_b32_e64 v5, v24, v18, s3
	s_wait_loadcnt_dscnt 0x0
	s_barrier_signal -1
	s_barrier_wait -1
	global_inv scope:SCOPE_SE
	v_cndmask_b32_e32 v5, 0, v5, vcc_lo
	v_add_co_u32 v27, vcc_lo, v1, v4
	s_wait_alu 0xfffd
	s_delay_alu instid0(VALU_DEP_2) | instskip(SKIP_4) | instid1(VALU_DEP_2)
	v_add_co_ci_u32_e64 v28, null, v2, v5, vcc_lo
	ds_load_b128 v[2:5], v3 offset:10752
	v_add_co_u32 v25, vcc_lo, v27, v37
	s_wait_alu 0xfffd
	v_add_co_ci_u32_e64 v26, null, 0, v28, vcc_lo
	v_add_co_u32 v23, vcc_lo, v25, v36
	s_wait_alu 0xfffd
	s_delay_alu instid0(VALU_DEP_2) | instskip(NEXT) | instid1(VALU_DEP_2)
	v_add_co_ci_u32_e64 v24, null, 0, v26, vcc_lo
	v_add_co_u32 v21, vcc_lo, v23, v39
	s_wait_alu 0xfffd
	s_delay_alu instid0(VALU_DEP_2) | instskip(NEXT) | instid1(VALU_DEP_2)
	;; [unrolled: 4-line block ×4, first 2 shown]
	v_add_co_ci_u32_e64 v7, null, 0, v20, vcc_lo
	v_add_co_u32 v17, vcc_lo, v6, v35
	s_wait_alu 0xfffd
	s_delay_alu instid0(VALU_DEP_2)
	v_add_co_ci_u32_e64 v18, null, 0, v7, vcc_lo
	s_branch .LBB378_114
.LBB378_87:
	s_wait_dscnt 0x0
	v_dual_mov_b32 v2, 0 :: v_dual_mov_b32 v3, v15
	v_mov_b32_dpp v4, v15 row_shr:1 row_mask:0xf bank_mask:0xf
	s_delay_alu instid0(VALU_DEP_2)
	v_mov_b32_dpp v1, v2 row_shr:1 row_mask:0xf bank_mask:0xf
	s_and_saveexec_b32 s3, s2
; %bb.88:
	s_delay_alu instid0(VALU_DEP_2) | instskip(SKIP_2) | instid1(VALU_DEP_2)
	v_add_co_u32 v3, vcc_lo, v15, v4
	s_wait_alu 0xfffd
	v_add_co_ci_u32_e64 v2, null, 0, v16, vcc_lo
	v_add_co_u32 v15, vcc_lo, 0, v3
	s_wait_alu 0xfffd
	s_delay_alu instid0(VALU_DEP_2) | instskip(NEXT) | instid1(VALU_DEP_1)
	v_add_co_ci_u32_e64 v16, null, v1, v2, vcc_lo
	v_mov_b32_e32 v2, v16
; %bb.89:
	s_wait_alu 0xfffe
	s_or_b32 exec_lo, exec_lo, s3
	v_mov_b32_dpp v1, v3 row_shr:2 row_mask:0xf bank_mask:0xf
	s_delay_alu instid0(VALU_DEP_2)
	v_mov_b32_dpp v4, v2 row_shr:2 row_mask:0xf bank_mask:0xf
	v_cmp_lt_u32_e32 vcc_lo, 1, v41
	s_and_saveexec_b32 s4, vcc_lo
; %bb.90:
	s_delay_alu instid0(VALU_DEP_3) | instskip(SKIP_2) | instid1(VALU_DEP_2)
	v_add_co_u32 v3, s3, v15, v1
	s_wait_alu 0xf1ff
	v_add_co_ci_u32_e64 v2, null, 0, v16, s3
	v_add_co_u32 v1, s3, 0, v3
	s_wait_alu 0xf1ff
	s_delay_alu instid0(VALU_DEP_2) | instskip(NEXT) | instid1(VALU_DEP_1)
	v_add_co_ci_u32_e64 v2, null, v4, v2, s3
	v_dual_mov_b32 v16, v2 :: v_dual_mov_b32 v15, v1
; %bb.91:
	s_wait_alu 0xfffe
	s_or_b32 exec_lo, exec_lo, s4
	v_mov_b32_dpp v1, v3 row_shr:4 row_mask:0xf bank_mask:0xf
	v_mov_b32_dpp v4, v2 row_shr:4 row_mask:0xf bank_mask:0xf
	v_cmp_lt_u32_e64 s3, 3, v41
	s_and_saveexec_b32 s5, s3
; %bb.92:
	v_add_co_u32 v3, s4, v15, v1
	s_wait_alu 0xf1ff
	v_add_co_ci_u32_e64 v2, null, 0, v16, s4
	s_delay_alu instid0(VALU_DEP_2) | instskip(SKIP_1) | instid1(VALU_DEP_2)
	v_add_co_u32 v1, s4, 0, v3
	s_wait_alu 0xf1ff
	v_add_co_ci_u32_e64 v2, null, v4, v2, s4
	s_delay_alu instid0(VALU_DEP_1)
	v_dual_mov_b32 v16, v2 :: v_dual_mov_b32 v15, v1
; %bb.93:
	s_wait_alu 0xfffe
	s_or_b32 exec_lo, exec_lo, s5
	v_mov_b32_dpp v4, v3 row_shr:8 row_mask:0xf bank_mask:0xf
	v_mov_b32_dpp v1, v2 row_shr:8 row_mask:0xf bank_mask:0xf
	v_cmp_lt_u32_e64 s4, 7, v41
	s_and_saveexec_b32 s15, s4
; %bb.94:
	v_add_co_u32 v3, s5, v15, v4
	s_wait_alu 0xf1ff
	v_add_co_ci_u32_e64 v2, null, 0, v16, s5
	s_delay_alu instid0(VALU_DEP_2) | instskip(SKIP_1) | instid1(VALU_DEP_2)
	v_add_co_u32 v15, s5, 0, v3
	s_wait_alu 0xf1ff
	v_add_co_ci_u32_e64 v16, null, v1, v2, s5
	s_delay_alu instid0(VALU_DEP_1)
	v_mov_b32_e32 v2, v16
; %bb.95:
	s_wait_alu 0xfffe
	s_or_b32 exec_lo, exec_lo, s15
	ds_swizzle_b32 v3, v3 offset:swizzle(BROADCAST,32,15)
	ds_swizzle_b32 v1, v2 offset:swizzle(BROADCAST,32,15)
	v_and_b32_e32 v2, 16, v40
	s_mov_b32 s15, exec_lo
	s_delay_alu instid0(VALU_DEP_1)
	v_cmpx_ne_u32_e32 0, v2
	s_cbranch_execz .LBB378_97
; %bb.96:
	s_wait_dscnt 0x1
	v_add_co_u32 v2, s5, v15, v3
	s_wait_alu 0xf1ff
	v_add_co_ci_u32_e64 v3, null, 0, v16, s5
	s_delay_alu instid0(VALU_DEP_2) | instskip(SKIP_2) | instid1(VALU_DEP_2)
	v_add_co_u32 v15, s5, v2, 0
	s_wait_dscnt 0x0
	s_wait_alu 0xf1ff
	v_add_co_ci_u32_e64 v16, null, v3, v1, s5
.LBB378_97:
	s_wait_alu 0xfffe
	s_or_b32 exec_lo, exec_lo, s15
	s_wait_dscnt 0x0
	v_and_b32_e32 v1, 0x1e0, v0
	v_lshrrev_b32_e32 v3, 5, v0
	s_mov_b32 s15, exec_lo
	s_delay_alu instid0(VALU_DEP_2) | instskip(NEXT) | instid1(VALU_DEP_1)
	v_min_u32_e32 v1, 0x160, v1
	v_or_b32_e32 v1, 31, v1
	s_delay_alu instid0(VALU_DEP_1)
	v_cmpx_eq_u32_e64 v0, v1
; %bb.98:
	v_lshlrev_b32_e32 v1, 3, v3
	ds_store_b64 v1, v[15:16]
; %bb.99:
	s_wait_alu 0xfffe
	s_or_b32 exec_lo, exec_lo, s15
	s_delay_alu instid0(SALU_CYCLE_1)
	s_mov_b32 s15, exec_lo
	s_wait_loadcnt_dscnt 0x0
	s_barrier_signal -1
	s_barrier_wait -1
	global_inv scope:SCOPE_SE
	v_cmpx_gt_u32_e32 12, v0
	s_cbranch_execz .LBB378_109
; %bb.100:
	v_mad_i32_i24 v1, 0xffffffec, v0, v34
	ds_load_b64 v[1:2], v1
	s_wait_dscnt 0x0
	v_mov_b32_dpp v6, v1 row_shr:1 row_mask:0xf bank_mask:0xf
	v_mov_b32_dpp v5, v2 row_shr:1 row_mask:0xf bank_mask:0xf
	v_mov_b32_e32 v4, v1
	s_and_saveexec_b32 s5, s2
; %bb.101:
	s_delay_alu instid0(VALU_DEP_3) | instskip(SKIP_2) | instid1(VALU_DEP_2)
	v_add_co_u32 v4, s2, v1, v6
	s_wait_alu 0xf1ff
	v_add_co_ci_u32_e64 v2, null, 0, v2, s2
	v_add_co_u32 v1, s2, 0, v4
	s_wait_alu 0xf1ff
	s_delay_alu instid0(VALU_DEP_2)
	v_add_co_ci_u32_e64 v2, null, v5, v2, s2
; %bb.102:
	s_wait_alu 0xfffe
	s_or_b32 exec_lo, exec_lo, s5
	v_mov_b32_dpp v6, v4 row_shr:2 row_mask:0xf bank_mask:0xf
	s_delay_alu instid0(VALU_DEP_2)
	v_mov_b32_dpp v5, v2 row_shr:2 row_mask:0xf bank_mask:0xf
	s_and_saveexec_b32 s2, vcc_lo
; %bb.103:
	s_delay_alu instid0(VALU_DEP_2) | instskip(SKIP_2) | instid1(VALU_DEP_2)
	v_add_co_u32 v4, vcc_lo, v1, v6
	s_wait_alu 0xfffd
	v_add_co_ci_u32_e64 v2, null, 0, v2, vcc_lo
	v_add_co_u32 v1, vcc_lo, 0, v4
	s_wait_alu 0xfffd
	s_delay_alu instid0(VALU_DEP_2)
	v_add_co_ci_u32_e64 v2, null, v5, v2, vcc_lo
; %bb.104:
	s_wait_alu 0xfffe
	s_or_b32 exec_lo, exec_lo, s2
	v_mov_b32_dpp v6, v4 row_shr:4 row_mask:0xf bank_mask:0xf
	s_delay_alu instid0(VALU_DEP_2)
	v_mov_b32_dpp v5, v2 row_shr:4 row_mask:0xf bank_mask:0xf
	s_and_saveexec_b32 s2, s3
; %bb.105:
	s_delay_alu instid0(VALU_DEP_2) | instskip(SKIP_2) | instid1(VALU_DEP_2)
	v_add_co_u32 v4, vcc_lo, v1, v6
	s_wait_alu 0xfffd
	v_add_co_ci_u32_e64 v2, null, 0, v2, vcc_lo
	v_add_co_u32 v1, vcc_lo, 0, v4
	s_wait_alu 0xfffd
	s_delay_alu instid0(VALU_DEP_2)
	v_add_co_ci_u32_e64 v2, null, v5, v2, vcc_lo
; %bb.106:
	s_wait_alu 0xfffe
	s_or_b32 exec_lo, exec_lo, s2
	v_mul_i32_i24_e32 v5, 0xffffffec, v0
	v_mov_b32_dpp v6, v4 row_shr:8 row_mask:0xf bank_mask:0xf
	v_mov_b32_dpp v4, v2 row_shr:8 row_mask:0xf bank_mask:0xf
	s_and_saveexec_b32 s2, s4
; %bb.107:
	s_delay_alu instid0(VALU_DEP_2) | instskip(SKIP_2) | instid1(VALU_DEP_2)
	v_add_co_u32 v1, vcc_lo, v1, v6
	s_wait_alu 0xfffd
	v_add_co_ci_u32_e64 v2, null, 0, v2, vcc_lo
	v_add_co_u32 v1, vcc_lo, v1, 0
	s_wait_alu 0xfffd
	s_delay_alu instid0(VALU_DEP_2)
	v_add_co_ci_u32_e64 v2, null, v2, v4, vcc_lo
; %bb.108:
	s_wait_alu 0xfffe
	s_or_b32 exec_lo, exec_lo, s2
	v_add_nc_u32_e32 v4, v34, v5
	ds_store_b64 v4, v[1:2]
.LBB378_109:
	s_wait_alu 0xfffe
	s_or_b32 exec_lo, exec_lo, s15
	v_mov_b32_e32 v6, 0
	v_mov_b32_e32 v7, 0
	s_mov_b32 s2, exec_lo
	s_wait_loadcnt_dscnt 0x0
	s_barrier_signal -1
	s_barrier_wait -1
	global_inv scope:SCOPE_SE
	v_cmpx_lt_u32_e32 31, v0
; %bb.110:
	v_lshl_add_u32 v1, v3, 3, -8
	ds_load_b64 v[6:7], v1
; %bb.111:
	s_wait_alu 0xfffe
	s_or_b32 exec_lo, exec_lo, s2
	v_sub_co_u32 v1, vcc_lo, v40, 1
	v_mov_b32_e32 v5, 0
	s_delay_alu instid0(VALU_DEP_2) | instskip(SKIP_1) | instid1(VALU_DEP_1)
	v_cmp_gt_i32_e64 s2, 0, v1
	s_wait_alu 0xf1ff
	v_cndmask_b32_e64 v1, v1, v40, s2
	s_delay_alu instid0(VALU_DEP_1)
	v_lshlrev_b32_e32 v2, 2, v1
	s_wait_dscnt 0x0
	v_add_co_u32 v1, s2, v6, v15
	s_wait_alu 0xf1ff
	v_add_co_ci_u32_e64 v3, null, v7, v16, s2
	v_cmp_eq_u32_e64 s2, 0, v0
	ds_bpermute_b32 v1, v2, v1
	ds_bpermute_b32 v8, v2, v3
	ds_load_b64 v[2:3], v5 offset:88
	s_and_saveexec_b32 s3, s2
	s_cbranch_execz .LBB378_113
; %bb.112:
	s_wait_kmcnt 0x0
	s_add_nc_u64 s[4:5], s[6:7], 0x200
	v_mov_b32_e32 v4, 2
	s_wait_alu 0xfffe
	v_dual_mov_b32 v16, s5 :: v_dual_mov_b32 v15, s4
	s_wait_dscnt 0x0
	;;#ASMSTART
	global_store_b128 v[15:16], v[2:5] off scope:SCOPE_DEV	
s_wait_storecnt 0x0
	;;#ASMEND
.LBB378_113:
	s_wait_alu 0xfffe
	s_or_b32 exec_lo, exec_lo, s3
	s_wait_dscnt 0x1
	s_wait_alu 0xfffd
	v_dual_cndmask_b32 v1, v1, v6 :: v_dual_cndmask_b32 v4, v8, v7
	s_wait_loadcnt_dscnt 0x0
	s_barrier_signal -1
	s_barrier_wait -1
	s_delay_alu instid0(VALU_DEP_1)
	v_cndmask_b32_e64 v27, v1, 0, s2
	v_cndmask_b32_e64 v28, v4, 0, s2
	v_mov_b32_e32 v4, 0
	v_mov_b32_e32 v5, 0
	global_inv scope:SCOPE_SE
	v_add_co_u32 v25, vcc_lo, v27, v37
	s_wait_alu 0xfffd
	v_add_co_ci_u32_e64 v26, null, 0, v28, vcc_lo
	s_delay_alu instid0(VALU_DEP_2) | instskip(SKIP_1) | instid1(VALU_DEP_2)
	v_add_co_u32 v23, vcc_lo, v25, v36
	s_wait_alu 0xfffd
	v_add_co_ci_u32_e64 v24, null, 0, v26, vcc_lo
	s_delay_alu instid0(VALU_DEP_2) | instskip(SKIP_1) | instid1(VALU_DEP_2)
	;; [unrolled: 4-line block ×5, first 2 shown]
	v_add_co_u32 v17, vcc_lo, v6, v35
	s_wait_alu 0xfffd
	v_add_co_ci_u32_e64 v18, null, 0, v7, vcc_lo
.LBB378_114:
	s_load_b64 s[2:3], s[0:1], 0x28
	v_lshrrev_b32_e32 v8, 8, v33
	v_lshrrev_b32_e32 v1, 16, v33
	v_and_b32_e32 v33, 1, v33
	s_wait_dscnt 0x0
	v_cmp_gt_u64_e32 vcc_lo, 0x181, v[2:3]
	s_mov_b32 s1, -1
	s_delay_alu instid0(VALU_DEP_2)
	v_cmp_eq_u32_e64 s0, 1, v33
	s_cbranch_vccnz .LBB378_118
; %bb.115:
	s_wait_alu 0xfffe
	s_and_b32 vcc_lo, exec_lo, s1
	s_wait_alu 0xfffe
	s_cbranch_vccnz .LBB378_133
.LBB378_116:
	v_cmp_eq_u32_e32 vcc_lo, 0, v0
	s_and_b32 s0, vcc_lo, s12
	s_wait_alu 0xfffe
	s_and_saveexec_b32 s1, s0
	s_cbranch_execnz .LBB378_150
.LBB378_117:
	s_endpgm
.LBB378_118:
	v_add_co_u32 v15, vcc_lo, v4, v2
	s_wait_alu 0xfffd
	v_add_co_ci_u32_e64 v16, null, v5, v3, vcc_lo
	s_lshl_b64 s[4:5], s[10:11], 2
	s_wait_kmcnt 0x0
	s_wait_alu 0xfffe
	s_add_nc_u64 s[4:5], s[2:3], s[4:5]
	v_cmp_lt_u64_e32 vcc_lo, v[27:28], v[15:16]
	s_or_b32 s1, s13, vcc_lo
	s_wait_alu 0xfffe
	s_and_b32 s1, s1, s0
	s_wait_alu 0xfffe
	s_and_saveexec_b32 s0, s1
	s_cbranch_execz .LBB378_120
; %bb.119:
	v_lshlrev_b64_e32 v[34:35], 2, v[27:28]
	s_delay_alu instid0(VALU_DEP_1) | instskip(SKIP_1) | instid1(VALU_DEP_2)
	v_add_co_u32 v34, vcc_lo, s4, v34
	s_wait_alu 0xfffd
	v_add_co_ci_u32_e64 v35, null, s5, v35, vcc_lo
	global_store_b32 v[34:35], v13, off
.LBB378_120:
	s_wait_alu 0xfffe
	s_or_b32 exec_lo, exec_lo, s0
	v_and_b32_e32 v28, 1, v8
	v_cmp_lt_u64_e32 vcc_lo, v[25:26], v[15:16]
	s_delay_alu instid0(VALU_DEP_2)
	v_cmp_eq_u32_e64 s0, 1, v28
	s_or_b32 s1, s13, vcc_lo
	s_wait_alu 0xfffe
	s_and_b32 s1, s1, s0
	s_wait_alu 0xfffe
	s_and_saveexec_b32 s0, s1
	s_cbranch_execz .LBB378_122
; %bb.121:
	v_lshlrev_b64_e32 v[34:35], 2, v[25:26]
	s_delay_alu instid0(VALU_DEP_1) | instskip(SKIP_1) | instid1(VALU_DEP_2)
	v_add_co_u32 v34, vcc_lo, s4, v34
	s_wait_alu 0xfffd
	v_add_co_ci_u32_e64 v35, null, s5, v35, vcc_lo
	global_store_b32 v[34:35], v14, off
.LBB378_122:
	s_wait_alu 0xfffe
	s_or_b32 exec_lo, exec_lo, s0
	v_and_b32_e32 v26, 1, v1
	v_cmp_lt_u64_e32 vcc_lo, v[23:24], v[15:16]
	s_delay_alu instid0(VALU_DEP_2)
	v_cmp_eq_u32_e64 s0, 1, v26
	;; [unrolled: 20-line block ×5, first 2 shown]
	s_or_b32 s1, s13, vcc_lo
	s_wait_alu 0xfffe
	s_and_b32 s1, s1, s0
	s_wait_alu 0xfffe
	s_and_saveexec_b32 s0, s1
	s_cbranch_execz .LBB378_130
; %bb.129:
	v_lshlrev_b64_e32 v[34:35], 2, v[6:7]
	s_delay_alu instid0(VALU_DEP_1) | instskip(SKIP_1) | instid1(VALU_DEP_2)
	v_add_co_u32 v34, vcc_lo, s4, v34
	s_wait_alu 0xfffd
	v_add_co_ci_u32_e64 v35, null, s5, v35, vcc_lo
	global_store_b32 v[34:35], v10, off
.LBB378_130:
	s_wait_alu 0xfffe
	s_or_b32 exec_lo, exec_lo, s0
	v_cmp_lt_u64_e32 vcc_lo, v[17:18], v[15:16]
	s_or_b32 s0, s13, vcc_lo
	s_wait_alu 0xfffe
	s_and_b32 s1, s0, s14
	s_wait_alu 0xfffe
	s_and_saveexec_b32 s0, s1
	s_cbranch_execz .LBB378_132
; %bb.131:
	v_lshlrev_b64_e32 v[15:16], 2, v[17:18]
	s_delay_alu instid0(VALU_DEP_1) | instskip(SKIP_1) | instid1(VALU_DEP_2)
	v_add_co_u32 v15, vcc_lo, s4, v15
	s_wait_alu 0xfffd
	v_add_co_ci_u32_e64 v16, null, s5, v16, vcc_lo
	global_store_b32 v[15:16], v29, off
.LBB378_132:
	s_wait_alu 0xfffe
	s_or_b32 exec_lo, exec_lo, s0
	s_branch .LBB378_116
.LBB378_133:
	s_mov_b32 s0, exec_lo
	v_cmpx_eq_u32_e32 1, v33
; %bb.134:
	v_sub_nc_u32_e32 v7, v27, v4
	s_delay_alu instid0(VALU_DEP_1)
	v_lshlrev_b32_e32 v7, 2, v7
	ds_store_b32 v7, v13
; %bb.135:
	s_wait_alu 0xfffe
	s_or_b32 exec_lo, exec_lo, s0
	v_and_b32_e32 v7, 1, v8
	s_mov_b32 s0, exec_lo
	s_delay_alu instid0(VALU_DEP_1)
	v_cmpx_eq_u32_e32 1, v7
; %bb.136:
	v_sub_nc_u32_e32 v7, v25, v4
	s_delay_alu instid0(VALU_DEP_1)
	v_lshlrev_b32_e32 v7, 2, v7
	ds_store_b32 v7, v14
; %bb.137:
	s_wait_alu 0xfffe
	s_or_b32 exec_lo, exec_lo, s0
	v_and_b32_e32 v1, 1, v1
	s_mov_b32 s0, exec_lo
	s_delay_alu instid0(VALU_DEP_1)
	;; [unrolled: 12-line block ×5, first 2 shown]
	v_cmpx_eq_u32_e32 1, v1
; %bb.144:
	v_sub_nc_u32_e32 v1, v6, v4
	s_delay_alu instid0(VALU_DEP_1)
	v_lshlrev_b32_e32 v1, 2, v1
	ds_store_b32 v1, v10
; %bb.145:
	s_wait_alu 0xfffe
	s_or_b32 exec_lo, exec_lo, s0
	s_and_saveexec_b32 s0, s14
; %bb.146:
	v_sub_nc_u32_e32 v1, v17, v4
	s_delay_alu instid0(VALU_DEP_1)
	v_lshlrev_b32_e32 v1, 2, v1
	ds_store_b32 v1, v29
; %bb.147:
	s_wait_alu 0xfffe
	s_or_b32 exec_lo, exec_lo, s0
	v_dual_mov_b32 v7, 0 :: v_dual_add_nc_u32 v6, 0x180, v0
	v_lshlrev_b64_e32 v[8:9], 2, v[4:5]
	s_lshl_b64 s[0:1], s[10:11], 2
	s_wait_storecnt 0x0
	s_wait_loadcnt_dscnt 0x0
	v_mov_b32_e32 v1, v7
	s_wait_kmcnt 0x0
	s_wait_alu 0xfffe
	s_add_nc_u64 s[0:1], s[2:3], s[0:1]
	s_barrier_signal -1
	s_wait_alu 0xfffe
	v_add_co_u32 v10, vcc_lo, s0, v8
	s_wait_alu 0xfffd
	v_add_co_ci_u32_e64 v11, null, s1, v9, vcc_lo
	v_dual_mov_b32 v9, v1 :: v_dual_mov_b32 v8, v0
	s_mov_b32 s1, 0
	s_barrier_wait -1
	global_inv scope:SCOPE_SE
.LBB378_148:                            ; =>This Inner Loop Header: Depth=1
	v_lshlrev_b32_e32 v1, 2, v8
	v_lshlrev_b64_e32 v[12:13], 2, v[8:9]
	v_dual_mov_b32 v9, v7 :: v_dual_mov_b32 v8, v6
	v_cmp_le_u64_e32 vcc_lo, v[2:3], v[6:7]
	ds_load_b32 v1, v1
	v_add_nc_u32_e32 v6, 0x180, v6
	v_add_co_u32 v12, s0, v10, v12
	s_wait_alu 0xf1ff
	v_add_co_ci_u32_e64 v13, null, v11, v13, s0
	s_wait_alu 0xfffe
	s_or_b32 s1, vcc_lo, s1
	s_wait_dscnt 0x0
	global_store_b32 v[12:13], v1, off
	s_wait_alu 0xfffe
	s_and_not1_b32 exec_lo, exec_lo, s1
	s_cbranch_execnz .LBB378_148
; %bb.149:
	s_or_b32 exec_lo, exec_lo, s1
	v_cmp_eq_u32_e32 vcc_lo, 0, v0
	s_and_b32 s0, vcc_lo, s12
	s_wait_alu 0xfffe
	s_and_saveexec_b32 s1, s0
	s_cbranch_execz .LBB378_117
.LBB378_150:
	v_add_co_u32 v0, vcc_lo, v4, v2
	s_wait_alu 0xfffd
	v_add_co_ci_u32_e64 v1, null, v5, v3, vcc_lo
	v_mov_b32_e32 v2, 0
	s_delay_alu instid0(VALU_DEP_3) | instskip(SKIP_1) | instid1(VALU_DEP_3)
	v_add_co_u32 v0, vcc_lo, v0, s10
	s_wait_alu 0xfffd
	v_add_co_ci_u32_e64 v1, null, s11, v1, vcc_lo
	global_store_b64 v2, v[0:1], s[8:9]
	s_endpgm
	.section	.rodata,"a",@progbits
	.p2align	6, 0x0
	.amdhsa_kernel _ZN7rocprim17ROCPRIM_400000_NS6detail17trampoline_kernelINS0_14default_configENS1_25partition_config_selectorILNS1_17partition_subalgoE6EjNS0_10empty_typeEbEEZZNS1_14partition_implILS5_6ELb0ES3_mN6thrust23THRUST_200600_302600_NS6detail15normal_iteratorINSA_10device_ptrIjEEEEPS6_SG_NS0_5tupleIJSF_S6_EEENSH_IJSG_SG_EEES6_PlJNSB_9not_fun_tINSB_14equal_to_valueIjEEEEEEE10hipError_tPvRmT3_T4_T5_T6_T7_T9_mT8_P12ihipStream_tbDpT10_ENKUlT_T0_E_clISt17integral_constantIbLb0EES18_EEDaS13_S14_EUlS13_E_NS1_11comp_targetILNS1_3genE10ELNS1_11target_archE1200ELNS1_3gpuE4ELNS1_3repE0EEENS1_30default_config_static_selectorELNS0_4arch9wavefront6targetE0EEEvT1_
		.amdhsa_group_segment_fixed_size 10768
		.amdhsa_private_segment_fixed_size 0
		.amdhsa_kernarg_size 120
		.amdhsa_user_sgpr_count 2
		.amdhsa_user_sgpr_dispatch_ptr 0
		.amdhsa_user_sgpr_queue_ptr 0
		.amdhsa_user_sgpr_kernarg_segment_ptr 1
		.amdhsa_user_sgpr_dispatch_id 0
		.amdhsa_user_sgpr_private_segment_size 0
		.amdhsa_wavefront_size32 1
		.amdhsa_uses_dynamic_stack 0
		.amdhsa_enable_private_segment 0
		.amdhsa_system_sgpr_workgroup_id_x 1
		.amdhsa_system_sgpr_workgroup_id_y 0
		.amdhsa_system_sgpr_workgroup_id_z 0
		.amdhsa_system_sgpr_workgroup_info 0
		.amdhsa_system_vgpr_workitem_id 0
		.amdhsa_next_free_vgpr 49
		.amdhsa_next_free_sgpr 18
		.amdhsa_reserve_vcc 1
		.amdhsa_float_round_mode_32 0
		.amdhsa_float_round_mode_16_64 0
		.amdhsa_float_denorm_mode_32 3
		.amdhsa_float_denorm_mode_16_64 3
		.amdhsa_fp16_overflow 0
		.amdhsa_workgroup_processor_mode 1
		.amdhsa_memory_ordered 1
		.amdhsa_forward_progress 1
		.amdhsa_inst_pref_size 59
		.amdhsa_round_robin_scheduling 0
		.amdhsa_exception_fp_ieee_invalid_op 0
		.amdhsa_exception_fp_denorm_src 0
		.amdhsa_exception_fp_ieee_div_zero 0
		.amdhsa_exception_fp_ieee_overflow 0
		.amdhsa_exception_fp_ieee_underflow 0
		.amdhsa_exception_fp_ieee_inexact 0
		.amdhsa_exception_int_div_zero 0
	.end_amdhsa_kernel
	.section	.text._ZN7rocprim17ROCPRIM_400000_NS6detail17trampoline_kernelINS0_14default_configENS1_25partition_config_selectorILNS1_17partition_subalgoE6EjNS0_10empty_typeEbEEZZNS1_14partition_implILS5_6ELb0ES3_mN6thrust23THRUST_200600_302600_NS6detail15normal_iteratorINSA_10device_ptrIjEEEEPS6_SG_NS0_5tupleIJSF_S6_EEENSH_IJSG_SG_EEES6_PlJNSB_9not_fun_tINSB_14equal_to_valueIjEEEEEEE10hipError_tPvRmT3_T4_T5_T6_T7_T9_mT8_P12ihipStream_tbDpT10_ENKUlT_T0_E_clISt17integral_constantIbLb0EES18_EEDaS13_S14_EUlS13_E_NS1_11comp_targetILNS1_3genE10ELNS1_11target_archE1200ELNS1_3gpuE4ELNS1_3repE0EEENS1_30default_config_static_selectorELNS0_4arch9wavefront6targetE0EEEvT1_,"axG",@progbits,_ZN7rocprim17ROCPRIM_400000_NS6detail17trampoline_kernelINS0_14default_configENS1_25partition_config_selectorILNS1_17partition_subalgoE6EjNS0_10empty_typeEbEEZZNS1_14partition_implILS5_6ELb0ES3_mN6thrust23THRUST_200600_302600_NS6detail15normal_iteratorINSA_10device_ptrIjEEEEPS6_SG_NS0_5tupleIJSF_S6_EEENSH_IJSG_SG_EEES6_PlJNSB_9not_fun_tINSB_14equal_to_valueIjEEEEEEE10hipError_tPvRmT3_T4_T5_T6_T7_T9_mT8_P12ihipStream_tbDpT10_ENKUlT_T0_E_clISt17integral_constantIbLb0EES18_EEDaS13_S14_EUlS13_E_NS1_11comp_targetILNS1_3genE10ELNS1_11target_archE1200ELNS1_3gpuE4ELNS1_3repE0EEENS1_30default_config_static_selectorELNS0_4arch9wavefront6targetE0EEEvT1_,comdat
.Lfunc_end378:
	.size	_ZN7rocprim17ROCPRIM_400000_NS6detail17trampoline_kernelINS0_14default_configENS1_25partition_config_selectorILNS1_17partition_subalgoE6EjNS0_10empty_typeEbEEZZNS1_14partition_implILS5_6ELb0ES3_mN6thrust23THRUST_200600_302600_NS6detail15normal_iteratorINSA_10device_ptrIjEEEEPS6_SG_NS0_5tupleIJSF_S6_EEENSH_IJSG_SG_EEES6_PlJNSB_9not_fun_tINSB_14equal_to_valueIjEEEEEEE10hipError_tPvRmT3_T4_T5_T6_T7_T9_mT8_P12ihipStream_tbDpT10_ENKUlT_T0_E_clISt17integral_constantIbLb0EES18_EEDaS13_S14_EUlS13_E_NS1_11comp_targetILNS1_3genE10ELNS1_11target_archE1200ELNS1_3gpuE4ELNS1_3repE0EEENS1_30default_config_static_selectorELNS0_4arch9wavefront6targetE0EEEvT1_, .Lfunc_end378-_ZN7rocprim17ROCPRIM_400000_NS6detail17trampoline_kernelINS0_14default_configENS1_25partition_config_selectorILNS1_17partition_subalgoE6EjNS0_10empty_typeEbEEZZNS1_14partition_implILS5_6ELb0ES3_mN6thrust23THRUST_200600_302600_NS6detail15normal_iteratorINSA_10device_ptrIjEEEEPS6_SG_NS0_5tupleIJSF_S6_EEENSH_IJSG_SG_EEES6_PlJNSB_9not_fun_tINSB_14equal_to_valueIjEEEEEEE10hipError_tPvRmT3_T4_T5_T6_T7_T9_mT8_P12ihipStream_tbDpT10_ENKUlT_T0_E_clISt17integral_constantIbLb0EES18_EEDaS13_S14_EUlS13_E_NS1_11comp_targetILNS1_3genE10ELNS1_11target_archE1200ELNS1_3gpuE4ELNS1_3repE0EEENS1_30default_config_static_selectorELNS0_4arch9wavefront6targetE0EEEvT1_
                                        ; -- End function
	.set _ZN7rocprim17ROCPRIM_400000_NS6detail17trampoline_kernelINS0_14default_configENS1_25partition_config_selectorILNS1_17partition_subalgoE6EjNS0_10empty_typeEbEEZZNS1_14partition_implILS5_6ELb0ES3_mN6thrust23THRUST_200600_302600_NS6detail15normal_iteratorINSA_10device_ptrIjEEEEPS6_SG_NS0_5tupleIJSF_S6_EEENSH_IJSG_SG_EEES6_PlJNSB_9not_fun_tINSB_14equal_to_valueIjEEEEEEE10hipError_tPvRmT3_T4_T5_T6_T7_T9_mT8_P12ihipStream_tbDpT10_ENKUlT_T0_E_clISt17integral_constantIbLb0EES18_EEDaS13_S14_EUlS13_E_NS1_11comp_targetILNS1_3genE10ELNS1_11target_archE1200ELNS1_3gpuE4ELNS1_3repE0EEENS1_30default_config_static_selectorELNS0_4arch9wavefront6targetE0EEEvT1_.num_vgpr, 49
	.set _ZN7rocprim17ROCPRIM_400000_NS6detail17trampoline_kernelINS0_14default_configENS1_25partition_config_selectorILNS1_17partition_subalgoE6EjNS0_10empty_typeEbEEZZNS1_14partition_implILS5_6ELb0ES3_mN6thrust23THRUST_200600_302600_NS6detail15normal_iteratorINSA_10device_ptrIjEEEEPS6_SG_NS0_5tupleIJSF_S6_EEENSH_IJSG_SG_EEES6_PlJNSB_9not_fun_tINSB_14equal_to_valueIjEEEEEEE10hipError_tPvRmT3_T4_T5_T6_T7_T9_mT8_P12ihipStream_tbDpT10_ENKUlT_T0_E_clISt17integral_constantIbLb0EES18_EEDaS13_S14_EUlS13_E_NS1_11comp_targetILNS1_3genE10ELNS1_11target_archE1200ELNS1_3gpuE4ELNS1_3repE0EEENS1_30default_config_static_selectorELNS0_4arch9wavefront6targetE0EEEvT1_.num_agpr, 0
	.set _ZN7rocprim17ROCPRIM_400000_NS6detail17trampoline_kernelINS0_14default_configENS1_25partition_config_selectorILNS1_17partition_subalgoE6EjNS0_10empty_typeEbEEZZNS1_14partition_implILS5_6ELb0ES3_mN6thrust23THRUST_200600_302600_NS6detail15normal_iteratorINSA_10device_ptrIjEEEEPS6_SG_NS0_5tupleIJSF_S6_EEENSH_IJSG_SG_EEES6_PlJNSB_9not_fun_tINSB_14equal_to_valueIjEEEEEEE10hipError_tPvRmT3_T4_T5_T6_T7_T9_mT8_P12ihipStream_tbDpT10_ENKUlT_T0_E_clISt17integral_constantIbLb0EES18_EEDaS13_S14_EUlS13_E_NS1_11comp_targetILNS1_3genE10ELNS1_11target_archE1200ELNS1_3gpuE4ELNS1_3repE0EEENS1_30default_config_static_selectorELNS0_4arch9wavefront6targetE0EEEvT1_.numbered_sgpr, 18
	.set _ZN7rocprim17ROCPRIM_400000_NS6detail17trampoline_kernelINS0_14default_configENS1_25partition_config_selectorILNS1_17partition_subalgoE6EjNS0_10empty_typeEbEEZZNS1_14partition_implILS5_6ELb0ES3_mN6thrust23THRUST_200600_302600_NS6detail15normal_iteratorINSA_10device_ptrIjEEEEPS6_SG_NS0_5tupleIJSF_S6_EEENSH_IJSG_SG_EEES6_PlJNSB_9not_fun_tINSB_14equal_to_valueIjEEEEEEE10hipError_tPvRmT3_T4_T5_T6_T7_T9_mT8_P12ihipStream_tbDpT10_ENKUlT_T0_E_clISt17integral_constantIbLb0EES18_EEDaS13_S14_EUlS13_E_NS1_11comp_targetILNS1_3genE10ELNS1_11target_archE1200ELNS1_3gpuE4ELNS1_3repE0EEENS1_30default_config_static_selectorELNS0_4arch9wavefront6targetE0EEEvT1_.num_named_barrier, 0
	.set _ZN7rocprim17ROCPRIM_400000_NS6detail17trampoline_kernelINS0_14default_configENS1_25partition_config_selectorILNS1_17partition_subalgoE6EjNS0_10empty_typeEbEEZZNS1_14partition_implILS5_6ELb0ES3_mN6thrust23THRUST_200600_302600_NS6detail15normal_iteratorINSA_10device_ptrIjEEEEPS6_SG_NS0_5tupleIJSF_S6_EEENSH_IJSG_SG_EEES6_PlJNSB_9not_fun_tINSB_14equal_to_valueIjEEEEEEE10hipError_tPvRmT3_T4_T5_T6_T7_T9_mT8_P12ihipStream_tbDpT10_ENKUlT_T0_E_clISt17integral_constantIbLb0EES18_EEDaS13_S14_EUlS13_E_NS1_11comp_targetILNS1_3genE10ELNS1_11target_archE1200ELNS1_3gpuE4ELNS1_3repE0EEENS1_30default_config_static_selectorELNS0_4arch9wavefront6targetE0EEEvT1_.private_seg_size, 0
	.set _ZN7rocprim17ROCPRIM_400000_NS6detail17trampoline_kernelINS0_14default_configENS1_25partition_config_selectorILNS1_17partition_subalgoE6EjNS0_10empty_typeEbEEZZNS1_14partition_implILS5_6ELb0ES3_mN6thrust23THRUST_200600_302600_NS6detail15normal_iteratorINSA_10device_ptrIjEEEEPS6_SG_NS0_5tupleIJSF_S6_EEENSH_IJSG_SG_EEES6_PlJNSB_9not_fun_tINSB_14equal_to_valueIjEEEEEEE10hipError_tPvRmT3_T4_T5_T6_T7_T9_mT8_P12ihipStream_tbDpT10_ENKUlT_T0_E_clISt17integral_constantIbLb0EES18_EEDaS13_S14_EUlS13_E_NS1_11comp_targetILNS1_3genE10ELNS1_11target_archE1200ELNS1_3gpuE4ELNS1_3repE0EEENS1_30default_config_static_selectorELNS0_4arch9wavefront6targetE0EEEvT1_.uses_vcc, 1
	.set _ZN7rocprim17ROCPRIM_400000_NS6detail17trampoline_kernelINS0_14default_configENS1_25partition_config_selectorILNS1_17partition_subalgoE6EjNS0_10empty_typeEbEEZZNS1_14partition_implILS5_6ELb0ES3_mN6thrust23THRUST_200600_302600_NS6detail15normal_iteratorINSA_10device_ptrIjEEEEPS6_SG_NS0_5tupleIJSF_S6_EEENSH_IJSG_SG_EEES6_PlJNSB_9not_fun_tINSB_14equal_to_valueIjEEEEEEE10hipError_tPvRmT3_T4_T5_T6_T7_T9_mT8_P12ihipStream_tbDpT10_ENKUlT_T0_E_clISt17integral_constantIbLb0EES18_EEDaS13_S14_EUlS13_E_NS1_11comp_targetILNS1_3genE10ELNS1_11target_archE1200ELNS1_3gpuE4ELNS1_3repE0EEENS1_30default_config_static_selectorELNS0_4arch9wavefront6targetE0EEEvT1_.uses_flat_scratch, 1
	.set _ZN7rocprim17ROCPRIM_400000_NS6detail17trampoline_kernelINS0_14default_configENS1_25partition_config_selectorILNS1_17partition_subalgoE6EjNS0_10empty_typeEbEEZZNS1_14partition_implILS5_6ELb0ES3_mN6thrust23THRUST_200600_302600_NS6detail15normal_iteratorINSA_10device_ptrIjEEEEPS6_SG_NS0_5tupleIJSF_S6_EEENSH_IJSG_SG_EEES6_PlJNSB_9not_fun_tINSB_14equal_to_valueIjEEEEEEE10hipError_tPvRmT3_T4_T5_T6_T7_T9_mT8_P12ihipStream_tbDpT10_ENKUlT_T0_E_clISt17integral_constantIbLb0EES18_EEDaS13_S14_EUlS13_E_NS1_11comp_targetILNS1_3genE10ELNS1_11target_archE1200ELNS1_3gpuE4ELNS1_3repE0EEENS1_30default_config_static_selectorELNS0_4arch9wavefront6targetE0EEEvT1_.has_dyn_sized_stack, 0
	.set _ZN7rocprim17ROCPRIM_400000_NS6detail17trampoline_kernelINS0_14default_configENS1_25partition_config_selectorILNS1_17partition_subalgoE6EjNS0_10empty_typeEbEEZZNS1_14partition_implILS5_6ELb0ES3_mN6thrust23THRUST_200600_302600_NS6detail15normal_iteratorINSA_10device_ptrIjEEEEPS6_SG_NS0_5tupleIJSF_S6_EEENSH_IJSG_SG_EEES6_PlJNSB_9not_fun_tINSB_14equal_to_valueIjEEEEEEE10hipError_tPvRmT3_T4_T5_T6_T7_T9_mT8_P12ihipStream_tbDpT10_ENKUlT_T0_E_clISt17integral_constantIbLb0EES18_EEDaS13_S14_EUlS13_E_NS1_11comp_targetILNS1_3genE10ELNS1_11target_archE1200ELNS1_3gpuE4ELNS1_3repE0EEENS1_30default_config_static_selectorELNS0_4arch9wavefront6targetE0EEEvT1_.has_recursion, 0
	.set _ZN7rocprim17ROCPRIM_400000_NS6detail17trampoline_kernelINS0_14default_configENS1_25partition_config_selectorILNS1_17partition_subalgoE6EjNS0_10empty_typeEbEEZZNS1_14partition_implILS5_6ELb0ES3_mN6thrust23THRUST_200600_302600_NS6detail15normal_iteratorINSA_10device_ptrIjEEEEPS6_SG_NS0_5tupleIJSF_S6_EEENSH_IJSG_SG_EEES6_PlJNSB_9not_fun_tINSB_14equal_to_valueIjEEEEEEE10hipError_tPvRmT3_T4_T5_T6_T7_T9_mT8_P12ihipStream_tbDpT10_ENKUlT_T0_E_clISt17integral_constantIbLb0EES18_EEDaS13_S14_EUlS13_E_NS1_11comp_targetILNS1_3genE10ELNS1_11target_archE1200ELNS1_3gpuE4ELNS1_3repE0EEENS1_30default_config_static_selectorELNS0_4arch9wavefront6targetE0EEEvT1_.has_indirect_call, 0
	.section	.AMDGPU.csdata,"",@progbits
; Kernel info:
; codeLenInByte = 7456
; TotalNumSgprs: 20
; NumVgprs: 49
; ScratchSize: 0
; MemoryBound: 0
; FloatMode: 240
; IeeeMode: 1
; LDSByteSize: 10768 bytes/workgroup (compile time only)
; SGPRBlocks: 0
; VGPRBlocks: 6
; NumSGPRsForWavesPerEU: 20
; NumVGPRsForWavesPerEU: 49
; Occupancy: 15
; WaveLimiterHint : 1
; COMPUTE_PGM_RSRC2:SCRATCH_EN: 0
; COMPUTE_PGM_RSRC2:USER_SGPR: 2
; COMPUTE_PGM_RSRC2:TRAP_HANDLER: 0
; COMPUTE_PGM_RSRC2:TGID_X_EN: 1
; COMPUTE_PGM_RSRC2:TGID_Y_EN: 0
; COMPUTE_PGM_RSRC2:TGID_Z_EN: 0
; COMPUTE_PGM_RSRC2:TIDIG_COMP_CNT: 0
	.section	.text._ZN7rocprim17ROCPRIM_400000_NS6detail17trampoline_kernelINS0_14default_configENS1_25partition_config_selectorILNS1_17partition_subalgoE6EjNS0_10empty_typeEbEEZZNS1_14partition_implILS5_6ELb0ES3_mN6thrust23THRUST_200600_302600_NS6detail15normal_iteratorINSA_10device_ptrIjEEEEPS6_SG_NS0_5tupleIJSF_S6_EEENSH_IJSG_SG_EEES6_PlJNSB_9not_fun_tINSB_14equal_to_valueIjEEEEEEE10hipError_tPvRmT3_T4_T5_T6_T7_T9_mT8_P12ihipStream_tbDpT10_ENKUlT_T0_E_clISt17integral_constantIbLb0EES18_EEDaS13_S14_EUlS13_E_NS1_11comp_targetILNS1_3genE9ELNS1_11target_archE1100ELNS1_3gpuE3ELNS1_3repE0EEENS1_30default_config_static_selectorELNS0_4arch9wavefront6targetE0EEEvT1_,"axG",@progbits,_ZN7rocprim17ROCPRIM_400000_NS6detail17trampoline_kernelINS0_14default_configENS1_25partition_config_selectorILNS1_17partition_subalgoE6EjNS0_10empty_typeEbEEZZNS1_14partition_implILS5_6ELb0ES3_mN6thrust23THRUST_200600_302600_NS6detail15normal_iteratorINSA_10device_ptrIjEEEEPS6_SG_NS0_5tupleIJSF_S6_EEENSH_IJSG_SG_EEES6_PlJNSB_9not_fun_tINSB_14equal_to_valueIjEEEEEEE10hipError_tPvRmT3_T4_T5_T6_T7_T9_mT8_P12ihipStream_tbDpT10_ENKUlT_T0_E_clISt17integral_constantIbLb0EES18_EEDaS13_S14_EUlS13_E_NS1_11comp_targetILNS1_3genE9ELNS1_11target_archE1100ELNS1_3gpuE3ELNS1_3repE0EEENS1_30default_config_static_selectorELNS0_4arch9wavefront6targetE0EEEvT1_,comdat
	.protected	_ZN7rocprim17ROCPRIM_400000_NS6detail17trampoline_kernelINS0_14default_configENS1_25partition_config_selectorILNS1_17partition_subalgoE6EjNS0_10empty_typeEbEEZZNS1_14partition_implILS5_6ELb0ES3_mN6thrust23THRUST_200600_302600_NS6detail15normal_iteratorINSA_10device_ptrIjEEEEPS6_SG_NS0_5tupleIJSF_S6_EEENSH_IJSG_SG_EEES6_PlJNSB_9not_fun_tINSB_14equal_to_valueIjEEEEEEE10hipError_tPvRmT3_T4_T5_T6_T7_T9_mT8_P12ihipStream_tbDpT10_ENKUlT_T0_E_clISt17integral_constantIbLb0EES18_EEDaS13_S14_EUlS13_E_NS1_11comp_targetILNS1_3genE9ELNS1_11target_archE1100ELNS1_3gpuE3ELNS1_3repE0EEENS1_30default_config_static_selectorELNS0_4arch9wavefront6targetE0EEEvT1_ ; -- Begin function _ZN7rocprim17ROCPRIM_400000_NS6detail17trampoline_kernelINS0_14default_configENS1_25partition_config_selectorILNS1_17partition_subalgoE6EjNS0_10empty_typeEbEEZZNS1_14partition_implILS5_6ELb0ES3_mN6thrust23THRUST_200600_302600_NS6detail15normal_iteratorINSA_10device_ptrIjEEEEPS6_SG_NS0_5tupleIJSF_S6_EEENSH_IJSG_SG_EEES6_PlJNSB_9not_fun_tINSB_14equal_to_valueIjEEEEEEE10hipError_tPvRmT3_T4_T5_T6_T7_T9_mT8_P12ihipStream_tbDpT10_ENKUlT_T0_E_clISt17integral_constantIbLb0EES18_EEDaS13_S14_EUlS13_E_NS1_11comp_targetILNS1_3genE9ELNS1_11target_archE1100ELNS1_3gpuE3ELNS1_3repE0EEENS1_30default_config_static_selectorELNS0_4arch9wavefront6targetE0EEEvT1_
	.globl	_ZN7rocprim17ROCPRIM_400000_NS6detail17trampoline_kernelINS0_14default_configENS1_25partition_config_selectorILNS1_17partition_subalgoE6EjNS0_10empty_typeEbEEZZNS1_14partition_implILS5_6ELb0ES3_mN6thrust23THRUST_200600_302600_NS6detail15normal_iteratorINSA_10device_ptrIjEEEEPS6_SG_NS0_5tupleIJSF_S6_EEENSH_IJSG_SG_EEES6_PlJNSB_9not_fun_tINSB_14equal_to_valueIjEEEEEEE10hipError_tPvRmT3_T4_T5_T6_T7_T9_mT8_P12ihipStream_tbDpT10_ENKUlT_T0_E_clISt17integral_constantIbLb0EES18_EEDaS13_S14_EUlS13_E_NS1_11comp_targetILNS1_3genE9ELNS1_11target_archE1100ELNS1_3gpuE3ELNS1_3repE0EEENS1_30default_config_static_selectorELNS0_4arch9wavefront6targetE0EEEvT1_
	.p2align	8
	.type	_ZN7rocprim17ROCPRIM_400000_NS6detail17trampoline_kernelINS0_14default_configENS1_25partition_config_selectorILNS1_17partition_subalgoE6EjNS0_10empty_typeEbEEZZNS1_14partition_implILS5_6ELb0ES3_mN6thrust23THRUST_200600_302600_NS6detail15normal_iteratorINSA_10device_ptrIjEEEEPS6_SG_NS0_5tupleIJSF_S6_EEENSH_IJSG_SG_EEES6_PlJNSB_9not_fun_tINSB_14equal_to_valueIjEEEEEEE10hipError_tPvRmT3_T4_T5_T6_T7_T9_mT8_P12ihipStream_tbDpT10_ENKUlT_T0_E_clISt17integral_constantIbLb0EES18_EEDaS13_S14_EUlS13_E_NS1_11comp_targetILNS1_3genE9ELNS1_11target_archE1100ELNS1_3gpuE3ELNS1_3repE0EEENS1_30default_config_static_selectorELNS0_4arch9wavefront6targetE0EEEvT1_,@function
_ZN7rocprim17ROCPRIM_400000_NS6detail17trampoline_kernelINS0_14default_configENS1_25partition_config_selectorILNS1_17partition_subalgoE6EjNS0_10empty_typeEbEEZZNS1_14partition_implILS5_6ELb0ES3_mN6thrust23THRUST_200600_302600_NS6detail15normal_iteratorINSA_10device_ptrIjEEEEPS6_SG_NS0_5tupleIJSF_S6_EEENSH_IJSG_SG_EEES6_PlJNSB_9not_fun_tINSB_14equal_to_valueIjEEEEEEE10hipError_tPvRmT3_T4_T5_T6_T7_T9_mT8_P12ihipStream_tbDpT10_ENKUlT_T0_E_clISt17integral_constantIbLb0EES18_EEDaS13_S14_EUlS13_E_NS1_11comp_targetILNS1_3genE9ELNS1_11target_archE1100ELNS1_3gpuE3ELNS1_3repE0EEENS1_30default_config_static_selectorELNS0_4arch9wavefront6targetE0EEEvT1_: ; @_ZN7rocprim17ROCPRIM_400000_NS6detail17trampoline_kernelINS0_14default_configENS1_25partition_config_selectorILNS1_17partition_subalgoE6EjNS0_10empty_typeEbEEZZNS1_14partition_implILS5_6ELb0ES3_mN6thrust23THRUST_200600_302600_NS6detail15normal_iteratorINSA_10device_ptrIjEEEEPS6_SG_NS0_5tupleIJSF_S6_EEENSH_IJSG_SG_EEES6_PlJNSB_9not_fun_tINSB_14equal_to_valueIjEEEEEEE10hipError_tPvRmT3_T4_T5_T6_T7_T9_mT8_P12ihipStream_tbDpT10_ENKUlT_T0_E_clISt17integral_constantIbLb0EES18_EEDaS13_S14_EUlS13_E_NS1_11comp_targetILNS1_3genE9ELNS1_11target_archE1100ELNS1_3gpuE3ELNS1_3repE0EEENS1_30default_config_static_selectorELNS0_4arch9wavefront6targetE0EEEvT1_
; %bb.0:
	.section	.rodata,"a",@progbits
	.p2align	6, 0x0
	.amdhsa_kernel _ZN7rocprim17ROCPRIM_400000_NS6detail17trampoline_kernelINS0_14default_configENS1_25partition_config_selectorILNS1_17partition_subalgoE6EjNS0_10empty_typeEbEEZZNS1_14partition_implILS5_6ELb0ES3_mN6thrust23THRUST_200600_302600_NS6detail15normal_iteratorINSA_10device_ptrIjEEEEPS6_SG_NS0_5tupleIJSF_S6_EEENSH_IJSG_SG_EEES6_PlJNSB_9not_fun_tINSB_14equal_to_valueIjEEEEEEE10hipError_tPvRmT3_T4_T5_T6_T7_T9_mT8_P12ihipStream_tbDpT10_ENKUlT_T0_E_clISt17integral_constantIbLb0EES18_EEDaS13_S14_EUlS13_E_NS1_11comp_targetILNS1_3genE9ELNS1_11target_archE1100ELNS1_3gpuE3ELNS1_3repE0EEENS1_30default_config_static_selectorELNS0_4arch9wavefront6targetE0EEEvT1_
		.amdhsa_group_segment_fixed_size 0
		.amdhsa_private_segment_fixed_size 0
		.amdhsa_kernarg_size 120
		.amdhsa_user_sgpr_count 2
		.amdhsa_user_sgpr_dispatch_ptr 0
		.amdhsa_user_sgpr_queue_ptr 0
		.amdhsa_user_sgpr_kernarg_segment_ptr 1
		.amdhsa_user_sgpr_dispatch_id 0
		.amdhsa_user_sgpr_private_segment_size 0
		.amdhsa_wavefront_size32 1
		.amdhsa_uses_dynamic_stack 0
		.amdhsa_enable_private_segment 0
		.amdhsa_system_sgpr_workgroup_id_x 1
		.amdhsa_system_sgpr_workgroup_id_y 0
		.amdhsa_system_sgpr_workgroup_id_z 0
		.amdhsa_system_sgpr_workgroup_info 0
		.amdhsa_system_vgpr_workitem_id 0
		.amdhsa_next_free_vgpr 1
		.amdhsa_next_free_sgpr 1
		.amdhsa_reserve_vcc 0
		.amdhsa_float_round_mode_32 0
		.amdhsa_float_round_mode_16_64 0
		.amdhsa_float_denorm_mode_32 3
		.amdhsa_float_denorm_mode_16_64 3
		.amdhsa_fp16_overflow 0
		.amdhsa_workgroup_processor_mode 1
		.amdhsa_memory_ordered 1
		.amdhsa_forward_progress 1
		.amdhsa_inst_pref_size 0
		.amdhsa_round_robin_scheduling 0
		.amdhsa_exception_fp_ieee_invalid_op 0
		.amdhsa_exception_fp_denorm_src 0
		.amdhsa_exception_fp_ieee_div_zero 0
		.amdhsa_exception_fp_ieee_overflow 0
		.amdhsa_exception_fp_ieee_underflow 0
		.amdhsa_exception_fp_ieee_inexact 0
		.amdhsa_exception_int_div_zero 0
	.end_amdhsa_kernel
	.section	.text._ZN7rocprim17ROCPRIM_400000_NS6detail17trampoline_kernelINS0_14default_configENS1_25partition_config_selectorILNS1_17partition_subalgoE6EjNS0_10empty_typeEbEEZZNS1_14partition_implILS5_6ELb0ES3_mN6thrust23THRUST_200600_302600_NS6detail15normal_iteratorINSA_10device_ptrIjEEEEPS6_SG_NS0_5tupleIJSF_S6_EEENSH_IJSG_SG_EEES6_PlJNSB_9not_fun_tINSB_14equal_to_valueIjEEEEEEE10hipError_tPvRmT3_T4_T5_T6_T7_T9_mT8_P12ihipStream_tbDpT10_ENKUlT_T0_E_clISt17integral_constantIbLb0EES18_EEDaS13_S14_EUlS13_E_NS1_11comp_targetILNS1_3genE9ELNS1_11target_archE1100ELNS1_3gpuE3ELNS1_3repE0EEENS1_30default_config_static_selectorELNS0_4arch9wavefront6targetE0EEEvT1_,"axG",@progbits,_ZN7rocprim17ROCPRIM_400000_NS6detail17trampoline_kernelINS0_14default_configENS1_25partition_config_selectorILNS1_17partition_subalgoE6EjNS0_10empty_typeEbEEZZNS1_14partition_implILS5_6ELb0ES3_mN6thrust23THRUST_200600_302600_NS6detail15normal_iteratorINSA_10device_ptrIjEEEEPS6_SG_NS0_5tupleIJSF_S6_EEENSH_IJSG_SG_EEES6_PlJNSB_9not_fun_tINSB_14equal_to_valueIjEEEEEEE10hipError_tPvRmT3_T4_T5_T6_T7_T9_mT8_P12ihipStream_tbDpT10_ENKUlT_T0_E_clISt17integral_constantIbLb0EES18_EEDaS13_S14_EUlS13_E_NS1_11comp_targetILNS1_3genE9ELNS1_11target_archE1100ELNS1_3gpuE3ELNS1_3repE0EEENS1_30default_config_static_selectorELNS0_4arch9wavefront6targetE0EEEvT1_,comdat
.Lfunc_end379:
	.size	_ZN7rocprim17ROCPRIM_400000_NS6detail17trampoline_kernelINS0_14default_configENS1_25partition_config_selectorILNS1_17partition_subalgoE6EjNS0_10empty_typeEbEEZZNS1_14partition_implILS5_6ELb0ES3_mN6thrust23THRUST_200600_302600_NS6detail15normal_iteratorINSA_10device_ptrIjEEEEPS6_SG_NS0_5tupleIJSF_S6_EEENSH_IJSG_SG_EEES6_PlJNSB_9not_fun_tINSB_14equal_to_valueIjEEEEEEE10hipError_tPvRmT3_T4_T5_T6_T7_T9_mT8_P12ihipStream_tbDpT10_ENKUlT_T0_E_clISt17integral_constantIbLb0EES18_EEDaS13_S14_EUlS13_E_NS1_11comp_targetILNS1_3genE9ELNS1_11target_archE1100ELNS1_3gpuE3ELNS1_3repE0EEENS1_30default_config_static_selectorELNS0_4arch9wavefront6targetE0EEEvT1_, .Lfunc_end379-_ZN7rocprim17ROCPRIM_400000_NS6detail17trampoline_kernelINS0_14default_configENS1_25partition_config_selectorILNS1_17partition_subalgoE6EjNS0_10empty_typeEbEEZZNS1_14partition_implILS5_6ELb0ES3_mN6thrust23THRUST_200600_302600_NS6detail15normal_iteratorINSA_10device_ptrIjEEEEPS6_SG_NS0_5tupleIJSF_S6_EEENSH_IJSG_SG_EEES6_PlJNSB_9not_fun_tINSB_14equal_to_valueIjEEEEEEE10hipError_tPvRmT3_T4_T5_T6_T7_T9_mT8_P12ihipStream_tbDpT10_ENKUlT_T0_E_clISt17integral_constantIbLb0EES18_EEDaS13_S14_EUlS13_E_NS1_11comp_targetILNS1_3genE9ELNS1_11target_archE1100ELNS1_3gpuE3ELNS1_3repE0EEENS1_30default_config_static_selectorELNS0_4arch9wavefront6targetE0EEEvT1_
                                        ; -- End function
	.set _ZN7rocprim17ROCPRIM_400000_NS6detail17trampoline_kernelINS0_14default_configENS1_25partition_config_selectorILNS1_17partition_subalgoE6EjNS0_10empty_typeEbEEZZNS1_14partition_implILS5_6ELb0ES3_mN6thrust23THRUST_200600_302600_NS6detail15normal_iteratorINSA_10device_ptrIjEEEEPS6_SG_NS0_5tupleIJSF_S6_EEENSH_IJSG_SG_EEES6_PlJNSB_9not_fun_tINSB_14equal_to_valueIjEEEEEEE10hipError_tPvRmT3_T4_T5_T6_T7_T9_mT8_P12ihipStream_tbDpT10_ENKUlT_T0_E_clISt17integral_constantIbLb0EES18_EEDaS13_S14_EUlS13_E_NS1_11comp_targetILNS1_3genE9ELNS1_11target_archE1100ELNS1_3gpuE3ELNS1_3repE0EEENS1_30default_config_static_selectorELNS0_4arch9wavefront6targetE0EEEvT1_.num_vgpr, 0
	.set _ZN7rocprim17ROCPRIM_400000_NS6detail17trampoline_kernelINS0_14default_configENS1_25partition_config_selectorILNS1_17partition_subalgoE6EjNS0_10empty_typeEbEEZZNS1_14partition_implILS5_6ELb0ES3_mN6thrust23THRUST_200600_302600_NS6detail15normal_iteratorINSA_10device_ptrIjEEEEPS6_SG_NS0_5tupleIJSF_S6_EEENSH_IJSG_SG_EEES6_PlJNSB_9not_fun_tINSB_14equal_to_valueIjEEEEEEE10hipError_tPvRmT3_T4_T5_T6_T7_T9_mT8_P12ihipStream_tbDpT10_ENKUlT_T0_E_clISt17integral_constantIbLb0EES18_EEDaS13_S14_EUlS13_E_NS1_11comp_targetILNS1_3genE9ELNS1_11target_archE1100ELNS1_3gpuE3ELNS1_3repE0EEENS1_30default_config_static_selectorELNS0_4arch9wavefront6targetE0EEEvT1_.num_agpr, 0
	.set _ZN7rocprim17ROCPRIM_400000_NS6detail17trampoline_kernelINS0_14default_configENS1_25partition_config_selectorILNS1_17partition_subalgoE6EjNS0_10empty_typeEbEEZZNS1_14partition_implILS5_6ELb0ES3_mN6thrust23THRUST_200600_302600_NS6detail15normal_iteratorINSA_10device_ptrIjEEEEPS6_SG_NS0_5tupleIJSF_S6_EEENSH_IJSG_SG_EEES6_PlJNSB_9not_fun_tINSB_14equal_to_valueIjEEEEEEE10hipError_tPvRmT3_T4_T5_T6_T7_T9_mT8_P12ihipStream_tbDpT10_ENKUlT_T0_E_clISt17integral_constantIbLb0EES18_EEDaS13_S14_EUlS13_E_NS1_11comp_targetILNS1_3genE9ELNS1_11target_archE1100ELNS1_3gpuE3ELNS1_3repE0EEENS1_30default_config_static_selectorELNS0_4arch9wavefront6targetE0EEEvT1_.numbered_sgpr, 0
	.set _ZN7rocprim17ROCPRIM_400000_NS6detail17trampoline_kernelINS0_14default_configENS1_25partition_config_selectorILNS1_17partition_subalgoE6EjNS0_10empty_typeEbEEZZNS1_14partition_implILS5_6ELb0ES3_mN6thrust23THRUST_200600_302600_NS6detail15normal_iteratorINSA_10device_ptrIjEEEEPS6_SG_NS0_5tupleIJSF_S6_EEENSH_IJSG_SG_EEES6_PlJNSB_9not_fun_tINSB_14equal_to_valueIjEEEEEEE10hipError_tPvRmT3_T4_T5_T6_T7_T9_mT8_P12ihipStream_tbDpT10_ENKUlT_T0_E_clISt17integral_constantIbLb0EES18_EEDaS13_S14_EUlS13_E_NS1_11comp_targetILNS1_3genE9ELNS1_11target_archE1100ELNS1_3gpuE3ELNS1_3repE0EEENS1_30default_config_static_selectorELNS0_4arch9wavefront6targetE0EEEvT1_.num_named_barrier, 0
	.set _ZN7rocprim17ROCPRIM_400000_NS6detail17trampoline_kernelINS0_14default_configENS1_25partition_config_selectorILNS1_17partition_subalgoE6EjNS0_10empty_typeEbEEZZNS1_14partition_implILS5_6ELb0ES3_mN6thrust23THRUST_200600_302600_NS6detail15normal_iteratorINSA_10device_ptrIjEEEEPS6_SG_NS0_5tupleIJSF_S6_EEENSH_IJSG_SG_EEES6_PlJNSB_9not_fun_tINSB_14equal_to_valueIjEEEEEEE10hipError_tPvRmT3_T4_T5_T6_T7_T9_mT8_P12ihipStream_tbDpT10_ENKUlT_T0_E_clISt17integral_constantIbLb0EES18_EEDaS13_S14_EUlS13_E_NS1_11comp_targetILNS1_3genE9ELNS1_11target_archE1100ELNS1_3gpuE3ELNS1_3repE0EEENS1_30default_config_static_selectorELNS0_4arch9wavefront6targetE0EEEvT1_.private_seg_size, 0
	.set _ZN7rocprim17ROCPRIM_400000_NS6detail17trampoline_kernelINS0_14default_configENS1_25partition_config_selectorILNS1_17partition_subalgoE6EjNS0_10empty_typeEbEEZZNS1_14partition_implILS5_6ELb0ES3_mN6thrust23THRUST_200600_302600_NS6detail15normal_iteratorINSA_10device_ptrIjEEEEPS6_SG_NS0_5tupleIJSF_S6_EEENSH_IJSG_SG_EEES6_PlJNSB_9not_fun_tINSB_14equal_to_valueIjEEEEEEE10hipError_tPvRmT3_T4_T5_T6_T7_T9_mT8_P12ihipStream_tbDpT10_ENKUlT_T0_E_clISt17integral_constantIbLb0EES18_EEDaS13_S14_EUlS13_E_NS1_11comp_targetILNS1_3genE9ELNS1_11target_archE1100ELNS1_3gpuE3ELNS1_3repE0EEENS1_30default_config_static_selectorELNS0_4arch9wavefront6targetE0EEEvT1_.uses_vcc, 0
	.set _ZN7rocprim17ROCPRIM_400000_NS6detail17trampoline_kernelINS0_14default_configENS1_25partition_config_selectorILNS1_17partition_subalgoE6EjNS0_10empty_typeEbEEZZNS1_14partition_implILS5_6ELb0ES3_mN6thrust23THRUST_200600_302600_NS6detail15normal_iteratorINSA_10device_ptrIjEEEEPS6_SG_NS0_5tupleIJSF_S6_EEENSH_IJSG_SG_EEES6_PlJNSB_9not_fun_tINSB_14equal_to_valueIjEEEEEEE10hipError_tPvRmT3_T4_T5_T6_T7_T9_mT8_P12ihipStream_tbDpT10_ENKUlT_T0_E_clISt17integral_constantIbLb0EES18_EEDaS13_S14_EUlS13_E_NS1_11comp_targetILNS1_3genE9ELNS1_11target_archE1100ELNS1_3gpuE3ELNS1_3repE0EEENS1_30default_config_static_selectorELNS0_4arch9wavefront6targetE0EEEvT1_.uses_flat_scratch, 0
	.set _ZN7rocprim17ROCPRIM_400000_NS6detail17trampoline_kernelINS0_14default_configENS1_25partition_config_selectorILNS1_17partition_subalgoE6EjNS0_10empty_typeEbEEZZNS1_14partition_implILS5_6ELb0ES3_mN6thrust23THRUST_200600_302600_NS6detail15normal_iteratorINSA_10device_ptrIjEEEEPS6_SG_NS0_5tupleIJSF_S6_EEENSH_IJSG_SG_EEES6_PlJNSB_9not_fun_tINSB_14equal_to_valueIjEEEEEEE10hipError_tPvRmT3_T4_T5_T6_T7_T9_mT8_P12ihipStream_tbDpT10_ENKUlT_T0_E_clISt17integral_constantIbLb0EES18_EEDaS13_S14_EUlS13_E_NS1_11comp_targetILNS1_3genE9ELNS1_11target_archE1100ELNS1_3gpuE3ELNS1_3repE0EEENS1_30default_config_static_selectorELNS0_4arch9wavefront6targetE0EEEvT1_.has_dyn_sized_stack, 0
	.set _ZN7rocprim17ROCPRIM_400000_NS6detail17trampoline_kernelINS0_14default_configENS1_25partition_config_selectorILNS1_17partition_subalgoE6EjNS0_10empty_typeEbEEZZNS1_14partition_implILS5_6ELb0ES3_mN6thrust23THRUST_200600_302600_NS6detail15normal_iteratorINSA_10device_ptrIjEEEEPS6_SG_NS0_5tupleIJSF_S6_EEENSH_IJSG_SG_EEES6_PlJNSB_9not_fun_tINSB_14equal_to_valueIjEEEEEEE10hipError_tPvRmT3_T4_T5_T6_T7_T9_mT8_P12ihipStream_tbDpT10_ENKUlT_T0_E_clISt17integral_constantIbLb0EES18_EEDaS13_S14_EUlS13_E_NS1_11comp_targetILNS1_3genE9ELNS1_11target_archE1100ELNS1_3gpuE3ELNS1_3repE0EEENS1_30default_config_static_selectorELNS0_4arch9wavefront6targetE0EEEvT1_.has_recursion, 0
	.set _ZN7rocprim17ROCPRIM_400000_NS6detail17trampoline_kernelINS0_14default_configENS1_25partition_config_selectorILNS1_17partition_subalgoE6EjNS0_10empty_typeEbEEZZNS1_14partition_implILS5_6ELb0ES3_mN6thrust23THRUST_200600_302600_NS6detail15normal_iteratorINSA_10device_ptrIjEEEEPS6_SG_NS0_5tupleIJSF_S6_EEENSH_IJSG_SG_EEES6_PlJNSB_9not_fun_tINSB_14equal_to_valueIjEEEEEEE10hipError_tPvRmT3_T4_T5_T6_T7_T9_mT8_P12ihipStream_tbDpT10_ENKUlT_T0_E_clISt17integral_constantIbLb0EES18_EEDaS13_S14_EUlS13_E_NS1_11comp_targetILNS1_3genE9ELNS1_11target_archE1100ELNS1_3gpuE3ELNS1_3repE0EEENS1_30default_config_static_selectorELNS0_4arch9wavefront6targetE0EEEvT1_.has_indirect_call, 0
	.section	.AMDGPU.csdata,"",@progbits
; Kernel info:
; codeLenInByte = 0
; TotalNumSgprs: 0
; NumVgprs: 0
; ScratchSize: 0
; MemoryBound: 0
; FloatMode: 240
; IeeeMode: 1
; LDSByteSize: 0 bytes/workgroup (compile time only)
; SGPRBlocks: 0
; VGPRBlocks: 0
; NumSGPRsForWavesPerEU: 1
; NumVGPRsForWavesPerEU: 1
; Occupancy: 16
; WaveLimiterHint : 0
; COMPUTE_PGM_RSRC2:SCRATCH_EN: 0
; COMPUTE_PGM_RSRC2:USER_SGPR: 2
; COMPUTE_PGM_RSRC2:TRAP_HANDLER: 0
; COMPUTE_PGM_RSRC2:TGID_X_EN: 1
; COMPUTE_PGM_RSRC2:TGID_Y_EN: 0
; COMPUTE_PGM_RSRC2:TGID_Z_EN: 0
; COMPUTE_PGM_RSRC2:TIDIG_COMP_CNT: 0
	.section	.text._ZN7rocprim17ROCPRIM_400000_NS6detail17trampoline_kernelINS0_14default_configENS1_25partition_config_selectorILNS1_17partition_subalgoE6EjNS0_10empty_typeEbEEZZNS1_14partition_implILS5_6ELb0ES3_mN6thrust23THRUST_200600_302600_NS6detail15normal_iteratorINSA_10device_ptrIjEEEEPS6_SG_NS0_5tupleIJSF_S6_EEENSH_IJSG_SG_EEES6_PlJNSB_9not_fun_tINSB_14equal_to_valueIjEEEEEEE10hipError_tPvRmT3_T4_T5_T6_T7_T9_mT8_P12ihipStream_tbDpT10_ENKUlT_T0_E_clISt17integral_constantIbLb0EES18_EEDaS13_S14_EUlS13_E_NS1_11comp_targetILNS1_3genE8ELNS1_11target_archE1030ELNS1_3gpuE2ELNS1_3repE0EEENS1_30default_config_static_selectorELNS0_4arch9wavefront6targetE0EEEvT1_,"axG",@progbits,_ZN7rocprim17ROCPRIM_400000_NS6detail17trampoline_kernelINS0_14default_configENS1_25partition_config_selectorILNS1_17partition_subalgoE6EjNS0_10empty_typeEbEEZZNS1_14partition_implILS5_6ELb0ES3_mN6thrust23THRUST_200600_302600_NS6detail15normal_iteratorINSA_10device_ptrIjEEEEPS6_SG_NS0_5tupleIJSF_S6_EEENSH_IJSG_SG_EEES6_PlJNSB_9not_fun_tINSB_14equal_to_valueIjEEEEEEE10hipError_tPvRmT3_T4_T5_T6_T7_T9_mT8_P12ihipStream_tbDpT10_ENKUlT_T0_E_clISt17integral_constantIbLb0EES18_EEDaS13_S14_EUlS13_E_NS1_11comp_targetILNS1_3genE8ELNS1_11target_archE1030ELNS1_3gpuE2ELNS1_3repE0EEENS1_30default_config_static_selectorELNS0_4arch9wavefront6targetE0EEEvT1_,comdat
	.protected	_ZN7rocprim17ROCPRIM_400000_NS6detail17trampoline_kernelINS0_14default_configENS1_25partition_config_selectorILNS1_17partition_subalgoE6EjNS0_10empty_typeEbEEZZNS1_14partition_implILS5_6ELb0ES3_mN6thrust23THRUST_200600_302600_NS6detail15normal_iteratorINSA_10device_ptrIjEEEEPS6_SG_NS0_5tupleIJSF_S6_EEENSH_IJSG_SG_EEES6_PlJNSB_9not_fun_tINSB_14equal_to_valueIjEEEEEEE10hipError_tPvRmT3_T4_T5_T6_T7_T9_mT8_P12ihipStream_tbDpT10_ENKUlT_T0_E_clISt17integral_constantIbLb0EES18_EEDaS13_S14_EUlS13_E_NS1_11comp_targetILNS1_3genE8ELNS1_11target_archE1030ELNS1_3gpuE2ELNS1_3repE0EEENS1_30default_config_static_selectorELNS0_4arch9wavefront6targetE0EEEvT1_ ; -- Begin function _ZN7rocprim17ROCPRIM_400000_NS6detail17trampoline_kernelINS0_14default_configENS1_25partition_config_selectorILNS1_17partition_subalgoE6EjNS0_10empty_typeEbEEZZNS1_14partition_implILS5_6ELb0ES3_mN6thrust23THRUST_200600_302600_NS6detail15normal_iteratorINSA_10device_ptrIjEEEEPS6_SG_NS0_5tupleIJSF_S6_EEENSH_IJSG_SG_EEES6_PlJNSB_9not_fun_tINSB_14equal_to_valueIjEEEEEEE10hipError_tPvRmT3_T4_T5_T6_T7_T9_mT8_P12ihipStream_tbDpT10_ENKUlT_T0_E_clISt17integral_constantIbLb0EES18_EEDaS13_S14_EUlS13_E_NS1_11comp_targetILNS1_3genE8ELNS1_11target_archE1030ELNS1_3gpuE2ELNS1_3repE0EEENS1_30default_config_static_selectorELNS0_4arch9wavefront6targetE0EEEvT1_
	.globl	_ZN7rocprim17ROCPRIM_400000_NS6detail17trampoline_kernelINS0_14default_configENS1_25partition_config_selectorILNS1_17partition_subalgoE6EjNS0_10empty_typeEbEEZZNS1_14partition_implILS5_6ELb0ES3_mN6thrust23THRUST_200600_302600_NS6detail15normal_iteratorINSA_10device_ptrIjEEEEPS6_SG_NS0_5tupleIJSF_S6_EEENSH_IJSG_SG_EEES6_PlJNSB_9not_fun_tINSB_14equal_to_valueIjEEEEEEE10hipError_tPvRmT3_T4_T5_T6_T7_T9_mT8_P12ihipStream_tbDpT10_ENKUlT_T0_E_clISt17integral_constantIbLb0EES18_EEDaS13_S14_EUlS13_E_NS1_11comp_targetILNS1_3genE8ELNS1_11target_archE1030ELNS1_3gpuE2ELNS1_3repE0EEENS1_30default_config_static_selectorELNS0_4arch9wavefront6targetE0EEEvT1_
	.p2align	8
	.type	_ZN7rocprim17ROCPRIM_400000_NS6detail17trampoline_kernelINS0_14default_configENS1_25partition_config_selectorILNS1_17partition_subalgoE6EjNS0_10empty_typeEbEEZZNS1_14partition_implILS5_6ELb0ES3_mN6thrust23THRUST_200600_302600_NS6detail15normal_iteratorINSA_10device_ptrIjEEEEPS6_SG_NS0_5tupleIJSF_S6_EEENSH_IJSG_SG_EEES6_PlJNSB_9not_fun_tINSB_14equal_to_valueIjEEEEEEE10hipError_tPvRmT3_T4_T5_T6_T7_T9_mT8_P12ihipStream_tbDpT10_ENKUlT_T0_E_clISt17integral_constantIbLb0EES18_EEDaS13_S14_EUlS13_E_NS1_11comp_targetILNS1_3genE8ELNS1_11target_archE1030ELNS1_3gpuE2ELNS1_3repE0EEENS1_30default_config_static_selectorELNS0_4arch9wavefront6targetE0EEEvT1_,@function
_ZN7rocprim17ROCPRIM_400000_NS6detail17trampoline_kernelINS0_14default_configENS1_25partition_config_selectorILNS1_17partition_subalgoE6EjNS0_10empty_typeEbEEZZNS1_14partition_implILS5_6ELb0ES3_mN6thrust23THRUST_200600_302600_NS6detail15normal_iteratorINSA_10device_ptrIjEEEEPS6_SG_NS0_5tupleIJSF_S6_EEENSH_IJSG_SG_EEES6_PlJNSB_9not_fun_tINSB_14equal_to_valueIjEEEEEEE10hipError_tPvRmT3_T4_T5_T6_T7_T9_mT8_P12ihipStream_tbDpT10_ENKUlT_T0_E_clISt17integral_constantIbLb0EES18_EEDaS13_S14_EUlS13_E_NS1_11comp_targetILNS1_3genE8ELNS1_11target_archE1030ELNS1_3gpuE2ELNS1_3repE0EEENS1_30default_config_static_selectorELNS0_4arch9wavefront6targetE0EEEvT1_: ; @_ZN7rocprim17ROCPRIM_400000_NS6detail17trampoline_kernelINS0_14default_configENS1_25partition_config_selectorILNS1_17partition_subalgoE6EjNS0_10empty_typeEbEEZZNS1_14partition_implILS5_6ELb0ES3_mN6thrust23THRUST_200600_302600_NS6detail15normal_iteratorINSA_10device_ptrIjEEEEPS6_SG_NS0_5tupleIJSF_S6_EEENSH_IJSG_SG_EEES6_PlJNSB_9not_fun_tINSB_14equal_to_valueIjEEEEEEE10hipError_tPvRmT3_T4_T5_T6_T7_T9_mT8_P12ihipStream_tbDpT10_ENKUlT_T0_E_clISt17integral_constantIbLb0EES18_EEDaS13_S14_EUlS13_E_NS1_11comp_targetILNS1_3genE8ELNS1_11target_archE1030ELNS1_3gpuE2ELNS1_3repE0EEENS1_30default_config_static_selectorELNS0_4arch9wavefront6targetE0EEEvT1_
; %bb.0:
	.section	.rodata,"a",@progbits
	.p2align	6, 0x0
	.amdhsa_kernel _ZN7rocprim17ROCPRIM_400000_NS6detail17trampoline_kernelINS0_14default_configENS1_25partition_config_selectorILNS1_17partition_subalgoE6EjNS0_10empty_typeEbEEZZNS1_14partition_implILS5_6ELb0ES3_mN6thrust23THRUST_200600_302600_NS6detail15normal_iteratorINSA_10device_ptrIjEEEEPS6_SG_NS0_5tupleIJSF_S6_EEENSH_IJSG_SG_EEES6_PlJNSB_9not_fun_tINSB_14equal_to_valueIjEEEEEEE10hipError_tPvRmT3_T4_T5_T6_T7_T9_mT8_P12ihipStream_tbDpT10_ENKUlT_T0_E_clISt17integral_constantIbLb0EES18_EEDaS13_S14_EUlS13_E_NS1_11comp_targetILNS1_3genE8ELNS1_11target_archE1030ELNS1_3gpuE2ELNS1_3repE0EEENS1_30default_config_static_selectorELNS0_4arch9wavefront6targetE0EEEvT1_
		.amdhsa_group_segment_fixed_size 0
		.amdhsa_private_segment_fixed_size 0
		.amdhsa_kernarg_size 120
		.amdhsa_user_sgpr_count 2
		.amdhsa_user_sgpr_dispatch_ptr 0
		.amdhsa_user_sgpr_queue_ptr 0
		.amdhsa_user_sgpr_kernarg_segment_ptr 1
		.amdhsa_user_sgpr_dispatch_id 0
		.amdhsa_user_sgpr_private_segment_size 0
		.amdhsa_wavefront_size32 1
		.amdhsa_uses_dynamic_stack 0
		.amdhsa_enable_private_segment 0
		.amdhsa_system_sgpr_workgroup_id_x 1
		.amdhsa_system_sgpr_workgroup_id_y 0
		.amdhsa_system_sgpr_workgroup_id_z 0
		.amdhsa_system_sgpr_workgroup_info 0
		.amdhsa_system_vgpr_workitem_id 0
		.amdhsa_next_free_vgpr 1
		.amdhsa_next_free_sgpr 1
		.amdhsa_reserve_vcc 0
		.amdhsa_float_round_mode_32 0
		.amdhsa_float_round_mode_16_64 0
		.amdhsa_float_denorm_mode_32 3
		.amdhsa_float_denorm_mode_16_64 3
		.amdhsa_fp16_overflow 0
		.amdhsa_workgroup_processor_mode 1
		.amdhsa_memory_ordered 1
		.amdhsa_forward_progress 1
		.amdhsa_inst_pref_size 0
		.amdhsa_round_robin_scheduling 0
		.amdhsa_exception_fp_ieee_invalid_op 0
		.amdhsa_exception_fp_denorm_src 0
		.amdhsa_exception_fp_ieee_div_zero 0
		.amdhsa_exception_fp_ieee_overflow 0
		.amdhsa_exception_fp_ieee_underflow 0
		.amdhsa_exception_fp_ieee_inexact 0
		.amdhsa_exception_int_div_zero 0
	.end_amdhsa_kernel
	.section	.text._ZN7rocprim17ROCPRIM_400000_NS6detail17trampoline_kernelINS0_14default_configENS1_25partition_config_selectorILNS1_17partition_subalgoE6EjNS0_10empty_typeEbEEZZNS1_14partition_implILS5_6ELb0ES3_mN6thrust23THRUST_200600_302600_NS6detail15normal_iteratorINSA_10device_ptrIjEEEEPS6_SG_NS0_5tupleIJSF_S6_EEENSH_IJSG_SG_EEES6_PlJNSB_9not_fun_tINSB_14equal_to_valueIjEEEEEEE10hipError_tPvRmT3_T4_T5_T6_T7_T9_mT8_P12ihipStream_tbDpT10_ENKUlT_T0_E_clISt17integral_constantIbLb0EES18_EEDaS13_S14_EUlS13_E_NS1_11comp_targetILNS1_3genE8ELNS1_11target_archE1030ELNS1_3gpuE2ELNS1_3repE0EEENS1_30default_config_static_selectorELNS0_4arch9wavefront6targetE0EEEvT1_,"axG",@progbits,_ZN7rocprim17ROCPRIM_400000_NS6detail17trampoline_kernelINS0_14default_configENS1_25partition_config_selectorILNS1_17partition_subalgoE6EjNS0_10empty_typeEbEEZZNS1_14partition_implILS5_6ELb0ES3_mN6thrust23THRUST_200600_302600_NS6detail15normal_iteratorINSA_10device_ptrIjEEEEPS6_SG_NS0_5tupleIJSF_S6_EEENSH_IJSG_SG_EEES6_PlJNSB_9not_fun_tINSB_14equal_to_valueIjEEEEEEE10hipError_tPvRmT3_T4_T5_T6_T7_T9_mT8_P12ihipStream_tbDpT10_ENKUlT_T0_E_clISt17integral_constantIbLb0EES18_EEDaS13_S14_EUlS13_E_NS1_11comp_targetILNS1_3genE8ELNS1_11target_archE1030ELNS1_3gpuE2ELNS1_3repE0EEENS1_30default_config_static_selectorELNS0_4arch9wavefront6targetE0EEEvT1_,comdat
.Lfunc_end380:
	.size	_ZN7rocprim17ROCPRIM_400000_NS6detail17trampoline_kernelINS0_14default_configENS1_25partition_config_selectorILNS1_17partition_subalgoE6EjNS0_10empty_typeEbEEZZNS1_14partition_implILS5_6ELb0ES3_mN6thrust23THRUST_200600_302600_NS6detail15normal_iteratorINSA_10device_ptrIjEEEEPS6_SG_NS0_5tupleIJSF_S6_EEENSH_IJSG_SG_EEES6_PlJNSB_9not_fun_tINSB_14equal_to_valueIjEEEEEEE10hipError_tPvRmT3_T4_T5_T6_T7_T9_mT8_P12ihipStream_tbDpT10_ENKUlT_T0_E_clISt17integral_constantIbLb0EES18_EEDaS13_S14_EUlS13_E_NS1_11comp_targetILNS1_3genE8ELNS1_11target_archE1030ELNS1_3gpuE2ELNS1_3repE0EEENS1_30default_config_static_selectorELNS0_4arch9wavefront6targetE0EEEvT1_, .Lfunc_end380-_ZN7rocprim17ROCPRIM_400000_NS6detail17trampoline_kernelINS0_14default_configENS1_25partition_config_selectorILNS1_17partition_subalgoE6EjNS0_10empty_typeEbEEZZNS1_14partition_implILS5_6ELb0ES3_mN6thrust23THRUST_200600_302600_NS6detail15normal_iteratorINSA_10device_ptrIjEEEEPS6_SG_NS0_5tupleIJSF_S6_EEENSH_IJSG_SG_EEES6_PlJNSB_9not_fun_tINSB_14equal_to_valueIjEEEEEEE10hipError_tPvRmT3_T4_T5_T6_T7_T9_mT8_P12ihipStream_tbDpT10_ENKUlT_T0_E_clISt17integral_constantIbLb0EES18_EEDaS13_S14_EUlS13_E_NS1_11comp_targetILNS1_3genE8ELNS1_11target_archE1030ELNS1_3gpuE2ELNS1_3repE0EEENS1_30default_config_static_selectorELNS0_4arch9wavefront6targetE0EEEvT1_
                                        ; -- End function
	.set _ZN7rocprim17ROCPRIM_400000_NS6detail17trampoline_kernelINS0_14default_configENS1_25partition_config_selectorILNS1_17partition_subalgoE6EjNS0_10empty_typeEbEEZZNS1_14partition_implILS5_6ELb0ES3_mN6thrust23THRUST_200600_302600_NS6detail15normal_iteratorINSA_10device_ptrIjEEEEPS6_SG_NS0_5tupleIJSF_S6_EEENSH_IJSG_SG_EEES6_PlJNSB_9not_fun_tINSB_14equal_to_valueIjEEEEEEE10hipError_tPvRmT3_T4_T5_T6_T7_T9_mT8_P12ihipStream_tbDpT10_ENKUlT_T0_E_clISt17integral_constantIbLb0EES18_EEDaS13_S14_EUlS13_E_NS1_11comp_targetILNS1_3genE8ELNS1_11target_archE1030ELNS1_3gpuE2ELNS1_3repE0EEENS1_30default_config_static_selectorELNS0_4arch9wavefront6targetE0EEEvT1_.num_vgpr, 0
	.set _ZN7rocprim17ROCPRIM_400000_NS6detail17trampoline_kernelINS0_14default_configENS1_25partition_config_selectorILNS1_17partition_subalgoE6EjNS0_10empty_typeEbEEZZNS1_14partition_implILS5_6ELb0ES3_mN6thrust23THRUST_200600_302600_NS6detail15normal_iteratorINSA_10device_ptrIjEEEEPS6_SG_NS0_5tupleIJSF_S6_EEENSH_IJSG_SG_EEES6_PlJNSB_9not_fun_tINSB_14equal_to_valueIjEEEEEEE10hipError_tPvRmT3_T4_T5_T6_T7_T9_mT8_P12ihipStream_tbDpT10_ENKUlT_T0_E_clISt17integral_constantIbLb0EES18_EEDaS13_S14_EUlS13_E_NS1_11comp_targetILNS1_3genE8ELNS1_11target_archE1030ELNS1_3gpuE2ELNS1_3repE0EEENS1_30default_config_static_selectorELNS0_4arch9wavefront6targetE0EEEvT1_.num_agpr, 0
	.set _ZN7rocprim17ROCPRIM_400000_NS6detail17trampoline_kernelINS0_14default_configENS1_25partition_config_selectorILNS1_17partition_subalgoE6EjNS0_10empty_typeEbEEZZNS1_14partition_implILS5_6ELb0ES3_mN6thrust23THRUST_200600_302600_NS6detail15normal_iteratorINSA_10device_ptrIjEEEEPS6_SG_NS0_5tupleIJSF_S6_EEENSH_IJSG_SG_EEES6_PlJNSB_9not_fun_tINSB_14equal_to_valueIjEEEEEEE10hipError_tPvRmT3_T4_T5_T6_T7_T9_mT8_P12ihipStream_tbDpT10_ENKUlT_T0_E_clISt17integral_constantIbLb0EES18_EEDaS13_S14_EUlS13_E_NS1_11comp_targetILNS1_3genE8ELNS1_11target_archE1030ELNS1_3gpuE2ELNS1_3repE0EEENS1_30default_config_static_selectorELNS0_4arch9wavefront6targetE0EEEvT1_.numbered_sgpr, 0
	.set _ZN7rocprim17ROCPRIM_400000_NS6detail17trampoline_kernelINS0_14default_configENS1_25partition_config_selectorILNS1_17partition_subalgoE6EjNS0_10empty_typeEbEEZZNS1_14partition_implILS5_6ELb0ES3_mN6thrust23THRUST_200600_302600_NS6detail15normal_iteratorINSA_10device_ptrIjEEEEPS6_SG_NS0_5tupleIJSF_S6_EEENSH_IJSG_SG_EEES6_PlJNSB_9not_fun_tINSB_14equal_to_valueIjEEEEEEE10hipError_tPvRmT3_T4_T5_T6_T7_T9_mT8_P12ihipStream_tbDpT10_ENKUlT_T0_E_clISt17integral_constantIbLb0EES18_EEDaS13_S14_EUlS13_E_NS1_11comp_targetILNS1_3genE8ELNS1_11target_archE1030ELNS1_3gpuE2ELNS1_3repE0EEENS1_30default_config_static_selectorELNS0_4arch9wavefront6targetE0EEEvT1_.num_named_barrier, 0
	.set _ZN7rocprim17ROCPRIM_400000_NS6detail17trampoline_kernelINS0_14default_configENS1_25partition_config_selectorILNS1_17partition_subalgoE6EjNS0_10empty_typeEbEEZZNS1_14partition_implILS5_6ELb0ES3_mN6thrust23THRUST_200600_302600_NS6detail15normal_iteratorINSA_10device_ptrIjEEEEPS6_SG_NS0_5tupleIJSF_S6_EEENSH_IJSG_SG_EEES6_PlJNSB_9not_fun_tINSB_14equal_to_valueIjEEEEEEE10hipError_tPvRmT3_T4_T5_T6_T7_T9_mT8_P12ihipStream_tbDpT10_ENKUlT_T0_E_clISt17integral_constantIbLb0EES18_EEDaS13_S14_EUlS13_E_NS1_11comp_targetILNS1_3genE8ELNS1_11target_archE1030ELNS1_3gpuE2ELNS1_3repE0EEENS1_30default_config_static_selectorELNS0_4arch9wavefront6targetE0EEEvT1_.private_seg_size, 0
	.set _ZN7rocprim17ROCPRIM_400000_NS6detail17trampoline_kernelINS0_14default_configENS1_25partition_config_selectorILNS1_17partition_subalgoE6EjNS0_10empty_typeEbEEZZNS1_14partition_implILS5_6ELb0ES3_mN6thrust23THRUST_200600_302600_NS6detail15normal_iteratorINSA_10device_ptrIjEEEEPS6_SG_NS0_5tupleIJSF_S6_EEENSH_IJSG_SG_EEES6_PlJNSB_9not_fun_tINSB_14equal_to_valueIjEEEEEEE10hipError_tPvRmT3_T4_T5_T6_T7_T9_mT8_P12ihipStream_tbDpT10_ENKUlT_T0_E_clISt17integral_constantIbLb0EES18_EEDaS13_S14_EUlS13_E_NS1_11comp_targetILNS1_3genE8ELNS1_11target_archE1030ELNS1_3gpuE2ELNS1_3repE0EEENS1_30default_config_static_selectorELNS0_4arch9wavefront6targetE0EEEvT1_.uses_vcc, 0
	.set _ZN7rocprim17ROCPRIM_400000_NS6detail17trampoline_kernelINS0_14default_configENS1_25partition_config_selectorILNS1_17partition_subalgoE6EjNS0_10empty_typeEbEEZZNS1_14partition_implILS5_6ELb0ES3_mN6thrust23THRUST_200600_302600_NS6detail15normal_iteratorINSA_10device_ptrIjEEEEPS6_SG_NS0_5tupleIJSF_S6_EEENSH_IJSG_SG_EEES6_PlJNSB_9not_fun_tINSB_14equal_to_valueIjEEEEEEE10hipError_tPvRmT3_T4_T5_T6_T7_T9_mT8_P12ihipStream_tbDpT10_ENKUlT_T0_E_clISt17integral_constantIbLb0EES18_EEDaS13_S14_EUlS13_E_NS1_11comp_targetILNS1_3genE8ELNS1_11target_archE1030ELNS1_3gpuE2ELNS1_3repE0EEENS1_30default_config_static_selectorELNS0_4arch9wavefront6targetE0EEEvT1_.uses_flat_scratch, 0
	.set _ZN7rocprim17ROCPRIM_400000_NS6detail17trampoline_kernelINS0_14default_configENS1_25partition_config_selectorILNS1_17partition_subalgoE6EjNS0_10empty_typeEbEEZZNS1_14partition_implILS5_6ELb0ES3_mN6thrust23THRUST_200600_302600_NS6detail15normal_iteratorINSA_10device_ptrIjEEEEPS6_SG_NS0_5tupleIJSF_S6_EEENSH_IJSG_SG_EEES6_PlJNSB_9not_fun_tINSB_14equal_to_valueIjEEEEEEE10hipError_tPvRmT3_T4_T5_T6_T7_T9_mT8_P12ihipStream_tbDpT10_ENKUlT_T0_E_clISt17integral_constantIbLb0EES18_EEDaS13_S14_EUlS13_E_NS1_11comp_targetILNS1_3genE8ELNS1_11target_archE1030ELNS1_3gpuE2ELNS1_3repE0EEENS1_30default_config_static_selectorELNS0_4arch9wavefront6targetE0EEEvT1_.has_dyn_sized_stack, 0
	.set _ZN7rocprim17ROCPRIM_400000_NS6detail17trampoline_kernelINS0_14default_configENS1_25partition_config_selectorILNS1_17partition_subalgoE6EjNS0_10empty_typeEbEEZZNS1_14partition_implILS5_6ELb0ES3_mN6thrust23THRUST_200600_302600_NS6detail15normal_iteratorINSA_10device_ptrIjEEEEPS6_SG_NS0_5tupleIJSF_S6_EEENSH_IJSG_SG_EEES6_PlJNSB_9not_fun_tINSB_14equal_to_valueIjEEEEEEE10hipError_tPvRmT3_T4_T5_T6_T7_T9_mT8_P12ihipStream_tbDpT10_ENKUlT_T0_E_clISt17integral_constantIbLb0EES18_EEDaS13_S14_EUlS13_E_NS1_11comp_targetILNS1_3genE8ELNS1_11target_archE1030ELNS1_3gpuE2ELNS1_3repE0EEENS1_30default_config_static_selectorELNS0_4arch9wavefront6targetE0EEEvT1_.has_recursion, 0
	.set _ZN7rocprim17ROCPRIM_400000_NS6detail17trampoline_kernelINS0_14default_configENS1_25partition_config_selectorILNS1_17partition_subalgoE6EjNS0_10empty_typeEbEEZZNS1_14partition_implILS5_6ELb0ES3_mN6thrust23THRUST_200600_302600_NS6detail15normal_iteratorINSA_10device_ptrIjEEEEPS6_SG_NS0_5tupleIJSF_S6_EEENSH_IJSG_SG_EEES6_PlJNSB_9not_fun_tINSB_14equal_to_valueIjEEEEEEE10hipError_tPvRmT3_T4_T5_T6_T7_T9_mT8_P12ihipStream_tbDpT10_ENKUlT_T0_E_clISt17integral_constantIbLb0EES18_EEDaS13_S14_EUlS13_E_NS1_11comp_targetILNS1_3genE8ELNS1_11target_archE1030ELNS1_3gpuE2ELNS1_3repE0EEENS1_30default_config_static_selectorELNS0_4arch9wavefront6targetE0EEEvT1_.has_indirect_call, 0
	.section	.AMDGPU.csdata,"",@progbits
; Kernel info:
; codeLenInByte = 0
; TotalNumSgprs: 0
; NumVgprs: 0
; ScratchSize: 0
; MemoryBound: 0
; FloatMode: 240
; IeeeMode: 1
; LDSByteSize: 0 bytes/workgroup (compile time only)
; SGPRBlocks: 0
; VGPRBlocks: 0
; NumSGPRsForWavesPerEU: 1
; NumVGPRsForWavesPerEU: 1
; Occupancy: 16
; WaveLimiterHint : 0
; COMPUTE_PGM_RSRC2:SCRATCH_EN: 0
; COMPUTE_PGM_RSRC2:USER_SGPR: 2
; COMPUTE_PGM_RSRC2:TRAP_HANDLER: 0
; COMPUTE_PGM_RSRC2:TGID_X_EN: 1
; COMPUTE_PGM_RSRC2:TGID_Y_EN: 0
; COMPUTE_PGM_RSRC2:TGID_Z_EN: 0
; COMPUTE_PGM_RSRC2:TIDIG_COMP_CNT: 0
	.section	.text._ZN7rocprim17ROCPRIM_400000_NS6detail17trampoline_kernelINS0_14default_configENS1_25partition_config_selectorILNS1_17partition_subalgoE6EjNS0_10empty_typeEbEEZZNS1_14partition_implILS5_6ELb0ES3_mN6thrust23THRUST_200600_302600_NS6detail15normal_iteratorINSA_10device_ptrIjEEEEPS6_SG_NS0_5tupleIJSF_S6_EEENSH_IJSG_SG_EEES6_PlJNSB_9not_fun_tINSB_14equal_to_valueIjEEEEEEE10hipError_tPvRmT3_T4_T5_T6_T7_T9_mT8_P12ihipStream_tbDpT10_ENKUlT_T0_E_clISt17integral_constantIbLb1EES18_EEDaS13_S14_EUlS13_E_NS1_11comp_targetILNS1_3genE0ELNS1_11target_archE4294967295ELNS1_3gpuE0ELNS1_3repE0EEENS1_30default_config_static_selectorELNS0_4arch9wavefront6targetE0EEEvT1_,"axG",@progbits,_ZN7rocprim17ROCPRIM_400000_NS6detail17trampoline_kernelINS0_14default_configENS1_25partition_config_selectorILNS1_17partition_subalgoE6EjNS0_10empty_typeEbEEZZNS1_14partition_implILS5_6ELb0ES3_mN6thrust23THRUST_200600_302600_NS6detail15normal_iteratorINSA_10device_ptrIjEEEEPS6_SG_NS0_5tupleIJSF_S6_EEENSH_IJSG_SG_EEES6_PlJNSB_9not_fun_tINSB_14equal_to_valueIjEEEEEEE10hipError_tPvRmT3_T4_T5_T6_T7_T9_mT8_P12ihipStream_tbDpT10_ENKUlT_T0_E_clISt17integral_constantIbLb1EES18_EEDaS13_S14_EUlS13_E_NS1_11comp_targetILNS1_3genE0ELNS1_11target_archE4294967295ELNS1_3gpuE0ELNS1_3repE0EEENS1_30default_config_static_selectorELNS0_4arch9wavefront6targetE0EEEvT1_,comdat
	.protected	_ZN7rocprim17ROCPRIM_400000_NS6detail17trampoline_kernelINS0_14default_configENS1_25partition_config_selectorILNS1_17partition_subalgoE6EjNS0_10empty_typeEbEEZZNS1_14partition_implILS5_6ELb0ES3_mN6thrust23THRUST_200600_302600_NS6detail15normal_iteratorINSA_10device_ptrIjEEEEPS6_SG_NS0_5tupleIJSF_S6_EEENSH_IJSG_SG_EEES6_PlJNSB_9not_fun_tINSB_14equal_to_valueIjEEEEEEE10hipError_tPvRmT3_T4_T5_T6_T7_T9_mT8_P12ihipStream_tbDpT10_ENKUlT_T0_E_clISt17integral_constantIbLb1EES18_EEDaS13_S14_EUlS13_E_NS1_11comp_targetILNS1_3genE0ELNS1_11target_archE4294967295ELNS1_3gpuE0ELNS1_3repE0EEENS1_30default_config_static_selectorELNS0_4arch9wavefront6targetE0EEEvT1_ ; -- Begin function _ZN7rocprim17ROCPRIM_400000_NS6detail17trampoline_kernelINS0_14default_configENS1_25partition_config_selectorILNS1_17partition_subalgoE6EjNS0_10empty_typeEbEEZZNS1_14partition_implILS5_6ELb0ES3_mN6thrust23THRUST_200600_302600_NS6detail15normal_iteratorINSA_10device_ptrIjEEEEPS6_SG_NS0_5tupleIJSF_S6_EEENSH_IJSG_SG_EEES6_PlJNSB_9not_fun_tINSB_14equal_to_valueIjEEEEEEE10hipError_tPvRmT3_T4_T5_T6_T7_T9_mT8_P12ihipStream_tbDpT10_ENKUlT_T0_E_clISt17integral_constantIbLb1EES18_EEDaS13_S14_EUlS13_E_NS1_11comp_targetILNS1_3genE0ELNS1_11target_archE4294967295ELNS1_3gpuE0ELNS1_3repE0EEENS1_30default_config_static_selectorELNS0_4arch9wavefront6targetE0EEEvT1_
	.globl	_ZN7rocprim17ROCPRIM_400000_NS6detail17trampoline_kernelINS0_14default_configENS1_25partition_config_selectorILNS1_17partition_subalgoE6EjNS0_10empty_typeEbEEZZNS1_14partition_implILS5_6ELb0ES3_mN6thrust23THRUST_200600_302600_NS6detail15normal_iteratorINSA_10device_ptrIjEEEEPS6_SG_NS0_5tupleIJSF_S6_EEENSH_IJSG_SG_EEES6_PlJNSB_9not_fun_tINSB_14equal_to_valueIjEEEEEEE10hipError_tPvRmT3_T4_T5_T6_T7_T9_mT8_P12ihipStream_tbDpT10_ENKUlT_T0_E_clISt17integral_constantIbLb1EES18_EEDaS13_S14_EUlS13_E_NS1_11comp_targetILNS1_3genE0ELNS1_11target_archE4294967295ELNS1_3gpuE0ELNS1_3repE0EEENS1_30default_config_static_selectorELNS0_4arch9wavefront6targetE0EEEvT1_
	.p2align	8
	.type	_ZN7rocprim17ROCPRIM_400000_NS6detail17trampoline_kernelINS0_14default_configENS1_25partition_config_selectorILNS1_17partition_subalgoE6EjNS0_10empty_typeEbEEZZNS1_14partition_implILS5_6ELb0ES3_mN6thrust23THRUST_200600_302600_NS6detail15normal_iteratorINSA_10device_ptrIjEEEEPS6_SG_NS0_5tupleIJSF_S6_EEENSH_IJSG_SG_EEES6_PlJNSB_9not_fun_tINSB_14equal_to_valueIjEEEEEEE10hipError_tPvRmT3_T4_T5_T6_T7_T9_mT8_P12ihipStream_tbDpT10_ENKUlT_T0_E_clISt17integral_constantIbLb1EES18_EEDaS13_S14_EUlS13_E_NS1_11comp_targetILNS1_3genE0ELNS1_11target_archE4294967295ELNS1_3gpuE0ELNS1_3repE0EEENS1_30default_config_static_selectorELNS0_4arch9wavefront6targetE0EEEvT1_,@function
_ZN7rocprim17ROCPRIM_400000_NS6detail17trampoline_kernelINS0_14default_configENS1_25partition_config_selectorILNS1_17partition_subalgoE6EjNS0_10empty_typeEbEEZZNS1_14partition_implILS5_6ELb0ES3_mN6thrust23THRUST_200600_302600_NS6detail15normal_iteratorINSA_10device_ptrIjEEEEPS6_SG_NS0_5tupleIJSF_S6_EEENSH_IJSG_SG_EEES6_PlJNSB_9not_fun_tINSB_14equal_to_valueIjEEEEEEE10hipError_tPvRmT3_T4_T5_T6_T7_T9_mT8_P12ihipStream_tbDpT10_ENKUlT_T0_E_clISt17integral_constantIbLb1EES18_EEDaS13_S14_EUlS13_E_NS1_11comp_targetILNS1_3genE0ELNS1_11target_archE4294967295ELNS1_3gpuE0ELNS1_3repE0EEENS1_30default_config_static_selectorELNS0_4arch9wavefront6targetE0EEEvT1_: ; @_ZN7rocprim17ROCPRIM_400000_NS6detail17trampoline_kernelINS0_14default_configENS1_25partition_config_selectorILNS1_17partition_subalgoE6EjNS0_10empty_typeEbEEZZNS1_14partition_implILS5_6ELb0ES3_mN6thrust23THRUST_200600_302600_NS6detail15normal_iteratorINSA_10device_ptrIjEEEEPS6_SG_NS0_5tupleIJSF_S6_EEENSH_IJSG_SG_EEES6_PlJNSB_9not_fun_tINSB_14equal_to_valueIjEEEEEEE10hipError_tPvRmT3_T4_T5_T6_T7_T9_mT8_P12ihipStream_tbDpT10_ENKUlT_T0_E_clISt17integral_constantIbLb1EES18_EEDaS13_S14_EUlS13_E_NS1_11comp_targetILNS1_3genE0ELNS1_11target_archE4294967295ELNS1_3gpuE0ELNS1_3repE0EEENS1_30default_config_static_selectorELNS0_4arch9wavefront6targetE0EEEvT1_
; %bb.0:
	.section	.rodata,"a",@progbits
	.p2align	6, 0x0
	.amdhsa_kernel _ZN7rocprim17ROCPRIM_400000_NS6detail17trampoline_kernelINS0_14default_configENS1_25partition_config_selectorILNS1_17partition_subalgoE6EjNS0_10empty_typeEbEEZZNS1_14partition_implILS5_6ELb0ES3_mN6thrust23THRUST_200600_302600_NS6detail15normal_iteratorINSA_10device_ptrIjEEEEPS6_SG_NS0_5tupleIJSF_S6_EEENSH_IJSG_SG_EEES6_PlJNSB_9not_fun_tINSB_14equal_to_valueIjEEEEEEE10hipError_tPvRmT3_T4_T5_T6_T7_T9_mT8_P12ihipStream_tbDpT10_ENKUlT_T0_E_clISt17integral_constantIbLb1EES18_EEDaS13_S14_EUlS13_E_NS1_11comp_targetILNS1_3genE0ELNS1_11target_archE4294967295ELNS1_3gpuE0ELNS1_3repE0EEENS1_30default_config_static_selectorELNS0_4arch9wavefront6targetE0EEEvT1_
		.amdhsa_group_segment_fixed_size 0
		.amdhsa_private_segment_fixed_size 0
		.amdhsa_kernarg_size 128
		.amdhsa_user_sgpr_count 2
		.amdhsa_user_sgpr_dispatch_ptr 0
		.amdhsa_user_sgpr_queue_ptr 0
		.amdhsa_user_sgpr_kernarg_segment_ptr 1
		.amdhsa_user_sgpr_dispatch_id 0
		.amdhsa_user_sgpr_private_segment_size 0
		.amdhsa_wavefront_size32 1
		.amdhsa_uses_dynamic_stack 0
		.amdhsa_enable_private_segment 0
		.amdhsa_system_sgpr_workgroup_id_x 1
		.amdhsa_system_sgpr_workgroup_id_y 0
		.amdhsa_system_sgpr_workgroup_id_z 0
		.amdhsa_system_sgpr_workgroup_info 0
		.amdhsa_system_vgpr_workitem_id 0
		.amdhsa_next_free_vgpr 1
		.amdhsa_next_free_sgpr 1
		.amdhsa_reserve_vcc 0
		.amdhsa_float_round_mode_32 0
		.amdhsa_float_round_mode_16_64 0
		.amdhsa_float_denorm_mode_32 3
		.amdhsa_float_denorm_mode_16_64 3
		.amdhsa_fp16_overflow 0
		.amdhsa_workgroup_processor_mode 1
		.amdhsa_memory_ordered 1
		.amdhsa_forward_progress 1
		.amdhsa_inst_pref_size 0
		.amdhsa_round_robin_scheduling 0
		.amdhsa_exception_fp_ieee_invalid_op 0
		.amdhsa_exception_fp_denorm_src 0
		.amdhsa_exception_fp_ieee_div_zero 0
		.amdhsa_exception_fp_ieee_overflow 0
		.amdhsa_exception_fp_ieee_underflow 0
		.amdhsa_exception_fp_ieee_inexact 0
		.amdhsa_exception_int_div_zero 0
	.end_amdhsa_kernel
	.section	.text._ZN7rocprim17ROCPRIM_400000_NS6detail17trampoline_kernelINS0_14default_configENS1_25partition_config_selectorILNS1_17partition_subalgoE6EjNS0_10empty_typeEbEEZZNS1_14partition_implILS5_6ELb0ES3_mN6thrust23THRUST_200600_302600_NS6detail15normal_iteratorINSA_10device_ptrIjEEEEPS6_SG_NS0_5tupleIJSF_S6_EEENSH_IJSG_SG_EEES6_PlJNSB_9not_fun_tINSB_14equal_to_valueIjEEEEEEE10hipError_tPvRmT3_T4_T5_T6_T7_T9_mT8_P12ihipStream_tbDpT10_ENKUlT_T0_E_clISt17integral_constantIbLb1EES18_EEDaS13_S14_EUlS13_E_NS1_11comp_targetILNS1_3genE0ELNS1_11target_archE4294967295ELNS1_3gpuE0ELNS1_3repE0EEENS1_30default_config_static_selectorELNS0_4arch9wavefront6targetE0EEEvT1_,"axG",@progbits,_ZN7rocprim17ROCPRIM_400000_NS6detail17trampoline_kernelINS0_14default_configENS1_25partition_config_selectorILNS1_17partition_subalgoE6EjNS0_10empty_typeEbEEZZNS1_14partition_implILS5_6ELb0ES3_mN6thrust23THRUST_200600_302600_NS6detail15normal_iteratorINSA_10device_ptrIjEEEEPS6_SG_NS0_5tupleIJSF_S6_EEENSH_IJSG_SG_EEES6_PlJNSB_9not_fun_tINSB_14equal_to_valueIjEEEEEEE10hipError_tPvRmT3_T4_T5_T6_T7_T9_mT8_P12ihipStream_tbDpT10_ENKUlT_T0_E_clISt17integral_constantIbLb1EES18_EEDaS13_S14_EUlS13_E_NS1_11comp_targetILNS1_3genE0ELNS1_11target_archE4294967295ELNS1_3gpuE0ELNS1_3repE0EEENS1_30default_config_static_selectorELNS0_4arch9wavefront6targetE0EEEvT1_,comdat
.Lfunc_end381:
	.size	_ZN7rocprim17ROCPRIM_400000_NS6detail17trampoline_kernelINS0_14default_configENS1_25partition_config_selectorILNS1_17partition_subalgoE6EjNS0_10empty_typeEbEEZZNS1_14partition_implILS5_6ELb0ES3_mN6thrust23THRUST_200600_302600_NS6detail15normal_iteratorINSA_10device_ptrIjEEEEPS6_SG_NS0_5tupleIJSF_S6_EEENSH_IJSG_SG_EEES6_PlJNSB_9not_fun_tINSB_14equal_to_valueIjEEEEEEE10hipError_tPvRmT3_T4_T5_T6_T7_T9_mT8_P12ihipStream_tbDpT10_ENKUlT_T0_E_clISt17integral_constantIbLb1EES18_EEDaS13_S14_EUlS13_E_NS1_11comp_targetILNS1_3genE0ELNS1_11target_archE4294967295ELNS1_3gpuE0ELNS1_3repE0EEENS1_30default_config_static_selectorELNS0_4arch9wavefront6targetE0EEEvT1_, .Lfunc_end381-_ZN7rocprim17ROCPRIM_400000_NS6detail17trampoline_kernelINS0_14default_configENS1_25partition_config_selectorILNS1_17partition_subalgoE6EjNS0_10empty_typeEbEEZZNS1_14partition_implILS5_6ELb0ES3_mN6thrust23THRUST_200600_302600_NS6detail15normal_iteratorINSA_10device_ptrIjEEEEPS6_SG_NS0_5tupleIJSF_S6_EEENSH_IJSG_SG_EEES6_PlJNSB_9not_fun_tINSB_14equal_to_valueIjEEEEEEE10hipError_tPvRmT3_T4_T5_T6_T7_T9_mT8_P12ihipStream_tbDpT10_ENKUlT_T0_E_clISt17integral_constantIbLb1EES18_EEDaS13_S14_EUlS13_E_NS1_11comp_targetILNS1_3genE0ELNS1_11target_archE4294967295ELNS1_3gpuE0ELNS1_3repE0EEENS1_30default_config_static_selectorELNS0_4arch9wavefront6targetE0EEEvT1_
                                        ; -- End function
	.set _ZN7rocprim17ROCPRIM_400000_NS6detail17trampoline_kernelINS0_14default_configENS1_25partition_config_selectorILNS1_17partition_subalgoE6EjNS0_10empty_typeEbEEZZNS1_14partition_implILS5_6ELb0ES3_mN6thrust23THRUST_200600_302600_NS6detail15normal_iteratorINSA_10device_ptrIjEEEEPS6_SG_NS0_5tupleIJSF_S6_EEENSH_IJSG_SG_EEES6_PlJNSB_9not_fun_tINSB_14equal_to_valueIjEEEEEEE10hipError_tPvRmT3_T4_T5_T6_T7_T9_mT8_P12ihipStream_tbDpT10_ENKUlT_T0_E_clISt17integral_constantIbLb1EES18_EEDaS13_S14_EUlS13_E_NS1_11comp_targetILNS1_3genE0ELNS1_11target_archE4294967295ELNS1_3gpuE0ELNS1_3repE0EEENS1_30default_config_static_selectorELNS0_4arch9wavefront6targetE0EEEvT1_.num_vgpr, 0
	.set _ZN7rocprim17ROCPRIM_400000_NS6detail17trampoline_kernelINS0_14default_configENS1_25partition_config_selectorILNS1_17partition_subalgoE6EjNS0_10empty_typeEbEEZZNS1_14partition_implILS5_6ELb0ES3_mN6thrust23THRUST_200600_302600_NS6detail15normal_iteratorINSA_10device_ptrIjEEEEPS6_SG_NS0_5tupleIJSF_S6_EEENSH_IJSG_SG_EEES6_PlJNSB_9not_fun_tINSB_14equal_to_valueIjEEEEEEE10hipError_tPvRmT3_T4_T5_T6_T7_T9_mT8_P12ihipStream_tbDpT10_ENKUlT_T0_E_clISt17integral_constantIbLb1EES18_EEDaS13_S14_EUlS13_E_NS1_11comp_targetILNS1_3genE0ELNS1_11target_archE4294967295ELNS1_3gpuE0ELNS1_3repE0EEENS1_30default_config_static_selectorELNS0_4arch9wavefront6targetE0EEEvT1_.num_agpr, 0
	.set _ZN7rocprim17ROCPRIM_400000_NS6detail17trampoline_kernelINS0_14default_configENS1_25partition_config_selectorILNS1_17partition_subalgoE6EjNS0_10empty_typeEbEEZZNS1_14partition_implILS5_6ELb0ES3_mN6thrust23THRUST_200600_302600_NS6detail15normal_iteratorINSA_10device_ptrIjEEEEPS6_SG_NS0_5tupleIJSF_S6_EEENSH_IJSG_SG_EEES6_PlJNSB_9not_fun_tINSB_14equal_to_valueIjEEEEEEE10hipError_tPvRmT3_T4_T5_T6_T7_T9_mT8_P12ihipStream_tbDpT10_ENKUlT_T0_E_clISt17integral_constantIbLb1EES18_EEDaS13_S14_EUlS13_E_NS1_11comp_targetILNS1_3genE0ELNS1_11target_archE4294967295ELNS1_3gpuE0ELNS1_3repE0EEENS1_30default_config_static_selectorELNS0_4arch9wavefront6targetE0EEEvT1_.numbered_sgpr, 0
	.set _ZN7rocprim17ROCPRIM_400000_NS6detail17trampoline_kernelINS0_14default_configENS1_25partition_config_selectorILNS1_17partition_subalgoE6EjNS0_10empty_typeEbEEZZNS1_14partition_implILS5_6ELb0ES3_mN6thrust23THRUST_200600_302600_NS6detail15normal_iteratorINSA_10device_ptrIjEEEEPS6_SG_NS0_5tupleIJSF_S6_EEENSH_IJSG_SG_EEES6_PlJNSB_9not_fun_tINSB_14equal_to_valueIjEEEEEEE10hipError_tPvRmT3_T4_T5_T6_T7_T9_mT8_P12ihipStream_tbDpT10_ENKUlT_T0_E_clISt17integral_constantIbLb1EES18_EEDaS13_S14_EUlS13_E_NS1_11comp_targetILNS1_3genE0ELNS1_11target_archE4294967295ELNS1_3gpuE0ELNS1_3repE0EEENS1_30default_config_static_selectorELNS0_4arch9wavefront6targetE0EEEvT1_.num_named_barrier, 0
	.set _ZN7rocprim17ROCPRIM_400000_NS6detail17trampoline_kernelINS0_14default_configENS1_25partition_config_selectorILNS1_17partition_subalgoE6EjNS0_10empty_typeEbEEZZNS1_14partition_implILS5_6ELb0ES3_mN6thrust23THRUST_200600_302600_NS6detail15normal_iteratorINSA_10device_ptrIjEEEEPS6_SG_NS0_5tupleIJSF_S6_EEENSH_IJSG_SG_EEES6_PlJNSB_9not_fun_tINSB_14equal_to_valueIjEEEEEEE10hipError_tPvRmT3_T4_T5_T6_T7_T9_mT8_P12ihipStream_tbDpT10_ENKUlT_T0_E_clISt17integral_constantIbLb1EES18_EEDaS13_S14_EUlS13_E_NS1_11comp_targetILNS1_3genE0ELNS1_11target_archE4294967295ELNS1_3gpuE0ELNS1_3repE0EEENS1_30default_config_static_selectorELNS0_4arch9wavefront6targetE0EEEvT1_.private_seg_size, 0
	.set _ZN7rocprim17ROCPRIM_400000_NS6detail17trampoline_kernelINS0_14default_configENS1_25partition_config_selectorILNS1_17partition_subalgoE6EjNS0_10empty_typeEbEEZZNS1_14partition_implILS5_6ELb0ES3_mN6thrust23THRUST_200600_302600_NS6detail15normal_iteratorINSA_10device_ptrIjEEEEPS6_SG_NS0_5tupleIJSF_S6_EEENSH_IJSG_SG_EEES6_PlJNSB_9not_fun_tINSB_14equal_to_valueIjEEEEEEE10hipError_tPvRmT3_T4_T5_T6_T7_T9_mT8_P12ihipStream_tbDpT10_ENKUlT_T0_E_clISt17integral_constantIbLb1EES18_EEDaS13_S14_EUlS13_E_NS1_11comp_targetILNS1_3genE0ELNS1_11target_archE4294967295ELNS1_3gpuE0ELNS1_3repE0EEENS1_30default_config_static_selectorELNS0_4arch9wavefront6targetE0EEEvT1_.uses_vcc, 0
	.set _ZN7rocprim17ROCPRIM_400000_NS6detail17trampoline_kernelINS0_14default_configENS1_25partition_config_selectorILNS1_17partition_subalgoE6EjNS0_10empty_typeEbEEZZNS1_14partition_implILS5_6ELb0ES3_mN6thrust23THRUST_200600_302600_NS6detail15normal_iteratorINSA_10device_ptrIjEEEEPS6_SG_NS0_5tupleIJSF_S6_EEENSH_IJSG_SG_EEES6_PlJNSB_9not_fun_tINSB_14equal_to_valueIjEEEEEEE10hipError_tPvRmT3_T4_T5_T6_T7_T9_mT8_P12ihipStream_tbDpT10_ENKUlT_T0_E_clISt17integral_constantIbLb1EES18_EEDaS13_S14_EUlS13_E_NS1_11comp_targetILNS1_3genE0ELNS1_11target_archE4294967295ELNS1_3gpuE0ELNS1_3repE0EEENS1_30default_config_static_selectorELNS0_4arch9wavefront6targetE0EEEvT1_.uses_flat_scratch, 0
	.set _ZN7rocprim17ROCPRIM_400000_NS6detail17trampoline_kernelINS0_14default_configENS1_25partition_config_selectorILNS1_17partition_subalgoE6EjNS0_10empty_typeEbEEZZNS1_14partition_implILS5_6ELb0ES3_mN6thrust23THRUST_200600_302600_NS6detail15normal_iteratorINSA_10device_ptrIjEEEEPS6_SG_NS0_5tupleIJSF_S6_EEENSH_IJSG_SG_EEES6_PlJNSB_9not_fun_tINSB_14equal_to_valueIjEEEEEEE10hipError_tPvRmT3_T4_T5_T6_T7_T9_mT8_P12ihipStream_tbDpT10_ENKUlT_T0_E_clISt17integral_constantIbLb1EES18_EEDaS13_S14_EUlS13_E_NS1_11comp_targetILNS1_3genE0ELNS1_11target_archE4294967295ELNS1_3gpuE0ELNS1_3repE0EEENS1_30default_config_static_selectorELNS0_4arch9wavefront6targetE0EEEvT1_.has_dyn_sized_stack, 0
	.set _ZN7rocprim17ROCPRIM_400000_NS6detail17trampoline_kernelINS0_14default_configENS1_25partition_config_selectorILNS1_17partition_subalgoE6EjNS0_10empty_typeEbEEZZNS1_14partition_implILS5_6ELb0ES3_mN6thrust23THRUST_200600_302600_NS6detail15normal_iteratorINSA_10device_ptrIjEEEEPS6_SG_NS0_5tupleIJSF_S6_EEENSH_IJSG_SG_EEES6_PlJNSB_9not_fun_tINSB_14equal_to_valueIjEEEEEEE10hipError_tPvRmT3_T4_T5_T6_T7_T9_mT8_P12ihipStream_tbDpT10_ENKUlT_T0_E_clISt17integral_constantIbLb1EES18_EEDaS13_S14_EUlS13_E_NS1_11comp_targetILNS1_3genE0ELNS1_11target_archE4294967295ELNS1_3gpuE0ELNS1_3repE0EEENS1_30default_config_static_selectorELNS0_4arch9wavefront6targetE0EEEvT1_.has_recursion, 0
	.set _ZN7rocprim17ROCPRIM_400000_NS6detail17trampoline_kernelINS0_14default_configENS1_25partition_config_selectorILNS1_17partition_subalgoE6EjNS0_10empty_typeEbEEZZNS1_14partition_implILS5_6ELb0ES3_mN6thrust23THRUST_200600_302600_NS6detail15normal_iteratorINSA_10device_ptrIjEEEEPS6_SG_NS0_5tupleIJSF_S6_EEENSH_IJSG_SG_EEES6_PlJNSB_9not_fun_tINSB_14equal_to_valueIjEEEEEEE10hipError_tPvRmT3_T4_T5_T6_T7_T9_mT8_P12ihipStream_tbDpT10_ENKUlT_T0_E_clISt17integral_constantIbLb1EES18_EEDaS13_S14_EUlS13_E_NS1_11comp_targetILNS1_3genE0ELNS1_11target_archE4294967295ELNS1_3gpuE0ELNS1_3repE0EEENS1_30default_config_static_selectorELNS0_4arch9wavefront6targetE0EEEvT1_.has_indirect_call, 0
	.section	.AMDGPU.csdata,"",@progbits
; Kernel info:
; codeLenInByte = 0
; TotalNumSgprs: 0
; NumVgprs: 0
; ScratchSize: 0
; MemoryBound: 0
; FloatMode: 240
; IeeeMode: 1
; LDSByteSize: 0 bytes/workgroup (compile time only)
; SGPRBlocks: 0
; VGPRBlocks: 0
; NumSGPRsForWavesPerEU: 1
; NumVGPRsForWavesPerEU: 1
; Occupancy: 16
; WaveLimiterHint : 0
; COMPUTE_PGM_RSRC2:SCRATCH_EN: 0
; COMPUTE_PGM_RSRC2:USER_SGPR: 2
; COMPUTE_PGM_RSRC2:TRAP_HANDLER: 0
; COMPUTE_PGM_RSRC2:TGID_X_EN: 1
; COMPUTE_PGM_RSRC2:TGID_Y_EN: 0
; COMPUTE_PGM_RSRC2:TGID_Z_EN: 0
; COMPUTE_PGM_RSRC2:TIDIG_COMP_CNT: 0
	.section	.text._ZN7rocprim17ROCPRIM_400000_NS6detail17trampoline_kernelINS0_14default_configENS1_25partition_config_selectorILNS1_17partition_subalgoE6EjNS0_10empty_typeEbEEZZNS1_14partition_implILS5_6ELb0ES3_mN6thrust23THRUST_200600_302600_NS6detail15normal_iteratorINSA_10device_ptrIjEEEEPS6_SG_NS0_5tupleIJSF_S6_EEENSH_IJSG_SG_EEES6_PlJNSB_9not_fun_tINSB_14equal_to_valueIjEEEEEEE10hipError_tPvRmT3_T4_T5_T6_T7_T9_mT8_P12ihipStream_tbDpT10_ENKUlT_T0_E_clISt17integral_constantIbLb1EES18_EEDaS13_S14_EUlS13_E_NS1_11comp_targetILNS1_3genE5ELNS1_11target_archE942ELNS1_3gpuE9ELNS1_3repE0EEENS1_30default_config_static_selectorELNS0_4arch9wavefront6targetE0EEEvT1_,"axG",@progbits,_ZN7rocprim17ROCPRIM_400000_NS6detail17trampoline_kernelINS0_14default_configENS1_25partition_config_selectorILNS1_17partition_subalgoE6EjNS0_10empty_typeEbEEZZNS1_14partition_implILS5_6ELb0ES3_mN6thrust23THRUST_200600_302600_NS6detail15normal_iteratorINSA_10device_ptrIjEEEEPS6_SG_NS0_5tupleIJSF_S6_EEENSH_IJSG_SG_EEES6_PlJNSB_9not_fun_tINSB_14equal_to_valueIjEEEEEEE10hipError_tPvRmT3_T4_T5_T6_T7_T9_mT8_P12ihipStream_tbDpT10_ENKUlT_T0_E_clISt17integral_constantIbLb1EES18_EEDaS13_S14_EUlS13_E_NS1_11comp_targetILNS1_3genE5ELNS1_11target_archE942ELNS1_3gpuE9ELNS1_3repE0EEENS1_30default_config_static_selectorELNS0_4arch9wavefront6targetE0EEEvT1_,comdat
	.protected	_ZN7rocprim17ROCPRIM_400000_NS6detail17trampoline_kernelINS0_14default_configENS1_25partition_config_selectorILNS1_17partition_subalgoE6EjNS0_10empty_typeEbEEZZNS1_14partition_implILS5_6ELb0ES3_mN6thrust23THRUST_200600_302600_NS6detail15normal_iteratorINSA_10device_ptrIjEEEEPS6_SG_NS0_5tupleIJSF_S6_EEENSH_IJSG_SG_EEES6_PlJNSB_9not_fun_tINSB_14equal_to_valueIjEEEEEEE10hipError_tPvRmT3_T4_T5_T6_T7_T9_mT8_P12ihipStream_tbDpT10_ENKUlT_T0_E_clISt17integral_constantIbLb1EES18_EEDaS13_S14_EUlS13_E_NS1_11comp_targetILNS1_3genE5ELNS1_11target_archE942ELNS1_3gpuE9ELNS1_3repE0EEENS1_30default_config_static_selectorELNS0_4arch9wavefront6targetE0EEEvT1_ ; -- Begin function _ZN7rocprim17ROCPRIM_400000_NS6detail17trampoline_kernelINS0_14default_configENS1_25partition_config_selectorILNS1_17partition_subalgoE6EjNS0_10empty_typeEbEEZZNS1_14partition_implILS5_6ELb0ES3_mN6thrust23THRUST_200600_302600_NS6detail15normal_iteratorINSA_10device_ptrIjEEEEPS6_SG_NS0_5tupleIJSF_S6_EEENSH_IJSG_SG_EEES6_PlJNSB_9not_fun_tINSB_14equal_to_valueIjEEEEEEE10hipError_tPvRmT3_T4_T5_T6_T7_T9_mT8_P12ihipStream_tbDpT10_ENKUlT_T0_E_clISt17integral_constantIbLb1EES18_EEDaS13_S14_EUlS13_E_NS1_11comp_targetILNS1_3genE5ELNS1_11target_archE942ELNS1_3gpuE9ELNS1_3repE0EEENS1_30default_config_static_selectorELNS0_4arch9wavefront6targetE0EEEvT1_
	.globl	_ZN7rocprim17ROCPRIM_400000_NS6detail17trampoline_kernelINS0_14default_configENS1_25partition_config_selectorILNS1_17partition_subalgoE6EjNS0_10empty_typeEbEEZZNS1_14partition_implILS5_6ELb0ES3_mN6thrust23THRUST_200600_302600_NS6detail15normal_iteratorINSA_10device_ptrIjEEEEPS6_SG_NS0_5tupleIJSF_S6_EEENSH_IJSG_SG_EEES6_PlJNSB_9not_fun_tINSB_14equal_to_valueIjEEEEEEE10hipError_tPvRmT3_T4_T5_T6_T7_T9_mT8_P12ihipStream_tbDpT10_ENKUlT_T0_E_clISt17integral_constantIbLb1EES18_EEDaS13_S14_EUlS13_E_NS1_11comp_targetILNS1_3genE5ELNS1_11target_archE942ELNS1_3gpuE9ELNS1_3repE0EEENS1_30default_config_static_selectorELNS0_4arch9wavefront6targetE0EEEvT1_
	.p2align	8
	.type	_ZN7rocprim17ROCPRIM_400000_NS6detail17trampoline_kernelINS0_14default_configENS1_25partition_config_selectorILNS1_17partition_subalgoE6EjNS0_10empty_typeEbEEZZNS1_14partition_implILS5_6ELb0ES3_mN6thrust23THRUST_200600_302600_NS6detail15normal_iteratorINSA_10device_ptrIjEEEEPS6_SG_NS0_5tupleIJSF_S6_EEENSH_IJSG_SG_EEES6_PlJNSB_9not_fun_tINSB_14equal_to_valueIjEEEEEEE10hipError_tPvRmT3_T4_T5_T6_T7_T9_mT8_P12ihipStream_tbDpT10_ENKUlT_T0_E_clISt17integral_constantIbLb1EES18_EEDaS13_S14_EUlS13_E_NS1_11comp_targetILNS1_3genE5ELNS1_11target_archE942ELNS1_3gpuE9ELNS1_3repE0EEENS1_30default_config_static_selectorELNS0_4arch9wavefront6targetE0EEEvT1_,@function
_ZN7rocprim17ROCPRIM_400000_NS6detail17trampoline_kernelINS0_14default_configENS1_25partition_config_selectorILNS1_17partition_subalgoE6EjNS0_10empty_typeEbEEZZNS1_14partition_implILS5_6ELb0ES3_mN6thrust23THRUST_200600_302600_NS6detail15normal_iteratorINSA_10device_ptrIjEEEEPS6_SG_NS0_5tupleIJSF_S6_EEENSH_IJSG_SG_EEES6_PlJNSB_9not_fun_tINSB_14equal_to_valueIjEEEEEEE10hipError_tPvRmT3_T4_T5_T6_T7_T9_mT8_P12ihipStream_tbDpT10_ENKUlT_T0_E_clISt17integral_constantIbLb1EES18_EEDaS13_S14_EUlS13_E_NS1_11comp_targetILNS1_3genE5ELNS1_11target_archE942ELNS1_3gpuE9ELNS1_3repE0EEENS1_30default_config_static_selectorELNS0_4arch9wavefront6targetE0EEEvT1_: ; @_ZN7rocprim17ROCPRIM_400000_NS6detail17trampoline_kernelINS0_14default_configENS1_25partition_config_selectorILNS1_17partition_subalgoE6EjNS0_10empty_typeEbEEZZNS1_14partition_implILS5_6ELb0ES3_mN6thrust23THRUST_200600_302600_NS6detail15normal_iteratorINSA_10device_ptrIjEEEEPS6_SG_NS0_5tupleIJSF_S6_EEENSH_IJSG_SG_EEES6_PlJNSB_9not_fun_tINSB_14equal_to_valueIjEEEEEEE10hipError_tPvRmT3_T4_T5_T6_T7_T9_mT8_P12ihipStream_tbDpT10_ENKUlT_T0_E_clISt17integral_constantIbLb1EES18_EEDaS13_S14_EUlS13_E_NS1_11comp_targetILNS1_3genE5ELNS1_11target_archE942ELNS1_3gpuE9ELNS1_3repE0EEENS1_30default_config_static_selectorELNS0_4arch9wavefront6targetE0EEEvT1_
; %bb.0:
	.section	.rodata,"a",@progbits
	.p2align	6, 0x0
	.amdhsa_kernel _ZN7rocprim17ROCPRIM_400000_NS6detail17trampoline_kernelINS0_14default_configENS1_25partition_config_selectorILNS1_17partition_subalgoE6EjNS0_10empty_typeEbEEZZNS1_14partition_implILS5_6ELb0ES3_mN6thrust23THRUST_200600_302600_NS6detail15normal_iteratorINSA_10device_ptrIjEEEEPS6_SG_NS0_5tupleIJSF_S6_EEENSH_IJSG_SG_EEES6_PlJNSB_9not_fun_tINSB_14equal_to_valueIjEEEEEEE10hipError_tPvRmT3_T4_T5_T6_T7_T9_mT8_P12ihipStream_tbDpT10_ENKUlT_T0_E_clISt17integral_constantIbLb1EES18_EEDaS13_S14_EUlS13_E_NS1_11comp_targetILNS1_3genE5ELNS1_11target_archE942ELNS1_3gpuE9ELNS1_3repE0EEENS1_30default_config_static_selectorELNS0_4arch9wavefront6targetE0EEEvT1_
		.amdhsa_group_segment_fixed_size 0
		.amdhsa_private_segment_fixed_size 0
		.amdhsa_kernarg_size 128
		.amdhsa_user_sgpr_count 2
		.amdhsa_user_sgpr_dispatch_ptr 0
		.amdhsa_user_sgpr_queue_ptr 0
		.amdhsa_user_sgpr_kernarg_segment_ptr 1
		.amdhsa_user_sgpr_dispatch_id 0
		.amdhsa_user_sgpr_private_segment_size 0
		.amdhsa_wavefront_size32 1
		.amdhsa_uses_dynamic_stack 0
		.amdhsa_enable_private_segment 0
		.amdhsa_system_sgpr_workgroup_id_x 1
		.amdhsa_system_sgpr_workgroup_id_y 0
		.amdhsa_system_sgpr_workgroup_id_z 0
		.amdhsa_system_sgpr_workgroup_info 0
		.amdhsa_system_vgpr_workitem_id 0
		.amdhsa_next_free_vgpr 1
		.amdhsa_next_free_sgpr 1
		.amdhsa_reserve_vcc 0
		.amdhsa_float_round_mode_32 0
		.amdhsa_float_round_mode_16_64 0
		.amdhsa_float_denorm_mode_32 3
		.amdhsa_float_denorm_mode_16_64 3
		.amdhsa_fp16_overflow 0
		.amdhsa_workgroup_processor_mode 1
		.amdhsa_memory_ordered 1
		.amdhsa_forward_progress 1
		.amdhsa_inst_pref_size 0
		.amdhsa_round_robin_scheduling 0
		.amdhsa_exception_fp_ieee_invalid_op 0
		.amdhsa_exception_fp_denorm_src 0
		.amdhsa_exception_fp_ieee_div_zero 0
		.amdhsa_exception_fp_ieee_overflow 0
		.amdhsa_exception_fp_ieee_underflow 0
		.amdhsa_exception_fp_ieee_inexact 0
		.amdhsa_exception_int_div_zero 0
	.end_amdhsa_kernel
	.section	.text._ZN7rocprim17ROCPRIM_400000_NS6detail17trampoline_kernelINS0_14default_configENS1_25partition_config_selectorILNS1_17partition_subalgoE6EjNS0_10empty_typeEbEEZZNS1_14partition_implILS5_6ELb0ES3_mN6thrust23THRUST_200600_302600_NS6detail15normal_iteratorINSA_10device_ptrIjEEEEPS6_SG_NS0_5tupleIJSF_S6_EEENSH_IJSG_SG_EEES6_PlJNSB_9not_fun_tINSB_14equal_to_valueIjEEEEEEE10hipError_tPvRmT3_T4_T5_T6_T7_T9_mT8_P12ihipStream_tbDpT10_ENKUlT_T0_E_clISt17integral_constantIbLb1EES18_EEDaS13_S14_EUlS13_E_NS1_11comp_targetILNS1_3genE5ELNS1_11target_archE942ELNS1_3gpuE9ELNS1_3repE0EEENS1_30default_config_static_selectorELNS0_4arch9wavefront6targetE0EEEvT1_,"axG",@progbits,_ZN7rocprim17ROCPRIM_400000_NS6detail17trampoline_kernelINS0_14default_configENS1_25partition_config_selectorILNS1_17partition_subalgoE6EjNS0_10empty_typeEbEEZZNS1_14partition_implILS5_6ELb0ES3_mN6thrust23THRUST_200600_302600_NS6detail15normal_iteratorINSA_10device_ptrIjEEEEPS6_SG_NS0_5tupleIJSF_S6_EEENSH_IJSG_SG_EEES6_PlJNSB_9not_fun_tINSB_14equal_to_valueIjEEEEEEE10hipError_tPvRmT3_T4_T5_T6_T7_T9_mT8_P12ihipStream_tbDpT10_ENKUlT_T0_E_clISt17integral_constantIbLb1EES18_EEDaS13_S14_EUlS13_E_NS1_11comp_targetILNS1_3genE5ELNS1_11target_archE942ELNS1_3gpuE9ELNS1_3repE0EEENS1_30default_config_static_selectorELNS0_4arch9wavefront6targetE0EEEvT1_,comdat
.Lfunc_end382:
	.size	_ZN7rocprim17ROCPRIM_400000_NS6detail17trampoline_kernelINS0_14default_configENS1_25partition_config_selectorILNS1_17partition_subalgoE6EjNS0_10empty_typeEbEEZZNS1_14partition_implILS5_6ELb0ES3_mN6thrust23THRUST_200600_302600_NS6detail15normal_iteratorINSA_10device_ptrIjEEEEPS6_SG_NS0_5tupleIJSF_S6_EEENSH_IJSG_SG_EEES6_PlJNSB_9not_fun_tINSB_14equal_to_valueIjEEEEEEE10hipError_tPvRmT3_T4_T5_T6_T7_T9_mT8_P12ihipStream_tbDpT10_ENKUlT_T0_E_clISt17integral_constantIbLb1EES18_EEDaS13_S14_EUlS13_E_NS1_11comp_targetILNS1_3genE5ELNS1_11target_archE942ELNS1_3gpuE9ELNS1_3repE0EEENS1_30default_config_static_selectorELNS0_4arch9wavefront6targetE0EEEvT1_, .Lfunc_end382-_ZN7rocprim17ROCPRIM_400000_NS6detail17trampoline_kernelINS0_14default_configENS1_25partition_config_selectorILNS1_17partition_subalgoE6EjNS0_10empty_typeEbEEZZNS1_14partition_implILS5_6ELb0ES3_mN6thrust23THRUST_200600_302600_NS6detail15normal_iteratorINSA_10device_ptrIjEEEEPS6_SG_NS0_5tupleIJSF_S6_EEENSH_IJSG_SG_EEES6_PlJNSB_9not_fun_tINSB_14equal_to_valueIjEEEEEEE10hipError_tPvRmT3_T4_T5_T6_T7_T9_mT8_P12ihipStream_tbDpT10_ENKUlT_T0_E_clISt17integral_constantIbLb1EES18_EEDaS13_S14_EUlS13_E_NS1_11comp_targetILNS1_3genE5ELNS1_11target_archE942ELNS1_3gpuE9ELNS1_3repE0EEENS1_30default_config_static_selectorELNS0_4arch9wavefront6targetE0EEEvT1_
                                        ; -- End function
	.set _ZN7rocprim17ROCPRIM_400000_NS6detail17trampoline_kernelINS0_14default_configENS1_25partition_config_selectorILNS1_17partition_subalgoE6EjNS0_10empty_typeEbEEZZNS1_14partition_implILS5_6ELb0ES3_mN6thrust23THRUST_200600_302600_NS6detail15normal_iteratorINSA_10device_ptrIjEEEEPS6_SG_NS0_5tupleIJSF_S6_EEENSH_IJSG_SG_EEES6_PlJNSB_9not_fun_tINSB_14equal_to_valueIjEEEEEEE10hipError_tPvRmT3_T4_T5_T6_T7_T9_mT8_P12ihipStream_tbDpT10_ENKUlT_T0_E_clISt17integral_constantIbLb1EES18_EEDaS13_S14_EUlS13_E_NS1_11comp_targetILNS1_3genE5ELNS1_11target_archE942ELNS1_3gpuE9ELNS1_3repE0EEENS1_30default_config_static_selectorELNS0_4arch9wavefront6targetE0EEEvT1_.num_vgpr, 0
	.set _ZN7rocprim17ROCPRIM_400000_NS6detail17trampoline_kernelINS0_14default_configENS1_25partition_config_selectorILNS1_17partition_subalgoE6EjNS0_10empty_typeEbEEZZNS1_14partition_implILS5_6ELb0ES3_mN6thrust23THRUST_200600_302600_NS6detail15normal_iteratorINSA_10device_ptrIjEEEEPS6_SG_NS0_5tupleIJSF_S6_EEENSH_IJSG_SG_EEES6_PlJNSB_9not_fun_tINSB_14equal_to_valueIjEEEEEEE10hipError_tPvRmT3_T4_T5_T6_T7_T9_mT8_P12ihipStream_tbDpT10_ENKUlT_T0_E_clISt17integral_constantIbLb1EES18_EEDaS13_S14_EUlS13_E_NS1_11comp_targetILNS1_3genE5ELNS1_11target_archE942ELNS1_3gpuE9ELNS1_3repE0EEENS1_30default_config_static_selectorELNS0_4arch9wavefront6targetE0EEEvT1_.num_agpr, 0
	.set _ZN7rocprim17ROCPRIM_400000_NS6detail17trampoline_kernelINS0_14default_configENS1_25partition_config_selectorILNS1_17partition_subalgoE6EjNS0_10empty_typeEbEEZZNS1_14partition_implILS5_6ELb0ES3_mN6thrust23THRUST_200600_302600_NS6detail15normal_iteratorINSA_10device_ptrIjEEEEPS6_SG_NS0_5tupleIJSF_S6_EEENSH_IJSG_SG_EEES6_PlJNSB_9not_fun_tINSB_14equal_to_valueIjEEEEEEE10hipError_tPvRmT3_T4_T5_T6_T7_T9_mT8_P12ihipStream_tbDpT10_ENKUlT_T0_E_clISt17integral_constantIbLb1EES18_EEDaS13_S14_EUlS13_E_NS1_11comp_targetILNS1_3genE5ELNS1_11target_archE942ELNS1_3gpuE9ELNS1_3repE0EEENS1_30default_config_static_selectorELNS0_4arch9wavefront6targetE0EEEvT1_.numbered_sgpr, 0
	.set _ZN7rocprim17ROCPRIM_400000_NS6detail17trampoline_kernelINS0_14default_configENS1_25partition_config_selectorILNS1_17partition_subalgoE6EjNS0_10empty_typeEbEEZZNS1_14partition_implILS5_6ELb0ES3_mN6thrust23THRUST_200600_302600_NS6detail15normal_iteratorINSA_10device_ptrIjEEEEPS6_SG_NS0_5tupleIJSF_S6_EEENSH_IJSG_SG_EEES6_PlJNSB_9not_fun_tINSB_14equal_to_valueIjEEEEEEE10hipError_tPvRmT3_T4_T5_T6_T7_T9_mT8_P12ihipStream_tbDpT10_ENKUlT_T0_E_clISt17integral_constantIbLb1EES18_EEDaS13_S14_EUlS13_E_NS1_11comp_targetILNS1_3genE5ELNS1_11target_archE942ELNS1_3gpuE9ELNS1_3repE0EEENS1_30default_config_static_selectorELNS0_4arch9wavefront6targetE0EEEvT1_.num_named_barrier, 0
	.set _ZN7rocprim17ROCPRIM_400000_NS6detail17trampoline_kernelINS0_14default_configENS1_25partition_config_selectorILNS1_17partition_subalgoE6EjNS0_10empty_typeEbEEZZNS1_14partition_implILS5_6ELb0ES3_mN6thrust23THRUST_200600_302600_NS6detail15normal_iteratorINSA_10device_ptrIjEEEEPS6_SG_NS0_5tupleIJSF_S6_EEENSH_IJSG_SG_EEES6_PlJNSB_9not_fun_tINSB_14equal_to_valueIjEEEEEEE10hipError_tPvRmT3_T4_T5_T6_T7_T9_mT8_P12ihipStream_tbDpT10_ENKUlT_T0_E_clISt17integral_constantIbLb1EES18_EEDaS13_S14_EUlS13_E_NS1_11comp_targetILNS1_3genE5ELNS1_11target_archE942ELNS1_3gpuE9ELNS1_3repE0EEENS1_30default_config_static_selectorELNS0_4arch9wavefront6targetE0EEEvT1_.private_seg_size, 0
	.set _ZN7rocprim17ROCPRIM_400000_NS6detail17trampoline_kernelINS0_14default_configENS1_25partition_config_selectorILNS1_17partition_subalgoE6EjNS0_10empty_typeEbEEZZNS1_14partition_implILS5_6ELb0ES3_mN6thrust23THRUST_200600_302600_NS6detail15normal_iteratorINSA_10device_ptrIjEEEEPS6_SG_NS0_5tupleIJSF_S6_EEENSH_IJSG_SG_EEES6_PlJNSB_9not_fun_tINSB_14equal_to_valueIjEEEEEEE10hipError_tPvRmT3_T4_T5_T6_T7_T9_mT8_P12ihipStream_tbDpT10_ENKUlT_T0_E_clISt17integral_constantIbLb1EES18_EEDaS13_S14_EUlS13_E_NS1_11comp_targetILNS1_3genE5ELNS1_11target_archE942ELNS1_3gpuE9ELNS1_3repE0EEENS1_30default_config_static_selectorELNS0_4arch9wavefront6targetE0EEEvT1_.uses_vcc, 0
	.set _ZN7rocprim17ROCPRIM_400000_NS6detail17trampoline_kernelINS0_14default_configENS1_25partition_config_selectorILNS1_17partition_subalgoE6EjNS0_10empty_typeEbEEZZNS1_14partition_implILS5_6ELb0ES3_mN6thrust23THRUST_200600_302600_NS6detail15normal_iteratorINSA_10device_ptrIjEEEEPS6_SG_NS0_5tupleIJSF_S6_EEENSH_IJSG_SG_EEES6_PlJNSB_9not_fun_tINSB_14equal_to_valueIjEEEEEEE10hipError_tPvRmT3_T4_T5_T6_T7_T9_mT8_P12ihipStream_tbDpT10_ENKUlT_T0_E_clISt17integral_constantIbLb1EES18_EEDaS13_S14_EUlS13_E_NS1_11comp_targetILNS1_3genE5ELNS1_11target_archE942ELNS1_3gpuE9ELNS1_3repE0EEENS1_30default_config_static_selectorELNS0_4arch9wavefront6targetE0EEEvT1_.uses_flat_scratch, 0
	.set _ZN7rocprim17ROCPRIM_400000_NS6detail17trampoline_kernelINS0_14default_configENS1_25partition_config_selectorILNS1_17partition_subalgoE6EjNS0_10empty_typeEbEEZZNS1_14partition_implILS5_6ELb0ES3_mN6thrust23THRUST_200600_302600_NS6detail15normal_iteratorINSA_10device_ptrIjEEEEPS6_SG_NS0_5tupleIJSF_S6_EEENSH_IJSG_SG_EEES6_PlJNSB_9not_fun_tINSB_14equal_to_valueIjEEEEEEE10hipError_tPvRmT3_T4_T5_T6_T7_T9_mT8_P12ihipStream_tbDpT10_ENKUlT_T0_E_clISt17integral_constantIbLb1EES18_EEDaS13_S14_EUlS13_E_NS1_11comp_targetILNS1_3genE5ELNS1_11target_archE942ELNS1_3gpuE9ELNS1_3repE0EEENS1_30default_config_static_selectorELNS0_4arch9wavefront6targetE0EEEvT1_.has_dyn_sized_stack, 0
	.set _ZN7rocprim17ROCPRIM_400000_NS6detail17trampoline_kernelINS0_14default_configENS1_25partition_config_selectorILNS1_17partition_subalgoE6EjNS0_10empty_typeEbEEZZNS1_14partition_implILS5_6ELb0ES3_mN6thrust23THRUST_200600_302600_NS6detail15normal_iteratorINSA_10device_ptrIjEEEEPS6_SG_NS0_5tupleIJSF_S6_EEENSH_IJSG_SG_EEES6_PlJNSB_9not_fun_tINSB_14equal_to_valueIjEEEEEEE10hipError_tPvRmT3_T4_T5_T6_T7_T9_mT8_P12ihipStream_tbDpT10_ENKUlT_T0_E_clISt17integral_constantIbLb1EES18_EEDaS13_S14_EUlS13_E_NS1_11comp_targetILNS1_3genE5ELNS1_11target_archE942ELNS1_3gpuE9ELNS1_3repE0EEENS1_30default_config_static_selectorELNS0_4arch9wavefront6targetE0EEEvT1_.has_recursion, 0
	.set _ZN7rocprim17ROCPRIM_400000_NS6detail17trampoline_kernelINS0_14default_configENS1_25partition_config_selectorILNS1_17partition_subalgoE6EjNS0_10empty_typeEbEEZZNS1_14partition_implILS5_6ELb0ES3_mN6thrust23THRUST_200600_302600_NS6detail15normal_iteratorINSA_10device_ptrIjEEEEPS6_SG_NS0_5tupleIJSF_S6_EEENSH_IJSG_SG_EEES6_PlJNSB_9not_fun_tINSB_14equal_to_valueIjEEEEEEE10hipError_tPvRmT3_T4_T5_T6_T7_T9_mT8_P12ihipStream_tbDpT10_ENKUlT_T0_E_clISt17integral_constantIbLb1EES18_EEDaS13_S14_EUlS13_E_NS1_11comp_targetILNS1_3genE5ELNS1_11target_archE942ELNS1_3gpuE9ELNS1_3repE0EEENS1_30default_config_static_selectorELNS0_4arch9wavefront6targetE0EEEvT1_.has_indirect_call, 0
	.section	.AMDGPU.csdata,"",@progbits
; Kernel info:
; codeLenInByte = 0
; TotalNumSgprs: 0
; NumVgprs: 0
; ScratchSize: 0
; MemoryBound: 0
; FloatMode: 240
; IeeeMode: 1
; LDSByteSize: 0 bytes/workgroup (compile time only)
; SGPRBlocks: 0
; VGPRBlocks: 0
; NumSGPRsForWavesPerEU: 1
; NumVGPRsForWavesPerEU: 1
; Occupancy: 16
; WaveLimiterHint : 0
; COMPUTE_PGM_RSRC2:SCRATCH_EN: 0
; COMPUTE_PGM_RSRC2:USER_SGPR: 2
; COMPUTE_PGM_RSRC2:TRAP_HANDLER: 0
; COMPUTE_PGM_RSRC2:TGID_X_EN: 1
; COMPUTE_PGM_RSRC2:TGID_Y_EN: 0
; COMPUTE_PGM_RSRC2:TGID_Z_EN: 0
; COMPUTE_PGM_RSRC2:TIDIG_COMP_CNT: 0
	.section	.text._ZN7rocprim17ROCPRIM_400000_NS6detail17trampoline_kernelINS0_14default_configENS1_25partition_config_selectorILNS1_17partition_subalgoE6EjNS0_10empty_typeEbEEZZNS1_14partition_implILS5_6ELb0ES3_mN6thrust23THRUST_200600_302600_NS6detail15normal_iteratorINSA_10device_ptrIjEEEEPS6_SG_NS0_5tupleIJSF_S6_EEENSH_IJSG_SG_EEES6_PlJNSB_9not_fun_tINSB_14equal_to_valueIjEEEEEEE10hipError_tPvRmT3_T4_T5_T6_T7_T9_mT8_P12ihipStream_tbDpT10_ENKUlT_T0_E_clISt17integral_constantIbLb1EES18_EEDaS13_S14_EUlS13_E_NS1_11comp_targetILNS1_3genE4ELNS1_11target_archE910ELNS1_3gpuE8ELNS1_3repE0EEENS1_30default_config_static_selectorELNS0_4arch9wavefront6targetE0EEEvT1_,"axG",@progbits,_ZN7rocprim17ROCPRIM_400000_NS6detail17trampoline_kernelINS0_14default_configENS1_25partition_config_selectorILNS1_17partition_subalgoE6EjNS0_10empty_typeEbEEZZNS1_14partition_implILS5_6ELb0ES3_mN6thrust23THRUST_200600_302600_NS6detail15normal_iteratorINSA_10device_ptrIjEEEEPS6_SG_NS0_5tupleIJSF_S6_EEENSH_IJSG_SG_EEES6_PlJNSB_9not_fun_tINSB_14equal_to_valueIjEEEEEEE10hipError_tPvRmT3_T4_T5_T6_T7_T9_mT8_P12ihipStream_tbDpT10_ENKUlT_T0_E_clISt17integral_constantIbLb1EES18_EEDaS13_S14_EUlS13_E_NS1_11comp_targetILNS1_3genE4ELNS1_11target_archE910ELNS1_3gpuE8ELNS1_3repE0EEENS1_30default_config_static_selectorELNS0_4arch9wavefront6targetE0EEEvT1_,comdat
	.protected	_ZN7rocprim17ROCPRIM_400000_NS6detail17trampoline_kernelINS0_14default_configENS1_25partition_config_selectorILNS1_17partition_subalgoE6EjNS0_10empty_typeEbEEZZNS1_14partition_implILS5_6ELb0ES3_mN6thrust23THRUST_200600_302600_NS6detail15normal_iteratorINSA_10device_ptrIjEEEEPS6_SG_NS0_5tupleIJSF_S6_EEENSH_IJSG_SG_EEES6_PlJNSB_9not_fun_tINSB_14equal_to_valueIjEEEEEEE10hipError_tPvRmT3_T4_T5_T6_T7_T9_mT8_P12ihipStream_tbDpT10_ENKUlT_T0_E_clISt17integral_constantIbLb1EES18_EEDaS13_S14_EUlS13_E_NS1_11comp_targetILNS1_3genE4ELNS1_11target_archE910ELNS1_3gpuE8ELNS1_3repE0EEENS1_30default_config_static_selectorELNS0_4arch9wavefront6targetE0EEEvT1_ ; -- Begin function _ZN7rocprim17ROCPRIM_400000_NS6detail17trampoline_kernelINS0_14default_configENS1_25partition_config_selectorILNS1_17partition_subalgoE6EjNS0_10empty_typeEbEEZZNS1_14partition_implILS5_6ELb0ES3_mN6thrust23THRUST_200600_302600_NS6detail15normal_iteratorINSA_10device_ptrIjEEEEPS6_SG_NS0_5tupleIJSF_S6_EEENSH_IJSG_SG_EEES6_PlJNSB_9not_fun_tINSB_14equal_to_valueIjEEEEEEE10hipError_tPvRmT3_T4_T5_T6_T7_T9_mT8_P12ihipStream_tbDpT10_ENKUlT_T0_E_clISt17integral_constantIbLb1EES18_EEDaS13_S14_EUlS13_E_NS1_11comp_targetILNS1_3genE4ELNS1_11target_archE910ELNS1_3gpuE8ELNS1_3repE0EEENS1_30default_config_static_selectorELNS0_4arch9wavefront6targetE0EEEvT1_
	.globl	_ZN7rocprim17ROCPRIM_400000_NS6detail17trampoline_kernelINS0_14default_configENS1_25partition_config_selectorILNS1_17partition_subalgoE6EjNS0_10empty_typeEbEEZZNS1_14partition_implILS5_6ELb0ES3_mN6thrust23THRUST_200600_302600_NS6detail15normal_iteratorINSA_10device_ptrIjEEEEPS6_SG_NS0_5tupleIJSF_S6_EEENSH_IJSG_SG_EEES6_PlJNSB_9not_fun_tINSB_14equal_to_valueIjEEEEEEE10hipError_tPvRmT3_T4_T5_T6_T7_T9_mT8_P12ihipStream_tbDpT10_ENKUlT_T0_E_clISt17integral_constantIbLb1EES18_EEDaS13_S14_EUlS13_E_NS1_11comp_targetILNS1_3genE4ELNS1_11target_archE910ELNS1_3gpuE8ELNS1_3repE0EEENS1_30default_config_static_selectorELNS0_4arch9wavefront6targetE0EEEvT1_
	.p2align	8
	.type	_ZN7rocprim17ROCPRIM_400000_NS6detail17trampoline_kernelINS0_14default_configENS1_25partition_config_selectorILNS1_17partition_subalgoE6EjNS0_10empty_typeEbEEZZNS1_14partition_implILS5_6ELb0ES3_mN6thrust23THRUST_200600_302600_NS6detail15normal_iteratorINSA_10device_ptrIjEEEEPS6_SG_NS0_5tupleIJSF_S6_EEENSH_IJSG_SG_EEES6_PlJNSB_9not_fun_tINSB_14equal_to_valueIjEEEEEEE10hipError_tPvRmT3_T4_T5_T6_T7_T9_mT8_P12ihipStream_tbDpT10_ENKUlT_T0_E_clISt17integral_constantIbLb1EES18_EEDaS13_S14_EUlS13_E_NS1_11comp_targetILNS1_3genE4ELNS1_11target_archE910ELNS1_3gpuE8ELNS1_3repE0EEENS1_30default_config_static_selectorELNS0_4arch9wavefront6targetE0EEEvT1_,@function
_ZN7rocprim17ROCPRIM_400000_NS6detail17trampoline_kernelINS0_14default_configENS1_25partition_config_selectorILNS1_17partition_subalgoE6EjNS0_10empty_typeEbEEZZNS1_14partition_implILS5_6ELb0ES3_mN6thrust23THRUST_200600_302600_NS6detail15normal_iteratorINSA_10device_ptrIjEEEEPS6_SG_NS0_5tupleIJSF_S6_EEENSH_IJSG_SG_EEES6_PlJNSB_9not_fun_tINSB_14equal_to_valueIjEEEEEEE10hipError_tPvRmT3_T4_T5_T6_T7_T9_mT8_P12ihipStream_tbDpT10_ENKUlT_T0_E_clISt17integral_constantIbLb1EES18_EEDaS13_S14_EUlS13_E_NS1_11comp_targetILNS1_3genE4ELNS1_11target_archE910ELNS1_3gpuE8ELNS1_3repE0EEENS1_30default_config_static_selectorELNS0_4arch9wavefront6targetE0EEEvT1_: ; @_ZN7rocprim17ROCPRIM_400000_NS6detail17trampoline_kernelINS0_14default_configENS1_25partition_config_selectorILNS1_17partition_subalgoE6EjNS0_10empty_typeEbEEZZNS1_14partition_implILS5_6ELb0ES3_mN6thrust23THRUST_200600_302600_NS6detail15normal_iteratorINSA_10device_ptrIjEEEEPS6_SG_NS0_5tupleIJSF_S6_EEENSH_IJSG_SG_EEES6_PlJNSB_9not_fun_tINSB_14equal_to_valueIjEEEEEEE10hipError_tPvRmT3_T4_T5_T6_T7_T9_mT8_P12ihipStream_tbDpT10_ENKUlT_T0_E_clISt17integral_constantIbLb1EES18_EEDaS13_S14_EUlS13_E_NS1_11comp_targetILNS1_3genE4ELNS1_11target_archE910ELNS1_3gpuE8ELNS1_3repE0EEENS1_30default_config_static_selectorELNS0_4arch9wavefront6targetE0EEEvT1_
; %bb.0:
	.section	.rodata,"a",@progbits
	.p2align	6, 0x0
	.amdhsa_kernel _ZN7rocprim17ROCPRIM_400000_NS6detail17trampoline_kernelINS0_14default_configENS1_25partition_config_selectorILNS1_17partition_subalgoE6EjNS0_10empty_typeEbEEZZNS1_14partition_implILS5_6ELb0ES3_mN6thrust23THRUST_200600_302600_NS6detail15normal_iteratorINSA_10device_ptrIjEEEEPS6_SG_NS0_5tupleIJSF_S6_EEENSH_IJSG_SG_EEES6_PlJNSB_9not_fun_tINSB_14equal_to_valueIjEEEEEEE10hipError_tPvRmT3_T4_T5_T6_T7_T9_mT8_P12ihipStream_tbDpT10_ENKUlT_T0_E_clISt17integral_constantIbLb1EES18_EEDaS13_S14_EUlS13_E_NS1_11comp_targetILNS1_3genE4ELNS1_11target_archE910ELNS1_3gpuE8ELNS1_3repE0EEENS1_30default_config_static_selectorELNS0_4arch9wavefront6targetE0EEEvT1_
		.amdhsa_group_segment_fixed_size 0
		.amdhsa_private_segment_fixed_size 0
		.amdhsa_kernarg_size 128
		.amdhsa_user_sgpr_count 2
		.amdhsa_user_sgpr_dispatch_ptr 0
		.amdhsa_user_sgpr_queue_ptr 0
		.amdhsa_user_sgpr_kernarg_segment_ptr 1
		.amdhsa_user_sgpr_dispatch_id 0
		.amdhsa_user_sgpr_private_segment_size 0
		.amdhsa_wavefront_size32 1
		.amdhsa_uses_dynamic_stack 0
		.amdhsa_enable_private_segment 0
		.amdhsa_system_sgpr_workgroup_id_x 1
		.amdhsa_system_sgpr_workgroup_id_y 0
		.amdhsa_system_sgpr_workgroup_id_z 0
		.amdhsa_system_sgpr_workgroup_info 0
		.amdhsa_system_vgpr_workitem_id 0
		.amdhsa_next_free_vgpr 1
		.amdhsa_next_free_sgpr 1
		.amdhsa_reserve_vcc 0
		.amdhsa_float_round_mode_32 0
		.amdhsa_float_round_mode_16_64 0
		.amdhsa_float_denorm_mode_32 3
		.amdhsa_float_denorm_mode_16_64 3
		.amdhsa_fp16_overflow 0
		.amdhsa_workgroup_processor_mode 1
		.amdhsa_memory_ordered 1
		.amdhsa_forward_progress 1
		.amdhsa_inst_pref_size 0
		.amdhsa_round_robin_scheduling 0
		.amdhsa_exception_fp_ieee_invalid_op 0
		.amdhsa_exception_fp_denorm_src 0
		.amdhsa_exception_fp_ieee_div_zero 0
		.amdhsa_exception_fp_ieee_overflow 0
		.amdhsa_exception_fp_ieee_underflow 0
		.amdhsa_exception_fp_ieee_inexact 0
		.amdhsa_exception_int_div_zero 0
	.end_amdhsa_kernel
	.section	.text._ZN7rocprim17ROCPRIM_400000_NS6detail17trampoline_kernelINS0_14default_configENS1_25partition_config_selectorILNS1_17partition_subalgoE6EjNS0_10empty_typeEbEEZZNS1_14partition_implILS5_6ELb0ES3_mN6thrust23THRUST_200600_302600_NS6detail15normal_iteratorINSA_10device_ptrIjEEEEPS6_SG_NS0_5tupleIJSF_S6_EEENSH_IJSG_SG_EEES6_PlJNSB_9not_fun_tINSB_14equal_to_valueIjEEEEEEE10hipError_tPvRmT3_T4_T5_T6_T7_T9_mT8_P12ihipStream_tbDpT10_ENKUlT_T0_E_clISt17integral_constantIbLb1EES18_EEDaS13_S14_EUlS13_E_NS1_11comp_targetILNS1_3genE4ELNS1_11target_archE910ELNS1_3gpuE8ELNS1_3repE0EEENS1_30default_config_static_selectorELNS0_4arch9wavefront6targetE0EEEvT1_,"axG",@progbits,_ZN7rocprim17ROCPRIM_400000_NS6detail17trampoline_kernelINS0_14default_configENS1_25partition_config_selectorILNS1_17partition_subalgoE6EjNS0_10empty_typeEbEEZZNS1_14partition_implILS5_6ELb0ES3_mN6thrust23THRUST_200600_302600_NS6detail15normal_iteratorINSA_10device_ptrIjEEEEPS6_SG_NS0_5tupleIJSF_S6_EEENSH_IJSG_SG_EEES6_PlJNSB_9not_fun_tINSB_14equal_to_valueIjEEEEEEE10hipError_tPvRmT3_T4_T5_T6_T7_T9_mT8_P12ihipStream_tbDpT10_ENKUlT_T0_E_clISt17integral_constantIbLb1EES18_EEDaS13_S14_EUlS13_E_NS1_11comp_targetILNS1_3genE4ELNS1_11target_archE910ELNS1_3gpuE8ELNS1_3repE0EEENS1_30default_config_static_selectorELNS0_4arch9wavefront6targetE0EEEvT1_,comdat
.Lfunc_end383:
	.size	_ZN7rocprim17ROCPRIM_400000_NS6detail17trampoline_kernelINS0_14default_configENS1_25partition_config_selectorILNS1_17partition_subalgoE6EjNS0_10empty_typeEbEEZZNS1_14partition_implILS5_6ELb0ES3_mN6thrust23THRUST_200600_302600_NS6detail15normal_iteratorINSA_10device_ptrIjEEEEPS6_SG_NS0_5tupleIJSF_S6_EEENSH_IJSG_SG_EEES6_PlJNSB_9not_fun_tINSB_14equal_to_valueIjEEEEEEE10hipError_tPvRmT3_T4_T5_T6_T7_T9_mT8_P12ihipStream_tbDpT10_ENKUlT_T0_E_clISt17integral_constantIbLb1EES18_EEDaS13_S14_EUlS13_E_NS1_11comp_targetILNS1_3genE4ELNS1_11target_archE910ELNS1_3gpuE8ELNS1_3repE0EEENS1_30default_config_static_selectorELNS0_4arch9wavefront6targetE0EEEvT1_, .Lfunc_end383-_ZN7rocprim17ROCPRIM_400000_NS6detail17trampoline_kernelINS0_14default_configENS1_25partition_config_selectorILNS1_17partition_subalgoE6EjNS0_10empty_typeEbEEZZNS1_14partition_implILS5_6ELb0ES3_mN6thrust23THRUST_200600_302600_NS6detail15normal_iteratorINSA_10device_ptrIjEEEEPS6_SG_NS0_5tupleIJSF_S6_EEENSH_IJSG_SG_EEES6_PlJNSB_9not_fun_tINSB_14equal_to_valueIjEEEEEEE10hipError_tPvRmT3_T4_T5_T6_T7_T9_mT8_P12ihipStream_tbDpT10_ENKUlT_T0_E_clISt17integral_constantIbLb1EES18_EEDaS13_S14_EUlS13_E_NS1_11comp_targetILNS1_3genE4ELNS1_11target_archE910ELNS1_3gpuE8ELNS1_3repE0EEENS1_30default_config_static_selectorELNS0_4arch9wavefront6targetE0EEEvT1_
                                        ; -- End function
	.set _ZN7rocprim17ROCPRIM_400000_NS6detail17trampoline_kernelINS0_14default_configENS1_25partition_config_selectorILNS1_17partition_subalgoE6EjNS0_10empty_typeEbEEZZNS1_14partition_implILS5_6ELb0ES3_mN6thrust23THRUST_200600_302600_NS6detail15normal_iteratorINSA_10device_ptrIjEEEEPS6_SG_NS0_5tupleIJSF_S6_EEENSH_IJSG_SG_EEES6_PlJNSB_9not_fun_tINSB_14equal_to_valueIjEEEEEEE10hipError_tPvRmT3_T4_T5_T6_T7_T9_mT8_P12ihipStream_tbDpT10_ENKUlT_T0_E_clISt17integral_constantIbLb1EES18_EEDaS13_S14_EUlS13_E_NS1_11comp_targetILNS1_3genE4ELNS1_11target_archE910ELNS1_3gpuE8ELNS1_3repE0EEENS1_30default_config_static_selectorELNS0_4arch9wavefront6targetE0EEEvT1_.num_vgpr, 0
	.set _ZN7rocprim17ROCPRIM_400000_NS6detail17trampoline_kernelINS0_14default_configENS1_25partition_config_selectorILNS1_17partition_subalgoE6EjNS0_10empty_typeEbEEZZNS1_14partition_implILS5_6ELb0ES3_mN6thrust23THRUST_200600_302600_NS6detail15normal_iteratorINSA_10device_ptrIjEEEEPS6_SG_NS0_5tupleIJSF_S6_EEENSH_IJSG_SG_EEES6_PlJNSB_9not_fun_tINSB_14equal_to_valueIjEEEEEEE10hipError_tPvRmT3_T4_T5_T6_T7_T9_mT8_P12ihipStream_tbDpT10_ENKUlT_T0_E_clISt17integral_constantIbLb1EES18_EEDaS13_S14_EUlS13_E_NS1_11comp_targetILNS1_3genE4ELNS1_11target_archE910ELNS1_3gpuE8ELNS1_3repE0EEENS1_30default_config_static_selectorELNS0_4arch9wavefront6targetE0EEEvT1_.num_agpr, 0
	.set _ZN7rocprim17ROCPRIM_400000_NS6detail17trampoline_kernelINS0_14default_configENS1_25partition_config_selectorILNS1_17partition_subalgoE6EjNS0_10empty_typeEbEEZZNS1_14partition_implILS5_6ELb0ES3_mN6thrust23THRUST_200600_302600_NS6detail15normal_iteratorINSA_10device_ptrIjEEEEPS6_SG_NS0_5tupleIJSF_S6_EEENSH_IJSG_SG_EEES6_PlJNSB_9not_fun_tINSB_14equal_to_valueIjEEEEEEE10hipError_tPvRmT3_T4_T5_T6_T7_T9_mT8_P12ihipStream_tbDpT10_ENKUlT_T0_E_clISt17integral_constantIbLb1EES18_EEDaS13_S14_EUlS13_E_NS1_11comp_targetILNS1_3genE4ELNS1_11target_archE910ELNS1_3gpuE8ELNS1_3repE0EEENS1_30default_config_static_selectorELNS0_4arch9wavefront6targetE0EEEvT1_.numbered_sgpr, 0
	.set _ZN7rocprim17ROCPRIM_400000_NS6detail17trampoline_kernelINS0_14default_configENS1_25partition_config_selectorILNS1_17partition_subalgoE6EjNS0_10empty_typeEbEEZZNS1_14partition_implILS5_6ELb0ES3_mN6thrust23THRUST_200600_302600_NS6detail15normal_iteratorINSA_10device_ptrIjEEEEPS6_SG_NS0_5tupleIJSF_S6_EEENSH_IJSG_SG_EEES6_PlJNSB_9not_fun_tINSB_14equal_to_valueIjEEEEEEE10hipError_tPvRmT3_T4_T5_T6_T7_T9_mT8_P12ihipStream_tbDpT10_ENKUlT_T0_E_clISt17integral_constantIbLb1EES18_EEDaS13_S14_EUlS13_E_NS1_11comp_targetILNS1_3genE4ELNS1_11target_archE910ELNS1_3gpuE8ELNS1_3repE0EEENS1_30default_config_static_selectorELNS0_4arch9wavefront6targetE0EEEvT1_.num_named_barrier, 0
	.set _ZN7rocprim17ROCPRIM_400000_NS6detail17trampoline_kernelINS0_14default_configENS1_25partition_config_selectorILNS1_17partition_subalgoE6EjNS0_10empty_typeEbEEZZNS1_14partition_implILS5_6ELb0ES3_mN6thrust23THRUST_200600_302600_NS6detail15normal_iteratorINSA_10device_ptrIjEEEEPS6_SG_NS0_5tupleIJSF_S6_EEENSH_IJSG_SG_EEES6_PlJNSB_9not_fun_tINSB_14equal_to_valueIjEEEEEEE10hipError_tPvRmT3_T4_T5_T6_T7_T9_mT8_P12ihipStream_tbDpT10_ENKUlT_T0_E_clISt17integral_constantIbLb1EES18_EEDaS13_S14_EUlS13_E_NS1_11comp_targetILNS1_3genE4ELNS1_11target_archE910ELNS1_3gpuE8ELNS1_3repE0EEENS1_30default_config_static_selectorELNS0_4arch9wavefront6targetE0EEEvT1_.private_seg_size, 0
	.set _ZN7rocprim17ROCPRIM_400000_NS6detail17trampoline_kernelINS0_14default_configENS1_25partition_config_selectorILNS1_17partition_subalgoE6EjNS0_10empty_typeEbEEZZNS1_14partition_implILS5_6ELb0ES3_mN6thrust23THRUST_200600_302600_NS6detail15normal_iteratorINSA_10device_ptrIjEEEEPS6_SG_NS0_5tupleIJSF_S6_EEENSH_IJSG_SG_EEES6_PlJNSB_9not_fun_tINSB_14equal_to_valueIjEEEEEEE10hipError_tPvRmT3_T4_T5_T6_T7_T9_mT8_P12ihipStream_tbDpT10_ENKUlT_T0_E_clISt17integral_constantIbLb1EES18_EEDaS13_S14_EUlS13_E_NS1_11comp_targetILNS1_3genE4ELNS1_11target_archE910ELNS1_3gpuE8ELNS1_3repE0EEENS1_30default_config_static_selectorELNS0_4arch9wavefront6targetE0EEEvT1_.uses_vcc, 0
	.set _ZN7rocprim17ROCPRIM_400000_NS6detail17trampoline_kernelINS0_14default_configENS1_25partition_config_selectorILNS1_17partition_subalgoE6EjNS0_10empty_typeEbEEZZNS1_14partition_implILS5_6ELb0ES3_mN6thrust23THRUST_200600_302600_NS6detail15normal_iteratorINSA_10device_ptrIjEEEEPS6_SG_NS0_5tupleIJSF_S6_EEENSH_IJSG_SG_EEES6_PlJNSB_9not_fun_tINSB_14equal_to_valueIjEEEEEEE10hipError_tPvRmT3_T4_T5_T6_T7_T9_mT8_P12ihipStream_tbDpT10_ENKUlT_T0_E_clISt17integral_constantIbLb1EES18_EEDaS13_S14_EUlS13_E_NS1_11comp_targetILNS1_3genE4ELNS1_11target_archE910ELNS1_3gpuE8ELNS1_3repE0EEENS1_30default_config_static_selectorELNS0_4arch9wavefront6targetE0EEEvT1_.uses_flat_scratch, 0
	.set _ZN7rocprim17ROCPRIM_400000_NS6detail17trampoline_kernelINS0_14default_configENS1_25partition_config_selectorILNS1_17partition_subalgoE6EjNS0_10empty_typeEbEEZZNS1_14partition_implILS5_6ELb0ES3_mN6thrust23THRUST_200600_302600_NS6detail15normal_iteratorINSA_10device_ptrIjEEEEPS6_SG_NS0_5tupleIJSF_S6_EEENSH_IJSG_SG_EEES6_PlJNSB_9not_fun_tINSB_14equal_to_valueIjEEEEEEE10hipError_tPvRmT3_T4_T5_T6_T7_T9_mT8_P12ihipStream_tbDpT10_ENKUlT_T0_E_clISt17integral_constantIbLb1EES18_EEDaS13_S14_EUlS13_E_NS1_11comp_targetILNS1_3genE4ELNS1_11target_archE910ELNS1_3gpuE8ELNS1_3repE0EEENS1_30default_config_static_selectorELNS0_4arch9wavefront6targetE0EEEvT1_.has_dyn_sized_stack, 0
	.set _ZN7rocprim17ROCPRIM_400000_NS6detail17trampoline_kernelINS0_14default_configENS1_25partition_config_selectorILNS1_17partition_subalgoE6EjNS0_10empty_typeEbEEZZNS1_14partition_implILS5_6ELb0ES3_mN6thrust23THRUST_200600_302600_NS6detail15normal_iteratorINSA_10device_ptrIjEEEEPS6_SG_NS0_5tupleIJSF_S6_EEENSH_IJSG_SG_EEES6_PlJNSB_9not_fun_tINSB_14equal_to_valueIjEEEEEEE10hipError_tPvRmT3_T4_T5_T6_T7_T9_mT8_P12ihipStream_tbDpT10_ENKUlT_T0_E_clISt17integral_constantIbLb1EES18_EEDaS13_S14_EUlS13_E_NS1_11comp_targetILNS1_3genE4ELNS1_11target_archE910ELNS1_3gpuE8ELNS1_3repE0EEENS1_30default_config_static_selectorELNS0_4arch9wavefront6targetE0EEEvT1_.has_recursion, 0
	.set _ZN7rocprim17ROCPRIM_400000_NS6detail17trampoline_kernelINS0_14default_configENS1_25partition_config_selectorILNS1_17partition_subalgoE6EjNS0_10empty_typeEbEEZZNS1_14partition_implILS5_6ELb0ES3_mN6thrust23THRUST_200600_302600_NS6detail15normal_iteratorINSA_10device_ptrIjEEEEPS6_SG_NS0_5tupleIJSF_S6_EEENSH_IJSG_SG_EEES6_PlJNSB_9not_fun_tINSB_14equal_to_valueIjEEEEEEE10hipError_tPvRmT3_T4_T5_T6_T7_T9_mT8_P12ihipStream_tbDpT10_ENKUlT_T0_E_clISt17integral_constantIbLb1EES18_EEDaS13_S14_EUlS13_E_NS1_11comp_targetILNS1_3genE4ELNS1_11target_archE910ELNS1_3gpuE8ELNS1_3repE0EEENS1_30default_config_static_selectorELNS0_4arch9wavefront6targetE0EEEvT1_.has_indirect_call, 0
	.section	.AMDGPU.csdata,"",@progbits
; Kernel info:
; codeLenInByte = 0
; TotalNumSgprs: 0
; NumVgprs: 0
; ScratchSize: 0
; MemoryBound: 0
; FloatMode: 240
; IeeeMode: 1
; LDSByteSize: 0 bytes/workgroup (compile time only)
; SGPRBlocks: 0
; VGPRBlocks: 0
; NumSGPRsForWavesPerEU: 1
; NumVGPRsForWavesPerEU: 1
; Occupancy: 16
; WaveLimiterHint : 0
; COMPUTE_PGM_RSRC2:SCRATCH_EN: 0
; COMPUTE_PGM_RSRC2:USER_SGPR: 2
; COMPUTE_PGM_RSRC2:TRAP_HANDLER: 0
; COMPUTE_PGM_RSRC2:TGID_X_EN: 1
; COMPUTE_PGM_RSRC2:TGID_Y_EN: 0
; COMPUTE_PGM_RSRC2:TGID_Z_EN: 0
; COMPUTE_PGM_RSRC2:TIDIG_COMP_CNT: 0
	.section	.text._ZN7rocprim17ROCPRIM_400000_NS6detail17trampoline_kernelINS0_14default_configENS1_25partition_config_selectorILNS1_17partition_subalgoE6EjNS0_10empty_typeEbEEZZNS1_14partition_implILS5_6ELb0ES3_mN6thrust23THRUST_200600_302600_NS6detail15normal_iteratorINSA_10device_ptrIjEEEEPS6_SG_NS0_5tupleIJSF_S6_EEENSH_IJSG_SG_EEES6_PlJNSB_9not_fun_tINSB_14equal_to_valueIjEEEEEEE10hipError_tPvRmT3_T4_T5_T6_T7_T9_mT8_P12ihipStream_tbDpT10_ENKUlT_T0_E_clISt17integral_constantIbLb1EES18_EEDaS13_S14_EUlS13_E_NS1_11comp_targetILNS1_3genE3ELNS1_11target_archE908ELNS1_3gpuE7ELNS1_3repE0EEENS1_30default_config_static_selectorELNS0_4arch9wavefront6targetE0EEEvT1_,"axG",@progbits,_ZN7rocprim17ROCPRIM_400000_NS6detail17trampoline_kernelINS0_14default_configENS1_25partition_config_selectorILNS1_17partition_subalgoE6EjNS0_10empty_typeEbEEZZNS1_14partition_implILS5_6ELb0ES3_mN6thrust23THRUST_200600_302600_NS6detail15normal_iteratorINSA_10device_ptrIjEEEEPS6_SG_NS0_5tupleIJSF_S6_EEENSH_IJSG_SG_EEES6_PlJNSB_9not_fun_tINSB_14equal_to_valueIjEEEEEEE10hipError_tPvRmT3_T4_T5_T6_T7_T9_mT8_P12ihipStream_tbDpT10_ENKUlT_T0_E_clISt17integral_constantIbLb1EES18_EEDaS13_S14_EUlS13_E_NS1_11comp_targetILNS1_3genE3ELNS1_11target_archE908ELNS1_3gpuE7ELNS1_3repE0EEENS1_30default_config_static_selectorELNS0_4arch9wavefront6targetE0EEEvT1_,comdat
	.protected	_ZN7rocprim17ROCPRIM_400000_NS6detail17trampoline_kernelINS0_14default_configENS1_25partition_config_selectorILNS1_17partition_subalgoE6EjNS0_10empty_typeEbEEZZNS1_14partition_implILS5_6ELb0ES3_mN6thrust23THRUST_200600_302600_NS6detail15normal_iteratorINSA_10device_ptrIjEEEEPS6_SG_NS0_5tupleIJSF_S6_EEENSH_IJSG_SG_EEES6_PlJNSB_9not_fun_tINSB_14equal_to_valueIjEEEEEEE10hipError_tPvRmT3_T4_T5_T6_T7_T9_mT8_P12ihipStream_tbDpT10_ENKUlT_T0_E_clISt17integral_constantIbLb1EES18_EEDaS13_S14_EUlS13_E_NS1_11comp_targetILNS1_3genE3ELNS1_11target_archE908ELNS1_3gpuE7ELNS1_3repE0EEENS1_30default_config_static_selectorELNS0_4arch9wavefront6targetE0EEEvT1_ ; -- Begin function _ZN7rocprim17ROCPRIM_400000_NS6detail17trampoline_kernelINS0_14default_configENS1_25partition_config_selectorILNS1_17partition_subalgoE6EjNS0_10empty_typeEbEEZZNS1_14partition_implILS5_6ELb0ES3_mN6thrust23THRUST_200600_302600_NS6detail15normal_iteratorINSA_10device_ptrIjEEEEPS6_SG_NS0_5tupleIJSF_S6_EEENSH_IJSG_SG_EEES6_PlJNSB_9not_fun_tINSB_14equal_to_valueIjEEEEEEE10hipError_tPvRmT3_T4_T5_T6_T7_T9_mT8_P12ihipStream_tbDpT10_ENKUlT_T0_E_clISt17integral_constantIbLb1EES18_EEDaS13_S14_EUlS13_E_NS1_11comp_targetILNS1_3genE3ELNS1_11target_archE908ELNS1_3gpuE7ELNS1_3repE0EEENS1_30default_config_static_selectorELNS0_4arch9wavefront6targetE0EEEvT1_
	.globl	_ZN7rocprim17ROCPRIM_400000_NS6detail17trampoline_kernelINS0_14default_configENS1_25partition_config_selectorILNS1_17partition_subalgoE6EjNS0_10empty_typeEbEEZZNS1_14partition_implILS5_6ELb0ES3_mN6thrust23THRUST_200600_302600_NS6detail15normal_iteratorINSA_10device_ptrIjEEEEPS6_SG_NS0_5tupleIJSF_S6_EEENSH_IJSG_SG_EEES6_PlJNSB_9not_fun_tINSB_14equal_to_valueIjEEEEEEE10hipError_tPvRmT3_T4_T5_T6_T7_T9_mT8_P12ihipStream_tbDpT10_ENKUlT_T0_E_clISt17integral_constantIbLb1EES18_EEDaS13_S14_EUlS13_E_NS1_11comp_targetILNS1_3genE3ELNS1_11target_archE908ELNS1_3gpuE7ELNS1_3repE0EEENS1_30default_config_static_selectorELNS0_4arch9wavefront6targetE0EEEvT1_
	.p2align	8
	.type	_ZN7rocprim17ROCPRIM_400000_NS6detail17trampoline_kernelINS0_14default_configENS1_25partition_config_selectorILNS1_17partition_subalgoE6EjNS0_10empty_typeEbEEZZNS1_14partition_implILS5_6ELb0ES3_mN6thrust23THRUST_200600_302600_NS6detail15normal_iteratorINSA_10device_ptrIjEEEEPS6_SG_NS0_5tupleIJSF_S6_EEENSH_IJSG_SG_EEES6_PlJNSB_9not_fun_tINSB_14equal_to_valueIjEEEEEEE10hipError_tPvRmT3_T4_T5_T6_T7_T9_mT8_P12ihipStream_tbDpT10_ENKUlT_T0_E_clISt17integral_constantIbLb1EES18_EEDaS13_S14_EUlS13_E_NS1_11comp_targetILNS1_3genE3ELNS1_11target_archE908ELNS1_3gpuE7ELNS1_3repE0EEENS1_30default_config_static_selectorELNS0_4arch9wavefront6targetE0EEEvT1_,@function
_ZN7rocprim17ROCPRIM_400000_NS6detail17trampoline_kernelINS0_14default_configENS1_25partition_config_selectorILNS1_17partition_subalgoE6EjNS0_10empty_typeEbEEZZNS1_14partition_implILS5_6ELb0ES3_mN6thrust23THRUST_200600_302600_NS6detail15normal_iteratorINSA_10device_ptrIjEEEEPS6_SG_NS0_5tupleIJSF_S6_EEENSH_IJSG_SG_EEES6_PlJNSB_9not_fun_tINSB_14equal_to_valueIjEEEEEEE10hipError_tPvRmT3_T4_T5_T6_T7_T9_mT8_P12ihipStream_tbDpT10_ENKUlT_T0_E_clISt17integral_constantIbLb1EES18_EEDaS13_S14_EUlS13_E_NS1_11comp_targetILNS1_3genE3ELNS1_11target_archE908ELNS1_3gpuE7ELNS1_3repE0EEENS1_30default_config_static_selectorELNS0_4arch9wavefront6targetE0EEEvT1_: ; @_ZN7rocprim17ROCPRIM_400000_NS6detail17trampoline_kernelINS0_14default_configENS1_25partition_config_selectorILNS1_17partition_subalgoE6EjNS0_10empty_typeEbEEZZNS1_14partition_implILS5_6ELb0ES3_mN6thrust23THRUST_200600_302600_NS6detail15normal_iteratorINSA_10device_ptrIjEEEEPS6_SG_NS0_5tupleIJSF_S6_EEENSH_IJSG_SG_EEES6_PlJNSB_9not_fun_tINSB_14equal_to_valueIjEEEEEEE10hipError_tPvRmT3_T4_T5_T6_T7_T9_mT8_P12ihipStream_tbDpT10_ENKUlT_T0_E_clISt17integral_constantIbLb1EES18_EEDaS13_S14_EUlS13_E_NS1_11comp_targetILNS1_3genE3ELNS1_11target_archE908ELNS1_3gpuE7ELNS1_3repE0EEENS1_30default_config_static_selectorELNS0_4arch9wavefront6targetE0EEEvT1_
; %bb.0:
	.section	.rodata,"a",@progbits
	.p2align	6, 0x0
	.amdhsa_kernel _ZN7rocprim17ROCPRIM_400000_NS6detail17trampoline_kernelINS0_14default_configENS1_25partition_config_selectorILNS1_17partition_subalgoE6EjNS0_10empty_typeEbEEZZNS1_14partition_implILS5_6ELb0ES3_mN6thrust23THRUST_200600_302600_NS6detail15normal_iteratorINSA_10device_ptrIjEEEEPS6_SG_NS0_5tupleIJSF_S6_EEENSH_IJSG_SG_EEES6_PlJNSB_9not_fun_tINSB_14equal_to_valueIjEEEEEEE10hipError_tPvRmT3_T4_T5_T6_T7_T9_mT8_P12ihipStream_tbDpT10_ENKUlT_T0_E_clISt17integral_constantIbLb1EES18_EEDaS13_S14_EUlS13_E_NS1_11comp_targetILNS1_3genE3ELNS1_11target_archE908ELNS1_3gpuE7ELNS1_3repE0EEENS1_30default_config_static_selectorELNS0_4arch9wavefront6targetE0EEEvT1_
		.amdhsa_group_segment_fixed_size 0
		.amdhsa_private_segment_fixed_size 0
		.amdhsa_kernarg_size 128
		.amdhsa_user_sgpr_count 2
		.amdhsa_user_sgpr_dispatch_ptr 0
		.amdhsa_user_sgpr_queue_ptr 0
		.amdhsa_user_sgpr_kernarg_segment_ptr 1
		.amdhsa_user_sgpr_dispatch_id 0
		.amdhsa_user_sgpr_private_segment_size 0
		.amdhsa_wavefront_size32 1
		.amdhsa_uses_dynamic_stack 0
		.amdhsa_enable_private_segment 0
		.amdhsa_system_sgpr_workgroup_id_x 1
		.amdhsa_system_sgpr_workgroup_id_y 0
		.amdhsa_system_sgpr_workgroup_id_z 0
		.amdhsa_system_sgpr_workgroup_info 0
		.amdhsa_system_vgpr_workitem_id 0
		.amdhsa_next_free_vgpr 1
		.amdhsa_next_free_sgpr 1
		.amdhsa_reserve_vcc 0
		.amdhsa_float_round_mode_32 0
		.amdhsa_float_round_mode_16_64 0
		.amdhsa_float_denorm_mode_32 3
		.amdhsa_float_denorm_mode_16_64 3
		.amdhsa_fp16_overflow 0
		.amdhsa_workgroup_processor_mode 1
		.amdhsa_memory_ordered 1
		.amdhsa_forward_progress 1
		.amdhsa_inst_pref_size 0
		.amdhsa_round_robin_scheduling 0
		.amdhsa_exception_fp_ieee_invalid_op 0
		.amdhsa_exception_fp_denorm_src 0
		.amdhsa_exception_fp_ieee_div_zero 0
		.amdhsa_exception_fp_ieee_overflow 0
		.amdhsa_exception_fp_ieee_underflow 0
		.amdhsa_exception_fp_ieee_inexact 0
		.amdhsa_exception_int_div_zero 0
	.end_amdhsa_kernel
	.section	.text._ZN7rocprim17ROCPRIM_400000_NS6detail17trampoline_kernelINS0_14default_configENS1_25partition_config_selectorILNS1_17partition_subalgoE6EjNS0_10empty_typeEbEEZZNS1_14partition_implILS5_6ELb0ES3_mN6thrust23THRUST_200600_302600_NS6detail15normal_iteratorINSA_10device_ptrIjEEEEPS6_SG_NS0_5tupleIJSF_S6_EEENSH_IJSG_SG_EEES6_PlJNSB_9not_fun_tINSB_14equal_to_valueIjEEEEEEE10hipError_tPvRmT3_T4_T5_T6_T7_T9_mT8_P12ihipStream_tbDpT10_ENKUlT_T0_E_clISt17integral_constantIbLb1EES18_EEDaS13_S14_EUlS13_E_NS1_11comp_targetILNS1_3genE3ELNS1_11target_archE908ELNS1_3gpuE7ELNS1_3repE0EEENS1_30default_config_static_selectorELNS0_4arch9wavefront6targetE0EEEvT1_,"axG",@progbits,_ZN7rocprim17ROCPRIM_400000_NS6detail17trampoline_kernelINS0_14default_configENS1_25partition_config_selectorILNS1_17partition_subalgoE6EjNS0_10empty_typeEbEEZZNS1_14partition_implILS5_6ELb0ES3_mN6thrust23THRUST_200600_302600_NS6detail15normal_iteratorINSA_10device_ptrIjEEEEPS6_SG_NS0_5tupleIJSF_S6_EEENSH_IJSG_SG_EEES6_PlJNSB_9not_fun_tINSB_14equal_to_valueIjEEEEEEE10hipError_tPvRmT3_T4_T5_T6_T7_T9_mT8_P12ihipStream_tbDpT10_ENKUlT_T0_E_clISt17integral_constantIbLb1EES18_EEDaS13_S14_EUlS13_E_NS1_11comp_targetILNS1_3genE3ELNS1_11target_archE908ELNS1_3gpuE7ELNS1_3repE0EEENS1_30default_config_static_selectorELNS0_4arch9wavefront6targetE0EEEvT1_,comdat
.Lfunc_end384:
	.size	_ZN7rocprim17ROCPRIM_400000_NS6detail17trampoline_kernelINS0_14default_configENS1_25partition_config_selectorILNS1_17partition_subalgoE6EjNS0_10empty_typeEbEEZZNS1_14partition_implILS5_6ELb0ES3_mN6thrust23THRUST_200600_302600_NS6detail15normal_iteratorINSA_10device_ptrIjEEEEPS6_SG_NS0_5tupleIJSF_S6_EEENSH_IJSG_SG_EEES6_PlJNSB_9not_fun_tINSB_14equal_to_valueIjEEEEEEE10hipError_tPvRmT3_T4_T5_T6_T7_T9_mT8_P12ihipStream_tbDpT10_ENKUlT_T0_E_clISt17integral_constantIbLb1EES18_EEDaS13_S14_EUlS13_E_NS1_11comp_targetILNS1_3genE3ELNS1_11target_archE908ELNS1_3gpuE7ELNS1_3repE0EEENS1_30default_config_static_selectorELNS0_4arch9wavefront6targetE0EEEvT1_, .Lfunc_end384-_ZN7rocprim17ROCPRIM_400000_NS6detail17trampoline_kernelINS0_14default_configENS1_25partition_config_selectorILNS1_17partition_subalgoE6EjNS0_10empty_typeEbEEZZNS1_14partition_implILS5_6ELb0ES3_mN6thrust23THRUST_200600_302600_NS6detail15normal_iteratorINSA_10device_ptrIjEEEEPS6_SG_NS0_5tupleIJSF_S6_EEENSH_IJSG_SG_EEES6_PlJNSB_9not_fun_tINSB_14equal_to_valueIjEEEEEEE10hipError_tPvRmT3_T4_T5_T6_T7_T9_mT8_P12ihipStream_tbDpT10_ENKUlT_T0_E_clISt17integral_constantIbLb1EES18_EEDaS13_S14_EUlS13_E_NS1_11comp_targetILNS1_3genE3ELNS1_11target_archE908ELNS1_3gpuE7ELNS1_3repE0EEENS1_30default_config_static_selectorELNS0_4arch9wavefront6targetE0EEEvT1_
                                        ; -- End function
	.set _ZN7rocprim17ROCPRIM_400000_NS6detail17trampoline_kernelINS0_14default_configENS1_25partition_config_selectorILNS1_17partition_subalgoE6EjNS0_10empty_typeEbEEZZNS1_14partition_implILS5_6ELb0ES3_mN6thrust23THRUST_200600_302600_NS6detail15normal_iteratorINSA_10device_ptrIjEEEEPS6_SG_NS0_5tupleIJSF_S6_EEENSH_IJSG_SG_EEES6_PlJNSB_9not_fun_tINSB_14equal_to_valueIjEEEEEEE10hipError_tPvRmT3_T4_T5_T6_T7_T9_mT8_P12ihipStream_tbDpT10_ENKUlT_T0_E_clISt17integral_constantIbLb1EES18_EEDaS13_S14_EUlS13_E_NS1_11comp_targetILNS1_3genE3ELNS1_11target_archE908ELNS1_3gpuE7ELNS1_3repE0EEENS1_30default_config_static_selectorELNS0_4arch9wavefront6targetE0EEEvT1_.num_vgpr, 0
	.set _ZN7rocprim17ROCPRIM_400000_NS6detail17trampoline_kernelINS0_14default_configENS1_25partition_config_selectorILNS1_17partition_subalgoE6EjNS0_10empty_typeEbEEZZNS1_14partition_implILS5_6ELb0ES3_mN6thrust23THRUST_200600_302600_NS6detail15normal_iteratorINSA_10device_ptrIjEEEEPS6_SG_NS0_5tupleIJSF_S6_EEENSH_IJSG_SG_EEES6_PlJNSB_9not_fun_tINSB_14equal_to_valueIjEEEEEEE10hipError_tPvRmT3_T4_T5_T6_T7_T9_mT8_P12ihipStream_tbDpT10_ENKUlT_T0_E_clISt17integral_constantIbLb1EES18_EEDaS13_S14_EUlS13_E_NS1_11comp_targetILNS1_3genE3ELNS1_11target_archE908ELNS1_3gpuE7ELNS1_3repE0EEENS1_30default_config_static_selectorELNS0_4arch9wavefront6targetE0EEEvT1_.num_agpr, 0
	.set _ZN7rocprim17ROCPRIM_400000_NS6detail17trampoline_kernelINS0_14default_configENS1_25partition_config_selectorILNS1_17partition_subalgoE6EjNS0_10empty_typeEbEEZZNS1_14partition_implILS5_6ELb0ES3_mN6thrust23THRUST_200600_302600_NS6detail15normal_iteratorINSA_10device_ptrIjEEEEPS6_SG_NS0_5tupleIJSF_S6_EEENSH_IJSG_SG_EEES6_PlJNSB_9not_fun_tINSB_14equal_to_valueIjEEEEEEE10hipError_tPvRmT3_T4_T5_T6_T7_T9_mT8_P12ihipStream_tbDpT10_ENKUlT_T0_E_clISt17integral_constantIbLb1EES18_EEDaS13_S14_EUlS13_E_NS1_11comp_targetILNS1_3genE3ELNS1_11target_archE908ELNS1_3gpuE7ELNS1_3repE0EEENS1_30default_config_static_selectorELNS0_4arch9wavefront6targetE0EEEvT1_.numbered_sgpr, 0
	.set _ZN7rocprim17ROCPRIM_400000_NS6detail17trampoline_kernelINS0_14default_configENS1_25partition_config_selectorILNS1_17partition_subalgoE6EjNS0_10empty_typeEbEEZZNS1_14partition_implILS5_6ELb0ES3_mN6thrust23THRUST_200600_302600_NS6detail15normal_iteratorINSA_10device_ptrIjEEEEPS6_SG_NS0_5tupleIJSF_S6_EEENSH_IJSG_SG_EEES6_PlJNSB_9not_fun_tINSB_14equal_to_valueIjEEEEEEE10hipError_tPvRmT3_T4_T5_T6_T7_T9_mT8_P12ihipStream_tbDpT10_ENKUlT_T0_E_clISt17integral_constantIbLb1EES18_EEDaS13_S14_EUlS13_E_NS1_11comp_targetILNS1_3genE3ELNS1_11target_archE908ELNS1_3gpuE7ELNS1_3repE0EEENS1_30default_config_static_selectorELNS0_4arch9wavefront6targetE0EEEvT1_.num_named_barrier, 0
	.set _ZN7rocprim17ROCPRIM_400000_NS6detail17trampoline_kernelINS0_14default_configENS1_25partition_config_selectorILNS1_17partition_subalgoE6EjNS0_10empty_typeEbEEZZNS1_14partition_implILS5_6ELb0ES3_mN6thrust23THRUST_200600_302600_NS6detail15normal_iteratorINSA_10device_ptrIjEEEEPS6_SG_NS0_5tupleIJSF_S6_EEENSH_IJSG_SG_EEES6_PlJNSB_9not_fun_tINSB_14equal_to_valueIjEEEEEEE10hipError_tPvRmT3_T4_T5_T6_T7_T9_mT8_P12ihipStream_tbDpT10_ENKUlT_T0_E_clISt17integral_constantIbLb1EES18_EEDaS13_S14_EUlS13_E_NS1_11comp_targetILNS1_3genE3ELNS1_11target_archE908ELNS1_3gpuE7ELNS1_3repE0EEENS1_30default_config_static_selectorELNS0_4arch9wavefront6targetE0EEEvT1_.private_seg_size, 0
	.set _ZN7rocprim17ROCPRIM_400000_NS6detail17trampoline_kernelINS0_14default_configENS1_25partition_config_selectorILNS1_17partition_subalgoE6EjNS0_10empty_typeEbEEZZNS1_14partition_implILS5_6ELb0ES3_mN6thrust23THRUST_200600_302600_NS6detail15normal_iteratorINSA_10device_ptrIjEEEEPS6_SG_NS0_5tupleIJSF_S6_EEENSH_IJSG_SG_EEES6_PlJNSB_9not_fun_tINSB_14equal_to_valueIjEEEEEEE10hipError_tPvRmT3_T4_T5_T6_T7_T9_mT8_P12ihipStream_tbDpT10_ENKUlT_T0_E_clISt17integral_constantIbLb1EES18_EEDaS13_S14_EUlS13_E_NS1_11comp_targetILNS1_3genE3ELNS1_11target_archE908ELNS1_3gpuE7ELNS1_3repE0EEENS1_30default_config_static_selectorELNS0_4arch9wavefront6targetE0EEEvT1_.uses_vcc, 0
	.set _ZN7rocprim17ROCPRIM_400000_NS6detail17trampoline_kernelINS0_14default_configENS1_25partition_config_selectorILNS1_17partition_subalgoE6EjNS0_10empty_typeEbEEZZNS1_14partition_implILS5_6ELb0ES3_mN6thrust23THRUST_200600_302600_NS6detail15normal_iteratorINSA_10device_ptrIjEEEEPS6_SG_NS0_5tupleIJSF_S6_EEENSH_IJSG_SG_EEES6_PlJNSB_9not_fun_tINSB_14equal_to_valueIjEEEEEEE10hipError_tPvRmT3_T4_T5_T6_T7_T9_mT8_P12ihipStream_tbDpT10_ENKUlT_T0_E_clISt17integral_constantIbLb1EES18_EEDaS13_S14_EUlS13_E_NS1_11comp_targetILNS1_3genE3ELNS1_11target_archE908ELNS1_3gpuE7ELNS1_3repE0EEENS1_30default_config_static_selectorELNS0_4arch9wavefront6targetE0EEEvT1_.uses_flat_scratch, 0
	.set _ZN7rocprim17ROCPRIM_400000_NS6detail17trampoline_kernelINS0_14default_configENS1_25partition_config_selectorILNS1_17partition_subalgoE6EjNS0_10empty_typeEbEEZZNS1_14partition_implILS5_6ELb0ES3_mN6thrust23THRUST_200600_302600_NS6detail15normal_iteratorINSA_10device_ptrIjEEEEPS6_SG_NS0_5tupleIJSF_S6_EEENSH_IJSG_SG_EEES6_PlJNSB_9not_fun_tINSB_14equal_to_valueIjEEEEEEE10hipError_tPvRmT3_T4_T5_T6_T7_T9_mT8_P12ihipStream_tbDpT10_ENKUlT_T0_E_clISt17integral_constantIbLb1EES18_EEDaS13_S14_EUlS13_E_NS1_11comp_targetILNS1_3genE3ELNS1_11target_archE908ELNS1_3gpuE7ELNS1_3repE0EEENS1_30default_config_static_selectorELNS0_4arch9wavefront6targetE0EEEvT1_.has_dyn_sized_stack, 0
	.set _ZN7rocprim17ROCPRIM_400000_NS6detail17trampoline_kernelINS0_14default_configENS1_25partition_config_selectorILNS1_17partition_subalgoE6EjNS0_10empty_typeEbEEZZNS1_14partition_implILS5_6ELb0ES3_mN6thrust23THRUST_200600_302600_NS6detail15normal_iteratorINSA_10device_ptrIjEEEEPS6_SG_NS0_5tupleIJSF_S6_EEENSH_IJSG_SG_EEES6_PlJNSB_9not_fun_tINSB_14equal_to_valueIjEEEEEEE10hipError_tPvRmT3_T4_T5_T6_T7_T9_mT8_P12ihipStream_tbDpT10_ENKUlT_T0_E_clISt17integral_constantIbLb1EES18_EEDaS13_S14_EUlS13_E_NS1_11comp_targetILNS1_3genE3ELNS1_11target_archE908ELNS1_3gpuE7ELNS1_3repE0EEENS1_30default_config_static_selectorELNS0_4arch9wavefront6targetE0EEEvT1_.has_recursion, 0
	.set _ZN7rocprim17ROCPRIM_400000_NS6detail17trampoline_kernelINS0_14default_configENS1_25partition_config_selectorILNS1_17partition_subalgoE6EjNS0_10empty_typeEbEEZZNS1_14partition_implILS5_6ELb0ES3_mN6thrust23THRUST_200600_302600_NS6detail15normal_iteratorINSA_10device_ptrIjEEEEPS6_SG_NS0_5tupleIJSF_S6_EEENSH_IJSG_SG_EEES6_PlJNSB_9not_fun_tINSB_14equal_to_valueIjEEEEEEE10hipError_tPvRmT3_T4_T5_T6_T7_T9_mT8_P12ihipStream_tbDpT10_ENKUlT_T0_E_clISt17integral_constantIbLb1EES18_EEDaS13_S14_EUlS13_E_NS1_11comp_targetILNS1_3genE3ELNS1_11target_archE908ELNS1_3gpuE7ELNS1_3repE0EEENS1_30default_config_static_selectorELNS0_4arch9wavefront6targetE0EEEvT1_.has_indirect_call, 0
	.section	.AMDGPU.csdata,"",@progbits
; Kernel info:
; codeLenInByte = 0
; TotalNumSgprs: 0
; NumVgprs: 0
; ScratchSize: 0
; MemoryBound: 0
; FloatMode: 240
; IeeeMode: 1
; LDSByteSize: 0 bytes/workgroup (compile time only)
; SGPRBlocks: 0
; VGPRBlocks: 0
; NumSGPRsForWavesPerEU: 1
; NumVGPRsForWavesPerEU: 1
; Occupancy: 16
; WaveLimiterHint : 0
; COMPUTE_PGM_RSRC2:SCRATCH_EN: 0
; COMPUTE_PGM_RSRC2:USER_SGPR: 2
; COMPUTE_PGM_RSRC2:TRAP_HANDLER: 0
; COMPUTE_PGM_RSRC2:TGID_X_EN: 1
; COMPUTE_PGM_RSRC2:TGID_Y_EN: 0
; COMPUTE_PGM_RSRC2:TGID_Z_EN: 0
; COMPUTE_PGM_RSRC2:TIDIG_COMP_CNT: 0
	.section	.text._ZN7rocprim17ROCPRIM_400000_NS6detail17trampoline_kernelINS0_14default_configENS1_25partition_config_selectorILNS1_17partition_subalgoE6EjNS0_10empty_typeEbEEZZNS1_14partition_implILS5_6ELb0ES3_mN6thrust23THRUST_200600_302600_NS6detail15normal_iteratorINSA_10device_ptrIjEEEEPS6_SG_NS0_5tupleIJSF_S6_EEENSH_IJSG_SG_EEES6_PlJNSB_9not_fun_tINSB_14equal_to_valueIjEEEEEEE10hipError_tPvRmT3_T4_T5_T6_T7_T9_mT8_P12ihipStream_tbDpT10_ENKUlT_T0_E_clISt17integral_constantIbLb1EES18_EEDaS13_S14_EUlS13_E_NS1_11comp_targetILNS1_3genE2ELNS1_11target_archE906ELNS1_3gpuE6ELNS1_3repE0EEENS1_30default_config_static_selectorELNS0_4arch9wavefront6targetE0EEEvT1_,"axG",@progbits,_ZN7rocprim17ROCPRIM_400000_NS6detail17trampoline_kernelINS0_14default_configENS1_25partition_config_selectorILNS1_17partition_subalgoE6EjNS0_10empty_typeEbEEZZNS1_14partition_implILS5_6ELb0ES3_mN6thrust23THRUST_200600_302600_NS6detail15normal_iteratorINSA_10device_ptrIjEEEEPS6_SG_NS0_5tupleIJSF_S6_EEENSH_IJSG_SG_EEES6_PlJNSB_9not_fun_tINSB_14equal_to_valueIjEEEEEEE10hipError_tPvRmT3_T4_T5_T6_T7_T9_mT8_P12ihipStream_tbDpT10_ENKUlT_T0_E_clISt17integral_constantIbLb1EES18_EEDaS13_S14_EUlS13_E_NS1_11comp_targetILNS1_3genE2ELNS1_11target_archE906ELNS1_3gpuE6ELNS1_3repE0EEENS1_30default_config_static_selectorELNS0_4arch9wavefront6targetE0EEEvT1_,comdat
	.protected	_ZN7rocprim17ROCPRIM_400000_NS6detail17trampoline_kernelINS0_14default_configENS1_25partition_config_selectorILNS1_17partition_subalgoE6EjNS0_10empty_typeEbEEZZNS1_14partition_implILS5_6ELb0ES3_mN6thrust23THRUST_200600_302600_NS6detail15normal_iteratorINSA_10device_ptrIjEEEEPS6_SG_NS0_5tupleIJSF_S6_EEENSH_IJSG_SG_EEES6_PlJNSB_9not_fun_tINSB_14equal_to_valueIjEEEEEEE10hipError_tPvRmT3_T4_T5_T6_T7_T9_mT8_P12ihipStream_tbDpT10_ENKUlT_T0_E_clISt17integral_constantIbLb1EES18_EEDaS13_S14_EUlS13_E_NS1_11comp_targetILNS1_3genE2ELNS1_11target_archE906ELNS1_3gpuE6ELNS1_3repE0EEENS1_30default_config_static_selectorELNS0_4arch9wavefront6targetE0EEEvT1_ ; -- Begin function _ZN7rocprim17ROCPRIM_400000_NS6detail17trampoline_kernelINS0_14default_configENS1_25partition_config_selectorILNS1_17partition_subalgoE6EjNS0_10empty_typeEbEEZZNS1_14partition_implILS5_6ELb0ES3_mN6thrust23THRUST_200600_302600_NS6detail15normal_iteratorINSA_10device_ptrIjEEEEPS6_SG_NS0_5tupleIJSF_S6_EEENSH_IJSG_SG_EEES6_PlJNSB_9not_fun_tINSB_14equal_to_valueIjEEEEEEE10hipError_tPvRmT3_T4_T5_T6_T7_T9_mT8_P12ihipStream_tbDpT10_ENKUlT_T0_E_clISt17integral_constantIbLb1EES18_EEDaS13_S14_EUlS13_E_NS1_11comp_targetILNS1_3genE2ELNS1_11target_archE906ELNS1_3gpuE6ELNS1_3repE0EEENS1_30default_config_static_selectorELNS0_4arch9wavefront6targetE0EEEvT1_
	.globl	_ZN7rocprim17ROCPRIM_400000_NS6detail17trampoline_kernelINS0_14default_configENS1_25partition_config_selectorILNS1_17partition_subalgoE6EjNS0_10empty_typeEbEEZZNS1_14partition_implILS5_6ELb0ES3_mN6thrust23THRUST_200600_302600_NS6detail15normal_iteratorINSA_10device_ptrIjEEEEPS6_SG_NS0_5tupleIJSF_S6_EEENSH_IJSG_SG_EEES6_PlJNSB_9not_fun_tINSB_14equal_to_valueIjEEEEEEE10hipError_tPvRmT3_T4_T5_T6_T7_T9_mT8_P12ihipStream_tbDpT10_ENKUlT_T0_E_clISt17integral_constantIbLb1EES18_EEDaS13_S14_EUlS13_E_NS1_11comp_targetILNS1_3genE2ELNS1_11target_archE906ELNS1_3gpuE6ELNS1_3repE0EEENS1_30default_config_static_selectorELNS0_4arch9wavefront6targetE0EEEvT1_
	.p2align	8
	.type	_ZN7rocprim17ROCPRIM_400000_NS6detail17trampoline_kernelINS0_14default_configENS1_25partition_config_selectorILNS1_17partition_subalgoE6EjNS0_10empty_typeEbEEZZNS1_14partition_implILS5_6ELb0ES3_mN6thrust23THRUST_200600_302600_NS6detail15normal_iteratorINSA_10device_ptrIjEEEEPS6_SG_NS0_5tupleIJSF_S6_EEENSH_IJSG_SG_EEES6_PlJNSB_9not_fun_tINSB_14equal_to_valueIjEEEEEEE10hipError_tPvRmT3_T4_T5_T6_T7_T9_mT8_P12ihipStream_tbDpT10_ENKUlT_T0_E_clISt17integral_constantIbLb1EES18_EEDaS13_S14_EUlS13_E_NS1_11comp_targetILNS1_3genE2ELNS1_11target_archE906ELNS1_3gpuE6ELNS1_3repE0EEENS1_30default_config_static_selectorELNS0_4arch9wavefront6targetE0EEEvT1_,@function
_ZN7rocprim17ROCPRIM_400000_NS6detail17trampoline_kernelINS0_14default_configENS1_25partition_config_selectorILNS1_17partition_subalgoE6EjNS0_10empty_typeEbEEZZNS1_14partition_implILS5_6ELb0ES3_mN6thrust23THRUST_200600_302600_NS6detail15normal_iteratorINSA_10device_ptrIjEEEEPS6_SG_NS0_5tupleIJSF_S6_EEENSH_IJSG_SG_EEES6_PlJNSB_9not_fun_tINSB_14equal_to_valueIjEEEEEEE10hipError_tPvRmT3_T4_T5_T6_T7_T9_mT8_P12ihipStream_tbDpT10_ENKUlT_T0_E_clISt17integral_constantIbLb1EES18_EEDaS13_S14_EUlS13_E_NS1_11comp_targetILNS1_3genE2ELNS1_11target_archE906ELNS1_3gpuE6ELNS1_3repE0EEENS1_30default_config_static_selectorELNS0_4arch9wavefront6targetE0EEEvT1_: ; @_ZN7rocprim17ROCPRIM_400000_NS6detail17trampoline_kernelINS0_14default_configENS1_25partition_config_selectorILNS1_17partition_subalgoE6EjNS0_10empty_typeEbEEZZNS1_14partition_implILS5_6ELb0ES3_mN6thrust23THRUST_200600_302600_NS6detail15normal_iteratorINSA_10device_ptrIjEEEEPS6_SG_NS0_5tupleIJSF_S6_EEENSH_IJSG_SG_EEES6_PlJNSB_9not_fun_tINSB_14equal_to_valueIjEEEEEEE10hipError_tPvRmT3_T4_T5_T6_T7_T9_mT8_P12ihipStream_tbDpT10_ENKUlT_T0_E_clISt17integral_constantIbLb1EES18_EEDaS13_S14_EUlS13_E_NS1_11comp_targetILNS1_3genE2ELNS1_11target_archE906ELNS1_3gpuE6ELNS1_3repE0EEENS1_30default_config_static_selectorELNS0_4arch9wavefront6targetE0EEEvT1_
; %bb.0:
	.section	.rodata,"a",@progbits
	.p2align	6, 0x0
	.amdhsa_kernel _ZN7rocprim17ROCPRIM_400000_NS6detail17trampoline_kernelINS0_14default_configENS1_25partition_config_selectorILNS1_17partition_subalgoE6EjNS0_10empty_typeEbEEZZNS1_14partition_implILS5_6ELb0ES3_mN6thrust23THRUST_200600_302600_NS6detail15normal_iteratorINSA_10device_ptrIjEEEEPS6_SG_NS0_5tupleIJSF_S6_EEENSH_IJSG_SG_EEES6_PlJNSB_9not_fun_tINSB_14equal_to_valueIjEEEEEEE10hipError_tPvRmT3_T4_T5_T6_T7_T9_mT8_P12ihipStream_tbDpT10_ENKUlT_T0_E_clISt17integral_constantIbLb1EES18_EEDaS13_S14_EUlS13_E_NS1_11comp_targetILNS1_3genE2ELNS1_11target_archE906ELNS1_3gpuE6ELNS1_3repE0EEENS1_30default_config_static_selectorELNS0_4arch9wavefront6targetE0EEEvT1_
		.amdhsa_group_segment_fixed_size 0
		.amdhsa_private_segment_fixed_size 0
		.amdhsa_kernarg_size 128
		.amdhsa_user_sgpr_count 2
		.amdhsa_user_sgpr_dispatch_ptr 0
		.amdhsa_user_sgpr_queue_ptr 0
		.amdhsa_user_sgpr_kernarg_segment_ptr 1
		.amdhsa_user_sgpr_dispatch_id 0
		.amdhsa_user_sgpr_private_segment_size 0
		.amdhsa_wavefront_size32 1
		.amdhsa_uses_dynamic_stack 0
		.amdhsa_enable_private_segment 0
		.amdhsa_system_sgpr_workgroup_id_x 1
		.amdhsa_system_sgpr_workgroup_id_y 0
		.amdhsa_system_sgpr_workgroup_id_z 0
		.amdhsa_system_sgpr_workgroup_info 0
		.amdhsa_system_vgpr_workitem_id 0
		.amdhsa_next_free_vgpr 1
		.amdhsa_next_free_sgpr 1
		.amdhsa_reserve_vcc 0
		.amdhsa_float_round_mode_32 0
		.amdhsa_float_round_mode_16_64 0
		.amdhsa_float_denorm_mode_32 3
		.amdhsa_float_denorm_mode_16_64 3
		.amdhsa_fp16_overflow 0
		.amdhsa_workgroup_processor_mode 1
		.amdhsa_memory_ordered 1
		.amdhsa_forward_progress 1
		.amdhsa_inst_pref_size 0
		.amdhsa_round_robin_scheduling 0
		.amdhsa_exception_fp_ieee_invalid_op 0
		.amdhsa_exception_fp_denorm_src 0
		.amdhsa_exception_fp_ieee_div_zero 0
		.amdhsa_exception_fp_ieee_overflow 0
		.amdhsa_exception_fp_ieee_underflow 0
		.amdhsa_exception_fp_ieee_inexact 0
		.amdhsa_exception_int_div_zero 0
	.end_amdhsa_kernel
	.section	.text._ZN7rocprim17ROCPRIM_400000_NS6detail17trampoline_kernelINS0_14default_configENS1_25partition_config_selectorILNS1_17partition_subalgoE6EjNS0_10empty_typeEbEEZZNS1_14partition_implILS5_6ELb0ES3_mN6thrust23THRUST_200600_302600_NS6detail15normal_iteratorINSA_10device_ptrIjEEEEPS6_SG_NS0_5tupleIJSF_S6_EEENSH_IJSG_SG_EEES6_PlJNSB_9not_fun_tINSB_14equal_to_valueIjEEEEEEE10hipError_tPvRmT3_T4_T5_T6_T7_T9_mT8_P12ihipStream_tbDpT10_ENKUlT_T0_E_clISt17integral_constantIbLb1EES18_EEDaS13_S14_EUlS13_E_NS1_11comp_targetILNS1_3genE2ELNS1_11target_archE906ELNS1_3gpuE6ELNS1_3repE0EEENS1_30default_config_static_selectorELNS0_4arch9wavefront6targetE0EEEvT1_,"axG",@progbits,_ZN7rocprim17ROCPRIM_400000_NS6detail17trampoline_kernelINS0_14default_configENS1_25partition_config_selectorILNS1_17partition_subalgoE6EjNS0_10empty_typeEbEEZZNS1_14partition_implILS5_6ELb0ES3_mN6thrust23THRUST_200600_302600_NS6detail15normal_iteratorINSA_10device_ptrIjEEEEPS6_SG_NS0_5tupleIJSF_S6_EEENSH_IJSG_SG_EEES6_PlJNSB_9not_fun_tINSB_14equal_to_valueIjEEEEEEE10hipError_tPvRmT3_T4_T5_T6_T7_T9_mT8_P12ihipStream_tbDpT10_ENKUlT_T0_E_clISt17integral_constantIbLb1EES18_EEDaS13_S14_EUlS13_E_NS1_11comp_targetILNS1_3genE2ELNS1_11target_archE906ELNS1_3gpuE6ELNS1_3repE0EEENS1_30default_config_static_selectorELNS0_4arch9wavefront6targetE0EEEvT1_,comdat
.Lfunc_end385:
	.size	_ZN7rocprim17ROCPRIM_400000_NS6detail17trampoline_kernelINS0_14default_configENS1_25partition_config_selectorILNS1_17partition_subalgoE6EjNS0_10empty_typeEbEEZZNS1_14partition_implILS5_6ELb0ES3_mN6thrust23THRUST_200600_302600_NS6detail15normal_iteratorINSA_10device_ptrIjEEEEPS6_SG_NS0_5tupleIJSF_S6_EEENSH_IJSG_SG_EEES6_PlJNSB_9not_fun_tINSB_14equal_to_valueIjEEEEEEE10hipError_tPvRmT3_T4_T5_T6_T7_T9_mT8_P12ihipStream_tbDpT10_ENKUlT_T0_E_clISt17integral_constantIbLb1EES18_EEDaS13_S14_EUlS13_E_NS1_11comp_targetILNS1_3genE2ELNS1_11target_archE906ELNS1_3gpuE6ELNS1_3repE0EEENS1_30default_config_static_selectorELNS0_4arch9wavefront6targetE0EEEvT1_, .Lfunc_end385-_ZN7rocprim17ROCPRIM_400000_NS6detail17trampoline_kernelINS0_14default_configENS1_25partition_config_selectorILNS1_17partition_subalgoE6EjNS0_10empty_typeEbEEZZNS1_14partition_implILS5_6ELb0ES3_mN6thrust23THRUST_200600_302600_NS6detail15normal_iteratorINSA_10device_ptrIjEEEEPS6_SG_NS0_5tupleIJSF_S6_EEENSH_IJSG_SG_EEES6_PlJNSB_9not_fun_tINSB_14equal_to_valueIjEEEEEEE10hipError_tPvRmT3_T4_T5_T6_T7_T9_mT8_P12ihipStream_tbDpT10_ENKUlT_T0_E_clISt17integral_constantIbLb1EES18_EEDaS13_S14_EUlS13_E_NS1_11comp_targetILNS1_3genE2ELNS1_11target_archE906ELNS1_3gpuE6ELNS1_3repE0EEENS1_30default_config_static_selectorELNS0_4arch9wavefront6targetE0EEEvT1_
                                        ; -- End function
	.set _ZN7rocprim17ROCPRIM_400000_NS6detail17trampoline_kernelINS0_14default_configENS1_25partition_config_selectorILNS1_17partition_subalgoE6EjNS0_10empty_typeEbEEZZNS1_14partition_implILS5_6ELb0ES3_mN6thrust23THRUST_200600_302600_NS6detail15normal_iteratorINSA_10device_ptrIjEEEEPS6_SG_NS0_5tupleIJSF_S6_EEENSH_IJSG_SG_EEES6_PlJNSB_9not_fun_tINSB_14equal_to_valueIjEEEEEEE10hipError_tPvRmT3_T4_T5_T6_T7_T9_mT8_P12ihipStream_tbDpT10_ENKUlT_T0_E_clISt17integral_constantIbLb1EES18_EEDaS13_S14_EUlS13_E_NS1_11comp_targetILNS1_3genE2ELNS1_11target_archE906ELNS1_3gpuE6ELNS1_3repE0EEENS1_30default_config_static_selectorELNS0_4arch9wavefront6targetE0EEEvT1_.num_vgpr, 0
	.set _ZN7rocprim17ROCPRIM_400000_NS6detail17trampoline_kernelINS0_14default_configENS1_25partition_config_selectorILNS1_17partition_subalgoE6EjNS0_10empty_typeEbEEZZNS1_14partition_implILS5_6ELb0ES3_mN6thrust23THRUST_200600_302600_NS6detail15normal_iteratorINSA_10device_ptrIjEEEEPS6_SG_NS0_5tupleIJSF_S6_EEENSH_IJSG_SG_EEES6_PlJNSB_9not_fun_tINSB_14equal_to_valueIjEEEEEEE10hipError_tPvRmT3_T4_T5_T6_T7_T9_mT8_P12ihipStream_tbDpT10_ENKUlT_T0_E_clISt17integral_constantIbLb1EES18_EEDaS13_S14_EUlS13_E_NS1_11comp_targetILNS1_3genE2ELNS1_11target_archE906ELNS1_3gpuE6ELNS1_3repE0EEENS1_30default_config_static_selectorELNS0_4arch9wavefront6targetE0EEEvT1_.num_agpr, 0
	.set _ZN7rocprim17ROCPRIM_400000_NS6detail17trampoline_kernelINS0_14default_configENS1_25partition_config_selectorILNS1_17partition_subalgoE6EjNS0_10empty_typeEbEEZZNS1_14partition_implILS5_6ELb0ES3_mN6thrust23THRUST_200600_302600_NS6detail15normal_iteratorINSA_10device_ptrIjEEEEPS6_SG_NS0_5tupleIJSF_S6_EEENSH_IJSG_SG_EEES6_PlJNSB_9not_fun_tINSB_14equal_to_valueIjEEEEEEE10hipError_tPvRmT3_T4_T5_T6_T7_T9_mT8_P12ihipStream_tbDpT10_ENKUlT_T0_E_clISt17integral_constantIbLb1EES18_EEDaS13_S14_EUlS13_E_NS1_11comp_targetILNS1_3genE2ELNS1_11target_archE906ELNS1_3gpuE6ELNS1_3repE0EEENS1_30default_config_static_selectorELNS0_4arch9wavefront6targetE0EEEvT1_.numbered_sgpr, 0
	.set _ZN7rocprim17ROCPRIM_400000_NS6detail17trampoline_kernelINS0_14default_configENS1_25partition_config_selectorILNS1_17partition_subalgoE6EjNS0_10empty_typeEbEEZZNS1_14partition_implILS5_6ELb0ES3_mN6thrust23THRUST_200600_302600_NS6detail15normal_iteratorINSA_10device_ptrIjEEEEPS6_SG_NS0_5tupleIJSF_S6_EEENSH_IJSG_SG_EEES6_PlJNSB_9not_fun_tINSB_14equal_to_valueIjEEEEEEE10hipError_tPvRmT3_T4_T5_T6_T7_T9_mT8_P12ihipStream_tbDpT10_ENKUlT_T0_E_clISt17integral_constantIbLb1EES18_EEDaS13_S14_EUlS13_E_NS1_11comp_targetILNS1_3genE2ELNS1_11target_archE906ELNS1_3gpuE6ELNS1_3repE0EEENS1_30default_config_static_selectorELNS0_4arch9wavefront6targetE0EEEvT1_.num_named_barrier, 0
	.set _ZN7rocprim17ROCPRIM_400000_NS6detail17trampoline_kernelINS0_14default_configENS1_25partition_config_selectorILNS1_17partition_subalgoE6EjNS0_10empty_typeEbEEZZNS1_14partition_implILS5_6ELb0ES3_mN6thrust23THRUST_200600_302600_NS6detail15normal_iteratorINSA_10device_ptrIjEEEEPS6_SG_NS0_5tupleIJSF_S6_EEENSH_IJSG_SG_EEES6_PlJNSB_9not_fun_tINSB_14equal_to_valueIjEEEEEEE10hipError_tPvRmT3_T4_T5_T6_T7_T9_mT8_P12ihipStream_tbDpT10_ENKUlT_T0_E_clISt17integral_constantIbLb1EES18_EEDaS13_S14_EUlS13_E_NS1_11comp_targetILNS1_3genE2ELNS1_11target_archE906ELNS1_3gpuE6ELNS1_3repE0EEENS1_30default_config_static_selectorELNS0_4arch9wavefront6targetE0EEEvT1_.private_seg_size, 0
	.set _ZN7rocprim17ROCPRIM_400000_NS6detail17trampoline_kernelINS0_14default_configENS1_25partition_config_selectorILNS1_17partition_subalgoE6EjNS0_10empty_typeEbEEZZNS1_14partition_implILS5_6ELb0ES3_mN6thrust23THRUST_200600_302600_NS6detail15normal_iteratorINSA_10device_ptrIjEEEEPS6_SG_NS0_5tupleIJSF_S6_EEENSH_IJSG_SG_EEES6_PlJNSB_9not_fun_tINSB_14equal_to_valueIjEEEEEEE10hipError_tPvRmT3_T4_T5_T6_T7_T9_mT8_P12ihipStream_tbDpT10_ENKUlT_T0_E_clISt17integral_constantIbLb1EES18_EEDaS13_S14_EUlS13_E_NS1_11comp_targetILNS1_3genE2ELNS1_11target_archE906ELNS1_3gpuE6ELNS1_3repE0EEENS1_30default_config_static_selectorELNS0_4arch9wavefront6targetE0EEEvT1_.uses_vcc, 0
	.set _ZN7rocprim17ROCPRIM_400000_NS6detail17trampoline_kernelINS0_14default_configENS1_25partition_config_selectorILNS1_17partition_subalgoE6EjNS0_10empty_typeEbEEZZNS1_14partition_implILS5_6ELb0ES3_mN6thrust23THRUST_200600_302600_NS6detail15normal_iteratorINSA_10device_ptrIjEEEEPS6_SG_NS0_5tupleIJSF_S6_EEENSH_IJSG_SG_EEES6_PlJNSB_9not_fun_tINSB_14equal_to_valueIjEEEEEEE10hipError_tPvRmT3_T4_T5_T6_T7_T9_mT8_P12ihipStream_tbDpT10_ENKUlT_T0_E_clISt17integral_constantIbLb1EES18_EEDaS13_S14_EUlS13_E_NS1_11comp_targetILNS1_3genE2ELNS1_11target_archE906ELNS1_3gpuE6ELNS1_3repE0EEENS1_30default_config_static_selectorELNS0_4arch9wavefront6targetE0EEEvT1_.uses_flat_scratch, 0
	.set _ZN7rocprim17ROCPRIM_400000_NS6detail17trampoline_kernelINS0_14default_configENS1_25partition_config_selectorILNS1_17partition_subalgoE6EjNS0_10empty_typeEbEEZZNS1_14partition_implILS5_6ELb0ES3_mN6thrust23THRUST_200600_302600_NS6detail15normal_iteratorINSA_10device_ptrIjEEEEPS6_SG_NS0_5tupleIJSF_S6_EEENSH_IJSG_SG_EEES6_PlJNSB_9not_fun_tINSB_14equal_to_valueIjEEEEEEE10hipError_tPvRmT3_T4_T5_T6_T7_T9_mT8_P12ihipStream_tbDpT10_ENKUlT_T0_E_clISt17integral_constantIbLb1EES18_EEDaS13_S14_EUlS13_E_NS1_11comp_targetILNS1_3genE2ELNS1_11target_archE906ELNS1_3gpuE6ELNS1_3repE0EEENS1_30default_config_static_selectorELNS0_4arch9wavefront6targetE0EEEvT1_.has_dyn_sized_stack, 0
	.set _ZN7rocprim17ROCPRIM_400000_NS6detail17trampoline_kernelINS0_14default_configENS1_25partition_config_selectorILNS1_17partition_subalgoE6EjNS0_10empty_typeEbEEZZNS1_14partition_implILS5_6ELb0ES3_mN6thrust23THRUST_200600_302600_NS6detail15normal_iteratorINSA_10device_ptrIjEEEEPS6_SG_NS0_5tupleIJSF_S6_EEENSH_IJSG_SG_EEES6_PlJNSB_9not_fun_tINSB_14equal_to_valueIjEEEEEEE10hipError_tPvRmT3_T4_T5_T6_T7_T9_mT8_P12ihipStream_tbDpT10_ENKUlT_T0_E_clISt17integral_constantIbLb1EES18_EEDaS13_S14_EUlS13_E_NS1_11comp_targetILNS1_3genE2ELNS1_11target_archE906ELNS1_3gpuE6ELNS1_3repE0EEENS1_30default_config_static_selectorELNS0_4arch9wavefront6targetE0EEEvT1_.has_recursion, 0
	.set _ZN7rocprim17ROCPRIM_400000_NS6detail17trampoline_kernelINS0_14default_configENS1_25partition_config_selectorILNS1_17partition_subalgoE6EjNS0_10empty_typeEbEEZZNS1_14partition_implILS5_6ELb0ES3_mN6thrust23THRUST_200600_302600_NS6detail15normal_iteratorINSA_10device_ptrIjEEEEPS6_SG_NS0_5tupleIJSF_S6_EEENSH_IJSG_SG_EEES6_PlJNSB_9not_fun_tINSB_14equal_to_valueIjEEEEEEE10hipError_tPvRmT3_T4_T5_T6_T7_T9_mT8_P12ihipStream_tbDpT10_ENKUlT_T0_E_clISt17integral_constantIbLb1EES18_EEDaS13_S14_EUlS13_E_NS1_11comp_targetILNS1_3genE2ELNS1_11target_archE906ELNS1_3gpuE6ELNS1_3repE0EEENS1_30default_config_static_selectorELNS0_4arch9wavefront6targetE0EEEvT1_.has_indirect_call, 0
	.section	.AMDGPU.csdata,"",@progbits
; Kernel info:
; codeLenInByte = 0
; TotalNumSgprs: 0
; NumVgprs: 0
; ScratchSize: 0
; MemoryBound: 0
; FloatMode: 240
; IeeeMode: 1
; LDSByteSize: 0 bytes/workgroup (compile time only)
; SGPRBlocks: 0
; VGPRBlocks: 0
; NumSGPRsForWavesPerEU: 1
; NumVGPRsForWavesPerEU: 1
; Occupancy: 16
; WaveLimiterHint : 0
; COMPUTE_PGM_RSRC2:SCRATCH_EN: 0
; COMPUTE_PGM_RSRC2:USER_SGPR: 2
; COMPUTE_PGM_RSRC2:TRAP_HANDLER: 0
; COMPUTE_PGM_RSRC2:TGID_X_EN: 1
; COMPUTE_PGM_RSRC2:TGID_Y_EN: 0
; COMPUTE_PGM_RSRC2:TGID_Z_EN: 0
; COMPUTE_PGM_RSRC2:TIDIG_COMP_CNT: 0
	.section	.text._ZN7rocprim17ROCPRIM_400000_NS6detail17trampoline_kernelINS0_14default_configENS1_25partition_config_selectorILNS1_17partition_subalgoE6EjNS0_10empty_typeEbEEZZNS1_14partition_implILS5_6ELb0ES3_mN6thrust23THRUST_200600_302600_NS6detail15normal_iteratorINSA_10device_ptrIjEEEEPS6_SG_NS0_5tupleIJSF_S6_EEENSH_IJSG_SG_EEES6_PlJNSB_9not_fun_tINSB_14equal_to_valueIjEEEEEEE10hipError_tPvRmT3_T4_T5_T6_T7_T9_mT8_P12ihipStream_tbDpT10_ENKUlT_T0_E_clISt17integral_constantIbLb1EES18_EEDaS13_S14_EUlS13_E_NS1_11comp_targetILNS1_3genE10ELNS1_11target_archE1200ELNS1_3gpuE4ELNS1_3repE0EEENS1_30default_config_static_selectorELNS0_4arch9wavefront6targetE0EEEvT1_,"axG",@progbits,_ZN7rocprim17ROCPRIM_400000_NS6detail17trampoline_kernelINS0_14default_configENS1_25partition_config_selectorILNS1_17partition_subalgoE6EjNS0_10empty_typeEbEEZZNS1_14partition_implILS5_6ELb0ES3_mN6thrust23THRUST_200600_302600_NS6detail15normal_iteratorINSA_10device_ptrIjEEEEPS6_SG_NS0_5tupleIJSF_S6_EEENSH_IJSG_SG_EEES6_PlJNSB_9not_fun_tINSB_14equal_to_valueIjEEEEEEE10hipError_tPvRmT3_T4_T5_T6_T7_T9_mT8_P12ihipStream_tbDpT10_ENKUlT_T0_E_clISt17integral_constantIbLb1EES18_EEDaS13_S14_EUlS13_E_NS1_11comp_targetILNS1_3genE10ELNS1_11target_archE1200ELNS1_3gpuE4ELNS1_3repE0EEENS1_30default_config_static_selectorELNS0_4arch9wavefront6targetE0EEEvT1_,comdat
	.protected	_ZN7rocprim17ROCPRIM_400000_NS6detail17trampoline_kernelINS0_14default_configENS1_25partition_config_selectorILNS1_17partition_subalgoE6EjNS0_10empty_typeEbEEZZNS1_14partition_implILS5_6ELb0ES3_mN6thrust23THRUST_200600_302600_NS6detail15normal_iteratorINSA_10device_ptrIjEEEEPS6_SG_NS0_5tupleIJSF_S6_EEENSH_IJSG_SG_EEES6_PlJNSB_9not_fun_tINSB_14equal_to_valueIjEEEEEEE10hipError_tPvRmT3_T4_T5_T6_T7_T9_mT8_P12ihipStream_tbDpT10_ENKUlT_T0_E_clISt17integral_constantIbLb1EES18_EEDaS13_S14_EUlS13_E_NS1_11comp_targetILNS1_3genE10ELNS1_11target_archE1200ELNS1_3gpuE4ELNS1_3repE0EEENS1_30default_config_static_selectorELNS0_4arch9wavefront6targetE0EEEvT1_ ; -- Begin function _ZN7rocprim17ROCPRIM_400000_NS6detail17trampoline_kernelINS0_14default_configENS1_25partition_config_selectorILNS1_17partition_subalgoE6EjNS0_10empty_typeEbEEZZNS1_14partition_implILS5_6ELb0ES3_mN6thrust23THRUST_200600_302600_NS6detail15normal_iteratorINSA_10device_ptrIjEEEEPS6_SG_NS0_5tupleIJSF_S6_EEENSH_IJSG_SG_EEES6_PlJNSB_9not_fun_tINSB_14equal_to_valueIjEEEEEEE10hipError_tPvRmT3_T4_T5_T6_T7_T9_mT8_P12ihipStream_tbDpT10_ENKUlT_T0_E_clISt17integral_constantIbLb1EES18_EEDaS13_S14_EUlS13_E_NS1_11comp_targetILNS1_3genE10ELNS1_11target_archE1200ELNS1_3gpuE4ELNS1_3repE0EEENS1_30default_config_static_selectorELNS0_4arch9wavefront6targetE0EEEvT1_
	.globl	_ZN7rocprim17ROCPRIM_400000_NS6detail17trampoline_kernelINS0_14default_configENS1_25partition_config_selectorILNS1_17partition_subalgoE6EjNS0_10empty_typeEbEEZZNS1_14partition_implILS5_6ELb0ES3_mN6thrust23THRUST_200600_302600_NS6detail15normal_iteratorINSA_10device_ptrIjEEEEPS6_SG_NS0_5tupleIJSF_S6_EEENSH_IJSG_SG_EEES6_PlJNSB_9not_fun_tINSB_14equal_to_valueIjEEEEEEE10hipError_tPvRmT3_T4_T5_T6_T7_T9_mT8_P12ihipStream_tbDpT10_ENKUlT_T0_E_clISt17integral_constantIbLb1EES18_EEDaS13_S14_EUlS13_E_NS1_11comp_targetILNS1_3genE10ELNS1_11target_archE1200ELNS1_3gpuE4ELNS1_3repE0EEENS1_30default_config_static_selectorELNS0_4arch9wavefront6targetE0EEEvT1_
	.p2align	8
	.type	_ZN7rocprim17ROCPRIM_400000_NS6detail17trampoline_kernelINS0_14default_configENS1_25partition_config_selectorILNS1_17partition_subalgoE6EjNS0_10empty_typeEbEEZZNS1_14partition_implILS5_6ELb0ES3_mN6thrust23THRUST_200600_302600_NS6detail15normal_iteratorINSA_10device_ptrIjEEEEPS6_SG_NS0_5tupleIJSF_S6_EEENSH_IJSG_SG_EEES6_PlJNSB_9not_fun_tINSB_14equal_to_valueIjEEEEEEE10hipError_tPvRmT3_T4_T5_T6_T7_T9_mT8_P12ihipStream_tbDpT10_ENKUlT_T0_E_clISt17integral_constantIbLb1EES18_EEDaS13_S14_EUlS13_E_NS1_11comp_targetILNS1_3genE10ELNS1_11target_archE1200ELNS1_3gpuE4ELNS1_3repE0EEENS1_30default_config_static_selectorELNS0_4arch9wavefront6targetE0EEEvT1_,@function
_ZN7rocprim17ROCPRIM_400000_NS6detail17trampoline_kernelINS0_14default_configENS1_25partition_config_selectorILNS1_17partition_subalgoE6EjNS0_10empty_typeEbEEZZNS1_14partition_implILS5_6ELb0ES3_mN6thrust23THRUST_200600_302600_NS6detail15normal_iteratorINSA_10device_ptrIjEEEEPS6_SG_NS0_5tupleIJSF_S6_EEENSH_IJSG_SG_EEES6_PlJNSB_9not_fun_tINSB_14equal_to_valueIjEEEEEEE10hipError_tPvRmT3_T4_T5_T6_T7_T9_mT8_P12ihipStream_tbDpT10_ENKUlT_T0_E_clISt17integral_constantIbLb1EES18_EEDaS13_S14_EUlS13_E_NS1_11comp_targetILNS1_3genE10ELNS1_11target_archE1200ELNS1_3gpuE4ELNS1_3repE0EEENS1_30default_config_static_selectorELNS0_4arch9wavefront6targetE0EEEvT1_: ; @_ZN7rocprim17ROCPRIM_400000_NS6detail17trampoline_kernelINS0_14default_configENS1_25partition_config_selectorILNS1_17partition_subalgoE6EjNS0_10empty_typeEbEEZZNS1_14partition_implILS5_6ELb0ES3_mN6thrust23THRUST_200600_302600_NS6detail15normal_iteratorINSA_10device_ptrIjEEEEPS6_SG_NS0_5tupleIJSF_S6_EEENSH_IJSG_SG_EEES6_PlJNSB_9not_fun_tINSB_14equal_to_valueIjEEEEEEE10hipError_tPvRmT3_T4_T5_T6_T7_T9_mT8_P12ihipStream_tbDpT10_ENKUlT_T0_E_clISt17integral_constantIbLb1EES18_EEDaS13_S14_EUlS13_E_NS1_11comp_targetILNS1_3genE10ELNS1_11target_archE1200ELNS1_3gpuE4ELNS1_3repE0EEENS1_30default_config_static_selectorELNS0_4arch9wavefront6targetE0EEEvT1_
; %bb.0:
	s_endpgm
	.section	.rodata,"a",@progbits
	.p2align	6, 0x0
	.amdhsa_kernel _ZN7rocprim17ROCPRIM_400000_NS6detail17trampoline_kernelINS0_14default_configENS1_25partition_config_selectorILNS1_17partition_subalgoE6EjNS0_10empty_typeEbEEZZNS1_14partition_implILS5_6ELb0ES3_mN6thrust23THRUST_200600_302600_NS6detail15normal_iteratorINSA_10device_ptrIjEEEEPS6_SG_NS0_5tupleIJSF_S6_EEENSH_IJSG_SG_EEES6_PlJNSB_9not_fun_tINSB_14equal_to_valueIjEEEEEEE10hipError_tPvRmT3_T4_T5_T6_T7_T9_mT8_P12ihipStream_tbDpT10_ENKUlT_T0_E_clISt17integral_constantIbLb1EES18_EEDaS13_S14_EUlS13_E_NS1_11comp_targetILNS1_3genE10ELNS1_11target_archE1200ELNS1_3gpuE4ELNS1_3repE0EEENS1_30default_config_static_selectorELNS0_4arch9wavefront6targetE0EEEvT1_
		.amdhsa_group_segment_fixed_size 0
		.amdhsa_private_segment_fixed_size 0
		.amdhsa_kernarg_size 128
		.amdhsa_user_sgpr_count 2
		.amdhsa_user_sgpr_dispatch_ptr 0
		.amdhsa_user_sgpr_queue_ptr 0
		.amdhsa_user_sgpr_kernarg_segment_ptr 1
		.amdhsa_user_sgpr_dispatch_id 0
		.amdhsa_user_sgpr_private_segment_size 0
		.amdhsa_wavefront_size32 1
		.amdhsa_uses_dynamic_stack 0
		.amdhsa_enable_private_segment 0
		.amdhsa_system_sgpr_workgroup_id_x 1
		.amdhsa_system_sgpr_workgroup_id_y 0
		.amdhsa_system_sgpr_workgroup_id_z 0
		.amdhsa_system_sgpr_workgroup_info 0
		.amdhsa_system_vgpr_workitem_id 0
		.amdhsa_next_free_vgpr 1
		.amdhsa_next_free_sgpr 1
		.amdhsa_reserve_vcc 0
		.amdhsa_float_round_mode_32 0
		.amdhsa_float_round_mode_16_64 0
		.amdhsa_float_denorm_mode_32 3
		.amdhsa_float_denorm_mode_16_64 3
		.amdhsa_fp16_overflow 0
		.amdhsa_workgroup_processor_mode 1
		.amdhsa_memory_ordered 1
		.amdhsa_forward_progress 1
		.amdhsa_inst_pref_size 1
		.amdhsa_round_robin_scheduling 0
		.amdhsa_exception_fp_ieee_invalid_op 0
		.amdhsa_exception_fp_denorm_src 0
		.amdhsa_exception_fp_ieee_div_zero 0
		.amdhsa_exception_fp_ieee_overflow 0
		.amdhsa_exception_fp_ieee_underflow 0
		.amdhsa_exception_fp_ieee_inexact 0
		.amdhsa_exception_int_div_zero 0
	.end_amdhsa_kernel
	.section	.text._ZN7rocprim17ROCPRIM_400000_NS6detail17trampoline_kernelINS0_14default_configENS1_25partition_config_selectorILNS1_17partition_subalgoE6EjNS0_10empty_typeEbEEZZNS1_14partition_implILS5_6ELb0ES3_mN6thrust23THRUST_200600_302600_NS6detail15normal_iteratorINSA_10device_ptrIjEEEEPS6_SG_NS0_5tupleIJSF_S6_EEENSH_IJSG_SG_EEES6_PlJNSB_9not_fun_tINSB_14equal_to_valueIjEEEEEEE10hipError_tPvRmT3_T4_T5_T6_T7_T9_mT8_P12ihipStream_tbDpT10_ENKUlT_T0_E_clISt17integral_constantIbLb1EES18_EEDaS13_S14_EUlS13_E_NS1_11comp_targetILNS1_3genE10ELNS1_11target_archE1200ELNS1_3gpuE4ELNS1_3repE0EEENS1_30default_config_static_selectorELNS0_4arch9wavefront6targetE0EEEvT1_,"axG",@progbits,_ZN7rocprim17ROCPRIM_400000_NS6detail17trampoline_kernelINS0_14default_configENS1_25partition_config_selectorILNS1_17partition_subalgoE6EjNS0_10empty_typeEbEEZZNS1_14partition_implILS5_6ELb0ES3_mN6thrust23THRUST_200600_302600_NS6detail15normal_iteratorINSA_10device_ptrIjEEEEPS6_SG_NS0_5tupleIJSF_S6_EEENSH_IJSG_SG_EEES6_PlJNSB_9not_fun_tINSB_14equal_to_valueIjEEEEEEE10hipError_tPvRmT3_T4_T5_T6_T7_T9_mT8_P12ihipStream_tbDpT10_ENKUlT_T0_E_clISt17integral_constantIbLb1EES18_EEDaS13_S14_EUlS13_E_NS1_11comp_targetILNS1_3genE10ELNS1_11target_archE1200ELNS1_3gpuE4ELNS1_3repE0EEENS1_30default_config_static_selectorELNS0_4arch9wavefront6targetE0EEEvT1_,comdat
.Lfunc_end386:
	.size	_ZN7rocprim17ROCPRIM_400000_NS6detail17trampoline_kernelINS0_14default_configENS1_25partition_config_selectorILNS1_17partition_subalgoE6EjNS0_10empty_typeEbEEZZNS1_14partition_implILS5_6ELb0ES3_mN6thrust23THRUST_200600_302600_NS6detail15normal_iteratorINSA_10device_ptrIjEEEEPS6_SG_NS0_5tupleIJSF_S6_EEENSH_IJSG_SG_EEES6_PlJNSB_9not_fun_tINSB_14equal_to_valueIjEEEEEEE10hipError_tPvRmT3_T4_T5_T6_T7_T9_mT8_P12ihipStream_tbDpT10_ENKUlT_T0_E_clISt17integral_constantIbLb1EES18_EEDaS13_S14_EUlS13_E_NS1_11comp_targetILNS1_3genE10ELNS1_11target_archE1200ELNS1_3gpuE4ELNS1_3repE0EEENS1_30default_config_static_selectorELNS0_4arch9wavefront6targetE0EEEvT1_, .Lfunc_end386-_ZN7rocprim17ROCPRIM_400000_NS6detail17trampoline_kernelINS0_14default_configENS1_25partition_config_selectorILNS1_17partition_subalgoE6EjNS0_10empty_typeEbEEZZNS1_14partition_implILS5_6ELb0ES3_mN6thrust23THRUST_200600_302600_NS6detail15normal_iteratorINSA_10device_ptrIjEEEEPS6_SG_NS0_5tupleIJSF_S6_EEENSH_IJSG_SG_EEES6_PlJNSB_9not_fun_tINSB_14equal_to_valueIjEEEEEEE10hipError_tPvRmT3_T4_T5_T6_T7_T9_mT8_P12ihipStream_tbDpT10_ENKUlT_T0_E_clISt17integral_constantIbLb1EES18_EEDaS13_S14_EUlS13_E_NS1_11comp_targetILNS1_3genE10ELNS1_11target_archE1200ELNS1_3gpuE4ELNS1_3repE0EEENS1_30default_config_static_selectorELNS0_4arch9wavefront6targetE0EEEvT1_
                                        ; -- End function
	.set _ZN7rocprim17ROCPRIM_400000_NS6detail17trampoline_kernelINS0_14default_configENS1_25partition_config_selectorILNS1_17partition_subalgoE6EjNS0_10empty_typeEbEEZZNS1_14partition_implILS5_6ELb0ES3_mN6thrust23THRUST_200600_302600_NS6detail15normal_iteratorINSA_10device_ptrIjEEEEPS6_SG_NS0_5tupleIJSF_S6_EEENSH_IJSG_SG_EEES6_PlJNSB_9not_fun_tINSB_14equal_to_valueIjEEEEEEE10hipError_tPvRmT3_T4_T5_T6_T7_T9_mT8_P12ihipStream_tbDpT10_ENKUlT_T0_E_clISt17integral_constantIbLb1EES18_EEDaS13_S14_EUlS13_E_NS1_11comp_targetILNS1_3genE10ELNS1_11target_archE1200ELNS1_3gpuE4ELNS1_3repE0EEENS1_30default_config_static_selectorELNS0_4arch9wavefront6targetE0EEEvT1_.num_vgpr, 0
	.set _ZN7rocprim17ROCPRIM_400000_NS6detail17trampoline_kernelINS0_14default_configENS1_25partition_config_selectorILNS1_17partition_subalgoE6EjNS0_10empty_typeEbEEZZNS1_14partition_implILS5_6ELb0ES3_mN6thrust23THRUST_200600_302600_NS6detail15normal_iteratorINSA_10device_ptrIjEEEEPS6_SG_NS0_5tupleIJSF_S6_EEENSH_IJSG_SG_EEES6_PlJNSB_9not_fun_tINSB_14equal_to_valueIjEEEEEEE10hipError_tPvRmT3_T4_T5_T6_T7_T9_mT8_P12ihipStream_tbDpT10_ENKUlT_T0_E_clISt17integral_constantIbLb1EES18_EEDaS13_S14_EUlS13_E_NS1_11comp_targetILNS1_3genE10ELNS1_11target_archE1200ELNS1_3gpuE4ELNS1_3repE0EEENS1_30default_config_static_selectorELNS0_4arch9wavefront6targetE0EEEvT1_.num_agpr, 0
	.set _ZN7rocprim17ROCPRIM_400000_NS6detail17trampoline_kernelINS0_14default_configENS1_25partition_config_selectorILNS1_17partition_subalgoE6EjNS0_10empty_typeEbEEZZNS1_14partition_implILS5_6ELb0ES3_mN6thrust23THRUST_200600_302600_NS6detail15normal_iteratorINSA_10device_ptrIjEEEEPS6_SG_NS0_5tupleIJSF_S6_EEENSH_IJSG_SG_EEES6_PlJNSB_9not_fun_tINSB_14equal_to_valueIjEEEEEEE10hipError_tPvRmT3_T4_T5_T6_T7_T9_mT8_P12ihipStream_tbDpT10_ENKUlT_T0_E_clISt17integral_constantIbLb1EES18_EEDaS13_S14_EUlS13_E_NS1_11comp_targetILNS1_3genE10ELNS1_11target_archE1200ELNS1_3gpuE4ELNS1_3repE0EEENS1_30default_config_static_selectorELNS0_4arch9wavefront6targetE0EEEvT1_.numbered_sgpr, 0
	.set _ZN7rocprim17ROCPRIM_400000_NS6detail17trampoline_kernelINS0_14default_configENS1_25partition_config_selectorILNS1_17partition_subalgoE6EjNS0_10empty_typeEbEEZZNS1_14partition_implILS5_6ELb0ES3_mN6thrust23THRUST_200600_302600_NS6detail15normal_iteratorINSA_10device_ptrIjEEEEPS6_SG_NS0_5tupleIJSF_S6_EEENSH_IJSG_SG_EEES6_PlJNSB_9not_fun_tINSB_14equal_to_valueIjEEEEEEE10hipError_tPvRmT3_T4_T5_T6_T7_T9_mT8_P12ihipStream_tbDpT10_ENKUlT_T0_E_clISt17integral_constantIbLb1EES18_EEDaS13_S14_EUlS13_E_NS1_11comp_targetILNS1_3genE10ELNS1_11target_archE1200ELNS1_3gpuE4ELNS1_3repE0EEENS1_30default_config_static_selectorELNS0_4arch9wavefront6targetE0EEEvT1_.num_named_barrier, 0
	.set _ZN7rocprim17ROCPRIM_400000_NS6detail17trampoline_kernelINS0_14default_configENS1_25partition_config_selectorILNS1_17partition_subalgoE6EjNS0_10empty_typeEbEEZZNS1_14partition_implILS5_6ELb0ES3_mN6thrust23THRUST_200600_302600_NS6detail15normal_iteratorINSA_10device_ptrIjEEEEPS6_SG_NS0_5tupleIJSF_S6_EEENSH_IJSG_SG_EEES6_PlJNSB_9not_fun_tINSB_14equal_to_valueIjEEEEEEE10hipError_tPvRmT3_T4_T5_T6_T7_T9_mT8_P12ihipStream_tbDpT10_ENKUlT_T0_E_clISt17integral_constantIbLb1EES18_EEDaS13_S14_EUlS13_E_NS1_11comp_targetILNS1_3genE10ELNS1_11target_archE1200ELNS1_3gpuE4ELNS1_3repE0EEENS1_30default_config_static_selectorELNS0_4arch9wavefront6targetE0EEEvT1_.private_seg_size, 0
	.set _ZN7rocprim17ROCPRIM_400000_NS6detail17trampoline_kernelINS0_14default_configENS1_25partition_config_selectorILNS1_17partition_subalgoE6EjNS0_10empty_typeEbEEZZNS1_14partition_implILS5_6ELb0ES3_mN6thrust23THRUST_200600_302600_NS6detail15normal_iteratorINSA_10device_ptrIjEEEEPS6_SG_NS0_5tupleIJSF_S6_EEENSH_IJSG_SG_EEES6_PlJNSB_9not_fun_tINSB_14equal_to_valueIjEEEEEEE10hipError_tPvRmT3_T4_T5_T6_T7_T9_mT8_P12ihipStream_tbDpT10_ENKUlT_T0_E_clISt17integral_constantIbLb1EES18_EEDaS13_S14_EUlS13_E_NS1_11comp_targetILNS1_3genE10ELNS1_11target_archE1200ELNS1_3gpuE4ELNS1_3repE0EEENS1_30default_config_static_selectorELNS0_4arch9wavefront6targetE0EEEvT1_.uses_vcc, 0
	.set _ZN7rocprim17ROCPRIM_400000_NS6detail17trampoline_kernelINS0_14default_configENS1_25partition_config_selectorILNS1_17partition_subalgoE6EjNS0_10empty_typeEbEEZZNS1_14partition_implILS5_6ELb0ES3_mN6thrust23THRUST_200600_302600_NS6detail15normal_iteratorINSA_10device_ptrIjEEEEPS6_SG_NS0_5tupleIJSF_S6_EEENSH_IJSG_SG_EEES6_PlJNSB_9not_fun_tINSB_14equal_to_valueIjEEEEEEE10hipError_tPvRmT3_T4_T5_T6_T7_T9_mT8_P12ihipStream_tbDpT10_ENKUlT_T0_E_clISt17integral_constantIbLb1EES18_EEDaS13_S14_EUlS13_E_NS1_11comp_targetILNS1_3genE10ELNS1_11target_archE1200ELNS1_3gpuE4ELNS1_3repE0EEENS1_30default_config_static_selectorELNS0_4arch9wavefront6targetE0EEEvT1_.uses_flat_scratch, 0
	.set _ZN7rocprim17ROCPRIM_400000_NS6detail17trampoline_kernelINS0_14default_configENS1_25partition_config_selectorILNS1_17partition_subalgoE6EjNS0_10empty_typeEbEEZZNS1_14partition_implILS5_6ELb0ES3_mN6thrust23THRUST_200600_302600_NS6detail15normal_iteratorINSA_10device_ptrIjEEEEPS6_SG_NS0_5tupleIJSF_S6_EEENSH_IJSG_SG_EEES6_PlJNSB_9not_fun_tINSB_14equal_to_valueIjEEEEEEE10hipError_tPvRmT3_T4_T5_T6_T7_T9_mT8_P12ihipStream_tbDpT10_ENKUlT_T0_E_clISt17integral_constantIbLb1EES18_EEDaS13_S14_EUlS13_E_NS1_11comp_targetILNS1_3genE10ELNS1_11target_archE1200ELNS1_3gpuE4ELNS1_3repE0EEENS1_30default_config_static_selectorELNS0_4arch9wavefront6targetE0EEEvT1_.has_dyn_sized_stack, 0
	.set _ZN7rocprim17ROCPRIM_400000_NS6detail17trampoline_kernelINS0_14default_configENS1_25partition_config_selectorILNS1_17partition_subalgoE6EjNS0_10empty_typeEbEEZZNS1_14partition_implILS5_6ELb0ES3_mN6thrust23THRUST_200600_302600_NS6detail15normal_iteratorINSA_10device_ptrIjEEEEPS6_SG_NS0_5tupleIJSF_S6_EEENSH_IJSG_SG_EEES6_PlJNSB_9not_fun_tINSB_14equal_to_valueIjEEEEEEE10hipError_tPvRmT3_T4_T5_T6_T7_T9_mT8_P12ihipStream_tbDpT10_ENKUlT_T0_E_clISt17integral_constantIbLb1EES18_EEDaS13_S14_EUlS13_E_NS1_11comp_targetILNS1_3genE10ELNS1_11target_archE1200ELNS1_3gpuE4ELNS1_3repE0EEENS1_30default_config_static_selectorELNS0_4arch9wavefront6targetE0EEEvT1_.has_recursion, 0
	.set _ZN7rocprim17ROCPRIM_400000_NS6detail17trampoline_kernelINS0_14default_configENS1_25partition_config_selectorILNS1_17partition_subalgoE6EjNS0_10empty_typeEbEEZZNS1_14partition_implILS5_6ELb0ES3_mN6thrust23THRUST_200600_302600_NS6detail15normal_iteratorINSA_10device_ptrIjEEEEPS6_SG_NS0_5tupleIJSF_S6_EEENSH_IJSG_SG_EEES6_PlJNSB_9not_fun_tINSB_14equal_to_valueIjEEEEEEE10hipError_tPvRmT3_T4_T5_T6_T7_T9_mT8_P12ihipStream_tbDpT10_ENKUlT_T0_E_clISt17integral_constantIbLb1EES18_EEDaS13_S14_EUlS13_E_NS1_11comp_targetILNS1_3genE10ELNS1_11target_archE1200ELNS1_3gpuE4ELNS1_3repE0EEENS1_30default_config_static_selectorELNS0_4arch9wavefront6targetE0EEEvT1_.has_indirect_call, 0
	.section	.AMDGPU.csdata,"",@progbits
; Kernel info:
; codeLenInByte = 4
; TotalNumSgprs: 0
; NumVgprs: 0
; ScratchSize: 0
; MemoryBound: 0
; FloatMode: 240
; IeeeMode: 1
; LDSByteSize: 0 bytes/workgroup (compile time only)
; SGPRBlocks: 0
; VGPRBlocks: 0
; NumSGPRsForWavesPerEU: 1
; NumVGPRsForWavesPerEU: 1
; Occupancy: 16
; WaveLimiterHint : 0
; COMPUTE_PGM_RSRC2:SCRATCH_EN: 0
; COMPUTE_PGM_RSRC2:USER_SGPR: 2
; COMPUTE_PGM_RSRC2:TRAP_HANDLER: 0
; COMPUTE_PGM_RSRC2:TGID_X_EN: 1
; COMPUTE_PGM_RSRC2:TGID_Y_EN: 0
; COMPUTE_PGM_RSRC2:TGID_Z_EN: 0
; COMPUTE_PGM_RSRC2:TIDIG_COMP_CNT: 0
	.section	.text._ZN7rocprim17ROCPRIM_400000_NS6detail17trampoline_kernelINS0_14default_configENS1_25partition_config_selectorILNS1_17partition_subalgoE6EjNS0_10empty_typeEbEEZZNS1_14partition_implILS5_6ELb0ES3_mN6thrust23THRUST_200600_302600_NS6detail15normal_iteratorINSA_10device_ptrIjEEEEPS6_SG_NS0_5tupleIJSF_S6_EEENSH_IJSG_SG_EEES6_PlJNSB_9not_fun_tINSB_14equal_to_valueIjEEEEEEE10hipError_tPvRmT3_T4_T5_T6_T7_T9_mT8_P12ihipStream_tbDpT10_ENKUlT_T0_E_clISt17integral_constantIbLb1EES18_EEDaS13_S14_EUlS13_E_NS1_11comp_targetILNS1_3genE9ELNS1_11target_archE1100ELNS1_3gpuE3ELNS1_3repE0EEENS1_30default_config_static_selectorELNS0_4arch9wavefront6targetE0EEEvT1_,"axG",@progbits,_ZN7rocprim17ROCPRIM_400000_NS6detail17trampoline_kernelINS0_14default_configENS1_25partition_config_selectorILNS1_17partition_subalgoE6EjNS0_10empty_typeEbEEZZNS1_14partition_implILS5_6ELb0ES3_mN6thrust23THRUST_200600_302600_NS6detail15normal_iteratorINSA_10device_ptrIjEEEEPS6_SG_NS0_5tupleIJSF_S6_EEENSH_IJSG_SG_EEES6_PlJNSB_9not_fun_tINSB_14equal_to_valueIjEEEEEEE10hipError_tPvRmT3_T4_T5_T6_T7_T9_mT8_P12ihipStream_tbDpT10_ENKUlT_T0_E_clISt17integral_constantIbLb1EES18_EEDaS13_S14_EUlS13_E_NS1_11comp_targetILNS1_3genE9ELNS1_11target_archE1100ELNS1_3gpuE3ELNS1_3repE0EEENS1_30default_config_static_selectorELNS0_4arch9wavefront6targetE0EEEvT1_,comdat
	.protected	_ZN7rocprim17ROCPRIM_400000_NS6detail17trampoline_kernelINS0_14default_configENS1_25partition_config_selectorILNS1_17partition_subalgoE6EjNS0_10empty_typeEbEEZZNS1_14partition_implILS5_6ELb0ES3_mN6thrust23THRUST_200600_302600_NS6detail15normal_iteratorINSA_10device_ptrIjEEEEPS6_SG_NS0_5tupleIJSF_S6_EEENSH_IJSG_SG_EEES6_PlJNSB_9not_fun_tINSB_14equal_to_valueIjEEEEEEE10hipError_tPvRmT3_T4_T5_T6_T7_T9_mT8_P12ihipStream_tbDpT10_ENKUlT_T0_E_clISt17integral_constantIbLb1EES18_EEDaS13_S14_EUlS13_E_NS1_11comp_targetILNS1_3genE9ELNS1_11target_archE1100ELNS1_3gpuE3ELNS1_3repE0EEENS1_30default_config_static_selectorELNS0_4arch9wavefront6targetE0EEEvT1_ ; -- Begin function _ZN7rocprim17ROCPRIM_400000_NS6detail17trampoline_kernelINS0_14default_configENS1_25partition_config_selectorILNS1_17partition_subalgoE6EjNS0_10empty_typeEbEEZZNS1_14partition_implILS5_6ELb0ES3_mN6thrust23THRUST_200600_302600_NS6detail15normal_iteratorINSA_10device_ptrIjEEEEPS6_SG_NS0_5tupleIJSF_S6_EEENSH_IJSG_SG_EEES6_PlJNSB_9not_fun_tINSB_14equal_to_valueIjEEEEEEE10hipError_tPvRmT3_T4_T5_T6_T7_T9_mT8_P12ihipStream_tbDpT10_ENKUlT_T0_E_clISt17integral_constantIbLb1EES18_EEDaS13_S14_EUlS13_E_NS1_11comp_targetILNS1_3genE9ELNS1_11target_archE1100ELNS1_3gpuE3ELNS1_3repE0EEENS1_30default_config_static_selectorELNS0_4arch9wavefront6targetE0EEEvT1_
	.globl	_ZN7rocprim17ROCPRIM_400000_NS6detail17trampoline_kernelINS0_14default_configENS1_25partition_config_selectorILNS1_17partition_subalgoE6EjNS0_10empty_typeEbEEZZNS1_14partition_implILS5_6ELb0ES3_mN6thrust23THRUST_200600_302600_NS6detail15normal_iteratorINSA_10device_ptrIjEEEEPS6_SG_NS0_5tupleIJSF_S6_EEENSH_IJSG_SG_EEES6_PlJNSB_9not_fun_tINSB_14equal_to_valueIjEEEEEEE10hipError_tPvRmT3_T4_T5_T6_T7_T9_mT8_P12ihipStream_tbDpT10_ENKUlT_T0_E_clISt17integral_constantIbLb1EES18_EEDaS13_S14_EUlS13_E_NS1_11comp_targetILNS1_3genE9ELNS1_11target_archE1100ELNS1_3gpuE3ELNS1_3repE0EEENS1_30default_config_static_selectorELNS0_4arch9wavefront6targetE0EEEvT1_
	.p2align	8
	.type	_ZN7rocprim17ROCPRIM_400000_NS6detail17trampoline_kernelINS0_14default_configENS1_25partition_config_selectorILNS1_17partition_subalgoE6EjNS0_10empty_typeEbEEZZNS1_14partition_implILS5_6ELb0ES3_mN6thrust23THRUST_200600_302600_NS6detail15normal_iteratorINSA_10device_ptrIjEEEEPS6_SG_NS0_5tupleIJSF_S6_EEENSH_IJSG_SG_EEES6_PlJNSB_9not_fun_tINSB_14equal_to_valueIjEEEEEEE10hipError_tPvRmT3_T4_T5_T6_T7_T9_mT8_P12ihipStream_tbDpT10_ENKUlT_T0_E_clISt17integral_constantIbLb1EES18_EEDaS13_S14_EUlS13_E_NS1_11comp_targetILNS1_3genE9ELNS1_11target_archE1100ELNS1_3gpuE3ELNS1_3repE0EEENS1_30default_config_static_selectorELNS0_4arch9wavefront6targetE0EEEvT1_,@function
_ZN7rocprim17ROCPRIM_400000_NS6detail17trampoline_kernelINS0_14default_configENS1_25partition_config_selectorILNS1_17partition_subalgoE6EjNS0_10empty_typeEbEEZZNS1_14partition_implILS5_6ELb0ES3_mN6thrust23THRUST_200600_302600_NS6detail15normal_iteratorINSA_10device_ptrIjEEEEPS6_SG_NS0_5tupleIJSF_S6_EEENSH_IJSG_SG_EEES6_PlJNSB_9not_fun_tINSB_14equal_to_valueIjEEEEEEE10hipError_tPvRmT3_T4_T5_T6_T7_T9_mT8_P12ihipStream_tbDpT10_ENKUlT_T0_E_clISt17integral_constantIbLb1EES18_EEDaS13_S14_EUlS13_E_NS1_11comp_targetILNS1_3genE9ELNS1_11target_archE1100ELNS1_3gpuE3ELNS1_3repE0EEENS1_30default_config_static_selectorELNS0_4arch9wavefront6targetE0EEEvT1_: ; @_ZN7rocprim17ROCPRIM_400000_NS6detail17trampoline_kernelINS0_14default_configENS1_25partition_config_selectorILNS1_17partition_subalgoE6EjNS0_10empty_typeEbEEZZNS1_14partition_implILS5_6ELb0ES3_mN6thrust23THRUST_200600_302600_NS6detail15normal_iteratorINSA_10device_ptrIjEEEEPS6_SG_NS0_5tupleIJSF_S6_EEENSH_IJSG_SG_EEES6_PlJNSB_9not_fun_tINSB_14equal_to_valueIjEEEEEEE10hipError_tPvRmT3_T4_T5_T6_T7_T9_mT8_P12ihipStream_tbDpT10_ENKUlT_T0_E_clISt17integral_constantIbLb1EES18_EEDaS13_S14_EUlS13_E_NS1_11comp_targetILNS1_3genE9ELNS1_11target_archE1100ELNS1_3gpuE3ELNS1_3repE0EEENS1_30default_config_static_selectorELNS0_4arch9wavefront6targetE0EEEvT1_
; %bb.0:
	.section	.rodata,"a",@progbits
	.p2align	6, 0x0
	.amdhsa_kernel _ZN7rocprim17ROCPRIM_400000_NS6detail17trampoline_kernelINS0_14default_configENS1_25partition_config_selectorILNS1_17partition_subalgoE6EjNS0_10empty_typeEbEEZZNS1_14partition_implILS5_6ELb0ES3_mN6thrust23THRUST_200600_302600_NS6detail15normal_iteratorINSA_10device_ptrIjEEEEPS6_SG_NS0_5tupleIJSF_S6_EEENSH_IJSG_SG_EEES6_PlJNSB_9not_fun_tINSB_14equal_to_valueIjEEEEEEE10hipError_tPvRmT3_T4_T5_T6_T7_T9_mT8_P12ihipStream_tbDpT10_ENKUlT_T0_E_clISt17integral_constantIbLb1EES18_EEDaS13_S14_EUlS13_E_NS1_11comp_targetILNS1_3genE9ELNS1_11target_archE1100ELNS1_3gpuE3ELNS1_3repE0EEENS1_30default_config_static_selectorELNS0_4arch9wavefront6targetE0EEEvT1_
		.amdhsa_group_segment_fixed_size 0
		.amdhsa_private_segment_fixed_size 0
		.amdhsa_kernarg_size 128
		.amdhsa_user_sgpr_count 2
		.amdhsa_user_sgpr_dispatch_ptr 0
		.amdhsa_user_sgpr_queue_ptr 0
		.amdhsa_user_sgpr_kernarg_segment_ptr 1
		.amdhsa_user_sgpr_dispatch_id 0
		.amdhsa_user_sgpr_private_segment_size 0
		.amdhsa_wavefront_size32 1
		.amdhsa_uses_dynamic_stack 0
		.amdhsa_enable_private_segment 0
		.amdhsa_system_sgpr_workgroup_id_x 1
		.amdhsa_system_sgpr_workgroup_id_y 0
		.amdhsa_system_sgpr_workgroup_id_z 0
		.amdhsa_system_sgpr_workgroup_info 0
		.amdhsa_system_vgpr_workitem_id 0
		.amdhsa_next_free_vgpr 1
		.amdhsa_next_free_sgpr 1
		.amdhsa_reserve_vcc 0
		.amdhsa_float_round_mode_32 0
		.amdhsa_float_round_mode_16_64 0
		.amdhsa_float_denorm_mode_32 3
		.amdhsa_float_denorm_mode_16_64 3
		.amdhsa_fp16_overflow 0
		.amdhsa_workgroup_processor_mode 1
		.amdhsa_memory_ordered 1
		.amdhsa_forward_progress 1
		.amdhsa_inst_pref_size 0
		.amdhsa_round_robin_scheduling 0
		.amdhsa_exception_fp_ieee_invalid_op 0
		.amdhsa_exception_fp_denorm_src 0
		.amdhsa_exception_fp_ieee_div_zero 0
		.amdhsa_exception_fp_ieee_overflow 0
		.amdhsa_exception_fp_ieee_underflow 0
		.amdhsa_exception_fp_ieee_inexact 0
		.amdhsa_exception_int_div_zero 0
	.end_amdhsa_kernel
	.section	.text._ZN7rocprim17ROCPRIM_400000_NS6detail17trampoline_kernelINS0_14default_configENS1_25partition_config_selectorILNS1_17partition_subalgoE6EjNS0_10empty_typeEbEEZZNS1_14partition_implILS5_6ELb0ES3_mN6thrust23THRUST_200600_302600_NS6detail15normal_iteratorINSA_10device_ptrIjEEEEPS6_SG_NS0_5tupleIJSF_S6_EEENSH_IJSG_SG_EEES6_PlJNSB_9not_fun_tINSB_14equal_to_valueIjEEEEEEE10hipError_tPvRmT3_T4_T5_T6_T7_T9_mT8_P12ihipStream_tbDpT10_ENKUlT_T0_E_clISt17integral_constantIbLb1EES18_EEDaS13_S14_EUlS13_E_NS1_11comp_targetILNS1_3genE9ELNS1_11target_archE1100ELNS1_3gpuE3ELNS1_3repE0EEENS1_30default_config_static_selectorELNS0_4arch9wavefront6targetE0EEEvT1_,"axG",@progbits,_ZN7rocprim17ROCPRIM_400000_NS6detail17trampoline_kernelINS0_14default_configENS1_25partition_config_selectorILNS1_17partition_subalgoE6EjNS0_10empty_typeEbEEZZNS1_14partition_implILS5_6ELb0ES3_mN6thrust23THRUST_200600_302600_NS6detail15normal_iteratorINSA_10device_ptrIjEEEEPS6_SG_NS0_5tupleIJSF_S6_EEENSH_IJSG_SG_EEES6_PlJNSB_9not_fun_tINSB_14equal_to_valueIjEEEEEEE10hipError_tPvRmT3_T4_T5_T6_T7_T9_mT8_P12ihipStream_tbDpT10_ENKUlT_T0_E_clISt17integral_constantIbLb1EES18_EEDaS13_S14_EUlS13_E_NS1_11comp_targetILNS1_3genE9ELNS1_11target_archE1100ELNS1_3gpuE3ELNS1_3repE0EEENS1_30default_config_static_selectorELNS0_4arch9wavefront6targetE0EEEvT1_,comdat
.Lfunc_end387:
	.size	_ZN7rocprim17ROCPRIM_400000_NS6detail17trampoline_kernelINS0_14default_configENS1_25partition_config_selectorILNS1_17partition_subalgoE6EjNS0_10empty_typeEbEEZZNS1_14partition_implILS5_6ELb0ES3_mN6thrust23THRUST_200600_302600_NS6detail15normal_iteratorINSA_10device_ptrIjEEEEPS6_SG_NS0_5tupleIJSF_S6_EEENSH_IJSG_SG_EEES6_PlJNSB_9not_fun_tINSB_14equal_to_valueIjEEEEEEE10hipError_tPvRmT3_T4_T5_T6_T7_T9_mT8_P12ihipStream_tbDpT10_ENKUlT_T0_E_clISt17integral_constantIbLb1EES18_EEDaS13_S14_EUlS13_E_NS1_11comp_targetILNS1_3genE9ELNS1_11target_archE1100ELNS1_3gpuE3ELNS1_3repE0EEENS1_30default_config_static_selectorELNS0_4arch9wavefront6targetE0EEEvT1_, .Lfunc_end387-_ZN7rocprim17ROCPRIM_400000_NS6detail17trampoline_kernelINS0_14default_configENS1_25partition_config_selectorILNS1_17partition_subalgoE6EjNS0_10empty_typeEbEEZZNS1_14partition_implILS5_6ELb0ES3_mN6thrust23THRUST_200600_302600_NS6detail15normal_iteratorINSA_10device_ptrIjEEEEPS6_SG_NS0_5tupleIJSF_S6_EEENSH_IJSG_SG_EEES6_PlJNSB_9not_fun_tINSB_14equal_to_valueIjEEEEEEE10hipError_tPvRmT3_T4_T5_T6_T7_T9_mT8_P12ihipStream_tbDpT10_ENKUlT_T0_E_clISt17integral_constantIbLb1EES18_EEDaS13_S14_EUlS13_E_NS1_11comp_targetILNS1_3genE9ELNS1_11target_archE1100ELNS1_3gpuE3ELNS1_3repE0EEENS1_30default_config_static_selectorELNS0_4arch9wavefront6targetE0EEEvT1_
                                        ; -- End function
	.set _ZN7rocprim17ROCPRIM_400000_NS6detail17trampoline_kernelINS0_14default_configENS1_25partition_config_selectorILNS1_17partition_subalgoE6EjNS0_10empty_typeEbEEZZNS1_14partition_implILS5_6ELb0ES3_mN6thrust23THRUST_200600_302600_NS6detail15normal_iteratorINSA_10device_ptrIjEEEEPS6_SG_NS0_5tupleIJSF_S6_EEENSH_IJSG_SG_EEES6_PlJNSB_9not_fun_tINSB_14equal_to_valueIjEEEEEEE10hipError_tPvRmT3_T4_T5_T6_T7_T9_mT8_P12ihipStream_tbDpT10_ENKUlT_T0_E_clISt17integral_constantIbLb1EES18_EEDaS13_S14_EUlS13_E_NS1_11comp_targetILNS1_3genE9ELNS1_11target_archE1100ELNS1_3gpuE3ELNS1_3repE0EEENS1_30default_config_static_selectorELNS0_4arch9wavefront6targetE0EEEvT1_.num_vgpr, 0
	.set _ZN7rocprim17ROCPRIM_400000_NS6detail17trampoline_kernelINS0_14default_configENS1_25partition_config_selectorILNS1_17partition_subalgoE6EjNS0_10empty_typeEbEEZZNS1_14partition_implILS5_6ELb0ES3_mN6thrust23THRUST_200600_302600_NS6detail15normal_iteratorINSA_10device_ptrIjEEEEPS6_SG_NS0_5tupleIJSF_S6_EEENSH_IJSG_SG_EEES6_PlJNSB_9not_fun_tINSB_14equal_to_valueIjEEEEEEE10hipError_tPvRmT3_T4_T5_T6_T7_T9_mT8_P12ihipStream_tbDpT10_ENKUlT_T0_E_clISt17integral_constantIbLb1EES18_EEDaS13_S14_EUlS13_E_NS1_11comp_targetILNS1_3genE9ELNS1_11target_archE1100ELNS1_3gpuE3ELNS1_3repE0EEENS1_30default_config_static_selectorELNS0_4arch9wavefront6targetE0EEEvT1_.num_agpr, 0
	.set _ZN7rocprim17ROCPRIM_400000_NS6detail17trampoline_kernelINS0_14default_configENS1_25partition_config_selectorILNS1_17partition_subalgoE6EjNS0_10empty_typeEbEEZZNS1_14partition_implILS5_6ELb0ES3_mN6thrust23THRUST_200600_302600_NS6detail15normal_iteratorINSA_10device_ptrIjEEEEPS6_SG_NS0_5tupleIJSF_S6_EEENSH_IJSG_SG_EEES6_PlJNSB_9not_fun_tINSB_14equal_to_valueIjEEEEEEE10hipError_tPvRmT3_T4_T5_T6_T7_T9_mT8_P12ihipStream_tbDpT10_ENKUlT_T0_E_clISt17integral_constantIbLb1EES18_EEDaS13_S14_EUlS13_E_NS1_11comp_targetILNS1_3genE9ELNS1_11target_archE1100ELNS1_3gpuE3ELNS1_3repE0EEENS1_30default_config_static_selectorELNS0_4arch9wavefront6targetE0EEEvT1_.numbered_sgpr, 0
	.set _ZN7rocprim17ROCPRIM_400000_NS6detail17trampoline_kernelINS0_14default_configENS1_25partition_config_selectorILNS1_17partition_subalgoE6EjNS0_10empty_typeEbEEZZNS1_14partition_implILS5_6ELb0ES3_mN6thrust23THRUST_200600_302600_NS6detail15normal_iteratorINSA_10device_ptrIjEEEEPS6_SG_NS0_5tupleIJSF_S6_EEENSH_IJSG_SG_EEES6_PlJNSB_9not_fun_tINSB_14equal_to_valueIjEEEEEEE10hipError_tPvRmT3_T4_T5_T6_T7_T9_mT8_P12ihipStream_tbDpT10_ENKUlT_T0_E_clISt17integral_constantIbLb1EES18_EEDaS13_S14_EUlS13_E_NS1_11comp_targetILNS1_3genE9ELNS1_11target_archE1100ELNS1_3gpuE3ELNS1_3repE0EEENS1_30default_config_static_selectorELNS0_4arch9wavefront6targetE0EEEvT1_.num_named_barrier, 0
	.set _ZN7rocprim17ROCPRIM_400000_NS6detail17trampoline_kernelINS0_14default_configENS1_25partition_config_selectorILNS1_17partition_subalgoE6EjNS0_10empty_typeEbEEZZNS1_14partition_implILS5_6ELb0ES3_mN6thrust23THRUST_200600_302600_NS6detail15normal_iteratorINSA_10device_ptrIjEEEEPS6_SG_NS0_5tupleIJSF_S6_EEENSH_IJSG_SG_EEES6_PlJNSB_9not_fun_tINSB_14equal_to_valueIjEEEEEEE10hipError_tPvRmT3_T4_T5_T6_T7_T9_mT8_P12ihipStream_tbDpT10_ENKUlT_T0_E_clISt17integral_constantIbLb1EES18_EEDaS13_S14_EUlS13_E_NS1_11comp_targetILNS1_3genE9ELNS1_11target_archE1100ELNS1_3gpuE3ELNS1_3repE0EEENS1_30default_config_static_selectorELNS0_4arch9wavefront6targetE0EEEvT1_.private_seg_size, 0
	.set _ZN7rocprim17ROCPRIM_400000_NS6detail17trampoline_kernelINS0_14default_configENS1_25partition_config_selectorILNS1_17partition_subalgoE6EjNS0_10empty_typeEbEEZZNS1_14partition_implILS5_6ELb0ES3_mN6thrust23THRUST_200600_302600_NS6detail15normal_iteratorINSA_10device_ptrIjEEEEPS6_SG_NS0_5tupleIJSF_S6_EEENSH_IJSG_SG_EEES6_PlJNSB_9not_fun_tINSB_14equal_to_valueIjEEEEEEE10hipError_tPvRmT3_T4_T5_T6_T7_T9_mT8_P12ihipStream_tbDpT10_ENKUlT_T0_E_clISt17integral_constantIbLb1EES18_EEDaS13_S14_EUlS13_E_NS1_11comp_targetILNS1_3genE9ELNS1_11target_archE1100ELNS1_3gpuE3ELNS1_3repE0EEENS1_30default_config_static_selectorELNS0_4arch9wavefront6targetE0EEEvT1_.uses_vcc, 0
	.set _ZN7rocprim17ROCPRIM_400000_NS6detail17trampoline_kernelINS0_14default_configENS1_25partition_config_selectorILNS1_17partition_subalgoE6EjNS0_10empty_typeEbEEZZNS1_14partition_implILS5_6ELb0ES3_mN6thrust23THRUST_200600_302600_NS6detail15normal_iteratorINSA_10device_ptrIjEEEEPS6_SG_NS0_5tupleIJSF_S6_EEENSH_IJSG_SG_EEES6_PlJNSB_9not_fun_tINSB_14equal_to_valueIjEEEEEEE10hipError_tPvRmT3_T4_T5_T6_T7_T9_mT8_P12ihipStream_tbDpT10_ENKUlT_T0_E_clISt17integral_constantIbLb1EES18_EEDaS13_S14_EUlS13_E_NS1_11comp_targetILNS1_3genE9ELNS1_11target_archE1100ELNS1_3gpuE3ELNS1_3repE0EEENS1_30default_config_static_selectorELNS0_4arch9wavefront6targetE0EEEvT1_.uses_flat_scratch, 0
	.set _ZN7rocprim17ROCPRIM_400000_NS6detail17trampoline_kernelINS0_14default_configENS1_25partition_config_selectorILNS1_17partition_subalgoE6EjNS0_10empty_typeEbEEZZNS1_14partition_implILS5_6ELb0ES3_mN6thrust23THRUST_200600_302600_NS6detail15normal_iteratorINSA_10device_ptrIjEEEEPS6_SG_NS0_5tupleIJSF_S6_EEENSH_IJSG_SG_EEES6_PlJNSB_9not_fun_tINSB_14equal_to_valueIjEEEEEEE10hipError_tPvRmT3_T4_T5_T6_T7_T9_mT8_P12ihipStream_tbDpT10_ENKUlT_T0_E_clISt17integral_constantIbLb1EES18_EEDaS13_S14_EUlS13_E_NS1_11comp_targetILNS1_3genE9ELNS1_11target_archE1100ELNS1_3gpuE3ELNS1_3repE0EEENS1_30default_config_static_selectorELNS0_4arch9wavefront6targetE0EEEvT1_.has_dyn_sized_stack, 0
	.set _ZN7rocprim17ROCPRIM_400000_NS6detail17trampoline_kernelINS0_14default_configENS1_25partition_config_selectorILNS1_17partition_subalgoE6EjNS0_10empty_typeEbEEZZNS1_14partition_implILS5_6ELb0ES3_mN6thrust23THRUST_200600_302600_NS6detail15normal_iteratorINSA_10device_ptrIjEEEEPS6_SG_NS0_5tupleIJSF_S6_EEENSH_IJSG_SG_EEES6_PlJNSB_9not_fun_tINSB_14equal_to_valueIjEEEEEEE10hipError_tPvRmT3_T4_T5_T6_T7_T9_mT8_P12ihipStream_tbDpT10_ENKUlT_T0_E_clISt17integral_constantIbLb1EES18_EEDaS13_S14_EUlS13_E_NS1_11comp_targetILNS1_3genE9ELNS1_11target_archE1100ELNS1_3gpuE3ELNS1_3repE0EEENS1_30default_config_static_selectorELNS0_4arch9wavefront6targetE0EEEvT1_.has_recursion, 0
	.set _ZN7rocprim17ROCPRIM_400000_NS6detail17trampoline_kernelINS0_14default_configENS1_25partition_config_selectorILNS1_17partition_subalgoE6EjNS0_10empty_typeEbEEZZNS1_14partition_implILS5_6ELb0ES3_mN6thrust23THRUST_200600_302600_NS6detail15normal_iteratorINSA_10device_ptrIjEEEEPS6_SG_NS0_5tupleIJSF_S6_EEENSH_IJSG_SG_EEES6_PlJNSB_9not_fun_tINSB_14equal_to_valueIjEEEEEEE10hipError_tPvRmT3_T4_T5_T6_T7_T9_mT8_P12ihipStream_tbDpT10_ENKUlT_T0_E_clISt17integral_constantIbLb1EES18_EEDaS13_S14_EUlS13_E_NS1_11comp_targetILNS1_3genE9ELNS1_11target_archE1100ELNS1_3gpuE3ELNS1_3repE0EEENS1_30default_config_static_selectorELNS0_4arch9wavefront6targetE0EEEvT1_.has_indirect_call, 0
	.section	.AMDGPU.csdata,"",@progbits
; Kernel info:
; codeLenInByte = 0
; TotalNumSgprs: 0
; NumVgprs: 0
; ScratchSize: 0
; MemoryBound: 0
; FloatMode: 240
; IeeeMode: 1
; LDSByteSize: 0 bytes/workgroup (compile time only)
; SGPRBlocks: 0
; VGPRBlocks: 0
; NumSGPRsForWavesPerEU: 1
; NumVGPRsForWavesPerEU: 1
; Occupancy: 16
; WaveLimiterHint : 0
; COMPUTE_PGM_RSRC2:SCRATCH_EN: 0
; COMPUTE_PGM_RSRC2:USER_SGPR: 2
; COMPUTE_PGM_RSRC2:TRAP_HANDLER: 0
; COMPUTE_PGM_RSRC2:TGID_X_EN: 1
; COMPUTE_PGM_RSRC2:TGID_Y_EN: 0
; COMPUTE_PGM_RSRC2:TGID_Z_EN: 0
; COMPUTE_PGM_RSRC2:TIDIG_COMP_CNT: 0
	.section	.text._ZN7rocprim17ROCPRIM_400000_NS6detail17trampoline_kernelINS0_14default_configENS1_25partition_config_selectorILNS1_17partition_subalgoE6EjNS0_10empty_typeEbEEZZNS1_14partition_implILS5_6ELb0ES3_mN6thrust23THRUST_200600_302600_NS6detail15normal_iteratorINSA_10device_ptrIjEEEEPS6_SG_NS0_5tupleIJSF_S6_EEENSH_IJSG_SG_EEES6_PlJNSB_9not_fun_tINSB_14equal_to_valueIjEEEEEEE10hipError_tPvRmT3_T4_T5_T6_T7_T9_mT8_P12ihipStream_tbDpT10_ENKUlT_T0_E_clISt17integral_constantIbLb1EES18_EEDaS13_S14_EUlS13_E_NS1_11comp_targetILNS1_3genE8ELNS1_11target_archE1030ELNS1_3gpuE2ELNS1_3repE0EEENS1_30default_config_static_selectorELNS0_4arch9wavefront6targetE0EEEvT1_,"axG",@progbits,_ZN7rocprim17ROCPRIM_400000_NS6detail17trampoline_kernelINS0_14default_configENS1_25partition_config_selectorILNS1_17partition_subalgoE6EjNS0_10empty_typeEbEEZZNS1_14partition_implILS5_6ELb0ES3_mN6thrust23THRUST_200600_302600_NS6detail15normal_iteratorINSA_10device_ptrIjEEEEPS6_SG_NS0_5tupleIJSF_S6_EEENSH_IJSG_SG_EEES6_PlJNSB_9not_fun_tINSB_14equal_to_valueIjEEEEEEE10hipError_tPvRmT3_T4_T5_T6_T7_T9_mT8_P12ihipStream_tbDpT10_ENKUlT_T0_E_clISt17integral_constantIbLb1EES18_EEDaS13_S14_EUlS13_E_NS1_11comp_targetILNS1_3genE8ELNS1_11target_archE1030ELNS1_3gpuE2ELNS1_3repE0EEENS1_30default_config_static_selectorELNS0_4arch9wavefront6targetE0EEEvT1_,comdat
	.protected	_ZN7rocprim17ROCPRIM_400000_NS6detail17trampoline_kernelINS0_14default_configENS1_25partition_config_selectorILNS1_17partition_subalgoE6EjNS0_10empty_typeEbEEZZNS1_14partition_implILS5_6ELb0ES3_mN6thrust23THRUST_200600_302600_NS6detail15normal_iteratorINSA_10device_ptrIjEEEEPS6_SG_NS0_5tupleIJSF_S6_EEENSH_IJSG_SG_EEES6_PlJNSB_9not_fun_tINSB_14equal_to_valueIjEEEEEEE10hipError_tPvRmT3_T4_T5_T6_T7_T9_mT8_P12ihipStream_tbDpT10_ENKUlT_T0_E_clISt17integral_constantIbLb1EES18_EEDaS13_S14_EUlS13_E_NS1_11comp_targetILNS1_3genE8ELNS1_11target_archE1030ELNS1_3gpuE2ELNS1_3repE0EEENS1_30default_config_static_selectorELNS0_4arch9wavefront6targetE0EEEvT1_ ; -- Begin function _ZN7rocprim17ROCPRIM_400000_NS6detail17trampoline_kernelINS0_14default_configENS1_25partition_config_selectorILNS1_17partition_subalgoE6EjNS0_10empty_typeEbEEZZNS1_14partition_implILS5_6ELb0ES3_mN6thrust23THRUST_200600_302600_NS6detail15normal_iteratorINSA_10device_ptrIjEEEEPS6_SG_NS0_5tupleIJSF_S6_EEENSH_IJSG_SG_EEES6_PlJNSB_9not_fun_tINSB_14equal_to_valueIjEEEEEEE10hipError_tPvRmT3_T4_T5_T6_T7_T9_mT8_P12ihipStream_tbDpT10_ENKUlT_T0_E_clISt17integral_constantIbLb1EES18_EEDaS13_S14_EUlS13_E_NS1_11comp_targetILNS1_3genE8ELNS1_11target_archE1030ELNS1_3gpuE2ELNS1_3repE0EEENS1_30default_config_static_selectorELNS0_4arch9wavefront6targetE0EEEvT1_
	.globl	_ZN7rocprim17ROCPRIM_400000_NS6detail17trampoline_kernelINS0_14default_configENS1_25partition_config_selectorILNS1_17partition_subalgoE6EjNS0_10empty_typeEbEEZZNS1_14partition_implILS5_6ELb0ES3_mN6thrust23THRUST_200600_302600_NS6detail15normal_iteratorINSA_10device_ptrIjEEEEPS6_SG_NS0_5tupleIJSF_S6_EEENSH_IJSG_SG_EEES6_PlJNSB_9not_fun_tINSB_14equal_to_valueIjEEEEEEE10hipError_tPvRmT3_T4_T5_T6_T7_T9_mT8_P12ihipStream_tbDpT10_ENKUlT_T0_E_clISt17integral_constantIbLb1EES18_EEDaS13_S14_EUlS13_E_NS1_11comp_targetILNS1_3genE8ELNS1_11target_archE1030ELNS1_3gpuE2ELNS1_3repE0EEENS1_30default_config_static_selectorELNS0_4arch9wavefront6targetE0EEEvT1_
	.p2align	8
	.type	_ZN7rocprim17ROCPRIM_400000_NS6detail17trampoline_kernelINS0_14default_configENS1_25partition_config_selectorILNS1_17partition_subalgoE6EjNS0_10empty_typeEbEEZZNS1_14partition_implILS5_6ELb0ES3_mN6thrust23THRUST_200600_302600_NS6detail15normal_iteratorINSA_10device_ptrIjEEEEPS6_SG_NS0_5tupleIJSF_S6_EEENSH_IJSG_SG_EEES6_PlJNSB_9not_fun_tINSB_14equal_to_valueIjEEEEEEE10hipError_tPvRmT3_T4_T5_T6_T7_T9_mT8_P12ihipStream_tbDpT10_ENKUlT_T0_E_clISt17integral_constantIbLb1EES18_EEDaS13_S14_EUlS13_E_NS1_11comp_targetILNS1_3genE8ELNS1_11target_archE1030ELNS1_3gpuE2ELNS1_3repE0EEENS1_30default_config_static_selectorELNS0_4arch9wavefront6targetE0EEEvT1_,@function
_ZN7rocprim17ROCPRIM_400000_NS6detail17trampoline_kernelINS0_14default_configENS1_25partition_config_selectorILNS1_17partition_subalgoE6EjNS0_10empty_typeEbEEZZNS1_14partition_implILS5_6ELb0ES3_mN6thrust23THRUST_200600_302600_NS6detail15normal_iteratorINSA_10device_ptrIjEEEEPS6_SG_NS0_5tupleIJSF_S6_EEENSH_IJSG_SG_EEES6_PlJNSB_9not_fun_tINSB_14equal_to_valueIjEEEEEEE10hipError_tPvRmT3_T4_T5_T6_T7_T9_mT8_P12ihipStream_tbDpT10_ENKUlT_T0_E_clISt17integral_constantIbLb1EES18_EEDaS13_S14_EUlS13_E_NS1_11comp_targetILNS1_3genE8ELNS1_11target_archE1030ELNS1_3gpuE2ELNS1_3repE0EEENS1_30default_config_static_selectorELNS0_4arch9wavefront6targetE0EEEvT1_: ; @_ZN7rocprim17ROCPRIM_400000_NS6detail17trampoline_kernelINS0_14default_configENS1_25partition_config_selectorILNS1_17partition_subalgoE6EjNS0_10empty_typeEbEEZZNS1_14partition_implILS5_6ELb0ES3_mN6thrust23THRUST_200600_302600_NS6detail15normal_iteratorINSA_10device_ptrIjEEEEPS6_SG_NS0_5tupleIJSF_S6_EEENSH_IJSG_SG_EEES6_PlJNSB_9not_fun_tINSB_14equal_to_valueIjEEEEEEE10hipError_tPvRmT3_T4_T5_T6_T7_T9_mT8_P12ihipStream_tbDpT10_ENKUlT_T0_E_clISt17integral_constantIbLb1EES18_EEDaS13_S14_EUlS13_E_NS1_11comp_targetILNS1_3genE8ELNS1_11target_archE1030ELNS1_3gpuE2ELNS1_3repE0EEENS1_30default_config_static_selectorELNS0_4arch9wavefront6targetE0EEEvT1_
; %bb.0:
	.section	.rodata,"a",@progbits
	.p2align	6, 0x0
	.amdhsa_kernel _ZN7rocprim17ROCPRIM_400000_NS6detail17trampoline_kernelINS0_14default_configENS1_25partition_config_selectorILNS1_17partition_subalgoE6EjNS0_10empty_typeEbEEZZNS1_14partition_implILS5_6ELb0ES3_mN6thrust23THRUST_200600_302600_NS6detail15normal_iteratorINSA_10device_ptrIjEEEEPS6_SG_NS0_5tupleIJSF_S6_EEENSH_IJSG_SG_EEES6_PlJNSB_9not_fun_tINSB_14equal_to_valueIjEEEEEEE10hipError_tPvRmT3_T4_T5_T6_T7_T9_mT8_P12ihipStream_tbDpT10_ENKUlT_T0_E_clISt17integral_constantIbLb1EES18_EEDaS13_S14_EUlS13_E_NS1_11comp_targetILNS1_3genE8ELNS1_11target_archE1030ELNS1_3gpuE2ELNS1_3repE0EEENS1_30default_config_static_selectorELNS0_4arch9wavefront6targetE0EEEvT1_
		.amdhsa_group_segment_fixed_size 0
		.amdhsa_private_segment_fixed_size 0
		.amdhsa_kernarg_size 128
		.amdhsa_user_sgpr_count 2
		.amdhsa_user_sgpr_dispatch_ptr 0
		.amdhsa_user_sgpr_queue_ptr 0
		.amdhsa_user_sgpr_kernarg_segment_ptr 1
		.amdhsa_user_sgpr_dispatch_id 0
		.amdhsa_user_sgpr_private_segment_size 0
		.amdhsa_wavefront_size32 1
		.amdhsa_uses_dynamic_stack 0
		.amdhsa_enable_private_segment 0
		.amdhsa_system_sgpr_workgroup_id_x 1
		.amdhsa_system_sgpr_workgroup_id_y 0
		.amdhsa_system_sgpr_workgroup_id_z 0
		.amdhsa_system_sgpr_workgroup_info 0
		.amdhsa_system_vgpr_workitem_id 0
		.amdhsa_next_free_vgpr 1
		.amdhsa_next_free_sgpr 1
		.amdhsa_reserve_vcc 0
		.amdhsa_float_round_mode_32 0
		.amdhsa_float_round_mode_16_64 0
		.amdhsa_float_denorm_mode_32 3
		.amdhsa_float_denorm_mode_16_64 3
		.amdhsa_fp16_overflow 0
		.amdhsa_workgroup_processor_mode 1
		.amdhsa_memory_ordered 1
		.amdhsa_forward_progress 1
		.amdhsa_inst_pref_size 0
		.amdhsa_round_robin_scheduling 0
		.amdhsa_exception_fp_ieee_invalid_op 0
		.amdhsa_exception_fp_denorm_src 0
		.amdhsa_exception_fp_ieee_div_zero 0
		.amdhsa_exception_fp_ieee_overflow 0
		.amdhsa_exception_fp_ieee_underflow 0
		.amdhsa_exception_fp_ieee_inexact 0
		.amdhsa_exception_int_div_zero 0
	.end_amdhsa_kernel
	.section	.text._ZN7rocprim17ROCPRIM_400000_NS6detail17trampoline_kernelINS0_14default_configENS1_25partition_config_selectorILNS1_17partition_subalgoE6EjNS0_10empty_typeEbEEZZNS1_14partition_implILS5_6ELb0ES3_mN6thrust23THRUST_200600_302600_NS6detail15normal_iteratorINSA_10device_ptrIjEEEEPS6_SG_NS0_5tupleIJSF_S6_EEENSH_IJSG_SG_EEES6_PlJNSB_9not_fun_tINSB_14equal_to_valueIjEEEEEEE10hipError_tPvRmT3_T4_T5_T6_T7_T9_mT8_P12ihipStream_tbDpT10_ENKUlT_T0_E_clISt17integral_constantIbLb1EES18_EEDaS13_S14_EUlS13_E_NS1_11comp_targetILNS1_3genE8ELNS1_11target_archE1030ELNS1_3gpuE2ELNS1_3repE0EEENS1_30default_config_static_selectorELNS0_4arch9wavefront6targetE0EEEvT1_,"axG",@progbits,_ZN7rocprim17ROCPRIM_400000_NS6detail17trampoline_kernelINS0_14default_configENS1_25partition_config_selectorILNS1_17partition_subalgoE6EjNS0_10empty_typeEbEEZZNS1_14partition_implILS5_6ELb0ES3_mN6thrust23THRUST_200600_302600_NS6detail15normal_iteratorINSA_10device_ptrIjEEEEPS6_SG_NS0_5tupleIJSF_S6_EEENSH_IJSG_SG_EEES6_PlJNSB_9not_fun_tINSB_14equal_to_valueIjEEEEEEE10hipError_tPvRmT3_T4_T5_T6_T7_T9_mT8_P12ihipStream_tbDpT10_ENKUlT_T0_E_clISt17integral_constantIbLb1EES18_EEDaS13_S14_EUlS13_E_NS1_11comp_targetILNS1_3genE8ELNS1_11target_archE1030ELNS1_3gpuE2ELNS1_3repE0EEENS1_30default_config_static_selectorELNS0_4arch9wavefront6targetE0EEEvT1_,comdat
.Lfunc_end388:
	.size	_ZN7rocprim17ROCPRIM_400000_NS6detail17trampoline_kernelINS0_14default_configENS1_25partition_config_selectorILNS1_17partition_subalgoE6EjNS0_10empty_typeEbEEZZNS1_14partition_implILS5_6ELb0ES3_mN6thrust23THRUST_200600_302600_NS6detail15normal_iteratorINSA_10device_ptrIjEEEEPS6_SG_NS0_5tupleIJSF_S6_EEENSH_IJSG_SG_EEES6_PlJNSB_9not_fun_tINSB_14equal_to_valueIjEEEEEEE10hipError_tPvRmT3_T4_T5_T6_T7_T9_mT8_P12ihipStream_tbDpT10_ENKUlT_T0_E_clISt17integral_constantIbLb1EES18_EEDaS13_S14_EUlS13_E_NS1_11comp_targetILNS1_3genE8ELNS1_11target_archE1030ELNS1_3gpuE2ELNS1_3repE0EEENS1_30default_config_static_selectorELNS0_4arch9wavefront6targetE0EEEvT1_, .Lfunc_end388-_ZN7rocprim17ROCPRIM_400000_NS6detail17trampoline_kernelINS0_14default_configENS1_25partition_config_selectorILNS1_17partition_subalgoE6EjNS0_10empty_typeEbEEZZNS1_14partition_implILS5_6ELb0ES3_mN6thrust23THRUST_200600_302600_NS6detail15normal_iteratorINSA_10device_ptrIjEEEEPS6_SG_NS0_5tupleIJSF_S6_EEENSH_IJSG_SG_EEES6_PlJNSB_9not_fun_tINSB_14equal_to_valueIjEEEEEEE10hipError_tPvRmT3_T4_T5_T6_T7_T9_mT8_P12ihipStream_tbDpT10_ENKUlT_T0_E_clISt17integral_constantIbLb1EES18_EEDaS13_S14_EUlS13_E_NS1_11comp_targetILNS1_3genE8ELNS1_11target_archE1030ELNS1_3gpuE2ELNS1_3repE0EEENS1_30default_config_static_selectorELNS0_4arch9wavefront6targetE0EEEvT1_
                                        ; -- End function
	.set _ZN7rocprim17ROCPRIM_400000_NS6detail17trampoline_kernelINS0_14default_configENS1_25partition_config_selectorILNS1_17partition_subalgoE6EjNS0_10empty_typeEbEEZZNS1_14partition_implILS5_6ELb0ES3_mN6thrust23THRUST_200600_302600_NS6detail15normal_iteratorINSA_10device_ptrIjEEEEPS6_SG_NS0_5tupleIJSF_S6_EEENSH_IJSG_SG_EEES6_PlJNSB_9not_fun_tINSB_14equal_to_valueIjEEEEEEE10hipError_tPvRmT3_T4_T5_T6_T7_T9_mT8_P12ihipStream_tbDpT10_ENKUlT_T0_E_clISt17integral_constantIbLb1EES18_EEDaS13_S14_EUlS13_E_NS1_11comp_targetILNS1_3genE8ELNS1_11target_archE1030ELNS1_3gpuE2ELNS1_3repE0EEENS1_30default_config_static_selectorELNS0_4arch9wavefront6targetE0EEEvT1_.num_vgpr, 0
	.set _ZN7rocprim17ROCPRIM_400000_NS6detail17trampoline_kernelINS0_14default_configENS1_25partition_config_selectorILNS1_17partition_subalgoE6EjNS0_10empty_typeEbEEZZNS1_14partition_implILS5_6ELb0ES3_mN6thrust23THRUST_200600_302600_NS6detail15normal_iteratorINSA_10device_ptrIjEEEEPS6_SG_NS0_5tupleIJSF_S6_EEENSH_IJSG_SG_EEES6_PlJNSB_9not_fun_tINSB_14equal_to_valueIjEEEEEEE10hipError_tPvRmT3_T4_T5_T6_T7_T9_mT8_P12ihipStream_tbDpT10_ENKUlT_T0_E_clISt17integral_constantIbLb1EES18_EEDaS13_S14_EUlS13_E_NS1_11comp_targetILNS1_3genE8ELNS1_11target_archE1030ELNS1_3gpuE2ELNS1_3repE0EEENS1_30default_config_static_selectorELNS0_4arch9wavefront6targetE0EEEvT1_.num_agpr, 0
	.set _ZN7rocprim17ROCPRIM_400000_NS6detail17trampoline_kernelINS0_14default_configENS1_25partition_config_selectorILNS1_17partition_subalgoE6EjNS0_10empty_typeEbEEZZNS1_14partition_implILS5_6ELb0ES3_mN6thrust23THRUST_200600_302600_NS6detail15normal_iteratorINSA_10device_ptrIjEEEEPS6_SG_NS0_5tupleIJSF_S6_EEENSH_IJSG_SG_EEES6_PlJNSB_9not_fun_tINSB_14equal_to_valueIjEEEEEEE10hipError_tPvRmT3_T4_T5_T6_T7_T9_mT8_P12ihipStream_tbDpT10_ENKUlT_T0_E_clISt17integral_constantIbLb1EES18_EEDaS13_S14_EUlS13_E_NS1_11comp_targetILNS1_3genE8ELNS1_11target_archE1030ELNS1_3gpuE2ELNS1_3repE0EEENS1_30default_config_static_selectorELNS0_4arch9wavefront6targetE0EEEvT1_.numbered_sgpr, 0
	.set _ZN7rocprim17ROCPRIM_400000_NS6detail17trampoline_kernelINS0_14default_configENS1_25partition_config_selectorILNS1_17partition_subalgoE6EjNS0_10empty_typeEbEEZZNS1_14partition_implILS5_6ELb0ES3_mN6thrust23THRUST_200600_302600_NS6detail15normal_iteratorINSA_10device_ptrIjEEEEPS6_SG_NS0_5tupleIJSF_S6_EEENSH_IJSG_SG_EEES6_PlJNSB_9not_fun_tINSB_14equal_to_valueIjEEEEEEE10hipError_tPvRmT3_T4_T5_T6_T7_T9_mT8_P12ihipStream_tbDpT10_ENKUlT_T0_E_clISt17integral_constantIbLb1EES18_EEDaS13_S14_EUlS13_E_NS1_11comp_targetILNS1_3genE8ELNS1_11target_archE1030ELNS1_3gpuE2ELNS1_3repE0EEENS1_30default_config_static_selectorELNS0_4arch9wavefront6targetE0EEEvT1_.num_named_barrier, 0
	.set _ZN7rocprim17ROCPRIM_400000_NS6detail17trampoline_kernelINS0_14default_configENS1_25partition_config_selectorILNS1_17partition_subalgoE6EjNS0_10empty_typeEbEEZZNS1_14partition_implILS5_6ELb0ES3_mN6thrust23THRUST_200600_302600_NS6detail15normal_iteratorINSA_10device_ptrIjEEEEPS6_SG_NS0_5tupleIJSF_S6_EEENSH_IJSG_SG_EEES6_PlJNSB_9not_fun_tINSB_14equal_to_valueIjEEEEEEE10hipError_tPvRmT3_T4_T5_T6_T7_T9_mT8_P12ihipStream_tbDpT10_ENKUlT_T0_E_clISt17integral_constantIbLb1EES18_EEDaS13_S14_EUlS13_E_NS1_11comp_targetILNS1_3genE8ELNS1_11target_archE1030ELNS1_3gpuE2ELNS1_3repE0EEENS1_30default_config_static_selectorELNS0_4arch9wavefront6targetE0EEEvT1_.private_seg_size, 0
	.set _ZN7rocprim17ROCPRIM_400000_NS6detail17trampoline_kernelINS0_14default_configENS1_25partition_config_selectorILNS1_17partition_subalgoE6EjNS0_10empty_typeEbEEZZNS1_14partition_implILS5_6ELb0ES3_mN6thrust23THRUST_200600_302600_NS6detail15normal_iteratorINSA_10device_ptrIjEEEEPS6_SG_NS0_5tupleIJSF_S6_EEENSH_IJSG_SG_EEES6_PlJNSB_9not_fun_tINSB_14equal_to_valueIjEEEEEEE10hipError_tPvRmT3_T4_T5_T6_T7_T9_mT8_P12ihipStream_tbDpT10_ENKUlT_T0_E_clISt17integral_constantIbLb1EES18_EEDaS13_S14_EUlS13_E_NS1_11comp_targetILNS1_3genE8ELNS1_11target_archE1030ELNS1_3gpuE2ELNS1_3repE0EEENS1_30default_config_static_selectorELNS0_4arch9wavefront6targetE0EEEvT1_.uses_vcc, 0
	.set _ZN7rocprim17ROCPRIM_400000_NS6detail17trampoline_kernelINS0_14default_configENS1_25partition_config_selectorILNS1_17partition_subalgoE6EjNS0_10empty_typeEbEEZZNS1_14partition_implILS5_6ELb0ES3_mN6thrust23THRUST_200600_302600_NS6detail15normal_iteratorINSA_10device_ptrIjEEEEPS6_SG_NS0_5tupleIJSF_S6_EEENSH_IJSG_SG_EEES6_PlJNSB_9not_fun_tINSB_14equal_to_valueIjEEEEEEE10hipError_tPvRmT3_T4_T5_T6_T7_T9_mT8_P12ihipStream_tbDpT10_ENKUlT_T0_E_clISt17integral_constantIbLb1EES18_EEDaS13_S14_EUlS13_E_NS1_11comp_targetILNS1_3genE8ELNS1_11target_archE1030ELNS1_3gpuE2ELNS1_3repE0EEENS1_30default_config_static_selectorELNS0_4arch9wavefront6targetE0EEEvT1_.uses_flat_scratch, 0
	.set _ZN7rocprim17ROCPRIM_400000_NS6detail17trampoline_kernelINS0_14default_configENS1_25partition_config_selectorILNS1_17partition_subalgoE6EjNS0_10empty_typeEbEEZZNS1_14partition_implILS5_6ELb0ES3_mN6thrust23THRUST_200600_302600_NS6detail15normal_iteratorINSA_10device_ptrIjEEEEPS6_SG_NS0_5tupleIJSF_S6_EEENSH_IJSG_SG_EEES6_PlJNSB_9not_fun_tINSB_14equal_to_valueIjEEEEEEE10hipError_tPvRmT3_T4_T5_T6_T7_T9_mT8_P12ihipStream_tbDpT10_ENKUlT_T0_E_clISt17integral_constantIbLb1EES18_EEDaS13_S14_EUlS13_E_NS1_11comp_targetILNS1_3genE8ELNS1_11target_archE1030ELNS1_3gpuE2ELNS1_3repE0EEENS1_30default_config_static_selectorELNS0_4arch9wavefront6targetE0EEEvT1_.has_dyn_sized_stack, 0
	.set _ZN7rocprim17ROCPRIM_400000_NS6detail17trampoline_kernelINS0_14default_configENS1_25partition_config_selectorILNS1_17partition_subalgoE6EjNS0_10empty_typeEbEEZZNS1_14partition_implILS5_6ELb0ES3_mN6thrust23THRUST_200600_302600_NS6detail15normal_iteratorINSA_10device_ptrIjEEEEPS6_SG_NS0_5tupleIJSF_S6_EEENSH_IJSG_SG_EEES6_PlJNSB_9not_fun_tINSB_14equal_to_valueIjEEEEEEE10hipError_tPvRmT3_T4_T5_T6_T7_T9_mT8_P12ihipStream_tbDpT10_ENKUlT_T0_E_clISt17integral_constantIbLb1EES18_EEDaS13_S14_EUlS13_E_NS1_11comp_targetILNS1_3genE8ELNS1_11target_archE1030ELNS1_3gpuE2ELNS1_3repE0EEENS1_30default_config_static_selectorELNS0_4arch9wavefront6targetE0EEEvT1_.has_recursion, 0
	.set _ZN7rocprim17ROCPRIM_400000_NS6detail17trampoline_kernelINS0_14default_configENS1_25partition_config_selectorILNS1_17partition_subalgoE6EjNS0_10empty_typeEbEEZZNS1_14partition_implILS5_6ELb0ES3_mN6thrust23THRUST_200600_302600_NS6detail15normal_iteratorINSA_10device_ptrIjEEEEPS6_SG_NS0_5tupleIJSF_S6_EEENSH_IJSG_SG_EEES6_PlJNSB_9not_fun_tINSB_14equal_to_valueIjEEEEEEE10hipError_tPvRmT3_T4_T5_T6_T7_T9_mT8_P12ihipStream_tbDpT10_ENKUlT_T0_E_clISt17integral_constantIbLb1EES18_EEDaS13_S14_EUlS13_E_NS1_11comp_targetILNS1_3genE8ELNS1_11target_archE1030ELNS1_3gpuE2ELNS1_3repE0EEENS1_30default_config_static_selectorELNS0_4arch9wavefront6targetE0EEEvT1_.has_indirect_call, 0
	.section	.AMDGPU.csdata,"",@progbits
; Kernel info:
; codeLenInByte = 0
; TotalNumSgprs: 0
; NumVgprs: 0
; ScratchSize: 0
; MemoryBound: 0
; FloatMode: 240
; IeeeMode: 1
; LDSByteSize: 0 bytes/workgroup (compile time only)
; SGPRBlocks: 0
; VGPRBlocks: 0
; NumSGPRsForWavesPerEU: 1
; NumVGPRsForWavesPerEU: 1
; Occupancy: 16
; WaveLimiterHint : 0
; COMPUTE_PGM_RSRC2:SCRATCH_EN: 0
; COMPUTE_PGM_RSRC2:USER_SGPR: 2
; COMPUTE_PGM_RSRC2:TRAP_HANDLER: 0
; COMPUTE_PGM_RSRC2:TGID_X_EN: 1
; COMPUTE_PGM_RSRC2:TGID_Y_EN: 0
; COMPUTE_PGM_RSRC2:TGID_Z_EN: 0
; COMPUTE_PGM_RSRC2:TIDIG_COMP_CNT: 0
	.section	.text._ZN7rocprim17ROCPRIM_400000_NS6detail17trampoline_kernelINS0_14default_configENS1_25partition_config_selectorILNS1_17partition_subalgoE6EjNS0_10empty_typeEbEEZZNS1_14partition_implILS5_6ELb0ES3_mN6thrust23THRUST_200600_302600_NS6detail15normal_iteratorINSA_10device_ptrIjEEEEPS6_SG_NS0_5tupleIJSF_S6_EEENSH_IJSG_SG_EEES6_PlJNSB_9not_fun_tINSB_14equal_to_valueIjEEEEEEE10hipError_tPvRmT3_T4_T5_T6_T7_T9_mT8_P12ihipStream_tbDpT10_ENKUlT_T0_E_clISt17integral_constantIbLb1EES17_IbLb0EEEEDaS13_S14_EUlS13_E_NS1_11comp_targetILNS1_3genE0ELNS1_11target_archE4294967295ELNS1_3gpuE0ELNS1_3repE0EEENS1_30default_config_static_selectorELNS0_4arch9wavefront6targetE0EEEvT1_,"axG",@progbits,_ZN7rocprim17ROCPRIM_400000_NS6detail17trampoline_kernelINS0_14default_configENS1_25partition_config_selectorILNS1_17partition_subalgoE6EjNS0_10empty_typeEbEEZZNS1_14partition_implILS5_6ELb0ES3_mN6thrust23THRUST_200600_302600_NS6detail15normal_iteratorINSA_10device_ptrIjEEEEPS6_SG_NS0_5tupleIJSF_S6_EEENSH_IJSG_SG_EEES6_PlJNSB_9not_fun_tINSB_14equal_to_valueIjEEEEEEE10hipError_tPvRmT3_T4_T5_T6_T7_T9_mT8_P12ihipStream_tbDpT10_ENKUlT_T0_E_clISt17integral_constantIbLb1EES17_IbLb0EEEEDaS13_S14_EUlS13_E_NS1_11comp_targetILNS1_3genE0ELNS1_11target_archE4294967295ELNS1_3gpuE0ELNS1_3repE0EEENS1_30default_config_static_selectorELNS0_4arch9wavefront6targetE0EEEvT1_,comdat
	.protected	_ZN7rocprim17ROCPRIM_400000_NS6detail17trampoline_kernelINS0_14default_configENS1_25partition_config_selectorILNS1_17partition_subalgoE6EjNS0_10empty_typeEbEEZZNS1_14partition_implILS5_6ELb0ES3_mN6thrust23THRUST_200600_302600_NS6detail15normal_iteratorINSA_10device_ptrIjEEEEPS6_SG_NS0_5tupleIJSF_S6_EEENSH_IJSG_SG_EEES6_PlJNSB_9not_fun_tINSB_14equal_to_valueIjEEEEEEE10hipError_tPvRmT3_T4_T5_T6_T7_T9_mT8_P12ihipStream_tbDpT10_ENKUlT_T0_E_clISt17integral_constantIbLb1EES17_IbLb0EEEEDaS13_S14_EUlS13_E_NS1_11comp_targetILNS1_3genE0ELNS1_11target_archE4294967295ELNS1_3gpuE0ELNS1_3repE0EEENS1_30default_config_static_selectorELNS0_4arch9wavefront6targetE0EEEvT1_ ; -- Begin function _ZN7rocprim17ROCPRIM_400000_NS6detail17trampoline_kernelINS0_14default_configENS1_25partition_config_selectorILNS1_17partition_subalgoE6EjNS0_10empty_typeEbEEZZNS1_14partition_implILS5_6ELb0ES3_mN6thrust23THRUST_200600_302600_NS6detail15normal_iteratorINSA_10device_ptrIjEEEEPS6_SG_NS0_5tupleIJSF_S6_EEENSH_IJSG_SG_EEES6_PlJNSB_9not_fun_tINSB_14equal_to_valueIjEEEEEEE10hipError_tPvRmT3_T4_T5_T6_T7_T9_mT8_P12ihipStream_tbDpT10_ENKUlT_T0_E_clISt17integral_constantIbLb1EES17_IbLb0EEEEDaS13_S14_EUlS13_E_NS1_11comp_targetILNS1_3genE0ELNS1_11target_archE4294967295ELNS1_3gpuE0ELNS1_3repE0EEENS1_30default_config_static_selectorELNS0_4arch9wavefront6targetE0EEEvT1_
	.globl	_ZN7rocprim17ROCPRIM_400000_NS6detail17trampoline_kernelINS0_14default_configENS1_25partition_config_selectorILNS1_17partition_subalgoE6EjNS0_10empty_typeEbEEZZNS1_14partition_implILS5_6ELb0ES3_mN6thrust23THRUST_200600_302600_NS6detail15normal_iteratorINSA_10device_ptrIjEEEEPS6_SG_NS0_5tupleIJSF_S6_EEENSH_IJSG_SG_EEES6_PlJNSB_9not_fun_tINSB_14equal_to_valueIjEEEEEEE10hipError_tPvRmT3_T4_T5_T6_T7_T9_mT8_P12ihipStream_tbDpT10_ENKUlT_T0_E_clISt17integral_constantIbLb1EES17_IbLb0EEEEDaS13_S14_EUlS13_E_NS1_11comp_targetILNS1_3genE0ELNS1_11target_archE4294967295ELNS1_3gpuE0ELNS1_3repE0EEENS1_30default_config_static_selectorELNS0_4arch9wavefront6targetE0EEEvT1_
	.p2align	8
	.type	_ZN7rocprim17ROCPRIM_400000_NS6detail17trampoline_kernelINS0_14default_configENS1_25partition_config_selectorILNS1_17partition_subalgoE6EjNS0_10empty_typeEbEEZZNS1_14partition_implILS5_6ELb0ES3_mN6thrust23THRUST_200600_302600_NS6detail15normal_iteratorINSA_10device_ptrIjEEEEPS6_SG_NS0_5tupleIJSF_S6_EEENSH_IJSG_SG_EEES6_PlJNSB_9not_fun_tINSB_14equal_to_valueIjEEEEEEE10hipError_tPvRmT3_T4_T5_T6_T7_T9_mT8_P12ihipStream_tbDpT10_ENKUlT_T0_E_clISt17integral_constantIbLb1EES17_IbLb0EEEEDaS13_S14_EUlS13_E_NS1_11comp_targetILNS1_3genE0ELNS1_11target_archE4294967295ELNS1_3gpuE0ELNS1_3repE0EEENS1_30default_config_static_selectorELNS0_4arch9wavefront6targetE0EEEvT1_,@function
_ZN7rocprim17ROCPRIM_400000_NS6detail17trampoline_kernelINS0_14default_configENS1_25partition_config_selectorILNS1_17partition_subalgoE6EjNS0_10empty_typeEbEEZZNS1_14partition_implILS5_6ELb0ES3_mN6thrust23THRUST_200600_302600_NS6detail15normal_iteratorINSA_10device_ptrIjEEEEPS6_SG_NS0_5tupleIJSF_S6_EEENSH_IJSG_SG_EEES6_PlJNSB_9not_fun_tINSB_14equal_to_valueIjEEEEEEE10hipError_tPvRmT3_T4_T5_T6_T7_T9_mT8_P12ihipStream_tbDpT10_ENKUlT_T0_E_clISt17integral_constantIbLb1EES17_IbLb0EEEEDaS13_S14_EUlS13_E_NS1_11comp_targetILNS1_3genE0ELNS1_11target_archE4294967295ELNS1_3gpuE0ELNS1_3repE0EEENS1_30default_config_static_selectorELNS0_4arch9wavefront6targetE0EEEvT1_: ; @_ZN7rocprim17ROCPRIM_400000_NS6detail17trampoline_kernelINS0_14default_configENS1_25partition_config_selectorILNS1_17partition_subalgoE6EjNS0_10empty_typeEbEEZZNS1_14partition_implILS5_6ELb0ES3_mN6thrust23THRUST_200600_302600_NS6detail15normal_iteratorINSA_10device_ptrIjEEEEPS6_SG_NS0_5tupleIJSF_S6_EEENSH_IJSG_SG_EEES6_PlJNSB_9not_fun_tINSB_14equal_to_valueIjEEEEEEE10hipError_tPvRmT3_T4_T5_T6_T7_T9_mT8_P12ihipStream_tbDpT10_ENKUlT_T0_E_clISt17integral_constantIbLb1EES17_IbLb0EEEEDaS13_S14_EUlS13_E_NS1_11comp_targetILNS1_3genE0ELNS1_11target_archE4294967295ELNS1_3gpuE0ELNS1_3repE0EEENS1_30default_config_static_selectorELNS0_4arch9wavefront6targetE0EEEvT1_
; %bb.0:
	.section	.rodata,"a",@progbits
	.p2align	6, 0x0
	.amdhsa_kernel _ZN7rocprim17ROCPRIM_400000_NS6detail17trampoline_kernelINS0_14default_configENS1_25partition_config_selectorILNS1_17partition_subalgoE6EjNS0_10empty_typeEbEEZZNS1_14partition_implILS5_6ELb0ES3_mN6thrust23THRUST_200600_302600_NS6detail15normal_iteratorINSA_10device_ptrIjEEEEPS6_SG_NS0_5tupleIJSF_S6_EEENSH_IJSG_SG_EEES6_PlJNSB_9not_fun_tINSB_14equal_to_valueIjEEEEEEE10hipError_tPvRmT3_T4_T5_T6_T7_T9_mT8_P12ihipStream_tbDpT10_ENKUlT_T0_E_clISt17integral_constantIbLb1EES17_IbLb0EEEEDaS13_S14_EUlS13_E_NS1_11comp_targetILNS1_3genE0ELNS1_11target_archE4294967295ELNS1_3gpuE0ELNS1_3repE0EEENS1_30default_config_static_selectorELNS0_4arch9wavefront6targetE0EEEvT1_
		.amdhsa_group_segment_fixed_size 0
		.amdhsa_private_segment_fixed_size 0
		.amdhsa_kernarg_size 120
		.amdhsa_user_sgpr_count 2
		.amdhsa_user_sgpr_dispatch_ptr 0
		.amdhsa_user_sgpr_queue_ptr 0
		.amdhsa_user_sgpr_kernarg_segment_ptr 1
		.amdhsa_user_sgpr_dispatch_id 0
		.amdhsa_user_sgpr_private_segment_size 0
		.amdhsa_wavefront_size32 1
		.amdhsa_uses_dynamic_stack 0
		.amdhsa_enable_private_segment 0
		.amdhsa_system_sgpr_workgroup_id_x 1
		.amdhsa_system_sgpr_workgroup_id_y 0
		.amdhsa_system_sgpr_workgroup_id_z 0
		.amdhsa_system_sgpr_workgroup_info 0
		.amdhsa_system_vgpr_workitem_id 0
		.amdhsa_next_free_vgpr 1
		.amdhsa_next_free_sgpr 1
		.amdhsa_reserve_vcc 0
		.amdhsa_float_round_mode_32 0
		.amdhsa_float_round_mode_16_64 0
		.amdhsa_float_denorm_mode_32 3
		.amdhsa_float_denorm_mode_16_64 3
		.amdhsa_fp16_overflow 0
		.amdhsa_workgroup_processor_mode 1
		.amdhsa_memory_ordered 1
		.amdhsa_forward_progress 1
		.amdhsa_inst_pref_size 0
		.amdhsa_round_robin_scheduling 0
		.amdhsa_exception_fp_ieee_invalid_op 0
		.amdhsa_exception_fp_denorm_src 0
		.amdhsa_exception_fp_ieee_div_zero 0
		.amdhsa_exception_fp_ieee_overflow 0
		.amdhsa_exception_fp_ieee_underflow 0
		.amdhsa_exception_fp_ieee_inexact 0
		.amdhsa_exception_int_div_zero 0
	.end_amdhsa_kernel
	.section	.text._ZN7rocprim17ROCPRIM_400000_NS6detail17trampoline_kernelINS0_14default_configENS1_25partition_config_selectorILNS1_17partition_subalgoE6EjNS0_10empty_typeEbEEZZNS1_14partition_implILS5_6ELb0ES3_mN6thrust23THRUST_200600_302600_NS6detail15normal_iteratorINSA_10device_ptrIjEEEEPS6_SG_NS0_5tupleIJSF_S6_EEENSH_IJSG_SG_EEES6_PlJNSB_9not_fun_tINSB_14equal_to_valueIjEEEEEEE10hipError_tPvRmT3_T4_T5_T6_T7_T9_mT8_P12ihipStream_tbDpT10_ENKUlT_T0_E_clISt17integral_constantIbLb1EES17_IbLb0EEEEDaS13_S14_EUlS13_E_NS1_11comp_targetILNS1_3genE0ELNS1_11target_archE4294967295ELNS1_3gpuE0ELNS1_3repE0EEENS1_30default_config_static_selectorELNS0_4arch9wavefront6targetE0EEEvT1_,"axG",@progbits,_ZN7rocprim17ROCPRIM_400000_NS6detail17trampoline_kernelINS0_14default_configENS1_25partition_config_selectorILNS1_17partition_subalgoE6EjNS0_10empty_typeEbEEZZNS1_14partition_implILS5_6ELb0ES3_mN6thrust23THRUST_200600_302600_NS6detail15normal_iteratorINSA_10device_ptrIjEEEEPS6_SG_NS0_5tupleIJSF_S6_EEENSH_IJSG_SG_EEES6_PlJNSB_9not_fun_tINSB_14equal_to_valueIjEEEEEEE10hipError_tPvRmT3_T4_T5_T6_T7_T9_mT8_P12ihipStream_tbDpT10_ENKUlT_T0_E_clISt17integral_constantIbLb1EES17_IbLb0EEEEDaS13_S14_EUlS13_E_NS1_11comp_targetILNS1_3genE0ELNS1_11target_archE4294967295ELNS1_3gpuE0ELNS1_3repE0EEENS1_30default_config_static_selectorELNS0_4arch9wavefront6targetE0EEEvT1_,comdat
.Lfunc_end389:
	.size	_ZN7rocprim17ROCPRIM_400000_NS6detail17trampoline_kernelINS0_14default_configENS1_25partition_config_selectorILNS1_17partition_subalgoE6EjNS0_10empty_typeEbEEZZNS1_14partition_implILS5_6ELb0ES3_mN6thrust23THRUST_200600_302600_NS6detail15normal_iteratorINSA_10device_ptrIjEEEEPS6_SG_NS0_5tupleIJSF_S6_EEENSH_IJSG_SG_EEES6_PlJNSB_9not_fun_tINSB_14equal_to_valueIjEEEEEEE10hipError_tPvRmT3_T4_T5_T6_T7_T9_mT8_P12ihipStream_tbDpT10_ENKUlT_T0_E_clISt17integral_constantIbLb1EES17_IbLb0EEEEDaS13_S14_EUlS13_E_NS1_11comp_targetILNS1_3genE0ELNS1_11target_archE4294967295ELNS1_3gpuE0ELNS1_3repE0EEENS1_30default_config_static_selectorELNS0_4arch9wavefront6targetE0EEEvT1_, .Lfunc_end389-_ZN7rocprim17ROCPRIM_400000_NS6detail17trampoline_kernelINS0_14default_configENS1_25partition_config_selectorILNS1_17partition_subalgoE6EjNS0_10empty_typeEbEEZZNS1_14partition_implILS5_6ELb0ES3_mN6thrust23THRUST_200600_302600_NS6detail15normal_iteratorINSA_10device_ptrIjEEEEPS6_SG_NS0_5tupleIJSF_S6_EEENSH_IJSG_SG_EEES6_PlJNSB_9not_fun_tINSB_14equal_to_valueIjEEEEEEE10hipError_tPvRmT3_T4_T5_T6_T7_T9_mT8_P12ihipStream_tbDpT10_ENKUlT_T0_E_clISt17integral_constantIbLb1EES17_IbLb0EEEEDaS13_S14_EUlS13_E_NS1_11comp_targetILNS1_3genE0ELNS1_11target_archE4294967295ELNS1_3gpuE0ELNS1_3repE0EEENS1_30default_config_static_selectorELNS0_4arch9wavefront6targetE0EEEvT1_
                                        ; -- End function
	.set _ZN7rocprim17ROCPRIM_400000_NS6detail17trampoline_kernelINS0_14default_configENS1_25partition_config_selectorILNS1_17partition_subalgoE6EjNS0_10empty_typeEbEEZZNS1_14partition_implILS5_6ELb0ES3_mN6thrust23THRUST_200600_302600_NS6detail15normal_iteratorINSA_10device_ptrIjEEEEPS6_SG_NS0_5tupleIJSF_S6_EEENSH_IJSG_SG_EEES6_PlJNSB_9not_fun_tINSB_14equal_to_valueIjEEEEEEE10hipError_tPvRmT3_T4_T5_T6_T7_T9_mT8_P12ihipStream_tbDpT10_ENKUlT_T0_E_clISt17integral_constantIbLb1EES17_IbLb0EEEEDaS13_S14_EUlS13_E_NS1_11comp_targetILNS1_3genE0ELNS1_11target_archE4294967295ELNS1_3gpuE0ELNS1_3repE0EEENS1_30default_config_static_selectorELNS0_4arch9wavefront6targetE0EEEvT1_.num_vgpr, 0
	.set _ZN7rocprim17ROCPRIM_400000_NS6detail17trampoline_kernelINS0_14default_configENS1_25partition_config_selectorILNS1_17partition_subalgoE6EjNS0_10empty_typeEbEEZZNS1_14partition_implILS5_6ELb0ES3_mN6thrust23THRUST_200600_302600_NS6detail15normal_iteratorINSA_10device_ptrIjEEEEPS6_SG_NS0_5tupleIJSF_S6_EEENSH_IJSG_SG_EEES6_PlJNSB_9not_fun_tINSB_14equal_to_valueIjEEEEEEE10hipError_tPvRmT3_T4_T5_T6_T7_T9_mT8_P12ihipStream_tbDpT10_ENKUlT_T0_E_clISt17integral_constantIbLb1EES17_IbLb0EEEEDaS13_S14_EUlS13_E_NS1_11comp_targetILNS1_3genE0ELNS1_11target_archE4294967295ELNS1_3gpuE0ELNS1_3repE0EEENS1_30default_config_static_selectorELNS0_4arch9wavefront6targetE0EEEvT1_.num_agpr, 0
	.set _ZN7rocprim17ROCPRIM_400000_NS6detail17trampoline_kernelINS0_14default_configENS1_25partition_config_selectorILNS1_17partition_subalgoE6EjNS0_10empty_typeEbEEZZNS1_14partition_implILS5_6ELb0ES3_mN6thrust23THRUST_200600_302600_NS6detail15normal_iteratorINSA_10device_ptrIjEEEEPS6_SG_NS0_5tupleIJSF_S6_EEENSH_IJSG_SG_EEES6_PlJNSB_9not_fun_tINSB_14equal_to_valueIjEEEEEEE10hipError_tPvRmT3_T4_T5_T6_T7_T9_mT8_P12ihipStream_tbDpT10_ENKUlT_T0_E_clISt17integral_constantIbLb1EES17_IbLb0EEEEDaS13_S14_EUlS13_E_NS1_11comp_targetILNS1_3genE0ELNS1_11target_archE4294967295ELNS1_3gpuE0ELNS1_3repE0EEENS1_30default_config_static_selectorELNS0_4arch9wavefront6targetE0EEEvT1_.numbered_sgpr, 0
	.set _ZN7rocprim17ROCPRIM_400000_NS6detail17trampoline_kernelINS0_14default_configENS1_25partition_config_selectorILNS1_17partition_subalgoE6EjNS0_10empty_typeEbEEZZNS1_14partition_implILS5_6ELb0ES3_mN6thrust23THRUST_200600_302600_NS6detail15normal_iteratorINSA_10device_ptrIjEEEEPS6_SG_NS0_5tupleIJSF_S6_EEENSH_IJSG_SG_EEES6_PlJNSB_9not_fun_tINSB_14equal_to_valueIjEEEEEEE10hipError_tPvRmT3_T4_T5_T6_T7_T9_mT8_P12ihipStream_tbDpT10_ENKUlT_T0_E_clISt17integral_constantIbLb1EES17_IbLb0EEEEDaS13_S14_EUlS13_E_NS1_11comp_targetILNS1_3genE0ELNS1_11target_archE4294967295ELNS1_3gpuE0ELNS1_3repE0EEENS1_30default_config_static_selectorELNS0_4arch9wavefront6targetE0EEEvT1_.num_named_barrier, 0
	.set _ZN7rocprim17ROCPRIM_400000_NS6detail17trampoline_kernelINS0_14default_configENS1_25partition_config_selectorILNS1_17partition_subalgoE6EjNS0_10empty_typeEbEEZZNS1_14partition_implILS5_6ELb0ES3_mN6thrust23THRUST_200600_302600_NS6detail15normal_iteratorINSA_10device_ptrIjEEEEPS6_SG_NS0_5tupleIJSF_S6_EEENSH_IJSG_SG_EEES6_PlJNSB_9not_fun_tINSB_14equal_to_valueIjEEEEEEE10hipError_tPvRmT3_T4_T5_T6_T7_T9_mT8_P12ihipStream_tbDpT10_ENKUlT_T0_E_clISt17integral_constantIbLb1EES17_IbLb0EEEEDaS13_S14_EUlS13_E_NS1_11comp_targetILNS1_3genE0ELNS1_11target_archE4294967295ELNS1_3gpuE0ELNS1_3repE0EEENS1_30default_config_static_selectorELNS0_4arch9wavefront6targetE0EEEvT1_.private_seg_size, 0
	.set _ZN7rocprim17ROCPRIM_400000_NS6detail17trampoline_kernelINS0_14default_configENS1_25partition_config_selectorILNS1_17partition_subalgoE6EjNS0_10empty_typeEbEEZZNS1_14partition_implILS5_6ELb0ES3_mN6thrust23THRUST_200600_302600_NS6detail15normal_iteratorINSA_10device_ptrIjEEEEPS6_SG_NS0_5tupleIJSF_S6_EEENSH_IJSG_SG_EEES6_PlJNSB_9not_fun_tINSB_14equal_to_valueIjEEEEEEE10hipError_tPvRmT3_T4_T5_T6_T7_T9_mT8_P12ihipStream_tbDpT10_ENKUlT_T0_E_clISt17integral_constantIbLb1EES17_IbLb0EEEEDaS13_S14_EUlS13_E_NS1_11comp_targetILNS1_3genE0ELNS1_11target_archE4294967295ELNS1_3gpuE0ELNS1_3repE0EEENS1_30default_config_static_selectorELNS0_4arch9wavefront6targetE0EEEvT1_.uses_vcc, 0
	.set _ZN7rocprim17ROCPRIM_400000_NS6detail17trampoline_kernelINS0_14default_configENS1_25partition_config_selectorILNS1_17partition_subalgoE6EjNS0_10empty_typeEbEEZZNS1_14partition_implILS5_6ELb0ES3_mN6thrust23THRUST_200600_302600_NS6detail15normal_iteratorINSA_10device_ptrIjEEEEPS6_SG_NS0_5tupleIJSF_S6_EEENSH_IJSG_SG_EEES6_PlJNSB_9not_fun_tINSB_14equal_to_valueIjEEEEEEE10hipError_tPvRmT3_T4_T5_T6_T7_T9_mT8_P12ihipStream_tbDpT10_ENKUlT_T0_E_clISt17integral_constantIbLb1EES17_IbLb0EEEEDaS13_S14_EUlS13_E_NS1_11comp_targetILNS1_3genE0ELNS1_11target_archE4294967295ELNS1_3gpuE0ELNS1_3repE0EEENS1_30default_config_static_selectorELNS0_4arch9wavefront6targetE0EEEvT1_.uses_flat_scratch, 0
	.set _ZN7rocprim17ROCPRIM_400000_NS6detail17trampoline_kernelINS0_14default_configENS1_25partition_config_selectorILNS1_17partition_subalgoE6EjNS0_10empty_typeEbEEZZNS1_14partition_implILS5_6ELb0ES3_mN6thrust23THRUST_200600_302600_NS6detail15normal_iteratorINSA_10device_ptrIjEEEEPS6_SG_NS0_5tupleIJSF_S6_EEENSH_IJSG_SG_EEES6_PlJNSB_9not_fun_tINSB_14equal_to_valueIjEEEEEEE10hipError_tPvRmT3_T4_T5_T6_T7_T9_mT8_P12ihipStream_tbDpT10_ENKUlT_T0_E_clISt17integral_constantIbLb1EES17_IbLb0EEEEDaS13_S14_EUlS13_E_NS1_11comp_targetILNS1_3genE0ELNS1_11target_archE4294967295ELNS1_3gpuE0ELNS1_3repE0EEENS1_30default_config_static_selectorELNS0_4arch9wavefront6targetE0EEEvT1_.has_dyn_sized_stack, 0
	.set _ZN7rocprim17ROCPRIM_400000_NS6detail17trampoline_kernelINS0_14default_configENS1_25partition_config_selectorILNS1_17partition_subalgoE6EjNS0_10empty_typeEbEEZZNS1_14partition_implILS5_6ELb0ES3_mN6thrust23THRUST_200600_302600_NS6detail15normal_iteratorINSA_10device_ptrIjEEEEPS6_SG_NS0_5tupleIJSF_S6_EEENSH_IJSG_SG_EEES6_PlJNSB_9not_fun_tINSB_14equal_to_valueIjEEEEEEE10hipError_tPvRmT3_T4_T5_T6_T7_T9_mT8_P12ihipStream_tbDpT10_ENKUlT_T0_E_clISt17integral_constantIbLb1EES17_IbLb0EEEEDaS13_S14_EUlS13_E_NS1_11comp_targetILNS1_3genE0ELNS1_11target_archE4294967295ELNS1_3gpuE0ELNS1_3repE0EEENS1_30default_config_static_selectorELNS0_4arch9wavefront6targetE0EEEvT1_.has_recursion, 0
	.set _ZN7rocprim17ROCPRIM_400000_NS6detail17trampoline_kernelINS0_14default_configENS1_25partition_config_selectorILNS1_17partition_subalgoE6EjNS0_10empty_typeEbEEZZNS1_14partition_implILS5_6ELb0ES3_mN6thrust23THRUST_200600_302600_NS6detail15normal_iteratorINSA_10device_ptrIjEEEEPS6_SG_NS0_5tupleIJSF_S6_EEENSH_IJSG_SG_EEES6_PlJNSB_9not_fun_tINSB_14equal_to_valueIjEEEEEEE10hipError_tPvRmT3_T4_T5_T6_T7_T9_mT8_P12ihipStream_tbDpT10_ENKUlT_T0_E_clISt17integral_constantIbLb1EES17_IbLb0EEEEDaS13_S14_EUlS13_E_NS1_11comp_targetILNS1_3genE0ELNS1_11target_archE4294967295ELNS1_3gpuE0ELNS1_3repE0EEENS1_30default_config_static_selectorELNS0_4arch9wavefront6targetE0EEEvT1_.has_indirect_call, 0
	.section	.AMDGPU.csdata,"",@progbits
; Kernel info:
; codeLenInByte = 0
; TotalNumSgprs: 0
; NumVgprs: 0
; ScratchSize: 0
; MemoryBound: 0
; FloatMode: 240
; IeeeMode: 1
; LDSByteSize: 0 bytes/workgroup (compile time only)
; SGPRBlocks: 0
; VGPRBlocks: 0
; NumSGPRsForWavesPerEU: 1
; NumVGPRsForWavesPerEU: 1
; Occupancy: 16
; WaveLimiterHint : 0
; COMPUTE_PGM_RSRC2:SCRATCH_EN: 0
; COMPUTE_PGM_RSRC2:USER_SGPR: 2
; COMPUTE_PGM_RSRC2:TRAP_HANDLER: 0
; COMPUTE_PGM_RSRC2:TGID_X_EN: 1
; COMPUTE_PGM_RSRC2:TGID_Y_EN: 0
; COMPUTE_PGM_RSRC2:TGID_Z_EN: 0
; COMPUTE_PGM_RSRC2:TIDIG_COMP_CNT: 0
	.section	.text._ZN7rocprim17ROCPRIM_400000_NS6detail17trampoline_kernelINS0_14default_configENS1_25partition_config_selectorILNS1_17partition_subalgoE6EjNS0_10empty_typeEbEEZZNS1_14partition_implILS5_6ELb0ES3_mN6thrust23THRUST_200600_302600_NS6detail15normal_iteratorINSA_10device_ptrIjEEEEPS6_SG_NS0_5tupleIJSF_S6_EEENSH_IJSG_SG_EEES6_PlJNSB_9not_fun_tINSB_14equal_to_valueIjEEEEEEE10hipError_tPvRmT3_T4_T5_T6_T7_T9_mT8_P12ihipStream_tbDpT10_ENKUlT_T0_E_clISt17integral_constantIbLb1EES17_IbLb0EEEEDaS13_S14_EUlS13_E_NS1_11comp_targetILNS1_3genE5ELNS1_11target_archE942ELNS1_3gpuE9ELNS1_3repE0EEENS1_30default_config_static_selectorELNS0_4arch9wavefront6targetE0EEEvT1_,"axG",@progbits,_ZN7rocprim17ROCPRIM_400000_NS6detail17trampoline_kernelINS0_14default_configENS1_25partition_config_selectorILNS1_17partition_subalgoE6EjNS0_10empty_typeEbEEZZNS1_14partition_implILS5_6ELb0ES3_mN6thrust23THRUST_200600_302600_NS6detail15normal_iteratorINSA_10device_ptrIjEEEEPS6_SG_NS0_5tupleIJSF_S6_EEENSH_IJSG_SG_EEES6_PlJNSB_9not_fun_tINSB_14equal_to_valueIjEEEEEEE10hipError_tPvRmT3_T4_T5_T6_T7_T9_mT8_P12ihipStream_tbDpT10_ENKUlT_T0_E_clISt17integral_constantIbLb1EES17_IbLb0EEEEDaS13_S14_EUlS13_E_NS1_11comp_targetILNS1_3genE5ELNS1_11target_archE942ELNS1_3gpuE9ELNS1_3repE0EEENS1_30default_config_static_selectorELNS0_4arch9wavefront6targetE0EEEvT1_,comdat
	.protected	_ZN7rocprim17ROCPRIM_400000_NS6detail17trampoline_kernelINS0_14default_configENS1_25partition_config_selectorILNS1_17partition_subalgoE6EjNS0_10empty_typeEbEEZZNS1_14partition_implILS5_6ELb0ES3_mN6thrust23THRUST_200600_302600_NS6detail15normal_iteratorINSA_10device_ptrIjEEEEPS6_SG_NS0_5tupleIJSF_S6_EEENSH_IJSG_SG_EEES6_PlJNSB_9not_fun_tINSB_14equal_to_valueIjEEEEEEE10hipError_tPvRmT3_T4_T5_T6_T7_T9_mT8_P12ihipStream_tbDpT10_ENKUlT_T0_E_clISt17integral_constantIbLb1EES17_IbLb0EEEEDaS13_S14_EUlS13_E_NS1_11comp_targetILNS1_3genE5ELNS1_11target_archE942ELNS1_3gpuE9ELNS1_3repE0EEENS1_30default_config_static_selectorELNS0_4arch9wavefront6targetE0EEEvT1_ ; -- Begin function _ZN7rocprim17ROCPRIM_400000_NS6detail17trampoline_kernelINS0_14default_configENS1_25partition_config_selectorILNS1_17partition_subalgoE6EjNS0_10empty_typeEbEEZZNS1_14partition_implILS5_6ELb0ES3_mN6thrust23THRUST_200600_302600_NS6detail15normal_iteratorINSA_10device_ptrIjEEEEPS6_SG_NS0_5tupleIJSF_S6_EEENSH_IJSG_SG_EEES6_PlJNSB_9not_fun_tINSB_14equal_to_valueIjEEEEEEE10hipError_tPvRmT3_T4_T5_T6_T7_T9_mT8_P12ihipStream_tbDpT10_ENKUlT_T0_E_clISt17integral_constantIbLb1EES17_IbLb0EEEEDaS13_S14_EUlS13_E_NS1_11comp_targetILNS1_3genE5ELNS1_11target_archE942ELNS1_3gpuE9ELNS1_3repE0EEENS1_30default_config_static_selectorELNS0_4arch9wavefront6targetE0EEEvT1_
	.globl	_ZN7rocprim17ROCPRIM_400000_NS6detail17trampoline_kernelINS0_14default_configENS1_25partition_config_selectorILNS1_17partition_subalgoE6EjNS0_10empty_typeEbEEZZNS1_14partition_implILS5_6ELb0ES3_mN6thrust23THRUST_200600_302600_NS6detail15normal_iteratorINSA_10device_ptrIjEEEEPS6_SG_NS0_5tupleIJSF_S6_EEENSH_IJSG_SG_EEES6_PlJNSB_9not_fun_tINSB_14equal_to_valueIjEEEEEEE10hipError_tPvRmT3_T4_T5_T6_T7_T9_mT8_P12ihipStream_tbDpT10_ENKUlT_T0_E_clISt17integral_constantIbLb1EES17_IbLb0EEEEDaS13_S14_EUlS13_E_NS1_11comp_targetILNS1_3genE5ELNS1_11target_archE942ELNS1_3gpuE9ELNS1_3repE0EEENS1_30default_config_static_selectorELNS0_4arch9wavefront6targetE0EEEvT1_
	.p2align	8
	.type	_ZN7rocprim17ROCPRIM_400000_NS6detail17trampoline_kernelINS0_14default_configENS1_25partition_config_selectorILNS1_17partition_subalgoE6EjNS0_10empty_typeEbEEZZNS1_14partition_implILS5_6ELb0ES3_mN6thrust23THRUST_200600_302600_NS6detail15normal_iteratorINSA_10device_ptrIjEEEEPS6_SG_NS0_5tupleIJSF_S6_EEENSH_IJSG_SG_EEES6_PlJNSB_9not_fun_tINSB_14equal_to_valueIjEEEEEEE10hipError_tPvRmT3_T4_T5_T6_T7_T9_mT8_P12ihipStream_tbDpT10_ENKUlT_T0_E_clISt17integral_constantIbLb1EES17_IbLb0EEEEDaS13_S14_EUlS13_E_NS1_11comp_targetILNS1_3genE5ELNS1_11target_archE942ELNS1_3gpuE9ELNS1_3repE0EEENS1_30default_config_static_selectorELNS0_4arch9wavefront6targetE0EEEvT1_,@function
_ZN7rocprim17ROCPRIM_400000_NS6detail17trampoline_kernelINS0_14default_configENS1_25partition_config_selectorILNS1_17partition_subalgoE6EjNS0_10empty_typeEbEEZZNS1_14partition_implILS5_6ELb0ES3_mN6thrust23THRUST_200600_302600_NS6detail15normal_iteratorINSA_10device_ptrIjEEEEPS6_SG_NS0_5tupleIJSF_S6_EEENSH_IJSG_SG_EEES6_PlJNSB_9not_fun_tINSB_14equal_to_valueIjEEEEEEE10hipError_tPvRmT3_T4_T5_T6_T7_T9_mT8_P12ihipStream_tbDpT10_ENKUlT_T0_E_clISt17integral_constantIbLb1EES17_IbLb0EEEEDaS13_S14_EUlS13_E_NS1_11comp_targetILNS1_3genE5ELNS1_11target_archE942ELNS1_3gpuE9ELNS1_3repE0EEENS1_30default_config_static_selectorELNS0_4arch9wavefront6targetE0EEEvT1_: ; @_ZN7rocprim17ROCPRIM_400000_NS6detail17trampoline_kernelINS0_14default_configENS1_25partition_config_selectorILNS1_17partition_subalgoE6EjNS0_10empty_typeEbEEZZNS1_14partition_implILS5_6ELb0ES3_mN6thrust23THRUST_200600_302600_NS6detail15normal_iteratorINSA_10device_ptrIjEEEEPS6_SG_NS0_5tupleIJSF_S6_EEENSH_IJSG_SG_EEES6_PlJNSB_9not_fun_tINSB_14equal_to_valueIjEEEEEEE10hipError_tPvRmT3_T4_T5_T6_T7_T9_mT8_P12ihipStream_tbDpT10_ENKUlT_T0_E_clISt17integral_constantIbLb1EES17_IbLb0EEEEDaS13_S14_EUlS13_E_NS1_11comp_targetILNS1_3genE5ELNS1_11target_archE942ELNS1_3gpuE9ELNS1_3repE0EEENS1_30default_config_static_selectorELNS0_4arch9wavefront6targetE0EEEvT1_
; %bb.0:
	.section	.rodata,"a",@progbits
	.p2align	6, 0x0
	.amdhsa_kernel _ZN7rocprim17ROCPRIM_400000_NS6detail17trampoline_kernelINS0_14default_configENS1_25partition_config_selectorILNS1_17partition_subalgoE6EjNS0_10empty_typeEbEEZZNS1_14partition_implILS5_6ELb0ES3_mN6thrust23THRUST_200600_302600_NS6detail15normal_iteratorINSA_10device_ptrIjEEEEPS6_SG_NS0_5tupleIJSF_S6_EEENSH_IJSG_SG_EEES6_PlJNSB_9not_fun_tINSB_14equal_to_valueIjEEEEEEE10hipError_tPvRmT3_T4_T5_T6_T7_T9_mT8_P12ihipStream_tbDpT10_ENKUlT_T0_E_clISt17integral_constantIbLb1EES17_IbLb0EEEEDaS13_S14_EUlS13_E_NS1_11comp_targetILNS1_3genE5ELNS1_11target_archE942ELNS1_3gpuE9ELNS1_3repE0EEENS1_30default_config_static_selectorELNS0_4arch9wavefront6targetE0EEEvT1_
		.amdhsa_group_segment_fixed_size 0
		.amdhsa_private_segment_fixed_size 0
		.amdhsa_kernarg_size 120
		.amdhsa_user_sgpr_count 2
		.amdhsa_user_sgpr_dispatch_ptr 0
		.amdhsa_user_sgpr_queue_ptr 0
		.amdhsa_user_sgpr_kernarg_segment_ptr 1
		.amdhsa_user_sgpr_dispatch_id 0
		.amdhsa_user_sgpr_private_segment_size 0
		.amdhsa_wavefront_size32 1
		.amdhsa_uses_dynamic_stack 0
		.amdhsa_enable_private_segment 0
		.amdhsa_system_sgpr_workgroup_id_x 1
		.amdhsa_system_sgpr_workgroup_id_y 0
		.amdhsa_system_sgpr_workgroup_id_z 0
		.amdhsa_system_sgpr_workgroup_info 0
		.amdhsa_system_vgpr_workitem_id 0
		.amdhsa_next_free_vgpr 1
		.amdhsa_next_free_sgpr 1
		.amdhsa_reserve_vcc 0
		.amdhsa_float_round_mode_32 0
		.amdhsa_float_round_mode_16_64 0
		.amdhsa_float_denorm_mode_32 3
		.amdhsa_float_denorm_mode_16_64 3
		.amdhsa_fp16_overflow 0
		.amdhsa_workgroup_processor_mode 1
		.amdhsa_memory_ordered 1
		.amdhsa_forward_progress 1
		.amdhsa_inst_pref_size 0
		.amdhsa_round_robin_scheduling 0
		.amdhsa_exception_fp_ieee_invalid_op 0
		.amdhsa_exception_fp_denorm_src 0
		.amdhsa_exception_fp_ieee_div_zero 0
		.amdhsa_exception_fp_ieee_overflow 0
		.amdhsa_exception_fp_ieee_underflow 0
		.amdhsa_exception_fp_ieee_inexact 0
		.amdhsa_exception_int_div_zero 0
	.end_amdhsa_kernel
	.section	.text._ZN7rocprim17ROCPRIM_400000_NS6detail17trampoline_kernelINS0_14default_configENS1_25partition_config_selectorILNS1_17partition_subalgoE6EjNS0_10empty_typeEbEEZZNS1_14partition_implILS5_6ELb0ES3_mN6thrust23THRUST_200600_302600_NS6detail15normal_iteratorINSA_10device_ptrIjEEEEPS6_SG_NS0_5tupleIJSF_S6_EEENSH_IJSG_SG_EEES6_PlJNSB_9not_fun_tINSB_14equal_to_valueIjEEEEEEE10hipError_tPvRmT3_T4_T5_T6_T7_T9_mT8_P12ihipStream_tbDpT10_ENKUlT_T0_E_clISt17integral_constantIbLb1EES17_IbLb0EEEEDaS13_S14_EUlS13_E_NS1_11comp_targetILNS1_3genE5ELNS1_11target_archE942ELNS1_3gpuE9ELNS1_3repE0EEENS1_30default_config_static_selectorELNS0_4arch9wavefront6targetE0EEEvT1_,"axG",@progbits,_ZN7rocprim17ROCPRIM_400000_NS6detail17trampoline_kernelINS0_14default_configENS1_25partition_config_selectorILNS1_17partition_subalgoE6EjNS0_10empty_typeEbEEZZNS1_14partition_implILS5_6ELb0ES3_mN6thrust23THRUST_200600_302600_NS6detail15normal_iteratorINSA_10device_ptrIjEEEEPS6_SG_NS0_5tupleIJSF_S6_EEENSH_IJSG_SG_EEES6_PlJNSB_9not_fun_tINSB_14equal_to_valueIjEEEEEEE10hipError_tPvRmT3_T4_T5_T6_T7_T9_mT8_P12ihipStream_tbDpT10_ENKUlT_T0_E_clISt17integral_constantIbLb1EES17_IbLb0EEEEDaS13_S14_EUlS13_E_NS1_11comp_targetILNS1_3genE5ELNS1_11target_archE942ELNS1_3gpuE9ELNS1_3repE0EEENS1_30default_config_static_selectorELNS0_4arch9wavefront6targetE0EEEvT1_,comdat
.Lfunc_end390:
	.size	_ZN7rocprim17ROCPRIM_400000_NS6detail17trampoline_kernelINS0_14default_configENS1_25partition_config_selectorILNS1_17partition_subalgoE6EjNS0_10empty_typeEbEEZZNS1_14partition_implILS5_6ELb0ES3_mN6thrust23THRUST_200600_302600_NS6detail15normal_iteratorINSA_10device_ptrIjEEEEPS6_SG_NS0_5tupleIJSF_S6_EEENSH_IJSG_SG_EEES6_PlJNSB_9not_fun_tINSB_14equal_to_valueIjEEEEEEE10hipError_tPvRmT3_T4_T5_T6_T7_T9_mT8_P12ihipStream_tbDpT10_ENKUlT_T0_E_clISt17integral_constantIbLb1EES17_IbLb0EEEEDaS13_S14_EUlS13_E_NS1_11comp_targetILNS1_3genE5ELNS1_11target_archE942ELNS1_3gpuE9ELNS1_3repE0EEENS1_30default_config_static_selectorELNS0_4arch9wavefront6targetE0EEEvT1_, .Lfunc_end390-_ZN7rocprim17ROCPRIM_400000_NS6detail17trampoline_kernelINS0_14default_configENS1_25partition_config_selectorILNS1_17partition_subalgoE6EjNS0_10empty_typeEbEEZZNS1_14partition_implILS5_6ELb0ES3_mN6thrust23THRUST_200600_302600_NS6detail15normal_iteratorINSA_10device_ptrIjEEEEPS6_SG_NS0_5tupleIJSF_S6_EEENSH_IJSG_SG_EEES6_PlJNSB_9not_fun_tINSB_14equal_to_valueIjEEEEEEE10hipError_tPvRmT3_T4_T5_T6_T7_T9_mT8_P12ihipStream_tbDpT10_ENKUlT_T0_E_clISt17integral_constantIbLb1EES17_IbLb0EEEEDaS13_S14_EUlS13_E_NS1_11comp_targetILNS1_3genE5ELNS1_11target_archE942ELNS1_3gpuE9ELNS1_3repE0EEENS1_30default_config_static_selectorELNS0_4arch9wavefront6targetE0EEEvT1_
                                        ; -- End function
	.set _ZN7rocprim17ROCPRIM_400000_NS6detail17trampoline_kernelINS0_14default_configENS1_25partition_config_selectorILNS1_17partition_subalgoE6EjNS0_10empty_typeEbEEZZNS1_14partition_implILS5_6ELb0ES3_mN6thrust23THRUST_200600_302600_NS6detail15normal_iteratorINSA_10device_ptrIjEEEEPS6_SG_NS0_5tupleIJSF_S6_EEENSH_IJSG_SG_EEES6_PlJNSB_9not_fun_tINSB_14equal_to_valueIjEEEEEEE10hipError_tPvRmT3_T4_T5_T6_T7_T9_mT8_P12ihipStream_tbDpT10_ENKUlT_T0_E_clISt17integral_constantIbLb1EES17_IbLb0EEEEDaS13_S14_EUlS13_E_NS1_11comp_targetILNS1_3genE5ELNS1_11target_archE942ELNS1_3gpuE9ELNS1_3repE0EEENS1_30default_config_static_selectorELNS0_4arch9wavefront6targetE0EEEvT1_.num_vgpr, 0
	.set _ZN7rocprim17ROCPRIM_400000_NS6detail17trampoline_kernelINS0_14default_configENS1_25partition_config_selectorILNS1_17partition_subalgoE6EjNS0_10empty_typeEbEEZZNS1_14partition_implILS5_6ELb0ES3_mN6thrust23THRUST_200600_302600_NS6detail15normal_iteratorINSA_10device_ptrIjEEEEPS6_SG_NS0_5tupleIJSF_S6_EEENSH_IJSG_SG_EEES6_PlJNSB_9not_fun_tINSB_14equal_to_valueIjEEEEEEE10hipError_tPvRmT3_T4_T5_T6_T7_T9_mT8_P12ihipStream_tbDpT10_ENKUlT_T0_E_clISt17integral_constantIbLb1EES17_IbLb0EEEEDaS13_S14_EUlS13_E_NS1_11comp_targetILNS1_3genE5ELNS1_11target_archE942ELNS1_3gpuE9ELNS1_3repE0EEENS1_30default_config_static_selectorELNS0_4arch9wavefront6targetE0EEEvT1_.num_agpr, 0
	.set _ZN7rocprim17ROCPRIM_400000_NS6detail17trampoline_kernelINS0_14default_configENS1_25partition_config_selectorILNS1_17partition_subalgoE6EjNS0_10empty_typeEbEEZZNS1_14partition_implILS5_6ELb0ES3_mN6thrust23THRUST_200600_302600_NS6detail15normal_iteratorINSA_10device_ptrIjEEEEPS6_SG_NS0_5tupleIJSF_S6_EEENSH_IJSG_SG_EEES6_PlJNSB_9not_fun_tINSB_14equal_to_valueIjEEEEEEE10hipError_tPvRmT3_T4_T5_T6_T7_T9_mT8_P12ihipStream_tbDpT10_ENKUlT_T0_E_clISt17integral_constantIbLb1EES17_IbLb0EEEEDaS13_S14_EUlS13_E_NS1_11comp_targetILNS1_3genE5ELNS1_11target_archE942ELNS1_3gpuE9ELNS1_3repE0EEENS1_30default_config_static_selectorELNS0_4arch9wavefront6targetE0EEEvT1_.numbered_sgpr, 0
	.set _ZN7rocprim17ROCPRIM_400000_NS6detail17trampoline_kernelINS0_14default_configENS1_25partition_config_selectorILNS1_17partition_subalgoE6EjNS0_10empty_typeEbEEZZNS1_14partition_implILS5_6ELb0ES3_mN6thrust23THRUST_200600_302600_NS6detail15normal_iteratorINSA_10device_ptrIjEEEEPS6_SG_NS0_5tupleIJSF_S6_EEENSH_IJSG_SG_EEES6_PlJNSB_9not_fun_tINSB_14equal_to_valueIjEEEEEEE10hipError_tPvRmT3_T4_T5_T6_T7_T9_mT8_P12ihipStream_tbDpT10_ENKUlT_T0_E_clISt17integral_constantIbLb1EES17_IbLb0EEEEDaS13_S14_EUlS13_E_NS1_11comp_targetILNS1_3genE5ELNS1_11target_archE942ELNS1_3gpuE9ELNS1_3repE0EEENS1_30default_config_static_selectorELNS0_4arch9wavefront6targetE0EEEvT1_.num_named_barrier, 0
	.set _ZN7rocprim17ROCPRIM_400000_NS6detail17trampoline_kernelINS0_14default_configENS1_25partition_config_selectorILNS1_17partition_subalgoE6EjNS0_10empty_typeEbEEZZNS1_14partition_implILS5_6ELb0ES3_mN6thrust23THRUST_200600_302600_NS6detail15normal_iteratorINSA_10device_ptrIjEEEEPS6_SG_NS0_5tupleIJSF_S6_EEENSH_IJSG_SG_EEES6_PlJNSB_9not_fun_tINSB_14equal_to_valueIjEEEEEEE10hipError_tPvRmT3_T4_T5_T6_T7_T9_mT8_P12ihipStream_tbDpT10_ENKUlT_T0_E_clISt17integral_constantIbLb1EES17_IbLb0EEEEDaS13_S14_EUlS13_E_NS1_11comp_targetILNS1_3genE5ELNS1_11target_archE942ELNS1_3gpuE9ELNS1_3repE0EEENS1_30default_config_static_selectorELNS0_4arch9wavefront6targetE0EEEvT1_.private_seg_size, 0
	.set _ZN7rocprim17ROCPRIM_400000_NS6detail17trampoline_kernelINS0_14default_configENS1_25partition_config_selectorILNS1_17partition_subalgoE6EjNS0_10empty_typeEbEEZZNS1_14partition_implILS5_6ELb0ES3_mN6thrust23THRUST_200600_302600_NS6detail15normal_iteratorINSA_10device_ptrIjEEEEPS6_SG_NS0_5tupleIJSF_S6_EEENSH_IJSG_SG_EEES6_PlJNSB_9not_fun_tINSB_14equal_to_valueIjEEEEEEE10hipError_tPvRmT3_T4_T5_T6_T7_T9_mT8_P12ihipStream_tbDpT10_ENKUlT_T0_E_clISt17integral_constantIbLb1EES17_IbLb0EEEEDaS13_S14_EUlS13_E_NS1_11comp_targetILNS1_3genE5ELNS1_11target_archE942ELNS1_3gpuE9ELNS1_3repE0EEENS1_30default_config_static_selectorELNS0_4arch9wavefront6targetE0EEEvT1_.uses_vcc, 0
	.set _ZN7rocprim17ROCPRIM_400000_NS6detail17trampoline_kernelINS0_14default_configENS1_25partition_config_selectorILNS1_17partition_subalgoE6EjNS0_10empty_typeEbEEZZNS1_14partition_implILS5_6ELb0ES3_mN6thrust23THRUST_200600_302600_NS6detail15normal_iteratorINSA_10device_ptrIjEEEEPS6_SG_NS0_5tupleIJSF_S6_EEENSH_IJSG_SG_EEES6_PlJNSB_9not_fun_tINSB_14equal_to_valueIjEEEEEEE10hipError_tPvRmT3_T4_T5_T6_T7_T9_mT8_P12ihipStream_tbDpT10_ENKUlT_T0_E_clISt17integral_constantIbLb1EES17_IbLb0EEEEDaS13_S14_EUlS13_E_NS1_11comp_targetILNS1_3genE5ELNS1_11target_archE942ELNS1_3gpuE9ELNS1_3repE0EEENS1_30default_config_static_selectorELNS0_4arch9wavefront6targetE0EEEvT1_.uses_flat_scratch, 0
	.set _ZN7rocprim17ROCPRIM_400000_NS6detail17trampoline_kernelINS0_14default_configENS1_25partition_config_selectorILNS1_17partition_subalgoE6EjNS0_10empty_typeEbEEZZNS1_14partition_implILS5_6ELb0ES3_mN6thrust23THRUST_200600_302600_NS6detail15normal_iteratorINSA_10device_ptrIjEEEEPS6_SG_NS0_5tupleIJSF_S6_EEENSH_IJSG_SG_EEES6_PlJNSB_9not_fun_tINSB_14equal_to_valueIjEEEEEEE10hipError_tPvRmT3_T4_T5_T6_T7_T9_mT8_P12ihipStream_tbDpT10_ENKUlT_T0_E_clISt17integral_constantIbLb1EES17_IbLb0EEEEDaS13_S14_EUlS13_E_NS1_11comp_targetILNS1_3genE5ELNS1_11target_archE942ELNS1_3gpuE9ELNS1_3repE0EEENS1_30default_config_static_selectorELNS0_4arch9wavefront6targetE0EEEvT1_.has_dyn_sized_stack, 0
	.set _ZN7rocprim17ROCPRIM_400000_NS6detail17trampoline_kernelINS0_14default_configENS1_25partition_config_selectorILNS1_17partition_subalgoE6EjNS0_10empty_typeEbEEZZNS1_14partition_implILS5_6ELb0ES3_mN6thrust23THRUST_200600_302600_NS6detail15normal_iteratorINSA_10device_ptrIjEEEEPS6_SG_NS0_5tupleIJSF_S6_EEENSH_IJSG_SG_EEES6_PlJNSB_9not_fun_tINSB_14equal_to_valueIjEEEEEEE10hipError_tPvRmT3_T4_T5_T6_T7_T9_mT8_P12ihipStream_tbDpT10_ENKUlT_T0_E_clISt17integral_constantIbLb1EES17_IbLb0EEEEDaS13_S14_EUlS13_E_NS1_11comp_targetILNS1_3genE5ELNS1_11target_archE942ELNS1_3gpuE9ELNS1_3repE0EEENS1_30default_config_static_selectorELNS0_4arch9wavefront6targetE0EEEvT1_.has_recursion, 0
	.set _ZN7rocprim17ROCPRIM_400000_NS6detail17trampoline_kernelINS0_14default_configENS1_25partition_config_selectorILNS1_17partition_subalgoE6EjNS0_10empty_typeEbEEZZNS1_14partition_implILS5_6ELb0ES3_mN6thrust23THRUST_200600_302600_NS6detail15normal_iteratorINSA_10device_ptrIjEEEEPS6_SG_NS0_5tupleIJSF_S6_EEENSH_IJSG_SG_EEES6_PlJNSB_9not_fun_tINSB_14equal_to_valueIjEEEEEEE10hipError_tPvRmT3_T4_T5_T6_T7_T9_mT8_P12ihipStream_tbDpT10_ENKUlT_T0_E_clISt17integral_constantIbLb1EES17_IbLb0EEEEDaS13_S14_EUlS13_E_NS1_11comp_targetILNS1_3genE5ELNS1_11target_archE942ELNS1_3gpuE9ELNS1_3repE0EEENS1_30default_config_static_selectorELNS0_4arch9wavefront6targetE0EEEvT1_.has_indirect_call, 0
	.section	.AMDGPU.csdata,"",@progbits
; Kernel info:
; codeLenInByte = 0
; TotalNumSgprs: 0
; NumVgprs: 0
; ScratchSize: 0
; MemoryBound: 0
; FloatMode: 240
; IeeeMode: 1
; LDSByteSize: 0 bytes/workgroup (compile time only)
; SGPRBlocks: 0
; VGPRBlocks: 0
; NumSGPRsForWavesPerEU: 1
; NumVGPRsForWavesPerEU: 1
; Occupancy: 16
; WaveLimiterHint : 0
; COMPUTE_PGM_RSRC2:SCRATCH_EN: 0
; COMPUTE_PGM_RSRC2:USER_SGPR: 2
; COMPUTE_PGM_RSRC2:TRAP_HANDLER: 0
; COMPUTE_PGM_RSRC2:TGID_X_EN: 1
; COMPUTE_PGM_RSRC2:TGID_Y_EN: 0
; COMPUTE_PGM_RSRC2:TGID_Z_EN: 0
; COMPUTE_PGM_RSRC2:TIDIG_COMP_CNT: 0
	.section	.text._ZN7rocprim17ROCPRIM_400000_NS6detail17trampoline_kernelINS0_14default_configENS1_25partition_config_selectorILNS1_17partition_subalgoE6EjNS0_10empty_typeEbEEZZNS1_14partition_implILS5_6ELb0ES3_mN6thrust23THRUST_200600_302600_NS6detail15normal_iteratorINSA_10device_ptrIjEEEEPS6_SG_NS0_5tupleIJSF_S6_EEENSH_IJSG_SG_EEES6_PlJNSB_9not_fun_tINSB_14equal_to_valueIjEEEEEEE10hipError_tPvRmT3_T4_T5_T6_T7_T9_mT8_P12ihipStream_tbDpT10_ENKUlT_T0_E_clISt17integral_constantIbLb1EES17_IbLb0EEEEDaS13_S14_EUlS13_E_NS1_11comp_targetILNS1_3genE4ELNS1_11target_archE910ELNS1_3gpuE8ELNS1_3repE0EEENS1_30default_config_static_selectorELNS0_4arch9wavefront6targetE0EEEvT1_,"axG",@progbits,_ZN7rocprim17ROCPRIM_400000_NS6detail17trampoline_kernelINS0_14default_configENS1_25partition_config_selectorILNS1_17partition_subalgoE6EjNS0_10empty_typeEbEEZZNS1_14partition_implILS5_6ELb0ES3_mN6thrust23THRUST_200600_302600_NS6detail15normal_iteratorINSA_10device_ptrIjEEEEPS6_SG_NS0_5tupleIJSF_S6_EEENSH_IJSG_SG_EEES6_PlJNSB_9not_fun_tINSB_14equal_to_valueIjEEEEEEE10hipError_tPvRmT3_T4_T5_T6_T7_T9_mT8_P12ihipStream_tbDpT10_ENKUlT_T0_E_clISt17integral_constantIbLb1EES17_IbLb0EEEEDaS13_S14_EUlS13_E_NS1_11comp_targetILNS1_3genE4ELNS1_11target_archE910ELNS1_3gpuE8ELNS1_3repE0EEENS1_30default_config_static_selectorELNS0_4arch9wavefront6targetE0EEEvT1_,comdat
	.protected	_ZN7rocprim17ROCPRIM_400000_NS6detail17trampoline_kernelINS0_14default_configENS1_25partition_config_selectorILNS1_17partition_subalgoE6EjNS0_10empty_typeEbEEZZNS1_14partition_implILS5_6ELb0ES3_mN6thrust23THRUST_200600_302600_NS6detail15normal_iteratorINSA_10device_ptrIjEEEEPS6_SG_NS0_5tupleIJSF_S6_EEENSH_IJSG_SG_EEES6_PlJNSB_9not_fun_tINSB_14equal_to_valueIjEEEEEEE10hipError_tPvRmT3_T4_T5_T6_T7_T9_mT8_P12ihipStream_tbDpT10_ENKUlT_T0_E_clISt17integral_constantIbLb1EES17_IbLb0EEEEDaS13_S14_EUlS13_E_NS1_11comp_targetILNS1_3genE4ELNS1_11target_archE910ELNS1_3gpuE8ELNS1_3repE0EEENS1_30default_config_static_selectorELNS0_4arch9wavefront6targetE0EEEvT1_ ; -- Begin function _ZN7rocprim17ROCPRIM_400000_NS6detail17trampoline_kernelINS0_14default_configENS1_25partition_config_selectorILNS1_17partition_subalgoE6EjNS0_10empty_typeEbEEZZNS1_14partition_implILS5_6ELb0ES3_mN6thrust23THRUST_200600_302600_NS6detail15normal_iteratorINSA_10device_ptrIjEEEEPS6_SG_NS0_5tupleIJSF_S6_EEENSH_IJSG_SG_EEES6_PlJNSB_9not_fun_tINSB_14equal_to_valueIjEEEEEEE10hipError_tPvRmT3_T4_T5_T6_T7_T9_mT8_P12ihipStream_tbDpT10_ENKUlT_T0_E_clISt17integral_constantIbLb1EES17_IbLb0EEEEDaS13_S14_EUlS13_E_NS1_11comp_targetILNS1_3genE4ELNS1_11target_archE910ELNS1_3gpuE8ELNS1_3repE0EEENS1_30default_config_static_selectorELNS0_4arch9wavefront6targetE0EEEvT1_
	.globl	_ZN7rocprim17ROCPRIM_400000_NS6detail17trampoline_kernelINS0_14default_configENS1_25partition_config_selectorILNS1_17partition_subalgoE6EjNS0_10empty_typeEbEEZZNS1_14partition_implILS5_6ELb0ES3_mN6thrust23THRUST_200600_302600_NS6detail15normal_iteratorINSA_10device_ptrIjEEEEPS6_SG_NS0_5tupleIJSF_S6_EEENSH_IJSG_SG_EEES6_PlJNSB_9not_fun_tINSB_14equal_to_valueIjEEEEEEE10hipError_tPvRmT3_T4_T5_T6_T7_T9_mT8_P12ihipStream_tbDpT10_ENKUlT_T0_E_clISt17integral_constantIbLb1EES17_IbLb0EEEEDaS13_S14_EUlS13_E_NS1_11comp_targetILNS1_3genE4ELNS1_11target_archE910ELNS1_3gpuE8ELNS1_3repE0EEENS1_30default_config_static_selectorELNS0_4arch9wavefront6targetE0EEEvT1_
	.p2align	8
	.type	_ZN7rocprim17ROCPRIM_400000_NS6detail17trampoline_kernelINS0_14default_configENS1_25partition_config_selectorILNS1_17partition_subalgoE6EjNS0_10empty_typeEbEEZZNS1_14partition_implILS5_6ELb0ES3_mN6thrust23THRUST_200600_302600_NS6detail15normal_iteratorINSA_10device_ptrIjEEEEPS6_SG_NS0_5tupleIJSF_S6_EEENSH_IJSG_SG_EEES6_PlJNSB_9not_fun_tINSB_14equal_to_valueIjEEEEEEE10hipError_tPvRmT3_T4_T5_T6_T7_T9_mT8_P12ihipStream_tbDpT10_ENKUlT_T0_E_clISt17integral_constantIbLb1EES17_IbLb0EEEEDaS13_S14_EUlS13_E_NS1_11comp_targetILNS1_3genE4ELNS1_11target_archE910ELNS1_3gpuE8ELNS1_3repE0EEENS1_30default_config_static_selectorELNS0_4arch9wavefront6targetE0EEEvT1_,@function
_ZN7rocprim17ROCPRIM_400000_NS6detail17trampoline_kernelINS0_14default_configENS1_25partition_config_selectorILNS1_17partition_subalgoE6EjNS0_10empty_typeEbEEZZNS1_14partition_implILS5_6ELb0ES3_mN6thrust23THRUST_200600_302600_NS6detail15normal_iteratorINSA_10device_ptrIjEEEEPS6_SG_NS0_5tupleIJSF_S6_EEENSH_IJSG_SG_EEES6_PlJNSB_9not_fun_tINSB_14equal_to_valueIjEEEEEEE10hipError_tPvRmT3_T4_T5_T6_T7_T9_mT8_P12ihipStream_tbDpT10_ENKUlT_T0_E_clISt17integral_constantIbLb1EES17_IbLb0EEEEDaS13_S14_EUlS13_E_NS1_11comp_targetILNS1_3genE4ELNS1_11target_archE910ELNS1_3gpuE8ELNS1_3repE0EEENS1_30default_config_static_selectorELNS0_4arch9wavefront6targetE0EEEvT1_: ; @_ZN7rocprim17ROCPRIM_400000_NS6detail17trampoline_kernelINS0_14default_configENS1_25partition_config_selectorILNS1_17partition_subalgoE6EjNS0_10empty_typeEbEEZZNS1_14partition_implILS5_6ELb0ES3_mN6thrust23THRUST_200600_302600_NS6detail15normal_iteratorINSA_10device_ptrIjEEEEPS6_SG_NS0_5tupleIJSF_S6_EEENSH_IJSG_SG_EEES6_PlJNSB_9not_fun_tINSB_14equal_to_valueIjEEEEEEE10hipError_tPvRmT3_T4_T5_T6_T7_T9_mT8_P12ihipStream_tbDpT10_ENKUlT_T0_E_clISt17integral_constantIbLb1EES17_IbLb0EEEEDaS13_S14_EUlS13_E_NS1_11comp_targetILNS1_3genE4ELNS1_11target_archE910ELNS1_3gpuE8ELNS1_3repE0EEENS1_30default_config_static_selectorELNS0_4arch9wavefront6targetE0EEEvT1_
; %bb.0:
	.section	.rodata,"a",@progbits
	.p2align	6, 0x0
	.amdhsa_kernel _ZN7rocprim17ROCPRIM_400000_NS6detail17trampoline_kernelINS0_14default_configENS1_25partition_config_selectorILNS1_17partition_subalgoE6EjNS0_10empty_typeEbEEZZNS1_14partition_implILS5_6ELb0ES3_mN6thrust23THRUST_200600_302600_NS6detail15normal_iteratorINSA_10device_ptrIjEEEEPS6_SG_NS0_5tupleIJSF_S6_EEENSH_IJSG_SG_EEES6_PlJNSB_9not_fun_tINSB_14equal_to_valueIjEEEEEEE10hipError_tPvRmT3_T4_T5_T6_T7_T9_mT8_P12ihipStream_tbDpT10_ENKUlT_T0_E_clISt17integral_constantIbLb1EES17_IbLb0EEEEDaS13_S14_EUlS13_E_NS1_11comp_targetILNS1_3genE4ELNS1_11target_archE910ELNS1_3gpuE8ELNS1_3repE0EEENS1_30default_config_static_selectorELNS0_4arch9wavefront6targetE0EEEvT1_
		.amdhsa_group_segment_fixed_size 0
		.amdhsa_private_segment_fixed_size 0
		.amdhsa_kernarg_size 120
		.amdhsa_user_sgpr_count 2
		.amdhsa_user_sgpr_dispatch_ptr 0
		.amdhsa_user_sgpr_queue_ptr 0
		.amdhsa_user_sgpr_kernarg_segment_ptr 1
		.amdhsa_user_sgpr_dispatch_id 0
		.amdhsa_user_sgpr_private_segment_size 0
		.amdhsa_wavefront_size32 1
		.amdhsa_uses_dynamic_stack 0
		.amdhsa_enable_private_segment 0
		.amdhsa_system_sgpr_workgroup_id_x 1
		.amdhsa_system_sgpr_workgroup_id_y 0
		.amdhsa_system_sgpr_workgroup_id_z 0
		.amdhsa_system_sgpr_workgroup_info 0
		.amdhsa_system_vgpr_workitem_id 0
		.amdhsa_next_free_vgpr 1
		.amdhsa_next_free_sgpr 1
		.amdhsa_reserve_vcc 0
		.amdhsa_float_round_mode_32 0
		.amdhsa_float_round_mode_16_64 0
		.amdhsa_float_denorm_mode_32 3
		.amdhsa_float_denorm_mode_16_64 3
		.amdhsa_fp16_overflow 0
		.amdhsa_workgroup_processor_mode 1
		.amdhsa_memory_ordered 1
		.amdhsa_forward_progress 1
		.amdhsa_inst_pref_size 0
		.amdhsa_round_robin_scheduling 0
		.amdhsa_exception_fp_ieee_invalid_op 0
		.amdhsa_exception_fp_denorm_src 0
		.amdhsa_exception_fp_ieee_div_zero 0
		.amdhsa_exception_fp_ieee_overflow 0
		.amdhsa_exception_fp_ieee_underflow 0
		.amdhsa_exception_fp_ieee_inexact 0
		.amdhsa_exception_int_div_zero 0
	.end_amdhsa_kernel
	.section	.text._ZN7rocprim17ROCPRIM_400000_NS6detail17trampoline_kernelINS0_14default_configENS1_25partition_config_selectorILNS1_17partition_subalgoE6EjNS0_10empty_typeEbEEZZNS1_14partition_implILS5_6ELb0ES3_mN6thrust23THRUST_200600_302600_NS6detail15normal_iteratorINSA_10device_ptrIjEEEEPS6_SG_NS0_5tupleIJSF_S6_EEENSH_IJSG_SG_EEES6_PlJNSB_9not_fun_tINSB_14equal_to_valueIjEEEEEEE10hipError_tPvRmT3_T4_T5_T6_T7_T9_mT8_P12ihipStream_tbDpT10_ENKUlT_T0_E_clISt17integral_constantIbLb1EES17_IbLb0EEEEDaS13_S14_EUlS13_E_NS1_11comp_targetILNS1_3genE4ELNS1_11target_archE910ELNS1_3gpuE8ELNS1_3repE0EEENS1_30default_config_static_selectorELNS0_4arch9wavefront6targetE0EEEvT1_,"axG",@progbits,_ZN7rocprim17ROCPRIM_400000_NS6detail17trampoline_kernelINS0_14default_configENS1_25partition_config_selectorILNS1_17partition_subalgoE6EjNS0_10empty_typeEbEEZZNS1_14partition_implILS5_6ELb0ES3_mN6thrust23THRUST_200600_302600_NS6detail15normal_iteratorINSA_10device_ptrIjEEEEPS6_SG_NS0_5tupleIJSF_S6_EEENSH_IJSG_SG_EEES6_PlJNSB_9not_fun_tINSB_14equal_to_valueIjEEEEEEE10hipError_tPvRmT3_T4_T5_T6_T7_T9_mT8_P12ihipStream_tbDpT10_ENKUlT_T0_E_clISt17integral_constantIbLb1EES17_IbLb0EEEEDaS13_S14_EUlS13_E_NS1_11comp_targetILNS1_3genE4ELNS1_11target_archE910ELNS1_3gpuE8ELNS1_3repE0EEENS1_30default_config_static_selectorELNS0_4arch9wavefront6targetE0EEEvT1_,comdat
.Lfunc_end391:
	.size	_ZN7rocprim17ROCPRIM_400000_NS6detail17trampoline_kernelINS0_14default_configENS1_25partition_config_selectorILNS1_17partition_subalgoE6EjNS0_10empty_typeEbEEZZNS1_14partition_implILS5_6ELb0ES3_mN6thrust23THRUST_200600_302600_NS6detail15normal_iteratorINSA_10device_ptrIjEEEEPS6_SG_NS0_5tupleIJSF_S6_EEENSH_IJSG_SG_EEES6_PlJNSB_9not_fun_tINSB_14equal_to_valueIjEEEEEEE10hipError_tPvRmT3_T4_T5_T6_T7_T9_mT8_P12ihipStream_tbDpT10_ENKUlT_T0_E_clISt17integral_constantIbLb1EES17_IbLb0EEEEDaS13_S14_EUlS13_E_NS1_11comp_targetILNS1_3genE4ELNS1_11target_archE910ELNS1_3gpuE8ELNS1_3repE0EEENS1_30default_config_static_selectorELNS0_4arch9wavefront6targetE0EEEvT1_, .Lfunc_end391-_ZN7rocprim17ROCPRIM_400000_NS6detail17trampoline_kernelINS0_14default_configENS1_25partition_config_selectorILNS1_17partition_subalgoE6EjNS0_10empty_typeEbEEZZNS1_14partition_implILS5_6ELb0ES3_mN6thrust23THRUST_200600_302600_NS6detail15normal_iteratorINSA_10device_ptrIjEEEEPS6_SG_NS0_5tupleIJSF_S6_EEENSH_IJSG_SG_EEES6_PlJNSB_9not_fun_tINSB_14equal_to_valueIjEEEEEEE10hipError_tPvRmT3_T4_T5_T6_T7_T9_mT8_P12ihipStream_tbDpT10_ENKUlT_T0_E_clISt17integral_constantIbLb1EES17_IbLb0EEEEDaS13_S14_EUlS13_E_NS1_11comp_targetILNS1_3genE4ELNS1_11target_archE910ELNS1_3gpuE8ELNS1_3repE0EEENS1_30default_config_static_selectorELNS0_4arch9wavefront6targetE0EEEvT1_
                                        ; -- End function
	.set _ZN7rocprim17ROCPRIM_400000_NS6detail17trampoline_kernelINS0_14default_configENS1_25partition_config_selectorILNS1_17partition_subalgoE6EjNS0_10empty_typeEbEEZZNS1_14partition_implILS5_6ELb0ES3_mN6thrust23THRUST_200600_302600_NS6detail15normal_iteratorINSA_10device_ptrIjEEEEPS6_SG_NS0_5tupleIJSF_S6_EEENSH_IJSG_SG_EEES6_PlJNSB_9not_fun_tINSB_14equal_to_valueIjEEEEEEE10hipError_tPvRmT3_T4_T5_T6_T7_T9_mT8_P12ihipStream_tbDpT10_ENKUlT_T0_E_clISt17integral_constantIbLb1EES17_IbLb0EEEEDaS13_S14_EUlS13_E_NS1_11comp_targetILNS1_3genE4ELNS1_11target_archE910ELNS1_3gpuE8ELNS1_3repE0EEENS1_30default_config_static_selectorELNS0_4arch9wavefront6targetE0EEEvT1_.num_vgpr, 0
	.set _ZN7rocprim17ROCPRIM_400000_NS6detail17trampoline_kernelINS0_14default_configENS1_25partition_config_selectorILNS1_17partition_subalgoE6EjNS0_10empty_typeEbEEZZNS1_14partition_implILS5_6ELb0ES3_mN6thrust23THRUST_200600_302600_NS6detail15normal_iteratorINSA_10device_ptrIjEEEEPS6_SG_NS0_5tupleIJSF_S6_EEENSH_IJSG_SG_EEES6_PlJNSB_9not_fun_tINSB_14equal_to_valueIjEEEEEEE10hipError_tPvRmT3_T4_T5_T6_T7_T9_mT8_P12ihipStream_tbDpT10_ENKUlT_T0_E_clISt17integral_constantIbLb1EES17_IbLb0EEEEDaS13_S14_EUlS13_E_NS1_11comp_targetILNS1_3genE4ELNS1_11target_archE910ELNS1_3gpuE8ELNS1_3repE0EEENS1_30default_config_static_selectorELNS0_4arch9wavefront6targetE0EEEvT1_.num_agpr, 0
	.set _ZN7rocprim17ROCPRIM_400000_NS6detail17trampoline_kernelINS0_14default_configENS1_25partition_config_selectorILNS1_17partition_subalgoE6EjNS0_10empty_typeEbEEZZNS1_14partition_implILS5_6ELb0ES3_mN6thrust23THRUST_200600_302600_NS6detail15normal_iteratorINSA_10device_ptrIjEEEEPS6_SG_NS0_5tupleIJSF_S6_EEENSH_IJSG_SG_EEES6_PlJNSB_9not_fun_tINSB_14equal_to_valueIjEEEEEEE10hipError_tPvRmT3_T4_T5_T6_T7_T9_mT8_P12ihipStream_tbDpT10_ENKUlT_T0_E_clISt17integral_constantIbLb1EES17_IbLb0EEEEDaS13_S14_EUlS13_E_NS1_11comp_targetILNS1_3genE4ELNS1_11target_archE910ELNS1_3gpuE8ELNS1_3repE0EEENS1_30default_config_static_selectorELNS0_4arch9wavefront6targetE0EEEvT1_.numbered_sgpr, 0
	.set _ZN7rocprim17ROCPRIM_400000_NS6detail17trampoline_kernelINS0_14default_configENS1_25partition_config_selectorILNS1_17partition_subalgoE6EjNS0_10empty_typeEbEEZZNS1_14partition_implILS5_6ELb0ES3_mN6thrust23THRUST_200600_302600_NS6detail15normal_iteratorINSA_10device_ptrIjEEEEPS6_SG_NS0_5tupleIJSF_S6_EEENSH_IJSG_SG_EEES6_PlJNSB_9not_fun_tINSB_14equal_to_valueIjEEEEEEE10hipError_tPvRmT3_T4_T5_T6_T7_T9_mT8_P12ihipStream_tbDpT10_ENKUlT_T0_E_clISt17integral_constantIbLb1EES17_IbLb0EEEEDaS13_S14_EUlS13_E_NS1_11comp_targetILNS1_3genE4ELNS1_11target_archE910ELNS1_3gpuE8ELNS1_3repE0EEENS1_30default_config_static_selectorELNS0_4arch9wavefront6targetE0EEEvT1_.num_named_barrier, 0
	.set _ZN7rocprim17ROCPRIM_400000_NS6detail17trampoline_kernelINS0_14default_configENS1_25partition_config_selectorILNS1_17partition_subalgoE6EjNS0_10empty_typeEbEEZZNS1_14partition_implILS5_6ELb0ES3_mN6thrust23THRUST_200600_302600_NS6detail15normal_iteratorINSA_10device_ptrIjEEEEPS6_SG_NS0_5tupleIJSF_S6_EEENSH_IJSG_SG_EEES6_PlJNSB_9not_fun_tINSB_14equal_to_valueIjEEEEEEE10hipError_tPvRmT3_T4_T5_T6_T7_T9_mT8_P12ihipStream_tbDpT10_ENKUlT_T0_E_clISt17integral_constantIbLb1EES17_IbLb0EEEEDaS13_S14_EUlS13_E_NS1_11comp_targetILNS1_3genE4ELNS1_11target_archE910ELNS1_3gpuE8ELNS1_3repE0EEENS1_30default_config_static_selectorELNS0_4arch9wavefront6targetE0EEEvT1_.private_seg_size, 0
	.set _ZN7rocprim17ROCPRIM_400000_NS6detail17trampoline_kernelINS0_14default_configENS1_25partition_config_selectorILNS1_17partition_subalgoE6EjNS0_10empty_typeEbEEZZNS1_14partition_implILS5_6ELb0ES3_mN6thrust23THRUST_200600_302600_NS6detail15normal_iteratorINSA_10device_ptrIjEEEEPS6_SG_NS0_5tupleIJSF_S6_EEENSH_IJSG_SG_EEES6_PlJNSB_9not_fun_tINSB_14equal_to_valueIjEEEEEEE10hipError_tPvRmT3_T4_T5_T6_T7_T9_mT8_P12ihipStream_tbDpT10_ENKUlT_T0_E_clISt17integral_constantIbLb1EES17_IbLb0EEEEDaS13_S14_EUlS13_E_NS1_11comp_targetILNS1_3genE4ELNS1_11target_archE910ELNS1_3gpuE8ELNS1_3repE0EEENS1_30default_config_static_selectorELNS0_4arch9wavefront6targetE0EEEvT1_.uses_vcc, 0
	.set _ZN7rocprim17ROCPRIM_400000_NS6detail17trampoline_kernelINS0_14default_configENS1_25partition_config_selectorILNS1_17partition_subalgoE6EjNS0_10empty_typeEbEEZZNS1_14partition_implILS5_6ELb0ES3_mN6thrust23THRUST_200600_302600_NS6detail15normal_iteratorINSA_10device_ptrIjEEEEPS6_SG_NS0_5tupleIJSF_S6_EEENSH_IJSG_SG_EEES6_PlJNSB_9not_fun_tINSB_14equal_to_valueIjEEEEEEE10hipError_tPvRmT3_T4_T5_T6_T7_T9_mT8_P12ihipStream_tbDpT10_ENKUlT_T0_E_clISt17integral_constantIbLb1EES17_IbLb0EEEEDaS13_S14_EUlS13_E_NS1_11comp_targetILNS1_3genE4ELNS1_11target_archE910ELNS1_3gpuE8ELNS1_3repE0EEENS1_30default_config_static_selectorELNS0_4arch9wavefront6targetE0EEEvT1_.uses_flat_scratch, 0
	.set _ZN7rocprim17ROCPRIM_400000_NS6detail17trampoline_kernelINS0_14default_configENS1_25partition_config_selectorILNS1_17partition_subalgoE6EjNS0_10empty_typeEbEEZZNS1_14partition_implILS5_6ELb0ES3_mN6thrust23THRUST_200600_302600_NS6detail15normal_iteratorINSA_10device_ptrIjEEEEPS6_SG_NS0_5tupleIJSF_S6_EEENSH_IJSG_SG_EEES6_PlJNSB_9not_fun_tINSB_14equal_to_valueIjEEEEEEE10hipError_tPvRmT3_T4_T5_T6_T7_T9_mT8_P12ihipStream_tbDpT10_ENKUlT_T0_E_clISt17integral_constantIbLb1EES17_IbLb0EEEEDaS13_S14_EUlS13_E_NS1_11comp_targetILNS1_3genE4ELNS1_11target_archE910ELNS1_3gpuE8ELNS1_3repE0EEENS1_30default_config_static_selectorELNS0_4arch9wavefront6targetE0EEEvT1_.has_dyn_sized_stack, 0
	.set _ZN7rocprim17ROCPRIM_400000_NS6detail17trampoline_kernelINS0_14default_configENS1_25partition_config_selectorILNS1_17partition_subalgoE6EjNS0_10empty_typeEbEEZZNS1_14partition_implILS5_6ELb0ES3_mN6thrust23THRUST_200600_302600_NS6detail15normal_iteratorINSA_10device_ptrIjEEEEPS6_SG_NS0_5tupleIJSF_S6_EEENSH_IJSG_SG_EEES6_PlJNSB_9not_fun_tINSB_14equal_to_valueIjEEEEEEE10hipError_tPvRmT3_T4_T5_T6_T7_T9_mT8_P12ihipStream_tbDpT10_ENKUlT_T0_E_clISt17integral_constantIbLb1EES17_IbLb0EEEEDaS13_S14_EUlS13_E_NS1_11comp_targetILNS1_3genE4ELNS1_11target_archE910ELNS1_3gpuE8ELNS1_3repE0EEENS1_30default_config_static_selectorELNS0_4arch9wavefront6targetE0EEEvT1_.has_recursion, 0
	.set _ZN7rocprim17ROCPRIM_400000_NS6detail17trampoline_kernelINS0_14default_configENS1_25partition_config_selectorILNS1_17partition_subalgoE6EjNS0_10empty_typeEbEEZZNS1_14partition_implILS5_6ELb0ES3_mN6thrust23THRUST_200600_302600_NS6detail15normal_iteratorINSA_10device_ptrIjEEEEPS6_SG_NS0_5tupleIJSF_S6_EEENSH_IJSG_SG_EEES6_PlJNSB_9not_fun_tINSB_14equal_to_valueIjEEEEEEE10hipError_tPvRmT3_T4_T5_T6_T7_T9_mT8_P12ihipStream_tbDpT10_ENKUlT_T0_E_clISt17integral_constantIbLb1EES17_IbLb0EEEEDaS13_S14_EUlS13_E_NS1_11comp_targetILNS1_3genE4ELNS1_11target_archE910ELNS1_3gpuE8ELNS1_3repE0EEENS1_30default_config_static_selectorELNS0_4arch9wavefront6targetE0EEEvT1_.has_indirect_call, 0
	.section	.AMDGPU.csdata,"",@progbits
; Kernel info:
; codeLenInByte = 0
; TotalNumSgprs: 0
; NumVgprs: 0
; ScratchSize: 0
; MemoryBound: 0
; FloatMode: 240
; IeeeMode: 1
; LDSByteSize: 0 bytes/workgroup (compile time only)
; SGPRBlocks: 0
; VGPRBlocks: 0
; NumSGPRsForWavesPerEU: 1
; NumVGPRsForWavesPerEU: 1
; Occupancy: 16
; WaveLimiterHint : 0
; COMPUTE_PGM_RSRC2:SCRATCH_EN: 0
; COMPUTE_PGM_RSRC2:USER_SGPR: 2
; COMPUTE_PGM_RSRC2:TRAP_HANDLER: 0
; COMPUTE_PGM_RSRC2:TGID_X_EN: 1
; COMPUTE_PGM_RSRC2:TGID_Y_EN: 0
; COMPUTE_PGM_RSRC2:TGID_Z_EN: 0
; COMPUTE_PGM_RSRC2:TIDIG_COMP_CNT: 0
	.section	.text._ZN7rocprim17ROCPRIM_400000_NS6detail17trampoline_kernelINS0_14default_configENS1_25partition_config_selectorILNS1_17partition_subalgoE6EjNS0_10empty_typeEbEEZZNS1_14partition_implILS5_6ELb0ES3_mN6thrust23THRUST_200600_302600_NS6detail15normal_iteratorINSA_10device_ptrIjEEEEPS6_SG_NS0_5tupleIJSF_S6_EEENSH_IJSG_SG_EEES6_PlJNSB_9not_fun_tINSB_14equal_to_valueIjEEEEEEE10hipError_tPvRmT3_T4_T5_T6_T7_T9_mT8_P12ihipStream_tbDpT10_ENKUlT_T0_E_clISt17integral_constantIbLb1EES17_IbLb0EEEEDaS13_S14_EUlS13_E_NS1_11comp_targetILNS1_3genE3ELNS1_11target_archE908ELNS1_3gpuE7ELNS1_3repE0EEENS1_30default_config_static_selectorELNS0_4arch9wavefront6targetE0EEEvT1_,"axG",@progbits,_ZN7rocprim17ROCPRIM_400000_NS6detail17trampoline_kernelINS0_14default_configENS1_25partition_config_selectorILNS1_17partition_subalgoE6EjNS0_10empty_typeEbEEZZNS1_14partition_implILS5_6ELb0ES3_mN6thrust23THRUST_200600_302600_NS6detail15normal_iteratorINSA_10device_ptrIjEEEEPS6_SG_NS0_5tupleIJSF_S6_EEENSH_IJSG_SG_EEES6_PlJNSB_9not_fun_tINSB_14equal_to_valueIjEEEEEEE10hipError_tPvRmT3_T4_T5_T6_T7_T9_mT8_P12ihipStream_tbDpT10_ENKUlT_T0_E_clISt17integral_constantIbLb1EES17_IbLb0EEEEDaS13_S14_EUlS13_E_NS1_11comp_targetILNS1_3genE3ELNS1_11target_archE908ELNS1_3gpuE7ELNS1_3repE0EEENS1_30default_config_static_selectorELNS0_4arch9wavefront6targetE0EEEvT1_,comdat
	.protected	_ZN7rocprim17ROCPRIM_400000_NS6detail17trampoline_kernelINS0_14default_configENS1_25partition_config_selectorILNS1_17partition_subalgoE6EjNS0_10empty_typeEbEEZZNS1_14partition_implILS5_6ELb0ES3_mN6thrust23THRUST_200600_302600_NS6detail15normal_iteratorINSA_10device_ptrIjEEEEPS6_SG_NS0_5tupleIJSF_S6_EEENSH_IJSG_SG_EEES6_PlJNSB_9not_fun_tINSB_14equal_to_valueIjEEEEEEE10hipError_tPvRmT3_T4_T5_T6_T7_T9_mT8_P12ihipStream_tbDpT10_ENKUlT_T0_E_clISt17integral_constantIbLb1EES17_IbLb0EEEEDaS13_S14_EUlS13_E_NS1_11comp_targetILNS1_3genE3ELNS1_11target_archE908ELNS1_3gpuE7ELNS1_3repE0EEENS1_30default_config_static_selectorELNS0_4arch9wavefront6targetE0EEEvT1_ ; -- Begin function _ZN7rocprim17ROCPRIM_400000_NS6detail17trampoline_kernelINS0_14default_configENS1_25partition_config_selectorILNS1_17partition_subalgoE6EjNS0_10empty_typeEbEEZZNS1_14partition_implILS5_6ELb0ES3_mN6thrust23THRUST_200600_302600_NS6detail15normal_iteratorINSA_10device_ptrIjEEEEPS6_SG_NS0_5tupleIJSF_S6_EEENSH_IJSG_SG_EEES6_PlJNSB_9not_fun_tINSB_14equal_to_valueIjEEEEEEE10hipError_tPvRmT3_T4_T5_T6_T7_T9_mT8_P12ihipStream_tbDpT10_ENKUlT_T0_E_clISt17integral_constantIbLb1EES17_IbLb0EEEEDaS13_S14_EUlS13_E_NS1_11comp_targetILNS1_3genE3ELNS1_11target_archE908ELNS1_3gpuE7ELNS1_3repE0EEENS1_30default_config_static_selectorELNS0_4arch9wavefront6targetE0EEEvT1_
	.globl	_ZN7rocprim17ROCPRIM_400000_NS6detail17trampoline_kernelINS0_14default_configENS1_25partition_config_selectorILNS1_17partition_subalgoE6EjNS0_10empty_typeEbEEZZNS1_14partition_implILS5_6ELb0ES3_mN6thrust23THRUST_200600_302600_NS6detail15normal_iteratorINSA_10device_ptrIjEEEEPS6_SG_NS0_5tupleIJSF_S6_EEENSH_IJSG_SG_EEES6_PlJNSB_9not_fun_tINSB_14equal_to_valueIjEEEEEEE10hipError_tPvRmT3_T4_T5_T6_T7_T9_mT8_P12ihipStream_tbDpT10_ENKUlT_T0_E_clISt17integral_constantIbLb1EES17_IbLb0EEEEDaS13_S14_EUlS13_E_NS1_11comp_targetILNS1_3genE3ELNS1_11target_archE908ELNS1_3gpuE7ELNS1_3repE0EEENS1_30default_config_static_selectorELNS0_4arch9wavefront6targetE0EEEvT1_
	.p2align	8
	.type	_ZN7rocprim17ROCPRIM_400000_NS6detail17trampoline_kernelINS0_14default_configENS1_25partition_config_selectorILNS1_17partition_subalgoE6EjNS0_10empty_typeEbEEZZNS1_14partition_implILS5_6ELb0ES3_mN6thrust23THRUST_200600_302600_NS6detail15normal_iteratorINSA_10device_ptrIjEEEEPS6_SG_NS0_5tupleIJSF_S6_EEENSH_IJSG_SG_EEES6_PlJNSB_9not_fun_tINSB_14equal_to_valueIjEEEEEEE10hipError_tPvRmT3_T4_T5_T6_T7_T9_mT8_P12ihipStream_tbDpT10_ENKUlT_T0_E_clISt17integral_constantIbLb1EES17_IbLb0EEEEDaS13_S14_EUlS13_E_NS1_11comp_targetILNS1_3genE3ELNS1_11target_archE908ELNS1_3gpuE7ELNS1_3repE0EEENS1_30default_config_static_selectorELNS0_4arch9wavefront6targetE0EEEvT1_,@function
_ZN7rocprim17ROCPRIM_400000_NS6detail17trampoline_kernelINS0_14default_configENS1_25partition_config_selectorILNS1_17partition_subalgoE6EjNS0_10empty_typeEbEEZZNS1_14partition_implILS5_6ELb0ES3_mN6thrust23THRUST_200600_302600_NS6detail15normal_iteratorINSA_10device_ptrIjEEEEPS6_SG_NS0_5tupleIJSF_S6_EEENSH_IJSG_SG_EEES6_PlJNSB_9not_fun_tINSB_14equal_to_valueIjEEEEEEE10hipError_tPvRmT3_T4_T5_T6_T7_T9_mT8_P12ihipStream_tbDpT10_ENKUlT_T0_E_clISt17integral_constantIbLb1EES17_IbLb0EEEEDaS13_S14_EUlS13_E_NS1_11comp_targetILNS1_3genE3ELNS1_11target_archE908ELNS1_3gpuE7ELNS1_3repE0EEENS1_30default_config_static_selectorELNS0_4arch9wavefront6targetE0EEEvT1_: ; @_ZN7rocprim17ROCPRIM_400000_NS6detail17trampoline_kernelINS0_14default_configENS1_25partition_config_selectorILNS1_17partition_subalgoE6EjNS0_10empty_typeEbEEZZNS1_14partition_implILS5_6ELb0ES3_mN6thrust23THRUST_200600_302600_NS6detail15normal_iteratorINSA_10device_ptrIjEEEEPS6_SG_NS0_5tupleIJSF_S6_EEENSH_IJSG_SG_EEES6_PlJNSB_9not_fun_tINSB_14equal_to_valueIjEEEEEEE10hipError_tPvRmT3_T4_T5_T6_T7_T9_mT8_P12ihipStream_tbDpT10_ENKUlT_T0_E_clISt17integral_constantIbLb1EES17_IbLb0EEEEDaS13_S14_EUlS13_E_NS1_11comp_targetILNS1_3genE3ELNS1_11target_archE908ELNS1_3gpuE7ELNS1_3repE0EEENS1_30default_config_static_selectorELNS0_4arch9wavefront6targetE0EEEvT1_
; %bb.0:
	.section	.rodata,"a",@progbits
	.p2align	6, 0x0
	.amdhsa_kernel _ZN7rocprim17ROCPRIM_400000_NS6detail17trampoline_kernelINS0_14default_configENS1_25partition_config_selectorILNS1_17partition_subalgoE6EjNS0_10empty_typeEbEEZZNS1_14partition_implILS5_6ELb0ES3_mN6thrust23THRUST_200600_302600_NS6detail15normal_iteratorINSA_10device_ptrIjEEEEPS6_SG_NS0_5tupleIJSF_S6_EEENSH_IJSG_SG_EEES6_PlJNSB_9not_fun_tINSB_14equal_to_valueIjEEEEEEE10hipError_tPvRmT3_T4_T5_T6_T7_T9_mT8_P12ihipStream_tbDpT10_ENKUlT_T0_E_clISt17integral_constantIbLb1EES17_IbLb0EEEEDaS13_S14_EUlS13_E_NS1_11comp_targetILNS1_3genE3ELNS1_11target_archE908ELNS1_3gpuE7ELNS1_3repE0EEENS1_30default_config_static_selectorELNS0_4arch9wavefront6targetE0EEEvT1_
		.amdhsa_group_segment_fixed_size 0
		.amdhsa_private_segment_fixed_size 0
		.amdhsa_kernarg_size 120
		.amdhsa_user_sgpr_count 2
		.amdhsa_user_sgpr_dispatch_ptr 0
		.amdhsa_user_sgpr_queue_ptr 0
		.amdhsa_user_sgpr_kernarg_segment_ptr 1
		.amdhsa_user_sgpr_dispatch_id 0
		.amdhsa_user_sgpr_private_segment_size 0
		.amdhsa_wavefront_size32 1
		.amdhsa_uses_dynamic_stack 0
		.amdhsa_enable_private_segment 0
		.amdhsa_system_sgpr_workgroup_id_x 1
		.amdhsa_system_sgpr_workgroup_id_y 0
		.amdhsa_system_sgpr_workgroup_id_z 0
		.amdhsa_system_sgpr_workgroup_info 0
		.amdhsa_system_vgpr_workitem_id 0
		.amdhsa_next_free_vgpr 1
		.amdhsa_next_free_sgpr 1
		.amdhsa_reserve_vcc 0
		.amdhsa_float_round_mode_32 0
		.amdhsa_float_round_mode_16_64 0
		.amdhsa_float_denorm_mode_32 3
		.amdhsa_float_denorm_mode_16_64 3
		.amdhsa_fp16_overflow 0
		.amdhsa_workgroup_processor_mode 1
		.amdhsa_memory_ordered 1
		.amdhsa_forward_progress 1
		.amdhsa_inst_pref_size 0
		.amdhsa_round_robin_scheduling 0
		.amdhsa_exception_fp_ieee_invalid_op 0
		.amdhsa_exception_fp_denorm_src 0
		.amdhsa_exception_fp_ieee_div_zero 0
		.amdhsa_exception_fp_ieee_overflow 0
		.amdhsa_exception_fp_ieee_underflow 0
		.amdhsa_exception_fp_ieee_inexact 0
		.amdhsa_exception_int_div_zero 0
	.end_amdhsa_kernel
	.section	.text._ZN7rocprim17ROCPRIM_400000_NS6detail17trampoline_kernelINS0_14default_configENS1_25partition_config_selectorILNS1_17partition_subalgoE6EjNS0_10empty_typeEbEEZZNS1_14partition_implILS5_6ELb0ES3_mN6thrust23THRUST_200600_302600_NS6detail15normal_iteratorINSA_10device_ptrIjEEEEPS6_SG_NS0_5tupleIJSF_S6_EEENSH_IJSG_SG_EEES6_PlJNSB_9not_fun_tINSB_14equal_to_valueIjEEEEEEE10hipError_tPvRmT3_T4_T5_T6_T7_T9_mT8_P12ihipStream_tbDpT10_ENKUlT_T0_E_clISt17integral_constantIbLb1EES17_IbLb0EEEEDaS13_S14_EUlS13_E_NS1_11comp_targetILNS1_3genE3ELNS1_11target_archE908ELNS1_3gpuE7ELNS1_3repE0EEENS1_30default_config_static_selectorELNS0_4arch9wavefront6targetE0EEEvT1_,"axG",@progbits,_ZN7rocprim17ROCPRIM_400000_NS6detail17trampoline_kernelINS0_14default_configENS1_25partition_config_selectorILNS1_17partition_subalgoE6EjNS0_10empty_typeEbEEZZNS1_14partition_implILS5_6ELb0ES3_mN6thrust23THRUST_200600_302600_NS6detail15normal_iteratorINSA_10device_ptrIjEEEEPS6_SG_NS0_5tupleIJSF_S6_EEENSH_IJSG_SG_EEES6_PlJNSB_9not_fun_tINSB_14equal_to_valueIjEEEEEEE10hipError_tPvRmT3_T4_T5_T6_T7_T9_mT8_P12ihipStream_tbDpT10_ENKUlT_T0_E_clISt17integral_constantIbLb1EES17_IbLb0EEEEDaS13_S14_EUlS13_E_NS1_11comp_targetILNS1_3genE3ELNS1_11target_archE908ELNS1_3gpuE7ELNS1_3repE0EEENS1_30default_config_static_selectorELNS0_4arch9wavefront6targetE0EEEvT1_,comdat
.Lfunc_end392:
	.size	_ZN7rocprim17ROCPRIM_400000_NS6detail17trampoline_kernelINS0_14default_configENS1_25partition_config_selectorILNS1_17partition_subalgoE6EjNS0_10empty_typeEbEEZZNS1_14partition_implILS5_6ELb0ES3_mN6thrust23THRUST_200600_302600_NS6detail15normal_iteratorINSA_10device_ptrIjEEEEPS6_SG_NS0_5tupleIJSF_S6_EEENSH_IJSG_SG_EEES6_PlJNSB_9not_fun_tINSB_14equal_to_valueIjEEEEEEE10hipError_tPvRmT3_T4_T5_T6_T7_T9_mT8_P12ihipStream_tbDpT10_ENKUlT_T0_E_clISt17integral_constantIbLb1EES17_IbLb0EEEEDaS13_S14_EUlS13_E_NS1_11comp_targetILNS1_3genE3ELNS1_11target_archE908ELNS1_3gpuE7ELNS1_3repE0EEENS1_30default_config_static_selectorELNS0_4arch9wavefront6targetE0EEEvT1_, .Lfunc_end392-_ZN7rocprim17ROCPRIM_400000_NS6detail17trampoline_kernelINS0_14default_configENS1_25partition_config_selectorILNS1_17partition_subalgoE6EjNS0_10empty_typeEbEEZZNS1_14partition_implILS5_6ELb0ES3_mN6thrust23THRUST_200600_302600_NS6detail15normal_iteratorINSA_10device_ptrIjEEEEPS6_SG_NS0_5tupleIJSF_S6_EEENSH_IJSG_SG_EEES6_PlJNSB_9not_fun_tINSB_14equal_to_valueIjEEEEEEE10hipError_tPvRmT3_T4_T5_T6_T7_T9_mT8_P12ihipStream_tbDpT10_ENKUlT_T0_E_clISt17integral_constantIbLb1EES17_IbLb0EEEEDaS13_S14_EUlS13_E_NS1_11comp_targetILNS1_3genE3ELNS1_11target_archE908ELNS1_3gpuE7ELNS1_3repE0EEENS1_30default_config_static_selectorELNS0_4arch9wavefront6targetE0EEEvT1_
                                        ; -- End function
	.set _ZN7rocprim17ROCPRIM_400000_NS6detail17trampoline_kernelINS0_14default_configENS1_25partition_config_selectorILNS1_17partition_subalgoE6EjNS0_10empty_typeEbEEZZNS1_14partition_implILS5_6ELb0ES3_mN6thrust23THRUST_200600_302600_NS6detail15normal_iteratorINSA_10device_ptrIjEEEEPS6_SG_NS0_5tupleIJSF_S6_EEENSH_IJSG_SG_EEES6_PlJNSB_9not_fun_tINSB_14equal_to_valueIjEEEEEEE10hipError_tPvRmT3_T4_T5_T6_T7_T9_mT8_P12ihipStream_tbDpT10_ENKUlT_T0_E_clISt17integral_constantIbLb1EES17_IbLb0EEEEDaS13_S14_EUlS13_E_NS1_11comp_targetILNS1_3genE3ELNS1_11target_archE908ELNS1_3gpuE7ELNS1_3repE0EEENS1_30default_config_static_selectorELNS0_4arch9wavefront6targetE0EEEvT1_.num_vgpr, 0
	.set _ZN7rocprim17ROCPRIM_400000_NS6detail17trampoline_kernelINS0_14default_configENS1_25partition_config_selectorILNS1_17partition_subalgoE6EjNS0_10empty_typeEbEEZZNS1_14partition_implILS5_6ELb0ES3_mN6thrust23THRUST_200600_302600_NS6detail15normal_iteratorINSA_10device_ptrIjEEEEPS6_SG_NS0_5tupleIJSF_S6_EEENSH_IJSG_SG_EEES6_PlJNSB_9not_fun_tINSB_14equal_to_valueIjEEEEEEE10hipError_tPvRmT3_T4_T5_T6_T7_T9_mT8_P12ihipStream_tbDpT10_ENKUlT_T0_E_clISt17integral_constantIbLb1EES17_IbLb0EEEEDaS13_S14_EUlS13_E_NS1_11comp_targetILNS1_3genE3ELNS1_11target_archE908ELNS1_3gpuE7ELNS1_3repE0EEENS1_30default_config_static_selectorELNS0_4arch9wavefront6targetE0EEEvT1_.num_agpr, 0
	.set _ZN7rocprim17ROCPRIM_400000_NS6detail17trampoline_kernelINS0_14default_configENS1_25partition_config_selectorILNS1_17partition_subalgoE6EjNS0_10empty_typeEbEEZZNS1_14partition_implILS5_6ELb0ES3_mN6thrust23THRUST_200600_302600_NS6detail15normal_iteratorINSA_10device_ptrIjEEEEPS6_SG_NS0_5tupleIJSF_S6_EEENSH_IJSG_SG_EEES6_PlJNSB_9not_fun_tINSB_14equal_to_valueIjEEEEEEE10hipError_tPvRmT3_T4_T5_T6_T7_T9_mT8_P12ihipStream_tbDpT10_ENKUlT_T0_E_clISt17integral_constantIbLb1EES17_IbLb0EEEEDaS13_S14_EUlS13_E_NS1_11comp_targetILNS1_3genE3ELNS1_11target_archE908ELNS1_3gpuE7ELNS1_3repE0EEENS1_30default_config_static_selectorELNS0_4arch9wavefront6targetE0EEEvT1_.numbered_sgpr, 0
	.set _ZN7rocprim17ROCPRIM_400000_NS6detail17trampoline_kernelINS0_14default_configENS1_25partition_config_selectorILNS1_17partition_subalgoE6EjNS0_10empty_typeEbEEZZNS1_14partition_implILS5_6ELb0ES3_mN6thrust23THRUST_200600_302600_NS6detail15normal_iteratorINSA_10device_ptrIjEEEEPS6_SG_NS0_5tupleIJSF_S6_EEENSH_IJSG_SG_EEES6_PlJNSB_9not_fun_tINSB_14equal_to_valueIjEEEEEEE10hipError_tPvRmT3_T4_T5_T6_T7_T9_mT8_P12ihipStream_tbDpT10_ENKUlT_T0_E_clISt17integral_constantIbLb1EES17_IbLb0EEEEDaS13_S14_EUlS13_E_NS1_11comp_targetILNS1_3genE3ELNS1_11target_archE908ELNS1_3gpuE7ELNS1_3repE0EEENS1_30default_config_static_selectorELNS0_4arch9wavefront6targetE0EEEvT1_.num_named_barrier, 0
	.set _ZN7rocprim17ROCPRIM_400000_NS6detail17trampoline_kernelINS0_14default_configENS1_25partition_config_selectorILNS1_17partition_subalgoE6EjNS0_10empty_typeEbEEZZNS1_14partition_implILS5_6ELb0ES3_mN6thrust23THRUST_200600_302600_NS6detail15normal_iteratorINSA_10device_ptrIjEEEEPS6_SG_NS0_5tupleIJSF_S6_EEENSH_IJSG_SG_EEES6_PlJNSB_9not_fun_tINSB_14equal_to_valueIjEEEEEEE10hipError_tPvRmT3_T4_T5_T6_T7_T9_mT8_P12ihipStream_tbDpT10_ENKUlT_T0_E_clISt17integral_constantIbLb1EES17_IbLb0EEEEDaS13_S14_EUlS13_E_NS1_11comp_targetILNS1_3genE3ELNS1_11target_archE908ELNS1_3gpuE7ELNS1_3repE0EEENS1_30default_config_static_selectorELNS0_4arch9wavefront6targetE0EEEvT1_.private_seg_size, 0
	.set _ZN7rocprim17ROCPRIM_400000_NS6detail17trampoline_kernelINS0_14default_configENS1_25partition_config_selectorILNS1_17partition_subalgoE6EjNS0_10empty_typeEbEEZZNS1_14partition_implILS5_6ELb0ES3_mN6thrust23THRUST_200600_302600_NS6detail15normal_iteratorINSA_10device_ptrIjEEEEPS6_SG_NS0_5tupleIJSF_S6_EEENSH_IJSG_SG_EEES6_PlJNSB_9not_fun_tINSB_14equal_to_valueIjEEEEEEE10hipError_tPvRmT3_T4_T5_T6_T7_T9_mT8_P12ihipStream_tbDpT10_ENKUlT_T0_E_clISt17integral_constantIbLb1EES17_IbLb0EEEEDaS13_S14_EUlS13_E_NS1_11comp_targetILNS1_3genE3ELNS1_11target_archE908ELNS1_3gpuE7ELNS1_3repE0EEENS1_30default_config_static_selectorELNS0_4arch9wavefront6targetE0EEEvT1_.uses_vcc, 0
	.set _ZN7rocprim17ROCPRIM_400000_NS6detail17trampoline_kernelINS0_14default_configENS1_25partition_config_selectorILNS1_17partition_subalgoE6EjNS0_10empty_typeEbEEZZNS1_14partition_implILS5_6ELb0ES3_mN6thrust23THRUST_200600_302600_NS6detail15normal_iteratorINSA_10device_ptrIjEEEEPS6_SG_NS0_5tupleIJSF_S6_EEENSH_IJSG_SG_EEES6_PlJNSB_9not_fun_tINSB_14equal_to_valueIjEEEEEEE10hipError_tPvRmT3_T4_T5_T6_T7_T9_mT8_P12ihipStream_tbDpT10_ENKUlT_T0_E_clISt17integral_constantIbLb1EES17_IbLb0EEEEDaS13_S14_EUlS13_E_NS1_11comp_targetILNS1_3genE3ELNS1_11target_archE908ELNS1_3gpuE7ELNS1_3repE0EEENS1_30default_config_static_selectorELNS0_4arch9wavefront6targetE0EEEvT1_.uses_flat_scratch, 0
	.set _ZN7rocprim17ROCPRIM_400000_NS6detail17trampoline_kernelINS0_14default_configENS1_25partition_config_selectorILNS1_17partition_subalgoE6EjNS0_10empty_typeEbEEZZNS1_14partition_implILS5_6ELb0ES3_mN6thrust23THRUST_200600_302600_NS6detail15normal_iteratorINSA_10device_ptrIjEEEEPS6_SG_NS0_5tupleIJSF_S6_EEENSH_IJSG_SG_EEES6_PlJNSB_9not_fun_tINSB_14equal_to_valueIjEEEEEEE10hipError_tPvRmT3_T4_T5_T6_T7_T9_mT8_P12ihipStream_tbDpT10_ENKUlT_T0_E_clISt17integral_constantIbLb1EES17_IbLb0EEEEDaS13_S14_EUlS13_E_NS1_11comp_targetILNS1_3genE3ELNS1_11target_archE908ELNS1_3gpuE7ELNS1_3repE0EEENS1_30default_config_static_selectorELNS0_4arch9wavefront6targetE0EEEvT1_.has_dyn_sized_stack, 0
	.set _ZN7rocprim17ROCPRIM_400000_NS6detail17trampoline_kernelINS0_14default_configENS1_25partition_config_selectorILNS1_17partition_subalgoE6EjNS0_10empty_typeEbEEZZNS1_14partition_implILS5_6ELb0ES3_mN6thrust23THRUST_200600_302600_NS6detail15normal_iteratorINSA_10device_ptrIjEEEEPS6_SG_NS0_5tupleIJSF_S6_EEENSH_IJSG_SG_EEES6_PlJNSB_9not_fun_tINSB_14equal_to_valueIjEEEEEEE10hipError_tPvRmT3_T4_T5_T6_T7_T9_mT8_P12ihipStream_tbDpT10_ENKUlT_T0_E_clISt17integral_constantIbLb1EES17_IbLb0EEEEDaS13_S14_EUlS13_E_NS1_11comp_targetILNS1_3genE3ELNS1_11target_archE908ELNS1_3gpuE7ELNS1_3repE0EEENS1_30default_config_static_selectorELNS0_4arch9wavefront6targetE0EEEvT1_.has_recursion, 0
	.set _ZN7rocprim17ROCPRIM_400000_NS6detail17trampoline_kernelINS0_14default_configENS1_25partition_config_selectorILNS1_17partition_subalgoE6EjNS0_10empty_typeEbEEZZNS1_14partition_implILS5_6ELb0ES3_mN6thrust23THRUST_200600_302600_NS6detail15normal_iteratorINSA_10device_ptrIjEEEEPS6_SG_NS0_5tupleIJSF_S6_EEENSH_IJSG_SG_EEES6_PlJNSB_9not_fun_tINSB_14equal_to_valueIjEEEEEEE10hipError_tPvRmT3_T4_T5_T6_T7_T9_mT8_P12ihipStream_tbDpT10_ENKUlT_T0_E_clISt17integral_constantIbLb1EES17_IbLb0EEEEDaS13_S14_EUlS13_E_NS1_11comp_targetILNS1_3genE3ELNS1_11target_archE908ELNS1_3gpuE7ELNS1_3repE0EEENS1_30default_config_static_selectorELNS0_4arch9wavefront6targetE0EEEvT1_.has_indirect_call, 0
	.section	.AMDGPU.csdata,"",@progbits
; Kernel info:
; codeLenInByte = 0
; TotalNumSgprs: 0
; NumVgprs: 0
; ScratchSize: 0
; MemoryBound: 0
; FloatMode: 240
; IeeeMode: 1
; LDSByteSize: 0 bytes/workgroup (compile time only)
; SGPRBlocks: 0
; VGPRBlocks: 0
; NumSGPRsForWavesPerEU: 1
; NumVGPRsForWavesPerEU: 1
; Occupancy: 16
; WaveLimiterHint : 0
; COMPUTE_PGM_RSRC2:SCRATCH_EN: 0
; COMPUTE_PGM_RSRC2:USER_SGPR: 2
; COMPUTE_PGM_RSRC2:TRAP_HANDLER: 0
; COMPUTE_PGM_RSRC2:TGID_X_EN: 1
; COMPUTE_PGM_RSRC2:TGID_Y_EN: 0
; COMPUTE_PGM_RSRC2:TGID_Z_EN: 0
; COMPUTE_PGM_RSRC2:TIDIG_COMP_CNT: 0
	.section	.text._ZN7rocprim17ROCPRIM_400000_NS6detail17trampoline_kernelINS0_14default_configENS1_25partition_config_selectorILNS1_17partition_subalgoE6EjNS0_10empty_typeEbEEZZNS1_14partition_implILS5_6ELb0ES3_mN6thrust23THRUST_200600_302600_NS6detail15normal_iteratorINSA_10device_ptrIjEEEEPS6_SG_NS0_5tupleIJSF_S6_EEENSH_IJSG_SG_EEES6_PlJNSB_9not_fun_tINSB_14equal_to_valueIjEEEEEEE10hipError_tPvRmT3_T4_T5_T6_T7_T9_mT8_P12ihipStream_tbDpT10_ENKUlT_T0_E_clISt17integral_constantIbLb1EES17_IbLb0EEEEDaS13_S14_EUlS13_E_NS1_11comp_targetILNS1_3genE2ELNS1_11target_archE906ELNS1_3gpuE6ELNS1_3repE0EEENS1_30default_config_static_selectorELNS0_4arch9wavefront6targetE0EEEvT1_,"axG",@progbits,_ZN7rocprim17ROCPRIM_400000_NS6detail17trampoline_kernelINS0_14default_configENS1_25partition_config_selectorILNS1_17partition_subalgoE6EjNS0_10empty_typeEbEEZZNS1_14partition_implILS5_6ELb0ES3_mN6thrust23THRUST_200600_302600_NS6detail15normal_iteratorINSA_10device_ptrIjEEEEPS6_SG_NS0_5tupleIJSF_S6_EEENSH_IJSG_SG_EEES6_PlJNSB_9not_fun_tINSB_14equal_to_valueIjEEEEEEE10hipError_tPvRmT3_T4_T5_T6_T7_T9_mT8_P12ihipStream_tbDpT10_ENKUlT_T0_E_clISt17integral_constantIbLb1EES17_IbLb0EEEEDaS13_S14_EUlS13_E_NS1_11comp_targetILNS1_3genE2ELNS1_11target_archE906ELNS1_3gpuE6ELNS1_3repE0EEENS1_30default_config_static_selectorELNS0_4arch9wavefront6targetE0EEEvT1_,comdat
	.protected	_ZN7rocprim17ROCPRIM_400000_NS6detail17trampoline_kernelINS0_14default_configENS1_25partition_config_selectorILNS1_17partition_subalgoE6EjNS0_10empty_typeEbEEZZNS1_14partition_implILS5_6ELb0ES3_mN6thrust23THRUST_200600_302600_NS6detail15normal_iteratorINSA_10device_ptrIjEEEEPS6_SG_NS0_5tupleIJSF_S6_EEENSH_IJSG_SG_EEES6_PlJNSB_9not_fun_tINSB_14equal_to_valueIjEEEEEEE10hipError_tPvRmT3_T4_T5_T6_T7_T9_mT8_P12ihipStream_tbDpT10_ENKUlT_T0_E_clISt17integral_constantIbLb1EES17_IbLb0EEEEDaS13_S14_EUlS13_E_NS1_11comp_targetILNS1_3genE2ELNS1_11target_archE906ELNS1_3gpuE6ELNS1_3repE0EEENS1_30default_config_static_selectorELNS0_4arch9wavefront6targetE0EEEvT1_ ; -- Begin function _ZN7rocprim17ROCPRIM_400000_NS6detail17trampoline_kernelINS0_14default_configENS1_25partition_config_selectorILNS1_17partition_subalgoE6EjNS0_10empty_typeEbEEZZNS1_14partition_implILS5_6ELb0ES3_mN6thrust23THRUST_200600_302600_NS6detail15normal_iteratorINSA_10device_ptrIjEEEEPS6_SG_NS0_5tupleIJSF_S6_EEENSH_IJSG_SG_EEES6_PlJNSB_9not_fun_tINSB_14equal_to_valueIjEEEEEEE10hipError_tPvRmT3_T4_T5_T6_T7_T9_mT8_P12ihipStream_tbDpT10_ENKUlT_T0_E_clISt17integral_constantIbLb1EES17_IbLb0EEEEDaS13_S14_EUlS13_E_NS1_11comp_targetILNS1_3genE2ELNS1_11target_archE906ELNS1_3gpuE6ELNS1_3repE0EEENS1_30default_config_static_selectorELNS0_4arch9wavefront6targetE0EEEvT1_
	.globl	_ZN7rocprim17ROCPRIM_400000_NS6detail17trampoline_kernelINS0_14default_configENS1_25partition_config_selectorILNS1_17partition_subalgoE6EjNS0_10empty_typeEbEEZZNS1_14partition_implILS5_6ELb0ES3_mN6thrust23THRUST_200600_302600_NS6detail15normal_iteratorINSA_10device_ptrIjEEEEPS6_SG_NS0_5tupleIJSF_S6_EEENSH_IJSG_SG_EEES6_PlJNSB_9not_fun_tINSB_14equal_to_valueIjEEEEEEE10hipError_tPvRmT3_T4_T5_T6_T7_T9_mT8_P12ihipStream_tbDpT10_ENKUlT_T0_E_clISt17integral_constantIbLb1EES17_IbLb0EEEEDaS13_S14_EUlS13_E_NS1_11comp_targetILNS1_3genE2ELNS1_11target_archE906ELNS1_3gpuE6ELNS1_3repE0EEENS1_30default_config_static_selectorELNS0_4arch9wavefront6targetE0EEEvT1_
	.p2align	8
	.type	_ZN7rocprim17ROCPRIM_400000_NS6detail17trampoline_kernelINS0_14default_configENS1_25partition_config_selectorILNS1_17partition_subalgoE6EjNS0_10empty_typeEbEEZZNS1_14partition_implILS5_6ELb0ES3_mN6thrust23THRUST_200600_302600_NS6detail15normal_iteratorINSA_10device_ptrIjEEEEPS6_SG_NS0_5tupleIJSF_S6_EEENSH_IJSG_SG_EEES6_PlJNSB_9not_fun_tINSB_14equal_to_valueIjEEEEEEE10hipError_tPvRmT3_T4_T5_T6_T7_T9_mT8_P12ihipStream_tbDpT10_ENKUlT_T0_E_clISt17integral_constantIbLb1EES17_IbLb0EEEEDaS13_S14_EUlS13_E_NS1_11comp_targetILNS1_3genE2ELNS1_11target_archE906ELNS1_3gpuE6ELNS1_3repE0EEENS1_30default_config_static_selectorELNS0_4arch9wavefront6targetE0EEEvT1_,@function
_ZN7rocprim17ROCPRIM_400000_NS6detail17trampoline_kernelINS0_14default_configENS1_25partition_config_selectorILNS1_17partition_subalgoE6EjNS0_10empty_typeEbEEZZNS1_14partition_implILS5_6ELb0ES3_mN6thrust23THRUST_200600_302600_NS6detail15normal_iteratorINSA_10device_ptrIjEEEEPS6_SG_NS0_5tupleIJSF_S6_EEENSH_IJSG_SG_EEES6_PlJNSB_9not_fun_tINSB_14equal_to_valueIjEEEEEEE10hipError_tPvRmT3_T4_T5_T6_T7_T9_mT8_P12ihipStream_tbDpT10_ENKUlT_T0_E_clISt17integral_constantIbLb1EES17_IbLb0EEEEDaS13_S14_EUlS13_E_NS1_11comp_targetILNS1_3genE2ELNS1_11target_archE906ELNS1_3gpuE6ELNS1_3repE0EEENS1_30default_config_static_selectorELNS0_4arch9wavefront6targetE0EEEvT1_: ; @_ZN7rocprim17ROCPRIM_400000_NS6detail17trampoline_kernelINS0_14default_configENS1_25partition_config_selectorILNS1_17partition_subalgoE6EjNS0_10empty_typeEbEEZZNS1_14partition_implILS5_6ELb0ES3_mN6thrust23THRUST_200600_302600_NS6detail15normal_iteratorINSA_10device_ptrIjEEEEPS6_SG_NS0_5tupleIJSF_S6_EEENSH_IJSG_SG_EEES6_PlJNSB_9not_fun_tINSB_14equal_to_valueIjEEEEEEE10hipError_tPvRmT3_T4_T5_T6_T7_T9_mT8_P12ihipStream_tbDpT10_ENKUlT_T0_E_clISt17integral_constantIbLb1EES17_IbLb0EEEEDaS13_S14_EUlS13_E_NS1_11comp_targetILNS1_3genE2ELNS1_11target_archE906ELNS1_3gpuE6ELNS1_3repE0EEENS1_30default_config_static_selectorELNS0_4arch9wavefront6targetE0EEEvT1_
; %bb.0:
	.section	.rodata,"a",@progbits
	.p2align	6, 0x0
	.amdhsa_kernel _ZN7rocprim17ROCPRIM_400000_NS6detail17trampoline_kernelINS0_14default_configENS1_25partition_config_selectorILNS1_17partition_subalgoE6EjNS0_10empty_typeEbEEZZNS1_14partition_implILS5_6ELb0ES3_mN6thrust23THRUST_200600_302600_NS6detail15normal_iteratorINSA_10device_ptrIjEEEEPS6_SG_NS0_5tupleIJSF_S6_EEENSH_IJSG_SG_EEES6_PlJNSB_9not_fun_tINSB_14equal_to_valueIjEEEEEEE10hipError_tPvRmT3_T4_T5_T6_T7_T9_mT8_P12ihipStream_tbDpT10_ENKUlT_T0_E_clISt17integral_constantIbLb1EES17_IbLb0EEEEDaS13_S14_EUlS13_E_NS1_11comp_targetILNS1_3genE2ELNS1_11target_archE906ELNS1_3gpuE6ELNS1_3repE0EEENS1_30default_config_static_selectorELNS0_4arch9wavefront6targetE0EEEvT1_
		.amdhsa_group_segment_fixed_size 0
		.amdhsa_private_segment_fixed_size 0
		.amdhsa_kernarg_size 120
		.amdhsa_user_sgpr_count 2
		.amdhsa_user_sgpr_dispatch_ptr 0
		.amdhsa_user_sgpr_queue_ptr 0
		.amdhsa_user_sgpr_kernarg_segment_ptr 1
		.amdhsa_user_sgpr_dispatch_id 0
		.amdhsa_user_sgpr_private_segment_size 0
		.amdhsa_wavefront_size32 1
		.amdhsa_uses_dynamic_stack 0
		.amdhsa_enable_private_segment 0
		.amdhsa_system_sgpr_workgroup_id_x 1
		.amdhsa_system_sgpr_workgroup_id_y 0
		.amdhsa_system_sgpr_workgroup_id_z 0
		.amdhsa_system_sgpr_workgroup_info 0
		.amdhsa_system_vgpr_workitem_id 0
		.amdhsa_next_free_vgpr 1
		.amdhsa_next_free_sgpr 1
		.amdhsa_reserve_vcc 0
		.amdhsa_float_round_mode_32 0
		.amdhsa_float_round_mode_16_64 0
		.amdhsa_float_denorm_mode_32 3
		.amdhsa_float_denorm_mode_16_64 3
		.amdhsa_fp16_overflow 0
		.amdhsa_workgroup_processor_mode 1
		.amdhsa_memory_ordered 1
		.amdhsa_forward_progress 1
		.amdhsa_inst_pref_size 0
		.amdhsa_round_robin_scheduling 0
		.amdhsa_exception_fp_ieee_invalid_op 0
		.amdhsa_exception_fp_denorm_src 0
		.amdhsa_exception_fp_ieee_div_zero 0
		.amdhsa_exception_fp_ieee_overflow 0
		.amdhsa_exception_fp_ieee_underflow 0
		.amdhsa_exception_fp_ieee_inexact 0
		.amdhsa_exception_int_div_zero 0
	.end_amdhsa_kernel
	.section	.text._ZN7rocprim17ROCPRIM_400000_NS6detail17trampoline_kernelINS0_14default_configENS1_25partition_config_selectorILNS1_17partition_subalgoE6EjNS0_10empty_typeEbEEZZNS1_14partition_implILS5_6ELb0ES3_mN6thrust23THRUST_200600_302600_NS6detail15normal_iteratorINSA_10device_ptrIjEEEEPS6_SG_NS0_5tupleIJSF_S6_EEENSH_IJSG_SG_EEES6_PlJNSB_9not_fun_tINSB_14equal_to_valueIjEEEEEEE10hipError_tPvRmT3_T4_T5_T6_T7_T9_mT8_P12ihipStream_tbDpT10_ENKUlT_T0_E_clISt17integral_constantIbLb1EES17_IbLb0EEEEDaS13_S14_EUlS13_E_NS1_11comp_targetILNS1_3genE2ELNS1_11target_archE906ELNS1_3gpuE6ELNS1_3repE0EEENS1_30default_config_static_selectorELNS0_4arch9wavefront6targetE0EEEvT1_,"axG",@progbits,_ZN7rocprim17ROCPRIM_400000_NS6detail17trampoline_kernelINS0_14default_configENS1_25partition_config_selectorILNS1_17partition_subalgoE6EjNS0_10empty_typeEbEEZZNS1_14partition_implILS5_6ELb0ES3_mN6thrust23THRUST_200600_302600_NS6detail15normal_iteratorINSA_10device_ptrIjEEEEPS6_SG_NS0_5tupleIJSF_S6_EEENSH_IJSG_SG_EEES6_PlJNSB_9not_fun_tINSB_14equal_to_valueIjEEEEEEE10hipError_tPvRmT3_T4_T5_T6_T7_T9_mT8_P12ihipStream_tbDpT10_ENKUlT_T0_E_clISt17integral_constantIbLb1EES17_IbLb0EEEEDaS13_S14_EUlS13_E_NS1_11comp_targetILNS1_3genE2ELNS1_11target_archE906ELNS1_3gpuE6ELNS1_3repE0EEENS1_30default_config_static_selectorELNS0_4arch9wavefront6targetE0EEEvT1_,comdat
.Lfunc_end393:
	.size	_ZN7rocprim17ROCPRIM_400000_NS6detail17trampoline_kernelINS0_14default_configENS1_25partition_config_selectorILNS1_17partition_subalgoE6EjNS0_10empty_typeEbEEZZNS1_14partition_implILS5_6ELb0ES3_mN6thrust23THRUST_200600_302600_NS6detail15normal_iteratorINSA_10device_ptrIjEEEEPS6_SG_NS0_5tupleIJSF_S6_EEENSH_IJSG_SG_EEES6_PlJNSB_9not_fun_tINSB_14equal_to_valueIjEEEEEEE10hipError_tPvRmT3_T4_T5_T6_T7_T9_mT8_P12ihipStream_tbDpT10_ENKUlT_T0_E_clISt17integral_constantIbLb1EES17_IbLb0EEEEDaS13_S14_EUlS13_E_NS1_11comp_targetILNS1_3genE2ELNS1_11target_archE906ELNS1_3gpuE6ELNS1_3repE0EEENS1_30default_config_static_selectorELNS0_4arch9wavefront6targetE0EEEvT1_, .Lfunc_end393-_ZN7rocprim17ROCPRIM_400000_NS6detail17trampoline_kernelINS0_14default_configENS1_25partition_config_selectorILNS1_17partition_subalgoE6EjNS0_10empty_typeEbEEZZNS1_14partition_implILS5_6ELb0ES3_mN6thrust23THRUST_200600_302600_NS6detail15normal_iteratorINSA_10device_ptrIjEEEEPS6_SG_NS0_5tupleIJSF_S6_EEENSH_IJSG_SG_EEES6_PlJNSB_9not_fun_tINSB_14equal_to_valueIjEEEEEEE10hipError_tPvRmT3_T4_T5_T6_T7_T9_mT8_P12ihipStream_tbDpT10_ENKUlT_T0_E_clISt17integral_constantIbLb1EES17_IbLb0EEEEDaS13_S14_EUlS13_E_NS1_11comp_targetILNS1_3genE2ELNS1_11target_archE906ELNS1_3gpuE6ELNS1_3repE0EEENS1_30default_config_static_selectorELNS0_4arch9wavefront6targetE0EEEvT1_
                                        ; -- End function
	.set _ZN7rocprim17ROCPRIM_400000_NS6detail17trampoline_kernelINS0_14default_configENS1_25partition_config_selectorILNS1_17partition_subalgoE6EjNS0_10empty_typeEbEEZZNS1_14partition_implILS5_6ELb0ES3_mN6thrust23THRUST_200600_302600_NS6detail15normal_iteratorINSA_10device_ptrIjEEEEPS6_SG_NS0_5tupleIJSF_S6_EEENSH_IJSG_SG_EEES6_PlJNSB_9not_fun_tINSB_14equal_to_valueIjEEEEEEE10hipError_tPvRmT3_T4_T5_T6_T7_T9_mT8_P12ihipStream_tbDpT10_ENKUlT_T0_E_clISt17integral_constantIbLb1EES17_IbLb0EEEEDaS13_S14_EUlS13_E_NS1_11comp_targetILNS1_3genE2ELNS1_11target_archE906ELNS1_3gpuE6ELNS1_3repE0EEENS1_30default_config_static_selectorELNS0_4arch9wavefront6targetE0EEEvT1_.num_vgpr, 0
	.set _ZN7rocprim17ROCPRIM_400000_NS6detail17trampoline_kernelINS0_14default_configENS1_25partition_config_selectorILNS1_17partition_subalgoE6EjNS0_10empty_typeEbEEZZNS1_14partition_implILS5_6ELb0ES3_mN6thrust23THRUST_200600_302600_NS6detail15normal_iteratorINSA_10device_ptrIjEEEEPS6_SG_NS0_5tupleIJSF_S6_EEENSH_IJSG_SG_EEES6_PlJNSB_9not_fun_tINSB_14equal_to_valueIjEEEEEEE10hipError_tPvRmT3_T4_T5_T6_T7_T9_mT8_P12ihipStream_tbDpT10_ENKUlT_T0_E_clISt17integral_constantIbLb1EES17_IbLb0EEEEDaS13_S14_EUlS13_E_NS1_11comp_targetILNS1_3genE2ELNS1_11target_archE906ELNS1_3gpuE6ELNS1_3repE0EEENS1_30default_config_static_selectorELNS0_4arch9wavefront6targetE0EEEvT1_.num_agpr, 0
	.set _ZN7rocprim17ROCPRIM_400000_NS6detail17trampoline_kernelINS0_14default_configENS1_25partition_config_selectorILNS1_17partition_subalgoE6EjNS0_10empty_typeEbEEZZNS1_14partition_implILS5_6ELb0ES3_mN6thrust23THRUST_200600_302600_NS6detail15normal_iteratorINSA_10device_ptrIjEEEEPS6_SG_NS0_5tupleIJSF_S6_EEENSH_IJSG_SG_EEES6_PlJNSB_9not_fun_tINSB_14equal_to_valueIjEEEEEEE10hipError_tPvRmT3_T4_T5_T6_T7_T9_mT8_P12ihipStream_tbDpT10_ENKUlT_T0_E_clISt17integral_constantIbLb1EES17_IbLb0EEEEDaS13_S14_EUlS13_E_NS1_11comp_targetILNS1_3genE2ELNS1_11target_archE906ELNS1_3gpuE6ELNS1_3repE0EEENS1_30default_config_static_selectorELNS0_4arch9wavefront6targetE0EEEvT1_.numbered_sgpr, 0
	.set _ZN7rocprim17ROCPRIM_400000_NS6detail17trampoline_kernelINS0_14default_configENS1_25partition_config_selectorILNS1_17partition_subalgoE6EjNS0_10empty_typeEbEEZZNS1_14partition_implILS5_6ELb0ES3_mN6thrust23THRUST_200600_302600_NS6detail15normal_iteratorINSA_10device_ptrIjEEEEPS6_SG_NS0_5tupleIJSF_S6_EEENSH_IJSG_SG_EEES6_PlJNSB_9not_fun_tINSB_14equal_to_valueIjEEEEEEE10hipError_tPvRmT3_T4_T5_T6_T7_T9_mT8_P12ihipStream_tbDpT10_ENKUlT_T0_E_clISt17integral_constantIbLb1EES17_IbLb0EEEEDaS13_S14_EUlS13_E_NS1_11comp_targetILNS1_3genE2ELNS1_11target_archE906ELNS1_3gpuE6ELNS1_3repE0EEENS1_30default_config_static_selectorELNS0_4arch9wavefront6targetE0EEEvT1_.num_named_barrier, 0
	.set _ZN7rocprim17ROCPRIM_400000_NS6detail17trampoline_kernelINS0_14default_configENS1_25partition_config_selectorILNS1_17partition_subalgoE6EjNS0_10empty_typeEbEEZZNS1_14partition_implILS5_6ELb0ES3_mN6thrust23THRUST_200600_302600_NS6detail15normal_iteratorINSA_10device_ptrIjEEEEPS6_SG_NS0_5tupleIJSF_S6_EEENSH_IJSG_SG_EEES6_PlJNSB_9not_fun_tINSB_14equal_to_valueIjEEEEEEE10hipError_tPvRmT3_T4_T5_T6_T7_T9_mT8_P12ihipStream_tbDpT10_ENKUlT_T0_E_clISt17integral_constantIbLb1EES17_IbLb0EEEEDaS13_S14_EUlS13_E_NS1_11comp_targetILNS1_3genE2ELNS1_11target_archE906ELNS1_3gpuE6ELNS1_3repE0EEENS1_30default_config_static_selectorELNS0_4arch9wavefront6targetE0EEEvT1_.private_seg_size, 0
	.set _ZN7rocprim17ROCPRIM_400000_NS6detail17trampoline_kernelINS0_14default_configENS1_25partition_config_selectorILNS1_17partition_subalgoE6EjNS0_10empty_typeEbEEZZNS1_14partition_implILS5_6ELb0ES3_mN6thrust23THRUST_200600_302600_NS6detail15normal_iteratorINSA_10device_ptrIjEEEEPS6_SG_NS0_5tupleIJSF_S6_EEENSH_IJSG_SG_EEES6_PlJNSB_9not_fun_tINSB_14equal_to_valueIjEEEEEEE10hipError_tPvRmT3_T4_T5_T6_T7_T9_mT8_P12ihipStream_tbDpT10_ENKUlT_T0_E_clISt17integral_constantIbLb1EES17_IbLb0EEEEDaS13_S14_EUlS13_E_NS1_11comp_targetILNS1_3genE2ELNS1_11target_archE906ELNS1_3gpuE6ELNS1_3repE0EEENS1_30default_config_static_selectorELNS0_4arch9wavefront6targetE0EEEvT1_.uses_vcc, 0
	.set _ZN7rocprim17ROCPRIM_400000_NS6detail17trampoline_kernelINS0_14default_configENS1_25partition_config_selectorILNS1_17partition_subalgoE6EjNS0_10empty_typeEbEEZZNS1_14partition_implILS5_6ELb0ES3_mN6thrust23THRUST_200600_302600_NS6detail15normal_iteratorINSA_10device_ptrIjEEEEPS6_SG_NS0_5tupleIJSF_S6_EEENSH_IJSG_SG_EEES6_PlJNSB_9not_fun_tINSB_14equal_to_valueIjEEEEEEE10hipError_tPvRmT3_T4_T5_T6_T7_T9_mT8_P12ihipStream_tbDpT10_ENKUlT_T0_E_clISt17integral_constantIbLb1EES17_IbLb0EEEEDaS13_S14_EUlS13_E_NS1_11comp_targetILNS1_3genE2ELNS1_11target_archE906ELNS1_3gpuE6ELNS1_3repE0EEENS1_30default_config_static_selectorELNS0_4arch9wavefront6targetE0EEEvT1_.uses_flat_scratch, 0
	.set _ZN7rocprim17ROCPRIM_400000_NS6detail17trampoline_kernelINS0_14default_configENS1_25partition_config_selectorILNS1_17partition_subalgoE6EjNS0_10empty_typeEbEEZZNS1_14partition_implILS5_6ELb0ES3_mN6thrust23THRUST_200600_302600_NS6detail15normal_iteratorINSA_10device_ptrIjEEEEPS6_SG_NS0_5tupleIJSF_S6_EEENSH_IJSG_SG_EEES6_PlJNSB_9not_fun_tINSB_14equal_to_valueIjEEEEEEE10hipError_tPvRmT3_T4_T5_T6_T7_T9_mT8_P12ihipStream_tbDpT10_ENKUlT_T0_E_clISt17integral_constantIbLb1EES17_IbLb0EEEEDaS13_S14_EUlS13_E_NS1_11comp_targetILNS1_3genE2ELNS1_11target_archE906ELNS1_3gpuE6ELNS1_3repE0EEENS1_30default_config_static_selectorELNS0_4arch9wavefront6targetE0EEEvT1_.has_dyn_sized_stack, 0
	.set _ZN7rocprim17ROCPRIM_400000_NS6detail17trampoline_kernelINS0_14default_configENS1_25partition_config_selectorILNS1_17partition_subalgoE6EjNS0_10empty_typeEbEEZZNS1_14partition_implILS5_6ELb0ES3_mN6thrust23THRUST_200600_302600_NS6detail15normal_iteratorINSA_10device_ptrIjEEEEPS6_SG_NS0_5tupleIJSF_S6_EEENSH_IJSG_SG_EEES6_PlJNSB_9not_fun_tINSB_14equal_to_valueIjEEEEEEE10hipError_tPvRmT3_T4_T5_T6_T7_T9_mT8_P12ihipStream_tbDpT10_ENKUlT_T0_E_clISt17integral_constantIbLb1EES17_IbLb0EEEEDaS13_S14_EUlS13_E_NS1_11comp_targetILNS1_3genE2ELNS1_11target_archE906ELNS1_3gpuE6ELNS1_3repE0EEENS1_30default_config_static_selectorELNS0_4arch9wavefront6targetE0EEEvT1_.has_recursion, 0
	.set _ZN7rocprim17ROCPRIM_400000_NS6detail17trampoline_kernelINS0_14default_configENS1_25partition_config_selectorILNS1_17partition_subalgoE6EjNS0_10empty_typeEbEEZZNS1_14partition_implILS5_6ELb0ES3_mN6thrust23THRUST_200600_302600_NS6detail15normal_iteratorINSA_10device_ptrIjEEEEPS6_SG_NS0_5tupleIJSF_S6_EEENSH_IJSG_SG_EEES6_PlJNSB_9not_fun_tINSB_14equal_to_valueIjEEEEEEE10hipError_tPvRmT3_T4_T5_T6_T7_T9_mT8_P12ihipStream_tbDpT10_ENKUlT_T0_E_clISt17integral_constantIbLb1EES17_IbLb0EEEEDaS13_S14_EUlS13_E_NS1_11comp_targetILNS1_3genE2ELNS1_11target_archE906ELNS1_3gpuE6ELNS1_3repE0EEENS1_30default_config_static_selectorELNS0_4arch9wavefront6targetE0EEEvT1_.has_indirect_call, 0
	.section	.AMDGPU.csdata,"",@progbits
; Kernel info:
; codeLenInByte = 0
; TotalNumSgprs: 0
; NumVgprs: 0
; ScratchSize: 0
; MemoryBound: 0
; FloatMode: 240
; IeeeMode: 1
; LDSByteSize: 0 bytes/workgroup (compile time only)
; SGPRBlocks: 0
; VGPRBlocks: 0
; NumSGPRsForWavesPerEU: 1
; NumVGPRsForWavesPerEU: 1
; Occupancy: 16
; WaveLimiterHint : 0
; COMPUTE_PGM_RSRC2:SCRATCH_EN: 0
; COMPUTE_PGM_RSRC2:USER_SGPR: 2
; COMPUTE_PGM_RSRC2:TRAP_HANDLER: 0
; COMPUTE_PGM_RSRC2:TGID_X_EN: 1
; COMPUTE_PGM_RSRC2:TGID_Y_EN: 0
; COMPUTE_PGM_RSRC2:TGID_Z_EN: 0
; COMPUTE_PGM_RSRC2:TIDIG_COMP_CNT: 0
	.section	.text._ZN7rocprim17ROCPRIM_400000_NS6detail17trampoline_kernelINS0_14default_configENS1_25partition_config_selectorILNS1_17partition_subalgoE6EjNS0_10empty_typeEbEEZZNS1_14partition_implILS5_6ELb0ES3_mN6thrust23THRUST_200600_302600_NS6detail15normal_iteratorINSA_10device_ptrIjEEEEPS6_SG_NS0_5tupleIJSF_S6_EEENSH_IJSG_SG_EEES6_PlJNSB_9not_fun_tINSB_14equal_to_valueIjEEEEEEE10hipError_tPvRmT3_T4_T5_T6_T7_T9_mT8_P12ihipStream_tbDpT10_ENKUlT_T0_E_clISt17integral_constantIbLb1EES17_IbLb0EEEEDaS13_S14_EUlS13_E_NS1_11comp_targetILNS1_3genE10ELNS1_11target_archE1200ELNS1_3gpuE4ELNS1_3repE0EEENS1_30default_config_static_selectorELNS0_4arch9wavefront6targetE0EEEvT1_,"axG",@progbits,_ZN7rocprim17ROCPRIM_400000_NS6detail17trampoline_kernelINS0_14default_configENS1_25partition_config_selectorILNS1_17partition_subalgoE6EjNS0_10empty_typeEbEEZZNS1_14partition_implILS5_6ELb0ES3_mN6thrust23THRUST_200600_302600_NS6detail15normal_iteratorINSA_10device_ptrIjEEEEPS6_SG_NS0_5tupleIJSF_S6_EEENSH_IJSG_SG_EEES6_PlJNSB_9not_fun_tINSB_14equal_to_valueIjEEEEEEE10hipError_tPvRmT3_T4_T5_T6_T7_T9_mT8_P12ihipStream_tbDpT10_ENKUlT_T0_E_clISt17integral_constantIbLb1EES17_IbLb0EEEEDaS13_S14_EUlS13_E_NS1_11comp_targetILNS1_3genE10ELNS1_11target_archE1200ELNS1_3gpuE4ELNS1_3repE0EEENS1_30default_config_static_selectorELNS0_4arch9wavefront6targetE0EEEvT1_,comdat
	.protected	_ZN7rocprim17ROCPRIM_400000_NS6detail17trampoline_kernelINS0_14default_configENS1_25partition_config_selectorILNS1_17partition_subalgoE6EjNS0_10empty_typeEbEEZZNS1_14partition_implILS5_6ELb0ES3_mN6thrust23THRUST_200600_302600_NS6detail15normal_iteratorINSA_10device_ptrIjEEEEPS6_SG_NS0_5tupleIJSF_S6_EEENSH_IJSG_SG_EEES6_PlJNSB_9not_fun_tINSB_14equal_to_valueIjEEEEEEE10hipError_tPvRmT3_T4_T5_T6_T7_T9_mT8_P12ihipStream_tbDpT10_ENKUlT_T0_E_clISt17integral_constantIbLb1EES17_IbLb0EEEEDaS13_S14_EUlS13_E_NS1_11comp_targetILNS1_3genE10ELNS1_11target_archE1200ELNS1_3gpuE4ELNS1_3repE0EEENS1_30default_config_static_selectorELNS0_4arch9wavefront6targetE0EEEvT1_ ; -- Begin function _ZN7rocprim17ROCPRIM_400000_NS6detail17trampoline_kernelINS0_14default_configENS1_25partition_config_selectorILNS1_17partition_subalgoE6EjNS0_10empty_typeEbEEZZNS1_14partition_implILS5_6ELb0ES3_mN6thrust23THRUST_200600_302600_NS6detail15normal_iteratorINSA_10device_ptrIjEEEEPS6_SG_NS0_5tupleIJSF_S6_EEENSH_IJSG_SG_EEES6_PlJNSB_9not_fun_tINSB_14equal_to_valueIjEEEEEEE10hipError_tPvRmT3_T4_T5_T6_T7_T9_mT8_P12ihipStream_tbDpT10_ENKUlT_T0_E_clISt17integral_constantIbLb1EES17_IbLb0EEEEDaS13_S14_EUlS13_E_NS1_11comp_targetILNS1_3genE10ELNS1_11target_archE1200ELNS1_3gpuE4ELNS1_3repE0EEENS1_30default_config_static_selectorELNS0_4arch9wavefront6targetE0EEEvT1_
	.globl	_ZN7rocprim17ROCPRIM_400000_NS6detail17trampoline_kernelINS0_14default_configENS1_25partition_config_selectorILNS1_17partition_subalgoE6EjNS0_10empty_typeEbEEZZNS1_14partition_implILS5_6ELb0ES3_mN6thrust23THRUST_200600_302600_NS6detail15normal_iteratorINSA_10device_ptrIjEEEEPS6_SG_NS0_5tupleIJSF_S6_EEENSH_IJSG_SG_EEES6_PlJNSB_9not_fun_tINSB_14equal_to_valueIjEEEEEEE10hipError_tPvRmT3_T4_T5_T6_T7_T9_mT8_P12ihipStream_tbDpT10_ENKUlT_T0_E_clISt17integral_constantIbLb1EES17_IbLb0EEEEDaS13_S14_EUlS13_E_NS1_11comp_targetILNS1_3genE10ELNS1_11target_archE1200ELNS1_3gpuE4ELNS1_3repE0EEENS1_30default_config_static_selectorELNS0_4arch9wavefront6targetE0EEEvT1_
	.p2align	8
	.type	_ZN7rocprim17ROCPRIM_400000_NS6detail17trampoline_kernelINS0_14default_configENS1_25partition_config_selectorILNS1_17partition_subalgoE6EjNS0_10empty_typeEbEEZZNS1_14partition_implILS5_6ELb0ES3_mN6thrust23THRUST_200600_302600_NS6detail15normal_iteratorINSA_10device_ptrIjEEEEPS6_SG_NS0_5tupleIJSF_S6_EEENSH_IJSG_SG_EEES6_PlJNSB_9not_fun_tINSB_14equal_to_valueIjEEEEEEE10hipError_tPvRmT3_T4_T5_T6_T7_T9_mT8_P12ihipStream_tbDpT10_ENKUlT_T0_E_clISt17integral_constantIbLb1EES17_IbLb0EEEEDaS13_S14_EUlS13_E_NS1_11comp_targetILNS1_3genE10ELNS1_11target_archE1200ELNS1_3gpuE4ELNS1_3repE0EEENS1_30default_config_static_selectorELNS0_4arch9wavefront6targetE0EEEvT1_,@function
_ZN7rocprim17ROCPRIM_400000_NS6detail17trampoline_kernelINS0_14default_configENS1_25partition_config_selectorILNS1_17partition_subalgoE6EjNS0_10empty_typeEbEEZZNS1_14partition_implILS5_6ELb0ES3_mN6thrust23THRUST_200600_302600_NS6detail15normal_iteratorINSA_10device_ptrIjEEEEPS6_SG_NS0_5tupleIJSF_S6_EEENSH_IJSG_SG_EEES6_PlJNSB_9not_fun_tINSB_14equal_to_valueIjEEEEEEE10hipError_tPvRmT3_T4_T5_T6_T7_T9_mT8_P12ihipStream_tbDpT10_ENKUlT_T0_E_clISt17integral_constantIbLb1EES17_IbLb0EEEEDaS13_S14_EUlS13_E_NS1_11comp_targetILNS1_3genE10ELNS1_11target_archE1200ELNS1_3gpuE4ELNS1_3repE0EEENS1_30default_config_static_selectorELNS0_4arch9wavefront6targetE0EEEvT1_: ; @_ZN7rocprim17ROCPRIM_400000_NS6detail17trampoline_kernelINS0_14default_configENS1_25partition_config_selectorILNS1_17partition_subalgoE6EjNS0_10empty_typeEbEEZZNS1_14partition_implILS5_6ELb0ES3_mN6thrust23THRUST_200600_302600_NS6detail15normal_iteratorINSA_10device_ptrIjEEEEPS6_SG_NS0_5tupleIJSF_S6_EEENSH_IJSG_SG_EEES6_PlJNSB_9not_fun_tINSB_14equal_to_valueIjEEEEEEE10hipError_tPvRmT3_T4_T5_T6_T7_T9_mT8_P12ihipStream_tbDpT10_ENKUlT_T0_E_clISt17integral_constantIbLb1EES17_IbLb0EEEEDaS13_S14_EUlS13_E_NS1_11comp_targetILNS1_3genE10ELNS1_11target_archE1200ELNS1_3gpuE4ELNS1_3repE0EEENS1_30default_config_static_selectorELNS0_4arch9wavefront6targetE0EEEvT1_
; %bb.0:
	s_endpgm
	.section	.rodata,"a",@progbits
	.p2align	6, 0x0
	.amdhsa_kernel _ZN7rocprim17ROCPRIM_400000_NS6detail17trampoline_kernelINS0_14default_configENS1_25partition_config_selectorILNS1_17partition_subalgoE6EjNS0_10empty_typeEbEEZZNS1_14partition_implILS5_6ELb0ES3_mN6thrust23THRUST_200600_302600_NS6detail15normal_iteratorINSA_10device_ptrIjEEEEPS6_SG_NS0_5tupleIJSF_S6_EEENSH_IJSG_SG_EEES6_PlJNSB_9not_fun_tINSB_14equal_to_valueIjEEEEEEE10hipError_tPvRmT3_T4_T5_T6_T7_T9_mT8_P12ihipStream_tbDpT10_ENKUlT_T0_E_clISt17integral_constantIbLb1EES17_IbLb0EEEEDaS13_S14_EUlS13_E_NS1_11comp_targetILNS1_3genE10ELNS1_11target_archE1200ELNS1_3gpuE4ELNS1_3repE0EEENS1_30default_config_static_selectorELNS0_4arch9wavefront6targetE0EEEvT1_
		.amdhsa_group_segment_fixed_size 0
		.amdhsa_private_segment_fixed_size 0
		.amdhsa_kernarg_size 120
		.amdhsa_user_sgpr_count 2
		.amdhsa_user_sgpr_dispatch_ptr 0
		.amdhsa_user_sgpr_queue_ptr 0
		.amdhsa_user_sgpr_kernarg_segment_ptr 1
		.amdhsa_user_sgpr_dispatch_id 0
		.amdhsa_user_sgpr_private_segment_size 0
		.amdhsa_wavefront_size32 1
		.amdhsa_uses_dynamic_stack 0
		.amdhsa_enable_private_segment 0
		.amdhsa_system_sgpr_workgroup_id_x 1
		.amdhsa_system_sgpr_workgroup_id_y 0
		.amdhsa_system_sgpr_workgroup_id_z 0
		.amdhsa_system_sgpr_workgroup_info 0
		.amdhsa_system_vgpr_workitem_id 0
		.amdhsa_next_free_vgpr 1
		.amdhsa_next_free_sgpr 1
		.amdhsa_reserve_vcc 0
		.amdhsa_float_round_mode_32 0
		.amdhsa_float_round_mode_16_64 0
		.amdhsa_float_denorm_mode_32 3
		.amdhsa_float_denorm_mode_16_64 3
		.amdhsa_fp16_overflow 0
		.amdhsa_workgroup_processor_mode 1
		.amdhsa_memory_ordered 1
		.amdhsa_forward_progress 1
		.amdhsa_inst_pref_size 1
		.amdhsa_round_robin_scheduling 0
		.amdhsa_exception_fp_ieee_invalid_op 0
		.amdhsa_exception_fp_denorm_src 0
		.amdhsa_exception_fp_ieee_div_zero 0
		.amdhsa_exception_fp_ieee_overflow 0
		.amdhsa_exception_fp_ieee_underflow 0
		.amdhsa_exception_fp_ieee_inexact 0
		.amdhsa_exception_int_div_zero 0
	.end_amdhsa_kernel
	.section	.text._ZN7rocprim17ROCPRIM_400000_NS6detail17trampoline_kernelINS0_14default_configENS1_25partition_config_selectorILNS1_17partition_subalgoE6EjNS0_10empty_typeEbEEZZNS1_14partition_implILS5_6ELb0ES3_mN6thrust23THRUST_200600_302600_NS6detail15normal_iteratorINSA_10device_ptrIjEEEEPS6_SG_NS0_5tupleIJSF_S6_EEENSH_IJSG_SG_EEES6_PlJNSB_9not_fun_tINSB_14equal_to_valueIjEEEEEEE10hipError_tPvRmT3_T4_T5_T6_T7_T9_mT8_P12ihipStream_tbDpT10_ENKUlT_T0_E_clISt17integral_constantIbLb1EES17_IbLb0EEEEDaS13_S14_EUlS13_E_NS1_11comp_targetILNS1_3genE10ELNS1_11target_archE1200ELNS1_3gpuE4ELNS1_3repE0EEENS1_30default_config_static_selectorELNS0_4arch9wavefront6targetE0EEEvT1_,"axG",@progbits,_ZN7rocprim17ROCPRIM_400000_NS6detail17trampoline_kernelINS0_14default_configENS1_25partition_config_selectorILNS1_17partition_subalgoE6EjNS0_10empty_typeEbEEZZNS1_14partition_implILS5_6ELb0ES3_mN6thrust23THRUST_200600_302600_NS6detail15normal_iteratorINSA_10device_ptrIjEEEEPS6_SG_NS0_5tupleIJSF_S6_EEENSH_IJSG_SG_EEES6_PlJNSB_9not_fun_tINSB_14equal_to_valueIjEEEEEEE10hipError_tPvRmT3_T4_T5_T6_T7_T9_mT8_P12ihipStream_tbDpT10_ENKUlT_T0_E_clISt17integral_constantIbLb1EES17_IbLb0EEEEDaS13_S14_EUlS13_E_NS1_11comp_targetILNS1_3genE10ELNS1_11target_archE1200ELNS1_3gpuE4ELNS1_3repE0EEENS1_30default_config_static_selectorELNS0_4arch9wavefront6targetE0EEEvT1_,comdat
.Lfunc_end394:
	.size	_ZN7rocprim17ROCPRIM_400000_NS6detail17trampoline_kernelINS0_14default_configENS1_25partition_config_selectorILNS1_17partition_subalgoE6EjNS0_10empty_typeEbEEZZNS1_14partition_implILS5_6ELb0ES3_mN6thrust23THRUST_200600_302600_NS6detail15normal_iteratorINSA_10device_ptrIjEEEEPS6_SG_NS0_5tupleIJSF_S6_EEENSH_IJSG_SG_EEES6_PlJNSB_9not_fun_tINSB_14equal_to_valueIjEEEEEEE10hipError_tPvRmT3_T4_T5_T6_T7_T9_mT8_P12ihipStream_tbDpT10_ENKUlT_T0_E_clISt17integral_constantIbLb1EES17_IbLb0EEEEDaS13_S14_EUlS13_E_NS1_11comp_targetILNS1_3genE10ELNS1_11target_archE1200ELNS1_3gpuE4ELNS1_3repE0EEENS1_30default_config_static_selectorELNS0_4arch9wavefront6targetE0EEEvT1_, .Lfunc_end394-_ZN7rocprim17ROCPRIM_400000_NS6detail17trampoline_kernelINS0_14default_configENS1_25partition_config_selectorILNS1_17partition_subalgoE6EjNS0_10empty_typeEbEEZZNS1_14partition_implILS5_6ELb0ES3_mN6thrust23THRUST_200600_302600_NS6detail15normal_iteratorINSA_10device_ptrIjEEEEPS6_SG_NS0_5tupleIJSF_S6_EEENSH_IJSG_SG_EEES6_PlJNSB_9not_fun_tINSB_14equal_to_valueIjEEEEEEE10hipError_tPvRmT3_T4_T5_T6_T7_T9_mT8_P12ihipStream_tbDpT10_ENKUlT_T0_E_clISt17integral_constantIbLb1EES17_IbLb0EEEEDaS13_S14_EUlS13_E_NS1_11comp_targetILNS1_3genE10ELNS1_11target_archE1200ELNS1_3gpuE4ELNS1_3repE0EEENS1_30default_config_static_selectorELNS0_4arch9wavefront6targetE0EEEvT1_
                                        ; -- End function
	.set _ZN7rocprim17ROCPRIM_400000_NS6detail17trampoline_kernelINS0_14default_configENS1_25partition_config_selectorILNS1_17partition_subalgoE6EjNS0_10empty_typeEbEEZZNS1_14partition_implILS5_6ELb0ES3_mN6thrust23THRUST_200600_302600_NS6detail15normal_iteratorINSA_10device_ptrIjEEEEPS6_SG_NS0_5tupleIJSF_S6_EEENSH_IJSG_SG_EEES6_PlJNSB_9not_fun_tINSB_14equal_to_valueIjEEEEEEE10hipError_tPvRmT3_T4_T5_T6_T7_T9_mT8_P12ihipStream_tbDpT10_ENKUlT_T0_E_clISt17integral_constantIbLb1EES17_IbLb0EEEEDaS13_S14_EUlS13_E_NS1_11comp_targetILNS1_3genE10ELNS1_11target_archE1200ELNS1_3gpuE4ELNS1_3repE0EEENS1_30default_config_static_selectorELNS0_4arch9wavefront6targetE0EEEvT1_.num_vgpr, 0
	.set _ZN7rocprim17ROCPRIM_400000_NS6detail17trampoline_kernelINS0_14default_configENS1_25partition_config_selectorILNS1_17partition_subalgoE6EjNS0_10empty_typeEbEEZZNS1_14partition_implILS5_6ELb0ES3_mN6thrust23THRUST_200600_302600_NS6detail15normal_iteratorINSA_10device_ptrIjEEEEPS6_SG_NS0_5tupleIJSF_S6_EEENSH_IJSG_SG_EEES6_PlJNSB_9not_fun_tINSB_14equal_to_valueIjEEEEEEE10hipError_tPvRmT3_T4_T5_T6_T7_T9_mT8_P12ihipStream_tbDpT10_ENKUlT_T0_E_clISt17integral_constantIbLb1EES17_IbLb0EEEEDaS13_S14_EUlS13_E_NS1_11comp_targetILNS1_3genE10ELNS1_11target_archE1200ELNS1_3gpuE4ELNS1_3repE0EEENS1_30default_config_static_selectorELNS0_4arch9wavefront6targetE0EEEvT1_.num_agpr, 0
	.set _ZN7rocprim17ROCPRIM_400000_NS6detail17trampoline_kernelINS0_14default_configENS1_25partition_config_selectorILNS1_17partition_subalgoE6EjNS0_10empty_typeEbEEZZNS1_14partition_implILS5_6ELb0ES3_mN6thrust23THRUST_200600_302600_NS6detail15normal_iteratorINSA_10device_ptrIjEEEEPS6_SG_NS0_5tupleIJSF_S6_EEENSH_IJSG_SG_EEES6_PlJNSB_9not_fun_tINSB_14equal_to_valueIjEEEEEEE10hipError_tPvRmT3_T4_T5_T6_T7_T9_mT8_P12ihipStream_tbDpT10_ENKUlT_T0_E_clISt17integral_constantIbLb1EES17_IbLb0EEEEDaS13_S14_EUlS13_E_NS1_11comp_targetILNS1_3genE10ELNS1_11target_archE1200ELNS1_3gpuE4ELNS1_3repE0EEENS1_30default_config_static_selectorELNS0_4arch9wavefront6targetE0EEEvT1_.numbered_sgpr, 0
	.set _ZN7rocprim17ROCPRIM_400000_NS6detail17trampoline_kernelINS0_14default_configENS1_25partition_config_selectorILNS1_17partition_subalgoE6EjNS0_10empty_typeEbEEZZNS1_14partition_implILS5_6ELb0ES3_mN6thrust23THRUST_200600_302600_NS6detail15normal_iteratorINSA_10device_ptrIjEEEEPS6_SG_NS0_5tupleIJSF_S6_EEENSH_IJSG_SG_EEES6_PlJNSB_9not_fun_tINSB_14equal_to_valueIjEEEEEEE10hipError_tPvRmT3_T4_T5_T6_T7_T9_mT8_P12ihipStream_tbDpT10_ENKUlT_T0_E_clISt17integral_constantIbLb1EES17_IbLb0EEEEDaS13_S14_EUlS13_E_NS1_11comp_targetILNS1_3genE10ELNS1_11target_archE1200ELNS1_3gpuE4ELNS1_3repE0EEENS1_30default_config_static_selectorELNS0_4arch9wavefront6targetE0EEEvT1_.num_named_barrier, 0
	.set _ZN7rocprim17ROCPRIM_400000_NS6detail17trampoline_kernelINS0_14default_configENS1_25partition_config_selectorILNS1_17partition_subalgoE6EjNS0_10empty_typeEbEEZZNS1_14partition_implILS5_6ELb0ES3_mN6thrust23THRUST_200600_302600_NS6detail15normal_iteratorINSA_10device_ptrIjEEEEPS6_SG_NS0_5tupleIJSF_S6_EEENSH_IJSG_SG_EEES6_PlJNSB_9not_fun_tINSB_14equal_to_valueIjEEEEEEE10hipError_tPvRmT3_T4_T5_T6_T7_T9_mT8_P12ihipStream_tbDpT10_ENKUlT_T0_E_clISt17integral_constantIbLb1EES17_IbLb0EEEEDaS13_S14_EUlS13_E_NS1_11comp_targetILNS1_3genE10ELNS1_11target_archE1200ELNS1_3gpuE4ELNS1_3repE0EEENS1_30default_config_static_selectorELNS0_4arch9wavefront6targetE0EEEvT1_.private_seg_size, 0
	.set _ZN7rocprim17ROCPRIM_400000_NS6detail17trampoline_kernelINS0_14default_configENS1_25partition_config_selectorILNS1_17partition_subalgoE6EjNS0_10empty_typeEbEEZZNS1_14partition_implILS5_6ELb0ES3_mN6thrust23THRUST_200600_302600_NS6detail15normal_iteratorINSA_10device_ptrIjEEEEPS6_SG_NS0_5tupleIJSF_S6_EEENSH_IJSG_SG_EEES6_PlJNSB_9not_fun_tINSB_14equal_to_valueIjEEEEEEE10hipError_tPvRmT3_T4_T5_T6_T7_T9_mT8_P12ihipStream_tbDpT10_ENKUlT_T0_E_clISt17integral_constantIbLb1EES17_IbLb0EEEEDaS13_S14_EUlS13_E_NS1_11comp_targetILNS1_3genE10ELNS1_11target_archE1200ELNS1_3gpuE4ELNS1_3repE0EEENS1_30default_config_static_selectorELNS0_4arch9wavefront6targetE0EEEvT1_.uses_vcc, 0
	.set _ZN7rocprim17ROCPRIM_400000_NS6detail17trampoline_kernelINS0_14default_configENS1_25partition_config_selectorILNS1_17partition_subalgoE6EjNS0_10empty_typeEbEEZZNS1_14partition_implILS5_6ELb0ES3_mN6thrust23THRUST_200600_302600_NS6detail15normal_iteratorINSA_10device_ptrIjEEEEPS6_SG_NS0_5tupleIJSF_S6_EEENSH_IJSG_SG_EEES6_PlJNSB_9not_fun_tINSB_14equal_to_valueIjEEEEEEE10hipError_tPvRmT3_T4_T5_T6_T7_T9_mT8_P12ihipStream_tbDpT10_ENKUlT_T0_E_clISt17integral_constantIbLb1EES17_IbLb0EEEEDaS13_S14_EUlS13_E_NS1_11comp_targetILNS1_3genE10ELNS1_11target_archE1200ELNS1_3gpuE4ELNS1_3repE0EEENS1_30default_config_static_selectorELNS0_4arch9wavefront6targetE0EEEvT1_.uses_flat_scratch, 0
	.set _ZN7rocprim17ROCPRIM_400000_NS6detail17trampoline_kernelINS0_14default_configENS1_25partition_config_selectorILNS1_17partition_subalgoE6EjNS0_10empty_typeEbEEZZNS1_14partition_implILS5_6ELb0ES3_mN6thrust23THRUST_200600_302600_NS6detail15normal_iteratorINSA_10device_ptrIjEEEEPS6_SG_NS0_5tupleIJSF_S6_EEENSH_IJSG_SG_EEES6_PlJNSB_9not_fun_tINSB_14equal_to_valueIjEEEEEEE10hipError_tPvRmT3_T4_T5_T6_T7_T9_mT8_P12ihipStream_tbDpT10_ENKUlT_T0_E_clISt17integral_constantIbLb1EES17_IbLb0EEEEDaS13_S14_EUlS13_E_NS1_11comp_targetILNS1_3genE10ELNS1_11target_archE1200ELNS1_3gpuE4ELNS1_3repE0EEENS1_30default_config_static_selectorELNS0_4arch9wavefront6targetE0EEEvT1_.has_dyn_sized_stack, 0
	.set _ZN7rocprim17ROCPRIM_400000_NS6detail17trampoline_kernelINS0_14default_configENS1_25partition_config_selectorILNS1_17partition_subalgoE6EjNS0_10empty_typeEbEEZZNS1_14partition_implILS5_6ELb0ES3_mN6thrust23THRUST_200600_302600_NS6detail15normal_iteratorINSA_10device_ptrIjEEEEPS6_SG_NS0_5tupleIJSF_S6_EEENSH_IJSG_SG_EEES6_PlJNSB_9not_fun_tINSB_14equal_to_valueIjEEEEEEE10hipError_tPvRmT3_T4_T5_T6_T7_T9_mT8_P12ihipStream_tbDpT10_ENKUlT_T0_E_clISt17integral_constantIbLb1EES17_IbLb0EEEEDaS13_S14_EUlS13_E_NS1_11comp_targetILNS1_3genE10ELNS1_11target_archE1200ELNS1_3gpuE4ELNS1_3repE0EEENS1_30default_config_static_selectorELNS0_4arch9wavefront6targetE0EEEvT1_.has_recursion, 0
	.set _ZN7rocprim17ROCPRIM_400000_NS6detail17trampoline_kernelINS0_14default_configENS1_25partition_config_selectorILNS1_17partition_subalgoE6EjNS0_10empty_typeEbEEZZNS1_14partition_implILS5_6ELb0ES3_mN6thrust23THRUST_200600_302600_NS6detail15normal_iteratorINSA_10device_ptrIjEEEEPS6_SG_NS0_5tupleIJSF_S6_EEENSH_IJSG_SG_EEES6_PlJNSB_9not_fun_tINSB_14equal_to_valueIjEEEEEEE10hipError_tPvRmT3_T4_T5_T6_T7_T9_mT8_P12ihipStream_tbDpT10_ENKUlT_T0_E_clISt17integral_constantIbLb1EES17_IbLb0EEEEDaS13_S14_EUlS13_E_NS1_11comp_targetILNS1_3genE10ELNS1_11target_archE1200ELNS1_3gpuE4ELNS1_3repE0EEENS1_30default_config_static_selectorELNS0_4arch9wavefront6targetE0EEEvT1_.has_indirect_call, 0
	.section	.AMDGPU.csdata,"",@progbits
; Kernel info:
; codeLenInByte = 4
; TotalNumSgprs: 0
; NumVgprs: 0
; ScratchSize: 0
; MemoryBound: 0
; FloatMode: 240
; IeeeMode: 1
; LDSByteSize: 0 bytes/workgroup (compile time only)
; SGPRBlocks: 0
; VGPRBlocks: 0
; NumSGPRsForWavesPerEU: 1
; NumVGPRsForWavesPerEU: 1
; Occupancy: 16
; WaveLimiterHint : 0
; COMPUTE_PGM_RSRC2:SCRATCH_EN: 0
; COMPUTE_PGM_RSRC2:USER_SGPR: 2
; COMPUTE_PGM_RSRC2:TRAP_HANDLER: 0
; COMPUTE_PGM_RSRC2:TGID_X_EN: 1
; COMPUTE_PGM_RSRC2:TGID_Y_EN: 0
; COMPUTE_PGM_RSRC2:TGID_Z_EN: 0
; COMPUTE_PGM_RSRC2:TIDIG_COMP_CNT: 0
	.section	.text._ZN7rocprim17ROCPRIM_400000_NS6detail17trampoline_kernelINS0_14default_configENS1_25partition_config_selectorILNS1_17partition_subalgoE6EjNS0_10empty_typeEbEEZZNS1_14partition_implILS5_6ELb0ES3_mN6thrust23THRUST_200600_302600_NS6detail15normal_iteratorINSA_10device_ptrIjEEEEPS6_SG_NS0_5tupleIJSF_S6_EEENSH_IJSG_SG_EEES6_PlJNSB_9not_fun_tINSB_14equal_to_valueIjEEEEEEE10hipError_tPvRmT3_T4_T5_T6_T7_T9_mT8_P12ihipStream_tbDpT10_ENKUlT_T0_E_clISt17integral_constantIbLb1EES17_IbLb0EEEEDaS13_S14_EUlS13_E_NS1_11comp_targetILNS1_3genE9ELNS1_11target_archE1100ELNS1_3gpuE3ELNS1_3repE0EEENS1_30default_config_static_selectorELNS0_4arch9wavefront6targetE0EEEvT1_,"axG",@progbits,_ZN7rocprim17ROCPRIM_400000_NS6detail17trampoline_kernelINS0_14default_configENS1_25partition_config_selectorILNS1_17partition_subalgoE6EjNS0_10empty_typeEbEEZZNS1_14partition_implILS5_6ELb0ES3_mN6thrust23THRUST_200600_302600_NS6detail15normal_iteratorINSA_10device_ptrIjEEEEPS6_SG_NS0_5tupleIJSF_S6_EEENSH_IJSG_SG_EEES6_PlJNSB_9not_fun_tINSB_14equal_to_valueIjEEEEEEE10hipError_tPvRmT3_T4_T5_T6_T7_T9_mT8_P12ihipStream_tbDpT10_ENKUlT_T0_E_clISt17integral_constantIbLb1EES17_IbLb0EEEEDaS13_S14_EUlS13_E_NS1_11comp_targetILNS1_3genE9ELNS1_11target_archE1100ELNS1_3gpuE3ELNS1_3repE0EEENS1_30default_config_static_selectorELNS0_4arch9wavefront6targetE0EEEvT1_,comdat
	.protected	_ZN7rocprim17ROCPRIM_400000_NS6detail17trampoline_kernelINS0_14default_configENS1_25partition_config_selectorILNS1_17partition_subalgoE6EjNS0_10empty_typeEbEEZZNS1_14partition_implILS5_6ELb0ES3_mN6thrust23THRUST_200600_302600_NS6detail15normal_iteratorINSA_10device_ptrIjEEEEPS6_SG_NS0_5tupleIJSF_S6_EEENSH_IJSG_SG_EEES6_PlJNSB_9not_fun_tINSB_14equal_to_valueIjEEEEEEE10hipError_tPvRmT3_T4_T5_T6_T7_T9_mT8_P12ihipStream_tbDpT10_ENKUlT_T0_E_clISt17integral_constantIbLb1EES17_IbLb0EEEEDaS13_S14_EUlS13_E_NS1_11comp_targetILNS1_3genE9ELNS1_11target_archE1100ELNS1_3gpuE3ELNS1_3repE0EEENS1_30default_config_static_selectorELNS0_4arch9wavefront6targetE0EEEvT1_ ; -- Begin function _ZN7rocprim17ROCPRIM_400000_NS6detail17trampoline_kernelINS0_14default_configENS1_25partition_config_selectorILNS1_17partition_subalgoE6EjNS0_10empty_typeEbEEZZNS1_14partition_implILS5_6ELb0ES3_mN6thrust23THRUST_200600_302600_NS6detail15normal_iteratorINSA_10device_ptrIjEEEEPS6_SG_NS0_5tupleIJSF_S6_EEENSH_IJSG_SG_EEES6_PlJNSB_9not_fun_tINSB_14equal_to_valueIjEEEEEEE10hipError_tPvRmT3_T4_T5_T6_T7_T9_mT8_P12ihipStream_tbDpT10_ENKUlT_T0_E_clISt17integral_constantIbLb1EES17_IbLb0EEEEDaS13_S14_EUlS13_E_NS1_11comp_targetILNS1_3genE9ELNS1_11target_archE1100ELNS1_3gpuE3ELNS1_3repE0EEENS1_30default_config_static_selectorELNS0_4arch9wavefront6targetE0EEEvT1_
	.globl	_ZN7rocprim17ROCPRIM_400000_NS6detail17trampoline_kernelINS0_14default_configENS1_25partition_config_selectorILNS1_17partition_subalgoE6EjNS0_10empty_typeEbEEZZNS1_14partition_implILS5_6ELb0ES3_mN6thrust23THRUST_200600_302600_NS6detail15normal_iteratorINSA_10device_ptrIjEEEEPS6_SG_NS0_5tupleIJSF_S6_EEENSH_IJSG_SG_EEES6_PlJNSB_9not_fun_tINSB_14equal_to_valueIjEEEEEEE10hipError_tPvRmT3_T4_T5_T6_T7_T9_mT8_P12ihipStream_tbDpT10_ENKUlT_T0_E_clISt17integral_constantIbLb1EES17_IbLb0EEEEDaS13_S14_EUlS13_E_NS1_11comp_targetILNS1_3genE9ELNS1_11target_archE1100ELNS1_3gpuE3ELNS1_3repE0EEENS1_30default_config_static_selectorELNS0_4arch9wavefront6targetE0EEEvT1_
	.p2align	8
	.type	_ZN7rocprim17ROCPRIM_400000_NS6detail17trampoline_kernelINS0_14default_configENS1_25partition_config_selectorILNS1_17partition_subalgoE6EjNS0_10empty_typeEbEEZZNS1_14partition_implILS5_6ELb0ES3_mN6thrust23THRUST_200600_302600_NS6detail15normal_iteratorINSA_10device_ptrIjEEEEPS6_SG_NS0_5tupleIJSF_S6_EEENSH_IJSG_SG_EEES6_PlJNSB_9not_fun_tINSB_14equal_to_valueIjEEEEEEE10hipError_tPvRmT3_T4_T5_T6_T7_T9_mT8_P12ihipStream_tbDpT10_ENKUlT_T0_E_clISt17integral_constantIbLb1EES17_IbLb0EEEEDaS13_S14_EUlS13_E_NS1_11comp_targetILNS1_3genE9ELNS1_11target_archE1100ELNS1_3gpuE3ELNS1_3repE0EEENS1_30default_config_static_selectorELNS0_4arch9wavefront6targetE0EEEvT1_,@function
_ZN7rocprim17ROCPRIM_400000_NS6detail17trampoline_kernelINS0_14default_configENS1_25partition_config_selectorILNS1_17partition_subalgoE6EjNS0_10empty_typeEbEEZZNS1_14partition_implILS5_6ELb0ES3_mN6thrust23THRUST_200600_302600_NS6detail15normal_iteratorINSA_10device_ptrIjEEEEPS6_SG_NS0_5tupleIJSF_S6_EEENSH_IJSG_SG_EEES6_PlJNSB_9not_fun_tINSB_14equal_to_valueIjEEEEEEE10hipError_tPvRmT3_T4_T5_T6_T7_T9_mT8_P12ihipStream_tbDpT10_ENKUlT_T0_E_clISt17integral_constantIbLb1EES17_IbLb0EEEEDaS13_S14_EUlS13_E_NS1_11comp_targetILNS1_3genE9ELNS1_11target_archE1100ELNS1_3gpuE3ELNS1_3repE0EEENS1_30default_config_static_selectorELNS0_4arch9wavefront6targetE0EEEvT1_: ; @_ZN7rocprim17ROCPRIM_400000_NS6detail17trampoline_kernelINS0_14default_configENS1_25partition_config_selectorILNS1_17partition_subalgoE6EjNS0_10empty_typeEbEEZZNS1_14partition_implILS5_6ELb0ES3_mN6thrust23THRUST_200600_302600_NS6detail15normal_iteratorINSA_10device_ptrIjEEEEPS6_SG_NS0_5tupleIJSF_S6_EEENSH_IJSG_SG_EEES6_PlJNSB_9not_fun_tINSB_14equal_to_valueIjEEEEEEE10hipError_tPvRmT3_T4_T5_T6_T7_T9_mT8_P12ihipStream_tbDpT10_ENKUlT_T0_E_clISt17integral_constantIbLb1EES17_IbLb0EEEEDaS13_S14_EUlS13_E_NS1_11comp_targetILNS1_3genE9ELNS1_11target_archE1100ELNS1_3gpuE3ELNS1_3repE0EEENS1_30default_config_static_selectorELNS0_4arch9wavefront6targetE0EEEvT1_
; %bb.0:
	.section	.rodata,"a",@progbits
	.p2align	6, 0x0
	.amdhsa_kernel _ZN7rocprim17ROCPRIM_400000_NS6detail17trampoline_kernelINS0_14default_configENS1_25partition_config_selectorILNS1_17partition_subalgoE6EjNS0_10empty_typeEbEEZZNS1_14partition_implILS5_6ELb0ES3_mN6thrust23THRUST_200600_302600_NS6detail15normal_iteratorINSA_10device_ptrIjEEEEPS6_SG_NS0_5tupleIJSF_S6_EEENSH_IJSG_SG_EEES6_PlJNSB_9not_fun_tINSB_14equal_to_valueIjEEEEEEE10hipError_tPvRmT3_T4_T5_T6_T7_T9_mT8_P12ihipStream_tbDpT10_ENKUlT_T0_E_clISt17integral_constantIbLb1EES17_IbLb0EEEEDaS13_S14_EUlS13_E_NS1_11comp_targetILNS1_3genE9ELNS1_11target_archE1100ELNS1_3gpuE3ELNS1_3repE0EEENS1_30default_config_static_selectorELNS0_4arch9wavefront6targetE0EEEvT1_
		.amdhsa_group_segment_fixed_size 0
		.amdhsa_private_segment_fixed_size 0
		.amdhsa_kernarg_size 120
		.amdhsa_user_sgpr_count 2
		.amdhsa_user_sgpr_dispatch_ptr 0
		.amdhsa_user_sgpr_queue_ptr 0
		.amdhsa_user_sgpr_kernarg_segment_ptr 1
		.amdhsa_user_sgpr_dispatch_id 0
		.amdhsa_user_sgpr_private_segment_size 0
		.amdhsa_wavefront_size32 1
		.amdhsa_uses_dynamic_stack 0
		.amdhsa_enable_private_segment 0
		.amdhsa_system_sgpr_workgroup_id_x 1
		.amdhsa_system_sgpr_workgroup_id_y 0
		.amdhsa_system_sgpr_workgroup_id_z 0
		.amdhsa_system_sgpr_workgroup_info 0
		.amdhsa_system_vgpr_workitem_id 0
		.amdhsa_next_free_vgpr 1
		.amdhsa_next_free_sgpr 1
		.amdhsa_reserve_vcc 0
		.amdhsa_float_round_mode_32 0
		.amdhsa_float_round_mode_16_64 0
		.amdhsa_float_denorm_mode_32 3
		.amdhsa_float_denorm_mode_16_64 3
		.amdhsa_fp16_overflow 0
		.amdhsa_workgroup_processor_mode 1
		.amdhsa_memory_ordered 1
		.amdhsa_forward_progress 1
		.amdhsa_inst_pref_size 0
		.amdhsa_round_robin_scheduling 0
		.amdhsa_exception_fp_ieee_invalid_op 0
		.amdhsa_exception_fp_denorm_src 0
		.amdhsa_exception_fp_ieee_div_zero 0
		.amdhsa_exception_fp_ieee_overflow 0
		.amdhsa_exception_fp_ieee_underflow 0
		.amdhsa_exception_fp_ieee_inexact 0
		.amdhsa_exception_int_div_zero 0
	.end_amdhsa_kernel
	.section	.text._ZN7rocprim17ROCPRIM_400000_NS6detail17trampoline_kernelINS0_14default_configENS1_25partition_config_selectorILNS1_17partition_subalgoE6EjNS0_10empty_typeEbEEZZNS1_14partition_implILS5_6ELb0ES3_mN6thrust23THRUST_200600_302600_NS6detail15normal_iteratorINSA_10device_ptrIjEEEEPS6_SG_NS0_5tupleIJSF_S6_EEENSH_IJSG_SG_EEES6_PlJNSB_9not_fun_tINSB_14equal_to_valueIjEEEEEEE10hipError_tPvRmT3_T4_T5_T6_T7_T9_mT8_P12ihipStream_tbDpT10_ENKUlT_T0_E_clISt17integral_constantIbLb1EES17_IbLb0EEEEDaS13_S14_EUlS13_E_NS1_11comp_targetILNS1_3genE9ELNS1_11target_archE1100ELNS1_3gpuE3ELNS1_3repE0EEENS1_30default_config_static_selectorELNS0_4arch9wavefront6targetE0EEEvT1_,"axG",@progbits,_ZN7rocprim17ROCPRIM_400000_NS6detail17trampoline_kernelINS0_14default_configENS1_25partition_config_selectorILNS1_17partition_subalgoE6EjNS0_10empty_typeEbEEZZNS1_14partition_implILS5_6ELb0ES3_mN6thrust23THRUST_200600_302600_NS6detail15normal_iteratorINSA_10device_ptrIjEEEEPS6_SG_NS0_5tupleIJSF_S6_EEENSH_IJSG_SG_EEES6_PlJNSB_9not_fun_tINSB_14equal_to_valueIjEEEEEEE10hipError_tPvRmT3_T4_T5_T6_T7_T9_mT8_P12ihipStream_tbDpT10_ENKUlT_T0_E_clISt17integral_constantIbLb1EES17_IbLb0EEEEDaS13_S14_EUlS13_E_NS1_11comp_targetILNS1_3genE9ELNS1_11target_archE1100ELNS1_3gpuE3ELNS1_3repE0EEENS1_30default_config_static_selectorELNS0_4arch9wavefront6targetE0EEEvT1_,comdat
.Lfunc_end395:
	.size	_ZN7rocprim17ROCPRIM_400000_NS6detail17trampoline_kernelINS0_14default_configENS1_25partition_config_selectorILNS1_17partition_subalgoE6EjNS0_10empty_typeEbEEZZNS1_14partition_implILS5_6ELb0ES3_mN6thrust23THRUST_200600_302600_NS6detail15normal_iteratorINSA_10device_ptrIjEEEEPS6_SG_NS0_5tupleIJSF_S6_EEENSH_IJSG_SG_EEES6_PlJNSB_9not_fun_tINSB_14equal_to_valueIjEEEEEEE10hipError_tPvRmT3_T4_T5_T6_T7_T9_mT8_P12ihipStream_tbDpT10_ENKUlT_T0_E_clISt17integral_constantIbLb1EES17_IbLb0EEEEDaS13_S14_EUlS13_E_NS1_11comp_targetILNS1_3genE9ELNS1_11target_archE1100ELNS1_3gpuE3ELNS1_3repE0EEENS1_30default_config_static_selectorELNS0_4arch9wavefront6targetE0EEEvT1_, .Lfunc_end395-_ZN7rocprim17ROCPRIM_400000_NS6detail17trampoline_kernelINS0_14default_configENS1_25partition_config_selectorILNS1_17partition_subalgoE6EjNS0_10empty_typeEbEEZZNS1_14partition_implILS5_6ELb0ES3_mN6thrust23THRUST_200600_302600_NS6detail15normal_iteratorINSA_10device_ptrIjEEEEPS6_SG_NS0_5tupleIJSF_S6_EEENSH_IJSG_SG_EEES6_PlJNSB_9not_fun_tINSB_14equal_to_valueIjEEEEEEE10hipError_tPvRmT3_T4_T5_T6_T7_T9_mT8_P12ihipStream_tbDpT10_ENKUlT_T0_E_clISt17integral_constantIbLb1EES17_IbLb0EEEEDaS13_S14_EUlS13_E_NS1_11comp_targetILNS1_3genE9ELNS1_11target_archE1100ELNS1_3gpuE3ELNS1_3repE0EEENS1_30default_config_static_selectorELNS0_4arch9wavefront6targetE0EEEvT1_
                                        ; -- End function
	.set _ZN7rocprim17ROCPRIM_400000_NS6detail17trampoline_kernelINS0_14default_configENS1_25partition_config_selectorILNS1_17partition_subalgoE6EjNS0_10empty_typeEbEEZZNS1_14partition_implILS5_6ELb0ES3_mN6thrust23THRUST_200600_302600_NS6detail15normal_iteratorINSA_10device_ptrIjEEEEPS6_SG_NS0_5tupleIJSF_S6_EEENSH_IJSG_SG_EEES6_PlJNSB_9not_fun_tINSB_14equal_to_valueIjEEEEEEE10hipError_tPvRmT3_T4_T5_T6_T7_T9_mT8_P12ihipStream_tbDpT10_ENKUlT_T0_E_clISt17integral_constantIbLb1EES17_IbLb0EEEEDaS13_S14_EUlS13_E_NS1_11comp_targetILNS1_3genE9ELNS1_11target_archE1100ELNS1_3gpuE3ELNS1_3repE0EEENS1_30default_config_static_selectorELNS0_4arch9wavefront6targetE0EEEvT1_.num_vgpr, 0
	.set _ZN7rocprim17ROCPRIM_400000_NS6detail17trampoline_kernelINS0_14default_configENS1_25partition_config_selectorILNS1_17partition_subalgoE6EjNS0_10empty_typeEbEEZZNS1_14partition_implILS5_6ELb0ES3_mN6thrust23THRUST_200600_302600_NS6detail15normal_iteratorINSA_10device_ptrIjEEEEPS6_SG_NS0_5tupleIJSF_S6_EEENSH_IJSG_SG_EEES6_PlJNSB_9not_fun_tINSB_14equal_to_valueIjEEEEEEE10hipError_tPvRmT3_T4_T5_T6_T7_T9_mT8_P12ihipStream_tbDpT10_ENKUlT_T0_E_clISt17integral_constantIbLb1EES17_IbLb0EEEEDaS13_S14_EUlS13_E_NS1_11comp_targetILNS1_3genE9ELNS1_11target_archE1100ELNS1_3gpuE3ELNS1_3repE0EEENS1_30default_config_static_selectorELNS0_4arch9wavefront6targetE0EEEvT1_.num_agpr, 0
	.set _ZN7rocprim17ROCPRIM_400000_NS6detail17trampoline_kernelINS0_14default_configENS1_25partition_config_selectorILNS1_17partition_subalgoE6EjNS0_10empty_typeEbEEZZNS1_14partition_implILS5_6ELb0ES3_mN6thrust23THRUST_200600_302600_NS6detail15normal_iteratorINSA_10device_ptrIjEEEEPS6_SG_NS0_5tupleIJSF_S6_EEENSH_IJSG_SG_EEES6_PlJNSB_9not_fun_tINSB_14equal_to_valueIjEEEEEEE10hipError_tPvRmT3_T4_T5_T6_T7_T9_mT8_P12ihipStream_tbDpT10_ENKUlT_T0_E_clISt17integral_constantIbLb1EES17_IbLb0EEEEDaS13_S14_EUlS13_E_NS1_11comp_targetILNS1_3genE9ELNS1_11target_archE1100ELNS1_3gpuE3ELNS1_3repE0EEENS1_30default_config_static_selectorELNS0_4arch9wavefront6targetE0EEEvT1_.numbered_sgpr, 0
	.set _ZN7rocprim17ROCPRIM_400000_NS6detail17trampoline_kernelINS0_14default_configENS1_25partition_config_selectorILNS1_17partition_subalgoE6EjNS0_10empty_typeEbEEZZNS1_14partition_implILS5_6ELb0ES3_mN6thrust23THRUST_200600_302600_NS6detail15normal_iteratorINSA_10device_ptrIjEEEEPS6_SG_NS0_5tupleIJSF_S6_EEENSH_IJSG_SG_EEES6_PlJNSB_9not_fun_tINSB_14equal_to_valueIjEEEEEEE10hipError_tPvRmT3_T4_T5_T6_T7_T9_mT8_P12ihipStream_tbDpT10_ENKUlT_T0_E_clISt17integral_constantIbLb1EES17_IbLb0EEEEDaS13_S14_EUlS13_E_NS1_11comp_targetILNS1_3genE9ELNS1_11target_archE1100ELNS1_3gpuE3ELNS1_3repE0EEENS1_30default_config_static_selectorELNS0_4arch9wavefront6targetE0EEEvT1_.num_named_barrier, 0
	.set _ZN7rocprim17ROCPRIM_400000_NS6detail17trampoline_kernelINS0_14default_configENS1_25partition_config_selectorILNS1_17partition_subalgoE6EjNS0_10empty_typeEbEEZZNS1_14partition_implILS5_6ELb0ES3_mN6thrust23THRUST_200600_302600_NS6detail15normal_iteratorINSA_10device_ptrIjEEEEPS6_SG_NS0_5tupleIJSF_S6_EEENSH_IJSG_SG_EEES6_PlJNSB_9not_fun_tINSB_14equal_to_valueIjEEEEEEE10hipError_tPvRmT3_T4_T5_T6_T7_T9_mT8_P12ihipStream_tbDpT10_ENKUlT_T0_E_clISt17integral_constantIbLb1EES17_IbLb0EEEEDaS13_S14_EUlS13_E_NS1_11comp_targetILNS1_3genE9ELNS1_11target_archE1100ELNS1_3gpuE3ELNS1_3repE0EEENS1_30default_config_static_selectorELNS0_4arch9wavefront6targetE0EEEvT1_.private_seg_size, 0
	.set _ZN7rocprim17ROCPRIM_400000_NS6detail17trampoline_kernelINS0_14default_configENS1_25partition_config_selectorILNS1_17partition_subalgoE6EjNS0_10empty_typeEbEEZZNS1_14partition_implILS5_6ELb0ES3_mN6thrust23THRUST_200600_302600_NS6detail15normal_iteratorINSA_10device_ptrIjEEEEPS6_SG_NS0_5tupleIJSF_S6_EEENSH_IJSG_SG_EEES6_PlJNSB_9not_fun_tINSB_14equal_to_valueIjEEEEEEE10hipError_tPvRmT3_T4_T5_T6_T7_T9_mT8_P12ihipStream_tbDpT10_ENKUlT_T0_E_clISt17integral_constantIbLb1EES17_IbLb0EEEEDaS13_S14_EUlS13_E_NS1_11comp_targetILNS1_3genE9ELNS1_11target_archE1100ELNS1_3gpuE3ELNS1_3repE0EEENS1_30default_config_static_selectorELNS0_4arch9wavefront6targetE0EEEvT1_.uses_vcc, 0
	.set _ZN7rocprim17ROCPRIM_400000_NS6detail17trampoline_kernelINS0_14default_configENS1_25partition_config_selectorILNS1_17partition_subalgoE6EjNS0_10empty_typeEbEEZZNS1_14partition_implILS5_6ELb0ES3_mN6thrust23THRUST_200600_302600_NS6detail15normal_iteratorINSA_10device_ptrIjEEEEPS6_SG_NS0_5tupleIJSF_S6_EEENSH_IJSG_SG_EEES6_PlJNSB_9not_fun_tINSB_14equal_to_valueIjEEEEEEE10hipError_tPvRmT3_T4_T5_T6_T7_T9_mT8_P12ihipStream_tbDpT10_ENKUlT_T0_E_clISt17integral_constantIbLb1EES17_IbLb0EEEEDaS13_S14_EUlS13_E_NS1_11comp_targetILNS1_3genE9ELNS1_11target_archE1100ELNS1_3gpuE3ELNS1_3repE0EEENS1_30default_config_static_selectorELNS0_4arch9wavefront6targetE0EEEvT1_.uses_flat_scratch, 0
	.set _ZN7rocprim17ROCPRIM_400000_NS6detail17trampoline_kernelINS0_14default_configENS1_25partition_config_selectorILNS1_17partition_subalgoE6EjNS0_10empty_typeEbEEZZNS1_14partition_implILS5_6ELb0ES3_mN6thrust23THRUST_200600_302600_NS6detail15normal_iteratorINSA_10device_ptrIjEEEEPS6_SG_NS0_5tupleIJSF_S6_EEENSH_IJSG_SG_EEES6_PlJNSB_9not_fun_tINSB_14equal_to_valueIjEEEEEEE10hipError_tPvRmT3_T4_T5_T6_T7_T9_mT8_P12ihipStream_tbDpT10_ENKUlT_T0_E_clISt17integral_constantIbLb1EES17_IbLb0EEEEDaS13_S14_EUlS13_E_NS1_11comp_targetILNS1_3genE9ELNS1_11target_archE1100ELNS1_3gpuE3ELNS1_3repE0EEENS1_30default_config_static_selectorELNS0_4arch9wavefront6targetE0EEEvT1_.has_dyn_sized_stack, 0
	.set _ZN7rocprim17ROCPRIM_400000_NS6detail17trampoline_kernelINS0_14default_configENS1_25partition_config_selectorILNS1_17partition_subalgoE6EjNS0_10empty_typeEbEEZZNS1_14partition_implILS5_6ELb0ES3_mN6thrust23THRUST_200600_302600_NS6detail15normal_iteratorINSA_10device_ptrIjEEEEPS6_SG_NS0_5tupleIJSF_S6_EEENSH_IJSG_SG_EEES6_PlJNSB_9not_fun_tINSB_14equal_to_valueIjEEEEEEE10hipError_tPvRmT3_T4_T5_T6_T7_T9_mT8_P12ihipStream_tbDpT10_ENKUlT_T0_E_clISt17integral_constantIbLb1EES17_IbLb0EEEEDaS13_S14_EUlS13_E_NS1_11comp_targetILNS1_3genE9ELNS1_11target_archE1100ELNS1_3gpuE3ELNS1_3repE0EEENS1_30default_config_static_selectorELNS0_4arch9wavefront6targetE0EEEvT1_.has_recursion, 0
	.set _ZN7rocprim17ROCPRIM_400000_NS6detail17trampoline_kernelINS0_14default_configENS1_25partition_config_selectorILNS1_17partition_subalgoE6EjNS0_10empty_typeEbEEZZNS1_14partition_implILS5_6ELb0ES3_mN6thrust23THRUST_200600_302600_NS6detail15normal_iteratorINSA_10device_ptrIjEEEEPS6_SG_NS0_5tupleIJSF_S6_EEENSH_IJSG_SG_EEES6_PlJNSB_9not_fun_tINSB_14equal_to_valueIjEEEEEEE10hipError_tPvRmT3_T4_T5_T6_T7_T9_mT8_P12ihipStream_tbDpT10_ENKUlT_T0_E_clISt17integral_constantIbLb1EES17_IbLb0EEEEDaS13_S14_EUlS13_E_NS1_11comp_targetILNS1_3genE9ELNS1_11target_archE1100ELNS1_3gpuE3ELNS1_3repE0EEENS1_30default_config_static_selectorELNS0_4arch9wavefront6targetE0EEEvT1_.has_indirect_call, 0
	.section	.AMDGPU.csdata,"",@progbits
; Kernel info:
; codeLenInByte = 0
; TotalNumSgprs: 0
; NumVgprs: 0
; ScratchSize: 0
; MemoryBound: 0
; FloatMode: 240
; IeeeMode: 1
; LDSByteSize: 0 bytes/workgroup (compile time only)
; SGPRBlocks: 0
; VGPRBlocks: 0
; NumSGPRsForWavesPerEU: 1
; NumVGPRsForWavesPerEU: 1
; Occupancy: 16
; WaveLimiterHint : 0
; COMPUTE_PGM_RSRC2:SCRATCH_EN: 0
; COMPUTE_PGM_RSRC2:USER_SGPR: 2
; COMPUTE_PGM_RSRC2:TRAP_HANDLER: 0
; COMPUTE_PGM_RSRC2:TGID_X_EN: 1
; COMPUTE_PGM_RSRC2:TGID_Y_EN: 0
; COMPUTE_PGM_RSRC2:TGID_Z_EN: 0
; COMPUTE_PGM_RSRC2:TIDIG_COMP_CNT: 0
	.section	.text._ZN7rocprim17ROCPRIM_400000_NS6detail17trampoline_kernelINS0_14default_configENS1_25partition_config_selectorILNS1_17partition_subalgoE6EjNS0_10empty_typeEbEEZZNS1_14partition_implILS5_6ELb0ES3_mN6thrust23THRUST_200600_302600_NS6detail15normal_iteratorINSA_10device_ptrIjEEEEPS6_SG_NS0_5tupleIJSF_S6_EEENSH_IJSG_SG_EEES6_PlJNSB_9not_fun_tINSB_14equal_to_valueIjEEEEEEE10hipError_tPvRmT3_T4_T5_T6_T7_T9_mT8_P12ihipStream_tbDpT10_ENKUlT_T0_E_clISt17integral_constantIbLb1EES17_IbLb0EEEEDaS13_S14_EUlS13_E_NS1_11comp_targetILNS1_3genE8ELNS1_11target_archE1030ELNS1_3gpuE2ELNS1_3repE0EEENS1_30default_config_static_selectorELNS0_4arch9wavefront6targetE0EEEvT1_,"axG",@progbits,_ZN7rocprim17ROCPRIM_400000_NS6detail17trampoline_kernelINS0_14default_configENS1_25partition_config_selectorILNS1_17partition_subalgoE6EjNS0_10empty_typeEbEEZZNS1_14partition_implILS5_6ELb0ES3_mN6thrust23THRUST_200600_302600_NS6detail15normal_iteratorINSA_10device_ptrIjEEEEPS6_SG_NS0_5tupleIJSF_S6_EEENSH_IJSG_SG_EEES6_PlJNSB_9not_fun_tINSB_14equal_to_valueIjEEEEEEE10hipError_tPvRmT3_T4_T5_T6_T7_T9_mT8_P12ihipStream_tbDpT10_ENKUlT_T0_E_clISt17integral_constantIbLb1EES17_IbLb0EEEEDaS13_S14_EUlS13_E_NS1_11comp_targetILNS1_3genE8ELNS1_11target_archE1030ELNS1_3gpuE2ELNS1_3repE0EEENS1_30default_config_static_selectorELNS0_4arch9wavefront6targetE0EEEvT1_,comdat
	.protected	_ZN7rocprim17ROCPRIM_400000_NS6detail17trampoline_kernelINS0_14default_configENS1_25partition_config_selectorILNS1_17partition_subalgoE6EjNS0_10empty_typeEbEEZZNS1_14partition_implILS5_6ELb0ES3_mN6thrust23THRUST_200600_302600_NS6detail15normal_iteratorINSA_10device_ptrIjEEEEPS6_SG_NS0_5tupleIJSF_S6_EEENSH_IJSG_SG_EEES6_PlJNSB_9not_fun_tINSB_14equal_to_valueIjEEEEEEE10hipError_tPvRmT3_T4_T5_T6_T7_T9_mT8_P12ihipStream_tbDpT10_ENKUlT_T0_E_clISt17integral_constantIbLb1EES17_IbLb0EEEEDaS13_S14_EUlS13_E_NS1_11comp_targetILNS1_3genE8ELNS1_11target_archE1030ELNS1_3gpuE2ELNS1_3repE0EEENS1_30default_config_static_selectorELNS0_4arch9wavefront6targetE0EEEvT1_ ; -- Begin function _ZN7rocprim17ROCPRIM_400000_NS6detail17trampoline_kernelINS0_14default_configENS1_25partition_config_selectorILNS1_17partition_subalgoE6EjNS0_10empty_typeEbEEZZNS1_14partition_implILS5_6ELb0ES3_mN6thrust23THRUST_200600_302600_NS6detail15normal_iteratorINSA_10device_ptrIjEEEEPS6_SG_NS0_5tupleIJSF_S6_EEENSH_IJSG_SG_EEES6_PlJNSB_9not_fun_tINSB_14equal_to_valueIjEEEEEEE10hipError_tPvRmT3_T4_T5_T6_T7_T9_mT8_P12ihipStream_tbDpT10_ENKUlT_T0_E_clISt17integral_constantIbLb1EES17_IbLb0EEEEDaS13_S14_EUlS13_E_NS1_11comp_targetILNS1_3genE8ELNS1_11target_archE1030ELNS1_3gpuE2ELNS1_3repE0EEENS1_30default_config_static_selectorELNS0_4arch9wavefront6targetE0EEEvT1_
	.globl	_ZN7rocprim17ROCPRIM_400000_NS6detail17trampoline_kernelINS0_14default_configENS1_25partition_config_selectorILNS1_17partition_subalgoE6EjNS0_10empty_typeEbEEZZNS1_14partition_implILS5_6ELb0ES3_mN6thrust23THRUST_200600_302600_NS6detail15normal_iteratorINSA_10device_ptrIjEEEEPS6_SG_NS0_5tupleIJSF_S6_EEENSH_IJSG_SG_EEES6_PlJNSB_9not_fun_tINSB_14equal_to_valueIjEEEEEEE10hipError_tPvRmT3_T4_T5_T6_T7_T9_mT8_P12ihipStream_tbDpT10_ENKUlT_T0_E_clISt17integral_constantIbLb1EES17_IbLb0EEEEDaS13_S14_EUlS13_E_NS1_11comp_targetILNS1_3genE8ELNS1_11target_archE1030ELNS1_3gpuE2ELNS1_3repE0EEENS1_30default_config_static_selectorELNS0_4arch9wavefront6targetE0EEEvT1_
	.p2align	8
	.type	_ZN7rocprim17ROCPRIM_400000_NS6detail17trampoline_kernelINS0_14default_configENS1_25partition_config_selectorILNS1_17partition_subalgoE6EjNS0_10empty_typeEbEEZZNS1_14partition_implILS5_6ELb0ES3_mN6thrust23THRUST_200600_302600_NS6detail15normal_iteratorINSA_10device_ptrIjEEEEPS6_SG_NS0_5tupleIJSF_S6_EEENSH_IJSG_SG_EEES6_PlJNSB_9not_fun_tINSB_14equal_to_valueIjEEEEEEE10hipError_tPvRmT3_T4_T5_T6_T7_T9_mT8_P12ihipStream_tbDpT10_ENKUlT_T0_E_clISt17integral_constantIbLb1EES17_IbLb0EEEEDaS13_S14_EUlS13_E_NS1_11comp_targetILNS1_3genE8ELNS1_11target_archE1030ELNS1_3gpuE2ELNS1_3repE0EEENS1_30default_config_static_selectorELNS0_4arch9wavefront6targetE0EEEvT1_,@function
_ZN7rocprim17ROCPRIM_400000_NS6detail17trampoline_kernelINS0_14default_configENS1_25partition_config_selectorILNS1_17partition_subalgoE6EjNS0_10empty_typeEbEEZZNS1_14partition_implILS5_6ELb0ES3_mN6thrust23THRUST_200600_302600_NS6detail15normal_iteratorINSA_10device_ptrIjEEEEPS6_SG_NS0_5tupleIJSF_S6_EEENSH_IJSG_SG_EEES6_PlJNSB_9not_fun_tINSB_14equal_to_valueIjEEEEEEE10hipError_tPvRmT3_T4_T5_T6_T7_T9_mT8_P12ihipStream_tbDpT10_ENKUlT_T0_E_clISt17integral_constantIbLb1EES17_IbLb0EEEEDaS13_S14_EUlS13_E_NS1_11comp_targetILNS1_3genE8ELNS1_11target_archE1030ELNS1_3gpuE2ELNS1_3repE0EEENS1_30default_config_static_selectorELNS0_4arch9wavefront6targetE0EEEvT1_: ; @_ZN7rocprim17ROCPRIM_400000_NS6detail17trampoline_kernelINS0_14default_configENS1_25partition_config_selectorILNS1_17partition_subalgoE6EjNS0_10empty_typeEbEEZZNS1_14partition_implILS5_6ELb0ES3_mN6thrust23THRUST_200600_302600_NS6detail15normal_iteratorINSA_10device_ptrIjEEEEPS6_SG_NS0_5tupleIJSF_S6_EEENSH_IJSG_SG_EEES6_PlJNSB_9not_fun_tINSB_14equal_to_valueIjEEEEEEE10hipError_tPvRmT3_T4_T5_T6_T7_T9_mT8_P12ihipStream_tbDpT10_ENKUlT_T0_E_clISt17integral_constantIbLb1EES17_IbLb0EEEEDaS13_S14_EUlS13_E_NS1_11comp_targetILNS1_3genE8ELNS1_11target_archE1030ELNS1_3gpuE2ELNS1_3repE0EEENS1_30default_config_static_selectorELNS0_4arch9wavefront6targetE0EEEvT1_
; %bb.0:
	.section	.rodata,"a",@progbits
	.p2align	6, 0x0
	.amdhsa_kernel _ZN7rocprim17ROCPRIM_400000_NS6detail17trampoline_kernelINS0_14default_configENS1_25partition_config_selectorILNS1_17partition_subalgoE6EjNS0_10empty_typeEbEEZZNS1_14partition_implILS5_6ELb0ES3_mN6thrust23THRUST_200600_302600_NS6detail15normal_iteratorINSA_10device_ptrIjEEEEPS6_SG_NS0_5tupleIJSF_S6_EEENSH_IJSG_SG_EEES6_PlJNSB_9not_fun_tINSB_14equal_to_valueIjEEEEEEE10hipError_tPvRmT3_T4_T5_T6_T7_T9_mT8_P12ihipStream_tbDpT10_ENKUlT_T0_E_clISt17integral_constantIbLb1EES17_IbLb0EEEEDaS13_S14_EUlS13_E_NS1_11comp_targetILNS1_3genE8ELNS1_11target_archE1030ELNS1_3gpuE2ELNS1_3repE0EEENS1_30default_config_static_selectorELNS0_4arch9wavefront6targetE0EEEvT1_
		.amdhsa_group_segment_fixed_size 0
		.amdhsa_private_segment_fixed_size 0
		.amdhsa_kernarg_size 120
		.amdhsa_user_sgpr_count 2
		.amdhsa_user_sgpr_dispatch_ptr 0
		.amdhsa_user_sgpr_queue_ptr 0
		.amdhsa_user_sgpr_kernarg_segment_ptr 1
		.amdhsa_user_sgpr_dispatch_id 0
		.amdhsa_user_sgpr_private_segment_size 0
		.amdhsa_wavefront_size32 1
		.amdhsa_uses_dynamic_stack 0
		.amdhsa_enable_private_segment 0
		.amdhsa_system_sgpr_workgroup_id_x 1
		.amdhsa_system_sgpr_workgroup_id_y 0
		.amdhsa_system_sgpr_workgroup_id_z 0
		.amdhsa_system_sgpr_workgroup_info 0
		.amdhsa_system_vgpr_workitem_id 0
		.amdhsa_next_free_vgpr 1
		.amdhsa_next_free_sgpr 1
		.amdhsa_reserve_vcc 0
		.amdhsa_float_round_mode_32 0
		.amdhsa_float_round_mode_16_64 0
		.amdhsa_float_denorm_mode_32 3
		.amdhsa_float_denorm_mode_16_64 3
		.amdhsa_fp16_overflow 0
		.amdhsa_workgroup_processor_mode 1
		.amdhsa_memory_ordered 1
		.amdhsa_forward_progress 1
		.amdhsa_inst_pref_size 0
		.amdhsa_round_robin_scheduling 0
		.amdhsa_exception_fp_ieee_invalid_op 0
		.amdhsa_exception_fp_denorm_src 0
		.amdhsa_exception_fp_ieee_div_zero 0
		.amdhsa_exception_fp_ieee_overflow 0
		.amdhsa_exception_fp_ieee_underflow 0
		.amdhsa_exception_fp_ieee_inexact 0
		.amdhsa_exception_int_div_zero 0
	.end_amdhsa_kernel
	.section	.text._ZN7rocprim17ROCPRIM_400000_NS6detail17trampoline_kernelINS0_14default_configENS1_25partition_config_selectorILNS1_17partition_subalgoE6EjNS0_10empty_typeEbEEZZNS1_14partition_implILS5_6ELb0ES3_mN6thrust23THRUST_200600_302600_NS6detail15normal_iteratorINSA_10device_ptrIjEEEEPS6_SG_NS0_5tupleIJSF_S6_EEENSH_IJSG_SG_EEES6_PlJNSB_9not_fun_tINSB_14equal_to_valueIjEEEEEEE10hipError_tPvRmT3_T4_T5_T6_T7_T9_mT8_P12ihipStream_tbDpT10_ENKUlT_T0_E_clISt17integral_constantIbLb1EES17_IbLb0EEEEDaS13_S14_EUlS13_E_NS1_11comp_targetILNS1_3genE8ELNS1_11target_archE1030ELNS1_3gpuE2ELNS1_3repE0EEENS1_30default_config_static_selectorELNS0_4arch9wavefront6targetE0EEEvT1_,"axG",@progbits,_ZN7rocprim17ROCPRIM_400000_NS6detail17trampoline_kernelINS0_14default_configENS1_25partition_config_selectorILNS1_17partition_subalgoE6EjNS0_10empty_typeEbEEZZNS1_14partition_implILS5_6ELb0ES3_mN6thrust23THRUST_200600_302600_NS6detail15normal_iteratorINSA_10device_ptrIjEEEEPS6_SG_NS0_5tupleIJSF_S6_EEENSH_IJSG_SG_EEES6_PlJNSB_9not_fun_tINSB_14equal_to_valueIjEEEEEEE10hipError_tPvRmT3_T4_T5_T6_T7_T9_mT8_P12ihipStream_tbDpT10_ENKUlT_T0_E_clISt17integral_constantIbLb1EES17_IbLb0EEEEDaS13_S14_EUlS13_E_NS1_11comp_targetILNS1_3genE8ELNS1_11target_archE1030ELNS1_3gpuE2ELNS1_3repE0EEENS1_30default_config_static_selectorELNS0_4arch9wavefront6targetE0EEEvT1_,comdat
.Lfunc_end396:
	.size	_ZN7rocprim17ROCPRIM_400000_NS6detail17trampoline_kernelINS0_14default_configENS1_25partition_config_selectorILNS1_17partition_subalgoE6EjNS0_10empty_typeEbEEZZNS1_14partition_implILS5_6ELb0ES3_mN6thrust23THRUST_200600_302600_NS6detail15normal_iteratorINSA_10device_ptrIjEEEEPS6_SG_NS0_5tupleIJSF_S6_EEENSH_IJSG_SG_EEES6_PlJNSB_9not_fun_tINSB_14equal_to_valueIjEEEEEEE10hipError_tPvRmT3_T4_T5_T6_T7_T9_mT8_P12ihipStream_tbDpT10_ENKUlT_T0_E_clISt17integral_constantIbLb1EES17_IbLb0EEEEDaS13_S14_EUlS13_E_NS1_11comp_targetILNS1_3genE8ELNS1_11target_archE1030ELNS1_3gpuE2ELNS1_3repE0EEENS1_30default_config_static_selectorELNS0_4arch9wavefront6targetE0EEEvT1_, .Lfunc_end396-_ZN7rocprim17ROCPRIM_400000_NS6detail17trampoline_kernelINS0_14default_configENS1_25partition_config_selectorILNS1_17partition_subalgoE6EjNS0_10empty_typeEbEEZZNS1_14partition_implILS5_6ELb0ES3_mN6thrust23THRUST_200600_302600_NS6detail15normal_iteratorINSA_10device_ptrIjEEEEPS6_SG_NS0_5tupleIJSF_S6_EEENSH_IJSG_SG_EEES6_PlJNSB_9not_fun_tINSB_14equal_to_valueIjEEEEEEE10hipError_tPvRmT3_T4_T5_T6_T7_T9_mT8_P12ihipStream_tbDpT10_ENKUlT_T0_E_clISt17integral_constantIbLb1EES17_IbLb0EEEEDaS13_S14_EUlS13_E_NS1_11comp_targetILNS1_3genE8ELNS1_11target_archE1030ELNS1_3gpuE2ELNS1_3repE0EEENS1_30default_config_static_selectorELNS0_4arch9wavefront6targetE0EEEvT1_
                                        ; -- End function
	.set _ZN7rocprim17ROCPRIM_400000_NS6detail17trampoline_kernelINS0_14default_configENS1_25partition_config_selectorILNS1_17partition_subalgoE6EjNS0_10empty_typeEbEEZZNS1_14partition_implILS5_6ELb0ES3_mN6thrust23THRUST_200600_302600_NS6detail15normal_iteratorINSA_10device_ptrIjEEEEPS6_SG_NS0_5tupleIJSF_S6_EEENSH_IJSG_SG_EEES6_PlJNSB_9not_fun_tINSB_14equal_to_valueIjEEEEEEE10hipError_tPvRmT3_T4_T5_T6_T7_T9_mT8_P12ihipStream_tbDpT10_ENKUlT_T0_E_clISt17integral_constantIbLb1EES17_IbLb0EEEEDaS13_S14_EUlS13_E_NS1_11comp_targetILNS1_3genE8ELNS1_11target_archE1030ELNS1_3gpuE2ELNS1_3repE0EEENS1_30default_config_static_selectorELNS0_4arch9wavefront6targetE0EEEvT1_.num_vgpr, 0
	.set _ZN7rocprim17ROCPRIM_400000_NS6detail17trampoline_kernelINS0_14default_configENS1_25partition_config_selectorILNS1_17partition_subalgoE6EjNS0_10empty_typeEbEEZZNS1_14partition_implILS5_6ELb0ES3_mN6thrust23THRUST_200600_302600_NS6detail15normal_iteratorINSA_10device_ptrIjEEEEPS6_SG_NS0_5tupleIJSF_S6_EEENSH_IJSG_SG_EEES6_PlJNSB_9not_fun_tINSB_14equal_to_valueIjEEEEEEE10hipError_tPvRmT3_T4_T5_T6_T7_T9_mT8_P12ihipStream_tbDpT10_ENKUlT_T0_E_clISt17integral_constantIbLb1EES17_IbLb0EEEEDaS13_S14_EUlS13_E_NS1_11comp_targetILNS1_3genE8ELNS1_11target_archE1030ELNS1_3gpuE2ELNS1_3repE0EEENS1_30default_config_static_selectorELNS0_4arch9wavefront6targetE0EEEvT1_.num_agpr, 0
	.set _ZN7rocprim17ROCPRIM_400000_NS6detail17trampoline_kernelINS0_14default_configENS1_25partition_config_selectorILNS1_17partition_subalgoE6EjNS0_10empty_typeEbEEZZNS1_14partition_implILS5_6ELb0ES3_mN6thrust23THRUST_200600_302600_NS6detail15normal_iteratorINSA_10device_ptrIjEEEEPS6_SG_NS0_5tupleIJSF_S6_EEENSH_IJSG_SG_EEES6_PlJNSB_9not_fun_tINSB_14equal_to_valueIjEEEEEEE10hipError_tPvRmT3_T4_T5_T6_T7_T9_mT8_P12ihipStream_tbDpT10_ENKUlT_T0_E_clISt17integral_constantIbLb1EES17_IbLb0EEEEDaS13_S14_EUlS13_E_NS1_11comp_targetILNS1_3genE8ELNS1_11target_archE1030ELNS1_3gpuE2ELNS1_3repE0EEENS1_30default_config_static_selectorELNS0_4arch9wavefront6targetE0EEEvT1_.numbered_sgpr, 0
	.set _ZN7rocprim17ROCPRIM_400000_NS6detail17trampoline_kernelINS0_14default_configENS1_25partition_config_selectorILNS1_17partition_subalgoE6EjNS0_10empty_typeEbEEZZNS1_14partition_implILS5_6ELb0ES3_mN6thrust23THRUST_200600_302600_NS6detail15normal_iteratorINSA_10device_ptrIjEEEEPS6_SG_NS0_5tupleIJSF_S6_EEENSH_IJSG_SG_EEES6_PlJNSB_9not_fun_tINSB_14equal_to_valueIjEEEEEEE10hipError_tPvRmT3_T4_T5_T6_T7_T9_mT8_P12ihipStream_tbDpT10_ENKUlT_T0_E_clISt17integral_constantIbLb1EES17_IbLb0EEEEDaS13_S14_EUlS13_E_NS1_11comp_targetILNS1_3genE8ELNS1_11target_archE1030ELNS1_3gpuE2ELNS1_3repE0EEENS1_30default_config_static_selectorELNS0_4arch9wavefront6targetE0EEEvT1_.num_named_barrier, 0
	.set _ZN7rocprim17ROCPRIM_400000_NS6detail17trampoline_kernelINS0_14default_configENS1_25partition_config_selectorILNS1_17partition_subalgoE6EjNS0_10empty_typeEbEEZZNS1_14partition_implILS5_6ELb0ES3_mN6thrust23THRUST_200600_302600_NS6detail15normal_iteratorINSA_10device_ptrIjEEEEPS6_SG_NS0_5tupleIJSF_S6_EEENSH_IJSG_SG_EEES6_PlJNSB_9not_fun_tINSB_14equal_to_valueIjEEEEEEE10hipError_tPvRmT3_T4_T5_T6_T7_T9_mT8_P12ihipStream_tbDpT10_ENKUlT_T0_E_clISt17integral_constantIbLb1EES17_IbLb0EEEEDaS13_S14_EUlS13_E_NS1_11comp_targetILNS1_3genE8ELNS1_11target_archE1030ELNS1_3gpuE2ELNS1_3repE0EEENS1_30default_config_static_selectorELNS0_4arch9wavefront6targetE0EEEvT1_.private_seg_size, 0
	.set _ZN7rocprim17ROCPRIM_400000_NS6detail17trampoline_kernelINS0_14default_configENS1_25partition_config_selectorILNS1_17partition_subalgoE6EjNS0_10empty_typeEbEEZZNS1_14partition_implILS5_6ELb0ES3_mN6thrust23THRUST_200600_302600_NS6detail15normal_iteratorINSA_10device_ptrIjEEEEPS6_SG_NS0_5tupleIJSF_S6_EEENSH_IJSG_SG_EEES6_PlJNSB_9not_fun_tINSB_14equal_to_valueIjEEEEEEE10hipError_tPvRmT3_T4_T5_T6_T7_T9_mT8_P12ihipStream_tbDpT10_ENKUlT_T0_E_clISt17integral_constantIbLb1EES17_IbLb0EEEEDaS13_S14_EUlS13_E_NS1_11comp_targetILNS1_3genE8ELNS1_11target_archE1030ELNS1_3gpuE2ELNS1_3repE0EEENS1_30default_config_static_selectorELNS0_4arch9wavefront6targetE0EEEvT1_.uses_vcc, 0
	.set _ZN7rocprim17ROCPRIM_400000_NS6detail17trampoline_kernelINS0_14default_configENS1_25partition_config_selectorILNS1_17partition_subalgoE6EjNS0_10empty_typeEbEEZZNS1_14partition_implILS5_6ELb0ES3_mN6thrust23THRUST_200600_302600_NS6detail15normal_iteratorINSA_10device_ptrIjEEEEPS6_SG_NS0_5tupleIJSF_S6_EEENSH_IJSG_SG_EEES6_PlJNSB_9not_fun_tINSB_14equal_to_valueIjEEEEEEE10hipError_tPvRmT3_T4_T5_T6_T7_T9_mT8_P12ihipStream_tbDpT10_ENKUlT_T0_E_clISt17integral_constantIbLb1EES17_IbLb0EEEEDaS13_S14_EUlS13_E_NS1_11comp_targetILNS1_3genE8ELNS1_11target_archE1030ELNS1_3gpuE2ELNS1_3repE0EEENS1_30default_config_static_selectorELNS0_4arch9wavefront6targetE0EEEvT1_.uses_flat_scratch, 0
	.set _ZN7rocprim17ROCPRIM_400000_NS6detail17trampoline_kernelINS0_14default_configENS1_25partition_config_selectorILNS1_17partition_subalgoE6EjNS0_10empty_typeEbEEZZNS1_14partition_implILS5_6ELb0ES3_mN6thrust23THRUST_200600_302600_NS6detail15normal_iteratorINSA_10device_ptrIjEEEEPS6_SG_NS0_5tupleIJSF_S6_EEENSH_IJSG_SG_EEES6_PlJNSB_9not_fun_tINSB_14equal_to_valueIjEEEEEEE10hipError_tPvRmT3_T4_T5_T6_T7_T9_mT8_P12ihipStream_tbDpT10_ENKUlT_T0_E_clISt17integral_constantIbLb1EES17_IbLb0EEEEDaS13_S14_EUlS13_E_NS1_11comp_targetILNS1_3genE8ELNS1_11target_archE1030ELNS1_3gpuE2ELNS1_3repE0EEENS1_30default_config_static_selectorELNS0_4arch9wavefront6targetE0EEEvT1_.has_dyn_sized_stack, 0
	.set _ZN7rocprim17ROCPRIM_400000_NS6detail17trampoline_kernelINS0_14default_configENS1_25partition_config_selectorILNS1_17partition_subalgoE6EjNS0_10empty_typeEbEEZZNS1_14partition_implILS5_6ELb0ES3_mN6thrust23THRUST_200600_302600_NS6detail15normal_iteratorINSA_10device_ptrIjEEEEPS6_SG_NS0_5tupleIJSF_S6_EEENSH_IJSG_SG_EEES6_PlJNSB_9not_fun_tINSB_14equal_to_valueIjEEEEEEE10hipError_tPvRmT3_T4_T5_T6_T7_T9_mT8_P12ihipStream_tbDpT10_ENKUlT_T0_E_clISt17integral_constantIbLb1EES17_IbLb0EEEEDaS13_S14_EUlS13_E_NS1_11comp_targetILNS1_3genE8ELNS1_11target_archE1030ELNS1_3gpuE2ELNS1_3repE0EEENS1_30default_config_static_selectorELNS0_4arch9wavefront6targetE0EEEvT1_.has_recursion, 0
	.set _ZN7rocprim17ROCPRIM_400000_NS6detail17trampoline_kernelINS0_14default_configENS1_25partition_config_selectorILNS1_17partition_subalgoE6EjNS0_10empty_typeEbEEZZNS1_14partition_implILS5_6ELb0ES3_mN6thrust23THRUST_200600_302600_NS6detail15normal_iteratorINSA_10device_ptrIjEEEEPS6_SG_NS0_5tupleIJSF_S6_EEENSH_IJSG_SG_EEES6_PlJNSB_9not_fun_tINSB_14equal_to_valueIjEEEEEEE10hipError_tPvRmT3_T4_T5_T6_T7_T9_mT8_P12ihipStream_tbDpT10_ENKUlT_T0_E_clISt17integral_constantIbLb1EES17_IbLb0EEEEDaS13_S14_EUlS13_E_NS1_11comp_targetILNS1_3genE8ELNS1_11target_archE1030ELNS1_3gpuE2ELNS1_3repE0EEENS1_30default_config_static_selectorELNS0_4arch9wavefront6targetE0EEEvT1_.has_indirect_call, 0
	.section	.AMDGPU.csdata,"",@progbits
; Kernel info:
; codeLenInByte = 0
; TotalNumSgprs: 0
; NumVgprs: 0
; ScratchSize: 0
; MemoryBound: 0
; FloatMode: 240
; IeeeMode: 1
; LDSByteSize: 0 bytes/workgroup (compile time only)
; SGPRBlocks: 0
; VGPRBlocks: 0
; NumSGPRsForWavesPerEU: 1
; NumVGPRsForWavesPerEU: 1
; Occupancy: 16
; WaveLimiterHint : 0
; COMPUTE_PGM_RSRC2:SCRATCH_EN: 0
; COMPUTE_PGM_RSRC2:USER_SGPR: 2
; COMPUTE_PGM_RSRC2:TRAP_HANDLER: 0
; COMPUTE_PGM_RSRC2:TGID_X_EN: 1
; COMPUTE_PGM_RSRC2:TGID_Y_EN: 0
; COMPUTE_PGM_RSRC2:TGID_Z_EN: 0
; COMPUTE_PGM_RSRC2:TIDIG_COMP_CNT: 0
	.section	.text._ZN7rocprim17ROCPRIM_400000_NS6detail17trampoline_kernelINS0_14default_configENS1_25partition_config_selectorILNS1_17partition_subalgoE6EjNS0_10empty_typeEbEEZZNS1_14partition_implILS5_6ELb0ES3_mN6thrust23THRUST_200600_302600_NS6detail15normal_iteratorINSA_10device_ptrIjEEEEPS6_SG_NS0_5tupleIJSF_S6_EEENSH_IJSG_SG_EEES6_PlJNSB_9not_fun_tINSB_14equal_to_valueIjEEEEEEE10hipError_tPvRmT3_T4_T5_T6_T7_T9_mT8_P12ihipStream_tbDpT10_ENKUlT_T0_E_clISt17integral_constantIbLb0EES17_IbLb1EEEEDaS13_S14_EUlS13_E_NS1_11comp_targetILNS1_3genE0ELNS1_11target_archE4294967295ELNS1_3gpuE0ELNS1_3repE0EEENS1_30default_config_static_selectorELNS0_4arch9wavefront6targetE0EEEvT1_,"axG",@progbits,_ZN7rocprim17ROCPRIM_400000_NS6detail17trampoline_kernelINS0_14default_configENS1_25partition_config_selectorILNS1_17partition_subalgoE6EjNS0_10empty_typeEbEEZZNS1_14partition_implILS5_6ELb0ES3_mN6thrust23THRUST_200600_302600_NS6detail15normal_iteratorINSA_10device_ptrIjEEEEPS6_SG_NS0_5tupleIJSF_S6_EEENSH_IJSG_SG_EEES6_PlJNSB_9not_fun_tINSB_14equal_to_valueIjEEEEEEE10hipError_tPvRmT3_T4_T5_T6_T7_T9_mT8_P12ihipStream_tbDpT10_ENKUlT_T0_E_clISt17integral_constantIbLb0EES17_IbLb1EEEEDaS13_S14_EUlS13_E_NS1_11comp_targetILNS1_3genE0ELNS1_11target_archE4294967295ELNS1_3gpuE0ELNS1_3repE0EEENS1_30default_config_static_selectorELNS0_4arch9wavefront6targetE0EEEvT1_,comdat
	.protected	_ZN7rocprim17ROCPRIM_400000_NS6detail17trampoline_kernelINS0_14default_configENS1_25partition_config_selectorILNS1_17partition_subalgoE6EjNS0_10empty_typeEbEEZZNS1_14partition_implILS5_6ELb0ES3_mN6thrust23THRUST_200600_302600_NS6detail15normal_iteratorINSA_10device_ptrIjEEEEPS6_SG_NS0_5tupleIJSF_S6_EEENSH_IJSG_SG_EEES6_PlJNSB_9not_fun_tINSB_14equal_to_valueIjEEEEEEE10hipError_tPvRmT3_T4_T5_T6_T7_T9_mT8_P12ihipStream_tbDpT10_ENKUlT_T0_E_clISt17integral_constantIbLb0EES17_IbLb1EEEEDaS13_S14_EUlS13_E_NS1_11comp_targetILNS1_3genE0ELNS1_11target_archE4294967295ELNS1_3gpuE0ELNS1_3repE0EEENS1_30default_config_static_selectorELNS0_4arch9wavefront6targetE0EEEvT1_ ; -- Begin function _ZN7rocprim17ROCPRIM_400000_NS6detail17trampoline_kernelINS0_14default_configENS1_25partition_config_selectorILNS1_17partition_subalgoE6EjNS0_10empty_typeEbEEZZNS1_14partition_implILS5_6ELb0ES3_mN6thrust23THRUST_200600_302600_NS6detail15normal_iteratorINSA_10device_ptrIjEEEEPS6_SG_NS0_5tupleIJSF_S6_EEENSH_IJSG_SG_EEES6_PlJNSB_9not_fun_tINSB_14equal_to_valueIjEEEEEEE10hipError_tPvRmT3_T4_T5_T6_T7_T9_mT8_P12ihipStream_tbDpT10_ENKUlT_T0_E_clISt17integral_constantIbLb0EES17_IbLb1EEEEDaS13_S14_EUlS13_E_NS1_11comp_targetILNS1_3genE0ELNS1_11target_archE4294967295ELNS1_3gpuE0ELNS1_3repE0EEENS1_30default_config_static_selectorELNS0_4arch9wavefront6targetE0EEEvT1_
	.globl	_ZN7rocprim17ROCPRIM_400000_NS6detail17trampoline_kernelINS0_14default_configENS1_25partition_config_selectorILNS1_17partition_subalgoE6EjNS0_10empty_typeEbEEZZNS1_14partition_implILS5_6ELb0ES3_mN6thrust23THRUST_200600_302600_NS6detail15normal_iteratorINSA_10device_ptrIjEEEEPS6_SG_NS0_5tupleIJSF_S6_EEENSH_IJSG_SG_EEES6_PlJNSB_9not_fun_tINSB_14equal_to_valueIjEEEEEEE10hipError_tPvRmT3_T4_T5_T6_T7_T9_mT8_P12ihipStream_tbDpT10_ENKUlT_T0_E_clISt17integral_constantIbLb0EES17_IbLb1EEEEDaS13_S14_EUlS13_E_NS1_11comp_targetILNS1_3genE0ELNS1_11target_archE4294967295ELNS1_3gpuE0ELNS1_3repE0EEENS1_30default_config_static_selectorELNS0_4arch9wavefront6targetE0EEEvT1_
	.p2align	8
	.type	_ZN7rocprim17ROCPRIM_400000_NS6detail17trampoline_kernelINS0_14default_configENS1_25partition_config_selectorILNS1_17partition_subalgoE6EjNS0_10empty_typeEbEEZZNS1_14partition_implILS5_6ELb0ES3_mN6thrust23THRUST_200600_302600_NS6detail15normal_iteratorINSA_10device_ptrIjEEEEPS6_SG_NS0_5tupleIJSF_S6_EEENSH_IJSG_SG_EEES6_PlJNSB_9not_fun_tINSB_14equal_to_valueIjEEEEEEE10hipError_tPvRmT3_T4_T5_T6_T7_T9_mT8_P12ihipStream_tbDpT10_ENKUlT_T0_E_clISt17integral_constantIbLb0EES17_IbLb1EEEEDaS13_S14_EUlS13_E_NS1_11comp_targetILNS1_3genE0ELNS1_11target_archE4294967295ELNS1_3gpuE0ELNS1_3repE0EEENS1_30default_config_static_selectorELNS0_4arch9wavefront6targetE0EEEvT1_,@function
_ZN7rocprim17ROCPRIM_400000_NS6detail17trampoline_kernelINS0_14default_configENS1_25partition_config_selectorILNS1_17partition_subalgoE6EjNS0_10empty_typeEbEEZZNS1_14partition_implILS5_6ELb0ES3_mN6thrust23THRUST_200600_302600_NS6detail15normal_iteratorINSA_10device_ptrIjEEEEPS6_SG_NS0_5tupleIJSF_S6_EEENSH_IJSG_SG_EEES6_PlJNSB_9not_fun_tINSB_14equal_to_valueIjEEEEEEE10hipError_tPvRmT3_T4_T5_T6_T7_T9_mT8_P12ihipStream_tbDpT10_ENKUlT_T0_E_clISt17integral_constantIbLb0EES17_IbLb1EEEEDaS13_S14_EUlS13_E_NS1_11comp_targetILNS1_3genE0ELNS1_11target_archE4294967295ELNS1_3gpuE0ELNS1_3repE0EEENS1_30default_config_static_selectorELNS0_4arch9wavefront6targetE0EEEvT1_: ; @_ZN7rocprim17ROCPRIM_400000_NS6detail17trampoline_kernelINS0_14default_configENS1_25partition_config_selectorILNS1_17partition_subalgoE6EjNS0_10empty_typeEbEEZZNS1_14partition_implILS5_6ELb0ES3_mN6thrust23THRUST_200600_302600_NS6detail15normal_iteratorINSA_10device_ptrIjEEEEPS6_SG_NS0_5tupleIJSF_S6_EEENSH_IJSG_SG_EEES6_PlJNSB_9not_fun_tINSB_14equal_to_valueIjEEEEEEE10hipError_tPvRmT3_T4_T5_T6_T7_T9_mT8_P12ihipStream_tbDpT10_ENKUlT_T0_E_clISt17integral_constantIbLb0EES17_IbLb1EEEEDaS13_S14_EUlS13_E_NS1_11comp_targetILNS1_3genE0ELNS1_11target_archE4294967295ELNS1_3gpuE0ELNS1_3repE0EEENS1_30default_config_static_selectorELNS0_4arch9wavefront6targetE0EEEvT1_
; %bb.0:
	.section	.rodata,"a",@progbits
	.p2align	6, 0x0
	.amdhsa_kernel _ZN7rocprim17ROCPRIM_400000_NS6detail17trampoline_kernelINS0_14default_configENS1_25partition_config_selectorILNS1_17partition_subalgoE6EjNS0_10empty_typeEbEEZZNS1_14partition_implILS5_6ELb0ES3_mN6thrust23THRUST_200600_302600_NS6detail15normal_iteratorINSA_10device_ptrIjEEEEPS6_SG_NS0_5tupleIJSF_S6_EEENSH_IJSG_SG_EEES6_PlJNSB_9not_fun_tINSB_14equal_to_valueIjEEEEEEE10hipError_tPvRmT3_T4_T5_T6_T7_T9_mT8_P12ihipStream_tbDpT10_ENKUlT_T0_E_clISt17integral_constantIbLb0EES17_IbLb1EEEEDaS13_S14_EUlS13_E_NS1_11comp_targetILNS1_3genE0ELNS1_11target_archE4294967295ELNS1_3gpuE0ELNS1_3repE0EEENS1_30default_config_static_selectorELNS0_4arch9wavefront6targetE0EEEvT1_
		.amdhsa_group_segment_fixed_size 0
		.amdhsa_private_segment_fixed_size 0
		.amdhsa_kernarg_size 128
		.amdhsa_user_sgpr_count 2
		.amdhsa_user_sgpr_dispatch_ptr 0
		.amdhsa_user_sgpr_queue_ptr 0
		.amdhsa_user_sgpr_kernarg_segment_ptr 1
		.amdhsa_user_sgpr_dispatch_id 0
		.amdhsa_user_sgpr_private_segment_size 0
		.amdhsa_wavefront_size32 1
		.amdhsa_uses_dynamic_stack 0
		.amdhsa_enable_private_segment 0
		.amdhsa_system_sgpr_workgroup_id_x 1
		.amdhsa_system_sgpr_workgroup_id_y 0
		.amdhsa_system_sgpr_workgroup_id_z 0
		.amdhsa_system_sgpr_workgroup_info 0
		.amdhsa_system_vgpr_workitem_id 0
		.amdhsa_next_free_vgpr 1
		.amdhsa_next_free_sgpr 1
		.amdhsa_reserve_vcc 0
		.amdhsa_float_round_mode_32 0
		.amdhsa_float_round_mode_16_64 0
		.amdhsa_float_denorm_mode_32 3
		.amdhsa_float_denorm_mode_16_64 3
		.amdhsa_fp16_overflow 0
		.amdhsa_workgroup_processor_mode 1
		.amdhsa_memory_ordered 1
		.amdhsa_forward_progress 1
		.amdhsa_inst_pref_size 0
		.amdhsa_round_robin_scheduling 0
		.amdhsa_exception_fp_ieee_invalid_op 0
		.amdhsa_exception_fp_denorm_src 0
		.amdhsa_exception_fp_ieee_div_zero 0
		.amdhsa_exception_fp_ieee_overflow 0
		.amdhsa_exception_fp_ieee_underflow 0
		.amdhsa_exception_fp_ieee_inexact 0
		.amdhsa_exception_int_div_zero 0
	.end_amdhsa_kernel
	.section	.text._ZN7rocprim17ROCPRIM_400000_NS6detail17trampoline_kernelINS0_14default_configENS1_25partition_config_selectorILNS1_17partition_subalgoE6EjNS0_10empty_typeEbEEZZNS1_14partition_implILS5_6ELb0ES3_mN6thrust23THRUST_200600_302600_NS6detail15normal_iteratorINSA_10device_ptrIjEEEEPS6_SG_NS0_5tupleIJSF_S6_EEENSH_IJSG_SG_EEES6_PlJNSB_9not_fun_tINSB_14equal_to_valueIjEEEEEEE10hipError_tPvRmT3_T4_T5_T6_T7_T9_mT8_P12ihipStream_tbDpT10_ENKUlT_T0_E_clISt17integral_constantIbLb0EES17_IbLb1EEEEDaS13_S14_EUlS13_E_NS1_11comp_targetILNS1_3genE0ELNS1_11target_archE4294967295ELNS1_3gpuE0ELNS1_3repE0EEENS1_30default_config_static_selectorELNS0_4arch9wavefront6targetE0EEEvT1_,"axG",@progbits,_ZN7rocprim17ROCPRIM_400000_NS6detail17trampoline_kernelINS0_14default_configENS1_25partition_config_selectorILNS1_17partition_subalgoE6EjNS0_10empty_typeEbEEZZNS1_14partition_implILS5_6ELb0ES3_mN6thrust23THRUST_200600_302600_NS6detail15normal_iteratorINSA_10device_ptrIjEEEEPS6_SG_NS0_5tupleIJSF_S6_EEENSH_IJSG_SG_EEES6_PlJNSB_9not_fun_tINSB_14equal_to_valueIjEEEEEEE10hipError_tPvRmT3_T4_T5_T6_T7_T9_mT8_P12ihipStream_tbDpT10_ENKUlT_T0_E_clISt17integral_constantIbLb0EES17_IbLb1EEEEDaS13_S14_EUlS13_E_NS1_11comp_targetILNS1_3genE0ELNS1_11target_archE4294967295ELNS1_3gpuE0ELNS1_3repE0EEENS1_30default_config_static_selectorELNS0_4arch9wavefront6targetE0EEEvT1_,comdat
.Lfunc_end397:
	.size	_ZN7rocprim17ROCPRIM_400000_NS6detail17trampoline_kernelINS0_14default_configENS1_25partition_config_selectorILNS1_17partition_subalgoE6EjNS0_10empty_typeEbEEZZNS1_14partition_implILS5_6ELb0ES3_mN6thrust23THRUST_200600_302600_NS6detail15normal_iteratorINSA_10device_ptrIjEEEEPS6_SG_NS0_5tupleIJSF_S6_EEENSH_IJSG_SG_EEES6_PlJNSB_9not_fun_tINSB_14equal_to_valueIjEEEEEEE10hipError_tPvRmT3_T4_T5_T6_T7_T9_mT8_P12ihipStream_tbDpT10_ENKUlT_T0_E_clISt17integral_constantIbLb0EES17_IbLb1EEEEDaS13_S14_EUlS13_E_NS1_11comp_targetILNS1_3genE0ELNS1_11target_archE4294967295ELNS1_3gpuE0ELNS1_3repE0EEENS1_30default_config_static_selectorELNS0_4arch9wavefront6targetE0EEEvT1_, .Lfunc_end397-_ZN7rocprim17ROCPRIM_400000_NS6detail17trampoline_kernelINS0_14default_configENS1_25partition_config_selectorILNS1_17partition_subalgoE6EjNS0_10empty_typeEbEEZZNS1_14partition_implILS5_6ELb0ES3_mN6thrust23THRUST_200600_302600_NS6detail15normal_iteratorINSA_10device_ptrIjEEEEPS6_SG_NS0_5tupleIJSF_S6_EEENSH_IJSG_SG_EEES6_PlJNSB_9not_fun_tINSB_14equal_to_valueIjEEEEEEE10hipError_tPvRmT3_T4_T5_T6_T7_T9_mT8_P12ihipStream_tbDpT10_ENKUlT_T0_E_clISt17integral_constantIbLb0EES17_IbLb1EEEEDaS13_S14_EUlS13_E_NS1_11comp_targetILNS1_3genE0ELNS1_11target_archE4294967295ELNS1_3gpuE0ELNS1_3repE0EEENS1_30default_config_static_selectorELNS0_4arch9wavefront6targetE0EEEvT1_
                                        ; -- End function
	.set _ZN7rocprim17ROCPRIM_400000_NS6detail17trampoline_kernelINS0_14default_configENS1_25partition_config_selectorILNS1_17partition_subalgoE6EjNS0_10empty_typeEbEEZZNS1_14partition_implILS5_6ELb0ES3_mN6thrust23THRUST_200600_302600_NS6detail15normal_iteratorINSA_10device_ptrIjEEEEPS6_SG_NS0_5tupleIJSF_S6_EEENSH_IJSG_SG_EEES6_PlJNSB_9not_fun_tINSB_14equal_to_valueIjEEEEEEE10hipError_tPvRmT3_T4_T5_T6_T7_T9_mT8_P12ihipStream_tbDpT10_ENKUlT_T0_E_clISt17integral_constantIbLb0EES17_IbLb1EEEEDaS13_S14_EUlS13_E_NS1_11comp_targetILNS1_3genE0ELNS1_11target_archE4294967295ELNS1_3gpuE0ELNS1_3repE0EEENS1_30default_config_static_selectorELNS0_4arch9wavefront6targetE0EEEvT1_.num_vgpr, 0
	.set _ZN7rocprim17ROCPRIM_400000_NS6detail17trampoline_kernelINS0_14default_configENS1_25partition_config_selectorILNS1_17partition_subalgoE6EjNS0_10empty_typeEbEEZZNS1_14partition_implILS5_6ELb0ES3_mN6thrust23THRUST_200600_302600_NS6detail15normal_iteratorINSA_10device_ptrIjEEEEPS6_SG_NS0_5tupleIJSF_S6_EEENSH_IJSG_SG_EEES6_PlJNSB_9not_fun_tINSB_14equal_to_valueIjEEEEEEE10hipError_tPvRmT3_T4_T5_T6_T7_T9_mT8_P12ihipStream_tbDpT10_ENKUlT_T0_E_clISt17integral_constantIbLb0EES17_IbLb1EEEEDaS13_S14_EUlS13_E_NS1_11comp_targetILNS1_3genE0ELNS1_11target_archE4294967295ELNS1_3gpuE0ELNS1_3repE0EEENS1_30default_config_static_selectorELNS0_4arch9wavefront6targetE0EEEvT1_.num_agpr, 0
	.set _ZN7rocprim17ROCPRIM_400000_NS6detail17trampoline_kernelINS0_14default_configENS1_25partition_config_selectorILNS1_17partition_subalgoE6EjNS0_10empty_typeEbEEZZNS1_14partition_implILS5_6ELb0ES3_mN6thrust23THRUST_200600_302600_NS6detail15normal_iteratorINSA_10device_ptrIjEEEEPS6_SG_NS0_5tupleIJSF_S6_EEENSH_IJSG_SG_EEES6_PlJNSB_9not_fun_tINSB_14equal_to_valueIjEEEEEEE10hipError_tPvRmT3_T4_T5_T6_T7_T9_mT8_P12ihipStream_tbDpT10_ENKUlT_T0_E_clISt17integral_constantIbLb0EES17_IbLb1EEEEDaS13_S14_EUlS13_E_NS1_11comp_targetILNS1_3genE0ELNS1_11target_archE4294967295ELNS1_3gpuE0ELNS1_3repE0EEENS1_30default_config_static_selectorELNS0_4arch9wavefront6targetE0EEEvT1_.numbered_sgpr, 0
	.set _ZN7rocprim17ROCPRIM_400000_NS6detail17trampoline_kernelINS0_14default_configENS1_25partition_config_selectorILNS1_17partition_subalgoE6EjNS0_10empty_typeEbEEZZNS1_14partition_implILS5_6ELb0ES3_mN6thrust23THRUST_200600_302600_NS6detail15normal_iteratorINSA_10device_ptrIjEEEEPS6_SG_NS0_5tupleIJSF_S6_EEENSH_IJSG_SG_EEES6_PlJNSB_9not_fun_tINSB_14equal_to_valueIjEEEEEEE10hipError_tPvRmT3_T4_T5_T6_T7_T9_mT8_P12ihipStream_tbDpT10_ENKUlT_T0_E_clISt17integral_constantIbLb0EES17_IbLb1EEEEDaS13_S14_EUlS13_E_NS1_11comp_targetILNS1_3genE0ELNS1_11target_archE4294967295ELNS1_3gpuE0ELNS1_3repE0EEENS1_30default_config_static_selectorELNS0_4arch9wavefront6targetE0EEEvT1_.num_named_barrier, 0
	.set _ZN7rocprim17ROCPRIM_400000_NS6detail17trampoline_kernelINS0_14default_configENS1_25partition_config_selectorILNS1_17partition_subalgoE6EjNS0_10empty_typeEbEEZZNS1_14partition_implILS5_6ELb0ES3_mN6thrust23THRUST_200600_302600_NS6detail15normal_iteratorINSA_10device_ptrIjEEEEPS6_SG_NS0_5tupleIJSF_S6_EEENSH_IJSG_SG_EEES6_PlJNSB_9not_fun_tINSB_14equal_to_valueIjEEEEEEE10hipError_tPvRmT3_T4_T5_T6_T7_T9_mT8_P12ihipStream_tbDpT10_ENKUlT_T0_E_clISt17integral_constantIbLb0EES17_IbLb1EEEEDaS13_S14_EUlS13_E_NS1_11comp_targetILNS1_3genE0ELNS1_11target_archE4294967295ELNS1_3gpuE0ELNS1_3repE0EEENS1_30default_config_static_selectorELNS0_4arch9wavefront6targetE0EEEvT1_.private_seg_size, 0
	.set _ZN7rocprim17ROCPRIM_400000_NS6detail17trampoline_kernelINS0_14default_configENS1_25partition_config_selectorILNS1_17partition_subalgoE6EjNS0_10empty_typeEbEEZZNS1_14partition_implILS5_6ELb0ES3_mN6thrust23THRUST_200600_302600_NS6detail15normal_iteratorINSA_10device_ptrIjEEEEPS6_SG_NS0_5tupleIJSF_S6_EEENSH_IJSG_SG_EEES6_PlJNSB_9not_fun_tINSB_14equal_to_valueIjEEEEEEE10hipError_tPvRmT3_T4_T5_T6_T7_T9_mT8_P12ihipStream_tbDpT10_ENKUlT_T0_E_clISt17integral_constantIbLb0EES17_IbLb1EEEEDaS13_S14_EUlS13_E_NS1_11comp_targetILNS1_3genE0ELNS1_11target_archE4294967295ELNS1_3gpuE0ELNS1_3repE0EEENS1_30default_config_static_selectorELNS0_4arch9wavefront6targetE0EEEvT1_.uses_vcc, 0
	.set _ZN7rocprim17ROCPRIM_400000_NS6detail17trampoline_kernelINS0_14default_configENS1_25partition_config_selectorILNS1_17partition_subalgoE6EjNS0_10empty_typeEbEEZZNS1_14partition_implILS5_6ELb0ES3_mN6thrust23THRUST_200600_302600_NS6detail15normal_iteratorINSA_10device_ptrIjEEEEPS6_SG_NS0_5tupleIJSF_S6_EEENSH_IJSG_SG_EEES6_PlJNSB_9not_fun_tINSB_14equal_to_valueIjEEEEEEE10hipError_tPvRmT3_T4_T5_T6_T7_T9_mT8_P12ihipStream_tbDpT10_ENKUlT_T0_E_clISt17integral_constantIbLb0EES17_IbLb1EEEEDaS13_S14_EUlS13_E_NS1_11comp_targetILNS1_3genE0ELNS1_11target_archE4294967295ELNS1_3gpuE0ELNS1_3repE0EEENS1_30default_config_static_selectorELNS0_4arch9wavefront6targetE0EEEvT1_.uses_flat_scratch, 0
	.set _ZN7rocprim17ROCPRIM_400000_NS6detail17trampoline_kernelINS0_14default_configENS1_25partition_config_selectorILNS1_17partition_subalgoE6EjNS0_10empty_typeEbEEZZNS1_14partition_implILS5_6ELb0ES3_mN6thrust23THRUST_200600_302600_NS6detail15normal_iteratorINSA_10device_ptrIjEEEEPS6_SG_NS0_5tupleIJSF_S6_EEENSH_IJSG_SG_EEES6_PlJNSB_9not_fun_tINSB_14equal_to_valueIjEEEEEEE10hipError_tPvRmT3_T4_T5_T6_T7_T9_mT8_P12ihipStream_tbDpT10_ENKUlT_T0_E_clISt17integral_constantIbLb0EES17_IbLb1EEEEDaS13_S14_EUlS13_E_NS1_11comp_targetILNS1_3genE0ELNS1_11target_archE4294967295ELNS1_3gpuE0ELNS1_3repE0EEENS1_30default_config_static_selectorELNS0_4arch9wavefront6targetE0EEEvT1_.has_dyn_sized_stack, 0
	.set _ZN7rocprim17ROCPRIM_400000_NS6detail17trampoline_kernelINS0_14default_configENS1_25partition_config_selectorILNS1_17partition_subalgoE6EjNS0_10empty_typeEbEEZZNS1_14partition_implILS5_6ELb0ES3_mN6thrust23THRUST_200600_302600_NS6detail15normal_iteratorINSA_10device_ptrIjEEEEPS6_SG_NS0_5tupleIJSF_S6_EEENSH_IJSG_SG_EEES6_PlJNSB_9not_fun_tINSB_14equal_to_valueIjEEEEEEE10hipError_tPvRmT3_T4_T5_T6_T7_T9_mT8_P12ihipStream_tbDpT10_ENKUlT_T0_E_clISt17integral_constantIbLb0EES17_IbLb1EEEEDaS13_S14_EUlS13_E_NS1_11comp_targetILNS1_3genE0ELNS1_11target_archE4294967295ELNS1_3gpuE0ELNS1_3repE0EEENS1_30default_config_static_selectorELNS0_4arch9wavefront6targetE0EEEvT1_.has_recursion, 0
	.set _ZN7rocprim17ROCPRIM_400000_NS6detail17trampoline_kernelINS0_14default_configENS1_25partition_config_selectorILNS1_17partition_subalgoE6EjNS0_10empty_typeEbEEZZNS1_14partition_implILS5_6ELb0ES3_mN6thrust23THRUST_200600_302600_NS6detail15normal_iteratorINSA_10device_ptrIjEEEEPS6_SG_NS0_5tupleIJSF_S6_EEENSH_IJSG_SG_EEES6_PlJNSB_9not_fun_tINSB_14equal_to_valueIjEEEEEEE10hipError_tPvRmT3_T4_T5_T6_T7_T9_mT8_P12ihipStream_tbDpT10_ENKUlT_T0_E_clISt17integral_constantIbLb0EES17_IbLb1EEEEDaS13_S14_EUlS13_E_NS1_11comp_targetILNS1_3genE0ELNS1_11target_archE4294967295ELNS1_3gpuE0ELNS1_3repE0EEENS1_30default_config_static_selectorELNS0_4arch9wavefront6targetE0EEEvT1_.has_indirect_call, 0
	.section	.AMDGPU.csdata,"",@progbits
; Kernel info:
; codeLenInByte = 0
; TotalNumSgprs: 0
; NumVgprs: 0
; ScratchSize: 0
; MemoryBound: 0
; FloatMode: 240
; IeeeMode: 1
; LDSByteSize: 0 bytes/workgroup (compile time only)
; SGPRBlocks: 0
; VGPRBlocks: 0
; NumSGPRsForWavesPerEU: 1
; NumVGPRsForWavesPerEU: 1
; Occupancy: 16
; WaveLimiterHint : 0
; COMPUTE_PGM_RSRC2:SCRATCH_EN: 0
; COMPUTE_PGM_RSRC2:USER_SGPR: 2
; COMPUTE_PGM_RSRC2:TRAP_HANDLER: 0
; COMPUTE_PGM_RSRC2:TGID_X_EN: 1
; COMPUTE_PGM_RSRC2:TGID_Y_EN: 0
; COMPUTE_PGM_RSRC2:TGID_Z_EN: 0
; COMPUTE_PGM_RSRC2:TIDIG_COMP_CNT: 0
	.section	.text._ZN7rocprim17ROCPRIM_400000_NS6detail17trampoline_kernelINS0_14default_configENS1_25partition_config_selectorILNS1_17partition_subalgoE6EjNS0_10empty_typeEbEEZZNS1_14partition_implILS5_6ELb0ES3_mN6thrust23THRUST_200600_302600_NS6detail15normal_iteratorINSA_10device_ptrIjEEEEPS6_SG_NS0_5tupleIJSF_S6_EEENSH_IJSG_SG_EEES6_PlJNSB_9not_fun_tINSB_14equal_to_valueIjEEEEEEE10hipError_tPvRmT3_T4_T5_T6_T7_T9_mT8_P12ihipStream_tbDpT10_ENKUlT_T0_E_clISt17integral_constantIbLb0EES17_IbLb1EEEEDaS13_S14_EUlS13_E_NS1_11comp_targetILNS1_3genE5ELNS1_11target_archE942ELNS1_3gpuE9ELNS1_3repE0EEENS1_30default_config_static_selectorELNS0_4arch9wavefront6targetE0EEEvT1_,"axG",@progbits,_ZN7rocprim17ROCPRIM_400000_NS6detail17trampoline_kernelINS0_14default_configENS1_25partition_config_selectorILNS1_17partition_subalgoE6EjNS0_10empty_typeEbEEZZNS1_14partition_implILS5_6ELb0ES3_mN6thrust23THRUST_200600_302600_NS6detail15normal_iteratorINSA_10device_ptrIjEEEEPS6_SG_NS0_5tupleIJSF_S6_EEENSH_IJSG_SG_EEES6_PlJNSB_9not_fun_tINSB_14equal_to_valueIjEEEEEEE10hipError_tPvRmT3_T4_T5_T6_T7_T9_mT8_P12ihipStream_tbDpT10_ENKUlT_T0_E_clISt17integral_constantIbLb0EES17_IbLb1EEEEDaS13_S14_EUlS13_E_NS1_11comp_targetILNS1_3genE5ELNS1_11target_archE942ELNS1_3gpuE9ELNS1_3repE0EEENS1_30default_config_static_selectorELNS0_4arch9wavefront6targetE0EEEvT1_,comdat
	.protected	_ZN7rocprim17ROCPRIM_400000_NS6detail17trampoline_kernelINS0_14default_configENS1_25partition_config_selectorILNS1_17partition_subalgoE6EjNS0_10empty_typeEbEEZZNS1_14partition_implILS5_6ELb0ES3_mN6thrust23THRUST_200600_302600_NS6detail15normal_iteratorINSA_10device_ptrIjEEEEPS6_SG_NS0_5tupleIJSF_S6_EEENSH_IJSG_SG_EEES6_PlJNSB_9not_fun_tINSB_14equal_to_valueIjEEEEEEE10hipError_tPvRmT3_T4_T5_T6_T7_T9_mT8_P12ihipStream_tbDpT10_ENKUlT_T0_E_clISt17integral_constantIbLb0EES17_IbLb1EEEEDaS13_S14_EUlS13_E_NS1_11comp_targetILNS1_3genE5ELNS1_11target_archE942ELNS1_3gpuE9ELNS1_3repE0EEENS1_30default_config_static_selectorELNS0_4arch9wavefront6targetE0EEEvT1_ ; -- Begin function _ZN7rocprim17ROCPRIM_400000_NS6detail17trampoline_kernelINS0_14default_configENS1_25partition_config_selectorILNS1_17partition_subalgoE6EjNS0_10empty_typeEbEEZZNS1_14partition_implILS5_6ELb0ES3_mN6thrust23THRUST_200600_302600_NS6detail15normal_iteratorINSA_10device_ptrIjEEEEPS6_SG_NS0_5tupleIJSF_S6_EEENSH_IJSG_SG_EEES6_PlJNSB_9not_fun_tINSB_14equal_to_valueIjEEEEEEE10hipError_tPvRmT3_T4_T5_T6_T7_T9_mT8_P12ihipStream_tbDpT10_ENKUlT_T0_E_clISt17integral_constantIbLb0EES17_IbLb1EEEEDaS13_S14_EUlS13_E_NS1_11comp_targetILNS1_3genE5ELNS1_11target_archE942ELNS1_3gpuE9ELNS1_3repE0EEENS1_30default_config_static_selectorELNS0_4arch9wavefront6targetE0EEEvT1_
	.globl	_ZN7rocprim17ROCPRIM_400000_NS6detail17trampoline_kernelINS0_14default_configENS1_25partition_config_selectorILNS1_17partition_subalgoE6EjNS0_10empty_typeEbEEZZNS1_14partition_implILS5_6ELb0ES3_mN6thrust23THRUST_200600_302600_NS6detail15normal_iteratorINSA_10device_ptrIjEEEEPS6_SG_NS0_5tupleIJSF_S6_EEENSH_IJSG_SG_EEES6_PlJNSB_9not_fun_tINSB_14equal_to_valueIjEEEEEEE10hipError_tPvRmT3_T4_T5_T6_T7_T9_mT8_P12ihipStream_tbDpT10_ENKUlT_T0_E_clISt17integral_constantIbLb0EES17_IbLb1EEEEDaS13_S14_EUlS13_E_NS1_11comp_targetILNS1_3genE5ELNS1_11target_archE942ELNS1_3gpuE9ELNS1_3repE0EEENS1_30default_config_static_selectorELNS0_4arch9wavefront6targetE0EEEvT1_
	.p2align	8
	.type	_ZN7rocprim17ROCPRIM_400000_NS6detail17trampoline_kernelINS0_14default_configENS1_25partition_config_selectorILNS1_17partition_subalgoE6EjNS0_10empty_typeEbEEZZNS1_14partition_implILS5_6ELb0ES3_mN6thrust23THRUST_200600_302600_NS6detail15normal_iteratorINSA_10device_ptrIjEEEEPS6_SG_NS0_5tupleIJSF_S6_EEENSH_IJSG_SG_EEES6_PlJNSB_9not_fun_tINSB_14equal_to_valueIjEEEEEEE10hipError_tPvRmT3_T4_T5_T6_T7_T9_mT8_P12ihipStream_tbDpT10_ENKUlT_T0_E_clISt17integral_constantIbLb0EES17_IbLb1EEEEDaS13_S14_EUlS13_E_NS1_11comp_targetILNS1_3genE5ELNS1_11target_archE942ELNS1_3gpuE9ELNS1_3repE0EEENS1_30default_config_static_selectorELNS0_4arch9wavefront6targetE0EEEvT1_,@function
_ZN7rocprim17ROCPRIM_400000_NS6detail17trampoline_kernelINS0_14default_configENS1_25partition_config_selectorILNS1_17partition_subalgoE6EjNS0_10empty_typeEbEEZZNS1_14partition_implILS5_6ELb0ES3_mN6thrust23THRUST_200600_302600_NS6detail15normal_iteratorINSA_10device_ptrIjEEEEPS6_SG_NS0_5tupleIJSF_S6_EEENSH_IJSG_SG_EEES6_PlJNSB_9not_fun_tINSB_14equal_to_valueIjEEEEEEE10hipError_tPvRmT3_T4_T5_T6_T7_T9_mT8_P12ihipStream_tbDpT10_ENKUlT_T0_E_clISt17integral_constantIbLb0EES17_IbLb1EEEEDaS13_S14_EUlS13_E_NS1_11comp_targetILNS1_3genE5ELNS1_11target_archE942ELNS1_3gpuE9ELNS1_3repE0EEENS1_30default_config_static_selectorELNS0_4arch9wavefront6targetE0EEEvT1_: ; @_ZN7rocprim17ROCPRIM_400000_NS6detail17trampoline_kernelINS0_14default_configENS1_25partition_config_selectorILNS1_17partition_subalgoE6EjNS0_10empty_typeEbEEZZNS1_14partition_implILS5_6ELb0ES3_mN6thrust23THRUST_200600_302600_NS6detail15normal_iteratorINSA_10device_ptrIjEEEEPS6_SG_NS0_5tupleIJSF_S6_EEENSH_IJSG_SG_EEES6_PlJNSB_9not_fun_tINSB_14equal_to_valueIjEEEEEEE10hipError_tPvRmT3_T4_T5_T6_T7_T9_mT8_P12ihipStream_tbDpT10_ENKUlT_T0_E_clISt17integral_constantIbLb0EES17_IbLb1EEEEDaS13_S14_EUlS13_E_NS1_11comp_targetILNS1_3genE5ELNS1_11target_archE942ELNS1_3gpuE9ELNS1_3repE0EEENS1_30default_config_static_selectorELNS0_4arch9wavefront6targetE0EEEvT1_
; %bb.0:
	.section	.rodata,"a",@progbits
	.p2align	6, 0x0
	.amdhsa_kernel _ZN7rocprim17ROCPRIM_400000_NS6detail17trampoline_kernelINS0_14default_configENS1_25partition_config_selectorILNS1_17partition_subalgoE6EjNS0_10empty_typeEbEEZZNS1_14partition_implILS5_6ELb0ES3_mN6thrust23THRUST_200600_302600_NS6detail15normal_iteratorINSA_10device_ptrIjEEEEPS6_SG_NS0_5tupleIJSF_S6_EEENSH_IJSG_SG_EEES6_PlJNSB_9not_fun_tINSB_14equal_to_valueIjEEEEEEE10hipError_tPvRmT3_T4_T5_T6_T7_T9_mT8_P12ihipStream_tbDpT10_ENKUlT_T0_E_clISt17integral_constantIbLb0EES17_IbLb1EEEEDaS13_S14_EUlS13_E_NS1_11comp_targetILNS1_3genE5ELNS1_11target_archE942ELNS1_3gpuE9ELNS1_3repE0EEENS1_30default_config_static_selectorELNS0_4arch9wavefront6targetE0EEEvT1_
		.amdhsa_group_segment_fixed_size 0
		.amdhsa_private_segment_fixed_size 0
		.amdhsa_kernarg_size 128
		.amdhsa_user_sgpr_count 2
		.amdhsa_user_sgpr_dispatch_ptr 0
		.amdhsa_user_sgpr_queue_ptr 0
		.amdhsa_user_sgpr_kernarg_segment_ptr 1
		.amdhsa_user_sgpr_dispatch_id 0
		.amdhsa_user_sgpr_private_segment_size 0
		.amdhsa_wavefront_size32 1
		.amdhsa_uses_dynamic_stack 0
		.amdhsa_enable_private_segment 0
		.amdhsa_system_sgpr_workgroup_id_x 1
		.amdhsa_system_sgpr_workgroup_id_y 0
		.amdhsa_system_sgpr_workgroup_id_z 0
		.amdhsa_system_sgpr_workgroup_info 0
		.amdhsa_system_vgpr_workitem_id 0
		.amdhsa_next_free_vgpr 1
		.amdhsa_next_free_sgpr 1
		.amdhsa_reserve_vcc 0
		.amdhsa_float_round_mode_32 0
		.amdhsa_float_round_mode_16_64 0
		.amdhsa_float_denorm_mode_32 3
		.amdhsa_float_denorm_mode_16_64 3
		.amdhsa_fp16_overflow 0
		.amdhsa_workgroup_processor_mode 1
		.amdhsa_memory_ordered 1
		.amdhsa_forward_progress 1
		.amdhsa_inst_pref_size 0
		.amdhsa_round_robin_scheduling 0
		.amdhsa_exception_fp_ieee_invalid_op 0
		.amdhsa_exception_fp_denorm_src 0
		.amdhsa_exception_fp_ieee_div_zero 0
		.amdhsa_exception_fp_ieee_overflow 0
		.amdhsa_exception_fp_ieee_underflow 0
		.amdhsa_exception_fp_ieee_inexact 0
		.amdhsa_exception_int_div_zero 0
	.end_amdhsa_kernel
	.section	.text._ZN7rocprim17ROCPRIM_400000_NS6detail17trampoline_kernelINS0_14default_configENS1_25partition_config_selectorILNS1_17partition_subalgoE6EjNS0_10empty_typeEbEEZZNS1_14partition_implILS5_6ELb0ES3_mN6thrust23THRUST_200600_302600_NS6detail15normal_iteratorINSA_10device_ptrIjEEEEPS6_SG_NS0_5tupleIJSF_S6_EEENSH_IJSG_SG_EEES6_PlJNSB_9not_fun_tINSB_14equal_to_valueIjEEEEEEE10hipError_tPvRmT3_T4_T5_T6_T7_T9_mT8_P12ihipStream_tbDpT10_ENKUlT_T0_E_clISt17integral_constantIbLb0EES17_IbLb1EEEEDaS13_S14_EUlS13_E_NS1_11comp_targetILNS1_3genE5ELNS1_11target_archE942ELNS1_3gpuE9ELNS1_3repE0EEENS1_30default_config_static_selectorELNS0_4arch9wavefront6targetE0EEEvT1_,"axG",@progbits,_ZN7rocprim17ROCPRIM_400000_NS6detail17trampoline_kernelINS0_14default_configENS1_25partition_config_selectorILNS1_17partition_subalgoE6EjNS0_10empty_typeEbEEZZNS1_14partition_implILS5_6ELb0ES3_mN6thrust23THRUST_200600_302600_NS6detail15normal_iteratorINSA_10device_ptrIjEEEEPS6_SG_NS0_5tupleIJSF_S6_EEENSH_IJSG_SG_EEES6_PlJNSB_9not_fun_tINSB_14equal_to_valueIjEEEEEEE10hipError_tPvRmT3_T4_T5_T6_T7_T9_mT8_P12ihipStream_tbDpT10_ENKUlT_T0_E_clISt17integral_constantIbLb0EES17_IbLb1EEEEDaS13_S14_EUlS13_E_NS1_11comp_targetILNS1_3genE5ELNS1_11target_archE942ELNS1_3gpuE9ELNS1_3repE0EEENS1_30default_config_static_selectorELNS0_4arch9wavefront6targetE0EEEvT1_,comdat
.Lfunc_end398:
	.size	_ZN7rocprim17ROCPRIM_400000_NS6detail17trampoline_kernelINS0_14default_configENS1_25partition_config_selectorILNS1_17partition_subalgoE6EjNS0_10empty_typeEbEEZZNS1_14partition_implILS5_6ELb0ES3_mN6thrust23THRUST_200600_302600_NS6detail15normal_iteratorINSA_10device_ptrIjEEEEPS6_SG_NS0_5tupleIJSF_S6_EEENSH_IJSG_SG_EEES6_PlJNSB_9not_fun_tINSB_14equal_to_valueIjEEEEEEE10hipError_tPvRmT3_T4_T5_T6_T7_T9_mT8_P12ihipStream_tbDpT10_ENKUlT_T0_E_clISt17integral_constantIbLb0EES17_IbLb1EEEEDaS13_S14_EUlS13_E_NS1_11comp_targetILNS1_3genE5ELNS1_11target_archE942ELNS1_3gpuE9ELNS1_3repE0EEENS1_30default_config_static_selectorELNS0_4arch9wavefront6targetE0EEEvT1_, .Lfunc_end398-_ZN7rocprim17ROCPRIM_400000_NS6detail17trampoline_kernelINS0_14default_configENS1_25partition_config_selectorILNS1_17partition_subalgoE6EjNS0_10empty_typeEbEEZZNS1_14partition_implILS5_6ELb0ES3_mN6thrust23THRUST_200600_302600_NS6detail15normal_iteratorINSA_10device_ptrIjEEEEPS6_SG_NS0_5tupleIJSF_S6_EEENSH_IJSG_SG_EEES6_PlJNSB_9not_fun_tINSB_14equal_to_valueIjEEEEEEE10hipError_tPvRmT3_T4_T5_T6_T7_T9_mT8_P12ihipStream_tbDpT10_ENKUlT_T0_E_clISt17integral_constantIbLb0EES17_IbLb1EEEEDaS13_S14_EUlS13_E_NS1_11comp_targetILNS1_3genE5ELNS1_11target_archE942ELNS1_3gpuE9ELNS1_3repE0EEENS1_30default_config_static_selectorELNS0_4arch9wavefront6targetE0EEEvT1_
                                        ; -- End function
	.set _ZN7rocprim17ROCPRIM_400000_NS6detail17trampoline_kernelINS0_14default_configENS1_25partition_config_selectorILNS1_17partition_subalgoE6EjNS0_10empty_typeEbEEZZNS1_14partition_implILS5_6ELb0ES3_mN6thrust23THRUST_200600_302600_NS6detail15normal_iteratorINSA_10device_ptrIjEEEEPS6_SG_NS0_5tupleIJSF_S6_EEENSH_IJSG_SG_EEES6_PlJNSB_9not_fun_tINSB_14equal_to_valueIjEEEEEEE10hipError_tPvRmT3_T4_T5_T6_T7_T9_mT8_P12ihipStream_tbDpT10_ENKUlT_T0_E_clISt17integral_constantIbLb0EES17_IbLb1EEEEDaS13_S14_EUlS13_E_NS1_11comp_targetILNS1_3genE5ELNS1_11target_archE942ELNS1_3gpuE9ELNS1_3repE0EEENS1_30default_config_static_selectorELNS0_4arch9wavefront6targetE0EEEvT1_.num_vgpr, 0
	.set _ZN7rocprim17ROCPRIM_400000_NS6detail17trampoline_kernelINS0_14default_configENS1_25partition_config_selectorILNS1_17partition_subalgoE6EjNS0_10empty_typeEbEEZZNS1_14partition_implILS5_6ELb0ES3_mN6thrust23THRUST_200600_302600_NS6detail15normal_iteratorINSA_10device_ptrIjEEEEPS6_SG_NS0_5tupleIJSF_S6_EEENSH_IJSG_SG_EEES6_PlJNSB_9not_fun_tINSB_14equal_to_valueIjEEEEEEE10hipError_tPvRmT3_T4_T5_T6_T7_T9_mT8_P12ihipStream_tbDpT10_ENKUlT_T0_E_clISt17integral_constantIbLb0EES17_IbLb1EEEEDaS13_S14_EUlS13_E_NS1_11comp_targetILNS1_3genE5ELNS1_11target_archE942ELNS1_3gpuE9ELNS1_3repE0EEENS1_30default_config_static_selectorELNS0_4arch9wavefront6targetE0EEEvT1_.num_agpr, 0
	.set _ZN7rocprim17ROCPRIM_400000_NS6detail17trampoline_kernelINS0_14default_configENS1_25partition_config_selectorILNS1_17partition_subalgoE6EjNS0_10empty_typeEbEEZZNS1_14partition_implILS5_6ELb0ES3_mN6thrust23THRUST_200600_302600_NS6detail15normal_iteratorINSA_10device_ptrIjEEEEPS6_SG_NS0_5tupleIJSF_S6_EEENSH_IJSG_SG_EEES6_PlJNSB_9not_fun_tINSB_14equal_to_valueIjEEEEEEE10hipError_tPvRmT3_T4_T5_T6_T7_T9_mT8_P12ihipStream_tbDpT10_ENKUlT_T0_E_clISt17integral_constantIbLb0EES17_IbLb1EEEEDaS13_S14_EUlS13_E_NS1_11comp_targetILNS1_3genE5ELNS1_11target_archE942ELNS1_3gpuE9ELNS1_3repE0EEENS1_30default_config_static_selectorELNS0_4arch9wavefront6targetE0EEEvT1_.numbered_sgpr, 0
	.set _ZN7rocprim17ROCPRIM_400000_NS6detail17trampoline_kernelINS0_14default_configENS1_25partition_config_selectorILNS1_17partition_subalgoE6EjNS0_10empty_typeEbEEZZNS1_14partition_implILS5_6ELb0ES3_mN6thrust23THRUST_200600_302600_NS6detail15normal_iteratorINSA_10device_ptrIjEEEEPS6_SG_NS0_5tupleIJSF_S6_EEENSH_IJSG_SG_EEES6_PlJNSB_9not_fun_tINSB_14equal_to_valueIjEEEEEEE10hipError_tPvRmT3_T4_T5_T6_T7_T9_mT8_P12ihipStream_tbDpT10_ENKUlT_T0_E_clISt17integral_constantIbLb0EES17_IbLb1EEEEDaS13_S14_EUlS13_E_NS1_11comp_targetILNS1_3genE5ELNS1_11target_archE942ELNS1_3gpuE9ELNS1_3repE0EEENS1_30default_config_static_selectorELNS0_4arch9wavefront6targetE0EEEvT1_.num_named_barrier, 0
	.set _ZN7rocprim17ROCPRIM_400000_NS6detail17trampoline_kernelINS0_14default_configENS1_25partition_config_selectorILNS1_17partition_subalgoE6EjNS0_10empty_typeEbEEZZNS1_14partition_implILS5_6ELb0ES3_mN6thrust23THRUST_200600_302600_NS6detail15normal_iteratorINSA_10device_ptrIjEEEEPS6_SG_NS0_5tupleIJSF_S6_EEENSH_IJSG_SG_EEES6_PlJNSB_9not_fun_tINSB_14equal_to_valueIjEEEEEEE10hipError_tPvRmT3_T4_T5_T6_T7_T9_mT8_P12ihipStream_tbDpT10_ENKUlT_T0_E_clISt17integral_constantIbLb0EES17_IbLb1EEEEDaS13_S14_EUlS13_E_NS1_11comp_targetILNS1_3genE5ELNS1_11target_archE942ELNS1_3gpuE9ELNS1_3repE0EEENS1_30default_config_static_selectorELNS0_4arch9wavefront6targetE0EEEvT1_.private_seg_size, 0
	.set _ZN7rocprim17ROCPRIM_400000_NS6detail17trampoline_kernelINS0_14default_configENS1_25partition_config_selectorILNS1_17partition_subalgoE6EjNS0_10empty_typeEbEEZZNS1_14partition_implILS5_6ELb0ES3_mN6thrust23THRUST_200600_302600_NS6detail15normal_iteratorINSA_10device_ptrIjEEEEPS6_SG_NS0_5tupleIJSF_S6_EEENSH_IJSG_SG_EEES6_PlJNSB_9not_fun_tINSB_14equal_to_valueIjEEEEEEE10hipError_tPvRmT3_T4_T5_T6_T7_T9_mT8_P12ihipStream_tbDpT10_ENKUlT_T0_E_clISt17integral_constantIbLb0EES17_IbLb1EEEEDaS13_S14_EUlS13_E_NS1_11comp_targetILNS1_3genE5ELNS1_11target_archE942ELNS1_3gpuE9ELNS1_3repE0EEENS1_30default_config_static_selectorELNS0_4arch9wavefront6targetE0EEEvT1_.uses_vcc, 0
	.set _ZN7rocprim17ROCPRIM_400000_NS6detail17trampoline_kernelINS0_14default_configENS1_25partition_config_selectorILNS1_17partition_subalgoE6EjNS0_10empty_typeEbEEZZNS1_14partition_implILS5_6ELb0ES3_mN6thrust23THRUST_200600_302600_NS6detail15normal_iteratorINSA_10device_ptrIjEEEEPS6_SG_NS0_5tupleIJSF_S6_EEENSH_IJSG_SG_EEES6_PlJNSB_9not_fun_tINSB_14equal_to_valueIjEEEEEEE10hipError_tPvRmT3_T4_T5_T6_T7_T9_mT8_P12ihipStream_tbDpT10_ENKUlT_T0_E_clISt17integral_constantIbLb0EES17_IbLb1EEEEDaS13_S14_EUlS13_E_NS1_11comp_targetILNS1_3genE5ELNS1_11target_archE942ELNS1_3gpuE9ELNS1_3repE0EEENS1_30default_config_static_selectorELNS0_4arch9wavefront6targetE0EEEvT1_.uses_flat_scratch, 0
	.set _ZN7rocprim17ROCPRIM_400000_NS6detail17trampoline_kernelINS0_14default_configENS1_25partition_config_selectorILNS1_17partition_subalgoE6EjNS0_10empty_typeEbEEZZNS1_14partition_implILS5_6ELb0ES3_mN6thrust23THRUST_200600_302600_NS6detail15normal_iteratorINSA_10device_ptrIjEEEEPS6_SG_NS0_5tupleIJSF_S6_EEENSH_IJSG_SG_EEES6_PlJNSB_9not_fun_tINSB_14equal_to_valueIjEEEEEEE10hipError_tPvRmT3_T4_T5_T6_T7_T9_mT8_P12ihipStream_tbDpT10_ENKUlT_T0_E_clISt17integral_constantIbLb0EES17_IbLb1EEEEDaS13_S14_EUlS13_E_NS1_11comp_targetILNS1_3genE5ELNS1_11target_archE942ELNS1_3gpuE9ELNS1_3repE0EEENS1_30default_config_static_selectorELNS0_4arch9wavefront6targetE0EEEvT1_.has_dyn_sized_stack, 0
	.set _ZN7rocprim17ROCPRIM_400000_NS6detail17trampoline_kernelINS0_14default_configENS1_25partition_config_selectorILNS1_17partition_subalgoE6EjNS0_10empty_typeEbEEZZNS1_14partition_implILS5_6ELb0ES3_mN6thrust23THRUST_200600_302600_NS6detail15normal_iteratorINSA_10device_ptrIjEEEEPS6_SG_NS0_5tupleIJSF_S6_EEENSH_IJSG_SG_EEES6_PlJNSB_9not_fun_tINSB_14equal_to_valueIjEEEEEEE10hipError_tPvRmT3_T4_T5_T6_T7_T9_mT8_P12ihipStream_tbDpT10_ENKUlT_T0_E_clISt17integral_constantIbLb0EES17_IbLb1EEEEDaS13_S14_EUlS13_E_NS1_11comp_targetILNS1_3genE5ELNS1_11target_archE942ELNS1_3gpuE9ELNS1_3repE0EEENS1_30default_config_static_selectorELNS0_4arch9wavefront6targetE0EEEvT1_.has_recursion, 0
	.set _ZN7rocprim17ROCPRIM_400000_NS6detail17trampoline_kernelINS0_14default_configENS1_25partition_config_selectorILNS1_17partition_subalgoE6EjNS0_10empty_typeEbEEZZNS1_14partition_implILS5_6ELb0ES3_mN6thrust23THRUST_200600_302600_NS6detail15normal_iteratorINSA_10device_ptrIjEEEEPS6_SG_NS0_5tupleIJSF_S6_EEENSH_IJSG_SG_EEES6_PlJNSB_9not_fun_tINSB_14equal_to_valueIjEEEEEEE10hipError_tPvRmT3_T4_T5_T6_T7_T9_mT8_P12ihipStream_tbDpT10_ENKUlT_T0_E_clISt17integral_constantIbLb0EES17_IbLb1EEEEDaS13_S14_EUlS13_E_NS1_11comp_targetILNS1_3genE5ELNS1_11target_archE942ELNS1_3gpuE9ELNS1_3repE0EEENS1_30default_config_static_selectorELNS0_4arch9wavefront6targetE0EEEvT1_.has_indirect_call, 0
	.section	.AMDGPU.csdata,"",@progbits
; Kernel info:
; codeLenInByte = 0
; TotalNumSgprs: 0
; NumVgprs: 0
; ScratchSize: 0
; MemoryBound: 0
; FloatMode: 240
; IeeeMode: 1
; LDSByteSize: 0 bytes/workgroup (compile time only)
; SGPRBlocks: 0
; VGPRBlocks: 0
; NumSGPRsForWavesPerEU: 1
; NumVGPRsForWavesPerEU: 1
; Occupancy: 16
; WaveLimiterHint : 0
; COMPUTE_PGM_RSRC2:SCRATCH_EN: 0
; COMPUTE_PGM_RSRC2:USER_SGPR: 2
; COMPUTE_PGM_RSRC2:TRAP_HANDLER: 0
; COMPUTE_PGM_RSRC2:TGID_X_EN: 1
; COMPUTE_PGM_RSRC2:TGID_Y_EN: 0
; COMPUTE_PGM_RSRC2:TGID_Z_EN: 0
; COMPUTE_PGM_RSRC2:TIDIG_COMP_CNT: 0
	.section	.text._ZN7rocprim17ROCPRIM_400000_NS6detail17trampoline_kernelINS0_14default_configENS1_25partition_config_selectorILNS1_17partition_subalgoE6EjNS0_10empty_typeEbEEZZNS1_14partition_implILS5_6ELb0ES3_mN6thrust23THRUST_200600_302600_NS6detail15normal_iteratorINSA_10device_ptrIjEEEEPS6_SG_NS0_5tupleIJSF_S6_EEENSH_IJSG_SG_EEES6_PlJNSB_9not_fun_tINSB_14equal_to_valueIjEEEEEEE10hipError_tPvRmT3_T4_T5_T6_T7_T9_mT8_P12ihipStream_tbDpT10_ENKUlT_T0_E_clISt17integral_constantIbLb0EES17_IbLb1EEEEDaS13_S14_EUlS13_E_NS1_11comp_targetILNS1_3genE4ELNS1_11target_archE910ELNS1_3gpuE8ELNS1_3repE0EEENS1_30default_config_static_selectorELNS0_4arch9wavefront6targetE0EEEvT1_,"axG",@progbits,_ZN7rocprim17ROCPRIM_400000_NS6detail17trampoline_kernelINS0_14default_configENS1_25partition_config_selectorILNS1_17partition_subalgoE6EjNS0_10empty_typeEbEEZZNS1_14partition_implILS5_6ELb0ES3_mN6thrust23THRUST_200600_302600_NS6detail15normal_iteratorINSA_10device_ptrIjEEEEPS6_SG_NS0_5tupleIJSF_S6_EEENSH_IJSG_SG_EEES6_PlJNSB_9not_fun_tINSB_14equal_to_valueIjEEEEEEE10hipError_tPvRmT3_T4_T5_T6_T7_T9_mT8_P12ihipStream_tbDpT10_ENKUlT_T0_E_clISt17integral_constantIbLb0EES17_IbLb1EEEEDaS13_S14_EUlS13_E_NS1_11comp_targetILNS1_3genE4ELNS1_11target_archE910ELNS1_3gpuE8ELNS1_3repE0EEENS1_30default_config_static_selectorELNS0_4arch9wavefront6targetE0EEEvT1_,comdat
	.protected	_ZN7rocprim17ROCPRIM_400000_NS6detail17trampoline_kernelINS0_14default_configENS1_25partition_config_selectorILNS1_17partition_subalgoE6EjNS0_10empty_typeEbEEZZNS1_14partition_implILS5_6ELb0ES3_mN6thrust23THRUST_200600_302600_NS6detail15normal_iteratorINSA_10device_ptrIjEEEEPS6_SG_NS0_5tupleIJSF_S6_EEENSH_IJSG_SG_EEES6_PlJNSB_9not_fun_tINSB_14equal_to_valueIjEEEEEEE10hipError_tPvRmT3_T4_T5_T6_T7_T9_mT8_P12ihipStream_tbDpT10_ENKUlT_T0_E_clISt17integral_constantIbLb0EES17_IbLb1EEEEDaS13_S14_EUlS13_E_NS1_11comp_targetILNS1_3genE4ELNS1_11target_archE910ELNS1_3gpuE8ELNS1_3repE0EEENS1_30default_config_static_selectorELNS0_4arch9wavefront6targetE0EEEvT1_ ; -- Begin function _ZN7rocprim17ROCPRIM_400000_NS6detail17trampoline_kernelINS0_14default_configENS1_25partition_config_selectorILNS1_17partition_subalgoE6EjNS0_10empty_typeEbEEZZNS1_14partition_implILS5_6ELb0ES3_mN6thrust23THRUST_200600_302600_NS6detail15normal_iteratorINSA_10device_ptrIjEEEEPS6_SG_NS0_5tupleIJSF_S6_EEENSH_IJSG_SG_EEES6_PlJNSB_9not_fun_tINSB_14equal_to_valueIjEEEEEEE10hipError_tPvRmT3_T4_T5_T6_T7_T9_mT8_P12ihipStream_tbDpT10_ENKUlT_T0_E_clISt17integral_constantIbLb0EES17_IbLb1EEEEDaS13_S14_EUlS13_E_NS1_11comp_targetILNS1_3genE4ELNS1_11target_archE910ELNS1_3gpuE8ELNS1_3repE0EEENS1_30default_config_static_selectorELNS0_4arch9wavefront6targetE0EEEvT1_
	.globl	_ZN7rocprim17ROCPRIM_400000_NS6detail17trampoline_kernelINS0_14default_configENS1_25partition_config_selectorILNS1_17partition_subalgoE6EjNS0_10empty_typeEbEEZZNS1_14partition_implILS5_6ELb0ES3_mN6thrust23THRUST_200600_302600_NS6detail15normal_iteratorINSA_10device_ptrIjEEEEPS6_SG_NS0_5tupleIJSF_S6_EEENSH_IJSG_SG_EEES6_PlJNSB_9not_fun_tINSB_14equal_to_valueIjEEEEEEE10hipError_tPvRmT3_T4_T5_T6_T7_T9_mT8_P12ihipStream_tbDpT10_ENKUlT_T0_E_clISt17integral_constantIbLb0EES17_IbLb1EEEEDaS13_S14_EUlS13_E_NS1_11comp_targetILNS1_3genE4ELNS1_11target_archE910ELNS1_3gpuE8ELNS1_3repE0EEENS1_30default_config_static_selectorELNS0_4arch9wavefront6targetE0EEEvT1_
	.p2align	8
	.type	_ZN7rocprim17ROCPRIM_400000_NS6detail17trampoline_kernelINS0_14default_configENS1_25partition_config_selectorILNS1_17partition_subalgoE6EjNS0_10empty_typeEbEEZZNS1_14partition_implILS5_6ELb0ES3_mN6thrust23THRUST_200600_302600_NS6detail15normal_iteratorINSA_10device_ptrIjEEEEPS6_SG_NS0_5tupleIJSF_S6_EEENSH_IJSG_SG_EEES6_PlJNSB_9not_fun_tINSB_14equal_to_valueIjEEEEEEE10hipError_tPvRmT3_T4_T5_T6_T7_T9_mT8_P12ihipStream_tbDpT10_ENKUlT_T0_E_clISt17integral_constantIbLb0EES17_IbLb1EEEEDaS13_S14_EUlS13_E_NS1_11comp_targetILNS1_3genE4ELNS1_11target_archE910ELNS1_3gpuE8ELNS1_3repE0EEENS1_30default_config_static_selectorELNS0_4arch9wavefront6targetE0EEEvT1_,@function
_ZN7rocprim17ROCPRIM_400000_NS6detail17trampoline_kernelINS0_14default_configENS1_25partition_config_selectorILNS1_17partition_subalgoE6EjNS0_10empty_typeEbEEZZNS1_14partition_implILS5_6ELb0ES3_mN6thrust23THRUST_200600_302600_NS6detail15normal_iteratorINSA_10device_ptrIjEEEEPS6_SG_NS0_5tupleIJSF_S6_EEENSH_IJSG_SG_EEES6_PlJNSB_9not_fun_tINSB_14equal_to_valueIjEEEEEEE10hipError_tPvRmT3_T4_T5_T6_T7_T9_mT8_P12ihipStream_tbDpT10_ENKUlT_T0_E_clISt17integral_constantIbLb0EES17_IbLb1EEEEDaS13_S14_EUlS13_E_NS1_11comp_targetILNS1_3genE4ELNS1_11target_archE910ELNS1_3gpuE8ELNS1_3repE0EEENS1_30default_config_static_selectorELNS0_4arch9wavefront6targetE0EEEvT1_: ; @_ZN7rocprim17ROCPRIM_400000_NS6detail17trampoline_kernelINS0_14default_configENS1_25partition_config_selectorILNS1_17partition_subalgoE6EjNS0_10empty_typeEbEEZZNS1_14partition_implILS5_6ELb0ES3_mN6thrust23THRUST_200600_302600_NS6detail15normal_iteratorINSA_10device_ptrIjEEEEPS6_SG_NS0_5tupleIJSF_S6_EEENSH_IJSG_SG_EEES6_PlJNSB_9not_fun_tINSB_14equal_to_valueIjEEEEEEE10hipError_tPvRmT3_T4_T5_T6_T7_T9_mT8_P12ihipStream_tbDpT10_ENKUlT_T0_E_clISt17integral_constantIbLb0EES17_IbLb1EEEEDaS13_S14_EUlS13_E_NS1_11comp_targetILNS1_3genE4ELNS1_11target_archE910ELNS1_3gpuE8ELNS1_3repE0EEENS1_30default_config_static_selectorELNS0_4arch9wavefront6targetE0EEEvT1_
; %bb.0:
	.section	.rodata,"a",@progbits
	.p2align	6, 0x0
	.amdhsa_kernel _ZN7rocprim17ROCPRIM_400000_NS6detail17trampoline_kernelINS0_14default_configENS1_25partition_config_selectorILNS1_17partition_subalgoE6EjNS0_10empty_typeEbEEZZNS1_14partition_implILS5_6ELb0ES3_mN6thrust23THRUST_200600_302600_NS6detail15normal_iteratorINSA_10device_ptrIjEEEEPS6_SG_NS0_5tupleIJSF_S6_EEENSH_IJSG_SG_EEES6_PlJNSB_9not_fun_tINSB_14equal_to_valueIjEEEEEEE10hipError_tPvRmT3_T4_T5_T6_T7_T9_mT8_P12ihipStream_tbDpT10_ENKUlT_T0_E_clISt17integral_constantIbLb0EES17_IbLb1EEEEDaS13_S14_EUlS13_E_NS1_11comp_targetILNS1_3genE4ELNS1_11target_archE910ELNS1_3gpuE8ELNS1_3repE0EEENS1_30default_config_static_selectorELNS0_4arch9wavefront6targetE0EEEvT1_
		.amdhsa_group_segment_fixed_size 0
		.amdhsa_private_segment_fixed_size 0
		.amdhsa_kernarg_size 128
		.amdhsa_user_sgpr_count 2
		.amdhsa_user_sgpr_dispatch_ptr 0
		.amdhsa_user_sgpr_queue_ptr 0
		.amdhsa_user_sgpr_kernarg_segment_ptr 1
		.amdhsa_user_sgpr_dispatch_id 0
		.amdhsa_user_sgpr_private_segment_size 0
		.amdhsa_wavefront_size32 1
		.amdhsa_uses_dynamic_stack 0
		.amdhsa_enable_private_segment 0
		.amdhsa_system_sgpr_workgroup_id_x 1
		.amdhsa_system_sgpr_workgroup_id_y 0
		.amdhsa_system_sgpr_workgroup_id_z 0
		.amdhsa_system_sgpr_workgroup_info 0
		.amdhsa_system_vgpr_workitem_id 0
		.amdhsa_next_free_vgpr 1
		.amdhsa_next_free_sgpr 1
		.amdhsa_reserve_vcc 0
		.amdhsa_float_round_mode_32 0
		.amdhsa_float_round_mode_16_64 0
		.amdhsa_float_denorm_mode_32 3
		.amdhsa_float_denorm_mode_16_64 3
		.amdhsa_fp16_overflow 0
		.amdhsa_workgroup_processor_mode 1
		.amdhsa_memory_ordered 1
		.amdhsa_forward_progress 1
		.amdhsa_inst_pref_size 0
		.amdhsa_round_robin_scheduling 0
		.amdhsa_exception_fp_ieee_invalid_op 0
		.amdhsa_exception_fp_denorm_src 0
		.amdhsa_exception_fp_ieee_div_zero 0
		.amdhsa_exception_fp_ieee_overflow 0
		.amdhsa_exception_fp_ieee_underflow 0
		.amdhsa_exception_fp_ieee_inexact 0
		.amdhsa_exception_int_div_zero 0
	.end_amdhsa_kernel
	.section	.text._ZN7rocprim17ROCPRIM_400000_NS6detail17trampoline_kernelINS0_14default_configENS1_25partition_config_selectorILNS1_17partition_subalgoE6EjNS0_10empty_typeEbEEZZNS1_14partition_implILS5_6ELb0ES3_mN6thrust23THRUST_200600_302600_NS6detail15normal_iteratorINSA_10device_ptrIjEEEEPS6_SG_NS0_5tupleIJSF_S6_EEENSH_IJSG_SG_EEES6_PlJNSB_9not_fun_tINSB_14equal_to_valueIjEEEEEEE10hipError_tPvRmT3_T4_T5_T6_T7_T9_mT8_P12ihipStream_tbDpT10_ENKUlT_T0_E_clISt17integral_constantIbLb0EES17_IbLb1EEEEDaS13_S14_EUlS13_E_NS1_11comp_targetILNS1_3genE4ELNS1_11target_archE910ELNS1_3gpuE8ELNS1_3repE0EEENS1_30default_config_static_selectorELNS0_4arch9wavefront6targetE0EEEvT1_,"axG",@progbits,_ZN7rocprim17ROCPRIM_400000_NS6detail17trampoline_kernelINS0_14default_configENS1_25partition_config_selectorILNS1_17partition_subalgoE6EjNS0_10empty_typeEbEEZZNS1_14partition_implILS5_6ELb0ES3_mN6thrust23THRUST_200600_302600_NS6detail15normal_iteratorINSA_10device_ptrIjEEEEPS6_SG_NS0_5tupleIJSF_S6_EEENSH_IJSG_SG_EEES6_PlJNSB_9not_fun_tINSB_14equal_to_valueIjEEEEEEE10hipError_tPvRmT3_T4_T5_T6_T7_T9_mT8_P12ihipStream_tbDpT10_ENKUlT_T0_E_clISt17integral_constantIbLb0EES17_IbLb1EEEEDaS13_S14_EUlS13_E_NS1_11comp_targetILNS1_3genE4ELNS1_11target_archE910ELNS1_3gpuE8ELNS1_3repE0EEENS1_30default_config_static_selectorELNS0_4arch9wavefront6targetE0EEEvT1_,comdat
.Lfunc_end399:
	.size	_ZN7rocprim17ROCPRIM_400000_NS6detail17trampoline_kernelINS0_14default_configENS1_25partition_config_selectorILNS1_17partition_subalgoE6EjNS0_10empty_typeEbEEZZNS1_14partition_implILS5_6ELb0ES3_mN6thrust23THRUST_200600_302600_NS6detail15normal_iteratorINSA_10device_ptrIjEEEEPS6_SG_NS0_5tupleIJSF_S6_EEENSH_IJSG_SG_EEES6_PlJNSB_9not_fun_tINSB_14equal_to_valueIjEEEEEEE10hipError_tPvRmT3_T4_T5_T6_T7_T9_mT8_P12ihipStream_tbDpT10_ENKUlT_T0_E_clISt17integral_constantIbLb0EES17_IbLb1EEEEDaS13_S14_EUlS13_E_NS1_11comp_targetILNS1_3genE4ELNS1_11target_archE910ELNS1_3gpuE8ELNS1_3repE0EEENS1_30default_config_static_selectorELNS0_4arch9wavefront6targetE0EEEvT1_, .Lfunc_end399-_ZN7rocprim17ROCPRIM_400000_NS6detail17trampoline_kernelINS0_14default_configENS1_25partition_config_selectorILNS1_17partition_subalgoE6EjNS0_10empty_typeEbEEZZNS1_14partition_implILS5_6ELb0ES3_mN6thrust23THRUST_200600_302600_NS6detail15normal_iteratorINSA_10device_ptrIjEEEEPS6_SG_NS0_5tupleIJSF_S6_EEENSH_IJSG_SG_EEES6_PlJNSB_9not_fun_tINSB_14equal_to_valueIjEEEEEEE10hipError_tPvRmT3_T4_T5_T6_T7_T9_mT8_P12ihipStream_tbDpT10_ENKUlT_T0_E_clISt17integral_constantIbLb0EES17_IbLb1EEEEDaS13_S14_EUlS13_E_NS1_11comp_targetILNS1_3genE4ELNS1_11target_archE910ELNS1_3gpuE8ELNS1_3repE0EEENS1_30default_config_static_selectorELNS0_4arch9wavefront6targetE0EEEvT1_
                                        ; -- End function
	.set _ZN7rocprim17ROCPRIM_400000_NS6detail17trampoline_kernelINS0_14default_configENS1_25partition_config_selectorILNS1_17partition_subalgoE6EjNS0_10empty_typeEbEEZZNS1_14partition_implILS5_6ELb0ES3_mN6thrust23THRUST_200600_302600_NS6detail15normal_iteratorINSA_10device_ptrIjEEEEPS6_SG_NS0_5tupleIJSF_S6_EEENSH_IJSG_SG_EEES6_PlJNSB_9not_fun_tINSB_14equal_to_valueIjEEEEEEE10hipError_tPvRmT3_T4_T5_T6_T7_T9_mT8_P12ihipStream_tbDpT10_ENKUlT_T0_E_clISt17integral_constantIbLb0EES17_IbLb1EEEEDaS13_S14_EUlS13_E_NS1_11comp_targetILNS1_3genE4ELNS1_11target_archE910ELNS1_3gpuE8ELNS1_3repE0EEENS1_30default_config_static_selectorELNS0_4arch9wavefront6targetE0EEEvT1_.num_vgpr, 0
	.set _ZN7rocprim17ROCPRIM_400000_NS6detail17trampoline_kernelINS0_14default_configENS1_25partition_config_selectorILNS1_17partition_subalgoE6EjNS0_10empty_typeEbEEZZNS1_14partition_implILS5_6ELb0ES3_mN6thrust23THRUST_200600_302600_NS6detail15normal_iteratorINSA_10device_ptrIjEEEEPS6_SG_NS0_5tupleIJSF_S6_EEENSH_IJSG_SG_EEES6_PlJNSB_9not_fun_tINSB_14equal_to_valueIjEEEEEEE10hipError_tPvRmT3_T4_T5_T6_T7_T9_mT8_P12ihipStream_tbDpT10_ENKUlT_T0_E_clISt17integral_constantIbLb0EES17_IbLb1EEEEDaS13_S14_EUlS13_E_NS1_11comp_targetILNS1_3genE4ELNS1_11target_archE910ELNS1_3gpuE8ELNS1_3repE0EEENS1_30default_config_static_selectorELNS0_4arch9wavefront6targetE0EEEvT1_.num_agpr, 0
	.set _ZN7rocprim17ROCPRIM_400000_NS6detail17trampoline_kernelINS0_14default_configENS1_25partition_config_selectorILNS1_17partition_subalgoE6EjNS0_10empty_typeEbEEZZNS1_14partition_implILS5_6ELb0ES3_mN6thrust23THRUST_200600_302600_NS6detail15normal_iteratorINSA_10device_ptrIjEEEEPS6_SG_NS0_5tupleIJSF_S6_EEENSH_IJSG_SG_EEES6_PlJNSB_9not_fun_tINSB_14equal_to_valueIjEEEEEEE10hipError_tPvRmT3_T4_T5_T6_T7_T9_mT8_P12ihipStream_tbDpT10_ENKUlT_T0_E_clISt17integral_constantIbLb0EES17_IbLb1EEEEDaS13_S14_EUlS13_E_NS1_11comp_targetILNS1_3genE4ELNS1_11target_archE910ELNS1_3gpuE8ELNS1_3repE0EEENS1_30default_config_static_selectorELNS0_4arch9wavefront6targetE0EEEvT1_.numbered_sgpr, 0
	.set _ZN7rocprim17ROCPRIM_400000_NS6detail17trampoline_kernelINS0_14default_configENS1_25partition_config_selectorILNS1_17partition_subalgoE6EjNS0_10empty_typeEbEEZZNS1_14partition_implILS5_6ELb0ES3_mN6thrust23THRUST_200600_302600_NS6detail15normal_iteratorINSA_10device_ptrIjEEEEPS6_SG_NS0_5tupleIJSF_S6_EEENSH_IJSG_SG_EEES6_PlJNSB_9not_fun_tINSB_14equal_to_valueIjEEEEEEE10hipError_tPvRmT3_T4_T5_T6_T7_T9_mT8_P12ihipStream_tbDpT10_ENKUlT_T0_E_clISt17integral_constantIbLb0EES17_IbLb1EEEEDaS13_S14_EUlS13_E_NS1_11comp_targetILNS1_3genE4ELNS1_11target_archE910ELNS1_3gpuE8ELNS1_3repE0EEENS1_30default_config_static_selectorELNS0_4arch9wavefront6targetE0EEEvT1_.num_named_barrier, 0
	.set _ZN7rocprim17ROCPRIM_400000_NS6detail17trampoline_kernelINS0_14default_configENS1_25partition_config_selectorILNS1_17partition_subalgoE6EjNS0_10empty_typeEbEEZZNS1_14partition_implILS5_6ELb0ES3_mN6thrust23THRUST_200600_302600_NS6detail15normal_iteratorINSA_10device_ptrIjEEEEPS6_SG_NS0_5tupleIJSF_S6_EEENSH_IJSG_SG_EEES6_PlJNSB_9not_fun_tINSB_14equal_to_valueIjEEEEEEE10hipError_tPvRmT3_T4_T5_T6_T7_T9_mT8_P12ihipStream_tbDpT10_ENKUlT_T0_E_clISt17integral_constantIbLb0EES17_IbLb1EEEEDaS13_S14_EUlS13_E_NS1_11comp_targetILNS1_3genE4ELNS1_11target_archE910ELNS1_3gpuE8ELNS1_3repE0EEENS1_30default_config_static_selectorELNS0_4arch9wavefront6targetE0EEEvT1_.private_seg_size, 0
	.set _ZN7rocprim17ROCPRIM_400000_NS6detail17trampoline_kernelINS0_14default_configENS1_25partition_config_selectorILNS1_17partition_subalgoE6EjNS0_10empty_typeEbEEZZNS1_14partition_implILS5_6ELb0ES3_mN6thrust23THRUST_200600_302600_NS6detail15normal_iteratorINSA_10device_ptrIjEEEEPS6_SG_NS0_5tupleIJSF_S6_EEENSH_IJSG_SG_EEES6_PlJNSB_9not_fun_tINSB_14equal_to_valueIjEEEEEEE10hipError_tPvRmT3_T4_T5_T6_T7_T9_mT8_P12ihipStream_tbDpT10_ENKUlT_T0_E_clISt17integral_constantIbLb0EES17_IbLb1EEEEDaS13_S14_EUlS13_E_NS1_11comp_targetILNS1_3genE4ELNS1_11target_archE910ELNS1_3gpuE8ELNS1_3repE0EEENS1_30default_config_static_selectorELNS0_4arch9wavefront6targetE0EEEvT1_.uses_vcc, 0
	.set _ZN7rocprim17ROCPRIM_400000_NS6detail17trampoline_kernelINS0_14default_configENS1_25partition_config_selectorILNS1_17partition_subalgoE6EjNS0_10empty_typeEbEEZZNS1_14partition_implILS5_6ELb0ES3_mN6thrust23THRUST_200600_302600_NS6detail15normal_iteratorINSA_10device_ptrIjEEEEPS6_SG_NS0_5tupleIJSF_S6_EEENSH_IJSG_SG_EEES6_PlJNSB_9not_fun_tINSB_14equal_to_valueIjEEEEEEE10hipError_tPvRmT3_T4_T5_T6_T7_T9_mT8_P12ihipStream_tbDpT10_ENKUlT_T0_E_clISt17integral_constantIbLb0EES17_IbLb1EEEEDaS13_S14_EUlS13_E_NS1_11comp_targetILNS1_3genE4ELNS1_11target_archE910ELNS1_3gpuE8ELNS1_3repE0EEENS1_30default_config_static_selectorELNS0_4arch9wavefront6targetE0EEEvT1_.uses_flat_scratch, 0
	.set _ZN7rocprim17ROCPRIM_400000_NS6detail17trampoline_kernelINS0_14default_configENS1_25partition_config_selectorILNS1_17partition_subalgoE6EjNS0_10empty_typeEbEEZZNS1_14partition_implILS5_6ELb0ES3_mN6thrust23THRUST_200600_302600_NS6detail15normal_iteratorINSA_10device_ptrIjEEEEPS6_SG_NS0_5tupleIJSF_S6_EEENSH_IJSG_SG_EEES6_PlJNSB_9not_fun_tINSB_14equal_to_valueIjEEEEEEE10hipError_tPvRmT3_T4_T5_T6_T7_T9_mT8_P12ihipStream_tbDpT10_ENKUlT_T0_E_clISt17integral_constantIbLb0EES17_IbLb1EEEEDaS13_S14_EUlS13_E_NS1_11comp_targetILNS1_3genE4ELNS1_11target_archE910ELNS1_3gpuE8ELNS1_3repE0EEENS1_30default_config_static_selectorELNS0_4arch9wavefront6targetE0EEEvT1_.has_dyn_sized_stack, 0
	.set _ZN7rocprim17ROCPRIM_400000_NS6detail17trampoline_kernelINS0_14default_configENS1_25partition_config_selectorILNS1_17partition_subalgoE6EjNS0_10empty_typeEbEEZZNS1_14partition_implILS5_6ELb0ES3_mN6thrust23THRUST_200600_302600_NS6detail15normal_iteratorINSA_10device_ptrIjEEEEPS6_SG_NS0_5tupleIJSF_S6_EEENSH_IJSG_SG_EEES6_PlJNSB_9not_fun_tINSB_14equal_to_valueIjEEEEEEE10hipError_tPvRmT3_T4_T5_T6_T7_T9_mT8_P12ihipStream_tbDpT10_ENKUlT_T0_E_clISt17integral_constantIbLb0EES17_IbLb1EEEEDaS13_S14_EUlS13_E_NS1_11comp_targetILNS1_3genE4ELNS1_11target_archE910ELNS1_3gpuE8ELNS1_3repE0EEENS1_30default_config_static_selectorELNS0_4arch9wavefront6targetE0EEEvT1_.has_recursion, 0
	.set _ZN7rocprim17ROCPRIM_400000_NS6detail17trampoline_kernelINS0_14default_configENS1_25partition_config_selectorILNS1_17partition_subalgoE6EjNS0_10empty_typeEbEEZZNS1_14partition_implILS5_6ELb0ES3_mN6thrust23THRUST_200600_302600_NS6detail15normal_iteratorINSA_10device_ptrIjEEEEPS6_SG_NS0_5tupleIJSF_S6_EEENSH_IJSG_SG_EEES6_PlJNSB_9not_fun_tINSB_14equal_to_valueIjEEEEEEE10hipError_tPvRmT3_T4_T5_T6_T7_T9_mT8_P12ihipStream_tbDpT10_ENKUlT_T0_E_clISt17integral_constantIbLb0EES17_IbLb1EEEEDaS13_S14_EUlS13_E_NS1_11comp_targetILNS1_3genE4ELNS1_11target_archE910ELNS1_3gpuE8ELNS1_3repE0EEENS1_30default_config_static_selectorELNS0_4arch9wavefront6targetE0EEEvT1_.has_indirect_call, 0
	.section	.AMDGPU.csdata,"",@progbits
; Kernel info:
; codeLenInByte = 0
; TotalNumSgprs: 0
; NumVgprs: 0
; ScratchSize: 0
; MemoryBound: 0
; FloatMode: 240
; IeeeMode: 1
; LDSByteSize: 0 bytes/workgroup (compile time only)
; SGPRBlocks: 0
; VGPRBlocks: 0
; NumSGPRsForWavesPerEU: 1
; NumVGPRsForWavesPerEU: 1
; Occupancy: 16
; WaveLimiterHint : 0
; COMPUTE_PGM_RSRC2:SCRATCH_EN: 0
; COMPUTE_PGM_RSRC2:USER_SGPR: 2
; COMPUTE_PGM_RSRC2:TRAP_HANDLER: 0
; COMPUTE_PGM_RSRC2:TGID_X_EN: 1
; COMPUTE_PGM_RSRC2:TGID_Y_EN: 0
; COMPUTE_PGM_RSRC2:TGID_Z_EN: 0
; COMPUTE_PGM_RSRC2:TIDIG_COMP_CNT: 0
	.section	.text._ZN7rocprim17ROCPRIM_400000_NS6detail17trampoline_kernelINS0_14default_configENS1_25partition_config_selectorILNS1_17partition_subalgoE6EjNS0_10empty_typeEbEEZZNS1_14partition_implILS5_6ELb0ES3_mN6thrust23THRUST_200600_302600_NS6detail15normal_iteratorINSA_10device_ptrIjEEEEPS6_SG_NS0_5tupleIJSF_S6_EEENSH_IJSG_SG_EEES6_PlJNSB_9not_fun_tINSB_14equal_to_valueIjEEEEEEE10hipError_tPvRmT3_T4_T5_T6_T7_T9_mT8_P12ihipStream_tbDpT10_ENKUlT_T0_E_clISt17integral_constantIbLb0EES17_IbLb1EEEEDaS13_S14_EUlS13_E_NS1_11comp_targetILNS1_3genE3ELNS1_11target_archE908ELNS1_3gpuE7ELNS1_3repE0EEENS1_30default_config_static_selectorELNS0_4arch9wavefront6targetE0EEEvT1_,"axG",@progbits,_ZN7rocprim17ROCPRIM_400000_NS6detail17trampoline_kernelINS0_14default_configENS1_25partition_config_selectorILNS1_17partition_subalgoE6EjNS0_10empty_typeEbEEZZNS1_14partition_implILS5_6ELb0ES3_mN6thrust23THRUST_200600_302600_NS6detail15normal_iteratorINSA_10device_ptrIjEEEEPS6_SG_NS0_5tupleIJSF_S6_EEENSH_IJSG_SG_EEES6_PlJNSB_9not_fun_tINSB_14equal_to_valueIjEEEEEEE10hipError_tPvRmT3_T4_T5_T6_T7_T9_mT8_P12ihipStream_tbDpT10_ENKUlT_T0_E_clISt17integral_constantIbLb0EES17_IbLb1EEEEDaS13_S14_EUlS13_E_NS1_11comp_targetILNS1_3genE3ELNS1_11target_archE908ELNS1_3gpuE7ELNS1_3repE0EEENS1_30default_config_static_selectorELNS0_4arch9wavefront6targetE0EEEvT1_,comdat
	.protected	_ZN7rocprim17ROCPRIM_400000_NS6detail17trampoline_kernelINS0_14default_configENS1_25partition_config_selectorILNS1_17partition_subalgoE6EjNS0_10empty_typeEbEEZZNS1_14partition_implILS5_6ELb0ES3_mN6thrust23THRUST_200600_302600_NS6detail15normal_iteratorINSA_10device_ptrIjEEEEPS6_SG_NS0_5tupleIJSF_S6_EEENSH_IJSG_SG_EEES6_PlJNSB_9not_fun_tINSB_14equal_to_valueIjEEEEEEE10hipError_tPvRmT3_T4_T5_T6_T7_T9_mT8_P12ihipStream_tbDpT10_ENKUlT_T0_E_clISt17integral_constantIbLb0EES17_IbLb1EEEEDaS13_S14_EUlS13_E_NS1_11comp_targetILNS1_3genE3ELNS1_11target_archE908ELNS1_3gpuE7ELNS1_3repE0EEENS1_30default_config_static_selectorELNS0_4arch9wavefront6targetE0EEEvT1_ ; -- Begin function _ZN7rocprim17ROCPRIM_400000_NS6detail17trampoline_kernelINS0_14default_configENS1_25partition_config_selectorILNS1_17partition_subalgoE6EjNS0_10empty_typeEbEEZZNS1_14partition_implILS5_6ELb0ES3_mN6thrust23THRUST_200600_302600_NS6detail15normal_iteratorINSA_10device_ptrIjEEEEPS6_SG_NS0_5tupleIJSF_S6_EEENSH_IJSG_SG_EEES6_PlJNSB_9not_fun_tINSB_14equal_to_valueIjEEEEEEE10hipError_tPvRmT3_T4_T5_T6_T7_T9_mT8_P12ihipStream_tbDpT10_ENKUlT_T0_E_clISt17integral_constantIbLb0EES17_IbLb1EEEEDaS13_S14_EUlS13_E_NS1_11comp_targetILNS1_3genE3ELNS1_11target_archE908ELNS1_3gpuE7ELNS1_3repE0EEENS1_30default_config_static_selectorELNS0_4arch9wavefront6targetE0EEEvT1_
	.globl	_ZN7rocprim17ROCPRIM_400000_NS6detail17trampoline_kernelINS0_14default_configENS1_25partition_config_selectorILNS1_17partition_subalgoE6EjNS0_10empty_typeEbEEZZNS1_14partition_implILS5_6ELb0ES3_mN6thrust23THRUST_200600_302600_NS6detail15normal_iteratorINSA_10device_ptrIjEEEEPS6_SG_NS0_5tupleIJSF_S6_EEENSH_IJSG_SG_EEES6_PlJNSB_9not_fun_tINSB_14equal_to_valueIjEEEEEEE10hipError_tPvRmT3_T4_T5_T6_T7_T9_mT8_P12ihipStream_tbDpT10_ENKUlT_T0_E_clISt17integral_constantIbLb0EES17_IbLb1EEEEDaS13_S14_EUlS13_E_NS1_11comp_targetILNS1_3genE3ELNS1_11target_archE908ELNS1_3gpuE7ELNS1_3repE0EEENS1_30default_config_static_selectorELNS0_4arch9wavefront6targetE0EEEvT1_
	.p2align	8
	.type	_ZN7rocprim17ROCPRIM_400000_NS6detail17trampoline_kernelINS0_14default_configENS1_25partition_config_selectorILNS1_17partition_subalgoE6EjNS0_10empty_typeEbEEZZNS1_14partition_implILS5_6ELb0ES3_mN6thrust23THRUST_200600_302600_NS6detail15normal_iteratorINSA_10device_ptrIjEEEEPS6_SG_NS0_5tupleIJSF_S6_EEENSH_IJSG_SG_EEES6_PlJNSB_9not_fun_tINSB_14equal_to_valueIjEEEEEEE10hipError_tPvRmT3_T4_T5_T6_T7_T9_mT8_P12ihipStream_tbDpT10_ENKUlT_T0_E_clISt17integral_constantIbLb0EES17_IbLb1EEEEDaS13_S14_EUlS13_E_NS1_11comp_targetILNS1_3genE3ELNS1_11target_archE908ELNS1_3gpuE7ELNS1_3repE0EEENS1_30default_config_static_selectorELNS0_4arch9wavefront6targetE0EEEvT1_,@function
_ZN7rocprim17ROCPRIM_400000_NS6detail17trampoline_kernelINS0_14default_configENS1_25partition_config_selectorILNS1_17partition_subalgoE6EjNS0_10empty_typeEbEEZZNS1_14partition_implILS5_6ELb0ES3_mN6thrust23THRUST_200600_302600_NS6detail15normal_iteratorINSA_10device_ptrIjEEEEPS6_SG_NS0_5tupleIJSF_S6_EEENSH_IJSG_SG_EEES6_PlJNSB_9not_fun_tINSB_14equal_to_valueIjEEEEEEE10hipError_tPvRmT3_T4_T5_T6_T7_T9_mT8_P12ihipStream_tbDpT10_ENKUlT_T0_E_clISt17integral_constantIbLb0EES17_IbLb1EEEEDaS13_S14_EUlS13_E_NS1_11comp_targetILNS1_3genE3ELNS1_11target_archE908ELNS1_3gpuE7ELNS1_3repE0EEENS1_30default_config_static_selectorELNS0_4arch9wavefront6targetE0EEEvT1_: ; @_ZN7rocprim17ROCPRIM_400000_NS6detail17trampoline_kernelINS0_14default_configENS1_25partition_config_selectorILNS1_17partition_subalgoE6EjNS0_10empty_typeEbEEZZNS1_14partition_implILS5_6ELb0ES3_mN6thrust23THRUST_200600_302600_NS6detail15normal_iteratorINSA_10device_ptrIjEEEEPS6_SG_NS0_5tupleIJSF_S6_EEENSH_IJSG_SG_EEES6_PlJNSB_9not_fun_tINSB_14equal_to_valueIjEEEEEEE10hipError_tPvRmT3_T4_T5_T6_T7_T9_mT8_P12ihipStream_tbDpT10_ENKUlT_T0_E_clISt17integral_constantIbLb0EES17_IbLb1EEEEDaS13_S14_EUlS13_E_NS1_11comp_targetILNS1_3genE3ELNS1_11target_archE908ELNS1_3gpuE7ELNS1_3repE0EEENS1_30default_config_static_selectorELNS0_4arch9wavefront6targetE0EEEvT1_
; %bb.0:
	.section	.rodata,"a",@progbits
	.p2align	6, 0x0
	.amdhsa_kernel _ZN7rocprim17ROCPRIM_400000_NS6detail17trampoline_kernelINS0_14default_configENS1_25partition_config_selectorILNS1_17partition_subalgoE6EjNS0_10empty_typeEbEEZZNS1_14partition_implILS5_6ELb0ES3_mN6thrust23THRUST_200600_302600_NS6detail15normal_iteratorINSA_10device_ptrIjEEEEPS6_SG_NS0_5tupleIJSF_S6_EEENSH_IJSG_SG_EEES6_PlJNSB_9not_fun_tINSB_14equal_to_valueIjEEEEEEE10hipError_tPvRmT3_T4_T5_T6_T7_T9_mT8_P12ihipStream_tbDpT10_ENKUlT_T0_E_clISt17integral_constantIbLb0EES17_IbLb1EEEEDaS13_S14_EUlS13_E_NS1_11comp_targetILNS1_3genE3ELNS1_11target_archE908ELNS1_3gpuE7ELNS1_3repE0EEENS1_30default_config_static_selectorELNS0_4arch9wavefront6targetE0EEEvT1_
		.amdhsa_group_segment_fixed_size 0
		.amdhsa_private_segment_fixed_size 0
		.amdhsa_kernarg_size 128
		.amdhsa_user_sgpr_count 2
		.amdhsa_user_sgpr_dispatch_ptr 0
		.amdhsa_user_sgpr_queue_ptr 0
		.amdhsa_user_sgpr_kernarg_segment_ptr 1
		.amdhsa_user_sgpr_dispatch_id 0
		.amdhsa_user_sgpr_private_segment_size 0
		.amdhsa_wavefront_size32 1
		.amdhsa_uses_dynamic_stack 0
		.amdhsa_enable_private_segment 0
		.amdhsa_system_sgpr_workgroup_id_x 1
		.amdhsa_system_sgpr_workgroup_id_y 0
		.amdhsa_system_sgpr_workgroup_id_z 0
		.amdhsa_system_sgpr_workgroup_info 0
		.amdhsa_system_vgpr_workitem_id 0
		.amdhsa_next_free_vgpr 1
		.amdhsa_next_free_sgpr 1
		.amdhsa_reserve_vcc 0
		.amdhsa_float_round_mode_32 0
		.amdhsa_float_round_mode_16_64 0
		.amdhsa_float_denorm_mode_32 3
		.amdhsa_float_denorm_mode_16_64 3
		.amdhsa_fp16_overflow 0
		.amdhsa_workgroup_processor_mode 1
		.amdhsa_memory_ordered 1
		.amdhsa_forward_progress 1
		.amdhsa_inst_pref_size 0
		.amdhsa_round_robin_scheduling 0
		.amdhsa_exception_fp_ieee_invalid_op 0
		.amdhsa_exception_fp_denorm_src 0
		.amdhsa_exception_fp_ieee_div_zero 0
		.amdhsa_exception_fp_ieee_overflow 0
		.amdhsa_exception_fp_ieee_underflow 0
		.amdhsa_exception_fp_ieee_inexact 0
		.amdhsa_exception_int_div_zero 0
	.end_amdhsa_kernel
	.section	.text._ZN7rocprim17ROCPRIM_400000_NS6detail17trampoline_kernelINS0_14default_configENS1_25partition_config_selectorILNS1_17partition_subalgoE6EjNS0_10empty_typeEbEEZZNS1_14partition_implILS5_6ELb0ES3_mN6thrust23THRUST_200600_302600_NS6detail15normal_iteratorINSA_10device_ptrIjEEEEPS6_SG_NS0_5tupleIJSF_S6_EEENSH_IJSG_SG_EEES6_PlJNSB_9not_fun_tINSB_14equal_to_valueIjEEEEEEE10hipError_tPvRmT3_T4_T5_T6_T7_T9_mT8_P12ihipStream_tbDpT10_ENKUlT_T0_E_clISt17integral_constantIbLb0EES17_IbLb1EEEEDaS13_S14_EUlS13_E_NS1_11comp_targetILNS1_3genE3ELNS1_11target_archE908ELNS1_3gpuE7ELNS1_3repE0EEENS1_30default_config_static_selectorELNS0_4arch9wavefront6targetE0EEEvT1_,"axG",@progbits,_ZN7rocprim17ROCPRIM_400000_NS6detail17trampoline_kernelINS0_14default_configENS1_25partition_config_selectorILNS1_17partition_subalgoE6EjNS0_10empty_typeEbEEZZNS1_14partition_implILS5_6ELb0ES3_mN6thrust23THRUST_200600_302600_NS6detail15normal_iteratorINSA_10device_ptrIjEEEEPS6_SG_NS0_5tupleIJSF_S6_EEENSH_IJSG_SG_EEES6_PlJNSB_9not_fun_tINSB_14equal_to_valueIjEEEEEEE10hipError_tPvRmT3_T4_T5_T6_T7_T9_mT8_P12ihipStream_tbDpT10_ENKUlT_T0_E_clISt17integral_constantIbLb0EES17_IbLb1EEEEDaS13_S14_EUlS13_E_NS1_11comp_targetILNS1_3genE3ELNS1_11target_archE908ELNS1_3gpuE7ELNS1_3repE0EEENS1_30default_config_static_selectorELNS0_4arch9wavefront6targetE0EEEvT1_,comdat
.Lfunc_end400:
	.size	_ZN7rocprim17ROCPRIM_400000_NS6detail17trampoline_kernelINS0_14default_configENS1_25partition_config_selectorILNS1_17partition_subalgoE6EjNS0_10empty_typeEbEEZZNS1_14partition_implILS5_6ELb0ES3_mN6thrust23THRUST_200600_302600_NS6detail15normal_iteratorINSA_10device_ptrIjEEEEPS6_SG_NS0_5tupleIJSF_S6_EEENSH_IJSG_SG_EEES6_PlJNSB_9not_fun_tINSB_14equal_to_valueIjEEEEEEE10hipError_tPvRmT3_T4_T5_T6_T7_T9_mT8_P12ihipStream_tbDpT10_ENKUlT_T0_E_clISt17integral_constantIbLb0EES17_IbLb1EEEEDaS13_S14_EUlS13_E_NS1_11comp_targetILNS1_3genE3ELNS1_11target_archE908ELNS1_3gpuE7ELNS1_3repE0EEENS1_30default_config_static_selectorELNS0_4arch9wavefront6targetE0EEEvT1_, .Lfunc_end400-_ZN7rocprim17ROCPRIM_400000_NS6detail17trampoline_kernelINS0_14default_configENS1_25partition_config_selectorILNS1_17partition_subalgoE6EjNS0_10empty_typeEbEEZZNS1_14partition_implILS5_6ELb0ES3_mN6thrust23THRUST_200600_302600_NS6detail15normal_iteratorINSA_10device_ptrIjEEEEPS6_SG_NS0_5tupleIJSF_S6_EEENSH_IJSG_SG_EEES6_PlJNSB_9not_fun_tINSB_14equal_to_valueIjEEEEEEE10hipError_tPvRmT3_T4_T5_T6_T7_T9_mT8_P12ihipStream_tbDpT10_ENKUlT_T0_E_clISt17integral_constantIbLb0EES17_IbLb1EEEEDaS13_S14_EUlS13_E_NS1_11comp_targetILNS1_3genE3ELNS1_11target_archE908ELNS1_3gpuE7ELNS1_3repE0EEENS1_30default_config_static_selectorELNS0_4arch9wavefront6targetE0EEEvT1_
                                        ; -- End function
	.set _ZN7rocprim17ROCPRIM_400000_NS6detail17trampoline_kernelINS0_14default_configENS1_25partition_config_selectorILNS1_17partition_subalgoE6EjNS0_10empty_typeEbEEZZNS1_14partition_implILS5_6ELb0ES3_mN6thrust23THRUST_200600_302600_NS6detail15normal_iteratorINSA_10device_ptrIjEEEEPS6_SG_NS0_5tupleIJSF_S6_EEENSH_IJSG_SG_EEES6_PlJNSB_9not_fun_tINSB_14equal_to_valueIjEEEEEEE10hipError_tPvRmT3_T4_T5_T6_T7_T9_mT8_P12ihipStream_tbDpT10_ENKUlT_T0_E_clISt17integral_constantIbLb0EES17_IbLb1EEEEDaS13_S14_EUlS13_E_NS1_11comp_targetILNS1_3genE3ELNS1_11target_archE908ELNS1_3gpuE7ELNS1_3repE0EEENS1_30default_config_static_selectorELNS0_4arch9wavefront6targetE0EEEvT1_.num_vgpr, 0
	.set _ZN7rocprim17ROCPRIM_400000_NS6detail17trampoline_kernelINS0_14default_configENS1_25partition_config_selectorILNS1_17partition_subalgoE6EjNS0_10empty_typeEbEEZZNS1_14partition_implILS5_6ELb0ES3_mN6thrust23THRUST_200600_302600_NS6detail15normal_iteratorINSA_10device_ptrIjEEEEPS6_SG_NS0_5tupleIJSF_S6_EEENSH_IJSG_SG_EEES6_PlJNSB_9not_fun_tINSB_14equal_to_valueIjEEEEEEE10hipError_tPvRmT3_T4_T5_T6_T7_T9_mT8_P12ihipStream_tbDpT10_ENKUlT_T0_E_clISt17integral_constantIbLb0EES17_IbLb1EEEEDaS13_S14_EUlS13_E_NS1_11comp_targetILNS1_3genE3ELNS1_11target_archE908ELNS1_3gpuE7ELNS1_3repE0EEENS1_30default_config_static_selectorELNS0_4arch9wavefront6targetE0EEEvT1_.num_agpr, 0
	.set _ZN7rocprim17ROCPRIM_400000_NS6detail17trampoline_kernelINS0_14default_configENS1_25partition_config_selectorILNS1_17partition_subalgoE6EjNS0_10empty_typeEbEEZZNS1_14partition_implILS5_6ELb0ES3_mN6thrust23THRUST_200600_302600_NS6detail15normal_iteratorINSA_10device_ptrIjEEEEPS6_SG_NS0_5tupleIJSF_S6_EEENSH_IJSG_SG_EEES6_PlJNSB_9not_fun_tINSB_14equal_to_valueIjEEEEEEE10hipError_tPvRmT3_T4_T5_T6_T7_T9_mT8_P12ihipStream_tbDpT10_ENKUlT_T0_E_clISt17integral_constantIbLb0EES17_IbLb1EEEEDaS13_S14_EUlS13_E_NS1_11comp_targetILNS1_3genE3ELNS1_11target_archE908ELNS1_3gpuE7ELNS1_3repE0EEENS1_30default_config_static_selectorELNS0_4arch9wavefront6targetE0EEEvT1_.numbered_sgpr, 0
	.set _ZN7rocprim17ROCPRIM_400000_NS6detail17trampoline_kernelINS0_14default_configENS1_25partition_config_selectorILNS1_17partition_subalgoE6EjNS0_10empty_typeEbEEZZNS1_14partition_implILS5_6ELb0ES3_mN6thrust23THRUST_200600_302600_NS6detail15normal_iteratorINSA_10device_ptrIjEEEEPS6_SG_NS0_5tupleIJSF_S6_EEENSH_IJSG_SG_EEES6_PlJNSB_9not_fun_tINSB_14equal_to_valueIjEEEEEEE10hipError_tPvRmT3_T4_T5_T6_T7_T9_mT8_P12ihipStream_tbDpT10_ENKUlT_T0_E_clISt17integral_constantIbLb0EES17_IbLb1EEEEDaS13_S14_EUlS13_E_NS1_11comp_targetILNS1_3genE3ELNS1_11target_archE908ELNS1_3gpuE7ELNS1_3repE0EEENS1_30default_config_static_selectorELNS0_4arch9wavefront6targetE0EEEvT1_.num_named_barrier, 0
	.set _ZN7rocprim17ROCPRIM_400000_NS6detail17trampoline_kernelINS0_14default_configENS1_25partition_config_selectorILNS1_17partition_subalgoE6EjNS0_10empty_typeEbEEZZNS1_14partition_implILS5_6ELb0ES3_mN6thrust23THRUST_200600_302600_NS6detail15normal_iteratorINSA_10device_ptrIjEEEEPS6_SG_NS0_5tupleIJSF_S6_EEENSH_IJSG_SG_EEES6_PlJNSB_9not_fun_tINSB_14equal_to_valueIjEEEEEEE10hipError_tPvRmT3_T4_T5_T6_T7_T9_mT8_P12ihipStream_tbDpT10_ENKUlT_T0_E_clISt17integral_constantIbLb0EES17_IbLb1EEEEDaS13_S14_EUlS13_E_NS1_11comp_targetILNS1_3genE3ELNS1_11target_archE908ELNS1_3gpuE7ELNS1_3repE0EEENS1_30default_config_static_selectorELNS0_4arch9wavefront6targetE0EEEvT1_.private_seg_size, 0
	.set _ZN7rocprim17ROCPRIM_400000_NS6detail17trampoline_kernelINS0_14default_configENS1_25partition_config_selectorILNS1_17partition_subalgoE6EjNS0_10empty_typeEbEEZZNS1_14partition_implILS5_6ELb0ES3_mN6thrust23THRUST_200600_302600_NS6detail15normal_iteratorINSA_10device_ptrIjEEEEPS6_SG_NS0_5tupleIJSF_S6_EEENSH_IJSG_SG_EEES6_PlJNSB_9not_fun_tINSB_14equal_to_valueIjEEEEEEE10hipError_tPvRmT3_T4_T5_T6_T7_T9_mT8_P12ihipStream_tbDpT10_ENKUlT_T0_E_clISt17integral_constantIbLb0EES17_IbLb1EEEEDaS13_S14_EUlS13_E_NS1_11comp_targetILNS1_3genE3ELNS1_11target_archE908ELNS1_3gpuE7ELNS1_3repE0EEENS1_30default_config_static_selectorELNS0_4arch9wavefront6targetE0EEEvT1_.uses_vcc, 0
	.set _ZN7rocprim17ROCPRIM_400000_NS6detail17trampoline_kernelINS0_14default_configENS1_25partition_config_selectorILNS1_17partition_subalgoE6EjNS0_10empty_typeEbEEZZNS1_14partition_implILS5_6ELb0ES3_mN6thrust23THRUST_200600_302600_NS6detail15normal_iteratorINSA_10device_ptrIjEEEEPS6_SG_NS0_5tupleIJSF_S6_EEENSH_IJSG_SG_EEES6_PlJNSB_9not_fun_tINSB_14equal_to_valueIjEEEEEEE10hipError_tPvRmT3_T4_T5_T6_T7_T9_mT8_P12ihipStream_tbDpT10_ENKUlT_T0_E_clISt17integral_constantIbLb0EES17_IbLb1EEEEDaS13_S14_EUlS13_E_NS1_11comp_targetILNS1_3genE3ELNS1_11target_archE908ELNS1_3gpuE7ELNS1_3repE0EEENS1_30default_config_static_selectorELNS0_4arch9wavefront6targetE0EEEvT1_.uses_flat_scratch, 0
	.set _ZN7rocprim17ROCPRIM_400000_NS6detail17trampoline_kernelINS0_14default_configENS1_25partition_config_selectorILNS1_17partition_subalgoE6EjNS0_10empty_typeEbEEZZNS1_14partition_implILS5_6ELb0ES3_mN6thrust23THRUST_200600_302600_NS6detail15normal_iteratorINSA_10device_ptrIjEEEEPS6_SG_NS0_5tupleIJSF_S6_EEENSH_IJSG_SG_EEES6_PlJNSB_9not_fun_tINSB_14equal_to_valueIjEEEEEEE10hipError_tPvRmT3_T4_T5_T6_T7_T9_mT8_P12ihipStream_tbDpT10_ENKUlT_T0_E_clISt17integral_constantIbLb0EES17_IbLb1EEEEDaS13_S14_EUlS13_E_NS1_11comp_targetILNS1_3genE3ELNS1_11target_archE908ELNS1_3gpuE7ELNS1_3repE0EEENS1_30default_config_static_selectorELNS0_4arch9wavefront6targetE0EEEvT1_.has_dyn_sized_stack, 0
	.set _ZN7rocprim17ROCPRIM_400000_NS6detail17trampoline_kernelINS0_14default_configENS1_25partition_config_selectorILNS1_17partition_subalgoE6EjNS0_10empty_typeEbEEZZNS1_14partition_implILS5_6ELb0ES3_mN6thrust23THRUST_200600_302600_NS6detail15normal_iteratorINSA_10device_ptrIjEEEEPS6_SG_NS0_5tupleIJSF_S6_EEENSH_IJSG_SG_EEES6_PlJNSB_9not_fun_tINSB_14equal_to_valueIjEEEEEEE10hipError_tPvRmT3_T4_T5_T6_T7_T9_mT8_P12ihipStream_tbDpT10_ENKUlT_T0_E_clISt17integral_constantIbLb0EES17_IbLb1EEEEDaS13_S14_EUlS13_E_NS1_11comp_targetILNS1_3genE3ELNS1_11target_archE908ELNS1_3gpuE7ELNS1_3repE0EEENS1_30default_config_static_selectorELNS0_4arch9wavefront6targetE0EEEvT1_.has_recursion, 0
	.set _ZN7rocprim17ROCPRIM_400000_NS6detail17trampoline_kernelINS0_14default_configENS1_25partition_config_selectorILNS1_17partition_subalgoE6EjNS0_10empty_typeEbEEZZNS1_14partition_implILS5_6ELb0ES3_mN6thrust23THRUST_200600_302600_NS6detail15normal_iteratorINSA_10device_ptrIjEEEEPS6_SG_NS0_5tupleIJSF_S6_EEENSH_IJSG_SG_EEES6_PlJNSB_9not_fun_tINSB_14equal_to_valueIjEEEEEEE10hipError_tPvRmT3_T4_T5_T6_T7_T9_mT8_P12ihipStream_tbDpT10_ENKUlT_T0_E_clISt17integral_constantIbLb0EES17_IbLb1EEEEDaS13_S14_EUlS13_E_NS1_11comp_targetILNS1_3genE3ELNS1_11target_archE908ELNS1_3gpuE7ELNS1_3repE0EEENS1_30default_config_static_selectorELNS0_4arch9wavefront6targetE0EEEvT1_.has_indirect_call, 0
	.section	.AMDGPU.csdata,"",@progbits
; Kernel info:
; codeLenInByte = 0
; TotalNumSgprs: 0
; NumVgprs: 0
; ScratchSize: 0
; MemoryBound: 0
; FloatMode: 240
; IeeeMode: 1
; LDSByteSize: 0 bytes/workgroup (compile time only)
; SGPRBlocks: 0
; VGPRBlocks: 0
; NumSGPRsForWavesPerEU: 1
; NumVGPRsForWavesPerEU: 1
; Occupancy: 16
; WaveLimiterHint : 0
; COMPUTE_PGM_RSRC2:SCRATCH_EN: 0
; COMPUTE_PGM_RSRC2:USER_SGPR: 2
; COMPUTE_PGM_RSRC2:TRAP_HANDLER: 0
; COMPUTE_PGM_RSRC2:TGID_X_EN: 1
; COMPUTE_PGM_RSRC2:TGID_Y_EN: 0
; COMPUTE_PGM_RSRC2:TGID_Z_EN: 0
; COMPUTE_PGM_RSRC2:TIDIG_COMP_CNT: 0
	.section	.text._ZN7rocprim17ROCPRIM_400000_NS6detail17trampoline_kernelINS0_14default_configENS1_25partition_config_selectorILNS1_17partition_subalgoE6EjNS0_10empty_typeEbEEZZNS1_14partition_implILS5_6ELb0ES3_mN6thrust23THRUST_200600_302600_NS6detail15normal_iteratorINSA_10device_ptrIjEEEEPS6_SG_NS0_5tupleIJSF_S6_EEENSH_IJSG_SG_EEES6_PlJNSB_9not_fun_tINSB_14equal_to_valueIjEEEEEEE10hipError_tPvRmT3_T4_T5_T6_T7_T9_mT8_P12ihipStream_tbDpT10_ENKUlT_T0_E_clISt17integral_constantIbLb0EES17_IbLb1EEEEDaS13_S14_EUlS13_E_NS1_11comp_targetILNS1_3genE2ELNS1_11target_archE906ELNS1_3gpuE6ELNS1_3repE0EEENS1_30default_config_static_selectorELNS0_4arch9wavefront6targetE0EEEvT1_,"axG",@progbits,_ZN7rocprim17ROCPRIM_400000_NS6detail17trampoline_kernelINS0_14default_configENS1_25partition_config_selectorILNS1_17partition_subalgoE6EjNS0_10empty_typeEbEEZZNS1_14partition_implILS5_6ELb0ES3_mN6thrust23THRUST_200600_302600_NS6detail15normal_iteratorINSA_10device_ptrIjEEEEPS6_SG_NS0_5tupleIJSF_S6_EEENSH_IJSG_SG_EEES6_PlJNSB_9not_fun_tINSB_14equal_to_valueIjEEEEEEE10hipError_tPvRmT3_T4_T5_T6_T7_T9_mT8_P12ihipStream_tbDpT10_ENKUlT_T0_E_clISt17integral_constantIbLb0EES17_IbLb1EEEEDaS13_S14_EUlS13_E_NS1_11comp_targetILNS1_3genE2ELNS1_11target_archE906ELNS1_3gpuE6ELNS1_3repE0EEENS1_30default_config_static_selectorELNS0_4arch9wavefront6targetE0EEEvT1_,comdat
	.protected	_ZN7rocprim17ROCPRIM_400000_NS6detail17trampoline_kernelINS0_14default_configENS1_25partition_config_selectorILNS1_17partition_subalgoE6EjNS0_10empty_typeEbEEZZNS1_14partition_implILS5_6ELb0ES3_mN6thrust23THRUST_200600_302600_NS6detail15normal_iteratorINSA_10device_ptrIjEEEEPS6_SG_NS0_5tupleIJSF_S6_EEENSH_IJSG_SG_EEES6_PlJNSB_9not_fun_tINSB_14equal_to_valueIjEEEEEEE10hipError_tPvRmT3_T4_T5_T6_T7_T9_mT8_P12ihipStream_tbDpT10_ENKUlT_T0_E_clISt17integral_constantIbLb0EES17_IbLb1EEEEDaS13_S14_EUlS13_E_NS1_11comp_targetILNS1_3genE2ELNS1_11target_archE906ELNS1_3gpuE6ELNS1_3repE0EEENS1_30default_config_static_selectorELNS0_4arch9wavefront6targetE0EEEvT1_ ; -- Begin function _ZN7rocprim17ROCPRIM_400000_NS6detail17trampoline_kernelINS0_14default_configENS1_25partition_config_selectorILNS1_17partition_subalgoE6EjNS0_10empty_typeEbEEZZNS1_14partition_implILS5_6ELb0ES3_mN6thrust23THRUST_200600_302600_NS6detail15normal_iteratorINSA_10device_ptrIjEEEEPS6_SG_NS0_5tupleIJSF_S6_EEENSH_IJSG_SG_EEES6_PlJNSB_9not_fun_tINSB_14equal_to_valueIjEEEEEEE10hipError_tPvRmT3_T4_T5_T6_T7_T9_mT8_P12ihipStream_tbDpT10_ENKUlT_T0_E_clISt17integral_constantIbLb0EES17_IbLb1EEEEDaS13_S14_EUlS13_E_NS1_11comp_targetILNS1_3genE2ELNS1_11target_archE906ELNS1_3gpuE6ELNS1_3repE0EEENS1_30default_config_static_selectorELNS0_4arch9wavefront6targetE0EEEvT1_
	.globl	_ZN7rocprim17ROCPRIM_400000_NS6detail17trampoline_kernelINS0_14default_configENS1_25partition_config_selectorILNS1_17partition_subalgoE6EjNS0_10empty_typeEbEEZZNS1_14partition_implILS5_6ELb0ES3_mN6thrust23THRUST_200600_302600_NS6detail15normal_iteratorINSA_10device_ptrIjEEEEPS6_SG_NS0_5tupleIJSF_S6_EEENSH_IJSG_SG_EEES6_PlJNSB_9not_fun_tINSB_14equal_to_valueIjEEEEEEE10hipError_tPvRmT3_T4_T5_T6_T7_T9_mT8_P12ihipStream_tbDpT10_ENKUlT_T0_E_clISt17integral_constantIbLb0EES17_IbLb1EEEEDaS13_S14_EUlS13_E_NS1_11comp_targetILNS1_3genE2ELNS1_11target_archE906ELNS1_3gpuE6ELNS1_3repE0EEENS1_30default_config_static_selectorELNS0_4arch9wavefront6targetE0EEEvT1_
	.p2align	8
	.type	_ZN7rocprim17ROCPRIM_400000_NS6detail17trampoline_kernelINS0_14default_configENS1_25partition_config_selectorILNS1_17partition_subalgoE6EjNS0_10empty_typeEbEEZZNS1_14partition_implILS5_6ELb0ES3_mN6thrust23THRUST_200600_302600_NS6detail15normal_iteratorINSA_10device_ptrIjEEEEPS6_SG_NS0_5tupleIJSF_S6_EEENSH_IJSG_SG_EEES6_PlJNSB_9not_fun_tINSB_14equal_to_valueIjEEEEEEE10hipError_tPvRmT3_T4_T5_T6_T7_T9_mT8_P12ihipStream_tbDpT10_ENKUlT_T0_E_clISt17integral_constantIbLb0EES17_IbLb1EEEEDaS13_S14_EUlS13_E_NS1_11comp_targetILNS1_3genE2ELNS1_11target_archE906ELNS1_3gpuE6ELNS1_3repE0EEENS1_30default_config_static_selectorELNS0_4arch9wavefront6targetE0EEEvT1_,@function
_ZN7rocprim17ROCPRIM_400000_NS6detail17trampoline_kernelINS0_14default_configENS1_25partition_config_selectorILNS1_17partition_subalgoE6EjNS0_10empty_typeEbEEZZNS1_14partition_implILS5_6ELb0ES3_mN6thrust23THRUST_200600_302600_NS6detail15normal_iteratorINSA_10device_ptrIjEEEEPS6_SG_NS0_5tupleIJSF_S6_EEENSH_IJSG_SG_EEES6_PlJNSB_9not_fun_tINSB_14equal_to_valueIjEEEEEEE10hipError_tPvRmT3_T4_T5_T6_T7_T9_mT8_P12ihipStream_tbDpT10_ENKUlT_T0_E_clISt17integral_constantIbLb0EES17_IbLb1EEEEDaS13_S14_EUlS13_E_NS1_11comp_targetILNS1_3genE2ELNS1_11target_archE906ELNS1_3gpuE6ELNS1_3repE0EEENS1_30default_config_static_selectorELNS0_4arch9wavefront6targetE0EEEvT1_: ; @_ZN7rocprim17ROCPRIM_400000_NS6detail17trampoline_kernelINS0_14default_configENS1_25partition_config_selectorILNS1_17partition_subalgoE6EjNS0_10empty_typeEbEEZZNS1_14partition_implILS5_6ELb0ES3_mN6thrust23THRUST_200600_302600_NS6detail15normal_iteratorINSA_10device_ptrIjEEEEPS6_SG_NS0_5tupleIJSF_S6_EEENSH_IJSG_SG_EEES6_PlJNSB_9not_fun_tINSB_14equal_to_valueIjEEEEEEE10hipError_tPvRmT3_T4_T5_T6_T7_T9_mT8_P12ihipStream_tbDpT10_ENKUlT_T0_E_clISt17integral_constantIbLb0EES17_IbLb1EEEEDaS13_S14_EUlS13_E_NS1_11comp_targetILNS1_3genE2ELNS1_11target_archE906ELNS1_3gpuE6ELNS1_3repE0EEENS1_30default_config_static_selectorELNS0_4arch9wavefront6targetE0EEEvT1_
; %bb.0:
	.section	.rodata,"a",@progbits
	.p2align	6, 0x0
	.amdhsa_kernel _ZN7rocprim17ROCPRIM_400000_NS6detail17trampoline_kernelINS0_14default_configENS1_25partition_config_selectorILNS1_17partition_subalgoE6EjNS0_10empty_typeEbEEZZNS1_14partition_implILS5_6ELb0ES3_mN6thrust23THRUST_200600_302600_NS6detail15normal_iteratorINSA_10device_ptrIjEEEEPS6_SG_NS0_5tupleIJSF_S6_EEENSH_IJSG_SG_EEES6_PlJNSB_9not_fun_tINSB_14equal_to_valueIjEEEEEEE10hipError_tPvRmT3_T4_T5_T6_T7_T9_mT8_P12ihipStream_tbDpT10_ENKUlT_T0_E_clISt17integral_constantIbLb0EES17_IbLb1EEEEDaS13_S14_EUlS13_E_NS1_11comp_targetILNS1_3genE2ELNS1_11target_archE906ELNS1_3gpuE6ELNS1_3repE0EEENS1_30default_config_static_selectorELNS0_4arch9wavefront6targetE0EEEvT1_
		.amdhsa_group_segment_fixed_size 0
		.amdhsa_private_segment_fixed_size 0
		.amdhsa_kernarg_size 128
		.amdhsa_user_sgpr_count 2
		.amdhsa_user_sgpr_dispatch_ptr 0
		.amdhsa_user_sgpr_queue_ptr 0
		.amdhsa_user_sgpr_kernarg_segment_ptr 1
		.amdhsa_user_sgpr_dispatch_id 0
		.amdhsa_user_sgpr_private_segment_size 0
		.amdhsa_wavefront_size32 1
		.amdhsa_uses_dynamic_stack 0
		.amdhsa_enable_private_segment 0
		.amdhsa_system_sgpr_workgroup_id_x 1
		.amdhsa_system_sgpr_workgroup_id_y 0
		.amdhsa_system_sgpr_workgroup_id_z 0
		.amdhsa_system_sgpr_workgroup_info 0
		.amdhsa_system_vgpr_workitem_id 0
		.amdhsa_next_free_vgpr 1
		.amdhsa_next_free_sgpr 1
		.amdhsa_reserve_vcc 0
		.amdhsa_float_round_mode_32 0
		.amdhsa_float_round_mode_16_64 0
		.amdhsa_float_denorm_mode_32 3
		.amdhsa_float_denorm_mode_16_64 3
		.amdhsa_fp16_overflow 0
		.amdhsa_workgroup_processor_mode 1
		.amdhsa_memory_ordered 1
		.amdhsa_forward_progress 1
		.amdhsa_inst_pref_size 0
		.amdhsa_round_robin_scheduling 0
		.amdhsa_exception_fp_ieee_invalid_op 0
		.amdhsa_exception_fp_denorm_src 0
		.amdhsa_exception_fp_ieee_div_zero 0
		.amdhsa_exception_fp_ieee_overflow 0
		.amdhsa_exception_fp_ieee_underflow 0
		.amdhsa_exception_fp_ieee_inexact 0
		.amdhsa_exception_int_div_zero 0
	.end_amdhsa_kernel
	.section	.text._ZN7rocprim17ROCPRIM_400000_NS6detail17trampoline_kernelINS0_14default_configENS1_25partition_config_selectorILNS1_17partition_subalgoE6EjNS0_10empty_typeEbEEZZNS1_14partition_implILS5_6ELb0ES3_mN6thrust23THRUST_200600_302600_NS6detail15normal_iteratorINSA_10device_ptrIjEEEEPS6_SG_NS0_5tupleIJSF_S6_EEENSH_IJSG_SG_EEES6_PlJNSB_9not_fun_tINSB_14equal_to_valueIjEEEEEEE10hipError_tPvRmT3_T4_T5_T6_T7_T9_mT8_P12ihipStream_tbDpT10_ENKUlT_T0_E_clISt17integral_constantIbLb0EES17_IbLb1EEEEDaS13_S14_EUlS13_E_NS1_11comp_targetILNS1_3genE2ELNS1_11target_archE906ELNS1_3gpuE6ELNS1_3repE0EEENS1_30default_config_static_selectorELNS0_4arch9wavefront6targetE0EEEvT1_,"axG",@progbits,_ZN7rocprim17ROCPRIM_400000_NS6detail17trampoline_kernelINS0_14default_configENS1_25partition_config_selectorILNS1_17partition_subalgoE6EjNS0_10empty_typeEbEEZZNS1_14partition_implILS5_6ELb0ES3_mN6thrust23THRUST_200600_302600_NS6detail15normal_iteratorINSA_10device_ptrIjEEEEPS6_SG_NS0_5tupleIJSF_S6_EEENSH_IJSG_SG_EEES6_PlJNSB_9not_fun_tINSB_14equal_to_valueIjEEEEEEE10hipError_tPvRmT3_T4_T5_T6_T7_T9_mT8_P12ihipStream_tbDpT10_ENKUlT_T0_E_clISt17integral_constantIbLb0EES17_IbLb1EEEEDaS13_S14_EUlS13_E_NS1_11comp_targetILNS1_3genE2ELNS1_11target_archE906ELNS1_3gpuE6ELNS1_3repE0EEENS1_30default_config_static_selectorELNS0_4arch9wavefront6targetE0EEEvT1_,comdat
.Lfunc_end401:
	.size	_ZN7rocprim17ROCPRIM_400000_NS6detail17trampoline_kernelINS0_14default_configENS1_25partition_config_selectorILNS1_17partition_subalgoE6EjNS0_10empty_typeEbEEZZNS1_14partition_implILS5_6ELb0ES3_mN6thrust23THRUST_200600_302600_NS6detail15normal_iteratorINSA_10device_ptrIjEEEEPS6_SG_NS0_5tupleIJSF_S6_EEENSH_IJSG_SG_EEES6_PlJNSB_9not_fun_tINSB_14equal_to_valueIjEEEEEEE10hipError_tPvRmT3_T4_T5_T6_T7_T9_mT8_P12ihipStream_tbDpT10_ENKUlT_T0_E_clISt17integral_constantIbLb0EES17_IbLb1EEEEDaS13_S14_EUlS13_E_NS1_11comp_targetILNS1_3genE2ELNS1_11target_archE906ELNS1_3gpuE6ELNS1_3repE0EEENS1_30default_config_static_selectorELNS0_4arch9wavefront6targetE0EEEvT1_, .Lfunc_end401-_ZN7rocprim17ROCPRIM_400000_NS6detail17trampoline_kernelINS0_14default_configENS1_25partition_config_selectorILNS1_17partition_subalgoE6EjNS0_10empty_typeEbEEZZNS1_14partition_implILS5_6ELb0ES3_mN6thrust23THRUST_200600_302600_NS6detail15normal_iteratorINSA_10device_ptrIjEEEEPS6_SG_NS0_5tupleIJSF_S6_EEENSH_IJSG_SG_EEES6_PlJNSB_9not_fun_tINSB_14equal_to_valueIjEEEEEEE10hipError_tPvRmT3_T4_T5_T6_T7_T9_mT8_P12ihipStream_tbDpT10_ENKUlT_T0_E_clISt17integral_constantIbLb0EES17_IbLb1EEEEDaS13_S14_EUlS13_E_NS1_11comp_targetILNS1_3genE2ELNS1_11target_archE906ELNS1_3gpuE6ELNS1_3repE0EEENS1_30default_config_static_selectorELNS0_4arch9wavefront6targetE0EEEvT1_
                                        ; -- End function
	.set _ZN7rocprim17ROCPRIM_400000_NS6detail17trampoline_kernelINS0_14default_configENS1_25partition_config_selectorILNS1_17partition_subalgoE6EjNS0_10empty_typeEbEEZZNS1_14partition_implILS5_6ELb0ES3_mN6thrust23THRUST_200600_302600_NS6detail15normal_iteratorINSA_10device_ptrIjEEEEPS6_SG_NS0_5tupleIJSF_S6_EEENSH_IJSG_SG_EEES6_PlJNSB_9not_fun_tINSB_14equal_to_valueIjEEEEEEE10hipError_tPvRmT3_T4_T5_T6_T7_T9_mT8_P12ihipStream_tbDpT10_ENKUlT_T0_E_clISt17integral_constantIbLb0EES17_IbLb1EEEEDaS13_S14_EUlS13_E_NS1_11comp_targetILNS1_3genE2ELNS1_11target_archE906ELNS1_3gpuE6ELNS1_3repE0EEENS1_30default_config_static_selectorELNS0_4arch9wavefront6targetE0EEEvT1_.num_vgpr, 0
	.set _ZN7rocprim17ROCPRIM_400000_NS6detail17trampoline_kernelINS0_14default_configENS1_25partition_config_selectorILNS1_17partition_subalgoE6EjNS0_10empty_typeEbEEZZNS1_14partition_implILS5_6ELb0ES3_mN6thrust23THRUST_200600_302600_NS6detail15normal_iteratorINSA_10device_ptrIjEEEEPS6_SG_NS0_5tupleIJSF_S6_EEENSH_IJSG_SG_EEES6_PlJNSB_9not_fun_tINSB_14equal_to_valueIjEEEEEEE10hipError_tPvRmT3_T4_T5_T6_T7_T9_mT8_P12ihipStream_tbDpT10_ENKUlT_T0_E_clISt17integral_constantIbLb0EES17_IbLb1EEEEDaS13_S14_EUlS13_E_NS1_11comp_targetILNS1_3genE2ELNS1_11target_archE906ELNS1_3gpuE6ELNS1_3repE0EEENS1_30default_config_static_selectorELNS0_4arch9wavefront6targetE0EEEvT1_.num_agpr, 0
	.set _ZN7rocprim17ROCPRIM_400000_NS6detail17trampoline_kernelINS0_14default_configENS1_25partition_config_selectorILNS1_17partition_subalgoE6EjNS0_10empty_typeEbEEZZNS1_14partition_implILS5_6ELb0ES3_mN6thrust23THRUST_200600_302600_NS6detail15normal_iteratorINSA_10device_ptrIjEEEEPS6_SG_NS0_5tupleIJSF_S6_EEENSH_IJSG_SG_EEES6_PlJNSB_9not_fun_tINSB_14equal_to_valueIjEEEEEEE10hipError_tPvRmT3_T4_T5_T6_T7_T9_mT8_P12ihipStream_tbDpT10_ENKUlT_T0_E_clISt17integral_constantIbLb0EES17_IbLb1EEEEDaS13_S14_EUlS13_E_NS1_11comp_targetILNS1_3genE2ELNS1_11target_archE906ELNS1_3gpuE6ELNS1_3repE0EEENS1_30default_config_static_selectorELNS0_4arch9wavefront6targetE0EEEvT1_.numbered_sgpr, 0
	.set _ZN7rocprim17ROCPRIM_400000_NS6detail17trampoline_kernelINS0_14default_configENS1_25partition_config_selectorILNS1_17partition_subalgoE6EjNS0_10empty_typeEbEEZZNS1_14partition_implILS5_6ELb0ES3_mN6thrust23THRUST_200600_302600_NS6detail15normal_iteratorINSA_10device_ptrIjEEEEPS6_SG_NS0_5tupleIJSF_S6_EEENSH_IJSG_SG_EEES6_PlJNSB_9not_fun_tINSB_14equal_to_valueIjEEEEEEE10hipError_tPvRmT3_T4_T5_T6_T7_T9_mT8_P12ihipStream_tbDpT10_ENKUlT_T0_E_clISt17integral_constantIbLb0EES17_IbLb1EEEEDaS13_S14_EUlS13_E_NS1_11comp_targetILNS1_3genE2ELNS1_11target_archE906ELNS1_3gpuE6ELNS1_3repE0EEENS1_30default_config_static_selectorELNS0_4arch9wavefront6targetE0EEEvT1_.num_named_barrier, 0
	.set _ZN7rocprim17ROCPRIM_400000_NS6detail17trampoline_kernelINS0_14default_configENS1_25partition_config_selectorILNS1_17partition_subalgoE6EjNS0_10empty_typeEbEEZZNS1_14partition_implILS5_6ELb0ES3_mN6thrust23THRUST_200600_302600_NS6detail15normal_iteratorINSA_10device_ptrIjEEEEPS6_SG_NS0_5tupleIJSF_S6_EEENSH_IJSG_SG_EEES6_PlJNSB_9not_fun_tINSB_14equal_to_valueIjEEEEEEE10hipError_tPvRmT3_T4_T5_T6_T7_T9_mT8_P12ihipStream_tbDpT10_ENKUlT_T0_E_clISt17integral_constantIbLb0EES17_IbLb1EEEEDaS13_S14_EUlS13_E_NS1_11comp_targetILNS1_3genE2ELNS1_11target_archE906ELNS1_3gpuE6ELNS1_3repE0EEENS1_30default_config_static_selectorELNS0_4arch9wavefront6targetE0EEEvT1_.private_seg_size, 0
	.set _ZN7rocprim17ROCPRIM_400000_NS6detail17trampoline_kernelINS0_14default_configENS1_25partition_config_selectorILNS1_17partition_subalgoE6EjNS0_10empty_typeEbEEZZNS1_14partition_implILS5_6ELb0ES3_mN6thrust23THRUST_200600_302600_NS6detail15normal_iteratorINSA_10device_ptrIjEEEEPS6_SG_NS0_5tupleIJSF_S6_EEENSH_IJSG_SG_EEES6_PlJNSB_9not_fun_tINSB_14equal_to_valueIjEEEEEEE10hipError_tPvRmT3_T4_T5_T6_T7_T9_mT8_P12ihipStream_tbDpT10_ENKUlT_T0_E_clISt17integral_constantIbLb0EES17_IbLb1EEEEDaS13_S14_EUlS13_E_NS1_11comp_targetILNS1_3genE2ELNS1_11target_archE906ELNS1_3gpuE6ELNS1_3repE0EEENS1_30default_config_static_selectorELNS0_4arch9wavefront6targetE0EEEvT1_.uses_vcc, 0
	.set _ZN7rocprim17ROCPRIM_400000_NS6detail17trampoline_kernelINS0_14default_configENS1_25partition_config_selectorILNS1_17partition_subalgoE6EjNS0_10empty_typeEbEEZZNS1_14partition_implILS5_6ELb0ES3_mN6thrust23THRUST_200600_302600_NS6detail15normal_iteratorINSA_10device_ptrIjEEEEPS6_SG_NS0_5tupleIJSF_S6_EEENSH_IJSG_SG_EEES6_PlJNSB_9not_fun_tINSB_14equal_to_valueIjEEEEEEE10hipError_tPvRmT3_T4_T5_T6_T7_T9_mT8_P12ihipStream_tbDpT10_ENKUlT_T0_E_clISt17integral_constantIbLb0EES17_IbLb1EEEEDaS13_S14_EUlS13_E_NS1_11comp_targetILNS1_3genE2ELNS1_11target_archE906ELNS1_3gpuE6ELNS1_3repE0EEENS1_30default_config_static_selectorELNS0_4arch9wavefront6targetE0EEEvT1_.uses_flat_scratch, 0
	.set _ZN7rocprim17ROCPRIM_400000_NS6detail17trampoline_kernelINS0_14default_configENS1_25partition_config_selectorILNS1_17partition_subalgoE6EjNS0_10empty_typeEbEEZZNS1_14partition_implILS5_6ELb0ES3_mN6thrust23THRUST_200600_302600_NS6detail15normal_iteratorINSA_10device_ptrIjEEEEPS6_SG_NS0_5tupleIJSF_S6_EEENSH_IJSG_SG_EEES6_PlJNSB_9not_fun_tINSB_14equal_to_valueIjEEEEEEE10hipError_tPvRmT3_T4_T5_T6_T7_T9_mT8_P12ihipStream_tbDpT10_ENKUlT_T0_E_clISt17integral_constantIbLb0EES17_IbLb1EEEEDaS13_S14_EUlS13_E_NS1_11comp_targetILNS1_3genE2ELNS1_11target_archE906ELNS1_3gpuE6ELNS1_3repE0EEENS1_30default_config_static_selectorELNS0_4arch9wavefront6targetE0EEEvT1_.has_dyn_sized_stack, 0
	.set _ZN7rocprim17ROCPRIM_400000_NS6detail17trampoline_kernelINS0_14default_configENS1_25partition_config_selectorILNS1_17partition_subalgoE6EjNS0_10empty_typeEbEEZZNS1_14partition_implILS5_6ELb0ES3_mN6thrust23THRUST_200600_302600_NS6detail15normal_iteratorINSA_10device_ptrIjEEEEPS6_SG_NS0_5tupleIJSF_S6_EEENSH_IJSG_SG_EEES6_PlJNSB_9not_fun_tINSB_14equal_to_valueIjEEEEEEE10hipError_tPvRmT3_T4_T5_T6_T7_T9_mT8_P12ihipStream_tbDpT10_ENKUlT_T0_E_clISt17integral_constantIbLb0EES17_IbLb1EEEEDaS13_S14_EUlS13_E_NS1_11comp_targetILNS1_3genE2ELNS1_11target_archE906ELNS1_3gpuE6ELNS1_3repE0EEENS1_30default_config_static_selectorELNS0_4arch9wavefront6targetE0EEEvT1_.has_recursion, 0
	.set _ZN7rocprim17ROCPRIM_400000_NS6detail17trampoline_kernelINS0_14default_configENS1_25partition_config_selectorILNS1_17partition_subalgoE6EjNS0_10empty_typeEbEEZZNS1_14partition_implILS5_6ELb0ES3_mN6thrust23THRUST_200600_302600_NS6detail15normal_iteratorINSA_10device_ptrIjEEEEPS6_SG_NS0_5tupleIJSF_S6_EEENSH_IJSG_SG_EEES6_PlJNSB_9not_fun_tINSB_14equal_to_valueIjEEEEEEE10hipError_tPvRmT3_T4_T5_T6_T7_T9_mT8_P12ihipStream_tbDpT10_ENKUlT_T0_E_clISt17integral_constantIbLb0EES17_IbLb1EEEEDaS13_S14_EUlS13_E_NS1_11comp_targetILNS1_3genE2ELNS1_11target_archE906ELNS1_3gpuE6ELNS1_3repE0EEENS1_30default_config_static_selectorELNS0_4arch9wavefront6targetE0EEEvT1_.has_indirect_call, 0
	.section	.AMDGPU.csdata,"",@progbits
; Kernel info:
; codeLenInByte = 0
; TotalNumSgprs: 0
; NumVgprs: 0
; ScratchSize: 0
; MemoryBound: 0
; FloatMode: 240
; IeeeMode: 1
; LDSByteSize: 0 bytes/workgroup (compile time only)
; SGPRBlocks: 0
; VGPRBlocks: 0
; NumSGPRsForWavesPerEU: 1
; NumVGPRsForWavesPerEU: 1
; Occupancy: 16
; WaveLimiterHint : 0
; COMPUTE_PGM_RSRC2:SCRATCH_EN: 0
; COMPUTE_PGM_RSRC2:USER_SGPR: 2
; COMPUTE_PGM_RSRC2:TRAP_HANDLER: 0
; COMPUTE_PGM_RSRC2:TGID_X_EN: 1
; COMPUTE_PGM_RSRC2:TGID_Y_EN: 0
; COMPUTE_PGM_RSRC2:TGID_Z_EN: 0
; COMPUTE_PGM_RSRC2:TIDIG_COMP_CNT: 0
	.section	.text._ZN7rocprim17ROCPRIM_400000_NS6detail17trampoline_kernelINS0_14default_configENS1_25partition_config_selectorILNS1_17partition_subalgoE6EjNS0_10empty_typeEbEEZZNS1_14partition_implILS5_6ELb0ES3_mN6thrust23THRUST_200600_302600_NS6detail15normal_iteratorINSA_10device_ptrIjEEEEPS6_SG_NS0_5tupleIJSF_S6_EEENSH_IJSG_SG_EEES6_PlJNSB_9not_fun_tINSB_14equal_to_valueIjEEEEEEE10hipError_tPvRmT3_T4_T5_T6_T7_T9_mT8_P12ihipStream_tbDpT10_ENKUlT_T0_E_clISt17integral_constantIbLb0EES17_IbLb1EEEEDaS13_S14_EUlS13_E_NS1_11comp_targetILNS1_3genE10ELNS1_11target_archE1200ELNS1_3gpuE4ELNS1_3repE0EEENS1_30default_config_static_selectorELNS0_4arch9wavefront6targetE0EEEvT1_,"axG",@progbits,_ZN7rocprim17ROCPRIM_400000_NS6detail17trampoline_kernelINS0_14default_configENS1_25partition_config_selectorILNS1_17partition_subalgoE6EjNS0_10empty_typeEbEEZZNS1_14partition_implILS5_6ELb0ES3_mN6thrust23THRUST_200600_302600_NS6detail15normal_iteratorINSA_10device_ptrIjEEEEPS6_SG_NS0_5tupleIJSF_S6_EEENSH_IJSG_SG_EEES6_PlJNSB_9not_fun_tINSB_14equal_to_valueIjEEEEEEE10hipError_tPvRmT3_T4_T5_T6_T7_T9_mT8_P12ihipStream_tbDpT10_ENKUlT_T0_E_clISt17integral_constantIbLb0EES17_IbLb1EEEEDaS13_S14_EUlS13_E_NS1_11comp_targetILNS1_3genE10ELNS1_11target_archE1200ELNS1_3gpuE4ELNS1_3repE0EEENS1_30default_config_static_selectorELNS0_4arch9wavefront6targetE0EEEvT1_,comdat
	.protected	_ZN7rocprim17ROCPRIM_400000_NS6detail17trampoline_kernelINS0_14default_configENS1_25partition_config_selectorILNS1_17partition_subalgoE6EjNS0_10empty_typeEbEEZZNS1_14partition_implILS5_6ELb0ES3_mN6thrust23THRUST_200600_302600_NS6detail15normal_iteratorINSA_10device_ptrIjEEEEPS6_SG_NS0_5tupleIJSF_S6_EEENSH_IJSG_SG_EEES6_PlJNSB_9not_fun_tINSB_14equal_to_valueIjEEEEEEE10hipError_tPvRmT3_T4_T5_T6_T7_T9_mT8_P12ihipStream_tbDpT10_ENKUlT_T0_E_clISt17integral_constantIbLb0EES17_IbLb1EEEEDaS13_S14_EUlS13_E_NS1_11comp_targetILNS1_3genE10ELNS1_11target_archE1200ELNS1_3gpuE4ELNS1_3repE0EEENS1_30default_config_static_selectorELNS0_4arch9wavefront6targetE0EEEvT1_ ; -- Begin function _ZN7rocprim17ROCPRIM_400000_NS6detail17trampoline_kernelINS0_14default_configENS1_25partition_config_selectorILNS1_17partition_subalgoE6EjNS0_10empty_typeEbEEZZNS1_14partition_implILS5_6ELb0ES3_mN6thrust23THRUST_200600_302600_NS6detail15normal_iteratorINSA_10device_ptrIjEEEEPS6_SG_NS0_5tupleIJSF_S6_EEENSH_IJSG_SG_EEES6_PlJNSB_9not_fun_tINSB_14equal_to_valueIjEEEEEEE10hipError_tPvRmT3_T4_T5_T6_T7_T9_mT8_P12ihipStream_tbDpT10_ENKUlT_T0_E_clISt17integral_constantIbLb0EES17_IbLb1EEEEDaS13_S14_EUlS13_E_NS1_11comp_targetILNS1_3genE10ELNS1_11target_archE1200ELNS1_3gpuE4ELNS1_3repE0EEENS1_30default_config_static_selectorELNS0_4arch9wavefront6targetE0EEEvT1_
	.globl	_ZN7rocprim17ROCPRIM_400000_NS6detail17trampoline_kernelINS0_14default_configENS1_25partition_config_selectorILNS1_17partition_subalgoE6EjNS0_10empty_typeEbEEZZNS1_14partition_implILS5_6ELb0ES3_mN6thrust23THRUST_200600_302600_NS6detail15normal_iteratorINSA_10device_ptrIjEEEEPS6_SG_NS0_5tupleIJSF_S6_EEENSH_IJSG_SG_EEES6_PlJNSB_9not_fun_tINSB_14equal_to_valueIjEEEEEEE10hipError_tPvRmT3_T4_T5_T6_T7_T9_mT8_P12ihipStream_tbDpT10_ENKUlT_T0_E_clISt17integral_constantIbLb0EES17_IbLb1EEEEDaS13_S14_EUlS13_E_NS1_11comp_targetILNS1_3genE10ELNS1_11target_archE1200ELNS1_3gpuE4ELNS1_3repE0EEENS1_30default_config_static_selectorELNS0_4arch9wavefront6targetE0EEEvT1_
	.p2align	8
	.type	_ZN7rocprim17ROCPRIM_400000_NS6detail17trampoline_kernelINS0_14default_configENS1_25partition_config_selectorILNS1_17partition_subalgoE6EjNS0_10empty_typeEbEEZZNS1_14partition_implILS5_6ELb0ES3_mN6thrust23THRUST_200600_302600_NS6detail15normal_iteratorINSA_10device_ptrIjEEEEPS6_SG_NS0_5tupleIJSF_S6_EEENSH_IJSG_SG_EEES6_PlJNSB_9not_fun_tINSB_14equal_to_valueIjEEEEEEE10hipError_tPvRmT3_T4_T5_T6_T7_T9_mT8_P12ihipStream_tbDpT10_ENKUlT_T0_E_clISt17integral_constantIbLb0EES17_IbLb1EEEEDaS13_S14_EUlS13_E_NS1_11comp_targetILNS1_3genE10ELNS1_11target_archE1200ELNS1_3gpuE4ELNS1_3repE0EEENS1_30default_config_static_selectorELNS0_4arch9wavefront6targetE0EEEvT1_,@function
_ZN7rocprim17ROCPRIM_400000_NS6detail17trampoline_kernelINS0_14default_configENS1_25partition_config_selectorILNS1_17partition_subalgoE6EjNS0_10empty_typeEbEEZZNS1_14partition_implILS5_6ELb0ES3_mN6thrust23THRUST_200600_302600_NS6detail15normal_iteratorINSA_10device_ptrIjEEEEPS6_SG_NS0_5tupleIJSF_S6_EEENSH_IJSG_SG_EEES6_PlJNSB_9not_fun_tINSB_14equal_to_valueIjEEEEEEE10hipError_tPvRmT3_T4_T5_T6_T7_T9_mT8_P12ihipStream_tbDpT10_ENKUlT_T0_E_clISt17integral_constantIbLb0EES17_IbLb1EEEEDaS13_S14_EUlS13_E_NS1_11comp_targetILNS1_3genE10ELNS1_11target_archE1200ELNS1_3gpuE4ELNS1_3repE0EEENS1_30default_config_static_selectorELNS0_4arch9wavefront6targetE0EEEvT1_: ; @_ZN7rocprim17ROCPRIM_400000_NS6detail17trampoline_kernelINS0_14default_configENS1_25partition_config_selectorILNS1_17partition_subalgoE6EjNS0_10empty_typeEbEEZZNS1_14partition_implILS5_6ELb0ES3_mN6thrust23THRUST_200600_302600_NS6detail15normal_iteratorINSA_10device_ptrIjEEEEPS6_SG_NS0_5tupleIJSF_S6_EEENSH_IJSG_SG_EEES6_PlJNSB_9not_fun_tINSB_14equal_to_valueIjEEEEEEE10hipError_tPvRmT3_T4_T5_T6_T7_T9_mT8_P12ihipStream_tbDpT10_ENKUlT_T0_E_clISt17integral_constantIbLb0EES17_IbLb1EEEEDaS13_S14_EUlS13_E_NS1_11comp_targetILNS1_3genE10ELNS1_11target_archE1200ELNS1_3gpuE4ELNS1_3repE0EEENS1_30default_config_static_selectorELNS0_4arch9wavefront6targetE0EEEvT1_
; %bb.0:
	s_clause 0x3
	s_load_b64 s[12:13], s[0:1], 0x28
	s_load_b128 s[8:11], s[0:1], 0x40
	s_load_b64 s[16:17], s[0:1], 0x50
	s_load_b64 s[14:15], s[0:1], 0x60
	v_cmp_eq_u32_e64 s2, 0, v0
	s_and_saveexec_b32 s3, s2
	s_cbranch_execz .LBB402_4
; %bb.1:
	s_mov_b32 s5, exec_lo
	s_mov_b32 s4, exec_lo
	v_mbcnt_lo_u32_b32 v1, s5, 0
                                        ; implicit-def: $vgpr2
	s_delay_alu instid0(VALU_DEP_1)
	v_cmpx_eq_u32_e32 0, v1
	s_cbranch_execz .LBB402_3
; %bb.2:
	s_load_b64 s[6:7], s[0:1], 0x70
	s_bcnt1_i32_b32 s5, s5
	s_wait_alu 0xfffe
	v_dual_mov_b32 v2, 0 :: v_dual_mov_b32 v3, s5
	s_wait_kmcnt 0x0
	global_atomic_add_u32 v2, v2, v3, s[6:7] th:TH_ATOMIC_RETURN scope:SCOPE_DEV
.LBB402_3:
	s_or_b32 exec_lo, exec_lo, s4
	s_wait_loadcnt 0x0
	v_readfirstlane_b32 s4, v2
	s_wait_alu 0xf1ff
	s_delay_alu instid0(VALU_DEP_1)
	v_dual_mov_b32 v2, 0 :: v_dual_add_nc_u32 v1, s4, v1
	ds_store_b32 v2, v1
.LBB402_4:
	s_or_b32 exec_lo, exec_lo, s3
	v_mov_b32_e32 v2, 0
	s_clause 0x2
	s_load_b128 s[4:7], s[0:1], 0x8
	s_load_b32 s3, s[0:1], 0x68
	s_load_b32 s19, s[0:1], 0x78
	s_wait_dscnt 0x0
	s_barrier_signal -1
	s_barrier_wait -1
	global_inv scope:SCOPE_SE
	ds_load_b32 v1, v2
	s_wait_loadcnt_dscnt 0x0
	s_barrier_signal -1
	s_barrier_wait -1
	global_inv scope:SCOPE_SE
	s_wait_kmcnt 0x0
	global_load_b64 v[9:10], v2, s[10:11]
	s_mov_b32 s1, 0
	v_lshlrev_b32_e32 v8, 2, v0
	s_lshl_b64 s[10:11], s[6:7], 2
	s_mul_i32 s0, s3, 0xa80
	s_add_co_i32 s20, s3, -1
	s_add_co_i32 s3, s0, s6
	s_add_nc_u64 s[6:7], s[6:7], s[0:1]
	s_sub_co_i32 s0, s16, s3
	v_cmp_le_u64_e64 s1, s[16:17], s[6:7]
	v_readfirstlane_b32 s18, v1
	v_mul_lo_u32 v1, 0xa80, v1
	s_add_nc_u64 s[4:5], s[4:5], s[10:11]
	s_cmp_eq_u32 s18, s20
	s_cselect_b32 s7, -1, 0
	s_delay_alu instid0(VALU_DEP_1) | instskip(SKIP_2) | instid1(SALU_CYCLE_1)
	v_lshlrev_b64_e32 v[1:2], 2, v[1:2]
	s_wait_alu 0xfffe
	s_and_b32 s1, s1, s7
	s_xor_b32 s10, s1, -1
	s_mov_b32 s1, -1
	s_delay_alu instid0(VALU_DEP_1) | instskip(NEXT) | instid1(VALU_DEP_1)
	v_add_co_u32 v11, vcc_lo, s4, v1
	v_add_co_ci_u32_e64 v12, null, s5, v2, vcc_lo
	s_and_b32 vcc_lo, exec_lo, s10
	s_wait_alu 0xfffe
	s_cbranch_vccz .LBB402_6
; %bb.5:
	v_add_co_u32 v1, vcc_lo, v11, v8
	s_wait_alu 0xfffd
	v_add_co_ci_u32_e64 v2, null, 0, v12, vcc_lo
	s_mov_b32 s1, 0
	s_clause 0x6
	flat_load_b32 v3, v[1:2]
	flat_load_b32 v4, v[1:2] offset:1536
	flat_load_b32 v5, v[1:2] offset:3072
	;; [unrolled: 1-line block ×6, first 2 shown]
	s_wait_loadcnt_dscnt 0x505
	ds_store_2addr_stride64_b32 v8, v3, v4 offset1:6
	s_wait_loadcnt_dscnt 0x304
	ds_store_2addr_stride64_b32 v8, v5, v6 offset0:12 offset1:18
	s_wait_loadcnt_dscnt 0x103
	ds_store_2addr_stride64_b32 v8, v7, v13 offset0:24 offset1:30
	s_wait_loadcnt_dscnt 0x3
	ds_store_b32 v8, v1 offset:9216
	s_wait_dscnt 0x0
	s_barrier_signal -1
	s_barrier_wait -1
.LBB402_6:
	s_and_not1_b32 vcc_lo, exec_lo, s1
	s_add_co_i32 s16, s0, 0xa80
	s_wait_alu 0xfffe
	s_cbranch_vccnz .LBB402_22
; %bb.7:
	v_mov_b32_e32 v1, 0
	s_mov_b32 s0, exec_lo
	s_delay_alu instid0(VALU_DEP_1)
	v_dual_mov_b32 v2, v1 :: v_dual_mov_b32 v3, v1
	v_dual_mov_b32 v4, v1 :: v_dual_mov_b32 v5, v1
	;; [unrolled: 1-line block ×3, first 2 shown]
	v_cmpx_gt_u32_e64 s16, v0
	s_cbranch_execz .LBB402_9
; %bb.8:
	v_add_co_u32 v2, vcc_lo, v11, v8
	s_wait_alu 0xfffd
	v_add_co_ci_u32_e64 v3, null, 0, v12, vcc_lo
	v_dual_mov_b32 v14, v1 :: v_dual_mov_b32 v15, v1
	v_dual_mov_b32 v16, v1 :: v_dual_mov_b32 v17, v1
	flat_load_b32 v13, v[2:3]
	v_dual_mov_b32 v18, v1 :: v_dual_mov_b32 v19, v1
	s_wait_loadcnt_dscnt 0x0
	v_dual_mov_b32 v1, v13 :: v_dual_mov_b32 v2, v14
	v_dual_mov_b32 v3, v15 :: v_dual_mov_b32 v4, v16
	s_delay_alu instid0(VALU_DEP_3)
	v_dual_mov_b32 v5, v17 :: v_dual_mov_b32 v6, v18
	v_mov_b32_e32 v7, v19
.LBB402_9:
	s_or_b32 exec_lo, exec_lo, s0
	v_add_nc_u32_e32 v13, 0x180, v0
	s_mov_b32 s0, exec_lo
	s_delay_alu instid0(VALU_DEP_1)
	v_cmpx_gt_u32_e64 s16, v13
	s_cbranch_execz .LBB402_11
; %bb.10:
	v_add_co_u32 v13, vcc_lo, v11, v8
	s_wait_alu 0xfffd
	v_add_co_ci_u32_e64 v14, null, 0, v12, vcc_lo
	flat_load_b32 v2, v[13:14] offset:1536
.LBB402_11:
	s_or_b32 exec_lo, exec_lo, s0
	v_add_nc_u32_e32 v13, 0x300, v0
	s_mov_b32 s0, exec_lo
	s_delay_alu instid0(VALU_DEP_1)
	v_cmpx_gt_u32_e64 s16, v13
	s_cbranch_execz .LBB402_13
; %bb.12:
	v_add_co_u32 v13, vcc_lo, v11, v8
	s_wait_alu 0xfffd
	v_add_co_ci_u32_e64 v14, null, 0, v12, vcc_lo
	flat_load_b32 v3, v[13:14] offset:3072
.LBB402_13:
	s_or_b32 exec_lo, exec_lo, s0
	v_add_nc_u32_e32 v13, 0x480, v0
	s_mov_b32 s0, exec_lo
	s_delay_alu instid0(VALU_DEP_1)
	v_cmpx_gt_u32_e64 s16, v13
	s_cbranch_execz .LBB402_15
; %bb.14:
	v_add_co_u32 v13, vcc_lo, v11, v8
	s_wait_alu 0xfffd
	v_add_co_ci_u32_e64 v14, null, 0, v12, vcc_lo
	flat_load_b32 v4, v[13:14] offset:4608
.LBB402_15:
	s_or_b32 exec_lo, exec_lo, s0
	v_or_b32_e32 v13, 0x600, v0
	s_mov_b32 s0, exec_lo
	s_delay_alu instid0(VALU_DEP_1)
	v_cmpx_gt_u32_e64 s16, v13
	s_cbranch_execz .LBB402_17
; %bb.16:
	v_add_co_u32 v13, vcc_lo, v11, v8
	s_wait_alu 0xfffd
	v_add_co_ci_u32_e64 v14, null, 0, v12, vcc_lo
	flat_load_b32 v5, v[13:14] offset:6144
.LBB402_17:
	s_or_b32 exec_lo, exec_lo, s0
	v_add_nc_u32_e32 v13, 0x780, v0
	s_mov_b32 s0, exec_lo
	s_delay_alu instid0(VALU_DEP_1)
	v_cmpx_gt_u32_e64 s16, v13
	s_cbranch_execz .LBB402_19
; %bb.18:
	v_add_co_u32 v13, vcc_lo, v11, v8
	s_wait_alu 0xfffd
	v_add_co_ci_u32_e64 v14, null, 0, v12, vcc_lo
	flat_load_b32 v6, v[13:14] offset:7680
.LBB402_19:
	s_or_b32 exec_lo, exec_lo, s0
	v_add_nc_u32_e32 v13, 0x900, v0
	s_mov_b32 s0, exec_lo
	s_delay_alu instid0(VALU_DEP_1)
	v_cmpx_gt_u32_e64 s16, v13
	s_cbranch_execz .LBB402_21
; %bb.20:
	v_add_co_u32 v11, vcc_lo, v11, v8
	s_wait_alu 0xfffd
	v_add_co_ci_u32_e64 v12, null, 0, v12, vcc_lo
	flat_load_b32 v7, v[11:12] offset:9216
.LBB402_21:
	s_or_b32 exec_lo, exec_lo, s0
	s_wait_loadcnt_dscnt 0x0
	ds_store_2addr_stride64_b32 v8, v1, v2 offset1:6
	ds_store_2addr_stride64_b32 v8, v3, v4 offset0:12 offset1:18
	ds_store_2addr_stride64_b32 v8, v5, v6 offset0:24 offset1:30
	ds_store_b32 v8, v7 offset:9216
	s_wait_dscnt 0x0
	s_barrier_signal -1
	s_barrier_wait -1
.LBB402_22:
	v_mul_u32_u24_e32 v1, 7, v0
	s_wait_loadcnt 0x0
	global_inv scope:SCOPE_SE
	s_and_not1_b32 vcc_lo, exec_lo, s10
	v_lshlrev_b32_e32 v32, 2, v1
	ds_load_2addr_b32 v[11:12], v32 offset0:4 offset1:5
	ds_load_b32 v33, v32 offset:24
	ds_load_2addr_b32 v[15:16], v32 offset1:1
	ds_load_2addr_b32 v[13:14], v32 offset0:2 offset1:3
	s_wait_loadcnt_dscnt 0x0
	s_barrier_signal -1
	s_barrier_wait -1
	global_inv scope:SCOPE_SE
	v_cmp_ne_u32_e64 s0, s19, v11
	v_cmp_ne_u32_e64 s11, s19, v33
	;; [unrolled: 1-line block ×7, first 2 shown]
	s_wait_alu 0xfffe
	s_cbranch_vccnz .LBB402_24
; %bb.23:
	s_wait_alu 0xf1ff
	v_cndmask_b32_e64 v2, 0, 1, s5
	v_cndmask_b32_e64 v3, 0, 1, s6
	;; [unrolled: 1-line block ×5, first 2 shown]
	v_lshlrev_b16 v2, 8, v2
	v_lshlrev_b16 v3, 8, v3
	v_cndmask_b32_e64 v34, 0, 1, s1
	s_delay_alu instid0(VALU_DEP_3) | instskip(NEXT) | instid1(VALU_DEP_3)
	v_or_b32_e32 v2, v4, v2
	v_or_b32_e32 v3, v5, v3
	s_delay_alu instid0(VALU_DEP_2) | instskip(NEXT) | instid1(VALU_DEP_2)
	v_and_b32_e32 v2, 0xffff, v2
	v_lshlrev_b32_e32 v3, 16, v3
	s_delay_alu instid0(VALU_DEP_1)
	v_or_b32_e32 v31, v2, v3
	s_cbranch_execz .LBB402_25
	s_branch .LBB402_26
.LBB402_24:
                                        ; implicit-def: $sgpr11
                                        ; implicit-def: $vgpr34
                                        ; implicit-def: $vgpr35
                                        ; implicit-def: $vgpr31
.LBB402_25:
	v_add_nc_u32_e32 v2, 1, v1
	v_cmp_ne_u32_e32 vcc_lo, s19, v16
	v_add_nc_u32_e32 v3, 3, v1
	v_cmp_ne_u32_e64 s0, s19, v15
	v_cmp_ne_u32_e64 s3, s19, v14
	v_cmp_gt_u32_e64 s1, s16, v2
	v_add_nc_u32_e32 v2, 2, v1
	v_cmp_gt_u32_e64 s5, s16, v3
	v_cmp_ne_u32_e64 s4, s19, v13
	v_add_nc_u32_e32 v5, 5, v1
	s_and_b32 s1, s1, vcc_lo
	v_cmp_gt_u32_e32 vcc_lo, s16, v1
	s_wait_alu 0xfffe
	v_cndmask_b32_e64 v3, 0, 1, s1
	v_cmp_gt_u32_e64 s1, s16, v2
	s_and_b32 s3, s5, s3
	s_and_b32 s0, vcc_lo, s0
	v_lshlrev_b16 v3, 8, v3
	s_wait_alu 0xfffe
	v_cndmask_b32_e64 v4, 0, 1, s0
	v_cndmask_b32_e64 v2, 0, 1, s3
	s_and_b32 s0, s1, s4
	v_cmp_ne_u32_e32 vcc_lo, s19, v12
	s_wait_alu 0xfffe
	v_cndmask_b32_e64 v6, 0, 1, s0
	v_cmp_gt_u32_e64 s0, s16, v5
	v_or_b32_e32 v3, v4, v3
	v_add_nc_u32_e32 v4, 4, v1
	v_lshlrev_b16 v2, 8, v2
	v_cmp_ne_u32_e64 s1, s19, v11
	s_and_b32 s0, s0, vcc_lo
	v_add_nc_u32_e32 v1, 6, v1
	v_cmp_gt_u32_e32 vcc_lo, s16, v4
	v_or_b32_e32 v2, v6, v2
	s_wait_alu 0xfffe
	v_cndmask_b32_e64 v34, 0, 1, s0
	v_and_b32_e32 v3, 0xffff, v3
	s_and_b32 s0, vcc_lo, s1
	v_cmp_gt_u32_e32 vcc_lo, s16, v1
	s_wait_alu 0xfffe
	v_cndmask_b32_e64 v5, 0, 1, s0
	v_cmp_ne_u32_e64 s0, s19, v33
	v_lshlrev_b32_e32 v2, 16, v2
	v_lshlrev_b16 v4, 8, v34
	s_and_not1_b32 s1, s11, exec_lo
	s_and_b32 s0, vcc_lo, s0
	s_delay_alu instid0(VALU_DEP_2) | instskip(NEXT) | instid1(VALU_DEP_2)
	v_or_b32_e32 v31, v3, v2
	v_or_b32_e32 v35, v5, v4
	s_wait_alu 0xfffe
	s_and_b32 s0, s0, exec_lo
	s_wait_alu 0xfffe
	s_or_b32 s11, s1, s0
.LBB402_26:
	s_delay_alu instid0(VALU_DEP_1)
	v_dual_mov_b32 v2, 0 :: v_dual_and_b32 v39, 0xff, v31
	v_bfe_u32 v38, v31, 8, 8
	v_cndmask_b32_e64 v1, 0, 1, s11
	v_bfe_u32 v41, v31, 16, 8
	v_lshrrev_b32_e32 v36, 24, v31
	v_and_b32_e32 v40, 0xff, v35
	v_mbcnt_lo_u32_b32 v42, -1, 0
	v_add3_u32 v1, v39, v1, v38
	v_and_b32_e32 v37, 0xff, v34
	s_cmp_lg_u32 s18, 0
	s_mov_b32 s1, -1
	v_and_b32_e32 v43, 15, v42
	v_add_co_u32 v1, s0, v1, v41
	s_wait_alu 0xf1ff
	v_add_co_ci_u32_e64 v3, null, 0, 0, s0
	s_delay_alu instid0(VALU_DEP_3) | instskip(NEXT) | instid1(VALU_DEP_3)
	v_cmp_ne_u32_e64 s0, 0, v43
	v_add_co_u32 v1, vcc_lo, v1, v36
	s_wait_alu 0xfffd
	s_delay_alu instid0(VALU_DEP_3) | instskip(NEXT) | instid1(VALU_DEP_2)
	v_add_co_ci_u32_e64 v3, null, 0, v3, vcc_lo
	v_add_co_u32 v1, vcc_lo, v1, v40
	s_wait_alu 0xfffd
	s_delay_alu instid0(VALU_DEP_2) | instskip(NEXT) | instid1(VALU_DEP_2)
	v_add_co_ci_u32_e64 v3, null, 0, v3, vcc_lo
	v_add_co_u32 v17, vcc_lo, v1, v37
	s_wait_alu 0xfffd
	s_delay_alu instid0(VALU_DEP_2)
	v_add_co_ci_u32_e64 v18, null, 0, v3, vcc_lo
	s_cbranch_scc0 .LBB402_85
; %bb.27:
	v_mov_b32_e32 v3, v17
	v_mov_b32_dpp v1, v17 row_shr:1 row_mask:0xf bank_mask:0xf
	v_mov_b32_dpp v6, v2 row_shr:1 row_mask:0xf bank_mask:0xf
	v_dual_mov_b32 v5, v17 :: v_dual_mov_b32 v4, v18
	s_and_saveexec_b32 s1, s0
; %bb.28:
	s_delay_alu instid0(VALU_DEP_3) | instskip(SKIP_2) | instid1(VALU_DEP_2)
	v_add_co_u32 v5, vcc_lo, v17, v1
	s_wait_alu 0xfffd
	v_add_co_ci_u32_e64 v2, null, 0, v18, vcc_lo
	v_add_co_u32 v1, vcc_lo, 0, v5
	s_wait_alu 0xfffd
	s_delay_alu instid0(VALU_DEP_2) | instskip(NEXT) | instid1(VALU_DEP_1)
	v_add_co_ci_u32_e64 v2, null, v6, v2, vcc_lo
	v_dual_mov_b32 v4, v2 :: v_dual_mov_b32 v3, v1
; %bb.29:
	s_wait_alu 0xfffe
	s_or_b32 exec_lo, exec_lo, s1
	v_mov_b32_dpp v1, v5 row_shr:2 row_mask:0xf bank_mask:0xf
	v_mov_b32_dpp v6, v2 row_shr:2 row_mask:0xf bank_mask:0xf
	v_cmp_lt_u32_e32 vcc_lo, 1, v43
	s_and_saveexec_b32 s3, vcc_lo
; %bb.30:
	s_delay_alu instid0(VALU_DEP_3) | instskip(SKIP_2) | instid1(VALU_DEP_2)
	v_add_co_u32 v5, s1, v3, v1
	s_wait_alu 0xf1ff
	v_add_co_ci_u32_e64 v2, null, 0, v4, s1
	v_add_co_u32 v1, s1, 0, v5
	s_wait_alu 0xf1ff
	s_delay_alu instid0(VALU_DEP_2) | instskip(NEXT) | instid1(VALU_DEP_1)
	v_add_co_ci_u32_e64 v2, null, v6, v2, s1
	v_dual_mov_b32 v4, v2 :: v_dual_mov_b32 v3, v1
; %bb.31:
	s_wait_alu 0xfffe
	s_or_b32 exec_lo, exec_lo, s3
	v_mov_b32_dpp v1, v5 row_shr:4 row_mask:0xf bank_mask:0xf
	v_mov_b32_dpp v6, v2 row_shr:4 row_mask:0xf bank_mask:0xf
	v_cmp_lt_u32_e64 s1, 3, v43
	s_and_saveexec_b32 s4, s1
; %bb.32:
	v_add_co_u32 v5, s3, v3, v1
	s_wait_alu 0xf1ff
	v_add_co_ci_u32_e64 v2, null, 0, v4, s3
	s_delay_alu instid0(VALU_DEP_2) | instskip(SKIP_1) | instid1(VALU_DEP_2)
	v_add_co_u32 v1, s3, 0, v5
	s_wait_alu 0xf1ff
	v_add_co_ci_u32_e64 v2, null, v6, v2, s3
	s_delay_alu instid0(VALU_DEP_1)
	v_dual_mov_b32 v4, v2 :: v_dual_mov_b32 v3, v1
; %bb.33:
	s_wait_alu 0xfffe
	s_or_b32 exec_lo, exec_lo, s4
	v_mov_b32_dpp v6, v5 row_shr:8 row_mask:0xf bank_mask:0xf
	v_mov_b32_dpp v1, v2 row_shr:8 row_mask:0xf bank_mask:0xf
	v_cmp_lt_u32_e64 s3, 7, v43
	s_and_saveexec_b32 s5, s3
; %bb.34:
	v_add_co_u32 v5, s4, v3, v6
	s_wait_alu 0xf1ff
	v_add_co_ci_u32_e64 v2, null, 0, v4, s4
	s_delay_alu instid0(VALU_DEP_2) | instskip(SKIP_1) | instid1(VALU_DEP_2)
	v_add_co_u32 v3, s4, 0, v5
	s_wait_alu 0xf1ff
	v_add_co_ci_u32_e64 v4, null, v1, v2, s4
	s_delay_alu instid0(VALU_DEP_1)
	v_mov_b32_e32 v2, v4
; %bb.35:
	s_wait_alu 0xfffe
	s_or_b32 exec_lo, exec_lo, s5
	ds_swizzle_b32 v1, v5 offset:swizzle(BROADCAST,32,15)
	ds_swizzle_b32 v6, v2 offset:swizzle(BROADCAST,32,15)
	v_and_b32_e32 v7, 16, v42
	s_mov_b32 s5, exec_lo
	s_delay_alu instid0(VALU_DEP_1)
	v_cmpx_ne_u32_e32 0, v7
	s_cbranch_execz .LBB402_37
; %bb.36:
	s_wait_dscnt 0x1
	v_add_co_u32 v5, s4, v3, v1
	s_wait_alu 0xf1ff
	v_add_co_ci_u32_e64 v2, null, 0, v4, s4
	s_delay_alu instid0(VALU_DEP_2) | instskip(SKIP_2) | instid1(VALU_DEP_2)
	v_add_co_u32 v1, s4, 0, v5
	s_wait_dscnt 0x0
	s_wait_alu 0xf1ff
	v_add_co_ci_u32_e64 v2, null, v6, v2, s4
	s_delay_alu instid0(VALU_DEP_1)
	v_dual_mov_b32 v4, v2 :: v_dual_mov_b32 v3, v1
.LBB402_37:
	s_wait_alu 0xfffe
	s_or_b32 exec_lo, exec_lo, s5
	s_wait_dscnt 0x1
	v_and_b32_e32 v1, 0x1e0, v0
	s_mov_b32 s5, exec_lo
	s_delay_alu instid0(VALU_DEP_1) | instskip(SKIP_1) | instid1(VALU_DEP_1)
	v_min_u32_e32 v1, 0x160, v1
	s_wait_dscnt 0x0
	v_or_b32_e32 v6, 31, v1
	v_lshrrev_b32_e32 v1, 5, v0
	s_delay_alu instid0(VALU_DEP_2)
	v_cmpx_eq_u32_e64 v0, v6
; %bb.38:
	s_delay_alu instid0(VALU_DEP_2)
	v_lshlrev_b32_e32 v6, 3, v1
	ds_store_b64 v6, v[3:4]
; %bb.39:
	s_wait_alu 0xfffe
	s_or_b32 exec_lo, exec_lo, s5
	s_delay_alu instid0(SALU_CYCLE_1)
	s_mov_b32 s5, exec_lo
	s_wait_loadcnt_dscnt 0x0
	s_barrier_signal -1
	s_barrier_wait -1
	global_inv scope:SCOPE_SE
	v_cmpx_gt_u32_e32 12, v0
	s_cbranch_execz .LBB402_49
; %bb.40:
	v_lshlrev_b32_e32 v6, 3, v0
	ds_load_b64 v[3:4], v6
	s_wait_dscnt 0x0
	v_mov_b32_dpp v19, v3 row_shr:1 row_mask:0xf bank_mask:0xf
	v_mov_b32_dpp v8, v4 row_shr:1 row_mask:0xf bank_mask:0xf
	v_mov_b32_e32 v7, v3
	s_and_saveexec_b32 s6, s0
; %bb.41:
	s_delay_alu instid0(VALU_DEP_3) | instskip(SKIP_2) | instid1(VALU_DEP_2)
	v_add_co_u32 v7, s4, v3, v19
	s_wait_alu 0xf1ff
	v_add_co_ci_u32_e64 v4, null, 0, v4, s4
	v_add_co_u32 v3, s4, 0, v7
	s_wait_alu 0xf1ff
	s_delay_alu instid0(VALU_DEP_2)
	v_add_co_ci_u32_e64 v4, null, v8, v4, s4
; %bb.42:
	s_wait_alu 0xfffe
	s_or_b32 exec_lo, exec_lo, s6
	v_mov_b32_dpp v19, v7 row_shr:2 row_mask:0xf bank_mask:0xf
	s_delay_alu instid0(VALU_DEP_2)
	v_mov_b32_dpp v8, v4 row_shr:2 row_mask:0xf bank_mask:0xf
	s_and_saveexec_b32 s4, vcc_lo
; %bb.43:
	s_delay_alu instid0(VALU_DEP_2) | instskip(SKIP_2) | instid1(VALU_DEP_2)
	v_add_co_u32 v7, vcc_lo, v3, v19
	s_wait_alu 0xfffd
	v_add_co_ci_u32_e64 v4, null, 0, v4, vcc_lo
	v_add_co_u32 v3, vcc_lo, 0, v7
	s_wait_alu 0xfffd
	s_delay_alu instid0(VALU_DEP_2)
	v_add_co_ci_u32_e64 v4, null, v8, v4, vcc_lo
; %bb.44:
	s_wait_alu 0xfffe
	s_or_b32 exec_lo, exec_lo, s4
	v_mov_b32_dpp v19, v7 row_shr:4 row_mask:0xf bank_mask:0xf
	s_delay_alu instid0(VALU_DEP_2)
	v_mov_b32_dpp v8, v4 row_shr:4 row_mask:0xf bank_mask:0xf
	s_and_saveexec_b32 s4, s1
; %bb.45:
	s_delay_alu instid0(VALU_DEP_2) | instskip(SKIP_2) | instid1(VALU_DEP_2)
	v_add_co_u32 v7, vcc_lo, v3, v19
	s_wait_alu 0xfffd
	v_add_co_ci_u32_e64 v4, null, 0, v4, vcc_lo
	v_add_co_u32 v3, vcc_lo, 0, v7
	s_wait_alu 0xfffd
	s_delay_alu instid0(VALU_DEP_2)
	v_add_co_ci_u32_e64 v4, null, v8, v4, vcc_lo
; %bb.46:
	s_wait_alu 0xfffe
	s_or_b32 exec_lo, exec_lo, s4
	v_mov_b32_dpp v8, v7 row_shr:8 row_mask:0xf bank_mask:0xf
	s_delay_alu instid0(VALU_DEP_2)
	v_mov_b32_dpp v7, v4 row_shr:8 row_mask:0xf bank_mask:0xf
	s_and_saveexec_b32 s1, s3
; %bb.47:
	s_delay_alu instid0(VALU_DEP_2) | instskip(SKIP_2) | instid1(VALU_DEP_2)
	v_add_co_u32 v3, vcc_lo, v3, v8
	s_wait_alu 0xfffd
	v_add_co_ci_u32_e64 v4, null, 0, v4, vcc_lo
	v_add_co_u32 v3, vcc_lo, v3, 0
	s_wait_alu 0xfffd
	s_delay_alu instid0(VALU_DEP_2)
	v_add_co_ci_u32_e64 v4, null, v4, v7, vcc_lo
; %bb.48:
	s_wait_alu 0xfffe
	s_or_b32 exec_lo, exec_lo, s1
	ds_store_b64 v6, v[3:4]
.LBB402_49:
	s_wait_alu 0xfffe
	s_or_b32 exec_lo, exec_lo, s5
	s_delay_alu instid0(SALU_CYCLE_1)
	s_mov_b32 s3, exec_lo
	v_cmp_gt_u32_e32 vcc_lo, 32, v0
	s_wait_loadcnt_dscnt 0x0
	s_barrier_signal -1
	s_barrier_wait -1
	global_inv scope:SCOPE_SE
                                        ; implicit-def: $vgpr19_vgpr20
	v_cmpx_lt_u32_e32 31, v0
	s_cbranch_execz .LBB402_51
; %bb.50:
	v_lshl_add_u32 v1, v1, 3, -8
	ds_load_b64 v[19:20], v1
	s_wait_dscnt 0x0
	v_add_co_u32 v5, s1, v5, v19
	s_wait_alu 0xf1ff
	v_add_co_ci_u32_e64 v2, null, v2, v20, s1
.LBB402_51:
	s_wait_alu 0xfffe
	s_or_b32 exec_lo, exec_lo, s3
	v_sub_co_u32 v1, s1, v42, 1
	s_delay_alu instid0(VALU_DEP_1) | instskip(SKIP_1) | instid1(VALU_DEP_1)
	v_cmp_gt_i32_e64 s3, 0, v1
	s_wait_alu 0xf1ff
	v_cndmask_b32_e64 v1, v1, v42, s3
	s_delay_alu instid0(VALU_DEP_1)
	v_lshlrev_b32_e32 v1, 2, v1
	ds_bpermute_b32 v25, v1, v5
	ds_bpermute_b32 v26, v1, v2
	s_and_saveexec_b32 s3, vcc_lo
	s_cbranch_execz .LBB402_90
; %bb.52:
	v_mov_b32_e32 v4, 0
	ds_load_b64 v[1:2], v4 offset:88
	s_and_saveexec_b32 s4, s1
	s_cbranch_execz .LBB402_54
; %bb.53:
	s_add_co_i32 s16, s18, 32
	s_mov_b32 s17, 0
	s_wait_alu 0xfffe
	s_lshl_b64 s[16:17], s[16:17], 4
	s_wait_alu 0xfffe
	s_add_nc_u64 s[16:17], s[14:15], s[16:17]
	v_mov_b32_e32 v3, 1
	s_wait_alu 0xfffe
	v_dual_mov_b32 v5, s16 :: v_dual_mov_b32 v6, s17
	s_wait_dscnt 0x0
	;;#ASMSTART
	global_store_b128 v[5:6], v[1:4] off scope:SCOPE_DEV	
s_wait_storecnt 0x0
	;;#ASMEND
.LBB402_54:
	s_wait_alu 0xfffe
	s_or_b32 exec_lo, exec_lo, s4
	v_xad_u32 v21, v42, -1, s18
	s_mov_b32 s5, 0
	s_mov_b32 s4, exec_lo
	s_delay_alu instid0(VALU_DEP_1) | instskip(NEXT) | instid1(VALU_DEP_1)
	v_add_nc_u32_e32 v3, 32, v21
	v_lshlrev_b64_e32 v[3:4], 4, v[3:4]
	s_delay_alu instid0(VALU_DEP_1) | instskip(SKIP_1) | instid1(VALU_DEP_2)
	v_add_co_u32 v3, vcc_lo, s14, v3
	s_wait_alu 0xfffd
	v_add_co_ci_u32_e64 v4, null, s15, v4, vcc_lo
	;;#ASMSTART
	global_load_b128 v[5:8], v[3:4] off scope:SCOPE_DEV	
s_wait_loadcnt 0x0
	;;#ASMEND
	v_and_b32_e32 v8, 0xff, v7
	s_delay_alu instid0(VALU_DEP_1)
	v_cmpx_eq_u16_e32 0, v8
	s_cbranch_execz .LBB402_57
.LBB402_55:                             ; =>This Inner Loop Header: Depth=1
	;;#ASMSTART
	global_load_b128 v[5:8], v[3:4] off scope:SCOPE_DEV	
s_wait_loadcnt 0x0
	;;#ASMEND
	v_and_b32_e32 v8, 0xff, v7
	s_delay_alu instid0(VALU_DEP_1)
	v_cmp_ne_u16_e32 vcc_lo, 0, v8
	s_wait_alu 0xfffe
	s_or_b32 s5, vcc_lo, s5
	s_wait_alu 0xfffe
	s_and_not1_b32 exec_lo, exec_lo, s5
	s_cbranch_execnz .LBB402_55
; %bb.56:
	s_or_b32 exec_lo, exec_lo, s5
.LBB402_57:
	s_wait_alu 0xfffe
	s_or_b32 exec_lo, exec_lo, s4
	v_cmp_ne_u32_e32 vcc_lo, 31, v42
	v_and_b32_e32 v4, 0xff, v7
	v_lshlrev_b32_e64 v28, v42, -1
	s_mov_b32 s4, exec_lo
	s_wait_alu 0xfffd
	v_add_co_ci_u32_e64 v3, null, 0, v42, vcc_lo
	v_cmp_eq_u16_e32 vcc_lo, 2, v4
	s_delay_alu instid0(VALU_DEP_2)
	v_dual_mov_b32 v4, v5 :: v_dual_lshlrev_b32 v27, 2, v3
	s_wait_alu 0xfffd
	v_and_or_b32 v3, vcc_lo, v28, 0x80000000
	ds_bpermute_b32 v22, v27, v5
	ds_bpermute_b32 v8, v27, v6
	v_ctz_i32_b32_e32 v3, v3
	s_delay_alu instid0(VALU_DEP_1)
	v_cmpx_lt_u32_e64 v42, v3
	s_cbranch_execz .LBB402_59
; %bb.58:
	s_wait_dscnt 0x1
	v_add_co_u32 v4, vcc_lo, v5, v22
	s_wait_alu 0xfffd
	v_add_co_ci_u32_e64 v6, null, 0, v6, vcc_lo
	s_delay_alu instid0(VALU_DEP_2) | instskip(SKIP_2) | instid1(VALU_DEP_2)
	v_add_co_u32 v5, vcc_lo, 0, v4
	s_wait_dscnt 0x0
	s_wait_alu 0xfffd
	v_add_co_ci_u32_e64 v6, null, v8, v6, vcc_lo
.LBB402_59:
	s_wait_alu 0xfffe
	s_or_b32 exec_lo, exec_lo, s4
	v_cmp_gt_u32_e32 vcc_lo, 30, v42
	v_add_nc_u32_e32 v30, 2, v42
	s_mov_b32 s4, exec_lo
	s_wait_dscnt 0x0
	s_wait_alu 0xfffd
	v_cndmask_b32_e64 v8, 0, 2, vcc_lo
	s_delay_alu instid0(VALU_DEP_1)
	v_add_lshl_u32 v29, v8, v42, 2
	ds_bpermute_b32 v22, v29, v4
	ds_bpermute_b32 v8, v29, v6
	v_cmpx_le_u32_e64 v30, v3
	s_cbranch_execz .LBB402_61
; %bb.60:
	s_wait_dscnt 0x1
	v_add_co_u32 v4, vcc_lo, v5, v22
	s_wait_alu 0xfffd
	v_add_co_ci_u32_e64 v6, null, 0, v6, vcc_lo
	s_delay_alu instid0(VALU_DEP_2) | instskip(SKIP_2) | instid1(VALU_DEP_2)
	v_add_co_u32 v5, vcc_lo, 0, v4
	s_wait_dscnt 0x0
	s_wait_alu 0xfffd
	v_add_co_ci_u32_e64 v6, null, v8, v6, vcc_lo
.LBB402_61:
	s_wait_alu 0xfffe
	s_or_b32 exec_lo, exec_lo, s4
	v_cmp_gt_u32_e32 vcc_lo, 28, v42
	v_add_nc_u32_e32 v45, 4, v42
	s_mov_b32 s4, exec_lo
	s_wait_dscnt 0x0
	s_wait_alu 0xfffd
	v_cndmask_b32_e64 v8, 0, 4, vcc_lo
	s_delay_alu instid0(VALU_DEP_1)
	v_add_lshl_u32 v44, v8, v42, 2
	ds_bpermute_b32 v22, v44, v4
	ds_bpermute_b32 v8, v44, v6
	v_cmpx_le_u32_e64 v45, v3
	;; [unrolled: 25-line block ×3, first 2 shown]
	s_cbranch_execz .LBB402_65
; %bb.64:
	s_wait_dscnt 0x1
	v_add_co_u32 v4, vcc_lo, v5, v22
	s_wait_alu 0xfffd
	v_add_co_ci_u32_e64 v6, null, 0, v6, vcc_lo
	s_delay_alu instid0(VALU_DEP_2) | instskip(SKIP_2) | instid1(VALU_DEP_2)
	v_add_co_u32 v5, vcc_lo, 0, v4
	s_wait_dscnt 0x0
	s_wait_alu 0xfffd
	v_add_co_ci_u32_e64 v6, null, v8, v6, vcc_lo
.LBB402_65:
	s_wait_alu 0xfffe
	s_or_b32 exec_lo, exec_lo, s4
	v_lshl_or_b32 v48, v42, 2, 64
	v_add_nc_u32_e32 v49, 16, v42
	s_mov_b32 s4, exec_lo
	s_wait_dscnt 0x0
	ds_bpermute_b32 v8, v48, v4
	ds_bpermute_b32 v4, v48, v6
	v_cmpx_le_u32_e64 v49, v3
	s_cbranch_execz .LBB402_67
; %bb.66:
	s_wait_dscnt 0x1
	v_add_co_u32 v3, vcc_lo, v5, v8
	s_wait_alu 0xfffd
	v_add_co_ci_u32_e64 v6, null, 0, v6, vcc_lo
	s_delay_alu instid0(VALU_DEP_2) | instskip(SKIP_2) | instid1(VALU_DEP_2)
	v_add_co_u32 v5, vcc_lo, v3, 0
	s_wait_dscnt 0x0
	s_wait_alu 0xfffd
	v_add_co_ci_u32_e64 v6, null, v6, v4, vcc_lo
.LBB402_67:
	s_wait_alu 0xfffe
	s_or_b32 exec_lo, exec_lo, s4
	v_mov_b32_e32 v22, 0
	s_branch .LBB402_70
.LBB402_68:                             ;   in Loop: Header=BB402_70 Depth=1
	s_wait_alu 0xfffe
	s_or_b32 exec_lo, exec_lo, s4
	v_add_co_u32 v5, vcc_lo, v5, v3
	v_subrev_nc_u32_e32 v21, 32, v21
	s_wait_alu 0xfffd
	v_add_co_ci_u32_e64 v6, null, v6, v4, vcc_lo
	s_mov_b32 s4, 0
.LBB402_69:                             ;   in Loop: Header=BB402_70 Depth=1
	s_wait_alu 0xfffe
	s_and_b32 vcc_lo, exec_lo, s4
	s_wait_alu 0xfffe
	s_cbranch_vccnz .LBB402_86
.LBB402_70:                             ; =>This Loop Header: Depth=1
                                        ;     Child Loop BB402_73 Depth 2
	v_and_b32_e32 v3, 0xff, v7
	s_mov_b32 s4, -1
	s_delay_alu instid0(VALU_DEP_1)
	v_cmp_ne_u16_e32 vcc_lo, 2, v3
	s_wait_dscnt 0x0
	v_dual_mov_b32 v3, v5 :: v_dual_mov_b32 v4, v6
                                        ; implicit-def: $vgpr5_vgpr6
	s_cmp_lg_u32 vcc_lo, exec_lo
	s_cbranch_scc1 .LBB402_69
; %bb.71:                               ;   in Loop: Header=BB402_70 Depth=1
	v_lshlrev_b64_e32 v[5:6], 4, v[21:22]
	s_mov_b32 s4, exec_lo
	s_delay_alu instid0(VALU_DEP_1) | instskip(SKIP_1) | instid1(VALU_DEP_2)
	v_add_co_u32 v23, vcc_lo, s14, v5
	s_wait_alu 0xfffd
	v_add_co_ci_u32_e64 v24, null, s15, v6, vcc_lo
	;;#ASMSTART
	global_load_b128 v[5:8], v[23:24] off scope:SCOPE_DEV	
s_wait_loadcnt 0x0
	;;#ASMEND
	v_and_b32_e32 v8, 0xff, v7
	s_delay_alu instid0(VALU_DEP_1)
	v_cmpx_eq_u16_e32 0, v8
	s_cbranch_execz .LBB402_75
; %bb.72:                               ;   in Loop: Header=BB402_70 Depth=1
	s_mov_b32 s5, 0
.LBB402_73:                             ;   Parent Loop BB402_70 Depth=1
                                        ; =>  This Inner Loop Header: Depth=2
	;;#ASMSTART
	global_load_b128 v[5:8], v[23:24] off scope:SCOPE_DEV	
s_wait_loadcnt 0x0
	;;#ASMEND
	v_and_b32_e32 v8, 0xff, v7
	s_delay_alu instid0(VALU_DEP_1)
	v_cmp_ne_u16_e32 vcc_lo, 0, v8
	s_wait_alu 0xfffe
	s_or_b32 s5, vcc_lo, s5
	s_wait_alu 0xfffe
	s_and_not1_b32 exec_lo, exec_lo, s5
	s_cbranch_execnz .LBB402_73
; %bb.74:                               ;   in Loop: Header=BB402_70 Depth=1
	s_or_b32 exec_lo, exec_lo, s5
.LBB402_75:                             ;   in Loop: Header=BB402_70 Depth=1
	s_wait_alu 0xfffe
	s_or_b32 exec_lo, exec_lo, s4
	v_dual_mov_b32 v23, v5 :: v_dual_and_b32 v8, 0xff, v7
	ds_bpermute_b32 v50, v27, v5
	ds_bpermute_b32 v24, v27, v6
	s_mov_b32 s4, exec_lo
	v_cmp_eq_u16_e32 vcc_lo, 2, v8
	s_wait_alu 0xfffd
	v_and_or_b32 v8, vcc_lo, v28, 0x80000000
	s_delay_alu instid0(VALU_DEP_1) | instskip(NEXT) | instid1(VALU_DEP_1)
	v_ctz_i32_b32_e32 v8, v8
	v_cmpx_lt_u32_e64 v42, v8
	s_cbranch_execz .LBB402_77
; %bb.76:                               ;   in Loop: Header=BB402_70 Depth=1
	s_wait_dscnt 0x1
	v_add_co_u32 v23, vcc_lo, v5, v50
	s_wait_alu 0xfffd
	v_add_co_ci_u32_e64 v6, null, 0, v6, vcc_lo
	s_delay_alu instid0(VALU_DEP_2) | instskip(SKIP_2) | instid1(VALU_DEP_2)
	v_add_co_u32 v5, vcc_lo, 0, v23
	s_wait_dscnt 0x0
	s_wait_alu 0xfffd
	v_add_co_ci_u32_e64 v6, null, v24, v6, vcc_lo
.LBB402_77:                             ;   in Loop: Header=BB402_70 Depth=1
	s_wait_alu 0xfffe
	s_or_b32 exec_lo, exec_lo, s4
	s_wait_dscnt 0x1
	ds_bpermute_b32 v50, v29, v23
	s_wait_dscnt 0x1
	ds_bpermute_b32 v24, v29, v6
	s_mov_b32 s4, exec_lo
	v_cmpx_le_u32_e64 v30, v8
	s_cbranch_execz .LBB402_79
; %bb.78:                               ;   in Loop: Header=BB402_70 Depth=1
	s_wait_dscnt 0x1
	v_add_co_u32 v23, vcc_lo, v5, v50
	s_wait_alu 0xfffd
	v_add_co_ci_u32_e64 v6, null, 0, v6, vcc_lo
	s_delay_alu instid0(VALU_DEP_2) | instskip(SKIP_2) | instid1(VALU_DEP_2)
	v_add_co_u32 v5, vcc_lo, 0, v23
	s_wait_dscnt 0x0
	s_wait_alu 0xfffd
	v_add_co_ci_u32_e64 v6, null, v24, v6, vcc_lo
.LBB402_79:                             ;   in Loop: Header=BB402_70 Depth=1
	s_wait_alu 0xfffe
	s_or_b32 exec_lo, exec_lo, s4
	s_wait_dscnt 0x1
	ds_bpermute_b32 v50, v44, v23
	s_wait_dscnt 0x1
	ds_bpermute_b32 v24, v44, v6
	s_mov_b32 s4, exec_lo
	v_cmpx_le_u32_e64 v45, v8
	;; [unrolled: 20-line block ×3, first 2 shown]
	s_cbranch_execz .LBB402_83
; %bb.82:                               ;   in Loop: Header=BB402_70 Depth=1
	s_wait_dscnt 0x1
	v_add_co_u32 v23, vcc_lo, v5, v50
	s_wait_alu 0xfffd
	v_add_co_ci_u32_e64 v6, null, 0, v6, vcc_lo
	s_delay_alu instid0(VALU_DEP_2) | instskip(SKIP_2) | instid1(VALU_DEP_2)
	v_add_co_u32 v5, vcc_lo, 0, v23
	s_wait_dscnt 0x0
	s_wait_alu 0xfffd
	v_add_co_ci_u32_e64 v6, null, v24, v6, vcc_lo
.LBB402_83:                             ;   in Loop: Header=BB402_70 Depth=1
	s_wait_alu 0xfffe
	s_or_b32 exec_lo, exec_lo, s4
	s_wait_dscnt 0x0
	ds_bpermute_b32 v24, v48, v23
	ds_bpermute_b32 v23, v48, v6
	s_mov_b32 s4, exec_lo
	v_cmpx_le_u32_e64 v49, v8
	s_cbranch_execz .LBB402_68
; %bb.84:                               ;   in Loop: Header=BB402_70 Depth=1
	s_wait_dscnt 0x1
	v_add_co_u32 v5, vcc_lo, v5, v24
	s_wait_alu 0xfffd
	v_add_co_ci_u32_e64 v6, null, 0, v6, vcc_lo
	s_delay_alu instid0(VALU_DEP_2) | instskip(SKIP_2) | instid1(VALU_DEP_2)
	v_add_co_u32 v5, vcc_lo, v5, 0
	s_wait_dscnt 0x0
	s_wait_alu 0xfffd
	v_add_co_ci_u32_e64 v6, null, v6, v23, vcc_lo
	s_branch .LBB402_68
.LBB402_85:
                                        ; implicit-def: $vgpr19_vgpr20
                                        ; implicit-def: $vgpr6_vgpr7
                                        ; implicit-def: $vgpr21_vgpr22
                                        ; implicit-def: $vgpr23_vgpr24
                                        ; implicit-def: $vgpr25_vgpr26
                                        ; implicit-def: $vgpr27_vgpr28
                                        ; implicit-def: $vgpr29_vgpr30
                                        ; implicit-def: $vgpr4_vgpr5
	s_wait_alu 0xfffe
	s_and_b32 vcc_lo, exec_lo, s1
	s_wait_alu 0xfffe
	s_cbranch_vccnz .LBB402_91
	s_branch .LBB402_118
.LBB402_86:
	s_and_saveexec_b32 s4, s1
	s_cbranch_execz .LBB402_88
; %bb.87:
	s_add_co_i32 s16, s18, 32
	s_mov_b32 s17, 0
	v_add_co_u32 v5, vcc_lo, v3, v1
	s_wait_alu 0xfffe
	s_lshl_b64 s[16:17], s[16:17], 4
	v_dual_mov_b32 v7, 2 :: v_dual_mov_b32 v8, 0
	s_wait_alu 0xfffe
	s_add_nc_u64 s[16:17], s[14:15], s[16:17]
	s_wait_alu 0xfffd
	v_add_co_ci_u32_e64 v6, null, v4, v2, vcc_lo
	s_wait_alu 0xfffe
	v_dual_mov_b32 v22, s17 :: v_dual_mov_b32 v21, s16
	;;#ASMSTART
	global_store_b128 v[21:22], v[5:8] off scope:SCOPE_DEV	
s_wait_storecnt 0x0
	;;#ASMEND
	ds_store_b128 v8, v[1:4] offset:10752
.LBB402_88:
	s_wait_alu 0xfffe
	s_or_b32 exec_lo, exec_lo, s4
	s_delay_alu instid0(SALU_CYCLE_1)
	s_and_b32 exec_lo, exec_lo, s2
; %bb.89:
	v_mov_b32_e32 v1, 0
	ds_store_b64 v1, v[3:4] offset:88
.LBB402_90:
	s_wait_alu 0xfffe
	s_or_b32 exec_lo, exec_lo, s3
	v_mov_b32_e32 v3, 0
	s_wait_loadcnt_dscnt 0x0
	s_barrier_signal -1
	s_barrier_wait -1
	global_inv scope:SCOPE_SE
	ds_load_b64 v[1:2], v3 offset:88
	v_cndmask_b32_e64 v4, v25, v19, s1
	v_cndmask_b32_e64 v5, v26, v20, s1
	s_wait_loadcnt_dscnt 0x0
	s_barrier_signal -1
	s_barrier_wait -1
	v_cndmask_b32_e64 v4, v4, 0, s2
	v_cndmask_b32_e64 v5, v5, 0, s2
	global_inv scope:SCOPE_SE
	v_add_co_u32 v29, vcc_lo, v1, v4
	s_wait_alu 0xfffd
	v_add_co_ci_u32_e64 v30, null, v2, v5, vcc_lo
	ds_load_b128 v[2:5], v3 offset:10752
	v_add_co_u32 v27, vcc_lo, v29, v39
	s_wait_alu 0xfffd
	v_add_co_ci_u32_e64 v28, null, 0, v30, vcc_lo
	s_delay_alu instid0(VALU_DEP_2) | instskip(SKIP_1) | instid1(VALU_DEP_2)
	v_add_co_u32 v25, vcc_lo, v27, v38
	s_wait_alu 0xfffd
	v_add_co_ci_u32_e64 v26, null, 0, v28, vcc_lo
	s_delay_alu instid0(VALU_DEP_2) | instskip(SKIP_1) | instid1(VALU_DEP_2)
	;; [unrolled: 4-line block ×5, first 2 shown]
	v_add_co_u32 v19, vcc_lo, v6, v37
	s_wait_alu 0xfffd
	v_add_co_ci_u32_e64 v20, null, 0, v7, vcc_lo
	s_branch .LBB402_118
.LBB402_91:
	s_wait_dscnt 0x0
	v_dual_mov_b32 v2, 0 :: v_dual_mov_b32 v3, v17
	v_mov_b32_dpp v4, v17 row_shr:1 row_mask:0xf bank_mask:0xf
	s_delay_alu instid0(VALU_DEP_2)
	v_mov_b32_dpp v1, v2 row_shr:1 row_mask:0xf bank_mask:0xf
	s_and_saveexec_b32 s1, s0
; %bb.92:
	s_delay_alu instid0(VALU_DEP_2) | instskip(SKIP_2) | instid1(VALU_DEP_2)
	v_add_co_u32 v3, vcc_lo, v17, v4
	s_wait_alu 0xfffd
	v_add_co_ci_u32_e64 v2, null, 0, v18, vcc_lo
	v_add_co_u32 v17, vcc_lo, 0, v3
	s_wait_alu 0xfffd
	s_delay_alu instid0(VALU_DEP_2) | instskip(NEXT) | instid1(VALU_DEP_1)
	v_add_co_ci_u32_e64 v18, null, v1, v2, vcc_lo
	v_mov_b32_e32 v2, v18
; %bb.93:
	s_wait_alu 0xfffe
	s_or_b32 exec_lo, exec_lo, s1
	v_mov_b32_dpp v1, v3 row_shr:2 row_mask:0xf bank_mask:0xf
	s_delay_alu instid0(VALU_DEP_2)
	v_mov_b32_dpp v4, v2 row_shr:2 row_mask:0xf bank_mask:0xf
	v_cmp_lt_u32_e32 vcc_lo, 1, v43
	s_and_saveexec_b32 s3, vcc_lo
; %bb.94:
	s_delay_alu instid0(VALU_DEP_3) | instskip(SKIP_2) | instid1(VALU_DEP_2)
	v_add_co_u32 v3, s1, v17, v1
	s_wait_alu 0xf1ff
	v_add_co_ci_u32_e64 v2, null, 0, v18, s1
	v_add_co_u32 v1, s1, 0, v3
	s_wait_alu 0xf1ff
	s_delay_alu instid0(VALU_DEP_2) | instskip(NEXT) | instid1(VALU_DEP_1)
	v_add_co_ci_u32_e64 v2, null, v4, v2, s1
	v_dual_mov_b32 v18, v2 :: v_dual_mov_b32 v17, v1
; %bb.95:
	s_wait_alu 0xfffe
	s_or_b32 exec_lo, exec_lo, s3
	v_mov_b32_dpp v1, v3 row_shr:4 row_mask:0xf bank_mask:0xf
	v_mov_b32_dpp v4, v2 row_shr:4 row_mask:0xf bank_mask:0xf
	v_cmp_lt_u32_e64 s1, 3, v43
	s_and_saveexec_b32 s4, s1
; %bb.96:
	v_add_co_u32 v3, s3, v17, v1
	s_wait_alu 0xf1ff
	v_add_co_ci_u32_e64 v2, null, 0, v18, s3
	s_delay_alu instid0(VALU_DEP_2) | instskip(SKIP_1) | instid1(VALU_DEP_2)
	v_add_co_u32 v1, s3, 0, v3
	s_wait_alu 0xf1ff
	v_add_co_ci_u32_e64 v2, null, v4, v2, s3
	s_delay_alu instid0(VALU_DEP_1)
	v_dual_mov_b32 v18, v2 :: v_dual_mov_b32 v17, v1
; %bb.97:
	s_wait_alu 0xfffe
	s_or_b32 exec_lo, exec_lo, s4
	v_mov_b32_dpp v4, v3 row_shr:8 row_mask:0xf bank_mask:0xf
	v_mov_b32_dpp v1, v2 row_shr:8 row_mask:0xf bank_mask:0xf
	v_cmp_lt_u32_e64 s3, 7, v43
	s_and_saveexec_b32 s5, s3
; %bb.98:
	v_add_co_u32 v3, s4, v17, v4
	s_wait_alu 0xf1ff
	v_add_co_ci_u32_e64 v2, null, 0, v18, s4
	s_delay_alu instid0(VALU_DEP_2) | instskip(SKIP_1) | instid1(VALU_DEP_2)
	v_add_co_u32 v17, s4, 0, v3
	s_wait_alu 0xf1ff
	v_add_co_ci_u32_e64 v18, null, v1, v2, s4
	s_delay_alu instid0(VALU_DEP_1)
	v_mov_b32_e32 v2, v18
; %bb.99:
	s_wait_alu 0xfffe
	s_or_b32 exec_lo, exec_lo, s5
	ds_swizzle_b32 v3, v3 offset:swizzle(BROADCAST,32,15)
	ds_swizzle_b32 v1, v2 offset:swizzle(BROADCAST,32,15)
	v_and_b32_e32 v2, 16, v42
	s_mov_b32 s5, exec_lo
	s_delay_alu instid0(VALU_DEP_1)
	v_cmpx_ne_u32_e32 0, v2
	s_cbranch_execz .LBB402_101
; %bb.100:
	s_wait_dscnt 0x1
	v_add_co_u32 v2, s4, v17, v3
	s_wait_alu 0xf1ff
	v_add_co_ci_u32_e64 v3, null, 0, v18, s4
	s_delay_alu instid0(VALU_DEP_2) | instskip(SKIP_2) | instid1(VALU_DEP_2)
	v_add_co_u32 v17, s4, v2, 0
	s_wait_dscnt 0x0
	s_wait_alu 0xf1ff
	v_add_co_ci_u32_e64 v18, null, v3, v1, s4
.LBB402_101:
	s_wait_alu 0xfffe
	s_or_b32 exec_lo, exec_lo, s5
	s_wait_dscnt 0x0
	v_and_b32_e32 v1, 0x1e0, v0
	v_lshrrev_b32_e32 v3, 5, v0
	s_mov_b32 s5, exec_lo
	s_delay_alu instid0(VALU_DEP_2) | instskip(NEXT) | instid1(VALU_DEP_1)
	v_min_u32_e32 v1, 0x160, v1
	v_or_b32_e32 v1, 31, v1
	s_delay_alu instid0(VALU_DEP_1)
	v_cmpx_eq_u32_e64 v0, v1
; %bb.102:
	v_lshlrev_b32_e32 v1, 3, v3
	ds_store_b64 v1, v[17:18]
; %bb.103:
	s_wait_alu 0xfffe
	s_or_b32 exec_lo, exec_lo, s5
	s_delay_alu instid0(SALU_CYCLE_1)
	s_mov_b32 s5, exec_lo
	s_wait_loadcnt_dscnt 0x0
	s_barrier_signal -1
	s_barrier_wait -1
	global_inv scope:SCOPE_SE
	v_cmpx_gt_u32_e32 12, v0
	s_cbranch_execz .LBB402_113
; %bb.104:
	v_mad_i32_i24 v1, 0xffffffec, v0, v32
	ds_load_b64 v[1:2], v1
	s_wait_dscnt 0x0
	v_mov_b32_dpp v6, v1 row_shr:1 row_mask:0xf bank_mask:0xf
	v_mov_b32_dpp v5, v2 row_shr:1 row_mask:0xf bank_mask:0xf
	v_mov_b32_e32 v4, v1
	s_and_saveexec_b32 s4, s0
; %bb.105:
	s_delay_alu instid0(VALU_DEP_3) | instskip(SKIP_2) | instid1(VALU_DEP_2)
	v_add_co_u32 v4, s0, v1, v6
	s_wait_alu 0xf1ff
	v_add_co_ci_u32_e64 v2, null, 0, v2, s0
	v_add_co_u32 v1, s0, 0, v4
	s_wait_alu 0xf1ff
	s_delay_alu instid0(VALU_DEP_2)
	v_add_co_ci_u32_e64 v2, null, v5, v2, s0
; %bb.106:
	s_wait_alu 0xfffe
	s_or_b32 exec_lo, exec_lo, s4
	v_mov_b32_dpp v6, v4 row_shr:2 row_mask:0xf bank_mask:0xf
	s_delay_alu instid0(VALU_DEP_2)
	v_mov_b32_dpp v5, v2 row_shr:2 row_mask:0xf bank_mask:0xf
	s_and_saveexec_b32 s0, vcc_lo
; %bb.107:
	s_delay_alu instid0(VALU_DEP_2) | instskip(SKIP_2) | instid1(VALU_DEP_2)
	v_add_co_u32 v4, vcc_lo, v1, v6
	s_wait_alu 0xfffd
	v_add_co_ci_u32_e64 v2, null, 0, v2, vcc_lo
	v_add_co_u32 v1, vcc_lo, 0, v4
	s_wait_alu 0xfffd
	s_delay_alu instid0(VALU_DEP_2)
	v_add_co_ci_u32_e64 v2, null, v5, v2, vcc_lo
; %bb.108:
	s_wait_alu 0xfffe
	s_or_b32 exec_lo, exec_lo, s0
	v_mov_b32_dpp v6, v4 row_shr:4 row_mask:0xf bank_mask:0xf
	s_delay_alu instid0(VALU_DEP_2)
	v_mov_b32_dpp v5, v2 row_shr:4 row_mask:0xf bank_mask:0xf
	s_and_saveexec_b32 s0, s1
; %bb.109:
	s_delay_alu instid0(VALU_DEP_2) | instskip(SKIP_2) | instid1(VALU_DEP_2)
	v_add_co_u32 v4, vcc_lo, v1, v6
	s_wait_alu 0xfffd
	v_add_co_ci_u32_e64 v2, null, 0, v2, vcc_lo
	v_add_co_u32 v1, vcc_lo, 0, v4
	s_wait_alu 0xfffd
	s_delay_alu instid0(VALU_DEP_2)
	v_add_co_ci_u32_e64 v2, null, v5, v2, vcc_lo
; %bb.110:
	s_wait_alu 0xfffe
	s_or_b32 exec_lo, exec_lo, s0
	v_mul_i32_i24_e32 v5, 0xffffffec, v0
	v_mov_b32_dpp v6, v4 row_shr:8 row_mask:0xf bank_mask:0xf
	v_mov_b32_dpp v4, v2 row_shr:8 row_mask:0xf bank_mask:0xf
	s_and_saveexec_b32 s0, s3
; %bb.111:
	s_delay_alu instid0(VALU_DEP_2) | instskip(SKIP_2) | instid1(VALU_DEP_2)
	v_add_co_u32 v1, vcc_lo, v1, v6
	s_wait_alu 0xfffd
	v_add_co_ci_u32_e64 v2, null, 0, v2, vcc_lo
	v_add_co_u32 v1, vcc_lo, v1, 0
	s_wait_alu 0xfffd
	s_delay_alu instid0(VALU_DEP_2)
	v_add_co_ci_u32_e64 v2, null, v2, v4, vcc_lo
; %bb.112:
	s_wait_alu 0xfffe
	s_or_b32 exec_lo, exec_lo, s0
	v_add_nc_u32_e32 v4, v32, v5
	ds_store_b64 v4, v[1:2]
.LBB402_113:
	s_wait_alu 0xfffe
	s_or_b32 exec_lo, exec_lo, s5
	v_mov_b32_e32 v6, 0
	v_mov_b32_e32 v7, 0
	s_mov_b32 s0, exec_lo
	s_wait_loadcnt_dscnt 0x0
	s_barrier_signal -1
	s_barrier_wait -1
	global_inv scope:SCOPE_SE
	v_cmpx_lt_u32_e32 31, v0
; %bb.114:
	v_lshl_add_u32 v1, v3, 3, -8
	ds_load_b64 v[6:7], v1
; %bb.115:
	s_wait_alu 0xfffe
	s_or_b32 exec_lo, exec_lo, s0
	v_sub_co_u32 v1, vcc_lo, v42, 1
	v_mov_b32_e32 v5, 0
	s_delay_alu instid0(VALU_DEP_2) | instskip(SKIP_1) | instid1(VALU_DEP_1)
	v_cmp_gt_i32_e64 s0, 0, v1
	s_wait_alu 0xf1ff
	v_cndmask_b32_e64 v1, v1, v42, s0
	s_delay_alu instid0(VALU_DEP_1)
	v_lshlrev_b32_e32 v2, 2, v1
	s_wait_dscnt 0x0
	v_add_co_u32 v1, s0, v6, v17
	s_wait_alu 0xf1ff
	v_add_co_ci_u32_e64 v3, null, v7, v18, s0
	ds_bpermute_b32 v1, v2, v1
	ds_bpermute_b32 v8, v2, v3
	ds_load_b64 v[2:3], v5 offset:88
	s_and_saveexec_b32 s0, s2
	s_cbranch_execz .LBB402_117
; %bb.116:
	s_add_nc_u64 s[4:5], s[14:15], 0x200
	v_mov_b32_e32 v4, 2
	s_wait_alu 0xfffe
	v_dual_mov_b32 v18, s5 :: v_dual_mov_b32 v17, s4
	s_wait_dscnt 0x0
	;;#ASMSTART
	global_store_b128 v[17:18], v[2:5] off scope:SCOPE_DEV	
s_wait_storecnt 0x0
	;;#ASMEND
.LBB402_117:
	s_wait_alu 0xfffe
	s_or_b32 exec_lo, exec_lo, s0
	s_wait_dscnt 0x1
	s_wait_alu 0xfffd
	v_dual_cndmask_b32 v1, v1, v6 :: v_dual_cndmask_b32 v4, v8, v7
	s_wait_loadcnt_dscnt 0x0
	s_barrier_signal -1
	s_barrier_wait -1
	s_delay_alu instid0(VALU_DEP_1)
	v_cndmask_b32_e64 v29, v1, 0, s2
	v_cndmask_b32_e64 v30, v4, 0, s2
	v_mov_b32_e32 v4, 0
	v_mov_b32_e32 v5, 0
	global_inv scope:SCOPE_SE
	v_add_co_u32 v27, vcc_lo, v29, v39
	s_wait_alu 0xfffd
	v_add_co_ci_u32_e64 v28, null, 0, v30, vcc_lo
	s_delay_alu instid0(VALU_DEP_2) | instskip(SKIP_1) | instid1(VALU_DEP_2)
	v_add_co_u32 v25, vcc_lo, v27, v38
	s_wait_alu 0xfffd
	v_add_co_ci_u32_e64 v26, null, 0, v28, vcc_lo
	s_delay_alu instid0(VALU_DEP_2) | instskip(SKIP_1) | instid1(VALU_DEP_2)
	;; [unrolled: 4-line block ×5, first 2 shown]
	v_add_co_u32 v19, vcc_lo, v6, v37
	s_wait_alu 0xfffd
	v_add_co_ci_u32_e64 v20, null, 0, v7, vcc_lo
.LBB402_118:
	v_and_b32_e32 v37, 1, v31
	s_wait_dscnt 0x0
	v_cmp_gt_u64_e32 vcc_lo, 0x181, v[2:3]
	v_lshlrev_b64_e32 v[17:18], 2, v[9:10]
	v_lshrrev_b32_e32 v8, 8, v31
	v_lshrrev_b32_e32 v1, 16, v31
	v_cmp_eq_u32_e64 s0, 1, v37
	s_mov_b32 s1, -1
	s_cbranch_vccnz .LBB402_122
; %bb.119:
	s_wait_alu 0xfffe
	s_and_b32 vcc_lo, exec_lo, s1
	s_wait_alu 0xfffe
	s_cbranch_vccnz .LBB402_137
.LBB402_120:
	s_and_b32 s0, s2, s7
	s_wait_alu 0xfffe
	s_and_saveexec_b32 s1, s0
	s_cbranch_execnz .LBB402_154
.LBB402_121:
	s_endpgm
.LBB402_122:
	v_add_co_u32 v31, vcc_lo, v4, v2
	s_wait_alu 0xfffd
	v_add_co_ci_u32_e64 v32, null, v5, v3, vcc_lo
	v_add_co_u32 v38, s1, s12, v17
	s_wait_alu 0xf1fe
	v_add_co_ci_u32_e64 v39, null, s13, v18, s1
	s_delay_alu instid0(VALU_DEP_3)
	v_cmp_lt_u64_e32 vcc_lo, v[29:30], v[31:32]
	s_or_b32 s1, s10, vcc_lo
	s_wait_alu 0xfffe
	s_and_b32 s1, s1, s0
	s_wait_alu 0xfffe
	s_and_saveexec_b32 s0, s1
	s_cbranch_execz .LBB402_124
; %bb.123:
	v_lshlrev_b64_e32 v[40:41], 2, v[29:30]
	s_delay_alu instid0(VALU_DEP_1) | instskip(SKIP_1) | instid1(VALU_DEP_2)
	v_add_co_u32 v40, vcc_lo, v38, v40
	s_wait_alu 0xfffd
	v_add_co_ci_u32_e64 v41, null, v39, v41, vcc_lo
	global_store_b32 v[40:41], v15, off
.LBB402_124:
	s_wait_alu 0xfffe
	s_or_b32 exec_lo, exec_lo, s0
	v_and_b32_e32 v30, 1, v8
	v_cmp_lt_u64_e32 vcc_lo, v[27:28], v[31:32]
	s_delay_alu instid0(VALU_DEP_2)
	v_cmp_eq_u32_e64 s0, 1, v30
	s_or_b32 s1, s10, vcc_lo
	s_wait_alu 0xfffe
	s_and_b32 s1, s1, s0
	s_wait_alu 0xfffe
	s_and_saveexec_b32 s0, s1
	s_cbranch_execz .LBB402_126
; %bb.125:
	v_lshlrev_b64_e32 v[40:41], 2, v[27:28]
	s_delay_alu instid0(VALU_DEP_1) | instskip(SKIP_1) | instid1(VALU_DEP_2)
	v_add_co_u32 v40, vcc_lo, v38, v40
	s_wait_alu 0xfffd
	v_add_co_ci_u32_e64 v41, null, v39, v41, vcc_lo
	global_store_b32 v[40:41], v16, off
.LBB402_126:
	s_wait_alu 0xfffe
	s_or_b32 exec_lo, exec_lo, s0
	v_and_b32_e32 v28, 1, v1
	v_cmp_lt_u64_e32 vcc_lo, v[25:26], v[31:32]
	s_delay_alu instid0(VALU_DEP_2)
	v_cmp_eq_u32_e64 s0, 1, v28
	;; [unrolled: 20-line block ×5, first 2 shown]
	s_or_b32 s1, s10, vcc_lo
	s_wait_alu 0xfffe
	s_and_b32 s1, s1, s0
	s_wait_alu 0xfffe
	s_and_saveexec_b32 s0, s1
	s_cbranch_execz .LBB402_134
; %bb.133:
	v_lshlrev_b64_e32 v[40:41], 2, v[6:7]
	s_delay_alu instid0(VALU_DEP_1) | instskip(SKIP_1) | instid1(VALU_DEP_2)
	v_add_co_u32 v40, vcc_lo, v38, v40
	s_wait_alu 0xfffd
	v_add_co_ci_u32_e64 v41, null, v39, v41, vcc_lo
	global_store_b32 v[40:41], v12, off
.LBB402_134:
	s_wait_alu 0xfffe
	s_or_b32 exec_lo, exec_lo, s0
	v_cmp_lt_u64_e32 vcc_lo, v[19:20], v[31:32]
	s_or_b32 s0, s10, vcc_lo
	s_wait_alu 0xfffe
	s_and_b32 s1, s0, s11
	s_wait_alu 0xfffe
	s_and_saveexec_b32 s0, s1
	s_cbranch_execz .LBB402_136
; %bb.135:
	v_lshlrev_b64_e32 v[30:31], 2, v[19:20]
	s_delay_alu instid0(VALU_DEP_1) | instskip(SKIP_1) | instid1(VALU_DEP_2)
	v_add_co_u32 v30, vcc_lo, v38, v30
	s_wait_alu 0xfffd
	v_add_co_ci_u32_e64 v31, null, v39, v31, vcc_lo
	global_store_b32 v[30:31], v33, off
.LBB402_136:
	s_wait_alu 0xfffe
	s_or_b32 exec_lo, exec_lo, s0
	s_branch .LBB402_120
.LBB402_137:
	s_mov_b32 s0, exec_lo
	v_cmpx_eq_u32_e32 1, v37
; %bb.138:
	v_sub_nc_u32_e32 v7, v29, v4
	s_delay_alu instid0(VALU_DEP_1)
	v_lshlrev_b32_e32 v7, 2, v7
	ds_store_b32 v7, v15
; %bb.139:
	s_wait_alu 0xfffe
	s_or_b32 exec_lo, exec_lo, s0
	v_and_b32_e32 v7, 1, v8
	s_mov_b32 s0, exec_lo
	s_delay_alu instid0(VALU_DEP_1)
	v_cmpx_eq_u32_e32 1, v7
; %bb.140:
	v_sub_nc_u32_e32 v7, v27, v4
	s_delay_alu instid0(VALU_DEP_1)
	v_lshlrev_b32_e32 v7, 2, v7
	ds_store_b32 v7, v16
; %bb.141:
	s_wait_alu 0xfffe
	s_or_b32 exec_lo, exec_lo, s0
	v_and_b32_e32 v1, 1, v1
	s_mov_b32 s0, exec_lo
	s_delay_alu instid0(VALU_DEP_1)
	;; [unrolled: 12-line block ×5, first 2 shown]
	v_cmpx_eq_u32_e32 1, v1
; %bb.148:
	v_sub_nc_u32_e32 v1, v6, v4
	s_delay_alu instid0(VALU_DEP_1)
	v_lshlrev_b32_e32 v1, 2, v1
	ds_store_b32 v1, v12
; %bb.149:
	s_wait_alu 0xfffe
	s_or_b32 exec_lo, exec_lo, s0
	s_and_saveexec_b32 s0, s11
; %bb.150:
	v_sub_nc_u32_e32 v1, v19, v4
	s_delay_alu instid0(VALU_DEP_1)
	v_lshlrev_b32_e32 v1, 2, v1
	ds_store_b32 v1, v33
; %bb.151:
	s_wait_alu 0xfffe
	s_or_b32 exec_lo, exec_lo, s0
	v_lshlrev_b64_e32 v[11:12], 2, v[4:5]
	v_add_co_u32 v8, vcc_lo, s12, v17
	v_mov_b32_e32 v1, 0
	s_wait_alu 0xfffd
	v_add_co_ci_u32_e64 v13, null, s13, v18, vcc_lo
	s_delay_alu instid0(VALU_DEP_3) | instskip(NEXT) | instid1(VALU_DEP_3)
	v_add_co_u32 v8, vcc_lo, v8, v11
	v_dual_mov_b32 v7, v1 :: v_dual_mov_b32 v6, v0
	s_wait_alu 0xfffd
	s_delay_alu instid0(VALU_DEP_3)
	v_add_co_ci_u32_e64 v11, null, v13, v12, vcc_lo
	v_add_nc_u32_e32 v0, 0x180, v0
	s_mov_b32 s1, 0
	s_wait_storecnt 0x0
	s_wait_loadcnt_dscnt 0x0
	s_barrier_signal -1
	s_barrier_wait -1
	global_inv scope:SCOPE_SE
.LBB402_152:                            ; =>This Inner Loop Header: Depth=1
	v_lshlrev_b32_e32 v12, 2, v6
	v_cmp_le_u64_e32 vcc_lo, v[2:3], v[0:1]
	ds_load_b32 v14, v12
	v_lshlrev_b64_e32 v[12:13], 2, v[6:7]
	v_dual_mov_b32 v7, v1 :: v_dual_mov_b32 v6, v0
	v_add_nc_u32_e32 v0, 0x180, v0
	s_wait_alu 0xfffe
	s_or_b32 s1, vcc_lo, s1
	s_delay_alu instid0(VALU_DEP_3)
	v_add_co_u32 v12, s0, v8, v12
	s_wait_alu 0xf1ff
	v_add_co_ci_u32_e64 v13, null, v11, v13, s0
	s_wait_dscnt 0x0
	global_store_b32 v[12:13], v14, off
	s_wait_alu 0xfffe
	s_and_not1_b32 exec_lo, exec_lo, s1
	s_cbranch_execnz .LBB402_152
; %bb.153:
	s_or_b32 exec_lo, exec_lo, s1
	s_and_b32 s0, s2, s7
	s_wait_alu 0xfffe
	s_and_saveexec_b32 s1, s0
	s_cbranch_execz .LBB402_121
.LBB402_154:
	v_add_co_u32 v0, vcc_lo, v4, v2
	s_wait_alu 0xfffd
	v_add_co_ci_u32_e64 v1, null, v5, v3, vcc_lo
	v_mov_b32_e32 v2, 0
	s_delay_alu instid0(VALU_DEP_3) | instskip(SKIP_1) | instid1(VALU_DEP_3)
	v_add_co_u32 v0, vcc_lo, v0, v9
	s_wait_alu 0xfffd
	v_add_co_ci_u32_e64 v1, null, v1, v10, vcc_lo
	global_store_b64 v2, v[0:1], s[8:9]
	s_endpgm
	.section	.rodata,"a",@progbits
	.p2align	6, 0x0
	.amdhsa_kernel _ZN7rocprim17ROCPRIM_400000_NS6detail17trampoline_kernelINS0_14default_configENS1_25partition_config_selectorILNS1_17partition_subalgoE6EjNS0_10empty_typeEbEEZZNS1_14partition_implILS5_6ELb0ES3_mN6thrust23THRUST_200600_302600_NS6detail15normal_iteratorINSA_10device_ptrIjEEEEPS6_SG_NS0_5tupleIJSF_S6_EEENSH_IJSG_SG_EEES6_PlJNSB_9not_fun_tINSB_14equal_to_valueIjEEEEEEE10hipError_tPvRmT3_T4_T5_T6_T7_T9_mT8_P12ihipStream_tbDpT10_ENKUlT_T0_E_clISt17integral_constantIbLb0EES17_IbLb1EEEEDaS13_S14_EUlS13_E_NS1_11comp_targetILNS1_3genE10ELNS1_11target_archE1200ELNS1_3gpuE4ELNS1_3repE0EEENS1_30default_config_static_selectorELNS0_4arch9wavefront6targetE0EEEvT1_
		.amdhsa_group_segment_fixed_size 10768
		.amdhsa_private_segment_fixed_size 0
		.amdhsa_kernarg_size 128
		.amdhsa_user_sgpr_count 2
		.amdhsa_user_sgpr_dispatch_ptr 0
		.amdhsa_user_sgpr_queue_ptr 0
		.amdhsa_user_sgpr_kernarg_segment_ptr 1
		.amdhsa_user_sgpr_dispatch_id 0
		.amdhsa_user_sgpr_private_segment_size 0
		.amdhsa_wavefront_size32 1
		.amdhsa_uses_dynamic_stack 0
		.amdhsa_enable_private_segment 0
		.amdhsa_system_sgpr_workgroup_id_x 1
		.amdhsa_system_sgpr_workgroup_id_y 0
		.amdhsa_system_sgpr_workgroup_id_z 0
		.amdhsa_system_sgpr_workgroup_info 0
		.amdhsa_system_vgpr_workitem_id 0
		.amdhsa_next_free_vgpr 51
		.amdhsa_next_free_sgpr 21
		.amdhsa_reserve_vcc 1
		.amdhsa_float_round_mode_32 0
		.amdhsa_float_round_mode_16_64 0
		.amdhsa_float_denorm_mode_32 3
		.amdhsa_float_denorm_mode_16_64 3
		.amdhsa_fp16_overflow 0
		.amdhsa_workgroup_processor_mode 1
		.amdhsa_memory_ordered 1
		.amdhsa_forward_progress 1
		.amdhsa_inst_pref_size 60
		.amdhsa_round_robin_scheduling 0
		.amdhsa_exception_fp_ieee_invalid_op 0
		.amdhsa_exception_fp_denorm_src 0
		.amdhsa_exception_fp_ieee_div_zero 0
		.amdhsa_exception_fp_ieee_overflow 0
		.amdhsa_exception_fp_ieee_underflow 0
		.amdhsa_exception_fp_ieee_inexact 0
		.amdhsa_exception_int_div_zero 0
	.end_amdhsa_kernel
	.section	.text._ZN7rocprim17ROCPRIM_400000_NS6detail17trampoline_kernelINS0_14default_configENS1_25partition_config_selectorILNS1_17partition_subalgoE6EjNS0_10empty_typeEbEEZZNS1_14partition_implILS5_6ELb0ES3_mN6thrust23THRUST_200600_302600_NS6detail15normal_iteratorINSA_10device_ptrIjEEEEPS6_SG_NS0_5tupleIJSF_S6_EEENSH_IJSG_SG_EEES6_PlJNSB_9not_fun_tINSB_14equal_to_valueIjEEEEEEE10hipError_tPvRmT3_T4_T5_T6_T7_T9_mT8_P12ihipStream_tbDpT10_ENKUlT_T0_E_clISt17integral_constantIbLb0EES17_IbLb1EEEEDaS13_S14_EUlS13_E_NS1_11comp_targetILNS1_3genE10ELNS1_11target_archE1200ELNS1_3gpuE4ELNS1_3repE0EEENS1_30default_config_static_selectorELNS0_4arch9wavefront6targetE0EEEvT1_,"axG",@progbits,_ZN7rocprim17ROCPRIM_400000_NS6detail17trampoline_kernelINS0_14default_configENS1_25partition_config_selectorILNS1_17partition_subalgoE6EjNS0_10empty_typeEbEEZZNS1_14partition_implILS5_6ELb0ES3_mN6thrust23THRUST_200600_302600_NS6detail15normal_iteratorINSA_10device_ptrIjEEEEPS6_SG_NS0_5tupleIJSF_S6_EEENSH_IJSG_SG_EEES6_PlJNSB_9not_fun_tINSB_14equal_to_valueIjEEEEEEE10hipError_tPvRmT3_T4_T5_T6_T7_T9_mT8_P12ihipStream_tbDpT10_ENKUlT_T0_E_clISt17integral_constantIbLb0EES17_IbLb1EEEEDaS13_S14_EUlS13_E_NS1_11comp_targetILNS1_3genE10ELNS1_11target_archE1200ELNS1_3gpuE4ELNS1_3repE0EEENS1_30default_config_static_selectorELNS0_4arch9wavefront6targetE0EEEvT1_,comdat
.Lfunc_end402:
	.size	_ZN7rocprim17ROCPRIM_400000_NS6detail17trampoline_kernelINS0_14default_configENS1_25partition_config_selectorILNS1_17partition_subalgoE6EjNS0_10empty_typeEbEEZZNS1_14partition_implILS5_6ELb0ES3_mN6thrust23THRUST_200600_302600_NS6detail15normal_iteratorINSA_10device_ptrIjEEEEPS6_SG_NS0_5tupleIJSF_S6_EEENSH_IJSG_SG_EEES6_PlJNSB_9not_fun_tINSB_14equal_to_valueIjEEEEEEE10hipError_tPvRmT3_T4_T5_T6_T7_T9_mT8_P12ihipStream_tbDpT10_ENKUlT_T0_E_clISt17integral_constantIbLb0EES17_IbLb1EEEEDaS13_S14_EUlS13_E_NS1_11comp_targetILNS1_3genE10ELNS1_11target_archE1200ELNS1_3gpuE4ELNS1_3repE0EEENS1_30default_config_static_selectorELNS0_4arch9wavefront6targetE0EEEvT1_, .Lfunc_end402-_ZN7rocprim17ROCPRIM_400000_NS6detail17trampoline_kernelINS0_14default_configENS1_25partition_config_selectorILNS1_17partition_subalgoE6EjNS0_10empty_typeEbEEZZNS1_14partition_implILS5_6ELb0ES3_mN6thrust23THRUST_200600_302600_NS6detail15normal_iteratorINSA_10device_ptrIjEEEEPS6_SG_NS0_5tupleIJSF_S6_EEENSH_IJSG_SG_EEES6_PlJNSB_9not_fun_tINSB_14equal_to_valueIjEEEEEEE10hipError_tPvRmT3_T4_T5_T6_T7_T9_mT8_P12ihipStream_tbDpT10_ENKUlT_T0_E_clISt17integral_constantIbLb0EES17_IbLb1EEEEDaS13_S14_EUlS13_E_NS1_11comp_targetILNS1_3genE10ELNS1_11target_archE1200ELNS1_3gpuE4ELNS1_3repE0EEENS1_30default_config_static_selectorELNS0_4arch9wavefront6targetE0EEEvT1_
                                        ; -- End function
	.set _ZN7rocprim17ROCPRIM_400000_NS6detail17trampoline_kernelINS0_14default_configENS1_25partition_config_selectorILNS1_17partition_subalgoE6EjNS0_10empty_typeEbEEZZNS1_14partition_implILS5_6ELb0ES3_mN6thrust23THRUST_200600_302600_NS6detail15normal_iteratorINSA_10device_ptrIjEEEEPS6_SG_NS0_5tupleIJSF_S6_EEENSH_IJSG_SG_EEES6_PlJNSB_9not_fun_tINSB_14equal_to_valueIjEEEEEEE10hipError_tPvRmT3_T4_T5_T6_T7_T9_mT8_P12ihipStream_tbDpT10_ENKUlT_T0_E_clISt17integral_constantIbLb0EES17_IbLb1EEEEDaS13_S14_EUlS13_E_NS1_11comp_targetILNS1_3genE10ELNS1_11target_archE1200ELNS1_3gpuE4ELNS1_3repE0EEENS1_30default_config_static_selectorELNS0_4arch9wavefront6targetE0EEEvT1_.num_vgpr, 51
	.set _ZN7rocprim17ROCPRIM_400000_NS6detail17trampoline_kernelINS0_14default_configENS1_25partition_config_selectorILNS1_17partition_subalgoE6EjNS0_10empty_typeEbEEZZNS1_14partition_implILS5_6ELb0ES3_mN6thrust23THRUST_200600_302600_NS6detail15normal_iteratorINSA_10device_ptrIjEEEEPS6_SG_NS0_5tupleIJSF_S6_EEENSH_IJSG_SG_EEES6_PlJNSB_9not_fun_tINSB_14equal_to_valueIjEEEEEEE10hipError_tPvRmT3_T4_T5_T6_T7_T9_mT8_P12ihipStream_tbDpT10_ENKUlT_T0_E_clISt17integral_constantIbLb0EES17_IbLb1EEEEDaS13_S14_EUlS13_E_NS1_11comp_targetILNS1_3genE10ELNS1_11target_archE1200ELNS1_3gpuE4ELNS1_3repE0EEENS1_30default_config_static_selectorELNS0_4arch9wavefront6targetE0EEEvT1_.num_agpr, 0
	.set _ZN7rocprim17ROCPRIM_400000_NS6detail17trampoline_kernelINS0_14default_configENS1_25partition_config_selectorILNS1_17partition_subalgoE6EjNS0_10empty_typeEbEEZZNS1_14partition_implILS5_6ELb0ES3_mN6thrust23THRUST_200600_302600_NS6detail15normal_iteratorINSA_10device_ptrIjEEEEPS6_SG_NS0_5tupleIJSF_S6_EEENSH_IJSG_SG_EEES6_PlJNSB_9not_fun_tINSB_14equal_to_valueIjEEEEEEE10hipError_tPvRmT3_T4_T5_T6_T7_T9_mT8_P12ihipStream_tbDpT10_ENKUlT_T0_E_clISt17integral_constantIbLb0EES17_IbLb1EEEEDaS13_S14_EUlS13_E_NS1_11comp_targetILNS1_3genE10ELNS1_11target_archE1200ELNS1_3gpuE4ELNS1_3repE0EEENS1_30default_config_static_selectorELNS0_4arch9wavefront6targetE0EEEvT1_.numbered_sgpr, 21
	.set _ZN7rocprim17ROCPRIM_400000_NS6detail17trampoline_kernelINS0_14default_configENS1_25partition_config_selectorILNS1_17partition_subalgoE6EjNS0_10empty_typeEbEEZZNS1_14partition_implILS5_6ELb0ES3_mN6thrust23THRUST_200600_302600_NS6detail15normal_iteratorINSA_10device_ptrIjEEEEPS6_SG_NS0_5tupleIJSF_S6_EEENSH_IJSG_SG_EEES6_PlJNSB_9not_fun_tINSB_14equal_to_valueIjEEEEEEE10hipError_tPvRmT3_T4_T5_T6_T7_T9_mT8_P12ihipStream_tbDpT10_ENKUlT_T0_E_clISt17integral_constantIbLb0EES17_IbLb1EEEEDaS13_S14_EUlS13_E_NS1_11comp_targetILNS1_3genE10ELNS1_11target_archE1200ELNS1_3gpuE4ELNS1_3repE0EEENS1_30default_config_static_selectorELNS0_4arch9wavefront6targetE0EEEvT1_.num_named_barrier, 0
	.set _ZN7rocprim17ROCPRIM_400000_NS6detail17trampoline_kernelINS0_14default_configENS1_25partition_config_selectorILNS1_17partition_subalgoE6EjNS0_10empty_typeEbEEZZNS1_14partition_implILS5_6ELb0ES3_mN6thrust23THRUST_200600_302600_NS6detail15normal_iteratorINSA_10device_ptrIjEEEEPS6_SG_NS0_5tupleIJSF_S6_EEENSH_IJSG_SG_EEES6_PlJNSB_9not_fun_tINSB_14equal_to_valueIjEEEEEEE10hipError_tPvRmT3_T4_T5_T6_T7_T9_mT8_P12ihipStream_tbDpT10_ENKUlT_T0_E_clISt17integral_constantIbLb0EES17_IbLb1EEEEDaS13_S14_EUlS13_E_NS1_11comp_targetILNS1_3genE10ELNS1_11target_archE1200ELNS1_3gpuE4ELNS1_3repE0EEENS1_30default_config_static_selectorELNS0_4arch9wavefront6targetE0EEEvT1_.private_seg_size, 0
	.set _ZN7rocprim17ROCPRIM_400000_NS6detail17trampoline_kernelINS0_14default_configENS1_25partition_config_selectorILNS1_17partition_subalgoE6EjNS0_10empty_typeEbEEZZNS1_14partition_implILS5_6ELb0ES3_mN6thrust23THRUST_200600_302600_NS6detail15normal_iteratorINSA_10device_ptrIjEEEEPS6_SG_NS0_5tupleIJSF_S6_EEENSH_IJSG_SG_EEES6_PlJNSB_9not_fun_tINSB_14equal_to_valueIjEEEEEEE10hipError_tPvRmT3_T4_T5_T6_T7_T9_mT8_P12ihipStream_tbDpT10_ENKUlT_T0_E_clISt17integral_constantIbLb0EES17_IbLb1EEEEDaS13_S14_EUlS13_E_NS1_11comp_targetILNS1_3genE10ELNS1_11target_archE1200ELNS1_3gpuE4ELNS1_3repE0EEENS1_30default_config_static_selectorELNS0_4arch9wavefront6targetE0EEEvT1_.uses_vcc, 1
	.set _ZN7rocprim17ROCPRIM_400000_NS6detail17trampoline_kernelINS0_14default_configENS1_25partition_config_selectorILNS1_17partition_subalgoE6EjNS0_10empty_typeEbEEZZNS1_14partition_implILS5_6ELb0ES3_mN6thrust23THRUST_200600_302600_NS6detail15normal_iteratorINSA_10device_ptrIjEEEEPS6_SG_NS0_5tupleIJSF_S6_EEENSH_IJSG_SG_EEES6_PlJNSB_9not_fun_tINSB_14equal_to_valueIjEEEEEEE10hipError_tPvRmT3_T4_T5_T6_T7_T9_mT8_P12ihipStream_tbDpT10_ENKUlT_T0_E_clISt17integral_constantIbLb0EES17_IbLb1EEEEDaS13_S14_EUlS13_E_NS1_11comp_targetILNS1_3genE10ELNS1_11target_archE1200ELNS1_3gpuE4ELNS1_3repE0EEENS1_30default_config_static_selectorELNS0_4arch9wavefront6targetE0EEEvT1_.uses_flat_scratch, 1
	.set _ZN7rocprim17ROCPRIM_400000_NS6detail17trampoline_kernelINS0_14default_configENS1_25partition_config_selectorILNS1_17partition_subalgoE6EjNS0_10empty_typeEbEEZZNS1_14partition_implILS5_6ELb0ES3_mN6thrust23THRUST_200600_302600_NS6detail15normal_iteratorINSA_10device_ptrIjEEEEPS6_SG_NS0_5tupleIJSF_S6_EEENSH_IJSG_SG_EEES6_PlJNSB_9not_fun_tINSB_14equal_to_valueIjEEEEEEE10hipError_tPvRmT3_T4_T5_T6_T7_T9_mT8_P12ihipStream_tbDpT10_ENKUlT_T0_E_clISt17integral_constantIbLb0EES17_IbLb1EEEEDaS13_S14_EUlS13_E_NS1_11comp_targetILNS1_3genE10ELNS1_11target_archE1200ELNS1_3gpuE4ELNS1_3repE0EEENS1_30default_config_static_selectorELNS0_4arch9wavefront6targetE0EEEvT1_.has_dyn_sized_stack, 0
	.set _ZN7rocprim17ROCPRIM_400000_NS6detail17trampoline_kernelINS0_14default_configENS1_25partition_config_selectorILNS1_17partition_subalgoE6EjNS0_10empty_typeEbEEZZNS1_14partition_implILS5_6ELb0ES3_mN6thrust23THRUST_200600_302600_NS6detail15normal_iteratorINSA_10device_ptrIjEEEEPS6_SG_NS0_5tupleIJSF_S6_EEENSH_IJSG_SG_EEES6_PlJNSB_9not_fun_tINSB_14equal_to_valueIjEEEEEEE10hipError_tPvRmT3_T4_T5_T6_T7_T9_mT8_P12ihipStream_tbDpT10_ENKUlT_T0_E_clISt17integral_constantIbLb0EES17_IbLb1EEEEDaS13_S14_EUlS13_E_NS1_11comp_targetILNS1_3genE10ELNS1_11target_archE1200ELNS1_3gpuE4ELNS1_3repE0EEENS1_30default_config_static_selectorELNS0_4arch9wavefront6targetE0EEEvT1_.has_recursion, 0
	.set _ZN7rocprim17ROCPRIM_400000_NS6detail17trampoline_kernelINS0_14default_configENS1_25partition_config_selectorILNS1_17partition_subalgoE6EjNS0_10empty_typeEbEEZZNS1_14partition_implILS5_6ELb0ES3_mN6thrust23THRUST_200600_302600_NS6detail15normal_iteratorINSA_10device_ptrIjEEEEPS6_SG_NS0_5tupleIJSF_S6_EEENSH_IJSG_SG_EEES6_PlJNSB_9not_fun_tINSB_14equal_to_valueIjEEEEEEE10hipError_tPvRmT3_T4_T5_T6_T7_T9_mT8_P12ihipStream_tbDpT10_ENKUlT_T0_E_clISt17integral_constantIbLb0EES17_IbLb1EEEEDaS13_S14_EUlS13_E_NS1_11comp_targetILNS1_3genE10ELNS1_11target_archE1200ELNS1_3gpuE4ELNS1_3repE0EEENS1_30default_config_static_selectorELNS0_4arch9wavefront6targetE0EEEvT1_.has_indirect_call, 0
	.section	.AMDGPU.csdata,"",@progbits
; Kernel info:
; codeLenInByte = 7636
; TotalNumSgprs: 23
; NumVgprs: 51
; ScratchSize: 0
; MemoryBound: 0
; FloatMode: 240
; IeeeMode: 1
; LDSByteSize: 10768 bytes/workgroup (compile time only)
; SGPRBlocks: 0
; VGPRBlocks: 6
; NumSGPRsForWavesPerEU: 23
; NumVGPRsForWavesPerEU: 51
; Occupancy: 15
; WaveLimiterHint : 1
; COMPUTE_PGM_RSRC2:SCRATCH_EN: 0
; COMPUTE_PGM_RSRC2:USER_SGPR: 2
; COMPUTE_PGM_RSRC2:TRAP_HANDLER: 0
; COMPUTE_PGM_RSRC2:TGID_X_EN: 1
; COMPUTE_PGM_RSRC2:TGID_Y_EN: 0
; COMPUTE_PGM_RSRC2:TGID_Z_EN: 0
; COMPUTE_PGM_RSRC2:TIDIG_COMP_CNT: 0
	.section	.text._ZN7rocprim17ROCPRIM_400000_NS6detail17trampoline_kernelINS0_14default_configENS1_25partition_config_selectorILNS1_17partition_subalgoE6EjNS0_10empty_typeEbEEZZNS1_14partition_implILS5_6ELb0ES3_mN6thrust23THRUST_200600_302600_NS6detail15normal_iteratorINSA_10device_ptrIjEEEEPS6_SG_NS0_5tupleIJSF_S6_EEENSH_IJSG_SG_EEES6_PlJNSB_9not_fun_tINSB_14equal_to_valueIjEEEEEEE10hipError_tPvRmT3_T4_T5_T6_T7_T9_mT8_P12ihipStream_tbDpT10_ENKUlT_T0_E_clISt17integral_constantIbLb0EES17_IbLb1EEEEDaS13_S14_EUlS13_E_NS1_11comp_targetILNS1_3genE9ELNS1_11target_archE1100ELNS1_3gpuE3ELNS1_3repE0EEENS1_30default_config_static_selectorELNS0_4arch9wavefront6targetE0EEEvT1_,"axG",@progbits,_ZN7rocprim17ROCPRIM_400000_NS6detail17trampoline_kernelINS0_14default_configENS1_25partition_config_selectorILNS1_17partition_subalgoE6EjNS0_10empty_typeEbEEZZNS1_14partition_implILS5_6ELb0ES3_mN6thrust23THRUST_200600_302600_NS6detail15normal_iteratorINSA_10device_ptrIjEEEEPS6_SG_NS0_5tupleIJSF_S6_EEENSH_IJSG_SG_EEES6_PlJNSB_9not_fun_tINSB_14equal_to_valueIjEEEEEEE10hipError_tPvRmT3_T4_T5_T6_T7_T9_mT8_P12ihipStream_tbDpT10_ENKUlT_T0_E_clISt17integral_constantIbLb0EES17_IbLb1EEEEDaS13_S14_EUlS13_E_NS1_11comp_targetILNS1_3genE9ELNS1_11target_archE1100ELNS1_3gpuE3ELNS1_3repE0EEENS1_30default_config_static_selectorELNS0_4arch9wavefront6targetE0EEEvT1_,comdat
	.protected	_ZN7rocprim17ROCPRIM_400000_NS6detail17trampoline_kernelINS0_14default_configENS1_25partition_config_selectorILNS1_17partition_subalgoE6EjNS0_10empty_typeEbEEZZNS1_14partition_implILS5_6ELb0ES3_mN6thrust23THRUST_200600_302600_NS6detail15normal_iteratorINSA_10device_ptrIjEEEEPS6_SG_NS0_5tupleIJSF_S6_EEENSH_IJSG_SG_EEES6_PlJNSB_9not_fun_tINSB_14equal_to_valueIjEEEEEEE10hipError_tPvRmT3_T4_T5_T6_T7_T9_mT8_P12ihipStream_tbDpT10_ENKUlT_T0_E_clISt17integral_constantIbLb0EES17_IbLb1EEEEDaS13_S14_EUlS13_E_NS1_11comp_targetILNS1_3genE9ELNS1_11target_archE1100ELNS1_3gpuE3ELNS1_3repE0EEENS1_30default_config_static_selectorELNS0_4arch9wavefront6targetE0EEEvT1_ ; -- Begin function _ZN7rocprim17ROCPRIM_400000_NS6detail17trampoline_kernelINS0_14default_configENS1_25partition_config_selectorILNS1_17partition_subalgoE6EjNS0_10empty_typeEbEEZZNS1_14partition_implILS5_6ELb0ES3_mN6thrust23THRUST_200600_302600_NS6detail15normal_iteratorINSA_10device_ptrIjEEEEPS6_SG_NS0_5tupleIJSF_S6_EEENSH_IJSG_SG_EEES6_PlJNSB_9not_fun_tINSB_14equal_to_valueIjEEEEEEE10hipError_tPvRmT3_T4_T5_T6_T7_T9_mT8_P12ihipStream_tbDpT10_ENKUlT_T0_E_clISt17integral_constantIbLb0EES17_IbLb1EEEEDaS13_S14_EUlS13_E_NS1_11comp_targetILNS1_3genE9ELNS1_11target_archE1100ELNS1_3gpuE3ELNS1_3repE0EEENS1_30default_config_static_selectorELNS0_4arch9wavefront6targetE0EEEvT1_
	.globl	_ZN7rocprim17ROCPRIM_400000_NS6detail17trampoline_kernelINS0_14default_configENS1_25partition_config_selectorILNS1_17partition_subalgoE6EjNS0_10empty_typeEbEEZZNS1_14partition_implILS5_6ELb0ES3_mN6thrust23THRUST_200600_302600_NS6detail15normal_iteratorINSA_10device_ptrIjEEEEPS6_SG_NS0_5tupleIJSF_S6_EEENSH_IJSG_SG_EEES6_PlJNSB_9not_fun_tINSB_14equal_to_valueIjEEEEEEE10hipError_tPvRmT3_T4_T5_T6_T7_T9_mT8_P12ihipStream_tbDpT10_ENKUlT_T0_E_clISt17integral_constantIbLb0EES17_IbLb1EEEEDaS13_S14_EUlS13_E_NS1_11comp_targetILNS1_3genE9ELNS1_11target_archE1100ELNS1_3gpuE3ELNS1_3repE0EEENS1_30default_config_static_selectorELNS0_4arch9wavefront6targetE0EEEvT1_
	.p2align	8
	.type	_ZN7rocprim17ROCPRIM_400000_NS6detail17trampoline_kernelINS0_14default_configENS1_25partition_config_selectorILNS1_17partition_subalgoE6EjNS0_10empty_typeEbEEZZNS1_14partition_implILS5_6ELb0ES3_mN6thrust23THRUST_200600_302600_NS6detail15normal_iteratorINSA_10device_ptrIjEEEEPS6_SG_NS0_5tupleIJSF_S6_EEENSH_IJSG_SG_EEES6_PlJNSB_9not_fun_tINSB_14equal_to_valueIjEEEEEEE10hipError_tPvRmT3_T4_T5_T6_T7_T9_mT8_P12ihipStream_tbDpT10_ENKUlT_T0_E_clISt17integral_constantIbLb0EES17_IbLb1EEEEDaS13_S14_EUlS13_E_NS1_11comp_targetILNS1_3genE9ELNS1_11target_archE1100ELNS1_3gpuE3ELNS1_3repE0EEENS1_30default_config_static_selectorELNS0_4arch9wavefront6targetE0EEEvT1_,@function
_ZN7rocprim17ROCPRIM_400000_NS6detail17trampoline_kernelINS0_14default_configENS1_25partition_config_selectorILNS1_17partition_subalgoE6EjNS0_10empty_typeEbEEZZNS1_14partition_implILS5_6ELb0ES3_mN6thrust23THRUST_200600_302600_NS6detail15normal_iteratorINSA_10device_ptrIjEEEEPS6_SG_NS0_5tupleIJSF_S6_EEENSH_IJSG_SG_EEES6_PlJNSB_9not_fun_tINSB_14equal_to_valueIjEEEEEEE10hipError_tPvRmT3_T4_T5_T6_T7_T9_mT8_P12ihipStream_tbDpT10_ENKUlT_T0_E_clISt17integral_constantIbLb0EES17_IbLb1EEEEDaS13_S14_EUlS13_E_NS1_11comp_targetILNS1_3genE9ELNS1_11target_archE1100ELNS1_3gpuE3ELNS1_3repE0EEENS1_30default_config_static_selectorELNS0_4arch9wavefront6targetE0EEEvT1_: ; @_ZN7rocprim17ROCPRIM_400000_NS6detail17trampoline_kernelINS0_14default_configENS1_25partition_config_selectorILNS1_17partition_subalgoE6EjNS0_10empty_typeEbEEZZNS1_14partition_implILS5_6ELb0ES3_mN6thrust23THRUST_200600_302600_NS6detail15normal_iteratorINSA_10device_ptrIjEEEEPS6_SG_NS0_5tupleIJSF_S6_EEENSH_IJSG_SG_EEES6_PlJNSB_9not_fun_tINSB_14equal_to_valueIjEEEEEEE10hipError_tPvRmT3_T4_T5_T6_T7_T9_mT8_P12ihipStream_tbDpT10_ENKUlT_T0_E_clISt17integral_constantIbLb0EES17_IbLb1EEEEDaS13_S14_EUlS13_E_NS1_11comp_targetILNS1_3genE9ELNS1_11target_archE1100ELNS1_3gpuE3ELNS1_3repE0EEENS1_30default_config_static_selectorELNS0_4arch9wavefront6targetE0EEEvT1_
; %bb.0:
	.section	.rodata,"a",@progbits
	.p2align	6, 0x0
	.amdhsa_kernel _ZN7rocprim17ROCPRIM_400000_NS6detail17trampoline_kernelINS0_14default_configENS1_25partition_config_selectorILNS1_17partition_subalgoE6EjNS0_10empty_typeEbEEZZNS1_14partition_implILS5_6ELb0ES3_mN6thrust23THRUST_200600_302600_NS6detail15normal_iteratorINSA_10device_ptrIjEEEEPS6_SG_NS0_5tupleIJSF_S6_EEENSH_IJSG_SG_EEES6_PlJNSB_9not_fun_tINSB_14equal_to_valueIjEEEEEEE10hipError_tPvRmT3_T4_T5_T6_T7_T9_mT8_P12ihipStream_tbDpT10_ENKUlT_T0_E_clISt17integral_constantIbLb0EES17_IbLb1EEEEDaS13_S14_EUlS13_E_NS1_11comp_targetILNS1_3genE9ELNS1_11target_archE1100ELNS1_3gpuE3ELNS1_3repE0EEENS1_30default_config_static_selectorELNS0_4arch9wavefront6targetE0EEEvT1_
		.amdhsa_group_segment_fixed_size 0
		.amdhsa_private_segment_fixed_size 0
		.amdhsa_kernarg_size 128
		.amdhsa_user_sgpr_count 2
		.amdhsa_user_sgpr_dispatch_ptr 0
		.amdhsa_user_sgpr_queue_ptr 0
		.amdhsa_user_sgpr_kernarg_segment_ptr 1
		.amdhsa_user_sgpr_dispatch_id 0
		.amdhsa_user_sgpr_private_segment_size 0
		.amdhsa_wavefront_size32 1
		.amdhsa_uses_dynamic_stack 0
		.amdhsa_enable_private_segment 0
		.amdhsa_system_sgpr_workgroup_id_x 1
		.amdhsa_system_sgpr_workgroup_id_y 0
		.amdhsa_system_sgpr_workgroup_id_z 0
		.amdhsa_system_sgpr_workgroup_info 0
		.amdhsa_system_vgpr_workitem_id 0
		.amdhsa_next_free_vgpr 1
		.amdhsa_next_free_sgpr 1
		.amdhsa_reserve_vcc 0
		.amdhsa_float_round_mode_32 0
		.amdhsa_float_round_mode_16_64 0
		.amdhsa_float_denorm_mode_32 3
		.amdhsa_float_denorm_mode_16_64 3
		.amdhsa_fp16_overflow 0
		.amdhsa_workgroup_processor_mode 1
		.amdhsa_memory_ordered 1
		.amdhsa_forward_progress 1
		.amdhsa_inst_pref_size 0
		.amdhsa_round_robin_scheduling 0
		.amdhsa_exception_fp_ieee_invalid_op 0
		.amdhsa_exception_fp_denorm_src 0
		.amdhsa_exception_fp_ieee_div_zero 0
		.amdhsa_exception_fp_ieee_overflow 0
		.amdhsa_exception_fp_ieee_underflow 0
		.amdhsa_exception_fp_ieee_inexact 0
		.amdhsa_exception_int_div_zero 0
	.end_amdhsa_kernel
	.section	.text._ZN7rocprim17ROCPRIM_400000_NS6detail17trampoline_kernelINS0_14default_configENS1_25partition_config_selectorILNS1_17partition_subalgoE6EjNS0_10empty_typeEbEEZZNS1_14partition_implILS5_6ELb0ES3_mN6thrust23THRUST_200600_302600_NS6detail15normal_iteratorINSA_10device_ptrIjEEEEPS6_SG_NS0_5tupleIJSF_S6_EEENSH_IJSG_SG_EEES6_PlJNSB_9not_fun_tINSB_14equal_to_valueIjEEEEEEE10hipError_tPvRmT3_T4_T5_T6_T7_T9_mT8_P12ihipStream_tbDpT10_ENKUlT_T0_E_clISt17integral_constantIbLb0EES17_IbLb1EEEEDaS13_S14_EUlS13_E_NS1_11comp_targetILNS1_3genE9ELNS1_11target_archE1100ELNS1_3gpuE3ELNS1_3repE0EEENS1_30default_config_static_selectorELNS0_4arch9wavefront6targetE0EEEvT1_,"axG",@progbits,_ZN7rocprim17ROCPRIM_400000_NS6detail17trampoline_kernelINS0_14default_configENS1_25partition_config_selectorILNS1_17partition_subalgoE6EjNS0_10empty_typeEbEEZZNS1_14partition_implILS5_6ELb0ES3_mN6thrust23THRUST_200600_302600_NS6detail15normal_iteratorINSA_10device_ptrIjEEEEPS6_SG_NS0_5tupleIJSF_S6_EEENSH_IJSG_SG_EEES6_PlJNSB_9not_fun_tINSB_14equal_to_valueIjEEEEEEE10hipError_tPvRmT3_T4_T5_T6_T7_T9_mT8_P12ihipStream_tbDpT10_ENKUlT_T0_E_clISt17integral_constantIbLb0EES17_IbLb1EEEEDaS13_S14_EUlS13_E_NS1_11comp_targetILNS1_3genE9ELNS1_11target_archE1100ELNS1_3gpuE3ELNS1_3repE0EEENS1_30default_config_static_selectorELNS0_4arch9wavefront6targetE0EEEvT1_,comdat
.Lfunc_end403:
	.size	_ZN7rocprim17ROCPRIM_400000_NS6detail17trampoline_kernelINS0_14default_configENS1_25partition_config_selectorILNS1_17partition_subalgoE6EjNS0_10empty_typeEbEEZZNS1_14partition_implILS5_6ELb0ES3_mN6thrust23THRUST_200600_302600_NS6detail15normal_iteratorINSA_10device_ptrIjEEEEPS6_SG_NS0_5tupleIJSF_S6_EEENSH_IJSG_SG_EEES6_PlJNSB_9not_fun_tINSB_14equal_to_valueIjEEEEEEE10hipError_tPvRmT3_T4_T5_T6_T7_T9_mT8_P12ihipStream_tbDpT10_ENKUlT_T0_E_clISt17integral_constantIbLb0EES17_IbLb1EEEEDaS13_S14_EUlS13_E_NS1_11comp_targetILNS1_3genE9ELNS1_11target_archE1100ELNS1_3gpuE3ELNS1_3repE0EEENS1_30default_config_static_selectorELNS0_4arch9wavefront6targetE0EEEvT1_, .Lfunc_end403-_ZN7rocprim17ROCPRIM_400000_NS6detail17trampoline_kernelINS0_14default_configENS1_25partition_config_selectorILNS1_17partition_subalgoE6EjNS0_10empty_typeEbEEZZNS1_14partition_implILS5_6ELb0ES3_mN6thrust23THRUST_200600_302600_NS6detail15normal_iteratorINSA_10device_ptrIjEEEEPS6_SG_NS0_5tupleIJSF_S6_EEENSH_IJSG_SG_EEES6_PlJNSB_9not_fun_tINSB_14equal_to_valueIjEEEEEEE10hipError_tPvRmT3_T4_T5_T6_T7_T9_mT8_P12ihipStream_tbDpT10_ENKUlT_T0_E_clISt17integral_constantIbLb0EES17_IbLb1EEEEDaS13_S14_EUlS13_E_NS1_11comp_targetILNS1_3genE9ELNS1_11target_archE1100ELNS1_3gpuE3ELNS1_3repE0EEENS1_30default_config_static_selectorELNS0_4arch9wavefront6targetE0EEEvT1_
                                        ; -- End function
	.set _ZN7rocprim17ROCPRIM_400000_NS6detail17trampoline_kernelINS0_14default_configENS1_25partition_config_selectorILNS1_17partition_subalgoE6EjNS0_10empty_typeEbEEZZNS1_14partition_implILS5_6ELb0ES3_mN6thrust23THRUST_200600_302600_NS6detail15normal_iteratorINSA_10device_ptrIjEEEEPS6_SG_NS0_5tupleIJSF_S6_EEENSH_IJSG_SG_EEES6_PlJNSB_9not_fun_tINSB_14equal_to_valueIjEEEEEEE10hipError_tPvRmT3_T4_T5_T6_T7_T9_mT8_P12ihipStream_tbDpT10_ENKUlT_T0_E_clISt17integral_constantIbLb0EES17_IbLb1EEEEDaS13_S14_EUlS13_E_NS1_11comp_targetILNS1_3genE9ELNS1_11target_archE1100ELNS1_3gpuE3ELNS1_3repE0EEENS1_30default_config_static_selectorELNS0_4arch9wavefront6targetE0EEEvT1_.num_vgpr, 0
	.set _ZN7rocprim17ROCPRIM_400000_NS6detail17trampoline_kernelINS0_14default_configENS1_25partition_config_selectorILNS1_17partition_subalgoE6EjNS0_10empty_typeEbEEZZNS1_14partition_implILS5_6ELb0ES3_mN6thrust23THRUST_200600_302600_NS6detail15normal_iteratorINSA_10device_ptrIjEEEEPS6_SG_NS0_5tupleIJSF_S6_EEENSH_IJSG_SG_EEES6_PlJNSB_9not_fun_tINSB_14equal_to_valueIjEEEEEEE10hipError_tPvRmT3_T4_T5_T6_T7_T9_mT8_P12ihipStream_tbDpT10_ENKUlT_T0_E_clISt17integral_constantIbLb0EES17_IbLb1EEEEDaS13_S14_EUlS13_E_NS1_11comp_targetILNS1_3genE9ELNS1_11target_archE1100ELNS1_3gpuE3ELNS1_3repE0EEENS1_30default_config_static_selectorELNS0_4arch9wavefront6targetE0EEEvT1_.num_agpr, 0
	.set _ZN7rocprim17ROCPRIM_400000_NS6detail17trampoline_kernelINS0_14default_configENS1_25partition_config_selectorILNS1_17partition_subalgoE6EjNS0_10empty_typeEbEEZZNS1_14partition_implILS5_6ELb0ES3_mN6thrust23THRUST_200600_302600_NS6detail15normal_iteratorINSA_10device_ptrIjEEEEPS6_SG_NS0_5tupleIJSF_S6_EEENSH_IJSG_SG_EEES6_PlJNSB_9not_fun_tINSB_14equal_to_valueIjEEEEEEE10hipError_tPvRmT3_T4_T5_T6_T7_T9_mT8_P12ihipStream_tbDpT10_ENKUlT_T0_E_clISt17integral_constantIbLb0EES17_IbLb1EEEEDaS13_S14_EUlS13_E_NS1_11comp_targetILNS1_3genE9ELNS1_11target_archE1100ELNS1_3gpuE3ELNS1_3repE0EEENS1_30default_config_static_selectorELNS0_4arch9wavefront6targetE0EEEvT1_.numbered_sgpr, 0
	.set _ZN7rocprim17ROCPRIM_400000_NS6detail17trampoline_kernelINS0_14default_configENS1_25partition_config_selectorILNS1_17partition_subalgoE6EjNS0_10empty_typeEbEEZZNS1_14partition_implILS5_6ELb0ES3_mN6thrust23THRUST_200600_302600_NS6detail15normal_iteratorINSA_10device_ptrIjEEEEPS6_SG_NS0_5tupleIJSF_S6_EEENSH_IJSG_SG_EEES6_PlJNSB_9not_fun_tINSB_14equal_to_valueIjEEEEEEE10hipError_tPvRmT3_T4_T5_T6_T7_T9_mT8_P12ihipStream_tbDpT10_ENKUlT_T0_E_clISt17integral_constantIbLb0EES17_IbLb1EEEEDaS13_S14_EUlS13_E_NS1_11comp_targetILNS1_3genE9ELNS1_11target_archE1100ELNS1_3gpuE3ELNS1_3repE0EEENS1_30default_config_static_selectorELNS0_4arch9wavefront6targetE0EEEvT1_.num_named_barrier, 0
	.set _ZN7rocprim17ROCPRIM_400000_NS6detail17trampoline_kernelINS0_14default_configENS1_25partition_config_selectorILNS1_17partition_subalgoE6EjNS0_10empty_typeEbEEZZNS1_14partition_implILS5_6ELb0ES3_mN6thrust23THRUST_200600_302600_NS6detail15normal_iteratorINSA_10device_ptrIjEEEEPS6_SG_NS0_5tupleIJSF_S6_EEENSH_IJSG_SG_EEES6_PlJNSB_9not_fun_tINSB_14equal_to_valueIjEEEEEEE10hipError_tPvRmT3_T4_T5_T6_T7_T9_mT8_P12ihipStream_tbDpT10_ENKUlT_T0_E_clISt17integral_constantIbLb0EES17_IbLb1EEEEDaS13_S14_EUlS13_E_NS1_11comp_targetILNS1_3genE9ELNS1_11target_archE1100ELNS1_3gpuE3ELNS1_3repE0EEENS1_30default_config_static_selectorELNS0_4arch9wavefront6targetE0EEEvT1_.private_seg_size, 0
	.set _ZN7rocprim17ROCPRIM_400000_NS6detail17trampoline_kernelINS0_14default_configENS1_25partition_config_selectorILNS1_17partition_subalgoE6EjNS0_10empty_typeEbEEZZNS1_14partition_implILS5_6ELb0ES3_mN6thrust23THRUST_200600_302600_NS6detail15normal_iteratorINSA_10device_ptrIjEEEEPS6_SG_NS0_5tupleIJSF_S6_EEENSH_IJSG_SG_EEES6_PlJNSB_9not_fun_tINSB_14equal_to_valueIjEEEEEEE10hipError_tPvRmT3_T4_T5_T6_T7_T9_mT8_P12ihipStream_tbDpT10_ENKUlT_T0_E_clISt17integral_constantIbLb0EES17_IbLb1EEEEDaS13_S14_EUlS13_E_NS1_11comp_targetILNS1_3genE9ELNS1_11target_archE1100ELNS1_3gpuE3ELNS1_3repE0EEENS1_30default_config_static_selectorELNS0_4arch9wavefront6targetE0EEEvT1_.uses_vcc, 0
	.set _ZN7rocprim17ROCPRIM_400000_NS6detail17trampoline_kernelINS0_14default_configENS1_25partition_config_selectorILNS1_17partition_subalgoE6EjNS0_10empty_typeEbEEZZNS1_14partition_implILS5_6ELb0ES3_mN6thrust23THRUST_200600_302600_NS6detail15normal_iteratorINSA_10device_ptrIjEEEEPS6_SG_NS0_5tupleIJSF_S6_EEENSH_IJSG_SG_EEES6_PlJNSB_9not_fun_tINSB_14equal_to_valueIjEEEEEEE10hipError_tPvRmT3_T4_T5_T6_T7_T9_mT8_P12ihipStream_tbDpT10_ENKUlT_T0_E_clISt17integral_constantIbLb0EES17_IbLb1EEEEDaS13_S14_EUlS13_E_NS1_11comp_targetILNS1_3genE9ELNS1_11target_archE1100ELNS1_3gpuE3ELNS1_3repE0EEENS1_30default_config_static_selectorELNS0_4arch9wavefront6targetE0EEEvT1_.uses_flat_scratch, 0
	.set _ZN7rocprim17ROCPRIM_400000_NS6detail17trampoline_kernelINS0_14default_configENS1_25partition_config_selectorILNS1_17partition_subalgoE6EjNS0_10empty_typeEbEEZZNS1_14partition_implILS5_6ELb0ES3_mN6thrust23THRUST_200600_302600_NS6detail15normal_iteratorINSA_10device_ptrIjEEEEPS6_SG_NS0_5tupleIJSF_S6_EEENSH_IJSG_SG_EEES6_PlJNSB_9not_fun_tINSB_14equal_to_valueIjEEEEEEE10hipError_tPvRmT3_T4_T5_T6_T7_T9_mT8_P12ihipStream_tbDpT10_ENKUlT_T0_E_clISt17integral_constantIbLb0EES17_IbLb1EEEEDaS13_S14_EUlS13_E_NS1_11comp_targetILNS1_3genE9ELNS1_11target_archE1100ELNS1_3gpuE3ELNS1_3repE0EEENS1_30default_config_static_selectorELNS0_4arch9wavefront6targetE0EEEvT1_.has_dyn_sized_stack, 0
	.set _ZN7rocprim17ROCPRIM_400000_NS6detail17trampoline_kernelINS0_14default_configENS1_25partition_config_selectorILNS1_17partition_subalgoE6EjNS0_10empty_typeEbEEZZNS1_14partition_implILS5_6ELb0ES3_mN6thrust23THRUST_200600_302600_NS6detail15normal_iteratorINSA_10device_ptrIjEEEEPS6_SG_NS0_5tupleIJSF_S6_EEENSH_IJSG_SG_EEES6_PlJNSB_9not_fun_tINSB_14equal_to_valueIjEEEEEEE10hipError_tPvRmT3_T4_T5_T6_T7_T9_mT8_P12ihipStream_tbDpT10_ENKUlT_T0_E_clISt17integral_constantIbLb0EES17_IbLb1EEEEDaS13_S14_EUlS13_E_NS1_11comp_targetILNS1_3genE9ELNS1_11target_archE1100ELNS1_3gpuE3ELNS1_3repE0EEENS1_30default_config_static_selectorELNS0_4arch9wavefront6targetE0EEEvT1_.has_recursion, 0
	.set _ZN7rocprim17ROCPRIM_400000_NS6detail17trampoline_kernelINS0_14default_configENS1_25partition_config_selectorILNS1_17partition_subalgoE6EjNS0_10empty_typeEbEEZZNS1_14partition_implILS5_6ELb0ES3_mN6thrust23THRUST_200600_302600_NS6detail15normal_iteratorINSA_10device_ptrIjEEEEPS6_SG_NS0_5tupleIJSF_S6_EEENSH_IJSG_SG_EEES6_PlJNSB_9not_fun_tINSB_14equal_to_valueIjEEEEEEE10hipError_tPvRmT3_T4_T5_T6_T7_T9_mT8_P12ihipStream_tbDpT10_ENKUlT_T0_E_clISt17integral_constantIbLb0EES17_IbLb1EEEEDaS13_S14_EUlS13_E_NS1_11comp_targetILNS1_3genE9ELNS1_11target_archE1100ELNS1_3gpuE3ELNS1_3repE0EEENS1_30default_config_static_selectorELNS0_4arch9wavefront6targetE0EEEvT1_.has_indirect_call, 0
	.section	.AMDGPU.csdata,"",@progbits
; Kernel info:
; codeLenInByte = 0
; TotalNumSgprs: 0
; NumVgprs: 0
; ScratchSize: 0
; MemoryBound: 0
; FloatMode: 240
; IeeeMode: 1
; LDSByteSize: 0 bytes/workgroup (compile time only)
; SGPRBlocks: 0
; VGPRBlocks: 0
; NumSGPRsForWavesPerEU: 1
; NumVGPRsForWavesPerEU: 1
; Occupancy: 16
; WaveLimiterHint : 0
; COMPUTE_PGM_RSRC2:SCRATCH_EN: 0
; COMPUTE_PGM_RSRC2:USER_SGPR: 2
; COMPUTE_PGM_RSRC2:TRAP_HANDLER: 0
; COMPUTE_PGM_RSRC2:TGID_X_EN: 1
; COMPUTE_PGM_RSRC2:TGID_Y_EN: 0
; COMPUTE_PGM_RSRC2:TGID_Z_EN: 0
; COMPUTE_PGM_RSRC2:TIDIG_COMP_CNT: 0
	.section	.text._ZN7rocprim17ROCPRIM_400000_NS6detail17trampoline_kernelINS0_14default_configENS1_25partition_config_selectorILNS1_17partition_subalgoE6EjNS0_10empty_typeEbEEZZNS1_14partition_implILS5_6ELb0ES3_mN6thrust23THRUST_200600_302600_NS6detail15normal_iteratorINSA_10device_ptrIjEEEEPS6_SG_NS0_5tupleIJSF_S6_EEENSH_IJSG_SG_EEES6_PlJNSB_9not_fun_tINSB_14equal_to_valueIjEEEEEEE10hipError_tPvRmT3_T4_T5_T6_T7_T9_mT8_P12ihipStream_tbDpT10_ENKUlT_T0_E_clISt17integral_constantIbLb0EES17_IbLb1EEEEDaS13_S14_EUlS13_E_NS1_11comp_targetILNS1_3genE8ELNS1_11target_archE1030ELNS1_3gpuE2ELNS1_3repE0EEENS1_30default_config_static_selectorELNS0_4arch9wavefront6targetE0EEEvT1_,"axG",@progbits,_ZN7rocprim17ROCPRIM_400000_NS6detail17trampoline_kernelINS0_14default_configENS1_25partition_config_selectorILNS1_17partition_subalgoE6EjNS0_10empty_typeEbEEZZNS1_14partition_implILS5_6ELb0ES3_mN6thrust23THRUST_200600_302600_NS6detail15normal_iteratorINSA_10device_ptrIjEEEEPS6_SG_NS0_5tupleIJSF_S6_EEENSH_IJSG_SG_EEES6_PlJNSB_9not_fun_tINSB_14equal_to_valueIjEEEEEEE10hipError_tPvRmT3_T4_T5_T6_T7_T9_mT8_P12ihipStream_tbDpT10_ENKUlT_T0_E_clISt17integral_constantIbLb0EES17_IbLb1EEEEDaS13_S14_EUlS13_E_NS1_11comp_targetILNS1_3genE8ELNS1_11target_archE1030ELNS1_3gpuE2ELNS1_3repE0EEENS1_30default_config_static_selectorELNS0_4arch9wavefront6targetE0EEEvT1_,comdat
	.protected	_ZN7rocprim17ROCPRIM_400000_NS6detail17trampoline_kernelINS0_14default_configENS1_25partition_config_selectorILNS1_17partition_subalgoE6EjNS0_10empty_typeEbEEZZNS1_14partition_implILS5_6ELb0ES3_mN6thrust23THRUST_200600_302600_NS6detail15normal_iteratorINSA_10device_ptrIjEEEEPS6_SG_NS0_5tupleIJSF_S6_EEENSH_IJSG_SG_EEES6_PlJNSB_9not_fun_tINSB_14equal_to_valueIjEEEEEEE10hipError_tPvRmT3_T4_T5_T6_T7_T9_mT8_P12ihipStream_tbDpT10_ENKUlT_T0_E_clISt17integral_constantIbLb0EES17_IbLb1EEEEDaS13_S14_EUlS13_E_NS1_11comp_targetILNS1_3genE8ELNS1_11target_archE1030ELNS1_3gpuE2ELNS1_3repE0EEENS1_30default_config_static_selectorELNS0_4arch9wavefront6targetE0EEEvT1_ ; -- Begin function _ZN7rocprim17ROCPRIM_400000_NS6detail17trampoline_kernelINS0_14default_configENS1_25partition_config_selectorILNS1_17partition_subalgoE6EjNS0_10empty_typeEbEEZZNS1_14partition_implILS5_6ELb0ES3_mN6thrust23THRUST_200600_302600_NS6detail15normal_iteratorINSA_10device_ptrIjEEEEPS6_SG_NS0_5tupleIJSF_S6_EEENSH_IJSG_SG_EEES6_PlJNSB_9not_fun_tINSB_14equal_to_valueIjEEEEEEE10hipError_tPvRmT3_T4_T5_T6_T7_T9_mT8_P12ihipStream_tbDpT10_ENKUlT_T0_E_clISt17integral_constantIbLb0EES17_IbLb1EEEEDaS13_S14_EUlS13_E_NS1_11comp_targetILNS1_3genE8ELNS1_11target_archE1030ELNS1_3gpuE2ELNS1_3repE0EEENS1_30default_config_static_selectorELNS0_4arch9wavefront6targetE0EEEvT1_
	.globl	_ZN7rocprim17ROCPRIM_400000_NS6detail17trampoline_kernelINS0_14default_configENS1_25partition_config_selectorILNS1_17partition_subalgoE6EjNS0_10empty_typeEbEEZZNS1_14partition_implILS5_6ELb0ES3_mN6thrust23THRUST_200600_302600_NS6detail15normal_iteratorINSA_10device_ptrIjEEEEPS6_SG_NS0_5tupleIJSF_S6_EEENSH_IJSG_SG_EEES6_PlJNSB_9not_fun_tINSB_14equal_to_valueIjEEEEEEE10hipError_tPvRmT3_T4_T5_T6_T7_T9_mT8_P12ihipStream_tbDpT10_ENKUlT_T0_E_clISt17integral_constantIbLb0EES17_IbLb1EEEEDaS13_S14_EUlS13_E_NS1_11comp_targetILNS1_3genE8ELNS1_11target_archE1030ELNS1_3gpuE2ELNS1_3repE0EEENS1_30default_config_static_selectorELNS0_4arch9wavefront6targetE0EEEvT1_
	.p2align	8
	.type	_ZN7rocprim17ROCPRIM_400000_NS6detail17trampoline_kernelINS0_14default_configENS1_25partition_config_selectorILNS1_17partition_subalgoE6EjNS0_10empty_typeEbEEZZNS1_14partition_implILS5_6ELb0ES3_mN6thrust23THRUST_200600_302600_NS6detail15normal_iteratorINSA_10device_ptrIjEEEEPS6_SG_NS0_5tupleIJSF_S6_EEENSH_IJSG_SG_EEES6_PlJNSB_9not_fun_tINSB_14equal_to_valueIjEEEEEEE10hipError_tPvRmT3_T4_T5_T6_T7_T9_mT8_P12ihipStream_tbDpT10_ENKUlT_T0_E_clISt17integral_constantIbLb0EES17_IbLb1EEEEDaS13_S14_EUlS13_E_NS1_11comp_targetILNS1_3genE8ELNS1_11target_archE1030ELNS1_3gpuE2ELNS1_3repE0EEENS1_30default_config_static_selectorELNS0_4arch9wavefront6targetE0EEEvT1_,@function
_ZN7rocprim17ROCPRIM_400000_NS6detail17trampoline_kernelINS0_14default_configENS1_25partition_config_selectorILNS1_17partition_subalgoE6EjNS0_10empty_typeEbEEZZNS1_14partition_implILS5_6ELb0ES3_mN6thrust23THRUST_200600_302600_NS6detail15normal_iteratorINSA_10device_ptrIjEEEEPS6_SG_NS0_5tupleIJSF_S6_EEENSH_IJSG_SG_EEES6_PlJNSB_9not_fun_tINSB_14equal_to_valueIjEEEEEEE10hipError_tPvRmT3_T4_T5_T6_T7_T9_mT8_P12ihipStream_tbDpT10_ENKUlT_T0_E_clISt17integral_constantIbLb0EES17_IbLb1EEEEDaS13_S14_EUlS13_E_NS1_11comp_targetILNS1_3genE8ELNS1_11target_archE1030ELNS1_3gpuE2ELNS1_3repE0EEENS1_30default_config_static_selectorELNS0_4arch9wavefront6targetE0EEEvT1_: ; @_ZN7rocprim17ROCPRIM_400000_NS6detail17trampoline_kernelINS0_14default_configENS1_25partition_config_selectorILNS1_17partition_subalgoE6EjNS0_10empty_typeEbEEZZNS1_14partition_implILS5_6ELb0ES3_mN6thrust23THRUST_200600_302600_NS6detail15normal_iteratorINSA_10device_ptrIjEEEEPS6_SG_NS0_5tupleIJSF_S6_EEENSH_IJSG_SG_EEES6_PlJNSB_9not_fun_tINSB_14equal_to_valueIjEEEEEEE10hipError_tPvRmT3_T4_T5_T6_T7_T9_mT8_P12ihipStream_tbDpT10_ENKUlT_T0_E_clISt17integral_constantIbLb0EES17_IbLb1EEEEDaS13_S14_EUlS13_E_NS1_11comp_targetILNS1_3genE8ELNS1_11target_archE1030ELNS1_3gpuE2ELNS1_3repE0EEENS1_30default_config_static_selectorELNS0_4arch9wavefront6targetE0EEEvT1_
; %bb.0:
	.section	.rodata,"a",@progbits
	.p2align	6, 0x0
	.amdhsa_kernel _ZN7rocprim17ROCPRIM_400000_NS6detail17trampoline_kernelINS0_14default_configENS1_25partition_config_selectorILNS1_17partition_subalgoE6EjNS0_10empty_typeEbEEZZNS1_14partition_implILS5_6ELb0ES3_mN6thrust23THRUST_200600_302600_NS6detail15normal_iteratorINSA_10device_ptrIjEEEEPS6_SG_NS0_5tupleIJSF_S6_EEENSH_IJSG_SG_EEES6_PlJNSB_9not_fun_tINSB_14equal_to_valueIjEEEEEEE10hipError_tPvRmT3_T4_T5_T6_T7_T9_mT8_P12ihipStream_tbDpT10_ENKUlT_T0_E_clISt17integral_constantIbLb0EES17_IbLb1EEEEDaS13_S14_EUlS13_E_NS1_11comp_targetILNS1_3genE8ELNS1_11target_archE1030ELNS1_3gpuE2ELNS1_3repE0EEENS1_30default_config_static_selectorELNS0_4arch9wavefront6targetE0EEEvT1_
		.amdhsa_group_segment_fixed_size 0
		.amdhsa_private_segment_fixed_size 0
		.amdhsa_kernarg_size 128
		.amdhsa_user_sgpr_count 2
		.amdhsa_user_sgpr_dispatch_ptr 0
		.amdhsa_user_sgpr_queue_ptr 0
		.amdhsa_user_sgpr_kernarg_segment_ptr 1
		.amdhsa_user_sgpr_dispatch_id 0
		.amdhsa_user_sgpr_private_segment_size 0
		.amdhsa_wavefront_size32 1
		.amdhsa_uses_dynamic_stack 0
		.amdhsa_enable_private_segment 0
		.amdhsa_system_sgpr_workgroup_id_x 1
		.amdhsa_system_sgpr_workgroup_id_y 0
		.amdhsa_system_sgpr_workgroup_id_z 0
		.amdhsa_system_sgpr_workgroup_info 0
		.amdhsa_system_vgpr_workitem_id 0
		.amdhsa_next_free_vgpr 1
		.amdhsa_next_free_sgpr 1
		.amdhsa_reserve_vcc 0
		.amdhsa_float_round_mode_32 0
		.amdhsa_float_round_mode_16_64 0
		.amdhsa_float_denorm_mode_32 3
		.amdhsa_float_denorm_mode_16_64 3
		.amdhsa_fp16_overflow 0
		.amdhsa_workgroup_processor_mode 1
		.amdhsa_memory_ordered 1
		.amdhsa_forward_progress 1
		.amdhsa_inst_pref_size 0
		.amdhsa_round_robin_scheduling 0
		.amdhsa_exception_fp_ieee_invalid_op 0
		.amdhsa_exception_fp_denorm_src 0
		.amdhsa_exception_fp_ieee_div_zero 0
		.amdhsa_exception_fp_ieee_overflow 0
		.amdhsa_exception_fp_ieee_underflow 0
		.amdhsa_exception_fp_ieee_inexact 0
		.amdhsa_exception_int_div_zero 0
	.end_amdhsa_kernel
	.section	.text._ZN7rocprim17ROCPRIM_400000_NS6detail17trampoline_kernelINS0_14default_configENS1_25partition_config_selectorILNS1_17partition_subalgoE6EjNS0_10empty_typeEbEEZZNS1_14partition_implILS5_6ELb0ES3_mN6thrust23THRUST_200600_302600_NS6detail15normal_iteratorINSA_10device_ptrIjEEEEPS6_SG_NS0_5tupleIJSF_S6_EEENSH_IJSG_SG_EEES6_PlJNSB_9not_fun_tINSB_14equal_to_valueIjEEEEEEE10hipError_tPvRmT3_T4_T5_T6_T7_T9_mT8_P12ihipStream_tbDpT10_ENKUlT_T0_E_clISt17integral_constantIbLb0EES17_IbLb1EEEEDaS13_S14_EUlS13_E_NS1_11comp_targetILNS1_3genE8ELNS1_11target_archE1030ELNS1_3gpuE2ELNS1_3repE0EEENS1_30default_config_static_selectorELNS0_4arch9wavefront6targetE0EEEvT1_,"axG",@progbits,_ZN7rocprim17ROCPRIM_400000_NS6detail17trampoline_kernelINS0_14default_configENS1_25partition_config_selectorILNS1_17partition_subalgoE6EjNS0_10empty_typeEbEEZZNS1_14partition_implILS5_6ELb0ES3_mN6thrust23THRUST_200600_302600_NS6detail15normal_iteratorINSA_10device_ptrIjEEEEPS6_SG_NS0_5tupleIJSF_S6_EEENSH_IJSG_SG_EEES6_PlJNSB_9not_fun_tINSB_14equal_to_valueIjEEEEEEE10hipError_tPvRmT3_T4_T5_T6_T7_T9_mT8_P12ihipStream_tbDpT10_ENKUlT_T0_E_clISt17integral_constantIbLb0EES17_IbLb1EEEEDaS13_S14_EUlS13_E_NS1_11comp_targetILNS1_3genE8ELNS1_11target_archE1030ELNS1_3gpuE2ELNS1_3repE0EEENS1_30default_config_static_selectorELNS0_4arch9wavefront6targetE0EEEvT1_,comdat
.Lfunc_end404:
	.size	_ZN7rocprim17ROCPRIM_400000_NS6detail17trampoline_kernelINS0_14default_configENS1_25partition_config_selectorILNS1_17partition_subalgoE6EjNS0_10empty_typeEbEEZZNS1_14partition_implILS5_6ELb0ES3_mN6thrust23THRUST_200600_302600_NS6detail15normal_iteratorINSA_10device_ptrIjEEEEPS6_SG_NS0_5tupleIJSF_S6_EEENSH_IJSG_SG_EEES6_PlJNSB_9not_fun_tINSB_14equal_to_valueIjEEEEEEE10hipError_tPvRmT3_T4_T5_T6_T7_T9_mT8_P12ihipStream_tbDpT10_ENKUlT_T0_E_clISt17integral_constantIbLb0EES17_IbLb1EEEEDaS13_S14_EUlS13_E_NS1_11comp_targetILNS1_3genE8ELNS1_11target_archE1030ELNS1_3gpuE2ELNS1_3repE0EEENS1_30default_config_static_selectorELNS0_4arch9wavefront6targetE0EEEvT1_, .Lfunc_end404-_ZN7rocprim17ROCPRIM_400000_NS6detail17trampoline_kernelINS0_14default_configENS1_25partition_config_selectorILNS1_17partition_subalgoE6EjNS0_10empty_typeEbEEZZNS1_14partition_implILS5_6ELb0ES3_mN6thrust23THRUST_200600_302600_NS6detail15normal_iteratorINSA_10device_ptrIjEEEEPS6_SG_NS0_5tupleIJSF_S6_EEENSH_IJSG_SG_EEES6_PlJNSB_9not_fun_tINSB_14equal_to_valueIjEEEEEEE10hipError_tPvRmT3_T4_T5_T6_T7_T9_mT8_P12ihipStream_tbDpT10_ENKUlT_T0_E_clISt17integral_constantIbLb0EES17_IbLb1EEEEDaS13_S14_EUlS13_E_NS1_11comp_targetILNS1_3genE8ELNS1_11target_archE1030ELNS1_3gpuE2ELNS1_3repE0EEENS1_30default_config_static_selectorELNS0_4arch9wavefront6targetE0EEEvT1_
                                        ; -- End function
	.set _ZN7rocprim17ROCPRIM_400000_NS6detail17trampoline_kernelINS0_14default_configENS1_25partition_config_selectorILNS1_17partition_subalgoE6EjNS0_10empty_typeEbEEZZNS1_14partition_implILS5_6ELb0ES3_mN6thrust23THRUST_200600_302600_NS6detail15normal_iteratorINSA_10device_ptrIjEEEEPS6_SG_NS0_5tupleIJSF_S6_EEENSH_IJSG_SG_EEES6_PlJNSB_9not_fun_tINSB_14equal_to_valueIjEEEEEEE10hipError_tPvRmT3_T4_T5_T6_T7_T9_mT8_P12ihipStream_tbDpT10_ENKUlT_T0_E_clISt17integral_constantIbLb0EES17_IbLb1EEEEDaS13_S14_EUlS13_E_NS1_11comp_targetILNS1_3genE8ELNS1_11target_archE1030ELNS1_3gpuE2ELNS1_3repE0EEENS1_30default_config_static_selectorELNS0_4arch9wavefront6targetE0EEEvT1_.num_vgpr, 0
	.set _ZN7rocprim17ROCPRIM_400000_NS6detail17trampoline_kernelINS0_14default_configENS1_25partition_config_selectorILNS1_17partition_subalgoE6EjNS0_10empty_typeEbEEZZNS1_14partition_implILS5_6ELb0ES3_mN6thrust23THRUST_200600_302600_NS6detail15normal_iteratorINSA_10device_ptrIjEEEEPS6_SG_NS0_5tupleIJSF_S6_EEENSH_IJSG_SG_EEES6_PlJNSB_9not_fun_tINSB_14equal_to_valueIjEEEEEEE10hipError_tPvRmT3_T4_T5_T6_T7_T9_mT8_P12ihipStream_tbDpT10_ENKUlT_T0_E_clISt17integral_constantIbLb0EES17_IbLb1EEEEDaS13_S14_EUlS13_E_NS1_11comp_targetILNS1_3genE8ELNS1_11target_archE1030ELNS1_3gpuE2ELNS1_3repE0EEENS1_30default_config_static_selectorELNS0_4arch9wavefront6targetE0EEEvT1_.num_agpr, 0
	.set _ZN7rocprim17ROCPRIM_400000_NS6detail17trampoline_kernelINS0_14default_configENS1_25partition_config_selectorILNS1_17partition_subalgoE6EjNS0_10empty_typeEbEEZZNS1_14partition_implILS5_6ELb0ES3_mN6thrust23THRUST_200600_302600_NS6detail15normal_iteratorINSA_10device_ptrIjEEEEPS6_SG_NS0_5tupleIJSF_S6_EEENSH_IJSG_SG_EEES6_PlJNSB_9not_fun_tINSB_14equal_to_valueIjEEEEEEE10hipError_tPvRmT3_T4_T5_T6_T7_T9_mT8_P12ihipStream_tbDpT10_ENKUlT_T0_E_clISt17integral_constantIbLb0EES17_IbLb1EEEEDaS13_S14_EUlS13_E_NS1_11comp_targetILNS1_3genE8ELNS1_11target_archE1030ELNS1_3gpuE2ELNS1_3repE0EEENS1_30default_config_static_selectorELNS0_4arch9wavefront6targetE0EEEvT1_.numbered_sgpr, 0
	.set _ZN7rocprim17ROCPRIM_400000_NS6detail17trampoline_kernelINS0_14default_configENS1_25partition_config_selectorILNS1_17partition_subalgoE6EjNS0_10empty_typeEbEEZZNS1_14partition_implILS5_6ELb0ES3_mN6thrust23THRUST_200600_302600_NS6detail15normal_iteratorINSA_10device_ptrIjEEEEPS6_SG_NS0_5tupleIJSF_S6_EEENSH_IJSG_SG_EEES6_PlJNSB_9not_fun_tINSB_14equal_to_valueIjEEEEEEE10hipError_tPvRmT3_T4_T5_T6_T7_T9_mT8_P12ihipStream_tbDpT10_ENKUlT_T0_E_clISt17integral_constantIbLb0EES17_IbLb1EEEEDaS13_S14_EUlS13_E_NS1_11comp_targetILNS1_3genE8ELNS1_11target_archE1030ELNS1_3gpuE2ELNS1_3repE0EEENS1_30default_config_static_selectorELNS0_4arch9wavefront6targetE0EEEvT1_.num_named_barrier, 0
	.set _ZN7rocprim17ROCPRIM_400000_NS6detail17trampoline_kernelINS0_14default_configENS1_25partition_config_selectorILNS1_17partition_subalgoE6EjNS0_10empty_typeEbEEZZNS1_14partition_implILS5_6ELb0ES3_mN6thrust23THRUST_200600_302600_NS6detail15normal_iteratorINSA_10device_ptrIjEEEEPS6_SG_NS0_5tupleIJSF_S6_EEENSH_IJSG_SG_EEES6_PlJNSB_9not_fun_tINSB_14equal_to_valueIjEEEEEEE10hipError_tPvRmT3_T4_T5_T6_T7_T9_mT8_P12ihipStream_tbDpT10_ENKUlT_T0_E_clISt17integral_constantIbLb0EES17_IbLb1EEEEDaS13_S14_EUlS13_E_NS1_11comp_targetILNS1_3genE8ELNS1_11target_archE1030ELNS1_3gpuE2ELNS1_3repE0EEENS1_30default_config_static_selectorELNS0_4arch9wavefront6targetE0EEEvT1_.private_seg_size, 0
	.set _ZN7rocprim17ROCPRIM_400000_NS6detail17trampoline_kernelINS0_14default_configENS1_25partition_config_selectorILNS1_17partition_subalgoE6EjNS0_10empty_typeEbEEZZNS1_14partition_implILS5_6ELb0ES3_mN6thrust23THRUST_200600_302600_NS6detail15normal_iteratorINSA_10device_ptrIjEEEEPS6_SG_NS0_5tupleIJSF_S6_EEENSH_IJSG_SG_EEES6_PlJNSB_9not_fun_tINSB_14equal_to_valueIjEEEEEEE10hipError_tPvRmT3_T4_T5_T6_T7_T9_mT8_P12ihipStream_tbDpT10_ENKUlT_T0_E_clISt17integral_constantIbLb0EES17_IbLb1EEEEDaS13_S14_EUlS13_E_NS1_11comp_targetILNS1_3genE8ELNS1_11target_archE1030ELNS1_3gpuE2ELNS1_3repE0EEENS1_30default_config_static_selectorELNS0_4arch9wavefront6targetE0EEEvT1_.uses_vcc, 0
	.set _ZN7rocprim17ROCPRIM_400000_NS6detail17trampoline_kernelINS0_14default_configENS1_25partition_config_selectorILNS1_17partition_subalgoE6EjNS0_10empty_typeEbEEZZNS1_14partition_implILS5_6ELb0ES3_mN6thrust23THRUST_200600_302600_NS6detail15normal_iteratorINSA_10device_ptrIjEEEEPS6_SG_NS0_5tupleIJSF_S6_EEENSH_IJSG_SG_EEES6_PlJNSB_9not_fun_tINSB_14equal_to_valueIjEEEEEEE10hipError_tPvRmT3_T4_T5_T6_T7_T9_mT8_P12ihipStream_tbDpT10_ENKUlT_T0_E_clISt17integral_constantIbLb0EES17_IbLb1EEEEDaS13_S14_EUlS13_E_NS1_11comp_targetILNS1_3genE8ELNS1_11target_archE1030ELNS1_3gpuE2ELNS1_3repE0EEENS1_30default_config_static_selectorELNS0_4arch9wavefront6targetE0EEEvT1_.uses_flat_scratch, 0
	.set _ZN7rocprim17ROCPRIM_400000_NS6detail17trampoline_kernelINS0_14default_configENS1_25partition_config_selectorILNS1_17partition_subalgoE6EjNS0_10empty_typeEbEEZZNS1_14partition_implILS5_6ELb0ES3_mN6thrust23THRUST_200600_302600_NS6detail15normal_iteratorINSA_10device_ptrIjEEEEPS6_SG_NS0_5tupleIJSF_S6_EEENSH_IJSG_SG_EEES6_PlJNSB_9not_fun_tINSB_14equal_to_valueIjEEEEEEE10hipError_tPvRmT3_T4_T5_T6_T7_T9_mT8_P12ihipStream_tbDpT10_ENKUlT_T0_E_clISt17integral_constantIbLb0EES17_IbLb1EEEEDaS13_S14_EUlS13_E_NS1_11comp_targetILNS1_3genE8ELNS1_11target_archE1030ELNS1_3gpuE2ELNS1_3repE0EEENS1_30default_config_static_selectorELNS0_4arch9wavefront6targetE0EEEvT1_.has_dyn_sized_stack, 0
	.set _ZN7rocprim17ROCPRIM_400000_NS6detail17trampoline_kernelINS0_14default_configENS1_25partition_config_selectorILNS1_17partition_subalgoE6EjNS0_10empty_typeEbEEZZNS1_14partition_implILS5_6ELb0ES3_mN6thrust23THRUST_200600_302600_NS6detail15normal_iteratorINSA_10device_ptrIjEEEEPS6_SG_NS0_5tupleIJSF_S6_EEENSH_IJSG_SG_EEES6_PlJNSB_9not_fun_tINSB_14equal_to_valueIjEEEEEEE10hipError_tPvRmT3_T4_T5_T6_T7_T9_mT8_P12ihipStream_tbDpT10_ENKUlT_T0_E_clISt17integral_constantIbLb0EES17_IbLb1EEEEDaS13_S14_EUlS13_E_NS1_11comp_targetILNS1_3genE8ELNS1_11target_archE1030ELNS1_3gpuE2ELNS1_3repE0EEENS1_30default_config_static_selectorELNS0_4arch9wavefront6targetE0EEEvT1_.has_recursion, 0
	.set _ZN7rocprim17ROCPRIM_400000_NS6detail17trampoline_kernelINS0_14default_configENS1_25partition_config_selectorILNS1_17partition_subalgoE6EjNS0_10empty_typeEbEEZZNS1_14partition_implILS5_6ELb0ES3_mN6thrust23THRUST_200600_302600_NS6detail15normal_iteratorINSA_10device_ptrIjEEEEPS6_SG_NS0_5tupleIJSF_S6_EEENSH_IJSG_SG_EEES6_PlJNSB_9not_fun_tINSB_14equal_to_valueIjEEEEEEE10hipError_tPvRmT3_T4_T5_T6_T7_T9_mT8_P12ihipStream_tbDpT10_ENKUlT_T0_E_clISt17integral_constantIbLb0EES17_IbLb1EEEEDaS13_S14_EUlS13_E_NS1_11comp_targetILNS1_3genE8ELNS1_11target_archE1030ELNS1_3gpuE2ELNS1_3repE0EEENS1_30default_config_static_selectorELNS0_4arch9wavefront6targetE0EEEvT1_.has_indirect_call, 0
	.section	.AMDGPU.csdata,"",@progbits
; Kernel info:
; codeLenInByte = 0
; TotalNumSgprs: 0
; NumVgprs: 0
; ScratchSize: 0
; MemoryBound: 0
; FloatMode: 240
; IeeeMode: 1
; LDSByteSize: 0 bytes/workgroup (compile time only)
; SGPRBlocks: 0
; VGPRBlocks: 0
; NumSGPRsForWavesPerEU: 1
; NumVGPRsForWavesPerEU: 1
; Occupancy: 16
; WaveLimiterHint : 0
; COMPUTE_PGM_RSRC2:SCRATCH_EN: 0
; COMPUTE_PGM_RSRC2:USER_SGPR: 2
; COMPUTE_PGM_RSRC2:TRAP_HANDLER: 0
; COMPUTE_PGM_RSRC2:TGID_X_EN: 1
; COMPUTE_PGM_RSRC2:TGID_Y_EN: 0
; COMPUTE_PGM_RSRC2:TGID_Z_EN: 0
; COMPUTE_PGM_RSRC2:TIDIG_COMP_CNT: 0
	.section	.text._ZN7rocprim17ROCPRIM_400000_NS6detail17trampoline_kernelINS0_14default_configENS1_25partition_config_selectorILNS1_17partition_subalgoE6EtNS0_10empty_typeEbEEZZNS1_14partition_implILS5_6ELb0ES3_mN6thrust23THRUST_200600_302600_NS6detail15normal_iteratorINSA_10device_ptrItEEEEPS6_SG_NS0_5tupleIJSF_S6_EEENSH_IJSG_SG_EEES6_PlJNSB_9not_fun_tINSB_14equal_to_valueItEEEEEEE10hipError_tPvRmT3_T4_T5_T6_T7_T9_mT8_P12ihipStream_tbDpT10_ENKUlT_T0_E_clISt17integral_constantIbLb0EES18_EEDaS13_S14_EUlS13_E_NS1_11comp_targetILNS1_3genE0ELNS1_11target_archE4294967295ELNS1_3gpuE0ELNS1_3repE0EEENS1_30default_config_static_selectorELNS0_4arch9wavefront6targetE0EEEvT1_,"axG",@progbits,_ZN7rocprim17ROCPRIM_400000_NS6detail17trampoline_kernelINS0_14default_configENS1_25partition_config_selectorILNS1_17partition_subalgoE6EtNS0_10empty_typeEbEEZZNS1_14partition_implILS5_6ELb0ES3_mN6thrust23THRUST_200600_302600_NS6detail15normal_iteratorINSA_10device_ptrItEEEEPS6_SG_NS0_5tupleIJSF_S6_EEENSH_IJSG_SG_EEES6_PlJNSB_9not_fun_tINSB_14equal_to_valueItEEEEEEE10hipError_tPvRmT3_T4_T5_T6_T7_T9_mT8_P12ihipStream_tbDpT10_ENKUlT_T0_E_clISt17integral_constantIbLb0EES18_EEDaS13_S14_EUlS13_E_NS1_11comp_targetILNS1_3genE0ELNS1_11target_archE4294967295ELNS1_3gpuE0ELNS1_3repE0EEENS1_30default_config_static_selectorELNS0_4arch9wavefront6targetE0EEEvT1_,comdat
	.protected	_ZN7rocprim17ROCPRIM_400000_NS6detail17trampoline_kernelINS0_14default_configENS1_25partition_config_selectorILNS1_17partition_subalgoE6EtNS0_10empty_typeEbEEZZNS1_14partition_implILS5_6ELb0ES3_mN6thrust23THRUST_200600_302600_NS6detail15normal_iteratorINSA_10device_ptrItEEEEPS6_SG_NS0_5tupleIJSF_S6_EEENSH_IJSG_SG_EEES6_PlJNSB_9not_fun_tINSB_14equal_to_valueItEEEEEEE10hipError_tPvRmT3_T4_T5_T6_T7_T9_mT8_P12ihipStream_tbDpT10_ENKUlT_T0_E_clISt17integral_constantIbLb0EES18_EEDaS13_S14_EUlS13_E_NS1_11comp_targetILNS1_3genE0ELNS1_11target_archE4294967295ELNS1_3gpuE0ELNS1_3repE0EEENS1_30default_config_static_selectorELNS0_4arch9wavefront6targetE0EEEvT1_ ; -- Begin function _ZN7rocprim17ROCPRIM_400000_NS6detail17trampoline_kernelINS0_14default_configENS1_25partition_config_selectorILNS1_17partition_subalgoE6EtNS0_10empty_typeEbEEZZNS1_14partition_implILS5_6ELb0ES3_mN6thrust23THRUST_200600_302600_NS6detail15normal_iteratorINSA_10device_ptrItEEEEPS6_SG_NS0_5tupleIJSF_S6_EEENSH_IJSG_SG_EEES6_PlJNSB_9not_fun_tINSB_14equal_to_valueItEEEEEEE10hipError_tPvRmT3_T4_T5_T6_T7_T9_mT8_P12ihipStream_tbDpT10_ENKUlT_T0_E_clISt17integral_constantIbLb0EES18_EEDaS13_S14_EUlS13_E_NS1_11comp_targetILNS1_3genE0ELNS1_11target_archE4294967295ELNS1_3gpuE0ELNS1_3repE0EEENS1_30default_config_static_selectorELNS0_4arch9wavefront6targetE0EEEvT1_
	.globl	_ZN7rocprim17ROCPRIM_400000_NS6detail17trampoline_kernelINS0_14default_configENS1_25partition_config_selectorILNS1_17partition_subalgoE6EtNS0_10empty_typeEbEEZZNS1_14partition_implILS5_6ELb0ES3_mN6thrust23THRUST_200600_302600_NS6detail15normal_iteratorINSA_10device_ptrItEEEEPS6_SG_NS0_5tupleIJSF_S6_EEENSH_IJSG_SG_EEES6_PlJNSB_9not_fun_tINSB_14equal_to_valueItEEEEEEE10hipError_tPvRmT3_T4_T5_T6_T7_T9_mT8_P12ihipStream_tbDpT10_ENKUlT_T0_E_clISt17integral_constantIbLb0EES18_EEDaS13_S14_EUlS13_E_NS1_11comp_targetILNS1_3genE0ELNS1_11target_archE4294967295ELNS1_3gpuE0ELNS1_3repE0EEENS1_30default_config_static_selectorELNS0_4arch9wavefront6targetE0EEEvT1_
	.p2align	8
	.type	_ZN7rocprim17ROCPRIM_400000_NS6detail17trampoline_kernelINS0_14default_configENS1_25partition_config_selectorILNS1_17partition_subalgoE6EtNS0_10empty_typeEbEEZZNS1_14partition_implILS5_6ELb0ES3_mN6thrust23THRUST_200600_302600_NS6detail15normal_iteratorINSA_10device_ptrItEEEEPS6_SG_NS0_5tupleIJSF_S6_EEENSH_IJSG_SG_EEES6_PlJNSB_9not_fun_tINSB_14equal_to_valueItEEEEEEE10hipError_tPvRmT3_T4_T5_T6_T7_T9_mT8_P12ihipStream_tbDpT10_ENKUlT_T0_E_clISt17integral_constantIbLb0EES18_EEDaS13_S14_EUlS13_E_NS1_11comp_targetILNS1_3genE0ELNS1_11target_archE4294967295ELNS1_3gpuE0ELNS1_3repE0EEENS1_30default_config_static_selectorELNS0_4arch9wavefront6targetE0EEEvT1_,@function
_ZN7rocprim17ROCPRIM_400000_NS6detail17trampoline_kernelINS0_14default_configENS1_25partition_config_selectorILNS1_17partition_subalgoE6EtNS0_10empty_typeEbEEZZNS1_14partition_implILS5_6ELb0ES3_mN6thrust23THRUST_200600_302600_NS6detail15normal_iteratorINSA_10device_ptrItEEEEPS6_SG_NS0_5tupleIJSF_S6_EEENSH_IJSG_SG_EEES6_PlJNSB_9not_fun_tINSB_14equal_to_valueItEEEEEEE10hipError_tPvRmT3_T4_T5_T6_T7_T9_mT8_P12ihipStream_tbDpT10_ENKUlT_T0_E_clISt17integral_constantIbLb0EES18_EEDaS13_S14_EUlS13_E_NS1_11comp_targetILNS1_3genE0ELNS1_11target_archE4294967295ELNS1_3gpuE0ELNS1_3repE0EEENS1_30default_config_static_selectorELNS0_4arch9wavefront6targetE0EEEvT1_: ; @_ZN7rocprim17ROCPRIM_400000_NS6detail17trampoline_kernelINS0_14default_configENS1_25partition_config_selectorILNS1_17partition_subalgoE6EtNS0_10empty_typeEbEEZZNS1_14partition_implILS5_6ELb0ES3_mN6thrust23THRUST_200600_302600_NS6detail15normal_iteratorINSA_10device_ptrItEEEEPS6_SG_NS0_5tupleIJSF_S6_EEENSH_IJSG_SG_EEES6_PlJNSB_9not_fun_tINSB_14equal_to_valueItEEEEEEE10hipError_tPvRmT3_T4_T5_T6_T7_T9_mT8_P12ihipStream_tbDpT10_ENKUlT_T0_E_clISt17integral_constantIbLb0EES18_EEDaS13_S14_EUlS13_E_NS1_11comp_targetILNS1_3genE0ELNS1_11target_archE4294967295ELNS1_3gpuE0ELNS1_3repE0EEENS1_30default_config_static_selectorELNS0_4arch9wavefront6targetE0EEEvT1_
; %bb.0:
	.section	.rodata,"a",@progbits
	.p2align	6, 0x0
	.amdhsa_kernel _ZN7rocprim17ROCPRIM_400000_NS6detail17trampoline_kernelINS0_14default_configENS1_25partition_config_selectorILNS1_17partition_subalgoE6EtNS0_10empty_typeEbEEZZNS1_14partition_implILS5_6ELb0ES3_mN6thrust23THRUST_200600_302600_NS6detail15normal_iteratorINSA_10device_ptrItEEEEPS6_SG_NS0_5tupleIJSF_S6_EEENSH_IJSG_SG_EEES6_PlJNSB_9not_fun_tINSB_14equal_to_valueItEEEEEEE10hipError_tPvRmT3_T4_T5_T6_T7_T9_mT8_P12ihipStream_tbDpT10_ENKUlT_T0_E_clISt17integral_constantIbLb0EES18_EEDaS13_S14_EUlS13_E_NS1_11comp_targetILNS1_3genE0ELNS1_11target_archE4294967295ELNS1_3gpuE0ELNS1_3repE0EEENS1_30default_config_static_selectorELNS0_4arch9wavefront6targetE0EEEvT1_
		.amdhsa_group_segment_fixed_size 0
		.amdhsa_private_segment_fixed_size 0
		.amdhsa_kernarg_size 112
		.amdhsa_user_sgpr_count 2
		.amdhsa_user_sgpr_dispatch_ptr 0
		.amdhsa_user_sgpr_queue_ptr 0
		.amdhsa_user_sgpr_kernarg_segment_ptr 1
		.amdhsa_user_sgpr_dispatch_id 0
		.amdhsa_user_sgpr_private_segment_size 0
		.amdhsa_wavefront_size32 1
		.amdhsa_uses_dynamic_stack 0
		.amdhsa_enable_private_segment 0
		.amdhsa_system_sgpr_workgroup_id_x 1
		.amdhsa_system_sgpr_workgroup_id_y 0
		.amdhsa_system_sgpr_workgroup_id_z 0
		.amdhsa_system_sgpr_workgroup_info 0
		.amdhsa_system_vgpr_workitem_id 0
		.amdhsa_next_free_vgpr 1
		.amdhsa_next_free_sgpr 1
		.amdhsa_reserve_vcc 0
		.amdhsa_float_round_mode_32 0
		.amdhsa_float_round_mode_16_64 0
		.amdhsa_float_denorm_mode_32 3
		.amdhsa_float_denorm_mode_16_64 3
		.amdhsa_fp16_overflow 0
		.amdhsa_workgroup_processor_mode 1
		.amdhsa_memory_ordered 1
		.amdhsa_forward_progress 1
		.amdhsa_inst_pref_size 0
		.amdhsa_round_robin_scheduling 0
		.amdhsa_exception_fp_ieee_invalid_op 0
		.amdhsa_exception_fp_denorm_src 0
		.amdhsa_exception_fp_ieee_div_zero 0
		.amdhsa_exception_fp_ieee_overflow 0
		.amdhsa_exception_fp_ieee_underflow 0
		.amdhsa_exception_fp_ieee_inexact 0
		.amdhsa_exception_int_div_zero 0
	.end_amdhsa_kernel
	.section	.text._ZN7rocprim17ROCPRIM_400000_NS6detail17trampoline_kernelINS0_14default_configENS1_25partition_config_selectorILNS1_17partition_subalgoE6EtNS0_10empty_typeEbEEZZNS1_14partition_implILS5_6ELb0ES3_mN6thrust23THRUST_200600_302600_NS6detail15normal_iteratorINSA_10device_ptrItEEEEPS6_SG_NS0_5tupleIJSF_S6_EEENSH_IJSG_SG_EEES6_PlJNSB_9not_fun_tINSB_14equal_to_valueItEEEEEEE10hipError_tPvRmT3_T4_T5_T6_T7_T9_mT8_P12ihipStream_tbDpT10_ENKUlT_T0_E_clISt17integral_constantIbLb0EES18_EEDaS13_S14_EUlS13_E_NS1_11comp_targetILNS1_3genE0ELNS1_11target_archE4294967295ELNS1_3gpuE0ELNS1_3repE0EEENS1_30default_config_static_selectorELNS0_4arch9wavefront6targetE0EEEvT1_,"axG",@progbits,_ZN7rocprim17ROCPRIM_400000_NS6detail17trampoline_kernelINS0_14default_configENS1_25partition_config_selectorILNS1_17partition_subalgoE6EtNS0_10empty_typeEbEEZZNS1_14partition_implILS5_6ELb0ES3_mN6thrust23THRUST_200600_302600_NS6detail15normal_iteratorINSA_10device_ptrItEEEEPS6_SG_NS0_5tupleIJSF_S6_EEENSH_IJSG_SG_EEES6_PlJNSB_9not_fun_tINSB_14equal_to_valueItEEEEEEE10hipError_tPvRmT3_T4_T5_T6_T7_T9_mT8_P12ihipStream_tbDpT10_ENKUlT_T0_E_clISt17integral_constantIbLb0EES18_EEDaS13_S14_EUlS13_E_NS1_11comp_targetILNS1_3genE0ELNS1_11target_archE4294967295ELNS1_3gpuE0ELNS1_3repE0EEENS1_30default_config_static_selectorELNS0_4arch9wavefront6targetE0EEEvT1_,comdat
.Lfunc_end405:
	.size	_ZN7rocprim17ROCPRIM_400000_NS6detail17trampoline_kernelINS0_14default_configENS1_25partition_config_selectorILNS1_17partition_subalgoE6EtNS0_10empty_typeEbEEZZNS1_14partition_implILS5_6ELb0ES3_mN6thrust23THRUST_200600_302600_NS6detail15normal_iteratorINSA_10device_ptrItEEEEPS6_SG_NS0_5tupleIJSF_S6_EEENSH_IJSG_SG_EEES6_PlJNSB_9not_fun_tINSB_14equal_to_valueItEEEEEEE10hipError_tPvRmT3_T4_T5_T6_T7_T9_mT8_P12ihipStream_tbDpT10_ENKUlT_T0_E_clISt17integral_constantIbLb0EES18_EEDaS13_S14_EUlS13_E_NS1_11comp_targetILNS1_3genE0ELNS1_11target_archE4294967295ELNS1_3gpuE0ELNS1_3repE0EEENS1_30default_config_static_selectorELNS0_4arch9wavefront6targetE0EEEvT1_, .Lfunc_end405-_ZN7rocprim17ROCPRIM_400000_NS6detail17trampoline_kernelINS0_14default_configENS1_25partition_config_selectorILNS1_17partition_subalgoE6EtNS0_10empty_typeEbEEZZNS1_14partition_implILS5_6ELb0ES3_mN6thrust23THRUST_200600_302600_NS6detail15normal_iteratorINSA_10device_ptrItEEEEPS6_SG_NS0_5tupleIJSF_S6_EEENSH_IJSG_SG_EEES6_PlJNSB_9not_fun_tINSB_14equal_to_valueItEEEEEEE10hipError_tPvRmT3_T4_T5_T6_T7_T9_mT8_P12ihipStream_tbDpT10_ENKUlT_T0_E_clISt17integral_constantIbLb0EES18_EEDaS13_S14_EUlS13_E_NS1_11comp_targetILNS1_3genE0ELNS1_11target_archE4294967295ELNS1_3gpuE0ELNS1_3repE0EEENS1_30default_config_static_selectorELNS0_4arch9wavefront6targetE0EEEvT1_
                                        ; -- End function
	.set _ZN7rocprim17ROCPRIM_400000_NS6detail17trampoline_kernelINS0_14default_configENS1_25partition_config_selectorILNS1_17partition_subalgoE6EtNS0_10empty_typeEbEEZZNS1_14partition_implILS5_6ELb0ES3_mN6thrust23THRUST_200600_302600_NS6detail15normal_iteratorINSA_10device_ptrItEEEEPS6_SG_NS0_5tupleIJSF_S6_EEENSH_IJSG_SG_EEES6_PlJNSB_9not_fun_tINSB_14equal_to_valueItEEEEEEE10hipError_tPvRmT3_T4_T5_T6_T7_T9_mT8_P12ihipStream_tbDpT10_ENKUlT_T0_E_clISt17integral_constantIbLb0EES18_EEDaS13_S14_EUlS13_E_NS1_11comp_targetILNS1_3genE0ELNS1_11target_archE4294967295ELNS1_3gpuE0ELNS1_3repE0EEENS1_30default_config_static_selectorELNS0_4arch9wavefront6targetE0EEEvT1_.num_vgpr, 0
	.set _ZN7rocprim17ROCPRIM_400000_NS6detail17trampoline_kernelINS0_14default_configENS1_25partition_config_selectorILNS1_17partition_subalgoE6EtNS0_10empty_typeEbEEZZNS1_14partition_implILS5_6ELb0ES3_mN6thrust23THRUST_200600_302600_NS6detail15normal_iteratorINSA_10device_ptrItEEEEPS6_SG_NS0_5tupleIJSF_S6_EEENSH_IJSG_SG_EEES6_PlJNSB_9not_fun_tINSB_14equal_to_valueItEEEEEEE10hipError_tPvRmT3_T4_T5_T6_T7_T9_mT8_P12ihipStream_tbDpT10_ENKUlT_T0_E_clISt17integral_constantIbLb0EES18_EEDaS13_S14_EUlS13_E_NS1_11comp_targetILNS1_3genE0ELNS1_11target_archE4294967295ELNS1_3gpuE0ELNS1_3repE0EEENS1_30default_config_static_selectorELNS0_4arch9wavefront6targetE0EEEvT1_.num_agpr, 0
	.set _ZN7rocprim17ROCPRIM_400000_NS6detail17trampoline_kernelINS0_14default_configENS1_25partition_config_selectorILNS1_17partition_subalgoE6EtNS0_10empty_typeEbEEZZNS1_14partition_implILS5_6ELb0ES3_mN6thrust23THRUST_200600_302600_NS6detail15normal_iteratorINSA_10device_ptrItEEEEPS6_SG_NS0_5tupleIJSF_S6_EEENSH_IJSG_SG_EEES6_PlJNSB_9not_fun_tINSB_14equal_to_valueItEEEEEEE10hipError_tPvRmT3_T4_T5_T6_T7_T9_mT8_P12ihipStream_tbDpT10_ENKUlT_T0_E_clISt17integral_constantIbLb0EES18_EEDaS13_S14_EUlS13_E_NS1_11comp_targetILNS1_3genE0ELNS1_11target_archE4294967295ELNS1_3gpuE0ELNS1_3repE0EEENS1_30default_config_static_selectorELNS0_4arch9wavefront6targetE0EEEvT1_.numbered_sgpr, 0
	.set _ZN7rocprim17ROCPRIM_400000_NS6detail17trampoline_kernelINS0_14default_configENS1_25partition_config_selectorILNS1_17partition_subalgoE6EtNS0_10empty_typeEbEEZZNS1_14partition_implILS5_6ELb0ES3_mN6thrust23THRUST_200600_302600_NS6detail15normal_iteratorINSA_10device_ptrItEEEEPS6_SG_NS0_5tupleIJSF_S6_EEENSH_IJSG_SG_EEES6_PlJNSB_9not_fun_tINSB_14equal_to_valueItEEEEEEE10hipError_tPvRmT3_T4_T5_T6_T7_T9_mT8_P12ihipStream_tbDpT10_ENKUlT_T0_E_clISt17integral_constantIbLb0EES18_EEDaS13_S14_EUlS13_E_NS1_11comp_targetILNS1_3genE0ELNS1_11target_archE4294967295ELNS1_3gpuE0ELNS1_3repE0EEENS1_30default_config_static_selectorELNS0_4arch9wavefront6targetE0EEEvT1_.num_named_barrier, 0
	.set _ZN7rocprim17ROCPRIM_400000_NS6detail17trampoline_kernelINS0_14default_configENS1_25partition_config_selectorILNS1_17partition_subalgoE6EtNS0_10empty_typeEbEEZZNS1_14partition_implILS5_6ELb0ES3_mN6thrust23THRUST_200600_302600_NS6detail15normal_iteratorINSA_10device_ptrItEEEEPS6_SG_NS0_5tupleIJSF_S6_EEENSH_IJSG_SG_EEES6_PlJNSB_9not_fun_tINSB_14equal_to_valueItEEEEEEE10hipError_tPvRmT3_T4_T5_T6_T7_T9_mT8_P12ihipStream_tbDpT10_ENKUlT_T0_E_clISt17integral_constantIbLb0EES18_EEDaS13_S14_EUlS13_E_NS1_11comp_targetILNS1_3genE0ELNS1_11target_archE4294967295ELNS1_3gpuE0ELNS1_3repE0EEENS1_30default_config_static_selectorELNS0_4arch9wavefront6targetE0EEEvT1_.private_seg_size, 0
	.set _ZN7rocprim17ROCPRIM_400000_NS6detail17trampoline_kernelINS0_14default_configENS1_25partition_config_selectorILNS1_17partition_subalgoE6EtNS0_10empty_typeEbEEZZNS1_14partition_implILS5_6ELb0ES3_mN6thrust23THRUST_200600_302600_NS6detail15normal_iteratorINSA_10device_ptrItEEEEPS6_SG_NS0_5tupleIJSF_S6_EEENSH_IJSG_SG_EEES6_PlJNSB_9not_fun_tINSB_14equal_to_valueItEEEEEEE10hipError_tPvRmT3_T4_T5_T6_T7_T9_mT8_P12ihipStream_tbDpT10_ENKUlT_T0_E_clISt17integral_constantIbLb0EES18_EEDaS13_S14_EUlS13_E_NS1_11comp_targetILNS1_3genE0ELNS1_11target_archE4294967295ELNS1_3gpuE0ELNS1_3repE0EEENS1_30default_config_static_selectorELNS0_4arch9wavefront6targetE0EEEvT1_.uses_vcc, 0
	.set _ZN7rocprim17ROCPRIM_400000_NS6detail17trampoline_kernelINS0_14default_configENS1_25partition_config_selectorILNS1_17partition_subalgoE6EtNS0_10empty_typeEbEEZZNS1_14partition_implILS5_6ELb0ES3_mN6thrust23THRUST_200600_302600_NS6detail15normal_iteratorINSA_10device_ptrItEEEEPS6_SG_NS0_5tupleIJSF_S6_EEENSH_IJSG_SG_EEES6_PlJNSB_9not_fun_tINSB_14equal_to_valueItEEEEEEE10hipError_tPvRmT3_T4_T5_T6_T7_T9_mT8_P12ihipStream_tbDpT10_ENKUlT_T0_E_clISt17integral_constantIbLb0EES18_EEDaS13_S14_EUlS13_E_NS1_11comp_targetILNS1_3genE0ELNS1_11target_archE4294967295ELNS1_3gpuE0ELNS1_3repE0EEENS1_30default_config_static_selectorELNS0_4arch9wavefront6targetE0EEEvT1_.uses_flat_scratch, 0
	.set _ZN7rocprim17ROCPRIM_400000_NS6detail17trampoline_kernelINS0_14default_configENS1_25partition_config_selectorILNS1_17partition_subalgoE6EtNS0_10empty_typeEbEEZZNS1_14partition_implILS5_6ELb0ES3_mN6thrust23THRUST_200600_302600_NS6detail15normal_iteratorINSA_10device_ptrItEEEEPS6_SG_NS0_5tupleIJSF_S6_EEENSH_IJSG_SG_EEES6_PlJNSB_9not_fun_tINSB_14equal_to_valueItEEEEEEE10hipError_tPvRmT3_T4_T5_T6_T7_T9_mT8_P12ihipStream_tbDpT10_ENKUlT_T0_E_clISt17integral_constantIbLb0EES18_EEDaS13_S14_EUlS13_E_NS1_11comp_targetILNS1_3genE0ELNS1_11target_archE4294967295ELNS1_3gpuE0ELNS1_3repE0EEENS1_30default_config_static_selectorELNS0_4arch9wavefront6targetE0EEEvT1_.has_dyn_sized_stack, 0
	.set _ZN7rocprim17ROCPRIM_400000_NS6detail17trampoline_kernelINS0_14default_configENS1_25partition_config_selectorILNS1_17partition_subalgoE6EtNS0_10empty_typeEbEEZZNS1_14partition_implILS5_6ELb0ES3_mN6thrust23THRUST_200600_302600_NS6detail15normal_iteratorINSA_10device_ptrItEEEEPS6_SG_NS0_5tupleIJSF_S6_EEENSH_IJSG_SG_EEES6_PlJNSB_9not_fun_tINSB_14equal_to_valueItEEEEEEE10hipError_tPvRmT3_T4_T5_T6_T7_T9_mT8_P12ihipStream_tbDpT10_ENKUlT_T0_E_clISt17integral_constantIbLb0EES18_EEDaS13_S14_EUlS13_E_NS1_11comp_targetILNS1_3genE0ELNS1_11target_archE4294967295ELNS1_3gpuE0ELNS1_3repE0EEENS1_30default_config_static_selectorELNS0_4arch9wavefront6targetE0EEEvT1_.has_recursion, 0
	.set _ZN7rocprim17ROCPRIM_400000_NS6detail17trampoline_kernelINS0_14default_configENS1_25partition_config_selectorILNS1_17partition_subalgoE6EtNS0_10empty_typeEbEEZZNS1_14partition_implILS5_6ELb0ES3_mN6thrust23THRUST_200600_302600_NS6detail15normal_iteratorINSA_10device_ptrItEEEEPS6_SG_NS0_5tupleIJSF_S6_EEENSH_IJSG_SG_EEES6_PlJNSB_9not_fun_tINSB_14equal_to_valueItEEEEEEE10hipError_tPvRmT3_T4_T5_T6_T7_T9_mT8_P12ihipStream_tbDpT10_ENKUlT_T0_E_clISt17integral_constantIbLb0EES18_EEDaS13_S14_EUlS13_E_NS1_11comp_targetILNS1_3genE0ELNS1_11target_archE4294967295ELNS1_3gpuE0ELNS1_3repE0EEENS1_30default_config_static_selectorELNS0_4arch9wavefront6targetE0EEEvT1_.has_indirect_call, 0
	.section	.AMDGPU.csdata,"",@progbits
; Kernel info:
; codeLenInByte = 0
; TotalNumSgprs: 0
; NumVgprs: 0
; ScratchSize: 0
; MemoryBound: 0
; FloatMode: 240
; IeeeMode: 1
; LDSByteSize: 0 bytes/workgroup (compile time only)
; SGPRBlocks: 0
; VGPRBlocks: 0
; NumSGPRsForWavesPerEU: 1
; NumVGPRsForWavesPerEU: 1
; Occupancy: 16
; WaveLimiterHint : 0
; COMPUTE_PGM_RSRC2:SCRATCH_EN: 0
; COMPUTE_PGM_RSRC2:USER_SGPR: 2
; COMPUTE_PGM_RSRC2:TRAP_HANDLER: 0
; COMPUTE_PGM_RSRC2:TGID_X_EN: 1
; COMPUTE_PGM_RSRC2:TGID_Y_EN: 0
; COMPUTE_PGM_RSRC2:TGID_Z_EN: 0
; COMPUTE_PGM_RSRC2:TIDIG_COMP_CNT: 0
	.section	.text._ZN7rocprim17ROCPRIM_400000_NS6detail17trampoline_kernelINS0_14default_configENS1_25partition_config_selectorILNS1_17partition_subalgoE6EtNS0_10empty_typeEbEEZZNS1_14partition_implILS5_6ELb0ES3_mN6thrust23THRUST_200600_302600_NS6detail15normal_iteratorINSA_10device_ptrItEEEEPS6_SG_NS0_5tupleIJSF_S6_EEENSH_IJSG_SG_EEES6_PlJNSB_9not_fun_tINSB_14equal_to_valueItEEEEEEE10hipError_tPvRmT3_T4_T5_T6_T7_T9_mT8_P12ihipStream_tbDpT10_ENKUlT_T0_E_clISt17integral_constantIbLb0EES18_EEDaS13_S14_EUlS13_E_NS1_11comp_targetILNS1_3genE5ELNS1_11target_archE942ELNS1_3gpuE9ELNS1_3repE0EEENS1_30default_config_static_selectorELNS0_4arch9wavefront6targetE0EEEvT1_,"axG",@progbits,_ZN7rocprim17ROCPRIM_400000_NS6detail17trampoline_kernelINS0_14default_configENS1_25partition_config_selectorILNS1_17partition_subalgoE6EtNS0_10empty_typeEbEEZZNS1_14partition_implILS5_6ELb0ES3_mN6thrust23THRUST_200600_302600_NS6detail15normal_iteratorINSA_10device_ptrItEEEEPS6_SG_NS0_5tupleIJSF_S6_EEENSH_IJSG_SG_EEES6_PlJNSB_9not_fun_tINSB_14equal_to_valueItEEEEEEE10hipError_tPvRmT3_T4_T5_T6_T7_T9_mT8_P12ihipStream_tbDpT10_ENKUlT_T0_E_clISt17integral_constantIbLb0EES18_EEDaS13_S14_EUlS13_E_NS1_11comp_targetILNS1_3genE5ELNS1_11target_archE942ELNS1_3gpuE9ELNS1_3repE0EEENS1_30default_config_static_selectorELNS0_4arch9wavefront6targetE0EEEvT1_,comdat
	.protected	_ZN7rocprim17ROCPRIM_400000_NS6detail17trampoline_kernelINS0_14default_configENS1_25partition_config_selectorILNS1_17partition_subalgoE6EtNS0_10empty_typeEbEEZZNS1_14partition_implILS5_6ELb0ES3_mN6thrust23THRUST_200600_302600_NS6detail15normal_iteratorINSA_10device_ptrItEEEEPS6_SG_NS0_5tupleIJSF_S6_EEENSH_IJSG_SG_EEES6_PlJNSB_9not_fun_tINSB_14equal_to_valueItEEEEEEE10hipError_tPvRmT3_T4_T5_T6_T7_T9_mT8_P12ihipStream_tbDpT10_ENKUlT_T0_E_clISt17integral_constantIbLb0EES18_EEDaS13_S14_EUlS13_E_NS1_11comp_targetILNS1_3genE5ELNS1_11target_archE942ELNS1_3gpuE9ELNS1_3repE0EEENS1_30default_config_static_selectorELNS0_4arch9wavefront6targetE0EEEvT1_ ; -- Begin function _ZN7rocprim17ROCPRIM_400000_NS6detail17trampoline_kernelINS0_14default_configENS1_25partition_config_selectorILNS1_17partition_subalgoE6EtNS0_10empty_typeEbEEZZNS1_14partition_implILS5_6ELb0ES3_mN6thrust23THRUST_200600_302600_NS6detail15normal_iteratorINSA_10device_ptrItEEEEPS6_SG_NS0_5tupleIJSF_S6_EEENSH_IJSG_SG_EEES6_PlJNSB_9not_fun_tINSB_14equal_to_valueItEEEEEEE10hipError_tPvRmT3_T4_T5_T6_T7_T9_mT8_P12ihipStream_tbDpT10_ENKUlT_T0_E_clISt17integral_constantIbLb0EES18_EEDaS13_S14_EUlS13_E_NS1_11comp_targetILNS1_3genE5ELNS1_11target_archE942ELNS1_3gpuE9ELNS1_3repE0EEENS1_30default_config_static_selectorELNS0_4arch9wavefront6targetE0EEEvT1_
	.globl	_ZN7rocprim17ROCPRIM_400000_NS6detail17trampoline_kernelINS0_14default_configENS1_25partition_config_selectorILNS1_17partition_subalgoE6EtNS0_10empty_typeEbEEZZNS1_14partition_implILS5_6ELb0ES3_mN6thrust23THRUST_200600_302600_NS6detail15normal_iteratorINSA_10device_ptrItEEEEPS6_SG_NS0_5tupleIJSF_S6_EEENSH_IJSG_SG_EEES6_PlJNSB_9not_fun_tINSB_14equal_to_valueItEEEEEEE10hipError_tPvRmT3_T4_T5_T6_T7_T9_mT8_P12ihipStream_tbDpT10_ENKUlT_T0_E_clISt17integral_constantIbLb0EES18_EEDaS13_S14_EUlS13_E_NS1_11comp_targetILNS1_3genE5ELNS1_11target_archE942ELNS1_3gpuE9ELNS1_3repE0EEENS1_30default_config_static_selectorELNS0_4arch9wavefront6targetE0EEEvT1_
	.p2align	8
	.type	_ZN7rocprim17ROCPRIM_400000_NS6detail17trampoline_kernelINS0_14default_configENS1_25partition_config_selectorILNS1_17partition_subalgoE6EtNS0_10empty_typeEbEEZZNS1_14partition_implILS5_6ELb0ES3_mN6thrust23THRUST_200600_302600_NS6detail15normal_iteratorINSA_10device_ptrItEEEEPS6_SG_NS0_5tupleIJSF_S6_EEENSH_IJSG_SG_EEES6_PlJNSB_9not_fun_tINSB_14equal_to_valueItEEEEEEE10hipError_tPvRmT3_T4_T5_T6_T7_T9_mT8_P12ihipStream_tbDpT10_ENKUlT_T0_E_clISt17integral_constantIbLb0EES18_EEDaS13_S14_EUlS13_E_NS1_11comp_targetILNS1_3genE5ELNS1_11target_archE942ELNS1_3gpuE9ELNS1_3repE0EEENS1_30default_config_static_selectorELNS0_4arch9wavefront6targetE0EEEvT1_,@function
_ZN7rocprim17ROCPRIM_400000_NS6detail17trampoline_kernelINS0_14default_configENS1_25partition_config_selectorILNS1_17partition_subalgoE6EtNS0_10empty_typeEbEEZZNS1_14partition_implILS5_6ELb0ES3_mN6thrust23THRUST_200600_302600_NS6detail15normal_iteratorINSA_10device_ptrItEEEEPS6_SG_NS0_5tupleIJSF_S6_EEENSH_IJSG_SG_EEES6_PlJNSB_9not_fun_tINSB_14equal_to_valueItEEEEEEE10hipError_tPvRmT3_T4_T5_T6_T7_T9_mT8_P12ihipStream_tbDpT10_ENKUlT_T0_E_clISt17integral_constantIbLb0EES18_EEDaS13_S14_EUlS13_E_NS1_11comp_targetILNS1_3genE5ELNS1_11target_archE942ELNS1_3gpuE9ELNS1_3repE0EEENS1_30default_config_static_selectorELNS0_4arch9wavefront6targetE0EEEvT1_: ; @_ZN7rocprim17ROCPRIM_400000_NS6detail17trampoline_kernelINS0_14default_configENS1_25partition_config_selectorILNS1_17partition_subalgoE6EtNS0_10empty_typeEbEEZZNS1_14partition_implILS5_6ELb0ES3_mN6thrust23THRUST_200600_302600_NS6detail15normal_iteratorINSA_10device_ptrItEEEEPS6_SG_NS0_5tupleIJSF_S6_EEENSH_IJSG_SG_EEES6_PlJNSB_9not_fun_tINSB_14equal_to_valueItEEEEEEE10hipError_tPvRmT3_T4_T5_T6_T7_T9_mT8_P12ihipStream_tbDpT10_ENKUlT_T0_E_clISt17integral_constantIbLb0EES18_EEDaS13_S14_EUlS13_E_NS1_11comp_targetILNS1_3genE5ELNS1_11target_archE942ELNS1_3gpuE9ELNS1_3repE0EEENS1_30default_config_static_selectorELNS0_4arch9wavefront6targetE0EEEvT1_
; %bb.0:
	.section	.rodata,"a",@progbits
	.p2align	6, 0x0
	.amdhsa_kernel _ZN7rocprim17ROCPRIM_400000_NS6detail17trampoline_kernelINS0_14default_configENS1_25partition_config_selectorILNS1_17partition_subalgoE6EtNS0_10empty_typeEbEEZZNS1_14partition_implILS5_6ELb0ES3_mN6thrust23THRUST_200600_302600_NS6detail15normal_iteratorINSA_10device_ptrItEEEEPS6_SG_NS0_5tupleIJSF_S6_EEENSH_IJSG_SG_EEES6_PlJNSB_9not_fun_tINSB_14equal_to_valueItEEEEEEE10hipError_tPvRmT3_T4_T5_T6_T7_T9_mT8_P12ihipStream_tbDpT10_ENKUlT_T0_E_clISt17integral_constantIbLb0EES18_EEDaS13_S14_EUlS13_E_NS1_11comp_targetILNS1_3genE5ELNS1_11target_archE942ELNS1_3gpuE9ELNS1_3repE0EEENS1_30default_config_static_selectorELNS0_4arch9wavefront6targetE0EEEvT1_
		.amdhsa_group_segment_fixed_size 0
		.amdhsa_private_segment_fixed_size 0
		.amdhsa_kernarg_size 112
		.amdhsa_user_sgpr_count 2
		.amdhsa_user_sgpr_dispatch_ptr 0
		.amdhsa_user_sgpr_queue_ptr 0
		.amdhsa_user_sgpr_kernarg_segment_ptr 1
		.amdhsa_user_sgpr_dispatch_id 0
		.amdhsa_user_sgpr_private_segment_size 0
		.amdhsa_wavefront_size32 1
		.amdhsa_uses_dynamic_stack 0
		.amdhsa_enable_private_segment 0
		.amdhsa_system_sgpr_workgroup_id_x 1
		.amdhsa_system_sgpr_workgroup_id_y 0
		.amdhsa_system_sgpr_workgroup_id_z 0
		.amdhsa_system_sgpr_workgroup_info 0
		.amdhsa_system_vgpr_workitem_id 0
		.amdhsa_next_free_vgpr 1
		.amdhsa_next_free_sgpr 1
		.amdhsa_reserve_vcc 0
		.amdhsa_float_round_mode_32 0
		.amdhsa_float_round_mode_16_64 0
		.amdhsa_float_denorm_mode_32 3
		.amdhsa_float_denorm_mode_16_64 3
		.amdhsa_fp16_overflow 0
		.amdhsa_workgroup_processor_mode 1
		.amdhsa_memory_ordered 1
		.amdhsa_forward_progress 1
		.amdhsa_inst_pref_size 0
		.amdhsa_round_robin_scheduling 0
		.amdhsa_exception_fp_ieee_invalid_op 0
		.amdhsa_exception_fp_denorm_src 0
		.amdhsa_exception_fp_ieee_div_zero 0
		.amdhsa_exception_fp_ieee_overflow 0
		.amdhsa_exception_fp_ieee_underflow 0
		.amdhsa_exception_fp_ieee_inexact 0
		.amdhsa_exception_int_div_zero 0
	.end_amdhsa_kernel
	.section	.text._ZN7rocprim17ROCPRIM_400000_NS6detail17trampoline_kernelINS0_14default_configENS1_25partition_config_selectorILNS1_17partition_subalgoE6EtNS0_10empty_typeEbEEZZNS1_14partition_implILS5_6ELb0ES3_mN6thrust23THRUST_200600_302600_NS6detail15normal_iteratorINSA_10device_ptrItEEEEPS6_SG_NS0_5tupleIJSF_S6_EEENSH_IJSG_SG_EEES6_PlJNSB_9not_fun_tINSB_14equal_to_valueItEEEEEEE10hipError_tPvRmT3_T4_T5_T6_T7_T9_mT8_P12ihipStream_tbDpT10_ENKUlT_T0_E_clISt17integral_constantIbLb0EES18_EEDaS13_S14_EUlS13_E_NS1_11comp_targetILNS1_3genE5ELNS1_11target_archE942ELNS1_3gpuE9ELNS1_3repE0EEENS1_30default_config_static_selectorELNS0_4arch9wavefront6targetE0EEEvT1_,"axG",@progbits,_ZN7rocprim17ROCPRIM_400000_NS6detail17trampoline_kernelINS0_14default_configENS1_25partition_config_selectorILNS1_17partition_subalgoE6EtNS0_10empty_typeEbEEZZNS1_14partition_implILS5_6ELb0ES3_mN6thrust23THRUST_200600_302600_NS6detail15normal_iteratorINSA_10device_ptrItEEEEPS6_SG_NS0_5tupleIJSF_S6_EEENSH_IJSG_SG_EEES6_PlJNSB_9not_fun_tINSB_14equal_to_valueItEEEEEEE10hipError_tPvRmT3_T4_T5_T6_T7_T9_mT8_P12ihipStream_tbDpT10_ENKUlT_T0_E_clISt17integral_constantIbLb0EES18_EEDaS13_S14_EUlS13_E_NS1_11comp_targetILNS1_3genE5ELNS1_11target_archE942ELNS1_3gpuE9ELNS1_3repE0EEENS1_30default_config_static_selectorELNS0_4arch9wavefront6targetE0EEEvT1_,comdat
.Lfunc_end406:
	.size	_ZN7rocprim17ROCPRIM_400000_NS6detail17trampoline_kernelINS0_14default_configENS1_25partition_config_selectorILNS1_17partition_subalgoE6EtNS0_10empty_typeEbEEZZNS1_14partition_implILS5_6ELb0ES3_mN6thrust23THRUST_200600_302600_NS6detail15normal_iteratorINSA_10device_ptrItEEEEPS6_SG_NS0_5tupleIJSF_S6_EEENSH_IJSG_SG_EEES6_PlJNSB_9not_fun_tINSB_14equal_to_valueItEEEEEEE10hipError_tPvRmT3_T4_T5_T6_T7_T9_mT8_P12ihipStream_tbDpT10_ENKUlT_T0_E_clISt17integral_constantIbLb0EES18_EEDaS13_S14_EUlS13_E_NS1_11comp_targetILNS1_3genE5ELNS1_11target_archE942ELNS1_3gpuE9ELNS1_3repE0EEENS1_30default_config_static_selectorELNS0_4arch9wavefront6targetE0EEEvT1_, .Lfunc_end406-_ZN7rocprim17ROCPRIM_400000_NS6detail17trampoline_kernelINS0_14default_configENS1_25partition_config_selectorILNS1_17partition_subalgoE6EtNS0_10empty_typeEbEEZZNS1_14partition_implILS5_6ELb0ES3_mN6thrust23THRUST_200600_302600_NS6detail15normal_iteratorINSA_10device_ptrItEEEEPS6_SG_NS0_5tupleIJSF_S6_EEENSH_IJSG_SG_EEES6_PlJNSB_9not_fun_tINSB_14equal_to_valueItEEEEEEE10hipError_tPvRmT3_T4_T5_T6_T7_T9_mT8_P12ihipStream_tbDpT10_ENKUlT_T0_E_clISt17integral_constantIbLb0EES18_EEDaS13_S14_EUlS13_E_NS1_11comp_targetILNS1_3genE5ELNS1_11target_archE942ELNS1_3gpuE9ELNS1_3repE0EEENS1_30default_config_static_selectorELNS0_4arch9wavefront6targetE0EEEvT1_
                                        ; -- End function
	.set _ZN7rocprim17ROCPRIM_400000_NS6detail17trampoline_kernelINS0_14default_configENS1_25partition_config_selectorILNS1_17partition_subalgoE6EtNS0_10empty_typeEbEEZZNS1_14partition_implILS5_6ELb0ES3_mN6thrust23THRUST_200600_302600_NS6detail15normal_iteratorINSA_10device_ptrItEEEEPS6_SG_NS0_5tupleIJSF_S6_EEENSH_IJSG_SG_EEES6_PlJNSB_9not_fun_tINSB_14equal_to_valueItEEEEEEE10hipError_tPvRmT3_T4_T5_T6_T7_T9_mT8_P12ihipStream_tbDpT10_ENKUlT_T0_E_clISt17integral_constantIbLb0EES18_EEDaS13_S14_EUlS13_E_NS1_11comp_targetILNS1_3genE5ELNS1_11target_archE942ELNS1_3gpuE9ELNS1_3repE0EEENS1_30default_config_static_selectorELNS0_4arch9wavefront6targetE0EEEvT1_.num_vgpr, 0
	.set _ZN7rocprim17ROCPRIM_400000_NS6detail17trampoline_kernelINS0_14default_configENS1_25partition_config_selectorILNS1_17partition_subalgoE6EtNS0_10empty_typeEbEEZZNS1_14partition_implILS5_6ELb0ES3_mN6thrust23THRUST_200600_302600_NS6detail15normal_iteratorINSA_10device_ptrItEEEEPS6_SG_NS0_5tupleIJSF_S6_EEENSH_IJSG_SG_EEES6_PlJNSB_9not_fun_tINSB_14equal_to_valueItEEEEEEE10hipError_tPvRmT3_T4_T5_T6_T7_T9_mT8_P12ihipStream_tbDpT10_ENKUlT_T0_E_clISt17integral_constantIbLb0EES18_EEDaS13_S14_EUlS13_E_NS1_11comp_targetILNS1_3genE5ELNS1_11target_archE942ELNS1_3gpuE9ELNS1_3repE0EEENS1_30default_config_static_selectorELNS0_4arch9wavefront6targetE0EEEvT1_.num_agpr, 0
	.set _ZN7rocprim17ROCPRIM_400000_NS6detail17trampoline_kernelINS0_14default_configENS1_25partition_config_selectorILNS1_17partition_subalgoE6EtNS0_10empty_typeEbEEZZNS1_14partition_implILS5_6ELb0ES3_mN6thrust23THRUST_200600_302600_NS6detail15normal_iteratorINSA_10device_ptrItEEEEPS6_SG_NS0_5tupleIJSF_S6_EEENSH_IJSG_SG_EEES6_PlJNSB_9not_fun_tINSB_14equal_to_valueItEEEEEEE10hipError_tPvRmT3_T4_T5_T6_T7_T9_mT8_P12ihipStream_tbDpT10_ENKUlT_T0_E_clISt17integral_constantIbLb0EES18_EEDaS13_S14_EUlS13_E_NS1_11comp_targetILNS1_3genE5ELNS1_11target_archE942ELNS1_3gpuE9ELNS1_3repE0EEENS1_30default_config_static_selectorELNS0_4arch9wavefront6targetE0EEEvT1_.numbered_sgpr, 0
	.set _ZN7rocprim17ROCPRIM_400000_NS6detail17trampoline_kernelINS0_14default_configENS1_25partition_config_selectorILNS1_17partition_subalgoE6EtNS0_10empty_typeEbEEZZNS1_14partition_implILS5_6ELb0ES3_mN6thrust23THRUST_200600_302600_NS6detail15normal_iteratorINSA_10device_ptrItEEEEPS6_SG_NS0_5tupleIJSF_S6_EEENSH_IJSG_SG_EEES6_PlJNSB_9not_fun_tINSB_14equal_to_valueItEEEEEEE10hipError_tPvRmT3_T4_T5_T6_T7_T9_mT8_P12ihipStream_tbDpT10_ENKUlT_T0_E_clISt17integral_constantIbLb0EES18_EEDaS13_S14_EUlS13_E_NS1_11comp_targetILNS1_3genE5ELNS1_11target_archE942ELNS1_3gpuE9ELNS1_3repE0EEENS1_30default_config_static_selectorELNS0_4arch9wavefront6targetE0EEEvT1_.num_named_barrier, 0
	.set _ZN7rocprim17ROCPRIM_400000_NS6detail17trampoline_kernelINS0_14default_configENS1_25partition_config_selectorILNS1_17partition_subalgoE6EtNS0_10empty_typeEbEEZZNS1_14partition_implILS5_6ELb0ES3_mN6thrust23THRUST_200600_302600_NS6detail15normal_iteratorINSA_10device_ptrItEEEEPS6_SG_NS0_5tupleIJSF_S6_EEENSH_IJSG_SG_EEES6_PlJNSB_9not_fun_tINSB_14equal_to_valueItEEEEEEE10hipError_tPvRmT3_T4_T5_T6_T7_T9_mT8_P12ihipStream_tbDpT10_ENKUlT_T0_E_clISt17integral_constantIbLb0EES18_EEDaS13_S14_EUlS13_E_NS1_11comp_targetILNS1_3genE5ELNS1_11target_archE942ELNS1_3gpuE9ELNS1_3repE0EEENS1_30default_config_static_selectorELNS0_4arch9wavefront6targetE0EEEvT1_.private_seg_size, 0
	.set _ZN7rocprim17ROCPRIM_400000_NS6detail17trampoline_kernelINS0_14default_configENS1_25partition_config_selectorILNS1_17partition_subalgoE6EtNS0_10empty_typeEbEEZZNS1_14partition_implILS5_6ELb0ES3_mN6thrust23THRUST_200600_302600_NS6detail15normal_iteratorINSA_10device_ptrItEEEEPS6_SG_NS0_5tupleIJSF_S6_EEENSH_IJSG_SG_EEES6_PlJNSB_9not_fun_tINSB_14equal_to_valueItEEEEEEE10hipError_tPvRmT3_T4_T5_T6_T7_T9_mT8_P12ihipStream_tbDpT10_ENKUlT_T0_E_clISt17integral_constantIbLb0EES18_EEDaS13_S14_EUlS13_E_NS1_11comp_targetILNS1_3genE5ELNS1_11target_archE942ELNS1_3gpuE9ELNS1_3repE0EEENS1_30default_config_static_selectorELNS0_4arch9wavefront6targetE0EEEvT1_.uses_vcc, 0
	.set _ZN7rocprim17ROCPRIM_400000_NS6detail17trampoline_kernelINS0_14default_configENS1_25partition_config_selectorILNS1_17partition_subalgoE6EtNS0_10empty_typeEbEEZZNS1_14partition_implILS5_6ELb0ES3_mN6thrust23THRUST_200600_302600_NS6detail15normal_iteratorINSA_10device_ptrItEEEEPS6_SG_NS0_5tupleIJSF_S6_EEENSH_IJSG_SG_EEES6_PlJNSB_9not_fun_tINSB_14equal_to_valueItEEEEEEE10hipError_tPvRmT3_T4_T5_T6_T7_T9_mT8_P12ihipStream_tbDpT10_ENKUlT_T0_E_clISt17integral_constantIbLb0EES18_EEDaS13_S14_EUlS13_E_NS1_11comp_targetILNS1_3genE5ELNS1_11target_archE942ELNS1_3gpuE9ELNS1_3repE0EEENS1_30default_config_static_selectorELNS0_4arch9wavefront6targetE0EEEvT1_.uses_flat_scratch, 0
	.set _ZN7rocprim17ROCPRIM_400000_NS6detail17trampoline_kernelINS0_14default_configENS1_25partition_config_selectorILNS1_17partition_subalgoE6EtNS0_10empty_typeEbEEZZNS1_14partition_implILS5_6ELb0ES3_mN6thrust23THRUST_200600_302600_NS6detail15normal_iteratorINSA_10device_ptrItEEEEPS6_SG_NS0_5tupleIJSF_S6_EEENSH_IJSG_SG_EEES6_PlJNSB_9not_fun_tINSB_14equal_to_valueItEEEEEEE10hipError_tPvRmT3_T4_T5_T6_T7_T9_mT8_P12ihipStream_tbDpT10_ENKUlT_T0_E_clISt17integral_constantIbLb0EES18_EEDaS13_S14_EUlS13_E_NS1_11comp_targetILNS1_3genE5ELNS1_11target_archE942ELNS1_3gpuE9ELNS1_3repE0EEENS1_30default_config_static_selectorELNS0_4arch9wavefront6targetE0EEEvT1_.has_dyn_sized_stack, 0
	.set _ZN7rocprim17ROCPRIM_400000_NS6detail17trampoline_kernelINS0_14default_configENS1_25partition_config_selectorILNS1_17partition_subalgoE6EtNS0_10empty_typeEbEEZZNS1_14partition_implILS5_6ELb0ES3_mN6thrust23THRUST_200600_302600_NS6detail15normal_iteratorINSA_10device_ptrItEEEEPS6_SG_NS0_5tupleIJSF_S6_EEENSH_IJSG_SG_EEES6_PlJNSB_9not_fun_tINSB_14equal_to_valueItEEEEEEE10hipError_tPvRmT3_T4_T5_T6_T7_T9_mT8_P12ihipStream_tbDpT10_ENKUlT_T0_E_clISt17integral_constantIbLb0EES18_EEDaS13_S14_EUlS13_E_NS1_11comp_targetILNS1_3genE5ELNS1_11target_archE942ELNS1_3gpuE9ELNS1_3repE0EEENS1_30default_config_static_selectorELNS0_4arch9wavefront6targetE0EEEvT1_.has_recursion, 0
	.set _ZN7rocprim17ROCPRIM_400000_NS6detail17trampoline_kernelINS0_14default_configENS1_25partition_config_selectorILNS1_17partition_subalgoE6EtNS0_10empty_typeEbEEZZNS1_14partition_implILS5_6ELb0ES3_mN6thrust23THRUST_200600_302600_NS6detail15normal_iteratorINSA_10device_ptrItEEEEPS6_SG_NS0_5tupleIJSF_S6_EEENSH_IJSG_SG_EEES6_PlJNSB_9not_fun_tINSB_14equal_to_valueItEEEEEEE10hipError_tPvRmT3_T4_T5_T6_T7_T9_mT8_P12ihipStream_tbDpT10_ENKUlT_T0_E_clISt17integral_constantIbLb0EES18_EEDaS13_S14_EUlS13_E_NS1_11comp_targetILNS1_3genE5ELNS1_11target_archE942ELNS1_3gpuE9ELNS1_3repE0EEENS1_30default_config_static_selectorELNS0_4arch9wavefront6targetE0EEEvT1_.has_indirect_call, 0
	.section	.AMDGPU.csdata,"",@progbits
; Kernel info:
; codeLenInByte = 0
; TotalNumSgprs: 0
; NumVgprs: 0
; ScratchSize: 0
; MemoryBound: 0
; FloatMode: 240
; IeeeMode: 1
; LDSByteSize: 0 bytes/workgroup (compile time only)
; SGPRBlocks: 0
; VGPRBlocks: 0
; NumSGPRsForWavesPerEU: 1
; NumVGPRsForWavesPerEU: 1
; Occupancy: 16
; WaveLimiterHint : 0
; COMPUTE_PGM_RSRC2:SCRATCH_EN: 0
; COMPUTE_PGM_RSRC2:USER_SGPR: 2
; COMPUTE_PGM_RSRC2:TRAP_HANDLER: 0
; COMPUTE_PGM_RSRC2:TGID_X_EN: 1
; COMPUTE_PGM_RSRC2:TGID_Y_EN: 0
; COMPUTE_PGM_RSRC2:TGID_Z_EN: 0
; COMPUTE_PGM_RSRC2:TIDIG_COMP_CNT: 0
	.section	.text._ZN7rocprim17ROCPRIM_400000_NS6detail17trampoline_kernelINS0_14default_configENS1_25partition_config_selectorILNS1_17partition_subalgoE6EtNS0_10empty_typeEbEEZZNS1_14partition_implILS5_6ELb0ES3_mN6thrust23THRUST_200600_302600_NS6detail15normal_iteratorINSA_10device_ptrItEEEEPS6_SG_NS0_5tupleIJSF_S6_EEENSH_IJSG_SG_EEES6_PlJNSB_9not_fun_tINSB_14equal_to_valueItEEEEEEE10hipError_tPvRmT3_T4_T5_T6_T7_T9_mT8_P12ihipStream_tbDpT10_ENKUlT_T0_E_clISt17integral_constantIbLb0EES18_EEDaS13_S14_EUlS13_E_NS1_11comp_targetILNS1_3genE4ELNS1_11target_archE910ELNS1_3gpuE8ELNS1_3repE0EEENS1_30default_config_static_selectorELNS0_4arch9wavefront6targetE0EEEvT1_,"axG",@progbits,_ZN7rocprim17ROCPRIM_400000_NS6detail17trampoline_kernelINS0_14default_configENS1_25partition_config_selectorILNS1_17partition_subalgoE6EtNS0_10empty_typeEbEEZZNS1_14partition_implILS5_6ELb0ES3_mN6thrust23THRUST_200600_302600_NS6detail15normal_iteratorINSA_10device_ptrItEEEEPS6_SG_NS0_5tupleIJSF_S6_EEENSH_IJSG_SG_EEES6_PlJNSB_9not_fun_tINSB_14equal_to_valueItEEEEEEE10hipError_tPvRmT3_T4_T5_T6_T7_T9_mT8_P12ihipStream_tbDpT10_ENKUlT_T0_E_clISt17integral_constantIbLb0EES18_EEDaS13_S14_EUlS13_E_NS1_11comp_targetILNS1_3genE4ELNS1_11target_archE910ELNS1_3gpuE8ELNS1_3repE0EEENS1_30default_config_static_selectorELNS0_4arch9wavefront6targetE0EEEvT1_,comdat
	.protected	_ZN7rocprim17ROCPRIM_400000_NS6detail17trampoline_kernelINS0_14default_configENS1_25partition_config_selectorILNS1_17partition_subalgoE6EtNS0_10empty_typeEbEEZZNS1_14partition_implILS5_6ELb0ES3_mN6thrust23THRUST_200600_302600_NS6detail15normal_iteratorINSA_10device_ptrItEEEEPS6_SG_NS0_5tupleIJSF_S6_EEENSH_IJSG_SG_EEES6_PlJNSB_9not_fun_tINSB_14equal_to_valueItEEEEEEE10hipError_tPvRmT3_T4_T5_T6_T7_T9_mT8_P12ihipStream_tbDpT10_ENKUlT_T0_E_clISt17integral_constantIbLb0EES18_EEDaS13_S14_EUlS13_E_NS1_11comp_targetILNS1_3genE4ELNS1_11target_archE910ELNS1_3gpuE8ELNS1_3repE0EEENS1_30default_config_static_selectorELNS0_4arch9wavefront6targetE0EEEvT1_ ; -- Begin function _ZN7rocprim17ROCPRIM_400000_NS6detail17trampoline_kernelINS0_14default_configENS1_25partition_config_selectorILNS1_17partition_subalgoE6EtNS0_10empty_typeEbEEZZNS1_14partition_implILS5_6ELb0ES3_mN6thrust23THRUST_200600_302600_NS6detail15normal_iteratorINSA_10device_ptrItEEEEPS6_SG_NS0_5tupleIJSF_S6_EEENSH_IJSG_SG_EEES6_PlJNSB_9not_fun_tINSB_14equal_to_valueItEEEEEEE10hipError_tPvRmT3_T4_T5_T6_T7_T9_mT8_P12ihipStream_tbDpT10_ENKUlT_T0_E_clISt17integral_constantIbLb0EES18_EEDaS13_S14_EUlS13_E_NS1_11comp_targetILNS1_3genE4ELNS1_11target_archE910ELNS1_3gpuE8ELNS1_3repE0EEENS1_30default_config_static_selectorELNS0_4arch9wavefront6targetE0EEEvT1_
	.globl	_ZN7rocprim17ROCPRIM_400000_NS6detail17trampoline_kernelINS0_14default_configENS1_25partition_config_selectorILNS1_17partition_subalgoE6EtNS0_10empty_typeEbEEZZNS1_14partition_implILS5_6ELb0ES3_mN6thrust23THRUST_200600_302600_NS6detail15normal_iteratorINSA_10device_ptrItEEEEPS6_SG_NS0_5tupleIJSF_S6_EEENSH_IJSG_SG_EEES6_PlJNSB_9not_fun_tINSB_14equal_to_valueItEEEEEEE10hipError_tPvRmT3_T4_T5_T6_T7_T9_mT8_P12ihipStream_tbDpT10_ENKUlT_T0_E_clISt17integral_constantIbLb0EES18_EEDaS13_S14_EUlS13_E_NS1_11comp_targetILNS1_3genE4ELNS1_11target_archE910ELNS1_3gpuE8ELNS1_3repE0EEENS1_30default_config_static_selectorELNS0_4arch9wavefront6targetE0EEEvT1_
	.p2align	8
	.type	_ZN7rocprim17ROCPRIM_400000_NS6detail17trampoline_kernelINS0_14default_configENS1_25partition_config_selectorILNS1_17partition_subalgoE6EtNS0_10empty_typeEbEEZZNS1_14partition_implILS5_6ELb0ES3_mN6thrust23THRUST_200600_302600_NS6detail15normal_iteratorINSA_10device_ptrItEEEEPS6_SG_NS0_5tupleIJSF_S6_EEENSH_IJSG_SG_EEES6_PlJNSB_9not_fun_tINSB_14equal_to_valueItEEEEEEE10hipError_tPvRmT3_T4_T5_T6_T7_T9_mT8_P12ihipStream_tbDpT10_ENKUlT_T0_E_clISt17integral_constantIbLb0EES18_EEDaS13_S14_EUlS13_E_NS1_11comp_targetILNS1_3genE4ELNS1_11target_archE910ELNS1_3gpuE8ELNS1_3repE0EEENS1_30default_config_static_selectorELNS0_4arch9wavefront6targetE0EEEvT1_,@function
_ZN7rocprim17ROCPRIM_400000_NS6detail17trampoline_kernelINS0_14default_configENS1_25partition_config_selectorILNS1_17partition_subalgoE6EtNS0_10empty_typeEbEEZZNS1_14partition_implILS5_6ELb0ES3_mN6thrust23THRUST_200600_302600_NS6detail15normal_iteratorINSA_10device_ptrItEEEEPS6_SG_NS0_5tupleIJSF_S6_EEENSH_IJSG_SG_EEES6_PlJNSB_9not_fun_tINSB_14equal_to_valueItEEEEEEE10hipError_tPvRmT3_T4_T5_T6_T7_T9_mT8_P12ihipStream_tbDpT10_ENKUlT_T0_E_clISt17integral_constantIbLb0EES18_EEDaS13_S14_EUlS13_E_NS1_11comp_targetILNS1_3genE4ELNS1_11target_archE910ELNS1_3gpuE8ELNS1_3repE0EEENS1_30default_config_static_selectorELNS0_4arch9wavefront6targetE0EEEvT1_: ; @_ZN7rocprim17ROCPRIM_400000_NS6detail17trampoline_kernelINS0_14default_configENS1_25partition_config_selectorILNS1_17partition_subalgoE6EtNS0_10empty_typeEbEEZZNS1_14partition_implILS5_6ELb0ES3_mN6thrust23THRUST_200600_302600_NS6detail15normal_iteratorINSA_10device_ptrItEEEEPS6_SG_NS0_5tupleIJSF_S6_EEENSH_IJSG_SG_EEES6_PlJNSB_9not_fun_tINSB_14equal_to_valueItEEEEEEE10hipError_tPvRmT3_T4_T5_T6_T7_T9_mT8_P12ihipStream_tbDpT10_ENKUlT_T0_E_clISt17integral_constantIbLb0EES18_EEDaS13_S14_EUlS13_E_NS1_11comp_targetILNS1_3genE4ELNS1_11target_archE910ELNS1_3gpuE8ELNS1_3repE0EEENS1_30default_config_static_selectorELNS0_4arch9wavefront6targetE0EEEvT1_
; %bb.0:
	.section	.rodata,"a",@progbits
	.p2align	6, 0x0
	.amdhsa_kernel _ZN7rocprim17ROCPRIM_400000_NS6detail17trampoline_kernelINS0_14default_configENS1_25partition_config_selectorILNS1_17partition_subalgoE6EtNS0_10empty_typeEbEEZZNS1_14partition_implILS5_6ELb0ES3_mN6thrust23THRUST_200600_302600_NS6detail15normal_iteratorINSA_10device_ptrItEEEEPS6_SG_NS0_5tupleIJSF_S6_EEENSH_IJSG_SG_EEES6_PlJNSB_9not_fun_tINSB_14equal_to_valueItEEEEEEE10hipError_tPvRmT3_T4_T5_T6_T7_T9_mT8_P12ihipStream_tbDpT10_ENKUlT_T0_E_clISt17integral_constantIbLb0EES18_EEDaS13_S14_EUlS13_E_NS1_11comp_targetILNS1_3genE4ELNS1_11target_archE910ELNS1_3gpuE8ELNS1_3repE0EEENS1_30default_config_static_selectorELNS0_4arch9wavefront6targetE0EEEvT1_
		.amdhsa_group_segment_fixed_size 0
		.amdhsa_private_segment_fixed_size 0
		.amdhsa_kernarg_size 112
		.amdhsa_user_sgpr_count 2
		.amdhsa_user_sgpr_dispatch_ptr 0
		.amdhsa_user_sgpr_queue_ptr 0
		.amdhsa_user_sgpr_kernarg_segment_ptr 1
		.amdhsa_user_sgpr_dispatch_id 0
		.amdhsa_user_sgpr_private_segment_size 0
		.amdhsa_wavefront_size32 1
		.amdhsa_uses_dynamic_stack 0
		.amdhsa_enable_private_segment 0
		.amdhsa_system_sgpr_workgroup_id_x 1
		.amdhsa_system_sgpr_workgroup_id_y 0
		.amdhsa_system_sgpr_workgroup_id_z 0
		.amdhsa_system_sgpr_workgroup_info 0
		.amdhsa_system_vgpr_workitem_id 0
		.amdhsa_next_free_vgpr 1
		.amdhsa_next_free_sgpr 1
		.amdhsa_reserve_vcc 0
		.amdhsa_float_round_mode_32 0
		.amdhsa_float_round_mode_16_64 0
		.amdhsa_float_denorm_mode_32 3
		.amdhsa_float_denorm_mode_16_64 3
		.amdhsa_fp16_overflow 0
		.amdhsa_workgroup_processor_mode 1
		.amdhsa_memory_ordered 1
		.amdhsa_forward_progress 1
		.amdhsa_inst_pref_size 0
		.amdhsa_round_robin_scheduling 0
		.amdhsa_exception_fp_ieee_invalid_op 0
		.amdhsa_exception_fp_denorm_src 0
		.amdhsa_exception_fp_ieee_div_zero 0
		.amdhsa_exception_fp_ieee_overflow 0
		.amdhsa_exception_fp_ieee_underflow 0
		.amdhsa_exception_fp_ieee_inexact 0
		.amdhsa_exception_int_div_zero 0
	.end_amdhsa_kernel
	.section	.text._ZN7rocprim17ROCPRIM_400000_NS6detail17trampoline_kernelINS0_14default_configENS1_25partition_config_selectorILNS1_17partition_subalgoE6EtNS0_10empty_typeEbEEZZNS1_14partition_implILS5_6ELb0ES3_mN6thrust23THRUST_200600_302600_NS6detail15normal_iteratorINSA_10device_ptrItEEEEPS6_SG_NS0_5tupleIJSF_S6_EEENSH_IJSG_SG_EEES6_PlJNSB_9not_fun_tINSB_14equal_to_valueItEEEEEEE10hipError_tPvRmT3_T4_T5_T6_T7_T9_mT8_P12ihipStream_tbDpT10_ENKUlT_T0_E_clISt17integral_constantIbLb0EES18_EEDaS13_S14_EUlS13_E_NS1_11comp_targetILNS1_3genE4ELNS1_11target_archE910ELNS1_3gpuE8ELNS1_3repE0EEENS1_30default_config_static_selectorELNS0_4arch9wavefront6targetE0EEEvT1_,"axG",@progbits,_ZN7rocprim17ROCPRIM_400000_NS6detail17trampoline_kernelINS0_14default_configENS1_25partition_config_selectorILNS1_17partition_subalgoE6EtNS0_10empty_typeEbEEZZNS1_14partition_implILS5_6ELb0ES3_mN6thrust23THRUST_200600_302600_NS6detail15normal_iteratorINSA_10device_ptrItEEEEPS6_SG_NS0_5tupleIJSF_S6_EEENSH_IJSG_SG_EEES6_PlJNSB_9not_fun_tINSB_14equal_to_valueItEEEEEEE10hipError_tPvRmT3_T4_T5_T6_T7_T9_mT8_P12ihipStream_tbDpT10_ENKUlT_T0_E_clISt17integral_constantIbLb0EES18_EEDaS13_S14_EUlS13_E_NS1_11comp_targetILNS1_3genE4ELNS1_11target_archE910ELNS1_3gpuE8ELNS1_3repE0EEENS1_30default_config_static_selectorELNS0_4arch9wavefront6targetE0EEEvT1_,comdat
.Lfunc_end407:
	.size	_ZN7rocprim17ROCPRIM_400000_NS6detail17trampoline_kernelINS0_14default_configENS1_25partition_config_selectorILNS1_17partition_subalgoE6EtNS0_10empty_typeEbEEZZNS1_14partition_implILS5_6ELb0ES3_mN6thrust23THRUST_200600_302600_NS6detail15normal_iteratorINSA_10device_ptrItEEEEPS6_SG_NS0_5tupleIJSF_S6_EEENSH_IJSG_SG_EEES6_PlJNSB_9not_fun_tINSB_14equal_to_valueItEEEEEEE10hipError_tPvRmT3_T4_T5_T6_T7_T9_mT8_P12ihipStream_tbDpT10_ENKUlT_T0_E_clISt17integral_constantIbLb0EES18_EEDaS13_S14_EUlS13_E_NS1_11comp_targetILNS1_3genE4ELNS1_11target_archE910ELNS1_3gpuE8ELNS1_3repE0EEENS1_30default_config_static_selectorELNS0_4arch9wavefront6targetE0EEEvT1_, .Lfunc_end407-_ZN7rocprim17ROCPRIM_400000_NS6detail17trampoline_kernelINS0_14default_configENS1_25partition_config_selectorILNS1_17partition_subalgoE6EtNS0_10empty_typeEbEEZZNS1_14partition_implILS5_6ELb0ES3_mN6thrust23THRUST_200600_302600_NS6detail15normal_iteratorINSA_10device_ptrItEEEEPS6_SG_NS0_5tupleIJSF_S6_EEENSH_IJSG_SG_EEES6_PlJNSB_9not_fun_tINSB_14equal_to_valueItEEEEEEE10hipError_tPvRmT3_T4_T5_T6_T7_T9_mT8_P12ihipStream_tbDpT10_ENKUlT_T0_E_clISt17integral_constantIbLb0EES18_EEDaS13_S14_EUlS13_E_NS1_11comp_targetILNS1_3genE4ELNS1_11target_archE910ELNS1_3gpuE8ELNS1_3repE0EEENS1_30default_config_static_selectorELNS0_4arch9wavefront6targetE0EEEvT1_
                                        ; -- End function
	.set _ZN7rocprim17ROCPRIM_400000_NS6detail17trampoline_kernelINS0_14default_configENS1_25partition_config_selectorILNS1_17partition_subalgoE6EtNS0_10empty_typeEbEEZZNS1_14partition_implILS5_6ELb0ES3_mN6thrust23THRUST_200600_302600_NS6detail15normal_iteratorINSA_10device_ptrItEEEEPS6_SG_NS0_5tupleIJSF_S6_EEENSH_IJSG_SG_EEES6_PlJNSB_9not_fun_tINSB_14equal_to_valueItEEEEEEE10hipError_tPvRmT3_T4_T5_T6_T7_T9_mT8_P12ihipStream_tbDpT10_ENKUlT_T0_E_clISt17integral_constantIbLb0EES18_EEDaS13_S14_EUlS13_E_NS1_11comp_targetILNS1_3genE4ELNS1_11target_archE910ELNS1_3gpuE8ELNS1_3repE0EEENS1_30default_config_static_selectorELNS0_4arch9wavefront6targetE0EEEvT1_.num_vgpr, 0
	.set _ZN7rocprim17ROCPRIM_400000_NS6detail17trampoline_kernelINS0_14default_configENS1_25partition_config_selectorILNS1_17partition_subalgoE6EtNS0_10empty_typeEbEEZZNS1_14partition_implILS5_6ELb0ES3_mN6thrust23THRUST_200600_302600_NS6detail15normal_iteratorINSA_10device_ptrItEEEEPS6_SG_NS0_5tupleIJSF_S6_EEENSH_IJSG_SG_EEES6_PlJNSB_9not_fun_tINSB_14equal_to_valueItEEEEEEE10hipError_tPvRmT3_T4_T5_T6_T7_T9_mT8_P12ihipStream_tbDpT10_ENKUlT_T0_E_clISt17integral_constantIbLb0EES18_EEDaS13_S14_EUlS13_E_NS1_11comp_targetILNS1_3genE4ELNS1_11target_archE910ELNS1_3gpuE8ELNS1_3repE0EEENS1_30default_config_static_selectorELNS0_4arch9wavefront6targetE0EEEvT1_.num_agpr, 0
	.set _ZN7rocprim17ROCPRIM_400000_NS6detail17trampoline_kernelINS0_14default_configENS1_25partition_config_selectorILNS1_17partition_subalgoE6EtNS0_10empty_typeEbEEZZNS1_14partition_implILS5_6ELb0ES3_mN6thrust23THRUST_200600_302600_NS6detail15normal_iteratorINSA_10device_ptrItEEEEPS6_SG_NS0_5tupleIJSF_S6_EEENSH_IJSG_SG_EEES6_PlJNSB_9not_fun_tINSB_14equal_to_valueItEEEEEEE10hipError_tPvRmT3_T4_T5_T6_T7_T9_mT8_P12ihipStream_tbDpT10_ENKUlT_T0_E_clISt17integral_constantIbLb0EES18_EEDaS13_S14_EUlS13_E_NS1_11comp_targetILNS1_3genE4ELNS1_11target_archE910ELNS1_3gpuE8ELNS1_3repE0EEENS1_30default_config_static_selectorELNS0_4arch9wavefront6targetE0EEEvT1_.numbered_sgpr, 0
	.set _ZN7rocprim17ROCPRIM_400000_NS6detail17trampoline_kernelINS0_14default_configENS1_25partition_config_selectorILNS1_17partition_subalgoE6EtNS0_10empty_typeEbEEZZNS1_14partition_implILS5_6ELb0ES3_mN6thrust23THRUST_200600_302600_NS6detail15normal_iteratorINSA_10device_ptrItEEEEPS6_SG_NS0_5tupleIJSF_S6_EEENSH_IJSG_SG_EEES6_PlJNSB_9not_fun_tINSB_14equal_to_valueItEEEEEEE10hipError_tPvRmT3_T4_T5_T6_T7_T9_mT8_P12ihipStream_tbDpT10_ENKUlT_T0_E_clISt17integral_constantIbLb0EES18_EEDaS13_S14_EUlS13_E_NS1_11comp_targetILNS1_3genE4ELNS1_11target_archE910ELNS1_3gpuE8ELNS1_3repE0EEENS1_30default_config_static_selectorELNS0_4arch9wavefront6targetE0EEEvT1_.num_named_barrier, 0
	.set _ZN7rocprim17ROCPRIM_400000_NS6detail17trampoline_kernelINS0_14default_configENS1_25partition_config_selectorILNS1_17partition_subalgoE6EtNS0_10empty_typeEbEEZZNS1_14partition_implILS5_6ELb0ES3_mN6thrust23THRUST_200600_302600_NS6detail15normal_iteratorINSA_10device_ptrItEEEEPS6_SG_NS0_5tupleIJSF_S6_EEENSH_IJSG_SG_EEES6_PlJNSB_9not_fun_tINSB_14equal_to_valueItEEEEEEE10hipError_tPvRmT3_T4_T5_T6_T7_T9_mT8_P12ihipStream_tbDpT10_ENKUlT_T0_E_clISt17integral_constantIbLb0EES18_EEDaS13_S14_EUlS13_E_NS1_11comp_targetILNS1_3genE4ELNS1_11target_archE910ELNS1_3gpuE8ELNS1_3repE0EEENS1_30default_config_static_selectorELNS0_4arch9wavefront6targetE0EEEvT1_.private_seg_size, 0
	.set _ZN7rocprim17ROCPRIM_400000_NS6detail17trampoline_kernelINS0_14default_configENS1_25partition_config_selectorILNS1_17partition_subalgoE6EtNS0_10empty_typeEbEEZZNS1_14partition_implILS5_6ELb0ES3_mN6thrust23THRUST_200600_302600_NS6detail15normal_iteratorINSA_10device_ptrItEEEEPS6_SG_NS0_5tupleIJSF_S6_EEENSH_IJSG_SG_EEES6_PlJNSB_9not_fun_tINSB_14equal_to_valueItEEEEEEE10hipError_tPvRmT3_T4_T5_T6_T7_T9_mT8_P12ihipStream_tbDpT10_ENKUlT_T0_E_clISt17integral_constantIbLb0EES18_EEDaS13_S14_EUlS13_E_NS1_11comp_targetILNS1_3genE4ELNS1_11target_archE910ELNS1_3gpuE8ELNS1_3repE0EEENS1_30default_config_static_selectorELNS0_4arch9wavefront6targetE0EEEvT1_.uses_vcc, 0
	.set _ZN7rocprim17ROCPRIM_400000_NS6detail17trampoline_kernelINS0_14default_configENS1_25partition_config_selectorILNS1_17partition_subalgoE6EtNS0_10empty_typeEbEEZZNS1_14partition_implILS5_6ELb0ES3_mN6thrust23THRUST_200600_302600_NS6detail15normal_iteratorINSA_10device_ptrItEEEEPS6_SG_NS0_5tupleIJSF_S6_EEENSH_IJSG_SG_EEES6_PlJNSB_9not_fun_tINSB_14equal_to_valueItEEEEEEE10hipError_tPvRmT3_T4_T5_T6_T7_T9_mT8_P12ihipStream_tbDpT10_ENKUlT_T0_E_clISt17integral_constantIbLb0EES18_EEDaS13_S14_EUlS13_E_NS1_11comp_targetILNS1_3genE4ELNS1_11target_archE910ELNS1_3gpuE8ELNS1_3repE0EEENS1_30default_config_static_selectorELNS0_4arch9wavefront6targetE0EEEvT1_.uses_flat_scratch, 0
	.set _ZN7rocprim17ROCPRIM_400000_NS6detail17trampoline_kernelINS0_14default_configENS1_25partition_config_selectorILNS1_17partition_subalgoE6EtNS0_10empty_typeEbEEZZNS1_14partition_implILS5_6ELb0ES3_mN6thrust23THRUST_200600_302600_NS6detail15normal_iteratorINSA_10device_ptrItEEEEPS6_SG_NS0_5tupleIJSF_S6_EEENSH_IJSG_SG_EEES6_PlJNSB_9not_fun_tINSB_14equal_to_valueItEEEEEEE10hipError_tPvRmT3_T4_T5_T6_T7_T9_mT8_P12ihipStream_tbDpT10_ENKUlT_T0_E_clISt17integral_constantIbLb0EES18_EEDaS13_S14_EUlS13_E_NS1_11comp_targetILNS1_3genE4ELNS1_11target_archE910ELNS1_3gpuE8ELNS1_3repE0EEENS1_30default_config_static_selectorELNS0_4arch9wavefront6targetE0EEEvT1_.has_dyn_sized_stack, 0
	.set _ZN7rocprim17ROCPRIM_400000_NS6detail17trampoline_kernelINS0_14default_configENS1_25partition_config_selectorILNS1_17partition_subalgoE6EtNS0_10empty_typeEbEEZZNS1_14partition_implILS5_6ELb0ES3_mN6thrust23THRUST_200600_302600_NS6detail15normal_iteratorINSA_10device_ptrItEEEEPS6_SG_NS0_5tupleIJSF_S6_EEENSH_IJSG_SG_EEES6_PlJNSB_9not_fun_tINSB_14equal_to_valueItEEEEEEE10hipError_tPvRmT3_T4_T5_T6_T7_T9_mT8_P12ihipStream_tbDpT10_ENKUlT_T0_E_clISt17integral_constantIbLb0EES18_EEDaS13_S14_EUlS13_E_NS1_11comp_targetILNS1_3genE4ELNS1_11target_archE910ELNS1_3gpuE8ELNS1_3repE0EEENS1_30default_config_static_selectorELNS0_4arch9wavefront6targetE0EEEvT1_.has_recursion, 0
	.set _ZN7rocprim17ROCPRIM_400000_NS6detail17trampoline_kernelINS0_14default_configENS1_25partition_config_selectorILNS1_17partition_subalgoE6EtNS0_10empty_typeEbEEZZNS1_14partition_implILS5_6ELb0ES3_mN6thrust23THRUST_200600_302600_NS6detail15normal_iteratorINSA_10device_ptrItEEEEPS6_SG_NS0_5tupleIJSF_S6_EEENSH_IJSG_SG_EEES6_PlJNSB_9not_fun_tINSB_14equal_to_valueItEEEEEEE10hipError_tPvRmT3_T4_T5_T6_T7_T9_mT8_P12ihipStream_tbDpT10_ENKUlT_T0_E_clISt17integral_constantIbLb0EES18_EEDaS13_S14_EUlS13_E_NS1_11comp_targetILNS1_3genE4ELNS1_11target_archE910ELNS1_3gpuE8ELNS1_3repE0EEENS1_30default_config_static_selectorELNS0_4arch9wavefront6targetE0EEEvT1_.has_indirect_call, 0
	.section	.AMDGPU.csdata,"",@progbits
; Kernel info:
; codeLenInByte = 0
; TotalNumSgprs: 0
; NumVgprs: 0
; ScratchSize: 0
; MemoryBound: 0
; FloatMode: 240
; IeeeMode: 1
; LDSByteSize: 0 bytes/workgroup (compile time only)
; SGPRBlocks: 0
; VGPRBlocks: 0
; NumSGPRsForWavesPerEU: 1
; NumVGPRsForWavesPerEU: 1
; Occupancy: 16
; WaveLimiterHint : 0
; COMPUTE_PGM_RSRC2:SCRATCH_EN: 0
; COMPUTE_PGM_RSRC2:USER_SGPR: 2
; COMPUTE_PGM_RSRC2:TRAP_HANDLER: 0
; COMPUTE_PGM_RSRC2:TGID_X_EN: 1
; COMPUTE_PGM_RSRC2:TGID_Y_EN: 0
; COMPUTE_PGM_RSRC2:TGID_Z_EN: 0
; COMPUTE_PGM_RSRC2:TIDIG_COMP_CNT: 0
	.section	.text._ZN7rocprim17ROCPRIM_400000_NS6detail17trampoline_kernelINS0_14default_configENS1_25partition_config_selectorILNS1_17partition_subalgoE6EtNS0_10empty_typeEbEEZZNS1_14partition_implILS5_6ELb0ES3_mN6thrust23THRUST_200600_302600_NS6detail15normal_iteratorINSA_10device_ptrItEEEEPS6_SG_NS0_5tupleIJSF_S6_EEENSH_IJSG_SG_EEES6_PlJNSB_9not_fun_tINSB_14equal_to_valueItEEEEEEE10hipError_tPvRmT3_T4_T5_T6_T7_T9_mT8_P12ihipStream_tbDpT10_ENKUlT_T0_E_clISt17integral_constantIbLb0EES18_EEDaS13_S14_EUlS13_E_NS1_11comp_targetILNS1_3genE3ELNS1_11target_archE908ELNS1_3gpuE7ELNS1_3repE0EEENS1_30default_config_static_selectorELNS0_4arch9wavefront6targetE0EEEvT1_,"axG",@progbits,_ZN7rocprim17ROCPRIM_400000_NS6detail17trampoline_kernelINS0_14default_configENS1_25partition_config_selectorILNS1_17partition_subalgoE6EtNS0_10empty_typeEbEEZZNS1_14partition_implILS5_6ELb0ES3_mN6thrust23THRUST_200600_302600_NS6detail15normal_iteratorINSA_10device_ptrItEEEEPS6_SG_NS0_5tupleIJSF_S6_EEENSH_IJSG_SG_EEES6_PlJNSB_9not_fun_tINSB_14equal_to_valueItEEEEEEE10hipError_tPvRmT3_T4_T5_T6_T7_T9_mT8_P12ihipStream_tbDpT10_ENKUlT_T0_E_clISt17integral_constantIbLb0EES18_EEDaS13_S14_EUlS13_E_NS1_11comp_targetILNS1_3genE3ELNS1_11target_archE908ELNS1_3gpuE7ELNS1_3repE0EEENS1_30default_config_static_selectorELNS0_4arch9wavefront6targetE0EEEvT1_,comdat
	.protected	_ZN7rocprim17ROCPRIM_400000_NS6detail17trampoline_kernelINS0_14default_configENS1_25partition_config_selectorILNS1_17partition_subalgoE6EtNS0_10empty_typeEbEEZZNS1_14partition_implILS5_6ELb0ES3_mN6thrust23THRUST_200600_302600_NS6detail15normal_iteratorINSA_10device_ptrItEEEEPS6_SG_NS0_5tupleIJSF_S6_EEENSH_IJSG_SG_EEES6_PlJNSB_9not_fun_tINSB_14equal_to_valueItEEEEEEE10hipError_tPvRmT3_T4_T5_T6_T7_T9_mT8_P12ihipStream_tbDpT10_ENKUlT_T0_E_clISt17integral_constantIbLb0EES18_EEDaS13_S14_EUlS13_E_NS1_11comp_targetILNS1_3genE3ELNS1_11target_archE908ELNS1_3gpuE7ELNS1_3repE0EEENS1_30default_config_static_selectorELNS0_4arch9wavefront6targetE0EEEvT1_ ; -- Begin function _ZN7rocprim17ROCPRIM_400000_NS6detail17trampoline_kernelINS0_14default_configENS1_25partition_config_selectorILNS1_17partition_subalgoE6EtNS0_10empty_typeEbEEZZNS1_14partition_implILS5_6ELb0ES3_mN6thrust23THRUST_200600_302600_NS6detail15normal_iteratorINSA_10device_ptrItEEEEPS6_SG_NS0_5tupleIJSF_S6_EEENSH_IJSG_SG_EEES6_PlJNSB_9not_fun_tINSB_14equal_to_valueItEEEEEEE10hipError_tPvRmT3_T4_T5_T6_T7_T9_mT8_P12ihipStream_tbDpT10_ENKUlT_T0_E_clISt17integral_constantIbLb0EES18_EEDaS13_S14_EUlS13_E_NS1_11comp_targetILNS1_3genE3ELNS1_11target_archE908ELNS1_3gpuE7ELNS1_3repE0EEENS1_30default_config_static_selectorELNS0_4arch9wavefront6targetE0EEEvT1_
	.globl	_ZN7rocprim17ROCPRIM_400000_NS6detail17trampoline_kernelINS0_14default_configENS1_25partition_config_selectorILNS1_17partition_subalgoE6EtNS0_10empty_typeEbEEZZNS1_14partition_implILS5_6ELb0ES3_mN6thrust23THRUST_200600_302600_NS6detail15normal_iteratorINSA_10device_ptrItEEEEPS6_SG_NS0_5tupleIJSF_S6_EEENSH_IJSG_SG_EEES6_PlJNSB_9not_fun_tINSB_14equal_to_valueItEEEEEEE10hipError_tPvRmT3_T4_T5_T6_T7_T9_mT8_P12ihipStream_tbDpT10_ENKUlT_T0_E_clISt17integral_constantIbLb0EES18_EEDaS13_S14_EUlS13_E_NS1_11comp_targetILNS1_3genE3ELNS1_11target_archE908ELNS1_3gpuE7ELNS1_3repE0EEENS1_30default_config_static_selectorELNS0_4arch9wavefront6targetE0EEEvT1_
	.p2align	8
	.type	_ZN7rocprim17ROCPRIM_400000_NS6detail17trampoline_kernelINS0_14default_configENS1_25partition_config_selectorILNS1_17partition_subalgoE6EtNS0_10empty_typeEbEEZZNS1_14partition_implILS5_6ELb0ES3_mN6thrust23THRUST_200600_302600_NS6detail15normal_iteratorINSA_10device_ptrItEEEEPS6_SG_NS0_5tupleIJSF_S6_EEENSH_IJSG_SG_EEES6_PlJNSB_9not_fun_tINSB_14equal_to_valueItEEEEEEE10hipError_tPvRmT3_T4_T5_T6_T7_T9_mT8_P12ihipStream_tbDpT10_ENKUlT_T0_E_clISt17integral_constantIbLb0EES18_EEDaS13_S14_EUlS13_E_NS1_11comp_targetILNS1_3genE3ELNS1_11target_archE908ELNS1_3gpuE7ELNS1_3repE0EEENS1_30default_config_static_selectorELNS0_4arch9wavefront6targetE0EEEvT1_,@function
_ZN7rocprim17ROCPRIM_400000_NS6detail17trampoline_kernelINS0_14default_configENS1_25partition_config_selectorILNS1_17partition_subalgoE6EtNS0_10empty_typeEbEEZZNS1_14partition_implILS5_6ELb0ES3_mN6thrust23THRUST_200600_302600_NS6detail15normal_iteratorINSA_10device_ptrItEEEEPS6_SG_NS0_5tupleIJSF_S6_EEENSH_IJSG_SG_EEES6_PlJNSB_9not_fun_tINSB_14equal_to_valueItEEEEEEE10hipError_tPvRmT3_T4_T5_T6_T7_T9_mT8_P12ihipStream_tbDpT10_ENKUlT_T0_E_clISt17integral_constantIbLb0EES18_EEDaS13_S14_EUlS13_E_NS1_11comp_targetILNS1_3genE3ELNS1_11target_archE908ELNS1_3gpuE7ELNS1_3repE0EEENS1_30default_config_static_selectorELNS0_4arch9wavefront6targetE0EEEvT1_: ; @_ZN7rocprim17ROCPRIM_400000_NS6detail17trampoline_kernelINS0_14default_configENS1_25partition_config_selectorILNS1_17partition_subalgoE6EtNS0_10empty_typeEbEEZZNS1_14partition_implILS5_6ELb0ES3_mN6thrust23THRUST_200600_302600_NS6detail15normal_iteratorINSA_10device_ptrItEEEEPS6_SG_NS0_5tupleIJSF_S6_EEENSH_IJSG_SG_EEES6_PlJNSB_9not_fun_tINSB_14equal_to_valueItEEEEEEE10hipError_tPvRmT3_T4_T5_T6_T7_T9_mT8_P12ihipStream_tbDpT10_ENKUlT_T0_E_clISt17integral_constantIbLb0EES18_EEDaS13_S14_EUlS13_E_NS1_11comp_targetILNS1_3genE3ELNS1_11target_archE908ELNS1_3gpuE7ELNS1_3repE0EEENS1_30default_config_static_selectorELNS0_4arch9wavefront6targetE0EEEvT1_
; %bb.0:
	.section	.rodata,"a",@progbits
	.p2align	6, 0x0
	.amdhsa_kernel _ZN7rocprim17ROCPRIM_400000_NS6detail17trampoline_kernelINS0_14default_configENS1_25partition_config_selectorILNS1_17partition_subalgoE6EtNS0_10empty_typeEbEEZZNS1_14partition_implILS5_6ELb0ES3_mN6thrust23THRUST_200600_302600_NS6detail15normal_iteratorINSA_10device_ptrItEEEEPS6_SG_NS0_5tupleIJSF_S6_EEENSH_IJSG_SG_EEES6_PlJNSB_9not_fun_tINSB_14equal_to_valueItEEEEEEE10hipError_tPvRmT3_T4_T5_T6_T7_T9_mT8_P12ihipStream_tbDpT10_ENKUlT_T0_E_clISt17integral_constantIbLb0EES18_EEDaS13_S14_EUlS13_E_NS1_11comp_targetILNS1_3genE3ELNS1_11target_archE908ELNS1_3gpuE7ELNS1_3repE0EEENS1_30default_config_static_selectorELNS0_4arch9wavefront6targetE0EEEvT1_
		.amdhsa_group_segment_fixed_size 0
		.amdhsa_private_segment_fixed_size 0
		.amdhsa_kernarg_size 112
		.amdhsa_user_sgpr_count 2
		.amdhsa_user_sgpr_dispatch_ptr 0
		.amdhsa_user_sgpr_queue_ptr 0
		.amdhsa_user_sgpr_kernarg_segment_ptr 1
		.amdhsa_user_sgpr_dispatch_id 0
		.amdhsa_user_sgpr_private_segment_size 0
		.amdhsa_wavefront_size32 1
		.amdhsa_uses_dynamic_stack 0
		.amdhsa_enable_private_segment 0
		.amdhsa_system_sgpr_workgroup_id_x 1
		.amdhsa_system_sgpr_workgroup_id_y 0
		.amdhsa_system_sgpr_workgroup_id_z 0
		.amdhsa_system_sgpr_workgroup_info 0
		.amdhsa_system_vgpr_workitem_id 0
		.amdhsa_next_free_vgpr 1
		.amdhsa_next_free_sgpr 1
		.amdhsa_reserve_vcc 0
		.amdhsa_float_round_mode_32 0
		.amdhsa_float_round_mode_16_64 0
		.amdhsa_float_denorm_mode_32 3
		.amdhsa_float_denorm_mode_16_64 3
		.amdhsa_fp16_overflow 0
		.amdhsa_workgroup_processor_mode 1
		.amdhsa_memory_ordered 1
		.amdhsa_forward_progress 1
		.amdhsa_inst_pref_size 0
		.amdhsa_round_robin_scheduling 0
		.amdhsa_exception_fp_ieee_invalid_op 0
		.amdhsa_exception_fp_denorm_src 0
		.amdhsa_exception_fp_ieee_div_zero 0
		.amdhsa_exception_fp_ieee_overflow 0
		.amdhsa_exception_fp_ieee_underflow 0
		.amdhsa_exception_fp_ieee_inexact 0
		.amdhsa_exception_int_div_zero 0
	.end_amdhsa_kernel
	.section	.text._ZN7rocprim17ROCPRIM_400000_NS6detail17trampoline_kernelINS0_14default_configENS1_25partition_config_selectorILNS1_17partition_subalgoE6EtNS0_10empty_typeEbEEZZNS1_14partition_implILS5_6ELb0ES3_mN6thrust23THRUST_200600_302600_NS6detail15normal_iteratorINSA_10device_ptrItEEEEPS6_SG_NS0_5tupleIJSF_S6_EEENSH_IJSG_SG_EEES6_PlJNSB_9not_fun_tINSB_14equal_to_valueItEEEEEEE10hipError_tPvRmT3_T4_T5_T6_T7_T9_mT8_P12ihipStream_tbDpT10_ENKUlT_T0_E_clISt17integral_constantIbLb0EES18_EEDaS13_S14_EUlS13_E_NS1_11comp_targetILNS1_3genE3ELNS1_11target_archE908ELNS1_3gpuE7ELNS1_3repE0EEENS1_30default_config_static_selectorELNS0_4arch9wavefront6targetE0EEEvT1_,"axG",@progbits,_ZN7rocprim17ROCPRIM_400000_NS6detail17trampoline_kernelINS0_14default_configENS1_25partition_config_selectorILNS1_17partition_subalgoE6EtNS0_10empty_typeEbEEZZNS1_14partition_implILS5_6ELb0ES3_mN6thrust23THRUST_200600_302600_NS6detail15normal_iteratorINSA_10device_ptrItEEEEPS6_SG_NS0_5tupleIJSF_S6_EEENSH_IJSG_SG_EEES6_PlJNSB_9not_fun_tINSB_14equal_to_valueItEEEEEEE10hipError_tPvRmT3_T4_T5_T6_T7_T9_mT8_P12ihipStream_tbDpT10_ENKUlT_T0_E_clISt17integral_constantIbLb0EES18_EEDaS13_S14_EUlS13_E_NS1_11comp_targetILNS1_3genE3ELNS1_11target_archE908ELNS1_3gpuE7ELNS1_3repE0EEENS1_30default_config_static_selectorELNS0_4arch9wavefront6targetE0EEEvT1_,comdat
.Lfunc_end408:
	.size	_ZN7rocprim17ROCPRIM_400000_NS6detail17trampoline_kernelINS0_14default_configENS1_25partition_config_selectorILNS1_17partition_subalgoE6EtNS0_10empty_typeEbEEZZNS1_14partition_implILS5_6ELb0ES3_mN6thrust23THRUST_200600_302600_NS6detail15normal_iteratorINSA_10device_ptrItEEEEPS6_SG_NS0_5tupleIJSF_S6_EEENSH_IJSG_SG_EEES6_PlJNSB_9not_fun_tINSB_14equal_to_valueItEEEEEEE10hipError_tPvRmT3_T4_T5_T6_T7_T9_mT8_P12ihipStream_tbDpT10_ENKUlT_T0_E_clISt17integral_constantIbLb0EES18_EEDaS13_S14_EUlS13_E_NS1_11comp_targetILNS1_3genE3ELNS1_11target_archE908ELNS1_3gpuE7ELNS1_3repE0EEENS1_30default_config_static_selectorELNS0_4arch9wavefront6targetE0EEEvT1_, .Lfunc_end408-_ZN7rocprim17ROCPRIM_400000_NS6detail17trampoline_kernelINS0_14default_configENS1_25partition_config_selectorILNS1_17partition_subalgoE6EtNS0_10empty_typeEbEEZZNS1_14partition_implILS5_6ELb0ES3_mN6thrust23THRUST_200600_302600_NS6detail15normal_iteratorINSA_10device_ptrItEEEEPS6_SG_NS0_5tupleIJSF_S6_EEENSH_IJSG_SG_EEES6_PlJNSB_9not_fun_tINSB_14equal_to_valueItEEEEEEE10hipError_tPvRmT3_T4_T5_T6_T7_T9_mT8_P12ihipStream_tbDpT10_ENKUlT_T0_E_clISt17integral_constantIbLb0EES18_EEDaS13_S14_EUlS13_E_NS1_11comp_targetILNS1_3genE3ELNS1_11target_archE908ELNS1_3gpuE7ELNS1_3repE0EEENS1_30default_config_static_selectorELNS0_4arch9wavefront6targetE0EEEvT1_
                                        ; -- End function
	.set _ZN7rocprim17ROCPRIM_400000_NS6detail17trampoline_kernelINS0_14default_configENS1_25partition_config_selectorILNS1_17partition_subalgoE6EtNS0_10empty_typeEbEEZZNS1_14partition_implILS5_6ELb0ES3_mN6thrust23THRUST_200600_302600_NS6detail15normal_iteratorINSA_10device_ptrItEEEEPS6_SG_NS0_5tupleIJSF_S6_EEENSH_IJSG_SG_EEES6_PlJNSB_9not_fun_tINSB_14equal_to_valueItEEEEEEE10hipError_tPvRmT3_T4_T5_T6_T7_T9_mT8_P12ihipStream_tbDpT10_ENKUlT_T0_E_clISt17integral_constantIbLb0EES18_EEDaS13_S14_EUlS13_E_NS1_11comp_targetILNS1_3genE3ELNS1_11target_archE908ELNS1_3gpuE7ELNS1_3repE0EEENS1_30default_config_static_selectorELNS0_4arch9wavefront6targetE0EEEvT1_.num_vgpr, 0
	.set _ZN7rocprim17ROCPRIM_400000_NS6detail17trampoline_kernelINS0_14default_configENS1_25partition_config_selectorILNS1_17partition_subalgoE6EtNS0_10empty_typeEbEEZZNS1_14partition_implILS5_6ELb0ES3_mN6thrust23THRUST_200600_302600_NS6detail15normal_iteratorINSA_10device_ptrItEEEEPS6_SG_NS0_5tupleIJSF_S6_EEENSH_IJSG_SG_EEES6_PlJNSB_9not_fun_tINSB_14equal_to_valueItEEEEEEE10hipError_tPvRmT3_T4_T5_T6_T7_T9_mT8_P12ihipStream_tbDpT10_ENKUlT_T0_E_clISt17integral_constantIbLb0EES18_EEDaS13_S14_EUlS13_E_NS1_11comp_targetILNS1_3genE3ELNS1_11target_archE908ELNS1_3gpuE7ELNS1_3repE0EEENS1_30default_config_static_selectorELNS0_4arch9wavefront6targetE0EEEvT1_.num_agpr, 0
	.set _ZN7rocprim17ROCPRIM_400000_NS6detail17trampoline_kernelINS0_14default_configENS1_25partition_config_selectorILNS1_17partition_subalgoE6EtNS0_10empty_typeEbEEZZNS1_14partition_implILS5_6ELb0ES3_mN6thrust23THRUST_200600_302600_NS6detail15normal_iteratorINSA_10device_ptrItEEEEPS6_SG_NS0_5tupleIJSF_S6_EEENSH_IJSG_SG_EEES6_PlJNSB_9not_fun_tINSB_14equal_to_valueItEEEEEEE10hipError_tPvRmT3_T4_T5_T6_T7_T9_mT8_P12ihipStream_tbDpT10_ENKUlT_T0_E_clISt17integral_constantIbLb0EES18_EEDaS13_S14_EUlS13_E_NS1_11comp_targetILNS1_3genE3ELNS1_11target_archE908ELNS1_3gpuE7ELNS1_3repE0EEENS1_30default_config_static_selectorELNS0_4arch9wavefront6targetE0EEEvT1_.numbered_sgpr, 0
	.set _ZN7rocprim17ROCPRIM_400000_NS6detail17trampoline_kernelINS0_14default_configENS1_25partition_config_selectorILNS1_17partition_subalgoE6EtNS0_10empty_typeEbEEZZNS1_14partition_implILS5_6ELb0ES3_mN6thrust23THRUST_200600_302600_NS6detail15normal_iteratorINSA_10device_ptrItEEEEPS6_SG_NS0_5tupleIJSF_S6_EEENSH_IJSG_SG_EEES6_PlJNSB_9not_fun_tINSB_14equal_to_valueItEEEEEEE10hipError_tPvRmT3_T4_T5_T6_T7_T9_mT8_P12ihipStream_tbDpT10_ENKUlT_T0_E_clISt17integral_constantIbLb0EES18_EEDaS13_S14_EUlS13_E_NS1_11comp_targetILNS1_3genE3ELNS1_11target_archE908ELNS1_3gpuE7ELNS1_3repE0EEENS1_30default_config_static_selectorELNS0_4arch9wavefront6targetE0EEEvT1_.num_named_barrier, 0
	.set _ZN7rocprim17ROCPRIM_400000_NS6detail17trampoline_kernelINS0_14default_configENS1_25partition_config_selectorILNS1_17partition_subalgoE6EtNS0_10empty_typeEbEEZZNS1_14partition_implILS5_6ELb0ES3_mN6thrust23THRUST_200600_302600_NS6detail15normal_iteratorINSA_10device_ptrItEEEEPS6_SG_NS0_5tupleIJSF_S6_EEENSH_IJSG_SG_EEES6_PlJNSB_9not_fun_tINSB_14equal_to_valueItEEEEEEE10hipError_tPvRmT3_T4_T5_T6_T7_T9_mT8_P12ihipStream_tbDpT10_ENKUlT_T0_E_clISt17integral_constantIbLb0EES18_EEDaS13_S14_EUlS13_E_NS1_11comp_targetILNS1_3genE3ELNS1_11target_archE908ELNS1_3gpuE7ELNS1_3repE0EEENS1_30default_config_static_selectorELNS0_4arch9wavefront6targetE0EEEvT1_.private_seg_size, 0
	.set _ZN7rocprim17ROCPRIM_400000_NS6detail17trampoline_kernelINS0_14default_configENS1_25partition_config_selectorILNS1_17partition_subalgoE6EtNS0_10empty_typeEbEEZZNS1_14partition_implILS5_6ELb0ES3_mN6thrust23THRUST_200600_302600_NS6detail15normal_iteratorINSA_10device_ptrItEEEEPS6_SG_NS0_5tupleIJSF_S6_EEENSH_IJSG_SG_EEES6_PlJNSB_9not_fun_tINSB_14equal_to_valueItEEEEEEE10hipError_tPvRmT3_T4_T5_T6_T7_T9_mT8_P12ihipStream_tbDpT10_ENKUlT_T0_E_clISt17integral_constantIbLb0EES18_EEDaS13_S14_EUlS13_E_NS1_11comp_targetILNS1_3genE3ELNS1_11target_archE908ELNS1_3gpuE7ELNS1_3repE0EEENS1_30default_config_static_selectorELNS0_4arch9wavefront6targetE0EEEvT1_.uses_vcc, 0
	.set _ZN7rocprim17ROCPRIM_400000_NS6detail17trampoline_kernelINS0_14default_configENS1_25partition_config_selectorILNS1_17partition_subalgoE6EtNS0_10empty_typeEbEEZZNS1_14partition_implILS5_6ELb0ES3_mN6thrust23THRUST_200600_302600_NS6detail15normal_iteratorINSA_10device_ptrItEEEEPS6_SG_NS0_5tupleIJSF_S6_EEENSH_IJSG_SG_EEES6_PlJNSB_9not_fun_tINSB_14equal_to_valueItEEEEEEE10hipError_tPvRmT3_T4_T5_T6_T7_T9_mT8_P12ihipStream_tbDpT10_ENKUlT_T0_E_clISt17integral_constantIbLb0EES18_EEDaS13_S14_EUlS13_E_NS1_11comp_targetILNS1_3genE3ELNS1_11target_archE908ELNS1_3gpuE7ELNS1_3repE0EEENS1_30default_config_static_selectorELNS0_4arch9wavefront6targetE0EEEvT1_.uses_flat_scratch, 0
	.set _ZN7rocprim17ROCPRIM_400000_NS6detail17trampoline_kernelINS0_14default_configENS1_25partition_config_selectorILNS1_17partition_subalgoE6EtNS0_10empty_typeEbEEZZNS1_14partition_implILS5_6ELb0ES3_mN6thrust23THRUST_200600_302600_NS6detail15normal_iteratorINSA_10device_ptrItEEEEPS6_SG_NS0_5tupleIJSF_S6_EEENSH_IJSG_SG_EEES6_PlJNSB_9not_fun_tINSB_14equal_to_valueItEEEEEEE10hipError_tPvRmT3_T4_T5_T6_T7_T9_mT8_P12ihipStream_tbDpT10_ENKUlT_T0_E_clISt17integral_constantIbLb0EES18_EEDaS13_S14_EUlS13_E_NS1_11comp_targetILNS1_3genE3ELNS1_11target_archE908ELNS1_3gpuE7ELNS1_3repE0EEENS1_30default_config_static_selectorELNS0_4arch9wavefront6targetE0EEEvT1_.has_dyn_sized_stack, 0
	.set _ZN7rocprim17ROCPRIM_400000_NS6detail17trampoline_kernelINS0_14default_configENS1_25partition_config_selectorILNS1_17partition_subalgoE6EtNS0_10empty_typeEbEEZZNS1_14partition_implILS5_6ELb0ES3_mN6thrust23THRUST_200600_302600_NS6detail15normal_iteratorINSA_10device_ptrItEEEEPS6_SG_NS0_5tupleIJSF_S6_EEENSH_IJSG_SG_EEES6_PlJNSB_9not_fun_tINSB_14equal_to_valueItEEEEEEE10hipError_tPvRmT3_T4_T5_T6_T7_T9_mT8_P12ihipStream_tbDpT10_ENKUlT_T0_E_clISt17integral_constantIbLb0EES18_EEDaS13_S14_EUlS13_E_NS1_11comp_targetILNS1_3genE3ELNS1_11target_archE908ELNS1_3gpuE7ELNS1_3repE0EEENS1_30default_config_static_selectorELNS0_4arch9wavefront6targetE0EEEvT1_.has_recursion, 0
	.set _ZN7rocprim17ROCPRIM_400000_NS6detail17trampoline_kernelINS0_14default_configENS1_25partition_config_selectorILNS1_17partition_subalgoE6EtNS0_10empty_typeEbEEZZNS1_14partition_implILS5_6ELb0ES3_mN6thrust23THRUST_200600_302600_NS6detail15normal_iteratorINSA_10device_ptrItEEEEPS6_SG_NS0_5tupleIJSF_S6_EEENSH_IJSG_SG_EEES6_PlJNSB_9not_fun_tINSB_14equal_to_valueItEEEEEEE10hipError_tPvRmT3_T4_T5_T6_T7_T9_mT8_P12ihipStream_tbDpT10_ENKUlT_T0_E_clISt17integral_constantIbLb0EES18_EEDaS13_S14_EUlS13_E_NS1_11comp_targetILNS1_3genE3ELNS1_11target_archE908ELNS1_3gpuE7ELNS1_3repE0EEENS1_30default_config_static_selectorELNS0_4arch9wavefront6targetE0EEEvT1_.has_indirect_call, 0
	.section	.AMDGPU.csdata,"",@progbits
; Kernel info:
; codeLenInByte = 0
; TotalNumSgprs: 0
; NumVgprs: 0
; ScratchSize: 0
; MemoryBound: 0
; FloatMode: 240
; IeeeMode: 1
; LDSByteSize: 0 bytes/workgroup (compile time only)
; SGPRBlocks: 0
; VGPRBlocks: 0
; NumSGPRsForWavesPerEU: 1
; NumVGPRsForWavesPerEU: 1
; Occupancy: 16
; WaveLimiterHint : 0
; COMPUTE_PGM_RSRC2:SCRATCH_EN: 0
; COMPUTE_PGM_RSRC2:USER_SGPR: 2
; COMPUTE_PGM_RSRC2:TRAP_HANDLER: 0
; COMPUTE_PGM_RSRC2:TGID_X_EN: 1
; COMPUTE_PGM_RSRC2:TGID_Y_EN: 0
; COMPUTE_PGM_RSRC2:TGID_Z_EN: 0
; COMPUTE_PGM_RSRC2:TIDIG_COMP_CNT: 0
	.section	.text._ZN7rocprim17ROCPRIM_400000_NS6detail17trampoline_kernelINS0_14default_configENS1_25partition_config_selectorILNS1_17partition_subalgoE6EtNS0_10empty_typeEbEEZZNS1_14partition_implILS5_6ELb0ES3_mN6thrust23THRUST_200600_302600_NS6detail15normal_iteratorINSA_10device_ptrItEEEEPS6_SG_NS0_5tupleIJSF_S6_EEENSH_IJSG_SG_EEES6_PlJNSB_9not_fun_tINSB_14equal_to_valueItEEEEEEE10hipError_tPvRmT3_T4_T5_T6_T7_T9_mT8_P12ihipStream_tbDpT10_ENKUlT_T0_E_clISt17integral_constantIbLb0EES18_EEDaS13_S14_EUlS13_E_NS1_11comp_targetILNS1_3genE2ELNS1_11target_archE906ELNS1_3gpuE6ELNS1_3repE0EEENS1_30default_config_static_selectorELNS0_4arch9wavefront6targetE0EEEvT1_,"axG",@progbits,_ZN7rocprim17ROCPRIM_400000_NS6detail17trampoline_kernelINS0_14default_configENS1_25partition_config_selectorILNS1_17partition_subalgoE6EtNS0_10empty_typeEbEEZZNS1_14partition_implILS5_6ELb0ES3_mN6thrust23THRUST_200600_302600_NS6detail15normal_iteratorINSA_10device_ptrItEEEEPS6_SG_NS0_5tupleIJSF_S6_EEENSH_IJSG_SG_EEES6_PlJNSB_9not_fun_tINSB_14equal_to_valueItEEEEEEE10hipError_tPvRmT3_T4_T5_T6_T7_T9_mT8_P12ihipStream_tbDpT10_ENKUlT_T0_E_clISt17integral_constantIbLb0EES18_EEDaS13_S14_EUlS13_E_NS1_11comp_targetILNS1_3genE2ELNS1_11target_archE906ELNS1_3gpuE6ELNS1_3repE0EEENS1_30default_config_static_selectorELNS0_4arch9wavefront6targetE0EEEvT1_,comdat
	.protected	_ZN7rocprim17ROCPRIM_400000_NS6detail17trampoline_kernelINS0_14default_configENS1_25partition_config_selectorILNS1_17partition_subalgoE6EtNS0_10empty_typeEbEEZZNS1_14partition_implILS5_6ELb0ES3_mN6thrust23THRUST_200600_302600_NS6detail15normal_iteratorINSA_10device_ptrItEEEEPS6_SG_NS0_5tupleIJSF_S6_EEENSH_IJSG_SG_EEES6_PlJNSB_9not_fun_tINSB_14equal_to_valueItEEEEEEE10hipError_tPvRmT3_T4_T5_T6_T7_T9_mT8_P12ihipStream_tbDpT10_ENKUlT_T0_E_clISt17integral_constantIbLb0EES18_EEDaS13_S14_EUlS13_E_NS1_11comp_targetILNS1_3genE2ELNS1_11target_archE906ELNS1_3gpuE6ELNS1_3repE0EEENS1_30default_config_static_selectorELNS0_4arch9wavefront6targetE0EEEvT1_ ; -- Begin function _ZN7rocprim17ROCPRIM_400000_NS6detail17trampoline_kernelINS0_14default_configENS1_25partition_config_selectorILNS1_17partition_subalgoE6EtNS0_10empty_typeEbEEZZNS1_14partition_implILS5_6ELb0ES3_mN6thrust23THRUST_200600_302600_NS6detail15normal_iteratorINSA_10device_ptrItEEEEPS6_SG_NS0_5tupleIJSF_S6_EEENSH_IJSG_SG_EEES6_PlJNSB_9not_fun_tINSB_14equal_to_valueItEEEEEEE10hipError_tPvRmT3_T4_T5_T6_T7_T9_mT8_P12ihipStream_tbDpT10_ENKUlT_T0_E_clISt17integral_constantIbLb0EES18_EEDaS13_S14_EUlS13_E_NS1_11comp_targetILNS1_3genE2ELNS1_11target_archE906ELNS1_3gpuE6ELNS1_3repE0EEENS1_30default_config_static_selectorELNS0_4arch9wavefront6targetE0EEEvT1_
	.globl	_ZN7rocprim17ROCPRIM_400000_NS6detail17trampoline_kernelINS0_14default_configENS1_25partition_config_selectorILNS1_17partition_subalgoE6EtNS0_10empty_typeEbEEZZNS1_14partition_implILS5_6ELb0ES3_mN6thrust23THRUST_200600_302600_NS6detail15normal_iteratorINSA_10device_ptrItEEEEPS6_SG_NS0_5tupleIJSF_S6_EEENSH_IJSG_SG_EEES6_PlJNSB_9not_fun_tINSB_14equal_to_valueItEEEEEEE10hipError_tPvRmT3_T4_T5_T6_T7_T9_mT8_P12ihipStream_tbDpT10_ENKUlT_T0_E_clISt17integral_constantIbLb0EES18_EEDaS13_S14_EUlS13_E_NS1_11comp_targetILNS1_3genE2ELNS1_11target_archE906ELNS1_3gpuE6ELNS1_3repE0EEENS1_30default_config_static_selectorELNS0_4arch9wavefront6targetE0EEEvT1_
	.p2align	8
	.type	_ZN7rocprim17ROCPRIM_400000_NS6detail17trampoline_kernelINS0_14default_configENS1_25partition_config_selectorILNS1_17partition_subalgoE6EtNS0_10empty_typeEbEEZZNS1_14partition_implILS5_6ELb0ES3_mN6thrust23THRUST_200600_302600_NS6detail15normal_iteratorINSA_10device_ptrItEEEEPS6_SG_NS0_5tupleIJSF_S6_EEENSH_IJSG_SG_EEES6_PlJNSB_9not_fun_tINSB_14equal_to_valueItEEEEEEE10hipError_tPvRmT3_T4_T5_T6_T7_T9_mT8_P12ihipStream_tbDpT10_ENKUlT_T0_E_clISt17integral_constantIbLb0EES18_EEDaS13_S14_EUlS13_E_NS1_11comp_targetILNS1_3genE2ELNS1_11target_archE906ELNS1_3gpuE6ELNS1_3repE0EEENS1_30default_config_static_selectorELNS0_4arch9wavefront6targetE0EEEvT1_,@function
_ZN7rocprim17ROCPRIM_400000_NS6detail17trampoline_kernelINS0_14default_configENS1_25partition_config_selectorILNS1_17partition_subalgoE6EtNS0_10empty_typeEbEEZZNS1_14partition_implILS5_6ELb0ES3_mN6thrust23THRUST_200600_302600_NS6detail15normal_iteratorINSA_10device_ptrItEEEEPS6_SG_NS0_5tupleIJSF_S6_EEENSH_IJSG_SG_EEES6_PlJNSB_9not_fun_tINSB_14equal_to_valueItEEEEEEE10hipError_tPvRmT3_T4_T5_T6_T7_T9_mT8_P12ihipStream_tbDpT10_ENKUlT_T0_E_clISt17integral_constantIbLb0EES18_EEDaS13_S14_EUlS13_E_NS1_11comp_targetILNS1_3genE2ELNS1_11target_archE906ELNS1_3gpuE6ELNS1_3repE0EEENS1_30default_config_static_selectorELNS0_4arch9wavefront6targetE0EEEvT1_: ; @_ZN7rocprim17ROCPRIM_400000_NS6detail17trampoline_kernelINS0_14default_configENS1_25partition_config_selectorILNS1_17partition_subalgoE6EtNS0_10empty_typeEbEEZZNS1_14partition_implILS5_6ELb0ES3_mN6thrust23THRUST_200600_302600_NS6detail15normal_iteratorINSA_10device_ptrItEEEEPS6_SG_NS0_5tupleIJSF_S6_EEENSH_IJSG_SG_EEES6_PlJNSB_9not_fun_tINSB_14equal_to_valueItEEEEEEE10hipError_tPvRmT3_T4_T5_T6_T7_T9_mT8_P12ihipStream_tbDpT10_ENKUlT_T0_E_clISt17integral_constantIbLb0EES18_EEDaS13_S14_EUlS13_E_NS1_11comp_targetILNS1_3genE2ELNS1_11target_archE906ELNS1_3gpuE6ELNS1_3repE0EEENS1_30default_config_static_selectorELNS0_4arch9wavefront6targetE0EEEvT1_
; %bb.0:
	.section	.rodata,"a",@progbits
	.p2align	6, 0x0
	.amdhsa_kernel _ZN7rocprim17ROCPRIM_400000_NS6detail17trampoline_kernelINS0_14default_configENS1_25partition_config_selectorILNS1_17partition_subalgoE6EtNS0_10empty_typeEbEEZZNS1_14partition_implILS5_6ELb0ES3_mN6thrust23THRUST_200600_302600_NS6detail15normal_iteratorINSA_10device_ptrItEEEEPS6_SG_NS0_5tupleIJSF_S6_EEENSH_IJSG_SG_EEES6_PlJNSB_9not_fun_tINSB_14equal_to_valueItEEEEEEE10hipError_tPvRmT3_T4_T5_T6_T7_T9_mT8_P12ihipStream_tbDpT10_ENKUlT_T0_E_clISt17integral_constantIbLb0EES18_EEDaS13_S14_EUlS13_E_NS1_11comp_targetILNS1_3genE2ELNS1_11target_archE906ELNS1_3gpuE6ELNS1_3repE0EEENS1_30default_config_static_selectorELNS0_4arch9wavefront6targetE0EEEvT1_
		.amdhsa_group_segment_fixed_size 0
		.amdhsa_private_segment_fixed_size 0
		.amdhsa_kernarg_size 112
		.amdhsa_user_sgpr_count 2
		.amdhsa_user_sgpr_dispatch_ptr 0
		.amdhsa_user_sgpr_queue_ptr 0
		.amdhsa_user_sgpr_kernarg_segment_ptr 1
		.amdhsa_user_sgpr_dispatch_id 0
		.amdhsa_user_sgpr_private_segment_size 0
		.amdhsa_wavefront_size32 1
		.amdhsa_uses_dynamic_stack 0
		.amdhsa_enable_private_segment 0
		.amdhsa_system_sgpr_workgroup_id_x 1
		.amdhsa_system_sgpr_workgroup_id_y 0
		.amdhsa_system_sgpr_workgroup_id_z 0
		.amdhsa_system_sgpr_workgroup_info 0
		.amdhsa_system_vgpr_workitem_id 0
		.amdhsa_next_free_vgpr 1
		.amdhsa_next_free_sgpr 1
		.amdhsa_reserve_vcc 0
		.amdhsa_float_round_mode_32 0
		.amdhsa_float_round_mode_16_64 0
		.amdhsa_float_denorm_mode_32 3
		.amdhsa_float_denorm_mode_16_64 3
		.amdhsa_fp16_overflow 0
		.amdhsa_workgroup_processor_mode 1
		.amdhsa_memory_ordered 1
		.amdhsa_forward_progress 1
		.amdhsa_inst_pref_size 0
		.amdhsa_round_robin_scheduling 0
		.amdhsa_exception_fp_ieee_invalid_op 0
		.amdhsa_exception_fp_denorm_src 0
		.amdhsa_exception_fp_ieee_div_zero 0
		.amdhsa_exception_fp_ieee_overflow 0
		.amdhsa_exception_fp_ieee_underflow 0
		.amdhsa_exception_fp_ieee_inexact 0
		.amdhsa_exception_int_div_zero 0
	.end_amdhsa_kernel
	.section	.text._ZN7rocprim17ROCPRIM_400000_NS6detail17trampoline_kernelINS0_14default_configENS1_25partition_config_selectorILNS1_17partition_subalgoE6EtNS0_10empty_typeEbEEZZNS1_14partition_implILS5_6ELb0ES3_mN6thrust23THRUST_200600_302600_NS6detail15normal_iteratorINSA_10device_ptrItEEEEPS6_SG_NS0_5tupleIJSF_S6_EEENSH_IJSG_SG_EEES6_PlJNSB_9not_fun_tINSB_14equal_to_valueItEEEEEEE10hipError_tPvRmT3_T4_T5_T6_T7_T9_mT8_P12ihipStream_tbDpT10_ENKUlT_T0_E_clISt17integral_constantIbLb0EES18_EEDaS13_S14_EUlS13_E_NS1_11comp_targetILNS1_3genE2ELNS1_11target_archE906ELNS1_3gpuE6ELNS1_3repE0EEENS1_30default_config_static_selectorELNS0_4arch9wavefront6targetE0EEEvT1_,"axG",@progbits,_ZN7rocprim17ROCPRIM_400000_NS6detail17trampoline_kernelINS0_14default_configENS1_25partition_config_selectorILNS1_17partition_subalgoE6EtNS0_10empty_typeEbEEZZNS1_14partition_implILS5_6ELb0ES3_mN6thrust23THRUST_200600_302600_NS6detail15normal_iteratorINSA_10device_ptrItEEEEPS6_SG_NS0_5tupleIJSF_S6_EEENSH_IJSG_SG_EEES6_PlJNSB_9not_fun_tINSB_14equal_to_valueItEEEEEEE10hipError_tPvRmT3_T4_T5_T6_T7_T9_mT8_P12ihipStream_tbDpT10_ENKUlT_T0_E_clISt17integral_constantIbLb0EES18_EEDaS13_S14_EUlS13_E_NS1_11comp_targetILNS1_3genE2ELNS1_11target_archE906ELNS1_3gpuE6ELNS1_3repE0EEENS1_30default_config_static_selectorELNS0_4arch9wavefront6targetE0EEEvT1_,comdat
.Lfunc_end409:
	.size	_ZN7rocprim17ROCPRIM_400000_NS6detail17trampoline_kernelINS0_14default_configENS1_25partition_config_selectorILNS1_17partition_subalgoE6EtNS0_10empty_typeEbEEZZNS1_14partition_implILS5_6ELb0ES3_mN6thrust23THRUST_200600_302600_NS6detail15normal_iteratorINSA_10device_ptrItEEEEPS6_SG_NS0_5tupleIJSF_S6_EEENSH_IJSG_SG_EEES6_PlJNSB_9not_fun_tINSB_14equal_to_valueItEEEEEEE10hipError_tPvRmT3_T4_T5_T6_T7_T9_mT8_P12ihipStream_tbDpT10_ENKUlT_T0_E_clISt17integral_constantIbLb0EES18_EEDaS13_S14_EUlS13_E_NS1_11comp_targetILNS1_3genE2ELNS1_11target_archE906ELNS1_3gpuE6ELNS1_3repE0EEENS1_30default_config_static_selectorELNS0_4arch9wavefront6targetE0EEEvT1_, .Lfunc_end409-_ZN7rocprim17ROCPRIM_400000_NS6detail17trampoline_kernelINS0_14default_configENS1_25partition_config_selectorILNS1_17partition_subalgoE6EtNS0_10empty_typeEbEEZZNS1_14partition_implILS5_6ELb0ES3_mN6thrust23THRUST_200600_302600_NS6detail15normal_iteratorINSA_10device_ptrItEEEEPS6_SG_NS0_5tupleIJSF_S6_EEENSH_IJSG_SG_EEES6_PlJNSB_9not_fun_tINSB_14equal_to_valueItEEEEEEE10hipError_tPvRmT3_T4_T5_T6_T7_T9_mT8_P12ihipStream_tbDpT10_ENKUlT_T0_E_clISt17integral_constantIbLb0EES18_EEDaS13_S14_EUlS13_E_NS1_11comp_targetILNS1_3genE2ELNS1_11target_archE906ELNS1_3gpuE6ELNS1_3repE0EEENS1_30default_config_static_selectorELNS0_4arch9wavefront6targetE0EEEvT1_
                                        ; -- End function
	.set _ZN7rocprim17ROCPRIM_400000_NS6detail17trampoline_kernelINS0_14default_configENS1_25partition_config_selectorILNS1_17partition_subalgoE6EtNS0_10empty_typeEbEEZZNS1_14partition_implILS5_6ELb0ES3_mN6thrust23THRUST_200600_302600_NS6detail15normal_iteratorINSA_10device_ptrItEEEEPS6_SG_NS0_5tupleIJSF_S6_EEENSH_IJSG_SG_EEES6_PlJNSB_9not_fun_tINSB_14equal_to_valueItEEEEEEE10hipError_tPvRmT3_T4_T5_T6_T7_T9_mT8_P12ihipStream_tbDpT10_ENKUlT_T0_E_clISt17integral_constantIbLb0EES18_EEDaS13_S14_EUlS13_E_NS1_11comp_targetILNS1_3genE2ELNS1_11target_archE906ELNS1_3gpuE6ELNS1_3repE0EEENS1_30default_config_static_selectorELNS0_4arch9wavefront6targetE0EEEvT1_.num_vgpr, 0
	.set _ZN7rocprim17ROCPRIM_400000_NS6detail17trampoline_kernelINS0_14default_configENS1_25partition_config_selectorILNS1_17partition_subalgoE6EtNS0_10empty_typeEbEEZZNS1_14partition_implILS5_6ELb0ES3_mN6thrust23THRUST_200600_302600_NS6detail15normal_iteratorINSA_10device_ptrItEEEEPS6_SG_NS0_5tupleIJSF_S6_EEENSH_IJSG_SG_EEES6_PlJNSB_9not_fun_tINSB_14equal_to_valueItEEEEEEE10hipError_tPvRmT3_T4_T5_T6_T7_T9_mT8_P12ihipStream_tbDpT10_ENKUlT_T0_E_clISt17integral_constantIbLb0EES18_EEDaS13_S14_EUlS13_E_NS1_11comp_targetILNS1_3genE2ELNS1_11target_archE906ELNS1_3gpuE6ELNS1_3repE0EEENS1_30default_config_static_selectorELNS0_4arch9wavefront6targetE0EEEvT1_.num_agpr, 0
	.set _ZN7rocprim17ROCPRIM_400000_NS6detail17trampoline_kernelINS0_14default_configENS1_25partition_config_selectorILNS1_17partition_subalgoE6EtNS0_10empty_typeEbEEZZNS1_14partition_implILS5_6ELb0ES3_mN6thrust23THRUST_200600_302600_NS6detail15normal_iteratorINSA_10device_ptrItEEEEPS6_SG_NS0_5tupleIJSF_S6_EEENSH_IJSG_SG_EEES6_PlJNSB_9not_fun_tINSB_14equal_to_valueItEEEEEEE10hipError_tPvRmT3_T4_T5_T6_T7_T9_mT8_P12ihipStream_tbDpT10_ENKUlT_T0_E_clISt17integral_constantIbLb0EES18_EEDaS13_S14_EUlS13_E_NS1_11comp_targetILNS1_3genE2ELNS1_11target_archE906ELNS1_3gpuE6ELNS1_3repE0EEENS1_30default_config_static_selectorELNS0_4arch9wavefront6targetE0EEEvT1_.numbered_sgpr, 0
	.set _ZN7rocprim17ROCPRIM_400000_NS6detail17trampoline_kernelINS0_14default_configENS1_25partition_config_selectorILNS1_17partition_subalgoE6EtNS0_10empty_typeEbEEZZNS1_14partition_implILS5_6ELb0ES3_mN6thrust23THRUST_200600_302600_NS6detail15normal_iteratorINSA_10device_ptrItEEEEPS6_SG_NS0_5tupleIJSF_S6_EEENSH_IJSG_SG_EEES6_PlJNSB_9not_fun_tINSB_14equal_to_valueItEEEEEEE10hipError_tPvRmT3_T4_T5_T6_T7_T9_mT8_P12ihipStream_tbDpT10_ENKUlT_T0_E_clISt17integral_constantIbLb0EES18_EEDaS13_S14_EUlS13_E_NS1_11comp_targetILNS1_3genE2ELNS1_11target_archE906ELNS1_3gpuE6ELNS1_3repE0EEENS1_30default_config_static_selectorELNS0_4arch9wavefront6targetE0EEEvT1_.num_named_barrier, 0
	.set _ZN7rocprim17ROCPRIM_400000_NS6detail17trampoline_kernelINS0_14default_configENS1_25partition_config_selectorILNS1_17partition_subalgoE6EtNS0_10empty_typeEbEEZZNS1_14partition_implILS5_6ELb0ES3_mN6thrust23THRUST_200600_302600_NS6detail15normal_iteratorINSA_10device_ptrItEEEEPS6_SG_NS0_5tupleIJSF_S6_EEENSH_IJSG_SG_EEES6_PlJNSB_9not_fun_tINSB_14equal_to_valueItEEEEEEE10hipError_tPvRmT3_T4_T5_T6_T7_T9_mT8_P12ihipStream_tbDpT10_ENKUlT_T0_E_clISt17integral_constantIbLb0EES18_EEDaS13_S14_EUlS13_E_NS1_11comp_targetILNS1_3genE2ELNS1_11target_archE906ELNS1_3gpuE6ELNS1_3repE0EEENS1_30default_config_static_selectorELNS0_4arch9wavefront6targetE0EEEvT1_.private_seg_size, 0
	.set _ZN7rocprim17ROCPRIM_400000_NS6detail17trampoline_kernelINS0_14default_configENS1_25partition_config_selectorILNS1_17partition_subalgoE6EtNS0_10empty_typeEbEEZZNS1_14partition_implILS5_6ELb0ES3_mN6thrust23THRUST_200600_302600_NS6detail15normal_iteratorINSA_10device_ptrItEEEEPS6_SG_NS0_5tupleIJSF_S6_EEENSH_IJSG_SG_EEES6_PlJNSB_9not_fun_tINSB_14equal_to_valueItEEEEEEE10hipError_tPvRmT3_T4_T5_T6_T7_T9_mT8_P12ihipStream_tbDpT10_ENKUlT_T0_E_clISt17integral_constantIbLb0EES18_EEDaS13_S14_EUlS13_E_NS1_11comp_targetILNS1_3genE2ELNS1_11target_archE906ELNS1_3gpuE6ELNS1_3repE0EEENS1_30default_config_static_selectorELNS0_4arch9wavefront6targetE0EEEvT1_.uses_vcc, 0
	.set _ZN7rocprim17ROCPRIM_400000_NS6detail17trampoline_kernelINS0_14default_configENS1_25partition_config_selectorILNS1_17partition_subalgoE6EtNS0_10empty_typeEbEEZZNS1_14partition_implILS5_6ELb0ES3_mN6thrust23THRUST_200600_302600_NS6detail15normal_iteratorINSA_10device_ptrItEEEEPS6_SG_NS0_5tupleIJSF_S6_EEENSH_IJSG_SG_EEES6_PlJNSB_9not_fun_tINSB_14equal_to_valueItEEEEEEE10hipError_tPvRmT3_T4_T5_T6_T7_T9_mT8_P12ihipStream_tbDpT10_ENKUlT_T0_E_clISt17integral_constantIbLb0EES18_EEDaS13_S14_EUlS13_E_NS1_11comp_targetILNS1_3genE2ELNS1_11target_archE906ELNS1_3gpuE6ELNS1_3repE0EEENS1_30default_config_static_selectorELNS0_4arch9wavefront6targetE0EEEvT1_.uses_flat_scratch, 0
	.set _ZN7rocprim17ROCPRIM_400000_NS6detail17trampoline_kernelINS0_14default_configENS1_25partition_config_selectorILNS1_17partition_subalgoE6EtNS0_10empty_typeEbEEZZNS1_14partition_implILS5_6ELb0ES3_mN6thrust23THRUST_200600_302600_NS6detail15normal_iteratorINSA_10device_ptrItEEEEPS6_SG_NS0_5tupleIJSF_S6_EEENSH_IJSG_SG_EEES6_PlJNSB_9not_fun_tINSB_14equal_to_valueItEEEEEEE10hipError_tPvRmT3_T4_T5_T6_T7_T9_mT8_P12ihipStream_tbDpT10_ENKUlT_T0_E_clISt17integral_constantIbLb0EES18_EEDaS13_S14_EUlS13_E_NS1_11comp_targetILNS1_3genE2ELNS1_11target_archE906ELNS1_3gpuE6ELNS1_3repE0EEENS1_30default_config_static_selectorELNS0_4arch9wavefront6targetE0EEEvT1_.has_dyn_sized_stack, 0
	.set _ZN7rocprim17ROCPRIM_400000_NS6detail17trampoline_kernelINS0_14default_configENS1_25partition_config_selectorILNS1_17partition_subalgoE6EtNS0_10empty_typeEbEEZZNS1_14partition_implILS5_6ELb0ES3_mN6thrust23THRUST_200600_302600_NS6detail15normal_iteratorINSA_10device_ptrItEEEEPS6_SG_NS0_5tupleIJSF_S6_EEENSH_IJSG_SG_EEES6_PlJNSB_9not_fun_tINSB_14equal_to_valueItEEEEEEE10hipError_tPvRmT3_T4_T5_T6_T7_T9_mT8_P12ihipStream_tbDpT10_ENKUlT_T0_E_clISt17integral_constantIbLb0EES18_EEDaS13_S14_EUlS13_E_NS1_11comp_targetILNS1_3genE2ELNS1_11target_archE906ELNS1_3gpuE6ELNS1_3repE0EEENS1_30default_config_static_selectorELNS0_4arch9wavefront6targetE0EEEvT1_.has_recursion, 0
	.set _ZN7rocprim17ROCPRIM_400000_NS6detail17trampoline_kernelINS0_14default_configENS1_25partition_config_selectorILNS1_17partition_subalgoE6EtNS0_10empty_typeEbEEZZNS1_14partition_implILS5_6ELb0ES3_mN6thrust23THRUST_200600_302600_NS6detail15normal_iteratorINSA_10device_ptrItEEEEPS6_SG_NS0_5tupleIJSF_S6_EEENSH_IJSG_SG_EEES6_PlJNSB_9not_fun_tINSB_14equal_to_valueItEEEEEEE10hipError_tPvRmT3_T4_T5_T6_T7_T9_mT8_P12ihipStream_tbDpT10_ENKUlT_T0_E_clISt17integral_constantIbLb0EES18_EEDaS13_S14_EUlS13_E_NS1_11comp_targetILNS1_3genE2ELNS1_11target_archE906ELNS1_3gpuE6ELNS1_3repE0EEENS1_30default_config_static_selectorELNS0_4arch9wavefront6targetE0EEEvT1_.has_indirect_call, 0
	.section	.AMDGPU.csdata,"",@progbits
; Kernel info:
; codeLenInByte = 0
; TotalNumSgprs: 0
; NumVgprs: 0
; ScratchSize: 0
; MemoryBound: 0
; FloatMode: 240
; IeeeMode: 1
; LDSByteSize: 0 bytes/workgroup (compile time only)
; SGPRBlocks: 0
; VGPRBlocks: 0
; NumSGPRsForWavesPerEU: 1
; NumVGPRsForWavesPerEU: 1
; Occupancy: 16
; WaveLimiterHint : 0
; COMPUTE_PGM_RSRC2:SCRATCH_EN: 0
; COMPUTE_PGM_RSRC2:USER_SGPR: 2
; COMPUTE_PGM_RSRC2:TRAP_HANDLER: 0
; COMPUTE_PGM_RSRC2:TGID_X_EN: 1
; COMPUTE_PGM_RSRC2:TGID_Y_EN: 0
; COMPUTE_PGM_RSRC2:TGID_Z_EN: 0
; COMPUTE_PGM_RSRC2:TIDIG_COMP_CNT: 0
	.section	.text._ZN7rocprim17ROCPRIM_400000_NS6detail17trampoline_kernelINS0_14default_configENS1_25partition_config_selectorILNS1_17partition_subalgoE6EtNS0_10empty_typeEbEEZZNS1_14partition_implILS5_6ELb0ES3_mN6thrust23THRUST_200600_302600_NS6detail15normal_iteratorINSA_10device_ptrItEEEEPS6_SG_NS0_5tupleIJSF_S6_EEENSH_IJSG_SG_EEES6_PlJNSB_9not_fun_tINSB_14equal_to_valueItEEEEEEE10hipError_tPvRmT3_T4_T5_T6_T7_T9_mT8_P12ihipStream_tbDpT10_ENKUlT_T0_E_clISt17integral_constantIbLb0EES18_EEDaS13_S14_EUlS13_E_NS1_11comp_targetILNS1_3genE10ELNS1_11target_archE1200ELNS1_3gpuE4ELNS1_3repE0EEENS1_30default_config_static_selectorELNS0_4arch9wavefront6targetE0EEEvT1_,"axG",@progbits,_ZN7rocprim17ROCPRIM_400000_NS6detail17trampoline_kernelINS0_14default_configENS1_25partition_config_selectorILNS1_17partition_subalgoE6EtNS0_10empty_typeEbEEZZNS1_14partition_implILS5_6ELb0ES3_mN6thrust23THRUST_200600_302600_NS6detail15normal_iteratorINSA_10device_ptrItEEEEPS6_SG_NS0_5tupleIJSF_S6_EEENSH_IJSG_SG_EEES6_PlJNSB_9not_fun_tINSB_14equal_to_valueItEEEEEEE10hipError_tPvRmT3_T4_T5_T6_T7_T9_mT8_P12ihipStream_tbDpT10_ENKUlT_T0_E_clISt17integral_constantIbLb0EES18_EEDaS13_S14_EUlS13_E_NS1_11comp_targetILNS1_3genE10ELNS1_11target_archE1200ELNS1_3gpuE4ELNS1_3repE0EEENS1_30default_config_static_selectorELNS0_4arch9wavefront6targetE0EEEvT1_,comdat
	.protected	_ZN7rocprim17ROCPRIM_400000_NS6detail17trampoline_kernelINS0_14default_configENS1_25partition_config_selectorILNS1_17partition_subalgoE6EtNS0_10empty_typeEbEEZZNS1_14partition_implILS5_6ELb0ES3_mN6thrust23THRUST_200600_302600_NS6detail15normal_iteratorINSA_10device_ptrItEEEEPS6_SG_NS0_5tupleIJSF_S6_EEENSH_IJSG_SG_EEES6_PlJNSB_9not_fun_tINSB_14equal_to_valueItEEEEEEE10hipError_tPvRmT3_T4_T5_T6_T7_T9_mT8_P12ihipStream_tbDpT10_ENKUlT_T0_E_clISt17integral_constantIbLb0EES18_EEDaS13_S14_EUlS13_E_NS1_11comp_targetILNS1_3genE10ELNS1_11target_archE1200ELNS1_3gpuE4ELNS1_3repE0EEENS1_30default_config_static_selectorELNS0_4arch9wavefront6targetE0EEEvT1_ ; -- Begin function _ZN7rocprim17ROCPRIM_400000_NS6detail17trampoline_kernelINS0_14default_configENS1_25partition_config_selectorILNS1_17partition_subalgoE6EtNS0_10empty_typeEbEEZZNS1_14partition_implILS5_6ELb0ES3_mN6thrust23THRUST_200600_302600_NS6detail15normal_iteratorINSA_10device_ptrItEEEEPS6_SG_NS0_5tupleIJSF_S6_EEENSH_IJSG_SG_EEES6_PlJNSB_9not_fun_tINSB_14equal_to_valueItEEEEEEE10hipError_tPvRmT3_T4_T5_T6_T7_T9_mT8_P12ihipStream_tbDpT10_ENKUlT_T0_E_clISt17integral_constantIbLb0EES18_EEDaS13_S14_EUlS13_E_NS1_11comp_targetILNS1_3genE10ELNS1_11target_archE1200ELNS1_3gpuE4ELNS1_3repE0EEENS1_30default_config_static_selectorELNS0_4arch9wavefront6targetE0EEEvT1_
	.globl	_ZN7rocprim17ROCPRIM_400000_NS6detail17trampoline_kernelINS0_14default_configENS1_25partition_config_selectorILNS1_17partition_subalgoE6EtNS0_10empty_typeEbEEZZNS1_14partition_implILS5_6ELb0ES3_mN6thrust23THRUST_200600_302600_NS6detail15normal_iteratorINSA_10device_ptrItEEEEPS6_SG_NS0_5tupleIJSF_S6_EEENSH_IJSG_SG_EEES6_PlJNSB_9not_fun_tINSB_14equal_to_valueItEEEEEEE10hipError_tPvRmT3_T4_T5_T6_T7_T9_mT8_P12ihipStream_tbDpT10_ENKUlT_T0_E_clISt17integral_constantIbLb0EES18_EEDaS13_S14_EUlS13_E_NS1_11comp_targetILNS1_3genE10ELNS1_11target_archE1200ELNS1_3gpuE4ELNS1_3repE0EEENS1_30default_config_static_selectorELNS0_4arch9wavefront6targetE0EEEvT1_
	.p2align	8
	.type	_ZN7rocprim17ROCPRIM_400000_NS6detail17trampoline_kernelINS0_14default_configENS1_25partition_config_selectorILNS1_17partition_subalgoE6EtNS0_10empty_typeEbEEZZNS1_14partition_implILS5_6ELb0ES3_mN6thrust23THRUST_200600_302600_NS6detail15normal_iteratorINSA_10device_ptrItEEEEPS6_SG_NS0_5tupleIJSF_S6_EEENSH_IJSG_SG_EEES6_PlJNSB_9not_fun_tINSB_14equal_to_valueItEEEEEEE10hipError_tPvRmT3_T4_T5_T6_T7_T9_mT8_P12ihipStream_tbDpT10_ENKUlT_T0_E_clISt17integral_constantIbLb0EES18_EEDaS13_S14_EUlS13_E_NS1_11comp_targetILNS1_3genE10ELNS1_11target_archE1200ELNS1_3gpuE4ELNS1_3repE0EEENS1_30default_config_static_selectorELNS0_4arch9wavefront6targetE0EEEvT1_,@function
_ZN7rocprim17ROCPRIM_400000_NS6detail17trampoline_kernelINS0_14default_configENS1_25partition_config_selectorILNS1_17partition_subalgoE6EtNS0_10empty_typeEbEEZZNS1_14partition_implILS5_6ELb0ES3_mN6thrust23THRUST_200600_302600_NS6detail15normal_iteratorINSA_10device_ptrItEEEEPS6_SG_NS0_5tupleIJSF_S6_EEENSH_IJSG_SG_EEES6_PlJNSB_9not_fun_tINSB_14equal_to_valueItEEEEEEE10hipError_tPvRmT3_T4_T5_T6_T7_T9_mT8_P12ihipStream_tbDpT10_ENKUlT_T0_E_clISt17integral_constantIbLb0EES18_EEDaS13_S14_EUlS13_E_NS1_11comp_targetILNS1_3genE10ELNS1_11target_archE1200ELNS1_3gpuE4ELNS1_3repE0EEENS1_30default_config_static_selectorELNS0_4arch9wavefront6targetE0EEEvT1_: ; @_ZN7rocprim17ROCPRIM_400000_NS6detail17trampoline_kernelINS0_14default_configENS1_25partition_config_selectorILNS1_17partition_subalgoE6EtNS0_10empty_typeEbEEZZNS1_14partition_implILS5_6ELb0ES3_mN6thrust23THRUST_200600_302600_NS6detail15normal_iteratorINSA_10device_ptrItEEEEPS6_SG_NS0_5tupleIJSF_S6_EEENSH_IJSG_SG_EEES6_PlJNSB_9not_fun_tINSB_14equal_to_valueItEEEEEEE10hipError_tPvRmT3_T4_T5_T6_T7_T9_mT8_P12ihipStream_tbDpT10_ENKUlT_T0_E_clISt17integral_constantIbLb0EES18_EEDaS13_S14_EUlS13_E_NS1_11comp_targetILNS1_3genE10ELNS1_11target_archE1200ELNS1_3gpuE4ELNS1_3repE0EEENS1_30default_config_static_selectorELNS0_4arch9wavefront6targetE0EEEvT1_
; %bb.0:
	v_dual_mov_b32 v1, 0 :: v_dual_lshlrev_b32 v18, 1, v0
	s_clause 0x3
	s_load_b128 s[4:7], s[0:1], 0x8
	s_load_b128 s[20:23], s[0:1], 0x40
	s_load_b32 s10, s[0:1], 0x68
	s_load_b64 s[2:3], s[0:1], 0x50
	global_load_u16 v17, v1, s[0:1] offset:110
	s_wait_kmcnt 0x0
	s_lshl_b64 s[8:9], s[6:7], 1
	s_load_b64 s[22:23], s[22:23], 0x0
	s_add_nc_u64 s[8:9], s[4:5], s[8:9]
	s_mul_i32 s4, s10, 0x1b00
	s_mov_b32 s5, 0
	s_add_co_i32 s12, s10, -1
	s_add_nc_u64 s[10:11], s[6:7], s[4:5]
	s_add_co_i32 s4, s4, s6
	v_cmp_le_u64_e64 s3, s[2:3], s[10:11]
	s_sub_co_i32 s27, s2, s4
	s_cmp_eq_u32 ttmp9, s12
	s_mul_i32 s2, ttmp9, 0x1b00
	s_cselect_b32 s24, -1, 0
	s_mov_b32 s4, -1
	s_and_b32 s6, s24, s3
	s_mov_b32 s3, s5
	s_xor_b32 s25, s6, -1
	s_wait_alu 0xfffe
	s_lshl_b64 s[2:3], s[2:3], 1
	s_and_b32 vcc_lo, exec_lo, s25
	s_wait_alu 0xfffe
	s_add_nc_u64 s[2:3], s[8:9], s[2:3]
	s_cbranch_vccz .LBB410_2
; %bb.1:
	s_wait_alu 0xfffe
	v_add_co_u32 v1, s4, s2, v18
	s_delay_alu instid0(VALU_DEP_1)
	v_add_co_ci_u32_e64 v2, null, s3, 0, s4
	s_mov_b32 s4, 0
	s_clause 0x11
	flat_load_u16 v3, v[1:2]
	flat_load_u16 v4, v[1:2] offset:768
	flat_load_u16 v5, v[1:2] offset:1536
	;; [unrolled: 1-line block ×17, first 2 shown]
	s_wait_loadcnt_dscnt 0x1111
	ds_store_b16 v18, v3
	s_wait_loadcnt_dscnt 0x1011
	ds_store_b16 v18, v4 offset:768
	s_wait_loadcnt_dscnt 0xf11
	ds_store_b16 v18, v5 offset:1536
	;; [unrolled: 2-line block ×17, first 2 shown]
	s_wait_dscnt 0x0
	s_barrier_signal -1
	s_barrier_wait -1
.LBB410_2:
	s_wait_alu 0xfffe
	s_and_not1_b32 vcc_lo, exec_lo, s4
	s_addk_co_i32 s27, 0x1b00
	s_cbranch_vccnz .LBB410_40
; %bb.3:
	v_mov_b32_e32 v1, 0
	s_mov_b32 s4, exec_lo
	s_delay_alu instid0(VALU_DEP_1)
	v_dual_mov_b32 v2, v1 :: v_dual_mov_b32 v3, v1
	v_dual_mov_b32 v4, v1 :: v_dual_mov_b32 v5, v1
	;; [unrolled: 1-line block ×4, first 2 shown]
	v_cmpx_gt_u32_e64 s27, v0
	s_cbranch_execz .LBB410_5
; %bb.4:
	v_add_co_u32 v3, s5, s2, v18
	s_wait_alu 0xf1ff
	v_add_co_ci_u32_e64 v4, null, s3, 0, s5
	v_mov_b32_e32 v2, v1
	v_dual_mov_b32 v6, v1 :: v_dual_mov_b32 v7, v1
	v_dual_mov_b32 v5, v1 :: v_dual_mov_b32 v8, v1
	v_mov_b32_e32 v9, v1
	flat_load_d16_b16 v2, v[3:4]
	v_dual_mov_b32 v3, v1 :: v_dual_mov_b32 v4, v1
	v_mov_b32_e32 v10, v1
	s_wait_loadcnt_dscnt 0x0
	v_mov_b32_e32 v1, v2
	s_delay_alu instid0(VALU_DEP_3)
	v_mov_b32_e32 v2, v3
	v_mov_b32_e32 v3, v4
	;; [unrolled: 1-line block ×15, first 2 shown]
.LBB410_5:
	s_wait_alu 0xfffe
	s_or_b32 exec_lo, exec_lo, s4
	v_add_nc_u32_e32 v10, 0x180, v0
	s_mov_b32 s4, exec_lo
	s_delay_alu instid0(VALU_DEP_1)
	v_cmpx_gt_u32_e64 s27, v10
	s_cbranch_execz .LBB410_7
; %bb.6:
	v_add_co_u32 v10, s5, s2, v18
	s_wait_alu 0xf1ff
	v_add_co_ci_u32_e64 v11, null, s3, 0, s5
	flat_load_d16_hi_b16 v1, v[10:11] offset:768
.LBB410_7:
	s_wait_alu 0xfffe
	s_or_b32 exec_lo, exec_lo, s4
	v_add_nc_u32_e32 v10, 0x300, v0
	s_mov_b32 s4, exec_lo
	s_delay_alu instid0(VALU_DEP_1)
	v_cmpx_gt_u32_e64 s27, v10
	s_cbranch_execz .LBB410_9
; %bb.8:
	v_add_co_u32 v10, s5, s2, v18
	s_wait_alu 0xf1ff
	v_add_co_ci_u32_e64 v11, null, s3, 0, s5
	flat_load_d16_b16 v2, v[10:11] offset:1536
.LBB410_9:
	s_wait_alu 0xfffe
	s_or_b32 exec_lo, exec_lo, s4
	v_add_nc_u32_e32 v10, 0x480, v0
	s_mov_b32 s4, exec_lo
	s_delay_alu instid0(VALU_DEP_1)
	v_cmpx_gt_u32_e64 s27, v10
	s_cbranch_execz .LBB410_11
; %bb.10:
	v_add_co_u32 v10, s5, s2, v18
	s_wait_alu 0xf1ff
	v_add_co_ci_u32_e64 v11, null, s3, 0, s5
	s_wait_loadcnt_dscnt 0x0
	flat_load_d16_hi_b16 v2, v[10:11] offset:2304
.LBB410_11:
	s_wait_alu 0xfffe
	s_or_b32 exec_lo, exec_lo, s4
	v_or_b32_e32 v10, 0x600, v0
	s_mov_b32 s4, exec_lo
	s_delay_alu instid0(VALU_DEP_1)
	v_cmpx_gt_u32_e64 s27, v10
	s_cbranch_execz .LBB410_13
; %bb.12:
	v_add_co_u32 v10, s5, s2, v18
	s_wait_alu 0xf1ff
	v_add_co_ci_u32_e64 v11, null, s3, 0, s5
	flat_load_d16_b16 v3, v[10:11] offset:3072
.LBB410_13:
	s_wait_alu 0xfffe
	s_or_b32 exec_lo, exec_lo, s4
	v_add_nc_u32_e32 v10, 0x780, v0
	s_mov_b32 s4, exec_lo
	s_delay_alu instid0(VALU_DEP_1)
	v_cmpx_gt_u32_e64 s27, v10
	s_cbranch_execz .LBB410_15
; %bb.14:
	v_add_co_u32 v10, s5, s2, v18
	s_wait_alu 0xf1ff
	v_add_co_ci_u32_e64 v11, null, s3, 0, s5
	s_wait_loadcnt_dscnt 0x0
	flat_load_d16_hi_b16 v3, v[10:11] offset:3840
.LBB410_15:
	s_wait_alu 0xfffe
	s_or_b32 exec_lo, exec_lo, s4
	v_add_nc_u32_e32 v10, 0x900, v0
	s_mov_b32 s4, exec_lo
	s_delay_alu instid0(VALU_DEP_1)
	v_cmpx_gt_u32_e64 s27, v10
	s_cbranch_execz .LBB410_17
; %bb.16:
	v_add_co_u32 v10, s5, s2, v18
	s_wait_alu 0xf1ff
	v_add_co_ci_u32_e64 v11, null, s3, 0, s5
	flat_load_d16_b16 v4, v[10:11] offset:4608
.LBB410_17:
	s_wait_alu 0xfffe
	s_or_b32 exec_lo, exec_lo, s4
	v_add_nc_u32_e32 v10, 0xa80, v0
	s_mov_b32 s4, exec_lo
	s_delay_alu instid0(VALU_DEP_1)
	v_cmpx_gt_u32_e64 s27, v10
	s_cbranch_execz .LBB410_19
; %bb.18:
	v_add_co_u32 v10, s5, s2, v18
	s_wait_alu 0xf1ff
	v_add_co_ci_u32_e64 v11, null, s3, 0, s5
	s_wait_loadcnt_dscnt 0x0
	flat_load_d16_hi_b16 v4, v[10:11] offset:5376
.LBB410_19:
	s_wait_alu 0xfffe
	s_or_b32 exec_lo, exec_lo, s4
	v_or_b32_e32 v10, 0xc00, v0
	s_mov_b32 s4, exec_lo
	s_delay_alu instid0(VALU_DEP_1)
	v_cmpx_gt_u32_e64 s27, v10
	s_cbranch_execz .LBB410_21
; %bb.20:
	v_add_co_u32 v10, s5, s2, v18
	s_wait_alu 0xf1ff
	v_add_co_ci_u32_e64 v11, null, s3, 0, s5
	flat_load_d16_b16 v5, v[10:11] offset:6144
.LBB410_21:
	s_wait_alu 0xfffe
	s_or_b32 exec_lo, exec_lo, s4
	v_add_nc_u32_e32 v10, 0xd80, v0
	s_mov_b32 s4, exec_lo
	s_delay_alu instid0(VALU_DEP_1)
	v_cmpx_gt_u32_e64 s27, v10
	s_cbranch_execz .LBB410_23
; %bb.22:
	v_add_co_u32 v10, s5, s2, v18
	s_wait_alu 0xf1ff
	v_add_co_ci_u32_e64 v11, null, s3, 0, s5
	s_wait_loadcnt_dscnt 0x0
	flat_load_d16_hi_b16 v5, v[10:11] offset:6912
.LBB410_23:
	;; [unrolled: 54-line block ×4, first 2 shown]
	s_wait_alu 0xfffe
	s_or_b32 exec_lo, exec_lo, s4
	s_wait_loadcnt_dscnt 0x0
	ds_store_b16 v18, v1
	ds_store_b16_d16_hi v18, v1 offset:768
	ds_store_b16 v18, v2 offset:1536
	ds_store_b16_d16_hi v18, v2 offset:2304
	ds_store_b16 v18, v3 offset:3072
	;; [unrolled: 2-line block ×8, first 2 shown]
	ds_store_b16_d16_hi v18, v9 offset:13056
	s_wait_dscnt 0x0
	s_barrier_signal -1
	s_barrier_wait -1
.LBB410_40:
	v_mul_u32_u24_e32 v5, 18, v0
	s_wait_loadcnt 0x0
	global_inv scope:SCOPE_SE
	s_and_not1_b32 vcc_lo, exec_lo, s25
	v_lshlrev_b32_e32 v6, 1, v5
	ds_load_u16 v51, v6 offset:4
	ds_load_u16 v50, v6 offset:34
	ds_load_b32 v52, v6
	ds_load_b128 v[1:4], v6 offset:6
	ds_load_b96 v[13:15], v6 offset:22
	s_wait_loadcnt_dscnt 0x0
	s_barrier_signal -1
	s_barrier_wait -1
	global_inv scope:SCOPE_SE
	v_cmp_ne_u16_e64 s2, v51, v17
	v_cmp_ne_u16_e64 s26, v50, v17
	;; [unrolled: 1-line block ×3, first 2 shown]
	v_lshrrev_b32_e32 v16, 16, v52
	v_cmp_ne_u16_e64 s8, v1, v17
	v_lshrrev_b32_e32 v12, 16, v1
	v_cmp_ne_u16_e64 s10, v2, v17
	;; [unrolled: 2-line block ×7, first 2 shown]
	v_lshrrev_b32_e32 v6, 16, v15
	s_cbranch_vccnz .LBB410_42
; %bb.41:
	v_cmp_ne_u16_e32 vcc_lo, v16, v17
	v_cndmask_b32_e64 v20, 0, 1, s8
	s_wait_alu 0xf1ff
	v_cndmask_b32_e64 v19, 0, 1, s10
	v_cndmask_b32_e64 v26, 0, 1, s3
	;; [unrolled: 1-line block ×3, first 2 shown]
	v_cndmask_b32_e64 v18, 0, 1, vcc_lo
	v_lshlrev_b16 v20, 8, v20
	v_cmp_ne_u16_e32 vcc_lo, v12, v17
	v_lshlrev_b16 v19, 8, v19
	v_cndmask_b32_e64 v22, 0, 1, s7
	v_lshlrev_b16 v18, 8, v18
	v_lshrrev_b32_e32 v20, 8, v20
	s_wait_alu 0xfffd
	v_cndmask_b32_e64 v28, 0, 1, vcc_lo
	v_cmp_ne_u16_e32 vcc_lo, v11, v17
	v_lshrrev_b32_e32 v19, 8, v19
	v_lshrrev_b32_e32 v18, 8, v18
	v_lshlrev_b16 v20, 8, v20
	v_cndmask_b32_e64 v23, 0, 1, s6
	v_cndmask_b32_e64 v24, 0, 1, s4
	v_lshlrev_b16 v19, 8, v19
	v_lshlrev_b16 v18, 8, v18
	v_or_b32_e32 v20, v27, v20
	v_lshlrev_b16 v22, 8, v22
	v_lshlrev_b16 v23, 8, v23
	;; [unrolled: 1-line block ×3, first 2 shown]
	v_or_b32_e32 v18, v26, v18
	s_wait_alu 0xfffd
	v_cndmask_b32_e64 v26, 0, 1, vcc_lo
	v_cmp_ne_u16_e32 vcc_lo, v10, v17
	v_or_b32_e32 v19, v28, v19
	v_cndmask_b32_e64 v21, 0, 1, s9
	v_cndmask_b32_e64 v25, 0, 1, s5
	v_lshrrev_b32_e32 v24, 8, v24
	s_wait_alu 0xfffd
	v_cndmask_b32_e64 v27, 0, 1, vcc_lo
	v_cmp_ne_u16_e32 vcc_lo, v9, v17
	v_lshrrev_b32_e32 v22, 8, v22
	v_lshrrev_b32_e32 v23, 8, v23
	v_lshlrev_b16 v21, 8, v21
	v_lshlrev_b16 v25, 8, v25
	s_wait_alu 0xfffd
	v_cndmask_b32_e64 v28, 0, 1, vcc_lo
	v_cmp_ne_u16_e32 vcc_lo, v8, v17
	v_lshlrev_b16 v22, 8, v22
	v_lshlrev_b16 v23, 8, v23
	;; [unrolled: 1-line block ×3, first 2 shown]
	v_or_b32_e32 v21, v26, v21
	s_wait_alu 0xfffd
	v_cndmask_b32_e64 v29, 0, 1, vcc_lo
	v_cmp_ne_u16_e32 vcc_lo, v7, v17
	v_or_b32_e32 v22, v27, v22
	v_or_b32_e32 v23, v28, v23
	v_and_b32_e32 v18, 0xffff, v18
	v_or_b32_e32 v24, v29, v24
	s_wait_alu 0xfffd
	v_cndmask_b32_e64 v30, 0, 1, vcc_lo
	v_lshlrev_b32_e32 v20, 16, v20
	v_and_b32_e32 v19, 0xffff, v19
	v_lshlrev_b32_e32 v21, 16, v21
	v_and_b32_e32 v22, 0xffff, v22
	v_or_b32_e32 v25, v30, v25
	v_lshlrev_b32_e32 v23, 16, v23
	v_and_b32_e32 v24, 0xffff, v24
	v_cmp_ne_u16_e32 vcc_lo, v6, v17
	v_or_b32_e32 v48, v18, v20
	v_lshlrev_b32_e32 v25, 16, v25
	v_or_b32_e32 v57, v19, v21
	v_or_b32_e32 v55, v22, v23
	s_wait_alu 0xfffd
	v_cndmask_b32_e64 v53, 0, 1, vcc_lo
	v_or_b32_e32 v54, v24, v25
	s_cbranch_execz .LBB410_43
	s_branch .LBB410_44
.LBB410_42:
                                        ; implicit-def: $sgpr26
                                        ; implicit-def: $vgpr53
                                        ; implicit-def: $vgpr54
                                        ; implicit-def: $vgpr55
                                        ; implicit-def: $vgpr57
                                        ; implicit-def: $vgpr48
.LBB410_43:
	v_or_b32_e32 v18, 1, v5
	v_cmp_ne_u16_e32 vcc_lo, v16, v17
	v_add_nc_u32_e32 v19, 3, v5
	v_add_nc_u32_e32 v16, 2, v5
	v_cmp_ne_u16_e64 s9, v2, v17
	v_cmp_gt_u32_e64 s4, s27, v18
	v_add_nc_u32_e32 v18, 4, v5
	v_cmp_gt_u32_e64 s7, s27, v19
	v_cmp_gt_u32_e64 s6, s27, v16
	v_add_nc_u32_e32 v16, 7, v5
	s_and_b32 s4, s4, vcc_lo
	v_cmp_ne_u16_e32 vcc_lo, v1, v17
	v_cmp_gt_u32_e64 s8, s27, v18
	v_add_nc_u32_e32 v18, 5, v5
	s_wait_alu 0xfffe
	v_cndmask_b32_e64 v20, 0, 1, s4
	v_cmp_ne_u16_e64 s4, v12, v17
	s_and_b32 s7, s7, vcc_lo
	v_cmp_ne_u16_e32 vcc_lo, v3, v17
	s_wait_alu 0xfffe
	v_cndmask_b32_e64 v19, 0, 1, s7
	v_cmp_gt_u32_e64 s7, s27, v16
	v_cmp_gt_u32_e64 s10, s27, v18
	v_lshlrev_b16 v12, 8, v20
	v_add_nc_u32_e32 v18, 6, v5
	v_lshlrev_b16 v16, 8, v19
	s_and_b32 s7, s7, vcc_lo
	v_cmp_ne_u16_e32 vcc_lo, v11, v17
	s_wait_alu 0xfffe
	v_cndmask_b32_e64 v19, 0, 1, s7
	s_and_b32 s7, s10, s9
	v_add_nc_u32_e32 v11, 8, v5
	s_wait_alu 0xfffe
	v_cndmask_b32_e64 v20, 0, 1, s7
	v_cmp_gt_u32_e64 s7, s27, v18
	v_lshlrev_b16 v18, 8, v19
	v_cmp_ne_u16_e64 s9, v10, v17
	v_cmp_gt_u32_e64 s10, s27, v11
	v_lshlrev_b16 v19, 8, v20
	v_add_nc_u32_e32 v10, 9, v5
	v_lshrrev_b32_e32 v11, 8, v18
	v_cmp_ne_u16_e64 s11, v4, v17
	v_cmp_ne_u16_e64 s14, v13, v17
	v_lshrrev_b32_e32 v18, 8, v19
	v_add_nc_u32_e32 v19, 11, v5
	v_cmp_gt_u32_e64 s12, s27, v10
	v_add_nc_u32_e32 v10, 10, v5
	v_cmp_ne_u16_e64 s13, v9, v17
	v_cmp_ne_u16_e64 s17, v15, v17
	v_cmp_gt_u32_e64 s15, s27, v19
	s_and_b32 s11, s12, s11
	v_cmp_ne_u16_e64 s2, v52, v17
	s_wait_alu 0xfffe
	v_cndmask_b32_e64 v9, 0, 1, s11
	v_cmp_gt_u32_e64 s11, s27, v10
	s_and_b32 s12, s15, s14
	v_add_nc_u32_e32 v10, 12, v5
	v_cndmask_b32_e64 v19, 0, 1, s12
	v_cmp_ne_u16_e64 s12, v8, v17
	v_add_nc_u32_e32 v8, 13, v5
	v_cmp_ne_u16_e64 s15, v14, v17
	v_cmp_gt_u32_e64 s14, s27, v10
	v_lshlrev_b16 v10, 8, v19
	v_add_nc_u32_e32 v19, 15, v5
	v_cmp_gt_u32_e64 s16, s27, v8
	v_cmp_gt_u32_e64 s3, s27, v5
	v_cmp_ne_u16_e64 s5, v51, v17
	v_cmp_ne_u16_e64 s19, v7, v17
	v_cmp_gt_u32_e64 s18, s27, v19
	s_and_b32 s15, s16, s15
	v_add_nc_u32_e32 v7, 16, v5
	v_cndmask_b32_e64 v8, 0, 1, s15
	s_and_b32 s2, s3, s2
	s_and_b32 s15, s18, s17
	v_add_nc_u32_e32 v20, 14, v5
	s_wait_alu 0xfffe
	v_cndmask_b32_e64 v19, 0, 1, s15
	v_cmp_ne_u16_e64 s15, v6, v17
	v_lshlrev_b16 v6, 8, v8
	v_lshrrev_b32_e32 v8, 8, v12
	v_lshrrev_b32_e32 v12, 8, v16
	v_cndmask_b32_e64 v16, 0, 1, s2
	s_and_b32 s2, s6, s5
	v_cmp_gt_u32_e64 s16, s27, v7
	v_lshlrev_b16 v7, 8, v19
	s_wait_alu 0xfffe
	v_cndmask_b32_e64 v19, 0, 1, s2
	s_and_b32 s2, s8, s4
	v_cmp_gt_u32_e64 s17, s27, v20
	v_lshlrev_b16 v8, 8, v8
	v_lshlrev_b16 v12, 8, v12
	;; [unrolled: 1-line block ×3, first 2 shown]
	s_wait_alu 0xfffe
	v_cndmask_b32_e64 v20, 0, 1, s2
	v_add_nc_u32_e32 v5, 17, v5
	v_or_b32_e32 v8, v16, v8
	v_or_b32_e32 v12, v19, v12
	v_lshlrev_b16 v9, 8, v9
	v_or_b32_e32 v16, v20, v18
	s_and_b32 s4, s7, vcc_lo
	v_cmp_gt_u32_e64 s2, s27, v5
	v_and_b32_e32 v5, 0xffff, v8
	v_lshlrev_b32_e32 v8, 16, v12
	v_and_b32_e32 v12, 0xffff, v16
	s_wait_alu 0xfffe
	v_cndmask_b32_e64 v16, 0, 1, s4
	s_and_b32 s4, s10, s9
	v_cmp_ne_u16_e64 s3, v50, v17
	s_wait_alu 0xfffe
	v_cndmask_b32_e64 v17, 0, 1, s4
	s_and_b32 s4, s11, s13
	v_lshrrev_b32_e32 v7, 8, v7
	v_lshrrev_b32_e32 v6, 8, v6
	;; [unrolled: 1-line block ×4, first 2 shown]
	s_wait_alu 0xfffe
	v_cndmask_b32_e64 v18, 0, 1, s4
	s_and_b32 s4, s14, s12
	v_lshlrev_b16 v11, 8, v11
	s_wait_alu 0xfffe
	v_cndmask_b32_e64 v19, 0, 1, s4
	s_and_b32 s4, s17, s19
	v_lshlrev_b16 v9, 8, v9
	v_lshlrev_b16 v10, 8, v10
	;; [unrolled: 1-line block ×4, first 2 shown]
	s_wait_alu 0xfffe
	v_cndmask_b32_e64 v20, 0, 1, s4
	v_or_b32_e32 v11, v16, v11
	v_or_b32_e32 v9, v17, v9
	;; [unrolled: 1-line block ×5, first 2 shown]
	v_lshlrev_b32_e32 v11, 16, v11
	v_and_b32_e32 v9, 0xffff, v9
	v_lshlrev_b32_e32 v10, 16, v10
	v_and_b32_e32 v6, 0xffff, v6
	v_lshlrev_b32_e32 v7, 16, v7
	s_and_b32 s15, s16, s15
	s_and_b32 s2, s2, s3
	s_wait_alu 0xfffe
	v_cndmask_b32_e64 v53, 0, 1, s15
	v_or_b32_e32 v48, v5, v8
	v_or_b32_e32 v57, v12, v11
	;; [unrolled: 1-line block ×4, first 2 shown]
	s_and_not1_b32 s3, s26, exec_lo
	s_and_b32 s2, s2, exec_lo
	s_wait_alu 0xfffe
	s_or_b32 s26, s3, s2
.LBB410_44:
	v_dual_mov_b32 v6, 0 :: v_dual_and_b32 v25, 0xff, v48
	v_bfe_u32 v24, v48, 8, 8
	s_wait_alu 0xfffe
	v_cndmask_b32_e64 v5, 0, 1, s26
	v_bfe_u32 v31, v48, 16, 8
	v_lshrrev_b32_e32 v60, 24, v48
	v_and_b32_e32 v30, 0xff, v57
	v_bfe_u32 v29, v57, 8, 8
	v_add3_u32 v5, v25, v5, v24
	v_bfe_u32 v28, v57, 16, 8
	v_lshrrev_b32_e32 v59, 24, v57
	v_and_b32_e32 v27, 0xff, v55
	v_bfe_u32 v26, v55, 8, 8
	v_add_co_u32 v5, s2, v5, v31
	s_wait_alu 0xf1ff
	v_add_co_ci_u32_e64 v7, null, 0, 0, s2
	v_bfe_u32 v64, v55, 16, 8
	s_delay_alu instid0(VALU_DEP_3) | instskip(SKIP_1) | instid1(VALU_DEP_3)
	v_add_co_u32 v5, vcc_lo, v5, v60
	s_wait_alu 0xfffd
	v_add_co_ci_u32_e64 v7, null, 0, v7, vcc_lo
	v_lshrrev_b32_e32 v58, 24, v55
	s_delay_alu instid0(VALU_DEP_3) | instskip(SKIP_1) | instid1(VALU_DEP_3)
	v_add_co_u32 v5, vcc_lo, v5, v30
	s_wait_alu 0xfffd
	v_add_co_ci_u32_e64 v7, null, 0, v7, vcc_lo
	v_and_b32_e32 v63, 0xff, v54
	s_delay_alu instid0(VALU_DEP_3) | instskip(SKIP_1) | instid1(VALU_DEP_3)
	v_add_co_u32 v5, vcc_lo, v5, v29
	s_wait_alu 0xfffd
	v_add_co_ci_u32_e64 v7, null, 0, v7, vcc_lo
	v_bfe_u32 v62, v54, 8, 8
	s_delay_alu instid0(VALU_DEP_3) | instskip(SKIP_1) | instid1(VALU_DEP_3)
	v_add_co_u32 v5, vcc_lo, v5, v28
	s_wait_alu 0xfffd
	v_add_co_ci_u32_e64 v7, null, 0, v7, vcc_lo
	v_bfe_u32 v61, v54, 16, 8
	s_delay_alu instid0(VALU_DEP_3) | instskip(SKIP_1) | instid1(VALU_DEP_3)
	v_add_co_u32 v5, vcc_lo, v5, v59
	s_wait_alu 0xfffd
	v_add_co_ci_u32_e64 v7, null, 0, v7, vcc_lo
	s_load_b64 s[6:7], s[0:1], 0x60
	v_add_co_u32 v5, vcc_lo, v5, v27
	s_wait_alu 0xfffd
	v_add_co_ci_u32_e64 v7, null, 0, v7, vcc_lo
	v_lshrrev_b32_e32 v56, 24, v54
	s_delay_alu instid0(VALU_DEP_3) | instskip(SKIP_1) | instid1(VALU_DEP_3)
	v_add_co_u32 v5, vcc_lo, v5, v26
	s_wait_alu 0xfffd
	v_add_co_ci_u32_e64 v7, null, 0, v7, vcc_lo
	v_mbcnt_lo_u32_b32 v32, -1, 0
	s_delay_alu instid0(VALU_DEP_3) | instskip(SKIP_1) | instid1(VALU_DEP_3)
	v_add_co_u32 v5, vcc_lo, v5, v64
	s_wait_alu 0xfffd
	v_add_co_ci_u32_e64 v7, null, 0, v7, vcc_lo
	v_and_b32_e32 v49, 0xff, v53
	s_delay_alu instid0(VALU_DEP_3) | instskip(SKIP_1) | instid1(VALU_DEP_3)
	v_add_co_u32 v5, vcc_lo, v5, v58
	s_wait_alu 0xfffd
	v_add_co_ci_u32_e64 v7, null, 0, v7, vcc_lo
	v_and_b32_e32 v33, 15, v32
	s_delay_alu instid0(VALU_DEP_3) | instskip(SKIP_1) | instid1(VALU_DEP_3)
	v_add_co_u32 v5, vcc_lo, v5, v63
	s_wait_alu 0xfffd
	v_add_co_ci_u32_e64 v7, null, 0, v7, vcc_lo
	s_delay_alu instid0(VALU_DEP_3) | instskip(NEXT) | instid1(VALU_DEP_3)
	v_cmp_ne_u32_e64 s2, 0, v33
	v_add_co_u32 v5, vcc_lo, v5, v62
	s_wait_alu 0xfffd
	s_delay_alu instid0(VALU_DEP_3)
	v_add_co_ci_u32_e64 v7, null, 0, v7, vcc_lo
	s_cmp_lg_u32 ttmp9, 0
	v_add_co_u32 v5, vcc_lo, v5, v61
	s_wait_alu 0xfffd
	v_add_co_ci_u32_e64 v7, null, 0, v7, vcc_lo
	s_mov_b32 s3, -1
	v_add_co_u32 v5, vcc_lo, v5, v56
	s_wait_alu 0xfffd
	v_add_co_ci_u32_e64 v7, null, 0, v7, vcc_lo
	s_delay_alu instid0(VALU_DEP_2) | instskip(SKIP_1) | instid1(VALU_DEP_2)
	v_add_co_u32 v16, vcc_lo, v5, v49
	s_wait_alu 0xfffd
	v_add_co_ci_u32_e64 v17, null, 0, v7, vcc_lo
	s_cbranch_scc0 .LBB410_103
; %bb.45:
	v_mov_b32_e32 v7, v16
	v_mov_b32_dpp v5, v16 row_shr:1 row_mask:0xf bank_mask:0xf
	v_mov_b32_dpp v10, v6 row_shr:1 row_mask:0xf bank_mask:0xf
	v_dual_mov_b32 v9, v16 :: v_dual_mov_b32 v8, v17
	s_and_saveexec_b32 s3, s2
; %bb.46:
	s_delay_alu instid0(VALU_DEP_3) | instskip(SKIP_2) | instid1(VALU_DEP_2)
	v_add_co_u32 v9, vcc_lo, v16, v5
	s_wait_alu 0xfffd
	v_add_co_ci_u32_e64 v6, null, 0, v17, vcc_lo
	v_add_co_u32 v5, vcc_lo, 0, v9
	s_wait_alu 0xfffd
	s_delay_alu instid0(VALU_DEP_2) | instskip(NEXT) | instid1(VALU_DEP_1)
	v_add_co_ci_u32_e64 v6, null, v10, v6, vcc_lo
	v_dual_mov_b32 v8, v6 :: v_dual_mov_b32 v7, v5
; %bb.47:
	s_wait_alu 0xfffe
	s_or_b32 exec_lo, exec_lo, s3
	v_mov_b32_dpp v5, v9 row_shr:2 row_mask:0xf bank_mask:0xf
	v_mov_b32_dpp v10, v6 row_shr:2 row_mask:0xf bank_mask:0xf
	v_cmp_lt_u32_e32 vcc_lo, 1, v33
	s_and_saveexec_b32 s4, vcc_lo
; %bb.48:
	s_delay_alu instid0(VALU_DEP_3) | instskip(SKIP_2) | instid1(VALU_DEP_2)
	v_add_co_u32 v9, s3, v7, v5
	s_wait_alu 0xf1ff
	v_add_co_ci_u32_e64 v6, null, 0, v8, s3
	v_add_co_u32 v5, s3, 0, v9
	s_wait_alu 0xf1ff
	s_delay_alu instid0(VALU_DEP_2) | instskip(NEXT) | instid1(VALU_DEP_1)
	v_add_co_ci_u32_e64 v6, null, v10, v6, s3
	v_dual_mov_b32 v8, v6 :: v_dual_mov_b32 v7, v5
; %bb.49:
	s_wait_alu 0xfffe
	s_or_b32 exec_lo, exec_lo, s4
	v_mov_b32_dpp v5, v9 row_shr:4 row_mask:0xf bank_mask:0xf
	v_mov_b32_dpp v10, v6 row_shr:4 row_mask:0xf bank_mask:0xf
	v_cmp_lt_u32_e64 s3, 3, v33
	s_and_saveexec_b32 s5, s3
; %bb.50:
	v_add_co_u32 v9, s4, v7, v5
	s_wait_alu 0xf1ff
	v_add_co_ci_u32_e64 v6, null, 0, v8, s4
	s_delay_alu instid0(VALU_DEP_2) | instskip(SKIP_1) | instid1(VALU_DEP_2)
	v_add_co_u32 v5, s4, 0, v9
	s_wait_alu 0xf1ff
	v_add_co_ci_u32_e64 v6, null, v10, v6, s4
	s_delay_alu instid0(VALU_DEP_1)
	v_dual_mov_b32 v8, v6 :: v_dual_mov_b32 v7, v5
; %bb.51:
	s_wait_alu 0xfffe
	s_or_b32 exec_lo, exec_lo, s5
	v_mov_b32_dpp v10, v9 row_shr:8 row_mask:0xf bank_mask:0xf
	v_mov_b32_dpp v5, v6 row_shr:8 row_mask:0xf bank_mask:0xf
	v_cmp_lt_u32_e64 s4, 7, v33
	s_and_saveexec_b32 s8, s4
; %bb.52:
	v_add_co_u32 v9, s5, v7, v10
	s_wait_alu 0xf1ff
	v_add_co_ci_u32_e64 v6, null, 0, v8, s5
	s_delay_alu instid0(VALU_DEP_2) | instskip(SKIP_1) | instid1(VALU_DEP_2)
	v_add_co_u32 v7, s5, 0, v9
	s_wait_alu 0xf1ff
	v_add_co_ci_u32_e64 v8, null, v5, v6, s5
	s_delay_alu instid0(VALU_DEP_1)
	v_mov_b32_e32 v6, v8
; %bb.53:
	s_wait_alu 0xfffe
	s_or_b32 exec_lo, exec_lo, s8
	ds_swizzle_b32 v5, v9 offset:swizzle(BROADCAST,32,15)
	ds_swizzle_b32 v10, v6 offset:swizzle(BROADCAST,32,15)
	v_and_b32_e32 v11, 16, v32
	s_mov_b32 s8, exec_lo
	s_delay_alu instid0(VALU_DEP_1)
	v_cmpx_ne_u32_e32 0, v11
	s_cbranch_execz .LBB410_55
; %bb.54:
	s_wait_dscnt 0x1
	v_add_co_u32 v9, s5, v7, v5
	s_wait_alu 0xf1ff
	v_add_co_ci_u32_e64 v6, null, 0, v8, s5
	s_delay_alu instid0(VALU_DEP_2) | instskip(SKIP_2) | instid1(VALU_DEP_2)
	v_add_co_u32 v5, s5, 0, v9
	s_wait_dscnt 0x0
	s_wait_alu 0xf1ff
	v_add_co_ci_u32_e64 v6, null, v10, v6, s5
	s_delay_alu instid0(VALU_DEP_1)
	v_dual_mov_b32 v8, v6 :: v_dual_mov_b32 v7, v5
.LBB410_55:
	s_wait_alu 0xfffe
	s_or_b32 exec_lo, exec_lo, s8
	s_wait_dscnt 0x1
	v_and_b32_e32 v5, 0x1e0, v0
	s_mov_b32 s8, exec_lo
	s_delay_alu instid0(VALU_DEP_1) | instskip(SKIP_1) | instid1(VALU_DEP_1)
	v_min_u32_e32 v5, 0x160, v5
	s_wait_dscnt 0x0
	v_or_b32_e32 v10, 31, v5
	v_lshrrev_b32_e32 v5, 5, v0
	s_delay_alu instid0(VALU_DEP_2)
	v_cmpx_eq_u32_e64 v0, v10
; %bb.56:
	s_delay_alu instid0(VALU_DEP_2)
	v_lshlrev_b32_e32 v10, 3, v5
	ds_store_b64 v10, v[7:8]
; %bb.57:
	s_wait_alu 0xfffe
	s_or_b32 exec_lo, exec_lo, s8
	s_delay_alu instid0(SALU_CYCLE_1)
	s_mov_b32 s8, exec_lo
	s_wait_loadcnt_dscnt 0x0
	s_barrier_signal -1
	s_barrier_wait -1
	global_inv scope:SCOPE_SE
	v_cmpx_gt_u32_e32 12, v0
	s_cbranch_execz .LBB410_67
; %bb.58:
	v_lshlrev_b32_e32 v10, 3, v0
	ds_load_b64 v[7:8], v10
	s_wait_dscnt 0x0
	v_mov_b32_dpp v18, v7 row_shr:1 row_mask:0xf bank_mask:0xf
	v_mov_b32_dpp v12, v8 row_shr:1 row_mask:0xf bank_mask:0xf
	v_mov_b32_e32 v11, v7
	s_and_saveexec_b32 s9, s2
; %bb.59:
	s_delay_alu instid0(VALU_DEP_3) | instskip(SKIP_2) | instid1(VALU_DEP_2)
	v_add_co_u32 v11, s5, v7, v18
	s_wait_alu 0xf1ff
	v_add_co_ci_u32_e64 v8, null, 0, v8, s5
	v_add_co_u32 v7, s5, 0, v11
	s_wait_alu 0xf1ff
	s_delay_alu instid0(VALU_DEP_2)
	v_add_co_ci_u32_e64 v8, null, v12, v8, s5
; %bb.60:
	s_wait_alu 0xfffe
	s_or_b32 exec_lo, exec_lo, s9
	v_mov_b32_dpp v18, v11 row_shr:2 row_mask:0xf bank_mask:0xf
	s_delay_alu instid0(VALU_DEP_2)
	v_mov_b32_dpp v12, v8 row_shr:2 row_mask:0xf bank_mask:0xf
	s_and_saveexec_b32 s5, vcc_lo
; %bb.61:
	s_delay_alu instid0(VALU_DEP_2) | instskip(SKIP_2) | instid1(VALU_DEP_2)
	v_add_co_u32 v11, vcc_lo, v7, v18
	s_wait_alu 0xfffd
	v_add_co_ci_u32_e64 v8, null, 0, v8, vcc_lo
	v_add_co_u32 v7, vcc_lo, 0, v11
	s_wait_alu 0xfffd
	s_delay_alu instid0(VALU_DEP_2)
	v_add_co_ci_u32_e64 v8, null, v12, v8, vcc_lo
; %bb.62:
	s_wait_alu 0xfffe
	s_or_b32 exec_lo, exec_lo, s5
	v_mov_b32_dpp v18, v11 row_shr:4 row_mask:0xf bank_mask:0xf
	s_delay_alu instid0(VALU_DEP_2)
	v_mov_b32_dpp v12, v8 row_shr:4 row_mask:0xf bank_mask:0xf
	s_and_saveexec_b32 s5, s3
; %bb.63:
	s_delay_alu instid0(VALU_DEP_2) | instskip(SKIP_2) | instid1(VALU_DEP_2)
	v_add_co_u32 v11, vcc_lo, v7, v18
	s_wait_alu 0xfffd
	v_add_co_ci_u32_e64 v8, null, 0, v8, vcc_lo
	v_add_co_u32 v7, vcc_lo, 0, v11
	s_wait_alu 0xfffd
	s_delay_alu instid0(VALU_DEP_2)
	v_add_co_ci_u32_e64 v8, null, v12, v8, vcc_lo
; %bb.64:
	s_wait_alu 0xfffe
	s_or_b32 exec_lo, exec_lo, s5
	v_mov_b32_dpp v12, v11 row_shr:8 row_mask:0xf bank_mask:0xf
	s_delay_alu instid0(VALU_DEP_2)
	v_mov_b32_dpp v11, v8 row_shr:8 row_mask:0xf bank_mask:0xf
	s_and_saveexec_b32 s3, s4
; %bb.65:
	s_delay_alu instid0(VALU_DEP_2) | instskip(SKIP_2) | instid1(VALU_DEP_2)
	v_add_co_u32 v7, vcc_lo, v7, v12
	s_wait_alu 0xfffd
	v_add_co_ci_u32_e64 v8, null, 0, v8, vcc_lo
	v_add_co_u32 v7, vcc_lo, v7, 0
	s_wait_alu 0xfffd
	s_delay_alu instid0(VALU_DEP_2)
	v_add_co_ci_u32_e64 v8, null, v8, v11, vcc_lo
; %bb.66:
	s_wait_alu 0xfffe
	s_or_b32 exec_lo, exec_lo, s3
	ds_store_b64 v10, v[7:8]
.LBB410_67:
	s_wait_alu 0xfffe
	s_or_b32 exec_lo, exec_lo, s8
	s_delay_alu instid0(SALU_CYCLE_1)
	s_mov_b32 s4, exec_lo
	v_cmp_gt_u32_e32 vcc_lo, 32, v0
	s_wait_loadcnt_dscnt 0x0
	s_barrier_signal -1
	s_barrier_wait -1
	global_inv scope:SCOPE_SE
                                        ; implicit-def: $vgpr18_vgpr19
	v_cmpx_lt_u32_e32 31, v0
	s_cbranch_execz .LBB410_69
; %bb.68:
	v_lshl_add_u32 v5, v5, 3, -8
	ds_load_b64 v[18:19], v5
	s_wait_dscnt 0x0
	v_add_co_u32 v9, s3, v9, v18
	s_wait_alu 0xf1ff
	v_add_co_ci_u32_e64 v6, null, v6, v19, s3
.LBB410_69:
	s_wait_alu 0xfffe
	s_or_b32 exec_lo, exec_lo, s4
	v_sub_co_u32 v5, s3, v32, 1
	s_delay_alu instid0(VALU_DEP_1) | instskip(SKIP_1) | instid1(VALU_DEP_1)
	v_cmp_gt_i32_e64 s4, 0, v5
	s_wait_alu 0xf1ff
	v_cndmask_b32_e64 v5, v5, v32, s4
	s_delay_alu instid0(VALU_DEP_1)
	v_lshlrev_b32_e32 v5, 2, v5
	ds_bpermute_b32 v34, v5, v9
	ds_bpermute_b32 v35, v5, v6
	s_and_saveexec_b32 s4, vcc_lo
	s_cbranch_execz .LBB410_108
; %bb.70:
	v_mov_b32_e32 v8, 0
	ds_load_b64 v[5:6], v8 offset:88
	s_and_saveexec_b32 s5, s3
	s_cbranch_execz .LBB410_72
; %bb.71:
	s_add_co_i32 s8, ttmp9, 32
	s_mov_b32 s9, 0
	s_wait_alu 0xfffe
	s_lshl_b64 s[8:9], s[8:9], 4
	s_wait_kmcnt 0x0
	s_wait_alu 0xfffe
	s_add_nc_u64 s[8:9], s[6:7], s[8:9]
	s_wait_alu 0xfffe
	v_dual_mov_b32 v7, 1 :: v_dual_mov_b32 v10, s9
	v_mov_b32_e32 v9, s8
	s_wait_dscnt 0x0
	;;#ASMSTART
	global_store_b128 v[9:10], v[5:8] off scope:SCOPE_DEV	
s_wait_storecnt 0x0
	;;#ASMEND
.LBB410_72:
	s_wait_alu 0xfffe
	s_or_b32 exec_lo, exec_lo, s5
	v_xad_u32 v20, v32, -1, ttmp9
	s_mov_b32 s8, 0
	s_mov_b32 s5, exec_lo
	s_delay_alu instid0(VALU_DEP_1) | instskip(NEXT) | instid1(VALU_DEP_1)
	v_add_nc_u32_e32 v7, 32, v20
	v_lshlrev_b64_e32 v[7:8], 4, v[7:8]
	s_wait_kmcnt 0x0
	s_delay_alu instid0(VALU_DEP_1) | instskip(SKIP_1) | instid1(VALU_DEP_2)
	v_add_co_u32 v7, vcc_lo, s6, v7
	s_wait_alu 0xfffd
	v_add_co_ci_u32_e64 v8, null, s7, v8, vcc_lo
	;;#ASMSTART
	global_load_b128 v[9:12], v[7:8] off scope:SCOPE_DEV	
s_wait_loadcnt 0x0
	;;#ASMEND
	v_and_b32_e32 v12, 0xff, v11
	s_delay_alu instid0(VALU_DEP_1)
	v_cmpx_eq_u16_e32 0, v12
	s_cbranch_execz .LBB410_75
.LBB410_73:                             ; =>This Inner Loop Header: Depth=1
	;;#ASMSTART
	global_load_b128 v[9:12], v[7:8] off scope:SCOPE_DEV	
s_wait_loadcnt 0x0
	;;#ASMEND
	v_and_b32_e32 v12, 0xff, v11
	s_delay_alu instid0(VALU_DEP_1)
	v_cmp_ne_u16_e32 vcc_lo, 0, v12
	s_wait_alu 0xfffe
	s_or_b32 s8, vcc_lo, s8
	s_wait_alu 0xfffe
	s_and_not1_b32 exec_lo, exec_lo, s8
	s_cbranch_execnz .LBB410_73
; %bb.74:
	s_or_b32 exec_lo, exec_lo, s8
.LBB410_75:
	s_wait_alu 0xfffe
	s_or_b32 exec_lo, exec_lo, s5
	v_cmp_ne_u32_e32 vcc_lo, 31, v32
	v_and_b32_e32 v8, 0xff, v11
	v_lshlrev_b32_e64 v37, v32, -1
	s_mov_b32 s5, exec_lo
	s_wait_alu 0xfffd
	v_add_co_ci_u32_e64 v7, null, 0, v32, vcc_lo
	v_cmp_eq_u16_e32 vcc_lo, 2, v8
	v_mov_b32_e32 v8, v9
	s_delay_alu instid0(VALU_DEP_3)
	v_lshlrev_b32_e32 v36, 2, v7
	s_wait_alu 0xfffd
	v_and_or_b32 v7, vcc_lo, v37, 0x80000000
	ds_bpermute_b32 v21, v36, v9
	ds_bpermute_b32 v12, v36, v10
	v_ctz_i32_b32_e32 v7, v7
	s_delay_alu instid0(VALU_DEP_1)
	v_cmpx_lt_u32_e64 v32, v7
	s_cbranch_execz .LBB410_77
; %bb.76:
	s_wait_dscnt 0x1
	v_add_co_u32 v8, vcc_lo, v9, v21
	s_wait_alu 0xfffd
	v_add_co_ci_u32_e64 v10, null, 0, v10, vcc_lo
	s_delay_alu instid0(VALU_DEP_2) | instskip(SKIP_2) | instid1(VALU_DEP_2)
	v_add_co_u32 v9, vcc_lo, 0, v8
	s_wait_dscnt 0x0
	s_wait_alu 0xfffd
	v_add_co_ci_u32_e64 v10, null, v12, v10, vcc_lo
.LBB410_77:
	s_wait_alu 0xfffe
	s_or_b32 exec_lo, exec_lo, s5
	v_cmp_gt_u32_e32 vcc_lo, 30, v32
	v_add_nc_u32_e32 v39, 2, v32
	s_mov_b32 s5, exec_lo
	s_wait_dscnt 0x0
	s_wait_alu 0xfffd
	v_cndmask_b32_e64 v12, 0, 2, vcc_lo
	s_delay_alu instid0(VALU_DEP_1)
	v_add_lshl_u32 v38, v12, v32, 2
	ds_bpermute_b32 v21, v38, v8
	ds_bpermute_b32 v12, v38, v10
	v_cmpx_le_u32_e64 v39, v7
	s_cbranch_execz .LBB410_79
; %bb.78:
	s_wait_dscnt 0x1
	v_add_co_u32 v8, vcc_lo, v9, v21
	s_wait_alu 0xfffd
	v_add_co_ci_u32_e64 v10, null, 0, v10, vcc_lo
	s_delay_alu instid0(VALU_DEP_2) | instskip(SKIP_2) | instid1(VALU_DEP_2)
	v_add_co_u32 v9, vcc_lo, 0, v8
	s_wait_dscnt 0x0
	s_wait_alu 0xfffd
	v_add_co_ci_u32_e64 v10, null, v12, v10, vcc_lo
.LBB410_79:
	s_wait_alu 0xfffe
	s_or_b32 exec_lo, exec_lo, s5
	v_cmp_gt_u32_e32 vcc_lo, 28, v32
	v_add_nc_u32_e32 v41, 4, v32
	s_mov_b32 s5, exec_lo
	s_wait_dscnt 0x0
	s_wait_alu 0xfffd
	v_cndmask_b32_e64 v12, 0, 4, vcc_lo
	s_delay_alu instid0(VALU_DEP_1)
	v_add_lshl_u32 v40, v12, v32, 2
	ds_bpermute_b32 v21, v40, v8
	ds_bpermute_b32 v12, v40, v10
	v_cmpx_le_u32_e64 v41, v7
	;; [unrolled: 25-line block ×3, first 2 shown]
	s_cbranch_execz .LBB410_83
; %bb.82:
	s_wait_dscnt 0x1
	v_add_co_u32 v8, vcc_lo, v9, v21
	s_wait_alu 0xfffd
	v_add_co_ci_u32_e64 v10, null, 0, v10, vcc_lo
	s_delay_alu instid0(VALU_DEP_2) | instskip(SKIP_2) | instid1(VALU_DEP_2)
	v_add_co_u32 v9, vcc_lo, 0, v8
	s_wait_dscnt 0x0
	s_wait_alu 0xfffd
	v_add_co_ci_u32_e64 v10, null, v12, v10, vcc_lo
.LBB410_83:
	s_wait_alu 0xfffe
	s_or_b32 exec_lo, exec_lo, s5
	v_lshl_or_b32 v44, v32, 2, 64
	v_add_nc_u32_e32 v45, 16, v32
	s_mov_b32 s5, exec_lo
	s_wait_dscnt 0x0
	ds_bpermute_b32 v12, v44, v8
	ds_bpermute_b32 v8, v44, v10
	v_cmpx_le_u32_e64 v45, v7
	s_cbranch_execz .LBB410_85
; %bb.84:
	s_wait_dscnt 0x1
	v_add_co_u32 v7, vcc_lo, v9, v12
	s_wait_alu 0xfffd
	v_add_co_ci_u32_e64 v10, null, 0, v10, vcc_lo
	s_delay_alu instid0(VALU_DEP_2) | instskip(SKIP_2) | instid1(VALU_DEP_2)
	v_add_co_u32 v9, vcc_lo, v7, 0
	s_wait_dscnt 0x0
	s_wait_alu 0xfffd
	v_add_co_ci_u32_e64 v10, null, v10, v8, vcc_lo
.LBB410_85:
	s_wait_alu 0xfffe
	s_or_b32 exec_lo, exec_lo, s5
	v_mov_b32_e32 v21, 0
	s_branch .LBB410_88
.LBB410_86:                             ;   in Loop: Header=BB410_88 Depth=1
	s_wait_alu 0xfffe
	s_or_b32 exec_lo, exec_lo, s5
	v_add_co_u32 v9, vcc_lo, v9, v7
	v_subrev_nc_u32_e32 v20, 32, v20
	s_wait_alu 0xfffd
	v_add_co_ci_u32_e64 v10, null, v10, v8, vcc_lo
	s_mov_b32 s5, 0
.LBB410_87:                             ;   in Loop: Header=BB410_88 Depth=1
	s_wait_alu 0xfffe
	s_and_b32 vcc_lo, exec_lo, s5
	s_wait_alu 0xfffe
	s_cbranch_vccnz .LBB410_104
.LBB410_88:                             ; =>This Loop Header: Depth=1
                                        ;     Child Loop BB410_91 Depth 2
	v_and_b32_e32 v7, 0xff, v11
	s_mov_b32 s5, -1
	s_delay_alu instid0(VALU_DEP_1)
	v_cmp_ne_u16_e32 vcc_lo, 2, v7
	s_wait_dscnt 0x0
	v_dual_mov_b32 v7, v9 :: v_dual_mov_b32 v8, v10
                                        ; implicit-def: $vgpr9_vgpr10
	s_cmp_lg_u32 vcc_lo, exec_lo
	s_cbranch_scc1 .LBB410_87
; %bb.89:                               ;   in Loop: Header=BB410_88 Depth=1
	v_lshlrev_b64_e32 v[9:10], 4, v[20:21]
	s_mov_b32 s5, exec_lo
	s_delay_alu instid0(VALU_DEP_1) | instskip(SKIP_1) | instid1(VALU_DEP_2)
	v_add_co_u32 v22, vcc_lo, s6, v9
	s_wait_alu 0xfffd
	v_add_co_ci_u32_e64 v23, null, s7, v10, vcc_lo
	;;#ASMSTART
	global_load_b128 v[9:12], v[22:23] off scope:SCOPE_DEV	
s_wait_loadcnt 0x0
	;;#ASMEND
	v_and_b32_e32 v12, 0xff, v11
	s_delay_alu instid0(VALU_DEP_1)
	v_cmpx_eq_u16_e32 0, v12
	s_cbranch_execz .LBB410_93
; %bb.90:                               ;   in Loop: Header=BB410_88 Depth=1
	s_mov_b32 s8, 0
.LBB410_91:                             ;   Parent Loop BB410_88 Depth=1
                                        ; =>  This Inner Loop Header: Depth=2
	;;#ASMSTART
	global_load_b128 v[9:12], v[22:23] off scope:SCOPE_DEV	
s_wait_loadcnt 0x0
	;;#ASMEND
	v_and_b32_e32 v12, 0xff, v11
	s_delay_alu instid0(VALU_DEP_1)
	v_cmp_ne_u16_e32 vcc_lo, 0, v12
	s_wait_alu 0xfffe
	s_or_b32 s8, vcc_lo, s8
	s_wait_alu 0xfffe
	s_and_not1_b32 exec_lo, exec_lo, s8
	s_cbranch_execnz .LBB410_91
; %bb.92:                               ;   in Loop: Header=BB410_88 Depth=1
	s_or_b32 exec_lo, exec_lo, s8
.LBB410_93:                             ;   in Loop: Header=BB410_88 Depth=1
	s_wait_alu 0xfffe
	s_or_b32 exec_lo, exec_lo, s5
	v_and_b32_e32 v12, 0xff, v11
	ds_bpermute_b32 v46, v36, v9
	ds_bpermute_b32 v23, v36, v10
	v_mov_b32_e32 v22, v9
	s_mov_b32 s5, exec_lo
	v_cmp_eq_u16_e32 vcc_lo, 2, v12
	s_wait_alu 0xfffd
	v_and_or_b32 v12, vcc_lo, v37, 0x80000000
	s_delay_alu instid0(VALU_DEP_1) | instskip(NEXT) | instid1(VALU_DEP_1)
	v_ctz_i32_b32_e32 v12, v12
	v_cmpx_lt_u32_e64 v32, v12
	s_cbranch_execz .LBB410_95
; %bb.94:                               ;   in Loop: Header=BB410_88 Depth=1
	s_wait_dscnt 0x1
	v_add_co_u32 v22, vcc_lo, v9, v46
	s_wait_alu 0xfffd
	v_add_co_ci_u32_e64 v10, null, 0, v10, vcc_lo
	s_delay_alu instid0(VALU_DEP_2) | instskip(SKIP_2) | instid1(VALU_DEP_2)
	v_add_co_u32 v9, vcc_lo, 0, v22
	s_wait_dscnt 0x0
	s_wait_alu 0xfffd
	v_add_co_ci_u32_e64 v10, null, v23, v10, vcc_lo
.LBB410_95:                             ;   in Loop: Header=BB410_88 Depth=1
	s_wait_alu 0xfffe
	s_or_b32 exec_lo, exec_lo, s5
	s_wait_dscnt 0x1
	ds_bpermute_b32 v46, v38, v22
	s_wait_dscnt 0x1
	ds_bpermute_b32 v23, v38, v10
	s_mov_b32 s5, exec_lo
	v_cmpx_le_u32_e64 v39, v12
	s_cbranch_execz .LBB410_97
; %bb.96:                               ;   in Loop: Header=BB410_88 Depth=1
	s_wait_dscnt 0x1
	v_add_co_u32 v22, vcc_lo, v9, v46
	s_wait_alu 0xfffd
	v_add_co_ci_u32_e64 v10, null, 0, v10, vcc_lo
	s_delay_alu instid0(VALU_DEP_2) | instskip(SKIP_2) | instid1(VALU_DEP_2)
	v_add_co_u32 v9, vcc_lo, 0, v22
	s_wait_dscnt 0x0
	s_wait_alu 0xfffd
	v_add_co_ci_u32_e64 v10, null, v23, v10, vcc_lo
.LBB410_97:                             ;   in Loop: Header=BB410_88 Depth=1
	s_wait_alu 0xfffe
	s_or_b32 exec_lo, exec_lo, s5
	s_wait_dscnt 0x1
	ds_bpermute_b32 v46, v40, v22
	s_wait_dscnt 0x1
	ds_bpermute_b32 v23, v40, v10
	s_mov_b32 s5, exec_lo
	v_cmpx_le_u32_e64 v41, v12
	;; [unrolled: 20-line block ×3, first 2 shown]
	s_cbranch_execz .LBB410_101
; %bb.100:                              ;   in Loop: Header=BB410_88 Depth=1
	s_wait_dscnt 0x1
	v_add_co_u32 v22, vcc_lo, v9, v46
	s_wait_alu 0xfffd
	v_add_co_ci_u32_e64 v10, null, 0, v10, vcc_lo
	s_delay_alu instid0(VALU_DEP_2) | instskip(SKIP_2) | instid1(VALU_DEP_2)
	v_add_co_u32 v9, vcc_lo, 0, v22
	s_wait_dscnt 0x0
	s_wait_alu 0xfffd
	v_add_co_ci_u32_e64 v10, null, v23, v10, vcc_lo
.LBB410_101:                            ;   in Loop: Header=BB410_88 Depth=1
	s_wait_alu 0xfffe
	s_or_b32 exec_lo, exec_lo, s5
	s_wait_dscnt 0x0
	ds_bpermute_b32 v23, v44, v22
	ds_bpermute_b32 v22, v44, v10
	s_mov_b32 s5, exec_lo
	v_cmpx_le_u32_e64 v45, v12
	s_cbranch_execz .LBB410_86
; %bb.102:                              ;   in Loop: Header=BB410_88 Depth=1
	s_wait_dscnt 0x1
	v_add_co_u32 v9, vcc_lo, v9, v23
	s_wait_alu 0xfffd
	v_add_co_ci_u32_e64 v10, null, 0, v10, vcc_lo
	s_delay_alu instid0(VALU_DEP_2) | instskip(SKIP_2) | instid1(VALU_DEP_2)
	v_add_co_u32 v9, vcc_lo, v9, 0
	s_wait_dscnt 0x0
	s_wait_alu 0xfffd
	v_add_co_ci_u32_e64 v10, null, v10, v22, vcc_lo
	s_branch .LBB410_86
.LBB410_103:
                                        ; implicit-def: $vgpr7_vgpr8
                                        ; implicit-def: $vgpr36_vgpr37
	s_load_b64 s[4:5], s[0:1], 0x28
	s_and_b32 vcc_lo, exec_lo, s3
	s_wait_alu 0xfffe
	s_cbranch_vccnz .LBB410_109
	s_branch .LBB410_136
.LBB410_104:
	s_and_saveexec_b32 s5, s3
	s_cbranch_execz .LBB410_106
; %bb.105:
	s_add_co_i32 s8, ttmp9, 32
	s_mov_b32 s9, 0
	v_add_co_u32 v9, vcc_lo, v7, v5
	s_wait_alu 0xfffe
	s_lshl_b64 s[8:9], s[8:9], 4
	v_dual_mov_b32 v11, 2 :: v_dual_mov_b32 v12, 0
	s_wait_alu 0xfffe
	s_add_nc_u64 s[8:9], s[6:7], s[8:9]
	s_wait_alu 0xfffd
	v_add_co_ci_u32_e64 v10, null, v8, v6, vcc_lo
	s_wait_alu 0xfffe
	v_dual_mov_b32 v21, s9 :: v_dual_mov_b32 v20, s8
	;;#ASMSTART
	global_store_b128 v[20:21], v[9:12] off scope:SCOPE_DEV	
s_wait_storecnt 0x0
	;;#ASMEND
	ds_store_b128 v12, v[5:8] offset:13824
.LBB410_106:
	s_wait_alu 0xfffe
	s_or_b32 exec_lo, exec_lo, s5
	v_cmp_eq_u32_e32 vcc_lo, 0, v0
	s_and_b32 exec_lo, exec_lo, vcc_lo
; %bb.107:
	v_mov_b32_e32 v5, 0
	ds_store_b64 v5, v[7:8] offset:88
.LBB410_108:
	s_wait_alu 0xfffe
	s_or_b32 exec_lo, exec_lo, s4
	s_wait_dscnt 0x0
	v_cndmask_b32_e64 v12, v35, v19, s3
	v_cmp_ne_u32_e32 vcc_lo, 0, v0
	v_mov_b32_e32 v5, 0
	s_wait_loadcnt 0x0
	s_barrier_signal -1
	s_barrier_wait -1
	global_inv scope:SCOPE_SE
	s_wait_alu 0xfffd
	v_cndmask_b32_e32 v12, 0, v12, vcc_lo
	ds_load_b64 v[9:10], v5 offset:88
	s_wait_loadcnt_dscnt 0x0
	s_barrier_signal -1
	s_barrier_wait -1
	global_inv scope:SCOPE_SE
	ds_load_b128 v[5:8], v5 offset:13824
	v_cndmask_b32_e64 v11, v34, v18, s3
	s_delay_alu instid0(VALU_DEP_1) | instskip(NEXT) | instid1(VALU_DEP_1)
	v_cndmask_b32_e32 v11, 0, v11, vcc_lo
	v_add_co_u32 v36, vcc_lo, v9, v11
	s_wait_alu 0xfffd
	v_add_co_ci_u32_e64 v37, null, v10, v12, vcc_lo
	s_load_b64 s[4:5], s[0:1], 0x28
	s_branch .LBB410_136
.LBB410_109:
	s_wait_dscnt 0x0
	v_dual_mov_b32 v6, 0 :: v_dual_mov_b32 v7, v16
	v_mov_b32_dpp v8, v16 row_shr:1 row_mask:0xf bank_mask:0xf
	s_delay_alu instid0(VALU_DEP_2)
	v_mov_b32_dpp v5, v6 row_shr:1 row_mask:0xf bank_mask:0xf
	s_and_saveexec_b32 s0, s2
; %bb.110:
	s_delay_alu instid0(VALU_DEP_2) | instskip(SKIP_2) | instid1(VALU_DEP_2)
	v_add_co_u32 v7, vcc_lo, v16, v8
	s_wait_alu 0xfffd
	v_add_co_ci_u32_e64 v6, null, 0, v17, vcc_lo
	v_add_co_u32 v16, vcc_lo, 0, v7
	s_wait_alu 0xfffd
	s_delay_alu instid0(VALU_DEP_2) | instskip(NEXT) | instid1(VALU_DEP_1)
	v_add_co_ci_u32_e64 v17, null, v5, v6, vcc_lo
	v_mov_b32_e32 v6, v17
; %bb.111:
	s_or_b32 exec_lo, exec_lo, s0
	v_mov_b32_dpp v5, v7 row_shr:2 row_mask:0xf bank_mask:0xf
	s_delay_alu instid0(VALU_DEP_2)
	v_mov_b32_dpp v8, v6 row_shr:2 row_mask:0xf bank_mask:0xf
	v_cmp_lt_u32_e32 vcc_lo, 1, v33
	s_and_saveexec_b32 s1, vcc_lo
; %bb.112:
	s_delay_alu instid0(VALU_DEP_3) | instskip(NEXT) | instid1(VALU_DEP_1)
	v_add_co_u32 v7, s0, v16, v5
	v_add_co_ci_u32_e64 v6, null, 0, v17, s0
	s_delay_alu instid0(VALU_DEP_2) | instskip(SKIP_1) | instid1(VALU_DEP_2)
	v_add_co_u32 v5, s0, 0, v7
	s_wait_alu 0xf1ff
	v_add_co_ci_u32_e64 v6, null, v8, v6, s0
	s_delay_alu instid0(VALU_DEP_1)
	v_dual_mov_b32 v17, v6 :: v_dual_mov_b32 v16, v5
; %bb.113:
	s_or_b32 exec_lo, exec_lo, s1
	v_mov_b32_dpp v5, v7 row_shr:4 row_mask:0xf bank_mask:0xf
	v_mov_b32_dpp v8, v6 row_shr:4 row_mask:0xf bank_mask:0xf
	v_cmp_lt_u32_e64 s0, 3, v33
	s_and_saveexec_b32 s3, s0
; %bb.114:
	v_add_co_u32 v7, s1, v16, v5
	s_wait_alu 0xf1ff
	v_add_co_ci_u32_e64 v6, null, 0, v17, s1
	s_delay_alu instid0(VALU_DEP_2) | instskip(SKIP_1) | instid1(VALU_DEP_2)
	v_add_co_u32 v5, s1, 0, v7
	s_wait_alu 0xf1ff
	v_add_co_ci_u32_e64 v6, null, v8, v6, s1
	s_delay_alu instid0(VALU_DEP_1)
	v_dual_mov_b32 v17, v6 :: v_dual_mov_b32 v16, v5
; %bb.115:
	s_wait_alu 0xfffe
	s_or_b32 exec_lo, exec_lo, s3
	v_mov_b32_dpp v8, v7 row_shr:8 row_mask:0xf bank_mask:0xf
	v_mov_b32_dpp v5, v6 row_shr:8 row_mask:0xf bank_mask:0xf
	v_cmp_lt_u32_e64 s1, 7, v33
	s_and_saveexec_b32 s8, s1
; %bb.116:
	v_add_co_u32 v7, s3, v16, v8
	s_wait_alu 0xf1ff
	v_add_co_ci_u32_e64 v6, null, 0, v17, s3
	s_delay_alu instid0(VALU_DEP_2) | instskip(SKIP_1) | instid1(VALU_DEP_2)
	v_add_co_u32 v16, s3, 0, v7
	s_wait_alu 0xf1ff
	v_add_co_ci_u32_e64 v17, null, v5, v6, s3
	s_delay_alu instid0(VALU_DEP_1)
	v_mov_b32_e32 v6, v17
; %bb.117:
	s_wait_alu 0xfffe
	s_or_b32 exec_lo, exec_lo, s8
	ds_swizzle_b32 v7, v7 offset:swizzle(BROADCAST,32,15)
	ds_swizzle_b32 v5, v6 offset:swizzle(BROADCAST,32,15)
	v_and_b32_e32 v6, 16, v32
	s_mov_b32 s8, exec_lo
	s_delay_alu instid0(VALU_DEP_1)
	v_cmpx_ne_u32_e32 0, v6
	s_cbranch_execz .LBB410_119
; %bb.118:
	s_wait_dscnt 0x1
	v_add_co_u32 v6, s3, v16, v7
	s_wait_alu 0xf1ff
	v_add_co_ci_u32_e64 v7, null, 0, v17, s3
	s_delay_alu instid0(VALU_DEP_2) | instskip(SKIP_2) | instid1(VALU_DEP_2)
	v_add_co_u32 v16, s3, v6, 0
	s_wait_dscnt 0x0
	s_wait_alu 0xf1ff
	v_add_co_ci_u32_e64 v17, null, v7, v5, s3
.LBB410_119:
	s_wait_alu 0xfffe
	s_or_b32 exec_lo, exec_lo, s8
	s_wait_dscnt 0x0
	v_and_b32_e32 v5, 0x1e0, v0
	v_lshrrev_b32_e32 v7, 5, v0
	s_mov_b32 s8, exec_lo
	s_delay_alu instid0(VALU_DEP_2) | instskip(NEXT) | instid1(VALU_DEP_1)
	v_min_u32_e32 v5, 0x160, v5
	v_or_b32_e32 v5, 31, v5
	s_delay_alu instid0(VALU_DEP_1)
	v_cmpx_eq_u32_e64 v0, v5
; %bb.120:
	v_lshlrev_b32_e32 v5, 3, v7
	ds_store_b64 v5, v[16:17]
; %bb.121:
	s_wait_alu 0xfffe
	s_or_b32 exec_lo, exec_lo, s8
	s_delay_alu instid0(SALU_CYCLE_1)
	s_mov_b32 s8, exec_lo
	s_wait_loadcnt_dscnt 0x0
	s_barrier_signal -1
	s_barrier_wait -1
	global_inv scope:SCOPE_SE
	v_cmpx_gt_u32_e32 12, v0
	s_cbranch_execz .LBB410_131
; %bb.122:
	v_lshlrev_b32_e32 v8, 3, v0
	ds_load_b64 v[5:6], v8
	s_wait_dscnt 0x0
	v_mov_b32_dpp v11, v5 row_shr:1 row_mask:0xf bank_mask:0xf
	v_mov_b32_dpp v10, v6 row_shr:1 row_mask:0xf bank_mask:0xf
	v_mov_b32_e32 v9, v5
	s_and_saveexec_b32 s3, s2
; %bb.123:
	s_delay_alu instid0(VALU_DEP_3) | instskip(SKIP_2) | instid1(VALU_DEP_2)
	v_add_co_u32 v9, s2, v5, v11
	s_wait_alu 0xf1ff
	v_add_co_ci_u32_e64 v6, null, 0, v6, s2
	v_add_co_u32 v5, s2, 0, v9
	s_wait_alu 0xf1ff
	s_delay_alu instid0(VALU_DEP_2)
	v_add_co_ci_u32_e64 v6, null, v10, v6, s2
; %bb.124:
	s_wait_alu 0xfffe
	s_or_b32 exec_lo, exec_lo, s3
	v_mov_b32_dpp v11, v9 row_shr:2 row_mask:0xf bank_mask:0xf
	s_delay_alu instid0(VALU_DEP_2)
	v_mov_b32_dpp v10, v6 row_shr:2 row_mask:0xf bank_mask:0xf
	s_and_saveexec_b32 s2, vcc_lo
; %bb.125:
	s_delay_alu instid0(VALU_DEP_2) | instskip(SKIP_2) | instid1(VALU_DEP_2)
	v_add_co_u32 v9, vcc_lo, v5, v11
	s_wait_alu 0xfffd
	v_add_co_ci_u32_e64 v6, null, 0, v6, vcc_lo
	v_add_co_u32 v5, vcc_lo, 0, v9
	s_wait_alu 0xfffd
	s_delay_alu instid0(VALU_DEP_2)
	v_add_co_ci_u32_e64 v6, null, v10, v6, vcc_lo
; %bb.126:
	s_wait_alu 0xfffe
	s_or_b32 exec_lo, exec_lo, s2
	v_mov_b32_dpp v11, v9 row_shr:4 row_mask:0xf bank_mask:0xf
	s_delay_alu instid0(VALU_DEP_2)
	v_mov_b32_dpp v10, v6 row_shr:4 row_mask:0xf bank_mask:0xf
	s_and_saveexec_b32 s2, s0
; %bb.127:
	s_delay_alu instid0(VALU_DEP_2) | instskip(SKIP_2) | instid1(VALU_DEP_2)
	v_add_co_u32 v9, vcc_lo, v5, v11
	s_wait_alu 0xfffd
	v_add_co_ci_u32_e64 v6, null, 0, v6, vcc_lo
	v_add_co_u32 v5, vcc_lo, 0, v9
	s_wait_alu 0xfffd
	s_delay_alu instid0(VALU_DEP_2)
	v_add_co_ci_u32_e64 v6, null, v10, v6, vcc_lo
; %bb.128:
	s_wait_alu 0xfffe
	s_or_b32 exec_lo, exec_lo, s2
	v_mov_b32_dpp v10, v9 row_shr:8 row_mask:0xf bank_mask:0xf
	s_delay_alu instid0(VALU_DEP_2)
	v_mov_b32_dpp v9, v6 row_shr:8 row_mask:0xf bank_mask:0xf
	s_and_saveexec_b32 s0, s1
; %bb.129:
	s_delay_alu instid0(VALU_DEP_2) | instskip(SKIP_2) | instid1(VALU_DEP_2)
	v_add_co_u32 v5, vcc_lo, v5, v10
	s_wait_alu 0xfffd
	v_add_co_ci_u32_e64 v6, null, 0, v6, vcc_lo
	v_add_co_u32 v5, vcc_lo, v5, 0
	s_wait_alu 0xfffd
	s_delay_alu instid0(VALU_DEP_2)
	v_add_co_ci_u32_e64 v6, null, v6, v9, vcc_lo
; %bb.130:
	s_wait_alu 0xfffe
	s_or_b32 exec_lo, exec_lo, s0
	ds_store_b64 v8, v[5:6]
.LBB410_131:
	s_wait_alu 0xfffe
	s_or_b32 exec_lo, exec_lo, s8
	v_mov_b32_e32 v9, 0
	v_mov_b32_e32 v10, 0
	s_mov_b32 s0, exec_lo
	s_wait_loadcnt_dscnt 0x0
	s_barrier_signal -1
	s_barrier_wait -1
	global_inv scope:SCOPE_SE
	v_cmpx_lt_u32_e32 31, v0
; %bb.132:
	v_lshl_add_u32 v5, v7, 3, -8
	ds_load_b64 v[9:10], v5
; %bb.133:
	s_wait_alu 0xfffe
	s_or_b32 exec_lo, exec_lo, s0
	v_sub_co_u32 v5, vcc_lo, v32, 1
	v_mov_b32_e32 v8, 0
	s_delay_alu instid0(VALU_DEP_2) | instskip(SKIP_1) | instid1(VALU_DEP_1)
	v_cmp_gt_i32_e64 s0, 0, v5
	s_wait_alu 0xf1ff
	v_cndmask_b32_e64 v5, v5, v32, s0
	s_wait_dscnt 0x0
	v_add_co_u32 v6, s0, v9, v16
	s_wait_alu 0xf1ff
	v_add_co_ci_u32_e64 v7, null, v10, v17, s0
	v_lshlrev_b32_e32 v5, 2, v5
	v_cmp_eq_u32_e64 s0, 0, v0
	ds_bpermute_b32 v11, v5, v6
	ds_bpermute_b32 v12, v5, v7
	ds_load_b64 v[5:6], v8 offset:88
	s_and_saveexec_b32 s1, s0
	s_cbranch_execz .LBB410_135
; %bb.134:
	s_wait_kmcnt 0x0
	s_add_nc_u64 s[2:3], s[6:7], 0x200
	v_mov_b32_e32 v7, 2
	s_wait_alu 0xfffe
	v_dual_mov_b32 v17, s3 :: v_dual_mov_b32 v16, s2
	s_wait_dscnt 0x0
	;;#ASMSTART
	global_store_b128 v[16:17], v[5:8] off scope:SCOPE_DEV	
s_wait_storecnt 0x0
	;;#ASMEND
.LBB410_135:
	s_wait_alu 0xfffe
	s_or_b32 exec_lo, exec_lo, s1
	s_wait_dscnt 0x1
	s_wait_alu 0xfffd
	v_dual_cndmask_b32 v10, v12, v10 :: v_dual_cndmask_b32 v9, v11, v9
	v_mov_b32_e32 v7, 0
	v_mov_b32_e32 v8, 0
	s_wait_loadcnt_dscnt 0x0
	s_delay_alu instid0(VALU_DEP_3)
	v_cndmask_b32_e64 v37, v10, 0, s0
	v_cndmask_b32_e64 v36, v9, 0, s0
	s_barrier_signal -1
	s_barrier_wait -1
	global_inv scope:SCOPE_SE
.LBB410_136:
	v_add_co_u32 v46, vcc_lo, v36, v25
	s_wait_alu 0xfffd
	v_add_co_ci_u32_e64 v47, null, 0, v37, vcc_lo
	v_lshrrev_b32_e32 v69, 16, v57
	s_delay_alu instid0(VALU_DEP_3) | instskip(SKIP_1) | instid1(VALU_DEP_3)
	v_add_co_u32 v44, vcc_lo, v46, v24
	s_wait_alu 0xfffd
	v_add_co_ci_u32_e64 v45, null, 0, v47, vcc_lo
	v_lshrrev_b32_e32 v70, 8, v57
	s_delay_alu instid0(VALU_DEP_3) | instskip(SKIP_1) | instid1(VALU_DEP_3)
	v_add_co_u32 v42, vcc_lo, v44, v31
	s_wait_alu 0xfffd
	v_add_co_ci_u32_e64 v43, null, 0, v45, vcc_lo
	v_lshrrev_b32_e32 v65, 16, v54
	s_delay_alu instid0(VALU_DEP_3) | instskip(SKIP_1) | instid1(VALU_DEP_3)
	v_add_co_u32 v40, vcc_lo, v42, v60
	s_wait_alu 0xfffd
	v_add_co_ci_u32_e64 v41, null, 0, v43, vcc_lo
	v_lshrrev_b32_e32 v66, 8, v54
	s_delay_alu instid0(VALU_DEP_3) | instskip(SKIP_1) | instid1(VALU_DEP_3)
	v_add_co_u32 v38, vcc_lo, v40, v30
	s_wait_alu 0xfffd
	v_add_co_ci_u32_e64 v39, null, 0, v41, vcc_lo
	v_lshrrev_b32_e32 v72, 8, v48
	s_delay_alu instid0(VALU_DEP_3) | instskip(SKIP_1) | instid1(VALU_DEP_3)
	v_add_co_u32 v34, vcc_lo, v38, v29
	s_wait_alu 0xfffd
	v_add_co_ci_u32_e64 v35, null, 0, v39, vcc_lo
	v_lshrrev_b32_e32 v71, 16, v48
	s_delay_alu instid0(VALU_DEP_3) | instskip(SKIP_1) | instid1(VALU_DEP_3)
	v_add_co_u32 v32, vcc_lo, v34, v28
	s_wait_alu 0xfffd
	v_add_co_ci_u32_e64 v33, null, 0, v35, vcc_lo
	v_lshrrev_b32_e32 v68, 8, v55
	s_delay_alu instid0(VALU_DEP_3) | instskip(SKIP_1) | instid1(VALU_DEP_3)
	v_add_co_u32 v30, vcc_lo, v32, v59
	s_wait_alu 0xfffd
	v_add_co_ci_u32_e64 v31, null, 0, v33, vcc_lo
	v_lshrrev_b32_e32 v67, 16, v55
	s_delay_alu instid0(VALU_DEP_3) | instskip(SKIP_1) | instid1(VALU_DEP_3)
	v_add_co_u32 v28, vcc_lo, v30, v27
	s_wait_alu 0xfffd
	v_add_co_ci_u32_e64 v29, null, 0, v31, vcc_lo
	s_mov_b32 s1, -1
	v_add_co_u32 v26, vcc_lo, v28, v26
	s_wait_alu 0xfffd
	v_add_co_ci_u32_e64 v27, null, 0, v29, vcc_lo
	s_delay_alu instid0(VALU_DEP_2) | instskip(SKIP_1) | instid1(VALU_DEP_2)
	v_add_co_u32 v24, vcc_lo, v26, v64
	s_wait_alu 0xfffd
	v_add_co_ci_u32_e64 v25, null, 0, v27, vcc_lo
	s_delay_alu instid0(VALU_DEP_2) | instskip(SKIP_1) | instid1(VALU_DEP_2)
	;; [unrolled: 4-line block ×4, first 2 shown]
	v_add_co_u32 v16, vcc_lo, v20, v62
	s_wait_alu 0xfffd
	v_add_co_ci_u32_e64 v17, null, 0, v21, vcc_lo
	s_wait_dscnt 0x0
	v_cmp_gt_u64_e32 vcc_lo, 0x181, v[5:6]
	v_add_co_u32 v18, s0, v16, v61
	s_wait_alu 0xf1ff
	v_add_co_ci_u32_e64 v19, null, 0, v17, s0
	v_and_b32_e32 v61, 1, v48
	s_delay_alu instid0(VALU_DEP_3) | instskip(SKIP_1) | instid1(VALU_DEP_3)
	v_add_co_u32 v11, s0, v18, v56
	s_wait_alu 0xf1ff
	v_add_co_ci_u32_e64 v12, null, 0, v19, s0
	s_delay_alu instid0(VALU_DEP_2) | instskip(SKIP_1) | instid1(VALU_DEP_2)
	v_add_co_u32 v9, s0, v11, v49
	s_wait_alu 0xf1ff
	v_add_co_ci_u32_e64 v10, null, 0, v12, s0
	v_cmp_eq_u32_e64 s0, 1, v61
	s_cbranch_vccnz .LBB410_140
; %bb.137:
	s_wait_alu 0xfffe
	s_and_b32 vcc_lo, exec_lo, s1
	s_wait_alu 0xfffe
	s_cbranch_vccnz .LBB410_177
.LBB410_138:
	v_cmp_eq_u32_e32 vcc_lo, 0, v0
	s_and_b32 s0, vcc_lo, s24
	s_wait_alu 0xfffe
	s_and_saveexec_b32 s1, s0
	s_cbranch_execnz .LBB410_216
.LBB410_139:
	s_endpgm
.LBB410_140:
	v_add_co_u32 v48, vcc_lo, v7, v5
	s_wait_alu 0xfffd
	v_add_co_ci_u32_e64 v49, null, v8, v6, vcc_lo
	s_wait_kmcnt 0x0
	s_lshl_b64 s[2:3], s[22:23], 1
	s_wait_alu 0xfffe
	s_add_nc_u64 s[2:3], s[4:5], s[2:3]
	v_cmp_lt_u64_e32 vcc_lo, v[36:37], v[48:49]
	s_or_b32 s1, s25, vcc_lo
	s_wait_alu 0xfffe
	s_and_b32 s1, s1, s0
	s_wait_alu 0xfffe
	s_and_saveexec_b32 s0, s1
	s_cbranch_execz .LBB410_142
; %bb.141:
	v_lshlrev_b64_e32 v[62:63], 1, v[36:37]
	s_delay_alu instid0(VALU_DEP_1) | instskip(SKIP_1) | instid1(VALU_DEP_2)
	v_add_co_u32 v62, vcc_lo, s2, v62
	s_wait_alu 0xfffd
	v_add_co_ci_u32_e64 v63, null, s3, v63, vcc_lo
	global_store_b16 v[62:63], v52, off
.LBB410_142:
	s_wait_alu 0xfffe
	s_or_b32 exec_lo, exec_lo, s0
	v_and_b32_e32 v37, 1, v72
	v_cmp_lt_u64_e32 vcc_lo, v[46:47], v[48:49]
	s_delay_alu instid0(VALU_DEP_2)
	v_cmp_eq_u32_e64 s0, 1, v37
	s_or_b32 s1, s25, vcc_lo
	s_wait_alu 0xfffe
	s_and_b32 s1, s1, s0
	s_wait_alu 0xfffe
	s_and_saveexec_b32 s0, s1
	s_cbranch_execz .LBB410_144
; %bb.143:
	v_lshlrev_b64_e32 v[62:63], 1, v[46:47]
	s_delay_alu instid0(VALU_DEP_1) | instskip(SKIP_1) | instid1(VALU_DEP_2)
	v_add_co_u32 v62, vcc_lo, s2, v62
	s_wait_alu 0xfffd
	v_add_co_ci_u32_e64 v63, null, s3, v63, vcc_lo
	global_store_d16_hi_b16 v[62:63], v52, off
.LBB410_144:
	s_wait_alu 0xfffe
	s_or_b32 exec_lo, exec_lo, s0
	v_and_b32_e32 v37, 1, v71
	v_cmp_lt_u64_e32 vcc_lo, v[44:45], v[48:49]
	s_delay_alu instid0(VALU_DEP_2)
	v_cmp_eq_u32_e64 s0, 1, v37
	s_or_b32 s1, s25, vcc_lo
	s_wait_alu 0xfffe
	s_and_b32 s1, s1, s0
	s_wait_alu 0xfffe
	s_and_saveexec_b32 s0, s1
	s_cbranch_execz .LBB410_146
; %bb.145:
	v_lshlrev_b64_e32 v[62:63], 1, v[44:45]
	s_delay_alu instid0(VALU_DEP_1) | instskip(SKIP_1) | instid1(VALU_DEP_2)
	v_add_co_u32 v62, vcc_lo, s2, v62
	s_wait_alu 0xfffd
	v_add_co_ci_u32_e64 v63, null, s3, v63, vcc_lo
	global_store_b16 v[62:63], v51, off
.LBB410_146:
	s_wait_alu 0xfffe
	s_or_b32 exec_lo, exec_lo, s0
	v_and_b32_e32 v37, 1, v60
	v_cmp_lt_u64_e32 vcc_lo, v[42:43], v[48:49]
	s_delay_alu instid0(VALU_DEP_2)
	v_cmp_eq_u32_e64 s0, 1, v37
	s_or_b32 s1, s25, vcc_lo
	s_wait_alu 0xfffe
	s_and_b32 s1, s1, s0
	s_wait_alu 0xfffe
	s_and_saveexec_b32 s0, s1
	s_cbranch_execz .LBB410_148
; %bb.147:
	v_lshlrev_b64_e32 v[62:63], 1, v[42:43]
	s_delay_alu instid0(VALU_DEP_1) | instskip(SKIP_1) | instid1(VALU_DEP_2)
	v_add_co_u32 v62, vcc_lo, s2, v62
	s_wait_alu 0xfffd
	v_add_co_ci_u32_e64 v63, null, s3, v63, vcc_lo
	global_store_b16 v[62:63], v1, off
.LBB410_148:
	s_wait_alu 0xfffe
	s_or_b32 exec_lo, exec_lo, s0
	v_and_b32_e32 v37, 1, v57
	v_cmp_lt_u64_e32 vcc_lo, v[40:41], v[48:49]
	s_delay_alu instid0(VALU_DEP_2)
	v_cmp_eq_u32_e64 s0, 1, v37
	s_or_b32 s1, s25, vcc_lo
	s_wait_alu 0xfffe
	s_and_b32 s1, s1, s0
	s_wait_alu 0xfffe
	s_and_saveexec_b32 s0, s1
	s_cbranch_execz .LBB410_150
; %bb.149:
	v_lshlrev_b64_e32 v[62:63], 1, v[40:41]
	s_delay_alu instid0(VALU_DEP_1) | instskip(SKIP_1) | instid1(VALU_DEP_2)
	v_add_co_u32 v62, vcc_lo, s2, v62
	s_wait_alu 0xfffd
	v_add_co_ci_u32_e64 v63, null, s3, v63, vcc_lo
	global_store_d16_hi_b16 v[62:63], v1, off
.LBB410_150:
	s_wait_alu 0xfffe
	s_or_b32 exec_lo, exec_lo, s0
	v_and_b32_e32 v37, 1, v70
	v_cmp_lt_u64_e32 vcc_lo, v[38:39], v[48:49]
	s_delay_alu instid0(VALU_DEP_2)
	v_cmp_eq_u32_e64 s0, 1, v37
	s_or_b32 s1, s25, vcc_lo
	s_wait_alu 0xfffe
	s_and_b32 s1, s1, s0
	s_wait_alu 0xfffe
	s_and_saveexec_b32 s0, s1
	s_cbranch_execz .LBB410_152
; %bb.151:
	v_lshlrev_b64_e32 v[62:63], 1, v[38:39]
	s_delay_alu instid0(VALU_DEP_1) | instskip(SKIP_1) | instid1(VALU_DEP_2)
	v_add_co_u32 v62, vcc_lo, s2, v62
	s_wait_alu 0xfffd
	v_add_co_ci_u32_e64 v63, null, s3, v63, vcc_lo
	global_store_b16 v[62:63], v2, off
.LBB410_152:
	s_wait_alu 0xfffe
	s_or_b32 exec_lo, exec_lo, s0
	v_and_b32_e32 v37, 1, v69
	v_cmp_lt_u64_e32 vcc_lo, v[34:35], v[48:49]
	s_delay_alu instid0(VALU_DEP_2)
	v_cmp_eq_u32_e64 s0, 1, v37
	s_or_b32 s1, s25, vcc_lo
	s_wait_alu 0xfffe
	s_and_b32 s1, s1, s0
	s_wait_alu 0xfffe
	s_and_saveexec_b32 s0, s1
	s_cbranch_execz .LBB410_154
; %bb.153:
	v_lshlrev_b64_e32 v[62:63], 1, v[34:35]
	s_delay_alu instid0(VALU_DEP_1) | instskip(SKIP_1) | instid1(VALU_DEP_2)
	v_add_co_u32 v62, vcc_lo, s2, v62
	s_wait_alu 0xfffd
	v_add_co_ci_u32_e64 v63, null, s3, v63, vcc_lo
	global_store_d16_hi_b16 v[62:63], v2, off
.LBB410_154:
	;; [unrolled: 40-line block ×7, first 2 shown]
	s_wait_alu 0xfffe
	s_or_b32 exec_lo, exec_lo, s0
	v_cmp_lt_u64_e32 vcc_lo, v[9:10], v[48:49]
	s_or_b32 s0, s25, vcc_lo
	s_wait_alu 0xfffe
	s_and_b32 s1, s0, s26
	s_wait_alu 0xfffe
	s_and_saveexec_b32 s0, s1
	s_cbranch_execz .LBB410_176
; %bb.175:
	v_lshlrev_b64_e32 v[47:48], 1, v[9:10]
	s_delay_alu instid0(VALU_DEP_1) | instskip(SKIP_1) | instid1(VALU_DEP_2)
	v_add_co_u32 v47, vcc_lo, s2, v47
	s_wait_alu 0xfffd
	v_add_co_ci_u32_e64 v48, null, s3, v48, vcc_lo
	global_store_b16 v[47:48], v50, off
.LBB410_176:
	s_wait_alu 0xfffe
	s_or_b32 exec_lo, exec_lo, s0
	s_branch .LBB410_138
.LBB410_177:
	s_mov_b32 s0, exec_lo
	v_cmpx_eq_u32_e32 1, v61
; %bb.178:
	v_sub_nc_u32_e32 v10, v36, v7
	s_delay_alu instid0(VALU_DEP_1)
	v_lshlrev_b32_e32 v10, 1, v10
	ds_store_b16 v10, v52
; %bb.179:
	s_wait_alu 0xfffe
	s_or_b32 exec_lo, exec_lo, s0
	v_and_b32_e32 v10, 1, v72
	s_mov_b32 s0, exec_lo
	s_delay_alu instid0(VALU_DEP_1)
	v_cmpx_eq_u32_e32 1, v10
; %bb.180:
	v_sub_nc_u32_e32 v10, v46, v7
	s_delay_alu instid0(VALU_DEP_1)
	v_lshlrev_b32_e32 v10, 1, v10
	ds_store_b16_d16_hi v10, v52
; %bb.181:
	s_wait_alu 0xfffe
	s_or_b32 exec_lo, exec_lo, s0
	v_and_b32_e32 v10, 1, v71
	s_mov_b32 s0, exec_lo
	s_delay_alu instid0(VALU_DEP_1)
	v_cmpx_eq_u32_e32 1, v10
; %bb.182:
	v_sub_nc_u32_e32 v10, v44, v7
	s_delay_alu instid0(VALU_DEP_1)
	v_lshlrev_b32_e32 v10, 1, v10
	ds_store_b16 v10, v51
; %bb.183:
	s_wait_alu 0xfffe
	s_or_b32 exec_lo, exec_lo, s0
	v_and_b32_e32 v10, 1, v60
	s_mov_b32 s0, exec_lo
	s_delay_alu instid0(VALU_DEP_1)
	v_cmpx_eq_u32_e32 1, v10
; %bb.184:
	v_sub_nc_u32_e32 v10, v42, v7
	s_delay_alu instid0(VALU_DEP_1)
	v_lshlrev_b32_e32 v10, 1, v10
	ds_store_b16 v10, v1
; %bb.185:
	s_wait_alu 0xfffe
	s_or_b32 exec_lo, exec_lo, s0
	v_and_b32_e32 v10, 1, v57
	s_mov_b32 s0, exec_lo
	s_delay_alu instid0(VALU_DEP_1)
	v_cmpx_eq_u32_e32 1, v10
; %bb.186:
	v_sub_nc_u32_e32 v10, v40, v7
	s_delay_alu instid0(VALU_DEP_1)
	v_lshlrev_b32_e32 v10, 1, v10
	ds_store_b16_d16_hi v10, v1
; %bb.187:
	s_wait_alu 0xfffe
	s_or_b32 exec_lo, exec_lo, s0
	v_and_b32_e32 v1, 1, v70
	s_mov_b32 s0, exec_lo
	s_delay_alu instid0(VALU_DEP_1)
	v_cmpx_eq_u32_e32 1, v1
; %bb.188:
	v_sub_nc_u32_e32 v1, v38, v7
	s_delay_alu instid0(VALU_DEP_1)
	v_lshlrev_b32_e32 v1, 1, v1
	ds_store_b16 v1, v2
; %bb.189:
	s_wait_alu 0xfffe
	s_or_b32 exec_lo, exec_lo, s0
	v_and_b32_e32 v1, 1, v69
	s_mov_b32 s0, exec_lo
	s_delay_alu instid0(VALU_DEP_1)
	v_cmpx_eq_u32_e32 1, v1
; %bb.190:
	v_sub_nc_u32_e32 v1, v34, v7
	s_delay_alu instid0(VALU_DEP_1)
	v_lshlrev_b32_e32 v1, 1, v1
	ds_store_b16_d16_hi v1, v2
	;; [unrolled: 24-line block ×7, first 2 shown]
; %bb.211:
	s_wait_alu 0xfffe
	s_or_b32 exec_lo, exec_lo, s0
	s_and_saveexec_b32 s0, s26
; %bb.212:
	v_sub_nc_u32_e32 v1, v9, v7
	s_delay_alu instid0(VALU_DEP_1)
	v_lshlrev_b32_e32 v1, 1, v1
	ds_store_b16 v1, v50
; %bb.213:
	s_wait_alu 0xfffe
	s_or_b32 exec_lo, exec_lo, s0
	v_lshlrev_b64_e32 v[1:2], 1, v[7:8]
	v_mov_b32_e32 v3, 0
	s_wait_kmcnt 0x0
	s_lshl_b64 s[0:1], s[22:23], 1
	s_wait_storecnt 0x0
	s_wait_loadcnt_dscnt 0x0
	s_barrier_signal -1
	s_barrier_wait -1
	v_add_co_u32 v4, vcc_lo, s4, v1
	s_wait_alu 0xfffd
	v_add_co_ci_u32_e64 v2, null, s5, v2, vcc_lo
	global_inv scope:SCOPE_SE
	s_wait_alu 0xfffe
	v_add_co_u32 v4, vcc_lo, v4, s0
	s_wait_alu 0xfffd
	v_add_co_ci_u32_e64 v11, null, s1, v2, vcc_lo
	v_dual_mov_b32 v1, v3 :: v_dual_add_nc_u32 v2, 0x180, v0
	s_mov_b32 s1, 0
	s_delay_alu instid0(VALU_DEP_1)
	v_dual_mov_b32 v10, v1 :: v_dual_mov_b32 v9, v0
.LBB410_214:                            ; =>This Inner Loop Header: Depth=1
	s_delay_alu instid0(VALU_DEP_1) | instskip(NEXT) | instid1(VALU_DEP_2)
	v_lshlrev_b32_e32 v1, 1, v9
	v_lshlrev_b64_e32 v[12:13], 1, v[9:10]
	v_mov_b32_e32 v10, v3
	v_cmp_le_u64_e32 vcc_lo, v[5:6], v[2:3]
	v_dual_mov_b32 v9, v2 :: v_dual_add_nc_u32 v2, 0x180, v2
	ds_load_u16 v1, v1
	v_add_co_u32 v12, s0, v4, v12
	s_wait_alu 0xf1ff
	v_add_co_ci_u32_e64 v13, null, v11, v13, s0
	s_wait_alu 0xfffe
	s_or_b32 s1, vcc_lo, s1
	s_wait_dscnt 0x0
	global_store_b16 v[12:13], v1, off
	s_wait_alu 0xfffe
	s_and_not1_b32 exec_lo, exec_lo, s1
	s_cbranch_execnz .LBB410_214
; %bb.215:
	s_or_b32 exec_lo, exec_lo, s1
	v_cmp_eq_u32_e32 vcc_lo, 0, v0
	s_and_b32 s0, vcc_lo, s24
	s_wait_alu 0xfffe
	s_and_saveexec_b32 s1, s0
	s_cbranch_execz .LBB410_139
.LBB410_216:
	v_add_co_u32 v0, vcc_lo, v7, v5
	s_wait_alu 0xfffd
	v_add_co_ci_u32_e64 v1, null, v8, v6, vcc_lo
	v_mov_b32_e32 v2, 0
	s_wait_kmcnt 0x0
	v_add_co_u32 v0, vcc_lo, v0, s22
	s_wait_alu 0xfffd
	v_add_co_ci_u32_e64 v1, null, s23, v1, vcc_lo
	global_store_b64 v2, v[0:1], s[20:21]
	s_endpgm
	.section	.rodata,"a",@progbits
	.p2align	6, 0x0
	.amdhsa_kernel _ZN7rocprim17ROCPRIM_400000_NS6detail17trampoline_kernelINS0_14default_configENS1_25partition_config_selectorILNS1_17partition_subalgoE6EtNS0_10empty_typeEbEEZZNS1_14partition_implILS5_6ELb0ES3_mN6thrust23THRUST_200600_302600_NS6detail15normal_iteratorINSA_10device_ptrItEEEEPS6_SG_NS0_5tupleIJSF_S6_EEENSH_IJSG_SG_EEES6_PlJNSB_9not_fun_tINSB_14equal_to_valueItEEEEEEE10hipError_tPvRmT3_T4_T5_T6_T7_T9_mT8_P12ihipStream_tbDpT10_ENKUlT_T0_E_clISt17integral_constantIbLb0EES18_EEDaS13_S14_EUlS13_E_NS1_11comp_targetILNS1_3genE10ELNS1_11target_archE1200ELNS1_3gpuE4ELNS1_3repE0EEENS1_30default_config_static_selectorELNS0_4arch9wavefront6targetE0EEEvT1_
		.amdhsa_group_segment_fixed_size 13840
		.amdhsa_private_segment_fixed_size 0
		.amdhsa_kernarg_size 112
		.amdhsa_user_sgpr_count 2
		.amdhsa_user_sgpr_dispatch_ptr 0
		.amdhsa_user_sgpr_queue_ptr 0
		.amdhsa_user_sgpr_kernarg_segment_ptr 1
		.amdhsa_user_sgpr_dispatch_id 0
		.amdhsa_user_sgpr_private_segment_size 0
		.amdhsa_wavefront_size32 1
		.amdhsa_uses_dynamic_stack 0
		.amdhsa_enable_private_segment 0
		.amdhsa_system_sgpr_workgroup_id_x 1
		.amdhsa_system_sgpr_workgroup_id_y 0
		.amdhsa_system_sgpr_workgroup_id_z 0
		.amdhsa_system_sgpr_workgroup_info 0
		.amdhsa_system_vgpr_workitem_id 0
		.amdhsa_next_free_vgpr 73
		.amdhsa_next_free_sgpr 28
		.amdhsa_reserve_vcc 1
		.amdhsa_float_round_mode_32 0
		.amdhsa_float_round_mode_16_64 0
		.amdhsa_float_denorm_mode_32 3
		.amdhsa_float_denorm_mode_16_64 3
		.amdhsa_fp16_overflow 0
		.amdhsa_workgroup_processor_mode 1
		.amdhsa_memory_ordered 1
		.amdhsa_forward_progress 1
		.amdhsa_inst_pref_size 92
		.amdhsa_round_robin_scheduling 0
		.amdhsa_exception_fp_ieee_invalid_op 0
		.amdhsa_exception_fp_denorm_src 0
		.amdhsa_exception_fp_ieee_div_zero 0
		.amdhsa_exception_fp_ieee_overflow 0
		.amdhsa_exception_fp_ieee_underflow 0
		.amdhsa_exception_fp_ieee_inexact 0
		.amdhsa_exception_int_div_zero 0
	.end_amdhsa_kernel
	.section	.text._ZN7rocprim17ROCPRIM_400000_NS6detail17trampoline_kernelINS0_14default_configENS1_25partition_config_selectorILNS1_17partition_subalgoE6EtNS0_10empty_typeEbEEZZNS1_14partition_implILS5_6ELb0ES3_mN6thrust23THRUST_200600_302600_NS6detail15normal_iteratorINSA_10device_ptrItEEEEPS6_SG_NS0_5tupleIJSF_S6_EEENSH_IJSG_SG_EEES6_PlJNSB_9not_fun_tINSB_14equal_to_valueItEEEEEEE10hipError_tPvRmT3_T4_T5_T6_T7_T9_mT8_P12ihipStream_tbDpT10_ENKUlT_T0_E_clISt17integral_constantIbLb0EES18_EEDaS13_S14_EUlS13_E_NS1_11comp_targetILNS1_3genE10ELNS1_11target_archE1200ELNS1_3gpuE4ELNS1_3repE0EEENS1_30default_config_static_selectorELNS0_4arch9wavefront6targetE0EEEvT1_,"axG",@progbits,_ZN7rocprim17ROCPRIM_400000_NS6detail17trampoline_kernelINS0_14default_configENS1_25partition_config_selectorILNS1_17partition_subalgoE6EtNS0_10empty_typeEbEEZZNS1_14partition_implILS5_6ELb0ES3_mN6thrust23THRUST_200600_302600_NS6detail15normal_iteratorINSA_10device_ptrItEEEEPS6_SG_NS0_5tupleIJSF_S6_EEENSH_IJSG_SG_EEES6_PlJNSB_9not_fun_tINSB_14equal_to_valueItEEEEEEE10hipError_tPvRmT3_T4_T5_T6_T7_T9_mT8_P12ihipStream_tbDpT10_ENKUlT_T0_E_clISt17integral_constantIbLb0EES18_EEDaS13_S14_EUlS13_E_NS1_11comp_targetILNS1_3genE10ELNS1_11target_archE1200ELNS1_3gpuE4ELNS1_3repE0EEENS1_30default_config_static_selectorELNS0_4arch9wavefront6targetE0EEEvT1_,comdat
.Lfunc_end410:
	.size	_ZN7rocprim17ROCPRIM_400000_NS6detail17trampoline_kernelINS0_14default_configENS1_25partition_config_selectorILNS1_17partition_subalgoE6EtNS0_10empty_typeEbEEZZNS1_14partition_implILS5_6ELb0ES3_mN6thrust23THRUST_200600_302600_NS6detail15normal_iteratorINSA_10device_ptrItEEEEPS6_SG_NS0_5tupleIJSF_S6_EEENSH_IJSG_SG_EEES6_PlJNSB_9not_fun_tINSB_14equal_to_valueItEEEEEEE10hipError_tPvRmT3_T4_T5_T6_T7_T9_mT8_P12ihipStream_tbDpT10_ENKUlT_T0_E_clISt17integral_constantIbLb0EES18_EEDaS13_S14_EUlS13_E_NS1_11comp_targetILNS1_3genE10ELNS1_11target_archE1200ELNS1_3gpuE4ELNS1_3repE0EEENS1_30default_config_static_selectorELNS0_4arch9wavefront6targetE0EEEvT1_, .Lfunc_end410-_ZN7rocprim17ROCPRIM_400000_NS6detail17trampoline_kernelINS0_14default_configENS1_25partition_config_selectorILNS1_17partition_subalgoE6EtNS0_10empty_typeEbEEZZNS1_14partition_implILS5_6ELb0ES3_mN6thrust23THRUST_200600_302600_NS6detail15normal_iteratorINSA_10device_ptrItEEEEPS6_SG_NS0_5tupleIJSF_S6_EEENSH_IJSG_SG_EEES6_PlJNSB_9not_fun_tINSB_14equal_to_valueItEEEEEEE10hipError_tPvRmT3_T4_T5_T6_T7_T9_mT8_P12ihipStream_tbDpT10_ENKUlT_T0_E_clISt17integral_constantIbLb0EES18_EEDaS13_S14_EUlS13_E_NS1_11comp_targetILNS1_3genE10ELNS1_11target_archE1200ELNS1_3gpuE4ELNS1_3repE0EEENS1_30default_config_static_selectorELNS0_4arch9wavefront6targetE0EEEvT1_
                                        ; -- End function
	.set _ZN7rocprim17ROCPRIM_400000_NS6detail17trampoline_kernelINS0_14default_configENS1_25partition_config_selectorILNS1_17partition_subalgoE6EtNS0_10empty_typeEbEEZZNS1_14partition_implILS5_6ELb0ES3_mN6thrust23THRUST_200600_302600_NS6detail15normal_iteratorINSA_10device_ptrItEEEEPS6_SG_NS0_5tupleIJSF_S6_EEENSH_IJSG_SG_EEES6_PlJNSB_9not_fun_tINSB_14equal_to_valueItEEEEEEE10hipError_tPvRmT3_T4_T5_T6_T7_T9_mT8_P12ihipStream_tbDpT10_ENKUlT_T0_E_clISt17integral_constantIbLb0EES18_EEDaS13_S14_EUlS13_E_NS1_11comp_targetILNS1_3genE10ELNS1_11target_archE1200ELNS1_3gpuE4ELNS1_3repE0EEENS1_30default_config_static_selectorELNS0_4arch9wavefront6targetE0EEEvT1_.num_vgpr, 73
	.set _ZN7rocprim17ROCPRIM_400000_NS6detail17trampoline_kernelINS0_14default_configENS1_25partition_config_selectorILNS1_17partition_subalgoE6EtNS0_10empty_typeEbEEZZNS1_14partition_implILS5_6ELb0ES3_mN6thrust23THRUST_200600_302600_NS6detail15normal_iteratorINSA_10device_ptrItEEEEPS6_SG_NS0_5tupleIJSF_S6_EEENSH_IJSG_SG_EEES6_PlJNSB_9not_fun_tINSB_14equal_to_valueItEEEEEEE10hipError_tPvRmT3_T4_T5_T6_T7_T9_mT8_P12ihipStream_tbDpT10_ENKUlT_T0_E_clISt17integral_constantIbLb0EES18_EEDaS13_S14_EUlS13_E_NS1_11comp_targetILNS1_3genE10ELNS1_11target_archE1200ELNS1_3gpuE4ELNS1_3repE0EEENS1_30default_config_static_selectorELNS0_4arch9wavefront6targetE0EEEvT1_.num_agpr, 0
	.set _ZN7rocprim17ROCPRIM_400000_NS6detail17trampoline_kernelINS0_14default_configENS1_25partition_config_selectorILNS1_17partition_subalgoE6EtNS0_10empty_typeEbEEZZNS1_14partition_implILS5_6ELb0ES3_mN6thrust23THRUST_200600_302600_NS6detail15normal_iteratorINSA_10device_ptrItEEEEPS6_SG_NS0_5tupleIJSF_S6_EEENSH_IJSG_SG_EEES6_PlJNSB_9not_fun_tINSB_14equal_to_valueItEEEEEEE10hipError_tPvRmT3_T4_T5_T6_T7_T9_mT8_P12ihipStream_tbDpT10_ENKUlT_T0_E_clISt17integral_constantIbLb0EES18_EEDaS13_S14_EUlS13_E_NS1_11comp_targetILNS1_3genE10ELNS1_11target_archE1200ELNS1_3gpuE4ELNS1_3repE0EEENS1_30default_config_static_selectorELNS0_4arch9wavefront6targetE0EEEvT1_.numbered_sgpr, 28
	.set _ZN7rocprim17ROCPRIM_400000_NS6detail17trampoline_kernelINS0_14default_configENS1_25partition_config_selectorILNS1_17partition_subalgoE6EtNS0_10empty_typeEbEEZZNS1_14partition_implILS5_6ELb0ES3_mN6thrust23THRUST_200600_302600_NS6detail15normal_iteratorINSA_10device_ptrItEEEEPS6_SG_NS0_5tupleIJSF_S6_EEENSH_IJSG_SG_EEES6_PlJNSB_9not_fun_tINSB_14equal_to_valueItEEEEEEE10hipError_tPvRmT3_T4_T5_T6_T7_T9_mT8_P12ihipStream_tbDpT10_ENKUlT_T0_E_clISt17integral_constantIbLb0EES18_EEDaS13_S14_EUlS13_E_NS1_11comp_targetILNS1_3genE10ELNS1_11target_archE1200ELNS1_3gpuE4ELNS1_3repE0EEENS1_30default_config_static_selectorELNS0_4arch9wavefront6targetE0EEEvT1_.num_named_barrier, 0
	.set _ZN7rocprim17ROCPRIM_400000_NS6detail17trampoline_kernelINS0_14default_configENS1_25partition_config_selectorILNS1_17partition_subalgoE6EtNS0_10empty_typeEbEEZZNS1_14partition_implILS5_6ELb0ES3_mN6thrust23THRUST_200600_302600_NS6detail15normal_iteratorINSA_10device_ptrItEEEEPS6_SG_NS0_5tupleIJSF_S6_EEENSH_IJSG_SG_EEES6_PlJNSB_9not_fun_tINSB_14equal_to_valueItEEEEEEE10hipError_tPvRmT3_T4_T5_T6_T7_T9_mT8_P12ihipStream_tbDpT10_ENKUlT_T0_E_clISt17integral_constantIbLb0EES18_EEDaS13_S14_EUlS13_E_NS1_11comp_targetILNS1_3genE10ELNS1_11target_archE1200ELNS1_3gpuE4ELNS1_3repE0EEENS1_30default_config_static_selectorELNS0_4arch9wavefront6targetE0EEEvT1_.private_seg_size, 0
	.set _ZN7rocprim17ROCPRIM_400000_NS6detail17trampoline_kernelINS0_14default_configENS1_25partition_config_selectorILNS1_17partition_subalgoE6EtNS0_10empty_typeEbEEZZNS1_14partition_implILS5_6ELb0ES3_mN6thrust23THRUST_200600_302600_NS6detail15normal_iteratorINSA_10device_ptrItEEEEPS6_SG_NS0_5tupleIJSF_S6_EEENSH_IJSG_SG_EEES6_PlJNSB_9not_fun_tINSB_14equal_to_valueItEEEEEEE10hipError_tPvRmT3_T4_T5_T6_T7_T9_mT8_P12ihipStream_tbDpT10_ENKUlT_T0_E_clISt17integral_constantIbLb0EES18_EEDaS13_S14_EUlS13_E_NS1_11comp_targetILNS1_3genE10ELNS1_11target_archE1200ELNS1_3gpuE4ELNS1_3repE0EEENS1_30default_config_static_selectorELNS0_4arch9wavefront6targetE0EEEvT1_.uses_vcc, 1
	.set _ZN7rocprim17ROCPRIM_400000_NS6detail17trampoline_kernelINS0_14default_configENS1_25partition_config_selectorILNS1_17partition_subalgoE6EtNS0_10empty_typeEbEEZZNS1_14partition_implILS5_6ELb0ES3_mN6thrust23THRUST_200600_302600_NS6detail15normal_iteratorINSA_10device_ptrItEEEEPS6_SG_NS0_5tupleIJSF_S6_EEENSH_IJSG_SG_EEES6_PlJNSB_9not_fun_tINSB_14equal_to_valueItEEEEEEE10hipError_tPvRmT3_T4_T5_T6_T7_T9_mT8_P12ihipStream_tbDpT10_ENKUlT_T0_E_clISt17integral_constantIbLb0EES18_EEDaS13_S14_EUlS13_E_NS1_11comp_targetILNS1_3genE10ELNS1_11target_archE1200ELNS1_3gpuE4ELNS1_3repE0EEENS1_30default_config_static_selectorELNS0_4arch9wavefront6targetE0EEEvT1_.uses_flat_scratch, 1
	.set _ZN7rocprim17ROCPRIM_400000_NS6detail17trampoline_kernelINS0_14default_configENS1_25partition_config_selectorILNS1_17partition_subalgoE6EtNS0_10empty_typeEbEEZZNS1_14partition_implILS5_6ELb0ES3_mN6thrust23THRUST_200600_302600_NS6detail15normal_iteratorINSA_10device_ptrItEEEEPS6_SG_NS0_5tupleIJSF_S6_EEENSH_IJSG_SG_EEES6_PlJNSB_9not_fun_tINSB_14equal_to_valueItEEEEEEE10hipError_tPvRmT3_T4_T5_T6_T7_T9_mT8_P12ihipStream_tbDpT10_ENKUlT_T0_E_clISt17integral_constantIbLb0EES18_EEDaS13_S14_EUlS13_E_NS1_11comp_targetILNS1_3genE10ELNS1_11target_archE1200ELNS1_3gpuE4ELNS1_3repE0EEENS1_30default_config_static_selectorELNS0_4arch9wavefront6targetE0EEEvT1_.has_dyn_sized_stack, 0
	.set _ZN7rocprim17ROCPRIM_400000_NS6detail17trampoline_kernelINS0_14default_configENS1_25partition_config_selectorILNS1_17partition_subalgoE6EtNS0_10empty_typeEbEEZZNS1_14partition_implILS5_6ELb0ES3_mN6thrust23THRUST_200600_302600_NS6detail15normal_iteratorINSA_10device_ptrItEEEEPS6_SG_NS0_5tupleIJSF_S6_EEENSH_IJSG_SG_EEES6_PlJNSB_9not_fun_tINSB_14equal_to_valueItEEEEEEE10hipError_tPvRmT3_T4_T5_T6_T7_T9_mT8_P12ihipStream_tbDpT10_ENKUlT_T0_E_clISt17integral_constantIbLb0EES18_EEDaS13_S14_EUlS13_E_NS1_11comp_targetILNS1_3genE10ELNS1_11target_archE1200ELNS1_3gpuE4ELNS1_3repE0EEENS1_30default_config_static_selectorELNS0_4arch9wavefront6targetE0EEEvT1_.has_recursion, 0
	.set _ZN7rocprim17ROCPRIM_400000_NS6detail17trampoline_kernelINS0_14default_configENS1_25partition_config_selectorILNS1_17partition_subalgoE6EtNS0_10empty_typeEbEEZZNS1_14partition_implILS5_6ELb0ES3_mN6thrust23THRUST_200600_302600_NS6detail15normal_iteratorINSA_10device_ptrItEEEEPS6_SG_NS0_5tupleIJSF_S6_EEENSH_IJSG_SG_EEES6_PlJNSB_9not_fun_tINSB_14equal_to_valueItEEEEEEE10hipError_tPvRmT3_T4_T5_T6_T7_T9_mT8_P12ihipStream_tbDpT10_ENKUlT_T0_E_clISt17integral_constantIbLb0EES18_EEDaS13_S14_EUlS13_E_NS1_11comp_targetILNS1_3genE10ELNS1_11target_archE1200ELNS1_3gpuE4ELNS1_3repE0EEENS1_30default_config_static_selectorELNS0_4arch9wavefront6targetE0EEEvT1_.has_indirect_call, 0
	.section	.AMDGPU.csdata,"",@progbits
; Kernel info:
; codeLenInByte = 11656
; TotalNumSgprs: 30
; NumVgprs: 73
; ScratchSize: 0
; MemoryBound: 0
; FloatMode: 240
; IeeeMode: 1
; LDSByteSize: 13840 bytes/workgroup (compile time only)
; SGPRBlocks: 0
; VGPRBlocks: 9
; NumSGPRsForWavesPerEU: 30
; NumVGPRsForWavesPerEU: 73
; Occupancy: 15
; WaveLimiterHint : 1
; COMPUTE_PGM_RSRC2:SCRATCH_EN: 0
; COMPUTE_PGM_RSRC2:USER_SGPR: 2
; COMPUTE_PGM_RSRC2:TRAP_HANDLER: 0
; COMPUTE_PGM_RSRC2:TGID_X_EN: 1
; COMPUTE_PGM_RSRC2:TGID_Y_EN: 0
; COMPUTE_PGM_RSRC2:TGID_Z_EN: 0
; COMPUTE_PGM_RSRC2:TIDIG_COMP_CNT: 0
	.section	.text._ZN7rocprim17ROCPRIM_400000_NS6detail17trampoline_kernelINS0_14default_configENS1_25partition_config_selectorILNS1_17partition_subalgoE6EtNS0_10empty_typeEbEEZZNS1_14partition_implILS5_6ELb0ES3_mN6thrust23THRUST_200600_302600_NS6detail15normal_iteratorINSA_10device_ptrItEEEEPS6_SG_NS0_5tupleIJSF_S6_EEENSH_IJSG_SG_EEES6_PlJNSB_9not_fun_tINSB_14equal_to_valueItEEEEEEE10hipError_tPvRmT3_T4_T5_T6_T7_T9_mT8_P12ihipStream_tbDpT10_ENKUlT_T0_E_clISt17integral_constantIbLb0EES18_EEDaS13_S14_EUlS13_E_NS1_11comp_targetILNS1_3genE9ELNS1_11target_archE1100ELNS1_3gpuE3ELNS1_3repE0EEENS1_30default_config_static_selectorELNS0_4arch9wavefront6targetE0EEEvT1_,"axG",@progbits,_ZN7rocprim17ROCPRIM_400000_NS6detail17trampoline_kernelINS0_14default_configENS1_25partition_config_selectorILNS1_17partition_subalgoE6EtNS0_10empty_typeEbEEZZNS1_14partition_implILS5_6ELb0ES3_mN6thrust23THRUST_200600_302600_NS6detail15normal_iteratorINSA_10device_ptrItEEEEPS6_SG_NS0_5tupleIJSF_S6_EEENSH_IJSG_SG_EEES6_PlJNSB_9not_fun_tINSB_14equal_to_valueItEEEEEEE10hipError_tPvRmT3_T4_T5_T6_T7_T9_mT8_P12ihipStream_tbDpT10_ENKUlT_T0_E_clISt17integral_constantIbLb0EES18_EEDaS13_S14_EUlS13_E_NS1_11comp_targetILNS1_3genE9ELNS1_11target_archE1100ELNS1_3gpuE3ELNS1_3repE0EEENS1_30default_config_static_selectorELNS0_4arch9wavefront6targetE0EEEvT1_,comdat
	.protected	_ZN7rocprim17ROCPRIM_400000_NS6detail17trampoline_kernelINS0_14default_configENS1_25partition_config_selectorILNS1_17partition_subalgoE6EtNS0_10empty_typeEbEEZZNS1_14partition_implILS5_6ELb0ES3_mN6thrust23THRUST_200600_302600_NS6detail15normal_iteratorINSA_10device_ptrItEEEEPS6_SG_NS0_5tupleIJSF_S6_EEENSH_IJSG_SG_EEES6_PlJNSB_9not_fun_tINSB_14equal_to_valueItEEEEEEE10hipError_tPvRmT3_T4_T5_T6_T7_T9_mT8_P12ihipStream_tbDpT10_ENKUlT_T0_E_clISt17integral_constantIbLb0EES18_EEDaS13_S14_EUlS13_E_NS1_11comp_targetILNS1_3genE9ELNS1_11target_archE1100ELNS1_3gpuE3ELNS1_3repE0EEENS1_30default_config_static_selectorELNS0_4arch9wavefront6targetE0EEEvT1_ ; -- Begin function _ZN7rocprim17ROCPRIM_400000_NS6detail17trampoline_kernelINS0_14default_configENS1_25partition_config_selectorILNS1_17partition_subalgoE6EtNS0_10empty_typeEbEEZZNS1_14partition_implILS5_6ELb0ES3_mN6thrust23THRUST_200600_302600_NS6detail15normal_iteratorINSA_10device_ptrItEEEEPS6_SG_NS0_5tupleIJSF_S6_EEENSH_IJSG_SG_EEES6_PlJNSB_9not_fun_tINSB_14equal_to_valueItEEEEEEE10hipError_tPvRmT3_T4_T5_T6_T7_T9_mT8_P12ihipStream_tbDpT10_ENKUlT_T0_E_clISt17integral_constantIbLb0EES18_EEDaS13_S14_EUlS13_E_NS1_11comp_targetILNS1_3genE9ELNS1_11target_archE1100ELNS1_3gpuE3ELNS1_3repE0EEENS1_30default_config_static_selectorELNS0_4arch9wavefront6targetE0EEEvT1_
	.globl	_ZN7rocprim17ROCPRIM_400000_NS6detail17trampoline_kernelINS0_14default_configENS1_25partition_config_selectorILNS1_17partition_subalgoE6EtNS0_10empty_typeEbEEZZNS1_14partition_implILS5_6ELb0ES3_mN6thrust23THRUST_200600_302600_NS6detail15normal_iteratorINSA_10device_ptrItEEEEPS6_SG_NS0_5tupleIJSF_S6_EEENSH_IJSG_SG_EEES6_PlJNSB_9not_fun_tINSB_14equal_to_valueItEEEEEEE10hipError_tPvRmT3_T4_T5_T6_T7_T9_mT8_P12ihipStream_tbDpT10_ENKUlT_T0_E_clISt17integral_constantIbLb0EES18_EEDaS13_S14_EUlS13_E_NS1_11comp_targetILNS1_3genE9ELNS1_11target_archE1100ELNS1_3gpuE3ELNS1_3repE0EEENS1_30default_config_static_selectorELNS0_4arch9wavefront6targetE0EEEvT1_
	.p2align	8
	.type	_ZN7rocprim17ROCPRIM_400000_NS6detail17trampoline_kernelINS0_14default_configENS1_25partition_config_selectorILNS1_17partition_subalgoE6EtNS0_10empty_typeEbEEZZNS1_14partition_implILS5_6ELb0ES3_mN6thrust23THRUST_200600_302600_NS6detail15normal_iteratorINSA_10device_ptrItEEEEPS6_SG_NS0_5tupleIJSF_S6_EEENSH_IJSG_SG_EEES6_PlJNSB_9not_fun_tINSB_14equal_to_valueItEEEEEEE10hipError_tPvRmT3_T4_T5_T6_T7_T9_mT8_P12ihipStream_tbDpT10_ENKUlT_T0_E_clISt17integral_constantIbLb0EES18_EEDaS13_S14_EUlS13_E_NS1_11comp_targetILNS1_3genE9ELNS1_11target_archE1100ELNS1_3gpuE3ELNS1_3repE0EEENS1_30default_config_static_selectorELNS0_4arch9wavefront6targetE0EEEvT1_,@function
_ZN7rocprim17ROCPRIM_400000_NS6detail17trampoline_kernelINS0_14default_configENS1_25partition_config_selectorILNS1_17partition_subalgoE6EtNS0_10empty_typeEbEEZZNS1_14partition_implILS5_6ELb0ES3_mN6thrust23THRUST_200600_302600_NS6detail15normal_iteratorINSA_10device_ptrItEEEEPS6_SG_NS0_5tupleIJSF_S6_EEENSH_IJSG_SG_EEES6_PlJNSB_9not_fun_tINSB_14equal_to_valueItEEEEEEE10hipError_tPvRmT3_T4_T5_T6_T7_T9_mT8_P12ihipStream_tbDpT10_ENKUlT_T0_E_clISt17integral_constantIbLb0EES18_EEDaS13_S14_EUlS13_E_NS1_11comp_targetILNS1_3genE9ELNS1_11target_archE1100ELNS1_3gpuE3ELNS1_3repE0EEENS1_30default_config_static_selectorELNS0_4arch9wavefront6targetE0EEEvT1_: ; @_ZN7rocprim17ROCPRIM_400000_NS6detail17trampoline_kernelINS0_14default_configENS1_25partition_config_selectorILNS1_17partition_subalgoE6EtNS0_10empty_typeEbEEZZNS1_14partition_implILS5_6ELb0ES3_mN6thrust23THRUST_200600_302600_NS6detail15normal_iteratorINSA_10device_ptrItEEEEPS6_SG_NS0_5tupleIJSF_S6_EEENSH_IJSG_SG_EEES6_PlJNSB_9not_fun_tINSB_14equal_to_valueItEEEEEEE10hipError_tPvRmT3_T4_T5_T6_T7_T9_mT8_P12ihipStream_tbDpT10_ENKUlT_T0_E_clISt17integral_constantIbLb0EES18_EEDaS13_S14_EUlS13_E_NS1_11comp_targetILNS1_3genE9ELNS1_11target_archE1100ELNS1_3gpuE3ELNS1_3repE0EEENS1_30default_config_static_selectorELNS0_4arch9wavefront6targetE0EEEvT1_
; %bb.0:
	.section	.rodata,"a",@progbits
	.p2align	6, 0x0
	.amdhsa_kernel _ZN7rocprim17ROCPRIM_400000_NS6detail17trampoline_kernelINS0_14default_configENS1_25partition_config_selectorILNS1_17partition_subalgoE6EtNS0_10empty_typeEbEEZZNS1_14partition_implILS5_6ELb0ES3_mN6thrust23THRUST_200600_302600_NS6detail15normal_iteratorINSA_10device_ptrItEEEEPS6_SG_NS0_5tupleIJSF_S6_EEENSH_IJSG_SG_EEES6_PlJNSB_9not_fun_tINSB_14equal_to_valueItEEEEEEE10hipError_tPvRmT3_T4_T5_T6_T7_T9_mT8_P12ihipStream_tbDpT10_ENKUlT_T0_E_clISt17integral_constantIbLb0EES18_EEDaS13_S14_EUlS13_E_NS1_11comp_targetILNS1_3genE9ELNS1_11target_archE1100ELNS1_3gpuE3ELNS1_3repE0EEENS1_30default_config_static_selectorELNS0_4arch9wavefront6targetE0EEEvT1_
		.amdhsa_group_segment_fixed_size 0
		.amdhsa_private_segment_fixed_size 0
		.amdhsa_kernarg_size 112
		.amdhsa_user_sgpr_count 2
		.amdhsa_user_sgpr_dispatch_ptr 0
		.amdhsa_user_sgpr_queue_ptr 0
		.amdhsa_user_sgpr_kernarg_segment_ptr 1
		.amdhsa_user_sgpr_dispatch_id 0
		.amdhsa_user_sgpr_private_segment_size 0
		.amdhsa_wavefront_size32 1
		.amdhsa_uses_dynamic_stack 0
		.amdhsa_enable_private_segment 0
		.amdhsa_system_sgpr_workgroup_id_x 1
		.amdhsa_system_sgpr_workgroup_id_y 0
		.amdhsa_system_sgpr_workgroup_id_z 0
		.amdhsa_system_sgpr_workgroup_info 0
		.amdhsa_system_vgpr_workitem_id 0
		.amdhsa_next_free_vgpr 1
		.amdhsa_next_free_sgpr 1
		.amdhsa_reserve_vcc 0
		.amdhsa_float_round_mode_32 0
		.amdhsa_float_round_mode_16_64 0
		.amdhsa_float_denorm_mode_32 3
		.amdhsa_float_denorm_mode_16_64 3
		.amdhsa_fp16_overflow 0
		.amdhsa_workgroup_processor_mode 1
		.amdhsa_memory_ordered 1
		.amdhsa_forward_progress 1
		.amdhsa_inst_pref_size 0
		.amdhsa_round_robin_scheduling 0
		.amdhsa_exception_fp_ieee_invalid_op 0
		.amdhsa_exception_fp_denorm_src 0
		.amdhsa_exception_fp_ieee_div_zero 0
		.amdhsa_exception_fp_ieee_overflow 0
		.amdhsa_exception_fp_ieee_underflow 0
		.amdhsa_exception_fp_ieee_inexact 0
		.amdhsa_exception_int_div_zero 0
	.end_amdhsa_kernel
	.section	.text._ZN7rocprim17ROCPRIM_400000_NS6detail17trampoline_kernelINS0_14default_configENS1_25partition_config_selectorILNS1_17partition_subalgoE6EtNS0_10empty_typeEbEEZZNS1_14partition_implILS5_6ELb0ES3_mN6thrust23THRUST_200600_302600_NS6detail15normal_iteratorINSA_10device_ptrItEEEEPS6_SG_NS0_5tupleIJSF_S6_EEENSH_IJSG_SG_EEES6_PlJNSB_9not_fun_tINSB_14equal_to_valueItEEEEEEE10hipError_tPvRmT3_T4_T5_T6_T7_T9_mT8_P12ihipStream_tbDpT10_ENKUlT_T0_E_clISt17integral_constantIbLb0EES18_EEDaS13_S14_EUlS13_E_NS1_11comp_targetILNS1_3genE9ELNS1_11target_archE1100ELNS1_3gpuE3ELNS1_3repE0EEENS1_30default_config_static_selectorELNS0_4arch9wavefront6targetE0EEEvT1_,"axG",@progbits,_ZN7rocprim17ROCPRIM_400000_NS6detail17trampoline_kernelINS0_14default_configENS1_25partition_config_selectorILNS1_17partition_subalgoE6EtNS0_10empty_typeEbEEZZNS1_14partition_implILS5_6ELb0ES3_mN6thrust23THRUST_200600_302600_NS6detail15normal_iteratorINSA_10device_ptrItEEEEPS6_SG_NS0_5tupleIJSF_S6_EEENSH_IJSG_SG_EEES6_PlJNSB_9not_fun_tINSB_14equal_to_valueItEEEEEEE10hipError_tPvRmT3_T4_T5_T6_T7_T9_mT8_P12ihipStream_tbDpT10_ENKUlT_T0_E_clISt17integral_constantIbLb0EES18_EEDaS13_S14_EUlS13_E_NS1_11comp_targetILNS1_3genE9ELNS1_11target_archE1100ELNS1_3gpuE3ELNS1_3repE0EEENS1_30default_config_static_selectorELNS0_4arch9wavefront6targetE0EEEvT1_,comdat
.Lfunc_end411:
	.size	_ZN7rocprim17ROCPRIM_400000_NS6detail17trampoline_kernelINS0_14default_configENS1_25partition_config_selectorILNS1_17partition_subalgoE6EtNS0_10empty_typeEbEEZZNS1_14partition_implILS5_6ELb0ES3_mN6thrust23THRUST_200600_302600_NS6detail15normal_iteratorINSA_10device_ptrItEEEEPS6_SG_NS0_5tupleIJSF_S6_EEENSH_IJSG_SG_EEES6_PlJNSB_9not_fun_tINSB_14equal_to_valueItEEEEEEE10hipError_tPvRmT3_T4_T5_T6_T7_T9_mT8_P12ihipStream_tbDpT10_ENKUlT_T0_E_clISt17integral_constantIbLb0EES18_EEDaS13_S14_EUlS13_E_NS1_11comp_targetILNS1_3genE9ELNS1_11target_archE1100ELNS1_3gpuE3ELNS1_3repE0EEENS1_30default_config_static_selectorELNS0_4arch9wavefront6targetE0EEEvT1_, .Lfunc_end411-_ZN7rocprim17ROCPRIM_400000_NS6detail17trampoline_kernelINS0_14default_configENS1_25partition_config_selectorILNS1_17partition_subalgoE6EtNS0_10empty_typeEbEEZZNS1_14partition_implILS5_6ELb0ES3_mN6thrust23THRUST_200600_302600_NS6detail15normal_iteratorINSA_10device_ptrItEEEEPS6_SG_NS0_5tupleIJSF_S6_EEENSH_IJSG_SG_EEES6_PlJNSB_9not_fun_tINSB_14equal_to_valueItEEEEEEE10hipError_tPvRmT3_T4_T5_T6_T7_T9_mT8_P12ihipStream_tbDpT10_ENKUlT_T0_E_clISt17integral_constantIbLb0EES18_EEDaS13_S14_EUlS13_E_NS1_11comp_targetILNS1_3genE9ELNS1_11target_archE1100ELNS1_3gpuE3ELNS1_3repE0EEENS1_30default_config_static_selectorELNS0_4arch9wavefront6targetE0EEEvT1_
                                        ; -- End function
	.set _ZN7rocprim17ROCPRIM_400000_NS6detail17trampoline_kernelINS0_14default_configENS1_25partition_config_selectorILNS1_17partition_subalgoE6EtNS0_10empty_typeEbEEZZNS1_14partition_implILS5_6ELb0ES3_mN6thrust23THRUST_200600_302600_NS6detail15normal_iteratorINSA_10device_ptrItEEEEPS6_SG_NS0_5tupleIJSF_S6_EEENSH_IJSG_SG_EEES6_PlJNSB_9not_fun_tINSB_14equal_to_valueItEEEEEEE10hipError_tPvRmT3_T4_T5_T6_T7_T9_mT8_P12ihipStream_tbDpT10_ENKUlT_T0_E_clISt17integral_constantIbLb0EES18_EEDaS13_S14_EUlS13_E_NS1_11comp_targetILNS1_3genE9ELNS1_11target_archE1100ELNS1_3gpuE3ELNS1_3repE0EEENS1_30default_config_static_selectorELNS0_4arch9wavefront6targetE0EEEvT1_.num_vgpr, 0
	.set _ZN7rocprim17ROCPRIM_400000_NS6detail17trampoline_kernelINS0_14default_configENS1_25partition_config_selectorILNS1_17partition_subalgoE6EtNS0_10empty_typeEbEEZZNS1_14partition_implILS5_6ELb0ES3_mN6thrust23THRUST_200600_302600_NS6detail15normal_iteratorINSA_10device_ptrItEEEEPS6_SG_NS0_5tupleIJSF_S6_EEENSH_IJSG_SG_EEES6_PlJNSB_9not_fun_tINSB_14equal_to_valueItEEEEEEE10hipError_tPvRmT3_T4_T5_T6_T7_T9_mT8_P12ihipStream_tbDpT10_ENKUlT_T0_E_clISt17integral_constantIbLb0EES18_EEDaS13_S14_EUlS13_E_NS1_11comp_targetILNS1_3genE9ELNS1_11target_archE1100ELNS1_3gpuE3ELNS1_3repE0EEENS1_30default_config_static_selectorELNS0_4arch9wavefront6targetE0EEEvT1_.num_agpr, 0
	.set _ZN7rocprim17ROCPRIM_400000_NS6detail17trampoline_kernelINS0_14default_configENS1_25partition_config_selectorILNS1_17partition_subalgoE6EtNS0_10empty_typeEbEEZZNS1_14partition_implILS5_6ELb0ES3_mN6thrust23THRUST_200600_302600_NS6detail15normal_iteratorINSA_10device_ptrItEEEEPS6_SG_NS0_5tupleIJSF_S6_EEENSH_IJSG_SG_EEES6_PlJNSB_9not_fun_tINSB_14equal_to_valueItEEEEEEE10hipError_tPvRmT3_T4_T5_T6_T7_T9_mT8_P12ihipStream_tbDpT10_ENKUlT_T0_E_clISt17integral_constantIbLb0EES18_EEDaS13_S14_EUlS13_E_NS1_11comp_targetILNS1_3genE9ELNS1_11target_archE1100ELNS1_3gpuE3ELNS1_3repE0EEENS1_30default_config_static_selectorELNS0_4arch9wavefront6targetE0EEEvT1_.numbered_sgpr, 0
	.set _ZN7rocprim17ROCPRIM_400000_NS6detail17trampoline_kernelINS0_14default_configENS1_25partition_config_selectorILNS1_17partition_subalgoE6EtNS0_10empty_typeEbEEZZNS1_14partition_implILS5_6ELb0ES3_mN6thrust23THRUST_200600_302600_NS6detail15normal_iteratorINSA_10device_ptrItEEEEPS6_SG_NS0_5tupleIJSF_S6_EEENSH_IJSG_SG_EEES6_PlJNSB_9not_fun_tINSB_14equal_to_valueItEEEEEEE10hipError_tPvRmT3_T4_T5_T6_T7_T9_mT8_P12ihipStream_tbDpT10_ENKUlT_T0_E_clISt17integral_constantIbLb0EES18_EEDaS13_S14_EUlS13_E_NS1_11comp_targetILNS1_3genE9ELNS1_11target_archE1100ELNS1_3gpuE3ELNS1_3repE0EEENS1_30default_config_static_selectorELNS0_4arch9wavefront6targetE0EEEvT1_.num_named_barrier, 0
	.set _ZN7rocprim17ROCPRIM_400000_NS6detail17trampoline_kernelINS0_14default_configENS1_25partition_config_selectorILNS1_17partition_subalgoE6EtNS0_10empty_typeEbEEZZNS1_14partition_implILS5_6ELb0ES3_mN6thrust23THRUST_200600_302600_NS6detail15normal_iteratorINSA_10device_ptrItEEEEPS6_SG_NS0_5tupleIJSF_S6_EEENSH_IJSG_SG_EEES6_PlJNSB_9not_fun_tINSB_14equal_to_valueItEEEEEEE10hipError_tPvRmT3_T4_T5_T6_T7_T9_mT8_P12ihipStream_tbDpT10_ENKUlT_T0_E_clISt17integral_constantIbLb0EES18_EEDaS13_S14_EUlS13_E_NS1_11comp_targetILNS1_3genE9ELNS1_11target_archE1100ELNS1_3gpuE3ELNS1_3repE0EEENS1_30default_config_static_selectorELNS0_4arch9wavefront6targetE0EEEvT1_.private_seg_size, 0
	.set _ZN7rocprim17ROCPRIM_400000_NS6detail17trampoline_kernelINS0_14default_configENS1_25partition_config_selectorILNS1_17partition_subalgoE6EtNS0_10empty_typeEbEEZZNS1_14partition_implILS5_6ELb0ES3_mN6thrust23THRUST_200600_302600_NS6detail15normal_iteratorINSA_10device_ptrItEEEEPS6_SG_NS0_5tupleIJSF_S6_EEENSH_IJSG_SG_EEES6_PlJNSB_9not_fun_tINSB_14equal_to_valueItEEEEEEE10hipError_tPvRmT3_T4_T5_T6_T7_T9_mT8_P12ihipStream_tbDpT10_ENKUlT_T0_E_clISt17integral_constantIbLb0EES18_EEDaS13_S14_EUlS13_E_NS1_11comp_targetILNS1_3genE9ELNS1_11target_archE1100ELNS1_3gpuE3ELNS1_3repE0EEENS1_30default_config_static_selectorELNS0_4arch9wavefront6targetE0EEEvT1_.uses_vcc, 0
	.set _ZN7rocprim17ROCPRIM_400000_NS6detail17trampoline_kernelINS0_14default_configENS1_25partition_config_selectorILNS1_17partition_subalgoE6EtNS0_10empty_typeEbEEZZNS1_14partition_implILS5_6ELb0ES3_mN6thrust23THRUST_200600_302600_NS6detail15normal_iteratorINSA_10device_ptrItEEEEPS6_SG_NS0_5tupleIJSF_S6_EEENSH_IJSG_SG_EEES6_PlJNSB_9not_fun_tINSB_14equal_to_valueItEEEEEEE10hipError_tPvRmT3_T4_T5_T6_T7_T9_mT8_P12ihipStream_tbDpT10_ENKUlT_T0_E_clISt17integral_constantIbLb0EES18_EEDaS13_S14_EUlS13_E_NS1_11comp_targetILNS1_3genE9ELNS1_11target_archE1100ELNS1_3gpuE3ELNS1_3repE0EEENS1_30default_config_static_selectorELNS0_4arch9wavefront6targetE0EEEvT1_.uses_flat_scratch, 0
	.set _ZN7rocprim17ROCPRIM_400000_NS6detail17trampoline_kernelINS0_14default_configENS1_25partition_config_selectorILNS1_17partition_subalgoE6EtNS0_10empty_typeEbEEZZNS1_14partition_implILS5_6ELb0ES3_mN6thrust23THRUST_200600_302600_NS6detail15normal_iteratorINSA_10device_ptrItEEEEPS6_SG_NS0_5tupleIJSF_S6_EEENSH_IJSG_SG_EEES6_PlJNSB_9not_fun_tINSB_14equal_to_valueItEEEEEEE10hipError_tPvRmT3_T4_T5_T6_T7_T9_mT8_P12ihipStream_tbDpT10_ENKUlT_T0_E_clISt17integral_constantIbLb0EES18_EEDaS13_S14_EUlS13_E_NS1_11comp_targetILNS1_3genE9ELNS1_11target_archE1100ELNS1_3gpuE3ELNS1_3repE0EEENS1_30default_config_static_selectorELNS0_4arch9wavefront6targetE0EEEvT1_.has_dyn_sized_stack, 0
	.set _ZN7rocprim17ROCPRIM_400000_NS6detail17trampoline_kernelINS0_14default_configENS1_25partition_config_selectorILNS1_17partition_subalgoE6EtNS0_10empty_typeEbEEZZNS1_14partition_implILS5_6ELb0ES3_mN6thrust23THRUST_200600_302600_NS6detail15normal_iteratorINSA_10device_ptrItEEEEPS6_SG_NS0_5tupleIJSF_S6_EEENSH_IJSG_SG_EEES6_PlJNSB_9not_fun_tINSB_14equal_to_valueItEEEEEEE10hipError_tPvRmT3_T4_T5_T6_T7_T9_mT8_P12ihipStream_tbDpT10_ENKUlT_T0_E_clISt17integral_constantIbLb0EES18_EEDaS13_S14_EUlS13_E_NS1_11comp_targetILNS1_3genE9ELNS1_11target_archE1100ELNS1_3gpuE3ELNS1_3repE0EEENS1_30default_config_static_selectorELNS0_4arch9wavefront6targetE0EEEvT1_.has_recursion, 0
	.set _ZN7rocprim17ROCPRIM_400000_NS6detail17trampoline_kernelINS0_14default_configENS1_25partition_config_selectorILNS1_17partition_subalgoE6EtNS0_10empty_typeEbEEZZNS1_14partition_implILS5_6ELb0ES3_mN6thrust23THRUST_200600_302600_NS6detail15normal_iteratorINSA_10device_ptrItEEEEPS6_SG_NS0_5tupleIJSF_S6_EEENSH_IJSG_SG_EEES6_PlJNSB_9not_fun_tINSB_14equal_to_valueItEEEEEEE10hipError_tPvRmT3_T4_T5_T6_T7_T9_mT8_P12ihipStream_tbDpT10_ENKUlT_T0_E_clISt17integral_constantIbLb0EES18_EEDaS13_S14_EUlS13_E_NS1_11comp_targetILNS1_3genE9ELNS1_11target_archE1100ELNS1_3gpuE3ELNS1_3repE0EEENS1_30default_config_static_selectorELNS0_4arch9wavefront6targetE0EEEvT1_.has_indirect_call, 0
	.section	.AMDGPU.csdata,"",@progbits
; Kernel info:
; codeLenInByte = 0
; TotalNumSgprs: 0
; NumVgprs: 0
; ScratchSize: 0
; MemoryBound: 0
; FloatMode: 240
; IeeeMode: 1
; LDSByteSize: 0 bytes/workgroup (compile time only)
; SGPRBlocks: 0
; VGPRBlocks: 0
; NumSGPRsForWavesPerEU: 1
; NumVGPRsForWavesPerEU: 1
; Occupancy: 16
; WaveLimiterHint : 0
; COMPUTE_PGM_RSRC2:SCRATCH_EN: 0
; COMPUTE_PGM_RSRC2:USER_SGPR: 2
; COMPUTE_PGM_RSRC2:TRAP_HANDLER: 0
; COMPUTE_PGM_RSRC2:TGID_X_EN: 1
; COMPUTE_PGM_RSRC2:TGID_Y_EN: 0
; COMPUTE_PGM_RSRC2:TGID_Z_EN: 0
; COMPUTE_PGM_RSRC2:TIDIG_COMP_CNT: 0
	.section	.text._ZN7rocprim17ROCPRIM_400000_NS6detail17trampoline_kernelINS0_14default_configENS1_25partition_config_selectorILNS1_17partition_subalgoE6EtNS0_10empty_typeEbEEZZNS1_14partition_implILS5_6ELb0ES3_mN6thrust23THRUST_200600_302600_NS6detail15normal_iteratorINSA_10device_ptrItEEEEPS6_SG_NS0_5tupleIJSF_S6_EEENSH_IJSG_SG_EEES6_PlJNSB_9not_fun_tINSB_14equal_to_valueItEEEEEEE10hipError_tPvRmT3_T4_T5_T6_T7_T9_mT8_P12ihipStream_tbDpT10_ENKUlT_T0_E_clISt17integral_constantIbLb0EES18_EEDaS13_S14_EUlS13_E_NS1_11comp_targetILNS1_3genE8ELNS1_11target_archE1030ELNS1_3gpuE2ELNS1_3repE0EEENS1_30default_config_static_selectorELNS0_4arch9wavefront6targetE0EEEvT1_,"axG",@progbits,_ZN7rocprim17ROCPRIM_400000_NS6detail17trampoline_kernelINS0_14default_configENS1_25partition_config_selectorILNS1_17partition_subalgoE6EtNS0_10empty_typeEbEEZZNS1_14partition_implILS5_6ELb0ES3_mN6thrust23THRUST_200600_302600_NS6detail15normal_iteratorINSA_10device_ptrItEEEEPS6_SG_NS0_5tupleIJSF_S6_EEENSH_IJSG_SG_EEES6_PlJNSB_9not_fun_tINSB_14equal_to_valueItEEEEEEE10hipError_tPvRmT3_T4_T5_T6_T7_T9_mT8_P12ihipStream_tbDpT10_ENKUlT_T0_E_clISt17integral_constantIbLb0EES18_EEDaS13_S14_EUlS13_E_NS1_11comp_targetILNS1_3genE8ELNS1_11target_archE1030ELNS1_3gpuE2ELNS1_3repE0EEENS1_30default_config_static_selectorELNS0_4arch9wavefront6targetE0EEEvT1_,comdat
	.protected	_ZN7rocprim17ROCPRIM_400000_NS6detail17trampoline_kernelINS0_14default_configENS1_25partition_config_selectorILNS1_17partition_subalgoE6EtNS0_10empty_typeEbEEZZNS1_14partition_implILS5_6ELb0ES3_mN6thrust23THRUST_200600_302600_NS6detail15normal_iteratorINSA_10device_ptrItEEEEPS6_SG_NS0_5tupleIJSF_S6_EEENSH_IJSG_SG_EEES6_PlJNSB_9not_fun_tINSB_14equal_to_valueItEEEEEEE10hipError_tPvRmT3_T4_T5_T6_T7_T9_mT8_P12ihipStream_tbDpT10_ENKUlT_T0_E_clISt17integral_constantIbLb0EES18_EEDaS13_S14_EUlS13_E_NS1_11comp_targetILNS1_3genE8ELNS1_11target_archE1030ELNS1_3gpuE2ELNS1_3repE0EEENS1_30default_config_static_selectorELNS0_4arch9wavefront6targetE0EEEvT1_ ; -- Begin function _ZN7rocprim17ROCPRIM_400000_NS6detail17trampoline_kernelINS0_14default_configENS1_25partition_config_selectorILNS1_17partition_subalgoE6EtNS0_10empty_typeEbEEZZNS1_14partition_implILS5_6ELb0ES3_mN6thrust23THRUST_200600_302600_NS6detail15normal_iteratorINSA_10device_ptrItEEEEPS6_SG_NS0_5tupleIJSF_S6_EEENSH_IJSG_SG_EEES6_PlJNSB_9not_fun_tINSB_14equal_to_valueItEEEEEEE10hipError_tPvRmT3_T4_T5_T6_T7_T9_mT8_P12ihipStream_tbDpT10_ENKUlT_T0_E_clISt17integral_constantIbLb0EES18_EEDaS13_S14_EUlS13_E_NS1_11comp_targetILNS1_3genE8ELNS1_11target_archE1030ELNS1_3gpuE2ELNS1_3repE0EEENS1_30default_config_static_selectorELNS0_4arch9wavefront6targetE0EEEvT1_
	.globl	_ZN7rocprim17ROCPRIM_400000_NS6detail17trampoline_kernelINS0_14default_configENS1_25partition_config_selectorILNS1_17partition_subalgoE6EtNS0_10empty_typeEbEEZZNS1_14partition_implILS5_6ELb0ES3_mN6thrust23THRUST_200600_302600_NS6detail15normal_iteratorINSA_10device_ptrItEEEEPS6_SG_NS0_5tupleIJSF_S6_EEENSH_IJSG_SG_EEES6_PlJNSB_9not_fun_tINSB_14equal_to_valueItEEEEEEE10hipError_tPvRmT3_T4_T5_T6_T7_T9_mT8_P12ihipStream_tbDpT10_ENKUlT_T0_E_clISt17integral_constantIbLb0EES18_EEDaS13_S14_EUlS13_E_NS1_11comp_targetILNS1_3genE8ELNS1_11target_archE1030ELNS1_3gpuE2ELNS1_3repE0EEENS1_30default_config_static_selectorELNS0_4arch9wavefront6targetE0EEEvT1_
	.p2align	8
	.type	_ZN7rocprim17ROCPRIM_400000_NS6detail17trampoline_kernelINS0_14default_configENS1_25partition_config_selectorILNS1_17partition_subalgoE6EtNS0_10empty_typeEbEEZZNS1_14partition_implILS5_6ELb0ES3_mN6thrust23THRUST_200600_302600_NS6detail15normal_iteratorINSA_10device_ptrItEEEEPS6_SG_NS0_5tupleIJSF_S6_EEENSH_IJSG_SG_EEES6_PlJNSB_9not_fun_tINSB_14equal_to_valueItEEEEEEE10hipError_tPvRmT3_T4_T5_T6_T7_T9_mT8_P12ihipStream_tbDpT10_ENKUlT_T0_E_clISt17integral_constantIbLb0EES18_EEDaS13_S14_EUlS13_E_NS1_11comp_targetILNS1_3genE8ELNS1_11target_archE1030ELNS1_3gpuE2ELNS1_3repE0EEENS1_30default_config_static_selectorELNS0_4arch9wavefront6targetE0EEEvT1_,@function
_ZN7rocprim17ROCPRIM_400000_NS6detail17trampoline_kernelINS0_14default_configENS1_25partition_config_selectorILNS1_17partition_subalgoE6EtNS0_10empty_typeEbEEZZNS1_14partition_implILS5_6ELb0ES3_mN6thrust23THRUST_200600_302600_NS6detail15normal_iteratorINSA_10device_ptrItEEEEPS6_SG_NS0_5tupleIJSF_S6_EEENSH_IJSG_SG_EEES6_PlJNSB_9not_fun_tINSB_14equal_to_valueItEEEEEEE10hipError_tPvRmT3_T4_T5_T6_T7_T9_mT8_P12ihipStream_tbDpT10_ENKUlT_T0_E_clISt17integral_constantIbLb0EES18_EEDaS13_S14_EUlS13_E_NS1_11comp_targetILNS1_3genE8ELNS1_11target_archE1030ELNS1_3gpuE2ELNS1_3repE0EEENS1_30default_config_static_selectorELNS0_4arch9wavefront6targetE0EEEvT1_: ; @_ZN7rocprim17ROCPRIM_400000_NS6detail17trampoline_kernelINS0_14default_configENS1_25partition_config_selectorILNS1_17partition_subalgoE6EtNS0_10empty_typeEbEEZZNS1_14partition_implILS5_6ELb0ES3_mN6thrust23THRUST_200600_302600_NS6detail15normal_iteratorINSA_10device_ptrItEEEEPS6_SG_NS0_5tupleIJSF_S6_EEENSH_IJSG_SG_EEES6_PlJNSB_9not_fun_tINSB_14equal_to_valueItEEEEEEE10hipError_tPvRmT3_T4_T5_T6_T7_T9_mT8_P12ihipStream_tbDpT10_ENKUlT_T0_E_clISt17integral_constantIbLb0EES18_EEDaS13_S14_EUlS13_E_NS1_11comp_targetILNS1_3genE8ELNS1_11target_archE1030ELNS1_3gpuE2ELNS1_3repE0EEENS1_30default_config_static_selectorELNS0_4arch9wavefront6targetE0EEEvT1_
; %bb.0:
	.section	.rodata,"a",@progbits
	.p2align	6, 0x0
	.amdhsa_kernel _ZN7rocprim17ROCPRIM_400000_NS6detail17trampoline_kernelINS0_14default_configENS1_25partition_config_selectorILNS1_17partition_subalgoE6EtNS0_10empty_typeEbEEZZNS1_14partition_implILS5_6ELb0ES3_mN6thrust23THRUST_200600_302600_NS6detail15normal_iteratorINSA_10device_ptrItEEEEPS6_SG_NS0_5tupleIJSF_S6_EEENSH_IJSG_SG_EEES6_PlJNSB_9not_fun_tINSB_14equal_to_valueItEEEEEEE10hipError_tPvRmT3_T4_T5_T6_T7_T9_mT8_P12ihipStream_tbDpT10_ENKUlT_T0_E_clISt17integral_constantIbLb0EES18_EEDaS13_S14_EUlS13_E_NS1_11comp_targetILNS1_3genE8ELNS1_11target_archE1030ELNS1_3gpuE2ELNS1_3repE0EEENS1_30default_config_static_selectorELNS0_4arch9wavefront6targetE0EEEvT1_
		.amdhsa_group_segment_fixed_size 0
		.amdhsa_private_segment_fixed_size 0
		.amdhsa_kernarg_size 112
		.amdhsa_user_sgpr_count 2
		.amdhsa_user_sgpr_dispatch_ptr 0
		.amdhsa_user_sgpr_queue_ptr 0
		.amdhsa_user_sgpr_kernarg_segment_ptr 1
		.amdhsa_user_sgpr_dispatch_id 0
		.amdhsa_user_sgpr_private_segment_size 0
		.amdhsa_wavefront_size32 1
		.amdhsa_uses_dynamic_stack 0
		.amdhsa_enable_private_segment 0
		.amdhsa_system_sgpr_workgroup_id_x 1
		.amdhsa_system_sgpr_workgroup_id_y 0
		.amdhsa_system_sgpr_workgroup_id_z 0
		.amdhsa_system_sgpr_workgroup_info 0
		.amdhsa_system_vgpr_workitem_id 0
		.amdhsa_next_free_vgpr 1
		.amdhsa_next_free_sgpr 1
		.amdhsa_reserve_vcc 0
		.amdhsa_float_round_mode_32 0
		.amdhsa_float_round_mode_16_64 0
		.amdhsa_float_denorm_mode_32 3
		.amdhsa_float_denorm_mode_16_64 3
		.amdhsa_fp16_overflow 0
		.amdhsa_workgroup_processor_mode 1
		.amdhsa_memory_ordered 1
		.amdhsa_forward_progress 1
		.amdhsa_inst_pref_size 0
		.amdhsa_round_robin_scheduling 0
		.amdhsa_exception_fp_ieee_invalid_op 0
		.amdhsa_exception_fp_denorm_src 0
		.amdhsa_exception_fp_ieee_div_zero 0
		.amdhsa_exception_fp_ieee_overflow 0
		.amdhsa_exception_fp_ieee_underflow 0
		.amdhsa_exception_fp_ieee_inexact 0
		.amdhsa_exception_int_div_zero 0
	.end_amdhsa_kernel
	.section	.text._ZN7rocprim17ROCPRIM_400000_NS6detail17trampoline_kernelINS0_14default_configENS1_25partition_config_selectorILNS1_17partition_subalgoE6EtNS0_10empty_typeEbEEZZNS1_14partition_implILS5_6ELb0ES3_mN6thrust23THRUST_200600_302600_NS6detail15normal_iteratorINSA_10device_ptrItEEEEPS6_SG_NS0_5tupleIJSF_S6_EEENSH_IJSG_SG_EEES6_PlJNSB_9not_fun_tINSB_14equal_to_valueItEEEEEEE10hipError_tPvRmT3_T4_T5_T6_T7_T9_mT8_P12ihipStream_tbDpT10_ENKUlT_T0_E_clISt17integral_constantIbLb0EES18_EEDaS13_S14_EUlS13_E_NS1_11comp_targetILNS1_3genE8ELNS1_11target_archE1030ELNS1_3gpuE2ELNS1_3repE0EEENS1_30default_config_static_selectorELNS0_4arch9wavefront6targetE0EEEvT1_,"axG",@progbits,_ZN7rocprim17ROCPRIM_400000_NS6detail17trampoline_kernelINS0_14default_configENS1_25partition_config_selectorILNS1_17partition_subalgoE6EtNS0_10empty_typeEbEEZZNS1_14partition_implILS5_6ELb0ES3_mN6thrust23THRUST_200600_302600_NS6detail15normal_iteratorINSA_10device_ptrItEEEEPS6_SG_NS0_5tupleIJSF_S6_EEENSH_IJSG_SG_EEES6_PlJNSB_9not_fun_tINSB_14equal_to_valueItEEEEEEE10hipError_tPvRmT3_T4_T5_T6_T7_T9_mT8_P12ihipStream_tbDpT10_ENKUlT_T0_E_clISt17integral_constantIbLb0EES18_EEDaS13_S14_EUlS13_E_NS1_11comp_targetILNS1_3genE8ELNS1_11target_archE1030ELNS1_3gpuE2ELNS1_3repE0EEENS1_30default_config_static_selectorELNS0_4arch9wavefront6targetE0EEEvT1_,comdat
.Lfunc_end412:
	.size	_ZN7rocprim17ROCPRIM_400000_NS6detail17trampoline_kernelINS0_14default_configENS1_25partition_config_selectorILNS1_17partition_subalgoE6EtNS0_10empty_typeEbEEZZNS1_14partition_implILS5_6ELb0ES3_mN6thrust23THRUST_200600_302600_NS6detail15normal_iteratorINSA_10device_ptrItEEEEPS6_SG_NS0_5tupleIJSF_S6_EEENSH_IJSG_SG_EEES6_PlJNSB_9not_fun_tINSB_14equal_to_valueItEEEEEEE10hipError_tPvRmT3_T4_T5_T6_T7_T9_mT8_P12ihipStream_tbDpT10_ENKUlT_T0_E_clISt17integral_constantIbLb0EES18_EEDaS13_S14_EUlS13_E_NS1_11comp_targetILNS1_3genE8ELNS1_11target_archE1030ELNS1_3gpuE2ELNS1_3repE0EEENS1_30default_config_static_selectorELNS0_4arch9wavefront6targetE0EEEvT1_, .Lfunc_end412-_ZN7rocprim17ROCPRIM_400000_NS6detail17trampoline_kernelINS0_14default_configENS1_25partition_config_selectorILNS1_17partition_subalgoE6EtNS0_10empty_typeEbEEZZNS1_14partition_implILS5_6ELb0ES3_mN6thrust23THRUST_200600_302600_NS6detail15normal_iteratorINSA_10device_ptrItEEEEPS6_SG_NS0_5tupleIJSF_S6_EEENSH_IJSG_SG_EEES6_PlJNSB_9not_fun_tINSB_14equal_to_valueItEEEEEEE10hipError_tPvRmT3_T4_T5_T6_T7_T9_mT8_P12ihipStream_tbDpT10_ENKUlT_T0_E_clISt17integral_constantIbLb0EES18_EEDaS13_S14_EUlS13_E_NS1_11comp_targetILNS1_3genE8ELNS1_11target_archE1030ELNS1_3gpuE2ELNS1_3repE0EEENS1_30default_config_static_selectorELNS0_4arch9wavefront6targetE0EEEvT1_
                                        ; -- End function
	.set _ZN7rocprim17ROCPRIM_400000_NS6detail17trampoline_kernelINS0_14default_configENS1_25partition_config_selectorILNS1_17partition_subalgoE6EtNS0_10empty_typeEbEEZZNS1_14partition_implILS5_6ELb0ES3_mN6thrust23THRUST_200600_302600_NS6detail15normal_iteratorINSA_10device_ptrItEEEEPS6_SG_NS0_5tupleIJSF_S6_EEENSH_IJSG_SG_EEES6_PlJNSB_9not_fun_tINSB_14equal_to_valueItEEEEEEE10hipError_tPvRmT3_T4_T5_T6_T7_T9_mT8_P12ihipStream_tbDpT10_ENKUlT_T0_E_clISt17integral_constantIbLb0EES18_EEDaS13_S14_EUlS13_E_NS1_11comp_targetILNS1_3genE8ELNS1_11target_archE1030ELNS1_3gpuE2ELNS1_3repE0EEENS1_30default_config_static_selectorELNS0_4arch9wavefront6targetE0EEEvT1_.num_vgpr, 0
	.set _ZN7rocprim17ROCPRIM_400000_NS6detail17trampoline_kernelINS0_14default_configENS1_25partition_config_selectorILNS1_17partition_subalgoE6EtNS0_10empty_typeEbEEZZNS1_14partition_implILS5_6ELb0ES3_mN6thrust23THRUST_200600_302600_NS6detail15normal_iteratorINSA_10device_ptrItEEEEPS6_SG_NS0_5tupleIJSF_S6_EEENSH_IJSG_SG_EEES6_PlJNSB_9not_fun_tINSB_14equal_to_valueItEEEEEEE10hipError_tPvRmT3_T4_T5_T6_T7_T9_mT8_P12ihipStream_tbDpT10_ENKUlT_T0_E_clISt17integral_constantIbLb0EES18_EEDaS13_S14_EUlS13_E_NS1_11comp_targetILNS1_3genE8ELNS1_11target_archE1030ELNS1_3gpuE2ELNS1_3repE0EEENS1_30default_config_static_selectorELNS0_4arch9wavefront6targetE0EEEvT1_.num_agpr, 0
	.set _ZN7rocprim17ROCPRIM_400000_NS6detail17trampoline_kernelINS0_14default_configENS1_25partition_config_selectorILNS1_17partition_subalgoE6EtNS0_10empty_typeEbEEZZNS1_14partition_implILS5_6ELb0ES3_mN6thrust23THRUST_200600_302600_NS6detail15normal_iteratorINSA_10device_ptrItEEEEPS6_SG_NS0_5tupleIJSF_S6_EEENSH_IJSG_SG_EEES6_PlJNSB_9not_fun_tINSB_14equal_to_valueItEEEEEEE10hipError_tPvRmT3_T4_T5_T6_T7_T9_mT8_P12ihipStream_tbDpT10_ENKUlT_T0_E_clISt17integral_constantIbLb0EES18_EEDaS13_S14_EUlS13_E_NS1_11comp_targetILNS1_3genE8ELNS1_11target_archE1030ELNS1_3gpuE2ELNS1_3repE0EEENS1_30default_config_static_selectorELNS0_4arch9wavefront6targetE0EEEvT1_.numbered_sgpr, 0
	.set _ZN7rocprim17ROCPRIM_400000_NS6detail17trampoline_kernelINS0_14default_configENS1_25partition_config_selectorILNS1_17partition_subalgoE6EtNS0_10empty_typeEbEEZZNS1_14partition_implILS5_6ELb0ES3_mN6thrust23THRUST_200600_302600_NS6detail15normal_iteratorINSA_10device_ptrItEEEEPS6_SG_NS0_5tupleIJSF_S6_EEENSH_IJSG_SG_EEES6_PlJNSB_9not_fun_tINSB_14equal_to_valueItEEEEEEE10hipError_tPvRmT3_T4_T5_T6_T7_T9_mT8_P12ihipStream_tbDpT10_ENKUlT_T0_E_clISt17integral_constantIbLb0EES18_EEDaS13_S14_EUlS13_E_NS1_11comp_targetILNS1_3genE8ELNS1_11target_archE1030ELNS1_3gpuE2ELNS1_3repE0EEENS1_30default_config_static_selectorELNS0_4arch9wavefront6targetE0EEEvT1_.num_named_barrier, 0
	.set _ZN7rocprim17ROCPRIM_400000_NS6detail17trampoline_kernelINS0_14default_configENS1_25partition_config_selectorILNS1_17partition_subalgoE6EtNS0_10empty_typeEbEEZZNS1_14partition_implILS5_6ELb0ES3_mN6thrust23THRUST_200600_302600_NS6detail15normal_iteratorINSA_10device_ptrItEEEEPS6_SG_NS0_5tupleIJSF_S6_EEENSH_IJSG_SG_EEES6_PlJNSB_9not_fun_tINSB_14equal_to_valueItEEEEEEE10hipError_tPvRmT3_T4_T5_T6_T7_T9_mT8_P12ihipStream_tbDpT10_ENKUlT_T0_E_clISt17integral_constantIbLb0EES18_EEDaS13_S14_EUlS13_E_NS1_11comp_targetILNS1_3genE8ELNS1_11target_archE1030ELNS1_3gpuE2ELNS1_3repE0EEENS1_30default_config_static_selectorELNS0_4arch9wavefront6targetE0EEEvT1_.private_seg_size, 0
	.set _ZN7rocprim17ROCPRIM_400000_NS6detail17trampoline_kernelINS0_14default_configENS1_25partition_config_selectorILNS1_17partition_subalgoE6EtNS0_10empty_typeEbEEZZNS1_14partition_implILS5_6ELb0ES3_mN6thrust23THRUST_200600_302600_NS6detail15normal_iteratorINSA_10device_ptrItEEEEPS6_SG_NS0_5tupleIJSF_S6_EEENSH_IJSG_SG_EEES6_PlJNSB_9not_fun_tINSB_14equal_to_valueItEEEEEEE10hipError_tPvRmT3_T4_T5_T6_T7_T9_mT8_P12ihipStream_tbDpT10_ENKUlT_T0_E_clISt17integral_constantIbLb0EES18_EEDaS13_S14_EUlS13_E_NS1_11comp_targetILNS1_3genE8ELNS1_11target_archE1030ELNS1_3gpuE2ELNS1_3repE0EEENS1_30default_config_static_selectorELNS0_4arch9wavefront6targetE0EEEvT1_.uses_vcc, 0
	.set _ZN7rocprim17ROCPRIM_400000_NS6detail17trampoline_kernelINS0_14default_configENS1_25partition_config_selectorILNS1_17partition_subalgoE6EtNS0_10empty_typeEbEEZZNS1_14partition_implILS5_6ELb0ES3_mN6thrust23THRUST_200600_302600_NS6detail15normal_iteratorINSA_10device_ptrItEEEEPS6_SG_NS0_5tupleIJSF_S6_EEENSH_IJSG_SG_EEES6_PlJNSB_9not_fun_tINSB_14equal_to_valueItEEEEEEE10hipError_tPvRmT3_T4_T5_T6_T7_T9_mT8_P12ihipStream_tbDpT10_ENKUlT_T0_E_clISt17integral_constantIbLb0EES18_EEDaS13_S14_EUlS13_E_NS1_11comp_targetILNS1_3genE8ELNS1_11target_archE1030ELNS1_3gpuE2ELNS1_3repE0EEENS1_30default_config_static_selectorELNS0_4arch9wavefront6targetE0EEEvT1_.uses_flat_scratch, 0
	.set _ZN7rocprim17ROCPRIM_400000_NS6detail17trampoline_kernelINS0_14default_configENS1_25partition_config_selectorILNS1_17partition_subalgoE6EtNS0_10empty_typeEbEEZZNS1_14partition_implILS5_6ELb0ES3_mN6thrust23THRUST_200600_302600_NS6detail15normal_iteratorINSA_10device_ptrItEEEEPS6_SG_NS0_5tupleIJSF_S6_EEENSH_IJSG_SG_EEES6_PlJNSB_9not_fun_tINSB_14equal_to_valueItEEEEEEE10hipError_tPvRmT3_T4_T5_T6_T7_T9_mT8_P12ihipStream_tbDpT10_ENKUlT_T0_E_clISt17integral_constantIbLb0EES18_EEDaS13_S14_EUlS13_E_NS1_11comp_targetILNS1_3genE8ELNS1_11target_archE1030ELNS1_3gpuE2ELNS1_3repE0EEENS1_30default_config_static_selectorELNS0_4arch9wavefront6targetE0EEEvT1_.has_dyn_sized_stack, 0
	.set _ZN7rocprim17ROCPRIM_400000_NS6detail17trampoline_kernelINS0_14default_configENS1_25partition_config_selectorILNS1_17partition_subalgoE6EtNS0_10empty_typeEbEEZZNS1_14partition_implILS5_6ELb0ES3_mN6thrust23THRUST_200600_302600_NS6detail15normal_iteratorINSA_10device_ptrItEEEEPS6_SG_NS0_5tupleIJSF_S6_EEENSH_IJSG_SG_EEES6_PlJNSB_9not_fun_tINSB_14equal_to_valueItEEEEEEE10hipError_tPvRmT3_T4_T5_T6_T7_T9_mT8_P12ihipStream_tbDpT10_ENKUlT_T0_E_clISt17integral_constantIbLb0EES18_EEDaS13_S14_EUlS13_E_NS1_11comp_targetILNS1_3genE8ELNS1_11target_archE1030ELNS1_3gpuE2ELNS1_3repE0EEENS1_30default_config_static_selectorELNS0_4arch9wavefront6targetE0EEEvT1_.has_recursion, 0
	.set _ZN7rocprim17ROCPRIM_400000_NS6detail17trampoline_kernelINS0_14default_configENS1_25partition_config_selectorILNS1_17partition_subalgoE6EtNS0_10empty_typeEbEEZZNS1_14partition_implILS5_6ELb0ES3_mN6thrust23THRUST_200600_302600_NS6detail15normal_iteratorINSA_10device_ptrItEEEEPS6_SG_NS0_5tupleIJSF_S6_EEENSH_IJSG_SG_EEES6_PlJNSB_9not_fun_tINSB_14equal_to_valueItEEEEEEE10hipError_tPvRmT3_T4_T5_T6_T7_T9_mT8_P12ihipStream_tbDpT10_ENKUlT_T0_E_clISt17integral_constantIbLb0EES18_EEDaS13_S14_EUlS13_E_NS1_11comp_targetILNS1_3genE8ELNS1_11target_archE1030ELNS1_3gpuE2ELNS1_3repE0EEENS1_30default_config_static_selectorELNS0_4arch9wavefront6targetE0EEEvT1_.has_indirect_call, 0
	.section	.AMDGPU.csdata,"",@progbits
; Kernel info:
; codeLenInByte = 0
; TotalNumSgprs: 0
; NumVgprs: 0
; ScratchSize: 0
; MemoryBound: 0
; FloatMode: 240
; IeeeMode: 1
; LDSByteSize: 0 bytes/workgroup (compile time only)
; SGPRBlocks: 0
; VGPRBlocks: 0
; NumSGPRsForWavesPerEU: 1
; NumVGPRsForWavesPerEU: 1
; Occupancy: 16
; WaveLimiterHint : 0
; COMPUTE_PGM_RSRC2:SCRATCH_EN: 0
; COMPUTE_PGM_RSRC2:USER_SGPR: 2
; COMPUTE_PGM_RSRC2:TRAP_HANDLER: 0
; COMPUTE_PGM_RSRC2:TGID_X_EN: 1
; COMPUTE_PGM_RSRC2:TGID_Y_EN: 0
; COMPUTE_PGM_RSRC2:TGID_Z_EN: 0
; COMPUTE_PGM_RSRC2:TIDIG_COMP_CNT: 0
	.section	.text._ZN7rocprim17ROCPRIM_400000_NS6detail17trampoline_kernelINS0_14default_configENS1_25partition_config_selectorILNS1_17partition_subalgoE6EtNS0_10empty_typeEbEEZZNS1_14partition_implILS5_6ELb0ES3_mN6thrust23THRUST_200600_302600_NS6detail15normal_iteratorINSA_10device_ptrItEEEEPS6_SG_NS0_5tupleIJSF_S6_EEENSH_IJSG_SG_EEES6_PlJNSB_9not_fun_tINSB_14equal_to_valueItEEEEEEE10hipError_tPvRmT3_T4_T5_T6_T7_T9_mT8_P12ihipStream_tbDpT10_ENKUlT_T0_E_clISt17integral_constantIbLb1EES18_EEDaS13_S14_EUlS13_E_NS1_11comp_targetILNS1_3genE0ELNS1_11target_archE4294967295ELNS1_3gpuE0ELNS1_3repE0EEENS1_30default_config_static_selectorELNS0_4arch9wavefront6targetE0EEEvT1_,"axG",@progbits,_ZN7rocprim17ROCPRIM_400000_NS6detail17trampoline_kernelINS0_14default_configENS1_25partition_config_selectorILNS1_17partition_subalgoE6EtNS0_10empty_typeEbEEZZNS1_14partition_implILS5_6ELb0ES3_mN6thrust23THRUST_200600_302600_NS6detail15normal_iteratorINSA_10device_ptrItEEEEPS6_SG_NS0_5tupleIJSF_S6_EEENSH_IJSG_SG_EEES6_PlJNSB_9not_fun_tINSB_14equal_to_valueItEEEEEEE10hipError_tPvRmT3_T4_T5_T6_T7_T9_mT8_P12ihipStream_tbDpT10_ENKUlT_T0_E_clISt17integral_constantIbLb1EES18_EEDaS13_S14_EUlS13_E_NS1_11comp_targetILNS1_3genE0ELNS1_11target_archE4294967295ELNS1_3gpuE0ELNS1_3repE0EEENS1_30default_config_static_selectorELNS0_4arch9wavefront6targetE0EEEvT1_,comdat
	.protected	_ZN7rocprim17ROCPRIM_400000_NS6detail17trampoline_kernelINS0_14default_configENS1_25partition_config_selectorILNS1_17partition_subalgoE6EtNS0_10empty_typeEbEEZZNS1_14partition_implILS5_6ELb0ES3_mN6thrust23THRUST_200600_302600_NS6detail15normal_iteratorINSA_10device_ptrItEEEEPS6_SG_NS0_5tupleIJSF_S6_EEENSH_IJSG_SG_EEES6_PlJNSB_9not_fun_tINSB_14equal_to_valueItEEEEEEE10hipError_tPvRmT3_T4_T5_T6_T7_T9_mT8_P12ihipStream_tbDpT10_ENKUlT_T0_E_clISt17integral_constantIbLb1EES18_EEDaS13_S14_EUlS13_E_NS1_11comp_targetILNS1_3genE0ELNS1_11target_archE4294967295ELNS1_3gpuE0ELNS1_3repE0EEENS1_30default_config_static_selectorELNS0_4arch9wavefront6targetE0EEEvT1_ ; -- Begin function _ZN7rocprim17ROCPRIM_400000_NS6detail17trampoline_kernelINS0_14default_configENS1_25partition_config_selectorILNS1_17partition_subalgoE6EtNS0_10empty_typeEbEEZZNS1_14partition_implILS5_6ELb0ES3_mN6thrust23THRUST_200600_302600_NS6detail15normal_iteratorINSA_10device_ptrItEEEEPS6_SG_NS0_5tupleIJSF_S6_EEENSH_IJSG_SG_EEES6_PlJNSB_9not_fun_tINSB_14equal_to_valueItEEEEEEE10hipError_tPvRmT3_T4_T5_T6_T7_T9_mT8_P12ihipStream_tbDpT10_ENKUlT_T0_E_clISt17integral_constantIbLb1EES18_EEDaS13_S14_EUlS13_E_NS1_11comp_targetILNS1_3genE0ELNS1_11target_archE4294967295ELNS1_3gpuE0ELNS1_3repE0EEENS1_30default_config_static_selectorELNS0_4arch9wavefront6targetE0EEEvT1_
	.globl	_ZN7rocprim17ROCPRIM_400000_NS6detail17trampoline_kernelINS0_14default_configENS1_25partition_config_selectorILNS1_17partition_subalgoE6EtNS0_10empty_typeEbEEZZNS1_14partition_implILS5_6ELb0ES3_mN6thrust23THRUST_200600_302600_NS6detail15normal_iteratorINSA_10device_ptrItEEEEPS6_SG_NS0_5tupleIJSF_S6_EEENSH_IJSG_SG_EEES6_PlJNSB_9not_fun_tINSB_14equal_to_valueItEEEEEEE10hipError_tPvRmT3_T4_T5_T6_T7_T9_mT8_P12ihipStream_tbDpT10_ENKUlT_T0_E_clISt17integral_constantIbLb1EES18_EEDaS13_S14_EUlS13_E_NS1_11comp_targetILNS1_3genE0ELNS1_11target_archE4294967295ELNS1_3gpuE0ELNS1_3repE0EEENS1_30default_config_static_selectorELNS0_4arch9wavefront6targetE0EEEvT1_
	.p2align	8
	.type	_ZN7rocprim17ROCPRIM_400000_NS6detail17trampoline_kernelINS0_14default_configENS1_25partition_config_selectorILNS1_17partition_subalgoE6EtNS0_10empty_typeEbEEZZNS1_14partition_implILS5_6ELb0ES3_mN6thrust23THRUST_200600_302600_NS6detail15normal_iteratorINSA_10device_ptrItEEEEPS6_SG_NS0_5tupleIJSF_S6_EEENSH_IJSG_SG_EEES6_PlJNSB_9not_fun_tINSB_14equal_to_valueItEEEEEEE10hipError_tPvRmT3_T4_T5_T6_T7_T9_mT8_P12ihipStream_tbDpT10_ENKUlT_T0_E_clISt17integral_constantIbLb1EES18_EEDaS13_S14_EUlS13_E_NS1_11comp_targetILNS1_3genE0ELNS1_11target_archE4294967295ELNS1_3gpuE0ELNS1_3repE0EEENS1_30default_config_static_selectorELNS0_4arch9wavefront6targetE0EEEvT1_,@function
_ZN7rocprim17ROCPRIM_400000_NS6detail17trampoline_kernelINS0_14default_configENS1_25partition_config_selectorILNS1_17partition_subalgoE6EtNS0_10empty_typeEbEEZZNS1_14partition_implILS5_6ELb0ES3_mN6thrust23THRUST_200600_302600_NS6detail15normal_iteratorINSA_10device_ptrItEEEEPS6_SG_NS0_5tupleIJSF_S6_EEENSH_IJSG_SG_EEES6_PlJNSB_9not_fun_tINSB_14equal_to_valueItEEEEEEE10hipError_tPvRmT3_T4_T5_T6_T7_T9_mT8_P12ihipStream_tbDpT10_ENKUlT_T0_E_clISt17integral_constantIbLb1EES18_EEDaS13_S14_EUlS13_E_NS1_11comp_targetILNS1_3genE0ELNS1_11target_archE4294967295ELNS1_3gpuE0ELNS1_3repE0EEENS1_30default_config_static_selectorELNS0_4arch9wavefront6targetE0EEEvT1_: ; @_ZN7rocprim17ROCPRIM_400000_NS6detail17trampoline_kernelINS0_14default_configENS1_25partition_config_selectorILNS1_17partition_subalgoE6EtNS0_10empty_typeEbEEZZNS1_14partition_implILS5_6ELb0ES3_mN6thrust23THRUST_200600_302600_NS6detail15normal_iteratorINSA_10device_ptrItEEEEPS6_SG_NS0_5tupleIJSF_S6_EEENSH_IJSG_SG_EEES6_PlJNSB_9not_fun_tINSB_14equal_to_valueItEEEEEEE10hipError_tPvRmT3_T4_T5_T6_T7_T9_mT8_P12ihipStream_tbDpT10_ENKUlT_T0_E_clISt17integral_constantIbLb1EES18_EEDaS13_S14_EUlS13_E_NS1_11comp_targetILNS1_3genE0ELNS1_11target_archE4294967295ELNS1_3gpuE0ELNS1_3repE0EEENS1_30default_config_static_selectorELNS0_4arch9wavefront6targetE0EEEvT1_
; %bb.0:
	.section	.rodata,"a",@progbits
	.p2align	6, 0x0
	.amdhsa_kernel _ZN7rocprim17ROCPRIM_400000_NS6detail17trampoline_kernelINS0_14default_configENS1_25partition_config_selectorILNS1_17partition_subalgoE6EtNS0_10empty_typeEbEEZZNS1_14partition_implILS5_6ELb0ES3_mN6thrust23THRUST_200600_302600_NS6detail15normal_iteratorINSA_10device_ptrItEEEEPS6_SG_NS0_5tupleIJSF_S6_EEENSH_IJSG_SG_EEES6_PlJNSB_9not_fun_tINSB_14equal_to_valueItEEEEEEE10hipError_tPvRmT3_T4_T5_T6_T7_T9_mT8_P12ihipStream_tbDpT10_ENKUlT_T0_E_clISt17integral_constantIbLb1EES18_EEDaS13_S14_EUlS13_E_NS1_11comp_targetILNS1_3genE0ELNS1_11target_archE4294967295ELNS1_3gpuE0ELNS1_3repE0EEENS1_30default_config_static_selectorELNS0_4arch9wavefront6targetE0EEEvT1_
		.amdhsa_group_segment_fixed_size 0
		.amdhsa_private_segment_fixed_size 0
		.amdhsa_kernarg_size 128
		.amdhsa_user_sgpr_count 2
		.amdhsa_user_sgpr_dispatch_ptr 0
		.amdhsa_user_sgpr_queue_ptr 0
		.amdhsa_user_sgpr_kernarg_segment_ptr 1
		.amdhsa_user_sgpr_dispatch_id 0
		.amdhsa_user_sgpr_private_segment_size 0
		.amdhsa_wavefront_size32 1
		.amdhsa_uses_dynamic_stack 0
		.amdhsa_enable_private_segment 0
		.amdhsa_system_sgpr_workgroup_id_x 1
		.amdhsa_system_sgpr_workgroup_id_y 0
		.amdhsa_system_sgpr_workgroup_id_z 0
		.amdhsa_system_sgpr_workgroup_info 0
		.amdhsa_system_vgpr_workitem_id 0
		.amdhsa_next_free_vgpr 1
		.amdhsa_next_free_sgpr 1
		.amdhsa_reserve_vcc 0
		.amdhsa_float_round_mode_32 0
		.amdhsa_float_round_mode_16_64 0
		.amdhsa_float_denorm_mode_32 3
		.amdhsa_float_denorm_mode_16_64 3
		.amdhsa_fp16_overflow 0
		.amdhsa_workgroup_processor_mode 1
		.amdhsa_memory_ordered 1
		.amdhsa_forward_progress 1
		.amdhsa_inst_pref_size 0
		.amdhsa_round_robin_scheduling 0
		.amdhsa_exception_fp_ieee_invalid_op 0
		.amdhsa_exception_fp_denorm_src 0
		.amdhsa_exception_fp_ieee_div_zero 0
		.amdhsa_exception_fp_ieee_overflow 0
		.amdhsa_exception_fp_ieee_underflow 0
		.amdhsa_exception_fp_ieee_inexact 0
		.amdhsa_exception_int_div_zero 0
	.end_amdhsa_kernel
	.section	.text._ZN7rocprim17ROCPRIM_400000_NS6detail17trampoline_kernelINS0_14default_configENS1_25partition_config_selectorILNS1_17partition_subalgoE6EtNS0_10empty_typeEbEEZZNS1_14partition_implILS5_6ELb0ES3_mN6thrust23THRUST_200600_302600_NS6detail15normal_iteratorINSA_10device_ptrItEEEEPS6_SG_NS0_5tupleIJSF_S6_EEENSH_IJSG_SG_EEES6_PlJNSB_9not_fun_tINSB_14equal_to_valueItEEEEEEE10hipError_tPvRmT3_T4_T5_T6_T7_T9_mT8_P12ihipStream_tbDpT10_ENKUlT_T0_E_clISt17integral_constantIbLb1EES18_EEDaS13_S14_EUlS13_E_NS1_11comp_targetILNS1_3genE0ELNS1_11target_archE4294967295ELNS1_3gpuE0ELNS1_3repE0EEENS1_30default_config_static_selectorELNS0_4arch9wavefront6targetE0EEEvT1_,"axG",@progbits,_ZN7rocprim17ROCPRIM_400000_NS6detail17trampoline_kernelINS0_14default_configENS1_25partition_config_selectorILNS1_17partition_subalgoE6EtNS0_10empty_typeEbEEZZNS1_14partition_implILS5_6ELb0ES3_mN6thrust23THRUST_200600_302600_NS6detail15normal_iteratorINSA_10device_ptrItEEEEPS6_SG_NS0_5tupleIJSF_S6_EEENSH_IJSG_SG_EEES6_PlJNSB_9not_fun_tINSB_14equal_to_valueItEEEEEEE10hipError_tPvRmT3_T4_T5_T6_T7_T9_mT8_P12ihipStream_tbDpT10_ENKUlT_T0_E_clISt17integral_constantIbLb1EES18_EEDaS13_S14_EUlS13_E_NS1_11comp_targetILNS1_3genE0ELNS1_11target_archE4294967295ELNS1_3gpuE0ELNS1_3repE0EEENS1_30default_config_static_selectorELNS0_4arch9wavefront6targetE0EEEvT1_,comdat
.Lfunc_end413:
	.size	_ZN7rocprim17ROCPRIM_400000_NS6detail17trampoline_kernelINS0_14default_configENS1_25partition_config_selectorILNS1_17partition_subalgoE6EtNS0_10empty_typeEbEEZZNS1_14partition_implILS5_6ELb0ES3_mN6thrust23THRUST_200600_302600_NS6detail15normal_iteratorINSA_10device_ptrItEEEEPS6_SG_NS0_5tupleIJSF_S6_EEENSH_IJSG_SG_EEES6_PlJNSB_9not_fun_tINSB_14equal_to_valueItEEEEEEE10hipError_tPvRmT3_T4_T5_T6_T7_T9_mT8_P12ihipStream_tbDpT10_ENKUlT_T0_E_clISt17integral_constantIbLb1EES18_EEDaS13_S14_EUlS13_E_NS1_11comp_targetILNS1_3genE0ELNS1_11target_archE4294967295ELNS1_3gpuE0ELNS1_3repE0EEENS1_30default_config_static_selectorELNS0_4arch9wavefront6targetE0EEEvT1_, .Lfunc_end413-_ZN7rocprim17ROCPRIM_400000_NS6detail17trampoline_kernelINS0_14default_configENS1_25partition_config_selectorILNS1_17partition_subalgoE6EtNS0_10empty_typeEbEEZZNS1_14partition_implILS5_6ELb0ES3_mN6thrust23THRUST_200600_302600_NS6detail15normal_iteratorINSA_10device_ptrItEEEEPS6_SG_NS0_5tupleIJSF_S6_EEENSH_IJSG_SG_EEES6_PlJNSB_9not_fun_tINSB_14equal_to_valueItEEEEEEE10hipError_tPvRmT3_T4_T5_T6_T7_T9_mT8_P12ihipStream_tbDpT10_ENKUlT_T0_E_clISt17integral_constantIbLb1EES18_EEDaS13_S14_EUlS13_E_NS1_11comp_targetILNS1_3genE0ELNS1_11target_archE4294967295ELNS1_3gpuE0ELNS1_3repE0EEENS1_30default_config_static_selectorELNS0_4arch9wavefront6targetE0EEEvT1_
                                        ; -- End function
	.set _ZN7rocprim17ROCPRIM_400000_NS6detail17trampoline_kernelINS0_14default_configENS1_25partition_config_selectorILNS1_17partition_subalgoE6EtNS0_10empty_typeEbEEZZNS1_14partition_implILS5_6ELb0ES3_mN6thrust23THRUST_200600_302600_NS6detail15normal_iteratorINSA_10device_ptrItEEEEPS6_SG_NS0_5tupleIJSF_S6_EEENSH_IJSG_SG_EEES6_PlJNSB_9not_fun_tINSB_14equal_to_valueItEEEEEEE10hipError_tPvRmT3_T4_T5_T6_T7_T9_mT8_P12ihipStream_tbDpT10_ENKUlT_T0_E_clISt17integral_constantIbLb1EES18_EEDaS13_S14_EUlS13_E_NS1_11comp_targetILNS1_3genE0ELNS1_11target_archE4294967295ELNS1_3gpuE0ELNS1_3repE0EEENS1_30default_config_static_selectorELNS0_4arch9wavefront6targetE0EEEvT1_.num_vgpr, 0
	.set _ZN7rocprim17ROCPRIM_400000_NS6detail17trampoline_kernelINS0_14default_configENS1_25partition_config_selectorILNS1_17partition_subalgoE6EtNS0_10empty_typeEbEEZZNS1_14partition_implILS5_6ELb0ES3_mN6thrust23THRUST_200600_302600_NS6detail15normal_iteratorINSA_10device_ptrItEEEEPS6_SG_NS0_5tupleIJSF_S6_EEENSH_IJSG_SG_EEES6_PlJNSB_9not_fun_tINSB_14equal_to_valueItEEEEEEE10hipError_tPvRmT3_T4_T5_T6_T7_T9_mT8_P12ihipStream_tbDpT10_ENKUlT_T0_E_clISt17integral_constantIbLb1EES18_EEDaS13_S14_EUlS13_E_NS1_11comp_targetILNS1_3genE0ELNS1_11target_archE4294967295ELNS1_3gpuE0ELNS1_3repE0EEENS1_30default_config_static_selectorELNS0_4arch9wavefront6targetE0EEEvT1_.num_agpr, 0
	.set _ZN7rocprim17ROCPRIM_400000_NS6detail17trampoline_kernelINS0_14default_configENS1_25partition_config_selectorILNS1_17partition_subalgoE6EtNS0_10empty_typeEbEEZZNS1_14partition_implILS5_6ELb0ES3_mN6thrust23THRUST_200600_302600_NS6detail15normal_iteratorINSA_10device_ptrItEEEEPS6_SG_NS0_5tupleIJSF_S6_EEENSH_IJSG_SG_EEES6_PlJNSB_9not_fun_tINSB_14equal_to_valueItEEEEEEE10hipError_tPvRmT3_T4_T5_T6_T7_T9_mT8_P12ihipStream_tbDpT10_ENKUlT_T0_E_clISt17integral_constantIbLb1EES18_EEDaS13_S14_EUlS13_E_NS1_11comp_targetILNS1_3genE0ELNS1_11target_archE4294967295ELNS1_3gpuE0ELNS1_3repE0EEENS1_30default_config_static_selectorELNS0_4arch9wavefront6targetE0EEEvT1_.numbered_sgpr, 0
	.set _ZN7rocprim17ROCPRIM_400000_NS6detail17trampoline_kernelINS0_14default_configENS1_25partition_config_selectorILNS1_17partition_subalgoE6EtNS0_10empty_typeEbEEZZNS1_14partition_implILS5_6ELb0ES3_mN6thrust23THRUST_200600_302600_NS6detail15normal_iteratorINSA_10device_ptrItEEEEPS6_SG_NS0_5tupleIJSF_S6_EEENSH_IJSG_SG_EEES6_PlJNSB_9not_fun_tINSB_14equal_to_valueItEEEEEEE10hipError_tPvRmT3_T4_T5_T6_T7_T9_mT8_P12ihipStream_tbDpT10_ENKUlT_T0_E_clISt17integral_constantIbLb1EES18_EEDaS13_S14_EUlS13_E_NS1_11comp_targetILNS1_3genE0ELNS1_11target_archE4294967295ELNS1_3gpuE0ELNS1_3repE0EEENS1_30default_config_static_selectorELNS0_4arch9wavefront6targetE0EEEvT1_.num_named_barrier, 0
	.set _ZN7rocprim17ROCPRIM_400000_NS6detail17trampoline_kernelINS0_14default_configENS1_25partition_config_selectorILNS1_17partition_subalgoE6EtNS0_10empty_typeEbEEZZNS1_14partition_implILS5_6ELb0ES3_mN6thrust23THRUST_200600_302600_NS6detail15normal_iteratorINSA_10device_ptrItEEEEPS6_SG_NS0_5tupleIJSF_S6_EEENSH_IJSG_SG_EEES6_PlJNSB_9not_fun_tINSB_14equal_to_valueItEEEEEEE10hipError_tPvRmT3_T4_T5_T6_T7_T9_mT8_P12ihipStream_tbDpT10_ENKUlT_T0_E_clISt17integral_constantIbLb1EES18_EEDaS13_S14_EUlS13_E_NS1_11comp_targetILNS1_3genE0ELNS1_11target_archE4294967295ELNS1_3gpuE0ELNS1_3repE0EEENS1_30default_config_static_selectorELNS0_4arch9wavefront6targetE0EEEvT1_.private_seg_size, 0
	.set _ZN7rocprim17ROCPRIM_400000_NS6detail17trampoline_kernelINS0_14default_configENS1_25partition_config_selectorILNS1_17partition_subalgoE6EtNS0_10empty_typeEbEEZZNS1_14partition_implILS5_6ELb0ES3_mN6thrust23THRUST_200600_302600_NS6detail15normal_iteratorINSA_10device_ptrItEEEEPS6_SG_NS0_5tupleIJSF_S6_EEENSH_IJSG_SG_EEES6_PlJNSB_9not_fun_tINSB_14equal_to_valueItEEEEEEE10hipError_tPvRmT3_T4_T5_T6_T7_T9_mT8_P12ihipStream_tbDpT10_ENKUlT_T0_E_clISt17integral_constantIbLb1EES18_EEDaS13_S14_EUlS13_E_NS1_11comp_targetILNS1_3genE0ELNS1_11target_archE4294967295ELNS1_3gpuE0ELNS1_3repE0EEENS1_30default_config_static_selectorELNS0_4arch9wavefront6targetE0EEEvT1_.uses_vcc, 0
	.set _ZN7rocprim17ROCPRIM_400000_NS6detail17trampoline_kernelINS0_14default_configENS1_25partition_config_selectorILNS1_17partition_subalgoE6EtNS0_10empty_typeEbEEZZNS1_14partition_implILS5_6ELb0ES3_mN6thrust23THRUST_200600_302600_NS6detail15normal_iteratorINSA_10device_ptrItEEEEPS6_SG_NS0_5tupleIJSF_S6_EEENSH_IJSG_SG_EEES6_PlJNSB_9not_fun_tINSB_14equal_to_valueItEEEEEEE10hipError_tPvRmT3_T4_T5_T6_T7_T9_mT8_P12ihipStream_tbDpT10_ENKUlT_T0_E_clISt17integral_constantIbLb1EES18_EEDaS13_S14_EUlS13_E_NS1_11comp_targetILNS1_3genE0ELNS1_11target_archE4294967295ELNS1_3gpuE0ELNS1_3repE0EEENS1_30default_config_static_selectorELNS0_4arch9wavefront6targetE0EEEvT1_.uses_flat_scratch, 0
	.set _ZN7rocprim17ROCPRIM_400000_NS6detail17trampoline_kernelINS0_14default_configENS1_25partition_config_selectorILNS1_17partition_subalgoE6EtNS0_10empty_typeEbEEZZNS1_14partition_implILS5_6ELb0ES3_mN6thrust23THRUST_200600_302600_NS6detail15normal_iteratorINSA_10device_ptrItEEEEPS6_SG_NS0_5tupleIJSF_S6_EEENSH_IJSG_SG_EEES6_PlJNSB_9not_fun_tINSB_14equal_to_valueItEEEEEEE10hipError_tPvRmT3_T4_T5_T6_T7_T9_mT8_P12ihipStream_tbDpT10_ENKUlT_T0_E_clISt17integral_constantIbLb1EES18_EEDaS13_S14_EUlS13_E_NS1_11comp_targetILNS1_3genE0ELNS1_11target_archE4294967295ELNS1_3gpuE0ELNS1_3repE0EEENS1_30default_config_static_selectorELNS0_4arch9wavefront6targetE0EEEvT1_.has_dyn_sized_stack, 0
	.set _ZN7rocprim17ROCPRIM_400000_NS6detail17trampoline_kernelINS0_14default_configENS1_25partition_config_selectorILNS1_17partition_subalgoE6EtNS0_10empty_typeEbEEZZNS1_14partition_implILS5_6ELb0ES3_mN6thrust23THRUST_200600_302600_NS6detail15normal_iteratorINSA_10device_ptrItEEEEPS6_SG_NS0_5tupleIJSF_S6_EEENSH_IJSG_SG_EEES6_PlJNSB_9not_fun_tINSB_14equal_to_valueItEEEEEEE10hipError_tPvRmT3_T4_T5_T6_T7_T9_mT8_P12ihipStream_tbDpT10_ENKUlT_T0_E_clISt17integral_constantIbLb1EES18_EEDaS13_S14_EUlS13_E_NS1_11comp_targetILNS1_3genE0ELNS1_11target_archE4294967295ELNS1_3gpuE0ELNS1_3repE0EEENS1_30default_config_static_selectorELNS0_4arch9wavefront6targetE0EEEvT1_.has_recursion, 0
	.set _ZN7rocprim17ROCPRIM_400000_NS6detail17trampoline_kernelINS0_14default_configENS1_25partition_config_selectorILNS1_17partition_subalgoE6EtNS0_10empty_typeEbEEZZNS1_14partition_implILS5_6ELb0ES3_mN6thrust23THRUST_200600_302600_NS6detail15normal_iteratorINSA_10device_ptrItEEEEPS6_SG_NS0_5tupleIJSF_S6_EEENSH_IJSG_SG_EEES6_PlJNSB_9not_fun_tINSB_14equal_to_valueItEEEEEEE10hipError_tPvRmT3_T4_T5_T6_T7_T9_mT8_P12ihipStream_tbDpT10_ENKUlT_T0_E_clISt17integral_constantIbLb1EES18_EEDaS13_S14_EUlS13_E_NS1_11comp_targetILNS1_3genE0ELNS1_11target_archE4294967295ELNS1_3gpuE0ELNS1_3repE0EEENS1_30default_config_static_selectorELNS0_4arch9wavefront6targetE0EEEvT1_.has_indirect_call, 0
	.section	.AMDGPU.csdata,"",@progbits
; Kernel info:
; codeLenInByte = 0
; TotalNumSgprs: 0
; NumVgprs: 0
; ScratchSize: 0
; MemoryBound: 0
; FloatMode: 240
; IeeeMode: 1
; LDSByteSize: 0 bytes/workgroup (compile time only)
; SGPRBlocks: 0
; VGPRBlocks: 0
; NumSGPRsForWavesPerEU: 1
; NumVGPRsForWavesPerEU: 1
; Occupancy: 16
; WaveLimiterHint : 0
; COMPUTE_PGM_RSRC2:SCRATCH_EN: 0
; COMPUTE_PGM_RSRC2:USER_SGPR: 2
; COMPUTE_PGM_RSRC2:TRAP_HANDLER: 0
; COMPUTE_PGM_RSRC2:TGID_X_EN: 1
; COMPUTE_PGM_RSRC2:TGID_Y_EN: 0
; COMPUTE_PGM_RSRC2:TGID_Z_EN: 0
; COMPUTE_PGM_RSRC2:TIDIG_COMP_CNT: 0
	.section	.text._ZN7rocprim17ROCPRIM_400000_NS6detail17trampoline_kernelINS0_14default_configENS1_25partition_config_selectorILNS1_17partition_subalgoE6EtNS0_10empty_typeEbEEZZNS1_14partition_implILS5_6ELb0ES3_mN6thrust23THRUST_200600_302600_NS6detail15normal_iteratorINSA_10device_ptrItEEEEPS6_SG_NS0_5tupleIJSF_S6_EEENSH_IJSG_SG_EEES6_PlJNSB_9not_fun_tINSB_14equal_to_valueItEEEEEEE10hipError_tPvRmT3_T4_T5_T6_T7_T9_mT8_P12ihipStream_tbDpT10_ENKUlT_T0_E_clISt17integral_constantIbLb1EES18_EEDaS13_S14_EUlS13_E_NS1_11comp_targetILNS1_3genE5ELNS1_11target_archE942ELNS1_3gpuE9ELNS1_3repE0EEENS1_30default_config_static_selectorELNS0_4arch9wavefront6targetE0EEEvT1_,"axG",@progbits,_ZN7rocprim17ROCPRIM_400000_NS6detail17trampoline_kernelINS0_14default_configENS1_25partition_config_selectorILNS1_17partition_subalgoE6EtNS0_10empty_typeEbEEZZNS1_14partition_implILS5_6ELb0ES3_mN6thrust23THRUST_200600_302600_NS6detail15normal_iteratorINSA_10device_ptrItEEEEPS6_SG_NS0_5tupleIJSF_S6_EEENSH_IJSG_SG_EEES6_PlJNSB_9not_fun_tINSB_14equal_to_valueItEEEEEEE10hipError_tPvRmT3_T4_T5_T6_T7_T9_mT8_P12ihipStream_tbDpT10_ENKUlT_T0_E_clISt17integral_constantIbLb1EES18_EEDaS13_S14_EUlS13_E_NS1_11comp_targetILNS1_3genE5ELNS1_11target_archE942ELNS1_3gpuE9ELNS1_3repE0EEENS1_30default_config_static_selectorELNS0_4arch9wavefront6targetE0EEEvT1_,comdat
	.protected	_ZN7rocprim17ROCPRIM_400000_NS6detail17trampoline_kernelINS0_14default_configENS1_25partition_config_selectorILNS1_17partition_subalgoE6EtNS0_10empty_typeEbEEZZNS1_14partition_implILS5_6ELb0ES3_mN6thrust23THRUST_200600_302600_NS6detail15normal_iteratorINSA_10device_ptrItEEEEPS6_SG_NS0_5tupleIJSF_S6_EEENSH_IJSG_SG_EEES6_PlJNSB_9not_fun_tINSB_14equal_to_valueItEEEEEEE10hipError_tPvRmT3_T4_T5_T6_T7_T9_mT8_P12ihipStream_tbDpT10_ENKUlT_T0_E_clISt17integral_constantIbLb1EES18_EEDaS13_S14_EUlS13_E_NS1_11comp_targetILNS1_3genE5ELNS1_11target_archE942ELNS1_3gpuE9ELNS1_3repE0EEENS1_30default_config_static_selectorELNS0_4arch9wavefront6targetE0EEEvT1_ ; -- Begin function _ZN7rocprim17ROCPRIM_400000_NS6detail17trampoline_kernelINS0_14default_configENS1_25partition_config_selectorILNS1_17partition_subalgoE6EtNS0_10empty_typeEbEEZZNS1_14partition_implILS5_6ELb0ES3_mN6thrust23THRUST_200600_302600_NS6detail15normal_iteratorINSA_10device_ptrItEEEEPS6_SG_NS0_5tupleIJSF_S6_EEENSH_IJSG_SG_EEES6_PlJNSB_9not_fun_tINSB_14equal_to_valueItEEEEEEE10hipError_tPvRmT3_T4_T5_T6_T7_T9_mT8_P12ihipStream_tbDpT10_ENKUlT_T0_E_clISt17integral_constantIbLb1EES18_EEDaS13_S14_EUlS13_E_NS1_11comp_targetILNS1_3genE5ELNS1_11target_archE942ELNS1_3gpuE9ELNS1_3repE0EEENS1_30default_config_static_selectorELNS0_4arch9wavefront6targetE0EEEvT1_
	.globl	_ZN7rocprim17ROCPRIM_400000_NS6detail17trampoline_kernelINS0_14default_configENS1_25partition_config_selectorILNS1_17partition_subalgoE6EtNS0_10empty_typeEbEEZZNS1_14partition_implILS5_6ELb0ES3_mN6thrust23THRUST_200600_302600_NS6detail15normal_iteratorINSA_10device_ptrItEEEEPS6_SG_NS0_5tupleIJSF_S6_EEENSH_IJSG_SG_EEES6_PlJNSB_9not_fun_tINSB_14equal_to_valueItEEEEEEE10hipError_tPvRmT3_T4_T5_T6_T7_T9_mT8_P12ihipStream_tbDpT10_ENKUlT_T0_E_clISt17integral_constantIbLb1EES18_EEDaS13_S14_EUlS13_E_NS1_11comp_targetILNS1_3genE5ELNS1_11target_archE942ELNS1_3gpuE9ELNS1_3repE0EEENS1_30default_config_static_selectorELNS0_4arch9wavefront6targetE0EEEvT1_
	.p2align	8
	.type	_ZN7rocprim17ROCPRIM_400000_NS6detail17trampoline_kernelINS0_14default_configENS1_25partition_config_selectorILNS1_17partition_subalgoE6EtNS0_10empty_typeEbEEZZNS1_14partition_implILS5_6ELb0ES3_mN6thrust23THRUST_200600_302600_NS6detail15normal_iteratorINSA_10device_ptrItEEEEPS6_SG_NS0_5tupleIJSF_S6_EEENSH_IJSG_SG_EEES6_PlJNSB_9not_fun_tINSB_14equal_to_valueItEEEEEEE10hipError_tPvRmT3_T4_T5_T6_T7_T9_mT8_P12ihipStream_tbDpT10_ENKUlT_T0_E_clISt17integral_constantIbLb1EES18_EEDaS13_S14_EUlS13_E_NS1_11comp_targetILNS1_3genE5ELNS1_11target_archE942ELNS1_3gpuE9ELNS1_3repE0EEENS1_30default_config_static_selectorELNS0_4arch9wavefront6targetE0EEEvT1_,@function
_ZN7rocprim17ROCPRIM_400000_NS6detail17trampoline_kernelINS0_14default_configENS1_25partition_config_selectorILNS1_17partition_subalgoE6EtNS0_10empty_typeEbEEZZNS1_14partition_implILS5_6ELb0ES3_mN6thrust23THRUST_200600_302600_NS6detail15normal_iteratorINSA_10device_ptrItEEEEPS6_SG_NS0_5tupleIJSF_S6_EEENSH_IJSG_SG_EEES6_PlJNSB_9not_fun_tINSB_14equal_to_valueItEEEEEEE10hipError_tPvRmT3_T4_T5_T6_T7_T9_mT8_P12ihipStream_tbDpT10_ENKUlT_T0_E_clISt17integral_constantIbLb1EES18_EEDaS13_S14_EUlS13_E_NS1_11comp_targetILNS1_3genE5ELNS1_11target_archE942ELNS1_3gpuE9ELNS1_3repE0EEENS1_30default_config_static_selectorELNS0_4arch9wavefront6targetE0EEEvT1_: ; @_ZN7rocprim17ROCPRIM_400000_NS6detail17trampoline_kernelINS0_14default_configENS1_25partition_config_selectorILNS1_17partition_subalgoE6EtNS0_10empty_typeEbEEZZNS1_14partition_implILS5_6ELb0ES3_mN6thrust23THRUST_200600_302600_NS6detail15normal_iteratorINSA_10device_ptrItEEEEPS6_SG_NS0_5tupleIJSF_S6_EEENSH_IJSG_SG_EEES6_PlJNSB_9not_fun_tINSB_14equal_to_valueItEEEEEEE10hipError_tPvRmT3_T4_T5_T6_T7_T9_mT8_P12ihipStream_tbDpT10_ENKUlT_T0_E_clISt17integral_constantIbLb1EES18_EEDaS13_S14_EUlS13_E_NS1_11comp_targetILNS1_3genE5ELNS1_11target_archE942ELNS1_3gpuE9ELNS1_3repE0EEENS1_30default_config_static_selectorELNS0_4arch9wavefront6targetE0EEEvT1_
; %bb.0:
	.section	.rodata,"a",@progbits
	.p2align	6, 0x0
	.amdhsa_kernel _ZN7rocprim17ROCPRIM_400000_NS6detail17trampoline_kernelINS0_14default_configENS1_25partition_config_selectorILNS1_17partition_subalgoE6EtNS0_10empty_typeEbEEZZNS1_14partition_implILS5_6ELb0ES3_mN6thrust23THRUST_200600_302600_NS6detail15normal_iteratorINSA_10device_ptrItEEEEPS6_SG_NS0_5tupleIJSF_S6_EEENSH_IJSG_SG_EEES6_PlJNSB_9not_fun_tINSB_14equal_to_valueItEEEEEEE10hipError_tPvRmT3_T4_T5_T6_T7_T9_mT8_P12ihipStream_tbDpT10_ENKUlT_T0_E_clISt17integral_constantIbLb1EES18_EEDaS13_S14_EUlS13_E_NS1_11comp_targetILNS1_3genE5ELNS1_11target_archE942ELNS1_3gpuE9ELNS1_3repE0EEENS1_30default_config_static_selectorELNS0_4arch9wavefront6targetE0EEEvT1_
		.amdhsa_group_segment_fixed_size 0
		.amdhsa_private_segment_fixed_size 0
		.amdhsa_kernarg_size 128
		.amdhsa_user_sgpr_count 2
		.amdhsa_user_sgpr_dispatch_ptr 0
		.amdhsa_user_sgpr_queue_ptr 0
		.amdhsa_user_sgpr_kernarg_segment_ptr 1
		.amdhsa_user_sgpr_dispatch_id 0
		.amdhsa_user_sgpr_private_segment_size 0
		.amdhsa_wavefront_size32 1
		.amdhsa_uses_dynamic_stack 0
		.amdhsa_enable_private_segment 0
		.amdhsa_system_sgpr_workgroup_id_x 1
		.amdhsa_system_sgpr_workgroup_id_y 0
		.amdhsa_system_sgpr_workgroup_id_z 0
		.amdhsa_system_sgpr_workgroup_info 0
		.amdhsa_system_vgpr_workitem_id 0
		.amdhsa_next_free_vgpr 1
		.amdhsa_next_free_sgpr 1
		.amdhsa_reserve_vcc 0
		.amdhsa_float_round_mode_32 0
		.amdhsa_float_round_mode_16_64 0
		.amdhsa_float_denorm_mode_32 3
		.amdhsa_float_denorm_mode_16_64 3
		.amdhsa_fp16_overflow 0
		.amdhsa_workgroup_processor_mode 1
		.amdhsa_memory_ordered 1
		.amdhsa_forward_progress 1
		.amdhsa_inst_pref_size 0
		.amdhsa_round_robin_scheduling 0
		.amdhsa_exception_fp_ieee_invalid_op 0
		.amdhsa_exception_fp_denorm_src 0
		.amdhsa_exception_fp_ieee_div_zero 0
		.amdhsa_exception_fp_ieee_overflow 0
		.amdhsa_exception_fp_ieee_underflow 0
		.amdhsa_exception_fp_ieee_inexact 0
		.amdhsa_exception_int_div_zero 0
	.end_amdhsa_kernel
	.section	.text._ZN7rocprim17ROCPRIM_400000_NS6detail17trampoline_kernelINS0_14default_configENS1_25partition_config_selectorILNS1_17partition_subalgoE6EtNS0_10empty_typeEbEEZZNS1_14partition_implILS5_6ELb0ES3_mN6thrust23THRUST_200600_302600_NS6detail15normal_iteratorINSA_10device_ptrItEEEEPS6_SG_NS0_5tupleIJSF_S6_EEENSH_IJSG_SG_EEES6_PlJNSB_9not_fun_tINSB_14equal_to_valueItEEEEEEE10hipError_tPvRmT3_T4_T5_T6_T7_T9_mT8_P12ihipStream_tbDpT10_ENKUlT_T0_E_clISt17integral_constantIbLb1EES18_EEDaS13_S14_EUlS13_E_NS1_11comp_targetILNS1_3genE5ELNS1_11target_archE942ELNS1_3gpuE9ELNS1_3repE0EEENS1_30default_config_static_selectorELNS0_4arch9wavefront6targetE0EEEvT1_,"axG",@progbits,_ZN7rocprim17ROCPRIM_400000_NS6detail17trampoline_kernelINS0_14default_configENS1_25partition_config_selectorILNS1_17partition_subalgoE6EtNS0_10empty_typeEbEEZZNS1_14partition_implILS5_6ELb0ES3_mN6thrust23THRUST_200600_302600_NS6detail15normal_iteratorINSA_10device_ptrItEEEEPS6_SG_NS0_5tupleIJSF_S6_EEENSH_IJSG_SG_EEES6_PlJNSB_9not_fun_tINSB_14equal_to_valueItEEEEEEE10hipError_tPvRmT3_T4_T5_T6_T7_T9_mT8_P12ihipStream_tbDpT10_ENKUlT_T0_E_clISt17integral_constantIbLb1EES18_EEDaS13_S14_EUlS13_E_NS1_11comp_targetILNS1_3genE5ELNS1_11target_archE942ELNS1_3gpuE9ELNS1_3repE0EEENS1_30default_config_static_selectorELNS0_4arch9wavefront6targetE0EEEvT1_,comdat
.Lfunc_end414:
	.size	_ZN7rocprim17ROCPRIM_400000_NS6detail17trampoline_kernelINS0_14default_configENS1_25partition_config_selectorILNS1_17partition_subalgoE6EtNS0_10empty_typeEbEEZZNS1_14partition_implILS5_6ELb0ES3_mN6thrust23THRUST_200600_302600_NS6detail15normal_iteratorINSA_10device_ptrItEEEEPS6_SG_NS0_5tupleIJSF_S6_EEENSH_IJSG_SG_EEES6_PlJNSB_9not_fun_tINSB_14equal_to_valueItEEEEEEE10hipError_tPvRmT3_T4_T5_T6_T7_T9_mT8_P12ihipStream_tbDpT10_ENKUlT_T0_E_clISt17integral_constantIbLb1EES18_EEDaS13_S14_EUlS13_E_NS1_11comp_targetILNS1_3genE5ELNS1_11target_archE942ELNS1_3gpuE9ELNS1_3repE0EEENS1_30default_config_static_selectorELNS0_4arch9wavefront6targetE0EEEvT1_, .Lfunc_end414-_ZN7rocprim17ROCPRIM_400000_NS6detail17trampoline_kernelINS0_14default_configENS1_25partition_config_selectorILNS1_17partition_subalgoE6EtNS0_10empty_typeEbEEZZNS1_14partition_implILS5_6ELb0ES3_mN6thrust23THRUST_200600_302600_NS6detail15normal_iteratorINSA_10device_ptrItEEEEPS6_SG_NS0_5tupleIJSF_S6_EEENSH_IJSG_SG_EEES6_PlJNSB_9not_fun_tINSB_14equal_to_valueItEEEEEEE10hipError_tPvRmT3_T4_T5_T6_T7_T9_mT8_P12ihipStream_tbDpT10_ENKUlT_T0_E_clISt17integral_constantIbLb1EES18_EEDaS13_S14_EUlS13_E_NS1_11comp_targetILNS1_3genE5ELNS1_11target_archE942ELNS1_3gpuE9ELNS1_3repE0EEENS1_30default_config_static_selectorELNS0_4arch9wavefront6targetE0EEEvT1_
                                        ; -- End function
	.set _ZN7rocprim17ROCPRIM_400000_NS6detail17trampoline_kernelINS0_14default_configENS1_25partition_config_selectorILNS1_17partition_subalgoE6EtNS0_10empty_typeEbEEZZNS1_14partition_implILS5_6ELb0ES3_mN6thrust23THRUST_200600_302600_NS6detail15normal_iteratorINSA_10device_ptrItEEEEPS6_SG_NS0_5tupleIJSF_S6_EEENSH_IJSG_SG_EEES6_PlJNSB_9not_fun_tINSB_14equal_to_valueItEEEEEEE10hipError_tPvRmT3_T4_T5_T6_T7_T9_mT8_P12ihipStream_tbDpT10_ENKUlT_T0_E_clISt17integral_constantIbLb1EES18_EEDaS13_S14_EUlS13_E_NS1_11comp_targetILNS1_3genE5ELNS1_11target_archE942ELNS1_3gpuE9ELNS1_3repE0EEENS1_30default_config_static_selectorELNS0_4arch9wavefront6targetE0EEEvT1_.num_vgpr, 0
	.set _ZN7rocprim17ROCPRIM_400000_NS6detail17trampoline_kernelINS0_14default_configENS1_25partition_config_selectorILNS1_17partition_subalgoE6EtNS0_10empty_typeEbEEZZNS1_14partition_implILS5_6ELb0ES3_mN6thrust23THRUST_200600_302600_NS6detail15normal_iteratorINSA_10device_ptrItEEEEPS6_SG_NS0_5tupleIJSF_S6_EEENSH_IJSG_SG_EEES6_PlJNSB_9not_fun_tINSB_14equal_to_valueItEEEEEEE10hipError_tPvRmT3_T4_T5_T6_T7_T9_mT8_P12ihipStream_tbDpT10_ENKUlT_T0_E_clISt17integral_constantIbLb1EES18_EEDaS13_S14_EUlS13_E_NS1_11comp_targetILNS1_3genE5ELNS1_11target_archE942ELNS1_3gpuE9ELNS1_3repE0EEENS1_30default_config_static_selectorELNS0_4arch9wavefront6targetE0EEEvT1_.num_agpr, 0
	.set _ZN7rocprim17ROCPRIM_400000_NS6detail17trampoline_kernelINS0_14default_configENS1_25partition_config_selectorILNS1_17partition_subalgoE6EtNS0_10empty_typeEbEEZZNS1_14partition_implILS5_6ELb0ES3_mN6thrust23THRUST_200600_302600_NS6detail15normal_iteratorINSA_10device_ptrItEEEEPS6_SG_NS0_5tupleIJSF_S6_EEENSH_IJSG_SG_EEES6_PlJNSB_9not_fun_tINSB_14equal_to_valueItEEEEEEE10hipError_tPvRmT3_T4_T5_T6_T7_T9_mT8_P12ihipStream_tbDpT10_ENKUlT_T0_E_clISt17integral_constantIbLb1EES18_EEDaS13_S14_EUlS13_E_NS1_11comp_targetILNS1_3genE5ELNS1_11target_archE942ELNS1_3gpuE9ELNS1_3repE0EEENS1_30default_config_static_selectorELNS0_4arch9wavefront6targetE0EEEvT1_.numbered_sgpr, 0
	.set _ZN7rocprim17ROCPRIM_400000_NS6detail17trampoline_kernelINS0_14default_configENS1_25partition_config_selectorILNS1_17partition_subalgoE6EtNS0_10empty_typeEbEEZZNS1_14partition_implILS5_6ELb0ES3_mN6thrust23THRUST_200600_302600_NS6detail15normal_iteratorINSA_10device_ptrItEEEEPS6_SG_NS0_5tupleIJSF_S6_EEENSH_IJSG_SG_EEES6_PlJNSB_9not_fun_tINSB_14equal_to_valueItEEEEEEE10hipError_tPvRmT3_T4_T5_T6_T7_T9_mT8_P12ihipStream_tbDpT10_ENKUlT_T0_E_clISt17integral_constantIbLb1EES18_EEDaS13_S14_EUlS13_E_NS1_11comp_targetILNS1_3genE5ELNS1_11target_archE942ELNS1_3gpuE9ELNS1_3repE0EEENS1_30default_config_static_selectorELNS0_4arch9wavefront6targetE0EEEvT1_.num_named_barrier, 0
	.set _ZN7rocprim17ROCPRIM_400000_NS6detail17trampoline_kernelINS0_14default_configENS1_25partition_config_selectorILNS1_17partition_subalgoE6EtNS0_10empty_typeEbEEZZNS1_14partition_implILS5_6ELb0ES3_mN6thrust23THRUST_200600_302600_NS6detail15normal_iteratorINSA_10device_ptrItEEEEPS6_SG_NS0_5tupleIJSF_S6_EEENSH_IJSG_SG_EEES6_PlJNSB_9not_fun_tINSB_14equal_to_valueItEEEEEEE10hipError_tPvRmT3_T4_T5_T6_T7_T9_mT8_P12ihipStream_tbDpT10_ENKUlT_T0_E_clISt17integral_constantIbLb1EES18_EEDaS13_S14_EUlS13_E_NS1_11comp_targetILNS1_3genE5ELNS1_11target_archE942ELNS1_3gpuE9ELNS1_3repE0EEENS1_30default_config_static_selectorELNS0_4arch9wavefront6targetE0EEEvT1_.private_seg_size, 0
	.set _ZN7rocprim17ROCPRIM_400000_NS6detail17trampoline_kernelINS0_14default_configENS1_25partition_config_selectorILNS1_17partition_subalgoE6EtNS0_10empty_typeEbEEZZNS1_14partition_implILS5_6ELb0ES3_mN6thrust23THRUST_200600_302600_NS6detail15normal_iteratorINSA_10device_ptrItEEEEPS6_SG_NS0_5tupleIJSF_S6_EEENSH_IJSG_SG_EEES6_PlJNSB_9not_fun_tINSB_14equal_to_valueItEEEEEEE10hipError_tPvRmT3_T4_T5_T6_T7_T9_mT8_P12ihipStream_tbDpT10_ENKUlT_T0_E_clISt17integral_constantIbLb1EES18_EEDaS13_S14_EUlS13_E_NS1_11comp_targetILNS1_3genE5ELNS1_11target_archE942ELNS1_3gpuE9ELNS1_3repE0EEENS1_30default_config_static_selectorELNS0_4arch9wavefront6targetE0EEEvT1_.uses_vcc, 0
	.set _ZN7rocprim17ROCPRIM_400000_NS6detail17trampoline_kernelINS0_14default_configENS1_25partition_config_selectorILNS1_17partition_subalgoE6EtNS0_10empty_typeEbEEZZNS1_14partition_implILS5_6ELb0ES3_mN6thrust23THRUST_200600_302600_NS6detail15normal_iteratorINSA_10device_ptrItEEEEPS6_SG_NS0_5tupleIJSF_S6_EEENSH_IJSG_SG_EEES6_PlJNSB_9not_fun_tINSB_14equal_to_valueItEEEEEEE10hipError_tPvRmT3_T4_T5_T6_T7_T9_mT8_P12ihipStream_tbDpT10_ENKUlT_T0_E_clISt17integral_constantIbLb1EES18_EEDaS13_S14_EUlS13_E_NS1_11comp_targetILNS1_3genE5ELNS1_11target_archE942ELNS1_3gpuE9ELNS1_3repE0EEENS1_30default_config_static_selectorELNS0_4arch9wavefront6targetE0EEEvT1_.uses_flat_scratch, 0
	.set _ZN7rocprim17ROCPRIM_400000_NS6detail17trampoline_kernelINS0_14default_configENS1_25partition_config_selectorILNS1_17partition_subalgoE6EtNS0_10empty_typeEbEEZZNS1_14partition_implILS5_6ELb0ES3_mN6thrust23THRUST_200600_302600_NS6detail15normal_iteratorINSA_10device_ptrItEEEEPS6_SG_NS0_5tupleIJSF_S6_EEENSH_IJSG_SG_EEES6_PlJNSB_9not_fun_tINSB_14equal_to_valueItEEEEEEE10hipError_tPvRmT3_T4_T5_T6_T7_T9_mT8_P12ihipStream_tbDpT10_ENKUlT_T0_E_clISt17integral_constantIbLb1EES18_EEDaS13_S14_EUlS13_E_NS1_11comp_targetILNS1_3genE5ELNS1_11target_archE942ELNS1_3gpuE9ELNS1_3repE0EEENS1_30default_config_static_selectorELNS0_4arch9wavefront6targetE0EEEvT1_.has_dyn_sized_stack, 0
	.set _ZN7rocprim17ROCPRIM_400000_NS6detail17trampoline_kernelINS0_14default_configENS1_25partition_config_selectorILNS1_17partition_subalgoE6EtNS0_10empty_typeEbEEZZNS1_14partition_implILS5_6ELb0ES3_mN6thrust23THRUST_200600_302600_NS6detail15normal_iteratorINSA_10device_ptrItEEEEPS6_SG_NS0_5tupleIJSF_S6_EEENSH_IJSG_SG_EEES6_PlJNSB_9not_fun_tINSB_14equal_to_valueItEEEEEEE10hipError_tPvRmT3_T4_T5_T6_T7_T9_mT8_P12ihipStream_tbDpT10_ENKUlT_T0_E_clISt17integral_constantIbLb1EES18_EEDaS13_S14_EUlS13_E_NS1_11comp_targetILNS1_3genE5ELNS1_11target_archE942ELNS1_3gpuE9ELNS1_3repE0EEENS1_30default_config_static_selectorELNS0_4arch9wavefront6targetE0EEEvT1_.has_recursion, 0
	.set _ZN7rocprim17ROCPRIM_400000_NS6detail17trampoline_kernelINS0_14default_configENS1_25partition_config_selectorILNS1_17partition_subalgoE6EtNS0_10empty_typeEbEEZZNS1_14partition_implILS5_6ELb0ES3_mN6thrust23THRUST_200600_302600_NS6detail15normal_iteratorINSA_10device_ptrItEEEEPS6_SG_NS0_5tupleIJSF_S6_EEENSH_IJSG_SG_EEES6_PlJNSB_9not_fun_tINSB_14equal_to_valueItEEEEEEE10hipError_tPvRmT3_T4_T5_T6_T7_T9_mT8_P12ihipStream_tbDpT10_ENKUlT_T0_E_clISt17integral_constantIbLb1EES18_EEDaS13_S14_EUlS13_E_NS1_11comp_targetILNS1_3genE5ELNS1_11target_archE942ELNS1_3gpuE9ELNS1_3repE0EEENS1_30default_config_static_selectorELNS0_4arch9wavefront6targetE0EEEvT1_.has_indirect_call, 0
	.section	.AMDGPU.csdata,"",@progbits
; Kernel info:
; codeLenInByte = 0
; TotalNumSgprs: 0
; NumVgprs: 0
; ScratchSize: 0
; MemoryBound: 0
; FloatMode: 240
; IeeeMode: 1
; LDSByteSize: 0 bytes/workgroup (compile time only)
; SGPRBlocks: 0
; VGPRBlocks: 0
; NumSGPRsForWavesPerEU: 1
; NumVGPRsForWavesPerEU: 1
; Occupancy: 16
; WaveLimiterHint : 0
; COMPUTE_PGM_RSRC2:SCRATCH_EN: 0
; COMPUTE_PGM_RSRC2:USER_SGPR: 2
; COMPUTE_PGM_RSRC2:TRAP_HANDLER: 0
; COMPUTE_PGM_RSRC2:TGID_X_EN: 1
; COMPUTE_PGM_RSRC2:TGID_Y_EN: 0
; COMPUTE_PGM_RSRC2:TGID_Z_EN: 0
; COMPUTE_PGM_RSRC2:TIDIG_COMP_CNT: 0
	.section	.text._ZN7rocprim17ROCPRIM_400000_NS6detail17trampoline_kernelINS0_14default_configENS1_25partition_config_selectorILNS1_17partition_subalgoE6EtNS0_10empty_typeEbEEZZNS1_14partition_implILS5_6ELb0ES3_mN6thrust23THRUST_200600_302600_NS6detail15normal_iteratorINSA_10device_ptrItEEEEPS6_SG_NS0_5tupleIJSF_S6_EEENSH_IJSG_SG_EEES6_PlJNSB_9not_fun_tINSB_14equal_to_valueItEEEEEEE10hipError_tPvRmT3_T4_T5_T6_T7_T9_mT8_P12ihipStream_tbDpT10_ENKUlT_T0_E_clISt17integral_constantIbLb1EES18_EEDaS13_S14_EUlS13_E_NS1_11comp_targetILNS1_3genE4ELNS1_11target_archE910ELNS1_3gpuE8ELNS1_3repE0EEENS1_30default_config_static_selectorELNS0_4arch9wavefront6targetE0EEEvT1_,"axG",@progbits,_ZN7rocprim17ROCPRIM_400000_NS6detail17trampoline_kernelINS0_14default_configENS1_25partition_config_selectorILNS1_17partition_subalgoE6EtNS0_10empty_typeEbEEZZNS1_14partition_implILS5_6ELb0ES3_mN6thrust23THRUST_200600_302600_NS6detail15normal_iteratorINSA_10device_ptrItEEEEPS6_SG_NS0_5tupleIJSF_S6_EEENSH_IJSG_SG_EEES6_PlJNSB_9not_fun_tINSB_14equal_to_valueItEEEEEEE10hipError_tPvRmT3_T4_T5_T6_T7_T9_mT8_P12ihipStream_tbDpT10_ENKUlT_T0_E_clISt17integral_constantIbLb1EES18_EEDaS13_S14_EUlS13_E_NS1_11comp_targetILNS1_3genE4ELNS1_11target_archE910ELNS1_3gpuE8ELNS1_3repE0EEENS1_30default_config_static_selectorELNS0_4arch9wavefront6targetE0EEEvT1_,comdat
	.protected	_ZN7rocprim17ROCPRIM_400000_NS6detail17trampoline_kernelINS0_14default_configENS1_25partition_config_selectorILNS1_17partition_subalgoE6EtNS0_10empty_typeEbEEZZNS1_14partition_implILS5_6ELb0ES3_mN6thrust23THRUST_200600_302600_NS6detail15normal_iteratorINSA_10device_ptrItEEEEPS6_SG_NS0_5tupleIJSF_S6_EEENSH_IJSG_SG_EEES6_PlJNSB_9not_fun_tINSB_14equal_to_valueItEEEEEEE10hipError_tPvRmT3_T4_T5_T6_T7_T9_mT8_P12ihipStream_tbDpT10_ENKUlT_T0_E_clISt17integral_constantIbLb1EES18_EEDaS13_S14_EUlS13_E_NS1_11comp_targetILNS1_3genE4ELNS1_11target_archE910ELNS1_3gpuE8ELNS1_3repE0EEENS1_30default_config_static_selectorELNS0_4arch9wavefront6targetE0EEEvT1_ ; -- Begin function _ZN7rocprim17ROCPRIM_400000_NS6detail17trampoline_kernelINS0_14default_configENS1_25partition_config_selectorILNS1_17partition_subalgoE6EtNS0_10empty_typeEbEEZZNS1_14partition_implILS5_6ELb0ES3_mN6thrust23THRUST_200600_302600_NS6detail15normal_iteratorINSA_10device_ptrItEEEEPS6_SG_NS0_5tupleIJSF_S6_EEENSH_IJSG_SG_EEES6_PlJNSB_9not_fun_tINSB_14equal_to_valueItEEEEEEE10hipError_tPvRmT3_T4_T5_T6_T7_T9_mT8_P12ihipStream_tbDpT10_ENKUlT_T0_E_clISt17integral_constantIbLb1EES18_EEDaS13_S14_EUlS13_E_NS1_11comp_targetILNS1_3genE4ELNS1_11target_archE910ELNS1_3gpuE8ELNS1_3repE0EEENS1_30default_config_static_selectorELNS0_4arch9wavefront6targetE0EEEvT1_
	.globl	_ZN7rocprim17ROCPRIM_400000_NS6detail17trampoline_kernelINS0_14default_configENS1_25partition_config_selectorILNS1_17partition_subalgoE6EtNS0_10empty_typeEbEEZZNS1_14partition_implILS5_6ELb0ES3_mN6thrust23THRUST_200600_302600_NS6detail15normal_iteratorINSA_10device_ptrItEEEEPS6_SG_NS0_5tupleIJSF_S6_EEENSH_IJSG_SG_EEES6_PlJNSB_9not_fun_tINSB_14equal_to_valueItEEEEEEE10hipError_tPvRmT3_T4_T5_T6_T7_T9_mT8_P12ihipStream_tbDpT10_ENKUlT_T0_E_clISt17integral_constantIbLb1EES18_EEDaS13_S14_EUlS13_E_NS1_11comp_targetILNS1_3genE4ELNS1_11target_archE910ELNS1_3gpuE8ELNS1_3repE0EEENS1_30default_config_static_selectorELNS0_4arch9wavefront6targetE0EEEvT1_
	.p2align	8
	.type	_ZN7rocprim17ROCPRIM_400000_NS6detail17trampoline_kernelINS0_14default_configENS1_25partition_config_selectorILNS1_17partition_subalgoE6EtNS0_10empty_typeEbEEZZNS1_14partition_implILS5_6ELb0ES3_mN6thrust23THRUST_200600_302600_NS6detail15normal_iteratorINSA_10device_ptrItEEEEPS6_SG_NS0_5tupleIJSF_S6_EEENSH_IJSG_SG_EEES6_PlJNSB_9not_fun_tINSB_14equal_to_valueItEEEEEEE10hipError_tPvRmT3_T4_T5_T6_T7_T9_mT8_P12ihipStream_tbDpT10_ENKUlT_T0_E_clISt17integral_constantIbLb1EES18_EEDaS13_S14_EUlS13_E_NS1_11comp_targetILNS1_3genE4ELNS1_11target_archE910ELNS1_3gpuE8ELNS1_3repE0EEENS1_30default_config_static_selectorELNS0_4arch9wavefront6targetE0EEEvT1_,@function
_ZN7rocprim17ROCPRIM_400000_NS6detail17trampoline_kernelINS0_14default_configENS1_25partition_config_selectorILNS1_17partition_subalgoE6EtNS0_10empty_typeEbEEZZNS1_14partition_implILS5_6ELb0ES3_mN6thrust23THRUST_200600_302600_NS6detail15normal_iteratorINSA_10device_ptrItEEEEPS6_SG_NS0_5tupleIJSF_S6_EEENSH_IJSG_SG_EEES6_PlJNSB_9not_fun_tINSB_14equal_to_valueItEEEEEEE10hipError_tPvRmT3_T4_T5_T6_T7_T9_mT8_P12ihipStream_tbDpT10_ENKUlT_T0_E_clISt17integral_constantIbLb1EES18_EEDaS13_S14_EUlS13_E_NS1_11comp_targetILNS1_3genE4ELNS1_11target_archE910ELNS1_3gpuE8ELNS1_3repE0EEENS1_30default_config_static_selectorELNS0_4arch9wavefront6targetE0EEEvT1_: ; @_ZN7rocprim17ROCPRIM_400000_NS6detail17trampoline_kernelINS0_14default_configENS1_25partition_config_selectorILNS1_17partition_subalgoE6EtNS0_10empty_typeEbEEZZNS1_14partition_implILS5_6ELb0ES3_mN6thrust23THRUST_200600_302600_NS6detail15normal_iteratorINSA_10device_ptrItEEEEPS6_SG_NS0_5tupleIJSF_S6_EEENSH_IJSG_SG_EEES6_PlJNSB_9not_fun_tINSB_14equal_to_valueItEEEEEEE10hipError_tPvRmT3_T4_T5_T6_T7_T9_mT8_P12ihipStream_tbDpT10_ENKUlT_T0_E_clISt17integral_constantIbLb1EES18_EEDaS13_S14_EUlS13_E_NS1_11comp_targetILNS1_3genE4ELNS1_11target_archE910ELNS1_3gpuE8ELNS1_3repE0EEENS1_30default_config_static_selectorELNS0_4arch9wavefront6targetE0EEEvT1_
; %bb.0:
	.section	.rodata,"a",@progbits
	.p2align	6, 0x0
	.amdhsa_kernel _ZN7rocprim17ROCPRIM_400000_NS6detail17trampoline_kernelINS0_14default_configENS1_25partition_config_selectorILNS1_17partition_subalgoE6EtNS0_10empty_typeEbEEZZNS1_14partition_implILS5_6ELb0ES3_mN6thrust23THRUST_200600_302600_NS6detail15normal_iteratorINSA_10device_ptrItEEEEPS6_SG_NS0_5tupleIJSF_S6_EEENSH_IJSG_SG_EEES6_PlJNSB_9not_fun_tINSB_14equal_to_valueItEEEEEEE10hipError_tPvRmT3_T4_T5_T6_T7_T9_mT8_P12ihipStream_tbDpT10_ENKUlT_T0_E_clISt17integral_constantIbLb1EES18_EEDaS13_S14_EUlS13_E_NS1_11comp_targetILNS1_3genE4ELNS1_11target_archE910ELNS1_3gpuE8ELNS1_3repE0EEENS1_30default_config_static_selectorELNS0_4arch9wavefront6targetE0EEEvT1_
		.amdhsa_group_segment_fixed_size 0
		.amdhsa_private_segment_fixed_size 0
		.amdhsa_kernarg_size 128
		.amdhsa_user_sgpr_count 2
		.amdhsa_user_sgpr_dispatch_ptr 0
		.amdhsa_user_sgpr_queue_ptr 0
		.amdhsa_user_sgpr_kernarg_segment_ptr 1
		.amdhsa_user_sgpr_dispatch_id 0
		.amdhsa_user_sgpr_private_segment_size 0
		.amdhsa_wavefront_size32 1
		.amdhsa_uses_dynamic_stack 0
		.amdhsa_enable_private_segment 0
		.amdhsa_system_sgpr_workgroup_id_x 1
		.amdhsa_system_sgpr_workgroup_id_y 0
		.amdhsa_system_sgpr_workgroup_id_z 0
		.amdhsa_system_sgpr_workgroup_info 0
		.amdhsa_system_vgpr_workitem_id 0
		.amdhsa_next_free_vgpr 1
		.amdhsa_next_free_sgpr 1
		.amdhsa_reserve_vcc 0
		.amdhsa_float_round_mode_32 0
		.amdhsa_float_round_mode_16_64 0
		.amdhsa_float_denorm_mode_32 3
		.amdhsa_float_denorm_mode_16_64 3
		.amdhsa_fp16_overflow 0
		.amdhsa_workgroup_processor_mode 1
		.amdhsa_memory_ordered 1
		.amdhsa_forward_progress 1
		.amdhsa_inst_pref_size 0
		.amdhsa_round_robin_scheduling 0
		.amdhsa_exception_fp_ieee_invalid_op 0
		.amdhsa_exception_fp_denorm_src 0
		.amdhsa_exception_fp_ieee_div_zero 0
		.amdhsa_exception_fp_ieee_overflow 0
		.amdhsa_exception_fp_ieee_underflow 0
		.amdhsa_exception_fp_ieee_inexact 0
		.amdhsa_exception_int_div_zero 0
	.end_amdhsa_kernel
	.section	.text._ZN7rocprim17ROCPRIM_400000_NS6detail17trampoline_kernelINS0_14default_configENS1_25partition_config_selectorILNS1_17partition_subalgoE6EtNS0_10empty_typeEbEEZZNS1_14partition_implILS5_6ELb0ES3_mN6thrust23THRUST_200600_302600_NS6detail15normal_iteratorINSA_10device_ptrItEEEEPS6_SG_NS0_5tupleIJSF_S6_EEENSH_IJSG_SG_EEES6_PlJNSB_9not_fun_tINSB_14equal_to_valueItEEEEEEE10hipError_tPvRmT3_T4_T5_T6_T7_T9_mT8_P12ihipStream_tbDpT10_ENKUlT_T0_E_clISt17integral_constantIbLb1EES18_EEDaS13_S14_EUlS13_E_NS1_11comp_targetILNS1_3genE4ELNS1_11target_archE910ELNS1_3gpuE8ELNS1_3repE0EEENS1_30default_config_static_selectorELNS0_4arch9wavefront6targetE0EEEvT1_,"axG",@progbits,_ZN7rocprim17ROCPRIM_400000_NS6detail17trampoline_kernelINS0_14default_configENS1_25partition_config_selectorILNS1_17partition_subalgoE6EtNS0_10empty_typeEbEEZZNS1_14partition_implILS5_6ELb0ES3_mN6thrust23THRUST_200600_302600_NS6detail15normal_iteratorINSA_10device_ptrItEEEEPS6_SG_NS0_5tupleIJSF_S6_EEENSH_IJSG_SG_EEES6_PlJNSB_9not_fun_tINSB_14equal_to_valueItEEEEEEE10hipError_tPvRmT3_T4_T5_T6_T7_T9_mT8_P12ihipStream_tbDpT10_ENKUlT_T0_E_clISt17integral_constantIbLb1EES18_EEDaS13_S14_EUlS13_E_NS1_11comp_targetILNS1_3genE4ELNS1_11target_archE910ELNS1_3gpuE8ELNS1_3repE0EEENS1_30default_config_static_selectorELNS0_4arch9wavefront6targetE0EEEvT1_,comdat
.Lfunc_end415:
	.size	_ZN7rocprim17ROCPRIM_400000_NS6detail17trampoline_kernelINS0_14default_configENS1_25partition_config_selectorILNS1_17partition_subalgoE6EtNS0_10empty_typeEbEEZZNS1_14partition_implILS5_6ELb0ES3_mN6thrust23THRUST_200600_302600_NS6detail15normal_iteratorINSA_10device_ptrItEEEEPS6_SG_NS0_5tupleIJSF_S6_EEENSH_IJSG_SG_EEES6_PlJNSB_9not_fun_tINSB_14equal_to_valueItEEEEEEE10hipError_tPvRmT3_T4_T5_T6_T7_T9_mT8_P12ihipStream_tbDpT10_ENKUlT_T0_E_clISt17integral_constantIbLb1EES18_EEDaS13_S14_EUlS13_E_NS1_11comp_targetILNS1_3genE4ELNS1_11target_archE910ELNS1_3gpuE8ELNS1_3repE0EEENS1_30default_config_static_selectorELNS0_4arch9wavefront6targetE0EEEvT1_, .Lfunc_end415-_ZN7rocprim17ROCPRIM_400000_NS6detail17trampoline_kernelINS0_14default_configENS1_25partition_config_selectorILNS1_17partition_subalgoE6EtNS0_10empty_typeEbEEZZNS1_14partition_implILS5_6ELb0ES3_mN6thrust23THRUST_200600_302600_NS6detail15normal_iteratorINSA_10device_ptrItEEEEPS6_SG_NS0_5tupleIJSF_S6_EEENSH_IJSG_SG_EEES6_PlJNSB_9not_fun_tINSB_14equal_to_valueItEEEEEEE10hipError_tPvRmT3_T4_T5_T6_T7_T9_mT8_P12ihipStream_tbDpT10_ENKUlT_T0_E_clISt17integral_constantIbLb1EES18_EEDaS13_S14_EUlS13_E_NS1_11comp_targetILNS1_3genE4ELNS1_11target_archE910ELNS1_3gpuE8ELNS1_3repE0EEENS1_30default_config_static_selectorELNS0_4arch9wavefront6targetE0EEEvT1_
                                        ; -- End function
	.set _ZN7rocprim17ROCPRIM_400000_NS6detail17trampoline_kernelINS0_14default_configENS1_25partition_config_selectorILNS1_17partition_subalgoE6EtNS0_10empty_typeEbEEZZNS1_14partition_implILS5_6ELb0ES3_mN6thrust23THRUST_200600_302600_NS6detail15normal_iteratorINSA_10device_ptrItEEEEPS6_SG_NS0_5tupleIJSF_S6_EEENSH_IJSG_SG_EEES6_PlJNSB_9not_fun_tINSB_14equal_to_valueItEEEEEEE10hipError_tPvRmT3_T4_T5_T6_T7_T9_mT8_P12ihipStream_tbDpT10_ENKUlT_T0_E_clISt17integral_constantIbLb1EES18_EEDaS13_S14_EUlS13_E_NS1_11comp_targetILNS1_3genE4ELNS1_11target_archE910ELNS1_3gpuE8ELNS1_3repE0EEENS1_30default_config_static_selectorELNS0_4arch9wavefront6targetE0EEEvT1_.num_vgpr, 0
	.set _ZN7rocprim17ROCPRIM_400000_NS6detail17trampoline_kernelINS0_14default_configENS1_25partition_config_selectorILNS1_17partition_subalgoE6EtNS0_10empty_typeEbEEZZNS1_14partition_implILS5_6ELb0ES3_mN6thrust23THRUST_200600_302600_NS6detail15normal_iteratorINSA_10device_ptrItEEEEPS6_SG_NS0_5tupleIJSF_S6_EEENSH_IJSG_SG_EEES6_PlJNSB_9not_fun_tINSB_14equal_to_valueItEEEEEEE10hipError_tPvRmT3_T4_T5_T6_T7_T9_mT8_P12ihipStream_tbDpT10_ENKUlT_T0_E_clISt17integral_constantIbLb1EES18_EEDaS13_S14_EUlS13_E_NS1_11comp_targetILNS1_3genE4ELNS1_11target_archE910ELNS1_3gpuE8ELNS1_3repE0EEENS1_30default_config_static_selectorELNS0_4arch9wavefront6targetE0EEEvT1_.num_agpr, 0
	.set _ZN7rocprim17ROCPRIM_400000_NS6detail17trampoline_kernelINS0_14default_configENS1_25partition_config_selectorILNS1_17partition_subalgoE6EtNS0_10empty_typeEbEEZZNS1_14partition_implILS5_6ELb0ES3_mN6thrust23THRUST_200600_302600_NS6detail15normal_iteratorINSA_10device_ptrItEEEEPS6_SG_NS0_5tupleIJSF_S6_EEENSH_IJSG_SG_EEES6_PlJNSB_9not_fun_tINSB_14equal_to_valueItEEEEEEE10hipError_tPvRmT3_T4_T5_T6_T7_T9_mT8_P12ihipStream_tbDpT10_ENKUlT_T0_E_clISt17integral_constantIbLb1EES18_EEDaS13_S14_EUlS13_E_NS1_11comp_targetILNS1_3genE4ELNS1_11target_archE910ELNS1_3gpuE8ELNS1_3repE0EEENS1_30default_config_static_selectorELNS0_4arch9wavefront6targetE0EEEvT1_.numbered_sgpr, 0
	.set _ZN7rocprim17ROCPRIM_400000_NS6detail17trampoline_kernelINS0_14default_configENS1_25partition_config_selectorILNS1_17partition_subalgoE6EtNS0_10empty_typeEbEEZZNS1_14partition_implILS5_6ELb0ES3_mN6thrust23THRUST_200600_302600_NS6detail15normal_iteratorINSA_10device_ptrItEEEEPS6_SG_NS0_5tupleIJSF_S6_EEENSH_IJSG_SG_EEES6_PlJNSB_9not_fun_tINSB_14equal_to_valueItEEEEEEE10hipError_tPvRmT3_T4_T5_T6_T7_T9_mT8_P12ihipStream_tbDpT10_ENKUlT_T0_E_clISt17integral_constantIbLb1EES18_EEDaS13_S14_EUlS13_E_NS1_11comp_targetILNS1_3genE4ELNS1_11target_archE910ELNS1_3gpuE8ELNS1_3repE0EEENS1_30default_config_static_selectorELNS0_4arch9wavefront6targetE0EEEvT1_.num_named_barrier, 0
	.set _ZN7rocprim17ROCPRIM_400000_NS6detail17trampoline_kernelINS0_14default_configENS1_25partition_config_selectorILNS1_17partition_subalgoE6EtNS0_10empty_typeEbEEZZNS1_14partition_implILS5_6ELb0ES3_mN6thrust23THRUST_200600_302600_NS6detail15normal_iteratorINSA_10device_ptrItEEEEPS6_SG_NS0_5tupleIJSF_S6_EEENSH_IJSG_SG_EEES6_PlJNSB_9not_fun_tINSB_14equal_to_valueItEEEEEEE10hipError_tPvRmT3_T4_T5_T6_T7_T9_mT8_P12ihipStream_tbDpT10_ENKUlT_T0_E_clISt17integral_constantIbLb1EES18_EEDaS13_S14_EUlS13_E_NS1_11comp_targetILNS1_3genE4ELNS1_11target_archE910ELNS1_3gpuE8ELNS1_3repE0EEENS1_30default_config_static_selectorELNS0_4arch9wavefront6targetE0EEEvT1_.private_seg_size, 0
	.set _ZN7rocprim17ROCPRIM_400000_NS6detail17trampoline_kernelINS0_14default_configENS1_25partition_config_selectorILNS1_17partition_subalgoE6EtNS0_10empty_typeEbEEZZNS1_14partition_implILS5_6ELb0ES3_mN6thrust23THRUST_200600_302600_NS6detail15normal_iteratorINSA_10device_ptrItEEEEPS6_SG_NS0_5tupleIJSF_S6_EEENSH_IJSG_SG_EEES6_PlJNSB_9not_fun_tINSB_14equal_to_valueItEEEEEEE10hipError_tPvRmT3_T4_T5_T6_T7_T9_mT8_P12ihipStream_tbDpT10_ENKUlT_T0_E_clISt17integral_constantIbLb1EES18_EEDaS13_S14_EUlS13_E_NS1_11comp_targetILNS1_3genE4ELNS1_11target_archE910ELNS1_3gpuE8ELNS1_3repE0EEENS1_30default_config_static_selectorELNS0_4arch9wavefront6targetE0EEEvT1_.uses_vcc, 0
	.set _ZN7rocprim17ROCPRIM_400000_NS6detail17trampoline_kernelINS0_14default_configENS1_25partition_config_selectorILNS1_17partition_subalgoE6EtNS0_10empty_typeEbEEZZNS1_14partition_implILS5_6ELb0ES3_mN6thrust23THRUST_200600_302600_NS6detail15normal_iteratorINSA_10device_ptrItEEEEPS6_SG_NS0_5tupleIJSF_S6_EEENSH_IJSG_SG_EEES6_PlJNSB_9not_fun_tINSB_14equal_to_valueItEEEEEEE10hipError_tPvRmT3_T4_T5_T6_T7_T9_mT8_P12ihipStream_tbDpT10_ENKUlT_T0_E_clISt17integral_constantIbLb1EES18_EEDaS13_S14_EUlS13_E_NS1_11comp_targetILNS1_3genE4ELNS1_11target_archE910ELNS1_3gpuE8ELNS1_3repE0EEENS1_30default_config_static_selectorELNS0_4arch9wavefront6targetE0EEEvT1_.uses_flat_scratch, 0
	.set _ZN7rocprim17ROCPRIM_400000_NS6detail17trampoline_kernelINS0_14default_configENS1_25partition_config_selectorILNS1_17partition_subalgoE6EtNS0_10empty_typeEbEEZZNS1_14partition_implILS5_6ELb0ES3_mN6thrust23THRUST_200600_302600_NS6detail15normal_iteratorINSA_10device_ptrItEEEEPS6_SG_NS0_5tupleIJSF_S6_EEENSH_IJSG_SG_EEES6_PlJNSB_9not_fun_tINSB_14equal_to_valueItEEEEEEE10hipError_tPvRmT3_T4_T5_T6_T7_T9_mT8_P12ihipStream_tbDpT10_ENKUlT_T0_E_clISt17integral_constantIbLb1EES18_EEDaS13_S14_EUlS13_E_NS1_11comp_targetILNS1_3genE4ELNS1_11target_archE910ELNS1_3gpuE8ELNS1_3repE0EEENS1_30default_config_static_selectorELNS0_4arch9wavefront6targetE0EEEvT1_.has_dyn_sized_stack, 0
	.set _ZN7rocprim17ROCPRIM_400000_NS6detail17trampoline_kernelINS0_14default_configENS1_25partition_config_selectorILNS1_17partition_subalgoE6EtNS0_10empty_typeEbEEZZNS1_14partition_implILS5_6ELb0ES3_mN6thrust23THRUST_200600_302600_NS6detail15normal_iteratorINSA_10device_ptrItEEEEPS6_SG_NS0_5tupleIJSF_S6_EEENSH_IJSG_SG_EEES6_PlJNSB_9not_fun_tINSB_14equal_to_valueItEEEEEEE10hipError_tPvRmT3_T4_T5_T6_T7_T9_mT8_P12ihipStream_tbDpT10_ENKUlT_T0_E_clISt17integral_constantIbLb1EES18_EEDaS13_S14_EUlS13_E_NS1_11comp_targetILNS1_3genE4ELNS1_11target_archE910ELNS1_3gpuE8ELNS1_3repE0EEENS1_30default_config_static_selectorELNS0_4arch9wavefront6targetE0EEEvT1_.has_recursion, 0
	.set _ZN7rocprim17ROCPRIM_400000_NS6detail17trampoline_kernelINS0_14default_configENS1_25partition_config_selectorILNS1_17partition_subalgoE6EtNS0_10empty_typeEbEEZZNS1_14partition_implILS5_6ELb0ES3_mN6thrust23THRUST_200600_302600_NS6detail15normal_iteratorINSA_10device_ptrItEEEEPS6_SG_NS0_5tupleIJSF_S6_EEENSH_IJSG_SG_EEES6_PlJNSB_9not_fun_tINSB_14equal_to_valueItEEEEEEE10hipError_tPvRmT3_T4_T5_T6_T7_T9_mT8_P12ihipStream_tbDpT10_ENKUlT_T0_E_clISt17integral_constantIbLb1EES18_EEDaS13_S14_EUlS13_E_NS1_11comp_targetILNS1_3genE4ELNS1_11target_archE910ELNS1_3gpuE8ELNS1_3repE0EEENS1_30default_config_static_selectorELNS0_4arch9wavefront6targetE0EEEvT1_.has_indirect_call, 0
	.section	.AMDGPU.csdata,"",@progbits
; Kernel info:
; codeLenInByte = 0
; TotalNumSgprs: 0
; NumVgprs: 0
; ScratchSize: 0
; MemoryBound: 0
; FloatMode: 240
; IeeeMode: 1
; LDSByteSize: 0 bytes/workgroup (compile time only)
; SGPRBlocks: 0
; VGPRBlocks: 0
; NumSGPRsForWavesPerEU: 1
; NumVGPRsForWavesPerEU: 1
; Occupancy: 16
; WaveLimiterHint : 0
; COMPUTE_PGM_RSRC2:SCRATCH_EN: 0
; COMPUTE_PGM_RSRC2:USER_SGPR: 2
; COMPUTE_PGM_RSRC2:TRAP_HANDLER: 0
; COMPUTE_PGM_RSRC2:TGID_X_EN: 1
; COMPUTE_PGM_RSRC2:TGID_Y_EN: 0
; COMPUTE_PGM_RSRC2:TGID_Z_EN: 0
; COMPUTE_PGM_RSRC2:TIDIG_COMP_CNT: 0
	.section	.text._ZN7rocprim17ROCPRIM_400000_NS6detail17trampoline_kernelINS0_14default_configENS1_25partition_config_selectorILNS1_17partition_subalgoE6EtNS0_10empty_typeEbEEZZNS1_14partition_implILS5_6ELb0ES3_mN6thrust23THRUST_200600_302600_NS6detail15normal_iteratorINSA_10device_ptrItEEEEPS6_SG_NS0_5tupleIJSF_S6_EEENSH_IJSG_SG_EEES6_PlJNSB_9not_fun_tINSB_14equal_to_valueItEEEEEEE10hipError_tPvRmT3_T4_T5_T6_T7_T9_mT8_P12ihipStream_tbDpT10_ENKUlT_T0_E_clISt17integral_constantIbLb1EES18_EEDaS13_S14_EUlS13_E_NS1_11comp_targetILNS1_3genE3ELNS1_11target_archE908ELNS1_3gpuE7ELNS1_3repE0EEENS1_30default_config_static_selectorELNS0_4arch9wavefront6targetE0EEEvT1_,"axG",@progbits,_ZN7rocprim17ROCPRIM_400000_NS6detail17trampoline_kernelINS0_14default_configENS1_25partition_config_selectorILNS1_17partition_subalgoE6EtNS0_10empty_typeEbEEZZNS1_14partition_implILS5_6ELb0ES3_mN6thrust23THRUST_200600_302600_NS6detail15normal_iteratorINSA_10device_ptrItEEEEPS6_SG_NS0_5tupleIJSF_S6_EEENSH_IJSG_SG_EEES6_PlJNSB_9not_fun_tINSB_14equal_to_valueItEEEEEEE10hipError_tPvRmT3_T4_T5_T6_T7_T9_mT8_P12ihipStream_tbDpT10_ENKUlT_T0_E_clISt17integral_constantIbLb1EES18_EEDaS13_S14_EUlS13_E_NS1_11comp_targetILNS1_3genE3ELNS1_11target_archE908ELNS1_3gpuE7ELNS1_3repE0EEENS1_30default_config_static_selectorELNS0_4arch9wavefront6targetE0EEEvT1_,comdat
	.protected	_ZN7rocprim17ROCPRIM_400000_NS6detail17trampoline_kernelINS0_14default_configENS1_25partition_config_selectorILNS1_17partition_subalgoE6EtNS0_10empty_typeEbEEZZNS1_14partition_implILS5_6ELb0ES3_mN6thrust23THRUST_200600_302600_NS6detail15normal_iteratorINSA_10device_ptrItEEEEPS6_SG_NS0_5tupleIJSF_S6_EEENSH_IJSG_SG_EEES6_PlJNSB_9not_fun_tINSB_14equal_to_valueItEEEEEEE10hipError_tPvRmT3_T4_T5_T6_T7_T9_mT8_P12ihipStream_tbDpT10_ENKUlT_T0_E_clISt17integral_constantIbLb1EES18_EEDaS13_S14_EUlS13_E_NS1_11comp_targetILNS1_3genE3ELNS1_11target_archE908ELNS1_3gpuE7ELNS1_3repE0EEENS1_30default_config_static_selectorELNS0_4arch9wavefront6targetE0EEEvT1_ ; -- Begin function _ZN7rocprim17ROCPRIM_400000_NS6detail17trampoline_kernelINS0_14default_configENS1_25partition_config_selectorILNS1_17partition_subalgoE6EtNS0_10empty_typeEbEEZZNS1_14partition_implILS5_6ELb0ES3_mN6thrust23THRUST_200600_302600_NS6detail15normal_iteratorINSA_10device_ptrItEEEEPS6_SG_NS0_5tupleIJSF_S6_EEENSH_IJSG_SG_EEES6_PlJNSB_9not_fun_tINSB_14equal_to_valueItEEEEEEE10hipError_tPvRmT3_T4_T5_T6_T7_T9_mT8_P12ihipStream_tbDpT10_ENKUlT_T0_E_clISt17integral_constantIbLb1EES18_EEDaS13_S14_EUlS13_E_NS1_11comp_targetILNS1_3genE3ELNS1_11target_archE908ELNS1_3gpuE7ELNS1_3repE0EEENS1_30default_config_static_selectorELNS0_4arch9wavefront6targetE0EEEvT1_
	.globl	_ZN7rocprim17ROCPRIM_400000_NS6detail17trampoline_kernelINS0_14default_configENS1_25partition_config_selectorILNS1_17partition_subalgoE6EtNS0_10empty_typeEbEEZZNS1_14partition_implILS5_6ELb0ES3_mN6thrust23THRUST_200600_302600_NS6detail15normal_iteratorINSA_10device_ptrItEEEEPS6_SG_NS0_5tupleIJSF_S6_EEENSH_IJSG_SG_EEES6_PlJNSB_9not_fun_tINSB_14equal_to_valueItEEEEEEE10hipError_tPvRmT3_T4_T5_T6_T7_T9_mT8_P12ihipStream_tbDpT10_ENKUlT_T0_E_clISt17integral_constantIbLb1EES18_EEDaS13_S14_EUlS13_E_NS1_11comp_targetILNS1_3genE3ELNS1_11target_archE908ELNS1_3gpuE7ELNS1_3repE0EEENS1_30default_config_static_selectorELNS0_4arch9wavefront6targetE0EEEvT1_
	.p2align	8
	.type	_ZN7rocprim17ROCPRIM_400000_NS6detail17trampoline_kernelINS0_14default_configENS1_25partition_config_selectorILNS1_17partition_subalgoE6EtNS0_10empty_typeEbEEZZNS1_14partition_implILS5_6ELb0ES3_mN6thrust23THRUST_200600_302600_NS6detail15normal_iteratorINSA_10device_ptrItEEEEPS6_SG_NS0_5tupleIJSF_S6_EEENSH_IJSG_SG_EEES6_PlJNSB_9not_fun_tINSB_14equal_to_valueItEEEEEEE10hipError_tPvRmT3_T4_T5_T6_T7_T9_mT8_P12ihipStream_tbDpT10_ENKUlT_T0_E_clISt17integral_constantIbLb1EES18_EEDaS13_S14_EUlS13_E_NS1_11comp_targetILNS1_3genE3ELNS1_11target_archE908ELNS1_3gpuE7ELNS1_3repE0EEENS1_30default_config_static_selectorELNS0_4arch9wavefront6targetE0EEEvT1_,@function
_ZN7rocprim17ROCPRIM_400000_NS6detail17trampoline_kernelINS0_14default_configENS1_25partition_config_selectorILNS1_17partition_subalgoE6EtNS0_10empty_typeEbEEZZNS1_14partition_implILS5_6ELb0ES3_mN6thrust23THRUST_200600_302600_NS6detail15normal_iteratorINSA_10device_ptrItEEEEPS6_SG_NS0_5tupleIJSF_S6_EEENSH_IJSG_SG_EEES6_PlJNSB_9not_fun_tINSB_14equal_to_valueItEEEEEEE10hipError_tPvRmT3_T4_T5_T6_T7_T9_mT8_P12ihipStream_tbDpT10_ENKUlT_T0_E_clISt17integral_constantIbLb1EES18_EEDaS13_S14_EUlS13_E_NS1_11comp_targetILNS1_3genE3ELNS1_11target_archE908ELNS1_3gpuE7ELNS1_3repE0EEENS1_30default_config_static_selectorELNS0_4arch9wavefront6targetE0EEEvT1_: ; @_ZN7rocprim17ROCPRIM_400000_NS6detail17trampoline_kernelINS0_14default_configENS1_25partition_config_selectorILNS1_17partition_subalgoE6EtNS0_10empty_typeEbEEZZNS1_14partition_implILS5_6ELb0ES3_mN6thrust23THRUST_200600_302600_NS6detail15normal_iteratorINSA_10device_ptrItEEEEPS6_SG_NS0_5tupleIJSF_S6_EEENSH_IJSG_SG_EEES6_PlJNSB_9not_fun_tINSB_14equal_to_valueItEEEEEEE10hipError_tPvRmT3_T4_T5_T6_T7_T9_mT8_P12ihipStream_tbDpT10_ENKUlT_T0_E_clISt17integral_constantIbLb1EES18_EEDaS13_S14_EUlS13_E_NS1_11comp_targetILNS1_3genE3ELNS1_11target_archE908ELNS1_3gpuE7ELNS1_3repE0EEENS1_30default_config_static_selectorELNS0_4arch9wavefront6targetE0EEEvT1_
; %bb.0:
	.section	.rodata,"a",@progbits
	.p2align	6, 0x0
	.amdhsa_kernel _ZN7rocprim17ROCPRIM_400000_NS6detail17trampoline_kernelINS0_14default_configENS1_25partition_config_selectorILNS1_17partition_subalgoE6EtNS0_10empty_typeEbEEZZNS1_14partition_implILS5_6ELb0ES3_mN6thrust23THRUST_200600_302600_NS6detail15normal_iteratorINSA_10device_ptrItEEEEPS6_SG_NS0_5tupleIJSF_S6_EEENSH_IJSG_SG_EEES6_PlJNSB_9not_fun_tINSB_14equal_to_valueItEEEEEEE10hipError_tPvRmT3_T4_T5_T6_T7_T9_mT8_P12ihipStream_tbDpT10_ENKUlT_T0_E_clISt17integral_constantIbLb1EES18_EEDaS13_S14_EUlS13_E_NS1_11comp_targetILNS1_3genE3ELNS1_11target_archE908ELNS1_3gpuE7ELNS1_3repE0EEENS1_30default_config_static_selectorELNS0_4arch9wavefront6targetE0EEEvT1_
		.amdhsa_group_segment_fixed_size 0
		.amdhsa_private_segment_fixed_size 0
		.amdhsa_kernarg_size 128
		.amdhsa_user_sgpr_count 2
		.amdhsa_user_sgpr_dispatch_ptr 0
		.amdhsa_user_sgpr_queue_ptr 0
		.amdhsa_user_sgpr_kernarg_segment_ptr 1
		.amdhsa_user_sgpr_dispatch_id 0
		.amdhsa_user_sgpr_private_segment_size 0
		.amdhsa_wavefront_size32 1
		.amdhsa_uses_dynamic_stack 0
		.amdhsa_enable_private_segment 0
		.amdhsa_system_sgpr_workgroup_id_x 1
		.amdhsa_system_sgpr_workgroup_id_y 0
		.amdhsa_system_sgpr_workgroup_id_z 0
		.amdhsa_system_sgpr_workgroup_info 0
		.amdhsa_system_vgpr_workitem_id 0
		.amdhsa_next_free_vgpr 1
		.amdhsa_next_free_sgpr 1
		.amdhsa_reserve_vcc 0
		.amdhsa_float_round_mode_32 0
		.amdhsa_float_round_mode_16_64 0
		.amdhsa_float_denorm_mode_32 3
		.amdhsa_float_denorm_mode_16_64 3
		.amdhsa_fp16_overflow 0
		.amdhsa_workgroup_processor_mode 1
		.amdhsa_memory_ordered 1
		.amdhsa_forward_progress 1
		.amdhsa_inst_pref_size 0
		.amdhsa_round_robin_scheduling 0
		.amdhsa_exception_fp_ieee_invalid_op 0
		.amdhsa_exception_fp_denorm_src 0
		.amdhsa_exception_fp_ieee_div_zero 0
		.amdhsa_exception_fp_ieee_overflow 0
		.amdhsa_exception_fp_ieee_underflow 0
		.amdhsa_exception_fp_ieee_inexact 0
		.amdhsa_exception_int_div_zero 0
	.end_amdhsa_kernel
	.section	.text._ZN7rocprim17ROCPRIM_400000_NS6detail17trampoline_kernelINS0_14default_configENS1_25partition_config_selectorILNS1_17partition_subalgoE6EtNS0_10empty_typeEbEEZZNS1_14partition_implILS5_6ELb0ES3_mN6thrust23THRUST_200600_302600_NS6detail15normal_iteratorINSA_10device_ptrItEEEEPS6_SG_NS0_5tupleIJSF_S6_EEENSH_IJSG_SG_EEES6_PlJNSB_9not_fun_tINSB_14equal_to_valueItEEEEEEE10hipError_tPvRmT3_T4_T5_T6_T7_T9_mT8_P12ihipStream_tbDpT10_ENKUlT_T0_E_clISt17integral_constantIbLb1EES18_EEDaS13_S14_EUlS13_E_NS1_11comp_targetILNS1_3genE3ELNS1_11target_archE908ELNS1_3gpuE7ELNS1_3repE0EEENS1_30default_config_static_selectorELNS0_4arch9wavefront6targetE0EEEvT1_,"axG",@progbits,_ZN7rocprim17ROCPRIM_400000_NS6detail17trampoline_kernelINS0_14default_configENS1_25partition_config_selectorILNS1_17partition_subalgoE6EtNS0_10empty_typeEbEEZZNS1_14partition_implILS5_6ELb0ES3_mN6thrust23THRUST_200600_302600_NS6detail15normal_iteratorINSA_10device_ptrItEEEEPS6_SG_NS0_5tupleIJSF_S6_EEENSH_IJSG_SG_EEES6_PlJNSB_9not_fun_tINSB_14equal_to_valueItEEEEEEE10hipError_tPvRmT3_T4_T5_T6_T7_T9_mT8_P12ihipStream_tbDpT10_ENKUlT_T0_E_clISt17integral_constantIbLb1EES18_EEDaS13_S14_EUlS13_E_NS1_11comp_targetILNS1_3genE3ELNS1_11target_archE908ELNS1_3gpuE7ELNS1_3repE0EEENS1_30default_config_static_selectorELNS0_4arch9wavefront6targetE0EEEvT1_,comdat
.Lfunc_end416:
	.size	_ZN7rocprim17ROCPRIM_400000_NS6detail17trampoline_kernelINS0_14default_configENS1_25partition_config_selectorILNS1_17partition_subalgoE6EtNS0_10empty_typeEbEEZZNS1_14partition_implILS5_6ELb0ES3_mN6thrust23THRUST_200600_302600_NS6detail15normal_iteratorINSA_10device_ptrItEEEEPS6_SG_NS0_5tupleIJSF_S6_EEENSH_IJSG_SG_EEES6_PlJNSB_9not_fun_tINSB_14equal_to_valueItEEEEEEE10hipError_tPvRmT3_T4_T5_T6_T7_T9_mT8_P12ihipStream_tbDpT10_ENKUlT_T0_E_clISt17integral_constantIbLb1EES18_EEDaS13_S14_EUlS13_E_NS1_11comp_targetILNS1_3genE3ELNS1_11target_archE908ELNS1_3gpuE7ELNS1_3repE0EEENS1_30default_config_static_selectorELNS0_4arch9wavefront6targetE0EEEvT1_, .Lfunc_end416-_ZN7rocprim17ROCPRIM_400000_NS6detail17trampoline_kernelINS0_14default_configENS1_25partition_config_selectorILNS1_17partition_subalgoE6EtNS0_10empty_typeEbEEZZNS1_14partition_implILS5_6ELb0ES3_mN6thrust23THRUST_200600_302600_NS6detail15normal_iteratorINSA_10device_ptrItEEEEPS6_SG_NS0_5tupleIJSF_S6_EEENSH_IJSG_SG_EEES6_PlJNSB_9not_fun_tINSB_14equal_to_valueItEEEEEEE10hipError_tPvRmT3_T4_T5_T6_T7_T9_mT8_P12ihipStream_tbDpT10_ENKUlT_T0_E_clISt17integral_constantIbLb1EES18_EEDaS13_S14_EUlS13_E_NS1_11comp_targetILNS1_3genE3ELNS1_11target_archE908ELNS1_3gpuE7ELNS1_3repE0EEENS1_30default_config_static_selectorELNS0_4arch9wavefront6targetE0EEEvT1_
                                        ; -- End function
	.set _ZN7rocprim17ROCPRIM_400000_NS6detail17trampoline_kernelINS0_14default_configENS1_25partition_config_selectorILNS1_17partition_subalgoE6EtNS0_10empty_typeEbEEZZNS1_14partition_implILS5_6ELb0ES3_mN6thrust23THRUST_200600_302600_NS6detail15normal_iteratorINSA_10device_ptrItEEEEPS6_SG_NS0_5tupleIJSF_S6_EEENSH_IJSG_SG_EEES6_PlJNSB_9not_fun_tINSB_14equal_to_valueItEEEEEEE10hipError_tPvRmT3_T4_T5_T6_T7_T9_mT8_P12ihipStream_tbDpT10_ENKUlT_T0_E_clISt17integral_constantIbLb1EES18_EEDaS13_S14_EUlS13_E_NS1_11comp_targetILNS1_3genE3ELNS1_11target_archE908ELNS1_3gpuE7ELNS1_3repE0EEENS1_30default_config_static_selectorELNS0_4arch9wavefront6targetE0EEEvT1_.num_vgpr, 0
	.set _ZN7rocprim17ROCPRIM_400000_NS6detail17trampoline_kernelINS0_14default_configENS1_25partition_config_selectorILNS1_17partition_subalgoE6EtNS0_10empty_typeEbEEZZNS1_14partition_implILS5_6ELb0ES3_mN6thrust23THRUST_200600_302600_NS6detail15normal_iteratorINSA_10device_ptrItEEEEPS6_SG_NS0_5tupleIJSF_S6_EEENSH_IJSG_SG_EEES6_PlJNSB_9not_fun_tINSB_14equal_to_valueItEEEEEEE10hipError_tPvRmT3_T4_T5_T6_T7_T9_mT8_P12ihipStream_tbDpT10_ENKUlT_T0_E_clISt17integral_constantIbLb1EES18_EEDaS13_S14_EUlS13_E_NS1_11comp_targetILNS1_3genE3ELNS1_11target_archE908ELNS1_3gpuE7ELNS1_3repE0EEENS1_30default_config_static_selectorELNS0_4arch9wavefront6targetE0EEEvT1_.num_agpr, 0
	.set _ZN7rocprim17ROCPRIM_400000_NS6detail17trampoline_kernelINS0_14default_configENS1_25partition_config_selectorILNS1_17partition_subalgoE6EtNS0_10empty_typeEbEEZZNS1_14partition_implILS5_6ELb0ES3_mN6thrust23THRUST_200600_302600_NS6detail15normal_iteratorINSA_10device_ptrItEEEEPS6_SG_NS0_5tupleIJSF_S6_EEENSH_IJSG_SG_EEES6_PlJNSB_9not_fun_tINSB_14equal_to_valueItEEEEEEE10hipError_tPvRmT3_T4_T5_T6_T7_T9_mT8_P12ihipStream_tbDpT10_ENKUlT_T0_E_clISt17integral_constantIbLb1EES18_EEDaS13_S14_EUlS13_E_NS1_11comp_targetILNS1_3genE3ELNS1_11target_archE908ELNS1_3gpuE7ELNS1_3repE0EEENS1_30default_config_static_selectorELNS0_4arch9wavefront6targetE0EEEvT1_.numbered_sgpr, 0
	.set _ZN7rocprim17ROCPRIM_400000_NS6detail17trampoline_kernelINS0_14default_configENS1_25partition_config_selectorILNS1_17partition_subalgoE6EtNS0_10empty_typeEbEEZZNS1_14partition_implILS5_6ELb0ES3_mN6thrust23THRUST_200600_302600_NS6detail15normal_iteratorINSA_10device_ptrItEEEEPS6_SG_NS0_5tupleIJSF_S6_EEENSH_IJSG_SG_EEES6_PlJNSB_9not_fun_tINSB_14equal_to_valueItEEEEEEE10hipError_tPvRmT3_T4_T5_T6_T7_T9_mT8_P12ihipStream_tbDpT10_ENKUlT_T0_E_clISt17integral_constantIbLb1EES18_EEDaS13_S14_EUlS13_E_NS1_11comp_targetILNS1_3genE3ELNS1_11target_archE908ELNS1_3gpuE7ELNS1_3repE0EEENS1_30default_config_static_selectorELNS0_4arch9wavefront6targetE0EEEvT1_.num_named_barrier, 0
	.set _ZN7rocprim17ROCPRIM_400000_NS6detail17trampoline_kernelINS0_14default_configENS1_25partition_config_selectorILNS1_17partition_subalgoE6EtNS0_10empty_typeEbEEZZNS1_14partition_implILS5_6ELb0ES3_mN6thrust23THRUST_200600_302600_NS6detail15normal_iteratorINSA_10device_ptrItEEEEPS6_SG_NS0_5tupleIJSF_S6_EEENSH_IJSG_SG_EEES6_PlJNSB_9not_fun_tINSB_14equal_to_valueItEEEEEEE10hipError_tPvRmT3_T4_T5_T6_T7_T9_mT8_P12ihipStream_tbDpT10_ENKUlT_T0_E_clISt17integral_constantIbLb1EES18_EEDaS13_S14_EUlS13_E_NS1_11comp_targetILNS1_3genE3ELNS1_11target_archE908ELNS1_3gpuE7ELNS1_3repE0EEENS1_30default_config_static_selectorELNS0_4arch9wavefront6targetE0EEEvT1_.private_seg_size, 0
	.set _ZN7rocprim17ROCPRIM_400000_NS6detail17trampoline_kernelINS0_14default_configENS1_25partition_config_selectorILNS1_17partition_subalgoE6EtNS0_10empty_typeEbEEZZNS1_14partition_implILS5_6ELb0ES3_mN6thrust23THRUST_200600_302600_NS6detail15normal_iteratorINSA_10device_ptrItEEEEPS6_SG_NS0_5tupleIJSF_S6_EEENSH_IJSG_SG_EEES6_PlJNSB_9not_fun_tINSB_14equal_to_valueItEEEEEEE10hipError_tPvRmT3_T4_T5_T6_T7_T9_mT8_P12ihipStream_tbDpT10_ENKUlT_T0_E_clISt17integral_constantIbLb1EES18_EEDaS13_S14_EUlS13_E_NS1_11comp_targetILNS1_3genE3ELNS1_11target_archE908ELNS1_3gpuE7ELNS1_3repE0EEENS1_30default_config_static_selectorELNS0_4arch9wavefront6targetE0EEEvT1_.uses_vcc, 0
	.set _ZN7rocprim17ROCPRIM_400000_NS6detail17trampoline_kernelINS0_14default_configENS1_25partition_config_selectorILNS1_17partition_subalgoE6EtNS0_10empty_typeEbEEZZNS1_14partition_implILS5_6ELb0ES3_mN6thrust23THRUST_200600_302600_NS6detail15normal_iteratorINSA_10device_ptrItEEEEPS6_SG_NS0_5tupleIJSF_S6_EEENSH_IJSG_SG_EEES6_PlJNSB_9not_fun_tINSB_14equal_to_valueItEEEEEEE10hipError_tPvRmT3_T4_T5_T6_T7_T9_mT8_P12ihipStream_tbDpT10_ENKUlT_T0_E_clISt17integral_constantIbLb1EES18_EEDaS13_S14_EUlS13_E_NS1_11comp_targetILNS1_3genE3ELNS1_11target_archE908ELNS1_3gpuE7ELNS1_3repE0EEENS1_30default_config_static_selectorELNS0_4arch9wavefront6targetE0EEEvT1_.uses_flat_scratch, 0
	.set _ZN7rocprim17ROCPRIM_400000_NS6detail17trampoline_kernelINS0_14default_configENS1_25partition_config_selectorILNS1_17partition_subalgoE6EtNS0_10empty_typeEbEEZZNS1_14partition_implILS5_6ELb0ES3_mN6thrust23THRUST_200600_302600_NS6detail15normal_iteratorINSA_10device_ptrItEEEEPS6_SG_NS0_5tupleIJSF_S6_EEENSH_IJSG_SG_EEES6_PlJNSB_9not_fun_tINSB_14equal_to_valueItEEEEEEE10hipError_tPvRmT3_T4_T5_T6_T7_T9_mT8_P12ihipStream_tbDpT10_ENKUlT_T0_E_clISt17integral_constantIbLb1EES18_EEDaS13_S14_EUlS13_E_NS1_11comp_targetILNS1_3genE3ELNS1_11target_archE908ELNS1_3gpuE7ELNS1_3repE0EEENS1_30default_config_static_selectorELNS0_4arch9wavefront6targetE0EEEvT1_.has_dyn_sized_stack, 0
	.set _ZN7rocprim17ROCPRIM_400000_NS6detail17trampoline_kernelINS0_14default_configENS1_25partition_config_selectorILNS1_17partition_subalgoE6EtNS0_10empty_typeEbEEZZNS1_14partition_implILS5_6ELb0ES3_mN6thrust23THRUST_200600_302600_NS6detail15normal_iteratorINSA_10device_ptrItEEEEPS6_SG_NS0_5tupleIJSF_S6_EEENSH_IJSG_SG_EEES6_PlJNSB_9not_fun_tINSB_14equal_to_valueItEEEEEEE10hipError_tPvRmT3_T4_T5_T6_T7_T9_mT8_P12ihipStream_tbDpT10_ENKUlT_T0_E_clISt17integral_constantIbLb1EES18_EEDaS13_S14_EUlS13_E_NS1_11comp_targetILNS1_3genE3ELNS1_11target_archE908ELNS1_3gpuE7ELNS1_3repE0EEENS1_30default_config_static_selectorELNS0_4arch9wavefront6targetE0EEEvT1_.has_recursion, 0
	.set _ZN7rocprim17ROCPRIM_400000_NS6detail17trampoline_kernelINS0_14default_configENS1_25partition_config_selectorILNS1_17partition_subalgoE6EtNS0_10empty_typeEbEEZZNS1_14partition_implILS5_6ELb0ES3_mN6thrust23THRUST_200600_302600_NS6detail15normal_iteratorINSA_10device_ptrItEEEEPS6_SG_NS0_5tupleIJSF_S6_EEENSH_IJSG_SG_EEES6_PlJNSB_9not_fun_tINSB_14equal_to_valueItEEEEEEE10hipError_tPvRmT3_T4_T5_T6_T7_T9_mT8_P12ihipStream_tbDpT10_ENKUlT_T0_E_clISt17integral_constantIbLb1EES18_EEDaS13_S14_EUlS13_E_NS1_11comp_targetILNS1_3genE3ELNS1_11target_archE908ELNS1_3gpuE7ELNS1_3repE0EEENS1_30default_config_static_selectorELNS0_4arch9wavefront6targetE0EEEvT1_.has_indirect_call, 0
	.section	.AMDGPU.csdata,"",@progbits
; Kernel info:
; codeLenInByte = 0
; TotalNumSgprs: 0
; NumVgprs: 0
; ScratchSize: 0
; MemoryBound: 0
; FloatMode: 240
; IeeeMode: 1
; LDSByteSize: 0 bytes/workgroup (compile time only)
; SGPRBlocks: 0
; VGPRBlocks: 0
; NumSGPRsForWavesPerEU: 1
; NumVGPRsForWavesPerEU: 1
; Occupancy: 16
; WaveLimiterHint : 0
; COMPUTE_PGM_RSRC2:SCRATCH_EN: 0
; COMPUTE_PGM_RSRC2:USER_SGPR: 2
; COMPUTE_PGM_RSRC2:TRAP_HANDLER: 0
; COMPUTE_PGM_RSRC2:TGID_X_EN: 1
; COMPUTE_PGM_RSRC2:TGID_Y_EN: 0
; COMPUTE_PGM_RSRC2:TGID_Z_EN: 0
; COMPUTE_PGM_RSRC2:TIDIG_COMP_CNT: 0
	.section	.text._ZN7rocprim17ROCPRIM_400000_NS6detail17trampoline_kernelINS0_14default_configENS1_25partition_config_selectorILNS1_17partition_subalgoE6EtNS0_10empty_typeEbEEZZNS1_14partition_implILS5_6ELb0ES3_mN6thrust23THRUST_200600_302600_NS6detail15normal_iteratorINSA_10device_ptrItEEEEPS6_SG_NS0_5tupleIJSF_S6_EEENSH_IJSG_SG_EEES6_PlJNSB_9not_fun_tINSB_14equal_to_valueItEEEEEEE10hipError_tPvRmT3_T4_T5_T6_T7_T9_mT8_P12ihipStream_tbDpT10_ENKUlT_T0_E_clISt17integral_constantIbLb1EES18_EEDaS13_S14_EUlS13_E_NS1_11comp_targetILNS1_3genE2ELNS1_11target_archE906ELNS1_3gpuE6ELNS1_3repE0EEENS1_30default_config_static_selectorELNS0_4arch9wavefront6targetE0EEEvT1_,"axG",@progbits,_ZN7rocprim17ROCPRIM_400000_NS6detail17trampoline_kernelINS0_14default_configENS1_25partition_config_selectorILNS1_17partition_subalgoE6EtNS0_10empty_typeEbEEZZNS1_14partition_implILS5_6ELb0ES3_mN6thrust23THRUST_200600_302600_NS6detail15normal_iteratorINSA_10device_ptrItEEEEPS6_SG_NS0_5tupleIJSF_S6_EEENSH_IJSG_SG_EEES6_PlJNSB_9not_fun_tINSB_14equal_to_valueItEEEEEEE10hipError_tPvRmT3_T4_T5_T6_T7_T9_mT8_P12ihipStream_tbDpT10_ENKUlT_T0_E_clISt17integral_constantIbLb1EES18_EEDaS13_S14_EUlS13_E_NS1_11comp_targetILNS1_3genE2ELNS1_11target_archE906ELNS1_3gpuE6ELNS1_3repE0EEENS1_30default_config_static_selectorELNS0_4arch9wavefront6targetE0EEEvT1_,comdat
	.protected	_ZN7rocprim17ROCPRIM_400000_NS6detail17trampoline_kernelINS0_14default_configENS1_25partition_config_selectorILNS1_17partition_subalgoE6EtNS0_10empty_typeEbEEZZNS1_14partition_implILS5_6ELb0ES3_mN6thrust23THRUST_200600_302600_NS6detail15normal_iteratorINSA_10device_ptrItEEEEPS6_SG_NS0_5tupleIJSF_S6_EEENSH_IJSG_SG_EEES6_PlJNSB_9not_fun_tINSB_14equal_to_valueItEEEEEEE10hipError_tPvRmT3_T4_T5_T6_T7_T9_mT8_P12ihipStream_tbDpT10_ENKUlT_T0_E_clISt17integral_constantIbLb1EES18_EEDaS13_S14_EUlS13_E_NS1_11comp_targetILNS1_3genE2ELNS1_11target_archE906ELNS1_3gpuE6ELNS1_3repE0EEENS1_30default_config_static_selectorELNS0_4arch9wavefront6targetE0EEEvT1_ ; -- Begin function _ZN7rocprim17ROCPRIM_400000_NS6detail17trampoline_kernelINS0_14default_configENS1_25partition_config_selectorILNS1_17partition_subalgoE6EtNS0_10empty_typeEbEEZZNS1_14partition_implILS5_6ELb0ES3_mN6thrust23THRUST_200600_302600_NS6detail15normal_iteratorINSA_10device_ptrItEEEEPS6_SG_NS0_5tupleIJSF_S6_EEENSH_IJSG_SG_EEES6_PlJNSB_9not_fun_tINSB_14equal_to_valueItEEEEEEE10hipError_tPvRmT3_T4_T5_T6_T7_T9_mT8_P12ihipStream_tbDpT10_ENKUlT_T0_E_clISt17integral_constantIbLb1EES18_EEDaS13_S14_EUlS13_E_NS1_11comp_targetILNS1_3genE2ELNS1_11target_archE906ELNS1_3gpuE6ELNS1_3repE0EEENS1_30default_config_static_selectorELNS0_4arch9wavefront6targetE0EEEvT1_
	.globl	_ZN7rocprim17ROCPRIM_400000_NS6detail17trampoline_kernelINS0_14default_configENS1_25partition_config_selectorILNS1_17partition_subalgoE6EtNS0_10empty_typeEbEEZZNS1_14partition_implILS5_6ELb0ES3_mN6thrust23THRUST_200600_302600_NS6detail15normal_iteratorINSA_10device_ptrItEEEEPS6_SG_NS0_5tupleIJSF_S6_EEENSH_IJSG_SG_EEES6_PlJNSB_9not_fun_tINSB_14equal_to_valueItEEEEEEE10hipError_tPvRmT3_T4_T5_T6_T7_T9_mT8_P12ihipStream_tbDpT10_ENKUlT_T0_E_clISt17integral_constantIbLb1EES18_EEDaS13_S14_EUlS13_E_NS1_11comp_targetILNS1_3genE2ELNS1_11target_archE906ELNS1_3gpuE6ELNS1_3repE0EEENS1_30default_config_static_selectorELNS0_4arch9wavefront6targetE0EEEvT1_
	.p2align	8
	.type	_ZN7rocprim17ROCPRIM_400000_NS6detail17trampoline_kernelINS0_14default_configENS1_25partition_config_selectorILNS1_17partition_subalgoE6EtNS0_10empty_typeEbEEZZNS1_14partition_implILS5_6ELb0ES3_mN6thrust23THRUST_200600_302600_NS6detail15normal_iteratorINSA_10device_ptrItEEEEPS6_SG_NS0_5tupleIJSF_S6_EEENSH_IJSG_SG_EEES6_PlJNSB_9not_fun_tINSB_14equal_to_valueItEEEEEEE10hipError_tPvRmT3_T4_T5_T6_T7_T9_mT8_P12ihipStream_tbDpT10_ENKUlT_T0_E_clISt17integral_constantIbLb1EES18_EEDaS13_S14_EUlS13_E_NS1_11comp_targetILNS1_3genE2ELNS1_11target_archE906ELNS1_3gpuE6ELNS1_3repE0EEENS1_30default_config_static_selectorELNS0_4arch9wavefront6targetE0EEEvT1_,@function
_ZN7rocprim17ROCPRIM_400000_NS6detail17trampoline_kernelINS0_14default_configENS1_25partition_config_selectorILNS1_17partition_subalgoE6EtNS0_10empty_typeEbEEZZNS1_14partition_implILS5_6ELb0ES3_mN6thrust23THRUST_200600_302600_NS6detail15normal_iteratorINSA_10device_ptrItEEEEPS6_SG_NS0_5tupleIJSF_S6_EEENSH_IJSG_SG_EEES6_PlJNSB_9not_fun_tINSB_14equal_to_valueItEEEEEEE10hipError_tPvRmT3_T4_T5_T6_T7_T9_mT8_P12ihipStream_tbDpT10_ENKUlT_T0_E_clISt17integral_constantIbLb1EES18_EEDaS13_S14_EUlS13_E_NS1_11comp_targetILNS1_3genE2ELNS1_11target_archE906ELNS1_3gpuE6ELNS1_3repE0EEENS1_30default_config_static_selectorELNS0_4arch9wavefront6targetE0EEEvT1_: ; @_ZN7rocprim17ROCPRIM_400000_NS6detail17trampoline_kernelINS0_14default_configENS1_25partition_config_selectorILNS1_17partition_subalgoE6EtNS0_10empty_typeEbEEZZNS1_14partition_implILS5_6ELb0ES3_mN6thrust23THRUST_200600_302600_NS6detail15normal_iteratorINSA_10device_ptrItEEEEPS6_SG_NS0_5tupleIJSF_S6_EEENSH_IJSG_SG_EEES6_PlJNSB_9not_fun_tINSB_14equal_to_valueItEEEEEEE10hipError_tPvRmT3_T4_T5_T6_T7_T9_mT8_P12ihipStream_tbDpT10_ENKUlT_T0_E_clISt17integral_constantIbLb1EES18_EEDaS13_S14_EUlS13_E_NS1_11comp_targetILNS1_3genE2ELNS1_11target_archE906ELNS1_3gpuE6ELNS1_3repE0EEENS1_30default_config_static_selectorELNS0_4arch9wavefront6targetE0EEEvT1_
; %bb.0:
	.section	.rodata,"a",@progbits
	.p2align	6, 0x0
	.amdhsa_kernel _ZN7rocprim17ROCPRIM_400000_NS6detail17trampoline_kernelINS0_14default_configENS1_25partition_config_selectorILNS1_17partition_subalgoE6EtNS0_10empty_typeEbEEZZNS1_14partition_implILS5_6ELb0ES3_mN6thrust23THRUST_200600_302600_NS6detail15normal_iteratorINSA_10device_ptrItEEEEPS6_SG_NS0_5tupleIJSF_S6_EEENSH_IJSG_SG_EEES6_PlJNSB_9not_fun_tINSB_14equal_to_valueItEEEEEEE10hipError_tPvRmT3_T4_T5_T6_T7_T9_mT8_P12ihipStream_tbDpT10_ENKUlT_T0_E_clISt17integral_constantIbLb1EES18_EEDaS13_S14_EUlS13_E_NS1_11comp_targetILNS1_3genE2ELNS1_11target_archE906ELNS1_3gpuE6ELNS1_3repE0EEENS1_30default_config_static_selectorELNS0_4arch9wavefront6targetE0EEEvT1_
		.amdhsa_group_segment_fixed_size 0
		.amdhsa_private_segment_fixed_size 0
		.amdhsa_kernarg_size 128
		.amdhsa_user_sgpr_count 2
		.amdhsa_user_sgpr_dispatch_ptr 0
		.amdhsa_user_sgpr_queue_ptr 0
		.amdhsa_user_sgpr_kernarg_segment_ptr 1
		.amdhsa_user_sgpr_dispatch_id 0
		.amdhsa_user_sgpr_private_segment_size 0
		.amdhsa_wavefront_size32 1
		.amdhsa_uses_dynamic_stack 0
		.amdhsa_enable_private_segment 0
		.amdhsa_system_sgpr_workgroup_id_x 1
		.amdhsa_system_sgpr_workgroup_id_y 0
		.amdhsa_system_sgpr_workgroup_id_z 0
		.amdhsa_system_sgpr_workgroup_info 0
		.amdhsa_system_vgpr_workitem_id 0
		.amdhsa_next_free_vgpr 1
		.amdhsa_next_free_sgpr 1
		.amdhsa_reserve_vcc 0
		.amdhsa_float_round_mode_32 0
		.amdhsa_float_round_mode_16_64 0
		.amdhsa_float_denorm_mode_32 3
		.amdhsa_float_denorm_mode_16_64 3
		.amdhsa_fp16_overflow 0
		.amdhsa_workgroup_processor_mode 1
		.amdhsa_memory_ordered 1
		.amdhsa_forward_progress 1
		.amdhsa_inst_pref_size 0
		.amdhsa_round_robin_scheduling 0
		.amdhsa_exception_fp_ieee_invalid_op 0
		.amdhsa_exception_fp_denorm_src 0
		.amdhsa_exception_fp_ieee_div_zero 0
		.amdhsa_exception_fp_ieee_overflow 0
		.amdhsa_exception_fp_ieee_underflow 0
		.amdhsa_exception_fp_ieee_inexact 0
		.amdhsa_exception_int_div_zero 0
	.end_amdhsa_kernel
	.section	.text._ZN7rocprim17ROCPRIM_400000_NS6detail17trampoline_kernelINS0_14default_configENS1_25partition_config_selectorILNS1_17partition_subalgoE6EtNS0_10empty_typeEbEEZZNS1_14partition_implILS5_6ELb0ES3_mN6thrust23THRUST_200600_302600_NS6detail15normal_iteratorINSA_10device_ptrItEEEEPS6_SG_NS0_5tupleIJSF_S6_EEENSH_IJSG_SG_EEES6_PlJNSB_9not_fun_tINSB_14equal_to_valueItEEEEEEE10hipError_tPvRmT3_T4_T5_T6_T7_T9_mT8_P12ihipStream_tbDpT10_ENKUlT_T0_E_clISt17integral_constantIbLb1EES18_EEDaS13_S14_EUlS13_E_NS1_11comp_targetILNS1_3genE2ELNS1_11target_archE906ELNS1_3gpuE6ELNS1_3repE0EEENS1_30default_config_static_selectorELNS0_4arch9wavefront6targetE0EEEvT1_,"axG",@progbits,_ZN7rocprim17ROCPRIM_400000_NS6detail17trampoline_kernelINS0_14default_configENS1_25partition_config_selectorILNS1_17partition_subalgoE6EtNS0_10empty_typeEbEEZZNS1_14partition_implILS5_6ELb0ES3_mN6thrust23THRUST_200600_302600_NS6detail15normal_iteratorINSA_10device_ptrItEEEEPS6_SG_NS0_5tupleIJSF_S6_EEENSH_IJSG_SG_EEES6_PlJNSB_9not_fun_tINSB_14equal_to_valueItEEEEEEE10hipError_tPvRmT3_T4_T5_T6_T7_T9_mT8_P12ihipStream_tbDpT10_ENKUlT_T0_E_clISt17integral_constantIbLb1EES18_EEDaS13_S14_EUlS13_E_NS1_11comp_targetILNS1_3genE2ELNS1_11target_archE906ELNS1_3gpuE6ELNS1_3repE0EEENS1_30default_config_static_selectorELNS0_4arch9wavefront6targetE0EEEvT1_,comdat
.Lfunc_end417:
	.size	_ZN7rocprim17ROCPRIM_400000_NS6detail17trampoline_kernelINS0_14default_configENS1_25partition_config_selectorILNS1_17partition_subalgoE6EtNS0_10empty_typeEbEEZZNS1_14partition_implILS5_6ELb0ES3_mN6thrust23THRUST_200600_302600_NS6detail15normal_iteratorINSA_10device_ptrItEEEEPS6_SG_NS0_5tupleIJSF_S6_EEENSH_IJSG_SG_EEES6_PlJNSB_9not_fun_tINSB_14equal_to_valueItEEEEEEE10hipError_tPvRmT3_T4_T5_T6_T7_T9_mT8_P12ihipStream_tbDpT10_ENKUlT_T0_E_clISt17integral_constantIbLb1EES18_EEDaS13_S14_EUlS13_E_NS1_11comp_targetILNS1_3genE2ELNS1_11target_archE906ELNS1_3gpuE6ELNS1_3repE0EEENS1_30default_config_static_selectorELNS0_4arch9wavefront6targetE0EEEvT1_, .Lfunc_end417-_ZN7rocprim17ROCPRIM_400000_NS6detail17trampoline_kernelINS0_14default_configENS1_25partition_config_selectorILNS1_17partition_subalgoE6EtNS0_10empty_typeEbEEZZNS1_14partition_implILS5_6ELb0ES3_mN6thrust23THRUST_200600_302600_NS6detail15normal_iteratorINSA_10device_ptrItEEEEPS6_SG_NS0_5tupleIJSF_S6_EEENSH_IJSG_SG_EEES6_PlJNSB_9not_fun_tINSB_14equal_to_valueItEEEEEEE10hipError_tPvRmT3_T4_T5_T6_T7_T9_mT8_P12ihipStream_tbDpT10_ENKUlT_T0_E_clISt17integral_constantIbLb1EES18_EEDaS13_S14_EUlS13_E_NS1_11comp_targetILNS1_3genE2ELNS1_11target_archE906ELNS1_3gpuE6ELNS1_3repE0EEENS1_30default_config_static_selectorELNS0_4arch9wavefront6targetE0EEEvT1_
                                        ; -- End function
	.set _ZN7rocprim17ROCPRIM_400000_NS6detail17trampoline_kernelINS0_14default_configENS1_25partition_config_selectorILNS1_17partition_subalgoE6EtNS0_10empty_typeEbEEZZNS1_14partition_implILS5_6ELb0ES3_mN6thrust23THRUST_200600_302600_NS6detail15normal_iteratorINSA_10device_ptrItEEEEPS6_SG_NS0_5tupleIJSF_S6_EEENSH_IJSG_SG_EEES6_PlJNSB_9not_fun_tINSB_14equal_to_valueItEEEEEEE10hipError_tPvRmT3_T4_T5_T6_T7_T9_mT8_P12ihipStream_tbDpT10_ENKUlT_T0_E_clISt17integral_constantIbLb1EES18_EEDaS13_S14_EUlS13_E_NS1_11comp_targetILNS1_3genE2ELNS1_11target_archE906ELNS1_3gpuE6ELNS1_3repE0EEENS1_30default_config_static_selectorELNS0_4arch9wavefront6targetE0EEEvT1_.num_vgpr, 0
	.set _ZN7rocprim17ROCPRIM_400000_NS6detail17trampoline_kernelINS0_14default_configENS1_25partition_config_selectorILNS1_17partition_subalgoE6EtNS0_10empty_typeEbEEZZNS1_14partition_implILS5_6ELb0ES3_mN6thrust23THRUST_200600_302600_NS6detail15normal_iteratorINSA_10device_ptrItEEEEPS6_SG_NS0_5tupleIJSF_S6_EEENSH_IJSG_SG_EEES6_PlJNSB_9not_fun_tINSB_14equal_to_valueItEEEEEEE10hipError_tPvRmT3_T4_T5_T6_T7_T9_mT8_P12ihipStream_tbDpT10_ENKUlT_T0_E_clISt17integral_constantIbLb1EES18_EEDaS13_S14_EUlS13_E_NS1_11comp_targetILNS1_3genE2ELNS1_11target_archE906ELNS1_3gpuE6ELNS1_3repE0EEENS1_30default_config_static_selectorELNS0_4arch9wavefront6targetE0EEEvT1_.num_agpr, 0
	.set _ZN7rocprim17ROCPRIM_400000_NS6detail17trampoline_kernelINS0_14default_configENS1_25partition_config_selectorILNS1_17partition_subalgoE6EtNS0_10empty_typeEbEEZZNS1_14partition_implILS5_6ELb0ES3_mN6thrust23THRUST_200600_302600_NS6detail15normal_iteratorINSA_10device_ptrItEEEEPS6_SG_NS0_5tupleIJSF_S6_EEENSH_IJSG_SG_EEES6_PlJNSB_9not_fun_tINSB_14equal_to_valueItEEEEEEE10hipError_tPvRmT3_T4_T5_T6_T7_T9_mT8_P12ihipStream_tbDpT10_ENKUlT_T0_E_clISt17integral_constantIbLb1EES18_EEDaS13_S14_EUlS13_E_NS1_11comp_targetILNS1_3genE2ELNS1_11target_archE906ELNS1_3gpuE6ELNS1_3repE0EEENS1_30default_config_static_selectorELNS0_4arch9wavefront6targetE0EEEvT1_.numbered_sgpr, 0
	.set _ZN7rocprim17ROCPRIM_400000_NS6detail17trampoline_kernelINS0_14default_configENS1_25partition_config_selectorILNS1_17partition_subalgoE6EtNS0_10empty_typeEbEEZZNS1_14partition_implILS5_6ELb0ES3_mN6thrust23THRUST_200600_302600_NS6detail15normal_iteratorINSA_10device_ptrItEEEEPS6_SG_NS0_5tupleIJSF_S6_EEENSH_IJSG_SG_EEES6_PlJNSB_9not_fun_tINSB_14equal_to_valueItEEEEEEE10hipError_tPvRmT3_T4_T5_T6_T7_T9_mT8_P12ihipStream_tbDpT10_ENKUlT_T0_E_clISt17integral_constantIbLb1EES18_EEDaS13_S14_EUlS13_E_NS1_11comp_targetILNS1_3genE2ELNS1_11target_archE906ELNS1_3gpuE6ELNS1_3repE0EEENS1_30default_config_static_selectorELNS0_4arch9wavefront6targetE0EEEvT1_.num_named_barrier, 0
	.set _ZN7rocprim17ROCPRIM_400000_NS6detail17trampoline_kernelINS0_14default_configENS1_25partition_config_selectorILNS1_17partition_subalgoE6EtNS0_10empty_typeEbEEZZNS1_14partition_implILS5_6ELb0ES3_mN6thrust23THRUST_200600_302600_NS6detail15normal_iteratorINSA_10device_ptrItEEEEPS6_SG_NS0_5tupleIJSF_S6_EEENSH_IJSG_SG_EEES6_PlJNSB_9not_fun_tINSB_14equal_to_valueItEEEEEEE10hipError_tPvRmT3_T4_T5_T6_T7_T9_mT8_P12ihipStream_tbDpT10_ENKUlT_T0_E_clISt17integral_constantIbLb1EES18_EEDaS13_S14_EUlS13_E_NS1_11comp_targetILNS1_3genE2ELNS1_11target_archE906ELNS1_3gpuE6ELNS1_3repE0EEENS1_30default_config_static_selectorELNS0_4arch9wavefront6targetE0EEEvT1_.private_seg_size, 0
	.set _ZN7rocprim17ROCPRIM_400000_NS6detail17trampoline_kernelINS0_14default_configENS1_25partition_config_selectorILNS1_17partition_subalgoE6EtNS0_10empty_typeEbEEZZNS1_14partition_implILS5_6ELb0ES3_mN6thrust23THRUST_200600_302600_NS6detail15normal_iteratorINSA_10device_ptrItEEEEPS6_SG_NS0_5tupleIJSF_S6_EEENSH_IJSG_SG_EEES6_PlJNSB_9not_fun_tINSB_14equal_to_valueItEEEEEEE10hipError_tPvRmT3_T4_T5_T6_T7_T9_mT8_P12ihipStream_tbDpT10_ENKUlT_T0_E_clISt17integral_constantIbLb1EES18_EEDaS13_S14_EUlS13_E_NS1_11comp_targetILNS1_3genE2ELNS1_11target_archE906ELNS1_3gpuE6ELNS1_3repE0EEENS1_30default_config_static_selectorELNS0_4arch9wavefront6targetE0EEEvT1_.uses_vcc, 0
	.set _ZN7rocprim17ROCPRIM_400000_NS6detail17trampoline_kernelINS0_14default_configENS1_25partition_config_selectorILNS1_17partition_subalgoE6EtNS0_10empty_typeEbEEZZNS1_14partition_implILS5_6ELb0ES3_mN6thrust23THRUST_200600_302600_NS6detail15normal_iteratorINSA_10device_ptrItEEEEPS6_SG_NS0_5tupleIJSF_S6_EEENSH_IJSG_SG_EEES6_PlJNSB_9not_fun_tINSB_14equal_to_valueItEEEEEEE10hipError_tPvRmT3_T4_T5_T6_T7_T9_mT8_P12ihipStream_tbDpT10_ENKUlT_T0_E_clISt17integral_constantIbLb1EES18_EEDaS13_S14_EUlS13_E_NS1_11comp_targetILNS1_3genE2ELNS1_11target_archE906ELNS1_3gpuE6ELNS1_3repE0EEENS1_30default_config_static_selectorELNS0_4arch9wavefront6targetE0EEEvT1_.uses_flat_scratch, 0
	.set _ZN7rocprim17ROCPRIM_400000_NS6detail17trampoline_kernelINS0_14default_configENS1_25partition_config_selectorILNS1_17partition_subalgoE6EtNS0_10empty_typeEbEEZZNS1_14partition_implILS5_6ELb0ES3_mN6thrust23THRUST_200600_302600_NS6detail15normal_iteratorINSA_10device_ptrItEEEEPS6_SG_NS0_5tupleIJSF_S6_EEENSH_IJSG_SG_EEES6_PlJNSB_9not_fun_tINSB_14equal_to_valueItEEEEEEE10hipError_tPvRmT3_T4_T5_T6_T7_T9_mT8_P12ihipStream_tbDpT10_ENKUlT_T0_E_clISt17integral_constantIbLb1EES18_EEDaS13_S14_EUlS13_E_NS1_11comp_targetILNS1_3genE2ELNS1_11target_archE906ELNS1_3gpuE6ELNS1_3repE0EEENS1_30default_config_static_selectorELNS0_4arch9wavefront6targetE0EEEvT1_.has_dyn_sized_stack, 0
	.set _ZN7rocprim17ROCPRIM_400000_NS6detail17trampoline_kernelINS0_14default_configENS1_25partition_config_selectorILNS1_17partition_subalgoE6EtNS0_10empty_typeEbEEZZNS1_14partition_implILS5_6ELb0ES3_mN6thrust23THRUST_200600_302600_NS6detail15normal_iteratorINSA_10device_ptrItEEEEPS6_SG_NS0_5tupleIJSF_S6_EEENSH_IJSG_SG_EEES6_PlJNSB_9not_fun_tINSB_14equal_to_valueItEEEEEEE10hipError_tPvRmT3_T4_T5_T6_T7_T9_mT8_P12ihipStream_tbDpT10_ENKUlT_T0_E_clISt17integral_constantIbLb1EES18_EEDaS13_S14_EUlS13_E_NS1_11comp_targetILNS1_3genE2ELNS1_11target_archE906ELNS1_3gpuE6ELNS1_3repE0EEENS1_30default_config_static_selectorELNS0_4arch9wavefront6targetE0EEEvT1_.has_recursion, 0
	.set _ZN7rocprim17ROCPRIM_400000_NS6detail17trampoline_kernelINS0_14default_configENS1_25partition_config_selectorILNS1_17partition_subalgoE6EtNS0_10empty_typeEbEEZZNS1_14partition_implILS5_6ELb0ES3_mN6thrust23THRUST_200600_302600_NS6detail15normal_iteratorINSA_10device_ptrItEEEEPS6_SG_NS0_5tupleIJSF_S6_EEENSH_IJSG_SG_EEES6_PlJNSB_9not_fun_tINSB_14equal_to_valueItEEEEEEE10hipError_tPvRmT3_T4_T5_T6_T7_T9_mT8_P12ihipStream_tbDpT10_ENKUlT_T0_E_clISt17integral_constantIbLb1EES18_EEDaS13_S14_EUlS13_E_NS1_11comp_targetILNS1_3genE2ELNS1_11target_archE906ELNS1_3gpuE6ELNS1_3repE0EEENS1_30default_config_static_selectorELNS0_4arch9wavefront6targetE0EEEvT1_.has_indirect_call, 0
	.section	.AMDGPU.csdata,"",@progbits
; Kernel info:
; codeLenInByte = 0
; TotalNumSgprs: 0
; NumVgprs: 0
; ScratchSize: 0
; MemoryBound: 0
; FloatMode: 240
; IeeeMode: 1
; LDSByteSize: 0 bytes/workgroup (compile time only)
; SGPRBlocks: 0
; VGPRBlocks: 0
; NumSGPRsForWavesPerEU: 1
; NumVGPRsForWavesPerEU: 1
; Occupancy: 16
; WaveLimiterHint : 0
; COMPUTE_PGM_RSRC2:SCRATCH_EN: 0
; COMPUTE_PGM_RSRC2:USER_SGPR: 2
; COMPUTE_PGM_RSRC2:TRAP_HANDLER: 0
; COMPUTE_PGM_RSRC2:TGID_X_EN: 1
; COMPUTE_PGM_RSRC2:TGID_Y_EN: 0
; COMPUTE_PGM_RSRC2:TGID_Z_EN: 0
; COMPUTE_PGM_RSRC2:TIDIG_COMP_CNT: 0
	.section	.text._ZN7rocprim17ROCPRIM_400000_NS6detail17trampoline_kernelINS0_14default_configENS1_25partition_config_selectorILNS1_17partition_subalgoE6EtNS0_10empty_typeEbEEZZNS1_14partition_implILS5_6ELb0ES3_mN6thrust23THRUST_200600_302600_NS6detail15normal_iteratorINSA_10device_ptrItEEEEPS6_SG_NS0_5tupleIJSF_S6_EEENSH_IJSG_SG_EEES6_PlJNSB_9not_fun_tINSB_14equal_to_valueItEEEEEEE10hipError_tPvRmT3_T4_T5_T6_T7_T9_mT8_P12ihipStream_tbDpT10_ENKUlT_T0_E_clISt17integral_constantIbLb1EES18_EEDaS13_S14_EUlS13_E_NS1_11comp_targetILNS1_3genE10ELNS1_11target_archE1200ELNS1_3gpuE4ELNS1_3repE0EEENS1_30default_config_static_selectorELNS0_4arch9wavefront6targetE0EEEvT1_,"axG",@progbits,_ZN7rocprim17ROCPRIM_400000_NS6detail17trampoline_kernelINS0_14default_configENS1_25partition_config_selectorILNS1_17partition_subalgoE6EtNS0_10empty_typeEbEEZZNS1_14partition_implILS5_6ELb0ES3_mN6thrust23THRUST_200600_302600_NS6detail15normal_iteratorINSA_10device_ptrItEEEEPS6_SG_NS0_5tupleIJSF_S6_EEENSH_IJSG_SG_EEES6_PlJNSB_9not_fun_tINSB_14equal_to_valueItEEEEEEE10hipError_tPvRmT3_T4_T5_T6_T7_T9_mT8_P12ihipStream_tbDpT10_ENKUlT_T0_E_clISt17integral_constantIbLb1EES18_EEDaS13_S14_EUlS13_E_NS1_11comp_targetILNS1_3genE10ELNS1_11target_archE1200ELNS1_3gpuE4ELNS1_3repE0EEENS1_30default_config_static_selectorELNS0_4arch9wavefront6targetE0EEEvT1_,comdat
	.protected	_ZN7rocprim17ROCPRIM_400000_NS6detail17trampoline_kernelINS0_14default_configENS1_25partition_config_selectorILNS1_17partition_subalgoE6EtNS0_10empty_typeEbEEZZNS1_14partition_implILS5_6ELb0ES3_mN6thrust23THRUST_200600_302600_NS6detail15normal_iteratorINSA_10device_ptrItEEEEPS6_SG_NS0_5tupleIJSF_S6_EEENSH_IJSG_SG_EEES6_PlJNSB_9not_fun_tINSB_14equal_to_valueItEEEEEEE10hipError_tPvRmT3_T4_T5_T6_T7_T9_mT8_P12ihipStream_tbDpT10_ENKUlT_T0_E_clISt17integral_constantIbLb1EES18_EEDaS13_S14_EUlS13_E_NS1_11comp_targetILNS1_3genE10ELNS1_11target_archE1200ELNS1_3gpuE4ELNS1_3repE0EEENS1_30default_config_static_selectorELNS0_4arch9wavefront6targetE0EEEvT1_ ; -- Begin function _ZN7rocprim17ROCPRIM_400000_NS6detail17trampoline_kernelINS0_14default_configENS1_25partition_config_selectorILNS1_17partition_subalgoE6EtNS0_10empty_typeEbEEZZNS1_14partition_implILS5_6ELb0ES3_mN6thrust23THRUST_200600_302600_NS6detail15normal_iteratorINSA_10device_ptrItEEEEPS6_SG_NS0_5tupleIJSF_S6_EEENSH_IJSG_SG_EEES6_PlJNSB_9not_fun_tINSB_14equal_to_valueItEEEEEEE10hipError_tPvRmT3_T4_T5_T6_T7_T9_mT8_P12ihipStream_tbDpT10_ENKUlT_T0_E_clISt17integral_constantIbLb1EES18_EEDaS13_S14_EUlS13_E_NS1_11comp_targetILNS1_3genE10ELNS1_11target_archE1200ELNS1_3gpuE4ELNS1_3repE0EEENS1_30default_config_static_selectorELNS0_4arch9wavefront6targetE0EEEvT1_
	.globl	_ZN7rocprim17ROCPRIM_400000_NS6detail17trampoline_kernelINS0_14default_configENS1_25partition_config_selectorILNS1_17partition_subalgoE6EtNS0_10empty_typeEbEEZZNS1_14partition_implILS5_6ELb0ES3_mN6thrust23THRUST_200600_302600_NS6detail15normal_iteratorINSA_10device_ptrItEEEEPS6_SG_NS0_5tupleIJSF_S6_EEENSH_IJSG_SG_EEES6_PlJNSB_9not_fun_tINSB_14equal_to_valueItEEEEEEE10hipError_tPvRmT3_T4_T5_T6_T7_T9_mT8_P12ihipStream_tbDpT10_ENKUlT_T0_E_clISt17integral_constantIbLb1EES18_EEDaS13_S14_EUlS13_E_NS1_11comp_targetILNS1_3genE10ELNS1_11target_archE1200ELNS1_3gpuE4ELNS1_3repE0EEENS1_30default_config_static_selectorELNS0_4arch9wavefront6targetE0EEEvT1_
	.p2align	8
	.type	_ZN7rocprim17ROCPRIM_400000_NS6detail17trampoline_kernelINS0_14default_configENS1_25partition_config_selectorILNS1_17partition_subalgoE6EtNS0_10empty_typeEbEEZZNS1_14partition_implILS5_6ELb0ES3_mN6thrust23THRUST_200600_302600_NS6detail15normal_iteratorINSA_10device_ptrItEEEEPS6_SG_NS0_5tupleIJSF_S6_EEENSH_IJSG_SG_EEES6_PlJNSB_9not_fun_tINSB_14equal_to_valueItEEEEEEE10hipError_tPvRmT3_T4_T5_T6_T7_T9_mT8_P12ihipStream_tbDpT10_ENKUlT_T0_E_clISt17integral_constantIbLb1EES18_EEDaS13_S14_EUlS13_E_NS1_11comp_targetILNS1_3genE10ELNS1_11target_archE1200ELNS1_3gpuE4ELNS1_3repE0EEENS1_30default_config_static_selectorELNS0_4arch9wavefront6targetE0EEEvT1_,@function
_ZN7rocprim17ROCPRIM_400000_NS6detail17trampoline_kernelINS0_14default_configENS1_25partition_config_selectorILNS1_17partition_subalgoE6EtNS0_10empty_typeEbEEZZNS1_14partition_implILS5_6ELb0ES3_mN6thrust23THRUST_200600_302600_NS6detail15normal_iteratorINSA_10device_ptrItEEEEPS6_SG_NS0_5tupleIJSF_S6_EEENSH_IJSG_SG_EEES6_PlJNSB_9not_fun_tINSB_14equal_to_valueItEEEEEEE10hipError_tPvRmT3_T4_T5_T6_T7_T9_mT8_P12ihipStream_tbDpT10_ENKUlT_T0_E_clISt17integral_constantIbLb1EES18_EEDaS13_S14_EUlS13_E_NS1_11comp_targetILNS1_3genE10ELNS1_11target_archE1200ELNS1_3gpuE4ELNS1_3repE0EEENS1_30default_config_static_selectorELNS0_4arch9wavefront6targetE0EEEvT1_: ; @_ZN7rocprim17ROCPRIM_400000_NS6detail17trampoline_kernelINS0_14default_configENS1_25partition_config_selectorILNS1_17partition_subalgoE6EtNS0_10empty_typeEbEEZZNS1_14partition_implILS5_6ELb0ES3_mN6thrust23THRUST_200600_302600_NS6detail15normal_iteratorINSA_10device_ptrItEEEEPS6_SG_NS0_5tupleIJSF_S6_EEENSH_IJSG_SG_EEES6_PlJNSB_9not_fun_tINSB_14equal_to_valueItEEEEEEE10hipError_tPvRmT3_T4_T5_T6_T7_T9_mT8_P12ihipStream_tbDpT10_ENKUlT_T0_E_clISt17integral_constantIbLb1EES18_EEDaS13_S14_EUlS13_E_NS1_11comp_targetILNS1_3genE10ELNS1_11target_archE1200ELNS1_3gpuE4ELNS1_3repE0EEENS1_30default_config_static_selectorELNS0_4arch9wavefront6targetE0EEEvT1_
; %bb.0:
	s_endpgm
	.section	.rodata,"a",@progbits
	.p2align	6, 0x0
	.amdhsa_kernel _ZN7rocprim17ROCPRIM_400000_NS6detail17trampoline_kernelINS0_14default_configENS1_25partition_config_selectorILNS1_17partition_subalgoE6EtNS0_10empty_typeEbEEZZNS1_14partition_implILS5_6ELb0ES3_mN6thrust23THRUST_200600_302600_NS6detail15normal_iteratorINSA_10device_ptrItEEEEPS6_SG_NS0_5tupleIJSF_S6_EEENSH_IJSG_SG_EEES6_PlJNSB_9not_fun_tINSB_14equal_to_valueItEEEEEEE10hipError_tPvRmT3_T4_T5_T6_T7_T9_mT8_P12ihipStream_tbDpT10_ENKUlT_T0_E_clISt17integral_constantIbLb1EES18_EEDaS13_S14_EUlS13_E_NS1_11comp_targetILNS1_3genE10ELNS1_11target_archE1200ELNS1_3gpuE4ELNS1_3repE0EEENS1_30default_config_static_selectorELNS0_4arch9wavefront6targetE0EEEvT1_
		.amdhsa_group_segment_fixed_size 0
		.amdhsa_private_segment_fixed_size 0
		.amdhsa_kernarg_size 128
		.amdhsa_user_sgpr_count 2
		.amdhsa_user_sgpr_dispatch_ptr 0
		.amdhsa_user_sgpr_queue_ptr 0
		.amdhsa_user_sgpr_kernarg_segment_ptr 1
		.amdhsa_user_sgpr_dispatch_id 0
		.amdhsa_user_sgpr_private_segment_size 0
		.amdhsa_wavefront_size32 1
		.amdhsa_uses_dynamic_stack 0
		.amdhsa_enable_private_segment 0
		.amdhsa_system_sgpr_workgroup_id_x 1
		.amdhsa_system_sgpr_workgroup_id_y 0
		.amdhsa_system_sgpr_workgroup_id_z 0
		.amdhsa_system_sgpr_workgroup_info 0
		.amdhsa_system_vgpr_workitem_id 0
		.amdhsa_next_free_vgpr 1
		.amdhsa_next_free_sgpr 1
		.amdhsa_reserve_vcc 0
		.amdhsa_float_round_mode_32 0
		.amdhsa_float_round_mode_16_64 0
		.amdhsa_float_denorm_mode_32 3
		.amdhsa_float_denorm_mode_16_64 3
		.amdhsa_fp16_overflow 0
		.amdhsa_workgroup_processor_mode 1
		.amdhsa_memory_ordered 1
		.amdhsa_forward_progress 1
		.amdhsa_inst_pref_size 1
		.amdhsa_round_robin_scheduling 0
		.amdhsa_exception_fp_ieee_invalid_op 0
		.amdhsa_exception_fp_denorm_src 0
		.amdhsa_exception_fp_ieee_div_zero 0
		.amdhsa_exception_fp_ieee_overflow 0
		.amdhsa_exception_fp_ieee_underflow 0
		.amdhsa_exception_fp_ieee_inexact 0
		.amdhsa_exception_int_div_zero 0
	.end_amdhsa_kernel
	.section	.text._ZN7rocprim17ROCPRIM_400000_NS6detail17trampoline_kernelINS0_14default_configENS1_25partition_config_selectorILNS1_17partition_subalgoE6EtNS0_10empty_typeEbEEZZNS1_14partition_implILS5_6ELb0ES3_mN6thrust23THRUST_200600_302600_NS6detail15normal_iteratorINSA_10device_ptrItEEEEPS6_SG_NS0_5tupleIJSF_S6_EEENSH_IJSG_SG_EEES6_PlJNSB_9not_fun_tINSB_14equal_to_valueItEEEEEEE10hipError_tPvRmT3_T4_T5_T6_T7_T9_mT8_P12ihipStream_tbDpT10_ENKUlT_T0_E_clISt17integral_constantIbLb1EES18_EEDaS13_S14_EUlS13_E_NS1_11comp_targetILNS1_3genE10ELNS1_11target_archE1200ELNS1_3gpuE4ELNS1_3repE0EEENS1_30default_config_static_selectorELNS0_4arch9wavefront6targetE0EEEvT1_,"axG",@progbits,_ZN7rocprim17ROCPRIM_400000_NS6detail17trampoline_kernelINS0_14default_configENS1_25partition_config_selectorILNS1_17partition_subalgoE6EtNS0_10empty_typeEbEEZZNS1_14partition_implILS5_6ELb0ES3_mN6thrust23THRUST_200600_302600_NS6detail15normal_iteratorINSA_10device_ptrItEEEEPS6_SG_NS0_5tupleIJSF_S6_EEENSH_IJSG_SG_EEES6_PlJNSB_9not_fun_tINSB_14equal_to_valueItEEEEEEE10hipError_tPvRmT3_T4_T5_T6_T7_T9_mT8_P12ihipStream_tbDpT10_ENKUlT_T0_E_clISt17integral_constantIbLb1EES18_EEDaS13_S14_EUlS13_E_NS1_11comp_targetILNS1_3genE10ELNS1_11target_archE1200ELNS1_3gpuE4ELNS1_3repE0EEENS1_30default_config_static_selectorELNS0_4arch9wavefront6targetE0EEEvT1_,comdat
.Lfunc_end418:
	.size	_ZN7rocprim17ROCPRIM_400000_NS6detail17trampoline_kernelINS0_14default_configENS1_25partition_config_selectorILNS1_17partition_subalgoE6EtNS0_10empty_typeEbEEZZNS1_14partition_implILS5_6ELb0ES3_mN6thrust23THRUST_200600_302600_NS6detail15normal_iteratorINSA_10device_ptrItEEEEPS6_SG_NS0_5tupleIJSF_S6_EEENSH_IJSG_SG_EEES6_PlJNSB_9not_fun_tINSB_14equal_to_valueItEEEEEEE10hipError_tPvRmT3_T4_T5_T6_T7_T9_mT8_P12ihipStream_tbDpT10_ENKUlT_T0_E_clISt17integral_constantIbLb1EES18_EEDaS13_S14_EUlS13_E_NS1_11comp_targetILNS1_3genE10ELNS1_11target_archE1200ELNS1_3gpuE4ELNS1_3repE0EEENS1_30default_config_static_selectorELNS0_4arch9wavefront6targetE0EEEvT1_, .Lfunc_end418-_ZN7rocprim17ROCPRIM_400000_NS6detail17trampoline_kernelINS0_14default_configENS1_25partition_config_selectorILNS1_17partition_subalgoE6EtNS0_10empty_typeEbEEZZNS1_14partition_implILS5_6ELb0ES3_mN6thrust23THRUST_200600_302600_NS6detail15normal_iteratorINSA_10device_ptrItEEEEPS6_SG_NS0_5tupleIJSF_S6_EEENSH_IJSG_SG_EEES6_PlJNSB_9not_fun_tINSB_14equal_to_valueItEEEEEEE10hipError_tPvRmT3_T4_T5_T6_T7_T9_mT8_P12ihipStream_tbDpT10_ENKUlT_T0_E_clISt17integral_constantIbLb1EES18_EEDaS13_S14_EUlS13_E_NS1_11comp_targetILNS1_3genE10ELNS1_11target_archE1200ELNS1_3gpuE4ELNS1_3repE0EEENS1_30default_config_static_selectorELNS0_4arch9wavefront6targetE0EEEvT1_
                                        ; -- End function
	.set _ZN7rocprim17ROCPRIM_400000_NS6detail17trampoline_kernelINS0_14default_configENS1_25partition_config_selectorILNS1_17partition_subalgoE6EtNS0_10empty_typeEbEEZZNS1_14partition_implILS5_6ELb0ES3_mN6thrust23THRUST_200600_302600_NS6detail15normal_iteratorINSA_10device_ptrItEEEEPS6_SG_NS0_5tupleIJSF_S6_EEENSH_IJSG_SG_EEES6_PlJNSB_9not_fun_tINSB_14equal_to_valueItEEEEEEE10hipError_tPvRmT3_T4_T5_T6_T7_T9_mT8_P12ihipStream_tbDpT10_ENKUlT_T0_E_clISt17integral_constantIbLb1EES18_EEDaS13_S14_EUlS13_E_NS1_11comp_targetILNS1_3genE10ELNS1_11target_archE1200ELNS1_3gpuE4ELNS1_3repE0EEENS1_30default_config_static_selectorELNS0_4arch9wavefront6targetE0EEEvT1_.num_vgpr, 0
	.set _ZN7rocprim17ROCPRIM_400000_NS6detail17trampoline_kernelINS0_14default_configENS1_25partition_config_selectorILNS1_17partition_subalgoE6EtNS0_10empty_typeEbEEZZNS1_14partition_implILS5_6ELb0ES3_mN6thrust23THRUST_200600_302600_NS6detail15normal_iteratorINSA_10device_ptrItEEEEPS6_SG_NS0_5tupleIJSF_S6_EEENSH_IJSG_SG_EEES6_PlJNSB_9not_fun_tINSB_14equal_to_valueItEEEEEEE10hipError_tPvRmT3_T4_T5_T6_T7_T9_mT8_P12ihipStream_tbDpT10_ENKUlT_T0_E_clISt17integral_constantIbLb1EES18_EEDaS13_S14_EUlS13_E_NS1_11comp_targetILNS1_3genE10ELNS1_11target_archE1200ELNS1_3gpuE4ELNS1_3repE0EEENS1_30default_config_static_selectorELNS0_4arch9wavefront6targetE0EEEvT1_.num_agpr, 0
	.set _ZN7rocprim17ROCPRIM_400000_NS6detail17trampoline_kernelINS0_14default_configENS1_25partition_config_selectorILNS1_17partition_subalgoE6EtNS0_10empty_typeEbEEZZNS1_14partition_implILS5_6ELb0ES3_mN6thrust23THRUST_200600_302600_NS6detail15normal_iteratorINSA_10device_ptrItEEEEPS6_SG_NS0_5tupleIJSF_S6_EEENSH_IJSG_SG_EEES6_PlJNSB_9not_fun_tINSB_14equal_to_valueItEEEEEEE10hipError_tPvRmT3_T4_T5_T6_T7_T9_mT8_P12ihipStream_tbDpT10_ENKUlT_T0_E_clISt17integral_constantIbLb1EES18_EEDaS13_S14_EUlS13_E_NS1_11comp_targetILNS1_3genE10ELNS1_11target_archE1200ELNS1_3gpuE4ELNS1_3repE0EEENS1_30default_config_static_selectorELNS0_4arch9wavefront6targetE0EEEvT1_.numbered_sgpr, 0
	.set _ZN7rocprim17ROCPRIM_400000_NS6detail17trampoline_kernelINS0_14default_configENS1_25partition_config_selectorILNS1_17partition_subalgoE6EtNS0_10empty_typeEbEEZZNS1_14partition_implILS5_6ELb0ES3_mN6thrust23THRUST_200600_302600_NS6detail15normal_iteratorINSA_10device_ptrItEEEEPS6_SG_NS0_5tupleIJSF_S6_EEENSH_IJSG_SG_EEES6_PlJNSB_9not_fun_tINSB_14equal_to_valueItEEEEEEE10hipError_tPvRmT3_T4_T5_T6_T7_T9_mT8_P12ihipStream_tbDpT10_ENKUlT_T0_E_clISt17integral_constantIbLb1EES18_EEDaS13_S14_EUlS13_E_NS1_11comp_targetILNS1_3genE10ELNS1_11target_archE1200ELNS1_3gpuE4ELNS1_3repE0EEENS1_30default_config_static_selectorELNS0_4arch9wavefront6targetE0EEEvT1_.num_named_barrier, 0
	.set _ZN7rocprim17ROCPRIM_400000_NS6detail17trampoline_kernelINS0_14default_configENS1_25partition_config_selectorILNS1_17partition_subalgoE6EtNS0_10empty_typeEbEEZZNS1_14partition_implILS5_6ELb0ES3_mN6thrust23THRUST_200600_302600_NS6detail15normal_iteratorINSA_10device_ptrItEEEEPS6_SG_NS0_5tupleIJSF_S6_EEENSH_IJSG_SG_EEES6_PlJNSB_9not_fun_tINSB_14equal_to_valueItEEEEEEE10hipError_tPvRmT3_T4_T5_T6_T7_T9_mT8_P12ihipStream_tbDpT10_ENKUlT_T0_E_clISt17integral_constantIbLb1EES18_EEDaS13_S14_EUlS13_E_NS1_11comp_targetILNS1_3genE10ELNS1_11target_archE1200ELNS1_3gpuE4ELNS1_3repE0EEENS1_30default_config_static_selectorELNS0_4arch9wavefront6targetE0EEEvT1_.private_seg_size, 0
	.set _ZN7rocprim17ROCPRIM_400000_NS6detail17trampoline_kernelINS0_14default_configENS1_25partition_config_selectorILNS1_17partition_subalgoE6EtNS0_10empty_typeEbEEZZNS1_14partition_implILS5_6ELb0ES3_mN6thrust23THRUST_200600_302600_NS6detail15normal_iteratorINSA_10device_ptrItEEEEPS6_SG_NS0_5tupleIJSF_S6_EEENSH_IJSG_SG_EEES6_PlJNSB_9not_fun_tINSB_14equal_to_valueItEEEEEEE10hipError_tPvRmT3_T4_T5_T6_T7_T9_mT8_P12ihipStream_tbDpT10_ENKUlT_T0_E_clISt17integral_constantIbLb1EES18_EEDaS13_S14_EUlS13_E_NS1_11comp_targetILNS1_3genE10ELNS1_11target_archE1200ELNS1_3gpuE4ELNS1_3repE0EEENS1_30default_config_static_selectorELNS0_4arch9wavefront6targetE0EEEvT1_.uses_vcc, 0
	.set _ZN7rocprim17ROCPRIM_400000_NS6detail17trampoline_kernelINS0_14default_configENS1_25partition_config_selectorILNS1_17partition_subalgoE6EtNS0_10empty_typeEbEEZZNS1_14partition_implILS5_6ELb0ES3_mN6thrust23THRUST_200600_302600_NS6detail15normal_iteratorINSA_10device_ptrItEEEEPS6_SG_NS0_5tupleIJSF_S6_EEENSH_IJSG_SG_EEES6_PlJNSB_9not_fun_tINSB_14equal_to_valueItEEEEEEE10hipError_tPvRmT3_T4_T5_T6_T7_T9_mT8_P12ihipStream_tbDpT10_ENKUlT_T0_E_clISt17integral_constantIbLb1EES18_EEDaS13_S14_EUlS13_E_NS1_11comp_targetILNS1_3genE10ELNS1_11target_archE1200ELNS1_3gpuE4ELNS1_3repE0EEENS1_30default_config_static_selectorELNS0_4arch9wavefront6targetE0EEEvT1_.uses_flat_scratch, 0
	.set _ZN7rocprim17ROCPRIM_400000_NS6detail17trampoline_kernelINS0_14default_configENS1_25partition_config_selectorILNS1_17partition_subalgoE6EtNS0_10empty_typeEbEEZZNS1_14partition_implILS5_6ELb0ES3_mN6thrust23THRUST_200600_302600_NS6detail15normal_iteratorINSA_10device_ptrItEEEEPS6_SG_NS0_5tupleIJSF_S6_EEENSH_IJSG_SG_EEES6_PlJNSB_9not_fun_tINSB_14equal_to_valueItEEEEEEE10hipError_tPvRmT3_T4_T5_T6_T7_T9_mT8_P12ihipStream_tbDpT10_ENKUlT_T0_E_clISt17integral_constantIbLb1EES18_EEDaS13_S14_EUlS13_E_NS1_11comp_targetILNS1_3genE10ELNS1_11target_archE1200ELNS1_3gpuE4ELNS1_3repE0EEENS1_30default_config_static_selectorELNS0_4arch9wavefront6targetE0EEEvT1_.has_dyn_sized_stack, 0
	.set _ZN7rocprim17ROCPRIM_400000_NS6detail17trampoline_kernelINS0_14default_configENS1_25partition_config_selectorILNS1_17partition_subalgoE6EtNS0_10empty_typeEbEEZZNS1_14partition_implILS5_6ELb0ES3_mN6thrust23THRUST_200600_302600_NS6detail15normal_iteratorINSA_10device_ptrItEEEEPS6_SG_NS0_5tupleIJSF_S6_EEENSH_IJSG_SG_EEES6_PlJNSB_9not_fun_tINSB_14equal_to_valueItEEEEEEE10hipError_tPvRmT3_T4_T5_T6_T7_T9_mT8_P12ihipStream_tbDpT10_ENKUlT_T0_E_clISt17integral_constantIbLb1EES18_EEDaS13_S14_EUlS13_E_NS1_11comp_targetILNS1_3genE10ELNS1_11target_archE1200ELNS1_3gpuE4ELNS1_3repE0EEENS1_30default_config_static_selectorELNS0_4arch9wavefront6targetE0EEEvT1_.has_recursion, 0
	.set _ZN7rocprim17ROCPRIM_400000_NS6detail17trampoline_kernelINS0_14default_configENS1_25partition_config_selectorILNS1_17partition_subalgoE6EtNS0_10empty_typeEbEEZZNS1_14partition_implILS5_6ELb0ES3_mN6thrust23THRUST_200600_302600_NS6detail15normal_iteratorINSA_10device_ptrItEEEEPS6_SG_NS0_5tupleIJSF_S6_EEENSH_IJSG_SG_EEES6_PlJNSB_9not_fun_tINSB_14equal_to_valueItEEEEEEE10hipError_tPvRmT3_T4_T5_T6_T7_T9_mT8_P12ihipStream_tbDpT10_ENKUlT_T0_E_clISt17integral_constantIbLb1EES18_EEDaS13_S14_EUlS13_E_NS1_11comp_targetILNS1_3genE10ELNS1_11target_archE1200ELNS1_3gpuE4ELNS1_3repE0EEENS1_30default_config_static_selectorELNS0_4arch9wavefront6targetE0EEEvT1_.has_indirect_call, 0
	.section	.AMDGPU.csdata,"",@progbits
; Kernel info:
; codeLenInByte = 4
; TotalNumSgprs: 0
; NumVgprs: 0
; ScratchSize: 0
; MemoryBound: 0
; FloatMode: 240
; IeeeMode: 1
; LDSByteSize: 0 bytes/workgroup (compile time only)
; SGPRBlocks: 0
; VGPRBlocks: 0
; NumSGPRsForWavesPerEU: 1
; NumVGPRsForWavesPerEU: 1
; Occupancy: 16
; WaveLimiterHint : 0
; COMPUTE_PGM_RSRC2:SCRATCH_EN: 0
; COMPUTE_PGM_RSRC2:USER_SGPR: 2
; COMPUTE_PGM_RSRC2:TRAP_HANDLER: 0
; COMPUTE_PGM_RSRC2:TGID_X_EN: 1
; COMPUTE_PGM_RSRC2:TGID_Y_EN: 0
; COMPUTE_PGM_RSRC2:TGID_Z_EN: 0
; COMPUTE_PGM_RSRC2:TIDIG_COMP_CNT: 0
	.section	.text._ZN7rocprim17ROCPRIM_400000_NS6detail17trampoline_kernelINS0_14default_configENS1_25partition_config_selectorILNS1_17partition_subalgoE6EtNS0_10empty_typeEbEEZZNS1_14partition_implILS5_6ELb0ES3_mN6thrust23THRUST_200600_302600_NS6detail15normal_iteratorINSA_10device_ptrItEEEEPS6_SG_NS0_5tupleIJSF_S6_EEENSH_IJSG_SG_EEES6_PlJNSB_9not_fun_tINSB_14equal_to_valueItEEEEEEE10hipError_tPvRmT3_T4_T5_T6_T7_T9_mT8_P12ihipStream_tbDpT10_ENKUlT_T0_E_clISt17integral_constantIbLb1EES18_EEDaS13_S14_EUlS13_E_NS1_11comp_targetILNS1_3genE9ELNS1_11target_archE1100ELNS1_3gpuE3ELNS1_3repE0EEENS1_30default_config_static_selectorELNS0_4arch9wavefront6targetE0EEEvT1_,"axG",@progbits,_ZN7rocprim17ROCPRIM_400000_NS6detail17trampoline_kernelINS0_14default_configENS1_25partition_config_selectorILNS1_17partition_subalgoE6EtNS0_10empty_typeEbEEZZNS1_14partition_implILS5_6ELb0ES3_mN6thrust23THRUST_200600_302600_NS6detail15normal_iteratorINSA_10device_ptrItEEEEPS6_SG_NS0_5tupleIJSF_S6_EEENSH_IJSG_SG_EEES6_PlJNSB_9not_fun_tINSB_14equal_to_valueItEEEEEEE10hipError_tPvRmT3_T4_T5_T6_T7_T9_mT8_P12ihipStream_tbDpT10_ENKUlT_T0_E_clISt17integral_constantIbLb1EES18_EEDaS13_S14_EUlS13_E_NS1_11comp_targetILNS1_3genE9ELNS1_11target_archE1100ELNS1_3gpuE3ELNS1_3repE0EEENS1_30default_config_static_selectorELNS0_4arch9wavefront6targetE0EEEvT1_,comdat
	.protected	_ZN7rocprim17ROCPRIM_400000_NS6detail17trampoline_kernelINS0_14default_configENS1_25partition_config_selectorILNS1_17partition_subalgoE6EtNS0_10empty_typeEbEEZZNS1_14partition_implILS5_6ELb0ES3_mN6thrust23THRUST_200600_302600_NS6detail15normal_iteratorINSA_10device_ptrItEEEEPS6_SG_NS0_5tupleIJSF_S6_EEENSH_IJSG_SG_EEES6_PlJNSB_9not_fun_tINSB_14equal_to_valueItEEEEEEE10hipError_tPvRmT3_T4_T5_T6_T7_T9_mT8_P12ihipStream_tbDpT10_ENKUlT_T0_E_clISt17integral_constantIbLb1EES18_EEDaS13_S14_EUlS13_E_NS1_11comp_targetILNS1_3genE9ELNS1_11target_archE1100ELNS1_3gpuE3ELNS1_3repE0EEENS1_30default_config_static_selectorELNS0_4arch9wavefront6targetE0EEEvT1_ ; -- Begin function _ZN7rocprim17ROCPRIM_400000_NS6detail17trampoline_kernelINS0_14default_configENS1_25partition_config_selectorILNS1_17partition_subalgoE6EtNS0_10empty_typeEbEEZZNS1_14partition_implILS5_6ELb0ES3_mN6thrust23THRUST_200600_302600_NS6detail15normal_iteratorINSA_10device_ptrItEEEEPS6_SG_NS0_5tupleIJSF_S6_EEENSH_IJSG_SG_EEES6_PlJNSB_9not_fun_tINSB_14equal_to_valueItEEEEEEE10hipError_tPvRmT3_T4_T5_T6_T7_T9_mT8_P12ihipStream_tbDpT10_ENKUlT_T0_E_clISt17integral_constantIbLb1EES18_EEDaS13_S14_EUlS13_E_NS1_11comp_targetILNS1_3genE9ELNS1_11target_archE1100ELNS1_3gpuE3ELNS1_3repE0EEENS1_30default_config_static_selectorELNS0_4arch9wavefront6targetE0EEEvT1_
	.globl	_ZN7rocprim17ROCPRIM_400000_NS6detail17trampoline_kernelINS0_14default_configENS1_25partition_config_selectorILNS1_17partition_subalgoE6EtNS0_10empty_typeEbEEZZNS1_14partition_implILS5_6ELb0ES3_mN6thrust23THRUST_200600_302600_NS6detail15normal_iteratorINSA_10device_ptrItEEEEPS6_SG_NS0_5tupleIJSF_S6_EEENSH_IJSG_SG_EEES6_PlJNSB_9not_fun_tINSB_14equal_to_valueItEEEEEEE10hipError_tPvRmT3_T4_T5_T6_T7_T9_mT8_P12ihipStream_tbDpT10_ENKUlT_T0_E_clISt17integral_constantIbLb1EES18_EEDaS13_S14_EUlS13_E_NS1_11comp_targetILNS1_3genE9ELNS1_11target_archE1100ELNS1_3gpuE3ELNS1_3repE0EEENS1_30default_config_static_selectorELNS0_4arch9wavefront6targetE0EEEvT1_
	.p2align	8
	.type	_ZN7rocprim17ROCPRIM_400000_NS6detail17trampoline_kernelINS0_14default_configENS1_25partition_config_selectorILNS1_17partition_subalgoE6EtNS0_10empty_typeEbEEZZNS1_14partition_implILS5_6ELb0ES3_mN6thrust23THRUST_200600_302600_NS6detail15normal_iteratorINSA_10device_ptrItEEEEPS6_SG_NS0_5tupleIJSF_S6_EEENSH_IJSG_SG_EEES6_PlJNSB_9not_fun_tINSB_14equal_to_valueItEEEEEEE10hipError_tPvRmT3_T4_T5_T6_T7_T9_mT8_P12ihipStream_tbDpT10_ENKUlT_T0_E_clISt17integral_constantIbLb1EES18_EEDaS13_S14_EUlS13_E_NS1_11comp_targetILNS1_3genE9ELNS1_11target_archE1100ELNS1_3gpuE3ELNS1_3repE0EEENS1_30default_config_static_selectorELNS0_4arch9wavefront6targetE0EEEvT1_,@function
_ZN7rocprim17ROCPRIM_400000_NS6detail17trampoline_kernelINS0_14default_configENS1_25partition_config_selectorILNS1_17partition_subalgoE6EtNS0_10empty_typeEbEEZZNS1_14partition_implILS5_6ELb0ES3_mN6thrust23THRUST_200600_302600_NS6detail15normal_iteratorINSA_10device_ptrItEEEEPS6_SG_NS0_5tupleIJSF_S6_EEENSH_IJSG_SG_EEES6_PlJNSB_9not_fun_tINSB_14equal_to_valueItEEEEEEE10hipError_tPvRmT3_T4_T5_T6_T7_T9_mT8_P12ihipStream_tbDpT10_ENKUlT_T0_E_clISt17integral_constantIbLb1EES18_EEDaS13_S14_EUlS13_E_NS1_11comp_targetILNS1_3genE9ELNS1_11target_archE1100ELNS1_3gpuE3ELNS1_3repE0EEENS1_30default_config_static_selectorELNS0_4arch9wavefront6targetE0EEEvT1_: ; @_ZN7rocprim17ROCPRIM_400000_NS6detail17trampoline_kernelINS0_14default_configENS1_25partition_config_selectorILNS1_17partition_subalgoE6EtNS0_10empty_typeEbEEZZNS1_14partition_implILS5_6ELb0ES3_mN6thrust23THRUST_200600_302600_NS6detail15normal_iteratorINSA_10device_ptrItEEEEPS6_SG_NS0_5tupleIJSF_S6_EEENSH_IJSG_SG_EEES6_PlJNSB_9not_fun_tINSB_14equal_to_valueItEEEEEEE10hipError_tPvRmT3_T4_T5_T6_T7_T9_mT8_P12ihipStream_tbDpT10_ENKUlT_T0_E_clISt17integral_constantIbLb1EES18_EEDaS13_S14_EUlS13_E_NS1_11comp_targetILNS1_3genE9ELNS1_11target_archE1100ELNS1_3gpuE3ELNS1_3repE0EEENS1_30default_config_static_selectorELNS0_4arch9wavefront6targetE0EEEvT1_
; %bb.0:
	.section	.rodata,"a",@progbits
	.p2align	6, 0x0
	.amdhsa_kernel _ZN7rocprim17ROCPRIM_400000_NS6detail17trampoline_kernelINS0_14default_configENS1_25partition_config_selectorILNS1_17partition_subalgoE6EtNS0_10empty_typeEbEEZZNS1_14partition_implILS5_6ELb0ES3_mN6thrust23THRUST_200600_302600_NS6detail15normal_iteratorINSA_10device_ptrItEEEEPS6_SG_NS0_5tupleIJSF_S6_EEENSH_IJSG_SG_EEES6_PlJNSB_9not_fun_tINSB_14equal_to_valueItEEEEEEE10hipError_tPvRmT3_T4_T5_T6_T7_T9_mT8_P12ihipStream_tbDpT10_ENKUlT_T0_E_clISt17integral_constantIbLb1EES18_EEDaS13_S14_EUlS13_E_NS1_11comp_targetILNS1_3genE9ELNS1_11target_archE1100ELNS1_3gpuE3ELNS1_3repE0EEENS1_30default_config_static_selectorELNS0_4arch9wavefront6targetE0EEEvT1_
		.amdhsa_group_segment_fixed_size 0
		.amdhsa_private_segment_fixed_size 0
		.amdhsa_kernarg_size 128
		.amdhsa_user_sgpr_count 2
		.amdhsa_user_sgpr_dispatch_ptr 0
		.amdhsa_user_sgpr_queue_ptr 0
		.amdhsa_user_sgpr_kernarg_segment_ptr 1
		.amdhsa_user_sgpr_dispatch_id 0
		.amdhsa_user_sgpr_private_segment_size 0
		.amdhsa_wavefront_size32 1
		.amdhsa_uses_dynamic_stack 0
		.amdhsa_enable_private_segment 0
		.amdhsa_system_sgpr_workgroup_id_x 1
		.amdhsa_system_sgpr_workgroup_id_y 0
		.amdhsa_system_sgpr_workgroup_id_z 0
		.amdhsa_system_sgpr_workgroup_info 0
		.amdhsa_system_vgpr_workitem_id 0
		.amdhsa_next_free_vgpr 1
		.amdhsa_next_free_sgpr 1
		.amdhsa_reserve_vcc 0
		.amdhsa_float_round_mode_32 0
		.amdhsa_float_round_mode_16_64 0
		.amdhsa_float_denorm_mode_32 3
		.amdhsa_float_denorm_mode_16_64 3
		.amdhsa_fp16_overflow 0
		.amdhsa_workgroup_processor_mode 1
		.amdhsa_memory_ordered 1
		.amdhsa_forward_progress 1
		.amdhsa_inst_pref_size 0
		.amdhsa_round_robin_scheduling 0
		.amdhsa_exception_fp_ieee_invalid_op 0
		.amdhsa_exception_fp_denorm_src 0
		.amdhsa_exception_fp_ieee_div_zero 0
		.amdhsa_exception_fp_ieee_overflow 0
		.amdhsa_exception_fp_ieee_underflow 0
		.amdhsa_exception_fp_ieee_inexact 0
		.amdhsa_exception_int_div_zero 0
	.end_amdhsa_kernel
	.section	.text._ZN7rocprim17ROCPRIM_400000_NS6detail17trampoline_kernelINS0_14default_configENS1_25partition_config_selectorILNS1_17partition_subalgoE6EtNS0_10empty_typeEbEEZZNS1_14partition_implILS5_6ELb0ES3_mN6thrust23THRUST_200600_302600_NS6detail15normal_iteratorINSA_10device_ptrItEEEEPS6_SG_NS0_5tupleIJSF_S6_EEENSH_IJSG_SG_EEES6_PlJNSB_9not_fun_tINSB_14equal_to_valueItEEEEEEE10hipError_tPvRmT3_T4_T5_T6_T7_T9_mT8_P12ihipStream_tbDpT10_ENKUlT_T0_E_clISt17integral_constantIbLb1EES18_EEDaS13_S14_EUlS13_E_NS1_11comp_targetILNS1_3genE9ELNS1_11target_archE1100ELNS1_3gpuE3ELNS1_3repE0EEENS1_30default_config_static_selectorELNS0_4arch9wavefront6targetE0EEEvT1_,"axG",@progbits,_ZN7rocprim17ROCPRIM_400000_NS6detail17trampoline_kernelINS0_14default_configENS1_25partition_config_selectorILNS1_17partition_subalgoE6EtNS0_10empty_typeEbEEZZNS1_14partition_implILS5_6ELb0ES3_mN6thrust23THRUST_200600_302600_NS6detail15normal_iteratorINSA_10device_ptrItEEEEPS6_SG_NS0_5tupleIJSF_S6_EEENSH_IJSG_SG_EEES6_PlJNSB_9not_fun_tINSB_14equal_to_valueItEEEEEEE10hipError_tPvRmT3_T4_T5_T6_T7_T9_mT8_P12ihipStream_tbDpT10_ENKUlT_T0_E_clISt17integral_constantIbLb1EES18_EEDaS13_S14_EUlS13_E_NS1_11comp_targetILNS1_3genE9ELNS1_11target_archE1100ELNS1_3gpuE3ELNS1_3repE0EEENS1_30default_config_static_selectorELNS0_4arch9wavefront6targetE0EEEvT1_,comdat
.Lfunc_end419:
	.size	_ZN7rocprim17ROCPRIM_400000_NS6detail17trampoline_kernelINS0_14default_configENS1_25partition_config_selectorILNS1_17partition_subalgoE6EtNS0_10empty_typeEbEEZZNS1_14partition_implILS5_6ELb0ES3_mN6thrust23THRUST_200600_302600_NS6detail15normal_iteratorINSA_10device_ptrItEEEEPS6_SG_NS0_5tupleIJSF_S6_EEENSH_IJSG_SG_EEES6_PlJNSB_9not_fun_tINSB_14equal_to_valueItEEEEEEE10hipError_tPvRmT3_T4_T5_T6_T7_T9_mT8_P12ihipStream_tbDpT10_ENKUlT_T0_E_clISt17integral_constantIbLb1EES18_EEDaS13_S14_EUlS13_E_NS1_11comp_targetILNS1_3genE9ELNS1_11target_archE1100ELNS1_3gpuE3ELNS1_3repE0EEENS1_30default_config_static_selectorELNS0_4arch9wavefront6targetE0EEEvT1_, .Lfunc_end419-_ZN7rocprim17ROCPRIM_400000_NS6detail17trampoline_kernelINS0_14default_configENS1_25partition_config_selectorILNS1_17partition_subalgoE6EtNS0_10empty_typeEbEEZZNS1_14partition_implILS5_6ELb0ES3_mN6thrust23THRUST_200600_302600_NS6detail15normal_iteratorINSA_10device_ptrItEEEEPS6_SG_NS0_5tupleIJSF_S6_EEENSH_IJSG_SG_EEES6_PlJNSB_9not_fun_tINSB_14equal_to_valueItEEEEEEE10hipError_tPvRmT3_T4_T5_T6_T7_T9_mT8_P12ihipStream_tbDpT10_ENKUlT_T0_E_clISt17integral_constantIbLb1EES18_EEDaS13_S14_EUlS13_E_NS1_11comp_targetILNS1_3genE9ELNS1_11target_archE1100ELNS1_3gpuE3ELNS1_3repE0EEENS1_30default_config_static_selectorELNS0_4arch9wavefront6targetE0EEEvT1_
                                        ; -- End function
	.set _ZN7rocprim17ROCPRIM_400000_NS6detail17trampoline_kernelINS0_14default_configENS1_25partition_config_selectorILNS1_17partition_subalgoE6EtNS0_10empty_typeEbEEZZNS1_14partition_implILS5_6ELb0ES3_mN6thrust23THRUST_200600_302600_NS6detail15normal_iteratorINSA_10device_ptrItEEEEPS6_SG_NS0_5tupleIJSF_S6_EEENSH_IJSG_SG_EEES6_PlJNSB_9not_fun_tINSB_14equal_to_valueItEEEEEEE10hipError_tPvRmT3_T4_T5_T6_T7_T9_mT8_P12ihipStream_tbDpT10_ENKUlT_T0_E_clISt17integral_constantIbLb1EES18_EEDaS13_S14_EUlS13_E_NS1_11comp_targetILNS1_3genE9ELNS1_11target_archE1100ELNS1_3gpuE3ELNS1_3repE0EEENS1_30default_config_static_selectorELNS0_4arch9wavefront6targetE0EEEvT1_.num_vgpr, 0
	.set _ZN7rocprim17ROCPRIM_400000_NS6detail17trampoline_kernelINS0_14default_configENS1_25partition_config_selectorILNS1_17partition_subalgoE6EtNS0_10empty_typeEbEEZZNS1_14partition_implILS5_6ELb0ES3_mN6thrust23THRUST_200600_302600_NS6detail15normal_iteratorINSA_10device_ptrItEEEEPS6_SG_NS0_5tupleIJSF_S6_EEENSH_IJSG_SG_EEES6_PlJNSB_9not_fun_tINSB_14equal_to_valueItEEEEEEE10hipError_tPvRmT3_T4_T5_T6_T7_T9_mT8_P12ihipStream_tbDpT10_ENKUlT_T0_E_clISt17integral_constantIbLb1EES18_EEDaS13_S14_EUlS13_E_NS1_11comp_targetILNS1_3genE9ELNS1_11target_archE1100ELNS1_3gpuE3ELNS1_3repE0EEENS1_30default_config_static_selectorELNS0_4arch9wavefront6targetE0EEEvT1_.num_agpr, 0
	.set _ZN7rocprim17ROCPRIM_400000_NS6detail17trampoline_kernelINS0_14default_configENS1_25partition_config_selectorILNS1_17partition_subalgoE6EtNS0_10empty_typeEbEEZZNS1_14partition_implILS5_6ELb0ES3_mN6thrust23THRUST_200600_302600_NS6detail15normal_iteratorINSA_10device_ptrItEEEEPS6_SG_NS0_5tupleIJSF_S6_EEENSH_IJSG_SG_EEES6_PlJNSB_9not_fun_tINSB_14equal_to_valueItEEEEEEE10hipError_tPvRmT3_T4_T5_T6_T7_T9_mT8_P12ihipStream_tbDpT10_ENKUlT_T0_E_clISt17integral_constantIbLb1EES18_EEDaS13_S14_EUlS13_E_NS1_11comp_targetILNS1_3genE9ELNS1_11target_archE1100ELNS1_3gpuE3ELNS1_3repE0EEENS1_30default_config_static_selectorELNS0_4arch9wavefront6targetE0EEEvT1_.numbered_sgpr, 0
	.set _ZN7rocprim17ROCPRIM_400000_NS6detail17trampoline_kernelINS0_14default_configENS1_25partition_config_selectorILNS1_17partition_subalgoE6EtNS0_10empty_typeEbEEZZNS1_14partition_implILS5_6ELb0ES3_mN6thrust23THRUST_200600_302600_NS6detail15normal_iteratorINSA_10device_ptrItEEEEPS6_SG_NS0_5tupleIJSF_S6_EEENSH_IJSG_SG_EEES6_PlJNSB_9not_fun_tINSB_14equal_to_valueItEEEEEEE10hipError_tPvRmT3_T4_T5_T6_T7_T9_mT8_P12ihipStream_tbDpT10_ENKUlT_T0_E_clISt17integral_constantIbLb1EES18_EEDaS13_S14_EUlS13_E_NS1_11comp_targetILNS1_3genE9ELNS1_11target_archE1100ELNS1_3gpuE3ELNS1_3repE0EEENS1_30default_config_static_selectorELNS0_4arch9wavefront6targetE0EEEvT1_.num_named_barrier, 0
	.set _ZN7rocprim17ROCPRIM_400000_NS6detail17trampoline_kernelINS0_14default_configENS1_25partition_config_selectorILNS1_17partition_subalgoE6EtNS0_10empty_typeEbEEZZNS1_14partition_implILS5_6ELb0ES3_mN6thrust23THRUST_200600_302600_NS6detail15normal_iteratorINSA_10device_ptrItEEEEPS6_SG_NS0_5tupleIJSF_S6_EEENSH_IJSG_SG_EEES6_PlJNSB_9not_fun_tINSB_14equal_to_valueItEEEEEEE10hipError_tPvRmT3_T4_T5_T6_T7_T9_mT8_P12ihipStream_tbDpT10_ENKUlT_T0_E_clISt17integral_constantIbLb1EES18_EEDaS13_S14_EUlS13_E_NS1_11comp_targetILNS1_3genE9ELNS1_11target_archE1100ELNS1_3gpuE3ELNS1_3repE0EEENS1_30default_config_static_selectorELNS0_4arch9wavefront6targetE0EEEvT1_.private_seg_size, 0
	.set _ZN7rocprim17ROCPRIM_400000_NS6detail17trampoline_kernelINS0_14default_configENS1_25partition_config_selectorILNS1_17partition_subalgoE6EtNS0_10empty_typeEbEEZZNS1_14partition_implILS5_6ELb0ES3_mN6thrust23THRUST_200600_302600_NS6detail15normal_iteratorINSA_10device_ptrItEEEEPS6_SG_NS0_5tupleIJSF_S6_EEENSH_IJSG_SG_EEES6_PlJNSB_9not_fun_tINSB_14equal_to_valueItEEEEEEE10hipError_tPvRmT3_T4_T5_T6_T7_T9_mT8_P12ihipStream_tbDpT10_ENKUlT_T0_E_clISt17integral_constantIbLb1EES18_EEDaS13_S14_EUlS13_E_NS1_11comp_targetILNS1_3genE9ELNS1_11target_archE1100ELNS1_3gpuE3ELNS1_3repE0EEENS1_30default_config_static_selectorELNS0_4arch9wavefront6targetE0EEEvT1_.uses_vcc, 0
	.set _ZN7rocprim17ROCPRIM_400000_NS6detail17trampoline_kernelINS0_14default_configENS1_25partition_config_selectorILNS1_17partition_subalgoE6EtNS0_10empty_typeEbEEZZNS1_14partition_implILS5_6ELb0ES3_mN6thrust23THRUST_200600_302600_NS6detail15normal_iteratorINSA_10device_ptrItEEEEPS6_SG_NS0_5tupleIJSF_S6_EEENSH_IJSG_SG_EEES6_PlJNSB_9not_fun_tINSB_14equal_to_valueItEEEEEEE10hipError_tPvRmT3_T4_T5_T6_T7_T9_mT8_P12ihipStream_tbDpT10_ENKUlT_T0_E_clISt17integral_constantIbLb1EES18_EEDaS13_S14_EUlS13_E_NS1_11comp_targetILNS1_3genE9ELNS1_11target_archE1100ELNS1_3gpuE3ELNS1_3repE0EEENS1_30default_config_static_selectorELNS0_4arch9wavefront6targetE0EEEvT1_.uses_flat_scratch, 0
	.set _ZN7rocprim17ROCPRIM_400000_NS6detail17trampoline_kernelINS0_14default_configENS1_25partition_config_selectorILNS1_17partition_subalgoE6EtNS0_10empty_typeEbEEZZNS1_14partition_implILS5_6ELb0ES3_mN6thrust23THRUST_200600_302600_NS6detail15normal_iteratorINSA_10device_ptrItEEEEPS6_SG_NS0_5tupleIJSF_S6_EEENSH_IJSG_SG_EEES6_PlJNSB_9not_fun_tINSB_14equal_to_valueItEEEEEEE10hipError_tPvRmT3_T4_T5_T6_T7_T9_mT8_P12ihipStream_tbDpT10_ENKUlT_T0_E_clISt17integral_constantIbLb1EES18_EEDaS13_S14_EUlS13_E_NS1_11comp_targetILNS1_3genE9ELNS1_11target_archE1100ELNS1_3gpuE3ELNS1_3repE0EEENS1_30default_config_static_selectorELNS0_4arch9wavefront6targetE0EEEvT1_.has_dyn_sized_stack, 0
	.set _ZN7rocprim17ROCPRIM_400000_NS6detail17trampoline_kernelINS0_14default_configENS1_25partition_config_selectorILNS1_17partition_subalgoE6EtNS0_10empty_typeEbEEZZNS1_14partition_implILS5_6ELb0ES3_mN6thrust23THRUST_200600_302600_NS6detail15normal_iteratorINSA_10device_ptrItEEEEPS6_SG_NS0_5tupleIJSF_S6_EEENSH_IJSG_SG_EEES6_PlJNSB_9not_fun_tINSB_14equal_to_valueItEEEEEEE10hipError_tPvRmT3_T4_T5_T6_T7_T9_mT8_P12ihipStream_tbDpT10_ENKUlT_T0_E_clISt17integral_constantIbLb1EES18_EEDaS13_S14_EUlS13_E_NS1_11comp_targetILNS1_3genE9ELNS1_11target_archE1100ELNS1_3gpuE3ELNS1_3repE0EEENS1_30default_config_static_selectorELNS0_4arch9wavefront6targetE0EEEvT1_.has_recursion, 0
	.set _ZN7rocprim17ROCPRIM_400000_NS6detail17trampoline_kernelINS0_14default_configENS1_25partition_config_selectorILNS1_17partition_subalgoE6EtNS0_10empty_typeEbEEZZNS1_14partition_implILS5_6ELb0ES3_mN6thrust23THRUST_200600_302600_NS6detail15normal_iteratorINSA_10device_ptrItEEEEPS6_SG_NS0_5tupleIJSF_S6_EEENSH_IJSG_SG_EEES6_PlJNSB_9not_fun_tINSB_14equal_to_valueItEEEEEEE10hipError_tPvRmT3_T4_T5_T6_T7_T9_mT8_P12ihipStream_tbDpT10_ENKUlT_T0_E_clISt17integral_constantIbLb1EES18_EEDaS13_S14_EUlS13_E_NS1_11comp_targetILNS1_3genE9ELNS1_11target_archE1100ELNS1_3gpuE3ELNS1_3repE0EEENS1_30default_config_static_selectorELNS0_4arch9wavefront6targetE0EEEvT1_.has_indirect_call, 0
	.section	.AMDGPU.csdata,"",@progbits
; Kernel info:
; codeLenInByte = 0
; TotalNumSgprs: 0
; NumVgprs: 0
; ScratchSize: 0
; MemoryBound: 0
; FloatMode: 240
; IeeeMode: 1
; LDSByteSize: 0 bytes/workgroup (compile time only)
; SGPRBlocks: 0
; VGPRBlocks: 0
; NumSGPRsForWavesPerEU: 1
; NumVGPRsForWavesPerEU: 1
; Occupancy: 16
; WaveLimiterHint : 0
; COMPUTE_PGM_RSRC2:SCRATCH_EN: 0
; COMPUTE_PGM_RSRC2:USER_SGPR: 2
; COMPUTE_PGM_RSRC2:TRAP_HANDLER: 0
; COMPUTE_PGM_RSRC2:TGID_X_EN: 1
; COMPUTE_PGM_RSRC2:TGID_Y_EN: 0
; COMPUTE_PGM_RSRC2:TGID_Z_EN: 0
; COMPUTE_PGM_RSRC2:TIDIG_COMP_CNT: 0
	.section	.text._ZN7rocprim17ROCPRIM_400000_NS6detail17trampoline_kernelINS0_14default_configENS1_25partition_config_selectorILNS1_17partition_subalgoE6EtNS0_10empty_typeEbEEZZNS1_14partition_implILS5_6ELb0ES3_mN6thrust23THRUST_200600_302600_NS6detail15normal_iteratorINSA_10device_ptrItEEEEPS6_SG_NS0_5tupleIJSF_S6_EEENSH_IJSG_SG_EEES6_PlJNSB_9not_fun_tINSB_14equal_to_valueItEEEEEEE10hipError_tPvRmT3_T4_T5_T6_T7_T9_mT8_P12ihipStream_tbDpT10_ENKUlT_T0_E_clISt17integral_constantIbLb1EES18_EEDaS13_S14_EUlS13_E_NS1_11comp_targetILNS1_3genE8ELNS1_11target_archE1030ELNS1_3gpuE2ELNS1_3repE0EEENS1_30default_config_static_selectorELNS0_4arch9wavefront6targetE0EEEvT1_,"axG",@progbits,_ZN7rocprim17ROCPRIM_400000_NS6detail17trampoline_kernelINS0_14default_configENS1_25partition_config_selectorILNS1_17partition_subalgoE6EtNS0_10empty_typeEbEEZZNS1_14partition_implILS5_6ELb0ES3_mN6thrust23THRUST_200600_302600_NS6detail15normal_iteratorINSA_10device_ptrItEEEEPS6_SG_NS0_5tupleIJSF_S6_EEENSH_IJSG_SG_EEES6_PlJNSB_9not_fun_tINSB_14equal_to_valueItEEEEEEE10hipError_tPvRmT3_T4_T5_T6_T7_T9_mT8_P12ihipStream_tbDpT10_ENKUlT_T0_E_clISt17integral_constantIbLb1EES18_EEDaS13_S14_EUlS13_E_NS1_11comp_targetILNS1_3genE8ELNS1_11target_archE1030ELNS1_3gpuE2ELNS1_3repE0EEENS1_30default_config_static_selectorELNS0_4arch9wavefront6targetE0EEEvT1_,comdat
	.protected	_ZN7rocprim17ROCPRIM_400000_NS6detail17trampoline_kernelINS0_14default_configENS1_25partition_config_selectorILNS1_17partition_subalgoE6EtNS0_10empty_typeEbEEZZNS1_14partition_implILS5_6ELb0ES3_mN6thrust23THRUST_200600_302600_NS6detail15normal_iteratorINSA_10device_ptrItEEEEPS6_SG_NS0_5tupleIJSF_S6_EEENSH_IJSG_SG_EEES6_PlJNSB_9not_fun_tINSB_14equal_to_valueItEEEEEEE10hipError_tPvRmT3_T4_T5_T6_T7_T9_mT8_P12ihipStream_tbDpT10_ENKUlT_T0_E_clISt17integral_constantIbLb1EES18_EEDaS13_S14_EUlS13_E_NS1_11comp_targetILNS1_3genE8ELNS1_11target_archE1030ELNS1_3gpuE2ELNS1_3repE0EEENS1_30default_config_static_selectorELNS0_4arch9wavefront6targetE0EEEvT1_ ; -- Begin function _ZN7rocprim17ROCPRIM_400000_NS6detail17trampoline_kernelINS0_14default_configENS1_25partition_config_selectorILNS1_17partition_subalgoE6EtNS0_10empty_typeEbEEZZNS1_14partition_implILS5_6ELb0ES3_mN6thrust23THRUST_200600_302600_NS6detail15normal_iteratorINSA_10device_ptrItEEEEPS6_SG_NS0_5tupleIJSF_S6_EEENSH_IJSG_SG_EEES6_PlJNSB_9not_fun_tINSB_14equal_to_valueItEEEEEEE10hipError_tPvRmT3_T4_T5_T6_T7_T9_mT8_P12ihipStream_tbDpT10_ENKUlT_T0_E_clISt17integral_constantIbLb1EES18_EEDaS13_S14_EUlS13_E_NS1_11comp_targetILNS1_3genE8ELNS1_11target_archE1030ELNS1_3gpuE2ELNS1_3repE0EEENS1_30default_config_static_selectorELNS0_4arch9wavefront6targetE0EEEvT1_
	.globl	_ZN7rocprim17ROCPRIM_400000_NS6detail17trampoline_kernelINS0_14default_configENS1_25partition_config_selectorILNS1_17partition_subalgoE6EtNS0_10empty_typeEbEEZZNS1_14partition_implILS5_6ELb0ES3_mN6thrust23THRUST_200600_302600_NS6detail15normal_iteratorINSA_10device_ptrItEEEEPS6_SG_NS0_5tupleIJSF_S6_EEENSH_IJSG_SG_EEES6_PlJNSB_9not_fun_tINSB_14equal_to_valueItEEEEEEE10hipError_tPvRmT3_T4_T5_T6_T7_T9_mT8_P12ihipStream_tbDpT10_ENKUlT_T0_E_clISt17integral_constantIbLb1EES18_EEDaS13_S14_EUlS13_E_NS1_11comp_targetILNS1_3genE8ELNS1_11target_archE1030ELNS1_3gpuE2ELNS1_3repE0EEENS1_30default_config_static_selectorELNS0_4arch9wavefront6targetE0EEEvT1_
	.p2align	8
	.type	_ZN7rocprim17ROCPRIM_400000_NS6detail17trampoline_kernelINS0_14default_configENS1_25partition_config_selectorILNS1_17partition_subalgoE6EtNS0_10empty_typeEbEEZZNS1_14partition_implILS5_6ELb0ES3_mN6thrust23THRUST_200600_302600_NS6detail15normal_iteratorINSA_10device_ptrItEEEEPS6_SG_NS0_5tupleIJSF_S6_EEENSH_IJSG_SG_EEES6_PlJNSB_9not_fun_tINSB_14equal_to_valueItEEEEEEE10hipError_tPvRmT3_T4_T5_T6_T7_T9_mT8_P12ihipStream_tbDpT10_ENKUlT_T0_E_clISt17integral_constantIbLb1EES18_EEDaS13_S14_EUlS13_E_NS1_11comp_targetILNS1_3genE8ELNS1_11target_archE1030ELNS1_3gpuE2ELNS1_3repE0EEENS1_30default_config_static_selectorELNS0_4arch9wavefront6targetE0EEEvT1_,@function
_ZN7rocprim17ROCPRIM_400000_NS6detail17trampoline_kernelINS0_14default_configENS1_25partition_config_selectorILNS1_17partition_subalgoE6EtNS0_10empty_typeEbEEZZNS1_14partition_implILS5_6ELb0ES3_mN6thrust23THRUST_200600_302600_NS6detail15normal_iteratorINSA_10device_ptrItEEEEPS6_SG_NS0_5tupleIJSF_S6_EEENSH_IJSG_SG_EEES6_PlJNSB_9not_fun_tINSB_14equal_to_valueItEEEEEEE10hipError_tPvRmT3_T4_T5_T6_T7_T9_mT8_P12ihipStream_tbDpT10_ENKUlT_T0_E_clISt17integral_constantIbLb1EES18_EEDaS13_S14_EUlS13_E_NS1_11comp_targetILNS1_3genE8ELNS1_11target_archE1030ELNS1_3gpuE2ELNS1_3repE0EEENS1_30default_config_static_selectorELNS0_4arch9wavefront6targetE0EEEvT1_: ; @_ZN7rocprim17ROCPRIM_400000_NS6detail17trampoline_kernelINS0_14default_configENS1_25partition_config_selectorILNS1_17partition_subalgoE6EtNS0_10empty_typeEbEEZZNS1_14partition_implILS5_6ELb0ES3_mN6thrust23THRUST_200600_302600_NS6detail15normal_iteratorINSA_10device_ptrItEEEEPS6_SG_NS0_5tupleIJSF_S6_EEENSH_IJSG_SG_EEES6_PlJNSB_9not_fun_tINSB_14equal_to_valueItEEEEEEE10hipError_tPvRmT3_T4_T5_T6_T7_T9_mT8_P12ihipStream_tbDpT10_ENKUlT_T0_E_clISt17integral_constantIbLb1EES18_EEDaS13_S14_EUlS13_E_NS1_11comp_targetILNS1_3genE8ELNS1_11target_archE1030ELNS1_3gpuE2ELNS1_3repE0EEENS1_30default_config_static_selectorELNS0_4arch9wavefront6targetE0EEEvT1_
; %bb.0:
	.section	.rodata,"a",@progbits
	.p2align	6, 0x0
	.amdhsa_kernel _ZN7rocprim17ROCPRIM_400000_NS6detail17trampoline_kernelINS0_14default_configENS1_25partition_config_selectorILNS1_17partition_subalgoE6EtNS0_10empty_typeEbEEZZNS1_14partition_implILS5_6ELb0ES3_mN6thrust23THRUST_200600_302600_NS6detail15normal_iteratorINSA_10device_ptrItEEEEPS6_SG_NS0_5tupleIJSF_S6_EEENSH_IJSG_SG_EEES6_PlJNSB_9not_fun_tINSB_14equal_to_valueItEEEEEEE10hipError_tPvRmT3_T4_T5_T6_T7_T9_mT8_P12ihipStream_tbDpT10_ENKUlT_T0_E_clISt17integral_constantIbLb1EES18_EEDaS13_S14_EUlS13_E_NS1_11comp_targetILNS1_3genE8ELNS1_11target_archE1030ELNS1_3gpuE2ELNS1_3repE0EEENS1_30default_config_static_selectorELNS0_4arch9wavefront6targetE0EEEvT1_
		.amdhsa_group_segment_fixed_size 0
		.amdhsa_private_segment_fixed_size 0
		.amdhsa_kernarg_size 128
		.amdhsa_user_sgpr_count 2
		.amdhsa_user_sgpr_dispatch_ptr 0
		.amdhsa_user_sgpr_queue_ptr 0
		.amdhsa_user_sgpr_kernarg_segment_ptr 1
		.amdhsa_user_sgpr_dispatch_id 0
		.amdhsa_user_sgpr_private_segment_size 0
		.amdhsa_wavefront_size32 1
		.amdhsa_uses_dynamic_stack 0
		.amdhsa_enable_private_segment 0
		.amdhsa_system_sgpr_workgroup_id_x 1
		.amdhsa_system_sgpr_workgroup_id_y 0
		.amdhsa_system_sgpr_workgroup_id_z 0
		.amdhsa_system_sgpr_workgroup_info 0
		.amdhsa_system_vgpr_workitem_id 0
		.amdhsa_next_free_vgpr 1
		.amdhsa_next_free_sgpr 1
		.amdhsa_reserve_vcc 0
		.amdhsa_float_round_mode_32 0
		.amdhsa_float_round_mode_16_64 0
		.amdhsa_float_denorm_mode_32 3
		.amdhsa_float_denorm_mode_16_64 3
		.amdhsa_fp16_overflow 0
		.amdhsa_workgroup_processor_mode 1
		.amdhsa_memory_ordered 1
		.amdhsa_forward_progress 1
		.amdhsa_inst_pref_size 0
		.amdhsa_round_robin_scheduling 0
		.amdhsa_exception_fp_ieee_invalid_op 0
		.amdhsa_exception_fp_denorm_src 0
		.amdhsa_exception_fp_ieee_div_zero 0
		.amdhsa_exception_fp_ieee_overflow 0
		.amdhsa_exception_fp_ieee_underflow 0
		.amdhsa_exception_fp_ieee_inexact 0
		.amdhsa_exception_int_div_zero 0
	.end_amdhsa_kernel
	.section	.text._ZN7rocprim17ROCPRIM_400000_NS6detail17trampoline_kernelINS0_14default_configENS1_25partition_config_selectorILNS1_17partition_subalgoE6EtNS0_10empty_typeEbEEZZNS1_14partition_implILS5_6ELb0ES3_mN6thrust23THRUST_200600_302600_NS6detail15normal_iteratorINSA_10device_ptrItEEEEPS6_SG_NS0_5tupleIJSF_S6_EEENSH_IJSG_SG_EEES6_PlJNSB_9not_fun_tINSB_14equal_to_valueItEEEEEEE10hipError_tPvRmT3_T4_T5_T6_T7_T9_mT8_P12ihipStream_tbDpT10_ENKUlT_T0_E_clISt17integral_constantIbLb1EES18_EEDaS13_S14_EUlS13_E_NS1_11comp_targetILNS1_3genE8ELNS1_11target_archE1030ELNS1_3gpuE2ELNS1_3repE0EEENS1_30default_config_static_selectorELNS0_4arch9wavefront6targetE0EEEvT1_,"axG",@progbits,_ZN7rocprim17ROCPRIM_400000_NS6detail17trampoline_kernelINS0_14default_configENS1_25partition_config_selectorILNS1_17partition_subalgoE6EtNS0_10empty_typeEbEEZZNS1_14partition_implILS5_6ELb0ES3_mN6thrust23THRUST_200600_302600_NS6detail15normal_iteratorINSA_10device_ptrItEEEEPS6_SG_NS0_5tupleIJSF_S6_EEENSH_IJSG_SG_EEES6_PlJNSB_9not_fun_tINSB_14equal_to_valueItEEEEEEE10hipError_tPvRmT3_T4_T5_T6_T7_T9_mT8_P12ihipStream_tbDpT10_ENKUlT_T0_E_clISt17integral_constantIbLb1EES18_EEDaS13_S14_EUlS13_E_NS1_11comp_targetILNS1_3genE8ELNS1_11target_archE1030ELNS1_3gpuE2ELNS1_3repE0EEENS1_30default_config_static_selectorELNS0_4arch9wavefront6targetE0EEEvT1_,comdat
.Lfunc_end420:
	.size	_ZN7rocprim17ROCPRIM_400000_NS6detail17trampoline_kernelINS0_14default_configENS1_25partition_config_selectorILNS1_17partition_subalgoE6EtNS0_10empty_typeEbEEZZNS1_14partition_implILS5_6ELb0ES3_mN6thrust23THRUST_200600_302600_NS6detail15normal_iteratorINSA_10device_ptrItEEEEPS6_SG_NS0_5tupleIJSF_S6_EEENSH_IJSG_SG_EEES6_PlJNSB_9not_fun_tINSB_14equal_to_valueItEEEEEEE10hipError_tPvRmT3_T4_T5_T6_T7_T9_mT8_P12ihipStream_tbDpT10_ENKUlT_T0_E_clISt17integral_constantIbLb1EES18_EEDaS13_S14_EUlS13_E_NS1_11comp_targetILNS1_3genE8ELNS1_11target_archE1030ELNS1_3gpuE2ELNS1_3repE0EEENS1_30default_config_static_selectorELNS0_4arch9wavefront6targetE0EEEvT1_, .Lfunc_end420-_ZN7rocprim17ROCPRIM_400000_NS6detail17trampoline_kernelINS0_14default_configENS1_25partition_config_selectorILNS1_17partition_subalgoE6EtNS0_10empty_typeEbEEZZNS1_14partition_implILS5_6ELb0ES3_mN6thrust23THRUST_200600_302600_NS6detail15normal_iteratorINSA_10device_ptrItEEEEPS6_SG_NS0_5tupleIJSF_S6_EEENSH_IJSG_SG_EEES6_PlJNSB_9not_fun_tINSB_14equal_to_valueItEEEEEEE10hipError_tPvRmT3_T4_T5_T6_T7_T9_mT8_P12ihipStream_tbDpT10_ENKUlT_T0_E_clISt17integral_constantIbLb1EES18_EEDaS13_S14_EUlS13_E_NS1_11comp_targetILNS1_3genE8ELNS1_11target_archE1030ELNS1_3gpuE2ELNS1_3repE0EEENS1_30default_config_static_selectorELNS0_4arch9wavefront6targetE0EEEvT1_
                                        ; -- End function
	.set _ZN7rocprim17ROCPRIM_400000_NS6detail17trampoline_kernelINS0_14default_configENS1_25partition_config_selectorILNS1_17partition_subalgoE6EtNS0_10empty_typeEbEEZZNS1_14partition_implILS5_6ELb0ES3_mN6thrust23THRUST_200600_302600_NS6detail15normal_iteratorINSA_10device_ptrItEEEEPS6_SG_NS0_5tupleIJSF_S6_EEENSH_IJSG_SG_EEES6_PlJNSB_9not_fun_tINSB_14equal_to_valueItEEEEEEE10hipError_tPvRmT3_T4_T5_T6_T7_T9_mT8_P12ihipStream_tbDpT10_ENKUlT_T0_E_clISt17integral_constantIbLb1EES18_EEDaS13_S14_EUlS13_E_NS1_11comp_targetILNS1_3genE8ELNS1_11target_archE1030ELNS1_3gpuE2ELNS1_3repE0EEENS1_30default_config_static_selectorELNS0_4arch9wavefront6targetE0EEEvT1_.num_vgpr, 0
	.set _ZN7rocprim17ROCPRIM_400000_NS6detail17trampoline_kernelINS0_14default_configENS1_25partition_config_selectorILNS1_17partition_subalgoE6EtNS0_10empty_typeEbEEZZNS1_14partition_implILS5_6ELb0ES3_mN6thrust23THRUST_200600_302600_NS6detail15normal_iteratorINSA_10device_ptrItEEEEPS6_SG_NS0_5tupleIJSF_S6_EEENSH_IJSG_SG_EEES6_PlJNSB_9not_fun_tINSB_14equal_to_valueItEEEEEEE10hipError_tPvRmT3_T4_T5_T6_T7_T9_mT8_P12ihipStream_tbDpT10_ENKUlT_T0_E_clISt17integral_constantIbLb1EES18_EEDaS13_S14_EUlS13_E_NS1_11comp_targetILNS1_3genE8ELNS1_11target_archE1030ELNS1_3gpuE2ELNS1_3repE0EEENS1_30default_config_static_selectorELNS0_4arch9wavefront6targetE0EEEvT1_.num_agpr, 0
	.set _ZN7rocprim17ROCPRIM_400000_NS6detail17trampoline_kernelINS0_14default_configENS1_25partition_config_selectorILNS1_17partition_subalgoE6EtNS0_10empty_typeEbEEZZNS1_14partition_implILS5_6ELb0ES3_mN6thrust23THRUST_200600_302600_NS6detail15normal_iteratorINSA_10device_ptrItEEEEPS6_SG_NS0_5tupleIJSF_S6_EEENSH_IJSG_SG_EEES6_PlJNSB_9not_fun_tINSB_14equal_to_valueItEEEEEEE10hipError_tPvRmT3_T4_T5_T6_T7_T9_mT8_P12ihipStream_tbDpT10_ENKUlT_T0_E_clISt17integral_constantIbLb1EES18_EEDaS13_S14_EUlS13_E_NS1_11comp_targetILNS1_3genE8ELNS1_11target_archE1030ELNS1_3gpuE2ELNS1_3repE0EEENS1_30default_config_static_selectorELNS0_4arch9wavefront6targetE0EEEvT1_.numbered_sgpr, 0
	.set _ZN7rocprim17ROCPRIM_400000_NS6detail17trampoline_kernelINS0_14default_configENS1_25partition_config_selectorILNS1_17partition_subalgoE6EtNS0_10empty_typeEbEEZZNS1_14partition_implILS5_6ELb0ES3_mN6thrust23THRUST_200600_302600_NS6detail15normal_iteratorINSA_10device_ptrItEEEEPS6_SG_NS0_5tupleIJSF_S6_EEENSH_IJSG_SG_EEES6_PlJNSB_9not_fun_tINSB_14equal_to_valueItEEEEEEE10hipError_tPvRmT3_T4_T5_T6_T7_T9_mT8_P12ihipStream_tbDpT10_ENKUlT_T0_E_clISt17integral_constantIbLb1EES18_EEDaS13_S14_EUlS13_E_NS1_11comp_targetILNS1_3genE8ELNS1_11target_archE1030ELNS1_3gpuE2ELNS1_3repE0EEENS1_30default_config_static_selectorELNS0_4arch9wavefront6targetE0EEEvT1_.num_named_barrier, 0
	.set _ZN7rocprim17ROCPRIM_400000_NS6detail17trampoline_kernelINS0_14default_configENS1_25partition_config_selectorILNS1_17partition_subalgoE6EtNS0_10empty_typeEbEEZZNS1_14partition_implILS5_6ELb0ES3_mN6thrust23THRUST_200600_302600_NS6detail15normal_iteratorINSA_10device_ptrItEEEEPS6_SG_NS0_5tupleIJSF_S6_EEENSH_IJSG_SG_EEES6_PlJNSB_9not_fun_tINSB_14equal_to_valueItEEEEEEE10hipError_tPvRmT3_T4_T5_T6_T7_T9_mT8_P12ihipStream_tbDpT10_ENKUlT_T0_E_clISt17integral_constantIbLb1EES18_EEDaS13_S14_EUlS13_E_NS1_11comp_targetILNS1_3genE8ELNS1_11target_archE1030ELNS1_3gpuE2ELNS1_3repE0EEENS1_30default_config_static_selectorELNS0_4arch9wavefront6targetE0EEEvT1_.private_seg_size, 0
	.set _ZN7rocprim17ROCPRIM_400000_NS6detail17trampoline_kernelINS0_14default_configENS1_25partition_config_selectorILNS1_17partition_subalgoE6EtNS0_10empty_typeEbEEZZNS1_14partition_implILS5_6ELb0ES3_mN6thrust23THRUST_200600_302600_NS6detail15normal_iteratorINSA_10device_ptrItEEEEPS6_SG_NS0_5tupleIJSF_S6_EEENSH_IJSG_SG_EEES6_PlJNSB_9not_fun_tINSB_14equal_to_valueItEEEEEEE10hipError_tPvRmT3_T4_T5_T6_T7_T9_mT8_P12ihipStream_tbDpT10_ENKUlT_T0_E_clISt17integral_constantIbLb1EES18_EEDaS13_S14_EUlS13_E_NS1_11comp_targetILNS1_3genE8ELNS1_11target_archE1030ELNS1_3gpuE2ELNS1_3repE0EEENS1_30default_config_static_selectorELNS0_4arch9wavefront6targetE0EEEvT1_.uses_vcc, 0
	.set _ZN7rocprim17ROCPRIM_400000_NS6detail17trampoline_kernelINS0_14default_configENS1_25partition_config_selectorILNS1_17partition_subalgoE6EtNS0_10empty_typeEbEEZZNS1_14partition_implILS5_6ELb0ES3_mN6thrust23THRUST_200600_302600_NS6detail15normal_iteratorINSA_10device_ptrItEEEEPS6_SG_NS0_5tupleIJSF_S6_EEENSH_IJSG_SG_EEES6_PlJNSB_9not_fun_tINSB_14equal_to_valueItEEEEEEE10hipError_tPvRmT3_T4_T5_T6_T7_T9_mT8_P12ihipStream_tbDpT10_ENKUlT_T0_E_clISt17integral_constantIbLb1EES18_EEDaS13_S14_EUlS13_E_NS1_11comp_targetILNS1_3genE8ELNS1_11target_archE1030ELNS1_3gpuE2ELNS1_3repE0EEENS1_30default_config_static_selectorELNS0_4arch9wavefront6targetE0EEEvT1_.uses_flat_scratch, 0
	.set _ZN7rocprim17ROCPRIM_400000_NS6detail17trampoline_kernelINS0_14default_configENS1_25partition_config_selectorILNS1_17partition_subalgoE6EtNS0_10empty_typeEbEEZZNS1_14partition_implILS5_6ELb0ES3_mN6thrust23THRUST_200600_302600_NS6detail15normal_iteratorINSA_10device_ptrItEEEEPS6_SG_NS0_5tupleIJSF_S6_EEENSH_IJSG_SG_EEES6_PlJNSB_9not_fun_tINSB_14equal_to_valueItEEEEEEE10hipError_tPvRmT3_T4_T5_T6_T7_T9_mT8_P12ihipStream_tbDpT10_ENKUlT_T0_E_clISt17integral_constantIbLb1EES18_EEDaS13_S14_EUlS13_E_NS1_11comp_targetILNS1_3genE8ELNS1_11target_archE1030ELNS1_3gpuE2ELNS1_3repE0EEENS1_30default_config_static_selectorELNS0_4arch9wavefront6targetE0EEEvT1_.has_dyn_sized_stack, 0
	.set _ZN7rocprim17ROCPRIM_400000_NS6detail17trampoline_kernelINS0_14default_configENS1_25partition_config_selectorILNS1_17partition_subalgoE6EtNS0_10empty_typeEbEEZZNS1_14partition_implILS5_6ELb0ES3_mN6thrust23THRUST_200600_302600_NS6detail15normal_iteratorINSA_10device_ptrItEEEEPS6_SG_NS0_5tupleIJSF_S6_EEENSH_IJSG_SG_EEES6_PlJNSB_9not_fun_tINSB_14equal_to_valueItEEEEEEE10hipError_tPvRmT3_T4_T5_T6_T7_T9_mT8_P12ihipStream_tbDpT10_ENKUlT_T0_E_clISt17integral_constantIbLb1EES18_EEDaS13_S14_EUlS13_E_NS1_11comp_targetILNS1_3genE8ELNS1_11target_archE1030ELNS1_3gpuE2ELNS1_3repE0EEENS1_30default_config_static_selectorELNS0_4arch9wavefront6targetE0EEEvT1_.has_recursion, 0
	.set _ZN7rocprim17ROCPRIM_400000_NS6detail17trampoline_kernelINS0_14default_configENS1_25partition_config_selectorILNS1_17partition_subalgoE6EtNS0_10empty_typeEbEEZZNS1_14partition_implILS5_6ELb0ES3_mN6thrust23THRUST_200600_302600_NS6detail15normal_iteratorINSA_10device_ptrItEEEEPS6_SG_NS0_5tupleIJSF_S6_EEENSH_IJSG_SG_EEES6_PlJNSB_9not_fun_tINSB_14equal_to_valueItEEEEEEE10hipError_tPvRmT3_T4_T5_T6_T7_T9_mT8_P12ihipStream_tbDpT10_ENKUlT_T0_E_clISt17integral_constantIbLb1EES18_EEDaS13_S14_EUlS13_E_NS1_11comp_targetILNS1_3genE8ELNS1_11target_archE1030ELNS1_3gpuE2ELNS1_3repE0EEENS1_30default_config_static_selectorELNS0_4arch9wavefront6targetE0EEEvT1_.has_indirect_call, 0
	.section	.AMDGPU.csdata,"",@progbits
; Kernel info:
; codeLenInByte = 0
; TotalNumSgprs: 0
; NumVgprs: 0
; ScratchSize: 0
; MemoryBound: 0
; FloatMode: 240
; IeeeMode: 1
; LDSByteSize: 0 bytes/workgroup (compile time only)
; SGPRBlocks: 0
; VGPRBlocks: 0
; NumSGPRsForWavesPerEU: 1
; NumVGPRsForWavesPerEU: 1
; Occupancy: 16
; WaveLimiterHint : 0
; COMPUTE_PGM_RSRC2:SCRATCH_EN: 0
; COMPUTE_PGM_RSRC2:USER_SGPR: 2
; COMPUTE_PGM_RSRC2:TRAP_HANDLER: 0
; COMPUTE_PGM_RSRC2:TGID_X_EN: 1
; COMPUTE_PGM_RSRC2:TGID_Y_EN: 0
; COMPUTE_PGM_RSRC2:TGID_Z_EN: 0
; COMPUTE_PGM_RSRC2:TIDIG_COMP_CNT: 0
	.section	.text._ZN7rocprim17ROCPRIM_400000_NS6detail17trampoline_kernelINS0_14default_configENS1_25partition_config_selectorILNS1_17partition_subalgoE6EtNS0_10empty_typeEbEEZZNS1_14partition_implILS5_6ELb0ES3_mN6thrust23THRUST_200600_302600_NS6detail15normal_iteratorINSA_10device_ptrItEEEEPS6_SG_NS0_5tupleIJSF_S6_EEENSH_IJSG_SG_EEES6_PlJNSB_9not_fun_tINSB_14equal_to_valueItEEEEEEE10hipError_tPvRmT3_T4_T5_T6_T7_T9_mT8_P12ihipStream_tbDpT10_ENKUlT_T0_E_clISt17integral_constantIbLb1EES17_IbLb0EEEEDaS13_S14_EUlS13_E_NS1_11comp_targetILNS1_3genE0ELNS1_11target_archE4294967295ELNS1_3gpuE0ELNS1_3repE0EEENS1_30default_config_static_selectorELNS0_4arch9wavefront6targetE0EEEvT1_,"axG",@progbits,_ZN7rocprim17ROCPRIM_400000_NS6detail17trampoline_kernelINS0_14default_configENS1_25partition_config_selectorILNS1_17partition_subalgoE6EtNS0_10empty_typeEbEEZZNS1_14partition_implILS5_6ELb0ES3_mN6thrust23THRUST_200600_302600_NS6detail15normal_iteratorINSA_10device_ptrItEEEEPS6_SG_NS0_5tupleIJSF_S6_EEENSH_IJSG_SG_EEES6_PlJNSB_9not_fun_tINSB_14equal_to_valueItEEEEEEE10hipError_tPvRmT3_T4_T5_T6_T7_T9_mT8_P12ihipStream_tbDpT10_ENKUlT_T0_E_clISt17integral_constantIbLb1EES17_IbLb0EEEEDaS13_S14_EUlS13_E_NS1_11comp_targetILNS1_3genE0ELNS1_11target_archE4294967295ELNS1_3gpuE0ELNS1_3repE0EEENS1_30default_config_static_selectorELNS0_4arch9wavefront6targetE0EEEvT1_,comdat
	.protected	_ZN7rocprim17ROCPRIM_400000_NS6detail17trampoline_kernelINS0_14default_configENS1_25partition_config_selectorILNS1_17partition_subalgoE6EtNS0_10empty_typeEbEEZZNS1_14partition_implILS5_6ELb0ES3_mN6thrust23THRUST_200600_302600_NS6detail15normal_iteratorINSA_10device_ptrItEEEEPS6_SG_NS0_5tupleIJSF_S6_EEENSH_IJSG_SG_EEES6_PlJNSB_9not_fun_tINSB_14equal_to_valueItEEEEEEE10hipError_tPvRmT3_T4_T5_T6_T7_T9_mT8_P12ihipStream_tbDpT10_ENKUlT_T0_E_clISt17integral_constantIbLb1EES17_IbLb0EEEEDaS13_S14_EUlS13_E_NS1_11comp_targetILNS1_3genE0ELNS1_11target_archE4294967295ELNS1_3gpuE0ELNS1_3repE0EEENS1_30default_config_static_selectorELNS0_4arch9wavefront6targetE0EEEvT1_ ; -- Begin function _ZN7rocprim17ROCPRIM_400000_NS6detail17trampoline_kernelINS0_14default_configENS1_25partition_config_selectorILNS1_17partition_subalgoE6EtNS0_10empty_typeEbEEZZNS1_14partition_implILS5_6ELb0ES3_mN6thrust23THRUST_200600_302600_NS6detail15normal_iteratorINSA_10device_ptrItEEEEPS6_SG_NS0_5tupleIJSF_S6_EEENSH_IJSG_SG_EEES6_PlJNSB_9not_fun_tINSB_14equal_to_valueItEEEEEEE10hipError_tPvRmT3_T4_T5_T6_T7_T9_mT8_P12ihipStream_tbDpT10_ENKUlT_T0_E_clISt17integral_constantIbLb1EES17_IbLb0EEEEDaS13_S14_EUlS13_E_NS1_11comp_targetILNS1_3genE0ELNS1_11target_archE4294967295ELNS1_3gpuE0ELNS1_3repE0EEENS1_30default_config_static_selectorELNS0_4arch9wavefront6targetE0EEEvT1_
	.globl	_ZN7rocprim17ROCPRIM_400000_NS6detail17trampoline_kernelINS0_14default_configENS1_25partition_config_selectorILNS1_17partition_subalgoE6EtNS0_10empty_typeEbEEZZNS1_14partition_implILS5_6ELb0ES3_mN6thrust23THRUST_200600_302600_NS6detail15normal_iteratorINSA_10device_ptrItEEEEPS6_SG_NS0_5tupleIJSF_S6_EEENSH_IJSG_SG_EEES6_PlJNSB_9not_fun_tINSB_14equal_to_valueItEEEEEEE10hipError_tPvRmT3_T4_T5_T6_T7_T9_mT8_P12ihipStream_tbDpT10_ENKUlT_T0_E_clISt17integral_constantIbLb1EES17_IbLb0EEEEDaS13_S14_EUlS13_E_NS1_11comp_targetILNS1_3genE0ELNS1_11target_archE4294967295ELNS1_3gpuE0ELNS1_3repE0EEENS1_30default_config_static_selectorELNS0_4arch9wavefront6targetE0EEEvT1_
	.p2align	8
	.type	_ZN7rocprim17ROCPRIM_400000_NS6detail17trampoline_kernelINS0_14default_configENS1_25partition_config_selectorILNS1_17partition_subalgoE6EtNS0_10empty_typeEbEEZZNS1_14partition_implILS5_6ELb0ES3_mN6thrust23THRUST_200600_302600_NS6detail15normal_iteratorINSA_10device_ptrItEEEEPS6_SG_NS0_5tupleIJSF_S6_EEENSH_IJSG_SG_EEES6_PlJNSB_9not_fun_tINSB_14equal_to_valueItEEEEEEE10hipError_tPvRmT3_T4_T5_T6_T7_T9_mT8_P12ihipStream_tbDpT10_ENKUlT_T0_E_clISt17integral_constantIbLb1EES17_IbLb0EEEEDaS13_S14_EUlS13_E_NS1_11comp_targetILNS1_3genE0ELNS1_11target_archE4294967295ELNS1_3gpuE0ELNS1_3repE0EEENS1_30default_config_static_selectorELNS0_4arch9wavefront6targetE0EEEvT1_,@function
_ZN7rocprim17ROCPRIM_400000_NS6detail17trampoline_kernelINS0_14default_configENS1_25partition_config_selectorILNS1_17partition_subalgoE6EtNS0_10empty_typeEbEEZZNS1_14partition_implILS5_6ELb0ES3_mN6thrust23THRUST_200600_302600_NS6detail15normal_iteratorINSA_10device_ptrItEEEEPS6_SG_NS0_5tupleIJSF_S6_EEENSH_IJSG_SG_EEES6_PlJNSB_9not_fun_tINSB_14equal_to_valueItEEEEEEE10hipError_tPvRmT3_T4_T5_T6_T7_T9_mT8_P12ihipStream_tbDpT10_ENKUlT_T0_E_clISt17integral_constantIbLb1EES17_IbLb0EEEEDaS13_S14_EUlS13_E_NS1_11comp_targetILNS1_3genE0ELNS1_11target_archE4294967295ELNS1_3gpuE0ELNS1_3repE0EEENS1_30default_config_static_selectorELNS0_4arch9wavefront6targetE0EEEvT1_: ; @_ZN7rocprim17ROCPRIM_400000_NS6detail17trampoline_kernelINS0_14default_configENS1_25partition_config_selectorILNS1_17partition_subalgoE6EtNS0_10empty_typeEbEEZZNS1_14partition_implILS5_6ELb0ES3_mN6thrust23THRUST_200600_302600_NS6detail15normal_iteratorINSA_10device_ptrItEEEEPS6_SG_NS0_5tupleIJSF_S6_EEENSH_IJSG_SG_EEES6_PlJNSB_9not_fun_tINSB_14equal_to_valueItEEEEEEE10hipError_tPvRmT3_T4_T5_T6_T7_T9_mT8_P12ihipStream_tbDpT10_ENKUlT_T0_E_clISt17integral_constantIbLb1EES17_IbLb0EEEEDaS13_S14_EUlS13_E_NS1_11comp_targetILNS1_3genE0ELNS1_11target_archE4294967295ELNS1_3gpuE0ELNS1_3repE0EEENS1_30default_config_static_selectorELNS0_4arch9wavefront6targetE0EEEvT1_
; %bb.0:
	.section	.rodata,"a",@progbits
	.p2align	6, 0x0
	.amdhsa_kernel _ZN7rocprim17ROCPRIM_400000_NS6detail17trampoline_kernelINS0_14default_configENS1_25partition_config_selectorILNS1_17partition_subalgoE6EtNS0_10empty_typeEbEEZZNS1_14partition_implILS5_6ELb0ES3_mN6thrust23THRUST_200600_302600_NS6detail15normal_iteratorINSA_10device_ptrItEEEEPS6_SG_NS0_5tupleIJSF_S6_EEENSH_IJSG_SG_EEES6_PlJNSB_9not_fun_tINSB_14equal_to_valueItEEEEEEE10hipError_tPvRmT3_T4_T5_T6_T7_T9_mT8_P12ihipStream_tbDpT10_ENKUlT_T0_E_clISt17integral_constantIbLb1EES17_IbLb0EEEEDaS13_S14_EUlS13_E_NS1_11comp_targetILNS1_3genE0ELNS1_11target_archE4294967295ELNS1_3gpuE0ELNS1_3repE0EEENS1_30default_config_static_selectorELNS0_4arch9wavefront6targetE0EEEvT1_
		.amdhsa_group_segment_fixed_size 0
		.amdhsa_private_segment_fixed_size 0
		.amdhsa_kernarg_size 112
		.amdhsa_user_sgpr_count 2
		.amdhsa_user_sgpr_dispatch_ptr 0
		.amdhsa_user_sgpr_queue_ptr 0
		.amdhsa_user_sgpr_kernarg_segment_ptr 1
		.amdhsa_user_sgpr_dispatch_id 0
		.amdhsa_user_sgpr_private_segment_size 0
		.amdhsa_wavefront_size32 1
		.amdhsa_uses_dynamic_stack 0
		.amdhsa_enable_private_segment 0
		.amdhsa_system_sgpr_workgroup_id_x 1
		.amdhsa_system_sgpr_workgroup_id_y 0
		.amdhsa_system_sgpr_workgroup_id_z 0
		.amdhsa_system_sgpr_workgroup_info 0
		.amdhsa_system_vgpr_workitem_id 0
		.amdhsa_next_free_vgpr 1
		.amdhsa_next_free_sgpr 1
		.amdhsa_reserve_vcc 0
		.amdhsa_float_round_mode_32 0
		.amdhsa_float_round_mode_16_64 0
		.amdhsa_float_denorm_mode_32 3
		.amdhsa_float_denorm_mode_16_64 3
		.amdhsa_fp16_overflow 0
		.amdhsa_workgroup_processor_mode 1
		.amdhsa_memory_ordered 1
		.amdhsa_forward_progress 1
		.amdhsa_inst_pref_size 0
		.amdhsa_round_robin_scheduling 0
		.amdhsa_exception_fp_ieee_invalid_op 0
		.amdhsa_exception_fp_denorm_src 0
		.amdhsa_exception_fp_ieee_div_zero 0
		.amdhsa_exception_fp_ieee_overflow 0
		.amdhsa_exception_fp_ieee_underflow 0
		.amdhsa_exception_fp_ieee_inexact 0
		.amdhsa_exception_int_div_zero 0
	.end_amdhsa_kernel
	.section	.text._ZN7rocprim17ROCPRIM_400000_NS6detail17trampoline_kernelINS0_14default_configENS1_25partition_config_selectorILNS1_17partition_subalgoE6EtNS0_10empty_typeEbEEZZNS1_14partition_implILS5_6ELb0ES3_mN6thrust23THRUST_200600_302600_NS6detail15normal_iteratorINSA_10device_ptrItEEEEPS6_SG_NS0_5tupleIJSF_S6_EEENSH_IJSG_SG_EEES6_PlJNSB_9not_fun_tINSB_14equal_to_valueItEEEEEEE10hipError_tPvRmT3_T4_T5_T6_T7_T9_mT8_P12ihipStream_tbDpT10_ENKUlT_T0_E_clISt17integral_constantIbLb1EES17_IbLb0EEEEDaS13_S14_EUlS13_E_NS1_11comp_targetILNS1_3genE0ELNS1_11target_archE4294967295ELNS1_3gpuE0ELNS1_3repE0EEENS1_30default_config_static_selectorELNS0_4arch9wavefront6targetE0EEEvT1_,"axG",@progbits,_ZN7rocprim17ROCPRIM_400000_NS6detail17trampoline_kernelINS0_14default_configENS1_25partition_config_selectorILNS1_17partition_subalgoE6EtNS0_10empty_typeEbEEZZNS1_14partition_implILS5_6ELb0ES3_mN6thrust23THRUST_200600_302600_NS6detail15normal_iteratorINSA_10device_ptrItEEEEPS6_SG_NS0_5tupleIJSF_S6_EEENSH_IJSG_SG_EEES6_PlJNSB_9not_fun_tINSB_14equal_to_valueItEEEEEEE10hipError_tPvRmT3_T4_T5_T6_T7_T9_mT8_P12ihipStream_tbDpT10_ENKUlT_T0_E_clISt17integral_constantIbLb1EES17_IbLb0EEEEDaS13_S14_EUlS13_E_NS1_11comp_targetILNS1_3genE0ELNS1_11target_archE4294967295ELNS1_3gpuE0ELNS1_3repE0EEENS1_30default_config_static_selectorELNS0_4arch9wavefront6targetE0EEEvT1_,comdat
.Lfunc_end421:
	.size	_ZN7rocprim17ROCPRIM_400000_NS6detail17trampoline_kernelINS0_14default_configENS1_25partition_config_selectorILNS1_17partition_subalgoE6EtNS0_10empty_typeEbEEZZNS1_14partition_implILS5_6ELb0ES3_mN6thrust23THRUST_200600_302600_NS6detail15normal_iteratorINSA_10device_ptrItEEEEPS6_SG_NS0_5tupleIJSF_S6_EEENSH_IJSG_SG_EEES6_PlJNSB_9not_fun_tINSB_14equal_to_valueItEEEEEEE10hipError_tPvRmT3_T4_T5_T6_T7_T9_mT8_P12ihipStream_tbDpT10_ENKUlT_T0_E_clISt17integral_constantIbLb1EES17_IbLb0EEEEDaS13_S14_EUlS13_E_NS1_11comp_targetILNS1_3genE0ELNS1_11target_archE4294967295ELNS1_3gpuE0ELNS1_3repE0EEENS1_30default_config_static_selectorELNS0_4arch9wavefront6targetE0EEEvT1_, .Lfunc_end421-_ZN7rocprim17ROCPRIM_400000_NS6detail17trampoline_kernelINS0_14default_configENS1_25partition_config_selectorILNS1_17partition_subalgoE6EtNS0_10empty_typeEbEEZZNS1_14partition_implILS5_6ELb0ES3_mN6thrust23THRUST_200600_302600_NS6detail15normal_iteratorINSA_10device_ptrItEEEEPS6_SG_NS0_5tupleIJSF_S6_EEENSH_IJSG_SG_EEES6_PlJNSB_9not_fun_tINSB_14equal_to_valueItEEEEEEE10hipError_tPvRmT3_T4_T5_T6_T7_T9_mT8_P12ihipStream_tbDpT10_ENKUlT_T0_E_clISt17integral_constantIbLb1EES17_IbLb0EEEEDaS13_S14_EUlS13_E_NS1_11comp_targetILNS1_3genE0ELNS1_11target_archE4294967295ELNS1_3gpuE0ELNS1_3repE0EEENS1_30default_config_static_selectorELNS0_4arch9wavefront6targetE0EEEvT1_
                                        ; -- End function
	.set _ZN7rocprim17ROCPRIM_400000_NS6detail17trampoline_kernelINS0_14default_configENS1_25partition_config_selectorILNS1_17partition_subalgoE6EtNS0_10empty_typeEbEEZZNS1_14partition_implILS5_6ELb0ES3_mN6thrust23THRUST_200600_302600_NS6detail15normal_iteratorINSA_10device_ptrItEEEEPS6_SG_NS0_5tupleIJSF_S6_EEENSH_IJSG_SG_EEES6_PlJNSB_9not_fun_tINSB_14equal_to_valueItEEEEEEE10hipError_tPvRmT3_T4_T5_T6_T7_T9_mT8_P12ihipStream_tbDpT10_ENKUlT_T0_E_clISt17integral_constantIbLb1EES17_IbLb0EEEEDaS13_S14_EUlS13_E_NS1_11comp_targetILNS1_3genE0ELNS1_11target_archE4294967295ELNS1_3gpuE0ELNS1_3repE0EEENS1_30default_config_static_selectorELNS0_4arch9wavefront6targetE0EEEvT1_.num_vgpr, 0
	.set _ZN7rocprim17ROCPRIM_400000_NS6detail17trampoline_kernelINS0_14default_configENS1_25partition_config_selectorILNS1_17partition_subalgoE6EtNS0_10empty_typeEbEEZZNS1_14partition_implILS5_6ELb0ES3_mN6thrust23THRUST_200600_302600_NS6detail15normal_iteratorINSA_10device_ptrItEEEEPS6_SG_NS0_5tupleIJSF_S6_EEENSH_IJSG_SG_EEES6_PlJNSB_9not_fun_tINSB_14equal_to_valueItEEEEEEE10hipError_tPvRmT3_T4_T5_T6_T7_T9_mT8_P12ihipStream_tbDpT10_ENKUlT_T0_E_clISt17integral_constantIbLb1EES17_IbLb0EEEEDaS13_S14_EUlS13_E_NS1_11comp_targetILNS1_3genE0ELNS1_11target_archE4294967295ELNS1_3gpuE0ELNS1_3repE0EEENS1_30default_config_static_selectorELNS0_4arch9wavefront6targetE0EEEvT1_.num_agpr, 0
	.set _ZN7rocprim17ROCPRIM_400000_NS6detail17trampoline_kernelINS0_14default_configENS1_25partition_config_selectorILNS1_17partition_subalgoE6EtNS0_10empty_typeEbEEZZNS1_14partition_implILS5_6ELb0ES3_mN6thrust23THRUST_200600_302600_NS6detail15normal_iteratorINSA_10device_ptrItEEEEPS6_SG_NS0_5tupleIJSF_S6_EEENSH_IJSG_SG_EEES6_PlJNSB_9not_fun_tINSB_14equal_to_valueItEEEEEEE10hipError_tPvRmT3_T4_T5_T6_T7_T9_mT8_P12ihipStream_tbDpT10_ENKUlT_T0_E_clISt17integral_constantIbLb1EES17_IbLb0EEEEDaS13_S14_EUlS13_E_NS1_11comp_targetILNS1_3genE0ELNS1_11target_archE4294967295ELNS1_3gpuE0ELNS1_3repE0EEENS1_30default_config_static_selectorELNS0_4arch9wavefront6targetE0EEEvT1_.numbered_sgpr, 0
	.set _ZN7rocprim17ROCPRIM_400000_NS6detail17trampoline_kernelINS0_14default_configENS1_25partition_config_selectorILNS1_17partition_subalgoE6EtNS0_10empty_typeEbEEZZNS1_14partition_implILS5_6ELb0ES3_mN6thrust23THRUST_200600_302600_NS6detail15normal_iteratorINSA_10device_ptrItEEEEPS6_SG_NS0_5tupleIJSF_S6_EEENSH_IJSG_SG_EEES6_PlJNSB_9not_fun_tINSB_14equal_to_valueItEEEEEEE10hipError_tPvRmT3_T4_T5_T6_T7_T9_mT8_P12ihipStream_tbDpT10_ENKUlT_T0_E_clISt17integral_constantIbLb1EES17_IbLb0EEEEDaS13_S14_EUlS13_E_NS1_11comp_targetILNS1_3genE0ELNS1_11target_archE4294967295ELNS1_3gpuE0ELNS1_3repE0EEENS1_30default_config_static_selectorELNS0_4arch9wavefront6targetE0EEEvT1_.num_named_barrier, 0
	.set _ZN7rocprim17ROCPRIM_400000_NS6detail17trampoline_kernelINS0_14default_configENS1_25partition_config_selectorILNS1_17partition_subalgoE6EtNS0_10empty_typeEbEEZZNS1_14partition_implILS5_6ELb0ES3_mN6thrust23THRUST_200600_302600_NS6detail15normal_iteratorINSA_10device_ptrItEEEEPS6_SG_NS0_5tupleIJSF_S6_EEENSH_IJSG_SG_EEES6_PlJNSB_9not_fun_tINSB_14equal_to_valueItEEEEEEE10hipError_tPvRmT3_T4_T5_T6_T7_T9_mT8_P12ihipStream_tbDpT10_ENKUlT_T0_E_clISt17integral_constantIbLb1EES17_IbLb0EEEEDaS13_S14_EUlS13_E_NS1_11comp_targetILNS1_3genE0ELNS1_11target_archE4294967295ELNS1_3gpuE0ELNS1_3repE0EEENS1_30default_config_static_selectorELNS0_4arch9wavefront6targetE0EEEvT1_.private_seg_size, 0
	.set _ZN7rocprim17ROCPRIM_400000_NS6detail17trampoline_kernelINS0_14default_configENS1_25partition_config_selectorILNS1_17partition_subalgoE6EtNS0_10empty_typeEbEEZZNS1_14partition_implILS5_6ELb0ES3_mN6thrust23THRUST_200600_302600_NS6detail15normal_iteratorINSA_10device_ptrItEEEEPS6_SG_NS0_5tupleIJSF_S6_EEENSH_IJSG_SG_EEES6_PlJNSB_9not_fun_tINSB_14equal_to_valueItEEEEEEE10hipError_tPvRmT3_T4_T5_T6_T7_T9_mT8_P12ihipStream_tbDpT10_ENKUlT_T0_E_clISt17integral_constantIbLb1EES17_IbLb0EEEEDaS13_S14_EUlS13_E_NS1_11comp_targetILNS1_3genE0ELNS1_11target_archE4294967295ELNS1_3gpuE0ELNS1_3repE0EEENS1_30default_config_static_selectorELNS0_4arch9wavefront6targetE0EEEvT1_.uses_vcc, 0
	.set _ZN7rocprim17ROCPRIM_400000_NS6detail17trampoline_kernelINS0_14default_configENS1_25partition_config_selectorILNS1_17partition_subalgoE6EtNS0_10empty_typeEbEEZZNS1_14partition_implILS5_6ELb0ES3_mN6thrust23THRUST_200600_302600_NS6detail15normal_iteratorINSA_10device_ptrItEEEEPS6_SG_NS0_5tupleIJSF_S6_EEENSH_IJSG_SG_EEES6_PlJNSB_9not_fun_tINSB_14equal_to_valueItEEEEEEE10hipError_tPvRmT3_T4_T5_T6_T7_T9_mT8_P12ihipStream_tbDpT10_ENKUlT_T0_E_clISt17integral_constantIbLb1EES17_IbLb0EEEEDaS13_S14_EUlS13_E_NS1_11comp_targetILNS1_3genE0ELNS1_11target_archE4294967295ELNS1_3gpuE0ELNS1_3repE0EEENS1_30default_config_static_selectorELNS0_4arch9wavefront6targetE0EEEvT1_.uses_flat_scratch, 0
	.set _ZN7rocprim17ROCPRIM_400000_NS6detail17trampoline_kernelINS0_14default_configENS1_25partition_config_selectorILNS1_17partition_subalgoE6EtNS0_10empty_typeEbEEZZNS1_14partition_implILS5_6ELb0ES3_mN6thrust23THRUST_200600_302600_NS6detail15normal_iteratorINSA_10device_ptrItEEEEPS6_SG_NS0_5tupleIJSF_S6_EEENSH_IJSG_SG_EEES6_PlJNSB_9not_fun_tINSB_14equal_to_valueItEEEEEEE10hipError_tPvRmT3_T4_T5_T6_T7_T9_mT8_P12ihipStream_tbDpT10_ENKUlT_T0_E_clISt17integral_constantIbLb1EES17_IbLb0EEEEDaS13_S14_EUlS13_E_NS1_11comp_targetILNS1_3genE0ELNS1_11target_archE4294967295ELNS1_3gpuE0ELNS1_3repE0EEENS1_30default_config_static_selectorELNS0_4arch9wavefront6targetE0EEEvT1_.has_dyn_sized_stack, 0
	.set _ZN7rocprim17ROCPRIM_400000_NS6detail17trampoline_kernelINS0_14default_configENS1_25partition_config_selectorILNS1_17partition_subalgoE6EtNS0_10empty_typeEbEEZZNS1_14partition_implILS5_6ELb0ES3_mN6thrust23THRUST_200600_302600_NS6detail15normal_iteratorINSA_10device_ptrItEEEEPS6_SG_NS0_5tupleIJSF_S6_EEENSH_IJSG_SG_EEES6_PlJNSB_9not_fun_tINSB_14equal_to_valueItEEEEEEE10hipError_tPvRmT3_T4_T5_T6_T7_T9_mT8_P12ihipStream_tbDpT10_ENKUlT_T0_E_clISt17integral_constantIbLb1EES17_IbLb0EEEEDaS13_S14_EUlS13_E_NS1_11comp_targetILNS1_3genE0ELNS1_11target_archE4294967295ELNS1_3gpuE0ELNS1_3repE0EEENS1_30default_config_static_selectorELNS0_4arch9wavefront6targetE0EEEvT1_.has_recursion, 0
	.set _ZN7rocprim17ROCPRIM_400000_NS6detail17trampoline_kernelINS0_14default_configENS1_25partition_config_selectorILNS1_17partition_subalgoE6EtNS0_10empty_typeEbEEZZNS1_14partition_implILS5_6ELb0ES3_mN6thrust23THRUST_200600_302600_NS6detail15normal_iteratorINSA_10device_ptrItEEEEPS6_SG_NS0_5tupleIJSF_S6_EEENSH_IJSG_SG_EEES6_PlJNSB_9not_fun_tINSB_14equal_to_valueItEEEEEEE10hipError_tPvRmT3_T4_T5_T6_T7_T9_mT8_P12ihipStream_tbDpT10_ENKUlT_T0_E_clISt17integral_constantIbLb1EES17_IbLb0EEEEDaS13_S14_EUlS13_E_NS1_11comp_targetILNS1_3genE0ELNS1_11target_archE4294967295ELNS1_3gpuE0ELNS1_3repE0EEENS1_30default_config_static_selectorELNS0_4arch9wavefront6targetE0EEEvT1_.has_indirect_call, 0
	.section	.AMDGPU.csdata,"",@progbits
; Kernel info:
; codeLenInByte = 0
; TotalNumSgprs: 0
; NumVgprs: 0
; ScratchSize: 0
; MemoryBound: 0
; FloatMode: 240
; IeeeMode: 1
; LDSByteSize: 0 bytes/workgroup (compile time only)
; SGPRBlocks: 0
; VGPRBlocks: 0
; NumSGPRsForWavesPerEU: 1
; NumVGPRsForWavesPerEU: 1
; Occupancy: 16
; WaveLimiterHint : 0
; COMPUTE_PGM_RSRC2:SCRATCH_EN: 0
; COMPUTE_PGM_RSRC2:USER_SGPR: 2
; COMPUTE_PGM_RSRC2:TRAP_HANDLER: 0
; COMPUTE_PGM_RSRC2:TGID_X_EN: 1
; COMPUTE_PGM_RSRC2:TGID_Y_EN: 0
; COMPUTE_PGM_RSRC2:TGID_Z_EN: 0
; COMPUTE_PGM_RSRC2:TIDIG_COMP_CNT: 0
	.section	.text._ZN7rocprim17ROCPRIM_400000_NS6detail17trampoline_kernelINS0_14default_configENS1_25partition_config_selectorILNS1_17partition_subalgoE6EtNS0_10empty_typeEbEEZZNS1_14partition_implILS5_6ELb0ES3_mN6thrust23THRUST_200600_302600_NS6detail15normal_iteratorINSA_10device_ptrItEEEEPS6_SG_NS0_5tupleIJSF_S6_EEENSH_IJSG_SG_EEES6_PlJNSB_9not_fun_tINSB_14equal_to_valueItEEEEEEE10hipError_tPvRmT3_T4_T5_T6_T7_T9_mT8_P12ihipStream_tbDpT10_ENKUlT_T0_E_clISt17integral_constantIbLb1EES17_IbLb0EEEEDaS13_S14_EUlS13_E_NS1_11comp_targetILNS1_3genE5ELNS1_11target_archE942ELNS1_3gpuE9ELNS1_3repE0EEENS1_30default_config_static_selectorELNS0_4arch9wavefront6targetE0EEEvT1_,"axG",@progbits,_ZN7rocprim17ROCPRIM_400000_NS6detail17trampoline_kernelINS0_14default_configENS1_25partition_config_selectorILNS1_17partition_subalgoE6EtNS0_10empty_typeEbEEZZNS1_14partition_implILS5_6ELb0ES3_mN6thrust23THRUST_200600_302600_NS6detail15normal_iteratorINSA_10device_ptrItEEEEPS6_SG_NS0_5tupleIJSF_S6_EEENSH_IJSG_SG_EEES6_PlJNSB_9not_fun_tINSB_14equal_to_valueItEEEEEEE10hipError_tPvRmT3_T4_T5_T6_T7_T9_mT8_P12ihipStream_tbDpT10_ENKUlT_T0_E_clISt17integral_constantIbLb1EES17_IbLb0EEEEDaS13_S14_EUlS13_E_NS1_11comp_targetILNS1_3genE5ELNS1_11target_archE942ELNS1_3gpuE9ELNS1_3repE0EEENS1_30default_config_static_selectorELNS0_4arch9wavefront6targetE0EEEvT1_,comdat
	.protected	_ZN7rocprim17ROCPRIM_400000_NS6detail17trampoline_kernelINS0_14default_configENS1_25partition_config_selectorILNS1_17partition_subalgoE6EtNS0_10empty_typeEbEEZZNS1_14partition_implILS5_6ELb0ES3_mN6thrust23THRUST_200600_302600_NS6detail15normal_iteratorINSA_10device_ptrItEEEEPS6_SG_NS0_5tupleIJSF_S6_EEENSH_IJSG_SG_EEES6_PlJNSB_9not_fun_tINSB_14equal_to_valueItEEEEEEE10hipError_tPvRmT3_T4_T5_T6_T7_T9_mT8_P12ihipStream_tbDpT10_ENKUlT_T0_E_clISt17integral_constantIbLb1EES17_IbLb0EEEEDaS13_S14_EUlS13_E_NS1_11comp_targetILNS1_3genE5ELNS1_11target_archE942ELNS1_3gpuE9ELNS1_3repE0EEENS1_30default_config_static_selectorELNS0_4arch9wavefront6targetE0EEEvT1_ ; -- Begin function _ZN7rocprim17ROCPRIM_400000_NS6detail17trampoline_kernelINS0_14default_configENS1_25partition_config_selectorILNS1_17partition_subalgoE6EtNS0_10empty_typeEbEEZZNS1_14partition_implILS5_6ELb0ES3_mN6thrust23THRUST_200600_302600_NS6detail15normal_iteratorINSA_10device_ptrItEEEEPS6_SG_NS0_5tupleIJSF_S6_EEENSH_IJSG_SG_EEES6_PlJNSB_9not_fun_tINSB_14equal_to_valueItEEEEEEE10hipError_tPvRmT3_T4_T5_T6_T7_T9_mT8_P12ihipStream_tbDpT10_ENKUlT_T0_E_clISt17integral_constantIbLb1EES17_IbLb0EEEEDaS13_S14_EUlS13_E_NS1_11comp_targetILNS1_3genE5ELNS1_11target_archE942ELNS1_3gpuE9ELNS1_3repE0EEENS1_30default_config_static_selectorELNS0_4arch9wavefront6targetE0EEEvT1_
	.globl	_ZN7rocprim17ROCPRIM_400000_NS6detail17trampoline_kernelINS0_14default_configENS1_25partition_config_selectorILNS1_17partition_subalgoE6EtNS0_10empty_typeEbEEZZNS1_14partition_implILS5_6ELb0ES3_mN6thrust23THRUST_200600_302600_NS6detail15normal_iteratorINSA_10device_ptrItEEEEPS6_SG_NS0_5tupleIJSF_S6_EEENSH_IJSG_SG_EEES6_PlJNSB_9not_fun_tINSB_14equal_to_valueItEEEEEEE10hipError_tPvRmT3_T4_T5_T6_T7_T9_mT8_P12ihipStream_tbDpT10_ENKUlT_T0_E_clISt17integral_constantIbLb1EES17_IbLb0EEEEDaS13_S14_EUlS13_E_NS1_11comp_targetILNS1_3genE5ELNS1_11target_archE942ELNS1_3gpuE9ELNS1_3repE0EEENS1_30default_config_static_selectorELNS0_4arch9wavefront6targetE0EEEvT1_
	.p2align	8
	.type	_ZN7rocprim17ROCPRIM_400000_NS6detail17trampoline_kernelINS0_14default_configENS1_25partition_config_selectorILNS1_17partition_subalgoE6EtNS0_10empty_typeEbEEZZNS1_14partition_implILS5_6ELb0ES3_mN6thrust23THRUST_200600_302600_NS6detail15normal_iteratorINSA_10device_ptrItEEEEPS6_SG_NS0_5tupleIJSF_S6_EEENSH_IJSG_SG_EEES6_PlJNSB_9not_fun_tINSB_14equal_to_valueItEEEEEEE10hipError_tPvRmT3_T4_T5_T6_T7_T9_mT8_P12ihipStream_tbDpT10_ENKUlT_T0_E_clISt17integral_constantIbLb1EES17_IbLb0EEEEDaS13_S14_EUlS13_E_NS1_11comp_targetILNS1_3genE5ELNS1_11target_archE942ELNS1_3gpuE9ELNS1_3repE0EEENS1_30default_config_static_selectorELNS0_4arch9wavefront6targetE0EEEvT1_,@function
_ZN7rocprim17ROCPRIM_400000_NS6detail17trampoline_kernelINS0_14default_configENS1_25partition_config_selectorILNS1_17partition_subalgoE6EtNS0_10empty_typeEbEEZZNS1_14partition_implILS5_6ELb0ES3_mN6thrust23THRUST_200600_302600_NS6detail15normal_iteratorINSA_10device_ptrItEEEEPS6_SG_NS0_5tupleIJSF_S6_EEENSH_IJSG_SG_EEES6_PlJNSB_9not_fun_tINSB_14equal_to_valueItEEEEEEE10hipError_tPvRmT3_T4_T5_T6_T7_T9_mT8_P12ihipStream_tbDpT10_ENKUlT_T0_E_clISt17integral_constantIbLb1EES17_IbLb0EEEEDaS13_S14_EUlS13_E_NS1_11comp_targetILNS1_3genE5ELNS1_11target_archE942ELNS1_3gpuE9ELNS1_3repE0EEENS1_30default_config_static_selectorELNS0_4arch9wavefront6targetE0EEEvT1_: ; @_ZN7rocprim17ROCPRIM_400000_NS6detail17trampoline_kernelINS0_14default_configENS1_25partition_config_selectorILNS1_17partition_subalgoE6EtNS0_10empty_typeEbEEZZNS1_14partition_implILS5_6ELb0ES3_mN6thrust23THRUST_200600_302600_NS6detail15normal_iteratorINSA_10device_ptrItEEEEPS6_SG_NS0_5tupleIJSF_S6_EEENSH_IJSG_SG_EEES6_PlJNSB_9not_fun_tINSB_14equal_to_valueItEEEEEEE10hipError_tPvRmT3_T4_T5_T6_T7_T9_mT8_P12ihipStream_tbDpT10_ENKUlT_T0_E_clISt17integral_constantIbLb1EES17_IbLb0EEEEDaS13_S14_EUlS13_E_NS1_11comp_targetILNS1_3genE5ELNS1_11target_archE942ELNS1_3gpuE9ELNS1_3repE0EEENS1_30default_config_static_selectorELNS0_4arch9wavefront6targetE0EEEvT1_
; %bb.0:
	.section	.rodata,"a",@progbits
	.p2align	6, 0x0
	.amdhsa_kernel _ZN7rocprim17ROCPRIM_400000_NS6detail17trampoline_kernelINS0_14default_configENS1_25partition_config_selectorILNS1_17partition_subalgoE6EtNS0_10empty_typeEbEEZZNS1_14partition_implILS5_6ELb0ES3_mN6thrust23THRUST_200600_302600_NS6detail15normal_iteratorINSA_10device_ptrItEEEEPS6_SG_NS0_5tupleIJSF_S6_EEENSH_IJSG_SG_EEES6_PlJNSB_9not_fun_tINSB_14equal_to_valueItEEEEEEE10hipError_tPvRmT3_T4_T5_T6_T7_T9_mT8_P12ihipStream_tbDpT10_ENKUlT_T0_E_clISt17integral_constantIbLb1EES17_IbLb0EEEEDaS13_S14_EUlS13_E_NS1_11comp_targetILNS1_3genE5ELNS1_11target_archE942ELNS1_3gpuE9ELNS1_3repE0EEENS1_30default_config_static_selectorELNS0_4arch9wavefront6targetE0EEEvT1_
		.amdhsa_group_segment_fixed_size 0
		.amdhsa_private_segment_fixed_size 0
		.amdhsa_kernarg_size 112
		.amdhsa_user_sgpr_count 2
		.amdhsa_user_sgpr_dispatch_ptr 0
		.amdhsa_user_sgpr_queue_ptr 0
		.amdhsa_user_sgpr_kernarg_segment_ptr 1
		.amdhsa_user_sgpr_dispatch_id 0
		.amdhsa_user_sgpr_private_segment_size 0
		.amdhsa_wavefront_size32 1
		.amdhsa_uses_dynamic_stack 0
		.amdhsa_enable_private_segment 0
		.amdhsa_system_sgpr_workgroup_id_x 1
		.amdhsa_system_sgpr_workgroup_id_y 0
		.amdhsa_system_sgpr_workgroup_id_z 0
		.amdhsa_system_sgpr_workgroup_info 0
		.amdhsa_system_vgpr_workitem_id 0
		.amdhsa_next_free_vgpr 1
		.amdhsa_next_free_sgpr 1
		.amdhsa_reserve_vcc 0
		.amdhsa_float_round_mode_32 0
		.amdhsa_float_round_mode_16_64 0
		.amdhsa_float_denorm_mode_32 3
		.amdhsa_float_denorm_mode_16_64 3
		.amdhsa_fp16_overflow 0
		.amdhsa_workgroup_processor_mode 1
		.amdhsa_memory_ordered 1
		.amdhsa_forward_progress 1
		.amdhsa_inst_pref_size 0
		.amdhsa_round_robin_scheduling 0
		.amdhsa_exception_fp_ieee_invalid_op 0
		.amdhsa_exception_fp_denorm_src 0
		.amdhsa_exception_fp_ieee_div_zero 0
		.amdhsa_exception_fp_ieee_overflow 0
		.amdhsa_exception_fp_ieee_underflow 0
		.amdhsa_exception_fp_ieee_inexact 0
		.amdhsa_exception_int_div_zero 0
	.end_amdhsa_kernel
	.section	.text._ZN7rocprim17ROCPRIM_400000_NS6detail17trampoline_kernelINS0_14default_configENS1_25partition_config_selectorILNS1_17partition_subalgoE6EtNS0_10empty_typeEbEEZZNS1_14partition_implILS5_6ELb0ES3_mN6thrust23THRUST_200600_302600_NS6detail15normal_iteratorINSA_10device_ptrItEEEEPS6_SG_NS0_5tupleIJSF_S6_EEENSH_IJSG_SG_EEES6_PlJNSB_9not_fun_tINSB_14equal_to_valueItEEEEEEE10hipError_tPvRmT3_T4_T5_T6_T7_T9_mT8_P12ihipStream_tbDpT10_ENKUlT_T0_E_clISt17integral_constantIbLb1EES17_IbLb0EEEEDaS13_S14_EUlS13_E_NS1_11comp_targetILNS1_3genE5ELNS1_11target_archE942ELNS1_3gpuE9ELNS1_3repE0EEENS1_30default_config_static_selectorELNS0_4arch9wavefront6targetE0EEEvT1_,"axG",@progbits,_ZN7rocprim17ROCPRIM_400000_NS6detail17trampoline_kernelINS0_14default_configENS1_25partition_config_selectorILNS1_17partition_subalgoE6EtNS0_10empty_typeEbEEZZNS1_14partition_implILS5_6ELb0ES3_mN6thrust23THRUST_200600_302600_NS6detail15normal_iteratorINSA_10device_ptrItEEEEPS6_SG_NS0_5tupleIJSF_S6_EEENSH_IJSG_SG_EEES6_PlJNSB_9not_fun_tINSB_14equal_to_valueItEEEEEEE10hipError_tPvRmT3_T4_T5_T6_T7_T9_mT8_P12ihipStream_tbDpT10_ENKUlT_T0_E_clISt17integral_constantIbLb1EES17_IbLb0EEEEDaS13_S14_EUlS13_E_NS1_11comp_targetILNS1_3genE5ELNS1_11target_archE942ELNS1_3gpuE9ELNS1_3repE0EEENS1_30default_config_static_selectorELNS0_4arch9wavefront6targetE0EEEvT1_,comdat
.Lfunc_end422:
	.size	_ZN7rocprim17ROCPRIM_400000_NS6detail17trampoline_kernelINS0_14default_configENS1_25partition_config_selectorILNS1_17partition_subalgoE6EtNS0_10empty_typeEbEEZZNS1_14partition_implILS5_6ELb0ES3_mN6thrust23THRUST_200600_302600_NS6detail15normal_iteratorINSA_10device_ptrItEEEEPS6_SG_NS0_5tupleIJSF_S6_EEENSH_IJSG_SG_EEES6_PlJNSB_9not_fun_tINSB_14equal_to_valueItEEEEEEE10hipError_tPvRmT3_T4_T5_T6_T7_T9_mT8_P12ihipStream_tbDpT10_ENKUlT_T0_E_clISt17integral_constantIbLb1EES17_IbLb0EEEEDaS13_S14_EUlS13_E_NS1_11comp_targetILNS1_3genE5ELNS1_11target_archE942ELNS1_3gpuE9ELNS1_3repE0EEENS1_30default_config_static_selectorELNS0_4arch9wavefront6targetE0EEEvT1_, .Lfunc_end422-_ZN7rocprim17ROCPRIM_400000_NS6detail17trampoline_kernelINS0_14default_configENS1_25partition_config_selectorILNS1_17partition_subalgoE6EtNS0_10empty_typeEbEEZZNS1_14partition_implILS5_6ELb0ES3_mN6thrust23THRUST_200600_302600_NS6detail15normal_iteratorINSA_10device_ptrItEEEEPS6_SG_NS0_5tupleIJSF_S6_EEENSH_IJSG_SG_EEES6_PlJNSB_9not_fun_tINSB_14equal_to_valueItEEEEEEE10hipError_tPvRmT3_T4_T5_T6_T7_T9_mT8_P12ihipStream_tbDpT10_ENKUlT_T0_E_clISt17integral_constantIbLb1EES17_IbLb0EEEEDaS13_S14_EUlS13_E_NS1_11comp_targetILNS1_3genE5ELNS1_11target_archE942ELNS1_3gpuE9ELNS1_3repE0EEENS1_30default_config_static_selectorELNS0_4arch9wavefront6targetE0EEEvT1_
                                        ; -- End function
	.set _ZN7rocprim17ROCPRIM_400000_NS6detail17trampoline_kernelINS0_14default_configENS1_25partition_config_selectorILNS1_17partition_subalgoE6EtNS0_10empty_typeEbEEZZNS1_14partition_implILS5_6ELb0ES3_mN6thrust23THRUST_200600_302600_NS6detail15normal_iteratorINSA_10device_ptrItEEEEPS6_SG_NS0_5tupleIJSF_S6_EEENSH_IJSG_SG_EEES6_PlJNSB_9not_fun_tINSB_14equal_to_valueItEEEEEEE10hipError_tPvRmT3_T4_T5_T6_T7_T9_mT8_P12ihipStream_tbDpT10_ENKUlT_T0_E_clISt17integral_constantIbLb1EES17_IbLb0EEEEDaS13_S14_EUlS13_E_NS1_11comp_targetILNS1_3genE5ELNS1_11target_archE942ELNS1_3gpuE9ELNS1_3repE0EEENS1_30default_config_static_selectorELNS0_4arch9wavefront6targetE0EEEvT1_.num_vgpr, 0
	.set _ZN7rocprim17ROCPRIM_400000_NS6detail17trampoline_kernelINS0_14default_configENS1_25partition_config_selectorILNS1_17partition_subalgoE6EtNS0_10empty_typeEbEEZZNS1_14partition_implILS5_6ELb0ES3_mN6thrust23THRUST_200600_302600_NS6detail15normal_iteratorINSA_10device_ptrItEEEEPS6_SG_NS0_5tupleIJSF_S6_EEENSH_IJSG_SG_EEES6_PlJNSB_9not_fun_tINSB_14equal_to_valueItEEEEEEE10hipError_tPvRmT3_T4_T5_T6_T7_T9_mT8_P12ihipStream_tbDpT10_ENKUlT_T0_E_clISt17integral_constantIbLb1EES17_IbLb0EEEEDaS13_S14_EUlS13_E_NS1_11comp_targetILNS1_3genE5ELNS1_11target_archE942ELNS1_3gpuE9ELNS1_3repE0EEENS1_30default_config_static_selectorELNS0_4arch9wavefront6targetE0EEEvT1_.num_agpr, 0
	.set _ZN7rocprim17ROCPRIM_400000_NS6detail17trampoline_kernelINS0_14default_configENS1_25partition_config_selectorILNS1_17partition_subalgoE6EtNS0_10empty_typeEbEEZZNS1_14partition_implILS5_6ELb0ES3_mN6thrust23THRUST_200600_302600_NS6detail15normal_iteratorINSA_10device_ptrItEEEEPS6_SG_NS0_5tupleIJSF_S6_EEENSH_IJSG_SG_EEES6_PlJNSB_9not_fun_tINSB_14equal_to_valueItEEEEEEE10hipError_tPvRmT3_T4_T5_T6_T7_T9_mT8_P12ihipStream_tbDpT10_ENKUlT_T0_E_clISt17integral_constantIbLb1EES17_IbLb0EEEEDaS13_S14_EUlS13_E_NS1_11comp_targetILNS1_3genE5ELNS1_11target_archE942ELNS1_3gpuE9ELNS1_3repE0EEENS1_30default_config_static_selectorELNS0_4arch9wavefront6targetE0EEEvT1_.numbered_sgpr, 0
	.set _ZN7rocprim17ROCPRIM_400000_NS6detail17trampoline_kernelINS0_14default_configENS1_25partition_config_selectorILNS1_17partition_subalgoE6EtNS0_10empty_typeEbEEZZNS1_14partition_implILS5_6ELb0ES3_mN6thrust23THRUST_200600_302600_NS6detail15normal_iteratorINSA_10device_ptrItEEEEPS6_SG_NS0_5tupleIJSF_S6_EEENSH_IJSG_SG_EEES6_PlJNSB_9not_fun_tINSB_14equal_to_valueItEEEEEEE10hipError_tPvRmT3_T4_T5_T6_T7_T9_mT8_P12ihipStream_tbDpT10_ENKUlT_T0_E_clISt17integral_constantIbLb1EES17_IbLb0EEEEDaS13_S14_EUlS13_E_NS1_11comp_targetILNS1_3genE5ELNS1_11target_archE942ELNS1_3gpuE9ELNS1_3repE0EEENS1_30default_config_static_selectorELNS0_4arch9wavefront6targetE0EEEvT1_.num_named_barrier, 0
	.set _ZN7rocprim17ROCPRIM_400000_NS6detail17trampoline_kernelINS0_14default_configENS1_25partition_config_selectorILNS1_17partition_subalgoE6EtNS0_10empty_typeEbEEZZNS1_14partition_implILS5_6ELb0ES3_mN6thrust23THRUST_200600_302600_NS6detail15normal_iteratorINSA_10device_ptrItEEEEPS6_SG_NS0_5tupleIJSF_S6_EEENSH_IJSG_SG_EEES6_PlJNSB_9not_fun_tINSB_14equal_to_valueItEEEEEEE10hipError_tPvRmT3_T4_T5_T6_T7_T9_mT8_P12ihipStream_tbDpT10_ENKUlT_T0_E_clISt17integral_constantIbLb1EES17_IbLb0EEEEDaS13_S14_EUlS13_E_NS1_11comp_targetILNS1_3genE5ELNS1_11target_archE942ELNS1_3gpuE9ELNS1_3repE0EEENS1_30default_config_static_selectorELNS0_4arch9wavefront6targetE0EEEvT1_.private_seg_size, 0
	.set _ZN7rocprim17ROCPRIM_400000_NS6detail17trampoline_kernelINS0_14default_configENS1_25partition_config_selectorILNS1_17partition_subalgoE6EtNS0_10empty_typeEbEEZZNS1_14partition_implILS5_6ELb0ES3_mN6thrust23THRUST_200600_302600_NS6detail15normal_iteratorINSA_10device_ptrItEEEEPS6_SG_NS0_5tupleIJSF_S6_EEENSH_IJSG_SG_EEES6_PlJNSB_9not_fun_tINSB_14equal_to_valueItEEEEEEE10hipError_tPvRmT3_T4_T5_T6_T7_T9_mT8_P12ihipStream_tbDpT10_ENKUlT_T0_E_clISt17integral_constantIbLb1EES17_IbLb0EEEEDaS13_S14_EUlS13_E_NS1_11comp_targetILNS1_3genE5ELNS1_11target_archE942ELNS1_3gpuE9ELNS1_3repE0EEENS1_30default_config_static_selectorELNS0_4arch9wavefront6targetE0EEEvT1_.uses_vcc, 0
	.set _ZN7rocprim17ROCPRIM_400000_NS6detail17trampoline_kernelINS0_14default_configENS1_25partition_config_selectorILNS1_17partition_subalgoE6EtNS0_10empty_typeEbEEZZNS1_14partition_implILS5_6ELb0ES3_mN6thrust23THRUST_200600_302600_NS6detail15normal_iteratorINSA_10device_ptrItEEEEPS6_SG_NS0_5tupleIJSF_S6_EEENSH_IJSG_SG_EEES6_PlJNSB_9not_fun_tINSB_14equal_to_valueItEEEEEEE10hipError_tPvRmT3_T4_T5_T6_T7_T9_mT8_P12ihipStream_tbDpT10_ENKUlT_T0_E_clISt17integral_constantIbLb1EES17_IbLb0EEEEDaS13_S14_EUlS13_E_NS1_11comp_targetILNS1_3genE5ELNS1_11target_archE942ELNS1_3gpuE9ELNS1_3repE0EEENS1_30default_config_static_selectorELNS0_4arch9wavefront6targetE0EEEvT1_.uses_flat_scratch, 0
	.set _ZN7rocprim17ROCPRIM_400000_NS6detail17trampoline_kernelINS0_14default_configENS1_25partition_config_selectorILNS1_17partition_subalgoE6EtNS0_10empty_typeEbEEZZNS1_14partition_implILS5_6ELb0ES3_mN6thrust23THRUST_200600_302600_NS6detail15normal_iteratorINSA_10device_ptrItEEEEPS6_SG_NS0_5tupleIJSF_S6_EEENSH_IJSG_SG_EEES6_PlJNSB_9not_fun_tINSB_14equal_to_valueItEEEEEEE10hipError_tPvRmT3_T4_T5_T6_T7_T9_mT8_P12ihipStream_tbDpT10_ENKUlT_T0_E_clISt17integral_constantIbLb1EES17_IbLb0EEEEDaS13_S14_EUlS13_E_NS1_11comp_targetILNS1_3genE5ELNS1_11target_archE942ELNS1_3gpuE9ELNS1_3repE0EEENS1_30default_config_static_selectorELNS0_4arch9wavefront6targetE0EEEvT1_.has_dyn_sized_stack, 0
	.set _ZN7rocprim17ROCPRIM_400000_NS6detail17trampoline_kernelINS0_14default_configENS1_25partition_config_selectorILNS1_17partition_subalgoE6EtNS0_10empty_typeEbEEZZNS1_14partition_implILS5_6ELb0ES3_mN6thrust23THRUST_200600_302600_NS6detail15normal_iteratorINSA_10device_ptrItEEEEPS6_SG_NS0_5tupleIJSF_S6_EEENSH_IJSG_SG_EEES6_PlJNSB_9not_fun_tINSB_14equal_to_valueItEEEEEEE10hipError_tPvRmT3_T4_T5_T6_T7_T9_mT8_P12ihipStream_tbDpT10_ENKUlT_T0_E_clISt17integral_constantIbLb1EES17_IbLb0EEEEDaS13_S14_EUlS13_E_NS1_11comp_targetILNS1_3genE5ELNS1_11target_archE942ELNS1_3gpuE9ELNS1_3repE0EEENS1_30default_config_static_selectorELNS0_4arch9wavefront6targetE0EEEvT1_.has_recursion, 0
	.set _ZN7rocprim17ROCPRIM_400000_NS6detail17trampoline_kernelINS0_14default_configENS1_25partition_config_selectorILNS1_17partition_subalgoE6EtNS0_10empty_typeEbEEZZNS1_14partition_implILS5_6ELb0ES3_mN6thrust23THRUST_200600_302600_NS6detail15normal_iteratorINSA_10device_ptrItEEEEPS6_SG_NS0_5tupleIJSF_S6_EEENSH_IJSG_SG_EEES6_PlJNSB_9not_fun_tINSB_14equal_to_valueItEEEEEEE10hipError_tPvRmT3_T4_T5_T6_T7_T9_mT8_P12ihipStream_tbDpT10_ENKUlT_T0_E_clISt17integral_constantIbLb1EES17_IbLb0EEEEDaS13_S14_EUlS13_E_NS1_11comp_targetILNS1_3genE5ELNS1_11target_archE942ELNS1_3gpuE9ELNS1_3repE0EEENS1_30default_config_static_selectorELNS0_4arch9wavefront6targetE0EEEvT1_.has_indirect_call, 0
	.section	.AMDGPU.csdata,"",@progbits
; Kernel info:
; codeLenInByte = 0
; TotalNumSgprs: 0
; NumVgprs: 0
; ScratchSize: 0
; MemoryBound: 0
; FloatMode: 240
; IeeeMode: 1
; LDSByteSize: 0 bytes/workgroup (compile time only)
; SGPRBlocks: 0
; VGPRBlocks: 0
; NumSGPRsForWavesPerEU: 1
; NumVGPRsForWavesPerEU: 1
; Occupancy: 16
; WaveLimiterHint : 0
; COMPUTE_PGM_RSRC2:SCRATCH_EN: 0
; COMPUTE_PGM_RSRC2:USER_SGPR: 2
; COMPUTE_PGM_RSRC2:TRAP_HANDLER: 0
; COMPUTE_PGM_RSRC2:TGID_X_EN: 1
; COMPUTE_PGM_RSRC2:TGID_Y_EN: 0
; COMPUTE_PGM_RSRC2:TGID_Z_EN: 0
; COMPUTE_PGM_RSRC2:TIDIG_COMP_CNT: 0
	.section	.text._ZN7rocprim17ROCPRIM_400000_NS6detail17trampoline_kernelINS0_14default_configENS1_25partition_config_selectorILNS1_17partition_subalgoE6EtNS0_10empty_typeEbEEZZNS1_14partition_implILS5_6ELb0ES3_mN6thrust23THRUST_200600_302600_NS6detail15normal_iteratorINSA_10device_ptrItEEEEPS6_SG_NS0_5tupleIJSF_S6_EEENSH_IJSG_SG_EEES6_PlJNSB_9not_fun_tINSB_14equal_to_valueItEEEEEEE10hipError_tPvRmT3_T4_T5_T6_T7_T9_mT8_P12ihipStream_tbDpT10_ENKUlT_T0_E_clISt17integral_constantIbLb1EES17_IbLb0EEEEDaS13_S14_EUlS13_E_NS1_11comp_targetILNS1_3genE4ELNS1_11target_archE910ELNS1_3gpuE8ELNS1_3repE0EEENS1_30default_config_static_selectorELNS0_4arch9wavefront6targetE0EEEvT1_,"axG",@progbits,_ZN7rocprim17ROCPRIM_400000_NS6detail17trampoline_kernelINS0_14default_configENS1_25partition_config_selectorILNS1_17partition_subalgoE6EtNS0_10empty_typeEbEEZZNS1_14partition_implILS5_6ELb0ES3_mN6thrust23THRUST_200600_302600_NS6detail15normal_iteratorINSA_10device_ptrItEEEEPS6_SG_NS0_5tupleIJSF_S6_EEENSH_IJSG_SG_EEES6_PlJNSB_9not_fun_tINSB_14equal_to_valueItEEEEEEE10hipError_tPvRmT3_T4_T5_T6_T7_T9_mT8_P12ihipStream_tbDpT10_ENKUlT_T0_E_clISt17integral_constantIbLb1EES17_IbLb0EEEEDaS13_S14_EUlS13_E_NS1_11comp_targetILNS1_3genE4ELNS1_11target_archE910ELNS1_3gpuE8ELNS1_3repE0EEENS1_30default_config_static_selectorELNS0_4arch9wavefront6targetE0EEEvT1_,comdat
	.protected	_ZN7rocprim17ROCPRIM_400000_NS6detail17trampoline_kernelINS0_14default_configENS1_25partition_config_selectorILNS1_17partition_subalgoE6EtNS0_10empty_typeEbEEZZNS1_14partition_implILS5_6ELb0ES3_mN6thrust23THRUST_200600_302600_NS6detail15normal_iteratorINSA_10device_ptrItEEEEPS6_SG_NS0_5tupleIJSF_S6_EEENSH_IJSG_SG_EEES6_PlJNSB_9not_fun_tINSB_14equal_to_valueItEEEEEEE10hipError_tPvRmT3_T4_T5_T6_T7_T9_mT8_P12ihipStream_tbDpT10_ENKUlT_T0_E_clISt17integral_constantIbLb1EES17_IbLb0EEEEDaS13_S14_EUlS13_E_NS1_11comp_targetILNS1_3genE4ELNS1_11target_archE910ELNS1_3gpuE8ELNS1_3repE0EEENS1_30default_config_static_selectorELNS0_4arch9wavefront6targetE0EEEvT1_ ; -- Begin function _ZN7rocprim17ROCPRIM_400000_NS6detail17trampoline_kernelINS0_14default_configENS1_25partition_config_selectorILNS1_17partition_subalgoE6EtNS0_10empty_typeEbEEZZNS1_14partition_implILS5_6ELb0ES3_mN6thrust23THRUST_200600_302600_NS6detail15normal_iteratorINSA_10device_ptrItEEEEPS6_SG_NS0_5tupleIJSF_S6_EEENSH_IJSG_SG_EEES6_PlJNSB_9not_fun_tINSB_14equal_to_valueItEEEEEEE10hipError_tPvRmT3_T4_T5_T6_T7_T9_mT8_P12ihipStream_tbDpT10_ENKUlT_T0_E_clISt17integral_constantIbLb1EES17_IbLb0EEEEDaS13_S14_EUlS13_E_NS1_11comp_targetILNS1_3genE4ELNS1_11target_archE910ELNS1_3gpuE8ELNS1_3repE0EEENS1_30default_config_static_selectorELNS0_4arch9wavefront6targetE0EEEvT1_
	.globl	_ZN7rocprim17ROCPRIM_400000_NS6detail17trampoline_kernelINS0_14default_configENS1_25partition_config_selectorILNS1_17partition_subalgoE6EtNS0_10empty_typeEbEEZZNS1_14partition_implILS5_6ELb0ES3_mN6thrust23THRUST_200600_302600_NS6detail15normal_iteratorINSA_10device_ptrItEEEEPS6_SG_NS0_5tupleIJSF_S6_EEENSH_IJSG_SG_EEES6_PlJNSB_9not_fun_tINSB_14equal_to_valueItEEEEEEE10hipError_tPvRmT3_T4_T5_T6_T7_T9_mT8_P12ihipStream_tbDpT10_ENKUlT_T0_E_clISt17integral_constantIbLb1EES17_IbLb0EEEEDaS13_S14_EUlS13_E_NS1_11comp_targetILNS1_3genE4ELNS1_11target_archE910ELNS1_3gpuE8ELNS1_3repE0EEENS1_30default_config_static_selectorELNS0_4arch9wavefront6targetE0EEEvT1_
	.p2align	8
	.type	_ZN7rocprim17ROCPRIM_400000_NS6detail17trampoline_kernelINS0_14default_configENS1_25partition_config_selectorILNS1_17partition_subalgoE6EtNS0_10empty_typeEbEEZZNS1_14partition_implILS5_6ELb0ES3_mN6thrust23THRUST_200600_302600_NS6detail15normal_iteratorINSA_10device_ptrItEEEEPS6_SG_NS0_5tupleIJSF_S6_EEENSH_IJSG_SG_EEES6_PlJNSB_9not_fun_tINSB_14equal_to_valueItEEEEEEE10hipError_tPvRmT3_T4_T5_T6_T7_T9_mT8_P12ihipStream_tbDpT10_ENKUlT_T0_E_clISt17integral_constantIbLb1EES17_IbLb0EEEEDaS13_S14_EUlS13_E_NS1_11comp_targetILNS1_3genE4ELNS1_11target_archE910ELNS1_3gpuE8ELNS1_3repE0EEENS1_30default_config_static_selectorELNS0_4arch9wavefront6targetE0EEEvT1_,@function
_ZN7rocprim17ROCPRIM_400000_NS6detail17trampoline_kernelINS0_14default_configENS1_25partition_config_selectorILNS1_17partition_subalgoE6EtNS0_10empty_typeEbEEZZNS1_14partition_implILS5_6ELb0ES3_mN6thrust23THRUST_200600_302600_NS6detail15normal_iteratorINSA_10device_ptrItEEEEPS6_SG_NS0_5tupleIJSF_S6_EEENSH_IJSG_SG_EEES6_PlJNSB_9not_fun_tINSB_14equal_to_valueItEEEEEEE10hipError_tPvRmT3_T4_T5_T6_T7_T9_mT8_P12ihipStream_tbDpT10_ENKUlT_T0_E_clISt17integral_constantIbLb1EES17_IbLb0EEEEDaS13_S14_EUlS13_E_NS1_11comp_targetILNS1_3genE4ELNS1_11target_archE910ELNS1_3gpuE8ELNS1_3repE0EEENS1_30default_config_static_selectorELNS0_4arch9wavefront6targetE0EEEvT1_: ; @_ZN7rocprim17ROCPRIM_400000_NS6detail17trampoline_kernelINS0_14default_configENS1_25partition_config_selectorILNS1_17partition_subalgoE6EtNS0_10empty_typeEbEEZZNS1_14partition_implILS5_6ELb0ES3_mN6thrust23THRUST_200600_302600_NS6detail15normal_iteratorINSA_10device_ptrItEEEEPS6_SG_NS0_5tupleIJSF_S6_EEENSH_IJSG_SG_EEES6_PlJNSB_9not_fun_tINSB_14equal_to_valueItEEEEEEE10hipError_tPvRmT3_T4_T5_T6_T7_T9_mT8_P12ihipStream_tbDpT10_ENKUlT_T0_E_clISt17integral_constantIbLb1EES17_IbLb0EEEEDaS13_S14_EUlS13_E_NS1_11comp_targetILNS1_3genE4ELNS1_11target_archE910ELNS1_3gpuE8ELNS1_3repE0EEENS1_30default_config_static_selectorELNS0_4arch9wavefront6targetE0EEEvT1_
; %bb.0:
	.section	.rodata,"a",@progbits
	.p2align	6, 0x0
	.amdhsa_kernel _ZN7rocprim17ROCPRIM_400000_NS6detail17trampoline_kernelINS0_14default_configENS1_25partition_config_selectorILNS1_17partition_subalgoE6EtNS0_10empty_typeEbEEZZNS1_14partition_implILS5_6ELb0ES3_mN6thrust23THRUST_200600_302600_NS6detail15normal_iteratorINSA_10device_ptrItEEEEPS6_SG_NS0_5tupleIJSF_S6_EEENSH_IJSG_SG_EEES6_PlJNSB_9not_fun_tINSB_14equal_to_valueItEEEEEEE10hipError_tPvRmT3_T4_T5_T6_T7_T9_mT8_P12ihipStream_tbDpT10_ENKUlT_T0_E_clISt17integral_constantIbLb1EES17_IbLb0EEEEDaS13_S14_EUlS13_E_NS1_11comp_targetILNS1_3genE4ELNS1_11target_archE910ELNS1_3gpuE8ELNS1_3repE0EEENS1_30default_config_static_selectorELNS0_4arch9wavefront6targetE0EEEvT1_
		.amdhsa_group_segment_fixed_size 0
		.amdhsa_private_segment_fixed_size 0
		.amdhsa_kernarg_size 112
		.amdhsa_user_sgpr_count 2
		.amdhsa_user_sgpr_dispatch_ptr 0
		.amdhsa_user_sgpr_queue_ptr 0
		.amdhsa_user_sgpr_kernarg_segment_ptr 1
		.amdhsa_user_sgpr_dispatch_id 0
		.amdhsa_user_sgpr_private_segment_size 0
		.amdhsa_wavefront_size32 1
		.amdhsa_uses_dynamic_stack 0
		.amdhsa_enable_private_segment 0
		.amdhsa_system_sgpr_workgroup_id_x 1
		.amdhsa_system_sgpr_workgroup_id_y 0
		.amdhsa_system_sgpr_workgroup_id_z 0
		.amdhsa_system_sgpr_workgroup_info 0
		.amdhsa_system_vgpr_workitem_id 0
		.amdhsa_next_free_vgpr 1
		.amdhsa_next_free_sgpr 1
		.amdhsa_reserve_vcc 0
		.amdhsa_float_round_mode_32 0
		.amdhsa_float_round_mode_16_64 0
		.amdhsa_float_denorm_mode_32 3
		.amdhsa_float_denorm_mode_16_64 3
		.amdhsa_fp16_overflow 0
		.amdhsa_workgroup_processor_mode 1
		.amdhsa_memory_ordered 1
		.amdhsa_forward_progress 1
		.amdhsa_inst_pref_size 0
		.amdhsa_round_robin_scheduling 0
		.amdhsa_exception_fp_ieee_invalid_op 0
		.amdhsa_exception_fp_denorm_src 0
		.amdhsa_exception_fp_ieee_div_zero 0
		.amdhsa_exception_fp_ieee_overflow 0
		.amdhsa_exception_fp_ieee_underflow 0
		.amdhsa_exception_fp_ieee_inexact 0
		.amdhsa_exception_int_div_zero 0
	.end_amdhsa_kernel
	.section	.text._ZN7rocprim17ROCPRIM_400000_NS6detail17trampoline_kernelINS0_14default_configENS1_25partition_config_selectorILNS1_17partition_subalgoE6EtNS0_10empty_typeEbEEZZNS1_14partition_implILS5_6ELb0ES3_mN6thrust23THRUST_200600_302600_NS6detail15normal_iteratorINSA_10device_ptrItEEEEPS6_SG_NS0_5tupleIJSF_S6_EEENSH_IJSG_SG_EEES6_PlJNSB_9not_fun_tINSB_14equal_to_valueItEEEEEEE10hipError_tPvRmT3_T4_T5_T6_T7_T9_mT8_P12ihipStream_tbDpT10_ENKUlT_T0_E_clISt17integral_constantIbLb1EES17_IbLb0EEEEDaS13_S14_EUlS13_E_NS1_11comp_targetILNS1_3genE4ELNS1_11target_archE910ELNS1_3gpuE8ELNS1_3repE0EEENS1_30default_config_static_selectorELNS0_4arch9wavefront6targetE0EEEvT1_,"axG",@progbits,_ZN7rocprim17ROCPRIM_400000_NS6detail17trampoline_kernelINS0_14default_configENS1_25partition_config_selectorILNS1_17partition_subalgoE6EtNS0_10empty_typeEbEEZZNS1_14partition_implILS5_6ELb0ES3_mN6thrust23THRUST_200600_302600_NS6detail15normal_iteratorINSA_10device_ptrItEEEEPS6_SG_NS0_5tupleIJSF_S6_EEENSH_IJSG_SG_EEES6_PlJNSB_9not_fun_tINSB_14equal_to_valueItEEEEEEE10hipError_tPvRmT3_T4_T5_T6_T7_T9_mT8_P12ihipStream_tbDpT10_ENKUlT_T0_E_clISt17integral_constantIbLb1EES17_IbLb0EEEEDaS13_S14_EUlS13_E_NS1_11comp_targetILNS1_3genE4ELNS1_11target_archE910ELNS1_3gpuE8ELNS1_3repE0EEENS1_30default_config_static_selectorELNS0_4arch9wavefront6targetE0EEEvT1_,comdat
.Lfunc_end423:
	.size	_ZN7rocprim17ROCPRIM_400000_NS6detail17trampoline_kernelINS0_14default_configENS1_25partition_config_selectorILNS1_17partition_subalgoE6EtNS0_10empty_typeEbEEZZNS1_14partition_implILS5_6ELb0ES3_mN6thrust23THRUST_200600_302600_NS6detail15normal_iteratorINSA_10device_ptrItEEEEPS6_SG_NS0_5tupleIJSF_S6_EEENSH_IJSG_SG_EEES6_PlJNSB_9not_fun_tINSB_14equal_to_valueItEEEEEEE10hipError_tPvRmT3_T4_T5_T6_T7_T9_mT8_P12ihipStream_tbDpT10_ENKUlT_T0_E_clISt17integral_constantIbLb1EES17_IbLb0EEEEDaS13_S14_EUlS13_E_NS1_11comp_targetILNS1_3genE4ELNS1_11target_archE910ELNS1_3gpuE8ELNS1_3repE0EEENS1_30default_config_static_selectorELNS0_4arch9wavefront6targetE0EEEvT1_, .Lfunc_end423-_ZN7rocprim17ROCPRIM_400000_NS6detail17trampoline_kernelINS0_14default_configENS1_25partition_config_selectorILNS1_17partition_subalgoE6EtNS0_10empty_typeEbEEZZNS1_14partition_implILS5_6ELb0ES3_mN6thrust23THRUST_200600_302600_NS6detail15normal_iteratorINSA_10device_ptrItEEEEPS6_SG_NS0_5tupleIJSF_S6_EEENSH_IJSG_SG_EEES6_PlJNSB_9not_fun_tINSB_14equal_to_valueItEEEEEEE10hipError_tPvRmT3_T4_T5_T6_T7_T9_mT8_P12ihipStream_tbDpT10_ENKUlT_T0_E_clISt17integral_constantIbLb1EES17_IbLb0EEEEDaS13_S14_EUlS13_E_NS1_11comp_targetILNS1_3genE4ELNS1_11target_archE910ELNS1_3gpuE8ELNS1_3repE0EEENS1_30default_config_static_selectorELNS0_4arch9wavefront6targetE0EEEvT1_
                                        ; -- End function
	.set _ZN7rocprim17ROCPRIM_400000_NS6detail17trampoline_kernelINS0_14default_configENS1_25partition_config_selectorILNS1_17partition_subalgoE6EtNS0_10empty_typeEbEEZZNS1_14partition_implILS5_6ELb0ES3_mN6thrust23THRUST_200600_302600_NS6detail15normal_iteratorINSA_10device_ptrItEEEEPS6_SG_NS0_5tupleIJSF_S6_EEENSH_IJSG_SG_EEES6_PlJNSB_9not_fun_tINSB_14equal_to_valueItEEEEEEE10hipError_tPvRmT3_T4_T5_T6_T7_T9_mT8_P12ihipStream_tbDpT10_ENKUlT_T0_E_clISt17integral_constantIbLb1EES17_IbLb0EEEEDaS13_S14_EUlS13_E_NS1_11comp_targetILNS1_3genE4ELNS1_11target_archE910ELNS1_3gpuE8ELNS1_3repE0EEENS1_30default_config_static_selectorELNS0_4arch9wavefront6targetE0EEEvT1_.num_vgpr, 0
	.set _ZN7rocprim17ROCPRIM_400000_NS6detail17trampoline_kernelINS0_14default_configENS1_25partition_config_selectorILNS1_17partition_subalgoE6EtNS0_10empty_typeEbEEZZNS1_14partition_implILS5_6ELb0ES3_mN6thrust23THRUST_200600_302600_NS6detail15normal_iteratorINSA_10device_ptrItEEEEPS6_SG_NS0_5tupleIJSF_S6_EEENSH_IJSG_SG_EEES6_PlJNSB_9not_fun_tINSB_14equal_to_valueItEEEEEEE10hipError_tPvRmT3_T4_T5_T6_T7_T9_mT8_P12ihipStream_tbDpT10_ENKUlT_T0_E_clISt17integral_constantIbLb1EES17_IbLb0EEEEDaS13_S14_EUlS13_E_NS1_11comp_targetILNS1_3genE4ELNS1_11target_archE910ELNS1_3gpuE8ELNS1_3repE0EEENS1_30default_config_static_selectorELNS0_4arch9wavefront6targetE0EEEvT1_.num_agpr, 0
	.set _ZN7rocprim17ROCPRIM_400000_NS6detail17trampoline_kernelINS0_14default_configENS1_25partition_config_selectorILNS1_17partition_subalgoE6EtNS0_10empty_typeEbEEZZNS1_14partition_implILS5_6ELb0ES3_mN6thrust23THRUST_200600_302600_NS6detail15normal_iteratorINSA_10device_ptrItEEEEPS6_SG_NS0_5tupleIJSF_S6_EEENSH_IJSG_SG_EEES6_PlJNSB_9not_fun_tINSB_14equal_to_valueItEEEEEEE10hipError_tPvRmT3_T4_T5_T6_T7_T9_mT8_P12ihipStream_tbDpT10_ENKUlT_T0_E_clISt17integral_constantIbLb1EES17_IbLb0EEEEDaS13_S14_EUlS13_E_NS1_11comp_targetILNS1_3genE4ELNS1_11target_archE910ELNS1_3gpuE8ELNS1_3repE0EEENS1_30default_config_static_selectorELNS0_4arch9wavefront6targetE0EEEvT1_.numbered_sgpr, 0
	.set _ZN7rocprim17ROCPRIM_400000_NS6detail17trampoline_kernelINS0_14default_configENS1_25partition_config_selectorILNS1_17partition_subalgoE6EtNS0_10empty_typeEbEEZZNS1_14partition_implILS5_6ELb0ES3_mN6thrust23THRUST_200600_302600_NS6detail15normal_iteratorINSA_10device_ptrItEEEEPS6_SG_NS0_5tupleIJSF_S6_EEENSH_IJSG_SG_EEES6_PlJNSB_9not_fun_tINSB_14equal_to_valueItEEEEEEE10hipError_tPvRmT3_T4_T5_T6_T7_T9_mT8_P12ihipStream_tbDpT10_ENKUlT_T0_E_clISt17integral_constantIbLb1EES17_IbLb0EEEEDaS13_S14_EUlS13_E_NS1_11comp_targetILNS1_3genE4ELNS1_11target_archE910ELNS1_3gpuE8ELNS1_3repE0EEENS1_30default_config_static_selectorELNS0_4arch9wavefront6targetE0EEEvT1_.num_named_barrier, 0
	.set _ZN7rocprim17ROCPRIM_400000_NS6detail17trampoline_kernelINS0_14default_configENS1_25partition_config_selectorILNS1_17partition_subalgoE6EtNS0_10empty_typeEbEEZZNS1_14partition_implILS5_6ELb0ES3_mN6thrust23THRUST_200600_302600_NS6detail15normal_iteratorINSA_10device_ptrItEEEEPS6_SG_NS0_5tupleIJSF_S6_EEENSH_IJSG_SG_EEES6_PlJNSB_9not_fun_tINSB_14equal_to_valueItEEEEEEE10hipError_tPvRmT3_T4_T5_T6_T7_T9_mT8_P12ihipStream_tbDpT10_ENKUlT_T0_E_clISt17integral_constantIbLb1EES17_IbLb0EEEEDaS13_S14_EUlS13_E_NS1_11comp_targetILNS1_3genE4ELNS1_11target_archE910ELNS1_3gpuE8ELNS1_3repE0EEENS1_30default_config_static_selectorELNS0_4arch9wavefront6targetE0EEEvT1_.private_seg_size, 0
	.set _ZN7rocprim17ROCPRIM_400000_NS6detail17trampoline_kernelINS0_14default_configENS1_25partition_config_selectorILNS1_17partition_subalgoE6EtNS0_10empty_typeEbEEZZNS1_14partition_implILS5_6ELb0ES3_mN6thrust23THRUST_200600_302600_NS6detail15normal_iteratorINSA_10device_ptrItEEEEPS6_SG_NS0_5tupleIJSF_S6_EEENSH_IJSG_SG_EEES6_PlJNSB_9not_fun_tINSB_14equal_to_valueItEEEEEEE10hipError_tPvRmT3_T4_T5_T6_T7_T9_mT8_P12ihipStream_tbDpT10_ENKUlT_T0_E_clISt17integral_constantIbLb1EES17_IbLb0EEEEDaS13_S14_EUlS13_E_NS1_11comp_targetILNS1_3genE4ELNS1_11target_archE910ELNS1_3gpuE8ELNS1_3repE0EEENS1_30default_config_static_selectorELNS0_4arch9wavefront6targetE0EEEvT1_.uses_vcc, 0
	.set _ZN7rocprim17ROCPRIM_400000_NS6detail17trampoline_kernelINS0_14default_configENS1_25partition_config_selectorILNS1_17partition_subalgoE6EtNS0_10empty_typeEbEEZZNS1_14partition_implILS5_6ELb0ES3_mN6thrust23THRUST_200600_302600_NS6detail15normal_iteratorINSA_10device_ptrItEEEEPS6_SG_NS0_5tupleIJSF_S6_EEENSH_IJSG_SG_EEES6_PlJNSB_9not_fun_tINSB_14equal_to_valueItEEEEEEE10hipError_tPvRmT3_T4_T5_T6_T7_T9_mT8_P12ihipStream_tbDpT10_ENKUlT_T0_E_clISt17integral_constantIbLb1EES17_IbLb0EEEEDaS13_S14_EUlS13_E_NS1_11comp_targetILNS1_3genE4ELNS1_11target_archE910ELNS1_3gpuE8ELNS1_3repE0EEENS1_30default_config_static_selectorELNS0_4arch9wavefront6targetE0EEEvT1_.uses_flat_scratch, 0
	.set _ZN7rocprim17ROCPRIM_400000_NS6detail17trampoline_kernelINS0_14default_configENS1_25partition_config_selectorILNS1_17partition_subalgoE6EtNS0_10empty_typeEbEEZZNS1_14partition_implILS5_6ELb0ES3_mN6thrust23THRUST_200600_302600_NS6detail15normal_iteratorINSA_10device_ptrItEEEEPS6_SG_NS0_5tupleIJSF_S6_EEENSH_IJSG_SG_EEES6_PlJNSB_9not_fun_tINSB_14equal_to_valueItEEEEEEE10hipError_tPvRmT3_T4_T5_T6_T7_T9_mT8_P12ihipStream_tbDpT10_ENKUlT_T0_E_clISt17integral_constantIbLb1EES17_IbLb0EEEEDaS13_S14_EUlS13_E_NS1_11comp_targetILNS1_3genE4ELNS1_11target_archE910ELNS1_3gpuE8ELNS1_3repE0EEENS1_30default_config_static_selectorELNS0_4arch9wavefront6targetE0EEEvT1_.has_dyn_sized_stack, 0
	.set _ZN7rocprim17ROCPRIM_400000_NS6detail17trampoline_kernelINS0_14default_configENS1_25partition_config_selectorILNS1_17partition_subalgoE6EtNS0_10empty_typeEbEEZZNS1_14partition_implILS5_6ELb0ES3_mN6thrust23THRUST_200600_302600_NS6detail15normal_iteratorINSA_10device_ptrItEEEEPS6_SG_NS0_5tupleIJSF_S6_EEENSH_IJSG_SG_EEES6_PlJNSB_9not_fun_tINSB_14equal_to_valueItEEEEEEE10hipError_tPvRmT3_T4_T5_T6_T7_T9_mT8_P12ihipStream_tbDpT10_ENKUlT_T0_E_clISt17integral_constantIbLb1EES17_IbLb0EEEEDaS13_S14_EUlS13_E_NS1_11comp_targetILNS1_3genE4ELNS1_11target_archE910ELNS1_3gpuE8ELNS1_3repE0EEENS1_30default_config_static_selectorELNS0_4arch9wavefront6targetE0EEEvT1_.has_recursion, 0
	.set _ZN7rocprim17ROCPRIM_400000_NS6detail17trampoline_kernelINS0_14default_configENS1_25partition_config_selectorILNS1_17partition_subalgoE6EtNS0_10empty_typeEbEEZZNS1_14partition_implILS5_6ELb0ES3_mN6thrust23THRUST_200600_302600_NS6detail15normal_iteratorINSA_10device_ptrItEEEEPS6_SG_NS0_5tupleIJSF_S6_EEENSH_IJSG_SG_EEES6_PlJNSB_9not_fun_tINSB_14equal_to_valueItEEEEEEE10hipError_tPvRmT3_T4_T5_T6_T7_T9_mT8_P12ihipStream_tbDpT10_ENKUlT_T0_E_clISt17integral_constantIbLb1EES17_IbLb0EEEEDaS13_S14_EUlS13_E_NS1_11comp_targetILNS1_3genE4ELNS1_11target_archE910ELNS1_3gpuE8ELNS1_3repE0EEENS1_30default_config_static_selectorELNS0_4arch9wavefront6targetE0EEEvT1_.has_indirect_call, 0
	.section	.AMDGPU.csdata,"",@progbits
; Kernel info:
; codeLenInByte = 0
; TotalNumSgprs: 0
; NumVgprs: 0
; ScratchSize: 0
; MemoryBound: 0
; FloatMode: 240
; IeeeMode: 1
; LDSByteSize: 0 bytes/workgroup (compile time only)
; SGPRBlocks: 0
; VGPRBlocks: 0
; NumSGPRsForWavesPerEU: 1
; NumVGPRsForWavesPerEU: 1
; Occupancy: 16
; WaveLimiterHint : 0
; COMPUTE_PGM_RSRC2:SCRATCH_EN: 0
; COMPUTE_PGM_RSRC2:USER_SGPR: 2
; COMPUTE_PGM_RSRC2:TRAP_HANDLER: 0
; COMPUTE_PGM_RSRC2:TGID_X_EN: 1
; COMPUTE_PGM_RSRC2:TGID_Y_EN: 0
; COMPUTE_PGM_RSRC2:TGID_Z_EN: 0
; COMPUTE_PGM_RSRC2:TIDIG_COMP_CNT: 0
	.section	.text._ZN7rocprim17ROCPRIM_400000_NS6detail17trampoline_kernelINS0_14default_configENS1_25partition_config_selectorILNS1_17partition_subalgoE6EtNS0_10empty_typeEbEEZZNS1_14partition_implILS5_6ELb0ES3_mN6thrust23THRUST_200600_302600_NS6detail15normal_iteratorINSA_10device_ptrItEEEEPS6_SG_NS0_5tupleIJSF_S6_EEENSH_IJSG_SG_EEES6_PlJNSB_9not_fun_tINSB_14equal_to_valueItEEEEEEE10hipError_tPvRmT3_T4_T5_T6_T7_T9_mT8_P12ihipStream_tbDpT10_ENKUlT_T0_E_clISt17integral_constantIbLb1EES17_IbLb0EEEEDaS13_S14_EUlS13_E_NS1_11comp_targetILNS1_3genE3ELNS1_11target_archE908ELNS1_3gpuE7ELNS1_3repE0EEENS1_30default_config_static_selectorELNS0_4arch9wavefront6targetE0EEEvT1_,"axG",@progbits,_ZN7rocprim17ROCPRIM_400000_NS6detail17trampoline_kernelINS0_14default_configENS1_25partition_config_selectorILNS1_17partition_subalgoE6EtNS0_10empty_typeEbEEZZNS1_14partition_implILS5_6ELb0ES3_mN6thrust23THRUST_200600_302600_NS6detail15normal_iteratorINSA_10device_ptrItEEEEPS6_SG_NS0_5tupleIJSF_S6_EEENSH_IJSG_SG_EEES6_PlJNSB_9not_fun_tINSB_14equal_to_valueItEEEEEEE10hipError_tPvRmT3_T4_T5_T6_T7_T9_mT8_P12ihipStream_tbDpT10_ENKUlT_T0_E_clISt17integral_constantIbLb1EES17_IbLb0EEEEDaS13_S14_EUlS13_E_NS1_11comp_targetILNS1_3genE3ELNS1_11target_archE908ELNS1_3gpuE7ELNS1_3repE0EEENS1_30default_config_static_selectorELNS0_4arch9wavefront6targetE0EEEvT1_,comdat
	.protected	_ZN7rocprim17ROCPRIM_400000_NS6detail17trampoline_kernelINS0_14default_configENS1_25partition_config_selectorILNS1_17partition_subalgoE6EtNS0_10empty_typeEbEEZZNS1_14partition_implILS5_6ELb0ES3_mN6thrust23THRUST_200600_302600_NS6detail15normal_iteratorINSA_10device_ptrItEEEEPS6_SG_NS0_5tupleIJSF_S6_EEENSH_IJSG_SG_EEES6_PlJNSB_9not_fun_tINSB_14equal_to_valueItEEEEEEE10hipError_tPvRmT3_T4_T5_T6_T7_T9_mT8_P12ihipStream_tbDpT10_ENKUlT_T0_E_clISt17integral_constantIbLb1EES17_IbLb0EEEEDaS13_S14_EUlS13_E_NS1_11comp_targetILNS1_3genE3ELNS1_11target_archE908ELNS1_3gpuE7ELNS1_3repE0EEENS1_30default_config_static_selectorELNS0_4arch9wavefront6targetE0EEEvT1_ ; -- Begin function _ZN7rocprim17ROCPRIM_400000_NS6detail17trampoline_kernelINS0_14default_configENS1_25partition_config_selectorILNS1_17partition_subalgoE6EtNS0_10empty_typeEbEEZZNS1_14partition_implILS5_6ELb0ES3_mN6thrust23THRUST_200600_302600_NS6detail15normal_iteratorINSA_10device_ptrItEEEEPS6_SG_NS0_5tupleIJSF_S6_EEENSH_IJSG_SG_EEES6_PlJNSB_9not_fun_tINSB_14equal_to_valueItEEEEEEE10hipError_tPvRmT3_T4_T5_T6_T7_T9_mT8_P12ihipStream_tbDpT10_ENKUlT_T0_E_clISt17integral_constantIbLb1EES17_IbLb0EEEEDaS13_S14_EUlS13_E_NS1_11comp_targetILNS1_3genE3ELNS1_11target_archE908ELNS1_3gpuE7ELNS1_3repE0EEENS1_30default_config_static_selectorELNS0_4arch9wavefront6targetE0EEEvT1_
	.globl	_ZN7rocprim17ROCPRIM_400000_NS6detail17trampoline_kernelINS0_14default_configENS1_25partition_config_selectorILNS1_17partition_subalgoE6EtNS0_10empty_typeEbEEZZNS1_14partition_implILS5_6ELb0ES3_mN6thrust23THRUST_200600_302600_NS6detail15normal_iteratorINSA_10device_ptrItEEEEPS6_SG_NS0_5tupleIJSF_S6_EEENSH_IJSG_SG_EEES6_PlJNSB_9not_fun_tINSB_14equal_to_valueItEEEEEEE10hipError_tPvRmT3_T4_T5_T6_T7_T9_mT8_P12ihipStream_tbDpT10_ENKUlT_T0_E_clISt17integral_constantIbLb1EES17_IbLb0EEEEDaS13_S14_EUlS13_E_NS1_11comp_targetILNS1_3genE3ELNS1_11target_archE908ELNS1_3gpuE7ELNS1_3repE0EEENS1_30default_config_static_selectorELNS0_4arch9wavefront6targetE0EEEvT1_
	.p2align	8
	.type	_ZN7rocprim17ROCPRIM_400000_NS6detail17trampoline_kernelINS0_14default_configENS1_25partition_config_selectorILNS1_17partition_subalgoE6EtNS0_10empty_typeEbEEZZNS1_14partition_implILS5_6ELb0ES3_mN6thrust23THRUST_200600_302600_NS6detail15normal_iteratorINSA_10device_ptrItEEEEPS6_SG_NS0_5tupleIJSF_S6_EEENSH_IJSG_SG_EEES6_PlJNSB_9not_fun_tINSB_14equal_to_valueItEEEEEEE10hipError_tPvRmT3_T4_T5_T6_T7_T9_mT8_P12ihipStream_tbDpT10_ENKUlT_T0_E_clISt17integral_constantIbLb1EES17_IbLb0EEEEDaS13_S14_EUlS13_E_NS1_11comp_targetILNS1_3genE3ELNS1_11target_archE908ELNS1_3gpuE7ELNS1_3repE0EEENS1_30default_config_static_selectorELNS0_4arch9wavefront6targetE0EEEvT1_,@function
_ZN7rocprim17ROCPRIM_400000_NS6detail17trampoline_kernelINS0_14default_configENS1_25partition_config_selectorILNS1_17partition_subalgoE6EtNS0_10empty_typeEbEEZZNS1_14partition_implILS5_6ELb0ES3_mN6thrust23THRUST_200600_302600_NS6detail15normal_iteratorINSA_10device_ptrItEEEEPS6_SG_NS0_5tupleIJSF_S6_EEENSH_IJSG_SG_EEES6_PlJNSB_9not_fun_tINSB_14equal_to_valueItEEEEEEE10hipError_tPvRmT3_T4_T5_T6_T7_T9_mT8_P12ihipStream_tbDpT10_ENKUlT_T0_E_clISt17integral_constantIbLb1EES17_IbLb0EEEEDaS13_S14_EUlS13_E_NS1_11comp_targetILNS1_3genE3ELNS1_11target_archE908ELNS1_3gpuE7ELNS1_3repE0EEENS1_30default_config_static_selectorELNS0_4arch9wavefront6targetE0EEEvT1_: ; @_ZN7rocprim17ROCPRIM_400000_NS6detail17trampoline_kernelINS0_14default_configENS1_25partition_config_selectorILNS1_17partition_subalgoE6EtNS0_10empty_typeEbEEZZNS1_14partition_implILS5_6ELb0ES3_mN6thrust23THRUST_200600_302600_NS6detail15normal_iteratorINSA_10device_ptrItEEEEPS6_SG_NS0_5tupleIJSF_S6_EEENSH_IJSG_SG_EEES6_PlJNSB_9not_fun_tINSB_14equal_to_valueItEEEEEEE10hipError_tPvRmT3_T4_T5_T6_T7_T9_mT8_P12ihipStream_tbDpT10_ENKUlT_T0_E_clISt17integral_constantIbLb1EES17_IbLb0EEEEDaS13_S14_EUlS13_E_NS1_11comp_targetILNS1_3genE3ELNS1_11target_archE908ELNS1_3gpuE7ELNS1_3repE0EEENS1_30default_config_static_selectorELNS0_4arch9wavefront6targetE0EEEvT1_
; %bb.0:
	.section	.rodata,"a",@progbits
	.p2align	6, 0x0
	.amdhsa_kernel _ZN7rocprim17ROCPRIM_400000_NS6detail17trampoline_kernelINS0_14default_configENS1_25partition_config_selectorILNS1_17partition_subalgoE6EtNS0_10empty_typeEbEEZZNS1_14partition_implILS5_6ELb0ES3_mN6thrust23THRUST_200600_302600_NS6detail15normal_iteratorINSA_10device_ptrItEEEEPS6_SG_NS0_5tupleIJSF_S6_EEENSH_IJSG_SG_EEES6_PlJNSB_9not_fun_tINSB_14equal_to_valueItEEEEEEE10hipError_tPvRmT3_T4_T5_T6_T7_T9_mT8_P12ihipStream_tbDpT10_ENKUlT_T0_E_clISt17integral_constantIbLb1EES17_IbLb0EEEEDaS13_S14_EUlS13_E_NS1_11comp_targetILNS1_3genE3ELNS1_11target_archE908ELNS1_3gpuE7ELNS1_3repE0EEENS1_30default_config_static_selectorELNS0_4arch9wavefront6targetE0EEEvT1_
		.amdhsa_group_segment_fixed_size 0
		.amdhsa_private_segment_fixed_size 0
		.amdhsa_kernarg_size 112
		.amdhsa_user_sgpr_count 2
		.amdhsa_user_sgpr_dispatch_ptr 0
		.amdhsa_user_sgpr_queue_ptr 0
		.amdhsa_user_sgpr_kernarg_segment_ptr 1
		.amdhsa_user_sgpr_dispatch_id 0
		.amdhsa_user_sgpr_private_segment_size 0
		.amdhsa_wavefront_size32 1
		.amdhsa_uses_dynamic_stack 0
		.amdhsa_enable_private_segment 0
		.amdhsa_system_sgpr_workgroup_id_x 1
		.amdhsa_system_sgpr_workgroup_id_y 0
		.amdhsa_system_sgpr_workgroup_id_z 0
		.amdhsa_system_sgpr_workgroup_info 0
		.amdhsa_system_vgpr_workitem_id 0
		.amdhsa_next_free_vgpr 1
		.amdhsa_next_free_sgpr 1
		.amdhsa_reserve_vcc 0
		.amdhsa_float_round_mode_32 0
		.amdhsa_float_round_mode_16_64 0
		.amdhsa_float_denorm_mode_32 3
		.amdhsa_float_denorm_mode_16_64 3
		.amdhsa_fp16_overflow 0
		.amdhsa_workgroup_processor_mode 1
		.amdhsa_memory_ordered 1
		.amdhsa_forward_progress 1
		.amdhsa_inst_pref_size 0
		.amdhsa_round_robin_scheduling 0
		.amdhsa_exception_fp_ieee_invalid_op 0
		.amdhsa_exception_fp_denorm_src 0
		.amdhsa_exception_fp_ieee_div_zero 0
		.amdhsa_exception_fp_ieee_overflow 0
		.amdhsa_exception_fp_ieee_underflow 0
		.amdhsa_exception_fp_ieee_inexact 0
		.amdhsa_exception_int_div_zero 0
	.end_amdhsa_kernel
	.section	.text._ZN7rocprim17ROCPRIM_400000_NS6detail17trampoline_kernelINS0_14default_configENS1_25partition_config_selectorILNS1_17partition_subalgoE6EtNS0_10empty_typeEbEEZZNS1_14partition_implILS5_6ELb0ES3_mN6thrust23THRUST_200600_302600_NS6detail15normal_iteratorINSA_10device_ptrItEEEEPS6_SG_NS0_5tupleIJSF_S6_EEENSH_IJSG_SG_EEES6_PlJNSB_9not_fun_tINSB_14equal_to_valueItEEEEEEE10hipError_tPvRmT3_T4_T5_T6_T7_T9_mT8_P12ihipStream_tbDpT10_ENKUlT_T0_E_clISt17integral_constantIbLb1EES17_IbLb0EEEEDaS13_S14_EUlS13_E_NS1_11comp_targetILNS1_3genE3ELNS1_11target_archE908ELNS1_3gpuE7ELNS1_3repE0EEENS1_30default_config_static_selectorELNS0_4arch9wavefront6targetE0EEEvT1_,"axG",@progbits,_ZN7rocprim17ROCPRIM_400000_NS6detail17trampoline_kernelINS0_14default_configENS1_25partition_config_selectorILNS1_17partition_subalgoE6EtNS0_10empty_typeEbEEZZNS1_14partition_implILS5_6ELb0ES3_mN6thrust23THRUST_200600_302600_NS6detail15normal_iteratorINSA_10device_ptrItEEEEPS6_SG_NS0_5tupleIJSF_S6_EEENSH_IJSG_SG_EEES6_PlJNSB_9not_fun_tINSB_14equal_to_valueItEEEEEEE10hipError_tPvRmT3_T4_T5_T6_T7_T9_mT8_P12ihipStream_tbDpT10_ENKUlT_T0_E_clISt17integral_constantIbLb1EES17_IbLb0EEEEDaS13_S14_EUlS13_E_NS1_11comp_targetILNS1_3genE3ELNS1_11target_archE908ELNS1_3gpuE7ELNS1_3repE0EEENS1_30default_config_static_selectorELNS0_4arch9wavefront6targetE0EEEvT1_,comdat
.Lfunc_end424:
	.size	_ZN7rocprim17ROCPRIM_400000_NS6detail17trampoline_kernelINS0_14default_configENS1_25partition_config_selectorILNS1_17partition_subalgoE6EtNS0_10empty_typeEbEEZZNS1_14partition_implILS5_6ELb0ES3_mN6thrust23THRUST_200600_302600_NS6detail15normal_iteratorINSA_10device_ptrItEEEEPS6_SG_NS0_5tupleIJSF_S6_EEENSH_IJSG_SG_EEES6_PlJNSB_9not_fun_tINSB_14equal_to_valueItEEEEEEE10hipError_tPvRmT3_T4_T5_T6_T7_T9_mT8_P12ihipStream_tbDpT10_ENKUlT_T0_E_clISt17integral_constantIbLb1EES17_IbLb0EEEEDaS13_S14_EUlS13_E_NS1_11comp_targetILNS1_3genE3ELNS1_11target_archE908ELNS1_3gpuE7ELNS1_3repE0EEENS1_30default_config_static_selectorELNS0_4arch9wavefront6targetE0EEEvT1_, .Lfunc_end424-_ZN7rocprim17ROCPRIM_400000_NS6detail17trampoline_kernelINS0_14default_configENS1_25partition_config_selectorILNS1_17partition_subalgoE6EtNS0_10empty_typeEbEEZZNS1_14partition_implILS5_6ELb0ES3_mN6thrust23THRUST_200600_302600_NS6detail15normal_iteratorINSA_10device_ptrItEEEEPS6_SG_NS0_5tupleIJSF_S6_EEENSH_IJSG_SG_EEES6_PlJNSB_9not_fun_tINSB_14equal_to_valueItEEEEEEE10hipError_tPvRmT3_T4_T5_T6_T7_T9_mT8_P12ihipStream_tbDpT10_ENKUlT_T0_E_clISt17integral_constantIbLb1EES17_IbLb0EEEEDaS13_S14_EUlS13_E_NS1_11comp_targetILNS1_3genE3ELNS1_11target_archE908ELNS1_3gpuE7ELNS1_3repE0EEENS1_30default_config_static_selectorELNS0_4arch9wavefront6targetE0EEEvT1_
                                        ; -- End function
	.set _ZN7rocprim17ROCPRIM_400000_NS6detail17trampoline_kernelINS0_14default_configENS1_25partition_config_selectorILNS1_17partition_subalgoE6EtNS0_10empty_typeEbEEZZNS1_14partition_implILS5_6ELb0ES3_mN6thrust23THRUST_200600_302600_NS6detail15normal_iteratorINSA_10device_ptrItEEEEPS6_SG_NS0_5tupleIJSF_S6_EEENSH_IJSG_SG_EEES6_PlJNSB_9not_fun_tINSB_14equal_to_valueItEEEEEEE10hipError_tPvRmT3_T4_T5_T6_T7_T9_mT8_P12ihipStream_tbDpT10_ENKUlT_T0_E_clISt17integral_constantIbLb1EES17_IbLb0EEEEDaS13_S14_EUlS13_E_NS1_11comp_targetILNS1_3genE3ELNS1_11target_archE908ELNS1_3gpuE7ELNS1_3repE0EEENS1_30default_config_static_selectorELNS0_4arch9wavefront6targetE0EEEvT1_.num_vgpr, 0
	.set _ZN7rocprim17ROCPRIM_400000_NS6detail17trampoline_kernelINS0_14default_configENS1_25partition_config_selectorILNS1_17partition_subalgoE6EtNS0_10empty_typeEbEEZZNS1_14partition_implILS5_6ELb0ES3_mN6thrust23THRUST_200600_302600_NS6detail15normal_iteratorINSA_10device_ptrItEEEEPS6_SG_NS0_5tupleIJSF_S6_EEENSH_IJSG_SG_EEES6_PlJNSB_9not_fun_tINSB_14equal_to_valueItEEEEEEE10hipError_tPvRmT3_T4_T5_T6_T7_T9_mT8_P12ihipStream_tbDpT10_ENKUlT_T0_E_clISt17integral_constantIbLb1EES17_IbLb0EEEEDaS13_S14_EUlS13_E_NS1_11comp_targetILNS1_3genE3ELNS1_11target_archE908ELNS1_3gpuE7ELNS1_3repE0EEENS1_30default_config_static_selectorELNS0_4arch9wavefront6targetE0EEEvT1_.num_agpr, 0
	.set _ZN7rocprim17ROCPRIM_400000_NS6detail17trampoline_kernelINS0_14default_configENS1_25partition_config_selectorILNS1_17partition_subalgoE6EtNS0_10empty_typeEbEEZZNS1_14partition_implILS5_6ELb0ES3_mN6thrust23THRUST_200600_302600_NS6detail15normal_iteratorINSA_10device_ptrItEEEEPS6_SG_NS0_5tupleIJSF_S6_EEENSH_IJSG_SG_EEES6_PlJNSB_9not_fun_tINSB_14equal_to_valueItEEEEEEE10hipError_tPvRmT3_T4_T5_T6_T7_T9_mT8_P12ihipStream_tbDpT10_ENKUlT_T0_E_clISt17integral_constantIbLb1EES17_IbLb0EEEEDaS13_S14_EUlS13_E_NS1_11comp_targetILNS1_3genE3ELNS1_11target_archE908ELNS1_3gpuE7ELNS1_3repE0EEENS1_30default_config_static_selectorELNS0_4arch9wavefront6targetE0EEEvT1_.numbered_sgpr, 0
	.set _ZN7rocprim17ROCPRIM_400000_NS6detail17trampoline_kernelINS0_14default_configENS1_25partition_config_selectorILNS1_17partition_subalgoE6EtNS0_10empty_typeEbEEZZNS1_14partition_implILS5_6ELb0ES3_mN6thrust23THRUST_200600_302600_NS6detail15normal_iteratorINSA_10device_ptrItEEEEPS6_SG_NS0_5tupleIJSF_S6_EEENSH_IJSG_SG_EEES6_PlJNSB_9not_fun_tINSB_14equal_to_valueItEEEEEEE10hipError_tPvRmT3_T4_T5_T6_T7_T9_mT8_P12ihipStream_tbDpT10_ENKUlT_T0_E_clISt17integral_constantIbLb1EES17_IbLb0EEEEDaS13_S14_EUlS13_E_NS1_11comp_targetILNS1_3genE3ELNS1_11target_archE908ELNS1_3gpuE7ELNS1_3repE0EEENS1_30default_config_static_selectorELNS0_4arch9wavefront6targetE0EEEvT1_.num_named_barrier, 0
	.set _ZN7rocprim17ROCPRIM_400000_NS6detail17trampoline_kernelINS0_14default_configENS1_25partition_config_selectorILNS1_17partition_subalgoE6EtNS0_10empty_typeEbEEZZNS1_14partition_implILS5_6ELb0ES3_mN6thrust23THRUST_200600_302600_NS6detail15normal_iteratorINSA_10device_ptrItEEEEPS6_SG_NS0_5tupleIJSF_S6_EEENSH_IJSG_SG_EEES6_PlJNSB_9not_fun_tINSB_14equal_to_valueItEEEEEEE10hipError_tPvRmT3_T4_T5_T6_T7_T9_mT8_P12ihipStream_tbDpT10_ENKUlT_T0_E_clISt17integral_constantIbLb1EES17_IbLb0EEEEDaS13_S14_EUlS13_E_NS1_11comp_targetILNS1_3genE3ELNS1_11target_archE908ELNS1_3gpuE7ELNS1_3repE0EEENS1_30default_config_static_selectorELNS0_4arch9wavefront6targetE0EEEvT1_.private_seg_size, 0
	.set _ZN7rocprim17ROCPRIM_400000_NS6detail17trampoline_kernelINS0_14default_configENS1_25partition_config_selectorILNS1_17partition_subalgoE6EtNS0_10empty_typeEbEEZZNS1_14partition_implILS5_6ELb0ES3_mN6thrust23THRUST_200600_302600_NS6detail15normal_iteratorINSA_10device_ptrItEEEEPS6_SG_NS0_5tupleIJSF_S6_EEENSH_IJSG_SG_EEES6_PlJNSB_9not_fun_tINSB_14equal_to_valueItEEEEEEE10hipError_tPvRmT3_T4_T5_T6_T7_T9_mT8_P12ihipStream_tbDpT10_ENKUlT_T0_E_clISt17integral_constantIbLb1EES17_IbLb0EEEEDaS13_S14_EUlS13_E_NS1_11comp_targetILNS1_3genE3ELNS1_11target_archE908ELNS1_3gpuE7ELNS1_3repE0EEENS1_30default_config_static_selectorELNS0_4arch9wavefront6targetE0EEEvT1_.uses_vcc, 0
	.set _ZN7rocprim17ROCPRIM_400000_NS6detail17trampoline_kernelINS0_14default_configENS1_25partition_config_selectorILNS1_17partition_subalgoE6EtNS0_10empty_typeEbEEZZNS1_14partition_implILS5_6ELb0ES3_mN6thrust23THRUST_200600_302600_NS6detail15normal_iteratorINSA_10device_ptrItEEEEPS6_SG_NS0_5tupleIJSF_S6_EEENSH_IJSG_SG_EEES6_PlJNSB_9not_fun_tINSB_14equal_to_valueItEEEEEEE10hipError_tPvRmT3_T4_T5_T6_T7_T9_mT8_P12ihipStream_tbDpT10_ENKUlT_T0_E_clISt17integral_constantIbLb1EES17_IbLb0EEEEDaS13_S14_EUlS13_E_NS1_11comp_targetILNS1_3genE3ELNS1_11target_archE908ELNS1_3gpuE7ELNS1_3repE0EEENS1_30default_config_static_selectorELNS0_4arch9wavefront6targetE0EEEvT1_.uses_flat_scratch, 0
	.set _ZN7rocprim17ROCPRIM_400000_NS6detail17trampoline_kernelINS0_14default_configENS1_25partition_config_selectorILNS1_17partition_subalgoE6EtNS0_10empty_typeEbEEZZNS1_14partition_implILS5_6ELb0ES3_mN6thrust23THRUST_200600_302600_NS6detail15normal_iteratorINSA_10device_ptrItEEEEPS6_SG_NS0_5tupleIJSF_S6_EEENSH_IJSG_SG_EEES6_PlJNSB_9not_fun_tINSB_14equal_to_valueItEEEEEEE10hipError_tPvRmT3_T4_T5_T6_T7_T9_mT8_P12ihipStream_tbDpT10_ENKUlT_T0_E_clISt17integral_constantIbLb1EES17_IbLb0EEEEDaS13_S14_EUlS13_E_NS1_11comp_targetILNS1_3genE3ELNS1_11target_archE908ELNS1_3gpuE7ELNS1_3repE0EEENS1_30default_config_static_selectorELNS0_4arch9wavefront6targetE0EEEvT1_.has_dyn_sized_stack, 0
	.set _ZN7rocprim17ROCPRIM_400000_NS6detail17trampoline_kernelINS0_14default_configENS1_25partition_config_selectorILNS1_17partition_subalgoE6EtNS0_10empty_typeEbEEZZNS1_14partition_implILS5_6ELb0ES3_mN6thrust23THRUST_200600_302600_NS6detail15normal_iteratorINSA_10device_ptrItEEEEPS6_SG_NS0_5tupleIJSF_S6_EEENSH_IJSG_SG_EEES6_PlJNSB_9not_fun_tINSB_14equal_to_valueItEEEEEEE10hipError_tPvRmT3_T4_T5_T6_T7_T9_mT8_P12ihipStream_tbDpT10_ENKUlT_T0_E_clISt17integral_constantIbLb1EES17_IbLb0EEEEDaS13_S14_EUlS13_E_NS1_11comp_targetILNS1_3genE3ELNS1_11target_archE908ELNS1_3gpuE7ELNS1_3repE0EEENS1_30default_config_static_selectorELNS0_4arch9wavefront6targetE0EEEvT1_.has_recursion, 0
	.set _ZN7rocprim17ROCPRIM_400000_NS6detail17trampoline_kernelINS0_14default_configENS1_25partition_config_selectorILNS1_17partition_subalgoE6EtNS0_10empty_typeEbEEZZNS1_14partition_implILS5_6ELb0ES3_mN6thrust23THRUST_200600_302600_NS6detail15normal_iteratorINSA_10device_ptrItEEEEPS6_SG_NS0_5tupleIJSF_S6_EEENSH_IJSG_SG_EEES6_PlJNSB_9not_fun_tINSB_14equal_to_valueItEEEEEEE10hipError_tPvRmT3_T4_T5_T6_T7_T9_mT8_P12ihipStream_tbDpT10_ENKUlT_T0_E_clISt17integral_constantIbLb1EES17_IbLb0EEEEDaS13_S14_EUlS13_E_NS1_11comp_targetILNS1_3genE3ELNS1_11target_archE908ELNS1_3gpuE7ELNS1_3repE0EEENS1_30default_config_static_selectorELNS0_4arch9wavefront6targetE0EEEvT1_.has_indirect_call, 0
	.section	.AMDGPU.csdata,"",@progbits
; Kernel info:
; codeLenInByte = 0
; TotalNumSgprs: 0
; NumVgprs: 0
; ScratchSize: 0
; MemoryBound: 0
; FloatMode: 240
; IeeeMode: 1
; LDSByteSize: 0 bytes/workgroup (compile time only)
; SGPRBlocks: 0
; VGPRBlocks: 0
; NumSGPRsForWavesPerEU: 1
; NumVGPRsForWavesPerEU: 1
; Occupancy: 16
; WaveLimiterHint : 0
; COMPUTE_PGM_RSRC2:SCRATCH_EN: 0
; COMPUTE_PGM_RSRC2:USER_SGPR: 2
; COMPUTE_PGM_RSRC2:TRAP_HANDLER: 0
; COMPUTE_PGM_RSRC2:TGID_X_EN: 1
; COMPUTE_PGM_RSRC2:TGID_Y_EN: 0
; COMPUTE_PGM_RSRC2:TGID_Z_EN: 0
; COMPUTE_PGM_RSRC2:TIDIG_COMP_CNT: 0
	.section	.text._ZN7rocprim17ROCPRIM_400000_NS6detail17trampoline_kernelINS0_14default_configENS1_25partition_config_selectorILNS1_17partition_subalgoE6EtNS0_10empty_typeEbEEZZNS1_14partition_implILS5_6ELb0ES3_mN6thrust23THRUST_200600_302600_NS6detail15normal_iteratorINSA_10device_ptrItEEEEPS6_SG_NS0_5tupleIJSF_S6_EEENSH_IJSG_SG_EEES6_PlJNSB_9not_fun_tINSB_14equal_to_valueItEEEEEEE10hipError_tPvRmT3_T4_T5_T6_T7_T9_mT8_P12ihipStream_tbDpT10_ENKUlT_T0_E_clISt17integral_constantIbLb1EES17_IbLb0EEEEDaS13_S14_EUlS13_E_NS1_11comp_targetILNS1_3genE2ELNS1_11target_archE906ELNS1_3gpuE6ELNS1_3repE0EEENS1_30default_config_static_selectorELNS0_4arch9wavefront6targetE0EEEvT1_,"axG",@progbits,_ZN7rocprim17ROCPRIM_400000_NS6detail17trampoline_kernelINS0_14default_configENS1_25partition_config_selectorILNS1_17partition_subalgoE6EtNS0_10empty_typeEbEEZZNS1_14partition_implILS5_6ELb0ES3_mN6thrust23THRUST_200600_302600_NS6detail15normal_iteratorINSA_10device_ptrItEEEEPS6_SG_NS0_5tupleIJSF_S6_EEENSH_IJSG_SG_EEES6_PlJNSB_9not_fun_tINSB_14equal_to_valueItEEEEEEE10hipError_tPvRmT3_T4_T5_T6_T7_T9_mT8_P12ihipStream_tbDpT10_ENKUlT_T0_E_clISt17integral_constantIbLb1EES17_IbLb0EEEEDaS13_S14_EUlS13_E_NS1_11comp_targetILNS1_3genE2ELNS1_11target_archE906ELNS1_3gpuE6ELNS1_3repE0EEENS1_30default_config_static_selectorELNS0_4arch9wavefront6targetE0EEEvT1_,comdat
	.protected	_ZN7rocprim17ROCPRIM_400000_NS6detail17trampoline_kernelINS0_14default_configENS1_25partition_config_selectorILNS1_17partition_subalgoE6EtNS0_10empty_typeEbEEZZNS1_14partition_implILS5_6ELb0ES3_mN6thrust23THRUST_200600_302600_NS6detail15normal_iteratorINSA_10device_ptrItEEEEPS6_SG_NS0_5tupleIJSF_S6_EEENSH_IJSG_SG_EEES6_PlJNSB_9not_fun_tINSB_14equal_to_valueItEEEEEEE10hipError_tPvRmT3_T4_T5_T6_T7_T9_mT8_P12ihipStream_tbDpT10_ENKUlT_T0_E_clISt17integral_constantIbLb1EES17_IbLb0EEEEDaS13_S14_EUlS13_E_NS1_11comp_targetILNS1_3genE2ELNS1_11target_archE906ELNS1_3gpuE6ELNS1_3repE0EEENS1_30default_config_static_selectorELNS0_4arch9wavefront6targetE0EEEvT1_ ; -- Begin function _ZN7rocprim17ROCPRIM_400000_NS6detail17trampoline_kernelINS0_14default_configENS1_25partition_config_selectorILNS1_17partition_subalgoE6EtNS0_10empty_typeEbEEZZNS1_14partition_implILS5_6ELb0ES3_mN6thrust23THRUST_200600_302600_NS6detail15normal_iteratorINSA_10device_ptrItEEEEPS6_SG_NS0_5tupleIJSF_S6_EEENSH_IJSG_SG_EEES6_PlJNSB_9not_fun_tINSB_14equal_to_valueItEEEEEEE10hipError_tPvRmT3_T4_T5_T6_T7_T9_mT8_P12ihipStream_tbDpT10_ENKUlT_T0_E_clISt17integral_constantIbLb1EES17_IbLb0EEEEDaS13_S14_EUlS13_E_NS1_11comp_targetILNS1_3genE2ELNS1_11target_archE906ELNS1_3gpuE6ELNS1_3repE0EEENS1_30default_config_static_selectorELNS0_4arch9wavefront6targetE0EEEvT1_
	.globl	_ZN7rocprim17ROCPRIM_400000_NS6detail17trampoline_kernelINS0_14default_configENS1_25partition_config_selectorILNS1_17partition_subalgoE6EtNS0_10empty_typeEbEEZZNS1_14partition_implILS5_6ELb0ES3_mN6thrust23THRUST_200600_302600_NS6detail15normal_iteratorINSA_10device_ptrItEEEEPS6_SG_NS0_5tupleIJSF_S6_EEENSH_IJSG_SG_EEES6_PlJNSB_9not_fun_tINSB_14equal_to_valueItEEEEEEE10hipError_tPvRmT3_T4_T5_T6_T7_T9_mT8_P12ihipStream_tbDpT10_ENKUlT_T0_E_clISt17integral_constantIbLb1EES17_IbLb0EEEEDaS13_S14_EUlS13_E_NS1_11comp_targetILNS1_3genE2ELNS1_11target_archE906ELNS1_3gpuE6ELNS1_3repE0EEENS1_30default_config_static_selectorELNS0_4arch9wavefront6targetE0EEEvT1_
	.p2align	8
	.type	_ZN7rocprim17ROCPRIM_400000_NS6detail17trampoline_kernelINS0_14default_configENS1_25partition_config_selectorILNS1_17partition_subalgoE6EtNS0_10empty_typeEbEEZZNS1_14partition_implILS5_6ELb0ES3_mN6thrust23THRUST_200600_302600_NS6detail15normal_iteratorINSA_10device_ptrItEEEEPS6_SG_NS0_5tupleIJSF_S6_EEENSH_IJSG_SG_EEES6_PlJNSB_9not_fun_tINSB_14equal_to_valueItEEEEEEE10hipError_tPvRmT3_T4_T5_T6_T7_T9_mT8_P12ihipStream_tbDpT10_ENKUlT_T0_E_clISt17integral_constantIbLb1EES17_IbLb0EEEEDaS13_S14_EUlS13_E_NS1_11comp_targetILNS1_3genE2ELNS1_11target_archE906ELNS1_3gpuE6ELNS1_3repE0EEENS1_30default_config_static_selectorELNS0_4arch9wavefront6targetE0EEEvT1_,@function
_ZN7rocprim17ROCPRIM_400000_NS6detail17trampoline_kernelINS0_14default_configENS1_25partition_config_selectorILNS1_17partition_subalgoE6EtNS0_10empty_typeEbEEZZNS1_14partition_implILS5_6ELb0ES3_mN6thrust23THRUST_200600_302600_NS6detail15normal_iteratorINSA_10device_ptrItEEEEPS6_SG_NS0_5tupleIJSF_S6_EEENSH_IJSG_SG_EEES6_PlJNSB_9not_fun_tINSB_14equal_to_valueItEEEEEEE10hipError_tPvRmT3_T4_T5_T6_T7_T9_mT8_P12ihipStream_tbDpT10_ENKUlT_T0_E_clISt17integral_constantIbLb1EES17_IbLb0EEEEDaS13_S14_EUlS13_E_NS1_11comp_targetILNS1_3genE2ELNS1_11target_archE906ELNS1_3gpuE6ELNS1_3repE0EEENS1_30default_config_static_selectorELNS0_4arch9wavefront6targetE0EEEvT1_: ; @_ZN7rocprim17ROCPRIM_400000_NS6detail17trampoline_kernelINS0_14default_configENS1_25partition_config_selectorILNS1_17partition_subalgoE6EtNS0_10empty_typeEbEEZZNS1_14partition_implILS5_6ELb0ES3_mN6thrust23THRUST_200600_302600_NS6detail15normal_iteratorINSA_10device_ptrItEEEEPS6_SG_NS0_5tupleIJSF_S6_EEENSH_IJSG_SG_EEES6_PlJNSB_9not_fun_tINSB_14equal_to_valueItEEEEEEE10hipError_tPvRmT3_T4_T5_T6_T7_T9_mT8_P12ihipStream_tbDpT10_ENKUlT_T0_E_clISt17integral_constantIbLb1EES17_IbLb0EEEEDaS13_S14_EUlS13_E_NS1_11comp_targetILNS1_3genE2ELNS1_11target_archE906ELNS1_3gpuE6ELNS1_3repE0EEENS1_30default_config_static_selectorELNS0_4arch9wavefront6targetE0EEEvT1_
; %bb.0:
	.section	.rodata,"a",@progbits
	.p2align	6, 0x0
	.amdhsa_kernel _ZN7rocprim17ROCPRIM_400000_NS6detail17trampoline_kernelINS0_14default_configENS1_25partition_config_selectorILNS1_17partition_subalgoE6EtNS0_10empty_typeEbEEZZNS1_14partition_implILS5_6ELb0ES3_mN6thrust23THRUST_200600_302600_NS6detail15normal_iteratorINSA_10device_ptrItEEEEPS6_SG_NS0_5tupleIJSF_S6_EEENSH_IJSG_SG_EEES6_PlJNSB_9not_fun_tINSB_14equal_to_valueItEEEEEEE10hipError_tPvRmT3_T4_T5_T6_T7_T9_mT8_P12ihipStream_tbDpT10_ENKUlT_T0_E_clISt17integral_constantIbLb1EES17_IbLb0EEEEDaS13_S14_EUlS13_E_NS1_11comp_targetILNS1_3genE2ELNS1_11target_archE906ELNS1_3gpuE6ELNS1_3repE0EEENS1_30default_config_static_selectorELNS0_4arch9wavefront6targetE0EEEvT1_
		.amdhsa_group_segment_fixed_size 0
		.amdhsa_private_segment_fixed_size 0
		.amdhsa_kernarg_size 112
		.amdhsa_user_sgpr_count 2
		.amdhsa_user_sgpr_dispatch_ptr 0
		.amdhsa_user_sgpr_queue_ptr 0
		.amdhsa_user_sgpr_kernarg_segment_ptr 1
		.amdhsa_user_sgpr_dispatch_id 0
		.amdhsa_user_sgpr_private_segment_size 0
		.amdhsa_wavefront_size32 1
		.amdhsa_uses_dynamic_stack 0
		.amdhsa_enable_private_segment 0
		.amdhsa_system_sgpr_workgroup_id_x 1
		.amdhsa_system_sgpr_workgroup_id_y 0
		.amdhsa_system_sgpr_workgroup_id_z 0
		.amdhsa_system_sgpr_workgroup_info 0
		.amdhsa_system_vgpr_workitem_id 0
		.amdhsa_next_free_vgpr 1
		.amdhsa_next_free_sgpr 1
		.amdhsa_reserve_vcc 0
		.amdhsa_float_round_mode_32 0
		.amdhsa_float_round_mode_16_64 0
		.amdhsa_float_denorm_mode_32 3
		.amdhsa_float_denorm_mode_16_64 3
		.amdhsa_fp16_overflow 0
		.amdhsa_workgroup_processor_mode 1
		.amdhsa_memory_ordered 1
		.amdhsa_forward_progress 1
		.amdhsa_inst_pref_size 0
		.amdhsa_round_robin_scheduling 0
		.amdhsa_exception_fp_ieee_invalid_op 0
		.amdhsa_exception_fp_denorm_src 0
		.amdhsa_exception_fp_ieee_div_zero 0
		.amdhsa_exception_fp_ieee_overflow 0
		.amdhsa_exception_fp_ieee_underflow 0
		.amdhsa_exception_fp_ieee_inexact 0
		.amdhsa_exception_int_div_zero 0
	.end_amdhsa_kernel
	.section	.text._ZN7rocprim17ROCPRIM_400000_NS6detail17trampoline_kernelINS0_14default_configENS1_25partition_config_selectorILNS1_17partition_subalgoE6EtNS0_10empty_typeEbEEZZNS1_14partition_implILS5_6ELb0ES3_mN6thrust23THRUST_200600_302600_NS6detail15normal_iteratorINSA_10device_ptrItEEEEPS6_SG_NS0_5tupleIJSF_S6_EEENSH_IJSG_SG_EEES6_PlJNSB_9not_fun_tINSB_14equal_to_valueItEEEEEEE10hipError_tPvRmT3_T4_T5_T6_T7_T9_mT8_P12ihipStream_tbDpT10_ENKUlT_T0_E_clISt17integral_constantIbLb1EES17_IbLb0EEEEDaS13_S14_EUlS13_E_NS1_11comp_targetILNS1_3genE2ELNS1_11target_archE906ELNS1_3gpuE6ELNS1_3repE0EEENS1_30default_config_static_selectorELNS0_4arch9wavefront6targetE0EEEvT1_,"axG",@progbits,_ZN7rocprim17ROCPRIM_400000_NS6detail17trampoline_kernelINS0_14default_configENS1_25partition_config_selectorILNS1_17partition_subalgoE6EtNS0_10empty_typeEbEEZZNS1_14partition_implILS5_6ELb0ES3_mN6thrust23THRUST_200600_302600_NS6detail15normal_iteratorINSA_10device_ptrItEEEEPS6_SG_NS0_5tupleIJSF_S6_EEENSH_IJSG_SG_EEES6_PlJNSB_9not_fun_tINSB_14equal_to_valueItEEEEEEE10hipError_tPvRmT3_T4_T5_T6_T7_T9_mT8_P12ihipStream_tbDpT10_ENKUlT_T0_E_clISt17integral_constantIbLb1EES17_IbLb0EEEEDaS13_S14_EUlS13_E_NS1_11comp_targetILNS1_3genE2ELNS1_11target_archE906ELNS1_3gpuE6ELNS1_3repE0EEENS1_30default_config_static_selectorELNS0_4arch9wavefront6targetE0EEEvT1_,comdat
.Lfunc_end425:
	.size	_ZN7rocprim17ROCPRIM_400000_NS6detail17trampoline_kernelINS0_14default_configENS1_25partition_config_selectorILNS1_17partition_subalgoE6EtNS0_10empty_typeEbEEZZNS1_14partition_implILS5_6ELb0ES3_mN6thrust23THRUST_200600_302600_NS6detail15normal_iteratorINSA_10device_ptrItEEEEPS6_SG_NS0_5tupleIJSF_S6_EEENSH_IJSG_SG_EEES6_PlJNSB_9not_fun_tINSB_14equal_to_valueItEEEEEEE10hipError_tPvRmT3_T4_T5_T6_T7_T9_mT8_P12ihipStream_tbDpT10_ENKUlT_T0_E_clISt17integral_constantIbLb1EES17_IbLb0EEEEDaS13_S14_EUlS13_E_NS1_11comp_targetILNS1_3genE2ELNS1_11target_archE906ELNS1_3gpuE6ELNS1_3repE0EEENS1_30default_config_static_selectorELNS0_4arch9wavefront6targetE0EEEvT1_, .Lfunc_end425-_ZN7rocprim17ROCPRIM_400000_NS6detail17trampoline_kernelINS0_14default_configENS1_25partition_config_selectorILNS1_17partition_subalgoE6EtNS0_10empty_typeEbEEZZNS1_14partition_implILS5_6ELb0ES3_mN6thrust23THRUST_200600_302600_NS6detail15normal_iteratorINSA_10device_ptrItEEEEPS6_SG_NS0_5tupleIJSF_S6_EEENSH_IJSG_SG_EEES6_PlJNSB_9not_fun_tINSB_14equal_to_valueItEEEEEEE10hipError_tPvRmT3_T4_T5_T6_T7_T9_mT8_P12ihipStream_tbDpT10_ENKUlT_T0_E_clISt17integral_constantIbLb1EES17_IbLb0EEEEDaS13_S14_EUlS13_E_NS1_11comp_targetILNS1_3genE2ELNS1_11target_archE906ELNS1_3gpuE6ELNS1_3repE0EEENS1_30default_config_static_selectorELNS0_4arch9wavefront6targetE0EEEvT1_
                                        ; -- End function
	.set _ZN7rocprim17ROCPRIM_400000_NS6detail17trampoline_kernelINS0_14default_configENS1_25partition_config_selectorILNS1_17partition_subalgoE6EtNS0_10empty_typeEbEEZZNS1_14partition_implILS5_6ELb0ES3_mN6thrust23THRUST_200600_302600_NS6detail15normal_iteratorINSA_10device_ptrItEEEEPS6_SG_NS0_5tupleIJSF_S6_EEENSH_IJSG_SG_EEES6_PlJNSB_9not_fun_tINSB_14equal_to_valueItEEEEEEE10hipError_tPvRmT3_T4_T5_T6_T7_T9_mT8_P12ihipStream_tbDpT10_ENKUlT_T0_E_clISt17integral_constantIbLb1EES17_IbLb0EEEEDaS13_S14_EUlS13_E_NS1_11comp_targetILNS1_3genE2ELNS1_11target_archE906ELNS1_3gpuE6ELNS1_3repE0EEENS1_30default_config_static_selectorELNS0_4arch9wavefront6targetE0EEEvT1_.num_vgpr, 0
	.set _ZN7rocprim17ROCPRIM_400000_NS6detail17trampoline_kernelINS0_14default_configENS1_25partition_config_selectorILNS1_17partition_subalgoE6EtNS0_10empty_typeEbEEZZNS1_14partition_implILS5_6ELb0ES3_mN6thrust23THRUST_200600_302600_NS6detail15normal_iteratorINSA_10device_ptrItEEEEPS6_SG_NS0_5tupleIJSF_S6_EEENSH_IJSG_SG_EEES6_PlJNSB_9not_fun_tINSB_14equal_to_valueItEEEEEEE10hipError_tPvRmT3_T4_T5_T6_T7_T9_mT8_P12ihipStream_tbDpT10_ENKUlT_T0_E_clISt17integral_constantIbLb1EES17_IbLb0EEEEDaS13_S14_EUlS13_E_NS1_11comp_targetILNS1_3genE2ELNS1_11target_archE906ELNS1_3gpuE6ELNS1_3repE0EEENS1_30default_config_static_selectorELNS0_4arch9wavefront6targetE0EEEvT1_.num_agpr, 0
	.set _ZN7rocprim17ROCPRIM_400000_NS6detail17trampoline_kernelINS0_14default_configENS1_25partition_config_selectorILNS1_17partition_subalgoE6EtNS0_10empty_typeEbEEZZNS1_14partition_implILS5_6ELb0ES3_mN6thrust23THRUST_200600_302600_NS6detail15normal_iteratorINSA_10device_ptrItEEEEPS6_SG_NS0_5tupleIJSF_S6_EEENSH_IJSG_SG_EEES6_PlJNSB_9not_fun_tINSB_14equal_to_valueItEEEEEEE10hipError_tPvRmT3_T4_T5_T6_T7_T9_mT8_P12ihipStream_tbDpT10_ENKUlT_T0_E_clISt17integral_constantIbLb1EES17_IbLb0EEEEDaS13_S14_EUlS13_E_NS1_11comp_targetILNS1_3genE2ELNS1_11target_archE906ELNS1_3gpuE6ELNS1_3repE0EEENS1_30default_config_static_selectorELNS0_4arch9wavefront6targetE0EEEvT1_.numbered_sgpr, 0
	.set _ZN7rocprim17ROCPRIM_400000_NS6detail17trampoline_kernelINS0_14default_configENS1_25partition_config_selectorILNS1_17partition_subalgoE6EtNS0_10empty_typeEbEEZZNS1_14partition_implILS5_6ELb0ES3_mN6thrust23THRUST_200600_302600_NS6detail15normal_iteratorINSA_10device_ptrItEEEEPS6_SG_NS0_5tupleIJSF_S6_EEENSH_IJSG_SG_EEES6_PlJNSB_9not_fun_tINSB_14equal_to_valueItEEEEEEE10hipError_tPvRmT3_T4_T5_T6_T7_T9_mT8_P12ihipStream_tbDpT10_ENKUlT_T0_E_clISt17integral_constantIbLb1EES17_IbLb0EEEEDaS13_S14_EUlS13_E_NS1_11comp_targetILNS1_3genE2ELNS1_11target_archE906ELNS1_3gpuE6ELNS1_3repE0EEENS1_30default_config_static_selectorELNS0_4arch9wavefront6targetE0EEEvT1_.num_named_barrier, 0
	.set _ZN7rocprim17ROCPRIM_400000_NS6detail17trampoline_kernelINS0_14default_configENS1_25partition_config_selectorILNS1_17partition_subalgoE6EtNS0_10empty_typeEbEEZZNS1_14partition_implILS5_6ELb0ES3_mN6thrust23THRUST_200600_302600_NS6detail15normal_iteratorINSA_10device_ptrItEEEEPS6_SG_NS0_5tupleIJSF_S6_EEENSH_IJSG_SG_EEES6_PlJNSB_9not_fun_tINSB_14equal_to_valueItEEEEEEE10hipError_tPvRmT3_T4_T5_T6_T7_T9_mT8_P12ihipStream_tbDpT10_ENKUlT_T0_E_clISt17integral_constantIbLb1EES17_IbLb0EEEEDaS13_S14_EUlS13_E_NS1_11comp_targetILNS1_3genE2ELNS1_11target_archE906ELNS1_3gpuE6ELNS1_3repE0EEENS1_30default_config_static_selectorELNS0_4arch9wavefront6targetE0EEEvT1_.private_seg_size, 0
	.set _ZN7rocprim17ROCPRIM_400000_NS6detail17trampoline_kernelINS0_14default_configENS1_25partition_config_selectorILNS1_17partition_subalgoE6EtNS0_10empty_typeEbEEZZNS1_14partition_implILS5_6ELb0ES3_mN6thrust23THRUST_200600_302600_NS6detail15normal_iteratorINSA_10device_ptrItEEEEPS6_SG_NS0_5tupleIJSF_S6_EEENSH_IJSG_SG_EEES6_PlJNSB_9not_fun_tINSB_14equal_to_valueItEEEEEEE10hipError_tPvRmT3_T4_T5_T6_T7_T9_mT8_P12ihipStream_tbDpT10_ENKUlT_T0_E_clISt17integral_constantIbLb1EES17_IbLb0EEEEDaS13_S14_EUlS13_E_NS1_11comp_targetILNS1_3genE2ELNS1_11target_archE906ELNS1_3gpuE6ELNS1_3repE0EEENS1_30default_config_static_selectorELNS0_4arch9wavefront6targetE0EEEvT1_.uses_vcc, 0
	.set _ZN7rocprim17ROCPRIM_400000_NS6detail17trampoline_kernelINS0_14default_configENS1_25partition_config_selectorILNS1_17partition_subalgoE6EtNS0_10empty_typeEbEEZZNS1_14partition_implILS5_6ELb0ES3_mN6thrust23THRUST_200600_302600_NS6detail15normal_iteratorINSA_10device_ptrItEEEEPS6_SG_NS0_5tupleIJSF_S6_EEENSH_IJSG_SG_EEES6_PlJNSB_9not_fun_tINSB_14equal_to_valueItEEEEEEE10hipError_tPvRmT3_T4_T5_T6_T7_T9_mT8_P12ihipStream_tbDpT10_ENKUlT_T0_E_clISt17integral_constantIbLb1EES17_IbLb0EEEEDaS13_S14_EUlS13_E_NS1_11comp_targetILNS1_3genE2ELNS1_11target_archE906ELNS1_3gpuE6ELNS1_3repE0EEENS1_30default_config_static_selectorELNS0_4arch9wavefront6targetE0EEEvT1_.uses_flat_scratch, 0
	.set _ZN7rocprim17ROCPRIM_400000_NS6detail17trampoline_kernelINS0_14default_configENS1_25partition_config_selectorILNS1_17partition_subalgoE6EtNS0_10empty_typeEbEEZZNS1_14partition_implILS5_6ELb0ES3_mN6thrust23THRUST_200600_302600_NS6detail15normal_iteratorINSA_10device_ptrItEEEEPS6_SG_NS0_5tupleIJSF_S6_EEENSH_IJSG_SG_EEES6_PlJNSB_9not_fun_tINSB_14equal_to_valueItEEEEEEE10hipError_tPvRmT3_T4_T5_T6_T7_T9_mT8_P12ihipStream_tbDpT10_ENKUlT_T0_E_clISt17integral_constantIbLb1EES17_IbLb0EEEEDaS13_S14_EUlS13_E_NS1_11comp_targetILNS1_3genE2ELNS1_11target_archE906ELNS1_3gpuE6ELNS1_3repE0EEENS1_30default_config_static_selectorELNS0_4arch9wavefront6targetE0EEEvT1_.has_dyn_sized_stack, 0
	.set _ZN7rocprim17ROCPRIM_400000_NS6detail17trampoline_kernelINS0_14default_configENS1_25partition_config_selectorILNS1_17partition_subalgoE6EtNS0_10empty_typeEbEEZZNS1_14partition_implILS5_6ELb0ES3_mN6thrust23THRUST_200600_302600_NS6detail15normal_iteratorINSA_10device_ptrItEEEEPS6_SG_NS0_5tupleIJSF_S6_EEENSH_IJSG_SG_EEES6_PlJNSB_9not_fun_tINSB_14equal_to_valueItEEEEEEE10hipError_tPvRmT3_T4_T5_T6_T7_T9_mT8_P12ihipStream_tbDpT10_ENKUlT_T0_E_clISt17integral_constantIbLb1EES17_IbLb0EEEEDaS13_S14_EUlS13_E_NS1_11comp_targetILNS1_3genE2ELNS1_11target_archE906ELNS1_3gpuE6ELNS1_3repE0EEENS1_30default_config_static_selectorELNS0_4arch9wavefront6targetE0EEEvT1_.has_recursion, 0
	.set _ZN7rocprim17ROCPRIM_400000_NS6detail17trampoline_kernelINS0_14default_configENS1_25partition_config_selectorILNS1_17partition_subalgoE6EtNS0_10empty_typeEbEEZZNS1_14partition_implILS5_6ELb0ES3_mN6thrust23THRUST_200600_302600_NS6detail15normal_iteratorINSA_10device_ptrItEEEEPS6_SG_NS0_5tupleIJSF_S6_EEENSH_IJSG_SG_EEES6_PlJNSB_9not_fun_tINSB_14equal_to_valueItEEEEEEE10hipError_tPvRmT3_T4_T5_T6_T7_T9_mT8_P12ihipStream_tbDpT10_ENKUlT_T0_E_clISt17integral_constantIbLb1EES17_IbLb0EEEEDaS13_S14_EUlS13_E_NS1_11comp_targetILNS1_3genE2ELNS1_11target_archE906ELNS1_3gpuE6ELNS1_3repE0EEENS1_30default_config_static_selectorELNS0_4arch9wavefront6targetE0EEEvT1_.has_indirect_call, 0
	.section	.AMDGPU.csdata,"",@progbits
; Kernel info:
; codeLenInByte = 0
; TotalNumSgprs: 0
; NumVgprs: 0
; ScratchSize: 0
; MemoryBound: 0
; FloatMode: 240
; IeeeMode: 1
; LDSByteSize: 0 bytes/workgroup (compile time only)
; SGPRBlocks: 0
; VGPRBlocks: 0
; NumSGPRsForWavesPerEU: 1
; NumVGPRsForWavesPerEU: 1
; Occupancy: 16
; WaveLimiterHint : 0
; COMPUTE_PGM_RSRC2:SCRATCH_EN: 0
; COMPUTE_PGM_RSRC2:USER_SGPR: 2
; COMPUTE_PGM_RSRC2:TRAP_HANDLER: 0
; COMPUTE_PGM_RSRC2:TGID_X_EN: 1
; COMPUTE_PGM_RSRC2:TGID_Y_EN: 0
; COMPUTE_PGM_RSRC2:TGID_Z_EN: 0
; COMPUTE_PGM_RSRC2:TIDIG_COMP_CNT: 0
	.section	.text._ZN7rocprim17ROCPRIM_400000_NS6detail17trampoline_kernelINS0_14default_configENS1_25partition_config_selectorILNS1_17partition_subalgoE6EtNS0_10empty_typeEbEEZZNS1_14partition_implILS5_6ELb0ES3_mN6thrust23THRUST_200600_302600_NS6detail15normal_iteratorINSA_10device_ptrItEEEEPS6_SG_NS0_5tupleIJSF_S6_EEENSH_IJSG_SG_EEES6_PlJNSB_9not_fun_tINSB_14equal_to_valueItEEEEEEE10hipError_tPvRmT3_T4_T5_T6_T7_T9_mT8_P12ihipStream_tbDpT10_ENKUlT_T0_E_clISt17integral_constantIbLb1EES17_IbLb0EEEEDaS13_S14_EUlS13_E_NS1_11comp_targetILNS1_3genE10ELNS1_11target_archE1200ELNS1_3gpuE4ELNS1_3repE0EEENS1_30default_config_static_selectorELNS0_4arch9wavefront6targetE0EEEvT1_,"axG",@progbits,_ZN7rocprim17ROCPRIM_400000_NS6detail17trampoline_kernelINS0_14default_configENS1_25partition_config_selectorILNS1_17partition_subalgoE6EtNS0_10empty_typeEbEEZZNS1_14partition_implILS5_6ELb0ES3_mN6thrust23THRUST_200600_302600_NS6detail15normal_iteratorINSA_10device_ptrItEEEEPS6_SG_NS0_5tupleIJSF_S6_EEENSH_IJSG_SG_EEES6_PlJNSB_9not_fun_tINSB_14equal_to_valueItEEEEEEE10hipError_tPvRmT3_T4_T5_T6_T7_T9_mT8_P12ihipStream_tbDpT10_ENKUlT_T0_E_clISt17integral_constantIbLb1EES17_IbLb0EEEEDaS13_S14_EUlS13_E_NS1_11comp_targetILNS1_3genE10ELNS1_11target_archE1200ELNS1_3gpuE4ELNS1_3repE0EEENS1_30default_config_static_selectorELNS0_4arch9wavefront6targetE0EEEvT1_,comdat
	.protected	_ZN7rocprim17ROCPRIM_400000_NS6detail17trampoline_kernelINS0_14default_configENS1_25partition_config_selectorILNS1_17partition_subalgoE6EtNS0_10empty_typeEbEEZZNS1_14partition_implILS5_6ELb0ES3_mN6thrust23THRUST_200600_302600_NS6detail15normal_iteratorINSA_10device_ptrItEEEEPS6_SG_NS0_5tupleIJSF_S6_EEENSH_IJSG_SG_EEES6_PlJNSB_9not_fun_tINSB_14equal_to_valueItEEEEEEE10hipError_tPvRmT3_T4_T5_T6_T7_T9_mT8_P12ihipStream_tbDpT10_ENKUlT_T0_E_clISt17integral_constantIbLb1EES17_IbLb0EEEEDaS13_S14_EUlS13_E_NS1_11comp_targetILNS1_3genE10ELNS1_11target_archE1200ELNS1_3gpuE4ELNS1_3repE0EEENS1_30default_config_static_selectorELNS0_4arch9wavefront6targetE0EEEvT1_ ; -- Begin function _ZN7rocprim17ROCPRIM_400000_NS6detail17trampoline_kernelINS0_14default_configENS1_25partition_config_selectorILNS1_17partition_subalgoE6EtNS0_10empty_typeEbEEZZNS1_14partition_implILS5_6ELb0ES3_mN6thrust23THRUST_200600_302600_NS6detail15normal_iteratorINSA_10device_ptrItEEEEPS6_SG_NS0_5tupleIJSF_S6_EEENSH_IJSG_SG_EEES6_PlJNSB_9not_fun_tINSB_14equal_to_valueItEEEEEEE10hipError_tPvRmT3_T4_T5_T6_T7_T9_mT8_P12ihipStream_tbDpT10_ENKUlT_T0_E_clISt17integral_constantIbLb1EES17_IbLb0EEEEDaS13_S14_EUlS13_E_NS1_11comp_targetILNS1_3genE10ELNS1_11target_archE1200ELNS1_3gpuE4ELNS1_3repE0EEENS1_30default_config_static_selectorELNS0_4arch9wavefront6targetE0EEEvT1_
	.globl	_ZN7rocprim17ROCPRIM_400000_NS6detail17trampoline_kernelINS0_14default_configENS1_25partition_config_selectorILNS1_17partition_subalgoE6EtNS0_10empty_typeEbEEZZNS1_14partition_implILS5_6ELb0ES3_mN6thrust23THRUST_200600_302600_NS6detail15normal_iteratorINSA_10device_ptrItEEEEPS6_SG_NS0_5tupleIJSF_S6_EEENSH_IJSG_SG_EEES6_PlJNSB_9not_fun_tINSB_14equal_to_valueItEEEEEEE10hipError_tPvRmT3_T4_T5_T6_T7_T9_mT8_P12ihipStream_tbDpT10_ENKUlT_T0_E_clISt17integral_constantIbLb1EES17_IbLb0EEEEDaS13_S14_EUlS13_E_NS1_11comp_targetILNS1_3genE10ELNS1_11target_archE1200ELNS1_3gpuE4ELNS1_3repE0EEENS1_30default_config_static_selectorELNS0_4arch9wavefront6targetE0EEEvT1_
	.p2align	8
	.type	_ZN7rocprim17ROCPRIM_400000_NS6detail17trampoline_kernelINS0_14default_configENS1_25partition_config_selectorILNS1_17partition_subalgoE6EtNS0_10empty_typeEbEEZZNS1_14partition_implILS5_6ELb0ES3_mN6thrust23THRUST_200600_302600_NS6detail15normal_iteratorINSA_10device_ptrItEEEEPS6_SG_NS0_5tupleIJSF_S6_EEENSH_IJSG_SG_EEES6_PlJNSB_9not_fun_tINSB_14equal_to_valueItEEEEEEE10hipError_tPvRmT3_T4_T5_T6_T7_T9_mT8_P12ihipStream_tbDpT10_ENKUlT_T0_E_clISt17integral_constantIbLb1EES17_IbLb0EEEEDaS13_S14_EUlS13_E_NS1_11comp_targetILNS1_3genE10ELNS1_11target_archE1200ELNS1_3gpuE4ELNS1_3repE0EEENS1_30default_config_static_selectorELNS0_4arch9wavefront6targetE0EEEvT1_,@function
_ZN7rocprim17ROCPRIM_400000_NS6detail17trampoline_kernelINS0_14default_configENS1_25partition_config_selectorILNS1_17partition_subalgoE6EtNS0_10empty_typeEbEEZZNS1_14partition_implILS5_6ELb0ES3_mN6thrust23THRUST_200600_302600_NS6detail15normal_iteratorINSA_10device_ptrItEEEEPS6_SG_NS0_5tupleIJSF_S6_EEENSH_IJSG_SG_EEES6_PlJNSB_9not_fun_tINSB_14equal_to_valueItEEEEEEE10hipError_tPvRmT3_T4_T5_T6_T7_T9_mT8_P12ihipStream_tbDpT10_ENKUlT_T0_E_clISt17integral_constantIbLb1EES17_IbLb0EEEEDaS13_S14_EUlS13_E_NS1_11comp_targetILNS1_3genE10ELNS1_11target_archE1200ELNS1_3gpuE4ELNS1_3repE0EEENS1_30default_config_static_selectorELNS0_4arch9wavefront6targetE0EEEvT1_: ; @_ZN7rocprim17ROCPRIM_400000_NS6detail17trampoline_kernelINS0_14default_configENS1_25partition_config_selectorILNS1_17partition_subalgoE6EtNS0_10empty_typeEbEEZZNS1_14partition_implILS5_6ELb0ES3_mN6thrust23THRUST_200600_302600_NS6detail15normal_iteratorINSA_10device_ptrItEEEEPS6_SG_NS0_5tupleIJSF_S6_EEENSH_IJSG_SG_EEES6_PlJNSB_9not_fun_tINSB_14equal_to_valueItEEEEEEE10hipError_tPvRmT3_T4_T5_T6_T7_T9_mT8_P12ihipStream_tbDpT10_ENKUlT_T0_E_clISt17integral_constantIbLb1EES17_IbLb0EEEEDaS13_S14_EUlS13_E_NS1_11comp_targetILNS1_3genE10ELNS1_11target_archE1200ELNS1_3gpuE4ELNS1_3repE0EEENS1_30default_config_static_selectorELNS0_4arch9wavefront6targetE0EEEvT1_
; %bb.0:
	s_endpgm
	.section	.rodata,"a",@progbits
	.p2align	6, 0x0
	.amdhsa_kernel _ZN7rocprim17ROCPRIM_400000_NS6detail17trampoline_kernelINS0_14default_configENS1_25partition_config_selectorILNS1_17partition_subalgoE6EtNS0_10empty_typeEbEEZZNS1_14partition_implILS5_6ELb0ES3_mN6thrust23THRUST_200600_302600_NS6detail15normal_iteratorINSA_10device_ptrItEEEEPS6_SG_NS0_5tupleIJSF_S6_EEENSH_IJSG_SG_EEES6_PlJNSB_9not_fun_tINSB_14equal_to_valueItEEEEEEE10hipError_tPvRmT3_T4_T5_T6_T7_T9_mT8_P12ihipStream_tbDpT10_ENKUlT_T0_E_clISt17integral_constantIbLb1EES17_IbLb0EEEEDaS13_S14_EUlS13_E_NS1_11comp_targetILNS1_3genE10ELNS1_11target_archE1200ELNS1_3gpuE4ELNS1_3repE0EEENS1_30default_config_static_selectorELNS0_4arch9wavefront6targetE0EEEvT1_
		.amdhsa_group_segment_fixed_size 0
		.amdhsa_private_segment_fixed_size 0
		.amdhsa_kernarg_size 112
		.amdhsa_user_sgpr_count 2
		.amdhsa_user_sgpr_dispatch_ptr 0
		.amdhsa_user_sgpr_queue_ptr 0
		.amdhsa_user_sgpr_kernarg_segment_ptr 1
		.amdhsa_user_sgpr_dispatch_id 0
		.amdhsa_user_sgpr_private_segment_size 0
		.amdhsa_wavefront_size32 1
		.amdhsa_uses_dynamic_stack 0
		.amdhsa_enable_private_segment 0
		.amdhsa_system_sgpr_workgroup_id_x 1
		.amdhsa_system_sgpr_workgroup_id_y 0
		.amdhsa_system_sgpr_workgroup_id_z 0
		.amdhsa_system_sgpr_workgroup_info 0
		.amdhsa_system_vgpr_workitem_id 0
		.amdhsa_next_free_vgpr 1
		.amdhsa_next_free_sgpr 1
		.amdhsa_reserve_vcc 0
		.amdhsa_float_round_mode_32 0
		.amdhsa_float_round_mode_16_64 0
		.amdhsa_float_denorm_mode_32 3
		.amdhsa_float_denorm_mode_16_64 3
		.amdhsa_fp16_overflow 0
		.amdhsa_workgroup_processor_mode 1
		.amdhsa_memory_ordered 1
		.amdhsa_forward_progress 1
		.amdhsa_inst_pref_size 1
		.amdhsa_round_robin_scheduling 0
		.amdhsa_exception_fp_ieee_invalid_op 0
		.amdhsa_exception_fp_denorm_src 0
		.amdhsa_exception_fp_ieee_div_zero 0
		.amdhsa_exception_fp_ieee_overflow 0
		.amdhsa_exception_fp_ieee_underflow 0
		.amdhsa_exception_fp_ieee_inexact 0
		.amdhsa_exception_int_div_zero 0
	.end_amdhsa_kernel
	.section	.text._ZN7rocprim17ROCPRIM_400000_NS6detail17trampoline_kernelINS0_14default_configENS1_25partition_config_selectorILNS1_17partition_subalgoE6EtNS0_10empty_typeEbEEZZNS1_14partition_implILS5_6ELb0ES3_mN6thrust23THRUST_200600_302600_NS6detail15normal_iteratorINSA_10device_ptrItEEEEPS6_SG_NS0_5tupleIJSF_S6_EEENSH_IJSG_SG_EEES6_PlJNSB_9not_fun_tINSB_14equal_to_valueItEEEEEEE10hipError_tPvRmT3_T4_T5_T6_T7_T9_mT8_P12ihipStream_tbDpT10_ENKUlT_T0_E_clISt17integral_constantIbLb1EES17_IbLb0EEEEDaS13_S14_EUlS13_E_NS1_11comp_targetILNS1_3genE10ELNS1_11target_archE1200ELNS1_3gpuE4ELNS1_3repE0EEENS1_30default_config_static_selectorELNS0_4arch9wavefront6targetE0EEEvT1_,"axG",@progbits,_ZN7rocprim17ROCPRIM_400000_NS6detail17trampoline_kernelINS0_14default_configENS1_25partition_config_selectorILNS1_17partition_subalgoE6EtNS0_10empty_typeEbEEZZNS1_14partition_implILS5_6ELb0ES3_mN6thrust23THRUST_200600_302600_NS6detail15normal_iteratorINSA_10device_ptrItEEEEPS6_SG_NS0_5tupleIJSF_S6_EEENSH_IJSG_SG_EEES6_PlJNSB_9not_fun_tINSB_14equal_to_valueItEEEEEEE10hipError_tPvRmT3_T4_T5_T6_T7_T9_mT8_P12ihipStream_tbDpT10_ENKUlT_T0_E_clISt17integral_constantIbLb1EES17_IbLb0EEEEDaS13_S14_EUlS13_E_NS1_11comp_targetILNS1_3genE10ELNS1_11target_archE1200ELNS1_3gpuE4ELNS1_3repE0EEENS1_30default_config_static_selectorELNS0_4arch9wavefront6targetE0EEEvT1_,comdat
.Lfunc_end426:
	.size	_ZN7rocprim17ROCPRIM_400000_NS6detail17trampoline_kernelINS0_14default_configENS1_25partition_config_selectorILNS1_17partition_subalgoE6EtNS0_10empty_typeEbEEZZNS1_14partition_implILS5_6ELb0ES3_mN6thrust23THRUST_200600_302600_NS6detail15normal_iteratorINSA_10device_ptrItEEEEPS6_SG_NS0_5tupleIJSF_S6_EEENSH_IJSG_SG_EEES6_PlJNSB_9not_fun_tINSB_14equal_to_valueItEEEEEEE10hipError_tPvRmT3_T4_T5_T6_T7_T9_mT8_P12ihipStream_tbDpT10_ENKUlT_T0_E_clISt17integral_constantIbLb1EES17_IbLb0EEEEDaS13_S14_EUlS13_E_NS1_11comp_targetILNS1_3genE10ELNS1_11target_archE1200ELNS1_3gpuE4ELNS1_3repE0EEENS1_30default_config_static_selectorELNS0_4arch9wavefront6targetE0EEEvT1_, .Lfunc_end426-_ZN7rocprim17ROCPRIM_400000_NS6detail17trampoline_kernelINS0_14default_configENS1_25partition_config_selectorILNS1_17partition_subalgoE6EtNS0_10empty_typeEbEEZZNS1_14partition_implILS5_6ELb0ES3_mN6thrust23THRUST_200600_302600_NS6detail15normal_iteratorINSA_10device_ptrItEEEEPS6_SG_NS0_5tupleIJSF_S6_EEENSH_IJSG_SG_EEES6_PlJNSB_9not_fun_tINSB_14equal_to_valueItEEEEEEE10hipError_tPvRmT3_T4_T5_T6_T7_T9_mT8_P12ihipStream_tbDpT10_ENKUlT_T0_E_clISt17integral_constantIbLb1EES17_IbLb0EEEEDaS13_S14_EUlS13_E_NS1_11comp_targetILNS1_3genE10ELNS1_11target_archE1200ELNS1_3gpuE4ELNS1_3repE0EEENS1_30default_config_static_selectorELNS0_4arch9wavefront6targetE0EEEvT1_
                                        ; -- End function
	.set _ZN7rocprim17ROCPRIM_400000_NS6detail17trampoline_kernelINS0_14default_configENS1_25partition_config_selectorILNS1_17partition_subalgoE6EtNS0_10empty_typeEbEEZZNS1_14partition_implILS5_6ELb0ES3_mN6thrust23THRUST_200600_302600_NS6detail15normal_iteratorINSA_10device_ptrItEEEEPS6_SG_NS0_5tupleIJSF_S6_EEENSH_IJSG_SG_EEES6_PlJNSB_9not_fun_tINSB_14equal_to_valueItEEEEEEE10hipError_tPvRmT3_T4_T5_T6_T7_T9_mT8_P12ihipStream_tbDpT10_ENKUlT_T0_E_clISt17integral_constantIbLb1EES17_IbLb0EEEEDaS13_S14_EUlS13_E_NS1_11comp_targetILNS1_3genE10ELNS1_11target_archE1200ELNS1_3gpuE4ELNS1_3repE0EEENS1_30default_config_static_selectorELNS0_4arch9wavefront6targetE0EEEvT1_.num_vgpr, 0
	.set _ZN7rocprim17ROCPRIM_400000_NS6detail17trampoline_kernelINS0_14default_configENS1_25partition_config_selectorILNS1_17partition_subalgoE6EtNS0_10empty_typeEbEEZZNS1_14partition_implILS5_6ELb0ES3_mN6thrust23THRUST_200600_302600_NS6detail15normal_iteratorINSA_10device_ptrItEEEEPS6_SG_NS0_5tupleIJSF_S6_EEENSH_IJSG_SG_EEES6_PlJNSB_9not_fun_tINSB_14equal_to_valueItEEEEEEE10hipError_tPvRmT3_T4_T5_T6_T7_T9_mT8_P12ihipStream_tbDpT10_ENKUlT_T0_E_clISt17integral_constantIbLb1EES17_IbLb0EEEEDaS13_S14_EUlS13_E_NS1_11comp_targetILNS1_3genE10ELNS1_11target_archE1200ELNS1_3gpuE4ELNS1_3repE0EEENS1_30default_config_static_selectorELNS0_4arch9wavefront6targetE0EEEvT1_.num_agpr, 0
	.set _ZN7rocprim17ROCPRIM_400000_NS6detail17trampoline_kernelINS0_14default_configENS1_25partition_config_selectorILNS1_17partition_subalgoE6EtNS0_10empty_typeEbEEZZNS1_14partition_implILS5_6ELb0ES3_mN6thrust23THRUST_200600_302600_NS6detail15normal_iteratorINSA_10device_ptrItEEEEPS6_SG_NS0_5tupleIJSF_S6_EEENSH_IJSG_SG_EEES6_PlJNSB_9not_fun_tINSB_14equal_to_valueItEEEEEEE10hipError_tPvRmT3_T4_T5_T6_T7_T9_mT8_P12ihipStream_tbDpT10_ENKUlT_T0_E_clISt17integral_constantIbLb1EES17_IbLb0EEEEDaS13_S14_EUlS13_E_NS1_11comp_targetILNS1_3genE10ELNS1_11target_archE1200ELNS1_3gpuE4ELNS1_3repE0EEENS1_30default_config_static_selectorELNS0_4arch9wavefront6targetE0EEEvT1_.numbered_sgpr, 0
	.set _ZN7rocprim17ROCPRIM_400000_NS6detail17trampoline_kernelINS0_14default_configENS1_25partition_config_selectorILNS1_17partition_subalgoE6EtNS0_10empty_typeEbEEZZNS1_14partition_implILS5_6ELb0ES3_mN6thrust23THRUST_200600_302600_NS6detail15normal_iteratorINSA_10device_ptrItEEEEPS6_SG_NS0_5tupleIJSF_S6_EEENSH_IJSG_SG_EEES6_PlJNSB_9not_fun_tINSB_14equal_to_valueItEEEEEEE10hipError_tPvRmT3_T4_T5_T6_T7_T9_mT8_P12ihipStream_tbDpT10_ENKUlT_T0_E_clISt17integral_constantIbLb1EES17_IbLb0EEEEDaS13_S14_EUlS13_E_NS1_11comp_targetILNS1_3genE10ELNS1_11target_archE1200ELNS1_3gpuE4ELNS1_3repE0EEENS1_30default_config_static_selectorELNS0_4arch9wavefront6targetE0EEEvT1_.num_named_barrier, 0
	.set _ZN7rocprim17ROCPRIM_400000_NS6detail17trampoline_kernelINS0_14default_configENS1_25partition_config_selectorILNS1_17partition_subalgoE6EtNS0_10empty_typeEbEEZZNS1_14partition_implILS5_6ELb0ES3_mN6thrust23THRUST_200600_302600_NS6detail15normal_iteratorINSA_10device_ptrItEEEEPS6_SG_NS0_5tupleIJSF_S6_EEENSH_IJSG_SG_EEES6_PlJNSB_9not_fun_tINSB_14equal_to_valueItEEEEEEE10hipError_tPvRmT3_T4_T5_T6_T7_T9_mT8_P12ihipStream_tbDpT10_ENKUlT_T0_E_clISt17integral_constantIbLb1EES17_IbLb0EEEEDaS13_S14_EUlS13_E_NS1_11comp_targetILNS1_3genE10ELNS1_11target_archE1200ELNS1_3gpuE4ELNS1_3repE0EEENS1_30default_config_static_selectorELNS0_4arch9wavefront6targetE0EEEvT1_.private_seg_size, 0
	.set _ZN7rocprim17ROCPRIM_400000_NS6detail17trampoline_kernelINS0_14default_configENS1_25partition_config_selectorILNS1_17partition_subalgoE6EtNS0_10empty_typeEbEEZZNS1_14partition_implILS5_6ELb0ES3_mN6thrust23THRUST_200600_302600_NS6detail15normal_iteratorINSA_10device_ptrItEEEEPS6_SG_NS0_5tupleIJSF_S6_EEENSH_IJSG_SG_EEES6_PlJNSB_9not_fun_tINSB_14equal_to_valueItEEEEEEE10hipError_tPvRmT3_T4_T5_T6_T7_T9_mT8_P12ihipStream_tbDpT10_ENKUlT_T0_E_clISt17integral_constantIbLb1EES17_IbLb0EEEEDaS13_S14_EUlS13_E_NS1_11comp_targetILNS1_3genE10ELNS1_11target_archE1200ELNS1_3gpuE4ELNS1_3repE0EEENS1_30default_config_static_selectorELNS0_4arch9wavefront6targetE0EEEvT1_.uses_vcc, 0
	.set _ZN7rocprim17ROCPRIM_400000_NS6detail17trampoline_kernelINS0_14default_configENS1_25partition_config_selectorILNS1_17partition_subalgoE6EtNS0_10empty_typeEbEEZZNS1_14partition_implILS5_6ELb0ES3_mN6thrust23THRUST_200600_302600_NS6detail15normal_iteratorINSA_10device_ptrItEEEEPS6_SG_NS0_5tupleIJSF_S6_EEENSH_IJSG_SG_EEES6_PlJNSB_9not_fun_tINSB_14equal_to_valueItEEEEEEE10hipError_tPvRmT3_T4_T5_T6_T7_T9_mT8_P12ihipStream_tbDpT10_ENKUlT_T0_E_clISt17integral_constantIbLb1EES17_IbLb0EEEEDaS13_S14_EUlS13_E_NS1_11comp_targetILNS1_3genE10ELNS1_11target_archE1200ELNS1_3gpuE4ELNS1_3repE0EEENS1_30default_config_static_selectorELNS0_4arch9wavefront6targetE0EEEvT1_.uses_flat_scratch, 0
	.set _ZN7rocprim17ROCPRIM_400000_NS6detail17trampoline_kernelINS0_14default_configENS1_25partition_config_selectorILNS1_17partition_subalgoE6EtNS0_10empty_typeEbEEZZNS1_14partition_implILS5_6ELb0ES3_mN6thrust23THRUST_200600_302600_NS6detail15normal_iteratorINSA_10device_ptrItEEEEPS6_SG_NS0_5tupleIJSF_S6_EEENSH_IJSG_SG_EEES6_PlJNSB_9not_fun_tINSB_14equal_to_valueItEEEEEEE10hipError_tPvRmT3_T4_T5_T6_T7_T9_mT8_P12ihipStream_tbDpT10_ENKUlT_T0_E_clISt17integral_constantIbLb1EES17_IbLb0EEEEDaS13_S14_EUlS13_E_NS1_11comp_targetILNS1_3genE10ELNS1_11target_archE1200ELNS1_3gpuE4ELNS1_3repE0EEENS1_30default_config_static_selectorELNS0_4arch9wavefront6targetE0EEEvT1_.has_dyn_sized_stack, 0
	.set _ZN7rocprim17ROCPRIM_400000_NS6detail17trampoline_kernelINS0_14default_configENS1_25partition_config_selectorILNS1_17partition_subalgoE6EtNS0_10empty_typeEbEEZZNS1_14partition_implILS5_6ELb0ES3_mN6thrust23THRUST_200600_302600_NS6detail15normal_iteratorINSA_10device_ptrItEEEEPS6_SG_NS0_5tupleIJSF_S6_EEENSH_IJSG_SG_EEES6_PlJNSB_9not_fun_tINSB_14equal_to_valueItEEEEEEE10hipError_tPvRmT3_T4_T5_T6_T7_T9_mT8_P12ihipStream_tbDpT10_ENKUlT_T0_E_clISt17integral_constantIbLb1EES17_IbLb0EEEEDaS13_S14_EUlS13_E_NS1_11comp_targetILNS1_3genE10ELNS1_11target_archE1200ELNS1_3gpuE4ELNS1_3repE0EEENS1_30default_config_static_selectorELNS0_4arch9wavefront6targetE0EEEvT1_.has_recursion, 0
	.set _ZN7rocprim17ROCPRIM_400000_NS6detail17trampoline_kernelINS0_14default_configENS1_25partition_config_selectorILNS1_17partition_subalgoE6EtNS0_10empty_typeEbEEZZNS1_14partition_implILS5_6ELb0ES3_mN6thrust23THRUST_200600_302600_NS6detail15normal_iteratorINSA_10device_ptrItEEEEPS6_SG_NS0_5tupleIJSF_S6_EEENSH_IJSG_SG_EEES6_PlJNSB_9not_fun_tINSB_14equal_to_valueItEEEEEEE10hipError_tPvRmT3_T4_T5_T6_T7_T9_mT8_P12ihipStream_tbDpT10_ENKUlT_T0_E_clISt17integral_constantIbLb1EES17_IbLb0EEEEDaS13_S14_EUlS13_E_NS1_11comp_targetILNS1_3genE10ELNS1_11target_archE1200ELNS1_3gpuE4ELNS1_3repE0EEENS1_30default_config_static_selectorELNS0_4arch9wavefront6targetE0EEEvT1_.has_indirect_call, 0
	.section	.AMDGPU.csdata,"",@progbits
; Kernel info:
; codeLenInByte = 4
; TotalNumSgprs: 0
; NumVgprs: 0
; ScratchSize: 0
; MemoryBound: 0
; FloatMode: 240
; IeeeMode: 1
; LDSByteSize: 0 bytes/workgroup (compile time only)
; SGPRBlocks: 0
; VGPRBlocks: 0
; NumSGPRsForWavesPerEU: 1
; NumVGPRsForWavesPerEU: 1
; Occupancy: 16
; WaveLimiterHint : 0
; COMPUTE_PGM_RSRC2:SCRATCH_EN: 0
; COMPUTE_PGM_RSRC2:USER_SGPR: 2
; COMPUTE_PGM_RSRC2:TRAP_HANDLER: 0
; COMPUTE_PGM_RSRC2:TGID_X_EN: 1
; COMPUTE_PGM_RSRC2:TGID_Y_EN: 0
; COMPUTE_PGM_RSRC2:TGID_Z_EN: 0
; COMPUTE_PGM_RSRC2:TIDIG_COMP_CNT: 0
	.section	.text._ZN7rocprim17ROCPRIM_400000_NS6detail17trampoline_kernelINS0_14default_configENS1_25partition_config_selectorILNS1_17partition_subalgoE6EtNS0_10empty_typeEbEEZZNS1_14partition_implILS5_6ELb0ES3_mN6thrust23THRUST_200600_302600_NS6detail15normal_iteratorINSA_10device_ptrItEEEEPS6_SG_NS0_5tupleIJSF_S6_EEENSH_IJSG_SG_EEES6_PlJNSB_9not_fun_tINSB_14equal_to_valueItEEEEEEE10hipError_tPvRmT3_T4_T5_T6_T7_T9_mT8_P12ihipStream_tbDpT10_ENKUlT_T0_E_clISt17integral_constantIbLb1EES17_IbLb0EEEEDaS13_S14_EUlS13_E_NS1_11comp_targetILNS1_3genE9ELNS1_11target_archE1100ELNS1_3gpuE3ELNS1_3repE0EEENS1_30default_config_static_selectorELNS0_4arch9wavefront6targetE0EEEvT1_,"axG",@progbits,_ZN7rocprim17ROCPRIM_400000_NS6detail17trampoline_kernelINS0_14default_configENS1_25partition_config_selectorILNS1_17partition_subalgoE6EtNS0_10empty_typeEbEEZZNS1_14partition_implILS5_6ELb0ES3_mN6thrust23THRUST_200600_302600_NS6detail15normal_iteratorINSA_10device_ptrItEEEEPS6_SG_NS0_5tupleIJSF_S6_EEENSH_IJSG_SG_EEES6_PlJNSB_9not_fun_tINSB_14equal_to_valueItEEEEEEE10hipError_tPvRmT3_T4_T5_T6_T7_T9_mT8_P12ihipStream_tbDpT10_ENKUlT_T0_E_clISt17integral_constantIbLb1EES17_IbLb0EEEEDaS13_S14_EUlS13_E_NS1_11comp_targetILNS1_3genE9ELNS1_11target_archE1100ELNS1_3gpuE3ELNS1_3repE0EEENS1_30default_config_static_selectorELNS0_4arch9wavefront6targetE0EEEvT1_,comdat
	.protected	_ZN7rocprim17ROCPRIM_400000_NS6detail17trampoline_kernelINS0_14default_configENS1_25partition_config_selectorILNS1_17partition_subalgoE6EtNS0_10empty_typeEbEEZZNS1_14partition_implILS5_6ELb0ES3_mN6thrust23THRUST_200600_302600_NS6detail15normal_iteratorINSA_10device_ptrItEEEEPS6_SG_NS0_5tupleIJSF_S6_EEENSH_IJSG_SG_EEES6_PlJNSB_9not_fun_tINSB_14equal_to_valueItEEEEEEE10hipError_tPvRmT3_T4_T5_T6_T7_T9_mT8_P12ihipStream_tbDpT10_ENKUlT_T0_E_clISt17integral_constantIbLb1EES17_IbLb0EEEEDaS13_S14_EUlS13_E_NS1_11comp_targetILNS1_3genE9ELNS1_11target_archE1100ELNS1_3gpuE3ELNS1_3repE0EEENS1_30default_config_static_selectorELNS0_4arch9wavefront6targetE0EEEvT1_ ; -- Begin function _ZN7rocprim17ROCPRIM_400000_NS6detail17trampoline_kernelINS0_14default_configENS1_25partition_config_selectorILNS1_17partition_subalgoE6EtNS0_10empty_typeEbEEZZNS1_14partition_implILS5_6ELb0ES3_mN6thrust23THRUST_200600_302600_NS6detail15normal_iteratorINSA_10device_ptrItEEEEPS6_SG_NS0_5tupleIJSF_S6_EEENSH_IJSG_SG_EEES6_PlJNSB_9not_fun_tINSB_14equal_to_valueItEEEEEEE10hipError_tPvRmT3_T4_T5_T6_T7_T9_mT8_P12ihipStream_tbDpT10_ENKUlT_T0_E_clISt17integral_constantIbLb1EES17_IbLb0EEEEDaS13_S14_EUlS13_E_NS1_11comp_targetILNS1_3genE9ELNS1_11target_archE1100ELNS1_3gpuE3ELNS1_3repE0EEENS1_30default_config_static_selectorELNS0_4arch9wavefront6targetE0EEEvT1_
	.globl	_ZN7rocprim17ROCPRIM_400000_NS6detail17trampoline_kernelINS0_14default_configENS1_25partition_config_selectorILNS1_17partition_subalgoE6EtNS0_10empty_typeEbEEZZNS1_14partition_implILS5_6ELb0ES3_mN6thrust23THRUST_200600_302600_NS6detail15normal_iteratorINSA_10device_ptrItEEEEPS6_SG_NS0_5tupleIJSF_S6_EEENSH_IJSG_SG_EEES6_PlJNSB_9not_fun_tINSB_14equal_to_valueItEEEEEEE10hipError_tPvRmT3_T4_T5_T6_T7_T9_mT8_P12ihipStream_tbDpT10_ENKUlT_T0_E_clISt17integral_constantIbLb1EES17_IbLb0EEEEDaS13_S14_EUlS13_E_NS1_11comp_targetILNS1_3genE9ELNS1_11target_archE1100ELNS1_3gpuE3ELNS1_3repE0EEENS1_30default_config_static_selectorELNS0_4arch9wavefront6targetE0EEEvT1_
	.p2align	8
	.type	_ZN7rocprim17ROCPRIM_400000_NS6detail17trampoline_kernelINS0_14default_configENS1_25partition_config_selectorILNS1_17partition_subalgoE6EtNS0_10empty_typeEbEEZZNS1_14partition_implILS5_6ELb0ES3_mN6thrust23THRUST_200600_302600_NS6detail15normal_iteratorINSA_10device_ptrItEEEEPS6_SG_NS0_5tupleIJSF_S6_EEENSH_IJSG_SG_EEES6_PlJNSB_9not_fun_tINSB_14equal_to_valueItEEEEEEE10hipError_tPvRmT3_T4_T5_T6_T7_T9_mT8_P12ihipStream_tbDpT10_ENKUlT_T0_E_clISt17integral_constantIbLb1EES17_IbLb0EEEEDaS13_S14_EUlS13_E_NS1_11comp_targetILNS1_3genE9ELNS1_11target_archE1100ELNS1_3gpuE3ELNS1_3repE0EEENS1_30default_config_static_selectorELNS0_4arch9wavefront6targetE0EEEvT1_,@function
_ZN7rocprim17ROCPRIM_400000_NS6detail17trampoline_kernelINS0_14default_configENS1_25partition_config_selectorILNS1_17partition_subalgoE6EtNS0_10empty_typeEbEEZZNS1_14partition_implILS5_6ELb0ES3_mN6thrust23THRUST_200600_302600_NS6detail15normal_iteratorINSA_10device_ptrItEEEEPS6_SG_NS0_5tupleIJSF_S6_EEENSH_IJSG_SG_EEES6_PlJNSB_9not_fun_tINSB_14equal_to_valueItEEEEEEE10hipError_tPvRmT3_T4_T5_T6_T7_T9_mT8_P12ihipStream_tbDpT10_ENKUlT_T0_E_clISt17integral_constantIbLb1EES17_IbLb0EEEEDaS13_S14_EUlS13_E_NS1_11comp_targetILNS1_3genE9ELNS1_11target_archE1100ELNS1_3gpuE3ELNS1_3repE0EEENS1_30default_config_static_selectorELNS0_4arch9wavefront6targetE0EEEvT1_: ; @_ZN7rocprim17ROCPRIM_400000_NS6detail17trampoline_kernelINS0_14default_configENS1_25partition_config_selectorILNS1_17partition_subalgoE6EtNS0_10empty_typeEbEEZZNS1_14partition_implILS5_6ELb0ES3_mN6thrust23THRUST_200600_302600_NS6detail15normal_iteratorINSA_10device_ptrItEEEEPS6_SG_NS0_5tupleIJSF_S6_EEENSH_IJSG_SG_EEES6_PlJNSB_9not_fun_tINSB_14equal_to_valueItEEEEEEE10hipError_tPvRmT3_T4_T5_T6_T7_T9_mT8_P12ihipStream_tbDpT10_ENKUlT_T0_E_clISt17integral_constantIbLb1EES17_IbLb0EEEEDaS13_S14_EUlS13_E_NS1_11comp_targetILNS1_3genE9ELNS1_11target_archE1100ELNS1_3gpuE3ELNS1_3repE0EEENS1_30default_config_static_selectorELNS0_4arch9wavefront6targetE0EEEvT1_
; %bb.0:
	.section	.rodata,"a",@progbits
	.p2align	6, 0x0
	.amdhsa_kernel _ZN7rocprim17ROCPRIM_400000_NS6detail17trampoline_kernelINS0_14default_configENS1_25partition_config_selectorILNS1_17partition_subalgoE6EtNS0_10empty_typeEbEEZZNS1_14partition_implILS5_6ELb0ES3_mN6thrust23THRUST_200600_302600_NS6detail15normal_iteratorINSA_10device_ptrItEEEEPS6_SG_NS0_5tupleIJSF_S6_EEENSH_IJSG_SG_EEES6_PlJNSB_9not_fun_tINSB_14equal_to_valueItEEEEEEE10hipError_tPvRmT3_T4_T5_T6_T7_T9_mT8_P12ihipStream_tbDpT10_ENKUlT_T0_E_clISt17integral_constantIbLb1EES17_IbLb0EEEEDaS13_S14_EUlS13_E_NS1_11comp_targetILNS1_3genE9ELNS1_11target_archE1100ELNS1_3gpuE3ELNS1_3repE0EEENS1_30default_config_static_selectorELNS0_4arch9wavefront6targetE0EEEvT1_
		.amdhsa_group_segment_fixed_size 0
		.amdhsa_private_segment_fixed_size 0
		.amdhsa_kernarg_size 112
		.amdhsa_user_sgpr_count 2
		.amdhsa_user_sgpr_dispatch_ptr 0
		.amdhsa_user_sgpr_queue_ptr 0
		.amdhsa_user_sgpr_kernarg_segment_ptr 1
		.amdhsa_user_sgpr_dispatch_id 0
		.amdhsa_user_sgpr_private_segment_size 0
		.amdhsa_wavefront_size32 1
		.amdhsa_uses_dynamic_stack 0
		.amdhsa_enable_private_segment 0
		.amdhsa_system_sgpr_workgroup_id_x 1
		.amdhsa_system_sgpr_workgroup_id_y 0
		.amdhsa_system_sgpr_workgroup_id_z 0
		.amdhsa_system_sgpr_workgroup_info 0
		.amdhsa_system_vgpr_workitem_id 0
		.amdhsa_next_free_vgpr 1
		.amdhsa_next_free_sgpr 1
		.amdhsa_reserve_vcc 0
		.amdhsa_float_round_mode_32 0
		.amdhsa_float_round_mode_16_64 0
		.amdhsa_float_denorm_mode_32 3
		.amdhsa_float_denorm_mode_16_64 3
		.amdhsa_fp16_overflow 0
		.amdhsa_workgroup_processor_mode 1
		.amdhsa_memory_ordered 1
		.amdhsa_forward_progress 1
		.amdhsa_inst_pref_size 0
		.amdhsa_round_robin_scheduling 0
		.amdhsa_exception_fp_ieee_invalid_op 0
		.amdhsa_exception_fp_denorm_src 0
		.amdhsa_exception_fp_ieee_div_zero 0
		.amdhsa_exception_fp_ieee_overflow 0
		.amdhsa_exception_fp_ieee_underflow 0
		.amdhsa_exception_fp_ieee_inexact 0
		.amdhsa_exception_int_div_zero 0
	.end_amdhsa_kernel
	.section	.text._ZN7rocprim17ROCPRIM_400000_NS6detail17trampoline_kernelINS0_14default_configENS1_25partition_config_selectorILNS1_17partition_subalgoE6EtNS0_10empty_typeEbEEZZNS1_14partition_implILS5_6ELb0ES3_mN6thrust23THRUST_200600_302600_NS6detail15normal_iteratorINSA_10device_ptrItEEEEPS6_SG_NS0_5tupleIJSF_S6_EEENSH_IJSG_SG_EEES6_PlJNSB_9not_fun_tINSB_14equal_to_valueItEEEEEEE10hipError_tPvRmT3_T4_T5_T6_T7_T9_mT8_P12ihipStream_tbDpT10_ENKUlT_T0_E_clISt17integral_constantIbLb1EES17_IbLb0EEEEDaS13_S14_EUlS13_E_NS1_11comp_targetILNS1_3genE9ELNS1_11target_archE1100ELNS1_3gpuE3ELNS1_3repE0EEENS1_30default_config_static_selectorELNS0_4arch9wavefront6targetE0EEEvT1_,"axG",@progbits,_ZN7rocprim17ROCPRIM_400000_NS6detail17trampoline_kernelINS0_14default_configENS1_25partition_config_selectorILNS1_17partition_subalgoE6EtNS0_10empty_typeEbEEZZNS1_14partition_implILS5_6ELb0ES3_mN6thrust23THRUST_200600_302600_NS6detail15normal_iteratorINSA_10device_ptrItEEEEPS6_SG_NS0_5tupleIJSF_S6_EEENSH_IJSG_SG_EEES6_PlJNSB_9not_fun_tINSB_14equal_to_valueItEEEEEEE10hipError_tPvRmT3_T4_T5_T6_T7_T9_mT8_P12ihipStream_tbDpT10_ENKUlT_T0_E_clISt17integral_constantIbLb1EES17_IbLb0EEEEDaS13_S14_EUlS13_E_NS1_11comp_targetILNS1_3genE9ELNS1_11target_archE1100ELNS1_3gpuE3ELNS1_3repE0EEENS1_30default_config_static_selectorELNS0_4arch9wavefront6targetE0EEEvT1_,comdat
.Lfunc_end427:
	.size	_ZN7rocprim17ROCPRIM_400000_NS6detail17trampoline_kernelINS0_14default_configENS1_25partition_config_selectorILNS1_17partition_subalgoE6EtNS0_10empty_typeEbEEZZNS1_14partition_implILS5_6ELb0ES3_mN6thrust23THRUST_200600_302600_NS6detail15normal_iteratorINSA_10device_ptrItEEEEPS6_SG_NS0_5tupleIJSF_S6_EEENSH_IJSG_SG_EEES6_PlJNSB_9not_fun_tINSB_14equal_to_valueItEEEEEEE10hipError_tPvRmT3_T4_T5_T6_T7_T9_mT8_P12ihipStream_tbDpT10_ENKUlT_T0_E_clISt17integral_constantIbLb1EES17_IbLb0EEEEDaS13_S14_EUlS13_E_NS1_11comp_targetILNS1_3genE9ELNS1_11target_archE1100ELNS1_3gpuE3ELNS1_3repE0EEENS1_30default_config_static_selectorELNS0_4arch9wavefront6targetE0EEEvT1_, .Lfunc_end427-_ZN7rocprim17ROCPRIM_400000_NS6detail17trampoline_kernelINS0_14default_configENS1_25partition_config_selectorILNS1_17partition_subalgoE6EtNS0_10empty_typeEbEEZZNS1_14partition_implILS5_6ELb0ES3_mN6thrust23THRUST_200600_302600_NS6detail15normal_iteratorINSA_10device_ptrItEEEEPS6_SG_NS0_5tupleIJSF_S6_EEENSH_IJSG_SG_EEES6_PlJNSB_9not_fun_tINSB_14equal_to_valueItEEEEEEE10hipError_tPvRmT3_T4_T5_T6_T7_T9_mT8_P12ihipStream_tbDpT10_ENKUlT_T0_E_clISt17integral_constantIbLb1EES17_IbLb0EEEEDaS13_S14_EUlS13_E_NS1_11comp_targetILNS1_3genE9ELNS1_11target_archE1100ELNS1_3gpuE3ELNS1_3repE0EEENS1_30default_config_static_selectorELNS0_4arch9wavefront6targetE0EEEvT1_
                                        ; -- End function
	.set _ZN7rocprim17ROCPRIM_400000_NS6detail17trampoline_kernelINS0_14default_configENS1_25partition_config_selectorILNS1_17partition_subalgoE6EtNS0_10empty_typeEbEEZZNS1_14partition_implILS5_6ELb0ES3_mN6thrust23THRUST_200600_302600_NS6detail15normal_iteratorINSA_10device_ptrItEEEEPS6_SG_NS0_5tupleIJSF_S6_EEENSH_IJSG_SG_EEES6_PlJNSB_9not_fun_tINSB_14equal_to_valueItEEEEEEE10hipError_tPvRmT3_T4_T5_T6_T7_T9_mT8_P12ihipStream_tbDpT10_ENKUlT_T0_E_clISt17integral_constantIbLb1EES17_IbLb0EEEEDaS13_S14_EUlS13_E_NS1_11comp_targetILNS1_3genE9ELNS1_11target_archE1100ELNS1_3gpuE3ELNS1_3repE0EEENS1_30default_config_static_selectorELNS0_4arch9wavefront6targetE0EEEvT1_.num_vgpr, 0
	.set _ZN7rocprim17ROCPRIM_400000_NS6detail17trampoline_kernelINS0_14default_configENS1_25partition_config_selectorILNS1_17partition_subalgoE6EtNS0_10empty_typeEbEEZZNS1_14partition_implILS5_6ELb0ES3_mN6thrust23THRUST_200600_302600_NS6detail15normal_iteratorINSA_10device_ptrItEEEEPS6_SG_NS0_5tupleIJSF_S6_EEENSH_IJSG_SG_EEES6_PlJNSB_9not_fun_tINSB_14equal_to_valueItEEEEEEE10hipError_tPvRmT3_T4_T5_T6_T7_T9_mT8_P12ihipStream_tbDpT10_ENKUlT_T0_E_clISt17integral_constantIbLb1EES17_IbLb0EEEEDaS13_S14_EUlS13_E_NS1_11comp_targetILNS1_3genE9ELNS1_11target_archE1100ELNS1_3gpuE3ELNS1_3repE0EEENS1_30default_config_static_selectorELNS0_4arch9wavefront6targetE0EEEvT1_.num_agpr, 0
	.set _ZN7rocprim17ROCPRIM_400000_NS6detail17trampoline_kernelINS0_14default_configENS1_25partition_config_selectorILNS1_17partition_subalgoE6EtNS0_10empty_typeEbEEZZNS1_14partition_implILS5_6ELb0ES3_mN6thrust23THRUST_200600_302600_NS6detail15normal_iteratorINSA_10device_ptrItEEEEPS6_SG_NS0_5tupleIJSF_S6_EEENSH_IJSG_SG_EEES6_PlJNSB_9not_fun_tINSB_14equal_to_valueItEEEEEEE10hipError_tPvRmT3_T4_T5_T6_T7_T9_mT8_P12ihipStream_tbDpT10_ENKUlT_T0_E_clISt17integral_constantIbLb1EES17_IbLb0EEEEDaS13_S14_EUlS13_E_NS1_11comp_targetILNS1_3genE9ELNS1_11target_archE1100ELNS1_3gpuE3ELNS1_3repE0EEENS1_30default_config_static_selectorELNS0_4arch9wavefront6targetE0EEEvT1_.numbered_sgpr, 0
	.set _ZN7rocprim17ROCPRIM_400000_NS6detail17trampoline_kernelINS0_14default_configENS1_25partition_config_selectorILNS1_17partition_subalgoE6EtNS0_10empty_typeEbEEZZNS1_14partition_implILS5_6ELb0ES3_mN6thrust23THRUST_200600_302600_NS6detail15normal_iteratorINSA_10device_ptrItEEEEPS6_SG_NS0_5tupleIJSF_S6_EEENSH_IJSG_SG_EEES6_PlJNSB_9not_fun_tINSB_14equal_to_valueItEEEEEEE10hipError_tPvRmT3_T4_T5_T6_T7_T9_mT8_P12ihipStream_tbDpT10_ENKUlT_T0_E_clISt17integral_constantIbLb1EES17_IbLb0EEEEDaS13_S14_EUlS13_E_NS1_11comp_targetILNS1_3genE9ELNS1_11target_archE1100ELNS1_3gpuE3ELNS1_3repE0EEENS1_30default_config_static_selectorELNS0_4arch9wavefront6targetE0EEEvT1_.num_named_barrier, 0
	.set _ZN7rocprim17ROCPRIM_400000_NS6detail17trampoline_kernelINS0_14default_configENS1_25partition_config_selectorILNS1_17partition_subalgoE6EtNS0_10empty_typeEbEEZZNS1_14partition_implILS5_6ELb0ES3_mN6thrust23THRUST_200600_302600_NS6detail15normal_iteratorINSA_10device_ptrItEEEEPS6_SG_NS0_5tupleIJSF_S6_EEENSH_IJSG_SG_EEES6_PlJNSB_9not_fun_tINSB_14equal_to_valueItEEEEEEE10hipError_tPvRmT3_T4_T5_T6_T7_T9_mT8_P12ihipStream_tbDpT10_ENKUlT_T0_E_clISt17integral_constantIbLb1EES17_IbLb0EEEEDaS13_S14_EUlS13_E_NS1_11comp_targetILNS1_3genE9ELNS1_11target_archE1100ELNS1_3gpuE3ELNS1_3repE0EEENS1_30default_config_static_selectorELNS0_4arch9wavefront6targetE0EEEvT1_.private_seg_size, 0
	.set _ZN7rocprim17ROCPRIM_400000_NS6detail17trampoline_kernelINS0_14default_configENS1_25partition_config_selectorILNS1_17partition_subalgoE6EtNS0_10empty_typeEbEEZZNS1_14partition_implILS5_6ELb0ES3_mN6thrust23THRUST_200600_302600_NS6detail15normal_iteratorINSA_10device_ptrItEEEEPS6_SG_NS0_5tupleIJSF_S6_EEENSH_IJSG_SG_EEES6_PlJNSB_9not_fun_tINSB_14equal_to_valueItEEEEEEE10hipError_tPvRmT3_T4_T5_T6_T7_T9_mT8_P12ihipStream_tbDpT10_ENKUlT_T0_E_clISt17integral_constantIbLb1EES17_IbLb0EEEEDaS13_S14_EUlS13_E_NS1_11comp_targetILNS1_3genE9ELNS1_11target_archE1100ELNS1_3gpuE3ELNS1_3repE0EEENS1_30default_config_static_selectorELNS0_4arch9wavefront6targetE0EEEvT1_.uses_vcc, 0
	.set _ZN7rocprim17ROCPRIM_400000_NS6detail17trampoline_kernelINS0_14default_configENS1_25partition_config_selectorILNS1_17partition_subalgoE6EtNS0_10empty_typeEbEEZZNS1_14partition_implILS5_6ELb0ES3_mN6thrust23THRUST_200600_302600_NS6detail15normal_iteratorINSA_10device_ptrItEEEEPS6_SG_NS0_5tupleIJSF_S6_EEENSH_IJSG_SG_EEES6_PlJNSB_9not_fun_tINSB_14equal_to_valueItEEEEEEE10hipError_tPvRmT3_T4_T5_T6_T7_T9_mT8_P12ihipStream_tbDpT10_ENKUlT_T0_E_clISt17integral_constantIbLb1EES17_IbLb0EEEEDaS13_S14_EUlS13_E_NS1_11comp_targetILNS1_3genE9ELNS1_11target_archE1100ELNS1_3gpuE3ELNS1_3repE0EEENS1_30default_config_static_selectorELNS0_4arch9wavefront6targetE0EEEvT1_.uses_flat_scratch, 0
	.set _ZN7rocprim17ROCPRIM_400000_NS6detail17trampoline_kernelINS0_14default_configENS1_25partition_config_selectorILNS1_17partition_subalgoE6EtNS0_10empty_typeEbEEZZNS1_14partition_implILS5_6ELb0ES3_mN6thrust23THRUST_200600_302600_NS6detail15normal_iteratorINSA_10device_ptrItEEEEPS6_SG_NS0_5tupleIJSF_S6_EEENSH_IJSG_SG_EEES6_PlJNSB_9not_fun_tINSB_14equal_to_valueItEEEEEEE10hipError_tPvRmT3_T4_T5_T6_T7_T9_mT8_P12ihipStream_tbDpT10_ENKUlT_T0_E_clISt17integral_constantIbLb1EES17_IbLb0EEEEDaS13_S14_EUlS13_E_NS1_11comp_targetILNS1_3genE9ELNS1_11target_archE1100ELNS1_3gpuE3ELNS1_3repE0EEENS1_30default_config_static_selectorELNS0_4arch9wavefront6targetE0EEEvT1_.has_dyn_sized_stack, 0
	.set _ZN7rocprim17ROCPRIM_400000_NS6detail17trampoline_kernelINS0_14default_configENS1_25partition_config_selectorILNS1_17partition_subalgoE6EtNS0_10empty_typeEbEEZZNS1_14partition_implILS5_6ELb0ES3_mN6thrust23THRUST_200600_302600_NS6detail15normal_iteratorINSA_10device_ptrItEEEEPS6_SG_NS0_5tupleIJSF_S6_EEENSH_IJSG_SG_EEES6_PlJNSB_9not_fun_tINSB_14equal_to_valueItEEEEEEE10hipError_tPvRmT3_T4_T5_T6_T7_T9_mT8_P12ihipStream_tbDpT10_ENKUlT_T0_E_clISt17integral_constantIbLb1EES17_IbLb0EEEEDaS13_S14_EUlS13_E_NS1_11comp_targetILNS1_3genE9ELNS1_11target_archE1100ELNS1_3gpuE3ELNS1_3repE0EEENS1_30default_config_static_selectorELNS0_4arch9wavefront6targetE0EEEvT1_.has_recursion, 0
	.set _ZN7rocprim17ROCPRIM_400000_NS6detail17trampoline_kernelINS0_14default_configENS1_25partition_config_selectorILNS1_17partition_subalgoE6EtNS0_10empty_typeEbEEZZNS1_14partition_implILS5_6ELb0ES3_mN6thrust23THRUST_200600_302600_NS6detail15normal_iteratorINSA_10device_ptrItEEEEPS6_SG_NS0_5tupleIJSF_S6_EEENSH_IJSG_SG_EEES6_PlJNSB_9not_fun_tINSB_14equal_to_valueItEEEEEEE10hipError_tPvRmT3_T4_T5_T6_T7_T9_mT8_P12ihipStream_tbDpT10_ENKUlT_T0_E_clISt17integral_constantIbLb1EES17_IbLb0EEEEDaS13_S14_EUlS13_E_NS1_11comp_targetILNS1_3genE9ELNS1_11target_archE1100ELNS1_3gpuE3ELNS1_3repE0EEENS1_30default_config_static_selectorELNS0_4arch9wavefront6targetE0EEEvT1_.has_indirect_call, 0
	.section	.AMDGPU.csdata,"",@progbits
; Kernel info:
; codeLenInByte = 0
; TotalNumSgprs: 0
; NumVgprs: 0
; ScratchSize: 0
; MemoryBound: 0
; FloatMode: 240
; IeeeMode: 1
; LDSByteSize: 0 bytes/workgroup (compile time only)
; SGPRBlocks: 0
; VGPRBlocks: 0
; NumSGPRsForWavesPerEU: 1
; NumVGPRsForWavesPerEU: 1
; Occupancy: 16
; WaveLimiterHint : 0
; COMPUTE_PGM_RSRC2:SCRATCH_EN: 0
; COMPUTE_PGM_RSRC2:USER_SGPR: 2
; COMPUTE_PGM_RSRC2:TRAP_HANDLER: 0
; COMPUTE_PGM_RSRC2:TGID_X_EN: 1
; COMPUTE_PGM_RSRC2:TGID_Y_EN: 0
; COMPUTE_PGM_RSRC2:TGID_Z_EN: 0
; COMPUTE_PGM_RSRC2:TIDIG_COMP_CNT: 0
	.section	.text._ZN7rocprim17ROCPRIM_400000_NS6detail17trampoline_kernelINS0_14default_configENS1_25partition_config_selectorILNS1_17partition_subalgoE6EtNS0_10empty_typeEbEEZZNS1_14partition_implILS5_6ELb0ES3_mN6thrust23THRUST_200600_302600_NS6detail15normal_iteratorINSA_10device_ptrItEEEEPS6_SG_NS0_5tupleIJSF_S6_EEENSH_IJSG_SG_EEES6_PlJNSB_9not_fun_tINSB_14equal_to_valueItEEEEEEE10hipError_tPvRmT3_T4_T5_T6_T7_T9_mT8_P12ihipStream_tbDpT10_ENKUlT_T0_E_clISt17integral_constantIbLb1EES17_IbLb0EEEEDaS13_S14_EUlS13_E_NS1_11comp_targetILNS1_3genE8ELNS1_11target_archE1030ELNS1_3gpuE2ELNS1_3repE0EEENS1_30default_config_static_selectorELNS0_4arch9wavefront6targetE0EEEvT1_,"axG",@progbits,_ZN7rocprim17ROCPRIM_400000_NS6detail17trampoline_kernelINS0_14default_configENS1_25partition_config_selectorILNS1_17partition_subalgoE6EtNS0_10empty_typeEbEEZZNS1_14partition_implILS5_6ELb0ES3_mN6thrust23THRUST_200600_302600_NS6detail15normal_iteratorINSA_10device_ptrItEEEEPS6_SG_NS0_5tupleIJSF_S6_EEENSH_IJSG_SG_EEES6_PlJNSB_9not_fun_tINSB_14equal_to_valueItEEEEEEE10hipError_tPvRmT3_T4_T5_T6_T7_T9_mT8_P12ihipStream_tbDpT10_ENKUlT_T0_E_clISt17integral_constantIbLb1EES17_IbLb0EEEEDaS13_S14_EUlS13_E_NS1_11comp_targetILNS1_3genE8ELNS1_11target_archE1030ELNS1_3gpuE2ELNS1_3repE0EEENS1_30default_config_static_selectorELNS0_4arch9wavefront6targetE0EEEvT1_,comdat
	.protected	_ZN7rocprim17ROCPRIM_400000_NS6detail17trampoline_kernelINS0_14default_configENS1_25partition_config_selectorILNS1_17partition_subalgoE6EtNS0_10empty_typeEbEEZZNS1_14partition_implILS5_6ELb0ES3_mN6thrust23THRUST_200600_302600_NS6detail15normal_iteratorINSA_10device_ptrItEEEEPS6_SG_NS0_5tupleIJSF_S6_EEENSH_IJSG_SG_EEES6_PlJNSB_9not_fun_tINSB_14equal_to_valueItEEEEEEE10hipError_tPvRmT3_T4_T5_T6_T7_T9_mT8_P12ihipStream_tbDpT10_ENKUlT_T0_E_clISt17integral_constantIbLb1EES17_IbLb0EEEEDaS13_S14_EUlS13_E_NS1_11comp_targetILNS1_3genE8ELNS1_11target_archE1030ELNS1_3gpuE2ELNS1_3repE0EEENS1_30default_config_static_selectorELNS0_4arch9wavefront6targetE0EEEvT1_ ; -- Begin function _ZN7rocprim17ROCPRIM_400000_NS6detail17trampoline_kernelINS0_14default_configENS1_25partition_config_selectorILNS1_17partition_subalgoE6EtNS0_10empty_typeEbEEZZNS1_14partition_implILS5_6ELb0ES3_mN6thrust23THRUST_200600_302600_NS6detail15normal_iteratorINSA_10device_ptrItEEEEPS6_SG_NS0_5tupleIJSF_S6_EEENSH_IJSG_SG_EEES6_PlJNSB_9not_fun_tINSB_14equal_to_valueItEEEEEEE10hipError_tPvRmT3_T4_T5_T6_T7_T9_mT8_P12ihipStream_tbDpT10_ENKUlT_T0_E_clISt17integral_constantIbLb1EES17_IbLb0EEEEDaS13_S14_EUlS13_E_NS1_11comp_targetILNS1_3genE8ELNS1_11target_archE1030ELNS1_3gpuE2ELNS1_3repE0EEENS1_30default_config_static_selectorELNS0_4arch9wavefront6targetE0EEEvT1_
	.globl	_ZN7rocprim17ROCPRIM_400000_NS6detail17trampoline_kernelINS0_14default_configENS1_25partition_config_selectorILNS1_17partition_subalgoE6EtNS0_10empty_typeEbEEZZNS1_14partition_implILS5_6ELb0ES3_mN6thrust23THRUST_200600_302600_NS6detail15normal_iteratorINSA_10device_ptrItEEEEPS6_SG_NS0_5tupleIJSF_S6_EEENSH_IJSG_SG_EEES6_PlJNSB_9not_fun_tINSB_14equal_to_valueItEEEEEEE10hipError_tPvRmT3_T4_T5_T6_T7_T9_mT8_P12ihipStream_tbDpT10_ENKUlT_T0_E_clISt17integral_constantIbLb1EES17_IbLb0EEEEDaS13_S14_EUlS13_E_NS1_11comp_targetILNS1_3genE8ELNS1_11target_archE1030ELNS1_3gpuE2ELNS1_3repE0EEENS1_30default_config_static_selectorELNS0_4arch9wavefront6targetE0EEEvT1_
	.p2align	8
	.type	_ZN7rocprim17ROCPRIM_400000_NS6detail17trampoline_kernelINS0_14default_configENS1_25partition_config_selectorILNS1_17partition_subalgoE6EtNS0_10empty_typeEbEEZZNS1_14partition_implILS5_6ELb0ES3_mN6thrust23THRUST_200600_302600_NS6detail15normal_iteratorINSA_10device_ptrItEEEEPS6_SG_NS0_5tupleIJSF_S6_EEENSH_IJSG_SG_EEES6_PlJNSB_9not_fun_tINSB_14equal_to_valueItEEEEEEE10hipError_tPvRmT3_T4_T5_T6_T7_T9_mT8_P12ihipStream_tbDpT10_ENKUlT_T0_E_clISt17integral_constantIbLb1EES17_IbLb0EEEEDaS13_S14_EUlS13_E_NS1_11comp_targetILNS1_3genE8ELNS1_11target_archE1030ELNS1_3gpuE2ELNS1_3repE0EEENS1_30default_config_static_selectorELNS0_4arch9wavefront6targetE0EEEvT1_,@function
_ZN7rocprim17ROCPRIM_400000_NS6detail17trampoline_kernelINS0_14default_configENS1_25partition_config_selectorILNS1_17partition_subalgoE6EtNS0_10empty_typeEbEEZZNS1_14partition_implILS5_6ELb0ES3_mN6thrust23THRUST_200600_302600_NS6detail15normal_iteratorINSA_10device_ptrItEEEEPS6_SG_NS0_5tupleIJSF_S6_EEENSH_IJSG_SG_EEES6_PlJNSB_9not_fun_tINSB_14equal_to_valueItEEEEEEE10hipError_tPvRmT3_T4_T5_T6_T7_T9_mT8_P12ihipStream_tbDpT10_ENKUlT_T0_E_clISt17integral_constantIbLb1EES17_IbLb0EEEEDaS13_S14_EUlS13_E_NS1_11comp_targetILNS1_3genE8ELNS1_11target_archE1030ELNS1_3gpuE2ELNS1_3repE0EEENS1_30default_config_static_selectorELNS0_4arch9wavefront6targetE0EEEvT1_: ; @_ZN7rocprim17ROCPRIM_400000_NS6detail17trampoline_kernelINS0_14default_configENS1_25partition_config_selectorILNS1_17partition_subalgoE6EtNS0_10empty_typeEbEEZZNS1_14partition_implILS5_6ELb0ES3_mN6thrust23THRUST_200600_302600_NS6detail15normal_iteratorINSA_10device_ptrItEEEEPS6_SG_NS0_5tupleIJSF_S6_EEENSH_IJSG_SG_EEES6_PlJNSB_9not_fun_tINSB_14equal_to_valueItEEEEEEE10hipError_tPvRmT3_T4_T5_T6_T7_T9_mT8_P12ihipStream_tbDpT10_ENKUlT_T0_E_clISt17integral_constantIbLb1EES17_IbLb0EEEEDaS13_S14_EUlS13_E_NS1_11comp_targetILNS1_3genE8ELNS1_11target_archE1030ELNS1_3gpuE2ELNS1_3repE0EEENS1_30default_config_static_selectorELNS0_4arch9wavefront6targetE0EEEvT1_
; %bb.0:
	.section	.rodata,"a",@progbits
	.p2align	6, 0x0
	.amdhsa_kernel _ZN7rocprim17ROCPRIM_400000_NS6detail17trampoline_kernelINS0_14default_configENS1_25partition_config_selectorILNS1_17partition_subalgoE6EtNS0_10empty_typeEbEEZZNS1_14partition_implILS5_6ELb0ES3_mN6thrust23THRUST_200600_302600_NS6detail15normal_iteratorINSA_10device_ptrItEEEEPS6_SG_NS0_5tupleIJSF_S6_EEENSH_IJSG_SG_EEES6_PlJNSB_9not_fun_tINSB_14equal_to_valueItEEEEEEE10hipError_tPvRmT3_T4_T5_T6_T7_T9_mT8_P12ihipStream_tbDpT10_ENKUlT_T0_E_clISt17integral_constantIbLb1EES17_IbLb0EEEEDaS13_S14_EUlS13_E_NS1_11comp_targetILNS1_3genE8ELNS1_11target_archE1030ELNS1_3gpuE2ELNS1_3repE0EEENS1_30default_config_static_selectorELNS0_4arch9wavefront6targetE0EEEvT1_
		.amdhsa_group_segment_fixed_size 0
		.amdhsa_private_segment_fixed_size 0
		.amdhsa_kernarg_size 112
		.amdhsa_user_sgpr_count 2
		.amdhsa_user_sgpr_dispatch_ptr 0
		.amdhsa_user_sgpr_queue_ptr 0
		.amdhsa_user_sgpr_kernarg_segment_ptr 1
		.amdhsa_user_sgpr_dispatch_id 0
		.amdhsa_user_sgpr_private_segment_size 0
		.amdhsa_wavefront_size32 1
		.amdhsa_uses_dynamic_stack 0
		.amdhsa_enable_private_segment 0
		.amdhsa_system_sgpr_workgroup_id_x 1
		.amdhsa_system_sgpr_workgroup_id_y 0
		.amdhsa_system_sgpr_workgroup_id_z 0
		.amdhsa_system_sgpr_workgroup_info 0
		.amdhsa_system_vgpr_workitem_id 0
		.amdhsa_next_free_vgpr 1
		.amdhsa_next_free_sgpr 1
		.amdhsa_reserve_vcc 0
		.amdhsa_float_round_mode_32 0
		.amdhsa_float_round_mode_16_64 0
		.amdhsa_float_denorm_mode_32 3
		.amdhsa_float_denorm_mode_16_64 3
		.amdhsa_fp16_overflow 0
		.amdhsa_workgroup_processor_mode 1
		.amdhsa_memory_ordered 1
		.amdhsa_forward_progress 1
		.amdhsa_inst_pref_size 0
		.amdhsa_round_robin_scheduling 0
		.amdhsa_exception_fp_ieee_invalid_op 0
		.amdhsa_exception_fp_denorm_src 0
		.amdhsa_exception_fp_ieee_div_zero 0
		.amdhsa_exception_fp_ieee_overflow 0
		.amdhsa_exception_fp_ieee_underflow 0
		.amdhsa_exception_fp_ieee_inexact 0
		.amdhsa_exception_int_div_zero 0
	.end_amdhsa_kernel
	.section	.text._ZN7rocprim17ROCPRIM_400000_NS6detail17trampoline_kernelINS0_14default_configENS1_25partition_config_selectorILNS1_17partition_subalgoE6EtNS0_10empty_typeEbEEZZNS1_14partition_implILS5_6ELb0ES3_mN6thrust23THRUST_200600_302600_NS6detail15normal_iteratorINSA_10device_ptrItEEEEPS6_SG_NS0_5tupleIJSF_S6_EEENSH_IJSG_SG_EEES6_PlJNSB_9not_fun_tINSB_14equal_to_valueItEEEEEEE10hipError_tPvRmT3_T4_T5_T6_T7_T9_mT8_P12ihipStream_tbDpT10_ENKUlT_T0_E_clISt17integral_constantIbLb1EES17_IbLb0EEEEDaS13_S14_EUlS13_E_NS1_11comp_targetILNS1_3genE8ELNS1_11target_archE1030ELNS1_3gpuE2ELNS1_3repE0EEENS1_30default_config_static_selectorELNS0_4arch9wavefront6targetE0EEEvT1_,"axG",@progbits,_ZN7rocprim17ROCPRIM_400000_NS6detail17trampoline_kernelINS0_14default_configENS1_25partition_config_selectorILNS1_17partition_subalgoE6EtNS0_10empty_typeEbEEZZNS1_14partition_implILS5_6ELb0ES3_mN6thrust23THRUST_200600_302600_NS6detail15normal_iteratorINSA_10device_ptrItEEEEPS6_SG_NS0_5tupleIJSF_S6_EEENSH_IJSG_SG_EEES6_PlJNSB_9not_fun_tINSB_14equal_to_valueItEEEEEEE10hipError_tPvRmT3_T4_T5_T6_T7_T9_mT8_P12ihipStream_tbDpT10_ENKUlT_T0_E_clISt17integral_constantIbLb1EES17_IbLb0EEEEDaS13_S14_EUlS13_E_NS1_11comp_targetILNS1_3genE8ELNS1_11target_archE1030ELNS1_3gpuE2ELNS1_3repE0EEENS1_30default_config_static_selectorELNS0_4arch9wavefront6targetE0EEEvT1_,comdat
.Lfunc_end428:
	.size	_ZN7rocprim17ROCPRIM_400000_NS6detail17trampoline_kernelINS0_14default_configENS1_25partition_config_selectorILNS1_17partition_subalgoE6EtNS0_10empty_typeEbEEZZNS1_14partition_implILS5_6ELb0ES3_mN6thrust23THRUST_200600_302600_NS6detail15normal_iteratorINSA_10device_ptrItEEEEPS6_SG_NS0_5tupleIJSF_S6_EEENSH_IJSG_SG_EEES6_PlJNSB_9not_fun_tINSB_14equal_to_valueItEEEEEEE10hipError_tPvRmT3_T4_T5_T6_T7_T9_mT8_P12ihipStream_tbDpT10_ENKUlT_T0_E_clISt17integral_constantIbLb1EES17_IbLb0EEEEDaS13_S14_EUlS13_E_NS1_11comp_targetILNS1_3genE8ELNS1_11target_archE1030ELNS1_3gpuE2ELNS1_3repE0EEENS1_30default_config_static_selectorELNS0_4arch9wavefront6targetE0EEEvT1_, .Lfunc_end428-_ZN7rocprim17ROCPRIM_400000_NS6detail17trampoline_kernelINS0_14default_configENS1_25partition_config_selectorILNS1_17partition_subalgoE6EtNS0_10empty_typeEbEEZZNS1_14partition_implILS5_6ELb0ES3_mN6thrust23THRUST_200600_302600_NS6detail15normal_iteratorINSA_10device_ptrItEEEEPS6_SG_NS0_5tupleIJSF_S6_EEENSH_IJSG_SG_EEES6_PlJNSB_9not_fun_tINSB_14equal_to_valueItEEEEEEE10hipError_tPvRmT3_T4_T5_T6_T7_T9_mT8_P12ihipStream_tbDpT10_ENKUlT_T0_E_clISt17integral_constantIbLb1EES17_IbLb0EEEEDaS13_S14_EUlS13_E_NS1_11comp_targetILNS1_3genE8ELNS1_11target_archE1030ELNS1_3gpuE2ELNS1_3repE0EEENS1_30default_config_static_selectorELNS0_4arch9wavefront6targetE0EEEvT1_
                                        ; -- End function
	.set _ZN7rocprim17ROCPRIM_400000_NS6detail17trampoline_kernelINS0_14default_configENS1_25partition_config_selectorILNS1_17partition_subalgoE6EtNS0_10empty_typeEbEEZZNS1_14partition_implILS5_6ELb0ES3_mN6thrust23THRUST_200600_302600_NS6detail15normal_iteratorINSA_10device_ptrItEEEEPS6_SG_NS0_5tupleIJSF_S6_EEENSH_IJSG_SG_EEES6_PlJNSB_9not_fun_tINSB_14equal_to_valueItEEEEEEE10hipError_tPvRmT3_T4_T5_T6_T7_T9_mT8_P12ihipStream_tbDpT10_ENKUlT_T0_E_clISt17integral_constantIbLb1EES17_IbLb0EEEEDaS13_S14_EUlS13_E_NS1_11comp_targetILNS1_3genE8ELNS1_11target_archE1030ELNS1_3gpuE2ELNS1_3repE0EEENS1_30default_config_static_selectorELNS0_4arch9wavefront6targetE0EEEvT1_.num_vgpr, 0
	.set _ZN7rocprim17ROCPRIM_400000_NS6detail17trampoline_kernelINS0_14default_configENS1_25partition_config_selectorILNS1_17partition_subalgoE6EtNS0_10empty_typeEbEEZZNS1_14partition_implILS5_6ELb0ES3_mN6thrust23THRUST_200600_302600_NS6detail15normal_iteratorINSA_10device_ptrItEEEEPS6_SG_NS0_5tupleIJSF_S6_EEENSH_IJSG_SG_EEES6_PlJNSB_9not_fun_tINSB_14equal_to_valueItEEEEEEE10hipError_tPvRmT3_T4_T5_T6_T7_T9_mT8_P12ihipStream_tbDpT10_ENKUlT_T0_E_clISt17integral_constantIbLb1EES17_IbLb0EEEEDaS13_S14_EUlS13_E_NS1_11comp_targetILNS1_3genE8ELNS1_11target_archE1030ELNS1_3gpuE2ELNS1_3repE0EEENS1_30default_config_static_selectorELNS0_4arch9wavefront6targetE0EEEvT1_.num_agpr, 0
	.set _ZN7rocprim17ROCPRIM_400000_NS6detail17trampoline_kernelINS0_14default_configENS1_25partition_config_selectorILNS1_17partition_subalgoE6EtNS0_10empty_typeEbEEZZNS1_14partition_implILS5_6ELb0ES3_mN6thrust23THRUST_200600_302600_NS6detail15normal_iteratorINSA_10device_ptrItEEEEPS6_SG_NS0_5tupleIJSF_S6_EEENSH_IJSG_SG_EEES6_PlJNSB_9not_fun_tINSB_14equal_to_valueItEEEEEEE10hipError_tPvRmT3_T4_T5_T6_T7_T9_mT8_P12ihipStream_tbDpT10_ENKUlT_T0_E_clISt17integral_constantIbLb1EES17_IbLb0EEEEDaS13_S14_EUlS13_E_NS1_11comp_targetILNS1_3genE8ELNS1_11target_archE1030ELNS1_3gpuE2ELNS1_3repE0EEENS1_30default_config_static_selectorELNS0_4arch9wavefront6targetE0EEEvT1_.numbered_sgpr, 0
	.set _ZN7rocprim17ROCPRIM_400000_NS6detail17trampoline_kernelINS0_14default_configENS1_25partition_config_selectorILNS1_17partition_subalgoE6EtNS0_10empty_typeEbEEZZNS1_14partition_implILS5_6ELb0ES3_mN6thrust23THRUST_200600_302600_NS6detail15normal_iteratorINSA_10device_ptrItEEEEPS6_SG_NS0_5tupleIJSF_S6_EEENSH_IJSG_SG_EEES6_PlJNSB_9not_fun_tINSB_14equal_to_valueItEEEEEEE10hipError_tPvRmT3_T4_T5_T6_T7_T9_mT8_P12ihipStream_tbDpT10_ENKUlT_T0_E_clISt17integral_constantIbLb1EES17_IbLb0EEEEDaS13_S14_EUlS13_E_NS1_11comp_targetILNS1_3genE8ELNS1_11target_archE1030ELNS1_3gpuE2ELNS1_3repE0EEENS1_30default_config_static_selectorELNS0_4arch9wavefront6targetE0EEEvT1_.num_named_barrier, 0
	.set _ZN7rocprim17ROCPRIM_400000_NS6detail17trampoline_kernelINS0_14default_configENS1_25partition_config_selectorILNS1_17partition_subalgoE6EtNS0_10empty_typeEbEEZZNS1_14partition_implILS5_6ELb0ES3_mN6thrust23THRUST_200600_302600_NS6detail15normal_iteratorINSA_10device_ptrItEEEEPS6_SG_NS0_5tupleIJSF_S6_EEENSH_IJSG_SG_EEES6_PlJNSB_9not_fun_tINSB_14equal_to_valueItEEEEEEE10hipError_tPvRmT3_T4_T5_T6_T7_T9_mT8_P12ihipStream_tbDpT10_ENKUlT_T0_E_clISt17integral_constantIbLb1EES17_IbLb0EEEEDaS13_S14_EUlS13_E_NS1_11comp_targetILNS1_3genE8ELNS1_11target_archE1030ELNS1_3gpuE2ELNS1_3repE0EEENS1_30default_config_static_selectorELNS0_4arch9wavefront6targetE0EEEvT1_.private_seg_size, 0
	.set _ZN7rocprim17ROCPRIM_400000_NS6detail17trampoline_kernelINS0_14default_configENS1_25partition_config_selectorILNS1_17partition_subalgoE6EtNS0_10empty_typeEbEEZZNS1_14partition_implILS5_6ELb0ES3_mN6thrust23THRUST_200600_302600_NS6detail15normal_iteratorINSA_10device_ptrItEEEEPS6_SG_NS0_5tupleIJSF_S6_EEENSH_IJSG_SG_EEES6_PlJNSB_9not_fun_tINSB_14equal_to_valueItEEEEEEE10hipError_tPvRmT3_T4_T5_T6_T7_T9_mT8_P12ihipStream_tbDpT10_ENKUlT_T0_E_clISt17integral_constantIbLb1EES17_IbLb0EEEEDaS13_S14_EUlS13_E_NS1_11comp_targetILNS1_3genE8ELNS1_11target_archE1030ELNS1_3gpuE2ELNS1_3repE0EEENS1_30default_config_static_selectorELNS0_4arch9wavefront6targetE0EEEvT1_.uses_vcc, 0
	.set _ZN7rocprim17ROCPRIM_400000_NS6detail17trampoline_kernelINS0_14default_configENS1_25partition_config_selectorILNS1_17partition_subalgoE6EtNS0_10empty_typeEbEEZZNS1_14partition_implILS5_6ELb0ES3_mN6thrust23THRUST_200600_302600_NS6detail15normal_iteratorINSA_10device_ptrItEEEEPS6_SG_NS0_5tupleIJSF_S6_EEENSH_IJSG_SG_EEES6_PlJNSB_9not_fun_tINSB_14equal_to_valueItEEEEEEE10hipError_tPvRmT3_T4_T5_T6_T7_T9_mT8_P12ihipStream_tbDpT10_ENKUlT_T0_E_clISt17integral_constantIbLb1EES17_IbLb0EEEEDaS13_S14_EUlS13_E_NS1_11comp_targetILNS1_3genE8ELNS1_11target_archE1030ELNS1_3gpuE2ELNS1_3repE0EEENS1_30default_config_static_selectorELNS0_4arch9wavefront6targetE0EEEvT1_.uses_flat_scratch, 0
	.set _ZN7rocprim17ROCPRIM_400000_NS6detail17trampoline_kernelINS0_14default_configENS1_25partition_config_selectorILNS1_17partition_subalgoE6EtNS0_10empty_typeEbEEZZNS1_14partition_implILS5_6ELb0ES3_mN6thrust23THRUST_200600_302600_NS6detail15normal_iteratorINSA_10device_ptrItEEEEPS6_SG_NS0_5tupleIJSF_S6_EEENSH_IJSG_SG_EEES6_PlJNSB_9not_fun_tINSB_14equal_to_valueItEEEEEEE10hipError_tPvRmT3_T4_T5_T6_T7_T9_mT8_P12ihipStream_tbDpT10_ENKUlT_T0_E_clISt17integral_constantIbLb1EES17_IbLb0EEEEDaS13_S14_EUlS13_E_NS1_11comp_targetILNS1_3genE8ELNS1_11target_archE1030ELNS1_3gpuE2ELNS1_3repE0EEENS1_30default_config_static_selectorELNS0_4arch9wavefront6targetE0EEEvT1_.has_dyn_sized_stack, 0
	.set _ZN7rocprim17ROCPRIM_400000_NS6detail17trampoline_kernelINS0_14default_configENS1_25partition_config_selectorILNS1_17partition_subalgoE6EtNS0_10empty_typeEbEEZZNS1_14partition_implILS5_6ELb0ES3_mN6thrust23THRUST_200600_302600_NS6detail15normal_iteratorINSA_10device_ptrItEEEEPS6_SG_NS0_5tupleIJSF_S6_EEENSH_IJSG_SG_EEES6_PlJNSB_9not_fun_tINSB_14equal_to_valueItEEEEEEE10hipError_tPvRmT3_T4_T5_T6_T7_T9_mT8_P12ihipStream_tbDpT10_ENKUlT_T0_E_clISt17integral_constantIbLb1EES17_IbLb0EEEEDaS13_S14_EUlS13_E_NS1_11comp_targetILNS1_3genE8ELNS1_11target_archE1030ELNS1_3gpuE2ELNS1_3repE0EEENS1_30default_config_static_selectorELNS0_4arch9wavefront6targetE0EEEvT1_.has_recursion, 0
	.set _ZN7rocprim17ROCPRIM_400000_NS6detail17trampoline_kernelINS0_14default_configENS1_25partition_config_selectorILNS1_17partition_subalgoE6EtNS0_10empty_typeEbEEZZNS1_14partition_implILS5_6ELb0ES3_mN6thrust23THRUST_200600_302600_NS6detail15normal_iteratorINSA_10device_ptrItEEEEPS6_SG_NS0_5tupleIJSF_S6_EEENSH_IJSG_SG_EEES6_PlJNSB_9not_fun_tINSB_14equal_to_valueItEEEEEEE10hipError_tPvRmT3_T4_T5_T6_T7_T9_mT8_P12ihipStream_tbDpT10_ENKUlT_T0_E_clISt17integral_constantIbLb1EES17_IbLb0EEEEDaS13_S14_EUlS13_E_NS1_11comp_targetILNS1_3genE8ELNS1_11target_archE1030ELNS1_3gpuE2ELNS1_3repE0EEENS1_30default_config_static_selectorELNS0_4arch9wavefront6targetE0EEEvT1_.has_indirect_call, 0
	.section	.AMDGPU.csdata,"",@progbits
; Kernel info:
; codeLenInByte = 0
; TotalNumSgprs: 0
; NumVgprs: 0
; ScratchSize: 0
; MemoryBound: 0
; FloatMode: 240
; IeeeMode: 1
; LDSByteSize: 0 bytes/workgroup (compile time only)
; SGPRBlocks: 0
; VGPRBlocks: 0
; NumSGPRsForWavesPerEU: 1
; NumVGPRsForWavesPerEU: 1
; Occupancy: 16
; WaveLimiterHint : 0
; COMPUTE_PGM_RSRC2:SCRATCH_EN: 0
; COMPUTE_PGM_RSRC2:USER_SGPR: 2
; COMPUTE_PGM_RSRC2:TRAP_HANDLER: 0
; COMPUTE_PGM_RSRC2:TGID_X_EN: 1
; COMPUTE_PGM_RSRC2:TGID_Y_EN: 0
; COMPUTE_PGM_RSRC2:TGID_Z_EN: 0
; COMPUTE_PGM_RSRC2:TIDIG_COMP_CNT: 0
	.section	.text._ZN7rocprim17ROCPRIM_400000_NS6detail17trampoline_kernelINS0_14default_configENS1_25partition_config_selectorILNS1_17partition_subalgoE6EtNS0_10empty_typeEbEEZZNS1_14partition_implILS5_6ELb0ES3_mN6thrust23THRUST_200600_302600_NS6detail15normal_iteratorINSA_10device_ptrItEEEEPS6_SG_NS0_5tupleIJSF_S6_EEENSH_IJSG_SG_EEES6_PlJNSB_9not_fun_tINSB_14equal_to_valueItEEEEEEE10hipError_tPvRmT3_T4_T5_T6_T7_T9_mT8_P12ihipStream_tbDpT10_ENKUlT_T0_E_clISt17integral_constantIbLb0EES17_IbLb1EEEEDaS13_S14_EUlS13_E_NS1_11comp_targetILNS1_3genE0ELNS1_11target_archE4294967295ELNS1_3gpuE0ELNS1_3repE0EEENS1_30default_config_static_selectorELNS0_4arch9wavefront6targetE0EEEvT1_,"axG",@progbits,_ZN7rocprim17ROCPRIM_400000_NS6detail17trampoline_kernelINS0_14default_configENS1_25partition_config_selectorILNS1_17partition_subalgoE6EtNS0_10empty_typeEbEEZZNS1_14partition_implILS5_6ELb0ES3_mN6thrust23THRUST_200600_302600_NS6detail15normal_iteratorINSA_10device_ptrItEEEEPS6_SG_NS0_5tupleIJSF_S6_EEENSH_IJSG_SG_EEES6_PlJNSB_9not_fun_tINSB_14equal_to_valueItEEEEEEE10hipError_tPvRmT3_T4_T5_T6_T7_T9_mT8_P12ihipStream_tbDpT10_ENKUlT_T0_E_clISt17integral_constantIbLb0EES17_IbLb1EEEEDaS13_S14_EUlS13_E_NS1_11comp_targetILNS1_3genE0ELNS1_11target_archE4294967295ELNS1_3gpuE0ELNS1_3repE0EEENS1_30default_config_static_selectorELNS0_4arch9wavefront6targetE0EEEvT1_,comdat
	.protected	_ZN7rocprim17ROCPRIM_400000_NS6detail17trampoline_kernelINS0_14default_configENS1_25partition_config_selectorILNS1_17partition_subalgoE6EtNS0_10empty_typeEbEEZZNS1_14partition_implILS5_6ELb0ES3_mN6thrust23THRUST_200600_302600_NS6detail15normal_iteratorINSA_10device_ptrItEEEEPS6_SG_NS0_5tupleIJSF_S6_EEENSH_IJSG_SG_EEES6_PlJNSB_9not_fun_tINSB_14equal_to_valueItEEEEEEE10hipError_tPvRmT3_T4_T5_T6_T7_T9_mT8_P12ihipStream_tbDpT10_ENKUlT_T0_E_clISt17integral_constantIbLb0EES17_IbLb1EEEEDaS13_S14_EUlS13_E_NS1_11comp_targetILNS1_3genE0ELNS1_11target_archE4294967295ELNS1_3gpuE0ELNS1_3repE0EEENS1_30default_config_static_selectorELNS0_4arch9wavefront6targetE0EEEvT1_ ; -- Begin function _ZN7rocprim17ROCPRIM_400000_NS6detail17trampoline_kernelINS0_14default_configENS1_25partition_config_selectorILNS1_17partition_subalgoE6EtNS0_10empty_typeEbEEZZNS1_14partition_implILS5_6ELb0ES3_mN6thrust23THRUST_200600_302600_NS6detail15normal_iteratorINSA_10device_ptrItEEEEPS6_SG_NS0_5tupleIJSF_S6_EEENSH_IJSG_SG_EEES6_PlJNSB_9not_fun_tINSB_14equal_to_valueItEEEEEEE10hipError_tPvRmT3_T4_T5_T6_T7_T9_mT8_P12ihipStream_tbDpT10_ENKUlT_T0_E_clISt17integral_constantIbLb0EES17_IbLb1EEEEDaS13_S14_EUlS13_E_NS1_11comp_targetILNS1_3genE0ELNS1_11target_archE4294967295ELNS1_3gpuE0ELNS1_3repE0EEENS1_30default_config_static_selectorELNS0_4arch9wavefront6targetE0EEEvT1_
	.globl	_ZN7rocprim17ROCPRIM_400000_NS6detail17trampoline_kernelINS0_14default_configENS1_25partition_config_selectorILNS1_17partition_subalgoE6EtNS0_10empty_typeEbEEZZNS1_14partition_implILS5_6ELb0ES3_mN6thrust23THRUST_200600_302600_NS6detail15normal_iteratorINSA_10device_ptrItEEEEPS6_SG_NS0_5tupleIJSF_S6_EEENSH_IJSG_SG_EEES6_PlJNSB_9not_fun_tINSB_14equal_to_valueItEEEEEEE10hipError_tPvRmT3_T4_T5_T6_T7_T9_mT8_P12ihipStream_tbDpT10_ENKUlT_T0_E_clISt17integral_constantIbLb0EES17_IbLb1EEEEDaS13_S14_EUlS13_E_NS1_11comp_targetILNS1_3genE0ELNS1_11target_archE4294967295ELNS1_3gpuE0ELNS1_3repE0EEENS1_30default_config_static_selectorELNS0_4arch9wavefront6targetE0EEEvT1_
	.p2align	8
	.type	_ZN7rocprim17ROCPRIM_400000_NS6detail17trampoline_kernelINS0_14default_configENS1_25partition_config_selectorILNS1_17partition_subalgoE6EtNS0_10empty_typeEbEEZZNS1_14partition_implILS5_6ELb0ES3_mN6thrust23THRUST_200600_302600_NS6detail15normal_iteratorINSA_10device_ptrItEEEEPS6_SG_NS0_5tupleIJSF_S6_EEENSH_IJSG_SG_EEES6_PlJNSB_9not_fun_tINSB_14equal_to_valueItEEEEEEE10hipError_tPvRmT3_T4_T5_T6_T7_T9_mT8_P12ihipStream_tbDpT10_ENKUlT_T0_E_clISt17integral_constantIbLb0EES17_IbLb1EEEEDaS13_S14_EUlS13_E_NS1_11comp_targetILNS1_3genE0ELNS1_11target_archE4294967295ELNS1_3gpuE0ELNS1_3repE0EEENS1_30default_config_static_selectorELNS0_4arch9wavefront6targetE0EEEvT1_,@function
_ZN7rocprim17ROCPRIM_400000_NS6detail17trampoline_kernelINS0_14default_configENS1_25partition_config_selectorILNS1_17partition_subalgoE6EtNS0_10empty_typeEbEEZZNS1_14partition_implILS5_6ELb0ES3_mN6thrust23THRUST_200600_302600_NS6detail15normal_iteratorINSA_10device_ptrItEEEEPS6_SG_NS0_5tupleIJSF_S6_EEENSH_IJSG_SG_EEES6_PlJNSB_9not_fun_tINSB_14equal_to_valueItEEEEEEE10hipError_tPvRmT3_T4_T5_T6_T7_T9_mT8_P12ihipStream_tbDpT10_ENKUlT_T0_E_clISt17integral_constantIbLb0EES17_IbLb1EEEEDaS13_S14_EUlS13_E_NS1_11comp_targetILNS1_3genE0ELNS1_11target_archE4294967295ELNS1_3gpuE0ELNS1_3repE0EEENS1_30default_config_static_selectorELNS0_4arch9wavefront6targetE0EEEvT1_: ; @_ZN7rocprim17ROCPRIM_400000_NS6detail17trampoline_kernelINS0_14default_configENS1_25partition_config_selectorILNS1_17partition_subalgoE6EtNS0_10empty_typeEbEEZZNS1_14partition_implILS5_6ELb0ES3_mN6thrust23THRUST_200600_302600_NS6detail15normal_iteratorINSA_10device_ptrItEEEEPS6_SG_NS0_5tupleIJSF_S6_EEENSH_IJSG_SG_EEES6_PlJNSB_9not_fun_tINSB_14equal_to_valueItEEEEEEE10hipError_tPvRmT3_T4_T5_T6_T7_T9_mT8_P12ihipStream_tbDpT10_ENKUlT_T0_E_clISt17integral_constantIbLb0EES17_IbLb1EEEEDaS13_S14_EUlS13_E_NS1_11comp_targetILNS1_3genE0ELNS1_11target_archE4294967295ELNS1_3gpuE0ELNS1_3repE0EEENS1_30default_config_static_selectorELNS0_4arch9wavefront6targetE0EEEvT1_
; %bb.0:
	.section	.rodata,"a",@progbits
	.p2align	6, 0x0
	.amdhsa_kernel _ZN7rocprim17ROCPRIM_400000_NS6detail17trampoline_kernelINS0_14default_configENS1_25partition_config_selectorILNS1_17partition_subalgoE6EtNS0_10empty_typeEbEEZZNS1_14partition_implILS5_6ELb0ES3_mN6thrust23THRUST_200600_302600_NS6detail15normal_iteratorINSA_10device_ptrItEEEEPS6_SG_NS0_5tupleIJSF_S6_EEENSH_IJSG_SG_EEES6_PlJNSB_9not_fun_tINSB_14equal_to_valueItEEEEEEE10hipError_tPvRmT3_T4_T5_T6_T7_T9_mT8_P12ihipStream_tbDpT10_ENKUlT_T0_E_clISt17integral_constantIbLb0EES17_IbLb1EEEEDaS13_S14_EUlS13_E_NS1_11comp_targetILNS1_3genE0ELNS1_11target_archE4294967295ELNS1_3gpuE0ELNS1_3repE0EEENS1_30default_config_static_selectorELNS0_4arch9wavefront6targetE0EEEvT1_
		.amdhsa_group_segment_fixed_size 0
		.amdhsa_private_segment_fixed_size 0
		.amdhsa_kernarg_size 128
		.amdhsa_user_sgpr_count 2
		.amdhsa_user_sgpr_dispatch_ptr 0
		.amdhsa_user_sgpr_queue_ptr 0
		.amdhsa_user_sgpr_kernarg_segment_ptr 1
		.amdhsa_user_sgpr_dispatch_id 0
		.amdhsa_user_sgpr_private_segment_size 0
		.amdhsa_wavefront_size32 1
		.amdhsa_uses_dynamic_stack 0
		.amdhsa_enable_private_segment 0
		.amdhsa_system_sgpr_workgroup_id_x 1
		.amdhsa_system_sgpr_workgroup_id_y 0
		.amdhsa_system_sgpr_workgroup_id_z 0
		.amdhsa_system_sgpr_workgroup_info 0
		.amdhsa_system_vgpr_workitem_id 0
		.amdhsa_next_free_vgpr 1
		.amdhsa_next_free_sgpr 1
		.amdhsa_reserve_vcc 0
		.amdhsa_float_round_mode_32 0
		.amdhsa_float_round_mode_16_64 0
		.amdhsa_float_denorm_mode_32 3
		.amdhsa_float_denorm_mode_16_64 3
		.amdhsa_fp16_overflow 0
		.amdhsa_workgroup_processor_mode 1
		.amdhsa_memory_ordered 1
		.amdhsa_forward_progress 1
		.amdhsa_inst_pref_size 0
		.amdhsa_round_robin_scheduling 0
		.amdhsa_exception_fp_ieee_invalid_op 0
		.amdhsa_exception_fp_denorm_src 0
		.amdhsa_exception_fp_ieee_div_zero 0
		.amdhsa_exception_fp_ieee_overflow 0
		.amdhsa_exception_fp_ieee_underflow 0
		.amdhsa_exception_fp_ieee_inexact 0
		.amdhsa_exception_int_div_zero 0
	.end_amdhsa_kernel
	.section	.text._ZN7rocprim17ROCPRIM_400000_NS6detail17trampoline_kernelINS0_14default_configENS1_25partition_config_selectorILNS1_17partition_subalgoE6EtNS0_10empty_typeEbEEZZNS1_14partition_implILS5_6ELb0ES3_mN6thrust23THRUST_200600_302600_NS6detail15normal_iteratorINSA_10device_ptrItEEEEPS6_SG_NS0_5tupleIJSF_S6_EEENSH_IJSG_SG_EEES6_PlJNSB_9not_fun_tINSB_14equal_to_valueItEEEEEEE10hipError_tPvRmT3_T4_T5_T6_T7_T9_mT8_P12ihipStream_tbDpT10_ENKUlT_T0_E_clISt17integral_constantIbLb0EES17_IbLb1EEEEDaS13_S14_EUlS13_E_NS1_11comp_targetILNS1_3genE0ELNS1_11target_archE4294967295ELNS1_3gpuE0ELNS1_3repE0EEENS1_30default_config_static_selectorELNS0_4arch9wavefront6targetE0EEEvT1_,"axG",@progbits,_ZN7rocprim17ROCPRIM_400000_NS6detail17trampoline_kernelINS0_14default_configENS1_25partition_config_selectorILNS1_17partition_subalgoE6EtNS0_10empty_typeEbEEZZNS1_14partition_implILS5_6ELb0ES3_mN6thrust23THRUST_200600_302600_NS6detail15normal_iteratorINSA_10device_ptrItEEEEPS6_SG_NS0_5tupleIJSF_S6_EEENSH_IJSG_SG_EEES6_PlJNSB_9not_fun_tINSB_14equal_to_valueItEEEEEEE10hipError_tPvRmT3_T4_T5_T6_T7_T9_mT8_P12ihipStream_tbDpT10_ENKUlT_T0_E_clISt17integral_constantIbLb0EES17_IbLb1EEEEDaS13_S14_EUlS13_E_NS1_11comp_targetILNS1_3genE0ELNS1_11target_archE4294967295ELNS1_3gpuE0ELNS1_3repE0EEENS1_30default_config_static_selectorELNS0_4arch9wavefront6targetE0EEEvT1_,comdat
.Lfunc_end429:
	.size	_ZN7rocprim17ROCPRIM_400000_NS6detail17trampoline_kernelINS0_14default_configENS1_25partition_config_selectorILNS1_17partition_subalgoE6EtNS0_10empty_typeEbEEZZNS1_14partition_implILS5_6ELb0ES3_mN6thrust23THRUST_200600_302600_NS6detail15normal_iteratorINSA_10device_ptrItEEEEPS6_SG_NS0_5tupleIJSF_S6_EEENSH_IJSG_SG_EEES6_PlJNSB_9not_fun_tINSB_14equal_to_valueItEEEEEEE10hipError_tPvRmT3_T4_T5_T6_T7_T9_mT8_P12ihipStream_tbDpT10_ENKUlT_T0_E_clISt17integral_constantIbLb0EES17_IbLb1EEEEDaS13_S14_EUlS13_E_NS1_11comp_targetILNS1_3genE0ELNS1_11target_archE4294967295ELNS1_3gpuE0ELNS1_3repE0EEENS1_30default_config_static_selectorELNS0_4arch9wavefront6targetE0EEEvT1_, .Lfunc_end429-_ZN7rocprim17ROCPRIM_400000_NS6detail17trampoline_kernelINS0_14default_configENS1_25partition_config_selectorILNS1_17partition_subalgoE6EtNS0_10empty_typeEbEEZZNS1_14partition_implILS5_6ELb0ES3_mN6thrust23THRUST_200600_302600_NS6detail15normal_iteratorINSA_10device_ptrItEEEEPS6_SG_NS0_5tupleIJSF_S6_EEENSH_IJSG_SG_EEES6_PlJNSB_9not_fun_tINSB_14equal_to_valueItEEEEEEE10hipError_tPvRmT3_T4_T5_T6_T7_T9_mT8_P12ihipStream_tbDpT10_ENKUlT_T0_E_clISt17integral_constantIbLb0EES17_IbLb1EEEEDaS13_S14_EUlS13_E_NS1_11comp_targetILNS1_3genE0ELNS1_11target_archE4294967295ELNS1_3gpuE0ELNS1_3repE0EEENS1_30default_config_static_selectorELNS0_4arch9wavefront6targetE0EEEvT1_
                                        ; -- End function
	.set _ZN7rocprim17ROCPRIM_400000_NS6detail17trampoline_kernelINS0_14default_configENS1_25partition_config_selectorILNS1_17partition_subalgoE6EtNS0_10empty_typeEbEEZZNS1_14partition_implILS5_6ELb0ES3_mN6thrust23THRUST_200600_302600_NS6detail15normal_iteratorINSA_10device_ptrItEEEEPS6_SG_NS0_5tupleIJSF_S6_EEENSH_IJSG_SG_EEES6_PlJNSB_9not_fun_tINSB_14equal_to_valueItEEEEEEE10hipError_tPvRmT3_T4_T5_T6_T7_T9_mT8_P12ihipStream_tbDpT10_ENKUlT_T0_E_clISt17integral_constantIbLb0EES17_IbLb1EEEEDaS13_S14_EUlS13_E_NS1_11comp_targetILNS1_3genE0ELNS1_11target_archE4294967295ELNS1_3gpuE0ELNS1_3repE0EEENS1_30default_config_static_selectorELNS0_4arch9wavefront6targetE0EEEvT1_.num_vgpr, 0
	.set _ZN7rocprim17ROCPRIM_400000_NS6detail17trampoline_kernelINS0_14default_configENS1_25partition_config_selectorILNS1_17partition_subalgoE6EtNS0_10empty_typeEbEEZZNS1_14partition_implILS5_6ELb0ES3_mN6thrust23THRUST_200600_302600_NS6detail15normal_iteratorINSA_10device_ptrItEEEEPS6_SG_NS0_5tupleIJSF_S6_EEENSH_IJSG_SG_EEES6_PlJNSB_9not_fun_tINSB_14equal_to_valueItEEEEEEE10hipError_tPvRmT3_T4_T5_T6_T7_T9_mT8_P12ihipStream_tbDpT10_ENKUlT_T0_E_clISt17integral_constantIbLb0EES17_IbLb1EEEEDaS13_S14_EUlS13_E_NS1_11comp_targetILNS1_3genE0ELNS1_11target_archE4294967295ELNS1_3gpuE0ELNS1_3repE0EEENS1_30default_config_static_selectorELNS0_4arch9wavefront6targetE0EEEvT1_.num_agpr, 0
	.set _ZN7rocprim17ROCPRIM_400000_NS6detail17trampoline_kernelINS0_14default_configENS1_25partition_config_selectorILNS1_17partition_subalgoE6EtNS0_10empty_typeEbEEZZNS1_14partition_implILS5_6ELb0ES3_mN6thrust23THRUST_200600_302600_NS6detail15normal_iteratorINSA_10device_ptrItEEEEPS6_SG_NS0_5tupleIJSF_S6_EEENSH_IJSG_SG_EEES6_PlJNSB_9not_fun_tINSB_14equal_to_valueItEEEEEEE10hipError_tPvRmT3_T4_T5_T6_T7_T9_mT8_P12ihipStream_tbDpT10_ENKUlT_T0_E_clISt17integral_constantIbLb0EES17_IbLb1EEEEDaS13_S14_EUlS13_E_NS1_11comp_targetILNS1_3genE0ELNS1_11target_archE4294967295ELNS1_3gpuE0ELNS1_3repE0EEENS1_30default_config_static_selectorELNS0_4arch9wavefront6targetE0EEEvT1_.numbered_sgpr, 0
	.set _ZN7rocprim17ROCPRIM_400000_NS6detail17trampoline_kernelINS0_14default_configENS1_25partition_config_selectorILNS1_17partition_subalgoE6EtNS0_10empty_typeEbEEZZNS1_14partition_implILS5_6ELb0ES3_mN6thrust23THRUST_200600_302600_NS6detail15normal_iteratorINSA_10device_ptrItEEEEPS6_SG_NS0_5tupleIJSF_S6_EEENSH_IJSG_SG_EEES6_PlJNSB_9not_fun_tINSB_14equal_to_valueItEEEEEEE10hipError_tPvRmT3_T4_T5_T6_T7_T9_mT8_P12ihipStream_tbDpT10_ENKUlT_T0_E_clISt17integral_constantIbLb0EES17_IbLb1EEEEDaS13_S14_EUlS13_E_NS1_11comp_targetILNS1_3genE0ELNS1_11target_archE4294967295ELNS1_3gpuE0ELNS1_3repE0EEENS1_30default_config_static_selectorELNS0_4arch9wavefront6targetE0EEEvT1_.num_named_barrier, 0
	.set _ZN7rocprim17ROCPRIM_400000_NS6detail17trampoline_kernelINS0_14default_configENS1_25partition_config_selectorILNS1_17partition_subalgoE6EtNS0_10empty_typeEbEEZZNS1_14partition_implILS5_6ELb0ES3_mN6thrust23THRUST_200600_302600_NS6detail15normal_iteratorINSA_10device_ptrItEEEEPS6_SG_NS0_5tupleIJSF_S6_EEENSH_IJSG_SG_EEES6_PlJNSB_9not_fun_tINSB_14equal_to_valueItEEEEEEE10hipError_tPvRmT3_T4_T5_T6_T7_T9_mT8_P12ihipStream_tbDpT10_ENKUlT_T0_E_clISt17integral_constantIbLb0EES17_IbLb1EEEEDaS13_S14_EUlS13_E_NS1_11comp_targetILNS1_3genE0ELNS1_11target_archE4294967295ELNS1_3gpuE0ELNS1_3repE0EEENS1_30default_config_static_selectorELNS0_4arch9wavefront6targetE0EEEvT1_.private_seg_size, 0
	.set _ZN7rocprim17ROCPRIM_400000_NS6detail17trampoline_kernelINS0_14default_configENS1_25partition_config_selectorILNS1_17partition_subalgoE6EtNS0_10empty_typeEbEEZZNS1_14partition_implILS5_6ELb0ES3_mN6thrust23THRUST_200600_302600_NS6detail15normal_iteratorINSA_10device_ptrItEEEEPS6_SG_NS0_5tupleIJSF_S6_EEENSH_IJSG_SG_EEES6_PlJNSB_9not_fun_tINSB_14equal_to_valueItEEEEEEE10hipError_tPvRmT3_T4_T5_T6_T7_T9_mT8_P12ihipStream_tbDpT10_ENKUlT_T0_E_clISt17integral_constantIbLb0EES17_IbLb1EEEEDaS13_S14_EUlS13_E_NS1_11comp_targetILNS1_3genE0ELNS1_11target_archE4294967295ELNS1_3gpuE0ELNS1_3repE0EEENS1_30default_config_static_selectorELNS0_4arch9wavefront6targetE0EEEvT1_.uses_vcc, 0
	.set _ZN7rocprim17ROCPRIM_400000_NS6detail17trampoline_kernelINS0_14default_configENS1_25partition_config_selectorILNS1_17partition_subalgoE6EtNS0_10empty_typeEbEEZZNS1_14partition_implILS5_6ELb0ES3_mN6thrust23THRUST_200600_302600_NS6detail15normal_iteratorINSA_10device_ptrItEEEEPS6_SG_NS0_5tupleIJSF_S6_EEENSH_IJSG_SG_EEES6_PlJNSB_9not_fun_tINSB_14equal_to_valueItEEEEEEE10hipError_tPvRmT3_T4_T5_T6_T7_T9_mT8_P12ihipStream_tbDpT10_ENKUlT_T0_E_clISt17integral_constantIbLb0EES17_IbLb1EEEEDaS13_S14_EUlS13_E_NS1_11comp_targetILNS1_3genE0ELNS1_11target_archE4294967295ELNS1_3gpuE0ELNS1_3repE0EEENS1_30default_config_static_selectorELNS0_4arch9wavefront6targetE0EEEvT1_.uses_flat_scratch, 0
	.set _ZN7rocprim17ROCPRIM_400000_NS6detail17trampoline_kernelINS0_14default_configENS1_25partition_config_selectorILNS1_17partition_subalgoE6EtNS0_10empty_typeEbEEZZNS1_14partition_implILS5_6ELb0ES3_mN6thrust23THRUST_200600_302600_NS6detail15normal_iteratorINSA_10device_ptrItEEEEPS6_SG_NS0_5tupleIJSF_S6_EEENSH_IJSG_SG_EEES6_PlJNSB_9not_fun_tINSB_14equal_to_valueItEEEEEEE10hipError_tPvRmT3_T4_T5_T6_T7_T9_mT8_P12ihipStream_tbDpT10_ENKUlT_T0_E_clISt17integral_constantIbLb0EES17_IbLb1EEEEDaS13_S14_EUlS13_E_NS1_11comp_targetILNS1_3genE0ELNS1_11target_archE4294967295ELNS1_3gpuE0ELNS1_3repE0EEENS1_30default_config_static_selectorELNS0_4arch9wavefront6targetE0EEEvT1_.has_dyn_sized_stack, 0
	.set _ZN7rocprim17ROCPRIM_400000_NS6detail17trampoline_kernelINS0_14default_configENS1_25partition_config_selectorILNS1_17partition_subalgoE6EtNS0_10empty_typeEbEEZZNS1_14partition_implILS5_6ELb0ES3_mN6thrust23THRUST_200600_302600_NS6detail15normal_iteratorINSA_10device_ptrItEEEEPS6_SG_NS0_5tupleIJSF_S6_EEENSH_IJSG_SG_EEES6_PlJNSB_9not_fun_tINSB_14equal_to_valueItEEEEEEE10hipError_tPvRmT3_T4_T5_T6_T7_T9_mT8_P12ihipStream_tbDpT10_ENKUlT_T0_E_clISt17integral_constantIbLb0EES17_IbLb1EEEEDaS13_S14_EUlS13_E_NS1_11comp_targetILNS1_3genE0ELNS1_11target_archE4294967295ELNS1_3gpuE0ELNS1_3repE0EEENS1_30default_config_static_selectorELNS0_4arch9wavefront6targetE0EEEvT1_.has_recursion, 0
	.set _ZN7rocprim17ROCPRIM_400000_NS6detail17trampoline_kernelINS0_14default_configENS1_25partition_config_selectorILNS1_17partition_subalgoE6EtNS0_10empty_typeEbEEZZNS1_14partition_implILS5_6ELb0ES3_mN6thrust23THRUST_200600_302600_NS6detail15normal_iteratorINSA_10device_ptrItEEEEPS6_SG_NS0_5tupleIJSF_S6_EEENSH_IJSG_SG_EEES6_PlJNSB_9not_fun_tINSB_14equal_to_valueItEEEEEEE10hipError_tPvRmT3_T4_T5_T6_T7_T9_mT8_P12ihipStream_tbDpT10_ENKUlT_T0_E_clISt17integral_constantIbLb0EES17_IbLb1EEEEDaS13_S14_EUlS13_E_NS1_11comp_targetILNS1_3genE0ELNS1_11target_archE4294967295ELNS1_3gpuE0ELNS1_3repE0EEENS1_30default_config_static_selectorELNS0_4arch9wavefront6targetE0EEEvT1_.has_indirect_call, 0
	.section	.AMDGPU.csdata,"",@progbits
; Kernel info:
; codeLenInByte = 0
; TotalNumSgprs: 0
; NumVgprs: 0
; ScratchSize: 0
; MemoryBound: 0
; FloatMode: 240
; IeeeMode: 1
; LDSByteSize: 0 bytes/workgroup (compile time only)
; SGPRBlocks: 0
; VGPRBlocks: 0
; NumSGPRsForWavesPerEU: 1
; NumVGPRsForWavesPerEU: 1
; Occupancy: 16
; WaveLimiterHint : 0
; COMPUTE_PGM_RSRC2:SCRATCH_EN: 0
; COMPUTE_PGM_RSRC2:USER_SGPR: 2
; COMPUTE_PGM_RSRC2:TRAP_HANDLER: 0
; COMPUTE_PGM_RSRC2:TGID_X_EN: 1
; COMPUTE_PGM_RSRC2:TGID_Y_EN: 0
; COMPUTE_PGM_RSRC2:TGID_Z_EN: 0
; COMPUTE_PGM_RSRC2:TIDIG_COMP_CNT: 0
	.section	.text._ZN7rocprim17ROCPRIM_400000_NS6detail17trampoline_kernelINS0_14default_configENS1_25partition_config_selectorILNS1_17partition_subalgoE6EtNS0_10empty_typeEbEEZZNS1_14partition_implILS5_6ELb0ES3_mN6thrust23THRUST_200600_302600_NS6detail15normal_iteratorINSA_10device_ptrItEEEEPS6_SG_NS0_5tupleIJSF_S6_EEENSH_IJSG_SG_EEES6_PlJNSB_9not_fun_tINSB_14equal_to_valueItEEEEEEE10hipError_tPvRmT3_T4_T5_T6_T7_T9_mT8_P12ihipStream_tbDpT10_ENKUlT_T0_E_clISt17integral_constantIbLb0EES17_IbLb1EEEEDaS13_S14_EUlS13_E_NS1_11comp_targetILNS1_3genE5ELNS1_11target_archE942ELNS1_3gpuE9ELNS1_3repE0EEENS1_30default_config_static_selectorELNS0_4arch9wavefront6targetE0EEEvT1_,"axG",@progbits,_ZN7rocprim17ROCPRIM_400000_NS6detail17trampoline_kernelINS0_14default_configENS1_25partition_config_selectorILNS1_17partition_subalgoE6EtNS0_10empty_typeEbEEZZNS1_14partition_implILS5_6ELb0ES3_mN6thrust23THRUST_200600_302600_NS6detail15normal_iteratorINSA_10device_ptrItEEEEPS6_SG_NS0_5tupleIJSF_S6_EEENSH_IJSG_SG_EEES6_PlJNSB_9not_fun_tINSB_14equal_to_valueItEEEEEEE10hipError_tPvRmT3_T4_T5_T6_T7_T9_mT8_P12ihipStream_tbDpT10_ENKUlT_T0_E_clISt17integral_constantIbLb0EES17_IbLb1EEEEDaS13_S14_EUlS13_E_NS1_11comp_targetILNS1_3genE5ELNS1_11target_archE942ELNS1_3gpuE9ELNS1_3repE0EEENS1_30default_config_static_selectorELNS0_4arch9wavefront6targetE0EEEvT1_,comdat
	.protected	_ZN7rocprim17ROCPRIM_400000_NS6detail17trampoline_kernelINS0_14default_configENS1_25partition_config_selectorILNS1_17partition_subalgoE6EtNS0_10empty_typeEbEEZZNS1_14partition_implILS5_6ELb0ES3_mN6thrust23THRUST_200600_302600_NS6detail15normal_iteratorINSA_10device_ptrItEEEEPS6_SG_NS0_5tupleIJSF_S6_EEENSH_IJSG_SG_EEES6_PlJNSB_9not_fun_tINSB_14equal_to_valueItEEEEEEE10hipError_tPvRmT3_T4_T5_T6_T7_T9_mT8_P12ihipStream_tbDpT10_ENKUlT_T0_E_clISt17integral_constantIbLb0EES17_IbLb1EEEEDaS13_S14_EUlS13_E_NS1_11comp_targetILNS1_3genE5ELNS1_11target_archE942ELNS1_3gpuE9ELNS1_3repE0EEENS1_30default_config_static_selectorELNS0_4arch9wavefront6targetE0EEEvT1_ ; -- Begin function _ZN7rocprim17ROCPRIM_400000_NS6detail17trampoline_kernelINS0_14default_configENS1_25partition_config_selectorILNS1_17partition_subalgoE6EtNS0_10empty_typeEbEEZZNS1_14partition_implILS5_6ELb0ES3_mN6thrust23THRUST_200600_302600_NS6detail15normal_iteratorINSA_10device_ptrItEEEEPS6_SG_NS0_5tupleIJSF_S6_EEENSH_IJSG_SG_EEES6_PlJNSB_9not_fun_tINSB_14equal_to_valueItEEEEEEE10hipError_tPvRmT3_T4_T5_T6_T7_T9_mT8_P12ihipStream_tbDpT10_ENKUlT_T0_E_clISt17integral_constantIbLb0EES17_IbLb1EEEEDaS13_S14_EUlS13_E_NS1_11comp_targetILNS1_3genE5ELNS1_11target_archE942ELNS1_3gpuE9ELNS1_3repE0EEENS1_30default_config_static_selectorELNS0_4arch9wavefront6targetE0EEEvT1_
	.globl	_ZN7rocprim17ROCPRIM_400000_NS6detail17trampoline_kernelINS0_14default_configENS1_25partition_config_selectorILNS1_17partition_subalgoE6EtNS0_10empty_typeEbEEZZNS1_14partition_implILS5_6ELb0ES3_mN6thrust23THRUST_200600_302600_NS6detail15normal_iteratorINSA_10device_ptrItEEEEPS6_SG_NS0_5tupleIJSF_S6_EEENSH_IJSG_SG_EEES6_PlJNSB_9not_fun_tINSB_14equal_to_valueItEEEEEEE10hipError_tPvRmT3_T4_T5_T6_T7_T9_mT8_P12ihipStream_tbDpT10_ENKUlT_T0_E_clISt17integral_constantIbLb0EES17_IbLb1EEEEDaS13_S14_EUlS13_E_NS1_11comp_targetILNS1_3genE5ELNS1_11target_archE942ELNS1_3gpuE9ELNS1_3repE0EEENS1_30default_config_static_selectorELNS0_4arch9wavefront6targetE0EEEvT1_
	.p2align	8
	.type	_ZN7rocprim17ROCPRIM_400000_NS6detail17trampoline_kernelINS0_14default_configENS1_25partition_config_selectorILNS1_17partition_subalgoE6EtNS0_10empty_typeEbEEZZNS1_14partition_implILS5_6ELb0ES3_mN6thrust23THRUST_200600_302600_NS6detail15normal_iteratorINSA_10device_ptrItEEEEPS6_SG_NS0_5tupleIJSF_S6_EEENSH_IJSG_SG_EEES6_PlJNSB_9not_fun_tINSB_14equal_to_valueItEEEEEEE10hipError_tPvRmT3_T4_T5_T6_T7_T9_mT8_P12ihipStream_tbDpT10_ENKUlT_T0_E_clISt17integral_constantIbLb0EES17_IbLb1EEEEDaS13_S14_EUlS13_E_NS1_11comp_targetILNS1_3genE5ELNS1_11target_archE942ELNS1_3gpuE9ELNS1_3repE0EEENS1_30default_config_static_selectorELNS0_4arch9wavefront6targetE0EEEvT1_,@function
_ZN7rocprim17ROCPRIM_400000_NS6detail17trampoline_kernelINS0_14default_configENS1_25partition_config_selectorILNS1_17partition_subalgoE6EtNS0_10empty_typeEbEEZZNS1_14partition_implILS5_6ELb0ES3_mN6thrust23THRUST_200600_302600_NS6detail15normal_iteratorINSA_10device_ptrItEEEEPS6_SG_NS0_5tupleIJSF_S6_EEENSH_IJSG_SG_EEES6_PlJNSB_9not_fun_tINSB_14equal_to_valueItEEEEEEE10hipError_tPvRmT3_T4_T5_T6_T7_T9_mT8_P12ihipStream_tbDpT10_ENKUlT_T0_E_clISt17integral_constantIbLb0EES17_IbLb1EEEEDaS13_S14_EUlS13_E_NS1_11comp_targetILNS1_3genE5ELNS1_11target_archE942ELNS1_3gpuE9ELNS1_3repE0EEENS1_30default_config_static_selectorELNS0_4arch9wavefront6targetE0EEEvT1_: ; @_ZN7rocprim17ROCPRIM_400000_NS6detail17trampoline_kernelINS0_14default_configENS1_25partition_config_selectorILNS1_17partition_subalgoE6EtNS0_10empty_typeEbEEZZNS1_14partition_implILS5_6ELb0ES3_mN6thrust23THRUST_200600_302600_NS6detail15normal_iteratorINSA_10device_ptrItEEEEPS6_SG_NS0_5tupleIJSF_S6_EEENSH_IJSG_SG_EEES6_PlJNSB_9not_fun_tINSB_14equal_to_valueItEEEEEEE10hipError_tPvRmT3_T4_T5_T6_T7_T9_mT8_P12ihipStream_tbDpT10_ENKUlT_T0_E_clISt17integral_constantIbLb0EES17_IbLb1EEEEDaS13_S14_EUlS13_E_NS1_11comp_targetILNS1_3genE5ELNS1_11target_archE942ELNS1_3gpuE9ELNS1_3repE0EEENS1_30default_config_static_selectorELNS0_4arch9wavefront6targetE0EEEvT1_
; %bb.0:
	.section	.rodata,"a",@progbits
	.p2align	6, 0x0
	.amdhsa_kernel _ZN7rocprim17ROCPRIM_400000_NS6detail17trampoline_kernelINS0_14default_configENS1_25partition_config_selectorILNS1_17partition_subalgoE6EtNS0_10empty_typeEbEEZZNS1_14partition_implILS5_6ELb0ES3_mN6thrust23THRUST_200600_302600_NS6detail15normal_iteratorINSA_10device_ptrItEEEEPS6_SG_NS0_5tupleIJSF_S6_EEENSH_IJSG_SG_EEES6_PlJNSB_9not_fun_tINSB_14equal_to_valueItEEEEEEE10hipError_tPvRmT3_T4_T5_T6_T7_T9_mT8_P12ihipStream_tbDpT10_ENKUlT_T0_E_clISt17integral_constantIbLb0EES17_IbLb1EEEEDaS13_S14_EUlS13_E_NS1_11comp_targetILNS1_3genE5ELNS1_11target_archE942ELNS1_3gpuE9ELNS1_3repE0EEENS1_30default_config_static_selectorELNS0_4arch9wavefront6targetE0EEEvT1_
		.amdhsa_group_segment_fixed_size 0
		.amdhsa_private_segment_fixed_size 0
		.amdhsa_kernarg_size 128
		.amdhsa_user_sgpr_count 2
		.amdhsa_user_sgpr_dispatch_ptr 0
		.amdhsa_user_sgpr_queue_ptr 0
		.amdhsa_user_sgpr_kernarg_segment_ptr 1
		.amdhsa_user_sgpr_dispatch_id 0
		.amdhsa_user_sgpr_private_segment_size 0
		.amdhsa_wavefront_size32 1
		.amdhsa_uses_dynamic_stack 0
		.amdhsa_enable_private_segment 0
		.amdhsa_system_sgpr_workgroup_id_x 1
		.amdhsa_system_sgpr_workgroup_id_y 0
		.amdhsa_system_sgpr_workgroup_id_z 0
		.amdhsa_system_sgpr_workgroup_info 0
		.amdhsa_system_vgpr_workitem_id 0
		.amdhsa_next_free_vgpr 1
		.amdhsa_next_free_sgpr 1
		.amdhsa_reserve_vcc 0
		.amdhsa_float_round_mode_32 0
		.amdhsa_float_round_mode_16_64 0
		.amdhsa_float_denorm_mode_32 3
		.amdhsa_float_denorm_mode_16_64 3
		.amdhsa_fp16_overflow 0
		.amdhsa_workgroup_processor_mode 1
		.amdhsa_memory_ordered 1
		.amdhsa_forward_progress 1
		.amdhsa_inst_pref_size 0
		.amdhsa_round_robin_scheduling 0
		.amdhsa_exception_fp_ieee_invalid_op 0
		.amdhsa_exception_fp_denorm_src 0
		.amdhsa_exception_fp_ieee_div_zero 0
		.amdhsa_exception_fp_ieee_overflow 0
		.amdhsa_exception_fp_ieee_underflow 0
		.amdhsa_exception_fp_ieee_inexact 0
		.amdhsa_exception_int_div_zero 0
	.end_amdhsa_kernel
	.section	.text._ZN7rocprim17ROCPRIM_400000_NS6detail17trampoline_kernelINS0_14default_configENS1_25partition_config_selectorILNS1_17partition_subalgoE6EtNS0_10empty_typeEbEEZZNS1_14partition_implILS5_6ELb0ES3_mN6thrust23THRUST_200600_302600_NS6detail15normal_iteratorINSA_10device_ptrItEEEEPS6_SG_NS0_5tupleIJSF_S6_EEENSH_IJSG_SG_EEES6_PlJNSB_9not_fun_tINSB_14equal_to_valueItEEEEEEE10hipError_tPvRmT3_T4_T5_T6_T7_T9_mT8_P12ihipStream_tbDpT10_ENKUlT_T0_E_clISt17integral_constantIbLb0EES17_IbLb1EEEEDaS13_S14_EUlS13_E_NS1_11comp_targetILNS1_3genE5ELNS1_11target_archE942ELNS1_3gpuE9ELNS1_3repE0EEENS1_30default_config_static_selectorELNS0_4arch9wavefront6targetE0EEEvT1_,"axG",@progbits,_ZN7rocprim17ROCPRIM_400000_NS6detail17trampoline_kernelINS0_14default_configENS1_25partition_config_selectorILNS1_17partition_subalgoE6EtNS0_10empty_typeEbEEZZNS1_14partition_implILS5_6ELb0ES3_mN6thrust23THRUST_200600_302600_NS6detail15normal_iteratorINSA_10device_ptrItEEEEPS6_SG_NS0_5tupleIJSF_S6_EEENSH_IJSG_SG_EEES6_PlJNSB_9not_fun_tINSB_14equal_to_valueItEEEEEEE10hipError_tPvRmT3_T4_T5_T6_T7_T9_mT8_P12ihipStream_tbDpT10_ENKUlT_T0_E_clISt17integral_constantIbLb0EES17_IbLb1EEEEDaS13_S14_EUlS13_E_NS1_11comp_targetILNS1_3genE5ELNS1_11target_archE942ELNS1_3gpuE9ELNS1_3repE0EEENS1_30default_config_static_selectorELNS0_4arch9wavefront6targetE0EEEvT1_,comdat
.Lfunc_end430:
	.size	_ZN7rocprim17ROCPRIM_400000_NS6detail17trampoline_kernelINS0_14default_configENS1_25partition_config_selectorILNS1_17partition_subalgoE6EtNS0_10empty_typeEbEEZZNS1_14partition_implILS5_6ELb0ES3_mN6thrust23THRUST_200600_302600_NS6detail15normal_iteratorINSA_10device_ptrItEEEEPS6_SG_NS0_5tupleIJSF_S6_EEENSH_IJSG_SG_EEES6_PlJNSB_9not_fun_tINSB_14equal_to_valueItEEEEEEE10hipError_tPvRmT3_T4_T5_T6_T7_T9_mT8_P12ihipStream_tbDpT10_ENKUlT_T0_E_clISt17integral_constantIbLb0EES17_IbLb1EEEEDaS13_S14_EUlS13_E_NS1_11comp_targetILNS1_3genE5ELNS1_11target_archE942ELNS1_3gpuE9ELNS1_3repE0EEENS1_30default_config_static_selectorELNS0_4arch9wavefront6targetE0EEEvT1_, .Lfunc_end430-_ZN7rocprim17ROCPRIM_400000_NS6detail17trampoline_kernelINS0_14default_configENS1_25partition_config_selectorILNS1_17partition_subalgoE6EtNS0_10empty_typeEbEEZZNS1_14partition_implILS5_6ELb0ES3_mN6thrust23THRUST_200600_302600_NS6detail15normal_iteratorINSA_10device_ptrItEEEEPS6_SG_NS0_5tupleIJSF_S6_EEENSH_IJSG_SG_EEES6_PlJNSB_9not_fun_tINSB_14equal_to_valueItEEEEEEE10hipError_tPvRmT3_T4_T5_T6_T7_T9_mT8_P12ihipStream_tbDpT10_ENKUlT_T0_E_clISt17integral_constantIbLb0EES17_IbLb1EEEEDaS13_S14_EUlS13_E_NS1_11comp_targetILNS1_3genE5ELNS1_11target_archE942ELNS1_3gpuE9ELNS1_3repE0EEENS1_30default_config_static_selectorELNS0_4arch9wavefront6targetE0EEEvT1_
                                        ; -- End function
	.set _ZN7rocprim17ROCPRIM_400000_NS6detail17trampoline_kernelINS0_14default_configENS1_25partition_config_selectorILNS1_17partition_subalgoE6EtNS0_10empty_typeEbEEZZNS1_14partition_implILS5_6ELb0ES3_mN6thrust23THRUST_200600_302600_NS6detail15normal_iteratorINSA_10device_ptrItEEEEPS6_SG_NS0_5tupleIJSF_S6_EEENSH_IJSG_SG_EEES6_PlJNSB_9not_fun_tINSB_14equal_to_valueItEEEEEEE10hipError_tPvRmT3_T4_T5_T6_T7_T9_mT8_P12ihipStream_tbDpT10_ENKUlT_T0_E_clISt17integral_constantIbLb0EES17_IbLb1EEEEDaS13_S14_EUlS13_E_NS1_11comp_targetILNS1_3genE5ELNS1_11target_archE942ELNS1_3gpuE9ELNS1_3repE0EEENS1_30default_config_static_selectorELNS0_4arch9wavefront6targetE0EEEvT1_.num_vgpr, 0
	.set _ZN7rocprim17ROCPRIM_400000_NS6detail17trampoline_kernelINS0_14default_configENS1_25partition_config_selectorILNS1_17partition_subalgoE6EtNS0_10empty_typeEbEEZZNS1_14partition_implILS5_6ELb0ES3_mN6thrust23THRUST_200600_302600_NS6detail15normal_iteratorINSA_10device_ptrItEEEEPS6_SG_NS0_5tupleIJSF_S6_EEENSH_IJSG_SG_EEES6_PlJNSB_9not_fun_tINSB_14equal_to_valueItEEEEEEE10hipError_tPvRmT3_T4_T5_T6_T7_T9_mT8_P12ihipStream_tbDpT10_ENKUlT_T0_E_clISt17integral_constantIbLb0EES17_IbLb1EEEEDaS13_S14_EUlS13_E_NS1_11comp_targetILNS1_3genE5ELNS1_11target_archE942ELNS1_3gpuE9ELNS1_3repE0EEENS1_30default_config_static_selectorELNS0_4arch9wavefront6targetE0EEEvT1_.num_agpr, 0
	.set _ZN7rocprim17ROCPRIM_400000_NS6detail17trampoline_kernelINS0_14default_configENS1_25partition_config_selectorILNS1_17partition_subalgoE6EtNS0_10empty_typeEbEEZZNS1_14partition_implILS5_6ELb0ES3_mN6thrust23THRUST_200600_302600_NS6detail15normal_iteratorINSA_10device_ptrItEEEEPS6_SG_NS0_5tupleIJSF_S6_EEENSH_IJSG_SG_EEES6_PlJNSB_9not_fun_tINSB_14equal_to_valueItEEEEEEE10hipError_tPvRmT3_T4_T5_T6_T7_T9_mT8_P12ihipStream_tbDpT10_ENKUlT_T0_E_clISt17integral_constantIbLb0EES17_IbLb1EEEEDaS13_S14_EUlS13_E_NS1_11comp_targetILNS1_3genE5ELNS1_11target_archE942ELNS1_3gpuE9ELNS1_3repE0EEENS1_30default_config_static_selectorELNS0_4arch9wavefront6targetE0EEEvT1_.numbered_sgpr, 0
	.set _ZN7rocprim17ROCPRIM_400000_NS6detail17trampoline_kernelINS0_14default_configENS1_25partition_config_selectorILNS1_17partition_subalgoE6EtNS0_10empty_typeEbEEZZNS1_14partition_implILS5_6ELb0ES3_mN6thrust23THRUST_200600_302600_NS6detail15normal_iteratorINSA_10device_ptrItEEEEPS6_SG_NS0_5tupleIJSF_S6_EEENSH_IJSG_SG_EEES6_PlJNSB_9not_fun_tINSB_14equal_to_valueItEEEEEEE10hipError_tPvRmT3_T4_T5_T6_T7_T9_mT8_P12ihipStream_tbDpT10_ENKUlT_T0_E_clISt17integral_constantIbLb0EES17_IbLb1EEEEDaS13_S14_EUlS13_E_NS1_11comp_targetILNS1_3genE5ELNS1_11target_archE942ELNS1_3gpuE9ELNS1_3repE0EEENS1_30default_config_static_selectorELNS0_4arch9wavefront6targetE0EEEvT1_.num_named_barrier, 0
	.set _ZN7rocprim17ROCPRIM_400000_NS6detail17trampoline_kernelINS0_14default_configENS1_25partition_config_selectorILNS1_17partition_subalgoE6EtNS0_10empty_typeEbEEZZNS1_14partition_implILS5_6ELb0ES3_mN6thrust23THRUST_200600_302600_NS6detail15normal_iteratorINSA_10device_ptrItEEEEPS6_SG_NS0_5tupleIJSF_S6_EEENSH_IJSG_SG_EEES6_PlJNSB_9not_fun_tINSB_14equal_to_valueItEEEEEEE10hipError_tPvRmT3_T4_T5_T6_T7_T9_mT8_P12ihipStream_tbDpT10_ENKUlT_T0_E_clISt17integral_constantIbLb0EES17_IbLb1EEEEDaS13_S14_EUlS13_E_NS1_11comp_targetILNS1_3genE5ELNS1_11target_archE942ELNS1_3gpuE9ELNS1_3repE0EEENS1_30default_config_static_selectorELNS0_4arch9wavefront6targetE0EEEvT1_.private_seg_size, 0
	.set _ZN7rocprim17ROCPRIM_400000_NS6detail17trampoline_kernelINS0_14default_configENS1_25partition_config_selectorILNS1_17partition_subalgoE6EtNS0_10empty_typeEbEEZZNS1_14partition_implILS5_6ELb0ES3_mN6thrust23THRUST_200600_302600_NS6detail15normal_iteratorINSA_10device_ptrItEEEEPS6_SG_NS0_5tupleIJSF_S6_EEENSH_IJSG_SG_EEES6_PlJNSB_9not_fun_tINSB_14equal_to_valueItEEEEEEE10hipError_tPvRmT3_T4_T5_T6_T7_T9_mT8_P12ihipStream_tbDpT10_ENKUlT_T0_E_clISt17integral_constantIbLb0EES17_IbLb1EEEEDaS13_S14_EUlS13_E_NS1_11comp_targetILNS1_3genE5ELNS1_11target_archE942ELNS1_3gpuE9ELNS1_3repE0EEENS1_30default_config_static_selectorELNS0_4arch9wavefront6targetE0EEEvT1_.uses_vcc, 0
	.set _ZN7rocprim17ROCPRIM_400000_NS6detail17trampoline_kernelINS0_14default_configENS1_25partition_config_selectorILNS1_17partition_subalgoE6EtNS0_10empty_typeEbEEZZNS1_14partition_implILS5_6ELb0ES3_mN6thrust23THRUST_200600_302600_NS6detail15normal_iteratorINSA_10device_ptrItEEEEPS6_SG_NS0_5tupleIJSF_S6_EEENSH_IJSG_SG_EEES6_PlJNSB_9not_fun_tINSB_14equal_to_valueItEEEEEEE10hipError_tPvRmT3_T4_T5_T6_T7_T9_mT8_P12ihipStream_tbDpT10_ENKUlT_T0_E_clISt17integral_constantIbLb0EES17_IbLb1EEEEDaS13_S14_EUlS13_E_NS1_11comp_targetILNS1_3genE5ELNS1_11target_archE942ELNS1_3gpuE9ELNS1_3repE0EEENS1_30default_config_static_selectorELNS0_4arch9wavefront6targetE0EEEvT1_.uses_flat_scratch, 0
	.set _ZN7rocprim17ROCPRIM_400000_NS6detail17trampoline_kernelINS0_14default_configENS1_25partition_config_selectorILNS1_17partition_subalgoE6EtNS0_10empty_typeEbEEZZNS1_14partition_implILS5_6ELb0ES3_mN6thrust23THRUST_200600_302600_NS6detail15normal_iteratorINSA_10device_ptrItEEEEPS6_SG_NS0_5tupleIJSF_S6_EEENSH_IJSG_SG_EEES6_PlJNSB_9not_fun_tINSB_14equal_to_valueItEEEEEEE10hipError_tPvRmT3_T4_T5_T6_T7_T9_mT8_P12ihipStream_tbDpT10_ENKUlT_T0_E_clISt17integral_constantIbLb0EES17_IbLb1EEEEDaS13_S14_EUlS13_E_NS1_11comp_targetILNS1_3genE5ELNS1_11target_archE942ELNS1_3gpuE9ELNS1_3repE0EEENS1_30default_config_static_selectorELNS0_4arch9wavefront6targetE0EEEvT1_.has_dyn_sized_stack, 0
	.set _ZN7rocprim17ROCPRIM_400000_NS6detail17trampoline_kernelINS0_14default_configENS1_25partition_config_selectorILNS1_17partition_subalgoE6EtNS0_10empty_typeEbEEZZNS1_14partition_implILS5_6ELb0ES3_mN6thrust23THRUST_200600_302600_NS6detail15normal_iteratorINSA_10device_ptrItEEEEPS6_SG_NS0_5tupleIJSF_S6_EEENSH_IJSG_SG_EEES6_PlJNSB_9not_fun_tINSB_14equal_to_valueItEEEEEEE10hipError_tPvRmT3_T4_T5_T6_T7_T9_mT8_P12ihipStream_tbDpT10_ENKUlT_T0_E_clISt17integral_constantIbLb0EES17_IbLb1EEEEDaS13_S14_EUlS13_E_NS1_11comp_targetILNS1_3genE5ELNS1_11target_archE942ELNS1_3gpuE9ELNS1_3repE0EEENS1_30default_config_static_selectorELNS0_4arch9wavefront6targetE0EEEvT1_.has_recursion, 0
	.set _ZN7rocprim17ROCPRIM_400000_NS6detail17trampoline_kernelINS0_14default_configENS1_25partition_config_selectorILNS1_17partition_subalgoE6EtNS0_10empty_typeEbEEZZNS1_14partition_implILS5_6ELb0ES3_mN6thrust23THRUST_200600_302600_NS6detail15normal_iteratorINSA_10device_ptrItEEEEPS6_SG_NS0_5tupleIJSF_S6_EEENSH_IJSG_SG_EEES6_PlJNSB_9not_fun_tINSB_14equal_to_valueItEEEEEEE10hipError_tPvRmT3_T4_T5_T6_T7_T9_mT8_P12ihipStream_tbDpT10_ENKUlT_T0_E_clISt17integral_constantIbLb0EES17_IbLb1EEEEDaS13_S14_EUlS13_E_NS1_11comp_targetILNS1_3genE5ELNS1_11target_archE942ELNS1_3gpuE9ELNS1_3repE0EEENS1_30default_config_static_selectorELNS0_4arch9wavefront6targetE0EEEvT1_.has_indirect_call, 0
	.section	.AMDGPU.csdata,"",@progbits
; Kernel info:
; codeLenInByte = 0
; TotalNumSgprs: 0
; NumVgprs: 0
; ScratchSize: 0
; MemoryBound: 0
; FloatMode: 240
; IeeeMode: 1
; LDSByteSize: 0 bytes/workgroup (compile time only)
; SGPRBlocks: 0
; VGPRBlocks: 0
; NumSGPRsForWavesPerEU: 1
; NumVGPRsForWavesPerEU: 1
; Occupancy: 16
; WaveLimiterHint : 0
; COMPUTE_PGM_RSRC2:SCRATCH_EN: 0
; COMPUTE_PGM_RSRC2:USER_SGPR: 2
; COMPUTE_PGM_RSRC2:TRAP_HANDLER: 0
; COMPUTE_PGM_RSRC2:TGID_X_EN: 1
; COMPUTE_PGM_RSRC2:TGID_Y_EN: 0
; COMPUTE_PGM_RSRC2:TGID_Z_EN: 0
; COMPUTE_PGM_RSRC2:TIDIG_COMP_CNT: 0
	.section	.text._ZN7rocprim17ROCPRIM_400000_NS6detail17trampoline_kernelINS0_14default_configENS1_25partition_config_selectorILNS1_17partition_subalgoE6EtNS0_10empty_typeEbEEZZNS1_14partition_implILS5_6ELb0ES3_mN6thrust23THRUST_200600_302600_NS6detail15normal_iteratorINSA_10device_ptrItEEEEPS6_SG_NS0_5tupleIJSF_S6_EEENSH_IJSG_SG_EEES6_PlJNSB_9not_fun_tINSB_14equal_to_valueItEEEEEEE10hipError_tPvRmT3_T4_T5_T6_T7_T9_mT8_P12ihipStream_tbDpT10_ENKUlT_T0_E_clISt17integral_constantIbLb0EES17_IbLb1EEEEDaS13_S14_EUlS13_E_NS1_11comp_targetILNS1_3genE4ELNS1_11target_archE910ELNS1_3gpuE8ELNS1_3repE0EEENS1_30default_config_static_selectorELNS0_4arch9wavefront6targetE0EEEvT1_,"axG",@progbits,_ZN7rocprim17ROCPRIM_400000_NS6detail17trampoline_kernelINS0_14default_configENS1_25partition_config_selectorILNS1_17partition_subalgoE6EtNS0_10empty_typeEbEEZZNS1_14partition_implILS5_6ELb0ES3_mN6thrust23THRUST_200600_302600_NS6detail15normal_iteratorINSA_10device_ptrItEEEEPS6_SG_NS0_5tupleIJSF_S6_EEENSH_IJSG_SG_EEES6_PlJNSB_9not_fun_tINSB_14equal_to_valueItEEEEEEE10hipError_tPvRmT3_T4_T5_T6_T7_T9_mT8_P12ihipStream_tbDpT10_ENKUlT_T0_E_clISt17integral_constantIbLb0EES17_IbLb1EEEEDaS13_S14_EUlS13_E_NS1_11comp_targetILNS1_3genE4ELNS1_11target_archE910ELNS1_3gpuE8ELNS1_3repE0EEENS1_30default_config_static_selectorELNS0_4arch9wavefront6targetE0EEEvT1_,comdat
	.protected	_ZN7rocprim17ROCPRIM_400000_NS6detail17trampoline_kernelINS0_14default_configENS1_25partition_config_selectorILNS1_17partition_subalgoE6EtNS0_10empty_typeEbEEZZNS1_14partition_implILS5_6ELb0ES3_mN6thrust23THRUST_200600_302600_NS6detail15normal_iteratorINSA_10device_ptrItEEEEPS6_SG_NS0_5tupleIJSF_S6_EEENSH_IJSG_SG_EEES6_PlJNSB_9not_fun_tINSB_14equal_to_valueItEEEEEEE10hipError_tPvRmT3_T4_T5_T6_T7_T9_mT8_P12ihipStream_tbDpT10_ENKUlT_T0_E_clISt17integral_constantIbLb0EES17_IbLb1EEEEDaS13_S14_EUlS13_E_NS1_11comp_targetILNS1_3genE4ELNS1_11target_archE910ELNS1_3gpuE8ELNS1_3repE0EEENS1_30default_config_static_selectorELNS0_4arch9wavefront6targetE0EEEvT1_ ; -- Begin function _ZN7rocprim17ROCPRIM_400000_NS6detail17trampoline_kernelINS0_14default_configENS1_25partition_config_selectorILNS1_17partition_subalgoE6EtNS0_10empty_typeEbEEZZNS1_14partition_implILS5_6ELb0ES3_mN6thrust23THRUST_200600_302600_NS6detail15normal_iteratorINSA_10device_ptrItEEEEPS6_SG_NS0_5tupleIJSF_S6_EEENSH_IJSG_SG_EEES6_PlJNSB_9not_fun_tINSB_14equal_to_valueItEEEEEEE10hipError_tPvRmT3_T4_T5_T6_T7_T9_mT8_P12ihipStream_tbDpT10_ENKUlT_T0_E_clISt17integral_constantIbLb0EES17_IbLb1EEEEDaS13_S14_EUlS13_E_NS1_11comp_targetILNS1_3genE4ELNS1_11target_archE910ELNS1_3gpuE8ELNS1_3repE0EEENS1_30default_config_static_selectorELNS0_4arch9wavefront6targetE0EEEvT1_
	.globl	_ZN7rocprim17ROCPRIM_400000_NS6detail17trampoline_kernelINS0_14default_configENS1_25partition_config_selectorILNS1_17partition_subalgoE6EtNS0_10empty_typeEbEEZZNS1_14partition_implILS5_6ELb0ES3_mN6thrust23THRUST_200600_302600_NS6detail15normal_iteratorINSA_10device_ptrItEEEEPS6_SG_NS0_5tupleIJSF_S6_EEENSH_IJSG_SG_EEES6_PlJNSB_9not_fun_tINSB_14equal_to_valueItEEEEEEE10hipError_tPvRmT3_T4_T5_T6_T7_T9_mT8_P12ihipStream_tbDpT10_ENKUlT_T0_E_clISt17integral_constantIbLb0EES17_IbLb1EEEEDaS13_S14_EUlS13_E_NS1_11comp_targetILNS1_3genE4ELNS1_11target_archE910ELNS1_3gpuE8ELNS1_3repE0EEENS1_30default_config_static_selectorELNS0_4arch9wavefront6targetE0EEEvT1_
	.p2align	8
	.type	_ZN7rocprim17ROCPRIM_400000_NS6detail17trampoline_kernelINS0_14default_configENS1_25partition_config_selectorILNS1_17partition_subalgoE6EtNS0_10empty_typeEbEEZZNS1_14partition_implILS5_6ELb0ES3_mN6thrust23THRUST_200600_302600_NS6detail15normal_iteratorINSA_10device_ptrItEEEEPS6_SG_NS0_5tupleIJSF_S6_EEENSH_IJSG_SG_EEES6_PlJNSB_9not_fun_tINSB_14equal_to_valueItEEEEEEE10hipError_tPvRmT3_T4_T5_T6_T7_T9_mT8_P12ihipStream_tbDpT10_ENKUlT_T0_E_clISt17integral_constantIbLb0EES17_IbLb1EEEEDaS13_S14_EUlS13_E_NS1_11comp_targetILNS1_3genE4ELNS1_11target_archE910ELNS1_3gpuE8ELNS1_3repE0EEENS1_30default_config_static_selectorELNS0_4arch9wavefront6targetE0EEEvT1_,@function
_ZN7rocprim17ROCPRIM_400000_NS6detail17trampoline_kernelINS0_14default_configENS1_25partition_config_selectorILNS1_17partition_subalgoE6EtNS0_10empty_typeEbEEZZNS1_14partition_implILS5_6ELb0ES3_mN6thrust23THRUST_200600_302600_NS6detail15normal_iteratorINSA_10device_ptrItEEEEPS6_SG_NS0_5tupleIJSF_S6_EEENSH_IJSG_SG_EEES6_PlJNSB_9not_fun_tINSB_14equal_to_valueItEEEEEEE10hipError_tPvRmT3_T4_T5_T6_T7_T9_mT8_P12ihipStream_tbDpT10_ENKUlT_T0_E_clISt17integral_constantIbLb0EES17_IbLb1EEEEDaS13_S14_EUlS13_E_NS1_11comp_targetILNS1_3genE4ELNS1_11target_archE910ELNS1_3gpuE8ELNS1_3repE0EEENS1_30default_config_static_selectorELNS0_4arch9wavefront6targetE0EEEvT1_: ; @_ZN7rocprim17ROCPRIM_400000_NS6detail17trampoline_kernelINS0_14default_configENS1_25partition_config_selectorILNS1_17partition_subalgoE6EtNS0_10empty_typeEbEEZZNS1_14partition_implILS5_6ELb0ES3_mN6thrust23THRUST_200600_302600_NS6detail15normal_iteratorINSA_10device_ptrItEEEEPS6_SG_NS0_5tupleIJSF_S6_EEENSH_IJSG_SG_EEES6_PlJNSB_9not_fun_tINSB_14equal_to_valueItEEEEEEE10hipError_tPvRmT3_T4_T5_T6_T7_T9_mT8_P12ihipStream_tbDpT10_ENKUlT_T0_E_clISt17integral_constantIbLb0EES17_IbLb1EEEEDaS13_S14_EUlS13_E_NS1_11comp_targetILNS1_3genE4ELNS1_11target_archE910ELNS1_3gpuE8ELNS1_3repE0EEENS1_30default_config_static_selectorELNS0_4arch9wavefront6targetE0EEEvT1_
; %bb.0:
	.section	.rodata,"a",@progbits
	.p2align	6, 0x0
	.amdhsa_kernel _ZN7rocprim17ROCPRIM_400000_NS6detail17trampoline_kernelINS0_14default_configENS1_25partition_config_selectorILNS1_17partition_subalgoE6EtNS0_10empty_typeEbEEZZNS1_14partition_implILS5_6ELb0ES3_mN6thrust23THRUST_200600_302600_NS6detail15normal_iteratorINSA_10device_ptrItEEEEPS6_SG_NS0_5tupleIJSF_S6_EEENSH_IJSG_SG_EEES6_PlJNSB_9not_fun_tINSB_14equal_to_valueItEEEEEEE10hipError_tPvRmT3_T4_T5_T6_T7_T9_mT8_P12ihipStream_tbDpT10_ENKUlT_T0_E_clISt17integral_constantIbLb0EES17_IbLb1EEEEDaS13_S14_EUlS13_E_NS1_11comp_targetILNS1_3genE4ELNS1_11target_archE910ELNS1_3gpuE8ELNS1_3repE0EEENS1_30default_config_static_selectorELNS0_4arch9wavefront6targetE0EEEvT1_
		.amdhsa_group_segment_fixed_size 0
		.amdhsa_private_segment_fixed_size 0
		.amdhsa_kernarg_size 128
		.amdhsa_user_sgpr_count 2
		.amdhsa_user_sgpr_dispatch_ptr 0
		.amdhsa_user_sgpr_queue_ptr 0
		.amdhsa_user_sgpr_kernarg_segment_ptr 1
		.amdhsa_user_sgpr_dispatch_id 0
		.amdhsa_user_sgpr_private_segment_size 0
		.amdhsa_wavefront_size32 1
		.amdhsa_uses_dynamic_stack 0
		.amdhsa_enable_private_segment 0
		.amdhsa_system_sgpr_workgroup_id_x 1
		.amdhsa_system_sgpr_workgroup_id_y 0
		.amdhsa_system_sgpr_workgroup_id_z 0
		.amdhsa_system_sgpr_workgroup_info 0
		.amdhsa_system_vgpr_workitem_id 0
		.amdhsa_next_free_vgpr 1
		.amdhsa_next_free_sgpr 1
		.amdhsa_reserve_vcc 0
		.amdhsa_float_round_mode_32 0
		.amdhsa_float_round_mode_16_64 0
		.amdhsa_float_denorm_mode_32 3
		.amdhsa_float_denorm_mode_16_64 3
		.amdhsa_fp16_overflow 0
		.amdhsa_workgroup_processor_mode 1
		.amdhsa_memory_ordered 1
		.amdhsa_forward_progress 1
		.amdhsa_inst_pref_size 0
		.amdhsa_round_robin_scheduling 0
		.amdhsa_exception_fp_ieee_invalid_op 0
		.amdhsa_exception_fp_denorm_src 0
		.amdhsa_exception_fp_ieee_div_zero 0
		.amdhsa_exception_fp_ieee_overflow 0
		.amdhsa_exception_fp_ieee_underflow 0
		.amdhsa_exception_fp_ieee_inexact 0
		.amdhsa_exception_int_div_zero 0
	.end_amdhsa_kernel
	.section	.text._ZN7rocprim17ROCPRIM_400000_NS6detail17trampoline_kernelINS0_14default_configENS1_25partition_config_selectorILNS1_17partition_subalgoE6EtNS0_10empty_typeEbEEZZNS1_14partition_implILS5_6ELb0ES3_mN6thrust23THRUST_200600_302600_NS6detail15normal_iteratorINSA_10device_ptrItEEEEPS6_SG_NS0_5tupleIJSF_S6_EEENSH_IJSG_SG_EEES6_PlJNSB_9not_fun_tINSB_14equal_to_valueItEEEEEEE10hipError_tPvRmT3_T4_T5_T6_T7_T9_mT8_P12ihipStream_tbDpT10_ENKUlT_T0_E_clISt17integral_constantIbLb0EES17_IbLb1EEEEDaS13_S14_EUlS13_E_NS1_11comp_targetILNS1_3genE4ELNS1_11target_archE910ELNS1_3gpuE8ELNS1_3repE0EEENS1_30default_config_static_selectorELNS0_4arch9wavefront6targetE0EEEvT1_,"axG",@progbits,_ZN7rocprim17ROCPRIM_400000_NS6detail17trampoline_kernelINS0_14default_configENS1_25partition_config_selectorILNS1_17partition_subalgoE6EtNS0_10empty_typeEbEEZZNS1_14partition_implILS5_6ELb0ES3_mN6thrust23THRUST_200600_302600_NS6detail15normal_iteratorINSA_10device_ptrItEEEEPS6_SG_NS0_5tupleIJSF_S6_EEENSH_IJSG_SG_EEES6_PlJNSB_9not_fun_tINSB_14equal_to_valueItEEEEEEE10hipError_tPvRmT3_T4_T5_T6_T7_T9_mT8_P12ihipStream_tbDpT10_ENKUlT_T0_E_clISt17integral_constantIbLb0EES17_IbLb1EEEEDaS13_S14_EUlS13_E_NS1_11comp_targetILNS1_3genE4ELNS1_11target_archE910ELNS1_3gpuE8ELNS1_3repE0EEENS1_30default_config_static_selectorELNS0_4arch9wavefront6targetE0EEEvT1_,comdat
.Lfunc_end431:
	.size	_ZN7rocprim17ROCPRIM_400000_NS6detail17trampoline_kernelINS0_14default_configENS1_25partition_config_selectorILNS1_17partition_subalgoE6EtNS0_10empty_typeEbEEZZNS1_14partition_implILS5_6ELb0ES3_mN6thrust23THRUST_200600_302600_NS6detail15normal_iteratorINSA_10device_ptrItEEEEPS6_SG_NS0_5tupleIJSF_S6_EEENSH_IJSG_SG_EEES6_PlJNSB_9not_fun_tINSB_14equal_to_valueItEEEEEEE10hipError_tPvRmT3_T4_T5_T6_T7_T9_mT8_P12ihipStream_tbDpT10_ENKUlT_T0_E_clISt17integral_constantIbLb0EES17_IbLb1EEEEDaS13_S14_EUlS13_E_NS1_11comp_targetILNS1_3genE4ELNS1_11target_archE910ELNS1_3gpuE8ELNS1_3repE0EEENS1_30default_config_static_selectorELNS0_4arch9wavefront6targetE0EEEvT1_, .Lfunc_end431-_ZN7rocprim17ROCPRIM_400000_NS6detail17trampoline_kernelINS0_14default_configENS1_25partition_config_selectorILNS1_17partition_subalgoE6EtNS0_10empty_typeEbEEZZNS1_14partition_implILS5_6ELb0ES3_mN6thrust23THRUST_200600_302600_NS6detail15normal_iteratorINSA_10device_ptrItEEEEPS6_SG_NS0_5tupleIJSF_S6_EEENSH_IJSG_SG_EEES6_PlJNSB_9not_fun_tINSB_14equal_to_valueItEEEEEEE10hipError_tPvRmT3_T4_T5_T6_T7_T9_mT8_P12ihipStream_tbDpT10_ENKUlT_T0_E_clISt17integral_constantIbLb0EES17_IbLb1EEEEDaS13_S14_EUlS13_E_NS1_11comp_targetILNS1_3genE4ELNS1_11target_archE910ELNS1_3gpuE8ELNS1_3repE0EEENS1_30default_config_static_selectorELNS0_4arch9wavefront6targetE0EEEvT1_
                                        ; -- End function
	.set _ZN7rocprim17ROCPRIM_400000_NS6detail17trampoline_kernelINS0_14default_configENS1_25partition_config_selectorILNS1_17partition_subalgoE6EtNS0_10empty_typeEbEEZZNS1_14partition_implILS5_6ELb0ES3_mN6thrust23THRUST_200600_302600_NS6detail15normal_iteratorINSA_10device_ptrItEEEEPS6_SG_NS0_5tupleIJSF_S6_EEENSH_IJSG_SG_EEES6_PlJNSB_9not_fun_tINSB_14equal_to_valueItEEEEEEE10hipError_tPvRmT3_T4_T5_T6_T7_T9_mT8_P12ihipStream_tbDpT10_ENKUlT_T0_E_clISt17integral_constantIbLb0EES17_IbLb1EEEEDaS13_S14_EUlS13_E_NS1_11comp_targetILNS1_3genE4ELNS1_11target_archE910ELNS1_3gpuE8ELNS1_3repE0EEENS1_30default_config_static_selectorELNS0_4arch9wavefront6targetE0EEEvT1_.num_vgpr, 0
	.set _ZN7rocprim17ROCPRIM_400000_NS6detail17trampoline_kernelINS0_14default_configENS1_25partition_config_selectorILNS1_17partition_subalgoE6EtNS0_10empty_typeEbEEZZNS1_14partition_implILS5_6ELb0ES3_mN6thrust23THRUST_200600_302600_NS6detail15normal_iteratorINSA_10device_ptrItEEEEPS6_SG_NS0_5tupleIJSF_S6_EEENSH_IJSG_SG_EEES6_PlJNSB_9not_fun_tINSB_14equal_to_valueItEEEEEEE10hipError_tPvRmT3_T4_T5_T6_T7_T9_mT8_P12ihipStream_tbDpT10_ENKUlT_T0_E_clISt17integral_constantIbLb0EES17_IbLb1EEEEDaS13_S14_EUlS13_E_NS1_11comp_targetILNS1_3genE4ELNS1_11target_archE910ELNS1_3gpuE8ELNS1_3repE0EEENS1_30default_config_static_selectorELNS0_4arch9wavefront6targetE0EEEvT1_.num_agpr, 0
	.set _ZN7rocprim17ROCPRIM_400000_NS6detail17trampoline_kernelINS0_14default_configENS1_25partition_config_selectorILNS1_17partition_subalgoE6EtNS0_10empty_typeEbEEZZNS1_14partition_implILS5_6ELb0ES3_mN6thrust23THRUST_200600_302600_NS6detail15normal_iteratorINSA_10device_ptrItEEEEPS6_SG_NS0_5tupleIJSF_S6_EEENSH_IJSG_SG_EEES6_PlJNSB_9not_fun_tINSB_14equal_to_valueItEEEEEEE10hipError_tPvRmT3_T4_T5_T6_T7_T9_mT8_P12ihipStream_tbDpT10_ENKUlT_T0_E_clISt17integral_constantIbLb0EES17_IbLb1EEEEDaS13_S14_EUlS13_E_NS1_11comp_targetILNS1_3genE4ELNS1_11target_archE910ELNS1_3gpuE8ELNS1_3repE0EEENS1_30default_config_static_selectorELNS0_4arch9wavefront6targetE0EEEvT1_.numbered_sgpr, 0
	.set _ZN7rocprim17ROCPRIM_400000_NS6detail17trampoline_kernelINS0_14default_configENS1_25partition_config_selectorILNS1_17partition_subalgoE6EtNS0_10empty_typeEbEEZZNS1_14partition_implILS5_6ELb0ES3_mN6thrust23THRUST_200600_302600_NS6detail15normal_iteratorINSA_10device_ptrItEEEEPS6_SG_NS0_5tupleIJSF_S6_EEENSH_IJSG_SG_EEES6_PlJNSB_9not_fun_tINSB_14equal_to_valueItEEEEEEE10hipError_tPvRmT3_T4_T5_T6_T7_T9_mT8_P12ihipStream_tbDpT10_ENKUlT_T0_E_clISt17integral_constantIbLb0EES17_IbLb1EEEEDaS13_S14_EUlS13_E_NS1_11comp_targetILNS1_3genE4ELNS1_11target_archE910ELNS1_3gpuE8ELNS1_3repE0EEENS1_30default_config_static_selectorELNS0_4arch9wavefront6targetE0EEEvT1_.num_named_barrier, 0
	.set _ZN7rocprim17ROCPRIM_400000_NS6detail17trampoline_kernelINS0_14default_configENS1_25partition_config_selectorILNS1_17partition_subalgoE6EtNS0_10empty_typeEbEEZZNS1_14partition_implILS5_6ELb0ES3_mN6thrust23THRUST_200600_302600_NS6detail15normal_iteratorINSA_10device_ptrItEEEEPS6_SG_NS0_5tupleIJSF_S6_EEENSH_IJSG_SG_EEES6_PlJNSB_9not_fun_tINSB_14equal_to_valueItEEEEEEE10hipError_tPvRmT3_T4_T5_T6_T7_T9_mT8_P12ihipStream_tbDpT10_ENKUlT_T0_E_clISt17integral_constantIbLb0EES17_IbLb1EEEEDaS13_S14_EUlS13_E_NS1_11comp_targetILNS1_3genE4ELNS1_11target_archE910ELNS1_3gpuE8ELNS1_3repE0EEENS1_30default_config_static_selectorELNS0_4arch9wavefront6targetE0EEEvT1_.private_seg_size, 0
	.set _ZN7rocprim17ROCPRIM_400000_NS6detail17trampoline_kernelINS0_14default_configENS1_25partition_config_selectorILNS1_17partition_subalgoE6EtNS0_10empty_typeEbEEZZNS1_14partition_implILS5_6ELb0ES3_mN6thrust23THRUST_200600_302600_NS6detail15normal_iteratorINSA_10device_ptrItEEEEPS6_SG_NS0_5tupleIJSF_S6_EEENSH_IJSG_SG_EEES6_PlJNSB_9not_fun_tINSB_14equal_to_valueItEEEEEEE10hipError_tPvRmT3_T4_T5_T6_T7_T9_mT8_P12ihipStream_tbDpT10_ENKUlT_T0_E_clISt17integral_constantIbLb0EES17_IbLb1EEEEDaS13_S14_EUlS13_E_NS1_11comp_targetILNS1_3genE4ELNS1_11target_archE910ELNS1_3gpuE8ELNS1_3repE0EEENS1_30default_config_static_selectorELNS0_4arch9wavefront6targetE0EEEvT1_.uses_vcc, 0
	.set _ZN7rocprim17ROCPRIM_400000_NS6detail17trampoline_kernelINS0_14default_configENS1_25partition_config_selectorILNS1_17partition_subalgoE6EtNS0_10empty_typeEbEEZZNS1_14partition_implILS5_6ELb0ES3_mN6thrust23THRUST_200600_302600_NS6detail15normal_iteratorINSA_10device_ptrItEEEEPS6_SG_NS0_5tupleIJSF_S6_EEENSH_IJSG_SG_EEES6_PlJNSB_9not_fun_tINSB_14equal_to_valueItEEEEEEE10hipError_tPvRmT3_T4_T5_T6_T7_T9_mT8_P12ihipStream_tbDpT10_ENKUlT_T0_E_clISt17integral_constantIbLb0EES17_IbLb1EEEEDaS13_S14_EUlS13_E_NS1_11comp_targetILNS1_3genE4ELNS1_11target_archE910ELNS1_3gpuE8ELNS1_3repE0EEENS1_30default_config_static_selectorELNS0_4arch9wavefront6targetE0EEEvT1_.uses_flat_scratch, 0
	.set _ZN7rocprim17ROCPRIM_400000_NS6detail17trampoline_kernelINS0_14default_configENS1_25partition_config_selectorILNS1_17partition_subalgoE6EtNS0_10empty_typeEbEEZZNS1_14partition_implILS5_6ELb0ES3_mN6thrust23THRUST_200600_302600_NS6detail15normal_iteratorINSA_10device_ptrItEEEEPS6_SG_NS0_5tupleIJSF_S6_EEENSH_IJSG_SG_EEES6_PlJNSB_9not_fun_tINSB_14equal_to_valueItEEEEEEE10hipError_tPvRmT3_T4_T5_T6_T7_T9_mT8_P12ihipStream_tbDpT10_ENKUlT_T0_E_clISt17integral_constantIbLb0EES17_IbLb1EEEEDaS13_S14_EUlS13_E_NS1_11comp_targetILNS1_3genE4ELNS1_11target_archE910ELNS1_3gpuE8ELNS1_3repE0EEENS1_30default_config_static_selectorELNS0_4arch9wavefront6targetE0EEEvT1_.has_dyn_sized_stack, 0
	.set _ZN7rocprim17ROCPRIM_400000_NS6detail17trampoline_kernelINS0_14default_configENS1_25partition_config_selectorILNS1_17partition_subalgoE6EtNS0_10empty_typeEbEEZZNS1_14partition_implILS5_6ELb0ES3_mN6thrust23THRUST_200600_302600_NS6detail15normal_iteratorINSA_10device_ptrItEEEEPS6_SG_NS0_5tupleIJSF_S6_EEENSH_IJSG_SG_EEES6_PlJNSB_9not_fun_tINSB_14equal_to_valueItEEEEEEE10hipError_tPvRmT3_T4_T5_T6_T7_T9_mT8_P12ihipStream_tbDpT10_ENKUlT_T0_E_clISt17integral_constantIbLb0EES17_IbLb1EEEEDaS13_S14_EUlS13_E_NS1_11comp_targetILNS1_3genE4ELNS1_11target_archE910ELNS1_3gpuE8ELNS1_3repE0EEENS1_30default_config_static_selectorELNS0_4arch9wavefront6targetE0EEEvT1_.has_recursion, 0
	.set _ZN7rocprim17ROCPRIM_400000_NS6detail17trampoline_kernelINS0_14default_configENS1_25partition_config_selectorILNS1_17partition_subalgoE6EtNS0_10empty_typeEbEEZZNS1_14partition_implILS5_6ELb0ES3_mN6thrust23THRUST_200600_302600_NS6detail15normal_iteratorINSA_10device_ptrItEEEEPS6_SG_NS0_5tupleIJSF_S6_EEENSH_IJSG_SG_EEES6_PlJNSB_9not_fun_tINSB_14equal_to_valueItEEEEEEE10hipError_tPvRmT3_T4_T5_T6_T7_T9_mT8_P12ihipStream_tbDpT10_ENKUlT_T0_E_clISt17integral_constantIbLb0EES17_IbLb1EEEEDaS13_S14_EUlS13_E_NS1_11comp_targetILNS1_3genE4ELNS1_11target_archE910ELNS1_3gpuE8ELNS1_3repE0EEENS1_30default_config_static_selectorELNS0_4arch9wavefront6targetE0EEEvT1_.has_indirect_call, 0
	.section	.AMDGPU.csdata,"",@progbits
; Kernel info:
; codeLenInByte = 0
; TotalNumSgprs: 0
; NumVgprs: 0
; ScratchSize: 0
; MemoryBound: 0
; FloatMode: 240
; IeeeMode: 1
; LDSByteSize: 0 bytes/workgroup (compile time only)
; SGPRBlocks: 0
; VGPRBlocks: 0
; NumSGPRsForWavesPerEU: 1
; NumVGPRsForWavesPerEU: 1
; Occupancy: 16
; WaveLimiterHint : 0
; COMPUTE_PGM_RSRC2:SCRATCH_EN: 0
; COMPUTE_PGM_RSRC2:USER_SGPR: 2
; COMPUTE_PGM_RSRC2:TRAP_HANDLER: 0
; COMPUTE_PGM_RSRC2:TGID_X_EN: 1
; COMPUTE_PGM_RSRC2:TGID_Y_EN: 0
; COMPUTE_PGM_RSRC2:TGID_Z_EN: 0
; COMPUTE_PGM_RSRC2:TIDIG_COMP_CNT: 0
	.section	.text._ZN7rocprim17ROCPRIM_400000_NS6detail17trampoline_kernelINS0_14default_configENS1_25partition_config_selectorILNS1_17partition_subalgoE6EtNS0_10empty_typeEbEEZZNS1_14partition_implILS5_6ELb0ES3_mN6thrust23THRUST_200600_302600_NS6detail15normal_iteratorINSA_10device_ptrItEEEEPS6_SG_NS0_5tupleIJSF_S6_EEENSH_IJSG_SG_EEES6_PlJNSB_9not_fun_tINSB_14equal_to_valueItEEEEEEE10hipError_tPvRmT3_T4_T5_T6_T7_T9_mT8_P12ihipStream_tbDpT10_ENKUlT_T0_E_clISt17integral_constantIbLb0EES17_IbLb1EEEEDaS13_S14_EUlS13_E_NS1_11comp_targetILNS1_3genE3ELNS1_11target_archE908ELNS1_3gpuE7ELNS1_3repE0EEENS1_30default_config_static_selectorELNS0_4arch9wavefront6targetE0EEEvT1_,"axG",@progbits,_ZN7rocprim17ROCPRIM_400000_NS6detail17trampoline_kernelINS0_14default_configENS1_25partition_config_selectorILNS1_17partition_subalgoE6EtNS0_10empty_typeEbEEZZNS1_14partition_implILS5_6ELb0ES3_mN6thrust23THRUST_200600_302600_NS6detail15normal_iteratorINSA_10device_ptrItEEEEPS6_SG_NS0_5tupleIJSF_S6_EEENSH_IJSG_SG_EEES6_PlJNSB_9not_fun_tINSB_14equal_to_valueItEEEEEEE10hipError_tPvRmT3_T4_T5_T6_T7_T9_mT8_P12ihipStream_tbDpT10_ENKUlT_T0_E_clISt17integral_constantIbLb0EES17_IbLb1EEEEDaS13_S14_EUlS13_E_NS1_11comp_targetILNS1_3genE3ELNS1_11target_archE908ELNS1_3gpuE7ELNS1_3repE0EEENS1_30default_config_static_selectorELNS0_4arch9wavefront6targetE0EEEvT1_,comdat
	.protected	_ZN7rocprim17ROCPRIM_400000_NS6detail17trampoline_kernelINS0_14default_configENS1_25partition_config_selectorILNS1_17partition_subalgoE6EtNS0_10empty_typeEbEEZZNS1_14partition_implILS5_6ELb0ES3_mN6thrust23THRUST_200600_302600_NS6detail15normal_iteratorINSA_10device_ptrItEEEEPS6_SG_NS0_5tupleIJSF_S6_EEENSH_IJSG_SG_EEES6_PlJNSB_9not_fun_tINSB_14equal_to_valueItEEEEEEE10hipError_tPvRmT3_T4_T5_T6_T7_T9_mT8_P12ihipStream_tbDpT10_ENKUlT_T0_E_clISt17integral_constantIbLb0EES17_IbLb1EEEEDaS13_S14_EUlS13_E_NS1_11comp_targetILNS1_3genE3ELNS1_11target_archE908ELNS1_3gpuE7ELNS1_3repE0EEENS1_30default_config_static_selectorELNS0_4arch9wavefront6targetE0EEEvT1_ ; -- Begin function _ZN7rocprim17ROCPRIM_400000_NS6detail17trampoline_kernelINS0_14default_configENS1_25partition_config_selectorILNS1_17partition_subalgoE6EtNS0_10empty_typeEbEEZZNS1_14partition_implILS5_6ELb0ES3_mN6thrust23THRUST_200600_302600_NS6detail15normal_iteratorINSA_10device_ptrItEEEEPS6_SG_NS0_5tupleIJSF_S6_EEENSH_IJSG_SG_EEES6_PlJNSB_9not_fun_tINSB_14equal_to_valueItEEEEEEE10hipError_tPvRmT3_T4_T5_T6_T7_T9_mT8_P12ihipStream_tbDpT10_ENKUlT_T0_E_clISt17integral_constantIbLb0EES17_IbLb1EEEEDaS13_S14_EUlS13_E_NS1_11comp_targetILNS1_3genE3ELNS1_11target_archE908ELNS1_3gpuE7ELNS1_3repE0EEENS1_30default_config_static_selectorELNS0_4arch9wavefront6targetE0EEEvT1_
	.globl	_ZN7rocprim17ROCPRIM_400000_NS6detail17trampoline_kernelINS0_14default_configENS1_25partition_config_selectorILNS1_17partition_subalgoE6EtNS0_10empty_typeEbEEZZNS1_14partition_implILS5_6ELb0ES3_mN6thrust23THRUST_200600_302600_NS6detail15normal_iteratorINSA_10device_ptrItEEEEPS6_SG_NS0_5tupleIJSF_S6_EEENSH_IJSG_SG_EEES6_PlJNSB_9not_fun_tINSB_14equal_to_valueItEEEEEEE10hipError_tPvRmT3_T4_T5_T6_T7_T9_mT8_P12ihipStream_tbDpT10_ENKUlT_T0_E_clISt17integral_constantIbLb0EES17_IbLb1EEEEDaS13_S14_EUlS13_E_NS1_11comp_targetILNS1_3genE3ELNS1_11target_archE908ELNS1_3gpuE7ELNS1_3repE0EEENS1_30default_config_static_selectorELNS0_4arch9wavefront6targetE0EEEvT1_
	.p2align	8
	.type	_ZN7rocprim17ROCPRIM_400000_NS6detail17trampoline_kernelINS0_14default_configENS1_25partition_config_selectorILNS1_17partition_subalgoE6EtNS0_10empty_typeEbEEZZNS1_14partition_implILS5_6ELb0ES3_mN6thrust23THRUST_200600_302600_NS6detail15normal_iteratorINSA_10device_ptrItEEEEPS6_SG_NS0_5tupleIJSF_S6_EEENSH_IJSG_SG_EEES6_PlJNSB_9not_fun_tINSB_14equal_to_valueItEEEEEEE10hipError_tPvRmT3_T4_T5_T6_T7_T9_mT8_P12ihipStream_tbDpT10_ENKUlT_T0_E_clISt17integral_constantIbLb0EES17_IbLb1EEEEDaS13_S14_EUlS13_E_NS1_11comp_targetILNS1_3genE3ELNS1_11target_archE908ELNS1_3gpuE7ELNS1_3repE0EEENS1_30default_config_static_selectorELNS0_4arch9wavefront6targetE0EEEvT1_,@function
_ZN7rocprim17ROCPRIM_400000_NS6detail17trampoline_kernelINS0_14default_configENS1_25partition_config_selectorILNS1_17partition_subalgoE6EtNS0_10empty_typeEbEEZZNS1_14partition_implILS5_6ELb0ES3_mN6thrust23THRUST_200600_302600_NS6detail15normal_iteratorINSA_10device_ptrItEEEEPS6_SG_NS0_5tupleIJSF_S6_EEENSH_IJSG_SG_EEES6_PlJNSB_9not_fun_tINSB_14equal_to_valueItEEEEEEE10hipError_tPvRmT3_T4_T5_T6_T7_T9_mT8_P12ihipStream_tbDpT10_ENKUlT_T0_E_clISt17integral_constantIbLb0EES17_IbLb1EEEEDaS13_S14_EUlS13_E_NS1_11comp_targetILNS1_3genE3ELNS1_11target_archE908ELNS1_3gpuE7ELNS1_3repE0EEENS1_30default_config_static_selectorELNS0_4arch9wavefront6targetE0EEEvT1_: ; @_ZN7rocprim17ROCPRIM_400000_NS6detail17trampoline_kernelINS0_14default_configENS1_25partition_config_selectorILNS1_17partition_subalgoE6EtNS0_10empty_typeEbEEZZNS1_14partition_implILS5_6ELb0ES3_mN6thrust23THRUST_200600_302600_NS6detail15normal_iteratorINSA_10device_ptrItEEEEPS6_SG_NS0_5tupleIJSF_S6_EEENSH_IJSG_SG_EEES6_PlJNSB_9not_fun_tINSB_14equal_to_valueItEEEEEEE10hipError_tPvRmT3_T4_T5_T6_T7_T9_mT8_P12ihipStream_tbDpT10_ENKUlT_T0_E_clISt17integral_constantIbLb0EES17_IbLb1EEEEDaS13_S14_EUlS13_E_NS1_11comp_targetILNS1_3genE3ELNS1_11target_archE908ELNS1_3gpuE7ELNS1_3repE0EEENS1_30default_config_static_selectorELNS0_4arch9wavefront6targetE0EEEvT1_
; %bb.0:
	.section	.rodata,"a",@progbits
	.p2align	6, 0x0
	.amdhsa_kernel _ZN7rocprim17ROCPRIM_400000_NS6detail17trampoline_kernelINS0_14default_configENS1_25partition_config_selectorILNS1_17partition_subalgoE6EtNS0_10empty_typeEbEEZZNS1_14partition_implILS5_6ELb0ES3_mN6thrust23THRUST_200600_302600_NS6detail15normal_iteratorINSA_10device_ptrItEEEEPS6_SG_NS0_5tupleIJSF_S6_EEENSH_IJSG_SG_EEES6_PlJNSB_9not_fun_tINSB_14equal_to_valueItEEEEEEE10hipError_tPvRmT3_T4_T5_T6_T7_T9_mT8_P12ihipStream_tbDpT10_ENKUlT_T0_E_clISt17integral_constantIbLb0EES17_IbLb1EEEEDaS13_S14_EUlS13_E_NS1_11comp_targetILNS1_3genE3ELNS1_11target_archE908ELNS1_3gpuE7ELNS1_3repE0EEENS1_30default_config_static_selectorELNS0_4arch9wavefront6targetE0EEEvT1_
		.amdhsa_group_segment_fixed_size 0
		.amdhsa_private_segment_fixed_size 0
		.amdhsa_kernarg_size 128
		.amdhsa_user_sgpr_count 2
		.amdhsa_user_sgpr_dispatch_ptr 0
		.amdhsa_user_sgpr_queue_ptr 0
		.amdhsa_user_sgpr_kernarg_segment_ptr 1
		.amdhsa_user_sgpr_dispatch_id 0
		.amdhsa_user_sgpr_private_segment_size 0
		.amdhsa_wavefront_size32 1
		.amdhsa_uses_dynamic_stack 0
		.amdhsa_enable_private_segment 0
		.amdhsa_system_sgpr_workgroup_id_x 1
		.amdhsa_system_sgpr_workgroup_id_y 0
		.amdhsa_system_sgpr_workgroup_id_z 0
		.amdhsa_system_sgpr_workgroup_info 0
		.amdhsa_system_vgpr_workitem_id 0
		.amdhsa_next_free_vgpr 1
		.amdhsa_next_free_sgpr 1
		.amdhsa_reserve_vcc 0
		.amdhsa_float_round_mode_32 0
		.amdhsa_float_round_mode_16_64 0
		.amdhsa_float_denorm_mode_32 3
		.amdhsa_float_denorm_mode_16_64 3
		.amdhsa_fp16_overflow 0
		.amdhsa_workgroup_processor_mode 1
		.amdhsa_memory_ordered 1
		.amdhsa_forward_progress 1
		.amdhsa_inst_pref_size 0
		.amdhsa_round_robin_scheduling 0
		.amdhsa_exception_fp_ieee_invalid_op 0
		.amdhsa_exception_fp_denorm_src 0
		.amdhsa_exception_fp_ieee_div_zero 0
		.amdhsa_exception_fp_ieee_overflow 0
		.amdhsa_exception_fp_ieee_underflow 0
		.amdhsa_exception_fp_ieee_inexact 0
		.amdhsa_exception_int_div_zero 0
	.end_amdhsa_kernel
	.section	.text._ZN7rocprim17ROCPRIM_400000_NS6detail17trampoline_kernelINS0_14default_configENS1_25partition_config_selectorILNS1_17partition_subalgoE6EtNS0_10empty_typeEbEEZZNS1_14partition_implILS5_6ELb0ES3_mN6thrust23THRUST_200600_302600_NS6detail15normal_iteratorINSA_10device_ptrItEEEEPS6_SG_NS0_5tupleIJSF_S6_EEENSH_IJSG_SG_EEES6_PlJNSB_9not_fun_tINSB_14equal_to_valueItEEEEEEE10hipError_tPvRmT3_T4_T5_T6_T7_T9_mT8_P12ihipStream_tbDpT10_ENKUlT_T0_E_clISt17integral_constantIbLb0EES17_IbLb1EEEEDaS13_S14_EUlS13_E_NS1_11comp_targetILNS1_3genE3ELNS1_11target_archE908ELNS1_3gpuE7ELNS1_3repE0EEENS1_30default_config_static_selectorELNS0_4arch9wavefront6targetE0EEEvT1_,"axG",@progbits,_ZN7rocprim17ROCPRIM_400000_NS6detail17trampoline_kernelINS0_14default_configENS1_25partition_config_selectorILNS1_17partition_subalgoE6EtNS0_10empty_typeEbEEZZNS1_14partition_implILS5_6ELb0ES3_mN6thrust23THRUST_200600_302600_NS6detail15normal_iteratorINSA_10device_ptrItEEEEPS6_SG_NS0_5tupleIJSF_S6_EEENSH_IJSG_SG_EEES6_PlJNSB_9not_fun_tINSB_14equal_to_valueItEEEEEEE10hipError_tPvRmT3_T4_T5_T6_T7_T9_mT8_P12ihipStream_tbDpT10_ENKUlT_T0_E_clISt17integral_constantIbLb0EES17_IbLb1EEEEDaS13_S14_EUlS13_E_NS1_11comp_targetILNS1_3genE3ELNS1_11target_archE908ELNS1_3gpuE7ELNS1_3repE0EEENS1_30default_config_static_selectorELNS0_4arch9wavefront6targetE0EEEvT1_,comdat
.Lfunc_end432:
	.size	_ZN7rocprim17ROCPRIM_400000_NS6detail17trampoline_kernelINS0_14default_configENS1_25partition_config_selectorILNS1_17partition_subalgoE6EtNS0_10empty_typeEbEEZZNS1_14partition_implILS5_6ELb0ES3_mN6thrust23THRUST_200600_302600_NS6detail15normal_iteratorINSA_10device_ptrItEEEEPS6_SG_NS0_5tupleIJSF_S6_EEENSH_IJSG_SG_EEES6_PlJNSB_9not_fun_tINSB_14equal_to_valueItEEEEEEE10hipError_tPvRmT3_T4_T5_T6_T7_T9_mT8_P12ihipStream_tbDpT10_ENKUlT_T0_E_clISt17integral_constantIbLb0EES17_IbLb1EEEEDaS13_S14_EUlS13_E_NS1_11comp_targetILNS1_3genE3ELNS1_11target_archE908ELNS1_3gpuE7ELNS1_3repE0EEENS1_30default_config_static_selectorELNS0_4arch9wavefront6targetE0EEEvT1_, .Lfunc_end432-_ZN7rocprim17ROCPRIM_400000_NS6detail17trampoline_kernelINS0_14default_configENS1_25partition_config_selectorILNS1_17partition_subalgoE6EtNS0_10empty_typeEbEEZZNS1_14partition_implILS5_6ELb0ES3_mN6thrust23THRUST_200600_302600_NS6detail15normal_iteratorINSA_10device_ptrItEEEEPS6_SG_NS0_5tupleIJSF_S6_EEENSH_IJSG_SG_EEES6_PlJNSB_9not_fun_tINSB_14equal_to_valueItEEEEEEE10hipError_tPvRmT3_T4_T5_T6_T7_T9_mT8_P12ihipStream_tbDpT10_ENKUlT_T0_E_clISt17integral_constantIbLb0EES17_IbLb1EEEEDaS13_S14_EUlS13_E_NS1_11comp_targetILNS1_3genE3ELNS1_11target_archE908ELNS1_3gpuE7ELNS1_3repE0EEENS1_30default_config_static_selectorELNS0_4arch9wavefront6targetE0EEEvT1_
                                        ; -- End function
	.set _ZN7rocprim17ROCPRIM_400000_NS6detail17trampoline_kernelINS0_14default_configENS1_25partition_config_selectorILNS1_17partition_subalgoE6EtNS0_10empty_typeEbEEZZNS1_14partition_implILS5_6ELb0ES3_mN6thrust23THRUST_200600_302600_NS6detail15normal_iteratorINSA_10device_ptrItEEEEPS6_SG_NS0_5tupleIJSF_S6_EEENSH_IJSG_SG_EEES6_PlJNSB_9not_fun_tINSB_14equal_to_valueItEEEEEEE10hipError_tPvRmT3_T4_T5_T6_T7_T9_mT8_P12ihipStream_tbDpT10_ENKUlT_T0_E_clISt17integral_constantIbLb0EES17_IbLb1EEEEDaS13_S14_EUlS13_E_NS1_11comp_targetILNS1_3genE3ELNS1_11target_archE908ELNS1_3gpuE7ELNS1_3repE0EEENS1_30default_config_static_selectorELNS0_4arch9wavefront6targetE0EEEvT1_.num_vgpr, 0
	.set _ZN7rocprim17ROCPRIM_400000_NS6detail17trampoline_kernelINS0_14default_configENS1_25partition_config_selectorILNS1_17partition_subalgoE6EtNS0_10empty_typeEbEEZZNS1_14partition_implILS5_6ELb0ES3_mN6thrust23THRUST_200600_302600_NS6detail15normal_iteratorINSA_10device_ptrItEEEEPS6_SG_NS0_5tupleIJSF_S6_EEENSH_IJSG_SG_EEES6_PlJNSB_9not_fun_tINSB_14equal_to_valueItEEEEEEE10hipError_tPvRmT3_T4_T5_T6_T7_T9_mT8_P12ihipStream_tbDpT10_ENKUlT_T0_E_clISt17integral_constantIbLb0EES17_IbLb1EEEEDaS13_S14_EUlS13_E_NS1_11comp_targetILNS1_3genE3ELNS1_11target_archE908ELNS1_3gpuE7ELNS1_3repE0EEENS1_30default_config_static_selectorELNS0_4arch9wavefront6targetE0EEEvT1_.num_agpr, 0
	.set _ZN7rocprim17ROCPRIM_400000_NS6detail17trampoline_kernelINS0_14default_configENS1_25partition_config_selectorILNS1_17partition_subalgoE6EtNS0_10empty_typeEbEEZZNS1_14partition_implILS5_6ELb0ES3_mN6thrust23THRUST_200600_302600_NS6detail15normal_iteratorINSA_10device_ptrItEEEEPS6_SG_NS0_5tupleIJSF_S6_EEENSH_IJSG_SG_EEES6_PlJNSB_9not_fun_tINSB_14equal_to_valueItEEEEEEE10hipError_tPvRmT3_T4_T5_T6_T7_T9_mT8_P12ihipStream_tbDpT10_ENKUlT_T0_E_clISt17integral_constantIbLb0EES17_IbLb1EEEEDaS13_S14_EUlS13_E_NS1_11comp_targetILNS1_3genE3ELNS1_11target_archE908ELNS1_3gpuE7ELNS1_3repE0EEENS1_30default_config_static_selectorELNS0_4arch9wavefront6targetE0EEEvT1_.numbered_sgpr, 0
	.set _ZN7rocprim17ROCPRIM_400000_NS6detail17trampoline_kernelINS0_14default_configENS1_25partition_config_selectorILNS1_17partition_subalgoE6EtNS0_10empty_typeEbEEZZNS1_14partition_implILS5_6ELb0ES3_mN6thrust23THRUST_200600_302600_NS6detail15normal_iteratorINSA_10device_ptrItEEEEPS6_SG_NS0_5tupleIJSF_S6_EEENSH_IJSG_SG_EEES6_PlJNSB_9not_fun_tINSB_14equal_to_valueItEEEEEEE10hipError_tPvRmT3_T4_T5_T6_T7_T9_mT8_P12ihipStream_tbDpT10_ENKUlT_T0_E_clISt17integral_constantIbLb0EES17_IbLb1EEEEDaS13_S14_EUlS13_E_NS1_11comp_targetILNS1_3genE3ELNS1_11target_archE908ELNS1_3gpuE7ELNS1_3repE0EEENS1_30default_config_static_selectorELNS0_4arch9wavefront6targetE0EEEvT1_.num_named_barrier, 0
	.set _ZN7rocprim17ROCPRIM_400000_NS6detail17trampoline_kernelINS0_14default_configENS1_25partition_config_selectorILNS1_17partition_subalgoE6EtNS0_10empty_typeEbEEZZNS1_14partition_implILS5_6ELb0ES3_mN6thrust23THRUST_200600_302600_NS6detail15normal_iteratorINSA_10device_ptrItEEEEPS6_SG_NS0_5tupleIJSF_S6_EEENSH_IJSG_SG_EEES6_PlJNSB_9not_fun_tINSB_14equal_to_valueItEEEEEEE10hipError_tPvRmT3_T4_T5_T6_T7_T9_mT8_P12ihipStream_tbDpT10_ENKUlT_T0_E_clISt17integral_constantIbLb0EES17_IbLb1EEEEDaS13_S14_EUlS13_E_NS1_11comp_targetILNS1_3genE3ELNS1_11target_archE908ELNS1_3gpuE7ELNS1_3repE0EEENS1_30default_config_static_selectorELNS0_4arch9wavefront6targetE0EEEvT1_.private_seg_size, 0
	.set _ZN7rocprim17ROCPRIM_400000_NS6detail17trampoline_kernelINS0_14default_configENS1_25partition_config_selectorILNS1_17partition_subalgoE6EtNS0_10empty_typeEbEEZZNS1_14partition_implILS5_6ELb0ES3_mN6thrust23THRUST_200600_302600_NS6detail15normal_iteratorINSA_10device_ptrItEEEEPS6_SG_NS0_5tupleIJSF_S6_EEENSH_IJSG_SG_EEES6_PlJNSB_9not_fun_tINSB_14equal_to_valueItEEEEEEE10hipError_tPvRmT3_T4_T5_T6_T7_T9_mT8_P12ihipStream_tbDpT10_ENKUlT_T0_E_clISt17integral_constantIbLb0EES17_IbLb1EEEEDaS13_S14_EUlS13_E_NS1_11comp_targetILNS1_3genE3ELNS1_11target_archE908ELNS1_3gpuE7ELNS1_3repE0EEENS1_30default_config_static_selectorELNS0_4arch9wavefront6targetE0EEEvT1_.uses_vcc, 0
	.set _ZN7rocprim17ROCPRIM_400000_NS6detail17trampoline_kernelINS0_14default_configENS1_25partition_config_selectorILNS1_17partition_subalgoE6EtNS0_10empty_typeEbEEZZNS1_14partition_implILS5_6ELb0ES3_mN6thrust23THRUST_200600_302600_NS6detail15normal_iteratorINSA_10device_ptrItEEEEPS6_SG_NS0_5tupleIJSF_S6_EEENSH_IJSG_SG_EEES6_PlJNSB_9not_fun_tINSB_14equal_to_valueItEEEEEEE10hipError_tPvRmT3_T4_T5_T6_T7_T9_mT8_P12ihipStream_tbDpT10_ENKUlT_T0_E_clISt17integral_constantIbLb0EES17_IbLb1EEEEDaS13_S14_EUlS13_E_NS1_11comp_targetILNS1_3genE3ELNS1_11target_archE908ELNS1_3gpuE7ELNS1_3repE0EEENS1_30default_config_static_selectorELNS0_4arch9wavefront6targetE0EEEvT1_.uses_flat_scratch, 0
	.set _ZN7rocprim17ROCPRIM_400000_NS6detail17trampoline_kernelINS0_14default_configENS1_25partition_config_selectorILNS1_17partition_subalgoE6EtNS0_10empty_typeEbEEZZNS1_14partition_implILS5_6ELb0ES3_mN6thrust23THRUST_200600_302600_NS6detail15normal_iteratorINSA_10device_ptrItEEEEPS6_SG_NS0_5tupleIJSF_S6_EEENSH_IJSG_SG_EEES6_PlJNSB_9not_fun_tINSB_14equal_to_valueItEEEEEEE10hipError_tPvRmT3_T4_T5_T6_T7_T9_mT8_P12ihipStream_tbDpT10_ENKUlT_T0_E_clISt17integral_constantIbLb0EES17_IbLb1EEEEDaS13_S14_EUlS13_E_NS1_11comp_targetILNS1_3genE3ELNS1_11target_archE908ELNS1_3gpuE7ELNS1_3repE0EEENS1_30default_config_static_selectorELNS0_4arch9wavefront6targetE0EEEvT1_.has_dyn_sized_stack, 0
	.set _ZN7rocprim17ROCPRIM_400000_NS6detail17trampoline_kernelINS0_14default_configENS1_25partition_config_selectorILNS1_17partition_subalgoE6EtNS0_10empty_typeEbEEZZNS1_14partition_implILS5_6ELb0ES3_mN6thrust23THRUST_200600_302600_NS6detail15normal_iteratorINSA_10device_ptrItEEEEPS6_SG_NS0_5tupleIJSF_S6_EEENSH_IJSG_SG_EEES6_PlJNSB_9not_fun_tINSB_14equal_to_valueItEEEEEEE10hipError_tPvRmT3_T4_T5_T6_T7_T9_mT8_P12ihipStream_tbDpT10_ENKUlT_T0_E_clISt17integral_constantIbLb0EES17_IbLb1EEEEDaS13_S14_EUlS13_E_NS1_11comp_targetILNS1_3genE3ELNS1_11target_archE908ELNS1_3gpuE7ELNS1_3repE0EEENS1_30default_config_static_selectorELNS0_4arch9wavefront6targetE0EEEvT1_.has_recursion, 0
	.set _ZN7rocprim17ROCPRIM_400000_NS6detail17trampoline_kernelINS0_14default_configENS1_25partition_config_selectorILNS1_17partition_subalgoE6EtNS0_10empty_typeEbEEZZNS1_14partition_implILS5_6ELb0ES3_mN6thrust23THRUST_200600_302600_NS6detail15normal_iteratorINSA_10device_ptrItEEEEPS6_SG_NS0_5tupleIJSF_S6_EEENSH_IJSG_SG_EEES6_PlJNSB_9not_fun_tINSB_14equal_to_valueItEEEEEEE10hipError_tPvRmT3_T4_T5_T6_T7_T9_mT8_P12ihipStream_tbDpT10_ENKUlT_T0_E_clISt17integral_constantIbLb0EES17_IbLb1EEEEDaS13_S14_EUlS13_E_NS1_11comp_targetILNS1_3genE3ELNS1_11target_archE908ELNS1_3gpuE7ELNS1_3repE0EEENS1_30default_config_static_selectorELNS0_4arch9wavefront6targetE0EEEvT1_.has_indirect_call, 0
	.section	.AMDGPU.csdata,"",@progbits
; Kernel info:
; codeLenInByte = 0
; TotalNumSgprs: 0
; NumVgprs: 0
; ScratchSize: 0
; MemoryBound: 0
; FloatMode: 240
; IeeeMode: 1
; LDSByteSize: 0 bytes/workgroup (compile time only)
; SGPRBlocks: 0
; VGPRBlocks: 0
; NumSGPRsForWavesPerEU: 1
; NumVGPRsForWavesPerEU: 1
; Occupancy: 16
; WaveLimiterHint : 0
; COMPUTE_PGM_RSRC2:SCRATCH_EN: 0
; COMPUTE_PGM_RSRC2:USER_SGPR: 2
; COMPUTE_PGM_RSRC2:TRAP_HANDLER: 0
; COMPUTE_PGM_RSRC2:TGID_X_EN: 1
; COMPUTE_PGM_RSRC2:TGID_Y_EN: 0
; COMPUTE_PGM_RSRC2:TGID_Z_EN: 0
; COMPUTE_PGM_RSRC2:TIDIG_COMP_CNT: 0
	.section	.text._ZN7rocprim17ROCPRIM_400000_NS6detail17trampoline_kernelINS0_14default_configENS1_25partition_config_selectorILNS1_17partition_subalgoE6EtNS0_10empty_typeEbEEZZNS1_14partition_implILS5_6ELb0ES3_mN6thrust23THRUST_200600_302600_NS6detail15normal_iteratorINSA_10device_ptrItEEEEPS6_SG_NS0_5tupleIJSF_S6_EEENSH_IJSG_SG_EEES6_PlJNSB_9not_fun_tINSB_14equal_to_valueItEEEEEEE10hipError_tPvRmT3_T4_T5_T6_T7_T9_mT8_P12ihipStream_tbDpT10_ENKUlT_T0_E_clISt17integral_constantIbLb0EES17_IbLb1EEEEDaS13_S14_EUlS13_E_NS1_11comp_targetILNS1_3genE2ELNS1_11target_archE906ELNS1_3gpuE6ELNS1_3repE0EEENS1_30default_config_static_selectorELNS0_4arch9wavefront6targetE0EEEvT1_,"axG",@progbits,_ZN7rocprim17ROCPRIM_400000_NS6detail17trampoline_kernelINS0_14default_configENS1_25partition_config_selectorILNS1_17partition_subalgoE6EtNS0_10empty_typeEbEEZZNS1_14partition_implILS5_6ELb0ES3_mN6thrust23THRUST_200600_302600_NS6detail15normal_iteratorINSA_10device_ptrItEEEEPS6_SG_NS0_5tupleIJSF_S6_EEENSH_IJSG_SG_EEES6_PlJNSB_9not_fun_tINSB_14equal_to_valueItEEEEEEE10hipError_tPvRmT3_T4_T5_T6_T7_T9_mT8_P12ihipStream_tbDpT10_ENKUlT_T0_E_clISt17integral_constantIbLb0EES17_IbLb1EEEEDaS13_S14_EUlS13_E_NS1_11comp_targetILNS1_3genE2ELNS1_11target_archE906ELNS1_3gpuE6ELNS1_3repE0EEENS1_30default_config_static_selectorELNS0_4arch9wavefront6targetE0EEEvT1_,comdat
	.protected	_ZN7rocprim17ROCPRIM_400000_NS6detail17trampoline_kernelINS0_14default_configENS1_25partition_config_selectorILNS1_17partition_subalgoE6EtNS0_10empty_typeEbEEZZNS1_14partition_implILS5_6ELb0ES3_mN6thrust23THRUST_200600_302600_NS6detail15normal_iteratorINSA_10device_ptrItEEEEPS6_SG_NS0_5tupleIJSF_S6_EEENSH_IJSG_SG_EEES6_PlJNSB_9not_fun_tINSB_14equal_to_valueItEEEEEEE10hipError_tPvRmT3_T4_T5_T6_T7_T9_mT8_P12ihipStream_tbDpT10_ENKUlT_T0_E_clISt17integral_constantIbLb0EES17_IbLb1EEEEDaS13_S14_EUlS13_E_NS1_11comp_targetILNS1_3genE2ELNS1_11target_archE906ELNS1_3gpuE6ELNS1_3repE0EEENS1_30default_config_static_selectorELNS0_4arch9wavefront6targetE0EEEvT1_ ; -- Begin function _ZN7rocprim17ROCPRIM_400000_NS6detail17trampoline_kernelINS0_14default_configENS1_25partition_config_selectorILNS1_17partition_subalgoE6EtNS0_10empty_typeEbEEZZNS1_14partition_implILS5_6ELb0ES3_mN6thrust23THRUST_200600_302600_NS6detail15normal_iteratorINSA_10device_ptrItEEEEPS6_SG_NS0_5tupleIJSF_S6_EEENSH_IJSG_SG_EEES6_PlJNSB_9not_fun_tINSB_14equal_to_valueItEEEEEEE10hipError_tPvRmT3_T4_T5_T6_T7_T9_mT8_P12ihipStream_tbDpT10_ENKUlT_T0_E_clISt17integral_constantIbLb0EES17_IbLb1EEEEDaS13_S14_EUlS13_E_NS1_11comp_targetILNS1_3genE2ELNS1_11target_archE906ELNS1_3gpuE6ELNS1_3repE0EEENS1_30default_config_static_selectorELNS0_4arch9wavefront6targetE0EEEvT1_
	.globl	_ZN7rocprim17ROCPRIM_400000_NS6detail17trampoline_kernelINS0_14default_configENS1_25partition_config_selectorILNS1_17partition_subalgoE6EtNS0_10empty_typeEbEEZZNS1_14partition_implILS5_6ELb0ES3_mN6thrust23THRUST_200600_302600_NS6detail15normal_iteratorINSA_10device_ptrItEEEEPS6_SG_NS0_5tupleIJSF_S6_EEENSH_IJSG_SG_EEES6_PlJNSB_9not_fun_tINSB_14equal_to_valueItEEEEEEE10hipError_tPvRmT3_T4_T5_T6_T7_T9_mT8_P12ihipStream_tbDpT10_ENKUlT_T0_E_clISt17integral_constantIbLb0EES17_IbLb1EEEEDaS13_S14_EUlS13_E_NS1_11comp_targetILNS1_3genE2ELNS1_11target_archE906ELNS1_3gpuE6ELNS1_3repE0EEENS1_30default_config_static_selectorELNS0_4arch9wavefront6targetE0EEEvT1_
	.p2align	8
	.type	_ZN7rocprim17ROCPRIM_400000_NS6detail17trampoline_kernelINS0_14default_configENS1_25partition_config_selectorILNS1_17partition_subalgoE6EtNS0_10empty_typeEbEEZZNS1_14partition_implILS5_6ELb0ES3_mN6thrust23THRUST_200600_302600_NS6detail15normal_iteratorINSA_10device_ptrItEEEEPS6_SG_NS0_5tupleIJSF_S6_EEENSH_IJSG_SG_EEES6_PlJNSB_9not_fun_tINSB_14equal_to_valueItEEEEEEE10hipError_tPvRmT3_T4_T5_T6_T7_T9_mT8_P12ihipStream_tbDpT10_ENKUlT_T0_E_clISt17integral_constantIbLb0EES17_IbLb1EEEEDaS13_S14_EUlS13_E_NS1_11comp_targetILNS1_3genE2ELNS1_11target_archE906ELNS1_3gpuE6ELNS1_3repE0EEENS1_30default_config_static_selectorELNS0_4arch9wavefront6targetE0EEEvT1_,@function
_ZN7rocprim17ROCPRIM_400000_NS6detail17trampoline_kernelINS0_14default_configENS1_25partition_config_selectorILNS1_17partition_subalgoE6EtNS0_10empty_typeEbEEZZNS1_14partition_implILS5_6ELb0ES3_mN6thrust23THRUST_200600_302600_NS6detail15normal_iteratorINSA_10device_ptrItEEEEPS6_SG_NS0_5tupleIJSF_S6_EEENSH_IJSG_SG_EEES6_PlJNSB_9not_fun_tINSB_14equal_to_valueItEEEEEEE10hipError_tPvRmT3_T4_T5_T6_T7_T9_mT8_P12ihipStream_tbDpT10_ENKUlT_T0_E_clISt17integral_constantIbLb0EES17_IbLb1EEEEDaS13_S14_EUlS13_E_NS1_11comp_targetILNS1_3genE2ELNS1_11target_archE906ELNS1_3gpuE6ELNS1_3repE0EEENS1_30default_config_static_selectorELNS0_4arch9wavefront6targetE0EEEvT1_: ; @_ZN7rocprim17ROCPRIM_400000_NS6detail17trampoline_kernelINS0_14default_configENS1_25partition_config_selectorILNS1_17partition_subalgoE6EtNS0_10empty_typeEbEEZZNS1_14partition_implILS5_6ELb0ES3_mN6thrust23THRUST_200600_302600_NS6detail15normal_iteratorINSA_10device_ptrItEEEEPS6_SG_NS0_5tupleIJSF_S6_EEENSH_IJSG_SG_EEES6_PlJNSB_9not_fun_tINSB_14equal_to_valueItEEEEEEE10hipError_tPvRmT3_T4_T5_T6_T7_T9_mT8_P12ihipStream_tbDpT10_ENKUlT_T0_E_clISt17integral_constantIbLb0EES17_IbLb1EEEEDaS13_S14_EUlS13_E_NS1_11comp_targetILNS1_3genE2ELNS1_11target_archE906ELNS1_3gpuE6ELNS1_3repE0EEENS1_30default_config_static_selectorELNS0_4arch9wavefront6targetE0EEEvT1_
; %bb.0:
	.section	.rodata,"a",@progbits
	.p2align	6, 0x0
	.amdhsa_kernel _ZN7rocprim17ROCPRIM_400000_NS6detail17trampoline_kernelINS0_14default_configENS1_25partition_config_selectorILNS1_17partition_subalgoE6EtNS0_10empty_typeEbEEZZNS1_14partition_implILS5_6ELb0ES3_mN6thrust23THRUST_200600_302600_NS6detail15normal_iteratorINSA_10device_ptrItEEEEPS6_SG_NS0_5tupleIJSF_S6_EEENSH_IJSG_SG_EEES6_PlJNSB_9not_fun_tINSB_14equal_to_valueItEEEEEEE10hipError_tPvRmT3_T4_T5_T6_T7_T9_mT8_P12ihipStream_tbDpT10_ENKUlT_T0_E_clISt17integral_constantIbLb0EES17_IbLb1EEEEDaS13_S14_EUlS13_E_NS1_11comp_targetILNS1_3genE2ELNS1_11target_archE906ELNS1_3gpuE6ELNS1_3repE0EEENS1_30default_config_static_selectorELNS0_4arch9wavefront6targetE0EEEvT1_
		.amdhsa_group_segment_fixed_size 0
		.amdhsa_private_segment_fixed_size 0
		.amdhsa_kernarg_size 128
		.amdhsa_user_sgpr_count 2
		.amdhsa_user_sgpr_dispatch_ptr 0
		.amdhsa_user_sgpr_queue_ptr 0
		.amdhsa_user_sgpr_kernarg_segment_ptr 1
		.amdhsa_user_sgpr_dispatch_id 0
		.amdhsa_user_sgpr_private_segment_size 0
		.amdhsa_wavefront_size32 1
		.amdhsa_uses_dynamic_stack 0
		.amdhsa_enable_private_segment 0
		.amdhsa_system_sgpr_workgroup_id_x 1
		.amdhsa_system_sgpr_workgroup_id_y 0
		.amdhsa_system_sgpr_workgroup_id_z 0
		.amdhsa_system_sgpr_workgroup_info 0
		.amdhsa_system_vgpr_workitem_id 0
		.amdhsa_next_free_vgpr 1
		.amdhsa_next_free_sgpr 1
		.amdhsa_reserve_vcc 0
		.amdhsa_float_round_mode_32 0
		.amdhsa_float_round_mode_16_64 0
		.amdhsa_float_denorm_mode_32 3
		.amdhsa_float_denorm_mode_16_64 3
		.amdhsa_fp16_overflow 0
		.amdhsa_workgroup_processor_mode 1
		.amdhsa_memory_ordered 1
		.amdhsa_forward_progress 1
		.amdhsa_inst_pref_size 0
		.amdhsa_round_robin_scheduling 0
		.amdhsa_exception_fp_ieee_invalid_op 0
		.amdhsa_exception_fp_denorm_src 0
		.amdhsa_exception_fp_ieee_div_zero 0
		.amdhsa_exception_fp_ieee_overflow 0
		.amdhsa_exception_fp_ieee_underflow 0
		.amdhsa_exception_fp_ieee_inexact 0
		.amdhsa_exception_int_div_zero 0
	.end_amdhsa_kernel
	.section	.text._ZN7rocprim17ROCPRIM_400000_NS6detail17trampoline_kernelINS0_14default_configENS1_25partition_config_selectorILNS1_17partition_subalgoE6EtNS0_10empty_typeEbEEZZNS1_14partition_implILS5_6ELb0ES3_mN6thrust23THRUST_200600_302600_NS6detail15normal_iteratorINSA_10device_ptrItEEEEPS6_SG_NS0_5tupleIJSF_S6_EEENSH_IJSG_SG_EEES6_PlJNSB_9not_fun_tINSB_14equal_to_valueItEEEEEEE10hipError_tPvRmT3_T4_T5_T6_T7_T9_mT8_P12ihipStream_tbDpT10_ENKUlT_T0_E_clISt17integral_constantIbLb0EES17_IbLb1EEEEDaS13_S14_EUlS13_E_NS1_11comp_targetILNS1_3genE2ELNS1_11target_archE906ELNS1_3gpuE6ELNS1_3repE0EEENS1_30default_config_static_selectorELNS0_4arch9wavefront6targetE0EEEvT1_,"axG",@progbits,_ZN7rocprim17ROCPRIM_400000_NS6detail17trampoline_kernelINS0_14default_configENS1_25partition_config_selectorILNS1_17partition_subalgoE6EtNS0_10empty_typeEbEEZZNS1_14partition_implILS5_6ELb0ES3_mN6thrust23THRUST_200600_302600_NS6detail15normal_iteratorINSA_10device_ptrItEEEEPS6_SG_NS0_5tupleIJSF_S6_EEENSH_IJSG_SG_EEES6_PlJNSB_9not_fun_tINSB_14equal_to_valueItEEEEEEE10hipError_tPvRmT3_T4_T5_T6_T7_T9_mT8_P12ihipStream_tbDpT10_ENKUlT_T0_E_clISt17integral_constantIbLb0EES17_IbLb1EEEEDaS13_S14_EUlS13_E_NS1_11comp_targetILNS1_3genE2ELNS1_11target_archE906ELNS1_3gpuE6ELNS1_3repE0EEENS1_30default_config_static_selectorELNS0_4arch9wavefront6targetE0EEEvT1_,comdat
.Lfunc_end433:
	.size	_ZN7rocprim17ROCPRIM_400000_NS6detail17trampoline_kernelINS0_14default_configENS1_25partition_config_selectorILNS1_17partition_subalgoE6EtNS0_10empty_typeEbEEZZNS1_14partition_implILS5_6ELb0ES3_mN6thrust23THRUST_200600_302600_NS6detail15normal_iteratorINSA_10device_ptrItEEEEPS6_SG_NS0_5tupleIJSF_S6_EEENSH_IJSG_SG_EEES6_PlJNSB_9not_fun_tINSB_14equal_to_valueItEEEEEEE10hipError_tPvRmT3_T4_T5_T6_T7_T9_mT8_P12ihipStream_tbDpT10_ENKUlT_T0_E_clISt17integral_constantIbLb0EES17_IbLb1EEEEDaS13_S14_EUlS13_E_NS1_11comp_targetILNS1_3genE2ELNS1_11target_archE906ELNS1_3gpuE6ELNS1_3repE0EEENS1_30default_config_static_selectorELNS0_4arch9wavefront6targetE0EEEvT1_, .Lfunc_end433-_ZN7rocprim17ROCPRIM_400000_NS6detail17trampoline_kernelINS0_14default_configENS1_25partition_config_selectorILNS1_17partition_subalgoE6EtNS0_10empty_typeEbEEZZNS1_14partition_implILS5_6ELb0ES3_mN6thrust23THRUST_200600_302600_NS6detail15normal_iteratorINSA_10device_ptrItEEEEPS6_SG_NS0_5tupleIJSF_S6_EEENSH_IJSG_SG_EEES6_PlJNSB_9not_fun_tINSB_14equal_to_valueItEEEEEEE10hipError_tPvRmT3_T4_T5_T6_T7_T9_mT8_P12ihipStream_tbDpT10_ENKUlT_T0_E_clISt17integral_constantIbLb0EES17_IbLb1EEEEDaS13_S14_EUlS13_E_NS1_11comp_targetILNS1_3genE2ELNS1_11target_archE906ELNS1_3gpuE6ELNS1_3repE0EEENS1_30default_config_static_selectorELNS0_4arch9wavefront6targetE0EEEvT1_
                                        ; -- End function
	.set _ZN7rocprim17ROCPRIM_400000_NS6detail17trampoline_kernelINS0_14default_configENS1_25partition_config_selectorILNS1_17partition_subalgoE6EtNS0_10empty_typeEbEEZZNS1_14partition_implILS5_6ELb0ES3_mN6thrust23THRUST_200600_302600_NS6detail15normal_iteratorINSA_10device_ptrItEEEEPS6_SG_NS0_5tupleIJSF_S6_EEENSH_IJSG_SG_EEES6_PlJNSB_9not_fun_tINSB_14equal_to_valueItEEEEEEE10hipError_tPvRmT3_T4_T5_T6_T7_T9_mT8_P12ihipStream_tbDpT10_ENKUlT_T0_E_clISt17integral_constantIbLb0EES17_IbLb1EEEEDaS13_S14_EUlS13_E_NS1_11comp_targetILNS1_3genE2ELNS1_11target_archE906ELNS1_3gpuE6ELNS1_3repE0EEENS1_30default_config_static_selectorELNS0_4arch9wavefront6targetE0EEEvT1_.num_vgpr, 0
	.set _ZN7rocprim17ROCPRIM_400000_NS6detail17trampoline_kernelINS0_14default_configENS1_25partition_config_selectorILNS1_17partition_subalgoE6EtNS0_10empty_typeEbEEZZNS1_14partition_implILS5_6ELb0ES3_mN6thrust23THRUST_200600_302600_NS6detail15normal_iteratorINSA_10device_ptrItEEEEPS6_SG_NS0_5tupleIJSF_S6_EEENSH_IJSG_SG_EEES6_PlJNSB_9not_fun_tINSB_14equal_to_valueItEEEEEEE10hipError_tPvRmT3_T4_T5_T6_T7_T9_mT8_P12ihipStream_tbDpT10_ENKUlT_T0_E_clISt17integral_constantIbLb0EES17_IbLb1EEEEDaS13_S14_EUlS13_E_NS1_11comp_targetILNS1_3genE2ELNS1_11target_archE906ELNS1_3gpuE6ELNS1_3repE0EEENS1_30default_config_static_selectorELNS0_4arch9wavefront6targetE0EEEvT1_.num_agpr, 0
	.set _ZN7rocprim17ROCPRIM_400000_NS6detail17trampoline_kernelINS0_14default_configENS1_25partition_config_selectorILNS1_17partition_subalgoE6EtNS0_10empty_typeEbEEZZNS1_14partition_implILS5_6ELb0ES3_mN6thrust23THRUST_200600_302600_NS6detail15normal_iteratorINSA_10device_ptrItEEEEPS6_SG_NS0_5tupleIJSF_S6_EEENSH_IJSG_SG_EEES6_PlJNSB_9not_fun_tINSB_14equal_to_valueItEEEEEEE10hipError_tPvRmT3_T4_T5_T6_T7_T9_mT8_P12ihipStream_tbDpT10_ENKUlT_T0_E_clISt17integral_constantIbLb0EES17_IbLb1EEEEDaS13_S14_EUlS13_E_NS1_11comp_targetILNS1_3genE2ELNS1_11target_archE906ELNS1_3gpuE6ELNS1_3repE0EEENS1_30default_config_static_selectorELNS0_4arch9wavefront6targetE0EEEvT1_.numbered_sgpr, 0
	.set _ZN7rocprim17ROCPRIM_400000_NS6detail17trampoline_kernelINS0_14default_configENS1_25partition_config_selectorILNS1_17partition_subalgoE6EtNS0_10empty_typeEbEEZZNS1_14partition_implILS5_6ELb0ES3_mN6thrust23THRUST_200600_302600_NS6detail15normal_iteratorINSA_10device_ptrItEEEEPS6_SG_NS0_5tupleIJSF_S6_EEENSH_IJSG_SG_EEES6_PlJNSB_9not_fun_tINSB_14equal_to_valueItEEEEEEE10hipError_tPvRmT3_T4_T5_T6_T7_T9_mT8_P12ihipStream_tbDpT10_ENKUlT_T0_E_clISt17integral_constantIbLb0EES17_IbLb1EEEEDaS13_S14_EUlS13_E_NS1_11comp_targetILNS1_3genE2ELNS1_11target_archE906ELNS1_3gpuE6ELNS1_3repE0EEENS1_30default_config_static_selectorELNS0_4arch9wavefront6targetE0EEEvT1_.num_named_barrier, 0
	.set _ZN7rocprim17ROCPRIM_400000_NS6detail17trampoline_kernelINS0_14default_configENS1_25partition_config_selectorILNS1_17partition_subalgoE6EtNS0_10empty_typeEbEEZZNS1_14partition_implILS5_6ELb0ES3_mN6thrust23THRUST_200600_302600_NS6detail15normal_iteratorINSA_10device_ptrItEEEEPS6_SG_NS0_5tupleIJSF_S6_EEENSH_IJSG_SG_EEES6_PlJNSB_9not_fun_tINSB_14equal_to_valueItEEEEEEE10hipError_tPvRmT3_T4_T5_T6_T7_T9_mT8_P12ihipStream_tbDpT10_ENKUlT_T0_E_clISt17integral_constantIbLb0EES17_IbLb1EEEEDaS13_S14_EUlS13_E_NS1_11comp_targetILNS1_3genE2ELNS1_11target_archE906ELNS1_3gpuE6ELNS1_3repE0EEENS1_30default_config_static_selectorELNS0_4arch9wavefront6targetE0EEEvT1_.private_seg_size, 0
	.set _ZN7rocprim17ROCPRIM_400000_NS6detail17trampoline_kernelINS0_14default_configENS1_25partition_config_selectorILNS1_17partition_subalgoE6EtNS0_10empty_typeEbEEZZNS1_14partition_implILS5_6ELb0ES3_mN6thrust23THRUST_200600_302600_NS6detail15normal_iteratorINSA_10device_ptrItEEEEPS6_SG_NS0_5tupleIJSF_S6_EEENSH_IJSG_SG_EEES6_PlJNSB_9not_fun_tINSB_14equal_to_valueItEEEEEEE10hipError_tPvRmT3_T4_T5_T6_T7_T9_mT8_P12ihipStream_tbDpT10_ENKUlT_T0_E_clISt17integral_constantIbLb0EES17_IbLb1EEEEDaS13_S14_EUlS13_E_NS1_11comp_targetILNS1_3genE2ELNS1_11target_archE906ELNS1_3gpuE6ELNS1_3repE0EEENS1_30default_config_static_selectorELNS0_4arch9wavefront6targetE0EEEvT1_.uses_vcc, 0
	.set _ZN7rocprim17ROCPRIM_400000_NS6detail17trampoline_kernelINS0_14default_configENS1_25partition_config_selectorILNS1_17partition_subalgoE6EtNS0_10empty_typeEbEEZZNS1_14partition_implILS5_6ELb0ES3_mN6thrust23THRUST_200600_302600_NS6detail15normal_iteratorINSA_10device_ptrItEEEEPS6_SG_NS0_5tupleIJSF_S6_EEENSH_IJSG_SG_EEES6_PlJNSB_9not_fun_tINSB_14equal_to_valueItEEEEEEE10hipError_tPvRmT3_T4_T5_T6_T7_T9_mT8_P12ihipStream_tbDpT10_ENKUlT_T0_E_clISt17integral_constantIbLb0EES17_IbLb1EEEEDaS13_S14_EUlS13_E_NS1_11comp_targetILNS1_3genE2ELNS1_11target_archE906ELNS1_3gpuE6ELNS1_3repE0EEENS1_30default_config_static_selectorELNS0_4arch9wavefront6targetE0EEEvT1_.uses_flat_scratch, 0
	.set _ZN7rocprim17ROCPRIM_400000_NS6detail17trampoline_kernelINS0_14default_configENS1_25partition_config_selectorILNS1_17partition_subalgoE6EtNS0_10empty_typeEbEEZZNS1_14partition_implILS5_6ELb0ES3_mN6thrust23THRUST_200600_302600_NS6detail15normal_iteratorINSA_10device_ptrItEEEEPS6_SG_NS0_5tupleIJSF_S6_EEENSH_IJSG_SG_EEES6_PlJNSB_9not_fun_tINSB_14equal_to_valueItEEEEEEE10hipError_tPvRmT3_T4_T5_T6_T7_T9_mT8_P12ihipStream_tbDpT10_ENKUlT_T0_E_clISt17integral_constantIbLb0EES17_IbLb1EEEEDaS13_S14_EUlS13_E_NS1_11comp_targetILNS1_3genE2ELNS1_11target_archE906ELNS1_3gpuE6ELNS1_3repE0EEENS1_30default_config_static_selectorELNS0_4arch9wavefront6targetE0EEEvT1_.has_dyn_sized_stack, 0
	.set _ZN7rocprim17ROCPRIM_400000_NS6detail17trampoline_kernelINS0_14default_configENS1_25partition_config_selectorILNS1_17partition_subalgoE6EtNS0_10empty_typeEbEEZZNS1_14partition_implILS5_6ELb0ES3_mN6thrust23THRUST_200600_302600_NS6detail15normal_iteratorINSA_10device_ptrItEEEEPS6_SG_NS0_5tupleIJSF_S6_EEENSH_IJSG_SG_EEES6_PlJNSB_9not_fun_tINSB_14equal_to_valueItEEEEEEE10hipError_tPvRmT3_T4_T5_T6_T7_T9_mT8_P12ihipStream_tbDpT10_ENKUlT_T0_E_clISt17integral_constantIbLb0EES17_IbLb1EEEEDaS13_S14_EUlS13_E_NS1_11comp_targetILNS1_3genE2ELNS1_11target_archE906ELNS1_3gpuE6ELNS1_3repE0EEENS1_30default_config_static_selectorELNS0_4arch9wavefront6targetE0EEEvT1_.has_recursion, 0
	.set _ZN7rocprim17ROCPRIM_400000_NS6detail17trampoline_kernelINS0_14default_configENS1_25partition_config_selectorILNS1_17partition_subalgoE6EtNS0_10empty_typeEbEEZZNS1_14partition_implILS5_6ELb0ES3_mN6thrust23THRUST_200600_302600_NS6detail15normal_iteratorINSA_10device_ptrItEEEEPS6_SG_NS0_5tupleIJSF_S6_EEENSH_IJSG_SG_EEES6_PlJNSB_9not_fun_tINSB_14equal_to_valueItEEEEEEE10hipError_tPvRmT3_T4_T5_T6_T7_T9_mT8_P12ihipStream_tbDpT10_ENKUlT_T0_E_clISt17integral_constantIbLb0EES17_IbLb1EEEEDaS13_S14_EUlS13_E_NS1_11comp_targetILNS1_3genE2ELNS1_11target_archE906ELNS1_3gpuE6ELNS1_3repE0EEENS1_30default_config_static_selectorELNS0_4arch9wavefront6targetE0EEEvT1_.has_indirect_call, 0
	.section	.AMDGPU.csdata,"",@progbits
; Kernel info:
; codeLenInByte = 0
; TotalNumSgprs: 0
; NumVgprs: 0
; ScratchSize: 0
; MemoryBound: 0
; FloatMode: 240
; IeeeMode: 1
; LDSByteSize: 0 bytes/workgroup (compile time only)
; SGPRBlocks: 0
; VGPRBlocks: 0
; NumSGPRsForWavesPerEU: 1
; NumVGPRsForWavesPerEU: 1
; Occupancy: 16
; WaveLimiterHint : 0
; COMPUTE_PGM_RSRC2:SCRATCH_EN: 0
; COMPUTE_PGM_RSRC2:USER_SGPR: 2
; COMPUTE_PGM_RSRC2:TRAP_HANDLER: 0
; COMPUTE_PGM_RSRC2:TGID_X_EN: 1
; COMPUTE_PGM_RSRC2:TGID_Y_EN: 0
; COMPUTE_PGM_RSRC2:TGID_Z_EN: 0
; COMPUTE_PGM_RSRC2:TIDIG_COMP_CNT: 0
	.section	.text._ZN7rocprim17ROCPRIM_400000_NS6detail17trampoline_kernelINS0_14default_configENS1_25partition_config_selectorILNS1_17partition_subalgoE6EtNS0_10empty_typeEbEEZZNS1_14partition_implILS5_6ELb0ES3_mN6thrust23THRUST_200600_302600_NS6detail15normal_iteratorINSA_10device_ptrItEEEEPS6_SG_NS0_5tupleIJSF_S6_EEENSH_IJSG_SG_EEES6_PlJNSB_9not_fun_tINSB_14equal_to_valueItEEEEEEE10hipError_tPvRmT3_T4_T5_T6_T7_T9_mT8_P12ihipStream_tbDpT10_ENKUlT_T0_E_clISt17integral_constantIbLb0EES17_IbLb1EEEEDaS13_S14_EUlS13_E_NS1_11comp_targetILNS1_3genE10ELNS1_11target_archE1200ELNS1_3gpuE4ELNS1_3repE0EEENS1_30default_config_static_selectorELNS0_4arch9wavefront6targetE0EEEvT1_,"axG",@progbits,_ZN7rocprim17ROCPRIM_400000_NS6detail17trampoline_kernelINS0_14default_configENS1_25partition_config_selectorILNS1_17partition_subalgoE6EtNS0_10empty_typeEbEEZZNS1_14partition_implILS5_6ELb0ES3_mN6thrust23THRUST_200600_302600_NS6detail15normal_iteratorINSA_10device_ptrItEEEEPS6_SG_NS0_5tupleIJSF_S6_EEENSH_IJSG_SG_EEES6_PlJNSB_9not_fun_tINSB_14equal_to_valueItEEEEEEE10hipError_tPvRmT3_T4_T5_T6_T7_T9_mT8_P12ihipStream_tbDpT10_ENKUlT_T0_E_clISt17integral_constantIbLb0EES17_IbLb1EEEEDaS13_S14_EUlS13_E_NS1_11comp_targetILNS1_3genE10ELNS1_11target_archE1200ELNS1_3gpuE4ELNS1_3repE0EEENS1_30default_config_static_selectorELNS0_4arch9wavefront6targetE0EEEvT1_,comdat
	.protected	_ZN7rocprim17ROCPRIM_400000_NS6detail17trampoline_kernelINS0_14default_configENS1_25partition_config_selectorILNS1_17partition_subalgoE6EtNS0_10empty_typeEbEEZZNS1_14partition_implILS5_6ELb0ES3_mN6thrust23THRUST_200600_302600_NS6detail15normal_iteratorINSA_10device_ptrItEEEEPS6_SG_NS0_5tupleIJSF_S6_EEENSH_IJSG_SG_EEES6_PlJNSB_9not_fun_tINSB_14equal_to_valueItEEEEEEE10hipError_tPvRmT3_T4_T5_T6_T7_T9_mT8_P12ihipStream_tbDpT10_ENKUlT_T0_E_clISt17integral_constantIbLb0EES17_IbLb1EEEEDaS13_S14_EUlS13_E_NS1_11comp_targetILNS1_3genE10ELNS1_11target_archE1200ELNS1_3gpuE4ELNS1_3repE0EEENS1_30default_config_static_selectorELNS0_4arch9wavefront6targetE0EEEvT1_ ; -- Begin function _ZN7rocprim17ROCPRIM_400000_NS6detail17trampoline_kernelINS0_14default_configENS1_25partition_config_selectorILNS1_17partition_subalgoE6EtNS0_10empty_typeEbEEZZNS1_14partition_implILS5_6ELb0ES3_mN6thrust23THRUST_200600_302600_NS6detail15normal_iteratorINSA_10device_ptrItEEEEPS6_SG_NS0_5tupleIJSF_S6_EEENSH_IJSG_SG_EEES6_PlJNSB_9not_fun_tINSB_14equal_to_valueItEEEEEEE10hipError_tPvRmT3_T4_T5_T6_T7_T9_mT8_P12ihipStream_tbDpT10_ENKUlT_T0_E_clISt17integral_constantIbLb0EES17_IbLb1EEEEDaS13_S14_EUlS13_E_NS1_11comp_targetILNS1_3genE10ELNS1_11target_archE1200ELNS1_3gpuE4ELNS1_3repE0EEENS1_30default_config_static_selectorELNS0_4arch9wavefront6targetE0EEEvT1_
	.globl	_ZN7rocprim17ROCPRIM_400000_NS6detail17trampoline_kernelINS0_14default_configENS1_25partition_config_selectorILNS1_17partition_subalgoE6EtNS0_10empty_typeEbEEZZNS1_14partition_implILS5_6ELb0ES3_mN6thrust23THRUST_200600_302600_NS6detail15normal_iteratorINSA_10device_ptrItEEEEPS6_SG_NS0_5tupleIJSF_S6_EEENSH_IJSG_SG_EEES6_PlJNSB_9not_fun_tINSB_14equal_to_valueItEEEEEEE10hipError_tPvRmT3_T4_T5_T6_T7_T9_mT8_P12ihipStream_tbDpT10_ENKUlT_T0_E_clISt17integral_constantIbLb0EES17_IbLb1EEEEDaS13_S14_EUlS13_E_NS1_11comp_targetILNS1_3genE10ELNS1_11target_archE1200ELNS1_3gpuE4ELNS1_3repE0EEENS1_30default_config_static_selectorELNS0_4arch9wavefront6targetE0EEEvT1_
	.p2align	8
	.type	_ZN7rocprim17ROCPRIM_400000_NS6detail17trampoline_kernelINS0_14default_configENS1_25partition_config_selectorILNS1_17partition_subalgoE6EtNS0_10empty_typeEbEEZZNS1_14partition_implILS5_6ELb0ES3_mN6thrust23THRUST_200600_302600_NS6detail15normal_iteratorINSA_10device_ptrItEEEEPS6_SG_NS0_5tupleIJSF_S6_EEENSH_IJSG_SG_EEES6_PlJNSB_9not_fun_tINSB_14equal_to_valueItEEEEEEE10hipError_tPvRmT3_T4_T5_T6_T7_T9_mT8_P12ihipStream_tbDpT10_ENKUlT_T0_E_clISt17integral_constantIbLb0EES17_IbLb1EEEEDaS13_S14_EUlS13_E_NS1_11comp_targetILNS1_3genE10ELNS1_11target_archE1200ELNS1_3gpuE4ELNS1_3repE0EEENS1_30default_config_static_selectorELNS0_4arch9wavefront6targetE0EEEvT1_,@function
_ZN7rocprim17ROCPRIM_400000_NS6detail17trampoline_kernelINS0_14default_configENS1_25partition_config_selectorILNS1_17partition_subalgoE6EtNS0_10empty_typeEbEEZZNS1_14partition_implILS5_6ELb0ES3_mN6thrust23THRUST_200600_302600_NS6detail15normal_iteratorINSA_10device_ptrItEEEEPS6_SG_NS0_5tupleIJSF_S6_EEENSH_IJSG_SG_EEES6_PlJNSB_9not_fun_tINSB_14equal_to_valueItEEEEEEE10hipError_tPvRmT3_T4_T5_T6_T7_T9_mT8_P12ihipStream_tbDpT10_ENKUlT_T0_E_clISt17integral_constantIbLb0EES17_IbLb1EEEEDaS13_S14_EUlS13_E_NS1_11comp_targetILNS1_3genE10ELNS1_11target_archE1200ELNS1_3gpuE4ELNS1_3repE0EEENS1_30default_config_static_selectorELNS0_4arch9wavefront6targetE0EEEvT1_: ; @_ZN7rocprim17ROCPRIM_400000_NS6detail17trampoline_kernelINS0_14default_configENS1_25partition_config_selectorILNS1_17partition_subalgoE6EtNS0_10empty_typeEbEEZZNS1_14partition_implILS5_6ELb0ES3_mN6thrust23THRUST_200600_302600_NS6detail15normal_iteratorINSA_10device_ptrItEEEEPS6_SG_NS0_5tupleIJSF_S6_EEENSH_IJSG_SG_EEES6_PlJNSB_9not_fun_tINSB_14equal_to_valueItEEEEEEE10hipError_tPvRmT3_T4_T5_T6_T7_T9_mT8_P12ihipStream_tbDpT10_ENKUlT_T0_E_clISt17integral_constantIbLb0EES17_IbLb1EEEEDaS13_S14_EUlS13_E_NS1_11comp_targetILNS1_3genE10ELNS1_11target_archE1200ELNS1_3gpuE4ELNS1_3repE0EEENS1_30default_config_static_selectorELNS0_4arch9wavefront6targetE0EEEvT1_
; %bb.0:
	s_clause 0x3
	s_load_b64 s[24:25], s[0:1], 0x28
	s_load_b128 s[20:23], s[0:1], 0x40
	s_load_b64 s[8:9], s[0:1], 0x50
	s_load_b64 s[26:27], s[0:1], 0x60
	v_cmp_eq_u32_e64 s2, 0, v0
	s_and_saveexec_b32 s3, s2
	s_cbranch_execz .LBB434_4
; %bb.1:
	s_mov_b32 s5, exec_lo
	s_mov_b32 s4, exec_lo
	v_mbcnt_lo_u32_b32 v1, s5, 0
                                        ; implicit-def: $vgpr2
	s_delay_alu instid0(VALU_DEP_1)
	v_cmpx_eq_u32_e32 0, v1
	s_cbranch_execz .LBB434_3
; %bb.2:
	s_load_b64 s[6:7], s[0:1], 0x70
	s_bcnt1_i32_b32 s5, s5
	s_wait_alu 0xfffe
	v_dual_mov_b32 v2, 0 :: v_dual_mov_b32 v3, s5
	s_wait_kmcnt 0x0
	global_atomic_add_u32 v2, v2, v3, s[6:7] th:TH_ATOMIC_RETURN scope:SCOPE_DEV
.LBB434_3:
	s_or_b32 exec_lo, exec_lo, s4
	s_wait_loadcnt 0x0
	v_readfirstlane_b32 s4, v2
	s_wait_alu 0xf1ff
	s_delay_alu instid0(VALU_DEP_1)
	v_dual_mov_b32 v2, 0 :: v_dual_add_nc_u32 v1, s4, v1
	ds_store_b32 v2, v1
.LBB434_4:
	s_or_b32 exec_lo, exec_lo, s3
	v_dual_mov_b32 v2, 0 :: v_dual_lshlrev_b32 v19, 1, v0
	s_clause 0x2
	s_load_b128 s[4:7], s[0:1], 0x8
	s_load_b32 s3, s[0:1], 0x68
	s_load_b32 s29, s[0:1], 0x78
	s_wait_dscnt 0x0
	s_barrier_signal -1
	s_barrier_wait -1
	global_inv scope:SCOPE_SE
	ds_load_b32 v1, v2
	s_wait_loadcnt_dscnt 0x0
	s_barrier_signal -1
	s_barrier_wait -1
	global_inv scope:SCOPE_SE
	s_wait_kmcnt 0x0
	global_load_b64 v[17:18], v2, s[22:23]
	s_mov_b32 s11, 0
	s_lshl_b64 s[0:1], s[6:7], 1
	s_mul_i32 s10, s3, 0x1b00
	s_add_co_i32 s12, s3, -1
	s_add_co_i32 s3, s10, s6
	s_add_nc_u64 s[6:7], s[6:7], s[10:11]
	s_sub_co_i32 s30, s8, s3
	v_cmp_le_u64_e64 s3, s[8:9], s[6:7]
	v_readfirstlane_b32 s28, v1
	v_mul_lo_u32 v1, 0x1b00, v1
	s_add_nc_u64 s[0:1], s[4:5], s[0:1]
	s_cmp_eq_u32 s28, s12
	s_cselect_b32 s19, -1, 0
	s_delay_alu instid0(VALU_DEP_1) | instskip(SKIP_1) | instid1(SALU_CYCLE_1)
	v_lshlrev_b64_e32 v[1:2], 1, v[1:2]
	s_and_b32 s3, s3, s19
	s_xor_b32 s22, s3, -1
	s_delay_alu instid0(VALU_DEP_1) | instskip(NEXT) | instid1(VALU_DEP_1)
	v_add_co_u32 v20, vcc_lo, s0, v1
	v_add_co_ci_u32_e64 v21, null, s1, v2, vcc_lo
	s_and_b32 vcc_lo, exec_lo, s22
	s_mov_b32 s0, -1
	s_wait_alu 0xfffe
	s_cbranch_vccz .LBB434_6
; %bb.5:
	v_add_co_u32 v1, vcc_lo, v20, v19
	s_wait_alu 0xfffd
	v_add_co_ci_u32_e64 v2, null, 0, v21, vcc_lo
	s_mov_b32 s0, 0
	s_clause 0x11
	flat_load_u16 v3, v[1:2]
	flat_load_u16 v4, v[1:2] offset:768
	flat_load_u16 v5, v[1:2] offset:1536
	;; [unrolled: 1-line block ×17, first 2 shown]
	s_wait_loadcnt_dscnt 0x1111
	ds_store_b16 v19, v3
	s_wait_loadcnt_dscnt 0x1011
	ds_store_b16 v19, v4 offset:768
	s_wait_loadcnt_dscnt 0xf11
	ds_store_b16 v19, v5 offset:1536
	;; [unrolled: 2-line block ×17, first 2 shown]
	s_wait_dscnt 0x0
	s_barrier_signal -1
	s_barrier_wait -1
.LBB434_6:
	s_wait_alu 0xfffe
	s_and_not1_b32 vcc_lo, exec_lo, s0
	s_addk_co_i32 s30, 0x1b00
	s_wait_alu 0xfffe
	s_cbranch_vccnz .LBB434_44
; %bb.7:
	v_mov_b32_e32 v1, 0
	s_mov_b32 s0, exec_lo
	s_delay_alu instid0(VALU_DEP_1)
	v_dual_mov_b32 v2, v1 :: v_dual_mov_b32 v3, v1
	v_dual_mov_b32 v4, v1 :: v_dual_mov_b32 v5, v1
	;; [unrolled: 1-line block ×4, first 2 shown]
	v_cmpx_gt_u32_e64 s30, v0
	s_cbranch_execz .LBB434_9
; %bb.8:
	v_add_co_u32 v3, vcc_lo, v20, v19
	s_wait_alu 0xfffd
	v_add_co_ci_u32_e64 v4, null, 0, v21, vcc_lo
	v_mov_b32_e32 v2, v1
	v_dual_mov_b32 v6, v1 :: v_dual_mov_b32 v7, v1
	v_dual_mov_b32 v5, v1 :: v_dual_mov_b32 v8, v1
	v_mov_b32_e32 v9, v1
	flat_load_d16_b16 v2, v[3:4]
	v_dual_mov_b32 v3, v1 :: v_dual_mov_b32 v4, v1
	v_mov_b32_e32 v10, v1
	s_wait_loadcnt_dscnt 0x0
	v_mov_b32_e32 v1, v2
	s_delay_alu instid0(VALU_DEP_3)
	v_mov_b32_e32 v2, v3
	v_mov_b32_e32 v3, v4
	;; [unrolled: 1-line block ×15, first 2 shown]
.LBB434_9:
	s_wait_alu 0xfffe
	s_or_b32 exec_lo, exec_lo, s0
	v_add_nc_u32_e32 v10, 0x180, v0
	s_mov_b32 s0, exec_lo
	s_delay_alu instid0(VALU_DEP_1)
	v_cmpx_gt_u32_e64 s30, v10
	s_cbranch_execz .LBB434_11
; %bb.10:
	v_add_co_u32 v10, vcc_lo, v20, v19
	s_wait_alu 0xfffd
	v_add_co_ci_u32_e64 v11, null, 0, v21, vcc_lo
	flat_load_d16_hi_b16 v1, v[10:11] offset:768
.LBB434_11:
	s_wait_alu 0xfffe
	s_or_b32 exec_lo, exec_lo, s0
	v_add_nc_u32_e32 v10, 0x300, v0
	s_mov_b32 s0, exec_lo
	s_delay_alu instid0(VALU_DEP_1)
	v_cmpx_gt_u32_e64 s30, v10
	s_cbranch_execz .LBB434_13
; %bb.12:
	v_add_co_u32 v10, vcc_lo, v20, v19
	s_wait_alu 0xfffd
	v_add_co_ci_u32_e64 v11, null, 0, v21, vcc_lo
	flat_load_d16_b16 v2, v[10:11] offset:1536
.LBB434_13:
	s_wait_alu 0xfffe
	s_or_b32 exec_lo, exec_lo, s0
	v_add_nc_u32_e32 v10, 0x480, v0
	s_mov_b32 s0, exec_lo
	s_delay_alu instid0(VALU_DEP_1)
	v_cmpx_gt_u32_e64 s30, v10
	s_cbranch_execz .LBB434_15
; %bb.14:
	v_add_co_u32 v10, vcc_lo, v20, v19
	s_wait_alu 0xfffd
	v_add_co_ci_u32_e64 v11, null, 0, v21, vcc_lo
	s_wait_loadcnt_dscnt 0x0
	flat_load_d16_hi_b16 v2, v[10:11] offset:2304
.LBB434_15:
	s_wait_alu 0xfffe
	s_or_b32 exec_lo, exec_lo, s0
	v_or_b32_e32 v10, 0x600, v0
	s_mov_b32 s0, exec_lo
	s_delay_alu instid0(VALU_DEP_1)
	v_cmpx_gt_u32_e64 s30, v10
	s_cbranch_execz .LBB434_17
; %bb.16:
	v_add_co_u32 v10, vcc_lo, v20, v19
	s_wait_alu 0xfffd
	v_add_co_ci_u32_e64 v11, null, 0, v21, vcc_lo
	flat_load_d16_b16 v3, v[10:11] offset:3072
.LBB434_17:
	s_wait_alu 0xfffe
	s_or_b32 exec_lo, exec_lo, s0
	v_add_nc_u32_e32 v10, 0x780, v0
	s_mov_b32 s0, exec_lo
	s_delay_alu instid0(VALU_DEP_1)
	v_cmpx_gt_u32_e64 s30, v10
	s_cbranch_execz .LBB434_19
; %bb.18:
	v_add_co_u32 v10, vcc_lo, v20, v19
	s_wait_alu 0xfffd
	v_add_co_ci_u32_e64 v11, null, 0, v21, vcc_lo
	s_wait_loadcnt_dscnt 0x0
	flat_load_d16_hi_b16 v3, v[10:11] offset:3840
.LBB434_19:
	s_wait_alu 0xfffe
	s_or_b32 exec_lo, exec_lo, s0
	v_add_nc_u32_e32 v10, 0x900, v0
	s_mov_b32 s0, exec_lo
	s_delay_alu instid0(VALU_DEP_1)
	v_cmpx_gt_u32_e64 s30, v10
	s_cbranch_execz .LBB434_21
; %bb.20:
	v_add_co_u32 v10, vcc_lo, v20, v19
	s_wait_alu 0xfffd
	v_add_co_ci_u32_e64 v11, null, 0, v21, vcc_lo
	flat_load_d16_b16 v4, v[10:11] offset:4608
.LBB434_21:
	s_wait_alu 0xfffe
	s_or_b32 exec_lo, exec_lo, s0
	v_add_nc_u32_e32 v10, 0xa80, v0
	s_mov_b32 s0, exec_lo
	s_delay_alu instid0(VALU_DEP_1)
	v_cmpx_gt_u32_e64 s30, v10
	s_cbranch_execz .LBB434_23
; %bb.22:
	v_add_co_u32 v10, vcc_lo, v20, v19
	s_wait_alu 0xfffd
	v_add_co_ci_u32_e64 v11, null, 0, v21, vcc_lo
	s_wait_loadcnt_dscnt 0x0
	flat_load_d16_hi_b16 v4, v[10:11] offset:5376
.LBB434_23:
	s_wait_alu 0xfffe
	s_or_b32 exec_lo, exec_lo, s0
	v_or_b32_e32 v10, 0xc00, v0
	s_mov_b32 s0, exec_lo
	s_delay_alu instid0(VALU_DEP_1)
	v_cmpx_gt_u32_e64 s30, v10
	s_cbranch_execz .LBB434_25
; %bb.24:
	v_add_co_u32 v10, vcc_lo, v20, v19
	s_wait_alu 0xfffd
	v_add_co_ci_u32_e64 v11, null, 0, v21, vcc_lo
	flat_load_d16_b16 v5, v[10:11] offset:6144
.LBB434_25:
	s_wait_alu 0xfffe
	s_or_b32 exec_lo, exec_lo, s0
	v_add_nc_u32_e32 v10, 0xd80, v0
	s_mov_b32 s0, exec_lo
	s_delay_alu instid0(VALU_DEP_1)
	v_cmpx_gt_u32_e64 s30, v10
	s_cbranch_execz .LBB434_27
; %bb.26:
	v_add_co_u32 v10, vcc_lo, v20, v19
	s_wait_alu 0xfffd
	v_add_co_ci_u32_e64 v11, null, 0, v21, vcc_lo
	s_wait_loadcnt_dscnt 0x0
	flat_load_d16_hi_b16 v5, v[10:11] offset:6912
.LBB434_27:
	;; [unrolled: 54-line block ×4, first 2 shown]
	s_wait_alu 0xfffe
	s_or_b32 exec_lo, exec_lo, s0
	s_wait_loadcnt_dscnt 0x0
	ds_store_b16 v19, v1
	ds_store_b16_d16_hi v19, v1 offset:768
	ds_store_b16 v19, v2 offset:1536
	ds_store_b16_d16_hi v19, v2 offset:2304
	ds_store_b16 v19, v3 offset:3072
	;; [unrolled: 2-line block ×8, first 2 shown]
	ds_store_b16_d16_hi v19, v9 offset:13056
	s_wait_dscnt 0x0
	s_barrier_signal -1
	s_barrier_wait -1
.LBB434_44:
	v_mul_u32_u24_e32 v5, 18, v0
	s_wait_loadcnt 0x0
	global_inv scope:SCOPE_SE
	s_and_not1_b32 vcc_lo, exec_lo, s22
	v_lshlrev_b32_e32 v6, 1, v5
	ds_load_u16 v55, v6 offset:4
	ds_load_u16 v16, v6 offset:34
	ds_load_b32 v56, v6
	ds_load_b128 v[1:4], v6 offset:6
	ds_load_b96 v[13:15], v6 offset:22
	s_wait_loadcnt_dscnt 0x0
	s_barrier_signal -1
	s_barrier_wait -1
	global_inv scope:SCOPE_SE
	v_cmp_ne_u16_e64 s0, s29, v55
	v_cmp_ne_u16_e64 s23, s29, v16
	v_cmp_ne_u16_e64 s1, s29, v56
	v_lshrrev_b32_e32 v19, 16, v56
	v_cmp_ne_u16_e64 s7, s29, v1
	v_lshrrev_b32_e32 v12, 16, v1
	v_cmp_ne_u16_e64 s9, s29, v2
	;; [unrolled: 2-line block ×7, first 2 shown]
	v_lshrrev_b32_e32 v6, 16, v15
	s_wait_alu 0xfffe
	s_cbranch_vccnz .LBB434_46
; %bb.45:
	v_cmp_ne_u16_e32 vcc_lo, s29, v19
	s_wait_alu 0xf1ff
	v_cndmask_b32_e64 v22, 0, 1, s7
	v_cndmask_b32_e64 v21, 0, 1, s9
	;; [unrolled: 1-line block ×4, first 2 shown]
	s_wait_alu 0xfffd
	v_cndmask_b32_e64 v20, 0, 1, vcc_lo
	v_lshlrev_b16 v22, 8, v22
	v_cmp_ne_u16_e32 vcc_lo, s29, v12
	v_lshlrev_b16 v21, 8, v21
	v_cndmask_b32_e64 v24, 0, 1, s6
	v_lshlrev_b16 v20, 8, v20
	v_lshrrev_b32_e32 v22, 8, v22
	s_wait_alu 0xfffd
	v_cndmask_b32_e64 v30, 0, 1, vcc_lo
	v_cmp_ne_u16_e32 vcc_lo, s29, v11
	v_lshrrev_b32_e32 v21, 8, v21
	v_lshrrev_b32_e32 v20, 8, v20
	v_lshlrev_b16 v22, 8, v22
	v_cndmask_b32_e64 v25, 0, 1, s5
	v_cndmask_b32_e64 v26, 0, 1, s3
	v_lshlrev_b16 v21, 8, v21
	v_lshlrev_b16 v20, 8, v20
	v_or_b32_e32 v22, v29, v22
	v_lshlrev_b16 v24, 8, v24
	v_lshlrev_b16 v25, 8, v25
	;; [unrolled: 1-line block ×3, first 2 shown]
	v_or_b32_e32 v20, v28, v20
	s_wait_alu 0xfffd
	v_cndmask_b32_e64 v28, 0, 1, vcc_lo
	v_cmp_ne_u16_e32 vcc_lo, s29, v10
	v_or_b32_e32 v21, v30, v21
	v_cndmask_b32_e64 v23, 0, 1, s8
	v_cndmask_b32_e64 v27, 0, 1, s4
	v_lshrrev_b32_e32 v26, 8, v26
	s_wait_alu 0xfffd
	v_cndmask_b32_e64 v29, 0, 1, vcc_lo
	v_cmp_ne_u16_e32 vcc_lo, s29, v9
	v_lshrrev_b32_e32 v24, 8, v24
	v_lshrrev_b32_e32 v25, 8, v25
	v_lshlrev_b16 v23, 8, v23
	v_lshlrev_b16 v27, 8, v27
	s_wait_alu 0xfffd
	v_cndmask_b32_e64 v30, 0, 1, vcc_lo
	v_cmp_ne_u16_e32 vcc_lo, s29, v8
	v_lshlrev_b16 v24, 8, v24
	v_lshlrev_b16 v25, 8, v25
	;; [unrolled: 1-line block ×3, first 2 shown]
	v_or_b32_e32 v23, v28, v23
	s_wait_alu 0xfffd
	v_cndmask_b32_e64 v31, 0, 1, vcc_lo
	v_cmp_ne_u16_e32 vcc_lo, s29, v7
	v_or_b32_e32 v24, v29, v24
	v_or_b32_e32 v25, v30, v25
	v_and_b32_e32 v20, 0xffff, v20
	v_or_b32_e32 v26, v31, v26
	s_wait_alu 0xfffd
	v_cndmask_b32_e64 v32, 0, 1, vcc_lo
	v_lshlrev_b32_e32 v22, 16, v22
	v_and_b32_e32 v21, 0xffff, v21
	v_lshlrev_b32_e32 v23, 16, v23
	v_and_b32_e32 v24, 0xffff, v24
	v_or_b32_e32 v27, v32, v27
	v_lshlrev_b32_e32 v25, 16, v25
	v_and_b32_e32 v26, 0xffff, v26
	v_cmp_ne_u16_e32 vcc_lo, s29, v6
	v_or_b32_e32 v53, v20, v22
	v_lshlrev_b32_e32 v27, 16, v27
	v_or_b32_e32 v61, v21, v23
	v_or_b32_e32 v59, v24, v25
	s_wait_alu 0xfffd
	v_cndmask_b32_e64 v57, 0, 1, vcc_lo
	v_or_b32_e32 v58, v26, v27
	s_cbranch_execz .LBB434_47
	s_branch .LBB434_48
.LBB434_46:
                                        ; implicit-def: $sgpr23
                                        ; implicit-def: $vgpr57
                                        ; implicit-def: $vgpr58
                                        ; implicit-def: $vgpr59
                                        ; implicit-def: $vgpr61
                                        ; implicit-def: $vgpr53
.LBB434_47:
	v_or_b32_e32 v20, 1, v5
	v_cmp_ne_u16_e32 vcc_lo, s29, v19
	v_add_nc_u32_e32 v21, 3, v5
	v_add_nc_u32_e32 v19, 2, v5
	v_cmp_ne_u16_e64 s8, s29, v2
	v_cmp_gt_u32_e64 s3, s30, v20
	v_add_nc_u32_e32 v20, 4, v5
	v_cmp_gt_u32_e64 s6, s30, v21
	v_cmp_gt_u32_e64 s5, s30, v19
	v_add_nc_u32_e32 v19, 7, v5
	s_and_b32 s3, s3, vcc_lo
	v_cmp_ne_u16_e32 vcc_lo, s29, v1
	v_cmp_gt_u32_e64 s7, s30, v20
	v_add_nc_u32_e32 v20, 5, v5
	s_wait_alu 0xfffe
	v_cndmask_b32_e64 v22, 0, 1, s3
	v_cmp_ne_u16_e64 s3, s29, v12
	s_and_b32 s6, s6, vcc_lo
	v_cmp_ne_u16_e32 vcc_lo, s29, v3
	s_wait_alu 0xfffe
	v_cndmask_b32_e64 v21, 0, 1, s6
	v_cmp_gt_u32_e64 s6, s30, v19
	v_cmp_gt_u32_e64 s9, s30, v20
	v_lshlrev_b16 v12, 8, v22
	v_add_nc_u32_e32 v20, 6, v5
	v_lshlrev_b16 v19, 8, v21
	s_and_b32 s6, s6, vcc_lo
	v_cmp_ne_u16_e32 vcc_lo, s29, v11
	s_wait_alu 0xfffe
	v_cndmask_b32_e64 v21, 0, 1, s6
	s_and_b32 s6, s9, s8
	v_add_nc_u32_e32 v11, 8, v5
	s_wait_alu 0xfffe
	v_cndmask_b32_e64 v22, 0, 1, s6
	v_cmp_gt_u32_e64 s6, s30, v20
	v_lshlrev_b16 v20, 8, v21
	v_cmp_ne_u16_e64 s8, s29, v10
	v_cmp_gt_u32_e64 s9, s30, v11
	v_lshlrev_b16 v21, 8, v22
	v_add_nc_u32_e32 v10, 9, v5
	v_lshrrev_b32_e32 v11, 8, v20
	v_cmp_ne_u16_e64 s10, s29, v4
	v_cmp_ne_u16_e64 s13, s29, v13
	v_lshrrev_b32_e32 v20, 8, v21
	v_add_nc_u32_e32 v21, 11, v5
	v_cmp_gt_u32_e64 s11, s30, v10
	v_add_nc_u32_e32 v10, 10, v5
	v_cmp_ne_u16_e64 s12, s29, v9
	v_cmp_ne_u16_e64 s16, s29, v15
	v_cmp_gt_u32_e64 s14, s30, v21
	s_and_b32 s10, s11, s10
	v_cmp_ne_u16_e64 s0, s29, v56
	v_cndmask_b32_e64 v9, 0, 1, s10
	v_cmp_gt_u32_e64 s10, s30, v10
	s_and_b32 s11, s14, s13
	v_add_nc_u32_e32 v10, 12, v5
	s_wait_alu 0xfffe
	v_cndmask_b32_e64 v21, 0, 1, s11
	v_cmp_ne_u16_e64 s11, s29, v8
	v_add_nc_u32_e32 v8, 13, v5
	v_cmp_ne_u16_e64 s14, s29, v14
	v_cmp_gt_u32_e64 s13, s30, v10
	v_lshlrev_b16 v10, 8, v21
	v_add_nc_u32_e32 v21, 15, v5
	v_cmp_gt_u32_e64 s15, s30, v8
	v_cmp_gt_u32_e64 s1, s30, v5
	v_cmp_ne_u16_e64 s4, s29, v55
	v_cmp_ne_u16_e64 s18, s29, v7
	v_cmp_gt_u32_e64 s17, s30, v21
	s_and_b32 s14, s15, s14
	v_add_nc_u32_e32 v7, 16, v5
	v_cndmask_b32_e64 v8, 0, 1, s14
	s_and_b32 s0, s1, s0
	s_and_b32 s14, s17, s16
	v_add_nc_u32_e32 v22, 14, v5
	s_wait_alu 0xfffe
	v_cndmask_b32_e64 v21, 0, 1, s14
	v_cmp_ne_u16_e64 s14, s29, v6
	v_lshlrev_b16 v6, 8, v8
	v_lshrrev_b32_e32 v8, 8, v12
	v_lshrrev_b32_e32 v12, 8, v19
	v_cndmask_b32_e64 v19, 0, 1, s0
	s_and_b32 s0, s5, s4
	v_cmp_gt_u32_e64 s15, s30, v7
	v_lshlrev_b16 v7, 8, v21
	s_wait_alu 0xfffe
	v_cndmask_b32_e64 v21, 0, 1, s0
	s_and_b32 s0, s7, s3
	v_cmp_gt_u32_e64 s16, s30, v22
	v_lshlrev_b16 v8, 8, v8
	v_lshlrev_b16 v12, 8, v12
	;; [unrolled: 1-line block ×3, first 2 shown]
	s_wait_alu 0xfffe
	v_cndmask_b32_e64 v22, 0, 1, s0
	v_add_nc_u32_e32 v5, 17, v5
	v_or_b32_e32 v8, v19, v8
	v_or_b32_e32 v12, v21, v12
	v_lshlrev_b16 v9, 8, v9
	v_or_b32_e32 v19, v22, v20
	s_and_b32 s3, s6, vcc_lo
	v_cmp_gt_u32_e64 s0, s30, v5
	v_and_b32_e32 v5, 0xffff, v8
	v_lshlrev_b32_e32 v8, 16, v12
	v_and_b32_e32 v12, 0xffff, v19
	s_wait_alu 0xfffe
	v_cndmask_b32_e64 v19, 0, 1, s3
	s_and_b32 s3, s9, s8
	v_lshrrev_b32_e32 v7, 8, v7
	s_wait_alu 0xfffe
	v_cndmask_b32_e64 v20, 0, 1, s3
	s_and_b32 s3, s10, s12
	v_lshrrev_b32_e32 v6, 8, v6
	v_lshrrev_b32_e32 v9, 8, v9
	;; [unrolled: 1-line block ×3, first 2 shown]
	s_wait_alu 0xfffe
	v_cndmask_b32_e64 v21, 0, 1, s3
	s_and_b32 s3, s13, s11
	v_lshlrev_b16 v11, 8, v11
	s_wait_alu 0xfffe
	v_cndmask_b32_e64 v22, 0, 1, s3
	s_and_b32 s3, s16, s18
	v_lshlrev_b16 v9, 8, v9
	v_lshlrev_b16 v10, 8, v10
	;; [unrolled: 1-line block ×4, first 2 shown]
	s_wait_alu 0xfffe
	v_cndmask_b32_e64 v23, 0, 1, s3
	v_or_b32_e32 v11, v19, v11
	v_or_b32_e32 v9, v20, v9
	;; [unrolled: 1-line block ×5, first 2 shown]
	v_cmp_ne_u16_e64 s1, s29, v16
	v_lshlrev_b32_e32 v11, 16, v11
	v_and_b32_e32 v9, 0xffff, v9
	v_lshlrev_b32_e32 v10, 16, v10
	v_and_b32_e32 v6, 0xffff, v6
	v_lshlrev_b32_e32 v7, 16, v7
	s_and_b32 s14, s15, s14
	s_and_b32 s0, s0, s1
	s_wait_alu 0xfffe
	v_cndmask_b32_e64 v57, 0, 1, s14
	v_or_b32_e32 v53, v5, v8
	v_or_b32_e32 v61, v12, v11
	;; [unrolled: 1-line block ×4, first 2 shown]
	s_and_not1_b32 s1, s23, exec_lo
	s_and_b32 s0, s0, exec_lo
	s_wait_alu 0xfffe
	s_or_b32 s23, s1, s0
.LBB434_48:
	v_and_b32_e32 v28, 0xff, v53
	v_bfe_u32 v27, v53, 8, 8
	v_cndmask_b32_e64 v5, 0, 1, s23
	v_bfe_u32 v35, v53, 16, 8
	v_lshrrev_b32_e32 v64, 24, v53
	v_and_b32_e32 v34, 0xff, v61
	v_bfe_u32 v33, v61, 8, 8
	v_add3_u32 v5, v28, v5, v27
	v_bfe_u32 v32, v61, 16, 8
	v_lshrrev_b32_e32 v63, 24, v61
	v_dual_mov_b32 v6, 0 :: v_dual_and_b32 v31, 0xff, v59
	s_delay_alu instid0(VALU_DEP_4) | instskip(SKIP_3) | instid1(VALU_DEP_3)
	v_add_co_u32 v5, s0, v5, v35
	s_wait_alu 0xf1ff
	v_add_co_ci_u32_e64 v7, null, 0, 0, s0
	v_bfe_u32 v30, v59, 8, 8
	v_add_co_u32 v5, vcc_lo, v5, v64
	s_wait_alu 0xfffd
	s_delay_alu instid0(VALU_DEP_3) | instskip(SKIP_1) | instid1(VALU_DEP_3)
	v_add_co_ci_u32_e64 v7, null, 0, v7, vcc_lo
	v_bfe_u32 v29, v59, 16, 8
	v_add_co_u32 v5, vcc_lo, v5, v34
	s_wait_alu 0xfffd
	s_delay_alu instid0(VALU_DEP_3) | instskip(SKIP_1) | instid1(VALU_DEP_3)
	v_add_co_ci_u32_e64 v7, null, 0, v7, vcc_lo
	v_lshrrev_b32_e32 v62, 24, v59
	v_add_co_u32 v5, vcc_lo, v5, v33
	s_wait_alu 0xfffd
	s_delay_alu instid0(VALU_DEP_3) | instskip(SKIP_1) | instid1(VALU_DEP_3)
	v_add_co_ci_u32_e64 v7, null, 0, v7, vcc_lo
	v_and_b32_e32 v67, 0xff, v58
	v_add_co_u32 v5, vcc_lo, v5, v32
	s_wait_alu 0xfffd
	s_delay_alu instid0(VALU_DEP_3) | instskip(SKIP_1) | instid1(VALU_DEP_3)
	v_add_co_ci_u32_e64 v7, null, 0, v7, vcc_lo
	v_bfe_u32 v66, v58, 8, 8
	v_add_co_u32 v5, vcc_lo, v5, v63
	s_wait_alu 0xfffd
	s_delay_alu instid0(VALU_DEP_3) | instskip(SKIP_1) | instid1(VALU_DEP_3)
	v_add_co_ci_u32_e64 v7, null, 0, v7, vcc_lo
	v_bfe_u32 v65, v58, 16, 8
	v_add_co_u32 v5, vcc_lo, v5, v31
	s_wait_alu 0xfffd
	s_delay_alu instid0(VALU_DEP_3) | instskip(SKIP_1) | instid1(VALU_DEP_3)
	v_add_co_ci_u32_e64 v7, null, 0, v7, vcc_lo
	v_lshrrev_b32_e32 v60, 24, v58
	v_add_co_u32 v5, vcc_lo, v5, v30
	s_wait_alu 0xfffd
	s_delay_alu instid0(VALU_DEP_3) | instskip(SKIP_1) | instid1(VALU_DEP_3)
	v_add_co_ci_u32_e64 v7, null, 0, v7, vcc_lo
	v_mbcnt_lo_u32_b32 v36, -1, 0
	v_add_co_u32 v5, vcc_lo, v5, v29
	s_wait_alu 0xfffd
	s_delay_alu instid0(VALU_DEP_3) | instskip(SKIP_1) | instid1(VALU_DEP_3)
	v_add_co_ci_u32_e64 v7, null, 0, v7, vcc_lo
	v_and_b32_e32 v54, 0xff, v57
	v_add_co_u32 v5, vcc_lo, v5, v62
	s_wait_alu 0xfffd
	s_delay_alu instid0(VALU_DEP_3) | instskip(SKIP_1) | instid1(VALU_DEP_3)
	v_add_co_ci_u32_e64 v7, null, 0, v7, vcc_lo
	v_and_b32_e32 v37, 15, v36
	v_add_co_u32 v5, vcc_lo, v5, v67
	s_wait_alu 0xfffd
	s_delay_alu instid0(VALU_DEP_3) | instskip(NEXT) | instid1(VALU_DEP_3)
	v_add_co_ci_u32_e64 v7, null, 0, v7, vcc_lo
	v_cmp_ne_u32_e64 s0, 0, v37
	s_delay_alu instid0(VALU_DEP_3) | instskip(SKIP_1) | instid1(VALU_DEP_3)
	v_add_co_u32 v5, vcc_lo, v5, v66
	s_wait_alu 0xfffd
	v_add_co_ci_u32_e64 v7, null, 0, v7, vcc_lo
	s_cmp_lg_u32 s28, 0
	v_add_co_u32 v5, vcc_lo, v5, v65
	s_wait_alu 0xfffd
	v_add_co_ci_u32_e64 v7, null, 0, v7, vcc_lo
	s_mov_b32 s1, -1
	v_add_co_u32 v5, vcc_lo, v5, v60
	s_wait_alu 0xfffd
	v_add_co_ci_u32_e64 v7, null, 0, v7, vcc_lo
	s_delay_alu instid0(VALU_DEP_2) | instskip(SKIP_1) | instid1(VALU_DEP_2)
	v_add_co_u32 v19, vcc_lo, v5, v54
	s_wait_alu 0xfffd
	v_add_co_ci_u32_e64 v20, null, 0, v7, vcc_lo
	s_cbranch_scc0 .LBB434_107
; %bb.49:
	v_mov_b32_e32 v7, v19
	v_mov_b32_dpp v5, v19 row_shr:1 row_mask:0xf bank_mask:0xf
	v_mov_b32_dpp v10, v6 row_shr:1 row_mask:0xf bank_mask:0xf
	v_dual_mov_b32 v9, v19 :: v_dual_mov_b32 v8, v20
	s_and_saveexec_b32 s1, s0
; %bb.50:
	s_delay_alu instid0(VALU_DEP_3) | instskip(SKIP_2) | instid1(VALU_DEP_2)
	v_add_co_u32 v9, vcc_lo, v19, v5
	s_wait_alu 0xfffd
	v_add_co_ci_u32_e64 v6, null, 0, v20, vcc_lo
	v_add_co_u32 v5, vcc_lo, 0, v9
	s_wait_alu 0xfffd
	s_delay_alu instid0(VALU_DEP_2) | instskip(NEXT) | instid1(VALU_DEP_1)
	v_add_co_ci_u32_e64 v6, null, v10, v6, vcc_lo
	v_dual_mov_b32 v8, v6 :: v_dual_mov_b32 v7, v5
; %bb.51:
	s_wait_alu 0xfffe
	s_or_b32 exec_lo, exec_lo, s1
	v_mov_b32_dpp v5, v9 row_shr:2 row_mask:0xf bank_mask:0xf
	v_mov_b32_dpp v10, v6 row_shr:2 row_mask:0xf bank_mask:0xf
	v_cmp_lt_u32_e32 vcc_lo, 1, v37
	s_and_saveexec_b32 s3, vcc_lo
; %bb.52:
	s_delay_alu instid0(VALU_DEP_3) | instskip(SKIP_2) | instid1(VALU_DEP_2)
	v_add_co_u32 v9, s1, v7, v5
	s_wait_alu 0xf1ff
	v_add_co_ci_u32_e64 v6, null, 0, v8, s1
	v_add_co_u32 v5, s1, 0, v9
	s_wait_alu 0xf1ff
	s_delay_alu instid0(VALU_DEP_2) | instskip(NEXT) | instid1(VALU_DEP_1)
	v_add_co_ci_u32_e64 v6, null, v10, v6, s1
	v_dual_mov_b32 v8, v6 :: v_dual_mov_b32 v7, v5
; %bb.53:
	s_wait_alu 0xfffe
	s_or_b32 exec_lo, exec_lo, s3
	v_mov_b32_dpp v5, v9 row_shr:4 row_mask:0xf bank_mask:0xf
	v_mov_b32_dpp v10, v6 row_shr:4 row_mask:0xf bank_mask:0xf
	v_cmp_lt_u32_e64 s1, 3, v37
	s_and_saveexec_b32 s4, s1
; %bb.54:
	v_add_co_u32 v9, s3, v7, v5
	s_wait_alu 0xf1ff
	v_add_co_ci_u32_e64 v6, null, 0, v8, s3
	s_delay_alu instid0(VALU_DEP_2) | instskip(SKIP_1) | instid1(VALU_DEP_2)
	v_add_co_u32 v5, s3, 0, v9
	s_wait_alu 0xf1ff
	v_add_co_ci_u32_e64 v6, null, v10, v6, s3
	s_delay_alu instid0(VALU_DEP_1)
	v_dual_mov_b32 v8, v6 :: v_dual_mov_b32 v7, v5
; %bb.55:
	s_wait_alu 0xfffe
	s_or_b32 exec_lo, exec_lo, s4
	v_mov_b32_dpp v10, v9 row_shr:8 row_mask:0xf bank_mask:0xf
	v_mov_b32_dpp v5, v6 row_shr:8 row_mask:0xf bank_mask:0xf
	v_cmp_lt_u32_e64 s3, 7, v37
	s_and_saveexec_b32 s5, s3
; %bb.56:
	v_add_co_u32 v9, s4, v7, v10
	s_wait_alu 0xf1ff
	v_add_co_ci_u32_e64 v6, null, 0, v8, s4
	s_delay_alu instid0(VALU_DEP_2) | instskip(SKIP_1) | instid1(VALU_DEP_2)
	v_add_co_u32 v7, s4, 0, v9
	s_wait_alu 0xf1ff
	v_add_co_ci_u32_e64 v8, null, v5, v6, s4
	s_delay_alu instid0(VALU_DEP_1)
	v_mov_b32_e32 v6, v8
; %bb.57:
	s_wait_alu 0xfffe
	s_or_b32 exec_lo, exec_lo, s5
	ds_swizzle_b32 v5, v9 offset:swizzle(BROADCAST,32,15)
	ds_swizzle_b32 v10, v6 offset:swizzle(BROADCAST,32,15)
	v_and_b32_e32 v11, 16, v36
	s_mov_b32 s5, exec_lo
	s_delay_alu instid0(VALU_DEP_1)
	v_cmpx_ne_u32_e32 0, v11
	s_cbranch_execz .LBB434_59
; %bb.58:
	s_wait_dscnt 0x1
	v_add_co_u32 v9, s4, v7, v5
	s_wait_alu 0xf1ff
	v_add_co_ci_u32_e64 v6, null, 0, v8, s4
	s_delay_alu instid0(VALU_DEP_2) | instskip(SKIP_2) | instid1(VALU_DEP_2)
	v_add_co_u32 v5, s4, 0, v9
	s_wait_dscnt 0x0
	s_wait_alu 0xf1ff
	v_add_co_ci_u32_e64 v6, null, v10, v6, s4
	s_delay_alu instid0(VALU_DEP_1)
	v_dual_mov_b32 v8, v6 :: v_dual_mov_b32 v7, v5
.LBB434_59:
	s_wait_alu 0xfffe
	s_or_b32 exec_lo, exec_lo, s5
	s_wait_dscnt 0x1
	v_and_b32_e32 v5, 0x1e0, v0
	s_mov_b32 s5, exec_lo
	s_delay_alu instid0(VALU_DEP_1) | instskip(SKIP_1) | instid1(VALU_DEP_1)
	v_min_u32_e32 v5, 0x160, v5
	s_wait_dscnt 0x0
	v_or_b32_e32 v10, 31, v5
	v_lshrrev_b32_e32 v5, 5, v0
	s_delay_alu instid0(VALU_DEP_2)
	v_cmpx_eq_u32_e64 v0, v10
; %bb.60:
	s_delay_alu instid0(VALU_DEP_2)
	v_lshlrev_b32_e32 v10, 3, v5
	ds_store_b64 v10, v[7:8]
; %bb.61:
	s_wait_alu 0xfffe
	s_or_b32 exec_lo, exec_lo, s5
	s_delay_alu instid0(SALU_CYCLE_1)
	s_mov_b32 s5, exec_lo
	s_wait_loadcnt_dscnt 0x0
	s_barrier_signal -1
	s_barrier_wait -1
	global_inv scope:SCOPE_SE
	v_cmpx_gt_u32_e32 12, v0
	s_cbranch_execz .LBB434_71
; %bb.62:
	v_lshlrev_b32_e32 v10, 3, v0
	ds_load_b64 v[7:8], v10
	s_wait_dscnt 0x0
	v_mov_b32_dpp v21, v7 row_shr:1 row_mask:0xf bank_mask:0xf
	v_mov_b32_dpp v12, v8 row_shr:1 row_mask:0xf bank_mask:0xf
	v_mov_b32_e32 v11, v7
	s_and_saveexec_b32 s6, s0
; %bb.63:
	s_delay_alu instid0(VALU_DEP_3) | instskip(SKIP_2) | instid1(VALU_DEP_2)
	v_add_co_u32 v11, s4, v7, v21
	s_wait_alu 0xf1ff
	v_add_co_ci_u32_e64 v8, null, 0, v8, s4
	v_add_co_u32 v7, s4, 0, v11
	s_wait_alu 0xf1ff
	s_delay_alu instid0(VALU_DEP_2)
	v_add_co_ci_u32_e64 v8, null, v12, v8, s4
; %bb.64:
	s_wait_alu 0xfffe
	s_or_b32 exec_lo, exec_lo, s6
	v_mov_b32_dpp v21, v11 row_shr:2 row_mask:0xf bank_mask:0xf
	s_delay_alu instid0(VALU_DEP_2)
	v_mov_b32_dpp v12, v8 row_shr:2 row_mask:0xf bank_mask:0xf
	s_and_saveexec_b32 s4, vcc_lo
; %bb.65:
	s_delay_alu instid0(VALU_DEP_2) | instskip(SKIP_2) | instid1(VALU_DEP_2)
	v_add_co_u32 v11, vcc_lo, v7, v21
	s_wait_alu 0xfffd
	v_add_co_ci_u32_e64 v8, null, 0, v8, vcc_lo
	v_add_co_u32 v7, vcc_lo, 0, v11
	s_wait_alu 0xfffd
	s_delay_alu instid0(VALU_DEP_2)
	v_add_co_ci_u32_e64 v8, null, v12, v8, vcc_lo
; %bb.66:
	s_wait_alu 0xfffe
	s_or_b32 exec_lo, exec_lo, s4
	v_mov_b32_dpp v21, v11 row_shr:4 row_mask:0xf bank_mask:0xf
	s_delay_alu instid0(VALU_DEP_2)
	v_mov_b32_dpp v12, v8 row_shr:4 row_mask:0xf bank_mask:0xf
	s_and_saveexec_b32 s4, s1
; %bb.67:
	s_delay_alu instid0(VALU_DEP_2) | instskip(SKIP_2) | instid1(VALU_DEP_2)
	v_add_co_u32 v11, vcc_lo, v7, v21
	s_wait_alu 0xfffd
	v_add_co_ci_u32_e64 v8, null, 0, v8, vcc_lo
	v_add_co_u32 v7, vcc_lo, 0, v11
	s_wait_alu 0xfffd
	s_delay_alu instid0(VALU_DEP_2)
	v_add_co_ci_u32_e64 v8, null, v12, v8, vcc_lo
; %bb.68:
	s_wait_alu 0xfffe
	s_or_b32 exec_lo, exec_lo, s4
	v_mov_b32_dpp v12, v11 row_shr:8 row_mask:0xf bank_mask:0xf
	s_delay_alu instid0(VALU_DEP_2)
	v_mov_b32_dpp v11, v8 row_shr:8 row_mask:0xf bank_mask:0xf
	s_and_saveexec_b32 s1, s3
; %bb.69:
	s_delay_alu instid0(VALU_DEP_2) | instskip(SKIP_2) | instid1(VALU_DEP_2)
	v_add_co_u32 v7, vcc_lo, v7, v12
	s_wait_alu 0xfffd
	v_add_co_ci_u32_e64 v8, null, 0, v8, vcc_lo
	v_add_co_u32 v7, vcc_lo, v7, 0
	s_wait_alu 0xfffd
	s_delay_alu instid0(VALU_DEP_2)
	v_add_co_ci_u32_e64 v8, null, v8, v11, vcc_lo
; %bb.70:
	s_wait_alu 0xfffe
	s_or_b32 exec_lo, exec_lo, s1
	ds_store_b64 v10, v[7:8]
.LBB434_71:
	s_wait_alu 0xfffe
	s_or_b32 exec_lo, exec_lo, s5
	s_delay_alu instid0(SALU_CYCLE_1)
	s_mov_b32 s3, exec_lo
	v_cmp_gt_u32_e32 vcc_lo, 32, v0
	s_wait_loadcnt_dscnt 0x0
	s_barrier_signal -1
	s_barrier_wait -1
	global_inv scope:SCOPE_SE
                                        ; implicit-def: $vgpr21_vgpr22
	v_cmpx_lt_u32_e32 31, v0
	s_cbranch_execz .LBB434_73
; %bb.72:
	v_lshl_add_u32 v5, v5, 3, -8
	ds_load_b64 v[21:22], v5
	s_wait_dscnt 0x0
	v_add_co_u32 v9, s1, v9, v21
	s_wait_alu 0xf1ff
	v_add_co_ci_u32_e64 v6, null, v6, v22, s1
.LBB434_73:
	s_wait_alu 0xfffe
	s_or_b32 exec_lo, exec_lo, s3
	v_sub_co_u32 v5, s1, v36, 1
	s_delay_alu instid0(VALU_DEP_1) | instskip(SKIP_1) | instid1(VALU_DEP_1)
	v_cmp_gt_i32_e64 s3, 0, v5
	s_wait_alu 0xf1ff
	v_cndmask_b32_e64 v5, v5, v36, s3
	s_delay_alu instid0(VALU_DEP_1)
	v_lshlrev_b32_e32 v5, 2, v5
	ds_bpermute_b32 v38, v5, v9
	ds_bpermute_b32 v39, v5, v6
	s_and_saveexec_b32 s3, vcc_lo
	s_cbranch_execz .LBB434_112
; %bb.74:
	v_mov_b32_e32 v8, 0
	ds_load_b64 v[5:6], v8 offset:88
	s_and_saveexec_b32 s4, s1
	s_cbranch_execz .LBB434_76
; %bb.75:
	s_add_co_i32 s6, s28, 32
	s_mov_b32 s7, 0
	s_wait_alu 0xfffe
	s_lshl_b64 s[6:7], s[6:7], 4
	s_wait_alu 0xfffe
	s_add_nc_u64 s[6:7], s[26:27], s[6:7]
	s_wait_alu 0xfffe
	v_dual_mov_b32 v7, 1 :: v_dual_mov_b32 v10, s7
	v_mov_b32_e32 v9, s6
	s_wait_dscnt 0x0
	;;#ASMSTART
	global_store_b128 v[9:10], v[5:8] off scope:SCOPE_DEV	
s_wait_storecnt 0x0
	;;#ASMEND
.LBB434_76:
	s_wait_alu 0xfffe
	s_or_b32 exec_lo, exec_lo, s4
	v_xad_u32 v23, v36, -1, s28
	s_mov_b32 s5, 0
	s_mov_b32 s4, exec_lo
	s_delay_alu instid0(VALU_DEP_1) | instskip(NEXT) | instid1(VALU_DEP_1)
	v_add_nc_u32_e32 v7, 32, v23
	v_lshlrev_b64_e32 v[7:8], 4, v[7:8]
	s_delay_alu instid0(VALU_DEP_1) | instskip(SKIP_1) | instid1(VALU_DEP_2)
	v_add_co_u32 v7, vcc_lo, s26, v7
	s_wait_alu 0xfffd
	v_add_co_ci_u32_e64 v8, null, s27, v8, vcc_lo
	;;#ASMSTART
	global_load_b128 v[9:12], v[7:8] off scope:SCOPE_DEV	
s_wait_loadcnt 0x0
	;;#ASMEND
	v_and_b32_e32 v12, 0xff, v11
	s_delay_alu instid0(VALU_DEP_1)
	v_cmpx_eq_u16_e32 0, v12
	s_cbranch_execz .LBB434_79
.LBB434_77:                             ; =>This Inner Loop Header: Depth=1
	;;#ASMSTART
	global_load_b128 v[9:12], v[7:8] off scope:SCOPE_DEV	
s_wait_loadcnt 0x0
	;;#ASMEND
	v_and_b32_e32 v12, 0xff, v11
	s_delay_alu instid0(VALU_DEP_1)
	v_cmp_ne_u16_e32 vcc_lo, 0, v12
	s_wait_alu 0xfffe
	s_or_b32 s5, vcc_lo, s5
	s_wait_alu 0xfffe
	s_and_not1_b32 exec_lo, exec_lo, s5
	s_cbranch_execnz .LBB434_77
; %bb.78:
	s_or_b32 exec_lo, exec_lo, s5
.LBB434_79:
	s_wait_alu 0xfffe
	s_or_b32 exec_lo, exec_lo, s4
	v_cmp_ne_u32_e32 vcc_lo, 31, v36
	v_and_b32_e32 v8, 0xff, v11
	v_lshlrev_b32_e64 v41, v36, -1
	s_mov_b32 s4, exec_lo
	s_wait_alu 0xfffd
	v_add_co_ci_u32_e64 v7, null, 0, v36, vcc_lo
	v_cmp_eq_u16_e32 vcc_lo, 2, v8
	v_mov_b32_e32 v8, v9
	s_delay_alu instid0(VALU_DEP_3)
	v_lshlrev_b32_e32 v40, 2, v7
	s_wait_alu 0xfffd
	v_and_or_b32 v7, vcc_lo, v41, 0x80000000
	ds_bpermute_b32 v24, v40, v9
	ds_bpermute_b32 v12, v40, v10
	v_ctz_i32_b32_e32 v7, v7
	s_delay_alu instid0(VALU_DEP_1)
	v_cmpx_lt_u32_e64 v36, v7
	s_cbranch_execz .LBB434_81
; %bb.80:
	s_wait_dscnt 0x1
	v_add_co_u32 v8, vcc_lo, v9, v24
	s_wait_alu 0xfffd
	v_add_co_ci_u32_e64 v10, null, 0, v10, vcc_lo
	s_delay_alu instid0(VALU_DEP_2) | instskip(SKIP_2) | instid1(VALU_DEP_2)
	v_add_co_u32 v9, vcc_lo, 0, v8
	s_wait_dscnt 0x0
	s_wait_alu 0xfffd
	v_add_co_ci_u32_e64 v10, null, v12, v10, vcc_lo
.LBB434_81:
	s_wait_alu 0xfffe
	s_or_b32 exec_lo, exec_lo, s4
	v_cmp_gt_u32_e32 vcc_lo, 30, v36
	v_add_nc_u32_e32 v43, 2, v36
	s_mov_b32 s4, exec_lo
	s_wait_dscnt 0x0
	s_wait_alu 0xfffd
	v_cndmask_b32_e64 v12, 0, 2, vcc_lo
	s_delay_alu instid0(VALU_DEP_1)
	v_add_lshl_u32 v42, v12, v36, 2
	ds_bpermute_b32 v24, v42, v8
	ds_bpermute_b32 v12, v42, v10
	v_cmpx_le_u32_e64 v43, v7
	s_cbranch_execz .LBB434_83
; %bb.82:
	s_wait_dscnt 0x1
	v_add_co_u32 v8, vcc_lo, v9, v24
	s_wait_alu 0xfffd
	v_add_co_ci_u32_e64 v10, null, 0, v10, vcc_lo
	s_delay_alu instid0(VALU_DEP_2) | instskip(SKIP_2) | instid1(VALU_DEP_2)
	v_add_co_u32 v9, vcc_lo, 0, v8
	s_wait_dscnt 0x0
	s_wait_alu 0xfffd
	v_add_co_ci_u32_e64 v10, null, v12, v10, vcc_lo
.LBB434_83:
	s_wait_alu 0xfffe
	s_or_b32 exec_lo, exec_lo, s4
	v_cmp_gt_u32_e32 vcc_lo, 28, v36
	v_add_nc_u32_e32 v45, 4, v36
	s_mov_b32 s4, exec_lo
	s_wait_dscnt 0x0
	s_wait_alu 0xfffd
	v_cndmask_b32_e64 v12, 0, 4, vcc_lo
	s_delay_alu instid0(VALU_DEP_1)
	v_add_lshl_u32 v44, v12, v36, 2
	ds_bpermute_b32 v24, v44, v8
	ds_bpermute_b32 v12, v44, v10
	v_cmpx_le_u32_e64 v45, v7
	;; [unrolled: 25-line block ×3, first 2 shown]
	s_cbranch_execz .LBB434_87
; %bb.86:
	s_wait_dscnt 0x1
	v_add_co_u32 v8, vcc_lo, v9, v24
	s_wait_alu 0xfffd
	v_add_co_ci_u32_e64 v10, null, 0, v10, vcc_lo
	s_delay_alu instid0(VALU_DEP_2) | instskip(SKIP_2) | instid1(VALU_DEP_2)
	v_add_co_u32 v9, vcc_lo, 0, v8
	s_wait_dscnt 0x0
	s_wait_alu 0xfffd
	v_add_co_ci_u32_e64 v10, null, v12, v10, vcc_lo
.LBB434_87:
	s_wait_alu 0xfffe
	s_or_b32 exec_lo, exec_lo, s4
	v_lshl_or_b32 v48, v36, 2, 64
	v_add_nc_u32_e32 v49, 16, v36
	s_mov_b32 s4, exec_lo
	s_wait_dscnt 0x0
	ds_bpermute_b32 v12, v48, v8
	ds_bpermute_b32 v8, v48, v10
	v_cmpx_le_u32_e64 v49, v7
	s_cbranch_execz .LBB434_89
; %bb.88:
	s_wait_dscnt 0x1
	v_add_co_u32 v7, vcc_lo, v9, v12
	s_wait_alu 0xfffd
	v_add_co_ci_u32_e64 v10, null, 0, v10, vcc_lo
	s_delay_alu instid0(VALU_DEP_2) | instskip(SKIP_2) | instid1(VALU_DEP_2)
	v_add_co_u32 v9, vcc_lo, v7, 0
	s_wait_dscnt 0x0
	s_wait_alu 0xfffd
	v_add_co_ci_u32_e64 v10, null, v10, v8, vcc_lo
.LBB434_89:
	s_wait_alu 0xfffe
	s_or_b32 exec_lo, exec_lo, s4
	v_mov_b32_e32 v24, 0
	s_branch .LBB434_92
.LBB434_90:                             ;   in Loop: Header=BB434_92 Depth=1
	s_wait_alu 0xfffe
	s_or_b32 exec_lo, exec_lo, s4
	v_add_co_u32 v9, vcc_lo, v9, v7
	v_subrev_nc_u32_e32 v23, 32, v23
	s_wait_alu 0xfffd
	v_add_co_ci_u32_e64 v10, null, v10, v8, vcc_lo
	s_mov_b32 s4, 0
.LBB434_91:                             ;   in Loop: Header=BB434_92 Depth=1
	s_wait_alu 0xfffe
	s_and_b32 vcc_lo, exec_lo, s4
	s_wait_alu 0xfffe
	s_cbranch_vccnz .LBB434_108
.LBB434_92:                             ; =>This Loop Header: Depth=1
                                        ;     Child Loop BB434_95 Depth 2
	v_and_b32_e32 v7, 0xff, v11
	s_mov_b32 s4, -1
	s_delay_alu instid0(VALU_DEP_1)
	v_cmp_ne_u16_e32 vcc_lo, 2, v7
	s_wait_dscnt 0x0
	v_dual_mov_b32 v7, v9 :: v_dual_mov_b32 v8, v10
                                        ; implicit-def: $vgpr9_vgpr10
	s_cmp_lg_u32 vcc_lo, exec_lo
	s_cbranch_scc1 .LBB434_91
; %bb.93:                               ;   in Loop: Header=BB434_92 Depth=1
	v_lshlrev_b64_e32 v[9:10], 4, v[23:24]
	s_mov_b32 s4, exec_lo
	s_delay_alu instid0(VALU_DEP_1) | instskip(SKIP_1) | instid1(VALU_DEP_2)
	v_add_co_u32 v25, vcc_lo, s26, v9
	s_wait_alu 0xfffd
	v_add_co_ci_u32_e64 v26, null, s27, v10, vcc_lo
	;;#ASMSTART
	global_load_b128 v[9:12], v[25:26] off scope:SCOPE_DEV	
s_wait_loadcnt 0x0
	;;#ASMEND
	v_and_b32_e32 v12, 0xff, v11
	s_delay_alu instid0(VALU_DEP_1)
	v_cmpx_eq_u16_e32 0, v12
	s_cbranch_execz .LBB434_97
; %bb.94:                               ;   in Loop: Header=BB434_92 Depth=1
	s_mov_b32 s5, 0
.LBB434_95:                             ;   Parent Loop BB434_92 Depth=1
                                        ; =>  This Inner Loop Header: Depth=2
	;;#ASMSTART
	global_load_b128 v[9:12], v[25:26] off scope:SCOPE_DEV	
s_wait_loadcnt 0x0
	;;#ASMEND
	v_and_b32_e32 v12, 0xff, v11
	s_delay_alu instid0(VALU_DEP_1)
	v_cmp_ne_u16_e32 vcc_lo, 0, v12
	s_wait_alu 0xfffe
	s_or_b32 s5, vcc_lo, s5
	s_wait_alu 0xfffe
	s_and_not1_b32 exec_lo, exec_lo, s5
	s_cbranch_execnz .LBB434_95
; %bb.96:                               ;   in Loop: Header=BB434_92 Depth=1
	s_or_b32 exec_lo, exec_lo, s5
.LBB434_97:                             ;   in Loop: Header=BB434_92 Depth=1
	s_wait_alu 0xfffe
	s_or_b32 exec_lo, exec_lo, s4
	v_dual_mov_b32 v25, v9 :: v_dual_and_b32 v12, 0xff, v11
	ds_bpermute_b32 v50, v40, v9
	ds_bpermute_b32 v26, v40, v10
	s_mov_b32 s4, exec_lo
	v_cmp_eq_u16_e32 vcc_lo, 2, v12
	s_wait_alu 0xfffd
	v_and_or_b32 v12, vcc_lo, v41, 0x80000000
	s_delay_alu instid0(VALU_DEP_1) | instskip(NEXT) | instid1(VALU_DEP_1)
	v_ctz_i32_b32_e32 v12, v12
	v_cmpx_lt_u32_e64 v36, v12
	s_cbranch_execz .LBB434_99
; %bb.98:                               ;   in Loop: Header=BB434_92 Depth=1
	s_wait_dscnt 0x1
	v_add_co_u32 v25, vcc_lo, v9, v50
	s_wait_alu 0xfffd
	v_add_co_ci_u32_e64 v10, null, 0, v10, vcc_lo
	s_delay_alu instid0(VALU_DEP_2) | instskip(SKIP_2) | instid1(VALU_DEP_2)
	v_add_co_u32 v9, vcc_lo, 0, v25
	s_wait_dscnt 0x0
	s_wait_alu 0xfffd
	v_add_co_ci_u32_e64 v10, null, v26, v10, vcc_lo
.LBB434_99:                             ;   in Loop: Header=BB434_92 Depth=1
	s_wait_alu 0xfffe
	s_or_b32 exec_lo, exec_lo, s4
	s_wait_dscnt 0x1
	ds_bpermute_b32 v50, v42, v25
	s_wait_dscnt 0x1
	ds_bpermute_b32 v26, v42, v10
	s_mov_b32 s4, exec_lo
	v_cmpx_le_u32_e64 v43, v12
	s_cbranch_execz .LBB434_101
; %bb.100:                              ;   in Loop: Header=BB434_92 Depth=1
	s_wait_dscnt 0x1
	v_add_co_u32 v25, vcc_lo, v9, v50
	s_wait_alu 0xfffd
	v_add_co_ci_u32_e64 v10, null, 0, v10, vcc_lo
	s_delay_alu instid0(VALU_DEP_2) | instskip(SKIP_2) | instid1(VALU_DEP_2)
	v_add_co_u32 v9, vcc_lo, 0, v25
	s_wait_dscnt 0x0
	s_wait_alu 0xfffd
	v_add_co_ci_u32_e64 v10, null, v26, v10, vcc_lo
.LBB434_101:                            ;   in Loop: Header=BB434_92 Depth=1
	s_wait_alu 0xfffe
	s_or_b32 exec_lo, exec_lo, s4
	s_wait_dscnt 0x1
	ds_bpermute_b32 v50, v44, v25
	s_wait_dscnt 0x1
	ds_bpermute_b32 v26, v44, v10
	s_mov_b32 s4, exec_lo
	v_cmpx_le_u32_e64 v45, v12
	s_cbranch_execz .LBB434_103
; %bb.102:                              ;   in Loop: Header=BB434_92 Depth=1
	s_wait_dscnt 0x1
	v_add_co_u32 v25, vcc_lo, v9, v50
	s_wait_alu 0xfffd
	v_add_co_ci_u32_e64 v10, null, 0, v10, vcc_lo
	s_delay_alu instid0(VALU_DEP_2) | instskip(SKIP_2) | instid1(VALU_DEP_2)
	v_add_co_u32 v9, vcc_lo, 0, v25
	s_wait_dscnt 0x0
	s_wait_alu 0xfffd
	v_add_co_ci_u32_e64 v10, null, v26, v10, vcc_lo
.LBB434_103:                            ;   in Loop: Header=BB434_92 Depth=1
	;; [unrolled: 20-line block ×3, first 2 shown]
	s_wait_alu 0xfffe
	s_or_b32 exec_lo, exec_lo, s4
	s_wait_dscnt 0x0
	ds_bpermute_b32 v26, v48, v25
	ds_bpermute_b32 v25, v48, v10
	s_mov_b32 s4, exec_lo
	v_cmpx_le_u32_e64 v49, v12
	s_cbranch_execz .LBB434_90
; %bb.106:                              ;   in Loop: Header=BB434_92 Depth=1
	s_wait_dscnt 0x1
	v_add_co_u32 v9, vcc_lo, v9, v26
	s_wait_alu 0xfffd
	v_add_co_ci_u32_e64 v10, null, 0, v10, vcc_lo
	s_delay_alu instid0(VALU_DEP_2) | instskip(SKIP_2) | instid1(VALU_DEP_2)
	v_add_co_u32 v9, vcc_lo, v9, 0
	s_wait_dscnt 0x0
	s_wait_alu 0xfffd
	v_add_co_ci_u32_e64 v10, null, v10, v25, vcc_lo
	s_branch .LBB434_90
.LBB434_107:
                                        ; implicit-def: $vgpr7_vgpr8
                                        ; implicit-def: $vgpr41_vgpr42
	s_wait_alu 0xfffe
	s_and_b32 vcc_lo, exec_lo, s1
	s_wait_alu 0xfffe
	s_cbranch_vccnz .LBB434_113
	s_branch .LBB434_140
.LBB434_108:
	s_and_saveexec_b32 s4, s1
	s_cbranch_execz .LBB434_110
; %bb.109:
	s_add_co_i32 s6, s28, 32
	s_mov_b32 s7, 0
	v_add_co_u32 v9, vcc_lo, v7, v5
	s_wait_alu 0xfffe
	s_lshl_b64 s[6:7], s[6:7], 4
	v_dual_mov_b32 v11, 2 :: v_dual_mov_b32 v12, 0
	s_wait_alu 0xfffe
	s_add_nc_u64 s[6:7], s[26:27], s[6:7]
	s_wait_alu 0xfffd
	v_add_co_ci_u32_e64 v10, null, v8, v6, vcc_lo
	s_wait_alu 0xfffe
	v_dual_mov_b32 v24, s7 :: v_dual_mov_b32 v23, s6
	;;#ASMSTART
	global_store_b128 v[23:24], v[9:12] off scope:SCOPE_DEV	
s_wait_storecnt 0x0
	;;#ASMEND
	ds_store_b128 v12, v[5:8] offset:13824
.LBB434_110:
	s_wait_alu 0xfffe
	s_or_b32 exec_lo, exec_lo, s4
	s_delay_alu instid0(SALU_CYCLE_1)
	s_and_b32 exec_lo, exec_lo, s2
; %bb.111:
	v_mov_b32_e32 v5, 0
	ds_store_b64 v5, v[7:8] offset:88
.LBB434_112:
	s_wait_alu 0xfffe
	s_or_b32 exec_lo, exec_lo, s3
	v_mov_b32_e32 v5, 0
	s_wait_loadcnt_dscnt 0x0
	s_barrier_signal -1
	s_barrier_wait -1
	global_inv scope:SCOPE_SE
	ds_load_b64 v[9:10], v5 offset:88
	s_wait_loadcnt_dscnt 0x0
	s_barrier_signal -1
	s_barrier_wait -1
	global_inv scope:SCOPE_SE
	ds_load_b128 v[5:8], v5 offset:13824
	v_cndmask_b32_e64 v11, v38, v21, s1
	v_cndmask_b32_e64 v12, v39, v22, s1
	s_delay_alu instid0(VALU_DEP_2) | instskip(NEXT) | instid1(VALU_DEP_2)
	v_cndmask_b32_e64 v11, v11, 0, s2
	v_cndmask_b32_e64 v12, v12, 0, s2
	s_delay_alu instid0(VALU_DEP_2) | instskip(SKIP_1) | instid1(VALU_DEP_2)
	v_add_co_u32 v41, vcc_lo, v9, v11
	s_wait_alu 0xfffd
	v_add_co_ci_u32_e64 v42, null, v10, v12, vcc_lo
	s_branch .LBB434_140
.LBB434_113:
	s_wait_dscnt 0x0
	v_dual_mov_b32 v6, 0 :: v_dual_mov_b32 v7, v19
	v_mov_b32_dpp v8, v19 row_shr:1 row_mask:0xf bank_mask:0xf
	s_delay_alu instid0(VALU_DEP_2)
	v_mov_b32_dpp v5, v6 row_shr:1 row_mask:0xf bank_mask:0xf
	s_and_saveexec_b32 s1, s0
; %bb.114:
	s_delay_alu instid0(VALU_DEP_2) | instskip(SKIP_2) | instid1(VALU_DEP_2)
	v_add_co_u32 v7, vcc_lo, v19, v8
	s_wait_alu 0xfffd
	v_add_co_ci_u32_e64 v6, null, 0, v20, vcc_lo
	v_add_co_u32 v19, vcc_lo, 0, v7
	s_wait_alu 0xfffd
	s_delay_alu instid0(VALU_DEP_2) | instskip(NEXT) | instid1(VALU_DEP_1)
	v_add_co_ci_u32_e64 v20, null, v5, v6, vcc_lo
	v_mov_b32_e32 v6, v20
; %bb.115:
	s_wait_alu 0xfffe
	s_or_b32 exec_lo, exec_lo, s1
	v_mov_b32_dpp v5, v7 row_shr:2 row_mask:0xf bank_mask:0xf
	s_delay_alu instid0(VALU_DEP_2)
	v_mov_b32_dpp v8, v6 row_shr:2 row_mask:0xf bank_mask:0xf
	v_cmp_lt_u32_e32 vcc_lo, 1, v37
	s_and_saveexec_b32 s3, vcc_lo
; %bb.116:
	s_delay_alu instid0(VALU_DEP_3) | instskip(SKIP_2) | instid1(VALU_DEP_2)
	v_add_co_u32 v7, s1, v19, v5
	s_wait_alu 0xf1ff
	v_add_co_ci_u32_e64 v6, null, 0, v20, s1
	v_add_co_u32 v5, s1, 0, v7
	s_wait_alu 0xf1ff
	s_delay_alu instid0(VALU_DEP_2) | instskip(NEXT) | instid1(VALU_DEP_1)
	v_add_co_ci_u32_e64 v6, null, v8, v6, s1
	v_dual_mov_b32 v20, v6 :: v_dual_mov_b32 v19, v5
; %bb.117:
	s_wait_alu 0xfffe
	s_or_b32 exec_lo, exec_lo, s3
	v_mov_b32_dpp v5, v7 row_shr:4 row_mask:0xf bank_mask:0xf
	v_mov_b32_dpp v8, v6 row_shr:4 row_mask:0xf bank_mask:0xf
	v_cmp_lt_u32_e64 s1, 3, v37
	s_and_saveexec_b32 s4, s1
; %bb.118:
	v_add_co_u32 v7, s3, v19, v5
	s_wait_alu 0xf1ff
	v_add_co_ci_u32_e64 v6, null, 0, v20, s3
	s_delay_alu instid0(VALU_DEP_2) | instskip(SKIP_1) | instid1(VALU_DEP_2)
	v_add_co_u32 v5, s3, 0, v7
	s_wait_alu 0xf1ff
	v_add_co_ci_u32_e64 v6, null, v8, v6, s3
	s_delay_alu instid0(VALU_DEP_1)
	v_dual_mov_b32 v20, v6 :: v_dual_mov_b32 v19, v5
; %bb.119:
	s_wait_alu 0xfffe
	s_or_b32 exec_lo, exec_lo, s4
	v_mov_b32_dpp v8, v7 row_shr:8 row_mask:0xf bank_mask:0xf
	v_mov_b32_dpp v5, v6 row_shr:8 row_mask:0xf bank_mask:0xf
	v_cmp_lt_u32_e64 s3, 7, v37
	s_and_saveexec_b32 s5, s3
; %bb.120:
	v_add_co_u32 v7, s4, v19, v8
	s_wait_alu 0xf1ff
	v_add_co_ci_u32_e64 v6, null, 0, v20, s4
	s_delay_alu instid0(VALU_DEP_2) | instskip(SKIP_1) | instid1(VALU_DEP_2)
	v_add_co_u32 v19, s4, 0, v7
	s_wait_alu 0xf1ff
	v_add_co_ci_u32_e64 v20, null, v5, v6, s4
	s_delay_alu instid0(VALU_DEP_1)
	v_mov_b32_e32 v6, v20
; %bb.121:
	s_wait_alu 0xfffe
	s_or_b32 exec_lo, exec_lo, s5
	ds_swizzle_b32 v7, v7 offset:swizzle(BROADCAST,32,15)
	ds_swizzle_b32 v5, v6 offset:swizzle(BROADCAST,32,15)
	v_and_b32_e32 v6, 16, v36
	s_mov_b32 s5, exec_lo
	s_delay_alu instid0(VALU_DEP_1)
	v_cmpx_ne_u32_e32 0, v6
	s_cbranch_execz .LBB434_123
; %bb.122:
	s_wait_dscnt 0x1
	v_add_co_u32 v6, s4, v19, v7
	s_wait_alu 0xf1ff
	v_add_co_ci_u32_e64 v7, null, 0, v20, s4
	s_delay_alu instid0(VALU_DEP_2) | instskip(SKIP_2) | instid1(VALU_DEP_2)
	v_add_co_u32 v19, s4, v6, 0
	s_wait_dscnt 0x0
	s_wait_alu 0xf1ff
	v_add_co_ci_u32_e64 v20, null, v7, v5, s4
.LBB434_123:
	s_wait_alu 0xfffe
	s_or_b32 exec_lo, exec_lo, s5
	s_wait_dscnt 0x0
	v_and_b32_e32 v5, 0x1e0, v0
	v_lshrrev_b32_e32 v7, 5, v0
	s_mov_b32 s5, exec_lo
	s_delay_alu instid0(VALU_DEP_2) | instskip(NEXT) | instid1(VALU_DEP_1)
	v_min_u32_e32 v5, 0x160, v5
	v_or_b32_e32 v5, 31, v5
	s_delay_alu instid0(VALU_DEP_1)
	v_cmpx_eq_u32_e64 v0, v5
; %bb.124:
	v_lshlrev_b32_e32 v5, 3, v7
	ds_store_b64 v5, v[19:20]
; %bb.125:
	s_wait_alu 0xfffe
	s_or_b32 exec_lo, exec_lo, s5
	s_delay_alu instid0(SALU_CYCLE_1)
	s_mov_b32 s5, exec_lo
	s_wait_loadcnt_dscnt 0x0
	s_barrier_signal -1
	s_barrier_wait -1
	global_inv scope:SCOPE_SE
	v_cmpx_gt_u32_e32 12, v0
	s_cbranch_execz .LBB434_135
; %bb.126:
	v_lshlrev_b32_e32 v8, 3, v0
	ds_load_b64 v[5:6], v8
	s_wait_dscnt 0x0
	v_mov_b32_dpp v11, v5 row_shr:1 row_mask:0xf bank_mask:0xf
	v_mov_b32_dpp v10, v6 row_shr:1 row_mask:0xf bank_mask:0xf
	v_mov_b32_e32 v9, v5
	s_and_saveexec_b32 s4, s0
; %bb.127:
	s_delay_alu instid0(VALU_DEP_3) | instskip(SKIP_2) | instid1(VALU_DEP_2)
	v_add_co_u32 v9, s0, v5, v11
	s_wait_alu 0xf1ff
	v_add_co_ci_u32_e64 v6, null, 0, v6, s0
	v_add_co_u32 v5, s0, 0, v9
	s_wait_alu 0xf1ff
	s_delay_alu instid0(VALU_DEP_2)
	v_add_co_ci_u32_e64 v6, null, v10, v6, s0
; %bb.128:
	s_wait_alu 0xfffe
	s_or_b32 exec_lo, exec_lo, s4
	v_mov_b32_dpp v11, v9 row_shr:2 row_mask:0xf bank_mask:0xf
	s_delay_alu instid0(VALU_DEP_2)
	v_mov_b32_dpp v10, v6 row_shr:2 row_mask:0xf bank_mask:0xf
	s_and_saveexec_b32 s0, vcc_lo
; %bb.129:
	s_delay_alu instid0(VALU_DEP_2) | instskip(SKIP_2) | instid1(VALU_DEP_2)
	v_add_co_u32 v9, vcc_lo, v5, v11
	s_wait_alu 0xfffd
	v_add_co_ci_u32_e64 v6, null, 0, v6, vcc_lo
	v_add_co_u32 v5, vcc_lo, 0, v9
	s_wait_alu 0xfffd
	s_delay_alu instid0(VALU_DEP_2)
	v_add_co_ci_u32_e64 v6, null, v10, v6, vcc_lo
; %bb.130:
	s_wait_alu 0xfffe
	s_or_b32 exec_lo, exec_lo, s0
	v_mov_b32_dpp v11, v9 row_shr:4 row_mask:0xf bank_mask:0xf
	s_delay_alu instid0(VALU_DEP_2)
	v_mov_b32_dpp v10, v6 row_shr:4 row_mask:0xf bank_mask:0xf
	s_and_saveexec_b32 s0, s1
; %bb.131:
	s_delay_alu instid0(VALU_DEP_2) | instskip(SKIP_2) | instid1(VALU_DEP_2)
	v_add_co_u32 v9, vcc_lo, v5, v11
	s_wait_alu 0xfffd
	v_add_co_ci_u32_e64 v6, null, 0, v6, vcc_lo
	v_add_co_u32 v5, vcc_lo, 0, v9
	s_wait_alu 0xfffd
	s_delay_alu instid0(VALU_DEP_2)
	v_add_co_ci_u32_e64 v6, null, v10, v6, vcc_lo
; %bb.132:
	s_wait_alu 0xfffe
	s_or_b32 exec_lo, exec_lo, s0
	v_mov_b32_dpp v10, v9 row_shr:8 row_mask:0xf bank_mask:0xf
	s_delay_alu instid0(VALU_DEP_2)
	v_mov_b32_dpp v9, v6 row_shr:8 row_mask:0xf bank_mask:0xf
	s_and_saveexec_b32 s0, s3
; %bb.133:
	s_delay_alu instid0(VALU_DEP_2) | instskip(SKIP_2) | instid1(VALU_DEP_2)
	v_add_co_u32 v5, vcc_lo, v5, v10
	s_wait_alu 0xfffd
	v_add_co_ci_u32_e64 v6, null, 0, v6, vcc_lo
	v_add_co_u32 v5, vcc_lo, v5, 0
	s_wait_alu 0xfffd
	s_delay_alu instid0(VALU_DEP_2)
	v_add_co_ci_u32_e64 v6, null, v6, v9, vcc_lo
; %bb.134:
	s_wait_alu 0xfffe
	s_or_b32 exec_lo, exec_lo, s0
	ds_store_b64 v8, v[5:6]
.LBB434_135:
	s_wait_alu 0xfffe
	s_or_b32 exec_lo, exec_lo, s5
	v_mov_b32_e32 v9, 0
	v_mov_b32_e32 v10, 0
	s_mov_b32 s0, exec_lo
	s_wait_loadcnt_dscnt 0x0
	s_barrier_signal -1
	s_barrier_wait -1
	global_inv scope:SCOPE_SE
	v_cmpx_lt_u32_e32 31, v0
; %bb.136:
	v_lshl_add_u32 v5, v7, 3, -8
	ds_load_b64 v[9:10], v5
; %bb.137:
	s_wait_alu 0xfffe
	s_or_b32 exec_lo, exec_lo, s0
	v_sub_co_u32 v5, vcc_lo, v36, 1
	v_mov_b32_e32 v8, 0
	s_delay_alu instid0(VALU_DEP_2) | instskip(SKIP_1) | instid1(VALU_DEP_1)
	v_cmp_gt_i32_e64 s0, 0, v5
	s_wait_alu 0xf1ff
	v_cndmask_b32_e64 v5, v5, v36, s0
	s_wait_dscnt 0x0
	v_add_co_u32 v6, s0, v9, v19
	s_wait_alu 0xf1ff
	v_add_co_ci_u32_e64 v7, null, v10, v20, s0
	v_lshlrev_b32_e32 v5, 2, v5
	ds_bpermute_b32 v11, v5, v6
	ds_bpermute_b32 v12, v5, v7
	ds_load_b64 v[5:6], v8 offset:88
	s_and_saveexec_b32 s0, s2
	s_cbranch_execz .LBB434_139
; %bb.138:
	s_add_nc_u64 s[4:5], s[26:27], 0x200
	s_wait_alu 0xfffe
	v_dual_mov_b32 v7, 2 :: v_dual_mov_b32 v20, s5
	v_mov_b32_e32 v19, s4
	s_wait_dscnt 0x0
	;;#ASMSTART
	global_store_b128 v[19:20], v[5:8] off scope:SCOPE_DEV	
s_wait_storecnt 0x0
	;;#ASMEND
.LBB434_139:
	s_wait_alu 0xfffe
	s_or_b32 exec_lo, exec_lo, s0
	s_wait_dscnt 0x1
	s_wait_alu 0xfffd
	v_dual_cndmask_b32 v10, v12, v10 :: v_dual_cndmask_b32 v9, v11, v9
	v_mov_b32_e32 v7, 0
	v_mov_b32_e32 v8, 0
	s_wait_loadcnt_dscnt 0x0
	s_delay_alu instid0(VALU_DEP_3)
	v_cndmask_b32_e64 v42, v10, 0, s2
	v_cndmask_b32_e64 v41, v9, 0, s2
	s_barrier_signal -1
	s_barrier_wait -1
	global_inv scope:SCOPE_SE
.LBB434_140:
	s_delay_alu instid0(VALU_DEP_2) | instskip(SKIP_1) | instid1(VALU_DEP_2)
	v_add_co_u32 v51, vcc_lo, v41, v28
	s_wait_alu 0xfffd
	v_add_co_ci_u32_e64 v52, null, 0, v42, vcc_lo
	v_lshlrev_b64_e32 v[9:10], 1, v[17:18]
	s_delay_alu instid0(VALU_DEP_3) | instskip(SKIP_1) | instid1(VALU_DEP_3)
	v_add_co_u32 v49, vcc_lo, v51, v27
	s_wait_alu 0xfffd
	v_add_co_ci_u32_e64 v50, null, 0, v52, vcc_lo
	v_lshrrev_b32_e32 v72, 16, v61
	s_delay_alu instid0(VALU_DEP_3) | instskip(SKIP_1) | instid1(VALU_DEP_3)
	v_add_co_u32 v47, vcc_lo, v49, v35
	s_wait_alu 0xfffd
	v_add_co_ci_u32_e64 v48, null, 0, v50, vcc_lo
	v_lshrrev_b32_e32 v73, 8, v61
	;; [unrolled: 5-line block ×8, first 2 shown]
	s_delay_alu instid0(VALU_DEP_3) | instskip(SKIP_1) | instid1(VALU_DEP_3)
	v_add_co_u32 v31, vcc_lo, v33, v30
	s_wait_alu 0xfffd
	v_add_co_ci_u32_e64 v32, null, 0, v34, vcc_lo
	s_mov_b32 s1, -1
	v_add_co_u32 v29, vcc_lo, v31, v29
	s_wait_alu 0xfffd
	v_add_co_ci_u32_e64 v30, null, 0, v32, vcc_lo
	s_delay_alu instid0(VALU_DEP_2) | instskip(SKIP_1) | instid1(VALU_DEP_2)
	v_add_co_u32 v27, vcc_lo, v29, v62
	s_wait_alu 0xfffd
	v_add_co_ci_u32_e64 v28, null, 0, v30, vcc_lo
	s_delay_alu instid0(VALU_DEP_2) | instskip(SKIP_1) | instid1(VALU_DEP_2)
	v_add_co_u32 v21, vcc_lo, v27, v67
	s_wait_alu 0xfffd
	v_add_co_ci_u32_e64 v22, null, 0, v28, vcc_lo
	s_wait_dscnt 0x0
	v_cmp_gt_u64_e32 vcc_lo, 0x181, v[5:6]
	v_add_co_u32 v25, s0, v21, v66
	s_wait_alu 0xf1ff
	v_add_co_ci_u32_e64 v26, null, 0, v22, s0
	v_and_b32_e32 v66, 1, v53
	s_delay_alu instid0(VALU_DEP_3) | instskip(SKIP_1) | instid1(VALU_DEP_3)
	v_add_co_u32 v23, s0, v25, v65
	s_wait_alu 0xf1ff
	v_add_co_ci_u32_e64 v24, null, 0, v26, s0
	s_and_b32 vcc_lo, exec_lo, vcc_lo
	v_add_co_u32 v19, s0, v23, v60
	s_wait_alu 0xf1ff
	v_add_co_ci_u32_e64 v20, null, 0, v24, s0
	s_delay_alu instid0(VALU_DEP_2) | instskip(SKIP_1) | instid1(VALU_DEP_2)
	v_add_co_u32 v11, s0, v19, v54
	s_wait_alu 0xf1ff
	v_add_co_ci_u32_e64 v12, null, 0, v20, s0
	v_cmp_eq_u32_e64 s0, 1, v66
	s_wait_alu 0xfffe
	s_cbranch_vccnz .LBB434_144
; %bb.141:
	s_and_b32 vcc_lo, exec_lo, s1
	s_wait_alu 0xfffe
	s_cbranch_vccnz .LBB434_181
.LBB434_142:
	s_and_b32 s0, s2, s19
	s_wait_alu 0xfffe
	s_and_saveexec_b32 s1, s0
	s_cbranch_execnz .LBB434_220
.LBB434_143:
	s_endpgm
.LBB434_144:
	v_add_co_u32 v53, vcc_lo, v7, v5
	s_wait_alu 0xfffd
	v_add_co_ci_u32_e64 v54, null, v8, v6, vcc_lo
	v_add_co_u32 v65, s1, s24, v9
	s_wait_alu 0xf1ff
	v_add_co_ci_u32_e64 v67, null, s25, v10, s1
	s_delay_alu instid0(VALU_DEP_3)
	v_cmp_lt_u64_e32 vcc_lo, v[41:42], v[53:54]
	s_or_b32 s1, s22, vcc_lo
	s_wait_alu 0xfffe
	s_and_b32 s1, s1, s0
	s_wait_alu 0xfffe
	s_and_saveexec_b32 s0, s1
	s_cbranch_execz .LBB434_146
; %bb.145:
	v_lshlrev_b64_e32 v[76:77], 1, v[41:42]
	s_delay_alu instid0(VALU_DEP_1) | instskip(SKIP_1) | instid1(VALU_DEP_2)
	v_add_co_u32 v76, vcc_lo, v65, v76
	s_wait_alu 0xfffd
	v_add_co_ci_u32_e64 v77, null, v67, v77, vcc_lo
	global_store_b16 v[76:77], v56, off
.LBB434_146:
	s_wait_alu 0xfffe
	s_or_b32 exec_lo, exec_lo, s0
	v_and_b32_e32 v42, 1, v75
	v_cmp_lt_u64_e32 vcc_lo, v[51:52], v[53:54]
	s_delay_alu instid0(VALU_DEP_2)
	v_cmp_eq_u32_e64 s0, 1, v42
	s_or_b32 s1, s22, vcc_lo
	s_wait_alu 0xfffe
	s_and_b32 s1, s1, s0
	s_wait_alu 0xfffe
	s_and_saveexec_b32 s0, s1
	s_cbranch_execz .LBB434_148
; %bb.147:
	v_lshlrev_b64_e32 v[76:77], 1, v[51:52]
	s_delay_alu instid0(VALU_DEP_1) | instskip(SKIP_1) | instid1(VALU_DEP_2)
	v_add_co_u32 v76, vcc_lo, v65, v76
	s_wait_alu 0xfffd
	v_add_co_ci_u32_e64 v77, null, v67, v77, vcc_lo
	global_store_d16_hi_b16 v[76:77], v56, off
.LBB434_148:
	s_wait_alu 0xfffe
	s_or_b32 exec_lo, exec_lo, s0
	v_and_b32_e32 v42, 1, v74
	v_cmp_lt_u64_e32 vcc_lo, v[49:50], v[53:54]
	s_delay_alu instid0(VALU_DEP_2)
	v_cmp_eq_u32_e64 s0, 1, v42
	s_or_b32 s1, s22, vcc_lo
	s_wait_alu 0xfffe
	s_and_b32 s1, s1, s0
	s_wait_alu 0xfffe
	s_and_saveexec_b32 s0, s1
	s_cbranch_execz .LBB434_150
; %bb.149:
	v_lshlrev_b64_e32 v[76:77], 1, v[49:50]
	s_delay_alu instid0(VALU_DEP_1) | instskip(SKIP_1) | instid1(VALU_DEP_2)
	v_add_co_u32 v76, vcc_lo, v65, v76
	s_wait_alu 0xfffd
	v_add_co_ci_u32_e64 v77, null, v67, v77, vcc_lo
	global_store_b16 v[76:77], v55, off
.LBB434_150:
	s_wait_alu 0xfffe
	s_or_b32 exec_lo, exec_lo, s0
	v_and_b32_e32 v42, 1, v64
	v_cmp_lt_u64_e32 vcc_lo, v[47:48], v[53:54]
	s_delay_alu instid0(VALU_DEP_2)
	v_cmp_eq_u32_e64 s0, 1, v42
	s_or_b32 s1, s22, vcc_lo
	s_wait_alu 0xfffe
	s_and_b32 s1, s1, s0
	s_wait_alu 0xfffe
	s_and_saveexec_b32 s0, s1
	s_cbranch_execz .LBB434_152
; %bb.151:
	v_lshlrev_b64_e32 v[76:77], 1, v[47:48]
	s_delay_alu instid0(VALU_DEP_1) | instskip(SKIP_1) | instid1(VALU_DEP_2)
	v_add_co_u32 v76, vcc_lo, v65, v76
	s_wait_alu 0xfffd
	v_add_co_ci_u32_e64 v77, null, v67, v77, vcc_lo
	global_store_b16 v[76:77], v1, off
.LBB434_152:
	s_wait_alu 0xfffe
	s_or_b32 exec_lo, exec_lo, s0
	v_and_b32_e32 v42, 1, v61
	v_cmp_lt_u64_e32 vcc_lo, v[45:46], v[53:54]
	s_delay_alu instid0(VALU_DEP_2)
	v_cmp_eq_u32_e64 s0, 1, v42
	s_or_b32 s1, s22, vcc_lo
	s_wait_alu 0xfffe
	s_and_b32 s1, s1, s0
	s_wait_alu 0xfffe
	s_and_saveexec_b32 s0, s1
	s_cbranch_execz .LBB434_154
; %bb.153:
	v_lshlrev_b64_e32 v[76:77], 1, v[45:46]
	s_delay_alu instid0(VALU_DEP_1) | instskip(SKIP_1) | instid1(VALU_DEP_2)
	v_add_co_u32 v76, vcc_lo, v65, v76
	s_wait_alu 0xfffd
	v_add_co_ci_u32_e64 v77, null, v67, v77, vcc_lo
	global_store_d16_hi_b16 v[76:77], v1, off
.LBB434_154:
	s_wait_alu 0xfffe
	s_or_b32 exec_lo, exec_lo, s0
	v_and_b32_e32 v42, 1, v73
	v_cmp_lt_u64_e32 vcc_lo, v[43:44], v[53:54]
	s_delay_alu instid0(VALU_DEP_2)
	v_cmp_eq_u32_e64 s0, 1, v42
	s_or_b32 s1, s22, vcc_lo
	s_wait_alu 0xfffe
	s_and_b32 s1, s1, s0
	s_wait_alu 0xfffe
	s_and_saveexec_b32 s0, s1
	s_cbranch_execz .LBB434_156
; %bb.155:
	v_lshlrev_b64_e32 v[76:77], 1, v[43:44]
	s_delay_alu instid0(VALU_DEP_1) | instskip(SKIP_1) | instid1(VALU_DEP_2)
	v_add_co_u32 v76, vcc_lo, v65, v76
	s_wait_alu 0xfffd
	v_add_co_ci_u32_e64 v77, null, v67, v77, vcc_lo
	global_store_b16 v[76:77], v2, off
.LBB434_156:
	s_wait_alu 0xfffe
	s_or_b32 exec_lo, exec_lo, s0
	v_and_b32_e32 v42, 1, v72
	v_cmp_lt_u64_e32 vcc_lo, v[39:40], v[53:54]
	s_delay_alu instid0(VALU_DEP_2)
	v_cmp_eq_u32_e64 s0, 1, v42
	s_or_b32 s1, s22, vcc_lo
	s_wait_alu 0xfffe
	s_and_b32 s1, s1, s0
	s_wait_alu 0xfffe
	s_and_saveexec_b32 s0, s1
	s_cbranch_execz .LBB434_158
; %bb.157:
	v_lshlrev_b64_e32 v[76:77], 1, v[39:40]
	s_delay_alu instid0(VALU_DEP_1) | instskip(SKIP_1) | instid1(VALU_DEP_2)
	v_add_co_u32 v76, vcc_lo, v65, v76
	s_wait_alu 0xfffd
	v_add_co_ci_u32_e64 v77, null, v67, v77, vcc_lo
	global_store_d16_hi_b16 v[76:77], v2, off
.LBB434_158:
	;; [unrolled: 40-line block ×7, first 2 shown]
	s_wait_alu 0xfffe
	s_or_b32 exec_lo, exec_lo, s0
	v_cmp_lt_u64_e32 vcc_lo, v[11:12], v[53:54]
	s_or_b32 s0, s22, vcc_lo
	s_wait_alu 0xfffe
	s_and_b32 s1, s0, s23
	s_wait_alu 0xfffe
	s_and_saveexec_b32 s0, s1
	s_cbranch_execz .LBB434_180
; %bb.179:
	v_lshlrev_b64_e32 v[52:53], 1, v[11:12]
	s_delay_alu instid0(VALU_DEP_1) | instskip(SKIP_1) | instid1(VALU_DEP_2)
	v_add_co_u32 v52, vcc_lo, v65, v52
	s_wait_alu 0xfffd
	v_add_co_ci_u32_e64 v53, null, v67, v53, vcc_lo
	global_store_b16 v[52:53], v16, off
.LBB434_180:
	s_wait_alu 0xfffe
	s_or_b32 exec_lo, exec_lo, s0
	s_branch .LBB434_142
.LBB434_181:
	s_mov_b32 s0, exec_lo
	v_cmpx_eq_u32_e32 1, v66
; %bb.182:
	v_sub_nc_u32_e32 v12, v41, v7
	s_delay_alu instid0(VALU_DEP_1)
	v_lshlrev_b32_e32 v12, 1, v12
	ds_store_b16 v12, v56
; %bb.183:
	s_wait_alu 0xfffe
	s_or_b32 exec_lo, exec_lo, s0
	v_and_b32_e32 v12, 1, v75
	s_mov_b32 s0, exec_lo
	s_delay_alu instid0(VALU_DEP_1)
	v_cmpx_eq_u32_e32 1, v12
; %bb.184:
	v_sub_nc_u32_e32 v12, v51, v7
	s_delay_alu instid0(VALU_DEP_1)
	v_lshlrev_b32_e32 v12, 1, v12
	ds_store_b16_d16_hi v12, v56
; %bb.185:
	s_wait_alu 0xfffe
	s_or_b32 exec_lo, exec_lo, s0
	v_and_b32_e32 v12, 1, v74
	s_mov_b32 s0, exec_lo
	s_delay_alu instid0(VALU_DEP_1)
	v_cmpx_eq_u32_e32 1, v12
; %bb.186:
	v_sub_nc_u32_e32 v12, v49, v7
	s_delay_alu instid0(VALU_DEP_1)
	v_lshlrev_b32_e32 v12, 1, v12
	ds_store_b16 v12, v55
; %bb.187:
	s_wait_alu 0xfffe
	s_or_b32 exec_lo, exec_lo, s0
	v_and_b32_e32 v12, 1, v64
	s_mov_b32 s0, exec_lo
	s_delay_alu instid0(VALU_DEP_1)
	v_cmpx_eq_u32_e32 1, v12
; %bb.188:
	v_sub_nc_u32_e32 v12, v47, v7
	s_delay_alu instid0(VALU_DEP_1)
	v_lshlrev_b32_e32 v12, 1, v12
	ds_store_b16 v12, v1
; %bb.189:
	s_wait_alu 0xfffe
	s_or_b32 exec_lo, exec_lo, s0
	v_and_b32_e32 v12, 1, v61
	s_mov_b32 s0, exec_lo
	s_delay_alu instid0(VALU_DEP_1)
	v_cmpx_eq_u32_e32 1, v12
; %bb.190:
	v_sub_nc_u32_e32 v12, v45, v7
	s_delay_alu instid0(VALU_DEP_1)
	v_lshlrev_b32_e32 v12, 1, v12
	ds_store_b16_d16_hi v12, v1
; %bb.191:
	s_wait_alu 0xfffe
	s_or_b32 exec_lo, exec_lo, s0
	v_and_b32_e32 v1, 1, v73
	s_mov_b32 s0, exec_lo
	s_delay_alu instid0(VALU_DEP_1)
	v_cmpx_eq_u32_e32 1, v1
; %bb.192:
	v_sub_nc_u32_e32 v1, v43, v7
	s_delay_alu instid0(VALU_DEP_1)
	v_lshlrev_b32_e32 v1, 1, v1
	ds_store_b16 v1, v2
; %bb.193:
	s_wait_alu 0xfffe
	s_or_b32 exec_lo, exec_lo, s0
	v_and_b32_e32 v1, 1, v72
	s_mov_b32 s0, exec_lo
	s_delay_alu instid0(VALU_DEP_1)
	v_cmpx_eq_u32_e32 1, v1
; %bb.194:
	v_sub_nc_u32_e32 v1, v39, v7
	s_delay_alu instid0(VALU_DEP_1)
	v_lshlrev_b32_e32 v1, 1, v1
	ds_store_b16_d16_hi v1, v2
	;; [unrolled: 24-line block ×7, first 2 shown]
; %bb.215:
	s_wait_alu 0xfffe
	s_or_b32 exec_lo, exec_lo, s0
	s_and_saveexec_b32 s0, s23
; %bb.216:
	v_sub_nc_u32_e32 v1, v11, v7
	s_delay_alu instid0(VALU_DEP_1)
	v_lshlrev_b32_e32 v1, 1, v1
	ds_store_b16 v1, v16
; %bb.217:
	s_wait_alu 0xfffe
	s_or_b32 exec_lo, exec_lo, s0
	v_lshlrev_b64_e32 v[2:3], 1, v[7:8]
	v_mov_b32_e32 v1, 0
	s_mov_b32 s1, 0
	s_wait_storecnt 0x0
	s_wait_loadcnt_dscnt 0x0
	s_barrier_signal -1
	s_barrier_wait -1
	v_add_co_u32 v4, vcc_lo, s24, v2
	s_wait_alu 0xfffd
	v_add_co_ci_u32_e64 v11, null, s25, v3, vcc_lo
	v_dual_mov_b32 v3, v1 :: v_dual_mov_b32 v2, v0
	s_delay_alu instid0(VALU_DEP_3) | instskip(SKIP_1) | instid1(VALU_DEP_3)
	v_add_co_u32 v4, vcc_lo, v4, v9
	s_wait_alu 0xfffd
	v_add_co_ci_u32_e64 v9, null, v11, v10, vcc_lo
	v_add_nc_u32_e32 v0, 0x180, v0
	global_inv scope:SCOPE_SE
.LBB434_218:                            ; =>This Inner Loop Header: Depth=1
	v_lshlrev_b32_e32 v10, 1, v2
	v_cmp_le_u64_e32 vcc_lo, v[5:6], v[0:1]
	ds_load_u16 v12, v10
	v_lshlrev_b64_e32 v[10:11], 1, v[2:3]
	v_dual_mov_b32 v3, v1 :: v_dual_mov_b32 v2, v0
	v_add_nc_u32_e32 v0, 0x180, v0
	s_wait_alu 0xfffe
	s_or_b32 s1, vcc_lo, s1
	s_delay_alu instid0(VALU_DEP_3)
	v_add_co_u32 v10, s0, v4, v10
	s_wait_alu 0xf1ff
	v_add_co_ci_u32_e64 v11, null, v9, v11, s0
	s_wait_dscnt 0x0
	global_store_b16 v[10:11], v12, off
	s_wait_alu 0xfffe
	s_and_not1_b32 exec_lo, exec_lo, s1
	s_cbranch_execnz .LBB434_218
; %bb.219:
	s_or_b32 exec_lo, exec_lo, s1
	s_and_b32 s0, s2, s19
	s_wait_alu 0xfffe
	s_and_saveexec_b32 s1, s0
	s_cbranch_execz .LBB434_143
.LBB434_220:
	v_add_co_u32 v0, vcc_lo, v7, v5
	s_wait_alu 0xfffd
	v_add_co_ci_u32_e64 v1, null, v8, v6, vcc_lo
	v_mov_b32_e32 v2, 0
	s_delay_alu instid0(VALU_DEP_3) | instskip(SKIP_1) | instid1(VALU_DEP_3)
	v_add_co_u32 v0, vcc_lo, v0, v17
	s_wait_alu 0xfffd
	v_add_co_ci_u32_e64 v1, null, v1, v18, vcc_lo
	global_store_b64 v2, v[0:1], s[20:21]
	s_endpgm
	.section	.rodata,"a",@progbits
	.p2align	6, 0x0
	.amdhsa_kernel _ZN7rocprim17ROCPRIM_400000_NS6detail17trampoline_kernelINS0_14default_configENS1_25partition_config_selectorILNS1_17partition_subalgoE6EtNS0_10empty_typeEbEEZZNS1_14partition_implILS5_6ELb0ES3_mN6thrust23THRUST_200600_302600_NS6detail15normal_iteratorINSA_10device_ptrItEEEEPS6_SG_NS0_5tupleIJSF_S6_EEENSH_IJSG_SG_EEES6_PlJNSB_9not_fun_tINSB_14equal_to_valueItEEEEEEE10hipError_tPvRmT3_T4_T5_T6_T7_T9_mT8_P12ihipStream_tbDpT10_ENKUlT_T0_E_clISt17integral_constantIbLb0EES17_IbLb1EEEEDaS13_S14_EUlS13_E_NS1_11comp_targetILNS1_3genE10ELNS1_11target_archE1200ELNS1_3gpuE4ELNS1_3repE0EEENS1_30default_config_static_selectorELNS0_4arch9wavefront6targetE0EEEvT1_
		.amdhsa_group_segment_fixed_size 13840
		.amdhsa_private_segment_fixed_size 0
		.amdhsa_kernarg_size 128
		.amdhsa_user_sgpr_count 2
		.amdhsa_user_sgpr_dispatch_ptr 0
		.amdhsa_user_sgpr_queue_ptr 0
		.amdhsa_user_sgpr_kernarg_segment_ptr 1
		.amdhsa_user_sgpr_dispatch_id 0
		.amdhsa_user_sgpr_private_segment_size 0
		.amdhsa_wavefront_size32 1
		.amdhsa_uses_dynamic_stack 0
		.amdhsa_enable_private_segment 0
		.amdhsa_system_sgpr_workgroup_id_x 1
		.amdhsa_system_sgpr_workgroup_id_y 0
		.amdhsa_system_sgpr_workgroup_id_z 0
		.amdhsa_system_sgpr_workgroup_info 0
		.amdhsa_system_vgpr_workitem_id 0
		.amdhsa_next_free_vgpr 78
		.amdhsa_next_free_sgpr 31
		.amdhsa_reserve_vcc 1
		.amdhsa_float_round_mode_32 0
		.amdhsa_float_round_mode_16_64 0
		.amdhsa_float_denorm_mode_32 3
		.amdhsa_float_denorm_mode_16_64 3
		.amdhsa_fp16_overflow 0
		.amdhsa_workgroup_processor_mode 1
		.amdhsa_memory_ordered 1
		.amdhsa_forward_progress 1
		.amdhsa_inst_pref_size 93
		.amdhsa_round_robin_scheduling 0
		.amdhsa_exception_fp_ieee_invalid_op 0
		.amdhsa_exception_fp_denorm_src 0
		.amdhsa_exception_fp_ieee_div_zero 0
		.amdhsa_exception_fp_ieee_overflow 0
		.amdhsa_exception_fp_ieee_underflow 0
		.amdhsa_exception_fp_ieee_inexact 0
		.amdhsa_exception_int_div_zero 0
	.end_amdhsa_kernel
	.section	.text._ZN7rocprim17ROCPRIM_400000_NS6detail17trampoline_kernelINS0_14default_configENS1_25partition_config_selectorILNS1_17partition_subalgoE6EtNS0_10empty_typeEbEEZZNS1_14partition_implILS5_6ELb0ES3_mN6thrust23THRUST_200600_302600_NS6detail15normal_iteratorINSA_10device_ptrItEEEEPS6_SG_NS0_5tupleIJSF_S6_EEENSH_IJSG_SG_EEES6_PlJNSB_9not_fun_tINSB_14equal_to_valueItEEEEEEE10hipError_tPvRmT3_T4_T5_T6_T7_T9_mT8_P12ihipStream_tbDpT10_ENKUlT_T0_E_clISt17integral_constantIbLb0EES17_IbLb1EEEEDaS13_S14_EUlS13_E_NS1_11comp_targetILNS1_3genE10ELNS1_11target_archE1200ELNS1_3gpuE4ELNS1_3repE0EEENS1_30default_config_static_selectorELNS0_4arch9wavefront6targetE0EEEvT1_,"axG",@progbits,_ZN7rocprim17ROCPRIM_400000_NS6detail17trampoline_kernelINS0_14default_configENS1_25partition_config_selectorILNS1_17partition_subalgoE6EtNS0_10empty_typeEbEEZZNS1_14partition_implILS5_6ELb0ES3_mN6thrust23THRUST_200600_302600_NS6detail15normal_iteratorINSA_10device_ptrItEEEEPS6_SG_NS0_5tupleIJSF_S6_EEENSH_IJSG_SG_EEES6_PlJNSB_9not_fun_tINSB_14equal_to_valueItEEEEEEE10hipError_tPvRmT3_T4_T5_T6_T7_T9_mT8_P12ihipStream_tbDpT10_ENKUlT_T0_E_clISt17integral_constantIbLb0EES17_IbLb1EEEEDaS13_S14_EUlS13_E_NS1_11comp_targetILNS1_3genE10ELNS1_11target_archE1200ELNS1_3gpuE4ELNS1_3repE0EEENS1_30default_config_static_selectorELNS0_4arch9wavefront6targetE0EEEvT1_,comdat
.Lfunc_end434:
	.size	_ZN7rocprim17ROCPRIM_400000_NS6detail17trampoline_kernelINS0_14default_configENS1_25partition_config_selectorILNS1_17partition_subalgoE6EtNS0_10empty_typeEbEEZZNS1_14partition_implILS5_6ELb0ES3_mN6thrust23THRUST_200600_302600_NS6detail15normal_iteratorINSA_10device_ptrItEEEEPS6_SG_NS0_5tupleIJSF_S6_EEENSH_IJSG_SG_EEES6_PlJNSB_9not_fun_tINSB_14equal_to_valueItEEEEEEE10hipError_tPvRmT3_T4_T5_T6_T7_T9_mT8_P12ihipStream_tbDpT10_ENKUlT_T0_E_clISt17integral_constantIbLb0EES17_IbLb1EEEEDaS13_S14_EUlS13_E_NS1_11comp_targetILNS1_3genE10ELNS1_11target_archE1200ELNS1_3gpuE4ELNS1_3repE0EEENS1_30default_config_static_selectorELNS0_4arch9wavefront6targetE0EEEvT1_, .Lfunc_end434-_ZN7rocprim17ROCPRIM_400000_NS6detail17trampoline_kernelINS0_14default_configENS1_25partition_config_selectorILNS1_17partition_subalgoE6EtNS0_10empty_typeEbEEZZNS1_14partition_implILS5_6ELb0ES3_mN6thrust23THRUST_200600_302600_NS6detail15normal_iteratorINSA_10device_ptrItEEEEPS6_SG_NS0_5tupleIJSF_S6_EEENSH_IJSG_SG_EEES6_PlJNSB_9not_fun_tINSB_14equal_to_valueItEEEEEEE10hipError_tPvRmT3_T4_T5_T6_T7_T9_mT8_P12ihipStream_tbDpT10_ENKUlT_T0_E_clISt17integral_constantIbLb0EES17_IbLb1EEEEDaS13_S14_EUlS13_E_NS1_11comp_targetILNS1_3genE10ELNS1_11target_archE1200ELNS1_3gpuE4ELNS1_3repE0EEENS1_30default_config_static_selectorELNS0_4arch9wavefront6targetE0EEEvT1_
                                        ; -- End function
	.set _ZN7rocprim17ROCPRIM_400000_NS6detail17trampoline_kernelINS0_14default_configENS1_25partition_config_selectorILNS1_17partition_subalgoE6EtNS0_10empty_typeEbEEZZNS1_14partition_implILS5_6ELb0ES3_mN6thrust23THRUST_200600_302600_NS6detail15normal_iteratorINSA_10device_ptrItEEEEPS6_SG_NS0_5tupleIJSF_S6_EEENSH_IJSG_SG_EEES6_PlJNSB_9not_fun_tINSB_14equal_to_valueItEEEEEEE10hipError_tPvRmT3_T4_T5_T6_T7_T9_mT8_P12ihipStream_tbDpT10_ENKUlT_T0_E_clISt17integral_constantIbLb0EES17_IbLb1EEEEDaS13_S14_EUlS13_E_NS1_11comp_targetILNS1_3genE10ELNS1_11target_archE1200ELNS1_3gpuE4ELNS1_3repE0EEENS1_30default_config_static_selectorELNS0_4arch9wavefront6targetE0EEEvT1_.num_vgpr, 78
	.set _ZN7rocprim17ROCPRIM_400000_NS6detail17trampoline_kernelINS0_14default_configENS1_25partition_config_selectorILNS1_17partition_subalgoE6EtNS0_10empty_typeEbEEZZNS1_14partition_implILS5_6ELb0ES3_mN6thrust23THRUST_200600_302600_NS6detail15normal_iteratorINSA_10device_ptrItEEEEPS6_SG_NS0_5tupleIJSF_S6_EEENSH_IJSG_SG_EEES6_PlJNSB_9not_fun_tINSB_14equal_to_valueItEEEEEEE10hipError_tPvRmT3_T4_T5_T6_T7_T9_mT8_P12ihipStream_tbDpT10_ENKUlT_T0_E_clISt17integral_constantIbLb0EES17_IbLb1EEEEDaS13_S14_EUlS13_E_NS1_11comp_targetILNS1_3genE10ELNS1_11target_archE1200ELNS1_3gpuE4ELNS1_3repE0EEENS1_30default_config_static_selectorELNS0_4arch9wavefront6targetE0EEEvT1_.num_agpr, 0
	.set _ZN7rocprim17ROCPRIM_400000_NS6detail17trampoline_kernelINS0_14default_configENS1_25partition_config_selectorILNS1_17partition_subalgoE6EtNS0_10empty_typeEbEEZZNS1_14partition_implILS5_6ELb0ES3_mN6thrust23THRUST_200600_302600_NS6detail15normal_iteratorINSA_10device_ptrItEEEEPS6_SG_NS0_5tupleIJSF_S6_EEENSH_IJSG_SG_EEES6_PlJNSB_9not_fun_tINSB_14equal_to_valueItEEEEEEE10hipError_tPvRmT3_T4_T5_T6_T7_T9_mT8_P12ihipStream_tbDpT10_ENKUlT_T0_E_clISt17integral_constantIbLb0EES17_IbLb1EEEEDaS13_S14_EUlS13_E_NS1_11comp_targetILNS1_3genE10ELNS1_11target_archE1200ELNS1_3gpuE4ELNS1_3repE0EEENS1_30default_config_static_selectorELNS0_4arch9wavefront6targetE0EEEvT1_.numbered_sgpr, 31
	.set _ZN7rocprim17ROCPRIM_400000_NS6detail17trampoline_kernelINS0_14default_configENS1_25partition_config_selectorILNS1_17partition_subalgoE6EtNS0_10empty_typeEbEEZZNS1_14partition_implILS5_6ELb0ES3_mN6thrust23THRUST_200600_302600_NS6detail15normal_iteratorINSA_10device_ptrItEEEEPS6_SG_NS0_5tupleIJSF_S6_EEENSH_IJSG_SG_EEES6_PlJNSB_9not_fun_tINSB_14equal_to_valueItEEEEEEE10hipError_tPvRmT3_T4_T5_T6_T7_T9_mT8_P12ihipStream_tbDpT10_ENKUlT_T0_E_clISt17integral_constantIbLb0EES17_IbLb1EEEEDaS13_S14_EUlS13_E_NS1_11comp_targetILNS1_3genE10ELNS1_11target_archE1200ELNS1_3gpuE4ELNS1_3repE0EEENS1_30default_config_static_selectorELNS0_4arch9wavefront6targetE0EEEvT1_.num_named_barrier, 0
	.set _ZN7rocprim17ROCPRIM_400000_NS6detail17trampoline_kernelINS0_14default_configENS1_25partition_config_selectorILNS1_17partition_subalgoE6EtNS0_10empty_typeEbEEZZNS1_14partition_implILS5_6ELb0ES3_mN6thrust23THRUST_200600_302600_NS6detail15normal_iteratorINSA_10device_ptrItEEEEPS6_SG_NS0_5tupleIJSF_S6_EEENSH_IJSG_SG_EEES6_PlJNSB_9not_fun_tINSB_14equal_to_valueItEEEEEEE10hipError_tPvRmT3_T4_T5_T6_T7_T9_mT8_P12ihipStream_tbDpT10_ENKUlT_T0_E_clISt17integral_constantIbLb0EES17_IbLb1EEEEDaS13_S14_EUlS13_E_NS1_11comp_targetILNS1_3genE10ELNS1_11target_archE1200ELNS1_3gpuE4ELNS1_3repE0EEENS1_30default_config_static_selectorELNS0_4arch9wavefront6targetE0EEEvT1_.private_seg_size, 0
	.set _ZN7rocprim17ROCPRIM_400000_NS6detail17trampoline_kernelINS0_14default_configENS1_25partition_config_selectorILNS1_17partition_subalgoE6EtNS0_10empty_typeEbEEZZNS1_14partition_implILS5_6ELb0ES3_mN6thrust23THRUST_200600_302600_NS6detail15normal_iteratorINSA_10device_ptrItEEEEPS6_SG_NS0_5tupleIJSF_S6_EEENSH_IJSG_SG_EEES6_PlJNSB_9not_fun_tINSB_14equal_to_valueItEEEEEEE10hipError_tPvRmT3_T4_T5_T6_T7_T9_mT8_P12ihipStream_tbDpT10_ENKUlT_T0_E_clISt17integral_constantIbLb0EES17_IbLb1EEEEDaS13_S14_EUlS13_E_NS1_11comp_targetILNS1_3genE10ELNS1_11target_archE1200ELNS1_3gpuE4ELNS1_3repE0EEENS1_30default_config_static_selectorELNS0_4arch9wavefront6targetE0EEEvT1_.uses_vcc, 1
	.set _ZN7rocprim17ROCPRIM_400000_NS6detail17trampoline_kernelINS0_14default_configENS1_25partition_config_selectorILNS1_17partition_subalgoE6EtNS0_10empty_typeEbEEZZNS1_14partition_implILS5_6ELb0ES3_mN6thrust23THRUST_200600_302600_NS6detail15normal_iteratorINSA_10device_ptrItEEEEPS6_SG_NS0_5tupleIJSF_S6_EEENSH_IJSG_SG_EEES6_PlJNSB_9not_fun_tINSB_14equal_to_valueItEEEEEEE10hipError_tPvRmT3_T4_T5_T6_T7_T9_mT8_P12ihipStream_tbDpT10_ENKUlT_T0_E_clISt17integral_constantIbLb0EES17_IbLb1EEEEDaS13_S14_EUlS13_E_NS1_11comp_targetILNS1_3genE10ELNS1_11target_archE1200ELNS1_3gpuE4ELNS1_3repE0EEENS1_30default_config_static_selectorELNS0_4arch9wavefront6targetE0EEEvT1_.uses_flat_scratch, 1
	.set _ZN7rocprim17ROCPRIM_400000_NS6detail17trampoline_kernelINS0_14default_configENS1_25partition_config_selectorILNS1_17partition_subalgoE6EtNS0_10empty_typeEbEEZZNS1_14partition_implILS5_6ELb0ES3_mN6thrust23THRUST_200600_302600_NS6detail15normal_iteratorINSA_10device_ptrItEEEEPS6_SG_NS0_5tupleIJSF_S6_EEENSH_IJSG_SG_EEES6_PlJNSB_9not_fun_tINSB_14equal_to_valueItEEEEEEE10hipError_tPvRmT3_T4_T5_T6_T7_T9_mT8_P12ihipStream_tbDpT10_ENKUlT_T0_E_clISt17integral_constantIbLb0EES17_IbLb1EEEEDaS13_S14_EUlS13_E_NS1_11comp_targetILNS1_3genE10ELNS1_11target_archE1200ELNS1_3gpuE4ELNS1_3repE0EEENS1_30default_config_static_selectorELNS0_4arch9wavefront6targetE0EEEvT1_.has_dyn_sized_stack, 0
	.set _ZN7rocprim17ROCPRIM_400000_NS6detail17trampoline_kernelINS0_14default_configENS1_25partition_config_selectorILNS1_17partition_subalgoE6EtNS0_10empty_typeEbEEZZNS1_14partition_implILS5_6ELb0ES3_mN6thrust23THRUST_200600_302600_NS6detail15normal_iteratorINSA_10device_ptrItEEEEPS6_SG_NS0_5tupleIJSF_S6_EEENSH_IJSG_SG_EEES6_PlJNSB_9not_fun_tINSB_14equal_to_valueItEEEEEEE10hipError_tPvRmT3_T4_T5_T6_T7_T9_mT8_P12ihipStream_tbDpT10_ENKUlT_T0_E_clISt17integral_constantIbLb0EES17_IbLb1EEEEDaS13_S14_EUlS13_E_NS1_11comp_targetILNS1_3genE10ELNS1_11target_archE1200ELNS1_3gpuE4ELNS1_3repE0EEENS1_30default_config_static_selectorELNS0_4arch9wavefront6targetE0EEEvT1_.has_recursion, 0
	.set _ZN7rocprim17ROCPRIM_400000_NS6detail17trampoline_kernelINS0_14default_configENS1_25partition_config_selectorILNS1_17partition_subalgoE6EtNS0_10empty_typeEbEEZZNS1_14partition_implILS5_6ELb0ES3_mN6thrust23THRUST_200600_302600_NS6detail15normal_iteratorINSA_10device_ptrItEEEEPS6_SG_NS0_5tupleIJSF_S6_EEENSH_IJSG_SG_EEES6_PlJNSB_9not_fun_tINSB_14equal_to_valueItEEEEEEE10hipError_tPvRmT3_T4_T5_T6_T7_T9_mT8_P12ihipStream_tbDpT10_ENKUlT_T0_E_clISt17integral_constantIbLb0EES17_IbLb1EEEEDaS13_S14_EUlS13_E_NS1_11comp_targetILNS1_3genE10ELNS1_11target_archE1200ELNS1_3gpuE4ELNS1_3repE0EEENS1_30default_config_static_selectorELNS0_4arch9wavefront6targetE0EEEvT1_.has_indirect_call, 0
	.section	.AMDGPU.csdata,"",@progbits
; Kernel info:
; codeLenInByte = 11844
; TotalNumSgprs: 33
; NumVgprs: 78
; ScratchSize: 0
; MemoryBound: 0
; FloatMode: 240
; IeeeMode: 1
; LDSByteSize: 13840 bytes/workgroup (compile time only)
; SGPRBlocks: 0
; VGPRBlocks: 9
; NumSGPRsForWavesPerEU: 33
; NumVGPRsForWavesPerEU: 78
; Occupancy: 15
; WaveLimiterHint : 1
; COMPUTE_PGM_RSRC2:SCRATCH_EN: 0
; COMPUTE_PGM_RSRC2:USER_SGPR: 2
; COMPUTE_PGM_RSRC2:TRAP_HANDLER: 0
; COMPUTE_PGM_RSRC2:TGID_X_EN: 1
; COMPUTE_PGM_RSRC2:TGID_Y_EN: 0
; COMPUTE_PGM_RSRC2:TGID_Z_EN: 0
; COMPUTE_PGM_RSRC2:TIDIG_COMP_CNT: 0
	.section	.text._ZN7rocprim17ROCPRIM_400000_NS6detail17trampoline_kernelINS0_14default_configENS1_25partition_config_selectorILNS1_17partition_subalgoE6EtNS0_10empty_typeEbEEZZNS1_14partition_implILS5_6ELb0ES3_mN6thrust23THRUST_200600_302600_NS6detail15normal_iteratorINSA_10device_ptrItEEEEPS6_SG_NS0_5tupleIJSF_S6_EEENSH_IJSG_SG_EEES6_PlJNSB_9not_fun_tINSB_14equal_to_valueItEEEEEEE10hipError_tPvRmT3_T4_T5_T6_T7_T9_mT8_P12ihipStream_tbDpT10_ENKUlT_T0_E_clISt17integral_constantIbLb0EES17_IbLb1EEEEDaS13_S14_EUlS13_E_NS1_11comp_targetILNS1_3genE9ELNS1_11target_archE1100ELNS1_3gpuE3ELNS1_3repE0EEENS1_30default_config_static_selectorELNS0_4arch9wavefront6targetE0EEEvT1_,"axG",@progbits,_ZN7rocprim17ROCPRIM_400000_NS6detail17trampoline_kernelINS0_14default_configENS1_25partition_config_selectorILNS1_17partition_subalgoE6EtNS0_10empty_typeEbEEZZNS1_14partition_implILS5_6ELb0ES3_mN6thrust23THRUST_200600_302600_NS6detail15normal_iteratorINSA_10device_ptrItEEEEPS6_SG_NS0_5tupleIJSF_S6_EEENSH_IJSG_SG_EEES6_PlJNSB_9not_fun_tINSB_14equal_to_valueItEEEEEEE10hipError_tPvRmT3_T4_T5_T6_T7_T9_mT8_P12ihipStream_tbDpT10_ENKUlT_T0_E_clISt17integral_constantIbLb0EES17_IbLb1EEEEDaS13_S14_EUlS13_E_NS1_11comp_targetILNS1_3genE9ELNS1_11target_archE1100ELNS1_3gpuE3ELNS1_3repE0EEENS1_30default_config_static_selectorELNS0_4arch9wavefront6targetE0EEEvT1_,comdat
	.protected	_ZN7rocprim17ROCPRIM_400000_NS6detail17trampoline_kernelINS0_14default_configENS1_25partition_config_selectorILNS1_17partition_subalgoE6EtNS0_10empty_typeEbEEZZNS1_14partition_implILS5_6ELb0ES3_mN6thrust23THRUST_200600_302600_NS6detail15normal_iteratorINSA_10device_ptrItEEEEPS6_SG_NS0_5tupleIJSF_S6_EEENSH_IJSG_SG_EEES6_PlJNSB_9not_fun_tINSB_14equal_to_valueItEEEEEEE10hipError_tPvRmT3_T4_T5_T6_T7_T9_mT8_P12ihipStream_tbDpT10_ENKUlT_T0_E_clISt17integral_constantIbLb0EES17_IbLb1EEEEDaS13_S14_EUlS13_E_NS1_11comp_targetILNS1_3genE9ELNS1_11target_archE1100ELNS1_3gpuE3ELNS1_3repE0EEENS1_30default_config_static_selectorELNS0_4arch9wavefront6targetE0EEEvT1_ ; -- Begin function _ZN7rocprim17ROCPRIM_400000_NS6detail17trampoline_kernelINS0_14default_configENS1_25partition_config_selectorILNS1_17partition_subalgoE6EtNS0_10empty_typeEbEEZZNS1_14partition_implILS5_6ELb0ES3_mN6thrust23THRUST_200600_302600_NS6detail15normal_iteratorINSA_10device_ptrItEEEEPS6_SG_NS0_5tupleIJSF_S6_EEENSH_IJSG_SG_EEES6_PlJNSB_9not_fun_tINSB_14equal_to_valueItEEEEEEE10hipError_tPvRmT3_T4_T5_T6_T7_T9_mT8_P12ihipStream_tbDpT10_ENKUlT_T0_E_clISt17integral_constantIbLb0EES17_IbLb1EEEEDaS13_S14_EUlS13_E_NS1_11comp_targetILNS1_3genE9ELNS1_11target_archE1100ELNS1_3gpuE3ELNS1_3repE0EEENS1_30default_config_static_selectorELNS0_4arch9wavefront6targetE0EEEvT1_
	.globl	_ZN7rocprim17ROCPRIM_400000_NS6detail17trampoline_kernelINS0_14default_configENS1_25partition_config_selectorILNS1_17partition_subalgoE6EtNS0_10empty_typeEbEEZZNS1_14partition_implILS5_6ELb0ES3_mN6thrust23THRUST_200600_302600_NS6detail15normal_iteratorINSA_10device_ptrItEEEEPS6_SG_NS0_5tupleIJSF_S6_EEENSH_IJSG_SG_EEES6_PlJNSB_9not_fun_tINSB_14equal_to_valueItEEEEEEE10hipError_tPvRmT3_T4_T5_T6_T7_T9_mT8_P12ihipStream_tbDpT10_ENKUlT_T0_E_clISt17integral_constantIbLb0EES17_IbLb1EEEEDaS13_S14_EUlS13_E_NS1_11comp_targetILNS1_3genE9ELNS1_11target_archE1100ELNS1_3gpuE3ELNS1_3repE0EEENS1_30default_config_static_selectorELNS0_4arch9wavefront6targetE0EEEvT1_
	.p2align	8
	.type	_ZN7rocprim17ROCPRIM_400000_NS6detail17trampoline_kernelINS0_14default_configENS1_25partition_config_selectorILNS1_17partition_subalgoE6EtNS0_10empty_typeEbEEZZNS1_14partition_implILS5_6ELb0ES3_mN6thrust23THRUST_200600_302600_NS6detail15normal_iteratorINSA_10device_ptrItEEEEPS6_SG_NS0_5tupleIJSF_S6_EEENSH_IJSG_SG_EEES6_PlJNSB_9not_fun_tINSB_14equal_to_valueItEEEEEEE10hipError_tPvRmT3_T4_T5_T6_T7_T9_mT8_P12ihipStream_tbDpT10_ENKUlT_T0_E_clISt17integral_constantIbLb0EES17_IbLb1EEEEDaS13_S14_EUlS13_E_NS1_11comp_targetILNS1_3genE9ELNS1_11target_archE1100ELNS1_3gpuE3ELNS1_3repE0EEENS1_30default_config_static_selectorELNS0_4arch9wavefront6targetE0EEEvT1_,@function
_ZN7rocprim17ROCPRIM_400000_NS6detail17trampoline_kernelINS0_14default_configENS1_25partition_config_selectorILNS1_17partition_subalgoE6EtNS0_10empty_typeEbEEZZNS1_14partition_implILS5_6ELb0ES3_mN6thrust23THRUST_200600_302600_NS6detail15normal_iteratorINSA_10device_ptrItEEEEPS6_SG_NS0_5tupleIJSF_S6_EEENSH_IJSG_SG_EEES6_PlJNSB_9not_fun_tINSB_14equal_to_valueItEEEEEEE10hipError_tPvRmT3_T4_T5_T6_T7_T9_mT8_P12ihipStream_tbDpT10_ENKUlT_T0_E_clISt17integral_constantIbLb0EES17_IbLb1EEEEDaS13_S14_EUlS13_E_NS1_11comp_targetILNS1_3genE9ELNS1_11target_archE1100ELNS1_3gpuE3ELNS1_3repE0EEENS1_30default_config_static_selectorELNS0_4arch9wavefront6targetE0EEEvT1_: ; @_ZN7rocprim17ROCPRIM_400000_NS6detail17trampoline_kernelINS0_14default_configENS1_25partition_config_selectorILNS1_17partition_subalgoE6EtNS0_10empty_typeEbEEZZNS1_14partition_implILS5_6ELb0ES3_mN6thrust23THRUST_200600_302600_NS6detail15normal_iteratorINSA_10device_ptrItEEEEPS6_SG_NS0_5tupleIJSF_S6_EEENSH_IJSG_SG_EEES6_PlJNSB_9not_fun_tINSB_14equal_to_valueItEEEEEEE10hipError_tPvRmT3_T4_T5_T6_T7_T9_mT8_P12ihipStream_tbDpT10_ENKUlT_T0_E_clISt17integral_constantIbLb0EES17_IbLb1EEEEDaS13_S14_EUlS13_E_NS1_11comp_targetILNS1_3genE9ELNS1_11target_archE1100ELNS1_3gpuE3ELNS1_3repE0EEENS1_30default_config_static_selectorELNS0_4arch9wavefront6targetE0EEEvT1_
; %bb.0:
	.section	.rodata,"a",@progbits
	.p2align	6, 0x0
	.amdhsa_kernel _ZN7rocprim17ROCPRIM_400000_NS6detail17trampoline_kernelINS0_14default_configENS1_25partition_config_selectorILNS1_17partition_subalgoE6EtNS0_10empty_typeEbEEZZNS1_14partition_implILS5_6ELb0ES3_mN6thrust23THRUST_200600_302600_NS6detail15normal_iteratorINSA_10device_ptrItEEEEPS6_SG_NS0_5tupleIJSF_S6_EEENSH_IJSG_SG_EEES6_PlJNSB_9not_fun_tINSB_14equal_to_valueItEEEEEEE10hipError_tPvRmT3_T4_T5_T6_T7_T9_mT8_P12ihipStream_tbDpT10_ENKUlT_T0_E_clISt17integral_constantIbLb0EES17_IbLb1EEEEDaS13_S14_EUlS13_E_NS1_11comp_targetILNS1_3genE9ELNS1_11target_archE1100ELNS1_3gpuE3ELNS1_3repE0EEENS1_30default_config_static_selectorELNS0_4arch9wavefront6targetE0EEEvT1_
		.amdhsa_group_segment_fixed_size 0
		.amdhsa_private_segment_fixed_size 0
		.amdhsa_kernarg_size 128
		.amdhsa_user_sgpr_count 2
		.amdhsa_user_sgpr_dispatch_ptr 0
		.amdhsa_user_sgpr_queue_ptr 0
		.amdhsa_user_sgpr_kernarg_segment_ptr 1
		.amdhsa_user_sgpr_dispatch_id 0
		.amdhsa_user_sgpr_private_segment_size 0
		.amdhsa_wavefront_size32 1
		.amdhsa_uses_dynamic_stack 0
		.amdhsa_enable_private_segment 0
		.amdhsa_system_sgpr_workgroup_id_x 1
		.amdhsa_system_sgpr_workgroup_id_y 0
		.amdhsa_system_sgpr_workgroup_id_z 0
		.amdhsa_system_sgpr_workgroup_info 0
		.amdhsa_system_vgpr_workitem_id 0
		.amdhsa_next_free_vgpr 1
		.amdhsa_next_free_sgpr 1
		.amdhsa_reserve_vcc 0
		.amdhsa_float_round_mode_32 0
		.amdhsa_float_round_mode_16_64 0
		.amdhsa_float_denorm_mode_32 3
		.amdhsa_float_denorm_mode_16_64 3
		.amdhsa_fp16_overflow 0
		.amdhsa_workgroup_processor_mode 1
		.amdhsa_memory_ordered 1
		.amdhsa_forward_progress 1
		.amdhsa_inst_pref_size 0
		.amdhsa_round_robin_scheduling 0
		.amdhsa_exception_fp_ieee_invalid_op 0
		.amdhsa_exception_fp_denorm_src 0
		.amdhsa_exception_fp_ieee_div_zero 0
		.amdhsa_exception_fp_ieee_overflow 0
		.amdhsa_exception_fp_ieee_underflow 0
		.amdhsa_exception_fp_ieee_inexact 0
		.amdhsa_exception_int_div_zero 0
	.end_amdhsa_kernel
	.section	.text._ZN7rocprim17ROCPRIM_400000_NS6detail17trampoline_kernelINS0_14default_configENS1_25partition_config_selectorILNS1_17partition_subalgoE6EtNS0_10empty_typeEbEEZZNS1_14partition_implILS5_6ELb0ES3_mN6thrust23THRUST_200600_302600_NS6detail15normal_iteratorINSA_10device_ptrItEEEEPS6_SG_NS0_5tupleIJSF_S6_EEENSH_IJSG_SG_EEES6_PlJNSB_9not_fun_tINSB_14equal_to_valueItEEEEEEE10hipError_tPvRmT3_T4_T5_T6_T7_T9_mT8_P12ihipStream_tbDpT10_ENKUlT_T0_E_clISt17integral_constantIbLb0EES17_IbLb1EEEEDaS13_S14_EUlS13_E_NS1_11comp_targetILNS1_3genE9ELNS1_11target_archE1100ELNS1_3gpuE3ELNS1_3repE0EEENS1_30default_config_static_selectorELNS0_4arch9wavefront6targetE0EEEvT1_,"axG",@progbits,_ZN7rocprim17ROCPRIM_400000_NS6detail17trampoline_kernelINS0_14default_configENS1_25partition_config_selectorILNS1_17partition_subalgoE6EtNS0_10empty_typeEbEEZZNS1_14partition_implILS5_6ELb0ES3_mN6thrust23THRUST_200600_302600_NS6detail15normal_iteratorINSA_10device_ptrItEEEEPS6_SG_NS0_5tupleIJSF_S6_EEENSH_IJSG_SG_EEES6_PlJNSB_9not_fun_tINSB_14equal_to_valueItEEEEEEE10hipError_tPvRmT3_T4_T5_T6_T7_T9_mT8_P12ihipStream_tbDpT10_ENKUlT_T0_E_clISt17integral_constantIbLb0EES17_IbLb1EEEEDaS13_S14_EUlS13_E_NS1_11comp_targetILNS1_3genE9ELNS1_11target_archE1100ELNS1_3gpuE3ELNS1_3repE0EEENS1_30default_config_static_selectorELNS0_4arch9wavefront6targetE0EEEvT1_,comdat
.Lfunc_end435:
	.size	_ZN7rocprim17ROCPRIM_400000_NS6detail17trampoline_kernelINS0_14default_configENS1_25partition_config_selectorILNS1_17partition_subalgoE6EtNS0_10empty_typeEbEEZZNS1_14partition_implILS5_6ELb0ES3_mN6thrust23THRUST_200600_302600_NS6detail15normal_iteratorINSA_10device_ptrItEEEEPS6_SG_NS0_5tupleIJSF_S6_EEENSH_IJSG_SG_EEES6_PlJNSB_9not_fun_tINSB_14equal_to_valueItEEEEEEE10hipError_tPvRmT3_T4_T5_T6_T7_T9_mT8_P12ihipStream_tbDpT10_ENKUlT_T0_E_clISt17integral_constantIbLb0EES17_IbLb1EEEEDaS13_S14_EUlS13_E_NS1_11comp_targetILNS1_3genE9ELNS1_11target_archE1100ELNS1_3gpuE3ELNS1_3repE0EEENS1_30default_config_static_selectorELNS0_4arch9wavefront6targetE0EEEvT1_, .Lfunc_end435-_ZN7rocprim17ROCPRIM_400000_NS6detail17trampoline_kernelINS0_14default_configENS1_25partition_config_selectorILNS1_17partition_subalgoE6EtNS0_10empty_typeEbEEZZNS1_14partition_implILS5_6ELb0ES3_mN6thrust23THRUST_200600_302600_NS6detail15normal_iteratorINSA_10device_ptrItEEEEPS6_SG_NS0_5tupleIJSF_S6_EEENSH_IJSG_SG_EEES6_PlJNSB_9not_fun_tINSB_14equal_to_valueItEEEEEEE10hipError_tPvRmT3_T4_T5_T6_T7_T9_mT8_P12ihipStream_tbDpT10_ENKUlT_T0_E_clISt17integral_constantIbLb0EES17_IbLb1EEEEDaS13_S14_EUlS13_E_NS1_11comp_targetILNS1_3genE9ELNS1_11target_archE1100ELNS1_3gpuE3ELNS1_3repE0EEENS1_30default_config_static_selectorELNS0_4arch9wavefront6targetE0EEEvT1_
                                        ; -- End function
	.set _ZN7rocprim17ROCPRIM_400000_NS6detail17trampoline_kernelINS0_14default_configENS1_25partition_config_selectorILNS1_17partition_subalgoE6EtNS0_10empty_typeEbEEZZNS1_14partition_implILS5_6ELb0ES3_mN6thrust23THRUST_200600_302600_NS6detail15normal_iteratorINSA_10device_ptrItEEEEPS6_SG_NS0_5tupleIJSF_S6_EEENSH_IJSG_SG_EEES6_PlJNSB_9not_fun_tINSB_14equal_to_valueItEEEEEEE10hipError_tPvRmT3_T4_T5_T6_T7_T9_mT8_P12ihipStream_tbDpT10_ENKUlT_T0_E_clISt17integral_constantIbLb0EES17_IbLb1EEEEDaS13_S14_EUlS13_E_NS1_11comp_targetILNS1_3genE9ELNS1_11target_archE1100ELNS1_3gpuE3ELNS1_3repE0EEENS1_30default_config_static_selectorELNS0_4arch9wavefront6targetE0EEEvT1_.num_vgpr, 0
	.set _ZN7rocprim17ROCPRIM_400000_NS6detail17trampoline_kernelINS0_14default_configENS1_25partition_config_selectorILNS1_17partition_subalgoE6EtNS0_10empty_typeEbEEZZNS1_14partition_implILS5_6ELb0ES3_mN6thrust23THRUST_200600_302600_NS6detail15normal_iteratorINSA_10device_ptrItEEEEPS6_SG_NS0_5tupleIJSF_S6_EEENSH_IJSG_SG_EEES6_PlJNSB_9not_fun_tINSB_14equal_to_valueItEEEEEEE10hipError_tPvRmT3_T4_T5_T6_T7_T9_mT8_P12ihipStream_tbDpT10_ENKUlT_T0_E_clISt17integral_constantIbLb0EES17_IbLb1EEEEDaS13_S14_EUlS13_E_NS1_11comp_targetILNS1_3genE9ELNS1_11target_archE1100ELNS1_3gpuE3ELNS1_3repE0EEENS1_30default_config_static_selectorELNS0_4arch9wavefront6targetE0EEEvT1_.num_agpr, 0
	.set _ZN7rocprim17ROCPRIM_400000_NS6detail17trampoline_kernelINS0_14default_configENS1_25partition_config_selectorILNS1_17partition_subalgoE6EtNS0_10empty_typeEbEEZZNS1_14partition_implILS5_6ELb0ES3_mN6thrust23THRUST_200600_302600_NS6detail15normal_iteratorINSA_10device_ptrItEEEEPS6_SG_NS0_5tupleIJSF_S6_EEENSH_IJSG_SG_EEES6_PlJNSB_9not_fun_tINSB_14equal_to_valueItEEEEEEE10hipError_tPvRmT3_T4_T5_T6_T7_T9_mT8_P12ihipStream_tbDpT10_ENKUlT_T0_E_clISt17integral_constantIbLb0EES17_IbLb1EEEEDaS13_S14_EUlS13_E_NS1_11comp_targetILNS1_3genE9ELNS1_11target_archE1100ELNS1_3gpuE3ELNS1_3repE0EEENS1_30default_config_static_selectorELNS0_4arch9wavefront6targetE0EEEvT1_.numbered_sgpr, 0
	.set _ZN7rocprim17ROCPRIM_400000_NS6detail17trampoline_kernelINS0_14default_configENS1_25partition_config_selectorILNS1_17partition_subalgoE6EtNS0_10empty_typeEbEEZZNS1_14partition_implILS5_6ELb0ES3_mN6thrust23THRUST_200600_302600_NS6detail15normal_iteratorINSA_10device_ptrItEEEEPS6_SG_NS0_5tupleIJSF_S6_EEENSH_IJSG_SG_EEES6_PlJNSB_9not_fun_tINSB_14equal_to_valueItEEEEEEE10hipError_tPvRmT3_T4_T5_T6_T7_T9_mT8_P12ihipStream_tbDpT10_ENKUlT_T0_E_clISt17integral_constantIbLb0EES17_IbLb1EEEEDaS13_S14_EUlS13_E_NS1_11comp_targetILNS1_3genE9ELNS1_11target_archE1100ELNS1_3gpuE3ELNS1_3repE0EEENS1_30default_config_static_selectorELNS0_4arch9wavefront6targetE0EEEvT1_.num_named_barrier, 0
	.set _ZN7rocprim17ROCPRIM_400000_NS6detail17trampoline_kernelINS0_14default_configENS1_25partition_config_selectorILNS1_17partition_subalgoE6EtNS0_10empty_typeEbEEZZNS1_14partition_implILS5_6ELb0ES3_mN6thrust23THRUST_200600_302600_NS6detail15normal_iteratorINSA_10device_ptrItEEEEPS6_SG_NS0_5tupleIJSF_S6_EEENSH_IJSG_SG_EEES6_PlJNSB_9not_fun_tINSB_14equal_to_valueItEEEEEEE10hipError_tPvRmT3_T4_T5_T6_T7_T9_mT8_P12ihipStream_tbDpT10_ENKUlT_T0_E_clISt17integral_constantIbLb0EES17_IbLb1EEEEDaS13_S14_EUlS13_E_NS1_11comp_targetILNS1_3genE9ELNS1_11target_archE1100ELNS1_3gpuE3ELNS1_3repE0EEENS1_30default_config_static_selectorELNS0_4arch9wavefront6targetE0EEEvT1_.private_seg_size, 0
	.set _ZN7rocprim17ROCPRIM_400000_NS6detail17trampoline_kernelINS0_14default_configENS1_25partition_config_selectorILNS1_17partition_subalgoE6EtNS0_10empty_typeEbEEZZNS1_14partition_implILS5_6ELb0ES3_mN6thrust23THRUST_200600_302600_NS6detail15normal_iteratorINSA_10device_ptrItEEEEPS6_SG_NS0_5tupleIJSF_S6_EEENSH_IJSG_SG_EEES6_PlJNSB_9not_fun_tINSB_14equal_to_valueItEEEEEEE10hipError_tPvRmT3_T4_T5_T6_T7_T9_mT8_P12ihipStream_tbDpT10_ENKUlT_T0_E_clISt17integral_constantIbLb0EES17_IbLb1EEEEDaS13_S14_EUlS13_E_NS1_11comp_targetILNS1_3genE9ELNS1_11target_archE1100ELNS1_3gpuE3ELNS1_3repE0EEENS1_30default_config_static_selectorELNS0_4arch9wavefront6targetE0EEEvT1_.uses_vcc, 0
	.set _ZN7rocprim17ROCPRIM_400000_NS6detail17trampoline_kernelINS0_14default_configENS1_25partition_config_selectorILNS1_17partition_subalgoE6EtNS0_10empty_typeEbEEZZNS1_14partition_implILS5_6ELb0ES3_mN6thrust23THRUST_200600_302600_NS6detail15normal_iteratorINSA_10device_ptrItEEEEPS6_SG_NS0_5tupleIJSF_S6_EEENSH_IJSG_SG_EEES6_PlJNSB_9not_fun_tINSB_14equal_to_valueItEEEEEEE10hipError_tPvRmT3_T4_T5_T6_T7_T9_mT8_P12ihipStream_tbDpT10_ENKUlT_T0_E_clISt17integral_constantIbLb0EES17_IbLb1EEEEDaS13_S14_EUlS13_E_NS1_11comp_targetILNS1_3genE9ELNS1_11target_archE1100ELNS1_3gpuE3ELNS1_3repE0EEENS1_30default_config_static_selectorELNS0_4arch9wavefront6targetE0EEEvT1_.uses_flat_scratch, 0
	.set _ZN7rocprim17ROCPRIM_400000_NS6detail17trampoline_kernelINS0_14default_configENS1_25partition_config_selectorILNS1_17partition_subalgoE6EtNS0_10empty_typeEbEEZZNS1_14partition_implILS5_6ELb0ES3_mN6thrust23THRUST_200600_302600_NS6detail15normal_iteratorINSA_10device_ptrItEEEEPS6_SG_NS0_5tupleIJSF_S6_EEENSH_IJSG_SG_EEES6_PlJNSB_9not_fun_tINSB_14equal_to_valueItEEEEEEE10hipError_tPvRmT3_T4_T5_T6_T7_T9_mT8_P12ihipStream_tbDpT10_ENKUlT_T0_E_clISt17integral_constantIbLb0EES17_IbLb1EEEEDaS13_S14_EUlS13_E_NS1_11comp_targetILNS1_3genE9ELNS1_11target_archE1100ELNS1_3gpuE3ELNS1_3repE0EEENS1_30default_config_static_selectorELNS0_4arch9wavefront6targetE0EEEvT1_.has_dyn_sized_stack, 0
	.set _ZN7rocprim17ROCPRIM_400000_NS6detail17trampoline_kernelINS0_14default_configENS1_25partition_config_selectorILNS1_17partition_subalgoE6EtNS0_10empty_typeEbEEZZNS1_14partition_implILS5_6ELb0ES3_mN6thrust23THRUST_200600_302600_NS6detail15normal_iteratorINSA_10device_ptrItEEEEPS6_SG_NS0_5tupleIJSF_S6_EEENSH_IJSG_SG_EEES6_PlJNSB_9not_fun_tINSB_14equal_to_valueItEEEEEEE10hipError_tPvRmT3_T4_T5_T6_T7_T9_mT8_P12ihipStream_tbDpT10_ENKUlT_T0_E_clISt17integral_constantIbLb0EES17_IbLb1EEEEDaS13_S14_EUlS13_E_NS1_11comp_targetILNS1_3genE9ELNS1_11target_archE1100ELNS1_3gpuE3ELNS1_3repE0EEENS1_30default_config_static_selectorELNS0_4arch9wavefront6targetE0EEEvT1_.has_recursion, 0
	.set _ZN7rocprim17ROCPRIM_400000_NS6detail17trampoline_kernelINS0_14default_configENS1_25partition_config_selectorILNS1_17partition_subalgoE6EtNS0_10empty_typeEbEEZZNS1_14partition_implILS5_6ELb0ES3_mN6thrust23THRUST_200600_302600_NS6detail15normal_iteratorINSA_10device_ptrItEEEEPS6_SG_NS0_5tupleIJSF_S6_EEENSH_IJSG_SG_EEES6_PlJNSB_9not_fun_tINSB_14equal_to_valueItEEEEEEE10hipError_tPvRmT3_T4_T5_T6_T7_T9_mT8_P12ihipStream_tbDpT10_ENKUlT_T0_E_clISt17integral_constantIbLb0EES17_IbLb1EEEEDaS13_S14_EUlS13_E_NS1_11comp_targetILNS1_3genE9ELNS1_11target_archE1100ELNS1_3gpuE3ELNS1_3repE0EEENS1_30default_config_static_selectorELNS0_4arch9wavefront6targetE0EEEvT1_.has_indirect_call, 0
	.section	.AMDGPU.csdata,"",@progbits
; Kernel info:
; codeLenInByte = 0
; TotalNumSgprs: 0
; NumVgprs: 0
; ScratchSize: 0
; MemoryBound: 0
; FloatMode: 240
; IeeeMode: 1
; LDSByteSize: 0 bytes/workgroup (compile time only)
; SGPRBlocks: 0
; VGPRBlocks: 0
; NumSGPRsForWavesPerEU: 1
; NumVGPRsForWavesPerEU: 1
; Occupancy: 16
; WaveLimiterHint : 0
; COMPUTE_PGM_RSRC2:SCRATCH_EN: 0
; COMPUTE_PGM_RSRC2:USER_SGPR: 2
; COMPUTE_PGM_RSRC2:TRAP_HANDLER: 0
; COMPUTE_PGM_RSRC2:TGID_X_EN: 1
; COMPUTE_PGM_RSRC2:TGID_Y_EN: 0
; COMPUTE_PGM_RSRC2:TGID_Z_EN: 0
; COMPUTE_PGM_RSRC2:TIDIG_COMP_CNT: 0
	.section	.text._ZN7rocprim17ROCPRIM_400000_NS6detail17trampoline_kernelINS0_14default_configENS1_25partition_config_selectorILNS1_17partition_subalgoE6EtNS0_10empty_typeEbEEZZNS1_14partition_implILS5_6ELb0ES3_mN6thrust23THRUST_200600_302600_NS6detail15normal_iteratorINSA_10device_ptrItEEEEPS6_SG_NS0_5tupleIJSF_S6_EEENSH_IJSG_SG_EEES6_PlJNSB_9not_fun_tINSB_14equal_to_valueItEEEEEEE10hipError_tPvRmT3_T4_T5_T6_T7_T9_mT8_P12ihipStream_tbDpT10_ENKUlT_T0_E_clISt17integral_constantIbLb0EES17_IbLb1EEEEDaS13_S14_EUlS13_E_NS1_11comp_targetILNS1_3genE8ELNS1_11target_archE1030ELNS1_3gpuE2ELNS1_3repE0EEENS1_30default_config_static_selectorELNS0_4arch9wavefront6targetE0EEEvT1_,"axG",@progbits,_ZN7rocprim17ROCPRIM_400000_NS6detail17trampoline_kernelINS0_14default_configENS1_25partition_config_selectorILNS1_17partition_subalgoE6EtNS0_10empty_typeEbEEZZNS1_14partition_implILS5_6ELb0ES3_mN6thrust23THRUST_200600_302600_NS6detail15normal_iteratorINSA_10device_ptrItEEEEPS6_SG_NS0_5tupleIJSF_S6_EEENSH_IJSG_SG_EEES6_PlJNSB_9not_fun_tINSB_14equal_to_valueItEEEEEEE10hipError_tPvRmT3_T4_T5_T6_T7_T9_mT8_P12ihipStream_tbDpT10_ENKUlT_T0_E_clISt17integral_constantIbLb0EES17_IbLb1EEEEDaS13_S14_EUlS13_E_NS1_11comp_targetILNS1_3genE8ELNS1_11target_archE1030ELNS1_3gpuE2ELNS1_3repE0EEENS1_30default_config_static_selectorELNS0_4arch9wavefront6targetE0EEEvT1_,comdat
	.protected	_ZN7rocprim17ROCPRIM_400000_NS6detail17trampoline_kernelINS0_14default_configENS1_25partition_config_selectorILNS1_17partition_subalgoE6EtNS0_10empty_typeEbEEZZNS1_14partition_implILS5_6ELb0ES3_mN6thrust23THRUST_200600_302600_NS6detail15normal_iteratorINSA_10device_ptrItEEEEPS6_SG_NS0_5tupleIJSF_S6_EEENSH_IJSG_SG_EEES6_PlJNSB_9not_fun_tINSB_14equal_to_valueItEEEEEEE10hipError_tPvRmT3_T4_T5_T6_T7_T9_mT8_P12ihipStream_tbDpT10_ENKUlT_T0_E_clISt17integral_constantIbLb0EES17_IbLb1EEEEDaS13_S14_EUlS13_E_NS1_11comp_targetILNS1_3genE8ELNS1_11target_archE1030ELNS1_3gpuE2ELNS1_3repE0EEENS1_30default_config_static_selectorELNS0_4arch9wavefront6targetE0EEEvT1_ ; -- Begin function _ZN7rocprim17ROCPRIM_400000_NS6detail17trampoline_kernelINS0_14default_configENS1_25partition_config_selectorILNS1_17partition_subalgoE6EtNS0_10empty_typeEbEEZZNS1_14partition_implILS5_6ELb0ES3_mN6thrust23THRUST_200600_302600_NS6detail15normal_iteratorINSA_10device_ptrItEEEEPS6_SG_NS0_5tupleIJSF_S6_EEENSH_IJSG_SG_EEES6_PlJNSB_9not_fun_tINSB_14equal_to_valueItEEEEEEE10hipError_tPvRmT3_T4_T5_T6_T7_T9_mT8_P12ihipStream_tbDpT10_ENKUlT_T0_E_clISt17integral_constantIbLb0EES17_IbLb1EEEEDaS13_S14_EUlS13_E_NS1_11comp_targetILNS1_3genE8ELNS1_11target_archE1030ELNS1_3gpuE2ELNS1_3repE0EEENS1_30default_config_static_selectorELNS0_4arch9wavefront6targetE0EEEvT1_
	.globl	_ZN7rocprim17ROCPRIM_400000_NS6detail17trampoline_kernelINS0_14default_configENS1_25partition_config_selectorILNS1_17partition_subalgoE6EtNS0_10empty_typeEbEEZZNS1_14partition_implILS5_6ELb0ES3_mN6thrust23THRUST_200600_302600_NS6detail15normal_iteratorINSA_10device_ptrItEEEEPS6_SG_NS0_5tupleIJSF_S6_EEENSH_IJSG_SG_EEES6_PlJNSB_9not_fun_tINSB_14equal_to_valueItEEEEEEE10hipError_tPvRmT3_T4_T5_T6_T7_T9_mT8_P12ihipStream_tbDpT10_ENKUlT_T0_E_clISt17integral_constantIbLb0EES17_IbLb1EEEEDaS13_S14_EUlS13_E_NS1_11comp_targetILNS1_3genE8ELNS1_11target_archE1030ELNS1_3gpuE2ELNS1_3repE0EEENS1_30default_config_static_selectorELNS0_4arch9wavefront6targetE0EEEvT1_
	.p2align	8
	.type	_ZN7rocprim17ROCPRIM_400000_NS6detail17trampoline_kernelINS0_14default_configENS1_25partition_config_selectorILNS1_17partition_subalgoE6EtNS0_10empty_typeEbEEZZNS1_14partition_implILS5_6ELb0ES3_mN6thrust23THRUST_200600_302600_NS6detail15normal_iteratorINSA_10device_ptrItEEEEPS6_SG_NS0_5tupleIJSF_S6_EEENSH_IJSG_SG_EEES6_PlJNSB_9not_fun_tINSB_14equal_to_valueItEEEEEEE10hipError_tPvRmT3_T4_T5_T6_T7_T9_mT8_P12ihipStream_tbDpT10_ENKUlT_T0_E_clISt17integral_constantIbLb0EES17_IbLb1EEEEDaS13_S14_EUlS13_E_NS1_11comp_targetILNS1_3genE8ELNS1_11target_archE1030ELNS1_3gpuE2ELNS1_3repE0EEENS1_30default_config_static_selectorELNS0_4arch9wavefront6targetE0EEEvT1_,@function
_ZN7rocprim17ROCPRIM_400000_NS6detail17trampoline_kernelINS0_14default_configENS1_25partition_config_selectorILNS1_17partition_subalgoE6EtNS0_10empty_typeEbEEZZNS1_14partition_implILS5_6ELb0ES3_mN6thrust23THRUST_200600_302600_NS6detail15normal_iteratorINSA_10device_ptrItEEEEPS6_SG_NS0_5tupleIJSF_S6_EEENSH_IJSG_SG_EEES6_PlJNSB_9not_fun_tINSB_14equal_to_valueItEEEEEEE10hipError_tPvRmT3_T4_T5_T6_T7_T9_mT8_P12ihipStream_tbDpT10_ENKUlT_T0_E_clISt17integral_constantIbLb0EES17_IbLb1EEEEDaS13_S14_EUlS13_E_NS1_11comp_targetILNS1_3genE8ELNS1_11target_archE1030ELNS1_3gpuE2ELNS1_3repE0EEENS1_30default_config_static_selectorELNS0_4arch9wavefront6targetE0EEEvT1_: ; @_ZN7rocprim17ROCPRIM_400000_NS6detail17trampoline_kernelINS0_14default_configENS1_25partition_config_selectorILNS1_17partition_subalgoE6EtNS0_10empty_typeEbEEZZNS1_14partition_implILS5_6ELb0ES3_mN6thrust23THRUST_200600_302600_NS6detail15normal_iteratorINSA_10device_ptrItEEEEPS6_SG_NS0_5tupleIJSF_S6_EEENSH_IJSG_SG_EEES6_PlJNSB_9not_fun_tINSB_14equal_to_valueItEEEEEEE10hipError_tPvRmT3_T4_T5_T6_T7_T9_mT8_P12ihipStream_tbDpT10_ENKUlT_T0_E_clISt17integral_constantIbLb0EES17_IbLb1EEEEDaS13_S14_EUlS13_E_NS1_11comp_targetILNS1_3genE8ELNS1_11target_archE1030ELNS1_3gpuE2ELNS1_3repE0EEENS1_30default_config_static_selectorELNS0_4arch9wavefront6targetE0EEEvT1_
; %bb.0:
	.section	.rodata,"a",@progbits
	.p2align	6, 0x0
	.amdhsa_kernel _ZN7rocprim17ROCPRIM_400000_NS6detail17trampoline_kernelINS0_14default_configENS1_25partition_config_selectorILNS1_17partition_subalgoE6EtNS0_10empty_typeEbEEZZNS1_14partition_implILS5_6ELb0ES3_mN6thrust23THRUST_200600_302600_NS6detail15normal_iteratorINSA_10device_ptrItEEEEPS6_SG_NS0_5tupleIJSF_S6_EEENSH_IJSG_SG_EEES6_PlJNSB_9not_fun_tINSB_14equal_to_valueItEEEEEEE10hipError_tPvRmT3_T4_T5_T6_T7_T9_mT8_P12ihipStream_tbDpT10_ENKUlT_T0_E_clISt17integral_constantIbLb0EES17_IbLb1EEEEDaS13_S14_EUlS13_E_NS1_11comp_targetILNS1_3genE8ELNS1_11target_archE1030ELNS1_3gpuE2ELNS1_3repE0EEENS1_30default_config_static_selectorELNS0_4arch9wavefront6targetE0EEEvT1_
		.amdhsa_group_segment_fixed_size 0
		.amdhsa_private_segment_fixed_size 0
		.amdhsa_kernarg_size 128
		.amdhsa_user_sgpr_count 2
		.amdhsa_user_sgpr_dispatch_ptr 0
		.amdhsa_user_sgpr_queue_ptr 0
		.amdhsa_user_sgpr_kernarg_segment_ptr 1
		.amdhsa_user_sgpr_dispatch_id 0
		.amdhsa_user_sgpr_private_segment_size 0
		.amdhsa_wavefront_size32 1
		.amdhsa_uses_dynamic_stack 0
		.amdhsa_enable_private_segment 0
		.amdhsa_system_sgpr_workgroup_id_x 1
		.amdhsa_system_sgpr_workgroup_id_y 0
		.amdhsa_system_sgpr_workgroup_id_z 0
		.amdhsa_system_sgpr_workgroup_info 0
		.amdhsa_system_vgpr_workitem_id 0
		.amdhsa_next_free_vgpr 1
		.amdhsa_next_free_sgpr 1
		.amdhsa_reserve_vcc 0
		.amdhsa_float_round_mode_32 0
		.amdhsa_float_round_mode_16_64 0
		.amdhsa_float_denorm_mode_32 3
		.amdhsa_float_denorm_mode_16_64 3
		.amdhsa_fp16_overflow 0
		.amdhsa_workgroup_processor_mode 1
		.amdhsa_memory_ordered 1
		.amdhsa_forward_progress 1
		.amdhsa_inst_pref_size 0
		.amdhsa_round_robin_scheduling 0
		.amdhsa_exception_fp_ieee_invalid_op 0
		.amdhsa_exception_fp_denorm_src 0
		.amdhsa_exception_fp_ieee_div_zero 0
		.amdhsa_exception_fp_ieee_overflow 0
		.amdhsa_exception_fp_ieee_underflow 0
		.amdhsa_exception_fp_ieee_inexact 0
		.amdhsa_exception_int_div_zero 0
	.end_amdhsa_kernel
	.section	.text._ZN7rocprim17ROCPRIM_400000_NS6detail17trampoline_kernelINS0_14default_configENS1_25partition_config_selectorILNS1_17partition_subalgoE6EtNS0_10empty_typeEbEEZZNS1_14partition_implILS5_6ELb0ES3_mN6thrust23THRUST_200600_302600_NS6detail15normal_iteratorINSA_10device_ptrItEEEEPS6_SG_NS0_5tupleIJSF_S6_EEENSH_IJSG_SG_EEES6_PlJNSB_9not_fun_tINSB_14equal_to_valueItEEEEEEE10hipError_tPvRmT3_T4_T5_T6_T7_T9_mT8_P12ihipStream_tbDpT10_ENKUlT_T0_E_clISt17integral_constantIbLb0EES17_IbLb1EEEEDaS13_S14_EUlS13_E_NS1_11comp_targetILNS1_3genE8ELNS1_11target_archE1030ELNS1_3gpuE2ELNS1_3repE0EEENS1_30default_config_static_selectorELNS0_4arch9wavefront6targetE0EEEvT1_,"axG",@progbits,_ZN7rocprim17ROCPRIM_400000_NS6detail17trampoline_kernelINS0_14default_configENS1_25partition_config_selectorILNS1_17partition_subalgoE6EtNS0_10empty_typeEbEEZZNS1_14partition_implILS5_6ELb0ES3_mN6thrust23THRUST_200600_302600_NS6detail15normal_iteratorINSA_10device_ptrItEEEEPS6_SG_NS0_5tupleIJSF_S6_EEENSH_IJSG_SG_EEES6_PlJNSB_9not_fun_tINSB_14equal_to_valueItEEEEEEE10hipError_tPvRmT3_T4_T5_T6_T7_T9_mT8_P12ihipStream_tbDpT10_ENKUlT_T0_E_clISt17integral_constantIbLb0EES17_IbLb1EEEEDaS13_S14_EUlS13_E_NS1_11comp_targetILNS1_3genE8ELNS1_11target_archE1030ELNS1_3gpuE2ELNS1_3repE0EEENS1_30default_config_static_selectorELNS0_4arch9wavefront6targetE0EEEvT1_,comdat
.Lfunc_end436:
	.size	_ZN7rocprim17ROCPRIM_400000_NS6detail17trampoline_kernelINS0_14default_configENS1_25partition_config_selectorILNS1_17partition_subalgoE6EtNS0_10empty_typeEbEEZZNS1_14partition_implILS5_6ELb0ES3_mN6thrust23THRUST_200600_302600_NS6detail15normal_iteratorINSA_10device_ptrItEEEEPS6_SG_NS0_5tupleIJSF_S6_EEENSH_IJSG_SG_EEES6_PlJNSB_9not_fun_tINSB_14equal_to_valueItEEEEEEE10hipError_tPvRmT3_T4_T5_T6_T7_T9_mT8_P12ihipStream_tbDpT10_ENKUlT_T0_E_clISt17integral_constantIbLb0EES17_IbLb1EEEEDaS13_S14_EUlS13_E_NS1_11comp_targetILNS1_3genE8ELNS1_11target_archE1030ELNS1_3gpuE2ELNS1_3repE0EEENS1_30default_config_static_selectorELNS0_4arch9wavefront6targetE0EEEvT1_, .Lfunc_end436-_ZN7rocprim17ROCPRIM_400000_NS6detail17trampoline_kernelINS0_14default_configENS1_25partition_config_selectorILNS1_17partition_subalgoE6EtNS0_10empty_typeEbEEZZNS1_14partition_implILS5_6ELb0ES3_mN6thrust23THRUST_200600_302600_NS6detail15normal_iteratorINSA_10device_ptrItEEEEPS6_SG_NS0_5tupleIJSF_S6_EEENSH_IJSG_SG_EEES6_PlJNSB_9not_fun_tINSB_14equal_to_valueItEEEEEEE10hipError_tPvRmT3_T4_T5_T6_T7_T9_mT8_P12ihipStream_tbDpT10_ENKUlT_T0_E_clISt17integral_constantIbLb0EES17_IbLb1EEEEDaS13_S14_EUlS13_E_NS1_11comp_targetILNS1_3genE8ELNS1_11target_archE1030ELNS1_3gpuE2ELNS1_3repE0EEENS1_30default_config_static_selectorELNS0_4arch9wavefront6targetE0EEEvT1_
                                        ; -- End function
	.set _ZN7rocprim17ROCPRIM_400000_NS6detail17trampoline_kernelINS0_14default_configENS1_25partition_config_selectorILNS1_17partition_subalgoE6EtNS0_10empty_typeEbEEZZNS1_14partition_implILS5_6ELb0ES3_mN6thrust23THRUST_200600_302600_NS6detail15normal_iteratorINSA_10device_ptrItEEEEPS6_SG_NS0_5tupleIJSF_S6_EEENSH_IJSG_SG_EEES6_PlJNSB_9not_fun_tINSB_14equal_to_valueItEEEEEEE10hipError_tPvRmT3_T4_T5_T6_T7_T9_mT8_P12ihipStream_tbDpT10_ENKUlT_T0_E_clISt17integral_constantIbLb0EES17_IbLb1EEEEDaS13_S14_EUlS13_E_NS1_11comp_targetILNS1_3genE8ELNS1_11target_archE1030ELNS1_3gpuE2ELNS1_3repE0EEENS1_30default_config_static_selectorELNS0_4arch9wavefront6targetE0EEEvT1_.num_vgpr, 0
	.set _ZN7rocprim17ROCPRIM_400000_NS6detail17trampoline_kernelINS0_14default_configENS1_25partition_config_selectorILNS1_17partition_subalgoE6EtNS0_10empty_typeEbEEZZNS1_14partition_implILS5_6ELb0ES3_mN6thrust23THRUST_200600_302600_NS6detail15normal_iteratorINSA_10device_ptrItEEEEPS6_SG_NS0_5tupleIJSF_S6_EEENSH_IJSG_SG_EEES6_PlJNSB_9not_fun_tINSB_14equal_to_valueItEEEEEEE10hipError_tPvRmT3_T4_T5_T6_T7_T9_mT8_P12ihipStream_tbDpT10_ENKUlT_T0_E_clISt17integral_constantIbLb0EES17_IbLb1EEEEDaS13_S14_EUlS13_E_NS1_11comp_targetILNS1_3genE8ELNS1_11target_archE1030ELNS1_3gpuE2ELNS1_3repE0EEENS1_30default_config_static_selectorELNS0_4arch9wavefront6targetE0EEEvT1_.num_agpr, 0
	.set _ZN7rocprim17ROCPRIM_400000_NS6detail17trampoline_kernelINS0_14default_configENS1_25partition_config_selectorILNS1_17partition_subalgoE6EtNS0_10empty_typeEbEEZZNS1_14partition_implILS5_6ELb0ES3_mN6thrust23THRUST_200600_302600_NS6detail15normal_iteratorINSA_10device_ptrItEEEEPS6_SG_NS0_5tupleIJSF_S6_EEENSH_IJSG_SG_EEES6_PlJNSB_9not_fun_tINSB_14equal_to_valueItEEEEEEE10hipError_tPvRmT3_T4_T5_T6_T7_T9_mT8_P12ihipStream_tbDpT10_ENKUlT_T0_E_clISt17integral_constantIbLb0EES17_IbLb1EEEEDaS13_S14_EUlS13_E_NS1_11comp_targetILNS1_3genE8ELNS1_11target_archE1030ELNS1_3gpuE2ELNS1_3repE0EEENS1_30default_config_static_selectorELNS0_4arch9wavefront6targetE0EEEvT1_.numbered_sgpr, 0
	.set _ZN7rocprim17ROCPRIM_400000_NS6detail17trampoline_kernelINS0_14default_configENS1_25partition_config_selectorILNS1_17partition_subalgoE6EtNS0_10empty_typeEbEEZZNS1_14partition_implILS5_6ELb0ES3_mN6thrust23THRUST_200600_302600_NS6detail15normal_iteratorINSA_10device_ptrItEEEEPS6_SG_NS0_5tupleIJSF_S6_EEENSH_IJSG_SG_EEES6_PlJNSB_9not_fun_tINSB_14equal_to_valueItEEEEEEE10hipError_tPvRmT3_T4_T5_T6_T7_T9_mT8_P12ihipStream_tbDpT10_ENKUlT_T0_E_clISt17integral_constantIbLb0EES17_IbLb1EEEEDaS13_S14_EUlS13_E_NS1_11comp_targetILNS1_3genE8ELNS1_11target_archE1030ELNS1_3gpuE2ELNS1_3repE0EEENS1_30default_config_static_selectorELNS0_4arch9wavefront6targetE0EEEvT1_.num_named_barrier, 0
	.set _ZN7rocprim17ROCPRIM_400000_NS6detail17trampoline_kernelINS0_14default_configENS1_25partition_config_selectorILNS1_17partition_subalgoE6EtNS0_10empty_typeEbEEZZNS1_14partition_implILS5_6ELb0ES3_mN6thrust23THRUST_200600_302600_NS6detail15normal_iteratorINSA_10device_ptrItEEEEPS6_SG_NS0_5tupleIJSF_S6_EEENSH_IJSG_SG_EEES6_PlJNSB_9not_fun_tINSB_14equal_to_valueItEEEEEEE10hipError_tPvRmT3_T4_T5_T6_T7_T9_mT8_P12ihipStream_tbDpT10_ENKUlT_T0_E_clISt17integral_constantIbLb0EES17_IbLb1EEEEDaS13_S14_EUlS13_E_NS1_11comp_targetILNS1_3genE8ELNS1_11target_archE1030ELNS1_3gpuE2ELNS1_3repE0EEENS1_30default_config_static_selectorELNS0_4arch9wavefront6targetE0EEEvT1_.private_seg_size, 0
	.set _ZN7rocprim17ROCPRIM_400000_NS6detail17trampoline_kernelINS0_14default_configENS1_25partition_config_selectorILNS1_17partition_subalgoE6EtNS0_10empty_typeEbEEZZNS1_14partition_implILS5_6ELb0ES3_mN6thrust23THRUST_200600_302600_NS6detail15normal_iteratorINSA_10device_ptrItEEEEPS6_SG_NS0_5tupleIJSF_S6_EEENSH_IJSG_SG_EEES6_PlJNSB_9not_fun_tINSB_14equal_to_valueItEEEEEEE10hipError_tPvRmT3_T4_T5_T6_T7_T9_mT8_P12ihipStream_tbDpT10_ENKUlT_T0_E_clISt17integral_constantIbLb0EES17_IbLb1EEEEDaS13_S14_EUlS13_E_NS1_11comp_targetILNS1_3genE8ELNS1_11target_archE1030ELNS1_3gpuE2ELNS1_3repE0EEENS1_30default_config_static_selectorELNS0_4arch9wavefront6targetE0EEEvT1_.uses_vcc, 0
	.set _ZN7rocprim17ROCPRIM_400000_NS6detail17trampoline_kernelINS0_14default_configENS1_25partition_config_selectorILNS1_17partition_subalgoE6EtNS0_10empty_typeEbEEZZNS1_14partition_implILS5_6ELb0ES3_mN6thrust23THRUST_200600_302600_NS6detail15normal_iteratorINSA_10device_ptrItEEEEPS6_SG_NS0_5tupleIJSF_S6_EEENSH_IJSG_SG_EEES6_PlJNSB_9not_fun_tINSB_14equal_to_valueItEEEEEEE10hipError_tPvRmT3_T4_T5_T6_T7_T9_mT8_P12ihipStream_tbDpT10_ENKUlT_T0_E_clISt17integral_constantIbLb0EES17_IbLb1EEEEDaS13_S14_EUlS13_E_NS1_11comp_targetILNS1_3genE8ELNS1_11target_archE1030ELNS1_3gpuE2ELNS1_3repE0EEENS1_30default_config_static_selectorELNS0_4arch9wavefront6targetE0EEEvT1_.uses_flat_scratch, 0
	.set _ZN7rocprim17ROCPRIM_400000_NS6detail17trampoline_kernelINS0_14default_configENS1_25partition_config_selectorILNS1_17partition_subalgoE6EtNS0_10empty_typeEbEEZZNS1_14partition_implILS5_6ELb0ES3_mN6thrust23THRUST_200600_302600_NS6detail15normal_iteratorINSA_10device_ptrItEEEEPS6_SG_NS0_5tupleIJSF_S6_EEENSH_IJSG_SG_EEES6_PlJNSB_9not_fun_tINSB_14equal_to_valueItEEEEEEE10hipError_tPvRmT3_T4_T5_T6_T7_T9_mT8_P12ihipStream_tbDpT10_ENKUlT_T0_E_clISt17integral_constantIbLb0EES17_IbLb1EEEEDaS13_S14_EUlS13_E_NS1_11comp_targetILNS1_3genE8ELNS1_11target_archE1030ELNS1_3gpuE2ELNS1_3repE0EEENS1_30default_config_static_selectorELNS0_4arch9wavefront6targetE0EEEvT1_.has_dyn_sized_stack, 0
	.set _ZN7rocprim17ROCPRIM_400000_NS6detail17trampoline_kernelINS0_14default_configENS1_25partition_config_selectorILNS1_17partition_subalgoE6EtNS0_10empty_typeEbEEZZNS1_14partition_implILS5_6ELb0ES3_mN6thrust23THRUST_200600_302600_NS6detail15normal_iteratorINSA_10device_ptrItEEEEPS6_SG_NS0_5tupleIJSF_S6_EEENSH_IJSG_SG_EEES6_PlJNSB_9not_fun_tINSB_14equal_to_valueItEEEEEEE10hipError_tPvRmT3_T4_T5_T6_T7_T9_mT8_P12ihipStream_tbDpT10_ENKUlT_T0_E_clISt17integral_constantIbLb0EES17_IbLb1EEEEDaS13_S14_EUlS13_E_NS1_11comp_targetILNS1_3genE8ELNS1_11target_archE1030ELNS1_3gpuE2ELNS1_3repE0EEENS1_30default_config_static_selectorELNS0_4arch9wavefront6targetE0EEEvT1_.has_recursion, 0
	.set _ZN7rocprim17ROCPRIM_400000_NS6detail17trampoline_kernelINS0_14default_configENS1_25partition_config_selectorILNS1_17partition_subalgoE6EtNS0_10empty_typeEbEEZZNS1_14partition_implILS5_6ELb0ES3_mN6thrust23THRUST_200600_302600_NS6detail15normal_iteratorINSA_10device_ptrItEEEEPS6_SG_NS0_5tupleIJSF_S6_EEENSH_IJSG_SG_EEES6_PlJNSB_9not_fun_tINSB_14equal_to_valueItEEEEEEE10hipError_tPvRmT3_T4_T5_T6_T7_T9_mT8_P12ihipStream_tbDpT10_ENKUlT_T0_E_clISt17integral_constantIbLb0EES17_IbLb1EEEEDaS13_S14_EUlS13_E_NS1_11comp_targetILNS1_3genE8ELNS1_11target_archE1030ELNS1_3gpuE2ELNS1_3repE0EEENS1_30default_config_static_selectorELNS0_4arch9wavefront6targetE0EEEvT1_.has_indirect_call, 0
	.section	.AMDGPU.csdata,"",@progbits
; Kernel info:
; codeLenInByte = 0
; TotalNumSgprs: 0
; NumVgprs: 0
; ScratchSize: 0
; MemoryBound: 0
; FloatMode: 240
; IeeeMode: 1
; LDSByteSize: 0 bytes/workgroup (compile time only)
; SGPRBlocks: 0
; VGPRBlocks: 0
; NumSGPRsForWavesPerEU: 1
; NumVGPRsForWavesPerEU: 1
; Occupancy: 16
; WaveLimiterHint : 0
; COMPUTE_PGM_RSRC2:SCRATCH_EN: 0
; COMPUTE_PGM_RSRC2:USER_SGPR: 2
; COMPUTE_PGM_RSRC2:TRAP_HANDLER: 0
; COMPUTE_PGM_RSRC2:TGID_X_EN: 1
; COMPUTE_PGM_RSRC2:TGID_Y_EN: 0
; COMPUTE_PGM_RSRC2:TGID_Z_EN: 0
; COMPUTE_PGM_RSRC2:TIDIG_COMP_CNT: 0
	.section	.text._ZN7rocprim17ROCPRIM_400000_NS6detail17trampoline_kernelINS0_14default_configENS1_25partition_config_selectorILNS1_17partition_subalgoE6ExNS0_10empty_typeEbEEZZNS1_14partition_implILS5_6ELb0ES3_mN6thrust23THRUST_200600_302600_NS6detail15normal_iteratorINSA_10device_ptrIxEEEEPS6_SG_NS0_5tupleIJSF_S6_EEENSH_IJSG_SG_EEES6_PlJNSB_9not_fun_tINSB_14equal_to_valueIxEEEEEEE10hipError_tPvRmT3_T4_T5_T6_T7_T9_mT8_P12ihipStream_tbDpT10_ENKUlT_T0_E_clISt17integral_constantIbLb0EES18_EEDaS13_S14_EUlS13_E_NS1_11comp_targetILNS1_3genE0ELNS1_11target_archE4294967295ELNS1_3gpuE0ELNS1_3repE0EEENS1_30default_config_static_selectorELNS0_4arch9wavefront6targetE0EEEvT1_,"axG",@progbits,_ZN7rocprim17ROCPRIM_400000_NS6detail17trampoline_kernelINS0_14default_configENS1_25partition_config_selectorILNS1_17partition_subalgoE6ExNS0_10empty_typeEbEEZZNS1_14partition_implILS5_6ELb0ES3_mN6thrust23THRUST_200600_302600_NS6detail15normal_iteratorINSA_10device_ptrIxEEEEPS6_SG_NS0_5tupleIJSF_S6_EEENSH_IJSG_SG_EEES6_PlJNSB_9not_fun_tINSB_14equal_to_valueIxEEEEEEE10hipError_tPvRmT3_T4_T5_T6_T7_T9_mT8_P12ihipStream_tbDpT10_ENKUlT_T0_E_clISt17integral_constantIbLb0EES18_EEDaS13_S14_EUlS13_E_NS1_11comp_targetILNS1_3genE0ELNS1_11target_archE4294967295ELNS1_3gpuE0ELNS1_3repE0EEENS1_30default_config_static_selectorELNS0_4arch9wavefront6targetE0EEEvT1_,comdat
	.protected	_ZN7rocprim17ROCPRIM_400000_NS6detail17trampoline_kernelINS0_14default_configENS1_25partition_config_selectorILNS1_17partition_subalgoE6ExNS0_10empty_typeEbEEZZNS1_14partition_implILS5_6ELb0ES3_mN6thrust23THRUST_200600_302600_NS6detail15normal_iteratorINSA_10device_ptrIxEEEEPS6_SG_NS0_5tupleIJSF_S6_EEENSH_IJSG_SG_EEES6_PlJNSB_9not_fun_tINSB_14equal_to_valueIxEEEEEEE10hipError_tPvRmT3_T4_T5_T6_T7_T9_mT8_P12ihipStream_tbDpT10_ENKUlT_T0_E_clISt17integral_constantIbLb0EES18_EEDaS13_S14_EUlS13_E_NS1_11comp_targetILNS1_3genE0ELNS1_11target_archE4294967295ELNS1_3gpuE0ELNS1_3repE0EEENS1_30default_config_static_selectorELNS0_4arch9wavefront6targetE0EEEvT1_ ; -- Begin function _ZN7rocprim17ROCPRIM_400000_NS6detail17trampoline_kernelINS0_14default_configENS1_25partition_config_selectorILNS1_17partition_subalgoE6ExNS0_10empty_typeEbEEZZNS1_14partition_implILS5_6ELb0ES3_mN6thrust23THRUST_200600_302600_NS6detail15normal_iteratorINSA_10device_ptrIxEEEEPS6_SG_NS0_5tupleIJSF_S6_EEENSH_IJSG_SG_EEES6_PlJNSB_9not_fun_tINSB_14equal_to_valueIxEEEEEEE10hipError_tPvRmT3_T4_T5_T6_T7_T9_mT8_P12ihipStream_tbDpT10_ENKUlT_T0_E_clISt17integral_constantIbLb0EES18_EEDaS13_S14_EUlS13_E_NS1_11comp_targetILNS1_3genE0ELNS1_11target_archE4294967295ELNS1_3gpuE0ELNS1_3repE0EEENS1_30default_config_static_selectorELNS0_4arch9wavefront6targetE0EEEvT1_
	.globl	_ZN7rocprim17ROCPRIM_400000_NS6detail17trampoline_kernelINS0_14default_configENS1_25partition_config_selectorILNS1_17partition_subalgoE6ExNS0_10empty_typeEbEEZZNS1_14partition_implILS5_6ELb0ES3_mN6thrust23THRUST_200600_302600_NS6detail15normal_iteratorINSA_10device_ptrIxEEEEPS6_SG_NS0_5tupleIJSF_S6_EEENSH_IJSG_SG_EEES6_PlJNSB_9not_fun_tINSB_14equal_to_valueIxEEEEEEE10hipError_tPvRmT3_T4_T5_T6_T7_T9_mT8_P12ihipStream_tbDpT10_ENKUlT_T0_E_clISt17integral_constantIbLb0EES18_EEDaS13_S14_EUlS13_E_NS1_11comp_targetILNS1_3genE0ELNS1_11target_archE4294967295ELNS1_3gpuE0ELNS1_3repE0EEENS1_30default_config_static_selectorELNS0_4arch9wavefront6targetE0EEEvT1_
	.p2align	8
	.type	_ZN7rocprim17ROCPRIM_400000_NS6detail17trampoline_kernelINS0_14default_configENS1_25partition_config_selectorILNS1_17partition_subalgoE6ExNS0_10empty_typeEbEEZZNS1_14partition_implILS5_6ELb0ES3_mN6thrust23THRUST_200600_302600_NS6detail15normal_iteratorINSA_10device_ptrIxEEEEPS6_SG_NS0_5tupleIJSF_S6_EEENSH_IJSG_SG_EEES6_PlJNSB_9not_fun_tINSB_14equal_to_valueIxEEEEEEE10hipError_tPvRmT3_T4_T5_T6_T7_T9_mT8_P12ihipStream_tbDpT10_ENKUlT_T0_E_clISt17integral_constantIbLb0EES18_EEDaS13_S14_EUlS13_E_NS1_11comp_targetILNS1_3genE0ELNS1_11target_archE4294967295ELNS1_3gpuE0ELNS1_3repE0EEENS1_30default_config_static_selectorELNS0_4arch9wavefront6targetE0EEEvT1_,@function
_ZN7rocprim17ROCPRIM_400000_NS6detail17trampoline_kernelINS0_14default_configENS1_25partition_config_selectorILNS1_17partition_subalgoE6ExNS0_10empty_typeEbEEZZNS1_14partition_implILS5_6ELb0ES3_mN6thrust23THRUST_200600_302600_NS6detail15normal_iteratorINSA_10device_ptrIxEEEEPS6_SG_NS0_5tupleIJSF_S6_EEENSH_IJSG_SG_EEES6_PlJNSB_9not_fun_tINSB_14equal_to_valueIxEEEEEEE10hipError_tPvRmT3_T4_T5_T6_T7_T9_mT8_P12ihipStream_tbDpT10_ENKUlT_T0_E_clISt17integral_constantIbLb0EES18_EEDaS13_S14_EUlS13_E_NS1_11comp_targetILNS1_3genE0ELNS1_11target_archE4294967295ELNS1_3gpuE0ELNS1_3repE0EEENS1_30default_config_static_selectorELNS0_4arch9wavefront6targetE0EEEvT1_: ; @_ZN7rocprim17ROCPRIM_400000_NS6detail17trampoline_kernelINS0_14default_configENS1_25partition_config_selectorILNS1_17partition_subalgoE6ExNS0_10empty_typeEbEEZZNS1_14partition_implILS5_6ELb0ES3_mN6thrust23THRUST_200600_302600_NS6detail15normal_iteratorINSA_10device_ptrIxEEEEPS6_SG_NS0_5tupleIJSF_S6_EEENSH_IJSG_SG_EEES6_PlJNSB_9not_fun_tINSB_14equal_to_valueIxEEEEEEE10hipError_tPvRmT3_T4_T5_T6_T7_T9_mT8_P12ihipStream_tbDpT10_ENKUlT_T0_E_clISt17integral_constantIbLb0EES18_EEDaS13_S14_EUlS13_E_NS1_11comp_targetILNS1_3genE0ELNS1_11target_archE4294967295ELNS1_3gpuE0ELNS1_3repE0EEENS1_30default_config_static_selectorELNS0_4arch9wavefront6targetE0EEEvT1_
; %bb.0:
	.section	.rodata,"a",@progbits
	.p2align	6, 0x0
	.amdhsa_kernel _ZN7rocprim17ROCPRIM_400000_NS6detail17trampoline_kernelINS0_14default_configENS1_25partition_config_selectorILNS1_17partition_subalgoE6ExNS0_10empty_typeEbEEZZNS1_14partition_implILS5_6ELb0ES3_mN6thrust23THRUST_200600_302600_NS6detail15normal_iteratorINSA_10device_ptrIxEEEEPS6_SG_NS0_5tupleIJSF_S6_EEENSH_IJSG_SG_EEES6_PlJNSB_9not_fun_tINSB_14equal_to_valueIxEEEEEEE10hipError_tPvRmT3_T4_T5_T6_T7_T9_mT8_P12ihipStream_tbDpT10_ENKUlT_T0_E_clISt17integral_constantIbLb0EES18_EEDaS13_S14_EUlS13_E_NS1_11comp_targetILNS1_3genE0ELNS1_11target_archE4294967295ELNS1_3gpuE0ELNS1_3repE0EEENS1_30default_config_static_selectorELNS0_4arch9wavefront6targetE0EEEvT1_
		.amdhsa_group_segment_fixed_size 0
		.amdhsa_private_segment_fixed_size 0
		.amdhsa_kernarg_size 120
		.amdhsa_user_sgpr_count 2
		.amdhsa_user_sgpr_dispatch_ptr 0
		.amdhsa_user_sgpr_queue_ptr 0
		.amdhsa_user_sgpr_kernarg_segment_ptr 1
		.amdhsa_user_sgpr_dispatch_id 0
		.amdhsa_user_sgpr_private_segment_size 0
		.amdhsa_wavefront_size32 1
		.amdhsa_uses_dynamic_stack 0
		.amdhsa_enable_private_segment 0
		.amdhsa_system_sgpr_workgroup_id_x 1
		.amdhsa_system_sgpr_workgroup_id_y 0
		.amdhsa_system_sgpr_workgroup_id_z 0
		.amdhsa_system_sgpr_workgroup_info 0
		.amdhsa_system_vgpr_workitem_id 0
		.amdhsa_next_free_vgpr 1
		.amdhsa_next_free_sgpr 1
		.amdhsa_reserve_vcc 0
		.amdhsa_float_round_mode_32 0
		.amdhsa_float_round_mode_16_64 0
		.amdhsa_float_denorm_mode_32 3
		.amdhsa_float_denorm_mode_16_64 3
		.amdhsa_fp16_overflow 0
		.amdhsa_workgroup_processor_mode 1
		.amdhsa_memory_ordered 1
		.amdhsa_forward_progress 1
		.amdhsa_inst_pref_size 0
		.amdhsa_round_robin_scheduling 0
		.amdhsa_exception_fp_ieee_invalid_op 0
		.amdhsa_exception_fp_denorm_src 0
		.amdhsa_exception_fp_ieee_div_zero 0
		.amdhsa_exception_fp_ieee_overflow 0
		.amdhsa_exception_fp_ieee_underflow 0
		.amdhsa_exception_fp_ieee_inexact 0
		.amdhsa_exception_int_div_zero 0
	.end_amdhsa_kernel
	.section	.text._ZN7rocprim17ROCPRIM_400000_NS6detail17trampoline_kernelINS0_14default_configENS1_25partition_config_selectorILNS1_17partition_subalgoE6ExNS0_10empty_typeEbEEZZNS1_14partition_implILS5_6ELb0ES3_mN6thrust23THRUST_200600_302600_NS6detail15normal_iteratorINSA_10device_ptrIxEEEEPS6_SG_NS0_5tupleIJSF_S6_EEENSH_IJSG_SG_EEES6_PlJNSB_9not_fun_tINSB_14equal_to_valueIxEEEEEEE10hipError_tPvRmT3_T4_T5_T6_T7_T9_mT8_P12ihipStream_tbDpT10_ENKUlT_T0_E_clISt17integral_constantIbLb0EES18_EEDaS13_S14_EUlS13_E_NS1_11comp_targetILNS1_3genE0ELNS1_11target_archE4294967295ELNS1_3gpuE0ELNS1_3repE0EEENS1_30default_config_static_selectorELNS0_4arch9wavefront6targetE0EEEvT1_,"axG",@progbits,_ZN7rocprim17ROCPRIM_400000_NS6detail17trampoline_kernelINS0_14default_configENS1_25partition_config_selectorILNS1_17partition_subalgoE6ExNS0_10empty_typeEbEEZZNS1_14partition_implILS5_6ELb0ES3_mN6thrust23THRUST_200600_302600_NS6detail15normal_iteratorINSA_10device_ptrIxEEEEPS6_SG_NS0_5tupleIJSF_S6_EEENSH_IJSG_SG_EEES6_PlJNSB_9not_fun_tINSB_14equal_to_valueIxEEEEEEE10hipError_tPvRmT3_T4_T5_T6_T7_T9_mT8_P12ihipStream_tbDpT10_ENKUlT_T0_E_clISt17integral_constantIbLb0EES18_EEDaS13_S14_EUlS13_E_NS1_11comp_targetILNS1_3genE0ELNS1_11target_archE4294967295ELNS1_3gpuE0ELNS1_3repE0EEENS1_30default_config_static_selectorELNS0_4arch9wavefront6targetE0EEEvT1_,comdat
.Lfunc_end437:
	.size	_ZN7rocprim17ROCPRIM_400000_NS6detail17trampoline_kernelINS0_14default_configENS1_25partition_config_selectorILNS1_17partition_subalgoE6ExNS0_10empty_typeEbEEZZNS1_14partition_implILS5_6ELb0ES3_mN6thrust23THRUST_200600_302600_NS6detail15normal_iteratorINSA_10device_ptrIxEEEEPS6_SG_NS0_5tupleIJSF_S6_EEENSH_IJSG_SG_EEES6_PlJNSB_9not_fun_tINSB_14equal_to_valueIxEEEEEEE10hipError_tPvRmT3_T4_T5_T6_T7_T9_mT8_P12ihipStream_tbDpT10_ENKUlT_T0_E_clISt17integral_constantIbLb0EES18_EEDaS13_S14_EUlS13_E_NS1_11comp_targetILNS1_3genE0ELNS1_11target_archE4294967295ELNS1_3gpuE0ELNS1_3repE0EEENS1_30default_config_static_selectorELNS0_4arch9wavefront6targetE0EEEvT1_, .Lfunc_end437-_ZN7rocprim17ROCPRIM_400000_NS6detail17trampoline_kernelINS0_14default_configENS1_25partition_config_selectorILNS1_17partition_subalgoE6ExNS0_10empty_typeEbEEZZNS1_14partition_implILS5_6ELb0ES3_mN6thrust23THRUST_200600_302600_NS6detail15normal_iteratorINSA_10device_ptrIxEEEEPS6_SG_NS0_5tupleIJSF_S6_EEENSH_IJSG_SG_EEES6_PlJNSB_9not_fun_tINSB_14equal_to_valueIxEEEEEEE10hipError_tPvRmT3_T4_T5_T6_T7_T9_mT8_P12ihipStream_tbDpT10_ENKUlT_T0_E_clISt17integral_constantIbLb0EES18_EEDaS13_S14_EUlS13_E_NS1_11comp_targetILNS1_3genE0ELNS1_11target_archE4294967295ELNS1_3gpuE0ELNS1_3repE0EEENS1_30default_config_static_selectorELNS0_4arch9wavefront6targetE0EEEvT1_
                                        ; -- End function
	.set _ZN7rocprim17ROCPRIM_400000_NS6detail17trampoline_kernelINS0_14default_configENS1_25partition_config_selectorILNS1_17partition_subalgoE6ExNS0_10empty_typeEbEEZZNS1_14partition_implILS5_6ELb0ES3_mN6thrust23THRUST_200600_302600_NS6detail15normal_iteratorINSA_10device_ptrIxEEEEPS6_SG_NS0_5tupleIJSF_S6_EEENSH_IJSG_SG_EEES6_PlJNSB_9not_fun_tINSB_14equal_to_valueIxEEEEEEE10hipError_tPvRmT3_T4_T5_T6_T7_T9_mT8_P12ihipStream_tbDpT10_ENKUlT_T0_E_clISt17integral_constantIbLb0EES18_EEDaS13_S14_EUlS13_E_NS1_11comp_targetILNS1_3genE0ELNS1_11target_archE4294967295ELNS1_3gpuE0ELNS1_3repE0EEENS1_30default_config_static_selectorELNS0_4arch9wavefront6targetE0EEEvT1_.num_vgpr, 0
	.set _ZN7rocprim17ROCPRIM_400000_NS6detail17trampoline_kernelINS0_14default_configENS1_25partition_config_selectorILNS1_17partition_subalgoE6ExNS0_10empty_typeEbEEZZNS1_14partition_implILS5_6ELb0ES3_mN6thrust23THRUST_200600_302600_NS6detail15normal_iteratorINSA_10device_ptrIxEEEEPS6_SG_NS0_5tupleIJSF_S6_EEENSH_IJSG_SG_EEES6_PlJNSB_9not_fun_tINSB_14equal_to_valueIxEEEEEEE10hipError_tPvRmT3_T4_T5_T6_T7_T9_mT8_P12ihipStream_tbDpT10_ENKUlT_T0_E_clISt17integral_constantIbLb0EES18_EEDaS13_S14_EUlS13_E_NS1_11comp_targetILNS1_3genE0ELNS1_11target_archE4294967295ELNS1_3gpuE0ELNS1_3repE0EEENS1_30default_config_static_selectorELNS0_4arch9wavefront6targetE0EEEvT1_.num_agpr, 0
	.set _ZN7rocprim17ROCPRIM_400000_NS6detail17trampoline_kernelINS0_14default_configENS1_25partition_config_selectorILNS1_17partition_subalgoE6ExNS0_10empty_typeEbEEZZNS1_14partition_implILS5_6ELb0ES3_mN6thrust23THRUST_200600_302600_NS6detail15normal_iteratorINSA_10device_ptrIxEEEEPS6_SG_NS0_5tupleIJSF_S6_EEENSH_IJSG_SG_EEES6_PlJNSB_9not_fun_tINSB_14equal_to_valueIxEEEEEEE10hipError_tPvRmT3_T4_T5_T6_T7_T9_mT8_P12ihipStream_tbDpT10_ENKUlT_T0_E_clISt17integral_constantIbLb0EES18_EEDaS13_S14_EUlS13_E_NS1_11comp_targetILNS1_3genE0ELNS1_11target_archE4294967295ELNS1_3gpuE0ELNS1_3repE0EEENS1_30default_config_static_selectorELNS0_4arch9wavefront6targetE0EEEvT1_.numbered_sgpr, 0
	.set _ZN7rocprim17ROCPRIM_400000_NS6detail17trampoline_kernelINS0_14default_configENS1_25partition_config_selectorILNS1_17partition_subalgoE6ExNS0_10empty_typeEbEEZZNS1_14partition_implILS5_6ELb0ES3_mN6thrust23THRUST_200600_302600_NS6detail15normal_iteratorINSA_10device_ptrIxEEEEPS6_SG_NS0_5tupleIJSF_S6_EEENSH_IJSG_SG_EEES6_PlJNSB_9not_fun_tINSB_14equal_to_valueIxEEEEEEE10hipError_tPvRmT3_T4_T5_T6_T7_T9_mT8_P12ihipStream_tbDpT10_ENKUlT_T0_E_clISt17integral_constantIbLb0EES18_EEDaS13_S14_EUlS13_E_NS1_11comp_targetILNS1_3genE0ELNS1_11target_archE4294967295ELNS1_3gpuE0ELNS1_3repE0EEENS1_30default_config_static_selectorELNS0_4arch9wavefront6targetE0EEEvT1_.num_named_barrier, 0
	.set _ZN7rocprim17ROCPRIM_400000_NS6detail17trampoline_kernelINS0_14default_configENS1_25partition_config_selectorILNS1_17partition_subalgoE6ExNS0_10empty_typeEbEEZZNS1_14partition_implILS5_6ELb0ES3_mN6thrust23THRUST_200600_302600_NS6detail15normal_iteratorINSA_10device_ptrIxEEEEPS6_SG_NS0_5tupleIJSF_S6_EEENSH_IJSG_SG_EEES6_PlJNSB_9not_fun_tINSB_14equal_to_valueIxEEEEEEE10hipError_tPvRmT3_T4_T5_T6_T7_T9_mT8_P12ihipStream_tbDpT10_ENKUlT_T0_E_clISt17integral_constantIbLb0EES18_EEDaS13_S14_EUlS13_E_NS1_11comp_targetILNS1_3genE0ELNS1_11target_archE4294967295ELNS1_3gpuE0ELNS1_3repE0EEENS1_30default_config_static_selectorELNS0_4arch9wavefront6targetE0EEEvT1_.private_seg_size, 0
	.set _ZN7rocprim17ROCPRIM_400000_NS6detail17trampoline_kernelINS0_14default_configENS1_25partition_config_selectorILNS1_17partition_subalgoE6ExNS0_10empty_typeEbEEZZNS1_14partition_implILS5_6ELb0ES3_mN6thrust23THRUST_200600_302600_NS6detail15normal_iteratorINSA_10device_ptrIxEEEEPS6_SG_NS0_5tupleIJSF_S6_EEENSH_IJSG_SG_EEES6_PlJNSB_9not_fun_tINSB_14equal_to_valueIxEEEEEEE10hipError_tPvRmT3_T4_T5_T6_T7_T9_mT8_P12ihipStream_tbDpT10_ENKUlT_T0_E_clISt17integral_constantIbLb0EES18_EEDaS13_S14_EUlS13_E_NS1_11comp_targetILNS1_3genE0ELNS1_11target_archE4294967295ELNS1_3gpuE0ELNS1_3repE0EEENS1_30default_config_static_selectorELNS0_4arch9wavefront6targetE0EEEvT1_.uses_vcc, 0
	.set _ZN7rocprim17ROCPRIM_400000_NS6detail17trampoline_kernelINS0_14default_configENS1_25partition_config_selectorILNS1_17partition_subalgoE6ExNS0_10empty_typeEbEEZZNS1_14partition_implILS5_6ELb0ES3_mN6thrust23THRUST_200600_302600_NS6detail15normal_iteratorINSA_10device_ptrIxEEEEPS6_SG_NS0_5tupleIJSF_S6_EEENSH_IJSG_SG_EEES6_PlJNSB_9not_fun_tINSB_14equal_to_valueIxEEEEEEE10hipError_tPvRmT3_T4_T5_T6_T7_T9_mT8_P12ihipStream_tbDpT10_ENKUlT_T0_E_clISt17integral_constantIbLb0EES18_EEDaS13_S14_EUlS13_E_NS1_11comp_targetILNS1_3genE0ELNS1_11target_archE4294967295ELNS1_3gpuE0ELNS1_3repE0EEENS1_30default_config_static_selectorELNS0_4arch9wavefront6targetE0EEEvT1_.uses_flat_scratch, 0
	.set _ZN7rocprim17ROCPRIM_400000_NS6detail17trampoline_kernelINS0_14default_configENS1_25partition_config_selectorILNS1_17partition_subalgoE6ExNS0_10empty_typeEbEEZZNS1_14partition_implILS5_6ELb0ES3_mN6thrust23THRUST_200600_302600_NS6detail15normal_iteratorINSA_10device_ptrIxEEEEPS6_SG_NS0_5tupleIJSF_S6_EEENSH_IJSG_SG_EEES6_PlJNSB_9not_fun_tINSB_14equal_to_valueIxEEEEEEE10hipError_tPvRmT3_T4_T5_T6_T7_T9_mT8_P12ihipStream_tbDpT10_ENKUlT_T0_E_clISt17integral_constantIbLb0EES18_EEDaS13_S14_EUlS13_E_NS1_11comp_targetILNS1_3genE0ELNS1_11target_archE4294967295ELNS1_3gpuE0ELNS1_3repE0EEENS1_30default_config_static_selectorELNS0_4arch9wavefront6targetE0EEEvT1_.has_dyn_sized_stack, 0
	.set _ZN7rocprim17ROCPRIM_400000_NS6detail17trampoline_kernelINS0_14default_configENS1_25partition_config_selectorILNS1_17partition_subalgoE6ExNS0_10empty_typeEbEEZZNS1_14partition_implILS5_6ELb0ES3_mN6thrust23THRUST_200600_302600_NS6detail15normal_iteratorINSA_10device_ptrIxEEEEPS6_SG_NS0_5tupleIJSF_S6_EEENSH_IJSG_SG_EEES6_PlJNSB_9not_fun_tINSB_14equal_to_valueIxEEEEEEE10hipError_tPvRmT3_T4_T5_T6_T7_T9_mT8_P12ihipStream_tbDpT10_ENKUlT_T0_E_clISt17integral_constantIbLb0EES18_EEDaS13_S14_EUlS13_E_NS1_11comp_targetILNS1_3genE0ELNS1_11target_archE4294967295ELNS1_3gpuE0ELNS1_3repE0EEENS1_30default_config_static_selectorELNS0_4arch9wavefront6targetE0EEEvT1_.has_recursion, 0
	.set _ZN7rocprim17ROCPRIM_400000_NS6detail17trampoline_kernelINS0_14default_configENS1_25partition_config_selectorILNS1_17partition_subalgoE6ExNS0_10empty_typeEbEEZZNS1_14partition_implILS5_6ELb0ES3_mN6thrust23THRUST_200600_302600_NS6detail15normal_iteratorINSA_10device_ptrIxEEEEPS6_SG_NS0_5tupleIJSF_S6_EEENSH_IJSG_SG_EEES6_PlJNSB_9not_fun_tINSB_14equal_to_valueIxEEEEEEE10hipError_tPvRmT3_T4_T5_T6_T7_T9_mT8_P12ihipStream_tbDpT10_ENKUlT_T0_E_clISt17integral_constantIbLb0EES18_EEDaS13_S14_EUlS13_E_NS1_11comp_targetILNS1_3genE0ELNS1_11target_archE4294967295ELNS1_3gpuE0ELNS1_3repE0EEENS1_30default_config_static_selectorELNS0_4arch9wavefront6targetE0EEEvT1_.has_indirect_call, 0
	.section	.AMDGPU.csdata,"",@progbits
; Kernel info:
; codeLenInByte = 0
; TotalNumSgprs: 0
; NumVgprs: 0
; ScratchSize: 0
; MemoryBound: 0
; FloatMode: 240
; IeeeMode: 1
; LDSByteSize: 0 bytes/workgroup (compile time only)
; SGPRBlocks: 0
; VGPRBlocks: 0
; NumSGPRsForWavesPerEU: 1
; NumVGPRsForWavesPerEU: 1
; Occupancy: 16
; WaveLimiterHint : 0
; COMPUTE_PGM_RSRC2:SCRATCH_EN: 0
; COMPUTE_PGM_RSRC2:USER_SGPR: 2
; COMPUTE_PGM_RSRC2:TRAP_HANDLER: 0
; COMPUTE_PGM_RSRC2:TGID_X_EN: 1
; COMPUTE_PGM_RSRC2:TGID_Y_EN: 0
; COMPUTE_PGM_RSRC2:TGID_Z_EN: 0
; COMPUTE_PGM_RSRC2:TIDIG_COMP_CNT: 0
	.section	.text._ZN7rocprim17ROCPRIM_400000_NS6detail17trampoline_kernelINS0_14default_configENS1_25partition_config_selectorILNS1_17partition_subalgoE6ExNS0_10empty_typeEbEEZZNS1_14partition_implILS5_6ELb0ES3_mN6thrust23THRUST_200600_302600_NS6detail15normal_iteratorINSA_10device_ptrIxEEEEPS6_SG_NS0_5tupleIJSF_S6_EEENSH_IJSG_SG_EEES6_PlJNSB_9not_fun_tINSB_14equal_to_valueIxEEEEEEE10hipError_tPvRmT3_T4_T5_T6_T7_T9_mT8_P12ihipStream_tbDpT10_ENKUlT_T0_E_clISt17integral_constantIbLb0EES18_EEDaS13_S14_EUlS13_E_NS1_11comp_targetILNS1_3genE5ELNS1_11target_archE942ELNS1_3gpuE9ELNS1_3repE0EEENS1_30default_config_static_selectorELNS0_4arch9wavefront6targetE0EEEvT1_,"axG",@progbits,_ZN7rocprim17ROCPRIM_400000_NS6detail17trampoline_kernelINS0_14default_configENS1_25partition_config_selectorILNS1_17partition_subalgoE6ExNS0_10empty_typeEbEEZZNS1_14partition_implILS5_6ELb0ES3_mN6thrust23THRUST_200600_302600_NS6detail15normal_iteratorINSA_10device_ptrIxEEEEPS6_SG_NS0_5tupleIJSF_S6_EEENSH_IJSG_SG_EEES6_PlJNSB_9not_fun_tINSB_14equal_to_valueIxEEEEEEE10hipError_tPvRmT3_T4_T5_T6_T7_T9_mT8_P12ihipStream_tbDpT10_ENKUlT_T0_E_clISt17integral_constantIbLb0EES18_EEDaS13_S14_EUlS13_E_NS1_11comp_targetILNS1_3genE5ELNS1_11target_archE942ELNS1_3gpuE9ELNS1_3repE0EEENS1_30default_config_static_selectorELNS0_4arch9wavefront6targetE0EEEvT1_,comdat
	.protected	_ZN7rocprim17ROCPRIM_400000_NS6detail17trampoline_kernelINS0_14default_configENS1_25partition_config_selectorILNS1_17partition_subalgoE6ExNS0_10empty_typeEbEEZZNS1_14partition_implILS5_6ELb0ES3_mN6thrust23THRUST_200600_302600_NS6detail15normal_iteratorINSA_10device_ptrIxEEEEPS6_SG_NS0_5tupleIJSF_S6_EEENSH_IJSG_SG_EEES6_PlJNSB_9not_fun_tINSB_14equal_to_valueIxEEEEEEE10hipError_tPvRmT3_T4_T5_T6_T7_T9_mT8_P12ihipStream_tbDpT10_ENKUlT_T0_E_clISt17integral_constantIbLb0EES18_EEDaS13_S14_EUlS13_E_NS1_11comp_targetILNS1_3genE5ELNS1_11target_archE942ELNS1_3gpuE9ELNS1_3repE0EEENS1_30default_config_static_selectorELNS0_4arch9wavefront6targetE0EEEvT1_ ; -- Begin function _ZN7rocprim17ROCPRIM_400000_NS6detail17trampoline_kernelINS0_14default_configENS1_25partition_config_selectorILNS1_17partition_subalgoE6ExNS0_10empty_typeEbEEZZNS1_14partition_implILS5_6ELb0ES3_mN6thrust23THRUST_200600_302600_NS6detail15normal_iteratorINSA_10device_ptrIxEEEEPS6_SG_NS0_5tupleIJSF_S6_EEENSH_IJSG_SG_EEES6_PlJNSB_9not_fun_tINSB_14equal_to_valueIxEEEEEEE10hipError_tPvRmT3_T4_T5_T6_T7_T9_mT8_P12ihipStream_tbDpT10_ENKUlT_T0_E_clISt17integral_constantIbLb0EES18_EEDaS13_S14_EUlS13_E_NS1_11comp_targetILNS1_3genE5ELNS1_11target_archE942ELNS1_3gpuE9ELNS1_3repE0EEENS1_30default_config_static_selectorELNS0_4arch9wavefront6targetE0EEEvT1_
	.globl	_ZN7rocprim17ROCPRIM_400000_NS6detail17trampoline_kernelINS0_14default_configENS1_25partition_config_selectorILNS1_17partition_subalgoE6ExNS0_10empty_typeEbEEZZNS1_14partition_implILS5_6ELb0ES3_mN6thrust23THRUST_200600_302600_NS6detail15normal_iteratorINSA_10device_ptrIxEEEEPS6_SG_NS0_5tupleIJSF_S6_EEENSH_IJSG_SG_EEES6_PlJNSB_9not_fun_tINSB_14equal_to_valueIxEEEEEEE10hipError_tPvRmT3_T4_T5_T6_T7_T9_mT8_P12ihipStream_tbDpT10_ENKUlT_T0_E_clISt17integral_constantIbLb0EES18_EEDaS13_S14_EUlS13_E_NS1_11comp_targetILNS1_3genE5ELNS1_11target_archE942ELNS1_3gpuE9ELNS1_3repE0EEENS1_30default_config_static_selectorELNS0_4arch9wavefront6targetE0EEEvT1_
	.p2align	8
	.type	_ZN7rocprim17ROCPRIM_400000_NS6detail17trampoline_kernelINS0_14default_configENS1_25partition_config_selectorILNS1_17partition_subalgoE6ExNS0_10empty_typeEbEEZZNS1_14partition_implILS5_6ELb0ES3_mN6thrust23THRUST_200600_302600_NS6detail15normal_iteratorINSA_10device_ptrIxEEEEPS6_SG_NS0_5tupleIJSF_S6_EEENSH_IJSG_SG_EEES6_PlJNSB_9not_fun_tINSB_14equal_to_valueIxEEEEEEE10hipError_tPvRmT3_T4_T5_T6_T7_T9_mT8_P12ihipStream_tbDpT10_ENKUlT_T0_E_clISt17integral_constantIbLb0EES18_EEDaS13_S14_EUlS13_E_NS1_11comp_targetILNS1_3genE5ELNS1_11target_archE942ELNS1_3gpuE9ELNS1_3repE0EEENS1_30default_config_static_selectorELNS0_4arch9wavefront6targetE0EEEvT1_,@function
_ZN7rocprim17ROCPRIM_400000_NS6detail17trampoline_kernelINS0_14default_configENS1_25partition_config_selectorILNS1_17partition_subalgoE6ExNS0_10empty_typeEbEEZZNS1_14partition_implILS5_6ELb0ES3_mN6thrust23THRUST_200600_302600_NS6detail15normal_iteratorINSA_10device_ptrIxEEEEPS6_SG_NS0_5tupleIJSF_S6_EEENSH_IJSG_SG_EEES6_PlJNSB_9not_fun_tINSB_14equal_to_valueIxEEEEEEE10hipError_tPvRmT3_T4_T5_T6_T7_T9_mT8_P12ihipStream_tbDpT10_ENKUlT_T0_E_clISt17integral_constantIbLb0EES18_EEDaS13_S14_EUlS13_E_NS1_11comp_targetILNS1_3genE5ELNS1_11target_archE942ELNS1_3gpuE9ELNS1_3repE0EEENS1_30default_config_static_selectorELNS0_4arch9wavefront6targetE0EEEvT1_: ; @_ZN7rocprim17ROCPRIM_400000_NS6detail17trampoline_kernelINS0_14default_configENS1_25partition_config_selectorILNS1_17partition_subalgoE6ExNS0_10empty_typeEbEEZZNS1_14partition_implILS5_6ELb0ES3_mN6thrust23THRUST_200600_302600_NS6detail15normal_iteratorINSA_10device_ptrIxEEEEPS6_SG_NS0_5tupleIJSF_S6_EEENSH_IJSG_SG_EEES6_PlJNSB_9not_fun_tINSB_14equal_to_valueIxEEEEEEE10hipError_tPvRmT3_T4_T5_T6_T7_T9_mT8_P12ihipStream_tbDpT10_ENKUlT_T0_E_clISt17integral_constantIbLb0EES18_EEDaS13_S14_EUlS13_E_NS1_11comp_targetILNS1_3genE5ELNS1_11target_archE942ELNS1_3gpuE9ELNS1_3repE0EEENS1_30default_config_static_selectorELNS0_4arch9wavefront6targetE0EEEvT1_
; %bb.0:
	.section	.rodata,"a",@progbits
	.p2align	6, 0x0
	.amdhsa_kernel _ZN7rocprim17ROCPRIM_400000_NS6detail17trampoline_kernelINS0_14default_configENS1_25partition_config_selectorILNS1_17partition_subalgoE6ExNS0_10empty_typeEbEEZZNS1_14partition_implILS5_6ELb0ES3_mN6thrust23THRUST_200600_302600_NS6detail15normal_iteratorINSA_10device_ptrIxEEEEPS6_SG_NS0_5tupleIJSF_S6_EEENSH_IJSG_SG_EEES6_PlJNSB_9not_fun_tINSB_14equal_to_valueIxEEEEEEE10hipError_tPvRmT3_T4_T5_T6_T7_T9_mT8_P12ihipStream_tbDpT10_ENKUlT_T0_E_clISt17integral_constantIbLb0EES18_EEDaS13_S14_EUlS13_E_NS1_11comp_targetILNS1_3genE5ELNS1_11target_archE942ELNS1_3gpuE9ELNS1_3repE0EEENS1_30default_config_static_selectorELNS0_4arch9wavefront6targetE0EEEvT1_
		.amdhsa_group_segment_fixed_size 0
		.amdhsa_private_segment_fixed_size 0
		.amdhsa_kernarg_size 120
		.amdhsa_user_sgpr_count 2
		.amdhsa_user_sgpr_dispatch_ptr 0
		.amdhsa_user_sgpr_queue_ptr 0
		.amdhsa_user_sgpr_kernarg_segment_ptr 1
		.amdhsa_user_sgpr_dispatch_id 0
		.amdhsa_user_sgpr_private_segment_size 0
		.amdhsa_wavefront_size32 1
		.amdhsa_uses_dynamic_stack 0
		.amdhsa_enable_private_segment 0
		.amdhsa_system_sgpr_workgroup_id_x 1
		.amdhsa_system_sgpr_workgroup_id_y 0
		.amdhsa_system_sgpr_workgroup_id_z 0
		.amdhsa_system_sgpr_workgroup_info 0
		.amdhsa_system_vgpr_workitem_id 0
		.amdhsa_next_free_vgpr 1
		.amdhsa_next_free_sgpr 1
		.amdhsa_reserve_vcc 0
		.amdhsa_float_round_mode_32 0
		.amdhsa_float_round_mode_16_64 0
		.amdhsa_float_denorm_mode_32 3
		.amdhsa_float_denorm_mode_16_64 3
		.amdhsa_fp16_overflow 0
		.amdhsa_workgroup_processor_mode 1
		.amdhsa_memory_ordered 1
		.amdhsa_forward_progress 1
		.amdhsa_inst_pref_size 0
		.amdhsa_round_robin_scheduling 0
		.amdhsa_exception_fp_ieee_invalid_op 0
		.amdhsa_exception_fp_denorm_src 0
		.amdhsa_exception_fp_ieee_div_zero 0
		.amdhsa_exception_fp_ieee_overflow 0
		.amdhsa_exception_fp_ieee_underflow 0
		.amdhsa_exception_fp_ieee_inexact 0
		.amdhsa_exception_int_div_zero 0
	.end_amdhsa_kernel
	.section	.text._ZN7rocprim17ROCPRIM_400000_NS6detail17trampoline_kernelINS0_14default_configENS1_25partition_config_selectorILNS1_17partition_subalgoE6ExNS0_10empty_typeEbEEZZNS1_14partition_implILS5_6ELb0ES3_mN6thrust23THRUST_200600_302600_NS6detail15normal_iteratorINSA_10device_ptrIxEEEEPS6_SG_NS0_5tupleIJSF_S6_EEENSH_IJSG_SG_EEES6_PlJNSB_9not_fun_tINSB_14equal_to_valueIxEEEEEEE10hipError_tPvRmT3_T4_T5_T6_T7_T9_mT8_P12ihipStream_tbDpT10_ENKUlT_T0_E_clISt17integral_constantIbLb0EES18_EEDaS13_S14_EUlS13_E_NS1_11comp_targetILNS1_3genE5ELNS1_11target_archE942ELNS1_3gpuE9ELNS1_3repE0EEENS1_30default_config_static_selectorELNS0_4arch9wavefront6targetE0EEEvT1_,"axG",@progbits,_ZN7rocprim17ROCPRIM_400000_NS6detail17trampoline_kernelINS0_14default_configENS1_25partition_config_selectorILNS1_17partition_subalgoE6ExNS0_10empty_typeEbEEZZNS1_14partition_implILS5_6ELb0ES3_mN6thrust23THRUST_200600_302600_NS6detail15normal_iteratorINSA_10device_ptrIxEEEEPS6_SG_NS0_5tupleIJSF_S6_EEENSH_IJSG_SG_EEES6_PlJNSB_9not_fun_tINSB_14equal_to_valueIxEEEEEEE10hipError_tPvRmT3_T4_T5_T6_T7_T9_mT8_P12ihipStream_tbDpT10_ENKUlT_T0_E_clISt17integral_constantIbLb0EES18_EEDaS13_S14_EUlS13_E_NS1_11comp_targetILNS1_3genE5ELNS1_11target_archE942ELNS1_3gpuE9ELNS1_3repE0EEENS1_30default_config_static_selectorELNS0_4arch9wavefront6targetE0EEEvT1_,comdat
.Lfunc_end438:
	.size	_ZN7rocprim17ROCPRIM_400000_NS6detail17trampoline_kernelINS0_14default_configENS1_25partition_config_selectorILNS1_17partition_subalgoE6ExNS0_10empty_typeEbEEZZNS1_14partition_implILS5_6ELb0ES3_mN6thrust23THRUST_200600_302600_NS6detail15normal_iteratorINSA_10device_ptrIxEEEEPS6_SG_NS0_5tupleIJSF_S6_EEENSH_IJSG_SG_EEES6_PlJNSB_9not_fun_tINSB_14equal_to_valueIxEEEEEEE10hipError_tPvRmT3_T4_T5_T6_T7_T9_mT8_P12ihipStream_tbDpT10_ENKUlT_T0_E_clISt17integral_constantIbLb0EES18_EEDaS13_S14_EUlS13_E_NS1_11comp_targetILNS1_3genE5ELNS1_11target_archE942ELNS1_3gpuE9ELNS1_3repE0EEENS1_30default_config_static_selectorELNS0_4arch9wavefront6targetE0EEEvT1_, .Lfunc_end438-_ZN7rocprim17ROCPRIM_400000_NS6detail17trampoline_kernelINS0_14default_configENS1_25partition_config_selectorILNS1_17partition_subalgoE6ExNS0_10empty_typeEbEEZZNS1_14partition_implILS5_6ELb0ES3_mN6thrust23THRUST_200600_302600_NS6detail15normal_iteratorINSA_10device_ptrIxEEEEPS6_SG_NS0_5tupleIJSF_S6_EEENSH_IJSG_SG_EEES6_PlJNSB_9not_fun_tINSB_14equal_to_valueIxEEEEEEE10hipError_tPvRmT3_T4_T5_T6_T7_T9_mT8_P12ihipStream_tbDpT10_ENKUlT_T0_E_clISt17integral_constantIbLb0EES18_EEDaS13_S14_EUlS13_E_NS1_11comp_targetILNS1_3genE5ELNS1_11target_archE942ELNS1_3gpuE9ELNS1_3repE0EEENS1_30default_config_static_selectorELNS0_4arch9wavefront6targetE0EEEvT1_
                                        ; -- End function
	.set _ZN7rocprim17ROCPRIM_400000_NS6detail17trampoline_kernelINS0_14default_configENS1_25partition_config_selectorILNS1_17partition_subalgoE6ExNS0_10empty_typeEbEEZZNS1_14partition_implILS5_6ELb0ES3_mN6thrust23THRUST_200600_302600_NS6detail15normal_iteratorINSA_10device_ptrIxEEEEPS6_SG_NS0_5tupleIJSF_S6_EEENSH_IJSG_SG_EEES6_PlJNSB_9not_fun_tINSB_14equal_to_valueIxEEEEEEE10hipError_tPvRmT3_T4_T5_T6_T7_T9_mT8_P12ihipStream_tbDpT10_ENKUlT_T0_E_clISt17integral_constantIbLb0EES18_EEDaS13_S14_EUlS13_E_NS1_11comp_targetILNS1_3genE5ELNS1_11target_archE942ELNS1_3gpuE9ELNS1_3repE0EEENS1_30default_config_static_selectorELNS0_4arch9wavefront6targetE0EEEvT1_.num_vgpr, 0
	.set _ZN7rocprim17ROCPRIM_400000_NS6detail17trampoline_kernelINS0_14default_configENS1_25partition_config_selectorILNS1_17partition_subalgoE6ExNS0_10empty_typeEbEEZZNS1_14partition_implILS5_6ELb0ES3_mN6thrust23THRUST_200600_302600_NS6detail15normal_iteratorINSA_10device_ptrIxEEEEPS6_SG_NS0_5tupleIJSF_S6_EEENSH_IJSG_SG_EEES6_PlJNSB_9not_fun_tINSB_14equal_to_valueIxEEEEEEE10hipError_tPvRmT3_T4_T5_T6_T7_T9_mT8_P12ihipStream_tbDpT10_ENKUlT_T0_E_clISt17integral_constantIbLb0EES18_EEDaS13_S14_EUlS13_E_NS1_11comp_targetILNS1_3genE5ELNS1_11target_archE942ELNS1_3gpuE9ELNS1_3repE0EEENS1_30default_config_static_selectorELNS0_4arch9wavefront6targetE0EEEvT1_.num_agpr, 0
	.set _ZN7rocprim17ROCPRIM_400000_NS6detail17trampoline_kernelINS0_14default_configENS1_25partition_config_selectorILNS1_17partition_subalgoE6ExNS0_10empty_typeEbEEZZNS1_14partition_implILS5_6ELb0ES3_mN6thrust23THRUST_200600_302600_NS6detail15normal_iteratorINSA_10device_ptrIxEEEEPS6_SG_NS0_5tupleIJSF_S6_EEENSH_IJSG_SG_EEES6_PlJNSB_9not_fun_tINSB_14equal_to_valueIxEEEEEEE10hipError_tPvRmT3_T4_T5_T6_T7_T9_mT8_P12ihipStream_tbDpT10_ENKUlT_T0_E_clISt17integral_constantIbLb0EES18_EEDaS13_S14_EUlS13_E_NS1_11comp_targetILNS1_3genE5ELNS1_11target_archE942ELNS1_3gpuE9ELNS1_3repE0EEENS1_30default_config_static_selectorELNS0_4arch9wavefront6targetE0EEEvT1_.numbered_sgpr, 0
	.set _ZN7rocprim17ROCPRIM_400000_NS6detail17trampoline_kernelINS0_14default_configENS1_25partition_config_selectorILNS1_17partition_subalgoE6ExNS0_10empty_typeEbEEZZNS1_14partition_implILS5_6ELb0ES3_mN6thrust23THRUST_200600_302600_NS6detail15normal_iteratorINSA_10device_ptrIxEEEEPS6_SG_NS0_5tupleIJSF_S6_EEENSH_IJSG_SG_EEES6_PlJNSB_9not_fun_tINSB_14equal_to_valueIxEEEEEEE10hipError_tPvRmT3_T4_T5_T6_T7_T9_mT8_P12ihipStream_tbDpT10_ENKUlT_T0_E_clISt17integral_constantIbLb0EES18_EEDaS13_S14_EUlS13_E_NS1_11comp_targetILNS1_3genE5ELNS1_11target_archE942ELNS1_3gpuE9ELNS1_3repE0EEENS1_30default_config_static_selectorELNS0_4arch9wavefront6targetE0EEEvT1_.num_named_barrier, 0
	.set _ZN7rocprim17ROCPRIM_400000_NS6detail17trampoline_kernelINS0_14default_configENS1_25partition_config_selectorILNS1_17partition_subalgoE6ExNS0_10empty_typeEbEEZZNS1_14partition_implILS5_6ELb0ES3_mN6thrust23THRUST_200600_302600_NS6detail15normal_iteratorINSA_10device_ptrIxEEEEPS6_SG_NS0_5tupleIJSF_S6_EEENSH_IJSG_SG_EEES6_PlJNSB_9not_fun_tINSB_14equal_to_valueIxEEEEEEE10hipError_tPvRmT3_T4_T5_T6_T7_T9_mT8_P12ihipStream_tbDpT10_ENKUlT_T0_E_clISt17integral_constantIbLb0EES18_EEDaS13_S14_EUlS13_E_NS1_11comp_targetILNS1_3genE5ELNS1_11target_archE942ELNS1_3gpuE9ELNS1_3repE0EEENS1_30default_config_static_selectorELNS0_4arch9wavefront6targetE0EEEvT1_.private_seg_size, 0
	.set _ZN7rocprim17ROCPRIM_400000_NS6detail17trampoline_kernelINS0_14default_configENS1_25partition_config_selectorILNS1_17partition_subalgoE6ExNS0_10empty_typeEbEEZZNS1_14partition_implILS5_6ELb0ES3_mN6thrust23THRUST_200600_302600_NS6detail15normal_iteratorINSA_10device_ptrIxEEEEPS6_SG_NS0_5tupleIJSF_S6_EEENSH_IJSG_SG_EEES6_PlJNSB_9not_fun_tINSB_14equal_to_valueIxEEEEEEE10hipError_tPvRmT3_T4_T5_T6_T7_T9_mT8_P12ihipStream_tbDpT10_ENKUlT_T0_E_clISt17integral_constantIbLb0EES18_EEDaS13_S14_EUlS13_E_NS1_11comp_targetILNS1_3genE5ELNS1_11target_archE942ELNS1_3gpuE9ELNS1_3repE0EEENS1_30default_config_static_selectorELNS0_4arch9wavefront6targetE0EEEvT1_.uses_vcc, 0
	.set _ZN7rocprim17ROCPRIM_400000_NS6detail17trampoline_kernelINS0_14default_configENS1_25partition_config_selectorILNS1_17partition_subalgoE6ExNS0_10empty_typeEbEEZZNS1_14partition_implILS5_6ELb0ES3_mN6thrust23THRUST_200600_302600_NS6detail15normal_iteratorINSA_10device_ptrIxEEEEPS6_SG_NS0_5tupleIJSF_S6_EEENSH_IJSG_SG_EEES6_PlJNSB_9not_fun_tINSB_14equal_to_valueIxEEEEEEE10hipError_tPvRmT3_T4_T5_T6_T7_T9_mT8_P12ihipStream_tbDpT10_ENKUlT_T0_E_clISt17integral_constantIbLb0EES18_EEDaS13_S14_EUlS13_E_NS1_11comp_targetILNS1_3genE5ELNS1_11target_archE942ELNS1_3gpuE9ELNS1_3repE0EEENS1_30default_config_static_selectorELNS0_4arch9wavefront6targetE0EEEvT1_.uses_flat_scratch, 0
	.set _ZN7rocprim17ROCPRIM_400000_NS6detail17trampoline_kernelINS0_14default_configENS1_25partition_config_selectorILNS1_17partition_subalgoE6ExNS0_10empty_typeEbEEZZNS1_14partition_implILS5_6ELb0ES3_mN6thrust23THRUST_200600_302600_NS6detail15normal_iteratorINSA_10device_ptrIxEEEEPS6_SG_NS0_5tupleIJSF_S6_EEENSH_IJSG_SG_EEES6_PlJNSB_9not_fun_tINSB_14equal_to_valueIxEEEEEEE10hipError_tPvRmT3_T4_T5_T6_T7_T9_mT8_P12ihipStream_tbDpT10_ENKUlT_T0_E_clISt17integral_constantIbLb0EES18_EEDaS13_S14_EUlS13_E_NS1_11comp_targetILNS1_3genE5ELNS1_11target_archE942ELNS1_3gpuE9ELNS1_3repE0EEENS1_30default_config_static_selectorELNS0_4arch9wavefront6targetE0EEEvT1_.has_dyn_sized_stack, 0
	.set _ZN7rocprim17ROCPRIM_400000_NS6detail17trampoline_kernelINS0_14default_configENS1_25partition_config_selectorILNS1_17partition_subalgoE6ExNS0_10empty_typeEbEEZZNS1_14partition_implILS5_6ELb0ES3_mN6thrust23THRUST_200600_302600_NS6detail15normal_iteratorINSA_10device_ptrIxEEEEPS6_SG_NS0_5tupleIJSF_S6_EEENSH_IJSG_SG_EEES6_PlJNSB_9not_fun_tINSB_14equal_to_valueIxEEEEEEE10hipError_tPvRmT3_T4_T5_T6_T7_T9_mT8_P12ihipStream_tbDpT10_ENKUlT_T0_E_clISt17integral_constantIbLb0EES18_EEDaS13_S14_EUlS13_E_NS1_11comp_targetILNS1_3genE5ELNS1_11target_archE942ELNS1_3gpuE9ELNS1_3repE0EEENS1_30default_config_static_selectorELNS0_4arch9wavefront6targetE0EEEvT1_.has_recursion, 0
	.set _ZN7rocprim17ROCPRIM_400000_NS6detail17trampoline_kernelINS0_14default_configENS1_25partition_config_selectorILNS1_17partition_subalgoE6ExNS0_10empty_typeEbEEZZNS1_14partition_implILS5_6ELb0ES3_mN6thrust23THRUST_200600_302600_NS6detail15normal_iteratorINSA_10device_ptrIxEEEEPS6_SG_NS0_5tupleIJSF_S6_EEENSH_IJSG_SG_EEES6_PlJNSB_9not_fun_tINSB_14equal_to_valueIxEEEEEEE10hipError_tPvRmT3_T4_T5_T6_T7_T9_mT8_P12ihipStream_tbDpT10_ENKUlT_T0_E_clISt17integral_constantIbLb0EES18_EEDaS13_S14_EUlS13_E_NS1_11comp_targetILNS1_3genE5ELNS1_11target_archE942ELNS1_3gpuE9ELNS1_3repE0EEENS1_30default_config_static_selectorELNS0_4arch9wavefront6targetE0EEEvT1_.has_indirect_call, 0
	.section	.AMDGPU.csdata,"",@progbits
; Kernel info:
; codeLenInByte = 0
; TotalNumSgprs: 0
; NumVgprs: 0
; ScratchSize: 0
; MemoryBound: 0
; FloatMode: 240
; IeeeMode: 1
; LDSByteSize: 0 bytes/workgroup (compile time only)
; SGPRBlocks: 0
; VGPRBlocks: 0
; NumSGPRsForWavesPerEU: 1
; NumVGPRsForWavesPerEU: 1
; Occupancy: 16
; WaveLimiterHint : 0
; COMPUTE_PGM_RSRC2:SCRATCH_EN: 0
; COMPUTE_PGM_RSRC2:USER_SGPR: 2
; COMPUTE_PGM_RSRC2:TRAP_HANDLER: 0
; COMPUTE_PGM_RSRC2:TGID_X_EN: 1
; COMPUTE_PGM_RSRC2:TGID_Y_EN: 0
; COMPUTE_PGM_RSRC2:TGID_Z_EN: 0
; COMPUTE_PGM_RSRC2:TIDIG_COMP_CNT: 0
	.section	.text._ZN7rocprim17ROCPRIM_400000_NS6detail17trampoline_kernelINS0_14default_configENS1_25partition_config_selectorILNS1_17partition_subalgoE6ExNS0_10empty_typeEbEEZZNS1_14partition_implILS5_6ELb0ES3_mN6thrust23THRUST_200600_302600_NS6detail15normal_iteratorINSA_10device_ptrIxEEEEPS6_SG_NS0_5tupleIJSF_S6_EEENSH_IJSG_SG_EEES6_PlJNSB_9not_fun_tINSB_14equal_to_valueIxEEEEEEE10hipError_tPvRmT3_T4_T5_T6_T7_T9_mT8_P12ihipStream_tbDpT10_ENKUlT_T0_E_clISt17integral_constantIbLb0EES18_EEDaS13_S14_EUlS13_E_NS1_11comp_targetILNS1_3genE4ELNS1_11target_archE910ELNS1_3gpuE8ELNS1_3repE0EEENS1_30default_config_static_selectorELNS0_4arch9wavefront6targetE0EEEvT1_,"axG",@progbits,_ZN7rocprim17ROCPRIM_400000_NS6detail17trampoline_kernelINS0_14default_configENS1_25partition_config_selectorILNS1_17partition_subalgoE6ExNS0_10empty_typeEbEEZZNS1_14partition_implILS5_6ELb0ES3_mN6thrust23THRUST_200600_302600_NS6detail15normal_iteratorINSA_10device_ptrIxEEEEPS6_SG_NS0_5tupleIJSF_S6_EEENSH_IJSG_SG_EEES6_PlJNSB_9not_fun_tINSB_14equal_to_valueIxEEEEEEE10hipError_tPvRmT3_T4_T5_T6_T7_T9_mT8_P12ihipStream_tbDpT10_ENKUlT_T0_E_clISt17integral_constantIbLb0EES18_EEDaS13_S14_EUlS13_E_NS1_11comp_targetILNS1_3genE4ELNS1_11target_archE910ELNS1_3gpuE8ELNS1_3repE0EEENS1_30default_config_static_selectorELNS0_4arch9wavefront6targetE0EEEvT1_,comdat
	.protected	_ZN7rocprim17ROCPRIM_400000_NS6detail17trampoline_kernelINS0_14default_configENS1_25partition_config_selectorILNS1_17partition_subalgoE6ExNS0_10empty_typeEbEEZZNS1_14partition_implILS5_6ELb0ES3_mN6thrust23THRUST_200600_302600_NS6detail15normal_iteratorINSA_10device_ptrIxEEEEPS6_SG_NS0_5tupleIJSF_S6_EEENSH_IJSG_SG_EEES6_PlJNSB_9not_fun_tINSB_14equal_to_valueIxEEEEEEE10hipError_tPvRmT3_T4_T5_T6_T7_T9_mT8_P12ihipStream_tbDpT10_ENKUlT_T0_E_clISt17integral_constantIbLb0EES18_EEDaS13_S14_EUlS13_E_NS1_11comp_targetILNS1_3genE4ELNS1_11target_archE910ELNS1_3gpuE8ELNS1_3repE0EEENS1_30default_config_static_selectorELNS0_4arch9wavefront6targetE0EEEvT1_ ; -- Begin function _ZN7rocprim17ROCPRIM_400000_NS6detail17trampoline_kernelINS0_14default_configENS1_25partition_config_selectorILNS1_17partition_subalgoE6ExNS0_10empty_typeEbEEZZNS1_14partition_implILS5_6ELb0ES3_mN6thrust23THRUST_200600_302600_NS6detail15normal_iteratorINSA_10device_ptrIxEEEEPS6_SG_NS0_5tupleIJSF_S6_EEENSH_IJSG_SG_EEES6_PlJNSB_9not_fun_tINSB_14equal_to_valueIxEEEEEEE10hipError_tPvRmT3_T4_T5_T6_T7_T9_mT8_P12ihipStream_tbDpT10_ENKUlT_T0_E_clISt17integral_constantIbLb0EES18_EEDaS13_S14_EUlS13_E_NS1_11comp_targetILNS1_3genE4ELNS1_11target_archE910ELNS1_3gpuE8ELNS1_3repE0EEENS1_30default_config_static_selectorELNS0_4arch9wavefront6targetE0EEEvT1_
	.globl	_ZN7rocprim17ROCPRIM_400000_NS6detail17trampoline_kernelINS0_14default_configENS1_25partition_config_selectorILNS1_17partition_subalgoE6ExNS0_10empty_typeEbEEZZNS1_14partition_implILS5_6ELb0ES3_mN6thrust23THRUST_200600_302600_NS6detail15normal_iteratorINSA_10device_ptrIxEEEEPS6_SG_NS0_5tupleIJSF_S6_EEENSH_IJSG_SG_EEES6_PlJNSB_9not_fun_tINSB_14equal_to_valueIxEEEEEEE10hipError_tPvRmT3_T4_T5_T6_T7_T9_mT8_P12ihipStream_tbDpT10_ENKUlT_T0_E_clISt17integral_constantIbLb0EES18_EEDaS13_S14_EUlS13_E_NS1_11comp_targetILNS1_3genE4ELNS1_11target_archE910ELNS1_3gpuE8ELNS1_3repE0EEENS1_30default_config_static_selectorELNS0_4arch9wavefront6targetE0EEEvT1_
	.p2align	8
	.type	_ZN7rocprim17ROCPRIM_400000_NS6detail17trampoline_kernelINS0_14default_configENS1_25partition_config_selectorILNS1_17partition_subalgoE6ExNS0_10empty_typeEbEEZZNS1_14partition_implILS5_6ELb0ES3_mN6thrust23THRUST_200600_302600_NS6detail15normal_iteratorINSA_10device_ptrIxEEEEPS6_SG_NS0_5tupleIJSF_S6_EEENSH_IJSG_SG_EEES6_PlJNSB_9not_fun_tINSB_14equal_to_valueIxEEEEEEE10hipError_tPvRmT3_T4_T5_T6_T7_T9_mT8_P12ihipStream_tbDpT10_ENKUlT_T0_E_clISt17integral_constantIbLb0EES18_EEDaS13_S14_EUlS13_E_NS1_11comp_targetILNS1_3genE4ELNS1_11target_archE910ELNS1_3gpuE8ELNS1_3repE0EEENS1_30default_config_static_selectorELNS0_4arch9wavefront6targetE0EEEvT1_,@function
_ZN7rocprim17ROCPRIM_400000_NS6detail17trampoline_kernelINS0_14default_configENS1_25partition_config_selectorILNS1_17partition_subalgoE6ExNS0_10empty_typeEbEEZZNS1_14partition_implILS5_6ELb0ES3_mN6thrust23THRUST_200600_302600_NS6detail15normal_iteratorINSA_10device_ptrIxEEEEPS6_SG_NS0_5tupleIJSF_S6_EEENSH_IJSG_SG_EEES6_PlJNSB_9not_fun_tINSB_14equal_to_valueIxEEEEEEE10hipError_tPvRmT3_T4_T5_T6_T7_T9_mT8_P12ihipStream_tbDpT10_ENKUlT_T0_E_clISt17integral_constantIbLb0EES18_EEDaS13_S14_EUlS13_E_NS1_11comp_targetILNS1_3genE4ELNS1_11target_archE910ELNS1_3gpuE8ELNS1_3repE0EEENS1_30default_config_static_selectorELNS0_4arch9wavefront6targetE0EEEvT1_: ; @_ZN7rocprim17ROCPRIM_400000_NS6detail17trampoline_kernelINS0_14default_configENS1_25partition_config_selectorILNS1_17partition_subalgoE6ExNS0_10empty_typeEbEEZZNS1_14partition_implILS5_6ELb0ES3_mN6thrust23THRUST_200600_302600_NS6detail15normal_iteratorINSA_10device_ptrIxEEEEPS6_SG_NS0_5tupleIJSF_S6_EEENSH_IJSG_SG_EEES6_PlJNSB_9not_fun_tINSB_14equal_to_valueIxEEEEEEE10hipError_tPvRmT3_T4_T5_T6_T7_T9_mT8_P12ihipStream_tbDpT10_ENKUlT_T0_E_clISt17integral_constantIbLb0EES18_EEDaS13_S14_EUlS13_E_NS1_11comp_targetILNS1_3genE4ELNS1_11target_archE910ELNS1_3gpuE8ELNS1_3repE0EEENS1_30default_config_static_selectorELNS0_4arch9wavefront6targetE0EEEvT1_
; %bb.0:
	.section	.rodata,"a",@progbits
	.p2align	6, 0x0
	.amdhsa_kernel _ZN7rocprim17ROCPRIM_400000_NS6detail17trampoline_kernelINS0_14default_configENS1_25partition_config_selectorILNS1_17partition_subalgoE6ExNS0_10empty_typeEbEEZZNS1_14partition_implILS5_6ELb0ES3_mN6thrust23THRUST_200600_302600_NS6detail15normal_iteratorINSA_10device_ptrIxEEEEPS6_SG_NS0_5tupleIJSF_S6_EEENSH_IJSG_SG_EEES6_PlJNSB_9not_fun_tINSB_14equal_to_valueIxEEEEEEE10hipError_tPvRmT3_T4_T5_T6_T7_T9_mT8_P12ihipStream_tbDpT10_ENKUlT_T0_E_clISt17integral_constantIbLb0EES18_EEDaS13_S14_EUlS13_E_NS1_11comp_targetILNS1_3genE4ELNS1_11target_archE910ELNS1_3gpuE8ELNS1_3repE0EEENS1_30default_config_static_selectorELNS0_4arch9wavefront6targetE0EEEvT1_
		.amdhsa_group_segment_fixed_size 0
		.amdhsa_private_segment_fixed_size 0
		.amdhsa_kernarg_size 120
		.amdhsa_user_sgpr_count 2
		.amdhsa_user_sgpr_dispatch_ptr 0
		.amdhsa_user_sgpr_queue_ptr 0
		.amdhsa_user_sgpr_kernarg_segment_ptr 1
		.amdhsa_user_sgpr_dispatch_id 0
		.amdhsa_user_sgpr_private_segment_size 0
		.amdhsa_wavefront_size32 1
		.amdhsa_uses_dynamic_stack 0
		.amdhsa_enable_private_segment 0
		.amdhsa_system_sgpr_workgroup_id_x 1
		.amdhsa_system_sgpr_workgroup_id_y 0
		.amdhsa_system_sgpr_workgroup_id_z 0
		.amdhsa_system_sgpr_workgroup_info 0
		.amdhsa_system_vgpr_workitem_id 0
		.amdhsa_next_free_vgpr 1
		.amdhsa_next_free_sgpr 1
		.amdhsa_reserve_vcc 0
		.amdhsa_float_round_mode_32 0
		.amdhsa_float_round_mode_16_64 0
		.amdhsa_float_denorm_mode_32 3
		.amdhsa_float_denorm_mode_16_64 3
		.amdhsa_fp16_overflow 0
		.amdhsa_workgroup_processor_mode 1
		.amdhsa_memory_ordered 1
		.amdhsa_forward_progress 1
		.amdhsa_inst_pref_size 0
		.amdhsa_round_robin_scheduling 0
		.amdhsa_exception_fp_ieee_invalid_op 0
		.amdhsa_exception_fp_denorm_src 0
		.amdhsa_exception_fp_ieee_div_zero 0
		.amdhsa_exception_fp_ieee_overflow 0
		.amdhsa_exception_fp_ieee_underflow 0
		.amdhsa_exception_fp_ieee_inexact 0
		.amdhsa_exception_int_div_zero 0
	.end_amdhsa_kernel
	.section	.text._ZN7rocprim17ROCPRIM_400000_NS6detail17trampoline_kernelINS0_14default_configENS1_25partition_config_selectorILNS1_17partition_subalgoE6ExNS0_10empty_typeEbEEZZNS1_14partition_implILS5_6ELb0ES3_mN6thrust23THRUST_200600_302600_NS6detail15normal_iteratorINSA_10device_ptrIxEEEEPS6_SG_NS0_5tupleIJSF_S6_EEENSH_IJSG_SG_EEES6_PlJNSB_9not_fun_tINSB_14equal_to_valueIxEEEEEEE10hipError_tPvRmT3_T4_T5_T6_T7_T9_mT8_P12ihipStream_tbDpT10_ENKUlT_T0_E_clISt17integral_constantIbLb0EES18_EEDaS13_S14_EUlS13_E_NS1_11comp_targetILNS1_3genE4ELNS1_11target_archE910ELNS1_3gpuE8ELNS1_3repE0EEENS1_30default_config_static_selectorELNS0_4arch9wavefront6targetE0EEEvT1_,"axG",@progbits,_ZN7rocprim17ROCPRIM_400000_NS6detail17trampoline_kernelINS0_14default_configENS1_25partition_config_selectorILNS1_17partition_subalgoE6ExNS0_10empty_typeEbEEZZNS1_14partition_implILS5_6ELb0ES3_mN6thrust23THRUST_200600_302600_NS6detail15normal_iteratorINSA_10device_ptrIxEEEEPS6_SG_NS0_5tupleIJSF_S6_EEENSH_IJSG_SG_EEES6_PlJNSB_9not_fun_tINSB_14equal_to_valueIxEEEEEEE10hipError_tPvRmT3_T4_T5_T6_T7_T9_mT8_P12ihipStream_tbDpT10_ENKUlT_T0_E_clISt17integral_constantIbLb0EES18_EEDaS13_S14_EUlS13_E_NS1_11comp_targetILNS1_3genE4ELNS1_11target_archE910ELNS1_3gpuE8ELNS1_3repE0EEENS1_30default_config_static_selectorELNS0_4arch9wavefront6targetE0EEEvT1_,comdat
.Lfunc_end439:
	.size	_ZN7rocprim17ROCPRIM_400000_NS6detail17trampoline_kernelINS0_14default_configENS1_25partition_config_selectorILNS1_17partition_subalgoE6ExNS0_10empty_typeEbEEZZNS1_14partition_implILS5_6ELb0ES3_mN6thrust23THRUST_200600_302600_NS6detail15normal_iteratorINSA_10device_ptrIxEEEEPS6_SG_NS0_5tupleIJSF_S6_EEENSH_IJSG_SG_EEES6_PlJNSB_9not_fun_tINSB_14equal_to_valueIxEEEEEEE10hipError_tPvRmT3_T4_T5_T6_T7_T9_mT8_P12ihipStream_tbDpT10_ENKUlT_T0_E_clISt17integral_constantIbLb0EES18_EEDaS13_S14_EUlS13_E_NS1_11comp_targetILNS1_3genE4ELNS1_11target_archE910ELNS1_3gpuE8ELNS1_3repE0EEENS1_30default_config_static_selectorELNS0_4arch9wavefront6targetE0EEEvT1_, .Lfunc_end439-_ZN7rocprim17ROCPRIM_400000_NS6detail17trampoline_kernelINS0_14default_configENS1_25partition_config_selectorILNS1_17partition_subalgoE6ExNS0_10empty_typeEbEEZZNS1_14partition_implILS5_6ELb0ES3_mN6thrust23THRUST_200600_302600_NS6detail15normal_iteratorINSA_10device_ptrIxEEEEPS6_SG_NS0_5tupleIJSF_S6_EEENSH_IJSG_SG_EEES6_PlJNSB_9not_fun_tINSB_14equal_to_valueIxEEEEEEE10hipError_tPvRmT3_T4_T5_T6_T7_T9_mT8_P12ihipStream_tbDpT10_ENKUlT_T0_E_clISt17integral_constantIbLb0EES18_EEDaS13_S14_EUlS13_E_NS1_11comp_targetILNS1_3genE4ELNS1_11target_archE910ELNS1_3gpuE8ELNS1_3repE0EEENS1_30default_config_static_selectorELNS0_4arch9wavefront6targetE0EEEvT1_
                                        ; -- End function
	.set _ZN7rocprim17ROCPRIM_400000_NS6detail17trampoline_kernelINS0_14default_configENS1_25partition_config_selectorILNS1_17partition_subalgoE6ExNS0_10empty_typeEbEEZZNS1_14partition_implILS5_6ELb0ES3_mN6thrust23THRUST_200600_302600_NS6detail15normal_iteratorINSA_10device_ptrIxEEEEPS6_SG_NS0_5tupleIJSF_S6_EEENSH_IJSG_SG_EEES6_PlJNSB_9not_fun_tINSB_14equal_to_valueIxEEEEEEE10hipError_tPvRmT3_T4_T5_T6_T7_T9_mT8_P12ihipStream_tbDpT10_ENKUlT_T0_E_clISt17integral_constantIbLb0EES18_EEDaS13_S14_EUlS13_E_NS1_11comp_targetILNS1_3genE4ELNS1_11target_archE910ELNS1_3gpuE8ELNS1_3repE0EEENS1_30default_config_static_selectorELNS0_4arch9wavefront6targetE0EEEvT1_.num_vgpr, 0
	.set _ZN7rocprim17ROCPRIM_400000_NS6detail17trampoline_kernelINS0_14default_configENS1_25partition_config_selectorILNS1_17partition_subalgoE6ExNS0_10empty_typeEbEEZZNS1_14partition_implILS5_6ELb0ES3_mN6thrust23THRUST_200600_302600_NS6detail15normal_iteratorINSA_10device_ptrIxEEEEPS6_SG_NS0_5tupleIJSF_S6_EEENSH_IJSG_SG_EEES6_PlJNSB_9not_fun_tINSB_14equal_to_valueIxEEEEEEE10hipError_tPvRmT3_T4_T5_T6_T7_T9_mT8_P12ihipStream_tbDpT10_ENKUlT_T0_E_clISt17integral_constantIbLb0EES18_EEDaS13_S14_EUlS13_E_NS1_11comp_targetILNS1_3genE4ELNS1_11target_archE910ELNS1_3gpuE8ELNS1_3repE0EEENS1_30default_config_static_selectorELNS0_4arch9wavefront6targetE0EEEvT1_.num_agpr, 0
	.set _ZN7rocprim17ROCPRIM_400000_NS6detail17trampoline_kernelINS0_14default_configENS1_25partition_config_selectorILNS1_17partition_subalgoE6ExNS0_10empty_typeEbEEZZNS1_14partition_implILS5_6ELb0ES3_mN6thrust23THRUST_200600_302600_NS6detail15normal_iteratorINSA_10device_ptrIxEEEEPS6_SG_NS0_5tupleIJSF_S6_EEENSH_IJSG_SG_EEES6_PlJNSB_9not_fun_tINSB_14equal_to_valueIxEEEEEEE10hipError_tPvRmT3_T4_T5_T6_T7_T9_mT8_P12ihipStream_tbDpT10_ENKUlT_T0_E_clISt17integral_constantIbLb0EES18_EEDaS13_S14_EUlS13_E_NS1_11comp_targetILNS1_3genE4ELNS1_11target_archE910ELNS1_3gpuE8ELNS1_3repE0EEENS1_30default_config_static_selectorELNS0_4arch9wavefront6targetE0EEEvT1_.numbered_sgpr, 0
	.set _ZN7rocprim17ROCPRIM_400000_NS6detail17trampoline_kernelINS0_14default_configENS1_25partition_config_selectorILNS1_17partition_subalgoE6ExNS0_10empty_typeEbEEZZNS1_14partition_implILS5_6ELb0ES3_mN6thrust23THRUST_200600_302600_NS6detail15normal_iteratorINSA_10device_ptrIxEEEEPS6_SG_NS0_5tupleIJSF_S6_EEENSH_IJSG_SG_EEES6_PlJNSB_9not_fun_tINSB_14equal_to_valueIxEEEEEEE10hipError_tPvRmT3_T4_T5_T6_T7_T9_mT8_P12ihipStream_tbDpT10_ENKUlT_T0_E_clISt17integral_constantIbLb0EES18_EEDaS13_S14_EUlS13_E_NS1_11comp_targetILNS1_3genE4ELNS1_11target_archE910ELNS1_3gpuE8ELNS1_3repE0EEENS1_30default_config_static_selectorELNS0_4arch9wavefront6targetE0EEEvT1_.num_named_barrier, 0
	.set _ZN7rocprim17ROCPRIM_400000_NS6detail17trampoline_kernelINS0_14default_configENS1_25partition_config_selectorILNS1_17partition_subalgoE6ExNS0_10empty_typeEbEEZZNS1_14partition_implILS5_6ELb0ES3_mN6thrust23THRUST_200600_302600_NS6detail15normal_iteratorINSA_10device_ptrIxEEEEPS6_SG_NS0_5tupleIJSF_S6_EEENSH_IJSG_SG_EEES6_PlJNSB_9not_fun_tINSB_14equal_to_valueIxEEEEEEE10hipError_tPvRmT3_T4_T5_T6_T7_T9_mT8_P12ihipStream_tbDpT10_ENKUlT_T0_E_clISt17integral_constantIbLb0EES18_EEDaS13_S14_EUlS13_E_NS1_11comp_targetILNS1_3genE4ELNS1_11target_archE910ELNS1_3gpuE8ELNS1_3repE0EEENS1_30default_config_static_selectorELNS0_4arch9wavefront6targetE0EEEvT1_.private_seg_size, 0
	.set _ZN7rocprim17ROCPRIM_400000_NS6detail17trampoline_kernelINS0_14default_configENS1_25partition_config_selectorILNS1_17partition_subalgoE6ExNS0_10empty_typeEbEEZZNS1_14partition_implILS5_6ELb0ES3_mN6thrust23THRUST_200600_302600_NS6detail15normal_iteratorINSA_10device_ptrIxEEEEPS6_SG_NS0_5tupleIJSF_S6_EEENSH_IJSG_SG_EEES6_PlJNSB_9not_fun_tINSB_14equal_to_valueIxEEEEEEE10hipError_tPvRmT3_T4_T5_T6_T7_T9_mT8_P12ihipStream_tbDpT10_ENKUlT_T0_E_clISt17integral_constantIbLb0EES18_EEDaS13_S14_EUlS13_E_NS1_11comp_targetILNS1_3genE4ELNS1_11target_archE910ELNS1_3gpuE8ELNS1_3repE0EEENS1_30default_config_static_selectorELNS0_4arch9wavefront6targetE0EEEvT1_.uses_vcc, 0
	.set _ZN7rocprim17ROCPRIM_400000_NS6detail17trampoline_kernelINS0_14default_configENS1_25partition_config_selectorILNS1_17partition_subalgoE6ExNS0_10empty_typeEbEEZZNS1_14partition_implILS5_6ELb0ES3_mN6thrust23THRUST_200600_302600_NS6detail15normal_iteratorINSA_10device_ptrIxEEEEPS6_SG_NS0_5tupleIJSF_S6_EEENSH_IJSG_SG_EEES6_PlJNSB_9not_fun_tINSB_14equal_to_valueIxEEEEEEE10hipError_tPvRmT3_T4_T5_T6_T7_T9_mT8_P12ihipStream_tbDpT10_ENKUlT_T0_E_clISt17integral_constantIbLb0EES18_EEDaS13_S14_EUlS13_E_NS1_11comp_targetILNS1_3genE4ELNS1_11target_archE910ELNS1_3gpuE8ELNS1_3repE0EEENS1_30default_config_static_selectorELNS0_4arch9wavefront6targetE0EEEvT1_.uses_flat_scratch, 0
	.set _ZN7rocprim17ROCPRIM_400000_NS6detail17trampoline_kernelINS0_14default_configENS1_25partition_config_selectorILNS1_17partition_subalgoE6ExNS0_10empty_typeEbEEZZNS1_14partition_implILS5_6ELb0ES3_mN6thrust23THRUST_200600_302600_NS6detail15normal_iteratorINSA_10device_ptrIxEEEEPS6_SG_NS0_5tupleIJSF_S6_EEENSH_IJSG_SG_EEES6_PlJNSB_9not_fun_tINSB_14equal_to_valueIxEEEEEEE10hipError_tPvRmT3_T4_T5_T6_T7_T9_mT8_P12ihipStream_tbDpT10_ENKUlT_T0_E_clISt17integral_constantIbLb0EES18_EEDaS13_S14_EUlS13_E_NS1_11comp_targetILNS1_3genE4ELNS1_11target_archE910ELNS1_3gpuE8ELNS1_3repE0EEENS1_30default_config_static_selectorELNS0_4arch9wavefront6targetE0EEEvT1_.has_dyn_sized_stack, 0
	.set _ZN7rocprim17ROCPRIM_400000_NS6detail17trampoline_kernelINS0_14default_configENS1_25partition_config_selectorILNS1_17partition_subalgoE6ExNS0_10empty_typeEbEEZZNS1_14partition_implILS5_6ELb0ES3_mN6thrust23THRUST_200600_302600_NS6detail15normal_iteratorINSA_10device_ptrIxEEEEPS6_SG_NS0_5tupleIJSF_S6_EEENSH_IJSG_SG_EEES6_PlJNSB_9not_fun_tINSB_14equal_to_valueIxEEEEEEE10hipError_tPvRmT3_T4_T5_T6_T7_T9_mT8_P12ihipStream_tbDpT10_ENKUlT_T0_E_clISt17integral_constantIbLb0EES18_EEDaS13_S14_EUlS13_E_NS1_11comp_targetILNS1_3genE4ELNS1_11target_archE910ELNS1_3gpuE8ELNS1_3repE0EEENS1_30default_config_static_selectorELNS0_4arch9wavefront6targetE0EEEvT1_.has_recursion, 0
	.set _ZN7rocprim17ROCPRIM_400000_NS6detail17trampoline_kernelINS0_14default_configENS1_25partition_config_selectorILNS1_17partition_subalgoE6ExNS0_10empty_typeEbEEZZNS1_14partition_implILS5_6ELb0ES3_mN6thrust23THRUST_200600_302600_NS6detail15normal_iteratorINSA_10device_ptrIxEEEEPS6_SG_NS0_5tupleIJSF_S6_EEENSH_IJSG_SG_EEES6_PlJNSB_9not_fun_tINSB_14equal_to_valueIxEEEEEEE10hipError_tPvRmT3_T4_T5_T6_T7_T9_mT8_P12ihipStream_tbDpT10_ENKUlT_T0_E_clISt17integral_constantIbLb0EES18_EEDaS13_S14_EUlS13_E_NS1_11comp_targetILNS1_3genE4ELNS1_11target_archE910ELNS1_3gpuE8ELNS1_3repE0EEENS1_30default_config_static_selectorELNS0_4arch9wavefront6targetE0EEEvT1_.has_indirect_call, 0
	.section	.AMDGPU.csdata,"",@progbits
; Kernel info:
; codeLenInByte = 0
; TotalNumSgprs: 0
; NumVgprs: 0
; ScratchSize: 0
; MemoryBound: 0
; FloatMode: 240
; IeeeMode: 1
; LDSByteSize: 0 bytes/workgroup (compile time only)
; SGPRBlocks: 0
; VGPRBlocks: 0
; NumSGPRsForWavesPerEU: 1
; NumVGPRsForWavesPerEU: 1
; Occupancy: 16
; WaveLimiterHint : 0
; COMPUTE_PGM_RSRC2:SCRATCH_EN: 0
; COMPUTE_PGM_RSRC2:USER_SGPR: 2
; COMPUTE_PGM_RSRC2:TRAP_HANDLER: 0
; COMPUTE_PGM_RSRC2:TGID_X_EN: 1
; COMPUTE_PGM_RSRC2:TGID_Y_EN: 0
; COMPUTE_PGM_RSRC2:TGID_Z_EN: 0
; COMPUTE_PGM_RSRC2:TIDIG_COMP_CNT: 0
	.section	.text._ZN7rocprim17ROCPRIM_400000_NS6detail17trampoline_kernelINS0_14default_configENS1_25partition_config_selectorILNS1_17partition_subalgoE6ExNS0_10empty_typeEbEEZZNS1_14partition_implILS5_6ELb0ES3_mN6thrust23THRUST_200600_302600_NS6detail15normal_iteratorINSA_10device_ptrIxEEEEPS6_SG_NS0_5tupleIJSF_S6_EEENSH_IJSG_SG_EEES6_PlJNSB_9not_fun_tINSB_14equal_to_valueIxEEEEEEE10hipError_tPvRmT3_T4_T5_T6_T7_T9_mT8_P12ihipStream_tbDpT10_ENKUlT_T0_E_clISt17integral_constantIbLb0EES18_EEDaS13_S14_EUlS13_E_NS1_11comp_targetILNS1_3genE3ELNS1_11target_archE908ELNS1_3gpuE7ELNS1_3repE0EEENS1_30default_config_static_selectorELNS0_4arch9wavefront6targetE0EEEvT1_,"axG",@progbits,_ZN7rocprim17ROCPRIM_400000_NS6detail17trampoline_kernelINS0_14default_configENS1_25partition_config_selectorILNS1_17partition_subalgoE6ExNS0_10empty_typeEbEEZZNS1_14partition_implILS5_6ELb0ES3_mN6thrust23THRUST_200600_302600_NS6detail15normal_iteratorINSA_10device_ptrIxEEEEPS6_SG_NS0_5tupleIJSF_S6_EEENSH_IJSG_SG_EEES6_PlJNSB_9not_fun_tINSB_14equal_to_valueIxEEEEEEE10hipError_tPvRmT3_T4_T5_T6_T7_T9_mT8_P12ihipStream_tbDpT10_ENKUlT_T0_E_clISt17integral_constantIbLb0EES18_EEDaS13_S14_EUlS13_E_NS1_11comp_targetILNS1_3genE3ELNS1_11target_archE908ELNS1_3gpuE7ELNS1_3repE0EEENS1_30default_config_static_selectorELNS0_4arch9wavefront6targetE0EEEvT1_,comdat
	.protected	_ZN7rocprim17ROCPRIM_400000_NS6detail17trampoline_kernelINS0_14default_configENS1_25partition_config_selectorILNS1_17partition_subalgoE6ExNS0_10empty_typeEbEEZZNS1_14partition_implILS5_6ELb0ES3_mN6thrust23THRUST_200600_302600_NS6detail15normal_iteratorINSA_10device_ptrIxEEEEPS6_SG_NS0_5tupleIJSF_S6_EEENSH_IJSG_SG_EEES6_PlJNSB_9not_fun_tINSB_14equal_to_valueIxEEEEEEE10hipError_tPvRmT3_T4_T5_T6_T7_T9_mT8_P12ihipStream_tbDpT10_ENKUlT_T0_E_clISt17integral_constantIbLb0EES18_EEDaS13_S14_EUlS13_E_NS1_11comp_targetILNS1_3genE3ELNS1_11target_archE908ELNS1_3gpuE7ELNS1_3repE0EEENS1_30default_config_static_selectorELNS0_4arch9wavefront6targetE0EEEvT1_ ; -- Begin function _ZN7rocprim17ROCPRIM_400000_NS6detail17trampoline_kernelINS0_14default_configENS1_25partition_config_selectorILNS1_17partition_subalgoE6ExNS0_10empty_typeEbEEZZNS1_14partition_implILS5_6ELb0ES3_mN6thrust23THRUST_200600_302600_NS6detail15normal_iteratorINSA_10device_ptrIxEEEEPS6_SG_NS0_5tupleIJSF_S6_EEENSH_IJSG_SG_EEES6_PlJNSB_9not_fun_tINSB_14equal_to_valueIxEEEEEEE10hipError_tPvRmT3_T4_T5_T6_T7_T9_mT8_P12ihipStream_tbDpT10_ENKUlT_T0_E_clISt17integral_constantIbLb0EES18_EEDaS13_S14_EUlS13_E_NS1_11comp_targetILNS1_3genE3ELNS1_11target_archE908ELNS1_3gpuE7ELNS1_3repE0EEENS1_30default_config_static_selectorELNS0_4arch9wavefront6targetE0EEEvT1_
	.globl	_ZN7rocprim17ROCPRIM_400000_NS6detail17trampoline_kernelINS0_14default_configENS1_25partition_config_selectorILNS1_17partition_subalgoE6ExNS0_10empty_typeEbEEZZNS1_14partition_implILS5_6ELb0ES3_mN6thrust23THRUST_200600_302600_NS6detail15normal_iteratorINSA_10device_ptrIxEEEEPS6_SG_NS0_5tupleIJSF_S6_EEENSH_IJSG_SG_EEES6_PlJNSB_9not_fun_tINSB_14equal_to_valueIxEEEEEEE10hipError_tPvRmT3_T4_T5_T6_T7_T9_mT8_P12ihipStream_tbDpT10_ENKUlT_T0_E_clISt17integral_constantIbLb0EES18_EEDaS13_S14_EUlS13_E_NS1_11comp_targetILNS1_3genE3ELNS1_11target_archE908ELNS1_3gpuE7ELNS1_3repE0EEENS1_30default_config_static_selectorELNS0_4arch9wavefront6targetE0EEEvT1_
	.p2align	8
	.type	_ZN7rocprim17ROCPRIM_400000_NS6detail17trampoline_kernelINS0_14default_configENS1_25partition_config_selectorILNS1_17partition_subalgoE6ExNS0_10empty_typeEbEEZZNS1_14partition_implILS5_6ELb0ES3_mN6thrust23THRUST_200600_302600_NS6detail15normal_iteratorINSA_10device_ptrIxEEEEPS6_SG_NS0_5tupleIJSF_S6_EEENSH_IJSG_SG_EEES6_PlJNSB_9not_fun_tINSB_14equal_to_valueIxEEEEEEE10hipError_tPvRmT3_T4_T5_T6_T7_T9_mT8_P12ihipStream_tbDpT10_ENKUlT_T0_E_clISt17integral_constantIbLb0EES18_EEDaS13_S14_EUlS13_E_NS1_11comp_targetILNS1_3genE3ELNS1_11target_archE908ELNS1_3gpuE7ELNS1_3repE0EEENS1_30default_config_static_selectorELNS0_4arch9wavefront6targetE0EEEvT1_,@function
_ZN7rocprim17ROCPRIM_400000_NS6detail17trampoline_kernelINS0_14default_configENS1_25partition_config_selectorILNS1_17partition_subalgoE6ExNS0_10empty_typeEbEEZZNS1_14partition_implILS5_6ELb0ES3_mN6thrust23THRUST_200600_302600_NS6detail15normal_iteratorINSA_10device_ptrIxEEEEPS6_SG_NS0_5tupleIJSF_S6_EEENSH_IJSG_SG_EEES6_PlJNSB_9not_fun_tINSB_14equal_to_valueIxEEEEEEE10hipError_tPvRmT3_T4_T5_T6_T7_T9_mT8_P12ihipStream_tbDpT10_ENKUlT_T0_E_clISt17integral_constantIbLb0EES18_EEDaS13_S14_EUlS13_E_NS1_11comp_targetILNS1_3genE3ELNS1_11target_archE908ELNS1_3gpuE7ELNS1_3repE0EEENS1_30default_config_static_selectorELNS0_4arch9wavefront6targetE0EEEvT1_: ; @_ZN7rocprim17ROCPRIM_400000_NS6detail17trampoline_kernelINS0_14default_configENS1_25partition_config_selectorILNS1_17partition_subalgoE6ExNS0_10empty_typeEbEEZZNS1_14partition_implILS5_6ELb0ES3_mN6thrust23THRUST_200600_302600_NS6detail15normal_iteratorINSA_10device_ptrIxEEEEPS6_SG_NS0_5tupleIJSF_S6_EEENSH_IJSG_SG_EEES6_PlJNSB_9not_fun_tINSB_14equal_to_valueIxEEEEEEE10hipError_tPvRmT3_T4_T5_T6_T7_T9_mT8_P12ihipStream_tbDpT10_ENKUlT_T0_E_clISt17integral_constantIbLb0EES18_EEDaS13_S14_EUlS13_E_NS1_11comp_targetILNS1_3genE3ELNS1_11target_archE908ELNS1_3gpuE7ELNS1_3repE0EEENS1_30default_config_static_selectorELNS0_4arch9wavefront6targetE0EEEvT1_
; %bb.0:
	.section	.rodata,"a",@progbits
	.p2align	6, 0x0
	.amdhsa_kernel _ZN7rocprim17ROCPRIM_400000_NS6detail17trampoline_kernelINS0_14default_configENS1_25partition_config_selectorILNS1_17partition_subalgoE6ExNS0_10empty_typeEbEEZZNS1_14partition_implILS5_6ELb0ES3_mN6thrust23THRUST_200600_302600_NS6detail15normal_iteratorINSA_10device_ptrIxEEEEPS6_SG_NS0_5tupleIJSF_S6_EEENSH_IJSG_SG_EEES6_PlJNSB_9not_fun_tINSB_14equal_to_valueIxEEEEEEE10hipError_tPvRmT3_T4_T5_T6_T7_T9_mT8_P12ihipStream_tbDpT10_ENKUlT_T0_E_clISt17integral_constantIbLb0EES18_EEDaS13_S14_EUlS13_E_NS1_11comp_targetILNS1_3genE3ELNS1_11target_archE908ELNS1_3gpuE7ELNS1_3repE0EEENS1_30default_config_static_selectorELNS0_4arch9wavefront6targetE0EEEvT1_
		.amdhsa_group_segment_fixed_size 0
		.amdhsa_private_segment_fixed_size 0
		.amdhsa_kernarg_size 120
		.amdhsa_user_sgpr_count 2
		.amdhsa_user_sgpr_dispatch_ptr 0
		.amdhsa_user_sgpr_queue_ptr 0
		.amdhsa_user_sgpr_kernarg_segment_ptr 1
		.amdhsa_user_sgpr_dispatch_id 0
		.amdhsa_user_sgpr_private_segment_size 0
		.amdhsa_wavefront_size32 1
		.amdhsa_uses_dynamic_stack 0
		.amdhsa_enable_private_segment 0
		.amdhsa_system_sgpr_workgroup_id_x 1
		.amdhsa_system_sgpr_workgroup_id_y 0
		.amdhsa_system_sgpr_workgroup_id_z 0
		.amdhsa_system_sgpr_workgroup_info 0
		.amdhsa_system_vgpr_workitem_id 0
		.amdhsa_next_free_vgpr 1
		.amdhsa_next_free_sgpr 1
		.amdhsa_reserve_vcc 0
		.amdhsa_float_round_mode_32 0
		.amdhsa_float_round_mode_16_64 0
		.amdhsa_float_denorm_mode_32 3
		.amdhsa_float_denorm_mode_16_64 3
		.amdhsa_fp16_overflow 0
		.amdhsa_workgroup_processor_mode 1
		.amdhsa_memory_ordered 1
		.amdhsa_forward_progress 1
		.amdhsa_inst_pref_size 0
		.amdhsa_round_robin_scheduling 0
		.amdhsa_exception_fp_ieee_invalid_op 0
		.amdhsa_exception_fp_denorm_src 0
		.amdhsa_exception_fp_ieee_div_zero 0
		.amdhsa_exception_fp_ieee_overflow 0
		.amdhsa_exception_fp_ieee_underflow 0
		.amdhsa_exception_fp_ieee_inexact 0
		.amdhsa_exception_int_div_zero 0
	.end_amdhsa_kernel
	.section	.text._ZN7rocprim17ROCPRIM_400000_NS6detail17trampoline_kernelINS0_14default_configENS1_25partition_config_selectorILNS1_17partition_subalgoE6ExNS0_10empty_typeEbEEZZNS1_14partition_implILS5_6ELb0ES3_mN6thrust23THRUST_200600_302600_NS6detail15normal_iteratorINSA_10device_ptrIxEEEEPS6_SG_NS0_5tupleIJSF_S6_EEENSH_IJSG_SG_EEES6_PlJNSB_9not_fun_tINSB_14equal_to_valueIxEEEEEEE10hipError_tPvRmT3_T4_T5_T6_T7_T9_mT8_P12ihipStream_tbDpT10_ENKUlT_T0_E_clISt17integral_constantIbLb0EES18_EEDaS13_S14_EUlS13_E_NS1_11comp_targetILNS1_3genE3ELNS1_11target_archE908ELNS1_3gpuE7ELNS1_3repE0EEENS1_30default_config_static_selectorELNS0_4arch9wavefront6targetE0EEEvT1_,"axG",@progbits,_ZN7rocprim17ROCPRIM_400000_NS6detail17trampoline_kernelINS0_14default_configENS1_25partition_config_selectorILNS1_17partition_subalgoE6ExNS0_10empty_typeEbEEZZNS1_14partition_implILS5_6ELb0ES3_mN6thrust23THRUST_200600_302600_NS6detail15normal_iteratorINSA_10device_ptrIxEEEEPS6_SG_NS0_5tupleIJSF_S6_EEENSH_IJSG_SG_EEES6_PlJNSB_9not_fun_tINSB_14equal_to_valueIxEEEEEEE10hipError_tPvRmT3_T4_T5_T6_T7_T9_mT8_P12ihipStream_tbDpT10_ENKUlT_T0_E_clISt17integral_constantIbLb0EES18_EEDaS13_S14_EUlS13_E_NS1_11comp_targetILNS1_3genE3ELNS1_11target_archE908ELNS1_3gpuE7ELNS1_3repE0EEENS1_30default_config_static_selectorELNS0_4arch9wavefront6targetE0EEEvT1_,comdat
.Lfunc_end440:
	.size	_ZN7rocprim17ROCPRIM_400000_NS6detail17trampoline_kernelINS0_14default_configENS1_25partition_config_selectorILNS1_17partition_subalgoE6ExNS0_10empty_typeEbEEZZNS1_14partition_implILS5_6ELb0ES3_mN6thrust23THRUST_200600_302600_NS6detail15normal_iteratorINSA_10device_ptrIxEEEEPS6_SG_NS0_5tupleIJSF_S6_EEENSH_IJSG_SG_EEES6_PlJNSB_9not_fun_tINSB_14equal_to_valueIxEEEEEEE10hipError_tPvRmT3_T4_T5_T6_T7_T9_mT8_P12ihipStream_tbDpT10_ENKUlT_T0_E_clISt17integral_constantIbLb0EES18_EEDaS13_S14_EUlS13_E_NS1_11comp_targetILNS1_3genE3ELNS1_11target_archE908ELNS1_3gpuE7ELNS1_3repE0EEENS1_30default_config_static_selectorELNS0_4arch9wavefront6targetE0EEEvT1_, .Lfunc_end440-_ZN7rocprim17ROCPRIM_400000_NS6detail17trampoline_kernelINS0_14default_configENS1_25partition_config_selectorILNS1_17partition_subalgoE6ExNS0_10empty_typeEbEEZZNS1_14partition_implILS5_6ELb0ES3_mN6thrust23THRUST_200600_302600_NS6detail15normal_iteratorINSA_10device_ptrIxEEEEPS6_SG_NS0_5tupleIJSF_S6_EEENSH_IJSG_SG_EEES6_PlJNSB_9not_fun_tINSB_14equal_to_valueIxEEEEEEE10hipError_tPvRmT3_T4_T5_T6_T7_T9_mT8_P12ihipStream_tbDpT10_ENKUlT_T0_E_clISt17integral_constantIbLb0EES18_EEDaS13_S14_EUlS13_E_NS1_11comp_targetILNS1_3genE3ELNS1_11target_archE908ELNS1_3gpuE7ELNS1_3repE0EEENS1_30default_config_static_selectorELNS0_4arch9wavefront6targetE0EEEvT1_
                                        ; -- End function
	.set _ZN7rocprim17ROCPRIM_400000_NS6detail17trampoline_kernelINS0_14default_configENS1_25partition_config_selectorILNS1_17partition_subalgoE6ExNS0_10empty_typeEbEEZZNS1_14partition_implILS5_6ELb0ES3_mN6thrust23THRUST_200600_302600_NS6detail15normal_iteratorINSA_10device_ptrIxEEEEPS6_SG_NS0_5tupleIJSF_S6_EEENSH_IJSG_SG_EEES6_PlJNSB_9not_fun_tINSB_14equal_to_valueIxEEEEEEE10hipError_tPvRmT3_T4_T5_T6_T7_T9_mT8_P12ihipStream_tbDpT10_ENKUlT_T0_E_clISt17integral_constantIbLb0EES18_EEDaS13_S14_EUlS13_E_NS1_11comp_targetILNS1_3genE3ELNS1_11target_archE908ELNS1_3gpuE7ELNS1_3repE0EEENS1_30default_config_static_selectorELNS0_4arch9wavefront6targetE0EEEvT1_.num_vgpr, 0
	.set _ZN7rocprim17ROCPRIM_400000_NS6detail17trampoline_kernelINS0_14default_configENS1_25partition_config_selectorILNS1_17partition_subalgoE6ExNS0_10empty_typeEbEEZZNS1_14partition_implILS5_6ELb0ES3_mN6thrust23THRUST_200600_302600_NS6detail15normal_iteratorINSA_10device_ptrIxEEEEPS6_SG_NS0_5tupleIJSF_S6_EEENSH_IJSG_SG_EEES6_PlJNSB_9not_fun_tINSB_14equal_to_valueIxEEEEEEE10hipError_tPvRmT3_T4_T5_T6_T7_T9_mT8_P12ihipStream_tbDpT10_ENKUlT_T0_E_clISt17integral_constantIbLb0EES18_EEDaS13_S14_EUlS13_E_NS1_11comp_targetILNS1_3genE3ELNS1_11target_archE908ELNS1_3gpuE7ELNS1_3repE0EEENS1_30default_config_static_selectorELNS0_4arch9wavefront6targetE0EEEvT1_.num_agpr, 0
	.set _ZN7rocprim17ROCPRIM_400000_NS6detail17trampoline_kernelINS0_14default_configENS1_25partition_config_selectorILNS1_17partition_subalgoE6ExNS0_10empty_typeEbEEZZNS1_14partition_implILS5_6ELb0ES3_mN6thrust23THRUST_200600_302600_NS6detail15normal_iteratorINSA_10device_ptrIxEEEEPS6_SG_NS0_5tupleIJSF_S6_EEENSH_IJSG_SG_EEES6_PlJNSB_9not_fun_tINSB_14equal_to_valueIxEEEEEEE10hipError_tPvRmT3_T4_T5_T6_T7_T9_mT8_P12ihipStream_tbDpT10_ENKUlT_T0_E_clISt17integral_constantIbLb0EES18_EEDaS13_S14_EUlS13_E_NS1_11comp_targetILNS1_3genE3ELNS1_11target_archE908ELNS1_3gpuE7ELNS1_3repE0EEENS1_30default_config_static_selectorELNS0_4arch9wavefront6targetE0EEEvT1_.numbered_sgpr, 0
	.set _ZN7rocprim17ROCPRIM_400000_NS6detail17trampoline_kernelINS0_14default_configENS1_25partition_config_selectorILNS1_17partition_subalgoE6ExNS0_10empty_typeEbEEZZNS1_14partition_implILS5_6ELb0ES3_mN6thrust23THRUST_200600_302600_NS6detail15normal_iteratorINSA_10device_ptrIxEEEEPS6_SG_NS0_5tupleIJSF_S6_EEENSH_IJSG_SG_EEES6_PlJNSB_9not_fun_tINSB_14equal_to_valueIxEEEEEEE10hipError_tPvRmT3_T4_T5_T6_T7_T9_mT8_P12ihipStream_tbDpT10_ENKUlT_T0_E_clISt17integral_constantIbLb0EES18_EEDaS13_S14_EUlS13_E_NS1_11comp_targetILNS1_3genE3ELNS1_11target_archE908ELNS1_3gpuE7ELNS1_3repE0EEENS1_30default_config_static_selectorELNS0_4arch9wavefront6targetE0EEEvT1_.num_named_barrier, 0
	.set _ZN7rocprim17ROCPRIM_400000_NS6detail17trampoline_kernelINS0_14default_configENS1_25partition_config_selectorILNS1_17partition_subalgoE6ExNS0_10empty_typeEbEEZZNS1_14partition_implILS5_6ELb0ES3_mN6thrust23THRUST_200600_302600_NS6detail15normal_iteratorINSA_10device_ptrIxEEEEPS6_SG_NS0_5tupleIJSF_S6_EEENSH_IJSG_SG_EEES6_PlJNSB_9not_fun_tINSB_14equal_to_valueIxEEEEEEE10hipError_tPvRmT3_T4_T5_T6_T7_T9_mT8_P12ihipStream_tbDpT10_ENKUlT_T0_E_clISt17integral_constantIbLb0EES18_EEDaS13_S14_EUlS13_E_NS1_11comp_targetILNS1_3genE3ELNS1_11target_archE908ELNS1_3gpuE7ELNS1_3repE0EEENS1_30default_config_static_selectorELNS0_4arch9wavefront6targetE0EEEvT1_.private_seg_size, 0
	.set _ZN7rocprim17ROCPRIM_400000_NS6detail17trampoline_kernelINS0_14default_configENS1_25partition_config_selectorILNS1_17partition_subalgoE6ExNS0_10empty_typeEbEEZZNS1_14partition_implILS5_6ELb0ES3_mN6thrust23THRUST_200600_302600_NS6detail15normal_iteratorINSA_10device_ptrIxEEEEPS6_SG_NS0_5tupleIJSF_S6_EEENSH_IJSG_SG_EEES6_PlJNSB_9not_fun_tINSB_14equal_to_valueIxEEEEEEE10hipError_tPvRmT3_T4_T5_T6_T7_T9_mT8_P12ihipStream_tbDpT10_ENKUlT_T0_E_clISt17integral_constantIbLb0EES18_EEDaS13_S14_EUlS13_E_NS1_11comp_targetILNS1_3genE3ELNS1_11target_archE908ELNS1_3gpuE7ELNS1_3repE0EEENS1_30default_config_static_selectorELNS0_4arch9wavefront6targetE0EEEvT1_.uses_vcc, 0
	.set _ZN7rocprim17ROCPRIM_400000_NS6detail17trampoline_kernelINS0_14default_configENS1_25partition_config_selectorILNS1_17partition_subalgoE6ExNS0_10empty_typeEbEEZZNS1_14partition_implILS5_6ELb0ES3_mN6thrust23THRUST_200600_302600_NS6detail15normal_iteratorINSA_10device_ptrIxEEEEPS6_SG_NS0_5tupleIJSF_S6_EEENSH_IJSG_SG_EEES6_PlJNSB_9not_fun_tINSB_14equal_to_valueIxEEEEEEE10hipError_tPvRmT3_T4_T5_T6_T7_T9_mT8_P12ihipStream_tbDpT10_ENKUlT_T0_E_clISt17integral_constantIbLb0EES18_EEDaS13_S14_EUlS13_E_NS1_11comp_targetILNS1_3genE3ELNS1_11target_archE908ELNS1_3gpuE7ELNS1_3repE0EEENS1_30default_config_static_selectorELNS0_4arch9wavefront6targetE0EEEvT1_.uses_flat_scratch, 0
	.set _ZN7rocprim17ROCPRIM_400000_NS6detail17trampoline_kernelINS0_14default_configENS1_25partition_config_selectorILNS1_17partition_subalgoE6ExNS0_10empty_typeEbEEZZNS1_14partition_implILS5_6ELb0ES3_mN6thrust23THRUST_200600_302600_NS6detail15normal_iteratorINSA_10device_ptrIxEEEEPS6_SG_NS0_5tupleIJSF_S6_EEENSH_IJSG_SG_EEES6_PlJNSB_9not_fun_tINSB_14equal_to_valueIxEEEEEEE10hipError_tPvRmT3_T4_T5_T6_T7_T9_mT8_P12ihipStream_tbDpT10_ENKUlT_T0_E_clISt17integral_constantIbLb0EES18_EEDaS13_S14_EUlS13_E_NS1_11comp_targetILNS1_3genE3ELNS1_11target_archE908ELNS1_3gpuE7ELNS1_3repE0EEENS1_30default_config_static_selectorELNS0_4arch9wavefront6targetE0EEEvT1_.has_dyn_sized_stack, 0
	.set _ZN7rocprim17ROCPRIM_400000_NS6detail17trampoline_kernelINS0_14default_configENS1_25partition_config_selectorILNS1_17partition_subalgoE6ExNS0_10empty_typeEbEEZZNS1_14partition_implILS5_6ELb0ES3_mN6thrust23THRUST_200600_302600_NS6detail15normal_iteratorINSA_10device_ptrIxEEEEPS6_SG_NS0_5tupleIJSF_S6_EEENSH_IJSG_SG_EEES6_PlJNSB_9not_fun_tINSB_14equal_to_valueIxEEEEEEE10hipError_tPvRmT3_T4_T5_T6_T7_T9_mT8_P12ihipStream_tbDpT10_ENKUlT_T0_E_clISt17integral_constantIbLb0EES18_EEDaS13_S14_EUlS13_E_NS1_11comp_targetILNS1_3genE3ELNS1_11target_archE908ELNS1_3gpuE7ELNS1_3repE0EEENS1_30default_config_static_selectorELNS0_4arch9wavefront6targetE0EEEvT1_.has_recursion, 0
	.set _ZN7rocprim17ROCPRIM_400000_NS6detail17trampoline_kernelINS0_14default_configENS1_25partition_config_selectorILNS1_17partition_subalgoE6ExNS0_10empty_typeEbEEZZNS1_14partition_implILS5_6ELb0ES3_mN6thrust23THRUST_200600_302600_NS6detail15normal_iteratorINSA_10device_ptrIxEEEEPS6_SG_NS0_5tupleIJSF_S6_EEENSH_IJSG_SG_EEES6_PlJNSB_9not_fun_tINSB_14equal_to_valueIxEEEEEEE10hipError_tPvRmT3_T4_T5_T6_T7_T9_mT8_P12ihipStream_tbDpT10_ENKUlT_T0_E_clISt17integral_constantIbLb0EES18_EEDaS13_S14_EUlS13_E_NS1_11comp_targetILNS1_3genE3ELNS1_11target_archE908ELNS1_3gpuE7ELNS1_3repE0EEENS1_30default_config_static_selectorELNS0_4arch9wavefront6targetE0EEEvT1_.has_indirect_call, 0
	.section	.AMDGPU.csdata,"",@progbits
; Kernel info:
; codeLenInByte = 0
; TotalNumSgprs: 0
; NumVgprs: 0
; ScratchSize: 0
; MemoryBound: 0
; FloatMode: 240
; IeeeMode: 1
; LDSByteSize: 0 bytes/workgroup (compile time only)
; SGPRBlocks: 0
; VGPRBlocks: 0
; NumSGPRsForWavesPerEU: 1
; NumVGPRsForWavesPerEU: 1
; Occupancy: 16
; WaveLimiterHint : 0
; COMPUTE_PGM_RSRC2:SCRATCH_EN: 0
; COMPUTE_PGM_RSRC2:USER_SGPR: 2
; COMPUTE_PGM_RSRC2:TRAP_HANDLER: 0
; COMPUTE_PGM_RSRC2:TGID_X_EN: 1
; COMPUTE_PGM_RSRC2:TGID_Y_EN: 0
; COMPUTE_PGM_RSRC2:TGID_Z_EN: 0
; COMPUTE_PGM_RSRC2:TIDIG_COMP_CNT: 0
	.section	.text._ZN7rocprim17ROCPRIM_400000_NS6detail17trampoline_kernelINS0_14default_configENS1_25partition_config_selectorILNS1_17partition_subalgoE6ExNS0_10empty_typeEbEEZZNS1_14partition_implILS5_6ELb0ES3_mN6thrust23THRUST_200600_302600_NS6detail15normal_iteratorINSA_10device_ptrIxEEEEPS6_SG_NS0_5tupleIJSF_S6_EEENSH_IJSG_SG_EEES6_PlJNSB_9not_fun_tINSB_14equal_to_valueIxEEEEEEE10hipError_tPvRmT3_T4_T5_T6_T7_T9_mT8_P12ihipStream_tbDpT10_ENKUlT_T0_E_clISt17integral_constantIbLb0EES18_EEDaS13_S14_EUlS13_E_NS1_11comp_targetILNS1_3genE2ELNS1_11target_archE906ELNS1_3gpuE6ELNS1_3repE0EEENS1_30default_config_static_selectorELNS0_4arch9wavefront6targetE0EEEvT1_,"axG",@progbits,_ZN7rocprim17ROCPRIM_400000_NS6detail17trampoline_kernelINS0_14default_configENS1_25partition_config_selectorILNS1_17partition_subalgoE6ExNS0_10empty_typeEbEEZZNS1_14partition_implILS5_6ELb0ES3_mN6thrust23THRUST_200600_302600_NS6detail15normal_iteratorINSA_10device_ptrIxEEEEPS6_SG_NS0_5tupleIJSF_S6_EEENSH_IJSG_SG_EEES6_PlJNSB_9not_fun_tINSB_14equal_to_valueIxEEEEEEE10hipError_tPvRmT3_T4_T5_T6_T7_T9_mT8_P12ihipStream_tbDpT10_ENKUlT_T0_E_clISt17integral_constantIbLb0EES18_EEDaS13_S14_EUlS13_E_NS1_11comp_targetILNS1_3genE2ELNS1_11target_archE906ELNS1_3gpuE6ELNS1_3repE0EEENS1_30default_config_static_selectorELNS0_4arch9wavefront6targetE0EEEvT1_,comdat
	.protected	_ZN7rocprim17ROCPRIM_400000_NS6detail17trampoline_kernelINS0_14default_configENS1_25partition_config_selectorILNS1_17partition_subalgoE6ExNS0_10empty_typeEbEEZZNS1_14partition_implILS5_6ELb0ES3_mN6thrust23THRUST_200600_302600_NS6detail15normal_iteratorINSA_10device_ptrIxEEEEPS6_SG_NS0_5tupleIJSF_S6_EEENSH_IJSG_SG_EEES6_PlJNSB_9not_fun_tINSB_14equal_to_valueIxEEEEEEE10hipError_tPvRmT3_T4_T5_T6_T7_T9_mT8_P12ihipStream_tbDpT10_ENKUlT_T0_E_clISt17integral_constantIbLb0EES18_EEDaS13_S14_EUlS13_E_NS1_11comp_targetILNS1_3genE2ELNS1_11target_archE906ELNS1_3gpuE6ELNS1_3repE0EEENS1_30default_config_static_selectorELNS0_4arch9wavefront6targetE0EEEvT1_ ; -- Begin function _ZN7rocprim17ROCPRIM_400000_NS6detail17trampoline_kernelINS0_14default_configENS1_25partition_config_selectorILNS1_17partition_subalgoE6ExNS0_10empty_typeEbEEZZNS1_14partition_implILS5_6ELb0ES3_mN6thrust23THRUST_200600_302600_NS6detail15normal_iteratorINSA_10device_ptrIxEEEEPS6_SG_NS0_5tupleIJSF_S6_EEENSH_IJSG_SG_EEES6_PlJNSB_9not_fun_tINSB_14equal_to_valueIxEEEEEEE10hipError_tPvRmT3_T4_T5_T6_T7_T9_mT8_P12ihipStream_tbDpT10_ENKUlT_T0_E_clISt17integral_constantIbLb0EES18_EEDaS13_S14_EUlS13_E_NS1_11comp_targetILNS1_3genE2ELNS1_11target_archE906ELNS1_3gpuE6ELNS1_3repE0EEENS1_30default_config_static_selectorELNS0_4arch9wavefront6targetE0EEEvT1_
	.globl	_ZN7rocprim17ROCPRIM_400000_NS6detail17trampoline_kernelINS0_14default_configENS1_25partition_config_selectorILNS1_17partition_subalgoE6ExNS0_10empty_typeEbEEZZNS1_14partition_implILS5_6ELb0ES3_mN6thrust23THRUST_200600_302600_NS6detail15normal_iteratorINSA_10device_ptrIxEEEEPS6_SG_NS0_5tupleIJSF_S6_EEENSH_IJSG_SG_EEES6_PlJNSB_9not_fun_tINSB_14equal_to_valueIxEEEEEEE10hipError_tPvRmT3_T4_T5_T6_T7_T9_mT8_P12ihipStream_tbDpT10_ENKUlT_T0_E_clISt17integral_constantIbLb0EES18_EEDaS13_S14_EUlS13_E_NS1_11comp_targetILNS1_3genE2ELNS1_11target_archE906ELNS1_3gpuE6ELNS1_3repE0EEENS1_30default_config_static_selectorELNS0_4arch9wavefront6targetE0EEEvT1_
	.p2align	8
	.type	_ZN7rocprim17ROCPRIM_400000_NS6detail17trampoline_kernelINS0_14default_configENS1_25partition_config_selectorILNS1_17partition_subalgoE6ExNS0_10empty_typeEbEEZZNS1_14partition_implILS5_6ELb0ES3_mN6thrust23THRUST_200600_302600_NS6detail15normal_iteratorINSA_10device_ptrIxEEEEPS6_SG_NS0_5tupleIJSF_S6_EEENSH_IJSG_SG_EEES6_PlJNSB_9not_fun_tINSB_14equal_to_valueIxEEEEEEE10hipError_tPvRmT3_T4_T5_T6_T7_T9_mT8_P12ihipStream_tbDpT10_ENKUlT_T0_E_clISt17integral_constantIbLb0EES18_EEDaS13_S14_EUlS13_E_NS1_11comp_targetILNS1_3genE2ELNS1_11target_archE906ELNS1_3gpuE6ELNS1_3repE0EEENS1_30default_config_static_selectorELNS0_4arch9wavefront6targetE0EEEvT1_,@function
_ZN7rocprim17ROCPRIM_400000_NS6detail17trampoline_kernelINS0_14default_configENS1_25partition_config_selectorILNS1_17partition_subalgoE6ExNS0_10empty_typeEbEEZZNS1_14partition_implILS5_6ELb0ES3_mN6thrust23THRUST_200600_302600_NS6detail15normal_iteratorINSA_10device_ptrIxEEEEPS6_SG_NS0_5tupleIJSF_S6_EEENSH_IJSG_SG_EEES6_PlJNSB_9not_fun_tINSB_14equal_to_valueIxEEEEEEE10hipError_tPvRmT3_T4_T5_T6_T7_T9_mT8_P12ihipStream_tbDpT10_ENKUlT_T0_E_clISt17integral_constantIbLb0EES18_EEDaS13_S14_EUlS13_E_NS1_11comp_targetILNS1_3genE2ELNS1_11target_archE906ELNS1_3gpuE6ELNS1_3repE0EEENS1_30default_config_static_selectorELNS0_4arch9wavefront6targetE0EEEvT1_: ; @_ZN7rocprim17ROCPRIM_400000_NS6detail17trampoline_kernelINS0_14default_configENS1_25partition_config_selectorILNS1_17partition_subalgoE6ExNS0_10empty_typeEbEEZZNS1_14partition_implILS5_6ELb0ES3_mN6thrust23THRUST_200600_302600_NS6detail15normal_iteratorINSA_10device_ptrIxEEEEPS6_SG_NS0_5tupleIJSF_S6_EEENSH_IJSG_SG_EEES6_PlJNSB_9not_fun_tINSB_14equal_to_valueIxEEEEEEE10hipError_tPvRmT3_T4_T5_T6_T7_T9_mT8_P12ihipStream_tbDpT10_ENKUlT_T0_E_clISt17integral_constantIbLb0EES18_EEDaS13_S14_EUlS13_E_NS1_11comp_targetILNS1_3genE2ELNS1_11target_archE906ELNS1_3gpuE6ELNS1_3repE0EEENS1_30default_config_static_selectorELNS0_4arch9wavefront6targetE0EEEvT1_
; %bb.0:
	.section	.rodata,"a",@progbits
	.p2align	6, 0x0
	.amdhsa_kernel _ZN7rocprim17ROCPRIM_400000_NS6detail17trampoline_kernelINS0_14default_configENS1_25partition_config_selectorILNS1_17partition_subalgoE6ExNS0_10empty_typeEbEEZZNS1_14partition_implILS5_6ELb0ES3_mN6thrust23THRUST_200600_302600_NS6detail15normal_iteratorINSA_10device_ptrIxEEEEPS6_SG_NS0_5tupleIJSF_S6_EEENSH_IJSG_SG_EEES6_PlJNSB_9not_fun_tINSB_14equal_to_valueIxEEEEEEE10hipError_tPvRmT3_T4_T5_T6_T7_T9_mT8_P12ihipStream_tbDpT10_ENKUlT_T0_E_clISt17integral_constantIbLb0EES18_EEDaS13_S14_EUlS13_E_NS1_11comp_targetILNS1_3genE2ELNS1_11target_archE906ELNS1_3gpuE6ELNS1_3repE0EEENS1_30default_config_static_selectorELNS0_4arch9wavefront6targetE0EEEvT1_
		.amdhsa_group_segment_fixed_size 0
		.amdhsa_private_segment_fixed_size 0
		.amdhsa_kernarg_size 120
		.amdhsa_user_sgpr_count 2
		.amdhsa_user_sgpr_dispatch_ptr 0
		.amdhsa_user_sgpr_queue_ptr 0
		.amdhsa_user_sgpr_kernarg_segment_ptr 1
		.amdhsa_user_sgpr_dispatch_id 0
		.amdhsa_user_sgpr_private_segment_size 0
		.amdhsa_wavefront_size32 1
		.amdhsa_uses_dynamic_stack 0
		.amdhsa_enable_private_segment 0
		.amdhsa_system_sgpr_workgroup_id_x 1
		.amdhsa_system_sgpr_workgroup_id_y 0
		.amdhsa_system_sgpr_workgroup_id_z 0
		.amdhsa_system_sgpr_workgroup_info 0
		.amdhsa_system_vgpr_workitem_id 0
		.amdhsa_next_free_vgpr 1
		.amdhsa_next_free_sgpr 1
		.amdhsa_reserve_vcc 0
		.amdhsa_float_round_mode_32 0
		.amdhsa_float_round_mode_16_64 0
		.amdhsa_float_denorm_mode_32 3
		.amdhsa_float_denorm_mode_16_64 3
		.amdhsa_fp16_overflow 0
		.amdhsa_workgroup_processor_mode 1
		.amdhsa_memory_ordered 1
		.amdhsa_forward_progress 1
		.amdhsa_inst_pref_size 0
		.amdhsa_round_robin_scheduling 0
		.amdhsa_exception_fp_ieee_invalid_op 0
		.amdhsa_exception_fp_denorm_src 0
		.amdhsa_exception_fp_ieee_div_zero 0
		.amdhsa_exception_fp_ieee_overflow 0
		.amdhsa_exception_fp_ieee_underflow 0
		.amdhsa_exception_fp_ieee_inexact 0
		.amdhsa_exception_int_div_zero 0
	.end_amdhsa_kernel
	.section	.text._ZN7rocprim17ROCPRIM_400000_NS6detail17trampoline_kernelINS0_14default_configENS1_25partition_config_selectorILNS1_17partition_subalgoE6ExNS0_10empty_typeEbEEZZNS1_14partition_implILS5_6ELb0ES3_mN6thrust23THRUST_200600_302600_NS6detail15normal_iteratorINSA_10device_ptrIxEEEEPS6_SG_NS0_5tupleIJSF_S6_EEENSH_IJSG_SG_EEES6_PlJNSB_9not_fun_tINSB_14equal_to_valueIxEEEEEEE10hipError_tPvRmT3_T4_T5_T6_T7_T9_mT8_P12ihipStream_tbDpT10_ENKUlT_T0_E_clISt17integral_constantIbLb0EES18_EEDaS13_S14_EUlS13_E_NS1_11comp_targetILNS1_3genE2ELNS1_11target_archE906ELNS1_3gpuE6ELNS1_3repE0EEENS1_30default_config_static_selectorELNS0_4arch9wavefront6targetE0EEEvT1_,"axG",@progbits,_ZN7rocprim17ROCPRIM_400000_NS6detail17trampoline_kernelINS0_14default_configENS1_25partition_config_selectorILNS1_17partition_subalgoE6ExNS0_10empty_typeEbEEZZNS1_14partition_implILS5_6ELb0ES3_mN6thrust23THRUST_200600_302600_NS6detail15normal_iteratorINSA_10device_ptrIxEEEEPS6_SG_NS0_5tupleIJSF_S6_EEENSH_IJSG_SG_EEES6_PlJNSB_9not_fun_tINSB_14equal_to_valueIxEEEEEEE10hipError_tPvRmT3_T4_T5_T6_T7_T9_mT8_P12ihipStream_tbDpT10_ENKUlT_T0_E_clISt17integral_constantIbLb0EES18_EEDaS13_S14_EUlS13_E_NS1_11comp_targetILNS1_3genE2ELNS1_11target_archE906ELNS1_3gpuE6ELNS1_3repE0EEENS1_30default_config_static_selectorELNS0_4arch9wavefront6targetE0EEEvT1_,comdat
.Lfunc_end441:
	.size	_ZN7rocprim17ROCPRIM_400000_NS6detail17trampoline_kernelINS0_14default_configENS1_25partition_config_selectorILNS1_17partition_subalgoE6ExNS0_10empty_typeEbEEZZNS1_14partition_implILS5_6ELb0ES3_mN6thrust23THRUST_200600_302600_NS6detail15normal_iteratorINSA_10device_ptrIxEEEEPS6_SG_NS0_5tupleIJSF_S6_EEENSH_IJSG_SG_EEES6_PlJNSB_9not_fun_tINSB_14equal_to_valueIxEEEEEEE10hipError_tPvRmT3_T4_T5_T6_T7_T9_mT8_P12ihipStream_tbDpT10_ENKUlT_T0_E_clISt17integral_constantIbLb0EES18_EEDaS13_S14_EUlS13_E_NS1_11comp_targetILNS1_3genE2ELNS1_11target_archE906ELNS1_3gpuE6ELNS1_3repE0EEENS1_30default_config_static_selectorELNS0_4arch9wavefront6targetE0EEEvT1_, .Lfunc_end441-_ZN7rocprim17ROCPRIM_400000_NS6detail17trampoline_kernelINS0_14default_configENS1_25partition_config_selectorILNS1_17partition_subalgoE6ExNS0_10empty_typeEbEEZZNS1_14partition_implILS5_6ELb0ES3_mN6thrust23THRUST_200600_302600_NS6detail15normal_iteratorINSA_10device_ptrIxEEEEPS6_SG_NS0_5tupleIJSF_S6_EEENSH_IJSG_SG_EEES6_PlJNSB_9not_fun_tINSB_14equal_to_valueIxEEEEEEE10hipError_tPvRmT3_T4_T5_T6_T7_T9_mT8_P12ihipStream_tbDpT10_ENKUlT_T0_E_clISt17integral_constantIbLb0EES18_EEDaS13_S14_EUlS13_E_NS1_11comp_targetILNS1_3genE2ELNS1_11target_archE906ELNS1_3gpuE6ELNS1_3repE0EEENS1_30default_config_static_selectorELNS0_4arch9wavefront6targetE0EEEvT1_
                                        ; -- End function
	.set _ZN7rocprim17ROCPRIM_400000_NS6detail17trampoline_kernelINS0_14default_configENS1_25partition_config_selectorILNS1_17partition_subalgoE6ExNS0_10empty_typeEbEEZZNS1_14partition_implILS5_6ELb0ES3_mN6thrust23THRUST_200600_302600_NS6detail15normal_iteratorINSA_10device_ptrIxEEEEPS6_SG_NS0_5tupleIJSF_S6_EEENSH_IJSG_SG_EEES6_PlJNSB_9not_fun_tINSB_14equal_to_valueIxEEEEEEE10hipError_tPvRmT3_T4_T5_T6_T7_T9_mT8_P12ihipStream_tbDpT10_ENKUlT_T0_E_clISt17integral_constantIbLb0EES18_EEDaS13_S14_EUlS13_E_NS1_11comp_targetILNS1_3genE2ELNS1_11target_archE906ELNS1_3gpuE6ELNS1_3repE0EEENS1_30default_config_static_selectorELNS0_4arch9wavefront6targetE0EEEvT1_.num_vgpr, 0
	.set _ZN7rocprim17ROCPRIM_400000_NS6detail17trampoline_kernelINS0_14default_configENS1_25partition_config_selectorILNS1_17partition_subalgoE6ExNS0_10empty_typeEbEEZZNS1_14partition_implILS5_6ELb0ES3_mN6thrust23THRUST_200600_302600_NS6detail15normal_iteratorINSA_10device_ptrIxEEEEPS6_SG_NS0_5tupleIJSF_S6_EEENSH_IJSG_SG_EEES6_PlJNSB_9not_fun_tINSB_14equal_to_valueIxEEEEEEE10hipError_tPvRmT3_T4_T5_T6_T7_T9_mT8_P12ihipStream_tbDpT10_ENKUlT_T0_E_clISt17integral_constantIbLb0EES18_EEDaS13_S14_EUlS13_E_NS1_11comp_targetILNS1_3genE2ELNS1_11target_archE906ELNS1_3gpuE6ELNS1_3repE0EEENS1_30default_config_static_selectorELNS0_4arch9wavefront6targetE0EEEvT1_.num_agpr, 0
	.set _ZN7rocprim17ROCPRIM_400000_NS6detail17trampoline_kernelINS0_14default_configENS1_25partition_config_selectorILNS1_17partition_subalgoE6ExNS0_10empty_typeEbEEZZNS1_14partition_implILS5_6ELb0ES3_mN6thrust23THRUST_200600_302600_NS6detail15normal_iteratorINSA_10device_ptrIxEEEEPS6_SG_NS0_5tupleIJSF_S6_EEENSH_IJSG_SG_EEES6_PlJNSB_9not_fun_tINSB_14equal_to_valueIxEEEEEEE10hipError_tPvRmT3_T4_T5_T6_T7_T9_mT8_P12ihipStream_tbDpT10_ENKUlT_T0_E_clISt17integral_constantIbLb0EES18_EEDaS13_S14_EUlS13_E_NS1_11comp_targetILNS1_3genE2ELNS1_11target_archE906ELNS1_3gpuE6ELNS1_3repE0EEENS1_30default_config_static_selectorELNS0_4arch9wavefront6targetE0EEEvT1_.numbered_sgpr, 0
	.set _ZN7rocprim17ROCPRIM_400000_NS6detail17trampoline_kernelINS0_14default_configENS1_25partition_config_selectorILNS1_17partition_subalgoE6ExNS0_10empty_typeEbEEZZNS1_14partition_implILS5_6ELb0ES3_mN6thrust23THRUST_200600_302600_NS6detail15normal_iteratorINSA_10device_ptrIxEEEEPS6_SG_NS0_5tupleIJSF_S6_EEENSH_IJSG_SG_EEES6_PlJNSB_9not_fun_tINSB_14equal_to_valueIxEEEEEEE10hipError_tPvRmT3_T4_T5_T6_T7_T9_mT8_P12ihipStream_tbDpT10_ENKUlT_T0_E_clISt17integral_constantIbLb0EES18_EEDaS13_S14_EUlS13_E_NS1_11comp_targetILNS1_3genE2ELNS1_11target_archE906ELNS1_3gpuE6ELNS1_3repE0EEENS1_30default_config_static_selectorELNS0_4arch9wavefront6targetE0EEEvT1_.num_named_barrier, 0
	.set _ZN7rocprim17ROCPRIM_400000_NS6detail17trampoline_kernelINS0_14default_configENS1_25partition_config_selectorILNS1_17partition_subalgoE6ExNS0_10empty_typeEbEEZZNS1_14partition_implILS5_6ELb0ES3_mN6thrust23THRUST_200600_302600_NS6detail15normal_iteratorINSA_10device_ptrIxEEEEPS6_SG_NS0_5tupleIJSF_S6_EEENSH_IJSG_SG_EEES6_PlJNSB_9not_fun_tINSB_14equal_to_valueIxEEEEEEE10hipError_tPvRmT3_T4_T5_T6_T7_T9_mT8_P12ihipStream_tbDpT10_ENKUlT_T0_E_clISt17integral_constantIbLb0EES18_EEDaS13_S14_EUlS13_E_NS1_11comp_targetILNS1_3genE2ELNS1_11target_archE906ELNS1_3gpuE6ELNS1_3repE0EEENS1_30default_config_static_selectorELNS0_4arch9wavefront6targetE0EEEvT1_.private_seg_size, 0
	.set _ZN7rocprim17ROCPRIM_400000_NS6detail17trampoline_kernelINS0_14default_configENS1_25partition_config_selectorILNS1_17partition_subalgoE6ExNS0_10empty_typeEbEEZZNS1_14partition_implILS5_6ELb0ES3_mN6thrust23THRUST_200600_302600_NS6detail15normal_iteratorINSA_10device_ptrIxEEEEPS6_SG_NS0_5tupleIJSF_S6_EEENSH_IJSG_SG_EEES6_PlJNSB_9not_fun_tINSB_14equal_to_valueIxEEEEEEE10hipError_tPvRmT3_T4_T5_T6_T7_T9_mT8_P12ihipStream_tbDpT10_ENKUlT_T0_E_clISt17integral_constantIbLb0EES18_EEDaS13_S14_EUlS13_E_NS1_11comp_targetILNS1_3genE2ELNS1_11target_archE906ELNS1_3gpuE6ELNS1_3repE0EEENS1_30default_config_static_selectorELNS0_4arch9wavefront6targetE0EEEvT1_.uses_vcc, 0
	.set _ZN7rocprim17ROCPRIM_400000_NS6detail17trampoline_kernelINS0_14default_configENS1_25partition_config_selectorILNS1_17partition_subalgoE6ExNS0_10empty_typeEbEEZZNS1_14partition_implILS5_6ELb0ES3_mN6thrust23THRUST_200600_302600_NS6detail15normal_iteratorINSA_10device_ptrIxEEEEPS6_SG_NS0_5tupleIJSF_S6_EEENSH_IJSG_SG_EEES6_PlJNSB_9not_fun_tINSB_14equal_to_valueIxEEEEEEE10hipError_tPvRmT3_T4_T5_T6_T7_T9_mT8_P12ihipStream_tbDpT10_ENKUlT_T0_E_clISt17integral_constantIbLb0EES18_EEDaS13_S14_EUlS13_E_NS1_11comp_targetILNS1_3genE2ELNS1_11target_archE906ELNS1_3gpuE6ELNS1_3repE0EEENS1_30default_config_static_selectorELNS0_4arch9wavefront6targetE0EEEvT1_.uses_flat_scratch, 0
	.set _ZN7rocprim17ROCPRIM_400000_NS6detail17trampoline_kernelINS0_14default_configENS1_25partition_config_selectorILNS1_17partition_subalgoE6ExNS0_10empty_typeEbEEZZNS1_14partition_implILS5_6ELb0ES3_mN6thrust23THRUST_200600_302600_NS6detail15normal_iteratorINSA_10device_ptrIxEEEEPS6_SG_NS0_5tupleIJSF_S6_EEENSH_IJSG_SG_EEES6_PlJNSB_9not_fun_tINSB_14equal_to_valueIxEEEEEEE10hipError_tPvRmT3_T4_T5_T6_T7_T9_mT8_P12ihipStream_tbDpT10_ENKUlT_T0_E_clISt17integral_constantIbLb0EES18_EEDaS13_S14_EUlS13_E_NS1_11comp_targetILNS1_3genE2ELNS1_11target_archE906ELNS1_3gpuE6ELNS1_3repE0EEENS1_30default_config_static_selectorELNS0_4arch9wavefront6targetE0EEEvT1_.has_dyn_sized_stack, 0
	.set _ZN7rocprim17ROCPRIM_400000_NS6detail17trampoline_kernelINS0_14default_configENS1_25partition_config_selectorILNS1_17partition_subalgoE6ExNS0_10empty_typeEbEEZZNS1_14partition_implILS5_6ELb0ES3_mN6thrust23THRUST_200600_302600_NS6detail15normal_iteratorINSA_10device_ptrIxEEEEPS6_SG_NS0_5tupleIJSF_S6_EEENSH_IJSG_SG_EEES6_PlJNSB_9not_fun_tINSB_14equal_to_valueIxEEEEEEE10hipError_tPvRmT3_T4_T5_T6_T7_T9_mT8_P12ihipStream_tbDpT10_ENKUlT_T0_E_clISt17integral_constantIbLb0EES18_EEDaS13_S14_EUlS13_E_NS1_11comp_targetILNS1_3genE2ELNS1_11target_archE906ELNS1_3gpuE6ELNS1_3repE0EEENS1_30default_config_static_selectorELNS0_4arch9wavefront6targetE0EEEvT1_.has_recursion, 0
	.set _ZN7rocprim17ROCPRIM_400000_NS6detail17trampoline_kernelINS0_14default_configENS1_25partition_config_selectorILNS1_17partition_subalgoE6ExNS0_10empty_typeEbEEZZNS1_14partition_implILS5_6ELb0ES3_mN6thrust23THRUST_200600_302600_NS6detail15normal_iteratorINSA_10device_ptrIxEEEEPS6_SG_NS0_5tupleIJSF_S6_EEENSH_IJSG_SG_EEES6_PlJNSB_9not_fun_tINSB_14equal_to_valueIxEEEEEEE10hipError_tPvRmT3_T4_T5_T6_T7_T9_mT8_P12ihipStream_tbDpT10_ENKUlT_T0_E_clISt17integral_constantIbLb0EES18_EEDaS13_S14_EUlS13_E_NS1_11comp_targetILNS1_3genE2ELNS1_11target_archE906ELNS1_3gpuE6ELNS1_3repE0EEENS1_30default_config_static_selectorELNS0_4arch9wavefront6targetE0EEEvT1_.has_indirect_call, 0
	.section	.AMDGPU.csdata,"",@progbits
; Kernel info:
; codeLenInByte = 0
; TotalNumSgprs: 0
; NumVgprs: 0
; ScratchSize: 0
; MemoryBound: 0
; FloatMode: 240
; IeeeMode: 1
; LDSByteSize: 0 bytes/workgroup (compile time only)
; SGPRBlocks: 0
; VGPRBlocks: 0
; NumSGPRsForWavesPerEU: 1
; NumVGPRsForWavesPerEU: 1
; Occupancy: 16
; WaveLimiterHint : 0
; COMPUTE_PGM_RSRC2:SCRATCH_EN: 0
; COMPUTE_PGM_RSRC2:USER_SGPR: 2
; COMPUTE_PGM_RSRC2:TRAP_HANDLER: 0
; COMPUTE_PGM_RSRC2:TGID_X_EN: 1
; COMPUTE_PGM_RSRC2:TGID_Y_EN: 0
; COMPUTE_PGM_RSRC2:TGID_Z_EN: 0
; COMPUTE_PGM_RSRC2:TIDIG_COMP_CNT: 0
	.section	.text._ZN7rocprim17ROCPRIM_400000_NS6detail17trampoline_kernelINS0_14default_configENS1_25partition_config_selectorILNS1_17partition_subalgoE6ExNS0_10empty_typeEbEEZZNS1_14partition_implILS5_6ELb0ES3_mN6thrust23THRUST_200600_302600_NS6detail15normal_iteratorINSA_10device_ptrIxEEEEPS6_SG_NS0_5tupleIJSF_S6_EEENSH_IJSG_SG_EEES6_PlJNSB_9not_fun_tINSB_14equal_to_valueIxEEEEEEE10hipError_tPvRmT3_T4_T5_T6_T7_T9_mT8_P12ihipStream_tbDpT10_ENKUlT_T0_E_clISt17integral_constantIbLb0EES18_EEDaS13_S14_EUlS13_E_NS1_11comp_targetILNS1_3genE10ELNS1_11target_archE1200ELNS1_3gpuE4ELNS1_3repE0EEENS1_30default_config_static_selectorELNS0_4arch9wavefront6targetE0EEEvT1_,"axG",@progbits,_ZN7rocprim17ROCPRIM_400000_NS6detail17trampoline_kernelINS0_14default_configENS1_25partition_config_selectorILNS1_17partition_subalgoE6ExNS0_10empty_typeEbEEZZNS1_14partition_implILS5_6ELb0ES3_mN6thrust23THRUST_200600_302600_NS6detail15normal_iteratorINSA_10device_ptrIxEEEEPS6_SG_NS0_5tupleIJSF_S6_EEENSH_IJSG_SG_EEES6_PlJNSB_9not_fun_tINSB_14equal_to_valueIxEEEEEEE10hipError_tPvRmT3_T4_T5_T6_T7_T9_mT8_P12ihipStream_tbDpT10_ENKUlT_T0_E_clISt17integral_constantIbLb0EES18_EEDaS13_S14_EUlS13_E_NS1_11comp_targetILNS1_3genE10ELNS1_11target_archE1200ELNS1_3gpuE4ELNS1_3repE0EEENS1_30default_config_static_selectorELNS0_4arch9wavefront6targetE0EEEvT1_,comdat
	.protected	_ZN7rocprim17ROCPRIM_400000_NS6detail17trampoline_kernelINS0_14default_configENS1_25partition_config_selectorILNS1_17partition_subalgoE6ExNS0_10empty_typeEbEEZZNS1_14partition_implILS5_6ELb0ES3_mN6thrust23THRUST_200600_302600_NS6detail15normal_iteratorINSA_10device_ptrIxEEEEPS6_SG_NS0_5tupleIJSF_S6_EEENSH_IJSG_SG_EEES6_PlJNSB_9not_fun_tINSB_14equal_to_valueIxEEEEEEE10hipError_tPvRmT3_T4_T5_T6_T7_T9_mT8_P12ihipStream_tbDpT10_ENKUlT_T0_E_clISt17integral_constantIbLb0EES18_EEDaS13_S14_EUlS13_E_NS1_11comp_targetILNS1_3genE10ELNS1_11target_archE1200ELNS1_3gpuE4ELNS1_3repE0EEENS1_30default_config_static_selectorELNS0_4arch9wavefront6targetE0EEEvT1_ ; -- Begin function _ZN7rocprim17ROCPRIM_400000_NS6detail17trampoline_kernelINS0_14default_configENS1_25partition_config_selectorILNS1_17partition_subalgoE6ExNS0_10empty_typeEbEEZZNS1_14partition_implILS5_6ELb0ES3_mN6thrust23THRUST_200600_302600_NS6detail15normal_iteratorINSA_10device_ptrIxEEEEPS6_SG_NS0_5tupleIJSF_S6_EEENSH_IJSG_SG_EEES6_PlJNSB_9not_fun_tINSB_14equal_to_valueIxEEEEEEE10hipError_tPvRmT3_T4_T5_T6_T7_T9_mT8_P12ihipStream_tbDpT10_ENKUlT_T0_E_clISt17integral_constantIbLb0EES18_EEDaS13_S14_EUlS13_E_NS1_11comp_targetILNS1_3genE10ELNS1_11target_archE1200ELNS1_3gpuE4ELNS1_3repE0EEENS1_30default_config_static_selectorELNS0_4arch9wavefront6targetE0EEEvT1_
	.globl	_ZN7rocprim17ROCPRIM_400000_NS6detail17trampoline_kernelINS0_14default_configENS1_25partition_config_selectorILNS1_17partition_subalgoE6ExNS0_10empty_typeEbEEZZNS1_14partition_implILS5_6ELb0ES3_mN6thrust23THRUST_200600_302600_NS6detail15normal_iteratorINSA_10device_ptrIxEEEEPS6_SG_NS0_5tupleIJSF_S6_EEENSH_IJSG_SG_EEES6_PlJNSB_9not_fun_tINSB_14equal_to_valueIxEEEEEEE10hipError_tPvRmT3_T4_T5_T6_T7_T9_mT8_P12ihipStream_tbDpT10_ENKUlT_T0_E_clISt17integral_constantIbLb0EES18_EEDaS13_S14_EUlS13_E_NS1_11comp_targetILNS1_3genE10ELNS1_11target_archE1200ELNS1_3gpuE4ELNS1_3repE0EEENS1_30default_config_static_selectorELNS0_4arch9wavefront6targetE0EEEvT1_
	.p2align	8
	.type	_ZN7rocprim17ROCPRIM_400000_NS6detail17trampoline_kernelINS0_14default_configENS1_25partition_config_selectorILNS1_17partition_subalgoE6ExNS0_10empty_typeEbEEZZNS1_14partition_implILS5_6ELb0ES3_mN6thrust23THRUST_200600_302600_NS6detail15normal_iteratorINSA_10device_ptrIxEEEEPS6_SG_NS0_5tupleIJSF_S6_EEENSH_IJSG_SG_EEES6_PlJNSB_9not_fun_tINSB_14equal_to_valueIxEEEEEEE10hipError_tPvRmT3_T4_T5_T6_T7_T9_mT8_P12ihipStream_tbDpT10_ENKUlT_T0_E_clISt17integral_constantIbLb0EES18_EEDaS13_S14_EUlS13_E_NS1_11comp_targetILNS1_3genE10ELNS1_11target_archE1200ELNS1_3gpuE4ELNS1_3repE0EEENS1_30default_config_static_selectorELNS0_4arch9wavefront6targetE0EEEvT1_,@function
_ZN7rocprim17ROCPRIM_400000_NS6detail17trampoline_kernelINS0_14default_configENS1_25partition_config_selectorILNS1_17partition_subalgoE6ExNS0_10empty_typeEbEEZZNS1_14partition_implILS5_6ELb0ES3_mN6thrust23THRUST_200600_302600_NS6detail15normal_iteratorINSA_10device_ptrIxEEEEPS6_SG_NS0_5tupleIJSF_S6_EEENSH_IJSG_SG_EEES6_PlJNSB_9not_fun_tINSB_14equal_to_valueIxEEEEEEE10hipError_tPvRmT3_T4_T5_T6_T7_T9_mT8_P12ihipStream_tbDpT10_ENKUlT_T0_E_clISt17integral_constantIbLb0EES18_EEDaS13_S14_EUlS13_E_NS1_11comp_targetILNS1_3genE10ELNS1_11target_archE1200ELNS1_3gpuE4ELNS1_3repE0EEENS1_30default_config_static_selectorELNS0_4arch9wavefront6targetE0EEEvT1_: ; @_ZN7rocprim17ROCPRIM_400000_NS6detail17trampoline_kernelINS0_14default_configENS1_25partition_config_selectorILNS1_17partition_subalgoE6ExNS0_10empty_typeEbEEZZNS1_14partition_implILS5_6ELb0ES3_mN6thrust23THRUST_200600_302600_NS6detail15normal_iteratorINSA_10device_ptrIxEEEEPS6_SG_NS0_5tupleIJSF_S6_EEENSH_IJSG_SG_EEES6_PlJNSB_9not_fun_tINSB_14equal_to_valueIxEEEEEEE10hipError_tPvRmT3_T4_T5_T6_T7_T9_mT8_P12ihipStream_tbDpT10_ENKUlT_T0_E_clISt17integral_constantIbLb0EES18_EEDaS13_S14_EUlS13_E_NS1_11comp_targetILNS1_3genE10ELNS1_11target_archE1200ELNS1_3gpuE4ELNS1_3repE0EEENS1_30default_config_static_selectorELNS0_4arch9wavefront6targetE0EEEvT1_
; %bb.0:
	s_clause 0x3
	s_load_b128 s[16:19], s[0:1], 0x8
	s_load_b128 s[8:11], s[0:1], 0x40
	s_load_b32 s3, s[0:1], 0x68
	s_load_b64 s[4:5], s[0:1], 0x50
	s_mov_b32 s7, 0
	s_lshl_b32 s2, ttmp9, 10
	v_lshrrev_b32_e32 v9, 2, v0
	v_or_b32_e32 v11, 0x200, v0
	v_or_b32_e32 v10, 0x300, v0
	s_mov_b32 s14, -1
	s_wait_kmcnt 0x0
	s_lshl_b64 s[20:21], s[18:19], 3
	s_load_b64 s[10:11], s[10:11], 0x0
	s_lshl_b32 s6, s3, 10
	s_add_co_i32 s3, s3, -1
	s_add_nc_u64 s[12:13], s[18:19], s[6:7]
	s_lshl_b32 s6, s3, 10
	v_cmp_le_u64_e64 s13, s[4:5], s[12:13]
	s_add_co_i32 s5, s18, s6
	s_cmp_eq_u32 ttmp9, s3
	s_mov_b32 s3, s7
	s_cselect_b32 s12, -1, 0
	s_add_nc_u64 s[6:7], s[16:17], s[20:21]
	s_wait_alu 0xfffe
	s_and_b32 s13, s12, s13
	s_lshl_b64 s[2:3], s[2:3], 3
	s_wait_alu 0xfffe
	s_xor_b32 s13, s13, -1
	s_add_nc_u64 s[2:3], s[6:7], s[2:3]
	s_wait_alu 0xfffe
	s_and_b32 vcc_lo, exec_lo, s13
	s_cbranch_vccz .LBB442_2
; %bb.1:
	v_lshlrev_b32_e32 v12, 3, v0
	v_or_b32_e32 v13, 0x100, v0
	v_lshrrev_b32_e32 v14, 2, v11
	v_lshrrev_b32_e32 v15, 2, v10
	v_and_b32_e32 v16, 56, v9
	v_add_co_u32 v1, s6, s2, v12
	s_delay_alu instid0(VALU_DEP_1)
	v_add_co_ci_u32_e64 v2, null, s3, 0, s6
	v_lshrrev_b32_e32 v13, 2, v13
	v_and_b32_e32 v14, 0xb8, v14
	v_and_b32_e32 v15, 0xf8, v15
	s_clause 0x3
	flat_load_b64 v[3:4], v[1:2]
	flat_load_b64 v[5:6], v[1:2] offset:2048
	flat_load_b64 v[7:8], v[1:2] offset:4096
	;; [unrolled: 1-line block ×3, first 2 shown]
	v_add_nc_u32_e32 v16, v16, v12
	v_and_b32_e32 v13, 0x78, v13
	v_add_nc_u32_e32 v14, v14, v12
	s_mov_b32 s14, 0
	s_delay_alu instid0(VALU_DEP_2)
	v_add_nc_u32_e32 v13, v13, v12
	v_add_nc_u32_e32 v12, v15, v12
	s_wait_loadcnt_dscnt 0x303
	ds_store_b64 v16, v[3:4]
	s_wait_loadcnt_dscnt 0x203
	ds_store_b64 v13, v[5:6] offset:2048
	s_wait_loadcnt_dscnt 0x103
	ds_store_b64 v14, v[7:8] offset:4096
	;; [unrolled: 2-line block ×3, first 2 shown]
	s_wait_dscnt 0x0
	s_barrier_signal -1
	s_barrier_wait -1
.LBB442_2:
	s_load_b64 s[6:7], s[0:1], 0x70
	s_and_not1_b32 vcc_lo, exec_lo, s14
	s_sub_co_i32 s15, s4, s5
	s_cbranch_vccnz .LBB442_10
; %bb.3:
	v_mov_b32_e32 v1, 0
	s_mov_b32 s4, exec_lo
	s_delay_alu instid0(VALU_DEP_1)
	v_dual_mov_b32 v2, v1 :: v_dual_mov_b32 v3, v1
	v_dual_mov_b32 v4, v1 :: v_dual_mov_b32 v5, v1
	;; [unrolled: 1-line block ×3, first 2 shown]
	v_mov_b32_e32 v8, v1
	v_cmpx_gt_u32_e64 s15, v0
	s_cbranch_execz .LBB442_5
; %bb.4:
	v_dual_mov_b32 v15, v1 :: v_dual_lshlrev_b32 v2, 3, v0
	v_dual_mov_b32 v14, v1 :: v_dual_mov_b32 v17, v1
	v_dual_mov_b32 v16, v1 :: v_dual_mov_b32 v19, v1
	s_delay_alu instid0(VALU_DEP_3)
	v_add_co_u32 v2, s5, s2, v2
	s_wait_alu 0xf1ff
	v_add_co_ci_u32_e64 v3, null, s3, 0, s5
	v_mov_b32_e32 v18, v1
	flat_load_b64 v[12:13], v[2:3]
	s_wait_loadcnt_dscnt 0x0
	v_dual_mov_b32 v1, v12 :: v_dual_mov_b32 v2, v13
	v_dual_mov_b32 v3, v14 :: v_dual_mov_b32 v4, v15
	;; [unrolled: 1-line block ×4, first 2 shown]
.LBB442_5:
	s_wait_alu 0xfffe
	s_or_b32 exec_lo, exec_lo, s4
	v_or_b32_e32 v12, 0x100, v0
	s_mov_b32 s4, exec_lo
	s_delay_alu instid0(VALU_DEP_1)
	v_cmpx_gt_u32_e64 s15, v12
	s_cbranch_execnz .LBB442_128
; %bb.6:
	s_wait_alu 0xfffe
	s_or_b32 exec_lo, exec_lo, s4
	s_delay_alu instid0(SALU_CYCLE_1)
	s_mov_b32 s4, exec_lo
	v_cmpx_gt_u32_e64 s15, v11
	s_cbranch_execnz .LBB442_129
.LBB442_7:
	s_wait_alu 0xfffe
	s_or_b32 exec_lo, exec_lo, s4
	s_delay_alu instid0(SALU_CYCLE_1)
	s_mov_b32 s4, exec_lo
	v_cmpx_gt_u32_e64 s15, v10
	s_cbranch_execz .LBB442_9
.LBB442_8:
	v_lshlrev_b32_e32 v7, 3, v0
	s_delay_alu instid0(VALU_DEP_1)
	v_add_co_u32 v7, s2, s2, v7
	s_wait_alu 0xf1ff
	v_add_co_ci_u32_e64 v8, null, s3, 0, s2
	flat_load_b64 v[7:8], v[7:8] offset:6144
.LBB442_9:
	s_wait_alu 0xfffe
	s_or_b32 exec_lo, exec_lo, s4
	v_lshrrev_b32_e32 v12, 2, v12
	v_lshrrev_b32_e32 v11, 2, v11
	v_lshrrev_b32_e32 v10, 2, v10
	v_and_b32_e32 v9, 56, v9
	v_lshlrev_b32_e32 v13, 3, v0
	v_and_b32_e32 v12, 0x78, v12
	v_and_b32_e32 v11, 0xf8, v11
	;; [unrolled: 1-line block ×3, first 2 shown]
	s_delay_alu instid0(VALU_DEP_4) | instskip(NEXT) | instid1(VALU_DEP_4)
	v_add_nc_u32_e32 v9, v9, v13
	v_add_nc_u32_e32 v12, v12, v13
	s_delay_alu instid0(VALU_DEP_4) | instskip(NEXT) | instid1(VALU_DEP_4)
	v_add_nc_u32_e32 v11, v11, v13
	v_add_nc_u32_e32 v10, v10, v13
	ds_store_b64 v9, v[1:2]
	s_wait_loadcnt_dscnt 0x1
	ds_store_b64 v12, v[3:4] offset:2048
	ds_store_b64 v11, v[5:6] offset:4096
	;; [unrolled: 1-line block ×3, first 2 shown]
	s_wait_dscnt 0x0
	s_barrier_signal -1
	s_barrier_wait -1
.LBB442_10:
	v_and_b32_e32 v1, 0xf8, v0
	global_inv scope:SCOPE_SE
	s_and_not1_b32 vcc_lo, exec_lo, s13
	v_lshl_add_u32 v5, v0, 5, v1
	ds_load_2addr_b64 v[1:4], v5 offset1:3
	ds_load_2addr_b64 v[5:8], v5 offset0:1 offset1:2
	s_wait_loadcnt_dscnt 0x0
	s_barrier_signal -1
	s_barrier_wait -1
	global_inv scope:SCOPE_SE
	s_wait_kmcnt 0x0
	v_cmp_ne_u64_e64 s2, s[6:7], v[1:2]
	v_cmp_ne_u64_e64 s14, s[6:7], v[3:4]
	s_cbranch_vccnz .LBB442_12
; %bb.11:
	v_cmp_ne_u64_e32 vcc_lo, s[6:7], v[7:8]
	s_wait_alu 0xf1ff
	v_cndmask_b32_e64 v27, 0, 1, s2
	v_cndmask_b32_e64 v25, 0, 1, vcc_lo
	v_cmp_ne_u64_e32 vcc_lo, s[6:7], v[5:6]
	s_delay_alu instid0(VALU_DEP_2) | instskip(SKIP_2) | instid1(VALU_DEP_1)
	v_lshlrev_b16 v10, 8, v25
	s_wait_alu 0xfffd
	v_cndmask_b32_e64 v9, 0, 1, vcc_lo
	v_or_b32_e32 v26, v9, v10
	s_cbranch_execz .LBB442_13
	s_branch .LBB442_14
.LBB442_12:
                                        ; implicit-def: $sgpr14
                                        ; implicit-def: $vgpr27
                                        ; implicit-def: $vgpr26
                                        ; implicit-def: $vgpr25
.LBB442_13:
	v_lshlrev_b32_e32 v9, 2, v0
	v_cmp_ne_u64_e64 s2, s[6:7], v[7:8]
	v_cmp_ne_u64_e64 s4, s[6:7], v[5:6]
	v_cmp_ne_u64_e32 vcc_lo, s[6:7], v[1:2]
	v_cmp_ne_u64_e64 s5, s[6:7], v[3:4]
	v_or_b32_e32 v10, 2, v9
	v_or_b32_e32 v11, 1, v9
	s_delay_alu instid0(VALU_DEP_2) | instskip(NEXT) | instid1(VALU_DEP_2)
	v_cmp_gt_u32_e64 s3, s15, v10
	v_cmp_gt_u32_e64 s6, s15, v11
	v_or_b32_e32 v10, 3, v9
	s_and_b32 s2, s3, s2
	s_and_b32 s4, s6, s4
	s_wait_alu 0xfffe
	v_cndmask_b32_e64 v25, 0, 1, s2
	v_cmp_gt_u32_e64 s2, s15, v9
	v_cmp_gt_u32_e64 s3, s15, v10
	v_cndmask_b32_e64 v9, 0, 1, s4
	s_delay_alu instid0(VALU_DEP_4)
	v_lshlrev_b16 v10, 8, v25
	s_and_b32 s2, s2, vcc_lo
	s_wait_alu 0xfffe
	v_cndmask_b32_e64 v27, 0, 1, s2
	s_and_b32 s2, s3, s5
	v_or_b32_e32 v26, v9, v10
	s_and_not1_b32 s3, s14, exec_lo
	s_wait_alu 0xfffe
	s_and_b32 s2, s2, exec_lo
	s_wait_alu 0xfffe
	s_or_b32 s14, s3, s2
.LBB442_14:
	s_load_b64 s[6:7], s[0:1], 0x60
	v_and_b32_e32 v30, 0xff, v27
	v_dual_mov_b32 v10, 0 :: v_dual_and_b32 v29, 0xff, v26
	v_cndmask_b32_e64 v9, 0, 1, s14
	v_mbcnt_lo_u32_b32 v31, -1, 0
	v_and_b32_e32 v28, 0xff, v25
	s_cmp_lg_u32 ttmp9, 0
	s_mov_b32 s3, -1
	v_add3_u32 v9, v30, v9, v29
	v_and_b32_e32 v32, 15, v31
	s_delay_alu instid0(VALU_DEP_2) | instskip(SKIP_2) | instid1(VALU_DEP_3)
	v_add_co_u32 v17, s2, v9, v28
	s_wait_alu 0xf1ff
	v_add_co_ci_u32_e64 v18, null, 0, 0, s2
	v_cmp_ne_u32_e64 s2, 0, v32
	s_cbranch_scc0 .LBB442_71
; %bb.15:
	v_mov_b32_e32 v11, v17
	v_mov_b32_dpp v9, v17 row_shr:1 row_mask:0xf bank_mask:0xf
	v_mov_b32_dpp v14, v10 row_shr:1 row_mask:0xf bank_mask:0xf
	v_dual_mov_b32 v13, v17 :: v_dual_mov_b32 v12, v18
	s_and_saveexec_b32 s3, s2
; %bb.16:
	s_delay_alu instid0(VALU_DEP_3) | instskip(SKIP_2) | instid1(VALU_DEP_2)
	v_add_co_u32 v13, vcc_lo, v17, v9
	s_wait_alu 0xfffd
	v_add_co_ci_u32_e64 v10, null, 0, v18, vcc_lo
	v_add_co_u32 v9, vcc_lo, 0, v13
	s_wait_alu 0xfffd
	s_delay_alu instid0(VALU_DEP_2) | instskip(NEXT) | instid1(VALU_DEP_1)
	v_add_co_ci_u32_e64 v10, null, v14, v10, vcc_lo
	v_dual_mov_b32 v12, v10 :: v_dual_mov_b32 v11, v9
; %bb.17:
	s_wait_alu 0xfffe
	s_or_b32 exec_lo, exec_lo, s3
	v_mov_b32_dpp v9, v13 row_shr:2 row_mask:0xf bank_mask:0xf
	v_mov_b32_dpp v14, v10 row_shr:2 row_mask:0xf bank_mask:0xf
	s_mov_b32 s3, exec_lo
	v_cmpx_lt_u32_e32 1, v32
; %bb.18:
	s_delay_alu instid0(VALU_DEP_3) | instskip(SKIP_2) | instid1(VALU_DEP_2)
	v_add_co_u32 v13, vcc_lo, v11, v9
	s_wait_alu 0xfffd
	v_add_co_ci_u32_e64 v10, null, 0, v12, vcc_lo
	v_add_co_u32 v9, vcc_lo, 0, v13
	s_wait_alu 0xfffd
	s_delay_alu instid0(VALU_DEP_2) | instskip(NEXT) | instid1(VALU_DEP_1)
	v_add_co_ci_u32_e64 v10, null, v14, v10, vcc_lo
	v_dual_mov_b32 v12, v10 :: v_dual_mov_b32 v11, v9
; %bb.19:
	s_wait_alu 0xfffe
	s_or_b32 exec_lo, exec_lo, s3
	v_mov_b32_dpp v9, v13 row_shr:4 row_mask:0xf bank_mask:0xf
	v_mov_b32_dpp v14, v10 row_shr:4 row_mask:0xf bank_mask:0xf
	s_mov_b32 s3, exec_lo
	v_cmpx_lt_u32_e32 3, v32
	;; [unrolled: 17-line block ×3, first 2 shown]
; %bb.22:
	s_delay_alu instid0(VALU_DEP_3) | instskip(SKIP_2) | instid1(VALU_DEP_2)
	v_add_co_u32 v13, vcc_lo, v11, v14
	s_wait_alu 0xfffd
	v_add_co_ci_u32_e64 v10, null, 0, v12, vcc_lo
	v_add_co_u32 v11, vcc_lo, 0, v13
	s_wait_alu 0xfffd
	s_delay_alu instid0(VALU_DEP_2) | instskip(NEXT) | instid1(VALU_DEP_1)
	v_add_co_ci_u32_e64 v12, null, v9, v10, vcc_lo
	v_mov_b32_e32 v10, v12
; %bb.23:
	s_wait_alu 0xfffe
	s_or_b32 exec_lo, exec_lo, s3
	ds_swizzle_b32 v9, v13 offset:swizzle(BROADCAST,32,15)
	ds_swizzle_b32 v14, v10 offset:swizzle(BROADCAST,32,15)
	v_and_b32_e32 v15, 16, v31
	s_mov_b32 s3, exec_lo
	s_delay_alu instid0(VALU_DEP_1)
	v_cmpx_ne_u32_e32 0, v15
	s_cbranch_execz .LBB442_25
; %bb.24:
	s_wait_dscnt 0x1
	v_add_co_u32 v13, vcc_lo, v11, v9
	s_wait_alu 0xfffd
	v_add_co_ci_u32_e64 v10, null, 0, v12, vcc_lo
	s_delay_alu instid0(VALU_DEP_2) | instskip(SKIP_2) | instid1(VALU_DEP_2)
	v_add_co_u32 v9, vcc_lo, 0, v13
	s_wait_dscnt 0x0
	s_wait_alu 0xfffd
	v_add_co_ci_u32_e64 v10, null, v14, v10, vcc_lo
	s_delay_alu instid0(VALU_DEP_1)
	v_dual_mov_b32 v12, v10 :: v_dual_mov_b32 v11, v9
.LBB442_25:
	s_wait_alu 0xfffe
	s_or_b32 exec_lo, exec_lo, s3
	s_wait_dscnt 0x0
	v_or_b32_e32 v14, 31, v0
	v_lshrrev_b32_e32 v9, 5, v0
	s_mov_b32 s3, exec_lo
	s_delay_alu instid0(VALU_DEP_2)
	v_cmpx_eq_u32_e64 v0, v14
; %bb.26:
	s_delay_alu instid0(VALU_DEP_2)
	v_lshlrev_b32_e32 v14, 3, v9
	ds_store_b64 v14, v[11:12]
; %bb.27:
	s_wait_alu 0xfffe
	s_or_b32 exec_lo, exec_lo, s3
	s_delay_alu instid0(SALU_CYCLE_1)
	s_mov_b32 s3, exec_lo
	s_wait_loadcnt_dscnt 0x0
	s_barrier_signal -1
	s_barrier_wait -1
	global_inv scope:SCOPE_SE
	v_cmpx_gt_u32_e32 8, v0
	s_cbranch_execz .LBB442_35
; %bb.28:
	v_lshlrev_b32_e32 v14, 3, v0
	s_mov_b32 s4, exec_lo
	ds_load_b64 v[11:12], v14
	s_wait_dscnt 0x0
	v_dual_mov_b32 v16, v11 :: v_dual_and_b32 v15, 7, v31
	v_mov_b32_dpp v20, v11 row_shr:1 row_mask:0xf bank_mask:0xf
	v_mov_b32_dpp v19, v12 row_shr:1 row_mask:0xf bank_mask:0xf
	s_delay_alu instid0(VALU_DEP_3)
	v_cmpx_ne_u32_e32 0, v15
; %bb.29:
	s_delay_alu instid0(VALU_DEP_3) | instskip(SKIP_2) | instid1(VALU_DEP_2)
	v_add_co_u32 v16, vcc_lo, v11, v20
	s_wait_alu 0xfffd
	v_add_co_ci_u32_e64 v12, null, 0, v12, vcc_lo
	v_add_co_u32 v11, vcc_lo, 0, v16
	s_wait_alu 0xfffd
	s_delay_alu instid0(VALU_DEP_2)
	v_add_co_ci_u32_e64 v12, null, v19, v12, vcc_lo
; %bb.30:
	s_wait_alu 0xfffe
	s_or_b32 exec_lo, exec_lo, s4
	v_mov_b32_dpp v20, v16 row_shr:2 row_mask:0xf bank_mask:0xf
	s_delay_alu instid0(VALU_DEP_2)
	v_mov_b32_dpp v19, v12 row_shr:2 row_mask:0xf bank_mask:0xf
	s_mov_b32 s4, exec_lo
	v_cmpx_lt_u32_e32 1, v15
; %bb.31:
	s_delay_alu instid0(VALU_DEP_3) | instskip(SKIP_2) | instid1(VALU_DEP_2)
	v_add_co_u32 v16, vcc_lo, v11, v20
	s_wait_alu 0xfffd
	v_add_co_ci_u32_e64 v12, null, 0, v12, vcc_lo
	v_add_co_u32 v11, vcc_lo, 0, v16
	s_wait_alu 0xfffd
	s_delay_alu instid0(VALU_DEP_2)
	v_add_co_ci_u32_e64 v12, null, v19, v12, vcc_lo
; %bb.32:
	s_wait_alu 0xfffe
	s_or_b32 exec_lo, exec_lo, s4
	v_mov_b32_dpp v19, v16 row_shr:4 row_mask:0xf bank_mask:0xf
	s_delay_alu instid0(VALU_DEP_2)
	v_mov_b32_dpp v16, v12 row_shr:4 row_mask:0xf bank_mask:0xf
	s_mov_b32 s4, exec_lo
	v_cmpx_lt_u32_e32 3, v15
; %bb.33:
	s_delay_alu instid0(VALU_DEP_3) | instskip(SKIP_2) | instid1(VALU_DEP_2)
	v_add_co_u32 v11, vcc_lo, v11, v19
	s_wait_alu 0xfffd
	v_add_co_ci_u32_e64 v12, null, 0, v12, vcc_lo
	v_add_co_u32 v11, vcc_lo, v11, 0
	s_wait_alu 0xfffd
	s_delay_alu instid0(VALU_DEP_2)
	v_add_co_ci_u32_e64 v12, null, v12, v16, vcc_lo
; %bb.34:
	s_wait_alu 0xfffe
	s_or_b32 exec_lo, exec_lo, s4
	ds_store_b64 v14, v[11:12]
.LBB442_35:
	s_wait_alu 0xfffe
	s_or_b32 exec_lo, exec_lo, s3
	s_delay_alu instid0(SALU_CYCLE_1)
	s_mov_b32 s4, exec_lo
	v_cmp_gt_u32_e32 vcc_lo, 32, v0
	s_wait_loadcnt_dscnt 0x0
	s_barrier_signal -1
	s_barrier_wait -1
	global_inv scope:SCOPE_SE
                                        ; implicit-def: $vgpr19_vgpr20
	v_cmpx_lt_u32_e32 31, v0
	s_cbranch_execz .LBB442_37
; %bb.36:
	v_lshl_add_u32 v9, v9, 3, -8
	ds_load_b64 v[19:20], v9
	s_wait_dscnt 0x0
	v_add_co_u32 v13, s3, v13, v19
	s_wait_alu 0xf1ff
	v_add_co_ci_u32_e64 v10, null, v10, v20, s3
.LBB442_37:
	s_wait_alu 0xfffe
	s_or_b32 exec_lo, exec_lo, s4
	v_sub_co_u32 v9, s3, v31, 1
	s_delay_alu instid0(VALU_DEP_1) | instskip(SKIP_1) | instid1(VALU_DEP_1)
	v_cmp_gt_i32_e64 s4, 0, v9
	s_wait_alu 0xf1ff
	v_cndmask_b32_e64 v9, v9, v31, s4
	s_delay_alu instid0(VALU_DEP_1)
	v_lshlrev_b32_e32 v9, 2, v9
	ds_bpermute_b32 v33, v9, v13
	ds_bpermute_b32 v34, v9, v10
	s_and_saveexec_b32 s4, vcc_lo
	s_cbranch_execz .LBB442_76
; %bb.38:
	v_mov_b32_e32 v12, 0
	ds_load_b64 v[9:10], v12 offset:56
	s_and_saveexec_b32 s5, s3
	s_cbranch_execz .LBB442_40
; %bb.39:
	s_add_co_i32 s16, ttmp9, 32
	s_mov_b32 s17, 0
	s_delay_alu instid0(SALU_CYCLE_1)
	s_lshl_b64 s[16:17], s[16:17], 4
	s_wait_kmcnt 0x0
	s_add_nc_u64 s[16:17], s[6:7], s[16:17]
	v_mov_b32_e32 v11, 1
	v_dual_mov_b32 v13, s16 :: v_dual_mov_b32 v14, s17
	s_wait_dscnt 0x0
	;;#ASMSTART
	global_store_b128 v[13:14], v[9:12] off scope:SCOPE_DEV	
s_wait_storecnt 0x0
	;;#ASMEND
.LBB442_40:
	s_wait_alu 0xfffe
	s_or_b32 exec_lo, exec_lo, s5
	v_xad_u32 v21, v31, -1, ttmp9
	s_mov_b32 s15, 0
	s_mov_b32 s5, exec_lo
	s_delay_alu instid0(VALU_DEP_1) | instskip(NEXT) | instid1(VALU_DEP_1)
	v_add_nc_u32_e32 v11, 32, v21
	v_lshlrev_b64_e32 v[11:12], 4, v[11:12]
	s_wait_kmcnt 0x0
	s_delay_alu instid0(VALU_DEP_1) | instskip(SKIP_1) | instid1(VALU_DEP_2)
	v_add_co_u32 v11, vcc_lo, s6, v11
	s_wait_alu 0xfffd
	v_add_co_ci_u32_e64 v12, null, s7, v12, vcc_lo
	;;#ASMSTART
	global_load_b128 v[13:16], v[11:12] off scope:SCOPE_DEV	
s_wait_loadcnt 0x0
	;;#ASMEND
	v_and_b32_e32 v16, 0xff, v15
	s_delay_alu instid0(VALU_DEP_1)
	v_cmpx_eq_u16_e32 0, v16
	s_cbranch_execz .LBB442_43
.LBB442_41:                             ; =>This Inner Loop Header: Depth=1
	;;#ASMSTART
	global_load_b128 v[13:16], v[11:12] off scope:SCOPE_DEV	
s_wait_loadcnt 0x0
	;;#ASMEND
	v_and_b32_e32 v16, 0xff, v15
	s_delay_alu instid0(VALU_DEP_1)
	v_cmp_ne_u16_e32 vcc_lo, 0, v16
	s_wait_alu 0xfffe
	s_or_b32 s15, vcc_lo, s15
	s_wait_alu 0xfffe
	s_and_not1_b32 exec_lo, exec_lo, s15
	s_cbranch_execnz .LBB442_41
; %bb.42:
	s_or_b32 exec_lo, exec_lo, s15
.LBB442_43:
	s_wait_alu 0xfffe
	s_or_b32 exec_lo, exec_lo, s5
	v_cmp_ne_u32_e32 vcc_lo, 31, v31
	v_and_b32_e32 v12, 0xff, v15
	v_lshlrev_b32_e64 v36, v31, -1
	s_mov_b32 s5, exec_lo
	s_wait_alu 0xfffd
	v_add_co_ci_u32_e64 v11, null, 0, v31, vcc_lo
	v_cmp_eq_u16_e32 vcc_lo, 2, v12
	s_delay_alu instid0(VALU_DEP_2)
	v_dual_mov_b32 v12, v13 :: v_dual_lshlrev_b32 v35, 2, v11
	s_wait_alu 0xfffd
	v_and_or_b32 v11, vcc_lo, v36, 0x80000000
	ds_bpermute_b32 v22, v35, v13
	ds_bpermute_b32 v16, v35, v14
	v_ctz_i32_b32_e32 v11, v11
	s_delay_alu instid0(VALU_DEP_1)
	v_cmpx_lt_u32_e64 v31, v11
	s_cbranch_execz .LBB442_45
; %bb.44:
	s_wait_dscnt 0x1
	v_add_co_u32 v12, vcc_lo, v13, v22
	s_wait_alu 0xfffd
	v_add_co_ci_u32_e64 v14, null, 0, v14, vcc_lo
	s_delay_alu instid0(VALU_DEP_2) | instskip(SKIP_2) | instid1(VALU_DEP_2)
	v_add_co_u32 v13, vcc_lo, 0, v12
	s_wait_dscnt 0x0
	s_wait_alu 0xfffd
	v_add_co_ci_u32_e64 v14, null, v16, v14, vcc_lo
.LBB442_45:
	s_wait_alu 0xfffe
	s_or_b32 exec_lo, exec_lo, s5
	v_cmp_gt_u32_e32 vcc_lo, 30, v31
	v_add_nc_u32_e32 v38, 2, v31
	s_mov_b32 s5, exec_lo
	s_wait_dscnt 0x0
	s_wait_alu 0xfffd
	v_cndmask_b32_e64 v16, 0, 2, vcc_lo
	s_delay_alu instid0(VALU_DEP_1)
	v_add_lshl_u32 v37, v16, v31, 2
	ds_bpermute_b32 v22, v37, v12
	ds_bpermute_b32 v16, v37, v14
	v_cmpx_le_u32_e64 v38, v11
	s_cbranch_execz .LBB442_47
; %bb.46:
	s_wait_dscnt 0x1
	v_add_co_u32 v12, vcc_lo, v13, v22
	s_wait_alu 0xfffd
	v_add_co_ci_u32_e64 v14, null, 0, v14, vcc_lo
	s_delay_alu instid0(VALU_DEP_2) | instskip(SKIP_2) | instid1(VALU_DEP_2)
	v_add_co_u32 v13, vcc_lo, 0, v12
	s_wait_dscnt 0x0
	s_wait_alu 0xfffd
	v_add_co_ci_u32_e64 v14, null, v16, v14, vcc_lo
.LBB442_47:
	s_wait_alu 0xfffe
	s_or_b32 exec_lo, exec_lo, s5
	v_cmp_gt_u32_e32 vcc_lo, 28, v31
	v_add_nc_u32_e32 v40, 4, v31
	s_mov_b32 s5, exec_lo
	s_wait_dscnt 0x0
	s_wait_alu 0xfffd
	v_cndmask_b32_e64 v16, 0, 4, vcc_lo
	s_delay_alu instid0(VALU_DEP_1)
	v_add_lshl_u32 v39, v16, v31, 2
	ds_bpermute_b32 v22, v39, v12
	ds_bpermute_b32 v16, v39, v14
	v_cmpx_le_u32_e64 v40, v11
	;; [unrolled: 25-line block ×3, first 2 shown]
	s_cbranch_execz .LBB442_51
; %bb.50:
	s_wait_dscnt 0x1
	v_add_co_u32 v12, vcc_lo, v13, v22
	s_wait_alu 0xfffd
	v_add_co_ci_u32_e64 v14, null, 0, v14, vcc_lo
	s_delay_alu instid0(VALU_DEP_2) | instskip(SKIP_2) | instid1(VALU_DEP_2)
	v_add_co_u32 v13, vcc_lo, 0, v12
	s_wait_dscnt 0x0
	s_wait_alu 0xfffd
	v_add_co_ci_u32_e64 v14, null, v16, v14, vcc_lo
.LBB442_51:
	s_wait_alu 0xfffe
	s_or_b32 exec_lo, exec_lo, s5
	v_lshl_or_b32 v43, v31, 2, 64
	v_add_nc_u32_e32 v44, 16, v31
	s_mov_b32 s5, exec_lo
	s_wait_dscnt 0x0
	ds_bpermute_b32 v16, v43, v12
	ds_bpermute_b32 v12, v43, v14
	v_cmpx_le_u32_e64 v44, v11
	s_cbranch_execz .LBB442_53
; %bb.52:
	s_wait_dscnt 0x1
	v_add_co_u32 v11, vcc_lo, v13, v16
	s_wait_alu 0xfffd
	v_add_co_ci_u32_e64 v14, null, 0, v14, vcc_lo
	s_delay_alu instid0(VALU_DEP_2) | instskip(SKIP_2) | instid1(VALU_DEP_2)
	v_add_co_u32 v13, vcc_lo, v11, 0
	s_wait_dscnt 0x0
	s_wait_alu 0xfffd
	v_add_co_ci_u32_e64 v14, null, v14, v12, vcc_lo
.LBB442_53:
	s_wait_alu 0xfffe
	s_or_b32 exec_lo, exec_lo, s5
	v_mov_b32_e32 v22, 0
	s_branch .LBB442_56
.LBB442_54:                             ;   in Loop: Header=BB442_56 Depth=1
	s_wait_alu 0xfffe
	s_or_b32 exec_lo, exec_lo, s5
	v_add_co_u32 v13, vcc_lo, v13, v11
	v_subrev_nc_u32_e32 v21, 32, v21
	s_wait_alu 0xfffd
	v_add_co_ci_u32_e64 v14, null, v14, v12, vcc_lo
	s_mov_b32 s5, 0
.LBB442_55:                             ;   in Loop: Header=BB442_56 Depth=1
	s_wait_alu 0xfffe
	s_and_b32 vcc_lo, exec_lo, s5
	s_wait_alu 0xfffe
	s_cbranch_vccnz .LBB442_72
.LBB442_56:                             ; =>This Loop Header: Depth=1
                                        ;     Child Loop BB442_59 Depth 2
	v_and_b32_e32 v11, 0xff, v15
	s_mov_b32 s5, -1
	s_delay_alu instid0(VALU_DEP_1)
	v_cmp_ne_u16_e32 vcc_lo, 2, v11
	s_wait_dscnt 0x0
	v_dual_mov_b32 v11, v13 :: v_dual_mov_b32 v12, v14
                                        ; implicit-def: $vgpr13_vgpr14
	s_cmp_lg_u32 vcc_lo, exec_lo
	s_cbranch_scc1 .LBB442_55
; %bb.57:                               ;   in Loop: Header=BB442_56 Depth=1
	v_lshlrev_b64_e32 v[13:14], 4, v[21:22]
	s_mov_b32 s5, exec_lo
	s_delay_alu instid0(VALU_DEP_1) | instskip(SKIP_1) | instid1(VALU_DEP_2)
	v_add_co_u32 v23, vcc_lo, s6, v13
	s_wait_alu 0xfffd
	v_add_co_ci_u32_e64 v24, null, s7, v14, vcc_lo
	;;#ASMSTART
	global_load_b128 v[13:16], v[23:24] off scope:SCOPE_DEV	
s_wait_loadcnt 0x0
	;;#ASMEND
	v_and_b32_e32 v16, 0xff, v15
	s_delay_alu instid0(VALU_DEP_1)
	v_cmpx_eq_u16_e32 0, v16
	s_cbranch_execz .LBB442_61
; %bb.58:                               ;   in Loop: Header=BB442_56 Depth=1
	s_mov_b32 s15, 0
.LBB442_59:                             ;   Parent Loop BB442_56 Depth=1
                                        ; =>  This Inner Loop Header: Depth=2
	;;#ASMSTART
	global_load_b128 v[13:16], v[23:24] off scope:SCOPE_DEV	
s_wait_loadcnt 0x0
	;;#ASMEND
	v_and_b32_e32 v16, 0xff, v15
	s_delay_alu instid0(VALU_DEP_1)
	v_cmp_ne_u16_e32 vcc_lo, 0, v16
	s_wait_alu 0xfffe
	s_or_b32 s15, vcc_lo, s15
	s_wait_alu 0xfffe
	s_and_not1_b32 exec_lo, exec_lo, s15
	s_cbranch_execnz .LBB442_59
; %bb.60:                               ;   in Loop: Header=BB442_56 Depth=1
	s_or_b32 exec_lo, exec_lo, s15
.LBB442_61:                             ;   in Loop: Header=BB442_56 Depth=1
	s_wait_alu 0xfffe
	s_or_b32 exec_lo, exec_lo, s5
	v_dual_mov_b32 v23, v13 :: v_dual_and_b32 v16, 0xff, v15
	ds_bpermute_b32 v45, v35, v13
	ds_bpermute_b32 v24, v35, v14
	s_mov_b32 s5, exec_lo
	v_cmp_eq_u16_e32 vcc_lo, 2, v16
	s_wait_alu 0xfffd
	v_and_or_b32 v16, vcc_lo, v36, 0x80000000
	s_delay_alu instid0(VALU_DEP_1) | instskip(NEXT) | instid1(VALU_DEP_1)
	v_ctz_i32_b32_e32 v16, v16
	v_cmpx_lt_u32_e64 v31, v16
	s_cbranch_execz .LBB442_63
; %bb.62:                               ;   in Loop: Header=BB442_56 Depth=1
	s_wait_dscnt 0x1
	v_add_co_u32 v23, vcc_lo, v13, v45
	s_wait_alu 0xfffd
	v_add_co_ci_u32_e64 v14, null, 0, v14, vcc_lo
	s_delay_alu instid0(VALU_DEP_2) | instskip(SKIP_2) | instid1(VALU_DEP_2)
	v_add_co_u32 v13, vcc_lo, 0, v23
	s_wait_dscnt 0x0
	s_wait_alu 0xfffd
	v_add_co_ci_u32_e64 v14, null, v24, v14, vcc_lo
.LBB442_63:                             ;   in Loop: Header=BB442_56 Depth=1
	s_wait_alu 0xfffe
	s_or_b32 exec_lo, exec_lo, s5
	s_wait_dscnt 0x1
	ds_bpermute_b32 v45, v37, v23
	s_wait_dscnt 0x1
	ds_bpermute_b32 v24, v37, v14
	s_mov_b32 s5, exec_lo
	v_cmpx_le_u32_e64 v38, v16
	s_cbranch_execz .LBB442_65
; %bb.64:                               ;   in Loop: Header=BB442_56 Depth=1
	s_wait_dscnt 0x1
	v_add_co_u32 v23, vcc_lo, v13, v45
	s_wait_alu 0xfffd
	v_add_co_ci_u32_e64 v14, null, 0, v14, vcc_lo
	s_delay_alu instid0(VALU_DEP_2) | instskip(SKIP_2) | instid1(VALU_DEP_2)
	v_add_co_u32 v13, vcc_lo, 0, v23
	s_wait_dscnt 0x0
	s_wait_alu 0xfffd
	v_add_co_ci_u32_e64 v14, null, v24, v14, vcc_lo
.LBB442_65:                             ;   in Loop: Header=BB442_56 Depth=1
	s_wait_alu 0xfffe
	s_or_b32 exec_lo, exec_lo, s5
	s_wait_dscnt 0x1
	ds_bpermute_b32 v45, v39, v23
	s_wait_dscnt 0x1
	ds_bpermute_b32 v24, v39, v14
	s_mov_b32 s5, exec_lo
	v_cmpx_le_u32_e64 v40, v16
	;; [unrolled: 20-line block ×3, first 2 shown]
	s_cbranch_execz .LBB442_69
; %bb.68:                               ;   in Loop: Header=BB442_56 Depth=1
	s_wait_dscnt 0x1
	v_add_co_u32 v23, vcc_lo, v13, v45
	s_wait_alu 0xfffd
	v_add_co_ci_u32_e64 v14, null, 0, v14, vcc_lo
	s_delay_alu instid0(VALU_DEP_2) | instskip(SKIP_2) | instid1(VALU_DEP_2)
	v_add_co_u32 v13, vcc_lo, 0, v23
	s_wait_dscnt 0x0
	s_wait_alu 0xfffd
	v_add_co_ci_u32_e64 v14, null, v24, v14, vcc_lo
.LBB442_69:                             ;   in Loop: Header=BB442_56 Depth=1
	s_wait_alu 0xfffe
	s_or_b32 exec_lo, exec_lo, s5
	s_wait_dscnt 0x0
	ds_bpermute_b32 v24, v43, v23
	ds_bpermute_b32 v23, v43, v14
	s_mov_b32 s5, exec_lo
	v_cmpx_le_u32_e64 v44, v16
	s_cbranch_execz .LBB442_54
; %bb.70:                               ;   in Loop: Header=BB442_56 Depth=1
	s_wait_dscnt 0x1
	v_add_co_u32 v13, vcc_lo, v13, v24
	s_wait_alu 0xfffd
	v_add_co_ci_u32_e64 v14, null, 0, v14, vcc_lo
	s_delay_alu instid0(VALU_DEP_2) | instskip(SKIP_2) | instid1(VALU_DEP_2)
	v_add_co_u32 v13, vcc_lo, v13, 0
	s_wait_dscnt 0x0
	s_wait_alu 0xfffd
	v_add_co_ci_u32_e64 v14, null, v14, v23, vcc_lo
	s_branch .LBB442_54
.LBB442_71:
                                        ; implicit-def: $vgpr15_vgpr16
                                        ; implicit-def: $vgpr13_vgpr14
                                        ; implicit-def: $vgpr19_vgpr20
                                        ; implicit-def: $vgpr21_vgpr22
                                        ; implicit-def: $vgpr11_vgpr12
	s_wait_alu 0xfffe
	s_and_b32 vcc_lo, exec_lo, s3
	s_wait_alu 0xfffe
	s_cbranch_vccnz .LBB442_77
	s_branch .LBB442_102
.LBB442_72:
	s_and_saveexec_b32 s5, s3
	s_cbranch_execz .LBB442_74
; %bb.73:
	s_add_co_i32 s16, ttmp9, 32
	s_mov_b32 s17, 0
	v_add_co_u32 v13, vcc_lo, v11, v9
	s_wait_alu 0xfffe
	s_lshl_b64 s[16:17], s[16:17], 4
	v_dual_mov_b32 v15, 2 :: v_dual_mov_b32 v16, 0
	s_wait_alu 0xfffe
	s_add_nc_u64 s[16:17], s[6:7], s[16:17]
	s_wait_alu 0xfffd
	v_add_co_ci_u32_e64 v14, null, v12, v10, vcc_lo
	s_wait_alu 0xfffe
	v_dual_mov_b32 v22, s17 :: v_dual_mov_b32 v21, s16
	;;#ASMSTART
	global_store_b128 v[21:22], v[13:16] off scope:SCOPE_DEV	
s_wait_storecnt 0x0
	;;#ASMEND
	ds_store_b128 v16, v[9:12] offset:8448
.LBB442_74:
	s_wait_alu 0xfffe
	s_or_b32 exec_lo, exec_lo, s5
	v_cmp_eq_u32_e32 vcc_lo, 0, v0
	s_and_b32 exec_lo, exec_lo, vcc_lo
; %bb.75:
	v_mov_b32_e32 v9, 0
	ds_store_b64 v9, v[11:12] offset:56
.LBB442_76:
	s_wait_alu 0xfffe
	s_or_b32 exec_lo, exec_lo, s4
	s_wait_dscnt 0x1
	v_cndmask_b32_e64 v10, v33, v19, s3
	v_cmp_ne_u32_e32 vcc_lo, 0, v0
	v_mov_b32_e32 v9, 0
	s_wait_loadcnt_dscnt 0x0
	s_barrier_signal -1
	s_barrier_wait -1
	global_inv scope:SCOPE_SE
	s_wait_alu 0xfffd
	v_cndmask_b32_e32 v16, 0, v10, vcc_lo
	ds_load_b64 v[13:14], v9 offset:56
	v_cndmask_b32_e64 v11, v34, v20, s3
	s_wait_loadcnt_dscnt 0x0
	s_barrier_signal -1
	s_barrier_wait -1
	global_inv scope:SCOPE_SE
	v_cndmask_b32_e32 v15, 0, v11, vcc_lo
	ds_load_b128 v[9:12], v9 offset:8448
	v_add_co_u32 v21, vcc_lo, v13, v16
	s_wait_alu 0xfffd
	v_add_co_ci_u32_e64 v22, null, v14, v15, vcc_lo
	s_delay_alu instid0(VALU_DEP_2) | instskip(SKIP_1) | instid1(VALU_DEP_2)
	v_add_co_u32 v19, vcc_lo, v21, v30
	s_wait_alu 0xfffd
	v_add_co_ci_u32_e64 v20, null, 0, v22, vcc_lo
	s_delay_alu instid0(VALU_DEP_2) | instskip(SKIP_1) | instid1(VALU_DEP_2)
	;; [unrolled: 4-line block ×3, first 2 shown]
	v_add_co_u32 v15, vcc_lo, v13, v28
	s_wait_alu 0xfffd
	v_add_co_ci_u32_e64 v16, null, 0, v14, vcc_lo
	s_branch .LBB442_102
.LBB442_77:
	s_wait_dscnt 0x0
	v_dual_mov_b32 v10, 0 :: v_dual_mov_b32 v11, v17
	v_mov_b32_dpp v12, v17 row_shr:1 row_mask:0xf bank_mask:0xf
	s_delay_alu instid0(VALU_DEP_2)
	v_mov_b32_dpp v9, v10 row_shr:1 row_mask:0xf bank_mask:0xf
	s_and_saveexec_b32 s3, s2
; %bb.78:
	s_delay_alu instid0(VALU_DEP_2) | instskip(SKIP_2) | instid1(VALU_DEP_2)
	v_add_co_u32 v11, vcc_lo, v17, v12
	s_wait_alu 0xfffd
	v_add_co_ci_u32_e64 v10, null, 0, v18, vcc_lo
	v_add_co_u32 v17, vcc_lo, 0, v11
	s_wait_alu 0xfffd
	s_delay_alu instid0(VALU_DEP_2) | instskip(NEXT) | instid1(VALU_DEP_1)
	v_add_co_ci_u32_e64 v18, null, v9, v10, vcc_lo
	v_mov_b32_e32 v10, v18
; %bb.79:
	s_wait_alu 0xfffe
	s_or_b32 exec_lo, exec_lo, s3
	v_mov_b32_dpp v9, v11 row_shr:2 row_mask:0xf bank_mask:0xf
	s_delay_alu instid0(VALU_DEP_2)
	v_mov_b32_dpp v12, v10 row_shr:2 row_mask:0xf bank_mask:0xf
	s_mov_b32 s2, exec_lo
	v_cmpx_lt_u32_e32 1, v32
; %bb.80:
	s_delay_alu instid0(VALU_DEP_3) | instskip(SKIP_2) | instid1(VALU_DEP_2)
	v_add_co_u32 v11, vcc_lo, v17, v9
	s_wait_alu 0xfffd
	v_add_co_ci_u32_e64 v10, null, 0, v18, vcc_lo
	v_add_co_u32 v9, vcc_lo, 0, v11
	s_wait_alu 0xfffd
	s_delay_alu instid0(VALU_DEP_2) | instskip(NEXT) | instid1(VALU_DEP_1)
	v_add_co_ci_u32_e64 v10, null, v12, v10, vcc_lo
	v_dual_mov_b32 v18, v10 :: v_dual_mov_b32 v17, v9
; %bb.81:
	s_wait_alu 0xfffe
	s_or_b32 exec_lo, exec_lo, s2
	v_mov_b32_dpp v9, v11 row_shr:4 row_mask:0xf bank_mask:0xf
	v_mov_b32_dpp v12, v10 row_shr:4 row_mask:0xf bank_mask:0xf
	s_mov_b32 s2, exec_lo
	v_cmpx_lt_u32_e32 3, v32
; %bb.82:
	s_delay_alu instid0(VALU_DEP_3) | instskip(SKIP_2) | instid1(VALU_DEP_2)
	v_add_co_u32 v11, vcc_lo, v17, v9
	s_wait_alu 0xfffd
	v_add_co_ci_u32_e64 v10, null, 0, v18, vcc_lo
	v_add_co_u32 v9, vcc_lo, 0, v11
	s_wait_alu 0xfffd
	s_delay_alu instid0(VALU_DEP_2) | instskip(NEXT) | instid1(VALU_DEP_1)
	v_add_co_ci_u32_e64 v10, null, v12, v10, vcc_lo
	v_dual_mov_b32 v18, v10 :: v_dual_mov_b32 v17, v9
; %bb.83:
	s_wait_alu 0xfffe
	s_or_b32 exec_lo, exec_lo, s2
	v_mov_b32_dpp v12, v11 row_shr:8 row_mask:0xf bank_mask:0xf
	v_mov_b32_dpp v9, v10 row_shr:8 row_mask:0xf bank_mask:0xf
	s_mov_b32 s2, exec_lo
	v_cmpx_lt_u32_e32 7, v32
; %bb.84:
	s_delay_alu instid0(VALU_DEP_3) | instskip(SKIP_2) | instid1(VALU_DEP_2)
	v_add_co_u32 v11, vcc_lo, v17, v12
	s_wait_alu 0xfffd
	v_add_co_ci_u32_e64 v10, null, 0, v18, vcc_lo
	v_add_co_u32 v17, vcc_lo, 0, v11
	s_wait_alu 0xfffd
	s_delay_alu instid0(VALU_DEP_2) | instskip(NEXT) | instid1(VALU_DEP_1)
	v_add_co_ci_u32_e64 v18, null, v9, v10, vcc_lo
	v_mov_b32_e32 v10, v18
; %bb.85:
	s_wait_alu 0xfffe
	s_or_b32 exec_lo, exec_lo, s2
	ds_swizzle_b32 v11, v11 offset:swizzle(BROADCAST,32,15)
	ds_swizzle_b32 v9, v10 offset:swizzle(BROADCAST,32,15)
	v_and_b32_e32 v10, 16, v31
	s_mov_b32 s2, exec_lo
	s_delay_alu instid0(VALU_DEP_1)
	v_cmpx_ne_u32_e32 0, v10
	s_cbranch_execz .LBB442_87
; %bb.86:
	s_wait_dscnt 0x1
	v_add_co_u32 v10, vcc_lo, v17, v11
	s_wait_alu 0xfffd
	v_add_co_ci_u32_e64 v11, null, 0, v18, vcc_lo
	s_delay_alu instid0(VALU_DEP_2) | instskip(SKIP_2) | instid1(VALU_DEP_2)
	v_add_co_u32 v17, vcc_lo, v10, 0
	s_wait_dscnt 0x0
	s_wait_alu 0xfffd
	v_add_co_ci_u32_e64 v18, null, v11, v9, vcc_lo
.LBB442_87:
	s_wait_alu 0xfffe
	s_or_b32 exec_lo, exec_lo, s2
	s_wait_dscnt 0x0
	v_or_b32_e32 v9, 31, v0
	v_lshrrev_b32_e32 v11, 5, v0
	s_mov_b32 s2, exec_lo
	s_delay_alu instid0(VALU_DEP_2)
	v_cmpx_eq_u32_e64 v0, v9
; %bb.88:
	s_delay_alu instid0(VALU_DEP_2)
	v_lshlrev_b32_e32 v9, 3, v11
	ds_store_b64 v9, v[17:18]
; %bb.89:
	s_wait_alu 0xfffe
	s_or_b32 exec_lo, exec_lo, s2
	s_delay_alu instid0(SALU_CYCLE_1)
	s_mov_b32 s2, exec_lo
	s_wait_loadcnt_dscnt 0x0
	s_barrier_signal -1
	s_barrier_wait -1
	global_inv scope:SCOPE_SE
	v_cmpx_gt_u32_e32 8, v0
	s_cbranch_execz .LBB442_97
; %bb.90:
	v_lshlrev_b32_e32 v12, 3, v0
	s_mov_b32 s3, exec_lo
	ds_load_b64 v[9:10], v12
	s_wait_dscnt 0x0
	v_dual_mov_b32 v14, v9 :: v_dual_and_b32 v13, 7, v31
	v_mov_b32_dpp v16, v9 row_shr:1 row_mask:0xf bank_mask:0xf
	v_mov_b32_dpp v15, v10 row_shr:1 row_mask:0xf bank_mask:0xf
	s_delay_alu instid0(VALU_DEP_3)
	v_cmpx_ne_u32_e32 0, v13
; %bb.91:
	s_delay_alu instid0(VALU_DEP_3) | instskip(SKIP_2) | instid1(VALU_DEP_2)
	v_add_co_u32 v14, vcc_lo, v9, v16
	s_wait_alu 0xfffd
	v_add_co_ci_u32_e64 v10, null, 0, v10, vcc_lo
	v_add_co_u32 v9, vcc_lo, 0, v14
	s_wait_alu 0xfffd
	s_delay_alu instid0(VALU_DEP_2)
	v_add_co_ci_u32_e64 v10, null, v15, v10, vcc_lo
; %bb.92:
	s_wait_alu 0xfffe
	s_or_b32 exec_lo, exec_lo, s3
	v_mov_b32_dpp v16, v14 row_shr:2 row_mask:0xf bank_mask:0xf
	s_delay_alu instid0(VALU_DEP_2)
	v_mov_b32_dpp v15, v10 row_shr:2 row_mask:0xf bank_mask:0xf
	s_mov_b32 s3, exec_lo
	v_cmpx_lt_u32_e32 1, v13
; %bb.93:
	s_delay_alu instid0(VALU_DEP_3) | instskip(SKIP_2) | instid1(VALU_DEP_2)
	v_add_co_u32 v14, vcc_lo, v9, v16
	s_wait_alu 0xfffd
	v_add_co_ci_u32_e64 v10, null, 0, v10, vcc_lo
	v_add_co_u32 v9, vcc_lo, 0, v14
	s_wait_alu 0xfffd
	s_delay_alu instid0(VALU_DEP_2)
	v_add_co_ci_u32_e64 v10, null, v15, v10, vcc_lo
; %bb.94:
	s_wait_alu 0xfffe
	s_or_b32 exec_lo, exec_lo, s3
	v_mov_b32_dpp v15, v14 row_shr:4 row_mask:0xf bank_mask:0xf
	s_delay_alu instid0(VALU_DEP_2)
	v_mov_b32_dpp v14, v10 row_shr:4 row_mask:0xf bank_mask:0xf
	s_mov_b32 s3, exec_lo
	v_cmpx_lt_u32_e32 3, v13
; %bb.95:
	s_delay_alu instid0(VALU_DEP_3) | instskip(SKIP_2) | instid1(VALU_DEP_2)
	v_add_co_u32 v9, vcc_lo, v9, v15
	s_wait_alu 0xfffd
	v_add_co_ci_u32_e64 v10, null, 0, v10, vcc_lo
	v_add_co_u32 v9, vcc_lo, v9, 0
	s_wait_alu 0xfffd
	s_delay_alu instid0(VALU_DEP_2)
	v_add_co_ci_u32_e64 v10, null, v10, v14, vcc_lo
; %bb.96:
	s_wait_alu 0xfffe
	s_or_b32 exec_lo, exec_lo, s3
	ds_store_b64 v12, v[9:10]
.LBB442_97:
	s_wait_alu 0xfffe
	s_or_b32 exec_lo, exec_lo, s2
	v_mov_b32_e32 v13, 0
	v_mov_b32_e32 v14, 0
	s_mov_b32 s2, exec_lo
	s_wait_loadcnt_dscnt 0x0
	s_barrier_signal -1
	s_barrier_wait -1
	global_inv scope:SCOPE_SE
	v_cmpx_lt_u32_e32 31, v0
; %bb.98:
	v_lshl_add_u32 v9, v11, 3, -8
	ds_load_b64 v[13:14], v9
; %bb.99:
	s_wait_alu 0xfffe
	s_or_b32 exec_lo, exec_lo, s2
	v_sub_co_u32 v9, vcc_lo, v31, 1
	v_mov_b32_e32 v12, 0
	s_delay_alu instid0(VALU_DEP_2) | instskip(SKIP_1) | instid1(VALU_DEP_1)
	v_cmp_gt_i32_e64 s2, 0, v9
	s_wait_alu 0xf1ff
	v_cndmask_b32_e64 v9, v9, v31, s2
	s_wait_dscnt 0x0
	v_add_co_u32 v10, s2, v13, v17
	s_wait_alu 0xf1ff
	v_add_co_ci_u32_e64 v11, null, v14, v18, s2
	v_lshlrev_b32_e32 v9, 2, v9
	v_cmp_eq_u32_e64 s2, 0, v0
	ds_bpermute_b32 v15, v9, v10
	ds_bpermute_b32 v16, v9, v11
	ds_load_b64 v[9:10], v12 offset:56
	s_and_saveexec_b32 s3, s2
	s_cbranch_execz .LBB442_101
; %bb.100:
	s_wait_kmcnt 0x0
	s_add_nc_u64 s[4:5], s[6:7], 0x200
	s_wait_alu 0xfffe
	v_dual_mov_b32 v11, 2 :: v_dual_mov_b32 v18, s5
	v_mov_b32_e32 v17, s4
	s_wait_dscnt 0x0
	;;#ASMSTART
	global_store_b128 v[17:18], v[9:12] off scope:SCOPE_DEV	
s_wait_storecnt 0x0
	;;#ASMEND
.LBB442_101:
	s_wait_alu 0xfffe
	s_or_b32 exec_lo, exec_lo, s3
	s_wait_dscnt 0x1
	s_wait_alu 0xfffd
	v_dual_cndmask_b32 v11, v15, v13 :: v_dual_cndmask_b32 v12, v16, v14
	s_wait_loadcnt_dscnt 0x0
	s_barrier_signal -1
	s_barrier_wait -1
	s_delay_alu instid0(VALU_DEP_1)
	v_cndmask_b32_e64 v21, v11, 0, s2
	v_cndmask_b32_e64 v22, v12, 0, s2
	v_mov_b32_e32 v11, 0
	v_mov_b32_e32 v12, 0
	global_inv scope:SCOPE_SE
	v_add_co_u32 v19, vcc_lo, v21, v30
	s_wait_alu 0xfffd
	v_add_co_ci_u32_e64 v20, null, 0, v22, vcc_lo
	s_delay_alu instid0(VALU_DEP_2) | instskip(SKIP_1) | instid1(VALU_DEP_2)
	v_add_co_u32 v13, vcc_lo, v19, v29
	s_wait_alu 0xfffd
	v_add_co_ci_u32_e64 v14, null, 0, v20, vcc_lo
	s_delay_alu instid0(VALU_DEP_2) | instskip(SKIP_1) | instid1(VALU_DEP_2)
	v_add_co_u32 v15, vcc_lo, v13, v28
	s_wait_alu 0xfffd
	v_add_co_ci_u32_e64 v16, null, 0, v14, vcc_lo
.LBB442_102:
	s_load_b64 s[2:3], s[0:1], 0x28
	v_and_b32_e32 v23, 1, v27
	s_wait_dscnt 0x0
	v_cmp_gt_u64_e32 vcc_lo, 0x101, v[9:10]
	s_mov_b32 s1, -1
	s_delay_alu instid0(VALU_DEP_2)
	v_cmp_eq_u32_e64 s0, 1, v23
	s_cbranch_vccnz .LBB442_106
; %bb.103:
	s_wait_alu 0xfffe
	s_and_b32 vcc_lo, exec_lo, s1
	s_wait_alu 0xfffe
	s_cbranch_vccnz .LBB442_115
.LBB442_104:
	v_cmp_eq_u32_e32 vcc_lo, 0, v0
	s_and_b32 s0, vcc_lo, s12
	s_wait_alu 0xfffe
	s_and_saveexec_b32 s1, s0
	s_cbranch_execnz .LBB442_127
.LBB442_105:
	s_endpgm
.LBB442_106:
	v_add_co_u32 v17, vcc_lo, v11, v9
	s_wait_alu 0xfffd
	v_add_co_ci_u32_e64 v18, null, v12, v10, vcc_lo
	s_lshl_b64 s[4:5], s[10:11], 3
	s_wait_kmcnt 0x0
	s_wait_alu 0xfffe
	s_add_nc_u64 s[4:5], s[2:3], s[4:5]
	v_cmp_lt_u64_e32 vcc_lo, v[21:22], v[17:18]
	s_or_b32 s1, s13, vcc_lo
	s_wait_alu 0xfffe
	s_and_b32 s1, s1, s0
	s_wait_alu 0xfffe
	s_and_saveexec_b32 s0, s1
	s_cbranch_execz .LBB442_108
; %bb.107:
	v_lshlrev_b64_e32 v[27:28], 3, v[21:22]
	s_delay_alu instid0(VALU_DEP_1) | instskip(SKIP_1) | instid1(VALU_DEP_2)
	v_add_co_u32 v27, vcc_lo, s4, v27
	s_wait_alu 0xfffd
	v_add_co_ci_u32_e64 v28, null, s5, v28, vcc_lo
	global_store_b64 v[27:28], v[1:2], off
.LBB442_108:
	s_wait_alu 0xfffe
	s_or_b32 exec_lo, exec_lo, s0
	v_and_b32_e32 v22, 1, v26
	v_cmp_lt_u64_e32 vcc_lo, v[19:20], v[17:18]
	s_delay_alu instid0(VALU_DEP_2)
	v_cmp_eq_u32_e64 s0, 1, v22
	s_or_b32 s1, s13, vcc_lo
	s_wait_alu 0xfffe
	s_and_b32 s1, s1, s0
	s_wait_alu 0xfffe
	s_and_saveexec_b32 s0, s1
	s_cbranch_execz .LBB442_110
; %bb.109:
	v_lshlrev_b64_e32 v[27:28], 3, v[19:20]
	s_delay_alu instid0(VALU_DEP_1) | instskip(SKIP_1) | instid1(VALU_DEP_2)
	v_add_co_u32 v27, vcc_lo, s4, v27
	s_wait_alu 0xfffd
	v_add_co_ci_u32_e64 v28, null, s5, v28, vcc_lo
	global_store_b64 v[27:28], v[5:6], off
.LBB442_110:
	s_wait_alu 0xfffe
	s_or_b32 exec_lo, exec_lo, s0
	v_and_b32_e32 v20, 1, v25
	v_cmp_lt_u64_e32 vcc_lo, v[13:14], v[17:18]
	s_delay_alu instid0(VALU_DEP_2)
	v_cmp_eq_u32_e64 s0, 1, v20
	s_or_b32 s1, s13, vcc_lo
	s_wait_alu 0xfffe
	s_and_b32 s1, s1, s0
	s_wait_alu 0xfffe
	s_and_saveexec_b32 s0, s1
	s_cbranch_execz .LBB442_112
; %bb.111:
	v_lshlrev_b64_e32 v[27:28], 3, v[13:14]
	s_delay_alu instid0(VALU_DEP_1) | instskip(SKIP_1) | instid1(VALU_DEP_2)
	v_add_co_u32 v27, vcc_lo, s4, v27
	s_wait_alu 0xfffd
	v_add_co_ci_u32_e64 v28, null, s5, v28, vcc_lo
	global_store_b64 v[27:28], v[7:8], off
.LBB442_112:
	s_wait_alu 0xfffe
	s_or_b32 exec_lo, exec_lo, s0
	v_cmp_lt_u64_e32 vcc_lo, v[15:16], v[17:18]
	s_or_b32 s0, s13, vcc_lo
	s_wait_alu 0xfffe
	s_and_b32 s1, s0, s14
	s_wait_alu 0xfffe
	s_and_saveexec_b32 s0, s1
	s_cbranch_execz .LBB442_114
; %bb.113:
	v_lshlrev_b64_e32 v[16:17], 3, v[15:16]
	s_delay_alu instid0(VALU_DEP_1) | instskip(SKIP_1) | instid1(VALU_DEP_2)
	v_add_co_u32 v16, vcc_lo, s4, v16
	s_wait_alu 0xfffd
	v_add_co_ci_u32_e64 v17, null, s5, v17, vcc_lo
	global_store_b64 v[16:17], v[3:4], off
.LBB442_114:
	s_wait_alu 0xfffe
	s_or_b32 exec_lo, exec_lo, s0
	s_branch .LBB442_104
.LBB442_115:
	s_mov_b32 s0, exec_lo
	v_cmpx_eq_u32_e32 1, v23
; %bb.116:
	v_sub_nc_u32_e32 v14, v21, v11
	s_delay_alu instid0(VALU_DEP_1)
	v_lshlrev_b32_e32 v14, 3, v14
	ds_store_b64 v14, v[1:2]
; %bb.117:
	s_wait_alu 0xfffe
	s_or_b32 exec_lo, exec_lo, s0
	v_and_b32_e32 v1, 1, v26
	s_mov_b32 s0, exec_lo
	s_delay_alu instid0(VALU_DEP_1)
	v_cmpx_eq_u32_e32 1, v1
; %bb.118:
	v_sub_nc_u32_e32 v1, v19, v11
	s_delay_alu instid0(VALU_DEP_1)
	v_lshlrev_b32_e32 v1, 3, v1
	ds_store_b64 v1, v[5:6]
; %bb.119:
	s_wait_alu 0xfffe
	s_or_b32 exec_lo, exec_lo, s0
	v_and_b32_e32 v1, 1, v25
	s_mov_b32 s0, exec_lo
	s_delay_alu instid0(VALU_DEP_1)
	v_cmpx_eq_u32_e32 1, v1
; %bb.120:
	v_sub_nc_u32_e32 v1, v13, v11
	s_delay_alu instid0(VALU_DEP_1)
	v_lshlrev_b32_e32 v1, 3, v1
	ds_store_b64 v1, v[7:8]
; %bb.121:
	s_wait_alu 0xfffe
	s_or_b32 exec_lo, exec_lo, s0
	s_and_saveexec_b32 s0, s14
; %bb.122:
	v_sub_nc_u32_e32 v1, v15, v11
	s_delay_alu instid0(VALU_DEP_1)
	v_lshlrev_b32_e32 v1, 3, v1
	ds_store_b64 v1, v[3:4]
; %bb.123:
	s_wait_alu 0xfffe
	s_or_b32 exec_lo, exec_lo, s0
	v_mov_b32_e32 v3, 0
	s_mov_b32 s1, exec_lo
	s_wait_storecnt 0x0
	s_wait_loadcnt_dscnt 0x0
	s_barrier_signal -1
	s_barrier_wait -1
	v_mov_b32_e32 v1, v3
	global_inv scope:SCOPE_SE
	v_cmpx_gt_u64_e64 v[9:10], v[0:1]
	s_cbranch_execz .LBB442_126
; %bb.124:
	v_lshlrev_b64_e32 v[4:5], 3, v[11:12]
	s_lshl_b64 s[4:5], s[10:11], 3
	v_or_b32_e32 v2, 0x100, v0
	s_wait_kmcnt 0x0
	s_wait_alu 0xfffe
	s_add_nc_u64 s[2:3], s[2:3], s[4:5]
	s_wait_alu 0xfffe
	v_add_co_u32 v6, vcc_lo, s2, v4
	s_wait_alu 0xfffd
	v_add_co_ci_u32_e64 v7, null, s3, v5, vcc_lo
	v_dual_mov_b32 v5, v1 :: v_dual_mov_b32 v4, v0
	s_mov_b32 s2, 0
.LBB442_125:                            ; =>This Inner Loop Header: Depth=1
	s_delay_alu instid0(VALU_DEP_1) | instskip(NEXT) | instid1(VALU_DEP_2)
	v_lshlrev_b32_e32 v1, 3, v4
	v_lshlrev_b64_e32 v[15:16], 3, v[4:5]
	v_dual_mov_b32 v5, v3 :: v_dual_mov_b32 v4, v2
	v_cmp_le_u64_e32 vcc_lo, v[9:10], v[2:3]
	ds_load_b64 v[13:14], v1
	v_add_nc_u32_e32 v2, 0x100, v2
	v_add_co_u32 v15, s0, v6, v15
	s_wait_alu 0xf1ff
	v_add_co_ci_u32_e64 v16, null, v7, v16, s0
	s_wait_alu 0xfffe
	s_or_b32 s2, vcc_lo, s2
	s_wait_dscnt 0x0
	global_store_b64 v[15:16], v[13:14], off
	s_wait_alu 0xfffe
	s_and_not1_b32 exec_lo, exec_lo, s2
	s_cbranch_execnz .LBB442_125
.LBB442_126:
	s_wait_alu 0xfffe
	s_or_b32 exec_lo, exec_lo, s1
	v_cmp_eq_u32_e32 vcc_lo, 0, v0
	s_and_b32 s0, vcc_lo, s12
	s_wait_alu 0xfffe
	s_and_saveexec_b32 s1, s0
	s_cbranch_execz .LBB442_105
.LBB442_127:
	v_add_co_u32 v0, vcc_lo, v11, v9
	s_wait_alu 0xfffd
	v_add_co_ci_u32_e64 v1, null, v12, v10, vcc_lo
	v_mov_b32_e32 v2, 0
	s_delay_alu instid0(VALU_DEP_3) | instskip(SKIP_1) | instid1(VALU_DEP_3)
	v_add_co_u32 v0, vcc_lo, v0, s10
	s_wait_alu 0xfffd
	v_add_co_ci_u32_e64 v1, null, s11, v1, vcc_lo
	global_store_b64 v2, v[0:1], s[8:9]
	s_endpgm
.LBB442_128:
	v_lshlrev_b32_e32 v3, 3, v0
	s_delay_alu instid0(VALU_DEP_1)
	v_add_co_u32 v3, s5, s2, v3
	s_wait_alu 0xf1ff
	v_add_co_ci_u32_e64 v4, null, s3, 0, s5
	flat_load_b64 v[3:4], v[3:4] offset:2048
	s_wait_alu 0xfffe
	s_or_b32 exec_lo, exec_lo, s4
	s_delay_alu instid0(SALU_CYCLE_1)
	s_mov_b32 s4, exec_lo
	v_cmpx_gt_u32_e64 s15, v11
	s_cbranch_execz .LBB442_7
.LBB442_129:
	v_lshlrev_b32_e32 v5, 3, v0
	s_delay_alu instid0(VALU_DEP_1)
	v_add_co_u32 v5, s5, s2, v5
	s_wait_alu 0xf1ff
	v_add_co_ci_u32_e64 v6, null, s3, 0, s5
	flat_load_b64 v[5:6], v[5:6] offset:4096
	s_wait_alu 0xfffe
	s_or_b32 exec_lo, exec_lo, s4
	s_delay_alu instid0(SALU_CYCLE_1)
	s_mov_b32 s4, exec_lo
	v_cmpx_gt_u32_e64 s15, v10
	s_cbranch_execnz .LBB442_8
	s_branch .LBB442_9
	.section	.rodata,"a",@progbits
	.p2align	6, 0x0
	.amdhsa_kernel _ZN7rocprim17ROCPRIM_400000_NS6detail17trampoline_kernelINS0_14default_configENS1_25partition_config_selectorILNS1_17partition_subalgoE6ExNS0_10empty_typeEbEEZZNS1_14partition_implILS5_6ELb0ES3_mN6thrust23THRUST_200600_302600_NS6detail15normal_iteratorINSA_10device_ptrIxEEEEPS6_SG_NS0_5tupleIJSF_S6_EEENSH_IJSG_SG_EEES6_PlJNSB_9not_fun_tINSB_14equal_to_valueIxEEEEEEE10hipError_tPvRmT3_T4_T5_T6_T7_T9_mT8_P12ihipStream_tbDpT10_ENKUlT_T0_E_clISt17integral_constantIbLb0EES18_EEDaS13_S14_EUlS13_E_NS1_11comp_targetILNS1_3genE10ELNS1_11target_archE1200ELNS1_3gpuE4ELNS1_3repE0EEENS1_30default_config_static_selectorELNS0_4arch9wavefront6targetE0EEEvT1_
		.amdhsa_group_segment_fixed_size 8464
		.amdhsa_private_segment_fixed_size 0
		.amdhsa_kernarg_size 120
		.amdhsa_user_sgpr_count 2
		.amdhsa_user_sgpr_dispatch_ptr 0
		.amdhsa_user_sgpr_queue_ptr 0
		.amdhsa_user_sgpr_kernarg_segment_ptr 1
		.amdhsa_user_sgpr_dispatch_id 0
		.amdhsa_user_sgpr_private_segment_size 0
		.amdhsa_wavefront_size32 1
		.amdhsa_uses_dynamic_stack 0
		.amdhsa_enable_private_segment 0
		.amdhsa_system_sgpr_workgroup_id_x 1
		.amdhsa_system_sgpr_workgroup_id_y 0
		.amdhsa_system_sgpr_workgroup_id_z 0
		.amdhsa_system_sgpr_workgroup_info 0
		.amdhsa_system_vgpr_workitem_id 0
		.amdhsa_next_free_vgpr 46
		.amdhsa_next_free_sgpr 22
		.amdhsa_reserve_vcc 1
		.amdhsa_float_round_mode_32 0
		.amdhsa_float_round_mode_16_64 0
		.amdhsa_float_denorm_mode_32 3
		.amdhsa_float_denorm_mode_16_64 3
		.amdhsa_fp16_overflow 0
		.amdhsa_workgroup_processor_mode 1
		.amdhsa_memory_ordered 1
		.amdhsa_forward_progress 1
		.amdhsa_inst_pref_size 50
		.amdhsa_round_robin_scheduling 0
		.amdhsa_exception_fp_ieee_invalid_op 0
		.amdhsa_exception_fp_denorm_src 0
		.amdhsa_exception_fp_ieee_div_zero 0
		.amdhsa_exception_fp_ieee_overflow 0
		.amdhsa_exception_fp_ieee_underflow 0
		.amdhsa_exception_fp_ieee_inexact 0
		.amdhsa_exception_int_div_zero 0
	.end_amdhsa_kernel
	.section	.text._ZN7rocprim17ROCPRIM_400000_NS6detail17trampoline_kernelINS0_14default_configENS1_25partition_config_selectorILNS1_17partition_subalgoE6ExNS0_10empty_typeEbEEZZNS1_14partition_implILS5_6ELb0ES3_mN6thrust23THRUST_200600_302600_NS6detail15normal_iteratorINSA_10device_ptrIxEEEEPS6_SG_NS0_5tupleIJSF_S6_EEENSH_IJSG_SG_EEES6_PlJNSB_9not_fun_tINSB_14equal_to_valueIxEEEEEEE10hipError_tPvRmT3_T4_T5_T6_T7_T9_mT8_P12ihipStream_tbDpT10_ENKUlT_T0_E_clISt17integral_constantIbLb0EES18_EEDaS13_S14_EUlS13_E_NS1_11comp_targetILNS1_3genE10ELNS1_11target_archE1200ELNS1_3gpuE4ELNS1_3repE0EEENS1_30default_config_static_selectorELNS0_4arch9wavefront6targetE0EEEvT1_,"axG",@progbits,_ZN7rocprim17ROCPRIM_400000_NS6detail17trampoline_kernelINS0_14default_configENS1_25partition_config_selectorILNS1_17partition_subalgoE6ExNS0_10empty_typeEbEEZZNS1_14partition_implILS5_6ELb0ES3_mN6thrust23THRUST_200600_302600_NS6detail15normal_iteratorINSA_10device_ptrIxEEEEPS6_SG_NS0_5tupleIJSF_S6_EEENSH_IJSG_SG_EEES6_PlJNSB_9not_fun_tINSB_14equal_to_valueIxEEEEEEE10hipError_tPvRmT3_T4_T5_T6_T7_T9_mT8_P12ihipStream_tbDpT10_ENKUlT_T0_E_clISt17integral_constantIbLb0EES18_EEDaS13_S14_EUlS13_E_NS1_11comp_targetILNS1_3genE10ELNS1_11target_archE1200ELNS1_3gpuE4ELNS1_3repE0EEENS1_30default_config_static_selectorELNS0_4arch9wavefront6targetE0EEEvT1_,comdat
.Lfunc_end442:
	.size	_ZN7rocprim17ROCPRIM_400000_NS6detail17trampoline_kernelINS0_14default_configENS1_25partition_config_selectorILNS1_17partition_subalgoE6ExNS0_10empty_typeEbEEZZNS1_14partition_implILS5_6ELb0ES3_mN6thrust23THRUST_200600_302600_NS6detail15normal_iteratorINSA_10device_ptrIxEEEEPS6_SG_NS0_5tupleIJSF_S6_EEENSH_IJSG_SG_EEES6_PlJNSB_9not_fun_tINSB_14equal_to_valueIxEEEEEEE10hipError_tPvRmT3_T4_T5_T6_T7_T9_mT8_P12ihipStream_tbDpT10_ENKUlT_T0_E_clISt17integral_constantIbLb0EES18_EEDaS13_S14_EUlS13_E_NS1_11comp_targetILNS1_3genE10ELNS1_11target_archE1200ELNS1_3gpuE4ELNS1_3repE0EEENS1_30default_config_static_selectorELNS0_4arch9wavefront6targetE0EEEvT1_, .Lfunc_end442-_ZN7rocprim17ROCPRIM_400000_NS6detail17trampoline_kernelINS0_14default_configENS1_25partition_config_selectorILNS1_17partition_subalgoE6ExNS0_10empty_typeEbEEZZNS1_14partition_implILS5_6ELb0ES3_mN6thrust23THRUST_200600_302600_NS6detail15normal_iteratorINSA_10device_ptrIxEEEEPS6_SG_NS0_5tupleIJSF_S6_EEENSH_IJSG_SG_EEES6_PlJNSB_9not_fun_tINSB_14equal_to_valueIxEEEEEEE10hipError_tPvRmT3_T4_T5_T6_T7_T9_mT8_P12ihipStream_tbDpT10_ENKUlT_T0_E_clISt17integral_constantIbLb0EES18_EEDaS13_S14_EUlS13_E_NS1_11comp_targetILNS1_3genE10ELNS1_11target_archE1200ELNS1_3gpuE4ELNS1_3repE0EEENS1_30default_config_static_selectorELNS0_4arch9wavefront6targetE0EEEvT1_
                                        ; -- End function
	.set _ZN7rocprim17ROCPRIM_400000_NS6detail17trampoline_kernelINS0_14default_configENS1_25partition_config_selectorILNS1_17partition_subalgoE6ExNS0_10empty_typeEbEEZZNS1_14partition_implILS5_6ELb0ES3_mN6thrust23THRUST_200600_302600_NS6detail15normal_iteratorINSA_10device_ptrIxEEEEPS6_SG_NS0_5tupleIJSF_S6_EEENSH_IJSG_SG_EEES6_PlJNSB_9not_fun_tINSB_14equal_to_valueIxEEEEEEE10hipError_tPvRmT3_T4_T5_T6_T7_T9_mT8_P12ihipStream_tbDpT10_ENKUlT_T0_E_clISt17integral_constantIbLb0EES18_EEDaS13_S14_EUlS13_E_NS1_11comp_targetILNS1_3genE10ELNS1_11target_archE1200ELNS1_3gpuE4ELNS1_3repE0EEENS1_30default_config_static_selectorELNS0_4arch9wavefront6targetE0EEEvT1_.num_vgpr, 46
	.set _ZN7rocprim17ROCPRIM_400000_NS6detail17trampoline_kernelINS0_14default_configENS1_25partition_config_selectorILNS1_17partition_subalgoE6ExNS0_10empty_typeEbEEZZNS1_14partition_implILS5_6ELb0ES3_mN6thrust23THRUST_200600_302600_NS6detail15normal_iteratorINSA_10device_ptrIxEEEEPS6_SG_NS0_5tupleIJSF_S6_EEENSH_IJSG_SG_EEES6_PlJNSB_9not_fun_tINSB_14equal_to_valueIxEEEEEEE10hipError_tPvRmT3_T4_T5_T6_T7_T9_mT8_P12ihipStream_tbDpT10_ENKUlT_T0_E_clISt17integral_constantIbLb0EES18_EEDaS13_S14_EUlS13_E_NS1_11comp_targetILNS1_3genE10ELNS1_11target_archE1200ELNS1_3gpuE4ELNS1_3repE0EEENS1_30default_config_static_selectorELNS0_4arch9wavefront6targetE0EEEvT1_.num_agpr, 0
	.set _ZN7rocprim17ROCPRIM_400000_NS6detail17trampoline_kernelINS0_14default_configENS1_25partition_config_selectorILNS1_17partition_subalgoE6ExNS0_10empty_typeEbEEZZNS1_14partition_implILS5_6ELb0ES3_mN6thrust23THRUST_200600_302600_NS6detail15normal_iteratorINSA_10device_ptrIxEEEEPS6_SG_NS0_5tupleIJSF_S6_EEENSH_IJSG_SG_EEES6_PlJNSB_9not_fun_tINSB_14equal_to_valueIxEEEEEEE10hipError_tPvRmT3_T4_T5_T6_T7_T9_mT8_P12ihipStream_tbDpT10_ENKUlT_T0_E_clISt17integral_constantIbLb0EES18_EEDaS13_S14_EUlS13_E_NS1_11comp_targetILNS1_3genE10ELNS1_11target_archE1200ELNS1_3gpuE4ELNS1_3repE0EEENS1_30default_config_static_selectorELNS0_4arch9wavefront6targetE0EEEvT1_.numbered_sgpr, 22
	.set _ZN7rocprim17ROCPRIM_400000_NS6detail17trampoline_kernelINS0_14default_configENS1_25partition_config_selectorILNS1_17partition_subalgoE6ExNS0_10empty_typeEbEEZZNS1_14partition_implILS5_6ELb0ES3_mN6thrust23THRUST_200600_302600_NS6detail15normal_iteratorINSA_10device_ptrIxEEEEPS6_SG_NS0_5tupleIJSF_S6_EEENSH_IJSG_SG_EEES6_PlJNSB_9not_fun_tINSB_14equal_to_valueIxEEEEEEE10hipError_tPvRmT3_T4_T5_T6_T7_T9_mT8_P12ihipStream_tbDpT10_ENKUlT_T0_E_clISt17integral_constantIbLb0EES18_EEDaS13_S14_EUlS13_E_NS1_11comp_targetILNS1_3genE10ELNS1_11target_archE1200ELNS1_3gpuE4ELNS1_3repE0EEENS1_30default_config_static_selectorELNS0_4arch9wavefront6targetE0EEEvT1_.num_named_barrier, 0
	.set _ZN7rocprim17ROCPRIM_400000_NS6detail17trampoline_kernelINS0_14default_configENS1_25partition_config_selectorILNS1_17partition_subalgoE6ExNS0_10empty_typeEbEEZZNS1_14partition_implILS5_6ELb0ES3_mN6thrust23THRUST_200600_302600_NS6detail15normal_iteratorINSA_10device_ptrIxEEEEPS6_SG_NS0_5tupleIJSF_S6_EEENSH_IJSG_SG_EEES6_PlJNSB_9not_fun_tINSB_14equal_to_valueIxEEEEEEE10hipError_tPvRmT3_T4_T5_T6_T7_T9_mT8_P12ihipStream_tbDpT10_ENKUlT_T0_E_clISt17integral_constantIbLb0EES18_EEDaS13_S14_EUlS13_E_NS1_11comp_targetILNS1_3genE10ELNS1_11target_archE1200ELNS1_3gpuE4ELNS1_3repE0EEENS1_30default_config_static_selectorELNS0_4arch9wavefront6targetE0EEEvT1_.private_seg_size, 0
	.set _ZN7rocprim17ROCPRIM_400000_NS6detail17trampoline_kernelINS0_14default_configENS1_25partition_config_selectorILNS1_17partition_subalgoE6ExNS0_10empty_typeEbEEZZNS1_14partition_implILS5_6ELb0ES3_mN6thrust23THRUST_200600_302600_NS6detail15normal_iteratorINSA_10device_ptrIxEEEEPS6_SG_NS0_5tupleIJSF_S6_EEENSH_IJSG_SG_EEES6_PlJNSB_9not_fun_tINSB_14equal_to_valueIxEEEEEEE10hipError_tPvRmT3_T4_T5_T6_T7_T9_mT8_P12ihipStream_tbDpT10_ENKUlT_T0_E_clISt17integral_constantIbLb0EES18_EEDaS13_S14_EUlS13_E_NS1_11comp_targetILNS1_3genE10ELNS1_11target_archE1200ELNS1_3gpuE4ELNS1_3repE0EEENS1_30default_config_static_selectorELNS0_4arch9wavefront6targetE0EEEvT1_.uses_vcc, 1
	.set _ZN7rocprim17ROCPRIM_400000_NS6detail17trampoline_kernelINS0_14default_configENS1_25partition_config_selectorILNS1_17partition_subalgoE6ExNS0_10empty_typeEbEEZZNS1_14partition_implILS5_6ELb0ES3_mN6thrust23THRUST_200600_302600_NS6detail15normal_iteratorINSA_10device_ptrIxEEEEPS6_SG_NS0_5tupleIJSF_S6_EEENSH_IJSG_SG_EEES6_PlJNSB_9not_fun_tINSB_14equal_to_valueIxEEEEEEE10hipError_tPvRmT3_T4_T5_T6_T7_T9_mT8_P12ihipStream_tbDpT10_ENKUlT_T0_E_clISt17integral_constantIbLb0EES18_EEDaS13_S14_EUlS13_E_NS1_11comp_targetILNS1_3genE10ELNS1_11target_archE1200ELNS1_3gpuE4ELNS1_3repE0EEENS1_30default_config_static_selectorELNS0_4arch9wavefront6targetE0EEEvT1_.uses_flat_scratch, 1
	.set _ZN7rocprim17ROCPRIM_400000_NS6detail17trampoline_kernelINS0_14default_configENS1_25partition_config_selectorILNS1_17partition_subalgoE6ExNS0_10empty_typeEbEEZZNS1_14partition_implILS5_6ELb0ES3_mN6thrust23THRUST_200600_302600_NS6detail15normal_iteratorINSA_10device_ptrIxEEEEPS6_SG_NS0_5tupleIJSF_S6_EEENSH_IJSG_SG_EEES6_PlJNSB_9not_fun_tINSB_14equal_to_valueIxEEEEEEE10hipError_tPvRmT3_T4_T5_T6_T7_T9_mT8_P12ihipStream_tbDpT10_ENKUlT_T0_E_clISt17integral_constantIbLb0EES18_EEDaS13_S14_EUlS13_E_NS1_11comp_targetILNS1_3genE10ELNS1_11target_archE1200ELNS1_3gpuE4ELNS1_3repE0EEENS1_30default_config_static_selectorELNS0_4arch9wavefront6targetE0EEEvT1_.has_dyn_sized_stack, 0
	.set _ZN7rocprim17ROCPRIM_400000_NS6detail17trampoline_kernelINS0_14default_configENS1_25partition_config_selectorILNS1_17partition_subalgoE6ExNS0_10empty_typeEbEEZZNS1_14partition_implILS5_6ELb0ES3_mN6thrust23THRUST_200600_302600_NS6detail15normal_iteratorINSA_10device_ptrIxEEEEPS6_SG_NS0_5tupleIJSF_S6_EEENSH_IJSG_SG_EEES6_PlJNSB_9not_fun_tINSB_14equal_to_valueIxEEEEEEE10hipError_tPvRmT3_T4_T5_T6_T7_T9_mT8_P12ihipStream_tbDpT10_ENKUlT_T0_E_clISt17integral_constantIbLb0EES18_EEDaS13_S14_EUlS13_E_NS1_11comp_targetILNS1_3genE10ELNS1_11target_archE1200ELNS1_3gpuE4ELNS1_3repE0EEENS1_30default_config_static_selectorELNS0_4arch9wavefront6targetE0EEEvT1_.has_recursion, 0
	.set _ZN7rocprim17ROCPRIM_400000_NS6detail17trampoline_kernelINS0_14default_configENS1_25partition_config_selectorILNS1_17partition_subalgoE6ExNS0_10empty_typeEbEEZZNS1_14partition_implILS5_6ELb0ES3_mN6thrust23THRUST_200600_302600_NS6detail15normal_iteratorINSA_10device_ptrIxEEEEPS6_SG_NS0_5tupleIJSF_S6_EEENSH_IJSG_SG_EEES6_PlJNSB_9not_fun_tINSB_14equal_to_valueIxEEEEEEE10hipError_tPvRmT3_T4_T5_T6_T7_T9_mT8_P12ihipStream_tbDpT10_ENKUlT_T0_E_clISt17integral_constantIbLb0EES18_EEDaS13_S14_EUlS13_E_NS1_11comp_targetILNS1_3genE10ELNS1_11target_archE1200ELNS1_3gpuE4ELNS1_3repE0EEENS1_30default_config_static_selectorELNS0_4arch9wavefront6targetE0EEEvT1_.has_indirect_call, 0
	.section	.AMDGPU.csdata,"",@progbits
; Kernel info:
; codeLenInByte = 6392
; TotalNumSgprs: 24
; NumVgprs: 46
; ScratchSize: 0
; MemoryBound: 0
; FloatMode: 240
; IeeeMode: 1
; LDSByteSize: 8464 bytes/workgroup (compile time only)
; SGPRBlocks: 0
; VGPRBlocks: 5
; NumSGPRsForWavesPerEU: 24
; NumVGPRsForWavesPerEU: 46
; Occupancy: 16
; WaveLimiterHint : 1
; COMPUTE_PGM_RSRC2:SCRATCH_EN: 0
; COMPUTE_PGM_RSRC2:USER_SGPR: 2
; COMPUTE_PGM_RSRC2:TRAP_HANDLER: 0
; COMPUTE_PGM_RSRC2:TGID_X_EN: 1
; COMPUTE_PGM_RSRC2:TGID_Y_EN: 0
; COMPUTE_PGM_RSRC2:TGID_Z_EN: 0
; COMPUTE_PGM_RSRC2:TIDIG_COMP_CNT: 0
	.section	.text._ZN7rocprim17ROCPRIM_400000_NS6detail17trampoline_kernelINS0_14default_configENS1_25partition_config_selectorILNS1_17partition_subalgoE6ExNS0_10empty_typeEbEEZZNS1_14partition_implILS5_6ELb0ES3_mN6thrust23THRUST_200600_302600_NS6detail15normal_iteratorINSA_10device_ptrIxEEEEPS6_SG_NS0_5tupleIJSF_S6_EEENSH_IJSG_SG_EEES6_PlJNSB_9not_fun_tINSB_14equal_to_valueIxEEEEEEE10hipError_tPvRmT3_T4_T5_T6_T7_T9_mT8_P12ihipStream_tbDpT10_ENKUlT_T0_E_clISt17integral_constantIbLb0EES18_EEDaS13_S14_EUlS13_E_NS1_11comp_targetILNS1_3genE9ELNS1_11target_archE1100ELNS1_3gpuE3ELNS1_3repE0EEENS1_30default_config_static_selectorELNS0_4arch9wavefront6targetE0EEEvT1_,"axG",@progbits,_ZN7rocprim17ROCPRIM_400000_NS6detail17trampoline_kernelINS0_14default_configENS1_25partition_config_selectorILNS1_17partition_subalgoE6ExNS0_10empty_typeEbEEZZNS1_14partition_implILS5_6ELb0ES3_mN6thrust23THRUST_200600_302600_NS6detail15normal_iteratorINSA_10device_ptrIxEEEEPS6_SG_NS0_5tupleIJSF_S6_EEENSH_IJSG_SG_EEES6_PlJNSB_9not_fun_tINSB_14equal_to_valueIxEEEEEEE10hipError_tPvRmT3_T4_T5_T6_T7_T9_mT8_P12ihipStream_tbDpT10_ENKUlT_T0_E_clISt17integral_constantIbLb0EES18_EEDaS13_S14_EUlS13_E_NS1_11comp_targetILNS1_3genE9ELNS1_11target_archE1100ELNS1_3gpuE3ELNS1_3repE0EEENS1_30default_config_static_selectorELNS0_4arch9wavefront6targetE0EEEvT1_,comdat
	.protected	_ZN7rocprim17ROCPRIM_400000_NS6detail17trampoline_kernelINS0_14default_configENS1_25partition_config_selectorILNS1_17partition_subalgoE6ExNS0_10empty_typeEbEEZZNS1_14partition_implILS5_6ELb0ES3_mN6thrust23THRUST_200600_302600_NS6detail15normal_iteratorINSA_10device_ptrIxEEEEPS6_SG_NS0_5tupleIJSF_S6_EEENSH_IJSG_SG_EEES6_PlJNSB_9not_fun_tINSB_14equal_to_valueIxEEEEEEE10hipError_tPvRmT3_T4_T5_T6_T7_T9_mT8_P12ihipStream_tbDpT10_ENKUlT_T0_E_clISt17integral_constantIbLb0EES18_EEDaS13_S14_EUlS13_E_NS1_11comp_targetILNS1_3genE9ELNS1_11target_archE1100ELNS1_3gpuE3ELNS1_3repE0EEENS1_30default_config_static_selectorELNS0_4arch9wavefront6targetE0EEEvT1_ ; -- Begin function _ZN7rocprim17ROCPRIM_400000_NS6detail17trampoline_kernelINS0_14default_configENS1_25partition_config_selectorILNS1_17partition_subalgoE6ExNS0_10empty_typeEbEEZZNS1_14partition_implILS5_6ELb0ES3_mN6thrust23THRUST_200600_302600_NS6detail15normal_iteratorINSA_10device_ptrIxEEEEPS6_SG_NS0_5tupleIJSF_S6_EEENSH_IJSG_SG_EEES6_PlJNSB_9not_fun_tINSB_14equal_to_valueIxEEEEEEE10hipError_tPvRmT3_T4_T5_T6_T7_T9_mT8_P12ihipStream_tbDpT10_ENKUlT_T0_E_clISt17integral_constantIbLb0EES18_EEDaS13_S14_EUlS13_E_NS1_11comp_targetILNS1_3genE9ELNS1_11target_archE1100ELNS1_3gpuE3ELNS1_3repE0EEENS1_30default_config_static_selectorELNS0_4arch9wavefront6targetE0EEEvT1_
	.globl	_ZN7rocprim17ROCPRIM_400000_NS6detail17trampoline_kernelINS0_14default_configENS1_25partition_config_selectorILNS1_17partition_subalgoE6ExNS0_10empty_typeEbEEZZNS1_14partition_implILS5_6ELb0ES3_mN6thrust23THRUST_200600_302600_NS6detail15normal_iteratorINSA_10device_ptrIxEEEEPS6_SG_NS0_5tupleIJSF_S6_EEENSH_IJSG_SG_EEES6_PlJNSB_9not_fun_tINSB_14equal_to_valueIxEEEEEEE10hipError_tPvRmT3_T4_T5_T6_T7_T9_mT8_P12ihipStream_tbDpT10_ENKUlT_T0_E_clISt17integral_constantIbLb0EES18_EEDaS13_S14_EUlS13_E_NS1_11comp_targetILNS1_3genE9ELNS1_11target_archE1100ELNS1_3gpuE3ELNS1_3repE0EEENS1_30default_config_static_selectorELNS0_4arch9wavefront6targetE0EEEvT1_
	.p2align	8
	.type	_ZN7rocprim17ROCPRIM_400000_NS6detail17trampoline_kernelINS0_14default_configENS1_25partition_config_selectorILNS1_17partition_subalgoE6ExNS0_10empty_typeEbEEZZNS1_14partition_implILS5_6ELb0ES3_mN6thrust23THRUST_200600_302600_NS6detail15normal_iteratorINSA_10device_ptrIxEEEEPS6_SG_NS0_5tupleIJSF_S6_EEENSH_IJSG_SG_EEES6_PlJNSB_9not_fun_tINSB_14equal_to_valueIxEEEEEEE10hipError_tPvRmT3_T4_T5_T6_T7_T9_mT8_P12ihipStream_tbDpT10_ENKUlT_T0_E_clISt17integral_constantIbLb0EES18_EEDaS13_S14_EUlS13_E_NS1_11comp_targetILNS1_3genE9ELNS1_11target_archE1100ELNS1_3gpuE3ELNS1_3repE0EEENS1_30default_config_static_selectorELNS0_4arch9wavefront6targetE0EEEvT1_,@function
_ZN7rocprim17ROCPRIM_400000_NS6detail17trampoline_kernelINS0_14default_configENS1_25partition_config_selectorILNS1_17partition_subalgoE6ExNS0_10empty_typeEbEEZZNS1_14partition_implILS5_6ELb0ES3_mN6thrust23THRUST_200600_302600_NS6detail15normal_iteratorINSA_10device_ptrIxEEEEPS6_SG_NS0_5tupleIJSF_S6_EEENSH_IJSG_SG_EEES6_PlJNSB_9not_fun_tINSB_14equal_to_valueIxEEEEEEE10hipError_tPvRmT3_T4_T5_T6_T7_T9_mT8_P12ihipStream_tbDpT10_ENKUlT_T0_E_clISt17integral_constantIbLb0EES18_EEDaS13_S14_EUlS13_E_NS1_11comp_targetILNS1_3genE9ELNS1_11target_archE1100ELNS1_3gpuE3ELNS1_3repE0EEENS1_30default_config_static_selectorELNS0_4arch9wavefront6targetE0EEEvT1_: ; @_ZN7rocprim17ROCPRIM_400000_NS6detail17trampoline_kernelINS0_14default_configENS1_25partition_config_selectorILNS1_17partition_subalgoE6ExNS0_10empty_typeEbEEZZNS1_14partition_implILS5_6ELb0ES3_mN6thrust23THRUST_200600_302600_NS6detail15normal_iteratorINSA_10device_ptrIxEEEEPS6_SG_NS0_5tupleIJSF_S6_EEENSH_IJSG_SG_EEES6_PlJNSB_9not_fun_tINSB_14equal_to_valueIxEEEEEEE10hipError_tPvRmT3_T4_T5_T6_T7_T9_mT8_P12ihipStream_tbDpT10_ENKUlT_T0_E_clISt17integral_constantIbLb0EES18_EEDaS13_S14_EUlS13_E_NS1_11comp_targetILNS1_3genE9ELNS1_11target_archE1100ELNS1_3gpuE3ELNS1_3repE0EEENS1_30default_config_static_selectorELNS0_4arch9wavefront6targetE0EEEvT1_
; %bb.0:
	.section	.rodata,"a",@progbits
	.p2align	6, 0x0
	.amdhsa_kernel _ZN7rocprim17ROCPRIM_400000_NS6detail17trampoline_kernelINS0_14default_configENS1_25partition_config_selectorILNS1_17partition_subalgoE6ExNS0_10empty_typeEbEEZZNS1_14partition_implILS5_6ELb0ES3_mN6thrust23THRUST_200600_302600_NS6detail15normal_iteratorINSA_10device_ptrIxEEEEPS6_SG_NS0_5tupleIJSF_S6_EEENSH_IJSG_SG_EEES6_PlJNSB_9not_fun_tINSB_14equal_to_valueIxEEEEEEE10hipError_tPvRmT3_T4_T5_T6_T7_T9_mT8_P12ihipStream_tbDpT10_ENKUlT_T0_E_clISt17integral_constantIbLb0EES18_EEDaS13_S14_EUlS13_E_NS1_11comp_targetILNS1_3genE9ELNS1_11target_archE1100ELNS1_3gpuE3ELNS1_3repE0EEENS1_30default_config_static_selectorELNS0_4arch9wavefront6targetE0EEEvT1_
		.amdhsa_group_segment_fixed_size 0
		.amdhsa_private_segment_fixed_size 0
		.amdhsa_kernarg_size 120
		.amdhsa_user_sgpr_count 2
		.amdhsa_user_sgpr_dispatch_ptr 0
		.amdhsa_user_sgpr_queue_ptr 0
		.amdhsa_user_sgpr_kernarg_segment_ptr 1
		.amdhsa_user_sgpr_dispatch_id 0
		.amdhsa_user_sgpr_private_segment_size 0
		.amdhsa_wavefront_size32 1
		.amdhsa_uses_dynamic_stack 0
		.amdhsa_enable_private_segment 0
		.amdhsa_system_sgpr_workgroup_id_x 1
		.amdhsa_system_sgpr_workgroup_id_y 0
		.amdhsa_system_sgpr_workgroup_id_z 0
		.amdhsa_system_sgpr_workgroup_info 0
		.amdhsa_system_vgpr_workitem_id 0
		.amdhsa_next_free_vgpr 1
		.amdhsa_next_free_sgpr 1
		.amdhsa_reserve_vcc 0
		.amdhsa_float_round_mode_32 0
		.amdhsa_float_round_mode_16_64 0
		.amdhsa_float_denorm_mode_32 3
		.amdhsa_float_denorm_mode_16_64 3
		.amdhsa_fp16_overflow 0
		.amdhsa_workgroup_processor_mode 1
		.amdhsa_memory_ordered 1
		.amdhsa_forward_progress 1
		.amdhsa_inst_pref_size 0
		.amdhsa_round_robin_scheduling 0
		.amdhsa_exception_fp_ieee_invalid_op 0
		.amdhsa_exception_fp_denorm_src 0
		.amdhsa_exception_fp_ieee_div_zero 0
		.amdhsa_exception_fp_ieee_overflow 0
		.amdhsa_exception_fp_ieee_underflow 0
		.amdhsa_exception_fp_ieee_inexact 0
		.amdhsa_exception_int_div_zero 0
	.end_amdhsa_kernel
	.section	.text._ZN7rocprim17ROCPRIM_400000_NS6detail17trampoline_kernelINS0_14default_configENS1_25partition_config_selectorILNS1_17partition_subalgoE6ExNS0_10empty_typeEbEEZZNS1_14partition_implILS5_6ELb0ES3_mN6thrust23THRUST_200600_302600_NS6detail15normal_iteratorINSA_10device_ptrIxEEEEPS6_SG_NS0_5tupleIJSF_S6_EEENSH_IJSG_SG_EEES6_PlJNSB_9not_fun_tINSB_14equal_to_valueIxEEEEEEE10hipError_tPvRmT3_T4_T5_T6_T7_T9_mT8_P12ihipStream_tbDpT10_ENKUlT_T0_E_clISt17integral_constantIbLb0EES18_EEDaS13_S14_EUlS13_E_NS1_11comp_targetILNS1_3genE9ELNS1_11target_archE1100ELNS1_3gpuE3ELNS1_3repE0EEENS1_30default_config_static_selectorELNS0_4arch9wavefront6targetE0EEEvT1_,"axG",@progbits,_ZN7rocprim17ROCPRIM_400000_NS6detail17trampoline_kernelINS0_14default_configENS1_25partition_config_selectorILNS1_17partition_subalgoE6ExNS0_10empty_typeEbEEZZNS1_14partition_implILS5_6ELb0ES3_mN6thrust23THRUST_200600_302600_NS6detail15normal_iteratorINSA_10device_ptrIxEEEEPS6_SG_NS0_5tupleIJSF_S6_EEENSH_IJSG_SG_EEES6_PlJNSB_9not_fun_tINSB_14equal_to_valueIxEEEEEEE10hipError_tPvRmT3_T4_T5_T6_T7_T9_mT8_P12ihipStream_tbDpT10_ENKUlT_T0_E_clISt17integral_constantIbLb0EES18_EEDaS13_S14_EUlS13_E_NS1_11comp_targetILNS1_3genE9ELNS1_11target_archE1100ELNS1_3gpuE3ELNS1_3repE0EEENS1_30default_config_static_selectorELNS0_4arch9wavefront6targetE0EEEvT1_,comdat
.Lfunc_end443:
	.size	_ZN7rocprim17ROCPRIM_400000_NS6detail17trampoline_kernelINS0_14default_configENS1_25partition_config_selectorILNS1_17partition_subalgoE6ExNS0_10empty_typeEbEEZZNS1_14partition_implILS5_6ELb0ES3_mN6thrust23THRUST_200600_302600_NS6detail15normal_iteratorINSA_10device_ptrIxEEEEPS6_SG_NS0_5tupleIJSF_S6_EEENSH_IJSG_SG_EEES6_PlJNSB_9not_fun_tINSB_14equal_to_valueIxEEEEEEE10hipError_tPvRmT3_T4_T5_T6_T7_T9_mT8_P12ihipStream_tbDpT10_ENKUlT_T0_E_clISt17integral_constantIbLb0EES18_EEDaS13_S14_EUlS13_E_NS1_11comp_targetILNS1_3genE9ELNS1_11target_archE1100ELNS1_3gpuE3ELNS1_3repE0EEENS1_30default_config_static_selectorELNS0_4arch9wavefront6targetE0EEEvT1_, .Lfunc_end443-_ZN7rocprim17ROCPRIM_400000_NS6detail17trampoline_kernelINS0_14default_configENS1_25partition_config_selectorILNS1_17partition_subalgoE6ExNS0_10empty_typeEbEEZZNS1_14partition_implILS5_6ELb0ES3_mN6thrust23THRUST_200600_302600_NS6detail15normal_iteratorINSA_10device_ptrIxEEEEPS6_SG_NS0_5tupleIJSF_S6_EEENSH_IJSG_SG_EEES6_PlJNSB_9not_fun_tINSB_14equal_to_valueIxEEEEEEE10hipError_tPvRmT3_T4_T5_T6_T7_T9_mT8_P12ihipStream_tbDpT10_ENKUlT_T0_E_clISt17integral_constantIbLb0EES18_EEDaS13_S14_EUlS13_E_NS1_11comp_targetILNS1_3genE9ELNS1_11target_archE1100ELNS1_3gpuE3ELNS1_3repE0EEENS1_30default_config_static_selectorELNS0_4arch9wavefront6targetE0EEEvT1_
                                        ; -- End function
	.set _ZN7rocprim17ROCPRIM_400000_NS6detail17trampoline_kernelINS0_14default_configENS1_25partition_config_selectorILNS1_17partition_subalgoE6ExNS0_10empty_typeEbEEZZNS1_14partition_implILS5_6ELb0ES3_mN6thrust23THRUST_200600_302600_NS6detail15normal_iteratorINSA_10device_ptrIxEEEEPS6_SG_NS0_5tupleIJSF_S6_EEENSH_IJSG_SG_EEES6_PlJNSB_9not_fun_tINSB_14equal_to_valueIxEEEEEEE10hipError_tPvRmT3_T4_T5_T6_T7_T9_mT8_P12ihipStream_tbDpT10_ENKUlT_T0_E_clISt17integral_constantIbLb0EES18_EEDaS13_S14_EUlS13_E_NS1_11comp_targetILNS1_3genE9ELNS1_11target_archE1100ELNS1_3gpuE3ELNS1_3repE0EEENS1_30default_config_static_selectorELNS0_4arch9wavefront6targetE0EEEvT1_.num_vgpr, 0
	.set _ZN7rocprim17ROCPRIM_400000_NS6detail17trampoline_kernelINS0_14default_configENS1_25partition_config_selectorILNS1_17partition_subalgoE6ExNS0_10empty_typeEbEEZZNS1_14partition_implILS5_6ELb0ES3_mN6thrust23THRUST_200600_302600_NS6detail15normal_iteratorINSA_10device_ptrIxEEEEPS6_SG_NS0_5tupleIJSF_S6_EEENSH_IJSG_SG_EEES6_PlJNSB_9not_fun_tINSB_14equal_to_valueIxEEEEEEE10hipError_tPvRmT3_T4_T5_T6_T7_T9_mT8_P12ihipStream_tbDpT10_ENKUlT_T0_E_clISt17integral_constantIbLb0EES18_EEDaS13_S14_EUlS13_E_NS1_11comp_targetILNS1_3genE9ELNS1_11target_archE1100ELNS1_3gpuE3ELNS1_3repE0EEENS1_30default_config_static_selectorELNS0_4arch9wavefront6targetE0EEEvT1_.num_agpr, 0
	.set _ZN7rocprim17ROCPRIM_400000_NS6detail17trampoline_kernelINS0_14default_configENS1_25partition_config_selectorILNS1_17partition_subalgoE6ExNS0_10empty_typeEbEEZZNS1_14partition_implILS5_6ELb0ES3_mN6thrust23THRUST_200600_302600_NS6detail15normal_iteratorINSA_10device_ptrIxEEEEPS6_SG_NS0_5tupleIJSF_S6_EEENSH_IJSG_SG_EEES6_PlJNSB_9not_fun_tINSB_14equal_to_valueIxEEEEEEE10hipError_tPvRmT3_T4_T5_T6_T7_T9_mT8_P12ihipStream_tbDpT10_ENKUlT_T0_E_clISt17integral_constantIbLb0EES18_EEDaS13_S14_EUlS13_E_NS1_11comp_targetILNS1_3genE9ELNS1_11target_archE1100ELNS1_3gpuE3ELNS1_3repE0EEENS1_30default_config_static_selectorELNS0_4arch9wavefront6targetE0EEEvT1_.numbered_sgpr, 0
	.set _ZN7rocprim17ROCPRIM_400000_NS6detail17trampoline_kernelINS0_14default_configENS1_25partition_config_selectorILNS1_17partition_subalgoE6ExNS0_10empty_typeEbEEZZNS1_14partition_implILS5_6ELb0ES3_mN6thrust23THRUST_200600_302600_NS6detail15normal_iteratorINSA_10device_ptrIxEEEEPS6_SG_NS0_5tupleIJSF_S6_EEENSH_IJSG_SG_EEES6_PlJNSB_9not_fun_tINSB_14equal_to_valueIxEEEEEEE10hipError_tPvRmT3_T4_T5_T6_T7_T9_mT8_P12ihipStream_tbDpT10_ENKUlT_T0_E_clISt17integral_constantIbLb0EES18_EEDaS13_S14_EUlS13_E_NS1_11comp_targetILNS1_3genE9ELNS1_11target_archE1100ELNS1_3gpuE3ELNS1_3repE0EEENS1_30default_config_static_selectorELNS0_4arch9wavefront6targetE0EEEvT1_.num_named_barrier, 0
	.set _ZN7rocprim17ROCPRIM_400000_NS6detail17trampoline_kernelINS0_14default_configENS1_25partition_config_selectorILNS1_17partition_subalgoE6ExNS0_10empty_typeEbEEZZNS1_14partition_implILS5_6ELb0ES3_mN6thrust23THRUST_200600_302600_NS6detail15normal_iteratorINSA_10device_ptrIxEEEEPS6_SG_NS0_5tupleIJSF_S6_EEENSH_IJSG_SG_EEES6_PlJNSB_9not_fun_tINSB_14equal_to_valueIxEEEEEEE10hipError_tPvRmT3_T4_T5_T6_T7_T9_mT8_P12ihipStream_tbDpT10_ENKUlT_T0_E_clISt17integral_constantIbLb0EES18_EEDaS13_S14_EUlS13_E_NS1_11comp_targetILNS1_3genE9ELNS1_11target_archE1100ELNS1_3gpuE3ELNS1_3repE0EEENS1_30default_config_static_selectorELNS0_4arch9wavefront6targetE0EEEvT1_.private_seg_size, 0
	.set _ZN7rocprim17ROCPRIM_400000_NS6detail17trampoline_kernelINS0_14default_configENS1_25partition_config_selectorILNS1_17partition_subalgoE6ExNS0_10empty_typeEbEEZZNS1_14partition_implILS5_6ELb0ES3_mN6thrust23THRUST_200600_302600_NS6detail15normal_iteratorINSA_10device_ptrIxEEEEPS6_SG_NS0_5tupleIJSF_S6_EEENSH_IJSG_SG_EEES6_PlJNSB_9not_fun_tINSB_14equal_to_valueIxEEEEEEE10hipError_tPvRmT3_T4_T5_T6_T7_T9_mT8_P12ihipStream_tbDpT10_ENKUlT_T0_E_clISt17integral_constantIbLb0EES18_EEDaS13_S14_EUlS13_E_NS1_11comp_targetILNS1_3genE9ELNS1_11target_archE1100ELNS1_3gpuE3ELNS1_3repE0EEENS1_30default_config_static_selectorELNS0_4arch9wavefront6targetE0EEEvT1_.uses_vcc, 0
	.set _ZN7rocprim17ROCPRIM_400000_NS6detail17trampoline_kernelINS0_14default_configENS1_25partition_config_selectorILNS1_17partition_subalgoE6ExNS0_10empty_typeEbEEZZNS1_14partition_implILS5_6ELb0ES3_mN6thrust23THRUST_200600_302600_NS6detail15normal_iteratorINSA_10device_ptrIxEEEEPS6_SG_NS0_5tupleIJSF_S6_EEENSH_IJSG_SG_EEES6_PlJNSB_9not_fun_tINSB_14equal_to_valueIxEEEEEEE10hipError_tPvRmT3_T4_T5_T6_T7_T9_mT8_P12ihipStream_tbDpT10_ENKUlT_T0_E_clISt17integral_constantIbLb0EES18_EEDaS13_S14_EUlS13_E_NS1_11comp_targetILNS1_3genE9ELNS1_11target_archE1100ELNS1_3gpuE3ELNS1_3repE0EEENS1_30default_config_static_selectorELNS0_4arch9wavefront6targetE0EEEvT1_.uses_flat_scratch, 0
	.set _ZN7rocprim17ROCPRIM_400000_NS6detail17trampoline_kernelINS0_14default_configENS1_25partition_config_selectorILNS1_17partition_subalgoE6ExNS0_10empty_typeEbEEZZNS1_14partition_implILS5_6ELb0ES3_mN6thrust23THRUST_200600_302600_NS6detail15normal_iteratorINSA_10device_ptrIxEEEEPS6_SG_NS0_5tupleIJSF_S6_EEENSH_IJSG_SG_EEES6_PlJNSB_9not_fun_tINSB_14equal_to_valueIxEEEEEEE10hipError_tPvRmT3_T4_T5_T6_T7_T9_mT8_P12ihipStream_tbDpT10_ENKUlT_T0_E_clISt17integral_constantIbLb0EES18_EEDaS13_S14_EUlS13_E_NS1_11comp_targetILNS1_3genE9ELNS1_11target_archE1100ELNS1_3gpuE3ELNS1_3repE0EEENS1_30default_config_static_selectorELNS0_4arch9wavefront6targetE0EEEvT1_.has_dyn_sized_stack, 0
	.set _ZN7rocprim17ROCPRIM_400000_NS6detail17trampoline_kernelINS0_14default_configENS1_25partition_config_selectorILNS1_17partition_subalgoE6ExNS0_10empty_typeEbEEZZNS1_14partition_implILS5_6ELb0ES3_mN6thrust23THRUST_200600_302600_NS6detail15normal_iteratorINSA_10device_ptrIxEEEEPS6_SG_NS0_5tupleIJSF_S6_EEENSH_IJSG_SG_EEES6_PlJNSB_9not_fun_tINSB_14equal_to_valueIxEEEEEEE10hipError_tPvRmT3_T4_T5_T6_T7_T9_mT8_P12ihipStream_tbDpT10_ENKUlT_T0_E_clISt17integral_constantIbLb0EES18_EEDaS13_S14_EUlS13_E_NS1_11comp_targetILNS1_3genE9ELNS1_11target_archE1100ELNS1_3gpuE3ELNS1_3repE0EEENS1_30default_config_static_selectorELNS0_4arch9wavefront6targetE0EEEvT1_.has_recursion, 0
	.set _ZN7rocprim17ROCPRIM_400000_NS6detail17trampoline_kernelINS0_14default_configENS1_25partition_config_selectorILNS1_17partition_subalgoE6ExNS0_10empty_typeEbEEZZNS1_14partition_implILS5_6ELb0ES3_mN6thrust23THRUST_200600_302600_NS6detail15normal_iteratorINSA_10device_ptrIxEEEEPS6_SG_NS0_5tupleIJSF_S6_EEENSH_IJSG_SG_EEES6_PlJNSB_9not_fun_tINSB_14equal_to_valueIxEEEEEEE10hipError_tPvRmT3_T4_T5_T6_T7_T9_mT8_P12ihipStream_tbDpT10_ENKUlT_T0_E_clISt17integral_constantIbLb0EES18_EEDaS13_S14_EUlS13_E_NS1_11comp_targetILNS1_3genE9ELNS1_11target_archE1100ELNS1_3gpuE3ELNS1_3repE0EEENS1_30default_config_static_selectorELNS0_4arch9wavefront6targetE0EEEvT1_.has_indirect_call, 0
	.section	.AMDGPU.csdata,"",@progbits
; Kernel info:
; codeLenInByte = 0
; TotalNumSgprs: 0
; NumVgprs: 0
; ScratchSize: 0
; MemoryBound: 0
; FloatMode: 240
; IeeeMode: 1
; LDSByteSize: 0 bytes/workgroup (compile time only)
; SGPRBlocks: 0
; VGPRBlocks: 0
; NumSGPRsForWavesPerEU: 1
; NumVGPRsForWavesPerEU: 1
; Occupancy: 16
; WaveLimiterHint : 0
; COMPUTE_PGM_RSRC2:SCRATCH_EN: 0
; COMPUTE_PGM_RSRC2:USER_SGPR: 2
; COMPUTE_PGM_RSRC2:TRAP_HANDLER: 0
; COMPUTE_PGM_RSRC2:TGID_X_EN: 1
; COMPUTE_PGM_RSRC2:TGID_Y_EN: 0
; COMPUTE_PGM_RSRC2:TGID_Z_EN: 0
; COMPUTE_PGM_RSRC2:TIDIG_COMP_CNT: 0
	.section	.text._ZN7rocprim17ROCPRIM_400000_NS6detail17trampoline_kernelINS0_14default_configENS1_25partition_config_selectorILNS1_17partition_subalgoE6ExNS0_10empty_typeEbEEZZNS1_14partition_implILS5_6ELb0ES3_mN6thrust23THRUST_200600_302600_NS6detail15normal_iteratorINSA_10device_ptrIxEEEEPS6_SG_NS0_5tupleIJSF_S6_EEENSH_IJSG_SG_EEES6_PlJNSB_9not_fun_tINSB_14equal_to_valueIxEEEEEEE10hipError_tPvRmT3_T4_T5_T6_T7_T9_mT8_P12ihipStream_tbDpT10_ENKUlT_T0_E_clISt17integral_constantIbLb0EES18_EEDaS13_S14_EUlS13_E_NS1_11comp_targetILNS1_3genE8ELNS1_11target_archE1030ELNS1_3gpuE2ELNS1_3repE0EEENS1_30default_config_static_selectorELNS0_4arch9wavefront6targetE0EEEvT1_,"axG",@progbits,_ZN7rocprim17ROCPRIM_400000_NS6detail17trampoline_kernelINS0_14default_configENS1_25partition_config_selectorILNS1_17partition_subalgoE6ExNS0_10empty_typeEbEEZZNS1_14partition_implILS5_6ELb0ES3_mN6thrust23THRUST_200600_302600_NS6detail15normal_iteratorINSA_10device_ptrIxEEEEPS6_SG_NS0_5tupleIJSF_S6_EEENSH_IJSG_SG_EEES6_PlJNSB_9not_fun_tINSB_14equal_to_valueIxEEEEEEE10hipError_tPvRmT3_T4_T5_T6_T7_T9_mT8_P12ihipStream_tbDpT10_ENKUlT_T0_E_clISt17integral_constantIbLb0EES18_EEDaS13_S14_EUlS13_E_NS1_11comp_targetILNS1_3genE8ELNS1_11target_archE1030ELNS1_3gpuE2ELNS1_3repE0EEENS1_30default_config_static_selectorELNS0_4arch9wavefront6targetE0EEEvT1_,comdat
	.protected	_ZN7rocprim17ROCPRIM_400000_NS6detail17trampoline_kernelINS0_14default_configENS1_25partition_config_selectorILNS1_17partition_subalgoE6ExNS0_10empty_typeEbEEZZNS1_14partition_implILS5_6ELb0ES3_mN6thrust23THRUST_200600_302600_NS6detail15normal_iteratorINSA_10device_ptrIxEEEEPS6_SG_NS0_5tupleIJSF_S6_EEENSH_IJSG_SG_EEES6_PlJNSB_9not_fun_tINSB_14equal_to_valueIxEEEEEEE10hipError_tPvRmT3_T4_T5_T6_T7_T9_mT8_P12ihipStream_tbDpT10_ENKUlT_T0_E_clISt17integral_constantIbLb0EES18_EEDaS13_S14_EUlS13_E_NS1_11comp_targetILNS1_3genE8ELNS1_11target_archE1030ELNS1_3gpuE2ELNS1_3repE0EEENS1_30default_config_static_selectorELNS0_4arch9wavefront6targetE0EEEvT1_ ; -- Begin function _ZN7rocprim17ROCPRIM_400000_NS6detail17trampoline_kernelINS0_14default_configENS1_25partition_config_selectorILNS1_17partition_subalgoE6ExNS0_10empty_typeEbEEZZNS1_14partition_implILS5_6ELb0ES3_mN6thrust23THRUST_200600_302600_NS6detail15normal_iteratorINSA_10device_ptrIxEEEEPS6_SG_NS0_5tupleIJSF_S6_EEENSH_IJSG_SG_EEES6_PlJNSB_9not_fun_tINSB_14equal_to_valueIxEEEEEEE10hipError_tPvRmT3_T4_T5_T6_T7_T9_mT8_P12ihipStream_tbDpT10_ENKUlT_T0_E_clISt17integral_constantIbLb0EES18_EEDaS13_S14_EUlS13_E_NS1_11comp_targetILNS1_3genE8ELNS1_11target_archE1030ELNS1_3gpuE2ELNS1_3repE0EEENS1_30default_config_static_selectorELNS0_4arch9wavefront6targetE0EEEvT1_
	.globl	_ZN7rocprim17ROCPRIM_400000_NS6detail17trampoline_kernelINS0_14default_configENS1_25partition_config_selectorILNS1_17partition_subalgoE6ExNS0_10empty_typeEbEEZZNS1_14partition_implILS5_6ELb0ES3_mN6thrust23THRUST_200600_302600_NS6detail15normal_iteratorINSA_10device_ptrIxEEEEPS6_SG_NS0_5tupleIJSF_S6_EEENSH_IJSG_SG_EEES6_PlJNSB_9not_fun_tINSB_14equal_to_valueIxEEEEEEE10hipError_tPvRmT3_T4_T5_T6_T7_T9_mT8_P12ihipStream_tbDpT10_ENKUlT_T0_E_clISt17integral_constantIbLb0EES18_EEDaS13_S14_EUlS13_E_NS1_11comp_targetILNS1_3genE8ELNS1_11target_archE1030ELNS1_3gpuE2ELNS1_3repE0EEENS1_30default_config_static_selectorELNS0_4arch9wavefront6targetE0EEEvT1_
	.p2align	8
	.type	_ZN7rocprim17ROCPRIM_400000_NS6detail17trampoline_kernelINS0_14default_configENS1_25partition_config_selectorILNS1_17partition_subalgoE6ExNS0_10empty_typeEbEEZZNS1_14partition_implILS5_6ELb0ES3_mN6thrust23THRUST_200600_302600_NS6detail15normal_iteratorINSA_10device_ptrIxEEEEPS6_SG_NS0_5tupleIJSF_S6_EEENSH_IJSG_SG_EEES6_PlJNSB_9not_fun_tINSB_14equal_to_valueIxEEEEEEE10hipError_tPvRmT3_T4_T5_T6_T7_T9_mT8_P12ihipStream_tbDpT10_ENKUlT_T0_E_clISt17integral_constantIbLb0EES18_EEDaS13_S14_EUlS13_E_NS1_11comp_targetILNS1_3genE8ELNS1_11target_archE1030ELNS1_3gpuE2ELNS1_3repE0EEENS1_30default_config_static_selectorELNS0_4arch9wavefront6targetE0EEEvT1_,@function
_ZN7rocprim17ROCPRIM_400000_NS6detail17trampoline_kernelINS0_14default_configENS1_25partition_config_selectorILNS1_17partition_subalgoE6ExNS0_10empty_typeEbEEZZNS1_14partition_implILS5_6ELb0ES3_mN6thrust23THRUST_200600_302600_NS6detail15normal_iteratorINSA_10device_ptrIxEEEEPS6_SG_NS0_5tupleIJSF_S6_EEENSH_IJSG_SG_EEES6_PlJNSB_9not_fun_tINSB_14equal_to_valueIxEEEEEEE10hipError_tPvRmT3_T4_T5_T6_T7_T9_mT8_P12ihipStream_tbDpT10_ENKUlT_T0_E_clISt17integral_constantIbLb0EES18_EEDaS13_S14_EUlS13_E_NS1_11comp_targetILNS1_3genE8ELNS1_11target_archE1030ELNS1_3gpuE2ELNS1_3repE0EEENS1_30default_config_static_selectorELNS0_4arch9wavefront6targetE0EEEvT1_: ; @_ZN7rocprim17ROCPRIM_400000_NS6detail17trampoline_kernelINS0_14default_configENS1_25partition_config_selectorILNS1_17partition_subalgoE6ExNS0_10empty_typeEbEEZZNS1_14partition_implILS5_6ELb0ES3_mN6thrust23THRUST_200600_302600_NS6detail15normal_iteratorINSA_10device_ptrIxEEEEPS6_SG_NS0_5tupleIJSF_S6_EEENSH_IJSG_SG_EEES6_PlJNSB_9not_fun_tINSB_14equal_to_valueIxEEEEEEE10hipError_tPvRmT3_T4_T5_T6_T7_T9_mT8_P12ihipStream_tbDpT10_ENKUlT_T0_E_clISt17integral_constantIbLb0EES18_EEDaS13_S14_EUlS13_E_NS1_11comp_targetILNS1_3genE8ELNS1_11target_archE1030ELNS1_3gpuE2ELNS1_3repE0EEENS1_30default_config_static_selectorELNS0_4arch9wavefront6targetE0EEEvT1_
; %bb.0:
	.section	.rodata,"a",@progbits
	.p2align	6, 0x0
	.amdhsa_kernel _ZN7rocprim17ROCPRIM_400000_NS6detail17trampoline_kernelINS0_14default_configENS1_25partition_config_selectorILNS1_17partition_subalgoE6ExNS0_10empty_typeEbEEZZNS1_14partition_implILS5_6ELb0ES3_mN6thrust23THRUST_200600_302600_NS6detail15normal_iteratorINSA_10device_ptrIxEEEEPS6_SG_NS0_5tupleIJSF_S6_EEENSH_IJSG_SG_EEES6_PlJNSB_9not_fun_tINSB_14equal_to_valueIxEEEEEEE10hipError_tPvRmT3_T4_T5_T6_T7_T9_mT8_P12ihipStream_tbDpT10_ENKUlT_T0_E_clISt17integral_constantIbLb0EES18_EEDaS13_S14_EUlS13_E_NS1_11comp_targetILNS1_3genE8ELNS1_11target_archE1030ELNS1_3gpuE2ELNS1_3repE0EEENS1_30default_config_static_selectorELNS0_4arch9wavefront6targetE0EEEvT1_
		.amdhsa_group_segment_fixed_size 0
		.amdhsa_private_segment_fixed_size 0
		.amdhsa_kernarg_size 120
		.amdhsa_user_sgpr_count 2
		.amdhsa_user_sgpr_dispatch_ptr 0
		.amdhsa_user_sgpr_queue_ptr 0
		.amdhsa_user_sgpr_kernarg_segment_ptr 1
		.amdhsa_user_sgpr_dispatch_id 0
		.amdhsa_user_sgpr_private_segment_size 0
		.amdhsa_wavefront_size32 1
		.amdhsa_uses_dynamic_stack 0
		.amdhsa_enable_private_segment 0
		.amdhsa_system_sgpr_workgroup_id_x 1
		.amdhsa_system_sgpr_workgroup_id_y 0
		.amdhsa_system_sgpr_workgroup_id_z 0
		.amdhsa_system_sgpr_workgroup_info 0
		.amdhsa_system_vgpr_workitem_id 0
		.amdhsa_next_free_vgpr 1
		.amdhsa_next_free_sgpr 1
		.amdhsa_reserve_vcc 0
		.amdhsa_float_round_mode_32 0
		.amdhsa_float_round_mode_16_64 0
		.amdhsa_float_denorm_mode_32 3
		.amdhsa_float_denorm_mode_16_64 3
		.amdhsa_fp16_overflow 0
		.amdhsa_workgroup_processor_mode 1
		.amdhsa_memory_ordered 1
		.amdhsa_forward_progress 1
		.amdhsa_inst_pref_size 0
		.amdhsa_round_robin_scheduling 0
		.amdhsa_exception_fp_ieee_invalid_op 0
		.amdhsa_exception_fp_denorm_src 0
		.amdhsa_exception_fp_ieee_div_zero 0
		.amdhsa_exception_fp_ieee_overflow 0
		.amdhsa_exception_fp_ieee_underflow 0
		.amdhsa_exception_fp_ieee_inexact 0
		.amdhsa_exception_int_div_zero 0
	.end_amdhsa_kernel
	.section	.text._ZN7rocprim17ROCPRIM_400000_NS6detail17trampoline_kernelINS0_14default_configENS1_25partition_config_selectorILNS1_17partition_subalgoE6ExNS0_10empty_typeEbEEZZNS1_14partition_implILS5_6ELb0ES3_mN6thrust23THRUST_200600_302600_NS6detail15normal_iteratorINSA_10device_ptrIxEEEEPS6_SG_NS0_5tupleIJSF_S6_EEENSH_IJSG_SG_EEES6_PlJNSB_9not_fun_tINSB_14equal_to_valueIxEEEEEEE10hipError_tPvRmT3_T4_T5_T6_T7_T9_mT8_P12ihipStream_tbDpT10_ENKUlT_T0_E_clISt17integral_constantIbLb0EES18_EEDaS13_S14_EUlS13_E_NS1_11comp_targetILNS1_3genE8ELNS1_11target_archE1030ELNS1_3gpuE2ELNS1_3repE0EEENS1_30default_config_static_selectorELNS0_4arch9wavefront6targetE0EEEvT1_,"axG",@progbits,_ZN7rocprim17ROCPRIM_400000_NS6detail17trampoline_kernelINS0_14default_configENS1_25partition_config_selectorILNS1_17partition_subalgoE6ExNS0_10empty_typeEbEEZZNS1_14partition_implILS5_6ELb0ES3_mN6thrust23THRUST_200600_302600_NS6detail15normal_iteratorINSA_10device_ptrIxEEEEPS6_SG_NS0_5tupleIJSF_S6_EEENSH_IJSG_SG_EEES6_PlJNSB_9not_fun_tINSB_14equal_to_valueIxEEEEEEE10hipError_tPvRmT3_T4_T5_T6_T7_T9_mT8_P12ihipStream_tbDpT10_ENKUlT_T0_E_clISt17integral_constantIbLb0EES18_EEDaS13_S14_EUlS13_E_NS1_11comp_targetILNS1_3genE8ELNS1_11target_archE1030ELNS1_3gpuE2ELNS1_3repE0EEENS1_30default_config_static_selectorELNS0_4arch9wavefront6targetE0EEEvT1_,comdat
.Lfunc_end444:
	.size	_ZN7rocprim17ROCPRIM_400000_NS6detail17trampoline_kernelINS0_14default_configENS1_25partition_config_selectorILNS1_17partition_subalgoE6ExNS0_10empty_typeEbEEZZNS1_14partition_implILS5_6ELb0ES3_mN6thrust23THRUST_200600_302600_NS6detail15normal_iteratorINSA_10device_ptrIxEEEEPS6_SG_NS0_5tupleIJSF_S6_EEENSH_IJSG_SG_EEES6_PlJNSB_9not_fun_tINSB_14equal_to_valueIxEEEEEEE10hipError_tPvRmT3_T4_T5_T6_T7_T9_mT8_P12ihipStream_tbDpT10_ENKUlT_T0_E_clISt17integral_constantIbLb0EES18_EEDaS13_S14_EUlS13_E_NS1_11comp_targetILNS1_3genE8ELNS1_11target_archE1030ELNS1_3gpuE2ELNS1_3repE0EEENS1_30default_config_static_selectorELNS0_4arch9wavefront6targetE0EEEvT1_, .Lfunc_end444-_ZN7rocprim17ROCPRIM_400000_NS6detail17trampoline_kernelINS0_14default_configENS1_25partition_config_selectorILNS1_17partition_subalgoE6ExNS0_10empty_typeEbEEZZNS1_14partition_implILS5_6ELb0ES3_mN6thrust23THRUST_200600_302600_NS6detail15normal_iteratorINSA_10device_ptrIxEEEEPS6_SG_NS0_5tupleIJSF_S6_EEENSH_IJSG_SG_EEES6_PlJNSB_9not_fun_tINSB_14equal_to_valueIxEEEEEEE10hipError_tPvRmT3_T4_T5_T6_T7_T9_mT8_P12ihipStream_tbDpT10_ENKUlT_T0_E_clISt17integral_constantIbLb0EES18_EEDaS13_S14_EUlS13_E_NS1_11comp_targetILNS1_3genE8ELNS1_11target_archE1030ELNS1_3gpuE2ELNS1_3repE0EEENS1_30default_config_static_selectorELNS0_4arch9wavefront6targetE0EEEvT1_
                                        ; -- End function
	.set _ZN7rocprim17ROCPRIM_400000_NS6detail17trampoline_kernelINS0_14default_configENS1_25partition_config_selectorILNS1_17partition_subalgoE6ExNS0_10empty_typeEbEEZZNS1_14partition_implILS5_6ELb0ES3_mN6thrust23THRUST_200600_302600_NS6detail15normal_iteratorINSA_10device_ptrIxEEEEPS6_SG_NS0_5tupleIJSF_S6_EEENSH_IJSG_SG_EEES6_PlJNSB_9not_fun_tINSB_14equal_to_valueIxEEEEEEE10hipError_tPvRmT3_T4_T5_T6_T7_T9_mT8_P12ihipStream_tbDpT10_ENKUlT_T0_E_clISt17integral_constantIbLb0EES18_EEDaS13_S14_EUlS13_E_NS1_11comp_targetILNS1_3genE8ELNS1_11target_archE1030ELNS1_3gpuE2ELNS1_3repE0EEENS1_30default_config_static_selectorELNS0_4arch9wavefront6targetE0EEEvT1_.num_vgpr, 0
	.set _ZN7rocprim17ROCPRIM_400000_NS6detail17trampoline_kernelINS0_14default_configENS1_25partition_config_selectorILNS1_17partition_subalgoE6ExNS0_10empty_typeEbEEZZNS1_14partition_implILS5_6ELb0ES3_mN6thrust23THRUST_200600_302600_NS6detail15normal_iteratorINSA_10device_ptrIxEEEEPS6_SG_NS0_5tupleIJSF_S6_EEENSH_IJSG_SG_EEES6_PlJNSB_9not_fun_tINSB_14equal_to_valueIxEEEEEEE10hipError_tPvRmT3_T4_T5_T6_T7_T9_mT8_P12ihipStream_tbDpT10_ENKUlT_T0_E_clISt17integral_constantIbLb0EES18_EEDaS13_S14_EUlS13_E_NS1_11comp_targetILNS1_3genE8ELNS1_11target_archE1030ELNS1_3gpuE2ELNS1_3repE0EEENS1_30default_config_static_selectorELNS0_4arch9wavefront6targetE0EEEvT1_.num_agpr, 0
	.set _ZN7rocprim17ROCPRIM_400000_NS6detail17trampoline_kernelINS0_14default_configENS1_25partition_config_selectorILNS1_17partition_subalgoE6ExNS0_10empty_typeEbEEZZNS1_14partition_implILS5_6ELb0ES3_mN6thrust23THRUST_200600_302600_NS6detail15normal_iteratorINSA_10device_ptrIxEEEEPS6_SG_NS0_5tupleIJSF_S6_EEENSH_IJSG_SG_EEES6_PlJNSB_9not_fun_tINSB_14equal_to_valueIxEEEEEEE10hipError_tPvRmT3_T4_T5_T6_T7_T9_mT8_P12ihipStream_tbDpT10_ENKUlT_T0_E_clISt17integral_constantIbLb0EES18_EEDaS13_S14_EUlS13_E_NS1_11comp_targetILNS1_3genE8ELNS1_11target_archE1030ELNS1_3gpuE2ELNS1_3repE0EEENS1_30default_config_static_selectorELNS0_4arch9wavefront6targetE0EEEvT1_.numbered_sgpr, 0
	.set _ZN7rocprim17ROCPRIM_400000_NS6detail17trampoline_kernelINS0_14default_configENS1_25partition_config_selectorILNS1_17partition_subalgoE6ExNS0_10empty_typeEbEEZZNS1_14partition_implILS5_6ELb0ES3_mN6thrust23THRUST_200600_302600_NS6detail15normal_iteratorINSA_10device_ptrIxEEEEPS6_SG_NS0_5tupleIJSF_S6_EEENSH_IJSG_SG_EEES6_PlJNSB_9not_fun_tINSB_14equal_to_valueIxEEEEEEE10hipError_tPvRmT3_T4_T5_T6_T7_T9_mT8_P12ihipStream_tbDpT10_ENKUlT_T0_E_clISt17integral_constantIbLb0EES18_EEDaS13_S14_EUlS13_E_NS1_11comp_targetILNS1_3genE8ELNS1_11target_archE1030ELNS1_3gpuE2ELNS1_3repE0EEENS1_30default_config_static_selectorELNS0_4arch9wavefront6targetE0EEEvT1_.num_named_barrier, 0
	.set _ZN7rocprim17ROCPRIM_400000_NS6detail17trampoline_kernelINS0_14default_configENS1_25partition_config_selectorILNS1_17partition_subalgoE6ExNS0_10empty_typeEbEEZZNS1_14partition_implILS5_6ELb0ES3_mN6thrust23THRUST_200600_302600_NS6detail15normal_iteratorINSA_10device_ptrIxEEEEPS6_SG_NS0_5tupleIJSF_S6_EEENSH_IJSG_SG_EEES6_PlJNSB_9not_fun_tINSB_14equal_to_valueIxEEEEEEE10hipError_tPvRmT3_T4_T5_T6_T7_T9_mT8_P12ihipStream_tbDpT10_ENKUlT_T0_E_clISt17integral_constantIbLb0EES18_EEDaS13_S14_EUlS13_E_NS1_11comp_targetILNS1_3genE8ELNS1_11target_archE1030ELNS1_3gpuE2ELNS1_3repE0EEENS1_30default_config_static_selectorELNS0_4arch9wavefront6targetE0EEEvT1_.private_seg_size, 0
	.set _ZN7rocprim17ROCPRIM_400000_NS6detail17trampoline_kernelINS0_14default_configENS1_25partition_config_selectorILNS1_17partition_subalgoE6ExNS0_10empty_typeEbEEZZNS1_14partition_implILS5_6ELb0ES3_mN6thrust23THRUST_200600_302600_NS6detail15normal_iteratorINSA_10device_ptrIxEEEEPS6_SG_NS0_5tupleIJSF_S6_EEENSH_IJSG_SG_EEES6_PlJNSB_9not_fun_tINSB_14equal_to_valueIxEEEEEEE10hipError_tPvRmT3_T4_T5_T6_T7_T9_mT8_P12ihipStream_tbDpT10_ENKUlT_T0_E_clISt17integral_constantIbLb0EES18_EEDaS13_S14_EUlS13_E_NS1_11comp_targetILNS1_3genE8ELNS1_11target_archE1030ELNS1_3gpuE2ELNS1_3repE0EEENS1_30default_config_static_selectorELNS0_4arch9wavefront6targetE0EEEvT1_.uses_vcc, 0
	.set _ZN7rocprim17ROCPRIM_400000_NS6detail17trampoline_kernelINS0_14default_configENS1_25partition_config_selectorILNS1_17partition_subalgoE6ExNS0_10empty_typeEbEEZZNS1_14partition_implILS5_6ELb0ES3_mN6thrust23THRUST_200600_302600_NS6detail15normal_iteratorINSA_10device_ptrIxEEEEPS6_SG_NS0_5tupleIJSF_S6_EEENSH_IJSG_SG_EEES6_PlJNSB_9not_fun_tINSB_14equal_to_valueIxEEEEEEE10hipError_tPvRmT3_T4_T5_T6_T7_T9_mT8_P12ihipStream_tbDpT10_ENKUlT_T0_E_clISt17integral_constantIbLb0EES18_EEDaS13_S14_EUlS13_E_NS1_11comp_targetILNS1_3genE8ELNS1_11target_archE1030ELNS1_3gpuE2ELNS1_3repE0EEENS1_30default_config_static_selectorELNS0_4arch9wavefront6targetE0EEEvT1_.uses_flat_scratch, 0
	.set _ZN7rocprim17ROCPRIM_400000_NS6detail17trampoline_kernelINS0_14default_configENS1_25partition_config_selectorILNS1_17partition_subalgoE6ExNS0_10empty_typeEbEEZZNS1_14partition_implILS5_6ELb0ES3_mN6thrust23THRUST_200600_302600_NS6detail15normal_iteratorINSA_10device_ptrIxEEEEPS6_SG_NS0_5tupleIJSF_S6_EEENSH_IJSG_SG_EEES6_PlJNSB_9not_fun_tINSB_14equal_to_valueIxEEEEEEE10hipError_tPvRmT3_T4_T5_T6_T7_T9_mT8_P12ihipStream_tbDpT10_ENKUlT_T0_E_clISt17integral_constantIbLb0EES18_EEDaS13_S14_EUlS13_E_NS1_11comp_targetILNS1_3genE8ELNS1_11target_archE1030ELNS1_3gpuE2ELNS1_3repE0EEENS1_30default_config_static_selectorELNS0_4arch9wavefront6targetE0EEEvT1_.has_dyn_sized_stack, 0
	.set _ZN7rocprim17ROCPRIM_400000_NS6detail17trampoline_kernelINS0_14default_configENS1_25partition_config_selectorILNS1_17partition_subalgoE6ExNS0_10empty_typeEbEEZZNS1_14partition_implILS5_6ELb0ES3_mN6thrust23THRUST_200600_302600_NS6detail15normal_iteratorINSA_10device_ptrIxEEEEPS6_SG_NS0_5tupleIJSF_S6_EEENSH_IJSG_SG_EEES6_PlJNSB_9not_fun_tINSB_14equal_to_valueIxEEEEEEE10hipError_tPvRmT3_T4_T5_T6_T7_T9_mT8_P12ihipStream_tbDpT10_ENKUlT_T0_E_clISt17integral_constantIbLb0EES18_EEDaS13_S14_EUlS13_E_NS1_11comp_targetILNS1_3genE8ELNS1_11target_archE1030ELNS1_3gpuE2ELNS1_3repE0EEENS1_30default_config_static_selectorELNS0_4arch9wavefront6targetE0EEEvT1_.has_recursion, 0
	.set _ZN7rocprim17ROCPRIM_400000_NS6detail17trampoline_kernelINS0_14default_configENS1_25partition_config_selectorILNS1_17partition_subalgoE6ExNS0_10empty_typeEbEEZZNS1_14partition_implILS5_6ELb0ES3_mN6thrust23THRUST_200600_302600_NS6detail15normal_iteratorINSA_10device_ptrIxEEEEPS6_SG_NS0_5tupleIJSF_S6_EEENSH_IJSG_SG_EEES6_PlJNSB_9not_fun_tINSB_14equal_to_valueIxEEEEEEE10hipError_tPvRmT3_T4_T5_T6_T7_T9_mT8_P12ihipStream_tbDpT10_ENKUlT_T0_E_clISt17integral_constantIbLb0EES18_EEDaS13_S14_EUlS13_E_NS1_11comp_targetILNS1_3genE8ELNS1_11target_archE1030ELNS1_3gpuE2ELNS1_3repE0EEENS1_30default_config_static_selectorELNS0_4arch9wavefront6targetE0EEEvT1_.has_indirect_call, 0
	.section	.AMDGPU.csdata,"",@progbits
; Kernel info:
; codeLenInByte = 0
; TotalNumSgprs: 0
; NumVgprs: 0
; ScratchSize: 0
; MemoryBound: 0
; FloatMode: 240
; IeeeMode: 1
; LDSByteSize: 0 bytes/workgroup (compile time only)
; SGPRBlocks: 0
; VGPRBlocks: 0
; NumSGPRsForWavesPerEU: 1
; NumVGPRsForWavesPerEU: 1
; Occupancy: 16
; WaveLimiterHint : 0
; COMPUTE_PGM_RSRC2:SCRATCH_EN: 0
; COMPUTE_PGM_RSRC2:USER_SGPR: 2
; COMPUTE_PGM_RSRC2:TRAP_HANDLER: 0
; COMPUTE_PGM_RSRC2:TGID_X_EN: 1
; COMPUTE_PGM_RSRC2:TGID_Y_EN: 0
; COMPUTE_PGM_RSRC2:TGID_Z_EN: 0
; COMPUTE_PGM_RSRC2:TIDIG_COMP_CNT: 0
	.section	.text._ZN7rocprim17ROCPRIM_400000_NS6detail17trampoline_kernelINS0_14default_configENS1_25partition_config_selectorILNS1_17partition_subalgoE6ExNS0_10empty_typeEbEEZZNS1_14partition_implILS5_6ELb0ES3_mN6thrust23THRUST_200600_302600_NS6detail15normal_iteratorINSA_10device_ptrIxEEEEPS6_SG_NS0_5tupleIJSF_S6_EEENSH_IJSG_SG_EEES6_PlJNSB_9not_fun_tINSB_14equal_to_valueIxEEEEEEE10hipError_tPvRmT3_T4_T5_T6_T7_T9_mT8_P12ihipStream_tbDpT10_ENKUlT_T0_E_clISt17integral_constantIbLb1EES18_EEDaS13_S14_EUlS13_E_NS1_11comp_targetILNS1_3genE0ELNS1_11target_archE4294967295ELNS1_3gpuE0ELNS1_3repE0EEENS1_30default_config_static_selectorELNS0_4arch9wavefront6targetE0EEEvT1_,"axG",@progbits,_ZN7rocprim17ROCPRIM_400000_NS6detail17trampoline_kernelINS0_14default_configENS1_25partition_config_selectorILNS1_17partition_subalgoE6ExNS0_10empty_typeEbEEZZNS1_14partition_implILS5_6ELb0ES3_mN6thrust23THRUST_200600_302600_NS6detail15normal_iteratorINSA_10device_ptrIxEEEEPS6_SG_NS0_5tupleIJSF_S6_EEENSH_IJSG_SG_EEES6_PlJNSB_9not_fun_tINSB_14equal_to_valueIxEEEEEEE10hipError_tPvRmT3_T4_T5_T6_T7_T9_mT8_P12ihipStream_tbDpT10_ENKUlT_T0_E_clISt17integral_constantIbLb1EES18_EEDaS13_S14_EUlS13_E_NS1_11comp_targetILNS1_3genE0ELNS1_11target_archE4294967295ELNS1_3gpuE0ELNS1_3repE0EEENS1_30default_config_static_selectorELNS0_4arch9wavefront6targetE0EEEvT1_,comdat
	.protected	_ZN7rocprim17ROCPRIM_400000_NS6detail17trampoline_kernelINS0_14default_configENS1_25partition_config_selectorILNS1_17partition_subalgoE6ExNS0_10empty_typeEbEEZZNS1_14partition_implILS5_6ELb0ES3_mN6thrust23THRUST_200600_302600_NS6detail15normal_iteratorINSA_10device_ptrIxEEEEPS6_SG_NS0_5tupleIJSF_S6_EEENSH_IJSG_SG_EEES6_PlJNSB_9not_fun_tINSB_14equal_to_valueIxEEEEEEE10hipError_tPvRmT3_T4_T5_T6_T7_T9_mT8_P12ihipStream_tbDpT10_ENKUlT_T0_E_clISt17integral_constantIbLb1EES18_EEDaS13_S14_EUlS13_E_NS1_11comp_targetILNS1_3genE0ELNS1_11target_archE4294967295ELNS1_3gpuE0ELNS1_3repE0EEENS1_30default_config_static_selectorELNS0_4arch9wavefront6targetE0EEEvT1_ ; -- Begin function _ZN7rocprim17ROCPRIM_400000_NS6detail17trampoline_kernelINS0_14default_configENS1_25partition_config_selectorILNS1_17partition_subalgoE6ExNS0_10empty_typeEbEEZZNS1_14partition_implILS5_6ELb0ES3_mN6thrust23THRUST_200600_302600_NS6detail15normal_iteratorINSA_10device_ptrIxEEEEPS6_SG_NS0_5tupleIJSF_S6_EEENSH_IJSG_SG_EEES6_PlJNSB_9not_fun_tINSB_14equal_to_valueIxEEEEEEE10hipError_tPvRmT3_T4_T5_T6_T7_T9_mT8_P12ihipStream_tbDpT10_ENKUlT_T0_E_clISt17integral_constantIbLb1EES18_EEDaS13_S14_EUlS13_E_NS1_11comp_targetILNS1_3genE0ELNS1_11target_archE4294967295ELNS1_3gpuE0ELNS1_3repE0EEENS1_30default_config_static_selectorELNS0_4arch9wavefront6targetE0EEEvT1_
	.globl	_ZN7rocprim17ROCPRIM_400000_NS6detail17trampoline_kernelINS0_14default_configENS1_25partition_config_selectorILNS1_17partition_subalgoE6ExNS0_10empty_typeEbEEZZNS1_14partition_implILS5_6ELb0ES3_mN6thrust23THRUST_200600_302600_NS6detail15normal_iteratorINSA_10device_ptrIxEEEEPS6_SG_NS0_5tupleIJSF_S6_EEENSH_IJSG_SG_EEES6_PlJNSB_9not_fun_tINSB_14equal_to_valueIxEEEEEEE10hipError_tPvRmT3_T4_T5_T6_T7_T9_mT8_P12ihipStream_tbDpT10_ENKUlT_T0_E_clISt17integral_constantIbLb1EES18_EEDaS13_S14_EUlS13_E_NS1_11comp_targetILNS1_3genE0ELNS1_11target_archE4294967295ELNS1_3gpuE0ELNS1_3repE0EEENS1_30default_config_static_selectorELNS0_4arch9wavefront6targetE0EEEvT1_
	.p2align	8
	.type	_ZN7rocprim17ROCPRIM_400000_NS6detail17trampoline_kernelINS0_14default_configENS1_25partition_config_selectorILNS1_17partition_subalgoE6ExNS0_10empty_typeEbEEZZNS1_14partition_implILS5_6ELb0ES3_mN6thrust23THRUST_200600_302600_NS6detail15normal_iteratorINSA_10device_ptrIxEEEEPS6_SG_NS0_5tupleIJSF_S6_EEENSH_IJSG_SG_EEES6_PlJNSB_9not_fun_tINSB_14equal_to_valueIxEEEEEEE10hipError_tPvRmT3_T4_T5_T6_T7_T9_mT8_P12ihipStream_tbDpT10_ENKUlT_T0_E_clISt17integral_constantIbLb1EES18_EEDaS13_S14_EUlS13_E_NS1_11comp_targetILNS1_3genE0ELNS1_11target_archE4294967295ELNS1_3gpuE0ELNS1_3repE0EEENS1_30default_config_static_selectorELNS0_4arch9wavefront6targetE0EEEvT1_,@function
_ZN7rocprim17ROCPRIM_400000_NS6detail17trampoline_kernelINS0_14default_configENS1_25partition_config_selectorILNS1_17partition_subalgoE6ExNS0_10empty_typeEbEEZZNS1_14partition_implILS5_6ELb0ES3_mN6thrust23THRUST_200600_302600_NS6detail15normal_iteratorINSA_10device_ptrIxEEEEPS6_SG_NS0_5tupleIJSF_S6_EEENSH_IJSG_SG_EEES6_PlJNSB_9not_fun_tINSB_14equal_to_valueIxEEEEEEE10hipError_tPvRmT3_T4_T5_T6_T7_T9_mT8_P12ihipStream_tbDpT10_ENKUlT_T0_E_clISt17integral_constantIbLb1EES18_EEDaS13_S14_EUlS13_E_NS1_11comp_targetILNS1_3genE0ELNS1_11target_archE4294967295ELNS1_3gpuE0ELNS1_3repE0EEENS1_30default_config_static_selectorELNS0_4arch9wavefront6targetE0EEEvT1_: ; @_ZN7rocprim17ROCPRIM_400000_NS6detail17trampoline_kernelINS0_14default_configENS1_25partition_config_selectorILNS1_17partition_subalgoE6ExNS0_10empty_typeEbEEZZNS1_14partition_implILS5_6ELb0ES3_mN6thrust23THRUST_200600_302600_NS6detail15normal_iteratorINSA_10device_ptrIxEEEEPS6_SG_NS0_5tupleIJSF_S6_EEENSH_IJSG_SG_EEES6_PlJNSB_9not_fun_tINSB_14equal_to_valueIxEEEEEEE10hipError_tPvRmT3_T4_T5_T6_T7_T9_mT8_P12ihipStream_tbDpT10_ENKUlT_T0_E_clISt17integral_constantIbLb1EES18_EEDaS13_S14_EUlS13_E_NS1_11comp_targetILNS1_3genE0ELNS1_11target_archE4294967295ELNS1_3gpuE0ELNS1_3repE0EEENS1_30default_config_static_selectorELNS0_4arch9wavefront6targetE0EEEvT1_
; %bb.0:
	.section	.rodata,"a",@progbits
	.p2align	6, 0x0
	.amdhsa_kernel _ZN7rocprim17ROCPRIM_400000_NS6detail17trampoline_kernelINS0_14default_configENS1_25partition_config_selectorILNS1_17partition_subalgoE6ExNS0_10empty_typeEbEEZZNS1_14partition_implILS5_6ELb0ES3_mN6thrust23THRUST_200600_302600_NS6detail15normal_iteratorINSA_10device_ptrIxEEEEPS6_SG_NS0_5tupleIJSF_S6_EEENSH_IJSG_SG_EEES6_PlJNSB_9not_fun_tINSB_14equal_to_valueIxEEEEEEE10hipError_tPvRmT3_T4_T5_T6_T7_T9_mT8_P12ihipStream_tbDpT10_ENKUlT_T0_E_clISt17integral_constantIbLb1EES18_EEDaS13_S14_EUlS13_E_NS1_11comp_targetILNS1_3genE0ELNS1_11target_archE4294967295ELNS1_3gpuE0ELNS1_3repE0EEENS1_30default_config_static_selectorELNS0_4arch9wavefront6targetE0EEEvT1_
		.amdhsa_group_segment_fixed_size 0
		.amdhsa_private_segment_fixed_size 0
		.amdhsa_kernarg_size 128
		.amdhsa_user_sgpr_count 2
		.amdhsa_user_sgpr_dispatch_ptr 0
		.amdhsa_user_sgpr_queue_ptr 0
		.amdhsa_user_sgpr_kernarg_segment_ptr 1
		.amdhsa_user_sgpr_dispatch_id 0
		.amdhsa_user_sgpr_private_segment_size 0
		.amdhsa_wavefront_size32 1
		.amdhsa_uses_dynamic_stack 0
		.amdhsa_enable_private_segment 0
		.amdhsa_system_sgpr_workgroup_id_x 1
		.amdhsa_system_sgpr_workgroup_id_y 0
		.amdhsa_system_sgpr_workgroup_id_z 0
		.amdhsa_system_sgpr_workgroup_info 0
		.amdhsa_system_vgpr_workitem_id 0
		.amdhsa_next_free_vgpr 1
		.amdhsa_next_free_sgpr 1
		.amdhsa_reserve_vcc 0
		.amdhsa_float_round_mode_32 0
		.amdhsa_float_round_mode_16_64 0
		.amdhsa_float_denorm_mode_32 3
		.amdhsa_float_denorm_mode_16_64 3
		.amdhsa_fp16_overflow 0
		.amdhsa_workgroup_processor_mode 1
		.amdhsa_memory_ordered 1
		.amdhsa_forward_progress 1
		.amdhsa_inst_pref_size 0
		.amdhsa_round_robin_scheduling 0
		.amdhsa_exception_fp_ieee_invalid_op 0
		.amdhsa_exception_fp_denorm_src 0
		.amdhsa_exception_fp_ieee_div_zero 0
		.amdhsa_exception_fp_ieee_overflow 0
		.amdhsa_exception_fp_ieee_underflow 0
		.amdhsa_exception_fp_ieee_inexact 0
		.amdhsa_exception_int_div_zero 0
	.end_amdhsa_kernel
	.section	.text._ZN7rocprim17ROCPRIM_400000_NS6detail17trampoline_kernelINS0_14default_configENS1_25partition_config_selectorILNS1_17partition_subalgoE6ExNS0_10empty_typeEbEEZZNS1_14partition_implILS5_6ELb0ES3_mN6thrust23THRUST_200600_302600_NS6detail15normal_iteratorINSA_10device_ptrIxEEEEPS6_SG_NS0_5tupleIJSF_S6_EEENSH_IJSG_SG_EEES6_PlJNSB_9not_fun_tINSB_14equal_to_valueIxEEEEEEE10hipError_tPvRmT3_T4_T5_T6_T7_T9_mT8_P12ihipStream_tbDpT10_ENKUlT_T0_E_clISt17integral_constantIbLb1EES18_EEDaS13_S14_EUlS13_E_NS1_11comp_targetILNS1_3genE0ELNS1_11target_archE4294967295ELNS1_3gpuE0ELNS1_3repE0EEENS1_30default_config_static_selectorELNS0_4arch9wavefront6targetE0EEEvT1_,"axG",@progbits,_ZN7rocprim17ROCPRIM_400000_NS6detail17trampoline_kernelINS0_14default_configENS1_25partition_config_selectorILNS1_17partition_subalgoE6ExNS0_10empty_typeEbEEZZNS1_14partition_implILS5_6ELb0ES3_mN6thrust23THRUST_200600_302600_NS6detail15normal_iteratorINSA_10device_ptrIxEEEEPS6_SG_NS0_5tupleIJSF_S6_EEENSH_IJSG_SG_EEES6_PlJNSB_9not_fun_tINSB_14equal_to_valueIxEEEEEEE10hipError_tPvRmT3_T4_T5_T6_T7_T9_mT8_P12ihipStream_tbDpT10_ENKUlT_T0_E_clISt17integral_constantIbLb1EES18_EEDaS13_S14_EUlS13_E_NS1_11comp_targetILNS1_3genE0ELNS1_11target_archE4294967295ELNS1_3gpuE0ELNS1_3repE0EEENS1_30default_config_static_selectorELNS0_4arch9wavefront6targetE0EEEvT1_,comdat
.Lfunc_end445:
	.size	_ZN7rocprim17ROCPRIM_400000_NS6detail17trampoline_kernelINS0_14default_configENS1_25partition_config_selectorILNS1_17partition_subalgoE6ExNS0_10empty_typeEbEEZZNS1_14partition_implILS5_6ELb0ES3_mN6thrust23THRUST_200600_302600_NS6detail15normal_iteratorINSA_10device_ptrIxEEEEPS6_SG_NS0_5tupleIJSF_S6_EEENSH_IJSG_SG_EEES6_PlJNSB_9not_fun_tINSB_14equal_to_valueIxEEEEEEE10hipError_tPvRmT3_T4_T5_T6_T7_T9_mT8_P12ihipStream_tbDpT10_ENKUlT_T0_E_clISt17integral_constantIbLb1EES18_EEDaS13_S14_EUlS13_E_NS1_11comp_targetILNS1_3genE0ELNS1_11target_archE4294967295ELNS1_3gpuE0ELNS1_3repE0EEENS1_30default_config_static_selectorELNS0_4arch9wavefront6targetE0EEEvT1_, .Lfunc_end445-_ZN7rocprim17ROCPRIM_400000_NS6detail17trampoline_kernelINS0_14default_configENS1_25partition_config_selectorILNS1_17partition_subalgoE6ExNS0_10empty_typeEbEEZZNS1_14partition_implILS5_6ELb0ES3_mN6thrust23THRUST_200600_302600_NS6detail15normal_iteratorINSA_10device_ptrIxEEEEPS6_SG_NS0_5tupleIJSF_S6_EEENSH_IJSG_SG_EEES6_PlJNSB_9not_fun_tINSB_14equal_to_valueIxEEEEEEE10hipError_tPvRmT3_T4_T5_T6_T7_T9_mT8_P12ihipStream_tbDpT10_ENKUlT_T0_E_clISt17integral_constantIbLb1EES18_EEDaS13_S14_EUlS13_E_NS1_11comp_targetILNS1_3genE0ELNS1_11target_archE4294967295ELNS1_3gpuE0ELNS1_3repE0EEENS1_30default_config_static_selectorELNS0_4arch9wavefront6targetE0EEEvT1_
                                        ; -- End function
	.set _ZN7rocprim17ROCPRIM_400000_NS6detail17trampoline_kernelINS0_14default_configENS1_25partition_config_selectorILNS1_17partition_subalgoE6ExNS0_10empty_typeEbEEZZNS1_14partition_implILS5_6ELb0ES3_mN6thrust23THRUST_200600_302600_NS6detail15normal_iteratorINSA_10device_ptrIxEEEEPS6_SG_NS0_5tupleIJSF_S6_EEENSH_IJSG_SG_EEES6_PlJNSB_9not_fun_tINSB_14equal_to_valueIxEEEEEEE10hipError_tPvRmT3_T4_T5_T6_T7_T9_mT8_P12ihipStream_tbDpT10_ENKUlT_T0_E_clISt17integral_constantIbLb1EES18_EEDaS13_S14_EUlS13_E_NS1_11comp_targetILNS1_3genE0ELNS1_11target_archE4294967295ELNS1_3gpuE0ELNS1_3repE0EEENS1_30default_config_static_selectorELNS0_4arch9wavefront6targetE0EEEvT1_.num_vgpr, 0
	.set _ZN7rocprim17ROCPRIM_400000_NS6detail17trampoline_kernelINS0_14default_configENS1_25partition_config_selectorILNS1_17partition_subalgoE6ExNS0_10empty_typeEbEEZZNS1_14partition_implILS5_6ELb0ES3_mN6thrust23THRUST_200600_302600_NS6detail15normal_iteratorINSA_10device_ptrIxEEEEPS6_SG_NS0_5tupleIJSF_S6_EEENSH_IJSG_SG_EEES6_PlJNSB_9not_fun_tINSB_14equal_to_valueIxEEEEEEE10hipError_tPvRmT3_T4_T5_T6_T7_T9_mT8_P12ihipStream_tbDpT10_ENKUlT_T0_E_clISt17integral_constantIbLb1EES18_EEDaS13_S14_EUlS13_E_NS1_11comp_targetILNS1_3genE0ELNS1_11target_archE4294967295ELNS1_3gpuE0ELNS1_3repE0EEENS1_30default_config_static_selectorELNS0_4arch9wavefront6targetE0EEEvT1_.num_agpr, 0
	.set _ZN7rocprim17ROCPRIM_400000_NS6detail17trampoline_kernelINS0_14default_configENS1_25partition_config_selectorILNS1_17partition_subalgoE6ExNS0_10empty_typeEbEEZZNS1_14partition_implILS5_6ELb0ES3_mN6thrust23THRUST_200600_302600_NS6detail15normal_iteratorINSA_10device_ptrIxEEEEPS6_SG_NS0_5tupleIJSF_S6_EEENSH_IJSG_SG_EEES6_PlJNSB_9not_fun_tINSB_14equal_to_valueIxEEEEEEE10hipError_tPvRmT3_T4_T5_T6_T7_T9_mT8_P12ihipStream_tbDpT10_ENKUlT_T0_E_clISt17integral_constantIbLb1EES18_EEDaS13_S14_EUlS13_E_NS1_11comp_targetILNS1_3genE0ELNS1_11target_archE4294967295ELNS1_3gpuE0ELNS1_3repE0EEENS1_30default_config_static_selectorELNS0_4arch9wavefront6targetE0EEEvT1_.numbered_sgpr, 0
	.set _ZN7rocprim17ROCPRIM_400000_NS6detail17trampoline_kernelINS0_14default_configENS1_25partition_config_selectorILNS1_17partition_subalgoE6ExNS0_10empty_typeEbEEZZNS1_14partition_implILS5_6ELb0ES3_mN6thrust23THRUST_200600_302600_NS6detail15normal_iteratorINSA_10device_ptrIxEEEEPS6_SG_NS0_5tupleIJSF_S6_EEENSH_IJSG_SG_EEES6_PlJNSB_9not_fun_tINSB_14equal_to_valueIxEEEEEEE10hipError_tPvRmT3_T4_T5_T6_T7_T9_mT8_P12ihipStream_tbDpT10_ENKUlT_T0_E_clISt17integral_constantIbLb1EES18_EEDaS13_S14_EUlS13_E_NS1_11comp_targetILNS1_3genE0ELNS1_11target_archE4294967295ELNS1_3gpuE0ELNS1_3repE0EEENS1_30default_config_static_selectorELNS0_4arch9wavefront6targetE0EEEvT1_.num_named_barrier, 0
	.set _ZN7rocprim17ROCPRIM_400000_NS6detail17trampoline_kernelINS0_14default_configENS1_25partition_config_selectorILNS1_17partition_subalgoE6ExNS0_10empty_typeEbEEZZNS1_14partition_implILS5_6ELb0ES3_mN6thrust23THRUST_200600_302600_NS6detail15normal_iteratorINSA_10device_ptrIxEEEEPS6_SG_NS0_5tupleIJSF_S6_EEENSH_IJSG_SG_EEES6_PlJNSB_9not_fun_tINSB_14equal_to_valueIxEEEEEEE10hipError_tPvRmT3_T4_T5_T6_T7_T9_mT8_P12ihipStream_tbDpT10_ENKUlT_T0_E_clISt17integral_constantIbLb1EES18_EEDaS13_S14_EUlS13_E_NS1_11comp_targetILNS1_3genE0ELNS1_11target_archE4294967295ELNS1_3gpuE0ELNS1_3repE0EEENS1_30default_config_static_selectorELNS0_4arch9wavefront6targetE0EEEvT1_.private_seg_size, 0
	.set _ZN7rocprim17ROCPRIM_400000_NS6detail17trampoline_kernelINS0_14default_configENS1_25partition_config_selectorILNS1_17partition_subalgoE6ExNS0_10empty_typeEbEEZZNS1_14partition_implILS5_6ELb0ES3_mN6thrust23THRUST_200600_302600_NS6detail15normal_iteratorINSA_10device_ptrIxEEEEPS6_SG_NS0_5tupleIJSF_S6_EEENSH_IJSG_SG_EEES6_PlJNSB_9not_fun_tINSB_14equal_to_valueIxEEEEEEE10hipError_tPvRmT3_T4_T5_T6_T7_T9_mT8_P12ihipStream_tbDpT10_ENKUlT_T0_E_clISt17integral_constantIbLb1EES18_EEDaS13_S14_EUlS13_E_NS1_11comp_targetILNS1_3genE0ELNS1_11target_archE4294967295ELNS1_3gpuE0ELNS1_3repE0EEENS1_30default_config_static_selectorELNS0_4arch9wavefront6targetE0EEEvT1_.uses_vcc, 0
	.set _ZN7rocprim17ROCPRIM_400000_NS6detail17trampoline_kernelINS0_14default_configENS1_25partition_config_selectorILNS1_17partition_subalgoE6ExNS0_10empty_typeEbEEZZNS1_14partition_implILS5_6ELb0ES3_mN6thrust23THRUST_200600_302600_NS6detail15normal_iteratorINSA_10device_ptrIxEEEEPS6_SG_NS0_5tupleIJSF_S6_EEENSH_IJSG_SG_EEES6_PlJNSB_9not_fun_tINSB_14equal_to_valueIxEEEEEEE10hipError_tPvRmT3_T4_T5_T6_T7_T9_mT8_P12ihipStream_tbDpT10_ENKUlT_T0_E_clISt17integral_constantIbLb1EES18_EEDaS13_S14_EUlS13_E_NS1_11comp_targetILNS1_3genE0ELNS1_11target_archE4294967295ELNS1_3gpuE0ELNS1_3repE0EEENS1_30default_config_static_selectorELNS0_4arch9wavefront6targetE0EEEvT1_.uses_flat_scratch, 0
	.set _ZN7rocprim17ROCPRIM_400000_NS6detail17trampoline_kernelINS0_14default_configENS1_25partition_config_selectorILNS1_17partition_subalgoE6ExNS0_10empty_typeEbEEZZNS1_14partition_implILS5_6ELb0ES3_mN6thrust23THRUST_200600_302600_NS6detail15normal_iteratorINSA_10device_ptrIxEEEEPS6_SG_NS0_5tupleIJSF_S6_EEENSH_IJSG_SG_EEES6_PlJNSB_9not_fun_tINSB_14equal_to_valueIxEEEEEEE10hipError_tPvRmT3_T4_T5_T6_T7_T9_mT8_P12ihipStream_tbDpT10_ENKUlT_T0_E_clISt17integral_constantIbLb1EES18_EEDaS13_S14_EUlS13_E_NS1_11comp_targetILNS1_3genE0ELNS1_11target_archE4294967295ELNS1_3gpuE0ELNS1_3repE0EEENS1_30default_config_static_selectorELNS0_4arch9wavefront6targetE0EEEvT1_.has_dyn_sized_stack, 0
	.set _ZN7rocprim17ROCPRIM_400000_NS6detail17trampoline_kernelINS0_14default_configENS1_25partition_config_selectorILNS1_17partition_subalgoE6ExNS0_10empty_typeEbEEZZNS1_14partition_implILS5_6ELb0ES3_mN6thrust23THRUST_200600_302600_NS6detail15normal_iteratorINSA_10device_ptrIxEEEEPS6_SG_NS0_5tupleIJSF_S6_EEENSH_IJSG_SG_EEES6_PlJNSB_9not_fun_tINSB_14equal_to_valueIxEEEEEEE10hipError_tPvRmT3_T4_T5_T6_T7_T9_mT8_P12ihipStream_tbDpT10_ENKUlT_T0_E_clISt17integral_constantIbLb1EES18_EEDaS13_S14_EUlS13_E_NS1_11comp_targetILNS1_3genE0ELNS1_11target_archE4294967295ELNS1_3gpuE0ELNS1_3repE0EEENS1_30default_config_static_selectorELNS0_4arch9wavefront6targetE0EEEvT1_.has_recursion, 0
	.set _ZN7rocprim17ROCPRIM_400000_NS6detail17trampoline_kernelINS0_14default_configENS1_25partition_config_selectorILNS1_17partition_subalgoE6ExNS0_10empty_typeEbEEZZNS1_14partition_implILS5_6ELb0ES3_mN6thrust23THRUST_200600_302600_NS6detail15normal_iteratorINSA_10device_ptrIxEEEEPS6_SG_NS0_5tupleIJSF_S6_EEENSH_IJSG_SG_EEES6_PlJNSB_9not_fun_tINSB_14equal_to_valueIxEEEEEEE10hipError_tPvRmT3_T4_T5_T6_T7_T9_mT8_P12ihipStream_tbDpT10_ENKUlT_T0_E_clISt17integral_constantIbLb1EES18_EEDaS13_S14_EUlS13_E_NS1_11comp_targetILNS1_3genE0ELNS1_11target_archE4294967295ELNS1_3gpuE0ELNS1_3repE0EEENS1_30default_config_static_selectorELNS0_4arch9wavefront6targetE0EEEvT1_.has_indirect_call, 0
	.section	.AMDGPU.csdata,"",@progbits
; Kernel info:
; codeLenInByte = 0
; TotalNumSgprs: 0
; NumVgprs: 0
; ScratchSize: 0
; MemoryBound: 0
; FloatMode: 240
; IeeeMode: 1
; LDSByteSize: 0 bytes/workgroup (compile time only)
; SGPRBlocks: 0
; VGPRBlocks: 0
; NumSGPRsForWavesPerEU: 1
; NumVGPRsForWavesPerEU: 1
; Occupancy: 16
; WaveLimiterHint : 0
; COMPUTE_PGM_RSRC2:SCRATCH_EN: 0
; COMPUTE_PGM_RSRC2:USER_SGPR: 2
; COMPUTE_PGM_RSRC2:TRAP_HANDLER: 0
; COMPUTE_PGM_RSRC2:TGID_X_EN: 1
; COMPUTE_PGM_RSRC2:TGID_Y_EN: 0
; COMPUTE_PGM_RSRC2:TGID_Z_EN: 0
; COMPUTE_PGM_RSRC2:TIDIG_COMP_CNT: 0
	.section	.text._ZN7rocprim17ROCPRIM_400000_NS6detail17trampoline_kernelINS0_14default_configENS1_25partition_config_selectorILNS1_17partition_subalgoE6ExNS0_10empty_typeEbEEZZNS1_14partition_implILS5_6ELb0ES3_mN6thrust23THRUST_200600_302600_NS6detail15normal_iteratorINSA_10device_ptrIxEEEEPS6_SG_NS0_5tupleIJSF_S6_EEENSH_IJSG_SG_EEES6_PlJNSB_9not_fun_tINSB_14equal_to_valueIxEEEEEEE10hipError_tPvRmT3_T4_T5_T6_T7_T9_mT8_P12ihipStream_tbDpT10_ENKUlT_T0_E_clISt17integral_constantIbLb1EES18_EEDaS13_S14_EUlS13_E_NS1_11comp_targetILNS1_3genE5ELNS1_11target_archE942ELNS1_3gpuE9ELNS1_3repE0EEENS1_30default_config_static_selectorELNS0_4arch9wavefront6targetE0EEEvT1_,"axG",@progbits,_ZN7rocprim17ROCPRIM_400000_NS6detail17trampoline_kernelINS0_14default_configENS1_25partition_config_selectorILNS1_17partition_subalgoE6ExNS0_10empty_typeEbEEZZNS1_14partition_implILS5_6ELb0ES3_mN6thrust23THRUST_200600_302600_NS6detail15normal_iteratorINSA_10device_ptrIxEEEEPS6_SG_NS0_5tupleIJSF_S6_EEENSH_IJSG_SG_EEES6_PlJNSB_9not_fun_tINSB_14equal_to_valueIxEEEEEEE10hipError_tPvRmT3_T4_T5_T6_T7_T9_mT8_P12ihipStream_tbDpT10_ENKUlT_T0_E_clISt17integral_constantIbLb1EES18_EEDaS13_S14_EUlS13_E_NS1_11comp_targetILNS1_3genE5ELNS1_11target_archE942ELNS1_3gpuE9ELNS1_3repE0EEENS1_30default_config_static_selectorELNS0_4arch9wavefront6targetE0EEEvT1_,comdat
	.protected	_ZN7rocprim17ROCPRIM_400000_NS6detail17trampoline_kernelINS0_14default_configENS1_25partition_config_selectorILNS1_17partition_subalgoE6ExNS0_10empty_typeEbEEZZNS1_14partition_implILS5_6ELb0ES3_mN6thrust23THRUST_200600_302600_NS6detail15normal_iteratorINSA_10device_ptrIxEEEEPS6_SG_NS0_5tupleIJSF_S6_EEENSH_IJSG_SG_EEES6_PlJNSB_9not_fun_tINSB_14equal_to_valueIxEEEEEEE10hipError_tPvRmT3_T4_T5_T6_T7_T9_mT8_P12ihipStream_tbDpT10_ENKUlT_T0_E_clISt17integral_constantIbLb1EES18_EEDaS13_S14_EUlS13_E_NS1_11comp_targetILNS1_3genE5ELNS1_11target_archE942ELNS1_3gpuE9ELNS1_3repE0EEENS1_30default_config_static_selectorELNS0_4arch9wavefront6targetE0EEEvT1_ ; -- Begin function _ZN7rocprim17ROCPRIM_400000_NS6detail17trampoline_kernelINS0_14default_configENS1_25partition_config_selectorILNS1_17partition_subalgoE6ExNS0_10empty_typeEbEEZZNS1_14partition_implILS5_6ELb0ES3_mN6thrust23THRUST_200600_302600_NS6detail15normal_iteratorINSA_10device_ptrIxEEEEPS6_SG_NS0_5tupleIJSF_S6_EEENSH_IJSG_SG_EEES6_PlJNSB_9not_fun_tINSB_14equal_to_valueIxEEEEEEE10hipError_tPvRmT3_T4_T5_T6_T7_T9_mT8_P12ihipStream_tbDpT10_ENKUlT_T0_E_clISt17integral_constantIbLb1EES18_EEDaS13_S14_EUlS13_E_NS1_11comp_targetILNS1_3genE5ELNS1_11target_archE942ELNS1_3gpuE9ELNS1_3repE0EEENS1_30default_config_static_selectorELNS0_4arch9wavefront6targetE0EEEvT1_
	.globl	_ZN7rocprim17ROCPRIM_400000_NS6detail17trampoline_kernelINS0_14default_configENS1_25partition_config_selectorILNS1_17partition_subalgoE6ExNS0_10empty_typeEbEEZZNS1_14partition_implILS5_6ELb0ES3_mN6thrust23THRUST_200600_302600_NS6detail15normal_iteratorINSA_10device_ptrIxEEEEPS6_SG_NS0_5tupleIJSF_S6_EEENSH_IJSG_SG_EEES6_PlJNSB_9not_fun_tINSB_14equal_to_valueIxEEEEEEE10hipError_tPvRmT3_T4_T5_T6_T7_T9_mT8_P12ihipStream_tbDpT10_ENKUlT_T0_E_clISt17integral_constantIbLb1EES18_EEDaS13_S14_EUlS13_E_NS1_11comp_targetILNS1_3genE5ELNS1_11target_archE942ELNS1_3gpuE9ELNS1_3repE0EEENS1_30default_config_static_selectorELNS0_4arch9wavefront6targetE0EEEvT1_
	.p2align	8
	.type	_ZN7rocprim17ROCPRIM_400000_NS6detail17trampoline_kernelINS0_14default_configENS1_25partition_config_selectorILNS1_17partition_subalgoE6ExNS0_10empty_typeEbEEZZNS1_14partition_implILS5_6ELb0ES3_mN6thrust23THRUST_200600_302600_NS6detail15normal_iteratorINSA_10device_ptrIxEEEEPS6_SG_NS0_5tupleIJSF_S6_EEENSH_IJSG_SG_EEES6_PlJNSB_9not_fun_tINSB_14equal_to_valueIxEEEEEEE10hipError_tPvRmT3_T4_T5_T6_T7_T9_mT8_P12ihipStream_tbDpT10_ENKUlT_T0_E_clISt17integral_constantIbLb1EES18_EEDaS13_S14_EUlS13_E_NS1_11comp_targetILNS1_3genE5ELNS1_11target_archE942ELNS1_3gpuE9ELNS1_3repE0EEENS1_30default_config_static_selectorELNS0_4arch9wavefront6targetE0EEEvT1_,@function
_ZN7rocprim17ROCPRIM_400000_NS6detail17trampoline_kernelINS0_14default_configENS1_25partition_config_selectorILNS1_17partition_subalgoE6ExNS0_10empty_typeEbEEZZNS1_14partition_implILS5_6ELb0ES3_mN6thrust23THRUST_200600_302600_NS6detail15normal_iteratorINSA_10device_ptrIxEEEEPS6_SG_NS0_5tupleIJSF_S6_EEENSH_IJSG_SG_EEES6_PlJNSB_9not_fun_tINSB_14equal_to_valueIxEEEEEEE10hipError_tPvRmT3_T4_T5_T6_T7_T9_mT8_P12ihipStream_tbDpT10_ENKUlT_T0_E_clISt17integral_constantIbLb1EES18_EEDaS13_S14_EUlS13_E_NS1_11comp_targetILNS1_3genE5ELNS1_11target_archE942ELNS1_3gpuE9ELNS1_3repE0EEENS1_30default_config_static_selectorELNS0_4arch9wavefront6targetE0EEEvT1_: ; @_ZN7rocprim17ROCPRIM_400000_NS6detail17trampoline_kernelINS0_14default_configENS1_25partition_config_selectorILNS1_17partition_subalgoE6ExNS0_10empty_typeEbEEZZNS1_14partition_implILS5_6ELb0ES3_mN6thrust23THRUST_200600_302600_NS6detail15normal_iteratorINSA_10device_ptrIxEEEEPS6_SG_NS0_5tupleIJSF_S6_EEENSH_IJSG_SG_EEES6_PlJNSB_9not_fun_tINSB_14equal_to_valueIxEEEEEEE10hipError_tPvRmT3_T4_T5_T6_T7_T9_mT8_P12ihipStream_tbDpT10_ENKUlT_T0_E_clISt17integral_constantIbLb1EES18_EEDaS13_S14_EUlS13_E_NS1_11comp_targetILNS1_3genE5ELNS1_11target_archE942ELNS1_3gpuE9ELNS1_3repE0EEENS1_30default_config_static_selectorELNS0_4arch9wavefront6targetE0EEEvT1_
; %bb.0:
	.section	.rodata,"a",@progbits
	.p2align	6, 0x0
	.amdhsa_kernel _ZN7rocprim17ROCPRIM_400000_NS6detail17trampoline_kernelINS0_14default_configENS1_25partition_config_selectorILNS1_17partition_subalgoE6ExNS0_10empty_typeEbEEZZNS1_14partition_implILS5_6ELb0ES3_mN6thrust23THRUST_200600_302600_NS6detail15normal_iteratorINSA_10device_ptrIxEEEEPS6_SG_NS0_5tupleIJSF_S6_EEENSH_IJSG_SG_EEES6_PlJNSB_9not_fun_tINSB_14equal_to_valueIxEEEEEEE10hipError_tPvRmT3_T4_T5_T6_T7_T9_mT8_P12ihipStream_tbDpT10_ENKUlT_T0_E_clISt17integral_constantIbLb1EES18_EEDaS13_S14_EUlS13_E_NS1_11comp_targetILNS1_3genE5ELNS1_11target_archE942ELNS1_3gpuE9ELNS1_3repE0EEENS1_30default_config_static_selectorELNS0_4arch9wavefront6targetE0EEEvT1_
		.amdhsa_group_segment_fixed_size 0
		.amdhsa_private_segment_fixed_size 0
		.amdhsa_kernarg_size 128
		.amdhsa_user_sgpr_count 2
		.amdhsa_user_sgpr_dispatch_ptr 0
		.amdhsa_user_sgpr_queue_ptr 0
		.amdhsa_user_sgpr_kernarg_segment_ptr 1
		.amdhsa_user_sgpr_dispatch_id 0
		.amdhsa_user_sgpr_private_segment_size 0
		.amdhsa_wavefront_size32 1
		.amdhsa_uses_dynamic_stack 0
		.amdhsa_enable_private_segment 0
		.amdhsa_system_sgpr_workgroup_id_x 1
		.amdhsa_system_sgpr_workgroup_id_y 0
		.amdhsa_system_sgpr_workgroup_id_z 0
		.amdhsa_system_sgpr_workgroup_info 0
		.amdhsa_system_vgpr_workitem_id 0
		.amdhsa_next_free_vgpr 1
		.amdhsa_next_free_sgpr 1
		.amdhsa_reserve_vcc 0
		.amdhsa_float_round_mode_32 0
		.amdhsa_float_round_mode_16_64 0
		.amdhsa_float_denorm_mode_32 3
		.amdhsa_float_denorm_mode_16_64 3
		.amdhsa_fp16_overflow 0
		.amdhsa_workgroup_processor_mode 1
		.amdhsa_memory_ordered 1
		.amdhsa_forward_progress 1
		.amdhsa_inst_pref_size 0
		.amdhsa_round_robin_scheduling 0
		.amdhsa_exception_fp_ieee_invalid_op 0
		.amdhsa_exception_fp_denorm_src 0
		.amdhsa_exception_fp_ieee_div_zero 0
		.amdhsa_exception_fp_ieee_overflow 0
		.amdhsa_exception_fp_ieee_underflow 0
		.amdhsa_exception_fp_ieee_inexact 0
		.amdhsa_exception_int_div_zero 0
	.end_amdhsa_kernel
	.section	.text._ZN7rocprim17ROCPRIM_400000_NS6detail17trampoline_kernelINS0_14default_configENS1_25partition_config_selectorILNS1_17partition_subalgoE6ExNS0_10empty_typeEbEEZZNS1_14partition_implILS5_6ELb0ES3_mN6thrust23THRUST_200600_302600_NS6detail15normal_iteratorINSA_10device_ptrIxEEEEPS6_SG_NS0_5tupleIJSF_S6_EEENSH_IJSG_SG_EEES6_PlJNSB_9not_fun_tINSB_14equal_to_valueIxEEEEEEE10hipError_tPvRmT3_T4_T5_T6_T7_T9_mT8_P12ihipStream_tbDpT10_ENKUlT_T0_E_clISt17integral_constantIbLb1EES18_EEDaS13_S14_EUlS13_E_NS1_11comp_targetILNS1_3genE5ELNS1_11target_archE942ELNS1_3gpuE9ELNS1_3repE0EEENS1_30default_config_static_selectorELNS0_4arch9wavefront6targetE0EEEvT1_,"axG",@progbits,_ZN7rocprim17ROCPRIM_400000_NS6detail17trampoline_kernelINS0_14default_configENS1_25partition_config_selectorILNS1_17partition_subalgoE6ExNS0_10empty_typeEbEEZZNS1_14partition_implILS5_6ELb0ES3_mN6thrust23THRUST_200600_302600_NS6detail15normal_iteratorINSA_10device_ptrIxEEEEPS6_SG_NS0_5tupleIJSF_S6_EEENSH_IJSG_SG_EEES6_PlJNSB_9not_fun_tINSB_14equal_to_valueIxEEEEEEE10hipError_tPvRmT3_T4_T5_T6_T7_T9_mT8_P12ihipStream_tbDpT10_ENKUlT_T0_E_clISt17integral_constantIbLb1EES18_EEDaS13_S14_EUlS13_E_NS1_11comp_targetILNS1_3genE5ELNS1_11target_archE942ELNS1_3gpuE9ELNS1_3repE0EEENS1_30default_config_static_selectorELNS0_4arch9wavefront6targetE0EEEvT1_,comdat
.Lfunc_end446:
	.size	_ZN7rocprim17ROCPRIM_400000_NS6detail17trampoline_kernelINS0_14default_configENS1_25partition_config_selectorILNS1_17partition_subalgoE6ExNS0_10empty_typeEbEEZZNS1_14partition_implILS5_6ELb0ES3_mN6thrust23THRUST_200600_302600_NS6detail15normal_iteratorINSA_10device_ptrIxEEEEPS6_SG_NS0_5tupleIJSF_S6_EEENSH_IJSG_SG_EEES6_PlJNSB_9not_fun_tINSB_14equal_to_valueIxEEEEEEE10hipError_tPvRmT3_T4_T5_T6_T7_T9_mT8_P12ihipStream_tbDpT10_ENKUlT_T0_E_clISt17integral_constantIbLb1EES18_EEDaS13_S14_EUlS13_E_NS1_11comp_targetILNS1_3genE5ELNS1_11target_archE942ELNS1_3gpuE9ELNS1_3repE0EEENS1_30default_config_static_selectorELNS0_4arch9wavefront6targetE0EEEvT1_, .Lfunc_end446-_ZN7rocprim17ROCPRIM_400000_NS6detail17trampoline_kernelINS0_14default_configENS1_25partition_config_selectorILNS1_17partition_subalgoE6ExNS0_10empty_typeEbEEZZNS1_14partition_implILS5_6ELb0ES3_mN6thrust23THRUST_200600_302600_NS6detail15normal_iteratorINSA_10device_ptrIxEEEEPS6_SG_NS0_5tupleIJSF_S6_EEENSH_IJSG_SG_EEES6_PlJNSB_9not_fun_tINSB_14equal_to_valueIxEEEEEEE10hipError_tPvRmT3_T4_T5_T6_T7_T9_mT8_P12ihipStream_tbDpT10_ENKUlT_T0_E_clISt17integral_constantIbLb1EES18_EEDaS13_S14_EUlS13_E_NS1_11comp_targetILNS1_3genE5ELNS1_11target_archE942ELNS1_3gpuE9ELNS1_3repE0EEENS1_30default_config_static_selectorELNS0_4arch9wavefront6targetE0EEEvT1_
                                        ; -- End function
	.set _ZN7rocprim17ROCPRIM_400000_NS6detail17trampoline_kernelINS0_14default_configENS1_25partition_config_selectorILNS1_17partition_subalgoE6ExNS0_10empty_typeEbEEZZNS1_14partition_implILS5_6ELb0ES3_mN6thrust23THRUST_200600_302600_NS6detail15normal_iteratorINSA_10device_ptrIxEEEEPS6_SG_NS0_5tupleIJSF_S6_EEENSH_IJSG_SG_EEES6_PlJNSB_9not_fun_tINSB_14equal_to_valueIxEEEEEEE10hipError_tPvRmT3_T4_T5_T6_T7_T9_mT8_P12ihipStream_tbDpT10_ENKUlT_T0_E_clISt17integral_constantIbLb1EES18_EEDaS13_S14_EUlS13_E_NS1_11comp_targetILNS1_3genE5ELNS1_11target_archE942ELNS1_3gpuE9ELNS1_3repE0EEENS1_30default_config_static_selectorELNS0_4arch9wavefront6targetE0EEEvT1_.num_vgpr, 0
	.set _ZN7rocprim17ROCPRIM_400000_NS6detail17trampoline_kernelINS0_14default_configENS1_25partition_config_selectorILNS1_17partition_subalgoE6ExNS0_10empty_typeEbEEZZNS1_14partition_implILS5_6ELb0ES3_mN6thrust23THRUST_200600_302600_NS6detail15normal_iteratorINSA_10device_ptrIxEEEEPS6_SG_NS0_5tupleIJSF_S6_EEENSH_IJSG_SG_EEES6_PlJNSB_9not_fun_tINSB_14equal_to_valueIxEEEEEEE10hipError_tPvRmT3_T4_T5_T6_T7_T9_mT8_P12ihipStream_tbDpT10_ENKUlT_T0_E_clISt17integral_constantIbLb1EES18_EEDaS13_S14_EUlS13_E_NS1_11comp_targetILNS1_3genE5ELNS1_11target_archE942ELNS1_3gpuE9ELNS1_3repE0EEENS1_30default_config_static_selectorELNS0_4arch9wavefront6targetE0EEEvT1_.num_agpr, 0
	.set _ZN7rocprim17ROCPRIM_400000_NS6detail17trampoline_kernelINS0_14default_configENS1_25partition_config_selectorILNS1_17partition_subalgoE6ExNS0_10empty_typeEbEEZZNS1_14partition_implILS5_6ELb0ES3_mN6thrust23THRUST_200600_302600_NS6detail15normal_iteratorINSA_10device_ptrIxEEEEPS6_SG_NS0_5tupleIJSF_S6_EEENSH_IJSG_SG_EEES6_PlJNSB_9not_fun_tINSB_14equal_to_valueIxEEEEEEE10hipError_tPvRmT3_T4_T5_T6_T7_T9_mT8_P12ihipStream_tbDpT10_ENKUlT_T0_E_clISt17integral_constantIbLb1EES18_EEDaS13_S14_EUlS13_E_NS1_11comp_targetILNS1_3genE5ELNS1_11target_archE942ELNS1_3gpuE9ELNS1_3repE0EEENS1_30default_config_static_selectorELNS0_4arch9wavefront6targetE0EEEvT1_.numbered_sgpr, 0
	.set _ZN7rocprim17ROCPRIM_400000_NS6detail17trampoline_kernelINS0_14default_configENS1_25partition_config_selectorILNS1_17partition_subalgoE6ExNS0_10empty_typeEbEEZZNS1_14partition_implILS5_6ELb0ES3_mN6thrust23THRUST_200600_302600_NS6detail15normal_iteratorINSA_10device_ptrIxEEEEPS6_SG_NS0_5tupleIJSF_S6_EEENSH_IJSG_SG_EEES6_PlJNSB_9not_fun_tINSB_14equal_to_valueIxEEEEEEE10hipError_tPvRmT3_T4_T5_T6_T7_T9_mT8_P12ihipStream_tbDpT10_ENKUlT_T0_E_clISt17integral_constantIbLb1EES18_EEDaS13_S14_EUlS13_E_NS1_11comp_targetILNS1_3genE5ELNS1_11target_archE942ELNS1_3gpuE9ELNS1_3repE0EEENS1_30default_config_static_selectorELNS0_4arch9wavefront6targetE0EEEvT1_.num_named_barrier, 0
	.set _ZN7rocprim17ROCPRIM_400000_NS6detail17trampoline_kernelINS0_14default_configENS1_25partition_config_selectorILNS1_17partition_subalgoE6ExNS0_10empty_typeEbEEZZNS1_14partition_implILS5_6ELb0ES3_mN6thrust23THRUST_200600_302600_NS6detail15normal_iteratorINSA_10device_ptrIxEEEEPS6_SG_NS0_5tupleIJSF_S6_EEENSH_IJSG_SG_EEES6_PlJNSB_9not_fun_tINSB_14equal_to_valueIxEEEEEEE10hipError_tPvRmT3_T4_T5_T6_T7_T9_mT8_P12ihipStream_tbDpT10_ENKUlT_T0_E_clISt17integral_constantIbLb1EES18_EEDaS13_S14_EUlS13_E_NS1_11comp_targetILNS1_3genE5ELNS1_11target_archE942ELNS1_3gpuE9ELNS1_3repE0EEENS1_30default_config_static_selectorELNS0_4arch9wavefront6targetE0EEEvT1_.private_seg_size, 0
	.set _ZN7rocprim17ROCPRIM_400000_NS6detail17trampoline_kernelINS0_14default_configENS1_25partition_config_selectorILNS1_17partition_subalgoE6ExNS0_10empty_typeEbEEZZNS1_14partition_implILS5_6ELb0ES3_mN6thrust23THRUST_200600_302600_NS6detail15normal_iteratorINSA_10device_ptrIxEEEEPS6_SG_NS0_5tupleIJSF_S6_EEENSH_IJSG_SG_EEES6_PlJNSB_9not_fun_tINSB_14equal_to_valueIxEEEEEEE10hipError_tPvRmT3_T4_T5_T6_T7_T9_mT8_P12ihipStream_tbDpT10_ENKUlT_T0_E_clISt17integral_constantIbLb1EES18_EEDaS13_S14_EUlS13_E_NS1_11comp_targetILNS1_3genE5ELNS1_11target_archE942ELNS1_3gpuE9ELNS1_3repE0EEENS1_30default_config_static_selectorELNS0_4arch9wavefront6targetE0EEEvT1_.uses_vcc, 0
	.set _ZN7rocprim17ROCPRIM_400000_NS6detail17trampoline_kernelINS0_14default_configENS1_25partition_config_selectorILNS1_17partition_subalgoE6ExNS0_10empty_typeEbEEZZNS1_14partition_implILS5_6ELb0ES3_mN6thrust23THRUST_200600_302600_NS6detail15normal_iteratorINSA_10device_ptrIxEEEEPS6_SG_NS0_5tupleIJSF_S6_EEENSH_IJSG_SG_EEES6_PlJNSB_9not_fun_tINSB_14equal_to_valueIxEEEEEEE10hipError_tPvRmT3_T4_T5_T6_T7_T9_mT8_P12ihipStream_tbDpT10_ENKUlT_T0_E_clISt17integral_constantIbLb1EES18_EEDaS13_S14_EUlS13_E_NS1_11comp_targetILNS1_3genE5ELNS1_11target_archE942ELNS1_3gpuE9ELNS1_3repE0EEENS1_30default_config_static_selectorELNS0_4arch9wavefront6targetE0EEEvT1_.uses_flat_scratch, 0
	.set _ZN7rocprim17ROCPRIM_400000_NS6detail17trampoline_kernelINS0_14default_configENS1_25partition_config_selectorILNS1_17partition_subalgoE6ExNS0_10empty_typeEbEEZZNS1_14partition_implILS5_6ELb0ES3_mN6thrust23THRUST_200600_302600_NS6detail15normal_iteratorINSA_10device_ptrIxEEEEPS6_SG_NS0_5tupleIJSF_S6_EEENSH_IJSG_SG_EEES6_PlJNSB_9not_fun_tINSB_14equal_to_valueIxEEEEEEE10hipError_tPvRmT3_T4_T5_T6_T7_T9_mT8_P12ihipStream_tbDpT10_ENKUlT_T0_E_clISt17integral_constantIbLb1EES18_EEDaS13_S14_EUlS13_E_NS1_11comp_targetILNS1_3genE5ELNS1_11target_archE942ELNS1_3gpuE9ELNS1_3repE0EEENS1_30default_config_static_selectorELNS0_4arch9wavefront6targetE0EEEvT1_.has_dyn_sized_stack, 0
	.set _ZN7rocprim17ROCPRIM_400000_NS6detail17trampoline_kernelINS0_14default_configENS1_25partition_config_selectorILNS1_17partition_subalgoE6ExNS0_10empty_typeEbEEZZNS1_14partition_implILS5_6ELb0ES3_mN6thrust23THRUST_200600_302600_NS6detail15normal_iteratorINSA_10device_ptrIxEEEEPS6_SG_NS0_5tupleIJSF_S6_EEENSH_IJSG_SG_EEES6_PlJNSB_9not_fun_tINSB_14equal_to_valueIxEEEEEEE10hipError_tPvRmT3_T4_T5_T6_T7_T9_mT8_P12ihipStream_tbDpT10_ENKUlT_T0_E_clISt17integral_constantIbLb1EES18_EEDaS13_S14_EUlS13_E_NS1_11comp_targetILNS1_3genE5ELNS1_11target_archE942ELNS1_3gpuE9ELNS1_3repE0EEENS1_30default_config_static_selectorELNS0_4arch9wavefront6targetE0EEEvT1_.has_recursion, 0
	.set _ZN7rocprim17ROCPRIM_400000_NS6detail17trampoline_kernelINS0_14default_configENS1_25partition_config_selectorILNS1_17partition_subalgoE6ExNS0_10empty_typeEbEEZZNS1_14partition_implILS5_6ELb0ES3_mN6thrust23THRUST_200600_302600_NS6detail15normal_iteratorINSA_10device_ptrIxEEEEPS6_SG_NS0_5tupleIJSF_S6_EEENSH_IJSG_SG_EEES6_PlJNSB_9not_fun_tINSB_14equal_to_valueIxEEEEEEE10hipError_tPvRmT3_T4_T5_T6_T7_T9_mT8_P12ihipStream_tbDpT10_ENKUlT_T0_E_clISt17integral_constantIbLb1EES18_EEDaS13_S14_EUlS13_E_NS1_11comp_targetILNS1_3genE5ELNS1_11target_archE942ELNS1_3gpuE9ELNS1_3repE0EEENS1_30default_config_static_selectorELNS0_4arch9wavefront6targetE0EEEvT1_.has_indirect_call, 0
	.section	.AMDGPU.csdata,"",@progbits
; Kernel info:
; codeLenInByte = 0
; TotalNumSgprs: 0
; NumVgprs: 0
; ScratchSize: 0
; MemoryBound: 0
; FloatMode: 240
; IeeeMode: 1
; LDSByteSize: 0 bytes/workgroup (compile time only)
; SGPRBlocks: 0
; VGPRBlocks: 0
; NumSGPRsForWavesPerEU: 1
; NumVGPRsForWavesPerEU: 1
; Occupancy: 16
; WaveLimiterHint : 0
; COMPUTE_PGM_RSRC2:SCRATCH_EN: 0
; COMPUTE_PGM_RSRC2:USER_SGPR: 2
; COMPUTE_PGM_RSRC2:TRAP_HANDLER: 0
; COMPUTE_PGM_RSRC2:TGID_X_EN: 1
; COMPUTE_PGM_RSRC2:TGID_Y_EN: 0
; COMPUTE_PGM_RSRC2:TGID_Z_EN: 0
; COMPUTE_PGM_RSRC2:TIDIG_COMP_CNT: 0
	.section	.text._ZN7rocprim17ROCPRIM_400000_NS6detail17trampoline_kernelINS0_14default_configENS1_25partition_config_selectorILNS1_17partition_subalgoE6ExNS0_10empty_typeEbEEZZNS1_14partition_implILS5_6ELb0ES3_mN6thrust23THRUST_200600_302600_NS6detail15normal_iteratorINSA_10device_ptrIxEEEEPS6_SG_NS0_5tupleIJSF_S6_EEENSH_IJSG_SG_EEES6_PlJNSB_9not_fun_tINSB_14equal_to_valueIxEEEEEEE10hipError_tPvRmT3_T4_T5_T6_T7_T9_mT8_P12ihipStream_tbDpT10_ENKUlT_T0_E_clISt17integral_constantIbLb1EES18_EEDaS13_S14_EUlS13_E_NS1_11comp_targetILNS1_3genE4ELNS1_11target_archE910ELNS1_3gpuE8ELNS1_3repE0EEENS1_30default_config_static_selectorELNS0_4arch9wavefront6targetE0EEEvT1_,"axG",@progbits,_ZN7rocprim17ROCPRIM_400000_NS6detail17trampoline_kernelINS0_14default_configENS1_25partition_config_selectorILNS1_17partition_subalgoE6ExNS0_10empty_typeEbEEZZNS1_14partition_implILS5_6ELb0ES3_mN6thrust23THRUST_200600_302600_NS6detail15normal_iteratorINSA_10device_ptrIxEEEEPS6_SG_NS0_5tupleIJSF_S6_EEENSH_IJSG_SG_EEES6_PlJNSB_9not_fun_tINSB_14equal_to_valueIxEEEEEEE10hipError_tPvRmT3_T4_T5_T6_T7_T9_mT8_P12ihipStream_tbDpT10_ENKUlT_T0_E_clISt17integral_constantIbLb1EES18_EEDaS13_S14_EUlS13_E_NS1_11comp_targetILNS1_3genE4ELNS1_11target_archE910ELNS1_3gpuE8ELNS1_3repE0EEENS1_30default_config_static_selectorELNS0_4arch9wavefront6targetE0EEEvT1_,comdat
	.protected	_ZN7rocprim17ROCPRIM_400000_NS6detail17trampoline_kernelINS0_14default_configENS1_25partition_config_selectorILNS1_17partition_subalgoE6ExNS0_10empty_typeEbEEZZNS1_14partition_implILS5_6ELb0ES3_mN6thrust23THRUST_200600_302600_NS6detail15normal_iteratorINSA_10device_ptrIxEEEEPS6_SG_NS0_5tupleIJSF_S6_EEENSH_IJSG_SG_EEES6_PlJNSB_9not_fun_tINSB_14equal_to_valueIxEEEEEEE10hipError_tPvRmT3_T4_T5_T6_T7_T9_mT8_P12ihipStream_tbDpT10_ENKUlT_T0_E_clISt17integral_constantIbLb1EES18_EEDaS13_S14_EUlS13_E_NS1_11comp_targetILNS1_3genE4ELNS1_11target_archE910ELNS1_3gpuE8ELNS1_3repE0EEENS1_30default_config_static_selectorELNS0_4arch9wavefront6targetE0EEEvT1_ ; -- Begin function _ZN7rocprim17ROCPRIM_400000_NS6detail17trampoline_kernelINS0_14default_configENS1_25partition_config_selectorILNS1_17partition_subalgoE6ExNS0_10empty_typeEbEEZZNS1_14partition_implILS5_6ELb0ES3_mN6thrust23THRUST_200600_302600_NS6detail15normal_iteratorINSA_10device_ptrIxEEEEPS6_SG_NS0_5tupleIJSF_S6_EEENSH_IJSG_SG_EEES6_PlJNSB_9not_fun_tINSB_14equal_to_valueIxEEEEEEE10hipError_tPvRmT3_T4_T5_T6_T7_T9_mT8_P12ihipStream_tbDpT10_ENKUlT_T0_E_clISt17integral_constantIbLb1EES18_EEDaS13_S14_EUlS13_E_NS1_11comp_targetILNS1_3genE4ELNS1_11target_archE910ELNS1_3gpuE8ELNS1_3repE0EEENS1_30default_config_static_selectorELNS0_4arch9wavefront6targetE0EEEvT1_
	.globl	_ZN7rocprim17ROCPRIM_400000_NS6detail17trampoline_kernelINS0_14default_configENS1_25partition_config_selectorILNS1_17partition_subalgoE6ExNS0_10empty_typeEbEEZZNS1_14partition_implILS5_6ELb0ES3_mN6thrust23THRUST_200600_302600_NS6detail15normal_iteratorINSA_10device_ptrIxEEEEPS6_SG_NS0_5tupleIJSF_S6_EEENSH_IJSG_SG_EEES6_PlJNSB_9not_fun_tINSB_14equal_to_valueIxEEEEEEE10hipError_tPvRmT3_T4_T5_T6_T7_T9_mT8_P12ihipStream_tbDpT10_ENKUlT_T0_E_clISt17integral_constantIbLb1EES18_EEDaS13_S14_EUlS13_E_NS1_11comp_targetILNS1_3genE4ELNS1_11target_archE910ELNS1_3gpuE8ELNS1_3repE0EEENS1_30default_config_static_selectorELNS0_4arch9wavefront6targetE0EEEvT1_
	.p2align	8
	.type	_ZN7rocprim17ROCPRIM_400000_NS6detail17trampoline_kernelINS0_14default_configENS1_25partition_config_selectorILNS1_17partition_subalgoE6ExNS0_10empty_typeEbEEZZNS1_14partition_implILS5_6ELb0ES3_mN6thrust23THRUST_200600_302600_NS6detail15normal_iteratorINSA_10device_ptrIxEEEEPS6_SG_NS0_5tupleIJSF_S6_EEENSH_IJSG_SG_EEES6_PlJNSB_9not_fun_tINSB_14equal_to_valueIxEEEEEEE10hipError_tPvRmT3_T4_T5_T6_T7_T9_mT8_P12ihipStream_tbDpT10_ENKUlT_T0_E_clISt17integral_constantIbLb1EES18_EEDaS13_S14_EUlS13_E_NS1_11comp_targetILNS1_3genE4ELNS1_11target_archE910ELNS1_3gpuE8ELNS1_3repE0EEENS1_30default_config_static_selectorELNS0_4arch9wavefront6targetE0EEEvT1_,@function
_ZN7rocprim17ROCPRIM_400000_NS6detail17trampoline_kernelINS0_14default_configENS1_25partition_config_selectorILNS1_17partition_subalgoE6ExNS0_10empty_typeEbEEZZNS1_14partition_implILS5_6ELb0ES3_mN6thrust23THRUST_200600_302600_NS6detail15normal_iteratorINSA_10device_ptrIxEEEEPS6_SG_NS0_5tupleIJSF_S6_EEENSH_IJSG_SG_EEES6_PlJNSB_9not_fun_tINSB_14equal_to_valueIxEEEEEEE10hipError_tPvRmT3_T4_T5_T6_T7_T9_mT8_P12ihipStream_tbDpT10_ENKUlT_T0_E_clISt17integral_constantIbLb1EES18_EEDaS13_S14_EUlS13_E_NS1_11comp_targetILNS1_3genE4ELNS1_11target_archE910ELNS1_3gpuE8ELNS1_3repE0EEENS1_30default_config_static_selectorELNS0_4arch9wavefront6targetE0EEEvT1_: ; @_ZN7rocprim17ROCPRIM_400000_NS6detail17trampoline_kernelINS0_14default_configENS1_25partition_config_selectorILNS1_17partition_subalgoE6ExNS0_10empty_typeEbEEZZNS1_14partition_implILS5_6ELb0ES3_mN6thrust23THRUST_200600_302600_NS6detail15normal_iteratorINSA_10device_ptrIxEEEEPS6_SG_NS0_5tupleIJSF_S6_EEENSH_IJSG_SG_EEES6_PlJNSB_9not_fun_tINSB_14equal_to_valueIxEEEEEEE10hipError_tPvRmT3_T4_T5_T6_T7_T9_mT8_P12ihipStream_tbDpT10_ENKUlT_T0_E_clISt17integral_constantIbLb1EES18_EEDaS13_S14_EUlS13_E_NS1_11comp_targetILNS1_3genE4ELNS1_11target_archE910ELNS1_3gpuE8ELNS1_3repE0EEENS1_30default_config_static_selectorELNS0_4arch9wavefront6targetE0EEEvT1_
; %bb.0:
	.section	.rodata,"a",@progbits
	.p2align	6, 0x0
	.amdhsa_kernel _ZN7rocprim17ROCPRIM_400000_NS6detail17trampoline_kernelINS0_14default_configENS1_25partition_config_selectorILNS1_17partition_subalgoE6ExNS0_10empty_typeEbEEZZNS1_14partition_implILS5_6ELb0ES3_mN6thrust23THRUST_200600_302600_NS6detail15normal_iteratorINSA_10device_ptrIxEEEEPS6_SG_NS0_5tupleIJSF_S6_EEENSH_IJSG_SG_EEES6_PlJNSB_9not_fun_tINSB_14equal_to_valueIxEEEEEEE10hipError_tPvRmT3_T4_T5_T6_T7_T9_mT8_P12ihipStream_tbDpT10_ENKUlT_T0_E_clISt17integral_constantIbLb1EES18_EEDaS13_S14_EUlS13_E_NS1_11comp_targetILNS1_3genE4ELNS1_11target_archE910ELNS1_3gpuE8ELNS1_3repE0EEENS1_30default_config_static_selectorELNS0_4arch9wavefront6targetE0EEEvT1_
		.amdhsa_group_segment_fixed_size 0
		.amdhsa_private_segment_fixed_size 0
		.amdhsa_kernarg_size 128
		.amdhsa_user_sgpr_count 2
		.amdhsa_user_sgpr_dispatch_ptr 0
		.amdhsa_user_sgpr_queue_ptr 0
		.amdhsa_user_sgpr_kernarg_segment_ptr 1
		.amdhsa_user_sgpr_dispatch_id 0
		.amdhsa_user_sgpr_private_segment_size 0
		.amdhsa_wavefront_size32 1
		.amdhsa_uses_dynamic_stack 0
		.amdhsa_enable_private_segment 0
		.amdhsa_system_sgpr_workgroup_id_x 1
		.amdhsa_system_sgpr_workgroup_id_y 0
		.amdhsa_system_sgpr_workgroup_id_z 0
		.amdhsa_system_sgpr_workgroup_info 0
		.amdhsa_system_vgpr_workitem_id 0
		.amdhsa_next_free_vgpr 1
		.amdhsa_next_free_sgpr 1
		.amdhsa_reserve_vcc 0
		.amdhsa_float_round_mode_32 0
		.amdhsa_float_round_mode_16_64 0
		.amdhsa_float_denorm_mode_32 3
		.amdhsa_float_denorm_mode_16_64 3
		.amdhsa_fp16_overflow 0
		.amdhsa_workgroup_processor_mode 1
		.amdhsa_memory_ordered 1
		.amdhsa_forward_progress 1
		.amdhsa_inst_pref_size 0
		.amdhsa_round_robin_scheduling 0
		.amdhsa_exception_fp_ieee_invalid_op 0
		.amdhsa_exception_fp_denorm_src 0
		.amdhsa_exception_fp_ieee_div_zero 0
		.amdhsa_exception_fp_ieee_overflow 0
		.amdhsa_exception_fp_ieee_underflow 0
		.amdhsa_exception_fp_ieee_inexact 0
		.amdhsa_exception_int_div_zero 0
	.end_amdhsa_kernel
	.section	.text._ZN7rocprim17ROCPRIM_400000_NS6detail17trampoline_kernelINS0_14default_configENS1_25partition_config_selectorILNS1_17partition_subalgoE6ExNS0_10empty_typeEbEEZZNS1_14partition_implILS5_6ELb0ES3_mN6thrust23THRUST_200600_302600_NS6detail15normal_iteratorINSA_10device_ptrIxEEEEPS6_SG_NS0_5tupleIJSF_S6_EEENSH_IJSG_SG_EEES6_PlJNSB_9not_fun_tINSB_14equal_to_valueIxEEEEEEE10hipError_tPvRmT3_T4_T5_T6_T7_T9_mT8_P12ihipStream_tbDpT10_ENKUlT_T0_E_clISt17integral_constantIbLb1EES18_EEDaS13_S14_EUlS13_E_NS1_11comp_targetILNS1_3genE4ELNS1_11target_archE910ELNS1_3gpuE8ELNS1_3repE0EEENS1_30default_config_static_selectorELNS0_4arch9wavefront6targetE0EEEvT1_,"axG",@progbits,_ZN7rocprim17ROCPRIM_400000_NS6detail17trampoline_kernelINS0_14default_configENS1_25partition_config_selectorILNS1_17partition_subalgoE6ExNS0_10empty_typeEbEEZZNS1_14partition_implILS5_6ELb0ES3_mN6thrust23THRUST_200600_302600_NS6detail15normal_iteratorINSA_10device_ptrIxEEEEPS6_SG_NS0_5tupleIJSF_S6_EEENSH_IJSG_SG_EEES6_PlJNSB_9not_fun_tINSB_14equal_to_valueIxEEEEEEE10hipError_tPvRmT3_T4_T5_T6_T7_T9_mT8_P12ihipStream_tbDpT10_ENKUlT_T0_E_clISt17integral_constantIbLb1EES18_EEDaS13_S14_EUlS13_E_NS1_11comp_targetILNS1_3genE4ELNS1_11target_archE910ELNS1_3gpuE8ELNS1_3repE0EEENS1_30default_config_static_selectorELNS0_4arch9wavefront6targetE0EEEvT1_,comdat
.Lfunc_end447:
	.size	_ZN7rocprim17ROCPRIM_400000_NS6detail17trampoline_kernelINS0_14default_configENS1_25partition_config_selectorILNS1_17partition_subalgoE6ExNS0_10empty_typeEbEEZZNS1_14partition_implILS5_6ELb0ES3_mN6thrust23THRUST_200600_302600_NS6detail15normal_iteratorINSA_10device_ptrIxEEEEPS6_SG_NS0_5tupleIJSF_S6_EEENSH_IJSG_SG_EEES6_PlJNSB_9not_fun_tINSB_14equal_to_valueIxEEEEEEE10hipError_tPvRmT3_T4_T5_T6_T7_T9_mT8_P12ihipStream_tbDpT10_ENKUlT_T0_E_clISt17integral_constantIbLb1EES18_EEDaS13_S14_EUlS13_E_NS1_11comp_targetILNS1_3genE4ELNS1_11target_archE910ELNS1_3gpuE8ELNS1_3repE0EEENS1_30default_config_static_selectorELNS0_4arch9wavefront6targetE0EEEvT1_, .Lfunc_end447-_ZN7rocprim17ROCPRIM_400000_NS6detail17trampoline_kernelINS0_14default_configENS1_25partition_config_selectorILNS1_17partition_subalgoE6ExNS0_10empty_typeEbEEZZNS1_14partition_implILS5_6ELb0ES3_mN6thrust23THRUST_200600_302600_NS6detail15normal_iteratorINSA_10device_ptrIxEEEEPS6_SG_NS0_5tupleIJSF_S6_EEENSH_IJSG_SG_EEES6_PlJNSB_9not_fun_tINSB_14equal_to_valueIxEEEEEEE10hipError_tPvRmT3_T4_T5_T6_T7_T9_mT8_P12ihipStream_tbDpT10_ENKUlT_T0_E_clISt17integral_constantIbLb1EES18_EEDaS13_S14_EUlS13_E_NS1_11comp_targetILNS1_3genE4ELNS1_11target_archE910ELNS1_3gpuE8ELNS1_3repE0EEENS1_30default_config_static_selectorELNS0_4arch9wavefront6targetE0EEEvT1_
                                        ; -- End function
	.set _ZN7rocprim17ROCPRIM_400000_NS6detail17trampoline_kernelINS0_14default_configENS1_25partition_config_selectorILNS1_17partition_subalgoE6ExNS0_10empty_typeEbEEZZNS1_14partition_implILS5_6ELb0ES3_mN6thrust23THRUST_200600_302600_NS6detail15normal_iteratorINSA_10device_ptrIxEEEEPS6_SG_NS0_5tupleIJSF_S6_EEENSH_IJSG_SG_EEES6_PlJNSB_9not_fun_tINSB_14equal_to_valueIxEEEEEEE10hipError_tPvRmT3_T4_T5_T6_T7_T9_mT8_P12ihipStream_tbDpT10_ENKUlT_T0_E_clISt17integral_constantIbLb1EES18_EEDaS13_S14_EUlS13_E_NS1_11comp_targetILNS1_3genE4ELNS1_11target_archE910ELNS1_3gpuE8ELNS1_3repE0EEENS1_30default_config_static_selectorELNS0_4arch9wavefront6targetE0EEEvT1_.num_vgpr, 0
	.set _ZN7rocprim17ROCPRIM_400000_NS6detail17trampoline_kernelINS0_14default_configENS1_25partition_config_selectorILNS1_17partition_subalgoE6ExNS0_10empty_typeEbEEZZNS1_14partition_implILS5_6ELb0ES3_mN6thrust23THRUST_200600_302600_NS6detail15normal_iteratorINSA_10device_ptrIxEEEEPS6_SG_NS0_5tupleIJSF_S6_EEENSH_IJSG_SG_EEES6_PlJNSB_9not_fun_tINSB_14equal_to_valueIxEEEEEEE10hipError_tPvRmT3_T4_T5_T6_T7_T9_mT8_P12ihipStream_tbDpT10_ENKUlT_T0_E_clISt17integral_constantIbLb1EES18_EEDaS13_S14_EUlS13_E_NS1_11comp_targetILNS1_3genE4ELNS1_11target_archE910ELNS1_3gpuE8ELNS1_3repE0EEENS1_30default_config_static_selectorELNS0_4arch9wavefront6targetE0EEEvT1_.num_agpr, 0
	.set _ZN7rocprim17ROCPRIM_400000_NS6detail17trampoline_kernelINS0_14default_configENS1_25partition_config_selectorILNS1_17partition_subalgoE6ExNS0_10empty_typeEbEEZZNS1_14partition_implILS5_6ELb0ES3_mN6thrust23THRUST_200600_302600_NS6detail15normal_iteratorINSA_10device_ptrIxEEEEPS6_SG_NS0_5tupleIJSF_S6_EEENSH_IJSG_SG_EEES6_PlJNSB_9not_fun_tINSB_14equal_to_valueIxEEEEEEE10hipError_tPvRmT3_T4_T5_T6_T7_T9_mT8_P12ihipStream_tbDpT10_ENKUlT_T0_E_clISt17integral_constantIbLb1EES18_EEDaS13_S14_EUlS13_E_NS1_11comp_targetILNS1_3genE4ELNS1_11target_archE910ELNS1_3gpuE8ELNS1_3repE0EEENS1_30default_config_static_selectorELNS0_4arch9wavefront6targetE0EEEvT1_.numbered_sgpr, 0
	.set _ZN7rocprim17ROCPRIM_400000_NS6detail17trampoline_kernelINS0_14default_configENS1_25partition_config_selectorILNS1_17partition_subalgoE6ExNS0_10empty_typeEbEEZZNS1_14partition_implILS5_6ELb0ES3_mN6thrust23THRUST_200600_302600_NS6detail15normal_iteratorINSA_10device_ptrIxEEEEPS6_SG_NS0_5tupleIJSF_S6_EEENSH_IJSG_SG_EEES6_PlJNSB_9not_fun_tINSB_14equal_to_valueIxEEEEEEE10hipError_tPvRmT3_T4_T5_T6_T7_T9_mT8_P12ihipStream_tbDpT10_ENKUlT_T0_E_clISt17integral_constantIbLb1EES18_EEDaS13_S14_EUlS13_E_NS1_11comp_targetILNS1_3genE4ELNS1_11target_archE910ELNS1_3gpuE8ELNS1_3repE0EEENS1_30default_config_static_selectorELNS0_4arch9wavefront6targetE0EEEvT1_.num_named_barrier, 0
	.set _ZN7rocprim17ROCPRIM_400000_NS6detail17trampoline_kernelINS0_14default_configENS1_25partition_config_selectorILNS1_17partition_subalgoE6ExNS0_10empty_typeEbEEZZNS1_14partition_implILS5_6ELb0ES3_mN6thrust23THRUST_200600_302600_NS6detail15normal_iteratorINSA_10device_ptrIxEEEEPS6_SG_NS0_5tupleIJSF_S6_EEENSH_IJSG_SG_EEES6_PlJNSB_9not_fun_tINSB_14equal_to_valueIxEEEEEEE10hipError_tPvRmT3_T4_T5_T6_T7_T9_mT8_P12ihipStream_tbDpT10_ENKUlT_T0_E_clISt17integral_constantIbLb1EES18_EEDaS13_S14_EUlS13_E_NS1_11comp_targetILNS1_3genE4ELNS1_11target_archE910ELNS1_3gpuE8ELNS1_3repE0EEENS1_30default_config_static_selectorELNS0_4arch9wavefront6targetE0EEEvT1_.private_seg_size, 0
	.set _ZN7rocprim17ROCPRIM_400000_NS6detail17trampoline_kernelINS0_14default_configENS1_25partition_config_selectorILNS1_17partition_subalgoE6ExNS0_10empty_typeEbEEZZNS1_14partition_implILS5_6ELb0ES3_mN6thrust23THRUST_200600_302600_NS6detail15normal_iteratorINSA_10device_ptrIxEEEEPS6_SG_NS0_5tupleIJSF_S6_EEENSH_IJSG_SG_EEES6_PlJNSB_9not_fun_tINSB_14equal_to_valueIxEEEEEEE10hipError_tPvRmT3_T4_T5_T6_T7_T9_mT8_P12ihipStream_tbDpT10_ENKUlT_T0_E_clISt17integral_constantIbLb1EES18_EEDaS13_S14_EUlS13_E_NS1_11comp_targetILNS1_3genE4ELNS1_11target_archE910ELNS1_3gpuE8ELNS1_3repE0EEENS1_30default_config_static_selectorELNS0_4arch9wavefront6targetE0EEEvT1_.uses_vcc, 0
	.set _ZN7rocprim17ROCPRIM_400000_NS6detail17trampoline_kernelINS0_14default_configENS1_25partition_config_selectorILNS1_17partition_subalgoE6ExNS0_10empty_typeEbEEZZNS1_14partition_implILS5_6ELb0ES3_mN6thrust23THRUST_200600_302600_NS6detail15normal_iteratorINSA_10device_ptrIxEEEEPS6_SG_NS0_5tupleIJSF_S6_EEENSH_IJSG_SG_EEES6_PlJNSB_9not_fun_tINSB_14equal_to_valueIxEEEEEEE10hipError_tPvRmT3_T4_T5_T6_T7_T9_mT8_P12ihipStream_tbDpT10_ENKUlT_T0_E_clISt17integral_constantIbLb1EES18_EEDaS13_S14_EUlS13_E_NS1_11comp_targetILNS1_3genE4ELNS1_11target_archE910ELNS1_3gpuE8ELNS1_3repE0EEENS1_30default_config_static_selectorELNS0_4arch9wavefront6targetE0EEEvT1_.uses_flat_scratch, 0
	.set _ZN7rocprim17ROCPRIM_400000_NS6detail17trampoline_kernelINS0_14default_configENS1_25partition_config_selectorILNS1_17partition_subalgoE6ExNS0_10empty_typeEbEEZZNS1_14partition_implILS5_6ELb0ES3_mN6thrust23THRUST_200600_302600_NS6detail15normal_iteratorINSA_10device_ptrIxEEEEPS6_SG_NS0_5tupleIJSF_S6_EEENSH_IJSG_SG_EEES6_PlJNSB_9not_fun_tINSB_14equal_to_valueIxEEEEEEE10hipError_tPvRmT3_T4_T5_T6_T7_T9_mT8_P12ihipStream_tbDpT10_ENKUlT_T0_E_clISt17integral_constantIbLb1EES18_EEDaS13_S14_EUlS13_E_NS1_11comp_targetILNS1_3genE4ELNS1_11target_archE910ELNS1_3gpuE8ELNS1_3repE0EEENS1_30default_config_static_selectorELNS0_4arch9wavefront6targetE0EEEvT1_.has_dyn_sized_stack, 0
	.set _ZN7rocprim17ROCPRIM_400000_NS6detail17trampoline_kernelINS0_14default_configENS1_25partition_config_selectorILNS1_17partition_subalgoE6ExNS0_10empty_typeEbEEZZNS1_14partition_implILS5_6ELb0ES3_mN6thrust23THRUST_200600_302600_NS6detail15normal_iteratorINSA_10device_ptrIxEEEEPS6_SG_NS0_5tupleIJSF_S6_EEENSH_IJSG_SG_EEES6_PlJNSB_9not_fun_tINSB_14equal_to_valueIxEEEEEEE10hipError_tPvRmT3_T4_T5_T6_T7_T9_mT8_P12ihipStream_tbDpT10_ENKUlT_T0_E_clISt17integral_constantIbLb1EES18_EEDaS13_S14_EUlS13_E_NS1_11comp_targetILNS1_3genE4ELNS1_11target_archE910ELNS1_3gpuE8ELNS1_3repE0EEENS1_30default_config_static_selectorELNS0_4arch9wavefront6targetE0EEEvT1_.has_recursion, 0
	.set _ZN7rocprim17ROCPRIM_400000_NS6detail17trampoline_kernelINS0_14default_configENS1_25partition_config_selectorILNS1_17partition_subalgoE6ExNS0_10empty_typeEbEEZZNS1_14partition_implILS5_6ELb0ES3_mN6thrust23THRUST_200600_302600_NS6detail15normal_iteratorINSA_10device_ptrIxEEEEPS6_SG_NS0_5tupleIJSF_S6_EEENSH_IJSG_SG_EEES6_PlJNSB_9not_fun_tINSB_14equal_to_valueIxEEEEEEE10hipError_tPvRmT3_T4_T5_T6_T7_T9_mT8_P12ihipStream_tbDpT10_ENKUlT_T0_E_clISt17integral_constantIbLb1EES18_EEDaS13_S14_EUlS13_E_NS1_11comp_targetILNS1_3genE4ELNS1_11target_archE910ELNS1_3gpuE8ELNS1_3repE0EEENS1_30default_config_static_selectorELNS0_4arch9wavefront6targetE0EEEvT1_.has_indirect_call, 0
	.section	.AMDGPU.csdata,"",@progbits
; Kernel info:
; codeLenInByte = 0
; TotalNumSgprs: 0
; NumVgprs: 0
; ScratchSize: 0
; MemoryBound: 0
; FloatMode: 240
; IeeeMode: 1
; LDSByteSize: 0 bytes/workgroup (compile time only)
; SGPRBlocks: 0
; VGPRBlocks: 0
; NumSGPRsForWavesPerEU: 1
; NumVGPRsForWavesPerEU: 1
; Occupancy: 16
; WaveLimiterHint : 0
; COMPUTE_PGM_RSRC2:SCRATCH_EN: 0
; COMPUTE_PGM_RSRC2:USER_SGPR: 2
; COMPUTE_PGM_RSRC2:TRAP_HANDLER: 0
; COMPUTE_PGM_RSRC2:TGID_X_EN: 1
; COMPUTE_PGM_RSRC2:TGID_Y_EN: 0
; COMPUTE_PGM_RSRC2:TGID_Z_EN: 0
; COMPUTE_PGM_RSRC2:TIDIG_COMP_CNT: 0
	.section	.text._ZN7rocprim17ROCPRIM_400000_NS6detail17trampoline_kernelINS0_14default_configENS1_25partition_config_selectorILNS1_17partition_subalgoE6ExNS0_10empty_typeEbEEZZNS1_14partition_implILS5_6ELb0ES3_mN6thrust23THRUST_200600_302600_NS6detail15normal_iteratorINSA_10device_ptrIxEEEEPS6_SG_NS0_5tupleIJSF_S6_EEENSH_IJSG_SG_EEES6_PlJNSB_9not_fun_tINSB_14equal_to_valueIxEEEEEEE10hipError_tPvRmT3_T4_T5_T6_T7_T9_mT8_P12ihipStream_tbDpT10_ENKUlT_T0_E_clISt17integral_constantIbLb1EES18_EEDaS13_S14_EUlS13_E_NS1_11comp_targetILNS1_3genE3ELNS1_11target_archE908ELNS1_3gpuE7ELNS1_3repE0EEENS1_30default_config_static_selectorELNS0_4arch9wavefront6targetE0EEEvT1_,"axG",@progbits,_ZN7rocprim17ROCPRIM_400000_NS6detail17trampoline_kernelINS0_14default_configENS1_25partition_config_selectorILNS1_17partition_subalgoE6ExNS0_10empty_typeEbEEZZNS1_14partition_implILS5_6ELb0ES3_mN6thrust23THRUST_200600_302600_NS6detail15normal_iteratorINSA_10device_ptrIxEEEEPS6_SG_NS0_5tupleIJSF_S6_EEENSH_IJSG_SG_EEES6_PlJNSB_9not_fun_tINSB_14equal_to_valueIxEEEEEEE10hipError_tPvRmT3_T4_T5_T6_T7_T9_mT8_P12ihipStream_tbDpT10_ENKUlT_T0_E_clISt17integral_constantIbLb1EES18_EEDaS13_S14_EUlS13_E_NS1_11comp_targetILNS1_3genE3ELNS1_11target_archE908ELNS1_3gpuE7ELNS1_3repE0EEENS1_30default_config_static_selectorELNS0_4arch9wavefront6targetE0EEEvT1_,comdat
	.protected	_ZN7rocprim17ROCPRIM_400000_NS6detail17trampoline_kernelINS0_14default_configENS1_25partition_config_selectorILNS1_17partition_subalgoE6ExNS0_10empty_typeEbEEZZNS1_14partition_implILS5_6ELb0ES3_mN6thrust23THRUST_200600_302600_NS6detail15normal_iteratorINSA_10device_ptrIxEEEEPS6_SG_NS0_5tupleIJSF_S6_EEENSH_IJSG_SG_EEES6_PlJNSB_9not_fun_tINSB_14equal_to_valueIxEEEEEEE10hipError_tPvRmT3_T4_T5_T6_T7_T9_mT8_P12ihipStream_tbDpT10_ENKUlT_T0_E_clISt17integral_constantIbLb1EES18_EEDaS13_S14_EUlS13_E_NS1_11comp_targetILNS1_3genE3ELNS1_11target_archE908ELNS1_3gpuE7ELNS1_3repE0EEENS1_30default_config_static_selectorELNS0_4arch9wavefront6targetE0EEEvT1_ ; -- Begin function _ZN7rocprim17ROCPRIM_400000_NS6detail17trampoline_kernelINS0_14default_configENS1_25partition_config_selectorILNS1_17partition_subalgoE6ExNS0_10empty_typeEbEEZZNS1_14partition_implILS5_6ELb0ES3_mN6thrust23THRUST_200600_302600_NS6detail15normal_iteratorINSA_10device_ptrIxEEEEPS6_SG_NS0_5tupleIJSF_S6_EEENSH_IJSG_SG_EEES6_PlJNSB_9not_fun_tINSB_14equal_to_valueIxEEEEEEE10hipError_tPvRmT3_T4_T5_T6_T7_T9_mT8_P12ihipStream_tbDpT10_ENKUlT_T0_E_clISt17integral_constantIbLb1EES18_EEDaS13_S14_EUlS13_E_NS1_11comp_targetILNS1_3genE3ELNS1_11target_archE908ELNS1_3gpuE7ELNS1_3repE0EEENS1_30default_config_static_selectorELNS0_4arch9wavefront6targetE0EEEvT1_
	.globl	_ZN7rocprim17ROCPRIM_400000_NS6detail17trampoline_kernelINS0_14default_configENS1_25partition_config_selectorILNS1_17partition_subalgoE6ExNS0_10empty_typeEbEEZZNS1_14partition_implILS5_6ELb0ES3_mN6thrust23THRUST_200600_302600_NS6detail15normal_iteratorINSA_10device_ptrIxEEEEPS6_SG_NS0_5tupleIJSF_S6_EEENSH_IJSG_SG_EEES6_PlJNSB_9not_fun_tINSB_14equal_to_valueIxEEEEEEE10hipError_tPvRmT3_T4_T5_T6_T7_T9_mT8_P12ihipStream_tbDpT10_ENKUlT_T0_E_clISt17integral_constantIbLb1EES18_EEDaS13_S14_EUlS13_E_NS1_11comp_targetILNS1_3genE3ELNS1_11target_archE908ELNS1_3gpuE7ELNS1_3repE0EEENS1_30default_config_static_selectorELNS0_4arch9wavefront6targetE0EEEvT1_
	.p2align	8
	.type	_ZN7rocprim17ROCPRIM_400000_NS6detail17trampoline_kernelINS0_14default_configENS1_25partition_config_selectorILNS1_17partition_subalgoE6ExNS0_10empty_typeEbEEZZNS1_14partition_implILS5_6ELb0ES3_mN6thrust23THRUST_200600_302600_NS6detail15normal_iteratorINSA_10device_ptrIxEEEEPS6_SG_NS0_5tupleIJSF_S6_EEENSH_IJSG_SG_EEES6_PlJNSB_9not_fun_tINSB_14equal_to_valueIxEEEEEEE10hipError_tPvRmT3_T4_T5_T6_T7_T9_mT8_P12ihipStream_tbDpT10_ENKUlT_T0_E_clISt17integral_constantIbLb1EES18_EEDaS13_S14_EUlS13_E_NS1_11comp_targetILNS1_3genE3ELNS1_11target_archE908ELNS1_3gpuE7ELNS1_3repE0EEENS1_30default_config_static_selectorELNS0_4arch9wavefront6targetE0EEEvT1_,@function
_ZN7rocprim17ROCPRIM_400000_NS6detail17trampoline_kernelINS0_14default_configENS1_25partition_config_selectorILNS1_17partition_subalgoE6ExNS0_10empty_typeEbEEZZNS1_14partition_implILS5_6ELb0ES3_mN6thrust23THRUST_200600_302600_NS6detail15normal_iteratorINSA_10device_ptrIxEEEEPS6_SG_NS0_5tupleIJSF_S6_EEENSH_IJSG_SG_EEES6_PlJNSB_9not_fun_tINSB_14equal_to_valueIxEEEEEEE10hipError_tPvRmT3_T4_T5_T6_T7_T9_mT8_P12ihipStream_tbDpT10_ENKUlT_T0_E_clISt17integral_constantIbLb1EES18_EEDaS13_S14_EUlS13_E_NS1_11comp_targetILNS1_3genE3ELNS1_11target_archE908ELNS1_3gpuE7ELNS1_3repE0EEENS1_30default_config_static_selectorELNS0_4arch9wavefront6targetE0EEEvT1_: ; @_ZN7rocprim17ROCPRIM_400000_NS6detail17trampoline_kernelINS0_14default_configENS1_25partition_config_selectorILNS1_17partition_subalgoE6ExNS0_10empty_typeEbEEZZNS1_14partition_implILS5_6ELb0ES3_mN6thrust23THRUST_200600_302600_NS6detail15normal_iteratorINSA_10device_ptrIxEEEEPS6_SG_NS0_5tupleIJSF_S6_EEENSH_IJSG_SG_EEES6_PlJNSB_9not_fun_tINSB_14equal_to_valueIxEEEEEEE10hipError_tPvRmT3_T4_T5_T6_T7_T9_mT8_P12ihipStream_tbDpT10_ENKUlT_T0_E_clISt17integral_constantIbLb1EES18_EEDaS13_S14_EUlS13_E_NS1_11comp_targetILNS1_3genE3ELNS1_11target_archE908ELNS1_3gpuE7ELNS1_3repE0EEENS1_30default_config_static_selectorELNS0_4arch9wavefront6targetE0EEEvT1_
; %bb.0:
	.section	.rodata,"a",@progbits
	.p2align	6, 0x0
	.amdhsa_kernel _ZN7rocprim17ROCPRIM_400000_NS6detail17trampoline_kernelINS0_14default_configENS1_25partition_config_selectorILNS1_17partition_subalgoE6ExNS0_10empty_typeEbEEZZNS1_14partition_implILS5_6ELb0ES3_mN6thrust23THRUST_200600_302600_NS6detail15normal_iteratorINSA_10device_ptrIxEEEEPS6_SG_NS0_5tupleIJSF_S6_EEENSH_IJSG_SG_EEES6_PlJNSB_9not_fun_tINSB_14equal_to_valueIxEEEEEEE10hipError_tPvRmT3_T4_T5_T6_T7_T9_mT8_P12ihipStream_tbDpT10_ENKUlT_T0_E_clISt17integral_constantIbLb1EES18_EEDaS13_S14_EUlS13_E_NS1_11comp_targetILNS1_3genE3ELNS1_11target_archE908ELNS1_3gpuE7ELNS1_3repE0EEENS1_30default_config_static_selectorELNS0_4arch9wavefront6targetE0EEEvT1_
		.amdhsa_group_segment_fixed_size 0
		.amdhsa_private_segment_fixed_size 0
		.amdhsa_kernarg_size 128
		.amdhsa_user_sgpr_count 2
		.amdhsa_user_sgpr_dispatch_ptr 0
		.amdhsa_user_sgpr_queue_ptr 0
		.amdhsa_user_sgpr_kernarg_segment_ptr 1
		.amdhsa_user_sgpr_dispatch_id 0
		.amdhsa_user_sgpr_private_segment_size 0
		.amdhsa_wavefront_size32 1
		.amdhsa_uses_dynamic_stack 0
		.amdhsa_enable_private_segment 0
		.amdhsa_system_sgpr_workgroup_id_x 1
		.amdhsa_system_sgpr_workgroup_id_y 0
		.amdhsa_system_sgpr_workgroup_id_z 0
		.amdhsa_system_sgpr_workgroup_info 0
		.amdhsa_system_vgpr_workitem_id 0
		.amdhsa_next_free_vgpr 1
		.amdhsa_next_free_sgpr 1
		.amdhsa_reserve_vcc 0
		.amdhsa_float_round_mode_32 0
		.amdhsa_float_round_mode_16_64 0
		.amdhsa_float_denorm_mode_32 3
		.amdhsa_float_denorm_mode_16_64 3
		.amdhsa_fp16_overflow 0
		.amdhsa_workgroup_processor_mode 1
		.amdhsa_memory_ordered 1
		.amdhsa_forward_progress 1
		.amdhsa_inst_pref_size 0
		.amdhsa_round_robin_scheduling 0
		.amdhsa_exception_fp_ieee_invalid_op 0
		.amdhsa_exception_fp_denorm_src 0
		.amdhsa_exception_fp_ieee_div_zero 0
		.amdhsa_exception_fp_ieee_overflow 0
		.amdhsa_exception_fp_ieee_underflow 0
		.amdhsa_exception_fp_ieee_inexact 0
		.amdhsa_exception_int_div_zero 0
	.end_amdhsa_kernel
	.section	.text._ZN7rocprim17ROCPRIM_400000_NS6detail17trampoline_kernelINS0_14default_configENS1_25partition_config_selectorILNS1_17partition_subalgoE6ExNS0_10empty_typeEbEEZZNS1_14partition_implILS5_6ELb0ES3_mN6thrust23THRUST_200600_302600_NS6detail15normal_iteratorINSA_10device_ptrIxEEEEPS6_SG_NS0_5tupleIJSF_S6_EEENSH_IJSG_SG_EEES6_PlJNSB_9not_fun_tINSB_14equal_to_valueIxEEEEEEE10hipError_tPvRmT3_T4_T5_T6_T7_T9_mT8_P12ihipStream_tbDpT10_ENKUlT_T0_E_clISt17integral_constantIbLb1EES18_EEDaS13_S14_EUlS13_E_NS1_11comp_targetILNS1_3genE3ELNS1_11target_archE908ELNS1_3gpuE7ELNS1_3repE0EEENS1_30default_config_static_selectorELNS0_4arch9wavefront6targetE0EEEvT1_,"axG",@progbits,_ZN7rocprim17ROCPRIM_400000_NS6detail17trampoline_kernelINS0_14default_configENS1_25partition_config_selectorILNS1_17partition_subalgoE6ExNS0_10empty_typeEbEEZZNS1_14partition_implILS5_6ELb0ES3_mN6thrust23THRUST_200600_302600_NS6detail15normal_iteratorINSA_10device_ptrIxEEEEPS6_SG_NS0_5tupleIJSF_S6_EEENSH_IJSG_SG_EEES6_PlJNSB_9not_fun_tINSB_14equal_to_valueIxEEEEEEE10hipError_tPvRmT3_T4_T5_T6_T7_T9_mT8_P12ihipStream_tbDpT10_ENKUlT_T0_E_clISt17integral_constantIbLb1EES18_EEDaS13_S14_EUlS13_E_NS1_11comp_targetILNS1_3genE3ELNS1_11target_archE908ELNS1_3gpuE7ELNS1_3repE0EEENS1_30default_config_static_selectorELNS0_4arch9wavefront6targetE0EEEvT1_,comdat
.Lfunc_end448:
	.size	_ZN7rocprim17ROCPRIM_400000_NS6detail17trampoline_kernelINS0_14default_configENS1_25partition_config_selectorILNS1_17partition_subalgoE6ExNS0_10empty_typeEbEEZZNS1_14partition_implILS5_6ELb0ES3_mN6thrust23THRUST_200600_302600_NS6detail15normal_iteratorINSA_10device_ptrIxEEEEPS6_SG_NS0_5tupleIJSF_S6_EEENSH_IJSG_SG_EEES6_PlJNSB_9not_fun_tINSB_14equal_to_valueIxEEEEEEE10hipError_tPvRmT3_T4_T5_T6_T7_T9_mT8_P12ihipStream_tbDpT10_ENKUlT_T0_E_clISt17integral_constantIbLb1EES18_EEDaS13_S14_EUlS13_E_NS1_11comp_targetILNS1_3genE3ELNS1_11target_archE908ELNS1_3gpuE7ELNS1_3repE0EEENS1_30default_config_static_selectorELNS0_4arch9wavefront6targetE0EEEvT1_, .Lfunc_end448-_ZN7rocprim17ROCPRIM_400000_NS6detail17trampoline_kernelINS0_14default_configENS1_25partition_config_selectorILNS1_17partition_subalgoE6ExNS0_10empty_typeEbEEZZNS1_14partition_implILS5_6ELb0ES3_mN6thrust23THRUST_200600_302600_NS6detail15normal_iteratorINSA_10device_ptrIxEEEEPS6_SG_NS0_5tupleIJSF_S6_EEENSH_IJSG_SG_EEES6_PlJNSB_9not_fun_tINSB_14equal_to_valueIxEEEEEEE10hipError_tPvRmT3_T4_T5_T6_T7_T9_mT8_P12ihipStream_tbDpT10_ENKUlT_T0_E_clISt17integral_constantIbLb1EES18_EEDaS13_S14_EUlS13_E_NS1_11comp_targetILNS1_3genE3ELNS1_11target_archE908ELNS1_3gpuE7ELNS1_3repE0EEENS1_30default_config_static_selectorELNS0_4arch9wavefront6targetE0EEEvT1_
                                        ; -- End function
	.set _ZN7rocprim17ROCPRIM_400000_NS6detail17trampoline_kernelINS0_14default_configENS1_25partition_config_selectorILNS1_17partition_subalgoE6ExNS0_10empty_typeEbEEZZNS1_14partition_implILS5_6ELb0ES3_mN6thrust23THRUST_200600_302600_NS6detail15normal_iteratorINSA_10device_ptrIxEEEEPS6_SG_NS0_5tupleIJSF_S6_EEENSH_IJSG_SG_EEES6_PlJNSB_9not_fun_tINSB_14equal_to_valueIxEEEEEEE10hipError_tPvRmT3_T4_T5_T6_T7_T9_mT8_P12ihipStream_tbDpT10_ENKUlT_T0_E_clISt17integral_constantIbLb1EES18_EEDaS13_S14_EUlS13_E_NS1_11comp_targetILNS1_3genE3ELNS1_11target_archE908ELNS1_3gpuE7ELNS1_3repE0EEENS1_30default_config_static_selectorELNS0_4arch9wavefront6targetE0EEEvT1_.num_vgpr, 0
	.set _ZN7rocprim17ROCPRIM_400000_NS6detail17trampoline_kernelINS0_14default_configENS1_25partition_config_selectorILNS1_17partition_subalgoE6ExNS0_10empty_typeEbEEZZNS1_14partition_implILS5_6ELb0ES3_mN6thrust23THRUST_200600_302600_NS6detail15normal_iteratorINSA_10device_ptrIxEEEEPS6_SG_NS0_5tupleIJSF_S6_EEENSH_IJSG_SG_EEES6_PlJNSB_9not_fun_tINSB_14equal_to_valueIxEEEEEEE10hipError_tPvRmT3_T4_T5_T6_T7_T9_mT8_P12ihipStream_tbDpT10_ENKUlT_T0_E_clISt17integral_constantIbLb1EES18_EEDaS13_S14_EUlS13_E_NS1_11comp_targetILNS1_3genE3ELNS1_11target_archE908ELNS1_3gpuE7ELNS1_3repE0EEENS1_30default_config_static_selectorELNS0_4arch9wavefront6targetE0EEEvT1_.num_agpr, 0
	.set _ZN7rocprim17ROCPRIM_400000_NS6detail17trampoline_kernelINS0_14default_configENS1_25partition_config_selectorILNS1_17partition_subalgoE6ExNS0_10empty_typeEbEEZZNS1_14partition_implILS5_6ELb0ES3_mN6thrust23THRUST_200600_302600_NS6detail15normal_iteratorINSA_10device_ptrIxEEEEPS6_SG_NS0_5tupleIJSF_S6_EEENSH_IJSG_SG_EEES6_PlJNSB_9not_fun_tINSB_14equal_to_valueIxEEEEEEE10hipError_tPvRmT3_T4_T5_T6_T7_T9_mT8_P12ihipStream_tbDpT10_ENKUlT_T0_E_clISt17integral_constantIbLb1EES18_EEDaS13_S14_EUlS13_E_NS1_11comp_targetILNS1_3genE3ELNS1_11target_archE908ELNS1_3gpuE7ELNS1_3repE0EEENS1_30default_config_static_selectorELNS0_4arch9wavefront6targetE0EEEvT1_.numbered_sgpr, 0
	.set _ZN7rocprim17ROCPRIM_400000_NS6detail17trampoline_kernelINS0_14default_configENS1_25partition_config_selectorILNS1_17partition_subalgoE6ExNS0_10empty_typeEbEEZZNS1_14partition_implILS5_6ELb0ES3_mN6thrust23THRUST_200600_302600_NS6detail15normal_iteratorINSA_10device_ptrIxEEEEPS6_SG_NS0_5tupleIJSF_S6_EEENSH_IJSG_SG_EEES6_PlJNSB_9not_fun_tINSB_14equal_to_valueIxEEEEEEE10hipError_tPvRmT3_T4_T5_T6_T7_T9_mT8_P12ihipStream_tbDpT10_ENKUlT_T0_E_clISt17integral_constantIbLb1EES18_EEDaS13_S14_EUlS13_E_NS1_11comp_targetILNS1_3genE3ELNS1_11target_archE908ELNS1_3gpuE7ELNS1_3repE0EEENS1_30default_config_static_selectorELNS0_4arch9wavefront6targetE0EEEvT1_.num_named_barrier, 0
	.set _ZN7rocprim17ROCPRIM_400000_NS6detail17trampoline_kernelINS0_14default_configENS1_25partition_config_selectorILNS1_17partition_subalgoE6ExNS0_10empty_typeEbEEZZNS1_14partition_implILS5_6ELb0ES3_mN6thrust23THRUST_200600_302600_NS6detail15normal_iteratorINSA_10device_ptrIxEEEEPS6_SG_NS0_5tupleIJSF_S6_EEENSH_IJSG_SG_EEES6_PlJNSB_9not_fun_tINSB_14equal_to_valueIxEEEEEEE10hipError_tPvRmT3_T4_T5_T6_T7_T9_mT8_P12ihipStream_tbDpT10_ENKUlT_T0_E_clISt17integral_constantIbLb1EES18_EEDaS13_S14_EUlS13_E_NS1_11comp_targetILNS1_3genE3ELNS1_11target_archE908ELNS1_3gpuE7ELNS1_3repE0EEENS1_30default_config_static_selectorELNS0_4arch9wavefront6targetE0EEEvT1_.private_seg_size, 0
	.set _ZN7rocprim17ROCPRIM_400000_NS6detail17trampoline_kernelINS0_14default_configENS1_25partition_config_selectorILNS1_17partition_subalgoE6ExNS0_10empty_typeEbEEZZNS1_14partition_implILS5_6ELb0ES3_mN6thrust23THRUST_200600_302600_NS6detail15normal_iteratorINSA_10device_ptrIxEEEEPS6_SG_NS0_5tupleIJSF_S6_EEENSH_IJSG_SG_EEES6_PlJNSB_9not_fun_tINSB_14equal_to_valueIxEEEEEEE10hipError_tPvRmT3_T4_T5_T6_T7_T9_mT8_P12ihipStream_tbDpT10_ENKUlT_T0_E_clISt17integral_constantIbLb1EES18_EEDaS13_S14_EUlS13_E_NS1_11comp_targetILNS1_3genE3ELNS1_11target_archE908ELNS1_3gpuE7ELNS1_3repE0EEENS1_30default_config_static_selectorELNS0_4arch9wavefront6targetE0EEEvT1_.uses_vcc, 0
	.set _ZN7rocprim17ROCPRIM_400000_NS6detail17trampoline_kernelINS0_14default_configENS1_25partition_config_selectorILNS1_17partition_subalgoE6ExNS0_10empty_typeEbEEZZNS1_14partition_implILS5_6ELb0ES3_mN6thrust23THRUST_200600_302600_NS6detail15normal_iteratorINSA_10device_ptrIxEEEEPS6_SG_NS0_5tupleIJSF_S6_EEENSH_IJSG_SG_EEES6_PlJNSB_9not_fun_tINSB_14equal_to_valueIxEEEEEEE10hipError_tPvRmT3_T4_T5_T6_T7_T9_mT8_P12ihipStream_tbDpT10_ENKUlT_T0_E_clISt17integral_constantIbLb1EES18_EEDaS13_S14_EUlS13_E_NS1_11comp_targetILNS1_3genE3ELNS1_11target_archE908ELNS1_3gpuE7ELNS1_3repE0EEENS1_30default_config_static_selectorELNS0_4arch9wavefront6targetE0EEEvT1_.uses_flat_scratch, 0
	.set _ZN7rocprim17ROCPRIM_400000_NS6detail17trampoline_kernelINS0_14default_configENS1_25partition_config_selectorILNS1_17partition_subalgoE6ExNS0_10empty_typeEbEEZZNS1_14partition_implILS5_6ELb0ES3_mN6thrust23THRUST_200600_302600_NS6detail15normal_iteratorINSA_10device_ptrIxEEEEPS6_SG_NS0_5tupleIJSF_S6_EEENSH_IJSG_SG_EEES6_PlJNSB_9not_fun_tINSB_14equal_to_valueIxEEEEEEE10hipError_tPvRmT3_T4_T5_T6_T7_T9_mT8_P12ihipStream_tbDpT10_ENKUlT_T0_E_clISt17integral_constantIbLb1EES18_EEDaS13_S14_EUlS13_E_NS1_11comp_targetILNS1_3genE3ELNS1_11target_archE908ELNS1_3gpuE7ELNS1_3repE0EEENS1_30default_config_static_selectorELNS0_4arch9wavefront6targetE0EEEvT1_.has_dyn_sized_stack, 0
	.set _ZN7rocprim17ROCPRIM_400000_NS6detail17trampoline_kernelINS0_14default_configENS1_25partition_config_selectorILNS1_17partition_subalgoE6ExNS0_10empty_typeEbEEZZNS1_14partition_implILS5_6ELb0ES3_mN6thrust23THRUST_200600_302600_NS6detail15normal_iteratorINSA_10device_ptrIxEEEEPS6_SG_NS0_5tupleIJSF_S6_EEENSH_IJSG_SG_EEES6_PlJNSB_9not_fun_tINSB_14equal_to_valueIxEEEEEEE10hipError_tPvRmT3_T4_T5_T6_T7_T9_mT8_P12ihipStream_tbDpT10_ENKUlT_T0_E_clISt17integral_constantIbLb1EES18_EEDaS13_S14_EUlS13_E_NS1_11comp_targetILNS1_3genE3ELNS1_11target_archE908ELNS1_3gpuE7ELNS1_3repE0EEENS1_30default_config_static_selectorELNS0_4arch9wavefront6targetE0EEEvT1_.has_recursion, 0
	.set _ZN7rocprim17ROCPRIM_400000_NS6detail17trampoline_kernelINS0_14default_configENS1_25partition_config_selectorILNS1_17partition_subalgoE6ExNS0_10empty_typeEbEEZZNS1_14partition_implILS5_6ELb0ES3_mN6thrust23THRUST_200600_302600_NS6detail15normal_iteratorINSA_10device_ptrIxEEEEPS6_SG_NS0_5tupleIJSF_S6_EEENSH_IJSG_SG_EEES6_PlJNSB_9not_fun_tINSB_14equal_to_valueIxEEEEEEE10hipError_tPvRmT3_T4_T5_T6_T7_T9_mT8_P12ihipStream_tbDpT10_ENKUlT_T0_E_clISt17integral_constantIbLb1EES18_EEDaS13_S14_EUlS13_E_NS1_11comp_targetILNS1_3genE3ELNS1_11target_archE908ELNS1_3gpuE7ELNS1_3repE0EEENS1_30default_config_static_selectorELNS0_4arch9wavefront6targetE0EEEvT1_.has_indirect_call, 0
	.section	.AMDGPU.csdata,"",@progbits
; Kernel info:
; codeLenInByte = 0
; TotalNumSgprs: 0
; NumVgprs: 0
; ScratchSize: 0
; MemoryBound: 0
; FloatMode: 240
; IeeeMode: 1
; LDSByteSize: 0 bytes/workgroup (compile time only)
; SGPRBlocks: 0
; VGPRBlocks: 0
; NumSGPRsForWavesPerEU: 1
; NumVGPRsForWavesPerEU: 1
; Occupancy: 16
; WaveLimiterHint : 0
; COMPUTE_PGM_RSRC2:SCRATCH_EN: 0
; COMPUTE_PGM_RSRC2:USER_SGPR: 2
; COMPUTE_PGM_RSRC2:TRAP_HANDLER: 0
; COMPUTE_PGM_RSRC2:TGID_X_EN: 1
; COMPUTE_PGM_RSRC2:TGID_Y_EN: 0
; COMPUTE_PGM_RSRC2:TGID_Z_EN: 0
; COMPUTE_PGM_RSRC2:TIDIG_COMP_CNT: 0
	.section	.text._ZN7rocprim17ROCPRIM_400000_NS6detail17trampoline_kernelINS0_14default_configENS1_25partition_config_selectorILNS1_17partition_subalgoE6ExNS0_10empty_typeEbEEZZNS1_14partition_implILS5_6ELb0ES3_mN6thrust23THRUST_200600_302600_NS6detail15normal_iteratorINSA_10device_ptrIxEEEEPS6_SG_NS0_5tupleIJSF_S6_EEENSH_IJSG_SG_EEES6_PlJNSB_9not_fun_tINSB_14equal_to_valueIxEEEEEEE10hipError_tPvRmT3_T4_T5_T6_T7_T9_mT8_P12ihipStream_tbDpT10_ENKUlT_T0_E_clISt17integral_constantIbLb1EES18_EEDaS13_S14_EUlS13_E_NS1_11comp_targetILNS1_3genE2ELNS1_11target_archE906ELNS1_3gpuE6ELNS1_3repE0EEENS1_30default_config_static_selectorELNS0_4arch9wavefront6targetE0EEEvT1_,"axG",@progbits,_ZN7rocprim17ROCPRIM_400000_NS6detail17trampoline_kernelINS0_14default_configENS1_25partition_config_selectorILNS1_17partition_subalgoE6ExNS0_10empty_typeEbEEZZNS1_14partition_implILS5_6ELb0ES3_mN6thrust23THRUST_200600_302600_NS6detail15normal_iteratorINSA_10device_ptrIxEEEEPS6_SG_NS0_5tupleIJSF_S6_EEENSH_IJSG_SG_EEES6_PlJNSB_9not_fun_tINSB_14equal_to_valueIxEEEEEEE10hipError_tPvRmT3_T4_T5_T6_T7_T9_mT8_P12ihipStream_tbDpT10_ENKUlT_T0_E_clISt17integral_constantIbLb1EES18_EEDaS13_S14_EUlS13_E_NS1_11comp_targetILNS1_3genE2ELNS1_11target_archE906ELNS1_3gpuE6ELNS1_3repE0EEENS1_30default_config_static_selectorELNS0_4arch9wavefront6targetE0EEEvT1_,comdat
	.protected	_ZN7rocprim17ROCPRIM_400000_NS6detail17trampoline_kernelINS0_14default_configENS1_25partition_config_selectorILNS1_17partition_subalgoE6ExNS0_10empty_typeEbEEZZNS1_14partition_implILS5_6ELb0ES3_mN6thrust23THRUST_200600_302600_NS6detail15normal_iteratorINSA_10device_ptrIxEEEEPS6_SG_NS0_5tupleIJSF_S6_EEENSH_IJSG_SG_EEES6_PlJNSB_9not_fun_tINSB_14equal_to_valueIxEEEEEEE10hipError_tPvRmT3_T4_T5_T6_T7_T9_mT8_P12ihipStream_tbDpT10_ENKUlT_T0_E_clISt17integral_constantIbLb1EES18_EEDaS13_S14_EUlS13_E_NS1_11comp_targetILNS1_3genE2ELNS1_11target_archE906ELNS1_3gpuE6ELNS1_3repE0EEENS1_30default_config_static_selectorELNS0_4arch9wavefront6targetE0EEEvT1_ ; -- Begin function _ZN7rocprim17ROCPRIM_400000_NS6detail17trampoline_kernelINS0_14default_configENS1_25partition_config_selectorILNS1_17partition_subalgoE6ExNS0_10empty_typeEbEEZZNS1_14partition_implILS5_6ELb0ES3_mN6thrust23THRUST_200600_302600_NS6detail15normal_iteratorINSA_10device_ptrIxEEEEPS6_SG_NS0_5tupleIJSF_S6_EEENSH_IJSG_SG_EEES6_PlJNSB_9not_fun_tINSB_14equal_to_valueIxEEEEEEE10hipError_tPvRmT3_T4_T5_T6_T7_T9_mT8_P12ihipStream_tbDpT10_ENKUlT_T0_E_clISt17integral_constantIbLb1EES18_EEDaS13_S14_EUlS13_E_NS1_11comp_targetILNS1_3genE2ELNS1_11target_archE906ELNS1_3gpuE6ELNS1_3repE0EEENS1_30default_config_static_selectorELNS0_4arch9wavefront6targetE0EEEvT1_
	.globl	_ZN7rocprim17ROCPRIM_400000_NS6detail17trampoline_kernelINS0_14default_configENS1_25partition_config_selectorILNS1_17partition_subalgoE6ExNS0_10empty_typeEbEEZZNS1_14partition_implILS5_6ELb0ES3_mN6thrust23THRUST_200600_302600_NS6detail15normal_iteratorINSA_10device_ptrIxEEEEPS6_SG_NS0_5tupleIJSF_S6_EEENSH_IJSG_SG_EEES6_PlJNSB_9not_fun_tINSB_14equal_to_valueIxEEEEEEE10hipError_tPvRmT3_T4_T5_T6_T7_T9_mT8_P12ihipStream_tbDpT10_ENKUlT_T0_E_clISt17integral_constantIbLb1EES18_EEDaS13_S14_EUlS13_E_NS1_11comp_targetILNS1_3genE2ELNS1_11target_archE906ELNS1_3gpuE6ELNS1_3repE0EEENS1_30default_config_static_selectorELNS0_4arch9wavefront6targetE0EEEvT1_
	.p2align	8
	.type	_ZN7rocprim17ROCPRIM_400000_NS6detail17trampoline_kernelINS0_14default_configENS1_25partition_config_selectorILNS1_17partition_subalgoE6ExNS0_10empty_typeEbEEZZNS1_14partition_implILS5_6ELb0ES3_mN6thrust23THRUST_200600_302600_NS6detail15normal_iteratorINSA_10device_ptrIxEEEEPS6_SG_NS0_5tupleIJSF_S6_EEENSH_IJSG_SG_EEES6_PlJNSB_9not_fun_tINSB_14equal_to_valueIxEEEEEEE10hipError_tPvRmT3_T4_T5_T6_T7_T9_mT8_P12ihipStream_tbDpT10_ENKUlT_T0_E_clISt17integral_constantIbLb1EES18_EEDaS13_S14_EUlS13_E_NS1_11comp_targetILNS1_3genE2ELNS1_11target_archE906ELNS1_3gpuE6ELNS1_3repE0EEENS1_30default_config_static_selectorELNS0_4arch9wavefront6targetE0EEEvT1_,@function
_ZN7rocprim17ROCPRIM_400000_NS6detail17trampoline_kernelINS0_14default_configENS1_25partition_config_selectorILNS1_17partition_subalgoE6ExNS0_10empty_typeEbEEZZNS1_14partition_implILS5_6ELb0ES3_mN6thrust23THRUST_200600_302600_NS6detail15normal_iteratorINSA_10device_ptrIxEEEEPS6_SG_NS0_5tupleIJSF_S6_EEENSH_IJSG_SG_EEES6_PlJNSB_9not_fun_tINSB_14equal_to_valueIxEEEEEEE10hipError_tPvRmT3_T4_T5_T6_T7_T9_mT8_P12ihipStream_tbDpT10_ENKUlT_T0_E_clISt17integral_constantIbLb1EES18_EEDaS13_S14_EUlS13_E_NS1_11comp_targetILNS1_3genE2ELNS1_11target_archE906ELNS1_3gpuE6ELNS1_3repE0EEENS1_30default_config_static_selectorELNS0_4arch9wavefront6targetE0EEEvT1_: ; @_ZN7rocprim17ROCPRIM_400000_NS6detail17trampoline_kernelINS0_14default_configENS1_25partition_config_selectorILNS1_17partition_subalgoE6ExNS0_10empty_typeEbEEZZNS1_14partition_implILS5_6ELb0ES3_mN6thrust23THRUST_200600_302600_NS6detail15normal_iteratorINSA_10device_ptrIxEEEEPS6_SG_NS0_5tupleIJSF_S6_EEENSH_IJSG_SG_EEES6_PlJNSB_9not_fun_tINSB_14equal_to_valueIxEEEEEEE10hipError_tPvRmT3_T4_T5_T6_T7_T9_mT8_P12ihipStream_tbDpT10_ENKUlT_T0_E_clISt17integral_constantIbLb1EES18_EEDaS13_S14_EUlS13_E_NS1_11comp_targetILNS1_3genE2ELNS1_11target_archE906ELNS1_3gpuE6ELNS1_3repE0EEENS1_30default_config_static_selectorELNS0_4arch9wavefront6targetE0EEEvT1_
; %bb.0:
	.section	.rodata,"a",@progbits
	.p2align	6, 0x0
	.amdhsa_kernel _ZN7rocprim17ROCPRIM_400000_NS6detail17trampoline_kernelINS0_14default_configENS1_25partition_config_selectorILNS1_17partition_subalgoE6ExNS0_10empty_typeEbEEZZNS1_14partition_implILS5_6ELb0ES3_mN6thrust23THRUST_200600_302600_NS6detail15normal_iteratorINSA_10device_ptrIxEEEEPS6_SG_NS0_5tupleIJSF_S6_EEENSH_IJSG_SG_EEES6_PlJNSB_9not_fun_tINSB_14equal_to_valueIxEEEEEEE10hipError_tPvRmT3_T4_T5_T6_T7_T9_mT8_P12ihipStream_tbDpT10_ENKUlT_T0_E_clISt17integral_constantIbLb1EES18_EEDaS13_S14_EUlS13_E_NS1_11comp_targetILNS1_3genE2ELNS1_11target_archE906ELNS1_3gpuE6ELNS1_3repE0EEENS1_30default_config_static_selectorELNS0_4arch9wavefront6targetE0EEEvT1_
		.amdhsa_group_segment_fixed_size 0
		.amdhsa_private_segment_fixed_size 0
		.amdhsa_kernarg_size 128
		.amdhsa_user_sgpr_count 2
		.amdhsa_user_sgpr_dispatch_ptr 0
		.amdhsa_user_sgpr_queue_ptr 0
		.amdhsa_user_sgpr_kernarg_segment_ptr 1
		.amdhsa_user_sgpr_dispatch_id 0
		.amdhsa_user_sgpr_private_segment_size 0
		.amdhsa_wavefront_size32 1
		.amdhsa_uses_dynamic_stack 0
		.amdhsa_enable_private_segment 0
		.amdhsa_system_sgpr_workgroup_id_x 1
		.amdhsa_system_sgpr_workgroup_id_y 0
		.amdhsa_system_sgpr_workgroup_id_z 0
		.amdhsa_system_sgpr_workgroup_info 0
		.amdhsa_system_vgpr_workitem_id 0
		.amdhsa_next_free_vgpr 1
		.amdhsa_next_free_sgpr 1
		.amdhsa_reserve_vcc 0
		.amdhsa_float_round_mode_32 0
		.amdhsa_float_round_mode_16_64 0
		.amdhsa_float_denorm_mode_32 3
		.amdhsa_float_denorm_mode_16_64 3
		.amdhsa_fp16_overflow 0
		.amdhsa_workgroup_processor_mode 1
		.amdhsa_memory_ordered 1
		.amdhsa_forward_progress 1
		.amdhsa_inst_pref_size 0
		.amdhsa_round_robin_scheduling 0
		.amdhsa_exception_fp_ieee_invalid_op 0
		.amdhsa_exception_fp_denorm_src 0
		.amdhsa_exception_fp_ieee_div_zero 0
		.amdhsa_exception_fp_ieee_overflow 0
		.amdhsa_exception_fp_ieee_underflow 0
		.amdhsa_exception_fp_ieee_inexact 0
		.amdhsa_exception_int_div_zero 0
	.end_amdhsa_kernel
	.section	.text._ZN7rocprim17ROCPRIM_400000_NS6detail17trampoline_kernelINS0_14default_configENS1_25partition_config_selectorILNS1_17partition_subalgoE6ExNS0_10empty_typeEbEEZZNS1_14partition_implILS5_6ELb0ES3_mN6thrust23THRUST_200600_302600_NS6detail15normal_iteratorINSA_10device_ptrIxEEEEPS6_SG_NS0_5tupleIJSF_S6_EEENSH_IJSG_SG_EEES6_PlJNSB_9not_fun_tINSB_14equal_to_valueIxEEEEEEE10hipError_tPvRmT3_T4_T5_T6_T7_T9_mT8_P12ihipStream_tbDpT10_ENKUlT_T0_E_clISt17integral_constantIbLb1EES18_EEDaS13_S14_EUlS13_E_NS1_11comp_targetILNS1_3genE2ELNS1_11target_archE906ELNS1_3gpuE6ELNS1_3repE0EEENS1_30default_config_static_selectorELNS0_4arch9wavefront6targetE0EEEvT1_,"axG",@progbits,_ZN7rocprim17ROCPRIM_400000_NS6detail17trampoline_kernelINS0_14default_configENS1_25partition_config_selectorILNS1_17partition_subalgoE6ExNS0_10empty_typeEbEEZZNS1_14partition_implILS5_6ELb0ES3_mN6thrust23THRUST_200600_302600_NS6detail15normal_iteratorINSA_10device_ptrIxEEEEPS6_SG_NS0_5tupleIJSF_S6_EEENSH_IJSG_SG_EEES6_PlJNSB_9not_fun_tINSB_14equal_to_valueIxEEEEEEE10hipError_tPvRmT3_T4_T5_T6_T7_T9_mT8_P12ihipStream_tbDpT10_ENKUlT_T0_E_clISt17integral_constantIbLb1EES18_EEDaS13_S14_EUlS13_E_NS1_11comp_targetILNS1_3genE2ELNS1_11target_archE906ELNS1_3gpuE6ELNS1_3repE0EEENS1_30default_config_static_selectorELNS0_4arch9wavefront6targetE0EEEvT1_,comdat
.Lfunc_end449:
	.size	_ZN7rocprim17ROCPRIM_400000_NS6detail17trampoline_kernelINS0_14default_configENS1_25partition_config_selectorILNS1_17partition_subalgoE6ExNS0_10empty_typeEbEEZZNS1_14partition_implILS5_6ELb0ES3_mN6thrust23THRUST_200600_302600_NS6detail15normal_iteratorINSA_10device_ptrIxEEEEPS6_SG_NS0_5tupleIJSF_S6_EEENSH_IJSG_SG_EEES6_PlJNSB_9not_fun_tINSB_14equal_to_valueIxEEEEEEE10hipError_tPvRmT3_T4_T5_T6_T7_T9_mT8_P12ihipStream_tbDpT10_ENKUlT_T0_E_clISt17integral_constantIbLb1EES18_EEDaS13_S14_EUlS13_E_NS1_11comp_targetILNS1_3genE2ELNS1_11target_archE906ELNS1_3gpuE6ELNS1_3repE0EEENS1_30default_config_static_selectorELNS0_4arch9wavefront6targetE0EEEvT1_, .Lfunc_end449-_ZN7rocprim17ROCPRIM_400000_NS6detail17trampoline_kernelINS0_14default_configENS1_25partition_config_selectorILNS1_17partition_subalgoE6ExNS0_10empty_typeEbEEZZNS1_14partition_implILS5_6ELb0ES3_mN6thrust23THRUST_200600_302600_NS6detail15normal_iteratorINSA_10device_ptrIxEEEEPS6_SG_NS0_5tupleIJSF_S6_EEENSH_IJSG_SG_EEES6_PlJNSB_9not_fun_tINSB_14equal_to_valueIxEEEEEEE10hipError_tPvRmT3_T4_T5_T6_T7_T9_mT8_P12ihipStream_tbDpT10_ENKUlT_T0_E_clISt17integral_constantIbLb1EES18_EEDaS13_S14_EUlS13_E_NS1_11comp_targetILNS1_3genE2ELNS1_11target_archE906ELNS1_3gpuE6ELNS1_3repE0EEENS1_30default_config_static_selectorELNS0_4arch9wavefront6targetE0EEEvT1_
                                        ; -- End function
	.set _ZN7rocprim17ROCPRIM_400000_NS6detail17trampoline_kernelINS0_14default_configENS1_25partition_config_selectorILNS1_17partition_subalgoE6ExNS0_10empty_typeEbEEZZNS1_14partition_implILS5_6ELb0ES3_mN6thrust23THRUST_200600_302600_NS6detail15normal_iteratorINSA_10device_ptrIxEEEEPS6_SG_NS0_5tupleIJSF_S6_EEENSH_IJSG_SG_EEES6_PlJNSB_9not_fun_tINSB_14equal_to_valueIxEEEEEEE10hipError_tPvRmT3_T4_T5_T6_T7_T9_mT8_P12ihipStream_tbDpT10_ENKUlT_T0_E_clISt17integral_constantIbLb1EES18_EEDaS13_S14_EUlS13_E_NS1_11comp_targetILNS1_3genE2ELNS1_11target_archE906ELNS1_3gpuE6ELNS1_3repE0EEENS1_30default_config_static_selectorELNS0_4arch9wavefront6targetE0EEEvT1_.num_vgpr, 0
	.set _ZN7rocprim17ROCPRIM_400000_NS6detail17trampoline_kernelINS0_14default_configENS1_25partition_config_selectorILNS1_17partition_subalgoE6ExNS0_10empty_typeEbEEZZNS1_14partition_implILS5_6ELb0ES3_mN6thrust23THRUST_200600_302600_NS6detail15normal_iteratorINSA_10device_ptrIxEEEEPS6_SG_NS0_5tupleIJSF_S6_EEENSH_IJSG_SG_EEES6_PlJNSB_9not_fun_tINSB_14equal_to_valueIxEEEEEEE10hipError_tPvRmT3_T4_T5_T6_T7_T9_mT8_P12ihipStream_tbDpT10_ENKUlT_T0_E_clISt17integral_constantIbLb1EES18_EEDaS13_S14_EUlS13_E_NS1_11comp_targetILNS1_3genE2ELNS1_11target_archE906ELNS1_3gpuE6ELNS1_3repE0EEENS1_30default_config_static_selectorELNS0_4arch9wavefront6targetE0EEEvT1_.num_agpr, 0
	.set _ZN7rocprim17ROCPRIM_400000_NS6detail17trampoline_kernelINS0_14default_configENS1_25partition_config_selectorILNS1_17partition_subalgoE6ExNS0_10empty_typeEbEEZZNS1_14partition_implILS5_6ELb0ES3_mN6thrust23THRUST_200600_302600_NS6detail15normal_iteratorINSA_10device_ptrIxEEEEPS6_SG_NS0_5tupleIJSF_S6_EEENSH_IJSG_SG_EEES6_PlJNSB_9not_fun_tINSB_14equal_to_valueIxEEEEEEE10hipError_tPvRmT3_T4_T5_T6_T7_T9_mT8_P12ihipStream_tbDpT10_ENKUlT_T0_E_clISt17integral_constantIbLb1EES18_EEDaS13_S14_EUlS13_E_NS1_11comp_targetILNS1_3genE2ELNS1_11target_archE906ELNS1_3gpuE6ELNS1_3repE0EEENS1_30default_config_static_selectorELNS0_4arch9wavefront6targetE0EEEvT1_.numbered_sgpr, 0
	.set _ZN7rocprim17ROCPRIM_400000_NS6detail17trampoline_kernelINS0_14default_configENS1_25partition_config_selectorILNS1_17partition_subalgoE6ExNS0_10empty_typeEbEEZZNS1_14partition_implILS5_6ELb0ES3_mN6thrust23THRUST_200600_302600_NS6detail15normal_iteratorINSA_10device_ptrIxEEEEPS6_SG_NS0_5tupleIJSF_S6_EEENSH_IJSG_SG_EEES6_PlJNSB_9not_fun_tINSB_14equal_to_valueIxEEEEEEE10hipError_tPvRmT3_T4_T5_T6_T7_T9_mT8_P12ihipStream_tbDpT10_ENKUlT_T0_E_clISt17integral_constantIbLb1EES18_EEDaS13_S14_EUlS13_E_NS1_11comp_targetILNS1_3genE2ELNS1_11target_archE906ELNS1_3gpuE6ELNS1_3repE0EEENS1_30default_config_static_selectorELNS0_4arch9wavefront6targetE0EEEvT1_.num_named_barrier, 0
	.set _ZN7rocprim17ROCPRIM_400000_NS6detail17trampoline_kernelINS0_14default_configENS1_25partition_config_selectorILNS1_17partition_subalgoE6ExNS0_10empty_typeEbEEZZNS1_14partition_implILS5_6ELb0ES3_mN6thrust23THRUST_200600_302600_NS6detail15normal_iteratorINSA_10device_ptrIxEEEEPS6_SG_NS0_5tupleIJSF_S6_EEENSH_IJSG_SG_EEES6_PlJNSB_9not_fun_tINSB_14equal_to_valueIxEEEEEEE10hipError_tPvRmT3_T4_T5_T6_T7_T9_mT8_P12ihipStream_tbDpT10_ENKUlT_T0_E_clISt17integral_constantIbLb1EES18_EEDaS13_S14_EUlS13_E_NS1_11comp_targetILNS1_3genE2ELNS1_11target_archE906ELNS1_3gpuE6ELNS1_3repE0EEENS1_30default_config_static_selectorELNS0_4arch9wavefront6targetE0EEEvT1_.private_seg_size, 0
	.set _ZN7rocprim17ROCPRIM_400000_NS6detail17trampoline_kernelINS0_14default_configENS1_25partition_config_selectorILNS1_17partition_subalgoE6ExNS0_10empty_typeEbEEZZNS1_14partition_implILS5_6ELb0ES3_mN6thrust23THRUST_200600_302600_NS6detail15normal_iteratorINSA_10device_ptrIxEEEEPS6_SG_NS0_5tupleIJSF_S6_EEENSH_IJSG_SG_EEES6_PlJNSB_9not_fun_tINSB_14equal_to_valueIxEEEEEEE10hipError_tPvRmT3_T4_T5_T6_T7_T9_mT8_P12ihipStream_tbDpT10_ENKUlT_T0_E_clISt17integral_constantIbLb1EES18_EEDaS13_S14_EUlS13_E_NS1_11comp_targetILNS1_3genE2ELNS1_11target_archE906ELNS1_3gpuE6ELNS1_3repE0EEENS1_30default_config_static_selectorELNS0_4arch9wavefront6targetE0EEEvT1_.uses_vcc, 0
	.set _ZN7rocprim17ROCPRIM_400000_NS6detail17trampoline_kernelINS0_14default_configENS1_25partition_config_selectorILNS1_17partition_subalgoE6ExNS0_10empty_typeEbEEZZNS1_14partition_implILS5_6ELb0ES3_mN6thrust23THRUST_200600_302600_NS6detail15normal_iteratorINSA_10device_ptrIxEEEEPS6_SG_NS0_5tupleIJSF_S6_EEENSH_IJSG_SG_EEES6_PlJNSB_9not_fun_tINSB_14equal_to_valueIxEEEEEEE10hipError_tPvRmT3_T4_T5_T6_T7_T9_mT8_P12ihipStream_tbDpT10_ENKUlT_T0_E_clISt17integral_constantIbLb1EES18_EEDaS13_S14_EUlS13_E_NS1_11comp_targetILNS1_3genE2ELNS1_11target_archE906ELNS1_3gpuE6ELNS1_3repE0EEENS1_30default_config_static_selectorELNS0_4arch9wavefront6targetE0EEEvT1_.uses_flat_scratch, 0
	.set _ZN7rocprim17ROCPRIM_400000_NS6detail17trampoline_kernelINS0_14default_configENS1_25partition_config_selectorILNS1_17partition_subalgoE6ExNS0_10empty_typeEbEEZZNS1_14partition_implILS5_6ELb0ES3_mN6thrust23THRUST_200600_302600_NS6detail15normal_iteratorINSA_10device_ptrIxEEEEPS6_SG_NS0_5tupleIJSF_S6_EEENSH_IJSG_SG_EEES6_PlJNSB_9not_fun_tINSB_14equal_to_valueIxEEEEEEE10hipError_tPvRmT3_T4_T5_T6_T7_T9_mT8_P12ihipStream_tbDpT10_ENKUlT_T0_E_clISt17integral_constantIbLb1EES18_EEDaS13_S14_EUlS13_E_NS1_11comp_targetILNS1_3genE2ELNS1_11target_archE906ELNS1_3gpuE6ELNS1_3repE0EEENS1_30default_config_static_selectorELNS0_4arch9wavefront6targetE0EEEvT1_.has_dyn_sized_stack, 0
	.set _ZN7rocprim17ROCPRIM_400000_NS6detail17trampoline_kernelINS0_14default_configENS1_25partition_config_selectorILNS1_17partition_subalgoE6ExNS0_10empty_typeEbEEZZNS1_14partition_implILS5_6ELb0ES3_mN6thrust23THRUST_200600_302600_NS6detail15normal_iteratorINSA_10device_ptrIxEEEEPS6_SG_NS0_5tupleIJSF_S6_EEENSH_IJSG_SG_EEES6_PlJNSB_9not_fun_tINSB_14equal_to_valueIxEEEEEEE10hipError_tPvRmT3_T4_T5_T6_T7_T9_mT8_P12ihipStream_tbDpT10_ENKUlT_T0_E_clISt17integral_constantIbLb1EES18_EEDaS13_S14_EUlS13_E_NS1_11comp_targetILNS1_3genE2ELNS1_11target_archE906ELNS1_3gpuE6ELNS1_3repE0EEENS1_30default_config_static_selectorELNS0_4arch9wavefront6targetE0EEEvT1_.has_recursion, 0
	.set _ZN7rocprim17ROCPRIM_400000_NS6detail17trampoline_kernelINS0_14default_configENS1_25partition_config_selectorILNS1_17partition_subalgoE6ExNS0_10empty_typeEbEEZZNS1_14partition_implILS5_6ELb0ES3_mN6thrust23THRUST_200600_302600_NS6detail15normal_iteratorINSA_10device_ptrIxEEEEPS6_SG_NS0_5tupleIJSF_S6_EEENSH_IJSG_SG_EEES6_PlJNSB_9not_fun_tINSB_14equal_to_valueIxEEEEEEE10hipError_tPvRmT3_T4_T5_T6_T7_T9_mT8_P12ihipStream_tbDpT10_ENKUlT_T0_E_clISt17integral_constantIbLb1EES18_EEDaS13_S14_EUlS13_E_NS1_11comp_targetILNS1_3genE2ELNS1_11target_archE906ELNS1_3gpuE6ELNS1_3repE0EEENS1_30default_config_static_selectorELNS0_4arch9wavefront6targetE0EEEvT1_.has_indirect_call, 0
	.section	.AMDGPU.csdata,"",@progbits
; Kernel info:
; codeLenInByte = 0
; TotalNumSgprs: 0
; NumVgprs: 0
; ScratchSize: 0
; MemoryBound: 0
; FloatMode: 240
; IeeeMode: 1
; LDSByteSize: 0 bytes/workgroup (compile time only)
; SGPRBlocks: 0
; VGPRBlocks: 0
; NumSGPRsForWavesPerEU: 1
; NumVGPRsForWavesPerEU: 1
; Occupancy: 16
; WaveLimiterHint : 0
; COMPUTE_PGM_RSRC2:SCRATCH_EN: 0
; COMPUTE_PGM_RSRC2:USER_SGPR: 2
; COMPUTE_PGM_RSRC2:TRAP_HANDLER: 0
; COMPUTE_PGM_RSRC2:TGID_X_EN: 1
; COMPUTE_PGM_RSRC2:TGID_Y_EN: 0
; COMPUTE_PGM_RSRC2:TGID_Z_EN: 0
; COMPUTE_PGM_RSRC2:TIDIG_COMP_CNT: 0
	.section	.text._ZN7rocprim17ROCPRIM_400000_NS6detail17trampoline_kernelINS0_14default_configENS1_25partition_config_selectorILNS1_17partition_subalgoE6ExNS0_10empty_typeEbEEZZNS1_14partition_implILS5_6ELb0ES3_mN6thrust23THRUST_200600_302600_NS6detail15normal_iteratorINSA_10device_ptrIxEEEEPS6_SG_NS0_5tupleIJSF_S6_EEENSH_IJSG_SG_EEES6_PlJNSB_9not_fun_tINSB_14equal_to_valueIxEEEEEEE10hipError_tPvRmT3_T4_T5_T6_T7_T9_mT8_P12ihipStream_tbDpT10_ENKUlT_T0_E_clISt17integral_constantIbLb1EES18_EEDaS13_S14_EUlS13_E_NS1_11comp_targetILNS1_3genE10ELNS1_11target_archE1200ELNS1_3gpuE4ELNS1_3repE0EEENS1_30default_config_static_selectorELNS0_4arch9wavefront6targetE0EEEvT1_,"axG",@progbits,_ZN7rocprim17ROCPRIM_400000_NS6detail17trampoline_kernelINS0_14default_configENS1_25partition_config_selectorILNS1_17partition_subalgoE6ExNS0_10empty_typeEbEEZZNS1_14partition_implILS5_6ELb0ES3_mN6thrust23THRUST_200600_302600_NS6detail15normal_iteratorINSA_10device_ptrIxEEEEPS6_SG_NS0_5tupleIJSF_S6_EEENSH_IJSG_SG_EEES6_PlJNSB_9not_fun_tINSB_14equal_to_valueIxEEEEEEE10hipError_tPvRmT3_T4_T5_T6_T7_T9_mT8_P12ihipStream_tbDpT10_ENKUlT_T0_E_clISt17integral_constantIbLb1EES18_EEDaS13_S14_EUlS13_E_NS1_11comp_targetILNS1_3genE10ELNS1_11target_archE1200ELNS1_3gpuE4ELNS1_3repE0EEENS1_30default_config_static_selectorELNS0_4arch9wavefront6targetE0EEEvT1_,comdat
	.protected	_ZN7rocprim17ROCPRIM_400000_NS6detail17trampoline_kernelINS0_14default_configENS1_25partition_config_selectorILNS1_17partition_subalgoE6ExNS0_10empty_typeEbEEZZNS1_14partition_implILS5_6ELb0ES3_mN6thrust23THRUST_200600_302600_NS6detail15normal_iteratorINSA_10device_ptrIxEEEEPS6_SG_NS0_5tupleIJSF_S6_EEENSH_IJSG_SG_EEES6_PlJNSB_9not_fun_tINSB_14equal_to_valueIxEEEEEEE10hipError_tPvRmT3_T4_T5_T6_T7_T9_mT8_P12ihipStream_tbDpT10_ENKUlT_T0_E_clISt17integral_constantIbLb1EES18_EEDaS13_S14_EUlS13_E_NS1_11comp_targetILNS1_3genE10ELNS1_11target_archE1200ELNS1_3gpuE4ELNS1_3repE0EEENS1_30default_config_static_selectorELNS0_4arch9wavefront6targetE0EEEvT1_ ; -- Begin function _ZN7rocprim17ROCPRIM_400000_NS6detail17trampoline_kernelINS0_14default_configENS1_25partition_config_selectorILNS1_17partition_subalgoE6ExNS0_10empty_typeEbEEZZNS1_14partition_implILS5_6ELb0ES3_mN6thrust23THRUST_200600_302600_NS6detail15normal_iteratorINSA_10device_ptrIxEEEEPS6_SG_NS0_5tupleIJSF_S6_EEENSH_IJSG_SG_EEES6_PlJNSB_9not_fun_tINSB_14equal_to_valueIxEEEEEEE10hipError_tPvRmT3_T4_T5_T6_T7_T9_mT8_P12ihipStream_tbDpT10_ENKUlT_T0_E_clISt17integral_constantIbLb1EES18_EEDaS13_S14_EUlS13_E_NS1_11comp_targetILNS1_3genE10ELNS1_11target_archE1200ELNS1_3gpuE4ELNS1_3repE0EEENS1_30default_config_static_selectorELNS0_4arch9wavefront6targetE0EEEvT1_
	.globl	_ZN7rocprim17ROCPRIM_400000_NS6detail17trampoline_kernelINS0_14default_configENS1_25partition_config_selectorILNS1_17partition_subalgoE6ExNS0_10empty_typeEbEEZZNS1_14partition_implILS5_6ELb0ES3_mN6thrust23THRUST_200600_302600_NS6detail15normal_iteratorINSA_10device_ptrIxEEEEPS6_SG_NS0_5tupleIJSF_S6_EEENSH_IJSG_SG_EEES6_PlJNSB_9not_fun_tINSB_14equal_to_valueIxEEEEEEE10hipError_tPvRmT3_T4_T5_T6_T7_T9_mT8_P12ihipStream_tbDpT10_ENKUlT_T0_E_clISt17integral_constantIbLb1EES18_EEDaS13_S14_EUlS13_E_NS1_11comp_targetILNS1_3genE10ELNS1_11target_archE1200ELNS1_3gpuE4ELNS1_3repE0EEENS1_30default_config_static_selectorELNS0_4arch9wavefront6targetE0EEEvT1_
	.p2align	8
	.type	_ZN7rocprim17ROCPRIM_400000_NS6detail17trampoline_kernelINS0_14default_configENS1_25partition_config_selectorILNS1_17partition_subalgoE6ExNS0_10empty_typeEbEEZZNS1_14partition_implILS5_6ELb0ES3_mN6thrust23THRUST_200600_302600_NS6detail15normal_iteratorINSA_10device_ptrIxEEEEPS6_SG_NS0_5tupleIJSF_S6_EEENSH_IJSG_SG_EEES6_PlJNSB_9not_fun_tINSB_14equal_to_valueIxEEEEEEE10hipError_tPvRmT3_T4_T5_T6_T7_T9_mT8_P12ihipStream_tbDpT10_ENKUlT_T0_E_clISt17integral_constantIbLb1EES18_EEDaS13_S14_EUlS13_E_NS1_11comp_targetILNS1_3genE10ELNS1_11target_archE1200ELNS1_3gpuE4ELNS1_3repE0EEENS1_30default_config_static_selectorELNS0_4arch9wavefront6targetE0EEEvT1_,@function
_ZN7rocprim17ROCPRIM_400000_NS6detail17trampoline_kernelINS0_14default_configENS1_25partition_config_selectorILNS1_17partition_subalgoE6ExNS0_10empty_typeEbEEZZNS1_14partition_implILS5_6ELb0ES3_mN6thrust23THRUST_200600_302600_NS6detail15normal_iteratorINSA_10device_ptrIxEEEEPS6_SG_NS0_5tupleIJSF_S6_EEENSH_IJSG_SG_EEES6_PlJNSB_9not_fun_tINSB_14equal_to_valueIxEEEEEEE10hipError_tPvRmT3_T4_T5_T6_T7_T9_mT8_P12ihipStream_tbDpT10_ENKUlT_T0_E_clISt17integral_constantIbLb1EES18_EEDaS13_S14_EUlS13_E_NS1_11comp_targetILNS1_3genE10ELNS1_11target_archE1200ELNS1_3gpuE4ELNS1_3repE0EEENS1_30default_config_static_selectorELNS0_4arch9wavefront6targetE0EEEvT1_: ; @_ZN7rocprim17ROCPRIM_400000_NS6detail17trampoline_kernelINS0_14default_configENS1_25partition_config_selectorILNS1_17partition_subalgoE6ExNS0_10empty_typeEbEEZZNS1_14partition_implILS5_6ELb0ES3_mN6thrust23THRUST_200600_302600_NS6detail15normal_iteratorINSA_10device_ptrIxEEEEPS6_SG_NS0_5tupleIJSF_S6_EEENSH_IJSG_SG_EEES6_PlJNSB_9not_fun_tINSB_14equal_to_valueIxEEEEEEE10hipError_tPvRmT3_T4_T5_T6_T7_T9_mT8_P12ihipStream_tbDpT10_ENKUlT_T0_E_clISt17integral_constantIbLb1EES18_EEDaS13_S14_EUlS13_E_NS1_11comp_targetILNS1_3genE10ELNS1_11target_archE1200ELNS1_3gpuE4ELNS1_3repE0EEENS1_30default_config_static_selectorELNS0_4arch9wavefront6targetE0EEEvT1_
; %bb.0:
	s_endpgm
	.section	.rodata,"a",@progbits
	.p2align	6, 0x0
	.amdhsa_kernel _ZN7rocprim17ROCPRIM_400000_NS6detail17trampoline_kernelINS0_14default_configENS1_25partition_config_selectorILNS1_17partition_subalgoE6ExNS0_10empty_typeEbEEZZNS1_14partition_implILS5_6ELb0ES3_mN6thrust23THRUST_200600_302600_NS6detail15normal_iteratorINSA_10device_ptrIxEEEEPS6_SG_NS0_5tupleIJSF_S6_EEENSH_IJSG_SG_EEES6_PlJNSB_9not_fun_tINSB_14equal_to_valueIxEEEEEEE10hipError_tPvRmT3_T4_T5_T6_T7_T9_mT8_P12ihipStream_tbDpT10_ENKUlT_T0_E_clISt17integral_constantIbLb1EES18_EEDaS13_S14_EUlS13_E_NS1_11comp_targetILNS1_3genE10ELNS1_11target_archE1200ELNS1_3gpuE4ELNS1_3repE0EEENS1_30default_config_static_selectorELNS0_4arch9wavefront6targetE0EEEvT1_
		.amdhsa_group_segment_fixed_size 0
		.amdhsa_private_segment_fixed_size 0
		.amdhsa_kernarg_size 128
		.amdhsa_user_sgpr_count 2
		.amdhsa_user_sgpr_dispatch_ptr 0
		.amdhsa_user_sgpr_queue_ptr 0
		.amdhsa_user_sgpr_kernarg_segment_ptr 1
		.amdhsa_user_sgpr_dispatch_id 0
		.amdhsa_user_sgpr_private_segment_size 0
		.amdhsa_wavefront_size32 1
		.amdhsa_uses_dynamic_stack 0
		.amdhsa_enable_private_segment 0
		.amdhsa_system_sgpr_workgroup_id_x 1
		.amdhsa_system_sgpr_workgroup_id_y 0
		.amdhsa_system_sgpr_workgroup_id_z 0
		.amdhsa_system_sgpr_workgroup_info 0
		.amdhsa_system_vgpr_workitem_id 0
		.amdhsa_next_free_vgpr 1
		.amdhsa_next_free_sgpr 1
		.amdhsa_reserve_vcc 0
		.amdhsa_float_round_mode_32 0
		.amdhsa_float_round_mode_16_64 0
		.amdhsa_float_denorm_mode_32 3
		.amdhsa_float_denorm_mode_16_64 3
		.amdhsa_fp16_overflow 0
		.amdhsa_workgroup_processor_mode 1
		.amdhsa_memory_ordered 1
		.amdhsa_forward_progress 1
		.amdhsa_inst_pref_size 1
		.amdhsa_round_robin_scheduling 0
		.amdhsa_exception_fp_ieee_invalid_op 0
		.amdhsa_exception_fp_denorm_src 0
		.amdhsa_exception_fp_ieee_div_zero 0
		.amdhsa_exception_fp_ieee_overflow 0
		.amdhsa_exception_fp_ieee_underflow 0
		.amdhsa_exception_fp_ieee_inexact 0
		.amdhsa_exception_int_div_zero 0
	.end_amdhsa_kernel
	.section	.text._ZN7rocprim17ROCPRIM_400000_NS6detail17trampoline_kernelINS0_14default_configENS1_25partition_config_selectorILNS1_17partition_subalgoE6ExNS0_10empty_typeEbEEZZNS1_14partition_implILS5_6ELb0ES3_mN6thrust23THRUST_200600_302600_NS6detail15normal_iteratorINSA_10device_ptrIxEEEEPS6_SG_NS0_5tupleIJSF_S6_EEENSH_IJSG_SG_EEES6_PlJNSB_9not_fun_tINSB_14equal_to_valueIxEEEEEEE10hipError_tPvRmT3_T4_T5_T6_T7_T9_mT8_P12ihipStream_tbDpT10_ENKUlT_T0_E_clISt17integral_constantIbLb1EES18_EEDaS13_S14_EUlS13_E_NS1_11comp_targetILNS1_3genE10ELNS1_11target_archE1200ELNS1_3gpuE4ELNS1_3repE0EEENS1_30default_config_static_selectorELNS0_4arch9wavefront6targetE0EEEvT1_,"axG",@progbits,_ZN7rocprim17ROCPRIM_400000_NS6detail17trampoline_kernelINS0_14default_configENS1_25partition_config_selectorILNS1_17partition_subalgoE6ExNS0_10empty_typeEbEEZZNS1_14partition_implILS5_6ELb0ES3_mN6thrust23THRUST_200600_302600_NS6detail15normal_iteratorINSA_10device_ptrIxEEEEPS6_SG_NS0_5tupleIJSF_S6_EEENSH_IJSG_SG_EEES6_PlJNSB_9not_fun_tINSB_14equal_to_valueIxEEEEEEE10hipError_tPvRmT3_T4_T5_T6_T7_T9_mT8_P12ihipStream_tbDpT10_ENKUlT_T0_E_clISt17integral_constantIbLb1EES18_EEDaS13_S14_EUlS13_E_NS1_11comp_targetILNS1_3genE10ELNS1_11target_archE1200ELNS1_3gpuE4ELNS1_3repE0EEENS1_30default_config_static_selectorELNS0_4arch9wavefront6targetE0EEEvT1_,comdat
.Lfunc_end450:
	.size	_ZN7rocprim17ROCPRIM_400000_NS6detail17trampoline_kernelINS0_14default_configENS1_25partition_config_selectorILNS1_17partition_subalgoE6ExNS0_10empty_typeEbEEZZNS1_14partition_implILS5_6ELb0ES3_mN6thrust23THRUST_200600_302600_NS6detail15normal_iteratorINSA_10device_ptrIxEEEEPS6_SG_NS0_5tupleIJSF_S6_EEENSH_IJSG_SG_EEES6_PlJNSB_9not_fun_tINSB_14equal_to_valueIxEEEEEEE10hipError_tPvRmT3_T4_T5_T6_T7_T9_mT8_P12ihipStream_tbDpT10_ENKUlT_T0_E_clISt17integral_constantIbLb1EES18_EEDaS13_S14_EUlS13_E_NS1_11comp_targetILNS1_3genE10ELNS1_11target_archE1200ELNS1_3gpuE4ELNS1_3repE0EEENS1_30default_config_static_selectorELNS0_4arch9wavefront6targetE0EEEvT1_, .Lfunc_end450-_ZN7rocprim17ROCPRIM_400000_NS6detail17trampoline_kernelINS0_14default_configENS1_25partition_config_selectorILNS1_17partition_subalgoE6ExNS0_10empty_typeEbEEZZNS1_14partition_implILS5_6ELb0ES3_mN6thrust23THRUST_200600_302600_NS6detail15normal_iteratorINSA_10device_ptrIxEEEEPS6_SG_NS0_5tupleIJSF_S6_EEENSH_IJSG_SG_EEES6_PlJNSB_9not_fun_tINSB_14equal_to_valueIxEEEEEEE10hipError_tPvRmT3_T4_T5_T6_T7_T9_mT8_P12ihipStream_tbDpT10_ENKUlT_T0_E_clISt17integral_constantIbLb1EES18_EEDaS13_S14_EUlS13_E_NS1_11comp_targetILNS1_3genE10ELNS1_11target_archE1200ELNS1_3gpuE4ELNS1_3repE0EEENS1_30default_config_static_selectorELNS0_4arch9wavefront6targetE0EEEvT1_
                                        ; -- End function
	.set _ZN7rocprim17ROCPRIM_400000_NS6detail17trampoline_kernelINS0_14default_configENS1_25partition_config_selectorILNS1_17partition_subalgoE6ExNS0_10empty_typeEbEEZZNS1_14partition_implILS5_6ELb0ES3_mN6thrust23THRUST_200600_302600_NS6detail15normal_iteratorINSA_10device_ptrIxEEEEPS6_SG_NS0_5tupleIJSF_S6_EEENSH_IJSG_SG_EEES6_PlJNSB_9not_fun_tINSB_14equal_to_valueIxEEEEEEE10hipError_tPvRmT3_T4_T5_T6_T7_T9_mT8_P12ihipStream_tbDpT10_ENKUlT_T0_E_clISt17integral_constantIbLb1EES18_EEDaS13_S14_EUlS13_E_NS1_11comp_targetILNS1_3genE10ELNS1_11target_archE1200ELNS1_3gpuE4ELNS1_3repE0EEENS1_30default_config_static_selectorELNS0_4arch9wavefront6targetE0EEEvT1_.num_vgpr, 0
	.set _ZN7rocprim17ROCPRIM_400000_NS6detail17trampoline_kernelINS0_14default_configENS1_25partition_config_selectorILNS1_17partition_subalgoE6ExNS0_10empty_typeEbEEZZNS1_14partition_implILS5_6ELb0ES3_mN6thrust23THRUST_200600_302600_NS6detail15normal_iteratorINSA_10device_ptrIxEEEEPS6_SG_NS0_5tupleIJSF_S6_EEENSH_IJSG_SG_EEES6_PlJNSB_9not_fun_tINSB_14equal_to_valueIxEEEEEEE10hipError_tPvRmT3_T4_T5_T6_T7_T9_mT8_P12ihipStream_tbDpT10_ENKUlT_T0_E_clISt17integral_constantIbLb1EES18_EEDaS13_S14_EUlS13_E_NS1_11comp_targetILNS1_3genE10ELNS1_11target_archE1200ELNS1_3gpuE4ELNS1_3repE0EEENS1_30default_config_static_selectorELNS0_4arch9wavefront6targetE0EEEvT1_.num_agpr, 0
	.set _ZN7rocprim17ROCPRIM_400000_NS6detail17trampoline_kernelINS0_14default_configENS1_25partition_config_selectorILNS1_17partition_subalgoE6ExNS0_10empty_typeEbEEZZNS1_14partition_implILS5_6ELb0ES3_mN6thrust23THRUST_200600_302600_NS6detail15normal_iteratorINSA_10device_ptrIxEEEEPS6_SG_NS0_5tupleIJSF_S6_EEENSH_IJSG_SG_EEES6_PlJNSB_9not_fun_tINSB_14equal_to_valueIxEEEEEEE10hipError_tPvRmT3_T4_T5_T6_T7_T9_mT8_P12ihipStream_tbDpT10_ENKUlT_T0_E_clISt17integral_constantIbLb1EES18_EEDaS13_S14_EUlS13_E_NS1_11comp_targetILNS1_3genE10ELNS1_11target_archE1200ELNS1_3gpuE4ELNS1_3repE0EEENS1_30default_config_static_selectorELNS0_4arch9wavefront6targetE0EEEvT1_.numbered_sgpr, 0
	.set _ZN7rocprim17ROCPRIM_400000_NS6detail17trampoline_kernelINS0_14default_configENS1_25partition_config_selectorILNS1_17partition_subalgoE6ExNS0_10empty_typeEbEEZZNS1_14partition_implILS5_6ELb0ES3_mN6thrust23THRUST_200600_302600_NS6detail15normal_iteratorINSA_10device_ptrIxEEEEPS6_SG_NS0_5tupleIJSF_S6_EEENSH_IJSG_SG_EEES6_PlJNSB_9not_fun_tINSB_14equal_to_valueIxEEEEEEE10hipError_tPvRmT3_T4_T5_T6_T7_T9_mT8_P12ihipStream_tbDpT10_ENKUlT_T0_E_clISt17integral_constantIbLb1EES18_EEDaS13_S14_EUlS13_E_NS1_11comp_targetILNS1_3genE10ELNS1_11target_archE1200ELNS1_3gpuE4ELNS1_3repE0EEENS1_30default_config_static_selectorELNS0_4arch9wavefront6targetE0EEEvT1_.num_named_barrier, 0
	.set _ZN7rocprim17ROCPRIM_400000_NS6detail17trampoline_kernelINS0_14default_configENS1_25partition_config_selectorILNS1_17partition_subalgoE6ExNS0_10empty_typeEbEEZZNS1_14partition_implILS5_6ELb0ES3_mN6thrust23THRUST_200600_302600_NS6detail15normal_iteratorINSA_10device_ptrIxEEEEPS6_SG_NS0_5tupleIJSF_S6_EEENSH_IJSG_SG_EEES6_PlJNSB_9not_fun_tINSB_14equal_to_valueIxEEEEEEE10hipError_tPvRmT3_T4_T5_T6_T7_T9_mT8_P12ihipStream_tbDpT10_ENKUlT_T0_E_clISt17integral_constantIbLb1EES18_EEDaS13_S14_EUlS13_E_NS1_11comp_targetILNS1_3genE10ELNS1_11target_archE1200ELNS1_3gpuE4ELNS1_3repE0EEENS1_30default_config_static_selectorELNS0_4arch9wavefront6targetE0EEEvT1_.private_seg_size, 0
	.set _ZN7rocprim17ROCPRIM_400000_NS6detail17trampoline_kernelINS0_14default_configENS1_25partition_config_selectorILNS1_17partition_subalgoE6ExNS0_10empty_typeEbEEZZNS1_14partition_implILS5_6ELb0ES3_mN6thrust23THRUST_200600_302600_NS6detail15normal_iteratorINSA_10device_ptrIxEEEEPS6_SG_NS0_5tupleIJSF_S6_EEENSH_IJSG_SG_EEES6_PlJNSB_9not_fun_tINSB_14equal_to_valueIxEEEEEEE10hipError_tPvRmT3_T4_T5_T6_T7_T9_mT8_P12ihipStream_tbDpT10_ENKUlT_T0_E_clISt17integral_constantIbLb1EES18_EEDaS13_S14_EUlS13_E_NS1_11comp_targetILNS1_3genE10ELNS1_11target_archE1200ELNS1_3gpuE4ELNS1_3repE0EEENS1_30default_config_static_selectorELNS0_4arch9wavefront6targetE0EEEvT1_.uses_vcc, 0
	.set _ZN7rocprim17ROCPRIM_400000_NS6detail17trampoline_kernelINS0_14default_configENS1_25partition_config_selectorILNS1_17partition_subalgoE6ExNS0_10empty_typeEbEEZZNS1_14partition_implILS5_6ELb0ES3_mN6thrust23THRUST_200600_302600_NS6detail15normal_iteratorINSA_10device_ptrIxEEEEPS6_SG_NS0_5tupleIJSF_S6_EEENSH_IJSG_SG_EEES6_PlJNSB_9not_fun_tINSB_14equal_to_valueIxEEEEEEE10hipError_tPvRmT3_T4_T5_T6_T7_T9_mT8_P12ihipStream_tbDpT10_ENKUlT_T0_E_clISt17integral_constantIbLb1EES18_EEDaS13_S14_EUlS13_E_NS1_11comp_targetILNS1_3genE10ELNS1_11target_archE1200ELNS1_3gpuE4ELNS1_3repE0EEENS1_30default_config_static_selectorELNS0_4arch9wavefront6targetE0EEEvT1_.uses_flat_scratch, 0
	.set _ZN7rocprim17ROCPRIM_400000_NS6detail17trampoline_kernelINS0_14default_configENS1_25partition_config_selectorILNS1_17partition_subalgoE6ExNS0_10empty_typeEbEEZZNS1_14partition_implILS5_6ELb0ES3_mN6thrust23THRUST_200600_302600_NS6detail15normal_iteratorINSA_10device_ptrIxEEEEPS6_SG_NS0_5tupleIJSF_S6_EEENSH_IJSG_SG_EEES6_PlJNSB_9not_fun_tINSB_14equal_to_valueIxEEEEEEE10hipError_tPvRmT3_T4_T5_T6_T7_T9_mT8_P12ihipStream_tbDpT10_ENKUlT_T0_E_clISt17integral_constantIbLb1EES18_EEDaS13_S14_EUlS13_E_NS1_11comp_targetILNS1_3genE10ELNS1_11target_archE1200ELNS1_3gpuE4ELNS1_3repE0EEENS1_30default_config_static_selectorELNS0_4arch9wavefront6targetE0EEEvT1_.has_dyn_sized_stack, 0
	.set _ZN7rocprim17ROCPRIM_400000_NS6detail17trampoline_kernelINS0_14default_configENS1_25partition_config_selectorILNS1_17partition_subalgoE6ExNS0_10empty_typeEbEEZZNS1_14partition_implILS5_6ELb0ES3_mN6thrust23THRUST_200600_302600_NS6detail15normal_iteratorINSA_10device_ptrIxEEEEPS6_SG_NS0_5tupleIJSF_S6_EEENSH_IJSG_SG_EEES6_PlJNSB_9not_fun_tINSB_14equal_to_valueIxEEEEEEE10hipError_tPvRmT3_T4_T5_T6_T7_T9_mT8_P12ihipStream_tbDpT10_ENKUlT_T0_E_clISt17integral_constantIbLb1EES18_EEDaS13_S14_EUlS13_E_NS1_11comp_targetILNS1_3genE10ELNS1_11target_archE1200ELNS1_3gpuE4ELNS1_3repE0EEENS1_30default_config_static_selectorELNS0_4arch9wavefront6targetE0EEEvT1_.has_recursion, 0
	.set _ZN7rocprim17ROCPRIM_400000_NS6detail17trampoline_kernelINS0_14default_configENS1_25partition_config_selectorILNS1_17partition_subalgoE6ExNS0_10empty_typeEbEEZZNS1_14partition_implILS5_6ELb0ES3_mN6thrust23THRUST_200600_302600_NS6detail15normal_iteratorINSA_10device_ptrIxEEEEPS6_SG_NS0_5tupleIJSF_S6_EEENSH_IJSG_SG_EEES6_PlJNSB_9not_fun_tINSB_14equal_to_valueIxEEEEEEE10hipError_tPvRmT3_T4_T5_T6_T7_T9_mT8_P12ihipStream_tbDpT10_ENKUlT_T0_E_clISt17integral_constantIbLb1EES18_EEDaS13_S14_EUlS13_E_NS1_11comp_targetILNS1_3genE10ELNS1_11target_archE1200ELNS1_3gpuE4ELNS1_3repE0EEENS1_30default_config_static_selectorELNS0_4arch9wavefront6targetE0EEEvT1_.has_indirect_call, 0
	.section	.AMDGPU.csdata,"",@progbits
; Kernel info:
; codeLenInByte = 4
; TotalNumSgprs: 0
; NumVgprs: 0
; ScratchSize: 0
; MemoryBound: 0
; FloatMode: 240
; IeeeMode: 1
; LDSByteSize: 0 bytes/workgroup (compile time only)
; SGPRBlocks: 0
; VGPRBlocks: 0
; NumSGPRsForWavesPerEU: 1
; NumVGPRsForWavesPerEU: 1
; Occupancy: 16
; WaveLimiterHint : 0
; COMPUTE_PGM_RSRC2:SCRATCH_EN: 0
; COMPUTE_PGM_RSRC2:USER_SGPR: 2
; COMPUTE_PGM_RSRC2:TRAP_HANDLER: 0
; COMPUTE_PGM_RSRC2:TGID_X_EN: 1
; COMPUTE_PGM_RSRC2:TGID_Y_EN: 0
; COMPUTE_PGM_RSRC2:TGID_Z_EN: 0
; COMPUTE_PGM_RSRC2:TIDIG_COMP_CNT: 0
	.section	.text._ZN7rocprim17ROCPRIM_400000_NS6detail17trampoline_kernelINS0_14default_configENS1_25partition_config_selectorILNS1_17partition_subalgoE6ExNS0_10empty_typeEbEEZZNS1_14partition_implILS5_6ELb0ES3_mN6thrust23THRUST_200600_302600_NS6detail15normal_iteratorINSA_10device_ptrIxEEEEPS6_SG_NS0_5tupleIJSF_S6_EEENSH_IJSG_SG_EEES6_PlJNSB_9not_fun_tINSB_14equal_to_valueIxEEEEEEE10hipError_tPvRmT3_T4_T5_T6_T7_T9_mT8_P12ihipStream_tbDpT10_ENKUlT_T0_E_clISt17integral_constantIbLb1EES18_EEDaS13_S14_EUlS13_E_NS1_11comp_targetILNS1_3genE9ELNS1_11target_archE1100ELNS1_3gpuE3ELNS1_3repE0EEENS1_30default_config_static_selectorELNS0_4arch9wavefront6targetE0EEEvT1_,"axG",@progbits,_ZN7rocprim17ROCPRIM_400000_NS6detail17trampoline_kernelINS0_14default_configENS1_25partition_config_selectorILNS1_17partition_subalgoE6ExNS0_10empty_typeEbEEZZNS1_14partition_implILS5_6ELb0ES3_mN6thrust23THRUST_200600_302600_NS6detail15normal_iteratorINSA_10device_ptrIxEEEEPS6_SG_NS0_5tupleIJSF_S6_EEENSH_IJSG_SG_EEES6_PlJNSB_9not_fun_tINSB_14equal_to_valueIxEEEEEEE10hipError_tPvRmT3_T4_T5_T6_T7_T9_mT8_P12ihipStream_tbDpT10_ENKUlT_T0_E_clISt17integral_constantIbLb1EES18_EEDaS13_S14_EUlS13_E_NS1_11comp_targetILNS1_3genE9ELNS1_11target_archE1100ELNS1_3gpuE3ELNS1_3repE0EEENS1_30default_config_static_selectorELNS0_4arch9wavefront6targetE0EEEvT1_,comdat
	.protected	_ZN7rocprim17ROCPRIM_400000_NS6detail17trampoline_kernelINS0_14default_configENS1_25partition_config_selectorILNS1_17partition_subalgoE6ExNS0_10empty_typeEbEEZZNS1_14partition_implILS5_6ELb0ES3_mN6thrust23THRUST_200600_302600_NS6detail15normal_iteratorINSA_10device_ptrIxEEEEPS6_SG_NS0_5tupleIJSF_S6_EEENSH_IJSG_SG_EEES6_PlJNSB_9not_fun_tINSB_14equal_to_valueIxEEEEEEE10hipError_tPvRmT3_T4_T5_T6_T7_T9_mT8_P12ihipStream_tbDpT10_ENKUlT_T0_E_clISt17integral_constantIbLb1EES18_EEDaS13_S14_EUlS13_E_NS1_11comp_targetILNS1_3genE9ELNS1_11target_archE1100ELNS1_3gpuE3ELNS1_3repE0EEENS1_30default_config_static_selectorELNS0_4arch9wavefront6targetE0EEEvT1_ ; -- Begin function _ZN7rocprim17ROCPRIM_400000_NS6detail17trampoline_kernelINS0_14default_configENS1_25partition_config_selectorILNS1_17partition_subalgoE6ExNS0_10empty_typeEbEEZZNS1_14partition_implILS5_6ELb0ES3_mN6thrust23THRUST_200600_302600_NS6detail15normal_iteratorINSA_10device_ptrIxEEEEPS6_SG_NS0_5tupleIJSF_S6_EEENSH_IJSG_SG_EEES6_PlJNSB_9not_fun_tINSB_14equal_to_valueIxEEEEEEE10hipError_tPvRmT3_T4_T5_T6_T7_T9_mT8_P12ihipStream_tbDpT10_ENKUlT_T0_E_clISt17integral_constantIbLb1EES18_EEDaS13_S14_EUlS13_E_NS1_11comp_targetILNS1_3genE9ELNS1_11target_archE1100ELNS1_3gpuE3ELNS1_3repE0EEENS1_30default_config_static_selectorELNS0_4arch9wavefront6targetE0EEEvT1_
	.globl	_ZN7rocprim17ROCPRIM_400000_NS6detail17trampoline_kernelINS0_14default_configENS1_25partition_config_selectorILNS1_17partition_subalgoE6ExNS0_10empty_typeEbEEZZNS1_14partition_implILS5_6ELb0ES3_mN6thrust23THRUST_200600_302600_NS6detail15normal_iteratorINSA_10device_ptrIxEEEEPS6_SG_NS0_5tupleIJSF_S6_EEENSH_IJSG_SG_EEES6_PlJNSB_9not_fun_tINSB_14equal_to_valueIxEEEEEEE10hipError_tPvRmT3_T4_T5_T6_T7_T9_mT8_P12ihipStream_tbDpT10_ENKUlT_T0_E_clISt17integral_constantIbLb1EES18_EEDaS13_S14_EUlS13_E_NS1_11comp_targetILNS1_3genE9ELNS1_11target_archE1100ELNS1_3gpuE3ELNS1_3repE0EEENS1_30default_config_static_selectorELNS0_4arch9wavefront6targetE0EEEvT1_
	.p2align	8
	.type	_ZN7rocprim17ROCPRIM_400000_NS6detail17trampoline_kernelINS0_14default_configENS1_25partition_config_selectorILNS1_17partition_subalgoE6ExNS0_10empty_typeEbEEZZNS1_14partition_implILS5_6ELb0ES3_mN6thrust23THRUST_200600_302600_NS6detail15normal_iteratorINSA_10device_ptrIxEEEEPS6_SG_NS0_5tupleIJSF_S6_EEENSH_IJSG_SG_EEES6_PlJNSB_9not_fun_tINSB_14equal_to_valueIxEEEEEEE10hipError_tPvRmT3_T4_T5_T6_T7_T9_mT8_P12ihipStream_tbDpT10_ENKUlT_T0_E_clISt17integral_constantIbLb1EES18_EEDaS13_S14_EUlS13_E_NS1_11comp_targetILNS1_3genE9ELNS1_11target_archE1100ELNS1_3gpuE3ELNS1_3repE0EEENS1_30default_config_static_selectorELNS0_4arch9wavefront6targetE0EEEvT1_,@function
_ZN7rocprim17ROCPRIM_400000_NS6detail17trampoline_kernelINS0_14default_configENS1_25partition_config_selectorILNS1_17partition_subalgoE6ExNS0_10empty_typeEbEEZZNS1_14partition_implILS5_6ELb0ES3_mN6thrust23THRUST_200600_302600_NS6detail15normal_iteratorINSA_10device_ptrIxEEEEPS6_SG_NS0_5tupleIJSF_S6_EEENSH_IJSG_SG_EEES6_PlJNSB_9not_fun_tINSB_14equal_to_valueIxEEEEEEE10hipError_tPvRmT3_T4_T5_T6_T7_T9_mT8_P12ihipStream_tbDpT10_ENKUlT_T0_E_clISt17integral_constantIbLb1EES18_EEDaS13_S14_EUlS13_E_NS1_11comp_targetILNS1_3genE9ELNS1_11target_archE1100ELNS1_3gpuE3ELNS1_3repE0EEENS1_30default_config_static_selectorELNS0_4arch9wavefront6targetE0EEEvT1_: ; @_ZN7rocprim17ROCPRIM_400000_NS6detail17trampoline_kernelINS0_14default_configENS1_25partition_config_selectorILNS1_17partition_subalgoE6ExNS0_10empty_typeEbEEZZNS1_14partition_implILS5_6ELb0ES3_mN6thrust23THRUST_200600_302600_NS6detail15normal_iteratorINSA_10device_ptrIxEEEEPS6_SG_NS0_5tupleIJSF_S6_EEENSH_IJSG_SG_EEES6_PlJNSB_9not_fun_tINSB_14equal_to_valueIxEEEEEEE10hipError_tPvRmT3_T4_T5_T6_T7_T9_mT8_P12ihipStream_tbDpT10_ENKUlT_T0_E_clISt17integral_constantIbLb1EES18_EEDaS13_S14_EUlS13_E_NS1_11comp_targetILNS1_3genE9ELNS1_11target_archE1100ELNS1_3gpuE3ELNS1_3repE0EEENS1_30default_config_static_selectorELNS0_4arch9wavefront6targetE0EEEvT1_
; %bb.0:
	.section	.rodata,"a",@progbits
	.p2align	6, 0x0
	.amdhsa_kernel _ZN7rocprim17ROCPRIM_400000_NS6detail17trampoline_kernelINS0_14default_configENS1_25partition_config_selectorILNS1_17partition_subalgoE6ExNS0_10empty_typeEbEEZZNS1_14partition_implILS5_6ELb0ES3_mN6thrust23THRUST_200600_302600_NS6detail15normal_iteratorINSA_10device_ptrIxEEEEPS6_SG_NS0_5tupleIJSF_S6_EEENSH_IJSG_SG_EEES6_PlJNSB_9not_fun_tINSB_14equal_to_valueIxEEEEEEE10hipError_tPvRmT3_T4_T5_T6_T7_T9_mT8_P12ihipStream_tbDpT10_ENKUlT_T0_E_clISt17integral_constantIbLb1EES18_EEDaS13_S14_EUlS13_E_NS1_11comp_targetILNS1_3genE9ELNS1_11target_archE1100ELNS1_3gpuE3ELNS1_3repE0EEENS1_30default_config_static_selectorELNS0_4arch9wavefront6targetE0EEEvT1_
		.amdhsa_group_segment_fixed_size 0
		.amdhsa_private_segment_fixed_size 0
		.amdhsa_kernarg_size 128
		.amdhsa_user_sgpr_count 2
		.amdhsa_user_sgpr_dispatch_ptr 0
		.amdhsa_user_sgpr_queue_ptr 0
		.amdhsa_user_sgpr_kernarg_segment_ptr 1
		.amdhsa_user_sgpr_dispatch_id 0
		.amdhsa_user_sgpr_private_segment_size 0
		.amdhsa_wavefront_size32 1
		.amdhsa_uses_dynamic_stack 0
		.amdhsa_enable_private_segment 0
		.amdhsa_system_sgpr_workgroup_id_x 1
		.amdhsa_system_sgpr_workgroup_id_y 0
		.amdhsa_system_sgpr_workgroup_id_z 0
		.amdhsa_system_sgpr_workgroup_info 0
		.amdhsa_system_vgpr_workitem_id 0
		.amdhsa_next_free_vgpr 1
		.amdhsa_next_free_sgpr 1
		.amdhsa_reserve_vcc 0
		.amdhsa_float_round_mode_32 0
		.amdhsa_float_round_mode_16_64 0
		.amdhsa_float_denorm_mode_32 3
		.amdhsa_float_denorm_mode_16_64 3
		.amdhsa_fp16_overflow 0
		.amdhsa_workgroup_processor_mode 1
		.amdhsa_memory_ordered 1
		.amdhsa_forward_progress 1
		.amdhsa_inst_pref_size 0
		.amdhsa_round_robin_scheduling 0
		.amdhsa_exception_fp_ieee_invalid_op 0
		.amdhsa_exception_fp_denorm_src 0
		.amdhsa_exception_fp_ieee_div_zero 0
		.amdhsa_exception_fp_ieee_overflow 0
		.amdhsa_exception_fp_ieee_underflow 0
		.amdhsa_exception_fp_ieee_inexact 0
		.amdhsa_exception_int_div_zero 0
	.end_amdhsa_kernel
	.section	.text._ZN7rocprim17ROCPRIM_400000_NS6detail17trampoline_kernelINS0_14default_configENS1_25partition_config_selectorILNS1_17partition_subalgoE6ExNS0_10empty_typeEbEEZZNS1_14partition_implILS5_6ELb0ES3_mN6thrust23THRUST_200600_302600_NS6detail15normal_iteratorINSA_10device_ptrIxEEEEPS6_SG_NS0_5tupleIJSF_S6_EEENSH_IJSG_SG_EEES6_PlJNSB_9not_fun_tINSB_14equal_to_valueIxEEEEEEE10hipError_tPvRmT3_T4_T5_T6_T7_T9_mT8_P12ihipStream_tbDpT10_ENKUlT_T0_E_clISt17integral_constantIbLb1EES18_EEDaS13_S14_EUlS13_E_NS1_11comp_targetILNS1_3genE9ELNS1_11target_archE1100ELNS1_3gpuE3ELNS1_3repE0EEENS1_30default_config_static_selectorELNS0_4arch9wavefront6targetE0EEEvT1_,"axG",@progbits,_ZN7rocprim17ROCPRIM_400000_NS6detail17trampoline_kernelINS0_14default_configENS1_25partition_config_selectorILNS1_17partition_subalgoE6ExNS0_10empty_typeEbEEZZNS1_14partition_implILS5_6ELb0ES3_mN6thrust23THRUST_200600_302600_NS6detail15normal_iteratorINSA_10device_ptrIxEEEEPS6_SG_NS0_5tupleIJSF_S6_EEENSH_IJSG_SG_EEES6_PlJNSB_9not_fun_tINSB_14equal_to_valueIxEEEEEEE10hipError_tPvRmT3_T4_T5_T6_T7_T9_mT8_P12ihipStream_tbDpT10_ENKUlT_T0_E_clISt17integral_constantIbLb1EES18_EEDaS13_S14_EUlS13_E_NS1_11comp_targetILNS1_3genE9ELNS1_11target_archE1100ELNS1_3gpuE3ELNS1_3repE0EEENS1_30default_config_static_selectorELNS0_4arch9wavefront6targetE0EEEvT1_,comdat
.Lfunc_end451:
	.size	_ZN7rocprim17ROCPRIM_400000_NS6detail17trampoline_kernelINS0_14default_configENS1_25partition_config_selectorILNS1_17partition_subalgoE6ExNS0_10empty_typeEbEEZZNS1_14partition_implILS5_6ELb0ES3_mN6thrust23THRUST_200600_302600_NS6detail15normal_iteratorINSA_10device_ptrIxEEEEPS6_SG_NS0_5tupleIJSF_S6_EEENSH_IJSG_SG_EEES6_PlJNSB_9not_fun_tINSB_14equal_to_valueIxEEEEEEE10hipError_tPvRmT3_T4_T5_T6_T7_T9_mT8_P12ihipStream_tbDpT10_ENKUlT_T0_E_clISt17integral_constantIbLb1EES18_EEDaS13_S14_EUlS13_E_NS1_11comp_targetILNS1_3genE9ELNS1_11target_archE1100ELNS1_3gpuE3ELNS1_3repE0EEENS1_30default_config_static_selectorELNS0_4arch9wavefront6targetE0EEEvT1_, .Lfunc_end451-_ZN7rocprim17ROCPRIM_400000_NS6detail17trampoline_kernelINS0_14default_configENS1_25partition_config_selectorILNS1_17partition_subalgoE6ExNS0_10empty_typeEbEEZZNS1_14partition_implILS5_6ELb0ES3_mN6thrust23THRUST_200600_302600_NS6detail15normal_iteratorINSA_10device_ptrIxEEEEPS6_SG_NS0_5tupleIJSF_S6_EEENSH_IJSG_SG_EEES6_PlJNSB_9not_fun_tINSB_14equal_to_valueIxEEEEEEE10hipError_tPvRmT3_T4_T5_T6_T7_T9_mT8_P12ihipStream_tbDpT10_ENKUlT_T0_E_clISt17integral_constantIbLb1EES18_EEDaS13_S14_EUlS13_E_NS1_11comp_targetILNS1_3genE9ELNS1_11target_archE1100ELNS1_3gpuE3ELNS1_3repE0EEENS1_30default_config_static_selectorELNS0_4arch9wavefront6targetE0EEEvT1_
                                        ; -- End function
	.set _ZN7rocprim17ROCPRIM_400000_NS6detail17trampoline_kernelINS0_14default_configENS1_25partition_config_selectorILNS1_17partition_subalgoE6ExNS0_10empty_typeEbEEZZNS1_14partition_implILS5_6ELb0ES3_mN6thrust23THRUST_200600_302600_NS6detail15normal_iteratorINSA_10device_ptrIxEEEEPS6_SG_NS0_5tupleIJSF_S6_EEENSH_IJSG_SG_EEES6_PlJNSB_9not_fun_tINSB_14equal_to_valueIxEEEEEEE10hipError_tPvRmT3_T4_T5_T6_T7_T9_mT8_P12ihipStream_tbDpT10_ENKUlT_T0_E_clISt17integral_constantIbLb1EES18_EEDaS13_S14_EUlS13_E_NS1_11comp_targetILNS1_3genE9ELNS1_11target_archE1100ELNS1_3gpuE3ELNS1_3repE0EEENS1_30default_config_static_selectorELNS0_4arch9wavefront6targetE0EEEvT1_.num_vgpr, 0
	.set _ZN7rocprim17ROCPRIM_400000_NS6detail17trampoline_kernelINS0_14default_configENS1_25partition_config_selectorILNS1_17partition_subalgoE6ExNS0_10empty_typeEbEEZZNS1_14partition_implILS5_6ELb0ES3_mN6thrust23THRUST_200600_302600_NS6detail15normal_iteratorINSA_10device_ptrIxEEEEPS6_SG_NS0_5tupleIJSF_S6_EEENSH_IJSG_SG_EEES6_PlJNSB_9not_fun_tINSB_14equal_to_valueIxEEEEEEE10hipError_tPvRmT3_T4_T5_T6_T7_T9_mT8_P12ihipStream_tbDpT10_ENKUlT_T0_E_clISt17integral_constantIbLb1EES18_EEDaS13_S14_EUlS13_E_NS1_11comp_targetILNS1_3genE9ELNS1_11target_archE1100ELNS1_3gpuE3ELNS1_3repE0EEENS1_30default_config_static_selectorELNS0_4arch9wavefront6targetE0EEEvT1_.num_agpr, 0
	.set _ZN7rocprim17ROCPRIM_400000_NS6detail17trampoline_kernelINS0_14default_configENS1_25partition_config_selectorILNS1_17partition_subalgoE6ExNS0_10empty_typeEbEEZZNS1_14partition_implILS5_6ELb0ES3_mN6thrust23THRUST_200600_302600_NS6detail15normal_iteratorINSA_10device_ptrIxEEEEPS6_SG_NS0_5tupleIJSF_S6_EEENSH_IJSG_SG_EEES6_PlJNSB_9not_fun_tINSB_14equal_to_valueIxEEEEEEE10hipError_tPvRmT3_T4_T5_T6_T7_T9_mT8_P12ihipStream_tbDpT10_ENKUlT_T0_E_clISt17integral_constantIbLb1EES18_EEDaS13_S14_EUlS13_E_NS1_11comp_targetILNS1_3genE9ELNS1_11target_archE1100ELNS1_3gpuE3ELNS1_3repE0EEENS1_30default_config_static_selectorELNS0_4arch9wavefront6targetE0EEEvT1_.numbered_sgpr, 0
	.set _ZN7rocprim17ROCPRIM_400000_NS6detail17trampoline_kernelINS0_14default_configENS1_25partition_config_selectorILNS1_17partition_subalgoE6ExNS0_10empty_typeEbEEZZNS1_14partition_implILS5_6ELb0ES3_mN6thrust23THRUST_200600_302600_NS6detail15normal_iteratorINSA_10device_ptrIxEEEEPS6_SG_NS0_5tupleIJSF_S6_EEENSH_IJSG_SG_EEES6_PlJNSB_9not_fun_tINSB_14equal_to_valueIxEEEEEEE10hipError_tPvRmT3_T4_T5_T6_T7_T9_mT8_P12ihipStream_tbDpT10_ENKUlT_T0_E_clISt17integral_constantIbLb1EES18_EEDaS13_S14_EUlS13_E_NS1_11comp_targetILNS1_3genE9ELNS1_11target_archE1100ELNS1_3gpuE3ELNS1_3repE0EEENS1_30default_config_static_selectorELNS0_4arch9wavefront6targetE0EEEvT1_.num_named_barrier, 0
	.set _ZN7rocprim17ROCPRIM_400000_NS6detail17trampoline_kernelINS0_14default_configENS1_25partition_config_selectorILNS1_17partition_subalgoE6ExNS0_10empty_typeEbEEZZNS1_14partition_implILS5_6ELb0ES3_mN6thrust23THRUST_200600_302600_NS6detail15normal_iteratorINSA_10device_ptrIxEEEEPS6_SG_NS0_5tupleIJSF_S6_EEENSH_IJSG_SG_EEES6_PlJNSB_9not_fun_tINSB_14equal_to_valueIxEEEEEEE10hipError_tPvRmT3_T4_T5_T6_T7_T9_mT8_P12ihipStream_tbDpT10_ENKUlT_T0_E_clISt17integral_constantIbLb1EES18_EEDaS13_S14_EUlS13_E_NS1_11comp_targetILNS1_3genE9ELNS1_11target_archE1100ELNS1_3gpuE3ELNS1_3repE0EEENS1_30default_config_static_selectorELNS0_4arch9wavefront6targetE0EEEvT1_.private_seg_size, 0
	.set _ZN7rocprim17ROCPRIM_400000_NS6detail17trampoline_kernelINS0_14default_configENS1_25partition_config_selectorILNS1_17partition_subalgoE6ExNS0_10empty_typeEbEEZZNS1_14partition_implILS5_6ELb0ES3_mN6thrust23THRUST_200600_302600_NS6detail15normal_iteratorINSA_10device_ptrIxEEEEPS6_SG_NS0_5tupleIJSF_S6_EEENSH_IJSG_SG_EEES6_PlJNSB_9not_fun_tINSB_14equal_to_valueIxEEEEEEE10hipError_tPvRmT3_T4_T5_T6_T7_T9_mT8_P12ihipStream_tbDpT10_ENKUlT_T0_E_clISt17integral_constantIbLb1EES18_EEDaS13_S14_EUlS13_E_NS1_11comp_targetILNS1_3genE9ELNS1_11target_archE1100ELNS1_3gpuE3ELNS1_3repE0EEENS1_30default_config_static_selectorELNS0_4arch9wavefront6targetE0EEEvT1_.uses_vcc, 0
	.set _ZN7rocprim17ROCPRIM_400000_NS6detail17trampoline_kernelINS0_14default_configENS1_25partition_config_selectorILNS1_17partition_subalgoE6ExNS0_10empty_typeEbEEZZNS1_14partition_implILS5_6ELb0ES3_mN6thrust23THRUST_200600_302600_NS6detail15normal_iteratorINSA_10device_ptrIxEEEEPS6_SG_NS0_5tupleIJSF_S6_EEENSH_IJSG_SG_EEES6_PlJNSB_9not_fun_tINSB_14equal_to_valueIxEEEEEEE10hipError_tPvRmT3_T4_T5_T6_T7_T9_mT8_P12ihipStream_tbDpT10_ENKUlT_T0_E_clISt17integral_constantIbLb1EES18_EEDaS13_S14_EUlS13_E_NS1_11comp_targetILNS1_3genE9ELNS1_11target_archE1100ELNS1_3gpuE3ELNS1_3repE0EEENS1_30default_config_static_selectorELNS0_4arch9wavefront6targetE0EEEvT1_.uses_flat_scratch, 0
	.set _ZN7rocprim17ROCPRIM_400000_NS6detail17trampoline_kernelINS0_14default_configENS1_25partition_config_selectorILNS1_17partition_subalgoE6ExNS0_10empty_typeEbEEZZNS1_14partition_implILS5_6ELb0ES3_mN6thrust23THRUST_200600_302600_NS6detail15normal_iteratorINSA_10device_ptrIxEEEEPS6_SG_NS0_5tupleIJSF_S6_EEENSH_IJSG_SG_EEES6_PlJNSB_9not_fun_tINSB_14equal_to_valueIxEEEEEEE10hipError_tPvRmT3_T4_T5_T6_T7_T9_mT8_P12ihipStream_tbDpT10_ENKUlT_T0_E_clISt17integral_constantIbLb1EES18_EEDaS13_S14_EUlS13_E_NS1_11comp_targetILNS1_3genE9ELNS1_11target_archE1100ELNS1_3gpuE3ELNS1_3repE0EEENS1_30default_config_static_selectorELNS0_4arch9wavefront6targetE0EEEvT1_.has_dyn_sized_stack, 0
	.set _ZN7rocprim17ROCPRIM_400000_NS6detail17trampoline_kernelINS0_14default_configENS1_25partition_config_selectorILNS1_17partition_subalgoE6ExNS0_10empty_typeEbEEZZNS1_14partition_implILS5_6ELb0ES3_mN6thrust23THRUST_200600_302600_NS6detail15normal_iteratorINSA_10device_ptrIxEEEEPS6_SG_NS0_5tupleIJSF_S6_EEENSH_IJSG_SG_EEES6_PlJNSB_9not_fun_tINSB_14equal_to_valueIxEEEEEEE10hipError_tPvRmT3_T4_T5_T6_T7_T9_mT8_P12ihipStream_tbDpT10_ENKUlT_T0_E_clISt17integral_constantIbLb1EES18_EEDaS13_S14_EUlS13_E_NS1_11comp_targetILNS1_3genE9ELNS1_11target_archE1100ELNS1_3gpuE3ELNS1_3repE0EEENS1_30default_config_static_selectorELNS0_4arch9wavefront6targetE0EEEvT1_.has_recursion, 0
	.set _ZN7rocprim17ROCPRIM_400000_NS6detail17trampoline_kernelINS0_14default_configENS1_25partition_config_selectorILNS1_17partition_subalgoE6ExNS0_10empty_typeEbEEZZNS1_14partition_implILS5_6ELb0ES3_mN6thrust23THRUST_200600_302600_NS6detail15normal_iteratorINSA_10device_ptrIxEEEEPS6_SG_NS0_5tupleIJSF_S6_EEENSH_IJSG_SG_EEES6_PlJNSB_9not_fun_tINSB_14equal_to_valueIxEEEEEEE10hipError_tPvRmT3_T4_T5_T6_T7_T9_mT8_P12ihipStream_tbDpT10_ENKUlT_T0_E_clISt17integral_constantIbLb1EES18_EEDaS13_S14_EUlS13_E_NS1_11comp_targetILNS1_3genE9ELNS1_11target_archE1100ELNS1_3gpuE3ELNS1_3repE0EEENS1_30default_config_static_selectorELNS0_4arch9wavefront6targetE0EEEvT1_.has_indirect_call, 0
	.section	.AMDGPU.csdata,"",@progbits
; Kernel info:
; codeLenInByte = 0
; TotalNumSgprs: 0
; NumVgprs: 0
; ScratchSize: 0
; MemoryBound: 0
; FloatMode: 240
; IeeeMode: 1
; LDSByteSize: 0 bytes/workgroup (compile time only)
; SGPRBlocks: 0
; VGPRBlocks: 0
; NumSGPRsForWavesPerEU: 1
; NumVGPRsForWavesPerEU: 1
; Occupancy: 16
; WaveLimiterHint : 0
; COMPUTE_PGM_RSRC2:SCRATCH_EN: 0
; COMPUTE_PGM_RSRC2:USER_SGPR: 2
; COMPUTE_PGM_RSRC2:TRAP_HANDLER: 0
; COMPUTE_PGM_RSRC2:TGID_X_EN: 1
; COMPUTE_PGM_RSRC2:TGID_Y_EN: 0
; COMPUTE_PGM_RSRC2:TGID_Z_EN: 0
; COMPUTE_PGM_RSRC2:TIDIG_COMP_CNT: 0
	.section	.text._ZN7rocprim17ROCPRIM_400000_NS6detail17trampoline_kernelINS0_14default_configENS1_25partition_config_selectorILNS1_17partition_subalgoE6ExNS0_10empty_typeEbEEZZNS1_14partition_implILS5_6ELb0ES3_mN6thrust23THRUST_200600_302600_NS6detail15normal_iteratorINSA_10device_ptrIxEEEEPS6_SG_NS0_5tupleIJSF_S6_EEENSH_IJSG_SG_EEES6_PlJNSB_9not_fun_tINSB_14equal_to_valueIxEEEEEEE10hipError_tPvRmT3_T4_T5_T6_T7_T9_mT8_P12ihipStream_tbDpT10_ENKUlT_T0_E_clISt17integral_constantIbLb1EES18_EEDaS13_S14_EUlS13_E_NS1_11comp_targetILNS1_3genE8ELNS1_11target_archE1030ELNS1_3gpuE2ELNS1_3repE0EEENS1_30default_config_static_selectorELNS0_4arch9wavefront6targetE0EEEvT1_,"axG",@progbits,_ZN7rocprim17ROCPRIM_400000_NS6detail17trampoline_kernelINS0_14default_configENS1_25partition_config_selectorILNS1_17partition_subalgoE6ExNS0_10empty_typeEbEEZZNS1_14partition_implILS5_6ELb0ES3_mN6thrust23THRUST_200600_302600_NS6detail15normal_iteratorINSA_10device_ptrIxEEEEPS6_SG_NS0_5tupleIJSF_S6_EEENSH_IJSG_SG_EEES6_PlJNSB_9not_fun_tINSB_14equal_to_valueIxEEEEEEE10hipError_tPvRmT3_T4_T5_T6_T7_T9_mT8_P12ihipStream_tbDpT10_ENKUlT_T0_E_clISt17integral_constantIbLb1EES18_EEDaS13_S14_EUlS13_E_NS1_11comp_targetILNS1_3genE8ELNS1_11target_archE1030ELNS1_3gpuE2ELNS1_3repE0EEENS1_30default_config_static_selectorELNS0_4arch9wavefront6targetE0EEEvT1_,comdat
	.protected	_ZN7rocprim17ROCPRIM_400000_NS6detail17trampoline_kernelINS0_14default_configENS1_25partition_config_selectorILNS1_17partition_subalgoE6ExNS0_10empty_typeEbEEZZNS1_14partition_implILS5_6ELb0ES3_mN6thrust23THRUST_200600_302600_NS6detail15normal_iteratorINSA_10device_ptrIxEEEEPS6_SG_NS0_5tupleIJSF_S6_EEENSH_IJSG_SG_EEES6_PlJNSB_9not_fun_tINSB_14equal_to_valueIxEEEEEEE10hipError_tPvRmT3_T4_T5_T6_T7_T9_mT8_P12ihipStream_tbDpT10_ENKUlT_T0_E_clISt17integral_constantIbLb1EES18_EEDaS13_S14_EUlS13_E_NS1_11comp_targetILNS1_3genE8ELNS1_11target_archE1030ELNS1_3gpuE2ELNS1_3repE0EEENS1_30default_config_static_selectorELNS0_4arch9wavefront6targetE0EEEvT1_ ; -- Begin function _ZN7rocprim17ROCPRIM_400000_NS6detail17trampoline_kernelINS0_14default_configENS1_25partition_config_selectorILNS1_17partition_subalgoE6ExNS0_10empty_typeEbEEZZNS1_14partition_implILS5_6ELb0ES3_mN6thrust23THRUST_200600_302600_NS6detail15normal_iteratorINSA_10device_ptrIxEEEEPS6_SG_NS0_5tupleIJSF_S6_EEENSH_IJSG_SG_EEES6_PlJNSB_9not_fun_tINSB_14equal_to_valueIxEEEEEEE10hipError_tPvRmT3_T4_T5_T6_T7_T9_mT8_P12ihipStream_tbDpT10_ENKUlT_T0_E_clISt17integral_constantIbLb1EES18_EEDaS13_S14_EUlS13_E_NS1_11comp_targetILNS1_3genE8ELNS1_11target_archE1030ELNS1_3gpuE2ELNS1_3repE0EEENS1_30default_config_static_selectorELNS0_4arch9wavefront6targetE0EEEvT1_
	.globl	_ZN7rocprim17ROCPRIM_400000_NS6detail17trampoline_kernelINS0_14default_configENS1_25partition_config_selectorILNS1_17partition_subalgoE6ExNS0_10empty_typeEbEEZZNS1_14partition_implILS5_6ELb0ES3_mN6thrust23THRUST_200600_302600_NS6detail15normal_iteratorINSA_10device_ptrIxEEEEPS6_SG_NS0_5tupleIJSF_S6_EEENSH_IJSG_SG_EEES6_PlJNSB_9not_fun_tINSB_14equal_to_valueIxEEEEEEE10hipError_tPvRmT3_T4_T5_T6_T7_T9_mT8_P12ihipStream_tbDpT10_ENKUlT_T0_E_clISt17integral_constantIbLb1EES18_EEDaS13_S14_EUlS13_E_NS1_11comp_targetILNS1_3genE8ELNS1_11target_archE1030ELNS1_3gpuE2ELNS1_3repE0EEENS1_30default_config_static_selectorELNS0_4arch9wavefront6targetE0EEEvT1_
	.p2align	8
	.type	_ZN7rocprim17ROCPRIM_400000_NS6detail17trampoline_kernelINS0_14default_configENS1_25partition_config_selectorILNS1_17partition_subalgoE6ExNS0_10empty_typeEbEEZZNS1_14partition_implILS5_6ELb0ES3_mN6thrust23THRUST_200600_302600_NS6detail15normal_iteratorINSA_10device_ptrIxEEEEPS6_SG_NS0_5tupleIJSF_S6_EEENSH_IJSG_SG_EEES6_PlJNSB_9not_fun_tINSB_14equal_to_valueIxEEEEEEE10hipError_tPvRmT3_T4_T5_T6_T7_T9_mT8_P12ihipStream_tbDpT10_ENKUlT_T0_E_clISt17integral_constantIbLb1EES18_EEDaS13_S14_EUlS13_E_NS1_11comp_targetILNS1_3genE8ELNS1_11target_archE1030ELNS1_3gpuE2ELNS1_3repE0EEENS1_30default_config_static_selectorELNS0_4arch9wavefront6targetE0EEEvT1_,@function
_ZN7rocprim17ROCPRIM_400000_NS6detail17trampoline_kernelINS0_14default_configENS1_25partition_config_selectorILNS1_17partition_subalgoE6ExNS0_10empty_typeEbEEZZNS1_14partition_implILS5_6ELb0ES3_mN6thrust23THRUST_200600_302600_NS6detail15normal_iteratorINSA_10device_ptrIxEEEEPS6_SG_NS0_5tupleIJSF_S6_EEENSH_IJSG_SG_EEES6_PlJNSB_9not_fun_tINSB_14equal_to_valueIxEEEEEEE10hipError_tPvRmT3_T4_T5_T6_T7_T9_mT8_P12ihipStream_tbDpT10_ENKUlT_T0_E_clISt17integral_constantIbLb1EES18_EEDaS13_S14_EUlS13_E_NS1_11comp_targetILNS1_3genE8ELNS1_11target_archE1030ELNS1_3gpuE2ELNS1_3repE0EEENS1_30default_config_static_selectorELNS0_4arch9wavefront6targetE0EEEvT1_: ; @_ZN7rocprim17ROCPRIM_400000_NS6detail17trampoline_kernelINS0_14default_configENS1_25partition_config_selectorILNS1_17partition_subalgoE6ExNS0_10empty_typeEbEEZZNS1_14partition_implILS5_6ELb0ES3_mN6thrust23THRUST_200600_302600_NS6detail15normal_iteratorINSA_10device_ptrIxEEEEPS6_SG_NS0_5tupleIJSF_S6_EEENSH_IJSG_SG_EEES6_PlJNSB_9not_fun_tINSB_14equal_to_valueIxEEEEEEE10hipError_tPvRmT3_T4_T5_T6_T7_T9_mT8_P12ihipStream_tbDpT10_ENKUlT_T0_E_clISt17integral_constantIbLb1EES18_EEDaS13_S14_EUlS13_E_NS1_11comp_targetILNS1_3genE8ELNS1_11target_archE1030ELNS1_3gpuE2ELNS1_3repE0EEENS1_30default_config_static_selectorELNS0_4arch9wavefront6targetE0EEEvT1_
; %bb.0:
	.section	.rodata,"a",@progbits
	.p2align	6, 0x0
	.amdhsa_kernel _ZN7rocprim17ROCPRIM_400000_NS6detail17trampoline_kernelINS0_14default_configENS1_25partition_config_selectorILNS1_17partition_subalgoE6ExNS0_10empty_typeEbEEZZNS1_14partition_implILS5_6ELb0ES3_mN6thrust23THRUST_200600_302600_NS6detail15normal_iteratorINSA_10device_ptrIxEEEEPS6_SG_NS0_5tupleIJSF_S6_EEENSH_IJSG_SG_EEES6_PlJNSB_9not_fun_tINSB_14equal_to_valueIxEEEEEEE10hipError_tPvRmT3_T4_T5_T6_T7_T9_mT8_P12ihipStream_tbDpT10_ENKUlT_T0_E_clISt17integral_constantIbLb1EES18_EEDaS13_S14_EUlS13_E_NS1_11comp_targetILNS1_3genE8ELNS1_11target_archE1030ELNS1_3gpuE2ELNS1_3repE0EEENS1_30default_config_static_selectorELNS0_4arch9wavefront6targetE0EEEvT1_
		.amdhsa_group_segment_fixed_size 0
		.amdhsa_private_segment_fixed_size 0
		.amdhsa_kernarg_size 128
		.amdhsa_user_sgpr_count 2
		.amdhsa_user_sgpr_dispatch_ptr 0
		.amdhsa_user_sgpr_queue_ptr 0
		.amdhsa_user_sgpr_kernarg_segment_ptr 1
		.amdhsa_user_sgpr_dispatch_id 0
		.amdhsa_user_sgpr_private_segment_size 0
		.amdhsa_wavefront_size32 1
		.amdhsa_uses_dynamic_stack 0
		.amdhsa_enable_private_segment 0
		.amdhsa_system_sgpr_workgroup_id_x 1
		.amdhsa_system_sgpr_workgroup_id_y 0
		.amdhsa_system_sgpr_workgroup_id_z 0
		.amdhsa_system_sgpr_workgroup_info 0
		.amdhsa_system_vgpr_workitem_id 0
		.amdhsa_next_free_vgpr 1
		.amdhsa_next_free_sgpr 1
		.amdhsa_reserve_vcc 0
		.amdhsa_float_round_mode_32 0
		.amdhsa_float_round_mode_16_64 0
		.amdhsa_float_denorm_mode_32 3
		.amdhsa_float_denorm_mode_16_64 3
		.amdhsa_fp16_overflow 0
		.amdhsa_workgroup_processor_mode 1
		.amdhsa_memory_ordered 1
		.amdhsa_forward_progress 1
		.amdhsa_inst_pref_size 0
		.amdhsa_round_robin_scheduling 0
		.amdhsa_exception_fp_ieee_invalid_op 0
		.amdhsa_exception_fp_denorm_src 0
		.amdhsa_exception_fp_ieee_div_zero 0
		.amdhsa_exception_fp_ieee_overflow 0
		.amdhsa_exception_fp_ieee_underflow 0
		.amdhsa_exception_fp_ieee_inexact 0
		.amdhsa_exception_int_div_zero 0
	.end_amdhsa_kernel
	.section	.text._ZN7rocprim17ROCPRIM_400000_NS6detail17trampoline_kernelINS0_14default_configENS1_25partition_config_selectorILNS1_17partition_subalgoE6ExNS0_10empty_typeEbEEZZNS1_14partition_implILS5_6ELb0ES3_mN6thrust23THRUST_200600_302600_NS6detail15normal_iteratorINSA_10device_ptrIxEEEEPS6_SG_NS0_5tupleIJSF_S6_EEENSH_IJSG_SG_EEES6_PlJNSB_9not_fun_tINSB_14equal_to_valueIxEEEEEEE10hipError_tPvRmT3_T4_T5_T6_T7_T9_mT8_P12ihipStream_tbDpT10_ENKUlT_T0_E_clISt17integral_constantIbLb1EES18_EEDaS13_S14_EUlS13_E_NS1_11comp_targetILNS1_3genE8ELNS1_11target_archE1030ELNS1_3gpuE2ELNS1_3repE0EEENS1_30default_config_static_selectorELNS0_4arch9wavefront6targetE0EEEvT1_,"axG",@progbits,_ZN7rocprim17ROCPRIM_400000_NS6detail17trampoline_kernelINS0_14default_configENS1_25partition_config_selectorILNS1_17partition_subalgoE6ExNS0_10empty_typeEbEEZZNS1_14partition_implILS5_6ELb0ES3_mN6thrust23THRUST_200600_302600_NS6detail15normal_iteratorINSA_10device_ptrIxEEEEPS6_SG_NS0_5tupleIJSF_S6_EEENSH_IJSG_SG_EEES6_PlJNSB_9not_fun_tINSB_14equal_to_valueIxEEEEEEE10hipError_tPvRmT3_T4_T5_T6_T7_T9_mT8_P12ihipStream_tbDpT10_ENKUlT_T0_E_clISt17integral_constantIbLb1EES18_EEDaS13_S14_EUlS13_E_NS1_11comp_targetILNS1_3genE8ELNS1_11target_archE1030ELNS1_3gpuE2ELNS1_3repE0EEENS1_30default_config_static_selectorELNS0_4arch9wavefront6targetE0EEEvT1_,comdat
.Lfunc_end452:
	.size	_ZN7rocprim17ROCPRIM_400000_NS6detail17trampoline_kernelINS0_14default_configENS1_25partition_config_selectorILNS1_17partition_subalgoE6ExNS0_10empty_typeEbEEZZNS1_14partition_implILS5_6ELb0ES3_mN6thrust23THRUST_200600_302600_NS6detail15normal_iteratorINSA_10device_ptrIxEEEEPS6_SG_NS0_5tupleIJSF_S6_EEENSH_IJSG_SG_EEES6_PlJNSB_9not_fun_tINSB_14equal_to_valueIxEEEEEEE10hipError_tPvRmT3_T4_T5_T6_T7_T9_mT8_P12ihipStream_tbDpT10_ENKUlT_T0_E_clISt17integral_constantIbLb1EES18_EEDaS13_S14_EUlS13_E_NS1_11comp_targetILNS1_3genE8ELNS1_11target_archE1030ELNS1_3gpuE2ELNS1_3repE0EEENS1_30default_config_static_selectorELNS0_4arch9wavefront6targetE0EEEvT1_, .Lfunc_end452-_ZN7rocprim17ROCPRIM_400000_NS6detail17trampoline_kernelINS0_14default_configENS1_25partition_config_selectorILNS1_17partition_subalgoE6ExNS0_10empty_typeEbEEZZNS1_14partition_implILS5_6ELb0ES3_mN6thrust23THRUST_200600_302600_NS6detail15normal_iteratorINSA_10device_ptrIxEEEEPS6_SG_NS0_5tupleIJSF_S6_EEENSH_IJSG_SG_EEES6_PlJNSB_9not_fun_tINSB_14equal_to_valueIxEEEEEEE10hipError_tPvRmT3_T4_T5_T6_T7_T9_mT8_P12ihipStream_tbDpT10_ENKUlT_T0_E_clISt17integral_constantIbLb1EES18_EEDaS13_S14_EUlS13_E_NS1_11comp_targetILNS1_3genE8ELNS1_11target_archE1030ELNS1_3gpuE2ELNS1_3repE0EEENS1_30default_config_static_selectorELNS0_4arch9wavefront6targetE0EEEvT1_
                                        ; -- End function
	.set _ZN7rocprim17ROCPRIM_400000_NS6detail17trampoline_kernelINS0_14default_configENS1_25partition_config_selectorILNS1_17partition_subalgoE6ExNS0_10empty_typeEbEEZZNS1_14partition_implILS5_6ELb0ES3_mN6thrust23THRUST_200600_302600_NS6detail15normal_iteratorINSA_10device_ptrIxEEEEPS6_SG_NS0_5tupleIJSF_S6_EEENSH_IJSG_SG_EEES6_PlJNSB_9not_fun_tINSB_14equal_to_valueIxEEEEEEE10hipError_tPvRmT3_T4_T5_T6_T7_T9_mT8_P12ihipStream_tbDpT10_ENKUlT_T0_E_clISt17integral_constantIbLb1EES18_EEDaS13_S14_EUlS13_E_NS1_11comp_targetILNS1_3genE8ELNS1_11target_archE1030ELNS1_3gpuE2ELNS1_3repE0EEENS1_30default_config_static_selectorELNS0_4arch9wavefront6targetE0EEEvT1_.num_vgpr, 0
	.set _ZN7rocprim17ROCPRIM_400000_NS6detail17trampoline_kernelINS0_14default_configENS1_25partition_config_selectorILNS1_17partition_subalgoE6ExNS0_10empty_typeEbEEZZNS1_14partition_implILS5_6ELb0ES3_mN6thrust23THRUST_200600_302600_NS6detail15normal_iteratorINSA_10device_ptrIxEEEEPS6_SG_NS0_5tupleIJSF_S6_EEENSH_IJSG_SG_EEES6_PlJNSB_9not_fun_tINSB_14equal_to_valueIxEEEEEEE10hipError_tPvRmT3_T4_T5_T6_T7_T9_mT8_P12ihipStream_tbDpT10_ENKUlT_T0_E_clISt17integral_constantIbLb1EES18_EEDaS13_S14_EUlS13_E_NS1_11comp_targetILNS1_3genE8ELNS1_11target_archE1030ELNS1_3gpuE2ELNS1_3repE0EEENS1_30default_config_static_selectorELNS0_4arch9wavefront6targetE0EEEvT1_.num_agpr, 0
	.set _ZN7rocprim17ROCPRIM_400000_NS6detail17trampoline_kernelINS0_14default_configENS1_25partition_config_selectorILNS1_17partition_subalgoE6ExNS0_10empty_typeEbEEZZNS1_14partition_implILS5_6ELb0ES3_mN6thrust23THRUST_200600_302600_NS6detail15normal_iteratorINSA_10device_ptrIxEEEEPS6_SG_NS0_5tupleIJSF_S6_EEENSH_IJSG_SG_EEES6_PlJNSB_9not_fun_tINSB_14equal_to_valueIxEEEEEEE10hipError_tPvRmT3_T4_T5_T6_T7_T9_mT8_P12ihipStream_tbDpT10_ENKUlT_T0_E_clISt17integral_constantIbLb1EES18_EEDaS13_S14_EUlS13_E_NS1_11comp_targetILNS1_3genE8ELNS1_11target_archE1030ELNS1_3gpuE2ELNS1_3repE0EEENS1_30default_config_static_selectorELNS0_4arch9wavefront6targetE0EEEvT1_.numbered_sgpr, 0
	.set _ZN7rocprim17ROCPRIM_400000_NS6detail17trampoline_kernelINS0_14default_configENS1_25partition_config_selectorILNS1_17partition_subalgoE6ExNS0_10empty_typeEbEEZZNS1_14partition_implILS5_6ELb0ES3_mN6thrust23THRUST_200600_302600_NS6detail15normal_iteratorINSA_10device_ptrIxEEEEPS6_SG_NS0_5tupleIJSF_S6_EEENSH_IJSG_SG_EEES6_PlJNSB_9not_fun_tINSB_14equal_to_valueIxEEEEEEE10hipError_tPvRmT3_T4_T5_T6_T7_T9_mT8_P12ihipStream_tbDpT10_ENKUlT_T0_E_clISt17integral_constantIbLb1EES18_EEDaS13_S14_EUlS13_E_NS1_11comp_targetILNS1_3genE8ELNS1_11target_archE1030ELNS1_3gpuE2ELNS1_3repE0EEENS1_30default_config_static_selectorELNS0_4arch9wavefront6targetE0EEEvT1_.num_named_barrier, 0
	.set _ZN7rocprim17ROCPRIM_400000_NS6detail17trampoline_kernelINS0_14default_configENS1_25partition_config_selectorILNS1_17partition_subalgoE6ExNS0_10empty_typeEbEEZZNS1_14partition_implILS5_6ELb0ES3_mN6thrust23THRUST_200600_302600_NS6detail15normal_iteratorINSA_10device_ptrIxEEEEPS6_SG_NS0_5tupleIJSF_S6_EEENSH_IJSG_SG_EEES6_PlJNSB_9not_fun_tINSB_14equal_to_valueIxEEEEEEE10hipError_tPvRmT3_T4_T5_T6_T7_T9_mT8_P12ihipStream_tbDpT10_ENKUlT_T0_E_clISt17integral_constantIbLb1EES18_EEDaS13_S14_EUlS13_E_NS1_11comp_targetILNS1_3genE8ELNS1_11target_archE1030ELNS1_3gpuE2ELNS1_3repE0EEENS1_30default_config_static_selectorELNS0_4arch9wavefront6targetE0EEEvT1_.private_seg_size, 0
	.set _ZN7rocprim17ROCPRIM_400000_NS6detail17trampoline_kernelINS0_14default_configENS1_25partition_config_selectorILNS1_17partition_subalgoE6ExNS0_10empty_typeEbEEZZNS1_14partition_implILS5_6ELb0ES3_mN6thrust23THRUST_200600_302600_NS6detail15normal_iteratorINSA_10device_ptrIxEEEEPS6_SG_NS0_5tupleIJSF_S6_EEENSH_IJSG_SG_EEES6_PlJNSB_9not_fun_tINSB_14equal_to_valueIxEEEEEEE10hipError_tPvRmT3_T4_T5_T6_T7_T9_mT8_P12ihipStream_tbDpT10_ENKUlT_T0_E_clISt17integral_constantIbLb1EES18_EEDaS13_S14_EUlS13_E_NS1_11comp_targetILNS1_3genE8ELNS1_11target_archE1030ELNS1_3gpuE2ELNS1_3repE0EEENS1_30default_config_static_selectorELNS0_4arch9wavefront6targetE0EEEvT1_.uses_vcc, 0
	.set _ZN7rocprim17ROCPRIM_400000_NS6detail17trampoline_kernelINS0_14default_configENS1_25partition_config_selectorILNS1_17partition_subalgoE6ExNS0_10empty_typeEbEEZZNS1_14partition_implILS5_6ELb0ES3_mN6thrust23THRUST_200600_302600_NS6detail15normal_iteratorINSA_10device_ptrIxEEEEPS6_SG_NS0_5tupleIJSF_S6_EEENSH_IJSG_SG_EEES6_PlJNSB_9not_fun_tINSB_14equal_to_valueIxEEEEEEE10hipError_tPvRmT3_T4_T5_T6_T7_T9_mT8_P12ihipStream_tbDpT10_ENKUlT_T0_E_clISt17integral_constantIbLb1EES18_EEDaS13_S14_EUlS13_E_NS1_11comp_targetILNS1_3genE8ELNS1_11target_archE1030ELNS1_3gpuE2ELNS1_3repE0EEENS1_30default_config_static_selectorELNS0_4arch9wavefront6targetE0EEEvT1_.uses_flat_scratch, 0
	.set _ZN7rocprim17ROCPRIM_400000_NS6detail17trampoline_kernelINS0_14default_configENS1_25partition_config_selectorILNS1_17partition_subalgoE6ExNS0_10empty_typeEbEEZZNS1_14partition_implILS5_6ELb0ES3_mN6thrust23THRUST_200600_302600_NS6detail15normal_iteratorINSA_10device_ptrIxEEEEPS6_SG_NS0_5tupleIJSF_S6_EEENSH_IJSG_SG_EEES6_PlJNSB_9not_fun_tINSB_14equal_to_valueIxEEEEEEE10hipError_tPvRmT3_T4_T5_T6_T7_T9_mT8_P12ihipStream_tbDpT10_ENKUlT_T0_E_clISt17integral_constantIbLb1EES18_EEDaS13_S14_EUlS13_E_NS1_11comp_targetILNS1_3genE8ELNS1_11target_archE1030ELNS1_3gpuE2ELNS1_3repE0EEENS1_30default_config_static_selectorELNS0_4arch9wavefront6targetE0EEEvT1_.has_dyn_sized_stack, 0
	.set _ZN7rocprim17ROCPRIM_400000_NS6detail17trampoline_kernelINS0_14default_configENS1_25partition_config_selectorILNS1_17partition_subalgoE6ExNS0_10empty_typeEbEEZZNS1_14partition_implILS5_6ELb0ES3_mN6thrust23THRUST_200600_302600_NS6detail15normal_iteratorINSA_10device_ptrIxEEEEPS6_SG_NS0_5tupleIJSF_S6_EEENSH_IJSG_SG_EEES6_PlJNSB_9not_fun_tINSB_14equal_to_valueIxEEEEEEE10hipError_tPvRmT3_T4_T5_T6_T7_T9_mT8_P12ihipStream_tbDpT10_ENKUlT_T0_E_clISt17integral_constantIbLb1EES18_EEDaS13_S14_EUlS13_E_NS1_11comp_targetILNS1_3genE8ELNS1_11target_archE1030ELNS1_3gpuE2ELNS1_3repE0EEENS1_30default_config_static_selectorELNS0_4arch9wavefront6targetE0EEEvT1_.has_recursion, 0
	.set _ZN7rocprim17ROCPRIM_400000_NS6detail17trampoline_kernelINS0_14default_configENS1_25partition_config_selectorILNS1_17partition_subalgoE6ExNS0_10empty_typeEbEEZZNS1_14partition_implILS5_6ELb0ES3_mN6thrust23THRUST_200600_302600_NS6detail15normal_iteratorINSA_10device_ptrIxEEEEPS6_SG_NS0_5tupleIJSF_S6_EEENSH_IJSG_SG_EEES6_PlJNSB_9not_fun_tINSB_14equal_to_valueIxEEEEEEE10hipError_tPvRmT3_T4_T5_T6_T7_T9_mT8_P12ihipStream_tbDpT10_ENKUlT_T0_E_clISt17integral_constantIbLb1EES18_EEDaS13_S14_EUlS13_E_NS1_11comp_targetILNS1_3genE8ELNS1_11target_archE1030ELNS1_3gpuE2ELNS1_3repE0EEENS1_30default_config_static_selectorELNS0_4arch9wavefront6targetE0EEEvT1_.has_indirect_call, 0
	.section	.AMDGPU.csdata,"",@progbits
; Kernel info:
; codeLenInByte = 0
; TotalNumSgprs: 0
; NumVgprs: 0
; ScratchSize: 0
; MemoryBound: 0
; FloatMode: 240
; IeeeMode: 1
; LDSByteSize: 0 bytes/workgroup (compile time only)
; SGPRBlocks: 0
; VGPRBlocks: 0
; NumSGPRsForWavesPerEU: 1
; NumVGPRsForWavesPerEU: 1
; Occupancy: 16
; WaveLimiterHint : 0
; COMPUTE_PGM_RSRC2:SCRATCH_EN: 0
; COMPUTE_PGM_RSRC2:USER_SGPR: 2
; COMPUTE_PGM_RSRC2:TRAP_HANDLER: 0
; COMPUTE_PGM_RSRC2:TGID_X_EN: 1
; COMPUTE_PGM_RSRC2:TGID_Y_EN: 0
; COMPUTE_PGM_RSRC2:TGID_Z_EN: 0
; COMPUTE_PGM_RSRC2:TIDIG_COMP_CNT: 0
	.section	.text._ZN7rocprim17ROCPRIM_400000_NS6detail17trampoline_kernelINS0_14default_configENS1_25partition_config_selectorILNS1_17partition_subalgoE6ExNS0_10empty_typeEbEEZZNS1_14partition_implILS5_6ELb0ES3_mN6thrust23THRUST_200600_302600_NS6detail15normal_iteratorINSA_10device_ptrIxEEEEPS6_SG_NS0_5tupleIJSF_S6_EEENSH_IJSG_SG_EEES6_PlJNSB_9not_fun_tINSB_14equal_to_valueIxEEEEEEE10hipError_tPvRmT3_T4_T5_T6_T7_T9_mT8_P12ihipStream_tbDpT10_ENKUlT_T0_E_clISt17integral_constantIbLb1EES17_IbLb0EEEEDaS13_S14_EUlS13_E_NS1_11comp_targetILNS1_3genE0ELNS1_11target_archE4294967295ELNS1_3gpuE0ELNS1_3repE0EEENS1_30default_config_static_selectorELNS0_4arch9wavefront6targetE0EEEvT1_,"axG",@progbits,_ZN7rocprim17ROCPRIM_400000_NS6detail17trampoline_kernelINS0_14default_configENS1_25partition_config_selectorILNS1_17partition_subalgoE6ExNS0_10empty_typeEbEEZZNS1_14partition_implILS5_6ELb0ES3_mN6thrust23THRUST_200600_302600_NS6detail15normal_iteratorINSA_10device_ptrIxEEEEPS6_SG_NS0_5tupleIJSF_S6_EEENSH_IJSG_SG_EEES6_PlJNSB_9not_fun_tINSB_14equal_to_valueIxEEEEEEE10hipError_tPvRmT3_T4_T5_T6_T7_T9_mT8_P12ihipStream_tbDpT10_ENKUlT_T0_E_clISt17integral_constantIbLb1EES17_IbLb0EEEEDaS13_S14_EUlS13_E_NS1_11comp_targetILNS1_3genE0ELNS1_11target_archE4294967295ELNS1_3gpuE0ELNS1_3repE0EEENS1_30default_config_static_selectorELNS0_4arch9wavefront6targetE0EEEvT1_,comdat
	.protected	_ZN7rocprim17ROCPRIM_400000_NS6detail17trampoline_kernelINS0_14default_configENS1_25partition_config_selectorILNS1_17partition_subalgoE6ExNS0_10empty_typeEbEEZZNS1_14partition_implILS5_6ELb0ES3_mN6thrust23THRUST_200600_302600_NS6detail15normal_iteratorINSA_10device_ptrIxEEEEPS6_SG_NS0_5tupleIJSF_S6_EEENSH_IJSG_SG_EEES6_PlJNSB_9not_fun_tINSB_14equal_to_valueIxEEEEEEE10hipError_tPvRmT3_T4_T5_T6_T7_T9_mT8_P12ihipStream_tbDpT10_ENKUlT_T0_E_clISt17integral_constantIbLb1EES17_IbLb0EEEEDaS13_S14_EUlS13_E_NS1_11comp_targetILNS1_3genE0ELNS1_11target_archE4294967295ELNS1_3gpuE0ELNS1_3repE0EEENS1_30default_config_static_selectorELNS0_4arch9wavefront6targetE0EEEvT1_ ; -- Begin function _ZN7rocprim17ROCPRIM_400000_NS6detail17trampoline_kernelINS0_14default_configENS1_25partition_config_selectorILNS1_17partition_subalgoE6ExNS0_10empty_typeEbEEZZNS1_14partition_implILS5_6ELb0ES3_mN6thrust23THRUST_200600_302600_NS6detail15normal_iteratorINSA_10device_ptrIxEEEEPS6_SG_NS0_5tupleIJSF_S6_EEENSH_IJSG_SG_EEES6_PlJNSB_9not_fun_tINSB_14equal_to_valueIxEEEEEEE10hipError_tPvRmT3_T4_T5_T6_T7_T9_mT8_P12ihipStream_tbDpT10_ENKUlT_T0_E_clISt17integral_constantIbLb1EES17_IbLb0EEEEDaS13_S14_EUlS13_E_NS1_11comp_targetILNS1_3genE0ELNS1_11target_archE4294967295ELNS1_3gpuE0ELNS1_3repE0EEENS1_30default_config_static_selectorELNS0_4arch9wavefront6targetE0EEEvT1_
	.globl	_ZN7rocprim17ROCPRIM_400000_NS6detail17trampoline_kernelINS0_14default_configENS1_25partition_config_selectorILNS1_17partition_subalgoE6ExNS0_10empty_typeEbEEZZNS1_14partition_implILS5_6ELb0ES3_mN6thrust23THRUST_200600_302600_NS6detail15normal_iteratorINSA_10device_ptrIxEEEEPS6_SG_NS0_5tupleIJSF_S6_EEENSH_IJSG_SG_EEES6_PlJNSB_9not_fun_tINSB_14equal_to_valueIxEEEEEEE10hipError_tPvRmT3_T4_T5_T6_T7_T9_mT8_P12ihipStream_tbDpT10_ENKUlT_T0_E_clISt17integral_constantIbLb1EES17_IbLb0EEEEDaS13_S14_EUlS13_E_NS1_11comp_targetILNS1_3genE0ELNS1_11target_archE4294967295ELNS1_3gpuE0ELNS1_3repE0EEENS1_30default_config_static_selectorELNS0_4arch9wavefront6targetE0EEEvT1_
	.p2align	8
	.type	_ZN7rocprim17ROCPRIM_400000_NS6detail17trampoline_kernelINS0_14default_configENS1_25partition_config_selectorILNS1_17partition_subalgoE6ExNS0_10empty_typeEbEEZZNS1_14partition_implILS5_6ELb0ES3_mN6thrust23THRUST_200600_302600_NS6detail15normal_iteratorINSA_10device_ptrIxEEEEPS6_SG_NS0_5tupleIJSF_S6_EEENSH_IJSG_SG_EEES6_PlJNSB_9not_fun_tINSB_14equal_to_valueIxEEEEEEE10hipError_tPvRmT3_T4_T5_T6_T7_T9_mT8_P12ihipStream_tbDpT10_ENKUlT_T0_E_clISt17integral_constantIbLb1EES17_IbLb0EEEEDaS13_S14_EUlS13_E_NS1_11comp_targetILNS1_3genE0ELNS1_11target_archE4294967295ELNS1_3gpuE0ELNS1_3repE0EEENS1_30default_config_static_selectorELNS0_4arch9wavefront6targetE0EEEvT1_,@function
_ZN7rocprim17ROCPRIM_400000_NS6detail17trampoline_kernelINS0_14default_configENS1_25partition_config_selectorILNS1_17partition_subalgoE6ExNS0_10empty_typeEbEEZZNS1_14partition_implILS5_6ELb0ES3_mN6thrust23THRUST_200600_302600_NS6detail15normal_iteratorINSA_10device_ptrIxEEEEPS6_SG_NS0_5tupleIJSF_S6_EEENSH_IJSG_SG_EEES6_PlJNSB_9not_fun_tINSB_14equal_to_valueIxEEEEEEE10hipError_tPvRmT3_T4_T5_T6_T7_T9_mT8_P12ihipStream_tbDpT10_ENKUlT_T0_E_clISt17integral_constantIbLb1EES17_IbLb0EEEEDaS13_S14_EUlS13_E_NS1_11comp_targetILNS1_3genE0ELNS1_11target_archE4294967295ELNS1_3gpuE0ELNS1_3repE0EEENS1_30default_config_static_selectorELNS0_4arch9wavefront6targetE0EEEvT1_: ; @_ZN7rocprim17ROCPRIM_400000_NS6detail17trampoline_kernelINS0_14default_configENS1_25partition_config_selectorILNS1_17partition_subalgoE6ExNS0_10empty_typeEbEEZZNS1_14partition_implILS5_6ELb0ES3_mN6thrust23THRUST_200600_302600_NS6detail15normal_iteratorINSA_10device_ptrIxEEEEPS6_SG_NS0_5tupleIJSF_S6_EEENSH_IJSG_SG_EEES6_PlJNSB_9not_fun_tINSB_14equal_to_valueIxEEEEEEE10hipError_tPvRmT3_T4_T5_T6_T7_T9_mT8_P12ihipStream_tbDpT10_ENKUlT_T0_E_clISt17integral_constantIbLb1EES17_IbLb0EEEEDaS13_S14_EUlS13_E_NS1_11comp_targetILNS1_3genE0ELNS1_11target_archE4294967295ELNS1_3gpuE0ELNS1_3repE0EEENS1_30default_config_static_selectorELNS0_4arch9wavefront6targetE0EEEvT1_
; %bb.0:
	.section	.rodata,"a",@progbits
	.p2align	6, 0x0
	.amdhsa_kernel _ZN7rocprim17ROCPRIM_400000_NS6detail17trampoline_kernelINS0_14default_configENS1_25partition_config_selectorILNS1_17partition_subalgoE6ExNS0_10empty_typeEbEEZZNS1_14partition_implILS5_6ELb0ES3_mN6thrust23THRUST_200600_302600_NS6detail15normal_iteratorINSA_10device_ptrIxEEEEPS6_SG_NS0_5tupleIJSF_S6_EEENSH_IJSG_SG_EEES6_PlJNSB_9not_fun_tINSB_14equal_to_valueIxEEEEEEE10hipError_tPvRmT3_T4_T5_T6_T7_T9_mT8_P12ihipStream_tbDpT10_ENKUlT_T0_E_clISt17integral_constantIbLb1EES17_IbLb0EEEEDaS13_S14_EUlS13_E_NS1_11comp_targetILNS1_3genE0ELNS1_11target_archE4294967295ELNS1_3gpuE0ELNS1_3repE0EEENS1_30default_config_static_selectorELNS0_4arch9wavefront6targetE0EEEvT1_
		.amdhsa_group_segment_fixed_size 0
		.amdhsa_private_segment_fixed_size 0
		.amdhsa_kernarg_size 120
		.amdhsa_user_sgpr_count 2
		.amdhsa_user_sgpr_dispatch_ptr 0
		.amdhsa_user_sgpr_queue_ptr 0
		.amdhsa_user_sgpr_kernarg_segment_ptr 1
		.amdhsa_user_sgpr_dispatch_id 0
		.amdhsa_user_sgpr_private_segment_size 0
		.amdhsa_wavefront_size32 1
		.amdhsa_uses_dynamic_stack 0
		.amdhsa_enable_private_segment 0
		.amdhsa_system_sgpr_workgroup_id_x 1
		.amdhsa_system_sgpr_workgroup_id_y 0
		.amdhsa_system_sgpr_workgroup_id_z 0
		.amdhsa_system_sgpr_workgroup_info 0
		.amdhsa_system_vgpr_workitem_id 0
		.amdhsa_next_free_vgpr 1
		.amdhsa_next_free_sgpr 1
		.amdhsa_reserve_vcc 0
		.amdhsa_float_round_mode_32 0
		.amdhsa_float_round_mode_16_64 0
		.amdhsa_float_denorm_mode_32 3
		.amdhsa_float_denorm_mode_16_64 3
		.amdhsa_fp16_overflow 0
		.amdhsa_workgroup_processor_mode 1
		.amdhsa_memory_ordered 1
		.amdhsa_forward_progress 1
		.amdhsa_inst_pref_size 0
		.amdhsa_round_robin_scheduling 0
		.amdhsa_exception_fp_ieee_invalid_op 0
		.amdhsa_exception_fp_denorm_src 0
		.amdhsa_exception_fp_ieee_div_zero 0
		.amdhsa_exception_fp_ieee_overflow 0
		.amdhsa_exception_fp_ieee_underflow 0
		.amdhsa_exception_fp_ieee_inexact 0
		.amdhsa_exception_int_div_zero 0
	.end_amdhsa_kernel
	.section	.text._ZN7rocprim17ROCPRIM_400000_NS6detail17trampoline_kernelINS0_14default_configENS1_25partition_config_selectorILNS1_17partition_subalgoE6ExNS0_10empty_typeEbEEZZNS1_14partition_implILS5_6ELb0ES3_mN6thrust23THRUST_200600_302600_NS6detail15normal_iteratorINSA_10device_ptrIxEEEEPS6_SG_NS0_5tupleIJSF_S6_EEENSH_IJSG_SG_EEES6_PlJNSB_9not_fun_tINSB_14equal_to_valueIxEEEEEEE10hipError_tPvRmT3_T4_T5_T6_T7_T9_mT8_P12ihipStream_tbDpT10_ENKUlT_T0_E_clISt17integral_constantIbLb1EES17_IbLb0EEEEDaS13_S14_EUlS13_E_NS1_11comp_targetILNS1_3genE0ELNS1_11target_archE4294967295ELNS1_3gpuE0ELNS1_3repE0EEENS1_30default_config_static_selectorELNS0_4arch9wavefront6targetE0EEEvT1_,"axG",@progbits,_ZN7rocprim17ROCPRIM_400000_NS6detail17trampoline_kernelINS0_14default_configENS1_25partition_config_selectorILNS1_17partition_subalgoE6ExNS0_10empty_typeEbEEZZNS1_14partition_implILS5_6ELb0ES3_mN6thrust23THRUST_200600_302600_NS6detail15normal_iteratorINSA_10device_ptrIxEEEEPS6_SG_NS0_5tupleIJSF_S6_EEENSH_IJSG_SG_EEES6_PlJNSB_9not_fun_tINSB_14equal_to_valueIxEEEEEEE10hipError_tPvRmT3_T4_T5_T6_T7_T9_mT8_P12ihipStream_tbDpT10_ENKUlT_T0_E_clISt17integral_constantIbLb1EES17_IbLb0EEEEDaS13_S14_EUlS13_E_NS1_11comp_targetILNS1_3genE0ELNS1_11target_archE4294967295ELNS1_3gpuE0ELNS1_3repE0EEENS1_30default_config_static_selectorELNS0_4arch9wavefront6targetE0EEEvT1_,comdat
.Lfunc_end453:
	.size	_ZN7rocprim17ROCPRIM_400000_NS6detail17trampoline_kernelINS0_14default_configENS1_25partition_config_selectorILNS1_17partition_subalgoE6ExNS0_10empty_typeEbEEZZNS1_14partition_implILS5_6ELb0ES3_mN6thrust23THRUST_200600_302600_NS6detail15normal_iteratorINSA_10device_ptrIxEEEEPS6_SG_NS0_5tupleIJSF_S6_EEENSH_IJSG_SG_EEES6_PlJNSB_9not_fun_tINSB_14equal_to_valueIxEEEEEEE10hipError_tPvRmT3_T4_T5_T6_T7_T9_mT8_P12ihipStream_tbDpT10_ENKUlT_T0_E_clISt17integral_constantIbLb1EES17_IbLb0EEEEDaS13_S14_EUlS13_E_NS1_11comp_targetILNS1_3genE0ELNS1_11target_archE4294967295ELNS1_3gpuE0ELNS1_3repE0EEENS1_30default_config_static_selectorELNS0_4arch9wavefront6targetE0EEEvT1_, .Lfunc_end453-_ZN7rocprim17ROCPRIM_400000_NS6detail17trampoline_kernelINS0_14default_configENS1_25partition_config_selectorILNS1_17partition_subalgoE6ExNS0_10empty_typeEbEEZZNS1_14partition_implILS5_6ELb0ES3_mN6thrust23THRUST_200600_302600_NS6detail15normal_iteratorINSA_10device_ptrIxEEEEPS6_SG_NS0_5tupleIJSF_S6_EEENSH_IJSG_SG_EEES6_PlJNSB_9not_fun_tINSB_14equal_to_valueIxEEEEEEE10hipError_tPvRmT3_T4_T5_T6_T7_T9_mT8_P12ihipStream_tbDpT10_ENKUlT_T0_E_clISt17integral_constantIbLb1EES17_IbLb0EEEEDaS13_S14_EUlS13_E_NS1_11comp_targetILNS1_3genE0ELNS1_11target_archE4294967295ELNS1_3gpuE0ELNS1_3repE0EEENS1_30default_config_static_selectorELNS0_4arch9wavefront6targetE0EEEvT1_
                                        ; -- End function
	.set _ZN7rocprim17ROCPRIM_400000_NS6detail17trampoline_kernelINS0_14default_configENS1_25partition_config_selectorILNS1_17partition_subalgoE6ExNS0_10empty_typeEbEEZZNS1_14partition_implILS5_6ELb0ES3_mN6thrust23THRUST_200600_302600_NS6detail15normal_iteratorINSA_10device_ptrIxEEEEPS6_SG_NS0_5tupleIJSF_S6_EEENSH_IJSG_SG_EEES6_PlJNSB_9not_fun_tINSB_14equal_to_valueIxEEEEEEE10hipError_tPvRmT3_T4_T5_T6_T7_T9_mT8_P12ihipStream_tbDpT10_ENKUlT_T0_E_clISt17integral_constantIbLb1EES17_IbLb0EEEEDaS13_S14_EUlS13_E_NS1_11comp_targetILNS1_3genE0ELNS1_11target_archE4294967295ELNS1_3gpuE0ELNS1_3repE0EEENS1_30default_config_static_selectorELNS0_4arch9wavefront6targetE0EEEvT1_.num_vgpr, 0
	.set _ZN7rocprim17ROCPRIM_400000_NS6detail17trampoline_kernelINS0_14default_configENS1_25partition_config_selectorILNS1_17partition_subalgoE6ExNS0_10empty_typeEbEEZZNS1_14partition_implILS5_6ELb0ES3_mN6thrust23THRUST_200600_302600_NS6detail15normal_iteratorINSA_10device_ptrIxEEEEPS6_SG_NS0_5tupleIJSF_S6_EEENSH_IJSG_SG_EEES6_PlJNSB_9not_fun_tINSB_14equal_to_valueIxEEEEEEE10hipError_tPvRmT3_T4_T5_T6_T7_T9_mT8_P12ihipStream_tbDpT10_ENKUlT_T0_E_clISt17integral_constantIbLb1EES17_IbLb0EEEEDaS13_S14_EUlS13_E_NS1_11comp_targetILNS1_3genE0ELNS1_11target_archE4294967295ELNS1_3gpuE0ELNS1_3repE0EEENS1_30default_config_static_selectorELNS0_4arch9wavefront6targetE0EEEvT1_.num_agpr, 0
	.set _ZN7rocprim17ROCPRIM_400000_NS6detail17trampoline_kernelINS0_14default_configENS1_25partition_config_selectorILNS1_17partition_subalgoE6ExNS0_10empty_typeEbEEZZNS1_14partition_implILS5_6ELb0ES3_mN6thrust23THRUST_200600_302600_NS6detail15normal_iteratorINSA_10device_ptrIxEEEEPS6_SG_NS0_5tupleIJSF_S6_EEENSH_IJSG_SG_EEES6_PlJNSB_9not_fun_tINSB_14equal_to_valueIxEEEEEEE10hipError_tPvRmT3_T4_T5_T6_T7_T9_mT8_P12ihipStream_tbDpT10_ENKUlT_T0_E_clISt17integral_constantIbLb1EES17_IbLb0EEEEDaS13_S14_EUlS13_E_NS1_11comp_targetILNS1_3genE0ELNS1_11target_archE4294967295ELNS1_3gpuE0ELNS1_3repE0EEENS1_30default_config_static_selectorELNS0_4arch9wavefront6targetE0EEEvT1_.numbered_sgpr, 0
	.set _ZN7rocprim17ROCPRIM_400000_NS6detail17trampoline_kernelINS0_14default_configENS1_25partition_config_selectorILNS1_17partition_subalgoE6ExNS0_10empty_typeEbEEZZNS1_14partition_implILS5_6ELb0ES3_mN6thrust23THRUST_200600_302600_NS6detail15normal_iteratorINSA_10device_ptrIxEEEEPS6_SG_NS0_5tupleIJSF_S6_EEENSH_IJSG_SG_EEES6_PlJNSB_9not_fun_tINSB_14equal_to_valueIxEEEEEEE10hipError_tPvRmT3_T4_T5_T6_T7_T9_mT8_P12ihipStream_tbDpT10_ENKUlT_T0_E_clISt17integral_constantIbLb1EES17_IbLb0EEEEDaS13_S14_EUlS13_E_NS1_11comp_targetILNS1_3genE0ELNS1_11target_archE4294967295ELNS1_3gpuE0ELNS1_3repE0EEENS1_30default_config_static_selectorELNS0_4arch9wavefront6targetE0EEEvT1_.num_named_barrier, 0
	.set _ZN7rocprim17ROCPRIM_400000_NS6detail17trampoline_kernelINS0_14default_configENS1_25partition_config_selectorILNS1_17partition_subalgoE6ExNS0_10empty_typeEbEEZZNS1_14partition_implILS5_6ELb0ES3_mN6thrust23THRUST_200600_302600_NS6detail15normal_iteratorINSA_10device_ptrIxEEEEPS6_SG_NS0_5tupleIJSF_S6_EEENSH_IJSG_SG_EEES6_PlJNSB_9not_fun_tINSB_14equal_to_valueIxEEEEEEE10hipError_tPvRmT3_T4_T5_T6_T7_T9_mT8_P12ihipStream_tbDpT10_ENKUlT_T0_E_clISt17integral_constantIbLb1EES17_IbLb0EEEEDaS13_S14_EUlS13_E_NS1_11comp_targetILNS1_3genE0ELNS1_11target_archE4294967295ELNS1_3gpuE0ELNS1_3repE0EEENS1_30default_config_static_selectorELNS0_4arch9wavefront6targetE0EEEvT1_.private_seg_size, 0
	.set _ZN7rocprim17ROCPRIM_400000_NS6detail17trampoline_kernelINS0_14default_configENS1_25partition_config_selectorILNS1_17partition_subalgoE6ExNS0_10empty_typeEbEEZZNS1_14partition_implILS5_6ELb0ES3_mN6thrust23THRUST_200600_302600_NS6detail15normal_iteratorINSA_10device_ptrIxEEEEPS6_SG_NS0_5tupleIJSF_S6_EEENSH_IJSG_SG_EEES6_PlJNSB_9not_fun_tINSB_14equal_to_valueIxEEEEEEE10hipError_tPvRmT3_T4_T5_T6_T7_T9_mT8_P12ihipStream_tbDpT10_ENKUlT_T0_E_clISt17integral_constantIbLb1EES17_IbLb0EEEEDaS13_S14_EUlS13_E_NS1_11comp_targetILNS1_3genE0ELNS1_11target_archE4294967295ELNS1_3gpuE0ELNS1_3repE0EEENS1_30default_config_static_selectorELNS0_4arch9wavefront6targetE0EEEvT1_.uses_vcc, 0
	.set _ZN7rocprim17ROCPRIM_400000_NS6detail17trampoline_kernelINS0_14default_configENS1_25partition_config_selectorILNS1_17partition_subalgoE6ExNS0_10empty_typeEbEEZZNS1_14partition_implILS5_6ELb0ES3_mN6thrust23THRUST_200600_302600_NS6detail15normal_iteratorINSA_10device_ptrIxEEEEPS6_SG_NS0_5tupleIJSF_S6_EEENSH_IJSG_SG_EEES6_PlJNSB_9not_fun_tINSB_14equal_to_valueIxEEEEEEE10hipError_tPvRmT3_T4_T5_T6_T7_T9_mT8_P12ihipStream_tbDpT10_ENKUlT_T0_E_clISt17integral_constantIbLb1EES17_IbLb0EEEEDaS13_S14_EUlS13_E_NS1_11comp_targetILNS1_3genE0ELNS1_11target_archE4294967295ELNS1_3gpuE0ELNS1_3repE0EEENS1_30default_config_static_selectorELNS0_4arch9wavefront6targetE0EEEvT1_.uses_flat_scratch, 0
	.set _ZN7rocprim17ROCPRIM_400000_NS6detail17trampoline_kernelINS0_14default_configENS1_25partition_config_selectorILNS1_17partition_subalgoE6ExNS0_10empty_typeEbEEZZNS1_14partition_implILS5_6ELb0ES3_mN6thrust23THRUST_200600_302600_NS6detail15normal_iteratorINSA_10device_ptrIxEEEEPS6_SG_NS0_5tupleIJSF_S6_EEENSH_IJSG_SG_EEES6_PlJNSB_9not_fun_tINSB_14equal_to_valueIxEEEEEEE10hipError_tPvRmT3_T4_T5_T6_T7_T9_mT8_P12ihipStream_tbDpT10_ENKUlT_T0_E_clISt17integral_constantIbLb1EES17_IbLb0EEEEDaS13_S14_EUlS13_E_NS1_11comp_targetILNS1_3genE0ELNS1_11target_archE4294967295ELNS1_3gpuE0ELNS1_3repE0EEENS1_30default_config_static_selectorELNS0_4arch9wavefront6targetE0EEEvT1_.has_dyn_sized_stack, 0
	.set _ZN7rocprim17ROCPRIM_400000_NS6detail17trampoline_kernelINS0_14default_configENS1_25partition_config_selectorILNS1_17partition_subalgoE6ExNS0_10empty_typeEbEEZZNS1_14partition_implILS5_6ELb0ES3_mN6thrust23THRUST_200600_302600_NS6detail15normal_iteratorINSA_10device_ptrIxEEEEPS6_SG_NS0_5tupleIJSF_S6_EEENSH_IJSG_SG_EEES6_PlJNSB_9not_fun_tINSB_14equal_to_valueIxEEEEEEE10hipError_tPvRmT3_T4_T5_T6_T7_T9_mT8_P12ihipStream_tbDpT10_ENKUlT_T0_E_clISt17integral_constantIbLb1EES17_IbLb0EEEEDaS13_S14_EUlS13_E_NS1_11comp_targetILNS1_3genE0ELNS1_11target_archE4294967295ELNS1_3gpuE0ELNS1_3repE0EEENS1_30default_config_static_selectorELNS0_4arch9wavefront6targetE0EEEvT1_.has_recursion, 0
	.set _ZN7rocprim17ROCPRIM_400000_NS6detail17trampoline_kernelINS0_14default_configENS1_25partition_config_selectorILNS1_17partition_subalgoE6ExNS0_10empty_typeEbEEZZNS1_14partition_implILS5_6ELb0ES3_mN6thrust23THRUST_200600_302600_NS6detail15normal_iteratorINSA_10device_ptrIxEEEEPS6_SG_NS0_5tupleIJSF_S6_EEENSH_IJSG_SG_EEES6_PlJNSB_9not_fun_tINSB_14equal_to_valueIxEEEEEEE10hipError_tPvRmT3_T4_T5_T6_T7_T9_mT8_P12ihipStream_tbDpT10_ENKUlT_T0_E_clISt17integral_constantIbLb1EES17_IbLb0EEEEDaS13_S14_EUlS13_E_NS1_11comp_targetILNS1_3genE0ELNS1_11target_archE4294967295ELNS1_3gpuE0ELNS1_3repE0EEENS1_30default_config_static_selectorELNS0_4arch9wavefront6targetE0EEEvT1_.has_indirect_call, 0
	.section	.AMDGPU.csdata,"",@progbits
; Kernel info:
; codeLenInByte = 0
; TotalNumSgprs: 0
; NumVgprs: 0
; ScratchSize: 0
; MemoryBound: 0
; FloatMode: 240
; IeeeMode: 1
; LDSByteSize: 0 bytes/workgroup (compile time only)
; SGPRBlocks: 0
; VGPRBlocks: 0
; NumSGPRsForWavesPerEU: 1
; NumVGPRsForWavesPerEU: 1
; Occupancy: 16
; WaveLimiterHint : 0
; COMPUTE_PGM_RSRC2:SCRATCH_EN: 0
; COMPUTE_PGM_RSRC2:USER_SGPR: 2
; COMPUTE_PGM_RSRC2:TRAP_HANDLER: 0
; COMPUTE_PGM_RSRC2:TGID_X_EN: 1
; COMPUTE_PGM_RSRC2:TGID_Y_EN: 0
; COMPUTE_PGM_RSRC2:TGID_Z_EN: 0
; COMPUTE_PGM_RSRC2:TIDIG_COMP_CNT: 0
	.section	.text._ZN7rocprim17ROCPRIM_400000_NS6detail17trampoline_kernelINS0_14default_configENS1_25partition_config_selectorILNS1_17partition_subalgoE6ExNS0_10empty_typeEbEEZZNS1_14partition_implILS5_6ELb0ES3_mN6thrust23THRUST_200600_302600_NS6detail15normal_iteratorINSA_10device_ptrIxEEEEPS6_SG_NS0_5tupleIJSF_S6_EEENSH_IJSG_SG_EEES6_PlJNSB_9not_fun_tINSB_14equal_to_valueIxEEEEEEE10hipError_tPvRmT3_T4_T5_T6_T7_T9_mT8_P12ihipStream_tbDpT10_ENKUlT_T0_E_clISt17integral_constantIbLb1EES17_IbLb0EEEEDaS13_S14_EUlS13_E_NS1_11comp_targetILNS1_3genE5ELNS1_11target_archE942ELNS1_3gpuE9ELNS1_3repE0EEENS1_30default_config_static_selectorELNS0_4arch9wavefront6targetE0EEEvT1_,"axG",@progbits,_ZN7rocprim17ROCPRIM_400000_NS6detail17trampoline_kernelINS0_14default_configENS1_25partition_config_selectorILNS1_17partition_subalgoE6ExNS0_10empty_typeEbEEZZNS1_14partition_implILS5_6ELb0ES3_mN6thrust23THRUST_200600_302600_NS6detail15normal_iteratorINSA_10device_ptrIxEEEEPS6_SG_NS0_5tupleIJSF_S6_EEENSH_IJSG_SG_EEES6_PlJNSB_9not_fun_tINSB_14equal_to_valueIxEEEEEEE10hipError_tPvRmT3_T4_T5_T6_T7_T9_mT8_P12ihipStream_tbDpT10_ENKUlT_T0_E_clISt17integral_constantIbLb1EES17_IbLb0EEEEDaS13_S14_EUlS13_E_NS1_11comp_targetILNS1_3genE5ELNS1_11target_archE942ELNS1_3gpuE9ELNS1_3repE0EEENS1_30default_config_static_selectorELNS0_4arch9wavefront6targetE0EEEvT1_,comdat
	.protected	_ZN7rocprim17ROCPRIM_400000_NS6detail17trampoline_kernelINS0_14default_configENS1_25partition_config_selectorILNS1_17partition_subalgoE6ExNS0_10empty_typeEbEEZZNS1_14partition_implILS5_6ELb0ES3_mN6thrust23THRUST_200600_302600_NS6detail15normal_iteratorINSA_10device_ptrIxEEEEPS6_SG_NS0_5tupleIJSF_S6_EEENSH_IJSG_SG_EEES6_PlJNSB_9not_fun_tINSB_14equal_to_valueIxEEEEEEE10hipError_tPvRmT3_T4_T5_T6_T7_T9_mT8_P12ihipStream_tbDpT10_ENKUlT_T0_E_clISt17integral_constantIbLb1EES17_IbLb0EEEEDaS13_S14_EUlS13_E_NS1_11comp_targetILNS1_3genE5ELNS1_11target_archE942ELNS1_3gpuE9ELNS1_3repE0EEENS1_30default_config_static_selectorELNS0_4arch9wavefront6targetE0EEEvT1_ ; -- Begin function _ZN7rocprim17ROCPRIM_400000_NS6detail17trampoline_kernelINS0_14default_configENS1_25partition_config_selectorILNS1_17partition_subalgoE6ExNS0_10empty_typeEbEEZZNS1_14partition_implILS5_6ELb0ES3_mN6thrust23THRUST_200600_302600_NS6detail15normal_iteratorINSA_10device_ptrIxEEEEPS6_SG_NS0_5tupleIJSF_S6_EEENSH_IJSG_SG_EEES6_PlJNSB_9not_fun_tINSB_14equal_to_valueIxEEEEEEE10hipError_tPvRmT3_T4_T5_T6_T7_T9_mT8_P12ihipStream_tbDpT10_ENKUlT_T0_E_clISt17integral_constantIbLb1EES17_IbLb0EEEEDaS13_S14_EUlS13_E_NS1_11comp_targetILNS1_3genE5ELNS1_11target_archE942ELNS1_3gpuE9ELNS1_3repE0EEENS1_30default_config_static_selectorELNS0_4arch9wavefront6targetE0EEEvT1_
	.globl	_ZN7rocprim17ROCPRIM_400000_NS6detail17trampoline_kernelINS0_14default_configENS1_25partition_config_selectorILNS1_17partition_subalgoE6ExNS0_10empty_typeEbEEZZNS1_14partition_implILS5_6ELb0ES3_mN6thrust23THRUST_200600_302600_NS6detail15normal_iteratorINSA_10device_ptrIxEEEEPS6_SG_NS0_5tupleIJSF_S6_EEENSH_IJSG_SG_EEES6_PlJNSB_9not_fun_tINSB_14equal_to_valueIxEEEEEEE10hipError_tPvRmT3_T4_T5_T6_T7_T9_mT8_P12ihipStream_tbDpT10_ENKUlT_T0_E_clISt17integral_constantIbLb1EES17_IbLb0EEEEDaS13_S14_EUlS13_E_NS1_11comp_targetILNS1_3genE5ELNS1_11target_archE942ELNS1_3gpuE9ELNS1_3repE0EEENS1_30default_config_static_selectorELNS0_4arch9wavefront6targetE0EEEvT1_
	.p2align	8
	.type	_ZN7rocprim17ROCPRIM_400000_NS6detail17trampoline_kernelINS0_14default_configENS1_25partition_config_selectorILNS1_17partition_subalgoE6ExNS0_10empty_typeEbEEZZNS1_14partition_implILS5_6ELb0ES3_mN6thrust23THRUST_200600_302600_NS6detail15normal_iteratorINSA_10device_ptrIxEEEEPS6_SG_NS0_5tupleIJSF_S6_EEENSH_IJSG_SG_EEES6_PlJNSB_9not_fun_tINSB_14equal_to_valueIxEEEEEEE10hipError_tPvRmT3_T4_T5_T6_T7_T9_mT8_P12ihipStream_tbDpT10_ENKUlT_T0_E_clISt17integral_constantIbLb1EES17_IbLb0EEEEDaS13_S14_EUlS13_E_NS1_11comp_targetILNS1_3genE5ELNS1_11target_archE942ELNS1_3gpuE9ELNS1_3repE0EEENS1_30default_config_static_selectorELNS0_4arch9wavefront6targetE0EEEvT1_,@function
_ZN7rocprim17ROCPRIM_400000_NS6detail17trampoline_kernelINS0_14default_configENS1_25partition_config_selectorILNS1_17partition_subalgoE6ExNS0_10empty_typeEbEEZZNS1_14partition_implILS5_6ELb0ES3_mN6thrust23THRUST_200600_302600_NS6detail15normal_iteratorINSA_10device_ptrIxEEEEPS6_SG_NS0_5tupleIJSF_S6_EEENSH_IJSG_SG_EEES6_PlJNSB_9not_fun_tINSB_14equal_to_valueIxEEEEEEE10hipError_tPvRmT3_T4_T5_T6_T7_T9_mT8_P12ihipStream_tbDpT10_ENKUlT_T0_E_clISt17integral_constantIbLb1EES17_IbLb0EEEEDaS13_S14_EUlS13_E_NS1_11comp_targetILNS1_3genE5ELNS1_11target_archE942ELNS1_3gpuE9ELNS1_3repE0EEENS1_30default_config_static_selectorELNS0_4arch9wavefront6targetE0EEEvT1_: ; @_ZN7rocprim17ROCPRIM_400000_NS6detail17trampoline_kernelINS0_14default_configENS1_25partition_config_selectorILNS1_17partition_subalgoE6ExNS0_10empty_typeEbEEZZNS1_14partition_implILS5_6ELb0ES3_mN6thrust23THRUST_200600_302600_NS6detail15normal_iteratorINSA_10device_ptrIxEEEEPS6_SG_NS0_5tupleIJSF_S6_EEENSH_IJSG_SG_EEES6_PlJNSB_9not_fun_tINSB_14equal_to_valueIxEEEEEEE10hipError_tPvRmT3_T4_T5_T6_T7_T9_mT8_P12ihipStream_tbDpT10_ENKUlT_T0_E_clISt17integral_constantIbLb1EES17_IbLb0EEEEDaS13_S14_EUlS13_E_NS1_11comp_targetILNS1_3genE5ELNS1_11target_archE942ELNS1_3gpuE9ELNS1_3repE0EEENS1_30default_config_static_selectorELNS0_4arch9wavefront6targetE0EEEvT1_
; %bb.0:
	.section	.rodata,"a",@progbits
	.p2align	6, 0x0
	.amdhsa_kernel _ZN7rocprim17ROCPRIM_400000_NS6detail17trampoline_kernelINS0_14default_configENS1_25partition_config_selectorILNS1_17partition_subalgoE6ExNS0_10empty_typeEbEEZZNS1_14partition_implILS5_6ELb0ES3_mN6thrust23THRUST_200600_302600_NS6detail15normal_iteratorINSA_10device_ptrIxEEEEPS6_SG_NS0_5tupleIJSF_S6_EEENSH_IJSG_SG_EEES6_PlJNSB_9not_fun_tINSB_14equal_to_valueIxEEEEEEE10hipError_tPvRmT3_T4_T5_T6_T7_T9_mT8_P12ihipStream_tbDpT10_ENKUlT_T0_E_clISt17integral_constantIbLb1EES17_IbLb0EEEEDaS13_S14_EUlS13_E_NS1_11comp_targetILNS1_3genE5ELNS1_11target_archE942ELNS1_3gpuE9ELNS1_3repE0EEENS1_30default_config_static_selectorELNS0_4arch9wavefront6targetE0EEEvT1_
		.amdhsa_group_segment_fixed_size 0
		.amdhsa_private_segment_fixed_size 0
		.amdhsa_kernarg_size 120
		.amdhsa_user_sgpr_count 2
		.amdhsa_user_sgpr_dispatch_ptr 0
		.amdhsa_user_sgpr_queue_ptr 0
		.amdhsa_user_sgpr_kernarg_segment_ptr 1
		.amdhsa_user_sgpr_dispatch_id 0
		.amdhsa_user_sgpr_private_segment_size 0
		.amdhsa_wavefront_size32 1
		.amdhsa_uses_dynamic_stack 0
		.amdhsa_enable_private_segment 0
		.amdhsa_system_sgpr_workgroup_id_x 1
		.amdhsa_system_sgpr_workgroup_id_y 0
		.amdhsa_system_sgpr_workgroup_id_z 0
		.amdhsa_system_sgpr_workgroup_info 0
		.amdhsa_system_vgpr_workitem_id 0
		.amdhsa_next_free_vgpr 1
		.amdhsa_next_free_sgpr 1
		.amdhsa_reserve_vcc 0
		.amdhsa_float_round_mode_32 0
		.amdhsa_float_round_mode_16_64 0
		.amdhsa_float_denorm_mode_32 3
		.amdhsa_float_denorm_mode_16_64 3
		.amdhsa_fp16_overflow 0
		.amdhsa_workgroup_processor_mode 1
		.amdhsa_memory_ordered 1
		.amdhsa_forward_progress 1
		.amdhsa_inst_pref_size 0
		.amdhsa_round_robin_scheduling 0
		.amdhsa_exception_fp_ieee_invalid_op 0
		.amdhsa_exception_fp_denorm_src 0
		.amdhsa_exception_fp_ieee_div_zero 0
		.amdhsa_exception_fp_ieee_overflow 0
		.amdhsa_exception_fp_ieee_underflow 0
		.amdhsa_exception_fp_ieee_inexact 0
		.amdhsa_exception_int_div_zero 0
	.end_amdhsa_kernel
	.section	.text._ZN7rocprim17ROCPRIM_400000_NS6detail17trampoline_kernelINS0_14default_configENS1_25partition_config_selectorILNS1_17partition_subalgoE6ExNS0_10empty_typeEbEEZZNS1_14partition_implILS5_6ELb0ES3_mN6thrust23THRUST_200600_302600_NS6detail15normal_iteratorINSA_10device_ptrIxEEEEPS6_SG_NS0_5tupleIJSF_S6_EEENSH_IJSG_SG_EEES6_PlJNSB_9not_fun_tINSB_14equal_to_valueIxEEEEEEE10hipError_tPvRmT3_T4_T5_T6_T7_T9_mT8_P12ihipStream_tbDpT10_ENKUlT_T0_E_clISt17integral_constantIbLb1EES17_IbLb0EEEEDaS13_S14_EUlS13_E_NS1_11comp_targetILNS1_3genE5ELNS1_11target_archE942ELNS1_3gpuE9ELNS1_3repE0EEENS1_30default_config_static_selectorELNS0_4arch9wavefront6targetE0EEEvT1_,"axG",@progbits,_ZN7rocprim17ROCPRIM_400000_NS6detail17trampoline_kernelINS0_14default_configENS1_25partition_config_selectorILNS1_17partition_subalgoE6ExNS0_10empty_typeEbEEZZNS1_14partition_implILS5_6ELb0ES3_mN6thrust23THRUST_200600_302600_NS6detail15normal_iteratorINSA_10device_ptrIxEEEEPS6_SG_NS0_5tupleIJSF_S6_EEENSH_IJSG_SG_EEES6_PlJNSB_9not_fun_tINSB_14equal_to_valueIxEEEEEEE10hipError_tPvRmT3_T4_T5_T6_T7_T9_mT8_P12ihipStream_tbDpT10_ENKUlT_T0_E_clISt17integral_constantIbLb1EES17_IbLb0EEEEDaS13_S14_EUlS13_E_NS1_11comp_targetILNS1_3genE5ELNS1_11target_archE942ELNS1_3gpuE9ELNS1_3repE0EEENS1_30default_config_static_selectorELNS0_4arch9wavefront6targetE0EEEvT1_,comdat
.Lfunc_end454:
	.size	_ZN7rocprim17ROCPRIM_400000_NS6detail17trampoline_kernelINS0_14default_configENS1_25partition_config_selectorILNS1_17partition_subalgoE6ExNS0_10empty_typeEbEEZZNS1_14partition_implILS5_6ELb0ES3_mN6thrust23THRUST_200600_302600_NS6detail15normal_iteratorINSA_10device_ptrIxEEEEPS6_SG_NS0_5tupleIJSF_S6_EEENSH_IJSG_SG_EEES6_PlJNSB_9not_fun_tINSB_14equal_to_valueIxEEEEEEE10hipError_tPvRmT3_T4_T5_T6_T7_T9_mT8_P12ihipStream_tbDpT10_ENKUlT_T0_E_clISt17integral_constantIbLb1EES17_IbLb0EEEEDaS13_S14_EUlS13_E_NS1_11comp_targetILNS1_3genE5ELNS1_11target_archE942ELNS1_3gpuE9ELNS1_3repE0EEENS1_30default_config_static_selectorELNS0_4arch9wavefront6targetE0EEEvT1_, .Lfunc_end454-_ZN7rocprim17ROCPRIM_400000_NS6detail17trampoline_kernelINS0_14default_configENS1_25partition_config_selectorILNS1_17partition_subalgoE6ExNS0_10empty_typeEbEEZZNS1_14partition_implILS5_6ELb0ES3_mN6thrust23THRUST_200600_302600_NS6detail15normal_iteratorINSA_10device_ptrIxEEEEPS6_SG_NS0_5tupleIJSF_S6_EEENSH_IJSG_SG_EEES6_PlJNSB_9not_fun_tINSB_14equal_to_valueIxEEEEEEE10hipError_tPvRmT3_T4_T5_T6_T7_T9_mT8_P12ihipStream_tbDpT10_ENKUlT_T0_E_clISt17integral_constantIbLb1EES17_IbLb0EEEEDaS13_S14_EUlS13_E_NS1_11comp_targetILNS1_3genE5ELNS1_11target_archE942ELNS1_3gpuE9ELNS1_3repE0EEENS1_30default_config_static_selectorELNS0_4arch9wavefront6targetE0EEEvT1_
                                        ; -- End function
	.set _ZN7rocprim17ROCPRIM_400000_NS6detail17trampoline_kernelINS0_14default_configENS1_25partition_config_selectorILNS1_17partition_subalgoE6ExNS0_10empty_typeEbEEZZNS1_14partition_implILS5_6ELb0ES3_mN6thrust23THRUST_200600_302600_NS6detail15normal_iteratorINSA_10device_ptrIxEEEEPS6_SG_NS0_5tupleIJSF_S6_EEENSH_IJSG_SG_EEES6_PlJNSB_9not_fun_tINSB_14equal_to_valueIxEEEEEEE10hipError_tPvRmT3_T4_T5_T6_T7_T9_mT8_P12ihipStream_tbDpT10_ENKUlT_T0_E_clISt17integral_constantIbLb1EES17_IbLb0EEEEDaS13_S14_EUlS13_E_NS1_11comp_targetILNS1_3genE5ELNS1_11target_archE942ELNS1_3gpuE9ELNS1_3repE0EEENS1_30default_config_static_selectorELNS0_4arch9wavefront6targetE0EEEvT1_.num_vgpr, 0
	.set _ZN7rocprim17ROCPRIM_400000_NS6detail17trampoline_kernelINS0_14default_configENS1_25partition_config_selectorILNS1_17partition_subalgoE6ExNS0_10empty_typeEbEEZZNS1_14partition_implILS5_6ELb0ES3_mN6thrust23THRUST_200600_302600_NS6detail15normal_iteratorINSA_10device_ptrIxEEEEPS6_SG_NS0_5tupleIJSF_S6_EEENSH_IJSG_SG_EEES6_PlJNSB_9not_fun_tINSB_14equal_to_valueIxEEEEEEE10hipError_tPvRmT3_T4_T5_T6_T7_T9_mT8_P12ihipStream_tbDpT10_ENKUlT_T0_E_clISt17integral_constantIbLb1EES17_IbLb0EEEEDaS13_S14_EUlS13_E_NS1_11comp_targetILNS1_3genE5ELNS1_11target_archE942ELNS1_3gpuE9ELNS1_3repE0EEENS1_30default_config_static_selectorELNS0_4arch9wavefront6targetE0EEEvT1_.num_agpr, 0
	.set _ZN7rocprim17ROCPRIM_400000_NS6detail17trampoline_kernelINS0_14default_configENS1_25partition_config_selectorILNS1_17partition_subalgoE6ExNS0_10empty_typeEbEEZZNS1_14partition_implILS5_6ELb0ES3_mN6thrust23THRUST_200600_302600_NS6detail15normal_iteratorINSA_10device_ptrIxEEEEPS6_SG_NS0_5tupleIJSF_S6_EEENSH_IJSG_SG_EEES6_PlJNSB_9not_fun_tINSB_14equal_to_valueIxEEEEEEE10hipError_tPvRmT3_T4_T5_T6_T7_T9_mT8_P12ihipStream_tbDpT10_ENKUlT_T0_E_clISt17integral_constantIbLb1EES17_IbLb0EEEEDaS13_S14_EUlS13_E_NS1_11comp_targetILNS1_3genE5ELNS1_11target_archE942ELNS1_3gpuE9ELNS1_3repE0EEENS1_30default_config_static_selectorELNS0_4arch9wavefront6targetE0EEEvT1_.numbered_sgpr, 0
	.set _ZN7rocprim17ROCPRIM_400000_NS6detail17trampoline_kernelINS0_14default_configENS1_25partition_config_selectorILNS1_17partition_subalgoE6ExNS0_10empty_typeEbEEZZNS1_14partition_implILS5_6ELb0ES3_mN6thrust23THRUST_200600_302600_NS6detail15normal_iteratorINSA_10device_ptrIxEEEEPS6_SG_NS0_5tupleIJSF_S6_EEENSH_IJSG_SG_EEES6_PlJNSB_9not_fun_tINSB_14equal_to_valueIxEEEEEEE10hipError_tPvRmT3_T4_T5_T6_T7_T9_mT8_P12ihipStream_tbDpT10_ENKUlT_T0_E_clISt17integral_constantIbLb1EES17_IbLb0EEEEDaS13_S14_EUlS13_E_NS1_11comp_targetILNS1_3genE5ELNS1_11target_archE942ELNS1_3gpuE9ELNS1_3repE0EEENS1_30default_config_static_selectorELNS0_4arch9wavefront6targetE0EEEvT1_.num_named_barrier, 0
	.set _ZN7rocprim17ROCPRIM_400000_NS6detail17trampoline_kernelINS0_14default_configENS1_25partition_config_selectorILNS1_17partition_subalgoE6ExNS0_10empty_typeEbEEZZNS1_14partition_implILS5_6ELb0ES3_mN6thrust23THRUST_200600_302600_NS6detail15normal_iteratorINSA_10device_ptrIxEEEEPS6_SG_NS0_5tupleIJSF_S6_EEENSH_IJSG_SG_EEES6_PlJNSB_9not_fun_tINSB_14equal_to_valueIxEEEEEEE10hipError_tPvRmT3_T4_T5_T6_T7_T9_mT8_P12ihipStream_tbDpT10_ENKUlT_T0_E_clISt17integral_constantIbLb1EES17_IbLb0EEEEDaS13_S14_EUlS13_E_NS1_11comp_targetILNS1_3genE5ELNS1_11target_archE942ELNS1_3gpuE9ELNS1_3repE0EEENS1_30default_config_static_selectorELNS0_4arch9wavefront6targetE0EEEvT1_.private_seg_size, 0
	.set _ZN7rocprim17ROCPRIM_400000_NS6detail17trampoline_kernelINS0_14default_configENS1_25partition_config_selectorILNS1_17partition_subalgoE6ExNS0_10empty_typeEbEEZZNS1_14partition_implILS5_6ELb0ES3_mN6thrust23THRUST_200600_302600_NS6detail15normal_iteratorINSA_10device_ptrIxEEEEPS6_SG_NS0_5tupleIJSF_S6_EEENSH_IJSG_SG_EEES6_PlJNSB_9not_fun_tINSB_14equal_to_valueIxEEEEEEE10hipError_tPvRmT3_T4_T5_T6_T7_T9_mT8_P12ihipStream_tbDpT10_ENKUlT_T0_E_clISt17integral_constantIbLb1EES17_IbLb0EEEEDaS13_S14_EUlS13_E_NS1_11comp_targetILNS1_3genE5ELNS1_11target_archE942ELNS1_3gpuE9ELNS1_3repE0EEENS1_30default_config_static_selectorELNS0_4arch9wavefront6targetE0EEEvT1_.uses_vcc, 0
	.set _ZN7rocprim17ROCPRIM_400000_NS6detail17trampoline_kernelINS0_14default_configENS1_25partition_config_selectorILNS1_17partition_subalgoE6ExNS0_10empty_typeEbEEZZNS1_14partition_implILS5_6ELb0ES3_mN6thrust23THRUST_200600_302600_NS6detail15normal_iteratorINSA_10device_ptrIxEEEEPS6_SG_NS0_5tupleIJSF_S6_EEENSH_IJSG_SG_EEES6_PlJNSB_9not_fun_tINSB_14equal_to_valueIxEEEEEEE10hipError_tPvRmT3_T4_T5_T6_T7_T9_mT8_P12ihipStream_tbDpT10_ENKUlT_T0_E_clISt17integral_constantIbLb1EES17_IbLb0EEEEDaS13_S14_EUlS13_E_NS1_11comp_targetILNS1_3genE5ELNS1_11target_archE942ELNS1_3gpuE9ELNS1_3repE0EEENS1_30default_config_static_selectorELNS0_4arch9wavefront6targetE0EEEvT1_.uses_flat_scratch, 0
	.set _ZN7rocprim17ROCPRIM_400000_NS6detail17trampoline_kernelINS0_14default_configENS1_25partition_config_selectorILNS1_17partition_subalgoE6ExNS0_10empty_typeEbEEZZNS1_14partition_implILS5_6ELb0ES3_mN6thrust23THRUST_200600_302600_NS6detail15normal_iteratorINSA_10device_ptrIxEEEEPS6_SG_NS0_5tupleIJSF_S6_EEENSH_IJSG_SG_EEES6_PlJNSB_9not_fun_tINSB_14equal_to_valueIxEEEEEEE10hipError_tPvRmT3_T4_T5_T6_T7_T9_mT8_P12ihipStream_tbDpT10_ENKUlT_T0_E_clISt17integral_constantIbLb1EES17_IbLb0EEEEDaS13_S14_EUlS13_E_NS1_11comp_targetILNS1_3genE5ELNS1_11target_archE942ELNS1_3gpuE9ELNS1_3repE0EEENS1_30default_config_static_selectorELNS0_4arch9wavefront6targetE0EEEvT1_.has_dyn_sized_stack, 0
	.set _ZN7rocprim17ROCPRIM_400000_NS6detail17trampoline_kernelINS0_14default_configENS1_25partition_config_selectorILNS1_17partition_subalgoE6ExNS0_10empty_typeEbEEZZNS1_14partition_implILS5_6ELb0ES3_mN6thrust23THRUST_200600_302600_NS6detail15normal_iteratorINSA_10device_ptrIxEEEEPS6_SG_NS0_5tupleIJSF_S6_EEENSH_IJSG_SG_EEES6_PlJNSB_9not_fun_tINSB_14equal_to_valueIxEEEEEEE10hipError_tPvRmT3_T4_T5_T6_T7_T9_mT8_P12ihipStream_tbDpT10_ENKUlT_T0_E_clISt17integral_constantIbLb1EES17_IbLb0EEEEDaS13_S14_EUlS13_E_NS1_11comp_targetILNS1_3genE5ELNS1_11target_archE942ELNS1_3gpuE9ELNS1_3repE0EEENS1_30default_config_static_selectorELNS0_4arch9wavefront6targetE0EEEvT1_.has_recursion, 0
	.set _ZN7rocprim17ROCPRIM_400000_NS6detail17trampoline_kernelINS0_14default_configENS1_25partition_config_selectorILNS1_17partition_subalgoE6ExNS0_10empty_typeEbEEZZNS1_14partition_implILS5_6ELb0ES3_mN6thrust23THRUST_200600_302600_NS6detail15normal_iteratorINSA_10device_ptrIxEEEEPS6_SG_NS0_5tupleIJSF_S6_EEENSH_IJSG_SG_EEES6_PlJNSB_9not_fun_tINSB_14equal_to_valueIxEEEEEEE10hipError_tPvRmT3_T4_T5_T6_T7_T9_mT8_P12ihipStream_tbDpT10_ENKUlT_T0_E_clISt17integral_constantIbLb1EES17_IbLb0EEEEDaS13_S14_EUlS13_E_NS1_11comp_targetILNS1_3genE5ELNS1_11target_archE942ELNS1_3gpuE9ELNS1_3repE0EEENS1_30default_config_static_selectorELNS0_4arch9wavefront6targetE0EEEvT1_.has_indirect_call, 0
	.section	.AMDGPU.csdata,"",@progbits
; Kernel info:
; codeLenInByte = 0
; TotalNumSgprs: 0
; NumVgprs: 0
; ScratchSize: 0
; MemoryBound: 0
; FloatMode: 240
; IeeeMode: 1
; LDSByteSize: 0 bytes/workgroup (compile time only)
; SGPRBlocks: 0
; VGPRBlocks: 0
; NumSGPRsForWavesPerEU: 1
; NumVGPRsForWavesPerEU: 1
; Occupancy: 16
; WaveLimiterHint : 0
; COMPUTE_PGM_RSRC2:SCRATCH_EN: 0
; COMPUTE_PGM_RSRC2:USER_SGPR: 2
; COMPUTE_PGM_RSRC2:TRAP_HANDLER: 0
; COMPUTE_PGM_RSRC2:TGID_X_EN: 1
; COMPUTE_PGM_RSRC2:TGID_Y_EN: 0
; COMPUTE_PGM_RSRC2:TGID_Z_EN: 0
; COMPUTE_PGM_RSRC2:TIDIG_COMP_CNT: 0
	.section	.text._ZN7rocprim17ROCPRIM_400000_NS6detail17trampoline_kernelINS0_14default_configENS1_25partition_config_selectorILNS1_17partition_subalgoE6ExNS0_10empty_typeEbEEZZNS1_14partition_implILS5_6ELb0ES3_mN6thrust23THRUST_200600_302600_NS6detail15normal_iteratorINSA_10device_ptrIxEEEEPS6_SG_NS0_5tupleIJSF_S6_EEENSH_IJSG_SG_EEES6_PlJNSB_9not_fun_tINSB_14equal_to_valueIxEEEEEEE10hipError_tPvRmT3_T4_T5_T6_T7_T9_mT8_P12ihipStream_tbDpT10_ENKUlT_T0_E_clISt17integral_constantIbLb1EES17_IbLb0EEEEDaS13_S14_EUlS13_E_NS1_11comp_targetILNS1_3genE4ELNS1_11target_archE910ELNS1_3gpuE8ELNS1_3repE0EEENS1_30default_config_static_selectorELNS0_4arch9wavefront6targetE0EEEvT1_,"axG",@progbits,_ZN7rocprim17ROCPRIM_400000_NS6detail17trampoline_kernelINS0_14default_configENS1_25partition_config_selectorILNS1_17partition_subalgoE6ExNS0_10empty_typeEbEEZZNS1_14partition_implILS5_6ELb0ES3_mN6thrust23THRUST_200600_302600_NS6detail15normal_iteratorINSA_10device_ptrIxEEEEPS6_SG_NS0_5tupleIJSF_S6_EEENSH_IJSG_SG_EEES6_PlJNSB_9not_fun_tINSB_14equal_to_valueIxEEEEEEE10hipError_tPvRmT3_T4_T5_T6_T7_T9_mT8_P12ihipStream_tbDpT10_ENKUlT_T0_E_clISt17integral_constantIbLb1EES17_IbLb0EEEEDaS13_S14_EUlS13_E_NS1_11comp_targetILNS1_3genE4ELNS1_11target_archE910ELNS1_3gpuE8ELNS1_3repE0EEENS1_30default_config_static_selectorELNS0_4arch9wavefront6targetE0EEEvT1_,comdat
	.protected	_ZN7rocprim17ROCPRIM_400000_NS6detail17trampoline_kernelINS0_14default_configENS1_25partition_config_selectorILNS1_17partition_subalgoE6ExNS0_10empty_typeEbEEZZNS1_14partition_implILS5_6ELb0ES3_mN6thrust23THRUST_200600_302600_NS6detail15normal_iteratorINSA_10device_ptrIxEEEEPS6_SG_NS0_5tupleIJSF_S6_EEENSH_IJSG_SG_EEES6_PlJNSB_9not_fun_tINSB_14equal_to_valueIxEEEEEEE10hipError_tPvRmT3_T4_T5_T6_T7_T9_mT8_P12ihipStream_tbDpT10_ENKUlT_T0_E_clISt17integral_constantIbLb1EES17_IbLb0EEEEDaS13_S14_EUlS13_E_NS1_11comp_targetILNS1_3genE4ELNS1_11target_archE910ELNS1_3gpuE8ELNS1_3repE0EEENS1_30default_config_static_selectorELNS0_4arch9wavefront6targetE0EEEvT1_ ; -- Begin function _ZN7rocprim17ROCPRIM_400000_NS6detail17trampoline_kernelINS0_14default_configENS1_25partition_config_selectorILNS1_17partition_subalgoE6ExNS0_10empty_typeEbEEZZNS1_14partition_implILS5_6ELb0ES3_mN6thrust23THRUST_200600_302600_NS6detail15normal_iteratorINSA_10device_ptrIxEEEEPS6_SG_NS0_5tupleIJSF_S6_EEENSH_IJSG_SG_EEES6_PlJNSB_9not_fun_tINSB_14equal_to_valueIxEEEEEEE10hipError_tPvRmT3_T4_T5_T6_T7_T9_mT8_P12ihipStream_tbDpT10_ENKUlT_T0_E_clISt17integral_constantIbLb1EES17_IbLb0EEEEDaS13_S14_EUlS13_E_NS1_11comp_targetILNS1_3genE4ELNS1_11target_archE910ELNS1_3gpuE8ELNS1_3repE0EEENS1_30default_config_static_selectorELNS0_4arch9wavefront6targetE0EEEvT1_
	.globl	_ZN7rocprim17ROCPRIM_400000_NS6detail17trampoline_kernelINS0_14default_configENS1_25partition_config_selectorILNS1_17partition_subalgoE6ExNS0_10empty_typeEbEEZZNS1_14partition_implILS5_6ELb0ES3_mN6thrust23THRUST_200600_302600_NS6detail15normal_iteratorINSA_10device_ptrIxEEEEPS6_SG_NS0_5tupleIJSF_S6_EEENSH_IJSG_SG_EEES6_PlJNSB_9not_fun_tINSB_14equal_to_valueIxEEEEEEE10hipError_tPvRmT3_T4_T5_T6_T7_T9_mT8_P12ihipStream_tbDpT10_ENKUlT_T0_E_clISt17integral_constantIbLb1EES17_IbLb0EEEEDaS13_S14_EUlS13_E_NS1_11comp_targetILNS1_3genE4ELNS1_11target_archE910ELNS1_3gpuE8ELNS1_3repE0EEENS1_30default_config_static_selectorELNS0_4arch9wavefront6targetE0EEEvT1_
	.p2align	8
	.type	_ZN7rocprim17ROCPRIM_400000_NS6detail17trampoline_kernelINS0_14default_configENS1_25partition_config_selectorILNS1_17partition_subalgoE6ExNS0_10empty_typeEbEEZZNS1_14partition_implILS5_6ELb0ES3_mN6thrust23THRUST_200600_302600_NS6detail15normal_iteratorINSA_10device_ptrIxEEEEPS6_SG_NS0_5tupleIJSF_S6_EEENSH_IJSG_SG_EEES6_PlJNSB_9not_fun_tINSB_14equal_to_valueIxEEEEEEE10hipError_tPvRmT3_T4_T5_T6_T7_T9_mT8_P12ihipStream_tbDpT10_ENKUlT_T0_E_clISt17integral_constantIbLb1EES17_IbLb0EEEEDaS13_S14_EUlS13_E_NS1_11comp_targetILNS1_3genE4ELNS1_11target_archE910ELNS1_3gpuE8ELNS1_3repE0EEENS1_30default_config_static_selectorELNS0_4arch9wavefront6targetE0EEEvT1_,@function
_ZN7rocprim17ROCPRIM_400000_NS6detail17trampoline_kernelINS0_14default_configENS1_25partition_config_selectorILNS1_17partition_subalgoE6ExNS0_10empty_typeEbEEZZNS1_14partition_implILS5_6ELb0ES3_mN6thrust23THRUST_200600_302600_NS6detail15normal_iteratorINSA_10device_ptrIxEEEEPS6_SG_NS0_5tupleIJSF_S6_EEENSH_IJSG_SG_EEES6_PlJNSB_9not_fun_tINSB_14equal_to_valueIxEEEEEEE10hipError_tPvRmT3_T4_T5_T6_T7_T9_mT8_P12ihipStream_tbDpT10_ENKUlT_T0_E_clISt17integral_constantIbLb1EES17_IbLb0EEEEDaS13_S14_EUlS13_E_NS1_11comp_targetILNS1_3genE4ELNS1_11target_archE910ELNS1_3gpuE8ELNS1_3repE0EEENS1_30default_config_static_selectorELNS0_4arch9wavefront6targetE0EEEvT1_: ; @_ZN7rocprim17ROCPRIM_400000_NS6detail17trampoline_kernelINS0_14default_configENS1_25partition_config_selectorILNS1_17partition_subalgoE6ExNS0_10empty_typeEbEEZZNS1_14partition_implILS5_6ELb0ES3_mN6thrust23THRUST_200600_302600_NS6detail15normal_iteratorINSA_10device_ptrIxEEEEPS6_SG_NS0_5tupleIJSF_S6_EEENSH_IJSG_SG_EEES6_PlJNSB_9not_fun_tINSB_14equal_to_valueIxEEEEEEE10hipError_tPvRmT3_T4_T5_T6_T7_T9_mT8_P12ihipStream_tbDpT10_ENKUlT_T0_E_clISt17integral_constantIbLb1EES17_IbLb0EEEEDaS13_S14_EUlS13_E_NS1_11comp_targetILNS1_3genE4ELNS1_11target_archE910ELNS1_3gpuE8ELNS1_3repE0EEENS1_30default_config_static_selectorELNS0_4arch9wavefront6targetE0EEEvT1_
; %bb.0:
	.section	.rodata,"a",@progbits
	.p2align	6, 0x0
	.amdhsa_kernel _ZN7rocprim17ROCPRIM_400000_NS6detail17trampoline_kernelINS0_14default_configENS1_25partition_config_selectorILNS1_17partition_subalgoE6ExNS0_10empty_typeEbEEZZNS1_14partition_implILS5_6ELb0ES3_mN6thrust23THRUST_200600_302600_NS6detail15normal_iteratorINSA_10device_ptrIxEEEEPS6_SG_NS0_5tupleIJSF_S6_EEENSH_IJSG_SG_EEES6_PlJNSB_9not_fun_tINSB_14equal_to_valueIxEEEEEEE10hipError_tPvRmT3_T4_T5_T6_T7_T9_mT8_P12ihipStream_tbDpT10_ENKUlT_T0_E_clISt17integral_constantIbLb1EES17_IbLb0EEEEDaS13_S14_EUlS13_E_NS1_11comp_targetILNS1_3genE4ELNS1_11target_archE910ELNS1_3gpuE8ELNS1_3repE0EEENS1_30default_config_static_selectorELNS0_4arch9wavefront6targetE0EEEvT1_
		.amdhsa_group_segment_fixed_size 0
		.amdhsa_private_segment_fixed_size 0
		.amdhsa_kernarg_size 120
		.amdhsa_user_sgpr_count 2
		.amdhsa_user_sgpr_dispatch_ptr 0
		.amdhsa_user_sgpr_queue_ptr 0
		.amdhsa_user_sgpr_kernarg_segment_ptr 1
		.amdhsa_user_sgpr_dispatch_id 0
		.amdhsa_user_sgpr_private_segment_size 0
		.amdhsa_wavefront_size32 1
		.amdhsa_uses_dynamic_stack 0
		.amdhsa_enable_private_segment 0
		.amdhsa_system_sgpr_workgroup_id_x 1
		.amdhsa_system_sgpr_workgroup_id_y 0
		.amdhsa_system_sgpr_workgroup_id_z 0
		.amdhsa_system_sgpr_workgroup_info 0
		.amdhsa_system_vgpr_workitem_id 0
		.amdhsa_next_free_vgpr 1
		.amdhsa_next_free_sgpr 1
		.amdhsa_reserve_vcc 0
		.amdhsa_float_round_mode_32 0
		.amdhsa_float_round_mode_16_64 0
		.amdhsa_float_denorm_mode_32 3
		.amdhsa_float_denorm_mode_16_64 3
		.amdhsa_fp16_overflow 0
		.amdhsa_workgroup_processor_mode 1
		.amdhsa_memory_ordered 1
		.amdhsa_forward_progress 1
		.amdhsa_inst_pref_size 0
		.amdhsa_round_robin_scheduling 0
		.amdhsa_exception_fp_ieee_invalid_op 0
		.amdhsa_exception_fp_denorm_src 0
		.amdhsa_exception_fp_ieee_div_zero 0
		.amdhsa_exception_fp_ieee_overflow 0
		.amdhsa_exception_fp_ieee_underflow 0
		.amdhsa_exception_fp_ieee_inexact 0
		.amdhsa_exception_int_div_zero 0
	.end_amdhsa_kernel
	.section	.text._ZN7rocprim17ROCPRIM_400000_NS6detail17trampoline_kernelINS0_14default_configENS1_25partition_config_selectorILNS1_17partition_subalgoE6ExNS0_10empty_typeEbEEZZNS1_14partition_implILS5_6ELb0ES3_mN6thrust23THRUST_200600_302600_NS6detail15normal_iteratorINSA_10device_ptrIxEEEEPS6_SG_NS0_5tupleIJSF_S6_EEENSH_IJSG_SG_EEES6_PlJNSB_9not_fun_tINSB_14equal_to_valueIxEEEEEEE10hipError_tPvRmT3_T4_T5_T6_T7_T9_mT8_P12ihipStream_tbDpT10_ENKUlT_T0_E_clISt17integral_constantIbLb1EES17_IbLb0EEEEDaS13_S14_EUlS13_E_NS1_11comp_targetILNS1_3genE4ELNS1_11target_archE910ELNS1_3gpuE8ELNS1_3repE0EEENS1_30default_config_static_selectorELNS0_4arch9wavefront6targetE0EEEvT1_,"axG",@progbits,_ZN7rocprim17ROCPRIM_400000_NS6detail17trampoline_kernelINS0_14default_configENS1_25partition_config_selectorILNS1_17partition_subalgoE6ExNS0_10empty_typeEbEEZZNS1_14partition_implILS5_6ELb0ES3_mN6thrust23THRUST_200600_302600_NS6detail15normal_iteratorINSA_10device_ptrIxEEEEPS6_SG_NS0_5tupleIJSF_S6_EEENSH_IJSG_SG_EEES6_PlJNSB_9not_fun_tINSB_14equal_to_valueIxEEEEEEE10hipError_tPvRmT3_T4_T5_T6_T7_T9_mT8_P12ihipStream_tbDpT10_ENKUlT_T0_E_clISt17integral_constantIbLb1EES17_IbLb0EEEEDaS13_S14_EUlS13_E_NS1_11comp_targetILNS1_3genE4ELNS1_11target_archE910ELNS1_3gpuE8ELNS1_3repE0EEENS1_30default_config_static_selectorELNS0_4arch9wavefront6targetE0EEEvT1_,comdat
.Lfunc_end455:
	.size	_ZN7rocprim17ROCPRIM_400000_NS6detail17trampoline_kernelINS0_14default_configENS1_25partition_config_selectorILNS1_17partition_subalgoE6ExNS0_10empty_typeEbEEZZNS1_14partition_implILS5_6ELb0ES3_mN6thrust23THRUST_200600_302600_NS6detail15normal_iteratorINSA_10device_ptrIxEEEEPS6_SG_NS0_5tupleIJSF_S6_EEENSH_IJSG_SG_EEES6_PlJNSB_9not_fun_tINSB_14equal_to_valueIxEEEEEEE10hipError_tPvRmT3_T4_T5_T6_T7_T9_mT8_P12ihipStream_tbDpT10_ENKUlT_T0_E_clISt17integral_constantIbLb1EES17_IbLb0EEEEDaS13_S14_EUlS13_E_NS1_11comp_targetILNS1_3genE4ELNS1_11target_archE910ELNS1_3gpuE8ELNS1_3repE0EEENS1_30default_config_static_selectorELNS0_4arch9wavefront6targetE0EEEvT1_, .Lfunc_end455-_ZN7rocprim17ROCPRIM_400000_NS6detail17trampoline_kernelINS0_14default_configENS1_25partition_config_selectorILNS1_17partition_subalgoE6ExNS0_10empty_typeEbEEZZNS1_14partition_implILS5_6ELb0ES3_mN6thrust23THRUST_200600_302600_NS6detail15normal_iteratorINSA_10device_ptrIxEEEEPS6_SG_NS0_5tupleIJSF_S6_EEENSH_IJSG_SG_EEES6_PlJNSB_9not_fun_tINSB_14equal_to_valueIxEEEEEEE10hipError_tPvRmT3_T4_T5_T6_T7_T9_mT8_P12ihipStream_tbDpT10_ENKUlT_T0_E_clISt17integral_constantIbLb1EES17_IbLb0EEEEDaS13_S14_EUlS13_E_NS1_11comp_targetILNS1_3genE4ELNS1_11target_archE910ELNS1_3gpuE8ELNS1_3repE0EEENS1_30default_config_static_selectorELNS0_4arch9wavefront6targetE0EEEvT1_
                                        ; -- End function
	.set _ZN7rocprim17ROCPRIM_400000_NS6detail17trampoline_kernelINS0_14default_configENS1_25partition_config_selectorILNS1_17partition_subalgoE6ExNS0_10empty_typeEbEEZZNS1_14partition_implILS5_6ELb0ES3_mN6thrust23THRUST_200600_302600_NS6detail15normal_iteratorINSA_10device_ptrIxEEEEPS6_SG_NS0_5tupleIJSF_S6_EEENSH_IJSG_SG_EEES6_PlJNSB_9not_fun_tINSB_14equal_to_valueIxEEEEEEE10hipError_tPvRmT3_T4_T5_T6_T7_T9_mT8_P12ihipStream_tbDpT10_ENKUlT_T0_E_clISt17integral_constantIbLb1EES17_IbLb0EEEEDaS13_S14_EUlS13_E_NS1_11comp_targetILNS1_3genE4ELNS1_11target_archE910ELNS1_3gpuE8ELNS1_3repE0EEENS1_30default_config_static_selectorELNS0_4arch9wavefront6targetE0EEEvT1_.num_vgpr, 0
	.set _ZN7rocprim17ROCPRIM_400000_NS6detail17trampoline_kernelINS0_14default_configENS1_25partition_config_selectorILNS1_17partition_subalgoE6ExNS0_10empty_typeEbEEZZNS1_14partition_implILS5_6ELb0ES3_mN6thrust23THRUST_200600_302600_NS6detail15normal_iteratorINSA_10device_ptrIxEEEEPS6_SG_NS0_5tupleIJSF_S6_EEENSH_IJSG_SG_EEES6_PlJNSB_9not_fun_tINSB_14equal_to_valueIxEEEEEEE10hipError_tPvRmT3_T4_T5_T6_T7_T9_mT8_P12ihipStream_tbDpT10_ENKUlT_T0_E_clISt17integral_constantIbLb1EES17_IbLb0EEEEDaS13_S14_EUlS13_E_NS1_11comp_targetILNS1_3genE4ELNS1_11target_archE910ELNS1_3gpuE8ELNS1_3repE0EEENS1_30default_config_static_selectorELNS0_4arch9wavefront6targetE0EEEvT1_.num_agpr, 0
	.set _ZN7rocprim17ROCPRIM_400000_NS6detail17trampoline_kernelINS0_14default_configENS1_25partition_config_selectorILNS1_17partition_subalgoE6ExNS0_10empty_typeEbEEZZNS1_14partition_implILS5_6ELb0ES3_mN6thrust23THRUST_200600_302600_NS6detail15normal_iteratorINSA_10device_ptrIxEEEEPS6_SG_NS0_5tupleIJSF_S6_EEENSH_IJSG_SG_EEES6_PlJNSB_9not_fun_tINSB_14equal_to_valueIxEEEEEEE10hipError_tPvRmT3_T4_T5_T6_T7_T9_mT8_P12ihipStream_tbDpT10_ENKUlT_T0_E_clISt17integral_constantIbLb1EES17_IbLb0EEEEDaS13_S14_EUlS13_E_NS1_11comp_targetILNS1_3genE4ELNS1_11target_archE910ELNS1_3gpuE8ELNS1_3repE0EEENS1_30default_config_static_selectorELNS0_4arch9wavefront6targetE0EEEvT1_.numbered_sgpr, 0
	.set _ZN7rocprim17ROCPRIM_400000_NS6detail17trampoline_kernelINS0_14default_configENS1_25partition_config_selectorILNS1_17partition_subalgoE6ExNS0_10empty_typeEbEEZZNS1_14partition_implILS5_6ELb0ES3_mN6thrust23THRUST_200600_302600_NS6detail15normal_iteratorINSA_10device_ptrIxEEEEPS6_SG_NS0_5tupleIJSF_S6_EEENSH_IJSG_SG_EEES6_PlJNSB_9not_fun_tINSB_14equal_to_valueIxEEEEEEE10hipError_tPvRmT3_T4_T5_T6_T7_T9_mT8_P12ihipStream_tbDpT10_ENKUlT_T0_E_clISt17integral_constantIbLb1EES17_IbLb0EEEEDaS13_S14_EUlS13_E_NS1_11comp_targetILNS1_3genE4ELNS1_11target_archE910ELNS1_3gpuE8ELNS1_3repE0EEENS1_30default_config_static_selectorELNS0_4arch9wavefront6targetE0EEEvT1_.num_named_barrier, 0
	.set _ZN7rocprim17ROCPRIM_400000_NS6detail17trampoline_kernelINS0_14default_configENS1_25partition_config_selectorILNS1_17partition_subalgoE6ExNS0_10empty_typeEbEEZZNS1_14partition_implILS5_6ELb0ES3_mN6thrust23THRUST_200600_302600_NS6detail15normal_iteratorINSA_10device_ptrIxEEEEPS6_SG_NS0_5tupleIJSF_S6_EEENSH_IJSG_SG_EEES6_PlJNSB_9not_fun_tINSB_14equal_to_valueIxEEEEEEE10hipError_tPvRmT3_T4_T5_T6_T7_T9_mT8_P12ihipStream_tbDpT10_ENKUlT_T0_E_clISt17integral_constantIbLb1EES17_IbLb0EEEEDaS13_S14_EUlS13_E_NS1_11comp_targetILNS1_3genE4ELNS1_11target_archE910ELNS1_3gpuE8ELNS1_3repE0EEENS1_30default_config_static_selectorELNS0_4arch9wavefront6targetE0EEEvT1_.private_seg_size, 0
	.set _ZN7rocprim17ROCPRIM_400000_NS6detail17trampoline_kernelINS0_14default_configENS1_25partition_config_selectorILNS1_17partition_subalgoE6ExNS0_10empty_typeEbEEZZNS1_14partition_implILS5_6ELb0ES3_mN6thrust23THRUST_200600_302600_NS6detail15normal_iteratorINSA_10device_ptrIxEEEEPS6_SG_NS0_5tupleIJSF_S6_EEENSH_IJSG_SG_EEES6_PlJNSB_9not_fun_tINSB_14equal_to_valueIxEEEEEEE10hipError_tPvRmT3_T4_T5_T6_T7_T9_mT8_P12ihipStream_tbDpT10_ENKUlT_T0_E_clISt17integral_constantIbLb1EES17_IbLb0EEEEDaS13_S14_EUlS13_E_NS1_11comp_targetILNS1_3genE4ELNS1_11target_archE910ELNS1_3gpuE8ELNS1_3repE0EEENS1_30default_config_static_selectorELNS0_4arch9wavefront6targetE0EEEvT1_.uses_vcc, 0
	.set _ZN7rocprim17ROCPRIM_400000_NS6detail17trampoline_kernelINS0_14default_configENS1_25partition_config_selectorILNS1_17partition_subalgoE6ExNS0_10empty_typeEbEEZZNS1_14partition_implILS5_6ELb0ES3_mN6thrust23THRUST_200600_302600_NS6detail15normal_iteratorINSA_10device_ptrIxEEEEPS6_SG_NS0_5tupleIJSF_S6_EEENSH_IJSG_SG_EEES6_PlJNSB_9not_fun_tINSB_14equal_to_valueIxEEEEEEE10hipError_tPvRmT3_T4_T5_T6_T7_T9_mT8_P12ihipStream_tbDpT10_ENKUlT_T0_E_clISt17integral_constantIbLb1EES17_IbLb0EEEEDaS13_S14_EUlS13_E_NS1_11comp_targetILNS1_3genE4ELNS1_11target_archE910ELNS1_3gpuE8ELNS1_3repE0EEENS1_30default_config_static_selectorELNS0_4arch9wavefront6targetE0EEEvT1_.uses_flat_scratch, 0
	.set _ZN7rocprim17ROCPRIM_400000_NS6detail17trampoline_kernelINS0_14default_configENS1_25partition_config_selectorILNS1_17partition_subalgoE6ExNS0_10empty_typeEbEEZZNS1_14partition_implILS5_6ELb0ES3_mN6thrust23THRUST_200600_302600_NS6detail15normal_iteratorINSA_10device_ptrIxEEEEPS6_SG_NS0_5tupleIJSF_S6_EEENSH_IJSG_SG_EEES6_PlJNSB_9not_fun_tINSB_14equal_to_valueIxEEEEEEE10hipError_tPvRmT3_T4_T5_T6_T7_T9_mT8_P12ihipStream_tbDpT10_ENKUlT_T0_E_clISt17integral_constantIbLb1EES17_IbLb0EEEEDaS13_S14_EUlS13_E_NS1_11comp_targetILNS1_3genE4ELNS1_11target_archE910ELNS1_3gpuE8ELNS1_3repE0EEENS1_30default_config_static_selectorELNS0_4arch9wavefront6targetE0EEEvT1_.has_dyn_sized_stack, 0
	.set _ZN7rocprim17ROCPRIM_400000_NS6detail17trampoline_kernelINS0_14default_configENS1_25partition_config_selectorILNS1_17partition_subalgoE6ExNS0_10empty_typeEbEEZZNS1_14partition_implILS5_6ELb0ES3_mN6thrust23THRUST_200600_302600_NS6detail15normal_iteratorINSA_10device_ptrIxEEEEPS6_SG_NS0_5tupleIJSF_S6_EEENSH_IJSG_SG_EEES6_PlJNSB_9not_fun_tINSB_14equal_to_valueIxEEEEEEE10hipError_tPvRmT3_T4_T5_T6_T7_T9_mT8_P12ihipStream_tbDpT10_ENKUlT_T0_E_clISt17integral_constantIbLb1EES17_IbLb0EEEEDaS13_S14_EUlS13_E_NS1_11comp_targetILNS1_3genE4ELNS1_11target_archE910ELNS1_3gpuE8ELNS1_3repE0EEENS1_30default_config_static_selectorELNS0_4arch9wavefront6targetE0EEEvT1_.has_recursion, 0
	.set _ZN7rocprim17ROCPRIM_400000_NS6detail17trampoline_kernelINS0_14default_configENS1_25partition_config_selectorILNS1_17partition_subalgoE6ExNS0_10empty_typeEbEEZZNS1_14partition_implILS5_6ELb0ES3_mN6thrust23THRUST_200600_302600_NS6detail15normal_iteratorINSA_10device_ptrIxEEEEPS6_SG_NS0_5tupleIJSF_S6_EEENSH_IJSG_SG_EEES6_PlJNSB_9not_fun_tINSB_14equal_to_valueIxEEEEEEE10hipError_tPvRmT3_T4_T5_T6_T7_T9_mT8_P12ihipStream_tbDpT10_ENKUlT_T0_E_clISt17integral_constantIbLb1EES17_IbLb0EEEEDaS13_S14_EUlS13_E_NS1_11comp_targetILNS1_3genE4ELNS1_11target_archE910ELNS1_3gpuE8ELNS1_3repE0EEENS1_30default_config_static_selectorELNS0_4arch9wavefront6targetE0EEEvT1_.has_indirect_call, 0
	.section	.AMDGPU.csdata,"",@progbits
; Kernel info:
; codeLenInByte = 0
; TotalNumSgprs: 0
; NumVgprs: 0
; ScratchSize: 0
; MemoryBound: 0
; FloatMode: 240
; IeeeMode: 1
; LDSByteSize: 0 bytes/workgroup (compile time only)
; SGPRBlocks: 0
; VGPRBlocks: 0
; NumSGPRsForWavesPerEU: 1
; NumVGPRsForWavesPerEU: 1
; Occupancy: 16
; WaveLimiterHint : 0
; COMPUTE_PGM_RSRC2:SCRATCH_EN: 0
; COMPUTE_PGM_RSRC2:USER_SGPR: 2
; COMPUTE_PGM_RSRC2:TRAP_HANDLER: 0
; COMPUTE_PGM_RSRC2:TGID_X_EN: 1
; COMPUTE_PGM_RSRC2:TGID_Y_EN: 0
; COMPUTE_PGM_RSRC2:TGID_Z_EN: 0
; COMPUTE_PGM_RSRC2:TIDIG_COMP_CNT: 0
	.section	.text._ZN7rocprim17ROCPRIM_400000_NS6detail17trampoline_kernelINS0_14default_configENS1_25partition_config_selectorILNS1_17partition_subalgoE6ExNS0_10empty_typeEbEEZZNS1_14partition_implILS5_6ELb0ES3_mN6thrust23THRUST_200600_302600_NS6detail15normal_iteratorINSA_10device_ptrIxEEEEPS6_SG_NS0_5tupleIJSF_S6_EEENSH_IJSG_SG_EEES6_PlJNSB_9not_fun_tINSB_14equal_to_valueIxEEEEEEE10hipError_tPvRmT3_T4_T5_T6_T7_T9_mT8_P12ihipStream_tbDpT10_ENKUlT_T0_E_clISt17integral_constantIbLb1EES17_IbLb0EEEEDaS13_S14_EUlS13_E_NS1_11comp_targetILNS1_3genE3ELNS1_11target_archE908ELNS1_3gpuE7ELNS1_3repE0EEENS1_30default_config_static_selectorELNS0_4arch9wavefront6targetE0EEEvT1_,"axG",@progbits,_ZN7rocprim17ROCPRIM_400000_NS6detail17trampoline_kernelINS0_14default_configENS1_25partition_config_selectorILNS1_17partition_subalgoE6ExNS0_10empty_typeEbEEZZNS1_14partition_implILS5_6ELb0ES3_mN6thrust23THRUST_200600_302600_NS6detail15normal_iteratorINSA_10device_ptrIxEEEEPS6_SG_NS0_5tupleIJSF_S6_EEENSH_IJSG_SG_EEES6_PlJNSB_9not_fun_tINSB_14equal_to_valueIxEEEEEEE10hipError_tPvRmT3_T4_T5_T6_T7_T9_mT8_P12ihipStream_tbDpT10_ENKUlT_T0_E_clISt17integral_constantIbLb1EES17_IbLb0EEEEDaS13_S14_EUlS13_E_NS1_11comp_targetILNS1_3genE3ELNS1_11target_archE908ELNS1_3gpuE7ELNS1_3repE0EEENS1_30default_config_static_selectorELNS0_4arch9wavefront6targetE0EEEvT1_,comdat
	.protected	_ZN7rocprim17ROCPRIM_400000_NS6detail17trampoline_kernelINS0_14default_configENS1_25partition_config_selectorILNS1_17partition_subalgoE6ExNS0_10empty_typeEbEEZZNS1_14partition_implILS5_6ELb0ES3_mN6thrust23THRUST_200600_302600_NS6detail15normal_iteratorINSA_10device_ptrIxEEEEPS6_SG_NS0_5tupleIJSF_S6_EEENSH_IJSG_SG_EEES6_PlJNSB_9not_fun_tINSB_14equal_to_valueIxEEEEEEE10hipError_tPvRmT3_T4_T5_T6_T7_T9_mT8_P12ihipStream_tbDpT10_ENKUlT_T0_E_clISt17integral_constantIbLb1EES17_IbLb0EEEEDaS13_S14_EUlS13_E_NS1_11comp_targetILNS1_3genE3ELNS1_11target_archE908ELNS1_3gpuE7ELNS1_3repE0EEENS1_30default_config_static_selectorELNS0_4arch9wavefront6targetE0EEEvT1_ ; -- Begin function _ZN7rocprim17ROCPRIM_400000_NS6detail17trampoline_kernelINS0_14default_configENS1_25partition_config_selectorILNS1_17partition_subalgoE6ExNS0_10empty_typeEbEEZZNS1_14partition_implILS5_6ELb0ES3_mN6thrust23THRUST_200600_302600_NS6detail15normal_iteratorINSA_10device_ptrIxEEEEPS6_SG_NS0_5tupleIJSF_S6_EEENSH_IJSG_SG_EEES6_PlJNSB_9not_fun_tINSB_14equal_to_valueIxEEEEEEE10hipError_tPvRmT3_T4_T5_T6_T7_T9_mT8_P12ihipStream_tbDpT10_ENKUlT_T0_E_clISt17integral_constantIbLb1EES17_IbLb0EEEEDaS13_S14_EUlS13_E_NS1_11comp_targetILNS1_3genE3ELNS1_11target_archE908ELNS1_3gpuE7ELNS1_3repE0EEENS1_30default_config_static_selectorELNS0_4arch9wavefront6targetE0EEEvT1_
	.globl	_ZN7rocprim17ROCPRIM_400000_NS6detail17trampoline_kernelINS0_14default_configENS1_25partition_config_selectorILNS1_17partition_subalgoE6ExNS0_10empty_typeEbEEZZNS1_14partition_implILS5_6ELb0ES3_mN6thrust23THRUST_200600_302600_NS6detail15normal_iteratorINSA_10device_ptrIxEEEEPS6_SG_NS0_5tupleIJSF_S6_EEENSH_IJSG_SG_EEES6_PlJNSB_9not_fun_tINSB_14equal_to_valueIxEEEEEEE10hipError_tPvRmT3_T4_T5_T6_T7_T9_mT8_P12ihipStream_tbDpT10_ENKUlT_T0_E_clISt17integral_constantIbLb1EES17_IbLb0EEEEDaS13_S14_EUlS13_E_NS1_11comp_targetILNS1_3genE3ELNS1_11target_archE908ELNS1_3gpuE7ELNS1_3repE0EEENS1_30default_config_static_selectorELNS0_4arch9wavefront6targetE0EEEvT1_
	.p2align	8
	.type	_ZN7rocprim17ROCPRIM_400000_NS6detail17trampoline_kernelINS0_14default_configENS1_25partition_config_selectorILNS1_17partition_subalgoE6ExNS0_10empty_typeEbEEZZNS1_14partition_implILS5_6ELb0ES3_mN6thrust23THRUST_200600_302600_NS6detail15normal_iteratorINSA_10device_ptrIxEEEEPS6_SG_NS0_5tupleIJSF_S6_EEENSH_IJSG_SG_EEES6_PlJNSB_9not_fun_tINSB_14equal_to_valueIxEEEEEEE10hipError_tPvRmT3_T4_T5_T6_T7_T9_mT8_P12ihipStream_tbDpT10_ENKUlT_T0_E_clISt17integral_constantIbLb1EES17_IbLb0EEEEDaS13_S14_EUlS13_E_NS1_11comp_targetILNS1_3genE3ELNS1_11target_archE908ELNS1_3gpuE7ELNS1_3repE0EEENS1_30default_config_static_selectorELNS0_4arch9wavefront6targetE0EEEvT1_,@function
_ZN7rocprim17ROCPRIM_400000_NS6detail17trampoline_kernelINS0_14default_configENS1_25partition_config_selectorILNS1_17partition_subalgoE6ExNS0_10empty_typeEbEEZZNS1_14partition_implILS5_6ELb0ES3_mN6thrust23THRUST_200600_302600_NS6detail15normal_iteratorINSA_10device_ptrIxEEEEPS6_SG_NS0_5tupleIJSF_S6_EEENSH_IJSG_SG_EEES6_PlJNSB_9not_fun_tINSB_14equal_to_valueIxEEEEEEE10hipError_tPvRmT3_T4_T5_T6_T7_T9_mT8_P12ihipStream_tbDpT10_ENKUlT_T0_E_clISt17integral_constantIbLb1EES17_IbLb0EEEEDaS13_S14_EUlS13_E_NS1_11comp_targetILNS1_3genE3ELNS1_11target_archE908ELNS1_3gpuE7ELNS1_3repE0EEENS1_30default_config_static_selectorELNS0_4arch9wavefront6targetE0EEEvT1_: ; @_ZN7rocprim17ROCPRIM_400000_NS6detail17trampoline_kernelINS0_14default_configENS1_25partition_config_selectorILNS1_17partition_subalgoE6ExNS0_10empty_typeEbEEZZNS1_14partition_implILS5_6ELb0ES3_mN6thrust23THRUST_200600_302600_NS6detail15normal_iteratorINSA_10device_ptrIxEEEEPS6_SG_NS0_5tupleIJSF_S6_EEENSH_IJSG_SG_EEES6_PlJNSB_9not_fun_tINSB_14equal_to_valueIxEEEEEEE10hipError_tPvRmT3_T4_T5_T6_T7_T9_mT8_P12ihipStream_tbDpT10_ENKUlT_T0_E_clISt17integral_constantIbLb1EES17_IbLb0EEEEDaS13_S14_EUlS13_E_NS1_11comp_targetILNS1_3genE3ELNS1_11target_archE908ELNS1_3gpuE7ELNS1_3repE0EEENS1_30default_config_static_selectorELNS0_4arch9wavefront6targetE0EEEvT1_
; %bb.0:
	.section	.rodata,"a",@progbits
	.p2align	6, 0x0
	.amdhsa_kernel _ZN7rocprim17ROCPRIM_400000_NS6detail17trampoline_kernelINS0_14default_configENS1_25partition_config_selectorILNS1_17partition_subalgoE6ExNS0_10empty_typeEbEEZZNS1_14partition_implILS5_6ELb0ES3_mN6thrust23THRUST_200600_302600_NS6detail15normal_iteratorINSA_10device_ptrIxEEEEPS6_SG_NS0_5tupleIJSF_S6_EEENSH_IJSG_SG_EEES6_PlJNSB_9not_fun_tINSB_14equal_to_valueIxEEEEEEE10hipError_tPvRmT3_T4_T5_T6_T7_T9_mT8_P12ihipStream_tbDpT10_ENKUlT_T0_E_clISt17integral_constantIbLb1EES17_IbLb0EEEEDaS13_S14_EUlS13_E_NS1_11comp_targetILNS1_3genE3ELNS1_11target_archE908ELNS1_3gpuE7ELNS1_3repE0EEENS1_30default_config_static_selectorELNS0_4arch9wavefront6targetE0EEEvT1_
		.amdhsa_group_segment_fixed_size 0
		.amdhsa_private_segment_fixed_size 0
		.amdhsa_kernarg_size 120
		.amdhsa_user_sgpr_count 2
		.amdhsa_user_sgpr_dispatch_ptr 0
		.amdhsa_user_sgpr_queue_ptr 0
		.amdhsa_user_sgpr_kernarg_segment_ptr 1
		.amdhsa_user_sgpr_dispatch_id 0
		.amdhsa_user_sgpr_private_segment_size 0
		.amdhsa_wavefront_size32 1
		.amdhsa_uses_dynamic_stack 0
		.amdhsa_enable_private_segment 0
		.amdhsa_system_sgpr_workgroup_id_x 1
		.amdhsa_system_sgpr_workgroup_id_y 0
		.amdhsa_system_sgpr_workgroup_id_z 0
		.amdhsa_system_sgpr_workgroup_info 0
		.amdhsa_system_vgpr_workitem_id 0
		.amdhsa_next_free_vgpr 1
		.amdhsa_next_free_sgpr 1
		.amdhsa_reserve_vcc 0
		.amdhsa_float_round_mode_32 0
		.amdhsa_float_round_mode_16_64 0
		.amdhsa_float_denorm_mode_32 3
		.amdhsa_float_denorm_mode_16_64 3
		.amdhsa_fp16_overflow 0
		.amdhsa_workgroup_processor_mode 1
		.amdhsa_memory_ordered 1
		.amdhsa_forward_progress 1
		.amdhsa_inst_pref_size 0
		.amdhsa_round_robin_scheduling 0
		.amdhsa_exception_fp_ieee_invalid_op 0
		.amdhsa_exception_fp_denorm_src 0
		.amdhsa_exception_fp_ieee_div_zero 0
		.amdhsa_exception_fp_ieee_overflow 0
		.amdhsa_exception_fp_ieee_underflow 0
		.amdhsa_exception_fp_ieee_inexact 0
		.amdhsa_exception_int_div_zero 0
	.end_amdhsa_kernel
	.section	.text._ZN7rocprim17ROCPRIM_400000_NS6detail17trampoline_kernelINS0_14default_configENS1_25partition_config_selectorILNS1_17partition_subalgoE6ExNS0_10empty_typeEbEEZZNS1_14partition_implILS5_6ELb0ES3_mN6thrust23THRUST_200600_302600_NS6detail15normal_iteratorINSA_10device_ptrIxEEEEPS6_SG_NS0_5tupleIJSF_S6_EEENSH_IJSG_SG_EEES6_PlJNSB_9not_fun_tINSB_14equal_to_valueIxEEEEEEE10hipError_tPvRmT3_T4_T5_T6_T7_T9_mT8_P12ihipStream_tbDpT10_ENKUlT_T0_E_clISt17integral_constantIbLb1EES17_IbLb0EEEEDaS13_S14_EUlS13_E_NS1_11comp_targetILNS1_3genE3ELNS1_11target_archE908ELNS1_3gpuE7ELNS1_3repE0EEENS1_30default_config_static_selectorELNS0_4arch9wavefront6targetE0EEEvT1_,"axG",@progbits,_ZN7rocprim17ROCPRIM_400000_NS6detail17trampoline_kernelINS0_14default_configENS1_25partition_config_selectorILNS1_17partition_subalgoE6ExNS0_10empty_typeEbEEZZNS1_14partition_implILS5_6ELb0ES3_mN6thrust23THRUST_200600_302600_NS6detail15normal_iteratorINSA_10device_ptrIxEEEEPS6_SG_NS0_5tupleIJSF_S6_EEENSH_IJSG_SG_EEES6_PlJNSB_9not_fun_tINSB_14equal_to_valueIxEEEEEEE10hipError_tPvRmT3_T4_T5_T6_T7_T9_mT8_P12ihipStream_tbDpT10_ENKUlT_T0_E_clISt17integral_constantIbLb1EES17_IbLb0EEEEDaS13_S14_EUlS13_E_NS1_11comp_targetILNS1_3genE3ELNS1_11target_archE908ELNS1_3gpuE7ELNS1_3repE0EEENS1_30default_config_static_selectorELNS0_4arch9wavefront6targetE0EEEvT1_,comdat
.Lfunc_end456:
	.size	_ZN7rocprim17ROCPRIM_400000_NS6detail17trampoline_kernelINS0_14default_configENS1_25partition_config_selectorILNS1_17partition_subalgoE6ExNS0_10empty_typeEbEEZZNS1_14partition_implILS5_6ELb0ES3_mN6thrust23THRUST_200600_302600_NS6detail15normal_iteratorINSA_10device_ptrIxEEEEPS6_SG_NS0_5tupleIJSF_S6_EEENSH_IJSG_SG_EEES6_PlJNSB_9not_fun_tINSB_14equal_to_valueIxEEEEEEE10hipError_tPvRmT3_T4_T5_T6_T7_T9_mT8_P12ihipStream_tbDpT10_ENKUlT_T0_E_clISt17integral_constantIbLb1EES17_IbLb0EEEEDaS13_S14_EUlS13_E_NS1_11comp_targetILNS1_3genE3ELNS1_11target_archE908ELNS1_3gpuE7ELNS1_3repE0EEENS1_30default_config_static_selectorELNS0_4arch9wavefront6targetE0EEEvT1_, .Lfunc_end456-_ZN7rocprim17ROCPRIM_400000_NS6detail17trampoline_kernelINS0_14default_configENS1_25partition_config_selectorILNS1_17partition_subalgoE6ExNS0_10empty_typeEbEEZZNS1_14partition_implILS5_6ELb0ES3_mN6thrust23THRUST_200600_302600_NS6detail15normal_iteratorINSA_10device_ptrIxEEEEPS6_SG_NS0_5tupleIJSF_S6_EEENSH_IJSG_SG_EEES6_PlJNSB_9not_fun_tINSB_14equal_to_valueIxEEEEEEE10hipError_tPvRmT3_T4_T5_T6_T7_T9_mT8_P12ihipStream_tbDpT10_ENKUlT_T0_E_clISt17integral_constantIbLb1EES17_IbLb0EEEEDaS13_S14_EUlS13_E_NS1_11comp_targetILNS1_3genE3ELNS1_11target_archE908ELNS1_3gpuE7ELNS1_3repE0EEENS1_30default_config_static_selectorELNS0_4arch9wavefront6targetE0EEEvT1_
                                        ; -- End function
	.set _ZN7rocprim17ROCPRIM_400000_NS6detail17trampoline_kernelINS0_14default_configENS1_25partition_config_selectorILNS1_17partition_subalgoE6ExNS0_10empty_typeEbEEZZNS1_14partition_implILS5_6ELb0ES3_mN6thrust23THRUST_200600_302600_NS6detail15normal_iteratorINSA_10device_ptrIxEEEEPS6_SG_NS0_5tupleIJSF_S6_EEENSH_IJSG_SG_EEES6_PlJNSB_9not_fun_tINSB_14equal_to_valueIxEEEEEEE10hipError_tPvRmT3_T4_T5_T6_T7_T9_mT8_P12ihipStream_tbDpT10_ENKUlT_T0_E_clISt17integral_constantIbLb1EES17_IbLb0EEEEDaS13_S14_EUlS13_E_NS1_11comp_targetILNS1_3genE3ELNS1_11target_archE908ELNS1_3gpuE7ELNS1_3repE0EEENS1_30default_config_static_selectorELNS0_4arch9wavefront6targetE0EEEvT1_.num_vgpr, 0
	.set _ZN7rocprim17ROCPRIM_400000_NS6detail17trampoline_kernelINS0_14default_configENS1_25partition_config_selectorILNS1_17partition_subalgoE6ExNS0_10empty_typeEbEEZZNS1_14partition_implILS5_6ELb0ES3_mN6thrust23THRUST_200600_302600_NS6detail15normal_iteratorINSA_10device_ptrIxEEEEPS6_SG_NS0_5tupleIJSF_S6_EEENSH_IJSG_SG_EEES6_PlJNSB_9not_fun_tINSB_14equal_to_valueIxEEEEEEE10hipError_tPvRmT3_T4_T5_T6_T7_T9_mT8_P12ihipStream_tbDpT10_ENKUlT_T0_E_clISt17integral_constantIbLb1EES17_IbLb0EEEEDaS13_S14_EUlS13_E_NS1_11comp_targetILNS1_3genE3ELNS1_11target_archE908ELNS1_3gpuE7ELNS1_3repE0EEENS1_30default_config_static_selectorELNS0_4arch9wavefront6targetE0EEEvT1_.num_agpr, 0
	.set _ZN7rocprim17ROCPRIM_400000_NS6detail17trampoline_kernelINS0_14default_configENS1_25partition_config_selectorILNS1_17partition_subalgoE6ExNS0_10empty_typeEbEEZZNS1_14partition_implILS5_6ELb0ES3_mN6thrust23THRUST_200600_302600_NS6detail15normal_iteratorINSA_10device_ptrIxEEEEPS6_SG_NS0_5tupleIJSF_S6_EEENSH_IJSG_SG_EEES6_PlJNSB_9not_fun_tINSB_14equal_to_valueIxEEEEEEE10hipError_tPvRmT3_T4_T5_T6_T7_T9_mT8_P12ihipStream_tbDpT10_ENKUlT_T0_E_clISt17integral_constantIbLb1EES17_IbLb0EEEEDaS13_S14_EUlS13_E_NS1_11comp_targetILNS1_3genE3ELNS1_11target_archE908ELNS1_3gpuE7ELNS1_3repE0EEENS1_30default_config_static_selectorELNS0_4arch9wavefront6targetE0EEEvT1_.numbered_sgpr, 0
	.set _ZN7rocprim17ROCPRIM_400000_NS6detail17trampoline_kernelINS0_14default_configENS1_25partition_config_selectorILNS1_17partition_subalgoE6ExNS0_10empty_typeEbEEZZNS1_14partition_implILS5_6ELb0ES3_mN6thrust23THRUST_200600_302600_NS6detail15normal_iteratorINSA_10device_ptrIxEEEEPS6_SG_NS0_5tupleIJSF_S6_EEENSH_IJSG_SG_EEES6_PlJNSB_9not_fun_tINSB_14equal_to_valueIxEEEEEEE10hipError_tPvRmT3_T4_T5_T6_T7_T9_mT8_P12ihipStream_tbDpT10_ENKUlT_T0_E_clISt17integral_constantIbLb1EES17_IbLb0EEEEDaS13_S14_EUlS13_E_NS1_11comp_targetILNS1_3genE3ELNS1_11target_archE908ELNS1_3gpuE7ELNS1_3repE0EEENS1_30default_config_static_selectorELNS0_4arch9wavefront6targetE0EEEvT1_.num_named_barrier, 0
	.set _ZN7rocprim17ROCPRIM_400000_NS6detail17trampoline_kernelINS0_14default_configENS1_25partition_config_selectorILNS1_17partition_subalgoE6ExNS0_10empty_typeEbEEZZNS1_14partition_implILS5_6ELb0ES3_mN6thrust23THRUST_200600_302600_NS6detail15normal_iteratorINSA_10device_ptrIxEEEEPS6_SG_NS0_5tupleIJSF_S6_EEENSH_IJSG_SG_EEES6_PlJNSB_9not_fun_tINSB_14equal_to_valueIxEEEEEEE10hipError_tPvRmT3_T4_T5_T6_T7_T9_mT8_P12ihipStream_tbDpT10_ENKUlT_T0_E_clISt17integral_constantIbLb1EES17_IbLb0EEEEDaS13_S14_EUlS13_E_NS1_11comp_targetILNS1_3genE3ELNS1_11target_archE908ELNS1_3gpuE7ELNS1_3repE0EEENS1_30default_config_static_selectorELNS0_4arch9wavefront6targetE0EEEvT1_.private_seg_size, 0
	.set _ZN7rocprim17ROCPRIM_400000_NS6detail17trampoline_kernelINS0_14default_configENS1_25partition_config_selectorILNS1_17partition_subalgoE6ExNS0_10empty_typeEbEEZZNS1_14partition_implILS5_6ELb0ES3_mN6thrust23THRUST_200600_302600_NS6detail15normal_iteratorINSA_10device_ptrIxEEEEPS6_SG_NS0_5tupleIJSF_S6_EEENSH_IJSG_SG_EEES6_PlJNSB_9not_fun_tINSB_14equal_to_valueIxEEEEEEE10hipError_tPvRmT3_T4_T5_T6_T7_T9_mT8_P12ihipStream_tbDpT10_ENKUlT_T0_E_clISt17integral_constantIbLb1EES17_IbLb0EEEEDaS13_S14_EUlS13_E_NS1_11comp_targetILNS1_3genE3ELNS1_11target_archE908ELNS1_3gpuE7ELNS1_3repE0EEENS1_30default_config_static_selectorELNS0_4arch9wavefront6targetE0EEEvT1_.uses_vcc, 0
	.set _ZN7rocprim17ROCPRIM_400000_NS6detail17trampoline_kernelINS0_14default_configENS1_25partition_config_selectorILNS1_17partition_subalgoE6ExNS0_10empty_typeEbEEZZNS1_14partition_implILS5_6ELb0ES3_mN6thrust23THRUST_200600_302600_NS6detail15normal_iteratorINSA_10device_ptrIxEEEEPS6_SG_NS0_5tupleIJSF_S6_EEENSH_IJSG_SG_EEES6_PlJNSB_9not_fun_tINSB_14equal_to_valueIxEEEEEEE10hipError_tPvRmT3_T4_T5_T6_T7_T9_mT8_P12ihipStream_tbDpT10_ENKUlT_T0_E_clISt17integral_constantIbLb1EES17_IbLb0EEEEDaS13_S14_EUlS13_E_NS1_11comp_targetILNS1_3genE3ELNS1_11target_archE908ELNS1_3gpuE7ELNS1_3repE0EEENS1_30default_config_static_selectorELNS0_4arch9wavefront6targetE0EEEvT1_.uses_flat_scratch, 0
	.set _ZN7rocprim17ROCPRIM_400000_NS6detail17trampoline_kernelINS0_14default_configENS1_25partition_config_selectorILNS1_17partition_subalgoE6ExNS0_10empty_typeEbEEZZNS1_14partition_implILS5_6ELb0ES3_mN6thrust23THRUST_200600_302600_NS6detail15normal_iteratorINSA_10device_ptrIxEEEEPS6_SG_NS0_5tupleIJSF_S6_EEENSH_IJSG_SG_EEES6_PlJNSB_9not_fun_tINSB_14equal_to_valueIxEEEEEEE10hipError_tPvRmT3_T4_T5_T6_T7_T9_mT8_P12ihipStream_tbDpT10_ENKUlT_T0_E_clISt17integral_constantIbLb1EES17_IbLb0EEEEDaS13_S14_EUlS13_E_NS1_11comp_targetILNS1_3genE3ELNS1_11target_archE908ELNS1_3gpuE7ELNS1_3repE0EEENS1_30default_config_static_selectorELNS0_4arch9wavefront6targetE0EEEvT1_.has_dyn_sized_stack, 0
	.set _ZN7rocprim17ROCPRIM_400000_NS6detail17trampoline_kernelINS0_14default_configENS1_25partition_config_selectorILNS1_17partition_subalgoE6ExNS0_10empty_typeEbEEZZNS1_14partition_implILS5_6ELb0ES3_mN6thrust23THRUST_200600_302600_NS6detail15normal_iteratorINSA_10device_ptrIxEEEEPS6_SG_NS0_5tupleIJSF_S6_EEENSH_IJSG_SG_EEES6_PlJNSB_9not_fun_tINSB_14equal_to_valueIxEEEEEEE10hipError_tPvRmT3_T4_T5_T6_T7_T9_mT8_P12ihipStream_tbDpT10_ENKUlT_T0_E_clISt17integral_constantIbLb1EES17_IbLb0EEEEDaS13_S14_EUlS13_E_NS1_11comp_targetILNS1_3genE3ELNS1_11target_archE908ELNS1_3gpuE7ELNS1_3repE0EEENS1_30default_config_static_selectorELNS0_4arch9wavefront6targetE0EEEvT1_.has_recursion, 0
	.set _ZN7rocprim17ROCPRIM_400000_NS6detail17trampoline_kernelINS0_14default_configENS1_25partition_config_selectorILNS1_17partition_subalgoE6ExNS0_10empty_typeEbEEZZNS1_14partition_implILS5_6ELb0ES3_mN6thrust23THRUST_200600_302600_NS6detail15normal_iteratorINSA_10device_ptrIxEEEEPS6_SG_NS0_5tupleIJSF_S6_EEENSH_IJSG_SG_EEES6_PlJNSB_9not_fun_tINSB_14equal_to_valueIxEEEEEEE10hipError_tPvRmT3_T4_T5_T6_T7_T9_mT8_P12ihipStream_tbDpT10_ENKUlT_T0_E_clISt17integral_constantIbLb1EES17_IbLb0EEEEDaS13_S14_EUlS13_E_NS1_11comp_targetILNS1_3genE3ELNS1_11target_archE908ELNS1_3gpuE7ELNS1_3repE0EEENS1_30default_config_static_selectorELNS0_4arch9wavefront6targetE0EEEvT1_.has_indirect_call, 0
	.section	.AMDGPU.csdata,"",@progbits
; Kernel info:
; codeLenInByte = 0
; TotalNumSgprs: 0
; NumVgprs: 0
; ScratchSize: 0
; MemoryBound: 0
; FloatMode: 240
; IeeeMode: 1
; LDSByteSize: 0 bytes/workgroup (compile time only)
; SGPRBlocks: 0
; VGPRBlocks: 0
; NumSGPRsForWavesPerEU: 1
; NumVGPRsForWavesPerEU: 1
; Occupancy: 16
; WaveLimiterHint : 0
; COMPUTE_PGM_RSRC2:SCRATCH_EN: 0
; COMPUTE_PGM_RSRC2:USER_SGPR: 2
; COMPUTE_PGM_RSRC2:TRAP_HANDLER: 0
; COMPUTE_PGM_RSRC2:TGID_X_EN: 1
; COMPUTE_PGM_RSRC2:TGID_Y_EN: 0
; COMPUTE_PGM_RSRC2:TGID_Z_EN: 0
; COMPUTE_PGM_RSRC2:TIDIG_COMP_CNT: 0
	.section	.text._ZN7rocprim17ROCPRIM_400000_NS6detail17trampoline_kernelINS0_14default_configENS1_25partition_config_selectorILNS1_17partition_subalgoE6ExNS0_10empty_typeEbEEZZNS1_14partition_implILS5_6ELb0ES3_mN6thrust23THRUST_200600_302600_NS6detail15normal_iteratorINSA_10device_ptrIxEEEEPS6_SG_NS0_5tupleIJSF_S6_EEENSH_IJSG_SG_EEES6_PlJNSB_9not_fun_tINSB_14equal_to_valueIxEEEEEEE10hipError_tPvRmT3_T4_T5_T6_T7_T9_mT8_P12ihipStream_tbDpT10_ENKUlT_T0_E_clISt17integral_constantIbLb1EES17_IbLb0EEEEDaS13_S14_EUlS13_E_NS1_11comp_targetILNS1_3genE2ELNS1_11target_archE906ELNS1_3gpuE6ELNS1_3repE0EEENS1_30default_config_static_selectorELNS0_4arch9wavefront6targetE0EEEvT1_,"axG",@progbits,_ZN7rocprim17ROCPRIM_400000_NS6detail17trampoline_kernelINS0_14default_configENS1_25partition_config_selectorILNS1_17partition_subalgoE6ExNS0_10empty_typeEbEEZZNS1_14partition_implILS5_6ELb0ES3_mN6thrust23THRUST_200600_302600_NS6detail15normal_iteratorINSA_10device_ptrIxEEEEPS6_SG_NS0_5tupleIJSF_S6_EEENSH_IJSG_SG_EEES6_PlJNSB_9not_fun_tINSB_14equal_to_valueIxEEEEEEE10hipError_tPvRmT3_T4_T5_T6_T7_T9_mT8_P12ihipStream_tbDpT10_ENKUlT_T0_E_clISt17integral_constantIbLb1EES17_IbLb0EEEEDaS13_S14_EUlS13_E_NS1_11comp_targetILNS1_3genE2ELNS1_11target_archE906ELNS1_3gpuE6ELNS1_3repE0EEENS1_30default_config_static_selectorELNS0_4arch9wavefront6targetE0EEEvT1_,comdat
	.protected	_ZN7rocprim17ROCPRIM_400000_NS6detail17trampoline_kernelINS0_14default_configENS1_25partition_config_selectorILNS1_17partition_subalgoE6ExNS0_10empty_typeEbEEZZNS1_14partition_implILS5_6ELb0ES3_mN6thrust23THRUST_200600_302600_NS6detail15normal_iteratorINSA_10device_ptrIxEEEEPS6_SG_NS0_5tupleIJSF_S6_EEENSH_IJSG_SG_EEES6_PlJNSB_9not_fun_tINSB_14equal_to_valueIxEEEEEEE10hipError_tPvRmT3_T4_T5_T6_T7_T9_mT8_P12ihipStream_tbDpT10_ENKUlT_T0_E_clISt17integral_constantIbLb1EES17_IbLb0EEEEDaS13_S14_EUlS13_E_NS1_11comp_targetILNS1_3genE2ELNS1_11target_archE906ELNS1_3gpuE6ELNS1_3repE0EEENS1_30default_config_static_selectorELNS0_4arch9wavefront6targetE0EEEvT1_ ; -- Begin function _ZN7rocprim17ROCPRIM_400000_NS6detail17trampoline_kernelINS0_14default_configENS1_25partition_config_selectorILNS1_17partition_subalgoE6ExNS0_10empty_typeEbEEZZNS1_14partition_implILS5_6ELb0ES3_mN6thrust23THRUST_200600_302600_NS6detail15normal_iteratorINSA_10device_ptrIxEEEEPS6_SG_NS0_5tupleIJSF_S6_EEENSH_IJSG_SG_EEES6_PlJNSB_9not_fun_tINSB_14equal_to_valueIxEEEEEEE10hipError_tPvRmT3_T4_T5_T6_T7_T9_mT8_P12ihipStream_tbDpT10_ENKUlT_T0_E_clISt17integral_constantIbLb1EES17_IbLb0EEEEDaS13_S14_EUlS13_E_NS1_11comp_targetILNS1_3genE2ELNS1_11target_archE906ELNS1_3gpuE6ELNS1_3repE0EEENS1_30default_config_static_selectorELNS0_4arch9wavefront6targetE0EEEvT1_
	.globl	_ZN7rocprim17ROCPRIM_400000_NS6detail17trampoline_kernelINS0_14default_configENS1_25partition_config_selectorILNS1_17partition_subalgoE6ExNS0_10empty_typeEbEEZZNS1_14partition_implILS5_6ELb0ES3_mN6thrust23THRUST_200600_302600_NS6detail15normal_iteratorINSA_10device_ptrIxEEEEPS6_SG_NS0_5tupleIJSF_S6_EEENSH_IJSG_SG_EEES6_PlJNSB_9not_fun_tINSB_14equal_to_valueIxEEEEEEE10hipError_tPvRmT3_T4_T5_T6_T7_T9_mT8_P12ihipStream_tbDpT10_ENKUlT_T0_E_clISt17integral_constantIbLb1EES17_IbLb0EEEEDaS13_S14_EUlS13_E_NS1_11comp_targetILNS1_3genE2ELNS1_11target_archE906ELNS1_3gpuE6ELNS1_3repE0EEENS1_30default_config_static_selectorELNS0_4arch9wavefront6targetE0EEEvT1_
	.p2align	8
	.type	_ZN7rocprim17ROCPRIM_400000_NS6detail17trampoline_kernelINS0_14default_configENS1_25partition_config_selectorILNS1_17partition_subalgoE6ExNS0_10empty_typeEbEEZZNS1_14partition_implILS5_6ELb0ES3_mN6thrust23THRUST_200600_302600_NS6detail15normal_iteratorINSA_10device_ptrIxEEEEPS6_SG_NS0_5tupleIJSF_S6_EEENSH_IJSG_SG_EEES6_PlJNSB_9not_fun_tINSB_14equal_to_valueIxEEEEEEE10hipError_tPvRmT3_T4_T5_T6_T7_T9_mT8_P12ihipStream_tbDpT10_ENKUlT_T0_E_clISt17integral_constantIbLb1EES17_IbLb0EEEEDaS13_S14_EUlS13_E_NS1_11comp_targetILNS1_3genE2ELNS1_11target_archE906ELNS1_3gpuE6ELNS1_3repE0EEENS1_30default_config_static_selectorELNS0_4arch9wavefront6targetE0EEEvT1_,@function
_ZN7rocprim17ROCPRIM_400000_NS6detail17trampoline_kernelINS0_14default_configENS1_25partition_config_selectorILNS1_17partition_subalgoE6ExNS0_10empty_typeEbEEZZNS1_14partition_implILS5_6ELb0ES3_mN6thrust23THRUST_200600_302600_NS6detail15normal_iteratorINSA_10device_ptrIxEEEEPS6_SG_NS0_5tupleIJSF_S6_EEENSH_IJSG_SG_EEES6_PlJNSB_9not_fun_tINSB_14equal_to_valueIxEEEEEEE10hipError_tPvRmT3_T4_T5_T6_T7_T9_mT8_P12ihipStream_tbDpT10_ENKUlT_T0_E_clISt17integral_constantIbLb1EES17_IbLb0EEEEDaS13_S14_EUlS13_E_NS1_11comp_targetILNS1_3genE2ELNS1_11target_archE906ELNS1_3gpuE6ELNS1_3repE0EEENS1_30default_config_static_selectorELNS0_4arch9wavefront6targetE0EEEvT1_: ; @_ZN7rocprim17ROCPRIM_400000_NS6detail17trampoline_kernelINS0_14default_configENS1_25partition_config_selectorILNS1_17partition_subalgoE6ExNS0_10empty_typeEbEEZZNS1_14partition_implILS5_6ELb0ES3_mN6thrust23THRUST_200600_302600_NS6detail15normal_iteratorINSA_10device_ptrIxEEEEPS6_SG_NS0_5tupleIJSF_S6_EEENSH_IJSG_SG_EEES6_PlJNSB_9not_fun_tINSB_14equal_to_valueIxEEEEEEE10hipError_tPvRmT3_T4_T5_T6_T7_T9_mT8_P12ihipStream_tbDpT10_ENKUlT_T0_E_clISt17integral_constantIbLb1EES17_IbLb0EEEEDaS13_S14_EUlS13_E_NS1_11comp_targetILNS1_3genE2ELNS1_11target_archE906ELNS1_3gpuE6ELNS1_3repE0EEENS1_30default_config_static_selectorELNS0_4arch9wavefront6targetE0EEEvT1_
; %bb.0:
	.section	.rodata,"a",@progbits
	.p2align	6, 0x0
	.amdhsa_kernel _ZN7rocprim17ROCPRIM_400000_NS6detail17trampoline_kernelINS0_14default_configENS1_25partition_config_selectorILNS1_17partition_subalgoE6ExNS0_10empty_typeEbEEZZNS1_14partition_implILS5_6ELb0ES3_mN6thrust23THRUST_200600_302600_NS6detail15normal_iteratorINSA_10device_ptrIxEEEEPS6_SG_NS0_5tupleIJSF_S6_EEENSH_IJSG_SG_EEES6_PlJNSB_9not_fun_tINSB_14equal_to_valueIxEEEEEEE10hipError_tPvRmT3_T4_T5_T6_T7_T9_mT8_P12ihipStream_tbDpT10_ENKUlT_T0_E_clISt17integral_constantIbLb1EES17_IbLb0EEEEDaS13_S14_EUlS13_E_NS1_11comp_targetILNS1_3genE2ELNS1_11target_archE906ELNS1_3gpuE6ELNS1_3repE0EEENS1_30default_config_static_selectorELNS0_4arch9wavefront6targetE0EEEvT1_
		.amdhsa_group_segment_fixed_size 0
		.amdhsa_private_segment_fixed_size 0
		.amdhsa_kernarg_size 120
		.amdhsa_user_sgpr_count 2
		.amdhsa_user_sgpr_dispatch_ptr 0
		.amdhsa_user_sgpr_queue_ptr 0
		.amdhsa_user_sgpr_kernarg_segment_ptr 1
		.amdhsa_user_sgpr_dispatch_id 0
		.amdhsa_user_sgpr_private_segment_size 0
		.amdhsa_wavefront_size32 1
		.amdhsa_uses_dynamic_stack 0
		.amdhsa_enable_private_segment 0
		.amdhsa_system_sgpr_workgroup_id_x 1
		.amdhsa_system_sgpr_workgroup_id_y 0
		.amdhsa_system_sgpr_workgroup_id_z 0
		.amdhsa_system_sgpr_workgroup_info 0
		.amdhsa_system_vgpr_workitem_id 0
		.amdhsa_next_free_vgpr 1
		.amdhsa_next_free_sgpr 1
		.amdhsa_reserve_vcc 0
		.amdhsa_float_round_mode_32 0
		.amdhsa_float_round_mode_16_64 0
		.amdhsa_float_denorm_mode_32 3
		.amdhsa_float_denorm_mode_16_64 3
		.amdhsa_fp16_overflow 0
		.amdhsa_workgroup_processor_mode 1
		.amdhsa_memory_ordered 1
		.amdhsa_forward_progress 1
		.amdhsa_inst_pref_size 0
		.amdhsa_round_robin_scheduling 0
		.amdhsa_exception_fp_ieee_invalid_op 0
		.amdhsa_exception_fp_denorm_src 0
		.amdhsa_exception_fp_ieee_div_zero 0
		.amdhsa_exception_fp_ieee_overflow 0
		.amdhsa_exception_fp_ieee_underflow 0
		.amdhsa_exception_fp_ieee_inexact 0
		.amdhsa_exception_int_div_zero 0
	.end_amdhsa_kernel
	.section	.text._ZN7rocprim17ROCPRIM_400000_NS6detail17trampoline_kernelINS0_14default_configENS1_25partition_config_selectorILNS1_17partition_subalgoE6ExNS0_10empty_typeEbEEZZNS1_14partition_implILS5_6ELb0ES3_mN6thrust23THRUST_200600_302600_NS6detail15normal_iteratorINSA_10device_ptrIxEEEEPS6_SG_NS0_5tupleIJSF_S6_EEENSH_IJSG_SG_EEES6_PlJNSB_9not_fun_tINSB_14equal_to_valueIxEEEEEEE10hipError_tPvRmT3_T4_T5_T6_T7_T9_mT8_P12ihipStream_tbDpT10_ENKUlT_T0_E_clISt17integral_constantIbLb1EES17_IbLb0EEEEDaS13_S14_EUlS13_E_NS1_11comp_targetILNS1_3genE2ELNS1_11target_archE906ELNS1_3gpuE6ELNS1_3repE0EEENS1_30default_config_static_selectorELNS0_4arch9wavefront6targetE0EEEvT1_,"axG",@progbits,_ZN7rocprim17ROCPRIM_400000_NS6detail17trampoline_kernelINS0_14default_configENS1_25partition_config_selectorILNS1_17partition_subalgoE6ExNS0_10empty_typeEbEEZZNS1_14partition_implILS5_6ELb0ES3_mN6thrust23THRUST_200600_302600_NS6detail15normal_iteratorINSA_10device_ptrIxEEEEPS6_SG_NS0_5tupleIJSF_S6_EEENSH_IJSG_SG_EEES6_PlJNSB_9not_fun_tINSB_14equal_to_valueIxEEEEEEE10hipError_tPvRmT3_T4_T5_T6_T7_T9_mT8_P12ihipStream_tbDpT10_ENKUlT_T0_E_clISt17integral_constantIbLb1EES17_IbLb0EEEEDaS13_S14_EUlS13_E_NS1_11comp_targetILNS1_3genE2ELNS1_11target_archE906ELNS1_3gpuE6ELNS1_3repE0EEENS1_30default_config_static_selectorELNS0_4arch9wavefront6targetE0EEEvT1_,comdat
.Lfunc_end457:
	.size	_ZN7rocprim17ROCPRIM_400000_NS6detail17trampoline_kernelINS0_14default_configENS1_25partition_config_selectorILNS1_17partition_subalgoE6ExNS0_10empty_typeEbEEZZNS1_14partition_implILS5_6ELb0ES3_mN6thrust23THRUST_200600_302600_NS6detail15normal_iteratorINSA_10device_ptrIxEEEEPS6_SG_NS0_5tupleIJSF_S6_EEENSH_IJSG_SG_EEES6_PlJNSB_9not_fun_tINSB_14equal_to_valueIxEEEEEEE10hipError_tPvRmT3_T4_T5_T6_T7_T9_mT8_P12ihipStream_tbDpT10_ENKUlT_T0_E_clISt17integral_constantIbLb1EES17_IbLb0EEEEDaS13_S14_EUlS13_E_NS1_11comp_targetILNS1_3genE2ELNS1_11target_archE906ELNS1_3gpuE6ELNS1_3repE0EEENS1_30default_config_static_selectorELNS0_4arch9wavefront6targetE0EEEvT1_, .Lfunc_end457-_ZN7rocprim17ROCPRIM_400000_NS6detail17trampoline_kernelINS0_14default_configENS1_25partition_config_selectorILNS1_17partition_subalgoE6ExNS0_10empty_typeEbEEZZNS1_14partition_implILS5_6ELb0ES3_mN6thrust23THRUST_200600_302600_NS6detail15normal_iteratorINSA_10device_ptrIxEEEEPS6_SG_NS0_5tupleIJSF_S6_EEENSH_IJSG_SG_EEES6_PlJNSB_9not_fun_tINSB_14equal_to_valueIxEEEEEEE10hipError_tPvRmT3_T4_T5_T6_T7_T9_mT8_P12ihipStream_tbDpT10_ENKUlT_T0_E_clISt17integral_constantIbLb1EES17_IbLb0EEEEDaS13_S14_EUlS13_E_NS1_11comp_targetILNS1_3genE2ELNS1_11target_archE906ELNS1_3gpuE6ELNS1_3repE0EEENS1_30default_config_static_selectorELNS0_4arch9wavefront6targetE0EEEvT1_
                                        ; -- End function
	.set _ZN7rocprim17ROCPRIM_400000_NS6detail17trampoline_kernelINS0_14default_configENS1_25partition_config_selectorILNS1_17partition_subalgoE6ExNS0_10empty_typeEbEEZZNS1_14partition_implILS5_6ELb0ES3_mN6thrust23THRUST_200600_302600_NS6detail15normal_iteratorINSA_10device_ptrIxEEEEPS6_SG_NS0_5tupleIJSF_S6_EEENSH_IJSG_SG_EEES6_PlJNSB_9not_fun_tINSB_14equal_to_valueIxEEEEEEE10hipError_tPvRmT3_T4_T5_T6_T7_T9_mT8_P12ihipStream_tbDpT10_ENKUlT_T0_E_clISt17integral_constantIbLb1EES17_IbLb0EEEEDaS13_S14_EUlS13_E_NS1_11comp_targetILNS1_3genE2ELNS1_11target_archE906ELNS1_3gpuE6ELNS1_3repE0EEENS1_30default_config_static_selectorELNS0_4arch9wavefront6targetE0EEEvT1_.num_vgpr, 0
	.set _ZN7rocprim17ROCPRIM_400000_NS6detail17trampoline_kernelINS0_14default_configENS1_25partition_config_selectorILNS1_17partition_subalgoE6ExNS0_10empty_typeEbEEZZNS1_14partition_implILS5_6ELb0ES3_mN6thrust23THRUST_200600_302600_NS6detail15normal_iteratorINSA_10device_ptrIxEEEEPS6_SG_NS0_5tupleIJSF_S6_EEENSH_IJSG_SG_EEES6_PlJNSB_9not_fun_tINSB_14equal_to_valueIxEEEEEEE10hipError_tPvRmT3_T4_T5_T6_T7_T9_mT8_P12ihipStream_tbDpT10_ENKUlT_T0_E_clISt17integral_constantIbLb1EES17_IbLb0EEEEDaS13_S14_EUlS13_E_NS1_11comp_targetILNS1_3genE2ELNS1_11target_archE906ELNS1_3gpuE6ELNS1_3repE0EEENS1_30default_config_static_selectorELNS0_4arch9wavefront6targetE0EEEvT1_.num_agpr, 0
	.set _ZN7rocprim17ROCPRIM_400000_NS6detail17trampoline_kernelINS0_14default_configENS1_25partition_config_selectorILNS1_17partition_subalgoE6ExNS0_10empty_typeEbEEZZNS1_14partition_implILS5_6ELb0ES3_mN6thrust23THRUST_200600_302600_NS6detail15normal_iteratorINSA_10device_ptrIxEEEEPS6_SG_NS0_5tupleIJSF_S6_EEENSH_IJSG_SG_EEES6_PlJNSB_9not_fun_tINSB_14equal_to_valueIxEEEEEEE10hipError_tPvRmT3_T4_T5_T6_T7_T9_mT8_P12ihipStream_tbDpT10_ENKUlT_T0_E_clISt17integral_constantIbLb1EES17_IbLb0EEEEDaS13_S14_EUlS13_E_NS1_11comp_targetILNS1_3genE2ELNS1_11target_archE906ELNS1_3gpuE6ELNS1_3repE0EEENS1_30default_config_static_selectorELNS0_4arch9wavefront6targetE0EEEvT1_.numbered_sgpr, 0
	.set _ZN7rocprim17ROCPRIM_400000_NS6detail17trampoline_kernelINS0_14default_configENS1_25partition_config_selectorILNS1_17partition_subalgoE6ExNS0_10empty_typeEbEEZZNS1_14partition_implILS5_6ELb0ES3_mN6thrust23THRUST_200600_302600_NS6detail15normal_iteratorINSA_10device_ptrIxEEEEPS6_SG_NS0_5tupleIJSF_S6_EEENSH_IJSG_SG_EEES6_PlJNSB_9not_fun_tINSB_14equal_to_valueIxEEEEEEE10hipError_tPvRmT3_T4_T5_T6_T7_T9_mT8_P12ihipStream_tbDpT10_ENKUlT_T0_E_clISt17integral_constantIbLb1EES17_IbLb0EEEEDaS13_S14_EUlS13_E_NS1_11comp_targetILNS1_3genE2ELNS1_11target_archE906ELNS1_3gpuE6ELNS1_3repE0EEENS1_30default_config_static_selectorELNS0_4arch9wavefront6targetE0EEEvT1_.num_named_barrier, 0
	.set _ZN7rocprim17ROCPRIM_400000_NS6detail17trampoline_kernelINS0_14default_configENS1_25partition_config_selectorILNS1_17partition_subalgoE6ExNS0_10empty_typeEbEEZZNS1_14partition_implILS5_6ELb0ES3_mN6thrust23THRUST_200600_302600_NS6detail15normal_iteratorINSA_10device_ptrIxEEEEPS6_SG_NS0_5tupleIJSF_S6_EEENSH_IJSG_SG_EEES6_PlJNSB_9not_fun_tINSB_14equal_to_valueIxEEEEEEE10hipError_tPvRmT3_T4_T5_T6_T7_T9_mT8_P12ihipStream_tbDpT10_ENKUlT_T0_E_clISt17integral_constantIbLb1EES17_IbLb0EEEEDaS13_S14_EUlS13_E_NS1_11comp_targetILNS1_3genE2ELNS1_11target_archE906ELNS1_3gpuE6ELNS1_3repE0EEENS1_30default_config_static_selectorELNS0_4arch9wavefront6targetE0EEEvT1_.private_seg_size, 0
	.set _ZN7rocprim17ROCPRIM_400000_NS6detail17trampoline_kernelINS0_14default_configENS1_25partition_config_selectorILNS1_17partition_subalgoE6ExNS0_10empty_typeEbEEZZNS1_14partition_implILS5_6ELb0ES3_mN6thrust23THRUST_200600_302600_NS6detail15normal_iteratorINSA_10device_ptrIxEEEEPS6_SG_NS0_5tupleIJSF_S6_EEENSH_IJSG_SG_EEES6_PlJNSB_9not_fun_tINSB_14equal_to_valueIxEEEEEEE10hipError_tPvRmT3_T4_T5_T6_T7_T9_mT8_P12ihipStream_tbDpT10_ENKUlT_T0_E_clISt17integral_constantIbLb1EES17_IbLb0EEEEDaS13_S14_EUlS13_E_NS1_11comp_targetILNS1_3genE2ELNS1_11target_archE906ELNS1_3gpuE6ELNS1_3repE0EEENS1_30default_config_static_selectorELNS0_4arch9wavefront6targetE0EEEvT1_.uses_vcc, 0
	.set _ZN7rocprim17ROCPRIM_400000_NS6detail17trampoline_kernelINS0_14default_configENS1_25partition_config_selectorILNS1_17partition_subalgoE6ExNS0_10empty_typeEbEEZZNS1_14partition_implILS5_6ELb0ES3_mN6thrust23THRUST_200600_302600_NS6detail15normal_iteratorINSA_10device_ptrIxEEEEPS6_SG_NS0_5tupleIJSF_S6_EEENSH_IJSG_SG_EEES6_PlJNSB_9not_fun_tINSB_14equal_to_valueIxEEEEEEE10hipError_tPvRmT3_T4_T5_T6_T7_T9_mT8_P12ihipStream_tbDpT10_ENKUlT_T0_E_clISt17integral_constantIbLb1EES17_IbLb0EEEEDaS13_S14_EUlS13_E_NS1_11comp_targetILNS1_3genE2ELNS1_11target_archE906ELNS1_3gpuE6ELNS1_3repE0EEENS1_30default_config_static_selectorELNS0_4arch9wavefront6targetE0EEEvT1_.uses_flat_scratch, 0
	.set _ZN7rocprim17ROCPRIM_400000_NS6detail17trampoline_kernelINS0_14default_configENS1_25partition_config_selectorILNS1_17partition_subalgoE6ExNS0_10empty_typeEbEEZZNS1_14partition_implILS5_6ELb0ES3_mN6thrust23THRUST_200600_302600_NS6detail15normal_iteratorINSA_10device_ptrIxEEEEPS6_SG_NS0_5tupleIJSF_S6_EEENSH_IJSG_SG_EEES6_PlJNSB_9not_fun_tINSB_14equal_to_valueIxEEEEEEE10hipError_tPvRmT3_T4_T5_T6_T7_T9_mT8_P12ihipStream_tbDpT10_ENKUlT_T0_E_clISt17integral_constantIbLb1EES17_IbLb0EEEEDaS13_S14_EUlS13_E_NS1_11comp_targetILNS1_3genE2ELNS1_11target_archE906ELNS1_3gpuE6ELNS1_3repE0EEENS1_30default_config_static_selectorELNS0_4arch9wavefront6targetE0EEEvT1_.has_dyn_sized_stack, 0
	.set _ZN7rocprim17ROCPRIM_400000_NS6detail17trampoline_kernelINS0_14default_configENS1_25partition_config_selectorILNS1_17partition_subalgoE6ExNS0_10empty_typeEbEEZZNS1_14partition_implILS5_6ELb0ES3_mN6thrust23THRUST_200600_302600_NS6detail15normal_iteratorINSA_10device_ptrIxEEEEPS6_SG_NS0_5tupleIJSF_S6_EEENSH_IJSG_SG_EEES6_PlJNSB_9not_fun_tINSB_14equal_to_valueIxEEEEEEE10hipError_tPvRmT3_T4_T5_T6_T7_T9_mT8_P12ihipStream_tbDpT10_ENKUlT_T0_E_clISt17integral_constantIbLb1EES17_IbLb0EEEEDaS13_S14_EUlS13_E_NS1_11comp_targetILNS1_3genE2ELNS1_11target_archE906ELNS1_3gpuE6ELNS1_3repE0EEENS1_30default_config_static_selectorELNS0_4arch9wavefront6targetE0EEEvT1_.has_recursion, 0
	.set _ZN7rocprim17ROCPRIM_400000_NS6detail17trampoline_kernelINS0_14default_configENS1_25partition_config_selectorILNS1_17partition_subalgoE6ExNS0_10empty_typeEbEEZZNS1_14partition_implILS5_6ELb0ES3_mN6thrust23THRUST_200600_302600_NS6detail15normal_iteratorINSA_10device_ptrIxEEEEPS6_SG_NS0_5tupleIJSF_S6_EEENSH_IJSG_SG_EEES6_PlJNSB_9not_fun_tINSB_14equal_to_valueIxEEEEEEE10hipError_tPvRmT3_T4_T5_T6_T7_T9_mT8_P12ihipStream_tbDpT10_ENKUlT_T0_E_clISt17integral_constantIbLb1EES17_IbLb0EEEEDaS13_S14_EUlS13_E_NS1_11comp_targetILNS1_3genE2ELNS1_11target_archE906ELNS1_3gpuE6ELNS1_3repE0EEENS1_30default_config_static_selectorELNS0_4arch9wavefront6targetE0EEEvT1_.has_indirect_call, 0
	.section	.AMDGPU.csdata,"",@progbits
; Kernel info:
; codeLenInByte = 0
; TotalNumSgprs: 0
; NumVgprs: 0
; ScratchSize: 0
; MemoryBound: 0
; FloatMode: 240
; IeeeMode: 1
; LDSByteSize: 0 bytes/workgroup (compile time only)
; SGPRBlocks: 0
; VGPRBlocks: 0
; NumSGPRsForWavesPerEU: 1
; NumVGPRsForWavesPerEU: 1
; Occupancy: 16
; WaveLimiterHint : 0
; COMPUTE_PGM_RSRC2:SCRATCH_EN: 0
; COMPUTE_PGM_RSRC2:USER_SGPR: 2
; COMPUTE_PGM_RSRC2:TRAP_HANDLER: 0
; COMPUTE_PGM_RSRC2:TGID_X_EN: 1
; COMPUTE_PGM_RSRC2:TGID_Y_EN: 0
; COMPUTE_PGM_RSRC2:TGID_Z_EN: 0
; COMPUTE_PGM_RSRC2:TIDIG_COMP_CNT: 0
	.section	.text._ZN7rocprim17ROCPRIM_400000_NS6detail17trampoline_kernelINS0_14default_configENS1_25partition_config_selectorILNS1_17partition_subalgoE6ExNS0_10empty_typeEbEEZZNS1_14partition_implILS5_6ELb0ES3_mN6thrust23THRUST_200600_302600_NS6detail15normal_iteratorINSA_10device_ptrIxEEEEPS6_SG_NS0_5tupleIJSF_S6_EEENSH_IJSG_SG_EEES6_PlJNSB_9not_fun_tINSB_14equal_to_valueIxEEEEEEE10hipError_tPvRmT3_T4_T5_T6_T7_T9_mT8_P12ihipStream_tbDpT10_ENKUlT_T0_E_clISt17integral_constantIbLb1EES17_IbLb0EEEEDaS13_S14_EUlS13_E_NS1_11comp_targetILNS1_3genE10ELNS1_11target_archE1200ELNS1_3gpuE4ELNS1_3repE0EEENS1_30default_config_static_selectorELNS0_4arch9wavefront6targetE0EEEvT1_,"axG",@progbits,_ZN7rocprim17ROCPRIM_400000_NS6detail17trampoline_kernelINS0_14default_configENS1_25partition_config_selectorILNS1_17partition_subalgoE6ExNS0_10empty_typeEbEEZZNS1_14partition_implILS5_6ELb0ES3_mN6thrust23THRUST_200600_302600_NS6detail15normal_iteratorINSA_10device_ptrIxEEEEPS6_SG_NS0_5tupleIJSF_S6_EEENSH_IJSG_SG_EEES6_PlJNSB_9not_fun_tINSB_14equal_to_valueIxEEEEEEE10hipError_tPvRmT3_T4_T5_T6_T7_T9_mT8_P12ihipStream_tbDpT10_ENKUlT_T0_E_clISt17integral_constantIbLb1EES17_IbLb0EEEEDaS13_S14_EUlS13_E_NS1_11comp_targetILNS1_3genE10ELNS1_11target_archE1200ELNS1_3gpuE4ELNS1_3repE0EEENS1_30default_config_static_selectorELNS0_4arch9wavefront6targetE0EEEvT1_,comdat
	.protected	_ZN7rocprim17ROCPRIM_400000_NS6detail17trampoline_kernelINS0_14default_configENS1_25partition_config_selectorILNS1_17partition_subalgoE6ExNS0_10empty_typeEbEEZZNS1_14partition_implILS5_6ELb0ES3_mN6thrust23THRUST_200600_302600_NS6detail15normal_iteratorINSA_10device_ptrIxEEEEPS6_SG_NS0_5tupleIJSF_S6_EEENSH_IJSG_SG_EEES6_PlJNSB_9not_fun_tINSB_14equal_to_valueIxEEEEEEE10hipError_tPvRmT3_T4_T5_T6_T7_T9_mT8_P12ihipStream_tbDpT10_ENKUlT_T0_E_clISt17integral_constantIbLb1EES17_IbLb0EEEEDaS13_S14_EUlS13_E_NS1_11comp_targetILNS1_3genE10ELNS1_11target_archE1200ELNS1_3gpuE4ELNS1_3repE0EEENS1_30default_config_static_selectorELNS0_4arch9wavefront6targetE0EEEvT1_ ; -- Begin function _ZN7rocprim17ROCPRIM_400000_NS6detail17trampoline_kernelINS0_14default_configENS1_25partition_config_selectorILNS1_17partition_subalgoE6ExNS0_10empty_typeEbEEZZNS1_14partition_implILS5_6ELb0ES3_mN6thrust23THRUST_200600_302600_NS6detail15normal_iteratorINSA_10device_ptrIxEEEEPS6_SG_NS0_5tupleIJSF_S6_EEENSH_IJSG_SG_EEES6_PlJNSB_9not_fun_tINSB_14equal_to_valueIxEEEEEEE10hipError_tPvRmT3_T4_T5_T6_T7_T9_mT8_P12ihipStream_tbDpT10_ENKUlT_T0_E_clISt17integral_constantIbLb1EES17_IbLb0EEEEDaS13_S14_EUlS13_E_NS1_11comp_targetILNS1_3genE10ELNS1_11target_archE1200ELNS1_3gpuE4ELNS1_3repE0EEENS1_30default_config_static_selectorELNS0_4arch9wavefront6targetE0EEEvT1_
	.globl	_ZN7rocprim17ROCPRIM_400000_NS6detail17trampoline_kernelINS0_14default_configENS1_25partition_config_selectorILNS1_17partition_subalgoE6ExNS0_10empty_typeEbEEZZNS1_14partition_implILS5_6ELb0ES3_mN6thrust23THRUST_200600_302600_NS6detail15normal_iteratorINSA_10device_ptrIxEEEEPS6_SG_NS0_5tupleIJSF_S6_EEENSH_IJSG_SG_EEES6_PlJNSB_9not_fun_tINSB_14equal_to_valueIxEEEEEEE10hipError_tPvRmT3_T4_T5_T6_T7_T9_mT8_P12ihipStream_tbDpT10_ENKUlT_T0_E_clISt17integral_constantIbLb1EES17_IbLb0EEEEDaS13_S14_EUlS13_E_NS1_11comp_targetILNS1_3genE10ELNS1_11target_archE1200ELNS1_3gpuE4ELNS1_3repE0EEENS1_30default_config_static_selectorELNS0_4arch9wavefront6targetE0EEEvT1_
	.p2align	8
	.type	_ZN7rocprim17ROCPRIM_400000_NS6detail17trampoline_kernelINS0_14default_configENS1_25partition_config_selectorILNS1_17partition_subalgoE6ExNS0_10empty_typeEbEEZZNS1_14partition_implILS5_6ELb0ES3_mN6thrust23THRUST_200600_302600_NS6detail15normal_iteratorINSA_10device_ptrIxEEEEPS6_SG_NS0_5tupleIJSF_S6_EEENSH_IJSG_SG_EEES6_PlJNSB_9not_fun_tINSB_14equal_to_valueIxEEEEEEE10hipError_tPvRmT3_T4_T5_T6_T7_T9_mT8_P12ihipStream_tbDpT10_ENKUlT_T0_E_clISt17integral_constantIbLb1EES17_IbLb0EEEEDaS13_S14_EUlS13_E_NS1_11comp_targetILNS1_3genE10ELNS1_11target_archE1200ELNS1_3gpuE4ELNS1_3repE0EEENS1_30default_config_static_selectorELNS0_4arch9wavefront6targetE0EEEvT1_,@function
_ZN7rocprim17ROCPRIM_400000_NS6detail17trampoline_kernelINS0_14default_configENS1_25partition_config_selectorILNS1_17partition_subalgoE6ExNS0_10empty_typeEbEEZZNS1_14partition_implILS5_6ELb0ES3_mN6thrust23THRUST_200600_302600_NS6detail15normal_iteratorINSA_10device_ptrIxEEEEPS6_SG_NS0_5tupleIJSF_S6_EEENSH_IJSG_SG_EEES6_PlJNSB_9not_fun_tINSB_14equal_to_valueIxEEEEEEE10hipError_tPvRmT3_T4_T5_T6_T7_T9_mT8_P12ihipStream_tbDpT10_ENKUlT_T0_E_clISt17integral_constantIbLb1EES17_IbLb0EEEEDaS13_S14_EUlS13_E_NS1_11comp_targetILNS1_3genE10ELNS1_11target_archE1200ELNS1_3gpuE4ELNS1_3repE0EEENS1_30default_config_static_selectorELNS0_4arch9wavefront6targetE0EEEvT1_: ; @_ZN7rocprim17ROCPRIM_400000_NS6detail17trampoline_kernelINS0_14default_configENS1_25partition_config_selectorILNS1_17partition_subalgoE6ExNS0_10empty_typeEbEEZZNS1_14partition_implILS5_6ELb0ES3_mN6thrust23THRUST_200600_302600_NS6detail15normal_iteratorINSA_10device_ptrIxEEEEPS6_SG_NS0_5tupleIJSF_S6_EEENSH_IJSG_SG_EEES6_PlJNSB_9not_fun_tINSB_14equal_to_valueIxEEEEEEE10hipError_tPvRmT3_T4_T5_T6_T7_T9_mT8_P12ihipStream_tbDpT10_ENKUlT_T0_E_clISt17integral_constantIbLb1EES17_IbLb0EEEEDaS13_S14_EUlS13_E_NS1_11comp_targetILNS1_3genE10ELNS1_11target_archE1200ELNS1_3gpuE4ELNS1_3repE0EEENS1_30default_config_static_selectorELNS0_4arch9wavefront6targetE0EEEvT1_
; %bb.0:
	s_endpgm
	.section	.rodata,"a",@progbits
	.p2align	6, 0x0
	.amdhsa_kernel _ZN7rocprim17ROCPRIM_400000_NS6detail17trampoline_kernelINS0_14default_configENS1_25partition_config_selectorILNS1_17partition_subalgoE6ExNS0_10empty_typeEbEEZZNS1_14partition_implILS5_6ELb0ES3_mN6thrust23THRUST_200600_302600_NS6detail15normal_iteratorINSA_10device_ptrIxEEEEPS6_SG_NS0_5tupleIJSF_S6_EEENSH_IJSG_SG_EEES6_PlJNSB_9not_fun_tINSB_14equal_to_valueIxEEEEEEE10hipError_tPvRmT3_T4_T5_T6_T7_T9_mT8_P12ihipStream_tbDpT10_ENKUlT_T0_E_clISt17integral_constantIbLb1EES17_IbLb0EEEEDaS13_S14_EUlS13_E_NS1_11comp_targetILNS1_3genE10ELNS1_11target_archE1200ELNS1_3gpuE4ELNS1_3repE0EEENS1_30default_config_static_selectorELNS0_4arch9wavefront6targetE0EEEvT1_
		.amdhsa_group_segment_fixed_size 0
		.amdhsa_private_segment_fixed_size 0
		.amdhsa_kernarg_size 120
		.amdhsa_user_sgpr_count 2
		.amdhsa_user_sgpr_dispatch_ptr 0
		.amdhsa_user_sgpr_queue_ptr 0
		.amdhsa_user_sgpr_kernarg_segment_ptr 1
		.amdhsa_user_sgpr_dispatch_id 0
		.amdhsa_user_sgpr_private_segment_size 0
		.amdhsa_wavefront_size32 1
		.amdhsa_uses_dynamic_stack 0
		.amdhsa_enable_private_segment 0
		.amdhsa_system_sgpr_workgroup_id_x 1
		.amdhsa_system_sgpr_workgroup_id_y 0
		.amdhsa_system_sgpr_workgroup_id_z 0
		.amdhsa_system_sgpr_workgroup_info 0
		.amdhsa_system_vgpr_workitem_id 0
		.amdhsa_next_free_vgpr 1
		.amdhsa_next_free_sgpr 1
		.amdhsa_reserve_vcc 0
		.amdhsa_float_round_mode_32 0
		.amdhsa_float_round_mode_16_64 0
		.amdhsa_float_denorm_mode_32 3
		.amdhsa_float_denorm_mode_16_64 3
		.amdhsa_fp16_overflow 0
		.amdhsa_workgroup_processor_mode 1
		.amdhsa_memory_ordered 1
		.amdhsa_forward_progress 1
		.amdhsa_inst_pref_size 1
		.amdhsa_round_robin_scheduling 0
		.amdhsa_exception_fp_ieee_invalid_op 0
		.amdhsa_exception_fp_denorm_src 0
		.amdhsa_exception_fp_ieee_div_zero 0
		.amdhsa_exception_fp_ieee_overflow 0
		.amdhsa_exception_fp_ieee_underflow 0
		.amdhsa_exception_fp_ieee_inexact 0
		.amdhsa_exception_int_div_zero 0
	.end_amdhsa_kernel
	.section	.text._ZN7rocprim17ROCPRIM_400000_NS6detail17trampoline_kernelINS0_14default_configENS1_25partition_config_selectorILNS1_17partition_subalgoE6ExNS0_10empty_typeEbEEZZNS1_14partition_implILS5_6ELb0ES3_mN6thrust23THRUST_200600_302600_NS6detail15normal_iteratorINSA_10device_ptrIxEEEEPS6_SG_NS0_5tupleIJSF_S6_EEENSH_IJSG_SG_EEES6_PlJNSB_9not_fun_tINSB_14equal_to_valueIxEEEEEEE10hipError_tPvRmT3_T4_T5_T6_T7_T9_mT8_P12ihipStream_tbDpT10_ENKUlT_T0_E_clISt17integral_constantIbLb1EES17_IbLb0EEEEDaS13_S14_EUlS13_E_NS1_11comp_targetILNS1_3genE10ELNS1_11target_archE1200ELNS1_3gpuE4ELNS1_3repE0EEENS1_30default_config_static_selectorELNS0_4arch9wavefront6targetE0EEEvT1_,"axG",@progbits,_ZN7rocprim17ROCPRIM_400000_NS6detail17trampoline_kernelINS0_14default_configENS1_25partition_config_selectorILNS1_17partition_subalgoE6ExNS0_10empty_typeEbEEZZNS1_14partition_implILS5_6ELb0ES3_mN6thrust23THRUST_200600_302600_NS6detail15normal_iteratorINSA_10device_ptrIxEEEEPS6_SG_NS0_5tupleIJSF_S6_EEENSH_IJSG_SG_EEES6_PlJNSB_9not_fun_tINSB_14equal_to_valueIxEEEEEEE10hipError_tPvRmT3_T4_T5_T6_T7_T9_mT8_P12ihipStream_tbDpT10_ENKUlT_T0_E_clISt17integral_constantIbLb1EES17_IbLb0EEEEDaS13_S14_EUlS13_E_NS1_11comp_targetILNS1_3genE10ELNS1_11target_archE1200ELNS1_3gpuE4ELNS1_3repE0EEENS1_30default_config_static_selectorELNS0_4arch9wavefront6targetE0EEEvT1_,comdat
.Lfunc_end458:
	.size	_ZN7rocprim17ROCPRIM_400000_NS6detail17trampoline_kernelINS0_14default_configENS1_25partition_config_selectorILNS1_17partition_subalgoE6ExNS0_10empty_typeEbEEZZNS1_14partition_implILS5_6ELb0ES3_mN6thrust23THRUST_200600_302600_NS6detail15normal_iteratorINSA_10device_ptrIxEEEEPS6_SG_NS0_5tupleIJSF_S6_EEENSH_IJSG_SG_EEES6_PlJNSB_9not_fun_tINSB_14equal_to_valueIxEEEEEEE10hipError_tPvRmT3_T4_T5_T6_T7_T9_mT8_P12ihipStream_tbDpT10_ENKUlT_T0_E_clISt17integral_constantIbLb1EES17_IbLb0EEEEDaS13_S14_EUlS13_E_NS1_11comp_targetILNS1_3genE10ELNS1_11target_archE1200ELNS1_3gpuE4ELNS1_3repE0EEENS1_30default_config_static_selectorELNS0_4arch9wavefront6targetE0EEEvT1_, .Lfunc_end458-_ZN7rocprim17ROCPRIM_400000_NS6detail17trampoline_kernelINS0_14default_configENS1_25partition_config_selectorILNS1_17partition_subalgoE6ExNS0_10empty_typeEbEEZZNS1_14partition_implILS5_6ELb0ES3_mN6thrust23THRUST_200600_302600_NS6detail15normal_iteratorINSA_10device_ptrIxEEEEPS6_SG_NS0_5tupleIJSF_S6_EEENSH_IJSG_SG_EEES6_PlJNSB_9not_fun_tINSB_14equal_to_valueIxEEEEEEE10hipError_tPvRmT3_T4_T5_T6_T7_T9_mT8_P12ihipStream_tbDpT10_ENKUlT_T0_E_clISt17integral_constantIbLb1EES17_IbLb0EEEEDaS13_S14_EUlS13_E_NS1_11comp_targetILNS1_3genE10ELNS1_11target_archE1200ELNS1_3gpuE4ELNS1_3repE0EEENS1_30default_config_static_selectorELNS0_4arch9wavefront6targetE0EEEvT1_
                                        ; -- End function
	.set _ZN7rocprim17ROCPRIM_400000_NS6detail17trampoline_kernelINS0_14default_configENS1_25partition_config_selectorILNS1_17partition_subalgoE6ExNS0_10empty_typeEbEEZZNS1_14partition_implILS5_6ELb0ES3_mN6thrust23THRUST_200600_302600_NS6detail15normal_iteratorINSA_10device_ptrIxEEEEPS6_SG_NS0_5tupleIJSF_S6_EEENSH_IJSG_SG_EEES6_PlJNSB_9not_fun_tINSB_14equal_to_valueIxEEEEEEE10hipError_tPvRmT3_T4_T5_T6_T7_T9_mT8_P12ihipStream_tbDpT10_ENKUlT_T0_E_clISt17integral_constantIbLb1EES17_IbLb0EEEEDaS13_S14_EUlS13_E_NS1_11comp_targetILNS1_3genE10ELNS1_11target_archE1200ELNS1_3gpuE4ELNS1_3repE0EEENS1_30default_config_static_selectorELNS0_4arch9wavefront6targetE0EEEvT1_.num_vgpr, 0
	.set _ZN7rocprim17ROCPRIM_400000_NS6detail17trampoline_kernelINS0_14default_configENS1_25partition_config_selectorILNS1_17partition_subalgoE6ExNS0_10empty_typeEbEEZZNS1_14partition_implILS5_6ELb0ES3_mN6thrust23THRUST_200600_302600_NS6detail15normal_iteratorINSA_10device_ptrIxEEEEPS6_SG_NS0_5tupleIJSF_S6_EEENSH_IJSG_SG_EEES6_PlJNSB_9not_fun_tINSB_14equal_to_valueIxEEEEEEE10hipError_tPvRmT3_T4_T5_T6_T7_T9_mT8_P12ihipStream_tbDpT10_ENKUlT_T0_E_clISt17integral_constantIbLb1EES17_IbLb0EEEEDaS13_S14_EUlS13_E_NS1_11comp_targetILNS1_3genE10ELNS1_11target_archE1200ELNS1_3gpuE4ELNS1_3repE0EEENS1_30default_config_static_selectorELNS0_4arch9wavefront6targetE0EEEvT1_.num_agpr, 0
	.set _ZN7rocprim17ROCPRIM_400000_NS6detail17trampoline_kernelINS0_14default_configENS1_25partition_config_selectorILNS1_17partition_subalgoE6ExNS0_10empty_typeEbEEZZNS1_14partition_implILS5_6ELb0ES3_mN6thrust23THRUST_200600_302600_NS6detail15normal_iteratorINSA_10device_ptrIxEEEEPS6_SG_NS0_5tupleIJSF_S6_EEENSH_IJSG_SG_EEES6_PlJNSB_9not_fun_tINSB_14equal_to_valueIxEEEEEEE10hipError_tPvRmT3_T4_T5_T6_T7_T9_mT8_P12ihipStream_tbDpT10_ENKUlT_T0_E_clISt17integral_constantIbLb1EES17_IbLb0EEEEDaS13_S14_EUlS13_E_NS1_11comp_targetILNS1_3genE10ELNS1_11target_archE1200ELNS1_3gpuE4ELNS1_3repE0EEENS1_30default_config_static_selectorELNS0_4arch9wavefront6targetE0EEEvT1_.numbered_sgpr, 0
	.set _ZN7rocprim17ROCPRIM_400000_NS6detail17trampoline_kernelINS0_14default_configENS1_25partition_config_selectorILNS1_17partition_subalgoE6ExNS0_10empty_typeEbEEZZNS1_14partition_implILS5_6ELb0ES3_mN6thrust23THRUST_200600_302600_NS6detail15normal_iteratorINSA_10device_ptrIxEEEEPS6_SG_NS0_5tupleIJSF_S6_EEENSH_IJSG_SG_EEES6_PlJNSB_9not_fun_tINSB_14equal_to_valueIxEEEEEEE10hipError_tPvRmT3_T4_T5_T6_T7_T9_mT8_P12ihipStream_tbDpT10_ENKUlT_T0_E_clISt17integral_constantIbLb1EES17_IbLb0EEEEDaS13_S14_EUlS13_E_NS1_11comp_targetILNS1_3genE10ELNS1_11target_archE1200ELNS1_3gpuE4ELNS1_3repE0EEENS1_30default_config_static_selectorELNS0_4arch9wavefront6targetE0EEEvT1_.num_named_barrier, 0
	.set _ZN7rocprim17ROCPRIM_400000_NS6detail17trampoline_kernelINS0_14default_configENS1_25partition_config_selectorILNS1_17partition_subalgoE6ExNS0_10empty_typeEbEEZZNS1_14partition_implILS5_6ELb0ES3_mN6thrust23THRUST_200600_302600_NS6detail15normal_iteratorINSA_10device_ptrIxEEEEPS6_SG_NS0_5tupleIJSF_S6_EEENSH_IJSG_SG_EEES6_PlJNSB_9not_fun_tINSB_14equal_to_valueIxEEEEEEE10hipError_tPvRmT3_T4_T5_T6_T7_T9_mT8_P12ihipStream_tbDpT10_ENKUlT_T0_E_clISt17integral_constantIbLb1EES17_IbLb0EEEEDaS13_S14_EUlS13_E_NS1_11comp_targetILNS1_3genE10ELNS1_11target_archE1200ELNS1_3gpuE4ELNS1_3repE0EEENS1_30default_config_static_selectorELNS0_4arch9wavefront6targetE0EEEvT1_.private_seg_size, 0
	.set _ZN7rocprim17ROCPRIM_400000_NS6detail17trampoline_kernelINS0_14default_configENS1_25partition_config_selectorILNS1_17partition_subalgoE6ExNS0_10empty_typeEbEEZZNS1_14partition_implILS5_6ELb0ES3_mN6thrust23THRUST_200600_302600_NS6detail15normal_iteratorINSA_10device_ptrIxEEEEPS6_SG_NS0_5tupleIJSF_S6_EEENSH_IJSG_SG_EEES6_PlJNSB_9not_fun_tINSB_14equal_to_valueIxEEEEEEE10hipError_tPvRmT3_T4_T5_T6_T7_T9_mT8_P12ihipStream_tbDpT10_ENKUlT_T0_E_clISt17integral_constantIbLb1EES17_IbLb0EEEEDaS13_S14_EUlS13_E_NS1_11comp_targetILNS1_3genE10ELNS1_11target_archE1200ELNS1_3gpuE4ELNS1_3repE0EEENS1_30default_config_static_selectorELNS0_4arch9wavefront6targetE0EEEvT1_.uses_vcc, 0
	.set _ZN7rocprim17ROCPRIM_400000_NS6detail17trampoline_kernelINS0_14default_configENS1_25partition_config_selectorILNS1_17partition_subalgoE6ExNS0_10empty_typeEbEEZZNS1_14partition_implILS5_6ELb0ES3_mN6thrust23THRUST_200600_302600_NS6detail15normal_iteratorINSA_10device_ptrIxEEEEPS6_SG_NS0_5tupleIJSF_S6_EEENSH_IJSG_SG_EEES6_PlJNSB_9not_fun_tINSB_14equal_to_valueIxEEEEEEE10hipError_tPvRmT3_T4_T5_T6_T7_T9_mT8_P12ihipStream_tbDpT10_ENKUlT_T0_E_clISt17integral_constantIbLb1EES17_IbLb0EEEEDaS13_S14_EUlS13_E_NS1_11comp_targetILNS1_3genE10ELNS1_11target_archE1200ELNS1_3gpuE4ELNS1_3repE0EEENS1_30default_config_static_selectorELNS0_4arch9wavefront6targetE0EEEvT1_.uses_flat_scratch, 0
	.set _ZN7rocprim17ROCPRIM_400000_NS6detail17trampoline_kernelINS0_14default_configENS1_25partition_config_selectorILNS1_17partition_subalgoE6ExNS0_10empty_typeEbEEZZNS1_14partition_implILS5_6ELb0ES3_mN6thrust23THRUST_200600_302600_NS6detail15normal_iteratorINSA_10device_ptrIxEEEEPS6_SG_NS0_5tupleIJSF_S6_EEENSH_IJSG_SG_EEES6_PlJNSB_9not_fun_tINSB_14equal_to_valueIxEEEEEEE10hipError_tPvRmT3_T4_T5_T6_T7_T9_mT8_P12ihipStream_tbDpT10_ENKUlT_T0_E_clISt17integral_constantIbLb1EES17_IbLb0EEEEDaS13_S14_EUlS13_E_NS1_11comp_targetILNS1_3genE10ELNS1_11target_archE1200ELNS1_3gpuE4ELNS1_3repE0EEENS1_30default_config_static_selectorELNS0_4arch9wavefront6targetE0EEEvT1_.has_dyn_sized_stack, 0
	.set _ZN7rocprim17ROCPRIM_400000_NS6detail17trampoline_kernelINS0_14default_configENS1_25partition_config_selectorILNS1_17partition_subalgoE6ExNS0_10empty_typeEbEEZZNS1_14partition_implILS5_6ELb0ES3_mN6thrust23THRUST_200600_302600_NS6detail15normal_iteratorINSA_10device_ptrIxEEEEPS6_SG_NS0_5tupleIJSF_S6_EEENSH_IJSG_SG_EEES6_PlJNSB_9not_fun_tINSB_14equal_to_valueIxEEEEEEE10hipError_tPvRmT3_T4_T5_T6_T7_T9_mT8_P12ihipStream_tbDpT10_ENKUlT_T0_E_clISt17integral_constantIbLb1EES17_IbLb0EEEEDaS13_S14_EUlS13_E_NS1_11comp_targetILNS1_3genE10ELNS1_11target_archE1200ELNS1_3gpuE4ELNS1_3repE0EEENS1_30default_config_static_selectorELNS0_4arch9wavefront6targetE0EEEvT1_.has_recursion, 0
	.set _ZN7rocprim17ROCPRIM_400000_NS6detail17trampoline_kernelINS0_14default_configENS1_25partition_config_selectorILNS1_17partition_subalgoE6ExNS0_10empty_typeEbEEZZNS1_14partition_implILS5_6ELb0ES3_mN6thrust23THRUST_200600_302600_NS6detail15normal_iteratorINSA_10device_ptrIxEEEEPS6_SG_NS0_5tupleIJSF_S6_EEENSH_IJSG_SG_EEES6_PlJNSB_9not_fun_tINSB_14equal_to_valueIxEEEEEEE10hipError_tPvRmT3_T4_T5_T6_T7_T9_mT8_P12ihipStream_tbDpT10_ENKUlT_T0_E_clISt17integral_constantIbLb1EES17_IbLb0EEEEDaS13_S14_EUlS13_E_NS1_11comp_targetILNS1_3genE10ELNS1_11target_archE1200ELNS1_3gpuE4ELNS1_3repE0EEENS1_30default_config_static_selectorELNS0_4arch9wavefront6targetE0EEEvT1_.has_indirect_call, 0
	.section	.AMDGPU.csdata,"",@progbits
; Kernel info:
; codeLenInByte = 4
; TotalNumSgprs: 0
; NumVgprs: 0
; ScratchSize: 0
; MemoryBound: 0
; FloatMode: 240
; IeeeMode: 1
; LDSByteSize: 0 bytes/workgroup (compile time only)
; SGPRBlocks: 0
; VGPRBlocks: 0
; NumSGPRsForWavesPerEU: 1
; NumVGPRsForWavesPerEU: 1
; Occupancy: 16
; WaveLimiterHint : 0
; COMPUTE_PGM_RSRC2:SCRATCH_EN: 0
; COMPUTE_PGM_RSRC2:USER_SGPR: 2
; COMPUTE_PGM_RSRC2:TRAP_HANDLER: 0
; COMPUTE_PGM_RSRC2:TGID_X_EN: 1
; COMPUTE_PGM_RSRC2:TGID_Y_EN: 0
; COMPUTE_PGM_RSRC2:TGID_Z_EN: 0
; COMPUTE_PGM_RSRC2:TIDIG_COMP_CNT: 0
	.section	.text._ZN7rocprim17ROCPRIM_400000_NS6detail17trampoline_kernelINS0_14default_configENS1_25partition_config_selectorILNS1_17partition_subalgoE6ExNS0_10empty_typeEbEEZZNS1_14partition_implILS5_6ELb0ES3_mN6thrust23THRUST_200600_302600_NS6detail15normal_iteratorINSA_10device_ptrIxEEEEPS6_SG_NS0_5tupleIJSF_S6_EEENSH_IJSG_SG_EEES6_PlJNSB_9not_fun_tINSB_14equal_to_valueIxEEEEEEE10hipError_tPvRmT3_T4_T5_T6_T7_T9_mT8_P12ihipStream_tbDpT10_ENKUlT_T0_E_clISt17integral_constantIbLb1EES17_IbLb0EEEEDaS13_S14_EUlS13_E_NS1_11comp_targetILNS1_3genE9ELNS1_11target_archE1100ELNS1_3gpuE3ELNS1_3repE0EEENS1_30default_config_static_selectorELNS0_4arch9wavefront6targetE0EEEvT1_,"axG",@progbits,_ZN7rocprim17ROCPRIM_400000_NS6detail17trampoline_kernelINS0_14default_configENS1_25partition_config_selectorILNS1_17partition_subalgoE6ExNS0_10empty_typeEbEEZZNS1_14partition_implILS5_6ELb0ES3_mN6thrust23THRUST_200600_302600_NS6detail15normal_iteratorINSA_10device_ptrIxEEEEPS6_SG_NS0_5tupleIJSF_S6_EEENSH_IJSG_SG_EEES6_PlJNSB_9not_fun_tINSB_14equal_to_valueIxEEEEEEE10hipError_tPvRmT3_T4_T5_T6_T7_T9_mT8_P12ihipStream_tbDpT10_ENKUlT_T0_E_clISt17integral_constantIbLb1EES17_IbLb0EEEEDaS13_S14_EUlS13_E_NS1_11comp_targetILNS1_3genE9ELNS1_11target_archE1100ELNS1_3gpuE3ELNS1_3repE0EEENS1_30default_config_static_selectorELNS0_4arch9wavefront6targetE0EEEvT1_,comdat
	.protected	_ZN7rocprim17ROCPRIM_400000_NS6detail17trampoline_kernelINS0_14default_configENS1_25partition_config_selectorILNS1_17partition_subalgoE6ExNS0_10empty_typeEbEEZZNS1_14partition_implILS5_6ELb0ES3_mN6thrust23THRUST_200600_302600_NS6detail15normal_iteratorINSA_10device_ptrIxEEEEPS6_SG_NS0_5tupleIJSF_S6_EEENSH_IJSG_SG_EEES6_PlJNSB_9not_fun_tINSB_14equal_to_valueIxEEEEEEE10hipError_tPvRmT3_T4_T5_T6_T7_T9_mT8_P12ihipStream_tbDpT10_ENKUlT_T0_E_clISt17integral_constantIbLb1EES17_IbLb0EEEEDaS13_S14_EUlS13_E_NS1_11comp_targetILNS1_3genE9ELNS1_11target_archE1100ELNS1_3gpuE3ELNS1_3repE0EEENS1_30default_config_static_selectorELNS0_4arch9wavefront6targetE0EEEvT1_ ; -- Begin function _ZN7rocprim17ROCPRIM_400000_NS6detail17trampoline_kernelINS0_14default_configENS1_25partition_config_selectorILNS1_17partition_subalgoE6ExNS0_10empty_typeEbEEZZNS1_14partition_implILS5_6ELb0ES3_mN6thrust23THRUST_200600_302600_NS6detail15normal_iteratorINSA_10device_ptrIxEEEEPS6_SG_NS0_5tupleIJSF_S6_EEENSH_IJSG_SG_EEES6_PlJNSB_9not_fun_tINSB_14equal_to_valueIxEEEEEEE10hipError_tPvRmT3_T4_T5_T6_T7_T9_mT8_P12ihipStream_tbDpT10_ENKUlT_T0_E_clISt17integral_constantIbLb1EES17_IbLb0EEEEDaS13_S14_EUlS13_E_NS1_11comp_targetILNS1_3genE9ELNS1_11target_archE1100ELNS1_3gpuE3ELNS1_3repE0EEENS1_30default_config_static_selectorELNS0_4arch9wavefront6targetE0EEEvT1_
	.globl	_ZN7rocprim17ROCPRIM_400000_NS6detail17trampoline_kernelINS0_14default_configENS1_25partition_config_selectorILNS1_17partition_subalgoE6ExNS0_10empty_typeEbEEZZNS1_14partition_implILS5_6ELb0ES3_mN6thrust23THRUST_200600_302600_NS6detail15normal_iteratorINSA_10device_ptrIxEEEEPS6_SG_NS0_5tupleIJSF_S6_EEENSH_IJSG_SG_EEES6_PlJNSB_9not_fun_tINSB_14equal_to_valueIxEEEEEEE10hipError_tPvRmT3_T4_T5_T6_T7_T9_mT8_P12ihipStream_tbDpT10_ENKUlT_T0_E_clISt17integral_constantIbLb1EES17_IbLb0EEEEDaS13_S14_EUlS13_E_NS1_11comp_targetILNS1_3genE9ELNS1_11target_archE1100ELNS1_3gpuE3ELNS1_3repE0EEENS1_30default_config_static_selectorELNS0_4arch9wavefront6targetE0EEEvT1_
	.p2align	8
	.type	_ZN7rocprim17ROCPRIM_400000_NS6detail17trampoline_kernelINS0_14default_configENS1_25partition_config_selectorILNS1_17partition_subalgoE6ExNS0_10empty_typeEbEEZZNS1_14partition_implILS5_6ELb0ES3_mN6thrust23THRUST_200600_302600_NS6detail15normal_iteratorINSA_10device_ptrIxEEEEPS6_SG_NS0_5tupleIJSF_S6_EEENSH_IJSG_SG_EEES6_PlJNSB_9not_fun_tINSB_14equal_to_valueIxEEEEEEE10hipError_tPvRmT3_T4_T5_T6_T7_T9_mT8_P12ihipStream_tbDpT10_ENKUlT_T0_E_clISt17integral_constantIbLb1EES17_IbLb0EEEEDaS13_S14_EUlS13_E_NS1_11comp_targetILNS1_3genE9ELNS1_11target_archE1100ELNS1_3gpuE3ELNS1_3repE0EEENS1_30default_config_static_selectorELNS0_4arch9wavefront6targetE0EEEvT1_,@function
_ZN7rocprim17ROCPRIM_400000_NS6detail17trampoline_kernelINS0_14default_configENS1_25partition_config_selectorILNS1_17partition_subalgoE6ExNS0_10empty_typeEbEEZZNS1_14partition_implILS5_6ELb0ES3_mN6thrust23THRUST_200600_302600_NS6detail15normal_iteratorINSA_10device_ptrIxEEEEPS6_SG_NS0_5tupleIJSF_S6_EEENSH_IJSG_SG_EEES6_PlJNSB_9not_fun_tINSB_14equal_to_valueIxEEEEEEE10hipError_tPvRmT3_T4_T5_T6_T7_T9_mT8_P12ihipStream_tbDpT10_ENKUlT_T0_E_clISt17integral_constantIbLb1EES17_IbLb0EEEEDaS13_S14_EUlS13_E_NS1_11comp_targetILNS1_3genE9ELNS1_11target_archE1100ELNS1_3gpuE3ELNS1_3repE0EEENS1_30default_config_static_selectorELNS0_4arch9wavefront6targetE0EEEvT1_: ; @_ZN7rocprim17ROCPRIM_400000_NS6detail17trampoline_kernelINS0_14default_configENS1_25partition_config_selectorILNS1_17partition_subalgoE6ExNS0_10empty_typeEbEEZZNS1_14partition_implILS5_6ELb0ES3_mN6thrust23THRUST_200600_302600_NS6detail15normal_iteratorINSA_10device_ptrIxEEEEPS6_SG_NS0_5tupleIJSF_S6_EEENSH_IJSG_SG_EEES6_PlJNSB_9not_fun_tINSB_14equal_to_valueIxEEEEEEE10hipError_tPvRmT3_T4_T5_T6_T7_T9_mT8_P12ihipStream_tbDpT10_ENKUlT_T0_E_clISt17integral_constantIbLb1EES17_IbLb0EEEEDaS13_S14_EUlS13_E_NS1_11comp_targetILNS1_3genE9ELNS1_11target_archE1100ELNS1_3gpuE3ELNS1_3repE0EEENS1_30default_config_static_selectorELNS0_4arch9wavefront6targetE0EEEvT1_
; %bb.0:
	.section	.rodata,"a",@progbits
	.p2align	6, 0x0
	.amdhsa_kernel _ZN7rocprim17ROCPRIM_400000_NS6detail17trampoline_kernelINS0_14default_configENS1_25partition_config_selectorILNS1_17partition_subalgoE6ExNS0_10empty_typeEbEEZZNS1_14partition_implILS5_6ELb0ES3_mN6thrust23THRUST_200600_302600_NS6detail15normal_iteratorINSA_10device_ptrIxEEEEPS6_SG_NS0_5tupleIJSF_S6_EEENSH_IJSG_SG_EEES6_PlJNSB_9not_fun_tINSB_14equal_to_valueIxEEEEEEE10hipError_tPvRmT3_T4_T5_T6_T7_T9_mT8_P12ihipStream_tbDpT10_ENKUlT_T0_E_clISt17integral_constantIbLb1EES17_IbLb0EEEEDaS13_S14_EUlS13_E_NS1_11comp_targetILNS1_3genE9ELNS1_11target_archE1100ELNS1_3gpuE3ELNS1_3repE0EEENS1_30default_config_static_selectorELNS0_4arch9wavefront6targetE0EEEvT1_
		.amdhsa_group_segment_fixed_size 0
		.amdhsa_private_segment_fixed_size 0
		.amdhsa_kernarg_size 120
		.amdhsa_user_sgpr_count 2
		.amdhsa_user_sgpr_dispatch_ptr 0
		.amdhsa_user_sgpr_queue_ptr 0
		.amdhsa_user_sgpr_kernarg_segment_ptr 1
		.amdhsa_user_sgpr_dispatch_id 0
		.amdhsa_user_sgpr_private_segment_size 0
		.amdhsa_wavefront_size32 1
		.amdhsa_uses_dynamic_stack 0
		.amdhsa_enable_private_segment 0
		.amdhsa_system_sgpr_workgroup_id_x 1
		.amdhsa_system_sgpr_workgroup_id_y 0
		.amdhsa_system_sgpr_workgroup_id_z 0
		.amdhsa_system_sgpr_workgroup_info 0
		.amdhsa_system_vgpr_workitem_id 0
		.amdhsa_next_free_vgpr 1
		.amdhsa_next_free_sgpr 1
		.amdhsa_reserve_vcc 0
		.amdhsa_float_round_mode_32 0
		.amdhsa_float_round_mode_16_64 0
		.amdhsa_float_denorm_mode_32 3
		.amdhsa_float_denorm_mode_16_64 3
		.amdhsa_fp16_overflow 0
		.amdhsa_workgroup_processor_mode 1
		.amdhsa_memory_ordered 1
		.amdhsa_forward_progress 1
		.amdhsa_inst_pref_size 0
		.amdhsa_round_robin_scheduling 0
		.amdhsa_exception_fp_ieee_invalid_op 0
		.amdhsa_exception_fp_denorm_src 0
		.amdhsa_exception_fp_ieee_div_zero 0
		.amdhsa_exception_fp_ieee_overflow 0
		.amdhsa_exception_fp_ieee_underflow 0
		.amdhsa_exception_fp_ieee_inexact 0
		.amdhsa_exception_int_div_zero 0
	.end_amdhsa_kernel
	.section	.text._ZN7rocprim17ROCPRIM_400000_NS6detail17trampoline_kernelINS0_14default_configENS1_25partition_config_selectorILNS1_17partition_subalgoE6ExNS0_10empty_typeEbEEZZNS1_14partition_implILS5_6ELb0ES3_mN6thrust23THRUST_200600_302600_NS6detail15normal_iteratorINSA_10device_ptrIxEEEEPS6_SG_NS0_5tupleIJSF_S6_EEENSH_IJSG_SG_EEES6_PlJNSB_9not_fun_tINSB_14equal_to_valueIxEEEEEEE10hipError_tPvRmT3_T4_T5_T6_T7_T9_mT8_P12ihipStream_tbDpT10_ENKUlT_T0_E_clISt17integral_constantIbLb1EES17_IbLb0EEEEDaS13_S14_EUlS13_E_NS1_11comp_targetILNS1_3genE9ELNS1_11target_archE1100ELNS1_3gpuE3ELNS1_3repE0EEENS1_30default_config_static_selectorELNS0_4arch9wavefront6targetE0EEEvT1_,"axG",@progbits,_ZN7rocprim17ROCPRIM_400000_NS6detail17trampoline_kernelINS0_14default_configENS1_25partition_config_selectorILNS1_17partition_subalgoE6ExNS0_10empty_typeEbEEZZNS1_14partition_implILS5_6ELb0ES3_mN6thrust23THRUST_200600_302600_NS6detail15normal_iteratorINSA_10device_ptrIxEEEEPS6_SG_NS0_5tupleIJSF_S6_EEENSH_IJSG_SG_EEES6_PlJNSB_9not_fun_tINSB_14equal_to_valueIxEEEEEEE10hipError_tPvRmT3_T4_T5_T6_T7_T9_mT8_P12ihipStream_tbDpT10_ENKUlT_T0_E_clISt17integral_constantIbLb1EES17_IbLb0EEEEDaS13_S14_EUlS13_E_NS1_11comp_targetILNS1_3genE9ELNS1_11target_archE1100ELNS1_3gpuE3ELNS1_3repE0EEENS1_30default_config_static_selectorELNS0_4arch9wavefront6targetE0EEEvT1_,comdat
.Lfunc_end459:
	.size	_ZN7rocprim17ROCPRIM_400000_NS6detail17trampoline_kernelINS0_14default_configENS1_25partition_config_selectorILNS1_17partition_subalgoE6ExNS0_10empty_typeEbEEZZNS1_14partition_implILS5_6ELb0ES3_mN6thrust23THRUST_200600_302600_NS6detail15normal_iteratorINSA_10device_ptrIxEEEEPS6_SG_NS0_5tupleIJSF_S6_EEENSH_IJSG_SG_EEES6_PlJNSB_9not_fun_tINSB_14equal_to_valueIxEEEEEEE10hipError_tPvRmT3_T4_T5_T6_T7_T9_mT8_P12ihipStream_tbDpT10_ENKUlT_T0_E_clISt17integral_constantIbLb1EES17_IbLb0EEEEDaS13_S14_EUlS13_E_NS1_11comp_targetILNS1_3genE9ELNS1_11target_archE1100ELNS1_3gpuE3ELNS1_3repE0EEENS1_30default_config_static_selectorELNS0_4arch9wavefront6targetE0EEEvT1_, .Lfunc_end459-_ZN7rocprim17ROCPRIM_400000_NS6detail17trampoline_kernelINS0_14default_configENS1_25partition_config_selectorILNS1_17partition_subalgoE6ExNS0_10empty_typeEbEEZZNS1_14partition_implILS5_6ELb0ES3_mN6thrust23THRUST_200600_302600_NS6detail15normal_iteratorINSA_10device_ptrIxEEEEPS6_SG_NS0_5tupleIJSF_S6_EEENSH_IJSG_SG_EEES6_PlJNSB_9not_fun_tINSB_14equal_to_valueIxEEEEEEE10hipError_tPvRmT3_T4_T5_T6_T7_T9_mT8_P12ihipStream_tbDpT10_ENKUlT_T0_E_clISt17integral_constantIbLb1EES17_IbLb0EEEEDaS13_S14_EUlS13_E_NS1_11comp_targetILNS1_3genE9ELNS1_11target_archE1100ELNS1_3gpuE3ELNS1_3repE0EEENS1_30default_config_static_selectorELNS0_4arch9wavefront6targetE0EEEvT1_
                                        ; -- End function
	.set _ZN7rocprim17ROCPRIM_400000_NS6detail17trampoline_kernelINS0_14default_configENS1_25partition_config_selectorILNS1_17partition_subalgoE6ExNS0_10empty_typeEbEEZZNS1_14partition_implILS5_6ELb0ES3_mN6thrust23THRUST_200600_302600_NS6detail15normal_iteratorINSA_10device_ptrIxEEEEPS6_SG_NS0_5tupleIJSF_S6_EEENSH_IJSG_SG_EEES6_PlJNSB_9not_fun_tINSB_14equal_to_valueIxEEEEEEE10hipError_tPvRmT3_T4_T5_T6_T7_T9_mT8_P12ihipStream_tbDpT10_ENKUlT_T0_E_clISt17integral_constantIbLb1EES17_IbLb0EEEEDaS13_S14_EUlS13_E_NS1_11comp_targetILNS1_3genE9ELNS1_11target_archE1100ELNS1_3gpuE3ELNS1_3repE0EEENS1_30default_config_static_selectorELNS0_4arch9wavefront6targetE0EEEvT1_.num_vgpr, 0
	.set _ZN7rocprim17ROCPRIM_400000_NS6detail17trampoline_kernelINS0_14default_configENS1_25partition_config_selectorILNS1_17partition_subalgoE6ExNS0_10empty_typeEbEEZZNS1_14partition_implILS5_6ELb0ES3_mN6thrust23THRUST_200600_302600_NS6detail15normal_iteratorINSA_10device_ptrIxEEEEPS6_SG_NS0_5tupleIJSF_S6_EEENSH_IJSG_SG_EEES6_PlJNSB_9not_fun_tINSB_14equal_to_valueIxEEEEEEE10hipError_tPvRmT3_T4_T5_T6_T7_T9_mT8_P12ihipStream_tbDpT10_ENKUlT_T0_E_clISt17integral_constantIbLb1EES17_IbLb0EEEEDaS13_S14_EUlS13_E_NS1_11comp_targetILNS1_3genE9ELNS1_11target_archE1100ELNS1_3gpuE3ELNS1_3repE0EEENS1_30default_config_static_selectorELNS0_4arch9wavefront6targetE0EEEvT1_.num_agpr, 0
	.set _ZN7rocprim17ROCPRIM_400000_NS6detail17trampoline_kernelINS0_14default_configENS1_25partition_config_selectorILNS1_17partition_subalgoE6ExNS0_10empty_typeEbEEZZNS1_14partition_implILS5_6ELb0ES3_mN6thrust23THRUST_200600_302600_NS6detail15normal_iteratorINSA_10device_ptrIxEEEEPS6_SG_NS0_5tupleIJSF_S6_EEENSH_IJSG_SG_EEES6_PlJNSB_9not_fun_tINSB_14equal_to_valueIxEEEEEEE10hipError_tPvRmT3_T4_T5_T6_T7_T9_mT8_P12ihipStream_tbDpT10_ENKUlT_T0_E_clISt17integral_constantIbLb1EES17_IbLb0EEEEDaS13_S14_EUlS13_E_NS1_11comp_targetILNS1_3genE9ELNS1_11target_archE1100ELNS1_3gpuE3ELNS1_3repE0EEENS1_30default_config_static_selectorELNS0_4arch9wavefront6targetE0EEEvT1_.numbered_sgpr, 0
	.set _ZN7rocprim17ROCPRIM_400000_NS6detail17trampoline_kernelINS0_14default_configENS1_25partition_config_selectorILNS1_17partition_subalgoE6ExNS0_10empty_typeEbEEZZNS1_14partition_implILS5_6ELb0ES3_mN6thrust23THRUST_200600_302600_NS6detail15normal_iteratorINSA_10device_ptrIxEEEEPS6_SG_NS0_5tupleIJSF_S6_EEENSH_IJSG_SG_EEES6_PlJNSB_9not_fun_tINSB_14equal_to_valueIxEEEEEEE10hipError_tPvRmT3_T4_T5_T6_T7_T9_mT8_P12ihipStream_tbDpT10_ENKUlT_T0_E_clISt17integral_constantIbLb1EES17_IbLb0EEEEDaS13_S14_EUlS13_E_NS1_11comp_targetILNS1_3genE9ELNS1_11target_archE1100ELNS1_3gpuE3ELNS1_3repE0EEENS1_30default_config_static_selectorELNS0_4arch9wavefront6targetE0EEEvT1_.num_named_barrier, 0
	.set _ZN7rocprim17ROCPRIM_400000_NS6detail17trampoline_kernelINS0_14default_configENS1_25partition_config_selectorILNS1_17partition_subalgoE6ExNS0_10empty_typeEbEEZZNS1_14partition_implILS5_6ELb0ES3_mN6thrust23THRUST_200600_302600_NS6detail15normal_iteratorINSA_10device_ptrIxEEEEPS6_SG_NS0_5tupleIJSF_S6_EEENSH_IJSG_SG_EEES6_PlJNSB_9not_fun_tINSB_14equal_to_valueIxEEEEEEE10hipError_tPvRmT3_T4_T5_T6_T7_T9_mT8_P12ihipStream_tbDpT10_ENKUlT_T0_E_clISt17integral_constantIbLb1EES17_IbLb0EEEEDaS13_S14_EUlS13_E_NS1_11comp_targetILNS1_3genE9ELNS1_11target_archE1100ELNS1_3gpuE3ELNS1_3repE0EEENS1_30default_config_static_selectorELNS0_4arch9wavefront6targetE0EEEvT1_.private_seg_size, 0
	.set _ZN7rocprim17ROCPRIM_400000_NS6detail17trampoline_kernelINS0_14default_configENS1_25partition_config_selectorILNS1_17partition_subalgoE6ExNS0_10empty_typeEbEEZZNS1_14partition_implILS5_6ELb0ES3_mN6thrust23THRUST_200600_302600_NS6detail15normal_iteratorINSA_10device_ptrIxEEEEPS6_SG_NS0_5tupleIJSF_S6_EEENSH_IJSG_SG_EEES6_PlJNSB_9not_fun_tINSB_14equal_to_valueIxEEEEEEE10hipError_tPvRmT3_T4_T5_T6_T7_T9_mT8_P12ihipStream_tbDpT10_ENKUlT_T0_E_clISt17integral_constantIbLb1EES17_IbLb0EEEEDaS13_S14_EUlS13_E_NS1_11comp_targetILNS1_3genE9ELNS1_11target_archE1100ELNS1_3gpuE3ELNS1_3repE0EEENS1_30default_config_static_selectorELNS0_4arch9wavefront6targetE0EEEvT1_.uses_vcc, 0
	.set _ZN7rocprim17ROCPRIM_400000_NS6detail17trampoline_kernelINS0_14default_configENS1_25partition_config_selectorILNS1_17partition_subalgoE6ExNS0_10empty_typeEbEEZZNS1_14partition_implILS5_6ELb0ES3_mN6thrust23THRUST_200600_302600_NS6detail15normal_iteratorINSA_10device_ptrIxEEEEPS6_SG_NS0_5tupleIJSF_S6_EEENSH_IJSG_SG_EEES6_PlJNSB_9not_fun_tINSB_14equal_to_valueIxEEEEEEE10hipError_tPvRmT3_T4_T5_T6_T7_T9_mT8_P12ihipStream_tbDpT10_ENKUlT_T0_E_clISt17integral_constantIbLb1EES17_IbLb0EEEEDaS13_S14_EUlS13_E_NS1_11comp_targetILNS1_3genE9ELNS1_11target_archE1100ELNS1_3gpuE3ELNS1_3repE0EEENS1_30default_config_static_selectorELNS0_4arch9wavefront6targetE0EEEvT1_.uses_flat_scratch, 0
	.set _ZN7rocprim17ROCPRIM_400000_NS6detail17trampoline_kernelINS0_14default_configENS1_25partition_config_selectorILNS1_17partition_subalgoE6ExNS0_10empty_typeEbEEZZNS1_14partition_implILS5_6ELb0ES3_mN6thrust23THRUST_200600_302600_NS6detail15normal_iteratorINSA_10device_ptrIxEEEEPS6_SG_NS0_5tupleIJSF_S6_EEENSH_IJSG_SG_EEES6_PlJNSB_9not_fun_tINSB_14equal_to_valueIxEEEEEEE10hipError_tPvRmT3_T4_T5_T6_T7_T9_mT8_P12ihipStream_tbDpT10_ENKUlT_T0_E_clISt17integral_constantIbLb1EES17_IbLb0EEEEDaS13_S14_EUlS13_E_NS1_11comp_targetILNS1_3genE9ELNS1_11target_archE1100ELNS1_3gpuE3ELNS1_3repE0EEENS1_30default_config_static_selectorELNS0_4arch9wavefront6targetE0EEEvT1_.has_dyn_sized_stack, 0
	.set _ZN7rocprim17ROCPRIM_400000_NS6detail17trampoline_kernelINS0_14default_configENS1_25partition_config_selectorILNS1_17partition_subalgoE6ExNS0_10empty_typeEbEEZZNS1_14partition_implILS5_6ELb0ES3_mN6thrust23THRUST_200600_302600_NS6detail15normal_iteratorINSA_10device_ptrIxEEEEPS6_SG_NS0_5tupleIJSF_S6_EEENSH_IJSG_SG_EEES6_PlJNSB_9not_fun_tINSB_14equal_to_valueIxEEEEEEE10hipError_tPvRmT3_T4_T5_T6_T7_T9_mT8_P12ihipStream_tbDpT10_ENKUlT_T0_E_clISt17integral_constantIbLb1EES17_IbLb0EEEEDaS13_S14_EUlS13_E_NS1_11comp_targetILNS1_3genE9ELNS1_11target_archE1100ELNS1_3gpuE3ELNS1_3repE0EEENS1_30default_config_static_selectorELNS0_4arch9wavefront6targetE0EEEvT1_.has_recursion, 0
	.set _ZN7rocprim17ROCPRIM_400000_NS6detail17trampoline_kernelINS0_14default_configENS1_25partition_config_selectorILNS1_17partition_subalgoE6ExNS0_10empty_typeEbEEZZNS1_14partition_implILS5_6ELb0ES3_mN6thrust23THRUST_200600_302600_NS6detail15normal_iteratorINSA_10device_ptrIxEEEEPS6_SG_NS0_5tupleIJSF_S6_EEENSH_IJSG_SG_EEES6_PlJNSB_9not_fun_tINSB_14equal_to_valueIxEEEEEEE10hipError_tPvRmT3_T4_T5_T6_T7_T9_mT8_P12ihipStream_tbDpT10_ENKUlT_T0_E_clISt17integral_constantIbLb1EES17_IbLb0EEEEDaS13_S14_EUlS13_E_NS1_11comp_targetILNS1_3genE9ELNS1_11target_archE1100ELNS1_3gpuE3ELNS1_3repE0EEENS1_30default_config_static_selectorELNS0_4arch9wavefront6targetE0EEEvT1_.has_indirect_call, 0
	.section	.AMDGPU.csdata,"",@progbits
; Kernel info:
; codeLenInByte = 0
; TotalNumSgprs: 0
; NumVgprs: 0
; ScratchSize: 0
; MemoryBound: 0
; FloatMode: 240
; IeeeMode: 1
; LDSByteSize: 0 bytes/workgroup (compile time only)
; SGPRBlocks: 0
; VGPRBlocks: 0
; NumSGPRsForWavesPerEU: 1
; NumVGPRsForWavesPerEU: 1
; Occupancy: 16
; WaveLimiterHint : 0
; COMPUTE_PGM_RSRC2:SCRATCH_EN: 0
; COMPUTE_PGM_RSRC2:USER_SGPR: 2
; COMPUTE_PGM_RSRC2:TRAP_HANDLER: 0
; COMPUTE_PGM_RSRC2:TGID_X_EN: 1
; COMPUTE_PGM_RSRC2:TGID_Y_EN: 0
; COMPUTE_PGM_RSRC2:TGID_Z_EN: 0
; COMPUTE_PGM_RSRC2:TIDIG_COMP_CNT: 0
	.section	.text._ZN7rocprim17ROCPRIM_400000_NS6detail17trampoline_kernelINS0_14default_configENS1_25partition_config_selectorILNS1_17partition_subalgoE6ExNS0_10empty_typeEbEEZZNS1_14partition_implILS5_6ELb0ES3_mN6thrust23THRUST_200600_302600_NS6detail15normal_iteratorINSA_10device_ptrIxEEEEPS6_SG_NS0_5tupleIJSF_S6_EEENSH_IJSG_SG_EEES6_PlJNSB_9not_fun_tINSB_14equal_to_valueIxEEEEEEE10hipError_tPvRmT3_T4_T5_T6_T7_T9_mT8_P12ihipStream_tbDpT10_ENKUlT_T0_E_clISt17integral_constantIbLb1EES17_IbLb0EEEEDaS13_S14_EUlS13_E_NS1_11comp_targetILNS1_3genE8ELNS1_11target_archE1030ELNS1_3gpuE2ELNS1_3repE0EEENS1_30default_config_static_selectorELNS0_4arch9wavefront6targetE0EEEvT1_,"axG",@progbits,_ZN7rocprim17ROCPRIM_400000_NS6detail17trampoline_kernelINS0_14default_configENS1_25partition_config_selectorILNS1_17partition_subalgoE6ExNS0_10empty_typeEbEEZZNS1_14partition_implILS5_6ELb0ES3_mN6thrust23THRUST_200600_302600_NS6detail15normal_iteratorINSA_10device_ptrIxEEEEPS6_SG_NS0_5tupleIJSF_S6_EEENSH_IJSG_SG_EEES6_PlJNSB_9not_fun_tINSB_14equal_to_valueIxEEEEEEE10hipError_tPvRmT3_T4_T5_T6_T7_T9_mT8_P12ihipStream_tbDpT10_ENKUlT_T0_E_clISt17integral_constantIbLb1EES17_IbLb0EEEEDaS13_S14_EUlS13_E_NS1_11comp_targetILNS1_3genE8ELNS1_11target_archE1030ELNS1_3gpuE2ELNS1_3repE0EEENS1_30default_config_static_selectorELNS0_4arch9wavefront6targetE0EEEvT1_,comdat
	.protected	_ZN7rocprim17ROCPRIM_400000_NS6detail17trampoline_kernelINS0_14default_configENS1_25partition_config_selectorILNS1_17partition_subalgoE6ExNS0_10empty_typeEbEEZZNS1_14partition_implILS5_6ELb0ES3_mN6thrust23THRUST_200600_302600_NS6detail15normal_iteratorINSA_10device_ptrIxEEEEPS6_SG_NS0_5tupleIJSF_S6_EEENSH_IJSG_SG_EEES6_PlJNSB_9not_fun_tINSB_14equal_to_valueIxEEEEEEE10hipError_tPvRmT3_T4_T5_T6_T7_T9_mT8_P12ihipStream_tbDpT10_ENKUlT_T0_E_clISt17integral_constantIbLb1EES17_IbLb0EEEEDaS13_S14_EUlS13_E_NS1_11comp_targetILNS1_3genE8ELNS1_11target_archE1030ELNS1_3gpuE2ELNS1_3repE0EEENS1_30default_config_static_selectorELNS0_4arch9wavefront6targetE0EEEvT1_ ; -- Begin function _ZN7rocprim17ROCPRIM_400000_NS6detail17trampoline_kernelINS0_14default_configENS1_25partition_config_selectorILNS1_17partition_subalgoE6ExNS0_10empty_typeEbEEZZNS1_14partition_implILS5_6ELb0ES3_mN6thrust23THRUST_200600_302600_NS6detail15normal_iteratorINSA_10device_ptrIxEEEEPS6_SG_NS0_5tupleIJSF_S6_EEENSH_IJSG_SG_EEES6_PlJNSB_9not_fun_tINSB_14equal_to_valueIxEEEEEEE10hipError_tPvRmT3_T4_T5_T6_T7_T9_mT8_P12ihipStream_tbDpT10_ENKUlT_T0_E_clISt17integral_constantIbLb1EES17_IbLb0EEEEDaS13_S14_EUlS13_E_NS1_11comp_targetILNS1_3genE8ELNS1_11target_archE1030ELNS1_3gpuE2ELNS1_3repE0EEENS1_30default_config_static_selectorELNS0_4arch9wavefront6targetE0EEEvT1_
	.globl	_ZN7rocprim17ROCPRIM_400000_NS6detail17trampoline_kernelINS0_14default_configENS1_25partition_config_selectorILNS1_17partition_subalgoE6ExNS0_10empty_typeEbEEZZNS1_14partition_implILS5_6ELb0ES3_mN6thrust23THRUST_200600_302600_NS6detail15normal_iteratorINSA_10device_ptrIxEEEEPS6_SG_NS0_5tupleIJSF_S6_EEENSH_IJSG_SG_EEES6_PlJNSB_9not_fun_tINSB_14equal_to_valueIxEEEEEEE10hipError_tPvRmT3_T4_T5_T6_T7_T9_mT8_P12ihipStream_tbDpT10_ENKUlT_T0_E_clISt17integral_constantIbLb1EES17_IbLb0EEEEDaS13_S14_EUlS13_E_NS1_11comp_targetILNS1_3genE8ELNS1_11target_archE1030ELNS1_3gpuE2ELNS1_3repE0EEENS1_30default_config_static_selectorELNS0_4arch9wavefront6targetE0EEEvT1_
	.p2align	8
	.type	_ZN7rocprim17ROCPRIM_400000_NS6detail17trampoline_kernelINS0_14default_configENS1_25partition_config_selectorILNS1_17partition_subalgoE6ExNS0_10empty_typeEbEEZZNS1_14partition_implILS5_6ELb0ES3_mN6thrust23THRUST_200600_302600_NS6detail15normal_iteratorINSA_10device_ptrIxEEEEPS6_SG_NS0_5tupleIJSF_S6_EEENSH_IJSG_SG_EEES6_PlJNSB_9not_fun_tINSB_14equal_to_valueIxEEEEEEE10hipError_tPvRmT3_T4_T5_T6_T7_T9_mT8_P12ihipStream_tbDpT10_ENKUlT_T0_E_clISt17integral_constantIbLb1EES17_IbLb0EEEEDaS13_S14_EUlS13_E_NS1_11comp_targetILNS1_3genE8ELNS1_11target_archE1030ELNS1_3gpuE2ELNS1_3repE0EEENS1_30default_config_static_selectorELNS0_4arch9wavefront6targetE0EEEvT1_,@function
_ZN7rocprim17ROCPRIM_400000_NS6detail17trampoline_kernelINS0_14default_configENS1_25partition_config_selectorILNS1_17partition_subalgoE6ExNS0_10empty_typeEbEEZZNS1_14partition_implILS5_6ELb0ES3_mN6thrust23THRUST_200600_302600_NS6detail15normal_iteratorINSA_10device_ptrIxEEEEPS6_SG_NS0_5tupleIJSF_S6_EEENSH_IJSG_SG_EEES6_PlJNSB_9not_fun_tINSB_14equal_to_valueIxEEEEEEE10hipError_tPvRmT3_T4_T5_T6_T7_T9_mT8_P12ihipStream_tbDpT10_ENKUlT_T0_E_clISt17integral_constantIbLb1EES17_IbLb0EEEEDaS13_S14_EUlS13_E_NS1_11comp_targetILNS1_3genE8ELNS1_11target_archE1030ELNS1_3gpuE2ELNS1_3repE0EEENS1_30default_config_static_selectorELNS0_4arch9wavefront6targetE0EEEvT1_: ; @_ZN7rocprim17ROCPRIM_400000_NS6detail17trampoline_kernelINS0_14default_configENS1_25partition_config_selectorILNS1_17partition_subalgoE6ExNS0_10empty_typeEbEEZZNS1_14partition_implILS5_6ELb0ES3_mN6thrust23THRUST_200600_302600_NS6detail15normal_iteratorINSA_10device_ptrIxEEEEPS6_SG_NS0_5tupleIJSF_S6_EEENSH_IJSG_SG_EEES6_PlJNSB_9not_fun_tINSB_14equal_to_valueIxEEEEEEE10hipError_tPvRmT3_T4_T5_T6_T7_T9_mT8_P12ihipStream_tbDpT10_ENKUlT_T0_E_clISt17integral_constantIbLb1EES17_IbLb0EEEEDaS13_S14_EUlS13_E_NS1_11comp_targetILNS1_3genE8ELNS1_11target_archE1030ELNS1_3gpuE2ELNS1_3repE0EEENS1_30default_config_static_selectorELNS0_4arch9wavefront6targetE0EEEvT1_
; %bb.0:
	.section	.rodata,"a",@progbits
	.p2align	6, 0x0
	.amdhsa_kernel _ZN7rocprim17ROCPRIM_400000_NS6detail17trampoline_kernelINS0_14default_configENS1_25partition_config_selectorILNS1_17partition_subalgoE6ExNS0_10empty_typeEbEEZZNS1_14partition_implILS5_6ELb0ES3_mN6thrust23THRUST_200600_302600_NS6detail15normal_iteratorINSA_10device_ptrIxEEEEPS6_SG_NS0_5tupleIJSF_S6_EEENSH_IJSG_SG_EEES6_PlJNSB_9not_fun_tINSB_14equal_to_valueIxEEEEEEE10hipError_tPvRmT3_T4_T5_T6_T7_T9_mT8_P12ihipStream_tbDpT10_ENKUlT_T0_E_clISt17integral_constantIbLb1EES17_IbLb0EEEEDaS13_S14_EUlS13_E_NS1_11comp_targetILNS1_3genE8ELNS1_11target_archE1030ELNS1_3gpuE2ELNS1_3repE0EEENS1_30default_config_static_selectorELNS0_4arch9wavefront6targetE0EEEvT1_
		.amdhsa_group_segment_fixed_size 0
		.amdhsa_private_segment_fixed_size 0
		.amdhsa_kernarg_size 120
		.amdhsa_user_sgpr_count 2
		.amdhsa_user_sgpr_dispatch_ptr 0
		.amdhsa_user_sgpr_queue_ptr 0
		.amdhsa_user_sgpr_kernarg_segment_ptr 1
		.amdhsa_user_sgpr_dispatch_id 0
		.amdhsa_user_sgpr_private_segment_size 0
		.amdhsa_wavefront_size32 1
		.amdhsa_uses_dynamic_stack 0
		.amdhsa_enable_private_segment 0
		.amdhsa_system_sgpr_workgroup_id_x 1
		.amdhsa_system_sgpr_workgroup_id_y 0
		.amdhsa_system_sgpr_workgroup_id_z 0
		.amdhsa_system_sgpr_workgroup_info 0
		.amdhsa_system_vgpr_workitem_id 0
		.amdhsa_next_free_vgpr 1
		.amdhsa_next_free_sgpr 1
		.amdhsa_reserve_vcc 0
		.amdhsa_float_round_mode_32 0
		.amdhsa_float_round_mode_16_64 0
		.amdhsa_float_denorm_mode_32 3
		.amdhsa_float_denorm_mode_16_64 3
		.amdhsa_fp16_overflow 0
		.amdhsa_workgroup_processor_mode 1
		.amdhsa_memory_ordered 1
		.amdhsa_forward_progress 1
		.amdhsa_inst_pref_size 0
		.amdhsa_round_robin_scheduling 0
		.amdhsa_exception_fp_ieee_invalid_op 0
		.amdhsa_exception_fp_denorm_src 0
		.amdhsa_exception_fp_ieee_div_zero 0
		.amdhsa_exception_fp_ieee_overflow 0
		.amdhsa_exception_fp_ieee_underflow 0
		.amdhsa_exception_fp_ieee_inexact 0
		.amdhsa_exception_int_div_zero 0
	.end_amdhsa_kernel
	.section	.text._ZN7rocprim17ROCPRIM_400000_NS6detail17trampoline_kernelINS0_14default_configENS1_25partition_config_selectorILNS1_17partition_subalgoE6ExNS0_10empty_typeEbEEZZNS1_14partition_implILS5_6ELb0ES3_mN6thrust23THRUST_200600_302600_NS6detail15normal_iteratorINSA_10device_ptrIxEEEEPS6_SG_NS0_5tupleIJSF_S6_EEENSH_IJSG_SG_EEES6_PlJNSB_9not_fun_tINSB_14equal_to_valueIxEEEEEEE10hipError_tPvRmT3_T4_T5_T6_T7_T9_mT8_P12ihipStream_tbDpT10_ENKUlT_T0_E_clISt17integral_constantIbLb1EES17_IbLb0EEEEDaS13_S14_EUlS13_E_NS1_11comp_targetILNS1_3genE8ELNS1_11target_archE1030ELNS1_3gpuE2ELNS1_3repE0EEENS1_30default_config_static_selectorELNS0_4arch9wavefront6targetE0EEEvT1_,"axG",@progbits,_ZN7rocprim17ROCPRIM_400000_NS6detail17trampoline_kernelINS0_14default_configENS1_25partition_config_selectorILNS1_17partition_subalgoE6ExNS0_10empty_typeEbEEZZNS1_14partition_implILS5_6ELb0ES3_mN6thrust23THRUST_200600_302600_NS6detail15normal_iteratorINSA_10device_ptrIxEEEEPS6_SG_NS0_5tupleIJSF_S6_EEENSH_IJSG_SG_EEES6_PlJNSB_9not_fun_tINSB_14equal_to_valueIxEEEEEEE10hipError_tPvRmT3_T4_T5_T6_T7_T9_mT8_P12ihipStream_tbDpT10_ENKUlT_T0_E_clISt17integral_constantIbLb1EES17_IbLb0EEEEDaS13_S14_EUlS13_E_NS1_11comp_targetILNS1_3genE8ELNS1_11target_archE1030ELNS1_3gpuE2ELNS1_3repE0EEENS1_30default_config_static_selectorELNS0_4arch9wavefront6targetE0EEEvT1_,comdat
.Lfunc_end460:
	.size	_ZN7rocprim17ROCPRIM_400000_NS6detail17trampoline_kernelINS0_14default_configENS1_25partition_config_selectorILNS1_17partition_subalgoE6ExNS0_10empty_typeEbEEZZNS1_14partition_implILS5_6ELb0ES3_mN6thrust23THRUST_200600_302600_NS6detail15normal_iteratorINSA_10device_ptrIxEEEEPS6_SG_NS0_5tupleIJSF_S6_EEENSH_IJSG_SG_EEES6_PlJNSB_9not_fun_tINSB_14equal_to_valueIxEEEEEEE10hipError_tPvRmT3_T4_T5_T6_T7_T9_mT8_P12ihipStream_tbDpT10_ENKUlT_T0_E_clISt17integral_constantIbLb1EES17_IbLb0EEEEDaS13_S14_EUlS13_E_NS1_11comp_targetILNS1_3genE8ELNS1_11target_archE1030ELNS1_3gpuE2ELNS1_3repE0EEENS1_30default_config_static_selectorELNS0_4arch9wavefront6targetE0EEEvT1_, .Lfunc_end460-_ZN7rocprim17ROCPRIM_400000_NS6detail17trampoline_kernelINS0_14default_configENS1_25partition_config_selectorILNS1_17partition_subalgoE6ExNS0_10empty_typeEbEEZZNS1_14partition_implILS5_6ELb0ES3_mN6thrust23THRUST_200600_302600_NS6detail15normal_iteratorINSA_10device_ptrIxEEEEPS6_SG_NS0_5tupleIJSF_S6_EEENSH_IJSG_SG_EEES6_PlJNSB_9not_fun_tINSB_14equal_to_valueIxEEEEEEE10hipError_tPvRmT3_T4_T5_T6_T7_T9_mT8_P12ihipStream_tbDpT10_ENKUlT_T0_E_clISt17integral_constantIbLb1EES17_IbLb0EEEEDaS13_S14_EUlS13_E_NS1_11comp_targetILNS1_3genE8ELNS1_11target_archE1030ELNS1_3gpuE2ELNS1_3repE0EEENS1_30default_config_static_selectorELNS0_4arch9wavefront6targetE0EEEvT1_
                                        ; -- End function
	.set _ZN7rocprim17ROCPRIM_400000_NS6detail17trampoline_kernelINS0_14default_configENS1_25partition_config_selectorILNS1_17partition_subalgoE6ExNS0_10empty_typeEbEEZZNS1_14partition_implILS5_6ELb0ES3_mN6thrust23THRUST_200600_302600_NS6detail15normal_iteratorINSA_10device_ptrIxEEEEPS6_SG_NS0_5tupleIJSF_S6_EEENSH_IJSG_SG_EEES6_PlJNSB_9not_fun_tINSB_14equal_to_valueIxEEEEEEE10hipError_tPvRmT3_T4_T5_T6_T7_T9_mT8_P12ihipStream_tbDpT10_ENKUlT_T0_E_clISt17integral_constantIbLb1EES17_IbLb0EEEEDaS13_S14_EUlS13_E_NS1_11comp_targetILNS1_3genE8ELNS1_11target_archE1030ELNS1_3gpuE2ELNS1_3repE0EEENS1_30default_config_static_selectorELNS0_4arch9wavefront6targetE0EEEvT1_.num_vgpr, 0
	.set _ZN7rocprim17ROCPRIM_400000_NS6detail17trampoline_kernelINS0_14default_configENS1_25partition_config_selectorILNS1_17partition_subalgoE6ExNS0_10empty_typeEbEEZZNS1_14partition_implILS5_6ELb0ES3_mN6thrust23THRUST_200600_302600_NS6detail15normal_iteratorINSA_10device_ptrIxEEEEPS6_SG_NS0_5tupleIJSF_S6_EEENSH_IJSG_SG_EEES6_PlJNSB_9not_fun_tINSB_14equal_to_valueIxEEEEEEE10hipError_tPvRmT3_T4_T5_T6_T7_T9_mT8_P12ihipStream_tbDpT10_ENKUlT_T0_E_clISt17integral_constantIbLb1EES17_IbLb0EEEEDaS13_S14_EUlS13_E_NS1_11comp_targetILNS1_3genE8ELNS1_11target_archE1030ELNS1_3gpuE2ELNS1_3repE0EEENS1_30default_config_static_selectorELNS0_4arch9wavefront6targetE0EEEvT1_.num_agpr, 0
	.set _ZN7rocprim17ROCPRIM_400000_NS6detail17trampoline_kernelINS0_14default_configENS1_25partition_config_selectorILNS1_17partition_subalgoE6ExNS0_10empty_typeEbEEZZNS1_14partition_implILS5_6ELb0ES3_mN6thrust23THRUST_200600_302600_NS6detail15normal_iteratorINSA_10device_ptrIxEEEEPS6_SG_NS0_5tupleIJSF_S6_EEENSH_IJSG_SG_EEES6_PlJNSB_9not_fun_tINSB_14equal_to_valueIxEEEEEEE10hipError_tPvRmT3_T4_T5_T6_T7_T9_mT8_P12ihipStream_tbDpT10_ENKUlT_T0_E_clISt17integral_constantIbLb1EES17_IbLb0EEEEDaS13_S14_EUlS13_E_NS1_11comp_targetILNS1_3genE8ELNS1_11target_archE1030ELNS1_3gpuE2ELNS1_3repE0EEENS1_30default_config_static_selectorELNS0_4arch9wavefront6targetE0EEEvT1_.numbered_sgpr, 0
	.set _ZN7rocprim17ROCPRIM_400000_NS6detail17trampoline_kernelINS0_14default_configENS1_25partition_config_selectorILNS1_17partition_subalgoE6ExNS0_10empty_typeEbEEZZNS1_14partition_implILS5_6ELb0ES3_mN6thrust23THRUST_200600_302600_NS6detail15normal_iteratorINSA_10device_ptrIxEEEEPS6_SG_NS0_5tupleIJSF_S6_EEENSH_IJSG_SG_EEES6_PlJNSB_9not_fun_tINSB_14equal_to_valueIxEEEEEEE10hipError_tPvRmT3_T4_T5_T6_T7_T9_mT8_P12ihipStream_tbDpT10_ENKUlT_T0_E_clISt17integral_constantIbLb1EES17_IbLb0EEEEDaS13_S14_EUlS13_E_NS1_11comp_targetILNS1_3genE8ELNS1_11target_archE1030ELNS1_3gpuE2ELNS1_3repE0EEENS1_30default_config_static_selectorELNS0_4arch9wavefront6targetE0EEEvT1_.num_named_barrier, 0
	.set _ZN7rocprim17ROCPRIM_400000_NS6detail17trampoline_kernelINS0_14default_configENS1_25partition_config_selectorILNS1_17partition_subalgoE6ExNS0_10empty_typeEbEEZZNS1_14partition_implILS5_6ELb0ES3_mN6thrust23THRUST_200600_302600_NS6detail15normal_iteratorINSA_10device_ptrIxEEEEPS6_SG_NS0_5tupleIJSF_S6_EEENSH_IJSG_SG_EEES6_PlJNSB_9not_fun_tINSB_14equal_to_valueIxEEEEEEE10hipError_tPvRmT3_T4_T5_T6_T7_T9_mT8_P12ihipStream_tbDpT10_ENKUlT_T0_E_clISt17integral_constantIbLb1EES17_IbLb0EEEEDaS13_S14_EUlS13_E_NS1_11comp_targetILNS1_3genE8ELNS1_11target_archE1030ELNS1_3gpuE2ELNS1_3repE0EEENS1_30default_config_static_selectorELNS0_4arch9wavefront6targetE0EEEvT1_.private_seg_size, 0
	.set _ZN7rocprim17ROCPRIM_400000_NS6detail17trampoline_kernelINS0_14default_configENS1_25partition_config_selectorILNS1_17partition_subalgoE6ExNS0_10empty_typeEbEEZZNS1_14partition_implILS5_6ELb0ES3_mN6thrust23THRUST_200600_302600_NS6detail15normal_iteratorINSA_10device_ptrIxEEEEPS6_SG_NS0_5tupleIJSF_S6_EEENSH_IJSG_SG_EEES6_PlJNSB_9not_fun_tINSB_14equal_to_valueIxEEEEEEE10hipError_tPvRmT3_T4_T5_T6_T7_T9_mT8_P12ihipStream_tbDpT10_ENKUlT_T0_E_clISt17integral_constantIbLb1EES17_IbLb0EEEEDaS13_S14_EUlS13_E_NS1_11comp_targetILNS1_3genE8ELNS1_11target_archE1030ELNS1_3gpuE2ELNS1_3repE0EEENS1_30default_config_static_selectorELNS0_4arch9wavefront6targetE0EEEvT1_.uses_vcc, 0
	.set _ZN7rocprim17ROCPRIM_400000_NS6detail17trampoline_kernelINS0_14default_configENS1_25partition_config_selectorILNS1_17partition_subalgoE6ExNS0_10empty_typeEbEEZZNS1_14partition_implILS5_6ELb0ES3_mN6thrust23THRUST_200600_302600_NS6detail15normal_iteratorINSA_10device_ptrIxEEEEPS6_SG_NS0_5tupleIJSF_S6_EEENSH_IJSG_SG_EEES6_PlJNSB_9not_fun_tINSB_14equal_to_valueIxEEEEEEE10hipError_tPvRmT3_T4_T5_T6_T7_T9_mT8_P12ihipStream_tbDpT10_ENKUlT_T0_E_clISt17integral_constantIbLb1EES17_IbLb0EEEEDaS13_S14_EUlS13_E_NS1_11comp_targetILNS1_3genE8ELNS1_11target_archE1030ELNS1_3gpuE2ELNS1_3repE0EEENS1_30default_config_static_selectorELNS0_4arch9wavefront6targetE0EEEvT1_.uses_flat_scratch, 0
	.set _ZN7rocprim17ROCPRIM_400000_NS6detail17trampoline_kernelINS0_14default_configENS1_25partition_config_selectorILNS1_17partition_subalgoE6ExNS0_10empty_typeEbEEZZNS1_14partition_implILS5_6ELb0ES3_mN6thrust23THRUST_200600_302600_NS6detail15normal_iteratorINSA_10device_ptrIxEEEEPS6_SG_NS0_5tupleIJSF_S6_EEENSH_IJSG_SG_EEES6_PlJNSB_9not_fun_tINSB_14equal_to_valueIxEEEEEEE10hipError_tPvRmT3_T4_T5_T6_T7_T9_mT8_P12ihipStream_tbDpT10_ENKUlT_T0_E_clISt17integral_constantIbLb1EES17_IbLb0EEEEDaS13_S14_EUlS13_E_NS1_11comp_targetILNS1_3genE8ELNS1_11target_archE1030ELNS1_3gpuE2ELNS1_3repE0EEENS1_30default_config_static_selectorELNS0_4arch9wavefront6targetE0EEEvT1_.has_dyn_sized_stack, 0
	.set _ZN7rocprim17ROCPRIM_400000_NS6detail17trampoline_kernelINS0_14default_configENS1_25partition_config_selectorILNS1_17partition_subalgoE6ExNS0_10empty_typeEbEEZZNS1_14partition_implILS5_6ELb0ES3_mN6thrust23THRUST_200600_302600_NS6detail15normal_iteratorINSA_10device_ptrIxEEEEPS6_SG_NS0_5tupleIJSF_S6_EEENSH_IJSG_SG_EEES6_PlJNSB_9not_fun_tINSB_14equal_to_valueIxEEEEEEE10hipError_tPvRmT3_T4_T5_T6_T7_T9_mT8_P12ihipStream_tbDpT10_ENKUlT_T0_E_clISt17integral_constantIbLb1EES17_IbLb0EEEEDaS13_S14_EUlS13_E_NS1_11comp_targetILNS1_3genE8ELNS1_11target_archE1030ELNS1_3gpuE2ELNS1_3repE0EEENS1_30default_config_static_selectorELNS0_4arch9wavefront6targetE0EEEvT1_.has_recursion, 0
	.set _ZN7rocprim17ROCPRIM_400000_NS6detail17trampoline_kernelINS0_14default_configENS1_25partition_config_selectorILNS1_17partition_subalgoE6ExNS0_10empty_typeEbEEZZNS1_14partition_implILS5_6ELb0ES3_mN6thrust23THRUST_200600_302600_NS6detail15normal_iteratorINSA_10device_ptrIxEEEEPS6_SG_NS0_5tupleIJSF_S6_EEENSH_IJSG_SG_EEES6_PlJNSB_9not_fun_tINSB_14equal_to_valueIxEEEEEEE10hipError_tPvRmT3_T4_T5_T6_T7_T9_mT8_P12ihipStream_tbDpT10_ENKUlT_T0_E_clISt17integral_constantIbLb1EES17_IbLb0EEEEDaS13_S14_EUlS13_E_NS1_11comp_targetILNS1_3genE8ELNS1_11target_archE1030ELNS1_3gpuE2ELNS1_3repE0EEENS1_30default_config_static_selectorELNS0_4arch9wavefront6targetE0EEEvT1_.has_indirect_call, 0
	.section	.AMDGPU.csdata,"",@progbits
; Kernel info:
; codeLenInByte = 0
; TotalNumSgprs: 0
; NumVgprs: 0
; ScratchSize: 0
; MemoryBound: 0
; FloatMode: 240
; IeeeMode: 1
; LDSByteSize: 0 bytes/workgroup (compile time only)
; SGPRBlocks: 0
; VGPRBlocks: 0
; NumSGPRsForWavesPerEU: 1
; NumVGPRsForWavesPerEU: 1
; Occupancy: 16
; WaveLimiterHint : 0
; COMPUTE_PGM_RSRC2:SCRATCH_EN: 0
; COMPUTE_PGM_RSRC2:USER_SGPR: 2
; COMPUTE_PGM_RSRC2:TRAP_HANDLER: 0
; COMPUTE_PGM_RSRC2:TGID_X_EN: 1
; COMPUTE_PGM_RSRC2:TGID_Y_EN: 0
; COMPUTE_PGM_RSRC2:TGID_Z_EN: 0
; COMPUTE_PGM_RSRC2:TIDIG_COMP_CNT: 0
	.section	.text._ZN7rocprim17ROCPRIM_400000_NS6detail17trampoline_kernelINS0_14default_configENS1_25partition_config_selectorILNS1_17partition_subalgoE6ExNS0_10empty_typeEbEEZZNS1_14partition_implILS5_6ELb0ES3_mN6thrust23THRUST_200600_302600_NS6detail15normal_iteratorINSA_10device_ptrIxEEEEPS6_SG_NS0_5tupleIJSF_S6_EEENSH_IJSG_SG_EEES6_PlJNSB_9not_fun_tINSB_14equal_to_valueIxEEEEEEE10hipError_tPvRmT3_T4_T5_T6_T7_T9_mT8_P12ihipStream_tbDpT10_ENKUlT_T0_E_clISt17integral_constantIbLb0EES17_IbLb1EEEEDaS13_S14_EUlS13_E_NS1_11comp_targetILNS1_3genE0ELNS1_11target_archE4294967295ELNS1_3gpuE0ELNS1_3repE0EEENS1_30default_config_static_selectorELNS0_4arch9wavefront6targetE0EEEvT1_,"axG",@progbits,_ZN7rocprim17ROCPRIM_400000_NS6detail17trampoline_kernelINS0_14default_configENS1_25partition_config_selectorILNS1_17partition_subalgoE6ExNS0_10empty_typeEbEEZZNS1_14partition_implILS5_6ELb0ES3_mN6thrust23THRUST_200600_302600_NS6detail15normal_iteratorINSA_10device_ptrIxEEEEPS6_SG_NS0_5tupleIJSF_S6_EEENSH_IJSG_SG_EEES6_PlJNSB_9not_fun_tINSB_14equal_to_valueIxEEEEEEE10hipError_tPvRmT3_T4_T5_T6_T7_T9_mT8_P12ihipStream_tbDpT10_ENKUlT_T0_E_clISt17integral_constantIbLb0EES17_IbLb1EEEEDaS13_S14_EUlS13_E_NS1_11comp_targetILNS1_3genE0ELNS1_11target_archE4294967295ELNS1_3gpuE0ELNS1_3repE0EEENS1_30default_config_static_selectorELNS0_4arch9wavefront6targetE0EEEvT1_,comdat
	.protected	_ZN7rocprim17ROCPRIM_400000_NS6detail17trampoline_kernelINS0_14default_configENS1_25partition_config_selectorILNS1_17partition_subalgoE6ExNS0_10empty_typeEbEEZZNS1_14partition_implILS5_6ELb0ES3_mN6thrust23THRUST_200600_302600_NS6detail15normal_iteratorINSA_10device_ptrIxEEEEPS6_SG_NS0_5tupleIJSF_S6_EEENSH_IJSG_SG_EEES6_PlJNSB_9not_fun_tINSB_14equal_to_valueIxEEEEEEE10hipError_tPvRmT3_T4_T5_T6_T7_T9_mT8_P12ihipStream_tbDpT10_ENKUlT_T0_E_clISt17integral_constantIbLb0EES17_IbLb1EEEEDaS13_S14_EUlS13_E_NS1_11comp_targetILNS1_3genE0ELNS1_11target_archE4294967295ELNS1_3gpuE0ELNS1_3repE0EEENS1_30default_config_static_selectorELNS0_4arch9wavefront6targetE0EEEvT1_ ; -- Begin function _ZN7rocprim17ROCPRIM_400000_NS6detail17trampoline_kernelINS0_14default_configENS1_25partition_config_selectorILNS1_17partition_subalgoE6ExNS0_10empty_typeEbEEZZNS1_14partition_implILS5_6ELb0ES3_mN6thrust23THRUST_200600_302600_NS6detail15normal_iteratorINSA_10device_ptrIxEEEEPS6_SG_NS0_5tupleIJSF_S6_EEENSH_IJSG_SG_EEES6_PlJNSB_9not_fun_tINSB_14equal_to_valueIxEEEEEEE10hipError_tPvRmT3_T4_T5_T6_T7_T9_mT8_P12ihipStream_tbDpT10_ENKUlT_T0_E_clISt17integral_constantIbLb0EES17_IbLb1EEEEDaS13_S14_EUlS13_E_NS1_11comp_targetILNS1_3genE0ELNS1_11target_archE4294967295ELNS1_3gpuE0ELNS1_3repE0EEENS1_30default_config_static_selectorELNS0_4arch9wavefront6targetE0EEEvT1_
	.globl	_ZN7rocprim17ROCPRIM_400000_NS6detail17trampoline_kernelINS0_14default_configENS1_25partition_config_selectorILNS1_17partition_subalgoE6ExNS0_10empty_typeEbEEZZNS1_14partition_implILS5_6ELb0ES3_mN6thrust23THRUST_200600_302600_NS6detail15normal_iteratorINSA_10device_ptrIxEEEEPS6_SG_NS0_5tupleIJSF_S6_EEENSH_IJSG_SG_EEES6_PlJNSB_9not_fun_tINSB_14equal_to_valueIxEEEEEEE10hipError_tPvRmT3_T4_T5_T6_T7_T9_mT8_P12ihipStream_tbDpT10_ENKUlT_T0_E_clISt17integral_constantIbLb0EES17_IbLb1EEEEDaS13_S14_EUlS13_E_NS1_11comp_targetILNS1_3genE0ELNS1_11target_archE4294967295ELNS1_3gpuE0ELNS1_3repE0EEENS1_30default_config_static_selectorELNS0_4arch9wavefront6targetE0EEEvT1_
	.p2align	8
	.type	_ZN7rocprim17ROCPRIM_400000_NS6detail17trampoline_kernelINS0_14default_configENS1_25partition_config_selectorILNS1_17partition_subalgoE6ExNS0_10empty_typeEbEEZZNS1_14partition_implILS5_6ELb0ES3_mN6thrust23THRUST_200600_302600_NS6detail15normal_iteratorINSA_10device_ptrIxEEEEPS6_SG_NS0_5tupleIJSF_S6_EEENSH_IJSG_SG_EEES6_PlJNSB_9not_fun_tINSB_14equal_to_valueIxEEEEEEE10hipError_tPvRmT3_T4_T5_T6_T7_T9_mT8_P12ihipStream_tbDpT10_ENKUlT_T0_E_clISt17integral_constantIbLb0EES17_IbLb1EEEEDaS13_S14_EUlS13_E_NS1_11comp_targetILNS1_3genE0ELNS1_11target_archE4294967295ELNS1_3gpuE0ELNS1_3repE0EEENS1_30default_config_static_selectorELNS0_4arch9wavefront6targetE0EEEvT1_,@function
_ZN7rocprim17ROCPRIM_400000_NS6detail17trampoline_kernelINS0_14default_configENS1_25partition_config_selectorILNS1_17partition_subalgoE6ExNS0_10empty_typeEbEEZZNS1_14partition_implILS5_6ELb0ES3_mN6thrust23THRUST_200600_302600_NS6detail15normal_iteratorINSA_10device_ptrIxEEEEPS6_SG_NS0_5tupleIJSF_S6_EEENSH_IJSG_SG_EEES6_PlJNSB_9not_fun_tINSB_14equal_to_valueIxEEEEEEE10hipError_tPvRmT3_T4_T5_T6_T7_T9_mT8_P12ihipStream_tbDpT10_ENKUlT_T0_E_clISt17integral_constantIbLb0EES17_IbLb1EEEEDaS13_S14_EUlS13_E_NS1_11comp_targetILNS1_3genE0ELNS1_11target_archE4294967295ELNS1_3gpuE0ELNS1_3repE0EEENS1_30default_config_static_selectorELNS0_4arch9wavefront6targetE0EEEvT1_: ; @_ZN7rocprim17ROCPRIM_400000_NS6detail17trampoline_kernelINS0_14default_configENS1_25partition_config_selectorILNS1_17partition_subalgoE6ExNS0_10empty_typeEbEEZZNS1_14partition_implILS5_6ELb0ES3_mN6thrust23THRUST_200600_302600_NS6detail15normal_iteratorINSA_10device_ptrIxEEEEPS6_SG_NS0_5tupleIJSF_S6_EEENSH_IJSG_SG_EEES6_PlJNSB_9not_fun_tINSB_14equal_to_valueIxEEEEEEE10hipError_tPvRmT3_T4_T5_T6_T7_T9_mT8_P12ihipStream_tbDpT10_ENKUlT_T0_E_clISt17integral_constantIbLb0EES17_IbLb1EEEEDaS13_S14_EUlS13_E_NS1_11comp_targetILNS1_3genE0ELNS1_11target_archE4294967295ELNS1_3gpuE0ELNS1_3repE0EEENS1_30default_config_static_selectorELNS0_4arch9wavefront6targetE0EEEvT1_
; %bb.0:
	.section	.rodata,"a",@progbits
	.p2align	6, 0x0
	.amdhsa_kernel _ZN7rocprim17ROCPRIM_400000_NS6detail17trampoline_kernelINS0_14default_configENS1_25partition_config_selectorILNS1_17partition_subalgoE6ExNS0_10empty_typeEbEEZZNS1_14partition_implILS5_6ELb0ES3_mN6thrust23THRUST_200600_302600_NS6detail15normal_iteratorINSA_10device_ptrIxEEEEPS6_SG_NS0_5tupleIJSF_S6_EEENSH_IJSG_SG_EEES6_PlJNSB_9not_fun_tINSB_14equal_to_valueIxEEEEEEE10hipError_tPvRmT3_T4_T5_T6_T7_T9_mT8_P12ihipStream_tbDpT10_ENKUlT_T0_E_clISt17integral_constantIbLb0EES17_IbLb1EEEEDaS13_S14_EUlS13_E_NS1_11comp_targetILNS1_3genE0ELNS1_11target_archE4294967295ELNS1_3gpuE0ELNS1_3repE0EEENS1_30default_config_static_selectorELNS0_4arch9wavefront6targetE0EEEvT1_
		.amdhsa_group_segment_fixed_size 0
		.amdhsa_private_segment_fixed_size 0
		.amdhsa_kernarg_size 128
		.amdhsa_user_sgpr_count 2
		.amdhsa_user_sgpr_dispatch_ptr 0
		.amdhsa_user_sgpr_queue_ptr 0
		.amdhsa_user_sgpr_kernarg_segment_ptr 1
		.amdhsa_user_sgpr_dispatch_id 0
		.amdhsa_user_sgpr_private_segment_size 0
		.amdhsa_wavefront_size32 1
		.amdhsa_uses_dynamic_stack 0
		.amdhsa_enable_private_segment 0
		.amdhsa_system_sgpr_workgroup_id_x 1
		.amdhsa_system_sgpr_workgroup_id_y 0
		.amdhsa_system_sgpr_workgroup_id_z 0
		.amdhsa_system_sgpr_workgroup_info 0
		.amdhsa_system_vgpr_workitem_id 0
		.amdhsa_next_free_vgpr 1
		.amdhsa_next_free_sgpr 1
		.amdhsa_reserve_vcc 0
		.amdhsa_float_round_mode_32 0
		.amdhsa_float_round_mode_16_64 0
		.amdhsa_float_denorm_mode_32 3
		.amdhsa_float_denorm_mode_16_64 3
		.amdhsa_fp16_overflow 0
		.amdhsa_workgroup_processor_mode 1
		.amdhsa_memory_ordered 1
		.amdhsa_forward_progress 1
		.amdhsa_inst_pref_size 0
		.amdhsa_round_robin_scheduling 0
		.amdhsa_exception_fp_ieee_invalid_op 0
		.amdhsa_exception_fp_denorm_src 0
		.amdhsa_exception_fp_ieee_div_zero 0
		.amdhsa_exception_fp_ieee_overflow 0
		.amdhsa_exception_fp_ieee_underflow 0
		.amdhsa_exception_fp_ieee_inexact 0
		.amdhsa_exception_int_div_zero 0
	.end_amdhsa_kernel
	.section	.text._ZN7rocprim17ROCPRIM_400000_NS6detail17trampoline_kernelINS0_14default_configENS1_25partition_config_selectorILNS1_17partition_subalgoE6ExNS0_10empty_typeEbEEZZNS1_14partition_implILS5_6ELb0ES3_mN6thrust23THRUST_200600_302600_NS6detail15normal_iteratorINSA_10device_ptrIxEEEEPS6_SG_NS0_5tupleIJSF_S6_EEENSH_IJSG_SG_EEES6_PlJNSB_9not_fun_tINSB_14equal_to_valueIxEEEEEEE10hipError_tPvRmT3_T4_T5_T6_T7_T9_mT8_P12ihipStream_tbDpT10_ENKUlT_T0_E_clISt17integral_constantIbLb0EES17_IbLb1EEEEDaS13_S14_EUlS13_E_NS1_11comp_targetILNS1_3genE0ELNS1_11target_archE4294967295ELNS1_3gpuE0ELNS1_3repE0EEENS1_30default_config_static_selectorELNS0_4arch9wavefront6targetE0EEEvT1_,"axG",@progbits,_ZN7rocprim17ROCPRIM_400000_NS6detail17trampoline_kernelINS0_14default_configENS1_25partition_config_selectorILNS1_17partition_subalgoE6ExNS0_10empty_typeEbEEZZNS1_14partition_implILS5_6ELb0ES3_mN6thrust23THRUST_200600_302600_NS6detail15normal_iteratorINSA_10device_ptrIxEEEEPS6_SG_NS0_5tupleIJSF_S6_EEENSH_IJSG_SG_EEES6_PlJNSB_9not_fun_tINSB_14equal_to_valueIxEEEEEEE10hipError_tPvRmT3_T4_T5_T6_T7_T9_mT8_P12ihipStream_tbDpT10_ENKUlT_T0_E_clISt17integral_constantIbLb0EES17_IbLb1EEEEDaS13_S14_EUlS13_E_NS1_11comp_targetILNS1_3genE0ELNS1_11target_archE4294967295ELNS1_3gpuE0ELNS1_3repE0EEENS1_30default_config_static_selectorELNS0_4arch9wavefront6targetE0EEEvT1_,comdat
.Lfunc_end461:
	.size	_ZN7rocprim17ROCPRIM_400000_NS6detail17trampoline_kernelINS0_14default_configENS1_25partition_config_selectorILNS1_17partition_subalgoE6ExNS0_10empty_typeEbEEZZNS1_14partition_implILS5_6ELb0ES3_mN6thrust23THRUST_200600_302600_NS6detail15normal_iteratorINSA_10device_ptrIxEEEEPS6_SG_NS0_5tupleIJSF_S6_EEENSH_IJSG_SG_EEES6_PlJNSB_9not_fun_tINSB_14equal_to_valueIxEEEEEEE10hipError_tPvRmT3_T4_T5_T6_T7_T9_mT8_P12ihipStream_tbDpT10_ENKUlT_T0_E_clISt17integral_constantIbLb0EES17_IbLb1EEEEDaS13_S14_EUlS13_E_NS1_11comp_targetILNS1_3genE0ELNS1_11target_archE4294967295ELNS1_3gpuE0ELNS1_3repE0EEENS1_30default_config_static_selectorELNS0_4arch9wavefront6targetE0EEEvT1_, .Lfunc_end461-_ZN7rocprim17ROCPRIM_400000_NS6detail17trampoline_kernelINS0_14default_configENS1_25partition_config_selectorILNS1_17partition_subalgoE6ExNS0_10empty_typeEbEEZZNS1_14partition_implILS5_6ELb0ES3_mN6thrust23THRUST_200600_302600_NS6detail15normal_iteratorINSA_10device_ptrIxEEEEPS6_SG_NS0_5tupleIJSF_S6_EEENSH_IJSG_SG_EEES6_PlJNSB_9not_fun_tINSB_14equal_to_valueIxEEEEEEE10hipError_tPvRmT3_T4_T5_T6_T7_T9_mT8_P12ihipStream_tbDpT10_ENKUlT_T0_E_clISt17integral_constantIbLb0EES17_IbLb1EEEEDaS13_S14_EUlS13_E_NS1_11comp_targetILNS1_3genE0ELNS1_11target_archE4294967295ELNS1_3gpuE0ELNS1_3repE0EEENS1_30default_config_static_selectorELNS0_4arch9wavefront6targetE0EEEvT1_
                                        ; -- End function
	.set _ZN7rocprim17ROCPRIM_400000_NS6detail17trampoline_kernelINS0_14default_configENS1_25partition_config_selectorILNS1_17partition_subalgoE6ExNS0_10empty_typeEbEEZZNS1_14partition_implILS5_6ELb0ES3_mN6thrust23THRUST_200600_302600_NS6detail15normal_iteratorINSA_10device_ptrIxEEEEPS6_SG_NS0_5tupleIJSF_S6_EEENSH_IJSG_SG_EEES6_PlJNSB_9not_fun_tINSB_14equal_to_valueIxEEEEEEE10hipError_tPvRmT3_T4_T5_T6_T7_T9_mT8_P12ihipStream_tbDpT10_ENKUlT_T0_E_clISt17integral_constantIbLb0EES17_IbLb1EEEEDaS13_S14_EUlS13_E_NS1_11comp_targetILNS1_3genE0ELNS1_11target_archE4294967295ELNS1_3gpuE0ELNS1_3repE0EEENS1_30default_config_static_selectorELNS0_4arch9wavefront6targetE0EEEvT1_.num_vgpr, 0
	.set _ZN7rocprim17ROCPRIM_400000_NS6detail17trampoline_kernelINS0_14default_configENS1_25partition_config_selectorILNS1_17partition_subalgoE6ExNS0_10empty_typeEbEEZZNS1_14partition_implILS5_6ELb0ES3_mN6thrust23THRUST_200600_302600_NS6detail15normal_iteratorINSA_10device_ptrIxEEEEPS6_SG_NS0_5tupleIJSF_S6_EEENSH_IJSG_SG_EEES6_PlJNSB_9not_fun_tINSB_14equal_to_valueIxEEEEEEE10hipError_tPvRmT3_T4_T5_T6_T7_T9_mT8_P12ihipStream_tbDpT10_ENKUlT_T0_E_clISt17integral_constantIbLb0EES17_IbLb1EEEEDaS13_S14_EUlS13_E_NS1_11comp_targetILNS1_3genE0ELNS1_11target_archE4294967295ELNS1_3gpuE0ELNS1_3repE0EEENS1_30default_config_static_selectorELNS0_4arch9wavefront6targetE0EEEvT1_.num_agpr, 0
	.set _ZN7rocprim17ROCPRIM_400000_NS6detail17trampoline_kernelINS0_14default_configENS1_25partition_config_selectorILNS1_17partition_subalgoE6ExNS0_10empty_typeEbEEZZNS1_14partition_implILS5_6ELb0ES3_mN6thrust23THRUST_200600_302600_NS6detail15normal_iteratorINSA_10device_ptrIxEEEEPS6_SG_NS0_5tupleIJSF_S6_EEENSH_IJSG_SG_EEES6_PlJNSB_9not_fun_tINSB_14equal_to_valueIxEEEEEEE10hipError_tPvRmT3_T4_T5_T6_T7_T9_mT8_P12ihipStream_tbDpT10_ENKUlT_T0_E_clISt17integral_constantIbLb0EES17_IbLb1EEEEDaS13_S14_EUlS13_E_NS1_11comp_targetILNS1_3genE0ELNS1_11target_archE4294967295ELNS1_3gpuE0ELNS1_3repE0EEENS1_30default_config_static_selectorELNS0_4arch9wavefront6targetE0EEEvT1_.numbered_sgpr, 0
	.set _ZN7rocprim17ROCPRIM_400000_NS6detail17trampoline_kernelINS0_14default_configENS1_25partition_config_selectorILNS1_17partition_subalgoE6ExNS0_10empty_typeEbEEZZNS1_14partition_implILS5_6ELb0ES3_mN6thrust23THRUST_200600_302600_NS6detail15normal_iteratorINSA_10device_ptrIxEEEEPS6_SG_NS0_5tupleIJSF_S6_EEENSH_IJSG_SG_EEES6_PlJNSB_9not_fun_tINSB_14equal_to_valueIxEEEEEEE10hipError_tPvRmT3_T4_T5_T6_T7_T9_mT8_P12ihipStream_tbDpT10_ENKUlT_T0_E_clISt17integral_constantIbLb0EES17_IbLb1EEEEDaS13_S14_EUlS13_E_NS1_11comp_targetILNS1_3genE0ELNS1_11target_archE4294967295ELNS1_3gpuE0ELNS1_3repE0EEENS1_30default_config_static_selectorELNS0_4arch9wavefront6targetE0EEEvT1_.num_named_barrier, 0
	.set _ZN7rocprim17ROCPRIM_400000_NS6detail17trampoline_kernelINS0_14default_configENS1_25partition_config_selectorILNS1_17partition_subalgoE6ExNS0_10empty_typeEbEEZZNS1_14partition_implILS5_6ELb0ES3_mN6thrust23THRUST_200600_302600_NS6detail15normal_iteratorINSA_10device_ptrIxEEEEPS6_SG_NS0_5tupleIJSF_S6_EEENSH_IJSG_SG_EEES6_PlJNSB_9not_fun_tINSB_14equal_to_valueIxEEEEEEE10hipError_tPvRmT3_T4_T5_T6_T7_T9_mT8_P12ihipStream_tbDpT10_ENKUlT_T0_E_clISt17integral_constantIbLb0EES17_IbLb1EEEEDaS13_S14_EUlS13_E_NS1_11comp_targetILNS1_3genE0ELNS1_11target_archE4294967295ELNS1_3gpuE0ELNS1_3repE0EEENS1_30default_config_static_selectorELNS0_4arch9wavefront6targetE0EEEvT1_.private_seg_size, 0
	.set _ZN7rocprim17ROCPRIM_400000_NS6detail17trampoline_kernelINS0_14default_configENS1_25partition_config_selectorILNS1_17partition_subalgoE6ExNS0_10empty_typeEbEEZZNS1_14partition_implILS5_6ELb0ES3_mN6thrust23THRUST_200600_302600_NS6detail15normal_iteratorINSA_10device_ptrIxEEEEPS6_SG_NS0_5tupleIJSF_S6_EEENSH_IJSG_SG_EEES6_PlJNSB_9not_fun_tINSB_14equal_to_valueIxEEEEEEE10hipError_tPvRmT3_T4_T5_T6_T7_T9_mT8_P12ihipStream_tbDpT10_ENKUlT_T0_E_clISt17integral_constantIbLb0EES17_IbLb1EEEEDaS13_S14_EUlS13_E_NS1_11comp_targetILNS1_3genE0ELNS1_11target_archE4294967295ELNS1_3gpuE0ELNS1_3repE0EEENS1_30default_config_static_selectorELNS0_4arch9wavefront6targetE0EEEvT1_.uses_vcc, 0
	.set _ZN7rocprim17ROCPRIM_400000_NS6detail17trampoline_kernelINS0_14default_configENS1_25partition_config_selectorILNS1_17partition_subalgoE6ExNS0_10empty_typeEbEEZZNS1_14partition_implILS5_6ELb0ES3_mN6thrust23THRUST_200600_302600_NS6detail15normal_iteratorINSA_10device_ptrIxEEEEPS6_SG_NS0_5tupleIJSF_S6_EEENSH_IJSG_SG_EEES6_PlJNSB_9not_fun_tINSB_14equal_to_valueIxEEEEEEE10hipError_tPvRmT3_T4_T5_T6_T7_T9_mT8_P12ihipStream_tbDpT10_ENKUlT_T0_E_clISt17integral_constantIbLb0EES17_IbLb1EEEEDaS13_S14_EUlS13_E_NS1_11comp_targetILNS1_3genE0ELNS1_11target_archE4294967295ELNS1_3gpuE0ELNS1_3repE0EEENS1_30default_config_static_selectorELNS0_4arch9wavefront6targetE0EEEvT1_.uses_flat_scratch, 0
	.set _ZN7rocprim17ROCPRIM_400000_NS6detail17trampoline_kernelINS0_14default_configENS1_25partition_config_selectorILNS1_17partition_subalgoE6ExNS0_10empty_typeEbEEZZNS1_14partition_implILS5_6ELb0ES3_mN6thrust23THRUST_200600_302600_NS6detail15normal_iteratorINSA_10device_ptrIxEEEEPS6_SG_NS0_5tupleIJSF_S6_EEENSH_IJSG_SG_EEES6_PlJNSB_9not_fun_tINSB_14equal_to_valueIxEEEEEEE10hipError_tPvRmT3_T4_T5_T6_T7_T9_mT8_P12ihipStream_tbDpT10_ENKUlT_T0_E_clISt17integral_constantIbLb0EES17_IbLb1EEEEDaS13_S14_EUlS13_E_NS1_11comp_targetILNS1_3genE0ELNS1_11target_archE4294967295ELNS1_3gpuE0ELNS1_3repE0EEENS1_30default_config_static_selectorELNS0_4arch9wavefront6targetE0EEEvT1_.has_dyn_sized_stack, 0
	.set _ZN7rocprim17ROCPRIM_400000_NS6detail17trampoline_kernelINS0_14default_configENS1_25partition_config_selectorILNS1_17partition_subalgoE6ExNS0_10empty_typeEbEEZZNS1_14partition_implILS5_6ELb0ES3_mN6thrust23THRUST_200600_302600_NS6detail15normal_iteratorINSA_10device_ptrIxEEEEPS6_SG_NS0_5tupleIJSF_S6_EEENSH_IJSG_SG_EEES6_PlJNSB_9not_fun_tINSB_14equal_to_valueIxEEEEEEE10hipError_tPvRmT3_T4_T5_T6_T7_T9_mT8_P12ihipStream_tbDpT10_ENKUlT_T0_E_clISt17integral_constantIbLb0EES17_IbLb1EEEEDaS13_S14_EUlS13_E_NS1_11comp_targetILNS1_3genE0ELNS1_11target_archE4294967295ELNS1_3gpuE0ELNS1_3repE0EEENS1_30default_config_static_selectorELNS0_4arch9wavefront6targetE0EEEvT1_.has_recursion, 0
	.set _ZN7rocprim17ROCPRIM_400000_NS6detail17trampoline_kernelINS0_14default_configENS1_25partition_config_selectorILNS1_17partition_subalgoE6ExNS0_10empty_typeEbEEZZNS1_14partition_implILS5_6ELb0ES3_mN6thrust23THRUST_200600_302600_NS6detail15normal_iteratorINSA_10device_ptrIxEEEEPS6_SG_NS0_5tupleIJSF_S6_EEENSH_IJSG_SG_EEES6_PlJNSB_9not_fun_tINSB_14equal_to_valueIxEEEEEEE10hipError_tPvRmT3_T4_T5_T6_T7_T9_mT8_P12ihipStream_tbDpT10_ENKUlT_T0_E_clISt17integral_constantIbLb0EES17_IbLb1EEEEDaS13_S14_EUlS13_E_NS1_11comp_targetILNS1_3genE0ELNS1_11target_archE4294967295ELNS1_3gpuE0ELNS1_3repE0EEENS1_30default_config_static_selectorELNS0_4arch9wavefront6targetE0EEEvT1_.has_indirect_call, 0
	.section	.AMDGPU.csdata,"",@progbits
; Kernel info:
; codeLenInByte = 0
; TotalNumSgprs: 0
; NumVgprs: 0
; ScratchSize: 0
; MemoryBound: 0
; FloatMode: 240
; IeeeMode: 1
; LDSByteSize: 0 bytes/workgroup (compile time only)
; SGPRBlocks: 0
; VGPRBlocks: 0
; NumSGPRsForWavesPerEU: 1
; NumVGPRsForWavesPerEU: 1
; Occupancy: 16
; WaveLimiterHint : 0
; COMPUTE_PGM_RSRC2:SCRATCH_EN: 0
; COMPUTE_PGM_RSRC2:USER_SGPR: 2
; COMPUTE_PGM_RSRC2:TRAP_HANDLER: 0
; COMPUTE_PGM_RSRC2:TGID_X_EN: 1
; COMPUTE_PGM_RSRC2:TGID_Y_EN: 0
; COMPUTE_PGM_RSRC2:TGID_Z_EN: 0
; COMPUTE_PGM_RSRC2:TIDIG_COMP_CNT: 0
	.section	.text._ZN7rocprim17ROCPRIM_400000_NS6detail17trampoline_kernelINS0_14default_configENS1_25partition_config_selectorILNS1_17partition_subalgoE6ExNS0_10empty_typeEbEEZZNS1_14partition_implILS5_6ELb0ES3_mN6thrust23THRUST_200600_302600_NS6detail15normal_iteratorINSA_10device_ptrIxEEEEPS6_SG_NS0_5tupleIJSF_S6_EEENSH_IJSG_SG_EEES6_PlJNSB_9not_fun_tINSB_14equal_to_valueIxEEEEEEE10hipError_tPvRmT3_T4_T5_T6_T7_T9_mT8_P12ihipStream_tbDpT10_ENKUlT_T0_E_clISt17integral_constantIbLb0EES17_IbLb1EEEEDaS13_S14_EUlS13_E_NS1_11comp_targetILNS1_3genE5ELNS1_11target_archE942ELNS1_3gpuE9ELNS1_3repE0EEENS1_30default_config_static_selectorELNS0_4arch9wavefront6targetE0EEEvT1_,"axG",@progbits,_ZN7rocprim17ROCPRIM_400000_NS6detail17trampoline_kernelINS0_14default_configENS1_25partition_config_selectorILNS1_17partition_subalgoE6ExNS0_10empty_typeEbEEZZNS1_14partition_implILS5_6ELb0ES3_mN6thrust23THRUST_200600_302600_NS6detail15normal_iteratorINSA_10device_ptrIxEEEEPS6_SG_NS0_5tupleIJSF_S6_EEENSH_IJSG_SG_EEES6_PlJNSB_9not_fun_tINSB_14equal_to_valueIxEEEEEEE10hipError_tPvRmT3_T4_T5_T6_T7_T9_mT8_P12ihipStream_tbDpT10_ENKUlT_T0_E_clISt17integral_constantIbLb0EES17_IbLb1EEEEDaS13_S14_EUlS13_E_NS1_11comp_targetILNS1_3genE5ELNS1_11target_archE942ELNS1_3gpuE9ELNS1_3repE0EEENS1_30default_config_static_selectorELNS0_4arch9wavefront6targetE0EEEvT1_,comdat
	.protected	_ZN7rocprim17ROCPRIM_400000_NS6detail17trampoline_kernelINS0_14default_configENS1_25partition_config_selectorILNS1_17partition_subalgoE6ExNS0_10empty_typeEbEEZZNS1_14partition_implILS5_6ELb0ES3_mN6thrust23THRUST_200600_302600_NS6detail15normal_iteratorINSA_10device_ptrIxEEEEPS6_SG_NS0_5tupleIJSF_S6_EEENSH_IJSG_SG_EEES6_PlJNSB_9not_fun_tINSB_14equal_to_valueIxEEEEEEE10hipError_tPvRmT3_T4_T5_T6_T7_T9_mT8_P12ihipStream_tbDpT10_ENKUlT_T0_E_clISt17integral_constantIbLb0EES17_IbLb1EEEEDaS13_S14_EUlS13_E_NS1_11comp_targetILNS1_3genE5ELNS1_11target_archE942ELNS1_3gpuE9ELNS1_3repE0EEENS1_30default_config_static_selectorELNS0_4arch9wavefront6targetE0EEEvT1_ ; -- Begin function _ZN7rocprim17ROCPRIM_400000_NS6detail17trampoline_kernelINS0_14default_configENS1_25partition_config_selectorILNS1_17partition_subalgoE6ExNS0_10empty_typeEbEEZZNS1_14partition_implILS5_6ELb0ES3_mN6thrust23THRUST_200600_302600_NS6detail15normal_iteratorINSA_10device_ptrIxEEEEPS6_SG_NS0_5tupleIJSF_S6_EEENSH_IJSG_SG_EEES6_PlJNSB_9not_fun_tINSB_14equal_to_valueIxEEEEEEE10hipError_tPvRmT3_T4_T5_T6_T7_T9_mT8_P12ihipStream_tbDpT10_ENKUlT_T0_E_clISt17integral_constantIbLb0EES17_IbLb1EEEEDaS13_S14_EUlS13_E_NS1_11comp_targetILNS1_3genE5ELNS1_11target_archE942ELNS1_3gpuE9ELNS1_3repE0EEENS1_30default_config_static_selectorELNS0_4arch9wavefront6targetE0EEEvT1_
	.globl	_ZN7rocprim17ROCPRIM_400000_NS6detail17trampoline_kernelINS0_14default_configENS1_25partition_config_selectorILNS1_17partition_subalgoE6ExNS0_10empty_typeEbEEZZNS1_14partition_implILS5_6ELb0ES3_mN6thrust23THRUST_200600_302600_NS6detail15normal_iteratorINSA_10device_ptrIxEEEEPS6_SG_NS0_5tupleIJSF_S6_EEENSH_IJSG_SG_EEES6_PlJNSB_9not_fun_tINSB_14equal_to_valueIxEEEEEEE10hipError_tPvRmT3_T4_T5_T6_T7_T9_mT8_P12ihipStream_tbDpT10_ENKUlT_T0_E_clISt17integral_constantIbLb0EES17_IbLb1EEEEDaS13_S14_EUlS13_E_NS1_11comp_targetILNS1_3genE5ELNS1_11target_archE942ELNS1_3gpuE9ELNS1_3repE0EEENS1_30default_config_static_selectorELNS0_4arch9wavefront6targetE0EEEvT1_
	.p2align	8
	.type	_ZN7rocprim17ROCPRIM_400000_NS6detail17trampoline_kernelINS0_14default_configENS1_25partition_config_selectorILNS1_17partition_subalgoE6ExNS0_10empty_typeEbEEZZNS1_14partition_implILS5_6ELb0ES3_mN6thrust23THRUST_200600_302600_NS6detail15normal_iteratorINSA_10device_ptrIxEEEEPS6_SG_NS0_5tupleIJSF_S6_EEENSH_IJSG_SG_EEES6_PlJNSB_9not_fun_tINSB_14equal_to_valueIxEEEEEEE10hipError_tPvRmT3_T4_T5_T6_T7_T9_mT8_P12ihipStream_tbDpT10_ENKUlT_T0_E_clISt17integral_constantIbLb0EES17_IbLb1EEEEDaS13_S14_EUlS13_E_NS1_11comp_targetILNS1_3genE5ELNS1_11target_archE942ELNS1_3gpuE9ELNS1_3repE0EEENS1_30default_config_static_selectorELNS0_4arch9wavefront6targetE0EEEvT1_,@function
_ZN7rocprim17ROCPRIM_400000_NS6detail17trampoline_kernelINS0_14default_configENS1_25partition_config_selectorILNS1_17partition_subalgoE6ExNS0_10empty_typeEbEEZZNS1_14partition_implILS5_6ELb0ES3_mN6thrust23THRUST_200600_302600_NS6detail15normal_iteratorINSA_10device_ptrIxEEEEPS6_SG_NS0_5tupleIJSF_S6_EEENSH_IJSG_SG_EEES6_PlJNSB_9not_fun_tINSB_14equal_to_valueIxEEEEEEE10hipError_tPvRmT3_T4_T5_T6_T7_T9_mT8_P12ihipStream_tbDpT10_ENKUlT_T0_E_clISt17integral_constantIbLb0EES17_IbLb1EEEEDaS13_S14_EUlS13_E_NS1_11comp_targetILNS1_3genE5ELNS1_11target_archE942ELNS1_3gpuE9ELNS1_3repE0EEENS1_30default_config_static_selectorELNS0_4arch9wavefront6targetE0EEEvT1_: ; @_ZN7rocprim17ROCPRIM_400000_NS6detail17trampoline_kernelINS0_14default_configENS1_25partition_config_selectorILNS1_17partition_subalgoE6ExNS0_10empty_typeEbEEZZNS1_14partition_implILS5_6ELb0ES3_mN6thrust23THRUST_200600_302600_NS6detail15normal_iteratorINSA_10device_ptrIxEEEEPS6_SG_NS0_5tupleIJSF_S6_EEENSH_IJSG_SG_EEES6_PlJNSB_9not_fun_tINSB_14equal_to_valueIxEEEEEEE10hipError_tPvRmT3_T4_T5_T6_T7_T9_mT8_P12ihipStream_tbDpT10_ENKUlT_T0_E_clISt17integral_constantIbLb0EES17_IbLb1EEEEDaS13_S14_EUlS13_E_NS1_11comp_targetILNS1_3genE5ELNS1_11target_archE942ELNS1_3gpuE9ELNS1_3repE0EEENS1_30default_config_static_selectorELNS0_4arch9wavefront6targetE0EEEvT1_
; %bb.0:
	.section	.rodata,"a",@progbits
	.p2align	6, 0x0
	.amdhsa_kernel _ZN7rocprim17ROCPRIM_400000_NS6detail17trampoline_kernelINS0_14default_configENS1_25partition_config_selectorILNS1_17partition_subalgoE6ExNS0_10empty_typeEbEEZZNS1_14partition_implILS5_6ELb0ES3_mN6thrust23THRUST_200600_302600_NS6detail15normal_iteratorINSA_10device_ptrIxEEEEPS6_SG_NS0_5tupleIJSF_S6_EEENSH_IJSG_SG_EEES6_PlJNSB_9not_fun_tINSB_14equal_to_valueIxEEEEEEE10hipError_tPvRmT3_T4_T5_T6_T7_T9_mT8_P12ihipStream_tbDpT10_ENKUlT_T0_E_clISt17integral_constantIbLb0EES17_IbLb1EEEEDaS13_S14_EUlS13_E_NS1_11comp_targetILNS1_3genE5ELNS1_11target_archE942ELNS1_3gpuE9ELNS1_3repE0EEENS1_30default_config_static_selectorELNS0_4arch9wavefront6targetE0EEEvT1_
		.amdhsa_group_segment_fixed_size 0
		.amdhsa_private_segment_fixed_size 0
		.amdhsa_kernarg_size 128
		.amdhsa_user_sgpr_count 2
		.amdhsa_user_sgpr_dispatch_ptr 0
		.amdhsa_user_sgpr_queue_ptr 0
		.amdhsa_user_sgpr_kernarg_segment_ptr 1
		.amdhsa_user_sgpr_dispatch_id 0
		.amdhsa_user_sgpr_private_segment_size 0
		.amdhsa_wavefront_size32 1
		.amdhsa_uses_dynamic_stack 0
		.amdhsa_enable_private_segment 0
		.amdhsa_system_sgpr_workgroup_id_x 1
		.amdhsa_system_sgpr_workgroup_id_y 0
		.amdhsa_system_sgpr_workgroup_id_z 0
		.amdhsa_system_sgpr_workgroup_info 0
		.amdhsa_system_vgpr_workitem_id 0
		.amdhsa_next_free_vgpr 1
		.amdhsa_next_free_sgpr 1
		.amdhsa_reserve_vcc 0
		.amdhsa_float_round_mode_32 0
		.amdhsa_float_round_mode_16_64 0
		.amdhsa_float_denorm_mode_32 3
		.amdhsa_float_denorm_mode_16_64 3
		.amdhsa_fp16_overflow 0
		.amdhsa_workgroup_processor_mode 1
		.amdhsa_memory_ordered 1
		.amdhsa_forward_progress 1
		.amdhsa_inst_pref_size 0
		.amdhsa_round_robin_scheduling 0
		.amdhsa_exception_fp_ieee_invalid_op 0
		.amdhsa_exception_fp_denorm_src 0
		.amdhsa_exception_fp_ieee_div_zero 0
		.amdhsa_exception_fp_ieee_overflow 0
		.amdhsa_exception_fp_ieee_underflow 0
		.amdhsa_exception_fp_ieee_inexact 0
		.amdhsa_exception_int_div_zero 0
	.end_amdhsa_kernel
	.section	.text._ZN7rocprim17ROCPRIM_400000_NS6detail17trampoline_kernelINS0_14default_configENS1_25partition_config_selectorILNS1_17partition_subalgoE6ExNS0_10empty_typeEbEEZZNS1_14partition_implILS5_6ELb0ES3_mN6thrust23THRUST_200600_302600_NS6detail15normal_iteratorINSA_10device_ptrIxEEEEPS6_SG_NS0_5tupleIJSF_S6_EEENSH_IJSG_SG_EEES6_PlJNSB_9not_fun_tINSB_14equal_to_valueIxEEEEEEE10hipError_tPvRmT3_T4_T5_T6_T7_T9_mT8_P12ihipStream_tbDpT10_ENKUlT_T0_E_clISt17integral_constantIbLb0EES17_IbLb1EEEEDaS13_S14_EUlS13_E_NS1_11comp_targetILNS1_3genE5ELNS1_11target_archE942ELNS1_3gpuE9ELNS1_3repE0EEENS1_30default_config_static_selectorELNS0_4arch9wavefront6targetE0EEEvT1_,"axG",@progbits,_ZN7rocprim17ROCPRIM_400000_NS6detail17trampoline_kernelINS0_14default_configENS1_25partition_config_selectorILNS1_17partition_subalgoE6ExNS0_10empty_typeEbEEZZNS1_14partition_implILS5_6ELb0ES3_mN6thrust23THRUST_200600_302600_NS6detail15normal_iteratorINSA_10device_ptrIxEEEEPS6_SG_NS0_5tupleIJSF_S6_EEENSH_IJSG_SG_EEES6_PlJNSB_9not_fun_tINSB_14equal_to_valueIxEEEEEEE10hipError_tPvRmT3_T4_T5_T6_T7_T9_mT8_P12ihipStream_tbDpT10_ENKUlT_T0_E_clISt17integral_constantIbLb0EES17_IbLb1EEEEDaS13_S14_EUlS13_E_NS1_11comp_targetILNS1_3genE5ELNS1_11target_archE942ELNS1_3gpuE9ELNS1_3repE0EEENS1_30default_config_static_selectorELNS0_4arch9wavefront6targetE0EEEvT1_,comdat
.Lfunc_end462:
	.size	_ZN7rocprim17ROCPRIM_400000_NS6detail17trampoline_kernelINS0_14default_configENS1_25partition_config_selectorILNS1_17partition_subalgoE6ExNS0_10empty_typeEbEEZZNS1_14partition_implILS5_6ELb0ES3_mN6thrust23THRUST_200600_302600_NS6detail15normal_iteratorINSA_10device_ptrIxEEEEPS6_SG_NS0_5tupleIJSF_S6_EEENSH_IJSG_SG_EEES6_PlJNSB_9not_fun_tINSB_14equal_to_valueIxEEEEEEE10hipError_tPvRmT3_T4_T5_T6_T7_T9_mT8_P12ihipStream_tbDpT10_ENKUlT_T0_E_clISt17integral_constantIbLb0EES17_IbLb1EEEEDaS13_S14_EUlS13_E_NS1_11comp_targetILNS1_3genE5ELNS1_11target_archE942ELNS1_3gpuE9ELNS1_3repE0EEENS1_30default_config_static_selectorELNS0_4arch9wavefront6targetE0EEEvT1_, .Lfunc_end462-_ZN7rocprim17ROCPRIM_400000_NS6detail17trampoline_kernelINS0_14default_configENS1_25partition_config_selectorILNS1_17partition_subalgoE6ExNS0_10empty_typeEbEEZZNS1_14partition_implILS5_6ELb0ES3_mN6thrust23THRUST_200600_302600_NS6detail15normal_iteratorINSA_10device_ptrIxEEEEPS6_SG_NS0_5tupleIJSF_S6_EEENSH_IJSG_SG_EEES6_PlJNSB_9not_fun_tINSB_14equal_to_valueIxEEEEEEE10hipError_tPvRmT3_T4_T5_T6_T7_T9_mT8_P12ihipStream_tbDpT10_ENKUlT_T0_E_clISt17integral_constantIbLb0EES17_IbLb1EEEEDaS13_S14_EUlS13_E_NS1_11comp_targetILNS1_3genE5ELNS1_11target_archE942ELNS1_3gpuE9ELNS1_3repE0EEENS1_30default_config_static_selectorELNS0_4arch9wavefront6targetE0EEEvT1_
                                        ; -- End function
	.set _ZN7rocprim17ROCPRIM_400000_NS6detail17trampoline_kernelINS0_14default_configENS1_25partition_config_selectorILNS1_17partition_subalgoE6ExNS0_10empty_typeEbEEZZNS1_14partition_implILS5_6ELb0ES3_mN6thrust23THRUST_200600_302600_NS6detail15normal_iteratorINSA_10device_ptrIxEEEEPS6_SG_NS0_5tupleIJSF_S6_EEENSH_IJSG_SG_EEES6_PlJNSB_9not_fun_tINSB_14equal_to_valueIxEEEEEEE10hipError_tPvRmT3_T4_T5_T6_T7_T9_mT8_P12ihipStream_tbDpT10_ENKUlT_T0_E_clISt17integral_constantIbLb0EES17_IbLb1EEEEDaS13_S14_EUlS13_E_NS1_11comp_targetILNS1_3genE5ELNS1_11target_archE942ELNS1_3gpuE9ELNS1_3repE0EEENS1_30default_config_static_selectorELNS0_4arch9wavefront6targetE0EEEvT1_.num_vgpr, 0
	.set _ZN7rocprim17ROCPRIM_400000_NS6detail17trampoline_kernelINS0_14default_configENS1_25partition_config_selectorILNS1_17partition_subalgoE6ExNS0_10empty_typeEbEEZZNS1_14partition_implILS5_6ELb0ES3_mN6thrust23THRUST_200600_302600_NS6detail15normal_iteratorINSA_10device_ptrIxEEEEPS6_SG_NS0_5tupleIJSF_S6_EEENSH_IJSG_SG_EEES6_PlJNSB_9not_fun_tINSB_14equal_to_valueIxEEEEEEE10hipError_tPvRmT3_T4_T5_T6_T7_T9_mT8_P12ihipStream_tbDpT10_ENKUlT_T0_E_clISt17integral_constantIbLb0EES17_IbLb1EEEEDaS13_S14_EUlS13_E_NS1_11comp_targetILNS1_3genE5ELNS1_11target_archE942ELNS1_3gpuE9ELNS1_3repE0EEENS1_30default_config_static_selectorELNS0_4arch9wavefront6targetE0EEEvT1_.num_agpr, 0
	.set _ZN7rocprim17ROCPRIM_400000_NS6detail17trampoline_kernelINS0_14default_configENS1_25partition_config_selectorILNS1_17partition_subalgoE6ExNS0_10empty_typeEbEEZZNS1_14partition_implILS5_6ELb0ES3_mN6thrust23THRUST_200600_302600_NS6detail15normal_iteratorINSA_10device_ptrIxEEEEPS6_SG_NS0_5tupleIJSF_S6_EEENSH_IJSG_SG_EEES6_PlJNSB_9not_fun_tINSB_14equal_to_valueIxEEEEEEE10hipError_tPvRmT3_T4_T5_T6_T7_T9_mT8_P12ihipStream_tbDpT10_ENKUlT_T0_E_clISt17integral_constantIbLb0EES17_IbLb1EEEEDaS13_S14_EUlS13_E_NS1_11comp_targetILNS1_3genE5ELNS1_11target_archE942ELNS1_3gpuE9ELNS1_3repE0EEENS1_30default_config_static_selectorELNS0_4arch9wavefront6targetE0EEEvT1_.numbered_sgpr, 0
	.set _ZN7rocprim17ROCPRIM_400000_NS6detail17trampoline_kernelINS0_14default_configENS1_25partition_config_selectorILNS1_17partition_subalgoE6ExNS0_10empty_typeEbEEZZNS1_14partition_implILS5_6ELb0ES3_mN6thrust23THRUST_200600_302600_NS6detail15normal_iteratorINSA_10device_ptrIxEEEEPS6_SG_NS0_5tupleIJSF_S6_EEENSH_IJSG_SG_EEES6_PlJNSB_9not_fun_tINSB_14equal_to_valueIxEEEEEEE10hipError_tPvRmT3_T4_T5_T6_T7_T9_mT8_P12ihipStream_tbDpT10_ENKUlT_T0_E_clISt17integral_constantIbLb0EES17_IbLb1EEEEDaS13_S14_EUlS13_E_NS1_11comp_targetILNS1_3genE5ELNS1_11target_archE942ELNS1_3gpuE9ELNS1_3repE0EEENS1_30default_config_static_selectorELNS0_4arch9wavefront6targetE0EEEvT1_.num_named_barrier, 0
	.set _ZN7rocprim17ROCPRIM_400000_NS6detail17trampoline_kernelINS0_14default_configENS1_25partition_config_selectorILNS1_17partition_subalgoE6ExNS0_10empty_typeEbEEZZNS1_14partition_implILS5_6ELb0ES3_mN6thrust23THRUST_200600_302600_NS6detail15normal_iteratorINSA_10device_ptrIxEEEEPS6_SG_NS0_5tupleIJSF_S6_EEENSH_IJSG_SG_EEES6_PlJNSB_9not_fun_tINSB_14equal_to_valueIxEEEEEEE10hipError_tPvRmT3_T4_T5_T6_T7_T9_mT8_P12ihipStream_tbDpT10_ENKUlT_T0_E_clISt17integral_constantIbLb0EES17_IbLb1EEEEDaS13_S14_EUlS13_E_NS1_11comp_targetILNS1_3genE5ELNS1_11target_archE942ELNS1_3gpuE9ELNS1_3repE0EEENS1_30default_config_static_selectorELNS0_4arch9wavefront6targetE0EEEvT1_.private_seg_size, 0
	.set _ZN7rocprim17ROCPRIM_400000_NS6detail17trampoline_kernelINS0_14default_configENS1_25partition_config_selectorILNS1_17partition_subalgoE6ExNS0_10empty_typeEbEEZZNS1_14partition_implILS5_6ELb0ES3_mN6thrust23THRUST_200600_302600_NS6detail15normal_iteratorINSA_10device_ptrIxEEEEPS6_SG_NS0_5tupleIJSF_S6_EEENSH_IJSG_SG_EEES6_PlJNSB_9not_fun_tINSB_14equal_to_valueIxEEEEEEE10hipError_tPvRmT3_T4_T5_T6_T7_T9_mT8_P12ihipStream_tbDpT10_ENKUlT_T0_E_clISt17integral_constantIbLb0EES17_IbLb1EEEEDaS13_S14_EUlS13_E_NS1_11comp_targetILNS1_3genE5ELNS1_11target_archE942ELNS1_3gpuE9ELNS1_3repE0EEENS1_30default_config_static_selectorELNS0_4arch9wavefront6targetE0EEEvT1_.uses_vcc, 0
	.set _ZN7rocprim17ROCPRIM_400000_NS6detail17trampoline_kernelINS0_14default_configENS1_25partition_config_selectorILNS1_17partition_subalgoE6ExNS0_10empty_typeEbEEZZNS1_14partition_implILS5_6ELb0ES3_mN6thrust23THRUST_200600_302600_NS6detail15normal_iteratorINSA_10device_ptrIxEEEEPS6_SG_NS0_5tupleIJSF_S6_EEENSH_IJSG_SG_EEES6_PlJNSB_9not_fun_tINSB_14equal_to_valueIxEEEEEEE10hipError_tPvRmT3_T4_T5_T6_T7_T9_mT8_P12ihipStream_tbDpT10_ENKUlT_T0_E_clISt17integral_constantIbLb0EES17_IbLb1EEEEDaS13_S14_EUlS13_E_NS1_11comp_targetILNS1_3genE5ELNS1_11target_archE942ELNS1_3gpuE9ELNS1_3repE0EEENS1_30default_config_static_selectorELNS0_4arch9wavefront6targetE0EEEvT1_.uses_flat_scratch, 0
	.set _ZN7rocprim17ROCPRIM_400000_NS6detail17trampoline_kernelINS0_14default_configENS1_25partition_config_selectorILNS1_17partition_subalgoE6ExNS0_10empty_typeEbEEZZNS1_14partition_implILS5_6ELb0ES3_mN6thrust23THRUST_200600_302600_NS6detail15normal_iteratorINSA_10device_ptrIxEEEEPS6_SG_NS0_5tupleIJSF_S6_EEENSH_IJSG_SG_EEES6_PlJNSB_9not_fun_tINSB_14equal_to_valueIxEEEEEEE10hipError_tPvRmT3_T4_T5_T6_T7_T9_mT8_P12ihipStream_tbDpT10_ENKUlT_T0_E_clISt17integral_constantIbLb0EES17_IbLb1EEEEDaS13_S14_EUlS13_E_NS1_11comp_targetILNS1_3genE5ELNS1_11target_archE942ELNS1_3gpuE9ELNS1_3repE0EEENS1_30default_config_static_selectorELNS0_4arch9wavefront6targetE0EEEvT1_.has_dyn_sized_stack, 0
	.set _ZN7rocprim17ROCPRIM_400000_NS6detail17trampoline_kernelINS0_14default_configENS1_25partition_config_selectorILNS1_17partition_subalgoE6ExNS0_10empty_typeEbEEZZNS1_14partition_implILS5_6ELb0ES3_mN6thrust23THRUST_200600_302600_NS6detail15normal_iteratorINSA_10device_ptrIxEEEEPS6_SG_NS0_5tupleIJSF_S6_EEENSH_IJSG_SG_EEES6_PlJNSB_9not_fun_tINSB_14equal_to_valueIxEEEEEEE10hipError_tPvRmT3_T4_T5_T6_T7_T9_mT8_P12ihipStream_tbDpT10_ENKUlT_T0_E_clISt17integral_constantIbLb0EES17_IbLb1EEEEDaS13_S14_EUlS13_E_NS1_11comp_targetILNS1_3genE5ELNS1_11target_archE942ELNS1_3gpuE9ELNS1_3repE0EEENS1_30default_config_static_selectorELNS0_4arch9wavefront6targetE0EEEvT1_.has_recursion, 0
	.set _ZN7rocprim17ROCPRIM_400000_NS6detail17trampoline_kernelINS0_14default_configENS1_25partition_config_selectorILNS1_17partition_subalgoE6ExNS0_10empty_typeEbEEZZNS1_14partition_implILS5_6ELb0ES3_mN6thrust23THRUST_200600_302600_NS6detail15normal_iteratorINSA_10device_ptrIxEEEEPS6_SG_NS0_5tupleIJSF_S6_EEENSH_IJSG_SG_EEES6_PlJNSB_9not_fun_tINSB_14equal_to_valueIxEEEEEEE10hipError_tPvRmT3_T4_T5_T6_T7_T9_mT8_P12ihipStream_tbDpT10_ENKUlT_T0_E_clISt17integral_constantIbLb0EES17_IbLb1EEEEDaS13_S14_EUlS13_E_NS1_11comp_targetILNS1_3genE5ELNS1_11target_archE942ELNS1_3gpuE9ELNS1_3repE0EEENS1_30default_config_static_selectorELNS0_4arch9wavefront6targetE0EEEvT1_.has_indirect_call, 0
	.section	.AMDGPU.csdata,"",@progbits
; Kernel info:
; codeLenInByte = 0
; TotalNumSgprs: 0
; NumVgprs: 0
; ScratchSize: 0
; MemoryBound: 0
; FloatMode: 240
; IeeeMode: 1
; LDSByteSize: 0 bytes/workgroup (compile time only)
; SGPRBlocks: 0
; VGPRBlocks: 0
; NumSGPRsForWavesPerEU: 1
; NumVGPRsForWavesPerEU: 1
; Occupancy: 16
; WaveLimiterHint : 0
; COMPUTE_PGM_RSRC2:SCRATCH_EN: 0
; COMPUTE_PGM_RSRC2:USER_SGPR: 2
; COMPUTE_PGM_RSRC2:TRAP_HANDLER: 0
; COMPUTE_PGM_RSRC2:TGID_X_EN: 1
; COMPUTE_PGM_RSRC2:TGID_Y_EN: 0
; COMPUTE_PGM_RSRC2:TGID_Z_EN: 0
; COMPUTE_PGM_RSRC2:TIDIG_COMP_CNT: 0
	.section	.text._ZN7rocprim17ROCPRIM_400000_NS6detail17trampoline_kernelINS0_14default_configENS1_25partition_config_selectorILNS1_17partition_subalgoE6ExNS0_10empty_typeEbEEZZNS1_14partition_implILS5_6ELb0ES3_mN6thrust23THRUST_200600_302600_NS6detail15normal_iteratorINSA_10device_ptrIxEEEEPS6_SG_NS0_5tupleIJSF_S6_EEENSH_IJSG_SG_EEES6_PlJNSB_9not_fun_tINSB_14equal_to_valueIxEEEEEEE10hipError_tPvRmT3_T4_T5_T6_T7_T9_mT8_P12ihipStream_tbDpT10_ENKUlT_T0_E_clISt17integral_constantIbLb0EES17_IbLb1EEEEDaS13_S14_EUlS13_E_NS1_11comp_targetILNS1_3genE4ELNS1_11target_archE910ELNS1_3gpuE8ELNS1_3repE0EEENS1_30default_config_static_selectorELNS0_4arch9wavefront6targetE0EEEvT1_,"axG",@progbits,_ZN7rocprim17ROCPRIM_400000_NS6detail17trampoline_kernelINS0_14default_configENS1_25partition_config_selectorILNS1_17partition_subalgoE6ExNS0_10empty_typeEbEEZZNS1_14partition_implILS5_6ELb0ES3_mN6thrust23THRUST_200600_302600_NS6detail15normal_iteratorINSA_10device_ptrIxEEEEPS6_SG_NS0_5tupleIJSF_S6_EEENSH_IJSG_SG_EEES6_PlJNSB_9not_fun_tINSB_14equal_to_valueIxEEEEEEE10hipError_tPvRmT3_T4_T5_T6_T7_T9_mT8_P12ihipStream_tbDpT10_ENKUlT_T0_E_clISt17integral_constantIbLb0EES17_IbLb1EEEEDaS13_S14_EUlS13_E_NS1_11comp_targetILNS1_3genE4ELNS1_11target_archE910ELNS1_3gpuE8ELNS1_3repE0EEENS1_30default_config_static_selectorELNS0_4arch9wavefront6targetE0EEEvT1_,comdat
	.protected	_ZN7rocprim17ROCPRIM_400000_NS6detail17trampoline_kernelINS0_14default_configENS1_25partition_config_selectorILNS1_17partition_subalgoE6ExNS0_10empty_typeEbEEZZNS1_14partition_implILS5_6ELb0ES3_mN6thrust23THRUST_200600_302600_NS6detail15normal_iteratorINSA_10device_ptrIxEEEEPS6_SG_NS0_5tupleIJSF_S6_EEENSH_IJSG_SG_EEES6_PlJNSB_9not_fun_tINSB_14equal_to_valueIxEEEEEEE10hipError_tPvRmT3_T4_T5_T6_T7_T9_mT8_P12ihipStream_tbDpT10_ENKUlT_T0_E_clISt17integral_constantIbLb0EES17_IbLb1EEEEDaS13_S14_EUlS13_E_NS1_11comp_targetILNS1_3genE4ELNS1_11target_archE910ELNS1_3gpuE8ELNS1_3repE0EEENS1_30default_config_static_selectorELNS0_4arch9wavefront6targetE0EEEvT1_ ; -- Begin function _ZN7rocprim17ROCPRIM_400000_NS6detail17trampoline_kernelINS0_14default_configENS1_25partition_config_selectorILNS1_17partition_subalgoE6ExNS0_10empty_typeEbEEZZNS1_14partition_implILS5_6ELb0ES3_mN6thrust23THRUST_200600_302600_NS6detail15normal_iteratorINSA_10device_ptrIxEEEEPS6_SG_NS0_5tupleIJSF_S6_EEENSH_IJSG_SG_EEES6_PlJNSB_9not_fun_tINSB_14equal_to_valueIxEEEEEEE10hipError_tPvRmT3_T4_T5_T6_T7_T9_mT8_P12ihipStream_tbDpT10_ENKUlT_T0_E_clISt17integral_constantIbLb0EES17_IbLb1EEEEDaS13_S14_EUlS13_E_NS1_11comp_targetILNS1_3genE4ELNS1_11target_archE910ELNS1_3gpuE8ELNS1_3repE0EEENS1_30default_config_static_selectorELNS0_4arch9wavefront6targetE0EEEvT1_
	.globl	_ZN7rocprim17ROCPRIM_400000_NS6detail17trampoline_kernelINS0_14default_configENS1_25partition_config_selectorILNS1_17partition_subalgoE6ExNS0_10empty_typeEbEEZZNS1_14partition_implILS5_6ELb0ES3_mN6thrust23THRUST_200600_302600_NS6detail15normal_iteratorINSA_10device_ptrIxEEEEPS6_SG_NS0_5tupleIJSF_S6_EEENSH_IJSG_SG_EEES6_PlJNSB_9not_fun_tINSB_14equal_to_valueIxEEEEEEE10hipError_tPvRmT3_T4_T5_T6_T7_T9_mT8_P12ihipStream_tbDpT10_ENKUlT_T0_E_clISt17integral_constantIbLb0EES17_IbLb1EEEEDaS13_S14_EUlS13_E_NS1_11comp_targetILNS1_3genE4ELNS1_11target_archE910ELNS1_3gpuE8ELNS1_3repE0EEENS1_30default_config_static_selectorELNS0_4arch9wavefront6targetE0EEEvT1_
	.p2align	8
	.type	_ZN7rocprim17ROCPRIM_400000_NS6detail17trampoline_kernelINS0_14default_configENS1_25partition_config_selectorILNS1_17partition_subalgoE6ExNS0_10empty_typeEbEEZZNS1_14partition_implILS5_6ELb0ES3_mN6thrust23THRUST_200600_302600_NS6detail15normal_iteratorINSA_10device_ptrIxEEEEPS6_SG_NS0_5tupleIJSF_S6_EEENSH_IJSG_SG_EEES6_PlJNSB_9not_fun_tINSB_14equal_to_valueIxEEEEEEE10hipError_tPvRmT3_T4_T5_T6_T7_T9_mT8_P12ihipStream_tbDpT10_ENKUlT_T0_E_clISt17integral_constantIbLb0EES17_IbLb1EEEEDaS13_S14_EUlS13_E_NS1_11comp_targetILNS1_3genE4ELNS1_11target_archE910ELNS1_3gpuE8ELNS1_3repE0EEENS1_30default_config_static_selectorELNS0_4arch9wavefront6targetE0EEEvT1_,@function
_ZN7rocprim17ROCPRIM_400000_NS6detail17trampoline_kernelINS0_14default_configENS1_25partition_config_selectorILNS1_17partition_subalgoE6ExNS0_10empty_typeEbEEZZNS1_14partition_implILS5_6ELb0ES3_mN6thrust23THRUST_200600_302600_NS6detail15normal_iteratorINSA_10device_ptrIxEEEEPS6_SG_NS0_5tupleIJSF_S6_EEENSH_IJSG_SG_EEES6_PlJNSB_9not_fun_tINSB_14equal_to_valueIxEEEEEEE10hipError_tPvRmT3_T4_T5_T6_T7_T9_mT8_P12ihipStream_tbDpT10_ENKUlT_T0_E_clISt17integral_constantIbLb0EES17_IbLb1EEEEDaS13_S14_EUlS13_E_NS1_11comp_targetILNS1_3genE4ELNS1_11target_archE910ELNS1_3gpuE8ELNS1_3repE0EEENS1_30default_config_static_selectorELNS0_4arch9wavefront6targetE0EEEvT1_: ; @_ZN7rocprim17ROCPRIM_400000_NS6detail17trampoline_kernelINS0_14default_configENS1_25partition_config_selectorILNS1_17partition_subalgoE6ExNS0_10empty_typeEbEEZZNS1_14partition_implILS5_6ELb0ES3_mN6thrust23THRUST_200600_302600_NS6detail15normal_iteratorINSA_10device_ptrIxEEEEPS6_SG_NS0_5tupleIJSF_S6_EEENSH_IJSG_SG_EEES6_PlJNSB_9not_fun_tINSB_14equal_to_valueIxEEEEEEE10hipError_tPvRmT3_T4_T5_T6_T7_T9_mT8_P12ihipStream_tbDpT10_ENKUlT_T0_E_clISt17integral_constantIbLb0EES17_IbLb1EEEEDaS13_S14_EUlS13_E_NS1_11comp_targetILNS1_3genE4ELNS1_11target_archE910ELNS1_3gpuE8ELNS1_3repE0EEENS1_30default_config_static_selectorELNS0_4arch9wavefront6targetE0EEEvT1_
; %bb.0:
	.section	.rodata,"a",@progbits
	.p2align	6, 0x0
	.amdhsa_kernel _ZN7rocprim17ROCPRIM_400000_NS6detail17trampoline_kernelINS0_14default_configENS1_25partition_config_selectorILNS1_17partition_subalgoE6ExNS0_10empty_typeEbEEZZNS1_14partition_implILS5_6ELb0ES3_mN6thrust23THRUST_200600_302600_NS6detail15normal_iteratorINSA_10device_ptrIxEEEEPS6_SG_NS0_5tupleIJSF_S6_EEENSH_IJSG_SG_EEES6_PlJNSB_9not_fun_tINSB_14equal_to_valueIxEEEEEEE10hipError_tPvRmT3_T4_T5_T6_T7_T9_mT8_P12ihipStream_tbDpT10_ENKUlT_T0_E_clISt17integral_constantIbLb0EES17_IbLb1EEEEDaS13_S14_EUlS13_E_NS1_11comp_targetILNS1_3genE4ELNS1_11target_archE910ELNS1_3gpuE8ELNS1_3repE0EEENS1_30default_config_static_selectorELNS0_4arch9wavefront6targetE0EEEvT1_
		.amdhsa_group_segment_fixed_size 0
		.amdhsa_private_segment_fixed_size 0
		.amdhsa_kernarg_size 128
		.amdhsa_user_sgpr_count 2
		.amdhsa_user_sgpr_dispatch_ptr 0
		.amdhsa_user_sgpr_queue_ptr 0
		.amdhsa_user_sgpr_kernarg_segment_ptr 1
		.amdhsa_user_sgpr_dispatch_id 0
		.amdhsa_user_sgpr_private_segment_size 0
		.amdhsa_wavefront_size32 1
		.amdhsa_uses_dynamic_stack 0
		.amdhsa_enable_private_segment 0
		.amdhsa_system_sgpr_workgroup_id_x 1
		.amdhsa_system_sgpr_workgroup_id_y 0
		.amdhsa_system_sgpr_workgroup_id_z 0
		.amdhsa_system_sgpr_workgroup_info 0
		.amdhsa_system_vgpr_workitem_id 0
		.amdhsa_next_free_vgpr 1
		.amdhsa_next_free_sgpr 1
		.amdhsa_reserve_vcc 0
		.amdhsa_float_round_mode_32 0
		.amdhsa_float_round_mode_16_64 0
		.amdhsa_float_denorm_mode_32 3
		.amdhsa_float_denorm_mode_16_64 3
		.amdhsa_fp16_overflow 0
		.amdhsa_workgroup_processor_mode 1
		.amdhsa_memory_ordered 1
		.amdhsa_forward_progress 1
		.amdhsa_inst_pref_size 0
		.amdhsa_round_robin_scheduling 0
		.amdhsa_exception_fp_ieee_invalid_op 0
		.amdhsa_exception_fp_denorm_src 0
		.amdhsa_exception_fp_ieee_div_zero 0
		.amdhsa_exception_fp_ieee_overflow 0
		.amdhsa_exception_fp_ieee_underflow 0
		.amdhsa_exception_fp_ieee_inexact 0
		.amdhsa_exception_int_div_zero 0
	.end_amdhsa_kernel
	.section	.text._ZN7rocprim17ROCPRIM_400000_NS6detail17trampoline_kernelINS0_14default_configENS1_25partition_config_selectorILNS1_17partition_subalgoE6ExNS0_10empty_typeEbEEZZNS1_14partition_implILS5_6ELb0ES3_mN6thrust23THRUST_200600_302600_NS6detail15normal_iteratorINSA_10device_ptrIxEEEEPS6_SG_NS0_5tupleIJSF_S6_EEENSH_IJSG_SG_EEES6_PlJNSB_9not_fun_tINSB_14equal_to_valueIxEEEEEEE10hipError_tPvRmT3_T4_T5_T6_T7_T9_mT8_P12ihipStream_tbDpT10_ENKUlT_T0_E_clISt17integral_constantIbLb0EES17_IbLb1EEEEDaS13_S14_EUlS13_E_NS1_11comp_targetILNS1_3genE4ELNS1_11target_archE910ELNS1_3gpuE8ELNS1_3repE0EEENS1_30default_config_static_selectorELNS0_4arch9wavefront6targetE0EEEvT1_,"axG",@progbits,_ZN7rocprim17ROCPRIM_400000_NS6detail17trampoline_kernelINS0_14default_configENS1_25partition_config_selectorILNS1_17partition_subalgoE6ExNS0_10empty_typeEbEEZZNS1_14partition_implILS5_6ELb0ES3_mN6thrust23THRUST_200600_302600_NS6detail15normal_iteratorINSA_10device_ptrIxEEEEPS6_SG_NS0_5tupleIJSF_S6_EEENSH_IJSG_SG_EEES6_PlJNSB_9not_fun_tINSB_14equal_to_valueIxEEEEEEE10hipError_tPvRmT3_T4_T5_T6_T7_T9_mT8_P12ihipStream_tbDpT10_ENKUlT_T0_E_clISt17integral_constantIbLb0EES17_IbLb1EEEEDaS13_S14_EUlS13_E_NS1_11comp_targetILNS1_3genE4ELNS1_11target_archE910ELNS1_3gpuE8ELNS1_3repE0EEENS1_30default_config_static_selectorELNS0_4arch9wavefront6targetE0EEEvT1_,comdat
.Lfunc_end463:
	.size	_ZN7rocprim17ROCPRIM_400000_NS6detail17trampoline_kernelINS0_14default_configENS1_25partition_config_selectorILNS1_17partition_subalgoE6ExNS0_10empty_typeEbEEZZNS1_14partition_implILS5_6ELb0ES3_mN6thrust23THRUST_200600_302600_NS6detail15normal_iteratorINSA_10device_ptrIxEEEEPS6_SG_NS0_5tupleIJSF_S6_EEENSH_IJSG_SG_EEES6_PlJNSB_9not_fun_tINSB_14equal_to_valueIxEEEEEEE10hipError_tPvRmT3_T4_T5_T6_T7_T9_mT8_P12ihipStream_tbDpT10_ENKUlT_T0_E_clISt17integral_constantIbLb0EES17_IbLb1EEEEDaS13_S14_EUlS13_E_NS1_11comp_targetILNS1_3genE4ELNS1_11target_archE910ELNS1_3gpuE8ELNS1_3repE0EEENS1_30default_config_static_selectorELNS0_4arch9wavefront6targetE0EEEvT1_, .Lfunc_end463-_ZN7rocprim17ROCPRIM_400000_NS6detail17trampoline_kernelINS0_14default_configENS1_25partition_config_selectorILNS1_17partition_subalgoE6ExNS0_10empty_typeEbEEZZNS1_14partition_implILS5_6ELb0ES3_mN6thrust23THRUST_200600_302600_NS6detail15normal_iteratorINSA_10device_ptrIxEEEEPS6_SG_NS0_5tupleIJSF_S6_EEENSH_IJSG_SG_EEES6_PlJNSB_9not_fun_tINSB_14equal_to_valueIxEEEEEEE10hipError_tPvRmT3_T4_T5_T6_T7_T9_mT8_P12ihipStream_tbDpT10_ENKUlT_T0_E_clISt17integral_constantIbLb0EES17_IbLb1EEEEDaS13_S14_EUlS13_E_NS1_11comp_targetILNS1_3genE4ELNS1_11target_archE910ELNS1_3gpuE8ELNS1_3repE0EEENS1_30default_config_static_selectorELNS0_4arch9wavefront6targetE0EEEvT1_
                                        ; -- End function
	.set _ZN7rocprim17ROCPRIM_400000_NS6detail17trampoline_kernelINS0_14default_configENS1_25partition_config_selectorILNS1_17partition_subalgoE6ExNS0_10empty_typeEbEEZZNS1_14partition_implILS5_6ELb0ES3_mN6thrust23THRUST_200600_302600_NS6detail15normal_iteratorINSA_10device_ptrIxEEEEPS6_SG_NS0_5tupleIJSF_S6_EEENSH_IJSG_SG_EEES6_PlJNSB_9not_fun_tINSB_14equal_to_valueIxEEEEEEE10hipError_tPvRmT3_T4_T5_T6_T7_T9_mT8_P12ihipStream_tbDpT10_ENKUlT_T0_E_clISt17integral_constantIbLb0EES17_IbLb1EEEEDaS13_S14_EUlS13_E_NS1_11comp_targetILNS1_3genE4ELNS1_11target_archE910ELNS1_3gpuE8ELNS1_3repE0EEENS1_30default_config_static_selectorELNS0_4arch9wavefront6targetE0EEEvT1_.num_vgpr, 0
	.set _ZN7rocprim17ROCPRIM_400000_NS6detail17trampoline_kernelINS0_14default_configENS1_25partition_config_selectorILNS1_17partition_subalgoE6ExNS0_10empty_typeEbEEZZNS1_14partition_implILS5_6ELb0ES3_mN6thrust23THRUST_200600_302600_NS6detail15normal_iteratorINSA_10device_ptrIxEEEEPS6_SG_NS0_5tupleIJSF_S6_EEENSH_IJSG_SG_EEES6_PlJNSB_9not_fun_tINSB_14equal_to_valueIxEEEEEEE10hipError_tPvRmT3_T4_T5_T6_T7_T9_mT8_P12ihipStream_tbDpT10_ENKUlT_T0_E_clISt17integral_constantIbLb0EES17_IbLb1EEEEDaS13_S14_EUlS13_E_NS1_11comp_targetILNS1_3genE4ELNS1_11target_archE910ELNS1_3gpuE8ELNS1_3repE0EEENS1_30default_config_static_selectorELNS0_4arch9wavefront6targetE0EEEvT1_.num_agpr, 0
	.set _ZN7rocprim17ROCPRIM_400000_NS6detail17trampoline_kernelINS0_14default_configENS1_25partition_config_selectorILNS1_17partition_subalgoE6ExNS0_10empty_typeEbEEZZNS1_14partition_implILS5_6ELb0ES3_mN6thrust23THRUST_200600_302600_NS6detail15normal_iteratorINSA_10device_ptrIxEEEEPS6_SG_NS0_5tupleIJSF_S6_EEENSH_IJSG_SG_EEES6_PlJNSB_9not_fun_tINSB_14equal_to_valueIxEEEEEEE10hipError_tPvRmT3_T4_T5_T6_T7_T9_mT8_P12ihipStream_tbDpT10_ENKUlT_T0_E_clISt17integral_constantIbLb0EES17_IbLb1EEEEDaS13_S14_EUlS13_E_NS1_11comp_targetILNS1_3genE4ELNS1_11target_archE910ELNS1_3gpuE8ELNS1_3repE0EEENS1_30default_config_static_selectorELNS0_4arch9wavefront6targetE0EEEvT1_.numbered_sgpr, 0
	.set _ZN7rocprim17ROCPRIM_400000_NS6detail17trampoline_kernelINS0_14default_configENS1_25partition_config_selectorILNS1_17partition_subalgoE6ExNS0_10empty_typeEbEEZZNS1_14partition_implILS5_6ELb0ES3_mN6thrust23THRUST_200600_302600_NS6detail15normal_iteratorINSA_10device_ptrIxEEEEPS6_SG_NS0_5tupleIJSF_S6_EEENSH_IJSG_SG_EEES6_PlJNSB_9not_fun_tINSB_14equal_to_valueIxEEEEEEE10hipError_tPvRmT3_T4_T5_T6_T7_T9_mT8_P12ihipStream_tbDpT10_ENKUlT_T0_E_clISt17integral_constantIbLb0EES17_IbLb1EEEEDaS13_S14_EUlS13_E_NS1_11comp_targetILNS1_3genE4ELNS1_11target_archE910ELNS1_3gpuE8ELNS1_3repE0EEENS1_30default_config_static_selectorELNS0_4arch9wavefront6targetE0EEEvT1_.num_named_barrier, 0
	.set _ZN7rocprim17ROCPRIM_400000_NS6detail17trampoline_kernelINS0_14default_configENS1_25partition_config_selectorILNS1_17partition_subalgoE6ExNS0_10empty_typeEbEEZZNS1_14partition_implILS5_6ELb0ES3_mN6thrust23THRUST_200600_302600_NS6detail15normal_iteratorINSA_10device_ptrIxEEEEPS6_SG_NS0_5tupleIJSF_S6_EEENSH_IJSG_SG_EEES6_PlJNSB_9not_fun_tINSB_14equal_to_valueIxEEEEEEE10hipError_tPvRmT3_T4_T5_T6_T7_T9_mT8_P12ihipStream_tbDpT10_ENKUlT_T0_E_clISt17integral_constantIbLb0EES17_IbLb1EEEEDaS13_S14_EUlS13_E_NS1_11comp_targetILNS1_3genE4ELNS1_11target_archE910ELNS1_3gpuE8ELNS1_3repE0EEENS1_30default_config_static_selectorELNS0_4arch9wavefront6targetE0EEEvT1_.private_seg_size, 0
	.set _ZN7rocprim17ROCPRIM_400000_NS6detail17trampoline_kernelINS0_14default_configENS1_25partition_config_selectorILNS1_17partition_subalgoE6ExNS0_10empty_typeEbEEZZNS1_14partition_implILS5_6ELb0ES3_mN6thrust23THRUST_200600_302600_NS6detail15normal_iteratorINSA_10device_ptrIxEEEEPS6_SG_NS0_5tupleIJSF_S6_EEENSH_IJSG_SG_EEES6_PlJNSB_9not_fun_tINSB_14equal_to_valueIxEEEEEEE10hipError_tPvRmT3_T4_T5_T6_T7_T9_mT8_P12ihipStream_tbDpT10_ENKUlT_T0_E_clISt17integral_constantIbLb0EES17_IbLb1EEEEDaS13_S14_EUlS13_E_NS1_11comp_targetILNS1_3genE4ELNS1_11target_archE910ELNS1_3gpuE8ELNS1_3repE0EEENS1_30default_config_static_selectorELNS0_4arch9wavefront6targetE0EEEvT1_.uses_vcc, 0
	.set _ZN7rocprim17ROCPRIM_400000_NS6detail17trampoline_kernelINS0_14default_configENS1_25partition_config_selectorILNS1_17partition_subalgoE6ExNS0_10empty_typeEbEEZZNS1_14partition_implILS5_6ELb0ES3_mN6thrust23THRUST_200600_302600_NS6detail15normal_iteratorINSA_10device_ptrIxEEEEPS6_SG_NS0_5tupleIJSF_S6_EEENSH_IJSG_SG_EEES6_PlJNSB_9not_fun_tINSB_14equal_to_valueIxEEEEEEE10hipError_tPvRmT3_T4_T5_T6_T7_T9_mT8_P12ihipStream_tbDpT10_ENKUlT_T0_E_clISt17integral_constantIbLb0EES17_IbLb1EEEEDaS13_S14_EUlS13_E_NS1_11comp_targetILNS1_3genE4ELNS1_11target_archE910ELNS1_3gpuE8ELNS1_3repE0EEENS1_30default_config_static_selectorELNS0_4arch9wavefront6targetE0EEEvT1_.uses_flat_scratch, 0
	.set _ZN7rocprim17ROCPRIM_400000_NS6detail17trampoline_kernelINS0_14default_configENS1_25partition_config_selectorILNS1_17partition_subalgoE6ExNS0_10empty_typeEbEEZZNS1_14partition_implILS5_6ELb0ES3_mN6thrust23THRUST_200600_302600_NS6detail15normal_iteratorINSA_10device_ptrIxEEEEPS6_SG_NS0_5tupleIJSF_S6_EEENSH_IJSG_SG_EEES6_PlJNSB_9not_fun_tINSB_14equal_to_valueIxEEEEEEE10hipError_tPvRmT3_T4_T5_T6_T7_T9_mT8_P12ihipStream_tbDpT10_ENKUlT_T0_E_clISt17integral_constantIbLb0EES17_IbLb1EEEEDaS13_S14_EUlS13_E_NS1_11comp_targetILNS1_3genE4ELNS1_11target_archE910ELNS1_3gpuE8ELNS1_3repE0EEENS1_30default_config_static_selectorELNS0_4arch9wavefront6targetE0EEEvT1_.has_dyn_sized_stack, 0
	.set _ZN7rocprim17ROCPRIM_400000_NS6detail17trampoline_kernelINS0_14default_configENS1_25partition_config_selectorILNS1_17partition_subalgoE6ExNS0_10empty_typeEbEEZZNS1_14partition_implILS5_6ELb0ES3_mN6thrust23THRUST_200600_302600_NS6detail15normal_iteratorINSA_10device_ptrIxEEEEPS6_SG_NS0_5tupleIJSF_S6_EEENSH_IJSG_SG_EEES6_PlJNSB_9not_fun_tINSB_14equal_to_valueIxEEEEEEE10hipError_tPvRmT3_T4_T5_T6_T7_T9_mT8_P12ihipStream_tbDpT10_ENKUlT_T0_E_clISt17integral_constantIbLb0EES17_IbLb1EEEEDaS13_S14_EUlS13_E_NS1_11comp_targetILNS1_3genE4ELNS1_11target_archE910ELNS1_3gpuE8ELNS1_3repE0EEENS1_30default_config_static_selectorELNS0_4arch9wavefront6targetE0EEEvT1_.has_recursion, 0
	.set _ZN7rocprim17ROCPRIM_400000_NS6detail17trampoline_kernelINS0_14default_configENS1_25partition_config_selectorILNS1_17partition_subalgoE6ExNS0_10empty_typeEbEEZZNS1_14partition_implILS5_6ELb0ES3_mN6thrust23THRUST_200600_302600_NS6detail15normal_iteratorINSA_10device_ptrIxEEEEPS6_SG_NS0_5tupleIJSF_S6_EEENSH_IJSG_SG_EEES6_PlJNSB_9not_fun_tINSB_14equal_to_valueIxEEEEEEE10hipError_tPvRmT3_T4_T5_T6_T7_T9_mT8_P12ihipStream_tbDpT10_ENKUlT_T0_E_clISt17integral_constantIbLb0EES17_IbLb1EEEEDaS13_S14_EUlS13_E_NS1_11comp_targetILNS1_3genE4ELNS1_11target_archE910ELNS1_3gpuE8ELNS1_3repE0EEENS1_30default_config_static_selectorELNS0_4arch9wavefront6targetE0EEEvT1_.has_indirect_call, 0
	.section	.AMDGPU.csdata,"",@progbits
; Kernel info:
; codeLenInByte = 0
; TotalNumSgprs: 0
; NumVgprs: 0
; ScratchSize: 0
; MemoryBound: 0
; FloatMode: 240
; IeeeMode: 1
; LDSByteSize: 0 bytes/workgroup (compile time only)
; SGPRBlocks: 0
; VGPRBlocks: 0
; NumSGPRsForWavesPerEU: 1
; NumVGPRsForWavesPerEU: 1
; Occupancy: 16
; WaveLimiterHint : 0
; COMPUTE_PGM_RSRC2:SCRATCH_EN: 0
; COMPUTE_PGM_RSRC2:USER_SGPR: 2
; COMPUTE_PGM_RSRC2:TRAP_HANDLER: 0
; COMPUTE_PGM_RSRC2:TGID_X_EN: 1
; COMPUTE_PGM_RSRC2:TGID_Y_EN: 0
; COMPUTE_PGM_RSRC2:TGID_Z_EN: 0
; COMPUTE_PGM_RSRC2:TIDIG_COMP_CNT: 0
	.section	.text._ZN7rocprim17ROCPRIM_400000_NS6detail17trampoline_kernelINS0_14default_configENS1_25partition_config_selectorILNS1_17partition_subalgoE6ExNS0_10empty_typeEbEEZZNS1_14partition_implILS5_6ELb0ES3_mN6thrust23THRUST_200600_302600_NS6detail15normal_iteratorINSA_10device_ptrIxEEEEPS6_SG_NS0_5tupleIJSF_S6_EEENSH_IJSG_SG_EEES6_PlJNSB_9not_fun_tINSB_14equal_to_valueIxEEEEEEE10hipError_tPvRmT3_T4_T5_T6_T7_T9_mT8_P12ihipStream_tbDpT10_ENKUlT_T0_E_clISt17integral_constantIbLb0EES17_IbLb1EEEEDaS13_S14_EUlS13_E_NS1_11comp_targetILNS1_3genE3ELNS1_11target_archE908ELNS1_3gpuE7ELNS1_3repE0EEENS1_30default_config_static_selectorELNS0_4arch9wavefront6targetE0EEEvT1_,"axG",@progbits,_ZN7rocprim17ROCPRIM_400000_NS6detail17trampoline_kernelINS0_14default_configENS1_25partition_config_selectorILNS1_17partition_subalgoE6ExNS0_10empty_typeEbEEZZNS1_14partition_implILS5_6ELb0ES3_mN6thrust23THRUST_200600_302600_NS6detail15normal_iteratorINSA_10device_ptrIxEEEEPS6_SG_NS0_5tupleIJSF_S6_EEENSH_IJSG_SG_EEES6_PlJNSB_9not_fun_tINSB_14equal_to_valueIxEEEEEEE10hipError_tPvRmT3_T4_T5_T6_T7_T9_mT8_P12ihipStream_tbDpT10_ENKUlT_T0_E_clISt17integral_constantIbLb0EES17_IbLb1EEEEDaS13_S14_EUlS13_E_NS1_11comp_targetILNS1_3genE3ELNS1_11target_archE908ELNS1_3gpuE7ELNS1_3repE0EEENS1_30default_config_static_selectorELNS0_4arch9wavefront6targetE0EEEvT1_,comdat
	.protected	_ZN7rocprim17ROCPRIM_400000_NS6detail17trampoline_kernelINS0_14default_configENS1_25partition_config_selectorILNS1_17partition_subalgoE6ExNS0_10empty_typeEbEEZZNS1_14partition_implILS5_6ELb0ES3_mN6thrust23THRUST_200600_302600_NS6detail15normal_iteratorINSA_10device_ptrIxEEEEPS6_SG_NS0_5tupleIJSF_S6_EEENSH_IJSG_SG_EEES6_PlJNSB_9not_fun_tINSB_14equal_to_valueIxEEEEEEE10hipError_tPvRmT3_T4_T5_T6_T7_T9_mT8_P12ihipStream_tbDpT10_ENKUlT_T0_E_clISt17integral_constantIbLb0EES17_IbLb1EEEEDaS13_S14_EUlS13_E_NS1_11comp_targetILNS1_3genE3ELNS1_11target_archE908ELNS1_3gpuE7ELNS1_3repE0EEENS1_30default_config_static_selectorELNS0_4arch9wavefront6targetE0EEEvT1_ ; -- Begin function _ZN7rocprim17ROCPRIM_400000_NS6detail17trampoline_kernelINS0_14default_configENS1_25partition_config_selectorILNS1_17partition_subalgoE6ExNS0_10empty_typeEbEEZZNS1_14partition_implILS5_6ELb0ES3_mN6thrust23THRUST_200600_302600_NS6detail15normal_iteratorINSA_10device_ptrIxEEEEPS6_SG_NS0_5tupleIJSF_S6_EEENSH_IJSG_SG_EEES6_PlJNSB_9not_fun_tINSB_14equal_to_valueIxEEEEEEE10hipError_tPvRmT3_T4_T5_T6_T7_T9_mT8_P12ihipStream_tbDpT10_ENKUlT_T0_E_clISt17integral_constantIbLb0EES17_IbLb1EEEEDaS13_S14_EUlS13_E_NS1_11comp_targetILNS1_3genE3ELNS1_11target_archE908ELNS1_3gpuE7ELNS1_3repE0EEENS1_30default_config_static_selectorELNS0_4arch9wavefront6targetE0EEEvT1_
	.globl	_ZN7rocprim17ROCPRIM_400000_NS6detail17trampoline_kernelINS0_14default_configENS1_25partition_config_selectorILNS1_17partition_subalgoE6ExNS0_10empty_typeEbEEZZNS1_14partition_implILS5_6ELb0ES3_mN6thrust23THRUST_200600_302600_NS6detail15normal_iteratorINSA_10device_ptrIxEEEEPS6_SG_NS0_5tupleIJSF_S6_EEENSH_IJSG_SG_EEES6_PlJNSB_9not_fun_tINSB_14equal_to_valueIxEEEEEEE10hipError_tPvRmT3_T4_T5_T6_T7_T9_mT8_P12ihipStream_tbDpT10_ENKUlT_T0_E_clISt17integral_constantIbLb0EES17_IbLb1EEEEDaS13_S14_EUlS13_E_NS1_11comp_targetILNS1_3genE3ELNS1_11target_archE908ELNS1_3gpuE7ELNS1_3repE0EEENS1_30default_config_static_selectorELNS0_4arch9wavefront6targetE0EEEvT1_
	.p2align	8
	.type	_ZN7rocprim17ROCPRIM_400000_NS6detail17trampoline_kernelINS0_14default_configENS1_25partition_config_selectorILNS1_17partition_subalgoE6ExNS0_10empty_typeEbEEZZNS1_14partition_implILS5_6ELb0ES3_mN6thrust23THRUST_200600_302600_NS6detail15normal_iteratorINSA_10device_ptrIxEEEEPS6_SG_NS0_5tupleIJSF_S6_EEENSH_IJSG_SG_EEES6_PlJNSB_9not_fun_tINSB_14equal_to_valueIxEEEEEEE10hipError_tPvRmT3_T4_T5_T6_T7_T9_mT8_P12ihipStream_tbDpT10_ENKUlT_T0_E_clISt17integral_constantIbLb0EES17_IbLb1EEEEDaS13_S14_EUlS13_E_NS1_11comp_targetILNS1_3genE3ELNS1_11target_archE908ELNS1_3gpuE7ELNS1_3repE0EEENS1_30default_config_static_selectorELNS0_4arch9wavefront6targetE0EEEvT1_,@function
_ZN7rocprim17ROCPRIM_400000_NS6detail17trampoline_kernelINS0_14default_configENS1_25partition_config_selectorILNS1_17partition_subalgoE6ExNS0_10empty_typeEbEEZZNS1_14partition_implILS5_6ELb0ES3_mN6thrust23THRUST_200600_302600_NS6detail15normal_iteratorINSA_10device_ptrIxEEEEPS6_SG_NS0_5tupleIJSF_S6_EEENSH_IJSG_SG_EEES6_PlJNSB_9not_fun_tINSB_14equal_to_valueIxEEEEEEE10hipError_tPvRmT3_T4_T5_T6_T7_T9_mT8_P12ihipStream_tbDpT10_ENKUlT_T0_E_clISt17integral_constantIbLb0EES17_IbLb1EEEEDaS13_S14_EUlS13_E_NS1_11comp_targetILNS1_3genE3ELNS1_11target_archE908ELNS1_3gpuE7ELNS1_3repE0EEENS1_30default_config_static_selectorELNS0_4arch9wavefront6targetE0EEEvT1_: ; @_ZN7rocprim17ROCPRIM_400000_NS6detail17trampoline_kernelINS0_14default_configENS1_25partition_config_selectorILNS1_17partition_subalgoE6ExNS0_10empty_typeEbEEZZNS1_14partition_implILS5_6ELb0ES3_mN6thrust23THRUST_200600_302600_NS6detail15normal_iteratorINSA_10device_ptrIxEEEEPS6_SG_NS0_5tupleIJSF_S6_EEENSH_IJSG_SG_EEES6_PlJNSB_9not_fun_tINSB_14equal_to_valueIxEEEEEEE10hipError_tPvRmT3_T4_T5_T6_T7_T9_mT8_P12ihipStream_tbDpT10_ENKUlT_T0_E_clISt17integral_constantIbLb0EES17_IbLb1EEEEDaS13_S14_EUlS13_E_NS1_11comp_targetILNS1_3genE3ELNS1_11target_archE908ELNS1_3gpuE7ELNS1_3repE0EEENS1_30default_config_static_selectorELNS0_4arch9wavefront6targetE0EEEvT1_
; %bb.0:
	.section	.rodata,"a",@progbits
	.p2align	6, 0x0
	.amdhsa_kernel _ZN7rocprim17ROCPRIM_400000_NS6detail17trampoline_kernelINS0_14default_configENS1_25partition_config_selectorILNS1_17partition_subalgoE6ExNS0_10empty_typeEbEEZZNS1_14partition_implILS5_6ELb0ES3_mN6thrust23THRUST_200600_302600_NS6detail15normal_iteratorINSA_10device_ptrIxEEEEPS6_SG_NS0_5tupleIJSF_S6_EEENSH_IJSG_SG_EEES6_PlJNSB_9not_fun_tINSB_14equal_to_valueIxEEEEEEE10hipError_tPvRmT3_T4_T5_T6_T7_T9_mT8_P12ihipStream_tbDpT10_ENKUlT_T0_E_clISt17integral_constantIbLb0EES17_IbLb1EEEEDaS13_S14_EUlS13_E_NS1_11comp_targetILNS1_3genE3ELNS1_11target_archE908ELNS1_3gpuE7ELNS1_3repE0EEENS1_30default_config_static_selectorELNS0_4arch9wavefront6targetE0EEEvT1_
		.amdhsa_group_segment_fixed_size 0
		.amdhsa_private_segment_fixed_size 0
		.amdhsa_kernarg_size 128
		.amdhsa_user_sgpr_count 2
		.amdhsa_user_sgpr_dispatch_ptr 0
		.amdhsa_user_sgpr_queue_ptr 0
		.amdhsa_user_sgpr_kernarg_segment_ptr 1
		.amdhsa_user_sgpr_dispatch_id 0
		.amdhsa_user_sgpr_private_segment_size 0
		.amdhsa_wavefront_size32 1
		.amdhsa_uses_dynamic_stack 0
		.amdhsa_enable_private_segment 0
		.amdhsa_system_sgpr_workgroup_id_x 1
		.amdhsa_system_sgpr_workgroup_id_y 0
		.amdhsa_system_sgpr_workgroup_id_z 0
		.amdhsa_system_sgpr_workgroup_info 0
		.amdhsa_system_vgpr_workitem_id 0
		.amdhsa_next_free_vgpr 1
		.amdhsa_next_free_sgpr 1
		.amdhsa_reserve_vcc 0
		.amdhsa_float_round_mode_32 0
		.amdhsa_float_round_mode_16_64 0
		.amdhsa_float_denorm_mode_32 3
		.amdhsa_float_denorm_mode_16_64 3
		.amdhsa_fp16_overflow 0
		.amdhsa_workgroup_processor_mode 1
		.amdhsa_memory_ordered 1
		.amdhsa_forward_progress 1
		.amdhsa_inst_pref_size 0
		.amdhsa_round_robin_scheduling 0
		.amdhsa_exception_fp_ieee_invalid_op 0
		.amdhsa_exception_fp_denorm_src 0
		.amdhsa_exception_fp_ieee_div_zero 0
		.amdhsa_exception_fp_ieee_overflow 0
		.amdhsa_exception_fp_ieee_underflow 0
		.amdhsa_exception_fp_ieee_inexact 0
		.amdhsa_exception_int_div_zero 0
	.end_amdhsa_kernel
	.section	.text._ZN7rocprim17ROCPRIM_400000_NS6detail17trampoline_kernelINS0_14default_configENS1_25partition_config_selectorILNS1_17partition_subalgoE6ExNS0_10empty_typeEbEEZZNS1_14partition_implILS5_6ELb0ES3_mN6thrust23THRUST_200600_302600_NS6detail15normal_iteratorINSA_10device_ptrIxEEEEPS6_SG_NS0_5tupleIJSF_S6_EEENSH_IJSG_SG_EEES6_PlJNSB_9not_fun_tINSB_14equal_to_valueIxEEEEEEE10hipError_tPvRmT3_T4_T5_T6_T7_T9_mT8_P12ihipStream_tbDpT10_ENKUlT_T0_E_clISt17integral_constantIbLb0EES17_IbLb1EEEEDaS13_S14_EUlS13_E_NS1_11comp_targetILNS1_3genE3ELNS1_11target_archE908ELNS1_3gpuE7ELNS1_3repE0EEENS1_30default_config_static_selectorELNS0_4arch9wavefront6targetE0EEEvT1_,"axG",@progbits,_ZN7rocprim17ROCPRIM_400000_NS6detail17trampoline_kernelINS0_14default_configENS1_25partition_config_selectorILNS1_17partition_subalgoE6ExNS0_10empty_typeEbEEZZNS1_14partition_implILS5_6ELb0ES3_mN6thrust23THRUST_200600_302600_NS6detail15normal_iteratorINSA_10device_ptrIxEEEEPS6_SG_NS0_5tupleIJSF_S6_EEENSH_IJSG_SG_EEES6_PlJNSB_9not_fun_tINSB_14equal_to_valueIxEEEEEEE10hipError_tPvRmT3_T4_T5_T6_T7_T9_mT8_P12ihipStream_tbDpT10_ENKUlT_T0_E_clISt17integral_constantIbLb0EES17_IbLb1EEEEDaS13_S14_EUlS13_E_NS1_11comp_targetILNS1_3genE3ELNS1_11target_archE908ELNS1_3gpuE7ELNS1_3repE0EEENS1_30default_config_static_selectorELNS0_4arch9wavefront6targetE0EEEvT1_,comdat
.Lfunc_end464:
	.size	_ZN7rocprim17ROCPRIM_400000_NS6detail17trampoline_kernelINS0_14default_configENS1_25partition_config_selectorILNS1_17partition_subalgoE6ExNS0_10empty_typeEbEEZZNS1_14partition_implILS5_6ELb0ES3_mN6thrust23THRUST_200600_302600_NS6detail15normal_iteratorINSA_10device_ptrIxEEEEPS6_SG_NS0_5tupleIJSF_S6_EEENSH_IJSG_SG_EEES6_PlJNSB_9not_fun_tINSB_14equal_to_valueIxEEEEEEE10hipError_tPvRmT3_T4_T5_T6_T7_T9_mT8_P12ihipStream_tbDpT10_ENKUlT_T0_E_clISt17integral_constantIbLb0EES17_IbLb1EEEEDaS13_S14_EUlS13_E_NS1_11comp_targetILNS1_3genE3ELNS1_11target_archE908ELNS1_3gpuE7ELNS1_3repE0EEENS1_30default_config_static_selectorELNS0_4arch9wavefront6targetE0EEEvT1_, .Lfunc_end464-_ZN7rocprim17ROCPRIM_400000_NS6detail17trampoline_kernelINS0_14default_configENS1_25partition_config_selectorILNS1_17partition_subalgoE6ExNS0_10empty_typeEbEEZZNS1_14partition_implILS5_6ELb0ES3_mN6thrust23THRUST_200600_302600_NS6detail15normal_iteratorINSA_10device_ptrIxEEEEPS6_SG_NS0_5tupleIJSF_S6_EEENSH_IJSG_SG_EEES6_PlJNSB_9not_fun_tINSB_14equal_to_valueIxEEEEEEE10hipError_tPvRmT3_T4_T5_T6_T7_T9_mT8_P12ihipStream_tbDpT10_ENKUlT_T0_E_clISt17integral_constantIbLb0EES17_IbLb1EEEEDaS13_S14_EUlS13_E_NS1_11comp_targetILNS1_3genE3ELNS1_11target_archE908ELNS1_3gpuE7ELNS1_3repE0EEENS1_30default_config_static_selectorELNS0_4arch9wavefront6targetE0EEEvT1_
                                        ; -- End function
	.set _ZN7rocprim17ROCPRIM_400000_NS6detail17trampoline_kernelINS0_14default_configENS1_25partition_config_selectorILNS1_17partition_subalgoE6ExNS0_10empty_typeEbEEZZNS1_14partition_implILS5_6ELb0ES3_mN6thrust23THRUST_200600_302600_NS6detail15normal_iteratorINSA_10device_ptrIxEEEEPS6_SG_NS0_5tupleIJSF_S6_EEENSH_IJSG_SG_EEES6_PlJNSB_9not_fun_tINSB_14equal_to_valueIxEEEEEEE10hipError_tPvRmT3_T4_T5_T6_T7_T9_mT8_P12ihipStream_tbDpT10_ENKUlT_T0_E_clISt17integral_constantIbLb0EES17_IbLb1EEEEDaS13_S14_EUlS13_E_NS1_11comp_targetILNS1_3genE3ELNS1_11target_archE908ELNS1_3gpuE7ELNS1_3repE0EEENS1_30default_config_static_selectorELNS0_4arch9wavefront6targetE0EEEvT1_.num_vgpr, 0
	.set _ZN7rocprim17ROCPRIM_400000_NS6detail17trampoline_kernelINS0_14default_configENS1_25partition_config_selectorILNS1_17partition_subalgoE6ExNS0_10empty_typeEbEEZZNS1_14partition_implILS5_6ELb0ES3_mN6thrust23THRUST_200600_302600_NS6detail15normal_iteratorINSA_10device_ptrIxEEEEPS6_SG_NS0_5tupleIJSF_S6_EEENSH_IJSG_SG_EEES6_PlJNSB_9not_fun_tINSB_14equal_to_valueIxEEEEEEE10hipError_tPvRmT3_T4_T5_T6_T7_T9_mT8_P12ihipStream_tbDpT10_ENKUlT_T0_E_clISt17integral_constantIbLb0EES17_IbLb1EEEEDaS13_S14_EUlS13_E_NS1_11comp_targetILNS1_3genE3ELNS1_11target_archE908ELNS1_3gpuE7ELNS1_3repE0EEENS1_30default_config_static_selectorELNS0_4arch9wavefront6targetE0EEEvT1_.num_agpr, 0
	.set _ZN7rocprim17ROCPRIM_400000_NS6detail17trampoline_kernelINS0_14default_configENS1_25partition_config_selectorILNS1_17partition_subalgoE6ExNS0_10empty_typeEbEEZZNS1_14partition_implILS5_6ELb0ES3_mN6thrust23THRUST_200600_302600_NS6detail15normal_iteratorINSA_10device_ptrIxEEEEPS6_SG_NS0_5tupleIJSF_S6_EEENSH_IJSG_SG_EEES6_PlJNSB_9not_fun_tINSB_14equal_to_valueIxEEEEEEE10hipError_tPvRmT3_T4_T5_T6_T7_T9_mT8_P12ihipStream_tbDpT10_ENKUlT_T0_E_clISt17integral_constantIbLb0EES17_IbLb1EEEEDaS13_S14_EUlS13_E_NS1_11comp_targetILNS1_3genE3ELNS1_11target_archE908ELNS1_3gpuE7ELNS1_3repE0EEENS1_30default_config_static_selectorELNS0_4arch9wavefront6targetE0EEEvT1_.numbered_sgpr, 0
	.set _ZN7rocprim17ROCPRIM_400000_NS6detail17trampoline_kernelINS0_14default_configENS1_25partition_config_selectorILNS1_17partition_subalgoE6ExNS0_10empty_typeEbEEZZNS1_14partition_implILS5_6ELb0ES3_mN6thrust23THRUST_200600_302600_NS6detail15normal_iteratorINSA_10device_ptrIxEEEEPS6_SG_NS0_5tupleIJSF_S6_EEENSH_IJSG_SG_EEES6_PlJNSB_9not_fun_tINSB_14equal_to_valueIxEEEEEEE10hipError_tPvRmT3_T4_T5_T6_T7_T9_mT8_P12ihipStream_tbDpT10_ENKUlT_T0_E_clISt17integral_constantIbLb0EES17_IbLb1EEEEDaS13_S14_EUlS13_E_NS1_11comp_targetILNS1_3genE3ELNS1_11target_archE908ELNS1_3gpuE7ELNS1_3repE0EEENS1_30default_config_static_selectorELNS0_4arch9wavefront6targetE0EEEvT1_.num_named_barrier, 0
	.set _ZN7rocprim17ROCPRIM_400000_NS6detail17trampoline_kernelINS0_14default_configENS1_25partition_config_selectorILNS1_17partition_subalgoE6ExNS0_10empty_typeEbEEZZNS1_14partition_implILS5_6ELb0ES3_mN6thrust23THRUST_200600_302600_NS6detail15normal_iteratorINSA_10device_ptrIxEEEEPS6_SG_NS0_5tupleIJSF_S6_EEENSH_IJSG_SG_EEES6_PlJNSB_9not_fun_tINSB_14equal_to_valueIxEEEEEEE10hipError_tPvRmT3_T4_T5_T6_T7_T9_mT8_P12ihipStream_tbDpT10_ENKUlT_T0_E_clISt17integral_constantIbLb0EES17_IbLb1EEEEDaS13_S14_EUlS13_E_NS1_11comp_targetILNS1_3genE3ELNS1_11target_archE908ELNS1_3gpuE7ELNS1_3repE0EEENS1_30default_config_static_selectorELNS0_4arch9wavefront6targetE0EEEvT1_.private_seg_size, 0
	.set _ZN7rocprim17ROCPRIM_400000_NS6detail17trampoline_kernelINS0_14default_configENS1_25partition_config_selectorILNS1_17partition_subalgoE6ExNS0_10empty_typeEbEEZZNS1_14partition_implILS5_6ELb0ES3_mN6thrust23THRUST_200600_302600_NS6detail15normal_iteratorINSA_10device_ptrIxEEEEPS6_SG_NS0_5tupleIJSF_S6_EEENSH_IJSG_SG_EEES6_PlJNSB_9not_fun_tINSB_14equal_to_valueIxEEEEEEE10hipError_tPvRmT3_T4_T5_T6_T7_T9_mT8_P12ihipStream_tbDpT10_ENKUlT_T0_E_clISt17integral_constantIbLb0EES17_IbLb1EEEEDaS13_S14_EUlS13_E_NS1_11comp_targetILNS1_3genE3ELNS1_11target_archE908ELNS1_3gpuE7ELNS1_3repE0EEENS1_30default_config_static_selectorELNS0_4arch9wavefront6targetE0EEEvT1_.uses_vcc, 0
	.set _ZN7rocprim17ROCPRIM_400000_NS6detail17trampoline_kernelINS0_14default_configENS1_25partition_config_selectorILNS1_17partition_subalgoE6ExNS0_10empty_typeEbEEZZNS1_14partition_implILS5_6ELb0ES3_mN6thrust23THRUST_200600_302600_NS6detail15normal_iteratorINSA_10device_ptrIxEEEEPS6_SG_NS0_5tupleIJSF_S6_EEENSH_IJSG_SG_EEES6_PlJNSB_9not_fun_tINSB_14equal_to_valueIxEEEEEEE10hipError_tPvRmT3_T4_T5_T6_T7_T9_mT8_P12ihipStream_tbDpT10_ENKUlT_T0_E_clISt17integral_constantIbLb0EES17_IbLb1EEEEDaS13_S14_EUlS13_E_NS1_11comp_targetILNS1_3genE3ELNS1_11target_archE908ELNS1_3gpuE7ELNS1_3repE0EEENS1_30default_config_static_selectorELNS0_4arch9wavefront6targetE0EEEvT1_.uses_flat_scratch, 0
	.set _ZN7rocprim17ROCPRIM_400000_NS6detail17trampoline_kernelINS0_14default_configENS1_25partition_config_selectorILNS1_17partition_subalgoE6ExNS0_10empty_typeEbEEZZNS1_14partition_implILS5_6ELb0ES3_mN6thrust23THRUST_200600_302600_NS6detail15normal_iteratorINSA_10device_ptrIxEEEEPS6_SG_NS0_5tupleIJSF_S6_EEENSH_IJSG_SG_EEES6_PlJNSB_9not_fun_tINSB_14equal_to_valueIxEEEEEEE10hipError_tPvRmT3_T4_T5_T6_T7_T9_mT8_P12ihipStream_tbDpT10_ENKUlT_T0_E_clISt17integral_constantIbLb0EES17_IbLb1EEEEDaS13_S14_EUlS13_E_NS1_11comp_targetILNS1_3genE3ELNS1_11target_archE908ELNS1_3gpuE7ELNS1_3repE0EEENS1_30default_config_static_selectorELNS0_4arch9wavefront6targetE0EEEvT1_.has_dyn_sized_stack, 0
	.set _ZN7rocprim17ROCPRIM_400000_NS6detail17trampoline_kernelINS0_14default_configENS1_25partition_config_selectorILNS1_17partition_subalgoE6ExNS0_10empty_typeEbEEZZNS1_14partition_implILS5_6ELb0ES3_mN6thrust23THRUST_200600_302600_NS6detail15normal_iteratorINSA_10device_ptrIxEEEEPS6_SG_NS0_5tupleIJSF_S6_EEENSH_IJSG_SG_EEES6_PlJNSB_9not_fun_tINSB_14equal_to_valueIxEEEEEEE10hipError_tPvRmT3_T4_T5_T6_T7_T9_mT8_P12ihipStream_tbDpT10_ENKUlT_T0_E_clISt17integral_constantIbLb0EES17_IbLb1EEEEDaS13_S14_EUlS13_E_NS1_11comp_targetILNS1_3genE3ELNS1_11target_archE908ELNS1_3gpuE7ELNS1_3repE0EEENS1_30default_config_static_selectorELNS0_4arch9wavefront6targetE0EEEvT1_.has_recursion, 0
	.set _ZN7rocprim17ROCPRIM_400000_NS6detail17trampoline_kernelINS0_14default_configENS1_25partition_config_selectorILNS1_17partition_subalgoE6ExNS0_10empty_typeEbEEZZNS1_14partition_implILS5_6ELb0ES3_mN6thrust23THRUST_200600_302600_NS6detail15normal_iteratorINSA_10device_ptrIxEEEEPS6_SG_NS0_5tupleIJSF_S6_EEENSH_IJSG_SG_EEES6_PlJNSB_9not_fun_tINSB_14equal_to_valueIxEEEEEEE10hipError_tPvRmT3_T4_T5_T6_T7_T9_mT8_P12ihipStream_tbDpT10_ENKUlT_T0_E_clISt17integral_constantIbLb0EES17_IbLb1EEEEDaS13_S14_EUlS13_E_NS1_11comp_targetILNS1_3genE3ELNS1_11target_archE908ELNS1_3gpuE7ELNS1_3repE0EEENS1_30default_config_static_selectorELNS0_4arch9wavefront6targetE0EEEvT1_.has_indirect_call, 0
	.section	.AMDGPU.csdata,"",@progbits
; Kernel info:
; codeLenInByte = 0
; TotalNumSgprs: 0
; NumVgprs: 0
; ScratchSize: 0
; MemoryBound: 0
; FloatMode: 240
; IeeeMode: 1
; LDSByteSize: 0 bytes/workgroup (compile time only)
; SGPRBlocks: 0
; VGPRBlocks: 0
; NumSGPRsForWavesPerEU: 1
; NumVGPRsForWavesPerEU: 1
; Occupancy: 16
; WaveLimiterHint : 0
; COMPUTE_PGM_RSRC2:SCRATCH_EN: 0
; COMPUTE_PGM_RSRC2:USER_SGPR: 2
; COMPUTE_PGM_RSRC2:TRAP_HANDLER: 0
; COMPUTE_PGM_RSRC2:TGID_X_EN: 1
; COMPUTE_PGM_RSRC2:TGID_Y_EN: 0
; COMPUTE_PGM_RSRC2:TGID_Z_EN: 0
; COMPUTE_PGM_RSRC2:TIDIG_COMP_CNT: 0
	.section	.text._ZN7rocprim17ROCPRIM_400000_NS6detail17trampoline_kernelINS0_14default_configENS1_25partition_config_selectorILNS1_17partition_subalgoE6ExNS0_10empty_typeEbEEZZNS1_14partition_implILS5_6ELb0ES3_mN6thrust23THRUST_200600_302600_NS6detail15normal_iteratorINSA_10device_ptrIxEEEEPS6_SG_NS0_5tupleIJSF_S6_EEENSH_IJSG_SG_EEES6_PlJNSB_9not_fun_tINSB_14equal_to_valueIxEEEEEEE10hipError_tPvRmT3_T4_T5_T6_T7_T9_mT8_P12ihipStream_tbDpT10_ENKUlT_T0_E_clISt17integral_constantIbLb0EES17_IbLb1EEEEDaS13_S14_EUlS13_E_NS1_11comp_targetILNS1_3genE2ELNS1_11target_archE906ELNS1_3gpuE6ELNS1_3repE0EEENS1_30default_config_static_selectorELNS0_4arch9wavefront6targetE0EEEvT1_,"axG",@progbits,_ZN7rocprim17ROCPRIM_400000_NS6detail17trampoline_kernelINS0_14default_configENS1_25partition_config_selectorILNS1_17partition_subalgoE6ExNS0_10empty_typeEbEEZZNS1_14partition_implILS5_6ELb0ES3_mN6thrust23THRUST_200600_302600_NS6detail15normal_iteratorINSA_10device_ptrIxEEEEPS6_SG_NS0_5tupleIJSF_S6_EEENSH_IJSG_SG_EEES6_PlJNSB_9not_fun_tINSB_14equal_to_valueIxEEEEEEE10hipError_tPvRmT3_T4_T5_T6_T7_T9_mT8_P12ihipStream_tbDpT10_ENKUlT_T0_E_clISt17integral_constantIbLb0EES17_IbLb1EEEEDaS13_S14_EUlS13_E_NS1_11comp_targetILNS1_3genE2ELNS1_11target_archE906ELNS1_3gpuE6ELNS1_3repE0EEENS1_30default_config_static_selectorELNS0_4arch9wavefront6targetE0EEEvT1_,comdat
	.protected	_ZN7rocprim17ROCPRIM_400000_NS6detail17trampoline_kernelINS0_14default_configENS1_25partition_config_selectorILNS1_17partition_subalgoE6ExNS0_10empty_typeEbEEZZNS1_14partition_implILS5_6ELb0ES3_mN6thrust23THRUST_200600_302600_NS6detail15normal_iteratorINSA_10device_ptrIxEEEEPS6_SG_NS0_5tupleIJSF_S6_EEENSH_IJSG_SG_EEES6_PlJNSB_9not_fun_tINSB_14equal_to_valueIxEEEEEEE10hipError_tPvRmT3_T4_T5_T6_T7_T9_mT8_P12ihipStream_tbDpT10_ENKUlT_T0_E_clISt17integral_constantIbLb0EES17_IbLb1EEEEDaS13_S14_EUlS13_E_NS1_11comp_targetILNS1_3genE2ELNS1_11target_archE906ELNS1_3gpuE6ELNS1_3repE0EEENS1_30default_config_static_selectorELNS0_4arch9wavefront6targetE0EEEvT1_ ; -- Begin function _ZN7rocprim17ROCPRIM_400000_NS6detail17trampoline_kernelINS0_14default_configENS1_25partition_config_selectorILNS1_17partition_subalgoE6ExNS0_10empty_typeEbEEZZNS1_14partition_implILS5_6ELb0ES3_mN6thrust23THRUST_200600_302600_NS6detail15normal_iteratorINSA_10device_ptrIxEEEEPS6_SG_NS0_5tupleIJSF_S6_EEENSH_IJSG_SG_EEES6_PlJNSB_9not_fun_tINSB_14equal_to_valueIxEEEEEEE10hipError_tPvRmT3_T4_T5_T6_T7_T9_mT8_P12ihipStream_tbDpT10_ENKUlT_T0_E_clISt17integral_constantIbLb0EES17_IbLb1EEEEDaS13_S14_EUlS13_E_NS1_11comp_targetILNS1_3genE2ELNS1_11target_archE906ELNS1_3gpuE6ELNS1_3repE0EEENS1_30default_config_static_selectorELNS0_4arch9wavefront6targetE0EEEvT1_
	.globl	_ZN7rocprim17ROCPRIM_400000_NS6detail17trampoline_kernelINS0_14default_configENS1_25partition_config_selectorILNS1_17partition_subalgoE6ExNS0_10empty_typeEbEEZZNS1_14partition_implILS5_6ELb0ES3_mN6thrust23THRUST_200600_302600_NS6detail15normal_iteratorINSA_10device_ptrIxEEEEPS6_SG_NS0_5tupleIJSF_S6_EEENSH_IJSG_SG_EEES6_PlJNSB_9not_fun_tINSB_14equal_to_valueIxEEEEEEE10hipError_tPvRmT3_T4_T5_T6_T7_T9_mT8_P12ihipStream_tbDpT10_ENKUlT_T0_E_clISt17integral_constantIbLb0EES17_IbLb1EEEEDaS13_S14_EUlS13_E_NS1_11comp_targetILNS1_3genE2ELNS1_11target_archE906ELNS1_3gpuE6ELNS1_3repE0EEENS1_30default_config_static_selectorELNS0_4arch9wavefront6targetE0EEEvT1_
	.p2align	8
	.type	_ZN7rocprim17ROCPRIM_400000_NS6detail17trampoline_kernelINS0_14default_configENS1_25partition_config_selectorILNS1_17partition_subalgoE6ExNS0_10empty_typeEbEEZZNS1_14partition_implILS5_6ELb0ES3_mN6thrust23THRUST_200600_302600_NS6detail15normal_iteratorINSA_10device_ptrIxEEEEPS6_SG_NS0_5tupleIJSF_S6_EEENSH_IJSG_SG_EEES6_PlJNSB_9not_fun_tINSB_14equal_to_valueIxEEEEEEE10hipError_tPvRmT3_T4_T5_T6_T7_T9_mT8_P12ihipStream_tbDpT10_ENKUlT_T0_E_clISt17integral_constantIbLb0EES17_IbLb1EEEEDaS13_S14_EUlS13_E_NS1_11comp_targetILNS1_3genE2ELNS1_11target_archE906ELNS1_3gpuE6ELNS1_3repE0EEENS1_30default_config_static_selectorELNS0_4arch9wavefront6targetE0EEEvT1_,@function
_ZN7rocprim17ROCPRIM_400000_NS6detail17trampoline_kernelINS0_14default_configENS1_25partition_config_selectorILNS1_17partition_subalgoE6ExNS0_10empty_typeEbEEZZNS1_14partition_implILS5_6ELb0ES3_mN6thrust23THRUST_200600_302600_NS6detail15normal_iteratorINSA_10device_ptrIxEEEEPS6_SG_NS0_5tupleIJSF_S6_EEENSH_IJSG_SG_EEES6_PlJNSB_9not_fun_tINSB_14equal_to_valueIxEEEEEEE10hipError_tPvRmT3_T4_T5_T6_T7_T9_mT8_P12ihipStream_tbDpT10_ENKUlT_T0_E_clISt17integral_constantIbLb0EES17_IbLb1EEEEDaS13_S14_EUlS13_E_NS1_11comp_targetILNS1_3genE2ELNS1_11target_archE906ELNS1_3gpuE6ELNS1_3repE0EEENS1_30default_config_static_selectorELNS0_4arch9wavefront6targetE0EEEvT1_: ; @_ZN7rocprim17ROCPRIM_400000_NS6detail17trampoline_kernelINS0_14default_configENS1_25partition_config_selectorILNS1_17partition_subalgoE6ExNS0_10empty_typeEbEEZZNS1_14partition_implILS5_6ELb0ES3_mN6thrust23THRUST_200600_302600_NS6detail15normal_iteratorINSA_10device_ptrIxEEEEPS6_SG_NS0_5tupleIJSF_S6_EEENSH_IJSG_SG_EEES6_PlJNSB_9not_fun_tINSB_14equal_to_valueIxEEEEEEE10hipError_tPvRmT3_T4_T5_T6_T7_T9_mT8_P12ihipStream_tbDpT10_ENKUlT_T0_E_clISt17integral_constantIbLb0EES17_IbLb1EEEEDaS13_S14_EUlS13_E_NS1_11comp_targetILNS1_3genE2ELNS1_11target_archE906ELNS1_3gpuE6ELNS1_3repE0EEENS1_30default_config_static_selectorELNS0_4arch9wavefront6targetE0EEEvT1_
; %bb.0:
	.section	.rodata,"a",@progbits
	.p2align	6, 0x0
	.amdhsa_kernel _ZN7rocprim17ROCPRIM_400000_NS6detail17trampoline_kernelINS0_14default_configENS1_25partition_config_selectorILNS1_17partition_subalgoE6ExNS0_10empty_typeEbEEZZNS1_14partition_implILS5_6ELb0ES3_mN6thrust23THRUST_200600_302600_NS6detail15normal_iteratorINSA_10device_ptrIxEEEEPS6_SG_NS0_5tupleIJSF_S6_EEENSH_IJSG_SG_EEES6_PlJNSB_9not_fun_tINSB_14equal_to_valueIxEEEEEEE10hipError_tPvRmT3_T4_T5_T6_T7_T9_mT8_P12ihipStream_tbDpT10_ENKUlT_T0_E_clISt17integral_constantIbLb0EES17_IbLb1EEEEDaS13_S14_EUlS13_E_NS1_11comp_targetILNS1_3genE2ELNS1_11target_archE906ELNS1_3gpuE6ELNS1_3repE0EEENS1_30default_config_static_selectorELNS0_4arch9wavefront6targetE0EEEvT1_
		.amdhsa_group_segment_fixed_size 0
		.amdhsa_private_segment_fixed_size 0
		.amdhsa_kernarg_size 128
		.amdhsa_user_sgpr_count 2
		.amdhsa_user_sgpr_dispatch_ptr 0
		.amdhsa_user_sgpr_queue_ptr 0
		.amdhsa_user_sgpr_kernarg_segment_ptr 1
		.amdhsa_user_sgpr_dispatch_id 0
		.amdhsa_user_sgpr_private_segment_size 0
		.amdhsa_wavefront_size32 1
		.amdhsa_uses_dynamic_stack 0
		.amdhsa_enable_private_segment 0
		.amdhsa_system_sgpr_workgroup_id_x 1
		.amdhsa_system_sgpr_workgroup_id_y 0
		.amdhsa_system_sgpr_workgroup_id_z 0
		.amdhsa_system_sgpr_workgroup_info 0
		.amdhsa_system_vgpr_workitem_id 0
		.amdhsa_next_free_vgpr 1
		.amdhsa_next_free_sgpr 1
		.amdhsa_reserve_vcc 0
		.amdhsa_float_round_mode_32 0
		.amdhsa_float_round_mode_16_64 0
		.amdhsa_float_denorm_mode_32 3
		.amdhsa_float_denorm_mode_16_64 3
		.amdhsa_fp16_overflow 0
		.amdhsa_workgroup_processor_mode 1
		.amdhsa_memory_ordered 1
		.amdhsa_forward_progress 1
		.amdhsa_inst_pref_size 0
		.amdhsa_round_robin_scheduling 0
		.amdhsa_exception_fp_ieee_invalid_op 0
		.amdhsa_exception_fp_denorm_src 0
		.amdhsa_exception_fp_ieee_div_zero 0
		.amdhsa_exception_fp_ieee_overflow 0
		.amdhsa_exception_fp_ieee_underflow 0
		.amdhsa_exception_fp_ieee_inexact 0
		.amdhsa_exception_int_div_zero 0
	.end_amdhsa_kernel
	.section	.text._ZN7rocprim17ROCPRIM_400000_NS6detail17trampoline_kernelINS0_14default_configENS1_25partition_config_selectorILNS1_17partition_subalgoE6ExNS0_10empty_typeEbEEZZNS1_14partition_implILS5_6ELb0ES3_mN6thrust23THRUST_200600_302600_NS6detail15normal_iteratorINSA_10device_ptrIxEEEEPS6_SG_NS0_5tupleIJSF_S6_EEENSH_IJSG_SG_EEES6_PlJNSB_9not_fun_tINSB_14equal_to_valueIxEEEEEEE10hipError_tPvRmT3_T4_T5_T6_T7_T9_mT8_P12ihipStream_tbDpT10_ENKUlT_T0_E_clISt17integral_constantIbLb0EES17_IbLb1EEEEDaS13_S14_EUlS13_E_NS1_11comp_targetILNS1_3genE2ELNS1_11target_archE906ELNS1_3gpuE6ELNS1_3repE0EEENS1_30default_config_static_selectorELNS0_4arch9wavefront6targetE0EEEvT1_,"axG",@progbits,_ZN7rocprim17ROCPRIM_400000_NS6detail17trampoline_kernelINS0_14default_configENS1_25partition_config_selectorILNS1_17partition_subalgoE6ExNS0_10empty_typeEbEEZZNS1_14partition_implILS5_6ELb0ES3_mN6thrust23THRUST_200600_302600_NS6detail15normal_iteratorINSA_10device_ptrIxEEEEPS6_SG_NS0_5tupleIJSF_S6_EEENSH_IJSG_SG_EEES6_PlJNSB_9not_fun_tINSB_14equal_to_valueIxEEEEEEE10hipError_tPvRmT3_T4_T5_T6_T7_T9_mT8_P12ihipStream_tbDpT10_ENKUlT_T0_E_clISt17integral_constantIbLb0EES17_IbLb1EEEEDaS13_S14_EUlS13_E_NS1_11comp_targetILNS1_3genE2ELNS1_11target_archE906ELNS1_3gpuE6ELNS1_3repE0EEENS1_30default_config_static_selectorELNS0_4arch9wavefront6targetE0EEEvT1_,comdat
.Lfunc_end465:
	.size	_ZN7rocprim17ROCPRIM_400000_NS6detail17trampoline_kernelINS0_14default_configENS1_25partition_config_selectorILNS1_17partition_subalgoE6ExNS0_10empty_typeEbEEZZNS1_14partition_implILS5_6ELb0ES3_mN6thrust23THRUST_200600_302600_NS6detail15normal_iteratorINSA_10device_ptrIxEEEEPS6_SG_NS0_5tupleIJSF_S6_EEENSH_IJSG_SG_EEES6_PlJNSB_9not_fun_tINSB_14equal_to_valueIxEEEEEEE10hipError_tPvRmT3_T4_T5_T6_T7_T9_mT8_P12ihipStream_tbDpT10_ENKUlT_T0_E_clISt17integral_constantIbLb0EES17_IbLb1EEEEDaS13_S14_EUlS13_E_NS1_11comp_targetILNS1_3genE2ELNS1_11target_archE906ELNS1_3gpuE6ELNS1_3repE0EEENS1_30default_config_static_selectorELNS0_4arch9wavefront6targetE0EEEvT1_, .Lfunc_end465-_ZN7rocprim17ROCPRIM_400000_NS6detail17trampoline_kernelINS0_14default_configENS1_25partition_config_selectorILNS1_17partition_subalgoE6ExNS0_10empty_typeEbEEZZNS1_14partition_implILS5_6ELb0ES3_mN6thrust23THRUST_200600_302600_NS6detail15normal_iteratorINSA_10device_ptrIxEEEEPS6_SG_NS0_5tupleIJSF_S6_EEENSH_IJSG_SG_EEES6_PlJNSB_9not_fun_tINSB_14equal_to_valueIxEEEEEEE10hipError_tPvRmT3_T4_T5_T6_T7_T9_mT8_P12ihipStream_tbDpT10_ENKUlT_T0_E_clISt17integral_constantIbLb0EES17_IbLb1EEEEDaS13_S14_EUlS13_E_NS1_11comp_targetILNS1_3genE2ELNS1_11target_archE906ELNS1_3gpuE6ELNS1_3repE0EEENS1_30default_config_static_selectorELNS0_4arch9wavefront6targetE0EEEvT1_
                                        ; -- End function
	.set _ZN7rocprim17ROCPRIM_400000_NS6detail17trampoline_kernelINS0_14default_configENS1_25partition_config_selectorILNS1_17partition_subalgoE6ExNS0_10empty_typeEbEEZZNS1_14partition_implILS5_6ELb0ES3_mN6thrust23THRUST_200600_302600_NS6detail15normal_iteratorINSA_10device_ptrIxEEEEPS6_SG_NS0_5tupleIJSF_S6_EEENSH_IJSG_SG_EEES6_PlJNSB_9not_fun_tINSB_14equal_to_valueIxEEEEEEE10hipError_tPvRmT3_T4_T5_T6_T7_T9_mT8_P12ihipStream_tbDpT10_ENKUlT_T0_E_clISt17integral_constantIbLb0EES17_IbLb1EEEEDaS13_S14_EUlS13_E_NS1_11comp_targetILNS1_3genE2ELNS1_11target_archE906ELNS1_3gpuE6ELNS1_3repE0EEENS1_30default_config_static_selectorELNS0_4arch9wavefront6targetE0EEEvT1_.num_vgpr, 0
	.set _ZN7rocprim17ROCPRIM_400000_NS6detail17trampoline_kernelINS0_14default_configENS1_25partition_config_selectorILNS1_17partition_subalgoE6ExNS0_10empty_typeEbEEZZNS1_14partition_implILS5_6ELb0ES3_mN6thrust23THRUST_200600_302600_NS6detail15normal_iteratorINSA_10device_ptrIxEEEEPS6_SG_NS0_5tupleIJSF_S6_EEENSH_IJSG_SG_EEES6_PlJNSB_9not_fun_tINSB_14equal_to_valueIxEEEEEEE10hipError_tPvRmT3_T4_T5_T6_T7_T9_mT8_P12ihipStream_tbDpT10_ENKUlT_T0_E_clISt17integral_constantIbLb0EES17_IbLb1EEEEDaS13_S14_EUlS13_E_NS1_11comp_targetILNS1_3genE2ELNS1_11target_archE906ELNS1_3gpuE6ELNS1_3repE0EEENS1_30default_config_static_selectorELNS0_4arch9wavefront6targetE0EEEvT1_.num_agpr, 0
	.set _ZN7rocprim17ROCPRIM_400000_NS6detail17trampoline_kernelINS0_14default_configENS1_25partition_config_selectorILNS1_17partition_subalgoE6ExNS0_10empty_typeEbEEZZNS1_14partition_implILS5_6ELb0ES3_mN6thrust23THRUST_200600_302600_NS6detail15normal_iteratorINSA_10device_ptrIxEEEEPS6_SG_NS0_5tupleIJSF_S6_EEENSH_IJSG_SG_EEES6_PlJNSB_9not_fun_tINSB_14equal_to_valueIxEEEEEEE10hipError_tPvRmT3_T4_T5_T6_T7_T9_mT8_P12ihipStream_tbDpT10_ENKUlT_T0_E_clISt17integral_constantIbLb0EES17_IbLb1EEEEDaS13_S14_EUlS13_E_NS1_11comp_targetILNS1_3genE2ELNS1_11target_archE906ELNS1_3gpuE6ELNS1_3repE0EEENS1_30default_config_static_selectorELNS0_4arch9wavefront6targetE0EEEvT1_.numbered_sgpr, 0
	.set _ZN7rocprim17ROCPRIM_400000_NS6detail17trampoline_kernelINS0_14default_configENS1_25partition_config_selectorILNS1_17partition_subalgoE6ExNS0_10empty_typeEbEEZZNS1_14partition_implILS5_6ELb0ES3_mN6thrust23THRUST_200600_302600_NS6detail15normal_iteratorINSA_10device_ptrIxEEEEPS6_SG_NS0_5tupleIJSF_S6_EEENSH_IJSG_SG_EEES6_PlJNSB_9not_fun_tINSB_14equal_to_valueIxEEEEEEE10hipError_tPvRmT3_T4_T5_T6_T7_T9_mT8_P12ihipStream_tbDpT10_ENKUlT_T0_E_clISt17integral_constantIbLb0EES17_IbLb1EEEEDaS13_S14_EUlS13_E_NS1_11comp_targetILNS1_3genE2ELNS1_11target_archE906ELNS1_3gpuE6ELNS1_3repE0EEENS1_30default_config_static_selectorELNS0_4arch9wavefront6targetE0EEEvT1_.num_named_barrier, 0
	.set _ZN7rocprim17ROCPRIM_400000_NS6detail17trampoline_kernelINS0_14default_configENS1_25partition_config_selectorILNS1_17partition_subalgoE6ExNS0_10empty_typeEbEEZZNS1_14partition_implILS5_6ELb0ES3_mN6thrust23THRUST_200600_302600_NS6detail15normal_iteratorINSA_10device_ptrIxEEEEPS6_SG_NS0_5tupleIJSF_S6_EEENSH_IJSG_SG_EEES6_PlJNSB_9not_fun_tINSB_14equal_to_valueIxEEEEEEE10hipError_tPvRmT3_T4_T5_T6_T7_T9_mT8_P12ihipStream_tbDpT10_ENKUlT_T0_E_clISt17integral_constantIbLb0EES17_IbLb1EEEEDaS13_S14_EUlS13_E_NS1_11comp_targetILNS1_3genE2ELNS1_11target_archE906ELNS1_3gpuE6ELNS1_3repE0EEENS1_30default_config_static_selectorELNS0_4arch9wavefront6targetE0EEEvT1_.private_seg_size, 0
	.set _ZN7rocprim17ROCPRIM_400000_NS6detail17trampoline_kernelINS0_14default_configENS1_25partition_config_selectorILNS1_17partition_subalgoE6ExNS0_10empty_typeEbEEZZNS1_14partition_implILS5_6ELb0ES3_mN6thrust23THRUST_200600_302600_NS6detail15normal_iteratorINSA_10device_ptrIxEEEEPS6_SG_NS0_5tupleIJSF_S6_EEENSH_IJSG_SG_EEES6_PlJNSB_9not_fun_tINSB_14equal_to_valueIxEEEEEEE10hipError_tPvRmT3_T4_T5_T6_T7_T9_mT8_P12ihipStream_tbDpT10_ENKUlT_T0_E_clISt17integral_constantIbLb0EES17_IbLb1EEEEDaS13_S14_EUlS13_E_NS1_11comp_targetILNS1_3genE2ELNS1_11target_archE906ELNS1_3gpuE6ELNS1_3repE0EEENS1_30default_config_static_selectorELNS0_4arch9wavefront6targetE0EEEvT1_.uses_vcc, 0
	.set _ZN7rocprim17ROCPRIM_400000_NS6detail17trampoline_kernelINS0_14default_configENS1_25partition_config_selectorILNS1_17partition_subalgoE6ExNS0_10empty_typeEbEEZZNS1_14partition_implILS5_6ELb0ES3_mN6thrust23THRUST_200600_302600_NS6detail15normal_iteratorINSA_10device_ptrIxEEEEPS6_SG_NS0_5tupleIJSF_S6_EEENSH_IJSG_SG_EEES6_PlJNSB_9not_fun_tINSB_14equal_to_valueIxEEEEEEE10hipError_tPvRmT3_T4_T5_T6_T7_T9_mT8_P12ihipStream_tbDpT10_ENKUlT_T0_E_clISt17integral_constantIbLb0EES17_IbLb1EEEEDaS13_S14_EUlS13_E_NS1_11comp_targetILNS1_3genE2ELNS1_11target_archE906ELNS1_3gpuE6ELNS1_3repE0EEENS1_30default_config_static_selectorELNS0_4arch9wavefront6targetE0EEEvT1_.uses_flat_scratch, 0
	.set _ZN7rocprim17ROCPRIM_400000_NS6detail17trampoline_kernelINS0_14default_configENS1_25partition_config_selectorILNS1_17partition_subalgoE6ExNS0_10empty_typeEbEEZZNS1_14partition_implILS5_6ELb0ES3_mN6thrust23THRUST_200600_302600_NS6detail15normal_iteratorINSA_10device_ptrIxEEEEPS6_SG_NS0_5tupleIJSF_S6_EEENSH_IJSG_SG_EEES6_PlJNSB_9not_fun_tINSB_14equal_to_valueIxEEEEEEE10hipError_tPvRmT3_T4_T5_T6_T7_T9_mT8_P12ihipStream_tbDpT10_ENKUlT_T0_E_clISt17integral_constantIbLb0EES17_IbLb1EEEEDaS13_S14_EUlS13_E_NS1_11comp_targetILNS1_3genE2ELNS1_11target_archE906ELNS1_3gpuE6ELNS1_3repE0EEENS1_30default_config_static_selectorELNS0_4arch9wavefront6targetE0EEEvT1_.has_dyn_sized_stack, 0
	.set _ZN7rocprim17ROCPRIM_400000_NS6detail17trampoline_kernelINS0_14default_configENS1_25partition_config_selectorILNS1_17partition_subalgoE6ExNS0_10empty_typeEbEEZZNS1_14partition_implILS5_6ELb0ES3_mN6thrust23THRUST_200600_302600_NS6detail15normal_iteratorINSA_10device_ptrIxEEEEPS6_SG_NS0_5tupleIJSF_S6_EEENSH_IJSG_SG_EEES6_PlJNSB_9not_fun_tINSB_14equal_to_valueIxEEEEEEE10hipError_tPvRmT3_T4_T5_T6_T7_T9_mT8_P12ihipStream_tbDpT10_ENKUlT_T0_E_clISt17integral_constantIbLb0EES17_IbLb1EEEEDaS13_S14_EUlS13_E_NS1_11comp_targetILNS1_3genE2ELNS1_11target_archE906ELNS1_3gpuE6ELNS1_3repE0EEENS1_30default_config_static_selectorELNS0_4arch9wavefront6targetE0EEEvT1_.has_recursion, 0
	.set _ZN7rocprim17ROCPRIM_400000_NS6detail17trampoline_kernelINS0_14default_configENS1_25partition_config_selectorILNS1_17partition_subalgoE6ExNS0_10empty_typeEbEEZZNS1_14partition_implILS5_6ELb0ES3_mN6thrust23THRUST_200600_302600_NS6detail15normal_iteratorINSA_10device_ptrIxEEEEPS6_SG_NS0_5tupleIJSF_S6_EEENSH_IJSG_SG_EEES6_PlJNSB_9not_fun_tINSB_14equal_to_valueIxEEEEEEE10hipError_tPvRmT3_T4_T5_T6_T7_T9_mT8_P12ihipStream_tbDpT10_ENKUlT_T0_E_clISt17integral_constantIbLb0EES17_IbLb1EEEEDaS13_S14_EUlS13_E_NS1_11comp_targetILNS1_3genE2ELNS1_11target_archE906ELNS1_3gpuE6ELNS1_3repE0EEENS1_30default_config_static_selectorELNS0_4arch9wavefront6targetE0EEEvT1_.has_indirect_call, 0
	.section	.AMDGPU.csdata,"",@progbits
; Kernel info:
; codeLenInByte = 0
; TotalNumSgprs: 0
; NumVgprs: 0
; ScratchSize: 0
; MemoryBound: 0
; FloatMode: 240
; IeeeMode: 1
; LDSByteSize: 0 bytes/workgroup (compile time only)
; SGPRBlocks: 0
; VGPRBlocks: 0
; NumSGPRsForWavesPerEU: 1
; NumVGPRsForWavesPerEU: 1
; Occupancy: 16
; WaveLimiterHint : 0
; COMPUTE_PGM_RSRC2:SCRATCH_EN: 0
; COMPUTE_PGM_RSRC2:USER_SGPR: 2
; COMPUTE_PGM_RSRC2:TRAP_HANDLER: 0
; COMPUTE_PGM_RSRC2:TGID_X_EN: 1
; COMPUTE_PGM_RSRC2:TGID_Y_EN: 0
; COMPUTE_PGM_RSRC2:TGID_Z_EN: 0
; COMPUTE_PGM_RSRC2:TIDIG_COMP_CNT: 0
	.section	.text._ZN7rocprim17ROCPRIM_400000_NS6detail17trampoline_kernelINS0_14default_configENS1_25partition_config_selectorILNS1_17partition_subalgoE6ExNS0_10empty_typeEbEEZZNS1_14partition_implILS5_6ELb0ES3_mN6thrust23THRUST_200600_302600_NS6detail15normal_iteratorINSA_10device_ptrIxEEEEPS6_SG_NS0_5tupleIJSF_S6_EEENSH_IJSG_SG_EEES6_PlJNSB_9not_fun_tINSB_14equal_to_valueIxEEEEEEE10hipError_tPvRmT3_T4_T5_T6_T7_T9_mT8_P12ihipStream_tbDpT10_ENKUlT_T0_E_clISt17integral_constantIbLb0EES17_IbLb1EEEEDaS13_S14_EUlS13_E_NS1_11comp_targetILNS1_3genE10ELNS1_11target_archE1200ELNS1_3gpuE4ELNS1_3repE0EEENS1_30default_config_static_selectorELNS0_4arch9wavefront6targetE0EEEvT1_,"axG",@progbits,_ZN7rocprim17ROCPRIM_400000_NS6detail17trampoline_kernelINS0_14default_configENS1_25partition_config_selectorILNS1_17partition_subalgoE6ExNS0_10empty_typeEbEEZZNS1_14partition_implILS5_6ELb0ES3_mN6thrust23THRUST_200600_302600_NS6detail15normal_iteratorINSA_10device_ptrIxEEEEPS6_SG_NS0_5tupleIJSF_S6_EEENSH_IJSG_SG_EEES6_PlJNSB_9not_fun_tINSB_14equal_to_valueIxEEEEEEE10hipError_tPvRmT3_T4_T5_T6_T7_T9_mT8_P12ihipStream_tbDpT10_ENKUlT_T0_E_clISt17integral_constantIbLb0EES17_IbLb1EEEEDaS13_S14_EUlS13_E_NS1_11comp_targetILNS1_3genE10ELNS1_11target_archE1200ELNS1_3gpuE4ELNS1_3repE0EEENS1_30default_config_static_selectorELNS0_4arch9wavefront6targetE0EEEvT1_,comdat
	.protected	_ZN7rocprim17ROCPRIM_400000_NS6detail17trampoline_kernelINS0_14default_configENS1_25partition_config_selectorILNS1_17partition_subalgoE6ExNS0_10empty_typeEbEEZZNS1_14partition_implILS5_6ELb0ES3_mN6thrust23THRUST_200600_302600_NS6detail15normal_iteratorINSA_10device_ptrIxEEEEPS6_SG_NS0_5tupleIJSF_S6_EEENSH_IJSG_SG_EEES6_PlJNSB_9not_fun_tINSB_14equal_to_valueIxEEEEEEE10hipError_tPvRmT3_T4_T5_T6_T7_T9_mT8_P12ihipStream_tbDpT10_ENKUlT_T0_E_clISt17integral_constantIbLb0EES17_IbLb1EEEEDaS13_S14_EUlS13_E_NS1_11comp_targetILNS1_3genE10ELNS1_11target_archE1200ELNS1_3gpuE4ELNS1_3repE0EEENS1_30default_config_static_selectorELNS0_4arch9wavefront6targetE0EEEvT1_ ; -- Begin function _ZN7rocprim17ROCPRIM_400000_NS6detail17trampoline_kernelINS0_14default_configENS1_25partition_config_selectorILNS1_17partition_subalgoE6ExNS0_10empty_typeEbEEZZNS1_14partition_implILS5_6ELb0ES3_mN6thrust23THRUST_200600_302600_NS6detail15normal_iteratorINSA_10device_ptrIxEEEEPS6_SG_NS0_5tupleIJSF_S6_EEENSH_IJSG_SG_EEES6_PlJNSB_9not_fun_tINSB_14equal_to_valueIxEEEEEEE10hipError_tPvRmT3_T4_T5_T6_T7_T9_mT8_P12ihipStream_tbDpT10_ENKUlT_T0_E_clISt17integral_constantIbLb0EES17_IbLb1EEEEDaS13_S14_EUlS13_E_NS1_11comp_targetILNS1_3genE10ELNS1_11target_archE1200ELNS1_3gpuE4ELNS1_3repE0EEENS1_30default_config_static_selectorELNS0_4arch9wavefront6targetE0EEEvT1_
	.globl	_ZN7rocprim17ROCPRIM_400000_NS6detail17trampoline_kernelINS0_14default_configENS1_25partition_config_selectorILNS1_17partition_subalgoE6ExNS0_10empty_typeEbEEZZNS1_14partition_implILS5_6ELb0ES3_mN6thrust23THRUST_200600_302600_NS6detail15normal_iteratorINSA_10device_ptrIxEEEEPS6_SG_NS0_5tupleIJSF_S6_EEENSH_IJSG_SG_EEES6_PlJNSB_9not_fun_tINSB_14equal_to_valueIxEEEEEEE10hipError_tPvRmT3_T4_T5_T6_T7_T9_mT8_P12ihipStream_tbDpT10_ENKUlT_T0_E_clISt17integral_constantIbLb0EES17_IbLb1EEEEDaS13_S14_EUlS13_E_NS1_11comp_targetILNS1_3genE10ELNS1_11target_archE1200ELNS1_3gpuE4ELNS1_3repE0EEENS1_30default_config_static_selectorELNS0_4arch9wavefront6targetE0EEEvT1_
	.p2align	8
	.type	_ZN7rocprim17ROCPRIM_400000_NS6detail17trampoline_kernelINS0_14default_configENS1_25partition_config_selectorILNS1_17partition_subalgoE6ExNS0_10empty_typeEbEEZZNS1_14partition_implILS5_6ELb0ES3_mN6thrust23THRUST_200600_302600_NS6detail15normal_iteratorINSA_10device_ptrIxEEEEPS6_SG_NS0_5tupleIJSF_S6_EEENSH_IJSG_SG_EEES6_PlJNSB_9not_fun_tINSB_14equal_to_valueIxEEEEEEE10hipError_tPvRmT3_T4_T5_T6_T7_T9_mT8_P12ihipStream_tbDpT10_ENKUlT_T0_E_clISt17integral_constantIbLb0EES17_IbLb1EEEEDaS13_S14_EUlS13_E_NS1_11comp_targetILNS1_3genE10ELNS1_11target_archE1200ELNS1_3gpuE4ELNS1_3repE0EEENS1_30default_config_static_selectorELNS0_4arch9wavefront6targetE0EEEvT1_,@function
_ZN7rocprim17ROCPRIM_400000_NS6detail17trampoline_kernelINS0_14default_configENS1_25partition_config_selectorILNS1_17partition_subalgoE6ExNS0_10empty_typeEbEEZZNS1_14partition_implILS5_6ELb0ES3_mN6thrust23THRUST_200600_302600_NS6detail15normal_iteratorINSA_10device_ptrIxEEEEPS6_SG_NS0_5tupleIJSF_S6_EEENSH_IJSG_SG_EEES6_PlJNSB_9not_fun_tINSB_14equal_to_valueIxEEEEEEE10hipError_tPvRmT3_T4_T5_T6_T7_T9_mT8_P12ihipStream_tbDpT10_ENKUlT_T0_E_clISt17integral_constantIbLb0EES17_IbLb1EEEEDaS13_S14_EUlS13_E_NS1_11comp_targetILNS1_3genE10ELNS1_11target_archE1200ELNS1_3gpuE4ELNS1_3repE0EEENS1_30default_config_static_selectorELNS0_4arch9wavefront6targetE0EEEvT1_: ; @_ZN7rocprim17ROCPRIM_400000_NS6detail17trampoline_kernelINS0_14default_configENS1_25partition_config_selectorILNS1_17partition_subalgoE6ExNS0_10empty_typeEbEEZZNS1_14partition_implILS5_6ELb0ES3_mN6thrust23THRUST_200600_302600_NS6detail15normal_iteratorINSA_10device_ptrIxEEEEPS6_SG_NS0_5tupleIJSF_S6_EEENSH_IJSG_SG_EEES6_PlJNSB_9not_fun_tINSB_14equal_to_valueIxEEEEEEE10hipError_tPvRmT3_T4_T5_T6_T7_T9_mT8_P12ihipStream_tbDpT10_ENKUlT_T0_E_clISt17integral_constantIbLb0EES17_IbLb1EEEEDaS13_S14_EUlS13_E_NS1_11comp_targetILNS1_3genE10ELNS1_11target_archE1200ELNS1_3gpuE4ELNS1_3repE0EEENS1_30default_config_static_selectorELNS0_4arch9wavefront6targetE0EEEvT1_
; %bb.0:
	s_clause 0x3
	s_load_b64 s[12:13], s[0:1], 0x28
	s_load_b128 s[8:11], s[0:1], 0x40
	s_load_b64 s[18:19], s[0:1], 0x50
	s_load_b64 s[14:15], s[0:1], 0x60
	v_cmp_eq_u32_e64 s2, 0, v0
	s_and_saveexec_b32 s3, s2
	s_cbranch_execz .LBB466_4
; %bb.1:
	s_mov_b32 s5, exec_lo
	s_mov_b32 s4, exec_lo
	v_mbcnt_lo_u32_b32 v1, s5, 0
                                        ; implicit-def: $vgpr2
	s_delay_alu instid0(VALU_DEP_1)
	v_cmpx_eq_u32_e32 0, v1
	s_cbranch_execz .LBB466_3
; %bb.2:
	s_load_b64 s[6:7], s[0:1], 0x70
	s_bcnt1_i32_b32 s5, s5
	s_wait_alu 0xfffe
	v_dual_mov_b32 v2, 0 :: v_dual_mov_b32 v3, s5
	s_wait_kmcnt 0x0
	global_atomic_add_u32 v2, v2, v3, s[6:7] th:TH_ATOMIC_RETURN scope:SCOPE_DEV
.LBB466_3:
	s_or_b32 exec_lo, exec_lo, s4
	s_wait_loadcnt 0x0
	v_readfirstlane_b32 s4, v2
	s_wait_alu 0xf1ff
	s_delay_alu instid0(VALU_DEP_1)
	v_dual_mov_b32 v2, 0 :: v_dual_add_nc_u32 v1, s4, v1
	ds_store_b32 v2, v1
.LBB466_4:
	s_or_b32 exec_lo, exec_lo, s3
	v_mov_b32_e32 v2, 0
	s_clause 0x2
	s_load_b128 s[4:7], s[0:1], 0x8
	s_load_b32 s3, s[0:1], 0x68
	s_load_b64 s[16:17], s[0:1], 0x78
	s_wait_dscnt 0x0
	s_barrier_signal -1
	s_barrier_wait -1
	global_inv scope:SCOPE_SE
	ds_load_b32 v1, v2
	s_wait_loadcnt_dscnt 0x0
	s_barrier_signal -1
	s_barrier_wait -1
	global_inv scope:SCOPE_SE
	s_wait_kmcnt 0x0
	global_load_b64 v[17:18], v2, s[10:11]
	s_mov_b32 s1, 0
	v_lshrrev_b32_e32 v9, 2, v0
	v_or_b32_e32 v11, 0x200, v0
	v_or_b32_e32 v10, 0x300, v0
	s_lshl_b64 s[20:21], s[6:7], 3
	s_lshl_b32 s0, s3, 10
	s_add_co_i32 s10, s3, -1
	s_add_nc_u64 s[22:23], s[6:7], s[0:1]
	s_lshl_b32 s3, s10, 10
	v_cmp_le_u64_e64 s1, s[18:19], s[22:23]
	s_add_co_i32 s0, s6, s3
	v_readfirstlane_b32 s11, v1
	v_lshlrev_b32_e32 v1, 10, v1
	s_add_nc_u64 s[4:5], s[4:5], s[20:21]
	s_cmp_eq_u32 s11, s10
	s_delay_alu instid0(VALU_DEP_1) | instskip(SKIP_1) | instid1(SALU_CYCLE_1)
	v_lshlrev_b64_e32 v[1:2], 3, v[1:2]
	s_cselect_b32 s6, -1, 0
	s_and_b32 s1, s1, s6
	s_delay_alu instid0(SALU_CYCLE_1) | instskip(SKIP_1) | instid1(VALU_DEP_1)
	s_xor_b32 s7, s1, -1
	s_wait_alu 0xfffe
	v_add_co_u32 v12, vcc_lo, s4, v1
	s_delay_alu instid0(VALU_DEP_1)
	v_add_co_ci_u32_e64 v13, null, s5, v2, vcc_lo
	s_and_b32 vcc_lo, exec_lo, s7
	s_mov_b32 s1, -1
	s_wait_alu 0xfffe
	s_cbranch_vccz .LBB466_6
; %bb.5:
	v_lshlrev_b32_e32 v14, 3, v0
	v_or_b32_e32 v15, 0x100, v0
	v_lshrrev_b32_e32 v16, 2, v11
	v_lshrrev_b32_e32 v19, 2, v10
	v_and_b32_e32 v20, 56, v9
	v_add_co_u32 v1, vcc_lo, v12, v14
	s_wait_alu 0xfffd
	v_add_co_ci_u32_e64 v2, null, 0, v13, vcc_lo
	v_lshrrev_b32_e32 v15, 2, v15
	v_and_b32_e32 v16, 0xb8, v16
	v_and_b32_e32 v19, 0xf8, v19
	s_clause 0x3
	flat_load_b64 v[3:4], v[1:2]
	flat_load_b64 v[5:6], v[1:2] offset:2048
	flat_load_b64 v[7:8], v[1:2] offset:4096
	;; [unrolled: 1-line block ×3, first 2 shown]
	v_add_nc_u32_e32 v20, v20, v14
	v_and_b32_e32 v15, 0x78, v15
	v_add_nc_u32_e32 v16, v16, v14
	s_mov_b32 s1, 0
	s_delay_alu instid0(VALU_DEP_2)
	v_add_nc_u32_e32 v15, v15, v14
	v_add_nc_u32_e32 v14, v19, v14
	s_wait_loadcnt_dscnt 0x303
	ds_store_b64 v20, v[3:4]
	s_wait_loadcnt_dscnt 0x203
	ds_store_b64 v15, v[5:6] offset:2048
	s_wait_loadcnt_dscnt 0x103
	ds_store_b64 v16, v[7:8] offset:4096
	;; [unrolled: 2-line block ×3, first 2 shown]
	s_wait_dscnt 0x0
	s_barrier_signal -1
	s_barrier_wait -1
.LBB466_6:
	s_and_not1_b32 vcc_lo, exec_lo, s1
	s_sub_co_i32 s18, s18, s0
	s_wait_alu 0xfffe
	s_cbranch_vccnz .LBB466_14
; %bb.7:
	v_mov_b32_e32 v1, 0
	s_mov_b32 s0, exec_lo
	s_delay_alu instid0(VALU_DEP_1)
	v_dual_mov_b32 v2, v1 :: v_dual_mov_b32 v3, v1
	v_dual_mov_b32 v4, v1 :: v_dual_mov_b32 v5, v1
	;; [unrolled: 1-line block ×3, first 2 shown]
	v_mov_b32_e32 v8, v1
	v_cmpx_gt_u32_e64 s18, v0
	s_cbranch_execz .LBB466_9
; %bb.8:
	v_dual_mov_b32 v21, v1 :: v_dual_lshlrev_b32 v2, 3, v0
	v_dual_mov_b32 v22, v1 :: v_dual_mov_b32 v23, v1
	v_dual_mov_b32 v24, v1 :: v_dual_mov_b32 v25, v1
	s_delay_alu instid0(VALU_DEP_3)
	v_add_co_u32 v2, vcc_lo, v12, v2
	s_wait_alu 0xfffd
	v_add_co_ci_u32_e64 v3, null, 0, v13, vcc_lo
	v_mov_b32_e32 v26, v1
	flat_load_b64 v[19:20], v[2:3]
	s_wait_loadcnt_dscnt 0x0
	v_dual_mov_b32 v1, v19 :: v_dual_mov_b32 v2, v20
	v_dual_mov_b32 v3, v21 :: v_dual_mov_b32 v4, v22
	;; [unrolled: 1-line block ×4, first 2 shown]
.LBB466_9:
	s_or_b32 exec_lo, exec_lo, s0
	v_or_b32_e32 v14, 0x100, v0
	s_mov_b32 s0, exec_lo
	s_delay_alu instid0(VALU_DEP_1)
	v_cmpx_gt_u32_e64 s18, v14
	s_cbranch_execnz .LBB466_132
; %bb.10:
	s_or_b32 exec_lo, exec_lo, s0
	s_delay_alu instid0(SALU_CYCLE_1)
	s_mov_b32 s0, exec_lo
	v_cmpx_gt_u32_e64 s18, v11
	s_cbranch_execnz .LBB466_133
.LBB466_11:
	s_or_b32 exec_lo, exec_lo, s0
	s_delay_alu instid0(SALU_CYCLE_1)
	s_mov_b32 s0, exec_lo
	v_cmpx_gt_u32_e64 s18, v10
	s_cbranch_execz .LBB466_13
.LBB466_12:
	v_lshlrev_b32_e32 v7, 3, v0
	s_delay_alu instid0(VALU_DEP_1)
	v_add_co_u32 v7, vcc_lo, v12, v7
	s_wait_alu 0xfffd
	v_add_co_ci_u32_e64 v8, null, 0, v13, vcc_lo
	flat_load_b64 v[7:8], v[7:8] offset:6144
.LBB466_13:
	s_or_b32 exec_lo, exec_lo, s0
	v_lshrrev_b32_e32 v12, 2, v14
	v_lshrrev_b32_e32 v11, 2, v11
	;; [unrolled: 1-line block ×3, first 2 shown]
	v_and_b32_e32 v9, 56, v9
	v_lshlrev_b32_e32 v13, 3, v0
	v_and_b32_e32 v12, 0x78, v12
	v_and_b32_e32 v11, 0xf8, v11
	;; [unrolled: 1-line block ×3, first 2 shown]
	s_delay_alu instid0(VALU_DEP_4) | instskip(NEXT) | instid1(VALU_DEP_4)
	v_add_nc_u32_e32 v9, v9, v13
	v_add_nc_u32_e32 v12, v12, v13
	s_delay_alu instid0(VALU_DEP_4) | instskip(NEXT) | instid1(VALU_DEP_4)
	v_add_nc_u32_e32 v11, v11, v13
	v_add_nc_u32_e32 v10, v10, v13
	ds_store_b64 v9, v[1:2]
	s_wait_loadcnt_dscnt 0x1
	ds_store_b64 v12, v[3:4] offset:2048
	ds_store_b64 v11, v[5:6] offset:4096
	;; [unrolled: 1-line block ×3, first 2 shown]
	s_wait_dscnt 0x0
	s_barrier_signal -1
	s_barrier_wait -1
.LBB466_14:
	v_and_b32_e32 v1, 0xf8, v0
	s_wait_loadcnt 0x0
	global_inv scope:SCOPE_SE
	s_and_not1_b32 vcc_lo, exec_lo, s7
	v_lshl_add_u32 v5, v0, 5, v1
	ds_load_2addr_b64 v[1:4], v5 offset1:3
	ds_load_2addr_b64 v[5:8], v5 offset0:1 offset1:2
	s_wait_loadcnt_dscnt 0x0
	s_barrier_signal -1
	s_barrier_wait -1
	global_inv scope:SCOPE_SE
	v_cmp_ne_u64_e64 s0, s[16:17], v[1:2]
	v_cmp_ne_u64_e64 s10, s[16:17], v[3:4]
	s_wait_alu 0xfffe
	s_cbranch_vccnz .LBB466_16
; %bb.15:
	v_cmp_ne_u64_e32 vcc_lo, s[16:17], v[7:8]
	v_cndmask_b32_e64 v29, 0, 1, s0
	s_wait_alu 0xfffd
	v_cndmask_b32_e64 v27, 0, 1, vcc_lo
	v_cmp_ne_u64_e32 vcc_lo, s[16:17], v[5:6]
	s_delay_alu instid0(VALU_DEP_2) | instskip(SKIP_2) | instid1(VALU_DEP_1)
	v_lshlrev_b16 v10, 8, v27
	s_wait_alu 0xfffd
	v_cndmask_b32_e64 v9, 0, 1, vcc_lo
	v_or_b32_e32 v28, v9, v10
	s_cbranch_execz .LBB466_17
	s_branch .LBB466_18
.LBB466_16:
                                        ; implicit-def: $sgpr10
                                        ; implicit-def: $vgpr29
                                        ; implicit-def: $vgpr28
                                        ; implicit-def: $vgpr27
.LBB466_17:
	v_lshlrev_b32_e32 v9, 2, v0
	v_cmp_ne_u64_e64 s0, s[16:17], v[7:8]
	v_cmp_ne_u64_e64 s3, s[16:17], v[5:6]
	v_cmp_ne_u64_e32 vcc_lo, s[16:17], v[1:2]
	v_cmp_ne_u64_e64 s4, s[16:17], v[3:4]
	v_or_b32_e32 v10, 2, v9
	v_or_b32_e32 v11, 1, v9
	s_delay_alu instid0(VALU_DEP_2) | instskip(NEXT) | instid1(VALU_DEP_2)
	v_cmp_gt_u32_e64 s1, s18, v10
	v_cmp_gt_u32_e64 s5, s18, v11
	v_or_b32_e32 v10, 3, v9
	s_and_b32 s0, s1, s0
	s_and_b32 s3, s5, s3
	s_wait_alu 0xfffe
	v_cndmask_b32_e64 v27, 0, 1, s0
	v_cmp_gt_u32_e64 s0, s18, v9
	v_cmp_gt_u32_e64 s1, s18, v10
	v_cndmask_b32_e64 v9, 0, 1, s3
	s_delay_alu instid0(VALU_DEP_4)
	v_lshlrev_b16 v10, 8, v27
	s_and_b32 s0, s0, vcc_lo
	s_wait_alu 0xfffe
	v_cndmask_b32_e64 v29, 0, 1, s0
	s_and_b32 s0, s1, s4
	v_or_b32_e32 v28, v9, v10
	s_and_not1_b32 s1, s10, exec_lo
	s_wait_alu 0xfffe
	s_and_b32 s0, s0, exec_lo
	s_wait_alu 0xfffe
	s_or_b32 s10, s1, s0
.LBB466_18:
	v_and_b32_e32 v32, 0xff, v29
	s_delay_alu instid0(VALU_DEP_2)
	v_dual_mov_b32 v10, 0 :: v_dual_and_b32 v31, 0xff, v28
	v_cndmask_b32_e64 v9, 0, 1, s10
	v_mbcnt_lo_u32_b32 v33, -1, 0
	v_and_b32_e32 v30, 0xff, v27
	s_cmp_lg_u32 s11, 0
	s_mov_b32 s1, -1
	v_add3_u32 v9, v32, v9, v31
	v_and_b32_e32 v34, 15, v33
	s_delay_alu instid0(VALU_DEP_2) | instskip(SKIP_2) | instid1(VALU_DEP_3)
	v_add_co_u32 v19, s0, v9, v30
	s_wait_alu 0xf1ff
	v_add_co_ci_u32_e64 v20, null, 0, 0, s0
	v_cmp_ne_u32_e64 s0, 0, v34
	s_cbranch_scc0 .LBB466_75
; %bb.19:
	v_mov_b32_e32 v11, v19
	v_mov_b32_dpp v9, v19 row_shr:1 row_mask:0xf bank_mask:0xf
	v_mov_b32_dpp v14, v10 row_shr:1 row_mask:0xf bank_mask:0xf
	v_dual_mov_b32 v13, v19 :: v_dual_mov_b32 v12, v20
	s_and_saveexec_b32 s1, s0
; %bb.20:
	s_delay_alu instid0(VALU_DEP_3) | instskip(SKIP_2) | instid1(VALU_DEP_2)
	v_add_co_u32 v13, vcc_lo, v19, v9
	s_wait_alu 0xfffd
	v_add_co_ci_u32_e64 v10, null, 0, v20, vcc_lo
	v_add_co_u32 v9, vcc_lo, 0, v13
	s_wait_alu 0xfffd
	s_delay_alu instid0(VALU_DEP_2) | instskip(NEXT) | instid1(VALU_DEP_1)
	v_add_co_ci_u32_e64 v10, null, v14, v10, vcc_lo
	v_dual_mov_b32 v12, v10 :: v_dual_mov_b32 v11, v9
; %bb.21:
	s_wait_alu 0xfffe
	s_or_b32 exec_lo, exec_lo, s1
	v_mov_b32_dpp v9, v13 row_shr:2 row_mask:0xf bank_mask:0xf
	v_mov_b32_dpp v14, v10 row_shr:2 row_mask:0xf bank_mask:0xf
	s_mov_b32 s1, exec_lo
	v_cmpx_lt_u32_e32 1, v34
; %bb.22:
	s_delay_alu instid0(VALU_DEP_3) | instskip(SKIP_2) | instid1(VALU_DEP_2)
	v_add_co_u32 v13, vcc_lo, v11, v9
	s_wait_alu 0xfffd
	v_add_co_ci_u32_e64 v10, null, 0, v12, vcc_lo
	v_add_co_u32 v9, vcc_lo, 0, v13
	s_wait_alu 0xfffd
	s_delay_alu instid0(VALU_DEP_2) | instskip(NEXT) | instid1(VALU_DEP_1)
	v_add_co_ci_u32_e64 v10, null, v14, v10, vcc_lo
	v_dual_mov_b32 v12, v10 :: v_dual_mov_b32 v11, v9
; %bb.23:
	s_wait_alu 0xfffe
	s_or_b32 exec_lo, exec_lo, s1
	v_mov_b32_dpp v9, v13 row_shr:4 row_mask:0xf bank_mask:0xf
	v_mov_b32_dpp v14, v10 row_shr:4 row_mask:0xf bank_mask:0xf
	s_mov_b32 s1, exec_lo
	v_cmpx_lt_u32_e32 3, v34
	;; [unrolled: 17-line block ×3, first 2 shown]
; %bb.26:
	s_delay_alu instid0(VALU_DEP_3) | instskip(SKIP_2) | instid1(VALU_DEP_2)
	v_add_co_u32 v13, vcc_lo, v11, v14
	s_wait_alu 0xfffd
	v_add_co_ci_u32_e64 v10, null, 0, v12, vcc_lo
	v_add_co_u32 v11, vcc_lo, 0, v13
	s_wait_alu 0xfffd
	s_delay_alu instid0(VALU_DEP_2) | instskip(NEXT) | instid1(VALU_DEP_1)
	v_add_co_ci_u32_e64 v12, null, v9, v10, vcc_lo
	v_mov_b32_e32 v10, v12
; %bb.27:
	s_wait_alu 0xfffe
	s_or_b32 exec_lo, exec_lo, s1
	ds_swizzle_b32 v9, v13 offset:swizzle(BROADCAST,32,15)
	ds_swizzle_b32 v14, v10 offset:swizzle(BROADCAST,32,15)
	v_and_b32_e32 v15, 16, v33
	s_mov_b32 s1, exec_lo
	s_delay_alu instid0(VALU_DEP_1)
	v_cmpx_ne_u32_e32 0, v15
	s_cbranch_execz .LBB466_29
; %bb.28:
	s_wait_dscnt 0x1
	v_add_co_u32 v13, vcc_lo, v11, v9
	s_wait_alu 0xfffd
	v_add_co_ci_u32_e64 v10, null, 0, v12, vcc_lo
	s_delay_alu instid0(VALU_DEP_2) | instskip(SKIP_2) | instid1(VALU_DEP_2)
	v_add_co_u32 v9, vcc_lo, 0, v13
	s_wait_dscnt 0x0
	s_wait_alu 0xfffd
	v_add_co_ci_u32_e64 v10, null, v14, v10, vcc_lo
	s_delay_alu instid0(VALU_DEP_1)
	v_dual_mov_b32 v12, v10 :: v_dual_mov_b32 v11, v9
.LBB466_29:
	s_wait_alu 0xfffe
	s_or_b32 exec_lo, exec_lo, s1
	s_wait_dscnt 0x0
	v_or_b32_e32 v14, 31, v0
	v_lshrrev_b32_e32 v9, 5, v0
	s_mov_b32 s1, exec_lo
	s_delay_alu instid0(VALU_DEP_2)
	v_cmpx_eq_u32_e64 v0, v14
; %bb.30:
	s_delay_alu instid0(VALU_DEP_2)
	v_lshlrev_b32_e32 v14, 3, v9
	ds_store_b64 v14, v[11:12]
; %bb.31:
	s_wait_alu 0xfffe
	s_or_b32 exec_lo, exec_lo, s1
	s_delay_alu instid0(SALU_CYCLE_1)
	s_mov_b32 s1, exec_lo
	s_wait_loadcnt_dscnt 0x0
	s_barrier_signal -1
	s_barrier_wait -1
	global_inv scope:SCOPE_SE
	v_cmpx_gt_u32_e32 8, v0
	s_cbranch_execz .LBB466_39
; %bb.32:
	v_lshlrev_b32_e32 v14, 3, v0
	s_mov_b32 s3, exec_lo
	ds_load_b64 v[11:12], v14
	s_wait_dscnt 0x0
	v_dual_mov_b32 v16, v11 :: v_dual_and_b32 v15, 7, v33
	v_mov_b32_dpp v22, v11 row_shr:1 row_mask:0xf bank_mask:0xf
	v_mov_b32_dpp v21, v12 row_shr:1 row_mask:0xf bank_mask:0xf
	s_delay_alu instid0(VALU_DEP_3)
	v_cmpx_ne_u32_e32 0, v15
; %bb.33:
	s_delay_alu instid0(VALU_DEP_3) | instskip(SKIP_2) | instid1(VALU_DEP_2)
	v_add_co_u32 v16, vcc_lo, v11, v22
	s_wait_alu 0xfffd
	v_add_co_ci_u32_e64 v12, null, 0, v12, vcc_lo
	v_add_co_u32 v11, vcc_lo, 0, v16
	s_wait_alu 0xfffd
	s_delay_alu instid0(VALU_DEP_2)
	v_add_co_ci_u32_e64 v12, null, v21, v12, vcc_lo
; %bb.34:
	s_wait_alu 0xfffe
	s_or_b32 exec_lo, exec_lo, s3
	v_mov_b32_dpp v22, v16 row_shr:2 row_mask:0xf bank_mask:0xf
	s_delay_alu instid0(VALU_DEP_2)
	v_mov_b32_dpp v21, v12 row_shr:2 row_mask:0xf bank_mask:0xf
	s_mov_b32 s3, exec_lo
	v_cmpx_lt_u32_e32 1, v15
; %bb.35:
	s_delay_alu instid0(VALU_DEP_3) | instskip(SKIP_2) | instid1(VALU_DEP_2)
	v_add_co_u32 v16, vcc_lo, v11, v22
	s_wait_alu 0xfffd
	v_add_co_ci_u32_e64 v12, null, 0, v12, vcc_lo
	v_add_co_u32 v11, vcc_lo, 0, v16
	s_wait_alu 0xfffd
	s_delay_alu instid0(VALU_DEP_2)
	v_add_co_ci_u32_e64 v12, null, v21, v12, vcc_lo
; %bb.36:
	s_wait_alu 0xfffe
	s_or_b32 exec_lo, exec_lo, s3
	v_mov_b32_dpp v21, v16 row_shr:4 row_mask:0xf bank_mask:0xf
	s_delay_alu instid0(VALU_DEP_2)
	v_mov_b32_dpp v16, v12 row_shr:4 row_mask:0xf bank_mask:0xf
	s_mov_b32 s3, exec_lo
	v_cmpx_lt_u32_e32 3, v15
; %bb.37:
	s_delay_alu instid0(VALU_DEP_3) | instskip(SKIP_2) | instid1(VALU_DEP_2)
	v_add_co_u32 v11, vcc_lo, v11, v21
	s_wait_alu 0xfffd
	v_add_co_ci_u32_e64 v12, null, 0, v12, vcc_lo
	v_add_co_u32 v11, vcc_lo, v11, 0
	s_wait_alu 0xfffd
	s_delay_alu instid0(VALU_DEP_2)
	v_add_co_ci_u32_e64 v12, null, v12, v16, vcc_lo
; %bb.38:
	s_wait_alu 0xfffe
	s_or_b32 exec_lo, exec_lo, s3
	ds_store_b64 v14, v[11:12]
.LBB466_39:
	s_wait_alu 0xfffe
	s_or_b32 exec_lo, exec_lo, s1
	s_delay_alu instid0(SALU_CYCLE_1)
	s_mov_b32 s3, exec_lo
	v_cmp_gt_u32_e32 vcc_lo, 32, v0
	s_wait_loadcnt_dscnt 0x0
	s_barrier_signal -1
	s_barrier_wait -1
	global_inv scope:SCOPE_SE
                                        ; implicit-def: $vgpr21_vgpr22
	v_cmpx_lt_u32_e32 31, v0
	s_cbranch_execz .LBB466_41
; %bb.40:
	v_lshl_add_u32 v9, v9, 3, -8
	ds_load_b64 v[21:22], v9
	s_wait_dscnt 0x0
	v_add_co_u32 v13, s1, v13, v21
	s_wait_alu 0xf1ff
	v_add_co_ci_u32_e64 v10, null, v10, v22, s1
.LBB466_41:
	s_wait_alu 0xfffe
	s_or_b32 exec_lo, exec_lo, s3
	v_sub_co_u32 v9, s1, v33, 1
	s_delay_alu instid0(VALU_DEP_1) | instskip(SKIP_1) | instid1(VALU_DEP_1)
	v_cmp_gt_i32_e64 s3, 0, v9
	s_wait_alu 0xf1ff
	v_cndmask_b32_e64 v9, v9, v33, s3
	s_delay_alu instid0(VALU_DEP_1)
	v_lshlrev_b32_e32 v9, 2, v9
	ds_bpermute_b32 v35, v9, v13
	ds_bpermute_b32 v36, v9, v10
	s_and_saveexec_b32 s3, vcc_lo
	s_cbranch_execz .LBB466_80
; %bb.42:
	v_mov_b32_e32 v12, 0
	ds_load_b64 v[9:10], v12 offset:56
	s_and_saveexec_b32 s4, s1
	s_cbranch_execz .LBB466_44
; %bb.43:
	s_add_co_i32 s16, s11, 32
	s_mov_b32 s17, 0
	s_wait_alu 0xfffe
	s_lshl_b64 s[16:17], s[16:17], 4
	s_wait_alu 0xfffe
	s_add_nc_u64 s[16:17], s[14:15], s[16:17]
	v_mov_b32_e32 v11, 1
	s_wait_alu 0xfffe
	v_dual_mov_b32 v13, s16 :: v_dual_mov_b32 v14, s17
	s_wait_dscnt 0x0
	;;#ASMSTART
	global_store_b128 v[13:14], v[9:12] off scope:SCOPE_DEV	
s_wait_storecnt 0x0
	;;#ASMEND
.LBB466_44:
	s_wait_alu 0xfffe
	s_or_b32 exec_lo, exec_lo, s4
	v_xad_u32 v23, v33, -1, s11
	s_mov_b32 s5, 0
	s_mov_b32 s4, exec_lo
	s_delay_alu instid0(VALU_DEP_1) | instskip(NEXT) | instid1(VALU_DEP_1)
	v_add_nc_u32_e32 v11, 32, v23
	v_lshlrev_b64_e32 v[11:12], 4, v[11:12]
	s_delay_alu instid0(VALU_DEP_1) | instskip(SKIP_1) | instid1(VALU_DEP_2)
	v_add_co_u32 v11, vcc_lo, s14, v11
	s_wait_alu 0xfffd
	v_add_co_ci_u32_e64 v12, null, s15, v12, vcc_lo
	;;#ASMSTART
	global_load_b128 v[13:16], v[11:12] off scope:SCOPE_DEV	
s_wait_loadcnt 0x0
	;;#ASMEND
	v_and_b32_e32 v16, 0xff, v15
	s_delay_alu instid0(VALU_DEP_1)
	v_cmpx_eq_u16_e32 0, v16
	s_cbranch_execz .LBB466_47
.LBB466_45:                             ; =>This Inner Loop Header: Depth=1
	;;#ASMSTART
	global_load_b128 v[13:16], v[11:12] off scope:SCOPE_DEV	
s_wait_loadcnt 0x0
	;;#ASMEND
	v_and_b32_e32 v16, 0xff, v15
	s_delay_alu instid0(VALU_DEP_1)
	v_cmp_ne_u16_e32 vcc_lo, 0, v16
	s_wait_alu 0xfffe
	s_or_b32 s5, vcc_lo, s5
	s_wait_alu 0xfffe
	s_and_not1_b32 exec_lo, exec_lo, s5
	s_cbranch_execnz .LBB466_45
; %bb.46:
	s_or_b32 exec_lo, exec_lo, s5
.LBB466_47:
	s_wait_alu 0xfffe
	s_or_b32 exec_lo, exec_lo, s4
	v_cmp_ne_u32_e32 vcc_lo, 31, v33
	v_and_b32_e32 v12, 0xff, v15
	v_lshlrev_b32_e64 v38, v33, -1
	s_mov_b32 s4, exec_lo
	s_wait_alu 0xfffd
	v_add_co_ci_u32_e64 v11, null, 0, v33, vcc_lo
	v_cmp_eq_u16_e32 vcc_lo, 2, v12
	s_delay_alu instid0(VALU_DEP_2)
	v_dual_mov_b32 v12, v13 :: v_dual_lshlrev_b32 v37, 2, v11
	s_wait_alu 0xfffd
	v_and_or_b32 v11, vcc_lo, v38, 0x80000000
	ds_bpermute_b32 v24, v37, v13
	ds_bpermute_b32 v16, v37, v14
	v_ctz_i32_b32_e32 v11, v11
	s_delay_alu instid0(VALU_DEP_1)
	v_cmpx_lt_u32_e64 v33, v11
	s_cbranch_execz .LBB466_49
; %bb.48:
	s_wait_dscnt 0x1
	v_add_co_u32 v12, vcc_lo, v13, v24
	s_wait_alu 0xfffd
	v_add_co_ci_u32_e64 v14, null, 0, v14, vcc_lo
	s_delay_alu instid0(VALU_DEP_2) | instskip(SKIP_2) | instid1(VALU_DEP_2)
	v_add_co_u32 v13, vcc_lo, 0, v12
	s_wait_dscnt 0x0
	s_wait_alu 0xfffd
	v_add_co_ci_u32_e64 v14, null, v16, v14, vcc_lo
.LBB466_49:
	s_wait_alu 0xfffe
	s_or_b32 exec_lo, exec_lo, s4
	v_cmp_gt_u32_e32 vcc_lo, 30, v33
	v_add_nc_u32_e32 v40, 2, v33
	s_mov_b32 s4, exec_lo
	s_wait_dscnt 0x0
	s_wait_alu 0xfffd
	v_cndmask_b32_e64 v16, 0, 2, vcc_lo
	s_delay_alu instid0(VALU_DEP_1)
	v_add_lshl_u32 v39, v16, v33, 2
	ds_bpermute_b32 v24, v39, v12
	ds_bpermute_b32 v16, v39, v14
	v_cmpx_le_u32_e64 v40, v11
	s_cbranch_execz .LBB466_51
; %bb.50:
	s_wait_dscnt 0x1
	v_add_co_u32 v12, vcc_lo, v13, v24
	s_wait_alu 0xfffd
	v_add_co_ci_u32_e64 v14, null, 0, v14, vcc_lo
	s_delay_alu instid0(VALU_DEP_2) | instskip(SKIP_2) | instid1(VALU_DEP_2)
	v_add_co_u32 v13, vcc_lo, 0, v12
	s_wait_dscnt 0x0
	s_wait_alu 0xfffd
	v_add_co_ci_u32_e64 v14, null, v16, v14, vcc_lo
.LBB466_51:
	s_wait_alu 0xfffe
	s_or_b32 exec_lo, exec_lo, s4
	v_cmp_gt_u32_e32 vcc_lo, 28, v33
	v_add_nc_u32_e32 v42, 4, v33
	s_mov_b32 s4, exec_lo
	s_wait_dscnt 0x0
	s_wait_alu 0xfffd
	v_cndmask_b32_e64 v16, 0, 4, vcc_lo
	s_delay_alu instid0(VALU_DEP_1)
	v_add_lshl_u32 v41, v16, v33, 2
	ds_bpermute_b32 v24, v41, v12
	ds_bpermute_b32 v16, v41, v14
	v_cmpx_le_u32_e64 v42, v11
	;; [unrolled: 25-line block ×3, first 2 shown]
	s_cbranch_execz .LBB466_55
; %bb.54:
	s_wait_dscnt 0x1
	v_add_co_u32 v12, vcc_lo, v13, v24
	s_wait_alu 0xfffd
	v_add_co_ci_u32_e64 v14, null, 0, v14, vcc_lo
	s_delay_alu instid0(VALU_DEP_2) | instskip(SKIP_2) | instid1(VALU_DEP_2)
	v_add_co_u32 v13, vcc_lo, 0, v12
	s_wait_dscnt 0x0
	s_wait_alu 0xfffd
	v_add_co_ci_u32_e64 v14, null, v16, v14, vcc_lo
.LBB466_55:
	s_wait_alu 0xfffe
	s_or_b32 exec_lo, exec_lo, s4
	v_lshl_or_b32 v45, v33, 2, 64
	v_add_nc_u32_e32 v46, 16, v33
	s_mov_b32 s4, exec_lo
	s_wait_dscnt 0x0
	ds_bpermute_b32 v16, v45, v12
	ds_bpermute_b32 v12, v45, v14
	v_cmpx_le_u32_e64 v46, v11
	s_cbranch_execz .LBB466_57
; %bb.56:
	s_wait_dscnt 0x1
	v_add_co_u32 v11, vcc_lo, v13, v16
	s_wait_alu 0xfffd
	v_add_co_ci_u32_e64 v14, null, 0, v14, vcc_lo
	s_delay_alu instid0(VALU_DEP_2) | instskip(SKIP_2) | instid1(VALU_DEP_2)
	v_add_co_u32 v13, vcc_lo, v11, 0
	s_wait_dscnt 0x0
	s_wait_alu 0xfffd
	v_add_co_ci_u32_e64 v14, null, v14, v12, vcc_lo
.LBB466_57:
	s_wait_alu 0xfffe
	s_or_b32 exec_lo, exec_lo, s4
	v_mov_b32_e32 v24, 0
	s_branch .LBB466_60
.LBB466_58:                             ;   in Loop: Header=BB466_60 Depth=1
	s_wait_alu 0xfffe
	s_or_b32 exec_lo, exec_lo, s4
	v_add_co_u32 v13, vcc_lo, v13, v11
	v_subrev_nc_u32_e32 v23, 32, v23
	s_wait_alu 0xfffd
	v_add_co_ci_u32_e64 v14, null, v14, v12, vcc_lo
	s_mov_b32 s4, 0
.LBB466_59:                             ;   in Loop: Header=BB466_60 Depth=1
	s_wait_alu 0xfffe
	s_and_b32 vcc_lo, exec_lo, s4
	s_wait_alu 0xfffe
	s_cbranch_vccnz .LBB466_76
.LBB466_60:                             ; =>This Loop Header: Depth=1
                                        ;     Child Loop BB466_63 Depth 2
	v_and_b32_e32 v11, 0xff, v15
	s_mov_b32 s4, -1
	s_delay_alu instid0(VALU_DEP_1)
	v_cmp_ne_u16_e32 vcc_lo, 2, v11
	s_wait_dscnt 0x0
	v_dual_mov_b32 v11, v13 :: v_dual_mov_b32 v12, v14
                                        ; implicit-def: $vgpr13_vgpr14
	s_cmp_lg_u32 vcc_lo, exec_lo
	s_cbranch_scc1 .LBB466_59
; %bb.61:                               ;   in Loop: Header=BB466_60 Depth=1
	v_lshlrev_b64_e32 v[13:14], 4, v[23:24]
	s_mov_b32 s4, exec_lo
	s_delay_alu instid0(VALU_DEP_1) | instskip(SKIP_1) | instid1(VALU_DEP_2)
	v_add_co_u32 v25, vcc_lo, s14, v13
	s_wait_alu 0xfffd
	v_add_co_ci_u32_e64 v26, null, s15, v14, vcc_lo
	;;#ASMSTART
	global_load_b128 v[13:16], v[25:26] off scope:SCOPE_DEV	
s_wait_loadcnt 0x0
	;;#ASMEND
	v_and_b32_e32 v16, 0xff, v15
	s_delay_alu instid0(VALU_DEP_1)
	v_cmpx_eq_u16_e32 0, v16
	s_cbranch_execz .LBB466_65
; %bb.62:                               ;   in Loop: Header=BB466_60 Depth=1
	s_mov_b32 s5, 0
.LBB466_63:                             ;   Parent Loop BB466_60 Depth=1
                                        ; =>  This Inner Loop Header: Depth=2
	;;#ASMSTART
	global_load_b128 v[13:16], v[25:26] off scope:SCOPE_DEV	
s_wait_loadcnt 0x0
	;;#ASMEND
	v_and_b32_e32 v16, 0xff, v15
	s_delay_alu instid0(VALU_DEP_1)
	v_cmp_ne_u16_e32 vcc_lo, 0, v16
	s_wait_alu 0xfffe
	s_or_b32 s5, vcc_lo, s5
	s_wait_alu 0xfffe
	s_and_not1_b32 exec_lo, exec_lo, s5
	s_cbranch_execnz .LBB466_63
; %bb.64:                               ;   in Loop: Header=BB466_60 Depth=1
	s_or_b32 exec_lo, exec_lo, s5
.LBB466_65:                             ;   in Loop: Header=BB466_60 Depth=1
	s_wait_alu 0xfffe
	s_or_b32 exec_lo, exec_lo, s4
	v_dual_mov_b32 v25, v13 :: v_dual_and_b32 v16, 0xff, v15
	ds_bpermute_b32 v47, v37, v13
	ds_bpermute_b32 v26, v37, v14
	s_mov_b32 s4, exec_lo
	v_cmp_eq_u16_e32 vcc_lo, 2, v16
	s_wait_alu 0xfffd
	v_and_or_b32 v16, vcc_lo, v38, 0x80000000
	s_delay_alu instid0(VALU_DEP_1) | instskip(NEXT) | instid1(VALU_DEP_1)
	v_ctz_i32_b32_e32 v16, v16
	v_cmpx_lt_u32_e64 v33, v16
	s_cbranch_execz .LBB466_67
; %bb.66:                               ;   in Loop: Header=BB466_60 Depth=1
	s_wait_dscnt 0x1
	v_add_co_u32 v25, vcc_lo, v13, v47
	s_wait_alu 0xfffd
	v_add_co_ci_u32_e64 v14, null, 0, v14, vcc_lo
	s_delay_alu instid0(VALU_DEP_2) | instskip(SKIP_2) | instid1(VALU_DEP_2)
	v_add_co_u32 v13, vcc_lo, 0, v25
	s_wait_dscnt 0x0
	s_wait_alu 0xfffd
	v_add_co_ci_u32_e64 v14, null, v26, v14, vcc_lo
.LBB466_67:                             ;   in Loop: Header=BB466_60 Depth=1
	s_wait_alu 0xfffe
	s_or_b32 exec_lo, exec_lo, s4
	s_wait_dscnt 0x1
	ds_bpermute_b32 v47, v39, v25
	s_wait_dscnt 0x1
	ds_bpermute_b32 v26, v39, v14
	s_mov_b32 s4, exec_lo
	v_cmpx_le_u32_e64 v40, v16
	s_cbranch_execz .LBB466_69
; %bb.68:                               ;   in Loop: Header=BB466_60 Depth=1
	s_wait_dscnt 0x1
	v_add_co_u32 v25, vcc_lo, v13, v47
	s_wait_alu 0xfffd
	v_add_co_ci_u32_e64 v14, null, 0, v14, vcc_lo
	s_delay_alu instid0(VALU_DEP_2) | instskip(SKIP_2) | instid1(VALU_DEP_2)
	v_add_co_u32 v13, vcc_lo, 0, v25
	s_wait_dscnt 0x0
	s_wait_alu 0xfffd
	v_add_co_ci_u32_e64 v14, null, v26, v14, vcc_lo
.LBB466_69:                             ;   in Loop: Header=BB466_60 Depth=1
	s_wait_alu 0xfffe
	s_or_b32 exec_lo, exec_lo, s4
	s_wait_dscnt 0x1
	ds_bpermute_b32 v47, v41, v25
	s_wait_dscnt 0x1
	ds_bpermute_b32 v26, v41, v14
	s_mov_b32 s4, exec_lo
	v_cmpx_le_u32_e64 v42, v16
	;; [unrolled: 20-line block ×3, first 2 shown]
	s_cbranch_execz .LBB466_73
; %bb.72:                               ;   in Loop: Header=BB466_60 Depth=1
	s_wait_dscnt 0x1
	v_add_co_u32 v25, vcc_lo, v13, v47
	s_wait_alu 0xfffd
	v_add_co_ci_u32_e64 v14, null, 0, v14, vcc_lo
	s_delay_alu instid0(VALU_DEP_2) | instskip(SKIP_2) | instid1(VALU_DEP_2)
	v_add_co_u32 v13, vcc_lo, 0, v25
	s_wait_dscnt 0x0
	s_wait_alu 0xfffd
	v_add_co_ci_u32_e64 v14, null, v26, v14, vcc_lo
.LBB466_73:                             ;   in Loop: Header=BB466_60 Depth=1
	s_wait_alu 0xfffe
	s_or_b32 exec_lo, exec_lo, s4
	s_wait_dscnt 0x0
	ds_bpermute_b32 v26, v45, v25
	ds_bpermute_b32 v25, v45, v14
	s_mov_b32 s4, exec_lo
	v_cmpx_le_u32_e64 v46, v16
	s_cbranch_execz .LBB466_58
; %bb.74:                               ;   in Loop: Header=BB466_60 Depth=1
	s_wait_dscnt 0x1
	v_add_co_u32 v13, vcc_lo, v13, v26
	s_wait_alu 0xfffd
	v_add_co_ci_u32_e64 v14, null, 0, v14, vcc_lo
	s_delay_alu instid0(VALU_DEP_2) | instskip(SKIP_2) | instid1(VALU_DEP_2)
	v_add_co_u32 v13, vcc_lo, v13, 0
	s_wait_dscnt 0x0
	s_wait_alu 0xfffd
	v_add_co_ci_u32_e64 v14, null, v14, v25, vcc_lo
	s_branch .LBB466_58
.LBB466_75:
                                        ; implicit-def: $vgpr15_vgpr16
                                        ; implicit-def: $vgpr13_vgpr14
                                        ; implicit-def: $vgpr21_vgpr22
                                        ; implicit-def: $vgpr23_vgpr24
                                        ; implicit-def: $vgpr11_vgpr12
	s_wait_alu 0xfffe
	s_and_b32 vcc_lo, exec_lo, s1
	s_wait_alu 0xfffe
	s_cbranch_vccnz .LBB466_81
	s_branch .LBB466_106
.LBB466_76:
	s_and_saveexec_b32 s4, s1
	s_cbranch_execz .LBB466_78
; %bb.77:
	s_add_co_i32 s16, s11, 32
	s_mov_b32 s17, 0
	v_add_co_u32 v13, vcc_lo, v11, v9
	s_wait_alu 0xfffe
	s_lshl_b64 s[16:17], s[16:17], 4
	v_dual_mov_b32 v15, 2 :: v_dual_mov_b32 v16, 0
	s_wait_alu 0xfffe
	s_add_nc_u64 s[16:17], s[14:15], s[16:17]
	s_wait_alu 0xfffd
	v_add_co_ci_u32_e64 v14, null, v12, v10, vcc_lo
	s_wait_alu 0xfffe
	v_dual_mov_b32 v24, s17 :: v_dual_mov_b32 v23, s16
	;;#ASMSTART
	global_store_b128 v[23:24], v[13:16] off scope:SCOPE_DEV	
s_wait_storecnt 0x0
	;;#ASMEND
	ds_store_b128 v16, v[9:12] offset:8448
.LBB466_78:
	s_wait_alu 0xfffe
	s_or_b32 exec_lo, exec_lo, s4
	s_delay_alu instid0(SALU_CYCLE_1)
	s_and_b32 exec_lo, exec_lo, s2
; %bb.79:
	v_mov_b32_e32 v9, 0
	ds_store_b64 v9, v[11:12] offset:56
.LBB466_80:
	s_wait_alu 0xfffe
	s_or_b32 exec_lo, exec_lo, s3
	v_mov_b32_e32 v9, 0
	s_wait_loadcnt_dscnt 0x0
	s_barrier_signal -1
	s_barrier_wait -1
	global_inv scope:SCOPE_SE
	ds_load_b64 v[13:14], v9 offset:56
	v_cndmask_b32_e64 v11, v35, v21, s1
	v_cndmask_b32_e64 v10, v36, v22, s1
	s_wait_loadcnt_dscnt 0x0
	s_barrier_signal -1
	s_barrier_wait -1
	v_cndmask_b32_e64 v16, v11, 0, s2
	v_cndmask_b32_e64 v15, v10, 0, s2
	global_inv scope:SCOPE_SE
	ds_load_b128 v[9:12], v9 offset:8448
	v_add_co_u32 v23, vcc_lo, v13, v16
	s_wait_alu 0xfffd
	v_add_co_ci_u32_e64 v24, null, v14, v15, vcc_lo
	s_delay_alu instid0(VALU_DEP_2) | instskip(SKIP_1) | instid1(VALU_DEP_2)
	v_add_co_u32 v21, vcc_lo, v23, v32
	s_wait_alu 0xfffd
	v_add_co_ci_u32_e64 v22, null, 0, v24, vcc_lo
	s_delay_alu instid0(VALU_DEP_2) | instskip(SKIP_1) | instid1(VALU_DEP_2)
	v_add_co_u32 v13, vcc_lo, v21, v31
	s_wait_alu 0xfffd
	v_add_co_ci_u32_e64 v14, null, 0, v22, vcc_lo
	s_delay_alu instid0(VALU_DEP_2) | instskip(SKIP_1) | instid1(VALU_DEP_2)
	v_add_co_u32 v15, vcc_lo, v13, v30
	s_wait_alu 0xfffd
	v_add_co_ci_u32_e64 v16, null, 0, v14, vcc_lo
	s_branch .LBB466_106
.LBB466_81:
	s_wait_dscnt 0x0
	v_dual_mov_b32 v10, 0 :: v_dual_mov_b32 v11, v19
	v_mov_b32_dpp v12, v19 row_shr:1 row_mask:0xf bank_mask:0xf
	s_delay_alu instid0(VALU_DEP_2)
	v_mov_b32_dpp v9, v10 row_shr:1 row_mask:0xf bank_mask:0xf
	s_and_saveexec_b32 s1, s0
; %bb.82:
	s_delay_alu instid0(VALU_DEP_2) | instskip(SKIP_2) | instid1(VALU_DEP_2)
	v_add_co_u32 v11, vcc_lo, v19, v12
	s_wait_alu 0xfffd
	v_add_co_ci_u32_e64 v10, null, 0, v20, vcc_lo
	v_add_co_u32 v19, vcc_lo, 0, v11
	s_wait_alu 0xfffd
	s_delay_alu instid0(VALU_DEP_2) | instskip(NEXT) | instid1(VALU_DEP_1)
	v_add_co_ci_u32_e64 v20, null, v9, v10, vcc_lo
	v_mov_b32_e32 v10, v20
; %bb.83:
	s_wait_alu 0xfffe
	s_or_b32 exec_lo, exec_lo, s1
	v_mov_b32_dpp v9, v11 row_shr:2 row_mask:0xf bank_mask:0xf
	s_delay_alu instid0(VALU_DEP_2)
	v_mov_b32_dpp v12, v10 row_shr:2 row_mask:0xf bank_mask:0xf
	s_mov_b32 s0, exec_lo
	v_cmpx_lt_u32_e32 1, v34
; %bb.84:
	s_delay_alu instid0(VALU_DEP_3) | instskip(SKIP_2) | instid1(VALU_DEP_2)
	v_add_co_u32 v11, vcc_lo, v19, v9
	s_wait_alu 0xfffd
	v_add_co_ci_u32_e64 v10, null, 0, v20, vcc_lo
	v_add_co_u32 v9, vcc_lo, 0, v11
	s_wait_alu 0xfffd
	s_delay_alu instid0(VALU_DEP_2) | instskip(NEXT) | instid1(VALU_DEP_1)
	v_add_co_ci_u32_e64 v10, null, v12, v10, vcc_lo
	v_dual_mov_b32 v20, v10 :: v_dual_mov_b32 v19, v9
; %bb.85:
	s_wait_alu 0xfffe
	s_or_b32 exec_lo, exec_lo, s0
	v_mov_b32_dpp v9, v11 row_shr:4 row_mask:0xf bank_mask:0xf
	v_mov_b32_dpp v12, v10 row_shr:4 row_mask:0xf bank_mask:0xf
	s_mov_b32 s0, exec_lo
	v_cmpx_lt_u32_e32 3, v34
; %bb.86:
	s_delay_alu instid0(VALU_DEP_3) | instskip(SKIP_2) | instid1(VALU_DEP_2)
	v_add_co_u32 v11, vcc_lo, v19, v9
	s_wait_alu 0xfffd
	v_add_co_ci_u32_e64 v10, null, 0, v20, vcc_lo
	v_add_co_u32 v9, vcc_lo, 0, v11
	s_wait_alu 0xfffd
	s_delay_alu instid0(VALU_DEP_2) | instskip(NEXT) | instid1(VALU_DEP_1)
	v_add_co_ci_u32_e64 v10, null, v12, v10, vcc_lo
	v_dual_mov_b32 v20, v10 :: v_dual_mov_b32 v19, v9
; %bb.87:
	s_wait_alu 0xfffe
	s_or_b32 exec_lo, exec_lo, s0
	v_mov_b32_dpp v12, v11 row_shr:8 row_mask:0xf bank_mask:0xf
	v_mov_b32_dpp v9, v10 row_shr:8 row_mask:0xf bank_mask:0xf
	s_mov_b32 s0, exec_lo
	v_cmpx_lt_u32_e32 7, v34
; %bb.88:
	s_delay_alu instid0(VALU_DEP_3) | instskip(SKIP_2) | instid1(VALU_DEP_2)
	v_add_co_u32 v11, vcc_lo, v19, v12
	s_wait_alu 0xfffd
	v_add_co_ci_u32_e64 v10, null, 0, v20, vcc_lo
	v_add_co_u32 v19, vcc_lo, 0, v11
	s_wait_alu 0xfffd
	s_delay_alu instid0(VALU_DEP_2) | instskip(NEXT) | instid1(VALU_DEP_1)
	v_add_co_ci_u32_e64 v20, null, v9, v10, vcc_lo
	v_mov_b32_e32 v10, v20
; %bb.89:
	s_wait_alu 0xfffe
	s_or_b32 exec_lo, exec_lo, s0
	ds_swizzle_b32 v11, v11 offset:swizzle(BROADCAST,32,15)
	ds_swizzle_b32 v9, v10 offset:swizzle(BROADCAST,32,15)
	v_and_b32_e32 v10, 16, v33
	s_mov_b32 s0, exec_lo
	s_delay_alu instid0(VALU_DEP_1)
	v_cmpx_ne_u32_e32 0, v10
	s_cbranch_execz .LBB466_91
; %bb.90:
	s_wait_dscnt 0x1
	v_add_co_u32 v10, vcc_lo, v19, v11
	s_wait_alu 0xfffd
	v_add_co_ci_u32_e64 v11, null, 0, v20, vcc_lo
	s_delay_alu instid0(VALU_DEP_2) | instskip(SKIP_2) | instid1(VALU_DEP_2)
	v_add_co_u32 v19, vcc_lo, v10, 0
	s_wait_dscnt 0x0
	s_wait_alu 0xfffd
	v_add_co_ci_u32_e64 v20, null, v11, v9, vcc_lo
.LBB466_91:
	s_wait_alu 0xfffe
	s_or_b32 exec_lo, exec_lo, s0
	s_wait_dscnt 0x0
	v_or_b32_e32 v9, 31, v0
	v_lshrrev_b32_e32 v11, 5, v0
	s_mov_b32 s0, exec_lo
	s_delay_alu instid0(VALU_DEP_2)
	v_cmpx_eq_u32_e64 v0, v9
; %bb.92:
	s_delay_alu instid0(VALU_DEP_2)
	v_lshlrev_b32_e32 v9, 3, v11
	ds_store_b64 v9, v[19:20]
; %bb.93:
	s_wait_alu 0xfffe
	s_or_b32 exec_lo, exec_lo, s0
	s_delay_alu instid0(SALU_CYCLE_1)
	s_mov_b32 s0, exec_lo
	s_wait_loadcnt_dscnt 0x0
	s_barrier_signal -1
	s_barrier_wait -1
	global_inv scope:SCOPE_SE
	v_cmpx_gt_u32_e32 8, v0
	s_cbranch_execz .LBB466_101
; %bb.94:
	v_lshlrev_b32_e32 v12, 3, v0
	s_mov_b32 s1, exec_lo
	ds_load_b64 v[9:10], v12
	s_wait_dscnt 0x0
	v_dual_mov_b32 v14, v9 :: v_dual_and_b32 v13, 7, v33
	v_mov_b32_dpp v16, v9 row_shr:1 row_mask:0xf bank_mask:0xf
	v_mov_b32_dpp v15, v10 row_shr:1 row_mask:0xf bank_mask:0xf
	s_delay_alu instid0(VALU_DEP_3)
	v_cmpx_ne_u32_e32 0, v13
; %bb.95:
	s_delay_alu instid0(VALU_DEP_3) | instskip(SKIP_2) | instid1(VALU_DEP_2)
	v_add_co_u32 v14, vcc_lo, v9, v16
	s_wait_alu 0xfffd
	v_add_co_ci_u32_e64 v10, null, 0, v10, vcc_lo
	v_add_co_u32 v9, vcc_lo, 0, v14
	s_wait_alu 0xfffd
	s_delay_alu instid0(VALU_DEP_2)
	v_add_co_ci_u32_e64 v10, null, v15, v10, vcc_lo
; %bb.96:
	s_wait_alu 0xfffe
	s_or_b32 exec_lo, exec_lo, s1
	v_mov_b32_dpp v16, v14 row_shr:2 row_mask:0xf bank_mask:0xf
	s_delay_alu instid0(VALU_DEP_2)
	v_mov_b32_dpp v15, v10 row_shr:2 row_mask:0xf bank_mask:0xf
	s_mov_b32 s1, exec_lo
	v_cmpx_lt_u32_e32 1, v13
; %bb.97:
	s_delay_alu instid0(VALU_DEP_3) | instskip(SKIP_2) | instid1(VALU_DEP_2)
	v_add_co_u32 v14, vcc_lo, v9, v16
	s_wait_alu 0xfffd
	v_add_co_ci_u32_e64 v10, null, 0, v10, vcc_lo
	v_add_co_u32 v9, vcc_lo, 0, v14
	s_wait_alu 0xfffd
	s_delay_alu instid0(VALU_DEP_2)
	v_add_co_ci_u32_e64 v10, null, v15, v10, vcc_lo
; %bb.98:
	s_wait_alu 0xfffe
	s_or_b32 exec_lo, exec_lo, s1
	v_mov_b32_dpp v15, v14 row_shr:4 row_mask:0xf bank_mask:0xf
	s_delay_alu instid0(VALU_DEP_2)
	v_mov_b32_dpp v14, v10 row_shr:4 row_mask:0xf bank_mask:0xf
	s_mov_b32 s1, exec_lo
	v_cmpx_lt_u32_e32 3, v13
; %bb.99:
	s_delay_alu instid0(VALU_DEP_3) | instskip(SKIP_2) | instid1(VALU_DEP_2)
	v_add_co_u32 v9, vcc_lo, v9, v15
	s_wait_alu 0xfffd
	v_add_co_ci_u32_e64 v10, null, 0, v10, vcc_lo
	v_add_co_u32 v9, vcc_lo, v9, 0
	s_wait_alu 0xfffd
	s_delay_alu instid0(VALU_DEP_2)
	v_add_co_ci_u32_e64 v10, null, v10, v14, vcc_lo
; %bb.100:
	s_wait_alu 0xfffe
	s_or_b32 exec_lo, exec_lo, s1
	ds_store_b64 v12, v[9:10]
.LBB466_101:
	s_wait_alu 0xfffe
	s_or_b32 exec_lo, exec_lo, s0
	v_mov_b32_e32 v13, 0
	v_mov_b32_e32 v14, 0
	s_mov_b32 s0, exec_lo
	s_wait_loadcnt_dscnt 0x0
	s_barrier_signal -1
	s_barrier_wait -1
	global_inv scope:SCOPE_SE
	v_cmpx_lt_u32_e32 31, v0
; %bb.102:
	v_lshl_add_u32 v9, v11, 3, -8
	ds_load_b64 v[13:14], v9
; %bb.103:
	s_wait_alu 0xfffe
	s_or_b32 exec_lo, exec_lo, s0
	v_sub_co_u32 v9, vcc_lo, v33, 1
	v_mov_b32_e32 v12, 0
	s_delay_alu instid0(VALU_DEP_2) | instskip(SKIP_1) | instid1(VALU_DEP_1)
	v_cmp_gt_i32_e64 s0, 0, v9
	s_wait_alu 0xf1ff
	v_cndmask_b32_e64 v9, v9, v33, s0
	s_wait_dscnt 0x0
	v_add_co_u32 v10, s0, v13, v19
	s_wait_alu 0xf1ff
	v_add_co_ci_u32_e64 v11, null, v14, v20, s0
	v_lshlrev_b32_e32 v9, 2, v9
	ds_bpermute_b32 v15, v9, v10
	ds_bpermute_b32 v16, v9, v11
	ds_load_b64 v[9:10], v12 offset:56
	s_and_saveexec_b32 s0, s2
	s_cbranch_execz .LBB466_105
; %bb.104:
	s_add_nc_u64 s[4:5], s[14:15], 0x200
	s_wait_alu 0xfffe
	v_dual_mov_b32 v11, 2 :: v_dual_mov_b32 v20, s5
	v_mov_b32_e32 v19, s4
	s_wait_dscnt 0x0
	;;#ASMSTART
	global_store_b128 v[19:20], v[9:12] off scope:SCOPE_DEV	
s_wait_storecnt 0x0
	;;#ASMEND
.LBB466_105:
	s_wait_alu 0xfffe
	s_or_b32 exec_lo, exec_lo, s0
	s_wait_dscnt 0x1
	s_wait_alu 0xfffd
	v_dual_cndmask_b32 v11, v15, v13 :: v_dual_cndmask_b32 v12, v16, v14
	s_wait_loadcnt_dscnt 0x0
	s_barrier_signal -1
	s_barrier_wait -1
	s_delay_alu instid0(VALU_DEP_1)
	v_cndmask_b32_e64 v23, v11, 0, s2
	v_cndmask_b32_e64 v24, v12, 0, s2
	v_mov_b32_e32 v11, 0
	v_mov_b32_e32 v12, 0
	global_inv scope:SCOPE_SE
	v_add_co_u32 v21, vcc_lo, v23, v32
	s_wait_alu 0xfffd
	v_add_co_ci_u32_e64 v22, null, 0, v24, vcc_lo
	s_delay_alu instid0(VALU_DEP_2) | instskip(SKIP_1) | instid1(VALU_DEP_2)
	v_add_co_u32 v13, vcc_lo, v21, v31
	s_wait_alu 0xfffd
	v_add_co_ci_u32_e64 v14, null, 0, v22, vcc_lo
	s_delay_alu instid0(VALU_DEP_2) | instskip(SKIP_1) | instid1(VALU_DEP_2)
	v_add_co_u32 v15, vcc_lo, v13, v30
	s_wait_alu 0xfffd
	v_add_co_ci_u32_e64 v16, null, 0, v14, vcc_lo
.LBB466_106:
	v_and_b32_e32 v25, 1, v29
	s_wait_dscnt 0x0
	v_cmp_gt_u64_e32 vcc_lo, 0x101, v[9:10]
	s_mov_b32 s1, -1
	s_delay_alu instid0(VALU_DEP_2)
	v_cmp_eq_u32_e64 s0, 1, v25
	s_cbranch_vccnz .LBB466_110
; %bb.107:
	s_wait_alu 0xfffe
	s_and_b32 vcc_lo, exec_lo, s1
	s_wait_alu 0xfffe
	s_cbranch_vccnz .LBB466_119
.LBB466_108:
	s_and_b32 s0, s2, s6
	s_wait_alu 0xfffe
	s_and_saveexec_b32 s1, s0
	s_cbranch_execnz .LBB466_131
.LBB466_109:
	s_endpgm
.LBB466_110:
	v_add_co_u32 v19, vcc_lo, v11, v9
	s_wait_alu 0xfffd
	v_add_co_ci_u32_e64 v20, null, v12, v10, vcc_lo
	v_lshlrev_b64_e32 v[29:30], 3, v[17:18]
	s_delay_alu instid0(VALU_DEP_2) | instskip(NEXT) | instid1(VALU_DEP_2)
	v_cmp_lt_u64_e32 vcc_lo, v[23:24], v[19:20]
	v_add_co_u32 v26, s1, s12, v29
	s_wait_alu 0xf1fe
	s_delay_alu instid0(VALU_DEP_3)
	v_add_co_ci_u32_e64 v29, null, s13, v30, s1
	s_or_b32 s1, s7, vcc_lo
	s_wait_alu 0xfffe
	s_and_b32 s1, s1, s0
	s_wait_alu 0xfffe
	s_and_saveexec_b32 s0, s1
	s_cbranch_execz .LBB466_112
; %bb.111:
	v_lshlrev_b64_e32 v[30:31], 3, v[23:24]
	s_delay_alu instid0(VALU_DEP_1) | instskip(SKIP_1) | instid1(VALU_DEP_2)
	v_add_co_u32 v30, vcc_lo, v26, v30
	s_wait_alu 0xfffd
	v_add_co_ci_u32_e64 v31, null, v29, v31, vcc_lo
	global_store_b64 v[30:31], v[1:2], off
.LBB466_112:
	s_wait_alu 0xfffe
	s_or_b32 exec_lo, exec_lo, s0
	v_and_b32_e32 v24, 1, v28
	v_cmp_lt_u64_e32 vcc_lo, v[21:22], v[19:20]
	s_delay_alu instid0(VALU_DEP_2)
	v_cmp_eq_u32_e64 s0, 1, v24
	s_or_b32 s1, s7, vcc_lo
	s_wait_alu 0xfffe
	s_and_b32 s1, s1, s0
	s_wait_alu 0xfffe
	s_and_saveexec_b32 s0, s1
	s_cbranch_execz .LBB466_114
; %bb.113:
	v_lshlrev_b64_e32 v[30:31], 3, v[21:22]
	s_delay_alu instid0(VALU_DEP_1) | instskip(SKIP_1) | instid1(VALU_DEP_2)
	v_add_co_u32 v30, vcc_lo, v26, v30
	s_wait_alu 0xfffd
	v_add_co_ci_u32_e64 v31, null, v29, v31, vcc_lo
	global_store_b64 v[30:31], v[5:6], off
.LBB466_114:
	s_wait_alu 0xfffe
	s_or_b32 exec_lo, exec_lo, s0
	v_and_b32_e32 v22, 1, v27
	v_cmp_lt_u64_e32 vcc_lo, v[13:14], v[19:20]
	s_delay_alu instid0(VALU_DEP_2)
	v_cmp_eq_u32_e64 s0, 1, v22
	s_or_b32 s1, s7, vcc_lo
	s_wait_alu 0xfffe
	s_and_b32 s1, s1, s0
	s_wait_alu 0xfffe
	s_and_saveexec_b32 s0, s1
	s_cbranch_execz .LBB466_116
; %bb.115:
	v_lshlrev_b64_e32 v[30:31], 3, v[13:14]
	s_delay_alu instid0(VALU_DEP_1) | instskip(SKIP_1) | instid1(VALU_DEP_2)
	v_add_co_u32 v30, vcc_lo, v26, v30
	s_wait_alu 0xfffd
	v_add_co_ci_u32_e64 v31, null, v29, v31, vcc_lo
	global_store_b64 v[30:31], v[7:8], off
.LBB466_116:
	s_wait_alu 0xfffe
	s_or_b32 exec_lo, exec_lo, s0
	v_cmp_lt_u64_e32 vcc_lo, v[15:16], v[19:20]
	s_or_b32 s0, s7, vcc_lo
	s_wait_alu 0xfffe
	s_and_b32 s1, s0, s10
	s_wait_alu 0xfffe
	s_and_saveexec_b32 s0, s1
	s_cbranch_execz .LBB466_118
; %bb.117:
	v_lshlrev_b64_e32 v[19:20], 3, v[15:16]
	s_delay_alu instid0(VALU_DEP_1) | instskip(SKIP_1) | instid1(VALU_DEP_2)
	v_add_co_u32 v19, vcc_lo, v26, v19
	s_wait_alu 0xfffd
	v_add_co_ci_u32_e64 v20, null, v29, v20, vcc_lo
	global_store_b64 v[19:20], v[3:4], off
.LBB466_118:
	s_wait_alu 0xfffe
	s_or_b32 exec_lo, exec_lo, s0
	s_branch .LBB466_108
.LBB466_119:
	s_mov_b32 s0, exec_lo
	v_cmpx_eq_u32_e32 1, v25
; %bb.120:
	v_sub_nc_u32_e32 v14, v23, v11
	s_delay_alu instid0(VALU_DEP_1)
	v_lshlrev_b32_e32 v14, 3, v14
	ds_store_b64 v14, v[1:2]
; %bb.121:
	s_wait_alu 0xfffe
	s_or_b32 exec_lo, exec_lo, s0
	v_and_b32_e32 v1, 1, v28
	s_mov_b32 s0, exec_lo
	s_delay_alu instid0(VALU_DEP_1)
	v_cmpx_eq_u32_e32 1, v1
; %bb.122:
	v_sub_nc_u32_e32 v1, v21, v11
	s_delay_alu instid0(VALU_DEP_1)
	v_lshlrev_b32_e32 v1, 3, v1
	ds_store_b64 v1, v[5:6]
; %bb.123:
	s_wait_alu 0xfffe
	s_or_b32 exec_lo, exec_lo, s0
	v_and_b32_e32 v1, 1, v27
	s_mov_b32 s0, exec_lo
	s_delay_alu instid0(VALU_DEP_1)
	v_cmpx_eq_u32_e32 1, v1
; %bb.124:
	v_sub_nc_u32_e32 v1, v13, v11
	s_delay_alu instid0(VALU_DEP_1)
	v_lshlrev_b32_e32 v1, 3, v1
	ds_store_b64 v1, v[7:8]
; %bb.125:
	s_wait_alu 0xfffe
	s_or_b32 exec_lo, exec_lo, s0
	s_and_saveexec_b32 s0, s10
; %bb.126:
	v_sub_nc_u32_e32 v1, v15, v11
	s_delay_alu instid0(VALU_DEP_1)
	v_lshlrev_b32_e32 v1, 3, v1
	ds_store_b64 v1, v[3:4]
; %bb.127:
	s_wait_alu 0xfffe
	s_or_b32 exec_lo, exec_lo, s0
	v_mov_b32_e32 v1, 0
	s_mov_b32 s1, exec_lo
	s_wait_storecnt 0x0
	s_wait_loadcnt_dscnt 0x0
	s_barrier_signal -1
	s_barrier_wait -1
	global_inv scope:SCOPE_SE
	v_cmpx_gt_u64_e64 v[9:10], v[0:1]
	s_cbranch_execz .LBB466_130
; %bb.128:
	v_lshlrev_b64_e32 v[2:3], 3, v[17:18]
	v_lshlrev_b64_e32 v[4:5], 3, v[11:12]
	s_mov_b32 s3, 0
	s_delay_alu instid0(VALU_DEP_2) | instskip(SKIP_1) | instid1(VALU_DEP_3)
	v_add_co_u32 v6, vcc_lo, s12, v2
	s_wait_alu 0xfffd
	v_add_co_ci_u32_e64 v7, null, s13, v3, vcc_lo
	v_dual_mov_b32 v3, v1 :: v_dual_mov_b32 v2, v0
	s_delay_alu instid0(VALU_DEP_3) | instskip(SKIP_1) | instid1(VALU_DEP_3)
	v_add_co_u32 v4, vcc_lo, v6, v4
	s_wait_alu 0xfffd
	v_add_co_ci_u32_e64 v5, null, v7, v5, vcc_lo
	v_or_b32_e32 v0, 0x100, v0
.LBB466_129:                            ; =>This Inner Loop Header: Depth=1
	v_lshlrev_b32_e32 v6, 3, v2
	v_lshlrev_b64_e32 v[13:14], 3, v[2:3]
	v_mov_b32_e32 v3, v1
	s_delay_alu instid0(VALU_DEP_4)
	v_cmp_le_u64_e32 vcc_lo, v[9:10], v[0:1]
	v_mov_b32_e32 v2, v0
	ds_load_b64 v[6:7], v6
	v_add_nc_u32_e32 v0, 0x100, v0
	v_add_co_u32 v13, s0, v4, v13
	s_wait_alu 0xf1ff
	v_add_co_ci_u32_e64 v14, null, v5, v14, s0
	s_wait_alu 0xfffe
	s_or_b32 s3, vcc_lo, s3
	s_wait_dscnt 0x0
	global_store_b64 v[13:14], v[6:7], off
	s_wait_alu 0xfffe
	s_and_not1_b32 exec_lo, exec_lo, s3
	s_cbranch_execnz .LBB466_129
.LBB466_130:
	s_wait_alu 0xfffe
	s_or_b32 exec_lo, exec_lo, s1
	s_and_b32 s0, s2, s6
	s_wait_alu 0xfffe
	s_and_saveexec_b32 s1, s0
	s_cbranch_execz .LBB466_109
.LBB466_131:
	v_add_co_u32 v0, vcc_lo, v11, v9
	s_wait_alu 0xfffd
	v_add_co_ci_u32_e64 v1, null, v12, v10, vcc_lo
	v_mov_b32_e32 v2, 0
	s_delay_alu instid0(VALU_DEP_3) | instskip(SKIP_1) | instid1(VALU_DEP_3)
	v_add_co_u32 v0, vcc_lo, v0, v17
	s_wait_alu 0xfffd
	v_add_co_ci_u32_e64 v1, null, v1, v18, vcc_lo
	global_store_b64 v2, v[0:1], s[8:9]
	s_endpgm
.LBB466_132:
	v_lshlrev_b32_e32 v3, 3, v0
	s_delay_alu instid0(VALU_DEP_1) | instskip(SKIP_4) | instid1(SALU_CYCLE_1)
	v_add_co_u32 v3, vcc_lo, v12, v3
	s_wait_alu 0xfffd
	v_add_co_ci_u32_e64 v4, null, 0, v13, vcc_lo
	flat_load_b64 v[3:4], v[3:4] offset:2048
	s_or_b32 exec_lo, exec_lo, s0
	s_mov_b32 s0, exec_lo
	v_cmpx_gt_u32_e64 s18, v11
	s_cbranch_execz .LBB466_11
.LBB466_133:
	v_lshlrev_b32_e32 v5, 3, v0
	s_delay_alu instid0(VALU_DEP_1) | instskip(SKIP_4) | instid1(SALU_CYCLE_1)
	v_add_co_u32 v5, vcc_lo, v12, v5
	s_wait_alu 0xfffd
	v_add_co_ci_u32_e64 v6, null, 0, v13, vcc_lo
	flat_load_b64 v[5:6], v[5:6] offset:4096
	s_or_b32 exec_lo, exec_lo, s0
	s_mov_b32 s0, exec_lo
	v_cmpx_gt_u32_e64 s18, v10
	s_cbranch_execnz .LBB466_12
	s_branch .LBB466_13
	.section	.rodata,"a",@progbits
	.p2align	6, 0x0
	.amdhsa_kernel _ZN7rocprim17ROCPRIM_400000_NS6detail17trampoline_kernelINS0_14default_configENS1_25partition_config_selectorILNS1_17partition_subalgoE6ExNS0_10empty_typeEbEEZZNS1_14partition_implILS5_6ELb0ES3_mN6thrust23THRUST_200600_302600_NS6detail15normal_iteratorINSA_10device_ptrIxEEEEPS6_SG_NS0_5tupleIJSF_S6_EEENSH_IJSG_SG_EEES6_PlJNSB_9not_fun_tINSB_14equal_to_valueIxEEEEEEE10hipError_tPvRmT3_T4_T5_T6_T7_T9_mT8_P12ihipStream_tbDpT10_ENKUlT_T0_E_clISt17integral_constantIbLb0EES17_IbLb1EEEEDaS13_S14_EUlS13_E_NS1_11comp_targetILNS1_3genE10ELNS1_11target_archE1200ELNS1_3gpuE4ELNS1_3repE0EEENS1_30default_config_static_selectorELNS0_4arch9wavefront6targetE0EEEvT1_
		.amdhsa_group_segment_fixed_size 8464
		.amdhsa_private_segment_fixed_size 0
		.amdhsa_kernarg_size 128
		.amdhsa_user_sgpr_count 2
		.amdhsa_user_sgpr_dispatch_ptr 0
		.amdhsa_user_sgpr_queue_ptr 0
		.amdhsa_user_sgpr_kernarg_segment_ptr 1
		.amdhsa_user_sgpr_dispatch_id 0
		.amdhsa_user_sgpr_private_segment_size 0
		.amdhsa_wavefront_size32 1
		.amdhsa_uses_dynamic_stack 0
		.amdhsa_enable_private_segment 0
		.amdhsa_system_sgpr_workgroup_id_x 1
		.amdhsa_system_sgpr_workgroup_id_y 0
		.amdhsa_system_sgpr_workgroup_id_z 0
		.amdhsa_system_sgpr_workgroup_info 0
		.amdhsa_system_vgpr_workitem_id 0
		.amdhsa_next_free_vgpr 48
		.amdhsa_next_free_sgpr 24
		.amdhsa_reserve_vcc 1
		.amdhsa_float_round_mode_32 0
		.amdhsa_float_round_mode_16_64 0
		.amdhsa_float_denorm_mode_32 3
		.amdhsa_float_denorm_mode_16_64 3
		.amdhsa_fp16_overflow 0
		.amdhsa_workgroup_processor_mode 1
		.amdhsa_memory_ordered 1
		.amdhsa_forward_progress 1
		.amdhsa_inst_pref_size 52
		.amdhsa_round_robin_scheduling 0
		.amdhsa_exception_fp_ieee_invalid_op 0
		.amdhsa_exception_fp_denorm_src 0
		.amdhsa_exception_fp_ieee_div_zero 0
		.amdhsa_exception_fp_ieee_overflow 0
		.amdhsa_exception_fp_ieee_underflow 0
		.amdhsa_exception_fp_ieee_inexact 0
		.amdhsa_exception_int_div_zero 0
	.end_amdhsa_kernel
	.section	.text._ZN7rocprim17ROCPRIM_400000_NS6detail17trampoline_kernelINS0_14default_configENS1_25partition_config_selectorILNS1_17partition_subalgoE6ExNS0_10empty_typeEbEEZZNS1_14partition_implILS5_6ELb0ES3_mN6thrust23THRUST_200600_302600_NS6detail15normal_iteratorINSA_10device_ptrIxEEEEPS6_SG_NS0_5tupleIJSF_S6_EEENSH_IJSG_SG_EEES6_PlJNSB_9not_fun_tINSB_14equal_to_valueIxEEEEEEE10hipError_tPvRmT3_T4_T5_T6_T7_T9_mT8_P12ihipStream_tbDpT10_ENKUlT_T0_E_clISt17integral_constantIbLb0EES17_IbLb1EEEEDaS13_S14_EUlS13_E_NS1_11comp_targetILNS1_3genE10ELNS1_11target_archE1200ELNS1_3gpuE4ELNS1_3repE0EEENS1_30default_config_static_selectorELNS0_4arch9wavefront6targetE0EEEvT1_,"axG",@progbits,_ZN7rocprim17ROCPRIM_400000_NS6detail17trampoline_kernelINS0_14default_configENS1_25partition_config_selectorILNS1_17partition_subalgoE6ExNS0_10empty_typeEbEEZZNS1_14partition_implILS5_6ELb0ES3_mN6thrust23THRUST_200600_302600_NS6detail15normal_iteratorINSA_10device_ptrIxEEEEPS6_SG_NS0_5tupleIJSF_S6_EEENSH_IJSG_SG_EEES6_PlJNSB_9not_fun_tINSB_14equal_to_valueIxEEEEEEE10hipError_tPvRmT3_T4_T5_T6_T7_T9_mT8_P12ihipStream_tbDpT10_ENKUlT_T0_E_clISt17integral_constantIbLb0EES17_IbLb1EEEEDaS13_S14_EUlS13_E_NS1_11comp_targetILNS1_3genE10ELNS1_11target_archE1200ELNS1_3gpuE4ELNS1_3repE0EEENS1_30default_config_static_selectorELNS0_4arch9wavefront6targetE0EEEvT1_,comdat
.Lfunc_end466:
	.size	_ZN7rocprim17ROCPRIM_400000_NS6detail17trampoline_kernelINS0_14default_configENS1_25partition_config_selectorILNS1_17partition_subalgoE6ExNS0_10empty_typeEbEEZZNS1_14partition_implILS5_6ELb0ES3_mN6thrust23THRUST_200600_302600_NS6detail15normal_iteratorINSA_10device_ptrIxEEEEPS6_SG_NS0_5tupleIJSF_S6_EEENSH_IJSG_SG_EEES6_PlJNSB_9not_fun_tINSB_14equal_to_valueIxEEEEEEE10hipError_tPvRmT3_T4_T5_T6_T7_T9_mT8_P12ihipStream_tbDpT10_ENKUlT_T0_E_clISt17integral_constantIbLb0EES17_IbLb1EEEEDaS13_S14_EUlS13_E_NS1_11comp_targetILNS1_3genE10ELNS1_11target_archE1200ELNS1_3gpuE4ELNS1_3repE0EEENS1_30default_config_static_selectorELNS0_4arch9wavefront6targetE0EEEvT1_, .Lfunc_end466-_ZN7rocprim17ROCPRIM_400000_NS6detail17trampoline_kernelINS0_14default_configENS1_25partition_config_selectorILNS1_17partition_subalgoE6ExNS0_10empty_typeEbEEZZNS1_14partition_implILS5_6ELb0ES3_mN6thrust23THRUST_200600_302600_NS6detail15normal_iteratorINSA_10device_ptrIxEEEEPS6_SG_NS0_5tupleIJSF_S6_EEENSH_IJSG_SG_EEES6_PlJNSB_9not_fun_tINSB_14equal_to_valueIxEEEEEEE10hipError_tPvRmT3_T4_T5_T6_T7_T9_mT8_P12ihipStream_tbDpT10_ENKUlT_T0_E_clISt17integral_constantIbLb0EES17_IbLb1EEEEDaS13_S14_EUlS13_E_NS1_11comp_targetILNS1_3genE10ELNS1_11target_archE1200ELNS1_3gpuE4ELNS1_3repE0EEENS1_30default_config_static_selectorELNS0_4arch9wavefront6targetE0EEEvT1_
                                        ; -- End function
	.set _ZN7rocprim17ROCPRIM_400000_NS6detail17trampoline_kernelINS0_14default_configENS1_25partition_config_selectorILNS1_17partition_subalgoE6ExNS0_10empty_typeEbEEZZNS1_14partition_implILS5_6ELb0ES3_mN6thrust23THRUST_200600_302600_NS6detail15normal_iteratorINSA_10device_ptrIxEEEEPS6_SG_NS0_5tupleIJSF_S6_EEENSH_IJSG_SG_EEES6_PlJNSB_9not_fun_tINSB_14equal_to_valueIxEEEEEEE10hipError_tPvRmT3_T4_T5_T6_T7_T9_mT8_P12ihipStream_tbDpT10_ENKUlT_T0_E_clISt17integral_constantIbLb0EES17_IbLb1EEEEDaS13_S14_EUlS13_E_NS1_11comp_targetILNS1_3genE10ELNS1_11target_archE1200ELNS1_3gpuE4ELNS1_3repE0EEENS1_30default_config_static_selectorELNS0_4arch9wavefront6targetE0EEEvT1_.num_vgpr, 48
	.set _ZN7rocprim17ROCPRIM_400000_NS6detail17trampoline_kernelINS0_14default_configENS1_25partition_config_selectorILNS1_17partition_subalgoE6ExNS0_10empty_typeEbEEZZNS1_14partition_implILS5_6ELb0ES3_mN6thrust23THRUST_200600_302600_NS6detail15normal_iteratorINSA_10device_ptrIxEEEEPS6_SG_NS0_5tupleIJSF_S6_EEENSH_IJSG_SG_EEES6_PlJNSB_9not_fun_tINSB_14equal_to_valueIxEEEEEEE10hipError_tPvRmT3_T4_T5_T6_T7_T9_mT8_P12ihipStream_tbDpT10_ENKUlT_T0_E_clISt17integral_constantIbLb0EES17_IbLb1EEEEDaS13_S14_EUlS13_E_NS1_11comp_targetILNS1_3genE10ELNS1_11target_archE1200ELNS1_3gpuE4ELNS1_3repE0EEENS1_30default_config_static_selectorELNS0_4arch9wavefront6targetE0EEEvT1_.num_agpr, 0
	.set _ZN7rocprim17ROCPRIM_400000_NS6detail17trampoline_kernelINS0_14default_configENS1_25partition_config_selectorILNS1_17partition_subalgoE6ExNS0_10empty_typeEbEEZZNS1_14partition_implILS5_6ELb0ES3_mN6thrust23THRUST_200600_302600_NS6detail15normal_iteratorINSA_10device_ptrIxEEEEPS6_SG_NS0_5tupleIJSF_S6_EEENSH_IJSG_SG_EEES6_PlJNSB_9not_fun_tINSB_14equal_to_valueIxEEEEEEE10hipError_tPvRmT3_T4_T5_T6_T7_T9_mT8_P12ihipStream_tbDpT10_ENKUlT_T0_E_clISt17integral_constantIbLb0EES17_IbLb1EEEEDaS13_S14_EUlS13_E_NS1_11comp_targetILNS1_3genE10ELNS1_11target_archE1200ELNS1_3gpuE4ELNS1_3repE0EEENS1_30default_config_static_selectorELNS0_4arch9wavefront6targetE0EEEvT1_.numbered_sgpr, 24
	.set _ZN7rocprim17ROCPRIM_400000_NS6detail17trampoline_kernelINS0_14default_configENS1_25partition_config_selectorILNS1_17partition_subalgoE6ExNS0_10empty_typeEbEEZZNS1_14partition_implILS5_6ELb0ES3_mN6thrust23THRUST_200600_302600_NS6detail15normal_iteratorINSA_10device_ptrIxEEEEPS6_SG_NS0_5tupleIJSF_S6_EEENSH_IJSG_SG_EEES6_PlJNSB_9not_fun_tINSB_14equal_to_valueIxEEEEEEE10hipError_tPvRmT3_T4_T5_T6_T7_T9_mT8_P12ihipStream_tbDpT10_ENKUlT_T0_E_clISt17integral_constantIbLb0EES17_IbLb1EEEEDaS13_S14_EUlS13_E_NS1_11comp_targetILNS1_3genE10ELNS1_11target_archE1200ELNS1_3gpuE4ELNS1_3repE0EEENS1_30default_config_static_selectorELNS0_4arch9wavefront6targetE0EEEvT1_.num_named_barrier, 0
	.set _ZN7rocprim17ROCPRIM_400000_NS6detail17trampoline_kernelINS0_14default_configENS1_25partition_config_selectorILNS1_17partition_subalgoE6ExNS0_10empty_typeEbEEZZNS1_14partition_implILS5_6ELb0ES3_mN6thrust23THRUST_200600_302600_NS6detail15normal_iteratorINSA_10device_ptrIxEEEEPS6_SG_NS0_5tupleIJSF_S6_EEENSH_IJSG_SG_EEES6_PlJNSB_9not_fun_tINSB_14equal_to_valueIxEEEEEEE10hipError_tPvRmT3_T4_T5_T6_T7_T9_mT8_P12ihipStream_tbDpT10_ENKUlT_T0_E_clISt17integral_constantIbLb0EES17_IbLb1EEEEDaS13_S14_EUlS13_E_NS1_11comp_targetILNS1_3genE10ELNS1_11target_archE1200ELNS1_3gpuE4ELNS1_3repE0EEENS1_30default_config_static_selectorELNS0_4arch9wavefront6targetE0EEEvT1_.private_seg_size, 0
	.set _ZN7rocprim17ROCPRIM_400000_NS6detail17trampoline_kernelINS0_14default_configENS1_25partition_config_selectorILNS1_17partition_subalgoE6ExNS0_10empty_typeEbEEZZNS1_14partition_implILS5_6ELb0ES3_mN6thrust23THRUST_200600_302600_NS6detail15normal_iteratorINSA_10device_ptrIxEEEEPS6_SG_NS0_5tupleIJSF_S6_EEENSH_IJSG_SG_EEES6_PlJNSB_9not_fun_tINSB_14equal_to_valueIxEEEEEEE10hipError_tPvRmT3_T4_T5_T6_T7_T9_mT8_P12ihipStream_tbDpT10_ENKUlT_T0_E_clISt17integral_constantIbLb0EES17_IbLb1EEEEDaS13_S14_EUlS13_E_NS1_11comp_targetILNS1_3genE10ELNS1_11target_archE1200ELNS1_3gpuE4ELNS1_3repE0EEENS1_30default_config_static_selectorELNS0_4arch9wavefront6targetE0EEEvT1_.uses_vcc, 1
	.set _ZN7rocprim17ROCPRIM_400000_NS6detail17trampoline_kernelINS0_14default_configENS1_25partition_config_selectorILNS1_17partition_subalgoE6ExNS0_10empty_typeEbEEZZNS1_14partition_implILS5_6ELb0ES3_mN6thrust23THRUST_200600_302600_NS6detail15normal_iteratorINSA_10device_ptrIxEEEEPS6_SG_NS0_5tupleIJSF_S6_EEENSH_IJSG_SG_EEES6_PlJNSB_9not_fun_tINSB_14equal_to_valueIxEEEEEEE10hipError_tPvRmT3_T4_T5_T6_T7_T9_mT8_P12ihipStream_tbDpT10_ENKUlT_T0_E_clISt17integral_constantIbLb0EES17_IbLb1EEEEDaS13_S14_EUlS13_E_NS1_11comp_targetILNS1_3genE10ELNS1_11target_archE1200ELNS1_3gpuE4ELNS1_3repE0EEENS1_30default_config_static_selectorELNS0_4arch9wavefront6targetE0EEEvT1_.uses_flat_scratch, 1
	.set _ZN7rocprim17ROCPRIM_400000_NS6detail17trampoline_kernelINS0_14default_configENS1_25partition_config_selectorILNS1_17partition_subalgoE6ExNS0_10empty_typeEbEEZZNS1_14partition_implILS5_6ELb0ES3_mN6thrust23THRUST_200600_302600_NS6detail15normal_iteratorINSA_10device_ptrIxEEEEPS6_SG_NS0_5tupleIJSF_S6_EEENSH_IJSG_SG_EEES6_PlJNSB_9not_fun_tINSB_14equal_to_valueIxEEEEEEE10hipError_tPvRmT3_T4_T5_T6_T7_T9_mT8_P12ihipStream_tbDpT10_ENKUlT_T0_E_clISt17integral_constantIbLb0EES17_IbLb1EEEEDaS13_S14_EUlS13_E_NS1_11comp_targetILNS1_3genE10ELNS1_11target_archE1200ELNS1_3gpuE4ELNS1_3repE0EEENS1_30default_config_static_selectorELNS0_4arch9wavefront6targetE0EEEvT1_.has_dyn_sized_stack, 0
	.set _ZN7rocprim17ROCPRIM_400000_NS6detail17trampoline_kernelINS0_14default_configENS1_25partition_config_selectorILNS1_17partition_subalgoE6ExNS0_10empty_typeEbEEZZNS1_14partition_implILS5_6ELb0ES3_mN6thrust23THRUST_200600_302600_NS6detail15normal_iteratorINSA_10device_ptrIxEEEEPS6_SG_NS0_5tupleIJSF_S6_EEENSH_IJSG_SG_EEES6_PlJNSB_9not_fun_tINSB_14equal_to_valueIxEEEEEEE10hipError_tPvRmT3_T4_T5_T6_T7_T9_mT8_P12ihipStream_tbDpT10_ENKUlT_T0_E_clISt17integral_constantIbLb0EES17_IbLb1EEEEDaS13_S14_EUlS13_E_NS1_11comp_targetILNS1_3genE10ELNS1_11target_archE1200ELNS1_3gpuE4ELNS1_3repE0EEENS1_30default_config_static_selectorELNS0_4arch9wavefront6targetE0EEEvT1_.has_recursion, 0
	.set _ZN7rocprim17ROCPRIM_400000_NS6detail17trampoline_kernelINS0_14default_configENS1_25partition_config_selectorILNS1_17partition_subalgoE6ExNS0_10empty_typeEbEEZZNS1_14partition_implILS5_6ELb0ES3_mN6thrust23THRUST_200600_302600_NS6detail15normal_iteratorINSA_10device_ptrIxEEEEPS6_SG_NS0_5tupleIJSF_S6_EEENSH_IJSG_SG_EEES6_PlJNSB_9not_fun_tINSB_14equal_to_valueIxEEEEEEE10hipError_tPvRmT3_T4_T5_T6_T7_T9_mT8_P12ihipStream_tbDpT10_ENKUlT_T0_E_clISt17integral_constantIbLb0EES17_IbLb1EEEEDaS13_S14_EUlS13_E_NS1_11comp_targetILNS1_3genE10ELNS1_11target_archE1200ELNS1_3gpuE4ELNS1_3repE0EEENS1_30default_config_static_selectorELNS0_4arch9wavefront6targetE0EEEvT1_.has_indirect_call, 0
	.section	.AMDGPU.csdata,"",@progbits
; Kernel info:
; codeLenInByte = 6584
; TotalNumSgprs: 26
; NumVgprs: 48
; ScratchSize: 0
; MemoryBound: 0
; FloatMode: 240
; IeeeMode: 1
; LDSByteSize: 8464 bytes/workgroup (compile time only)
; SGPRBlocks: 0
; VGPRBlocks: 5
; NumSGPRsForWavesPerEU: 26
; NumVGPRsForWavesPerEU: 48
; Occupancy: 16
; WaveLimiterHint : 1
; COMPUTE_PGM_RSRC2:SCRATCH_EN: 0
; COMPUTE_PGM_RSRC2:USER_SGPR: 2
; COMPUTE_PGM_RSRC2:TRAP_HANDLER: 0
; COMPUTE_PGM_RSRC2:TGID_X_EN: 1
; COMPUTE_PGM_RSRC2:TGID_Y_EN: 0
; COMPUTE_PGM_RSRC2:TGID_Z_EN: 0
; COMPUTE_PGM_RSRC2:TIDIG_COMP_CNT: 0
	.section	.text._ZN7rocprim17ROCPRIM_400000_NS6detail17trampoline_kernelINS0_14default_configENS1_25partition_config_selectorILNS1_17partition_subalgoE6ExNS0_10empty_typeEbEEZZNS1_14partition_implILS5_6ELb0ES3_mN6thrust23THRUST_200600_302600_NS6detail15normal_iteratorINSA_10device_ptrIxEEEEPS6_SG_NS0_5tupleIJSF_S6_EEENSH_IJSG_SG_EEES6_PlJNSB_9not_fun_tINSB_14equal_to_valueIxEEEEEEE10hipError_tPvRmT3_T4_T5_T6_T7_T9_mT8_P12ihipStream_tbDpT10_ENKUlT_T0_E_clISt17integral_constantIbLb0EES17_IbLb1EEEEDaS13_S14_EUlS13_E_NS1_11comp_targetILNS1_3genE9ELNS1_11target_archE1100ELNS1_3gpuE3ELNS1_3repE0EEENS1_30default_config_static_selectorELNS0_4arch9wavefront6targetE0EEEvT1_,"axG",@progbits,_ZN7rocprim17ROCPRIM_400000_NS6detail17trampoline_kernelINS0_14default_configENS1_25partition_config_selectorILNS1_17partition_subalgoE6ExNS0_10empty_typeEbEEZZNS1_14partition_implILS5_6ELb0ES3_mN6thrust23THRUST_200600_302600_NS6detail15normal_iteratorINSA_10device_ptrIxEEEEPS6_SG_NS0_5tupleIJSF_S6_EEENSH_IJSG_SG_EEES6_PlJNSB_9not_fun_tINSB_14equal_to_valueIxEEEEEEE10hipError_tPvRmT3_T4_T5_T6_T7_T9_mT8_P12ihipStream_tbDpT10_ENKUlT_T0_E_clISt17integral_constantIbLb0EES17_IbLb1EEEEDaS13_S14_EUlS13_E_NS1_11comp_targetILNS1_3genE9ELNS1_11target_archE1100ELNS1_3gpuE3ELNS1_3repE0EEENS1_30default_config_static_selectorELNS0_4arch9wavefront6targetE0EEEvT1_,comdat
	.protected	_ZN7rocprim17ROCPRIM_400000_NS6detail17trampoline_kernelINS0_14default_configENS1_25partition_config_selectorILNS1_17partition_subalgoE6ExNS0_10empty_typeEbEEZZNS1_14partition_implILS5_6ELb0ES3_mN6thrust23THRUST_200600_302600_NS6detail15normal_iteratorINSA_10device_ptrIxEEEEPS6_SG_NS0_5tupleIJSF_S6_EEENSH_IJSG_SG_EEES6_PlJNSB_9not_fun_tINSB_14equal_to_valueIxEEEEEEE10hipError_tPvRmT3_T4_T5_T6_T7_T9_mT8_P12ihipStream_tbDpT10_ENKUlT_T0_E_clISt17integral_constantIbLb0EES17_IbLb1EEEEDaS13_S14_EUlS13_E_NS1_11comp_targetILNS1_3genE9ELNS1_11target_archE1100ELNS1_3gpuE3ELNS1_3repE0EEENS1_30default_config_static_selectorELNS0_4arch9wavefront6targetE0EEEvT1_ ; -- Begin function _ZN7rocprim17ROCPRIM_400000_NS6detail17trampoline_kernelINS0_14default_configENS1_25partition_config_selectorILNS1_17partition_subalgoE6ExNS0_10empty_typeEbEEZZNS1_14partition_implILS5_6ELb0ES3_mN6thrust23THRUST_200600_302600_NS6detail15normal_iteratorINSA_10device_ptrIxEEEEPS6_SG_NS0_5tupleIJSF_S6_EEENSH_IJSG_SG_EEES6_PlJNSB_9not_fun_tINSB_14equal_to_valueIxEEEEEEE10hipError_tPvRmT3_T4_T5_T6_T7_T9_mT8_P12ihipStream_tbDpT10_ENKUlT_T0_E_clISt17integral_constantIbLb0EES17_IbLb1EEEEDaS13_S14_EUlS13_E_NS1_11comp_targetILNS1_3genE9ELNS1_11target_archE1100ELNS1_3gpuE3ELNS1_3repE0EEENS1_30default_config_static_selectorELNS0_4arch9wavefront6targetE0EEEvT1_
	.globl	_ZN7rocprim17ROCPRIM_400000_NS6detail17trampoline_kernelINS0_14default_configENS1_25partition_config_selectorILNS1_17partition_subalgoE6ExNS0_10empty_typeEbEEZZNS1_14partition_implILS5_6ELb0ES3_mN6thrust23THRUST_200600_302600_NS6detail15normal_iteratorINSA_10device_ptrIxEEEEPS6_SG_NS0_5tupleIJSF_S6_EEENSH_IJSG_SG_EEES6_PlJNSB_9not_fun_tINSB_14equal_to_valueIxEEEEEEE10hipError_tPvRmT3_T4_T5_T6_T7_T9_mT8_P12ihipStream_tbDpT10_ENKUlT_T0_E_clISt17integral_constantIbLb0EES17_IbLb1EEEEDaS13_S14_EUlS13_E_NS1_11comp_targetILNS1_3genE9ELNS1_11target_archE1100ELNS1_3gpuE3ELNS1_3repE0EEENS1_30default_config_static_selectorELNS0_4arch9wavefront6targetE0EEEvT1_
	.p2align	8
	.type	_ZN7rocprim17ROCPRIM_400000_NS6detail17trampoline_kernelINS0_14default_configENS1_25partition_config_selectorILNS1_17partition_subalgoE6ExNS0_10empty_typeEbEEZZNS1_14partition_implILS5_6ELb0ES3_mN6thrust23THRUST_200600_302600_NS6detail15normal_iteratorINSA_10device_ptrIxEEEEPS6_SG_NS0_5tupleIJSF_S6_EEENSH_IJSG_SG_EEES6_PlJNSB_9not_fun_tINSB_14equal_to_valueIxEEEEEEE10hipError_tPvRmT3_T4_T5_T6_T7_T9_mT8_P12ihipStream_tbDpT10_ENKUlT_T0_E_clISt17integral_constantIbLb0EES17_IbLb1EEEEDaS13_S14_EUlS13_E_NS1_11comp_targetILNS1_3genE9ELNS1_11target_archE1100ELNS1_3gpuE3ELNS1_3repE0EEENS1_30default_config_static_selectorELNS0_4arch9wavefront6targetE0EEEvT1_,@function
_ZN7rocprim17ROCPRIM_400000_NS6detail17trampoline_kernelINS0_14default_configENS1_25partition_config_selectorILNS1_17partition_subalgoE6ExNS0_10empty_typeEbEEZZNS1_14partition_implILS5_6ELb0ES3_mN6thrust23THRUST_200600_302600_NS6detail15normal_iteratorINSA_10device_ptrIxEEEEPS6_SG_NS0_5tupleIJSF_S6_EEENSH_IJSG_SG_EEES6_PlJNSB_9not_fun_tINSB_14equal_to_valueIxEEEEEEE10hipError_tPvRmT3_T4_T5_T6_T7_T9_mT8_P12ihipStream_tbDpT10_ENKUlT_T0_E_clISt17integral_constantIbLb0EES17_IbLb1EEEEDaS13_S14_EUlS13_E_NS1_11comp_targetILNS1_3genE9ELNS1_11target_archE1100ELNS1_3gpuE3ELNS1_3repE0EEENS1_30default_config_static_selectorELNS0_4arch9wavefront6targetE0EEEvT1_: ; @_ZN7rocprim17ROCPRIM_400000_NS6detail17trampoline_kernelINS0_14default_configENS1_25partition_config_selectorILNS1_17partition_subalgoE6ExNS0_10empty_typeEbEEZZNS1_14partition_implILS5_6ELb0ES3_mN6thrust23THRUST_200600_302600_NS6detail15normal_iteratorINSA_10device_ptrIxEEEEPS6_SG_NS0_5tupleIJSF_S6_EEENSH_IJSG_SG_EEES6_PlJNSB_9not_fun_tINSB_14equal_to_valueIxEEEEEEE10hipError_tPvRmT3_T4_T5_T6_T7_T9_mT8_P12ihipStream_tbDpT10_ENKUlT_T0_E_clISt17integral_constantIbLb0EES17_IbLb1EEEEDaS13_S14_EUlS13_E_NS1_11comp_targetILNS1_3genE9ELNS1_11target_archE1100ELNS1_3gpuE3ELNS1_3repE0EEENS1_30default_config_static_selectorELNS0_4arch9wavefront6targetE0EEEvT1_
; %bb.0:
	.section	.rodata,"a",@progbits
	.p2align	6, 0x0
	.amdhsa_kernel _ZN7rocprim17ROCPRIM_400000_NS6detail17trampoline_kernelINS0_14default_configENS1_25partition_config_selectorILNS1_17partition_subalgoE6ExNS0_10empty_typeEbEEZZNS1_14partition_implILS5_6ELb0ES3_mN6thrust23THRUST_200600_302600_NS6detail15normal_iteratorINSA_10device_ptrIxEEEEPS6_SG_NS0_5tupleIJSF_S6_EEENSH_IJSG_SG_EEES6_PlJNSB_9not_fun_tINSB_14equal_to_valueIxEEEEEEE10hipError_tPvRmT3_T4_T5_T6_T7_T9_mT8_P12ihipStream_tbDpT10_ENKUlT_T0_E_clISt17integral_constantIbLb0EES17_IbLb1EEEEDaS13_S14_EUlS13_E_NS1_11comp_targetILNS1_3genE9ELNS1_11target_archE1100ELNS1_3gpuE3ELNS1_3repE0EEENS1_30default_config_static_selectorELNS0_4arch9wavefront6targetE0EEEvT1_
		.amdhsa_group_segment_fixed_size 0
		.amdhsa_private_segment_fixed_size 0
		.amdhsa_kernarg_size 128
		.amdhsa_user_sgpr_count 2
		.amdhsa_user_sgpr_dispatch_ptr 0
		.amdhsa_user_sgpr_queue_ptr 0
		.amdhsa_user_sgpr_kernarg_segment_ptr 1
		.amdhsa_user_sgpr_dispatch_id 0
		.amdhsa_user_sgpr_private_segment_size 0
		.amdhsa_wavefront_size32 1
		.amdhsa_uses_dynamic_stack 0
		.amdhsa_enable_private_segment 0
		.amdhsa_system_sgpr_workgroup_id_x 1
		.amdhsa_system_sgpr_workgroup_id_y 0
		.amdhsa_system_sgpr_workgroup_id_z 0
		.amdhsa_system_sgpr_workgroup_info 0
		.amdhsa_system_vgpr_workitem_id 0
		.amdhsa_next_free_vgpr 1
		.amdhsa_next_free_sgpr 1
		.amdhsa_reserve_vcc 0
		.amdhsa_float_round_mode_32 0
		.amdhsa_float_round_mode_16_64 0
		.amdhsa_float_denorm_mode_32 3
		.amdhsa_float_denorm_mode_16_64 3
		.amdhsa_fp16_overflow 0
		.amdhsa_workgroup_processor_mode 1
		.amdhsa_memory_ordered 1
		.amdhsa_forward_progress 1
		.amdhsa_inst_pref_size 0
		.amdhsa_round_robin_scheduling 0
		.amdhsa_exception_fp_ieee_invalid_op 0
		.amdhsa_exception_fp_denorm_src 0
		.amdhsa_exception_fp_ieee_div_zero 0
		.amdhsa_exception_fp_ieee_overflow 0
		.amdhsa_exception_fp_ieee_underflow 0
		.amdhsa_exception_fp_ieee_inexact 0
		.amdhsa_exception_int_div_zero 0
	.end_amdhsa_kernel
	.section	.text._ZN7rocprim17ROCPRIM_400000_NS6detail17trampoline_kernelINS0_14default_configENS1_25partition_config_selectorILNS1_17partition_subalgoE6ExNS0_10empty_typeEbEEZZNS1_14partition_implILS5_6ELb0ES3_mN6thrust23THRUST_200600_302600_NS6detail15normal_iteratorINSA_10device_ptrIxEEEEPS6_SG_NS0_5tupleIJSF_S6_EEENSH_IJSG_SG_EEES6_PlJNSB_9not_fun_tINSB_14equal_to_valueIxEEEEEEE10hipError_tPvRmT3_T4_T5_T6_T7_T9_mT8_P12ihipStream_tbDpT10_ENKUlT_T0_E_clISt17integral_constantIbLb0EES17_IbLb1EEEEDaS13_S14_EUlS13_E_NS1_11comp_targetILNS1_3genE9ELNS1_11target_archE1100ELNS1_3gpuE3ELNS1_3repE0EEENS1_30default_config_static_selectorELNS0_4arch9wavefront6targetE0EEEvT1_,"axG",@progbits,_ZN7rocprim17ROCPRIM_400000_NS6detail17trampoline_kernelINS0_14default_configENS1_25partition_config_selectorILNS1_17partition_subalgoE6ExNS0_10empty_typeEbEEZZNS1_14partition_implILS5_6ELb0ES3_mN6thrust23THRUST_200600_302600_NS6detail15normal_iteratorINSA_10device_ptrIxEEEEPS6_SG_NS0_5tupleIJSF_S6_EEENSH_IJSG_SG_EEES6_PlJNSB_9not_fun_tINSB_14equal_to_valueIxEEEEEEE10hipError_tPvRmT3_T4_T5_T6_T7_T9_mT8_P12ihipStream_tbDpT10_ENKUlT_T0_E_clISt17integral_constantIbLb0EES17_IbLb1EEEEDaS13_S14_EUlS13_E_NS1_11comp_targetILNS1_3genE9ELNS1_11target_archE1100ELNS1_3gpuE3ELNS1_3repE0EEENS1_30default_config_static_selectorELNS0_4arch9wavefront6targetE0EEEvT1_,comdat
.Lfunc_end467:
	.size	_ZN7rocprim17ROCPRIM_400000_NS6detail17trampoline_kernelINS0_14default_configENS1_25partition_config_selectorILNS1_17partition_subalgoE6ExNS0_10empty_typeEbEEZZNS1_14partition_implILS5_6ELb0ES3_mN6thrust23THRUST_200600_302600_NS6detail15normal_iteratorINSA_10device_ptrIxEEEEPS6_SG_NS0_5tupleIJSF_S6_EEENSH_IJSG_SG_EEES6_PlJNSB_9not_fun_tINSB_14equal_to_valueIxEEEEEEE10hipError_tPvRmT3_T4_T5_T6_T7_T9_mT8_P12ihipStream_tbDpT10_ENKUlT_T0_E_clISt17integral_constantIbLb0EES17_IbLb1EEEEDaS13_S14_EUlS13_E_NS1_11comp_targetILNS1_3genE9ELNS1_11target_archE1100ELNS1_3gpuE3ELNS1_3repE0EEENS1_30default_config_static_selectorELNS0_4arch9wavefront6targetE0EEEvT1_, .Lfunc_end467-_ZN7rocprim17ROCPRIM_400000_NS6detail17trampoline_kernelINS0_14default_configENS1_25partition_config_selectorILNS1_17partition_subalgoE6ExNS0_10empty_typeEbEEZZNS1_14partition_implILS5_6ELb0ES3_mN6thrust23THRUST_200600_302600_NS6detail15normal_iteratorINSA_10device_ptrIxEEEEPS6_SG_NS0_5tupleIJSF_S6_EEENSH_IJSG_SG_EEES6_PlJNSB_9not_fun_tINSB_14equal_to_valueIxEEEEEEE10hipError_tPvRmT3_T4_T5_T6_T7_T9_mT8_P12ihipStream_tbDpT10_ENKUlT_T0_E_clISt17integral_constantIbLb0EES17_IbLb1EEEEDaS13_S14_EUlS13_E_NS1_11comp_targetILNS1_3genE9ELNS1_11target_archE1100ELNS1_3gpuE3ELNS1_3repE0EEENS1_30default_config_static_selectorELNS0_4arch9wavefront6targetE0EEEvT1_
                                        ; -- End function
	.set _ZN7rocprim17ROCPRIM_400000_NS6detail17trampoline_kernelINS0_14default_configENS1_25partition_config_selectorILNS1_17partition_subalgoE6ExNS0_10empty_typeEbEEZZNS1_14partition_implILS5_6ELb0ES3_mN6thrust23THRUST_200600_302600_NS6detail15normal_iteratorINSA_10device_ptrIxEEEEPS6_SG_NS0_5tupleIJSF_S6_EEENSH_IJSG_SG_EEES6_PlJNSB_9not_fun_tINSB_14equal_to_valueIxEEEEEEE10hipError_tPvRmT3_T4_T5_T6_T7_T9_mT8_P12ihipStream_tbDpT10_ENKUlT_T0_E_clISt17integral_constantIbLb0EES17_IbLb1EEEEDaS13_S14_EUlS13_E_NS1_11comp_targetILNS1_3genE9ELNS1_11target_archE1100ELNS1_3gpuE3ELNS1_3repE0EEENS1_30default_config_static_selectorELNS0_4arch9wavefront6targetE0EEEvT1_.num_vgpr, 0
	.set _ZN7rocprim17ROCPRIM_400000_NS6detail17trampoline_kernelINS0_14default_configENS1_25partition_config_selectorILNS1_17partition_subalgoE6ExNS0_10empty_typeEbEEZZNS1_14partition_implILS5_6ELb0ES3_mN6thrust23THRUST_200600_302600_NS6detail15normal_iteratorINSA_10device_ptrIxEEEEPS6_SG_NS0_5tupleIJSF_S6_EEENSH_IJSG_SG_EEES6_PlJNSB_9not_fun_tINSB_14equal_to_valueIxEEEEEEE10hipError_tPvRmT3_T4_T5_T6_T7_T9_mT8_P12ihipStream_tbDpT10_ENKUlT_T0_E_clISt17integral_constantIbLb0EES17_IbLb1EEEEDaS13_S14_EUlS13_E_NS1_11comp_targetILNS1_3genE9ELNS1_11target_archE1100ELNS1_3gpuE3ELNS1_3repE0EEENS1_30default_config_static_selectorELNS0_4arch9wavefront6targetE0EEEvT1_.num_agpr, 0
	.set _ZN7rocprim17ROCPRIM_400000_NS6detail17trampoline_kernelINS0_14default_configENS1_25partition_config_selectorILNS1_17partition_subalgoE6ExNS0_10empty_typeEbEEZZNS1_14partition_implILS5_6ELb0ES3_mN6thrust23THRUST_200600_302600_NS6detail15normal_iteratorINSA_10device_ptrIxEEEEPS6_SG_NS0_5tupleIJSF_S6_EEENSH_IJSG_SG_EEES6_PlJNSB_9not_fun_tINSB_14equal_to_valueIxEEEEEEE10hipError_tPvRmT3_T4_T5_T6_T7_T9_mT8_P12ihipStream_tbDpT10_ENKUlT_T0_E_clISt17integral_constantIbLb0EES17_IbLb1EEEEDaS13_S14_EUlS13_E_NS1_11comp_targetILNS1_3genE9ELNS1_11target_archE1100ELNS1_3gpuE3ELNS1_3repE0EEENS1_30default_config_static_selectorELNS0_4arch9wavefront6targetE0EEEvT1_.numbered_sgpr, 0
	.set _ZN7rocprim17ROCPRIM_400000_NS6detail17trampoline_kernelINS0_14default_configENS1_25partition_config_selectorILNS1_17partition_subalgoE6ExNS0_10empty_typeEbEEZZNS1_14partition_implILS5_6ELb0ES3_mN6thrust23THRUST_200600_302600_NS6detail15normal_iteratorINSA_10device_ptrIxEEEEPS6_SG_NS0_5tupleIJSF_S6_EEENSH_IJSG_SG_EEES6_PlJNSB_9not_fun_tINSB_14equal_to_valueIxEEEEEEE10hipError_tPvRmT3_T4_T5_T6_T7_T9_mT8_P12ihipStream_tbDpT10_ENKUlT_T0_E_clISt17integral_constantIbLb0EES17_IbLb1EEEEDaS13_S14_EUlS13_E_NS1_11comp_targetILNS1_3genE9ELNS1_11target_archE1100ELNS1_3gpuE3ELNS1_3repE0EEENS1_30default_config_static_selectorELNS0_4arch9wavefront6targetE0EEEvT1_.num_named_barrier, 0
	.set _ZN7rocprim17ROCPRIM_400000_NS6detail17trampoline_kernelINS0_14default_configENS1_25partition_config_selectorILNS1_17partition_subalgoE6ExNS0_10empty_typeEbEEZZNS1_14partition_implILS5_6ELb0ES3_mN6thrust23THRUST_200600_302600_NS6detail15normal_iteratorINSA_10device_ptrIxEEEEPS6_SG_NS0_5tupleIJSF_S6_EEENSH_IJSG_SG_EEES6_PlJNSB_9not_fun_tINSB_14equal_to_valueIxEEEEEEE10hipError_tPvRmT3_T4_T5_T6_T7_T9_mT8_P12ihipStream_tbDpT10_ENKUlT_T0_E_clISt17integral_constantIbLb0EES17_IbLb1EEEEDaS13_S14_EUlS13_E_NS1_11comp_targetILNS1_3genE9ELNS1_11target_archE1100ELNS1_3gpuE3ELNS1_3repE0EEENS1_30default_config_static_selectorELNS0_4arch9wavefront6targetE0EEEvT1_.private_seg_size, 0
	.set _ZN7rocprim17ROCPRIM_400000_NS6detail17trampoline_kernelINS0_14default_configENS1_25partition_config_selectorILNS1_17partition_subalgoE6ExNS0_10empty_typeEbEEZZNS1_14partition_implILS5_6ELb0ES3_mN6thrust23THRUST_200600_302600_NS6detail15normal_iteratorINSA_10device_ptrIxEEEEPS6_SG_NS0_5tupleIJSF_S6_EEENSH_IJSG_SG_EEES6_PlJNSB_9not_fun_tINSB_14equal_to_valueIxEEEEEEE10hipError_tPvRmT3_T4_T5_T6_T7_T9_mT8_P12ihipStream_tbDpT10_ENKUlT_T0_E_clISt17integral_constantIbLb0EES17_IbLb1EEEEDaS13_S14_EUlS13_E_NS1_11comp_targetILNS1_3genE9ELNS1_11target_archE1100ELNS1_3gpuE3ELNS1_3repE0EEENS1_30default_config_static_selectorELNS0_4arch9wavefront6targetE0EEEvT1_.uses_vcc, 0
	.set _ZN7rocprim17ROCPRIM_400000_NS6detail17trampoline_kernelINS0_14default_configENS1_25partition_config_selectorILNS1_17partition_subalgoE6ExNS0_10empty_typeEbEEZZNS1_14partition_implILS5_6ELb0ES3_mN6thrust23THRUST_200600_302600_NS6detail15normal_iteratorINSA_10device_ptrIxEEEEPS6_SG_NS0_5tupleIJSF_S6_EEENSH_IJSG_SG_EEES6_PlJNSB_9not_fun_tINSB_14equal_to_valueIxEEEEEEE10hipError_tPvRmT3_T4_T5_T6_T7_T9_mT8_P12ihipStream_tbDpT10_ENKUlT_T0_E_clISt17integral_constantIbLb0EES17_IbLb1EEEEDaS13_S14_EUlS13_E_NS1_11comp_targetILNS1_3genE9ELNS1_11target_archE1100ELNS1_3gpuE3ELNS1_3repE0EEENS1_30default_config_static_selectorELNS0_4arch9wavefront6targetE0EEEvT1_.uses_flat_scratch, 0
	.set _ZN7rocprim17ROCPRIM_400000_NS6detail17trampoline_kernelINS0_14default_configENS1_25partition_config_selectorILNS1_17partition_subalgoE6ExNS0_10empty_typeEbEEZZNS1_14partition_implILS5_6ELb0ES3_mN6thrust23THRUST_200600_302600_NS6detail15normal_iteratorINSA_10device_ptrIxEEEEPS6_SG_NS0_5tupleIJSF_S6_EEENSH_IJSG_SG_EEES6_PlJNSB_9not_fun_tINSB_14equal_to_valueIxEEEEEEE10hipError_tPvRmT3_T4_T5_T6_T7_T9_mT8_P12ihipStream_tbDpT10_ENKUlT_T0_E_clISt17integral_constantIbLb0EES17_IbLb1EEEEDaS13_S14_EUlS13_E_NS1_11comp_targetILNS1_3genE9ELNS1_11target_archE1100ELNS1_3gpuE3ELNS1_3repE0EEENS1_30default_config_static_selectorELNS0_4arch9wavefront6targetE0EEEvT1_.has_dyn_sized_stack, 0
	.set _ZN7rocprim17ROCPRIM_400000_NS6detail17trampoline_kernelINS0_14default_configENS1_25partition_config_selectorILNS1_17partition_subalgoE6ExNS0_10empty_typeEbEEZZNS1_14partition_implILS5_6ELb0ES3_mN6thrust23THRUST_200600_302600_NS6detail15normal_iteratorINSA_10device_ptrIxEEEEPS6_SG_NS0_5tupleIJSF_S6_EEENSH_IJSG_SG_EEES6_PlJNSB_9not_fun_tINSB_14equal_to_valueIxEEEEEEE10hipError_tPvRmT3_T4_T5_T6_T7_T9_mT8_P12ihipStream_tbDpT10_ENKUlT_T0_E_clISt17integral_constantIbLb0EES17_IbLb1EEEEDaS13_S14_EUlS13_E_NS1_11comp_targetILNS1_3genE9ELNS1_11target_archE1100ELNS1_3gpuE3ELNS1_3repE0EEENS1_30default_config_static_selectorELNS0_4arch9wavefront6targetE0EEEvT1_.has_recursion, 0
	.set _ZN7rocprim17ROCPRIM_400000_NS6detail17trampoline_kernelINS0_14default_configENS1_25partition_config_selectorILNS1_17partition_subalgoE6ExNS0_10empty_typeEbEEZZNS1_14partition_implILS5_6ELb0ES3_mN6thrust23THRUST_200600_302600_NS6detail15normal_iteratorINSA_10device_ptrIxEEEEPS6_SG_NS0_5tupleIJSF_S6_EEENSH_IJSG_SG_EEES6_PlJNSB_9not_fun_tINSB_14equal_to_valueIxEEEEEEE10hipError_tPvRmT3_T4_T5_T6_T7_T9_mT8_P12ihipStream_tbDpT10_ENKUlT_T0_E_clISt17integral_constantIbLb0EES17_IbLb1EEEEDaS13_S14_EUlS13_E_NS1_11comp_targetILNS1_3genE9ELNS1_11target_archE1100ELNS1_3gpuE3ELNS1_3repE0EEENS1_30default_config_static_selectorELNS0_4arch9wavefront6targetE0EEEvT1_.has_indirect_call, 0
	.section	.AMDGPU.csdata,"",@progbits
; Kernel info:
; codeLenInByte = 0
; TotalNumSgprs: 0
; NumVgprs: 0
; ScratchSize: 0
; MemoryBound: 0
; FloatMode: 240
; IeeeMode: 1
; LDSByteSize: 0 bytes/workgroup (compile time only)
; SGPRBlocks: 0
; VGPRBlocks: 0
; NumSGPRsForWavesPerEU: 1
; NumVGPRsForWavesPerEU: 1
; Occupancy: 16
; WaveLimiterHint : 0
; COMPUTE_PGM_RSRC2:SCRATCH_EN: 0
; COMPUTE_PGM_RSRC2:USER_SGPR: 2
; COMPUTE_PGM_RSRC2:TRAP_HANDLER: 0
; COMPUTE_PGM_RSRC2:TGID_X_EN: 1
; COMPUTE_PGM_RSRC2:TGID_Y_EN: 0
; COMPUTE_PGM_RSRC2:TGID_Z_EN: 0
; COMPUTE_PGM_RSRC2:TIDIG_COMP_CNT: 0
	.section	.text._ZN7rocprim17ROCPRIM_400000_NS6detail17trampoline_kernelINS0_14default_configENS1_25partition_config_selectorILNS1_17partition_subalgoE6ExNS0_10empty_typeEbEEZZNS1_14partition_implILS5_6ELb0ES3_mN6thrust23THRUST_200600_302600_NS6detail15normal_iteratorINSA_10device_ptrIxEEEEPS6_SG_NS0_5tupleIJSF_S6_EEENSH_IJSG_SG_EEES6_PlJNSB_9not_fun_tINSB_14equal_to_valueIxEEEEEEE10hipError_tPvRmT3_T4_T5_T6_T7_T9_mT8_P12ihipStream_tbDpT10_ENKUlT_T0_E_clISt17integral_constantIbLb0EES17_IbLb1EEEEDaS13_S14_EUlS13_E_NS1_11comp_targetILNS1_3genE8ELNS1_11target_archE1030ELNS1_3gpuE2ELNS1_3repE0EEENS1_30default_config_static_selectorELNS0_4arch9wavefront6targetE0EEEvT1_,"axG",@progbits,_ZN7rocprim17ROCPRIM_400000_NS6detail17trampoline_kernelINS0_14default_configENS1_25partition_config_selectorILNS1_17partition_subalgoE6ExNS0_10empty_typeEbEEZZNS1_14partition_implILS5_6ELb0ES3_mN6thrust23THRUST_200600_302600_NS6detail15normal_iteratorINSA_10device_ptrIxEEEEPS6_SG_NS0_5tupleIJSF_S6_EEENSH_IJSG_SG_EEES6_PlJNSB_9not_fun_tINSB_14equal_to_valueIxEEEEEEE10hipError_tPvRmT3_T4_T5_T6_T7_T9_mT8_P12ihipStream_tbDpT10_ENKUlT_T0_E_clISt17integral_constantIbLb0EES17_IbLb1EEEEDaS13_S14_EUlS13_E_NS1_11comp_targetILNS1_3genE8ELNS1_11target_archE1030ELNS1_3gpuE2ELNS1_3repE0EEENS1_30default_config_static_selectorELNS0_4arch9wavefront6targetE0EEEvT1_,comdat
	.protected	_ZN7rocprim17ROCPRIM_400000_NS6detail17trampoline_kernelINS0_14default_configENS1_25partition_config_selectorILNS1_17partition_subalgoE6ExNS0_10empty_typeEbEEZZNS1_14partition_implILS5_6ELb0ES3_mN6thrust23THRUST_200600_302600_NS6detail15normal_iteratorINSA_10device_ptrIxEEEEPS6_SG_NS0_5tupleIJSF_S6_EEENSH_IJSG_SG_EEES6_PlJNSB_9not_fun_tINSB_14equal_to_valueIxEEEEEEE10hipError_tPvRmT3_T4_T5_T6_T7_T9_mT8_P12ihipStream_tbDpT10_ENKUlT_T0_E_clISt17integral_constantIbLb0EES17_IbLb1EEEEDaS13_S14_EUlS13_E_NS1_11comp_targetILNS1_3genE8ELNS1_11target_archE1030ELNS1_3gpuE2ELNS1_3repE0EEENS1_30default_config_static_selectorELNS0_4arch9wavefront6targetE0EEEvT1_ ; -- Begin function _ZN7rocprim17ROCPRIM_400000_NS6detail17trampoline_kernelINS0_14default_configENS1_25partition_config_selectorILNS1_17partition_subalgoE6ExNS0_10empty_typeEbEEZZNS1_14partition_implILS5_6ELb0ES3_mN6thrust23THRUST_200600_302600_NS6detail15normal_iteratorINSA_10device_ptrIxEEEEPS6_SG_NS0_5tupleIJSF_S6_EEENSH_IJSG_SG_EEES6_PlJNSB_9not_fun_tINSB_14equal_to_valueIxEEEEEEE10hipError_tPvRmT3_T4_T5_T6_T7_T9_mT8_P12ihipStream_tbDpT10_ENKUlT_T0_E_clISt17integral_constantIbLb0EES17_IbLb1EEEEDaS13_S14_EUlS13_E_NS1_11comp_targetILNS1_3genE8ELNS1_11target_archE1030ELNS1_3gpuE2ELNS1_3repE0EEENS1_30default_config_static_selectorELNS0_4arch9wavefront6targetE0EEEvT1_
	.globl	_ZN7rocprim17ROCPRIM_400000_NS6detail17trampoline_kernelINS0_14default_configENS1_25partition_config_selectorILNS1_17partition_subalgoE6ExNS0_10empty_typeEbEEZZNS1_14partition_implILS5_6ELb0ES3_mN6thrust23THRUST_200600_302600_NS6detail15normal_iteratorINSA_10device_ptrIxEEEEPS6_SG_NS0_5tupleIJSF_S6_EEENSH_IJSG_SG_EEES6_PlJNSB_9not_fun_tINSB_14equal_to_valueIxEEEEEEE10hipError_tPvRmT3_T4_T5_T6_T7_T9_mT8_P12ihipStream_tbDpT10_ENKUlT_T0_E_clISt17integral_constantIbLb0EES17_IbLb1EEEEDaS13_S14_EUlS13_E_NS1_11comp_targetILNS1_3genE8ELNS1_11target_archE1030ELNS1_3gpuE2ELNS1_3repE0EEENS1_30default_config_static_selectorELNS0_4arch9wavefront6targetE0EEEvT1_
	.p2align	8
	.type	_ZN7rocprim17ROCPRIM_400000_NS6detail17trampoline_kernelINS0_14default_configENS1_25partition_config_selectorILNS1_17partition_subalgoE6ExNS0_10empty_typeEbEEZZNS1_14partition_implILS5_6ELb0ES3_mN6thrust23THRUST_200600_302600_NS6detail15normal_iteratorINSA_10device_ptrIxEEEEPS6_SG_NS0_5tupleIJSF_S6_EEENSH_IJSG_SG_EEES6_PlJNSB_9not_fun_tINSB_14equal_to_valueIxEEEEEEE10hipError_tPvRmT3_T4_T5_T6_T7_T9_mT8_P12ihipStream_tbDpT10_ENKUlT_T0_E_clISt17integral_constantIbLb0EES17_IbLb1EEEEDaS13_S14_EUlS13_E_NS1_11comp_targetILNS1_3genE8ELNS1_11target_archE1030ELNS1_3gpuE2ELNS1_3repE0EEENS1_30default_config_static_selectorELNS0_4arch9wavefront6targetE0EEEvT1_,@function
_ZN7rocprim17ROCPRIM_400000_NS6detail17trampoline_kernelINS0_14default_configENS1_25partition_config_selectorILNS1_17partition_subalgoE6ExNS0_10empty_typeEbEEZZNS1_14partition_implILS5_6ELb0ES3_mN6thrust23THRUST_200600_302600_NS6detail15normal_iteratorINSA_10device_ptrIxEEEEPS6_SG_NS0_5tupleIJSF_S6_EEENSH_IJSG_SG_EEES6_PlJNSB_9not_fun_tINSB_14equal_to_valueIxEEEEEEE10hipError_tPvRmT3_T4_T5_T6_T7_T9_mT8_P12ihipStream_tbDpT10_ENKUlT_T0_E_clISt17integral_constantIbLb0EES17_IbLb1EEEEDaS13_S14_EUlS13_E_NS1_11comp_targetILNS1_3genE8ELNS1_11target_archE1030ELNS1_3gpuE2ELNS1_3repE0EEENS1_30default_config_static_selectorELNS0_4arch9wavefront6targetE0EEEvT1_: ; @_ZN7rocprim17ROCPRIM_400000_NS6detail17trampoline_kernelINS0_14default_configENS1_25partition_config_selectorILNS1_17partition_subalgoE6ExNS0_10empty_typeEbEEZZNS1_14partition_implILS5_6ELb0ES3_mN6thrust23THRUST_200600_302600_NS6detail15normal_iteratorINSA_10device_ptrIxEEEEPS6_SG_NS0_5tupleIJSF_S6_EEENSH_IJSG_SG_EEES6_PlJNSB_9not_fun_tINSB_14equal_to_valueIxEEEEEEE10hipError_tPvRmT3_T4_T5_T6_T7_T9_mT8_P12ihipStream_tbDpT10_ENKUlT_T0_E_clISt17integral_constantIbLb0EES17_IbLb1EEEEDaS13_S14_EUlS13_E_NS1_11comp_targetILNS1_3genE8ELNS1_11target_archE1030ELNS1_3gpuE2ELNS1_3repE0EEENS1_30default_config_static_selectorELNS0_4arch9wavefront6targetE0EEEvT1_
; %bb.0:
	.section	.rodata,"a",@progbits
	.p2align	6, 0x0
	.amdhsa_kernel _ZN7rocprim17ROCPRIM_400000_NS6detail17trampoline_kernelINS0_14default_configENS1_25partition_config_selectorILNS1_17partition_subalgoE6ExNS0_10empty_typeEbEEZZNS1_14partition_implILS5_6ELb0ES3_mN6thrust23THRUST_200600_302600_NS6detail15normal_iteratorINSA_10device_ptrIxEEEEPS6_SG_NS0_5tupleIJSF_S6_EEENSH_IJSG_SG_EEES6_PlJNSB_9not_fun_tINSB_14equal_to_valueIxEEEEEEE10hipError_tPvRmT3_T4_T5_T6_T7_T9_mT8_P12ihipStream_tbDpT10_ENKUlT_T0_E_clISt17integral_constantIbLb0EES17_IbLb1EEEEDaS13_S14_EUlS13_E_NS1_11comp_targetILNS1_3genE8ELNS1_11target_archE1030ELNS1_3gpuE2ELNS1_3repE0EEENS1_30default_config_static_selectorELNS0_4arch9wavefront6targetE0EEEvT1_
		.amdhsa_group_segment_fixed_size 0
		.amdhsa_private_segment_fixed_size 0
		.amdhsa_kernarg_size 128
		.amdhsa_user_sgpr_count 2
		.amdhsa_user_sgpr_dispatch_ptr 0
		.amdhsa_user_sgpr_queue_ptr 0
		.amdhsa_user_sgpr_kernarg_segment_ptr 1
		.amdhsa_user_sgpr_dispatch_id 0
		.amdhsa_user_sgpr_private_segment_size 0
		.amdhsa_wavefront_size32 1
		.amdhsa_uses_dynamic_stack 0
		.amdhsa_enable_private_segment 0
		.amdhsa_system_sgpr_workgroup_id_x 1
		.amdhsa_system_sgpr_workgroup_id_y 0
		.amdhsa_system_sgpr_workgroup_id_z 0
		.amdhsa_system_sgpr_workgroup_info 0
		.amdhsa_system_vgpr_workitem_id 0
		.amdhsa_next_free_vgpr 1
		.amdhsa_next_free_sgpr 1
		.amdhsa_reserve_vcc 0
		.amdhsa_float_round_mode_32 0
		.amdhsa_float_round_mode_16_64 0
		.amdhsa_float_denorm_mode_32 3
		.amdhsa_float_denorm_mode_16_64 3
		.amdhsa_fp16_overflow 0
		.amdhsa_workgroup_processor_mode 1
		.amdhsa_memory_ordered 1
		.amdhsa_forward_progress 1
		.amdhsa_inst_pref_size 0
		.amdhsa_round_robin_scheduling 0
		.amdhsa_exception_fp_ieee_invalid_op 0
		.amdhsa_exception_fp_denorm_src 0
		.amdhsa_exception_fp_ieee_div_zero 0
		.amdhsa_exception_fp_ieee_overflow 0
		.amdhsa_exception_fp_ieee_underflow 0
		.amdhsa_exception_fp_ieee_inexact 0
		.amdhsa_exception_int_div_zero 0
	.end_amdhsa_kernel
	.section	.text._ZN7rocprim17ROCPRIM_400000_NS6detail17trampoline_kernelINS0_14default_configENS1_25partition_config_selectorILNS1_17partition_subalgoE6ExNS0_10empty_typeEbEEZZNS1_14partition_implILS5_6ELb0ES3_mN6thrust23THRUST_200600_302600_NS6detail15normal_iteratorINSA_10device_ptrIxEEEEPS6_SG_NS0_5tupleIJSF_S6_EEENSH_IJSG_SG_EEES6_PlJNSB_9not_fun_tINSB_14equal_to_valueIxEEEEEEE10hipError_tPvRmT3_T4_T5_T6_T7_T9_mT8_P12ihipStream_tbDpT10_ENKUlT_T0_E_clISt17integral_constantIbLb0EES17_IbLb1EEEEDaS13_S14_EUlS13_E_NS1_11comp_targetILNS1_3genE8ELNS1_11target_archE1030ELNS1_3gpuE2ELNS1_3repE0EEENS1_30default_config_static_selectorELNS0_4arch9wavefront6targetE0EEEvT1_,"axG",@progbits,_ZN7rocprim17ROCPRIM_400000_NS6detail17trampoline_kernelINS0_14default_configENS1_25partition_config_selectorILNS1_17partition_subalgoE6ExNS0_10empty_typeEbEEZZNS1_14partition_implILS5_6ELb0ES3_mN6thrust23THRUST_200600_302600_NS6detail15normal_iteratorINSA_10device_ptrIxEEEEPS6_SG_NS0_5tupleIJSF_S6_EEENSH_IJSG_SG_EEES6_PlJNSB_9not_fun_tINSB_14equal_to_valueIxEEEEEEE10hipError_tPvRmT3_T4_T5_T6_T7_T9_mT8_P12ihipStream_tbDpT10_ENKUlT_T0_E_clISt17integral_constantIbLb0EES17_IbLb1EEEEDaS13_S14_EUlS13_E_NS1_11comp_targetILNS1_3genE8ELNS1_11target_archE1030ELNS1_3gpuE2ELNS1_3repE0EEENS1_30default_config_static_selectorELNS0_4arch9wavefront6targetE0EEEvT1_,comdat
.Lfunc_end468:
	.size	_ZN7rocprim17ROCPRIM_400000_NS6detail17trampoline_kernelINS0_14default_configENS1_25partition_config_selectorILNS1_17partition_subalgoE6ExNS0_10empty_typeEbEEZZNS1_14partition_implILS5_6ELb0ES3_mN6thrust23THRUST_200600_302600_NS6detail15normal_iteratorINSA_10device_ptrIxEEEEPS6_SG_NS0_5tupleIJSF_S6_EEENSH_IJSG_SG_EEES6_PlJNSB_9not_fun_tINSB_14equal_to_valueIxEEEEEEE10hipError_tPvRmT3_T4_T5_T6_T7_T9_mT8_P12ihipStream_tbDpT10_ENKUlT_T0_E_clISt17integral_constantIbLb0EES17_IbLb1EEEEDaS13_S14_EUlS13_E_NS1_11comp_targetILNS1_3genE8ELNS1_11target_archE1030ELNS1_3gpuE2ELNS1_3repE0EEENS1_30default_config_static_selectorELNS0_4arch9wavefront6targetE0EEEvT1_, .Lfunc_end468-_ZN7rocprim17ROCPRIM_400000_NS6detail17trampoline_kernelINS0_14default_configENS1_25partition_config_selectorILNS1_17partition_subalgoE6ExNS0_10empty_typeEbEEZZNS1_14partition_implILS5_6ELb0ES3_mN6thrust23THRUST_200600_302600_NS6detail15normal_iteratorINSA_10device_ptrIxEEEEPS6_SG_NS0_5tupleIJSF_S6_EEENSH_IJSG_SG_EEES6_PlJNSB_9not_fun_tINSB_14equal_to_valueIxEEEEEEE10hipError_tPvRmT3_T4_T5_T6_T7_T9_mT8_P12ihipStream_tbDpT10_ENKUlT_T0_E_clISt17integral_constantIbLb0EES17_IbLb1EEEEDaS13_S14_EUlS13_E_NS1_11comp_targetILNS1_3genE8ELNS1_11target_archE1030ELNS1_3gpuE2ELNS1_3repE0EEENS1_30default_config_static_selectorELNS0_4arch9wavefront6targetE0EEEvT1_
                                        ; -- End function
	.set _ZN7rocprim17ROCPRIM_400000_NS6detail17trampoline_kernelINS0_14default_configENS1_25partition_config_selectorILNS1_17partition_subalgoE6ExNS0_10empty_typeEbEEZZNS1_14partition_implILS5_6ELb0ES3_mN6thrust23THRUST_200600_302600_NS6detail15normal_iteratorINSA_10device_ptrIxEEEEPS6_SG_NS0_5tupleIJSF_S6_EEENSH_IJSG_SG_EEES6_PlJNSB_9not_fun_tINSB_14equal_to_valueIxEEEEEEE10hipError_tPvRmT3_T4_T5_T6_T7_T9_mT8_P12ihipStream_tbDpT10_ENKUlT_T0_E_clISt17integral_constantIbLb0EES17_IbLb1EEEEDaS13_S14_EUlS13_E_NS1_11comp_targetILNS1_3genE8ELNS1_11target_archE1030ELNS1_3gpuE2ELNS1_3repE0EEENS1_30default_config_static_selectorELNS0_4arch9wavefront6targetE0EEEvT1_.num_vgpr, 0
	.set _ZN7rocprim17ROCPRIM_400000_NS6detail17trampoline_kernelINS0_14default_configENS1_25partition_config_selectorILNS1_17partition_subalgoE6ExNS0_10empty_typeEbEEZZNS1_14partition_implILS5_6ELb0ES3_mN6thrust23THRUST_200600_302600_NS6detail15normal_iteratorINSA_10device_ptrIxEEEEPS6_SG_NS0_5tupleIJSF_S6_EEENSH_IJSG_SG_EEES6_PlJNSB_9not_fun_tINSB_14equal_to_valueIxEEEEEEE10hipError_tPvRmT3_T4_T5_T6_T7_T9_mT8_P12ihipStream_tbDpT10_ENKUlT_T0_E_clISt17integral_constantIbLb0EES17_IbLb1EEEEDaS13_S14_EUlS13_E_NS1_11comp_targetILNS1_3genE8ELNS1_11target_archE1030ELNS1_3gpuE2ELNS1_3repE0EEENS1_30default_config_static_selectorELNS0_4arch9wavefront6targetE0EEEvT1_.num_agpr, 0
	.set _ZN7rocprim17ROCPRIM_400000_NS6detail17trampoline_kernelINS0_14default_configENS1_25partition_config_selectorILNS1_17partition_subalgoE6ExNS0_10empty_typeEbEEZZNS1_14partition_implILS5_6ELb0ES3_mN6thrust23THRUST_200600_302600_NS6detail15normal_iteratorINSA_10device_ptrIxEEEEPS6_SG_NS0_5tupleIJSF_S6_EEENSH_IJSG_SG_EEES6_PlJNSB_9not_fun_tINSB_14equal_to_valueIxEEEEEEE10hipError_tPvRmT3_T4_T5_T6_T7_T9_mT8_P12ihipStream_tbDpT10_ENKUlT_T0_E_clISt17integral_constantIbLb0EES17_IbLb1EEEEDaS13_S14_EUlS13_E_NS1_11comp_targetILNS1_3genE8ELNS1_11target_archE1030ELNS1_3gpuE2ELNS1_3repE0EEENS1_30default_config_static_selectorELNS0_4arch9wavefront6targetE0EEEvT1_.numbered_sgpr, 0
	.set _ZN7rocprim17ROCPRIM_400000_NS6detail17trampoline_kernelINS0_14default_configENS1_25partition_config_selectorILNS1_17partition_subalgoE6ExNS0_10empty_typeEbEEZZNS1_14partition_implILS5_6ELb0ES3_mN6thrust23THRUST_200600_302600_NS6detail15normal_iteratorINSA_10device_ptrIxEEEEPS6_SG_NS0_5tupleIJSF_S6_EEENSH_IJSG_SG_EEES6_PlJNSB_9not_fun_tINSB_14equal_to_valueIxEEEEEEE10hipError_tPvRmT3_T4_T5_T6_T7_T9_mT8_P12ihipStream_tbDpT10_ENKUlT_T0_E_clISt17integral_constantIbLb0EES17_IbLb1EEEEDaS13_S14_EUlS13_E_NS1_11comp_targetILNS1_3genE8ELNS1_11target_archE1030ELNS1_3gpuE2ELNS1_3repE0EEENS1_30default_config_static_selectorELNS0_4arch9wavefront6targetE0EEEvT1_.num_named_barrier, 0
	.set _ZN7rocprim17ROCPRIM_400000_NS6detail17trampoline_kernelINS0_14default_configENS1_25partition_config_selectorILNS1_17partition_subalgoE6ExNS0_10empty_typeEbEEZZNS1_14partition_implILS5_6ELb0ES3_mN6thrust23THRUST_200600_302600_NS6detail15normal_iteratorINSA_10device_ptrIxEEEEPS6_SG_NS0_5tupleIJSF_S6_EEENSH_IJSG_SG_EEES6_PlJNSB_9not_fun_tINSB_14equal_to_valueIxEEEEEEE10hipError_tPvRmT3_T4_T5_T6_T7_T9_mT8_P12ihipStream_tbDpT10_ENKUlT_T0_E_clISt17integral_constantIbLb0EES17_IbLb1EEEEDaS13_S14_EUlS13_E_NS1_11comp_targetILNS1_3genE8ELNS1_11target_archE1030ELNS1_3gpuE2ELNS1_3repE0EEENS1_30default_config_static_selectorELNS0_4arch9wavefront6targetE0EEEvT1_.private_seg_size, 0
	.set _ZN7rocprim17ROCPRIM_400000_NS6detail17trampoline_kernelINS0_14default_configENS1_25partition_config_selectorILNS1_17partition_subalgoE6ExNS0_10empty_typeEbEEZZNS1_14partition_implILS5_6ELb0ES3_mN6thrust23THRUST_200600_302600_NS6detail15normal_iteratorINSA_10device_ptrIxEEEEPS6_SG_NS0_5tupleIJSF_S6_EEENSH_IJSG_SG_EEES6_PlJNSB_9not_fun_tINSB_14equal_to_valueIxEEEEEEE10hipError_tPvRmT3_T4_T5_T6_T7_T9_mT8_P12ihipStream_tbDpT10_ENKUlT_T0_E_clISt17integral_constantIbLb0EES17_IbLb1EEEEDaS13_S14_EUlS13_E_NS1_11comp_targetILNS1_3genE8ELNS1_11target_archE1030ELNS1_3gpuE2ELNS1_3repE0EEENS1_30default_config_static_selectorELNS0_4arch9wavefront6targetE0EEEvT1_.uses_vcc, 0
	.set _ZN7rocprim17ROCPRIM_400000_NS6detail17trampoline_kernelINS0_14default_configENS1_25partition_config_selectorILNS1_17partition_subalgoE6ExNS0_10empty_typeEbEEZZNS1_14partition_implILS5_6ELb0ES3_mN6thrust23THRUST_200600_302600_NS6detail15normal_iteratorINSA_10device_ptrIxEEEEPS6_SG_NS0_5tupleIJSF_S6_EEENSH_IJSG_SG_EEES6_PlJNSB_9not_fun_tINSB_14equal_to_valueIxEEEEEEE10hipError_tPvRmT3_T4_T5_T6_T7_T9_mT8_P12ihipStream_tbDpT10_ENKUlT_T0_E_clISt17integral_constantIbLb0EES17_IbLb1EEEEDaS13_S14_EUlS13_E_NS1_11comp_targetILNS1_3genE8ELNS1_11target_archE1030ELNS1_3gpuE2ELNS1_3repE0EEENS1_30default_config_static_selectorELNS0_4arch9wavefront6targetE0EEEvT1_.uses_flat_scratch, 0
	.set _ZN7rocprim17ROCPRIM_400000_NS6detail17trampoline_kernelINS0_14default_configENS1_25partition_config_selectorILNS1_17partition_subalgoE6ExNS0_10empty_typeEbEEZZNS1_14partition_implILS5_6ELb0ES3_mN6thrust23THRUST_200600_302600_NS6detail15normal_iteratorINSA_10device_ptrIxEEEEPS6_SG_NS0_5tupleIJSF_S6_EEENSH_IJSG_SG_EEES6_PlJNSB_9not_fun_tINSB_14equal_to_valueIxEEEEEEE10hipError_tPvRmT3_T4_T5_T6_T7_T9_mT8_P12ihipStream_tbDpT10_ENKUlT_T0_E_clISt17integral_constantIbLb0EES17_IbLb1EEEEDaS13_S14_EUlS13_E_NS1_11comp_targetILNS1_3genE8ELNS1_11target_archE1030ELNS1_3gpuE2ELNS1_3repE0EEENS1_30default_config_static_selectorELNS0_4arch9wavefront6targetE0EEEvT1_.has_dyn_sized_stack, 0
	.set _ZN7rocprim17ROCPRIM_400000_NS6detail17trampoline_kernelINS0_14default_configENS1_25partition_config_selectorILNS1_17partition_subalgoE6ExNS0_10empty_typeEbEEZZNS1_14partition_implILS5_6ELb0ES3_mN6thrust23THRUST_200600_302600_NS6detail15normal_iteratorINSA_10device_ptrIxEEEEPS6_SG_NS0_5tupleIJSF_S6_EEENSH_IJSG_SG_EEES6_PlJNSB_9not_fun_tINSB_14equal_to_valueIxEEEEEEE10hipError_tPvRmT3_T4_T5_T6_T7_T9_mT8_P12ihipStream_tbDpT10_ENKUlT_T0_E_clISt17integral_constantIbLb0EES17_IbLb1EEEEDaS13_S14_EUlS13_E_NS1_11comp_targetILNS1_3genE8ELNS1_11target_archE1030ELNS1_3gpuE2ELNS1_3repE0EEENS1_30default_config_static_selectorELNS0_4arch9wavefront6targetE0EEEvT1_.has_recursion, 0
	.set _ZN7rocprim17ROCPRIM_400000_NS6detail17trampoline_kernelINS0_14default_configENS1_25partition_config_selectorILNS1_17partition_subalgoE6ExNS0_10empty_typeEbEEZZNS1_14partition_implILS5_6ELb0ES3_mN6thrust23THRUST_200600_302600_NS6detail15normal_iteratorINSA_10device_ptrIxEEEEPS6_SG_NS0_5tupleIJSF_S6_EEENSH_IJSG_SG_EEES6_PlJNSB_9not_fun_tINSB_14equal_to_valueIxEEEEEEE10hipError_tPvRmT3_T4_T5_T6_T7_T9_mT8_P12ihipStream_tbDpT10_ENKUlT_T0_E_clISt17integral_constantIbLb0EES17_IbLb1EEEEDaS13_S14_EUlS13_E_NS1_11comp_targetILNS1_3genE8ELNS1_11target_archE1030ELNS1_3gpuE2ELNS1_3repE0EEENS1_30default_config_static_selectorELNS0_4arch9wavefront6targetE0EEEvT1_.has_indirect_call, 0
	.section	.AMDGPU.csdata,"",@progbits
; Kernel info:
; codeLenInByte = 0
; TotalNumSgprs: 0
; NumVgprs: 0
; ScratchSize: 0
; MemoryBound: 0
; FloatMode: 240
; IeeeMode: 1
; LDSByteSize: 0 bytes/workgroup (compile time only)
; SGPRBlocks: 0
; VGPRBlocks: 0
; NumSGPRsForWavesPerEU: 1
; NumVGPRsForWavesPerEU: 1
; Occupancy: 16
; WaveLimiterHint : 0
; COMPUTE_PGM_RSRC2:SCRATCH_EN: 0
; COMPUTE_PGM_RSRC2:USER_SGPR: 2
; COMPUTE_PGM_RSRC2:TRAP_HANDLER: 0
; COMPUTE_PGM_RSRC2:TGID_X_EN: 1
; COMPUTE_PGM_RSRC2:TGID_Y_EN: 0
; COMPUTE_PGM_RSRC2:TGID_Z_EN: 0
; COMPUTE_PGM_RSRC2:TIDIG_COMP_CNT: 0
	.section	.text._ZN7rocprim17ROCPRIM_400000_NS6detail17trampoline_kernelINS0_14default_configENS1_25partition_config_selectorILNS1_17partition_subalgoE6EiNS0_10empty_typeEbEEZZNS1_14partition_implILS5_6ELb0ES3_mN6thrust23THRUST_200600_302600_NS6detail15normal_iteratorINSA_10device_ptrIiEEEEPS6_SG_NS0_5tupleIJSF_S6_EEENSH_IJSG_SG_EEES6_PlJNSB_9not_fun_tINSB_14equal_to_valueIiEEEEEEE10hipError_tPvRmT3_T4_T5_T6_T7_T9_mT8_P12ihipStream_tbDpT10_ENKUlT_T0_E_clISt17integral_constantIbLb0EES18_EEDaS13_S14_EUlS13_E_NS1_11comp_targetILNS1_3genE0ELNS1_11target_archE4294967295ELNS1_3gpuE0ELNS1_3repE0EEENS1_30default_config_static_selectorELNS0_4arch9wavefront6targetE0EEEvT1_,"axG",@progbits,_ZN7rocprim17ROCPRIM_400000_NS6detail17trampoline_kernelINS0_14default_configENS1_25partition_config_selectorILNS1_17partition_subalgoE6EiNS0_10empty_typeEbEEZZNS1_14partition_implILS5_6ELb0ES3_mN6thrust23THRUST_200600_302600_NS6detail15normal_iteratorINSA_10device_ptrIiEEEEPS6_SG_NS0_5tupleIJSF_S6_EEENSH_IJSG_SG_EEES6_PlJNSB_9not_fun_tINSB_14equal_to_valueIiEEEEEEE10hipError_tPvRmT3_T4_T5_T6_T7_T9_mT8_P12ihipStream_tbDpT10_ENKUlT_T0_E_clISt17integral_constantIbLb0EES18_EEDaS13_S14_EUlS13_E_NS1_11comp_targetILNS1_3genE0ELNS1_11target_archE4294967295ELNS1_3gpuE0ELNS1_3repE0EEENS1_30default_config_static_selectorELNS0_4arch9wavefront6targetE0EEEvT1_,comdat
	.protected	_ZN7rocprim17ROCPRIM_400000_NS6detail17trampoline_kernelINS0_14default_configENS1_25partition_config_selectorILNS1_17partition_subalgoE6EiNS0_10empty_typeEbEEZZNS1_14partition_implILS5_6ELb0ES3_mN6thrust23THRUST_200600_302600_NS6detail15normal_iteratorINSA_10device_ptrIiEEEEPS6_SG_NS0_5tupleIJSF_S6_EEENSH_IJSG_SG_EEES6_PlJNSB_9not_fun_tINSB_14equal_to_valueIiEEEEEEE10hipError_tPvRmT3_T4_T5_T6_T7_T9_mT8_P12ihipStream_tbDpT10_ENKUlT_T0_E_clISt17integral_constantIbLb0EES18_EEDaS13_S14_EUlS13_E_NS1_11comp_targetILNS1_3genE0ELNS1_11target_archE4294967295ELNS1_3gpuE0ELNS1_3repE0EEENS1_30default_config_static_selectorELNS0_4arch9wavefront6targetE0EEEvT1_ ; -- Begin function _ZN7rocprim17ROCPRIM_400000_NS6detail17trampoline_kernelINS0_14default_configENS1_25partition_config_selectorILNS1_17partition_subalgoE6EiNS0_10empty_typeEbEEZZNS1_14partition_implILS5_6ELb0ES3_mN6thrust23THRUST_200600_302600_NS6detail15normal_iteratorINSA_10device_ptrIiEEEEPS6_SG_NS0_5tupleIJSF_S6_EEENSH_IJSG_SG_EEES6_PlJNSB_9not_fun_tINSB_14equal_to_valueIiEEEEEEE10hipError_tPvRmT3_T4_T5_T6_T7_T9_mT8_P12ihipStream_tbDpT10_ENKUlT_T0_E_clISt17integral_constantIbLb0EES18_EEDaS13_S14_EUlS13_E_NS1_11comp_targetILNS1_3genE0ELNS1_11target_archE4294967295ELNS1_3gpuE0ELNS1_3repE0EEENS1_30default_config_static_selectorELNS0_4arch9wavefront6targetE0EEEvT1_
	.globl	_ZN7rocprim17ROCPRIM_400000_NS6detail17trampoline_kernelINS0_14default_configENS1_25partition_config_selectorILNS1_17partition_subalgoE6EiNS0_10empty_typeEbEEZZNS1_14partition_implILS5_6ELb0ES3_mN6thrust23THRUST_200600_302600_NS6detail15normal_iteratorINSA_10device_ptrIiEEEEPS6_SG_NS0_5tupleIJSF_S6_EEENSH_IJSG_SG_EEES6_PlJNSB_9not_fun_tINSB_14equal_to_valueIiEEEEEEE10hipError_tPvRmT3_T4_T5_T6_T7_T9_mT8_P12ihipStream_tbDpT10_ENKUlT_T0_E_clISt17integral_constantIbLb0EES18_EEDaS13_S14_EUlS13_E_NS1_11comp_targetILNS1_3genE0ELNS1_11target_archE4294967295ELNS1_3gpuE0ELNS1_3repE0EEENS1_30default_config_static_selectorELNS0_4arch9wavefront6targetE0EEEvT1_
	.p2align	8
	.type	_ZN7rocprim17ROCPRIM_400000_NS6detail17trampoline_kernelINS0_14default_configENS1_25partition_config_selectorILNS1_17partition_subalgoE6EiNS0_10empty_typeEbEEZZNS1_14partition_implILS5_6ELb0ES3_mN6thrust23THRUST_200600_302600_NS6detail15normal_iteratorINSA_10device_ptrIiEEEEPS6_SG_NS0_5tupleIJSF_S6_EEENSH_IJSG_SG_EEES6_PlJNSB_9not_fun_tINSB_14equal_to_valueIiEEEEEEE10hipError_tPvRmT3_T4_T5_T6_T7_T9_mT8_P12ihipStream_tbDpT10_ENKUlT_T0_E_clISt17integral_constantIbLb0EES18_EEDaS13_S14_EUlS13_E_NS1_11comp_targetILNS1_3genE0ELNS1_11target_archE4294967295ELNS1_3gpuE0ELNS1_3repE0EEENS1_30default_config_static_selectorELNS0_4arch9wavefront6targetE0EEEvT1_,@function
_ZN7rocprim17ROCPRIM_400000_NS6detail17trampoline_kernelINS0_14default_configENS1_25partition_config_selectorILNS1_17partition_subalgoE6EiNS0_10empty_typeEbEEZZNS1_14partition_implILS5_6ELb0ES3_mN6thrust23THRUST_200600_302600_NS6detail15normal_iteratorINSA_10device_ptrIiEEEEPS6_SG_NS0_5tupleIJSF_S6_EEENSH_IJSG_SG_EEES6_PlJNSB_9not_fun_tINSB_14equal_to_valueIiEEEEEEE10hipError_tPvRmT3_T4_T5_T6_T7_T9_mT8_P12ihipStream_tbDpT10_ENKUlT_T0_E_clISt17integral_constantIbLb0EES18_EEDaS13_S14_EUlS13_E_NS1_11comp_targetILNS1_3genE0ELNS1_11target_archE4294967295ELNS1_3gpuE0ELNS1_3repE0EEENS1_30default_config_static_selectorELNS0_4arch9wavefront6targetE0EEEvT1_: ; @_ZN7rocprim17ROCPRIM_400000_NS6detail17trampoline_kernelINS0_14default_configENS1_25partition_config_selectorILNS1_17partition_subalgoE6EiNS0_10empty_typeEbEEZZNS1_14partition_implILS5_6ELb0ES3_mN6thrust23THRUST_200600_302600_NS6detail15normal_iteratorINSA_10device_ptrIiEEEEPS6_SG_NS0_5tupleIJSF_S6_EEENSH_IJSG_SG_EEES6_PlJNSB_9not_fun_tINSB_14equal_to_valueIiEEEEEEE10hipError_tPvRmT3_T4_T5_T6_T7_T9_mT8_P12ihipStream_tbDpT10_ENKUlT_T0_E_clISt17integral_constantIbLb0EES18_EEDaS13_S14_EUlS13_E_NS1_11comp_targetILNS1_3genE0ELNS1_11target_archE4294967295ELNS1_3gpuE0ELNS1_3repE0EEENS1_30default_config_static_selectorELNS0_4arch9wavefront6targetE0EEEvT1_
; %bb.0:
	.section	.rodata,"a",@progbits
	.p2align	6, 0x0
	.amdhsa_kernel _ZN7rocprim17ROCPRIM_400000_NS6detail17trampoline_kernelINS0_14default_configENS1_25partition_config_selectorILNS1_17partition_subalgoE6EiNS0_10empty_typeEbEEZZNS1_14partition_implILS5_6ELb0ES3_mN6thrust23THRUST_200600_302600_NS6detail15normal_iteratorINSA_10device_ptrIiEEEEPS6_SG_NS0_5tupleIJSF_S6_EEENSH_IJSG_SG_EEES6_PlJNSB_9not_fun_tINSB_14equal_to_valueIiEEEEEEE10hipError_tPvRmT3_T4_T5_T6_T7_T9_mT8_P12ihipStream_tbDpT10_ENKUlT_T0_E_clISt17integral_constantIbLb0EES18_EEDaS13_S14_EUlS13_E_NS1_11comp_targetILNS1_3genE0ELNS1_11target_archE4294967295ELNS1_3gpuE0ELNS1_3repE0EEENS1_30default_config_static_selectorELNS0_4arch9wavefront6targetE0EEEvT1_
		.amdhsa_group_segment_fixed_size 0
		.amdhsa_private_segment_fixed_size 0
		.amdhsa_kernarg_size 120
		.amdhsa_user_sgpr_count 2
		.amdhsa_user_sgpr_dispatch_ptr 0
		.amdhsa_user_sgpr_queue_ptr 0
		.amdhsa_user_sgpr_kernarg_segment_ptr 1
		.amdhsa_user_sgpr_dispatch_id 0
		.amdhsa_user_sgpr_private_segment_size 0
		.amdhsa_wavefront_size32 1
		.amdhsa_uses_dynamic_stack 0
		.amdhsa_enable_private_segment 0
		.amdhsa_system_sgpr_workgroup_id_x 1
		.amdhsa_system_sgpr_workgroup_id_y 0
		.amdhsa_system_sgpr_workgroup_id_z 0
		.amdhsa_system_sgpr_workgroup_info 0
		.amdhsa_system_vgpr_workitem_id 0
		.amdhsa_next_free_vgpr 1
		.amdhsa_next_free_sgpr 1
		.amdhsa_reserve_vcc 0
		.amdhsa_float_round_mode_32 0
		.amdhsa_float_round_mode_16_64 0
		.amdhsa_float_denorm_mode_32 3
		.amdhsa_float_denorm_mode_16_64 3
		.amdhsa_fp16_overflow 0
		.amdhsa_workgroup_processor_mode 1
		.amdhsa_memory_ordered 1
		.amdhsa_forward_progress 1
		.amdhsa_inst_pref_size 0
		.amdhsa_round_robin_scheduling 0
		.amdhsa_exception_fp_ieee_invalid_op 0
		.amdhsa_exception_fp_denorm_src 0
		.amdhsa_exception_fp_ieee_div_zero 0
		.amdhsa_exception_fp_ieee_overflow 0
		.amdhsa_exception_fp_ieee_underflow 0
		.amdhsa_exception_fp_ieee_inexact 0
		.amdhsa_exception_int_div_zero 0
	.end_amdhsa_kernel
	.section	.text._ZN7rocprim17ROCPRIM_400000_NS6detail17trampoline_kernelINS0_14default_configENS1_25partition_config_selectorILNS1_17partition_subalgoE6EiNS0_10empty_typeEbEEZZNS1_14partition_implILS5_6ELb0ES3_mN6thrust23THRUST_200600_302600_NS6detail15normal_iteratorINSA_10device_ptrIiEEEEPS6_SG_NS0_5tupleIJSF_S6_EEENSH_IJSG_SG_EEES6_PlJNSB_9not_fun_tINSB_14equal_to_valueIiEEEEEEE10hipError_tPvRmT3_T4_T5_T6_T7_T9_mT8_P12ihipStream_tbDpT10_ENKUlT_T0_E_clISt17integral_constantIbLb0EES18_EEDaS13_S14_EUlS13_E_NS1_11comp_targetILNS1_3genE0ELNS1_11target_archE4294967295ELNS1_3gpuE0ELNS1_3repE0EEENS1_30default_config_static_selectorELNS0_4arch9wavefront6targetE0EEEvT1_,"axG",@progbits,_ZN7rocprim17ROCPRIM_400000_NS6detail17trampoline_kernelINS0_14default_configENS1_25partition_config_selectorILNS1_17partition_subalgoE6EiNS0_10empty_typeEbEEZZNS1_14partition_implILS5_6ELb0ES3_mN6thrust23THRUST_200600_302600_NS6detail15normal_iteratorINSA_10device_ptrIiEEEEPS6_SG_NS0_5tupleIJSF_S6_EEENSH_IJSG_SG_EEES6_PlJNSB_9not_fun_tINSB_14equal_to_valueIiEEEEEEE10hipError_tPvRmT3_T4_T5_T6_T7_T9_mT8_P12ihipStream_tbDpT10_ENKUlT_T0_E_clISt17integral_constantIbLb0EES18_EEDaS13_S14_EUlS13_E_NS1_11comp_targetILNS1_3genE0ELNS1_11target_archE4294967295ELNS1_3gpuE0ELNS1_3repE0EEENS1_30default_config_static_selectorELNS0_4arch9wavefront6targetE0EEEvT1_,comdat
.Lfunc_end469:
	.size	_ZN7rocprim17ROCPRIM_400000_NS6detail17trampoline_kernelINS0_14default_configENS1_25partition_config_selectorILNS1_17partition_subalgoE6EiNS0_10empty_typeEbEEZZNS1_14partition_implILS5_6ELb0ES3_mN6thrust23THRUST_200600_302600_NS6detail15normal_iteratorINSA_10device_ptrIiEEEEPS6_SG_NS0_5tupleIJSF_S6_EEENSH_IJSG_SG_EEES6_PlJNSB_9not_fun_tINSB_14equal_to_valueIiEEEEEEE10hipError_tPvRmT3_T4_T5_T6_T7_T9_mT8_P12ihipStream_tbDpT10_ENKUlT_T0_E_clISt17integral_constantIbLb0EES18_EEDaS13_S14_EUlS13_E_NS1_11comp_targetILNS1_3genE0ELNS1_11target_archE4294967295ELNS1_3gpuE0ELNS1_3repE0EEENS1_30default_config_static_selectorELNS0_4arch9wavefront6targetE0EEEvT1_, .Lfunc_end469-_ZN7rocprim17ROCPRIM_400000_NS6detail17trampoline_kernelINS0_14default_configENS1_25partition_config_selectorILNS1_17partition_subalgoE6EiNS0_10empty_typeEbEEZZNS1_14partition_implILS5_6ELb0ES3_mN6thrust23THRUST_200600_302600_NS6detail15normal_iteratorINSA_10device_ptrIiEEEEPS6_SG_NS0_5tupleIJSF_S6_EEENSH_IJSG_SG_EEES6_PlJNSB_9not_fun_tINSB_14equal_to_valueIiEEEEEEE10hipError_tPvRmT3_T4_T5_T6_T7_T9_mT8_P12ihipStream_tbDpT10_ENKUlT_T0_E_clISt17integral_constantIbLb0EES18_EEDaS13_S14_EUlS13_E_NS1_11comp_targetILNS1_3genE0ELNS1_11target_archE4294967295ELNS1_3gpuE0ELNS1_3repE0EEENS1_30default_config_static_selectorELNS0_4arch9wavefront6targetE0EEEvT1_
                                        ; -- End function
	.set _ZN7rocprim17ROCPRIM_400000_NS6detail17trampoline_kernelINS0_14default_configENS1_25partition_config_selectorILNS1_17partition_subalgoE6EiNS0_10empty_typeEbEEZZNS1_14partition_implILS5_6ELb0ES3_mN6thrust23THRUST_200600_302600_NS6detail15normal_iteratorINSA_10device_ptrIiEEEEPS6_SG_NS0_5tupleIJSF_S6_EEENSH_IJSG_SG_EEES6_PlJNSB_9not_fun_tINSB_14equal_to_valueIiEEEEEEE10hipError_tPvRmT3_T4_T5_T6_T7_T9_mT8_P12ihipStream_tbDpT10_ENKUlT_T0_E_clISt17integral_constantIbLb0EES18_EEDaS13_S14_EUlS13_E_NS1_11comp_targetILNS1_3genE0ELNS1_11target_archE4294967295ELNS1_3gpuE0ELNS1_3repE0EEENS1_30default_config_static_selectorELNS0_4arch9wavefront6targetE0EEEvT1_.num_vgpr, 0
	.set _ZN7rocprim17ROCPRIM_400000_NS6detail17trampoline_kernelINS0_14default_configENS1_25partition_config_selectorILNS1_17partition_subalgoE6EiNS0_10empty_typeEbEEZZNS1_14partition_implILS5_6ELb0ES3_mN6thrust23THRUST_200600_302600_NS6detail15normal_iteratorINSA_10device_ptrIiEEEEPS6_SG_NS0_5tupleIJSF_S6_EEENSH_IJSG_SG_EEES6_PlJNSB_9not_fun_tINSB_14equal_to_valueIiEEEEEEE10hipError_tPvRmT3_T4_T5_T6_T7_T9_mT8_P12ihipStream_tbDpT10_ENKUlT_T0_E_clISt17integral_constantIbLb0EES18_EEDaS13_S14_EUlS13_E_NS1_11comp_targetILNS1_3genE0ELNS1_11target_archE4294967295ELNS1_3gpuE0ELNS1_3repE0EEENS1_30default_config_static_selectorELNS0_4arch9wavefront6targetE0EEEvT1_.num_agpr, 0
	.set _ZN7rocprim17ROCPRIM_400000_NS6detail17trampoline_kernelINS0_14default_configENS1_25partition_config_selectorILNS1_17partition_subalgoE6EiNS0_10empty_typeEbEEZZNS1_14partition_implILS5_6ELb0ES3_mN6thrust23THRUST_200600_302600_NS6detail15normal_iteratorINSA_10device_ptrIiEEEEPS6_SG_NS0_5tupleIJSF_S6_EEENSH_IJSG_SG_EEES6_PlJNSB_9not_fun_tINSB_14equal_to_valueIiEEEEEEE10hipError_tPvRmT3_T4_T5_T6_T7_T9_mT8_P12ihipStream_tbDpT10_ENKUlT_T0_E_clISt17integral_constantIbLb0EES18_EEDaS13_S14_EUlS13_E_NS1_11comp_targetILNS1_3genE0ELNS1_11target_archE4294967295ELNS1_3gpuE0ELNS1_3repE0EEENS1_30default_config_static_selectorELNS0_4arch9wavefront6targetE0EEEvT1_.numbered_sgpr, 0
	.set _ZN7rocprim17ROCPRIM_400000_NS6detail17trampoline_kernelINS0_14default_configENS1_25partition_config_selectorILNS1_17partition_subalgoE6EiNS0_10empty_typeEbEEZZNS1_14partition_implILS5_6ELb0ES3_mN6thrust23THRUST_200600_302600_NS6detail15normal_iteratorINSA_10device_ptrIiEEEEPS6_SG_NS0_5tupleIJSF_S6_EEENSH_IJSG_SG_EEES6_PlJNSB_9not_fun_tINSB_14equal_to_valueIiEEEEEEE10hipError_tPvRmT3_T4_T5_T6_T7_T9_mT8_P12ihipStream_tbDpT10_ENKUlT_T0_E_clISt17integral_constantIbLb0EES18_EEDaS13_S14_EUlS13_E_NS1_11comp_targetILNS1_3genE0ELNS1_11target_archE4294967295ELNS1_3gpuE0ELNS1_3repE0EEENS1_30default_config_static_selectorELNS0_4arch9wavefront6targetE0EEEvT1_.num_named_barrier, 0
	.set _ZN7rocprim17ROCPRIM_400000_NS6detail17trampoline_kernelINS0_14default_configENS1_25partition_config_selectorILNS1_17partition_subalgoE6EiNS0_10empty_typeEbEEZZNS1_14partition_implILS5_6ELb0ES3_mN6thrust23THRUST_200600_302600_NS6detail15normal_iteratorINSA_10device_ptrIiEEEEPS6_SG_NS0_5tupleIJSF_S6_EEENSH_IJSG_SG_EEES6_PlJNSB_9not_fun_tINSB_14equal_to_valueIiEEEEEEE10hipError_tPvRmT3_T4_T5_T6_T7_T9_mT8_P12ihipStream_tbDpT10_ENKUlT_T0_E_clISt17integral_constantIbLb0EES18_EEDaS13_S14_EUlS13_E_NS1_11comp_targetILNS1_3genE0ELNS1_11target_archE4294967295ELNS1_3gpuE0ELNS1_3repE0EEENS1_30default_config_static_selectorELNS0_4arch9wavefront6targetE0EEEvT1_.private_seg_size, 0
	.set _ZN7rocprim17ROCPRIM_400000_NS6detail17trampoline_kernelINS0_14default_configENS1_25partition_config_selectorILNS1_17partition_subalgoE6EiNS0_10empty_typeEbEEZZNS1_14partition_implILS5_6ELb0ES3_mN6thrust23THRUST_200600_302600_NS6detail15normal_iteratorINSA_10device_ptrIiEEEEPS6_SG_NS0_5tupleIJSF_S6_EEENSH_IJSG_SG_EEES6_PlJNSB_9not_fun_tINSB_14equal_to_valueIiEEEEEEE10hipError_tPvRmT3_T4_T5_T6_T7_T9_mT8_P12ihipStream_tbDpT10_ENKUlT_T0_E_clISt17integral_constantIbLb0EES18_EEDaS13_S14_EUlS13_E_NS1_11comp_targetILNS1_3genE0ELNS1_11target_archE4294967295ELNS1_3gpuE0ELNS1_3repE0EEENS1_30default_config_static_selectorELNS0_4arch9wavefront6targetE0EEEvT1_.uses_vcc, 0
	.set _ZN7rocprim17ROCPRIM_400000_NS6detail17trampoline_kernelINS0_14default_configENS1_25partition_config_selectorILNS1_17partition_subalgoE6EiNS0_10empty_typeEbEEZZNS1_14partition_implILS5_6ELb0ES3_mN6thrust23THRUST_200600_302600_NS6detail15normal_iteratorINSA_10device_ptrIiEEEEPS6_SG_NS0_5tupleIJSF_S6_EEENSH_IJSG_SG_EEES6_PlJNSB_9not_fun_tINSB_14equal_to_valueIiEEEEEEE10hipError_tPvRmT3_T4_T5_T6_T7_T9_mT8_P12ihipStream_tbDpT10_ENKUlT_T0_E_clISt17integral_constantIbLb0EES18_EEDaS13_S14_EUlS13_E_NS1_11comp_targetILNS1_3genE0ELNS1_11target_archE4294967295ELNS1_3gpuE0ELNS1_3repE0EEENS1_30default_config_static_selectorELNS0_4arch9wavefront6targetE0EEEvT1_.uses_flat_scratch, 0
	.set _ZN7rocprim17ROCPRIM_400000_NS6detail17trampoline_kernelINS0_14default_configENS1_25partition_config_selectorILNS1_17partition_subalgoE6EiNS0_10empty_typeEbEEZZNS1_14partition_implILS5_6ELb0ES3_mN6thrust23THRUST_200600_302600_NS6detail15normal_iteratorINSA_10device_ptrIiEEEEPS6_SG_NS0_5tupleIJSF_S6_EEENSH_IJSG_SG_EEES6_PlJNSB_9not_fun_tINSB_14equal_to_valueIiEEEEEEE10hipError_tPvRmT3_T4_T5_T6_T7_T9_mT8_P12ihipStream_tbDpT10_ENKUlT_T0_E_clISt17integral_constantIbLb0EES18_EEDaS13_S14_EUlS13_E_NS1_11comp_targetILNS1_3genE0ELNS1_11target_archE4294967295ELNS1_3gpuE0ELNS1_3repE0EEENS1_30default_config_static_selectorELNS0_4arch9wavefront6targetE0EEEvT1_.has_dyn_sized_stack, 0
	.set _ZN7rocprim17ROCPRIM_400000_NS6detail17trampoline_kernelINS0_14default_configENS1_25partition_config_selectorILNS1_17partition_subalgoE6EiNS0_10empty_typeEbEEZZNS1_14partition_implILS5_6ELb0ES3_mN6thrust23THRUST_200600_302600_NS6detail15normal_iteratorINSA_10device_ptrIiEEEEPS6_SG_NS0_5tupleIJSF_S6_EEENSH_IJSG_SG_EEES6_PlJNSB_9not_fun_tINSB_14equal_to_valueIiEEEEEEE10hipError_tPvRmT3_T4_T5_T6_T7_T9_mT8_P12ihipStream_tbDpT10_ENKUlT_T0_E_clISt17integral_constantIbLb0EES18_EEDaS13_S14_EUlS13_E_NS1_11comp_targetILNS1_3genE0ELNS1_11target_archE4294967295ELNS1_3gpuE0ELNS1_3repE0EEENS1_30default_config_static_selectorELNS0_4arch9wavefront6targetE0EEEvT1_.has_recursion, 0
	.set _ZN7rocprim17ROCPRIM_400000_NS6detail17trampoline_kernelINS0_14default_configENS1_25partition_config_selectorILNS1_17partition_subalgoE6EiNS0_10empty_typeEbEEZZNS1_14partition_implILS5_6ELb0ES3_mN6thrust23THRUST_200600_302600_NS6detail15normal_iteratorINSA_10device_ptrIiEEEEPS6_SG_NS0_5tupleIJSF_S6_EEENSH_IJSG_SG_EEES6_PlJNSB_9not_fun_tINSB_14equal_to_valueIiEEEEEEE10hipError_tPvRmT3_T4_T5_T6_T7_T9_mT8_P12ihipStream_tbDpT10_ENKUlT_T0_E_clISt17integral_constantIbLb0EES18_EEDaS13_S14_EUlS13_E_NS1_11comp_targetILNS1_3genE0ELNS1_11target_archE4294967295ELNS1_3gpuE0ELNS1_3repE0EEENS1_30default_config_static_selectorELNS0_4arch9wavefront6targetE0EEEvT1_.has_indirect_call, 0
	.section	.AMDGPU.csdata,"",@progbits
; Kernel info:
; codeLenInByte = 0
; TotalNumSgprs: 0
; NumVgprs: 0
; ScratchSize: 0
; MemoryBound: 0
; FloatMode: 240
; IeeeMode: 1
; LDSByteSize: 0 bytes/workgroup (compile time only)
; SGPRBlocks: 0
; VGPRBlocks: 0
; NumSGPRsForWavesPerEU: 1
; NumVGPRsForWavesPerEU: 1
; Occupancy: 16
; WaveLimiterHint : 0
; COMPUTE_PGM_RSRC2:SCRATCH_EN: 0
; COMPUTE_PGM_RSRC2:USER_SGPR: 2
; COMPUTE_PGM_RSRC2:TRAP_HANDLER: 0
; COMPUTE_PGM_RSRC2:TGID_X_EN: 1
; COMPUTE_PGM_RSRC2:TGID_Y_EN: 0
; COMPUTE_PGM_RSRC2:TGID_Z_EN: 0
; COMPUTE_PGM_RSRC2:TIDIG_COMP_CNT: 0
	.section	.text._ZN7rocprim17ROCPRIM_400000_NS6detail17trampoline_kernelINS0_14default_configENS1_25partition_config_selectorILNS1_17partition_subalgoE6EiNS0_10empty_typeEbEEZZNS1_14partition_implILS5_6ELb0ES3_mN6thrust23THRUST_200600_302600_NS6detail15normal_iteratorINSA_10device_ptrIiEEEEPS6_SG_NS0_5tupleIJSF_S6_EEENSH_IJSG_SG_EEES6_PlJNSB_9not_fun_tINSB_14equal_to_valueIiEEEEEEE10hipError_tPvRmT3_T4_T5_T6_T7_T9_mT8_P12ihipStream_tbDpT10_ENKUlT_T0_E_clISt17integral_constantIbLb0EES18_EEDaS13_S14_EUlS13_E_NS1_11comp_targetILNS1_3genE5ELNS1_11target_archE942ELNS1_3gpuE9ELNS1_3repE0EEENS1_30default_config_static_selectorELNS0_4arch9wavefront6targetE0EEEvT1_,"axG",@progbits,_ZN7rocprim17ROCPRIM_400000_NS6detail17trampoline_kernelINS0_14default_configENS1_25partition_config_selectorILNS1_17partition_subalgoE6EiNS0_10empty_typeEbEEZZNS1_14partition_implILS5_6ELb0ES3_mN6thrust23THRUST_200600_302600_NS6detail15normal_iteratorINSA_10device_ptrIiEEEEPS6_SG_NS0_5tupleIJSF_S6_EEENSH_IJSG_SG_EEES6_PlJNSB_9not_fun_tINSB_14equal_to_valueIiEEEEEEE10hipError_tPvRmT3_T4_T5_T6_T7_T9_mT8_P12ihipStream_tbDpT10_ENKUlT_T0_E_clISt17integral_constantIbLb0EES18_EEDaS13_S14_EUlS13_E_NS1_11comp_targetILNS1_3genE5ELNS1_11target_archE942ELNS1_3gpuE9ELNS1_3repE0EEENS1_30default_config_static_selectorELNS0_4arch9wavefront6targetE0EEEvT1_,comdat
	.protected	_ZN7rocprim17ROCPRIM_400000_NS6detail17trampoline_kernelINS0_14default_configENS1_25partition_config_selectorILNS1_17partition_subalgoE6EiNS0_10empty_typeEbEEZZNS1_14partition_implILS5_6ELb0ES3_mN6thrust23THRUST_200600_302600_NS6detail15normal_iteratorINSA_10device_ptrIiEEEEPS6_SG_NS0_5tupleIJSF_S6_EEENSH_IJSG_SG_EEES6_PlJNSB_9not_fun_tINSB_14equal_to_valueIiEEEEEEE10hipError_tPvRmT3_T4_T5_T6_T7_T9_mT8_P12ihipStream_tbDpT10_ENKUlT_T0_E_clISt17integral_constantIbLb0EES18_EEDaS13_S14_EUlS13_E_NS1_11comp_targetILNS1_3genE5ELNS1_11target_archE942ELNS1_3gpuE9ELNS1_3repE0EEENS1_30default_config_static_selectorELNS0_4arch9wavefront6targetE0EEEvT1_ ; -- Begin function _ZN7rocprim17ROCPRIM_400000_NS6detail17trampoline_kernelINS0_14default_configENS1_25partition_config_selectorILNS1_17partition_subalgoE6EiNS0_10empty_typeEbEEZZNS1_14partition_implILS5_6ELb0ES3_mN6thrust23THRUST_200600_302600_NS6detail15normal_iteratorINSA_10device_ptrIiEEEEPS6_SG_NS0_5tupleIJSF_S6_EEENSH_IJSG_SG_EEES6_PlJNSB_9not_fun_tINSB_14equal_to_valueIiEEEEEEE10hipError_tPvRmT3_T4_T5_T6_T7_T9_mT8_P12ihipStream_tbDpT10_ENKUlT_T0_E_clISt17integral_constantIbLb0EES18_EEDaS13_S14_EUlS13_E_NS1_11comp_targetILNS1_3genE5ELNS1_11target_archE942ELNS1_3gpuE9ELNS1_3repE0EEENS1_30default_config_static_selectorELNS0_4arch9wavefront6targetE0EEEvT1_
	.globl	_ZN7rocprim17ROCPRIM_400000_NS6detail17trampoline_kernelINS0_14default_configENS1_25partition_config_selectorILNS1_17partition_subalgoE6EiNS0_10empty_typeEbEEZZNS1_14partition_implILS5_6ELb0ES3_mN6thrust23THRUST_200600_302600_NS6detail15normal_iteratorINSA_10device_ptrIiEEEEPS6_SG_NS0_5tupleIJSF_S6_EEENSH_IJSG_SG_EEES6_PlJNSB_9not_fun_tINSB_14equal_to_valueIiEEEEEEE10hipError_tPvRmT3_T4_T5_T6_T7_T9_mT8_P12ihipStream_tbDpT10_ENKUlT_T0_E_clISt17integral_constantIbLb0EES18_EEDaS13_S14_EUlS13_E_NS1_11comp_targetILNS1_3genE5ELNS1_11target_archE942ELNS1_3gpuE9ELNS1_3repE0EEENS1_30default_config_static_selectorELNS0_4arch9wavefront6targetE0EEEvT1_
	.p2align	8
	.type	_ZN7rocprim17ROCPRIM_400000_NS6detail17trampoline_kernelINS0_14default_configENS1_25partition_config_selectorILNS1_17partition_subalgoE6EiNS0_10empty_typeEbEEZZNS1_14partition_implILS5_6ELb0ES3_mN6thrust23THRUST_200600_302600_NS6detail15normal_iteratorINSA_10device_ptrIiEEEEPS6_SG_NS0_5tupleIJSF_S6_EEENSH_IJSG_SG_EEES6_PlJNSB_9not_fun_tINSB_14equal_to_valueIiEEEEEEE10hipError_tPvRmT3_T4_T5_T6_T7_T9_mT8_P12ihipStream_tbDpT10_ENKUlT_T0_E_clISt17integral_constantIbLb0EES18_EEDaS13_S14_EUlS13_E_NS1_11comp_targetILNS1_3genE5ELNS1_11target_archE942ELNS1_3gpuE9ELNS1_3repE0EEENS1_30default_config_static_selectorELNS0_4arch9wavefront6targetE0EEEvT1_,@function
_ZN7rocprim17ROCPRIM_400000_NS6detail17trampoline_kernelINS0_14default_configENS1_25partition_config_selectorILNS1_17partition_subalgoE6EiNS0_10empty_typeEbEEZZNS1_14partition_implILS5_6ELb0ES3_mN6thrust23THRUST_200600_302600_NS6detail15normal_iteratorINSA_10device_ptrIiEEEEPS6_SG_NS0_5tupleIJSF_S6_EEENSH_IJSG_SG_EEES6_PlJNSB_9not_fun_tINSB_14equal_to_valueIiEEEEEEE10hipError_tPvRmT3_T4_T5_T6_T7_T9_mT8_P12ihipStream_tbDpT10_ENKUlT_T0_E_clISt17integral_constantIbLb0EES18_EEDaS13_S14_EUlS13_E_NS1_11comp_targetILNS1_3genE5ELNS1_11target_archE942ELNS1_3gpuE9ELNS1_3repE0EEENS1_30default_config_static_selectorELNS0_4arch9wavefront6targetE0EEEvT1_: ; @_ZN7rocprim17ROCPRIM_400000_NS6detail17trampoline_kernelINS0_14default_configENS1_25partition_config_selectorILNS1_17partition_subalgoE6EiNS0_10empty_typeEbEEZZNS1_14partition_implILS5_6ELb0ES3_mN6thrust23THRUST_200600_302600_NS6detail15normal_iteratorINSA_10device_ptrIiEEEEPS6_SG_NS0_5tupleIJSF_S6_EEENSH_IJSG_SG_EEES6_PlJNSB_9not_fun_tINSB_14equal_to_valueIiEEEEEEE10hipError_tPvRmT3_T4_T5_T6_T7_T9_mT8_P12ihipStream_tbDpT10_ENKUlT_T0_E_clISt17integral_constantIbLb0EES18_EEDaS13_S14_EUlS13_E_NS1_11comp_targetILNS1_3genE5ELNS1_11target_archE942ELNS1_3gpuE9ELNS1_3repE0EEENS1_30default_config_static_selectorELNS0_4arch9wavefront6targetE0EEEvT1_
; %bb.0:
	.section	.rodata,"a",@progbits
	.p2align	6, 0x0
	.amdhsa_kernel _ZN7rocprim17ROCPRIM_400000_NS6detail17trampoline_kernelINS0_14default_configENS1_25partition_config_selectorILNS1_17partition_subalgoE6EiNS0_10empty_typeEbEEZZNS1_14partition_implILS5_6ELb0ES3_mN6thrust23THRUST_200600_302600_NS6detail15normal_iteratorINSA_10device_ptrIiEEEEPS6_SG_NS0_5tupleIJSF_S6_EEENSH_IJSG_SG_EEES6_PlJNSB_9not_fun_tINSB_14equal_to_valueIiEEEEEEE10hipError_tPvRmT3_T4_T5_T6_T7_T9_mT8_P12ihipStream_tbDpT10_ENKUlT_T0_E_clISt17integral_constantIbLb0EES18_EEDaS13_S14_EUlS13_E_NS1_11comp_targetILNS1_3genE5ELNS1_11target_archE942ELNS1_3gpuE9ELNS1_3repE0EEENS1_30default_config_static_selectorELNS0_4arch9wavefront6targetE0EEEvT1_
		.amdhsa_group_segment_fixed_size 0
		.amdhsa_private_segment_fixed_size 0
		.amdhsa_kernarg_size 120
		.amdhsa_user_sgpr_count 2
		.amdhsa_user_sgpr_dispatch_ptr 0
		.amdhsa_user_sgpr_queue_ptr 0
		.amdhsa_user_sgpr_kernarg_segment_ptr 1
		.amdhsa_user_sgpr_dispatch_id 0
		.amdhsa_user_sgpr_private_segment_size 0
		.amdhsa_wavefront_size32 1
		.amdhsa_uses_dynamic_stack 0
		.amdhsa_enable_private_segment 0
		.amdhsa_system_sgpr_workgroup_id_x 1
		.amdhsa_system_sgpr_workgroup_id_y 0
		.amdhsa_system_sgpr_workgroup_id_z 0
		.amdhsa_system_sgpr_workgroup_info 0
		.amdhsa_system_vgpr_workitem_id 0
		.amdhsa_next_free_vgpr 1
		.amdhsa_next_free_sgpr 1
		.amdhsa_reserve_vcc 0
		.amdhsa_float_round_mode_32 0
		.amdhsa_float_round_mode_16_64 0
		.amdhsa_float_denorm_mode_32 3
		.amdhsa_float_denorm_mode_16_64 3
		.amdhsa_fp16_overflow 0
		.amdhsa_workgroup_processor_mode 1
		.amdhsa_memory_ordered 1
		.amdhsa_forward_progress 1
		.amdhsa_inst_pref_size 0
		.amdhsa_round_robin_scheduling 0
		.amdhsa_exception_fp_ieee_invalid_op 0
		.amdhsa_exception_fp_denorm_src 0
		.amdhsa_exception_fp_ieee_div_zero 0
		.amdhsa_exception_fp_ieee_overflow 0
		.amdhsa_exception_fp_ieee_underflow 0
		.amdhsa_exception_fp_ieee_inexact 0
		.amdhsa_exception_int_div_zero 0
	.end_amdhsa_kernel
	.section	.text._ZN7rocprim17ROCPRIM_400000_NS6detail17trampoline_kernelINS0_14default_configENS1_25partition_config_selectorILNS1_17partition_subalgoE6EiNS0_10empty_typeEbEEZZNS1_14partition_implILS5_6ELb0ES3_mN6thrust23THRUST_200600_302600_NS6detail15normal_iteratorINSA_10device_ptrIiEEEEPS6_SG_NS0_5tupleIJSF_S6_EEENSH_IJSG_SG_EEES6_PlJNSB_9not_fun_tINSB_14equal_to_valueIiEEEEEEE10hipError_tPvRmT3_T4_T5_T6_T7_T9_mT8_P12ihipStream_tbDpT10_ENKUlT_T0_E_clISt17integral_constantIbLb0EES18_EEDaS13_S14_EUlS13_E_NS1_11comp_targetILNS1_3genE5ELNS1_11target_archE942ELNS1_3gpuE9ELNS1_3repE0EEENS1_30default_config_static_selectorELNS0_4arch9wavefront6targetE0EEEvT1_,"axG",@progbits,_ZN7rocprim17ROCPRIM_400000_NS6detail17trampoline_kernelINS0_14default_configENS1_25partition_config_selectorILNS1_17partition_subalgoE6EiNS0_10empty_typeEbEEZZNS1_14partition_implILS5_6ELb0ES3_mN6thrust23THRUST_200600_302600_NS6detail15normal_iteratorINSA_10device_ptrIiEEEEPS6_SG_NS0_5tupleIJSF_S6_EEENSH_IJSG_SG_EEES6_PlJNSB_9not_fun_tINSB_14equal_to_valueIiEEEEEEE10hipError_tPvRmT3_T4_T5_T6_T7_T9_mT8_P12ihipStream_tbDpT10_ENKUlT_T0_E_clISt17integral_constantIbLb0EES18_EEDaS13_S14_EUlS13_E_NS1_11comp_targetILNS1_3genE5ELNS1_11target_archE942ELNS1_3gpuE9ELNS1_3repE0EEENS1_30default_config_static_selectorELNS0_4arch9wavefront6targetE0EEEvT1_,comdat
.Lfunc_end470:
	.size	_ZN7rocprim17ROCPRIM_400000_NS6detail17trampoline_kernelINS0_14default_configENS1_25partition_config_selectorILNS1_17partition_subalgoE6EiNS0_10empty_typeEbEEZZNS1_14partition_implILS5_6ELb0ES3_mN6thrust23THRUST_200600_302600_NS6detail15normal_iteratorINSA_10device_ptrIiEEEEPS6_SG_NS0_5tupleIJSF_S6_EEENSH_IJSG_SG_EEES6_PlJNSB_9not_fun_tINSB_14equal_to_valueIiEEEEEEE10hipError_tPvRmT3_T4_T5_T6_T7_T9_mT8_P12ihipStream_tbDpT10_ENKUlT_T0_E_clISt17integral_constantIbLb0EES18_EEDaS13_S14_EUlS13_E_NS1_11comp_targetILNS1_3genE5ELNS1_11target_archE942ELNS1_3gpuE9ELNS1_3repE0EEENS1_30default_config_static_selectorELNS0_4arch9wavefront6targetE0EEEvT1_, .Lfunc_end470-_ZN7rocprim17ROCPRIM_400000_NS6detail17trampoline_kernelINS0_14default_configENS1_25partition_config_selectorILNS1_17partition_subalgoE6EiNS0_10empty_typeEbEEZZNS1_14partition_implILS5_6ELb0ES3_mN6thrust23THRUST_200600_302600_NS6detail15normal_iteratorINSA_10device_ptrIiEEEEPS6_SG_NS0_5tupleIJSF_S6_EEENSH_IJSG_SG_EEES6_PlJNSB_9not_fun_tINSB_14equal_to_valueIiEEEEEEE10hipError_tPvRmT3_T4_T5_T6_T7_T9_mT8_P12ihipStream_tbDpT10_ENKUlT_T0_E_clISt17integral_constantIbLb0EES18_EEDaS13_S14_EUlS13_E_NS1_11comp_targetILNS1_3genE5ELNS1_11target_archE942ELNS1_3gpuE9ELNS1_3repE0EEENS1_30default_config_static_selectorELNS0_4arch9wavefront6targetE0EEEvT1_
                                        ; -- End function
	.set _ZN7rocprim17ROCPRIM_400000_NS6detail17trampoline_kernelINS0_14default_configENS1_25partition_config_selectorILNS1_17partition_subalgoE6EiNS0_10empty_typeEbEEZZNS1_14partition_implILS5_6ELb0ES3_mN6thrust23THRUST_200600_302600_NS6detail15normal_iteratorINSA_10device_ptrIiEEEEPS6_SG_NS0_5tupleIJSF_S6_EEENSH_IJSG_SG_EEES6_PlJNSB_9not_fun_tINSB_14equal_to_valueIiEEEEEEE10hipError_tPvRmT3_T4_T5_T6_T7_T9_mT8_P12ihipStream_tbDpT10_ENKUlT_T0_E_clISt17integral_constantIbLb0EES18_EEDaS13_S14_EUlS13_E_NS1_11comp_targetILNS1_3genE5ELNS1_11target_archE942ELNS1_3gpuE9ELNS1_3repE0EEENS1_30default_config_static_selectorELNS0_4arch9wavefront6targetE0EEEvT1_.num_vgpr, 0
	.set _ZN7rocprim17ROCPRIM_400000_NS6detail17trampoline_kernelINS0_14default_configENS1_25partition_config_selectorILNS1_17partition_subalgoE6EiNS0_10empty_typeEbEEZZNS1_14partition_implILS5_6ELb0ES3_mN6thrust23THRUST_200600_302600_NS6detail15normal_iteratorINSA_10device_ptrIiEEEEPS6_SG_NS0_5tupleIJSF_S6_EEENSH_IJSG_SG_EEES6_PlJNSB_9not_fun_tINSB_14equal_to_valueIiEEEEEEE10hipError_tPvRmT3_T4_T5_T6_T7_T9_mT8_P12ihipStream_tbDpT10_ENKUlT_T0_E_clISt17integral_constantIbLb0EES18_EEDaS13_S14_EUlS13_E_NS1_11comp_targetILNS1_3genE5ELNS1_11target_archE942ELNS1_3gpuE9ELNS1_3repE0EEENS1_30default_config_static_selectorELNS0_4arch9wavefront6targetE0EEEvT1_.num_agpr, 0
	.set _ZN7rocprim17ROCPRIM_400000_NS6detail17trampoline_kernelINS0_14default_configENS1_25partition_config_selectorILNS1_17partition_subalgoE6EiNS0_10empty_typeEbEEZZNS1_14partition_implILS5_6ELb0ES3_mN6thrust23THRUST_200600_302600_NS6detail15normal_iteratorINSA_10device_ptrIiEEEEPS6_SG_NS0_5tupleIJSF_S6_EEENSH_IJSG_SG_EEES6_PlJNSB_9not_fun_tINSB_14equal_to_valueIiEEEEEEE10hipError_tPvRmT3_T4_T5_T6_T7_T9_mT8_P12ihipStream_tbDpT10_ENKUlT_T0_E_clISt17integral_constantIbLb0EES18_EEDaS13_S14_EUlS13_E_NS1_11comp_targetILNS1_3genE5ELNS1_11target_archE942ELNS1_3gpuE9ELNS1_3repE0EEENS1_30default_config_static_selectorELNS0_4arch9wavefront6targetE0EEEvT1_.numbered_sgpr, 0
	.set _ZN7rocprim17ROCPRIM_400000_NS6detail17trampoline_kernelINS0_14default_configENS1_25partition_config_selectorILNS1_17partition_subalgoE6EiNS0_10empty_typeEbEEZZNS1_14partition_implILS5_6ELb0ES3_mN6thrust23THRUST_200600_302600_NS6detail15normal_iteratorINSA_10device_ptrIiEEEEPS6_SG_NS0_5tupleIJSF_S6_EEENSH_IJSG_SG_EEES6_PlJNSB_9not_fun_tINSB_14equal_to_valueIiEEEEEEE10hipError_tPvRmT3_T4_T5_T6_T7_T9_mT8_P12ihipStream_tbDpT10_ENKUlT_T0_E_clISt17integral_constantIbLb0EES18_EEDaS13_S14_EUlS13_E_NS1_11comp_targetILNS1_3genE5ELNS1_11target_archE942ELNS1_3gpuE9ELNS1_3repE0EEENS1_30default_config_static_selectorELNS0_4arch9wavefront6targetE0EEEvT1_.num_named_barrier, 0
	.set _ZN7rocprim17ROCPRIM_400000_NS6detail17trampoline_kernelINS0_14default_configENS1_25partition_config_selectorILNS1_17partition_subalgoE6EiNS0_10empty_typeEbEEZZNS1_14partition_implILS5_6ELb0ES3_mN6thrust23THRUST_200600_302600_NS6detail15normal_iteratorINSA_10device_ptrIiEEEEPS6_SG_NS0_5tupleIJSF_S6_EEENSH_IJSG_SG_EEES6_PlJNSB_9not_fun_tINSB_14equal_to_valueIiEEEEEEE10hipError_tPvRmT3_T4_T5_T6_T7_T9_mT8_P12ihipStream_tbDpT10_ENKUlT_T0_E_clISt17integral_constantIbLb0EES18_EEDaS13_S14_EUlS13_E_NS1_11comp_targetILNS1_3genE5ELNS1_11target_archE942ELNS1_3gpuE9ELNS1_3repE0EEENS1_30default_config_static_selectorELNS0_4arch9wavefront6targetE0EEEvT1_.private_seg_size, 0
	.set _ZN7rocprim17ROCPRIM_400000_NS6detail17trampoline_kernelINS0_14default_configENS1_25partition_config_selectorILNS1_17partition_subalgoE6EiNS0_10empty_typeEbEEZZNS1_14partition_implILS5_6ELb0ES3_mN6thrust23THRUST_200600_302600_NS6detail15normal_iteratorINSA_10device_ptrIiEEEEPS6_SG_NS0_5tupleIJSF_S6_EEENSH_IJSG_SG_EEES6_PlJNSB_9not_fun_tINSB_14equal_to_valueIiEEEEEEE10hipError_tPvRmT3_T4_T5_T6_T7_T9_mT8_P12ihipStream_tbDpT10_ENKUlT_T0_E_clISt17integral_constantIbLb0EES18_EEDaS13_S14_EUlS13_E_NS1_11comp_targetILNS1_3genE5ELNS1_11target_archE942ELNS1_3gpuE9ELNS1_3repE0EEENS1_30default_config_static_selectorELNS0_4arch9wavefront6targetE0EEEvT1_.uses_vcc, 0
	.set _ZN7rocprim17ROCPRIM_400000_NS6detail17trampoline_kernelINS0_14default_configENS1_25partition_config_selectorILNS1_17partition_subalgoE6EiNS0_10empty_typeEbEEZZNS1_14partition_implILS5_6ELb0ES3_mN6thrust23THRUST_200600_302600_NS6detail15normal_iteratorINSA_10device_ptrIiEEEEPS6_SG_NS0_5tupleIJSF_S6_EEENSH_IJSG_SG_EEES6_PlJNSB_9not_fun_tINSB_14equal_to_valueIiEEEEEEE10hipError_tPvRmT3_T4_T5_T6_T7_T9_mT8_P12ihipStream_tbDpT10_ENKUlT_T0_E_clISt17integral_constantIbLb0EES18_EEDaS13_S14_EUlS13_E_NS1_11comp_targetILNS1_3genE5ELNS1_11target_archE942ELNS1_3gpuE9ELNS1_3repE0EEENS1_30default_config_static_selectorELNS0_4arch9wavefront6targetE0EEEvT1_.uses_flat_scratch, 0
	.set _ZN7rocprim17ROCPRIM_400000_NS6detail17trampoline_kernelINS0_14default_configENS1_25partition_config_selectorILNS1_17partition_subalgoE6EiNS0_10empty_typeEbEEZZNS1_14partition_implILS5_6ELb0ES3_mN6thrust23THRUST_200600_302600_NS6detail15normal_iteratorINSA_10device_ptrIiEEEEPS6_SG_NS0_5tupleIJSF_S6_EEENSH_IJSG_SG_EEES6_PlJNSB_9not_fun_tINSB_14equal_to_valueIiEEEEEEE10hipError_tPvRmT3_T4_T5_T6_T7_T9_mT8_P12ihipStream_tbDpT10_ENKUlT_T0_E_clISt17integral_constantIbLb0EES18_EEDaS13_S14_EUlS13_E_NS1_11comp_targetILNS1_3genE5ELNS1_11target_archE942ELNS1_3gpuE9ELNS1_3repE0EEENS1_30default_config_static_selectorELNS0_4arch9wavefront6targetE0EEEvT1_.has_dyn_sized_stack, 0
	.set _ZN7rocprim17ROCPRIM_400000_NS6detail17trampoline_kernelINS0_14default_configENS1_25partition_config_selectorILNS1_17partition_subalgoE6EiNS0_10empty_typeEbEEZZNS1_14partition_implILS5_6ELb0ES3_mN6thrust23THRUST_200600_302600_NS6detail15normal_iteratorINSA_10device_ptrIiEEEEPS6_SG_NS0_5tupleIJSF_S6_EEENSH_IJSG_SG_EEES6_PlJNSB_9not_fun_tINSB_14equal_to_valueIiEEEEEEE10hipError_tPvRmT3_T4_T5_T6_T7_T9_mT8_P12ihipStream_tbDpT10_ENKUlT_T0_E_clISt17integral_constantIbLb0EES18_EEDaS13_S14_EUlS13_E_NS1_11comp_targetILNS1_3genE5ELNS1_11target_archE942ELNS1_3gpuE9ELNS1_3repE0EEENS1_30default_config_static_selectorELNS0_4arch9wavefront6targetE0EEEvT1_.has_recursion, 0
	.set _ZN7rocprim17ROCPRIM_400000_NS6detail17trampoline_kernelINS0_14default_configENS1_25partition_config_selectorILNS1_17partition_subalgoE6EiNS0_10empty_typeEbEEZZNS1_14partition_implILS5_6ELb0ES3_mN6thrust23THRUST_200600_302600_NS6detail15normal_iteratorINSA_10device_ptrIiEEEEPS6_SG_NS0_5tupleIJSF_S6_EEENSH_IJSG_SG_EEES6_PlJNSB_9not_fun_tINSB_14equal_to_valueIiEEEEEEE10hipError_tPvRmT3_T4_T5_T6_T7_T9_mT8_P12ihipStream_tbDpT10_ENKUlT_T0_E_clISt17integral_constantIbLb0EES18_EEDaS13_S14_EUlS13_E_NS1_11comp_targetILNS1_3genE5ELNS1_11target_archE942ELNS1_3gpuE9ELNS1_3repE0EEENS1_30default_config_static_selectorELNS0_4arch9wavefront6targetE0EEEvT1_.has_indirect_call, 0
	.section	.AMDGPU.csdata,"",@progbits
; Kernel info:
; codeLenInByte = 0
; TotalNumSgprs: 0
; NumVgprs: 0
; ScratchSize: 0
; MemoryBound: 0
; FloatMode: 240
; IeeeMode: 1
; LDSByteSize: 0 bytes/workgroup (compile time only)
; SGPRBlocks: 0
; VGPRBlocks: 0
; NumSGPRsForWavesPerEU: 1
; NumVGPRsForWavesPerEU: 1
; Occupancy: 16
; WaveLimiterHint : 0
; COMPUTE_PGM_RSRC2:SCRATCH_EN: 0
; COMPUTE_PGM_RSRC2:USER_SGPR: 2
; COMPUTE_PGM_RSRC2:TRAP_HANDLER: 0
; COMPUTE_PGM_RSRC2:TGID_X_EN: 1
; COMPUTE_PGM_RSRC2:TGID_Y_EN: 0
; COMPUTE_PGM_RSRC2:TGID_Z_EN: 0
; COMPUTE_PGM_RSRC2:TIDIG_COMP_CNT: 0
	.section	.text._ZN7rocprim17ROCPRIM_400000_NS6detail17trampoline_kernelINS0_14default_configENS1_25partition_config_selectorILNS1_17partition_subalgoE6EiNS0_10empty_typeEbEEZZNS1_14partition_implILS5_6ELb0ES3_mN6thrust23THRUST_200600_302600_NS6detail15normal_iteratorINSA_10device_ptrIiEEEEPS6_SG_NS0_5tupleIJSF_S6_EEENSH_IJSG_SG_EEES6_PlJNSB_9not_fun_tINSB_14equal_to_valueIiEEEEEEE10hipError_tPvRmT3_T4_T5_T6_T7_T9_mT8_P12ihipStream_tbDpT10_ENKUlT_T0_E_clISt17integral_constantIbLb0EES18_EEDaS13_S14_EUlS13_E_NS1_11comp_targetILNS1_3genE4ELNS1_11target_archE910ELNS1_3gpuE8ELNS1_3repE0EEENS1_30default_config_static_selectorELNS0_4arch9wavefront6targetE0EEEvT1_,"axG",@progbits,_ZN7rocprim17ROCPRIM_400000_NS6detail17trampoline_kernelINS0_14default_configENS1_25partition_config_selectorILNS1_17partition_subalgoE6EiNS0_10empty_typeEbEEZZNS1_14partition_implILS5_6ELb0ES3_mN6thrust23THRUST_200600_302600_NS6detail15normal_iteratorINSA_10device_ptrIiEEEEPS6_SG_NS0_5tupleIJSF_S6_EEENSH_IJSG_SG_EEES6_PlJNSB_9not_fun_tINSB_14equal_to_valueIiEEEEEEE10hipError_tPvRmT3_T4_T5_T6_T7_T9_mT8_P12ihipStream_tbDpT10_ENKUlT_T0_E_clISt17integral_constantIbLb0EES18_EEDaS13_S14_EUlS13_E_NS1_11comp_targetILNS1_3genE4ELNS1_11target_archE910ELNS1_3gpuE8ELNS1_3repE0EEENS1_30default_config_static_selectorELNS0_4arch9wavefront6targetE0EEEvT1_,comdat
	.protected	_ZN7rocprim17ROCPRIM_400000_NS6detail17trampoline_kernelINS0_14default_configENS1_25partition_config_selectorILNS1_17partition_subalgoE6EiNS0_10empty_typeEbEEZZNS1_14partition_implILS5_6ELb0ES3_mN6thrust23THRUST_200600_302600_NS6detail15normal_iteratorINSA_10device_ptrIiEEEEPS6_SG_NS0_5tupleIJSF_S6_EEENSH_IJSG_SG_EEES6_PlJNSB_9not_fun_tINSB_14equal_to_valueIiEEEEEEE10hipError_tPvRmT3_T4_T5_T6_T7_T9_mT8_P12ihipStream_tbDpT10_ENKUlT_T0_E_clISt17integral_constantIbLb0EES18_EEDaS13_S14_EUlS13_E_NS1_11comp_targetILNS1_3genE4ELNS1_11target_archE910ELNS1_3gpuE8ELNS1_3repE0EEENS1_30default_config_static_selectorELNS0_4arch9wavefront6targetE0EEEvT1_ ; -- Begin function _ZN7rocprim17ROCPRIM_400000_NS6detail17trampoline_kernelINS0_14default_configENS1_25partition_config_selectorILNS1_17partition_subalgoE6EiNS0_10empty_typeEbEEZZNS1_14partition_implILS5_6ELb0ES3_mN6thrust23THRUST_200600_302600_NS6detail15normal_iteratorINSA_10device_ptrIiEEEEPS6_SG_NS0_5tupleIJSF_S6_EEENSH_IJSG_SG_EEES6_PlJNSB_9not_fun_tINSB_14equal_to_valueIiEEEEEEE10hipError_tPvRmT3_T4_T5_T6_T7_T9_mT8_P12ihipStream_tbDpT10_ENKUlT_T0_E_clISt17integral_constantIbLb0EES18_EEDaS13_S14_EUlS13_E_NS1_11comp_targetILNS1_3genE4ELNS1_11target_archE910ELNS1_3gpuE8ELNS1_3repE0EEENS1_30default_config_static_selectorELNS0_4arch9wavefront6targetE0EEEvT1_
	.globl	_ZN7rocprim17ROCPRIM_400000_NS6detail17trampoline_kernelINS0_14default_configENS1_25partition_config_selectorILNS1_17partition_subalgoE6EiNS0_10empty_typeEbEEZZNS1_14partition_implILS5_6ELb0ES3_mN6thrust23THRUST_200600_302600_NS6detail15normal_iteratorINSA_10device_ptrIiEEEEPS6_SG_NS0_5tupleIJSF_S6_EEENSH_IJSG_SG_EEES6_PlJNSB_9not_fun_tINSB_14equal_to_valueIiEEEEEEE10hipError_tPvRmT3_T4_T5_T6_T7_T9_mT8_P12ihipStream_tbDpT10_ENKUlT_T0_E_clISt17integral_constantIbLb0EES18_EEDaS13_S14_EUlS13_E_NS1_11comp_targetILNS1_3genE4ELNS1_11target_archE910ELNS1_3gpuE8ELNS1_3repE0EEENS1_30default_config_static_selectorELNS0_4arch9wavefront6targetE0EEEvT1_
	.p2align	8
	.type	_ZN7rocprim17ROCPRIM_400000_NS6detail17trampoline_kernelINS0_14default_configENS1_25partition_config_selectorILNS1_17partition_subalgoE6EiNS0_10empty_typeEbEEZZNS1_14partition_implILS5_6ELb0ES3_mN6thrust23THRUST_200600_302600_NS6detail15normal_iteratorINSA_10device_ptrIiEEEEPS6_SG_NS0_5tupleIJSF_S6_EEENSH_IJSG_SG_EEES6_PlJNSB_9not_fun_tINSB_14equal_to_valueIiEEEEEEE10hipError_tPvRmT3_T4_T5_T6_T7_T9_mT8_P12ihipStream_tbDpT10_ENKUlT_T0_E_clISt17integral_constantIbLb0EES18_EEDaS13_S14_EUlS13_E_NS1_11comp_targetILNS1_3genE4ELNS1_11target_archE910ELNS1_3gpuE8ELNS1_3repE0EEENS1_30default_config_static_selectorELNS0_4arch9wavefront6targetE0EEEvT1_,@function
_ZN7rocprim17ROCPRIM_400000_NS6detail17trampoline_kernelINS0_14default_configENS1_25partition_config_selectorILNS1_17partition_subalgoE6EiNS0_10empty_typeEbEEZZNS1_14partition_implILS5_6ELb0ES3_mN6thrust23THRUST_200600_302600_NS6detail15normal_iteratorINSA_10device_ptrIiEEEEPS6_SG_NS0_5tupleIJSF_S6_EEENSH_IJSG_SG_EEES6_PlJNSB_9not_fun_tINSB_14equal_to_valueIiEEEEEEE10hipError_tPvRmT3_T4_T5_T6_T7_T9_mT8_P12ihipStream_tbDpT10_ENKUlT_T0_E_clISt17integral_constantIbLb0EES18_EEDaS13_S14_EUlS13_E_NS1_11comp_targetILNS1_3genE4ELNS1_11target_archE910ELNS1_3gpuE8ELNS1_3repE0EEENS1_30default_config_static_selectorELNS0_4arch9wavefront6targetE0EEEvT1_: ; @_ZN7rocprim17ROCPRIM_400000_NS6detail17trampoline_kernelINS0_14default_configENS1_25partition_config_selectorILNS1_17partition_subalgoE6EiNS0_10empty_typeEbEEZZNS1_14partition_implILS5_6ELb0ES3_mN6thrust23THRUST_200600_302600_NS6detail15normal_iteratorINSA_10device_ptrIiEEEEPS6_SG_NS0_5tupleIJSF_S6_EEENSH_IJSG_SG_EEES6_PlJNSB_9not_fun_tINSB_14equal_to_valueIiEEEEEEE10hipError_tPvRmT3_T4_T5_T6_T7_T9_mT8_P12ihipStream_tbDpT10_ENKUlT_T0_E_clISt17integral_constantIbLb0EES18_EEDaS13_S14_EUlS13_E_NS1_11comp_targetILNS1_3genE4ELNS1_11target_archE910ELNS1_3gpuE8ELNS1_3repE0EEENS1_30default_config_static_selectorELNS0_4arch9wavefront6targetE0EEEvT1_
; %bb.0:
	.section	.rodata,"a",@progbits
	.p2align	6, 0x0
	.amdhsa_kernel _ZN7rocprim17ROCPRIM_400000_NS6detail17trampoline_kernelINS0_14default_configENS1_25partition_config_selectorILNS1_17partition_subalgoE6EiNS0_10empty_typeEbEEZZNS1_14partition_implILS5_6ELb0ES3_mN6thrust23THRUST_200600_302600_NS6detail15normal_iteratorINSA_10device_ptrIiEEEEPS6_SG_NS0_5tupleIJSF_S6_EEENSH_IJSG_SG_EEES6_PlJNSB_9not_fun_tINSB_14equal_to_valueIiEEEEEEE10hipError_tPvRmT3_T4_T5_T6_T7_T9_mT8_P12ihipStream_tbDpT10_ENKUlT_T0_E_clISt17integral_constantIbLb0EES18_EEDaS13_S14_EUlS13_E_NS1_11comp_targetILNS1_3genE4ELNS1_11target_archE910ELNS1_3gpuE8ELNS1_3repE0EEENS1_30default_config_static_selectorELNS0_4arch9wavefront6targetE0EEEvT1_
		.amdhsa_group_segment_fixed_size 0
		.amdhsa_private_segment_fixed_size 0
		.amdhsa_kernarg_size 120
		.amdhsa_user_sgpr_count 2
		.amdhsa_user_sgpr_dispatch_ptr 0
		.amdhsa_user_sgpr_queue_ptr 0
		.amdhsa_user_sgpr_kernarg_segment_ptr 1
		.amdhsa_user_sgpr_dispatch_id 0
		.amdhsa_user_sgpr_private_segment_size 0
		.amdhsa_wavefront_size32 1
		.amdhsa_uses_dynamic_stack 0
		.amdhsa_enable_private_segment 0
		.amdhsa_system_sgpr_workgroup_id_x 1
		.amdhsa_system_sgpr_workgroup_id_y 0
		.amdhsa_system_sgpr_workgroup_id_z 0
		.amdhsa_system_sgpr_workgroup_info 0
		.amdhsa_system_vgpr_workitem_id 0
		.amdhsa_next_free_vgpr 1
		.amdhsa_next_free_sgpr 1
		.amdhsa_reserve_vcc 0
		.amdhsa_float_round_mode_32 0
		.amdhsa_float_round_mode_16_64 0
		.amdhsa_float_denorm_mode_32 3
		.amdhsa_float_denorm_mode_16_64 3
		.amdhsa_fp16_overflow 0
		.amdhsa_workgroup_processor_mode 1
		.amdhsa_memory_ordered 1
		.amdhsa_forward_progress 1
		.amdhsa_inst_pref_size 0
		.amdhsa_round_robin_scheduling 0
		.amdhsa_exception_fp_ieee_invalid_op 0
		.amdhsa_exception_fp_denorm_src 0
		.amdhsa_exception_fp_ieee_div_zero 0
		.amdhsa_exception_fp_ieee_overflow 0
		.amdhsa_exception_fp_ieee_underflow 0
		.amdhsa_exception_fp_ieee_inexact 0
		.amdhsa_exception_int_div_zero 0
	.end_amdhsa_kernel
	.section	.text._ZN7rocprim17ROCPRIM_400000_NS6detail17trampoline_kernelINS0_14default_configENS1_25partition_config_selectorILNS1_17partition_subalgoE6EiNS0_10empty_typeEbEEZZNS1_14partition_implILS5_6ELb0ES3_mN6thrust23THRUST_200600_302600_NS6detail15normal_iteratorINSA_10device_ptrIiEEEEPS6_SG_NS0_5tupleIJSF_S6_EEENSH_IJSG_SG_EEES6_PlJNSB_9not_fun_tINSB_14equal_to_valueIiEEEEEEE10hipError_tPvRmT3_T4_T5_T6_T7_T9_mT8_P12ihipStream_tbDpT10_ENKUlT_T0_E_clISt17integral_constantIbLb0EES18_EEDaS13_S14_EUlS13_E_NS1_11comp_targetILNS1_3genE4ELNS1_11target_archE910ELNS1_3gpuE8ELNS1_3repE0EEENS1_30default_config_static_selectorELNS0_4arch9wavefront6targetE0EEEvT1_,"axG",@progbits,_ZN7rocprim17ROCPRIM_400000_NS6detail17trampoline_kernelINS0_14default_configENS1_25partition_config_selectorILNS1_17partition_subalgoE6EiNS0_10empty_typeEbEEZZNS1_14partition_implILS5_6ELb0ES3_mN6thrust23THRUST_200600_302600_NS6detail15normal_iteratorINSA_10device_ptrIiEEEEPS6_SG_NS0_5tupleIJSF_S6_EEENSH_IJSG_SG_EEES6_PlJNSB_9not_fun_tINSB_14equal_to_valueIiEEEEEEE10hipError_tPvRmT3_T4_T5_T6_T7_T9_mT8_P12ihipStream_tbDpT10_ENKUlT_T0_E_clISt17integral_constantIbLb0EES18_EEDaS13_S14_EUlS13_E_NS1_11comp_targetILNS1_3genE4ELNS1_11target_archE910ELNS1_3gpuE8ELNS1_3repE0EEENS1_30default_config_static_selectorELNS0_4arch9wavefront6targetE0EEEvT1_,comdat
.Lfunc_end471:
	.size	_ZN7rocprim17ROCPRIM_400000_NS6detail17trampoline_kernelINS0_14default_configENS1_25partition_config_selectorILNS1_17partition_subalgoE6EiNS0_10empty_typeEbEEZZNS1_14partition_implILS5_6ELb0ES3_mN6thrust23THRUST_200600_302600_NS6detail15normal_iteratorINSA_10device_ptrIiEEEEPS6_SG_NS0_5tupleIJSF_S6_EEENSH_IJSG_SG_EEES6_PlJNSB_9not_fun_tINSB_14equal_to_valueIiEEEEEEE10hipError_tPvRmT3_T4_T5_T6_T7_T9_mT8_P12ihipStream_tbDpT10_ENKUlT_T0_E_clISt17integral_constantIbLb0EES18_EEDaS13_S14_EUlS13_E_NS1_11comp_targetILNS1_3genE4ELNS1_11target_archE910ELNS1_3gpuE8ELNS1_3repE0EEENS1_30default_config_static_selectorELNS0_4arch9wavefront6targetE0EEEvT1_, .Lfunc_end471-_ZN7rocprim17ROCPRIM_400000_NS6detail17trampoline_kernelINS0_14default_configENS1_25partition_config_selectorILNS1_17partition_subalgoE6EiNS0_10empty_typeEbEEZZNS1_14partition_implILS5_6ELb0ES3_mN6thrust23THRUST_200600_302600_NS6detail15normal_iteratorINSA_10device_ptrIiEEEEPS6_SG_NS0_5tupleIJSF_S6_EEENSH_IJSG_SG_EEES6_PlJNSB_9not_fun_tINSB_14equal_to_valueIiEEEEEEE10hipError_tPvRmT3_T4_T5_T6_T7_T9_mT8_P12ihipStream_tbDpT10_ENKUlT_T0_E_clISt17integral_constantIbLb0EES18_EEDaS13_S14_EUlS13_E_NS1_11comp_targetILNS1_3genE4ELNS1_11target_archE910ELNS1_3gpuE8ELNS1_3repE0EEENS1_30default_config_static_selectorELNS0_4arch9wavefront6targetE0EEEvT1_
                                        ; -- End function
	.set _ZN7rocprim17ROCPRIM_400000_NS6detail17trampoline_kernelINS0_14default_configENS1_25partition_config_selectorILNS1_17partition_subalgoE6EiNS0_10empty_typeEbEEZZNS1_14partition_implILS5_6ELb0ES3_mN6thrust23THRUST_200600_302600_NS6detail15normal_iteratorINSA_10device_ptrIiEEEEPS6_SG_NS0_5tupleIJSF_S6_EEENSH_IJSG_SG_EEES6_PlJNSB_9not_fun_tINSB_14equal_to_valueIiEEEEEEE10hipError_tPvRmT3_T4_T5_T6_T7_T9_mT8_P12ihipStream_tbDpT10_ENKUlT_T0_E_clISt17integral_constantIbLb0EES18_EEDaS13_S14_EUlS13_E_NS1_11comp_targetILNS1_3genE4ELNS1_11target_archE910ELNS1_3gpuE8ELNS1_3repE0EEENS1_30default_config_static_selectorELNS0_4arch9wavefront6targetE0EEEvT1_.num_vgpr, 0
	.set _ZN7rocprim17ROCPRIM_400000_NS6detail17trampoline_kernelINS0_14default_configENS1_25partition_config_selectorILNS1_17partition_subalgoE6EiNS0_10empty_typeEbEEZZNS1_14partition_implILS5_6ELb0ES3_mN6thrust23THRUST_200600_302600_NS6detail15normal_iteratorINSA_10device_ptrIiEEEEPS6_SG_NS0_5tupleIJSF_S6_EEENSH_IJSG_SG_EEES6_PlJNSB_9not_fun_tINSB_14equal_to_valueIiEEEEEEE10hipError_tPvRmT3_T4_T5_T6_T7_T9_mT8_P12ihipStream_tbDpT10_ENKUlT_T0_E_clISt17integral_constantIbLb0EES18_EEDaS13_S14_EUlS13_E_NS1_11comp_targetILNS1_3genE4ELNS1_11target_archE910ELNS1_3gpuE8ELNS1_3repE0EEENS1_30default_config_static_selectorELNS0_4arch9wavefront6targetE0EEEvT1_.num_agpr, 0
	.set _ZN7rocprim17ROCPRIM_400000_NS6detail17trampoline_kernelINS0_14default_configENS1_25partition_config_selectorILNS1_17partition_subalgoE6EiNS0_10empty_typeEbEEZZNS1_14partition_implILS5_6ELb0ES3_mN6thrust23THRUST_200600_302600_NS6detail15normal_iteratorINSA_10device_ptrIiEEEEPS6_SG_NS0_5tupleIJSF_S6_EEENSH_IJSG_SG_EEES6_PlJNSB_9not_fun_tINSB_14equal_to_valueIiEEEEEEE10hipError_tPvRmT3_T4_T5_T6_T7_T9_mT8_P12ihipStream_tbDpT10_ENKUlT_T0_E_clISt17integral_constantIbLb0EES18_EEDaS13_S14_EUlS13_E_NS1_11comp_targetILNS1_3genE4ELNS1_11target_archE910ELNS1_3gpuE8ELNS1_3repE0EEENS1_30default_config_static_selectorELNS0_4arch9wavefront6targetE0EEEvT1_.numbered_sgpr, 0
	.set _ZN7rocprim17ROCPRIM_400000_NS6detail17trampoline_kernelINS0_14default_configENS1_25partition_config_selectorILNS1_17partition_subalgoE6EiNS0_10empty_typeEbEEZZNS1_14partition_implILS5_6ELb0ES3_mN6thrust23THRUST_200600_302600_NS6detail15normal_iteratorINSA_10device_ptrIiEEEEPS6_SG_NS0_5tupleIJSF_S6_EEENSH_IJSG_SG_EEES6_PlJNSB_9not_fun_tINSB_14equal_to_valueIiEEEEEEE10hipError_tPvRmT3_T4_T5_T6_T7_T9_mT8_P12ihipStream_tbDpT10_ENKUlT_T0_E_clISt17integral_constantIbLb0EES18_EEDaS13_S14_EUlS13_E_NS1_11comp_targetILNS1_3genE4ELNS1_11target_archE910ELNS1_3gpuE8ELNS1_3repE0EEENS1_30default_config_static_selectorELNS0_4arch9wavefront6targetE0EEEvT1_.num_named_barrier, 0
	.set _ZN7rocprim17ROCPRIM_400000_NS6detail17trampoline_kernelINS0_14default_configENS1_25partition_config_selectorILNS1_17partition_subalgoE6EiNS0_10empty_typeEbEEZZNS1_14partition_implILS5_6ELb0ES3_mN6thrust23THRUST_200600_302600_NS6detail15normal_iteratorINSA_10device_ptrIiEEEEPS6_SG_NS0_5tupleIJSF_S6_EEENSH_IJSG_SG_EEES6_PlJNSB_9not_fun_tINSB_14equal_to_valueIiEEEEEEE10hipError_tPvRmT3_T4_T5_T6_T7_T9_mT8_P12ihipStream_tbDpT10_ENKUlT_T0_E_clISt17integral_constantIbLb0EES18_EEDaS13_S14_EUlS13_E_NS1_11comp_targetILNS1_3genE4ELNS1_11target_archE910ELNS1_3gpuE8ELNS1_3repE0EEENS1_30default_config_static_selectorELNS0_4arch9wavefront6targetE0EEEvT1_.private_seg_size, 0
	.set _ZN7rocprim17ROCPRIM_400000_NS6detail17trampoline_kernelINS0_14default_configENS1_25partition_config_selectorILNS1_17partition_subalgoE6EiNS0_10empty_typeEbEEZZNS1_14partition_implILS5_6ELb0ES3_mN6thrust23THRUST_200600_302600_NS6detail15normal_iteratorINSA_10device_ptrIiEEEEPS6_SG_NS0_5tupleIJSF_S6_EEENSH_IJSG_SG_EEES6_PlJNSB_9not_fun_tINSB_14equal_to_valueIiEEEEEEE10hipError_tPvRmT3_T4_T5_T6_T7_T9_mT8_P12ihipStream_tbDpT10_ENKUlT_T0_E_clISt17integral_constantIbLb0EES18_EEDaS13_S14_EUlS13_E_NS1_11comp_targetILNS1_3genE4ELNS1_11target_archE910ELNS1_3gpuE8ELNS1_3repE0EEENS1_30default_config_static_selectorELNS0_4arch9wavefront6targetE0EEEvT1_.uses_vcc, 0
	.set _ZN7rocprim17ROCPRIM_400000_NS6detail17trampoline_kernelINS0_14default_configENS1_25partition_config_selectorILNS1_17partition_subalgoE6EiNS0_10empty_typeEbEEZZNS1_14partition_implILS5_6ELb0ES3_mN6thrust23THRUST_200600_302600_NS6detail15normal_iteratorINSA_10device_ptrIiEEEEPS6_SG_NS0_5tupleIJSF_S6_EEENSH_IJSG_SG_EEES6_PlJNSB_9not_fun_tINSB_14equal_to_valueIiEEEEEEE10hipError_tPvRmT3_T4_T5_T6_T7_T9_mT8_P12ihipStream_tbDpT10_ENKUlT_T0_E_clISt17integral_constantIbLb0EES18_EEDaS13_S14_EUlS13_E_NS1_11comp_targetILNS1_3genE4ELNS1_11target_archE910ELNS1_3gpuE8ELNS1_3repE0EEENS1_30default_config_static_selectorELNS0_4arch9wavefront6targetE0EEEvT1_.uses_flat_scratch, 0
	.set _ZN7rocprim17ROCPRIM_400000_NS6detail17trampoline_kernelINS0_14default_configENS1_25partition_config_selectorILNS1_17partition_subalgoE6EiNS0_10empty_typeEbEEZZNS1_14partition_implILS5_6ELb0ES3_mN6thrust23THRUST_200600_302600_NS6detail15normal_iteratorINSA_10device_ptrIiEEEEPS6_SG_NS0_5tupleIJSF_S6_EEENSH_IJSG_SG_EEES6_PlJNSB_9not_fun_tINSB_14equal_to_valueIiEEEEEEE10hipError_tPvRmT3_T4_T5_T6_T7_T9_mT8_P12ihipStream_tbDpT10_ENKUlT_T0_E_clISt17integral_constantIbLb0EES18_EEDaS13_S14_EUlS13_E_NS1_11comp_targetILNS1_3genE4ELNS1_11target_archE910ELNS1_3gpuE8ELNS1_3repE0EEENS1_30default_config_static_selectorELNS0_4arch9wavefront6targetE0EEEvT1_.has_dyn_sized_stack, 0
	.set _ZN7rocprim17ROCPRIM_400000_NS6detail17trampoline_kernelINS0_14default_configENS1_25partition_config_selectorILNS1_17partition_subalgoE6EiNS0_10empty_typeEbEEZZNS1_14partition_implILS5_6ELb0ES3_mN6thrust23THRUST_200600_302600_NS6detail15normal_iteratorINSA_10device_ptrIiEEEEPS6_SG_NS0_5tupleIJSF_S6_EEENSH_IJSG_SG_EEES6_PlJNSB_9not_fun_tINSB_14equal_to_valueIiEEEEEEE10hipError_tPvRmT3_T4_T5_T6_T7_T9_mT8_P12ihipStream_tbDpT10_ENKUlT_T0_E_clISt17integral_constantIbLb0EES18_EEDaS13_S14_EUlS13_E_NS1_11comp_targetILNS1_3genE4ELNS1_11target_archE910ELNS1_3gpuE8ELNS1_3repE0EEENS1_30default_config_static_selectorELNS0_4arch9wavefront6targetE0EEEvT1_.has_recursion, 0
	.set _ZN7rocprim17ROCPRIM_400000_NS6detail17trampoline_kernelINS0_14default_configENS1_25partition_config_selectorILNS1_17partition_subalgoE6EiNS0_10empty_typeEbEEZZNS1_14partition_implILS5_6ELb0ES3_mN6thrust23THRUST_200600_302600_NS6detail15normal_iteratorINSA_10device_ptrIiEEEEPS6_SG_NS0_5tupleIJSF_S6_EEENSH_IJSG_SG_EEES6_PlJNSB_9not_fun_tINSB_14equal_to_valueIiEEEEEEE10hipError_tPvRmT3_T4_T5_T6_T7_T9_mT8_P12ihipStream_tbDpT10_ENKUlT_T0_E_clISt17integral_constantIbLb0EES18_EEDaS13_S14_EUlS13_E_NS1_11comp_targetILNS1_3genE4ELNS1_11target_archE910ELNS1_3gpuE8ELNS1_3repE0EEENS1_30default_config_static_selectorELNS0_4arch9wavefront6targetE0EEEvT1_.has_indirect_call, 0
	.section	.AMDGPU.csdata,"",@progbits
; Kernel info:
; codeLenInByte = 0
; TotalNumSgprs: 0
; NumVgprs: 0
; ScratchSize: 0
; MemoryBound: 0
; FloatMode: 240
; IeeeMode: 1
; LDSByteSize: 0 bytes/workgroup (compile time only)
; SGPRBlocks: 0
; VGPRBlocks: 0
; NumSGPRsForWavesPerEU: 1
; NumVGPRsForWavesPerEU: 1
; Occupancy: 16
; WaveLimiterHint : 0
; COMPUTE_PGM_RSRC2:SCRATCH_EN: 0
; COMPUTE_PGM_RSRC2:USER_SGPR: 2
; COMPUTE_PGM_RSRC2:TRAP_HANDLER: 0
; COMPUTE_PGM_RSRC2:TGID_X_EN: 1
; COMPUTE_PGM_RSRC2:TGID_Y_EN: 0
; COMPUTE_PGM_RSRC2:TGID_Z_EN: 0
; COMPUTE_PGM_RSRC2:TIDIG_COMP_CNT: 0
	.section	.text._ZN7rocprim17ROCPRIM_400000_NS6detail17trampoline_kernelINS0_14default_configENS1_25partition_config_selectorILNS1_17partition_subalgoE6EiNS0_10empty_typeEbEEZZNS1_14partition_implILS5_6ELb0ES3_mN6thrust23THRUST_200600_302600_NS6detail15normal_iteratorINSA_10device_ptrIiEEEEPS6_SG_NS0_5tupleIJSF_S6_EEENSH_IJSG_SG_EEES6_PlJNSB_9not_fun_tINSB_14equal_to_valueIiEEEEEEE10hipError_tPvRmT3_T4_T5_T6_T7_T9_mT8_P12ihipStream_tbDpT10_ENKUlT_T0_E_clISt17integral_constantIbLb0EES18_EEDaS13_S14_EUlS13_E_NS1_11comp_targetILNS1_3genE3ELNS1_11target_archE908ELNS1_3gpuE7ELNS1_3repE0EEENS1_30default_config_static_selectorELNS0_4arch9wavefront6targetE0EEEvT1_,"axG",@progbits,_ZN7rocprim17ROCPRIM_400000_NS6detail17trampoline_kernelINS0_14default_configENS1_25partition_config_selectorILNS1_17partition_subalgoE6EiNS0_10empty_typeEbEEZZNS1_14partition_implILS5_6ELb0ES3_mN6thrust23THRUST_200600_302600_NS6detail15normal_iteratorINSA_10device_ptrIiEEEEPS6_SG_NS0_5tupleIJSF_S6_EEENSH_IJSG_SG_EEES6_PlJNSB_9not_fun_tINSB_14equal_to_valueIiEEEEEEE10hipError_tPvRmT3_T4_T5_T6_T7_T9_mT8_P12ihipStream_tbDpT10_ENKUlT_T0_E_clISt17integral_constantIbLb0EES18_EEDaS13_S14_EUlS13_E_NS1_11comp_targetILNS1_3genE3ELNS1_11target_archE908ELNS1_3gpuE7ELNS1_3repE0EEENS1_30default_config_static_selectorELNS0_4arch9wavefront6targetE0EEEvT1_,comdat
	.protected	_ZN7rocprim17ROCPRIM_400000_NS6detail17trampoline_kernelINS0_14default_configENS1_25partition_config_selectorILNS1_17partition_subalgoE6EiNS0_10empty_typeEbEEZZNS1_14partition_implILS5_6ELb0ES3_mN6thrust23THRUST_200600_302600_NS6detail15normal_iteratorINSA_10device_ptrIiEEEEPS6_SG_NS0_5tupleIJSF_S6_EEENSH_IJSG_SG_EEES6_PlJNSB_9not_fun_tINSB_14equal_to_valueIiEEEEEEE10hipError_tPvRmT3_T4_T5_T6_T7_T9_mT8_P12ihipStream_tbDpT10_ENKUlT_T0_E_clISt17integral_constantIbLb0EES18_EEDaS13_S14_EUlS13_E_NS1_11comp_targetILNS1_3genE3ELNS1_11target_archE908ELNS1_3gpuE7ELNS1_3repE0EEENS1_30default_config_static_selectorELNS0_4arch9wavefront6targetE0EEEvT1_ ; -- Begin function _ZN7rocprim17ROCPRIM_400000_NS6detail17trampoline_kernelINS0_14default_configENS1_25partition_config_selectorILNS1_17partition_subalgoE6EiNS0_10empty_typeEbEEZZNS1_14partition_implILS5_6ELb0ES3_mN6thrust23THRUST_200600_302600_NS6detail15normal_iteratorINSA_10device_ptrIiEEEEPS6_SG_NS0_5tupleIJSF_S6_EEENSH_IJSG_SG_EEES6_PlJNSB_9not_fun_tINSB_14equal_to_valueIiEEEEEEE10hipError_tPvRmT3_T4_T5_T6_T7_T9_mT8_P12ihipStream_tbDpT10_ENKUlT_T0_E_clISt17integral_constantIbLb0EES18_EEDaS13_S14_EUlS13_E_NS1_11comp_targetILNS1_3genE3ELNS1_11target_archE908ELNS1_3gpuE7ELNS1_3repE0EEENS1_30default_config_static_selectorELNS0_4arch9wavefront6targetE0EEEvT1_
	.globl	_ZN7rocprim17ROCPRIM_400000_NS6detail17trampoline_kernelINS0_14default_configENS1_25partition_config_selectorILNS1_17partition_subalgoE6EiNS0_10empty_typeEbEEZZNS1_14partition_implILS5_6ELb0ES3_mN6thrust23THRUST_200600_302600_NS6detail15normal_iteratorINSA_10device_ptrIiEEEEPS6_SG_NS0_5tupleIJSF_S6_EEENSH_IJSG_SG_EEES6_PlJNSB_9not_fun_tINSB_14equal_to_valueIiEEEEEEE10hipError_tPvRmT3_T4_T5_T6_T7_T9_mT8_P12ihipStream_tbDpT10_ENKUlT_T0_E_clISt17integral_constantIbLb0EES18_EEDaS13_S14_EUlS13_E_NS1_11comp_targetILNS1_3genE3ELNS1_11target_archE908ELNS1_3gpuE7ELNS1_3repE0EEENS1_30default_config_static_selectorELNS0_4arch9wavefront6targetE0EEEvT1_
	.p2align	8
	.type	_ZN7rocprim17ROCPRIM_400000_NS6detail17trampoline_kernelINS0_14default_configENS1_25partition_config_selectorILNS1_17partition_subalgoE6EiNS0_10empty_typeEbEEZZNS1_14partition_implILS5_6ELb0ES3_mN6thrust23THRUST_200600_302600_NS6detail15normal_iteratorINSA_10device_ptrIiEEEEPS6_SG_NS0_5tupleIJSF_S6_EEENSH_IJSG_SG_EEES6_PlJNSB_9not_fun_tINSB_14equal_to_valueIiEEEEEEE10hipError_tPvRmT3_T4_T5_T6_T7_T9_mT8_P12ihipStream_tbDpT10_ENKUlT_T0_E_clISt17integral_constantIbLb0EES18_EEDaS13_S14_EUlS13_E_NS1_11comp_targetILNS1_3genE3ELNS1_11target_archE908ELNS1_3gpuE7ELNS1_3repE0EEENS1_30default_config_static_selectorELNS0_4arch9wavefront6targetE0EEEvT1_,@function
_ZN7rocprim17ROCPRIM_400000_NS6detail17trampoline_kernelINS0_14default_configENS1_25partition_config_selectorILNS1_17partition_subalgoE6EiNS0_10empty_typeEbEEZZNS1_14partition_implILS5_6ELb0ES3_mN6thrust23THRUST_200600_302600_NS6detail15normal_iteratorINSA_10device_ptrIiEEEEPS6_SG_NS0_5tupleIJSF_S6_EEENSH_IJSG_SG_EEES6_PlJNSB_9not_fun_tINSB_14equal_to_valueIiEEEEEEE10hipError_tPvRmT3_T4_T5_T6_T7_T9_mT8_P12ihipStream_tbDpT10_ENKUlT_T0_E_clISt17integral_constantIbLb0EES18_EEDaS13_S14_EUlS13_E_NS1_11comp_targetILNS1_3genE3ELNS1_11target_archE908ELNS1_3gpuE7ELNS1_3repE0EEENS1_30default_config_static_selectorELNS0_4arch9wavefront6targetE0EEEvT1_: ; @_ZN7rocprim17ROCPRIM_400000_NS6detail17trampoline_kernelINS0_14default_configENS1_25partition_config_selectorILNS1_17partition_subalgoE6EiNS0_10empty_typeEbEEZZNS1_14partition_implILS5_6ELb0ES3_mN6thrust23THRUST_200600_302600_NS6detail15normal_iteratorINSA_10device_ptrIiEEEEPS6_SG_NS0_5tupleIJSF_S6_EEENSH_IJSG_SG_EEES6_PlJNSB_9not_fun_tINSB_14equal_to_valueIiEEEEEEE10hipError_tPvRmT3_T4_T5_T6_T7_T9_mT8_P12ihipStream_tbDpT10_ENKUlT_T0_E_clISt17integral_constantIbLb0EES18_EEDaS13_S14_EUlS13_E_NS1_11comp_targetILNS1_3genE3ELNS1_11target_archE908ELNS1_3gpuE7ELNS1_3repE0EEENS1_30default_config_static_selectorELNS0_4arch9wavefront6targetE0EEEvT1_
; %bb.0:
	.section	.rodata,"a",@progbits
	.p2align	6, 0x0
	.amdhsa_kernel _ZN7rocprim17ROCPRIM_400000_NS6detail17trampoline_kernelINS0_14default_configENS1_25partition_config_selectorILNS1_17partition_subalgoE6EiNS0_10empty_typeEbEEZZNS1_14partition_implILS5_6ELb0ES3_mN6thrust23THRUST_200600_302600_NS6detail15normal_iteratorINSA_10device_ptrIiEEEEPS6_SG_NS0_5tupleIJSF_S6_EEENSH_IJSG_SG_EEES6_PlJNSB_9not_fun_tINSB_14equal_to_valueIiEEEEEEE10hipError_tPvRmT3_T4_T5_T6_T7_T9_mT8_P12ihipStream_tbDpT10_ENKUlT_T0_E_clISt17integral_constantIbLb0EES18_EEDaS13_S14_EUlS13_E_NS1_11comp_targetILNS1_3genE3ELNS1_11target_archE908ELNS1_3gpuE7ELNS1_3repE0EEENS1_30default_config_static_selectorELNS0_4arch9wavefront6targetE0EEEvT1_
		.amdhsa_group_segment_fixed_size 0
		.amdhsa_private_segment_fixed_size 0
		.amdhsa_kernarg_size 120
		.amdhsa_user_sgpr_count 2
		.amdhsa_user_sgpr_dispatch_ptr 0
		.amdhsa_user_sgpr_queue_ptr 0
		.amdhsa_user_sgpr_kernarg_segment_ptr 1
		.amdhsa_user_sgpr_dispatch_id 0
		.amdhsa_user_sgpr_private_segment_size 0
		.amdhsa_wavefront_size32 1
		.amdhsa_uses_dynamic_stack 0
		.amdhsa_enable_private_segment 0
		.amdhsa_system_sgpr_workgroup_id_x 1
		.amdhsa_system_sgpr_workgroup_id_y 0
		.amdhsa_system_sgpr_workgroup_id_z 0
		.amdhsa_system_sgpr_workgroup_info 0
		.amdhsa_system_vgpr_workitem_id 0
		.amdhsa_next_free_vgpr 1
		.amdhsa_next_free_sgpr 1
		.amdhsa_reserve_vcc 0
		.amdhsa_float_round_mode_32 0
		.amdhsa_float_round_mode_16_64 0
		.amdhsa_float_denorm_mode_32 3
		.amdhsa_float_denorm_mode_16_64 3
		.amdhsa_fp16_overflow 0
		.amdhsa_workgroup_processor_mode 1
		.amdhsa_memory_ordered 1
		.amdhsa_forward_progress 1
		.amdhsa_inst_pref_size 0
		.amdhsa_round_robin_scheduling 0
		.amdhsa_exception_fp_ieee_invalid_op 0
		.amdhsa_exception_fp_denorm_src 0
		.amdhsa_exception_fp_ieee_div_zero 0
		.amdhsa_exception_fp_ieee_overflow 0
		.amdhsa_exception_fp_ieee_underflow 0
		.amdhsa_exception_fp_ieee_inexact 0
		.amdhsa_exception_int_div_zero 0
	.end_amdhsa_kernel
	.section	.text._ZN7rocprim17ROCPRIM_400000_NS6detail17trampoline_kernelINS0_14default_configENS1_25partition_config_selectorILNS1_17partition_subalgoE6EiNS0_10empty_typeEbEEZZNS1_14partition_implILS5_6ELb0ES3_mN6thrust23THRUST_200600_302600_NS6detail15normal_iteratorINSA_10device_ptrIiEEEEPS6_SG_NS0_5tupleIJSF_S6_EEENSH_IJSG_SG_EEES6_PlJNSB_9not_fun_tINSB_14equal_to_valueIiEEEEEEE10hipError_tPvRmT3_T4_T5_T6_T7_T9_mT8_P12ihipStream_tbDpT10_ENKUlT_T0_E_clISt17integral_constantIbLb0EES18_EEDaS13_S14_EUlS13_E_NS1_11comp_targetILNS1_3genE3ELNS1_11target_archE908ELNS1_3gpuE7ELNS1_3repE0EEENS1_30default_config_static_selectorELNS0_4arch9wavefront6targetE0EEEvT1_,"axG",@progbits,_ZN7rocprim17ROCPRIM_400000_NS6detail17trampoline_kernelINS0_14default_configENS1_25partition_config_selectorILNS1_17partition_subalgoE6EiNS0_10empty_typeEbEEZZNS1_14partition_implILS5_6ELb0ES3_mN6thrust23THRUST_200600_302600_NS6detail15normal_iteratorINSA_10device_ptrIiEEEEPS6_SG_NS0_5tupleIJSF_S6_EEENSH_IJSG_SG_EEES6_PlJNSB_9not_fun_tINSB_14equal_to_valueIiEEEEEEE10hipError_tPvRmT3_T4_T5_T6_T7_T9_mT8_P12ihipStream_tbDpT10_ENKUlT_T0_E_clISt17integral_constantIbLb0EES18_EEDaS13_S14_EUlS13_E_NS1_11comp_targetILNS1_3genE3ELNS1_11target_archE908ELNS1_3gpuE7ELNS1_3repE0EEENS1_30default_config_static_selectorELNS0_4arch9wavefront6targetE0EEEvT1_,comdat
.Lfunc_end472:
	.size	_ZN7rocprim17ROCPRIM_400000_NS6detail17trampoline_kernelINS0_14default_configENS1_25partition_config_selectorILNS1_17partition_subalgoE6EiNS0_10empty_typeEbEEZZNS1_14partition_implILS5_6ELb0ES3_mN6thrust23THRUST_200600_302600_NS6detail15normal_iteratorINSA_10device_ptrIiEEEEPS6_SG_NS0_5tupleIJSF_S6_EEENSH_IJSG_SG_EEES6_PlJNSB_9not_fun_tINSB_14equal_to_valueIiEEEEEEE10hipError_tPvRmT3_T4_T5_T6_T7_T9_mT8_P12ihipStream_tbDpT10_ENKUlT_T0_E_clISt17integral_constantIbLb0EES18_EEDaS13_S14_EUlS13_E_NS1_11comp_targetILNS1_3genE3ELNS1_11target_archE908ELNS1_3gpuE7ELNS1_3repE0EEENS1_30default_config_static_selectorELNS0_4arch9wavefront6targetE0EEEvT1_, .Lfunc_end472-_ZN7rocprim17ROCPRIM_400000_NS6detail17trampoline_kernelINS0_14default_configENS1_25partition_config_selectorILNS1_17partition_subalgoE6EiNS0_10empty_typeEbEEZZNS1_14partition_implILS5_6ELb0ES3_mN6thrust23THRUST_200600_302600_NS6detail15normal_iteratorINSA_10device_ptrIiEEEEPS6_SG_NS0_5tupleIJSF_S6_EEENSH_IJSG_SG_EEES6_PlJNSB_9not_fun_tINSB_14equal_to_valueIiEEEEEEE10hipError_tPvRmT3_T4_T5_T6_T7_T9_mT8_P12ihipStream_tbDpT10_ENKUlT_T0_E_clISt17integral_constantIbLb0EES18_EEDaS13_S14_EUlS13_E_NS1_11comp_targetILNS1_3genE3ELNS1_11target_archE908ELNS1_3gpuE7ELNS1_3repE0EEENS1_30default_config_static_selectorELNS0_4arch9wavefront6targetE0EEEvT1_
                                        ; -- End function
	.set _ZN7rocprim17ROCPRIM_400000_NS6detail17trampoline_kernelINS0_14default_configENS1_25partition_config_selectorILNS1_17partition_subalgoE6EiNS0_10empty_typeEbEEZZNS1_14partition_implILS5_6ELb0ES3_mN6thrust23THRUST_200600_302600_NS6detail15normal_iteratorINSA_10device_ptrIiEEEEPS6_SG_NS0_5tupleIJSF_S6_EEENSH_IJSG_SG_EEES6_PlJNSB_9not_fun_tINSB_14equal_to_valueIiEEEEEEE10hipError_tPvRmT3_T4_T5_T6_T7_T9_mT8_P12ihipStream_tbDpT10_ENKUlT_T0_E_clISt17integral_constantIbLb0EES18_EEDaS13_S14_EUlS13_E_NS1_11comp_targetILNS1_3genE3ELNS1_11target_archE908ELNS1_3gpuE7ELNS1_3repE0EEENS1_30default_config_static_selectorELNS0_4arch9wavefront6targetE0EEEvT1_.num_vgpr, 0
	.set _ZN7rocprim17ROCPRIM_400000_NS6detail17trampoline_kernelINS0_14default_configENS1_25partition_config_selectorILNS1_17partition_subalgoE6EiNS0_10empty_typeEbEEZZNS1_14partition_implILS5_6ELb0ES3_mN6thrust23THRUST_200600_302600_NS6detail15normal_iteratorINSA_10device_ptrIiEEEEPS6_SG_NS0_5tupleIJSF_S6_EEENSH_IJSG_SG_EEES6_PlJNSB_9not_fun_tINSB_14equal_to_valueIiEEEEEEE10hipError_tPvRmT3_T4_T5_T6_T7_T9_mT8_P12ihipStream_tbDpT10_ENKUlT_T0_E_clISt17integral_constantIbLb0EES18_EEDaS13_S14_EUlS13_E_NS1_11comp_targetILNS1_3genE3ELNS1_11target_archE908ELNS1_3gpuE7ELNS1_3repE0EEENS1_30default_config_static_selectorELNS0_4arch9wavefront6targetE0EEEvT1_.num_agpr, 0
	.set _ZN7rocprim17ROCPRIM_400000_NS6detail17trampoline_kernelINS0_14default_configENS1_25partition_config_selectorILNS1_17partition_subalgoE6EiNS0_10empty_typeEbEEZZNS1_14partition_implILS5_6ELb0ES3_mN6thrust23THRUST_200600_302600_NS6detail15normal_iteratorINSA_10device_ptrIiEEEEPS6_SG_NS0_5tupleIJSF_S6_EEENSH_IJSG_SG_EEES6_PlJNSB_9not_fun_tINSB_14equal_to_valueIiEEEEEEE10hipError_tPvRmT3_T4_T5_T6_T7_T9_mT8_P12ihipStream_tbDpT10_ENKUlT_T0_E_clISt17integral_constantIbLb0EES18_EEDaS13_S14_EUlS13_E_NS1_11comp_targetILNS1_3genE3ELNS1_11target_archE908ELNS1_3gpuE7ELNS1_3repE0EEENS1_30default_config_static_selectorELNS0_4arch9wavefront6targetE0EEEvT1_.numbered_sgpr, 0
	.set _ZN7rocprim17ROCPRIM_400000_NS6detail17trampoline_kernelINS0_14default_configENS1_25partition_config_selectorILNS1_17partition_subalgoE6EiNS0_10empty_typeEbEEZZNS1_14partition_implILS5_6ELb0ES3_mN6thrust23THRUST_200600_302600_NS6detail15normal_iteratorINSA_10device_ptrIiEEEEPS6_SG_NS0_5tupleIJSF_S6_EEENSH_IJSG_SG_EEES6_PlJNSB_9not_fun_tINSB_14equal_to_valueIiEEEEEEE10hipError_tPvRmT3_T4_T5_T6_T7_T9_mT8_P12ihipStream_tbDpT10_ENKUlT_T0_E_clISt17integral_constantIbLb0EES18_EEDaS13_S14_EUlS13_E_NS1_11comp_targetILNS1_3genE3ELNS1_11target_archE908ELNS1_3gpuE7ELNS1_3repE0EEENS1_30default_config_static_selectorELNS0_4arch9wavefront6targetE0EEEvT1_.num_named_barrier, 0
	.set _ZN7rocprim17ROCPRIM_400000_NS6detail17trampoline_kernelINS0_14default_configENS1_25partition_config_selectorILNS1_17partition_subalgoE6EiNS0_10empty_typeEbEEZZNS1_14partition_implILS5_6ELb0ES3_mN6thrust23THRUST_200600_302600_NS6detail15normal_iteratorINSA_10device_ptrIiEEEEPS6_SG_NS0_5tupleIJSF_S6_EEENSH_IJSG_SG_EEES6_PlJNSB_9not_fun_tINSB_14equal_to_valueIiEEEEEEE10hipError_tPvRmT3_T4_T5_T6_T7_T9_mT8_P12ihipStream_tbDpT10_ENKUlT_T0_E_clISt17integral_constantIbLb0EES18_EEDaS13_S14_EUlS13_E_NS1_11comp_targetILNS1_3genE3ELNS1_11target_archE908ELNS1_3gpuE7ELNS1_3repE0EEENS1_30default_config_static_selectorELNS0_4arch9wavefront6targetE0EEEvT1_.private_seg_size, 0
	.set _ZN7rocprim17ROCPRIM_400000_NS6detail17trampoline_kernelINS0_14default_configENS1_25partition_config_selectorILNS1_17partition_subalgoE6EiNS0_10empty_typeEbEEZZNS1_14partition_implILS5_6ELb0ES3_mN6thrust23THRUST_200600_302600_NS6detail15normal_iteratorINSA_10device_ptrIiEEEEPS6_SG_NS0_5tupleIJSF_S6_EEENSH_IJSG_SG_EEES6_PlJNSB_9not_fun_tINSB_14equal_to_valueIiEEEEEEE10hipError_tPvRmT3_T4_T5_T6_T7_T9_mT8_P12ihipStream_tbDpT10_ENKUlT_T0_E_clISt17integral_constantIbLb0EES18_EEDaS13_S14_EUlS13_E_NS1_11comp_targetILNS1_3genE3ELNS1_11target_archE908ELNS1_3gpuE7ELNS1_3repE0EEENS1_30default_config_static_selectorELNS0_4arch9wavefront6targetE0EEEvT1_.uses_vcc, 0
	.set _ZN7rocprim17ROCPRIM_400000_NS6detail17trampoline_kernelINS0_14default_configENS1_25partition_config_selectorILNS1_17partition_subalgoE6EiNS0_10empty_typeEbEEZZNS1_14partition_implILS5_6ELb0ES3_mN6thrust23THRUST_200600_302600_NS6detail15normal_iteratorINSA_10device_ptrIiEEEEPS6_SG_NS0_5tupleIJSF_S6_EEENSH_IJSG_SG_EEES6_PlJNSB_9not_fun_tINSB_14equal_to_valueIiEEEEEEE10hipError_tPvRmT3_T4_T5_T6_T7_T9_mT8_P12ihipStream_tbDpT10_ENKUlT_T0_E_clISt17integral_constantIbLb0EES18_EEDaS13_S14_EUlS13_E_NS1_11comp_targetILNS1_3genE3ELNS1_11target_archE908ELNS1_3gpuE7ELNS1_3repE0EEENS1_30default_config_static_selectorELNS0_4arch9wavefront6targetE0EEEvT1_.uses_flat_scratch, 0
	.set _ZN7rocprim17ROCPRIM_400000_NS6detail17trampoline_kernelINS0_14default_configENS1_25partition_config_selectorILNS1_17partition_subalgoE6EiNS0_10empty_typeEbEEZZNS1_14partition_implILS5_6ELb0ES3_mN6thrust23THRUST_200600_302600_NS6detail15normal_iteratorINSA_10device_ptrIiEEEEPS6_SG_NS0_5tupleIJSF_S6_EEENSH_IJSG_SG_EEES6_PlJNSB_9not_fun_tINSB_14equal_to_valueIiEEEEEEE10hipError_tPvRmT3_T4_T5_T6_T7_T9_mT8_P12ihipStream_tbDpT10_ENKUlT_T0_E_clISt17integral_constantIbLb0EES18_EEDaS13_S14_EUlS13_E_NS1_11comp_targetILNS1_3genE3ELNS1_11target_archE908ELNS1_3gpuE7ELNS1_3repE0EEENS1_30default_config_static_selectorELNS0_4arch9wavefront6targetE0EEEvT1_.has_dyn_sized_stack, 0
	.set _ZN7rocprim17ROCPRIM_400000_NS6detail17trampoline_kernelINS0_14default_configENS1_25partition_config_selectorILNS1_17partition_subalgoE6EiNS0_10empty_typeEbEEZZNS1_14partition_implILS5_6ELb0ES3_mN6thrust23THRUST_200600_302600_NS6detail15normal_iteratorINSA_10device_ptrIiEEEEPS6_SG_NS0_5tupleIJSF_S6_EEENSH_IJSG_SG_EEES6_PlJNSB_9not_fun_tINSB_14equal_to_valueIiEEEEEEE10hipError_tPvRmT3_T4_T5_T6_T7_T9_mT8_P12ihipStream_tbDpT10_ENKUlT_T0_E_clISt17integral_constantIbLb0EES18_EEDaS13_S14_EUlS13_E_NS1_11comp_targetILNS1_3genE3ELNS1_11target_archE908ELNS1_3gpuE7ELNS1_3repE0EEENS1_30default_config_static_selectorELNS0_4arch9wavefront6targetE0EEEvT1_.has_recursion, 0
	.set _ZN7rocprim17ROCPRIM_400000_NS6detail17trampoline_kernelINS0_14default_configENS1_25partition_config_selectorILNS1_17partition_subalgoE6EiNS0_10empty_typeEbEEZZNS1_14partition_implILS5_6ELb0ES3_mN6thrust23THRUST_200600_302600_NS6detail15normal_iteratorINSA_10device_ptrIiEEEEPS6_SG_NS0_5tupleIJSF_S6_EEENSH_IJSG_SG_EEES6_PlJNSB_9not_fun_tINSB_14equal_to_valueIiEEEEEEE10hipError_tPvRmT3_T4_T5_T6_T7_T9_mT8_P12ihipStream_tbDpT10_ENKUlT_T0_E_clISt17integral_constantIbLb0EES18_EEDaS13_S14_EUlS13_E_NS1_11comp_targetILNS1_3genE3ELNS1_11target_archE908ELNS1_3gpuE7ELNS1_3repE0EEENS1_30default_config_static_selectorELNS0_4arch9wavefront6targetE0EEEvT1_.has_indirect_call, 0
	.section	.AMDGPU.csdata,"",@progbits
; Kernel info:
; codeLenInByte = 0
; TotalNumSgprs: 0
; NumVgprs: 0
; ScratchSize: 0
; MemoryBound: 0
; FloatMode: 240
; IeeeMode: 1
; LDSByteSize: 0 bytes/workgroup (compile time only)
; SGPRBlocks: 0
; VGPRBlocks: 0
; NumSGPRsForWavesPerEU: 1
; NumVGPRsForWavesPerEU: 1
; Occupancy: 16
; WaveLimiterHint : 0
; COMPUTE_PGM_RSRC2:SCRATCH_EN: 0
; COMPUTE_PGM_RSRC2:USER_SGPR: 2
; COMPUTE_PGM_RSRC2:TRAP_HANDLER: 0
; COMPUTE_PGM_RSRC2:TGID_X_EN: 1
; COMPUTE_PGM_RSRC2:TGID_Y_EN: 0
; COMPUTE_PGM_RSRC2:TGID_Z_EN: 0
; COMPUTE_PGM_RSRC2:TIDIG_COMP_CNT: 0
	.section	.text._ZN7rocprim17ROCPRIM_400000_NS6detail17trampoline_kernelINS0_14default_configENS1_25partition_config_selectorILNS1_17partition_subalgoE6EiNS0_10empty_typeEbEEZZNS1_14partition_implILS5_6ELb0ES3_mN6thrust23THRUST_200600_302600_NS6detail15normal_iteratorINSA_10device_ptrIiEEEEPS6_SG_NS0_5tupleIJSF_S6_EEENSH_IJSG_SG_EEES6_PlJNSB_9not_fun_tINSB_14equal_to_valueIiEEEEEEE10hipError_tPvRmT3_T4_T5_T6_T7_T9_mT8_P12ihipStream_tbDpT10_ENKUlT_T0_E_clISt17integral_constantIbLb0EES18_EEDaS13_S14_EUlS13_E_NS1_11comp_targetILNS1_3genE2ELNS1_11target_archE906ELNS1_3gpuE6ELNS1_3repE0EEENS1_30default_config_static_selectorELNS0_4arch9wavefront6targetE0EEEvT1_,"axG",@progbits,_ZN7rocprim17ROCPRIM_400000_NS6detail17trampoline_kernelINS0_14default_configENS1_25partition_config_selectorILNS1_17partition_subalgoE6EiNS0_10empty_typeEbEEZZNS1_14partition_implILS5_6ELb0ES3_mN6thrust23THRUST_200600_302600_NS6detail15normal_iteratorINSA_10device_ptrIiEEEEPS6_SG_NS0_5tupleIJSF_S6_EEENSH_IJSG_SG_EEES6_PlJNSB_9not_fun_tINSB_14equal_to_valueIiEEEEEEE10hipError_tPvRmT3_T4_T5_T6_T7_T9_mT8_P12ihipStream_tbDpT10_ENKUlT_T0_E_clISt17integral_constantIbLb0EES18_EEDaS13_S14_EUlS13_E_NS1_11comp_targetILNS1_3genE2ELNS1_11target_archE906ELNS1_3gpuE6ELNS1_3repE0EEENS1_30default_config_static_selectorELNS0_4arch9wavefront6targetE0EEEvT1_,comdat
	.protected	_ZN7rocprim17ROCPRIM_400000_NS6detail17trampoline_kernelINS0_14default_configENS1_25partition_config_selectorILNS1_17partition_subalgoE6EiNS0_10empty_typeEbEEZZNS1_14partition_implILS5_6ELb0ES3_mN6thrust23THRUST_200600_302600_NS6detail15normal_iteratorINSA_10device_ptrIiEEEEPS6_SG_NS0_5tupleIJSF_S6_EEENSH_IJSG_SG_EEES6_PlJNSB_9not_fun_tINSB_14equal_to_valueIiEEEEEEE10hipError_tPvRmT3_T4_T5_T6_T7_T9_mT8_P12ihipStream_tbDpT10_ENKUlT_T0_E_clISt17integral_constantIbLb0EES18_EEDaS13_S14_EUlS13_E_NS1_11comp_targetILNS1_3genE2ELNS1_11target_archE906ELNS1_3gpuE6ELNS1_3repE0EEENS1_30default_config_static_selectorELNS0_4arch9wavefront6targetE0EEEvT1_ ; -- Begin function _ZN7rocprim17ROCPRIM_400000_NS6detail17trampoline_kernelINS0_14default_configENS1_25partition_config_selectorILNS1_17partition_subalgoE6EiNS0_10empty_typeEbEEZZNS1_14partition_implILS5_6ELb0ES3_mN6thrust23THRUST_200600_302600_NS6detail15normal_iteratorINSA_10device_ptrIiEEEEPS6_SG_NS0_5tupleIJSF_S6_EEENSH_IJSG_SG_EEES6_PlJNSB_9not_fun_tINSB_14equal_to_valueIiEEEEEEE10hipError_tPvRmT3_T4_T5_T6_T7_T9_mT8_P12ihipStream_tbDpT10_ENKUlT_T0_E_clISt17integral_constantIbLb0EES18_EEDaS13_S14_EUlS13_E_NS1_11comp_targetILNS1_3genE2ELNS1_11target_archE906ELNS1_3gpuE6ELNS1_3repE0EEENS1_30default_config_static_selectorELNS0_4arch9wavefront6targetE0EEEvT1_
	.globl	_ZN7rocprim17ROCPRIM_400000_NS6detail17trampoline_kernelINS0_14default_configENS1_25partition_config_selectorILNS1_17partition_subalgoE6EiNS0_10empty_typeEbEEZZNS1_14partition_implILS5_6ELb0ES3_mN6thrust23THRUST_200600_302600_NS6detail15normal_iteratorINSA_10device_ptrIiEEEEPS6_SG_NS0_5tupleIJSF_S6_EEENSH_IJSG_SG_EEES6_PlJNSB_9not_fun_tINSB_14equal_to_valueIiEEEEEEE10hipError_tPvRmT3_T4_T5_T6_T7_T9_mT8_P12ihipStream_tbDpT10_ENKUlT_T0_E_clISt17integral_constantIbLb0EES18_EEDaS13_S14_EUlS13_E_NS1_11comp_targetILNS1_3genE2ELNS1_11target_archE906ELNS1_3gpuE6ELNS1_3repE0EEENS1_30default_config_static_selectorELNS0_4arch9wavefront6targetE0EEEvT1_
	.p2align	8
	.type	_ZN7rocprim17ROCPRIM_400000_NS6detail17trampoline_kernelINS0_14default_configENS1_25partition_config_selectorILNS1_17partition_subalgoE6EiNS0_10empty_typeEbEEZZNS1_14partition_implILS5_6ELb0ES3_mN6thrust23THRUST_200600_302600_NS6detail15normal_iteratorINSA_10device_ptrIiEEEEPS6_SG_NS0_5tupleIJSF_S6_EEENSH_IJSG_SG_EEES6_PlJNSB_9not_fun_tINSB_14equal_to_valueIiEEEEEEE10hipError_tPvRmT3_T4_T5_T6_T7_T9_mT8_P12ihipStream_tbDpT10_ENKUlT_T0_E_clISt17integral_constantIbLb0EES18_EEDaS13_S14_EUlS13_E_NS1_11comp_targetILNS1_3genE2ELNS1_11target_archE906ELNS1_3gpuE6ELNS1_3repE0EEENS1_30default_config_static_selectorELNS0_4arch9wavefront6targetE0EEEvT1_,@function
_ZN7rocprim17ROCPRIM_400000_NS6detail17trampoline_kernelINS0_14default_configENS1_25partition_config_selectorILNS1_17partition_subalgoE6EiNS0_10empty_typeEbEEZZNS1_14partition_implILS5_6ELb0ES3_mN6thrust23THRUST_200600_302600_NS6detail15normal_iteratorINSA_10device_ptrIiEEEEPS6_SG_NS0_5tupleIJSF_S6_EEENSH_IJSG_SG_EEES6_PlJNSB_9not_fun_tINSB_14equal_to_valueIiEEEEEEE10hipError_tPvRmT3_T4_T5_T6_T7_T9_mT8_P12ihipStream_tbDpT10_ENKUlT_T0_E_clISt17integral_constantIbLb0EES18_EEDaS13_S14_EUlS13_E_NS1_11comp_targetILNS1_3genE2ELNS1_11target_archE906ELNS1_3gpuE6ELNS1_3repE0EEENS1_30default_config_static_selectorELNS0_4arch9wavefront6targetE0EEEvT1_: ; @_ZN7rocprim17ROCPRIM_400000_NS6detail17trampoline_kernelINS0_14default_configENS1_25partition_config_selectorILNS1_17partition_subalgoE6EiNS0_10empty_typeEbEEZZNS1_14partition_implILS5_6ELb0ES3_mN6thrust23THRUST_200600_302600_NS6detail15normal_iteratorINSA_10device_ptrIiEEEEPS6_SG_NS0_5tupleIJSF_S6_EEENSH_IJSG_SG_EEES6_PlJNSB_9not_fun_tINSB_14equal_to_valueIiEEEEEEE10hipError_tPvRmT3_T4_T5_T6_T7_T9_mT8_P12ihipStream_tbDpT10_ENKUlT_T0_E_clISt17integral_constantIbLb0EES18_EEDaS13_S14_EUlS13_E_NS1_11comp_targetILNS1_3genE2ELNS1_11target_archE906ELNS1_3gpuE6ELNS1_3repE0EEENS1_30default_config_static_selectorELNS0_4arch9wavefront6targetE0EEEvT1_
; %bb.0:
	.section	.rodata,"a",@progbits
	.p2align	6, 0x0
	.amdhsa_kernel _ZN7rocprim17ROCPRIM_400000_NS6detail17trampoline_kernelINS0_14default_configENS1_25partition_config_selectorILNS1_17partition_subalgoE6EiNS0_10empty_typeEbEEZZNS1_14partition_implILS5_6ELb0ES3_mN6thrust23THRUST_200600_302600_NS6detail15normal_iteratorINSA_10device_ptrIiEEEEPS6_SG_NS0_5tupleIJSF_S6_EEENSH_IJSG_SG_EEES6_PlJNSB_9not_fun_tINSB_14equal_to_valueIiEEEEEEE10hipError_tPvRmT3_T4_T5_T6_T7_T9_mT8_P12ihipStream_tbDpT10_ENKUlT_T0_E_clISt17integral_constantIbLb0EES18_EEDaS13_S14_EUlS13_E_NS1_11comp_targetILNS1_3genE2ELNS1_11target_archE906ELNS1_3gpuE6ELNS1_3repE0EEENS1_30default_config_static_selectorELNS0_4arch9wavefront6targetE0EEEvT1_
		.amdhsa_group_segment_fixed_size 0
		.amdhsa_private_segment_fixed_size 0
		.amdhsa_kernarg_size 120
		.amdhsa_user_sgpr_count 2
		.amdhsa_user_sgpr_dispatch_ptr 0
		.amdhsa_user_sgpr_queue_ptr 0
		.amdhsa_user_sgpr_kernarg_segment_ptr 1
		.amdhsa_user_sgpr_dispatch_id 0
		.amdhsa_user_sgpr_private_segment_size 0
		.amdhsa_wavefront_size32 1
		.amdhsa_uses_dynamic_stack 0
		.amdhsa_enable_private_segment 0
		.amdhsa_system_sgpr_workgroup_id_x 1
		.amdhsa_system_sgpr_workgroup_id_y 0
		.amdhsa_system_sgpr_workgroup_id_z 0
		.amdhsa_system_sgpr_workgroup_info 0
		.amdhsa_system_vgpr_workitem_id 0
		.amdhsa_next_free_vgpr 1
		.amdhsa_next_free_sgpr 1
		.amdhsa_reserve_vcc 0
		.amdhsa_float_round_mode_32 0
		.amdhsa_float_round_mode_16_64 0
		.amdhsa_float_denorm_mode_32 3
		.amdhsa_float_denorm_mode_16_64 3
		.amdhsa_fp16_overflow 0
		.amdhsa_workgroup_processor_mode 1
		.amdhsa_memory_ordered 1
		.amdhsa_forward_progress 1
		.amdhsa_inst_pref_size 0
		.amdhsa_round_robin_scheduling 0
		.amdhsa_exception_fp_ieee_invalid_op 0
		.amdhsa_exception_fp_denorm_src 0
		.amdhsa_exception_fp_ieee_div_zero 0
		.amdhsa_exception_fp_ieee_overflow 0
		.amdhsa_exception_fp_ieee_underflow 0
		.amdhsa_exception_fp_ieee_inexact 0
		.amdhsa_exception_int_div_zero 0
	.end_amdhsa_kernel
	.section	.text._ZN7rocprim17ROCPRIM_400000_NS6detail17trampoline_kernelINS0_14default_configENS1_25partition_config_selectorILNS1_17partition_subalgoE6EiNS0_10empty_typeEbEEZZNS1_14partition_implILS5_6ELb0ES3_mN6thrust23THRUST_200600_302600_NS6detail15normal_iteratorINSA_10device_ptrIiEEEEPS6_SG_NS0_5tupleIJSF_S6_EEENSH_IJSG_SG_EEES6_PlJNSB_9not_fun_tINSB_14equal_to_valueIiEEEEEEE10hipError_tPvRmT3_T4_T5_T6_T7_T9_mT8_P12ihipStream_tbDpT10_ENKUlT_T0_E_clISt17integral_constantIbLb0EES18_EEDaS13_S14_EUlS13_E_NS1_11comp_targetILNS1_3genE2ELNS1_11target_archE906ELNS1_3gpuE6ELNS1_3repE0EEENS1_30default_config_static_selectorELNS0_4arch9wavefront6targetE0EEEvT1_,"axG",@progbits,_ZN7rocprim17ROCPRIM_400000_NS6detail17trampoline_kernelINS0_14default_configENS1_25partition_config_selectorILNS1_17partition_subalgoE6EiNS0_10empty_typeEbEEZZNS1_14partition_implILS5_6ELb0ES3_mN6thrust23THRUST_200600_302600_NS6detail15normal_iteratorINSA_10device_ptrIiEEEEPS6_SG_NS0_5tupleIJSF_S6_EEENSH_IJSG_SG_EEES6_PlJNSB_9not_fun_tINSB_14equal_to_valueIiEEEEEEE10hipError_tPvRmT3_T4_T5_T6_T7_T9_mT8_P12ihipStream_tbDpT10_ENKUlT_T0_E_clISt17integral_constantIbLb0EES18_EEDaS13_S14_EUlS13_E_NS1_11comp_targetILNS1_3genE2ELNS1_11target_archE906ELNS1_3gpuE6ELNS1_3repE0EEENS1_30default_config_static_selectorELNS0_4arch9wavefront6targetE0EEEvT1_,comdat
.Lfunc_end473:
	.size	_ZN7rocprim17ROCPRIM_400000_NS6detail17trampoline_kernelINS0_14default_configENS1_25partition_config_selectorILNS1_17partition_subalgoE6EiNS0_10empty_typeEbEEZZNS1_14partition_implILS5_6ELb0ES3_mN6thrust23THRUST_200600_302600_NS6detail15normal_iteratorINSA_10device_ptrIiEEEEPS6_SG_NS0_5tupleIJSF_S6_EEENSH_IJSG_SG_EEES6_PlJNSB_9not_fun_tINSB_14equal_to_valueIiEEEEEEE10hipError_tPvRmT3_T4_T5_T6_T7_T9_mT8_P12ihipStream_tbDpT10_ENKUlT_T0_E_clISt17integral_constantIbLb0EES18_EEDaS13_S14_EUlS13_E_NS1_11comp_targetILNS1_3genE2ELNS1_11target_archE906ELNS1_3gpuE6ELNS1_3repE0EEENS1_30default_config_static_selectorELNS0_4arch9wavefront6targetE0EEEvT1_, .Lfunc_end473-_ZN7rocprim17ROCPRIM_400000_NS6detail17trampoline_kernelINS0_14default_configENS1_25partition_config_selectorILNS1_17partition_subalgoE6EiNS0_10empty_typeEbEEZZNS1_14partition_implILS5_6ELb0ES3_mN6thrust23THRUST_200600_302600_NS6detail15normal_iteratorINSA_10device_ptrIiEEEEPS6_SG_NS0_5tupleIJSF_S6_EEENSH_IJSG_SG_EEES6_PlJNSB_9not_fun_tINSB_14equal_to_valueIiEEEEEEE10hipError_tPvRmT3_T4_T5_T6_T7_T9_mT8_P12ihipStream_tbDpT10_ENKUlT_T0_E_clISt17integral_constantIbLb0EES18_EEDaS13_S14_EUlS13_E_NS1_11comp_targetILNS1_3genE2ELNS1_11target_archE906ELNS1_3gpuE6ELNS1_3repE0EEENS1_30default_config_static_selectorELNS0_4arch9wavefront6targetE0EEEvT1_
                                        ; -- End function
	.set _ZN7rocprim17ROCPRIM_400000_NS6detail17trampoline_kernelINS0_14default_configENS1_25partition_config_selectorILNS1_17partition_subalgoE6EiNS0_10empty_typeEbEEZZNS1_14partition_implILS5_6ELb0ES3_mN6thrust23THRUST_200600_302600_NS6detail15normal_iteratorINSA_10device_ptrIiEEEEPS6_SG_NS0_5tupleIJSF_S6_EEENSH_IJSG_SG_EEES6_PlJNSB_9not_fun_tINSB_14equal_to_valueIiEEEEEEE10hipError_tPvRmT3_T4_T5_T6_T7_T9_mT8_P12ihipStream_tbDpT10_ENKUlT_T0_E_clISt17integral_constantIbLb0EES18_EEDaS13_S14_EUlS13_E_NS1_11comp_targetILNS1_3genE2ELNS1_11target_archE906ELNS1_3gpuE6ELNS1_3repE0EEENS1_30default_config_static_selectorELNS0_4arch9wavefront6targetE0EEEvT1_.num_vgpr, 0
	.set _ZN7rocprim17ROCPRIM_400000_NS6detail17trampoline_kernelINS0_14default_configENS1_25partition_config_selectorILNS1_17partition_subalgoE6EiNS0_10empty_typeEbEEZZNS1_14partition_implILS5_6ELb0ES3_mN6thrust23THRUST_200600_302600_NS6detail15normal_iteratorINSA_10device_ptrIiEEEEPS6_SG_NS0_5tupleIJSF_S6_EEENSH_IJSG_SG_EEES6_PlJNSB_9not_fun_tINSB_14equal_to_valueIiEEEEEEE10hipError_tPvRmT3_T4_T5_T6_T7_T9_mT8_P12ihipStream_tbDpT10_ENKUlT_T0_E_clISt17integral_constantIbLb0EES18_EEDaS13_S14_EUlS13_E_NS1_11comp_targetILNS1_3genE2ELNS1_11target_archE906ELNS1_3gpuE6ELNS1_3repE0EEENS1_30default_config_static_selectorELNS0_4arch9wavefront6targetE0EEEvT1_.num_agpr, 0
	.set _ZN7rocprim17ROCPRIM_400000_NS6detail17trampoline_kernelINS0_14default_configENS1_25partition_config_selectorILNS1_17partition_subalgoE6EiNS0_10empty_typeEbEEZZNS1_14partition_implILS5_6ELb0ES3_mN6thrust23THRUST_200600_302600_NS6detail15normal_iteratorINSA_10device_ptrIiEEEEPS6_SG_NS0_5tupleIJSF_S6_EEENSH_IJSG_SG_EEES6_PlJNSB_9not_fun_tINSB_14equal_to_valueIiEEEEEEE10hipError_tPvRmT3_T4_T5_T6_T7_T9_mT8_P12ihipStream_tbDpT10_ENKUlT_T0_E_clISt17integral_constantIbLb0EES18_EEDaS13_S14_EUlS13_E_NS1_11comp_targetILNS1_3genE2ELNS1_11target_archE906ELNS1_3gpuE6ELNS1_3repE0EEENS1_30default_config_static_selectorELNS0_4arch9wavefront6targetE0EEEvT1_.numbered_sgpr, 0
	.set _ZN7rocprim17ROCPRIM_400000_NS6detail17trampoline_kernelINS0_14default_configENS1_25partition_config_selectorILNS1_17partition_subalgoE6EiNS0_10empty_typeEbEEZZNS1_14partition_implILS5_6ELb0ES3_mN6thrust23THRUST_200600_302600_NS6detail15normal_iteratorINSA_10device_ptrIiEEEEPS6_SG_NS0_5tupleIJSF_S6_EEENSH_IJSG_SG_EEES6_PlJNSB_9not_fun_tINSB_14equal_to_valueIiEEEEEEE10hipError_tPvRmT3_T4_T5_T6_T7_T9_mT8_P12ihipStream_tbDpT10_ENKUlT_T0_E_clISt17integral_constantIbLb0EES18_EEDaS13_S14_EUlS13_E_NS1_11comp_targetILNS1_3genE2ELNS1_11target_archE906ELNS1_3gpuE6ELNS1_3repE0EEENS1_30default_config_static_selectorELNS0_4arch9wavefront6targetE0EEEvT1_.num_named_barrier, 0
	.set _ZN7rocprim17ROCPRIM_400000_NS6detail17trampoline_kernelINS0_14default_configENS1_25partition_config_selectorILNS1_17partition_subalgoE6EiNS0_10empty_typeEbEEZZNS1_14partition_implILS5_6ELb0ES3_mN6thrust23THRUST_200600_302600_NS6detail15normal_iteratorINSA_10device_ptrIiEEEEPS6_SG_NS0_5tupleIJSF_S6_EEENSH_IJSG_SG_EEES6_PlJNSB_9not_fun_tINSB_14equal_to_valueIiEEEEEEE10hipError_tPvRmT3_T4_T5_T6_T7_T9_mT8_P12ihipStream_tbDpT10_ENKUlT_T0_E_clISt17integral_constantIbLb0EES18_EEDaS13_S14_EUlS13_E_NS1_11comp_targetILNS1_3genE2ELNS1_11target_archE906ELNS1_3gpuE6ELNS1_3repE0EEENS1_30default_config_static_selectorELNS0_4arch9wavefront6targetE0EEEvT1_.private_seg_size, 0
	.set _ZN7rocprim17ROCPRIM_400000_NS6detail17trampoline_kernelINS0_14default_configENS1_25partition_config_selectorILNS1_17partition_subalgoE6EiNS0_10empty_typeEbEEZZNS1_14partition_implILS5_6ELb0ES3_mN6thrust23THRUST_200600_302600_NS6detail15normal_iteratorINSA_10device_ptrIiEEEEPS6_SG_NS0_5tupleIJSF_S6_EEENSH_IJSG_SG_EEES6_PlJNSB_9not_fun_tINSB_14equal_to_valueIiEEEEEEE10hipError_tPvRmT3_T4_T5_T6_T7_T9_mT8_P12ihipStream_tbDpT10_ENKUlT_T0_E_clISt17integral_constantIbLb0EES18_EEDaS13_S14_EUlS13_E_NS1_11comp_targetILNS1_3genE2ELNS1_11target_archE906ELNS1_3gpuE6ELNS1_3repE0EEENS1_30default_config_static_selectorELNS0_4arch9wavefront6targetE0EEEvT1_.uses_vcc, 0
	.set _ZN7rocprim17ROCPRIM_400000_NS6detail17trampoline_kernelINS0_14default_configENS1_25partition_config_selectorILNS1_17partition_subalgoE6EiNS0_10empty_typeEbEEZZNS1_14partition_implILS5_6ELb0ES3_mN6thrust23THRUST_200600_302600_NS6detail15normal_iteratorINSA_10device_ptrIiEEEEPS6_SG_NS0_5tupleIJSF_S6_EEENSH_IJSG_SG_EEES6_PlJNSB_9not_fun_tINSB_14equal_to_valueIiEEEEEEE10hipError_tPvRmT3_T4_T5_T6_T7_T9_mT8_P12ihipStream_tbDpT10_ENKUlT_T0_E_clISt17integral_constantIbLb0EES18_EEDaS13_S14_EUlS13_E_NS1_11comp_targetILNS1_3genE2ELNS1_11target_archE906ELNS1_3gpuE6ELNS1_3repE0EEENS1_30default_config_static_selectorELNS0_4arch9wavefront6targetE0EEEvT1_.uses_flat_scratch, 0
	.set _ZN7rocprim17ROCPRIM_400000_NS6detail17trampoline_kernelINS0_14default_configENS1_25partition_config_selectorILNS1_17partition_subalgoE6EiNS0_10empty_typeEbEEZZNS1_14partition_implILS5_6ELb0ES3_mN6thrust23THRUST_200600_302600_NS6detail15normal_iteratorINSA_10device_ptrIiEEEEPS6_SG_NS0_5tupleIJSF_S6_EEENSH_IJSG_SG_EEES6_PlJNSB_9not_fun_tINSB_14equal_to_valueIiEEEEEEE10hipError_tPvRmT3_T4_T5_T6_T7_T9_mT8_P12ihipStream_tbDpT10_ENKUlT_T0_E_clISt17integral_constantIbLb0EES18_EEDaS13_S14_EUlS13_E_NS1_11comp_targetILNS1_3genE2ELNS1_11target_archE906ELNS1_3gpuE6ELNS1_3repE0EEENS1_30default_config_static_selectorELNS0_4arch9wavefront6targetE0EEEvT1_.has_dyn_sized_stack, 0
	.set _ZN7rocprim17ROCPRIM_400000_NS6detail17trampoline_kernelINS0_14default_configENS1_25partition_config_selectorILNS1_17partition_subalgoE6EiNS0_10empty_typeEbEEZZNS1_14partition_implILS5_6ELb0ES3_mN6thrust23THRUST_200600_302600_NS6detail15normal_iteratorINSA_10device_ptrIiEEEEPS6_SG_NS0_5tupleIJSF_S6_EEENSH_IJSG_SG_EEES6_PlJNSB_9not_fun_tINSB_14equal_to_valueIiEEEEEEE10hipError_tPvRmT3_T4_T5_T6_T7_T9_mT8_P12ihipStream_tbDpT10_ENKUlT_T0_E_clISt17integral_constantIbLb0EES18_EEDaS13_S14_EUlS13_E_NS1_11comp_targetILNS1_3genE2ELNS1_11target_archE906ELNS1_3gpuE6ELNS1_3repE0EEENS1_30default_config_static_selectorELNS0_4arch9wavefront6targetE0EEEvT1_.has_recursion, 0
	.set _ZN7rocprim17ROCPRIM_400000_NS6detail17trampoline_kernelINS0_14default_configENS1_25partition_config_selectorILNS1_17partition_subalgoE6EiNS0_10empty_typeEbEEZZNS1_14partition_implILS5_6ELb0ES3_mN6thrust23THRUST_200600_302600_NS6detail15normal_iteratorINSA_10device_ptrIiEEEEPS6_SG_NS0_5tupleIJSF_S6_EEENSH_IJSG_SG_EEES6_PlJNSB_9not_fun_tINSB_14equal_to_valueIiEEEEEEE10hipError_tPvRmT3_T4_T5_T6_T7_T9_mT8_P12ihipStream_tbDpT10_ENKUlT_T0_E_clISt17integral_constantIbLb0EES18_EEDaS13_S14_EUlS13_E_NS1_11comp_targetILNS1_3genE2ELNS1_11target_archE906ELNS1_3gpuE6ELNS1_3repE0EEENS1_30default_config_static_selectorELNS0_4arch9wavefront6targetE0EEEvT1_.has_indirect_call, 0
	.section	.AMDGPU.csdata,"",@progbits
; Kernel info:
; codeLenInByte = 0
; TotalNumSgprs: 0
; NumVgprs: 0
; ScratchSize: 0
; MemoryBound: 0
; FloatMode: 240
; IeeeMode: 1
; LDSByteSize: 0 bytes/workgroup (compile time only)
; SGPRBlocks: 0
; VGPRBlocks: 0
; NumSGPRsForWavesPerEU: 1
; NumVGPRsForWavesPerEU: 1
; Occupancy: 16
; WaveLimiterHint : 0
; COMPUTE_PGM_RSRC2:SCRATCH_EN: 0
; COMPUTE_PGM_RSRC2:USER_SGPR: 2
; COMPUTE_PGM_RSRC2:TRAP_HANDLER: 0
; COMPUTE_PGM_RSRC2:TGID_X_EN: 1
; COMPUTE_PGM_RSRC2:TGID_Y_EN: 0
; COMPUTE_PGM_RSRC2:TGID_Z_EN: 0
; COMPUTE_PGM_RSRC2:TIDIG_COMP_CNT: 0
	.section	.text._ZN7rocprim17ROCPRIM_400000_NS6detail17trampoline_kernelINS0_14default_configENS1_25partition_config_selectorILNS1_17partition_subalgoE6EiNS0_10empty_typeEbEEZZNS1_14partition_implILS5_6ELb0ES3_mN6thrust23THRUST_200600_302600_NS6detail15normal_iteratorINSA_10device_ptrIiEEEEPS6_SG_NS0_5tupleIJSF_S6_EEENSH_IJSG_SG_EEES6_PlJNSB_9not_fun_tINSB_14equal_to_valueIiEEEEEEE10hipError_tPvRmT3_T4_T5_T6_T7_T9_mT8_P12ihipStream_tbDpT10_ENKUlT_T0_E_clISt17integral_constantIbLb0EES18_EEDaS13_S14_EUlS13_E_NS1_11comp_targetILNS1_3genE10ELNS1_11target_archE1200ELNS1_3gpuE4ELNS1_3repE0EEENS1_30default_config_static_selectorELNS0_4arch9wavefront6targetE0EEEvT1_,"axG",@progbits,_ZN7rocprim17ROCPRIM_400000_NS6detail17trampoline_kernelINS0_14default_configENS1_25partition_config_selectorILNS1_17partition_subalgoE6EiNS0_10empty_typeEbEEZZNS1_14partition_implILS5_6ELb0ES3_mN6thrust23THRUST_200600_302600_NS6detail15normal_iteratorINSA_10device_ptrIiEEEEPS6_SG_NS0_5tupleIJSF_S6_EEENSH_IJSG_SG_EEES6_PlJNSB_9not_fun_tINSB_14equal_to_valueIiEEEEEEE10hipError_tPvRmT3_T4_T5_T6_T7_T9_mT8_P12ihipStream_tbDpT10_ENKUlT_T0_E_clISt17integral_constantIbLb0EES18_EEDaS13_S14_EUlS13_E_NS1_11comp_targetILNS1_3genE10ELNS1_11target_archE1200ELNS1_3gpuE4ELNS1_3repE0EEENS1_30default_config_static_selectorELNS0_4arch9wavefront6targetE0EEEvT1_,comdat
	.protected	_ZN7rocprim17ROCPRIM_400000_NS6detail17trampoline_kernelINS0_14default_configENS1_25partition_config_selectorILNS1_17partition_subalgoE6EiNS0_10empty_typeEbEEZZNS1_14partition_implILS5_6ELb0ES3_mN6thrust23THRUST_200600_302600_NS6detail15normal_iteratorINSA_10device_ptrIiEEEEPS6_SG_NS0_5tupleIJSF_S6_EEENSH_IJSG_SG_EEES6_PlJNSB_9not_fun_tINSB_14equal_to_valueIiEEEEEEE10hipError_tPvRmT3_T4_T5_T6_T7_T9_mT8_P12ihipStream_tbDpT10_ENKUlT_T0_E_clISt17integral_constantIbLb0EES18_EEDaS13_S14_EUlS13_E_NS1_11comp_targetILNS1_3genE10ELNS1_11target_archE1200ELNS1_3gpuE4ELNS1_3repE0EEENS1_30default_config_static_selectorELNS0_4arch9wavefront6targetE0EEEvT1_ ; -- Begin function _ZN7rocprim17ROCPRIM_400000_NS6detail17trampoline_kernelINS0_14default_configENS1_25partition_config_selectorILNS1_17partition_subalgoE6EiNS0_10empty_typeEbEEZZNS1_14partition_implILS5_6ELb0ES3_mN6thrust23THRUST_200600_302600_NS6detail15normal_iteratorINSA_10device_ptrIiEEEEPS6_SG_NS0_5tupleIJSF_S6_EEENSH_IJSG_SG_EEES6_PlJNSB_9not_fun_tINSB_14equal_to_valueIiEEEEEEE10hipError_tPvRmT3_T4_T5_T6_T7_T9_mT8_P12ihipStream_tbDpT10_ENKUlT_T0_E_clISt17integral_constantIbLb0EES18_EEDaS13_S14_EUlS13_E_NS1_11comp_targetILNS1_3genE10ELNS1_11target_archE1200ELNS1_3gpuE4ELNS1_3repE0EEENS1_30default_config_static_selectorELNS0_4arch9wavefront6targetE0EEEvT1_
	.globl	_ZN7rocprim17ROCPRIM_400000_NS6detail17trampoline_kernelINS0_14default_configENS1_25partition_config_selectorILNS1_17partition_subalgoE6EiNS0_10empty_typeEbEEZZNS1_14partition_implILS5_6ELb0ES3_mN6thrust23THRUST_200600_302600_NS6detail15normal_iteratorINSA_10device_ptrIiEEEEPS6_SG_NS0_5tupleIJSF_S6_EEENSH_IJSG_SG_EEES6_PlJNSB_9not_fun_tINSB_14equal_to_valueIiEEEEEEE10hipError_tPvRmT3_T4_T5_T6_T7_T9_mT8_P12ihipStream_tbDpT10_ENKUlT_T0_E_clISt17integral_constantIbLb0EES18_EEDaS13_S14_EUlS13_E_NS1_11comp_targetILNS1_3genE10ELNS1_11target_archE1200ELNS1_3gpuE4ELNS1_3repE0EEENS1_30default_config_static_selectorELNS0_4arch9wavefront6targetE0EEEvT1_
	.p2align	8
	.type	_ZN7rocprim17ROCPRIM_400000_NS6detail17trampoline_kernelINS0_14default_configENS1_25partition_config_selectorILNS1_17partition_subalgoE6EiNS0_10empty_typeEbEEZZNS1_14partition_implILS5_6ELb0ES3_mN6thrust23THRUST_200600_302600_NS6detail15normal_iteratorINSA_10device_ptrIiEEEEPS6_SG_NS0_5tupleIJSF_S6_EEENSH_IJSG_SG_EEES6_PlJNSB_9not_fun_tINSB_14equal_to_valueIiEEEEEEE10hipError_tPvRmT3_T4_T5_T6_T7_T9_mT8_P12ihipStream_tbDpT10_ENKUlT_T0_E_clISt17integral_constantIbLb0EES18_EEDaS13_S14_EUlS13_E_NS1_11comp_targetILNS1_3genE10ELNS1_11target_archE1200ELNS1_3gpuE4ELNS1_3repE0EEENS1_30default_config_static_selectorELNS0_4arch9wavefront6targetE0EEEvT1_,@function
_ZN7rocprim17ROCPRIM_400000_NS6detail17trampoline_kernelINS0_14default_configENS1_25partition_config_selectorILNS1_17partition_subalgoE6EiNS0_10empty_typeEbEEZZNS1_14partition_implILS5_6ELb0ES3_mN6thrust23THRUST_200600_302600_NS6detail15normal_iteratorINSA_10device_ptrIiEEEEPS6_SG_NS0_5tupleIJSF_S6_EEENSH_IJSG_SG_EEES6_PlJNSB_9not_fun_tINSB_14equal_to_valueIiEEEEEEE10hipError_tPvRmT3_T4_T5_T6_T7_T9_mT8_P12ihipStream_tbDpT10_ENKUlT_T0_E_clISt17integral_constantIbLb0EES18_EEDaS13_S14_EUlS13_E_NS1_11comp_targetILNS1_3genE10ELNS1_11target_archE1200ELNS1_3gpuE4ELNS1_3repE0EEENS1_30default_config_static_selectorELNS0_4arch9wavefront6targetE0EEEvT1_: ; @_ZN7rocprim17ROCPRIM_400000_NS6detail17trampoline_kernelINS0_14default_configENS1_25partition_config_selectorILNS1_17partition_subalgoE6EiNS0_10empty_typeEbEEZZNS1_14partition_implILS5_6ELb0ES3_mN6thrust23THRUST_200600_302600_NS6detail15normal_iteratorINSA_10device_ptrIiEEEEPS6_SG_NS0_5tupleIJSF_S6_EEENSH_IJSG_SG_EEES6_PlJNSB_9not_fun_tINSB_14equal_to_valueIiEEEEEEE10hipError_tPvRmT3_T4_T5_T6_T7_T9_mT8_P12ihipStream_tbDpT10_ENKUlT_T0_E_clISt17integral_constantIbLb0EES18_EEDaS13_S14_EUlS13_E_NS1_11comp_targetILNS1_3genE10ELNS1_11target_archE1200ELNS1_3gpuE4ELNS1_3repE0EEENS1_30default_config_static_selectorELNS0_4arch9wavefront6targetE0EEEvT1_
; %bb.0:
	s_clause 0x3
	s_load_b128 s[4:7], s[0:1], 0x8
	s_load_b128 s[8:11], s[0:1], 0x40
	s_load_b32 s12, s[0:1], 0x68
	s_load_b64 s[2:3], s[0:1], 0x50
	s_mov_b32 s13, 0
	v_lshlrev_b32_e32 v8, 2, v0
	s_wait_kmcnt 0x0
	s_lshl_b64 s[14:15], s[6:7], 2
	s_load_b64 s[10:11], s[10:11], 0x0
	s_add_co_i32 s17, s12, -1
	s_mulk_i32 s12, 0xa80
	s_add_nc_u64 s[14:15], s[4:5], s[14:15]
	s_add_nc_u64 s[4:5], s[6:7], s[12:13]
	s_add_co_i32 s6, s12, s6
	v_cmp_le_u64_e64 s3, s[2:3], s[4:5]
	s_sub_co_i32 s16, s2, s6
	s_cmp_eq_u32 ttmp9, s17
	s_mul_i32 s2, ttmp9, 0xa80
	s_cselect_b32 s12, -1, 0
	s_mov_b32 s4, -1
	s_and_b32 s5, s12, s3
	s_mov_b32 s3, s13
	s_wait_alu 0xfffe
	s_xor_b32 s13, s5, -1
	s_lshl_b64 s[2:3], s[2:3], 2
	s_and_b32 vcc_lo, exec_lo, s13
	s_wait_alu 0xfffe
	s_add_nc_u64 s[2:3], s[14:15], s[2:3]
	s_cbranch_vccz .LBB474_2
; %bb.1:
	s_wait_alu 0xfffe
	v_add_co_u32 v1, s4, s2, v8
	s_wait_alu 0xf1ff
	v_add_co_ci_u32_e64 v2, null, s3, 0, s4
	s_mov_b32 s4, 0
	s_clause 0x6
	flat_load_b32 v3, v[1:2]
	flat_load_b32 v4, v[1:2] offset:1536
	flat_load_b32 v5, v[1:2] offset:3072
	;; [unrolled: 1-line block ×6, first 2 shown]
	s_wait_loadcnt_dscnt 0x505
	ds_store_2addr_stride64_b32 v8, v3, v4 offset1:6
	s_wait_loadcnt_dscnt 0x304
	ds_store_2addr_stride64_b32 v8, v5, v6 offset0:12 offset1:18
	s_wait_loadcnt_dscnt 0x103
	ds_store_2addr_stride64_b32 v8, v7, v9 offset0:24 offset1:30
	s_wait_loadcnt_dscnt 0x3
	ds_store_b32 v8, v1 offset:9216
	s_wait_dscnt 0x0
	s_barrier_signal -1
	s_barrier_wait -1
.LBB474_2:
	s_load_b32 s15, s[0:1], 0x70
	s_and_not1_b32 vcc_lo, exec_lo, s4
	s_addk_co_i32 s16, 0xa80
	s_cbranch_vccnz .LBB474_18
; %bb.3:
	v_mov_b32_e32 v1, 0
	s_mov_b32 s4, exec_lo
	s_delay_alu instid0(VALU_DEP_1)
	v_dual_mov_b32 v2, v1 :: v_dual_mov_b32 v3, v1
	v_dual_mov_b32 v4, v1 :: v_dual_mov_b32 v5, v1
	;; [unrolled: 1-line block ×3, first 2 shown]
	v_cmpx_gt_u32_e64 s16, v0
	s_cbranch_execz .LBB474_5
; %bb.4:
	v_add_co_u32 v2, s5, s2, v8
	s_wait_alu 0xf1ff
	v_add_co_ci_u32_e64 v3, null, s3, 0, s5
	v_dual_mov_b32 v10, v1 :: v_dual_mov_b32 v11, v1
	v_dual_mov_b32 v12, v1 :: v_dual_mov_b32 v13, v1
	flat_load_b32 v9, v[2:3]
	v_dual_mov_b32 v14, v1 :: v_dual_mov_b32 v15, v1
	s_wait_loadcnt_dscnt 0x0
	v_dual_mov_b32 v1, v9 :: v_dual_mov_b32 v2, v10
	v_dual_mov_b32 v3, v11 :: v_dual_mov_b32 v4, v12
	s_delay_alu instid0(VALU_DEP_3)
	v_dual_mov_b32 v5, v13 :: v_dual_mov_b32 v6, v14
	v_mov_b32_e32 v7, v15
.LBB474_5:
	s_wait_alu 0xfffe
	s_or_b32 exec_lo, exec_lo, s4
	v_add_nc_u32_e32 v9, 0x180, v0
	s_mov_b32 s4, exec_lo
	s_delay_alu instid0(VALU_DEP_1)
	v_cmpx_gt_u32_e64 s16, v9
	s_cbranch_execz .LBB474_7
; %bb.6:
	v_add_co_u32 v9, s5, s2, v8
	s_wait_alu 0xf1ff
	v_add_co_ci_u32_e64 v10, null, s3, 0, s5
	flat_load_b32 v2, v[9:10] offset:1536
.LBB474_7:
	s_wait_alu 0xfffe
	s_or_b32 exec_lo, exec_lo, s4
	v_add_nc_u32_e32 v9, 0x300, v0
	s_mov_b32 s4, exec_lo
	s_delay_alu instid0(VALU_DEP_1)
	v_cmpx_gt_u32_e64 s16, v9
	s_cbranch_execz .LBB474_9
; %bb.8:
	v_add_co_u32 v9, s5, s2, v8
	s_wait_alu 0xf1ff
	v_add_co_ci_u32_e64 v10, null, s3, 0, s5
	flat_load_b32 v3, v[9:10] offset:3072
.LBB474_9:
	;; [unrolled: 13-line block ×3, first 2 shown]
	s_wait_alu 0xfffe
	s_or_b32 exec_lo, exec_lo, s4
	v_or_b32_e32 v9, 0x600, v0
	s_mov_b32 s4, exec_lo
	s_delay_alu instid0(VALU_DEP_1)
	v_cmpx_gt_u32_e64 s16, v9
	s_cbranch_execz .LBB474_13
; %bb.12:
	v_add_co_u32 v9, s5, s2, v8
	s_wait_alu 0xf1ff
	v_add_co_ci_u32_e64 v10, null, s3, 0, s5
	flat_load_b32 v5, v[9:10] offset:6144
.LBB474_13:
	s_wait_alu 0xfffe
	s_or_b32 exec_lo, exec_lo, s4
	v_add_nc_u32_e32 v9, 0x780, v0
	s_mov_b32 s4, exec_lo
	s_delay_alu instid0(VALU_DEP_1)
	v_cmpx_gt_u32_e64 s16, v9
	s_cbranch_execz .LBB474_15
; %bb.14:
	v_add_co_u32 v9, s5, s2, v8
	s_wait_alu 0xf1ff
	v_add_co_ci_u32_e64 v10, null, s3, 0, s5
	flat_load_b32 v6, v[9:10] offset:7680
.LBB474_15:
	s_wait_alu 0xfffe
	s_or_b32 exec_lo, exec_lo, s4
	v_add_nc_u32_e32 v9, 0x900, v0
	s_mov_b32 s4, exec_lo
	s_delay_alu instid0(VALU_DEP_1)
	v_cmpx_gt_u32_e64 s16, v9
	s_cbranch_execz .LBB474_17
; %bb.16:
	v_add_co_u32 v9, s2, s2, v8
	s_wait_alu 0xf1ff
	v_add_co_ci_u32_e64 v10, null, s3, 0, s2
	flat_load_b32 v7, v[9:10] offset:9216
.LBB474_17:
	s_wait_alu 0xfffe
	s_or_b32 exec_lo, exec_lo, s4
	s_wait_loadcnt_dscnt 0x0
	ds_store_2addr_stride64_b32 v8, v1, v2 offset1:6
	ds_store_2addr_stride64_b32 v8, v3, v4 offset0:12 offset1:18
	ds_store_2addr_stride64_b32 v8, v5, v6 offset0:24 offset1:30
	ds_store_b32 v8, v7 offset:9216
	s_wait_dscnt 0x0
	s_barrier_signal -1
	s_barrier_wait -1
.LBB474_18:
	v_mul_u32_u24_e32 v1, 7, v0
	global_inv scope:SCOPE_SE
	s_and_not1_b32 vcc_lo, exec_lo, s13
	v_lshlrev_b32_e32 v34, 2, v1
	ds_load_2addr_b32 v[9:10], v34 offset0:4 offset1:5
	ds_load_b32 v29, v34 offset:24
	ds_load_2addr_b32 v[13:14], v34 offset1:1
	ds_load_2addr_b32 v[11:12], v34 offset0:2 offset1:3
	s_wait_loadcnt_dscnt 0x0
	s_barrier_signal -1
	s_barrier_wait -1
	global_inv scope:SCOPE_SE
	s_wait_kmcnt 0x0
	v_cmp_ne_u32_e64 s2, s15, v9
	v_cmp_ne_u32_e64 s14, s15, v29
	v_cmp_ne_u32_e64 s4, s15, v13
	v_cmp_ne_u32_e64 s6, s15, v14
	v_cmp_ne_u32_e64 s5, s15, v11
	v_cmp_ne_u32_e64 s7, s15, v12
	v_cmp_ne_u32_e64 s3, s15, v10
	s_cbranch_vccnz .LBB474_20
; %bb.19:
	v_cndmask_b32_e64 v2, 0, 1, s6
	v_cndmask_b32_e64 v3, 0, 1, s7
	s_wait_alu 0xf1ff
	v_cndmask_b32_e64 v4, 0, 1, s4
	v_cndmask_b32_e64 v5, 0, 1, s5
	;; [unrolled: 1-line block ×3, first 2 shown]
	v_lshlrev_b16 v2, 8, v2
	v_lshlrev_b16 v3, 8, v3
	v_cndmask_b32_e64 v30, 0, 1, s3
	s_delay_alu instid0(VALU_DEP_3) | instskip(NEXT) | instid1(VALU_DEP_3)
	v_or_b32_e32 v2, v4, v2
	v_or_b32_e32 v3, v5, v3
	s_delay_alu instid0(VALU_DEP_2) | instskip(NEXT) | instid1(VALU_DEP_2)
	v_and_b32_e32 v2, 0xffff, v2
	v_lshlrev_b32_e32 v3, 16, v3
	s_delay_alu instid0(VALU_DEP_1)
	v_or_b32_e32 v33, v2, v3
	s_cbranch_execz .LBB474_21
	s_branch .LBB474_22
.LBB474_20:
                                        ; implicit-def: $sgpr14
                                        ; implicit-def: $vgpr30
                                        ; implicit-def: $vgpr31
                                        ; implicit-def: $vgpr33
.LBB474_21:
	v_add_nc_u32_e32 v2, 1, v1
	v_cmp_ne_u32_e32 vcc_lo, s15, v14
	v_add_nc_u32_e32 v3, 3, v1
	v_cmp_ne_u32_e64 s2, s15, v13
	v_cmp_ne_u32_e64 s4, s15, v12
	v_cmp_gt_u32_e64 s3, s16, v2
	v_add_nc_u32_e32 v2, 2, v1
	v_cmp_gt_u32_e64 s6, s16, v3
	v_cmp_ne_u32_e64 s5, s15, v11
	v_add_nc_u32_e32 v5, 5, v1
	s_and_b32 s3, s3, vcc_lo
	v_cmp_gt_u32_e32 vcc_lo, s16, v1
	s_wait_alu 0xfffe
	v_cndmask_b32_e64 v3, 0, 1, s3
	v_cmp_gt_u32_e64 s3, s16, v2
	s_and_b32 s4, s6, s4
	s_and_b32 s2, vcc_lo, s2
	v_lshlrev_b16 v3, 8, v3
	s_wait_alu 0xfffe
	v_cndmask_b32_e64 v4, 0, 1, s2
	v_cndmask_b32_e64 v2, 0, 1, s4
	s_and_b32 s2, s3, s5
	v_cmp_ne_u32_e32 vcc_lo, s15, v10
	s_wait_alu 0xfffe
	v_cndmask_b32_e64 v6, 0, 1, s2
	v_cmp_gt_u32_e64 s2, s16, v5
	v_or_b32_e32 v3, v4, v3
	v_add_nc_u32_e32 v4, 4, v1
	v_lshlrev_b16 v2, 8, v2
	v_cmp_ne_u32_e64 s3, s15, v9
	s_and_b32 s2, s2, vcc_lo
	v_add_nc_u32_e32 v1, 6, v1
	v_cmp_gt_u32_e32 vcc_lo, s16, v4
	v_or_b32_e32 v2, v6, v2
	s_wait_alu 0xfffe
	v_cndmask_b32_e64 v30, 0, 1, s2
	v_and_b32_e32 v3, 0xffff, v3
	s_and_b32 s2, vcc_lo, s3
	v_cmp_gt_u32_e32 vcc_lo, s16, v1
	s_wait_alu 0xfffe
	v_cndmask_b32_e64 v5, 0, 1, s2
	v_cmp_ne_u32_e64 s2, s15, v29
	v_lshlrev_b32_e32 v2, 16, v2
	v_lshlrev_b16 v4, 8, v30
	s_and_not1_b32 s3, s14, exec_lo
	s_and_b32 s2, vcc_lo, s2
	s_delay_alu instid0(VALU_DEP_2) | instskip(NEXT) | instid1(VALU_DEP_2)
	v_or_b32_e32 v33, v3, v2
	v_or_b32_e32 v31, v5, v4
	s_wait_alu 0xfffe
	s_and_b32 s2, s2, exec_lo
	s_wait_alu 0xfffe
	s_or_b32 s14, s3, s2
.LBB474_22:
	s_delay_alu instid0(VALU_DEP_1)
	v_dual_mov_b32 v2, 0 :: v_dual_and_b32 v37, 0xff, v33
	v_bfe_u32 v36, v33, 8, 8
	s_wait_alu 0xfffe
	v_cndmask_b32_e64 v1, 0, 1, s14
	v_bfe_u32 v39, v33, 16, 8
	v_lshrrev_b32_e32 v32, 24, v33
	s_load_b64 s[6:7], s[0:1], 0x60
	v_and_b32_e32 v38, 0xff, v31
	v_add3_u32 v1, v37, v1, v36
	v_mbcnt_lo_u32_b32 v40, -1, 0
	v_and_b32_e32 v35, 0xff, v30
	s_cmp_lg_u32 ttmp9, 0
	s_mov_b32 s3, -1
	v_add_co_u32 v1, s2, v1, v39
	s_wait_alu 0xf1ff
	v_add_co_ci_u32_e64 v3, null, 0, 0, s2
	v_and_b32_e32 v41, 15, v40
	s_delay_alu instid0(VALU_DEP_3) | instskip(NEXT) | instid1(VALU_DEP_1)
	v_add_co_u32 v1, vcc_lo, v1, v32
	v_add_co_ci_u32_e64 v3, null, 0, v3, vcc_lo
	s_delay_alu instid0(VALU_DEP_3) | instskip(NEXT) | instid1(VALU_DEP_3)
	v_cmp_ne_u32_e64 s2, 0, v41
	v_add_co_u32 v1, vcc_lo, v1, v38
	s_wait_alu 0xfffd
	s_delay_alu instid0(VALU_DEP_3) | instskip(NEXT) | instid1(VALU_DEP_2)
	v_add_co_ci_u32_e64 v3, null, 0, v3, vcc_lo
	v_add_co_u32 v15, vcc_lo, v1, v35
	s_wait_alu 0xfffd
	s_delay_alu instid0(VALU_DEP_2)
	v_add_co_ci_u32_e64 v16, null, 0, v3, vcc_lo
	s_cbranch_scc0 .LBB474_81
; %bb.23:
	v_mov_b32_e32 v3, v15
	v_mov_b32_dpp v1, v15 row_shr:1 row_mask:0xf bank_mask:0xf
	v_mov_b32_dpp v6, v2 row_shr:1 row_mask:0xf bank_mask:0xf
	v_dual_mov_b32 v5, v15 :: v_dual_mov_b32 v4, v16
	s_and_saveexec_b32 s3, s2
; %bb.24:
	s_delay_alu instid0(VALU_DEP_3) | instskip(SKIP_2) | instid1(VALU_DEP_2)
	v_add_co_u32 v5, vcc_lo, v15, v1
	s_wait_alu 0xfffd
	v_add_co_ci_u32_e64 v2, null, 0, v16, vcc_lo
	v_add_co_u32 v1, vcc_lo, 0, v5
	s_wait_alu 0xfffd
	s_delay_alu instid0(VALU_DEP_2) | instskip(NEXT) | instid1(VALU_DEP_1)
	v_add_co_ci_u32_e64 v2, null, v6, v2, vcc_lo
	v_dual_mov_b32 v4, v2 :: v_dual_mov_b32 v3, v1
; %bb.25:
	s_wait_alu 0xfffe
	s_or_b32 exec_lo, exec_lo, s3
	v_mov_b32_dpp v1, v5 row_shr:2 row_mask:0xf bank_mask:0xf
	v_mov_b32_dpp v6, v2 row_shr:2 row_mask:0xf bank_mask:0xf
	v_cmp_lt_u32_e32 vcc_lo, 1, v41
	s_and_saveexec_b32 s4, vcc_lo
; %bb.26:
	s_delay_alu instid0(VALU_DEP_3) | instskip(SKIP_2) | instid1(VALU_DEP_2)
	v_add_co_u32 v5, s3, v3, v1
	s_wait_alu 0xf1ff
	v_add_co_ci_u32_e64 v2, null, 0, v4, s3
	v_add_co_u32 v1, s3, 0, v5
	s_wait_alu 0xf1ff
	s_delay_alu instid0(VALU_DEP_2) | instskip(NEXT) | instid1(VALU_DEP_1)
	v_add_co_ci_u32_e64 v2, null, v6, v2, s3
	v_dual_mov_b32 v4, v2 :: v_dual_mov_b32 v3, v1
; %bb.27:
	s_wait_alu 0xfffe
	s_or_b32 exec_lo, exec_lo, s4
	v_mov_b32_dpp v1, v5 row_shr:4 row_mask:0xf bank_mask:0xf
	v_mov_b32_dpp v6, v2 row_shr:4 row_mask:0xf bank_mask:0xf
	v_cmp_lt_u32_e64 s3, 3, v41
	s_and_saveexec_b32 s5, s3
; %bb.28:
	v_add_co_u32 v5, s4, v3, v1
	s_wait_alu 0xf1ff
	v_add_co_ci_u32_e64 v2, null, 0, v4, s4
	s_delay_alu instid0(VALU_DEP_2) | instskip(SKIP_1) | instid1(VALU_DEP_2)
	v_add_co_u32 v1, s4, 0, v5
	s_wait_alu 0xf1ff
	v_add_co_ci_u32_e64 v2, null, v6, v2, s4
	s_delay_alu instid0(VALU_DEP_1)
	v_dual_mov_b32 v4, v2 :: v_dual_mov_b32 v3, v1
; %bb.29:
	s_wait_alu 0xfffe
	s_or_b32 exec_lo, exec_lo, s5
	v_mov_b32_dpp v6, v5 row_shr:8 row_mask:0xf bank_mask:0xf
	v_mov_b32_dpp v1, v2 row_shr:8 row_mask:0xf bank_mask:0xf
	v_cmp_lt_u32_e64 s4, 7, v41
	s_and_saveexec_b32 s15, s4
; %bb.30:
	v_add_co_u32 v5, s5, v3, v6
	s_wait_alu 0xf1ff
	v_add_co_ci_u32_e64 v2, null, 0, v4, s5
	s_delay_alu instid0(VALU_DEP_2) | instskip(SKIP_1) | instid1(VALU_DEP_2)
	v_add_co_u32 v3, s5, 0, v5
	s_wait_alu 0xf1ff
	v_add_co_ci_u32_e64 v4, null, v1, v2, s5
	s_delay_alu instid0(VALU_DEP_1)
	v_mov_b32_e32 v2, v4
; %bb.31:
	s_wait_alu 0xfffe
	s_or_b32 exec_lo, exec_lo, s15
	ds_swizzle_b32 v1, v5 offset:swizzle(BROADCAST,32,15)
	ds_swizzle_b32 v6, v2 offset:swizzle(BROADCAST,32,15)
	v_and_b32_e32 v7, 16, v40
	s_mov_b32 s15, exec_lo
	s_delay_alu instid0(VALU_DEP_1)
	v_cmpx_ne_u32_e32 0, v7
	s_cbranch_execz .LBB474_33
; %bb.32:
	s_wait_dscnt 0x1
	v_add_co_u32 v5, s5, v3, v1
	s_wait_alu 0xf1ff
	v_add_co_ci_u32_e64 v2, null, 0, v4, s5
	s_delay_alu instid0(VALU_DEP_2) | instskip(SKIP_2) | instid1(VALU_DEP_2)
	v_add_co_u32 v1, s5, 0, v5
	s_wait_dscnt 0x0
	s_wait_alu 0xf1ff
	v_add_co_ci_u32_e64 v2, null, v6, v2, s5
	s_delay_alu instid0(VALU_DEP_1)
	v_dual_mov_b32 v4, v2 :: v_dual_mov_b32 v3, v1
.LBB474_33:
	s_wait_alu 0xfffe
	s_or_b32 exec_lo, exec_lo, s15
	s_wait_dscnt 0x1
	v_and_b32_e32 v1, 0x1e0, v0
	s_mov_b32 s15, exec_lo
	s_delay_alu instid0(VALU_DEP_1) | instskip(SKIP_1) | instid1(VALU_DEP_1)
	v_min_u32_e32 v1, 0x160, v1
	s_wait_dscnt 0x0
	v_or_b32_e32 v6, 31, v1
	v_lshrrev_b32_e32 v1, 5, v0
	s_delay_alu instid0(VALU_DEP_2)
	v_cmpx_eq_u32_e64 v0, v6
; %bb.34:
	s_delay_alu instid0(VALU_DEP_2)
	v_lshlrev_b32_e32 v6, 3, v1
	ds_store_b64 v6, v[3:4]
; %bb.35:
	s_wait_alu 0xfffe
	s_or_b32 exec_lo, exec_lo, s15
	s_delay_alu instid0(SALU_CYCLE_1)
	s_mov_b32 s15, exec_lo
	s_wait_loadcnt_dscnt 0x0
	s_barrier_signal -1
	s_barrier_wait -1
	global_inv scope:SCOPE_SE
	v_cmpx_gt_u32_e32 12, v0
	s_cbranch_execz .LBB474_45
; %bb.36:
	v_lshlrev_b32_e32 v6, 3, v0
	ds_load_b64 v[3:4], v6
	s_wait_dscnt 0x0
	v_mov_b32_dpp v17, v3 row_shr:1 row_mask:0xf bank_mask:0xf
	v_mov_b32_dpp v8, v4 row_shr:1 row_mask:0xf bank_mask:0xf
	v_mov_b32_e32 v7, v3
	s_and_saveexec_b32 s16, s2
; %bb.37:
	s_delay_alu instid0(VALU_DEP_3) | instskip(SKIP_2) | instid1(VALU_DEP_2)
	v_add_co_u32 v7, s5, v3, v17
	s_wait_alu 0xf1ff
	v_add_co_ci_u32_e64 v4, null, 0, v4, s5
	v_add_co_u32 v3, s5, 0, v7
	s_wait_alu 0xf1ff
	s_delay_alu instid0(VALU_DEP_2)
	v_add_co_ci_u32_e64 v4, null, v8, v4, s5
; %bb.38:
	s_wait_alu 0xfffe
	s_or_b32 exec_lo, exec_lo, s16
	v_mov_b32_dpp v17, v7 row_shr:2 row_mask:0xf bank_mask:0xf
	s_delay_alu instid0(VALU_DEP_2)
	v_mov_b32_dpp v8, v4 row_shr:2 row_mask:0xf bank_mask:0xf
	s_and_saveexec_b32 s5, vcc_lo
; %bb.39:
	s_delay_alu instid0(VALU_DEP_2) | instskip(SKIP_2) | instid1(VALU_DEP_2)
	v_add_co_u32 v7, vcc_lo, v3, v17
	s_wait_alu 0xfffd
	v_add_co_ci_u32_e64 v4, null, 0, v4, vcc_lo
	v_add_co_u32 v3, vcc_lo, 0, v7
	s_wait_alu 0xfffd
	s_delay_alu instid0(VALU_DEP_2)
	v_add_co_ci_u32_e64 v4, null, v8, v4, vcc_lo
; %bb.40:
	s_wait_alu 0xfffe
	s_or_b32 exec_lo, exec_lo, s5
	v_mov_b32_dpp v17, v7 row_shr:4 row_mask:0xf bank_mask:0xf
	s_delay_alu instid0(VALU_DEP_2)
	v_mov_b32_dpp v8, v4 row_shr:4 row_mask:0xf bank_mask:0xf
	s_and_saveexec_b32 s5, s3
; %bb.41:
	s_delay_alu instid0(VALU_DEP_2) | instskip(SKIP_2) | instid1(VALU_DEP_2)
	v_add_co_u32 v7, vcc_lo, v3, v17
	s_wait_alu 0xfffd
	v_add_co_ci_u32_e64 v4, null, 0, v4, vcc_lo
	v_add_co_u32 v3, vcc_lo, 0, v7
	s_wait_alu 0xfffd
	s_delay_alu instid0(VALU_DEP_2)
	v_add_co_ci_u32_e64 v4, null, v8, v4, vcc_lo
; %bb.42:
	s_wait_alu 0xfffe
	s_or_b32 exec_lo, exec_lo, s5
	v_mov_b32_dpp v8, v7 row_shr:8 row_mask:0xf bank_mask:0xf
	s_delay_alu instid0(VALU_DEP_2)
	v_mov_b32_dpp v7, v4 row_shr:8 row_mask:0xf bank_mask:0xf
	s_and_saveexec_b32 s3, s4
; %bb.43:
	s_delay_alu instid0(VALU_DEP_2) | instskip(SKIP_2) | instid1(VALU_DEP_2)
	v_add_co_u32 v3, vcc_lo, v3, v8
	s_wait_alu 0xfffd
	v_add_co_ci_u32_e64 v4, null, 0, v4, vcc_lo
	v_add_co_u32 v3, vcc_lo, v3, 0
	s_wait_alu 0xfffd
	s_delay_alu instid0(VALU_DEP_2)
	v_add_co_ci_u32_e64 v4, null, v4, v7, vcc_lo
; %bb.44:
	s_wait_alu 0xfffe
	s_or_b32 exec_lo, exec_lo, s3
	ds_store_b64 v6, v[3:4]
.LBB474_45:
	s_wait_alu 0xfffe
	s_or_b32 exec_lo, exec_lo, s15
	s_delay_alu instid0(SALU_CYCLE_1)
	s_mov_b32 s4, exec_lo
	v_cmp_gt_u32_e32 vcc_lo, 32, v0
	s_wait_loadcnt_dscnt 0x0
	s_barrier_signal -1
	s_barrier_wait -1
	global_inv scope:SCOPE_SE
                                        ; implicit-def: $vgpr17_vgpr18
	v_cmpx_lt_u32_e32 31, v0
	s_cbranch_execz .LBB474_47
; %bb.46:
	v_lshl_add_u32 v1, v1, 3, -8
	ds_load_b64 v[17:18], v1
	s_wait_dscnt 0x0
	v_add_co_u32 v5, s3, v5, v17
	s_wait_alu 0xf1ff
	v_add_co_ci_u32_e64 v2, null, v2, v18, s3
.LBB474_47:
	s_wait_alu 0xfffe
	s_or_b32 exec_lo, exec_lo, s4
	v_sub_co_u32 v1, s3, v40, 1
	s_delay_alu instid0(VALU_DEP_1) | instskip(SKIP_1) | instid1(VALU_DEP_1)
	v_cmp_gt_i32_e64 s4, 0, v1
	s_wait_alu 0xf1ff
	v_cndmask_b32_e64 v1, v1, v40, s4
	s_delay_alu instid0(VALU_DEP_1)
	v_lshlrev_b32_e32 v1, 2, v1
	ds_bpermute_b32 v23, v1, v5
	ds_bpermute_b32 v24, v1, v2
	s_and_saveexec_b32 s4, vcc_lo
	s_cbranch_execz .LBB474_86
; %bb.48:
	v_mov_b32_e32 v4, 0
	ds_load_b64 v[1:2], v4 offset:88
	s_and_saveexec_b32 s5, s3
	s_cbranch_execz .LBB474_50
; %bb.49:
	s_add_co_i32 s16, ttmp9, 32
	s_mov_b32 s17, 0
	s_wait_alu 0xfffe
	s_lshl_b64 s[16:17], s[16:17], 4
	s_wait_kmcnt 0x0
	s_wait_alu 0xfffe
	s_add_nc_u64 s[16:17], s[6:7], s[16:17]
	v_mov_b32_e32 v3, 1
	s_wait_alu 0xfffe
	v_dual_mov_b32 v5, s16 :: v_dual_mov_b32 v6, s17
	s_wait_dscnt 0x0
	;;#ASMSTART
	global_store_b128 v[5:6], v[1:4] off scope:SCOPE_DEV	
s_wait_storecnt 0x0
	;;#ASMEND
.LBB474_50:
	s_wait_alu 0xfffe
	s_or_b32 exec_lo, exec_lo, s5
	v_xad_u32 v19, v40, -1, ttmp9
	s_mov_b32 s15, 0
	s_mov_b32 s5, exec_lo
	s_delay_alu instid0(VALU_DEP_1) | instskip(NEXT) | instid1(VALU_DEP_1)
	v_add_nc_u32_e32 v3, 32, v19
	v_lshlrev_b64_e32 v[3:4], 4, v[3:4]
	s_wait_kmcnt 0x0
	s_delay_alu instid0(VALU_DEP_1) | instskip(SKIP_1) | instid1(VALU_DEP_2)
	v_add_co_u32 v3, vcc_lo, s6, v3
	s_wait_alu 0xfffd
	v_add_co_ci_u32_e64 v4, null, s7, v4, vcc_lo
	;;#ASMSTART
	global_load_b128 v[5:8], v[3:4] off scope:SCOPE_DEV	
s_wait_loadcnt 0x0
	;;#ASMEND
	v_and_b32_e32 v8, 0xff, v7
	s_delay_alu instid0(VALU_DEP_1)
	v_cmpx_eq_u16_e32 0, v8
	s_cbranch_execz .LBB474_53
.LBB474_51:                             ; =>This Inner Loop Header: Depth=1
	;;#ASMSTART
	global_load_b128 v[5:8], v[3:4] off scope:SCOPE_DEV	
s_wait_loadcnt 0x0
	;;#ASMEND
	v_and_b32_e32 v8, 0xff, v7
	s_delay_alu instid0(VALU_DEP_1)
	v_cmp_ne_u16_e32 vcc_lo, 0, v8
	s_wait_alu 0xfffe
	s_or_b32 s15, vcc_lo, s15
	s_wait_alu 0xfffe
	s_and_not1_b32 exec_lo, exec_lo, s15
	s_cbranch_execnz .LBB474_51
; %bb.52:
	s_or_b32 exec_lo, exec_lo, s15
.LBB474_53:
	s_wait_alu 0xfffe
	s_or_b32 exec_lo, exec_lo, s5
	v_cmp_ne_u32_e32 vcc_lo, 31, v40
	v_and_b32_e32 v4, 0xff, v7
	v_lshlrev_b32_e64 v26, v40, -1
	s_mov_b32 s5, exec_lo
	s_wait_alu 0xfffd
	v_add_co_ci_u32_e64 v3, null, 0, v40, vcc_lo
	v_cmp_eq_u16_e32 vcc_lo, 2, v4
	s_delay_alu instid0(VALU_DEP_2)
	v_dual_mov_b32 v4, v5 :: v_dual_lshlrev_b32 v25, 2, v3
	s_wait_alu 0xfffd
	v_and_or_b32 v3, vcc_lo, v26, 0x80000000
	ds_bpermute_b32 v20, v25, v5
	ds_bpermute_b32 v8, v25, v6
	v_ctz_i32_b32_e32 v3, v3
	s_delay_alu instid0(VALU_DEP_1)
	v_cmpx_lt_u32_e64 v40, v3
	s_cbranch_execz .LBB474_55
; %bb.54:
	s_wait_dscnt 0x1
	v_add_co_u32 v4, vcc_lo, v5, v20
	s_wait_alu 0xfffd
	v_add_co_ci_u32_e64 v6, null, 0, v6, vcc_lo
	s_delay_alu instid0(VALU_DEP_2) | instskip(SKIP_2) | instid1(VALU_DEP_2)
	v_add_co_u32 v5, vcc_lo, 0, v4
	s_wait_dscnt 0x0
	s_wait_alu 0xfffd
	v_add_co_ci_u32_e64 v6, null, v8, v6, vcc_lo
.LBB474_55:
	s_wait_alu 0xfffe
	s_or_b32 exec_lo, exec_lo, s5
	v_cmp_gt_u32_e32 vcc_lo, 30, v40
	v_add_nc_u32_e32 v28, 2, v40
	s_mov_b32 s5, exec_lo
	s_wait_dscnt 0x0
	s_wait_alu 0xfffd
	v_cndmask_b32_e64 v8, 0, 2, vcc_lo
	s_delay_alu instid0(VALU_DEP_1)
	v_add_lshl_u32 v27, v8, v40, 2
	ds_bpermute_b32 v20, v27, v4
	ds_bpermute_b32 v8, v27, v6
	v_cmpx_le_u32_e64 v28, v3
	s_cbranch_execz .LBB474_57
; %bb.56:
	s_wait_dscnt 0x1
	v_add_co_u32 v4, vcc_lo, v5, v20
	s_wait_alu 0xfffd
	v_add_co_ci_u32_e64 v6, null, 0, v6, vcc_lo
	s_delay_alu instid0(VALU_DEP_2) | instskip(SKIP_2) | instid1(VALU_DEP_2)
	v_add_co_u32 v5, vcc_lo, 0, v4
	s_wait_dscnt 0x0
	s_wait_alu 0xfffd
	v_add_co_ci_u32_e64 v6, null, v8, v6, vcc_lo
.LBB474_57:
	s_wait_alu 0xfffe
	s_or_b32 exec_lo, exec_lo, s5
	v_cmp_gt_u32_e32 vcc_lo, 28, v40
	v_add_nc_u32_e32 v43, 4, v40
	s_mov_b32 s5, exec_lo
	s_wait_dscnt 0x0
	s_wait_alu 0xfffd
	v_cndmask_b32_e64 v8, 0, 4, vcc_lo
	s_delay_alu instid0(VALU_DEP_1)
	v_add_lshl_u32 v42, v8, v40, 2
	ds_bpermute_b32 v20, v42, v4
	ds_bpermute_b32 v8, v42, v6
	v_cmpx_le_u32_e64 v43, v3
	;; [unrolled: 25-line block ×3, first 2 shown]
	s_cbranch_execz .LBB474_61
; %bb.60:
	s_wait_dscnt 0x1
	v_add_co_u32 v4, vcc_lo, v5, v20
	s_wait_alu 0xfffd
	v_add_co_ci_u32_e64 v6, null, 0, v6, vcc_lo
	s_delay_alu instid0(VALU_DEP_2) | instskip(SKIP_2) | instid1(VALU_DEP_2)
	v_add_co_u32 v5, vcc_lo, 0, v4
	s_wait_dscnt 0x0
	s_wait_alu 0xfffd
	v_add_co_ci_u32_e64 v6, null, v8, v6, vcc_lo
.LBB474_61:
	s_wait_alu 0xfffe
	s_or_b32 exec_lo, exec_lo, s5
	v_lshl_or_b32 v46, v40, 2, 64
	v_add_nc_u32_e32 v47, 16, v40
	s_mov_b32 s5, exec_lo
	s_wait_dscnt 0x0
	ds_bpermute_b32 v8, v46, v4
	ds_bpermute_b32 v4, v46, v6
	v_cmpx_le_u32_e64 v47, v3
	s_cbranch_execz .LBB474_63
; %bb.62:
	s_wait_dscnt 0x1
	v_add_co_u32 v3, vcc_lo, v5, v8
	s_wait_alu 0xfffd
	v_add_co_ci_u32_e64 v6, null, 0, v6, vcc_lo
	s_delay_alu instid0(VALU_DEP_2) | instskip(SKIP_2) | instid1(VALU_DEP_2)
	v_add_co_u32 v5, vcc_lo, v3, 0
	s_wait_dscnt 0x0
	s_wait_alu 0xfffd
	v_add_co_ci_u32_e64 v6, null, v6, v4, vcc_lo
.LBB474_63:
	s_wait_alu 0xfffe
	s_or_b32 exec_lo, exec_lo, s5
	v_mov_b32_e32 v20, 0
	s_branch .LBB474_66
.LBB474_64:                             ;   in Loop: Header=BB474_66 Depth=1
	s_wait_alu 0xfffe
	s_or_b32 exec_lo, exec_lo, s5
	v_add_co_u32 v5, vcc_lo, v5, v3
	v_subrev_nc_u32_e32 v19, 32, v19
	s_wait_alu 0xfffd
	v_add_co_ci_u32_e64 v6, null, v6, v4, vcc_lo
	s_mov_b32 s5, 0
.LBB474_65:                             ;   in Loop: Header=BB474_66 Depth=1
	s_wait_alu 0xfffe
	s_and_b32 vcc_lo, exec_lo, s5
	s_wait_alu 0xfffe
	s_cbranch_vccnz .LBB474_82
.LBB474_66:                             ; =>This Loop Header: Depth=1
                                        ;     Child Loop BB474_69 Depth 2
	v_and_b32_e32 v3, 0xff, v7
	s_mov_b32 s5, -1
	s_delay_alu instid0(VALU_DEP_1)
	v_cmp_ne_u16_e32 vcc_lo, 2, v3
	s_wait_dscnt 0x0
	v_dual_mov_b32 v3, v5 :: v_dual_mov_b32 v4, v6
                                        ; implicit-def: $vgpr5_vgpr6
	s_cmp_lg_u32 vcc_lo, exec_lo
	s_cbranch_scc1 .LBB474_65
; %bb.67:                               ;   in Loop: Header=BB474_66 Depth=1
	v_lshlrev_b64_e32 v[5:6], 4, v[19:20]
	s_mov_b32 s5, exec_lo
	s_delay_alu instid0(VALU_DEP_1) | instskip(SKIP_1) | instid1(VALU_DEP_2)
	v_add_co_u32 v21, vcc_lo, s6, v5
	s_wait_alu 0xfffd
	v_add_co_ci_u32_e64 v22, null, s7, v6, vcc_lo
	;;#ASMSTART
	global_load_b128 v[5:8], v[21:22] off scope:SCOPE_DEV	
s_wait_loadcnt 0x0
	;;#ASMEND
	v_and_b32_e32 v8, 0xff, v7
	s_delay_alu instid0(VALU_DEP_1)
	v_cmpx_eq_u16_e32 0, v8
	s_cbranch_execz .LBB474_71
; %bb.68:                               ;   in Loop: Header=BB474_66 Depth=1
	s_mov_b32 s15, 0
.LBB474_69:                             ;   Parent Loop BB474_66 Depth=1
                                        ; =>  This Inner Loop Header: Depth=2
	;;#ASMSTART
	global_load_b128 v[5:8], v[21:22] off scope:SCOPE_DEV	
s_wait_loadcnt 0x0
	;;#ASMEND
	v_and_b32_e32 v8, 0xff, v7
	s_delay_alu instid0(VALU_DEP_1)
	v_cmp_ne_u16_e32 vcc_lo, 0, v8
	s_wait_alu 0xfffe
	s_or_b32 s15, vcc_lo, s15
	s_wait_alu 0xfffe
	s_and_not1_b32 exec_lo, exec_lo, s15
	s_cbranch_execnz .LBB474_69
; %bb.70:                               ;   in Loop: Header=BB474_66 Depth=1
	s_or_b32 exec_lo, exec_lo, s15
.LBB474_71:                             ;   in Loop: Header=BB474_66 Depth=1
	s_wait_alu 0xfffe
	s_or_b32 exec_lo, exec_lo, s5
	v_dual_mov_b32 v21, v5 :: v_dual_and_b32 v8, 0xff, v7
	ds_bpermute_b32 v48, v25, v5
	ds_bpermute_b32 v22, v25, v6
	s_mov_b32 s5, exec_lo
	v_cmp_eq_u16_e32 vcc_lo, 2, v8
	s_wait_alu 0xfffd
	v_and_or_b32 v8, vcc_lo, v26, 0x80000000
	s_delay_alu instid0(VALU_DEP_1) | instskip(NEXT) | instid1(VALU_DEP_1)
	v_ctz_i32_b32_e32 v8, v8
	v_cmpx_lt_u32_e64 v40, v8
	s_cbranch_execz .LBB474_73
; %bb.72:                               ;   in Loop: Header=BB474_66 Depth=1
	s_wait_dscnt 0x1
	v_add_co_u32 v21, vcc_lo, v5, v48
	s_wait_alu 0xfffd
	v_add_co_ci_u32_e64 v6, null, 0, v6, vcc_lo
	s_delay_alu instid0(VALU_DEP_2) | instskip(SKIP_2) | instid1(VALU_DEP_2)
	v_add_co_u32 v5, vcc_lo, 0, v21
	s_wait_dscnt 0x0
	s_wait_alu 0xfffd
	v_add_co_ci_u32_e64 v6, null, v22, v6, vcc_lo
.LBB474_73:                             ;   in Loop: Header=BB474_66 Depth=1
	s_wait_alu 0xfffe
	s_or_b32 exec_lo, exec_lo, s5
	s_wait_dscnt 0x1
	ds_bpermute_b32 v48, v27, v21
	s_wait_dscnt 0x1
	ds_bpermute_b32 v22, v27, v6
	s_mov_b32 s5, exec_lo
	v_cmpx_le_u32_e64 v28, v8
	s_cbranch_execz .LBB474_75
; %bb.74:                               ;   in Loop: Header=BB474_66 Depth=1
	s_wait_dscnt 0x1
	v_add_co_u32 v21, vcc_lo, v5, v48
	s_wait_alu 0xfffd
	v_add_co_ci_u32_e64 v6, null, 0, v6, vcc_lo
	s_delay_alu instid0(VALU_DEP_2) | instskip(SKIP_2) | instid1(VALU_DEP_2)
	v_add_co_u32 v5, vcc_lo, 0, v21
	s_wait_dscnt 0x0
	s_wait_alu 0xfffd
	v_add_co_ci_u32_e64 v6, null, v22, v6, vcc_lo
.LBB474_75:                             ;   in Loop: Header=BB474_66 Depth=1
	s_wait_alu 0xfffe
	s_or_b32 exec_lo, exec_lo, s5
	s_wait_dscnt 0x1
	ds_bpermute_b32 v48, v42, v21
	s_wait_dscnt 0x1
	ds_bpermute_b32 v22, v42, v6
	s_mov_b32 s5, exec_lo
	v_cmpx_le_u32_e64 v43, v8
	;; [unrolled: 20-line block ×3, first 2 shown]
	s_cbranch_execz .LBB474_79
; %bb.78:                               ;   in Loop: Header=BB474_66 Depth=1
	s_wait_dscnt 0x1
	v_add_co_u32 v21, vcc_lo, v5, v48
	s_wait_alu 0xfffd
	v_add_co_ci_u32_e64 v6, null, 0, v6, vcc_lo
	s_delay_alu instid0(VALU_DEP_2) | instskip(SKIP_2) | instid1(VALU_DEP_2)
	v_add_co_u32 v5, vcc_lo, 0, v21
	s_wait_dscnt 0x0
	s_wait_alu 0xfffd
	v_add_co_ci_u32_e64 v6, null, v22, v6, vcc_lo
.LBB474_79:                             ;   in Loop: Header=BB474_66 Depth=1
	s_wait_alu 0xfffe
	s_or_b32 exec_lo, exec_lo, s5
	s_wait_dscnt 0x0
	ds_bpermute_b32 v22, v46, v21
	ds_bpermute_b32 v21, v46, v6
	s_mov_b32 s5, exec_lo
	v_cmpx_le_u32_e64 v47, v8
	s_cbranch_execz .LBB474_64
; %bb.80:                               ;   in Loop: Header=BB474_66 Depth=1
	s_wait_dscnt 0x1
	v_add_co_u32 v5, vcc_lo, v5, v22
	s_wait_alu 0xfffd
	v_add_co_ci_u32_e64 v6, null, 0, v6, vcc_lo
	s_delay_alu instid0(VALU_DEP_2) | instskip(SKIP_2) | instid1(VALU_DEP_2)
	v_add_co_u32 v5, vcc_lo, v5, 0
	s_wait_dscnt 0x0
	s_wait_alu 0xfffd
	v_add_co_ci_u32_e64 v6, null, v6, v21, vcc_lo
	s_branch .LBB474_64
.LBB474_81:
                                        ; implicit-def: $vgpr17_vgpr18
                                        ; implicit-def: $vgpr6_vgpr7
                                        ; implicit-def: $vgpr19_vgpr20
                                        ; implicit-def: $vgpr21_vgpr22
                                        ; implicit-def: $vgpr23_vgpr24
                                        ; implicit-def: $vgpr25_vgpr26
                                        ; implicit-def: $vgpr27_vgpr28
                                        ; implicit-def: $vgpr4_vgpr5
	s_wait_alu 0xfffe
	s_and_b32 vcc_lo, exec_lo, s3
	s_wait_alu 0xfffe
	s_cbranch_vccnz .LBB474_87
	s_branch .LBB474_114
.LBB474_82:
	s_and_saveexec_b32 s5, s3
	s_cbranch_execz .LBB474_84
; %bb.83:
	s_add_co_i32 s16, ttmp9, 32
	s_mov_b32 s17, 0
	v_add_co_u32 v5, vcc_lo, v3, v1
	s_wait_alu 0xfffe
	s_lshl_b64 s[16:17], s[16:17], 4
	v_dual_mov_b32 v7, 2 :: v_dual_mov_b32 v8, 0
	s_wait_alu 0xfffe
	s_add_nc_u64 s[16:17], s[6:7], s[16:17]
	s_wait_alu 0xfffd
	v_add_co_ci_u32_e64 v6, null, v4, v2, vcc_lo
	s_wait_alu 0xfffe
	v_dual_mov_b32 v20, s17 :: v_dual_mov_b32 v19, s16
	;;#ASMSTART
	global_store_b128 v[19:20], v[5:8] off scope:SCOPE_DEV	
s_wait_storecnt 0x0
	;;#ASMEND
	ds_store_b128 v8, v[1:4] offset:10752
.LBB474_84:
	s_wait_alu 0xfffe
	s_or_b32 exec_lo, exec_lo, s5
	v_cmp_eq_u32_e32 vcc_lo, 0, v0
	s_and_b32 exec_lo, exec_lo, vcc_lo
; %bb.85:
	v_mov_b32_e32 v1, 0
	ds_store_b64 v1, v[3:4] offset:88
.LBB474_86:
	s_wait_alu 0xfffe
	s_or_b32 exec_lo, exec_lo, s4
	s_wait_dscnt 0x1
	v_cndmask_b32_e64 v4, v23, v17, s3
	v_cmp_ne_u32_e32 vcc_lo, 0, v0
	v_mov_b32_e32 v3, 0
	s_wait_loadcnt_dscnt 0x0
	s_barrier_signal -1
	s_barrier_wait -1
	global_inv scope:SCOPE_SE
	s_wait_alu 0xfffd
	v_cndmask_b32_e32 v4, 0, v4, vcc_lo
	ds_load_b64 v[1:2], v3 offset:88
	v_cndmask_b32_e64 v5, v24, v18, s3
	s_wait_loadcnt_dscnt 0x0
	s_barrier_signal -1
	s_barrier_wait -1
	global_inv scope:SCOPE_SE
	v_cndmask_b32_e32 v5, 0, v5, vcc_lo
	v_add_co_u32 v27, vcc_lo, v1, v4
	s_wait_alu 0xfffd
	s_delay_alu instid0(VALU_DEP_2) | instskip(SKIP_4) | instid1(VALU_DEP_2)
	v_add_co_ci_u32_e64 v28, null, v2, v5, vcc_lo
	ds_load_b128 v[2:5], v3 offset:10752
	v_add_co_u32 v25, vcc_lo, v27, v37
	s_wait_alu 0xfffd
	v_add_co_ci_u32_e64 v26, null, 0, v28, vcc_lo
	v_add_co_u32 v23, vcc_lo, v25, v36
	s_wait_alu 0xfffd
	s_delay_alu instid0(VALU_DEP_2) | instskip(NEXT) | instid1(VALU_DEP_2)
	v_add_co_ci_u32_e64 v24, null, 0, v26, vcc_lo
	v_add_co_u32 v21, vcc_lo, v23, v39
	s_wait_alu 0xfffd
	s_delay_alu instid0(VALU_DEP_2) | instskip(NEXT) | instid1(VALU_DEP_2)
	;; [unrolled: 4-line block ×4, first 2 shown]
	v_add_co_ci_u32_e64 v7, null, 0, v20, vcc_lo
	v_add_co_u32 v17, vcc_lo, v6, v35
	s_wait_alu 0xfffd
	s_delay_alu instid0(VALU_DEP_2)
	v_add_co_ci_u32_e64 v18, null, 0, v7, vcc_lo
	s_branch .LBB474_114
.LBB474_87:
	s_wait_dscnt 0x0
	v_dual_mov_b32 v2, 0 :: v_dual_mov_b32 v3, v15
	v_mov_b32_dpp v4, v15 row_shr:1 row_mask:0xf bank_mask:0xf
	s_delay_alu instid0(VALU_DEP_2)
	v_mov_b32_dpp v1, v2 row_shr:1 row_mask:0xf bank_mask:0xf
	s_and_saveexec_b32 s3, s2
; %bb.88:
	s_delay_alu instid0(VALU_DEP_2) | instskip(SKIP_2) | instid1(VALU_DEP_2)
	v_add_co_u32 v3, vcc_lo, v15, v4
	s_wait_alu 0xfffd
	v_add_co_ci_u32_e64 v2, null, 0, v16, vcc_lo
	v_add_co_u32 v15, vcc_lo, 0, v3
	s_wait_alu 0xfffd
	s_delay_alu instid0(VALU_DEP_2) | instskip(NEXT) | instid1(VALU_DEP_1)
	v_add_co_ci_u32_e64 v16, null, v1, v2, vcc_lo
	v_mov_b32_e32 v2, v16
; %bb.89:
	s_wait_alu 0xfffe
	s_or_b32 exec_lo, exec_lo, s3
	v_mov_b32_dpp v1, v3 row_shr:2 row_mask:0xf bank_mask:0xf
	s_delay_alu instid0(VALU_DEP_2)
	v_mov_b32_dpp v4, v2 row_shr:2 row_mask:0xf bank_mask:0xf
	v_cmp_lt_u32_e32 vcc_lo, 1, v41
	s_and_saveexec_b32 s4, vcc_lo
; %bb.90:
	s_delay_alu instid0(VALU_DEP_3) | instskip(SKIP_2) | instid1(VALU_DEP_2)
	v_add_co_u32 v3, s3, v15, v1
	s_wait_alu 0xf1ff
	v_add_co_ci_u32_e64 v2, null, 0, v16, s3
	v_add_co_u32 v1, s3, 0, v3
	s_wait_alu 0xf1ff
	s_delay_alu instid0(VALU_DEP_2) | instskip(NEXT) | instid1(VALU_DEP_1)
	v_add_co_ci_u32_e64 v2, null, v4, v2, s3
	v_dual_mov_b32 v16, v2 :: v_dual_mov_b32 v15, v1
; %bb.91:
	s_wait_alu 0xfffe
	s_or_b32 exec_lo, exec_lo, s4
	v_mov_b32_dpp v1, v3 row_shr:4 row_mask:0xf bank_mask:0xf
	v_mov_b32_dpp v4, v2 row_shr:4 row_mask:0xf bank_mask:0xf
	v_cmp_lt_u32_e64 s3, 3, v41
	s_and_saveexec_b32 s5, s3
; %bb.92:
	v_add_co_u32 v3, s4, v15, v1
	s_wait_alu 0xf1ff
	v_add_co_ci_u32_e64 v2, null, 0, v16, s4
	s_delay_alu instid0(VALU_DEP_2) | instskip(SKIP_1) | instid1(VALU_DEP_2)
	v_add_co_u32 v1, s4, 0, v3
	s_wait_alu 0xf1ff
	v_add_co_ci_u32_e64 v2, null, v4, v2, s4
	s_delay_alu instid0(VALU_DEP_1)
	v_dual_mov_b32 v16, v2 :: v_dual_mov_b32 v15, v1
; %bb.93:
	s_wait_alu 0xfffe
	s_or_b32 exec_lo, exec_lo, s5
	v_mov_b32_dpp v4, v3 row_shr:8 row_mask:0xf bank_mask:0xf
	v_mov_b32_dpp v1, v2 row_shr:8 row_mask:0xf bank_mask:0xf
	v_cmp_lt_u32_e64 s4, 7, v41
	s_and_saveexec_b32 s15, s4
; %bb.94:
	v_add_co_u32 v3, s5, v15, v4
	s_wait_alu 0xf1ff
	v_add_co_ci_u32_e64 v2, null, 0, v16, s5
	s_delay_alu instid0(VALU_DEP_2) | instskip(SKIP_1) | instid1(VALU_DEP_2)
	v_add_co_u32 v15, s5, 0, v3
	s_wait_alu 0xf1ff
	v_add_co_ci_u32_e64 v16, null, v1, v2, s5
	s_delay_alu instid0(VALU_DEP_1)
	v_mov_b32_e32 v2, v16
; %bb.95:
	s_wait_alu 0xfffe
	s_or_b32 exec_lo, exec_lo, s15
	ds_swizzle_b32 v3, v3 offset:swizzle(BROADCAST,32,15)
	ds_swizzle_b32 v1, v2 offset:swizzle(BROADCAST,32,15)
	v_and_b32_e32 v2, 16, v40
	s_mov_b32 s15, exec_lo
	s_delay_alu instid0(VALU_DEP_1)
	v_cmpx_ne_u32_e32 0, v2
	s_cbranch_execz .LBB474_97
; %bb.96:
	s_wait_dscnt 0x1
	v_add_co_u32 v2, s5, v15, v3
	s_wait_alu 0xf1ff
	v_add_co_ci_u32_e64 v3, null, 0, v16, s5
	s_delay_alu instid0(VALU_DEP_2) | instskip(SKIP_2) | instid1(VALU_DEP_2)
	v_add_co_u32 v15, s5, v2, 0
	s_wait_dscnt 0x0
	s_wait_alu 0xf1ff
	v_add_co_ci_u32_e64 v16, null, v3, v1, s5
.LBB474_97:
	s_wait_alu 0xfffe
	s_or_b32 exec_lo, exec_lo, s15
	s_wait_dscnt 0x0
	v_and_b32_e32 v1, 0x1e0, v0
	v_lshrrev_b32_e32 v3, 5, v0
	s_mov_b32 s15, exec_lo
	s_delay_alu instid0(VALU_DEP_2) | instskip(NEXT) | instid1(VALU_DEP_1)
	v_min_u32_e32 v1, 0x160, v1
	v_or_b32_e32 v1, 31, v1
	s_delay_alu instid0(VALU_DEP_1)
	v_cmpx_eq_u32_e64 v0, v1
; %bb.98:
	v_lshlrev_b32_e32 v1, 3, v3
	ds_store_b64 v1, v[15:16]
; %bb.99:
	s_wait_alu 0xfffe
	s_or_b32 exec_lo, exec_lo, s15
	s_delay_alu instid0(SALU_CYCLE_1)
	s_mov_b32 s15, exec_lo
	s_wait_loadcnt_dscnt 0x0
	s_barrier_signal -1
	s_barrier_wait -1
	global_inv scope:SCOPE_SE
	v_cmpx_gt_u32_e32 12, v0
	s_cbranch_execz .LBB474_109
; %bb.100:
	v_mad_i32_i24 v1, 0xffffffec, v0, v34
	ds_load_b64 v[1:2], v1
	s_wait_dscnt 0x0
	v_mov_b32_dpp v6, v1 row_shr:1 row_mask:0xf bank_mask:0xf
	v_mov_b32_dpp v5, v2 row_shr:1 row_mask:0xf bank_mask:0xf
	v_mov_b32_e32 v4, v1
	s_and_saveexec_b32 s5, s2
; %bb.101:
	s_delay_alu instid0(VALU_DEP_3) | instskip(SKIP_2) | instid1(VALU_DEP_2)
	v_add_co_u32 v4, s2, v1, v6
	s_wait_alu 0xf1ff
	v_add_co_ci_u32_e64 v2, null, 0, v2, s2
	v_add_co_u32 v1, s2, 0, v4
	s_wait_alu 0xf1ff
	s_delay_alu instid0(VALU_DEP_2)
	v_add_co_ci_u32_e64 v2, null, v5, v2, s2
; %bb.102:
	s_wait_alu 0xfffe
	s_or_b32 exec_lo, exec_lo, s5
	v_mov_b32_dpp v6, v4 row_shr:2 row_mask:0xf bank_mask:0xf
	s_delay_alu instid0(VALU_DEP_2)
	v_mov_b32_dpp v5, v2 row_shr:2 row_mask:0xf bank_mask:0xf
	s_and_saveexec_b32 s2, vcc_lo
; %bb.103:
	s_delay_alu instid0(VALU_DEP_2) | instskip(SKIP_2) | instid1(VALU_DEP_2)
	v_add_co_u32 v4, vcc_lo, v1, v6
	s_wait_alu 0xfffd
	v_add_co_ci_u32_e64 v2, null, 0, v2, vcc_lo
	v_add_co_u32 v1, vcc_lo, 0, v4
	s_wait_alu 0xfffd
	s_delay_alu instid0(VALU_DEP_2)
	v_add_co_ci_u32_e64 v2, null, v5, v2, vcc_lo
; %bb.104:
	s_wait_alu 0xfffe
	s_or_b32 exec_lo, exec_lo, s2
	v_mov_b32_dpp v6, v4 row_shr:4 row_mask:0xf bank_mask:0xf
	s_delay_alu instid0(VALU_DEP_2)
	v_mov_b32_dpp v5, v2 row_shr:4 row_mask:0xf bank_mask:0xf
	s_and_saveexec_b32 s2, s3
; %bb.105:
	s_delay_alu instid0(VALU_DEP_2) | instskip(SKIP_2) | instid1(VALU_DEP_2)
	v_add_co_u32 v4, vcc_lo, v1, v6
	s_wait_alu 0xfffd
	v_add_co_ci_u32_e64 v2, null, 0, v2, vcc_lo
	v_add_co_u32 v1, vcc_lo, 0, v4
	s_wait_alu 0xfffd
	s_delay_alu instid0(VALU_DEP_2)
	v_add_co_ci_u32_e64 v2, null, v5, v2, vcc_lo
; %bb.106:
	s_wait_alu 0xfffe
	s_or_b32 exec_lo, exec_lo, s2
	v_mul_i32_i24_e32 v5, 0xffffffec, v0
	v_mov_b32_dpp v6, v4 row_shr:8 row_mask:0xf bank_mask:0xf
	v_mov_b32_dpp v4, v2 row_shr:8 row_mask:0xf bank_mask:0xf
	s_and_saveexec_b32 s2, s4
; %bb.107:
	s_delay_alu instid0(VALU_DEP_2) | instskip(SKIP_2) | instid1(VALU_DEP_2)
	v_add_co_u32 v1, vcc_lo, v1, v6
	s_wait_alu 0xfffd
	v_add_co_ci_u32_e64 v2, null, 0, v2, vcc_lo
	v_add_co_u32 v1, vcc_lo, v1, 0
	s_wait_alu 0xfffd
	s_delay_alu instid0(VALU_DEP_2)
	v_add_co_ci_u32_e64 v2, null, v2, v4, vcc_lo
; %bb.108:
	s_wait_alu 0xfffe
	s_or_b32 exec_lo, exec_lo, s2
	v_add_nc_u32_e32 v4, v34, v5
	ds_store_b64 v4, v[1:2]
.LBB474_109:
	s_wait_alu 0xfffe
	s_or_b32 exec_lo, exec_lo, s15
	v_mov_b32_e32 v6, 0
	v_mov_b32_e32 v7, 0
	s_mov_b32 s2, exec_lo
	s_wait_loadcnt_dscnt 0x0
	s_barrier_signal -1
	s_barrier_wait -1
	global_inv scope:SCOPE_SE
	v_cmpx_lt_u32_e32 31, v0
; %bb.110:
	v_lshl_add_u32 v1, v3, 3, -8
	ds_load_b64 v[6:7], v1
; %bb.111:
	s_wait_alu 0xfffe
	s_or_b32 exec_lo, exec_lo, s2
	v_sub_co_u32 v1, vcc_lo, v40, 1
	v_mov_b32_e32 v5, 0
	s_delay_alu instid0(VALU_DEP_2) | instskip(SKIP_1) | instid1(VALU_DEP_1)
	v_cmp_gt_i32_e64 s2, 0, v1
	s_wait_alu 0xf1ff
	v_cndmask_b32_e64 v1, v1, v40, s2
	s_delay_alu instid0(VALU_DEP_1)
	v_lshlrev_b32_e32 v2, 2, v1
	s_wait_dscnt 0x0
	v_add_co_u32 v1, s2, v6, v15
	s_wait_alu 0xf1ff
	v_add_co_ci_u32_e64 v3, null, v7, v16, s2
	v_cmp_eq_u32_e64 s2, 0, v0
	ds_bpermute_b32 v1, v2, v1
	ds_bpermute_b32 v8, v2, v3
	ds_load_b64 v[2:3], v5 offset:88
	s_and_saveexec_b32 s3, s2
	s_cbranch_execz .LBB474_113
; %bb.112:
	s_wait_kmcnt 0x0
	s_add_nc_u64 s[4:5], s[6:7], 0x200
	v_mov_b32_e32 v4, 2
	s_wait_alu 0xfffe
	v_dual_mov_b32 v16, s5 :: v_dual_mov_b32 v15, s4
	s_wait_dscnt 0x0
	;;#ASMSTART
	global_store_b128 v[15:16], v[2:5] off scope:SCOPE_DEV	
s_wait_storecnt 0x0
	;;#ASMEND
.LBB474_113:
	s_wait_alu 0xfffe
	s_or_b32 exec_lo, exec_lo, s3
	s_wait_dscnt 0x1
	s_wait_alu 0xfffd
	v_dual_cndmask_b32 v1, v1, v6 :: v_dual_cndmask_b32 v4, v8, v7
	s_wait_loadcnt_dscnt 0x0
	s_barrier_signal -1
	s_barrier_wait -1
	s_delay_alu instid0(VALU_DEP_1)
	v_cndmask_b32_e64 v27, v1, 0, s2
	v_cndmask_b32_e64 v28, v4, 0, s2
	v_mov_b32_e32 v4, 0
	v_mov_b32_e32 v5, 0
	global_inv scope:SCOPE_SE
	v_add_co_u32 v25, vcc_lo, v27, v37
	s_wait_alu 0xfffd
	v_add_co_ci_u32_e64 v26, null, 0, v28, vcc_lo
	s_delay_alu instid0(VALU_DEP_2) | instskip(SKIP_1) | instid1(VALU_DEP_2)
	v_add_co_u32 v23, vcc_lo, v25, v36
	s_wait_alu 0xfffd
	v_add_co_ci_u32_e64 v24, null, 0, v26, vcc_lo
	s_delay_alu instid0(VALU_DEP_2) | instskip(SKIP_1) | instid1(VALU_DEP_2)
	;; [unrolled: 4-line block ×5, first 2 shown]
	v_add_co_u32 v17, vcc_lo, v6, v35
	s_wait_alu 0xfffd
	v_add_co_ci_u32_e64 v18, null, 0, v7, vcc_lo
.LBB474_114:
	s_load_b64 s[2:3], s[0:1], 0x28
	v_lshrrev_b32_e32 v8, 8, v33
	v_lshrrev_b32_e32 v1, 16, v33
	v_and_b32_e32 v33, 1, v33
	s_wait_dscnt 0x0
	v_cmp_gt_u64_e32 vcc_lo, 0x181, v[2:3]
	s_mov_b32 s1, -1
	s_delay_alu instid0(VALU_DEP_2)
	v_cmp_eq_u32_e64 s0, 1, v33
	s_cbranch_vccnz .LBB474_118
; %bb.115:
	s_wait_alu 0xfffe
	s_and_b32 vcc_lo, exec_lo, s1
	s_wait_alu 0xfffe
	s_cbranch_vccnz .LBB474_133
.LBB474_116:
	v_cmp_eq_u32_e32 vcc_lo, 0, v0
	s_and_b32 s0, vcc_lo, s12
	s_wait_alu 0xfffe
	s_and_saveexec_b32 s1, s0
	s_cbranch_execnz .LBB474_150
.LBB474_117:
	s_endpgm
.LBB474_118:
	v_add_co_u32 v15, vcc_lo, v4, v2
	s_wait_alu 0xfffd
	v_add_co_ci_u32_e64 v16, null, v5, v3, vcc_lo
	s_lshl_b64 s[4:5], s[10:11], 2
	s_wait_kmcnt 0x0
	s_wait_alu 0xfffe
	s_add_nc_u64 s[4:5], s[2:3], s[4:5]
	v_cmp_lt_u64_e32 vcc_lo, v[27:28], v[15:16]
	s_or_b32 s1, s13, vcc_lo
	s_wait_alu 0xfffe
	s_and_b32 s1, s1, s0
	s_wait_alu 0xfffe
	s_and_saveexec_b32 s0, s1
	s_cbranch_execz .LBB474_120
; %bb.119:
	v_lshlrev_b64_e32 v[34:35], 2, v[27:28]
	s_delay_alu instid0(VALU_DEP_1) | instskip(SKIP_1) | instid1(VALU_DEP_2)
	v_add_co_u32 v34, vcc_lo, s4, v34
	s_wait_alu 0xfffd
	v_add_co_ci_u32_e64 v35, null, s5, v35, vcc_lo
	global_store_b32 v[34:35], v13, off
.LBB474_120:
	s_wait_alu 0xfffe
	s_or_b32 exec_lo, exec_lo, s0
	v_and_b32_e32 v28, 1, v8
	v_cmp_lt_u64_e32 vcc_lo, v[25:26], v[15:16]
	s_delay_alu instid0(VALU_DEP_2)
	v_cmp_eq_u32_e64 s0, 1, v28
	s_or_b32 s1, s13, vcc_lo
	s_wait_alu 0xfffe
	s_and_b32 s1, s1, s0
	s_wait_alu 0xfffe
	s_and_saveexec_b32 s0, s1
	s_cbranch_execz .LBB474_122
; %bb.121:
	v_lshlrev_b64_e32 v[34:35], 2, v[25:26]
	s_delay_alu instid0(VALU_DEP_1) | instskip(SKIP_1) | instid1(VALU_DEP_2)
	v_add_co_u32 v34, vcc_lo, s4, v34
	s_wait_alu 0xfffd
	v_add_co_ci_u32_e64 v35, null, s5, v35, vcc_lo
	global_store_b32 v[34:35], v14, off
.LBB474_122:
	s_wait_alu 0xfffe
	s_or_b32 exec_lo, exec_lo, s0
	v_and_b32_e32 v26, 1, v1
	v_cmp_lt_u64_e32 vcc_lo, v[23:24], v[15:16]
	s_delay_alu instid0(VALU_DEP_2)
	v_cmp_eq_u32_e64 s0, 1, v26
	;; [unrolled: 20-line block ×5, first 2 shown]
	s_or_b32 s1, s13, vcc_lo
	s_wait_alu 0xfffe
	s_and_b32 s1, s1, s0
	s_wait_alu 0xfffe
	s_and_saveexec_b32 s0, s1
	s_cbranch_execz .LBB474_130
; %bb.129:
	v_lshlrev_b64_e32 v[34:35], 2, v[6:7]
	s_delay_alu instid0(VALU_DEP_1) | instskip(SKIP_1) | instid1(VALU_DEP_2)
	v_add_co_u32 v34, vcc_lo, s4, v34
	s_wait_alu 0xfffd
	v_add_co_ci_u32_e64 v35, null, s5, v35, vcc_lo
	global_store_b32 v[34:35], v10, off
.LBB474_130:
	s_wait_alu 0xfffe
	s_or_b32 exec_lo, exec_lo, s0
	v_cmp_lt_u64_e32 vcc_lo, v[17:18], v[15:16]
	s_or_b32 s0, s13, vcc_lo
	s_wait_alu 0xfffe
	s_and_b32 s1, s0, s14
	s_wait_alu 0xfffe
	s_and_saveexec_b32 s0, s1
	s_cbranch_execz .LBB474_132
; %bb.131:
	v_lshlrev_b64_e32 v[15:16], 2, v[17:18]
	s_delay_alu instid0(VALU_DEP_1) | instskip(SKIP_1) | instid1(VALU_DEP_2)
	v_add_co_u32 v15, vcc_lo, s4, v15
	s_wait_alu 0xfffd
	v_add_co_ci_u32_e64 v16, null, s5, v16, vcc_lo
	global_store_b32 v[15:16], v29, off
.LBB474_132:
	s_wait_alu 0xfffe
	s_or_b32 exec_lo, exec_lo, s0
	s_branch .LBB474_116
.LBB474_133:
	s_mov_b32 s0, exec_lo
	v_cmpx_eq_u32_e32 1, v33
; %bb.134:
	v_sub_nc_u32_e32 v7, v27, v4
	s_delay_alu instid0(VALU_DEP_1)
	v_lshlrev_b32_e32 v7, 2, v7
	ds_store_b32 v7, v13
; %bb.135:
	s_wait_alu 0xfffe
	s_or_b32 exec_lo, exec_lo, s0
	v_and_b32_e32 v7, 1, v8
	s_mov_b32 s0, exec_lo
	s_delay_alu instid0(VALU_DEP_1)
	v_cmpx_eq_u32_e32 1, v7
; %bb.136:
	v_sub_nc_u32_e32 v7, v25, v4
	s_delay_alu instid0(VALU_DEP_1)
	v_lshlrev_b32_e32 v7, 2, v7
	ds_store_b32 v7, v14
; %bb.137:
	s_wait_alu 0xfffe
	s_or_b32 exec_lo, exec_lo, s0
	v_and_b32_e32 v1, 1, v1
	s_mov_b32 s0, exec_lo
	s_delay_alu instid0(VALU_DEP_1)
	v_cmpx_eq_u32_e32 1, v1
; %bb.138:
	v_sub_nc_u32_e32 v1, v23, v4
	s_delay_alu instid0(VALU_DEP_1)
	v_lshlrev_b32_e32 v1, 2, v1
	ds_store_b32 v1, v11
; %bb.139:
	s_wait_alu 0xfffe
	s_or_b32 exec_lo, exec_lo, s0
	v_and_b32_e32 v1, 1, v32
	s_mov_b32 s0, exec_lo
	s_delay_alu instid0(VALU_DEP_1)
	v_cmpx_eq_u32_e32 1, v1
; %bb.140:
	v_sub_nc_u32_e32 v1, v21, v4
	s_delay_alu instid0(VALU_DEP_1)
	v_lshlrev_b32_e32 v1, 2, v1
	ds_store_b32 v1, v12
; %bb.141:
	s_wait_alu 0xfffe
	s_or_b32 exec_lo, exec_lo, s0
	v_and_b32_e32 v1, 1, v31
	s_mov_b32 s0, exec_lo
	s_delay_alu instid0(VALU_DEP_1)
	v_cmpx_eq_u32_e32 1, v1
; %bb.142:
	v_sub_nc_u32_e32 v1, v19, v4
	s_delay_alu instid0(VALU_DEP_1)
	v_lshlrev_b32_e32 v1, 2, v1
	ds_store_b32 v1, v9
; %bb.143:
	s_wait_alu 0xfffe
	s_or_b32 exec_lo, exec_lo, s0
	v_and_b32_e32 v1, 1, v30
	s_mov_b32 s0, exec_lo
	s_delay_alu instid0(VALU_DEP_1)
	v_cmpx_eq_u32_e32 1, v1
; %bb.144:
	v_sub_nc_u32_e32 v1, v6, v4
	s_delay_alu instid0(VALU_DEP_1)
	v_lshlrev_b32_e32 v1, 2, v1
	ds_store_b32 v1, v10
; %bb.145:
	s_wait_alu 0xfffe
	s_or_b32 exec_lo, exec_lo, s0
	s_and_saveexec_b32 s0, s14
; %bb.146:
	v_sub_nc_u32_e32 v1, v17, v4
	s_delay_alu instid0(VALU_DEP_1)
	v_lshlrev_b32_e32 v1, 2, v1
	ds_store_b32 v1, v29
; %bb.147:
	s_wait_alu 0xfffe
	s_or_b32 exec_lo, exec_lo, s0
	v_dual_mov_b32 v7, 0 :: v_dual_add_nc_u32 v6, 0x180, v0
	v_lshlrev_b64_e32 v[8:9], 2, v[4:5]
	s_lshl_b64 s[0:1], s[10:11], 2
	s_wait_storecnt 0x0
	s_wait_loadcnt_dscnt 0x0
	v_mov_b32_e32 v1, v7
	s_wait_kmcnt 0x0
	s_wait_alu 0xfffe
	s_add_nc_u64 s[0:1], s[2:3], s[0:1]
	s_barrier_signal -1
	s_wait_alu 0xfffe
	v_add_co_u32 v10, vcc_lo, s0, v8
	s_wait_alu 0xfffd
	v_add_co_ci_u32_e64 v11, null, s1, v9, vcc_lo
	v_dual_mov_b32 v9, v1 :: v_dual_mov_b32 v8, v0
	s_mov_b32 s1, 0
	s_barrier_wait -1
	global_inv scope:SCOPE_SE
.LBB474_148:                            ; =>This Inner Loop Header: Depth=1
	v_lshlrev_b32_e32 v1, 2, v8
	v_lshlrev_b64_e32 v[12:13], 2, v[8:9]
	v_dual_mov_b32 v9, v7 :: v_dual_mov_b32 v8, v6
	v_cmp_le_u64_e32 vcc_lo, v[2:3], v[6:7]
	ds_load_b32 v1, v1
	v_add_nc_u32_e32 v6, 0x180, v6
	v_add_co_u32 v12, s0, v10, v12
	s_wait_alu 0xf1ff
	v_add_co_ci_u32_e64 v13, null, v11, v13, s0
	s_wait_alu 0xfffe
	s_or_b32 s1, vcc_lo, s1
	s_wait_dscnt 0x0
	global_store_b32 v[12:13], v1, off
	s_wait_alu 0xfffe
	s_and_not1_b32 exec_lo, exec_lo, s1
	s_cbranch_execnz .LBB474_148
; %bb.149:
	s_or_b32 exec_lo, exec_lo, s1
	v_cmp_eq_u32_e32 vcc_lo, 0, v0
	s_and_b32 s0, vcc_lo, s12
	s_wait_alu 0xfffe
	s_and_saveexec_b32 s1, s0
	s_cbranch_execz .LBB474_117
.LBB474_150:
	v_add_co_u32 v0, vcc_lo, v4, v2
	s_wait_alu 0xfffd
	v_add_co_ci_u32_e64 v1, null, v5, v3, vcc_lo
	v_mov_b32_e32 v2, 0
	s_delay_alu instid0(VALU_DEP_3) | instskip(SKIP_1) | instid1(VALU_DEP_3)
	v_add_co_u32 v0, vcc_lo, v0, s10
	s_wait_alu 0xfffd
	v_add_co_ci_u32_e64 v1, null, s11, v1, vcc_lo
	global_store_b64 v2, v[0:1], s[8:9]
	s_endpgm
	.section	.rodata,"a",@progbits
	.p2align	6, 0x0
	.amdhsa_kernel _ZN7rocprim17ROCPRIM_400000_NS6detail17trampoline_kernelINS0_14default_configENS1_25partition_config_selectorILNS1_17partition_subalgoE6EiNS0_10empty_typeEbEEZZNS1_14partition_implILS5_6ELb0ES3_mN6thrust23THRUST_200600_302600_NS6detail15normal_iteratorINSA_10device_ptrIiEEEEPS6_SG_NS0_5tupleIJSF_S6_EEENSH_IJSG_SG_EEES6_PlJNSB_9not_fun_tINSB_14equal_to_valueIiEEEEEEE10hipError_tPvRmT3_T4_T5_T6_T7_T9_mT8_P12ihipStream_tbDpT10_ENKUlT_T0_E_clISt17integral_constantIbLb0EES18_EEDaS13_S14_EUlS13_E_NS1_11comp_targetILNS1_3genE10ELNS1_11target_archE1200ELNS1_3gpuE4ELNS1_3repE0EEENS1_30default_config_static_selectorELNS0_4arch9wavefront6targetE0EEEvT1_
		.amdhsa_group_segment_fixed_size 10768
		.amdhsa_private_segment_fixed_size 0
		.amdhsa_kernarg_size 120
		.amdhsa_user_sgpr_count 2
		.amdhsa_user_sgpr_dispatch_ptr 0
		.amdhsa_user_sgpr_queue_ptr 0
		.amdhsa_user_sgpr_kernarg_segment_ptr 1
		.amdhsa_user_sgpr_dispatch_id 0
		.amdhsa_user_sgpr_private_segment_size 0
		.amdhsa_wavefront_size32 1
		.amdhsa_uses_dynamic_stack 0
		.amdhsa_enable_private_segment 0
		.amdhsa_system_sgpr_workgroup_id_x 1
		.amdhsa_system_sgpr_workgroup_id_y 0
		.amdhsa_system_sgpr_workgroup_id_z 0
		.amdhsa_system_sgpr_workgroup_info 0
		.amdhsa_system_vgpr_workitem_id 0
		.amdhsa_next_free_vgpr 49
		.amdhsa_next_free_sgpr 18
		.amdhsa_reserve_vcc 1
		.amdhsa_float_round_mode_32 0
		.amdhsa_float_round_mode_16_64 0
		.amdhsa_float_denorm_mode_32 3
		.amdhsa_float_denorm_mode_16_64 3
		.amdhsa_fp16_overflow 0
		.amdhsa_workgroup_processor_mode 1
		.amdhsa_memory_ordered 1
		.amdhsa_forward_progress 1
		.amdhsa_inst_pref_size 59
		.amdhsa_round_robin_scheduling 0
		.amdhsa_exception_fp_ieee_invalid_op 0
		.amdhsa_exception_fp_denorm_src 0
		.amdhsa_exception_fp_ieee_div_zero 0
		.amdhsa_exception_fp_ieee_overflow 0
		.amdhsa_exception_fp_ieee_underflow 0
		.amdhsa_exception_fp_ieee_inexact 0
		.amdhsa_exception_int_div_zero 0
	.end_amdhsa_kernel
	.section	.text._ZN7rocprim17ROCPRIM_400000_NS6detail17trampoline_kernelINS0_14default_configENS1_25partition_config_selectorILNS1_17partition_subalgoE6EiNS0_10empty_typeEbEEZZNS1_14partition_implILS5_6ELb0ES3_mN6thrust23THRUST_200600_302600_NS6detail15normal_iteratorINSA_10device_ptrIiEEEEPS6_SG_NS0_5tupleIJSF_S6_EEENSH_IJSG_SG_EEES6_PlJNSB_9not_fun_tINSB_14equal_to_valueIiEEEEEEE10hipError_tPvRmT3_T4_T5_T6_T7_T9_mT8_P12ihipStream_tbDpT10_ENKUlT_T0_E_clISt17integral_constantIbLb0EES18_EEDaS13_S14_EUlS13_E_NS1_11comp_targetILNS1_3genE10ELNS1_11target_archE1200ELNS1_3gpuE4ELNS1_3repE0EEENS1_30default_config_static_selectorELNS0_4arch9wavefront6targetE0EEEvT1_,"axG",@progbits,_ZN7rocprim17ROCPRIM_400000_NS6detail17trampoline_kernelINS0_14default_configENS1_25partition_config_selectorILNS1_17partition_subalgoE6EiNS0_10empty_typeEbEEZZNS1_14partition_implILS5_6ELb0ES3_mN6thrust23THRUST_200600_302600_NS6detail15normal_iteratorINSA_10device_ptrIiEEEEPS6_SG_NS0_5tupleIJSF_S6_EEENSH_IJSG_SG_EEES6_PlJNSB_9not_fun_tINSB_14equal_to_valueIiEEEEEEE10hipError_tPvRmT3_T4_T5_T6_T7_T9_mT8_P12ihipStream_tbDpT10_ENKUlT_T0_E_clISt17integral_constantIbLb0EES18_EEDaS13_S14_EUlS13_E_NS1_11comp_targetILNS1_3genE10ELNS1_11target_archE1200ELNS1_3gpuE4ELNS1_3repE0EEENS1_30default_config_static_selectorELNS0_4arch9wavefront6targetE0EEEvT1_,comdat
.Lfunc_end474:
	.size	_ZN7rocprim17ROCPRIM_400000_NS6detail17trampoline_kernelINS0_14default_configENS1_25partition_config_selectorILNS1_17partition_subalgoE6EiNS0_10empty_typeEbEEZZNS1_14partition_implILS5_6ELb0ES3_mN6thrust23THRUST_200600_302600_NS6detail15normal_iteratorINSA_10device_ptrIiEEEEPS6_SG_NS0_5tupleIJSF_S6_EEENSH_IJSG_SG_EEES6_PlJNSB_9not_fun_tINSB_14equal_to_valueIiEEEEEEE10hipError_tPvRmT3_T4_T5_T6_T7_T9_mT8_P12ihipStream_tbDpT10_ENKUlT_T0_E_clISt17integral_constantIbLb0EES18_EEDaS13_S14_EUlS13_E_NS1_11comp_targetILNS1_3genE10ELNS1_11target_archE1200ELNS1_3gpuE4ELNS1_3repE0EEENS1_30default_config_static_selectorELNS0_4arch9wavefront6targetE0EEEvT1_, .Lfunc_end474-_ZN7rocprim17ROCPRIM_400000_NS6detail17trampoline_kernelINS0_14default_configENS1_25partition_config_selectorILNS1_17partition_subalgoE6EiNS0_10empty_typeEbEEZZNS1_14partition_implILS5_6ELb0ES3_mN6thrust23THRUST_200600_302600_NS6detail15normal_iteratorINSA_10device_ptrIiEEEEPS6_SG_NS0_5tupleIJSF_S6_EEENSH_IJSG_SG_EEES6_PlJNSB_9not_fun_tINSB_14equal_to_valueIiEEEEEEE10hipError_tPvRmT3_T4_T5_T6_T7_T9_mT8_P12ihipStream_tbDpT10_ENKUlT_T0_E_clISt17integral_constantIbLb0EES18_EEDaS13_S14_EUlS13_E_NS1_11comp_targetILNS1_3genE10ELNS1_11target_archE1200ELNS1_3gpuE4ELNS1_3repE0EEENS1_30default_config_static_selectorELNS0_4arch9wavefront6targetE0EEEvT1_
                                        ; -- End function
	.set _ZN7rocprim17ROCPRIM_400000_NS6detail17trampoline_kernelINS0_14default_configENS1_25partition_config_selectorILNS1_17partition_subalgoE6EiNS0_10empty_typeEbEEZZNS1_14partition_implILS5_6ELb0ES3_mN6thrust23THRUST_200600_302600_NS6detail15normal_iteratorINSA_10device_ptrIiEEEEPS6_SG_NS0_5tupleIJSF_S6_EEENSH_IJSG_SG_EEES6_PlJNSB_9not_fun_tINSB_14equal_to_valueIiEEEEEEE10hipError_tPvRmT3_T4_T5_T6_T7_T9_mT8_P12ihipStream_tbDpT10_ENKUlT_T0_E_clISt17integral_constantIbLb0EES18_EEDaS13_S14_EUlS13_E_NS1_11comp_targetILNS1_3genE10ELNS1_11target_archE1200ELNS1_3gpuE4ELNS1_3repE0EEENS1_30default_config_static_selectorELNS0_4arch9wavefront6targetE0EEEvT1_.num_vgpr, 49
	.set _ZN7rocprim17ROCPRIM_400000_NS6detail17trampoline_kernelINS0_14default_configENS1_25partition_config_selectorILNS1_17partition_subalgoE6EiNS0_10empty_typeEbEEZZNS1_14partition_implILS5_6ELb0ES3_mN6thrust23THRUST_200600_302600_NS6detail15normal_iteratorINSA_10device_ptrIiEEEEPS6_SG_NS0_5tupleIJSF_S6_EEENSH_IJSG_SG_EEES6_PlJNSB_9not_fun_tINSB_14equal_to_valueIiEEEEEEE10hipError_tPvRmT3_T4_T5_T6_T7_T9_mT8_P12ihipStream_tbDpT10_ENKUlT_T0_E_clISt17integral_constantIbLb0EES18_EEDaS13_S14_EUlS13_E_NS1_11comp_targetILNS1_3genE10ELNS1_11target_archE1200ELNS1_3gpuE4ELNS1_3repE0EEENS1_30default_config_static_selectorELNS0_4arch9wavefront6targetE0EEEvT1_.num_agpr, 0
	.set _ZN7rocprim17ROCPRIM_400000_NS6detail17trampoline_kernelINS0_14default_configENS1_25partition_config_selectorILNS1_17partition_subalgoE6EiNS0_10empty_typeEbEEZZNS1_14partition_implILS5_6ELb0ES3_mN6thrust23THRUST_200600_302600_NS6detail15normal_iteratorINSA_10device_ptrIiEEEEPS6_SG_NS0_5tupleIJSF_S6_EEENSH_IJSG_SG_EEES6_PlJNSB_9not_fun_tINSB_14equal_to_valueIiEEEEEEE10hipError_tPvRmT3_T4_T5_T6_T7_T9_mT8_P12ihipStream_tbDpT10_ENKUlT_T0_E_clISt17integral_constantIbLb0EES18_EEDaS13_S14_EUlS13_E_NS1_11comp_targetILNS1_3genE10ELNS1_11target_archE1200ELNS1_3gpuE4ELNS1_3repE0EEENS1_30default_config_static_selectorELNS0_4arch9wavefront6targetE0EEEvT1_.numbered_sgpr, 18
	.set _ZN7rocprim17ROCPRIM_400000_NS6detail17trampoline_kernelINS0_14default_configENS1_25partition_config_selectorILNS1_17partition_subalgoE6EiNS0_10empty_typeEbEEZZNS1_14partition_implILS5_6ELb0ES3_mN6thrust23THRUST_200600_302600_NS6detail15normal_iteratorINSA_10device_ptrIiEEEEPS6_SG_NS0_5tupleIJSF_S6_EEENSH_IJSG_SG_EEES6_PlJNSB_9not_fun_tINSB_14equal_to_valueIiEEEEEEE10hipError_tPvRmT3_T4_T5_T6_T7_T9_mT8_P12ihipStream_tbDpT10_ENKUlT_T0_E_clISt17integral_constantIbLb0EES18_EEDaS13_S14_EUlS13_E_NS1_11comp_targetILNS1_3genE10ELNS1_11target_archE1200ELNS1_3gpuE4ELNS1_3repE0EEENS1_30default_config_static_selectorELNS0_4arch9wavefront6targetE0EEEvT1_.num_named_barrier, 0
	.set _ZN7rocprim17ROCPRIM_400000_NS6detail17trampoline_kernelINS0_14default_configENS1_25partition_config_selectorILNS1_17partition_subalgoE6EiNS0_10empty_typeEbEEZZNS1_14partition_implILS5_6ELb0ES3_mN6thrust23THRUST_200600_302600_NS6detail15normal_iteratorINSA_10device_ptrIiEEEEPS6_SG_NS0_5tupleIJSF_S6_EEENSH_IJSG_SG_EEES6_PlJNSB_9not_fun_tINSB_14equal_to_valueIiEEEEEEE10hipError_tPvRmT3_T4_T5_T6_T7_T9_mT8_P12ihipStream_tbDpT10_ENKUlT_T0_E_clISt17integral_constantIbLb0EES18_EEDaS13_S14_EUlS13_E_NS1_11comp_targetILNS1_3genE10ELNS1_11target_archE1200ELNS1_3gpuE4ELNS1_3repE0EEENS1_30default_config_static_selectorELNS0_4arch9wavefront6targetE0EEEvT1_.private_seg_size, 0
	.set _ZN7rocprim17ROCPRIM_400000_NS6detail17trampoline_kernelINS0_14default_configENS1_25partition_config_selectorILNS1_17partition_subalgoE6EiNS0_10empty_typeEbEEZZNS1_14partition_implILS5_6ELb0ES3_mN6thrust23THRUST_200600_302600_NS6detail15normal_iteratorINSA_10device_ptrIiEEEEPS6_SG_NS0_5tupleIJSF_S6_EEENSH_IJSG_SG_EEES6_PlJNSB_9not_fun_tINSB_14equal_to_valueIiEEEEEEE10hipError_tPvRmT3_T4_T5_T6_T7_T9_mT8_P12ihipStream_tbDpT10_ENKUlT_T0_E_clISt17integral_constantIbLb0EES18_EEDaS13_S14_EUlS13_E_NS1_11comp_targetILNS1_3genE10ELNS1_11target_archE1200ELNS1_3gpuE4ELNS1_3repE0EEENS1_30default_config_static_selectorELNS0_4arch9wavefront6targetE0EEEvT1_.uses_vcc, 1
	.set _ZN7rocprim17ROCPRIM_400000_NS6detail17trampoline_kernelINS0_14default_configENS1_25partition_config_selectorILNS1_17partition_subalgoE6EiNS0_10empty_typeEbEEZZNS1_14partition_implILS5_6ELb0ES3_mN6thrust23THRUST_200600_302600_NS6detail15normal_iteratorINSA_10device_ptrIiEEEEPS6_SG_NS0_5tupleIJSF_S6_EEENSH_IJSG_SG_EEES6_PlJNSB_9not_fun_tINSB_14equal_to_valueIiEEEEEEE10hipError_tPvRmT3_T4_T5_T6_T7_T9_mT8_P12ihipStream_tbDpT10_ENKUlT_T0_E_clISt17integral_constantIbLb0EES18_EEDaS13_S14_EUlS13_E_NS1_11comp_targetILNS1_3genE10ELNS1_11target_archE1200ELNS1_3gpuE4ELNS1_3repE0EEENS1_30default_config_static_selectorELNS0_4arch9wavefront6targetE0EEEvT1_.uses_flat_scratch, 1
	.set _ZN7rocprim17ROCPRIM_400000_NS6detail17trampoline_kernelINS0_14default_configENS1_25partition_config_selectorILNS1_17partition_subalgoE6EiNS0_10empty_typeEbEEZZNS1_14partition_implILS5_6ELb0ES3_mN6thrust23THRUST_200600_302600_NS6detail15normal_iteratorINSA_10device_ptrIiEEEEPS6_SG_NS0_5tupleIJSF_S6_EEENSH_IJSG_SG_EEES6_PlJNSB_9not_fun_tINSB_14equal_to_valueIiEEEEEEE10hipError_tPvRmT3_T4_T5_T6_T7_T9_mT8_P12ihipStream_tbDpT10_ENKUlT_T0_E_clISt17integral_constantIbLb0EES18_EEDaS13_S14_EUlS13_E_NS1_11comp_targetILNS1_3genE10ELNS1_11target_archE1200ELNS1_3gpuE4ELNS1_3repE0EEENS1_30default_config_static_selectorELNS0_4arch9wavefront6targetE0EEEvT1_.has_dyn_sized_stack, 0
	.set _ZN7rocprim17ROCPRIM_400000_NS6detail17trampoline_kernelINS0_14default_configENS1_25partition_config_selectorILNS1_17partition_subalgoE6EiNS0_10empty_typeEbEEZZNS1_14partition_implILS5_6ELb0ES3_mN6thrust23THRUST_200600_302600_NS6detail15normal_iteratorINSA_10device_ptrIiEEEEPS6_SG_NS0_5tupleIJSF_S6_EEENSH_IJSG_SG_EEES6_PlJNSB_9not_fun_tINSB_14equal_to_valueIiEEEEEEE10hipError_tPvRmT3_T4_T5_T6_T7_T9_mT8_P12ihipStream_tbDpT10_ENKUlT_T0_E_clISt17integral_constantIbLb0EES18_EEDaS13_S14_EUlS13_E_NS1_11comp_targetILNS1_3genE10ELNS1_11target_archE1200ELNS1_3gpuE4ELNS1_3repE0EEENS1_30default_config_static_selectorELNS0_4arch9wavefront6targetE0EEEvT1_.has_recursion, 0
	.set _ZN7rocprim17ROCPRIM_400000_NS6detail17trampoline_kernelINS0_14default_configENS1_25partition_config_selectorILNS1_17partition_subalgoE6EiNS0_10empty_typeEbEEZZNS1_14partition_implILS5_6ELb0ES3_mN6thrust23THRUST_200600_302600_NS6detail15normal_iteratorINSA_10device_ptrIiEEEEPS6_SG_NS0_5tupleIJSF_S6_EEENSH_IJSG_SG_EEES6_PlJNSB_9not_fun_tINSB_14equal_to_valueIiEEEEEEE10hipError_tPvRmT3_T4_T5_T6_T7_T9_mT8_P12ihipStream_tbDpT10_ENKUlT_T0_E_clISt17integral_constantIbLb0EES18_EEDaS13_S14_EUlS13_E_NS1_11comp_targetILNS1_3genE10ELNS1_11target_archE1200ELNS1_3gpuE4ELNS1_3repE0EEENS1_30default_config_static_selectorELNS0_4arch9wavefront6targetE0EEEvT1_.has_indirect_call, 0
	.section	.AMDGPU.csdata,"",@progbits
; Kernel info:
; codeLenInByte = 7456
; TotalNumSgprs: 20
; NumVgprs: 49
; ScratchSize: 0
; MemoryBound: 0
; FloatMode: 240
; IeeeMode: 1
; LDSByteSize: 10768 bytes/workgroup (compile time only)
; SGPRBlocks: 0
; VGPRBlocks: 6
; NumSGPRsForWavesPerEU: 20
; NumVGPRsForWavesPerEU: 49
; Occupancy: 15
; WaveLimiterHint : 1
; COMPUTE_PGM_RSRC2:SCRATCH_EN: 0
; COMPUTE_PGM_RSRC2:USER_SGPR: 2
; COMPUTE_PGM_RSRC2:TRAP_HANDLER: 0
; COMPUTE_PGM_RSRC2:TGID_X_EN: 1
; COMPUTE_PGM_RSRC2:TGID_Y_EN: 0
; COMPUTE_PGM_RSRC2:TGID_Z_EN: 0
; COMPUTE_PGM_RSRC2:TIDIG_COMP_CNT: 0
	.section	.text._ZN7rocprim17ROCPRIM_400000_NS6detail17trampoline_kernelINS0_14default_configENS1_25partition_config_selectorILNS1_17partition_subalgoE6EiNS0_10empty_typeEbEEZZNS1_14partition_implILS5_6ELb0ES3_mN6thrust23THRUST_200600_302600_NS6detail15normal_iteratorINSA_10device_ptrIiEEEEPS6_SG_NS0_5tupleIJSF_S6_EEENSH_IJSG_SG_EEES6_PlJNSB_9not_fun_tINSB_14equal_to_valueIiEEEEEEE10hipError_tPvRmT3_T4_T5_T6_T7_T9_mT8_P12ihipStream_tbDpT10_ENKUlT_T0_E_clISt17integral_constantIbLb0EES18_EEDaS13_S14_EUlS13_E_NS1_11comp_targetILNS1_3genE9ELNS1_11target_archE1100ELNS1_3gpuE3ELNS1_3repE0EEENS1_30default_config_static_selectorELNS0_4arch9wavefront6targetE0EEEvT1_,"axG",@progbits,_ZN7rocprim17ROCPRIM_400000_NS6detail17trampoline_kernelINS0_14default_configENS1_25partition_config_selectorILNS1_17partition_subalgoE6EiNS0_10empty_typeEbEEZZNS1_14partition_implILS5_6ELb0ES3_mN6thrust23THRUST_200600_302600_NS6detail15normal_iteratorINSA_10device_ptrIiEEEEPS6_SG_NS0_5tupleIJSF_S6_EEENSH_IJSG_SG_EEES6_PlJNSB_9not_fun_tINSB_14equal_to_valueIiEEEEEEE10hipError_tPvRmT3_T4_T5_T6_T7_T9_mT8_P12ihipStream_tbDpT10_ENKUlT_T0_E_clISt17integral_constantIbLb0EES18_EEDaS13_S14_EUlS13_E_NS1_11comp_targetILNS1_3genE9ELNS1_11target_archE1100ELNS1_3gpuE3ELNS1_3repE0EEENS1_30default_config_static_selectorELNS0_4arch9wavefront6targetE0EEEvT1_,comdat
	.protected	_ZN7rocprim17ROCPRIM_400000_NS6detail17trampoline_kernelINS0_14default_configENS1_25partition_config_selectorILNS1_17partition_subalgoE6EiNS0_10empty_typeEbEEZZNS1_14partition_implILS5_6ELb0ES3_mN6thrust23THRUST_200600_302600_NS6detail15normal_iteratorINSA_10device_ptrIiEEEEPS6_SG_NS0_5tupleIJSF_S6_EEENSH_IJSG_SG_EEES6_PlJNSB_9not_fun_tINSB_14equal_to_valueIiEEEEEEE10hipError_tPvRmT3_T4_T5_T6_T7_T9_mT8_P12ihipStream_tbDpT10_ENKUlT_T0_E_clISt17integral_constantIbLb0EES18_EEDaS13_S14_EUlS13_E_NS1_11comp_targetILNS1_3genE9ELNS1_11target_archE1100ELNS1_3gpuE3ELNS1_3repE0EEENS1_30default_config_static_selectorELNS0_4arch9wavefront6targetE0EEEvT1_ ; -- Begin function _ZN7rocprim17ROCPRIM_400000_NS6detail17trampoline_kernelINS0_14default_configENS1_25partition_config_selectorILNS1_17partition_subalgoE6EiNS0_10empty_typeEbEEZZNS1_14partition_implILS5_6ELb0ES3_mN6thrust23THRUST_200600_302600_NS6detail15normal_iteratorINSA_10device_ptrIiEEEEPS6_SG_NS0_5tupleIJSF_S6_EEENSH_IJSG_SG_EEES6_PlJNSB_9not_fun_tINSB_14equal_to_valueIiEEEEEEE10hipError_tPvRmT3_T4_T5_T6_T7_T9_mT8_P12ihipStream_tbDpT10_ENKUlT_T0_E_clISt17integral_constantIbLb0EES18_EEDaS13_S14_EUlS13_E_NS1_11comp_targetILNS1_3genE9ELNS1_11target_archE1100ELNS1_3gpuE3ELNS1_3repE0EEENS1_30default_config_static_selectorELNS0_4arch9wavefront6targetE0EEEvT1_
	.globl	_ZN7rocprim17ROCPRIM_400000_NS6detail17trampoline_kernelINS0_14default_configENS1_25partition_config_selectorILNS1_17partition_subalgoE6EiNS0_10empty_typeEbEEZZNS1_14partition_implILS5_6ELb0ES3_mN6thrust23THRUST_200600_302600_NS6detail15normal_iteratorINSA_10device_ptrIiEEEEPS6_SG_NS0_5tupleIJSF_S6_EEENSH_IJSG_SG_EEES6_PlJNSB_9not_fun_tINSB_14equal_to_valueIiEEEEEEE10hipError_tPvRmT3_T4_T5_T6_T7_T9_mT8_P12ihipStream_tbDpT10_ENKUlT_T0_E_clISt17integral_constantIbLb0EES18_EEDaS13_S14_EUlS13_E_NS1_11comp_targetILNS1_3genE9ELNS1_11target_archE1100ELNS1_3gpuE3ELNS1_3repE0EEENS1_30default_config_static_selectorELNS0_4arch9wavefront6targetE0EEEvT1_
	.p2align	8
	.type	_ZN7rocprim17ROCPRIM_400000_NS6detail17trampoline_kernelINS0_14default_configENS1_25partition_config_selectorILNS1_17partition_subalgoE6EiNS0_10empty_typeEbEEZZNS1_14partition_implILS5_6ELb0ES3_mN6thrust23THRUST_200600_302600_NS6detail15normal_iteratorINSA_10device_ptrIiEEEEPS6_SG_NS0_5tupleIJSF_S6_EEENSH_IJSG_SG_EEES6_PlJNSB_9not_fun_tINSB_14equal_to_valueIiEEEEEEE10hipError_tPvRmT3_T4_T5_T6_T7_T9_mT8_P12ihipStream_tbDpT10_ENKUlT_T0_E_clISt17integral_constantIbLb0EES18_EEDaS13_S14_EUlS13_E_NS1_11comp_targetILNS1_3genE9ELNS1_11target_archE1100ELNS1_3gpuE3ELNS1_3repE0EEENS1_30default_config_static_selectorELNS0_4arch9wavefront6targetE0EEEvT1_,@function
_ZN7rocprim17ROCPRIM_400000_NS6detail17trampoline_kernelINS0_14default_configENS1_25partition_config_selectorILNS1_17partition_subalgoE6EiNS0_10empty_typeEbEEZZNS1_14partition_implILS5_6ELb0ES3_mN6thrust23THRUST_200600_302600_NS6detail15normal_iteratorINSA_10device_ptrIiEEEEPS6_SG_NS0_5tupleIJSF_S6_EEENSH_IJSG_SG_EEES6_PlJNSB_9not_fun_tINSB_14equal_to_valueIiEEEEEEE10hipError_tPvRmT3_T4_T5_T6_T7_T9_mT8_P12ihipStream_tbDpT10_ENKUlT_T0_E_clISt17integral_constantIbLb0EES18_EEDaS13_S14_EUlS13_E_NS1_11comp_targetILNS1_3genE9ELNS1_11target_archE1100ELNS1_3gpuE3ELNS1_3repE0EEENS1_30default_config_static_selectorELNS0_4arch9wavefront6targetE0EEEvT1_: ; @_ZN7rocprim17ROCPRIM_400000_NS6detail17trampoline_kernelINS0_14default_configENS1_25partition_config_selectorILNS1_17partition_subalgoE6EiNS0_10empty_typeEbEEZZNS1_14partition_implILS5_6ELb0ES3_mN6thrust23THRUST_200600_302600_NS6detail15normal_iteratorINSA_10device_ptrIiEEEEPS6_SG_NS0_5tupleIJSF_S6_EEENSH_IJSG_SG_EEES6_PlJNSB_9not_fun_tINSB_14equal_to_valueIiEEEEEEE10hipError_tPvRmT3_T4_T5_T6_T7_T9_mT8_P12ihipStream_tbDpT10_ENKUlT_T0_E_clISt17integral_constantIbLb0EES18_EEDaS13_S14_EUlS13_E_NS1_11comp_targetILNS1_3genE9ELNS1_11target_archE1100ELNS1_3gpuE3ELNS1_3repE0EEENS1_30default_config_static_selectorELNS0_4arch9wavefront6targetE0EEEvT1_
; %bb.0:
	.section	.rodata,"a",@progbits
	.p2align	6, 0x0
	.amdhsa_kernel _ZN7rocprim17ROCPRIM_400000_NS6detail17trampoline_kernelINS0_14default_configENS1_25partition_config_selectorILNS1_17partition_subalgoE6EiNS0_10empty_typeEbEEZZNS1_14partition_implILS5_6ELb0ES3_mN6thrust23THRUST_200600_302600_NS6detail15normal_iteratorINSA_10device_ptrIiEEEEPS6_SG_NS0_5tupleIJSF_S6_EEENSH_IJSG_SG_EEES6_PlJNSB_9not_fun_tINSB_14equal_to_valueIiEEEEEEE10hipError_tPvRmT3_T4_T5_T6_T7_T9_mT8_P12ihipStream_tbDpT10_ENKUlT_T0_E_clISt17integral_constantIbLb0EES18_EEDaS13_S14_EUlS13_E_NS1_11comp_targetILNS1_3genE9ELNS1_11target_archE1100ELNS1_3gpuE3ELNS1_3repE0EEENS1_30default_config_static_selectorELNS0_4arch9wavefront6targetE0EEEvT1_
		.amdhsa_group_segment_fixed_size 0
		.amdhsa_private_segment_fixed_size 0
		.amdhsa_kernarg_size 120
		.amdhsa_user_sgpr_count 2
		.amdhsa_user_sgpr_dispatch_ptr 0
		.amdhsa_user_sgpr_queue_ptr 0
		.amdhsa_user_sgpr_kernarg_segment_ptr 1
		.amdhsa_user_sgpr_dispatch_id 0
		.amdhsa_user_sgpr_private_segment_size 0
		.amdhsa_wavefront_size32 1
		.amdhsa_uses_dynamic_stack 0
		.amdhsa_enable_private_segment 0
		.amdhsa_system_sgpr_workgroup_id_x 1
		.amdhsa_system_sgpr_workgroup_id_y 0
		.amdhsa_system_sgpr_workgroup_id_z 0
		.amdhsa_system_sgpr_workgroup_info 0
		.amdhsa_system_vgpr_workitem_id 0
		.amdhsa_next_free_vgpr 1
		.amdhsa_next_free_sgpr 1
		.amdhsa_reserve_vcc 0
		.amdhsa_float_round_mode_32 0
		.amdhsa_float_round_mode_16_64 0
		.amdhsa_float_denorm_mode_32 3
		.amdhsa_float_denorm_mode_16_64 3
		.amdhsa_fp16_overflow 0
		.amdhsa_workgroup_processor_mode 1
		.amdhsa_memory_ordered 1
		.amdhsa_forward_progress 1
		.amdhsa_inst_pref_size 0
		.amdhsa_round_robin_scheduling 0
		.amdhsa_exception_fp_ieee_invalid_op 0
		.amdhsa_exception_fp_denorm_src 0
		.amdhsa_exception_fp_ieee_div_zero 0
		.amdhsa_exception_fp_ieee_overflow 0
		.amdhsa_exception_fp_ieee_underflow 0
		.amdhsa_exception_fp_ieee_inexact 0
		.amdhsa_exception_int_div_zero 0
	.end_amdhsa_kernel
	.section	.text._ZN7rocprim17ROCPRIM_400000_NS6detail17trampoline_kernelINS0_14default_configENS1_25partition_config_selectorILNS1_17partition_subalgoE6EiNS0_10empty_typeEbEEZZNS1_14partition_implILS5_6ELb0ES3_mN6thrust23THRUST_200600_302600_NS6detail15normal_iteratorINSA_10device_ptrIiEEEEPS6_SG_NS0_5tupleIJSF_S6_EEENSH_IJSG_SG_EEES6_PlJNSB_9not_fun_tINSB_14equal_to_valueIiEEEEEEE10hipError_tPvRmT3_T4_T5_T6_T7_T9_mT8_P12ihipStream_tbDpT10_ENKUlT_T0_E_clISt17integral_constantIbLb0EES18_EEDaS13_S14_EUlS13_E_NS1_11comp_targetILNS1_3genE9ELNS1_11target_archE1100ELNS1_3gpuE3ELNS1_3repE0EEENS1_30default_config_static_selectorELNS0_4arch9wavefront6targetE0EEEvT1_,"axG",@progbits,_ZN7rocprim17ROCPRIM_400000_NS6detail17trampoline_kernelINS0_14default_configENS1_25partition_config_selectorILNS1_17partition_subalgoE6EiNS0_10empty_typeEbEEZZNS1_14partition_implILS5_6ELb0ES3_mN6thrust23THRUST_200600_302600_NS6detail15normal_iteratorINSA_10device_ptrIiEEEEPS6_SG_NS0_5tupleIJSF_S6_EEENSH_IJSG_SG_EEES6_PlJNSB_9not_fun_tINSB_14equal_to_valueIiEEEEEEE10hipError_tPvRmT3_T4_T5_T6_T7_T9_mT8_P12ihipStream_tbDpT10_ENKUlT_T0_E_clISt17integral_constantIbLb0EES18_EEDaS13_S14_EUlS13_E_NS1_11comp_targetILNS1_3genE9ELNS1_11target_archE1100ELNS1_3gpuE3ELNS1_3repE0EEENS1_30default_config_static_selectorELNS0_4arch9wavefront6targetE0EEEvT1_,comdat
.Lfunc_end475:
	.size	_ZN7rocprim17ROCPRIM_400000_NS6detail17trampoline_kernelINS0_14default_configENS1_25partition_config_selectorILNS1_17partition_subalgoE6EiNS0_10empty_typeEbEEZZNS1_14partition_implILS5_6ELb0ES3_mN6thrust23THRUST_200600_302600_NS6detail15normal_iteratorINSA_10device_ptrIiEEEEPS6_SG_NS0_5tupleIJSF_S6_EEENSH_IJSG_SG_EEES6_PlJNSB_9not_fun_tINSB_14equal_to_valueIiEEEEEEE10hipError_tPvRmT3_T4_T5_T6_T7_T9_mT8_P12ihipStream_tbDpT10_ENKUlT_T0_E_clISt17integral_constantIbLb0EES18_EEDaS13_S14_EUlS13_E_NS1_11comp_targetILNS1_3genE9ELNS1_11target_archE1100ELNS1_3gpuE3ELNS1_3repE0EEENS1_30default_config_static_selectorELNS0_4arch9wavefront6targetE0EEEvT1_, .Lfunc_end475-_ZN7rocprim17ROCPRIM_400000_NS6detail17trampoline_kernelINS0_14default_configENS1_25partition_config_selectorILNS1_17partition_subalgoE6EiNS0_10empty_typeEbEEZZNS1_14partition_implILS5_6ELb0ES3_mN6thrust23THRUST_200600_302600_NS6detail15normal_iteratorINSA_10device_ptrIiEEEEPS6_SG_NS0_5tupleIJSF_S6_EEENSH_IJSG_SG_EEES6_PlJNSB_9not_fun_tINSB_14equal_to_valueIiEEEEEEE10hipError_tPvRmT3_T4_T5_T6_T7_T9_mT8_P12ihipStream_tbDpT10_ENKUlT_T0_E_clISt17integral_constantIbLb0EES18_EEDaS13_S14_EUlS13_E_NS1_11comp_targetILNS1_3genE9ELNS1_11target_archE1100ELNS1_3gpuE3ELNS1_3repE0EEENS1_30default_config_static_selectorELNS0_4arch9wavefront6targetE0EEEvT1_
                                        ; -- End function
	.set _ZN7rocprim17ROCPRIM_400000_NS6detail17trampoline_kernelINS0_14default_configENS1_25partition_config_selectorILNS1_17partition_subalgoE6EiNS0_10empty_typeEbEEZZNS1_14partition_implILS5_6ELb0ES3_mN6thrust23THRUST_200600_302600_NS6detail15normal_iteratorINSA_10device_ptrIiEEEEPS6_SG_NS0_5tupleIJSF_S6_EEENSH_IJSG_SG_EEES6_PlJNSB_9not_fun_tINSB_14equal_to_valueIiEEEEEEE10hipError_tPvRmT3_T4_T5_T6_T7_T9_mT8_P12ihipStream_tbDpT10_ENKUlT_T0_E_clISt17integral_constantIbLb0EES18_EEDaS13_S14_EUlS13_E_NS1_11comp_targetILNS1_3genE9ELNS1_11target_archE1100ELNS1_3gpuE3ELNS1_3repE0EEENS1_30default_config_static_selectorELNS0_4arch9wavefront6targetE0EEEvT1_.num_vgpr, 0
	.set _ZN7rocprim17ROCPRIM_400000_NS6detail17trampoline_kernelINS0_14default_configENS1_25partition_config_selectorILNS1_17partition_subalgoE6EiNS0_10empty_typeEbEEZZNS1_14partition_implILS5_6ELb0ES3_mN6thrust23THRUST_200600_302600_NS6detail15normal_iteratorINSA_10device_ptrIiEEEEPS6_SG_NS0_5tupleIJSF_S6_EEENSH_IJSG_SG_EEES6_PlJNSB_9not_fun_tINSB_14equal_to_valueIiEEEEEEE10hipError_tPvRmT3_T4_T5_T6_T7_T9_mT8_P12ihipStream_tbDpT10_ENKUlT_T0_E_clISt17integral_constantIbLb0EES18_EEDaS13_S14_EUlS13_E_NS1_11comp_targetILNS1_3genE9ELNS1_11target_archE1100ELNS1_3gpuE3ELNS1_3repE0EEENS1_30default_config_static_selectorELNS0_4arch9wavefront6targetE0EEEvT1_.num_agpr, 0
	.set _ZN7rocprim17ROCPRIM_400000_NS6detail17trampoline_kernelINS0_14default_configENS1_25partition_config_selectorILNS1_17partition_subalgoE6EiNS0_10empty_typeEbEEZZNS1_14partition_implILS5_6ELb0ES3_mN6thrust23THRUST_200600_302600_NS6detail15normal_iteratorINSA_10device_ptrIiEEEEPS6_SG_NS0_5tupleIJSF_S6_EEENSH_IJSG_SG_EEES6_PlJNSB_9not_fun_tINSB_14equal_to_valueIiEEEEEEE10hipError_tPvRmT3_T4_T5_T6_T7_T9_mT8_P12ihipStream_tbDpT10_ENKUlT_T0_E_clISt17integral_constantIbLb0EES18_EEDaS13_S14_EUlS13_E_NS1_11comp_targetILNS1_3genE9ELNS1_11target_archE1100ELNS1_3gpuE3ELNS1_3repE0EEENS1_30default_config_static_selectorELNS0_4arch9wavefront6targetE0EEEvT1_.numbered_sgpr, 0
	.set _ZN7rocprim17ROCPRIM_400000_NS6detail17trampoline_kernelINS0_14default_configENS1_25partition_config_selectorILNS1_17partition_subalgoE6EiNS0_10empty_typeEbEEZZNS1_14partition_implILS5_6ELb0ES3_mN6thrust23THRUST_200600_302600_NS6detail15normal_iteratorINSA_10device_ptrIiEEEEPS6_SG_NS0_5tupleIJSF_S6_EEENSH_IJSG_SG_EEES6_PlJNSB_9not_fun_tINSB_14equal_to_valueIiEEEEEEE10hipError_tPvRmT3_T4_T5_T6_T7_T9_mT8_P12ihipStream_tbDpT10_ENKUlT_T0_E_clISt17integral_constantIbLb0EES18_EEDaS13_S14_EUlS13_E_NS1_11comp_targetILNS1_3genE9ELNS1_11target_archE1100ELNS1_3gpuE3ELNS1_3repE0EEENS1_30default_config_static_selectorELNS0_4arch9wavefront6targetE0EEEvT1_.num_named_barrier, 0
	.set _ZN7rocprim17ROCPRIM_400000_NS6detail17trampoline_kernelINS0_14default_configENS1_25partition_config_selectorILNS1_17partition_subalgoE6EiNS0_10empty_typeEbEEZZNS1_14partition_implILS5_6ELb0ES3_mN6thrust23THRUST_200600_302600_NS6detail15normal_iteratorINSA_10device_ptrIiEEEEPS6_SG_NS0_5tupleIJSF_S6_EEENSH_IJSG_SG_EEES6_PlJNSB_9not_fun_tINSB_14equal_to_valueIiEEEEEEE10hipError_tPvRmT3_T4_T5_T6_T7_T9_mT8_P12ihipStream_tbDpT10_ENKUlT_T0_E_clISt17integral_constantIbLb0EES18_EEDaS13_S14_EUlS13_E_NS1_11comp_targetILNS1_3genE9ELNS1_11target_archE1100ELNS1_3gpuE3ELNS1_3repE0EEENS1_30default_config_static_selectorELNS0_4arch9wavefront6targetE0EEEvT1_.private_seg_size, 0
	.set _ZN7rocprim17ROCPRIM_400000_NS6detail17trampoline_kernelINS0_14default_configENS1_25partition_config_selectorILNS1_17partition_subalgoE6EiNS0_10empty_typeEbEEZZNS1_14partition_implILS5_6ELb0ES3_mN6thrust23THRUST_200600_302600_NS6detail15normal_iteratorINSA_10device_ptrIiEEEEPS6_SG_NS0_5tupleIJSF_S6_EEENSH_IJSG_SG_EEES6_PlJNSB_9not_fun_tINSB_14equal_to_valueIiEEEEEEE10hipError_tPvRmT3_T4_T5_T6_T7_T9_mT8_P12ihipStream_tbDpT10_ENKUlT_T0_E_clISt17integral_constantIbLb0EES18_EEDaS13_S14_EUlS13_E_NS1_11comp_targetILNS1_3genE9ELNS1_11target_archE1100ELNS1_3gpuE3ELNS1_3repE0EEENS1_30default_config_static_selectorELNS0_4arch9wavefront6targetE0EEEvT1_.uses_vcc, 0
	.set _ZN7rocprim17ROCPRIM_400000_NS6detail17trampoline_kernelINS0_14default_configENS1_25partition_config_selectorILNS1_17partition_subalgoE6EiNS0_10empty_typeEbEEZZNS1_14partition_implILS5_6ELb0ES3_mN6thrust23THRUST_200600_302600_NS6detail15normal_iteratorINSA_10device_ptrIiEEEEPS6_SG_NS0_5tupleIJSF_S6_EEENSH_IJSG_SG_EEES6_PlJNSB_9not_fun_tINSB_14equal_to_valueIiEEEEEEE10hipError_tPvRmT3_T4_T5_T6_T7_T9_mT8_P12ihipStream_tbDpT10_ENKUlT_T0_E_clISt17integral_constantIbLb0EES18_EEDaS13_S14_EUlS13_E_NS1_11comp_targetILNS1_3genE9ELNS1_11target_archE1100ELNS1_3gpuE3ELNS1_3repE0EEENS1_30default_config_static_selectorELNS0_4arch9wavefront6targetE0EEEvT1_.uses_flat_scratch, 0
	.set _ZN7rocprim17ROCPRIM_400000_NS6detail17trampoline_kernelINS0_14default_configENS1_25partition_config_selectorILNS1_17partition_subalgoE6EiNS0_10empty_typeEbEEZZNS1_14partition_implILS5_6ELb0ES3_mN6thrust23THRUST_200600_302600_NS6detail15normal_iteratorINSA_10device_ptrIiEEEEPS6_SG_NS0_5tupleIJSF_S6_EEENSH_IJSG_SG_EEES6_PlJNSB_9not_fun_tINSB_14equal_to_valueIiEEEEEEE10hipError_tPvRmT3_T4_T5_T6_T7_T9_mT8_P12ihipStream_tbDpT10_ENKUlT_T0_E_clISt17integral_constantIbLb0EES18_EEDaS13_S14_EUlS13_E_NS1_11comp_targetILNS1_3genE9ELNS1_11target_archE1100ELNS1_3gpuE3ELNS1_3repE0EEENS1_30default_config_static_selectorELNS0_4arch9wavefront6targetE0EEEvT1_.has_dyn_sized_stack, 0
	.set _ZN7rocprim17ROCPRIM_400000_NS6detail17trampoline_kernelINS0_14default_configENS1_25partition_config_selectorILNS1_17partition_subalgoE6EiNS0_10empty_typeEbEEZZNS1_14partition_implILS5_6ELb0ES3_mN6thrust23THRUST_200600_302600_NS6detail15normal_iteratorINSA_10device_ptrIiEEEEPS6_SG_NS0_5tupleIJSF_S6_EEENSH_IJSG_SG_EEES6_PlJNSB_9not_fun_tINSB_14equal_to_valueIiEEEEEEE10hipError_tPvRmT3_T4_T5_T6_T7_T9_mT8_P12ihipStream_tbDpT10_ENKUlT_T0_E_clISt17integral_constantIbLb0EES18_EEDaS13_S14_EUlS13_E_NS1_11comp_targetILNS1_3genE9ELNS1_11target_archE1100ELNS1_3gpuE3ELNS1_3repE0EEENS1_30default_config_static_selectorELNS0_4arch9wavefront6targetE0EEEvT1_.has_recursion, 0
	.set _ZN7rocprim17ROCPRIM_400000_NS6detail17trampoline_kernelINS0_14default_configENS1_25partition_config_selectorILNS1_17partition_subalgoE6EiNS0_10empty_typeEbEEZZNS1_14partition_implILS5_6ELb0ES3_mN6thrust23THRUST_200600_302600_NS6detail15normal_iteratorINSA_10device_ptrIiEEEEPS6_SG_NS0_5tupleIJSF_S6_EEENSH_IJSG_SG_EEES6_PlJNSB_9not_fun_tINSB_14equal_to_valueIiEEEEEEE10hipError_tPvRmT3_T4_T5_T6_T7_T9_mT8_P12ihipStream_tbDpT10_ENKUlT_T0_E_clISt17integral_constantIbLb0EES18_EEDaS13_S14_EUlS13_E_NS1_11comp_targetILNS1_3genE9ELNS1_11target_archE1100ELNS1_3gpuE3ELNS1_3repE0EEENS1_30default_config_static_selectorELNS0_4arch9wavefront6targetE0EEEvT1_.has_indirect_call, 0
	.section	.AMDGPU.csdata,"",@progbits
; Kernel info:
; codeLenInByte = 0
; TotalNumSgprs: 0
; NumVgprs: 0
; ScratchSize: 0
; MemoryBound: 0
; FloatMode: 240
; IeeeMode: 1
; LDSByteSize: 0 bytes/workgroup (compile time only)
; SGPRBlocks: 0
; VGPRBlocks: 0
; NumSGPRsForWavesPerEU: 1
; NumVGPRsForWavesPerEU: 1
; Occupancy: 16
; WaveLimiterHint : 0
; COMPUTE_PGM_RSRC2:SCRATCH_EN: 0
; COMPUTE_PGM_RSRC2:USER_SGPR: 2
; COMPUTE_PGM_RSRC2:TRAP_HANDLER: 0
; COMPUTE_PGM_RSRC2:TGID_X_EN: 1
; COMPUTE_PGM_RSRC2:TGID_Y_EN: 0
; COMPUTE_PGM_RSRC2:TGID_Z_EN: 0
; COMPUTE_PGM_RSRC2:TIDIG_COMP_CNT: 0
	.section	.text._ZN7rocprim17ROCPRIM_400000_NS6detail17trampoline_kernelINS0_14default_configENS1_25partition_config_selectorILNS1_17partition_subalgoE6EiNS0_10empty_typeEbEEZZNS1_14partition_implILS5_6ELb0ES3_mN6thrust23THRUST_200600_302600_NS6detail15normal_iteratorINSA_10device_ptrIiEEEEPS6_SG_NS0_5tupleIJSF_S6_EEENSH_IJSG_SG_EEES6_PlJNSB_9not_fun_tINSB_14equal_to_valueIiEEEEEEE10hipError_tPvRmT3_T4_T5_T6_T7_T9_mT8_P12ihipStream_tbDpT10_ENKUlT_T0_E_clISt17integral_constantIbLb0EES18_EEDaS13_S14_EUlS13_E_NS1_11comp_targetILNS1_3genE8ELNS1_11target_archE1030ELNS1_3gpuE2ELNS1_3repE0EEENS1_30default_config_static_selectorELNS0_4arch9wavefront6targetE0EEEvT1_,"axG",@progbits,_ZN7rocprim17ROCPRIM_400000_NS6detail17trampoline_kernelINS0_14default_configENS1_25partition_config_selectorILNS1_17partition_subalgoE6EiNS0_10empty_typeEbEEZZNS1_14partition_implILS5_6ELb0ES3_mN6thrust23THRUST_200600_302600_NS6detail15normal_iteratorINSA_10device_ptrIiEEEEPS6_SG_NS0_5tupleIJSF_S6_EEENSH_IJSG_SG_EEES6_PlJNSB_9not_fun_tINSB_14equal_to_valueIiEEEEEEE10hipError_tPvRmT3_T4_T5_T6_T7_T9_mT8_P12ihipStream_tbDpT10_ENKUlT_T0_E_clISt17integral_constantIbLb0EES18_EEDaS13_S14_EUlS13_E_NS1_11comp_targetILNS1_3genE8ELNS1_11target_archE1030ELNS1_3gpuE2ELNS1_3repE0EEENS1_30default_config_static_selectorELNS0_4arch9wavefront6targetE0EEEvT1_,comdat
	.protected	_ZN7rocprim17ROCPRIM_400000_NS6detail17trampoline_kernelINS0_14default_configENS1_25partition_config_selectorILNS1_17partition_subalgoE6EiNS0_10empty_typeEbEEZZNS1_14partition_implILS5_6ELb0ES3_mN6thrust23THRUST_200600_302600_NS6detail15normal_iteratorINSA_10device_ptrIiEEEEPS6_SG_NS0_5tupleIJSF_S6_EEENSH_IJSG_SG_EEES6_PlJNSB_9not_fun_tINSB_14equal_to_valueIiEEEEEEE10hipError_tPvRmT3_T4_T5_T6_T7_T9_mT8_P12ihipStream_tbDpT10_ENKUlT_T0_E_clISt17integral_constantIbLb0EES18_EEDaS13_S14_EUlS13_E_NS1_11comp_targetILNS1_3genE8ELNS1_11target_archE1030ELNS1_3gpuE2ELNS1_3repE0EEENS1_30default_config_static_selectorELNS0_4arch9wavefront6targetE0EEEvT1_ ; -- Begin function _ZN7rocprim17ROCPRIM_400000_NS6detail17trampoline_kernelINS0_14default_configENS1_25partition_config_selectorILNS1_17partition_subalgoE6EiNS0_10empty_typeEbEEZZNS1_14partition_implILS5_6ELb0ES3_mN6thrust23THRUST_200600_302600_NS6detail15normal_iteratorINSA_10device_ptrIiEEEEPS6_SG_NS0_5tupleIJSF_S6_EEENSH_IJSG_SG_EEES6_PlJNSB_9not_fun_tINSB_14equal_to_valueIiEEEEEEE10hipError_tPvRmT3_T4_T5_T6_T7_T9_mT8_P12ihipStream_tbDpT10_ENKUlT_T0_E_clISt17integral_constantIbLb0EES18_EEDaS13_S14_EUlS13_E_NS1_11comp_targetILNS1_3genE8ELNS1_11target_archE1030ELNS1_3gpuE2ELNS1_3repE0EEENS1_30default_config_static_selectorELNS0_4arch9wavefront6targetE0EEEvT1_
	.globl	_ZN7rocprim17ROCPRIM_400000_NS6detail17trampoline_kernelINS0_14default_configENS1_25partition_config_selectorILNS1_17partition_subalgoE6EiNS0_10empty_typeEbEEZZNS1_14partition_implILS5_6ELb0ES3_mN6thrust23THRUST_200600_302600_NS6detail15normal_iteratorINSA_10device_ptrIiEEEEPS6_SG_NS0_5tupleIJSF_S6_EEENSH_IJSG_SG_EEES6_PlJNSB_9not_fun_tINSB_14equal_to_valueIiEEEEEEE10hipError_tPvRmT3_T4_T5_T6_T7_T9_mT8_P12ihipStream_tbDpT10_ENKUlT_T0_E_clISt17integral_constantIbLb0EES18_EEDaS13_S14_EUlS13_E_NS1_11comp_targetILNS1_3genE8ELNS1_11target_archE1030ELNS1_3gpuE2ELNS1_3repE0EEENS1_30default_config_static_selectorELNS0_4arch9wavefront6targetE0EEEvT1_
	.p2align	8
	.type	_ZN7rocprim17ROCPRIM_400000_NS6detail17trampoline_kernelINS0_14default_configENS1_25partition_config_selectorILNS1_17partition_subalgoE6EiNS0_10empty_typeEbEEZZNS1_14partition_implILS5_6ELb0ES3_mN6thrust23THRUST_200600_302600_NS6detail15normal_iteratorINSA_10device_ptrIiEEEEPS6_SG_NS0_5tupleIJSF_S6_EEENSH_IJSG_SG_EEES6_PlJNSB_9not_fun_tINSB_14equal_to_valueIiEEEEEEE10hipError_tPvRmT3_T4_T5_T6_T7_T9_mT8_P12ihipStream_tbDpT10_ENKUlT_T0_E_clISt17integral_constantIbLb0EES18_EEDaS13_S14_EUlS13_E_NS1_11comp_targetILNS1_3genE8ELNS1_11target_archE1030ELNS1_3gpuE2ELNS1_3repE0EEENS1_30default_config_static_selectorELNS0_4arch9wavefront6targetE0EEEvT1_,@function
_ZN7rocprim17ROCPRIM_400000_NS6detail17trampoline_kernelINS0_14default_configENS1_25partition_config_selectorILNS1_17partition_subalgoE6EiNS0_10empty_typeEbEEZZNS1_14partition_implILS5_6ELb0ES3_mN6thrust23THRUST_200600_302600_NS6detail15normal_iteratorINSA_10device_ptrIiEEEEPS6_SG_NS0_5tupleIJSF_S6_EEENSH_IJSG_SG_EEES6_PlJNSB_9not_fun_tINSB_14equal_to_valueIiEEEEEEE10hipError_tPvRmT3_T4_T5_T6_T7_T9_mT8_P12ihipStream_tbDpT10_ENKUlT_T0_E_clISt17integral_constantIbLb0EES18_EEDaS13_S14_EUlS13_E_NS1_11comp_targetILNS1_3genE8ELNS1_11target_archE1030ELNS1_3gpuE2ELNS1_3repE0EEENS1_30default_config_static_selectorELNS0_4arch9wavefront6targetE0EEEvT1_: ; @_ZN7rocprim17ROCPRIM_400000_NS6detail17trampoline_kernelINS0_14default_configENS1_25partition_config_selectorILNS1_17partition_subalgoE6EiNS0_10empty_typeEbEEZZNS1_14partition_implILS5_6ELb0ES3_mN6thrust23THRUST_200600_302600_NS6detail15normal_iteratorINSA_10device_ptrIiEEEEPS6_SG_NS0_5tupleIJSF_S6_EEENSH_IJSG_SG_EEES6_PlJNSB_9not_fun_tINSB_14equal_to_valueIiEEEEEEE10hipError_tPvRmT3_T4_T5_T6_T7_T9_mT8_P12ihipStream_tbDpT10_ENKUlT_T0_E_clISt17integral_constantIbLb0EES18_EEDaS13_S14_EUlS13_E_NS1_11comp_targetILNS1_3genE8ELNS1_11target_archE1030ELNS1_3gpuE2ELNS1_3repE0EEENS1_30default_config_static_selectorELNS0_4arch9wavefront6targetE0EEEvT1_
; %bb.0:
	.section	.rodata,"a",@progbits
	.p2align	6, 0x0
	.amdhsa_kernel _ZN7rocprim17ROCPRIM_400000_NS6detail17trampoline_kernelINS0_14default_configENS1_25partition_config_selectorILNS1_17partition_subalgoE6EiNS0_10empty_typeEbEEZZNS1_14partition_implILS5_6ELb0ES3_mN6thrust23THRUST_200600_302600_NS6detail15normal_iteratorINSA_10device_ptrIiEEEEPS6_SG_NS0_5tupleIJSF_S6_EEENSH_IJSG_SG_EEES6_PlJNSB_9not_fun_tINSB_14equal_to_valueIiEEEEEEE10hipError_tPvRmT3_T4_T5_T6_T7_T9_mT8_P12ihipStream_tbDpT10_ENKUlT_T0_E_clISt17integral_constantIbLb0EES18_EEDaS13_S14_EUlS13_E_NS1_11comp_targetILNS1_3genE8ELNS1_11target_archE1030ELNS1_3gpuE2ELNS1_3repE0EEENS1_30default_config_static_selectorELNS0_4arch9wavefront6targetE0EEEvT1_
		.amdhsa_group_segment_fixed_size 0
		.amdhsa_private_segment_fixed_size 0
		.amdhsa_kernarg_size 120
		.amdhsa_user_sgpr_count 2
		.amdhsa_user_sgpr_dispatch_ptr 0
		.amdhsa_user_sgpr_queue_ptr 0
		.amdhsa_user_sgpr_kernarg_segment_ptr 1
		.amdhsa_user_sgpr_dispatch_id 0
		.amdhsa_user_sgpr_private_segment_size 0
		.amdhsa_wavefront_size32 1
		.amdhsa_uses_dynamic_stack 0
		.amdhsa_enable_private_segment 0
		.amdhsa_system_sgpr_workgroup_id_x 1
		.amdhsa_system_sgpr_workgroup_id_y 0
		.amdhsa_system_sgpr_workgroup_id_z 0
		.amdhsa_system_sgpr_workgroup_info 0
		.amdhsa_system_vgpr_workitem_id 0
		.amdhsa_next_free_vgpr 1
		.amdhsa_next_free_sgpr 1
		.amdhsa_reserve_vcc 0
		.amdhsa_float_round_mode_32 0
		.amdhsa_float_round_mode_16_64 0
		.amdhsa_float_denorm_mode_32 3
		.amdhsa_float_denorm_mode_16_64 3
		.amdhsa_fp16_overflow 0
		.amdhsa_workgroup_processor_mode 1
		.amdhsa_memory_ordered 1
		.amdhsa_forward_progress 1
		.amdhsa_inst_pref_size 0
		.amdhsa_round_robin_scheduling 0
		.amdhsa_exception_fp_ieee_invalid_op 0
		.amdhsa_exception_fp_denorm_src 0
		.amdhsa_exception_fp_ieee_div_zero 0
		.amdhsa_exception_fp_ieee_overflow 0
		.amdhsa_exception_fp_ieee_underflow 0
		.amdhsa_exception_fp_ieee_inexact 0
		.amdhsa_exception_int_div_zero 0
	.end_amdhsa_kernel
	.section	.text._ZN7rocprim17ROCPRIM_400000_NS6detail17trampoline_kernelINS0_14default_configENS1_25partition_config_selectorILNS1_17partition_subalgoE6EiNS0_10empty_typeEbEEZZNS1_14partition_implILS5_6ELb0ES3_mN6thrust23THRUST_200600_302600_NS6detail15normal_iteratorINSA_10device_ptrIiEEEEPS6_SG_NS0_5tupleIJSF_S6_EEENSH_IJSG_SG_EEES6_PlJNSB_9not_fun_tINSB_14equal_to_valueIiEEEEEEE10hipError_tPvRmT3_T4_T5_T6_T7_T9_mT8_P12ihipStream_tbDpT10_ENKUlT_T0_E_clISt17integral_constantIbLb0EES18_EEDaS13_S14_EUlS13_E_NS1_11comp_targetILNS1_3genE8ELNS1_11target_archE1030ELNS1_3gpuE2ELNS1_3repE0EEENS1_30default_config_static_selectorELNS0_4arch9wavefront6targetE0EEEvT1_,"axG",@progbits,_ZN7rocprim17ROCPRIM_400000_NS6detail17trampoline_kernelINS0_14default_configENS1_25partition_config_selectorILNS1_17partition_subalgoE6EiNS0_10empty_typeEbEEZZNS1_14partition_implILS5_6ELb0ES3_mN6thrust23THRUST_200600_302600_NS6detail15normal_iteratorINSA_10device_ptrIiEEEEPS6_SG_NS0_5tupleIJSF_S6_EEENSH_IJSG_SG_EEES6_PlJNSB_9not_fun_tINSB_14equal_to_valueIiEEEEEEE10hipError_tPvRmT3_T4_T5_T6_T7_T9_mT8_P12ihipStream_tbDpT10_ENKUlT_T0_E_clISt17integral_constantIbLb0EES18_EEDaS13_S14_EUlS13_E_NS1_11comp_targetILNS1_3genE8ELNS1_11target_archE1030ELNS1_3gpuE2ELNS1_3repE0EEENS1_30default_config_static_selectorELNS0_4arch9wavefront6targetE0EEEvT1_,comdat
.Lfunc_end476:
	.size	_ZN7rocprim17ROCPRIM_400000_NS6detail17trampoline_kernelINS0_14default_configENS1_25partition_config_selectorILNS1_17partition_subalgoE6EiNS0_10empty_typeEbEEZZNS1_14partition_implILS5_6ELb0ES3_mN6thrust23THRUST_200600_302600_NS6detail15normal_iteratorINSA_10device_ptrIiEEEEPS6_SG_NS0_5tupleIJSF_S6_EEENSH_IJSG_SG_EEES6_PlJNSB_9not_fun_tINSB_14equal_to_valueIiEEEEEEE10hipError_tPvRmT3_T4_T5_T6_T7_T9_mT8_P12ihipStream_tbDpT10_ENKUlT_T0_E_clISt17integral_constantIbLb0EES18_EEDaS13_S14_EUlS13_E_NS1_11comp_targetILNS1_3genE8ELNS1_11target_archE1030ELNS1_3gpuE2ELNS1_3repE0EEENS1_30default_config_static_selectorELNS0_4arch9wavefront6targetE0EEEvT1_, .Lfunc_end476-_ZN7rocprim17ROCPRIM_400000_NS6detail17trampoline_kernelINS0_14default_configENS1_25partition_config_selectorILNS1_17partition_subalgoE6EiNS0_10empty_typeEbEEZZNS1_14partition_implILS5_6ELb0ES3_mN6thrust23THRUST_200600_302600_NS6detail15normal_iteratorINSA_10device_ptrIiEEEEPS6_SG_NS0_5tupleIJSF_S6_EEENSH_IJSG_SG_EEES6_PlJNSB_9not_fun_tINSB_14equal_to_valueIiEEEEEEE10hipError_tPvRmT3_T4_T5_T6_T7_T9_mT8_P12ihipStream_tbDpT10_ENKUlT_T0_E_clISt17integral_constantIbLb0EES18_EEDaS13_S14_EUlS13_E_NS1_11comp_targetILNS1_3genE8ELNS1_11target_archE1030ELNS1_3gpuE2ELNS1_3repE0EEENS1_30default_config_static_selectorELNS0_4arch9wavefront6targetE0EEEvT1_
                                        ; -- End function
	.set _ZN7rocprim17ROCPRIM_400000_NS6detail17trampoline_kernelINS0_14default_configENS1_25partition_config_selectorILNS1_17partition_subalgoE6EiNS0_10empty_typeEbEEZZNS1_14partition_implILS5_6ELb0ES3_mN6thrust23THRUST_200600_302600_NS6detail15normal_iteratorINSA_10device_ptrIiEEEEPS6_SG_NS0_5tupleIJSF_S6_EEENSH_IJSG_SG_EEES6_PlJNSB_9not_fun_tINSB_14equal_to_valueIiEEEEEEE10hipError_tPvRmT3_T4_T5_T6_T7_T9_mT8_P12ihipStream_tbDpT10_ENKUlT_T0_E_clISt17integral_constantIbLb0EES18_EEDaS13_S14_EUlS13_E_NS1_11comp_targetILNS1_3genE8ELNS1_11target_archE1030ELNS1_3gpuE2ELNS1_3repE0EEENS1_30default_config_static_selectorELNS0_4arch9wavefront6targetE0EEEvT1_.num_vgpr, 0
	.set _ZN7rocprim17ROCPRIM_400000_NS6detail17trampoline_kernelINS0_14default_configENS1_25partition_config_selectorILNS1_17partition_subalgoE6EiNS0_10empty_typeEbEEZZNS1_14partition_implILS5_6ELb0ES3_mN6thrust23THRUST_200600_302600_NS6detail15normal_iteratorINSA_10device_ptrIiEEEEPS6_SG_NS0_5tupleIJSF_S6_EEENSH_IJSG_SG_EEES6_PlJNSB_9not_fun_tINSB_14equal_to_valueIiEEEEEEE10hipError_tPvRmT3_T4_T5_T6_T7_T9_mT8_P12ihipStream_tbDpT10_ENKUlT_T0_E_clISt17integral_constantIbLb0EES18_EEDaS13_S14_EUlS13_E_NS1_11comp_targetILNS1_3genE8ELNS1_11target_archE1030ELNS1_3gpuE2ELNS1_3repE0EEENS1_30default_config_static_selectorELNS0_4arch9wavefront6targetE0EEEvT1_.num_agpr, 0
	.set _ZN7rocprim17ROCPRIM_400000_NS6detail17trampoline_kernelINS0_14default_configENS1_25partition_config_selectorILNS1_17partition_subalgoE6EiNS0_10empty_typeEbEEZZNS1_14partition_implILS5_6ELb0ES3_mN6thrust23THRUST_200600_302600_NS6detail15normal_iteratorINSA_10device_ptrIiEEEEPS6_SG_NS0_5tupleIJSF_S6_EEENSH_IJSG_SG_EEES6_PlJNSB_9not_fun_tINSB_14equal_to_valueIiEEEEEEE10hipError_tPvRmT3_T4_T5_T6_T7_T9_mT8_P12ihipStream_tbDpT10_ENKUlT_T0_E_clISt17integral_constantIbLb0EES18_EEDaS13_S14_EUlS13_E_NS1_11comp_targetILNS1_3genE8ELNS1_11target_archE1030ELNS1_3gpuE2ELNS1_3repE0EEENS1_30default_config_static_selectorELNS0_4arch9wavefront6targetE0EEEvT1_.numbered_sgpr, 0
	.set _ZN7rocprim17ROCPRIM_400000_NS6detail17trampoline_kernelINS0_14default_configENS1_25partition_config_selectorILNS1_17partition_subalgoE6EiNS0_10empty_typeEbEEZZNS1_14partition_implILS5_6ELb0ES3_mN6thrust23THRUST_200600_302600_NS6detail15normal_iteratorINSA_10device_ptrIiEEEEPS6_SG_NS0_5tupleIJSF_S6_EEENSH_IJSG_SG_EEES6_PlJNSB_9not_fun_tINSB_14equal_to_valueIiEEEEEEE10hipError_tPvRmT3_T4_T5_T6_T7_T9_mT8_P12ihipStream_tbDpT10_ENKUlT_T0_E_clISt17integral_constantIbLb0EES18_EEDaS13_S14_EUlS13_E_NS1_11comp_targetILNS1_3genE8ELNS1_11target_archE1030ELNS1_3gpuE2ELNS1_3repE0EEENS1_30default_config_static_selectorELNS0_4arch9wavefront6targetE0EEEvT1_.num_named_barrier, 0
	.set _ZN7rocprim17ROCPRIM_400000_NS6detail17trampoline_kernelINS0_14default_configENS1_25partition_config_selectorILNS1_17partition_subalgoE6EiNS0_10empty_typeEbEEZZNS1_14partition_implILS5_6ELb0ES3_mN6thrust23THRUST_200600_302600_NS6detail15normal_iteratorINSA_10device_ptrIiEEEEPS6_SG_NS0_5tupleIJSF_S6_EEENSH_IJSG_SG_EEES6_PlJNSB_9not_fun_tINSB_14equal_to_valueIiEEEEEEE10hipError_tPvRmT3_T4_T5_T6_T7_T9_mT8_P12ihipStream_tbDpT10_ENKUlT_T0_E_clISt17integral_constantIbLb0EES18_EEDaS13_S14_EUlS13_E_NS1_11comp_targetILNS1_3genE8ELNS1_11target_archE1030ELNS1_3gpuE2ELNS1_3repE0EEENS1_30default_config_static_selectorELNS0_4arch9wavefront6targetE0EEEvT1_.private_seg_size, 0
	.set _ZN7rocprim17ROCPRIM_400000_NS6detail17trampoline_kernelINS0_14default_configENS1_25partition_config_selectorILNS1_17partition_subalgoE6EiNS0_10empty_typeEbEEZZNS1_14partition_implILS5_6ELb0ES3_mN6thrust23THRUST_200600_302600_NS6detail15normal_iteratorINSA_10device_ptrIiEEEEPS6_SG_NS0_5tupleIJSF_S6_EEENSH_IJSG_SG_EEES6_PlJNSB_9not_fun_tINSB_14equal_to_valueIiEEEEEEE10hipError_tPvRmT3_T4_T5_T6_T7_T9_mT8_P12ihipStream_tbDpT10_ENKUlT_T0_E_clISt17integral_constantIbLb0EES18_EEDaS13_S14_EUlS13_E_NS1_11comp_targetILNS1_3genE8ELNS1_11target_archE1030ELNS1_3gpuE2ELNS1_3repE0EEENS1_30default_config_static_selectorELNS0_4arch9wavefront6targetE0EEEvT1_.uses_vcc, 0
	.set _ZN7rocprim17ROCPRIM_400000_NS6detail17trampoline_kernelINS0_14default_configENS1_25partition_config_selectorILNS1_17partition_subalgoE6EiNS0_10empty_typeEbEEZZNS1_14partition_implILS5_6ELb0ES3_mN6thrust23THRUST_200600_302600_NS6detail15normal_iteratorINSA_10device_ptrIiEEEEPS6_SG_NS0_5tupleIJSF_S6_EEENSH_IJSG_SG_EEES6_PlJNSB_9not_fun_tINSB_14equal_to_valueIiEEEEEEE10hipError_tPvRmT3_T4_T5_T6_T7_T9_mT8_P12ihipStream_tbDpT10_ENKUlT_T0_E_clISt17integral_constantIbLb0EES18_EEDaS13_S14_EUlS13_E_NS1_11comp_targetILNS1_3genE8ELNS1_11target_archE1030ELNS1_3gpuE2ELNS1_3repE0EEENS1_30default_config_static_selectorELNS0_4arch9wavefront6targetE0EEEvT1_.uses_flat_scratch, 0
	.set _ZN7rocprim17ROCPRIM_400000_NS6detail17trampoline_kernelINS0_14default_configENS1_25partition_config_selectorILNS1_17partition_subalgoE6EiNS0_10empty_typeEbEEZZNS1_14partition_implILS5_6ELb0ES3_mN6thrust23THRUST_200600_302600_NS6detail15normal_iteratorINSA_10device_ptrIiEEEEPS6_SG_NS0_5tupleIJSF_S6_EEENSH_IJSG_SG_EEES6_PlJNSB_9not_fun_tINSB_14equal_to_valueIiEEEEEEE10hipError_tPvRmT3_T4_T5_T6_T7_T9_mT8_P12ihipStream_tbDpT10_ENKUlT_T0_E_clISt17integral_constantIbLb0EES18_EEDaS13_S14_EUlS13_E_NS1_11comp_targetILNS1_3genE8ELNS1_11target_archE1030ELNS1_3gpuE2ELNS1_3repE0EEENS1_30default_config_static_selectorELNS0_4arch9wavefront6targetE0EEEvT1_.has_dyn_sized_stack, 0
	.set _ZN7rocprim17ROCPRIM_400000_NS6detail17trampoline_kernelINS0_14default_configENS1_25partition_config_selectorILNS1_17partition_subalgoE6EiNS0_10empty_typeEbEEZZNS1_14partition_implILS5_6ELb0ES3_mN6thrust23THRUST_200600_302600_NS6detail15normal_iteratorINSA_10device_ptrIiEEEEPS6_SG_NS0_5tupleIJSF_S6_EEENSH_IJSG_SG_EEES6_PlJNSB_9not_fun_tINSB_14equal_to_valueIiEEEEEEE10hipError_tPvRmT3_T4_T5_T6_T7_T9_mT8_P12ihipStream_tbDpT10_ENKUlT_T0_E_clISt17integral_constantIbLb0EES18_EEDaS13_S14_EUlS13_E_NS1_11comp_targetILNS1_3genE8ELNS1_11target_archE1030ELNS1_3gpuE2ELNS1_3repE0EEENS1_30default_config_static_selectorELNS0_4arch9wavefront6targetE0EEEvT1_.has_recursion, 0
	.set _ZN7rocprim17ROCPRIM_400000_NS6detail17trampoline_kernelINS0_14default_configENS1_25partition_config_selectorILNS1_17partition_subalgoE6EiNS0_10empty_typeEbEEZZNS1_14partition_implILS5_6ELb0ES3_mN6thrust23THRUST_200600_302600_NS6detail15normal_iteratorINSA_10device_ptrIiEEEEPS6_SG_NS0_5tupleIJSF_S6_EEENSH_IJSG_SG_EEES6_PlJNSB_9not_fun_tINSB_14equal_to_valueIiEEEEEEE10hipError_tPvRmT3_T4_T5_T6_T7_T9_mT8_P12ihipStream_tbDpT10_ENKUlT_T0_E_clISt17integral_constantIbLb0EES18_EEDaS13_S14_EUlS13_E_NS1_11comp_targetILNS1_3genE8ELNS1_11target_archE1030ELNS1_3gpuE2ELNS1_3repE0EEENS1_30default_config_static_selectorELNS0_4arch9wavefront6targetE0EEEvT1_.has_indirect_call, 0
	.section	.AMDGPU.csdata,"",@progbits
; Kernel info:
; codeLenInByte = 0
; TotalNumSgprs: 0
; NumVgprs: 0
; ScratchSize: 0
; MemoryBound: 0
; FloatMode: 240
; IeeeMode: 1
; LDSByteSize: 0 bytes/workgroup (compile time only)
; SGPRBlocks: 0
; VGPRBlocks: 0
; NumSGPRsForWavesPerEU: 1
; NumVGPRsForWavesPerEU: 1
; Occupancy: 16
; WaveLimiterHint : 0
; COMPUTE_PGM_RSRC2:SCRATCH_EN: 0
; COMPUTE_PGM_RSRC2:USER_SGPR: 2
; COMPUTE_PGM_RSRC2:TRAP_HANDLER: 0
; COMPUTE_PGM_RSRC2:TGID_X_EN: 1
; COMPUTE_PGM_RSRC2:TGID_Y_EN: 0
; COMPUTE_PGM_RSRC2:TGID_Z_EN: 0
; COMPUTE_PGM_RSRC2:TIDIG_COMP_CNT: 0
	.section	.text._ZN7rocprim17ROCPRIM_400000_NS6detail17trampoline_kernelINS0_14default_configENS1_25partition_config_selectorILNS1_17partition_subalgoE6EiNS0_10empty_typeEbEEZZNS1_14partition_implILS5_6ELb0ES3_mN6thrust23THRUST_200600_302600_NS6detail15normal_iteratorINSA_10device_ptrIiEEEEPS6_SG_NS0_5tupleIJSF_S6_EEENSH_IJSG_SG_EEES6_PlJNSB_9not_fun_tINSB_14equal_to_valueIiEEEEEEE10hipError_tPvRmT3_T4_T5_T6_T7_T9_mT8_P12ihipStream_tbDpT10_ENKUlT_T0_E_clISt17integral_constantIbLb1EES18_EEDaS13_S14_EUlS13_E_NS1_11comp_targetILNS1_3genE0ELNS1_11target_archE4294967295ELNS1_3gpuE0ELNS1_3repE0EEENS1_30default_config_static_selectorELNS0_4arch9wavefront6targetE0EEEvT1_,"axG",@progbits,_ZN7rocprim17ROCPRIM_400000_NS6detail17trampoline_kernelINS0_14default_configENS1_25partition_config_selectorILNS1_17partition_subalgoE6EiNS0_10empty_typeEbEEZZNS1_14partition_implILS5_6ELb0ES3_mN6thrust23THRUST_200600_302600_NS6detail15normal_iteratorINSA_10device_ptrIiEEEEPS6_SG_NS0_5tupleIJSF_S6_EEENSH_IJSG_SG_EEES6_PlJNSB_9not_fun_tINSB_14equal_to_valueIiEEEEEEE10hipError_tPvRmT3_T4_T5_T6_T7_T9_mT8_P12ihipStream_tbDpT10_ENKUlT_T0_E_clISt17integral_constantIbLb1EES18_EEDaS13_S14_EUlS13_E_NS1_11comp_targetILNS1_3genE0ELNS1_11target_archE4294967295ELNS1_3gpuE0ELNS1_3repE0EEENS1_30default_config_static_selectorELNS0_4arch9wavefront6targetE0EEEvT1_,comdat
	.protected	_ZN7rocprim17ROCPRIM_400000_NS6detail17trampoline_kernelINS0_14default_configENS1_25partition_config_selectorILNS1_17partition_subalgoE6EiNS0_10empty_typeEbEEZZNS1_14partition_implILS5_6ELb0ES3_mN6thrust23THRUST_200600_302600_NS6detail15normal_iteratorINSA_10device_ptrIiEEEEPS6_SG_NS0_5tupleIJSF_S6_EEENSH_IJSG_SG_EEES6_PlJNSB_9not_fun_tINSB_14equal_to_valueIiEEEEEEE10hipError_tPvRmT3_T4_T5_T6_T7_T9_mT8_P12ihipStream_tbDpT10_ENKUlT_T0_E_clISt17integral_constantIbLb1EES18_EEDaS13_S14_EUlS13_E_NS1_11comp_targetILNS1_3genE0ELNS1_11target_archE4294967295ELNS1_3gpuE0ELNS1_3repE0EEENS1_30default_config_static_selectorELNS0_4arch9wavefront6targetE0EEEvT1_ ; -- Begin function _ZN7rocprim17ROCPRIM_400000_NS6detail17trampoline_kernelINS0_14default_configENS1_25partition_config_selectorILNS1_17partition_subalgoE6EiNS0_10empty_typeEbEEZZNS1_14partition_implILS5_6ELb0ES3_mN6thrust23THRUST_200600_302600_NS6detail15normal_iteratorINSA_10device_ptrIiEEEEPS6_SG_NS0_5tupleIJSF_S6_EEENSH_IJSG_SG_EEES6_PlJNSB_9not_fun_tINSB_14equal_to_valueIiEEEEEEE10hipError_tPvRmT3_T4_T5_T6_T7_T9_mT8_P12ihipStream_tbDpT10_ENKUlT_T0_E_clISt17integral_constantIbLb1EES18_EEDaS13_S14_EUlS13_E_NS1_11comp_targetILNS1_3genE0ELNS1_11target_archE4294967295ELNS1_3gpuE0ELNS1_3repE0EEENS1_30default_config_static_selectorELNS0_4arch9wavefront6targetE0EEEvT1_
	.globl	_ZN7rocprim17ROCPRIM_400000_NS6detail17trampoline_kernelINS0_14default_configENS1_25partition_config_selectorILNS1_17partition_subalgoE6EiNS0_10empty_typeEbEEZZNS1_14partition_implILS5_6ELb0ES3_mN6thrust23THRUST_200600_302600_NS6detail15normal_iteratorINSA_10device_ptrIiEEEEPS6_SG_NS0_5tupleIJSF_S6_EEENSH_IJSG_SG_EEES6_PlJNSB_9not_fun_tINSB_14equal_to_valueIiEEEEEEE10hipError_tPvRmT3_T4_T5_T6_T7_T9_mT8_P12ihipStream_tbDpT10_ENKUlT_T0_E_clISt17integral_constantIbLb1EES18_EEDaS13_S14_EUlS13_E_NS1_11comp_targetILNS1_3genE0ELNS1_11target_archE4294967295ELNS1_3gpuE0ELNS1_3repE0EEENS1_30default_config_static_selectorELNS0_4arch9wavefront6targetE0EEEvT1_
	.p2align	8
	.type	_ZN7rocprim17ROCPRIM_400000_NS6detail17trampoline_kernelINS0_14default_configENS1_25partition_config_selectorILNS1_17partition_subalgoE6EiNS0_10empty_typeEbEEZZNS1_14partition_implILS5_6ELb0ES3_mN6thrust23THRUST_200600_302600_NS6detail15normal_iteratorINSA_10device_ptrIiEEEEPS6_SG_NS0_5tupleIJSF_S6_EEENSH_IJSG_SG_EEES6_PlJNSB_9not_fun_tINSB_14equal_to_valueIiEEEEEEE10hipError_tPvRmT3_T4_T5_T6_T7_T9_mT8_P12ihipStream_tbDpT10_ENKUlT_T0_E_clISt17integral_constantIbLb1EES18_EEDaS13_S14_EUlS13_E_NS1_11comp_targetILNS1_3genE0ELNS1_11target_archE4294967295ELNS1_3gpuE0ELNS1_3repE0EEENS1_30default_config_static_selectorELNS0_4arch9wavefront6targetE0EEEvT1_,@function
_ZN7rocprim17ROCPRIM_400000_NS6detail17trampoline_kernelINS0_14default_configENS1_25partition_config_selectorILNS1_17partition_subalgoE6EiNS0_10empty_typeEbEEZZNS1_14partition_implILS5_6ELb0ES3_mN6thrust23THRUST_200600_302600_NS6detail15normal_iteratorINSA_10device_ptrIiEEEEPS6_SG_NS0_5tupleIJSF_S6_EEENSH_IJSG_SG_EEES6_PlJNSB_9not_fun_tINSB_14equal_to_valueIiEEEEEEE10hipError_tPvRmT3_T4_T5_T6_T7_T9_mT8_P12ihipStream_tbDpT10_ENKUlT_T0_E_clISt17integral_constantIbLb1EES18_EEDaS13_S14_EUlS13_E_NS1_11comp_targetILNS1_3genE0ELNS1_11target_archE4294967295ELNS1_3gpuE0ELNS1_3repE0EEENS1_30default_config_static_selectorELNS0_4arch9wavefront6targetE0EEEvT1_: ; @_ZN7rocprim17ROCPRIM_400000_NS6detail17trampoline_kernelINS0_14default_configENS1_25partition_config_selectorILNS1_17partition_subalgoE6EiNS0_10empty_typeEbEEZZNS1_14partition_implILS5_6ELb0ES3_mN6thrust23THRUST_200600_302600_NS6detail15normal_iteratorINSA_10device_ptrIiEEEEPS6_SG_NS0_5tupleIJSF_S6_EEENSH_IJSG_SG_EEES6_PlJNSB_9not_fun_tINSB_14equal_to_valueIiEEEEEEE10hipError_tPvRmT3_T4_T5_T6_T7_T9_mT8_P12ihipStream_tbDpT10_ENKUlT_T0_E_clISt17integral_constantIbLb1EES18_EEDaS13_S14_EUlS13_E_NS1_11comp_targetILNS1_3genE0ELNS1_11target_archE4294967295ELNS1_3gpuE0ELNS1_3repE0EEENS1_30default_config_static_selectorELNS0_4arch9wavefront6targetE0EEEvT1_
; %bb.0:
	.section	.rodata,"a",@progbits
	.p2align	6, 0x0
	.amdhsa_kernel _ZN7rocprim17ROCPRIM_400000_NS6detail17trampoline_kernelINS0_14default_configENS1_25partition_config_selectorILNS1_17partition_subalgoE6EiNS0_10empty_typeEbEEZZNS1_14partition_implILS5_6ELb0ES3_mN6thrust23THRUST_200600_302600_NS6detail15normal_iteratorINSA_10device_ptrIiEEEEPS6_SG_NS0_5tupleIJSF_S6_EEENSH_IJSG_SG_EEES6_PlJNSB_9not_fun_tINSB_14equal_to_valueIiEEEEEEE10hipError_tPvRmT3_T4_T5_T6_T7_T9_mT8_P12ihipStream_tbDpT10_ENKUlT_T0_E_clISt17integral_constantIbLb1EES18_EEDaS13_S14_EUlS13_E_NS1_11comp_targetILNS1_3genE0ELNS1_11target_archE4294967295ELNS1_3gpuE0ELNS1_3repE0EEENS1_30default_config_static_selectorELNS0_4arch9wavefront6targetE0EEEvT1_
		.amdhsa_group_segment_fixed_size 0
		.amdhsa_private_segment_fixed_size 0
		.amdhsa_kernarg_size 128
		.amdhsa_user_sgpr_count 2
		.amdhsa_user_sgpr_dispatch_ptr 0
		.amdhsa_user_sgpr_queue_ptr 0
		.amdhsa_user_sgpr_kernarg_segment_ptr 1
		.amdhsa_user_sgpr_dispatch_id 0
		.amdhsa_user_sgpr_private_segment_size 0
		.amdhsa_wavefront_size32 1
		.amdhsa_uses_dynamic_stack 0
		.amdhsa_enable_private_segment 0
		.amdhsa_system_sgpr_workgroup_id_x 1
		.amdhsa_system_sgpr_workgroup_id_y 0
		.amdhsa_system_sgpr_workgroup_id_z 0
		.amdhsa_system_sgpr_workgroup_info 0
		.amdhsa_system_vgpr_workitem_id 0
		.amdhsa_next_free_vgpr 1
		.amdhsa_next_free_sgpr 1
		.amdhsa_reserve_vcc 0
		.amdhsa_float_round_mode_32 0
		.amdhsa_float_round_mode_16_64 0
		.amdhsa_float_denorm_mode_32 3
		.amdhsa_float_denorm_mode_16_64 3
		.amdhsa_fp16_overflow 0
		.amdhsa_workgroup_processor_mode 1
		.amdhsa_memory_ordered 1
		.amdhsa_forward_progress 1
		.amdhsa_inst_pref_size 0
		.amdhsa_round_robin_scheduling 0
		.amdhsa_exception_fp_ieee_invalid_op 0
		.amdhsa_exception_fp_denorm_src 0
		.amdhsa_exception_fp_ieee_div_zero 0
		.amdhsa_exception_fp_ieee_overflow 0
		.amdhsa_exception_fp_ieee_underflow 0
		.amdhsa_exception_fp_ieee_inexact 0
		.amdhsa_exception_int_div_zero 0
	.end_amdhsa_kernel
	.section	.text._ZN7rocprim17ROCPRIM_400000_NS6detail17trampoline_kernelINS0_14default_configENS1_25partition_config_selectorILNS1_17partition_subalgoE6EiNS0_10empty_typeEbEEZZNS1_14partition_implILS5_6ELb0ES3_mN6thrust23THRUST_200600_302600_NS6detail15normal_iteratorINSA_10device_ptrIiEEEEPS6_SG_NS0_5tupleIJSF_S6_EEENSH_IJSG_SG_EEES6_PlJNSB_9not_fun_tINSB_14equal_to_valueIiEEEEEEE10hipError_tPvRmT3_T4_T5_T6_T7_T9_mT8_P12ihipStream_tbDpT10_ENKUlT_T0_E_clISt17integral_constantIbLb1EES18_EEDaS13_S14_EUlS13_E_NS1_11comp_targetILNS1_3genE0ELNS1_11target_archE4294967295ELNS1_3gpuE0ELNS1_3repE0EEENS1_30default_config_static_selectorELNS0_4arch9wavefront6targetE0EEEvT1_,"axG",@progbits,_ZN7rocprim17ROCPRIM_400000_NS6detail17trampoline_kernelINS0_14default_configENS1_25partition_config_selectorILNS1_17partition_subalgoE6EiNS0_10empty_typeEbEEZZNS1_14partition_implILS5_6ELb0ES3_mN6thrust23THRUST_200600_302600_NS6detail15normal_iteratorINSA_10device_ptrIiEEEEPS6_SG_NS0_5tupleIJSF_S6_EEENSH_IJSG_SG_EEES6_PlJNSB_9not_fun_tINSB_14equal_to_valueIiEEEEEEE10hipError_tPvRmT3_T4_T5_T6_T7_T9_mT8_P12ihipStream_tbDpT10_ENKUlT_T0_E_clISt17integral_constantIbLb1EES18_EEDaS13_S14_EUlS13_E_NS1_11comp_targetILNS1_3genE0ELNS1_11target_archE4294967295ELNS1_3gpuE0ELNS1_3repE0EEENS1_30default_config_static_selectorELNS0_4arch9wavefront6targetE0EEEvT1_,comdat
.Lfunc_end477:
	.size	_ZN7rocprim17ROCPRIM_400000_NS6detail17trampoline_kernelINS0_14default_configENS1_25partition_config_selectorILNS1_17partition_subalgoE6EiNS0_10empty_typeEbEEZZNS1_14partition_implILS5_6ELb0ES3_mN6thrust23THRUST_200600_302600_NS6detail15normal_iteratorINSA_10device_ptrIiEEEEPS6_SG_NS0_5tupleIJSF_S6_EEENSH_IJSG_SG_EEES6_PlJNSB_9not_fun_tINSB_14equal_to_valueIiEEEEEEE10hipError_tPvRmT3_T4_T5_T6_T7_T9_mT8_P12ihipStream_tbDpT10_ENKUlT_T0_E_clISt17integral_constantIbLb1EES18_EEDaS13_S14_EUlS13_E_NS1_11comp_targetILNS1_3genE0ELNS1_11target_archE4294967295ELNS1_3gpuE0ELNS1_3repE0EEENS1_30default_config_static_selectorELNS0_4arch9wavefront6targetE0EEEvT1_, .Lfunc_end477-_ZN7rocprim17ROCPRIM_400000_NS6detail17trampoline_kernelINS0_14default_configENS1_25partition_config_selectorILNS1_17partition_subalgoE6EiNS0_10empty_typeEbEEZZNS1_14partition_implILS5_6ELb0ES3_mN6thrust23THRUST_200600_302600_NS6detail15normal_iteratorINSA_10device_ptrIiEEEEPS6_SG_NS0_5tupleIJSF_S6_EEENSH_IJSG_SG_EEES6_PlJNSB_9not_fun_tINSB_14equal_to_valueIiEEEEEEE10hipError_tPvRmT3_T4_T5_T6_T7_T9_mT8_P12ihipStream_tbDpT10_ENKUlT_T0_E_clISt17integral_constantIbLb1EES18_EEDaS13_S14_EUlS13_E_NS1_11comp_targetILNS1_3genE0ELNS1_11target_archE4294967295ELNS1_3gpuE0ELNS1_3repE0EEENS1_30default_config_static_selectorELNS0_4arch9wavefront6targetE0EEEvT1_
                                        ; -- End function
	.set _ZN7rocprim17ROCPRIM_400000_NS6detail17trampoline_kernelINS0_14default_configENS1_25partition_config_selectorILNS1_17partition_subalgoE6EiNS0_10empty_typeEbEEZZNS1_14partition_implILS5_6ELb0ES3_mN6thrust23THRUST_200600_302600_NS6detail15normal_iteratorINSA_10device_ptrIiEEEEPS6_SG_NS0_5tupleIJSF_S6_EEENSH_IJSG_SG_EEES6_PlJNSB_9not_fun_tINSB_14equal_to_valueIiEEEEEEE10hipError_tPvRmT3_T4_T5_T6_T7_T9_mT8_P12ihipStream_tbDpT10_ENKUlT_T0_E_clISt17integral_constantIbLb1EES18_EEDaS13_S14_EUlS13_E_NS1_11comp_targetILNS1_3genE0ELNS1_11target_archE4294967295ELNS1_3gpuE0ELNS1_3repE0EEENS1_30default_config_static_selectorELNS0_4arch9wavefront6targetE0EEEvT1_.num_vgpr, 0
	.set _ZN7rocprim17ROCPRIM_400000_NS6detail17trampoline_kernelINS0_14default_configENS1_25partition_config_selectorILNS1_17partition_subalgoE6EiNS0_10empty_typeEbEEZZNS1_14partition_implILS5_6ELb0ES3_mN6thrust23THRUST_200600_302600_NS6detail15normal_iteratorINSA_10device_ptrIiEEEEPS6_SG_NS0_5tupleIJSF_S6_EEENSH_IJSG_SG_EEES6_PlJNSB_9not_fun_tINSB_14equal_to_valueIiEEEEEEE10hipError_tPvRmT3_T4_T5_T6_T7_T9_mT8_P12ihipStream_tbDpT10_ENKUlT_T0_E_clISt17integral_constantIbLb1EES18_EEDaS13_S14_EUlS13_E_NS1_11comp_targetILNS1_3genE0ELNS1_11target_archE4294967295ELNS1_3gpuE0ELNS1_3repE0EEENS1_30default_config_static_selectorELNS0_4arch9wavefront6targetE0EEEvT1_.num_agpr, 0
	.set _ZN7rocprim17ROCPRIM_400000_NS6detail17trampoline_kernelINS0_14default_configENS1_25partition_config_selectorILNS1_17partition_subalgoE6EiNS0_10empty_typeEbEEZZNS1_14partition_implILS5_6ELb0ES3_mN6thrust23THRUST_200600_302600_NS6detail15normal_iteratorINSA_10device_ptrIiEEEEPS6_SG_NS0_5tupleIJSF_S6_EEENSH_IJSG_SG_EEES6_PlJNSB_9not_fun_tINSB_14equal_to_valueIiEEEEEEE10hipError_tPvRmT3_T4_T5_T6_T7_T9_mT8_P12ihipStream_tbDpT10_ENKUlT_T0_E_clISt17integral_constantIbLb1EES18_EEDaS13_S14_EUlS13_E_NS1_11comp_targetILNS1_3genE0ELNS1_11target_archE4294967295ELNS1_3gpuE0ELNS1_3repE0EEENS1_30default_config_static_selectorELNS0_4arch9wavefront6targetE0EEEvT1_.numbered_sgpr, 0
	.set _ZN7rocprim17ROCPRIM_400000_NS6detail17trampoline_kernelINS0_14default_configENS1_25partition_config_selectorILNS1_17partition_subalgoE6EiNS0_10empty_typeEbEEZZNS1_14partition_implILS5_6ELb0ES3_mN6thrust23THRUST_200600_302600_NS6detail15normal_iteratorINSA_10device_ptrIiEEEEPS6_SG_NS0_5tupleIJSF_S6_EEENSH_IJSG_SG_EEES6_PlJNSB_9not_fun_tINSB_14equal_to_valueIiEEEEEEE10hipError_tPvRmT3_T4_T5_T6_T7_T9_mT8_P12ihipStream_tbDpT10_ENKUlT_T0_E_clISt17integral_constantIbLb1EES18_EEDaS13_S14_EUlS13_E_NS1_11comp_targetILNS1_3genE0ELNS1_11target_archE4294967295ELNS1_3gpuE0ELNS1_3repE0EEENS1_30default_config_static_selectorELNS0_4arch9wavefront6targetE0EEEvT1_.num_named_barrier, 0
	.set _ZN7rocprim17ROCPRIM_400000_NS6detail17trampoline_kernelINS0_14default_configENS1_25partition_config_selectorILNS1_17partition_subalgoE6EiNS0_10empty_typeEbEEZZNS1_14partition_implILS5_6ELb0ES3_mN6thrust23THRUST_200600_302600_NS6detail15normal_iteratorINSA_10device_ptrIiEEEEPS6_SG_NS0_5tupleIJSF_S6_EEENSH_IJSG_SG_EEES6_PlJNSB_9not_fun_tINSB_14equal_to_valueIiEEEEEEE10hipError_tPvRmT3_T4_T5_T6_T7_T9_mT8_P12ihipStream_tbDpT10_ENKUlT_T0_E_clISt17integral_constantIbLb1EES18_EEDaS13_S14_EUlS13_E_NS1_11comp_targetILNS1_3genE0ELNS1_11target_archE4294967295ELNS1_3gpuE0ELNS1_3repE0EEENS1_30default_config_static_selectorELNS0_4arch9wavefront6targetE0EEEvT1_.private_seg_size, 0
	.set _ZN7rocprim17ROCPRIM_400000_NS6detail17trampoline_kernelINS0_14default_configENS1_25partition_config_selectorILNS1_17partition_subalgoE6EiNS0_10empty_typeEbEEZZNS1_14partition_implILS5_6ELb0ES3_mN6thrust23THRUST_200600_302600_NS6detail15normal_iteratorINSA_10device_ptrIiEEEEPS6_SG_NS0_5tupleIJSF_S6_EEENSH_IJSG_SG_EEES6_PlJNSB_9not_fun_tINSB_14equal_to_valueIiEEEEEEE10hipError_tPvRmT3_T4_T5_T6_T7_T9_mT8_P12ihipStream_tbDpT10_ENKUlT_T0_E_clISt17integral_constantIbLb1EES18_EEDaS13_S14_EUlS13_E_NS1_11comp_targetILNS1_3genE0ELNS1_11target_archE4294967295ELNS1_3gpuE0ELNS1_3repE0EEENS1_30default_config_static_selectorELNS0_4arch9wavefront6targetE0EEEvT1_.uses_vcc, 0
	.set _ZN7rocprim17ROCPRIM_400000_NS6detail17trampoline_kernelINS0_14default_configENS1_25partition_config_selectorILNS1_17partition_subalgoE6EiNS0_10empty_typeEbEEZZNS1_14partition_implILS5_6ELb0ES3_mN6thrust23THRUST_200600_302600_NS6detail15normal_iteratorINSA_10device_ptrIiEEEEPS6_SG_NS0_5tupleIJSF_S6_EEENSH_IJSG_SG_EEES6_PlJNSB_9not_fun_tINSB_14equal_to_valueIiEEEEEEE10hipError_tPvRmT3_T4_T5_T6_T7_T9_mT8_P12ihipStream_tbDpT10_ENKUlT_T0_E_clISt17integral_constantIbLb1EES18_EEDaS13_S14_EUlS13_E_NS1_11comp_targetILNS1_3genE0ELNS1_11target_archE4294967295ELNS1_3gpuE0ELNS1_3repE0EEENS1_30default_config_static_selectorELNS0_4arch9wavefront6targetE0EEEvT1_.uses_flat_scratch, 0
	.set _ZN7rocprim17ROCPRIM_400000_NS6detail17trampoline_kernelINS0_14default_configENS1_25partition_config_selectorILNS1_17partition_subalgoE6EiNS0_10empty_typeEbEEZZNS1_14partition_implILS5_6ELb0ES3_mN6thrust23THRUST_200600_302600_NS6detail15normal_iteratorINSA_10device_ptrIiEEEEPS6_SG_NS0_5tupleIJSF_S6_EEENSH_IJSG_SG_EEES6_PlJNSB_9not_fun_tINSB_14equal_to_valueIiEEEEEEE10hipError_tPvRmT3_T4_T5_T6_T7_T9_mT8_P12ihipStream_tbDpT10_ENKUlT_T0_E_clISt17integral_constantIbLb1EES18_EEDaS13_S14_EUlS13_E_NS1_11comp_targetILNS1_3genE0ELNS1_11target_archE4294967295ELNS1_3gpuE0ELNS1_3repE0EEENS1_30default_config_static_selectorELNS0_4arch9wavefront6targetE0EEEvT1_.has_dyn_sized_stack, 0
	.set _ZN7rocprim17ROCPRIM_400000_NS6detail17trampoline_kernelINS0_14default_configENS1_25partition_config_selectorILNS1_17partition_subalgoE6EiNS0_10empty_typeEbEEZZNS1_14partition_implILS5_6ELb0ES3_mN6thrust23THRUST_200600_302600_NS6detail15normal_iteratorINSA_10device_ptrIiEEEEPS6_SG_NS0_5tupleIJSF_S6_EEENSH_IJSG_SG_EEES6_PlJNSB_9not_fun_tINSB_14equal_to_valueIiEEEEEEE10hipError_tPvRmT3_T4_T5_T6_T7_T9_mT8_P12ihipStream_tbDpT10_ENKUlT_T0_E_clISt17integral_constantIbLb1EES18_EEDaS13_S14_EUlS13_E_NS1_11comp_targetILNS1_3genE0ELNS1_11target_archE4294967295ELNS1_3gpuE0ELNS1_3repE0EEENS1_30default_config_static_selectorELNS0_4arch9wavefront6targetE0EEEvT1_.has_recursion, 0
	.set _ZN7rocprim17ROCPRIM_400000_NS6detail17trampoline_kernelINS0_14default_configENS1_25partition_config_selectorILNS1_17partition_subalgoE6EiNS0_10empty_typeEbEEZZNS1_14partition_implILS5_6ELb0ES3_mN6thrust23THRUST_200600_302600_NS6detail15normal_iteratorINSA_10device_ptrIiEEEEPS6_SG_NS0_5tupleIJSF_S6_EEENSH_IJSG_SG_EEES6_PlJNSB_9not_fun_tINSB_14equal_to_valueIiEEEEEEE10hipError_tPvRmT3_T4_T5_T6_T7_T9_mT8_P12ihipStream_tbDpT10_ENKUlT_T0_E_clISt17integral_constantIbLb1EES18_EEDaS13_S14_EUlS13_E_NS1_11comp_targetILNS1_3genE0ELNS1_11target_archE4294967295ELNS1_3gpuE0ELNS1_3repE0EEENS1_30default_config_static_selectorELNS0_4arch9wavefront6targetE0EEEvT1_.has_indirect_call, 0
	.section	.AMDGPU.csdata,"",@progbits
; Kernel info:
; codeLenInByte = 0
; TotalNumSgprs: 0
; NumVgprs: 0
; ScratchSize: 0
; MemoryBound: 0
; FloatMode: 240
; IeeeMode: 1
; LDSByteSize: 0 bytes/workgroup (compile time only)
; SGPRBlocks: 0
; VGPRBlocks: 0
; NumSGPRsForWavesPerEU: 1
; NumVGPRsForWavesPerEU: 1
; Occupancy: 16
; WaveLimiterHint : 0
; COMPUTE_PGM_RSRC2:SCRATCH_EN: 0
; COMPUTE_PGM_RSRC2:USER_SGPR: 2
; COMPUTE_PGM_RSRC2:TRAP_HANDLER: 0
; COMPUTE_PGM_RSRC2:TGID_X_EN: 1
; COMPUTE_PGM_RSRC2:TGID_Y_EN: 0
; COMPUTE_PGM_RSRC2:TGID_Z_EN: 0
; COMPUTE_PGM_RSRC2:TIDIG_COMP_CNT: 0
	.section	.text._ZN7rocprim17ROCPRIM_400000_NS6detail17trampoline_kernelINS0_14default_configENS1_25partition_config_selectorILNS1_17partition_subalgoE6EiNS0_10empty_typeEbEEZZNS1_14partition_implILS5_6ELb0ES3_mN6thrust23THRUST_200600_302600_NS6detail15normal_iteratorINSA_10device_ptrIiEEEEPS6_SG_NS0_5tupleIJSF_S6_EEENSH_IJSG_SG_EEES6_PlJNSB_9not_fun_tINSB_14equal_to_valueIiEEEEEEE10hipError_tPvRmT3_T4_T5_T6_T7_T9_mT8_P12ihipStream_tbDpT10_ENKUlT_T0_E_clISt17integral_constantIbLb1EES18_EEDaS13_S14_EUlS13_E_NS1_11comp_targetILNS1_3genE5ELNS1_11target_archE942ELNS1_3gpuE9ELNS1_3repE0EEENS1_30default_config_static_selectorELNS0_4arch9wavefront6targetE0EEEvT1_,"axG",@progbits,_ZN7rocprim17ROCPRIM_400000_NS6detail17trampoline_kernelINS0_14default_configENS1_25partition_config_selectorILNS1_17partition_subalgoE6EiNS0_10empty_typeEbEEZZNS1_14partition_implILS5_6ELb0ES3_mN6thrust23THRUST_200600_302600_NS6detail15normal_iteratorINSA_10device_ptrIiEEEEPS6_SG_NS0_5tupleIJSF_S6_EEENSH_IJSG_SG_EEES6_PlJNSB_9not_fun_tINSB_14equal_to_valueIiEEEEEEE10hipError_tPvRmT3_T4_T5_T6_T7_T9_mT8_P12ihipStream_tbDpT10_ENKUlT_T0_E_clISt17integral_constantIbLb1EES18_EEDaS13_S14_EUlS13_E_NS1_11comp_targetILNS1_3genE5ELNS1_11target_archE942ELNS1_3gpuE9ELNS1_3repE0EEENS1_30default_config_static_selectorELNS0_4arch9wavefront6targetE0EEEvT1_,comdat
	.protected	_ZN7rocprim17ROCPRIM_400000_NS6detail17trampoline_kernelINS0_14default_configENS1_25partition_config_selectorILNS1_17partition_subalgoE6EiNS0_10empty_typeEbEEZZNS1_14partition_implILS5_6ELb0ES3_mN6thrust23THRUST_200600_302600_NS6detail15normal_iteratorINSA_10device_ptrIiEEEEPS6_SG_NS0_5tupleIJSF_S6_EEENSH_IJSG_SG_EEES6_PlJNSB_9not_fun_tINSB_14equal_to_valueIiEEEEEEE10hipError_tPvRmT3_T4_T5_T6_T7_T9_mT8_P12ihipStream_tbDpT10_ENKUlT_T0_E_clISt17integral_constantIbLb1EES18_EEDaS13_S14_EUlS13_E_NS1_11comp_targetILNS1_3genE5ELNS1_11target_archE942ELNS1_3gpuE9ELNS1_3repE0EEENS1_30default_config_static_selectorELNS0_4arch9wavefront6targetE0EEEvT1_ ; -- Begin function _ZN7rocprim17ROCPRIM_400000_NS6detail17trampoline_kernelINS0_14default_configENS1_25partition_config_selectorILNS1_17partition_subalgoE6EiNS0_10empty_typeEbEEZZNS1_14partition_implILS5_6ELb0ES3_mN6thrust23THRUST_200600_302600_NS6detail15normal_iteratorINSA_10device_ptrIiEEEEPS6_SG_NS0_5tupleIJSF_S6_EEENSH_IJSG_SG_EEES6_PlJNSB_9not_fun_tINSB_14equal_to_valueIiEEEEEEE10hipError_tPvRmT3_T4_T5_T6_T7_T9_mT8_P12ihipStream_tbDpT10_ENKUlT_T0_E_clISt17integral_constantIbLb1EES18_EEDaS13_S14_EUlS13_E_NS1_11comp_targetILNS1_3genE5ELNS1_11target_archE942ELNS1_3gpuE9ELNS1_3repE0EEENS1_30default_config_static_selectorELNS0_4arch9wavefront6targetE0EEEvT1_
	.globl	_ZN7rocprim17ROCPRIM_400000_NS6detail17trampoline_kernelINS0_14default_configENS1_25partition_config_selectorILNS1_17partition_subalgoE6EiNS0_10empty_typeEbEEZZNS1_14partition_implILS5_6ELb0ES3_mN6thrust23THRUST_200600_302600_NS6detail15normal_iteratorINSA_10device_ptrIiEEEEPS6_SG_NS0_5tupleIJSF_S6_EEENSH_IJSG_SG_EEES6_PlJNSB_9not_fun_tINSB_14equal_to_valueIiEEEEEEE10hipError_tPvRmT3_T4_T5_T6_T7_T9_mT8_P12ihipStream_tbDpT10_ENKUlT_T0_E_clISt17integral_constantIbLb1EES18_EEDaS13_S14_EUlS13_E_NS1_11comp_targetILNS1_3genE5ELNS1_11target_archE942ELNS1_3gpuE9ELNS1_3repE0EEENS1_30default_config_static_selectorELNS0_4arch9wavefront6targetE0EEEvT1_
	.p2align	8
	.type	_ZN7rocprim17ROCPRIM_400000_NS6detail17trampoline_kernelINS0_14default_configENS1_25partition_config_selectorILNS1_17partition_subalgoE6EiNS0_10empty_typeEbEEZZNS1_14partition_implILS5_6ELb0ES3_mN6thrust23THRUST_200600_302600_NS6detail15normal_iteratorINSA_10device_ptrIiEEEEPS6_SG_NS0_5tupleIJSF_S6_EEENSH_IJSG_SG_EEES6_PlJNSB_9not_fun_tINSB_14equal_to_valueIiEEEEEEE10hipError_tPvRmT3_T4_T5_T6_T7_T9_mT8_P12ihipStream_tbDpT10_ENKUlT_T0_E_clISt17integral_constantIbLb1EES18_EEDaS13_S14_EUlS13_E_NS1_11comp_targetILNS1_3genE5ELNS1_11target_archE942ELNS1_3gpuE9ELNS1_3repE0EEENS1_30default_config_static_selectorELNS0_4arch9wavefront6targetE0EEEvT1_,@function
_ZN7rocprim17ROCPRIM_400000_NS6detail17trampoline_kernelINS0_14default_configENS1_25partition_config_selectorILNS1_17partition_subalgoE6EiNS0_10empty_typeEbEEZZNS1_14partition_implILS5_6ELb0ES3_mN6thrust23THRUST_200600_302600_NS6detail15normal_iteratorINSA_10device_ptrIiEEEEPS6_SG_NS0_5tupleIJSF_S6_EEENSH_IJSG_SG_EEES6_PlJNSB_9not_fun_tINSB_14equal_to_valueIiEEEEEEE10hipError_tPvRmT3_T4_T5_T6_T7_T9_mT8_P12ihipStream_tbDpT10_ENKUlT_T0_E_clISt17integral_constantIbLb1EES18_EEDaS13_S14_EUlS13_E_NS1_11comp_targetILNS1_3genE5ELNS1_11target_archE942ELNS1_3gpuE9ELNS1_3repE0EEENS1_30default_config_static_selectorELNS0_4arch9wavefront6targetE0EEEvT1_: ; @_ZN7rocprim17ROCPRIM_400000_NS6detail17trampoline_kernelINS0_14default_configENS1_25partition_config_selectorILNS1_17partition_subalgoE6EiNS0_10empty_typeEbEEZZNS1_14partition_implILS5_6ELb0ES3_mN6thrust23THRUST_200600_302600_NS6detail15normal_iteratorINSA_10device_ptrIiEEEEPS6_SG_NS0_5tupleIJSF_S6_EEENSH_IJSG_SG_EEES6_PlJNSB_9not_fun_tINSB_14equal_to_valueIiEEEEEEE10hipError_tPvRmT3_T4_T5_T6_T7_T9_mT8_P12ihipStream_tbDpT10_ENKUlT_T0_E_clISt17integral_constantIbLb1EES18_EEDaS13_S14_EUlS13_E_NS1_11comp_targetILNS1_3genE5ELNS1_11target_archE942ELNS1_3gpuE9ELNS1_3repE0EEENS1_30default_config_static_selectorELNS0_4arch9wavefront6targetE0EEEvT1_
; %bb.0:
	.section	.rodata,"a",@progbits
	.p2align	6, 0x0
	.amdhsa_kernel _ZN7rocprim17ROCPRIM_400000_NS6detail17trampoline_kernelINS0_14default_configENS1_25partition_config_selectorILNS1_17partition_subalgoE6EiNS0_10empty_typeEbEEZZNS1_14partition_implILS5_6ELb0ES3_mN6thrust23THRUST_200600_302600_NS6detail15normal_iteratorINSA_10device_ptrIiEEEEPS6_SG_NS0_5tupleIJSF_S6_EEENSH_IJSG_SG_EEES6_PlJNSB_9not_fun_tINSB_14equal_to_valueIiEEEEEEE10hipError_tPvRmT3_T4_T5_T6_T7_T9_mT8_P12ihipStream_tbDpT10_ENKUlT_T0_E_clISt17integral_constantIbLb1EES18_EEDaS13_S14_EUlS13_E_NS1_11comp_targetILNS1_3genE5ELNS1_11target_archE942ELNS1_3gpuE9ELNS1_3repE0EEENS1_30default_config_static_selectorELNS0_4arch9wavefront6targetE0EEEvT1_
		.amdhsa_group_segment_fixed_size 0
		.amdhsa_private_segment_fixed_size 0
		.amdhsa_kernarg_size 128
		.amdhsa_user_sgpr_count 2
		.amdhsa_user_sgpr_dispatch_ptr 0
		.amdhsa_user_sgpr_queue_ptr 0
		.amdhsa_user_sgpr_kernarg_segment_ptr 1
		.amdhsa_user_sgpr_dispatch_id 0
		.amdhsa_user_sgpr_private_segment_size 0
		.amdhsa_wavefront_size32 1
		.amdhsa_uses_dynamic_stack 0
		.amdhsa_enable_private_segment 0
		.amdhsa_system_sgpr_workgroup_id_x 1
		.amdhsa_system_sgpr_workgroup_id_y 0
		.amdhsa_system_sgpr_workgroup_id_z 0
		.amdhsa_system_sgpr_workgroup_info 0
		.amdhsa_system_vgpr_workitem_id 0
		.amdhsa_next_free_vgpr 1
		.amdhsa_next_free_sgpr 1
		.amdhsa_reserve_vcc 0
		.amdhsa_float_round_mode_32 0
		.amdhsa_float_round_mode_16_64 0
		.amdhsa_float_denorm_mode_32 3
		.amdhsa_float_denorm_mode_16_64 3
		.amdhsa_fp16_overflow 0
		.amdhsa_workgroup_processor_mode 1
		.amdhsa_memory_ordered 1
		.amdhsa_forward_progress 1
		.amdhsa_inst_pref_size 0
		.amdhsa_round_robin_scheduling 0
		.amdhsa_exception_fp_ieee_invalid_op 0
		.amdhsa_exception_fp_denorm_src 0
		.amdhsa_exception_fp_ieee_div_zero 0
		.amdhsa_exception_fp_ieee_overflow 0
		.amdhsa_exception_fp_ieee_underflow 0
		.amdhsa_exception_fp_ieee_inexact 0
		.amdhsa_exception_int_div_zero 0
	.end_amdhsa_kernel
	.section	.text._ZN7rocprim17ROCPRIM_400000_NS6detail17trampoline_kernelINS0_14default_configENS1_25partition_config_selectorILNS1_17partition_subalgoE6EiNS0_10empty_typeEbEEZZNS1_14partition_implILS5_6ELb0ES3_mN6thrust23THRUST_200600_302600_NS6detail15normal_iteratorINSA_10device_ptrIiEEEEPS6_SG_NS0_5tupleIJSF_S6_EEENSH_IJSG_SG_EEES6_PlJNSB_9not_fun_tINSB_14equal_to_valueIiEEEEEEE10hipError_tPvRmT3_T4_T5_T6_T7_T9_mT8_P12ihipStream_tbDpT10_ENKUlT_T0_E_clISt17integral_constantIbLb1EES18_EEDaS13_S14_EUlS13_E_NS1_11comp_targetILNS1_3genE5ELNS1_11target_archE942ELNS1_3gpuE9ELNS1_3repE0EEENS1_30default_config_static_selectorELNS0_4arch9wavefront6targetE0EEEvT1_,"axG",@progbits,_ZN7rocprim17ROCPRIM_400000_NS6detail17trampoline_kernelINS0_14default_configENS1_25partition_config_selectorILNS1_17partition_subalgoE6EiNS0_10empty_typeEbEEZZNS1_14partition_implILS5_6ELb0ES3_mN6thrust23THRUST_200600_302600_NS6detail15normal_iteratorINSA_10device_ptrIiEEEEPS6_SG_NS0_5tupleIJSF_S6_EEENSH_IJSG_SG_EEES6_PlJNSB_9not_fun_tINSB_14equal_to_valueIiEEEEEEE10hipError_tPvRmT3_T4_T5_T6_T7_T9_mT8_P12ihipStream_tbDpT10_ENKUlT_T0_E_clISt17integral_constantIbLb1EES18_EEDaS13_S14_EUlS13_E_NS1_11comp_targetILNS1_3genE5ELNS1_11target_archE942ELNS1_3gpuE9ELNS1_3repE0EEENS1_30default_config_static_selectorELNS0_4arch9wavefront6targetE0EEEvT1_,comdat
.Lfunc_end478:
	.size	_ZN7rocprim17ROCPRIM_400000_NS6detail17trampoline_kernelINS0_14default_configENS1_25partition_config_selectorILNS1_17partition_subalgoE6EiNS0_10empty_typeEbEEZZNS1_14partition_implILS5_6ELb0ES3_mN6thrust23THRUST_200600_302600_NS6detail15normal_iteratorINSA_10device_ptrIiEEEEPS6_SG_NS0_5tupleIJSF_S6_EEENSH_IJSG_SG_EEES6_PlJNSB_9not_fun_tINSB_14equal_to_valueIiEEEEEEE10hipError_tPvRmT3_T4_T5_T6_T7_T9_mT8_P12ihipStream_tbDpT10_ENKUlT_T0_E_clISt17integral_constantIbLb1EES18_EEDaS13_S14_EUlS13_E_NS1_11comp_targetILNS1_3genE5ELNS1_11target_archE942ELNS1_3gpuE9ELNS1_3repE0EEENS1_30default_config_static_selectorELNS0_4arch9wavefront6targetE0EEEvT1_, .Lfunc_end478-_ZN7rocprim17ROCPRIM_400000_NS6detail17trampoline_kernelINS0_14default_configENS1_25partition_config_selectorILNS1_17partition_subalgoE6EiNS0_10empty_typeEbEEZZNS1_14partition_implILS5_6ELb0ES3_mN6thrust23THRUST_200600_302600_NS6detail15normal_iteratorINSA_10device_ptrIiEEEEPS6_SG_NS0_5tupleIJSF_S6_EEENSH_IJSG_SG_EEES6_PlJNSB_9not_fun_tINSB_14equal_to_valueIiEEEEEEE10hipError_tPvRmT3_T4_T5_T6_T7_T9_mT8_P12ihipStream_tbDpT10_ENKUlT_T0_E_clISt17integral_constantIbLb1EES18_EEDaS13_S14_EUlS13_E_NS1_11comp_targetILNS1_3genE5ELNS1_11target_archE942ELNS1_3gpuE9ELNS1_3repE0EEENS1_30default_config_static_selectorELNS0_4arch9wavefront6targetE0EEEvT1_
                                        ; -- End function
	.set _ZN7rocprim17ROCPRIM_400000_NS6detail17trampoline_kernelINS0_14default_configENS1_25partition_config_selectorILNS1_17partition_subalgoE6EiNS0_10empty_typeEbEEZZNS1_14partition_implILS5_6ELb0ES3_mN6thrust23THRUST_200600_302600_NS6detail15normal_iteratorINSA_10device_ptrIiEEEEPS6_SG_NS0_5tupleIJSF_S6_EEENSH_IJSG_SG_EEES6_PlJNSB_9not_fun_tINSB_14equal_to_valueIiEEEEEEE10hipError_tPvRmT3_T4_T5_T6_T7_T9_mT8_P12ihipStream_tbDpT10_ENKUlT_T0_E_clISt17integral_constantIbLb1EES18_EEDaS13_S14_EUlS13_E_NS1_11comp_targetILNS1_3genE5ELNS1_11target_archE942ELNS1_3gpuE9ELNS1_3repE0EEENS1_30default_config_static_selectorELNS0_4arch9wavefront6targetE0EEEvT1_.num_vgpr, 0
	.set _ZN7rocprim17ROCPRIM_400000_NS6detail17trampoline_kernelINS0_14default_configENS1_25partition_config_selectorILNS1_17partition_subalgoE6EiNS0_10empty_typeEbEEZZNS1_14partition_implILS5_6ELb0ES3_mN6thrust23THRUST_200600_302600_NS6detail15normal_iteratorINSA_10device_ptrIiEEEEPS6_SG_NS0_5tupleIJSF_S6_EEENSH_IJSG_SG_EEES6_PlJNSB_9not_fun_tINSB_14equal_to_valueIiEEEEEEE10hipError_tPvRmT3_T4_T5_T6_T7_T9_mT8_P12ihipStream_tbDpT10_ENKUlT_T0_E_clISt17integral_constantIbLb1EES18_EEDaS13_S14_EUlS13_E_NS1_11comp_targetILNS1_3genE5ELNS1_11target_archE942ELNS1_3gpuE9ELNS1_3repE0EEENS1_30default_config_static_selectorELNS0_4arch9wavefront6targetE0EEEvT1_.num_agpr, 0
	.set _ZN7rocprim17ROCPRIM_400000_NS6detail17trampoline_kernelINS0_14default_configENS1_25partition_config_selectorILNS1_17partition_subalgoE6EiNS0_10empty_typeEbEEZZNS1_14partition_implILS5_6ELb0ES3_mN6thrust23THRUST_200600_302600_NS6detail15normal_iteratorINSA_10device_ptrIiEEEEPS6_SG_NS0_5tupleIJSF_S6_EEENSH_IJSG_SG_EEES6_PlJNSB_9not_fun_tINSB_14equal_to_valueIiEEEEEEE10hipError_tPvRmT3_T4_T5_T6_T7_T9_mT8_P12ihipStream_tbDpT10_ENKUlT_T0_E_clISt17integral_constantIbLb1EES18_EEDaS13_S14_EUlS13_E_NS1_11comp_targetILNS1_3genE5ELNS1_11target_archE942ELNS1_3gpuE9ELNS1_3repE0EEENS1_30default_config_static_selectorELNS0_4arch9wavefront6targetE0EEEvT1_.numbered_sgpr, 0
	.set _ZN7rocprim17ROCPRIM_400000_NS6detail17trampoline_kernelINS0_14default_configENS1_25partition_config_selectorILNS1_17partition_subalgoE6EiNS0_10empty_typeEbEEZZNS1_14partition_implILS5_6ELb0ES3_mN6thrust23THRUST_200600_302600_NS6detail15normal_iteratorINSA_10device_ptrIiEEEEPS6_SG_NS0_5tupleIJSF_S6_EEENSH_IJSG_SG_EEES6_PlJNSB_9not_fun_tINSB_14equal_to_valueIiEEEEEEE10hipError_tPvRmT3_T4_T5_T6_T7_T9_mT8_P12ihipStream_tbDpT10_ENKUlT_T0_E_clISt17integral_constantIbLb1EES18_EEDaS13_S14_EUlS13_E_NS1_11comp_targetILNS1_3genE5ELNS1_11target_archE942ELNS1_3gpuE9ELNS1_3repE0EEENS1_30default_config_static_selectorELNS0_4arch9wavefront6targetE0EEEvT1_.num_named_barrier, 0
	.set _ZN7rocprim17ROCPRIM_400000_NS6detail17trampoline_kernelINS0_14default_configENS1_25partition_config_selectorILNS1_17partition_subalgoE6EiNS0_10empty_typeEbEEZZNS1_14partition_implILS5_6ELb0ES3_mN6thrust23THRUST_200600_302600_NS6detail15normal_iteratorINSA_10device_ptrIiEEEEPS6_SG_NS0_5tupleIJSF_S6_EEENSH_IJSG_SG_EEES6_PlJNSB_9not_fun_tINSB_14equal_to_valueIiEEEEEEE10hipError_tPvRmT3_T4_T5_T6_T7_T9_mT8_P12ihipStream_tbDpT10_ENKUlT_T0_E_clISt17integral_constantIbLb1EES18_EEDaS13_S14_EUlS13_E_NS1_11comp_targetILNS1_3genE5ELNS1_11target_archE942ELNS1_3gpuE9ELNS1_3repE0EEENS1_30default_config_static_selectorELNS0_4arch9wavefront6targetE0EEEvT1_.private_seg_size, 0
	.set _ZN7rocprim17ROCPRIM_400000_NS6detail17trampoline_kernelINS0_14default_configENS1_25partition_config_selectorILNS1_17partition_subalgoE6EiNS0_10empty_typeEbEEZZNS1_14partition_implILS5_6ELb0ES3_mN6thrust23THRUST_200600_302600_NS6detail15normal_iteratorINSA_10device_ptrIiEEEEPS6_SG_NS0_5tupleIJSF_S6_EEENSH_IJSG_SG_EEES6_PlJNSB_9not_fun_tINSB_14equal_to_valueIiEEEEEEE10hipError_tPvRmT3_T4_T5_T6_T7_T9_mT8_P12ihipStream_tbDpT10_ENKUlT_T0_E_clISt17integral_constantIbLb1EES18_EEDaS13_S14_EUlS13_E_NS1_11comp_targetILNS1_3genE5ELNS1_11target_archE942ELNS1_3gpuE9ELNS1_3repE0EEENS1_30default_config_static_selectorELNS0_4arch9wavefront6targetE0EEEvT1_.uses_vcc, 0
	.set _ZN7rocprim17ROCPRIM_400000_NS6detail17trampoline_kernelINS0_14default_configENS1_25partition_config_selectorILNS1_17partition_subalgoE6EiNS0_10empty_typeEbEEZZNS1_14partition_implILS5_6ELb0ES3_mN6thrust23THRUST_200600_302600_NS6detail15normal_iteratorINSA_10device_ptrIiEEEEPS6_SG_NS0_5tupleIJSF_S6_EEENSH_IJSG_SG_EEES6_PlJNSB_9not_fun_tINSB_14equal_to_valueIiEEEEEEE10hipError_tPvRmT3_T4_T5_T6_T7_T9_mT8_P12ihipStream_tbDpT10_ENKUlT_T0_E_clISt17integral_constantIbLb1EES18_EEDaS13_S14_EUlS13_E_NS1_11comp_targetILNS1_3genE5ELNS1_11target_archE942ELNS1_3gpuE9ELNS1_3repE0EEENS1_30default_config_static_selectorELNS0_4arch9wavefront6targetE0EEEvT1_.uses_flat_scratch, 0
	.set _ZN7rocprim17ROCPRIM_400000_NS6detail17trampoline_kernelINS0_14default_configENS1_25partition_config_selectorILNS1_17partition_subalgoE6EiNS0_10empty_typeEbEEZZNS1_14partition_implILS5_6ELb0ES3_mN6thrust23THRUST_200600_302600_NS6detail15normal_iteratorINSA_10device_ptrIiEEEEPS6_SG_NS0_5tupleIJSF_S6_EEENSH_IJSG_SG_EEES6_PlJNSB_9not_fun_tINSB_14equal_to_valueIiEEEEEEE10hipError_tPvRmT3_T4_T5_T6_T7_T9_mT8_P12ihipStream_tbDpT10_ENKUlT_T0_E_clISt17integral_constantIbLb1EES18_EEDaS13_S14_EUlS13_E_NS1_11comp_targetILNS1_3genE5ELNS1_11target_archE942ELNS1_3gpuE9ELNS1_3repE0EEENS1_30default_config_static_selectorELNS0_4arch9wavefront6targetE0EEEvT1_.has_dyn_sized_stack, 0
	.set _ZN7rocprim17ROCPRIM_400000_NS6detail17trampoline_kernelINS0_14default_configENS1_25partition_config_selectorILNS1_17partition_subalgoE6EiNS0_10empty_typeEbEEZZNS1_14partition_implILS5_6ELb0ES3_mN6thrust23THRUST_200600_302600_NS6detail15normal_iteratorINSA_10device_ptrIiEEEEPS6_SG_NS0_5tupleIJSF_S6_EEENSH_IJSG_SG_EEES6_PlJNSB_9not_fun_tINSB_14equal_to_valueIiEEEEEEE10hipError_tPvRmT3_T4_T5_T6_T7_T9_mT8_P12ihipStream_tbDpT10_ENKUlT_T0_E_clISt17integral_constantIbLb1EES18_EEDaS13_S14_EUlS13_E_NS1_11comp_targetILNS1_3genE5ELNS1_11target_archE942ELNS1_3gpuE9ELNS1_3repE0EEENS1_30default_config_static_selectorELNS0_4arch9wavefront6targetE0EEEvT1_.has_recursion, 0
	.set _ZN7rocprim17ROCPRIM_400000_NS6detail17trampoline_kernelINS0_14default_configENS1_25partition_config_selectorILNS1_17partition_subalgoE6EiNS0_10empty_typeEbEEZZNS1_14partition_implILS5_6ELb0ES3_mN6thrust23THRUST_200600_302600_NS6detail15normal_iteratorINSA_10device_ptrIiEEEEPS6_SG_NS0_5tupleIJSF_S6_EEENSH_IJSG_SG_EEES6_PlJNSB_9not_fun_tINSB_14equal_to_valueIiEEEEEEE10hipError_tPvRmT3_T4_T5_T6_T7_T9_mT8_P12ihipStream_tbDpT10_ENKUlT_T0_E_clISt17integral_constantIbLb1EES18_EEDaS13_S14_EUlS13_E_NS1_11comp_targetILNS1_3genE5ELNS1_11target_archE942ELNS1_3gpuE9ELNS1_3repE0EEENS1_30default_config_static_selectorELNS0_4arch9wavefront6targetE0EEEvT1_.has_indirect_call, 0
	.section	.AMDGPU.csdata,"",@progbits
; Kernel info:
; codeLenInByte = 0
; TotalNumSgprs: 0
; NumVgprs: 0
; ScratchSize: 0
; MemoryBound: 0
; FloatMode: 240
; IeeeMode: 1
; LDSByteSize: 0 bytes/workgroup (compile time only)
; SGPRBlocks: 0
; VGPRBlocks: 0
; NumSGPRsForWavesPerEU: 1
; NumVGPRsForWavesPerEU: 1
; Occupancy: 16
; WaveLimiterHint : 0
; COMPUTE_PGM_RSRC2:SCRATCH_EN: 0
; COMPUTE_PGM_RSRC2:USER_SGPR: 2
; COMPUTE_PGM_RSRC2:TRAP_HANDLER: 0
; COMPUTE_PGM_RSRC2:TGID_X_EN: 1
; COMPUTE_PGM_RSRC2:TGID_Y_EN: 0
; COMPUTE_PGM_RSRC2:TGID_Z_EN: 0
; COMPUTE_PGM_RSRC2:TIDIG_COMP_CNT: 0
	.section	.text._ZN7rocprim17ROCPRIM_400000_NS6detail17trampoline_kernelINS0_14default_configENS1_25partition_config_selectorILNS1_17partition_subalgoE6EiNS0_10empty_typeEbEEZZNS1_14partition_implILS5_6ELb0ES3_mN6thrust23THRUST_200600_302600_NS6detail15normal_iteratorINSA_10device_ptrIiEEEEPS6_SG_NS0_5tupleIJSF_S6_EEENSH_IJSG_SG_EEES6_PlJNSB_9not_fun_tINSB_14equal_to_valueIiEEEEEEE10hipError_tPvRmT3_T4_T5_T6_T7_T9_mT8_P12ihipStream_tbDpT10_ENKUlT_T0_E_clISt17integral_constantIbLb1EES18_EEDaS13_S14_EUlS13_E_NS1_11comp_targetILNS1_3genE4ELNS1_11target_archE910ELNS1_3gpuE8ELNS1_3repE0EEENS1_30default_config_static_selectorELNS0_4arch9wavefront6targetE0EEEvT1_,"axG",@progbits,_ZN7rocprim17ROCPRIM_400000_NS6detail17trampoline_kernelINS0_14default_configENS1_25partition_config_selectorILNS1_17partition_subalgoE6EiNS0_10empty_typeEbEEZZNS1_14partition_implILS5_6ELb0ES3_mN6thrust23THRUST_200600_302600_NS6detail15normal_iteratorINSA_10device_ptrIiEEEEPS6_SG_NS0_5tupleIJSF_S6_EEENSH_IJSG_SG_EEES6_PlJNSB_9not_fun_tINSB_14equal_to_valueIiEEEEEEE10hipError_tPvRmT3_T4_T5_T6_T7_T9_mT8_P12ihipStream_tbDpT10_ENKUlT_T0_E_clISt17integral_constantIbLb1EES18_EEDaS13_S14_EUlS13_E_NS1_11comp_targetILNS1_3genE4ELNS1_11target_archE910ELNS1_3gpuE8ELNS1_3repE0EEENS1_30default_config_static_selectorELNS0_4arch9wavefront6targetE0EEEvT1_,comdat
	.protected	_ZN7rocprim17ROCPRIM_400000_NS6detail17trampoline_kernelINS0_14default_configENS1_25partition_config_selectorILNS1_17partition_subalgoE6EiNS0_10empty_typeEbEEZZNS1_14partition_implILS5_6ELb0ES3_mN6thrust23THRUST_200600_302600_NS6detail15normal_iteratorINSA_10device_ptrIiEEEEPS6_SG_NS0_5tupleIJSF_S6_EEENSH_IJSG_SG_EEES6_PlJNSB_9not_fun_tINSB_14equal_to_valueIiEEEEEEE10hipError_tPvRmT3_T4_T5_T6_T7_T9_mT8_P12ihipStream_tbDpT10_ENKUlT_T0_E_clISt17integral_constantIbLb1EES18_EEDaS13_S14_EUlS13_E_NS1_11comp_targetILNS1_3genE4ELNS1_11target_archE910ELNS1_3gpuE8ELNS1_3repE0EEENS1_30default_config_static_selectorELNS0_4arch9wavefront6targetE0EEEvT1_ ; -- Begin function _ZN7rocprim17ROCPRIM_400000_NS6detail17trampoline_kernelINS0_14default_configENS1_25partition_config_selectorILNS1_17partition_subalgoE6EiNS0_10empty_typeEbEEZZNS1_14partition_implILS5_6ELb0ES3_mN6thrust23THRUST_200600_302600_NS6detail15normal_iteratorINSA_10device_ptrIiEEEEPS6_SG_NS0_5tupleIJSF_S6_EEENSH_IJSG_SG_EEES6_PlJNSB_9not_fun_tINSB_14equal_to_valueIiEEEEEEE10hipError_tPvRmT3_T4_T5_T6_T7_T9_mT8_P12ihipStream_tbDpT10_ENKUlT_T0_E_clISt17integral_constantIbLb1EES18_EEDaS13_S14_EUlS13_E_NS1_11comp_targetILNS1_3genE4ELNS1_11target_archE910ELNS1_3gpuE8ELNS1_3repE0EEENS1_30default_config_static_selectorELNS0_4arch9wavefront6targetE0EEEvT1_
	.globl	_ZN7rocprim17ROCPRIM_400000_NS6detail17trampoline_kernelINS0_14default_configENS1_25partition_config_selectorILNS1_17partition_subalgoE6EiNS0_10empty_typeEbEEZZNS1_14partition_implILS5_6ELb0ES3_mN6thrust23THRUST_200600_302600_NS6detail15normal_iteratorINSA_10device_ptrIiEEEEPS6_SG_NS0_5tupleIJSF_S6_EEENSH_IJSG_SG_EEES6_PlJNSB_9not_fun_tINSB_14equal_to_valueIiEEEEEEE10hipError_tPvRmT3_T4_T5_T6_T7_T9_mT8_P12ihipStream_tbDpT10_ENKUlT_T0_E_clISt17integral_constantIbLb1EES18_EEDaS13_S14_EUlS13_E_NS1_11comp_targetILNS1_3genE4ELNS1_11target_archE910ELNS1_3gpuE8ELNS1_3repE0EEENS1_30default_config_static_selectorELNS0_4arch9wavefront6targetE0EEEvT1_
	.p2align	8
	.type	_ZN7rocprim17ROCPRIM_400000_NS6detail17trampoline_kernelINS0_14default_configENS1_25partition_config_selectorILNS1_17partition_subalgoE6EiNS0_10empty_typeEbEEZZNS1_14partition_implILS5_6ELb0ES3_mN6thrust23THRUST_200600_302600_NS6detail15normal_iteratorINSA_10device_ptrIiEEEEPS6_SG_NS0_5tupleIJSF_S6_EEENSH_IJSG_SG_EEES6_PlJNSB_9not_fun_tINSB_14equal_to_valueIiEEEEEEE10hipError_tPvRmT3_T4_T5_T6_T7_T9_mT8_P12ihipStream_tbDpT10_ENKUlT_T0_E_clISt17integral_constantIbLb1EES18_EEDaS13_S14_EUlS13_E_NS1_11comp_targetILNS1_3genE4ELNS1_11target_archE910ELNS1_3gpuE8ELNS1_3repE0EEENS1_30default_config_static_selectorELNS0_4arch9wavefront6targetE0EEEvT1_,@function
_ZN7rocprim17ROCPRIM_400000_NS6detail17trampoline_kernelINS0_14default_configENS1_25partition_config_selectorILNS1_17partition_subalgoE6EiNS0_10empty_typeEbEEZZNS1_14partition_implILS5_6ELb0ES3_mN6thrust23THRUST_200600_302600_NS6detail15normal_iteratorINSA_10device_ptrIiEEEEPS6_SG_NS0_5tupleIJSF_S6_EEENSH_IJSG_SG_EEES6_PlJNSB_9not_fun_tINSB_14equal_to_valueIiEEEEEEE10hipError_tPvRmT3_T4_T5_T6_T7_T9_mT8_P12ihipStream_tbDpT10_ENKUlT_T0_E_clISt17integral_constantIbLb1EES18_EEDaS13_S14_EUlS13_E_NS1_11comp_targetILNS1_3genE4ELNS1_11target_archE910ELNS1_3gpuE8ELNS1_3repE0EEENS1_30default_config_static_selectorELNS0_4arch9wavefront6targetE0EEEvT1_: ; @_ZN7rocprim17ROCPRIM_400000_NS6detail17trampoline_kernelINS0_14default_configENS1_25partition_config_selectorILNS1_17partition_subalgoE6EiNS0_10empty_typeEbEEZZNS1_14partition_implILS5_6ELb0ES3_mN6thrust23THRUST_200600_302600_NS6detail15normal_iteratorINSA_10device_ptrIiEEEEPS6_SG_NS0_5tupleIJSF_S6_EEENSH_IJSG_SG_EEES6_PlJNSB_9not_fun_tINSB_14equal_to_valueIiEEEEEEE10hipError_tPvRmT3_T4_T5_T6_T7_T9_mT8_P12ihipStream_tbDpT10_ENKUlT_T0_E_clISt17integral_constantIbLb1EES18_EEDaS13_S14_EUlS13_E_NS1_11comp_targetILNS1_3genE4ELNS1_11target_archE910ELNS1_3gpuE8ELNS1_3repE0EEENS1_30default_config_static_selectorELNS0_4arch9wavefront6targetE0EEEvT1_
; %bb.0:
	.section	.rodata,"a",@progbits
	.p2align	6, 0x0
	.amdhsa_kernel _ZN7rocprim17ROCPRIM_400000_NS6detail17trampoline_kernelINS0_14default_configENS1_25partition_config_selectorILNS1_17partition_subalgoE6EiNS0_10empty_typeEbEEZZNS1_14partition_implILS5_6ELb0ES3_mN6thrust23THRUST_200600_302600_NS6detail15normal_iteratorINSA_10device_ptrIiEEEEPS6_SG_NS0_5tupleIJSF_S6_EEENSH_IJSG_SG_EEES6_PlJNSB_9not_fun_tINSB_14equal_to_valueIiEEEEEEE10hipError_tPvRmT3_T4_T5_T6_T7_T9_mT8_P12ihipStream_tbDpT10_ENKUlT_T0_E_clISt17integral_constantIbLb1EES18_EEDaS13_S14_EUlS13_E_NS1_11comp_targetILNS1_3genE4ELNS1_11target_archE910ELNS1_3gpuE8ELNS1_3repE0EEENS1_30default_config_static_selectorELNS0_4arch9wavefront6targetE0EEEvT1_
		.amdhsa_group_segment_fixed_size 0
		.amdhsa_private_segment_fixed_size 0
		.amdhsa_kernarg_size 128
		.amdhsa_user_sgpr_count 2
		.amdhsa_user_sgpr_dispatch_ptr 0
		.amdhsa_user_sgpr_queue_ptr 0
		.amdhsa_user_sgpr_kernarg_segment_ptr 1
		.amdhsa_user_sgpr_dispatch_id 0
		.amdhsa_user_sgpr_private_segment_size 0
		.amdhsa_wavefront_size32 1
		.amdhsa_uses_dynamic_stack 0
		.amdhsa_enable_private_segment 0
		.amdhsa_system_sgpr_workgroup_id_x 1
		.amdhsa_system_sgpr_workgroup_id_y 0
		.amdhsa_system_sgpr_workgroup_id_z 0
		.amdhsa_system_sgpr_workgroup_info 0
		.amdhsa_system_vgpr_workitem_id 0
		.amdhsa_next_free_vgpr 1
		.amdhsa_next_free_sgpr 1
		.amdhsa_reserve_vcc 0
		.amdhsa_float_round_mode_32 0
		.amdhsa_float_round_mode_16_64 0
		.amdhsa_float_denorm_mode_32 3
		.amdhsa_float_denorm_mode_16_64 3
		.amdhsa_fp16_overflow 0
		.amdhsa_workgroup_processor_mode 1
		.amdhsa_memory_ordered 1
		.amdhsa_forward_progress 1
		.amdhsa_inst_pref_size 0
		.amdhsa_round_robin_scheduling 0
		.amdhsa_exception_fp_ieee_invalid_op 0
		.amdhsa_exception_fp_denorm_src 0
		.amdhsa_exception_fp_ieee_div_zero 0
		.amdhsa_exception_fp_ieee_overflow 0
		.amdhsa_exception_fp_ieee_underflow 0
		.amdhsa_exception_fp_ieee_inexact 0
		.amdhsa_exception_int_div_zero 0
	.end_amdhsa_kernel
	.section	.text._ZN7rocprim17ROCPRIM_400000_NS6detail17trampoline_kernelINS0_14default_configENS1_25partition_config_selectorILNS1_17partition_subalgoE6EiNS0_10empty_typeEbEEZZNS1_14partition_implILS5_6ELb0ES3_mN6thrust23THRUST_200600_302600_NS6detail15normal_iteratorINSA_10device_ptrIiEEEEPS6_SG_NS0_5tupleIJSF_S6_EEENSH_IJSG_SG_EEES6_PlJNSB_9not_fun_tINSB_14equal_to_valueIiEEEEEEE10hipError_tPvRmT3_T4_T5_T6_T7_T9_mT8_P12ihipStream_tbDpT10_ENKUlT_T0_E_clISt17integral_constantIbLb1EES18_EEDaS13_S14_EUlS13_E_NS1_11comp_targetILNS1_3genE4ELNS1_11target_archE910ELNS1_3gpuE8ELNS1_3repE0EEENS1_30default_config_static_selectorELNS0_4arch9wavefront6targetE0EEEvT1_,"axG",@progbits,_ZN7rocprim17ROCPRIM_400000_NS6detail17trampoline_kernelINS0_14default_configENS1_25partition_config_selectorILNS1_17partition_subalgoE6EiNS0_10empty_typeEbEEZZNS1_14partition_implILS5_6ELb0ES3_mN6thrust23THRUST_200600_302600_NS6detail15normal_iteratorINSA_10device_ptrIiEEEEPS6_SG_NS0_5tupleIJSF_S6_EEENSH_IJSG_SG_EEES6_PlJNSB_9not_fun_tINSB_14equal_to_valueIiEEEEEEE10hipError_tPvRmT3_T4_T5_T6_T7_T9_mT8_P12ihipStream_tbDpT10_ENKUlT_T0_E_clISt17integral_constantIbLb1EES18_EEDaS13_S14_EUlS13_E_NS1_11comp_targetILNS1_3genE4ELNS1_11target_archE910ELNS1_3gpuE8ELNS1_3repE0EEENS1_30default_config_static_selectorELNS0_4arch9wavefront6targetE0EEEvT1_,comdat
.Lfunc_end479:
	.size	_ZN7rocprim17ROCPRIM_400000_NS6detail17trampoline_kernelINS0_14default_configENS1_25partition_config_selectorILNS1_17partition_subalgoE6EiNS0_10empty_typeEbEEZZNS1_14partition_implILS5_6ELb0ES3_mN6thrust23THRUST_200600_302600_NS6detail15normal_iteratorINSA_10device_ptrIiEEEEPS6_SG_NS0_5tupleIJSF_S6_EEENSH_IJSG_SG_EEES6_PlJNSB_9not_fun_tINSB_14equal_to_valueIiEEEEEEE10hipError_tPvRmT3_T4_T5_T6_T7_T9_mT8_P12ihipStream_tbDpT10_ENKUlT_T0_E_clISt17integral_constantIbLb1EES18_EEDaS13_S14_EUlS13_E_NS1_11comp_targetILNS1_3genE4ELNS1_11target_archE910ELNS1_3gpuE8ELNS1_3repE0EEENS1_30default_config_static_selectorELNS0_4arch9wavefront6targetE0EEEvT1_, .Lfunc_end479-_ZN7rocprim17ROCPRIM_400000_NS6detail17trampoline_kernelINS0_14default_configENS1_25partition_config_selectorILNS1_17partition_subalgoE6EiNS0_10empty_typeEbEEZZNS1_14partition_implILS5_6ELb0ES3_mN6thrust23THRUST_200600_302600_NS6detail15normal_iteratorINSA_10device_ptrIiEEEEPS6_SG_NS0_5tupleIJSF_S6_EEENSH_IJSG_SG_EEES6_PlJNSB_9not_fun_tINSB_14equal_to_valueIiEEEEEEE10hipError_tPvRmT3_T4_T5_T6_T7_T9_mT8_P12ihipStream_tbDpT10_ENKUlT_T0_E_clISt17integral_constantIbLb1EES18_EEDaS13_S14_EUlS13_E_NS1_11comp_targetILNS1_3genE4ELNS1_11target_archE910ELNS1_3gpuE8ELNS1_3repE0EEENS1_30default_config_static_selectorELNS0_4arch9wavefront6targetE0EEEvT1_
                                        ; -- End function
	.set _ZN7rocprim17ROCPRIM_400000_NS6detail17trampoline_kernelINS0_14default_configENS1_25partition_config_selectorILNS1_17partition_subalgoE6EiNS0_10empty_typeEbEEZZNS1_14partition_implILS5_6ELb0ES3_mN6thrust23THRUST_200600_302600_NS6detail15normal_iteratorINSA_10device_ptrIiEEEEPS6_SG_NS0_5tupleIJSF_S6_EEENSH_IJSG_SG_EEES6_PlJNSB_9not_fun_tINSB_14equal_to_valueIiEEEEEEE10hipError_tPvRmT3_T4_T5_T6_T7_T9_mT8_P12ihipStream_tbDpT10_ENKUlT_T0_E_clISt17integral_constantIbLb1EES18_EEDaS13_S14_EUlS13_E_NS1_11comp_targetILNS1_3genE4ELNS1_11target_archE910ELNS1_3gpuE8ELNS1_3repE0EEENS1_30default_config_static_selectorELNS0_4arch9wavefront6targetE0EEEvT1_.num_vgpr, 0
	.set _ZN7rocprim17ROCPRIM_400000_NS6detail17trampoline_kernelINS0_14default_configENS1_25partition_config_selectorILNS1_17partition_subalgoE6EiNS0_10empty_typeEbEEZZNS1_14partition_implILS5_6ELb0ES3_mN6thrust23THRUST_200600_302600_NS6detail15normal_iteratorINSA_10device_ptrIiEEEEPS6_SG_NS0_5tupleIJSF_S6_EEENSH_IJSG_SG_EEES6_PlJNSB_9not_fun_tINSB_14equal_to_valueIiEEEEEEE10hipError_tPvRmT3_T4_T5_T6_T7_T9_mT8_P12ihipStream_tbDpT10_ENKUlT_T0_E_clISt17integral_constantIbLb1EES18_EEDaS13_S14_EUlS13_E_NS1_11comp_targetILNS1_3genE4ELNS1_11target_archE910ELNS1_3gpuE8ELNS1_3repE0EEENS1_30default_config_static_selectorELNS0_4arch9wavefront6targetE0EEEvT1_.num_agpr, 0
	.set _ZN7rocprim17ROCPRIM_400000_NS6detail17trampoline_kernelINS0_14default_configENS1_25partition_config_selectorILNS1_17partition_subalgoE6EiNS0_10empty_typeEbEEZZNS1_14partition_implILS5_6ELb0ES3_mN6thrust23THRUST_200600_302600_NS6detail15normal_iteratorINSA_10device_ptrIiEEEEPS6_SG_NS0_5tupleIJSF_S6_EEENSH_IJSG_SG_EEES6_PlJNSB_9not_fun_tINSB_14equal_to_valueIiEEEEEEE10hipError_tPvRmT3_T4_T5_T6_T7_T9_mT8_P12ihipStream_tbDpT10_ENKUlT_T0_E_clISt17integral_constantIbLb1EES18_EEDaS13_S14_EUlS13_E_NS1_11comp_targetILNS1_3genE4ELNS1_11target_archE910ELNS1_3gpuE8ELNS1_3repE0EEENS1_30default_config_static_selectorELNS0_4arch9wavefront6targetE0EEEvT1_.numbered_sgpr, 0
	.set _ZN7rocprim17ROCPRIM_400000_NS6detail17trampoline_kernelINS0_14default_configENS1_25partition_config_selectorILNS1_17partition_subalgoE6EiNS0_10empty_typeEbEEZZNS1_14partition_implILS5_6ELb0ES3_mN6thrust23THRUST_200600_302600_NS6detail15normal_iteratorINSA_10device_ptrIiEEEEPS6_SG_NS0_5tupleIJSF_S6_EEENSH_IJSG_SG_EEES6_PlJNSB_9not_fun_tINSB_14equal_to_valueIiEEEEEEE10hipError_tPvRmT3_T4_T5_T6_T7_T9_mT8_P12ihipStream_tbDpT10_ENKUlT_T0_E_clISt17integral_constantIbLb1EES18_EEDaS13_S14_EUlS13_E_NS1_11comp_targetILNS1_3genE4ELNS1_11target_archE910ELNS1_3gpuE8ELNS1_3repE0EEENS1_30default_config_static_selectorELNS0_4arch9wavefront6targetE0EEEvT1_.num_named_barrier, 0
	.set _ZN7rocprim17ROCPRIM_400000_NS6detail17trampoline_kernelINS0_14default_configENS1_25partition_config_selectorILNS1_17partition_subalgoE6EiNS0_10empty_typeEbEEZZNS1_14partition_implILS5_6ELb0ES3_mN6thrust23THRUST_200600_302600_NS6detail15normal_iteratorINSA_10device_ptrIiEEEEPS6_SG_NS0_5tupleIJSF_S6_EEENSH_IJSG_SG_EEES6_PlJNSB_9not_fun_tINSB_14equal_to_valueIiEEEEEEE10hipError_tPvRmT3_T4_T5_T6_T7_T9_mT8_P12ihipStream_tbDpT10_ENKUlT_T0_E_clISt17integral_constantIbLb1EES18_EEDaS13_S14_EUlS13_E_NS1_11comp_targetILNS1_3genE4ELNS1_11target_archE910ELNS1_3gpuE8ELNS1_3repE0EEENS1_30default_config_static_selectorELNS0_4arch9wavefront6targetE0EEEvT1_.private_seg_size, 0
	.set _ZN7rocprim17ROCPRIM_400000_NS6detail17trampoline_kernelINS0_14default_configENS1_25partition_config_selectorILNS1_17partition_subalgoE6EiNS0_10empty_typeEbEEZZNS1_14partition_implILS5_6ELb0ES3_mN6thrust23THRUST_200600_302600_NS6detail15normal_iteratorINSA_10device_ptrIiEEEEPS6_SG_NS0_5tupleIJSF_S6_EEENSH_IJSG_SG_EEES6_PlJNSB_9not_fun_tINSB_14equal_to_valueIiEEEEEEE10hipError_tPvRmT3_T4_T5_T6_T7_T9_mT8_P12ihipStream_tbDpT10_ENKUlT_T0_E_clISt17integral_constantIbLb1EES18_EEDaS13_S14_EUlS13_E_NS1_11comp_targetILNS1_3genE4ELNS1_11target_archE910ELNS1_3gpuE8ELNS1_3repE0EEENS1_30default_config_static_selectorELNS0_4arch9wavefront6targetE0EEEvT1_.uses_vcc, 0
	.set _ZN7rocprim17ROCPRIM_400000_NS6detail17trampoline_kernelINS0_14default_configENS1_25partition_config_selectorILNS1_17partition_subalgoE6EiNS0_10empty_typeEbEEZZNS1_14partition_implILS5_6ELb0ES3_mN6thrust23THRUST_200600_302600_NS6detail15normal_iteratorINSA_10device_ptrIiEEEEPS6_SG_NS0_5tupleIJSF_S6_EEENSH_IJSG_SG_EEES6_PlJNSB_9not_fun_tINSB_14equal_to_valueIiEEEEEEE10hipError_tPvRmT3_T4_T5_T6_T7_T9_mT8_P12ihipStream_tbDpT10_ENKUlT_T0_E_clISt17integral_constantIbLb1EES18_EEDaS13_S14_EUlS13_E_NS1_11comp_targetILNS1_3genE4ELNS1_11target_archE910ELNS1_3gpuE8ELNS1_3repE0EEENS1_30default_config_static_selectorELNS0_4arch9wavefront6targetE0EEEvT1_.uses_flat_scratch, 0
	.set _ZN7rocprim17ROCPRIM_400000_NS6detail17trampoline_kernelINS0_14default_configENS1_25partition_config_selectorILNS1_17partition_subalgoE6EiNS0_10empty_typeEbEEZZNS1_14partition_implILS5_6ELb0ES3_mN6thrust23THRUST_200600_302600_NS6detail15normal_iteratorINSA_10device_ptrIiEEEEPS6_SG_NS0_5tupleIJSF_S6_EEENSH_IJSG_SG_EEES6_PlJNSB_9not_fun_tINSB_14equal_to_valueIiEEEEEEE10hipError_tPvRmT3_T4_T5_T6_T7_T9_mT8_P12ihipStream_tbDpT10_ENKUlT_T0_E_clISt17integral_constantIbLb1EES18_EEDaS13_S14_EUlS13_E_NS1_11comp_targetILNS1_3genE4ELNS1_11target_archE910ELNS1_3gpuE8ELNS1_3repE0EEENS1_30default_config_static_selectorELNS0_4arch9wavefront6targetE0EEEvT1_.has_dyn_sized_stack, 0
	.set _ZN7rocprim17ROCPRIM_400000_NS6detail17trampoline_kernelINS0_14default_configENS1_25partition_config_selectorILNS1_17partition_subalgoE6EiNS0_10empty_typeEbEEZZNS1_14partition_implILS5_6ELb0ES3_mN6thrust23THRUST_200600_302600_NS6detail15normal_iteratorINSA_10device_ptrIiEEEEPS6_SG_NS0_5tupleIJSF_S6_EEENSH_IJSG_SG_EEES6_PlJNSB_9not_fun_tINSB_14equal_to_valueIiEEEEEEE10hipError_tPvRmT3_T4_T5_T6_T7_T9_mT8_P12ihipStream_tbDpT10_ENKUlT_T0_E_clISt17integral_constantIbLb1EES18_EEDaS13_S14_EUlS13_E_NS1_11comp_targetILNS1_3genE4ELNS1_11target_archE910ELNS1_3gpuE8ELNS1_3repE0EEENS1_30default_config_static_selectorELNS0_4arch9wavefront6targetE0EEEvT1_.has_recursion, 0
	.set _ZN7rocprim17ROCPRIM_400000_NS6detail17trampoline_kernelINS0_14default_configENS1_25partition_config_selectorILNS1_17partition_subalgoE6EiNS0_10empty_typeEbEEZZNS1_14partition_implILS5_6ELb0ES3_mN6thrust23THRUST_200600_302600_NS6detail15normal_iteratorINSA_10device_ptrIiEEEEPS6_SG_NS0_5tupleIJSF_S6_EEENSH_IJSG_SG_EEES6_PlJNSB_9not_fun_tINSB_14equal_to_valueIiEEEEEEE10hipError_tPvRmT3_T4_T5_T6_T7_T9_mT8_P12ihipStream_tbDpT10_ENKUlT_T0_E_clISt17integral_constantIbLb1EES18_EEDaS13_S14_EUlS13_E_NS1_11comp_targetILNS1_3genE4ELNS1_11target_archE910ELNS1_3gpuE8ELNS1_3repE0EEENS1_30default_config_static_selectorELNS0_4arch9wavefront6targetE0EEEvT1_.has_indirect_call, 0
	.section	.AMDGPU.csdata,"",@progbits
; Kernel info:
; codeLenInByte = 0
; TotalNumSgprs: 0
; NumVgprs: 0
; ScratchSize: 0
; MemoryBound: 0
; FloatMode: 240
; IeeeMode: 1
; LDSByteSize: 0 bytes/workgroup (compile time only)
; SGPRBlocks: 0
; VGPRBlocks: 0
; NumSGPRsForWavesPerEU: 1
; NumVGPRsForWavesPerEU: 1
; Occupancy: 16
; WaveLimiterHint : 0
; COMPUTE_PGM_RSRC2:SCRATCH_EN: 0
; COMPUTE_PGM_RSRC2:USER_SGPR: 2
; COMPUTE_PGM_RSRC2:TRAP_HANDLER: 0
; COMPUTE_PGM_RSRC2:TGID_X_EN: 1
; COMPUTE_PGM_RSRC2:TGID_Y_EN: 0
; COMPUTE_PGM_RSRC2:TGID_Z_EN: 0
; COMPUTE_PGM_RSRC2:TIDIG_COMP_CNT: 0
	.section	.text._ZN7rocprim17ROCPRIM_400000_NS6detail17trampoline_kernelINS0_14default_configENS1_25partition_config_selectorILNS1_17partition_subalgoE6EiNS0_10empty_typeEbEEZZNS1_14partition_implILS5_6ELb0ES3_mN6thrust23THRUST_200600_302600_NS6detail15normal_iteratorINSA_10device_ptrIiEEEEPS6_SG_NS0_5tupleIJSF_S6_EEENSH_IJSG_SG_EEES6_PlJNSB_9not_fun_tINSB_14equal_to_valueIiEEEEEEE10hipError_tPvRmT3_T4_T5_T6_T7_T9_mT8_P12ihipStream_tbDpT10_ENKUlT_T0_E_clISt17integral_constantIbLb1EES18_EEDaS13_S14_EUlS13_E_NS1_11comp_targetILNS1_3genE3ELNS1_11target_archE908ELNS1_3gpuE7ELNS1_3repE0EEENS1_30default_config_static_selectorELNS0_4arch9wavefront6targetE0EEEvT1_,"axG",@progbits,_ZN7rocprim17ROCPRIM_400000_NS6detail17trampoline_kernelINS0_14default_configENS1_25partition_config_selectorILNS1_17partition_subalgoE6EiNS0_10empty_typeEbEEZZNS1_14partition_implILS5_6ELb0ES3_mN6thrust23THRUST_200600_302600_NS6detail15normal_iteratorINSA_10device_ptrIiEEEEPS6_SG_NS0_5tupleIJSF_S6_EEENSH_IJSG_SG_EEES6_PlJNSB_9not_fun_tINSB_14equal_to_valueIiEEEEEEE10hipError_tPvRmT3_T4_T5_T6_T7_T9_mT8_P12ihipStream_tbDpT10_ENKUlT_T0_E_clISt17integral_constantIbLb1EES18_EEDaS13_S14_EUlS13_E_NS1_11comp_targetILNS1_3genE3ELNS1_11target_archE908ELNS1_3gpuE7ELNS1_3repE0EEENS1_30default_config_static_selectorELNS0_4arch9wavefront6targetE0EEEvT1_,comdat
	.protected	_ZN7rocprim17ROCPRIM_400000_NS6detail17trampoline_kernelINS0_14default_configENS1_25partition_config_selectorILNS1_17partition_subalgoE6EiNS0_10empty_typeEbEEZZNS1_14partition_implILS5_6ELb0ES3_mN6thrust23THRUST_200600_302600_NS6detail15normal_iteratorINSA_10device_ptrIiEEEEPS6_SG_NS0_5tupleIJSF_S6_EEENSH_IJSG_SG_EEES6_PlJNSB_9not_fun_tINSB_14equal_to_valueIiEEEEEEE10hipError_tPvRmT3_T4_T5_T6_T7_T9_mT8_P12ihipStream_tbDpT10_ENKUlT_T0_E_clISt17integral_constantIbLb1EES18_EEDaS13_S14_EUlS13_E_NS1_11comp_targetILNS1_3genE3ELNS1_11target_archE908ELNS1_3gpuE7ELNS1_3repE0EEENS1_30default_config_static_selectorELNS0_4arch9wavefront6targetE0EEEvT1_ ; -- Begin function _ZN7rocprim17ROCPRIM_400000_NS6detail17trampoline_kernelINS0_14default_configENS1_25partition_config_selectorILNS1_17partition_subalgoE6EiNS0_10empty_typeEbEEZZNS1_14partition_implILS5_6ELb0ES3_mN6thrust23THRUST_200600_302600_NS6detail15normal_iteratorINSA_10device_ptrIiEEEEPS6_SG_NS0_5tupleIJSF_S6_EEENSH_IJSG_SG_EEES6_PlJNSB_9not_fun_tINSB_14equal_to_valueIiEEEEEEE10hipError_tPvRmT3_T4_T5_T6_T7_T9_mT8_P12ihipStream_tbDpT10_ENKUlT_T0_E_clISt17integral_constantIbLb1EES18_EEDaS13_S14_EUlS13_E_NS1_11comp_targetILNS1_3genE3ELNS1_11target_archE908ELNS1_3gpuE7ELNS1_3repE0EEENS1_30default_config_static_selectorELNS0_4arch9wavefront6targetE0EEEvT1_
	.globl	_ZN7rocprim17ROCPRIM_400000_NS6detail17trampoline_kernelINS0_14default_configENS1_25partition_config_selectorILNS1_17partition_subalgoE6EiNS0_10empty_typeEbEEZZNS1_14partition_implILS5_6ELb0ES3_mN6thrust23THRUST_200600_302600_NS6detail15normal_iteratorINSA_10device_ptrIiEEEEPS6_SG_NS0_5tupleIJSF_S6_EEENSH_IJSG_SG_EEES6_PlJNSB_9not_fun_tINSB_14equal_to_valueIiEEEEEEE10hipError_tPvRmT3_T4_T5_T6_T7_T9_mT8_P12ihipStream_tbDpT10_ENKUlT_T0_E_clISt17integral_constantIbLb1EES18_EEDaS13_S14_EUlS13_E_NS1_11comp_targetILNS1_3genE3ELNS1_11target_archE908ELNS1_3gpuE7ELNS1_3repE0EEENS1_30default_config_static_selectorELNS0_4arch9wavefront6targetE0EEEvT1_
	.p2align	8
	.type	_ZN7rocprim17ROCPRIM_400000_NS6detail17trampoline_kernelINS0_14default_configENS1_25partition_config_selectorILNS1_17partition_subalgoE6EiNS0_10empty_typeEbEEZZNS1_14partition_implILS5_6ELb0ES3_mN6thrust23THRUST_200600_302600_NS6detail15normal_iteratorINSA_10device_ptrIiEEEEPS6_SG_NS0_5tupleIJSF_S6_EEENSH_IJSG_SG_EEES6_PlJNSB_9not_fun_tINSB_14equal_to_valueIiEEEEEEE10hipError_tPvRmT3_T4_T5_T6_T7_T9_mT8_P12ihipStream_tbDpT10_ENKUlT_T0_E_clISt17integral_constantIbLb1EES18_EEDaS13_S14_EUlS13_E_NS1_11comp_targetILNS1_3genE3ELNS1_11target_archE908ELNS1_3gpuE7ELNS1_3repE0EEENS1_30default_config_static_selectorELNS0_4arch9wavefront6targetE0EEEvT1_,@function
_ZN7rocprim17ROCPRIM_400000_NS6detail17trampoline_kernelINS0_14default_configENS1_25partition_config_selectorILNS1_17partition_subalgoE6EiNS0_10empty_typeEbEEZZNS1_14partition_implILS5_6ELb0ES3_mN6thrust23THRUST_200600_302600_NS6detail15normal_iteratorINSA_10device_ptrIiEEEEPS6_SG_NS0_5tupleIJSF_S6_EEENSH_IJSG_SG_EEES6_PlJNSB_9not_fun_tINSB_14equal_to_valueIiEEEEEEE10hipError_tPvRmT3_T4_T5_T6_T7_T9_mT8_P12ihipStream_tbDpT10_ENKUlT_T0_E_clISt17integral_constantIbLb1EES18_EEDaS13_S14_EUlS13_E_NS1_11comp_targetILNS1_3genE3ELNS1_11target_archE908ELNS1_3gpuE7ELNS1_3repE0EEENS1_30default_config_static_selectorELNS0_4arch9wavefront6targetE0EEEvT1_: ; @_ZN7rocprim17ROCPRIM_400000_NS6detail17trampoline_kernelINS0_14default_configENS1_25partition_config_selectorILNS1_17partition_subalgoE6EiNS0_10empty_typeEbEEZZNS1_14partition_implILS5_6ELb0ES3_mN6thrust23THRUST_200600_302600_NS6detail15normal_iteratorINSA_10device_ptrIiEEEEPS6_SG_NS0_5tupleIJSF_S6_EEENSH_IJSG_SG_EEES6_PlJNSB_9not_fun_tINSB_14equal_to_valueIiEEEEEEE10hipError_tPvRmT3_T4_T5_T6_T7_T9_mT8_P12ihipStream_tbDpT10_ENKUlT_T0_E_clISt17integral_constantIbLb1EES18_EEDaS13_S14_EUlS13_E_NS1_11comp_targetILNS1_3genE3ELNS1_11target_archE908ELNS1_3gpuE7ELNS1_3repE0EEENS1_30default_config_static_selectorELNS0_4arch9wavefront6targetE0EEEvT1_
; %bb.0:
	.section	.rodata,"a",@progbits
	.p2align	6, 0x0
	.amdhsa_kernel _ZN7rocprim17ROCPRIM_400000_NS6detail17trampoline_kernelINS0_14default_configENS1_25partition_config_selectorILNS1_17partition_subalgoE6EiNS0_10empty_typeEbEEZZNS1_14partition_implILS5_6ELb0ES3_mN6thrust23THRUST_200600_302600_NS6detail15normal_iteratorINSA_10device_ptrIiEEEEPS6_SG_NS0_5tupleIJSF_S6_EEENSH_IJSG_SG_EEES6_PlJNSB_9not_fun_tINSB_14equal_to_valueIiEEEEEEE10hipError_tPvRmT3_T4_T5_T6_T7_T9_mT8_P12ihipStream_tbDpT10_ENKUlT_T0_E_clISt17integral_constantIbLb1EES18_EEDaS13_S14_EUlS13_E_NS1_11comp_targetILNS1_3genE3ELNS1_11target_archE908ELNS1_3gpuE7ELNS1_3repE0EEENS1_30default_config_static_selectorELNS0_4arch9wavefront6targetE0EEEvT1_
		.amdhsa_group_segment_fixed_size 0
		.amdhsa_private_segment_fixed_size 0
		.amdhsa_kernarg_size 128
		.amdhsa_user_sgpr_count 2
		.amdhsa_user_sgpr_dispatch_ptr 0
		.amdhsa_user_sgpr_queue_ptr 0
		.amdhsa_user_sgpr_kernarg_segment_ptr 1
		.amdhsa_user_sgpr_dispatch_id 0
		.amdhsa_user_sgpr_private_segment_size 0
		.amdhsa_wavefront_size32 1
		.amdhsa_uses_dynamic_stack 0
		.amdhsa_enable_private_segment 0
		.amdhsa_system_sgpr_workgroup_id_x 1
		.amdhsa_system_sgpr_workgroup_id_y 0
		.amdhsa_system_sgpr_workgroup_id_z 0
		.amdhsa_system_sgpr_workgroup_info 0
		.amdhsa_system_vgpr_workitem_id 0
		.amdhsa_next_free_vgpr 1
		.amdhsa_next_free_sgpr 1
		.amdhsa_reserve_vcc 0
		.amdhsa_float_round_mode_32 0
		.amdhsa_float_round_mode_16_64 0
		.amdhsa_float_denorm_mode_32 3
		.amdhsa_float_denorm_mode_16_64 3
		.amdhsa_fp16_overflow 0
		.amdhsa_workgroup_processor_mode 1
		.amdhsa_memory_ordered 1
		.amdhsa_forward_progress 1
		.amdhsa_inst_pref_size 0
		.amdhsa_round_robin_scheduling 0
		.amdhsa_exception_fp_ieee_invalid_op 0
		.amdhsa_exception_fp_denorm_src 0
		.amdhsa_exception_fp_ieee_div_zero 0
		.amdhsa_exception_fp_ieee_overflow 0
		.amdhsa_exception_fp_ieee_underflow 0
		.amdhsa_exception_fp_ieee_inexact 0
		.amdhsa_exception_int_div_zero 0
	.end_amdhsa_kernel
	.section	.text._ZN7rocprim17ROCPRIM_400000_NS6detail17trampoline_kernelINS0_14default_configENS1_25partition_config_selectorILNS1_17partition_subalgoE6EiNS0_10empty_typeEbEEZZNS1_14partition_implILS5_6ELb0ES3_mN6thrust23THRUST_200600_302600_NS6detail15normal_iteratorINSA_10device_ptrIiEEEEPS6_SG_NS0_5tupleIJSF_S6_EEENSH_IJSG_SG_EEES6_PlJNSB_9not_fun_tINSB_14equal_to_valueIiEEEEEEE10hipError_tPvRmT3_T4_T5_T6_T7_T9_mT8_P12ihipStream_tbDpT10_ENKUlT_T0_E_clISt17integral_constantIbLb1EES18_EEDaS13_S14_EUlS13_E_NS1_11comp_targetILNS1_3genE3ELNS1_11target_archE908ELNS1_3gpuE7ELNS1_3repE0EEENS1_30default_config_static_selectorELNS0_4arch9wavefront6targetE0EEEvT1_,"axG",@progbits,_ZN7rocprim17ROCPRIM_400000_NS6detail17trampoline_kernelINS0_14default_configENS1_25partition_config_selectorILNS1_17partition_subalgoE6EiNS0_10empty_typeEbEEZZNS1_14partition_implILS5_6ELb0ES3_mN6thrust23THRUST_200600_302600_NS6detail15normal_iteratorINSA_10device_ptrIiEEEEPS6_SG_NS0_5tupleIJSF_S6_EEENSH_IJSG_SG_EEES6_PlJNSB_9not_fun_tINSB_14equal_to_valueIiEEEEEEE10hipError_tPvRmT3_T4_T5_T6_T7_T9_mT8_P12ihipStream_tbDpT10_ENKUlT_T0_E_clISt17integral_constantIbLb1EES18_EEDaS13_S14_EUlS13_E_NS1_11comp_targetILNS1_3genE3ELNS1_11target_archE908ELNS1_3gpuE7ELNS1_3repE0EEENS1_30default_config_static_selectorELNS0_4arch9wavefront6targetE0EEEvT1_,comdat
.Lfunc_end480:
	.size	_ZN7rocprim17ROCPRIM_400000_NS6detail17trampoline_kernelINS0_14default_configENS1_25partition_config_selectorILNS1_17partition_subalgoE6EiNS0_10empty_typeEbEEZZNS1_14partition_implILS5_6ELb0ES3_mN6thrust23THRUST_200600_302600_NS6detail15normal_iteratorINSA_10device_ptrIiEEEEPS6_SG_NS0_5tupleIJSF_S6_EEENSH_IJSG_SG_EEES6_PlJNSB_9not_fun_tINSB_14equal_to_valueIiEEEEEEE10hipError_tPvRmT3_T4_T5_T6_T7_T9_mT8_P12ihipStream_tbDpT10_ENKUlT_T0_E_clISt17integral_constantIbLb1EES18_EEDaS13_S14_EUlS13_E_NS1_11comp_targetILNS1_3genE3ELNS1_11target_archE908ELNS1_3gpuE7ELNS1_3repE0EEENS1_30default_config_static_selectorELNS0_4arch9wavefront6targetE0EEEvT1_, .Lfunc_end480-_ZN7rocprim17ROCPRIM_400000_NS6detail17trampoline_kernelINS0_14default_configENS1_25partition_config_selectorILNS1_17partition_subalgoE6EiNS0_10empty_typeEbEEZZNS1_14partition_implILS5_6ELb0ES3_mN6thrust23THRUST_200600_302600_NS6detail15normal_iteratorINSA_10device_ptrIiEEEEPS6_SG_NS0_5tupleIJSF_S6_EEENSH_IJSG_SG_EEES6_PlJNSB_9not_fun_tINSB_14equal_to_valueIiEEEEEEE10hipError_tPvRmT3_T4_T5_T6_T7_T9_mT8_P12ihipStream_tbDpT10_ENKUlT_T0_E_clISt17integral_constantIbLb1EES18_EEDaS13_S14_EUlS13_E_NS1_11comp_targetILNS1_3genE3ELNS1_11target_archE908ELNS1_3gpuE7ELNS1_3repE0EEENS1_30default_config_static_selectorELNS0_4arch9wavefront6targetE0EEEvT1_
                                        ; -- End function
	.set _ZN7rocprim17ROCPRIM_400000_NS6detail17trampoline_kernelINS0_14default_configENS1_25partition_config_selectorILNS1_17partition_subalgoE6EiNS0_10empty_typeEbEEZZNS1_14partition_implILS5_6ELb0ES3_mN6thrust23THRUST_200600_302600_NS6detail15normal_iteratorINSA_10device_ptrIiEEEEPS6_SG_NS0_5tupleIJSF_S6_EEENSH_IJSG_SG_EEES6_PlJNSB_9not_fun_tINSB_14equal_to_valueIiEEEEEEE10hipError_tPvRmT3_T4_T5_T6_T7_T9_mT8_P12ihipStream_tbDpT10_ENKUlT_T0_E_clISt17integral_constantIbLb1EES18_EEDaS13_S14_EUlS13_E_NS1_11comp_targetILNS1_3genE3ELNS1_11target_archE908ELNS1_3gpuE7ELNS1_3repE0EEENS1_30default_config_static_selectorELNS0_4arch9wavefront6targetE0EEEvT1_.num_vgpr, 0
	.set _ZN7rocprim17ROCPRIM_400000_NS6detail17trampoline_kernelINS0_14default_configENS1_25partition_config_selectorILNS1_17partition_subalgoE6EiNS0_10empty_typeEbEEZZNS1_14partition_implILS5_6ELb0ES3_mN6thrust23THRUST_200600_302600_NS6detail15normal_iteratorINSA_10device_ptrIiEEEEPS6_SG_NS0_5tupleIJSF_S6_EEENSH_IJSG_SG_EEES6_PlJNSB_9not_fun_tINSB_14equal_to_valueIiEEEEEEE10hipError_tPvRmT3_T4_T5_T6_T7_T9_mT8_P12ihipStream_tbDpT10_ENKUlT_T0_E_clISt17integral_constantIbLb1EES18_EEDaS13_S14_EUlS13_E_NS1_11comp_targetILNS1_3genE3ELNS1_11target_archE908ELNS1_3gpuE7ELNS1_3repE0EEENS1_30default_config_static_selectorELNS0_4arch9wavefront6targetE0EEEvT1_.num_agpr, 0
	.set _ZN7rocprim17ROCPRIM_400000_NS6detail17trampoline_kernelINS0_14default_configENS1_25partition_config_selectorILNS1_17partition_subalgoE6EiNS0_10empty_typeEbEEZZNS1_14partition_implILS5_6ELb0ES3_mN6thrust23THRUST_200600_302600_NS6detail15normal_iteratorINSA_10device_ptrIiEEEEPS6_SG_NS0_5tupleIJSF_S6_EEENSH_IJSG_SG_EEES6_PlJNSB_9not_fun_tINSB_14equal_to_valueIiEEEEEEE10hipError_tPvRmT3_T4_T5_T6_T7_T9_mT8_P12ihipStream_tbDpT10_ENKUlT_T0_E_clISt17integral_constantIbLb1EES18_EEDaS13_S14_EUlS13_E_NS1_11comp_targetILNS1_3genE3ELNS1_11target_archE908ELNS1_3gpuE7ELNS1_3repE0EEENS1_30default_config_static_selectorELNS0_4arch9wavefront6targetE0EEEvT1_.numbered_sgpr, 0
	.set _ZN7rocprim17ROCPRIM_400000_NS6detail17trampoline_kernelINS0_14default_configENS1_25partition_config_selectorILNS1_17partition_subalgoE6EiNS0_10empty_typeEbEEZZNS1_14partition_implILS5_6ELb0ES3_mN6thrust23THRUST_200600_302600_NS6detail15normal_iteratorINSA_10device_ptrIiEEEEPS6_SG_NS0_5tupleIJSF_S6_EEENSH_IJSG_SG_EEES6_PlJNSB_9not_fun_tINSB_14equal_to_valueIiEEEEEEE10hipError_tPvRmT3_T4_T5_T6_T7_T9_mT8_P12ihipStream_tbDpT10_ENKUlT_T0_E_clISt17integral_constantIbLb1EES18_EEDaS13_S14_EUlS13_E_NS1_11comp_targetILNS1_3genE3ELNS1_11target_archE908ELNS1_3gpuE7ELNS1_3repE0EEENS1_30default_config_static_selectorELNS0_4arch9wavefront6targetE0EEEvT1_.num_named_barrier, 0
	.set _ZN7rocprim17ROCPRIM_400000_NS6detail17trampoline_kernelINS0_14default_configENS1_25partition_config_selectorILNS1_17partition_subalgoE6EiNS0_10empty_typeEbEEZZNS1_14partition_implILS5_6ELb0ES3_mN6thrust23THRUST_200600_302600_NS6detail15normal_iteratorINSA_10device_ptrIiEEEEPS6_SG_NS0_5tupleIJSF_S6_EEENSH_IJSG_SG_EEES6_PlJNSB_9not_fun_tINSB_14equal_to_valueIiEEEEEEE10hipError_tPvRmT3_T4_T5_T6_T7_T9_mT8_P12ihipStream_tbDpT10_ENKUlT_T0_E_clISt17integral_constantIbLb1EES18_EEDaS13_S14_EUlS13_E_NS1_11comp_targetILNS1_3genE3ELNS1_11target_archE908ELNS1_3gpuE7ELNS1_3repE0EEENS1_30default_config_static_selectorELNS0_4arch9wavefront6targetE0EEEvT1_.private_seg_size, 0
	.set _ZN7rocprim17ROCPRIM_400000_NS6detail17trampoline_kernelINS0_14default_configENS1_25partition_config_selectorILNS1_17partition_subalgoE6EiNS0_10empty_typeEbEEZZNS1_14partition_implILS5_6ELb0ES3_mN6thrust23THRUST_200600_302600_NS6detail15normal_iteratorINSA_10device_ptrIiEEEEPS6_SG_NS0_5tupleIJSF_S6_EEENSH_IJSG_SG_EEES6_PlJNSB_9not_fun_tINSB_14equal_to_valueIiEEEEEEE10hipError_tPvRmT3_T4_T5_T6_T7_T9_mT8_P12ihipStream_tbDpT10_ENKUlT_T0_E_clISt17integral_constantIbLb1EES18_EEDaS13_S14_EUlS13_E_NS1_11comp_targetILNS1_3genE3ELNS1_11target_archE908ELNS1_3gpuE7ELNS1_3repE0EEENS1_30default_config_static_selectorELNS0_4arch9wavefront6targetE0EEEvT1_.uses_vcc, 0
	.set _ZN7rocprim17ROCPRIM_400000_NS6detail17trampoline_kernelINS0_14default_configENS1_25partition_config_selectorILNS1_17partition_subalgoE6EiNS0_10empty_typeEbEEZZNS1_14partition_implILS5_6ELb0ES3_mN6thrust23THRUST_200600_302600_NS6detail15normal_iteratorINSA_10device_ptrIiEEEEPS6_SG_NS0_5tupleIJSF_S6_EEENSH_IJSG_SG_EEES6_PlJNSB_9not_fun_tINSB_14equal_to_valueIiEEEEEEE10hipError_tPvRmT3_T4_T5_T6_T7_T9_mT8_P12ihipStream_tbDpT10_ENKUlT_T0_E_clISt17integral_constantIbLb1EES18_EEDaS13_S14_EUlS13_E_NS1_11comp_targetILNS1_3genE3ELNS1_11target_archE908ELNS1_3gpuE7ELNS1_3repE0EEENS1_30default_config_static_selectorELNS0_4arch9wavefront6targetE0EEEvT1_.uses_flat_scratch, 0
	.set _ZN7rocprim17ROCPRIM_400000_NS6detail17trampoline_kernelINS0_14default_configENS1_25partition_config_selectorILNS1_17partition_subalgoE6EiNS0_10empty_typeEbEEZZNS1_14partition_implILS5_6ELb0ES3_mN6thrust23THRUST_200600_302600_NS6detail15normal_iteratorINSA_10device_ptrIiEEEEPS6_SG_NS0_5tupleIJSF_S6_EEENSH_IJSG_SG_EEES6_PlJNSB_9not_fun_tINSB_14equal_to_valueIiEEEEEEE10hipError_tPvRmT3_T4_T5_T6_T7_T9_mT8_P12ihipStream_tbDpT10_ENKUlT_T0_E_clISt17integral_constantIbLb1EES18_EEDaS13_S14_EUlS13_E_NS1_11comp_targetILNS1_3genE3ELNS1_11target_archE908ELNS1_3gpuE7ELNS1_3repE0EEENS1_30default_config_static_selectorELNS0_4arch9wavefront6targetE0EEEvT1_.has_dyn_sized_stack, 0
	.set _ZN7rocprim17ROCPRIM_400000_NS6detail17trampoline_kernelINS0_14default_configENS1_25partition_config_selectorILNS1_17partition_subalgoE6EiNS0_10empty_typeEbEEZZNS1_14partition_implILS5_6ELb0ES3_mN6thrust23THRUST_200600_302600_NS6detail15normal_iteratorINSA_10device_ptrIiEEEEPS6_SG_NS0_5tupleIJSF_S6_EEENSH_IJSG_SG_EEES6_PlJNSB_9not_fun_tINSB_14equal_to_valueIiEEEEEEE10hipError_tPvRmT3_T4_T5_T6_T7_T9_mT8_P12ihipStream_tbDpT10_ENKUlT_T0_E_clISt17integral_constantIbLb1EES18_EEDaS13_S14_EUlS13_E_NS1_11comp_targetILNS1_3genE3ELNS1_11target_archE908ELNS1_3gpuE7ELNS1_3repE0EEENS1_30default_config_static_selectorELNS0_4arch9wavefront6targetE0EEEvT1_.has_recursion, 0
	.set _ZN7rocprim17ROCPRIM_400000_NS6detail17trampoline_kernelINS0_14default_configENS1_25partition_config_selectorILNS1_17partition_subalgoE6EiNS0_10empty_typeEbEEZZNS1_14partition_implILS5_6ELb0ES3_mN6thrust23THRUST_200600_302600_NS6detail15normal_iteratorINSA_10device_ptrIiEEEEPS6_SG_NS0_5tupleIJSF_S6_EEENSH_IJSG_SG_EEES6_PlJNSB_9not_fun_tINSB_14equal_to_valueIiEEEEEEE10hipError_tPvRmT3_T4_T5_T6_T7_T9_mT8_P12ihipStream_tbDpT10_ENKUlT_T0_E_clISt17integral_constantIbLb1EES18_EEDaS13_S14_EUlS13_E_NS1_11comp_targetILNS1_3genE3ELNS1_11target_archE908ELNS1_3gpuE7ELNS1_3repE0EEENS1_30default_config_static_selectorELNS0_4arch9wavefront6targetE0EEEvT1_.has_indirect_call, 0
	.section	.AMDGPU.csdata,"",@progbits
; Kernel info:
; codeLenInByte = 0
; TotalNumSgprs: 0
; NumVgprs: 0
; ScratchSize: 0
; MemoryBound: 0
; FloatMode: 240
; IeeeMode: 1
; LDSByteSize: 0 bytes/workgroup (compile time only)
; SGPRBlocks: 0
; VGPRBlocks: 0
; NumSGPRsForWavesPerEU: 1
; NumVGPRsForWavesPerEU: 1
; Occupancy: 16
; WaveLimiterHint : 0
; COMPUTE_PGM_RSRC2:SCRATCH_EN: 0
; COMPUTE_PGM_RSRC2:USER_SGPR: 2
; COMPUTE_PGM_RSRC2:TRAP_HANDLER: 0
; COMPUTE_PGM_RSRC2:TGID_X_EN: 1
; COMPUTE_PGM_RSRC2:TGID_Y_EN: 0
; COMPUTE_PGM_RSRC2:TGID_Z_EN: 0
; COMPUTE_PGM_RSRC2:TIDIG_COMP_CNT: 0
	.section	.text._ZN7rocprim17ROCPRIM_400000_NS6detail17trampoline_kernelINS0_14default_configENS1_25partition_config_selectorILNS1_17partition_subalgoE6EiNS0_10empty_typeEbEEZZNS1_14partition_implILS5_6ELb0ES3_mN6thrust23THRUST_200600_302600_NS6detail15normal_iteratorINSA_10device_ptrIiEEEEPS6_SG_NS0_5tupleIJSF_S6_EEENSH_IJSG_SG_EEES6_PlJNSB_9not_fun_tINSB_14equal_to_valueIiEEEEEEE10hipError_tPvRmT3_T4_T5_T6_T7_T9_mT8_P12ihipStream_tbDpT10_ENKUlT_T0_E_clISt17integral_constantIbLb1EES18_EEDaS13_S14_EUlS13_E_NS1_11comp_targetILNS1_3genE2ELNS1_11target_archE906ELNS1_3gpuE6ELNS1_3repE0EEENS1_30default_config_static_selectorELNS0_4arch9wavefront6targetE0EEEvT1_,"axG",@progbits,_ZN7rocprim17ROCPRIM_400000_NS6detail17trampoline_kernelINS0_14default_configENS1_25partition_config_selectorILNS1_17partition_subalgoE6EiNS0_10empty_typeEbEEZZNS1_14partition_implILS5_6ELb0ES3_mN6thrust23THRUST_200600_302600_NS6detail15normal_iteratorINSA_10device_ptrIiEEEEPS6_SG_NS0_5tupleIJSF_S6_EEENSH_IJSG_SG_EEES6_PlJNSB_9not_fun_tINSB_14equal_to_valueIiEEEEEEE10hipError_tPvRmT3_T4_T5_T6_T7_T9_mT8_P12ihipStream_tbDpT10_ENKUlT_T0_E_clISt17integral_constantIbLb1EES18_EEDaS13_S14_EUlS13_E_NS1_11comp_targetILNS1_3genE2ELNS1_11target_archE906ELNS1_3gpuE6ELNS1_3repE0EEENS1_30default_config_static_selectorELNS0_4arch9wavefront6targetE0EEEvT1_,comdat
	.protected	_ZN7rocprim17ROCPRIM_400000_NS6detail17trampoline_kernelINS0_14default_configENS1_25partition_config_selectorILNS1_17partition_subalgoE6EiNS0_10empty_typeEbEEZZNS1_14partition_implILS5_6ELb0ES3_mN6thrust23THRUST_200600_302600_NS6detail15normal_iteratorINSA_10device_ptrIiEEEEPS6_SG_NS0_5tupleIJSF_S6_EEENSH_IJSG_SG_EEES6_PlJNSB_9not_fun_tINSB_14equal_to_valueIiEEEEEEE10hipError_tPvRmT3_T4_T5_T6_T7_T9_mT8_P12ihipStream_tbDpT10_ENKUlT_T0_E_clISt17integral_constantIbLb1EES18_EEDaS13_S14_EUlS13_E_NS1_11comp_targetILNS1_3genE2ELNS1_11target_archE906ELNS1_3gpuE6ELNS1_3repE0EEENS1_30default_config_static_selectorELNS0_4arch9wavefront6targetE0EEEvT1_ ; -- Begin function _ZN7rocprim17ROCPRIM_400000_NS6detail17trampoline_kernelINS0_14default_configENS1_25partition_config_selectorILNS1_17partition_subalgoE6EiNS0_10empty_typeEbEEZZNS1_14partition_implILS5_6ELb0ES3_mN6thrust23THRUST_200600_302600_NS6detail15normal_iteratorINSA_10device_ptrIiEEEEPS6_SG_NS0_5tupleIJSF_S6_EEENSH_IJSG_SG_EEES6_PlJNSB_9not_fun_tINSB_14equal_to_valueIiEEEEEEE10hipError_tPvRmT3_T4_T5_T6_T7_T9_mT8_P12ihipStream_tbDpT10_ENKUlT_T0_E_clISt17integral_constantIbLb1EES18_EEDaS13_S14_EUlS13_E_NS1_11comp_targetILNS1_3genE2ELNS1_11target_archE906ELNS1_3gpuE6ELNS1_3repE0EEENS1_30default_config_static_selectorELNS0_4arch9wavefront6targetE0EEEvT1_
	.globl	_ZN7rocprim17ROCPRIM_400000_NS6detail17trampoline_kernelINS0_14default_configENS1_25partition_config_selectorILNS1_17partition_subalgoE6EiNS0_10empty_typeEbEEZZNS1_14partition_implILS5_6ELb0ES3_mN6thrust23THRUST_200600_302600_NS6detail15normal_iteratorINSA_10device_ptrIiEEEEPS6_SG_NS0_5tupleIJSF_S6_EEENSH_IJSG_SG_EEES6_PlJNSB_9not_fun_tINSB_14equal_to_valueIiEEEEEEE10hipError_tPvRmT3_T4_T5_T6_T7_T9_mT8_P12ihipStream_tbDpT10_ENKUlT_T0_E_clISt17integral_constantIbLb1EES18_EEDaS13_S14_EUlS13_E_NS1_11comp_targetILNS1_3genE2ELNS1_11target_archE906ELNS1_3gpuE6ELNS1_3repE0EEENS1_30default_config_static_selectorELNS0_4arch9wavefront6targetE0EEEvT1_
	.p2align	8
	.type	_ZN7rocprim17ROCPRIM_400000_NS6detail17trampoline_kernelINS0_14default_configENS1_25partition_config_selectorILNS1_17partition_subalgoE6EiNS0_10empty_typeEbEEZZNS1_14partition_implILS5_6ELb0ES3_mN6thrust23THRUST_200600_302600_NS6detail15normal_iteratorINSA_10device_ptrIiEEEEPS6_SG_NS0_5tupleIJSF_S6_EEENSH_IJSG_SG_EEES6_PlJNSB_9not_fun_tINSB_14equal_to_valueIiEEEEEEE10hipError_tPvRmT3_T4_T5_T6_T7_T9_mT8_P12ihipStream_tbDpT10_ENKUlT_T0_E_clISt17integral_constantIbLb1EES18_EEDaS13_S14_EUlS13_E_NS1_11comp_targetILNS1_3genE2ELNS1_11target_archE906ELNS1_3gpuE6ELNS1_3repE0EEENS1_30default_config_static_selectorELNS0_4arch9wavefront6targetE0EEEvT1_,@function
_ZN7rocprim17ROCPRIM_400000_NS6detail17trampoline_kernelINS0_14default_configENS1_25partition_config_selectorILNS1_17partition_subalgoE6EiNS0_10empty_typeEbEEZZNS1_14partition_implILS5_6ELb0ES3_mN6thrust23THRUST_200600_302600_NS6detail15normal_iteratorINSA_10device_ptrIiEEEEPS6_SG_NS0_5tupleIJSF_S6_EEENSH_IJSG_SG_EEES6_PlJNSB_9not_fun_tINSB_14equal_to_valueIiEEEEEEE10hipError_tPvRmT3_T4_T5_T6_T7_T9_mT8_P12ihipStream_tbDpT10_ENKUlT_T0_E_clISt17integral_constantIbLb1EES18_EEDaS13_S14_EUlS13_E_NS1_11comp_targetILNS1_3genE2ELNS1_11target_archE906ELNS1_3gpuE6ELNS1_3repE0EEENS1_30default_config_static_selectorELNS0_4arch9wavefront6targetE0EEEvT1_: ; @_ZN7rocprim17ROCPRIM_400000_NS6detail17trampoline_kernelINS0_14default_configENS1_25partition_config_selectorILNS1_17partition_subalgoE6EiNS0_10empty_typeEbEEZZNS1_14partition_implILS5_6ELb0ES3_mN6thrust23THRUST_200600_302600_NS6detail15normal_iteratorINSA_10device_ptrIiEEEEPS6_SG_NS0_5tupleIJSF_S6_EEENSH_IJSG_SG_EEES6_PlJNSB_9not_fun_tINSB_14equal_to_valueIiEEEEEEE10hipError_tPvRmT3_T4_T5_T6_T7_T9_mT8_P12ihipStream_tbDpT10_ENKUlT_T0_E_clISt17integral_constantIbLb1EES18_EEDaS13_S14_EUlS13_E_NS1_11comp_targetILNS1_3genE2ELNS1_11target_archE906ELNS1_3gpuE6ELNS1_3repE0EEENS1_30default_config_static_selectorELNS0_4arch9wavefront6targetE0EEEvT1_
; %bb.0:
	.section	.rodata,"a",@progbits
	.p2align	6, 0x0
	.amdhsa_kernel _ZN7rocprim17ROCPRIM_400000_NS6detail17trampoline_kernelINS0_14default_configENS1_25partition_config_selectorILNS1_17partition_subalgoE6EiNS0_10empty_typeEbEEZZNS1_14partition_implILS5_6ELb0ES3_mN6thrust23THRUST_200600_302600_NS6detail15normal_iteratorINSA_10device_ptrIiEEEEPS6_SG_NS0_5tupleIJSF_S6_EEENSH_IJSG_SG_EEES6_PlJNSB_9not_fun_tINSB_14equal_to_valueIiEEEEEEE10hipError_tPvRmT3_T4_T5_T6_T7_T9_mT8_P12ihipStream_tbDpT10_ENKUlT_T0_E_clISt17integral_constantIbLb1EES18_EEDaS13_S14_EUlS13_E_NS1_11comp_targetILNS1_3genE2ELNS1_11target_archE906ELNS1_3gpuE6ELNS1_3repE0EEENS1_30default_config_static_selectorELNS0_4arch9wavefront6targetE0EEEvT1_
		.amdhsa_group_segment_fixed_size 0
		.amdhsa_private_segment_fixed_size 0
		.amdhsa_kernarg_size 128
		.amdhsa_user_sgpr_count 2
		.amdhsa_user_sgpr_dispatch_ptr 0
		.amdhsa_user_sgpr_queue_ptr 0
		.amdhsa_user_sgpr_kernarg_segment_ptr 1
		.amdhsa_user_sgpr_dispatch_id 0
		.amdhsa_user_sgpr_private_segment_size 0
		.amdhsa_wavefront_size32 1
		.amdhsa_uses_dynamic_stack 0
		.amdhsa_enable_private_segment 0
		.amdhsa_system_sgpr_workgroup_id_x 1
		.amdhsa_system_sgpr_workgroup_id_y 0
		.amdhsa_system_sgpr_workgroup_id_z 0
		.amdhsa_system_sgpr_workgroup_info 0
		.amdhsa_system_vgpr_workitem_id 0
		.amdhsa_next_free_vgpr 1
		.amdhsa_next_free_sgpr 1
		.amdhsa_reserve_vcc 0
		.amdhsa_float_round_mode_32 0
		.amdhsa_float_round_mode_16_64 0
		.amdhsa_float_denorm_mode_32 3
		.amdhsa_float_denorm_mode_16_64 3
		.amdhsa_fp16_overflow 0
		.amdhsa_workgroup_processor_mode 1
		.amdhsa_memory_ordered 1
		.amdhsa_forward_progress 1
		.amdhsa_inst_pref_size 0
		.amdhsa_round_robin_scheduling 0
		.amdhsa_exception_fp_ieee_invalid_op 0
		.amdhsa_exception_fp_denorm_src 0
		.amdhsa_exception_fp_ieee_div_zero 0
		.amdhsa_exception_fp_ieee_overflow 0
		.amdhsa_exception_fp_ieee_underflow 0
		.amdhsa_exception_fp_ieee_inexact 0
		.amdhsa_exception_int_div_zero 0
	.end_amdhsa_kernel
	.section	.text._ZN7rocprim17ROCPRIM_400000_NS6detail17trampoline_kernelINS0_14default_configENS1_25partition_config_selectorILNS1_17partition_subalgoE6EiNS0_10empty_typeEbEEZZNS1_14partition_implILS5_6ELb0ES3_mN6thrust23THRUST_200600_302600_NS6detail15normal_iteratorINSA_10device_ptrIiEEEEPS6_SG_NS0_5tupleIJSF_S6_EEENSH_IJSG_SG_EEES6_PlJNSB_9not_fun_tINSB_14equal_to_valueIiEEEEEEE10hipError_tPvRmT3_T4_T5_T6_T7_T9_mT8_P12ihipStream_tbDpT10_ENKUlT_T0_E_clISt17integral_constantIbLb1EES18_EEDaS13_S14_EUlS13_E_NS1_11comp_targetILNS1_3genE2ELNS1_11target_archE906ELNS1_3gpuE6ELNS1_3repE0EEENS1_30default_config_static_selectorELNS0_4arch9wavefront6targetE0EEEvT1_,"axG",@progbits,_ZN7rocprim17ROCPRIM_400000_NS6detail17trampoline_kernelINS0_14default_configENS1_25partition_config_selectorILNS1_17partition_subalgoE6EiNS0_10empty_typeEbEEZZNS1_14partition_implILS5_6ELb0ES3_mN6thrust23THRUST_200600_302600_NS6detail15normal_iteratorINSA_10device_ptrIiEEEEPS6_SG_NS0_5tupleIJSF_S6_EEENSH_IJSG_SG_EEES6_PlJNSB_9not_fun_tINSB_14equal_to_valueIiEEEEEEE10hipError_tPvRmT3_T4_T5_T6_T7_T9_mT8_P12ihipStream_tbDpT10_ENKUlT_T0_E_clISt17integral_constantIbLb1EES18_EEDaS13_S14_EUlS13_E_NS1_11comp_targetILNS1_3genE2ELNS1_11target_archE906ELNS1_3gpuE6ELNS1_3repE0EEENS1_30default_config_static_selectorELNS0_4arch9wavefront6targetE0EEEvT1_,comdat
.Lfunc_end481:
	.size	_ZN7rocprim17ROCPRIM_400000_NS6detail17trampoline_kernelINS0_14default_configENS1_25partition_config_selectorILNS1_17partition_subalgoE6EiNS0_10empty_typeEbEEZZNS1_14partition_implILS5_6ELb0ES3_mN6thrust23THRUST_200600_302600_NS6detail15normal_iteratorINSA_10device_ptrIiEEEEPS6_SG_NS0_5tupleIJSF_S6_EEENSH_IJSG_SG_EEES6_PlJNSB_9not_fun_tINSB_14equal_to_valueIiEEEEEEE10hipError_tPvRmT3_T4_T5_T6_T7_T9_mT8_P12ihipStream_tbDpT10_ENKUlT_T0_E_clISt17integral_constantIbLb1EES18_EEDaS13_S14_EUlS13_E_NS1_11comp_targetILNS1_3genE2ELNS1_11target_archE906ELNS1_3gpuE6ELNS1_3repE0EEENS1_30default_config_static_selectorELNS0_4arch9wavefront6targetE0EEEvT1_, .Lfunc_end481-_ZN7rocprim17ROCPRIM_400000_NS6detail17trampoline_kernelINS0_14default_configENS1_25partition_config_selectorILNS1_17partition_subalgoE6EiNS0_10empty_typeEbEEZZNS1_14partition_implILS5_6ELb0ES3_mN6thrust23THRUST_200600_302600_NS6detail15normal_iteratorINSA_10device_ptrIiEEEEPS6_SG_NS0_5tupleIJSF_S6_EEENSH_IJSG_SG_EEES6_PlJNSB_9not_fun_tINSB_14equal_to_valueIiEEEEEEE10hipError_tPvRmT3_T4_T5_T6_T7_T9_mT8_P12ihipStream_tbDpT10_ENKUlT_T0_E_clISt17integral_constantIbLb1EES18_EEDaS13_S14_EUlS13_E_NS1_11comp_targetILNS1_3genE2ELNS1_11target_archE906ELNS1_3gpuE6ELNS1_3repE0EEENS1_30default_config_static_selectorELNS0_4arch9wavefront6targetE0EEEvT1_
                                        ; -- End function
	.set _ZN7rocprim17ROCPRIM_400000_NS6detail17trampoline_kernelINS0_14default_configENS1_25partition_config_selectorILNS1_17partition_subalgoE6EiNS0_10empty_typeEbEEZZNS1_14partition_implILS5_6ELb0ES3_mN6thrust23THRUST_200600_302600_NS6detail15normal_iteratorINSA_10device_ptrIiEEEEPS6_SG_NS0_5tupleIJSF_S6_EEENSH_IJSG_SG_EEES6_PlJNSB_9not_fun_tINSB_14equal_to_valueIiEEEEEEE10hipError_tPvRmT3_T4_T5_T6_T7_T9_mT8_P12ihipStream_tbDpT10_ENKUlT_T0_E_clISt17integral_constantIbLb1EES18_EEDaS13_S14_EUlS13_E_NS1_11comp_targetILNS1_3genE2ELNS1_11target_archE906ELNS1_3gpuE6ELNS1_3repE0EEENS1_30default_config_static_selectorELNS0_4arch9wavefront6targetE0EEEvT1_.num_vgpr, 0
	.set _ZN7rocprim17ROCPRIM_400000_NS6detail17trampoline_kernelINS0_14default_configENS1_25partition_config_selectorILNS1_17partition_subalgoE6EiNS0_10empty_typeEbEEZZNS1_14partition_implILS5_6ELb0ES3_mN6thrust23THRUST_200600_302600_NS6detail15normal_iteratorINSA_10device_ptrIiEEEEPS6_SG_NS0_5tupleIJSF_S6_EEENSH_IJSG_SG_EEES6_PlJNSB_9not_fun_tINSB_14equal_to_valueIiEEEEEEE10hipError_tPvRmT3_T4_T5_T6_T7_T9_mT8_P12ihipStream_tbDpT10_ENKUlT_T0_E_clISt17integral_constantIbLb1EES18_EEDaS13_S14_EUlS13_E_NS1_11comp_targetILNS1_3genE2ELNS1_11target_archE906ELNS1_3gpuE6ELNS1_3repE0EEENS1_30default_config_static_selectorELNS0_4arch9wavefront6targetE0EEEvT1_.num_agpr, 0
	.set _ZN7rocprim17ROCPRIM_400000_NS6detail17trampoline_kernelINS0_14default_configENS1_25partition_config_selectorILNS1_17partition_subalgoE6EiNS0_10empty_typeEbEEZZNS1_14partition_implILS5_6ELb0ES3_mN6thrust23THRUST_200600_302600_NS6detail15normal_iteratorINSA_10device_ptrIiEEEEPS6_SG_NS0_5tupleIJSF_S6_EEENSH_IJSG_SG_EEES6_PlJNSB_9not_fun_tINSB_14equal_to_valueIiEEEEEEE10hipError_tPvRmT3_T4_T5_T6_T7_T9_mT8_P12ihipStream_tbDpT10_ENKUlT_T0_E_clISt17integral_constantIbLb1EES18_EEDaS13_S14_EUlS13_E_NS1_11comp_targetILNS1_3genE2ELNS1_11target_archE906ELNS1_3gpuE6ELNS1_3repE0EEENS1_30default_config_static_selectorELNS0_4arch9wavefront6targetE0EEEvT1_.numbered_sgpr, 0
	.set _ZN7rocprim17ROCPRIM_400000_NS6detail17trampoline_kernelINS0_14default_configENS1_25partition_config_selectorILNS1_17partition_subalgoE6EiNS0_10empty_typeEbEEZZNS1_14partition_implILS5_6ELb0ES3_mN6thrust23THRUST_200600_302600_NS6detail15normal_iteratorINSA_10device_ptrIiEEEEPS6_SG_NS0_5tupleIJSF_S6_EEENSH_IJSG_SG_EEES6_PlJNSB_9not_fun_tINSB_14equal_to_valueIiEEEEEEE10hipError_tPvRmT3_T4_T5_T6_T7_T9_mT8_P12ihipStream_tbDpT10_ENKUlT_T0_E_clISt17integral_constantIbLb1EES18_EEDaS13_S14_EUlS13_E_NS1_11comp_targetILNS1_3genE2ELNS1_11target_archE906ELNS1_3gpuE6ELNS1_3repE0EEENS1_30default_config_static_selectorELNS0_4arch9wavefront6targetE0EEEvT1_.num_named_barrier, 0
	.set _ZN7rocprim17ROCPRIM_400000_NS6detail17trampoline_kernelINS0_14default_configENS1_25partition_config_selectorILNS1_17partition_subalgoE6EiNS0_10empty_typeEbEEZZNS1_14partition_implILS5_6ELb0ES3_mN6thrust23THRUST_200600_302600_NS6detail15normal_iteratorINSA_10device_ptrIiEEEEPS6_SG_NS0_5tupleIJSF_S6_EEENSH_IJSG_SG_EEES6_PlJNSB_9not_fun_tINSB_14equal_to_valueIiEEEEEEE10hipError_tPvRmT3_T4_T5_T6_T7_T9_mT8_P12ihipStream_tbDpT10_ENKUlT_T0_E_clISt17integral_constantIbLb1EES18_EEDaS13_S14_EUlS13_E_NS1_11comp_targetILNS1_3genE2ELNS1_11target_archE906ELNS1_3gpuE6ELNS1_3repE0EEENS1_30default_config_static_selectorELNS0_4arch9wavefront6targetE0EEEvT1_.private_seg_size, 0
	.set _ZN7rocprim17ROCPRIM_400000_NS6detail17trampoline_kernelINS0_14default_configENS1_25partition_config_selectorILNS1_17partition_subalgoE6EiNS0_10empty_typeEbEEZZNS1_14partition_implILS5_6ELb0ES3_mN6thrust23THRUST_200600_302600_NS6detail15normal_iteratorINSA_10device_ptrIiEEEEPS6_SG_NS0_5tupleIJSF_S6_EEENSH_IJSG_SG_EEES6_PlJNSB_9not_fun_tINSB_14equal_to_valueIiEEEEEEE10hipError_tPvRmT3_T4_T5_T6_T7_T9_mT8_P12ihipStream_tbDpT10_ENKUlT_T0_E_clISt17integral_constantIbLb1EES18_EEDaS13_S14_EUlS13_E_NS1_11comp_targetILNS1_3genE2ELNS1_11target_archE906ELNS1_3gpuE6ELNS1_3repE0EEENS1_30default_config_static_selectorELNS0_4arch9wavefront6targetE0EEEvT1_.uses_vcc, 0
	.set _ZN7rocprim17ROCPRIM_400000_NS6detail17trampoline_kernelINS0_14default_configENS1_25partition_config_selectorILNS1_17partition_subalgoE6EiNS0_10empty_typeEbEEZZNS1_14partition_implILS5_6ELb0ES3_mN6thrust23THRUST_200600_302600_NS6detail15normal_iteratorINSA_10device_ptrIiEEEEPS6_SG_NS0_5tupleIJSF_S6_EEENSH_IJSG_SG_EEES6_PlJNSB_9not_fun_tINSB_14equal_to_valueIiEEEEEEE10hipError_tPvRmT3_T4_T5_T6_T7_T9_mT8_P12ihipStream_tbDpT10_ENKUlT_T0_E_clISt17integral_constantIbLb1EES18_EEDaS13_S14_EUlS13_E_NS1_11comp_targetILNS1_3genE2ELNS1_11target_archE906ELNS1_3gpuE6ELNS1_3repE0EEENS1_30default_config_static_selectorELNS0_4arch9wavefront6targetE0EEEvT1_.uses_flat_scratch, 0
	.set _ZN7rocprim17ROCPRIM_400000_NS6detail17trampoline_kernelINS0_14default_configENS1_25partition_config_selectorILNS1_17partition_subalgoE6EiNS0_10empty_typeEbEEZZNS1_14partition_implILS5_6ELb0ES3_mN6thrust23THRUST_200600_302600_NS6detail15normal_iteratorINSA_10device_ptrIiEEEEPS6_SG_NS0_5tupleIJSF_S6_EEENSH_IJSG_SG_EEES6_PlJNSB_9not_fun_tINSB_14equal_to_valueIiEEEEEEE10hipError_tPvRmT3_T4_T5_T6_T7_T9_mT8_P12ihipStream_tbDpT10_ENKUlT_T0_E_clISt17integral_constantIbLb1EES18_EEDaS13_S14_EUlS13_E_NS1_11comp_targetILNS1_3genE2ELNS1_11target_archE906ELNS1_3gpuE6ELNS1_3repE0EEENS1_30default_config_static_selectorELNS0_4arch9wavefront6targetE0EEEvT1_.has_dyn_sized_stack, 0
	.set _ZN7rocprim17ROCPRIM_400000_NS6detail17trampoline_kernelINS0_14default_configENS1_25partition_config_selectorILNS1_17partition_subalgoE6EiNS0_10empty_typeEbEEZZNS1_14partition_implILS5_6ELb0ES3_mN6thrust23THRUST_200600_302600_NS6detail15normal_iteratorINSA_10device_ptrIiEEEEPS6_SG_NS0_5tupleIJSF_S6_EEENSH_IJSG_SG_EEES6_PlJNSB_9not_fun_tINSB_14equal_to_valueIiEEEEEEE10hipError_tPvRmT3_T4_T5_T6_T7_T9_mT8_P12ihipStream_tbDpT10_ENKUlT_T0_E_clISt17integral_constantIbLb1EES18_EEDaS13_S14_EUlS13_E_NS1_11comp_targetILNS1_3genE2ELNS1_11target_archE906ELNS1_3gpuE6ELNS1_3repE0EEENS1_30default_config_static_selectorELNS0_4arch9wavefront6targetE0EEEvT1_.has_recursion, 0
	.set _ZN7rocprim17ROCPRIM_400000_NS6detail17trampoline_kernelINS0_14default_configENS1_25partition_config_selectorILNS1_17partition_subalgoE6EiNS0_10empty_typeEbEEZZNS1_14partition_implILS5_6ELb0ES3_mN6thrust23THRUST_200600_302600_NS6detail15normal_iteratorINSA_10device_ptrIiEEEEPS6_SG_NS0_5tupleIJSF_S6_EEENSH_IJSG_SG_EEES6_PlJNSB_9not_fun_tINSB_14equal_to_valueIiEEEEEEE10hipError_tPvRmT3_T4_T5_T6_T7_T9_mT8_P12ihipStream_tbDpT10_ENKUlT_T0_E_clISt17integral_constantIbLb1EES18_EEDaS13_S14_EUlS13_E_NS1_11comp_targetILNS1_3genE2ELNS1_11target_archE906ELNS1_3gpuE6ELNS1_3repE0EEENS1_30default_config_static_selectorELNS0_4arch9wavefront6targetE0EEEvT1_.has_indirect_call, 0
	.section	.AMDGPU.csdata,"",@progbits
; Kernel info:
; codeLenInByte = 0
; TotalNumSgprs: 0
; NumVgprs: 0
; ScratchSize: 0
; MemoryBound: 0
; FloatMode: 240
; IeeeMode: 1
; LDSByteSize: 0 bytes/workgroup (compile time only)
; SGPRBlocks: 0
; VGPRBlocks: 0
; NumSGPRsForWavesPerEU: 1
; NumVGPRsForWavesPerEU: 1
; Occupancy: 16
; WaveLimiterHint : 0
; COMPUTE_PGM_RSRC2:SCRATCH_EN: 0
; COMPUTE_PGM_RSRC2:USER_SGPR: 2
; COMPUTE_PGM_RSRC2:TRAP_HANDLER: 0
; COMPUTE_PGM_RSRC2:TGID_X_EN: 1
; COMPUTE_PGM_RSRC2:TGID_Y_EN: 0
; COMPUTE_PGM_RSRC2:TGID_Z_EN: 0
; COMPUTE_PGM_RSRC2:TIDIG_COMP_CNT: 0
	.section	.text._ZN7rocprim17ROCPRIM_400000_NS6detail17trampoline_kernelINS0_14default_configENS1_25partition_config_selectorILNS1_17partition_subalgoE6EiNS0_10empty_typeEbEEZZNS1_14partition_implILS5_6ELb0ES3_mN6thrust23THRUST_200600_302600_NS6detail15normal_iteratorINSA_10device_ptrIiEEEEPS6_SG_NS0_5tupleIJSF_S6_EEENSH_IJSG_SG_EEES6_PlJNSB_9not_fun_tINSB_14equal_to_valueIiEEEEEEE10hipError_tPvRmT3_T4_T5_T6_T7_T9_mT8_P12ihipStream_tbDpT10_ENKUlT_T0_E_clISt17integral_constantIbLb1EES18_EEDaS13_S14_EUlS13_E_NS1_11comp_targetILNS1_3genE10ELNS1_11target_archE1200ELNS1_3gpuE4ELNS1_3repE0EEENS1_30default_config_static_selectorELNS0_4arch9wavefront6targetE0EEEvT1_,"axG",@progbits,_ZN7rocprim17ROCPRIM_400000_NS6detail17trampoline_kernelINS0_14default_configENS1_25partition_config_selectorILNS1_17partition_subalgoE6EiNS0_10empty_typeEbEEZZNS1_14partition_implILS5_6ELb0ES3_mN6thrust23THRUST_200600_302600_NS6detail15normal_iteratorINSA_10device_ptrIiEEEEPS6_SG_NS0_5tupleIJSF_S6_EEENSH_IJSG_SG_EEES6_PlJNSB_9not_fun_tINSB_14equal_to_valueIiEEEEEEE10hipError_tPvRmT3_T4_T5_T6_T7_T9_mT8_P12ihipStream_tbDpT10_ENKUlT_T0_E_clISt17integral_constantIbLb1EES18_EEDaS13_S14_EUlS13_E_NS1_11comp_targetILNS1_3genE10ELNS1_11target_archE1200ELNS1_3gpuE4ELNS1_3repE0EEENS1_30default_config_static_selectorELNS0_4arch9wavefront6targetE0EEEvT1_,comdat
	.protected	_ZN7rocprim17ROCPRIM_400000_NS6detail17trampoline_kernelINS0_14default_configENS1_25partition_config_selectorILNS1_17partition_subalgoE6EiNS0_10empty_typeEbEEZZNS1_14partition_implILS5_6ELb0ES3_mN6thrust23THRUST_200600_302600_NS6detail15normal_iteratorINSA_10device_ptrIiEEEEPS6_SG_NS0_5tupleIJSF_S6_EEENSH_IJSG_SG_EEES6_PlJNSB_9not_fun_tINSB_14equal_to_valueIiEEEEEEE10hipError_tPvRmT3_T4_T5_T6_T7_T9_mT8_P12ihipStream_tbDpT10_ENKUlT_T0_E_clISt17integral_constantIbLb1EES18_EEDaS13_S14_EUlS13_E_NS1_11comp_targetILNS1_3genE10ELNS1_11target_archE1200ELNS1_3gpuE4ELNS1_3repE0EEENS1_30default_config_static_selectorELNS0_4arch9wavefront6targetE0EEEvT1_ ; -- Begin function _ZN7rocprim17ROCPRIM_400000_NS6detail17trampoline_kernelINS0_14default_configENS1_25partition_config_selectorILNS1_17partition_subalgoE6EiNS0_10empty_typeEbEEZZNS1_14partition_implILS5_6ELb0ES3_mN6thrust23THRUST_200600_302600_NS6detail15normal_iteratorINSA_10device_ptrIiEEEEPS6_SG_NS0_5tupleIJSF_S6_EEENSH_IJSG_SG_EEES6_PlJNSB_9not_fun_tINSB_14equal_to_valueIiEEEEEEE10hipError_tPvRmT3_T4_T5_T6_T7_T9_mT8_P12ihipStream_tbDpT10_ENKUlT_T0_E_clISt17integral_constantIbLb1EES18_EEDaS13_S14_EUlS13_E_NS1_11comp_targetILNS1_3genE10ELNS1_11target_archE1200ELNS1_3gpuE4ELNS1_3repE0EEENS1_30default_config_static_selectorELNS0_4arch9wavefront6targetE0EEEvT1_
	.globl	_ZN7rocprim17ROCPRIM_400000_NS6detail17trampoline_kernelINS0_14default_configENS1_25partition_config_selectorILNS1_17partition_subalgoE6EiNS0_10empty_typeEbEEZZNS1_14partition_implILS5_6ELb0ES3_mN6thrust23THRUST_200600_302600_NS6detail15normal_iteratorINSA_10device_ptrIiEEEEPS6_SG_NS0_5tupleIJSF_S6_EEENSH_IJSG_SG_EEES6_PlJNSB_9not_fun_tINSB_14equal_to_valueIiEEEEEEE10hipError_tPvRmT3_T4_T5_T6_T7_T9_mT8_P12ihipStream_tbDpT10_ENKUlT_T0_E_clISt17integral_constantIbLb1EES18_EEDaS13_S14_EUlS13_E_NS1_11comp_targetILNS1_3genE10ELNS1_11target_archE1200ELNS1_3gpuE4ELNS1_3repE0EEENS1_30default_config_static_selectorELNS0_4arch9wavefront6targetE0EEEvT1_
	.p2align	8
	.type	_ZN7rocprim17ROCPRIM_400000_NS6detail17trampoline_kernelINS0_14default_configENS1_25partition_config_selectorILNS1_17partition_subalgoE6EiNS0_10empty_typeEbEEZZNS1_14partition_implILS5_6ELb0ES3_mN6thrust23THRUST_200600_302600_NS6detail15normal_iteratorINSA_10device_ptrIiEEEEPS6_SG_NS0_5tupleIJSF_S6_EEENSH_IJSG_SG_EEES6_PlJNSB_9not_fun_tINSB_14equal_to_valueIiEEEEEEE10hipError_tPvRmT3_T4_T5_T6_T7_T9_mT8_P12ihipStream_tbDpT10_ENKUlT_T0_E_clISt17integral_constantIbLb1EES18_EEDaS13_S14_EUlS13_E_NS1_11comp_targetILNS1_3genE10ELNS1_11target_archE1200ELNS1_3gpuE4ELNS1_3repE0EEENS1_30default_config_static_selectorELNS0_4arch9wavefront6targetE0EEEvT1_,@function
_ZN7rocprim17ROCPRIM_400000_NS6detail17trampoline_kernelINS0_14default_configENS1_25partition_config_selectorILNS1_17partition_subalgoE6EiNS0_10empty_typeEbEEZZNS1_14partition_implILS5_6ELb0ES3_mN6thrust23THRUST_200600_302600_NS6detail15normal_iteratorINSA_10device_ptrIiEEEEPS6_SG_NS0_5tupleIJSF_S6_EEENSH_IJSG_SG_EEES6_PlJNSB_9not_fun_tINSB_14equal_to_valueIiEEEEEEE10hipError_tPvRmT3_T4_T5_T6_T7_T9_mT8_P12ihipStream_tbDpT10_ENKUlT_T0_E_clISt17integral_constantIbLb1EES18_EEDaS13_S14_EUlS13_E_NS1_11comp_targetILNS1_3genE10ELNS1_11target_archE1200ELNS1_3gpuE4ELNS1_3repE0EEENS1_30default_config_static_selectorELNS0_4arch9wavefront6targetE0EEEvT1_: ; @_ZN7rocprim17ROCPRIM_400000_NS6detail17trampoline_kernelINS0_14default_configENS1_25partition_config_selectorILNS1_17partition_subalgoE6EiNS0_10empty_typeEbEEZZNS1_14partition_implILS5_6ELb0ES3_mN6thrust23THRUST_200600_302600_NS6detail15normal_iteratorINSA_10device_ptrIiEEEEPS6_SG_NS0_5tupleIJSF_S6_EEENSH_IJSG_SG_EEES6_PlJNSB_9not_fun_tINSB_14equal_to_valueIiEEEEEEE10hipError_tPvRmT3_T4_T5_T6_T7_T9_mT8_P12ihipStream_tbDpT10_ENKUlT_T0_E_clISt17integral_constantIbLb1EES18_EEDaS13_S14_EUlS13_E_NS1_11comp_targetILNS1_3genE10ELNS1_11target_archE1200ELNS1_3gpuE4ELNS1_3repE0EEENS1_30default_config_static_selectorELNS0_4arch9wavefront6targetE0EEEvT1_
; %bb.0:
	s_endpgm
	.section	.rodata,"a",@progbits
	.p2align	6, 0x0
	.amdhsa_kernel _ZN7rocprim17ROCPRIM_400000_NS6detail17trampoline_kernelINS0_14default_configENS1_25partition_config_selectorILNS1_17partition_subalgoE6EiNS0_10empty_typeEbEEZZNS1_14partition_implILS5_6ELb0ES3_mN6thrust23THRUST_200600_302600_NS6detail15normal_iteratorINSA_10device_ptrIiEEEEPS6_SG_NS0_5tupleIJSF_S6_EEENSH_IJSG_SG_EEES6_PlJNSB_9not_fun_tINSB_14equal_to_valueIiEEEEEEE10hipError_tPvRmT3_T4_T5_T6_T7_T9_mT8_P12ihipStream_tbDpT10_ENKUlT_T0_E_clISt17integral_constantIbLb1EES18_EEDaS13_S14_EUlS13_E_NS1_11comp_targetILNS1_3genE10ELNS1_11target_archE1200ELNS1_3gpuE4ELNS1_3repE0EEENS1_30default_config_static_selectorELNS0_4arch9wavefront6targetE0EEEvT1_
		.amdhsa_group_segment_fixed_size 0
		.amdhsa_private_segment_fixed_size 0
		.amdhsa_kernarg_size 128
		.amdhsa_user_sgpr_count 2
		.amdhsa_user_sgpr_dispatch_ptr 0
		.amdhsa_user_sgpr_queue_ptr 0
		.amdhsa_user_sgpr_kernarg_segment_ptr 1
		.amdhsa_user_sgpr_dispatch_id 0
		.amdhsa_user_sgpr_private_segment_size 0
		.amdhsa_wavefront_size32 1
		.amdhsa_uses_dynamic_stack 0
		.amdhsa_enable_private_segment 0
		.amdhsa_system_sgpr_workgroup_id_x 1
		.amdhsa_system_sgpr_workgroup_id_y 0
		.amdhsa_system_sgpr_workgroup_id_z 0
		.amdhsa_system_sgpr_workgroup_info 0
		.amdhsa_system_vgpr_workitem_id 0
		.amdhsa_next_free_vgpr 1
		.amdhsa_next_free_sgpr 1
		.amdhsa_reserve_vcc 0
		.amdhsa_float_round_mode_32 0
		.amdhsa_float_round_mode_16_64 0
		.amdhsa_float_denorm_mode_32 3
		.amdhsa_float_denorm_mode_16_64 3
		.amdhsa_fp16_overflow 0
		.amdhsa_workgroup_processor_mode 1
		.amdhsa_memory_ordered 1
		.amdhsa_forward_progress 1
		.amdhsa_inst_pref_size 1
		.amdhsa_round_robin_scheduling 0
		.amdhsa_exception_fp_ieee_invalid_op 0
		.amdhsa_exception_fp_denorm_src 0
		.amdhsa_exception_fp_ieee_div_zero 0
		.amdhsa_exception_fp_ieee_overflow 0
		.amdhsa_exception_fp_ieee_underflow 0
		.amdhsa_exception_fp_ieee_inexact 0
		.amdhsa_exception_int_div_zero 0
	.end_amdhsa_kernel
	.section	.text._ZN7rocprim17ROCPRIM_400000_NS6detail17trampoline_kernelINS0_14default_configENS1_25partition_config_selectorILNS1_17partition_subalgoE6EiNS0_10empty_typeEbEEZZNS1_14partition_implILS5_6ELb0ES3_mN6thrust23THRUST_200600_302600_NS6detail15normal_iteratorINSA_10device_ptrIiEEEEPS6_SG_NS0_5tupleIJSF_S6_EEENSH_IJSG_SG_EEES6_PlJNSB_9not_fun_tINSB_14equal_to_valueIiEEEEEEE10hipError_tPvRmT3_T4_T5_T6_T7_T9_mT8_P12ihipStream_tbDpT10_ENKUlT_T0_E_clISt17integral_constantIbLb1EES18_EEDaS13_S14_EUlS13_E_NS1_11comp_targetILNS1_3genE10ELNS1_11target_archE1200ELNS1_3gpuE4ELNS1_3repE0EEENS1_30default_config_static_selectorELNS0_4arch9wavefront6targetE0EEEvT1_,"axG",@progbits,_ZN7rocprim17ROCPRIM_400000_NS6detail17trampoline_kernelINS0_14default_configENS1_25partition_config_selectorILNS1_17partition_subalgoE6EiNS0_10empty_typeEbEEZZNS1_14partition_implILS5_6ELb0ES3_mN6thrust23THRUST_200600_302600_NS6detail15normal_iteratorINSA_10device_ptrIiEEEEPS6_SG_NS0_5tupleIJSF_S6_EEENSH_IJSG_SG_EEES6_PlJNSB_9not_fun_tINSB_14equal_to_valueIiEEEEEEE10hipError_tPvRmT3_T4_T5_T6_T7_T9_mT8_P12ihipStream_tbDpT10_ENKUlT_T0_E_clISt17integral_constantIbLb1EES18_EEDaS13_S14_EUlS13_E_NS1_11comp_targetILNS1_3genE10ELNS1_11target_archE1200ELNS1_3gpuE4ELNS1_3repE0EEENS1_30default_config_static_selectorELNS0_4arch9wavefront6targetE0EEEvT1_,comdat
.Lfunc_end482:
	.size	_ZN7rocprim17ROCPRIM_400000_NS6detail17trampoline_kernelINS0_14default_configENS1_25partition_config_selectorILNS1_17partition_subalgoE6EiNS0_10empty_typeEbEEZZNS1_14partition_implILS5_6ELb0ES3_mN6thrust23THRUST_200600_302600_NS6detail15normal_iteratorINSA_10device_ptrIiEEEEPS6_SG_NS0_5tupleIJSF_S6_EEENSH_IJSG_SG_EEES6_PlJNSB_9not_fun_tINSB_14equal_to_valueIiEEEEEEE10hipError_tPvRmT3_T4_T5_T6_T7_T9_mT8_P12ihipStream_tbDpT10_ENKUlT_T0_E_clISt17integral_constantIbLb1EES18_EEDaS13_S14_EUlS13_E_NS1_11comp_targetILNS1_3genE10ELNS1_11target_archE1200ELNS1_3gpuE4ELNS1_3repE0EEENS1_30default_config_static_selectorELNS0_4arch9wavefront6targetE0EEEvT1_, .Lfunc_end482-_ZN7rocprim17ROCPRIM_400000_NS6detail17trampoline_kernelINS0_14default_configENS1_25partition_config_selectorILNS1_17partition_subalgoE6EiNS0_10empty_typeEbEEZZNS1_14partition_implILS5_6ELb0ES3_mN6thrust23THRUST_200600_302600_NS6detail15normal_iteratorINSA_10device_ptrIiEEEEPS6_SG_NS0_5tupleIJSF_S6_EEENSH_IJSG_SG_EEES6_PlJNSB_9not_fun_tINSB_14equal_to_valueIiEEEEEEE10hipError_tPvRmT3_T4_T5_T6_T7_T9_mT8_P12ihipStream_tbDpT10_ENKUlT_T0_E_clISt17integral_constantIbLb1EES18_EEDaS13_S14_EUlS13_E_NS1_11comp_targetILNS1_3genE10ELNS1_11target_archE1200ELNS1_3gpuE4ELNS1_3repE0EEENS1_30default_config_static_selectorELNS0_4arch9wavefront6targetE0EEEvT1_
                                        ; -- End function
	.set _ZN7rocprim17ROCPRIM_400000_NS6detail17trampoline_kernelINS0_14default_configENS1_25partition_config_selectorILNS1_17partition_subalgoE6EiNS0_10empty_typeEbEEZZNS1_14partition_implILS5_6ELb0ES3_mN6thrust23THRUST_200600_302600_NS6detail15normal_iteratorINSA_10device_ptrIiEEEEPS6_SG_NS0_5tupleIJSF_S6_EEENSH_IJSG_SG_EEES6_PlJNSB_9not_fun_tINSB_14equal_to_valueIiEEEEEEE10hipError_tPvRmT3_T4_T5_T6_T7_T9_mT8_P12ihipStream_tbDpT10_ENKUlT_T0_E_clISt17integral_constantIbLb1EES18_EEDaS13_S14_EUlS13_E_NS1_11comp_targetILNS1_3genE10ELNS1_11target_archE1200ELNS1_3gpuE4ELNS1_3repE0EEENS1_30default_config_static_selectorELNS0_4arch9wavefront6targetE0EEEvT1_.num_vgpr, 0
	.set _ZN7rocprim17ROCPRIM_400000_NS6detail17trampoline_kernelINS0_14default_configENS1_25partition_config_selectorILNS1_17partition_subalgoE6EiNS0_10empty_typeEbEEZZNS1_14partition_implILS5_6ELb0ES3_mN6thrust23THRUST_200600_302600_NS6detail15normal_iteratorINSA_10device_ptrIiEEEEPS6_SG_NS0_5tupleIJSF_S6_EEENSH_IJSG_SG_EEES6_PlJNSB_9not_fun_tINSB_14equal_to_valueIiEEEEEEE10hipError_tPvRmT3_T4_T5_T6_T7_T9_mT8_P12ihipStream_tbDpT10_ENKUlT_T0_E_clISt17integral_constantIbLb1EES18_EEDaS13_S14_EUlS13_E_NS1_11comp_targetILNS1_3genE10ELNS1_11target_archE1200ELNS1_3gpuE4ELNS1_3repE0EEENS1_30default_config_static_selectorELNS0_4arch9wavefront6targetE0EEEvT1_.num_agpr, 0
	.set _ZN7rocprim17ROCPRIM_400000_NS6detail17trampoline_kernelINS0_14default_configENS1_25partition_config_selectorILNS1_17partition_subalgoE6EiNS0_10empty_typeEbEEZZNS1_14partition_implILS5_6ELb0ES3_mN6thrust23THRUST_200600_302600_NS6detail15normal_iteratorINSA_10device_ptrIiEEEEPS6_SG_NS0_5tupleIJSF_S6_EEENSH_IJSG_SG_EEES6_PlJNSB_9not_fun_tINSB_14equal_to_valueIiEEEEEEE10hipError_tPvRmT3_T4_T5_T6_T7_T9_mT8_P12ihipStream_tbDpT10_ENKUlT_T0_E_clISt17integral_constantIbLb1EES18_EEDaS13_S14_EUlS13_E_NS1_11comp_targetILNS1_3genE10ELNS1_11target_archE1200ELNS1_3gpuE4ELNS1_3repE0EEENS1_30default_config_static_selectorELNS0_4arch9wavefront6targetE0EEEvT1_.numbered_sgpr, 0
	.set _ZN7rocprim17ROCPRIM_400000_NS6detail17trampoline_kernelINS0_14default_configENS1_25partition_config_selectorILNS1_17partition_subalgoE6EiNS0_10empty_typeEbEEZZNS1_14partition_implILS5_6ELb0ES3_mN6thrust23THRUST_200600_302600_NS6detail15normal_iteratorINSA_10device_ptrIiEEEEPS6_SG_NS0_5tupleIJSF_S6_EEENSH_IJSG_SG_EEES6_PlJNSB_9not_fun_tINSB_14equal_to_valueIiEEEEEEE10hipError_tPvRmT3_T4_T5_T6_T7_T9_mT8_P12ihipStream_tbDpT10_ENKUlT_T0_E_clISt17integral_constantIbLb1EES18_EEDaS13_S14_EUlS13_E_NS1_11comp_targetILNS1_3genE10ELNS1_11target_archE1200ELNS1_3gpuE4ELNS1_3repE0EEENS1_30default_config_static_selectorELNS0_4arch9wavefront6targetE0EEEvT1_.num_named_barrier, 0
	.set _ZN7rocprim17ROCPRIM_400000_NS6detail17trampoline_kernelINS0_14default_configENS1_25partition_config_selectorILNS1_17partition_subalgoE6EiNS0_10empty_typeEbEEZZNS1_14partition_implILS5_6ELb0ES3_mN6thrust23THRUST_200600_302600_NS6detail15normal_iteratorINSA_10device_ptrIiEEEEPS6_SG_NS0_5tupleIJSF_S6_EEENSH_IJSG_SG_EEES6_PlJNSB_9not_fun_tINSB_14equal_to_valueIiEEEEEEE10hipError_tPvRmT3_T4_T5_T6_T7_T9_mT8_P12ihipStream_tbDpT10_ENKUlT_T0_E_clISt17integral_constantIbLb1EES18_EEDaS13_S14_EUlS13_E_NS1_11comp_targetILNS1_3genE10ELNS1_11target_archE1200ELNS1_3gpuE4ELNS1_3repE0EEENS1_30default_config_static_selectorELNS0_4arch9wavefront6targetE0EEEvT1_.private_seg_size, 0
	.set _ZN7rocprim17ROCPRIM_400000_NS6detail17trampoline_kernelINS0_14default_configENS1_25partition_config_selectorILNS1_17partition_subalgoE6EiNS0_10empty_typeEbEEZZNS1_14partition_implILS5_6ELb0ES3_mN6thrust23THRUST_200600_302600_NS6detail15normal_iteratorINSA_10device_ptrIiEEEEPS6_SG_NS0_5tupleIJSF_S6_EEENSH_IJSG_SG_EEES6_PlJNSB_9not_fun_tINSB_14equal_to_valueIiEEEEEEE10hipError_tPvRmT3_T4_T5_T6_T7_T9_mT8_P12ihipStream_tbDpT10_ENKUlT_T0_E_clISt17integral_constantIbLb1EES18_EEDaS13_S14_EUlS13_E_NS1_11comp_targetILNS1_3genE10ELNS1_11target_archE1200ELNS1_3gpuE4ELNS1_3repE0EEENS1_30default_config_static_selectorELNS0_4arch9wavefront6targetE0EEEvT1_.uses_vcc, 0
	.set _ZN7rocprim17ROCPRIM_400000_NS6detail17trampoline_kernelINS0_14default_configENS1_25partition_config_selectorILNS1_17partition_subalgoE6EiNS0_10empty_typeEbEEZZNS1_14partition_implILS5_6ELb0ES3_mN6thrust23THRUST_200600_302600_NS6detail15normal_iteratorINSA_10device_ptrIiEEEEPS6_SG_NS0_5tupleIJSF_S6_EEENSH_IJSG_SG_EEES6_PlJNSB_9not_fun_tINSB_14equal_to_valueIiEEEEEEE10hipError_tPvRmT3_T4_T5_T6_T7_T9_mT8_P12ihipStream_tbDpT10_ENKUlT_T0_E_clISt17integral_constantIbLb1EES18_EEDaS13_S14_EUlS13_E_NS1_11comp_targetILNS1_3genE10ELNS1_11target_archE1200ELNS1_3gpuE4ELNS1_3repE0EEENS1_30default_config_static_selectorELNS0_4arch9wavefront6targetE0EEEvT1_.uses_flat_scratch, 0
	.set _ZN7rocprim17ROCPRIM_400000_NS6detail17trampoline_kernelINS0_14default_configENS1_25partition_config_selectorILNS1_17partition_subalgoE6EiNS0_10empty_typeEbEEZZNS1_14partition_implILS5_6ELb0ES3_mN6thrust23THRUST_200600_302600_NS6detail15normal_iteratorINSA_10device_ptrIiEEEEPS6_SG_NS0_5tupleIJSF_S6_EEENSH_IJSG_SG_EEES6_PlJNSB_9not_fun_tINSB_14equal_to_valueIiEEEEEEE10hipError_tPvRmT3_T4_T5_T6_T7_T9_mT8_P12ihipStream_tbDpT10_ENKUlT_T0_E_clISt17integral_constantIbLb1EES18_EEDaS13_S14_EUlS13_E_NS1_11comp_targetILNS1_3genE10ELNS1_11target_archE1200ELNS1_3gpuE4ELNS1_3repE0EEENS1_30default_config_static_selectorELNS0_4arch9wavefront6targetE0EEEvT1_.has_dyn_sized_stack, 0
	.set _ZN7rocprim17ROCPRIM_400000_NS6detail17trampoline_kernelINS0_14default_configENS1_25partition_config_selectorILNS1_17partition_subalgoE6EiNS0_10empty_typeEbEEZZNS1_14partition_implILS5_6ELb0ES3_mN6thrust23THRUST_200600_302600_NS6detail15normal_iteratorINSA_10device_ptrIiEEEEPS6_SG_NS0_5tupleIJSF_S6_EEENSH_IJSG_SG_EEES6_PlJNSB_9not_fun_tINSB_14equal_to_valueIiEEEEEEE10hipError_tPvRmT3_T4_T5_T6_T7_T9_mT8_P12ihipStream_tbDpT10_ENKUlT_T0_E_clISt17integral_constantIbLb1EES18_EEDaS13_S14_EUlS13_E_NS1_11comp_targetILNS1_3genE10ELNS1_11target_archE1200ELNS1_3gpuE4ELNS1_3repE0EEENS1_30default_config_static_selectorELNS0_4arch9wavefront6targetE0EEEvT1_.has_recursion, 0
	.set _ZN7rocprim17ROCPRIM_400000_NS6detail17trampoline_kernelINS0_14default_configENS1_25partition_config_selectorILNS1_17partition_subalgoE6EiNS0_10empty_typeEbEEZZNS1_14partition_implILS5_6ELb0ES3_mN6thrust23THRUST_200600_302600_NS6detail15normal_iteratorINSA_10device_ptrIiEEEEPS6_SG_NS0_5tupleIJSF_S6_EEENSH_IJSG_SG_EEES6_PlJNSB_9not_fun_tINSB_14equal_to_valueIiEEEEEEE10hipError_tPvRmT3_T4_T5_T6_T7_T9_mT8_P12ihipStream_tbDpT10_ENKUlT_T0_E_clISt17integral_constantIbLb1EES18_EEDaS13_S14_EUlS13_E_NS1_11comp_targetILNS1_3genE10ELNS1_11target_archE1200ELNS1_3gpuE4ELNS1_3repE0EEENS1_30default_config_static_selectorELNS0_4arch9wavefront6targetE0EEEvT1_.has_indirect_call, 0
	.section	.AMDGPU.csdata,"",@progbits
; Kernel info:
; codeLenInByte = 4
; TotalNumSgprs: 0
; NumVgprs: 0
; ScratchSize: 0
; MemoryBound: 0
; FloatMode: 240
; IeeeMode: 1
; LDSByteSize: 0 bytes/workgroup (compile time only)
; SGPRBlocks: 0
; VGPRBlocks: 0
; NumSGPRsForWavesPerEU: 1
; NumVGPRsForWavesPerEU: 1
; Occupancy: 16
; WaveLimiterHint : 0
; COMPUTE_PGM_RSRC2:SCRATCH_EN: 0
; COMPUTE_PGM_RSRC2:USER_SGPR: 2
; COMPUTE_PGM_RSRC2:TRAP_HANDLER: 0
; COMPUTE_PGM_RSRC2:TGID_X_EN: 1
; COMPUTE_PGM_RSRC2:TGID_Y_EN: 0
; COMPUTE_PGM_RSRC2:TGID_Z_EN: 0
; COMPUTE_PGM_RSRC2:TIDIG_COMP_CNT: 0
	.section	.text._ZN7rocprim17ROCPRIM_400000_NS6detail17trampoline_kernelINS0_14default_configENS1_25partition_config_selectorILNS1_17partition_subalgoE6EiNS0_10empty_typeEbEEZZNS1_14partition_implILS5_6ELb0ES3_mN6thrust23THRUST_200600_302600_NS6detail15normal_iteratorINSA_10device_ptrIiEEEEPS6_SG_NS0_5tupleIJSF_S6_EEENSH_IJSG_SG_EEES6_PlJNSB_9not_fun_tINSB_14equal_to_valueIiEEEEEEE10hipError_tPvRmT3_T4_T5_T6_T7_T9_mT8_P12ihipStream_tbDpT10_ENKUlT_T0_E_clISt17integral_constantIbLb1EES18_EEDaS13_S14_EUlS13_E_NS1_11comp_targetILNS1_3genE9ELNS1_11target_archE1100ELNS1_3gpuE3ELNS1_3repE0EEENS1_30default_config_static_selectorELNS0_4arch9wavefront6targetE0EEEvT1_,"axG",@progbits,_ZN7rocprim17ROCPRIM_400000_NS6detail17trampoline_kernelINS0_14default_configENS1_25partition_config_selectorILNS1_17partition_subalgoE6EiNS0_10empty_typeEbEEZZNS1_14partition_implILS5_6ELb0ES3_mN6thrust23THRUST_200600_302600_NS6detail15normal_iteratorINSA_10device_ptrIiEEEEPS6_SG_NS0_5tupleIJSF_S6_EEENSH_IJSG_SG_EEES6_PlJNSB_9not_fun_tINSB_14equal_to_valueIiEEEEEEE10hipError_tPvRmT3_T4_T5_T6_T7_T9_mT8_P12ihipStream_tbDpT10_ENKUlT_T0_E_clISt17integral_constantIbLb1EES18_EEDaS13_S14_EUlS13_E_NS1_11comp_targetILNS1_3genE9ELNS1_11target_archE1100ELNS1_3gpuE3ELNS1_3repE0EEENS1_30default_config_static_selectorELNS0_4arch9wavefront6targetE0EEEvT1_,comdat
	.protected	_ZN7rocprim17ROCPRIM_400000_NS6detail17trampoline_kernelINS0_14default_configENS1_25partition_config_selectorILNS1_17partition_subalgoE6EiNS0_10empty_typeEbEEZZNS1_14partition_implILS5_6ELb0ES3_mN6thrust23THRUST_200600_302600_NS6detail15normal_iteratorINSA_10device_ptrIiEEEEPS6_SG_NS0_5tupleIJSF_S6_EEENSH_IJSG_SG_EEES6_PlJNSB_9not_fun_tINSB_14equal_to_valueIiEEEEEEE10hipError_tPvRmT3_T4_T5_T6_T7_T9_mT8_P12ihipStream_tbDpT10_ENKUlT_T0_E_clISt17integral_constantIbLb1EES18_EEDaS13_S14_EUlS13_E_NS1_11comp_targetILNS1_3genE9ELNS1_11target_archE1100ELNS1_3gpuE3ELNS1_3repE0EEENS1_30default_config_static_selectorELNS0_4arch9wavefront6targetE0EEEvT1_ ; -- Begin function _ZN7rocprim17ROCPRIM_400000_NS6detail17trampoline_kernelINS0_14default_configENS1_25partition_config_selectorILNS1_17partition_subalgoE6EiNS0_10empty_typeEbEEZZNS1_14partition_implILS5_6ELb0ES3_mN6thrust23THRUST_200600_302600_NS6detail15normal_iteratorINSA_10device_ptrIiEEEEPS6_SG_NS0_5tupleIJSF_S6_EEENSH_IJSG_SG_EEES6_PlJNSB_9not_fun_tINSB_14equal_to_valueIiEEEEEEE10hipError_tPvRmT3_T4_T5_T6_T7_T9_mT8_P12ihipStream_tbDpT10_ENKUlT_T0_E_clISt17integral_constantIbLb1EES18_EEDaS13_S14_EUlS13_E_NS1_11comp_targetILNS1_3genE9ELNS1_11target_archE1100ELNS1_3gpuE3ELNS1_3repE0EEENS1_30default_config_static_selectorELNS0_4arch9wavefront6targetE0EEEvT1_
	.globl	_ZN7rocprim17ROCPRIM_400000_NS6detail17trampoline_kernelINS0_14default_configENS1_25partition_config_selectorILNS1_17partition_subalgoE6EiNS0_10empty_typeEbEEZZNS1_14partition_implILS5_6ELb0ES3_mN6thrust23THRUST_200600_302600_NS6detail15normal_iteratorINSA_10device_ptrIiEEEEPS6_SG_NS0_5tupleIJSF_S6_EEENSH_IJSG_SG_EEES6_PlJNSB_9not_fun_tINSB_14equal_to_valueIiEEEEEEE10hipError_tPvRmT3_T4_T5_T6_T7_T9_mT8_P12ihipStream_tbDpT10_ENKUlT_T0_E_clISt17integral_constantIbLb1EES18_EEDaS13_S14_EUlS13_E_NS1_11comp_targetILNS1_3genE9ELNS1_11target_archE1100ELNS1_3gpuE3ELNS1_3repE0EEENS1_30default_config_static_selectorELNS0_4arch9wavefront6targetE0EEEvT1_
	.p2align	8
	.type	_ZN7rocprim17ROCPRIM_400000_NS6detail17trampoline_kernelINS0_14default_configENS1_25partition_config_selectorILNS1_17partition_subalgoE6EiNS0_10empty_typeEbEEZZNS1_14partition_implILS5_6ELb0ES3_mN6thrust23THRUST_200600_302600_NS6detail15normal_iteratorINSA_10device_ptrIiEEEEPS6_SG_NS0_5tupleIJSF_S6_EEENSH_IJSG_SG_EEES6_PlJNSB_9not_fun_tINSB_14equal_to_valueIiEEEEEEE10hipError_tPvRmT3_T4_T5_T6_T7_T9_mT8_P12ihipStream_tbDpT10_ENKUlT_T0_E_clISt17integral_constantIbLb1EES18_EEDaS13_S14_EUlS13_E_NS1_11comp_targetILNS1_3genE9ELNS1_11target_archE1100ELNS1_3gpuE3ELNS1_3repE0EEENS1_30default_config_static_selectorELNS0_4arch9wavefront6targetE0EEEvT1_,@function
_ZN7rocprim17ROCPRIM_400000_NS6detail17trampoline_kernelINS0_14default_configENS1_25partition_config_selectorILNS1_17partition_subalgoE6EiNS0_10empty_typeEbEEZZNS1_14partition_implILS5_6ELb0ES3_mN6thrust23THRUST_200600_302600_NS6detail15normal_iteratorINSA_10device_ptrIiEEEEPS6_SG_NS0_5tupleIJSF_S6_EEENSH_IJSG_SG_EEES6_PlJNSB_9not_fun_tINSB_14equal_to_valueIiEEEEEEE10hipError_tPvRmT3_T4_T5_T6_T7_T9_mT8_P12ihipStream_tbDpT10_ENKUlT_T0_E_clISt17integral_constantIbLb1EES18_EEDaS13_S14_EUlS13_E_NS1_11comp_targetILNS1_3genE9ELNS1_11target_archE1100ELNS1_3gpuE3ELNS1_3repE0EEENS1_30default_config_static_selectorELNS0_4arch9wavefront6targetE0EEEvT1_: ; @_ZN7rocprim17ROCPRIM_400000_NS6detail17trampoline_kernelINS0_14default_configENS1_25partition_config_selectorILNS1_17partition_subalgoE6EiNS0_10empty_typeEbEEZZNS1_14partition_implILS5_6ELb0ES3_mN6thrust23THRUST_200600_302600_NS6detail15normal_iteratorINSA_10device_ptrIiEEEEPS6_SG_NS0_5tupleIJSF_S6_EEENSH_IJSG_SG_EEES6_PlJNSB_9not_fun_tINSB_14equal_to_valueIiEEEEEEE10hipError_tPvRmT3_T4_T5_T6_T7_T9_mT8_P12ihipStream_tbDpT10_ENKUlT_T0_E_clISt17integral_constantIbLb1EES18_EEDaS13_S14_EUlS13_E_NS1_11comp_targetILNS1_3genE9ELNS1_11target_archE1100ELNS1_3gpuE3ELNS1_3repE0EEENS1_30default_config_static_selectorELNS0_4arch9wavefront6targetE0EEEvT1_
; %bb.0:
	.section	.rodata,"a",@progbits
	.p2align	6, 0x0
	.amdhsa_kernel _ZN7rocprim17ROCPRIM_400000_NS6detail17trampoline_kernelINS0_14default_configENS1_25partition_config_selectorILNS1_17partition_subalgoE6EiNS0_10empty_typeEbEEZZNS1_14partition_implILS5_6ELb0ES3_mN6thrust23THRUST_200600_302600_NS6detail15normal_iteratorINSA_10device_ptrIiEEEEPS6_SG_NS0_5tupleIJSF_S6_EEENSH_IJSG_SG_EEES6_PlJNSB_9not_fun_tINSB_14equal_to_valueIiEEEEEEE10hipError_tPvRmT3_T4_T5_T6_T7_T9_mT8_P12ihipStream_tbDpT10_ENKUlT_T0_E_clISt17integral_constantIbLb1EES18_EEDaS13_S14_EUlS13_E_NS1_11comp_targetILNS1_3genE9ELNS1_11target_archE1100ELNS1_3gpuE3ELNS1_3repE0EEENS1_30default_config_static_selectorELNS0_4arch9wavefront6targetE0EEEvT1_
		.amdhsa_group_segment_fixed_size 0
		.amdhsa_private_segment_fixed_size 0
		.amdhsa_kernarg_size 128
		.amdhsa_user_sgpr_count 2
		.amdhsa_user_sgpr_dispatch_ptr 0
		.amdhsa_user_sgpr_queue_ptr 0
		.amdhsa_user_sgpr_kernarg_segment_ptr 1
		.amdhsa_user_sgpr_dispatch_id 0
		.amdhsa_user_sgpr_private_segment_size 0
		.amdhsa_wavefront_size32 1
		.amdhsa_uses_dynamic_stack 0
		.amdhsa_enable_private_segment 0
		.amdhsa_system_sgpr_workgroup_id_x 1
		.amdhsa_system_sgpr_workgroup_id_y 0
		.amdhsa_system_sgpr_workgroup_id_z 0
		.amdhsa_system_sgpr_workgroup_info 0
		.amdhsa_system_vgpr_workitem_id 0
		.amdhsa_next_free_vgpr 1
		.amdhsa_next_free_sgpr 1
		.amdhsa_reserve_vcc 0
		.amdhsa_float_round_mode_32 0
		.amdhsa_float_round_mode_16_64 0
		.amdhsa_float_denorm_mode_32 3
		.amdhsa_float_denorm_mode_16_64 3
		.amdhsa_fp16_overflow 0
		.amdhsa_workgroup_processor_mode 1
		.amdhsa_memory_ordered 1
		.amdhsa_forward_progress 1
		.amdhsa_inst_pref_size 0
		.amdhsa_round_robin_scheduling 0
		.amdhsa_exception_fp_ieee_invalid_op 0
		.amdhsa_exception_fp_denorm_src 0
		.amdhsa_exception_fp_ieee_div_zero 0
		.amdhsa_exception_fp_ieee_overflow 0
		.amdhsa_exception_fp_ieee_underflow 0
		.amdhsa_exception_fp_ieee_inexact 0
		.amdhsa_exception_int_div_zero 0
	.end_amdhsa_kernel
	.section	.text._ZN7rocprim17ROCPRIM_400000_NS6detail17trampoline_kernelINS0_14default_configENS1_25partition_config_selectorILNS1_17partition_subalgoE6EiNS0_10empty_typeEbEEZZNS1_14partition_implILS5_6ELb0ES3_mN6thrust23THRUST_200600_302600_NS6detail15normal_iteratorINSA_10device_ptrIiEEEEPS6_SG_NS0_5tupleIJSF_S6_EEENSH_IJSG_SG_EEES6_PlJNSB_9not_fun_tINSB_14equal_to_valueIiEEEEEEE10hipError_tPvRmT3_T4_T5_T6_T7_T9_mT8_P12ihipStream_tbDpT10_ENKUlT_T0_E_clISt17integral_constantIbLb1EES18_EEDaS13_S14_EUlS13_E_NS1_11comp_targetILNS1_3genE9ELNS1_11target_archE1100ELNS1_3gpuE3ELNS1_3repE0EEENS1_30default_config_static_selectorELNS0_4arch9wavefront6targetE0EEEvT1_,"axG",@progbits,_ZN7rocprim17ROCPRIM_400000_NS6detail17trampoline_kernelINS0_14default_configENS1_25partition_config_selectorILNS1_17partition_subalgoE6EiNS0_10empty_typeEbEEZZNS1_14partition_implILS5_6ELb0ES3_mN6thrust23THRUST_200600_302600_NS6detail15normal_iteratorINSA_10device_ptrIiEEEEPS6_SG_NS0_5tupleIJSF_S6_EEENSH_IJSG_SG_EEES6_PlJNSB_9not_fun_tINSB_14equal_to_valueIiEEEEEEE10hipError_tPvRmT3_T4_T5_T6_T7_T9_mT8_P12ihipStream_tbDpT10_ENKUlT_T0_E_clISt17integral_constantIbLb1EES18_EEDaS13_S14_EUlS13_E_NS1_11comp_targetILNS1_3genE9ELNS1_11target_archE1100ELNS1_3gpuE3ELNS1_3repE0EEENS1_30default_config_static_selectorELNS0_4arch9wavefront6targetE0EEEvT1_,comdat
.Lfunc_end483:
	.size	_ZN7rocprim17ROCPRIM_400000_NS6detail17trampoline_kernelINS0_14default_configENS1_25partition_config_selectorILNS1_17partition_subalgoE6EiNS0_10empty_typeEbEEZZNS1_14partition_implILS5_6ELb0ES3_mN6thrust23THRUST_200600_302600_NS6detail15normal_iteratorINSA_10device_ptrIiEEEEPS6_SG_NS0_5tupleIJSF_S6_EEENSH_IJSG_SG_EEES6_PlJNSB_9not_fun_tINSB_14equal_to_valueIiEEEEEEE10hipError_tPvRmT3_T4_T5_T6_T7_T9_mT8_P12ihipStream_tbDpT10_ENKUlT_T0_E_clISt17integral_constantIbLb1EES18_EEDaS13_S14_EUlS13_E_NS1_11comp_targetILNS1_3genE9ELNS1_11target_archE1100ELNS1_3gpuE3ELNS1_3repE0EEENS1_30default_config_static_selectorELNS0_4arch9wavefront6targetE0EEEvT1_, .Lfunc_end483-_ZN7rocprim17ROCPRIM_400000_NS6detail17trampoline_kernelINS0_14default_configENS1_25partition_config_selectorILNS1_17partition_subalgoE6EiNS0_10empty_typeEbEEZZNS1_14partition_implILS5_6ELb0ES3_mN6thrust23THRUST_200600_302600_NS6detail15normal_iteratorINSA_10device_ptrIiEEEEPS6_SG_NS0_5tupleIJSF_S6_EEENSH_IJSG_SG_EEES6_PlJNSB_9not_fun_tINSB_14equal_to_valueIiEEEEEEE10hipError_tPvRmT3_T4_T5_T6_T7_T9_mT8_P12ihipStream_tbDpT10_ENKUlT_T0_E_clISt17integral_constantIbLb1EES18_EEDaS13_S14_EUlS13_E_NS1_11comp_targetILNS1_3genE9ELNS1_11target_archE1100ELNS1_3gpuE3ELNS1_3repE0EEENS1_30default_config_static_selectorELNS0_4arch9wavefront6targetE0EEEvT1_
                                        ; -- End function
	.set _ZN7rocprim17ROCPRIM_400000_NS6detail17trampoline_kernelINS0_14default_configENS1_25partition_config_selectorILNS1_17partition_subalgoE6EiNS0_10empty_typeEbEEZZNS1_14partition_implILS5_6ELb0ES3_mN6thrust23THRUST_200600_302600_NS6detail15normal_iteratorINSA_10device_ptrIiEEEEPS6_SG_NS0_5tupleIJSF_S6_EEENSH_IJSG_SG_EEES6_PlJNSB_9not_fun_tINSB_14equal_to_valueIiEEEEEEE10hipError_tPvRmT3_T4_T5_T6_T7_T9_mT8_P12ihipStream_tbDpT10_ENKUlT_T0_E_clISt17integral_constantIbLb1EES18_EEDaS13_S14_EUlS13_E_NS1_11comp_targetILNS1_3genE9ELNS1_11target_archE1100ELNS1_3gpuE3ELNS1_3repE0EEENS1_30default_config_static_selectorELNS0_4arch9wavefront6targetE0EEEvT1_.num_vgpr, 0
	.set _ZN7rocprim17ROCPRIM_400000_NS6detail17trampoline_kernelINS0_14default_configENS1_25partition_config_selectorILNS1_17partition_subalgoE6EiNS0_10empty_typeEbEEZZNS1_14partition_implILS5_6ELb0ES3_mN6thrust23THRUST_200600_302600_NS6detail15normal_iteratorINSA_10device_ptrIiEEEEPS6_SG_NS0_5tupleIJSF_S6_EEENSH_IJSG_SG_EEES6_PlJNSB_9not_fun_tINSB_14equal_to_valueIiEEEEEEE10hipError_tPvRmT3_T4_T5_T6_T7_T9_mT8_P12ihipStream_tbDpT10_ENKUlT_T0_E_clISt17integral_constantIbLb1EES18_EEDaS13_S14_EUlS13_E_NS1_11comp_targetILNS1_3genE9ELNS1_11target_archE1100ELNS1_3gpuE3ELNS1_3repE0EEENS1_30default_config_static_selectorELNS0_4arch9wavefront6targetE0EEEvT1_.num_agpr, 0
	.set _ZN7rocprim17ROCPRIM_400000_NS6detail17trampoline_kernelINS0_14default_configENS1_25partition_config_selectorILNS1_17partition_subalgoE6EiNS0_10empty_typeEbEEZZNS1_14partition_implILS5_6ELb0ES3_mN6thrust23THRUST_200600_302600_NS6detail15normal_iteratorINSA_10device_ptrIiEEEEPS6_SG_NS0_5tupleIJSF_S6_EEENSH_IJSG_SG_EEES6_PlJNSB_9not_fun_tINSB_14equal_to_valueIiEEEEEEE10hipError_tPvRmT3_T4_T5_T6_T7_T9_mT8_P12ihipStream_tbDpT10_ENKUlT_T0_E_clISt17integral_constantIbLb1EES18_EEDaS13_S14_EUlS13_E_NS1_11comp_targetILNS1_3genE9ELNS1_11target_archE1100ELNS1_3gpuE3ELNS1_3repE0EEENS1_30default_config_static_selectorELNS0_4arch9wavefront6targetE0EEEvT1_.numbered_sgpr, 0
	.set _ZN7rocprim17ROCPRIM_400000_NS6detail17trampoline_kernelINS0_14default_configENS1_25partition_config_selectorILNS1_17partition_subalgoE6EiNS0_10empty_typeEbEEZZNS1_14partition_implILS5_6ELb0ES3_mN6thrust23THRUST_200600_302600_NS6detail15normal_iteratorINSA_10device_ptrIiEEEEPS6_SG_NS0_5tupleIJSF_S6_EEENSH_IJSG_SG_EEES6_PlJNSB_9not_fun_tINSB_14equal_to_valueIiEEEEEEE10hipError_tPvRmT3_T4_T5_T6_T7_T9_mT8_P12ihipStream_tbDpT10_ENKUlT_T0_E_clISt17integral_constantIbLb1EES18_EEDaS13_S14_EUlS13_E_NS1_11comp_targetILNS1_3genE9ELNS1_11target_archE1100ELNS1_3gpuE3ELNS1_3repE0EEENS1_30default_config_static_selectorELNS0_4arch9wavefront6targetE0EEEvT1_.num_named_barrier, 0
	.set _ZN7rocprim17ROCPRIM_400000_NS6detail17trampoline_kernelINS0_14default_configENS1_25partition_config_selectorILNS1_17partition_subalgoE6EiNS0_10empty_typeEbEEZZNS1_14partition_implILS5_6ELb0ES3_mN6thrust23THRUST_200600_302600_NS6detail15normal_iteratorINSA_10device_ptrIiEEEEPS6_SG_NS0_5tupleIJSF_S6_EEENSH_IJSG_SG_EEES6_PlJNSB_9not_fun_tINSB_14equal_to_valueIiEEEEEEE10hipError_tPvRmT3_T4_T5_T6_T7_T9_mT8_P12ihipStream_tbDpT10_ENKUlT_T0_E_clISt17integral_constantIbLb1EES18_EEDaS13_S14_EUlS13_E_NS1_11comp_targetILNS1_3genE9ELNS1_11target_archE1100ELNS1_3gpuE3ELNS1_3repE0EEENS1_30default_config_static_selectorELNS0_4arch9wavefront6targetE0EEEvT1_.private_seg_size, 0
	.set _ZN7rocprim17ROCPRIM_400000_NS6detail17trampoline_kernelINS0_14default_configENS1_25partition_config_selectorILNS1_17partition_subalgoE6EiNS0_10empty_typeEbEEZZNS1_14partition_implILS5_6ELb0ES3_mN6thrust23THRUST_200600_302600_NS6detail15normal_iteratorINSA_10device_ptrIiEEEEPS6_SG_NS0_5tupleIJSF_S6_EEENSH_IJSG_SG_EEES6_PlJNSB_9not_fun_tINSB_14equal_to_valueIiEEEEEEE10hipError_tPvRmT3_T4_T5_T6_T7_T9_mT8_P12ihipStream_tbDpT10_ENKUlT_T0_E_clISt17integral_constantIbLb1EES18_EEDaS13_S14_EUlS13_E_NS1_11comp_targetILNS1_3genE9ELNS1_11target_archE1100ELNS1_3gpuE3ELNS1_3repE0EEENS1_30default_config_static_selectorELNS0_4arch9wavefront6targetE0EEEvT1_.uses_vcc, 0
	.set _ZN7rocprim17ROCPRIM_400000_NS6detail17trampoline_kernelINS0_14default_configENS1_25partition_config_selectorILNS1_17partition_subalgoE6EiNS0_10empty_typeEbEEZZNS1_14partition_implILS5_6ELb0ES3_mN6thrust23THRUST_200600_302600_NS6detail15normal_iteratorINSA_10device_ptrIiEEEEPS6_SG_NS0_5tupleIJSF_S6_EEENSH_IJSG_SG_EEES6_PlJNSB_9not_fun_tINSB_14equal_to_valueIiEEEEEEE10hipError_tPvRmT3_T4_T5_T6_T7_T9_mT8_P12ihipStream_tbDpT10_ENKUlT_T0_E_clISt17integral_constantIbLb1EES18_EEDaS13_S14_EUlS13_E_NS1_11comp_targetILNS1_3genE9ELNS1_11target_archE1100ELNS1_3gpuE3ELNS1_3repE0EEENS1_30default_config_static_selectorELNS0_4arch9wavefront6targetE0EEEvT1_.uses_flat_scratch, 0
	.set _ZN7rocprim17ROCPRIM_400000_NS6detail17trampoline_kernelINS0_14default_configENS1_25partition_config_selectorILNS1_17partition_subalgoE6EiNS0_10empty_typeEbEEZZNS1_14partition_implILS5_6ELb0ES3_mN6thrust23THRUST_200600_302600_NS6detail15normal_iteratorINSA_10device_ptrIiEEEEPS6_SG_NS0_5tupleIJSF_S6_EEENSH_IJSG_SG_EEES6_PlJNSB_9not_fun_tINSB_14equal_to_valueIiEEEEEEE10hipError_tPvRmT3_T4_T5_T6_T7_T9_mT8_P12ihipStream_tbDpT10_ENKUlT_T0_E_clISt17integral_constantIbLb1EES18_EEDaS13_S14_EUlS13_E_NS1_11comp_targetILNS1_3genE9ELNS1_11target_archE1100ELNS1_3gpuE3ELNS1_3repE0EEENS1_30default_config_static_selectorELNS0_4arch9wavefront6targetE0EEEvT1_.has_dyn_sized_stack, 0
	.set _ZN7rocprim17ROCPRIM_400000_NS6detail17trampoline_kernelINS0_14default_configENS1_25partition_config_selectorILNS1_17partition_subalgoE6EiNS0_10empty_typeEbEEZZNS1_14partition_implILS5_6ELb0ES3_mN6thrust23THRUST_200600_302600_NS6detail15normal_iteratorINSA_10device_ptrIiEEEEPS6_SG_NS0_5tupleIJSF_S6_EEENSH_IJSG_SG_EEES6_PlJNSB_9not_fun_tINSB_14equal_to_valueIiEEEEEEE10hipError_tPvRmT3_T4_T5_T6_T7_T9_mT8_P12ihipStream_tbDpT10_ENKUlT_T0_E_clISt17integral_constantIbLb1EES18_EEDaS13_S14_EUlS13_E_NS1_11comp_targetILNS1_3genE9ELNS1_11target_archE1100ELNS1_3gpuE3ELNS1_3repE0EEENS1_30default_config_static_selectorELNS0_4arch9wavefront6targetE0EEEvT1_.has_recursion, 0
	.set _ZN7rocprim17ROCPRIM_400000_NS6detail17trampoline_kernelINS0_14default_configENS1_25partition_config_selectorILNS1_17partition_subalgoE6EiNS0_10empty_typeEbEEZZNS1_14partition_implILS5_6ELb0ES3_mN6thrust23THRUST_200600_302600_NS6detail15normal_iteratorINSA_10device_ptrIiEEEEPS6_SG_NS0_5tupleIJSF_S6_EEENSH_IJSG_SG_EEES6_PlJNSB_9not_fun_tINSB_14equal_to_valueIiEEEEEEE10hipError_tPvRmT3_T4_T5_T6_T7_T9_mT8_P12ihipStream_tbDpT10_ENKUlT_T0_E_clISt17integral_constantIbLb1EES18_EEDaS13_S14_EUlS13_E_NS1_11comp_targetILNS1_3genE9ELNS1_11target_archE1100ELNS1_3gpuE3ELNS1_3repE0EEENS1_30default_config_static_selectorELNS0_4arch9wavefront6targetE0EEEvT1_.has_indirect_call, 0
	.section	.AMDGPU.csdata,"",@progbits
; Kernel info:
; codeLenInByte = 0
; TotalNumSgprs: 0
; NumVgprs: 0
; ScratchSize: 0
; MemoryBound: 0
; FloatMode: 240
; IeeeMode: 1
; LDSByteSize: 0 bytes/workgroup (compile time only)
; SGPRBlocks: 0
; VGPRBlocks: 0
; NumSGPRsForWavesPerEU: 1
; NumVGPRsForWavesPerEU: 1
; Occupancy: 16
; WaveLimiterHint : 0
; COMPUTE_PGM_RSRC2:SCRATCH_EN: 0
; COMPUTE_PGM_RSRC2:USER_SGPR: 2
; COMPUTE_PGM_RSRC2:TRAP_HANDLER: 0
; COMPUTE_PGM_RSRC2:TGID_X_EN: 1
; COMPUTE_PGM_RSRC2:TGID_Y_EN: 0
; COMPUTE_PGM_RSRC2:TGID_Z_EN: 0
; COMPUTE_PGM_RSRC2:TIDIG_COMP_CNT: 0
	.section	.text._ZN7rocprim17ROCPRIM_400000_NS6detail17trampoline_kernelINS0_14default_configENS1_25partition_config_selectorILNS1_17partition_subalgoE6EiNS0_10empty_typeEbEEZZNS1_14partition_implILS5_6ELb0ES3_mN6thrust23THRUST_200600_302600_NS6detail15normal_iteratorINSA_10device_ptrIiEEEEPS6_SG_NS0_5tupleIJSF_S6_EEENSH_IJSG_SG_EEES6_PlJNSB_9not_fun_tINSB_14equal_to_valueIiEEEEEEE10hipError_tPvRmT3_T4_T5_T6_T7_T9_mT8_P12ihipStream_tbDpT10_ENKUlT_T0_E_clISt17integral_constantIbLb1EES18_EEDaS13_S14_EUlS13_E_NS1_11comp_targetILNS1_3genE8ELNS1_11target_archE1030ELNS1_3gpuE2ELNS1_3repE0EEENS1_30default_config_static_selectorELNS0_4arch9wavefront6targetE0EEEvT1_,"axG",@progbits,_ZN7rocprim17ROCPRIM_400000_NS6detail17trampoline_kernelINS0_14default_configENS1_25partition_config_selectorILNS1_17partition_subalgoE6EiNS0_10empty_typeEbEEZZNS1_14partition_implILS5_6ELb0ES3_mN6thrust23THRUST_200600_302600_NS6detail15normal_iteratorINSA_10device_ptrIiEEEEPS6_SG_NS0_5tupleIJSF_S6_EEENSH_IJSG_SG_EEES6_PlJNSB_9not_fun_tINSB_14equal_to_valueIiEEEEEEE10hipError_tPvRmT3_T4_T5_T6_T7_T9_mT8_P12ihipStream_tbDpT10_ENKUlT_T0_E_clISt17integral_constantIbLb1EES18_EEDaS13_S14_EUlS13_E_NS1_11comp_targetILNS1_3genE8ELNS1_11target_archE1030ELNS1_3gpuE2ELNS1_3repE0EEENS1_30default_config_static_selectorELNS0_4arch9wavefront6targetE0EEEvT1_,comdat
	.protected	_ZN7rocprim17ROCPRIM_400000_NS6detail17trampoline_kernelINS0_14default_configENS1_25partition_config_selectorILNS1_17partition_subalgoE6EiNS0_10empty_typeEbEEZZNS1_14partition_implILS5_6ELb0ES3_mN6thrust23THRUST_200600_302600_NS6detail15normal_iteratorINSA_10device_ptrIiEEEEPS6_SG_NS0_5tupleIJSF_S6_EEENSH_IJSG_SG_EEES6_PlJNSB_9not_fun_tINSB_14equal_to_valueIiEEEEEEE10hipError_tPvRmT3_T4_T5_T6_T7_T9_mT8_P12ihipStream_tbDpT10_ENKUlT_T0_E_clISt17integral_constantIbLb1EES18_EEDaS13_S14_EUlS13_E_NS1_11comp_targetILNS1_3genE8ELNS1_11target_archE1030ELNS1_3gpuE2ELNS1_3repE0EEENS1_30default_config_static_selectorELNS0_4arch9wavefront6targetE0EEEvT1_ ; -- Begin function _ZN7rocprim17ROCPRIM_400000_NS6detail17trampoline_kernelINS0_14default_configENS1_25partition_config_selectorILNS1_17partition_subalgoE6EiNS0_10empty_typeEbEEZZNS1_14partition_implILS5_6ELb0ES3_mN6thrust23THRUST_200600_302600_NS6detail15normal_iteratorINSA_10device_ptrIiEEEEPS6_SG_NS0_5tupleIJSF_S6_EEENSH_IJSG_SG_EEES6_PlJNSB_9not_fun_tINSB_14equal_to_valueIiEEEEEEE10hipError_tPvRmT3_T4_T5_T6_T7_T9_mT8_P12ihipStream_tbDpT10_ENKUlT_T0_E_clISt17integral_constantIbLb1EES18_EEDaS13_S14_EUlS13_E_NS1_11comp_targetILNS1_3genE8ELNS1_11target_archE1030ELNS1_3gpuE2ELNS1_3repE0EEENS1_30default_config_static_selectorELNS0_4arch9wavefront6targetE0EEEvT1_
	.globl	_ZN7rocprim17ROCPRIM_400000_NS6detail17trampoline_kernelINS0_14default_configENS1_25partition_config_selectorILNS1_17partition_subalgoE6EiNS0_10empty_typeEbEEZZNS1_14partition_implILS5_6ELb0ES3_mN6thrust23THRUST_200600_302600_NS6detail15normal_iteratorINSA_10device_ptrIiEEEEPS6_SG_NS0_5tupleIJSF_S6_EEENSH_IJSG_SG_EEES6_PlJNSB_9not_fun_tINSB_14equal_to_valueIiEEEEEEE10hipError_tPvRmT3_T4_T5_T6_T7_T9_mT8_P12ihipStream_tbDpT10_ENKUlT_T0_E_clISt17integral_constantIbLb1EES18_EEDaS13_S14_EUlS13_E_NS1_11comp_targetILNS1_3genE8ELNS1_11target_archE1030ELNS1_3gpuE2ELNS1_3repE0EEENS1_30default_config_static_selectorELNS0_4arch9wavefront6targetE0EEEvT1_
	.p2align	8
	.type	_ZN7rocprim17ROCPRIM_400000_NS6detail17trampoline_kernelINS0_14default_configENS1_25partition_config_selectorILNS1_17partition_subalgoE6EiNS0_10empty_typeEbEEZZNS1_14partition_implILS5_6ELb0ES3_mN6thrust23THRUST_200600_302600_NS6detail15normal_iteratorINSA_10device_ptrIiEEEEPS6_SG_NS0_5tupleIJSF_S6_EEENSH_IJSG_SG_EEES6_PlJNSB_9not_fun_tINSB_14equal_to_valueIiEEEEEEE10hipError_tPvRmT3_T4_T5_T6_T7_T9_mT8_P12ihipStream_tbDpT10_ENKUlT_T0_E_clISt17integral_constantIbLb1EES18_EEDaS13_S14_EUlS13_E_NS1_11comp_targetILNS1_3genE8ELNS1_11target_archE1030ELNS1_3gpuE2ELNS1_3repE0EEENS1_30default_config_static_selectorELNS0_4arch9wavefront6targetE0EEEvT1_,@function
_ZN7rocprim17ROCPRIM_400000_NS6detail17trampoline_kernelINS0_14default_configENS1_25partition_config_selectorILNS1_17partition_subalgoE6EiNS0_10empty_typeEbEEZZNS1_14partition_implILS5_6ELb0ES3_mN6thrust23THRUST_200600_302600_NS6detail15normal_iteratorINSA_10device_ptrIiEEEEPS6_SG_NS0_5tupleIJSF_S6_EEENSH_IJSG_SG_EEES6_PlJNSB_9not_fun_tINSB_14equal_to_valueIiEEEEEEE10hipError_tPvRmT3_T4_T5_T6_T7_T9_mT8_P12ihipStream_tbDpT10_ENKUlT_T0_E_clISt17integral_constantIbLb1EES18_EEDaS13_S14_EUlS13_E_NS1_11comp_targetILNS1_3genE8ELNS1_11target_archE1030ELNS1_3gpuE2ELNS1_3repE0EEENS1_30default_config_static_selectorELNS0_4arch9wavefront6targetE0EEEvT1_: ; @_ZN7rocprim17ROCPRIM_400000_NS6detail17trampoline_kernelINS0_14default_configENS1_25partition_config_selectorILNS1_17partition_subalgoE6EiNS0_10empty_typeEbEEZZNS1_14partition_implILS5_6ELb0ES3_mN6thrust23THRUST_200600_302600_NS6detail15normal_iteratorINSA_10device_ptrIiEEEEPS6_SG_NS0_5tupleIJSF_S6_EEENSH_IJSG_SG_EEES6_PlJNSB_9not_fun_tINSB_14equal_to_valueIiEEEEEEE10hipError_tPvRmT3_T4_T5_T6_T7_T9_mT8_P12ihipStream_tbDpT10_ENKUlT_T0_E_clISt17integral_constantIbLb1EES18_EEDaS13_S14_EUlS13_E_NS1_11comp_targetILNS1_3genE8ELNS1_11target_archE1030ELNS1_3gpuE2ELNS1_3repE0EEENS1_30default_config_static_selectorELNS0_4arch9wavefront6targetE0EEEvT1_
; %bb.0:
	.section	.rodata,"a",@progbits
	.p2align	6, 0x0
	.amdhsa_kernel _ZN7rocprim17ROCPRIM_400000_NS6detail17trampoline_kernelINS0_14default_configENS1_25partition_config_selectorILNS1_17partition_subalgoE6EiNS0_10empty_typeEbEEZZNS1_14partition_implILS5_6ELb0ES3_mN6thrust23THRUST_200600_302600_NS6detail15normal_iteratorINSA_10device_ptrIiEEEEPS6_SG_NS0_5tupleIJSF_S6_EEENSH_IJSG_SG_EEES6_PlJNSB_9not_fun_tINSB_14equal_to_valueIiEEEEEEE10hipError_tPvRmT3_T4_T5_T6_T7_T9_mT8_P12ihipStream_tbDpT10_ENKUlT_T0_E_clISt17integral_constantIbLb1EES18_EEDaS13_S14_EUlS13_E_NS1_11comp_targetILNS1_3genE8ELNS1_11target_archE1030ELNS1_3gpuE2ELNS1_3repE0EEENS1_30default_config_static_selectorELNS0_4arch9wavefront6targetE0EEEvT1_
		.amdhsa_group_segment_fixed_size 0
		.amdhsa_private_segment_fixed_size 0
		.amdhsa_kernarg_size 128
		.amdhsa_user_sgpr_count 2
		.amdhsa_user_sgpr_dispatch_ptr 0
		.amdhsa_user_sgpr_queue_ptr 0
		.amdhsa_user_sgpr_kernarg_segment_ptr 1
		.amdhsa_user_sgpr_dispatch_id 0
		.amdhsa_user_sgpr_private_segment_size 0
		.amdhsa_wavefront_size32 1
		.amdhsa_uses_dynamic_stack 0
		.amdhsa_enable_private_segment 0
		.amdhsa_system_sgpr_workgroup_id_x 1
		.amdhsa_system_sgpr_workgroup_id_y 0
		.amdhsa_system_sgpr_workgroup_id_z 0
		.amdhsa_system_sgpr_workgroup_info 0
		.amdhsa_system_vgpr_workitem_id 0
		.amdhsa_next_free_vgpr 1
		.amdhsa_next_free_sgpr 1
		.amdhsa_reserve_vcc 0
		.amdhsa_float_round_mode_32 0
		.amdhsa_float_round_mode_16_64 0
		.amdhsa_float_denorm_mode_32 3
		.amdhsa_float_denorm_mode_16_64 3
		.amdhsa_fp16_overflow 0
		.amdhsa_workgroup_processor_mode 1
		.amdhsa_memory_ordered 1
		.amdhsa_forward_progress 1
		.amdhsa_inst_pref_size 0
		.amdhsa_round_robin_scheduling 0
		.amdhsa_exception_fp_ieee_invalid_op 0
		.amdhsa_exception_fp_denorm_src 0
		.amdhsa_exception_fp_ieee_div_zero 0
		.amdhsa_exception_fp_ieee_overflow 0
		.amdhsa_exception_fp_ieee_underflow 0
		.amdhsa_exception_fp_ieee_inexact 0
		.amdhsa_exception_int_div_zero 0
	.end_amdhsa_kernel
	.section	.text._ZN7rocprim17ROCPRIM_400000_NS6detail17trampoline_kernelINS0_14default_configENS1_25partition_config_selectorILNS1_17partition_subalgoE6EiNS0_10empty_typeEbEEZZNS1_14partition_implILS5_6ELb0ES3_mN6thrust23THRUST_200600_302600_NS6detail15normal_iteratorINSA_10device_ptrIiEEEEPS6_SG_NS0_5tupleIJSF_S6_EEENSH_IJSG_SG_EEES6_PlJNSB_9not_fun_tINSB_14equal_to_valueIiEEEEEEE10hipError_tPvRmT3_T4_T5_T6_T7_T9_mT8_P12ihipStream_tbDpT10_ENKUlT_T0_E_clISt17integral_constantIbLb1EES18_EEDaS13_S14_EUlS13_E_NS1_11comp_targetILNS1_3genE8ELNS1_11target_archE1030ELNS1_3gpuE2ELNS1_3repE0EEENS1_30default_config_static_selectorELNS0_4arch9wavefront6targetE0EEEvT1_,"axG",@progbits,_ZN7rocprim17ROCPRIM_400000_NS6detail17trampoline_kernelINS0_14default_configENS1_25partition_config_selectorILNS1_17partition_subalgoE6EiNS0_10empty_typeEbEEZZNS1_14partition_implILS5_6ELb0ES3_mN6thrust23THRUST_200600_302600_NS6detail15normal_iteratorINSA_10device_ptrIiEEEEPS6_SG_NS0_5tupleIJSF_S6_EEENSH_IJSG_SG_EEES6_PlJNSB_9not_fun_tINSB_14equal_to_valueIiEEEEEEE10hipError_tPvRmT3_T4_T5_T6_T7_T9_mT8_P12ihipStream_tbDpT10_ENKUlT_T0_E_clISt17integral_constantIbLb1EES18_EEDaS13_S14_EUlS13_E_NS1_11comp_targetILNS1_3genE8ELNS1_11target_archE1030ELNS1_3gpuE2ELNS1_3repE0EEENS1_30default_config_static_selectorELNS0_4arch9wavefront6targetE0EEEvT1_,comdat
.Lfunc_end484:
	.size	_ZN7rocprim17ROCPRIM_400000_NS6detail17trampoline_kernelINS0_14default_configENS1_25partition_config_selectorILNS1_17partition_subalgoE6EiNS0_10empty_typeEbEEZZNS1_14partition_implILS5_6ELb0ES3_mN6thrust23THRUST_200600_302600_NS6detail15normal_iteratorINSA_10device_ptrIiEEEEPS6_SG_NS0_5tupleIJSF_S6_EEENSH_IJSG_SG_EEES6_PlJNSB_9not_fun_tINSB_14equal_to_valueIiEEEEEEE10hipError_tPvRmT3_T4_T5_T6_T7_T9_mT8_P12ihipStream_tbDpT10_ENKUlT_T0_E_clISt17integral_constantIbLb1EES18_EEDaS13_S14_EUlS13_E_NS1_11comp_targetILNS1_3genE8ELNS1_11target_archE1030ELNS1_3gpuE2ELNS1_3repE0EEENS1_30default_config_static_selectorELNS0_4arch9wavefront6targetE0EEEvT1_, .Lfunc_end484-_ZN7rocprim17ROCPRIM_400000_NS6detail17trampoline_kernelINS0_14default_configENS1_25partition_config_selectorILNS1_17partition_subalgoE6EiNS0_10empty_typeEbEEZZNS1_14partition_implILS5_6ELb0ES3_mN6thrust23THRUST_200600_302600_NS6detail15normal_iteratorINSA_10device_ptrIiEEEEPS6_SG_NS0_5tupleIJSF_S6_EEENSH_IJSG_SG_EEES6_PlJNSB_9not_fun_tINSB_14equal_to_valueIiEEEEEEE10hipError_tPvRmT3_T4_T5_T6_T7_T9_mT8_P12ihipStream_tbDpT10_ENKUlT_T0_E_clISt17integral_constantIbLb1EES18_EEDaS13_S14_EUlS13_E_NS1_11comp_targetILNS1_3genE8ELNS1_11target_archE1030ELNS1_3gpuE2ELNS1_3repE0EEENS1_30default_config_static_selectorELNS0_4arch9wavefront6targetE0EEEvT1_
                                        ; -- End function
	.set _ZN7rocprim17ROCPRIM_400000_NS6detail17trampoline_kernelINS0_14default_configENS1_25partition_config_selectorILNS1_17partition_subalgoE6EiNS0_10empty_typeEbEEZZNS1_14partition_implILS5_6ELb0ES3_mN6thrust23THRUST_200600_302600_NS6detail15normal_iteratorINSA_10device_ptrIiEEEEPS6_SG_NS0_5tupleIJSF_S6_EEENSH_IJSG_SG_EEES6_PlJNSB_9not_fun_tINSB_14equal_to_valueIiEEEEEEE10hipError_tPvRmT3_T4_T5_T6_T7_T9_mT8_P12ihipStream_tbDpT10_ENKUlT_T0_E_clISt17integral_constantIbLb1EES18_EEDaS13_S14_EUlS13_E_NS1_11comp_targetILNS1_3genE8ELNS1_11target_archE1030ELNS1_3gpuE2ELNS1_3repE0EEENS1_30default_config_static_selectorELNS0_4arch9wavefront6targetE0EEEvT1_.num_vgpr, 0
	.set _ZN7rocprim17ROCPRIM_400000_NS6detail17trampoline_kernelINS0_14default_configENS1_25partition_config_selectorILNS1_17partition_subalgoE6EiNS0_10empty_typeEbEEZZNS1_14partition_implILS5_6ELb0ES3_mN6thrust23THRUST_200600_302600_NS6detail15normal_iteratorINSA_10device_ptrIiEEEEPS6_SG_NS0_5tupleIJSF_S6_EEENSH_IJSG_SG_EEES6_PlJNSB_9not_fun_tINSB_14equal_to_valueIiEEEEEEE10hipError_tPvRmT3_T4_T5_T6_T7_T9_mT8_P12ihipStream_tbDpT10_ENKUlT_T0_E_clISt17integral_constantIbLb1EES18_EEDaS13_S14_EUlS13_E_NS1_11comp_targetILNS1_3genE8ELNS1_11target_archE1030ELNS1_3gpuE2ELNS1_3repE0EEENS1_30default_config_static_selectorELNS0_4arch9wavefront6targetE0EEEvT1_.num_agpr, 0
	.set _ZN7rocprim17ROCPRIM_400000_NS6detail17trampoline_kernelINS0_14default_configENS1_25partition_config_selectorILNS1_17partition_subalgoE6EiNS0_10empty_typeEbEEZZNS1_14partition_implILS5_6ELb0ES3_mN6thrust23THRUST_200600_302600_NS6detail15normal_iteratorINSA_10device_ptrIiEEEEPS6_SG_NS0_5tupleIJSF_S6_EEENSH_IJSG_SG_EEES6_PlJNSB_9not_fun_tINSB_14equal_to_valueIiEEEEEEE10hipError_tPvRmT3_T4_T5_T6_T7_T9_mT8_P12ihipStream_tbDpT10_ENKUlT_T0_E_clISt17integral_constantIbLb1EES18_EEDaS13_S14_EUlS13_E_NS1_11comp_targetILNS1_3genE8ELNS1_11target_archE1030ELNS1_3gpuE2ELNS1_3repE0EEENS1_30default_config_static_selectorELNS0_4arch9wavefront6targetE0EEEvT1_.numbered_sgpr, 0
	.set _ZN7rocprim17ROCPRIM_400000_NS6detail17trampoline_kernelINS0_14default_configENS1_25partition_config_selectorILNS1_17partition_subalgoE6EiNS0_10empty_typeEbEEZZNS1_14partition_implILS5_6ELb0ES3_mN6thrust23THRUST_200600_302600_NS6detail15normal_iteratorINSA_10device_ptrIiEEEEPS6_SG_NS0_5tupleIJSF_S6_EEENSH_IJSG_SG_EEES6_PlJNSB_9not_fun_tINSB_14equal_to_valueIiEEEEEEE10hipError_tPvRmT3_T4_T5_T6_T7_T9_mT8_P12ihipStream_tbDpT10_ENKUlT_T0_E_clISt17integral_constantIbLb1EES18_EEDaS13_S14_EUlS13_E_NS1_11comp_targetILNS1_3genE8ELNS1_11target_archE1030ELNS1_3gpuE2ELNS1_3repE0EEENS1_30default_config_static_selectorELNS0_4arch9wavefront6targetE0EEEvT1_.num_named_barrier, 0
	.set _ZN7rocprim17ROCPRIM_400000_NS6detail17trampoline_kernelINS0_14default_configENS1_25partition_config_selectorILNS1_17partition_subalgoE6EiNS0_10empty_typeEbEEZZNS1_14partition_implILS5_6ELb0ES3_mN6thrust23THRUST_200600_302600_NS6detail15normal_iteratorINSA_10device_ptrIiEEEEPS6_SG_NS0_5tupleIJSF_S6_EEENSH_IJSG_SG_EEES6_PlJNSB_9not_fun_tINSB_14equal_to_valueIiEEEEEEE10hipError_tPvRmT3_T4_T5_T6_T7_T9_mT8_P12ihipStream_tbDpT10_ENKUlT_T0_E_clISt17integral_constantIbLb1EES18_EEDaS13_S14_EUlS13_E_NS1_11comp_targetILNS1_3genE8ELNS1_11target_archE1030ELNS1_3gpuE2ELNS1_3repE0EEENS1_30default_config_static_selectorELNS0_4arch9wavefront6targetE0EEEvT1_.private_seg_size, 0
	.set _ZN7rocprim17ROCPRIM_400000_NS6detail17trampoline_kernelINS0_14default_configENS1_25partition_config_selectorILNS1_17partition_subalgoE6EiNS0_10empty_typeEbEEZZNS1_14partition_implILS5_6ELb0ES3_mN6thrust23THRUST_200600_302600_NS6detail15normal_iteratorINSA_10device_ptrIiEEEEPS6_SG_NS0_5tupleIJSF_S6_EEENSH_IJSG_SG_EEES6_PlJNSB_9not_fun_tINSB_14equal_to_valueIiEEEEEEE10hipError_tPvRmT3_T4_T5_T6_T7_T9_mT8_P12ihipStream_tbDpT10_ENKUlT_T0_E_clISt17integral_constantIbLb1EES18_EEDaS13_S14_EUlS13_E_NS1_11comp_targetILNS1_3genE8ELNS1_11target_archE1030ELNS1_3gpuE2ELNS1_3repE0EEENS1_30default_config_static_selectorELNS0_4arch9wavefront6targetE0EEEvT1_.uses_vcc, 0
	.set _ZN7rocprim17ROCPRIM_400000_NS6detail17trampoline_kernelINS0_14default_configENS1_25partition_config_selectorILNS1_17partition_subalgoE6EiNS0_10empty_typeEbEEZZNS1_14partition_implILS5_6ELb0ES3_mN6thrust23THRUST_200600_302600_NS6detail15normal_iteratorINSA_10device_ptrIiEEEEPS6_SG_NS0_5tupleIJSF_S6_EEENSH_IJSG_SG_EEES6_PlJNSB_9not_fun_tINSB_14equal_to_valueIiEEEEEEE10hipError_tPvRmT3_T4_T5_T6_T7_T9_mT8_P12ihipStream_tbDpT10_ENKUlT_T0_E_clISt17integral_constantIbLb1EES18_EEDaS13_S14_EUlS13_E_NS1_11comp_targetILNS1_3genE8ELNS1_11target_archE1030ELNS1_3gpuE2ELNS1_3repE0EEENS1_30default_config_static_selectorELNS0_4arch9wavefront6targetE0EEEvT1_.uses_flat_scratch, 0
	.set _ZN7rocprim17ROCPRIM_400000_NS6detail17trampoline_kernelINS0_14default_configENS1_25partition_config_selectorILNS1_17partition_subalgoE6EiNS0_10empty_typeEbEEZZNS1_14partition_implILS5_6ELb0ES3_mN6thrust23THRUST_200600_302600_NS6detail15normal_iteratorINSA_10device_ptrIiEEEEPS6_SG_NS0_5tupleIJSF_S6_EEENSH_IJSG_SG_EEES6_PlJNSB_9not_fun_tINSB_14equal_to_valueIiEEEEEEE10hipError_tPvRmT3_T4_T5_T6_T7_T9_mT8_P12ihipStream_tbDpT10_ENKUlT_T0_E_clISt17integral_constantIbLb1EES18_EEDaS13_S14_EUlS13_E_NS1_11comp_targetILNS1_3genE8ELNS1_11target_archE1030ELNS1_3gpuE2ELNS1_3repE0EEENS1_30default_config_static_selectorELNS0_4arch9wavefront6targetE0EEEvT1_.has_dyn_sized_stack, 0
	.set _ZN7rocprim17ROCPRIM_400000_NS6detail17trampoline_kernelINS0_14default_configENS1_25partition_config_selectorILNS1_17partition_subalgoE6EiNS0_10empty_typeEbEEZZNS1_14partition_implILS5_6ELb0ES3_mN6thrust23THRUST_200600_302600_NS6detail15normal_iteratorINSA_10device_ptrIiEEEEPS6_SG_NS0_5tupleIJSF_S6_EEENSH_IJSG_SG_EEES6_PlJNSB_9not_fun_tINSB_14equal_to_valueIiEEEEEEE10hipError_tPvRmT3_T4_T5_T6_T7_T9_mT8_P12ihipStream_tbDpT10_ENKUlT_T0_E_clISt17integral_constantIbLb1EES18_EEDaS13_S14_EUlS13_E_NS1_11comp_targetILNS1_3genE8ELNS1_11target_archE1030ELNS1_3gpuE2ELNS1_3repE0EEENS1_30default_config_static_selectorELNS0_4arch9wavefront6targetE0EEEvT1_.has_recursion, 0
	.set _ZN7rocprim17ROCPRIM_400000_NS6detail17trampoline_kernelINS0_14default_configENS1_25partition_config_selectorILNS1_17partition_subalgoE6EiNS0_10empty_typeEbEEZZNS1_14partition_implILS5_6ELb0ES3_mN6thrust23THRUST_200600_302600_NS6detail15normal_iteratorINSA_10device_ptrIiEEEEPS6_SG_NS0_5tupleIJSF_S6_EEENSH_IJSG_SG_EEES6_PlJNSB_9not_fun_tINSB_14equal_to_valueIiEEEEEEE10hipError_tPvRmT3_T4_T5_T6_T7_T9_mT8_P12ihipStream_tbDpT10_ENKUlT_T0_E_clISt17integral_constantIbLb1EES18_EEDaS13_S14_EUlS13_E_NS1_11comp_targetILNS1_3genE8ELNS1_11target_archE1030ELNS1_3gpuE2ELNS1_3repE0EEENS1_30default_config_static_selectorELNS0_4arch9wavefront6targetE0EEEvT1_.has_indirect_call, 0
	.section	.AMDGPU.csdata,"",@progbits
; Kernel info:
; codeLenInByte = 0
; TotalNumSgprs: 0
; NumVgprs: 0
; ScratchSize: 0
; MemoryBound: 0
; FloatMode: 240
; IeeeMode: 1
; LDSByteSize: 0 bytes/workgroup (compile time only)
; SGPRBlocks: 0
; VGPRBlocks: 0
; NumSGPRsForWavesPerEU: 1
; NumVGPRsForWavesPerEU: 1
; Occupancy: 16
; WaveLimiterHint : 0
; COMPUTE_PGM_RSRC2:SCRATCH_EN: 0
; COMPUTE_PGM_RSRC2:USER_SGPR: 2
; COMPUTE_PGM_RSRC2:TRAP_HANDLER: 0
; COMPUTE_PGM_RSRC2:TGID_X_EN: 1
; COMPUTE_PGM_RSRC2:TGID_Y_EN: 0
; COMPUTE_PGM_RSRC2:TGID_Z_EN: 0
; COMPUTE_PGM_RSRC2:TIDIG_COMP_CNT: 0
	.section	.text._ZN7rocprim17ROCPRIM_400000_NS6detail17trampoline_kernelINS0_14default_configENS1_25partition_config_selectorILNS1_17partition_subalgoE6EiNS0_10empty_typeEbEEZZNS1_14partition_implILS5_6ELb0ES3_mN6thrust23THRUST_200600_302600_NS6detail15normal_iteratorINSA_10device_ptrIiEEEEPS6_SG_NS0_5tupleIJSF_S6_EEENSH_IJSG_SG_EEES6_PlJNSB_9not_fun_tINSB_14equal_to_valueIiEEEEEEE10hipError_tPvRmT3_T4_T5_T6_T7_T9_mT8_P12ihipStream_tbDpT10_ENKUlT_T0_E_clISt17integral_constantIbLb1EES17_IbLb0EEEEDaS13_S14_EUlS13_E_NS1_11comp_targetILNS1_3genE0ELNS1_11target_archE4294967295ELNS1_3gpuE0ELNS1_3repE0EEENS1_30default_config_static_selectorELNS0_4arch9wavefront6targetE0EEEvT1_,"axG",@progbits,_ZN7rocprim17ROCPRIM_400000_NS6detail17trampoline_kernelINS0_14default_configENS1_25partition_config_selectorILNS1_17partition_subalgoE6EiNS0_10empty_typeEbEEZZNS1_14partition_implILS5_6ELb0ES3_mN6thrust23THRUST_200600_302600_NS6detail15normal_iteratorINSA_10device_ptrIiEEEEPS6_SG_NS0_5tupleIJSF_S6_EEENSH_IJSG_SG_EEES6_PlJNSB_9not_fun_tINSB_14equal_to_valueIiEEEEEEE10hipError_tPvRmT3_T4_T5_T6_T7_T9_mT8_P12ihipStream_tbDpT10_ENKUlT_T0_E_clISt17integral_constantIbLb1EES17_IbLb0EEEEDaS13_S14_EUlS13_E_NS1_11comp_targetILNS1_3genE0ELNS1_11target_archE4294967295ELNS1_3gpuE0ELNS1_3repE0EEENS1_30default_config_static_selectorELNS0_4arch9wavefront6targetE0EEEvT1_,comdat
	.protected	_ZN7rocprim17ROCPRIM_400000_NS6detail17trampoline_kernelINS0_14default_configENS1_25partition_config_selectorILNS1_17partition_subalgoE6EiNS0_10empty_typeEbEEZZNS1_14partition_implILS5_6ELb0ES3_mN6thrust23THRUST_200600_302600_NS6detail15normal_iteratorINSA_10device_ptrIiEEEEPS6_SG_NS0_5tupleIJSF_S6_EEENSH_IJSG_SG_EEES6_PlJNSB_9not_fun_tINSB_14equal_to_valueIiEEEEEEE10hipError_tPvRmT3_T4_T5_T6_T7_T9_mT8_P12ihipStream_tbDpT10_ENKUlT_T0_E_clISt17integral_constantIbLb1EES17_IbLb0EEEEDaS13_S14_EUlS13_E_NS1_11comp_targetILNS1_3genE0ELNS1_11target_archE4294967295ELNS1_3gpuE0ELNS1_3repE0EEENS1_30default_config_static_selectorELNS0_4arch9wavefront6targetE0EEEvT1_ ; -- Begin function _ZN7rocprim17ROCPRIM_400000_NS6detail17trampoline_kernelINS0_14default_configENS1_25partition_config_selectorILNS1_17partition_subalgoE6EiNS0_10empty_typeEbEEZZNS1_14partition_implILS5_6ELb0ES3_mN6thrust23THRUST_200600_302600_NS6detail15normal_iteratorINSA_10device_ptrIiEEEEPS6_SG_NS0_5tupleIJSF_S6_EEENSH_IJSG_SG_EEES6_PlJNSB_9not_fun_tINSB_14equal_to_valueIiEEEEEEE10hipError_tPvRmT3_T4_T5_T6_T7_T9_mT8_P12ihipStream_tbDpT10_ENKUlT_T0_E_clISt17integral_constantIbLb1EES17_IbLb0EEEEDaS13_S14_EUlS13_E_NS1_11comp_targetILNS1_3genE0ELNS1_11target_archE4294967295ELNS1_3gpuE0ELNS1_3repE0EEENS1_30default_config_static_selectorELNS0_4arch9wavefront6targetE0EEEvT1_
	.globl	_ZN7rocprim17ROCPRIM_400000_NS6detail17trampoline_kernelINS0_14default_configENS1_25partition_config_selectorILNS1_17partition_subalgoE6EiNS0_10empty_typeEbEEZZNS1_14partition_implILS5_6ELb0ES3_mN6thrust23THRUST_200600_302600_NS6detail15normal_iteratorINSA_10device_ptrIiEEEEPS6_SG_NS0_5tupleIJSF_S6_EEENSH_IJSG_SG_EEES6_PlJNSB_9not_fun_tINSB_14equal_to_valueIiEEEEEEE10hipError_tPvRmT3_T4_T5_T6_T7_T9_mT8_P12ihipStream_tbDpT10_ENKUlT_T0_E_clISt17integral_constantIbLb1EES17_IbLb0EEEEDaS13_S14_EUlS13_E_NS1_11comp_targetILNS1_3genE0ELNS1_11target_archE4294967295ELNS1_3gpuE0ELNS1_3repE0EEENS1_30default_config_static_selectorELNS0_4arch9wavefront6targetE0EEEvT1_
	.p2align	8
	.type	_ZN7rocprim17ROCPRIM_400000_NS6detail17trampoline_kernelINS0_14default_configENS1_25partition_config_selectorILNS1_17partition_subalgoE6EiNS0_10empty_typeEbEEZZNS1_14partition_implILS5_6ELb0ES3_mN6thrust23THRUST_200600_302600_NS6detail15normal_iteratorINSA_10device_ptrIiEEEEPS6_SG_NS0_5tupleIJSF_S6_EEENSH_IJSG_SG_EEES6_PlJNSB_9not_fun_tINSB_14equal_to_valueIiEEEEEEE10hipError_tPvRmT3_T4_T5_T6_T7_T9_mT8_P12ihipStream_tbDpT10_ENKUlT_T0_E_clISt17integral_constantIbLb1EES17_IbLb0EEEEDaS13_S14_EUlS13_E_NS1_11comp_targetILNS1_3genE0ELNS1_11target_archE4294967295ELNS1_3gpuE0ELNS1_3repE0EEENS1_30default_config_static_selectorELNS0_4arch9wavefront6targetE0EEEvT1_,@function
_ZN7rocprim17ROCPRIM_400000_NS6detail17trampoline_kernelINS0_14default_configENS1_25partition_config_selectorILNS1_17partition_subalgoE6EiNS0_10empty_typeEbEEZZNS1_14partition_implILS5_6ELb0ES3_mN6thrust23THRUST_200600_302600_NS6detail15normal_iteratorINSA_10device_ptrIiEEEEPS6_SG_NS0_5tupleIJSF_S6_EEENSH_IJSG_SG_EEES6_PlJNSB_9not_fun_tINSB_14equal_to_valueIiEEEEEEE10hipError_tPvRmT3_T4_T5_T6_T7_T9_mT8_P12ihipStream_tbDpT10_ENKUlT_T0_E_clISt17integral_constantIbLb1EES17_IbLb0EEEEDaS13_S14_EUlS13_E_NS1_11comp_targetILNS1_3genE0ELNS1_11target_archE4294967295ELNS1_3gpuE0ELNS1_3repE0EEENS1_30default_config_static_selectorELNS0_4arch9wavefront6targetE0EEEvT1_: ; @_ZN7rocprim17ROCPRIM_400000_NS6detail17trampoline_kernelINS0_14default_configENS1_25partition_config_selectorILNS1_17partition_subalgoE6EiNS0_10empty_typeEbEEZZNS1_14partition_implILS5_6ELb0ES3_mN6thrust23THRUST_200600_302600_NS6detail15normal_iteratorINSA_10device_ptrIiEEEEPS6_SG_NS0_5tupleIJSF_S6_EEENSH_IJSG_SG_EEES6_PlJNSB_9not_fun_tINSB_14equal_to_valueIiEEEEEEE10hipError_tPvRmT3_T4_T5_T6_T7_T9_mT8_P12ihipStream_tbDpT10_ENKUlT_T0_E_clISt17integral_constantIbLb1EES17_IbLb0EEEEDaS13_S14_EUlS13_E_NS1_11comp_targetILNS1_3genE0ELNS1_11target_archE4294967295ELNS1_3gpuE0ELNS1_3repE0EEENS1_30default_config_static_selectorELNS0_4arch9wavefront6targetE0EEEvT1_
; %bb.0:
	.section	.rodata,"a",@progbits
	.p2align	6, 0x0
	.amdhsa_kernel _ZN7rocprim17ROCPRIM_400000_NS6detail17trampoline_kernelINS0_14default_configENS1_25partition_config_selectorILNS1_17partition_subalgoE6EiNS0_10empty_typeEbEEZZNS1_14partition_implILS5_6ELb0ES3_mN6thrust23THRUST_200600_302600_NS6detail15normal_iteratorINSA_10device_ptrIiEEEEPS6_SG_NS0_5tupleIJSF_S6_EEENSH_IJSG_SG_EEES6_PlJNSB_9not_fun_tINSB_14equal_to_valueIiEEEEEEE10hipError_tPvRmT3_T4_T5_T6_T7_T9_mT8_P12ihipStream_tbDpT10_ENKUlT_T0_E_clISt17integral_constantIbLb1EES17_IbLb0EEEEDaS13_S14_EUlS13_E_NS1_11comp_targetILNS1_3genE0ELNS1_11target_archE4294967295ELNS1_3gpuE0ELNS1_3repE0EEENS1_30default_config_static_selectorELNS0_4arch9wavefront6targetE0EEEvT1_
		.amdhsa_group_segment_fixed_size 0
		.amdhsa_private_segment_fixed_size 0
		.amdhsa_kernarg_size 120
		.amdhsa_user_sgpr_count 2
		.amdhsa_user_sgpr_dispatch_ptr 0
		.amdhsa_user_sgpr_queue_ptr 0
		.amdhsa_user_sgpr_kernarg_segment_ptr 1
		.amdhsa_user_sgpr_dispatch_id 0
		.amdhsa_user_sgpr_private_segment_size 0
		.amdhsa_wavefront_size32 1
		.amdhsa_uses_dynamic_stack 0
		.amdhsa_enable_private_segment 0
		.amdhsa_system_sgpr_workgroup_id_x 1
		.amdhsa_system_sgpr_workgroup_id_y 0
		.amdhsa_system_sgpr_workgroup_id_z 0
		.amdhsa_system_sgpr_workgroup_info 0
		.amdhsa_system_vgpr_workitem_id 0
		.amdhsa_next_free_vgpr 1
		.amdhsa_next_free_sgpr 1
		.amdhsa_reserve_vcc 0
		.amdhsa_float_round_mode_32 0
		.amdhsa_float_round_mode_16_64 0
		.amdhsa_float_denorm_mode_32 3
		.amdhsa_float_denorm_mode_16_64 3
		.amdhsa_fp16_overflow 0
		.amdhsa_workgroup_processor_mode 1
		.amdhsa_memory_ordered 1
		.amdhsa_forward_progress 1
		.amdhsa_inst_pref_size 0
		.amdhsa_round_robin_scheduling 0
		.amdhsa_exception_fp_ieee_invalid_op 0
		.amdhsa_exception_fp_denorm_src 0
		.amdhsa_exception_fp_ieee_div_zero 0
		.amdhsa_exception_fp_ieee_overflow 0
		.amdhsa_exception_fp_ieee_underflow 0
		.amdhsa_exception_fp_ieee_inexact 0
		.amdhsa_exception_int_div_zero 0
	.end_amdhsa_kernel
	.section	.text._ZN7rocprim17ROCPRIM_400000_NS6detail17trampoline_kernelINS0_14default_configENS1_25partition_config_selectorILNS1_17partition_subalgoE6EiNS0_10empty_typeEbEEZZNS1_14partition_implILS5_6ELb0ES3_mN6thrust23THRUST_200600_302600_NS6detail15normal_iteratorINSA_10device_ptrIiEEEEPS6_SG_NS0_5tupleIJSF_S6_EEENSH_IJSG_SG_EEES6_PlJNSB_9not_fun_tINSB_14equal_to_valueIiEEEEEEE10hipError_tPvRmT3_T4_T5_T6_T7_T9_mT8_P12ihipStream_tbDpT10_ENKUlT_T0_E_clISt17integral_constantIbLb1EES17_IbLb0EEEEDaS13_S14_EUlS13_E_NS1_11comp_targetILNS1_3genE0ELNS1_11target_archE4294967295ELNS1_3gpuE0ELNS1_3repE0EEENS1_30default_config_static_selectorELNS0_4arch9wavefront6targetE0EEEvT1_,"axG",@progbits,_ZN7rocprim17ROCPRIM_400000_NS6detail17trampoline_kernelINS0_14default_configENS1_25partition_config_selectorILNS1_17partition_subalgoE6EiNS0_10empty_typeEbEEZZNS1_14partition_implILS5_6ELb0ES3_mN6thrust23THRUST_200600_302600_NS6detail15normal_iteratorINSA_10device_ptrIiEEEEPS6_SG_NS0_5tupleIJSF_S6_EEENSH_IJSG_SG_EEES6_PlJNSB_9not_fun_tINSB_14equal_to_valueIiEEEEEEE10hipError_tPvRmT3_T4_T5_T6_T7_T9_mT8_P12ihipStream_tbDpT10_ENKUlT_T0_E_clISt17integral_constantIbLb1EES17_IbLb0EEEEDaS13_S14_EUlS13_E_NS1_11comp_targetILNS1_3genE0ELNS1_11target_archE4294967295ELNS1_3gpuE0ELNS1_3repE0EEENS1_30default_config_static_selectorELNS0_4arch9wavefront6targetE0EEEvT1_,comdat
.Lfunc_end485:
	.size	_ZN7rocprim17ROCPRIM_400000_NS6detail17trampoline_kernelINS0_14default_configENS1_25partition_config_selectorILNS1_17partition_subalgoE6EiNS0_10empty_typeEbEEZZNS1_14partition_implILS5_6ELb0ES3_mN6thrust23THRUST_200600_302600_NS6detail15normal_iteratorINSA_10device_ptrIiEEEEPS6_SG_NS0_5tupleIJSF_S6_EEENSH_IJSG_SG_EEES6_PlJNSB_9not_fun_tINSB_14equal_to_valueIiEEEEEEE10hipError_tPvRmT3_T4_T5_T6_T7_T9_mT8_P12ihipStream_tbDpT10_ENKUlT_T0_E_clISt17integral_constantIbLb1EES17_IbLb0EEEEDaS13_S14_EUlS13_E_NS1_11comp_targetILNS1_3genE0ELNS1_11target_archE4294967295ELNS1_3gpuE0ELNS1_3repE0EEENS1_30default_config_static_selectorELNS0_4arch9wavefront6targetE0EEEvT1_, .Lfunc_end485-_ZN7rocprim17ROCPRIM_400000_NS6detail17trampoline_kernelINS0_14default_configENS1_25partition_config_selectorILNS1_17partition_subalgoE6EiNS0_10empty_typeEbEEZZNS1_14partition_implILS5_6ELb0ES3_mN6thrust23THRUST_200600_302600_NS6detail15normal_iteratorINSA_10device_ptrIiEEEEPS6_SG_NS0_5tupleIJSF_S6_EEENSH_IJSG_SG_EEES6_PlJNSB_9not_fun_tINSB_14equal_to_valueIiEEEEEEE10hipError_tPvRmT3_T4_T5_T6_T7_T9_mT8_P12ihipStream_tbDpT10_ENKUlT_T0_E_clISt17integral_constantIbLb1EES17_IbLb0EEEEDaS13_S14_EUlS13_E_NS1_11comp_targetILNS1_3genE0ELNS1_11target_archE4294967295ELNS1_3gpuE0ELNS1_3repE0EEENS1_30default_config_static_selectorELNS0_4arch9wavefront6targetE0EEEvT1_
                                        ; -- End function
	.set _ZN7rocprim17ROCPRIM_400000_NS6detail17trampoline_kernelINS0_14default_configENS1_25partition_config_selectorILNS1_17partition_subalgoE6EiNS0_10empty_typeEbEEZZNS1_14partition_implILS5_6ELb0ES3_mN6thrust23THRUST_200600_302600_NS6detail15normal_iteratorINSA_10device_ptrIiEEEEPS6_SG_NS0_5tupleIJSF_S6_EEENSH_IJSG_SG_EEES6_PlJNSB_9not_fun_tINSB_14equal_to_valueIiEEEEEEE10hipError_tPvRmT3_T4_T5_T6_T7_T9_mT8_P12ihipStream_tbDpT10_ENKUlT_T0_E_clISt17integral_constantIbLb1EES17_IbLb0EEEEDaS13_S14_EUlS13_E_NS1_11comp_targetILNS1_3genE0ELNS1_11target_archE4294967295ELNS1_3gpuE0ELNS1_3repE0EEENS1_30default_config_static_selectorELNS0_4arch9wavefront6targetE0EEEvT1_.num_vgpr, 0
	.set _ZN7rocprim17ROCPRIM_400000_NS6detail17trampoline_kernelINS0_14default_configENS1_25partition_config_selectorILNS1_17partition_subalgoE6EiNS0_10empty_typeEbEEZZNS1_14partition_implILS5_6ELb0ES3_mN6thrust23THRUST_200600_302600_NS6detail15normal_iteratorINSA_10device_ptrIiEEEEPS6_SG_NS0_5tupleIJSF_S6_EEENSH_IJSG_SG_EEES6_PlJNSB_9not_fun_tINSB_14equal_to_valueIiEEEEEEE10hipError_tPvRmT3_T4_T5_T6_T7_T9_mT8_P12ihipStream_tbDpT10_ENKUlT_T0_E_clISt17integral_constantIbLb1EES17_IbLb0EEEEDaS13_S14_EUlS13_E_NS1_11comp_targetILNS1_3genE0ELNS1_11target_archE4294967295ELNS1_3gpuE0ELNS1_3repE0EEENS1_30default_config_static_selectorELNS0_4arch9wavefront6targetE0EEEvT1_.num_agpr, 0
	.set _ZN7rocprim17ROCPRIM_400000_NS6detail17trampoline_kernelINS0_14default_configENS1_25partition_config_selectorILNS1_17partition_subalgoE6EiNS0_10empty_typeEbEEZZNS1_14partition_implILS5_6ELb0ES3_mN6thrust23THRUST_200600_302600_NS6detail15normal_iteratorINSA_10device_ptrIiEEEEPS6_SG_NS0_5tupleIJSF_S6_EEENSH_IJSG_SG_EEES6_PlJNSB_9not_fun_tINSB_14equal_to_valueIiEEEEEEE10hipError_tPvRmT3_T4_T5_T6_T7_T9_mT8_P12ihipStream_tbDpT10_ENKUlT_T0_E_clISt17integral_constantIbLb1EES17_IbLb0EEEEDaS13_S14_EUlS13_E_NS1_11comp_targetILNS1_3genE0ELNS1_11target_archE4294967295ELNS1_3gpuE0ELNS1_3repE0EEENS1_30default_config_static_selectorELNS0_4arch9wavefront6targetE0EEEvT1_.numbered_sgpr, 0
	.set _ZN7rocprim17ROCPRIM_400000_NS6detail17trampoline_kernelINS0_14default_configENS1_25partition_config_selectorILNS1_17partition_subalgoE6EiNS0_10empty_typeEbEEZZNS1_14partition_implILS5_6ELb0ES3_mN6thrust23THRUST_200600_302600_NS6detail15normal_iteratorINSA_10device_ptrIiEEEEPS6_SG_NS0_5tupleIJSF_S6_EEENSH_IJSG_SG_EEES6_PlJNSB_9not_fun_tINSB_14equal_to_valueIiEEEEEEE10hipError_tPvRmT3_T4_T5_T6_T7_T9_mT8_P12ihipStream_tbDpT10_ENKUlT_T0_E_clISt17integral_constantIbLb1EES17_IbLb0EEEEDaS13_S14_EUlS13_E_NS1_11comp_targetILNS1_3genE0ELNS1_11target_archE4294967295ELNS1_3gpuE0ELNS1_3repE0EEENS1_30default_config_static_selectorELNS0_4arch9wavefront6targetE0EEEvT1_.num_named_barrier, 0
	.set _ZN7rocprim17ROCPRIM_400000_NS6detail17trampoline_kernelINS0_14default_configENS1_25partition_config_selectorILNS1_17partition_subalgoE6EiNS0_10empty_typeEbEEZZNS1_14partition_implILS5_6ELb0ES3_mN6thrust23THRUST_200600_302600_NS6detail15normal_iteratorINSA_10device_ptrIiEEEEPS6_SG_NS0_5tupleIJSF_S6_EEENSH_IJSG_SG_EEES6_PlJNSB_9not_fun_tINSB_14equal_to_valueIiEEEEEEE10hipError_tPvRmT3_T4_T5_T6_T7_T9_mT8_P12ihipStream_tbDpT10_ENKUlT_T0_E_clISt17integral_constantIbLb1EES17_IbLb0EEEEDaS13_S14_EUlS13_E_NS1_11comp_targetILNS1_3genE0ELNS1_11target_archE4294967295ELNS1_3gpuE0ELNS1_3repE0EEENS1_30default_config_static_selectorELNS0_4arch9wavefront6targetE0EEEvT1_.private_seg_size, 0
	.set _ZN7rocprim17ROCPRIM_400000_NS6detail17trampoline_kernelINS0_14default_configENS1_25partition_config_selectorILNS1_17partition_subalgoE6EiNS0_10empty_typeEbEEZZNS1_14partition_implILS5_6ELb0ES3_mN6thrust23THRUST_200600_302600_NS6detail15normal_iteratorINSA_10device_ptrIiEEEEPS6_SG_NS0_5tupleIJSF_S6_EEENSH_IJSG_SG_EEES6_PlJNSB_9not_fun_tINSB_14equal_to_valueIiEEEEEEE10hipError_tPvRmT3_T4_T5_T6_T7_T9_mT8_P12ihipStream_tbDpT10_ENKUlT_T0_E_clISt17integral_constantIbLb1EES17_IbLb0EEEEDaS13_S14_EUlS13_E_NS1_11comp_targetILNS1_3genE0ELNS1_11target_archE4294967295ELNS1_3gpuE0ELNS1_3repE0EEENS1_30default_config_static_selectorELNS0_4arch9wavefront6targetE0EEEvT1_.uses_vcc, 0
	.set _ZN7rocprim17ROCPRIM_400000_NS6detail17trampoline_kernelINS0_14default_configENS1_25partition_config_selectorILNS1_17partition_subalgoE6EiNS0_10empty_typeEbEEZZNS1_14partition_implILS5_6ELb0ES3_mN6thrust23THRUST_200600_302600_NS6detail15normal_iteratorINSA_10device_ptrIiEEEEPS6_SG_NS0_5tupleIJSF_S6_EEENSH_IJSG_SG_EEES6_PlJNSB_9not_fun_tINSB_14equal_to_valueIiEEEEEEE10hipError_tPvRmT3_T4_T5_T6_T7_T9_mT8_P12ihipStream_tbDpT10_ENKUlT_T0_E_clISt17integral_constantIbLb1EES17_IbLb0EEEEDaS13_S14_EUlS13_E_NS1_11comp_targetILNS1_3genE0ELNS1_11target_archE4294967295ELNS1_3gpuE0ELNS1_3repE0EEENS1_30default_config_static_selectorELNS0_4arch9wavefront6targetE0EEEvT1_.uses_flat_scratch, 0
	.set _ZN7rocprim17ROCPRIM_400000_NS6detail17trampoline_kernelINS0_14default_configENS1_25partition_config_selectorILNS1_17partition_subalgoE6EiNS0_10empty_typeEbEEZZNS1_14partition_implILS5_6ELb0ES3_mN6thrust23THRUST_200600_302600_NS6detail15normal_iteratorINSA_10device_ptrIiEEEEPS6_SG_NS0_5tupleIJSF_S6_EEENSH_IJSG_SG_EEES6_PlJNSB_9not_fun_tINSB_14equal_to_valueIiEEEEEEE10hipError_tPvRmT3_T4_T5_T6_T7_T9_mT8_P12ihipStream_tbDpT10_ENKUlT_T0_E_clISt17integral_constantIbLb1EES17_IbLb0EEEEDaS13_S14_EUlS13_E_NS1_11comp_targetILNS1_3genE0ELNS1_11target_archE4294967295ELNS1_3gpuE0ELNS1_3repE0EEENS1_30default_config_static_selectorELNS0_4arch9wavefront6targetE0EEEvT1_.has_dyn_sized_stack, 0
	.set _ZN7rocprim17ROCPRIM_400000_NS6detail17trampoline_kernelINS0_14default_configENS1_25partition_config_selectorILNS1_17partition_subalgoE6EiNS0_10empty_typeEbEEZZNS1_14partition_implILS5_6ELb0ES3_mN6thrust23THRUST_200600_302600_NS6detail15normal_iteratorINSA_10device_ptrIiEEEEPS6_SG_NS0_5tupleIJSF_S6_EEENSH_IJSG_SG_EEES6_PlJNSB_9not_fun_tINSB_14equal_to_valueIiEEEEEEE10hipError_tPvRmT3_T4_T5_T6_T7_T9_mT8_P12ihipStream_tbDpT10_ENKUlT_T0_E_clISt17integral_constantIbLb1EES17_IbLb0EEEEDaS13_S14_EUlS13_E_NS1_11comp_targetILNS1_3genE0ELNS1_11target_archE4294967295ELNS1_3gpuE0ELNS1_3repE0EEENS1_30default_config_static_selectorELNS0_4arch9wavefront6targetE0EEEvT1_.has_recursion, 0
	.set _ZN7rocprim17ROCPRIM_400000_NS6detail17trampoline_kernelINS0_14default_configENS1_25partition_config_selectorILNS1_17partition_subalgoE6EiNS0_10empty_typeEbEEZZNS1_14partition_implILS5_6ELb0ES3_mN6thrust23THRUST_200600_302600_NS6detail15normal_iteratorINSA_10device_ptrIiEEEEPS6_SG_NS0_5tupleIJSF_S6_EEENSH_IJSG_SG_EEES6_PlJNSB_9not_fun_tINSB_14equal_to_valueIiEEEEEEE10hipError_tPvRmT3_T4_T5_T6_T7_T9_mT8_P12ihipStream_tbDpT10_ENKUlT_T0_E_clISt17integral_constantIbLb1EES17_IbLb0EEEEDaS13_S14_EUlS13_E_NS1_11comp_targetILNS1_3genE0ELNS1_11target_archE4294967295ELNS1_3gpuE0ELNS1_3repE0EEENS1_30default_config_static_selectorELNS0_4arch9wavefront6targetE0EEEvT1_.has_indirect_call, 0
	.section	.AMDGPU.csdata,"",@progbits
; Kernel info:
; codeLenInByte = 0
; TotalNumSgprs: 0
; NumVgprs: 0
; ScratchSize: 0
; MemoryBound: 0
; FloatMode: 240
; IeeeMode: 1
; LDSByteSize: 0 bytes/workgroup (compile time only)
; SGPRBlocks: 0
; VGPRBlocks: 0
; NumSGPRsForWavesPerEU: 1
; NumVGPRsForWavesPerEU: 1
; Occupancy: 16
; WaveLimiterHint : 0
; COMPUTE_PGM_RSRC2:SCRATCH_EN: 0
; COMPUTE_PGM_RSRC2:USER_SGPR: 2
; COMPUTE_PGM_RSRC2:TRAP_HANDLER: 0
; COMPUTE_PGM_RSRC2:TGID_X_EN: 1
; COMPUTE_PGM_RSRC2:TGID_Y_EN: 0
; COMPUTE_PGM_RSRC2:TGID_Z_EN: 0
; COMPUTE_PGM_RSRC2:TIDIG_COMP_CNT: 0
	.section	.text._ZN7rocprim17ROCPRIM_400000_NS6detail17trampoline_kernelINS0_14default_configENS1_25partition_config_selectorILNS1_17partition_subalgoE6EiNS0_10empty_typeEbEEZZNS1_14partition_implILS5_6ELb0ES3_mN6thrust23THRUST_200600_302600_NS6detail15normal_iteratorINSA_10device_ptrIiEEEEPS6_SG_NS0_5tupleIJSF_S6_EEENSH_IJSG_SG_EEES6_PlJNSB_9not_fun_tINSB_14equal_to_valueIiEEEEEEE10hipError_tPvRmT3_T4_T5_T6_T7_T9_mT8_P12ihipStream_tbDpT10_ENKUlT_T0_E_clISt17integral_constantIbLb1EES17_IbLb0EEEEDaS13_S14_EUlS13_E_NS1_11comp_targetILNS1_3genE5ELNS1_11target_archE942ELNS1_3gpuE9ELNS1_3repE0EEENS1_30default_config_static_selectorELNS0_4arch9wavefront6targetE0EEEvT1_,"axG",@progbits,_ZN7rocprim17ROCPRIM_400000_NS6detail17trampoline_kernelINS0_14default_configENS1_25partition_config_selectorILNS1_17partition_subalgoE6EiNS0_10empty_typeEbEEZZNS1_14partition_implILS5_6ELb0ES3_mN6thrust23THRUST_200600_302600_NS6detail15normal_iteratorINSA_10device_ptrIiEEEEPS6_SG_NS0_5tupleIJSF_S6_EEENSH_IJSG_SG_EEES6_PlJNSB_9not_fun_tINSB_14equal_to_valueIiEEEEEEE10hipError_tPvRmT3_T4_T5_T6_T7_T9_mT8_P12ihipStream_tbDpT10_ENKUlT_T0_E_clISt17integral_constantIbLb1EES17_IbLb0EEEEDaS13_S14_EUlS13_E_NS1_11comp_targetILNS1_3genE5ELNS1_11target_archE942ELNS1_3gpuE9ELNS1_3repE0EEENS1_30default_config_static_selectorELNS0_4arch9wavefront6targetE0EEEvT1_,comdat
	.protected	_ZN7rocprim17ROCPRIM_400000_NS6detail17trampoline_kernelINS0_14default_configENS1_25partition_config_selectorILNS1_17partition_subalgoE6EiNS0_10empty_typeEbEEZZNS1_14partition_implILS5_6ELb0ES3_mN6thrust23THRUST_200600_302600_NS6detail15normal_iteratorINSA_10device_ptrIiEEEEPS6_SG_NS0_5tupleIJSF_S6_EEENSH_IJSG_SG_EEES6_PlJNSB_9not_fun_tINSB_14equal_to_valueIiEEEEEEE10hipError_tPvRmT3_T4_T5_T6_T7_T9_mT8_P12ihipStream_tbDpT10_ENKUlT_T0_E_clISt17integral_constantIbLb1EES17_IbLb0EEEEDaS13_S14_EUlS13_E_NS1_11comp_targetILNS1_3genE5ELNS1_11target_archE942ELNS1_3gpuE9ELNS1_3repE0EEENS1_30default_config_static_selectorELNS0_4arch9wavefront6targetE0EEEvT1_ ; -- Begin function _ZN7rocprim17ROCPRIM_400000_NS6detail17trampoline_kernelINS0_14default_configENS1_25partition_config_selectorILNS1_17partition_subalgoE6EiNS0_10empty_typeEbEEZZNS1_14partition_implILS5_6ELb0ES3_mN6thrust23THRUST_200600_302600_NS6detail15normal_iteratorINSA_10device_ptrIiEEEEPS6_SG_NS0_5tupleIJSF_S6_EEENSH_IJSG_SG_EEES6_PlJNSB_9not_fun_tINSB_14equal_to_valueIiEEEEEEE10hipError_tPvRmT3_T4_T5_T6_T7_T9_mT8_P12ihipStream_tbDpT10_ENKUlT_T0_E_clISt17integral_constantIbLb1EES17_IbLb0EEEEDaS13_S14_EUlS13_E_NS1_11comp_targetILNS1_3genE5ELNS1_11target_archE942ELNS1_3gpuE9ELNS1_3repE0EEENS1_30default_config_static_selectorELNS0_4arch9wavefront6targetE0EEEvT1_
	.globl	_ZN7rocprim17ROCPRIM_400000_NS6detail17trampoline_kernelINS0_14default_configENS1_25partition_config_selectorILNS1_17partition_subalgoE6EiNS0_10empty_typeEbEEZZNS1_14partition_implILS5_6ELb0ES3_mN6thrust23THRUST_200600_302600_NS6detail15normal_iteratorINSA_10device_ptrIiEEEEPS6_SG_NS0_5tupleIJSF_S6_EEENSH_IJSG_SG_EEES6_PlJNSB_9not_fun_tINSB_14equal_to_valueIiEEEEEEE10hipError_tPvRmT3_T4_T5_T6_T7_T9_mT8_P12ihipStream_tbDpT10_ENKUlT_T0_E_clISt17integral_constantIbLb1EES17_IbLb0EEEEDaS13_S14_EUlS13_E_NS1_11comp_targetILNS1_3genE5ELNS1_11target_archE942ELNS1_3gpuE9ELNS1_3repE0EEENS1_30default_config_static_selectorELNS0_4arch9wavefront6targetE0EEEvT1_
	.p2align	8
	.type	_ZN7rocprim17ROCPRIM_400000_NS6detail17trampoline_kernelINS0_14default_configENS1_25partition_config_selectorILNS1_17partition_subalgoE6EiNS0_10empty_typeEbEEZZNS1_14partition_implILS5_6ELb0ES3_mN6thrust23THRUST_200600_302600_NS6detail15normal_iteratorINSA_10device_ptrIiEEEEPS6_SG_NS0_5tupleIJSF_S6_EEENSH_IJSG_SG_EEES6_PlJNSB_9not_fun_tINSB_14equal_to_valueIiEEEEEEE10hipError_tPvRmT3_T4_T5_T6_T7_T9_mT8_P12ihipStream_tbDpT10_ENKUlT_T0_E_clISt17integral_constantIbLb1EES17_IbLb0EEEEDaS13_S14_EUlS13_E_NS1_11comp_targetILNS1_3genE5ELNS1_11target_archE942ELNS1_3gpuE9ELNS1_3repE0EEENS1_30default_config_static_selectorELNS0_4arch9wavefront6targetE0EEEvT1_,@function
_ZN7rocprim17ROCPRIM_400000_NS6detail17trampoline_kernelINS0_14default_configENS1_25partition_config_selectorILNS1_17partition_subalgoE6EiNS0_10empty_typeEbEEZZNS1_14partition_implILS5_6ELb0ES3_mN6thrust23THRUST_200600_302600_NS6detail15normal_iteratorINSA_10device_ptrIiEEEEPS6_SG_NS0_5tupleIJSF_S6_EEENSH_IJSG_SG_EEES6_PlJNSB_9not_fun_tINSB_14equal_to_valueIiEEEEEEE10hipError_tPvRmT3_T4_T5_T6_T7_T9_mT8_P12ihipStream_tbDpT10_ENKUlT_T0_E_clISt17integral_constantIbLb1EES17_IbLb0EEEEDaS13_S14_EUlS13_E_NS1_11comp_targetILNS1_3genE5ELNS1_11target_archE942ELNS1_3gpuE9ELNS1_3repE0EEENS1_30default_config_static_selectorELNS0_4arch9wavefront6targetE0EEEvT1_: ; @_ZN7rocprim17ROCPRIM_400000_NS6detail17trampoline_kernelINS0_14default_configENS1_25partition_config_selectorILNS1_17partition_subalgoE6EiNS0_10empty_typeEbEEZZNS1_14partition_implILS5_6ELb0ES3_mN6thrust23THRUST_200600_302600_NS6detail15normal_iteratorINSA_10device_ptrIiEEEEPS6_SG_NS0_5tupleIJSF_S6_EEENSH_IJSG_SG_EEES6_PlJNSB_9not_fun_tINSB_14equal_to_valueIiEEEEEEE10hipError_tPvRmT3_T4_T5_T6_T7_T9_mT8_P12ihipStream_tbDpT10_ENKUlT_T0_E_clISt17integral_constantIbLb1EES17_IbLb0EEEEDaS13_S14_EUlS13_E_NS1_11comp_targetILNS1_3genE5ELNS1_11target_archE942ELNS1_3gpuE9ELNS1_3repE0EEENS1_30default_config_static_selectorELNS0_4arch9wavefront6targetE0EEEvT1_
; %bb.0:
	.section	.rodata,"a",@progbits
	.p2align	6, 0x0
	.amdhsa_kernel _ZN7rocprim17ROCPRIM_400000_NS6detail17trampoline_kernelINS0_14default_configENS1_25partition_config_selectorILNS1_17partition_subalgoE6EiNS0_10empty_typeEbEEZZNS1_14partition_implILS5_6ELb0ES3_mN6thrust23THRUST_200600_302600_NS6detail15normal_iteratorINSA_10device_ptrIiEEEEPS6_SG_NS0_5tupleIJSF_S6_EEENSH_IJSG_SG_EEES6_PlJNSB_9not_fun_tINSB_14equal_to_valueIiEEEEEEE10hipError_tPvRmT3_T4_T5_T6_T7_T9_mT8_P12ihipStream_tbDpT10_ENKUlT_T0_E_clISt17integral_constantIbLb1EES17_IbLb0EEEEDaS13_S14_EUlS13_E_NS1_11comp_targetILNS1_3genE5ELNS1_11target_archE942ELNS1_3gpuE9ELNS1_3repE0EEENS1_30default_config_static_selectorELNS0_4arch9wavefront6targetE0EEEvT1_
		.amdhsa_group_segment_fixed_size 0
		.amdhsa_private_segment_fixed_size 0
		.amdhsa_kernarg_size 120
		.amdhsa_user_sgpr_count 2
		.amdhsa_user_sgpr_dispatch_ptr 0
		.amdhsa_user_sgpr_queue_ptr 0
		.amdhsa_user_sgpr_kernarg_segment_ptr 1
		.amdhsa_user_sgpr_dispatch_id 0
		.amdhsa_user_sgpr_private_segment_size 0
		.amdhsa_wavefront_size32 1
		.amdhsa_uses_dynamic_stack 0
		.amdhsa_enable_private_segment 0
		.amdhsa_system_sgpr_workgroup_id_x 1
		.amdhsa_system_sgpr_workgroup_id_y 0
		.amdhsa_system_sgpr_workgroup_id_z 0
		.amdhsa_system_sgpr_workgroup_info 0
		.amdhsa_system_vgpr_workitem_id 0
		.amdhsa_next_free_vgpr 1
		.amdhsa_next_free_sgpr 1
		.amdhsa_reserve_vcc 0
		.amdhsa_float_round_mode_32 0
		.amdhsa_float_round_mode_16_64 0
		.amdhsa_float_denorm_mode_32 3
		.amdhsa_float_denorm_mode_16_64 3
		.amdhsa_fp16_overflow 0
		.amdhsa_workgroup_processor_mode 1
		.amdhsa_memory_ordered 1
		.amdhsa_forward_progress 1
		.amdhsa_inst_pref_size 0
		.amdhsa_round_robin_scheduling 0
		.amdhsa_exception_fp_ieee_invalid_op 0
		.amdhsa_exception_fp_denorm_src 0
		.amdhsa_exception_fp_ieee_div_zero 0
		.amdhsa_exception_fp_ieee_overflow 0
		.amdhsa_exception_fp_ieee_underflow 0
		.amdhsa_exception_fp_ieee_inexact 0
		.amdhsa_exception_int_div_zero 0
	.end_amdhsa_kernel
	.section	.text._ZN7rocprim17ROCPRIM_400000_NS6detail17trampoline_kernelINS0_14default_configENS1_25partition_config_selectorILNS1_17partition_subalgoE6EiNS0_10empty_typeEbEEZZNS1_14partition_implILS5_6ELb0ES3_mN6thrust23THRUST_200600_302600_NS6detail15normal_iteratorINSA_10device_ptrIiEEEEPS6_SG_NS0_5tupleIJSF_S6_EEENSH_IJSG_SG_EEES6_PlJNSB_9not_fun_tINSB_14equal_to_valueIiEEEEEEE10hipError_tPvRmT3_T4_T5_T6_T7_T9_mT8_P12ihipStream_tbDpT10_ENKUlT_T0_E_clISt17integral_constantIbLb1EES17_IbLb0EEEEDaS13_S14_EUlS13_E_NS1_11comp_targetILNS1_3genE5ELNS1_11target_archE942ELNS1_3gpuE9ELNS1_3repE0EEENS1_30default_config_static_selectorELNS0_4arch9wavefront6targetE0EEEvT1_,"axG",@progbits,_ZN7rocprim17ROCPRIM_400000_NS6detail17trampoline_kernelINS0_14default_configENS1_25partition_config_selectorILNS1_17partition_subalgoE6EiNS0_10empty_typeEbEEZZNS1_14partition_implILS5_6ELb0ES3_mN6thrust23THRUST_200600_302600_NS6detail15normal_iteratorINSA_10device_ptrIiEEEEPS6_SG_NS0_5tupleIJSF_S6_EEENSH_IJSG_SG_EEES6_PlJNSB_9not_fun_tINSB_14equal_to_valueIiEEEEEEE10hipError_tPvRmT3_T4_T5_T6_T7_T9_mT8_P12ihipStream_tbDpT10_ENKUlT_T0_E_clISt17integral_constantIbLb1EES17_IbLb0EEEEDaS13_S14_EUlS13_E_NS1_11comp_targetILNS1_3genE5ELNS1_11target_archE942ELNS1_3gpuE9ELNS1_3repE0EEENS1_30default_config_static_selectorELNS0_4arch9wavefront6targetE0EEEvT1_,comdat
.Lfunc_end486:
	.size	_ZN7rocprim17ROCPRIM_400000_NS6detail17trampoline_kernelINS0_14default_configENS1_25partition_config_selectorILNS1_17partition_subalgoE6EiNS0_10empty_typeEbEEZZNS1_14partition_implILS5_6ELb0ES3_mN6thrust23THRUST_200600_302600_NS6detail15normal_iteratorINSA_10device_ptrIiEEEEPS6_SG_NS0_5tupleIJSF_S6_EEENSH_IJSG_SG_EEES6_PlJNSB_9not_fun_tINSB_14equal_to_valueIiEEEEEEE10hipError_tPvRmT3_T4_T5_T6_T7_T9_mT8_P12ihipStream_tbDpT10_ENKUlT_T0_E_clISt17integral_constantIbLb1EES17_IbLb0EEEEDaS13_S14_EUlS13_E_NS1_11comp_targetILNS1_3genE5ELNS1_11target_archE942ELNS1_3gpuE9ELNS1_3repE0EEENS1_30default_config_static_selectorELNS0_4arch9wavefront6targetE0EEEvT1_, .Lfunc_end486-_ZN7rocprim17ROCPRIM_400000_NS6detail17trampoline_kernelINS0_14default_configENS1_25partition_config_selectorILNS1_17partition_subalgoE6EiNS0_10empty_typeEbEEZZNS1_14partition_implILS5_6ELb0ES3_mN6thrust23THRUST_200600_302600_NS6detail15normal_iteratorINSA_10device_ptrIiEEEEPS6_SG_NS0_5tupleIJSF_S6_EEENSH_IJSG_SG_EEES6_PlJNSB_9not_fun_tINSB_14equal_to_valueIiEEEEEEE10hipError_tPvRmT3_T4_T5_T6_T7_T9_mT8_P12ihipStream_tbDpT10_ENKUlT_T0_E_clISt17integral_constantIbLb1EES17_IbLb0EEEEDaS13_S14_EUlS13_E_NS1_11comp_targetILNS1_3genE5ELNS1_11target_archE942ELNS1_3gpuE9ELNS1_3repE0EEENS1_30default_config_static_selectorELNS0_4arch9wavefront6targetE0EEEvT1_
                                        ; -- End function
	.set _ZN7rocprim17ROCPRIM_400000_NS6detail17trampoline_kernelINS0_14default_configENS1_25partition_config_selectorILNS1_17partition_subalgoE6EiNS0_10empty_typeEbEEZZNS1_14partition_implILS5_6ELb0ES3_mN6thrust23THRUST_200600_302600_NS6detail15normal_iteratorINSA_10device_ptrIiEEEEPS6_SG_NS0_5tupleIJSF_S6_EEENSH_IJSG_SG_EEES6_PlJNSB_9not_fun_tINSB_14equal_to_valueIiEEEEEEE10hipError_tPvRmT3_T4_T5_T6_T7_T9_mT8_P12ihipStream_tbDpT10_ENKUlT_T0_E_clISt17integral_constantIbLb1EES17_IbLb0EEEEDaS13_S14_EUlS13_E_NS1_11comp_targetILNS1_3genE5ELNS1_11target_archE942ELNS1_3gpuE9ELNS1_3repE0EEENS1_30default_config_static_selectorELNS0_4arch9wavefront6targetE0EEEvT1_.num_vgpr, 0
	.set _ZN7rocprim17ROCPRIM_400000_NS6detail17trampoline_kernelINS0_14default_configENS1_25partition_config_selectorILNS1_17partition_subalgoE6EiNS0_10empty_typeEbEEZZNS1_14partition_implILS5_6ELb0ES3_mN6thrust23THRUST_200600_302600_NS6detail15normal_iteratorINSA_10device_ptrIiEEEEPS6_SG_NS0_5tupleIJSF_S6_EEENSH_IJSG_SG_EEES6_PlJNSB_9not_fun_tINSB_14equal_to_valueIiEEEEEEE10hipError_tPvRmT3_T4_T5_T6_T7_T9_mT8_P12ihipStream_tbDpT10_ENKUlT_T0_E_clISt17integral_constantIbLb1EES17_IbLb0EEEEDaS13_S14_EUlS13_E_NS1_11comp_targetILNS1_3genE5ELNS1_11target_archE942ELNS1_3gpuE9ELNS1_3repE0EEENS1_30default_config_static_selectorELNS0_4arch9wavefront6targetE0EEEvT1_.num_agpr, 0
	.set _ZN7rocprim17ROCPRIM_400000_NS6detail17trampoline_kernelINS0_14default_configENS1_25partition_config_selectorILNS1_17partition_subalgoE6EiNS0_10empty_typeEbEEZZNS1_14partition_implILS5_6ELb0ES3_mN6thrust23THRUST_200600_302600_NS6detail15normal_iteratorINSA_10device_ptrIiEEEEPS6_SG_NS0_5tupleIJSF_S6_EEENSH_IJSG_SG_EEES6_PlJNSB_9not_fun_tINSB_14equal_to_valueIiEEEEEEE10hipError_tPvRmT3_T4_T5_T6_T7_T9_mT8_P12ihipStream_tbDpT10_ENKUlT_T0_E_clISt17integral_constantIbLb1EES17_IbLb0EEEEDaS13_S14_EUlS13_E_NS1_11comp_targetILNS1_3genE5ELNS1_11target_archE942ELNS1_3gpuE9ELNS1_3repE0EEENS1_30default_config_static_selectorELNS0_4arch9wavefront6targetE0EEEvT1_.numbered_sgpr, 0
	.set _ZN7rocprim17ROCPRIM_400000_NS6detail17trampoline_kernelINS0_14default_configENS1_25partition_config_selectorILNS1_17partition_subalgoE6EiNS0_10empty_typeEbEEZZNS1_14partition_implILS5_6ELb0ES3_mN6thrust23THRUST_200600_302600_NS6detail15normal_iteratorINSA_10device_ptrIiEEEEPS6_SG_NS0_5tupleIJSF_S6_EEENSH_IJSG_SG_EEES6_PlJNSB_9not_fun_tINSB_14equal_to_valueIiEEEEEEE10hipError_tPvRmT3_T4_T5_T6_T7_T9_mT8_P12ihipStream_tbDpT10_ENKUlT_T0_E_clISt17integral_constantIbLb1EES17_IbLb0EEEEDaS13_S14_EUlS13_E_NS1_11comp_targetILNS1_3genE5ELNS1_11target_archE942ELNS1_3gpuE9ELNS1_3repE0EEENS1_30default_config_static_selectorELNS0_4arch9wavefront6targetE0EEEvT1_.num_named_barrier, 0
	.set _ZN7rocprim17ROCPRIM_400000_NS6detail17trampoline_kernelINS0_14default_configENS1_25partition_config_selectorILNS1_17partition_subalgoE6EiNS0_10empty_typeEbEEZZNS1_14partition_implILS5_6ELb0ES3_mN6thrust23THRUST_200600_302600_NS6detail15normal_iteratorINSA_10device_ptrIiEEEEPS6_SG_NS0_5tupleIJSF_S6_EEENSH_IJSG_SG_EEES6_PlJNSB_9not_fun_tINSB_14equal_to_valueIiEEEEEEE10hipError_tPvRmT3_T4_T5_T6_T7_T9_mT8_P12ihipStream_tbDpT10_ENKUlT_T0_E_clISt17integral_constantIbLb1EES17_IbLb0EEEEDaS13_S14_EUlS13_E_NS1_11comp_targetILNS1_3genE5ELNS1_11target_archE942ELNS1_3gpuE9ELNS1_3repE0EEENS1_30default_config_static_selectorELNS0_4arch9wavefront6targetE0EEEvT1_.private_seg_size, 0
	.set _ZN7rocprim17ROCPRIM_400000_NS6detail17trampoline_kernelINS0_14default_configENS1_25partition_config_selectorILNS1_17partition_subalgoE6EiNS0_10empty_typeEbEEZZNS1_14partition_implILS5_6ELb0ES3_mN6thrust23THRUST_200600_302600_NS6detail15normal_iteratorINSA_10device_ptrIiEEEEPS6_SG_NS0_5tupleIJSF_S6_EEENSH_IJSG_SG_EEES6_PlJNSB_9not_fun_tINSB_14equal_to_valueIiEEEEEEE10hipError_tPvRmT3_T4_T5_T6_T7_T9_mT8_P12ihipStream_tbDpT10_ENKUlT_T0_E_clISt17integral_constantIbLb1EES17_IbLb0EEEEDaS13_S14_EUlS13_E_NS1_11comp_targetILNS1_3genE5ELNS1_11target_archE942ELNS1_3gpuE9ELNS1_3repE0EEENS1_30default_config_static_selectorELNS0_4arch9wavefront6targetE0EEEvT1_.uses_vcc, 0
	.set _ZN7rocprim17ROCPRIM_400000_NS6detail17trampoline_kernelINS0_14default_configENS1_25partition_config_selectorILNS1_17partition_subalgoE6EiNS0_10empty_typeEbEEZZNS1_14partition_implILS5_6ELb0ES3_mN6thrust23THRUST_200600_302600_NS6detail15normal_iteratorINSA_10device_ptrIiEEEEPS6_SG_NS0_5tupleIJSF_S6_EEENSH_IJSG_SG_EEES6_PlJNSB_9not_fun_tINSB_14equal_to_valueIiEEEEEEE10hipError_tPvRmT3_T4_T5_T6_T7_T9_mT8_P12ihipStream_tbDpT10_ENKUlT_T0_E_clISt17integral_constantIbLb1EES17_IbLb0EEEEDaS13_S14_EUlS13_E_NS1_11comp_targetILNS1_3genE5ELNS1_11target_archE942ELNS1_3gpuE9ELNS1_3repE0EEENS1_30default_config_static_selectorELNS0_4arch9wavefront6targetE0EEEvT1_.uses_flat_scratch, 0
	.set _ZN7rocprim17ROCPRIM_400000_NS6detail17trampoline_kernelINS0_14default_configENS1_25partition_config_selectorILNS1_17partition_subalgoE6EiNS0_10empty_typeEbEEZZNS1_14partition_implILS5_6ELb0ES3_mN6thrust23THRUST_200600_302600_NS6detail15normal_iteratorINSA_10device_ptrIiEEEEPS6_SG_NS0_5tupleIJSF_S6_EEENSH_IJSG_SG_EEES6_PlJNSB_9not_fun_tINSB_14equal_to_valueIiEEEEEEE10hipError_tPvRmT3_T4_T5_T6_T7_T9_mT8_P12ihipStream_tbDpT10_ENKUlT_T0_E_clISt17integral_constantIbLb1EES17_IbLb0EEEEDaS13_S14_EUlS13_E_NS1_11comp_targetILNS1_3genE5ELNS1_11target_archE942ELNS1_3gpuE9ELNS1_3repE0EEENS1_30default_config_static_selectorELNS0_4arch9wavefront6targetE0EEEvT1_.has_dyn_sized_stack, 0
	.set _ZN7rocprim17ROCPRIM_400000_NS6detail17trampoline_kernelINS0_14default_configENS1_25partition_config_selectorILNS1_17partition_subalgoE6EiNS0_10empty_typeEbEEZZNS1_14partition_implILS5_6ELb0ES3_mN6thrust23THRUST_200600_302600_NS6detail15normal_iteratorINSA_10device_ptrIiEEEEPS6_SG_NS0_5tupleIJSF_S6_EEENSH_IJSG_SG_EEES6_PlJNSB_9not_fun_tINSB_14equal_to_valueIiEEEEEEE10hipError_tPvRmT3_T4_T5_T6_T7_T9_mT8_P12ihipStream_tbDpT10_ENKUlT_T0_E_clISt17integral_constantIbLb1EES17_IbLb0EEEEDaS13_S14_EUlS13_E_NS1_11comp_targetILNS1_3genE5ELNS1_11target_archE942ELNS1_3gpuE9ELNS1_3repE0EEENS1_30default_config_static_selectorELNS0_4arch9wavefront6targetE0EEEvT1_.has_recursion, 0
	.set _ZN7rocprim17ROCPRIM_400000_NS6detail17trampoline_kernelINS0_14default_configENS1_25partition_config_selectorILNS1_17partition_subalgoE6EiNS0_10empty_typeEbEEZZNS1_14partition_implILS5_6ELb0ES3_mN6thrust23THRUST_200600_302600_NS6detail15normal_iteratorINSA_10device_ptrIiEEEEPS6_SG_NS0_5tupleIJSF_S6_EEENSH_IJSG_SG_EEES6_PlJNSB_9not_fun_tINSB_14equal_to_valueIiEEEEEEE10hipError_tPvRmT3_T4_T5_T6_T7_T9_mT8_P12ihipStream_tbDpT10_ENKUlT_T0_E_clISt17integral_constantIbLb1EES17_IbLb0EEEEDaS13_S14_EUlS13_E_NS1_11comp_targetILNS1_3genE5ELNS1_11target_archE942ELNS1_3gpuE9ELNS1_3repE0EEENS1_30default_config_static_selectorELNS0_4arch9wavefront6targetE0EEEvT1_.has_indirect_call, 0
	.section	.AMDGPU.csdata,"",@progbits
; Kernel info:
; codeLenInByte = 0
; TotalNumSgprs: 0
; NumVgprs: 0
; ScratchSize: 0
; MemoryBound: 0
; FloatMode: 240
; IeeeMode: 1
; LDSByteSize: 0 bytes/workgroup (compile time only)
; SGPRBlocks: 0
; VGPRBlocks: 0
; NumSGPRsForWavesPerEU: 1
; NumVGPRsForWavesPerEU: 1
; Occupancy: 16
; WaveLimiterHint : 0
; COMPUTE_PGM_RSRC2:SCRATCH_EN: 0
; COMPUTE_PGM_RSRC2:USER_SGPR: 2
; COMPUTE_PGM_RSRC2:TRAP_HANDLER: 0
; COMPUTE_PGM_RSRC2:TGID_X_EN: 1
; COMPUTE_PGM_RSRC2:TGID_Y_EN: 0
; COMPUTE_PGM_RSRC2:TGID_Z_EN: 0
; COMPUTE_PGM_RSRC2:TIDIG_COMP_CNT: 0
	.section	.text._ZN7rocprim17ROCPRIM_400000_NS6detail17trampoline_kernelINS0_14default_configENS1_25partition_config_selectorILNS1_17partition_subalgoE6EiNS0_10empty_typeEbEEZZNS1_14partition_implILS5_6ELb0ES3_mN6thrust23THRUST_200600_302600_NS6detail15normal_iteratorINSA_10device_ptrIiEEEEPS6_SG_NS0_5tupleIJSF_S6_EEENSH_IJSG_SG_EEES6_PlJNSB_9not_fun_tINSB_14equal_to_valueIiEEEEEEE10hipError_tPvRmT3_T4_T5_T6_T7_T9_mT8_P12ihipStream_tbDpT10_ENKUlT_T0_E_clISt17integral_constantIbLb1EES17_IbLb0EEEEDaS13_S14_EUlS13_E_NS1_11comp_targetILNS1_3genE4ELNS1_11target_archE910ELNS1_3gpuE8ELNS1_3repE0EEENS1_30default_config_static_selectorELNS0_4arch9wavefront6targetE0EEEvT1_,"axG",@progbits,_ZN7rocprim17ROCPRIM_400000_NS6detail17trampoline_kernelINS0_14default_configENS1_25partition_config_selectorILNS1_17partition_subalgoE6EiNS0_10empty_typeEbEEZZNS1_14partition_implILS5_6ELb0ES3_mN6thrust23THRUST_200600_302600_NS6detail15normal_iteratorINSA_10device_ptrIiEEEEPS6_SG_NS0_5tupleIJSF_S6_EEENSH_IJSG_SG_EEES6_PlJNSB_9not_fun_tINSB_14equal_to_valueIiEEEEEEE10hipError_tPvRmT3_T4_T5_T6_T7_T9_mT8_P12ihipStream_tbDpT10_ENKUlT_T0_E_clISt17integral_constantIbLb1EES17_IbLb0EEEEDaS13_S14_EUlS13_E_NS1_11comp_targetILNS1_3genE4ELNS1_11target_archE910ELNS1_3gpuE8ELNS1_3repE0EEENS1_30default_config_static_selectorELNS0_4arch9wavefront6targetE0EEEvT1_,comdat
	.protected	_ZN7rocprim17ROCPRIM_400000_NS6detail17trampoline_kernelINS0_14default_configENS1_25partition_config_selectorILNS1_17partition_subalgoE6EiNS0_10empty_typeEbEEZZNS1_14partition_implILS5_6ELb0ES3_mN6thrust23THRUST_200600_302600_NS6detail15normal_iteratorINSA_10device_ptrIiEEEEPS6_SG_NS0_5tupleIJSF_S6_EEENSH_IJSG_SG_EEES6_PlJNSB_9not_fun_tINSB_14equal_to_valueIiEEEEEEE10hipError_tPvRmT3_T4_T5_T6_T7_T9_mT8_P12ihipStream_tbDpT10_ENKUlT_T0_E_clISt17integral_constantIbLb1EES17_IbLb0EEEEDaS13_S14_EUlS13_E_NS1_11comp_targetILNS1_3genE4ELNS1_11target_archE910ELNS1_3gpuE8ELNS1_3repE0EEENS1_30default_config_static_selectorELNS0_4arch9wavefront6targetE0EEEvT1_ ; -- Begin function _ZN7rocprim17ROCPRIM_400000_NS6detail17trampoline_kernelINS0_14default_configENS1_25partition_config_selectorILNS1_17partition_subalgoE6EiNS0_10empty_typeEbEEZZNS1_14partition_implILS5_6ELb0ES3_mN6thrust23THRUST_200600_302600_NS6detail15normal_iteratorINSA_10device_ptrIiEEEEPS6_SG_NS0_5tupleIJSF_S6_EEENSH_IJSG_SG_EEES6_PlJNSB_9not_fun_tINSB_14equal_to_valueIiEEEEEEE10hipError_tPvRmT3_T4_T5_T6_T7_T9_mT8_P12ihipStream_tbDpT10_ENKUlT_T0_E_clISt17integral_constantIbLb1EES17_IbLb0EEEEDaS13_S14_EUlS13_E_NS1_11comp_targetILNS1_3genE4ELNS1_11target_archE910ELNS1_3gpuE8ELNS1_3repE0EEENS1_30default_config_static_selectorELNS0_4arch9wavefront6targetE0EEEvT1_
	.globl	_ZN7rocprim17ROCPRIM_400000_NS6detail17trampoline_kernelINS0_14default_configENS1_25partition_config_selectorILNS1_17partition_subalgoE6EiNS0_10empty_typeEbEEZZNS1_14partition_implILS5_6ELb0ES3_mN6thrust23THRUST_200600_302600_NS6detail15normal_iteratorINSA_10device_ptrIiEEEEPS6_SG_NS0_5tupleIJSF_S6_EEENSH_IJSG_SG_EEES6_PlJNSB_9not_fun_tINSB_14equal_to_valueIiEEEEEEE10hipError_tPvRmT3_T4_T5_T6_T7_T9_mT8_P12ihipStream_tbDpT10_ENKUlT_T0_E_clISt17integral_constantIbLb1EES17_IbLb0EEEEDaS13_S14_EUlS13_E_NS1_11comp_targetILNS1_3genE4ELNS1_11target_archE910ELNS1_3gpuE8ELNS1_3repE0EEENS1_30default_config_static_selectorELNS0_4arch9wavefront6targetE0EEEvT1_
	.p2align	8
	.type	_ZN7rocprim17ROCPRIM_400000_NS6detail17trampoline_kernelINS0_14default_configENS1_25partition_config_selectorILNS1_17partition_subalgoE6EiNS0_10empty_typeEbEEZZNS1_14partition_implILS5_6ELb0ES3_mN6thrust23THRUST_200600_302600_NS6detail15normal_iteratorINSA_10device_ptrIiEEEEPS6_SG_NS0_5tupleIJSF_S6_EEENSH_IJSG_SG_EEES6_PlJNSB_9not_fun_tINSB_14equal_to_valueIiEEEEEEE10hipError_tPvRmT3_T4_T5_T6_T7_T9_mT8_P12ihipStream_tbDpT10_ENKUlT_T0_E_clISt17integral_constantIbLb1EES17_IbLb0EEEEDaS13_S14_EUlS13_E_NS1_11comp_targetILNS1_3genE4ELNS1_11target_archE910ELNS1_3gpuE8ELNS1_3repE0EEENS1_30default_config_static_selectorELNS0_4arch9wavefront6targetE0EEEvT1_,@function
_ZN7rocprim17ROCPRIM_400000_NS6detail17trampoline_kernelINS0_14default_configENS1_25partition_config_selectorILNS1_17partition_subalgoE6EiNS0_10empty_typeEbEEZZNS1_14partition_implILS5_6ELb0ES3_mN6thrust23THRUST_200600_302600_NS6detail15normal_iteratorINSA_10device_ptrIiEEEEPS6_SG_NS0_5tupleIJSF_S6_EEENSH_IJSG_SG_EEES6_PlJNSB_9not_fun_tINSB_14equal_to_valueIiEEEEEEE10hipError_tPvRmT3_T4_T5_T6_T7_T9_mT8_P12ihipStream_tbDpT10_ENKUlT_T0_E_clISt17integral_constantIbLb1EES17_IbLb0EEEEDaS13_S14_EUlS13_E_NS1_11comp_targetILNS1_3genE4ELNS1_11target_archE910ELNS1_3gpuE8ELNS1_3repE0EEENS1_30default_config_static_selectorELNS0_4arch9wavefront6targetE0EEEvT1_: ; @_ZN7rocprim17ROCPRIM_400000_NS6detail17trampoline_kernelINS0_14default_configENS1_25partition_config_selectorILNS1_17partition_subalgoE6EiNS0_10empty_typeEbEEZZNS1_14partition_implILS5_6ELb0ES3_mN6thrust23THRUST_200600_302600_NS6detail15normal_iteratorINSA_10device_ptrIiEEEEPS6_SG_NS0_5tupleIJSF_S6_EEENSH_IJSG_SG_EEES6_PlJNSB_9not_fun_tINSB_14equal_to_valueIiEEEEEEE10hipError_tPvRmT3_T4_T5_T6_T7_T9_mT8_P12ihipStream_tbDpT10_ENKUlT_T0_E_clISt17integral_constantIbLb1EES17_IbLb0EEEEDaS13_S14_EUlS13_E_NS1_11comp_targetILNS1_3genE4ELNS1_11target_archE910ELNS1_3gpuE8ELNS1_3repE0EEENS1_30default_config_static_selectorELNS0_4arch9wavefront6targetE0EEEvT1_
; %bb.0:
	.section	.rodata,"a",@progbits
	.p2align	6, 0x0
	.amdhsa_kernel _ZN7rocprim17ROCPRIM_400000_NS6detail17trampoline_kernelINS0_14default_configENS1_25partition_config_selectorILNS1_17partition_subalgoE6EiNS0_10empty_typeEbEEZZNS1_14partition_implILS5_6ELb0ES3_mN6thrust23THRUST_200600_302600_NS6detail15normal_iteratorINSA_10device_ptrIiEEEEPS6_SG_NS0_5tupleIJSF_S6_EEENSH_IJSG_SG_EEES6_PlJNSB_9not_fun_tINSB_14equal_to_valueIiEEEEEEE10hipError_tPvRmT3_T4_T5_T6_T7_T9_mT8_P12ihipStream_tbDpT10_ENKUlT_T0_E_clISt17integral_constantIbLb1EES17_IbLb0EEEEDaS13_S14_EUlS13_E_NS1_11comp_targetILNS1_3genE4ELNS1_11target_archE910ELNS1_3gpuE8ELNS1_3repE0EEENS1_30default_config_static_selectorELNS0_4arch9wavefront6targetE0EEEvT1_
		.amdhsa_group_segment_fixed_size 0
		.amdhsa_private_segment_fixed_size 0
		.amdhsa_kernarg_size 120
		.amdhsa_user_sgpr_count 2
		.amdhsa_user_sgpr_dispatch_ptr 0
		.amdhsa_user_sgpr_queue_ptr 0
		.amdhsa_user_sgpr_kernarg_segment_ptr 1
		.amdhsa_user_sgpr_dispatch_id 0
		.amdhsa_user_sgpr_private_segment_size 0
		.amdhsa_wavefront_size32 1
		.amdhsa_uses_dynamic_stack 0
		.amdhsa_enable_private_segment 0
		.amdhsa_system_sgpr_workgroup_id_x 1
		.amdhsa_system_sgpr_workgroup_id_y 0
		.amdhsa_system_sgpr_workgroup_id_z 0
		.amdhsa_system_sgpr_workgroup_info 0
		.amdhsa_system_vgpr_workitem_id 0
		.amdhsa_next_free_vgpr 1
		.amdhsa_next_free_sgpr 1
		.amdhsa_reserve_vcc 0
		.amdhsa_float_round_mode_32 0
		.amdhsa_float_round_mode_16_64 0
		.amdhsa_float_denorm_mode_32 3
		.amdhsa_float_denorm_mode_16_64 3
		.amdhsa_fp16_overflow 0
		.amdhsa_workgroup_processor_mode 1
		.amdhsa_memory_ordered 1
		.amdhsa_forward_progress 1
		.amdhsa_inst_pref_size 0
		.amdhsa_round_robin_scheduling 0
		.amdhsa_exception_fp_ieee_invalid_op 0
		.amdhsa_exception_fp_denorm_src 0
		.amdhsa_exception_fp_ieee_div_zero 0
		.amdhsa_exception_fp_ieee_overflow 0
		.amdhsa_exception_fp_ieee_underflow 0
		.amdhsa_exception_fp_ieee_inexact 0
		.amdhsa_exception_int_div_zero 0
	.end_amdhsa_kernel
	.section	.text._ZN7rocprim17ROCPRIM_400000_NS6detail17trampoline_kernelINS0_14default_configENS1_25partition_config_selectorILNS1_17partition_subalgoE6EiNS0_10empty_typeEbEEZZNS1_14partition_implILS5_6ELb0ES3_mN6thrust23THRUST_200600_302600_NS6detail15normal_iteratorINSA_10device_ptrIiEEEEPS6_SG_NS0_5tupleIJSF_S6_EEENSH_IJSG_SG_EEES6_PlJNSB_9not_fun_tINSB_14equal_to_valueIiEEEEEEE10hipError_tPvRmT3_T4_T5_T6_T7_T9_mT8_P12ihipStream_tbDpT10_ENKUlT_T0_E_clISt17integral_constantIbLb1EES17_IbLb0EEEEDaS13_S14_EUlS13_E_NS1_11comp_targetILNS1_3genE4ELNS1_11target_archE910ELNS1_3gpuE8ELNS1_3repE0EEENS1_30default_config_static_selectorELNS0_4arch9wavefront6targetE0EEEvT1_,"axG",@progbits,_ZN7rocprim17ROCPRIM_400000_NS6detail17trampoline_kernelINS0_14default_configENS1_25partition_config_selectorILNS1_17partition_subalgoE6EiNS0_10empty_typeEbEEZZNS1_14partition_implILS5_6ELb0ES3_mN6thrust23THRUST_200600_302600_NS6detail15normal_iteratorINSA_10device_ptrIiEEEEPS6_SG_NS0_5tupleIJSF_S6_EEENSH_IJSG_SG_EEES6_PlJNSB_9not_fun_tINSB_14equal_to_valueIiEEEEEEE10hipError_tPvRmT3_T4_T5_T6_T7_T9_mT8_P12ihipStream_tbDpT10_ENKUlT_T0_E_clISt17integral_constantIbLb1EES17_IbLb0EEEEDaS13_S14_EUlS13_E_NS1_11comp_targetILNS1_3genE4ELNS1_11target_archE910ELNS1_3gpuE8ELNS1_3repE0EEENS1_30default_config_static_selectorELNS0_4arch9wavefront6targetE0EEEvT1_,comdat
.Lfunc_end487:
	.size	_ZN7rocprim17ROCPRIM_400000_NS6detail17trampoline_kernelINS0_14default_configENS1_25partition_config_selectorILNS1_17partition_subalgoE6EiNS0_10empty_typeEbEEZZNS1_14partition_implILS5_6ELb0ES3_mN6thrust23THRUST_200600_302600_NS6detail15normal_iteratorINSA_10device_ptrIiEEEEPS6_SG_NS0_5tupleIJSF_S6_EEENSH_IJSG_SG_EEES6_PlJNSB_9not_fun_tINSB_14equal_to_valueIiEEEEEEE10hipError_tPvRmT3_T4_T5_T6_T7_T9_mT8_P12ihipStream_tbDpT10_ENKUlT_T0_E_clISt17integral_constantIbLb1EES17_IbLb0EEEEDaS13_S14_EUlS13_E_NS1_11comp_targetILNS1_3genE4ELNS1_11target_archE910ELNS1_3gpuE8ELNS1_3repE0EEENS1_30default_config_static_selectorELNS0_4arch9wavefront6targetE0EEEvT1_, .Lfunc_end487-_ZN7rocprim17ROCPRIM_400000_NS6detail17trampoline_kernelINS0_14default_configENS1_25partition_config_selectorILNS1_17partition_subalgoE6EiNS0_10empty_typeEbEEZZNS1_14partition_implILS5_6ELb0ES3_mN6thrust23THRUST_200600_302600_NS6detail15normal_iteratorINSA_10device_ptrIiEEEEPS6_SG_NS0_5tupleIJSF_S6_EEENSH_IJSG_SG_EEES6_PlJNSB_9not_fun_tINSB_14equal_to_valueIiEEEEEEE10hipError_tPvRmT3_T4_T5_T6_T7_T9_mT8_P12ihipStream_tbDpT10_ENKUlT_T0_E_clISt17integral_constantIbLb1EES17_IbLb0EEEEDaS13_S14_EUlS13_E_NS1_11comp_targetILNS1_3genE4ELNS1_11target_archE910ELNS1_3gpuE8ELNS1_3repE0EEENS1_30default_config_static_selectorELNS0_4arch9wavefront6targetE0EEEvT1_
                                        ; -- End function
	.set _ZN7rocprim17ROCPRIM_400000_NS6detail17trampoline_kernelINS0_14default_configENS1_25partition_config_selectorILNS1_17partition_subalgoE6EiNS0_10empty_typeEbEEZZNS1_14partition_implILS5_6ELb0ES3_mN6thrust23THRUST_200600_302600_NS6detail15normal_iteratorINSA_10device_ptrIiEEEEPS6_SG_NS0_5tupleIJSF_S6_EEENSH_IJSG_SG_EEES6_PlJNSB_9not_fun_tINSB_14equal_to_valueIiEEEEEEE10hipError_tPvRmT3_T4_T5_T6_T7_T9_mT8_P12ihipStream_tbDpT10_ENKUlT_T0_E_clISt17integral_constantIbLb1EES17_IbLb0EEEEDaS13_S14_EUlS13_E_NS1_11comp_targetILNS1_3genE4ELNS1_11target_archE910ELNS1_3gpuE8ELNS1_3repE0EEENS1_30default_config_static_selectorELNS0_4arch9wavefront6targetE0EEEvT1_.num_vgpr, 0
	.set _ZN7rocprim17ROCPRIM_400000_NS6detail17trampoline_kernelINS0_14default_configENS1_25partition_config_selectorILNS1_17partition_subalgoE6EiNS0_10empty_typeEbEEZZNS1_14partition_implILS5_6ELb0ES3_mN6thrust23THRUST_200600_302600_NS6detail15normal_iteratorINSA_10device_ptrIiEEEEPS6_SG_NS0_5tupleIJSF_S6_EEENSH_IJSG_SG_EEES6_PlJNSB_9not_fun_tINSB_14equal_to_valueIiEEEEEEE10hipError_tPvRmT3_T4_T5_T6_T7_T9_mT8_P12ihipStream_tbDpT10_ENKUlT_T0_E_clISt17integral_constantIbLb1EES17_IbLb0EEEEDaS13_S14_EUlS13_E_NS1_11comp_targetILNS1_3genE4ELNS1_11target_archE910ELNS1_3gpuE8ELNS1_3repE0EEENS1_30default_config_static_selectorELNS0_4arch9wavefront6targetE0EEEvT1_.num_agpr, 0
	.set _ZN7rocprim17ROCPRIM_400000_NS6detail17trampoline_kernelINS0_14default_configENS1_25partition_config_selectorILNS1_17partition_subalgoE6EiNS0_10empty_typeEbEEZZNS1_14partition_implILS5_6ELb0ES3_mN6thrust23THRUST_200600_302600_NS6detail15normal_iteratorINSA_10device_ptrIiEEEEPS6_SG_NS0_5tupleIJSF_S6_EEENSH_IJSG_SG_EEES6_PlJNSB_9not_fun_tINSB_14equal_to_valueIiEEEEEEE10hipError_tPvRmT3_T4_T5_T6_T7_T9_mT8_P12ihipStream_tbDpT10_ENKUlT_T0_E_clISt17integral_constantIbLb1EES17_IbLb0EEEEDaS13_S14_EUlS13_E_NS1_11comp_targetILNS1_3genE4ELNS1_11target_archE910ELNS1_3gpuE8ELNS1_3repE0EEENS1_30default_config_static_selectorELNS0_4arch9wavefront6targetE0EEEvT1_.numbered_sgpr, 0
	.set _ZN7rocprim17ROCPRIM_400000_NS6detail17trampoline_kernelINS0_14default_configENS1_25partition_config_selectorILNS1_17partition_subalgoE6EiNS0_10empty_typeEbEEZZNS1_14partition_implILS5_6ELb0ES3_mN6thrust23THRUST_200600_302600_NS6detail15normal_iteratorINSA_10device_ptrIiEEEEPS6_SG_NS0_5tupleIJSF_S6_EEENSH_IJSG_SG_EEES6_PlJNSB_9not_fun_tINSB_14equal_to_valueIiEEEEEEE10hipError_tPvRmT3_T4_T5_T6_T7_T9_mT8_P12ihipStream_tbDpT10_ENKUlT_T0_E_clISt17integral_constantIbLb1EES17_IbLb0EEEEDaS13_S14_EUlS13_E_NS1_11comp_targetILNS1_3genE4ELNS1_11target_archE910ELNS1_3gpuE8ELNS1_3repE0EEENS1_30default_config_static_selectorELNS0_4arch9wavefront6targetE0EEEvT1_.num_named_barrier, 0
	.set _ZN7rocprim17ROCPRIM_400000_NS6detail17trampoline_kernelINS0_14default_configENS1_25partition_config_selectorILNS1_17partition_subalgoE6EiNS0_10empty_typeEbEEZZNS1_14partition_implILS5_6ELb0ES3_mN6thrust23THRUST_200600_302600_NS6detail15normal_iteratorINSA_10device_ptrIiEEEEPS6_SG_NS0_5tupleIJSF_S6_EEENSH_IJSG_SG_EEES6_PlJNSB_9not_fun_tINSB_14equal_to_valueIiEEEEEEE10hipError_tPvRmT3_T4_T5_T6_T7_T9_mT8_P12ihipStream_tbDpT10_ENKUlT_T0_E_clISt17integral_constantIbLb1EES17_IbLb0EEEEDaS13_S14_EUlS13_E_NS1_11comp_targetILNS1_3genE4ELNS1_11target_archE910ELNS1_3gpuE8ELNS1_3repE0EEENS1_30default_config_static_selectorELNS0_4arch9wavefront6targetE0EEEvT1_.private_seg_size, 0
	.set _ZN7rocprim17ROCPRIM_400000_NS6detail17trampoline_kernelINS0_14default_configENS1_25partition_config_selectorILNS1_17partition_subalgoE6EiNS0_10empty_typeEbEEZZNS1_14partition_implILS5_6ELb0ES3_mN6thrust23THRUST_200600_302600_NS6detail15normal_iteratorINSA_10device_ptrIiEEEEPS6_SG_NS0_5tupleIJSF_S6_EEENSH_IJSG_SG_EEES6_PlJNSB_9not_fun_tINSB_14equal_to_valueIiEEEEEEE10hipError_tPvRmT3_T4_T5_T6_T7_T9_mT8_P12ihipStream_tbDpT10_ENKUlT_T0_E_clISt17integral_constantIbLb1EES17_IbLb0EEEEDaS13_S14_EUlS13_E_NS1_11comp_targetILNS1_3genE4ELNS1_11target_archE910ELNS1_3gpuE8ELNS1_3repE0EEENS1_30default_config_static_selectorELNS0_4arch9wavefront6targetE0EEEvT1_.uses_vcc, 0
	.set _ZN7rocprim17ROCPRIM_400000_NS6detail17trampoline_kernelINS0_14default_configENS1_25partition_config_selectorILNS1_17partition_subalgoE6EiNS0_10empty_typeEbEEZZNS1_14partition_implILS5_6ELb0ES3_mN6thrust23THRUST_200600_302600_NS6detail15normal_iteratorINSA_10device_ptrIiEEEEPS6_SG_NS0_5tupleIJSF_S6_EEENSH_IJSG_SG_EEES6_PlJNSB_9not_fun_tINSB_14equal_to_valueIiEEEEEEE10hipError_tPvRmT3_T4_T5_T6_T7_T9_mT8_P12ihipStream_tbDpT10_ENKUlT_T0_E_clISt17integral_constantIbLb1EES17_IbLb0EEEEDaS13_S14_EUlS13_E_NS1_11comp_targetILNS1_3genE4ELNS1_11target_archE910ELNS1_3gpuE8ELNS1_3repE0EEENS1_30default_config_static_selectorELNS0_4arch9wavefront6targetE0EEEvT1_.uses_flat_scratch, 0
	.set _ZN7rocprim17ROCPRIM_400000_NS6detail17trampoline_kernelINS0_14default_configENS1_25partition_config_selectorILNS1_17partition_subalgoE6EiNS0_10empty_typeEbEEZZNS1_14partition_implILS5_6ELb0ES3_mN6thrust23THRUST_200600_302600_NS6detail15normal_iteratorINSA_10device_ptrIiEEEEPS6_SG_NS0_5tupleIJSF_S6_EEENSH_IJSG_SG_EEES6_PlJNSB_9not_fun_tINSB_14equal_to_valueIiEEEEEEE10hipError_tPvRmT3_T4_T5_T6_T7_T9_mT8_P12ihipStream_tbDpT10_ENKUlT_T0_E_clISt17integral_constantIbLb1EES17_IbLb0EEEEDaS13_S14_EUlS13_E_NS1_11comp_targetILNS1_3genE4ELNS1_11target_archE910ELNS1_3gpuE8ELNS1_3repE0EEENS1_30default_config_static_selectorELNS0_4arch9wavefront6targetE0EEEvT1_.has_dyn_sized_stack, 0
	.set _ZN7rocprim17ROCPRIM_400000_NS6detail17trampoline_kernelINS0_14default_configENS1_25partition_config_selectorILNS1_17partition_subalgoE6EiNS0_10empty_typeEbEEZZNS1_14partition_implILS5_6ELb0ES3_mN6thrust23THRUST_200600_302600_NS6detail15normal_iteratorINSA_10device_ptrIiEEEEPS6_SG_NS0_5tupleIJSF_S6_EEENSH_IJSG_SG_EEES6_PlJNSB_9not_fun_tINSB_14equal_to_valueIiEEEEEEE10hipError_tPvRmT3_T4_T5_T6_T7_T9_mT8_P12ihipStream_tbDpT10_ENKUlT_T0_E_clISt17integral_constantIbLb1EES17_IbLb0EEEEDaS13_S14_EUlS13_E_NS1_11comp_targetILNS1_3genE4ELNS1_11target_archE910ELNS1_3gpuE8ELNS1_3repE0EEENS1_30default_config_static_selectorELNS0_4arch9wavefront6targetE0EEEvT1_.has_recursion, 0
	.set _ZN7rocprim17ROCPRIM_400000_NS6detail17trampoline_kernelINS0_14default_configENS1_25partition_config_selectorILNS1_17partition_subalgoE6EiNS0_10empty_typeEbEEZZNS1_14partition_implILS5_6ELb0ES3_mN6thrust23THRUST_200600_302600_NS6detail15normal_iteratorINSA_10device_ptrIiEEEEPS6_SG_NS0_5tupleIJSF_S6_EEENSH_IJSG_SG_EEES6_PlJNSB_9not_fun_tINSB_14equal_to_valueIiEEEEEEE10hipError_tPvRmT3_T4_T5_T6_T7_T9_mT8_P12ihipStream_tbDpT10_ENKUlT_T0_E_clISt17integral_constantIbLb1EES17_IbLb0EEEEDaS13_S14_EUlS13_E_NS1_11comp_targetILNS1_3genE4ELNS1_11target_archE910ELNS1_3gpuE8ELNS1_3repE0EEENS1_30default_config_static_selectorELNS0_4arch9wavefront6targetE0EEEvT1_.has_indirect_call, 0
	.section	.AMDGPU.csdata,"",@progbits
; Kernel info:
; codeLenInByte = 0
; TotalNumSgprs: 0
; NumVgprs: 0
; ScratchSize: 0
; MemoryBound: 0
; FloatMode: 240
; IeeeMode: 1
; LDSByteSize: 0 bytes/workgroup (compile time only)
; SGPRBlocks: 0
; VGPRBlocks: 0
; NumSGPRsForWavesPerEU: 1
; NumVGPRsForWavesPerEU: 1
; Occupancy: 16
; WaveLimiterHint : 0
; COMPUTE_PGM_RSRC2:SCRATCH_EN: 0
; COMPUTE_PGM_RSRC2:USER_SGPR: 2
; COMPUTE_PGM_RSRC2:TRAP_HANDLER: 0
; COMPUTE_PGM_RSRC2:TGID_X_EN: 1
; COMPUTE_PGM_RSRC2:TGID_Y_EN: 0
; COMPUTE_PGM_RSRC2:TGID_Z_EN: 0
; COMPUTE_PGM_RSRC2:TIDIG_COMP_CNT: 0
	.section	.text._ZN7rocprim17ROCPRIM_400000_NS6detail17trampoline_kernelINS0_14default_configENS1_25partition_config_selectorILNS1_17partition_subalgoE6EiNS0_10empty_typeEbEEZZNS1_14partition_implILS5_6ELb0ES3_mN6thrust23THRUST_200600_302600_NS6detail15normal_iteratorINSA_10device_ptrIiEEEEPS6_SG_NS0_5tupleIJSF_S6_EEENSH_IJSG_SG_EEES6_PlJNSB_9not_fun_tINSB_14equal_to_valueIiEEEEEEE10hipError_tPvRmT3_T4_T5_T6_T7_T9_mT8_P12ihipStream_tbDpT10_ENKUlT_T0_E_clISt17integral_constantIbLb1EES17_IbLb0EEEEDaS13_S14_EUlS13_E_NS1_11comp_targetILNS1_3genE3ELNS1_11target_archE908ELNS1_3gpuE7ELNS1_3repE0EEENS1_30default_config_static_selectorELNS0_4arch9wavefront6targetE0EEEvT1_,"axG",@progbits,_ZN7rocprim17ROCPRIM_400000_NS6detail17trampoline_kernelINS0_14default_configENS1_25partition_config_selectorILNS1_17partition_subalgoE6EiNS0_10empty_typeEbEEZZNS1_14partition_implILS5_6ELb0ES3_mN6thrust23THRUST_200600_302600_NS6detail15normal_iteratorINSA_10device_ptrIiEEEEPS6_SG_NS0_5tupleIJSF_S6_EEENSH_IJSG_SG_EEES6_PlJNSB_9not_fun_tINSB_14equal_to_valueIiEEEEEEE10hipError_tPvRmT3_T4_T5_T6_T7_T9_mT8_P12ihipStream_tbDpT10_ENKUlT_T0_E_clISt17integral_constantIbLb1EES17_IbLb0EEEEDaS13_S14_EUlS13_E_NS1_11comp_targetILNS1_3genE3ELNS1_11target_archE908ELNS1_3gpuE7ELNS1_3repE0EEENS1_30default_config_static_selectorELNS0_4arch9wavefront6targetE0EEEvT1_,comdat
	.protected	_ZN7rocprim17ROCPRIM_400000_NS6detail17trampoline_kernelINS0_14default_configENS1_25partition_config_selectorILNS1_17partition_subalgoE6EiNS0_10empty_typeEbEEZZNS1_14partition_implILS5_6ELb0ES3_mN6thrust23THRUST_200600_302600_NS6detail15normal_iteratorINSA_10device_ptrIiEEEEPS6_SG_NS0_5tupleIJSF_S6_EEENSH_IJSG_SG_EEES6_PlJNSB_9not_fun_tINSB_14equal_to_valueIiEEEEEEE10hipError_tPvRmT3_T4_T5_T6_T7_T9_mT8_P12ihipStream_tbDpT10_ENKUlT_T0_E_clISt17integral_constantIbLb1EES17_IbLb0EEEEDaS13_S14_EUlS13_E_NS1_11comp_targetILNS1_3genE3ELNS1_11target_archE908ELNS1_3gpuE7ELNS1_3repE0EEENS1_30default_config_static_selectorELNS0_4arch9wavefront6targetE0EEEvT1_ ; -- Begin function _ZN7rocprim17ROCPRIM_400000_NS6detail17trampoline_kernelINS0_14default_configENS1_25partition_config_selectorILNS1_17partition_subalgoE6EiNS0_10empty_typeEbEEZZNS1_14partition_implILS5_6ELb0ES3_mN6thrust23THRUST_200600_302600_NS6detail15normal_iteratorINSA_10device_ptrIiEEEEPS6_SG_NS0_5tupleIJSF_S6_EEENSH_IJSG_SG_EEES6_PlJNSB_9not_fun_tINSB_14equal_to_valueIiEEEEEEE10hipError_tPvRmT3_T4_T5_T6_T7_T9_mT8_P12ihipStream_tbDpT10_ENKUlT_T0_E_clISt17integral_constantIbLb1EES17_IbLb0EEEEDaS13_S14_EUlS13_E_NS1_11comp_targetILNS1_3genE3ELNS1_11target_archE908ELNS1_3gpuE7ELNS1_3repE0EEENS1_30default_config_static_selectorELNS0_4arch9wavefront6targetE0EEEvT1_
	.globl	_ZN7rocprim17ROCPRIM_400000_NS6detail17trampoline_kernelINS0_14default_configENS1_25partition_config_selectorILNS1_17partition_subalgoE6EiNS0_10empty_typeEbEEZZNS1_14partition_implILS5_6ELb0ES3_mN6thrust23THRUST_200600_302600_NS6detail15normal_iteratorINSA_10device_ptrIiEEEEPS6_SG_NS0_5tupleIJSF_S6_EEENSH_IJSG_SG_EEES6_PlJNSB_9not_fun_tINSB_14equal_to_valueIiEEEEEEE10hipError_tPvRmT3_T4_T5_T6_T7_T9_mT8_P12ihipStream_tbDpT10_ENKUlT_T0_E_clISt17integral_constantIbLb1EES17_IbLb0EEEEDaS13_S14_EUlS13_E_NS1_11comp_targetILNS1_3genE3ELNS1_11target_archE908ELNS1_3gpuE7ELNS1_3repE0EEENS1_30default_config_static_selectorELNS0_4arch9wavefront6targetE0EEEvT1_
	.p2align	8
	.type	_ZN7rocprim17ROCPRIM_400000_NS6detail17trampoline_kernelINS0_14default_configENS1_25partition_config_selectorILNS1_17partition_subalgoE6EiNS0_10empty_typeEbEEZZNS1_14partition_implILS5_6ELb0ES3_mN6thrust23THRUST_200600_302600_NS6detail15normal_iteratorINSA_10device_ptrIiEEEEPS6_SG_NS0_5tupleIJSF_S6_EEENSH_IJSG_SG_EEES6_PlJNSB_9not_fun_tINSB_14equal_to_valueIiEEEEEEE10hipError_tPvRmT3_T4_T5_T6_T7_T9_mT8_P12ihipStream_tbDpT10_ENKUlT_T0_E_clISt17integral_constantIbLb1EES17_IbLb0EEEEDaS13_S14_EUlS13_E_NS1_11comp_targetILNS1_3genE3ELNS1_11target_archE908ELNS1_3gpuE7ELNS1_3repE0EEENS1_30default_config_static_selectorELNS0_4arch9wavefront6targetE0EEEvT1_,@function
_ZN7rocprim17ROCPRIM_400000_NS6detail17trampoline_kernelINS0_14default_configENS1_25partition_config_selectorILNS1_17partition_subalgoE6EiNS0_10empty_typeEbEEZZNS1_14partition_implILS5_6ELb0ES3_mN6thrust23THRUST_200600_302600_NS6detail15normal_iteratorINSA_10device_ptrIiEEEEPS6_SG_NS0_5tupleIJSF_S6_EEENSH_IJSG_SG_EEES6_PlJNSB_9not_fun_tINSB_14equal_to_valueIiEEEEEEE10hipError_tPvRmT3_T4_T5_T6_T7_T9_mT8_P12ihipStream_tbDpT10_ENKUlT_T0_E_clISt17integral_constantIbLb1EES17_IbLb0EEEEDaS13_S14_EUlS13_E_NS1_11comp_targetILNS1_3genE3ELNS1_11target_archE908ELNS1_3gpuE7ELNS1_3repE0EEENS1_30default_config_static_selectorELNS0_4arch9wavefront6targetE0EEEvT1_: ; @_ZN7rocprim17ROCPRIM_400000_NS6detail17trampoline_kernelINS0_14default_configENS1_25partition_config_selectorILNS1_17partition_subalgoE6EiNS0_10empty_typeEbEEZZNS1_14partition_implILS5_6ELb0ES3_mN6thrust23THRUST_200600_302600_NS6detail15normal_iteratorINSA_10device_ptrIiEEEEPS6_SG_NS0_5tupleIJSF_S6_EEENSH_IJSG_SG_EEES6_PlJNSB_9not_fun_tINSB_14equal_to_valueIiEEEEEEE10hipError_tPvRmT3_T4_T5_T6_T7_T9_mT8_P12ihipStream_tbDpT10_ENKUlT_T0_E_clISt17integral_constantIbLb1EES17_IbLb0EEEEDaS13_S14_EUlS13_E_NS1_11comp_targetILNS1_3genE3ELNS1_11target_archE908ELNS1_3gpuE7ELNS1_3repE0EEENS1_30default_config_static_selectorELNS0_4arch9wavefront6targetE0EEEvT1_
; %bb.0:
	.section	.rodata,"a",@progbits
	.p2align	6, 0x0
	.amdhsa_kernel _ZN7rocprim17ROCPRIM_400000_NS6detail17trampoline_kernelINS0_14default_configENS1_25partition_config_selectorILNS1_17partition_subalgoE6EiNS0_10empty_typeEbEEZZNS1_14partition_implILS5_6ELb0ES3_mN6thrust23THRUST_200600_302600_NS6detail15normal_iteratorINSA_10device_ptrIiEEEEPS6_SG_NS0_5tupleIJSF_S6_EEENSH_IJSG_SG_EEES6_PlJNSB_9not_fun_tINSB_14equal_to_valueIiEEEEEEE10hipError_tPvRmT3_T4_T5_T6_T7_T9_mT8_P12ihipStream_tbDpT10_ENKUlT_T0_E_clISt17integral_constantIbLb1EES17_IbLb0EEEEDaS13_S14_EUlS13_E_NS1_11comp_targetILNS1_3genE3ELNS1_11target_archE908ELNS1_3gpuE7ELNS1_3repE0EEENS1_30default_config_static_selectorELNS0_4arch9wavefront6targetE0EEEvT1_
		.amdhsa_group_segment_fixed_size 0
		.amdhsa_private_segment_fixed_size 0
		.amdhsa_kernarg_size 120
		.amdhsa_user_sgpr_count 2
		.amdhsa_user_sgpr_dispatch_ptr 0
		.amdhsa_user_sgpr_queue_ptr 0
		.amdhsa_user_sgpr_kernarg_segment_ptr 1
		.amdhsa_user_sgpr_dispatch_id 0
		.amdhsa_user_sgpr_private_segment_size 0
		.amdhsa_wavefront_size32 1
		.amdhsa_uses_dynamic_stack 0
		.amdhsa_enable_private_segment 0
		.amdhsa_system_sgpr_workgroup_id_x 1
		.amdhsa_system_sgpr_workgroup_id_y 0
		.amdhsa_system_sgpr_workgroup_id_z 0
		.amdhsa_system_sgpr_workgroup_info 0
		.amdhsa_system_vgpr_workitem_id 0
		.amdhsa_next_free_vgpr 1
		.amdhsa_next_free_sgpr 1
		.amdhsa_reserve_vcc 0
		.amdhsa_float_round_mode_32 0
		.amdhsa_float_round_mode_16_64 0
		.amdhsa_float_denorm_mode_32 3
		.amdhsa_float_denorm_mode_16_64 3
		.amdhsa_fp16_overflow 0
		.amdhsa_workgroup_processor_mode 1
		.amdhsa_memory_ordered 1
		.amdhsa_forward_progress 1
		.amdhsa_inst_pref_size 0
		.amdhsa_round_robin_scheduling 0
		.amdhsa_exception_fp_ieee_invalid_op 0
		.amdhsa_exception_fp_denorm_src 0
		.amdhsa_exception_fp_ieee_div_zero 0
		.amdhsa_exception_fp_ieee_overflow 0
		.amdhsa_exception_fp_ieee_underflow 0
		.amdhsa_exception_fp_ieee_inexact 0
		.amdhsa_exception_int_div_zero 0
	.end_amdhsa_kernel
	.section	.text._ZN7rocprim17ROCPRIM_400000_NS6detail17trampoline_kernelINS0_14default_configENS1_25partition_config_selectorILNS1_17partition_subalgoE6EiNS0_10empty_typeEbEEZZNS1_14partition_implILS5_6ELb0ES3_mN6thrust23THRUST_200600_302600_NS6detail15normal_iteratorINSA_10device_ptrIiEEEEPS6_SG_NS0_5tupleIJSF_S6_EEENSH_IJSG_SG_EEES6_PlJNSB_9not_fun_tINSB_14equal_to_valueIiEEEEEEE10hipError_tPvRmT3_T4_T5_T6_T7_T9_mT8_P12ihipStream_tbDpT10_ENKUlT_T0_E_clISt17integral_constantIbLb1EES17_IbLb0EEEEDaS13_S14_EUlS13_E_NS1_11comp_targetILNS1_3genE3ELNS1_11target_archE908ELNS1_3gpuE7ELNS1_3repE0EEENS1_30default_config_static_selectorELNS0_4arch9wavefront6targetE0EEEvT1_,"axG",@progbits,_ZN7rocprim17ROCPRIM_400000_NS6detail17trampoline_kernelINS0_14default_configENS1_25partition_config_selectorILNS1_17partition_subalgoE6EiNS0_10empty_typeEbEEZZNS1_14partition_implILS5_6ELb0ES3_mN6thrust23THRUST_200600_302600_NS6detail15normal_iteratorINSA_10device_ptrIiEEEEPS6_SG_NS0_5tupleIJSF_S6_EEENSH_IJSG_SG_EEES6_PlJNSB_9not_fun_tINSB_14equal_to_valueIiEEEEEEE10hipError_tPvRmT3_T4_T5_T6_T7_T9_mT8_P12ihipStream_tbDpT10_ENKUlT_T0_E_clISt17integral_constantIbLb1EES17_IbLb0EEEEDaS13_S14_EUlS13_E_NS1_11comp_targetILNS1_3genE3ELNS1_11target_archE908ELNS1_3gpuE7ELNS1_3repE0EEENS1_30default_config_static_selectorELNS0_4arch9wavefront6targetE0EEEvT1_,comdat
.Lfunc_end488:
	.size	_ZN7rocprim17ROCPRIM_400000_NS6detail17trampoline_kernelINS0_14default_configENS1_25partition_config_selectorILNS1_17partition_subalgoE6EiNS0_10empty_typeEbEEZZNS1_14partition_implILS5_6ELb0ES3_mN6thrust23THRUST_200600_302600_NS6detail15normal_iteratorINSA_10device_ptrIiEEEEPS6_SG_NS0_5tupleIJSF_S6_EEENSH_IJSG_SG_EEES6_PlJNSB_9not_fun_tINSB_14equal_to_valueIiEEEEEEE10hipError_tPvRmT3_T4_T5_T6_T7_T9_mT8_P12ihipStream_tbDpT10_ENKUlT_T0_E_clISt17integral_constantIbLb1EES17_IbLb0EEEEDaS13_S14_EUlS13_E_NS1_11comp_targetILNS1_3genE3ELNS1_11target_archE908ELNS1_3gpuE7ELNS1_3repE0EEENS1_30default_config_static_selectorELNS0_4arch9wavefront6targetE0EEEvT1_, .Lfunc_end488-_ZN7rocprim17ROCPRIM_400000_NS6detail17trampoline_kernelINS0_14default_configENS1_25partition_config_selectorILNS1_17partition_subalgoE6EiNS0_10empty_typeEbEEZZNS1_14partition_implILS5_6ELb0ES3_mN6thrust23THRUST_200600_302600_NS6detail15normal_iteratorINSA_10device_ptrIiEEEEPS6_SG_NS0_5tupleIJSF_S6_EEENSH_IJSG_SG_EEES6_PlJNSB_9not_fun_tINSB_14equal_to_valueIiEEEEEEE10hipError_tPvRmT3_T4_T5_T6_T7_T9_mT8_P12ihipStream_tbDpT10_ENKUlT_T0_E_clISt17integral_constantIbLb1EES17_IbLb0EEEEDaS13_S14_EUlS13_E_NS1_11comp_targetILNS1_3genE3ELNS1_11target_archE908ELNS1_3gpuE7ELNS1_3repE0EEENS1_30default_config_static_selectorELNS0_4arch9wavefront6targetE0EEEvT1_
                                        ; -- End function
	.set _ZN7rocprim17ROCPRIM_400000_NS6detail17trampoline_kernelINS0_14default_configENS1_25partition_config_selectorILNS1_17partition_subalgoE6EiNS0_10empty_typeEbEEZZNS1_14partition_implILS5_6ELb0ES3_mN6thrust23THRUST_200600_302600_NS6detail15normal_iteratorINSA_10device_ptrIiEEEEPS6_SG_NS0_5tupleIJSF_S6_EEENSH_IJSG_SG_EEES6_PlJNSB_9not_fun_tINSB_14equal_to_valueIiEEEEEEE10hipError_tPvRmT3_T4_T5_T6_T7_T9_mT8_P12ihipStream_tbDpT10_ENKUlT_T0_E_clISt17integral_constantIbLb1EES17_IbLb0EEEEDaS13_S14_EUlS13_E_NS1_11comp_targetILNS1_3genE3ELNS1_11target_archE908ELNS1_3gpuE7ELNS1_3repE0EEENS1_30default_config_static_selectorELNS0_4arch9wavefront6targetE0EEEvT1_.num_vgpr, 0
	.set _ZN7rocprim17ROCPRIM_400000_NS6detail17trampoline_kernelINS0_14default_configENS1_25partition_config_selectorILNS1_17partition_subalgoE6EiNS0_10empty_typeEbEEZZNS1_14partition_implILS5_6ELb0ES3_mN6thrust23THRUST_200600_302600_NS6detail15normal_iteratorINSA_10device_ptrIiEEEEPS6_SG_NS0_5tupleIJSF_S6_EEENSH_IJSG_SG_EEES6_PlJNSB_9not_fun_tINSB_14equal_to_valueIiEEEEEEE10hipError_tPvRmT3_T4_T5_T6_T7_T9_mT8_P12ihipStream_tbDpT10_ENKUlT_T0_E_clISt17integral_constantIbLb1EES17_IbLb0EEEEDaS13_S14_EUlS13_E_NS1_11comp_targetILNS1_3genE3ELNS1_11target_archE908ELNS1_3gpuE7ELNS1_3repE0EEENS1_30default_config_static_selectorELNS0_4arch9wavefront6targetE0EEEvT1_.num_agpr, 0
	.set _ZN7rocprim17ROCPRIM_400000_NS6detail17trampoline_kernelINS0_14default_configENS1_25partition_config_selectorILNS1_17partition_subalgoE6EiNS0_10empty_typeEbEEZZNS1_14partition_implILS5_6ELb0ES3_mN6thrust23THRUST_200600_302600_NS6detail15normal_iteratorINSA_10device_ptrIiEEEEPS6_SG_NS0_5tupleIJSF_S6_EEENSH_IJSG_SG_EEES6_PlJNSB_9not_fun_tINSB_14equal_to_valueIiEEEEEEE10hipError_tPvRmT3_T4_T5_T6_T7_T9_mT8_P12ihipStream_tbDpT10_ENKUlT_T0_E_clISt17integral_constantIbLb1EES17_IbLb0EEEEDaS13_S14_EUlS13_E_NS1_11comp_targetILNS1_3genE3ELNS1_11target_archE908ELNS1_3gpuE7ELNS1_3repE0EEENS1_30default_config_static_selectorELNS0_4arch9wavefront6targetE0EEEvT1_.numbered_sgpr, 0
	.set _ZN7rocprim17ROCPRIM_400000_NS6detail17trampoline_kernelINS0_14default_configENS1_25partition_config_selectorILNS1_17partition_subalgoE6EiNS0_10empty_typeEbEEZZNS1_14partition_implILS5_6ELb0ES3_mN6thrust23THRUST_200600_302600_NS6detail15normal_iteratorINSA_10device_ptrIiEEEEPS6_SG_NS0_5tupleIJSF_S6_EEENSH_IJSG_SG_EEES6_PlJNSB_9not_fun_tINSB_14equal_to_valueIiEEEEEEE10hipError_tPvRmT3_T4_T5_T6_T7_T9_mT8_P12ihipStream_tbDpT10_ENKUlT_T0_E_clISt17integral_constantIbLb1EES17_IbLb0EEEEDaS13_S14_EUlS13_E_NS1_11comp_targetILNS1_3genE3ELNS1_11target_archE908ELNS1_3gpuE7ELNS1_3repE0EEENS1_30default_config_static_selectorELNS0_4arch9wavefront6targetE0EEEvT1_.num_named_barrier, 0
	.set _ZN7rocprim17ROCPRIM_400000_NS6detail17trampoline_kernelINS0_14default_configENS1_25partition_config_selectorILNS1_17partition_subalgoE6EiNS0_10empty_typeEbEEZZNS1_14partition_implILS5_6ELb0ES3_mN6thrust23THRUST_200600_302600_NS6detail15normal_iteratorINSA_10device_ptrIiEEEEPS6_SG_NS0_5tupleIJSF_S6_EEENSH_IJSG_SG_EEES6_PlJNSB_9not_fun_tINSB_14equal_to_valueIiEEEEEEE10hipError_tPvRmT3_T4_T5_T6_T7_T9_mT8_P12ihipStream_tbDpT10_ENKUlT_T0_E_clISt17integral_constantIbLb1EES17_IbLb0EEEEDaS13_S14_EUlS13_E_NS1_11comp_targetILNS1_3genE3ELNS1_11target_archE908ELNS1_3gpuE7ELNS1_3repE0EEENS1_30default_config_static_selectorELNS0_4arch9wavefront6targetE0EEEvT1_.private_seg_size, 0
	.set _ZN7rocprim17ROCPRIM_400000_NS6detail17trampoline_kernelINS0_14default_configENS1_25partition_config_selectorILNS1_17partition_subalgoE6EiNS0_10empty_typeEbEEZZNS1_14partition_implILS5_6ELb0ES3_mN6thrust23THRUST_200600_302600_NS6detail15normal_iteratorINSA_10device_ptrIiEEEEPS6_SG_NS0_5tupleIJSF_S6_EEENSH_IJSG_SG_EEES6_PlJNSB_9not_fun_tINSB_14equal_to_valueIiEEEEEEE10hipError_tPvRmT3_T4_T5_T6_T7_T9_mT8_P12ihipStream_tbDpT10_ENKUlT_T0_E_clISt17integral_constantIbLb1EES17_IbLb0EEEEDaS13_S14_EUlS13_E_NS1_11comp_targetILNS1_3genE3ELNS1_11target_archE908ELNS1_3gpuE7ELNS1_3repE0EEENS1_30default_config_static_selectorELNS0_4arch9wavefront6targetE0EEEvT1_.uses_vcc, 0
	.set _ZN7rocprim17ROCPRIM_400000_NS6detail17trampoline_kernelINS0_14default_configENS1_25partition_config_selectorILNS1_17partition_subalgoE6EiNS0_10empty_typeEbEEZZNS1_14partition_implILS5_6ELb0ES3_mN6thrust23THRUST_200600_302600_NS6detail15normal_iteratorINSA_10device_ptrIiEEEEPS6_SG_NS0_5tupleIJSF_S6_EEENSH_IJSG_SG_EEES6_PlJNSB_9not_fun_tINSB_14equal_to_valueIiEEEEEEE10hipError_tPvRmT3_T4_T5_T6_T7_T9_mT8_P12ihipStream_tbDpT10_ENKUlT_T0_E_clISt17integral_constantIbLb1EES17_IbLb0EEEEDaS13_S14_EUlS13_E_NS1_11comp_targetILNS1_3genE3ELNS1_11target_archE908ELNS1_3gpuE7ELNS1_3repE0EEENS1_30default_config_static_selectorELNS0_4arch9wavefront6targetE0EEEvT1_.uses_flat_scratch, 0
	.set _ZN7rocprim17ROCPRIM_400000_NS6detail17trampoline_kernelINS0_14default_configENS1_25partition_config_selectorILNS1_17partition_subalgoE6EiNS0_10empty_typeEbEEZZNS1_14partition_implILS5_6ELb0ES3_mN6thrust23THRUST_200600_302600_NS6detail15normal_iteratorINSA_10device_ptrIiEEEEPS6_SG_NS0_5tupleIJSF_S6_EEENSH_IJSG_SG_EEES6_PlJNSB_9not_fun_tINSB_14equal_to_valueIiEEEEEEE10hipError_tPvRmT3_T4_T5_T6_T7_T9_mT8_P12ihipStream_tbDpT10_ENKUlT_T0_E_clISt17integral_constantIbLb1EES17_IbLb0EEEEDaS13_S14_EUlS13_E_NS1_11comp_targetILNS1_3genE3ELNS1_11target_archE908ELNS1_3gpuE7ELNS1_3repE0EEENS1_30default_config_static_selectorELNS0_4arch9wavefront6targetE0EEEvT1_.has_dyn_sized_stack, 0
	.set _ZN7rocprim17ROCPRIM_400000_NS6detail17trampoline_kernelINS0_14default_configENS1_25partition_config_selectorILNS1_17partition_subalgoE6EiNS0_10empty_typeEbEEZZNS1_14partition_implILS5_6ELb0ES3_mN6thrust23THRUST_200600_302600_NS6detail15normal_iteratorINSA_10device_ptrIiEEEEPS6_SG_NS0_5tupleIJSF_S6_EEENSH_IJSG_SG_EEES6_PlJNSB_9not_fun_tINSB_14equal_to_valueIiEEEEEEE10hipError_tPvRmT3_T4_T5_T6_T7_T9_mT8_P12ihipStream_tbDpT10_ENKUlT_T0_E_clISt17integral_constantIbLb1EES17_IbLb0EEEEDaS13_S14_EUlS13_E_NS1_11comp_targetILNS1_3genE3ELNS1_11target_archE908ELNS1_3gpuE7ELNS1_3repE0EEENS1_30default_config_static_selectorELNS0_4arch9wavefront6targetE0EEEvT1_.has_recursion, 0
	.set _ZN7rocprim17ROCPRIM_400000_NS6detail17trampoline_kernelINS0_14default_configENS1_25partition_config_selectorILNS1_17partition_subalgoE6EiNS0_10empty_typeEbEEZZNS1_14partition_implILS5_6ELb0ES3_mN6thrust23THRUST_200600_302600_NS6detail15normal_iteratorINSA_10device_ptrIiEEEEPS6_SG_NS0_5tupleIJSF_S6_EEENSH_IJSG_SG_EEES6_PlJNSB_9not_fun_tINSB_14equal_to_valueIiEEEEEEE10hipError_tPvRmT3_T4_T5_T6_T7_T9_mT8_P12ihipStream_tbDpT10_ENKUlT_T0_E_clISt17integral_constantIbLb1EES17_IbLb0EEEEDaS13_S14_EUlS13_E_NS1_11comp_targetILNS1_3genE3ELNS1_11target_archE908ELNS1_3gpuE7ELNS1_3repE0EEENS1_30default_config_static_selectorELNS0_4arch9wavefront6targetE0EEEvT1_.has_indirect_call, 0
	.section	.AMDGPU.csdata,"",@progbits
; Kernel info:
; codeLenInByte = 0
; TotalNumSgprs: 0
; NumVgprs: 0
; ScratchSize: 0
; MemoryBound: 0
; FloatMode: 240
; IeeeMode: 1
; LDSByteSize: 0 bytes/workgroup (compile time only)
; SGPRBlocks: 0
; VGPRBlocks: 0
; NumSGPRsForWavesPerEU: 1
; NumVGPRsForWavesPerEU: 1
; Occupancy: 16
; WaveLimiterHint : 0
; COMPUTE_PGM_RSRC2:SCRATCH_EN: 0
; COMPUTE_PGM_RSRC2:USER_SGPR: 2
; COMPUTE_PGM_RSRC2:TRAP_HANDLER: 0
; COMPUTE_PGM_RSRC2:TGID_X_EN: 1
; COMPUTE_PGM_RSRC2:TGID_Y_EN: 0
; COMPUTE_PGM_RSRC2:TGID_Z_EN: 0
; COMPUTE_PGM_RSRC2:TIDIG_COMP_CNT: 0
	.section	.text._ZN7rocprim17ROCPRIM_400000_NS6detail17trampoline_kernelINS0_14default_configENS1_25partition_config_selectorILNS1_17partition_subalgoE6EiNS0_10empty_typeEbEEZZNS1_14partition_implILS5_6ELb0ES3_mN6thrust23THRUST_200600_302600_NS6detail15normal_iteratorINSA_10device_ptrIiEEEEPS6_SG_NS0_5tupleIJSF_S6_EEENSH_IJSG_SG_EEES6_PlJNSB_9not_fun_tINSB_14equal_to_valueIiEEEEEEE10hipError_tPvRmT3_T4_T5_T6_T7_T9_mT8_P12ihipStream_tbDpT10_ENKUlT_T0_E_clISt17integral_constantIbLb1EES17_IbLb0EEEEDaS13_S14_EUlS13_E_NS1_11comp_targetILNS1_3genE2ELNS1_11target_archE906ELNS1_3gpuE6ELNS1_3repE0EEENS1_30default_config_static_selectorELNS0_4arch9wavefront6targetE0EEEvT1_,"axG",@progbits,_ZN7rocprim17ROCPRIM_400000_NS6detail17trampoline_kernelINS0_14default_configENS1_25partition_config_selectorILNS1_17partition_subalgoE6EiNS0_10empty_typeEbEEZZNS1_14partition_implILS5_6ELb0ES3_mN6thrust23THRUST_200600_302600_NS6detail15normal_iteratorINSA_10device_ptrIiEEEEPS6_SG_NS0_5tupleIJSF_S6_EEENSH_IJSG_SG_EEES6_PlJNSB_9not_fun_tINSB_14equal_to_valueIiEEEEEEE10hipError_tPvRmT3_T4_T5_T6_T7_T9_mT8_P12ihipStream_tbDpT10_ENKUlT_T0_E_clISt17integral_constantIbLb1EES17_IbLb0EEEEDaS13_S14_EUlS13_E_NS1_11comp_targetILNS1_3genE2ELNS1_11target_archE906ELNS1_3gpuE6ELNS1_3repE0EEENS1_30default_config_static_selectorELNS0_4arch9wavefront6targetE0EEEvT1_,comdat
	.protected	_ZN7rocprim17ROCPRIM_400000_NS6detail17trampoline_kernelINS0_14default_configENS1_25partition_config_selectorILNS1_17partition_subalgoE6EiNS0_10empty_typeEbEEZZNS1_14partition_implILS5_6ELb0ES3_mN6thrust23THRUST_200600_302600_NS6detail15normal_iteratorINSA_10device_ptrIiEEEEPS6_SG_NS0_5tupleIJSF_S6_EEENSH_IJSG_SG_EEES6_PlJNSB_9not_fun_tINSB_14equal_to_valueIiEEEEEEE10hipError_tPvRmT3_T4_T5_T6_T7_T9_mT8_P12ihipStream_tbDpT10_ENKUlT_T0_E_clISt17integral_constantIbLb1EES17_IbLb0EEEEDaS13_S14_EUlS13_E_NS1_11comp_targetILNS1_3genE2ELNS1_11target_archE906ELNS1_3gpuE6ELNS1_3repE0EEENS1_30default_config_static_selectorELNS0_4arch9wavefront6targetE0EEEvT1_ ; -- Begin function _ZN7rocprim17ROCPRIM_400000_NS6detail17trampoline_kernelINS0_14default_configENS1_25partition_config_selectorILNS1_17partition_subalgoE6EiNS0_10empty_typeEbEEZZNS1_14partition_implILS5_6ELb0ES3_mN6thrust23THRUST_200600_302600_NS6detail15normal_iteratorINSA_10device_ptrIiEEEEPS6_SG_NS0_5tupleIJSF_S6_EEENSH_IJSG_SG_EEES6_PlJNSB_9not_fun_tINSB_14equal_to_valueIiEEEEEEE10hipError_tPvRmT3_T4_T5_T6_T7_T9_mT8_P12ihipStream_tbDpT10_ENKUlT_T0_E_clISt17integral_constantIbLb1EES17_IbLb0EEEEDaS13_S14_EUlS13_E_NS1_11comp_targetILNS1_3genE2ELNS1_11target_archE906ELNS1_3gpuE6ELNS1_3repE0EEENS1_30default_config_static_selectorELNS0_4arch9wavefront6targetE0EEEvT1_
	.globl	_ZN7rocprim17ROCPRIM_400000_NS6detail17trampoline_kernelINS0_14default_configENS1_25partition_config_selectorILNS1_17partition_subalgoE6EiNS0_10empty_typeEbEEZZNS1_14partition_implILS5_6ELb0ES3_mN6thrust23THRUST_200600_302600_NS6detail15normal_iteratorINSA_10device_ptrIiEEEEPS6_SG_NS0_5tupleIJSF_S6_EEENSH_IJSG_SG_EEES6_PlJNSB_9not_fun_tINSB_14equal_to_valueIiEEEEEEE10hipError_tPvRmT3_T4_T5_T6_T7_T9_mT8_P12ihipStream_tbDpT10_ENKUlT_T0_E_clISt17integral_constantIbLb1EES17_IbLb0EEEEDaS13_S14_EUlS13_E_NS1_11comp_targetILNS1_3genE2ELNS1_11target_archE906ELNS1_3gpuE6ELNS1_3repE0EEENS1_30default_config_static_selectorELNS0_4arch9wavefront6targetE0EEEvT1_
	.p2align	8
	.type	_ZN7rocprim17ROCPRIM_400000_NS6detail17trampoline_kernelINS0_14default_configENS1_25partition_config_selectorILNS1_17partition_subalgoE6EiNS0_10empty_typeEbEEZZNS1_14partition_implILS5_6ELb0ES3_mN6thrust23THRUST_200600_302600_NS6detail15normal_iteratorINSA_10device_ptrIiEEEEPS6_SG_NS0_5tupleIJSF_S6_EEENSH_IJSG_SG_EEES6_PlJNSB_9not_fun_tINSB_14equal_to_valueIiEEEEEEE10hipError_tPvRmT3_T4_T5_T6_T7_T9_mT8_P12ihipStream_tbDpT10_ENKUlT_T0_E_clISt17integral_constantIbLb1EES17_IbLb0EEEEDaS13_S14_EUlS13_E_NS1_11comp_targetILNS1_3genE2ELNS1_11target_archE906ELNS1_3gpuE6ELNS1_3repE0EEENS1_30default_config_static_selectorELNS0_4arch9wavefront6targetE0EEEvT1_,@function
_ZN7rocprim17ROCPRIM_400000_NS6detail17trampoline_kernelINS0_14default_configENS1_25partition_config_selectorILNS1_17partition_subalgoE6EiNS0_10empty_typeEbEEZZNS1_14partition_implILS5_6ELb0ES3_mN6thrust23THRUST_200600_302600_NS6detail15normal_iteratorINSA_10device_ptrIiEEEEPS6_SG_NS0_5tupleIJSF_S6_EEENSH_IJSG_SG_EEES6_PlJNSB_9not_fun_tINSB_14equal_to_valueIiEEEEEEE10hipError_tPvRmT3_T4_T5_T6_T7_T9_mT8_P12ihipStream_tbDpT10_ENKUlT_T0_E_clISt17integral_constantIbLb1EES17_IbLb0EEEEDaS13_S14_EUlS13_E_NS1_11comp_targetILNS1_3genE2ELNS1_11target_archE906ELNS1_3gpuE6ELNS1_3repE0EEENS1_30default_config_static_selectorELNS0_4arch9wavefront6targetE0EEEvT1_: ; @_ZN7rocprim17ROCPRIM_400000_NS6detail17trampoline_kernelINS0_14default_configENS1_25partition_config_selectorILNS1_17partition_subalgoE6EiNS0_10empty_typeEbEEZZNS1_14partition_implILS5_6ELb0ES3_mN6thrust23THRUST_200600_302600_NS6detail15normal_iteratorINSA_10device_ptrIiEEEEPS6_SG_NS0_5tupleIJSF_S6_EEENSH_IJSG_SG_EEES6_PlJNSB_9not_fun_tINSB_14equal_to_valueIiEEEEEEE10hipError_tPvRmT3_T4_T5_T6_T7_T9_mT8_P12ihipStream_tbDpT10_ENKUlT_T0_E_clISt17integral_constantIbLb1EES17_IbLb0EEEEDaS13_S14_EUlS13_E_NS1_11comp_targetILNS1_3genE2ELNS1_11target_archE906ELNS1_3gpuE6ELNS1_3repE0EEENS1_30default_config_static_selectorELNS0_4arch9wavefront6targetE0EEEvT1_
; %bb.0:
	.section	.rodata,"a",@progbits
	.p2align	6, 0x0
	.amdhsa_kernel _ZN7rocprim17ROCPRIM_400000_NS6detail17trampoline_kernelINS0_14default_configENS1_25partition_config_selectorILNS1_17partition_subalgoE6EiNS0_10empty_typeEbEEZZNS1_14partition_implILS5_6ELb0ES3_mN6thrust23THRUST_200600_302600_NS6detail15normal_iteratorINSA_10device_ptrIiEEEEPS6_SG_NS0_5tupleIJSF_S6_EEENSH_IJSG_SG_EEES6_PlJNSB_9not_fun_tINSB_14equal_to_valueIiEEEEEEE10hipError_tPvRmT3_T4_T5_T6_T7_T9_mT8_P12ihipStream_tbDpT10_ENKUlT_T0_E_clISt17integral_constantIbLb1EES17_IbLb0EEEEDaS13_S14_EUlS13_E_NS1_11comp_targetILNS1_3genE2ELNS1_11target_archE906ELNS1_3gpuE6ELNS1_3repE0EEENS1_30default_config_static_selectorELNS0_4arch9wavefront6targetE0EEEvT1_
		.amdhsa_group_segment_fixed_size 0
		.amdhsa_private_segment_fixed_size 0
		.amdhsa_kernarg_size 120
		.amdhsa_user_sgpr_count 2
		.amdhsa_user_sgpr_dispatch_ptr 0
		.amdhsa_user_sgpr_queue_ptr 0
		.amdhsa_user_sgpr_kernarg_segment_ptr 1
		.amdhsa_user_sgpr_dispatch_id 0
		.amdhsa_user_sgpr_private_segment_size 0
		.amdhsa_wavefront_size32 1
		.amdhsa_uses_dynamic_stack 0
		.amdhsa_enable_private_segment 0
		.amdhsa_system_sgpr_workgroup_id_x 1
		.amdhsa_system_sgpr_workgroup_id_y 0
		.amdhsa_system_sgpr_workgroup_id_z 0
		.amdhsa_system_sgpr_workgroup_info 0
		.amdhsa_system_vgpr_workitem_id 0
		.amdhsa_next_free_vgpr 1
		.amdhsa_next_free_sgpr 1
		.amdhsa_reserve_vcc 0
		.amdhsa_float_round_mode_32 0
		.amdhsa_float_round_mode_16_64 0
		.amdhsa_float_denorm_mode_32 3
		.amdhsa_float_denorm_mode_16_64 3
		.amdhsa_fp16_overflow 0
		.amdhsa_workgroup_processor_mode 1
		.amdhsa_memory_ordered 1
		.amdhsa_forward_progress 1
		.amdhsa_inst_pref_size 0
		.amdhsa_round_robin_scheduling 0
		.amdhsa_exception_fp_ieee_invalid_op 0
		.amdhsa_exception_fp_denorm_src 0
		.amdhsa_exception_fp_ieee_div_zero 0
		.amdhsa_exception_fp_ieee_overflow 0
		.amdhsa_exception_fp_ieee_underflow 0
		.amdhsa_exception_fp_ieee_inexact 0
		.amdhsa_exception_int_div_zero 0
	.end_amdhsa_kernel
	.section	.text._ZN7rocprim17ROCPRIM_400000_NS6detail17trampoline_kernelINS0_14default_configENS1_25partition_config_selectorILNS1_17partition_subalgoE6EiNS0_10empty_typeEbEEZZNS1_14partition_implILS5_6ELb0ES3_mN6thrust23THRUST_200600_302600_NS6detail15normal_iteratorINSA_10device_ptrIiEEEEPS6_SG_NS0_5tupleIJSF_S6_EEENSH_IJSG_SG_EEES6_PlJNSB_9not_fun_tINSB_14equal_to_valueIiEEEEEEE10hipError_tPvRmT3_T4_T5_T6_T7_T9_mT8_P12ihipStream_tbDpT10_ENKUlT_T0_E_clISt17integral_constantIbLb1EES17_IbLb0EEEEDaS13_S14_EUlS13_E_NS1_11comp_targetILNS1_3genE2ELNS1_11target_archE906ELNS1_3gpuE6ELNS1_3repE0EEENS1_30default_config_static_selectorELNS0_4arch9wavefront6targetE0EEEvT1_,"axG",@progbits,_ZN7rocprim17ROCPRIM_400000_NS6detail17trampoline_kernelINS0_14default_configENS1_25partition_config_selectorILNS1_17partition_subalgoE6EiNS0_10empty_typeEbEEZZNS1_14partition_implILS5_6ELb0ES3_mN6thrust23THRUST_200600_302600_NS6detail15normal_iteratorINSA_10device_ptrIiEEEEPS6_SG_NS0_5tupleIJSF_S6_EEENSH_IJSG_SG_EEES6_PlJNSB_9not_fun_tINSB_14equal_to_valueIiEEEEEEE10hipError_tPvRmT3_T4_T5_T6_T7_T9_mT8_P12ihipStream_tbDpT10_ENKUlT_T0_E_clISt17integral_constantIbLb1EES17_IbLb0EEEEDaS13_S14_EUlS13_E_NS1_11comp_targetILNS1_3genE2ELNS1_11target_archE906ELNS1_3gpuE6ELNS1_3repE0EEENS1_30default_config_static_selectorELNS0_4arch9wavefront6targetE0EEEvT1_,comdat
.Lfunc_end489:
	.size	_ZN7rocprim17ROCPRIM_400000_NS6detail17trampoline_kernelINS0_14default_configENS1_25partition_config_selectorILNS1_17partition_subalgoE6EiNS0_10empty_typeEbEEZZNS1_14partition_implILS5_6ELb0ES3_mN6thrust23THRUST_200600_302600_NS6detail15normal_iteratorINSA_10device_ptrIiEEEEPS6_SG_NS0_5tupleIJSF_S6_EEENSH_IJSG_SG_EEES6_PlJNSB_9not_fun_tINSB_14equal_to_valueIiEEEEEEE10hipError_tPvRmT3_T4_T5_T6_T7_T9_mT8_P12ihipStream_tbDpT10_ENKUlT_T0_E_clISt17integral_constantIbLb1EES17_IbLb0EEEEDaS13_S14_EUlS13_E_NS1_11comp_targetILNS1_3genE2ELNS1_11target_archE906ELNS1_3gpuE6ELNS1_3repE0EEENS1_30default_config_static_selectorELNS0_4arch9wavefront6targetE0EEEvT1_, .Lfunc_end489-_ZN7rocprim17ROCPRIM_400000_NS6detail17trampoline_kernelINS0_14default_configENS1_25partition_config_selectorILNS1_17partition_subalgoE6EiNS0_10empty_typeEbEEZZNS1_14partition_implILS5_6ELb0ES3_mN6thrust23THRUST_200600_302600_NS6detail15normal_iteratorINSA_10device_ptrIiEEEEPS6_SG_NS0_5tupleIJSF_S6_EEENSH_IJSG_SG_EEES6_PlJNSB_9not_fun_tINSB_14equal_to_valueIiEEEEEEE10hipError_tPvRmT3_T4_T5_T6_T7_T9_mT8_P12ihipStream_tbDpT10_ENKUlT_T0_E_clISt17integral_constantIbLb1EES17_IbLb0EEEEDaS13_S14_EUlS13_E_NS1_11comp_targetILNS1_3genE2ELNS1_11target_archE906ELNS1_3gpuE6ELNS1_3repE0EEENS1_30default_config_static_selectorELNS0_4arch9wavefront6targetE0EEEvT1_
                                        ; -- End function
	.set _ZN7rocprim17ROCPRIM_400000_NS6detail17trampoline_kernelINS0_14default_configENS1_25partition_config_selectorILNS1_17partition_subalgoE6EiNS0_10empty_typeEbEEZZNS1_14partition_implILS5_6ELb0ES3_mN6thrust23THRUST_200600_302600_NS6detail15normal_iteratorINSA_10device_ptrIiEEEEPS6_SG_NS0_5tupleIJSF_S6_EEENSH_IJSG_SG_EEES6_PlJNSB_9not_fun_tINSB_14equal_to_valueIiEEEEEEE10hipError_tPvRmT3_T4_T5_T6_T7_T9_mT8_P12ihipStream_tbDpT10_ENKUlT_T0_E_clISt17integral_constantIbLb1EES17_IbLb0EEEEDaS13_S14_EUlS13_E_NS1_11comp_targetILNS1_3genE2ELNS1_11target_archE906ELNS1_3gpuE6ELNS1_3repE0EEENS1_30default_config_static_selectorELNS0_4arch9wavefront6targetE0EEEvT1_.num_vgpr, 0
	.set _ZN7rocprim17ROCPRIM_400000_NS6detail17trampoline_kernelINS0_14default_configENS1_25partition_config_selectorILNS1_17partition_subalgoE6EiNS0_10empty_typeEbEEZZNS1_14partition_implILS5_6ELb0ES3_mN6thrust23THRUST_200600_302600_NS6detail15normal_iteratorINSA_10device_ptrIiEEEEPS6_SG_NS0_5tupleIJSF_S6_EEENSH_IJSG_SG_EEES6_PlJNSB_9not_fun_tINSB_14equal_to_valueIiEEEEEEE10hipError_tPvRmT3_T4_T5_T6_T7_T9_mT8_P12ihipStream_tbDpT10_ENKUlT_T0_E_clISt17integral_constantIbLb1EES17_IbLb0EEEEDaS13_S14_EUlS13_E_NS1_11comp_targetILNS1_3genE2ELNS1_11target_archE906ELNS1_3gpuE6ELNS1_3repE0EEENS1_30default_config_static_selectorELNS0_4arch9wavefront6targetE0EEEvT1_.num_agpr, 0
	.set _ZN7rocprim17ROCPRIM_400000_NS6detail17trampoline_kernelINS0_14default_configENS1_25partition_config_selectorILNS1_17partition_subalgoE6EiNS0_10empty_typeEbEEZZNS1_14partition_implILS5_6ELb0ES3_mN6thrust23THRUST_200600_302600_NS6detail15normal_iteratorINSA_10device_ptrIiEEEEPS6_SG_NS0_5tupleIJSF_S6_EEENSH_IJSG_SG_EEES6_PlJNSB_9not_fun_tINSB_14equal_to_valueIiEEEEEEE10hipError_tPvRmT3_T4_T5_T6_T7_T9_mT8_P12ihipStream_tbDpT10_ENKUlT_T0_E_clISt17integral_constantIbLb1EES17_IbLb0EEEEDaS13_S14_EUlS13_E_NS1_11comp_targetILNS1_3genE2ELNS1_11target_archE906ELNS1_3gpuE6ELNS1_3repE0EEENS1_30default_config_static_selectorELNS0_4arch9wavefront6targetE0EEEvT1_.numbered_sgpr, 0
	.set _ZN7rocprim17ROCPRIM_400000_NS6detail17trampoline_kernelINS0_14default_configENS1_25partition_config_selectorILNS1_17partition_subalgoE6EiNS0_10empty_typeEbEEZZNS1_14partition_implILS5_6ELb0ES3_mN6thrust23THRUST_200600_302600_NS6detail15normal_iteratorINSA_10device_ptrIiEEEEPS6_SG_NS0_5tupleIJSF_S6_EEENSH_IJSG_SG_EEES6_PlJNSB_9not_fun_tINSB_14equal_to_valueIiEEEEEEE10hipError_tPvRmT3_T4_T5_T6_T7_T9_mT8_P12ihipStream_tbDpT10_ENKUlT_T0_E_clISt17integral_constantIbLb1EES17_IbLb0EEEEDaS13_S14_EUlS13_E_NS1_11comp_targetILNS1_3genE2ELNS1_11target_archE906ELNS1_3gpuE6ELNS1_3repE0EEENS1_30default_config_static_selectorELNS0_4arch9wavefront6targetE0EEEvT1_.num_named_barrier, 0
	.set _ZN7rocprim17ROCPRIM_400000_NS6detail17trampoline_kernelINS0_14default_configENS1_25partition_config_selectorILNS1_17partition_subalgoE6EiNS0_10empty_typeEbEEZZNS1_14partition_implILS5_6ELb0ES3_mN6thrust23THRUST_200600_302600_NS6detail15normal_iteratorINSA_10device_ptrIiEEEEPS6_SG_NS0_5tupleIJSF_S6_EEENSH_IJSG_SG_EEES6_PlJNSB_9not_fun_tINSB_14equal_to_valueIiEEEEEEE10hipError_tPvRmT3_T4_T5_T6_T7_T9_mT8_P12ihipStream_tbDpT10_ENKUlT_T0_E_clISt17integral_constantIbLb1EES17_IbLb0EEEEDaS13_S14_EUlS13_E_NS1_11comp_targetILNS1_3genE2ELNS1_11target_archE906ELNS1_3gpuE6ELNS1_3repE0EEENS1_30default_config_static_selectorELNS0_4arch9wavefront6targetE0EEEvT1_.private_seg_size, 0
	.set _ZN7rocprim17ROCPRIM_400000_NS6detail17trampoline_kernelINS0_14default_configENS1_25partition_config_selectorILNS1_17partition_subalgoE6EiNS0_10empty_typeEbEEZZNS1_14partition_implILS5_6ELb0ES3_mN6thrust23THRUST_200600_302600_NS6detail15normal_iteratorINSA_10device_ptrIiEEEEPS6_SG_NS0_5tupleIJSF_S6_EEENSH_IJSG_SG_EEES6_PlJNSB_9not_fun_tINSB_14equal_to_valueIiEEEEEEE10hipError_tPvRmT3_T4_T5_T6_T7_T9_mT8_P12ihipStream_tbDpT10_ENKUlT_T0_E_clISt17integral_constantIbLb1EES17_IbLb0EEEEDaS13_S14_EUlS13_E_NS1_11comp_targetILNS1_3genE2ELNS1_11target_archE906ELNS1_3gpuE6ELNS1_3repE0EEENS1_30default_config_static_selectorELNS0_4arch9wavefront6targetE0EEEvT1_.uses_vcc, 0
	.set _ZN7rocprim17ROCPRIM_400000_NS6detail17trampoline_kernelINS0_14default_configENS1_25partition_config_selectorILNS1_17partition_subalgoE6EiNS0_10empty_typeEbEEZZNS1_14partition_implILS5_6ELb0ES3_mN6thrust23THRUST_200600_302600_NS6detail15normal_iteratorINSA_10device_ptrIiEEEEPS6_SG_NS0_5tupleIJSF_S6_EEENSH_IJSG_SG_EEES6_PlJNSB_9not_fun_tINSB_14equal_to_valueIiEEEEEEE10hipError_tPvRmT3_T4_T5_T6_T7_T9_mT8_P12ihipStream_tbDpT10_ENKUlT_T0_E_clISt17integral_constantIbLb1EES17_IbLb0EEEEDaS13_S14_EUlS13_E_NS1_11comp_targetILNS1_3genE2ELNS1_11target_archE906ELNS1_3gpuE6ELNS1_3repE0EEENS1_30default_config_static_selectorELNS0_4arch9wavefront6targetE0EEEvT1_.uses_flat_scratch, 0
	.set _ZN7rocprim17ROCPRIM_400000_NS6detail17trampoline_kernelINS0_14default_configENS1_25partition_config_selectorILNS1_17partition_subalgoE6EiNS0_10empty_typeEbEEZZNS1_14partition_implILS5_6ELb0ES3_mN6thrust23THRUST_200600_302600_NS6detail15normal_iteratorINSA_10device_ptrIiEEEEPS6_SG_NS0_5tupleIJSF_S6_EEENSH_IJSG_SG_EEES6_PlJNSB_9not_fun_tINSB_14equal_to_valueIiEEEEEEE10hipError_tPvRmT3_T4_T5_T6_T7_T9_mT8_P12ihipStream_tbDpT10_ENKUlT_T0_E_clISt17integral_constantIbLb1EES17_IbLb0EEEEDaS13_S14_EUlS13_E_NS1_11comp_targetILNS1_3genE2ELNS1_11target_archE906ELNS1_3gpuE6ELNS1_3repE0EEENS1_30default_config_static_selectorELNS0_4arch9wavefront6targetE0EEEvT1_.has_dyn_sized_stack, 0
	.set _ZN7rocprim17ROCPRIM_400000_NS6detail17trampoline_kernelINS0_14default_configENS1_25partition_config_selectorILNS1_17partition_subalgoE6EiNS0_10empty_typeEbEEZZNS1_14partition_implILS5_6ELb0ES3_mN6thrust23THRUST_200600_302600_NS6detail15normal_iteratorINSA_10device_ptrIiEEEEPS6_SG_NS0_5tupleIJSF_S6_EEENSH_IJSG_SG_EEES6_PlJNSB_9not_fun_tINSB_14equal_to_valueIiEEEEEEE10hipError_tPvRmT3_T4_T5_T6_T7_T9_mT8_P12ihipStream_tbDpT10_ENKUlT_T0_E_clISt17integral_constantIbLb1EES17_IbLb0EEEEDaS13_S14_EUlS13_E_NS1_11comp_targetILNS1_3genE2ELNS1_11target_archE906ELNS1_3gpuE6ELNS1_3repE0EEENS1_30default_config_static_selectorELNS0_4arch9wavefront6targetE0EEEvT1_.has_recursion, 0
	.set _ZN7rocprim17ROCPRIM_400000_NS6detail17trampoline_kernelINS0_14default_configENS1_25partition_config_selectorILNS1_17partition_subalgoE6EiNS0_10empty_typeEbEEZZNS1_14partition_implILS5_6ELb0ES3_mN6thrust23THRUST_200600_302600_NS6detail15normal_iteratorINSA_10device_ptrIiEEEEPS6_SG_NS0_5tupleIJSF_S6_EEENSH_IJSG_SG_EEES6_PlJNSB_9not_fun_tINSB_14equal_to_valueIiEEEEEEE10hipError_tPvRmT3_T4_T5_T6_T7_T9_mT8_P12ihipStream_tbDpT10_ENKUlT_T0_E_clISt17integral_constantIbLb1EES17_IbLb0EEEEDaS13_S14_EUlS13_E_NS1_11comp_targetILNS1_3genE2ELNS1_11target_archE906ELNS1_3gpuE6ELNS1_3repE0EEENS1_30default_config_static_selectorELNS0_4arch9wavefront6targetE0EEEvT1_.has_indirect_call, 0
	.section	.AMDGPU.csdata,"",@progbits
; Kernel info:
; codeLenInByte = 0
; TotalNumSgprs: 0
; NumVgprs: 0
; ScratchSize: 0
; MemoryBound: 0
; FloatMode: 240
; IeeeMode: 1
; LDSByteSize: 0 bytes/workgroup (compile time only)
; SGPRBlocks: 0
; VGPRBlocks: 0
; NumSGPRsForWavesPerEU: 1
; NumVGPRsForWavesPerEU: 1
; Occupancy: 16
; WaveLimiterHint : 0
; COMPUTE_PGM_RSRC2:SCRATCH_EN: 0
; COMPUTE_PGM_RSRC2:USER_SGPR: 2
; COMPUTE_PGM_RSRC2:TRAP_HANDLER: 0
; COMPUTE_PGM_RSRC2:TGID_X_EN: 1
; COMPUTE_PGM_RSRC2:TGID_Y_EN: 0
; COMPUTE_PGM_RSRC2:TGID_Z_EN: 0
; COMPUTE_PGM_RSRC2:TIDIG_COMP_CNT: 0
	.section	.text._ZN7rocprim17ROCPRIM_400000_NS6detail17trampoline_kernelINS0_14default_configENS1_25partition_config_selectorILNS1_17partition_subalgoE6EiNS0_10empty_typeEbEEZZNS1_14partition_implILS5_6ELb0ES3_mN6thrust23THRUST_200600_302600_NS6detail15normal_iteratorINSA_10device_ptrIiEEEEPS6_SG_NS0_5tupleIJSF_S6_EEENSH_IJSG_SG_EEES6_PlJNSB_9not_fun_tINSB_14equal_to_valueIiEEEEEEE10hipError_tPvRmT3_T4_T5_T6_T7_T9_mT8_P12ihipStream_tbDpT10_ENKUlT_T0_E_clISt17integral_constantIbLb1EES17_IbLb0EEEEDaS13_S14_EUlS13_E_NS1_11comp_targetILNS1_3genE10ELNS1_11target_archE1200ELNS1_3gpuE4ELNS1_3repE0EEENS1_30default_config_static_selectorELNS0_4arch9wavefront6targetE0EEEvT1_,"axG",@progbits,_ZN7rocprim17ROCPRIM_400000_NS6detail17trampoline_kernelINS0_14default_configENS1_25partition_config_selectorILNS1_17partition_subalgoE6EiNS0_10empty_typeEbEEZZNS1_14partition_implILS5_6ELb0ES3_mN6thrust23THRUST_200600_302600_NS6detail15normal_iteratorINSA_10device_ptrIiEEEEPS6_SG_NS0_5tupleIJSF_S6_EEENSH_IJSG_SG_EEES6_PlJNSB_9not_fun_tINSB_14equal_to_valueIiEEEEEEE10hipError_tPvRmT3_T4_T5_T6_T7_T9_mT8_P12ihipStream_tbDpT10_ENKUlT_T0_E_clISt17integral_constantIbLb1EES17_IbLb0EEEEDaS13_S14_EUlS13_E_NS1_11comp_targetILNS1_3genE10ELNS1_11target_archE1200ELNS1_3gpuE4ELNS1_3repE0EEENS1_30default_config_static_selectorELNS0_4arch9wavefront6targetE0EEEvT1_,comdat
	.protected	_ZN7rocprim17ROCPRIM_400000_NS6detail17trampoline_kernelINS0_14default_configENS1_25partition_config_selectorILNS1_17partition_subalgoE6EiNS0_10empty_typeEbEEZZNS1_14partition_implILS5_6ELb0ES3_mN6thrust23THRUST_200600_302600_NS6detail15normal_iteratorINSA_10device_ptrIiEEEEPS6_SG_NS0_5tupleIJSF_S6_EEENSH_IJSG_SG_EEES6_PlJNSB_9not_fun_tINSB_14equal_to_valueIiEEEEEEE10hipError_tPvRmT3_T4_T5_T6_T7_T9_mT8_P12ihipStream_tbDpT10_ENKUlT_T0_E_clISt17integral_constantIbLb1EES17_IbLb0EEEEDaS13_S14_EUlS13_E_NS1_11comp_targetILNS1_3genE10ELNS1_11target_archE1200ELNS1_3gpuE4ELNS1_3repE0EEENS1_30default_config_static_selectorELNS0_4arch9wavefront6targetE0EEEvT1_ ; -- Begin function _ZN7rocprim17ROCPRIM_400000_NS6detail17trampoline_kernelINS0_14default_configENS1_25partition_config_selectorILNS1_17partition_subalgoE6EiNS0_10empty_typeEbEEZZNS1_14partition_implILS5_6ELb0ES3_mN6thrust23THRUST_200600_302600_NS6detail15normal_iteratorINSA_10device_ptrIiEEEEPS6_SG_NS0_5tupleIJSF_S6_EEENSH_IJSG_SG_EEES6_PlJNSB_9not_fun_tINSB_14equal_to_valueIiEEEEEEE10hipError_tPvRmT3_T4_T5_T6_T7_T9_mT8_P12ihipStream_tbDpT10_ENKUlT_T0_E_clISt17integral_constantIbLb1EES17_IbLb0EEEEDaS13_S14_EUlS13_E_NS1_11comp_targetILNS1_3genE10ELNS1_11target_archE1200ELNS1_3gpuE4ELNS1_3repE0EEENS1_30default_config_static_selectorELNS0_4arch9wavefront6targetE0EEEvT1_
	.globl	_ZN7rocprim17ROCPRIM_400000_NS6detail17trampoline_kernelINS0_14default_configENS1_25partition_config_selectorILNS1_17partition_subalgoE6EiNS0_10empty_typeEbEEZZNS1_14partition_implILS5_6ELb0ES3_mN6thrust23THRUST_200600_302600_NS6detail15normal_iteratorINSA_10device_ptrIiEEEEPS6_SG_NS0_5tupleIJSF_S6_EEENSH_IJSG_SG_EEES6_PlJNSB_9not_fun_tINSB_14equal_to_valueIiEEEEEEE10hipError_tPvRmT3_T4_T5_T6_T7_T9_mT8_P12ihipStream_tbDpT10_ENKUlT_T0_E_clISt17integral_constantIbLb1EES17_IbLb0EEEEDaS13_S14_EUlS13_E_NS1_11comp_targetILNS1_3genE10ELNS1_11target_archE1200ELNS1_3gpuE4ELNS1_3repE0EEENS1_30default_config_static_selectorELNS0_4arch9wavefront6targetE0EEEvT1_
	.p2align	8
	.type	_ZN7rocprim17ROCPRIM_400000_NS6detail17trampoline_kernelINS0_14default_configENS1_25partition_config_selectorILNS1_17partition_subalgoE6EiNS0_10empty_typeEbEEZZNS1_14partition_implILS5_6ELb0ES3_mN6thrust23THRUST_200600_302600_NS6detail15normal_iteratorINSA_10device_ptrIiEEEEPS6_SG_NS0_5tupleIJSF_S6_EEENSH_IJSG_SG_EEES6_PlJNSB_9not_fun_tINSB_14equal_to_valueIiEEEEEEE10hipError_tPvRmT3_T4_T5_T6_T7_T9_mT8_P12ihipStream_tbDpT10_ENKUlT_T0_E_clISt17integral_constantIbLb1EES17_IbLb0EEEEDaS13_S14_EUlS13_E_NS1_11comp_targetILNS1_3genE10ELNS1_11target_archE1200ELNS1_3gpuE4ELNS1_3repE0EEENS1_30default_config_static_selectorELNS0_4arch9wavefront6targetE0EEEvT1_,@function
_ZN7rocprim17ROCPRIM_400000_NS6detail17trampoline_kernelINS0_14default_configENS1_25partition_config_selectorILNS1_17partition_subalgoE6EiNS0_10empty_typeEbEEZZNS1_14partition_implILS5_6ELb0ES3_mN6thrust23THRUST_200600_302600_NS6detail15normal_iteratorINSA_10device_ptrIiEEEEPS6_SG_NS0_5tupleIJSF_S6_EEENSH_IJSG_SG_EEES6_PlJNSB_9not_fun_tINSB_14equal_to_valueIiEEEEEEE10hipError_tPvRmT3_T4_T5_T6_T7_T9_mT8_P12ihipStream_tbDpT10_ENKUlT_T0_E_clISt17integral_constantIbLb1EES17_IbLb0EEEEDaS13_S14_EUlS13_E_NS1_11comp_targetILNS1_3genE10ELNS1_11target_archE1200ELNS1_3gpuE4ELNS1_3repE0EEENS1_30default_config_static_selectorELNS0_4arch9wavefront6targetE0EEEvT1_: ; @_ZN7rocprim17ROCPRIM_400000_NS6detail17trampoline_kernelINS0_14default_configENS1_25partition_config_selectorILNS1_17partition_subalgoE6EiNS0_10empty_typeEbEEZZNS1_14partition_implILS5_6ELb0ES3_mN6thrust23THRUST_200600_302600_NS6detail15normal_iteratorINSA_10device_ptrIiEEEEPS6_SG_NS0_5tupleIJSF_S6_EEENSH_IJSG_SG_EEES6_PlJNSB_9not_fun_tINSB_14equal_to_valueIiEEEEEEE10hipError_tPvRmT3_T4_T5_T6_T7_T9_mT8_P12ihipStream_tbDpT10_ENKUlT_T0_E_clISt17integral_constantIbLb1EES17_IbLb0EEEEDaS13_S14_EUlS13_E_NS1_11comp_targetILNS1_3genE10ELNS1_11target_archE1200ELNS1_3gpuE4ELNS1_3repE0EEENS1_30default_config_static_selectorELNS0_4arch9wavefront6targetE0EEEvT1_
; %bb.0:
	s_endpgm
	.section	.rodata,"a",@progbits
	.p2align	6, 0x0
	.amdhsa_kernel _ZN7rocprim17ROCPRIM_400000_NS6detail17trampoline_kernelINS0_14default_configENS1_25partition_config_selectorILNS1_17partition_subalgoE6EiNS0_10empty_typeEbEEZZNS1_14partition_implILS5_6ELb0ES3_mN6thrust23THRUST_200600_302600_NS6detail15normal_iteratorINSA_10device_ptrIiEEEEPS6_SG_NS0_5tupleIJSF_S6_EEENSH_IJSG_SG_EEES6_PlJNSB_9not_fun_tINSB_14equal_to_valueIiEEEEEEE10hipError_tPvRmT3_T4_T5_T6_T7_T9_mT8_P12ihipStream_tbDpT10_ENKUlT_T0_E_clISt17integral_constantIbLb1EES17_IbLb0EEEEDaS13_S14_EUlS13_E_NS1_11comp_targetILNS1_3genE10ELNS1_11target_archE1200ELNS1_3gpuE4ELNS1_3repE0EEENS1_30default_config_static_selectorELNS0_4arch9wavefront6targetE0EEEvT1_
		.amdhsa_group_segment_fixed_size 0
		.amdhsa_private_segment_fixed_size 0
		.amdhsa_kernarg_size 120
		.amdhsa_user_sgpr_count 2
		.amdhsa_user_sgpr_dispatch_ptr 0
		.amdhsa_user_sgpr_queue_ptr 0
		.amdhsa_user_sgpr_kernarg_segment_ptr 1
		.amdhsa_user_sgpr_dispatch_id 0
		.amdhsa_user_sgpr_private_segment_size 0
		.amdhsa_wavefront_size32 1
		.amdhsa_uses_dynamic_stack 0
		.amdhsa_enable_private_segment 0
		.amdhsa_system_sgpr_workgroup_id_x 1
		.amdhsa_system_sgpr_workgroup_id_y 0
		.amdhsa_system_sgpr_workgroup_id_z 0
		.amdhsa_system_sgpr_workgroup_info 0
		.amdhsa_system_vgpr_workitem_id 0
		.amdhsa_next_free_vgpr 1
		.amdhsa_next_free_sgpr 1
		.amdhsa_reserve_vcc 0
		.amdhsa_float_round_mode_32 0
		.amdhsa_float_round_mode_16_64 0
		.amdhsa_float_denorm_mode_32 3
		.amdhsa_float_denorm_mode_16_64 3
		.amdhsa_fp16_overflow 0
		.amdhsa_workgroup_processor_mode 1
		.amdhsa_memory_ordered 1
		.amdhsa_forward_progress 1
		.amdhsa_inst_pref_size 1
		.amdhsa_round_robin_scheduling 0
		.amdhsa_exception_fp_ieee_invalid_op 0
		.amdhsa_exception_fp_denorm_src 0
		.amdhsa_exception_fp_ieee_div_zero 0
		.amdhsa_exception_fp_ieee_overflow 0
		.amdhsa_exception_fp_ieee_underflow 0
		.amdhsa_exception_fp_ieee_inexact 0
		.amdhsa_exception_int_div_zero 0
	.end_amdhsa_kernel
	.section	.text._ZN7rocprim17ROCPRIM_400000_NS6detail17trampoline_kernelINS0_14default_configENS1_25partition_config_selectorILNS1_17partition_subalgoE6EiNS0_10empty_typeEbEEZZNS1_14partition_implILS5_6ELb0ES3_mN6thrust23THRUST_200600_302600_NS6detail15normal_iteratorINSA_10device_ptrIiEEEEPS6_SG_NS0_5tupleIJSF_S6_EEENSH_IJSG_SG_EEES6_PlJNSB_9not_fun_tINSB_14equal_to_valueIiEEEEEEE10hipError_tPvRmT3_T4_T5_T6_T7_T9_mT8_P12ihipStream_tbDpT10_ENKUlT_T0_E_clISt17integral_constantIbLb1EES17_IbLb0EEEEDaS13_S14_EUlS13_E_NS1_11comp_targetILNS1_3genE10ELNS1_11target_archE1200ELNS1_3gpuE4ELNS1_3repE0EEENS1_30default_config_static_selectorELNS0_4arch9wavefront6targetE0EEEvT1_,"axG",@progbits,_ZN7rocprim17ROCPRIM_400000_NS6detail17trampoline_kernelINS0_14default_configENS1_25partition_config_selectorILNS1_17partition_subalgoE6EiNS0_10empty_typeEbEEZZNS1_14partition_implILS5_6ELb0ES3_mN6thrust23THRUST_200600_302600_NS6detail15normal_iteratorINSA_10device_ptrIiEEEEPS6_SG_NS0_5tupleIJSF_S6_EEENSH_IJSG_SG_EEES6_PlJNSB_9not_fun_tINSB_14equal_to_valueIiEEEEEEE10hipError_tPvRmT3_T4_T5_T6_T7_T9_mT8_P12ihipStream_tbDpT10_ENKUlT_T0_E_clISt17integral_constantIbLb1EES17_IbLb0EEEEDaS13_S14_EUlS13_E_NS1_11comp_targetILNS1_3genE10ELNS1_11target_archE1200ELNS1_3gpuE4ELNS1_3repE0EEENS1_30default_config_static_selectorELNS0_4arch9wavefront6targetE0EEEvT1_,comdat
.Lfunc_end490:
	.size	_ZN7rocprim17ROCPRIM_400000_NS6detail17trampoline_kernelINS0_14default_configENS1_25partition_config_selectorILNS1_17partition_subalgoE6EiNS0_10empty_typeEbEEZZNS1_14partition_implILS5_6ELb0ES3_mN6thrust23THRUST_200600_302600_NS6detail15normal_iteratorINSA_10device_ptrIiEEEEPS6_SG_NS0_5tupleIJSF_S6_EEENSH_IJSG_SG_EEES6_PlJNSB_9not_fun_tINSB_14equal_to_valueIiEEEEEEE10hipError_tPvRmT3_T4_T5_T6_T7_T9_mT8_P12ihipStream_tbDpT10_ENKUlT_T0_E_clISt17integral_constantIbLb1EES17_IbLb0EEEEDaS13_S14_EUlS13_E_NS1_11comp_targetILNS1_3genE10ELNS1_11target_archE1200ELNS1_3gpuE4ELNS1_3repE0EEENS1_30default_config_static_selectorELNS0_4arch9wavefront6targetE0EEEvT1_, .Lfunc_end490-_ZN7rocprim17ROCPRIM_400000_NS6detail17trampoline_kernelINS0_14default_configENS1_25partition_config_selectorILNS1_17partition_subalgoE6EiNS0_10empty_typeEbEEZZNS1_14partition_implILS5_6ELb0ES3_mN6thrust23THRUST_200600_302600_NS6detail15normal_iteratorINSA_10device_ptrIiEEEEPS6_SG_NS0_5tupleIJSF_S6_EEENSH_IJSG_SG_EEES6_PlJNSB_9not_fun_tINSB_14equal_to_valueIiEEEEEEE10hipError_tPvRmT3_T4_T5_T6_T7_T9_mT8_P12ihipStream_tbDpT10_ENKUlT_T0_E_clISt17integral_constantIbLb1EES17_IbLb0EEEEDaS13_S14_EUlS13_E_NS1_11comp_targetILNS1_3genE10ELNS1_11target_archE1200ELNS1_3gpuE4ELNS1_3repE0EEENS1_30default_config_static_selectorELNS0_4arch9wavefront6targetE0EEEvT1_
                                        ; -- End function
	.set _ZN7rocprim17ROCPRIM_400000_NS6detail17trampoline_kernelINS0_14default_configENS1_25partition_config_selectorILNS1_17partition_subalgoE6EiNS0_10empty_typeEbEEZZNS1_14partition_implILS5_6ELb0ES3_mN6thrust23THRUST_200600_302600_NS6detail15normal_iteratorINSA_10device_ptrIiEEEEPS6_SG_NS0_5tupleIJSF_S6_EEENSH_IJSG_SG_EEES6_PlJNSB_9not_fun_tINSB_14equal_to_valueIiEEEEEEE10hipError_tPvRmT3_T4_T5_T6_T7_T9_mT8_P12ihipStream_tbDpT10_ENKUlT_T0_E_clISt17integral_constantIbLb1EES17_IbLb0EEEEDaS13_S14_EUlS13_E_NS1_11comp_targetILNS1_3genE10ELNS1_11target_archE1200ELNS1_3gpuE4ELNS1_3repE0EEENS1_30default_config_static_selectorELNS0_4arch9wavefront6targetE0EEEvT1_.num_vgpr, 0
	.set _ZN7rocprim17ROCPRIM_400000_NS6detail17trampoline_kernelINS0_14default_configENS1_25partition_config_selectorILNS1_17partition_subalgoE6EiNS0_10empty_typeEbEEZZNS1_14partition_implILS5_6ELb0ES3_mN6thrust23THRUST_200600_302600_NS6detail15normal_iteratorINSA_10device_ptrIiEEEEPS6_SG_NS0_5tupleIJSF_S6_EEENSH_IJSG_SG_EEES6_PlJNSB_9not_fun_tINSB_14equal_to_valueIiEEEEEEE10hipError_tPvRmT3_T4_T5_T6_T7_T9_mT8_P12ihipStream_tbDpT10_ENKUlT_T0_E_clISt17integral_constantIbLb1EES17_IbLb0EEEEDaS13_S14_EUlS13_E_NS1_11comp_targetILNS1_3genE10ELNS1_11target_archE1200ELNS1_3gpuE4ELNS1_3repE0EEENS1_30default_config_static_selectorELNS0_4arch9wavefront6targetE0EEEvT1_.num_agpr, 0
	.set _ZN7rocprim17ROCPRIM_400000_NS6detail17trampoline_kernelINS0_14default_configENS1_25partition_config_selectorILNS1_17partition_subalgoE6EiNS0_10empty_typeEbEEZZNS1_14partition_implILS5_6ELb0ES3_mN6thrust23THRUST_200600_302600_NS6detail15normal_iteratorINSA_10device_ptrIiEEEEPS6_SG_NS0_5tupleIJSF_S6_EEENSH_IJSG_SG_EEES6_PlJNSB_9not_fun_tINSB_14equal_to_valueIiEEEEEEE10hipError_tPvRmT3_T4_T5_T6_T7_T9_mT8_P12ihipStream_tbDpT10_ENKUlT_T0_E_clISt17integral_constantIbLb1EES17_IbLb0EEEEDaS13_S14_EUlS13_E_NS1_11comp_targetILNS1_3genE10ELNS1_11target_archE1200ELNS1_3gpuE4ELNS1_3repE0EEENS1_30default_config_static_selectorELNS0_4arch9wavefront6targetE0EEEvT1_.numbered_sgpr, 0
	.set _ZN7rocprim17ROCPRIM_400000_NS6detail17trampoline_kernelINS0_14default_configENS1_25partition_config_selectorILNS1_17partition_subalgoE6EiNS0_10empty_typeEbEEZZNS1_14partition_implILS5_6ELb0ES3_mN6thrust23THRUST_200600_302600_NS6detail15normal_iteratorINSA_10device_ptrIiEEEEPS6_SG_NS0_5tupleIJSF_S6_EEENSH_IJSG_SG_EEES6_PlJNSB_9not_fun_tINSB_14equal_to_valueIiEEEEEEE10hipError_tPvRmT3_T4_T5_T6_T7_T9_mT8_P12ihipStream_tbDpT10_ENKUlT_T0_E_clISt17integral_constantIbLb1EES17_IbLb0EEEEDaS13_S14_EUlS13_E_NS1_11comp_targetILNS1_3genE10ELNS1_11target_archE1200ELNS1_3gpuE4ELNS1_3repE0EEENS1_30default_config_static_selectorELNS0_4arch9wavefront6targetE0EEEvT1_.num_named_barrier, 0
	.set _ZN7rocprim17ROCPRIM_400000_NS6detail17trampoline_kernelINS0_14default_configENS1_25partition_config_selectorILNS1_17partition_subalgoE6EiNS0_10empty_typeEbEEZZNS1_14partition_implILS5_6ELb0ES3_mN6thrust23THRUST_200600_302600_NS6detail15normal_iteratorINSA_10device_ptrIiEEEEPS6_SG_NS0_5tupleIJSF_S6_EEENSH_IJSG_SG_EEES6_PlJNSB_9not_fun_tINSB_14equal_to_valueIiEEEEEEE10hipError_tPvRmT3_T4_T5_T6_T7_T9_mT8_P12ihipStream_tbDpT10_ENKUlT_T0_E_clISt17integral_constantIbLb1EES17_IbLb0EEEEDaS13_S14_EUlS13_E_NS1_11comp_targetILNS1_3genE10ELNS1_11target_archE1200ELNS1_3gpuE4ELNS1_3repE0EEENS1_30default_config_static_selectorELNS0_4arch9wavefront6targetE0EEEvT1_.private_seg_size, 0
	.set _ZN7rocprim17ROCPRIM_400000_NS6detail17trampoline_kernelINS0_14default_configENS1_25partition_config_selectorILNS1_17partition_subalgoE6EiNS0_10empty_typeEbEEZZNS1_14partition_implILS5_6ELb0ES3_mN6thrust23THRUST_200600_302600_NS6detail15normal_iteratorINSA_10device_ptrIiEEEEPS6_SG_NS0_5tupleIJSF_S6_EEENSH_IJSG_SG_EEES6_PlJNSB_9not_fun_tINSB_14equal_to_valueIiEEEEEEE10hipError_tPvRmT3_T4_T5_T6_T7_T9_mT8_P12ihipStream_tbDpT10_ENKUlT_T0_E_clISt17integral_constantIbLb1EES17_IbLb0EEEEDaS13_S14_EUlS13_E_NS1_11comp_targetILNS1_3genE10ELNS1_11target_archE1200ELNS1_3gpuE4ELNS1_3repE0EEENS1_30default_config_static_selectorELNS0_4arch9wavefront6targetE0EEEvT1_.uses_vcc, 0
	.set _ZN7rocprim17ROCPRIM_400000_NS6detail17trampoline_kernelINS0_14default_configENS1_25partition_config_selectorILNS1_17partition_subalgoE6EiNS0_10empty_typeEbEEZZNS1_14partition_implILS5_6ELb0ES3_mN6thrust23THRUST_200600_302600_NS6detail15normal_iteratorINSA_10device_ptrIiEEEEPS6_SG_NS0_5tupleIJSF_S6_EEENSH_IJSG_SG_EEES6_PlJNSB_9not_fun_tINSB_14equal_to_valueIiEEEEEEE10hipError_tPvRmT3_T4_T5_T6_T7_T9_mT8_P12ihipStream_tbDpT10_ENKUlT_T0_E_clISt17integral_constantIbLb1EES17_IbLb0EEEEDaS13_S14_EUlS13_E_NS1_11comp_targetILNS1_3genE10ELNS1_11target_archE1200ELNS1_3gpuE4ELNS1_3repE0EEENS1_30default_config_static_selectorELNS0_4arch9wavefront6targetE0EEEvT1_.uses_flat_scratch, 0
	.set _ZN7rocprim17ROCPRIM_400000_NS6detail17trampoline_kernelINS0_14default_configENS1_25partition_config_selectorILNS1_17partition_subalgoE6EiNS0_10empty_typeEbEEZZNS1_14partition_implILS5_6ELb0ES3_mN6thrust23THRUST_200600_302600_NS6detail15normal_iteratorINSA_10device_ptrIiEEEEPS6_SG_NS0_5tupleIJSF_S6_EEENSH_IJSG_SG_EEES6_PlJNSB_9not_fun_tINSB_14equal_to_valueIiEEEEEEE10hipError_tPvRmT3_T4_T5_T6_T7_T9_mT8_P12ihipStream_tbDpT10_ENKUlT_T0_E_clISt17integral_constantIbLb1EES17_IbLb0EEEEDaS13_S14_EUlS13_E_NS1_11comp_targetILNS1_3genE10ELNS1_11target_archE1200ELNS1_3gpuE4ELNS1_3repE0EEENS1_30default_config_static_selectorELNS0_4arch9wavefront6targetE0EEEvT1_.has_dyn_sized_stack, 0
	.set _ZN7rocprim17ROCPRIM_400000_NS6detail17trampoline_kernelINS0_14default_configENS1_25partition_config_selectorILNS1_17partition_subalgoE6EiNS0_10empty_typeEbEEZZNS1_14partition_implILS5_6ELb0ES3_mN6thrust23THRUST_200600_302600_NS6detail15normal_iteratorINSA_10device_ptrIiEEEEPS6_SG_NS0_5tupleIJSF_S6_EEENSH_IJSG_SG_EEES6_PlJNSB_9not_fun_tINSB_14equal_to_valueIiEEEEEEE10hipError_tPvRmT3_T4_T5_T6_T7_T9_mT8_P12ihipStream_tbDpT10_ENKUlT_T0_E_clISt17integral_constantIbLb1EES17_IbLb0EEEEDaS13_S14_EUlS13_E_NS1_11comp_targetILNS1_3genE10ELNS1_11target_archE1200ELNS1_3gpuE4ELNS1_3repE0EEENS1_30default_config_static_selectorELNS0_4arch9wavefront6targetE0EEEvT1_.has_recursion, 0
	.set _ZN7rocprim17ROCPRIM_400000_NS6detail17trampoline_kernelINS0_14default_configENS1_25partition_config_selectorILNS1_17partition_subalgoE6EiNS0_10empty_typeEbEEZZNS1_14partition_implILS5_6ELb0ES3_mN6thrust23THRUST_200600_302600_NS6detail15normal_iteratorINSA_10device_ptrIiEEEEPS6_SG_NS0_5tupleIJSF_S6_EEENSH_IJSG_SG_EEES6_PlJNSB_9not_fun_tINSB_14equal_to_valueIiEEEEEEE10hipError_tPvRmT3_T4_T5_T6_T7_T9_mT8_P12ihipStream_tbDpT10_ENKUlT_T0_E_clISt17integral_constantIbLb1EES17_IbLb0EEEEDaS13_S14_EUlS13_E_NS1_11comp_targetILNS1_3genE10ELNS1_11target_archE1200ELNS1_3gpuE4ELNS1_3repE0EEENS1_30default_config_static_selectorELNS0_4arch9wavefront6targetE0EEEvT1_.has_indirect_call, 0
	.section	.AMDGPU.csdata,"",@progbits
; Kernel info:
; codeLenInByte = 4
; TotalNumSgprs: 0
; NumVgprs: 0
; ScratchSize: 0
; MemoryBound: 0
; FloatMode: 240
; IeeeMode: 1
; LDSByteSize: 0 bytes/workgroup (compile time only)
; SGPRBlocks: 0
; VGPRBlocks: 0
; NumSGPRsForWavesPerEU: 1
; NumVGPRsForWavesPerEU: 1
; Occupancy: 16
; WaveLimiterHint : 0
; COMPUTE_PGM_RSRC2:SCRATCH_EN: 0
; COMPUTE_PGM_RSRC2:USER_SGPR: 2
; COMPUTE_PGM_RSRC2:TRAP_HANDLER: 0
; COMPUTE_PGM_RSRC2:TGID_X_EN: 1
; COMPUTE_PGM_RSRC2:TGID_Y_EN: 0
; COMPUTE_PGM_RSRC2:TGID_Z_EN: 0
; COMPUTE_PGM_RSRC2:TIDIG_COMP_CNT: 0
	.section	.text._ZN7rocprim17ROCPRIM_400000_NS6detail17trampoline_kernelINS0_14default_configENS1_25partition_config_selectorILNS1_17partition_subalgoE6EiNS0_10empty_typeEbEEZZNS1_14partition_implILS5_6ELb0ES3_mN6thrust23THRUST_200600_302600_NS6detail15normal_iteratorINSA_10device_ptrIiEEEEPS6_SG_NS0_5tupleIJSF_S6_EEENSH_IJSG_SG_EEES6_PlJNSB_9not_fun_tINSB_14equal_to_valueIiEEEEEEE10hipError_tPvRmT3_T4_T5_T6_T7_T9_mT8_P12ihipStream_tbDpT10_ENKUlT_T0_E_clISt17integral_constantIbLb1EES17_IbLb0EEEEDaS13_S14_EUlS13_E_NS1_11comp_targetILNS1_3genE9ELNS1_11target_archE1100ELNS1_3gpuE3ELNS1_3repE0EEENS1_30default_config_static_selectorELNS0_4arch9wavefront6targetE0EEEvT1_,"axG",@progbits,_ZN7rocprim17ROCPRIM_400000_NS6detail17trampoline_kernelINS0_14default_configENS1_25partition_config_selectorILNS1_17partition_subalgoE6EiNS0_10empty_typeEbEEZZNS1_14partition_implILS5_6ELb0ES3_mN6thrust23THRUST_200600_302600_NS6detail15normal_iteratorINSA_10device_ptrIiEEEEPS6_SG_NS0_5tupleIJSF_S6_EEENSH_IJSG_SG_EEES6_PlJNSB_9not_fun_tINSB_14equal_to_valueIiEEEEEEE10hipError_tPvRmT3_T4_T5_T6_T7_T9_mT8_P12ihipStream_tbDpT10_ENKUlT_T0_E_clISt17integral_constantIbLb1EES17_IbLb0EEEEDaS13_S14_EUlS13_E_NS1_11comp_targetILNS1_3genE9ELNS1_11target_archE1100ELNS1_3gpuE3ELNS1_3repE0EEENS1_30default_config_static_selectorELNS0_4arch9wavefront6targetE0EEEvT1_,comdat
	.protected	_ZN7rocprim17ROCPRIM_400000_NS6detail17trampoline_kernelINS0_14default_configENS1_25partition_config_selectorILNS1_17partition_subalgoE6EiNS0_10empty_typeEbEEZZNS1_14partition_implILS5_6ELb0ES3_mN6thrust23THRUST_200600_302600_NS6detail15normal_iteratorINSA_10device_ptrIiEEEEPS6_SG_NS0_5tupleIJSF_S6_EEENSH_IJSG_SG_EEES6_PlJNSB_9not_fun_tINSB_14equal_to_valueIiEEEEEEE10hipError_tPvRmT3_T4_T5_T6_T7_T9_mT8_P12ihipStream_tbDpT10_ENKUlT_T0_E_clISt17integral_constantIbLb1EES17_IbLb0EEEEDaS13_S14_EUlS13_E_NS1_11comp_targetILNS1_3genE9ELNS1_11target_archE1100ELNS1_3gpuE3ELNS1_3repE0EEENS1_30default_config_static_selectorELNS0_4arch9wavefront6targetE0EEEvT1_ ; -- Begin function _ZN7rocprim17ROCPRIM_400000_NS6detail17trampoline_kernelINS0_14default_configENS1_25partition_config_selectorILNS1_17partition_subalgoE6EiNS0_10empty_typeEbEEZZNS1_14partition_implILS5_6ELb0ES3_mN6thrust23THRUST_200600_302600_NS6detail15normal_iteratorINSA_10device_ptrIiEEEEPS6_SG_NS0_5tupleIJSF_S6_EEENSH_IJSG_SG_EEES6_PlJNSB_9not_fun_tINSB_14equal_to_valueIiEEEEEEE10hipError_tPvRmT3_T4_T5_T6_T7_T9_mT8_P12ihipStream_tbDpT10_ENKUlT_T0_E_clISt17integral_constantIbLb1EES17_IbLb0EEEEDaS13_S14_EUlS13_E_NS1_11comp_targetILNS1_3genE9ELNS1_11target_archE1100ELNS1_3gpuE3ELNS1_3repE0EEENS1_30default_config_static_selectorELNS0_4arch9wavefront6targetE0EEEvT1_
	.globl	_ZN7rocprim17ROCPRIM_400000_NS6detail17trampoline_kernelINS0_14default_configENS1_25partition_config_selectorILNS1_17partition_subalgoE6EiNS0_10empty_typeEbEEZZNS1_14partition_implILS5_6ELb0ES3_mN6thrust23THRUST_200600_302600_NS6detail15normal_iteratorINSA_10device_ptrIiEEEEPS6_SG_NS0_5tupleIJSF_S6_EEENSH_IJSG_SG_EEES6_PlJNSB_9not_fun_tINSB_14equal_to_valueIiEEEEEEE10hipError_tPvRmT3_T4_T5_T6_T7_T9_mT8_P12ihipStream_tbDpT10_ENKUlT_T0_E_clISt17integral_constantIbLb1EES17_IbLb0EEEEDaS13_S14_EUlS13_E_NS1_11comp_targetILNS1_3genE9ELNS1_11target_archE1100ELNS1_3gpuE3ELNS1_3repE0EEENS1_30default_config_static_selectorELNS0_4arch9wavefront6targetE0EEEvT1_
	.p2align	8
	.type	_ZN7rocprim17ROCPRIM_400000_NS6detail17trampoline_kernelINS0_14default_configENS1_25partition_config_selectorILNS1_17partition_subalgoE6EiNS0_10empty_typeEbEEZZNS1_14partition_implILS5_6ELb0ES3_mN6thrust23THRUST_200600_302600_NS6detail15normal_iteratorINSA_10device_ptrIiEEEEPS6_SG_NS0_5tupleIJSF_S6_EEENSH_IJSG_SG_EEES6_PlJNSB_9not_fun_tINSB_14equal_to_valueIiEEEEEEE10hipError_tPvRmT3_T4_T5_T6_T7_T9_mT8_P12ihipStream_tbDpT10_ENKUlT_T0_E_clISt17integral_constantIbLb1EES17_IbLb0EEEEDaS13_S14_EUlS13_E_NS1_11comp_targetILNS1_3genE9ELNS1_11target_archE1100ELNS1_3gpuE3ELNS1_3repE0EEENS1_30default_config_static_selectorELNS0_4arch9wavefront6targetE0EEEvT1_,@function
_ZN7rocprim17ROCPRIM_400000_NS6detail17trampoline_kernelINS0_14default_configENS1_25partition_config_selectorILNS1_17partition_subalgoE6EiNS0_10empty_typeEbEEZZNS1_14partition_implILS5_6ELb0ES3_mN6thrust23THRUST_200600_302600_NS6detail15normal_iteratorINSA_10device_ptrIiEEEEPS6_SG_NS0_5tupleIJSF_S6_EEENSH_IJSG_SG_EEES6_PlJNSB_9not_fun_tINSB_14equal_to_valueIiEEEEEEE10hipError_tPvRmT3_T4_T5_T6_T7_T9_mT8_P12ihipStream_tbDpT10_ENKUlT_T0_E_clISt17integral_constantIbLb1EES17_IbLb0EEEEDaS13_S14_EUlS13_E_NS1_11comp_targetILNS1_3genE9ELNS1_11target_archE1100ELNS1_3gpuE3ELNS1_3repE0EEENS1_30default_config_static_selectorELNS0_4arch9wavefront6targetE0EEEvT1_: ; @_ZN7rocprim17ROCPRIM_400000_NS6detail17trampoline_kernelINS0_14default_configENS1_25partition_config_selectorILNS1_17partition_subalgoE6EiNS0_10empty_typeEbEEZZNS1_14partition_implILS5_6ELb0ES3_mN6thrust23THRUST_200600_302600_NS6detail15normal_iteratorINSA_10device_ptrIiEEEEPS6_SG_NS0_5tupleIJSF_S6_EEENSH_IJSG_SG_EEES6_PlJNSB_9not_fun_tINSB_14equal_to_valueIiEEEEEEE10hipError_tPvRmT3_T4_T5_T6_T7_T9_mT8_P12ihipStream_tbDpT10_ENKUlT_T0_E_clISt17integral_constantIbLb1EES17_IbLb0EEEEDaS13_S14_EUlS13_E_NS1_11comp_targetILNS1_3genE9ELNS1_11target_archE1100ELNS1_3gpuE3ELNS1_3repE0EEENS1_30default_config_static_selectorELNS0_4arch9wavefront6targetE0EEEvT1_
; %bb.0:
	.section	.rodata,"a",@progbits
	.p2align	6, 0x0
	.amdhsa_kernel _ZN7rocprim17ROCPRIM_400000_NS6detail17trampoline_kernelINS0_14default_configENS1_25partition_config_selectorILNS1_17partition_subalgoE6EiNS0_10empty_typeEbEEZZNS1_14partition_implILS5_6ELb0ES3_mN6thrust23THRUST_200600_302600_NS6detail15normal_iteratorINSA_10device_ptrIiEEEEPS6_SG_NS0_5tupleIJSF_S6_EEENSH_IJSG_SG_EEES6_PlJNSB_9not_fun_tINSB_14equal_to_valueIiEEEEEEE10hipError_tPvRmT3_T4_T5_T6_T7_T9_mT8_P12ihipStream_tbDpT10_ENKUlT_T0_E_clISt17integral_constantIbLb1EES17_IbLb0EEEEDaS13_S14_EUlS13_E_NS1_11comp_targetILNS1_3genE9ELNS1_11target_archE1100ELNS1_3gpuE3ELNS1_3repE0EEENS1_30default_config_static_selectorELNS0_4arch9wavefront6targetE0EEEvT1_
		.amdhsa_group_segment_fixed_size 0
		.amdhsa_private_segment_fixed_size 0
		.amdhsa_kernarg_size 120
		.amdhsa_user_sgpr_count 2
		.amdhsa_user_sgpr_dispatch_ptr 0
		.amdhsa_user_sgpr_queue_ptr 0
		.amdhsa_user_sgpr_kernarg_segment_ptr 1
		.amdhsa_user_sgpr_dispatch_id 0
		.amdhsa_user_sgpr_private_segment_size 0
		.amdhsa_wavefront_size32 1
		.amdhsa_uses_dynamic_stack 0
		.amdhsa_enable_private_segment 0
		.amdhsa_system_sgpr_workgroup_id_x 1
		.amdhsa_system_sgpr_workgroup_id_y 0
		.amdhsa_system_sgpr_workgroup_id_z 0
		.amdhsa_system_sgpr_workgroup_info 0
		.amdhsa_system_vgpr_workitem_id 0
		.amdhsa_next_free_vgpr 1
		.amdhsa_next_free_sgpr 1
		.amdhsa_reserve_vcc 0
		.amdhsa_float_round_mode_32 0
		.amdhsa_float_round_mode_16_64 0
		.amdhsa_float_denorm_mode_32 3
		.amdhsa_float_denorm_mode_16_64 3
		.amdhsa_fp16_overflow 0
		.amdhsa_workgroup_processor_mode 1
		.amdhsa_memory_ordered 1
		.amdhsa_forward_progress 1
		.amdhsa_inst_pref_size 0
		.amdhsa_round_robin_scheduling 0
		.amdhsa_exception_fp_ieee_invalid_op 0
		.amdhsa_exception_fp_denorm_src 0
		.amdhsa_exception_fp_ieee_div_zero 0
		.amdhsa_exception_fp_ieee_overflow 0
		.amdhsa_exception_fp_ieee_underflow 0
		.amdhsa_exception_fp_ieee_inexact 0
		.amdhsa_exception_int_div_zero 0
	.end_amdhsa_kernel
	.section	.text._ZN7rocprim17ROCPRIM_400000_NS6detail17trampoline_kernelINS0_14default_configENS1_25partition_config_selectorILNS1_17partition_subalgoE6EiNS0_10empty_typeEbEEZZNS1_14partition_implILS5_6ELb0ES3_mN6thrust23THRUST_200600_302600_NS6detail15normal_iteratorINSA_10device_ptrIiEEEEPS6_SG_NS0_5tupleIJSF_S6_EEENSH_IJSG_SG_EEES6_PlJNSB_9not_fun_tINSB_14equal_to_valueIiEEEEEEE10hipError_tPvRmT3_T4_T5_T6_T7_T9_mT8_P12ihipStream_tbDpT10_ENKUlT_T0_E_clISt17integral_constantIbLb1EES17_IbLb0EEEEDaS13_S14_EUlS13_E_NS1_11comp_targetILNS1_3genE9ELNS1_11target_archE1100ELNS1_3gpuE3ELNS1_3repE0EEENS1_30default_config_static_selectorELNS0_4arch9wavefront6targetE0EEEvT1_,"axG",@progbits,_ZN7rocprim17ROCPRIM_400000_NS6detail17trampoline_kernelINS0_14default_configENS1_25partition_config_selectorILNS1_17partition_subalgoE6EiNS0_10empty_typeEbEEZZNS1_14partition_implILS5_6ELb0ES3_mN6thrust23THRUST_200600_302600_NS6detail15normal_iteratorINSA_10device_ptrIiEEEEPS6_SG_NS0_5tupleIJSF_S6_EEENSH_IJSG_SG_EEES6_PlJNSB_9not_fun_tINSB_14equal_to_valueIiEEEEEEE10hipError_tPvRmT3_T4_T5_T6_T7_T9_mT8_P12ihipStream_tbDpT10_ENKUlT_T0_E_clISt17integral_constantIbLb1EES17_IbLb0EEEEDaS13_S14_EUlS13_E_NS1_11comp_targetILNS1_3genE9ELNS1_11target_archE1100ELNS1_3gpuE3ELNS1_3repE0EEENS1_30default_config_static_selectorELNS0_4arch9wavefront6targetE0EEEvT1_,comdat
.Lfunc_end491:
	.size	_ZN7rocprim17ROCPRIM_400000_NS6detail17trampoline_kernelINS0_14default_configENS1_25partition_config_selectorILNS1_17partition_subalgoE6EiNS0_10empty_typeEbEEZZNS1_14partition_implILS5_6ELb0ES3_mN6thrust23THRUST_200600_302600_NS6detail15normal_iteratorINSA_10device_ptrIiEEEEPS6_SG_NS0_5tupleIJSF_S6_EEENSH_IJSG_SG_EEES6_PlJNSB_9not_fun_tINSB_14equal_to_valueIiEEEEEEE10hipError_tPvRmT3_T4_T5_T6_T7_T9_mT8_P12ihipStream_tbDpT10_ENKUlT_T0_E_clISt17integral_constantIbLb1EES17_IbLb0EEEEDaS13_S14_EUlS13_E_NS1_11comp_targetILNS1_3genE9ELNS1_11target_archE1100ELNS1_3gpuE3ELNS1_3repE0EEENS1_30default_config_static_selectorELNS0_4arch9wavefront6targetE0EEEvT1_, .Lfunc_end491-_ZN7rocprim17ROCPRIM_400000_NS6detail17trampoline_kernelINS0_14default_configENS1_25partition_config_selectorILNS1_17partition_subalgoE6EiNS0_10empty_typeEbEEZZNS1_14partition_implILS5_6ELb0ES3_mN6thrust23THRUST_200600_302600_NS6detail15normal_iteratorINSA_10device_ptrIiEEEEPS6_SG_NS0_5tupleIJSF_S6_EEENSH_IJSG_SG_EEES6_PlJNSB_9not_fun_tINSB_14equal_to_valueIiEEEEEEE10hipError_tPvRmT3_T4_T5_T6_T7_T9_mT8_P12ihipStream_tbDpT10_ENKUlT_T0_E_clISt17integral_constantIbLb1EES17_IbLb0EEEEDaS13_S14_EUlS13_E_NS1_11comp_targetILNS1_3genE9ELNS1_11target_archE1100ELNS1_3gpuE3ELNS1_3repE0EEENS1_30default_config_static_selectorELNS0_4arch9wavefront6targetE0EEEvT1_
                                        ; -- End function
	.set _ZN7rocprim17ROCPRIM_400000_NS6detail17trampoline_kernelINS0_14default_configENS1_25partition_config_selectorILNS1_17partition_subalgoE6EiNS0_10empty_typeEbEEZZNS1_14partition_implILS5_6ELb0ES3_mN6thrust23THRUST_200600_302600_NS6detail15normal_iteratorINSA_10device_ptrIiEEEEPS6_SG_NS0_5tupleIJSF_S6_EEENSH_IJSG_SG_EEES6_PlJNSB_9not_fun_tINSB_14equal_to_valueIiEEEEEEE10hipError_tPvRmT3_T4_T5_T6_T7_T9_mT8_P12ihipStream_tbDpT10_ENKUlT_T0_E_clISt17integral_constantIbLb1EES17_IbLb0EEEEDaS13_S14_EUlS13_E_NS1_11comp_targetILNS1_3genE9ELNS1_11target_archE1100ELNS1_3gpuE3ELNS1_3repE0EEENS1_30default_config_static_selectorELNS0_4arch9wavefront6targetE0EEEvT1_.num_vgpr, 0
	.set _ZN7rocprim17ROCPRIM_400000_NS6detail17trampoline_kernelINS0_14default_configENS1_25partition_config_selectorILNS1_17partition_subalgoE6EiNS0_10empty_typeEbEEZZNS1_14partition_implILS5_6ELb0ES3_mN6thrust23THRUST_200600_302600_NS6detail15normal_iteratorINSA_10device_ptrIiEEEEPS6_SG_NS0_5tupleIJSF_S6_EEENSH_IJSG_SG_EEES6_PlJNSB_9not_fun_tINSB_14equal_to_valueIiEEEEEEE10hipError_tPvRmT3_T4_T5_T6_T7_T9_mT8_P12ihipStream_tbDpT10_ENKUlT_T0_E_clISt17integral_constantIbLb1EES17_IbLb0EEEEDaS13_S14_EUlS13_E_NS1_11comp_targetILNS1_3genE9ELNS1_11target_archE1100ELNS1_3gpuE3ELNS1_3repE0EEENS1_30default_config_static_selectorELNS0_4arch9wavefront6targetE0EEEvT1_.num_agpr, 0
	.set _ZN7rocprim17ROCPRIM_400000_NS6detail17trampoline_kernelINS0_14default_configENS1_25partition_config_selectorILNS1_17partition_subalgoE6EiNS0_10empty_typeEbEEZZNS1_14partition_implILS5_6ELb0ES3_mN6thrust23THRUST_200600_302600_NS6detail15normal_iteratorINSA_10device_ptrIiEEEEPS6_SG_NS0_5tupleIJSF_S6_EEENSH_IJSG_SG_EEES6_PlJNSB_9not_fun_tINSB_14equal_to_valueIiEEEEEEE10hipError_tPvRmT3_T4_T5_T6_T7_T9_mT8_P12ihipStream_tbDpT10_ENKUlT_T0_E_clISt17integral_constantIbLb1EES17_IbLb0EEEEDaS13_S14_EUlS13_E_NS1_11comp_targetILNS1_3genE9ELNS1_11target_archE1100ELNS1_3gpuE3ELNS1_3repE0EEENS1_30default_config_static_selectorELNS0_4arch9wavefront6targetE0EEEvT1_.numbered_sgpr, 0
	.set _ZN7rocprim17ROCPRIM_400000_NS6detail17trampoline_kernelINS0_14default_configENS1_25partition_config_selectorILNS1_17partition_subalgoE6EiNS0_10empty_typeEbEEZZNS1_14partition_implILS5_6ELb0ES3_mN6thrust23THRUST_200600_302600_NS6detail15normal_iteratorINSA_10device_ptrIiEEEEPS6_SG_NS0_5tupleIJSF_S6_EEENSH_IJSG_SG_EEES6_PlJNSB_9not_fun_tINSB_14equal_to_valueIiEEEEEEE10hipError_tPvRmT3_T4_T5_T6_T7_T9_mT8_P12ihipStream_tbDpT10_ENKUlT_T0_E_clISt17integral_constantIbLb1EES17_IbLb0EEEEDaS13_S14_EUlS13_E_NS1_11comp_targetILNS1_3genE9ELNS1_11target_archE1100ELNS1_3gpuE3ELNS1_3repE0EEENS1_30default_config_static_selectorELNS0_4arch9wavefront6targetE0EEEvT1_.num_named_barrier, 0
	.set _ZN7rocprim17ROCPRIM_400000_NS6detail17trampoline_kernelINS0_14default_configENS1_25partition_config_selectorILNS1_17partition_subalgoE6EiNS0_10empty_typeEbEEZZNS1_14partition_implILS5_6ELb0ES3_mN6thrust23THRUST_200600_302600_NS6detail15normal_iteratorINSA_10device_ptrIiEEEEPS6_SG_NS0_5tupleIJSF_S6_EEENSH_IJSG_SG_EEES6_PlJNSB_9not_fun_tINSB_14equal_to_valueIiEEEEEEE10hipError_tPvRmT3_T4_T5_T6_T7_T9_mT8_P12ihipStream_tbDpT10_ENKUlT_T0_E_clISt17integral_constantIbLb1EES17_IbLb0EEEEDaS13_S14_EUlS13_E_NS1_11comp_targetILNS1_3genE9ELNS1_11target_archE1100ELNS1_3gpuE3ELNS1_3repE0EEENS1_30default_config_static_selectorELNS0_4arch9wavefront6targetE0EEEvT1_.private_seg_size, 0
	.set _ZN7rocprim17ROCPRIM_400000_NS6detail17trampoline_kernelINS0_14default_configENS1_25partition_config_selectorILNS1_17partition_subalgoE6EiNS0_10empty_typeEbEEZZNS1_14partition_implILS5_6ELb0ES3_mN6thrust23THRUST_200600_302600_NS6detail15normal_iteratorINSA_10device_ptrIiEEEEPS6_SG_NS0_5tupleIJSF_S6_EEENSH_IJSG_SG_EEES6_PlJNSB_9not_fun_tINSB_14equal_to_valueIiEEEEEEE10hipError_tPvRmT3_T4_T5_T6_T7_T9_mT8_P12ihipStream_tbDpT10_ENKUlT_T0_E_clISt17integral_constantIbLb1EES17_IbLb0EEEEDaS13_S14_EUlS13_E_NS1_11comp_targetILNS1_3genE9ELNS1_11target_archE1100ELNS1_3gpuE3ELNS1_3repE0EEENS1_30default_config_static_selectorELNS0_4arch9wavefront6targetE0EEEvT1_.uses_vcc, 0
	.set _ZN7rocprim17ROCPRIM_400000_NS6detail17trampoline_kernelINS0_14default_configENS1_25partition_config_selectorILNS1_17partition_subalgoE6EiNS0_10empty_typeEbEEZZNS1_14partition_implILS5_6ELb0ES3_mN6thrust23THRUST_200600_302600_NS6detail15normal_iteratorINSA_10device_ptrIiEEEEPS6_SG_NS0_5tupleIJSF_S6_EEENSH_IJSG_SG_EEES6_PlJNSB_9not_fun_tINSB_14equal_to_valueIiEEEEEEE10hipError_tPvRmT3_T4_T5_T6_T7_T9_mT8_P12ihipStream_tbDpT10_ENKUlT_T0_E_clISt17integral_constantIbLb1EES17_IbLb0EEEEDaS13_S14_EUlS13_E_NS1_11comp_targetILNS1_3genE9ELNS1_11target_archE1100ELNS1_3gpuE3ELNS1_3repE0EEENS1_30default_config_static_selectorELNS0_4arch9wavefront6targetE0EEEvT1_.uses_flat_scratch, 0
	.set _ZN7rocprim17ROCPRIM_400000_NS6detail17trampoline_kernelINS0_14default_configENS1_25partition_config_selectorILNS1_17partition_subalgoE6EiNS0_10empty_typeEbEEZZNS1_14partition_implILS5_6ELb0ES3_mN6thrust23THRUST_200600_302600_NS6detail15normal_iteratorINSA_10device_ptrIiEEEEPS6_SG_NS0_5tupleIJSF_S6_EEENSH_IJSG_SG_EEES6_PlJNSB_9not_fun_tINSB_14equal_to_valueIiEEEEEEE10hipError_tPvRmT3_T4_T5_T6_T7_T9_mT8_P12ihipStream_tbDpT10_ENKUlT_T0_E_clISt17integral_constantIbLb1EES17_IbLb0EEEEDaS13_S14_EUlS13_E_NS1_11comp_targetILNS1_3genE9ELNS1_11target_archE1100ELNS1_3gpuE3ELNS1_3repE0EEENS1_30default_config_static_selectorELNS0_4arch9wavefront6targetE0EEEvT1_.has_dyn_sized_stack, 0
	.set _ZN7rocprim17ROCPRIM_400000_NS6detail17trampoline_kernelINS0_14default_configENS1_25partition_config_selectorILNS1_17partition_subalgoE6EiNS0_10empty_typeEbEEZZNS1_14partition_implILS5_6ELb0ES3_mN6thrust23THRUST_200600_302600_NS6detail15normal_iteratorINSA_10device_ptrIiEEEEPS6_SG_NS0_5tupleIJSF_S6_EEENSH_IJSG_SG_EEES6_PlJNSB_9not_fun_tINSB_14equal_to_valueIiEEEEEEE10hipError_tPvRmT3_T4_T5_T6_T7_T9_mT8_P12ihipStream_tbDpT10_ENKUlT_T0_E_clISt17integral_constantIbLb1EES17_IbLb0EEEEDaS13_S14_EUlS13_E_NS1_11comp_targetILNS1_3genE9ELNS1_11target_archE1100ELNS1_3gpuE3ELNS1_3repE0EEENS1_30default_config_static_selectorELNS0_4arch9wavefront6targetE0EEEvT1_.has_recursion, 0
	.set _ZN7rocprim17ROCPRIM_400000_NS6detail17trampoline_kernelINS0_14default_configENS1_25partition_config_selectorILNS1_17partition_subalgoE6EiNS0_10empty_typeEbEEZZNS1_14partition_implILS5_6ELb0ES3_mN6thrust23THRUST_200600_302600_NS6detail15normal_iteratorINSA_10device_ptrIiEEEEPS6_SG_NS0_5tupleIJSF_S6_EEENSH_IJSG_SG_EEES6_PlJNSB_9not_fun_tINSB_14equal_to_valueIiEEEEEEE10hipError_tPvRmT3_T4_T5_T6_T7_T9_mT8_P12ihipStream_tbDpT10_ENKUlT_T0_E_clISt17integral_constantIbLb1EES17_IbLb0EEEEDaS13_S14_EUlS13_E_NS1_11comp_targetILNS1_3genE9ELNS1_11target_archE1100ELNS1_3gpuE3ELNS1_3repE0EEENS1_30default_config_static_selectorELNS0_4arch9wavefront6targetE0EEEvT1_.has_indirect_call, 0
	.section	.AMDGPU.csdata,"",@progbits
; Kernel info:
; codeLenInByte = 0
; TotalNumSgprs: 0
; NumVgprs: 0
; ScratchSize: 0
; MemoryBound: 0
; FloatMode: 240
; IeeeMode: 1
; LDSByteSize: 0 bytes/workgroup (compile time only)
; SGPRBlocks: 0
; VGPRBlocks: 0
; NumSGPRsForWavesPerEU: 1
; NumVGPRsForWavesPerEU: 1
; Occupancy: 16
; WaveLimiterHint : 0
; COMPUTE_PGM_RSRC2:SCRATCH_EN: 0
; COMPUTE_PGM_RSRC2:USER_SGPR: 2
; COMPUTE_PGM_RSRC2:TRAP_HANDLER: 0
; COMPUTE_PGM_RSRC2:TGID_X_EN: 1
; COMPUTE_PGM_RSRC2:TGID_Y_EN: 0
; COMPUTE_PGM_RSRC2:TGID_Z_EN: 0
; COMPUTE_PGM_RSRC2:TIDIG_COMP_CNT: 0
	.section	.text._ZN7rocprim17ROCPRIM_400000_NS6detail17trampoline_kernelINS0_14default_configENS1_25partition_config_selectorILNS1_17partition_subalgoE6EiNS0_10empty_typeEbEEZZNS1_14partition_implILS5_6ELb0ES3_mN6thrust23THRUST_200600_302600_NS6detail15normal_iteratorINSA_10device_ptrIiEEEEPS6_SG_NS0_5tupleIJSF_S6_EEENSH_IJSG_SG_EEES6_PlJNSB_9not_fun_tINSB_14equal_to_valueIiEEEEEEE10hipError_tPvRmT3_T4_T5_T6_T7_T9_mT8_P12ihipStream_tbDpT10_ENKUlT_T0_E_clISt17integral_constantIbLb1EES17_IbLb0EEEEDaS13_S14_EUlS13_E_NS1_11comp_targetILNS1_3genE8ELNS1_11target_archE1030ELNS1_3gpuE2ELNS1_3repE0EEENS1_30default_config_static_selectorELNS0_4arch9wavefront6targetE0EEEvT1_,"axG",@progbits,_ZN7rocprim17ROCPRIM_400000_NS6detail17trampoline_kernelINS0_14default_configENS1_25partition_config_selectorILNS1_17partition_subalgoE6EiNS0_10empty_typeEbEEZZNS1_14partition_implILS5_6ELb0ES3_mN6thrust23THRUST_200600_302600_NS6detail15normal_iteratorINSA_10device_ptrIiEEEEPS6_SG_NS0_5tupleIJSF_S6_EEENSH_IJSG_SG_EEES6_PlJNSB_9not_fun_tINSB_14equal_to_valueIiEEEEEEE10hipError_tPvRmT3_T4_T5_T6_T7_T9_mT8_P12ihipStream_tbDpT10_ENKUlT_T0_E_clISt17integral_constantIbLb1EES17_IbLb0EEEEDaS13_S14_EUlS13_E_NS1_11comp_targetILNS1_3genE8ELNS1_11target_archE1030ELNS1_3gpuE2ELNS1_3repE0EEENS1_30default_config_static_selectorELNS0_4arch9wavefront6targetE0EEEvT1_,comdat
	.protected	_ZN7rocprim17ROCPRIM_400000_NS6detail17trampoline_kernelINS0_14default_configENS1_25partition_config_selectorILNS1_17partition_subalgoE6EiNS0_10empty_typeEbEEZZNS1_14partition_implILS5_6ELb0ES3_mN6thrust23THRUST_200600_302600_NS6detail15normal_iteratorINSA_10device_ptrIiEEEEPS6_SG_NS0_5tupleIJSF_S6_EEENSH_IJSG_SG_EEES6_PlJNSB_9not_fun_tINSB_14equal_to_valueIiEEEEEEE10hipError_tPvRmT3_T4_T5_T6_T7_T9_mT8_P12ihipStream_tbDpT10_ENKUlT_T0_E_clISt17integral_constantIbLb1EES17_IbLb0EEEEDaS13_S14_EUlS13_E_NS1_11comp_targetILNS1_3genE8ELNS1_11target_archE1030ELNS1_3gpuE2ELNS1_3repE0EEENS1_30default_config_static_selectorELNS0_4arch9wavefront6targetE0EEEvT1_ ; -- Begin function _ZN7rocprim17ROCPRIM_400000_NS6detail17trampoline_kernelINS0_14default_configENS1_25partition_config_selectorILNS1_17partition_subalgoE6EiNS0_10empty_typeEbEEZZNS1_14partition_implILS5_6ELb0ES3_mN6thrust23THRUST_200600_302600_NS6detail15normal_iteratorINSA_10device_ptrIiEEEEPS6_SG_NS0_5tupleIJSF_S6_EEENSH_IJSG_SG_EEES6_PlJNSB_9not_fun_tINSB_14equal_to_valueIiEEEEEEE10hipError_tPvRmT3_T4_T5_T6_T7_T9_mT8_P12ihipStream_tbDpT10_ENKUlT_T0_E_clISt17integral_constantIbLb1EES17_IbLb0EEEEDaS13_S14_EUlS13_E_NS1_11comp_targetILNS1_3genE8ELNS1_11target_archE1030ELNS1_3gpuE2ELNS1_3repE0EEENS1_30default_config_static_selectorELNS0_4arch9wavefront6targetE0EEEvT1_
	.globl	_ZN7rocprim17ROCPRIM_400000_NS6detail17trampoline_kernelINS0_14default_configENS1_25partition_config_selectorILNS1_17partition_subalgoE6EiNS0_10empty_typeEbEEZZNS1_14partition_implILS5_6ELb0ES3_mN6thrust23THRUST_200600_302600_NS6detail15normal_iteratorINSA_10device_ptrIiEEEEPS6_SG_NS0_5tupleIJSF_S6_EEENSH_IJSG_SG_EEES6_PlJNSB_9not_fun_tINSB_14equal_to_valueIiEEEEEEE10hipError_tPvRmT3_T4_T5_T6_T7_T9_mT8_P12ihipStream_tbDpT10_ENKUlT_T0_E_clISt17integral_constantIbLb1EES17_IbLb0EEEEDaS13_S14_EUlS13_E_NS1_11comp_targetILNS1_3genE8ELNS1_11target_archE1030ELNS1_3gpuE2ELNS1_3repE0EEENS1_30default_config_static_selectorELNS0_4arch9wavefront6targetE0EEEvT1_
	.p2align	8
	.type	_ZN7rocprim17ROCPRIM_400000_NS6detail17trampoline_kernelINS0_14default_configENS1_25partition_config_selectorILNS1_17partition_subalgoE6EiNS0_10empty_typeEbEEZZNS1_14partition_implILS5_6ELb0ES3_mN6thrust23THRUST_200600_302600_NS6detail15normal_iteratorINSA_10device_ptrIiEEEEPS6_SG_NS0_5tupleIJSF_S6_EEENSH_IJSG_SG_EEES6_PlJNSB_9not_fun_tINSB_14equal_to_valueIiEEEEEEE10hipError_tPvRmT3_T4_T5_T6_T7_T9_mT8_P12ihipStream_tbDpT10_ENKUlT_T0_E_clISt17integral_constantIbLb1EES17_IbLb0EEEEDaS13_S14_EUlS13_E_NS1_11comp_targetILNS1_3genE8ELNS1_11target_archE1030ELNS1_3gpuE2ELNS1_3repE0EEENS1_30default_config_static_selectorELNS0_4arch9wavefront6targetE0EEEvT1_,@function
_ZN7rocprim17ROCPRIM_400000_NS6detail17trampoline_kernelINS0_14default_configENS1_25partition_config_selectorILNS1_17partition_subalgoE6EiNS0_10empty_typeEbEEZZNS1_14partition_implILS5_6ELb0ES3_mN6thrust23THRUST_200600_302600_NS6detail15normal_iteratorINSA_10device_ptrIiEEEEPS6_SG_NS0_5tupleIJSF_S6_EEENSH_IJSG_SG_EEES6_PlJNSB_9not_fun_tINSB_14equal_to_valueIiEEEEEEE10hipError_tPvRmT3_T4_T5_T6_T7_T9_mT8_P12ihipStream_tbDpT10_ENKUlT_T0_E_clISt17integral_constantIbLb1EES17_IbLb0EEEEDaS13_S14_EUlS13_E_NS1_11comp_targetILNS1_3genE8ELNS1_11target_archE1030ELNS1_3gpuE2ELNS1_3repE0EEENS1_30default_config_static_selectorELNS0_4arch9wavefront6targetE0EEEvT1_: ; @_ZN7rocprim17ROCPRIM_400000_NS6detail17trampoline_kernelINS0_14default_configENS1_25partition_config_selectorILNS1_17partition_subalgoE6EiNS0_10empty_typeEbEEZZNS1_14partition_implILS5_6ELb0ES3_mN6thrust23THRUST_200600_302600_NS6detail15normal_iteratorINSA_10device_ptrIiEEEEPS6_SG_NS0_5tupleIJSF_S6_EEENSH_IJSG_SG_EEES6_PlJNSB_9not_fun_tINSB_14equal_to_valueIiEEEEEEE10hipError_tPvRmT3_T4_T5_T6_T7_T9_mT8_P12ihipStream_tbDpT10_ENKUlT_T0_E_clISt17integral_constantIbLb1EES17_IbLb0EEEEDaS13_S14_EUlS13_E_NS1_11comp_targetILNS1_3genE8ELNS1_11target_archE1030ELNS1_3gpuE2ELNS1_3repE0EEENS1_30default_config_static_selectorELNS0_4arch9wavefront6targetE0EEEvT1_
; %bb.0:
	.section	.rodata,"a",@progbits
	.p2align	6, 0x0
	.amdhsa_kernel _ZN7rocprim17ROCPRIM_400000_NS6detail17trampoline_kernelINS0_14default_configENS1_25partition_config_selectorILNS1_17partition_subalgoE6EiNS0_10empty_typeEbEEZZNS1_14partition_implILS5_6ELb0ES3_mN6thrust23THRUST_200600_302600_NS6detail15normal_iteratorINSA_10device_ptrIiEEEEPS6_SG_NS0_5tupleIJSF_S6_EEENSH_IJSG_SG_EEES6_PlJNSB_9not_fun_tINSB_14equal_to_valueIiEEEEEEE10hipError_tPvRmT3_T4_T5_T6_T7_T9_mT8_P12ihipStream_tbDpT10_ENKUlT_T0_E_clISt17integral_constantIbLb1EES17_IbLb0EEEEDaS13_S14_EUlS13_E_NS1_11comp_targetILNS1_3genE8ELNS1_11target_archE1030ELNS1_3gpuE2ELNS1_3repE0EEENS1_30default_config_static_selectorELNS0_4arch9wavefront6targetE0EEEvT1_
		.amdhsa_group_segment_fixed_size 0
		.amdhsa_private_segment_fixed_size 0
		.amdhsa_kernarg_size 120
		.amdhsa_user_sgpr_count 2
		.amdhsa_user_sgpr_dispatch_ptr 0
		.amdhsa_user_sgpr_queue_ptr 0
		.amdhsa_user_sgpr_kernarg_segment_ptr 1
		.amdhsa_user_sgpr_dispatch_id 0
		.amdhsa_user_sgpr_private_segment_size 0
		.amdhsa_wavefront_size32 1
		.amdhsa_uses_dynamic_stack 0
		.amdhsa_enable_private_segment 0
		.amdhsa_system_sgpr_workgroup_id_x 1
		.amdhsa_system_sgpr_workgroup_id_y 0
		.amdhsa_system_sgpr_workgroup_id_z 0
		.amdhsa_system_sgpr_workgroup_info 0
		.amdhsa_system_vgpr_workitem_id 0
		.amdhsa_next_free_vgpr 1
		.amdhsa_next_free_sgpr 1
		.amdhsa_reserve_vcc 0
		.amdhsa_float_round_mode_32 0
		.amdhsa_float_round_mode_16_64 0
		.amdhsa_float_denorm_mode_32 3
		.amdhsa_float_denorm_mode_16_64 3
		.amdhsa_fp16_overflow 0
		.amdhsa_workgroup_processor_mode 1
		.amdhsa_memory_ordered 1
		.amdhsa_forward_progress 1
		.amdhsa_inst_pref_size 0
		.amdhsa_round_robin_scheduling 0
		.amdhsa_exception_fp_ieee_invalid_op 0
		.amdhsa_exception_fp_denorm_src 0
		.amdhsa_exception_fp_ieee_div_zero 0
		.amdhsa_exception_fp_ieee_overflow 0
		.amdhsa_exception_fp_ieee_underflow 0
		.amdhsa_exception_fp_ieee_inexact 0
		.amdhsa_exception_int_div_zero 0
	.end_amdhsa_kernel
	.section	.text._ZN7rocprim17ROCPRIM_400000_NS6detail17trampoline_kernelINS0_14default_configENS1_25partition_config_selectorILNS1_17partition_subalgoE6EiNS0_10empty_typeEbEEZZNS1_14partition_implILS5_6ELb0ES3_mN6thrust23THRUST_200600_302600_NS6detail15normal_iteratorINSA_10device_ptrIiEEEEPS6_SG_NS0_5tupleIJSF_S6_EEENSH_IJSG_SG_EEES6_PlJNSB_9not_fun_tINSB_14equal_to_valueIiEEEEEEE10hipError_tPvRmT3_T4_T5_T6_T7_T9_mT8_P12ihipStream_tbDpT10_ENKUlT_T0_E_clISt17integral_constantIbLb1EES17_IbLb0EEEEDaS13_S14_EUlS13_E_NS1_11comp_targetILNS1_3genE8ELNS1_11target_archE1030ELNS1_3gpuE2ELNS1_3repE0EEENS1_30default_config_static_selectorELNS0_4arch9wavefront6targetE0EEEvT1_,"axG",@progbits,_ZN7rocprim17ROCPRIM_400000_NS6detail17trampoline_kernelINS0_14default_configENS1_25partition_config_selectorILNS1_17partition_subalgoE6EiNS0_10empty_typeEbEEZZNS1_14partition_implILS5_6ELb0ES3_mN6thrust23THRUST_200600_302600_NS6detail15normal_iteratorINSA_10device_ptrIiEEEEPS6_SG_NS0_5tupleIJSF_S6_EEENSH_IJSG_SG_EEES6_PlJNSB_9not_fun_tINSB_14equal_to_valueIiEEEEEEE10hipError_tPvRmT3_T4_T5_T6_T7_T9_mT8_P12ihipStream_tbDpT10_ENKUlT_T0_E_clISt17integral_constantIbLb1EES17_IbLb0EEEEDaS13_S14_EUlS13_E_NS1_11comp_targetILNS1_3genE8ELNS1_11target_archE1030ELNS1_3gpuE2ELNS1_3repE0EEENS1_30default_config_static_selectorELNS0_4arch9wavefront6targetE0EEEvT1_,comdat
.Lfunc_end492:
	.size	_ZN7rocprim17ROCPRIM_400000_NS6detail17trampoline_kernelINS0_14default_configENS1_25partition_config_selectorILNS1_17partition_subalgoE6EiNS0_10empty_typeEbEEZZNS1_14partition_implILS5_6ELb0ES3_mN6thrust23THRUST_200600_302600_NS6detail15normal_iteratorINSA_10device_ptrIiEEEEPS6_SG_NS0_5tupleIJSF_S6_EEENSH_IJSG_SG_EEES6_PlJNSB_9not_fun_tINSB_14equal_to_valueIiEEEEEEE10hipError_tPvRmT3_T4_T5_T6_T7_T9_mT8_P12ihipStream_tbDpT10_ENKUlT_T0_E_clISt17integral_constantIbLb1EES17_IbLb0EEEEDaS13_S14_EUlS13_E_NS1_11comp_targetILNS1_3genE8ELNS1_11target_archE1030ELNS1_3gpuE2ELNS1_3repE0EEENS1_30default_config_static_selectorELNS0_4arch9wavefront6targetE0EEEvT1_, .Lfunc_end492-_ZN7rocprim17ROCPRIM_400000_NS6detail17trampoline_kernelINS0_14default_configENS1_25partition_config_selectorILNS1_17partition_subalgoE6EiNS0_10empty_typeEbEEZZNS1_14partition_implILS5_6ELb0ES3_mN6thrust23THRUST_200600_302600_NS6detail15normal_iteratorINSA_10device_ptrIiEEEEPS6_SG_NS0_5tupleIJSF_S6_EEENSH_IJSG_SG_EEES6_PlJNSB_9not_fun_tINSB_14equal_to_valueIiEEEEEEE10hipError_tPvRmT3_T4_T5_T6_T7_T9_mT8_P12ihipStream_tbDpT10_ENKUlT_T0_E_clISt17integral_constantIbLb1EES17_IbLb0EEEEDaS13_S14_EUlS13_E_NS1_11comp_targetILNS1_3genE8ELNS1_11target_archE1030ELNS1_3gpuE2ELNS1_3repE0EEENS1_30default_config_static_selectorELNS0_4arch9wavefront6targetE0EEEvT1_
                                        ; -- End function
	.set _ZN7rocprim17ROCPRIM_400000_NS6detail17trampoline_kernelINS0_14default_configENS1_25partition_config_selectorILNS1_17partition_subalgoE6EiNS0_10empty_typeEbEEZZNS1_14partition_implILS5_6ELb0ES3_mN6thrust23THRUST_200600_302600_NS6detail15normal_iteratorINSA_10device_ptrIiEEEEPS6_SG_NS0_5tupleIJSF_S6_EEENSH_IJSG_SG_EEES6_PlJNSB_9not_fun_tINSB_14equal_to_valueIiEEEEEEE10hipError_tPvRmT3_T4_T5_T6_T7_T9_mT8_P12ihipStream_tbDpT10_ENKUlT_T0_E_clISt17integral_constantIbLb1EES17_IbLb0EEEEDaS13_S14_EUlS13_E_NS1_11comp_targetILNS1_3genE8ELNS1_11target_archE1030ELNS1_3gpuE2ELNS1_3repE0EEENS1_30default_config_static_selectorELNS0_4arch9wavefront6targetE0EEEvT1_.num_vgpr, 0
	.set _ZN7rocprim17ROCPRIM_400000_NS6detail17trampoline_kernelINS0_14default_configENS1_25partition_config_selectorILNS1_17partition_subalgoE6EiNS0_10empty_typeEbEEZZNS1_14partition_implILS5_6ELb0ES3_mN6thrust23THRUST_200600_302600_NS6detail15normal_iteratorINSA_10device_ptrIiEEEEPS6_SG_NS0_5tupleIJSF_S6_EEENSH_IJSG_SG_EEES6_PlJNSB_9not_fun_tINSB_14equal_to_valueIiEEEEEEE10hipError_tPvRmT3_T4_T5_T6_T7_T9_mT8_P12ihipStream_tbDpT10_ENKUlT_T0_E_clISt17integral_constantIbLb1EES17_IbLb0EEEEDaS13_S14_EUlS13_E_NS1_11comp_targetILNS1_3genE8ELNS1_11target_archE1030ELNS1_3gpuE2ELNS1_3repE0EEENS1_30default_config_static_selectorELNS0_4arch9wavefront6targetE0EEEvT1_.num_agpr, 0
	.set _ZN7rocprim17ROCPRIM_400000_NS6detail17trampoline_kernelINS0_14default_configENS1_25partition_config_selectorILNS1_17partition_subalgoE6EiNS0_10empty_typeEbEEZZNS1_14partition_implILS5_6ELb0ES3_mN6thrust23THRUST_200600_302600_NS6detail15normal_iteratorINSA_10device_ptrIiEEEEPS6_SG_NS0_5tupleIJSF_S6_EEENSH_IJSG_SG_EEES6_PlJNSB_9not_fun_tINSB_14equal_to_valueIiEEEEEEE10hipError_tPvRmT3_T4_T5_T6_T7_T9_mT8_P12ihipStream_tbDpT10_ENKUlT_T0_E_clISt17integral_constantIbLb1EES17_IbLb0EEEEDaS13_S14_EUlS13_E_NS1_11comp_targetILNS1_3genE8ELNS1_11target_archE1030ELNS1_3gpuE2ELNS1_3repE0EEENS1_30default_config_static_selectorELNS0_4arch9wavefront6targetE0EEEvT1_.numbered_sgpr, 0
	.set _ZN7rocprim17ROCPRIM_400000_NS6detail17trampoline_kernelINS0_14default_configENS1_25partition_config_selectorILNS1_17partition_subalgoE6EiNS0_10empty_typeEbEEZZNS1_14partition_implILS5_6ELb0ES3_mN6thrust23THRUST_200600_302600_NS6detail15normal_iteratorINSA_10device_ptrIiEEEEPS6_SG_NS0_5tupleIJSF_S6_EEENSH_IJSG_SG_EEES6_PlJNSB_9not_fun_tINSB_14equal_to_valueIiEEEEEEE10hipError_tPvRmT3_T4_T5_T6_T7_T9_mT8_P12ihipStream_tbDpT10_ENKUlT_T0_E_clISt17integral_constantIbLb1EES17_IbLb0EEEEDaS13_S14_EUlS13_E_NS1_11comp_targetILNS1_3genE8ELNS1_11target_archE1030ELNS1_3gpuE2ELNS1_3repE0EEENS1_30default_config_static_selectorELNS0_4arch9wavefront6targetE0EEEvT1_.num_named_barrier, 0
	.set _ZN7rocprim17ROCPRIM_400000_NS6detail17trampoline_kernelINS0_14default_configENS1_25partition_config_selectorILNS1_17partition_subalgoE6EiNS0_10empty_typeEbEEZZNS1_14partition_implILS5_6ELb0ES3_mN6thrust23THRUST_200600_302600_NS6detail15normal_iteratorINSA_10device_ptrIiEEEEPS6_SG_NS0_5tupleIJSF_S6_EEENSH_IJSG_SG_EEES6_PlJNSB_9not_fun_tINSB_14equal_to_valueIiEEEEEEE10hipError_tPvRmT3_T4_T5_T6_T7_T9_mT8_P12ihipStream_tbDpT10_ENKUlT_T0_E_clISt17integral_constantIbLb1EES17_IbLb0EEEEDaS13_S14_EUlS13_E_NS1_11comp_targetILNS1_3genE8ELNS1_11target_archE1030ELNS1_3gpuE2ELNS1_3repE0EEENS1_30default_config_static_selectorELNS0_4arch9wavefront6targetE0EEEvT1_.private_seg_size, 0
	.set _ZN7rocprim17ROCPRIM_400000_NS6detail17trampoline_kernelINS0_14default_configENS1_25partition_config_selectorILNS1_17partition_subalgoE6EiNS0_10empty_typeEbEEZZNS1_14partition_implILS5_6ELb0ES3_mN6thrust23THRUST_200600_302600_NS6detail15normal_iteratorINSA_10device_ptrIiEEEEPS6_SG_NS0_5tupleIJSF_S6_EEENSH_IJSG_SG_EEES6_PlJNSB_9not_fun_tINSB_14equal_to_valueIiEEEEEEE10hipError_tPvRmT3_T4_T5_T6_T7_T9_mT8_P12ihipStream_tbDpT10_ENKUlT_T0_E_clISt17integral_constantIbLb1EES17_IbLb0EEEEDaS13_S14_EUlS13_E_NS1_11comp_targetILNS1_3genE8ELNS1_11target_archE1030ELNS1_3gpuE2ELNS1_3repE0EEENS1_30default_config_static_selectorELNS0_4arch9wavefront6targetE0EEEvT1_.uses_vcc, 0
	.set _ZN7rocprim17ROCPRIM_400000_NS6detail17trampoline_kernelINS0_14default_configENS1_25partition_config_selectorILNS1_17partition_subalgoE6EiNS0_10empty_typeEbEEZZNS1_14partition_implILS5_6ELb0ES3_mN6thrust23THRUST_200600_302600_NS6detail15normal_iteratorINSA_10device_ptrIiEEEEPS6_SG_NS0_5tupleIJSF_S6_EEENSH_IJSG_SG_EEES6_PlJNSB_9not_fun_tINSB_14equal_to_valueIiEEEEEEE10hipError_tPvRmT3_T4_T5_T6_T7_T9_mT8_P12ihipStream_tbDpT10_ENKUlT_T0_E_clISt17integral_constantIbLb1EES17_IbLb0EEEEDaS13_S14_EUlS13_E_NS1_11comp_targetILNS1_3genE8ELNS1_11target_archE1030ELNS1_3gpuE2ELNS1_3repE0EEENS1_30default_config_static_selectorELNS0_4arch9wavefront6targetE0EEEvT1_.uses_flat_scratch, 0
	.set _ZN7rocprim17ROCPRIM_400000_NS6detail17trampoline_kernelINS0_14default_configENS1_25partition_config_selectorILNS1_17partition_subalgoE6EiNS0_10empty_typeEbEEZZNS1_14partition_implILS5_6ELb0ES3_mN6thrust23THRUST_200600_302600_NS6detail15normal_iteratorINSA_10device_ptrIiEEEEPS6_SG_NS0_5tupleIJSF_S6_EEENSH_IJSG_SG_EEES6_PlJNSB_9not_fun_tINSB_14equal_to_valueIiEEEEEEE10hipError_tPvRmT3_T4_T5_T6_T7_T9_mT8_P12ihipStream_tbDpT10_ENKUlT_T0_E_clISt17integral_constantIbLb1EES17_IbLb0EEEEDaS13_S14_EUlS13_E_NS1_11comp_targetILNS1_3genE8ELNS1_11target_archE1030ELNS1_3gpuE2ELNS1_3repE0EEENS1_30default_config_static_selectorELNS0_4arch9wavefront6targetE0EEEvT1_.has_dyn_sized_stack, 0
	.set _ZN7rocprim17ROCPRIM_400000_NS6detail17trampoline_kernelINS0_14default_configENS1_25partition_config_selectorILNS1_17partition_subalgoE6EiNS0_10empty_typeEbEEZZNS1_14partition_implILS5_6ELb0ES3_mN6thrust23THRUST_200600_302600_NS6detail15normal_iteratorINSA_10device_ptrIiEEEEPS6_SG_NS0_5tupleIJSF_S6_EEENSH_IJSG_SG_EEES6_PlJNSB_9not_fun_tINSB_14equal_to_valueIiEEEEEEE10hipError_tPvRmT3_T4_T5_T6_T7_T9_mT8_P12ihipStream_tbDpT10_ENKUlT_T0_E_clISt17integral_constantIbLb1EES17_IbLb0EEEEDaS13_S14_EUlS13_E_NS1_11comp_targetILNS1_3genE8ELNS1_11target_archE1030ELNS1_3gpuE2ELNS1_3repE0EEENS1_30default_config_static_selectorELNS0_4arch9wavefront6targetE0EEEvT1_.has_recursion, 0
	.set _ZN7rocprim17ROCPRIM_400000_NS6detail17trampoline_kernelINS0_14default_configENS1_25partition_config_selectorILNS1_17partition_subalgoE6EiNS0_10empty_typeEbEEZZNS1_14partition_implILS5_6ELb0ES3_mN6thrust23THRUST_200600_302600_NS6detail15normal_iteratorINSA_10device_ptrIiEEEEPS6_SG_NS0_5tupleIJSF_S6_EEENSH_IJSG_SG_EEES6_PlJNSB_9not_fun_tINSB_14equal_to_valueIiEEEEEEE10hipError_tPvRmT3_T4_T5_T6_T7_T9_mT8_P12ihipStream_tbDpT10_ENKUlT_T0_E_clISt17integral_constantIbLb1EES17_IbLb0EEEEDaS13_S14_EUlS13_E_NS1_11comp_targetILNS1_3genE8ELNS1_11target_archE1030ELNS1_3gpuE2ELNS1_3repE0EEENS1_30default_config_static_selectorELNS0_4arch9wavefront6targetE0EEEvT1_.has_indirect_call, 0
	.section	.AMDGPU.csdata,"",@progbits
; Kernel info:
; codeLenInByte = 0
; TotalNumSgprs: 0
; NumVgprs: 0
; ScratchSize: 0
; MemoryBound: 0
; FloatMode: 240
; IeeeMode: 1
; LDSByteSize: 0 bytes/workgroup (compile time only)
; SGPRBlocks: 0
; VGPRBlocks: 0
; NumSGPRsForWavesPerEU: 1
; NumVGPRsForWavesPerEU: 1
; Occupancy: 16
; WaveLimiterHint : 0
; COMPUTE_PGM_RSRC2:SCRATCH_EN: 0
; COMPUTE_PGM_RSRC2:USER_SGPR: 2
; COMPUTE_PGM_RSRC2:TRAP_HANDLER: 0
; COMPUTE_PGM_RSRC2:TGID_X_EN: 1
; COMPUTE_PGM_RSRC2:TGID_Y_EN: 0
; COMPUTE_PGM_RSRC2:TGID_Z_EN: 0
; COMPUTE_PGM_RSRC2:TIDIG_COMP_CNT: 0
	.section	.text._ZN7rocprim17ROCPRIM_400000_NS6detail17trampoline_kernelINS0_14default_configENS1_25partition_config_selectorILNS1_17partition_subalgoE6EiNS0_10empty_typeEbEEZZNS1_14partition_implILS5_6ELb0ES3_mN6thrust23THRUST_200600_302600_NS6detail15normal_iteratorINSA_10device_ptrIiEEEEPS6_SG_NS0_5tupleIJSF_S6_EEENSH_IJSG_SG_EEES6_PlJNSB_9not_fun_tINSB_14equal_to_valueIiEEEEEEE10hipError_tPvRmT3_T4_T5_T6_T7_T9_mT8_P12ihipStream_tbDpT10_ENKUlT_T0_E_clISt17integral_constantIbLb0EES17_IbLb1EEEEDaS13_S14_EUlS13_E_NS1_11comp_targetILNS1_3genE0ELNS1_11target_archE4294967295ELNS1_3gpuE0ELNS1_3repE0EEENS1_30default_config_static_selectorELNS0_4arch9wavefront6targetE0EEEvT1_,"axG",@progbits,_ZN7rocprim17ROCPRIM_400000_NS6detail17trampoline_kernelINS0_14default_configENS1_25partition_config_selectorILNS1_17partition_subalgoE6EiNS0_10empty_typeEbEEZZNS1_14partition_implILS5_6ELb0ES3_mN6thrust23THRUST_200600_302600_NS6detail15normal_iteratorINSA_10device_ptrIiEEEEPS6_SG_NS0_5tupleIJSF_S6_EEENSH_IJSG_SG_EEES6_PlJNSB_9not_fun_tINSB_14equal_to_valueIiEEEEEEE10hipError_tPvRmT3_T4_T5_T6_T7_T9_mT8_P12ihipStream_tbDpT10_ENKUlT_T0_E_clISt17integral_constantIbLb0EES17_IbLb1EEEEDaS13_S14_EUlS13_E_NS1_11comp_targetILNS1_3genE0ELNS1_11target_archE4294967295ELNS1_3gpuE0ELNS1_3repE0EEENS1_30default_config_static_selectorELNS0_4arch9wavefront6targetE0EEEvT1_,comdat
	.protected	_ZN7rocprim17ROCPRIM_400000_NS6detail17trampoline_kernelINS0_14default_configENS1_25partition_config_selectorILNS1_17partition_subalgoE6EiNS0_10empty_typeEbEEZZNS1_14partition_implILS5_6ELb0ES3_mN6thrust23THRUST_200600_302600_NS6detail15normal_iteratorINSA_10device_ptrIiEEEEPS6_SG_NS0_5tupleIJSF_S6_EEENSH_IJSG_SG_EEES6_PlJNSB_9not_fun_tINSB_14equal_to_valueIiEEEEEEE10hipError_tPvRmT3_T4_T5_T6_T7_T9_mT8_P12ihipStream_tbDpT10_ENKUlT_T0_E_clISt17integral_constantIbLb0EES17_IbLb1EEEEDaS13_S14_EUlS13_E_NS1_11comp_targetILNS1_3genE0ELNS1_11target_archE4294967295ELNS1_3gpuE0ELNS1_3repE0EEENS1_30default_config_static_selectorELNS0_4arch9wavefront6targetE0EEEvT1_ ; -- Begin function _ZN7rocprim17ROCPRIM_400000_NS6detail17trampoline_kernelINS0_14default_configENS1_25partition_config_selectorILNS1_17partition_subalgoE6EiNS0_10empty_typeEbEEZZNS1_14partition_implILS5_6ELb0ES3_mN6thrust23THRUST_200600_302600_NS6detail15normal_iteratorINSA_10device_ptrIiEEEEPS6_SG_NS0_5tupleIJSF_S6_EEENSH_IJSG_SG_EEES6_PlJNSB_9not_fun_tINSB_14equal_to_valueIiEEEEEEE10hipError_tPvRmT3_T4_T5_T6_T7_T9_mT8_P12ihipStream_tbDpT10_ENKUlT_T0_E_clISt17integral_constantIbLb0EES17_IbLb1EEEEDaS13_S14_EUlS13_E_NS1_11comp_targetILNS1_3genE0ELNS1_11target_archE4294967295ELNS1_3gpuE0ELNS1_3repE0EEENS1_30default_config_static_selectorELNS0_4arch9wavefront6targetE0EEEvT1_
	.globl	_ZN7rocprim17ROCPRIM_400000_NS6detail17trampoline_kernelINS0_14default_configENS1_25partition_config_selectorILNS1_17partition_subalgoE6EiNS0_10empty_typeEbEEZZNS1_14partition_implILS5_6ELb0ES3_mN6thrust23THRUST_200600_302600_NS6detail15normal_iteratorINSA_10device_ptrIiEEEEPS6_SG_NS0_5tupleIJSF_S6_EEENSH_IJSG_SG_EEES6_PlJNSB_9not_fun_tINSB_14equal_to_valueIiEEEEEEE10hipError_tPvRmT3_T4_T5_T6_T7_T9_mT8_P12ihipStream_tbDpT10_ENKUlT_T0_E_clISt17integral_constantIbLb0EES17_IbLb1EEEEDaS13_S14_EUlS13_E_NS1_11comp_targetILNS1_3genE0ELNS1_11target_archE4294967295ELNS1_3gpuE0ELNS1_3repE0EEENS1_30default_config_static_selectorELNS0_4arch9wavefront6targetE0EEEvT1_
	.p2align	8
	.type	_ZN7rocprim17ROCPRIM_400000_NS6detail17trampoline_kernelINS0_14default_configENS1_25partition_config_selectorILNS1_17partition_subalgoE6EiNS0_10empty_typeEbEEZZNS1_14partition_implILS5_6ELb0ES3_mN6thrust23THRUST_200600_302600_NS6detail15normal_iteratorINSA_10device_ptrIiEEEEPS6_SG_NS0_5tupleIJSF_S6_EEENSH_IJSG_SG_EEES6_PlJNSB_9not_fun_tINSB_14equal_to_valueIiEEEEEEE10hipError_tPvRmT3_T4_T5_T6_T7_T9_mT8_P12ihipStream_tbDpT10_ENKUlT_T0_E_clISt17integral_constantIbLb0EES17_IbLb1EEEEDaS13_S14_EUlS13_E_NS1_11comp_targetILNS1_3genE0ELNS1_11target_archE4294967295ELNS1_3gpuE0ELNS1_3repE0EEENS1_30default_config_static_selectorELNS0_4arch9wavefront6targetE0EEEvT1_,@function
_ZN7rocprim17ROCPRIM_400000_NS6detail17trampoline_kernelINS0_14default_configENS1_25partition_config_selectorILNS1_17partition_subalgoE6EiNS0_10empty_typeEbEEZZNS1_14partition_implILS5_6ELb0ES3_mN6thrust23THRUST_200600_302600_NS6detail15normal_iteratorINSA_10device_ptrIiEEEEPS6_SG_NS0_5tupleIJSF_S6_EEENSH_IJSG_SG_EEES6_PlJNSB_9not_fun_tINSB_14equal_to_valueIiEEEEEEE10hipError_tPvRmT3_T4_T5_T6_T7_T9_mT8_P12ihipStream_tbDpT10_ENKUlT_T0_E_clISt17integral_constantIbLb0EES17_IbLb1EEEEDaS13_S14_EUlS13_E_NS1_11comp_targetILNS1_3genE0ELNS1_11target_archE4294967295ELNS1_3gpuE0ELNS1_3repE0EEENS1_30default_config_static_selectorELNS0_4arch9wavefront6targetE0EEEvT1_: ; @_ZN7rocprim17ROCPRIM_400000_NS6detail17trampoline_kernelINS0_14default_configENS1_25partition_config_selectorILNS1_17partition_subalgoE6EiNS0_10empty_typeEbEEZZNS1_14partition_implILS5_6ELb0ES3_mN6thrust23THRUST_200600_302600_NS6detail15normal_iteratorINSA_10device_ptrIiEEEEPS6_SG_NS0_5tupleIJSF_S6_EEENSH_IJSG_SG_EEES6_PlJNSB_9not_fun_tINSB_14equal_to_valueIiEEEEEEE10hipError_tPvRmT3_T4_T5_T6_T7_T9_mT8_P12ihipStream_tbDpT10_ENKUlT_T0_E_clISt17integral_constantIbLb0EES17_IbLb1EEEEDaS13_S14_EUlS13_E_NS1_11comp_targetILNS1_3genE0ELNS1_11target_archE4294967295ELNS1_3gpuE0ELNS1_3repE0EEENS1_30default_config_static_selectorELNS0_4arch9wavefront6targetE0EEEvT1_
; %bb.0:
	.section	.rodata,"a",@progbits
	.p2align	6, 0x0
	.amdhsa_kernel _ZN7rocprim17ROCPRIM_400000_NS6detail17trampoline_kernelINS0_14default_configENS1_25partition_config_selectorILNS1_17partition_subalgoE6EiNS0_10empty_typeEbEEZZNS1_14partition_implILS5_6ELb0ES3_mN6thrust23THRUST_200600_302600_NS6detail15normal_iteratorINSA_10device_ptrIiEEEEPS6_SG_NS0_5tupleIJSF_S6_EEENSH_IJSG_SG_EEES6_PlJNSB_9not_fun_tINSB_14equal_to_valueIiEEEEEEE10hipError_tPvRmT3_T4_T5_T6_T7_T9_mT8_P12ihipStream_tbDpT10_ENKUlT_T0_E_clISt17integral_constantIbLb0EES17_IbLb1EEEEDaS13_S14_EUlS13_E_NS1_11comp_targetILNS1_3genE0ELNS1_11target_archE4294967295ELNS1_3gpuE0ELNS1_3repE0EEENS1_30default_config_static_selectorELNS0_4arch9wavefront6targetE0EEEvT1_
		.amdhsa_group_segment_fixed_size 0
		.amdhsa_private_segment_fixed_size 0
		.amdhsa_kernarg_size 128
		.amdhsa_user_sgpr_count 2
		.amdhsa_user_sgpr_dispatch_ptr 0
		.amdhsa_user_sgpr_queue_ptr 0
		.amdhsa_user_sgpr_kernarg_segment_ptr 1
		.amdhsa_user_sgpr_dispatch_id 0
		.amdhsa_user_sgpr_private_segment_size 0
		.amdhsa_wavefront_size32 1
		.amdhsa_uses_dynamic_stack 0
		.amdhsa_enable_private_segment 0
		.amdhsa_system_sgpr_workgroup_id_x 1
		.amdhsa_system_sgpr_workgroup_id_y 0
		.amdhsa_system_sgpr_workgroup_id_z 0
		.amdhsa_system_sgpr_workgroup_info 0
		.amdhsa_system_vgpr_workitem_id 0
		.amdhsa_next_free_vgpr 1
		.amdhsa_next_free_sgpr 1
		.amdhsa_reserve_vcc 0
		.amdhsa_float_round_mode_32 0
		.amdhsa_float_round_mode_16_64 0
		.amdhsa_float_denorm_mode_32 3
		.amdhsa_float_denorm_mode_16_64 3
		.amdhsa_fp16_overflow 0
		.amdhsa_workgroup_processor_mode 1
		.amdhsa_memory_ordered 1
		.amdhsa_forward_progress 1
		.amdhsa_inst_pref_size 0
		.amdhsa_round_robin_scheduling 0
		.amdhsa_exception_fp_ieee_invalid_op 0
		.amdhsa_exception_fp_denorm_src 0
		.amdhsa_exception_fp_ieee_div_zero 0
		.amdhsa_exception_fp_ieee_overflow 0
		.amdhsa_exception_fp_ieee_underflow 0
		.amdhsa_exception_fp_ieee_inexact 0
		.amdhsa_exception_int_div_zero 0
	.end_amdhsa_kernel
	.section	.text._ZN7rocprim17ROCPRIM_400000_NS6detail17trampoline_kernelINS0_14default_configENS1_25partition_config_selectorILNS1_17partition_subalgoE6EiNS0_10empty_typeEbEEZZNS1_14partition_implILS5_6ELb0ES3_mN6thrust23THRUST_200600_302600_NS6detail15normal_iteratorINSA_10device_ptrIiEEEEPS6_SG_NS0_5tupleIJSF_S6_EEENSH_IJSG_SG_EEES6_PlJNSB_9not_fun_tINSB_14equal_to_valueIiEEEEEEE10hipError_tPvRmT3_T4_T5_T6_T7_T9_mT8_P12ihipStream_tbDpT10_ENKUlT_T0_E_clISt17integral_constantIbLb0EES17_IbLb1EEEEDaS13_S14_EUlS13_E_NS1_11comp_targetILNS1_3genE0ELNS1_11target_archE4294967295ELNS1_3gpuE0ELNS1_3repE0EEENS1_30default_config_static_selectorELNS0_4arch9wavefront6targetE0EEEvT1_,"axG",@progbits,_ZN7rocprim17ROCPRIM_400000_NS6detail17trampoline_kernelINS0_14default_configENS1_25partition_config_selectorILNS1_17partition_subalgoE6EiNS0_10empty_typeEbEEZZNS1_14partition_implILS5_6ELb0ES3_mN6thrust23THRUST_200600_302600_NS6detail15normal_iteratorINSA_10device_ptrIiEEEEPS6_SG_NS0_5tupleIJSF_S6_EEENSH_IJSG_SG_EEES6_PlJNSB_9not_fun_tINSB_14equal_to_valueIiEEEEEEE10hipError_tPvRmT3_T4_T5_T6_T7_T9_mT8_P12ihipStream_tbDpT10_ENKUlT_T0_E_clISt17integral_constantIbLb0EES17_IbLb1EEEEDaS13_S14_EUlS13_E_NS1_11comp_targetILNS1_3genE0ELNS1_11target_archE4294967295ELNS1_3gpuE0ELNS1_3repE0EEENS1_30default_config_static_selectorELNS0_4arch9wavefront6targetE0EEEvT1_,comdat
.Lfunc_end493:
	.size	_ZN7rocprim17ROCPRIM_400000_NS6detail17trampoline_kernelINS0_14default_configENS1_25partition_config_selectorILNS1_17partition_subalgoE6EiNS0_10empty_typeEbEEZZNS1_14partition_implILS5_6ELb0ES3_mN6thrust23THRUST_200600_302600_NS6detail15normal_iteratorINSA_10device_ptrIiEEEEPS6_SG_NS0_5tupleIJSF_S6_EEENSH_IJSG_SG_EEES6_PlJNSB_9not_fun_tINSB_14equal_to_valueIiEEEEEEE10hipError_tPvRmT3_T4_T5_T6_T7_T9_mT8_P12ihipStream_tbDpT10_ENKUlT_T0_E_clISt17integral_constantIbLb0EES17_IbLb1EEEEDaS13_S14_EUlS13_E_NS1_11comp_targetILNS1_3genE0ELNS1_11target_archE4294967295ELNS1_3gpuE0ELNS1_3repE0EEENS1_30default_config_static_selectorELNS0_4arch9wavefront6targetE0EEEvT1_, .Lfunc_end493-_ZN7rocprim17ROCPRIM_400000_NS6detail17trampoline_kernelINS0_14default_configENS1_25partition_config_selectorILNS1_17partition_subalgoE6EiNS0_10empty_typeEbEEZZNS1_14partition_implILS5_6ELb0ES3_mN6thrust23THRUST_200600_302600_NS6detail15normal_iteratorINSA_10device_ptrIiEEEEPS6_SG_NS0_5tupleIJSF_S6_EEENSH_IJSG_SG_EEES6_PlJNSB_9not_fun_tINSB_14equal_to_valueIiEEEEEEE10hipError_tPvRmT3_T4_T5_T6_T7_T9_mT8_P12ihipStream_tbDpT10_ENKUlT_T0_E_clISt17integral_constantIbLb0EES17_IbLb1EEEEDaS13_S14_EUlS13_E_NS1_11comp_targetILNS1_3genE0ELNS1_11target_archE4294967295ELNS1_3gpuE0ELNS1_3repE0EEENS1_30default_config_static_selectorELNS0_4arch9wavefront6targetE0EEEvT1_
                                        ; -- End function
	.set _ZN7rocprim17ROCPRIM_400000_NS6detail17trampoline_kernelINS0_14default_configENS1_25partition_config_selectorILNS1_17partition_subalgoE6EiNS0_10empty_typeEbEEZZNS1_14partition_implILS5_6ELb0ES3_mN6thrust23THRUST_200600_302600_NS6detail15normal_iteratorINSA_10device_ptrIiEEEEPS6_SG_NS0_5tupleIJSF_S6_EEENSH_IJSG_SG_EEES6_PlJNSB_9not_fun_tINSB_14equal_to_valueIiEEEEEEE10hipError_tPvRmT3_T4_T5_T6_T7_T9_mT8_P12ihipStream_tbDpT10_ENKUlT_T0_E_clISt17integral_constantIbLb0EES17_IbLb1EEEEDaS13_S14_EUlS13_E_NS1_11comp_targetILNS1_3genE0ELNS1_11target_archE4294967295ELNS1_3gpuE0ELNS1_3repE0EEENS1_30default_config_static_selectorELNS0_4arch9wavefront6targetE0EEEvT1_.num_vgpr, 0
	.set _ZN7rocprim17ROCPRIM_400000_NS6detail17trampoline_kernelINS0_14default_configENS1_25partition_config_selectorILNS1_17partition_subalgoE6EiNS0_10empty_typeEbEEZZNS1_14partition_implILS5_6ELb0ES3_mN6thrust23THRUST_200600_302600_NS6detail15normal_iteratorINSA_10device_ptrIiEEEEPS6_SG_NS0_5tupleIJSF_S6_EEENSH_IJSG_SG_EEES6_PlJNSB_9not_fun_tINSB_14equal_to_valueIiEEEEEEE10hipError_tPvRmT3_T4_T5_T6_T7_T9_mT8_P12ihipStream_tbDpT10_ENKUlT_T0_E_clISt17integral_constantIbLb0EES17_IbLb1EEEEDaS13_S14_EUlS13_E_NS1_11comp_targetILNS1_3genE0ELNS1_11target_archE4294967295ELNS1_3gpuE0ELNS1_3repE0EEENS1_30default_config_static_selectorELNS0_4arch9wavefront6targetE0EEEvT1_.num_agpr, 0
	.set _ZN7rocprim17ROCPRIM_400000_NS6detail17trampoline_kernelINS0_14default_configENS1_25partition_config_selectorILNS1_17partition_subalgoE6EiNS0_10empty_typeEbEEZZNS1_14partition_implILS5_6ELb0ES3_mN6thrust23THRUST_200600_302600_NS6detail15normal_iteratorINSA_10device_ptrIiEEEEPS6_SG_NS0_5tupleIJSF_S6_EEENSH_IJSG_SG_EEES6_PlJNSB_9not_fun_tINSB_14equal_to_valueIiEEEEEEE10hipError_tPvRmT3_T4_T5_T6_T7_T9_mT8_P12ihipStream_tbDpT10_ENKUlT_T0_E_clISt17integral_constantIbLb0EES17_IbLb1EEEEDaS13_S14_EUlS13_E_NS1_11comp_targetILNS1_3genE0ELNS1_11target_archE4294967295ELNS1_3gpuE0ELNS1_3repE0EEENS1_30default_config_static_selectorELNS0_4arch9wavefront6targetE0EEEvT1_.numbered_sgpr, 0
	.set _ZN7rocprim17ROCPRIM_400000_NS6detail17trampoline_kernelINS0_14default_configENS1_25partition_config_selectorILNS1_17partition_subalgoE6EiNS0_10empty_typeEbEEZZNS1_14partition_implILS5_6ELb0ES3_mN6thrust23THRUST_200600_302600_NS6detail15normal_iteratorINSA_10device_ptrIiEEEEPS6_SG_NS0_5tupleIJSF_S6_EEENSH_IJSG_SG_EEES6_PlJNSB_9not_fun_tINSB_14equal_to_valueIiEEEEEEE10hipError_tPvRmT3_T4_T5_T6_T7_T9_mT8_P12ihipStream_tbDpT10_ENKUlT_T0_E_clISt17integral_constantIbLb0EES17_IbLb1EEEEDaS13_S14_EUlS13_E_NS1_11comp_targetILNS1_3genE0ELNS1_11target_archE4294967295ELNS1_3gpuE0ELNS1_3repE0EEENS1_30default_config_static_selectorELNS0_4arch9wavefront6targetE0EEEvT1_.num_named_barrier, 0
	.set _ZN7rocprim17ROCPRIM_400000_NS6detail17trampoline_kernelINS0_14default_configENS1_25partition_config_selectorILNS1_17partition_subalgoE6EiNS0_10empty_typeEbEEZZNS1_14partition_implILS5_6ELb0ES3_mN6thrust23THRUST_200600_302600_NS6detail15normal_iteratorINSA_10device_ptrIiEEEEPS6_SG_NS0_5tupleIJSF_S6_EEENSH_IJSG_SG_EEES6_PlJNSB_9not_fun_tINSB_14equal_to_valueIiEEEEEEE10hipError_tPvRmT3_T4_T5_T6_T7_T9_mT8_P12ihipStream_tbDpT10_ENKUlT_T0_E_clISt17integral_constantIbLb0EES17_IbLb1EEEEDaS13_S14_EUlS13_E_NS1_11comp_targetILNS1_3genE0ELNS1_11target_archE4294967295ELNS1_3gpuE0ELNS1_3repE0EEENS1_30default_config_static_selectorELNS0_4arch9wavefront6targetE0EEEvT1_.private_seg_size, 0
	.set _ZN7rocprim17ROCPRIM_400000_NS6detail17trampoline_kernelINS0_14default_configENS1_25partition_config_selectorILNS1_17partition_subalgoE6EiNS0_10empty_typeEbEEZZNS1_14partition_implILS5_6ELb0ES3_mN6thrust23THRUST_200600_302600_NS6detail15normal_iteratorINSA_10device_ptrIiEEEEPS6_SG_NS0_5tupleIJSF_S6_EEENSH_IJSG_SG_EEES6_PlJNSB_9not_fun_tINSB_14equal_to_valueIiEEEEEEE10hipError_tPvRmT3_T4_T5_T6_T7_T9_mT8_P12ihipStream_tbDpT10_ENKUlT_T0_E_clISt17integral_constantIbLb0EES17_IbLb1EEEEDaS13_S14_EUlS13_E_NS1_11comp_targetILNS1_3genE0ELNS1_11target_archE4294967295ELNS1_3gpuE0ELNS1_3repE0EEENS1_30default_config_static_selectorELNS0_4arch9wavefront6targetE0EEEvT1_.uses_vcc, 0
	.set _ZN7rocprim17ROCPRIM_400000_NS6detail17trampoline_kernelINS0_14default_configENS1_25partition_config_selectorILNS1_17partition_subalgoE6EiNS0_10empty_typeEbEEZZNS1_14partition_implILS5_6ELb0ES3_mN6thrust23THRUST_200600_302600_NS6detail15normal_iteratorINSA_10device_ptrIiEEEEPS6_SG_NS0_5tupleIJSF_S6_EEENSH_IJSG_SG_EEES6_PlJNSB_9not_fun_tINSB_14equal_to_valueIiEEEEEEE10hipError_tPvRmT3_T4_T5_T6_T7_T9_mT8_P12ihipStream_tbDpT10_ENKUlT_T0_E_clISt17integral_constantIbLb0EES17_IbLb1EEEEDaS13_S14_EUlS13_E_NS1_11comp_targetILNS1_3genE0ELNS1_11target_archE4294967295ELNS1_3gpuE0ELNS1_3repE0EEENS1_30default_config_static_selectorELNS0_4arch9wavefront6targetE0EEEvT1_.uses_flat_scratch, 0
	.set _ZN7rocprim17ROCPRIM_400000_NS6detail17trampoline_kernelINS0_14default_configENS1_25partition_config_selectorILNS1_17partition_subalgoE6EiNS0_10empty_typeEbEEZZNS1_14partition_implILS5_6ELb0ES3_mN6thrust23THRUST_200600_302600_NS6detail15normal_iteratorINSA_10device_ptrIiEEEEPS6_SG_NS0_5tupleIJSF_S6_EEENSH_IJSG_SG_EEES6_PlJNSB_9not_fun_tINSB_14equal_to_valueIiEEEEEEE10hipError_tPvRmT3_T4_T5_T6_T7_T9_mT8_P12ihipStream_tbDpT10_ENKUlT_T0_E_clISt17integral_constantIbLb0EES17_IbLb1EEEEDaS13_S14_EUlS13_E_NS1_11comp_targetILNS1_3genE0ELNS1_11target_archE4294967295ELNS1_3gpuE0ELNS1_3repE0EEENS1_30default_config_static_selectorELNS0_4arch9wavefront6targetE0EEEvT1_.has_dyn_sized_stack, 0
	.set _ZN7rocprim17ROCPRIM_400000_NS6detail17trampoline_kernelINS0_14default_configENS1_25partition_config_selectorILNS1_17partition_subalgoE6EiNS0_10empty_typeEbEEZZNS1_14partition_implILS5_6ELb0ES3_mN6thrust23THRUST_200600_302600_NS6detail15normal_iteratorINSA_10device_ptrIiEEEEPS6_SG_NS0_5tupleIJSF_S6_EEENSH_IJSG_SG_EEES6_PlJNSB_9not_fun_tINSB_14equal_to_valueIiEEEEEEE10hipError_tPvRmT3_T4_T5_T6_T7_T9_mT8_P12ihipStream_tbDpT10_ENKUlT_T0_E_clISt17integral_constantIbLb0EES17_IbLb1EEEEDaS13_S14_EUlS13_E_NS1_11comp_targetILNS1_3genE0ELNS1_11target_archE4294967295ELNS1_3gpuE0ELNS1_3repE0EEENS1_30default_config_static_selectorELNS0_4arch9wavefront6targetE0EEEvT1_.has_recursion, 0
	.set _ZN7rocprim17ROCPRIM_400000_NS6detail17trampoline_kernelINS0_14default_configENS1_25partition_config_selectorILNS1_17partition_subalgoE6EiNS0_10empty_typeEbEEZZNS1_14partition_implILS5_6ELb0ES3_mN6thrust23THRUST_200600_302600_NS6detail15normal_iteratorINSA_10device_ptrIiEEEEPS6_SG_NS0_5tupleIJSF_S6_EEENSH_IJSG_SG_EEES6_PlJNSB_9not_fun_tINSB_14equal_to_valueIiEEEEEEE10hipError_tPvRmT3_T4_T5_T6_T7_T9_mT8_P12ihipStream_tbDpT10_ENKUlT_T0_E_clISt17integral_constantIbLb0EES17_IbLb1EEEEDaS13_S14_EUlS13_E_NS1_11comp_targetILNS1_3genE0ELNS1_11target_archE4294967295ELNS1_3gpuE0ELNS1_3repE0EEENS1_30default_config_static_selectorELNS0_4arch9wavefront6targetE0EEEvT1_.has_indirect_call, 0
	.section	.AMDGPU.csdata,"",@progbits
; Kernel info:
; codeLenInByte = 0
; TotalNumSgprs: 0
; NumVgprs: 0
; ScratchSize: 0
; MemoryBound: 0
; FloatMode: 240
; IeeeMode: 1
; LDSByteSize: 0 bytes/workgroup (compile time only)
; SGPRBlocks: 0
; VGPRBlocks: 0
; NumSGPRsForWavesPerEU: 1
; NumVGPRsForWavesPerEU: 1
; Occupancy: 16
; WaveLimiterHint : 0
; COMPUTE_PGM_RSRC2:SCRATCH_EN: 0
; COMPUTE_PGM_RSRC2:USER_SGPR: 2
; COMPUTE_PGM_RSRC2:TRAP_HANDLER: 0
; COMPUTE_PGM_RSRC2:TGID_X_EN: 1
; COMPUTE_PGM_RSRC2:TGID_Y_EN: 0
; COMPUTE_PGM_RSRC2:TGID_Z_EN: 0
; COMPUTE_PGM_RSRC2:TIDIG_COMP_CNT: 0
	.section	.text._ZN7rocprim17ROCPRIM_400000_NS6detail17trampoline_kernelINS0_14default_configENS1_25partition_config_selectorILNS1_17partition_subalgoE6EiNS0_10empty_typeEbEEZZNS1_14partition_implILS5_6ELb0ES3_mN6thrust23THRUST_200600_302600_NS6detail15normal_iteratorINSA_10device_ptrIiEEEEPS6_SG_NS0_5tupleIJSF_S6_EEENSH_IJSG_SG_EEES6_PlJNSB_9not_fun_tINSB_14equal_to_valueIiEEEEEEE10hipError_tPvRmT3_T4_T5_T6_T7_T9_mT8_P12ihipStream_tbDpT10_ENKUlT_T0_E_clISt17integral_constantIbLb0EES17_IbLb1EEEEDaS13_S14_EUlS13_E_NS1_11comp_targetILNS1_3genE5ELNS1_11target_archE942ELNS1_3gpuE9ELNS1_3repE0EEENS1_30default_config_static_selectorELNS0_4arch9wavefront6targetE0EEEvT1_,"axG",@progbits,_ZN7rocprim17ROCPRIM_400000_NS6detail17trampoline_kernelINS0_14default_configENS1_25partition_config_selectorILNS1_17partition_subalgoE6EiNS0_10empty_typeEbEEZZNS1_14partition_implILS5_6ELb0ES3_mN6thrust23THRUST_200600_302600_NS6detail15normal_iteratorINSA_10device_ptrIiEEEEPS6_SG_NS0_5tupleIJSF_S6_EEENSH_IJSG_SG_EEES6_PlJNSB_9not_fun_tINSB_14equal_to_valueIiEEEEEEE10hipError_tPvRmT3_T4_T5_T6_T7_T9_mT8_P12ihipStream_tbDpT10_ENKUlT_T0_E_clISt17integral_constantIbLb0EES17_IbLb1EEEEDaS13_S14_EUlS13_E_NS1_11comp_targetILNS1_3genE5ELNS1_11target_archE942ELNS1_3gpuE9ELNS1_3repE0EEENS1_30default_config_static_selectorELNS0_4arch9wavefront6targetE0EEEvT1_,comdat
	.protected	_ZN7rocprim17ROCPRIM_400000_NS6detail17trampoline_kernelINS0_14default_configENS1_25partition_config_selectorILNS1_17partition_subalgoE6EiNS0_10empty_typeEbEEZZNS1_14partition_implILS5_6ELb0ES3_mN6thrust23THRUST_200600_302600_NS6detail15normal_iteratorINSA_10device_ptrIiEEEEPS6_SG_NS0_5tupleIJSF_S6_EEENSH_IJSG_SG_EEES6_PlJNSB_9not_fun_tINSB_14equal_to_valueIiEEEEEEE10hipError_tPvRmT3_T4_T5_T6_T7_T9_mT8_P12ihipStream_tbDpT10_ENKUlT_T0_E_clISt17integral_constantIbLb0EES17_IbLb1EEEEDaS13_S14_EUlS13_E_NS1_11comp_targetILNS1_3genE5ELNS1_11target_archE942ELNS1_3gpuE9ELNS1_3repE0EEENS1_30default_config_static_selectorELNS0_4arch9wavefront6targetE0EEEvT1_ ; -- Begin function _ZN7rocprim17ROCPRIM_400000_NS6detail17trampoline_kernelINS0_14default_configENS1_25partition_config_selectorILNS1_17partition_subalgoE6EiNS0_10empty_typeEbEEZZNS1_14partition_implILS5_6ELb0ES3_mN6thrust23THRUST_200600_302600_NS6detail15normal_iteratorINSA_10device_ptrIiEEEEPS6_SG_NS0_5tupleIJSF_S6_EEENSH_IJSG_SG_EEES6_PlJNSB_9not_fun_tINSB_14equal_to_valueIiEEEEEEE10hipError_tPvRmT3_T4_T5_T6_T7_T9_mT8_P12ihipStream_tbDpT10_ENKUlT_T0_E_clISt17integral_constantIbLb0EES17_IbLb1EEEEDaS13_S14_EUlS13_E_NS1_11comp_targetILNS1_3genE5ELNS1_11target_archE942ELNS1_3gpuE9ELNS1_3repE0EEENS1_30default_config_static_selectorELNS0_4arch9wavefront6targetE0EEEvT1_
	.globl	_ZN7rocprim17ROCPRIM_400000_NS6detail17trampoline_kernelINS0_14default_configENS1_25partition_config_selectorILNS1_17partition_subalgoE6EiNS0_10empty_typeEbEEZZNS1_14partition_implILS5_6ELb0ES3_mN6thrust23THRUST_200600_302600_NS6detail15normal_iteratorINSA_10device_ptrIiEEEEPS6_SG_NS0_5tupleIJSF_S6_EEENSH_IJSG_SG_EEES6_PlJNSB_9not_fun_tINSB_14equal_to_valueIiEEEEEEE10hipError_tPvRmT3_T4_T5_T6_T7_T9_mT8_P12ihipStream_tbDpT10_ENKUlT_T0_E_clISt17integral_constantIbLb0EES17_IbLb1EEEEDaS13_S14_EUlS13_E_NS1_11comp_targetILNS1_3genE5ELNS1_11target_archE942ELNS1_3gpuE9ELNS1_3repE0EEENS1_30default_config_static_selectorELNS0_4arch9wavefront6targetE0EEEvT1_
	.p2align	8
	.type	_ZN7rocprim17ROCPRIM_400000_NS6detail17trampoline_kernelINS0_14default_configENS1_25partition_config_selectorILNS1_17partition_subalgoE6EiNS0_10empty_typeEbEEZZNS1_14partition_implILS5_6ELb0ES3_mN6thrust23THRUST_200600_302600_NS6detail15normal_iteratorINSA_10device_ptrIiEEEEPS6_SG_NS0_5tupleIJSF_S6_EEENSH_IJSG_SG_EEES6_PlJNSB_9not_fun_tINSB_14equal_to_valueIiEEEEEEE10hipError_tPvRmT3_T4_T5_T6_T7_T9_mT8_P12ihipStream_tbDpT10_ENKUlT_T0_E_clISt17integral_constantIbLb0EES17_IbLb1EEEEDaS13_S14_EUlS13_E_NS1_11comp_targetILNS1_3genE5ELNS1_11target_archE942ELNS1_3gpuE9ELNS1_3repE0EEENS1_30default_config_static_selectorELNS0_4arch9wavefront6targetE0EEEvT1_,@function
_ZN7rocprim17ROCPRIM_400000_NS6detail17trampoline_kernelINS0_14default_configENS1_25partition_config_selectorILNS1_17partition_subalgoE6EiNS0_10empty_typeEbEEZZNS1_14partition_implILS5_6ELb0ES3_mN6thrust23THRUST_200600_302600_NS6detail15normal_iteratorINSA_10device_ptrIiEEEEPS6_SG_NS0_5tupleIJSF_S6_EEENSH_IJSG_SG_EEES6_PlJNSB_9not_fun_tINSB_14equal_to_valueIiEEEEEEE10hipError_tPvRmT3_T4_T5_T6_T7_T9_mT8_P12ihipStream_tbDpT10_ENKUlT_T0_E_clISt17integral_constantIbLb0EES17_IbLb1EEEEDaS13_S14_EUlS13_E_NS1_11comp_targetILNS1_3genE5ELNS1_11target_archE942ELNS1_3gpuE9ELNS1_3repE0EEENS1_30default_config_static_selectorELNS0_4arch9wavefront6targetE0EEEvT1_: ; @_ZN7rocprim17ROCPRIM_400000_NS6detail17trampoline_kernelINS0_14default_configENS1_25partition_config_selectorILNS1_17partition_subalgoE6EiNS0_10empty_typeEbEEZZNS1_14partition_implILS5_6ELb0ES3_mN6thrust23THRUST_200600_302600_NS6detail15normal_iteratorINSA_10device_ptrIiEEEEPS6_SG_NS0_5tupleIJSF_S6_EEENSH_IJSG_SG_EEES6_PlJNSB_9not_fun_tINSB_14equal_to_valueIiEEEEEEE10hipError_tPvRmT3_T4_T5_T6_T7_T9_mT8_P12ihipStream_tbDpT10_ENKUlT_T0_E_clISt17integral_constantIbLb0EES17_IbLb1EEEEDaS13_S14_EUlS13_E_NS1_11comp_targetILNS1_3genE5ELNS1_11target_archE942ELNS1_3gpuE9ELNS1_3repE0EEENS1_30default_config_static_selectorELNS0_4arch9wavefront6targetE0EEEvT1_
; %bb.0:
	.section	.rodata,"a",@progbits
	.p2align	6, 0x0
	.amdhsa_kernel _ZN7rocprim17ROCPRIM_400000_NS6detail17trampoline_kernelINS0_14default_configENS1_25partition_config_selectorILNS1_17partition_subalgoE6EiNS0_10empty_typeEbEEZZNS1_14partition_implILS5_6ELb0ES3_mN6thrust23THRUST_200600_302600_NS6detail15normal_iteratorINSA_10device_ptrIiEEEEPS6_SG_NS0_5tupleIJSF_S6_EEENSH_IJSG_SG_EEES6_PlJNSB_9not_fun_tINSB_14equal_to_valueIiEEEEEEE10hipError_tPvRmT3_T4_T5_T6_T7_T9_mT8_P12ihipStream_tbDpT10_ENKUlT_T0_E_clISt17integral_constantIbLb0EES17_IbLb1EEEEDaS13_S14_EUlS13_E_NS1_11comp_targetILNS1_3genE5ELNS1_11target_archE942ELNS1_3gpuE9ELNS1_3repE0EEENS1_30default_config_static_selectorELNS0_4arch9wavefront6targetE0EEEvT1_
		.amdhsa_group_segment_fixed_size 0
		.amdhsa_private_segment_fixed_size 0
		.amdhsa_kernarg_size 128
		.amdhsa_user_sgpr_count 2
		.amdhsa_user_sgpr_dispatch_ptr 0
		.amdhsa_user_sgpr_queue_ptr 0
		.amdhsa_user_sgpr_kernarg_segment_ptr 1
		.amdhsa_user_sgpr_dispatch_id 0
		.amdhsa_user_sgpr_private_segment_size 0
		.amdhsa_wavefront_size32 1
		.amdhsa_uses_dynamic_stack 0
		.amdhsa_enable_private_segment 0
		.amdhsa_system_sgpr_workgroup_id_x 1
		.amdhsa_system_sgpr_workgroup_id_y 0
		.amdhsa_system_sgpr_workgroup_id_z 0
		.amdhsa_system_sgpr_workgroup_info 0
		.amdhsa_system_vgpr_workitem_id 0
		.amdhsa_next_free_vgpr 1
		.amdhsa_next_free_sgpr 1
		.amdhsa_reserve_vcc 0
		.amdhsa_float_round_mode_32 0
		.amdhsa_float_round_mode_16_64 0
		.amdhsa_float_denorm_mode_32 3
		.amdhsa_float_denorm_mode_16_64 3
		.amdhsa_fp16_overflow 0
		.amdhsa_workgroup_processor_mode 1
		.amdhsa_memory_ordered 1
		.amdhsa_forward_progress 1
		.amdhsa_inst_pref_size 0
		.amdhsa_round_robin_scheduling 0
		.amdhsa_exception_fp_ieee_invalid_op 0
		.amdhsa_exception_fp_denorm_src 0
		.amdhsa_exception_fp_ieee_div_zero 0
		.amdhsa_exception_fp_ieee_overflow 0
		.amdhsa_exception_fp_ieee_underflow 0
		.amdhsa_exception_fp_ieee_inexact 0
		.amdhsa_exception_int_div_zero 0
	.end_amdhsa_kernel
	.section	.text._ZN7rocprim17ROCPRIM_400000_NS6detail17trampoline_kernelINS0_14default_configENS1_25partition_config_selectorILNS1_17partition_subalgoE6EiNS0_10empty_typeEbEEZZNS1_14partition_implILS5_6ELb0ES3_mN6thrust23THRUST_200600_302600_NS6detail15normal_iteratorINSA_10device_ptrIiEEEEPS6_SG_NS0_5tupleIJSF_S6_EEENSH_IJSG_SG_EEES6_PlJNSB_9not_fun_tINSB_14equal_to_valueIiEEEEEEE10hipError_tPvRmT3_T4_T5_T6_T7_T9_mT8_P12ihipStream_tbDpT10_ENKUlT_T0_E_clISt17integral_constantIbLb0EES17_IbLb1EEEEDaS13_S14_EUlS13_E_NS1_11comp_targetILNS1_3genE5ELNS1_11target_archE942ELNS1_3gpuE9ELNS1_3repE0EEENS1_30default_config_static_selectorELNS0_4arch9wavefront6targetE0EEEvT1_,"axG",@progbits,_ZN7rocprim17ROCPRIM_400000_NS6detail17trampoline_kernelINS0_14default_configENS1_25partition_config_selectorILNS1_17partition_subalgoE6EiNS0_10empty_typeEbEEZZNS1_14partition_implILS5_6ELb0ES3_mN6thrust23THRUST_200600_302600_NS6detail15normal_iteratorINSA_10device_ptrIiEEEEPS6_SG_NS0_5tupleIJSF_S6_EEENSH_IJSG_SG_EEES6_PlJNSB_9not_fun_tINSB_14equal_to_valueIiEEEEEEE10hipError_tPvRmT3_T4_T5_T6_T7_T9_mT8_P12ihipStream_tbDpT10_ENKUlT_T0_E_clISt17integral_constantIbLb0EES17_IbLb1EEEEDaS13_S14_EUlS13_E_NS1_11comp_targetILNS1_3genE5ELNS1_11target_archE942ELNS1_3gpuE9ELNS1_3repE0EEENS1_30default_config_static_selectorELNS0_4arch9wavefront6targetE0EEEvT1_,comdat
.Lfunc_end494:
	.size	_ZN7rocprim17ROCPRIM_400000_NS6detail17trampoline_kernelINS0_14default_configENS1_25partition_config_selectorILNS1_17partition_subalgoE6EiNS0_10empty_typeEbEEZZNS1_14partition_implILS5_6ELb0ES3_mN6thrust23THRUST_200600_302600_NS6detail15normal_iteratorINSA_10device_ptrIiEEEEPS6_SG_NS0_5tupleIJSF_S6_EEENSH_IJSG_SG_EEES6_PlJNSB_9not_fun_tINSB_14equal_to_valueIiEEEEEEE10hipError_tPvRmT3_T4_T5_T6_T7_T9_mT8_P12ihipStream_tbDpT10_ENKUlT_T0_E_clISt17integral_constantIbLb0EES17_IbLb1EEEEDaS13_S14_EUlS13_E_NS1_11comp_targetILNS1_3genE5ELNS1_11target_archE942ELNS1_3gpuE9ELNS1_3repE0EEENS1_30default_config_static_selectorELNS0_4arch9wavefront6targetE0EEEvT1_, .Lfunc_end494-_ZN7rocprim17ROCPRIM_400000_NS6detail17trampoline_kernelINS0_14default_configENS1_25partition_config_selectorILNS1_17partition_subalgoE6EiNS0_10empty_typeEbEEZZNS1_14partition_implILS5_6ELb0ES3_mN6thrust23THRUST_200600_302600_NS6detail15normal_iteratorINSA_10device_ptrIiEEEEPS6_SG_NS0_5tupleIJSF_S6_EEENSH_IJSG_SG_EEES6_PlJNSB_9not_fun_tINSB_14equal_to_valueIiEEEEEEE10hipError_tPvRmT3_T4_T5_T6_T7_T9_mT8_P12ihipStream_tbDpT10_ENKUlT_T0_E_clISt17integral_constantIbLb0EES17_IbLb1EEEEDaS13_S14_EUlS13_E_NS1_11comp_targetILNS1_3genE5ELNS1_11target_archE942ELNS1_3gpuE9ELNS1_3repE0EEENS1_30default_config_static_selectorELNS0_4arch9wavefront6targetE0EEEvT1_
                                        ; -- End function
	.set _ZN7rocprim17ROCPRIM_400000_NS6detail17trampoline_kernelINS0_14default_configENS1_25partition_config_selectorILNS1_17partition_subalgoE6EiNS0_10empty_typeEbEEZZNS1_14partition_implILS5_6ELb0ES3_mN6thrust23THRUST_200600_302600_NS6detail15normal_iteratorINSA_10device_ptrIiEEEEPS6_SG_NS0_5tupleIJSF_S6_EEENSH_IJSG_SG_EEES6_PlJNSB_9not_fun_tINSB_14equal_to_valueIiEEEEEEE10hipError_tPvRmT3_T4_T5_T6_T7_T9_mT8_P12ihipStream_tbDpT10_ENKUlT_T0_E_clISt17integral_constantIbLb0EES17_IbLb1EEEEDaS13_S14_EUlS13_E_NS1_11comp_targetILNS1_3genE5ELNS1_11target_archE942ELNS1_3gpuE9ELNS1_3repE0EEENS1_30default_config_static_selectorELNS0_4arch9wavefront6targetE0EEEvT1_.num_vgpr, 0
	.set _ZN7rocprim17ROCPRIM_400000_NS6detail17trampoline_kernelINS0_14default_configENS1_25partition_config_selectorILNS1_17partition_subalgoE6EiNS0_10empty_typeEbEEZZNS1_14partition_implILS5_6ELb0ES3_mN6thrust23THRUST_200600_302600_NS6detail15normal_iteratorINSA_10device_ptrIiEEEEPS6_SG_NS0_5tupleIJSF_S6_EEENSH_IJSG_SG_EEES6_PlJNSB_9not_fun_tINSB_14equal_to_valueIiEEEEEEE10hipError_tPvRmT3_T4_T5_T6_T7_T9_mT8_P12ihipStream_tbDpT10_ENKUlT_T0_E_clISt17integral_constantIbLb0EES17_IbLb1EEEEDaS13_S14_EUlS13_E_NS1_11comp_targetILNS1_3genE5ELNS1_11target_archE942ELNS1_3gpuE9ELNS1_3repE0EEENS1_30default_config_static_selectorELNS0_4arch9wavefront6targetE0EEEvT1_.num_agpr, 0
	.set _ZN7rocprim17ROCPRIM_400000_NS6detail17trampoline_kernelINS0_14default_configENS1_25partition_config_selectorILNS1_17partition_subalgoE6EiNS0_10empty_typeEbEEZZNS1_14partition_implILS5_6ELb0ES3_mN6thrust23THRUST_200600_302600_NS6detail15normal_iteratorINSA_10device_ptrIiEEEEPS6_SG_NS0_5tupleIJSF_S6_EEENSH_IJSG_SG_EEES6_PlJNSB_9not_fun_tINSB_14equal_to_valueIiEEEEEEE10hipError_tPvRmT3_T4_T5_T6_T7_T9_mT8_P12ihipStream_tbDpT10_ENKUlT_T0_E_clISt17integral_constantIbLb0EES17_IbLb1EEEEDaS13_S14_EUlS13_E_NS1_11comp_targetILNS1_3genE5ELNS1_11target_archE942ELNS1_3gpuE9ELNS1_3repE0EEENS1_30default_config_static_selectorELNS0_4arch9wavefront6targetE0EEEvT1_.numbered_sgpr, 0
	.set _ZN7rocprim17ROCPRIM_400000_NS6detail17trampoline_kernelINS0_14default_configENS1_25partition_config_selectorILNS1_17partition_subalgoE6EiNS0_10empty_typeEbEEZZNS1_14partition_implILS5_6ELb0ES3_mN6thrust23THRUST_200600_302600_NS6detail15normal_iteratorINSA_10device_ptrIiEEEEPS6_SG_NS0_5tupleIJSF_S6_EEENSH_IJSG_SG_EEES6_PlJNSB_9not_fun_tINSB_14equal_to_valueIiEEEEEEE10hipError_tPvRmT3_T4_T5_T6_T7_T9_mT8_P12ihipStream_tbDpT10_ENKUlT_T0_E_clISt17integral_constantIbLb0EES17_IbLb1EEEEDaS13_S14_EUlS13_E_NS1_11comp_targetILNS1_3genE5ELNS1_11target_archE942ELNS1_3gpuE9ELNS1_3repE0EEENS1_30default_config_static_selectorELNS0_4arch9wavefront6targetE0EEEvT1_.num_named_barrier, 0
	.set _ZN7rocprim17ROCPRIM_400000_NS6detail17trampoline_kernelINS0_14default_configENS1_25partition_config_selectorILNS1_17partition_subalgoE6EiNS0_10empty_typeEbEEZZNS1_14partition_implILS5_6ELb0ES3_mN6thrust23THRUST_200600_302600_NS6detail15normal_iteratorINSA_10device_ptrIiEEEEPS6_SG_NS0_5tupleIJSF_S6_EEENSH_IJSG_SG_EEES6_PlJNSB_9not_fun_tINSB_14equal_to_valueIiEEEEEEE10hipError_tPvRmT3_T4_T5_T6_T7_T9_mT8_P12ihipStream_tbDpT10_ENKUlT_T0_E_clISt17integral_constantIbLb0EES17_IbLb1EEEEDaS13_S14_EUlS13_E_NS1_11comp_targetILNS1_3genE5ELNS1_11target_archE942ELNS1_3gpuE9ELNS1_3repE0EEENS1_30default_config_static_selectorELNS0_4arch9wavefront6targetE0EEEvT1_.private_seg_size, 0
	.set _ZN7rocprim17ROCPRIM_400000_NS6detail17trampoline_kernelINS0_14default_configENS1_25partition_config_selectorILNS1_17partition_subalgoE6EiNS0_10empty_typeEbEEZZNS1_14partition_implILS5_6ELb0ES3_mN6thrust23THRUST_200600_302600_NS6detail15normal_iteratorINSA_10device_ptrIiEEEEPS6_SG_NS0_5tupleIJSF_S6_EEENSH_IJSG_SG_EEES6_PlJNSB_9not_fun_tINSB_14equal_to_valueIiEEEEEEE10hipError_tPvRmT3_T4_T5_T6_T7_T9_mT8_P12ihipStream_tbDpT10_ENKUlT_T0_E_clISt17integral_constantIbLb0EES17_IbLb1EEEEDaS13_S14_EUlS13_E_NS1_11comp_targetILNS1_3genE5ELNS1_11target_archE942ELNS1_3gpuE9ELNS1_3repE0EEENS1_30default_config_static_selectorELNS0_4arch9wavefront6targetE0EEEvT1_.uses_vcc, 0
	.set _ZN7rocprim17ROCPRIM_400000_NS6detail17trampoline_kernelINS0_14default_configENS1_25partition_config_selectorILNS1_17partition_subalgoE6EiNS0_10empty_typeEbEEZZNS1_14partition_implILS5_6ELb0ES3_mN6thrust23THRUST_200600_302600_NS6detail15normal_iteratorINSA_10device_ptrIiEEEEPS6_SG_NS0_5tupleIJSF_S6_EEENSH_IJSG_SG_EEES6_PlJNSB_9not_fun_tINSB_14equal_to_valueIiEEEEEEE10hipError_tPvRmT3_T4_T5_T6_T7_T9_mT8_P12ihipStream_tbDpT10_ENKUlT_T0_E_clISt17integral_constantIbLb0EES17_IbLb1EEEEDaS13_S14_EUlS13_E_NS1_11comp_targetILNS1_3genE5ELNS1_11target_archE942ELNS1_3gpuE9ELNS1_3repE0EEENS1_30default_config_static_selectorELNS0_4arch9wavefront6targetE0EEEvT1_.uses_flat_scratch, 0
	.set _ZN7rocprim17ROCPRIM_400000_NS6detail17trampoline_kernelINS0_14default_configENS1_25partition_config_selectorILNS1_17partition_subalgoE6EiNS0_10empty_typeEbEEZZNS1_14partition_implILS5_6ELb0ES3_mN6thrust23THRUST_200600_302600_NS6detail15normal_iteratorINSA_10device_ptrIiEEEEPS6_SG_NS0_5tupleIJSF_S6_EEENSH_IJSG_SG_EEES6_PlJNSB_9not_fun_tINSB_14equal_to_valueIiEEEEEEE10hipError_tPvRmT3_T4_T5_T6_T7_T9_mT8_P12ihipStream_tbDpT10_ENKUlT_T0_E_clISt17integral_constantIbLb0EES17_IbLb1EEEEDaS13_S14_EUlS13_E_NS1_11comp_targetILNS1_3genE5ELNS1_11target_archE942ELNS1_3gpuE9ELNS1_3repE0EEENS1_30default_config_static_selectorELNS0_4arch9wavefront6targetE0EEEvT1_.has_dyn_sized_stack, 0
	.set _ZN7rocprim17ROCPRIM_400000_NS6detail17trampoline_kernelINS0_14default_configENS1_25partition_config_selectorILNS1_17partition_subalgoE6EiNS0_10empty_typeEbEEZZNS1_14partition_implILS5_6ELb0ES3_mN6thrust23THRUST_200600_302600_NS6detail15normal_iteratorINSA_10device_ptrIiEEEEPS6_SG_NS0_5tupleIJSF_S6_EEENSH_IJSG_SG_EEES6_PlJNSB_9not_fun_tINSB_14equal_to_valueIiEEEEEEE10hipError_tPvRmT3_T4_T5_T6_T7_T9_mT8_P12ihipStream_tbDpT10_ENKUlT_T0_E_clISt17integral_constantIbLb0EES17_IbLb1EEEEDaS13_S14_EUlS13_E_NS1_11comp_targetILNS1_3genE5ELNS1_11target_archE942ELNS1_3gpuE9ELNS1_3repE0EEENS1_30default_config_static_selectorELNS0_4arch9wavefront6targetE0EEEvT1_.has_recursion, 0
	.set _ZN7rocprim17ROCPRIM_400000_NS6detail17trampoline_kernelINS0_14default_configENS1_25partition_config_selectorILNS1_17partition_subalgoE6EiNS0_10empty_typeEbEEZZNS1_14partition_implILS5_6ELb0ES3_mN6thrust23THRUST_200600_302600_NS6detail15normal_iteratorINSA_10device_ptrIiEEEEPS6_SG_NS0_5tupleIJSF_S6_EEENSH_IJSG_SG_EEES6_PlJNSB_9not_fun_tINSB_14equal_to_valueIiEEEEEEE10hipError_tPvRmT3_T4_T5_T6_T7_T9_mT8_P12ihipStream_tbDpT10_ENKUlT_T0_E_clISt17integral_constantIbLb0EES17_IbLb1EEEEDaS13_S14_EUlS13_E_NS1_11comp_targetILNS1_3genE5ELNS1_11target_archE942ELNS1_3gpuE9ELNS1_3repE0EEENS1_30default_config_static_selectorELNS0_4arch9wavefront6targetE0EEEvT1_.has_indirect_call, 0
	.section	.AMDGPU.csdata,"",@progbits
; Kernel info:
; codeLenInByte = 0
; TotalNumSgprs: 0
; NumVgprs: 0
; ScratchSize: 0
; MemoryBound: 0
; FloatMode: 240
; IeeeMode: 1
; LDSByteSize: 0 bytes/workgroup (compile time only)
; SGPRBlocks: 0
; VGPRBlocks: 0
; NumSGPRsForWavesPerEU: 1
; NumVGPRsForWavesPerEU: 1
; Occupancy: 16
; WaveLimiterHint : 0
; COMPUTE_PGM_RSRC2:SCRATCH_EN: 0
; COMPUTE_PGM_RSRC2:USER_SGPR: 2
; COMPUTE_PGM_RSRC2:TRAP_HANDLER: 0
; COMPUTE_PGM_RSRC2:TGID_X_EN: 1
; COMPUTE_PGM_RSRC2:TGID_Y_EN: 0
; COMPUTE_PGM_RSRC2:TGID_Z_EN: 0
; COMPUTE_PGM_RSRC2:TIDIG_COMP_CNT: 0
	.section	.text._ZN7rocprim17ROCPRIM_400000_NS6detail17trampoline_kernelINS0_14default_configENS1_25partition_config_selectorILNS1_17partition_subalgoE6EiNS0_10empty_typeEbEEZZNS1_14partition_implILS5_6ELb0ES3_mN6thrust23THRUST_200600_302600_NS6detail15normal_iteratorINSA_10device_ptrIiEEEEPS6_SG_NS0_5tupleIJSF_S6_EEENSH_IJSG_SG_EEES6_PlJNSB_9not_fun_tINSB_14equal_to_valueIiEEEEEEE10hipError_tPvRmT3_T4_T5_T6_T7_T9_mT8_P12ihipStream_tbDpT10_ENKUlT_T0_E_clISt17integral_constantIbLb0EES17_IbLb1EEEEDaS13_S14_EUlS13_E_NS1_11comp_targetILNS1_3genE4ELNS1_11target_archE910ELNS1_3gpuE8ELNS1_3repE0EEENS1_30default_config_static_selectorELNS0_4arch9wavefront6targetE0EEEvT1_,"axG",@progbits,_ZN7rocprim17ROCPRIM_400000_NS6detail17trampoline_kernelINS0_14default_configENS1_25partition_config_selectorILNS1_17partition_subalgoE6EiNS0_10empty_typeEbEEZZNS1_14partition_implILS5_6ELb0ES3_mN6thrust23THRUST_200600_302600_NS6detail15normal_iteratorINSA_10device_ptrIiEEEEPS6_SG_NS0_5tupleIJSF_S6_EEENSH_IJSG_SG_EEES6_PlJNSB_9not_fun_tINSB_14equal_to_valueIiEEEEEEE10hipError_tPvRmT3_T4_T5_T6_T7_T9_mT8_P12ihipStream_tbDpT10_ENKUlT_T0_E_clISt17integral_constantIbLb0EES17_IbLb1EEEEDaS13_S14_EUlS13_E_NS1_11comp_targetILNS1_3genE4ELNS1_11target_archE910ELNS1_3gpuE8ELNS1_3repE0EEENS1_30default_config_static_selectorELNS0_4arch9wavefront6targetE0EEEvT1_,comdat
	.protected	_ZN7rocprim17ROCPRIM_400000_NS6detail17trampoline_kernelINS0_14default_configENS1_25partition_config_selectorILNS1_17partition_subalgoE6EiNS0_10empty_typeEbEEZZNS1_14partition_implILS5_6ELb0ES3_mN6thrust23THRUST_200600_302600_NS6detail15normal_iteratorINSA_10device_ptrIiEEEEPS6_SG_NS0_5tupleIJSF_S6_EEENSH_IJSG_SG_EEES6_PlJNSB_9not_fun_tINSB_14equal_to_valueIiEEEEEEE10hipError_tPvRmT3_T4_T5_T6_T7_T9_mT8_P12ihipStream_tbDpT10_ENKUlT_T0_E_clISt17integral_constantIbLb0EES17_IbLb1EEEEDaS13_S14_EUlS13_E_NS1_11comp_targetILNS1_3genE4ELNS1_11target_archE910ELNS1_3gpuE8ELNS1_3repE0EEENS1_30default_config_static_selectorELNS0_4arch9wavefront6targetE0EEEvT1_ ; -- Begin function _ZN7rocprim17ROCPRIM_400000_NS6detail17trampoline_kernelINS0_14default_configENS1_25partition_config_selectorILNS1_17partition_subalgoE6EiNS0_10empty_typeEbEEZZNS1_14partition_implILS5_6ELb0ES3_mN6thrust23THRUST_200600_302600_NS6detail15normal_iteratorINSA_10device_ptrIiEEEEPS6_SG_NS0_5tupleIJSF_S6_EEENSH_IJSG_SG_EEES6_PlJNSB_9not_fun_tINSB_14equal_to_valueIiEEEEEEE10hipError_tPvRmT3_T4_T5_T6_T7_T9_mT8_P12ihipStream_tbDpT10_ENKUlT_T0_E_clISt17integral_constantIbLb0EES17_IbLb1EEEEDaS13_S14_EUlS13_E_NS1_11comp_targetILNS1_3genE4ELNS1_11target_archE910ELNS1_3gpuE8ELNS1_3repE0EEENS1_30default_config_static_selectorELNS0_4arch9wavefront6targetE0EEEvT1_
	.globl	_ZN7rocprim17ROCPRIM_400000_NS6detail17trampoline_kernelINS0_14default_configENS1_25partition_config_selectorILNS1_17partition_subalgoE6EiNS0_10empty_typeEbEEZZNS1_14partition_implILS5_6ELb0ES3_mN6thrust23THRUST_200600_302600_NS6detail15normal_iteratorINSA_10device_ptrIiEEEEPS6_SG_NS0_5tupleIJSF_S6_EEENSH_IJSG_SG_EEES6_PlJNSB_9not_fun_tINSB_14equal_to_valueIiEEEEEEE10hipError_tPvRmT3_T4_T5_T6_T7_T9_mT8_P12ihipStream_tbDpT10_ENKUlT_T0_E_clISt17integral_constantIbLb0EES17_IbLb1EEEEDaS13_S14_EUlS13_E_NS1_11comp_targetILNS1_3genE4ELNS1_11target_archE910ELNS1_3gpuE8ELNS1_3repE0EEENS1_30default_config_static_selectorELNS0_4arch9wavefront6targetE0EEEvT1_
	.p2align	8
	.type	_ZN7rocprim17ROCPRIM_400000_NS6detail17trampoline_kernelINS0_14default_configENS1_25partition_config_selectorILNS1_17partition_subalgoE6EiNS0_10empty_typeEbEEZZNS1_14partition_implILS5_6ELb0ES3_mN6thrust23THRUST_200600_302600_NS6detail15normal_iteratorINSA_10device_ptrIiEEEEPS6_SG_NS0_5tupleIJSF_S6_EEENSH_IJSG_SG_EEES6_PlJNSB_9not_fun_tINSB_14equal_to_valueIiEEEEEEE10hipError_tPvRmT3_T4_T5_T6_T7_T9_mT8_P12ihipStream_tbDpT10_ENKUlT_T0_E_clISt17integral_constantIbLb0EES17_IbLb1EEEEDaS13_S14_EUlS13_E_NS1_11comp_targetILNS1_3genE4ELNS1_11target_archE910ELNS1_3gpuE8ELNS1_3repE0EEENS1_30default_config_static_selectorELNS0_4arch9wavefront6targetE0EEEvT1_,@function
_ZN7rocprim17ROCPRIM_400000_NS6detail17trampoline_kernelINS0_14default_configENS1_25partition_config_selectorILNS1_17partition_subalgoE6EiNS0_10empty_typeEbEEZZNS1_14partition_implILS5_6ELb0ES3_mN6thrust23THRUST_200600_302600_NS6detail15normal_iteratorINSA_10device_ptrIiEEEEPS6_SG_NS0_5tupleIJSF_S6_EEENSH_IJSG_SG_EEES6_PlJNSB_9not_fun_tINSB_14equal_to_valueIiEEEEEEE10hipError_tPvRmT3_T4_T5_T6_T7_T9_mT8_P12ihipStream_tbDpT10_ENKUlT_T0_E_clISt17integral_constantIbLb0EES17_IbLb1EEEEDaS13_S14_EUlS13_E_NS1_11comp_targetILNS1_3genE4ELNS1_11target_archE910ELNS1_3gpuE8ELNS1_3repE0EEENS1_30default_config_static_selectorELNS0_4arch9wavefront6targetE0EEEvT1_: ; @_ZN7rocprim17ROCPRIM_400000_NS6detail17trampoline_kernelINS0_14default_configENS1_25partition_config_selectorILNS1_17partition_subalgoE6EiNS0_10empty_typeEbEEZZNS1_14partition_implILS5_6ELb0ES3_mN6thrust23THRUST_200600_302600_NS6detail15normal_iteratorINSA_10device_ptrIiEEEEPS6_SG_NS0_5tupleIJSF_S6_EEENSH_IJSG_SG_EEES6_PlJNSB_9not_fun_tINSB_14equal_to_valueIiEEEEEEE10hipError_tPvRmT3_T4_T5_T6_T7_T9_mT8_P12ihipStream_tbDpT10_ENKUlT_T0_E_clISt17integral_constantIbLb0EES17_IbLb1EEEEDaS13_S14_EUlS13_E_NS1_11comp_targetILNS1_3genE4ELNS1_11target_archE910ELNS1_3gpuE8ELNS1_3repE0EEENS1_30default_config_static_selectorELNS0_4arch9wavefront6targetE0EEEvT1_
; %bb.0:
	.section	.rodata,"a",@progbits
	.p2align	6, 0x0
	.amdhsa_kernel _ZN7rocprim17ROCPRIM_400000_NS6detail17trampoline_kernelINS0_14default_configENS1_25partition_config_selectorILNS1_17partition_subalgoE6EiNS0_10empty_typeEbEEZZNS1_14partition_implILS5_6ELb0ES3_mN6thrust23THRUST_200600_302600_NS6detail15normal_iteratorINSA_10device_ptrIiEEEEPS6_SG_NS0_5tupleIJSF_S6_EEENSH_IJSG_SG_EEES6_PlJNSB_9not_fun_tINSB_14equal_to_valueIiEEEEEEE10hipError_tPvRmT3_T4_T5_T6_T7_T9_mT8_P12ihipStream_tbDpT10_ENKUlT_T0_E_clISt17integral_constantIbLb0EES17_IbLb1EEEEDaS13_S14_EUlS13_E_NS1_11comp_targetILNS1_3genE4ELNS1_11target_archE910ELNS1_3gpuE8ELNS1_3repE0EEENS1_30default_config_static_selectorELNS0_4arch9wavefront6targetE0EEEvT1_
		.amdhsa_group_segment_fixed_size 0
		.amdhsa_private_segment_fixed_size 0
		.amdhsa_kernarg_size 128
		.amdhsa_user_sgpr_count 2
		.amdhsa_user_sgpr_dispatch_ptr 0
		.amdhsa_user_sgpr_queue_ptr 0
		.amdhsa_user_sgpr_kernarg_segment_ptr 1
		.amdhsa_user_sgpr_dispatch_id 0
		.amdhsa_user_sgpr_private_segment_size 0
		.amdhsa_wavefront_size32 1
		.amdhsa_uses_dynamic_stack 0
		.amdhsa_enable_private_segment 0
		.amdhsa_system_sgpr_workgroup_id_x 1
		.amdhsa_system_sgpr_workgroup_id_y 0
		.amdhsa_system_sgpr_workgroup_id_z 0
		.amdhsa_system_sgpr_workgroup_info 0
		.amdhsa_system_vgpr_workitem_id 0
		.amdhsa_next_free_vgpr 1
		.amdhsa_next_free_sgpr 1
		.amdhsa_reserve_vcc 0
		.amdhsa_float_round_mode_32 0
		.amdhsa_float_round_mode_16_64 0
		.amdhsa_float_denorm_mode_32 3
		.amdhsa_float_denorm_mode_16_64 3
		.amdhsa_fp16_overflow 0
		.amdhsa_workgroup_processor_mode 1
		.amdhsa_memory_ordered 1
		.amdhsa_forward_progress 1
		.amdhsa_inst_pref_size 0
		.amdhsa_round_robin_scheduling 0
		.amdhsa_exception_fp_ieee_invalid_op 0
		.amdhsa_exception_fp_denorm_src 0
		.amdhsa_exception_fp_ieee_div_zero 0
		.amdhsa_exception_fp_ieee_overflow 0
		.amdhsa_exception_fp_ieee_underflow 0
		.amdhsa_exception_fp_ieee_inexact 0
		.amdhsa_exception_int_div_zero 0
	.end_amdhsa_kernel
	.section	.text._ZN7rocprim17ROCPRIM_400000_NS6detail17trampoline_kernelINS0_14default_configENS1_25partition_config_selectorILNS1_17partition_subalgoE6EiNS0_10empty_typeEbEEZZNS1_14partition_implILS5_6ELb0ES3_mN6thrust23THRUST_200600_302600_NS6detail15normal_iteratorINSA_10device_ptrIiEEEEPS6_SG_NS0_5tupleIJSF_S6_EEENSH_IJSG_SG_EEES6_PlJNSB_9not_fun_tINSB_14equal_to_valueIiEEEEEEE10hipError_tPvRmT3_T4_T5_T6_T7_T9_mT8_P12ihipStream_tbDpT10_ENKUlT_T0_E_clISt17integral_constantIbLb0EES17_IbLb1EEEEDaS13_S14_EUlS13_E_NS1_11comp_targetILNS1_3genE4ELNS1_11target_archE910ELNS1_3gpuE8ELNS1_3repE0EEENS1_30default_config_static_selectorELNS0_4arch9wavefront6targetE0EEEvT1_,"axG",@progbits,_ZN7rocprim17ROCPRIM_400000_NS6detail17trampoline_kernelINS0_14default_configENS1_25partition_config_selectorILNS1_17partition_subalgoE6EiNS0_10empty_typeEbEEZZNS1_14partition_implILS5_6ELb0ES3_mN6thrust23THRUST_200600_302600_NS6detail15normal_iteratorINSA_10device_ptrIiEEEEPS6_SG_NS0_5tupleIJSF_S6_EEENSH_IJSG_SG_EEES6_PlJNSB_9not_fun_tINSB_14equal_to_valueIiEEEEEEE10hipError_tPvRmT3_T4_T5_T6_T7_T9_mT8_P12ihipStream_tbDpT10_ENKUlT_T0_E_clISt17integral_constantIbLb0EES17_IbLb1EEEEDaS13_S14_EUlS13_E_NS1_11comp_targetILNS1_3genE4ELNS1_11target_archE910ELNS1_3gpuE8ELNS1_3repE0EEENS1_30default_config_static_selectorELNS0_4arch9wavefront6targetE0EEEvT1_,comdat
.Lfunc_end495:
	.size	_ZN7rocprim17ROCPRIM_400000_NS6detail17trampoline_kernelINS0_14default_configENS1_25partition_config_selectorILNS1_17partition_subalgoE6EiNS0_10empty_typeEbEEZZNS1_14partition_implILS5_6ELb0ES3_mN6thrust23THRUST_200600_302600_NS6detail15normal_iteratorINSA_10device_ptrIiEEEEPS6_SG_NS0_5tupleIJSF_S6_EEENSH_IJSG_SG_EEES6_PlJNSB_9not_fun_tINSB_14equal_to_valueIiEEEEEEE10hipError_tPvRmT3_T4_T5_T6_T7_T9_mT8_P12ihipStream_tbDpT10_ENKUlT_T0_E_clISt17integral_constantIbLb0EES17_IbLb1EEEEDaS13_S14_EUlS13_E_NS1_11comp_targetILNS1_3genE4ELNS1_11target_archE910ELNS1_3gpuE8ELNS1_3repE0EEENS1_30default_config_static_selectorELNS0_4arch9wavefront6targetE0EEEvT1_, .Lfunc_end495-_ZN7rocprim17ROCPRIM_400000_NS6detail17trampoline_kernelINS0_14default_configENS1_25partition_config_selectorILNS1_17partition_subalgoE6EiNS0_10empty_typeEbEEZZNS1_14partition_implILS5_6ELb0ES3_mN6thrust23THRUST_200600_302600_NS6detail15normal_iteratorINSA_10device_ptrIiEEEEPS6_SG_NS0_5tupleIJSF_S6_EEENSH_IJSG_SG_EEES6_PlJNSB_9not_fun_tINSB_14equal_to_valueIiEEEEEEE10hipError_tPvRmT3_T4_T5_T6_T7_T9_mT8_P12ihipStream_tbDpT10_ENKUlT_T0_E_clISt17integral_constantIbLb0EES17_IbLb1EEEEDaS13_S14_EUlS13_E_NS1_11comp_targetILNS1_3genE4ELNS1_11target_archE910ELNS1_3gpuE8ELNS1_3repE0EEENS1_30default_config_static_selectorELNS0_4arch9wavefront6targetE0EEEvT1_
                                        ; -- End function
	.set _ZN7rocprim17ROCPRIM_400000_NS6detail17trampoline_kernelINS0_14default_configENS1_25partition_config_selectorILNS1_17partition_subalgoE6EiNS0_10empty_typeEbEEZZNS1_14partition_implILS5_6ELb0ES3_mN6thrust23THRUST_200600_302600_NS6detail15normal_iteratorINSA_10device_ptrIiEEEEPS6_SG_NS0_5tupleIJSF_S6_EEENSH_IJSG_SG_EEES6_PlJNSB_9not_fun_tINSB_14equal_to_valueIiEEEEEEE10hipError_tPvRmT3_T4_T5_T6_T7_T9_mT8_P12ihipStream_tbDpT10_ENKUlT_T0_E_clISt17integral_constantIbLb0EES17_IbLb1EEEEDaS13_S14_EUlS13_E_NS1_11comp_targetILNS1_3genE4ELNS1_11target_archE910ELNS1_3gpuE8ELNS1_3repE0EEENS1_30default_config_static_selectorELNS0_4arch9wavefront6targetE0EEEvT1_.num_vgpr, 0
	.set _ZN7rocprim17ROCPRIM_400000_NS6detail17trampoline_kernelINS0_14default_configENS1_25partition_config_selectorILNS1_17partition_subalgoE6EiNS0_10empty_typeEbEEZZNS1_14partition_implILS5_6ELb0ES3_mN6thrust23THRUST_200600_302600_NS6detail15normal_iteratorINSA_10device_ptrIiEEEEPS6_SG_NS0_5tupleIJSF_S6_EEENSH_IJSG_SG_EEES6_PlJNSB_9not_fun_tINSB_14equal_to_valueIiEEEEEEE10hipError_tPvRmT3_T4_T5_T6_T7_T9_mT8_P12ihipStream_tbDpT10_ENKUlT_T0_E_clISt17integral_constantIbLb0EES17_IbLb1EEEEDaS13_S14_EUlS13_E_NS1_11comp_targetILNS1_3genE4ELNS1_11target_archE910ELNS1_3gpuE8ELNS1_3repE0EEENS1_30default_config_static_selectorELNS0_4arch9wavefront6targetE0EEEvT1_.num_agpr, 0
	.set _ZN7rocprim17ROCPRIM_400000_NS6detail17trampoline_kernelINS0_14default_configENS1_25partition_config_selectorILNS1_17partition_subalgoE6EiNS0_10empty_typeEbEEZZNS1_14partition_implILS5_6ELb0ES3_mN6thrust23THRUST_200600_302600_NS6detail15normal_iteratorINSA_10device_ptrIiEEEEPS6_SG_NS0_5tupleIJSF_S6_EEENSH_IJSG_SG_EEES6_PlJNSB_9not_fun_tINSB_14equal_to_valueIiEEEEEEE10hipError_tPvRmT3_T4_T5_T6_T7_T9_mT8_P12ihipStream_tbDpT10_ENKUlT_T0_E_clISt17integral_constantIbLb0EES17_IbLb1EEEEDaS13_S14_EUlS13_E_NS1_11comp_targetILNS1_3genE4ELNS1_11target_archE910ELNS1_3gpuE8ELNS1_3repE0EEENS1_30default_config_static_selectorELNS0_4arch9wavefront6targetE0EEEvT1_.numbered_sgpr, 0
	.set _ZN7rocprim17ROCPRIM_400000_NS6detail17trampoline_kernelINS0_14default_configENS1_25partition_config_selectorILNS1_17partition_subalgoE6EiNS0_10empty_typeEbEEZZNS1_14partition_implILS5_6ELb0ES3_mN6thrust23THRUST_200600_302600_NS6detail15normal_iteratorINSA_10device_ptrIiEEEEPS6_SG_NS0_5tupleIJSF_S6_EEENSH_IJSG_SG_EEES6_PlJNSB_9not_fun_tINSB_14equal_to_valueIiEEEEEEE10hipError_tPvRmT3_T4_T5_T6_T7_T9_mT8_P12ihipStream_tbDpT10_ENKUlT_T0_E_clISt17integral_constantIbLb0EES17_IbLb1EEEEDaS13_S14_EUlS13_E_NS1_11comp_targetILNS1_3genE4ELNS1_11target_archE910ELNS1_3gpuE8ELNS1_3repE0EEENS1_30default_config_static_selectorELNS0_4arch9wavefront6targetE0EEEvT1_.num_named_barrier, 0
	.set _ZN7rocprim17ROCPRIM_400000_NS6detail17trampoline_kernelINS0_14default_configENS1_25partition_config_selectorILNS1_17partition_subalgoE6EiNS0_10empty_typeEbEEZZNS1_14partition_implILS5_6ELb0ES3_mN6thrust23THRUST_200600_302600_NS6detail15normal_iteratorINSA_10device_ptrIiEEEEPS6_SG_NS0_5tupleIJSF_S6_EEENSH_IJSG_SG_EEES6_PlJNSB_9not_fun_tINSB_14equal_to_valueIiEEEEEEE10hipError_tPvRmT3_T4_T5_T6_T7_T9_mT8_P12ihipStream_tbDpT10_ENKUlT_T0_E_clISt17integral_constantIbLb0EES17_IbLb1EEEEDaS13_S14_EUlS13_E_NS1_11comp_targetILNS1_3genE4ELNS1_11target_archE910ELNS1_3gpuE8ELNS1_3repE0EEENS1_30default_config_static_selectorELNS0_4arch9wavefront6targetE0EEEvT1_.private_seg_size, 0
	.set _ZN7rocprim17ROCPRIM_400000_NS6detail17trampoline_kernelINS0_14default_configENS1_25partition_config_selectorILNS1_17partition_subalgoE6EiNS0_10empty_typeEbEEZZNS1_14partition_implILS5_6ELb0ES3_mN6thrust23THRUST_200600_302600_NS6detail15normal_iteratorINSA_10device_ptrIiEEEEPS6_SG_NS0_5tupleIJSF_S6_EEENSH_IJSG_SG_EEES6_PlJNSB_9not_fun_tINSB_14equal_to_valueIiEEEEEEE10hipError_tPvRmT3_T4_T5_T6_T7_T9_mT8_P12ihipStream_tbDpT10_ENKUlT_T0_E_clISt17integral_constantIbLb0EES17_IbLb1EEEEDaS13_S14_EUlS13_E_NS1_11comp_targetILNS1_3genE4ELNS1_11target_archE910ELNS1_3gpuE8ELNS1_3repE0EEENS1_30default_config_static_selectorELNS0_4arch9wavefront6targetE0EEEvT1_.uses_vcc, 0
	.set _ZN7rocprim17ROCPRIM_400000_NS6detail17trampoline_kernelINS0_14default_configENS1_25partition_config_selectorILNS1_17partition_subalgoE6EiNS0_10empty_typeEbEEZZNS1_14partition_implILS5_6ELb0ES3_mN6thrust23THRUST_200600_302600_NS6detail15normal_iteratorINSA_10device_ptrIiEEEEPS6_SG_NS0_5tupleIJSF_S6_EEENSH_IJSG_SG_EEES6_PlJNSB_9not_fun_tINSB_14equal_to_valueIiEEEEEEE10hipError_tPvRmT3_T4_T5_T6_T7_T9_mT8_P12ihipStream_tbDpT10_ENKUlT_T0_E_clISt17integral_constantIbLb0EES17_IbLb1EEEEDaS13_S14_EUlS13_E_NS1_11comp_targetILNS1_3genE4ELNS1_11target_archE910ELNS1_3gpuE8ELNS1_3repE0EEENS1_30default_config_static_selectorELNS0_4arch9wavefront6targetE0EEEvT1_.uses_flat_scratch, 0
	.set _ZN7rocprim17ROCPRIM_400000_NS6detail17trampoline_kernelINS0_14default_configENS1_25partition_config_selectorILNS1_17partition_subalgoE6EiNS0_10empty_typeEbEEZZNS1_14partition_implILS5_6ELb0ES3_mN6thrust23THRUST_200600_302600_NS6detail15normal_iteratorINSA_10device_ptrIiEEEEPS6_SG_NS0_5tupleIJSF_S6_EEENSH_IJSG_SG_EEES6_PlJNSB_9not_fun_tINSB_14equal_to_valueIiEEEEEEE10hipError_tPvRmT3_T4_T5_T6_T7_T9_mT8_P12ihipStream_tbDpT10_ENKUlT_T0_E_clISt17integral_constantIbLb0EES17_IbLb1EEEEDaS13_S14_EUlS13_E_NS1_11comp_targetILNS1_3genE4ELNS1_11target_archE910ELNS1_3gpuE8ELNS1_3repE0EEENS1_30default_config_static_selectorELNS0_4arch9wavefront6targetE0EEEvT1_.has_dyn_sized_stack, 0
	.set _ZN7rocprim17ROCPRIM_400000_NS6detail17trampoline_kernelINS0_14default_configENS1_25partition_config_selectorILNS1_17partition_subalgoE6EiNS0_10empty_typeEbEEZZNS1_14partition_implILS5_6ELb0ES3_mN6thrust23THRUST_200600_302600_NS6detail15normal_iteratorINSA_10device_ptrIiEEEEPS6_SG_NS0_5tupleIJSF_S6_EEENSH_IJSG_SG_EEES6_PlJNSB_9not_fun_tINSB_14equal_to_valueIiEEEEEEE10hipError_tPvRmT3_T4_T5_T6_T7_T9_mT8_P12ihipStream_tbDpT10_ENKUlT_T0_E_clISt17integral_constantIbLb0EES17_IbLb1EEEEDaS13_S14_EUlS13_E_NS1_11comp_targetILNS1_3genE4ELNS1_11target_archE910ELNS1_3gpuE8ELNS1_3repE0EEENS1_30default_config_static_selectorELNS0_4arch9wavefront6targetE0EEEvT1_.has_recursion, 0
	.set _ZN7rocprim17ROCPRIM_400000_NS6detail17trampoline_kernelINS0_14default_configENS1_25partition_config_selectorILNS1_17partition_subalgoE6EiNS0_10empty_typeEbEEZZNS1_14partition_implILS5_6ELb0ES3_mN6thrust23THRUST_200600_302600_NS6detail15normal_iteratorINSA_10device_ptrIiEEEEPS6_SG_NS0_5tupleIJSF_S6_EEENSH_IJSG_SG_EEES6_PlJNSB_9not_fun_tINSB_14equal_to_valueIiEEEEEEE10hipError_tPvRmT3_T4_T5_T6_T7_T9_mT8_P12ihipStream_tbDpT10_ENKUlT_T0_E_clISt17integral_constantIbLb0EES17_IbLb1EEEEDaS13_S14_EUlS13_E_NS1_11comp_targetILNS1_3genE4ELNS1_11target_archE910ELNS1_3gpuE8ELNS1_3repE0EEENS1_30default_config_static_selectorELNS0_4arch9wavefront6targetE0EEEvT1_.has_indirect_call, 0
	.section	.AMDGPU.csdata,"",@progbits
; Kernel info:
; codeLenInByte = 0
; TotalNumSgprs: 0
; NumVgprs: 0
; ScratchSize: 0
; MemoryBound: 0
; FloatMode: 240
; IeeeMode: 1
; LDSByteSize: 0 bytes/workgroup (compile time only)
; SGPRBlocks: 0
; VGPRBlocks: 0
; NumSGPRsForWavesPerEU: 1
; NumVGPRsForWavesPerEU: 1
; Occupancy: 16
; WaveLimiterHint : 0
; COMPUTE_PGM_RSRC2:SCRATCH_EN: 0
; COMPUTE_PGM_RSRC2:USER_SGPR: 2
; COMPUTE_PGM_RSRC2:TRAP_HANDLER: 0
; COMPUTE_PGM_RSRC2:TGID_X_EN: 1
; COMPUTE_PGM_RSRC2:TGID_Y_EN: 0
; COMPUTE_PGM_RSRC2:TGID_Z_EN: 0
; COMPUTE_PGM_RSRC2:TIDIG_COMP_CNT: 0
	.section	.text._ZN7rocprim17ROCPRIM_400000_NS6detail17trampoline_kernelINS0_14default_configENS1_25partition_config_selectorILNS1_17partition_subalgoE6EiNS0_10empty_typeEbEEZZNS1_14partition_implILS5_6ELb0ES3_mN6thrust23THRUST_200600_302600_NS6detail15normal_iteratorINSA_10device_ptrIiEEEEPS6_SG_NS0_5tupleIJSF_S6_EEENSH_IJSG_SG_EEES6_PlJNSB_9not_fun_tINSB_14equal_to_valueIiEEEEEEE10hipError_tPvRmT3_T4_T5_T6_T7_T9_mT8_P12ihipStream_tbDpT10_ENKUlT_T0_E_clISt17integral_constantIbLb0EES17_IbLb1EEEEDaS13_S14_EUlS13_E_NS1_11comp_targetILNS1_3genE3ELNS1_11target_archE908ELNS1_3gpuE7ELNS1_3repE0EEENS1_30default_config_static_selectorELNS0_4arch9wavefront6targetE0EEEvT1_,"axG",@progbits,_ZN7rocprim17ROCPRIM_400000_NS6detail17trampoline_kernelINS0_14default_configENS1_25partition_config_selectorILNS1_17partition_subalgoE6EiNS0_10empty_typeEbEEZZNS1_14partition_implILS5_6ELb0ES3_mN6thrust23THRUST_200600_302600_NS6detail15normal_iteratorINSA_10device_ptrIiEEEEPS6_SG_NS0_5tupleIJSF_S6_EEENSH_IJSG_SG_EEES6_PlJNSB_9not_fun_tINSB_14equal_to_valueIiEEEEEEE10hipError_tPvRmT3_T4_T5_T6_T7_T9_mT8_P12ihipStream_tbDpT10_ENKUlT_T0_E_clISt17integral_constantIbLb0EES17_IbLb1EEEEDaS13_S14_EUlS13_E_NS1_11comp_targetILNS1_3genE3ELNS1_11target_archE908ELNS1_3gpuE7ELNS1_3repE0EEENS1_30default_config_static_selectorELNS0_4arch9wavefront6targetE0EEEvT1_,comdat
	.protected	_ZN7rocprim17ROCPRIM_400000_NS6detail17trampoline_kernelINS0_14default_configENS1_25partition_config_selectorILNS1_17partition_subalgoE6EiNS0_10empty_typeEbEEZZNS1_14partition_implILS5_6ELb0ES3_mN6thrust23THRUST_200600_302600_NS6detail15normal_iteratorINSA_10device_ptrIiEEEEPS6_SG_NS0_5tupleIJSF_S6_EEENSH_IJSG_SG_EEES6_PlJNSB_9not_fun_tINSB_14equal_to_valueIiEEEEEEE10hipError_tPvRmT3_T4_T5_T6_T7_T9_mT8_P12ihipStream_tbDpT10_ENKUlT_T0_E_clISt17integral_constantIbLb0EES17_IbLb1EEEEDaS13_S14_EUlS13_E_NS1_11comp_targetILNS1_3genE3ELNS1_11target_archE908ELNS1_3gpuE7ELNS1_3repE0EEENS1_30default_config_static_selectorELNS0_4arch9wavefront6targetE0EEEvT1_ ; -- Begin function _ZN7rocprim17ROCPRIM_400000_NS6detail17trampoline_kernelINS0_14default_configENS1_25partition_config_selectorILNS1_17partition_subalgoE6EiNS0_10empty_typeEbEEZZNS1_14partition_implILS5_6ELb0ES3_mN6thrust23THRUST_200600_302600_NS6detail15normal_iteratorINSA_10device_ptrIiEEEEPS6_SG_NS0_5tupleIJSF_S6_EEENSH_IJSG_SG_EEES6_PlJNSB_9not_fun_tINSB_14equal_to_valueIiEEEEEEE10hipError_tPvRmT3_T4_T5_T6_T7_T9_mT8_P12ihipStream_tbDpT10_ENKUlT_T0_E_clISt17integral_constantIbLb0EES17_IbLb1EEEEDaS13_S14_EUlS13_E_NS1_11comp_targetILNS1_3genE3ELNS1_11target_archE908ELNS1_3gpuE7ELNS1_3repE0EEENS1_30default_config_static_selectorELNS0_4arch9wavefront6targetE0EEEvT1_
	.globl	_ZN7rocprim17ROCPRIM_400000_NS6detail17trampoline_kernelINS0_14default_configENS1_25partition_config_selectorILNS1_17partition_subalgoE6EiNS0_10empty_typeEbEEZZNS1_14partition_implILS5_6ELb0ES3_mN6thrust23THRUST_200600_302600_NS6detail15normal_iteratorINSA_10device_ptrIiEEEEPS6_SG_NS0_5tupleIJSF_S6_EEENSH_IJSG_SG_EEES6_PlJNSB_9not_fun_tINSB_14equal_to_valueIiEEEEEEE10hipError_tPvRmT3_T4_T5_T6_T7_T9_mT8_P12ihipStream_tbDpT10_ENKUlT_T0_E_clISt17integral_constantIbLb0EES17_IbLb1EEEEDaS13_S14_EUlS13_E_NS1_11comp_targetILNS1_3genE3ELNS1_11target_archE908ELNS1_3gpuE7ELNS1_3repE0EEENS1_30default_config_static_selectorELNS0_4arch9wavefront6targetE0EEEvT1_
	.p2align	8
	.type	_ZN7rocprim17ROCPRIM_400000_NS6detail17trampoline_kernelINS0_14default_configENS1_25partition_config_selectorILNS1_17partition_subalgoE6EiNS0_10empty_typeEbEEZZNS1_14partition_implILS5_6ELb0ES3_mN6thrust23THRUST_200600_302600_NS6detail15normal_iteratorINSA_10device_ptrIiEEEEPS6_SG_NS0_5tupleIJSF_S6_EEENSH_IJSG_SG_EEES6_PlJNSB_9not_fun_tINSB_14equal_to_valueIiEEEEEEE10hipError_tPvRmT3_T4_T5_T6_T7_T9_mT8_P12ihipStream_tbDpT10_ENKUlT_T0_E_clISt17integral_constantIbLb0EES17_IbLb1EEEEDaS13_S14_EUlS13_E_NS1_11comp_targetILNS1_3genE3ELNS1_11target_archE908ELNS1_3gpuE7ELNS1_3repE0EEENS1_30default_config_static_selectorELNS0_4arch9wavefront6targetE0EEEvT1_,@function
_ZN7rocprim17ROCPRIM_400000_NS6detail17trampoline_kernelINS0_14default_configENS1_25partition_config_selectorILNS1_17partition_subalgoE6EiNS0_10empty_typeEbEEZZNS1_14partition_implILS5_6ELb0ES3_mN6thrust23THRUST_200600_302600_NS6detail15normal_iteratorINSA_10device_ptrIiEEEEPS6_SG_NS0_5tupleIJSF_S6_EEENSH_IJSG_SG_EEES6_PlJNSB_9not_fun_tINSB_14equal_to_valueIiEEEEEEE10hipError_tPvRmT3_T4_T5_T6_T7_T9_mT8_P12ihipStream_tbDpT10_ENKUlT_T0_E_clISt17integral_constantIbLb0EES17_IbLb1EEEEDaS13_S14_EUlS13_E_NS1_11comp_targetILNS1_3genE3ELNS1_11target_archE908ELNS1_3gpuE7ELNS1_3repE0EEENS1_30default_config_static_selectorELNS0_4arch9wavefront6targetE0EEEvT1_: ; @_ZN7rocprim17ROCPRIM_400000_NS6detail17trampoline_kernelINS0_14default_configENS1_25partition_config_selectorILNS1_17partition_subalgoE6EiNS0_10empty_typeEbEEZZNS1_14partition_implILS5_6ELb0ES3_mN6thrust23THRUST_200600_302600_NS6detail15normal_iteratorINSA_10device_ptrIiEEEEPS6_SG_NS0_5tupleIJSF_S6_EEENSH_IJSG_SG_EEES6_PlJNSB_9not_fun_tINSB_14equal_to_valueIiEEEEEEE10hipError_tPvRmT3_T4_T5_T6_T7_T9_mT8_P12ihipStream_tbDpT10_ENKUlT_T0_E_clISt17integral_constantIbLb0EES17_IbLb1EEEEDaS13_S14_EUlS13_E_NS1_11comp_targetILNS1_3genE3ELNS1_11target_archE908ELNS1_3gpuE7ELNS1_3repE0EEENS1_30default_config_static_selectorELNS0_4arch9wavefront6targetE0EEEvT1_
; %bb.0:
	.section	.rodata,"a",@progbits
	.p2align	6, 0x0
	.amdhsa_kernel _ZN7rocprim17ROCPRIM_400000_NS6detail17trampoline_kernelINS0_14default_configENS1_25partition_config_selectorILNS1_17partition_subalgoE6EiNS0_10empty_typeEbEEZZNS1_14partition_implILS5_6ELb0ES3_mN6thrust23THRUST_200600_302600_NS6detail15normal_iteratorINSA_10device_ptrIiEEEEPS6_SG_NS0_5tupleIJSF_S6_EEENSH_IJSG_SG_EEES6_PlJNSB_9not_fun_tINSB_14equal_to_valueIiEEEEEEE10hipError_tPvRmT3_T4_T5_T6_T7_T9_mT8_P12ihipStream_tbDpT10_ENKUlT_T0_E_clISt17integral_constantIbLb0EES17_IbLb1EEEEDaS13_S14_EUlS13_E_NS1_11comp_targetILNS1_3genE3ELNS1_11target_archE908ELNS1_3gpuE7ELNS1_3repE0EEENS1_30default_config_static_selectorELNS0_4arch9wavefront6targetE0EEEvT1_
		.amdhsa_group_segment_fixed_size 0
		.amdhsa_private_segment_fixed_size 0
		.amdhsa_kernarg_size 128
		.amdhsa_user_sgpr_count 2
		.amdhsa_user_sgpr_dispatch_ptr 0
		.amdhsa_user_sgpr_queue_ptr 0
		.amdhsa_user_sgpr_kernarg_segment_ptr 1
		.amdhsa_user_sgpr_dispatch_id 0
		.amdhsa_user_sgpr_private_segment_size 0
		.amdhsa_wavefront_size32 1
		.amdhsa_uses_dynamic_stack 0
		.amdhsa_enable_private_segment 0
		.amdhsa_system_sgpr_workgroup_id_x 1
		.amdhsa_system_sgpr_workgroup_id_y 0
		.amdhsa_system_sgpr_workgroup_id_z 0
		.amdhsa_system_sgpr_workgroup_info 0
		.amdhsa_system_vgpr_workitem_id 0
		.amdhsa_next_free_vgpr 1
		.amdhsa_next_free_sgpr 1
		.amdhsa_reserve_vcc 0
		.amdhsa_float_round_mode_32 0
		.amdhsa_float_round_mode_16_64 0
		.amdhsa_float_denorm_mode_32 3
		.amdhsa_float_denorm_mode_16_64 3
		.amdhsa_fp16_overflow 0
		.amdhsa_workgroup_processor_mode 1
		.amdhsa_memory_ordered 1
		.amdhsa_forward_progress 1
		.amdhsa_inst_pref_size 0
		.amdhsa_round_robin_scheduling 0
		.amdhsa_exception_fp_ieee_invalid_op 0
		.amdhsa_exception_fp_denorm_src 0
		.amdhsa_exception_fp_ieee_div_zero 0
		.amdhsa_exception_fp_ieee_overflow 0
		.amdhsa_exception_fp_ieee_underflow 0
		.amdhsa_exception_fp_ieee_inexact 0
		.amdhsa_exception_int_div_zero 0
	.end_amdhsa_kernel
	.section	.text._ZN7rocprim17ROCPRIM_400000_NS6detail17trampoline_kernelINS0_14default_configENS1_25partition_config_selectorILNS1_17partition_subalgoE6EiNS0_10empty_typeEbEEZZNS1_14partition_implILS5_6ELb0ES3_mN6thrust23THRUST_200600_302600_NS6detail15normal_iteratorINSA_10device_ptrIiEEEEPS6_SG_NS0_5tupleIJSF_S6_EEENSH_IJSG_SG_EEES6_PlJNSB_9not_fun_tINSB_14equal_to_valueIiEEEEEEE10hipError_tPvRmT3_T4_T5_T6_T7_T9_mT8_P12ihipStream_tbDpT10_ENKUlT_T0_E_clISt17integral_constantIbLb0EES17_IbLb1EEEEDaS13_S14_EUlS13_E_NS1_11comp_targetILNS1_3genE3ELNS1_11target_archE908ELNS1_3gpuE7ELNS1_3repE0EEENS1_30default_config_static_selectorELNS0_4arch9wavefront6targetE0EEEvT1_,"axG",@progbits,_ZN7rocprim17ROCPRIM_400000_NS6detail17trampoline_kernelINS0_14default_configENS1_25partition_config_selectorILNS1_17partition_subalgoE6EiNS0_10empty_typeEbEEZZNS1_14partition_implILS5_6ELb0ES3_mN6thrust23THRUST_200600_302600_NS6detail15normal_iteratorINSA_10device_ptrIiEEEEPS6_SG_NS0_5tupleIJSF_S6_EEENSH_IJSG_SG_EEES6_PlJNSB_9not_fun_tINSB_14equal_to_valueIiEEEEEEE10hipError_tPvRmT3_T4_T5_T6_T7_T9_mT8_P12ihipStream_tbDpT10_ENKUlT_T0_E_clISt17integral_constantIbLb0EES17_IbLb1EEEEDaS13_S14_EUlS13_E_NS1_11comp_targetILNS1_3genE3ELNS1_11target_archE908ELNS1_3gpuE7ELNS1_3repE0EEENS1_30default_config_static_selectorELNS0_4arch9wavefront6targetE0EEEvT1_,comdat
.Lfunc_end496:
	.size	_ZN7rocprim17ROCPRIM_400000_NS6detail17trampoline_kernelINS0_14default_configENS1_25partition_config_selectorILNS1_17partition_subalgoE6EiNS0_10empty_typeEbEEZZNS1_14partition_implILS5_6ELb0ES3_mN6thrust23THRUST_200600_302600_NS6detail15normal_iteratorINSA_10device_ptrIiEEEEPS6_SG_NS0_5tupleIJSF_S6_EEENSH_IJSG_SG_EEES6_PlJNSB_9not_fun_tINSB_14equal_to_valueIiEEEEEEE10hipError_tPvRmT3_T4_T5_T6_T7_T9_mT8_P12ihipStream_tbDpT10_ENKUlT_T0_E_clISt17integral_constantIbLb0EES17_IbLb1EEEEDaS13_S14_EUlS13_E_NS1_11comp_targetILNS1_3genE3ELNS1_11target_archE908ELNS1_3gpuE7ELNS1_3repE0EEENS1_30default_config_static_selectorELNS0_4arch9wavefront6targetE0EEEvT1_, .Lfunc_end496-_ZN7rocprim17ROCPRIM_400000_NS6detail17trampoline_kernelINS0_14default_configENS1_25partition_config_selectorILNS1_17partition_subalgoE6EiNS0_10empty_typeEbEEZZNS1_14partition_implILS5_6ELb0ES3_mN6thrust23THRUST_200600_302600_NS6detail15normal_iteratorINSA_10device_ptrIiEEEEPS6_SG_NS0_5tupleIJSF_S6_EEENSH_IJSG_SG_EEES6_PlJNSB_9not_fun_tINSB_14equal_to_valueIiEEEEEEE10hipError_tPvRmT3_T4_T5_T6_T7_T9_mT8_P12ihipStream_tbDpT10_ENKUlT_T0_E_clISt17integral_constantIbLb0EES17_IbLb1EEEEDaS13_S14_EUlS13_E_NS1_11comp_targetILNS1_3genE3ELNS1_11target_archE908ELNS1_3gpuE7ELNS1_3repE0EEENS1_30default_config_static_selectorELNS0_4arch9wavefront6targetE0EEEvT1_
                                        ; -- End function
	.set _ZN7rocprim17ROCPRIM_400000_NS6detail17trampoline_kernelINS0_14default_configENS1_25partition_config_selectorILNS1_17partition_subalgoE6EiNS0_10empty_typeEbEEZZNS1_14partition_implILS5_6ELb0ES3_mN6thrust23THRUST_200600_302600_NS6detail15normal_iteratorINSA_10device_ptrIiEEEEPS6_SG_NS0_5tupleIJSF_S6_EEENSH_IJSG_SG_EEES6_PlJNSB_9not_fun_tINSB_14equal_to_valueIiEEEEEEE10hipError_tPvRmT3_T4_T5_T6_T7_T9_mT8_P12ihipStream_tbDpT10_ENKUlT_T0_E_clISt17integral_constantIbLb0EES17_IbLb1EEEEDaS13_S14_EUlS13_E_NS1_11comp_targetILNS1_3genE3ELNS1_11target_archE908ELNS1_3gpuE7ELNS1_3repE0EEENS1_30default_config_static_selectorELNS0_4arch9wavefront6targetE0EEEvT1_.num_vgpr, 0
	.set _ZN7rocprim17ROCPRIM_400000_NS6detail17trampoline_kernelINS0_14default_configENS1_25partition_config_selectorILNS1_17partition_subalgoE6EiNS0_10empty_typeEbEEZZNS1_14partition_implILS5_6ELb0ES3_mN6thrust23THRUST_200600_302600_NS6detail15normal_iteratorINSA_10device_ptrIiEEEEPS6_SG_NS0_5tupleIJSF_S6_EEENSH_IJSG_SG_EEES6_PlJNSB_9not_fun_tINSB_14equal_to_valueIiEEEEEEE10hipError_tPvRmT3_T4_T5_T6_T7_T9_mT8_P12ihipStream_tbDpT10_ENKUlT_T0_E_clISt17integral_constantIbLb0EES17_IbLb1EEEEDaS13_S14_EUlS13_E_NS1_11comp_targetILNS1_3genE3ELNS1_11target_archE908ELNS1_3gpuE7ELNS1_3repE0EEENS1_30default_config_static_selectorELNS0_4arch9wavefront6targetE0EEEvT1_.num_agpr, 0
	.set _ZN7rocprim17ROCPRIM_400000_NS6detail17trampoline_kernelINS0_14default_configENS1_25partition_config_selectorILNS1_17partition_subalgoE6EiNS0_10empty_typeEbEEZZNS1_14partition_implILS5_6ELb0ES3_mN6thrust23THRUST_200600_302600_NS6detail15normal_iteratorINSA_10device_ptrIiEEEEPS6_SG_NS0_5tupleIJSF_S6_EEENSH_IJSG_SG_EEES6_PlJNSB_9not_fun_tINSB_14equal_to_valueIiEEEEEEE10hipError_tPvRmT3_T4_T5_T6_T7_T9_mT8_P12ihipStream_tbDpT10_ENKUlT_T0_E_clISt17integral_constantIbLb0EES17_IbLb1EEEEDaS13_S14_EUlS13_E_NS1_11comp_targetILNS1_3genE3ELNS1_11target_archE908ELNS1_3gpuE7ELNS1_3repE0EEENS1_30default_config_static_selectorELNS0_4arch9wavefront6targetE0EEEvT1_.numbered_sgpr, 0
	.set _ZN7rocprim17ROCPRIM_400000_NS6detail17trampoline_kernelINS0_14default_configENS1_25partition_config_selectorILNS1_17partition_subalgoE6EiNS0_10empty_typeEbEEZZNS1_14partition_implILS5_6ELb0ES3_mN6thrust23THRUST_200600_302600_NS6detail15normal_iteratorINSA_10device_ptrIiEEEEPS6_SG_NS0_5tupleIJSF_S6_EEENSH_IJSG_SG_EEES6_PlJNSB_9not_fun_tINSB_14equal_to_valueIiEEEEEEE10hipError_tPvRmT3_T4_T5_T6_T7_T9_mT8_P12ihipStream_tbDpT10_ENKUlT_T0_E_clISt17integral_constantIbLb0EES17_IbLb1EEEEDaS13_S14_EUlS13_E_NS1_11comp_targetILNS1_3genE3ELNS1_11target_archE908ELNS1_3gpuE7ELNS1_3repE0EEENS1_30default_config_static_selectorELNS0_4arch9wavefront6targetE0EEEvT1_.num_named_barrier, 0
	.set _ZN7rocprim17ROCPRIM_400000_NS6detail17trampoline_kernelINS0_14default_configENS1_25partition_config_selectorILNS1_17partition_subalgoE6EiNS0_10empty_typeEbEEZZNS1_14partition_implILS5_6ELb0ES3_mN6thrust23THRUST_200600_302600_NS6detail15normal_iteratorINSA_10device_ptrIiEEEEPS6_SG_NS0_5tupleIJSF_S6_EEENSH_IJSG_SG_EEES6_PlJNSB_9not_fun_tINSB_14equal_to_valueIiEEEEEEE10hipError_tPvRmT3_T4_T5_T6_T7_T9_mT8_P12ihipStream_tbDpT10_ENKUlT_T0_E_clISt17integral_constantIbLb0EES17_IbLb1EEEEDaS13_S14_EUlS13_E_NS1_11comp_targetILNS1_3genE3ELNS1_11target_archE908ELNS1_3gpuE7ELNS1_3repE0EEENS1_30default_config_static_selectorELNS0_4arch9wavefront6targetE0EEEvT1_.private_seg_size, 0
	.set _ZN7rocprim17ROCPRIM_400000_NS6detail17trampoline_kernelINS0_14default_configENS1_25partition_config_selectorILNS1_17partition_subalgoE6EiNS0_10empty_typeEbEEZZNS1_14partition_implILS5_6ELb0ES3_mN6thrust23THRUST_200600_302600_NS6detail15normal_iteratorINSA_10device_ptrIiEEEEPS6_SG_NS0_5tupleIJSF_S6_EEENSH_IJSG_SG_EEES6_PlJNSB_9not_fun_tINSB_14equal_to_valueIiEEEEEEE10hipError_tPvRmT3_T4_T5_T6_T7_T9_mT8_P12ihipStream_tbDpT10_ENKUlT_T0_E_clISt17integral_constantIbLb0EES17_IbLb1EEEEDaS13_S14_EUlS13_E_NS1_11comp_targetILNS1_3genE3ELNS1_11target_archE908ELNS1_3gpuE7ELNS1_3repE0EEENS1_30default_config_static_selectorELNS0_4arch9wavefront6targetE0EEEvT1_.uses_vcc, 0
	.set _ZN7rocprim17ROCPRIM_400000_NS6detail17trampoline_kernelINS0_14default_configENS1_25partition_config_selectorILNS1_17partition_subalgoE6EiNS0_10empty_typeEbEEZZNS1_14partition_implILS5_6ELb0ES3_mN6thrust23THRUST_200600_302600_NS6detail15normal_iteratorINSA_10device_ptrIiEEEEPS6_SG_NS0_5tupleIJSF_S6_EEENSH_IJSG_SG_EEES6_PlJNSB_9not_fun_tINSB_14equal_to_valueIiEEEEEEE10hipError_tPvRmT3_T4_T5_T6_T7_T9_mT8_P12ihipStream_tbDpT10_ENKUlT_T0_E_clISt17integral_constantIbLb0EES17_IbLb1EEEEDaS13_S14_EUlS13_E_NS1_11comp_targetILNS1_3genE3ELNS1_11target_archE908ELNS1_3gpuE7ELNS1_3repE0EEENS1_30default_config_static_selectorELNS0_4arch9wavefront6targetE0EEEvT1_.uses_flat_scratch, 0
	.set _ZN7rocprim17ROCPRIM_400000_NS6detail17trampoline_kernelINS0_14default_configENS1_25partition_config_selectorILNS1_17partition_subalgoE6EiNS0_10empty_typeEbEEZZNS1_14partition_implILS5_6ELb0ES3_mN6thrust23THRUST_200600_302600_NS6detail15normal_iteratorINSA_10device_ptrIiEEEEPS6_SG_NS0_5tupleIJSF_S6_EEENSH_IJSG_SG_EEES6_PlJNSB_9not_fun_tINSB_14equal_to_valueIiEEEEEEE10hipError_tPvRmT3_T4_T5_T6_T7_T9_mT8_P12ihipStream_tbDpT10_ENKUlT_T0_E_clISt17integral_constantIbLb0EES17_IbLb1EEEEDaS13_S14_EUlS13_E_NS1_11comp_targetILNS1_3genE3ELNS1_11target_archE908ELNS1_3gpuE7ELNS1_3repE0EEENS1_30default_config_static_selectorELNS0_4arch9wavefront6targetE0EEEvT1_.has_dyn_sized_stack, 0
	.set _ZN7rocprim17ROCPRIM_400000_NS6detail17trampoline_kernelINS0_14default_configENS1_25partition_config_selectorILNS1_17partition_subalgoE6EiNS0_10empty_typeEbEEZZNS1_14partition_implILS5_6ELb0ES3_mN6thrust23THRUST_200600_302600_NS6detail15normal_iteratorINSA_10device_ptrIiEEEEPS6_SG_NS0_5tupleIJSF_S6_EEENSH_IJSG_SG_EEES6_PlJNSB_9not_fun_tINSB_14equal_to_valueIiEEEEEEE10hipError_tPvRmT3_T4_T5_T6_T7_T9_mT8_P12ihipStream_tbDpT10_ENKUlT_T0_E_clISt17integral_constantIbLb0EES17_IbLb1EEEEDaS13_S14_EUlS13_E_NS1_11comp_targetILNS1_3genE3ELNS1_11target_archE908ELNS1_3gpuE7ELNS1_3repE0EEENS1_30default_config_static_selectorELNS0_4arch9wavefront6targetE0EEEvT1_.has_recursion, 0
	.set _ZN7rocprim17ROCPRIM_400000_NS6detail17trampoline_kernelINS0_14default_configENS1_25partition_config_selectorILNS1_17partition_subalgoE6EiNS0_10empty_typeEbEEZZNS1_14partition_implILS5_6ELb0ES3_mN6thrust23THRUST_200600_302600_NS6detail15normal_iteratorINSA_10device_ptrIiEEEEPS6_SG_NS0_5tupleIJSF_S6_EEENSH_IJSG_SG_EEES6_PlJNSB_9not_fun_tINSB_14equal_to_valueIiEEEEEEE10hipError_tPvRmT3_T4_T5_T6_T7_T9_mT8_P12ihipStream_tbDpT10_ENKUlT_T0_E_clISt17integral_constantIbLb0EES17_IbLb1EEEEDaS13_S14_EUlS13_E_NS1_11comp_targetILNS1_3genE3ELNS1_11target_archE908ELNS1_3gpuE7ELNS1_3repE0EEENS1_30default_config_static_selectorELNS0_4arch9wavefront6targetE0EEEvT1_.has_indirect_call, 0
	.section	.AMDGPU.csdata,"",@progbits
; Kernel info:
; codeLenInByte = 0
; TotalNumSgprs: 0
; NumVgprs: 0
; ScratchSize: 0
; MemoryBound: 0
; FloatMode: 240
; IeeeMode: 1
; LDSByteSize: 0 bytes/workgroup (compile time only)
; SGPRBlocks: 0
; VGPRBlocks: 0
; NumSGPRsForWavesPerEU: 1
; NumVGPRsForWavesPerEU: 1
; Occupancy: 16
; WaveLimiterHint : 0
; COMPUTE_PGM_RSRC2:SCRATCH_EN: 0
; COMPUTE_PGM_RSRC2:USER_SGPR: 2
; COMPUTE_PGM_RSRC2:TRAP_HANDLER: 0
; COMPUTE_PGM_RSRC2:TGID_X_EN: 1
; COMPUTE_PGM_RSRC2:TGID_Y_EN: 0
; COMPUTE_PGM_RSRC2:TGID_Z_EN: 0
; COMPUTE_PGM_RSRC2:TIDIG_COMP_CNT: 0
	.section	.text._ZN7rocprim17ROCPRIM_400000_NS6detail17trampoline_kernelINS0_14default_configENS1_25partition_config_selectorILNS1_17partition_subalgoE6EiNS0_10empty_typeEbEEZZNS1_14partition_implILS5_6ELb0ES3_mN6thrust23THRUST_200600_302600_NS6detail15normal_iteratorINSA_10device_ptrIiEEEEPS6_SG_NS0_5tupleIJSF_S6_EEENSH_IJSG_SG_EEES6_PlJNSB_9not_fun_tINSB_14equal_to_valueIiEEEEEEE10hipError_tPvRmT3_T4_T5_T6_T7_T9_mT8_P12ihipStream_tbDpT10_ENKUlT_T0_E_clISt17integral_constantIbLb0EES17_IbLb1EEEEDaS13_S14_EUlS13_E_NS1_11comp_targetILNS1_3genE2ELNS1_11target_archE906ELNS1_3gpuE6ELNS1_3repE0EEENS1_30default_config_static_selectorELNS0_4arch9wavefront6targetE0EEEvT1_,"axG",@progbits,_ZN7rocprim17ROCPRIM_400000_NS6detail17trampoline_kernelINS0_14default_configENS1_25partition_config_selectorILNS1_17partition_subalgoE6EiNS0_10empty_typeEbEEZZNS1_14partition_implILS5_6ELb0ES3_mN6thrust23THRUST_200600_302600_NS6detail15normal_iteratorINSA_10device_ptrIiEEEEPS6_SG_NS0_5tupleIJSF_S6_EEENSH_IJSG_SG_EEES6_PlJNSB_9not_fun_tINSB_14equal_to_valueIiEEEEEEE10hipError_tPvRmT3_T4_T5_T6_T7_T9_mT8_P12ihipStream_tbDpT10_ENKUlT_T0_E_clISt17integral_constantIbLb0EES17_IbLb1EEEEDaS13_S14_EUlS13_E_NS1_11comp_targetILNS1_3genE2ELNS1_11target_archE906ELNS1_3gpuE6ELNS1_3repE0EEENS1_30default_config_static_selectorELNS0_4arch9wavefront6targetE0EEEvT1_,comdat
	.protected	_ZN7rocprim17ROCPRIM_400000_NS6detail17trampoline_kernelINS0_14default_configENS1_25partition_config_selectorILNS1_17partition_subalgoE6EiNS0_10empty_typeEbEEZZNS1_14partition_implILS5_6ELb0ES3_mN6thrust23THRUST_200600_302600_NS6detail15normal_iteratorINSA_10device_ptrIiEEEEPS6_SG_NS0_5tupleIJSF_S6_EEENSH_IJSG_SG_EEES6_PlJNSB_9not_fun_tINSB_14equal_to_valueIiEEEEEEE10hipError_tPvRmT3_T4_T5_T6_T7_T9_mT8_P12ihipStream_tbDpT10_ENKUlT_T0_E_clISt17integral_constantIbLb0EES17_IbLb1EEEEDaS13_S14_EUlS13_E_NS1_11comp_targetILNS1_3genE2ELNS1_11target_archE906ELNS1_3gpuE6ELNS1_3repE0EEENS1_30default_config_static_selectorELNS0_4arch9wavefront6targetE0EEEvT1_ ; -- Begin function _ZN7rocprim17ROCPRIM_400000_NS6detail17trampoline_kernelINS0_14default_configENS1_25partition_config_selectorILNS1_17partition_subalgoE6EiNS0_10empty_typeEbEEZZNS1_14partition_implILS5_6ELb0ES3_mN6thrust23THRUST_200600_302600_NS6detail15normal_iteratorINSA_10device_ptrIiEEEEPS6_SG_NS0_5tupleIJSF_S6_EEENSH_IJSG_SG_EEES6_PlJNSB_9not_fun_tINSB_14equal_to_valueIiEEEEEEE10hipError_tPvRmT3_T4_T5_T6_T7_T9_mT8_P12ihipStream_tbDpT10_ENKUlT_T0_E_clISt17integral_constantIbLb0EES17_IbLb1EEEEDaS13_S14_EUlS13_E_NS1_11comp_targetILNS1_3genE2ELNS1_11target_archE906ELNS1_3gpuE6ELNS1_3repE0EEENS1_30default_config_static_selectorELNS0_4arch9wavefront6targetE0EEEvT1_
	.globl	_ZN7rocprim17ROCPRIM_400000_NS6detail17trampoline_kernelINS0_14default_configENS1_25partition_config_selectorILNS1_17partition_subalgoE6EiNS0_10empty_typeEbEEZZNS1_14partition_implILS5_6ELb0ES3_mN6thrust23THRUST_200600_302600_NS6detail15normal_iteratorINSA_10device_ptrIiEEEEPS6_SG_NS0_5tupleIJSF_S6_EEENSH_IJSG_SG_EEES6_PlJNSB_9not_fun_tINSB_14equal_to_valueIiEEEEEEE10hipError_tPvRmT3_T4_T5_T6_T7_T9_mT8_P12ihipStream_tbDpT10_ENKUlT_T0_E_clISt17integral_constantIbLb0EES17_IbLb1EEEEDaS13_S14_EUlS13_E_NS1_11comp_targetILNS1_3genE2ELNS1_11target_archE906ELNS1_3gpuE6ELNS1_3repE0EEENS1_30default_config_static_selectorELNS0_4arch9wavefront6targetE0EEEvT1_
	.p2align	8
	.type	_ZN7rocprim17ROCPRIM_400000_NS6detail17trampoline_kernelINS0_14default_configENS1_25partition_config_selectorILNS1_17partition_subalgoE6EiNS0_10empty_typeEbEEZZNS1_14partition_implILS5_6ELb0ES3_mN6thrust23THRUST_200600_302600_NS6detail15normal_iteratorINSA_10device_ptrIiEEEEPS6_SG_NS0_5tupleIJSF_S6_EEENSH_IJSG_SG_EEES6_PlJNSB_9not_fun_tINSB_14equal_to_valueIiEEEEEEE10hipError_tPvRmT3_T4_T5_T6_T7_T9_mT8_P12ihipStream_tbDpT10_ENKUlT_T0_E_clISt17integral_constantIbLb0EES17_IbLb1EEEEDaS13_S14_EUlS13_E_NS1_11comp_targetILNS1_3genE2ELNS1_11target_archE906ELNS1_3gpuE6ELNS1_3repE0EEENS1_30default_config_static_selectorELNS0_4arch9wavefront6targetE0EEEvT1_,@function
_ZN7rocprim17ROCPRIM_400000_NS6detail17trampoline_kernelINS0_14default_configENS1_25partition_config_selectorILNS1_17partition_subalgoE6EiNS0_10empty_typeEbEEZZNS1_14partition_implILS5_6ELb0ES3_mN6thrust23THRUST_200600_302600_NS6detail15normal_iteratorINSA_10device_ptrIiEEEEPS6_SG_NS0_5tupleIJSF_S6_EEENSH_IJSG_SG_EEES6_PlJNSB_9not_fun_tINSB_14equal_to_valueIiEEEEEEE10hipError_tPvRmT3_T4_T5_T6_T7_T9_mT8_P12ihipStream_tbDpT10_ENKUlT_T0_E_clISt17integral_constantIbLb0EES17_IbLb1EEEEDaS13_S14_EUlS13_E_NS1_11comp_targetILNS1_3genE2ELNS1_11target_archE906ELNS1_3gpuE6ELNS1_3repE0EEENS1_30default_config_static_selectorELNS0_4arch9wavefront6targetE0EEEvT1_: ; @_ZN7rocprim17ROCPRIM_400000_NS6detail17trampoline_kernelINS0_14default_configENS1_25partition_config_selectorILNS1_17partition_subalgoE6EiNS0_10empty_typeEbEEZZNS1_14partition_implILS5_6ELb0ES3_mN6thrust23THRUST_200600_302600_NS6detail15normal_iteratorINSA_10device_ptrIiEEEEPS6_SG_NS0_5tupleIJSF_S6_EEENSH_IJSG_SG_EEES6_PlJNSB_9not_fun_tINSB_14equal_to_valueIiEEEEEEE10hipError_tPvRmT3_T4_T5_T6_T7_T9_mT8_P12ihipStream_tbDpT10_ENKUlT_T0_E_clISt17integral_constantIbLb0EES17_IbLb1EEEEDaS13_S14_EUlS13_E_NS1_11comp_targetILNS1_3genE2ELNS1_11target_archE906ELNS1_3gpuE6ELNS1_3repE0EEENS1_30default_config_static_selectorELNS0_4arch9wavefront6targetE0EEEvT1_
; %bb.0:
	.section	.rodata,"a",@progbits
	.p2align	6, 0x0
	.amdhsa_kernel _ZN7rocprim17ROCPRIM_400000_NS6detail17trampoline_kernelINS0_14default_configENS1_25partition_config_selectorILNS1_17partition_subalgoE6EiNS0_10empty_typeEbEEZZNS1_14partition_implILS5_6ELb0ES3_mN6thrust23THRUST_200600_302600_NS6detail15normal_iteratorINSA_10device_ptrIiEEEEPS6_SG_NS0_5tupleIJSF_S6_EEENSH_IJSG_SG_EEES6_PlJNSB_9not_fun_tINSB_14equal_to_valueIiEEEEEEE10hipError_tPvRmT3_T4_T5_T6_T7_T9_mT8_P12ihipStream_tbDpT10_ENKUlT_T0_E_clISt17integral_constantIbLb0EES17_IbLb1EEEEDaS13_S14_EUlS13_E_NS1_11comp_targetILNS1_3genE2ELNS1_11target_archE906ELNS1_3gpuE6ELNS1_3repE0EEENS1_30default_config_static_selectorELNS0_4arch9wavefront6targetE0EEEvT1_
		.amdhsa_group_segment_fixed_size 0
		.amdhsa_private_segment_fixed_size 0
		.amdhsa_kernarg_size 128
		.amdhsa_user_sgpr_count 2
		.amdhsa_user_sgpr_dispatch_ptr 0
		.amdhsa_user_sgpr_queue_ptr 0
		.amdhsa_user_sgpr_kernarg_segment_ptr 1
		.amdhsa_user_sgpr_dispatch_id 0
		.amdhsa_user_sgpr_private_segment_size 0
		.amdhsa_wavefront_size32 1
		.amdhsa_uses_dynamic_stack 0
		.amdhsa_enable_private_segment 0
		.amdhsa_system_sgpr_workgroup_id_x 1
		.amdhsa_system_sgpr_workgroup_id_y 0
		.amdhsa_system_sgpr_workgroup_id_z 0
		.amdhsa_system_sgpr_workgroup_info 0
		.amdhsa_system_vgpr_workitem_id 0
		.amdhsa_next_free_vgpr 1
		.amdhsa_next_free_sgpr 1
		.amdhsa_reserve_vcc 0
		.amdhsa_float_round_mode_32 0
		.amdhsa_float_round_mode_16_64 0
		.amdhsa_float_denorm_mode_32 3
		.amdhsa_float_denorm_mode_16_64 3
		.amdhsa_fp16_overflow 0
		.amdhsa_workgroup_processor_mode 1
		.amdhsa_memory_ordered 1
		.amdhsa_forward_progress 1
		.amdhsa_inst_pref_size 0
		.amdhsa_round_robin_scheduling 0
		.amdhsa_exception_fp_ieee_invalid_op 0
		.amdhsa_exception_fp_denorm_src 0
		.amdhsa_exception_fp_ieee_div_zero 0
		.amdhsa_exception_fp_ieee_overflow 0
		.amdhsa_exception_fp_ieee_underflow 0
		.amdhsa_exception_fp_ieee_inexact 0
		.amdhsa_exception_int_div_zero 0
	.end_amdhsa_kernel
	.section	.text._ZN7rocprim17ROCPRIM_400000_NS6detail17trampoline_kernelINS0_14default_configENS1_25partition_config_selectorILNS1_17partition_subalgoE6EiNS0_10empty_typeEbEEZZNS1_14partition_implILS5_6ELb0ES3_mN6thrust23THRUST_200600_302600_NS6detail15normal_iteratorINSA_10device_ptrIiEEEEPS6_SG_NS0_5tupleIJSF_S6_EEENSH_IJSG_SG_EEES6_PlJNSB_9not_fun_tINSB_14equal_to_valueIiEEEEEEE10hipError_tPvRmT3_T4_T5_T6_T7_T9_mT8_P12ihipStream_tbDpT10_ENKUlT_T0_E_clISt17integral_constantIbLb0EES17_IbLb1EEEEDaS13_S14_EUlS13_E_NS1_11comp_targetILNS1_3genE2ELNS1_11target_archE906ELNS1_3gpuE6ELNS1_3repE0EEENS1_30default_config_static_selectorELNS0_4arch9wavefront6targetE0EEEvT1_,"axG",@progbits,_ZN7rocprim17ROCPRIM_400000_NS6detail17trampoline_kernelINS0_14default_configENS1_25partition_config_selectorILNS1_17partition_subalgoE6EiNS0_10empty_typeEbEEZZNS1_14partition_implILS5_6ELb0ES3_mN6thrust23THRUST_200600_302600_NS6detail15normal_iteratorINSA_10device_ptrIiEEEEPS6_SG_NS0_5tupleIJSF_S6_EEENSH_IJSG_SG_EEES6_PlJNSB_9not_fun_tINSB_14equal_to_valueIiEEEEEEE10hipError_tPvRmT3_T4_T5_T6_T7_T9_mT8_P12ihipStream_tbDpT10_ENKUlT_T0_E_clISt17integral_constantIbLb0EES17_IbLb1EEEEDaS13_S14_EUlS13_E_NS1_11comp_targetILNS1_3genE2ELNS1_11target_archE906ELNS1_3gpuE6ELNS1_3repE0EEENS1_30default_config_static_selectorELNS0_4arch9wavefront6targetE0EEEvT1_,comdat
.Lfunc_end497:
	.size	_ZN7rocprim17ROCPRIM_400000_NS6detail17trampoline_kernelINS0_14default_configENS1_25partition_config_selectorILNS1_17partition_subalgoE6EiNS0_10empty_typeEbEEZZNS1_14partition_implILS5_6ELb0ES3_mN6thrust23THRUST_200600_302600_NS6detail15normal_iteratorINSA_10device_ptrIiEEEEPS6_SG_NS0_5tupleIJSF_S6_EEENSH_IJSG_SG_EEES6_PlJNSB_9not_fun_tINSB_14equal_to_valueIiEEEEEEE10hipError_tPvRmT3_T4_T5_T6_T7_T9_mT8_P12ihipStream_tbDpT10_ENKUlT_T0_E_clISt17integral_constantIbLb0EES17_IbLb1EEEEDaS13_S14_EUlS13_E_NS1_11comp_targetILNS1_3genE2ELNS1_11target_archE906ELNS1_3gpuE6ELNS1_3repE0EEENS1_30default_config_static_selectorELNS0_4arch9wavefront6targetE0EEEvT1_, .Lfunc_end497-_ZN7rocprim17ROCPRIM_400000_NS6detail17trampoline_kernelINS0_14default_configENS1_25partition_config_selectorILNS1_17partition_subalgoE6EiNS0_10empty_typeEbEEZZNS1_14partition_implILS5_6ELb0ES3_mN6thrust23THRUST_200600_302600_NS6detail15normal_iteratorINSA_10device_ptrIiEEEEPS6_SG_NS0_5tupleIJSF_S6_EEENSH_IJSG_SG_EEES6_PlJNSB_9not_fun_tINSB_14equal_to_valueIiEEEEEEE10hipError_tPvRmT3_T4_T5_T6_T7_T9_mT8_P12ihipStream_tbDpT10_ENKUlT_T0_E_clISt17integral_constantIbLb0EES17_IbLb1EEEEDaS13_S14_EUlS13_E_NS1_11comp_targetILNS1_3genE2ELNS1_11target_archE906ELNS1_3gpuE6ELNS1_3repE0EEENS1_30default_config_static_selectorELNS0_4arch9wavefront6targetE0EEEvT1_
                                        ; -- End function
	.set _ZN7rocprim17ROCPRIM_400000_NS6detail17trampoline_kernelINS0_14default_configENS1_25partition_config_selectorILNS1_17partition_subalgoE6EiNS0_10empty_typeEbEEZZNS1_14partition_implILS5_6ELb0ES3_mN6thrust23THRUST_200600_302600_NS6detail15normal_iteratorINSA_10device_ptrIiEEEEPS6_SG_NS0_5tupleIJSF_S6_EEENSH_IJSG_SG_EEES6_PlJNSB_9not_fun_tINSB_14equal_to_valueIiEEEEEEE10hipError_tPvRmT3_T4_T5_T6_T7_T9_mT8_P12ihipStream_tbDpT10_ENKUlT_T0_E_clISt17integral_constantIbLb0EES17_IbLb1EEEEDaS13_S14_EUlS13_E_NS1_11comp_targetILNS1_3genE2ELNS1_11target_archE906ELNS1_3gpuE6ELNS1_3repE0EEENS1_30default_config_static_selectorELNS0_4arch9wavefront6targetE0EEEvT1_.num_vgpr, 0
	.set _ZN7rocprim17ROCPRIM_400000_NS6detail17trampoline_kernelINS0_14default_configENS1_25partition_config_selectorILNS1_17partition_subalgoE6EiNS0_10empty_typeEbEEZZNS1_14partition_implILS5_6ELb0ES3_mN6thrust23THRUST_200600_302600_NS6detail15normal_iteratorINSA_10device_ptrIiEEEEPS6_SG_NS0_5tupleIJSF_S6_EEENSH_IJSG_SG_EEES6_PlJNSB_9not_fun_tINSB_14equal_to_valueIiEEEEEEE10hipError_tPvRmT3_T4_T5_T6_T7_T9_mT8_P12ihipStream_tbDpT10_ENKUlT_T0_E_clISt17integral_constantIbLb0EES17_IbLb1EEEEDaS13_S14_EUlS13_E_NS1_11comp_targetILNS1_3genE2ELNS1_11target_archE906ELNS1_3gpuE6ELNS1_3repE0EEENS1_30default_config_static_selectorELNS0_4arch9wavefront6targetE0EEEvT1_.num_agpr, 0
	.set _ZN7rocprim17ROCPRIM_400000_NS6detail17trampoline_kernelINS0_14default_configENS1_25partition_config_selectorILNS1_17partition_subalgoE6EiNS0_10empty_typeEbEEZZNS1_14partition_implILS5_6ELb0ES3_mN6thrust23THRUST_200600_302600_NS6detail15normal_iteratorINSA_10device_ptrIiEEEEPS6_SG_NS0_5tupleIJSF_S6_EEENSH_IJSG_SG_EEES6_PlJNSB_9not_fun_tINSB_14equal_to_valueIiEEEEEEE10hipError_tPvRmT3_T4_T5_T6_T7_T9_mT8_P12ihipStream_tbDpT10_ENKUlT_T0_E_clISt17integral_constantIbLb0EES17_IbLb1EEEEDaS13_S14_EUlS13_E_NS1_11comp_targetILNS1_3genE2ELNS1_11target_archE906ELNS1_3gpuE6ELNS1_3repE0EEENS1_30default_config_static_selectorELNS0_4arch9wavefront6targetE0EEEvT1_.numbered_sgpr, 0
	.set _ZN7rocprim17ROCPRIM_400000_NS6detail17trampoline_kernelINS0_14default_configENS1_25partition_config_selectorILNS1_17partition_subalgoE6EiNS0_10empty_typeEbEEZZNS1_14partition_implILS5_6ELb0ES3_mN6thrust23THRUST_200600_302600_NS6detail15normal_iteratorINSA_10device_ptrIiEEEEPS6_SG_NS0_5tupleIJSF_S6_EEENSH_IJSG_SG_EEES6_PlJNSB_9not_fun_tINSB_14equal_to_valueIiEEEEEEE10hipError_tPvRmT3_T4_T5_T6_T7_T9_mT8_P12ihipStream_tbDpT10_ENKUlT_T0_E_clISt17integral_constantIbLb0EES17_IbLb1EEEEDaS13_S14_EUlS13_E_NS1_11comp_targetILNS1_3genE2ELNS1_11target_archE906ELNS1_3gpuE6ELNS1_3repE0EEENS1_30default_config_static_selectorELNS0_4arch9wavefront6targetE0EEEvT1_.num_named_barrier, 0
	.set _ZN7rocprim17ROCPRIM_400000_NS6detail17trampoline_kernelINS0_14default_configENS1_25partition_config_selectorILNS1_17partition_subalgoE6EiNS0_10empty_typeEbEEZZNS1_14partition_implILS5_6ELb0ES3_mN6thrust23THRUST_200600_302600_NS6detail15normal_iteratorINSA_10device_ptrIiEEEEPS6_SG_NS0_5tupleIJSF_S6_EEENSH_IJSG_SG_EEES6_PlJNSB_9not_fun_tINSB_14equal_to_valueIiEEEEEEE10hipError_tPvRmT3_T4_T5_T6_T7_T9_mT8_P12ihipStream_tbDpT10_ENKUlT_T0_E_clISt17integral_constantIbLb0EES17_IbLb1EEEEDaS13_S14_EUlS13_E_NS1_11comp_targetILNS1_3genE2ELNS1_11target_archE906ELNS1_3gpuE6ELNS1_3repE0EEENS1_30default_config_static_selectorELNS0_4arch9wavefront6targetE0EEEvT1_.private_seg_size, 0
	.set _ZN7rocprim17ROCPRIM_400000_NS6detail17trampoline_kernelINS0_14default_configENS1_25partition_config_selectorILNS1_17partition_subalgoE6EiNS0_10empty_typeEbEEZZNS1_14partition_implILS5_6ELb0ES3_mN6thrust23THRUST_200600_302600_NS6detail15normal_iteratorINSA_10device_ptrIiEEEEPS6_SG_NS0_5tupleIJSF_S6_EEENSH_IJSG_SG_EEES6_PlJNSB_9not_fun_tINSB_14equal_to_valueIiEEEEEEE10hipError_tPvRmT3_T4_T5_T6_T7_T9_mT8_P12ihipStream_tbDpT10_ENKUlT_T0_E_clISt17integral_constantIbLb0EES17_IbLb1EEEEDaS13_S14_EUlS13_E_NS1_11comp_targetILNS1_3genE2ELNS1_11target_archE906ELNS1_3gpuE6ELNS1_3repE0EEENS1_30default_config_static_selectorELNS0_4arch9wavefront6targetE0EEEvT1_.uses_vcc, 0
	.set _ZN7rocprim17ROCPRIM_400000_NS6detail17trampoline_kernelINS0_14default_configENS1_25partition_config_selectorILNS1_17partition_subalgoE6EiNS0_10empty_typeEbEEZZNS1_14partition_implILS5_6ELb0ES3_mN6thrust23THRUST_200600_302600_NS6detail15normal_iteratorINSA_10device_ptrIiEEEEPS6_SG_NS0_5tupleIJSF_S6_EEENSH_IJSG_SG_EEES6_PlJNSB_9not_fun_tINSB_14equal_to_valueIiEEEEEEE10hipError_tPvRmT3_T4_T5_T6_T7_T9_mT8_P12ihipStream_tbDpT10_ENKUlT_T0_E_clISt17integral_constantIbLb0EES17_IbLb1EEEEDaS13_S14_EUlS13_E_NS1_11comp_targetILNS1_3genE2ELNS1_11target_archE906ELNS1_3gpuE6ELNS1_3repE0EEENS1_30default_config_static_selectorELNS0_4arch9wavefront6targetE0EEEvT1_.uses_flat_scratch, 0
	.set _ZN7rocprim17ROCPRIM_400000_NS6detail17trampoline_kernelINS0_14default_configENS1_25partition_config_selectorILNS1_17partition_subalgoE6EiNS0_10empty_typeEbEEZZNS1_14partition_implILS5_6ELb0ES3_mN6thrust23THRUST_200600_302600_NS6detail15normal_iteratorINSA_10device_ptrIiEEEEPS6_SG_NS0_5tupleIJSF_S6_EEENSH_IJSG_SG_EEES6_PlJNSB_9not_fun_tINSB_14equal_to_valueIiEEEEEEE10hipError_tPvRmT3_T4_T5_T6_T7_T9_mT8_P12ihipStream_tbDpT10_ENKUlT_T0_E_clISt17integral_constantIbLb0EES17_IbLb1EEEEDaS13_S14_EUlS13_E_NS1_11comp_targetILNS1_3genE2ELNS1_11target_archE906ELNS1_3gpuE6ELNS1_3repE0EEENS1_30default_config_static_selectorELNS0_4arch9wavefront6targetE0EEEvT1_.has_dyn_sized_stack, 0
	.set _ZN7rocprim17ROCPRIM_400000_NS6detail17trampoline_kernelINS0_14default_configENS1_25partition_config_selectorILNS1_17partition_subalgoE6EiNS0_10empty_typeEbEEZZNS1_14partition_implILS5_6ELb0ES3_mN6thrust23THRUST_200600_302600_NS6detail15normal_iteratorINSA_10device_ptrIiEEEEPS6_SG_NS0_5tupleIJSF_S6_EEENSH_IJSG_SG_EEES6_PlJNSB_9not_fun_tINSB_14equal_to_valueIiEEEEEEE10hipError_tPvRmT3_T4_T5_T6_T7_T9_mT8_P12ihipStream_tbDpT10_ENKUlT_T0_E_clISt17integral_constantIbLb0EES17_IbLb1EEEEDaS13_S14_EUlS13_E_NS1_11comp_targetILNS1_3genE2ELNS1_11target_archE906ELNS1_3gpuE6ELNS1_3repE0EEENS1_30default_config_static_selectorELNS0_4arch9wavefront6targetE0EEEvT1_.has_recursion, 0
	.set _ZN7rocprim17ROCPRIM_400000_NS6detail17trampoline_kernelINS0_14default_configENS1_25partition_config_selectorILNS1_17partition_subalgoE6EiNS0_10empty_typeEbEEZZNS1_14partition_implILS5_6ELb0ES3_mN6thrust23THRUST_200600_302600_NS6detail15normal_iteratorINSA_10device_ptrIiEEEEPS6_SG_NS0_5tupleIJSF_S6_EEENSH_IJSG_SG_EEES6_PlJNSB_9not_fun_tINSB_14equal_to_valueIiEEEEEEE10hipError_tPvRmT3_T4_T5_T6_T7_T9_mT8_P12ihipStream_tbDpT10_ENKUlT_T0_E_clISt17integral_constantIbLb0EES17_IbLb1EEEEDaS13_S14_EUlS13_E_NS1_11comp_targetILNS1_3genE2ELNS1_11target_archE906ELNS1_3gpuE6ELNS1_3repE0EEENS1_30default_config_static_selectorELNS0_4arch9wavefront6targetE0EEEvT1_.has_indirect_call, 0
	.section	.AMDGPU.csdata,"",@progbits
; Kernel info:
; codeLenInByte = 0
; TotalNumSgprs: 0
; NumVgprs: 0
; ScratchSize: 0
; MemoryBound: 0
; FloatMode: 240
; IeeeMode: 1
; LDSByteSize: 0 bytes/workgroup (compile time only)
; SGPRBlocks: 0
; VGPRBlocks: 0
; NumSGPRsForWavesPerEU: 1
; NumVGPRsForWavesPerEU: 1
; Occupancy: 16
; WaveLimiterHint : 0
; COMPUTE_PGM_RSRC2:SCRATCH_EN: 0
; COMPUTE_PGM_RSRC2:USER_SGPR: 2
; COMPUTE_PGM_RSRC2:TRAP_HANDLER: 0
; COMPUTE_PGM_RSRC2:TGID_X_EN: 1
; COMPUTE_PGM_RSRC2:TGID_Y_EN: 0
; COMPUTE_PGM_RSRC2:TGID_Z_EN: 0
; COMPUTE_PGM_RSRC2:TIDIG_COMP_CNT: 0
	.section	.text._ZN7rocprim17ROCPRIM_400000_NS6detail17trampoline_kernelINS0_14default_configENS1_25partition_config_selectorILNS1_17partition_subalgoE6EiNS0_10empty_typeEbEEZZNS1_14partition_implILS5_6ELb0ES3_mN6thrust23THRUST_200600_302600_NS6detail15normal_iteratorINSA_10device_ptrIiEEEEPS6_SG_NS0_5tupleIJSF_S6_EEENSH_IJSG_SG_EEES6_PlJNSB_9not_fun_tINSB_14equal_to_valueIiEEEEEEE10hipError_tPvRmT3_T4_T5_T6_T7_T9_mT8_P12ihipStream_tbDpT10_ENKUlT_T0_E_clISt17integral_constantIbLb0EES17_IbLb1EEEEDaS13_S14_EUlS13_E_NS1_11comp_targetILNS1_3genE10ELNS1_11target_archE1200ELNS1_3gpuE4ELNS1_3repE0EEENS1_30default_config_static_selectorELNS0_4arch9wavefront6targetE0EEEvT1_,"axG",@progbits,_ZN7rocprim17ROCPRIM_400000_NS6detail17trampoline_kernelINS0_14default_configENS1_25partition_config_selectorILNS1_17partition_subalgoE6EiNS0_10empty_typeEbEEZZNS1_14partition_implILS5_6ELb0ES3_mN6thrust23THRUST_200600_302600_NS6detail15normal_iteratorINSA_10device_ptrIiEEEEPS6_SG_NS0_5tupleIJSF_S6_EEENSH_IJSG_SG_EEES6_PlJNSB_9not_fun_tINSB_14equal_to_valueIiEEEEEEE10hipError_tPvRmT3_T4_T5_T6_T7_T9_mT8_P12ihipStream_tbDpT10_ENKUlT_T0_E_clISt17integral_constantIbLb0EES17_IbLb1EEEEDaS13_S14_EUlS13_E_NS1_11comp_targetILNS1_3genE10ELNS1_11target_archE1200ELNS1_3gpuE4ELNS1_3repE0EEENS1_30default_config_static_selectorELNS0_4arch9wavefront6targetE0EEEvT1_,comdat
	.protected	_ZN7rocprim17ROCPRIM_400000_NS6detail17trampoline_kernelINS0_14default_configENS1_25partition_config_selectorILNS1_17partition_subalgoE6EiNS0_10empty_typeEbEEZZNS1_14partition_implILS5_6ELb0ES3_mN6thrust23THRUST_200600_302600_NS6detail15normal_iteratorINSA_10device_ptrIiEEEEPS6_SG_NS0_5tupleIJSF_S6_EEENSH_IJSG_SG_EEES6_PlJNSB_9not_fun_tINSB_14equal_to_valueIiEEEEEEE10hipError_tPvRmT3_T4_T5_T6_T7_T9_mT8_P12ihipStream_tbDpT10_ENKUlT_T0_E_clISt17integral_constantIbLb0EES17_IbLb1EEEEDaS13_S14_EUlS13_E_NS1_11comp_targetILNS1_3genE10ELNS1_11target_archE1200ELNS1_3gpuE4ELNS1_3repE0EEENS1_30default_config_static_selectorELNS0_4arch9wavefront6targetE0EEEvT1_ ; -- Begin function _ZN7rocprim17ROCPRIM_400000_NS6detail17trampoline_kernelINS0_14default_configENS1_25partition_config_selectorILNS1_17partition_subalgoE6EiNS0_10empty_typeEbEEZZNS1_14partition_implILS5_6ELb0ES3_mN6thrust23THRUST_200600_302600_NS6detail15normal_iteratorINSA_10device_ptrIiEEEEPS6_SG_NS0_5tupleIJSF_S6_EEENSH_IJSG_SG_EEES6_PlJNSB_9not_fun_tINSB_14equal_to_valueIiEEEEEEE10hipError_tPvRmT3_T4_T5_T6_T7_T9_mT8_P12ihipStream_tbDpT10_ENKUlT_T0_E_clISt17integral_constantIbLb0EES17_IbLb1EEEEDaS13_S14_EUlS13_E_NS1_11comp_targetILNS1_3genE10ELNS1_11target_archE1200ELNS1_3gpuE4ELNS1_3repE0EEENS1_30default_config_static_selectorELNS0_4arch9wavefront6targetE0EEEvT1_
	.globl	_ZN7rocprim17ROCPRIM_400000_NS6detail17trampoline_kernelINS0_14default_configENS1_25partition_config_selectorILNS1_17partition_subalgoE6EiNS0_10empty_typeEbEEZZNS1_14partition_implILS5_6ELb0ES3_mN6thrust23THRUST_200600_302600_NS6detail15normal_iteratorINSA_10device_ptrIiEEEEPS6_SG_NS0_5tupleIJSF_S6_EEENSH_IJSG_SG_EEES6_PlJNSB_9not_fun_tINSB_14equal_to_valueIiEEEEEEE10hipError_tPvRmT3_T4_T5_T6_T7_T9_mT8_P12ihipStream_tbDpT10_ENKUlT_T0_E_clISt17integral_constantIbLb0EES17_IbLb1EEEEDaS13_S14_EUlS13_E_NS1_11comp_targetILNS1_3genE10ELNS1_11target_archE1200ELNS1_3gpuE4ELNS1_3repE0EEENS1_30default_config_static_selectorELNS0_4arch9wavefront6targetE0EEEvT1_
	.p2align	8
	.type	_ZN7rocprim17ROCPRIM_400000_NS6detail17trampoline_kernelINS0_14default_configENS1_25partition_config_selectorILNS1_17partition_subalgoE6EiNS0_10empty_typeEbEEZZNS1_14partition_implILS5_6ELb0ES3_mN6thrust23THRUST_200600_302600_NS6detail15normal_iteratorINSA_10device_ptrIiEEEEPS6_SG_NS0_5tupleIJSF_S6_EEENSH_IJSG_SG_EEES6_PlJNSB_9not_fun_tINSB_14equal_to_valueIiEEEEEEE10hipError_tPvRmT3_T4_T5_T6_T7_T9_mT8_P12ihipStream_tbDpT10_ENKUlT_T0_E_clISt17integral_constantIbLb0EES17_IbLb1EEEEDaS13_S14_EUlS13_E_NS1_11comp_targetILNS1_3genE10ELNS1_11target_archE1200ELNS1_3gpuE4ELNS1_3repE0EEENS1_30default_config_static_selectorELNS0_4arch9wavefront6targetE0EEEvT1_,@function
_ZN7rocprim17ROCPRIM_400000_NS6detail17trampoline_kernelINS0_14default_configENS1_25partition_config_selectorILNS1_17partition_subalgoE6EiNS0_10empty_typeEbEEZZNS1_14partition_implILS5_6ELb0ES3_mN6thrust23THRUST_200600_302600_NS6detail15normal_iteratorINSA_10device_ptrIiEEEEPS6_SG_NS0_5tupleIJSF_S6_EEENSH_IJSG_SG_EEES6_PlJNSB_9not_fun_tINSB_14equal_to_valueIiEEEEEEE10hipError_tPvRmT3_T4_T5_T6_T7_T9_mT8_P12ihipStream_tbDpT10_ENKUlT_T0_E_clISt17integral_constantIbLb0EES17_IbLb1EEEEDaS13_S14_EUlS13_E_NS1_11comp_targetILNS1_3genE10ELNS1_11target_archE1200ELNS1_3gpuE4ELNS1_3repE0EEENS1_30default_config_static_selectorELNS0_4arch9wavefront6targetE0EEEvT1_: ; @_ZN7rocprim17ROCPRIM_400000_NS6detail17trampoline_kernelINS0_14default_configENS1_25partition_config_selectorILNS1_17partition_subalgoE6EiNS0_10empty_typeEbEEZZNS1_14partition_implILS5_6ELb0ES3_mN6thrust23THRUST_200600_302600_NS6detail15normal_iteratorINSA_10device_ptrIiEEEEPS6_SG_NS0_5tupleIJSF_S6_EEENSH_IJSG_SG_EEES6_PlJNSB_9not_fun_tINSB_14equal_to_valueIiEEEEEEE10hipError_tPvRmT3_T4_T5_T6_T7_T9_mT8_P12ihipStream_tbDpT10_ENKUlT_T0_E_clISt17integral_constantIbLb0EES17_IbLb1EEEEDaS13_S14_EUlS13_E_NS1_11comp_targetILNS1_3genE10ELNS1_11target_archE1200ELNS1_3gpuE4ELNS1_3repE0EEENS1_30default_config_static_selectorELNS0_4arch9wavefront6targetE0EEEvT1_
; %bb.0:
	s_clause 0x3
	s_load_b64 s[12:13], s[0:1], 0x28
	s_load_b128 s[8:11], s[0:1], 0x40
	s_load_b64 s[16:17], s[0:1], 0x50
	s_load_b64 s[14:15], s[0:1], 0x60
	v_cmp_eq_u32_e64 s2, 0, v0
	s_and_saveexec_b32 s3, s2
	s_cbranch_execz .LBB498_4
; %bb.1:
	s_mov_b32 s5, exec_lo
	s_mov_b32 s4, exec_lo
	v_mbcnt_lo_u32_b32 v1, s5, 0
                                        ; implicit-def: $vgpr2
	s_delay_alu instid0(VALU_DEP_1)
	v_cmpx_eq_u32_e32 0, v1
	s_cbranch_execz .LBB498_3
; %bb.2:
	s_load_b64 s[6:7], s[0:1], 0x70
	s_bcnt1_i32_b32 s5, s5
	s_wait_alu 0xfffe
	v_dual_mov_b32 v2, 0 :: v_dual_mov_b32 v3, s5
	s_wait_kmcnt 0x0
	global_atomic_add_u32 v2, v2, v3, s[6:7] th:TH_ATOMIC_RETURN scope:SCOPE_DEV
.LBB498_3:
	s_or_b32 exec_lo, exec_lo, s4
	s_wait_loadcnt 0x0
	v_readfirstlane_b32 s4, v2
	s_wait_alu 0xf1ff
	s_delay_alu instid0(VALU_DEP_1)
	v_dual_mov_b32 v2, 0 :: v_dual_add_nc_u32 v1, s4, v1
	ds_store_b32 v2, v1
.LBB498_4:
	s_or_b32 exec_lo, exec_lo, s3
	v_mov_b32_e32 v2, 0
	s_clause 0x2
	s_load_b128 s[4:7], s[0:1], 0x8
	s_load_b32 s3, s[0:1], 0x68
	s_load_b32 s19, s[0:1], 0x78
	s_wait_dscnt 0x0
	s_barrier_signal -1
	s_barrier_wait -1
	global_inv scope:SCOPE_SE
	ds_load_b32 v1, v2
	s_wait_loadcnt_dscnt 0x0
	s_barrier_signal -1
	s_barrier_wait -1
	global_inv scope:SCOPE_SE
	s_wait_kmcnt 0x0
	global_load_b64 v[9:10], v2, s[10:11]
	s_mov_b32 s1, 0
	v_lshlrev_b32_e32 v8, 2, v0
	s_lshl_b64 s[10:11], s[6:7], 2
	s_mul_i32 s0, s3, 0xa80
	s_add_co_i32 s20, s3, -1
	s_add_co_i32 s3, s0, s6
	s_add_nc_u64 s[6:7], s[6:7], s[0:1]
	s_sub_co_i32 s0, s16, s3
	v_cmp_le_u64_e64 s1, s[16:17], s[6:7]
	v_readfirstlane_b32 s18, v1
	v_mul_lo_u32 v1, 0xa80, v1
	s_add_nc_u64 s[4:5], s[4:5], s[10:11]
	s_cmp_eq_u32 s18, s20
	s_cselect_b32 s7, -1, 0
	s_delay_alu instid0(VALU_DEP_1) | instskip(SKIP_2) | instid1(SALU_CYCLE_1)
	v_lshlrev_b64_e32 v[1:2], 2, v[1:2]
	s_wait_alu 0xfffe
	s_and_b32 s1, s1, s7
	s_xor_b32 s10, s1, -1
	s_mov_b32 s1, -1
	s_delay_alu instid0(VALU_DEP_1) | instskip(NEXT) | instid1(VALU_DEP_1)
	v_add_co_u32 v11, vcc_lo, s4, v1
	v_add_co_ci_u32_e64 v12, null, s5, v2, vcc_lo
	s_and_b32 vcc_lo, exec_lo, s10
	s_wait_alu 0xfffe
	s_cbranch_vccz .LBB498_6
; %bb.5:
	v_add_co_u32 v1, vcc_lo, v11, v8
	s_wait_alu 0xfffd
	v_add_co_ci_u32_e64 v2, null, 0, v12, vcc_lo
	s_mov_b32 s1, 0
	s_clause 0x6
	flat_load_b32 v3, v[1:2]
	flat_load_b32 v4, v[1:2] offset:1536
	flat_load_b32 v5, v[1:2] offset:3072
	;; [unrolled: 1-line block ×6, first 2 shown]
	s_wait_loadcnt_dscnt 0x505
	ds_store_2addr_stride64_b32 v8, v3, v4 offset1:6
	s_wait_loadcnt_dscnt 0x304
	ds_store_2addr_stride64_b32 v8, v5, v6 offset0:12 offset1:18
	s_wait_loadcnt_dscnt 0x103
	ds_store_2addr_stride64_b32 v8, v7, v13 offset0:24 offset1:30
	s_wait_loadcnt_dscnt 0x3
	ds_store_b32 v8, v1 offset:9216
	s_wait_dscnt 0x0
	s_barrier_signal -1
	s_barrier_wait -1
.LBB498_6:
	s_and_not1_b32 vcc_lo, exec_lo, s1
	s_add_co_i32 s16, s0, 0xa80
	s_wait_alu 0xfffe
	s_cbranch_vccnz .LBB498_22
; %bb.7:
	v_mov_b32_e32 v1, 0
	s_mov_b32 s0, exec_lo
	s_delay_alu instid0(VALU_DEP_1)
	v_dual_mov_b32 v2, v1 :: v_dual_mov_b32 v3, v1
	v_dual_mov_b32 v4, v1 :: v_dual_mov_b32 v5, v1
	v_dual_mov_b32 v6, v1 :: v_dual_mov_b32 v7, v1
	v_cmpx_gt_u32_e64 s16, v0
	s_cbranch_execz .LBB498_9
; %bb.8:
	v_add_co_u32 v2, vcc_lo, v11, v8
	s_wait_alu 0xfffd
	v_add_co_ci_u32_e64 v3, null, 0, v12, vcc_lo
	v_dual_mov_b32 v14, v1 :: v_dual_mov_b32 v15, v1
	v_dual_mov_b32 v16, v1 :: v_dual_mov_b32 v17, v1
	flat_load_b32 v13, v[2:3]
	v_dual_mov_b32 v18, v1 :: v_dual_mov_b32 v19, v1
	s_wait_loadcnt_dscnt 0x0
	v_dual_mov_b32 v1, v13 :: v_dual_mov_b32 v2, v14
	v_dual_mov_b32 v3, v15 :: v_dual_mov_b32 v4, v16
	s_delay_alu instid0(VALU_DEP_3)
	v_dual_mov_b32 v5, v17 :: v_dual_mov_b32 v6, v18
	v_mov_b32_e32 v7, v19
.LBB498_9:
	s_or_b32 exec_lo, exec_lo, s0
	v_add_nc_u32_e32 v13, 0x180, v0
	s_mov_b32 s0, exec_lo
	s_delay_alu instid0(VALU_DEP_1)
	v_cmpx_gt_u32_e64 s16, v13
	s_cbranch_execz .LBB498_11
; %bb.10:
	v_add_co_u32 v13, vcc_lo, v11, v8
	s_wait_alu 0xfffd
	v_add_co_ci_u32_e64 v14, null, 0, v12, vcc_lo
	flat_load_b32 v2, v[13:14] offset:1536
.LBB498_11:
	s_or_b32 exec_lo, exec_lo, s0
	v_add_nc_u32_e32 v13, 0x300, v0
	s_mov_b32 s0, exec_lo
	s_delay_alu instid0(VALU_DEP_1)
	v_cmpx_gt_u32_e64 s16, v13
	s_cbranch_execz .LBB498_13
; %bb.12:
	v_add_co_u32 v13, vcc_lo, v11, v8
	s_wait_alu 0xfffd
	v_add_co_ci_u32_e64 v14, null, 0, v12, vcc_lo
	flat_load_b32 v3, v[13:14] offset:3072
.LBB498_13:
	;; [unrolled: 12-line block ×3, first 2 shown]
	s_or_b32 exec_lo, exec_lo, s0
	v_or_b32_e32 v13, 0x600, v0
	s_mov_b32 s0, exec_lo
	s_delay_alu instid0(VALU_DEP_1)
	v_cmpx_gt_u32_e64 s16, v13
	s_cbranch_execz .LBB498_17
; %bb.16:
	v_add_co_u32 v13, vcc_lo, v11, v8
	s_wait_alu 0xfffd
	v_add_co_ci_u32_e64 v14, null, 0, v12, vcc_lo
	flat_load_b32 v5, v[13:14] offset:6144
.LBB498_17:
	s_or_b32 exec_lo, exec_lo, s0
	v_add_nc_u32_e32 v13, 0x780, v0
	s_mov_b32 s0, exec_lo
	s_delay_alu instid0(VALU_DEP_1)
	v_cmpx_gt_u32_e64 s16, v13
	s_cbranch_execz .LBB498_19
; %bb.18:
	v_add_co_u32 v13, vcc_lo, v11, v8
	s_wait_alu 0xfffd
	v_add_co_ci_u32_e64 v14, null, 0, v12, vcc_lo
	flat_load_b32 v6, v[13:14] offset:7680
.LBB498_19:
	s_or_b32 exec_lo, exec_lo, s0
	v_add_nc_u32_e32 v13, 0x900, v0
	s_mov_b32 s0, exec_lo
	s_delay_alu instid0(VALU_DEP_1)
	v_cmpx_gt_u32_e64 s16, v13
	s_cbranch_execz .LBB498_21
; %bb.20:
	v_add_co_u32 v11, vcc_lo, v11, v8
	s_wait_alu 0xfffd
	v_add_co_ci_u32_e64 v12, null, 0, v12, vcc_lo
	flat_load_b32 v7, v[11:12] offset:9216
.LBB498_21:
	s_or_b32 exec_lo, exec_lo, s0
	s_wait_loadcnt_dscnt 0x0
	ds_store_2addr_stride64_b32 v8, v1, v2 offset1:6
	ds_store_2addr_stride64_b32 v8, v3, v4 offset0:12 offset1:18
	ds_store_2addr_stride64_b32 v8, v5, v6 offset0:24 offset1:30
	ds_store_b32 v8, v7 offset:9216
	s_wait_dscnt 0x0
	s_barrier_signal -1
	s_barrier_wait -1
.LBB498_22:
	v_mul_u32_u24_e32 v1, 7, v0
	s_wait_loadcnt 0x0
	global_inv scope:SCOPE_SE
	s_and_not1_b32 vcc_lo, exec_lo, s10
	v_lshlrev_b32_e32 v32, 2, v1
	ds_load_2addr_b32 v[11:12], v32 offset0:4 offset1:5
	ds_load_b32 v33, v32 offset:24
	ds_load_2addr_b32 v[15:16], v32 offset1:1
	ds_load_2addr_b32 v[13:14], v32 offset0:2 offset1:3
	s_wait_loadcnt_dscnt 0x0
	s_barrier_signal -1
	s_barrier_wait -1
	global_inv scope:SCOPE_SE
	v_cmp_ne_u32_e64 s0, s19, v11
	v_cmp_ne_u32_e64 s11, s19, v33
	;; [unrolled: 1-line block ×7, first 2 shown]
	s_wait_alu 0xfffe
	s_cbranch_vccnz .LBB498_24
; %bb.23:
	s_wait_alu 0xf1ff
	v_cndmask_b32_e64 v2, 0, 1, s5
	v_cndmask_b32_e64 v3, 0, 1, s6
	;; [unrolled: 1-line block ×5, first 2 shown]
	v_lshlrev_b16 v2, 8, v2
	v_lshlrev_b16 v3, 8, v3
	v_cndmask_b32_e64 v34, 0, 1, s1
	s_delay_alu instid0(VALU_DEP_3) | instskip(NEXT) | instid1(VALU_DEP_3)
	v_or_b32_e32 v2, v4, v2
	v_or_b32_e32 v3, v5, v3
	s_delay_alu instid0(VALU_DEP_2) | instskip(NEXT) | instid1(VALU_DEP_2)
	v_and_b32_e32 v2, 0xffff, v2
	v_lshlrev_b32_e32 v3, 16, v3
	s_delay_alu instid0(VALU_DEP_1)
	v_or_b32_e32 v31, v2, v3
	s_cbranch_execz .LBB498_25
	s_branch .LBB498_26
.LBB498_24:
                                        ; implicit-def: $sgpr11
                                        ; implicit-def: $vgpr34
                                        ; implicit-def: $vgpr35
                                        ; implicit-def: $vgpr31
.LBB498_25:
	v_add_nc_u32_e32 v2, 1, v1
	v_cmp_ne_u32_e32 vcc_lo, s19, v16
	v_add_nc_u32_e32 v3, 3, v1
	v_cmp_ne_u32_e64 s0, s19, v15
	v_cmp_ne_u32_e64 s3, s19, v14
	v_cmp_gt_u32_e64 s1, s16, v2
	v_add_nc_u32_e32 v2, 2, v1
	v_cmp_gt_u32_e64 s5, s16, v3
	v_cmp_ne_u32_e64 s4, s19, v13
	v_add_nc_u32_e32 v5, 5, v1
	s_and_b32 s1, s1, vcc_lo
	v_cmp_gt_u32_e32 vcc_lo, s16, v1
	s_wait_alu 0xfffe
	v_cndmask_b32_e64 v3, 0, 1, s1
	v_cmp_gt_u32_e64 s1, s16, v2
	s_and_b32 s3, s5, s3
	s_and_b32 s0, vcc_lo, s0
	v_lshlrev_b16 v3, 8, v3
	s_wait_alu 0xfffe
	v_cndmask_b32_e64 v4, 0, 1, s0
	v_cndmask_b32_e64 v2, 0, 1, s3
	s_and_b32 s0, s1, s4
	v_cmp_ne_u32_e32 vcc_lo, s19, v12
	s_wait_alu 0xfffe
	v_cndmask_b32_e64 v6, 0, 1, s0
	v_cmp_gt_u32_e64 s0, s16, v5
	v_or_b32_e32 v3, v4, v3
	v_add_nc_u32_e32 v4, 4, v1
	v_lshlrev_b16 v2, 8, v2
	v_cmp_ne_u32_e64 s1, s19, v11
	s_and_b32 s0, s0, vcc_lo
	v_add_nc_u32_e32 v1, 6, v1
	v_cmp_gt_u32_e32 vcc_lo, s16, v4
	v_or_b32_e32 v2, v6, v2
	s_wait_alu 0xfffe
	v_cndmask_b32_e64 v34, 0, 1, s0
	v_and_b32_e32 v3, 0xffff, v3
	s_and_b32 s0, vcc_lo, s1
	v_cmp_gt_u32_e32 vcc_lo, s16, v1
	s_wait_alu 0xfffe
	v_cndmask_b32_e64 v5, 0, 1, s0
	v_cmp_ne_u32_e64 s0, s19, v33
	v_lshlrev_b32_e32 v2, 16, v2
	v_lshlrev_b16 v4, 8, v34
	s_and_not1_b32 s1, s11, exec_lo
	s_and_b32 s0, vcc_lo, s0
	s_delay_alu instid0(VALU_DEP_2) | instskip(NEXT) | instid1(VALU_DEP_2)
	v_or_b32_e32 v31, v3, v2
	v_or_b32_e32 v35, v5, v4
	s_wait_alu 0xfffe
	s_and_b32 s0, s0, exec_lo
	s_wait_alu 0xfffe
	s_or_b32 s11, s1, s0
.LBB498_26:
	s_delay_alu instid0(VALU_DEP_1)
	v_dual_mov_b32 v2, 0 :: v_dual_and_b32 v39, 0xff, v31
	v_bfe_u32 v38, v31, 8, 8
	v_cndmask_b32_e64 v1, 0, 1, s11
	v_bfe_u32 v41, v31, 16, 8
	v_lshrrev_b32_e32 v36, 24, v31
	v_and_b32_e32 v40, 0xff, v35
	v_mbcnt_lo_u32_b32 v42, -1, 0
	v_add3_u32 v1, v39, v1, v38
	v_and_b32_e32 v37, 0xff, v34
	s_cmp_lg_u32 s18, 0
	s_mov_b32 s1, -1
	v_and_b32_e32 v43, 15, v42
	v_add_co_u32 v1, s0, v1, v41
	s_wait_alu 0xf1ff
	v_add_co_ci_u32_e64 v3, null, 0, 0, s0
	s_delay_alu instid0(VALU_DEP_3) | instskip(NEXT) | instid1(VALU_DEP_3)
	v_cmp_ne_u32_e64 s0, 0, v43
	v_add_co_u32 v1, vcc_lo, v1, v36
	s_wait_alu 0xfffd
	s_delay_alu instid0(VALU_DEP_3) | instskip(NEXT) | instid1(VALU_DEP_2)
	v_add_co_ci_u32_e64 v3, null, 0, v3, vcc_lo
	v_add_co_u32 v1, vcc_lo, v1, v40
	s_wait_alu 0xfffd
	s_delay_alu instid0(VALU_DEP_2) | instskip(NEXT) | instid1(VALU_DEP_2)
	v_add_co_ci_u32_e64 v3, null, 0, v3, vcc_lo
	v_add_co_u32 v17, vcc_lo, v1, v37
	s_wait_alu 0xfffd
	s_delay_alu instid0(VALU_DEP_2)
	v_add_co_ci_u32_e64 v18, null, 0, v3, vcc_lo
	s_cbranch_scc0 .LBB498_85
; %bb.27:
	v_mov_b32_e32 v3, v17
	v_mov_b32_dpp v1, v17 row_shr:1 row_mask:0xf bank_mask:0xf
	v_mov_b32_dpp v6, v2 row_shr:1 row_mask:0xf bank_mask:0xf
	v_dual_mov_b32 v5, v17 :: v_dual_mov_b32 v4, v18
	s_and_saveexec_b32 s1, s0
; %bb.28:
	s_delay_alu instid0(VALU_DEP_3) | instskip(SKIP_2) | instid1(VALU_DEP_2)
	v_add_co_u32 v5, vcc_lo, v17, v1
	s_wait_alu 0xfffd
	v_add_co_ci_u32_e64 v2, null, 0, v18, vcc_lo
	v_add_co_u32 v1, vcc_lo, 0, v5
	s_wait_alu 0xfffd
	s_delay_alu instid0(VALU_DEP_2) | instskip(NEXT) | instid1(VALU_DEP_1)
	v_add_co_ci_u32_e64 v2, null, v6, v2, vcc_lo
	v_dual_mov_b32 v4, v2 :: v_dual_mov_b32 v3, v1
; %bb.29:
	s_wait_alu 0xfffe
	s_or_b32 exec_lo, exec_lo, s1
	v_mov_b32_dpp v1, v5 row_shr:2 row_mask:0xf bank_mask:0xf
	v_mov_b32_dpp v6, v2 row_shr:2 row_mask:0xf bank_mask:0xf
	v_cmp_lt_u32_e32 vcc_lo, 1, v43
	s_and_saveexec_b32 s3, vcc_lo
; %bb.30:
	s_delay_alu instid0(VALU_DEP_3) | instskip(SKIP_2) | instid1(VALU_DEP_2)
	v_add_co_u32 v5, s1, v3, v1
	s_wait_alu 0xf1ff
	v_add_co_ci_u32_e64 v2, null, 0, v4, s1
	v_add_co_u32 v1, s1, 0, v5
	s_wait_alu 0xf1ff
	s_delay_alu instid0(VALU_DEP_2) | instskip(NEXT) | instid1(VALU_DEP_1)
	v_add_co_ci_u32_e64 v2, null, v6, v2, s1
	v_dual_mov_b32 v4, v2 :: v_dual_mov_b32 v3, v1
; %bb.31:
	s_wait_alu 0xfffe
	s_or_b32 exec_lo, exec_lo, s3
	v_mov_b32_dpp v1, v5 row_shr:4 row_mask:0xf bank_mask:0xf
	v_mov_b32_dpp v6, v2 row_shr:4 row_mask:0xf bank_mask:0xf
	v_cmp_lt_u32_e64 s1, 3, v43
	s_and_saveexec_b32 s4, s1
; %bb.32:
	v_add_co_u32 v5, s3, v3, v1
	s_wait_alu 0xf1ff
	v_add_co_ci_u32_e64 v2, null, 0, v4, s3
	s_delay_alu instid0(VALU_DEP_2) | instskip(SKIP_1) | instid1(VALU_DEP_2)
	v_add_co_u32 v1, s3, 0, v5
	s_wait_alu 0xf1ff
	v_add_co_ci_u32_e64 v2, null, v6, v2, s3
	s_delay_alu instid0(VALU_DEP_1)
	v_dual_mov_b32 v4, v2 :: v_dual_mov_b32 v3, v1
; %bb.33:
	s_wait_alu 0xfffe
	s_or_b32 exec_lo, exec_lo, s4
	v_mov_b32_dpp v6, v5 row_shr:8 row_mask:0xf bank_mask:0xf
	v_mov_b32_dpp v1, v2 row_shr:8 row_mask:0xf bank_mask:0xf
	v_cmp_lt_u32_e64 s3, 7, v43
	s_and_saveexec_b32 s5, s3
; %bb.34:
	v_add_co_u32 v5, s4, v3, v6
	s_wait_alu 0xf1ff
	v_add_co_ci_u32_e64 v2, null, 0, v4, s4
	s_delay_alu instid0(VALU_DEP_2) | instskip(SKIP_1) | instid1(VALU_DEP_2)
	v_add_co_u32 v3, s4, 0, v5
	s_wait_alu 0xf1ff
	v_add_co_ci_u32_e64 v4, null, v1, v2, s4
	s_delay_alu instid0(VALU_DEP_1)
	v_mov_b32_e32 v2, v4
; %bb.35:
	s_wait_alu 0xfffe
	s_or_b32 exec_lo, exec_lo, s5
	ds_swizzle_b32 v1, v5 offset:swizzle(BROADCAST,32,15)
	ds_swizzle_b32 v6, v2 offset:swizzle(BROADCAST,32,15)
	v_and_b32_e32 v7, 16, v42
	s_mov_b32 s5, exec_lo
	s_delay_alu instid0(VALU_DEP_1)
	v_cmpx_ne_u32_e32 0, v7
	s_cbranch_execz .LBB498_37
; %bb.36:
	s_wait_dscnt 0x1
	v_add_co_u32 v5, s4, v3, v1
	s_wait_alu 0xf1ff
	v_add_co_ci_u32_e64 v2, null, 0, v4, s4
	s_delay_alu instid0(VALU_DEP_2) | instskip(SKIP_2) | instid1(VALU_DEP_2)
	v_add_co_u32 v1, s4, 0, v5
	s_wait_dscnt 0x0
	s_wait_alu 0xf1ff
	v_add_co_ci_u32_e64 v2, null, v6, v2, s4
	s_delay_alu instid0(VALU_DEP_1)
	v_dual_mov_b32 v4, v2 :: v_dual_mov_b32 v3, v1
.LBB498_37:
	s_wait_alu 0xfffe
	s_or_b32 exec_lo, exec_lo, s5
	s_wait_dscnt 0x1
	v_and_b32_e32 v1, 0x1e0, v0
	s_mov_b32 s5, exec_lo
	s_delay_alu instid0(VALU_DEP_1) | instskip(SKIP_1) | instid1(VALU_DEP_1)
	v_min_u32_e32 v1, 0x160, v1
	s_wait_dscnt 0x0
	v_or_b32_e32 v6, 31, v1
	v_lshrrev_b32_e32 v1, 5, v0
	s_delay_alu instid0(VALU_DEP_2)
	v_cmpx_eq_u32_e64 v0, v6
; %bb.38:
	s_delay_alu instid0(VALU_DEP_2)
	v_lshlrev_b32_e32 v6, 3, v1
	ds_store_b64 v6, v[3:4]
; %bb.39:
	s_wait_alu 0xfffe
	s_or_b32 exec_lo, exec_lo, s5
	s_delay_alu instid0(SALU_CYCLE_1)
	s_mov_b32 s5, exec_lo
	s_wait_loadcnt_dscnt 0x0
	s_barrier_signal -1
	s_barrier_wait -1
	global_inv scope:SCOPE_SE
	v_cmpx_gt_u32_e32 12, v0
	s_cbranch_execz .LBB498_49
; %bb.40:
	v_lshlrev_b32_e32 v6, 3, v0
	ds_load_b64 v[3:4], v6
	s_wait_dscnt 0x0
	v_mov_b32_dpp v19, v3 row_shr:1 row_mask:0xf bank_mask:0xf
	v_mov_b32_dpp v8, v4 row_shr:1 row_mask:0xf bank_mask:0xf
	v_mov_b32_e32 v7, v3
	s_and_saveexec_b32 s6, s0
; %bb.41:
	s_delay_alu instid0(VALU_DEP_3) | instskip(SKIP_2) | instid1(VALU_DEP_2)
	v_add_co_u32 v7, s4, v3, v19
	s_wait_alu 0xf1ff
	v_add_co_ci_u32_e64 v4, null, 0, v4, s4
	v_add_co_u32 v3, s4, 0, v7
	s_wait_alu 0xf1ff
	s_delay_alu instid0(VALU_DEP_2)
	v_add_co_ci_u32_e64 v4, null, v8, v4, s4
; %bb.42:
	s_wait_alu 0xfffe
	s_or_b32 exec_lo, exec_lo, s6
	v_mov_b32_dpp v19, v7 row_shr:2 row_mask:0xf bank_mask:0xf
	s_delay_alu instid0(VALU_DEP_2)
	v_mov_b32_dpp v8, v4 row_shr:2 row_mask:0xf bank_mask:0xf
	s_and_saveexec_b32 s4, vcc_lo
; %bb.43:
	s_delay_alu instid0(VALU_DEP_2) | instskip(SKIP_2) | instid1(VALU_DEP_2)
	v_add_co_u32 v7, vcc_lo, v3, v19
	s_wait_alu 0xfffd
	v_add_co_ci_u32_e64 v4, null, 0, v4, vcc_lo
	v_add_co_u32 v3, vcc_lo, 0, v7
	s_wait_alu 0xfffd
	s_delay_alu instid0(VALU_DEP_2)
	v_add_co_ci_u32_e64 v4, null, v8, v4, vcc_lo
; %bb.44:
	s_wait_alu 0xfffe
	s_or_b32 exec_lo, exec_lo, s4
	v_mov_b32_dpp v19, v7 row_shr:4 row_mask:0xf bank_mask:0xf
	s_delay_alu instid0(VALU_DEP_2)
	v_mov_b32_dpp v8, v4 row_shr:4 row_mask:0xf bank_mask:0xf
	s_and_saveexec_b32 s4, s1
; %bb.45:
	s_delay_alu instid0(VALU_DEP_2) | instskip(SKIP_2) | instid1(VALU_DEP_2)
	v_add_co_u32 v7, vcc_lo, v3, v19
	s_wait_alu 0xfffd
	v_add_co_ci_u32_e64 v4, null, 0, v4, vcc_lo
	v_add_co_u32 v3, vcc_lo, 0, v7
	s_wait_alu 0xfffd
	s_delay_alu instid0(VALU_DEP_2)
	v_add_co_ci_u32_e64 v4, null, v8, v4, vcc_lo
; %bb.46:
	s_wait_alu 0xfffe
	s_or_b32 exec_lo, exec_lo, s4
	v_mov_b32_dpp v8, v7 row_shr:8 row_mask:0xf bank_mask:0xf
	s_delay_alu instid0(VALU_DEP_2)
	v_mov_b32_dpp v7, v4 row_shr:8 row_mask:0xf bank_mask:0xf
	s_and_saveexec_b32 s1, s3
; %bb.47:
	s_delay_alu instid0(VALU_DEP_2) | instskip(SKIP_2) | instid1(VALU_DEP_2)
	v_add_co_u32 v3, vcc_lo, v3, v8
	s_wait_alu 0xfffd
	v_add_co_ci_u32_e64 v4, null, 0, v4, vcc_lo
	v_add_co_u32 v3, vcc_lo, v3, 0
	s_wait_alu 0xfffd
	s_delay_alu instid0(VALU_DEP_2)
	v_add_co_ci_u32_e64 v4, null, v4, v7, vcc_lo
; %bb.48:
	s_wait_alu 0xfffe
	s_or_b32 exec_lo, exec_lo, s1
	ds_store_b64 v6, v[3:4]
.LBB498_49:
	s_wait_alu 0xfffe
	s_or_b32 exec_lo, exec_lo, s5
	s_delay_alu instid0(SALU_CYCLE_1)
	s_mov_b32 s3, exec_lo
	v_cmp_gt_u32_e32 vcc_lo, 32, v0
	s_wait_loadcnt_dscnt 0x0
	s_barrier_signal -1
	s_barrier_wait -1
	global_inv scope:SCOPE_SE
                                        ; implicit-def: $vgpr19_vgpr20
	v_cmpx_lt_u32_e32 31, v0
	s_cbranch_execz .LBB498_51
; %bb.50:
	v_lshl_add_u32 v1, v1, 3, -8
	ds_load_b64 v[19:20], v1
	s_wait_dscnt 0x0
	v_add_co_u32 v5, s1, v5, v19
	s_wait_alu 0xf1ff
	v_add_co_ci_u32_e64 v2, null, v2, v20, s1
.LBB498_51:
	s_wait_alu 0xfffe
	s_or_b32 exec_lo, exec_lo, s3
	v_sub_co_u32 v1, s1, v42, 1
	s_delay_alu instid0(VALU_DEP_1) | instskip(SKIP_1) | instid1(VALU_DEP_1)
	v_cmp_gt_i32_e64 s3, 0, v1
	s_wait_alu 0xf1ff
	v_cndmask_b32_e64 v1, v1, v42, s3
	s_delay_alu instid0(VALU_DEP_1)
	v_lshlrev_b32_e32 v1, 2, v1
	ds_bpermute_b32 v25, v1, v5
	ds_bpermute_b32 v26, v1, v2
	s_and_saveexec_b32 s3, vcc_lo
	s_cbranch_execz .LBB498_90
; %bb.52:
	v_mov_b32_e32 v4, 0
	ds_load_b64 v[1:2], v4 offset:88
	s_and_saveexec_b32 s4, s1
	s_cbranch_execz .LBB498_54
; %bb.53:
	s_add_co_i32 s16, s18, 32
	s_mov_b32 s17, 0
	s_wait_alu 0xfffe
	s_lshl_b64 s[16:17], s[16:17], 4
	s_wait_alu 0xfffe
	s_add_nc_u64 s[16:17], s[14:15], s[16:17]
	v_mov_b32_e32 v3, 1
	s_wait_alu 0xfffe
	v_dual_mov_b32 v5, s16 :: v_dual_mov_b32 v6, s17
	s_wait_dscnt 0x0
	;;#ASMSTART
	global_store_b128 v[5:6], v[1:4] off scope:SCOPE_DEV	
s_wait_storecnt 0x0
	;;#ASMEND
.LBB498_54:
	s_wait_alu 0xfffe
	s_or_b32 exec_lo, exec_lo, s4
	v_xad_u32 v21, v42, -1, s18
	s_mov_b32 s5, 0
	s_mov_b32 s4, exec_lo
	s_delay_alu instid0(VALU_DEP_1) | instskip(NEXT) | instid1(VALU_DEP_1)
	v_add_nc_u32_e32 v3, 32, v21
	v_lshlrev_b64_e32 v[3:4], 4, v[3:4]
	s_delay_alu instid0(VALU_DEP_1) | instskip(SKIP_1) | instid1(VALU_DEP_2)
	v_add_co_u32 v3, vcc_lo, s14, v3
	s_wait_alu 0xfffd
	v_add_co_ci_u32_e64 v4, null, s15, v4, vcc_lo
	;;#ASMSTART
	global_load_b128 v[5:8], v[3:4] off scope:SCOPE_DEV	
s_wait_loadcnt 0x0
	;;#ASMEND
	v_and_b32_e32 v8, 0xff, v7
	s_delay_alu instid0(VALU_DEP_1)
	v_cmpx_eq_u16_e32 0, v8
	s_cbranch_execz .LBB498_57
.LBB498_55:                             ; =>This Inner Loop Header: Depth=1
	;;#ASMSTART
	global_load_b128 v[5:8], v[3:4] off scope:SCOPE_DEV	
s_wait_loadcnt 0x0
	;;#ASMEND
	v_and_b32_e32 v8, 0xff, v7
	s_delay_alu instid0(VALU_DEP_1)
	v_cmp_ne_u16_e32 vcc_lo, 0, v8
	s_wait_alu 0xfffe
	s_or_b32 s5, vcc_lo, s5
	s_wait_alu 0xfffe
	s_and_not1_b32 exec_lo, exec_lo, s5
	s_cbranch_execnz .LBB498_55
; %bb.56:
	s_or_b32 exec_lo, exec_lo, s5
.LBB498_57:
	s_wait_alu 0xfffe
	s_or_b32 exec_lo, exec_lo, s4
	v_cmp_ne_u32_e32 vcc_lo, 31, v42
	v_and_b32_e32 v4, 0xff, v7
	v_lshlrev_b32_e64 v28, v42, -1
	s_mov_b32 s4, exec_lo
	s_wait_alu 0xfffd
	v_add_co_ci_u32_e64 v3, null, 0, v42, vcc_lo
	v_cmp_eq_u16_e32 vcc_lo, 2, v4
	s_delay_alu instid0(VALU_DEP_2)
	v_dual_mov_b32 v4, v5 :: v_dual_lshlrev_b32 v27, 2, v3
	s_wait_alu 0xfffd
	v_and_or_b32 v3, vcc_lo, v28, 0x80000000
	ds_bpermute_b32 v22, v27, v5
	ds_bpermute_b32 v8, v27, v6
	v_ctz_i32_b32_e32 v3, v3
	s_delay_alu instid0(VALU_DEP_1)
	v_cmpx_lt_u32_e64 v42, v3
	s_cbranch_execz .LBB498_59
; %bb.58:
	s_wait_dscnt 0x1
	v_add_co_u32 v4, vcc_lo, v5, v22
	s_wait_alu 0xfffd
	v_add_co_ci_u32_e64 v6, null, 0, v6, vcc_lo
	s_delay_alu instid0(VALU_DEP_2) | instskip(SKIP_2) | instid1(VALU_DEP_2)
	v_add_co_u32 v5, vcc_lo, 0, v4
	s_wait_dscnt 0x0
	s_wait_alu 0xfffd
	v_add_co_ci_u32_e64 v6, null, v8, v6, vcc_lo
.LBB498_59:
	s_wait_alu 0xfffe
	s_or_b32 exec_lo, exec_lo, s4
	v_cmp_gt_u32_e32 vcc_lo, 30, v42
	v_add_nc_u32_e32 v30, 2, v42
	s_mov_b32 s4, exec_lo
	s_wait_dscnt 0x0
	s_wait_alu 0xfffd
	v_cndmask_b32_e64 v8, 0, 2, vcc_lo
	s_delay_alu instid0(VALU_DEP_1)
	v_add_lshl_u32 v29, v8, v42, 2
	ds_bpermute_b32 v22, v29, v4
	ds_bpermute_b32 v8, v29, v6
	v_cmpx_le_u32_e64 v30, v3
	s_cbranch_execz .LBB498_61
; %bb.60:
	s_wait_dscnt 0x1
	v_add_co_u32 v4, vcc_lo, v5, v22
	s_wait_alu 0xfffd
	v_add_co_ci_u32_e64 v6, null, 0, v6, vcc_lo
	s_delay_alu instid0(VALU_DEP_2) | instskip(SKIP_2) | instid1(VALU_DEP_2)
	v_add_co_u32 v5, vcc_lo, 0, v4
	s_wait_dscnt 0x0
	s_wait_alu 0xfffd
	v_add_co_ci_u32_e64 v6, null, v8, v6, vcc_lo
.LBB498_61:
	s_wait_alu 0xfffe
	s_or_b32 exec_lo, exec_lo, s4
	v_cmp_gt_u32_e32 vcc_lo, 28, v42
	v_add_nc_u32_e32 v45, 4, v42
	s_mov_b32 s4, exec_lo
	s_wait_dscnt 0x0
	s_wait_alu 0xfffd
	v_cndmask_b32_e64 v8, 0, 4, vcc_lo
	s_delay_alu instid0(VALU_DEP_1)
	v_add_lshl_u32 v44, v8, v42, 2
	ds_bpermute_b32 v22, v44, v4
	ds_bpermute_b32 v8, v44, v6
	v_cmpx_le_u32_e64 v45, v3
	;; [unrolled: 25-line block ×3, first 2 shown]
	s_cbranch_execz .LBB498_65
; %bb.64:
	s_wait_dscnt 0x1
	v_add_co_u32 v4, vcc_lo, v5, v22
	s_wait_alu 0xfffd
	v_add_co_ci_u32_e64 v6, null, 0, v6, vcc_lo
	s_delay_alu instid0(VALU_DEP_2) | instskip(SKIP_2) | instid1(VALU_DEP_2)
	v_add_co_u32 v5, vcc_lo, 0, v4
	s_wait_dscnt 0x0
	s_wait_alu 0xfffd
	v_add_co_ci_u32_e64 v6, null, v8, v6, vcc_lo
.LBB498_65:
	s_wait_alu 0xfffe
	s_or_b32 exec_lo, exec_lo, s4
	v_lshl_or_b32 v48, v42, 2, 64
	v_add_nc_u32_e32 v49, 16, v42
	s_mov_b32 s4, exec_lo
	s_wait_dscnt 0x0
	ds_bpermute_b32 v8, v48, v4
	ds_bpermute_b32 v4, v48, v6
	v_cmpx_le_u32_e64 v49, v3
	s_cbranch_execz .LBB498_67
; %bb.66:
	s_wait_dscnt 0x1
	v_add_co_u32 v3, vcc_lo, v5, v8
	s_wait_alu 0xfffd
	v_add_co_ci_u32_e64 v6, null, 0, v6, vcc_lo
	s_delay_alu instid0(VALU_DEP_2) | instskip(SKIP_2) | instid1(VALU_DEP_2)
	v_add_co_u32 v5, vcc_lo, v3, 0
	s_wait_dscnt 0x0
	s_wait_alu 0xfffd
	v_add_co_ci_u32_e64 v6, null, v6, v4, vcc_lo
.LBB498_67:
	s_wait_alu 0xfffe
	s_or_b32 exec_lo, exec_lo, s4
	v_mov_b32_e32 v22, 0
	s_branch .LBB498_70
.LBB498_68:                             ;   in Loop: Header=BB498_70 Depth=1
	s_wait_alu 0xfffe
	s_or_b32 exec_lo, exec_lo, s4
	v_add_co_u32 v5, vcc_lo, v5, v3
	v_subrev_nc_u32_e32 v21, 32, v21
	s_wait_alu 0xfffd
	v_add_co_ci_u32_e64 v6, null, v6, v4, vcc_lo
	s_mov_b32 s4, 0
.LBB498_69:                             ;   in Loop: Header=BB498_70 Depth=1
	s_wait_alu 0xfffe
	s_and_b32 vcc_lo, exec_lo, s4
	s_wait_alu 0xfffe
	s_cbranch_vccnz .LBB498_86
.LBB498_70:                             ; =>This Loop Header: Depth=1
                                        ;     Child Loop BB498_73 Depth 2
	v_and_b32_e32 v3, 0xff, v7
	s_mov_b32 s4, -1
	s_delay_alu instid0(VALU_DEP_1)
	v_cmp_ne_u16_e32 vcc_lo, 2, v3
	s_wait_dscnt 0x0
	v_dual_mov_b32 v3, v5 :: v_dual_mov_b32 v4, v6
                                        ; implicit-def: $vgpr5_vgpr6
	s_cmp_lg_u32 vcc_lo, exec_lo
	s_cbranch_scc1 .LBB498_69
; %bb.71:                               ;   in Loop: Header=BB498_70 Depth=1
	v_lshlrev_b64_e32 v[5:6], 4, v[21:22]
	s_mov_b32 s4, exec_lo
	s_delay_alu instid0(VALU_DEP_1) | instskip(SKIP_1) | instid1(VALU_DEP_2)
	v_add_co_u32 v23, vcc_lo, s14, v5
	s_wait_alu 0xfffd
	v_add_co_ci_u32_e64 v24, null, s15, v6, vcc_lo
	;;#ASMSTART
	global_load_b128 v[5:8], v[23:24] off scope:SCOPE_DEV	
s_wait_loadcnt 0x0
	;;#ASMEND
	v_and_b32_e32 v8, 0xff, v7
	s_delay_alu instid0(VALU_DEP_1)
	v_cmpx_eq_u16_e32 0, v8
	s_cbranch_execz .LBB498_75
; %bb.72:                               ;   in Loop: Header=BB498_70 Depth=1
	s_mov_b32 s5, 0
.LBB498_73:                             ;   Parent Loop BB498_70 Depth=1
                                        ; =>  This Inner Loop Header: Depth=2
	;;#ASMSTART
	global_load_b128 v[5:8], v[23:24] off scope:SCOPE_DEV	
s_wait_loadcnt 0x0
	;;#ASMEND
	v_and_b32_e32 v8, 0xff, v7
	s_delay_alu instid0(VALU_DEP_1)
	v_cmp_ne_u16_e32 vcc_lo, 0, v8
	s_wait_alu 0xfffe
	s_or_b32 s5, vcc_lo, s5
	s_wait_alu 0xfffe
	s_and_not1_b32 exec_lo, exec_lo, s5
	s_cbranch_execnz .LBB498_73
; %bb.74:                               ;   in Loop: Header=BB498_70 Depth=1
	s_or_b32 exec_lo, exec_lo, s5
.LBB498_75:                             ;   in Loop: Header=BB498_70 Depth=1
	s_wait_alu 0xfffe
	s_or_b32 exec_lo, exec_lo, s4
	v_dual_mov_b32 v23, v5 :: v_dual_and_b32 v8, 0xff, v7
	ds_bpermute_b32 v50, v27, v5
	ds_bpermute_b32 v24, v27, v6
	s_mov_b32 s4, exec_lo
	v_cmp_eq_u16_e32 vcc_lo, 2, v8
	s_wait_alu 0xfffd
	v_and_or_b32 v8, vcc_lo, v28, 0x80000000
	s_delay_alu instid0(VALU_DEP_1) | instskip(NEXT) | instid1(VALU_DEP_1)
	v_ctz_i32_b32_e32 v8, v8
	v_cmpx_lt_u32_e64 v42, v8
	s_cbranch_execz .LBB498_77
; %bb.76:                               ;   in Loop: Header=BB498_70 Depth=1
	s_wait_dscnt 0x1
	v_add_co_u32 v23, vcc_lo, v5, v50
	s_wait_alu 0xfffd
	v_add_co_ci_u32_e64 v6, null, 0, v6, vcc_lo
	s_delay_alu instid0(VALU_DEP_2) | instskip(SKIP_2) | instid1(VALU_DEP_2)
	v_add_co_u32 v5, vcc_lo, 0, v23
	s_wait_dscnt 0x0
	s_wait_alu 0xfffd
	v_add_co_ci_u32_e64 v6, null, v24, v6, vcc_lo
.LBB498_77:                             ;   in Loop: Header=BB498_70 Depth=1
	s_wait_alu 0xfffe
	s_or_b32 exec_lo, exec_lo, s4
	s_wait_dscnt 0x1
	ds_bpermute_b32 v50, v29, v23
	s_wait_dscnt 0x1
	ds_bpermute_b32 v24, v29, v6
	s_mov_b32 s4, exec_lo
	v_cmpx_le_u32_e64 v30, v8
	s_cbranch_execz .LBB498_79
; %bb.78:                               ;   in Loop: Header=BB498_70 Depth=1
	s_wait_dscnt 0x1
	v_add_co_u32 v23, vcc_lo, v5, v50
	s_wait_alu 0xfffd
	v_add_co_ci_u32_e64 v6, null, 0, v6, vcc_lo
	s_delay_alu instid0(VALU_DEP_2) | instskip(SKIP_2) | instid1(VALU_DEP_2)
	v_add_co_u32 v5, vcc_lo, 0, v23
	s_wait_dscnt 0x0
	s_wait_alu 0xfffd
	v_add_co_ci_u32_e64 v6, null, v24, v6, vcc_lo
.LBB498_79:                             ;   in Loop: Header=BB498_70 Depth=1
	s_wait_alu 0xfffe
	s_or_b32 exec_lo, exec_lo, s4
	s_wait_dscnt 0x1
	ds_bpermute_b32 v50, v44, v23
	s_wait_dscnt 0x1
	ds_bpermute_b32 v24, v44, v6
	s_mov_b32 s4, exec_lo
	v_cmpx_le_u32_e64 v45, v8
	;; [unrolled: 20-line block ×3, first 2 shown]
	s_cbranch_execz .LBB498_83
; %bb.82:                               ;   in Loop: Header=BB498_70 Depth=1
	s_wait_dscnt 0x1
	v_add_co_u32 v23, vcc_lo, v5, v50
	s_wait_alu 0xfffd
	v_add_co_ci_u32_e64 v6, null, 0, v6, vcc_lo
	s_delay_alu instid0(VALU_DEP_2) | instskip(SKIP_2) | instid1(VALU_DEP_2)
	v_add_co_u32 v5, vcc_lo, 0, v23
	s_wait_dscnt 0x0
	s_wait_alu 0xfffd
	v_add_co_ci_u32_e64 v6, null, v24, v6, vcc_lo
.LBB498_83:                             ;   in Loop: Header=BB498_70 Depth=1
	s_wait_alu 0xfffe
	s_or_b32 exec_lo, exec_lo, s4
	s_wait_dscnt 0x0
	ds_bpermute_b32 v24, v48, v23
	ds_bpermute_b32 v23, v48, v6
	s_mov_b32 s4, exec_lo
	v_cmpx_le_u32_e64 v49, v8
	s_cbranch_execz .LBB498_68
; %bb.84:                               ;   in Loop: Header=BB498_70 Depth=1
	s_wait_dscnt 0x1
	v_add_co_u32 v5, vcc_lo, v5, v24
	s_wait_alu 0xfffd
	v_add_co_ci_u32_e64 v6, null, 0, v6, vcc_lo
	s_delay_alu instid0(VALU_DEP_2) | instskip(SKIP_2) | instid1(VALU_DEP_2)
	v_add_co_u32 v5, vcc_lo, v5, 0
	s_wait_dscnt 0x0
	s_wait_alu 0xfffd
	v_add_co_ci_u32_e64 v6, null, v6, v23, vcc_lo
	s_branch .LBB498_68
.LBB498_85:
                                        ; implicit-def: $vgpr19_vgpr20
                                        ; implicit-def: $vgpr6_vgpr7
                                        ; implicit-def: $vgpr21_vgpr22
                                        ; implicit-def: $vgpr23_vgpr24
                                        ; implicit-def: $vgpr25_vgpr26
                                        ; implicit-def: $vgpr27_vgpr28
                                        ; implicit-def: $vgpr29_vgpr30
                                        ; implicit-def: $vgpr4_vgpr5
	s_wait_alu 0xfffe
	s_and_b32 vcc_lo, exec_lo, s1
	s_wait_alu 0xfffe
	s_cbranch_vccnz .LBB498_91
	s_branch .LBB498_118
.LBB498_86:
	s_and_saveexec_b32 s4, s1
	s_cbranch_execz .LBB498_88
; %bb.87:
	s_add_co_i32 s16, s18, 32
	s_mov_b32 s17, 0
	v_add_co_u32 v5, vcc_lo, v3, v1
	s_wait_alu 0xfffe
	s_lshl_b64 s[16:17], s[16:17], 4
	v_dual_mov_b32 v7, 2 :: v_dual_mov_b32 v8, 0
	s_wait_alu 0xfffe
	s_add_nc_u64 s[16:17], s[14:15], s[16:17]
	s_wait_alu 0xfffd
	v_add_co_ci_u32_e64 v6, null, v4, v2, vcc_lo
	s_wait_alu 0xfffe
	v_dual_mov_b32 v22, s17 :: v_dual_mov_b32 v21, s16
	;;#ASMSTART
	global_store_b128 v[21:22], v[5:8] off scope:SCOPE_DEV	
s_wait_storecnt 0x0
	;;#ASMEND
	ds_store_b128 v8, v[1:4] offset:10752
.LBB498_88:
	s_wait_alu 0xfffe
	s_or_b32 exec_lo, exec_lo, s4
	s_delay_alu instid0(SALU_CYCLE_1)
	s_and_b32 exec_lo, exec_lo, s2
; %bb.89:
	v_mov_b32_e32 v1, 0
	ds_store_b64 v1, v[3:4] offset:88
.LBB498_90:
	s_wait_alu 0xfffe
	s_or_b32 exec_lo, exec_lo, s3
	v_mov_b32_e32 v3, 0
	s_wait_loadcnt_dscnt 0x0
	s_barrier_signal -1
	s_barrier_wait -1
	global_inv scope:SCOPE_SE
	ds_load_b64 v[1:2], v3 offset:88
	v_cndmask_b32_e64 v4, v25, v19, s1
	v_cndmask_b32_e64 v5, v26, v20, s1
	s_wait_loadcnt_dscnt 0x0
	s_barrier_signal -1
	s_barrier_wait -1
	v_cndmask_b32_e64 v4, v4, 0, s2
	v_cndmask_b32_e64 v5, v5, 0, s2
	global_inv scope:SCOPE_SE
	v_add_co_u32 v29, vcc_lo, v1, v4
	s_wait_alu 0xfffd
	v_add_co_ci_u32_e64 v30, null, v2, v5, vcc_lo
	ds_load_b128 v[2:5], v3 offset:10752
	v_add_co_u32 v27, vcc_lo, v29, v39
	s_wait_alu 0xfffd
	v_add_co_ci_u32_e64 v28, null, 0, v30, vcc_lo
	s_delay_alu instid0(VALU_DEP_2) | instskip(SKIP_1) | instid1(VALU_DEP_2)
	v_add_co_u32 v25, vcc_lo, v27, v38
	s_wait_alu 0xfffd
	v_add_co_ci_u32_e64 v26, null, 0, v28, vcc_lo
	s_delay_alu instid0(VALU_DEP_2) | instskip(SKIP_1) | instid1(VALU_DEP_2)
	;; [unrolled: 4-line block ×5, first 2 shown]
	v_add_co_u32 v19, vcc_lo, v6, v37
	s_wait_alu 0xfffd
	v_add_co_ci_u32_e64 v20, null, 0, v7, vcc_lo
	s_branch .LBB498_118
.LBB498_91:
	s_wait_dscnt 0x0
	v_dual_mov_b32 v2, 0 :: v_dual_mov_b32 v3, v17
	v_mov_b32_dpp v4, v17 row_shr:1 row_mask:0xf bank_mask:0xf
	s_delay_alu instid0(VALU_DEP_2)
	v_mov_b32_dpp v1, v2 row_shr:1 row_mask:0xf bank_mask:0xf
	s_and_saveexec_b32 s1, s0
; %bb.92:
	s_delay_alu instid0(VALU_DEP_2) | instskip(SKIP_2) | instid1(VALU_DEP_2)
	v_add_co_u32 v3, vcc_lo, v17, v4
	s_wait_alu 0xfffd
	v_add_co_ci_u32_e64 v2, null, 0, v18, vcc_lo
	v_add_co_u32 v17, vcc_lo, 0, v3
	s_wait_alu 0xfffd
	s_delay_alu instid0(VALU_DEP_2) | instskip(NEXT) | instid1(VALU_DEP_1)
	v_add_co_ci_u32_e64 v18, null, v1, v2, vcc_lo
	v_mov_b32_e32 v2, v18
; %bb.93:
	s_wait_alu 0xfffe
	s_or_b32 exec_lo, exec_lo, s1
	v_mov_b32_dpp v1, v3 row_shr:2 row_mask:0xf bank_mask:0xf
	s_delay_alu instid0(VALU_DEP_2)
	v_mov_b32_dpp v4, v2 row_shr:2 row_mask:0xf bank_mask:0xf
	v_cmp_lt_u32_e32 vcc_lo, 1, v43
	s_and_saveexec_b32 s3, vcc_lo
; %bb.94:
	s_delay_alu instid0(VALU_DEP_3) | instskip(SKIP_2) | instid1(VALU_DEP_2)
	v_add_co_u32 v3, s1, v17, v1
	s_wait_alu 0xf1ff
	v_add_co_ci_u32_e64 v2, null, 0, v18, s1
	v_add_co_u32 v1, s1, 0, v3
	s_wait_alu 0xf1ff
	s_delay_alu instid0(VALU_DEP_2) | instskip(NEXT) | instid1(VALU_DEP_1)
	v_add_co_ci_u32_e64 v2, null, v4, v2, s1
	v_dual_mov_b32 v18, v2 :: v_dual_mov_b32 v17, v1
; %bb.95:
	s_wait_alu 0xfffe
	s_or_b32 exec_lo, exec_lo, s3
	v_mov_b32_dpp v1, v3 row_shr:4 row_mask:0xf bank_mask:0xf
	v_mov_b32_dpp v4, v2 row_shr:4 row_mask:0xf bank_mask:0xf
	v_cmp_lt_u32_e64 s1, 3, v43
	s_and_saveexec_b32 s4, s1
; %bb.96:
	v_add_co_u32 v3, s3, v17, v1
	s_wait_alu 0xf1ff
	v_add_co_ci_u32_e64 v2, null, 0, v18, s3
	s_delay_alu instid0(VALU_DEP_2) | instskip(SKIP_1) | instid1(VALU_DEP_2)
	v_add_co_u32 v1, s3, 0, v3
	s_wait_alu 0xf1ff
	v_add_co_ci_u32_e64 v2, null, v4, v2, s3
	s_delay_alu instid0(VALU_DEP_1)
	v_dual_mov_b32 v18, v2 :: v_dual_mov_b32 v17, v1
; %bb.97:
	s_wait_alu 0xfffe
	s_or_b32 exec_lo, exec_lo, s4
	v_mov_b32_dpp v4, v3 row_shr:8 row_mask:0xf bank_mask:0xf
	v_mov_b32_dpp v1, v2 row_shr:8 row_mask:0xf bank_mask:0xf
	v_cmp_lt_u32_e64 s3, 7, v43
	s_and_saveexec_b32 s5, s3
; %bb.98:
	v_add_co_u32 v3, s4, v17, v4
	s_wait_alu 0xf1ff
	v_add_co_ci_u32_e64 v2, null, 0, v18, s4
	s_delay_alu instid0(VALU_DEP_2) | instskip(SKIP_1) | instid1(VALU_DEP_2)
	v_add_co_u32 v17, s4, 0, v3
	s_wait_alu 0xf1ff
	v_add_co_ci_u32_e64 v18, null, v1, v2, s4
	s_delay_alu instid0(VALU_DEP_1)
	v_mov_b32_e32 v2, v18
; %bb.99:
	s_wait_alu 0xfffe
	s_or_b32 exec_lo, exec_lo, s5
	ds_swizzle_b32 v3, v3 offset:swizzle(BROADCAST,32,15)
	ds_swizzle_b32 v1, v2 offset:swizzle(BROADCAST,32,15)
	v_and_b32_e32 v2, 16, v42
	s_mov_b32 s5, exec_lo
	s_delay_alu instid0(VALU_DEP_1)
	v_cmpx_ne_u32_e32 0, v2
	s_cbranch_execz .LBB498_101
; %bb.100:
	s_wait_dscnt 0x1
	v_add_co_u32 v2, s4, v17, v3
	s_wait_alu 0xf1ff
	v_add_co_ci_u32_e64 v3, null, 0, v18, s4
	s_delay_alu instid0(VALU_DEP_2) | instskip(SKIP_2) | instid1(VALU_DEP_2)
	v_add_co_u32 v17, s4, v2, 0
	s_wait_dscnt 0x0
	s_wait_alu 0xf1ff
	v_add_co_ci_u32_e64 v18, null, v3, v1, s4
.LBB498_101:
	s_wait_alu 0xfffe
	s_or_b32 exec_lo, exec_lo, s5
	s_wait_dscnt 0x0
	v_and_b32_e32 v1, 0x1e0, v0
	v_lshrrev_b32_e32 v3, 5, v0
	s_mov_b32 s5, exec_lo
	s_delay_alu instid0(VALU_DEP_2) | instskip(NEXT) | instid1(VALU_DEP_1)
	v_min_u32_e32 v1, 0x160, v1
	v_or_b32_e32 v1, 31, v1
	s_delay_alu instid0(VALU_DEP_1)
	v_cmpx_eq_u32_e64 v0, v1
; %bb.102:
	v_lshlrev_b32_e32 v1, 3, v3
	ds_store_b64 v1, v[17:18]
; %bb.103:
	s_wait_alu 0xfffe
	s_or_b32 exec_lo, exec_lo, s5
	s_delay_alu instid0(SALU_CYCLE_1)
	s_mov_b32 s5, exec_lo
	s_wait_loadcnt_dscnt 0x0
	s_barrier_signal -1
	s_barrier_wait -1
	global_inv scope:SCOPE_SE
	v_cmpx_gt_u32_e32 12, v0
	s_cbranch_execz .LBB498_113
; %bb.104:
	v_mad_i32_i24 v1, 0xffffffec, v0, v32
	ds_load_b64 v[1:2], v1
	s_wait_dscnt 0x0
	v_mov_b32_dpp v6, v1 row_shr:1 row_mask:0xf bank_mask:0xf
	v_mov_b32_dpp v5, v2 row_shr:1 row_mask:0xf bank_mask:0xf
	v_mov_b32_e32 v4, v1
	s_and_saveexec_b32 s4, s0
; %bb.105:
	s_delay_alu instid0(VALU_DEP_3) | instskip(SKIP_2) | instid1(VALU_DEP_2)
	v_add_co_u32 v4, s0, v1, v6
	s_wait_alu 0xf1ff
	v_add_co_ci_u32_e64 v2, null, 0, v2, s0
	v_add_co_u32 v1, s0, 0, v4
	s_wait_alu 0xf1ff
	s_delay_alu instid0(VALU_DEP_2)
	v_add_co_ci_u32_e64 v2, null, v5, v2, s0
; %bb.106:
	s_wait_alu 0xfffe
	s_or_b32 exec_lo, exec_lo, s4
	v_mov_b32_dpp v6, v4 row_shr:2 row_mask:0xf bank_mask:0xf
	s_delay_alu instid0(VALU_DEP_2)
	v_mov_b32_dpp v5, v2 row_shr:2 row_mask:0xf bank_mask:0xf
	s_and_saveexec_b32 s0, vcc_lo
; %bb.107:
	s_delay_alu instid0(VALU_DEP_2) | instskip(SKIP_2) | instid1(VALU_DEP_2)
	v_add_co_u32 v4, vcc_lo, v1, v6
	s_wait_alu 0xfffd
	v_add_co_ci_u32_e64 v2, null, 0, v2, vcc_lo
	v_add_co_u32 v1, vcc_lo, 0, v4
	s_wait_alu 0xfffd
	s_delay_alu instid0(VALU_DEP_2)
	v_add_co_ci_u32_e64 v2, null, v5, v2, vcc_lo
; %bb.108:
	s_wait_alu 0xfffe
	s_or_b32 exec_lo, exec_lo, s0
	v_mov_b32_dpp v6, v4 row_shr:4 row_mask:0xf bank_mask:0xf
	s_delay_alu instid0(VALU_DEP_2)
	v_mov_b32_dpp v5, v2 row_shr:4 row_mask:0xf bank_mask:0xf
	s_and_saveexec_b32 s0, s1
; %bb.109:
	s_delay_alu instid0(VALU_DEP_2) | instskip(SKIP_2) | instid1(VALU_DEP_2)
	v_add_co_u32 v4, vcc_lo, v1, v6
	s_wait_alu 0xfffd
	v_add_co_ci_u32_e64 v2, null, 0, v2, vcc_lo
	v_add_co_u32 v1, vcc_lo, 0, v4
	s_wait_alu 0xfffd
	s_delay_alu instid0(VALU_DEP_2)
	v_add_co_ci_u32_e64 v2, null, v5, v2, vcc_lo
; %bb.110:
	s_wait_alu 0xfffe
	s_or_b32 exec_lo, exec_lo, s0
	v_mul_i32_i24_e32 v5, 0xffffffec, v0
	v_mov_b32_dpp v6, v4 row_shr:8 row_mask:0xf bank_mask:0xf
	v_mov_b32_dpp v4, v2 row_shr:8 row_mask:0xf bank_mask:0xf
	s_and_saveexec_b32 s0, s3
; %bb.111:
	s_delay_alu instid0(VALU_DEP_2) | instskip(SKIP_2) | instid1(VALU_DEP_2)
	v_add_co_u32 v1, vcc_lo, v1, v6
	s_wait_alu 0xfffd
	v_add_co_ci_u32_e64 v2, null, 0, v2, vcc_lo
	v_add_co_u32 v1, vcc_lo, v1, 0
	s_wait_alu 0xfffd
	s_delay_alu instid0(VALU_DEP_2)
	v_add_co_ci_u32_e64 v2, null, v2, v4, vcc_lo
; %bb.112:
	s_wait_alu 0xfffe
	s_or_b32 exec_lo, exec_lo, s0
	v_add_nc_u32_e32 v4, v32, v5
	ds_store_b64 v4, v[1:2]
.LBB498_113:
	s_wait_alu 0xfffe
	s_or_b32 exec_lo, exec_lo, s5
	v_mov_b32_e32 v6, 0
	v_mov_b32_e32 v7, 0
	s_mov_b32 s0, exec_lo
	s_wait_loadcnt_dscnt 0x0
	s_barrier_signal -1
	s_barrier_wait -1
	global_inv scope:SCOPE_SE
	v_cmpx_lt_u32_e32 31, v0
; %bb.114:
	v_lshl_add_u32 v1, v3, 3, -8
	ds_load_b64 v[6:7], v1
; %bb.115:
	s_wait_alu 0xfffe
	s_or_b32 exec_lo, exec_lo, s0
	v_sub_co_u32 v1, vcc_lo, v42, 1
	v_mov_b32_e32 v5, 0
	s_delay_alu instid0(VALU_DEP_2) | instskip(SKIP_1) | instid1(VALU_DEP_1)
	v_cmp_gt_i32_e64 s0, 0, v1
	s_wait_alu 0xf1ff
	v_cndmask_b32_e64 v1, v1, v42, s0
	s_delay_alu instid0(VALU_DEP_1)
	v_lshlrev_b32_e32 v2, 2, v1
	s_wait_dscnt 0x0
	v_add_co_u32 v1, s0, v6, v17
	s_wait_alu 0xf1ff
	v_add_co_ci_u32_e64 v3, null, v7, v18, s0
	ds_bpermute_b32 v1, v2, v1
	ds_bpermute_b32 v8, v2, v3
	ds_load_b64 v[2:3], v5 offset:88
	s_and_saveexec_b32 s0, s2
	s_cbranch_execz .LBB498_117
; %bb.116:
	s_add_nc_u64 s[4:5], s[14:15], 0x200
	v_mov_b32_e32 v4, 2
	s_wait_alu 0xfffe
	v_dual_mov_b32 v18, s5 :: v_dual_mov_b32 v17, s4
	s_wait_dscnt 0x0
	;;#ASMSTART
	global_store_b128 v[17:18], v[2:5] off scope:SCOPE_DEV	
s_wait_storecnt 0x0
	;;#ASMEND
.LBB498_117:
	s_wait_alu 0xfffe
	s_or_b32 exec_lo, exec_lo, s0
	s_wait_dscnt 0x1
	s_wait_alu 0xfffd
	v_dual_cndmask_b32 v1, v1, v6 :: v_dual_cndmask_b32 v4, v8, v7
	s_wait_loadcnt_dscnt 0x0
	s_barrier_signal -1
	s_barrier_wait -1
	s_delay_alu instid0(VALU_DEP_1)
	v_cndmask_b32_e64 v29, v1, 0, s2
	v_cndmask_b32_e64 v30, v4, 0, s2
	v_mov_b32_e32 v4, 0
	v_mov_b32_e32 v5, 0
	global_inv scope:SCOPE_SE
	v_add_co_u32 v27, vcc_lo, v29, v39
	s_wait_alu 0xfffd
	v_add_co_ci_u32_e64 v28, null, 0, v30, vcc_lo
	s_delay_alu instid0(VALU_DEP_2) | instskip(SKIP_1) | instid1(VALU_DEP_2)
	v_add_co_u32 v25, vcc_lo, v27, v38
	s_wait_alu 0xfffd
	v_add_co_ci_u32_e64 v26, null, 0, v28, vcc_lo
	s_delay_alu instid0(VALU_DEP_2) | instskip(SKIP_1) | instid1(VALU_DEP_2)
	v_add_co_u32 v23, vcc_lo, v25, v41
	s_wait_alu 0xfffd
	v_add_co_ci_u32_e64 v24, null, 0, v26, vcc_lo
	s_delay_alu instid0(VALU_DEP_2) | instskip(SKIP_1) | instid1(VALU_DEP_2)
	v_add_co_u32 v21, vcc_lo, v23, v36
	s_wait_alu 0xfffd
	v_add_co_ci_u32_e64 v22, null, 0, v24, vcc_lo
	s_delay_alu instid0(VALU_DEP_2) | instskip(SKIP_1) | instid1(VALU_DEP_2)
	v_add_co_u32 v6, vcc_lo, v21, v40
	s_wait_alu 0xfffd
	v_add_co_ci_u32_e64 v7, null, 0, v22, vcc_lo
	s_delay_alu instid0(VALU_DEP_2) | instskip(SKIP_1) | instid1(VALU_DEP_2)
	v_add_co_u32 v19, vcc_lo, v6, v37
	s_wait_alu 0xfffd
	v_add_co_ci_u32_e64 v20, null, 0, v7, vcc_lo
.LBB498_118:
	v_and_b32_e32 v37, 1, v31
	s_wait_dscnt 0x0
	v_cmp_gt_u64_e32 vcc_lo, 0x181, v[2:3]
	v_lshlrev_b64_e32 v[17:18], 2, v[9:10]
	v_lshrrev_b32_e32 v8, 8, v31
	v_lshrrev_b32_e32 v1, 16, v31
	v_cmp_eq_u32_e64 s0, 1, v37
	s_mov_b32 s1, -1
	s_cbranch_vccnz .LBB498_122
; %bb.119:
	s_wait_alu 0xfffe
	s_and_b32 vcc_lo, exec_lo, s1
	s_wait_alu 0xfffe
	s_cbranch_vccnz .LBB498_137
.LBB498_120:
	s_and_b32 s0, s2, s7
	s_wait_alu 0xfffe
	s_and_saveexec_b32 s1, s0
	s_cbranch_execnz .LBB498_154
.LBB498_121:
	s_endpgm
.LBB498_122:
	v_add_co_u32 v31, vcc_lo, v4, v2
	s_wait_alu 0xfffd
	v_add_co_ci_u32_e64 v32, null, v5, v3, vcc_lo
	v_add_co_u32 v38, s1, s12, v17
	s_wait_alu 0xf1fe
	v_add_co_ci_u32_e64 v39, null, s13, v18, s1
	s_delay_alu instid0(VALU_DEP_3)
	v_cmp_lt_u64_e32 vcc_lo, v[29:30], v[31:32]
	s_or_b32 s1, s10, vcc_lo
	s_wait_alu 0xfffe
	s_and_b32 s1, s1, s0
	s_wait_alu 0xfffe
	s_and_saveexec_b32 s0, s1
	s_cbranch_execz .LBB498_124
; %bb.123:
	v_lshlrev_b64_e32 v[40:41], 2, v[29:30]
	s_delay_alu instid0(VALU_DEP_1) | instskip(SKIP_1) | instid1(VALU_DEP_2)
	v_add_co_u32 v40, vcc_lo, v38, v40
	s_wait_alu 0xfffd
	v_add_co_ci_u32_e64 v41, null, v39, v41, vcc_lo
	global_store_b32 v[40:41], v15, off
.LBB498_124:
	s_wait_alu 0xfffe
	s_or_b32 exec_lo, exec_lo, s0
	v_and_b32_e32 v30, 1, v8
	v_cmp_lt_u64_e32 vcc_lo, v[27:28], v[31:32]
	s_delay_alu instid0(VALU_DEP_2)
	v_cmp_eq_u32_e64 s0, 1, v30
	s_or_b32 s1, s10, vcc_lo
	s_wait_alu 0xfffe
	s_and_b32 s1, s1, s0
	s_wait_alu 0xfffe
	s_and_saveexec_b32 s0, s1
	s_cbranch_execz .LBB498_126
; %bb.125:
	v_lshlrev_b64_e32 v[40:41], 2, v[27:28]
	s_delay_alu instid0(VALU_DEP_1) | instskip(SKIP_1) | instid1(VALU_DEP_2)
	v_add_co_u32 v40, vcc_lo, v38, v40
	s_wait_alu 0xfffd
	v_add_co_ci_u32_e64 v41, null, v39, v41, vcc_lo
	global_store_b32 v[40:41], v16, off
.LBB498_126:
	s_wait_alu 0xfffe
	s_or_b32 exec_lo, exec_lo, s0
	v_and_b32_e32 v28, 1, v1
	v_cmp_lt_u64_e32 vcc_lo, v[25:26], v[31:32]
	s_delay_alu instid0(VALU_DEP_2)
	v_cmp_eq_u32_e64 s0, 1, v28
	;; [unrolled: 20-line block ×5, first 2 shown]
	s_or_b32 s1, s10, vcc_lo
	s_wait_alu 0xfffe
	s_and_b32 s1, s1, s0
	s_wait_alu 0xfffe
	s_and_saveexec_b32 s0, s1
	s_cbranch_execz .LBB498_134
; %bb.133:
	v_lshlrev_b64_e32 v[40:41], 2, v[6:7]
	s_delay_alu instid0(VALU_DEP_1) | instskip(SKIP_1) | instid1(VALU_DEP_2)
	v_add_co_u32 v40, vcc_lo, v38, v40
	s_wait_alu 0xfffd
	v_add_co_ci_u32_e64 v41, null, v39, v41, vcc_lo
	global_store_b32 v[40:41], v12, off
.LBB498_134:
	s_wait_alu 0xfffe
	s_or_b32 exec_lo, exec_lo, s0
	v_cmp_lt_u64_e32 vcc_lo, v[19:20], v[31:32]
	s_or_b32 s0, s10, vcc_lo
	s_wait_alu 0xfffe
	s_and_b32 s1, s0, s11
	s_wait_alu 0xfffe
	s_and_saveexec_b32 s0, s1
	s_cbranch_execz .LBB498_136
; %bb.135:
	v_lshlrev_b64_e32 v[30:31], 2, v[19:20]
	s_delay_alu instid0(VALU_DEP_1) | instskip(SKIP_1) | instid1(VALU_DEP_2)
	v_add_co_u32 v30, vcc_lo, v38, v30
	s_wait_alu 0xfffd
	v_add_co_ci_u32_e64 v31, null, v39, v31, vcc_lo
	global_store_b32 v[30:31], v33, off
.LBB498_136:
	s_wait_alu 0xfffe
	s_or_b32 exec_lo, exec_lo, s0
	s_branch .LBB498_120
.LBB498_137:
	s_mov_b32 s0, exec_lo
	v_cmpx_eq_u32_e32 1, v37
; %bb.138:
	v_sub_nc_u32_e32 v7, v29, v4
	s_delay_alu instid0(VALU_DEP_1)
	v_lshlrev_b32_e32 v7, 2, v7
	ds_store_b32 v7, v15
; %bb.139:
	s_wait_alu 0xfffe
	s_or_b32 exec_lo, exec_lo, s0
	v_and_b32_e32 v7, 1, v8
	s_mov_b32 s0, exec_lo
	s_delay_alu instid0(VALU_DEP_1)
	v_cmpx_eq_u32_e32 1, v7
; %bb.140:
	v_sub_nc_u32_e32 v7, v27, v4
	s_delay_alu instid0(VALU_DEP_1)
	v_lshlrev_b32_e32 v7, 2, v7
	ds_store_b32 v7, v16
; %bb.141:
	s_wait_alu 0xfffe
	s_or_b32 exec_lo, exec_lo, s0
	v_and_b32_e32 v1, 1, v1
	s_mov_b32 s0, exec_lo
	s_delay_alu instid0(VALU_DEP_1)
	;; [unrolled: 12-line block ×5, first 2 shown]
	v_cmpx_eq_u32_e32 1, v1
; %bb.148:
	v_sub_nc_u32_e32 v1, v6, v4
	s_delay_alu instid0(VALU_DEP_1)
	v_lshlrev_b32_e32 v1, 2, v1
	ds_store_b32 v1, v12
; %bb.149:
	s_wait_alu 0xfffe
	s_or_b32 exec_lo, exec_lo, s0
	s_and_saveexec_b32 s0, s11
; %bb.150:
	v_sub_nc_u32_e32 v1, v19, v4
	s_delay_alu instid0(VALU_DEP_1)
	v_lshlrev_b32_e32 v1, 2, v1
	ds_store_b32 v1, v33
; %bb.151:
	s_wait_alu 0xfffe
	s_or_b32 exec_lo, exec_lo, s0
	v_lshlrev_b64_e32 v[11:12], 2, v[4:5]
	v_add_co_u32 v8, vcc_lo, s12, v17
	v_mov_b32_e32 v1, 0
	s_wait_alu 0xfffd
	v_add_co_ci_u32_e64 v13, null, s13, v18, vcc_lo
	s_delay_alu instid0(VALU_DEP_3) | instskip(NEXT) | instid1(VALU_DEP_3)
	v_add_co_u32 v8, vcc_lo, v8, v11
	v_dual_mov_b32 v7, v1 :: v_dual_mov_b32 v6, v0
	s_wait_alu 0xfffd
	s_delay_alu instid0(VALU_DEP_3)
	v_add_co_ci_u32_e64 v11, null, v13, v12, vcc_lo
	v_add_nc_u32_e32 v0, 0x180, v0
	s_mov_b32 s1, 0
	s_wait_storecnt 0x0
	s_wait_loadcnt_dscnt 0x0
	s_barrier_signal -1
	s_barrier_wait -1
	global_inv scope:SCOPE_SE
.LBB498_152:                            ; =>This Inner Loop Header: Depth=1
	v_lshlrev_b32_e32 v12, 2, v6
	v_cmp_le_u64_e32 vcc_lo, v[2:3], v[0:1]
	ds_load_b32 v14, v12
	v_lshlrev_b64_e32 v[12:13], 2, v[6:7]
	v_dual_mov_b32 v7, v1 :: v_dual_mov_b32 v6, v0
	v_add_nc_u32_e32 v0, 0x180, v0
	s_wait_alu 0xfffe
	s_or_b32 s1, vcc_lo, s1
	s_delay_alu instid0(VALU_DEP_3)
	v_add_co_u32 v12, s0, v8, v12
	s_wait_alu 0xf1ff
	v_add_co_ci_u32_e64 v13, null, v11, v13, s0
	s_wait_dscnt 0x0
	global_store_b32 v[12:13], v14, off
	s_wait_alu 0xfffe
	s_and_not1_b32 exec_lo, exec_lo, s1
	s_cbranch_execnz .LBB498_152
; %bb.153:
	s_or_b32 exec_lo, exec_lo, s1
	s_and_b32 s0, s2, s7
	s_wait_alu 0xfffe
	s_and_saveexec_b32 s1, s0
	s_cbranch_execz .LBB498_121
.LBB498_154:
	v_add_co_u32 v0, vcc_lo, v4, v2
	s_wait_alu 0xfffd
	v_add_co_ci_u32_e64 v1, null, v5, v3, vcc_lo
	v_mov_b32_e32 v2, 0
	s_delay_alu instid0(VALU_DEP_3) | instskip(SKIP_1) | instid1(VALU_DEP_3)
	v_add_co_u32 v0, vcc_lo, v0, v9
	s_wait_alu 0xfffd
	v_add_co_ci_u32_e64 v1, null, v1, v10, vcc_lo
	global_store_b64 v2, v[0:1], s[8:9]
	s_endpgm
	.section	.rodata,"a",@progbits
	.p2align	6, 0x0
	.amdhsa_kernel _ZN7rocprim17ROCPRIM_400000_NS6detail17trampoline_kernelINS0_14default_configENS1_25partition_config_selectorILNS1_17partition_subalgoE6EiNS0_10empty_typeEbEEZZNS1_14partition_implILS5_6ELb0ES3_mN6thrust23THRUST_200600_302600_NS6detail15normal_iteratorINSA_10device_ptrIiEEEEPS6_SG_NS0_5tupleIJSF_S6_EEENSH_IJSG_SG_EEES6_PlJNSB_9not_fun_tINSB_14equal_to_valueIiEEEEEEE10hipError_tPvRmT3_T4_T5_T6_T7_T9_mT8_P12ihipStream_tbDpT10_ENKUlT_T0_E_clISt17integral_constantIbLb0EES17_IbLb1EEEEDaS13_S14_EUlS13_E_NS1_11comp_targetILNS1_3genE10ELNS1_11target_archE1200ELNS1_3gpuE4ELNS1_3repE0EEENS1_30default_config_static_selectorELNS0_4arch9wavefront6targetE0EEEvT1_
		.amdhsa_group_segment_fixed_size 10768
		.amdhsa_private_segment_fixed_size 0
		.amdhsa_kernarg_size 128
		.amdhsa_user_sgpr_count 2
		.amdhsa_user_sgpr_dispatch_ptr 0
		.amdhsa_user_sgpr_queue_ptr 0
		.amdhsa_user_sgpr_kernarg_segment_ptr 1
		.amdhsa_user_sgpr_dispatch_id 0
		.amdhsa_user_sgpr_private_segment_size 0
		.amdhsa_wavefront_size32 1
		.amdhsa_uses_dynamic_stack 0
		.amdhsa_enable_private_segment 0
		.amdhsa_system_sgpr_workgroup_id_x 1
		.amdhsa_system_sgpr_workgroup_id_y 0
		.amdhsa_system_sgpr_workgroup_id_z 0
		.amdhsa_system_sgpr_workgroup_info 0
		.amdhsa_system_vgpr_workitem_id 0
		.amdhsa_next_free_vgpr 51
		.amdhsa_next_free_sgpr 21
		.amdhsa_reserve_vcc 1
		.amdhsa_float_round_mode_32 0
		.amdhsa_float_round_mode_16_64 0
		.amdhsa_float_denorm_mode_32 3
		.amdhsa_float_denorm_mode_16_64 3
		.amdhsa_fp16_overflow 0
		.amdhsa_workgroup_processor_mode 1
		.amdhsa_memory_ordered 1
		.amdhsa_forward_progress 1
		.amdhsa_inst_pref_size 60
		.amdhsa_round_robin_scheduling 0
		.amdhsa_exception_fp_ieee_invalid_op 0
		.amdhsa_exception_fp_denorm_src 0
		.amdhsa_exception_fp_ieee_div_zero 0
		.amdhsa_exception_fp_ieee_overflow 0
		.amdhsa_exception_fp_ieee_underflow 0
		.amdhsa_exception_fp_ieee_inexact 0
		.amdhsa_exception_int_div_zero 0
	.end_amdhsa_kernel
	.section	.text._ZN7rocprim17ROCPRIM_400000_NS6detail17trampoline_kernelINS0_14default_configENS1_25partition_config_selectorILNS1_17partition_subalgoE6EiNS0_10empty_typeEbEEZZNS1_14partition_implILS5_6ELb0ES3_mN6thrust23THRUST_200600_302600_NS6detail15normal_iteratorINSA_10device_ptrIiEEEEPS6_SG_NS0_5tupleIJSF_S6_EEENSH_IJSG_SG_EEES6_PlJNSB_9not_fun_tINSB_14equal_to_valueIiEEEEEEE10hipError_tPvRmT3_T4_T5_T6_T7_T9_mT8_P12ihipStream_tbDpT10_ENKUlT_T0_E_clISt17integral_constantIbLb0EES17_IbLb1EEEEDaS13_S14_EUlS13_E_NS1_11comp_targetILNS1_3genE10ELNS1_11target_archE1200ELNS1_3gpuE4ELNS1_3repE0EEENS1_30default_config_static_selectorELNS0_4arch9wavefront6targetE0EEEvT1_,"axG",@progbits,_ZN7rocprim17ROCPRIM_400000_NS6detail17trampoline_kernelINS0_14default_configENS1_25partition_config_selectorILNS1_17partition_subalgoE6EiNS0_10empty_typeEbEEZZNS1_14partition_implILS5_6ELb0ES3_mN6thrust23THRUST_200600_302600_NS6detail15normal_iteratorINSA_10device_ptrIiEEEEPS6_SG_NS0_5tupleIJSF_S6_EEENSH_IJSG_SG_EEES6_PlJNSB_9not_fun_tINSB_14equal_to_valueIiEEEEEEE10hipError_tPvRmT3_T4_T5_T6_T7_T9_mT8_P12ihipStream_tbDpT10_ENKUlT_T0_E_clISt17integral_constantIbLb0EES17_IbLb1EEEEDaS13_S14_EUlS13_E_NS1_11comp_targetILNS1_3genE10ELNS1_11target_archE1200ELNS1_3gpuE4ELNS1_3repE0EEENS1_30default_config_static_selectorELNS0_4arch9wavefront6targetE0EEEvT1_,comdat
.Lfunc_end498:
	.size	_ZN7rocprim17ROCPRIM_400000_NS6detail17trampoline_kernelINS0_14default_configENS1_25partition_config_selectorILNS1_17partition_subalgoE6EiNS0_10empty_typeEbEEZZNS1_14partition_implILS5_6ELb0ES3_mN6thrust23THRUST_200600_302600_NS6detail15normal_iteratorINSA_10device_ptrIiEEEEPS6_SG_NS0_5tupleIJSF_S6_EEENSH_IJSG_SG_EEES6_PlJNSB_9not_fun_tINSB_14equal_to_valueIiEEEEEEE10hipError_tPvRmT3_T4_T5_T6_T7_T9_mT8_P12ihipStream_tbDpT10_ENKUlT_T0_E_clISt17integral_constantIbLb0EES17_IbLb1EEEEDaS13_S14_EUlS13_E_NS1_11comp_targetILNS1_3genE10ELNS1_11target_archE1200ELNS1_3gpuE4ELNS1_3repE0EEENS1_30default_config_static_selectorELNS0_4arch9wavefront6targetE0EEEvT1_, .Lfunc_end498-_ZN7rocprim17ROCPRIM_400000_NS6detail17trampoline_kernelINS0_14default_configENS1_25partition_config_selectorILNS1_17partition_subalgoE6EiNS0_10empty_typeEbEEZZNS1_14partition_implILS5_6ELb0ES3_mN6thrust23THRUST_200600_302600_NS6detail15normal_iteratorINSA_10device_ptrIiEEEEPS6_SG_NS0_5tupleIJSF_S6_EEENSH_IJSG_SG_EEES6_PlJNSB_9not_fun_tINSB_14equal_to_valueIiEEEEEEE10hipError_tPvRmT3_T4_T5_T6_T7_T9_mT8_P12ihipStream_tbDpT10_ENKUlT_T0_E_clISt17integral_constantIbLb0EES17_IbLb1EEEEDaS13_S14_EUlS13_E_NS1_11comp_targetILNS1_3genE10ELNS1_11target_archE1200ELNS1_3gpuE4ELNS1_3repE0EEENS1_30default_config_static_selectorELNS0_4arch9wavefront6targetE0EEEvT1_
                                        ; -- End function
	.set _ZN7rocprim17ROCPRIM_400000_NS6detail17trampoline_kernelINS0_14default_configENS1_25partition_config_selectorILNS1_17partition_subalgoE6EiNS0_10empty_typeEbEEZZNS1_14partition_implILS5_6ELb0ES3_mN6thrust23THRUST_200600_302600_NS6detail15normal_iteratorINSA_10device_ptrIiEEEEPS6_SG_NS0_5tupleIJSF_S6_EEENSH_IJSG_SG_EEES6_PlJNSB_9not_fun_tINSB_14equal_to_valueIiEEEEEEE10hipError_tPvRmT3_T4_T5_T6_T7_T9_mT8_P12ihipStream_tbDpT10_ENKUlT_T0_E_clISt17integral_constantIbLb0EES17_IbLb1EEEEDaS13_S14_EUlS13_E_NS1_11comp_targetILNS1_3genE10ELNS1_11target_archE1200ELNS1_3gpuE4ELNS1_3repE0EEENS1_30default_config_static_selectorELNS0_4arch9wavefront6targetE0EEEvT1_.num_vgpr, 51
	.set _ZN7rocprim17ROCPRIM_400000_NS6detail17trampoline_kernelINS0_14default_configENS1_25partition_config_selectorILNS1_17partition_subalgoE6EiNS0_10empty_typeEbEEZZNS1_14partition_implILS5_6ELb0ES3_mN6thrust23THRUST_200600_302600_NS6detail15normal_iteratorINSA_10device_ptrIiEEEEPS6_SG_NS0_5tupleIJSF_S6_EEENSH_IJSG_SG_EEES6_PlJNSB_9not_fun_tINSB_14equal_to_valueIiEEEEEEE10hipError_tPvRmT3_T4_T5_T6_T7_T9_mT8_P12ihipStream_tbDpT10_ENKUlT_T0_E_clISt17integral_constantIbLb0EES17_IbLb1EEEEDaS13_S14_EUlS13_E_NS1_11comp_targetILNS1_3genE10ELNS1_11target_archE1200ELNS1_3gpuE4ELNS1_3repE0EEENS1_30default_config_static_selectorELNS0_4arch9wavefront6targetE0EEEvT1_.num_agpr, 0
	.set _ZN7rocprim17ROCPRIM_400000_NS6detail17trampoline_kernelINS0_14default_configENS1_25partition_config_selectorILNS1_17partition_subalgoE6EiNS0_10empty_typeEbEEZZNS1_14partition_implILS5_6ELb0ES3_mN6thrust23THRUST_200600_302600_NS6detail15normal_iteratorINSA_10device_ptrIiEEEEPS6_SG_NS0_5tupleIJSF_S6_EEENSH_IJSG_SG_EEES6_PlJNSB_9not_fun_tINSB_14equal_to_valueIiEEEEEEE10hipError_tPvRmT3_T4_T5_T6_T7_T9_mT8_P12ihipStream_tbDpT10_ENKUlT_T0_E_clISt17integral_constantIbLb0EES17_IbLb1EEEEDaS13_S14_EUlS13_E_NS1_11comp_targetILNS1_3genE10ELNS1_11target_archE1200ELNS1_3gpuE4ELNS1_3repE0EEENS1_30default_config_static_selectorELNS0_4arch9wavefront6targetE0EEEvT1_.numbered_sgpr, 21
	.set _ZN7rocprim17ROCPRIM_400000_NS6detail17trampoline_kernelINS0_14default_configENS1_25partition_config_selectorILNS1_17partition_subalgoE6EiNS0_10empty_typeEbEEZZNS1_14partition_implILS5_6ELb0ES3_mN6thrust23THRUST_200600_302600_NS6detail15normal_iteratorINSA_10device_ptrIiEEEEPS6_SG_NS0_5tupleIJSF_S6_EEENSH_IJSG_SG_EEES6_PlJNSB_9not_fun_tINSB_14equal_to_valueIiEEEEEEE10hipError_tPvRmT3_T4_T5_T6_T7_T9_mT8_P12ihipStream_tbDpT10_ENKUlT_T0_E_clISt17integral_constantIbLb0EES17_IbLb1EEEEDaS13_S14_EUlS13_E_NS1_11comp_targetILNS1_3genE10ELNS1_11target_archE1200ELNS1_3gpuE4ELNS1_3repE0EEENS1_30default_config_static_selectorELNS0_4arch9wavefront6targetE0EEEvT1_.num_named_barrier, 0
	.set _ZN7rocprim17ROCPRIM_400000_NS6detail17trampoline_kernelINS0_14default_configENS1_25partition_config_selectorILNS1_17partition_subalgoE6EiNS0_10empty_typeEbEEZZNS1_14partition_implILS5_6ELb0ES3_mN6thrust23THRUST_200600_302600_NS6detail15normal_iteratorINSA_10device_ptrIiEEEEPS6_SG_NS0_5tupleIJSF_S6_EEENSH_IJSG_SG_EEES6_PlJNSB_9not_fun_tINSB_14equal_to_valueIiEEEEEEE10hipError_tPvRmT3_T4_T5_T6_T7_T9_mT8_P12ihipStream_tbDpT10_ENKUlT_T0_E_clISt17integral_constantIbLb0EES17_IbLb1EEEEDaS13_S14_EUlS13_E_NS1_11comp_targetILNS1_3genE10ELNS1_11target_archE1200ELNS1_3gpuE4ELNS1_3repE0EEENS1_30default_config_static_selectorELNS0_4arch9wavefront6targetE0EEEvT1_.private_seg_size, 0
	.set _ZN7rocprim17ROCPRIM_400000_NS6detail17trampoline_kernelINS0_14default_configENS1_25partition_config_selectorILNS1_17partition_subalgoE6EiNS0_10empty_typeEbEEZZNS1_14partition_implILS5_6ELb0ES3_mN6thrust23THRUST_200600_302600_NS6detail15normal_iteratorINSA_10device_ptrIiEEEEPS6_SG_NS0_5tupleIJSF_S6_EEENSH_IJSG_SG_EEES6_PlJNSB_9not_fun_tINSB_14equal_to_valueIiEEEEEEE10hipError_tPvRmT3_T4_T5_T6_T7_T9_mT8_P12ihipStream_tbDpT10_ENKUlT_T0_E_clISt17integral_constantIbLb0EES17_IbLb1EEEEDaS13_S14_EUlS13_E_NS1_11comp_targetILNS1_3genE10ELNS1_11target_archE1200ELNS1_3gpuE4ELNS1_3repE0EEENS1_30default_config_static_selectorELNS0_4arch9wavefront6targetE0EEEvT1_.uses_vcc, 1
	.set _ZN7rocprim17ROCPRIM_400000_NS6detail17trampoline_kernelINS0_14default_configENS1_25partition_config_selectorILNS1_17partition_subalgoE6EiNS0_10empty_typeEbEEZZNS1_14partition_implILS5_6ELb0ES3_mN6thrust23THRUST_200600_302600_NS6detail15normal_iteratorINSA_10device_ptrIiEEEEPS6_SG_NS0_5tupleIJSF_S6_EEENSH_IJSG_SG_EEES6_PlJNSB_9not_fun_tINSB_14equal_to_valueIiEEEEEEE10hipError_tPvRmT3_T4_T5_T6_T7_T9_mT8_P12ihipStream_tbDpT10_ENKUlT_T0_E_clISt17integral_constantIbLb0EES17_IbLb1EEEEDaS13_S14_EUlS13_E_NS1_11comp_targetILNS1_3genE10ELNS1_11target_archE1200ELNS1_3gpuE4ELNS1_3repE0EEENS1_30default_config_static_selectorELNS0_4arch9wavefront6targetE0EEEvT1_.uses_flat_scratch, 1
	.set _ZN7rocprim17ROCPRIM_400000_NS6detail17trampoline_kernelINS0_14default_configENS1_25partition_config_selectorILNS1_17partition_subalgoE6EiNS0_10empty_typeEbEEZZNS1_14partition_implILS5_6ELb0ES3_mN6thrust23THRUST_200600_302600_NS6detail15normal_iteratorINSA_10device_ptrIiEEEEPS6_SG_NS0_5tupleIJSF_S6_EEENSH_IJSG_SG_EEES6_PlJNSB_9not_fun_tINSB_14equal_to_valueIiEEEEEEE10hipError_tPvRmT3_T4_T5_T6_T7_T9_mT8_P12ihipStream_tbDpT10_ENKUlT_T0_E_clISt17integral_constantIbLb0EES17_IbLb1EEEEDaS13_S14_EUlS13_E_NS1_11comp_targetILNS1_3genE10ELNS1_11target_archE1200ELNS1_3gpuE4ELNS1_3repE0EEENS1_30default_config_static_selectorELNS0_4arch9wavefront6targetE0EEEvT1_.has_dyn_sized_stack, 0
	.set _ZN7rocprim17ROCPRIM_400000_NS6detail17trampoline_kernelINS0_14default_configENS1_25partition_config_selectorILNS1_17partition_subalgoE6EiNS0_10empty_typeEbEEZZNS1_14partition_implILS5_6ELb0ES3_mN6thrust23THRUST_200600_302600_NS6detail15normal_iteratorINSA_10device_ptrIiEEEEPS6_SG_NS0_5tupleIJSF_S6_EEENSH_IJSG_SG_EEES6_PlJNSB_9not_fun_tINSB_14equal_to_valueIiEEEEEEE10hipError_tPvRmT3_T4_T5_T6_T7_T9_mT8_P12ihipStream_tbDpT10_ENKUlT_T0_E_clISt17integral_constantIbLb0EES17_IbLb1EEEEDaS13_S14_EUlS13_E_NS1_11comp_targetILNS1_3genE10ELNS1_11target_archE1200ELNS1_3gpuE4ELNS1_3repE0EEENS1_30default_config_static_selectorELNS0_4arch9wavefront6targetE0EEEvT1_.has_recursion, 0
	.set _ZN7rocprim17ROCPRIM_400000_NS6detail17trampoline_kernelINS0_14default_configENS1_25partition_config_selectorILNS1_17partition_subalgoE6EiNS0_10empty_typeEbEEZZNS1_14partition_implILS5_6ELb0ES3_mN6thrust23THRUST_200600_302600_NS6detail15normal_iteratorINSA_10device_ptrIiEEEEPS6_SG_NS0_5tupleIJSF_S6_EEENSH_IJSG_SG_EEES6_PlJNSB_9not_fun_tINSB_14equal_to_valueIiEEEEEEE10hipError_tPvRmT3_T4_T5_T6_T7_T9_mT8_P12ihipStream_tbDpT10_ENKUlT_T0_E_clISt17integral_constantIbLb0EES17_IbLb1EEEEDaS13_S14_EUlS13_E_NS1_11comp_targetILNS1_3genE10ELNS1_11target_archE1200ELNS1_3gpuE4ELNS1_3repE0EEENS1_30default_config_static_selectorELNS0_4arch9wavefront6targetE0EEEvT1_.has_indirect_call, 0
	.section	.AMDGPU.csdata,"",@progbits
; Kernel info:
; codeLenInByte = 7636
; TotalNumSgprs: 23
; NumVgprs: 51
; ScratchSize: 0
; MemoryBound: 0
; FloatMode: 240
; IeeeMode: 1
; LDSByteSize: 10768 bytes/workgroup (compile time only)
; SGPRBlocks: 0
; VGPRBlocks: 6
; NumSGPRsForWavesPerEU: 23
; NumVGPRsForWavesPerEU: 51
; Occupancy: 15
; WaveLimiterHint : 1
; COMPUTE_PGM_RSRC2:SCRATCH_EN: 0
; COMPUTE_PGM_RSRC2:USER_SGPR: 2
; COMPUTE_PGM_RSRC2:TRAP_HANDLER: 0
; COMPUTE_PGM_RSRC2:TGID_X_EN: 1
; COMPUTE_PGM_RSRC2:TGID_Y_EN: 0
; COMPUTE_PGM_RSRC2:TGID_Z_EN: 0
; COMPUTE_PGM_RSRC2:TIDIG_COMP_CNT: 0
	.section	.text._ZN7rocprim17ROCPRIM_400000_NS6detail17trampoline_kernelINS0_14default_configENS1_25partition_config_selectorILNS1_17partition_subalgoE6EiNS0_10empty_typeEbEEZZNS1_14partition_implILS5_6ELb0ES3_mN6thrust23THRUST_200600_302600_NS6detail15normal_iteratorINSA_10device_ptrIiEEEEPS6_SG_NS0_5tupleIJSF_S6_EEENSH_IJSG_SG_EEES6_PlJNSB_9not_fun_tINSB_14equal_to_valueIiEEEEEEE10hipError_tPvRmT3_T4_T5_T6_T7_T9_mT8_P12ihipStream_tbDpT10_ENKUlT_T0_E_clISt17integral_constantIbLb0EES17_IbLb1EEEEDaS13_S14_EUlS13_E_NS1_11comp_targetILNS1_3genE9ELNS1_11target_archE1100ELNS1_3gpuE3ELNS1_3repE0EEENS1_30default_config_static_selectorELNS0_4arch9wavefront6targetE0EEEvT1_,"axG",@progbits,_ZN7rocprim17ROCPRIM_400000_NS6detail17trampoline_kernelINS0_14default_configENS1_25partition_config_selectorILNS1_17partition_subalgoE6EiNS0_10empty_typeEbEEZZNS1_14partition_implILS5_6ELb0ES3_mN6thrust23THRUST_200600_302600_NS6detail15normal_iteratorINSA_10device_ptrIiEEEEPS6_SG_NS0_5tupleIJSF_S6_EEENSH_IJSG_SG_EEES6_PlJNSB_9not_fun_tINSB_14equal_to_valueIiEEEEEEE10hipError_tPvRmT3_T4_T5_T6_T7_T9_mT8_P12ihipStream_tbDpT10_ENKUlT_T0_E_clISt17integral_constantIbLb0EES17_IbLb1EEEEDaS13_S14_EUlS13_E_NS1_11comp_targetILNS1_3genE9ELNS1_11target_archE1100ELNS1_3gpuE3ELNS1_3repE0EEENS1_30default_config_static_selectorELNS0_4arch9wavefront6targetE0EEEvT1_,comdat
	.protected	_ZN7rocprim17ROCPRIM_400000_NS6detail17trampoline_kernelINS0_14default_configENS1_25partition_config_selectorILNS1_17partition_subalgoE6EiNS0_10empty_typeEbEEZZNS1_14partition_implILS5_6ELb0ES3_mN6thrust23THRUST_200600_302600_NS6detail15normal_iteratorINSA_10device_ptrIiEEEEPS6_SG_NS0_5tupleIJSF_S6_EEENSH_IJSG_SG_EEES6_PlJNSB_9not_fun_tINSB_14equal_to_valueIiEEEEEEE10hipError_tPvRmT3_T4_T5_T6_T7_T9_mT8_P12ihipStream_tbDpT10_ENKUlT_T0_E_clISt17integral_constantIbLb0EES17_IbLb1EEEEDaS13_S14_EUlS13_E_NS1_11comp_targetILNS1_3genE9ELNS1_11target_archE1100ELNS1_3gpuE3ELNS1_3repE0EEENS1_30default_config_static_selectorELNS0_4arch9wavefront6targetE0EEEvT1_ ; -- Begin function _ZN7rocprim17ROCPRIM_400000_NS6detail17trampoline_kernelINS0_14default_configENS1_25partition_config_selectorILNS1_17partition_subalgoE6EiNS0_10empty_typeEbEEZZNS1_14partition_implILS5_6ELb0ES3_mN6thrust23THRUST_200600_302600_NS6detail15normal_iteratorINSA_10device_ptrIiEEEEPS6_SG_NS0_5tupleIJSF_S6_EEENSH_IJSG_SG_EEES6_PlJNSB_9not_fun_tINSB_14equal_to_valueIiEEEEEEE10hipError_tPvRmT3_T4_T5_T6_T7_T9_mT8_P12ihipStream_tbDpT10_ENKUlT_T0_E_clISt17integral_constantIbLb0EES17_IbLb1EEEEDaS13_S14_EUlS13_E_NS1_11comp_targetILNS1_3genE9ELNS1_11target_archE1100ELNS1_3gpuE3ELNS1_3repE0EEENS1_30default_config_static_selectorELNS0_4arch9wavefront6targetE0EEEvT1_
	.globl	_ZN7rocprim17ROCPRIM_400000_NS6detail17trampoline_kernelINS0_14default_configENS1_25partition_config_selectorILNS1_17partition_subalgoE6EiNS0_10empty_typeEbEEZZNS1_14partition_implILS5_6ELb0ES3_mN6thrust23THRUST_200600_302600_NS6detail15normal_iteratorINSA_10device_ptrIiEEEEPS6_SG_NS0_5tupleIJSF_S6_EEENSH_IJSG_SG_EEES6_PlJNSB_9not_fun_tINSB_14equal_to_valueIiEEEEEEE10hipError_tPvRmT3_T4_T5_T6_T7_T9_mT8_P12ihipStream_tbDpT10_ENKUlT_T0_E_clISt17integral_constantIbLb0EES17_IbLb1EEEEDaS13_S14_EUlS13_E_NS1_11comp_targetILNS1_3genE9ELNS1_11target_archE1100ELNS1_3gpuE3ELNS1_3repE0EEENS1_30default_config_static_selectorELNS0_4arch9wavefront6targetE0EEEvT1_
	.p2align	8
	.type	_ZN7rocprim17ROCPRIM_400000_NS6detail17trampoline_kernelINS0_14default_configENS1_25partition_config_selectorILNS1_17partition_subalgoE6EiNS0_10empty_typeEbEEZZNS1_14partition_implILS5_6ELb0ES3_mN6thrust23THRUST_200600_302600_NS6detail15normal_iteratorINSA_10device_ptrIiEEEEPS6_SG_NS0_5tupleIJSF_S6_EEENSH_IJSG_SG_EEES6_PlJNSB_9not_fun_tINSB_14equal_to_valueIiEEEEEEE10hipError_tPvRmT3_T4_T5_T6_T7_T9_mT8_P12ihipStream_tbDpT10_ENKUlT_T0_E_clISt17integral_constantIbLb0EES17_IbLb1EEEEDaS13_S14_EUlS13_E_NS1_11comp_targetILNS1_3genE9ELNS1_11target_archE1100ELNS1_3gpuE3ELNS1_3repE0EEENS1_30default_config_static_selectorELNS0_4arch9wavefront6targetE0EEEvT1_,@function
_ZN7rocprim17ROCPRIM_400000_NS6detail17trampoline_kernelINS0_14default_configENS1_25partition_config_selectorILNS1_17partition_subalgoE6EiNS0_10empty_typeEbEEZZNS1_14partition_implILS5_6ELb0ES3_mN6thrust23THRUST_200600_302600_NS6detail15normal_iteratorINSA_10device_ptrIiEEEEPS6_SG_NS0_5tupleIJSF_S6_EEENSH_IJSG_SG_EEES6_PlJNSB_9not_fun_tINSB_14equal_to_valueIiEEEEEEE10hipError_tPvRmT3_T4_T5_T6_T7_T9_mT8_P12ihipStream_tbDpT10_ENKUlT_T0_E_clISt17integral_constantIbLb0EES17_IbLb1EEEEDaS13_S14_EUlS13_E_NS1_11comp_targetILNS1_3genE9ELNS1_11target_archE1100ELNS1_3gpuE3ELNS1_3repE0EEENS1_30default_config_static_selectorELNS0_4arch9wavefront6targetE0EEEvT1_: ; @_ZN7rocprim17ROCPRIM_400000_NS6detail17trampoline_kernelINS0_14default_configENS1_25partition_config_selectorILNS1_17partition_subalgoE6EiNS0_10empty_typeEbEEZZNS1_14partition_implILS5_6ELb0ES3_mN6thrust23THRUST_200600_302600_NS6detail15normal_iteratorINSA_10device_ptrIiEEEEPS6_SG_NS0_5tupleIJSF_S6_EEENSH_IJSG_SG_EEES6_PlJNSB_9not_fun_tINSB_14equal_to_valueIiEEEEEEE10hipError_tPvRmT3_T4_T5_T6_T7_T9_mT8_P12ihipStream_tbDpT10_ENKUlT_T0_E_clISt17integral_constantIbLb0EES17_IbLb1EEEEDaS13_S14_EUlS13_E_NS1_11comp_targetILNS1_3genE9ELNS1_11target_archE1100ELNS1_3gpuE3ELNS1_3repE0EEENS1_30default_config_static_selectorELNS0_4arch9wavefront6targetE0EEEvT1_
; %bb.0:
	.section	.rodata,"a",@progbits
	.p2align	6, 0x0
	.amdhsa_kernel _ZN7rocprim17ROCPRIM_400000_NS6detail17trampoline_kernelINS0_14default_configENS1_25partition_config_selectorILNS1_17partition_subalgoE6EiNS0_10empty_typeEbEEZZNS1_14partition_implILS5_6ELb0ES3_mN6thrust23THRUST_200600_302600_NS6detail15normal_iteratorINSA_10device_ptrIiEEEEPS6_SG_NS0_5tupleIJSF_S6_EEENSH_IJSG_SG_EEES6_PlJNSB_9not_fun_tINSB_14equal_to_valueIiEEEEEEE10hipError_tPvRmT3_T4_T5_T6_T7_T9_mT8_P12ihipStream_tbDpT10_ENKUlT_T0_E_clISt17integral_constantIbLb0EES17_IbLb1EEEEDaS13_S14_EUlS13_E_NS1_11comp_targetILNS1_3genE9ELNS1_11target_archE1100ELNS1_3gpuE3ELNS1_3repE0EEENS1_30default_config_static_selectorELNS0_4arch9wavefront6targetE0EEEvT1_
		.amdhsa_group_segment_fixed_size 0
		.amdhsa_private_segment_fixed_size 0
		.amdhsa_kernarg_size 128
		.amdhsa_user_sgpr_count 2
		.amdhsa_user_sgpr_dispatch_ptr 0
		.amdhsa_user_sgpr_queue_ptr 0
		.amdhsa_user_sgpr_kernarg_segment_ptr 1
		.amdhsa_user_sgpr_dispatch_id 0
		.amdhsa_user_sgpr_private_segment_size 0
		.amdhsa_wavefront_size32 1
		.amdhsa_uses_dynamic_stack 0
		.amdhsa_enable_private_segment 0
		.amdhsa_system_sgpr_workgroup_id_x 1
		.amdhsa_system_sgpr_workgroup_id_y 0
		.amdhsa_system_sgpr_workgroup_id_z 0
		.amdhsa_system_sgpr_workgroup_info 0
		.amdhsa_system_vgpr_workitem_id 0
		.amdhsa_next_free_vgpr 1
		.amdhsa_next_free_sgpr 1
		.amdhsa_reserve_vcc 0
		.amdhsa_float_round_mode_32 0
		.amdhsa_float_round_mode_16_64 0
		.amdhsa_float_denorm_mode_32 3
		.amdhsa_float_denorm_mode_16_64 3
		.amdhsa_fp16_overflow 0
		.amdhsa_workgroup_processor_mode 1
		.amdhsa_memory_ordered 1
		.amdhsa_forward_progress 1
		.amdhsa_inst_pref_size 0
		.amdhsa_round_robin_scheduling 0
		.amdhsa_exception_fp_ieee_invalid_op 0
		.amdhsa_exception_fp_denorm_src 0
		.amdhsa_exception_fp_ieee_div_zero 0
		.amdhsa_exception_fp_ieee_overflow 0
		.amdhsa_exception_fp_ieee_underflow 0
		.amdhsa_exception_fp_ieee_inexact 0
		.amdhsa_exception_int_div_zero 0
	.end_amdhsa_kernel
	.section	.text._ZN7rocprim17ROCPRIM_400000_NS6detail17trampoline_kernelINS0_14default_configENS1_25partition_config_selectorILNS1_17partition_subalgoE6EiNS0_10empty_typeEbEEZZNS1_14partition_implILS5_6ELb0ES3_mN6thrust23THRUST_200600_302600_NS6detail15normal_iteratorINSA_10device_ptrIiEEEEPS6_SG_NS0_5tupleIJSF_S6_EEENSH_IJSG_SG_EEES6_PlJNSB_9not_fun_tINSB_14equal_to_valueIiEEEEEEE10hipError_tPvRmT3_T4_T5_T6_T7_T9_mT8_P12ihipStream_tbDpT10_ENKUlT_T0_E_clISt17integral_constantIbLb0EES17_IbLb1EEEEDaS13_S14_EUlS13_E_NS1_11comp_targetILNS1_3genE9ELNS1_11target_archE1100ELNS1_3gpuE3ELNS1_3repE0EEENS1_30default_config_static_selectorELNS0_4arch9wavefront6targetE0EEEvT1_,"axG",@progbits,_ZN7rocprim17ROCPRIM_400000_NS6detail17trampoline_kernelINS0_14default_configENS1_25partition_config_selectorILNS1_17partition_subalgoE6EiNS0_10empty_typeEbEEZZNS1_14partition_implILS5_6ELb0ES3_mN6thrust23THRUST_200600_302600_NS6detail15normal_iteratorINSA_10device_ptrIiEEEEPS6_SG_NS0_5tupleIJSF_S6_EEENSH_IJSG_SG_EEES6_PlJNSB_9not_fun_tINSB_14equal_to_valueIiEEEEEEE10hipError_tPvRmT3_T4_T5_T6_T7_T9_mT8_P12ihipStream_tbDpT10_ENKUlT_T0_E_clISt17integral_constantIbLb0EES17_IbLb1EEEEDaS13_S14_EUlS13_E_NS1_11comp_targetILNS1_3genE9ELNS1_11target_archE1100ELNS1_3gpuE3ELNS1_3repE0EEENS1_30default_config_static_selectorELNS0_4arch9wavefront6targetE0EEEvT1_,comdat
.Lfunc_end499:
	.size	_ZN7rocprim17ROCPRIM_400000_NS6detail17trampoline_kernelINS0_14default_configENS1_25partition_config_selectorILNS1_17partition_subalgoE6EiNS0_10empty_typeEbEEZZNS1_14partition_implILS5_6ELb0ES3_mN6thrust23THRUST_200600_302600_NS6detail15normal_iteratorINSA_10device_ptrIiEEEEPS6_SG_NS0_5tupleIJSF_S6_EEENSH_IJSG_SG_EEES6_PlJNSB_9not_fun_tINSB_14equal_to_valueIiEEEEEEE10hipError_tPvRmT3_T4_T5_T6_T7_T9_mT8_P12ihipStream_tbDpT10_ENKUlT_T0_E_clISt17integral_constantIbLb0EES17_IbLb1EEEEDaS13_S14_EUlS13_E_NS1_11comp_targetILNS1_3genE9ELNS1_11target_archE1100ELNS1_3gpuE3ELNS1_3repE0EEENS1_30default_config_static_selectorELNS0_4arch9wavefront6targetE0EEEvT1_, .Lfunc_end499-_ZN7rocprim17ROCPRIM_400000_NS6detail17trampoline_kernelINS0_14default_configENS1_25partition_config_selectorILNS1_17partition_subalgoE6EiNS0_10empty_typeEbEEZZNS1_14partition_implILS5_6ELb0ES3_mN6thrust23THRUST_200600_302600_NS6detail15normal_iteratorINSA_10device_ptrIiEEEEPS6_SG_NS0_5tupleIJSF_S6_EEENSH_IJSG_SG_EEES6_PlJNSB_9not_fun_tINSB_14equal_to_valueIiEEEEEEE10hipError_tPvRmT3_T4_T5_T6_T7_T9_mT8_P12ihipStream_tbDpT10_ENKUlT_T0_E_clISt17integral_constantIbLb0EES17_IbLb1EEEEDaS13_S14_EUlS13_E_NS1_11comp_targetILNS1_3genE9ELNS1_11target_archE1100ELNS1_3gpuE3ELNS1_3repE0EEENS1_30default_config_static_selectorELNS0_4arch9wavefront6targetE0EEEvT1_
                                        ; -- End function
	.set _ZN7rocprim17ROCPRIM_400000_NS6detail17trampoline_kernelINS0_14default_configENS1_25partition_config_selectorILNS1_17partition_subalgoE6EiNS0_10empty_typeEbEEZZNS1_14partition_implILS5_6ELb0ES3_mN6thrust23THRUST_200600_302600_NS6detail15normal_iteratorINSA_10device_ptrIiEEEEPS6_SG_NS0_5tupleIJSF_S6_EEENSH_IJSG_SG_EEES6_PlJNSB_9not_fun_tINSB_14equal_to_valueIiEEEEEEE10hipError_tPvRmT3_T4_T5_T6_T7_T9_mT8_P12ihipStream_tbDpT10_ENKUlT_T0_E_clISt17integral_constantIbLb0EES17_IbLb1EEEEDaS13_S14_EUlS13_E_NS1_11comp_targetILNS1_3genE9ELNS1_11target_archE1100ELNS1_3gpuE3ELNS1_3repE0EEENS1_30default_config_static_selectorELNS0_4arch9wavefront6targetE0EEEvT1_.num_vgpr, 0
	.set _ZN7rocprim17ROCPRIM_400000_NS6detail17trampoline_kernelINS0_14default_configENS1_25partition_config_selectorILNS1_17partition_subalgoE6EiNS0_10empty_typeEbEEZZNS1_14partition_implILS5_6ELb0ES3_mN6thrust23THRUST_200600_302600_NS6detail15normal_iteratorINSA_10device_ptrIiEEEEPS6_SG_NS0_5tupleIJSF_S6_EEENSH_IJSG_SG_EEES6_PlJNSB_9not_fun_tINSB_14equal_to_valueIiEEEEEEE10hipError_tPvRmT3_T4_T5_T6_T7_T9_mT8_P12ihipStream_tbDpT10_ENKUlT_T0_E_clISt17integral_constantIbLb0EES17_IbLb1EEEEDaS13_S14_EUlS13_E_NS1_11comp_targetILNS1_3genE9ELNS1_11target_archE1100ELNS1_3gpuE3ELNS1_3repE0EEENS1_30default_config_static_selectorELNS0_4arch9wavefront6targetE0EEEvT1_.num_agpr, 0
	.set _ZN7rocprim17ROCPRIM_400000_NS6detail17trampoline_kernelINS0_14default_configENS1_25partition_config_selectorILNS1_17partition_subalgoE6EiNS0_10empty_typeEbEEZZNS1_14partition_implILS5_6ELb0ES3_mN6thrust23THRUST_200600_302600_NS6detail15normal_iteratorINSA_10device_ptrIiEEEEPS6_SG_NS0_5tupleIJSF_S6_EEENSH_IJSG_SG_EEES6_PlJNSB_9not_fun_tINSB_14equal_to_valueIiEEEEEEE10hipError_tPvRmT3_T4_T5_T6_T7_T9_mT8_P12ihipStream_tbDpT10_ENKUlT_T0_E_clISt17integral_constantIbLb0EES17_IbLb1EEEEDaS13_S14_EUlS13_E_NS1_11comp_targetILNS1_3genE9ELNS1_11target_archE1100ELNS1_3gpuE3ELNS1_3repE0EEENS1_30default_config_static_selectorELNS0_4arch9wavefront6targetE0EEEvT1_.numbered_sgpr, 0
	.set _ZN7rocprim17ROCPRIM_400000_NS6detail17trampoline_kernelINS0_14default_configENS1_25partition_config_selectorILNS1_17partition_subalgoE6EiNS0_10empty_typeEbEEZZNS1_14partition_implILS5_6ELb0ES3_mN6thrust23THRUST_200600_302600_NS6detail15normal_iteratorINSA_10device_ptrIiEEEEPS6_SG_NS0_5tupleIJSF_S6_EEENSH_IJSG_SG_EEES6_PlJNSB_9not_fun_tINSB_14equal_to_valueIiEEEEEEE10hipError_tPvRmT3_T4_T5_T6_T7_T9_mT8_P12ihipStream_tbDpT10_ENKUlT_T0_E_clISt17integral_constantIbLb0EES17_IbLb1EEEEDaS13_S14_EUlS13_E_NS1_11comp_targetILNS1_3genE9ELNS1_11target_archE1100ELNS1_3gpuE3ELNS1_3repE0EEENS1_30default_config_static_selectorELNS0_4arch9wavefront6targetE0EEEvT1_.num_named_barrier, 0
	.set _ZN7rocprim17ROCPRIM_400000_NS6detail17trampoline_kernelINS0_14default_configENS1_25partition_config_selectorILNS1_17partition_subalgoE6EiNS0_10empty_typeEbEEZZNS1_14partition_implILS5_6ELb0ES3_mN6thrust23THRUST_200600_302600_NS6detail15normal_iteratorINSA_10device_ptrIiEEEEPS6_SG_NS0_5tupleIJSF_S6_EEENSH_IJSG_SG_EEES6_PlJNSB_9not_fun_tINSB_14equal_to_valueIiEEEEEEE10hipError_tPvRmT3_T4_T5_T6_T7_T9_mT8_P12ihipStream_tbDpT10_ENKUlT_T0_E_clISt17integral_constantIbLb0EES17_IbLb1EEEEDaS13_S14_EUlS13_E_NS1_11comp_targetILNS1_3genE9ELNS1_11target_archE1100ELNS1_3gpuE3ELNS1_3repE0EEENS1_30default_config_static_selectorELNS0_4arch9wavefront6targetE0EEEvT1_.private_seg_size, 0
	.set _ZN7rocprim17ROCPRIM_400000_NS6detail17trampoline_kernelINS0_14default_configENS1_25partition_config_selectorILNS1_17partition_subalgoE6EiNS0_10empty_typeEbEEZZNS1_14partition_implILS5_6ELb0ES3_mN6thrust23THRUST_200600_302600_NS6detail15normal_iteratorINSA_10device_ptrIiEEEEPS6_SG_NS0_5tupleIJSF_S6_EEENSH_IJSG_SG_EEES6_PlJNSB_9not_fun_tINSB_14equal_to_valueIiEEEEEEE10hipError_tPvRmT3_T4_T5_T6_T7_T9_mT8_P12ihipStream_tbDpT10_ENKUlT_T0_E_clISt17integral_constantIbLb0EES17_IbLb1EEEEDaS13_S14_EUlS13_E_NS1_11comp_targetILNS1_3genE9ELNS1_11target_archE1100ELNS1_3gpuE3ELNS1_3repE0EEENS1_30default_config_static_selectorELNS0_4arch9wavefront6targetE0EEEvT1_.uses_vcc, 0
	.set _ZN7rocprim17ROCPRIM_400000_NS6detail17trampoline_kernelINS0_14default_configENS1_25partition_config_selectorILNS1_17partition_subalgoE6EiNS0_10empty_typeEbEEZZNS1_14partition_implILS5_6ELb0ES3_mN6thrust23THRUST_200600_302600_NS6detail15normal_iteratorINSA_10device_ptrIiEEEEPS6_SG_NS0_5tupleIJSF_S6_EEENSH_IJSG_SG_EEES6_PlJNSB_9not_fun_tINSB_14equal_to_valueIiEEEEEEE10hipError_tPvRmT3_T4_T5_T6_T7_T9_mT8_P12ihipStream_tbDpT10_ENKUlT_T0_E_clISt17integral_constantIbLb0EES17_IbLb1EEEEDaS13_S14_EUlS13_E_NS1_11comp_targetILNS1_3genE9ELNS1_11target_archE1100ELNS1_3gpuE3ELNS1_3repE0EEENS1_30default_config_static_selectorELNS0_4arch9wavefront6targetE0EEEvT1_.uses_flat_scratch, 0
	.set _ZN7rocprim17ROCPRIM_400000_NS6detail17trampoline_kernelINS0_14default_configENS1_25partition_config_selectorILNS1_17partition_subalgoE6EiNS0_10empty_typeEbEEZZNS1_14partition_implILS5_6ELb0ES3_mN6thrust23THRUST_200600_302600_NS6detail15normal_iteratorINSA_10device_ptrIiEEEEPS6_SG_NS0_5tupleIJSF_S6_EEENSH_IJSG_SG_EEES6_PlJNSB_9not_fun_tINSB_14equal_to_valueIiEEEEEEE10hipError_tPvRmT3_T4_T5_T6_T7_T9_mT8_P12ihipStream_tbDpT10_ENKUlT_T0_E_clISt17integral_constantIbLb0EES17_IbLb1EEEEDaS13_S14_EUlS13_E_NS1_11comp_targetILNS1_3genE9ELNS1_11target_archE1100ELNS1_3gpuE3ELNS1_3repE0EEENS1_30default_config_static_selectorELNS0_4arch9wavefront6targetE0EEEvT1_.has_dyn_sized_stack, 0
	.set _ZN7rocprim17ROCPRIM_400000_NS6detail17trampoline_kernelINS0_14default_configENS1_25partition_config_selectorILNS1_17partition_subalgoE6EiNS0_10empty_typeEbEEZZNS1_14partition_implILS5_6ELb0ES3_mN6thrust23THRUST_200600_302600_NS6detail15normal_iteratorINSA_10device_ptrIiEEEEPS6_SG_NS0_5tupleIJSF_S6_EEENSH_IJSG_SG_EEES6_PlJNSB_9not_fun_tINSB_14equal_to_valueIiEEEEEEE10hipError_tPvRmT3_T4_T5_T6_T7_T9_mT8_P12ihipStream_tbDpT10_ENKUlT_T0_E_clISt17integral_constantIbLb0EES17_IbLb1EEEEDaS13_S14_EUlS13_E_NS1_11comp_targetILNS1_3genE9ELNS1_11target_archE1100ELNS1_3gpuE3ELNS1_3repE0EEENS1_30default_config_static_selectorELNS0_4arch9wavefront6targetE0EEEvT1_.has_recursion, 0
	.set _ZN7rocprim17ROCPRIM_400000_NS6detail17trampoline_kernelINS0_14default_configENS1_25partition_config_selectorILNS1_17partition_subalgoE6EiNS0_10empty_typeEbEEZZNS1_14partition_implILS5_6ELb0ES3_mN6thrust23THRUST_200600_302600_NS6detail15normal_iteratorINSA_10device_ptrIiEEEEPS6_SG_NS0_5tupleIJSF_S6_EEENSH_IJSG_SG_EEES6_PlJNSB_9not_fun_tINSB_14equal_to_valueIiEEEEEEE10hipError_tPvRmT3_T4_T5_T6_T7_T9_mT8_P12ihipStream_tbDpT10_ENKUlT_T0_E_clISt17integral_constantIbLb0EES17_IbLb1EEEEDaS13_S14_EUlS13_E_NS1_11comp_targetILNS1_3genE9ELNS1_11target_archE1100ELNS1_3gpuE3ELNS1_3repE0EEENS1_30default_config_static_selectorELNS0_4arch9wavefront6targetE0EEEvT1_.has_indirect_call, 0
	.section	.AMDGPU.csdata,"",@progbits
; Kernel info:
; codeLenInByte = 0
; TotalNumSgprs: 0
; NumVgprs: 0
; ScratchSize: 0
; MemoryBound: 0
; FloatMode: 240
; IeeeMode: 1
; LDSByteSize: 0 bytes/workgroup (compile time only)
; SGPRBlocks: 0
; VGPRBlocks: 0
; NumSGPRsForWavesPerEU: 1
; NumVGPRsForWavesPerEU: 1
; Occupancy: 16
; WaveLimiterHint : 0
; COMPUTE_PGM_RSRC2:SCRATCH_EN: 0
; COMPUTE_PGM_RSRC2:USER_SGPR: 2
; COMPUTE_PGM_RSRC2:TRAP_HANDLER: 0
; COMPUTE_PGM_RSRC2:TGID_X_EN: 1
; COMPUTE_PGM_RSRC2:TGID_Y_EN: 0
; COMPUTE_PGM_RSRC2:TGID_Z_EN: 0
; COMPUTE_PGM_RSRC2:TIDIG_COMP_CNT: 0
	.section	.text._ZN7rocprim17ROCPRIM_400000_NS6detail17trampoline_kernelINS0_14default_configENS1_25partition_config_selectorILNS1_17partition_subalgoE6EiNS0_10empty_typeEbEEZZNS1_14partition_implILS5_6ELb0ES3_mN6thrust23THRUST_200600_302600_NS6detail15normal_iteratorINSA_10device_ptrIiEEEEPS6_SG_NS0_5tupleIJSF_S6_EEENSH_IJSG_SG_EEES6_PlJNSB_9not_fun_tINSB_14equal_to_valueIiEEEEEEE10hipError_tPvRmT3_T4_T5_T6_T7_T9_mT8_P12ihipStream_tbDpT10_ENKUlT_T0_E_clISt17integral_constantIbLb0EES17_IbLb1EEEEDaS13_S14_EUlS13_E_NS1_11comp_targetILNS1_3genE8ELNS1_11target_archE1030ELNS1_3gpuE2ELNS1_3repE0EEENS1_30default_config_static_selectorELNS0_4arch9wavefront6targetE0EEEvT1_,"axG",@progbits,_ZN7rocprim17ROCPRIM_400000_NS6detail17trampoline_kernelINS0_14default_configENS1_25partition_config_selectorILNS1_17partition_subalgoE6EiNS0_10empty_typeEbEEZZNS1_14partition_implILS5_6ELb0ES3_mN6thrust23THRUST_200600_302600_NS6detail15normal_iteratorINSA_10device_ptrIiEEEEPS6_SG_NS0_5tupleIJSF_S6_EEENSH_IJSG_SG_EEES6_PlJNSB_9not_fun_tINSB_14equal_to_valueIiEEEEEEE10hipError_tPvRmT3_T4_T5_T6_T7_T9_mT8_P12ihipStream_tbDpT10_ENKUlT_T0_E_clISt17integral_constantIbLb0EES17_IbLb1EEEEDaS13_S14_EUlS13_E_NS1_11comp_targetILNS1_3genE8ELNS1_11target_archE1030ELNS1_3gpuE2ELNS1_3repE0EEENS1_30default_config_static_selectorELNS0_4arch9wavefront6targetE0EEEvT1_,comdat
	.protected	_ZN7rocprim17ROCPRIM_400000_NS6detail17trampoline_kernelINS0_14default_configENS1_25partition_config_selectorILNS1_17partition_subalgoE6EiNS0_10empty_typeEbEEZZNS1_14partition_implILS5_6ELb0ES3_mN6thrust23THRUST_200600_302600_NS6detail15normal_iteratorINSA_10device_ptrIiEEEEPS6_SG_NS0_5tupleIJSF_S6_EEENSH_IJSG_SG_EEES6_PlJNSB_9not_fun_tINSB_14equal_to_valueIiEEEEEEE10hipError_tPvRmT3_T4_T5_T6_T7_T9_mT8_P12ihipStream_tbDpT10_ENKUlT_T0_E_clISt17integral_constantIbLb0EES17_IbLb1EEEEDaS13_S14_EUlS13_E_NS1_11comp_targetILNS1_3genE8ELNS1_11target_archE1030ELNS1_3gpuE2ELNS1_3repE0EEENS1_30default_config_static_selectorELNS0_4arch9wavefront6targetE0EEEvT1_ ; -- Begin function _ZN7rocprim17ROCPRIM_400000_NS6detail17trampoline_kernelINS0_14default_configENS1_25partition_config_selectorILNS1_17partition_subalgoE6EiNS0_10empty_typeEbEEZZNS1_14partition_implILS5_6ELb0ES3_mN6thrust23THRUST_200600_302600_NS6detail15normal_iteratorINSA_10device_ptrIiEEEEPS6_SG_NS0_5tupleIJSF_S6_EEENSH_IJSG_SG_EEES6_PlJNSB_9not_fun_tINSB_14equal_to_valueIiEEEEEEE10hipError_tPvRmT3_T4_T5_T6_T7_T9_mT8_P12ihipStream_tbDpT10_ENKUlT_T0_E_clISt17integral_constantIbLb0EES17_IbLb1EEEEDaS13_S14_EUlS13_E_NS1_11comp_targetILNS1_3genE8ELNS1_11target_archE1030ELNS1_3gpuE2ELNS1_3repE0EEENS1_30default_config_static_selectorELNS0_4arch9wavefront6targetE0EEEvT1_
	.globl	_ZN7rocprim17ROCPRIM_400000_NS6detail17trampoline_kernelINS0_14default_configENS1_25partition_config_selectorILNS1_17partition_subalgoE6EiNS0_10empty_typeEbEEZZNS1_14partition_implILS5_6ELb0ES3_mN6thrust23THRUST_200600_302600_NS6detail15normal_iteratorINSA_10device_ptrIiEEEEPS6_SG_NS0_5tupleIJSF_S6_EEENSH_IJSG_SG_EEES6_PlJNSB_9not_fun_tINSB_14equal_to_valueIiEEEEEEE10hipError_tPvRmT3_T4_T5_T6_T7_T9_mT8_P12ihipStream_tbDpT10_ENKUlT_T0_E_clISt17integral_constantIbLb0EES17_IbLb1EEEEDaS13_S14_EUlS13_E_NS1_11comp_targetILNS1_3genE8ELNS1_11target_archE1030ELNS1_3gpuE2ELNS1_3repE0EEENS1_30default_config_static_selectorELNS0_4arch9wavefront6targetE0EEEvT1_
	.p2align	8
	.type	_ZN7rocprim17ROCPRIM_400000_NS6detail17trampoline_kernelINS0_14default_configENS1_25partition_config_selectorILNS1_17partition_subalgoE6EiNS0_10empty_typeEbEEZZNS1_14partition_implILS5_6ELb0ES3_mN6thrust23THRUST_200600_302600_NS6detail15normal_iteratorINSA_10device_ptrIiEEEEPS6_SG_NS0_5tupleIJSF_S6_EEENSH_IJSG_SG_EEES6_PlJNSB_9not_fun_tINSB_14equal_to_valueIiEEEEEEE10hipError_tPvRmT3_T4_T5_T6_T7_T9_mT8_P12ihipStream_tbDpT10_ENKUlT_T0_E_clISt17integral_constantIbLb0EES17_IbLb1EEEEDaS13_S14_EUlS13_E_NS1_11comp_targetILNS1_3genE8ELNS1_11target_archE1030ELNS1_3gpuE2ELNS1_3repE0EEENS1_30default_config_static_selectorELNS0_4arch9wavefront6targetE0EEEvT1_,@function
_ZN7rocprim17ROCPRIM_400000_NS6detail17trampoline_kernelINS0_14default_configENS1_25partition_config_selectorILNS1_17partition_subalgoE6EiNS0_10empty_typeEbEEZZNS1_14partition_implILS5_6ELb0ES3_mN6thrust23THRUST_200600_302600_NS6detail15normal_iteratorINSA_10device_ptrIiEEEEPS6_SG_NS0_5tupleIJSF_S6_EEENSH_IJSG_SG_EEES6_PlJNSB_9not_fun_tINSB_14equal_to_valueIiEEEEEEE10hipError_tPvRmT3_T4_T5_T6_T7_T9_mT8_P12ihipStream_tbDpT10_ENKUlT_T0_E_clISt17integral_constantIbLb0EES17_IbLb1EEEEDaS13_S14_EUlS13_E_NS1_11comp_targetILNS1_3genE8ELNS1_11target_archE1030ELNS1_3gpuE2ELNS1_3repE0EEENS1_30default_config_static_selectorELNS0_4arch9wavefront6targetE0EEEvT1_: ; @_ZN7rocprim17ROCPRIM_400000_NS6detail17trampoline_kernelINS0_14default_configENS1_25partition_config_selectorILNS1_17partition_subalgoE6EiNS0_10empty_typeEbEEZZNS1_14partition_implILS5_6ELb0ES3_mN6thrust23THRUST_200600_302600_NS6detail15normal_iteratorINSA_10device_ptrIiEEEEPS6_SG_NS0_5tupleIJSF_S6_EEENSH_IJSG_SG_EEES6_PlJNSB_9not_fun_tINSB_14equal_to_valueIiEEEEEEE10hipError_tPvRmT3_T4_T5_T6_T7_T9_mT8_P12ihipStream_tbDpT10_ENKUlT_T0_E_clISt17integral_constantIbLb0EES17_IbLb1EEEEDaS13_S14_EUlS13_E_NS1_11comp_targetILNS1_3genE8ELNS1_11target_archE1030ELNS1_3gpuE2ELNS1_3repE0EEENS1_30default_config_static_selectorELNS0_4arch9wavefront6targetE0EEEvT1_
; %bb.0:
	.section	.rodata,"a",@progbits
	.p2align	6, 0x0
	.amdhsa_kernel _ZN7rocprim17ROCPRIM_400000_NS6detail17trampoline_kernelINS0_14default_configENS1_25partition_config_selectorILNS1_17partition_subalgoE6EiNS0_10empty_typeEbEEZZNS1_14partition_implILS5_6ELb0ES3_mN6thrust23THRUST_200600_302600_NS6detail15normal_iteratorINSA_10device_ptrIiEEEEPS6_SG_NS0_5tupleIJSF_S6_EEENSH_IJSG_SG_EEES6_PlJNSB_9not_fun_tINSB_14equal_to_valueIiEEEEEEE10hipError_tPvRmT3_T4_T5_T6_T7_T9_mT8_P12ihipStream_tbDpT10_ENKUlT_T0_E_clISt17integral_constantIbLb0EES17_IbLb1EEEEDaS13_S14_EUlS13_E_NS1_11comp_targetILNS1_3genE8ELNS1_11target_archE1030ELNS1_3gpuE2ELNS1_3repE0EEENS1_30default_config_static_selectorELNS0_4arch9wavefront6targetE0EEEvT1_
		.amdhsa_group_segment_fixed_size 0
		.amdhsa_private_segment_fixed_size 0
		.amdhsa_kernarg_size 128
		.amdhsa_user_sgpr_count 2
		.amdhsa_user_sgpr_dispatch_ptr 0
		.amdhsa_user_sgpr_queue_ptr 0
		.amdhsa_user_sgpr_kernarg_segment_ptr 1
		.amdhsa_user_sgpr_dispatch_id 0
		.amdhsa_user_sgpr_private_segment_size 0
		.amdhsa_wavefront_size32 1
		.amdhsa_uses_dynamic_stack 0
		.amdhsa_enable_private_segment 0
		.amdhsa_system_sgpr_workgroup_id_x 1
		.amdhsa_system_sgpr_workgroup_id_y 0
		.amdhsa_system_sgpr_workgroup_id_z 0
		.amdhsa_system_sgpr_workgroup_info 0
		.amdhsa_system_vgpr_workitem_id 0
		.amdhsa_next_free_vgpr 1
		.amdhsa_next_free_sgpr 1
		.amdhsa_reserve_vcc 0
		.amdhsa_float_round_mode_32 0
		.amdhsa_float_round_mode_16_64 0
		.amdhsa_float_denorm_mode_32 3
		.amdhsa_float_denorm_mode_16_64 3
		.amdhsa_fp16_overflow 0
		.amdhsa_workgroup_processor_mode 1
		.amdhsa_memory_ordered 1
		.amdhsa_forward_progress 1
		.amdhsa_inst_pref_size 0
		.amdhsa_round_robin_scheduling 0
		.amdhsa_exception_fp_ieee_invalid_op 0
		.amdhsa_exception_fp_denorm_src 0
		.amdhsa_exception_fp_ieee_div_zero 0
		.amdhsa_exception_fp_ieee_overflow 0
		.amdhsa_exception_fp_ieee_underflow 0
		.amdhsa_exception_fp_ieee_inexact 0
		.amdhsa_exception_int_div_zero 0
	.end_amdhsa_kernel
	.section	.text._ZN7rocprim17ROCPRIM_400000_NS6detail17trampoline_kernelINS0_14default_configENS1_25partition_config_selectorILNS1_17partition_subalgoE6EiNS0_10empty_typeEbEEZZNS1_14partition_implILS5_6ELb0ES3_mN6thrust23THRUST_200600_302600_NS6detail15normal_iteratorINSA_10device_ptrIiEEEEPS6_SG_NS0_5tupleIJSF_S6_EEENSH_IJSG_SG_EEES6_PlJNSB_9not_fun_tINSB_14equal_to_valueIiEEEEEEE10hipError_tPvRmT3_T4_T5_T6_T7_T9_mT8_P12ihipStream_tbDpT10_ENKUlT_T0_E_clISt17integral_constantIbLb0EES17_IbLb1EEEEDaS13_S14_EUlS13_E_NS1_11comp_targetILNS1_3genE8ELNS1_11target_archE1030ELNS1_3gpuE2ELNS1_3repE0EEENS1_30default_config_static_selectorELNS0_4arch9wavefront6targetE0EEEvT1_,"axG",@progbits,_ZN7rocprim17ROCPRIM_400000_NS6detail17trampoline_kernelINS0_14default_configENS1_25partition_config_selectorILNS1_17partition_subalgoE6EiNS0_10empty_typeEbEEZZNS1_14partition_implILS5_6ELb0ES3_mN6thrust23THRUST_200600_302600_NS6detail15normal_iteratorINSA_10device_ptrIiEEEEPS6_SG_NS0_5tupleIJSF_S6_EEENSH_IJSG_SG_EEES6_PlJNSB_9not_fun_tINSB_14equal_to_valueIiEEEEEEE10hipError_tPvRmT3_T4_T5_T6_T7_T9_mT8_P12ihipStream_tbDpT10_ENKUlT_T0_E_clISt17integral_constantIbLb0EES17_IbLb1EEEEDaS13_S14_EUlS13_E_NS1_11comp_targetILNS1_3genE8ELNS1_11target_archE1030ELNS1_3gpuE2ELNS1_3repE0EEENS1_30default_config_static_selectorELNS0_4arch9wavefront6targetE0EEEvT1_,comdat
.Lfunc_end500:
	.size	_ZN7rocprim17ROCPRIM_400000_NS6detail17trampoline_kernelINS0_14default_configENS1_25partition_config_selectorILNS1_17partition_subalgoE6EiNS0_10empty_typeEbEEZZNS1_14partition_implILS5_6ELb0ES3_mN6thrust23THRUST_200600_302600_NS6detail15normal_iteratorINSA_10device_ptrIiEEEEPS6_SG_NS0_5tupleIJSF_S6_EEENSH_IJSG_SG_EEES6_PlJNSB_9not_fun_tINSB_14equal_to_valueIiEEEEEEE10hipError_tPvRmT3_T4_T5_T6_T7_T9_mT8_P12ihipStream_tbDpT10_ENKUlT_T0_E_clISt17integral_constantIbLb0EES17_IbLb1EEEEDaS13_S14_EUlS13_E_NS1_11comp_targetILNS1_3genE8ELNS1_11target_archE1030ELNS1_3gpuE2ELNS1_3repE0EEENS1_30default_config_static_selectorELNS0_4arch9wavefront6targetE0EEEvT1_, .Lfunc_end500-_ZN7rocprim17ROCPRIM_400000_NS6detail17trampoline_kernelINS0_14default_configENS1_25partition_config_selectorILNS1_17partition_subalgoE6EiNS0_10empty_typeEbEEZZNS1_14partition_implILS5_6ELb0ES3_mN6thrust23THRUST_200600_302600_NS6detail15normal_iteratorINSA_10device_ptrIiEEEEPS6_SG_NS0_5tupleIJSF_S6_EEENSH_IJSG_SG_EEES6_PlJNSB_9not_fun_tINSB_14equal_to_valueIiEEEEEEE10hipError_tPvRmT3_T4_T5_T6_T7_T9_mT8_P12ihipStream_tbDpT10_ENKUlT_T0_E_clISt17integral_constantIbLb0EES17_IbLb1EEEEDaS13_S14_EUlS13_E_NS1_11comp_targetILNS1_3genE8ELNS1_11target_archE1030ELNS1_3gpuE2ELNS1_3repE0EEENS1_30default_config_static_selectorELNS0_4arch9wavefront6targetE0EEEvT1_
                                        ; -- End function
	.set _ZN7rocprim17ROCPRIM_400000_NS6detail17trampoline_kernelINS0_14default_configENS1_25partition_config_selectorILNS1_17partition_subalgoE6EiNS0_10empty_typeEbEEZZNS1_14partition_implILS5_6ELb0ES3_mN6thrust23THRUST_200600_302600_NS6detail15normal_iteratorINSA_10device_ptrIiEEEEPS6_SG_NS0_5tupleIJSF_S6_EEENSH_IJSG_SG_EEES6_PlJNSB_9not_fun_tINSB_14equal_to_valueIiEEEEEEE10hipError_tPvRmT3_T4_T5_T6_T7_T9_mT8_P12ihipStream_tbDpT10_ENKUlT_T0_E_clISt17integral_constantIbLb0EES17_IbLb1EEEEDaS13_S14_EUlS13_E_NS1_11comp_targetILNS1_3genE8ELNS1_11target_archE1030ELNS1_3gpuE2ELNS1_3repE0EEENS1_30default_config_static_selectorELNS0_4arch9wavefront6targetE0EEEvT1_.num_vgpr, 0
	.set _ZN7rocprim17ROCPRIM_400000_NS6detail17trampoline_kernelINS0_14default_configENS1_25partition_config_selectorILNS1_17partition_subalgoE6EiNS0_10empty_typeEbEEZZNS1_14partition_implILS5_6ELb0ES3_mN6thrust23THRUST_200600_302600_NS6detail15normal_iteratorINSA_10device_ptrIiEEEEPS6_SG_NS0_5tupleIJSF_S6_EEENSH_IJSG_SG_EEES6_PlJNSB_9not_fun_tINSB_14equal_to_valueIiEEEEEEE10hipError_tPvRmT3_T4_T5_T6_T7_T9_mT8_P12ihipStream_tbDpT10_ENKUlT_T0_E_clISt17integral_constantIbLb0EES17_IbLb1EEEEDaS13_S14_EUlS13_E_NS1_11comp_targetILNS1_3genE8ELNS1_11target_archE1030ELNS1_3gpuE2ELNS1_3repE0EEENS1_30default_config_static_selectorELNS0_4arch9wavefront6targetE0EEEvT1_.num_agpr, 0
	.set _ZN7rocprim17ROCPRIM_400000_NS6detail17trampoline_kernelINS0_14default_configENS1_25partition_config_selectorILNS1_17partition_subalgoE6EiNS0_10empty_typeEbEEZZNS1_14partition_implILS5_6ELb0ES3_mN6thrust23THRUST_200600_302600_NS6detail15normal_iteratorINSA_10device_ptrIiEEEEPS6_SG_NS0_5tupleIJSF_S6_EEENSH_IJSG_SG_EEES6_PlJNSB_9not_fun_tINSB_14equal_to_valueIiEEEEEEE10hipError_tPvRmT3_T4_T5_T6_T7_T9_mT8_P12ihipStream_tbDpT10_ENKUlT_T0_E_clISt17integral_constantIbLb0EES17_IbLb1EEEEDaS13_S14_EUlS13_E_NS1_11comp_targetILNS1_3genE8ELNS1_11target_archE1030ELNS1_3gpuE2ELNS1_3repE0EEENS1_30default_config_static_selectorELNS0_4arch9wavefront6targetE0EEEvT1_.numbered_sgpr, 0
	.set _ZN7rocprim17ROCPRIM_400000_NS6detail17trampoline_kernelINS0_14default_configENS1_25partition_config_selectorILNS1_17partition_subalgoE6EiNS0_10empty_typeEbEEZZNS1_14partition_implILS5_6ELb0ES3_mN6thrust23THRUST_200600_302600_NS6detail15normal_iteratorINSA_10device_ptrIiEEEEPS6_SG_NS0_5tupleIJSF_S6_EEENSH_IJSG_SG_EEES6_PlJNSB_9not_fun_tINSB_14equal_to_valueIiEEEEEEE10hipError_tPvRmT3_T4_T5_T6_T7_T9_mT8_P12ihipStream_tbDpT10_ENKUlT_T0_E_clISt17integral_constantIbLb0EES17_IbLb1EEEEDaS13_S14_EUlS13_E_NS1_11comp_targetILNS1_3genE8ELNS1_11target_archE1030ELNS1_3gpuE2ELNS1_3repE0EEENS1_30default_config_static_selectorELNS0_4arch9wavefront6targetE0EEEvT1_.num_named_barrier, 0
	.set _ZN7rocprim17ROCPRIM_400000_NS6detail17trampoline_kernelINS0_14default_configENS1_25partition_config_selectorILNS1_17partition_subalgoE6EiNS0_10empty_typeEbEEZZNS1_14partition_implILS5_6ELb0ES3_mN6thrust23THRUST_200600_302600_NS6detail15normal_iteratorINSA_10device_ptrIiEEEEPS6_SG_NS0_5tupleIJSF_S6_EEENSH_IJSG_SG_EEES6_PlJNSB_9not_fun_tINSB_14equal_to_valueIiEEEEEEE10hipError_tPvRmT3_T4_T5_T6_T7_T9_mT8_P12ihipStream_tbDpT10_ENKUlT_T0_E_clISt17integral_constantIbLb0EES17_IbLb1EEEEDaS13_S14_EUlS13_E_NS1_11comp_targetILNS1_3genE8ELNS1_11target_archE1030ELNS1_3gpuE2ELNS1_3repE0EEENS1_30default_config_static_selectorELNS0_4arch9wavefront6targetE0EEEvT1_.private_seg_size, 0
	.set _ZN7rocprim17ROCPRIM_400000_NS6detail17trampoline_kernelINS0_14default_configENS1_25partition_config_selectorILNS1_17partition_subalgoE6EiNS0_10empty_typeEbEEZZNS1_14partition_implILS5_6ELb0ES3_mN6thrust23THRUST_200600_302600_NS6detail15normal_iteratorINSA_10device_ptrIiEEEEPS6_SG_NS0_5tupleIJSF_S6_EEENSH_IJSG_SG_EEES6_PlJNSB_9not_fun_tINSB_14equal_to_valueIiEEEEEEE10hipError_tPvRmT3_T4_T5_T6_T7_T9_mT8_P12ihipStream_tbDpT10_ENKUlT_T0_E_clISt17integral_constantIbLb0EES17_IbLb1EEEEDaS13_S14_EUlS13_E_NS1_11comp_targetILNS1_3genE8ELNS1_11target_archE1030ELNS1_3gpuE2ELNS1_3repE0EEENS1_30default_config_static_selectorELNS0_4arch9wavefront6targetE0EEEvT1_.uses_vcc, 0
	.set _ZN7rocprim17ROCPRIM_400000_NS6detail17trampoline_kernelINS0_14default_configENS1_25partition_config_selectorILNS1_17partition_subalgoE6EiNS0_10empty_typeEbEEZZNS1_14partition_implILS5_6ELb0ES3_mN6thrust23THRUST_200600_302600_NS6detail15normal_iteratorINSA_10device_ptrIiEEEEPS6_SG_NS0_5tupleIJSF_S6_EEENSH_IJSG_SG_EEES6_PlJNSB_9not_fun_tINSB_14equal_to_valueIiEEEEEEE10hipError_tPvRmT3_T4_T5_T6_T7_T9_mT8_P12ihipStream_tbDpT10_ENKUlT_T0_E_clISt17integral_constantIbLb0EES17_IbLb1EEEEDaS13_S14_EUlS13_E_NS1_11comp_targetILNS1_3genE8ELNS1_11target_archE1030ELNS1_3gpuE2ELNS1_3repE0EEENS1_30default_config_static_selectorELNS0_4arch9wavefront6targetE0EEEvT1_.uses_flat_scratch, 0
	.set _ZN7rocprim17ROCPRIM_400000_NS6detail17trampoline_kernelINS0_14default_configENS1_25partition_config_selectorILNS1_17partition_subalgoE6EiNS0_10empty_typeEbEEZZNS1_14partition_implILS5_6ELb0ES3_mN6thrust23THRUST_200600_302600_NS6detail15normal_iteratorINSA_10device_ptrIiEEEEPS6_SG_NS0_5tupleIJSF_S6_EEENSH_IJSG_SG_EEES6_PlJNSB_9not_fun_tINSB_14equal_to_valueIiEEEEEEE10hipError_tPvRmT3_T4_T5_T6_T7_T9_mT8_P12ihipStream_tbDpT10_ENKUlT_T0_E_clISt17integral_constantIbLb0EES17_IbLb1EEEEDaS13_S14_EUlS13_E_NS1_11comp_targetILNS1_3genE8ELNS1_11target_archE1030ELNS1_3gpuE2ELNS1_3repE0EEENS1_30default_config_static_selectorELNS0_4arch9wavefront6targetE0EEEvT1_.has_dyn_sized_stack, 0
	.set _ZN7rocprim17ROCPRIM_400000_NS6detail17trampoline_kernelINS0_14default_configENS1_25partition_config_selectorILNS1_17partition_subalgoE6EiNS0_10empty_typeEbEEZZNS1_14partition_implILS5_6ELb0ES3_mN6thrust23THRUST_200600_302600_NS6detail15normal_iteratorINSA_10device_ptrIiEEEEPS6_SG_NS0_5tupleIJSF_S6_EEENSH_IJSG_SG_EEES6_PlJNSB_9not_fun_tINSB_14equal_to_valueIiEEEEEEE10hipError_tPvRmT3_T4_T5_T6_T7_T9_mT8_P12ihipStream_tbDpT10_ENKUlT_T0_E_clISt17integral_constantIbLb0EES17_IbLb1EEEEDaS13_S14_EUlS13_E_NS1_11comp_targetILNS1_3genE8ELNS1_11target_archE1030ELNS1_3gpuE2ELNS1_3repE0EEENS1_30default_config_static_selectorELNS0_4arch9wavefront6targetE0EEEvT1_.has_recursion, 0
	.set _ZN7rocprim17ROCPRIM_400000_NS6detail17trampoline_kernelINS0_14default_configENS1_25partition_config_selectorILNS1_17partition_subalgoE6EiNS0_10empty_typeEbEEZZNS1_14partition_implILS5_6ELb0ES3_mN6thrust23THRUST_200600_302600_NS6detail15normal_iteratorINSA_10device_ptrIiEEEEPS6_SG_NS0_5tupleIJSF_S6_EEENSH_IJSG_SG_EEES6_PlJNSB_9not_fun_tINSB_14equal_to_valueIiEEEEEEE10hipError_tPvRmT3_T4_T5_T6_T7_T9_mT8_P12ihipStream_tbDpT10_ENKUlT_T0_E_clISt17integral_constantIbLb0EES17_IbLb1EEEEDaS13_S14_EUlS13_E_NS1_11comp_targetILNS1_3genE8ELNS1_11target_archE1030ELNS1_3gpuE2ELNS1_3repE0EEENS1_30default_config_static_selectorELNS0_4arch9wavefront6targetE0EEEvT1_.has_indirect_call, 0
	.section	.AMDGPU.csdata,"",@progbits
; Kernel info:
; codeLenInByte = 0
; TotalNumSgprs: 0
; NumVgprs: 0
; ScratchSize: 0
; MemoryBound: 0
; FloatMode: 240
; IeeeMode: 1
; LDSByteSize: 0 bytes/workgroup (compile time only)
; SGPRBlocks: 0
; VGPRBlocks: 0
; NumSGPRsForWavesPerEU: 1
; NumVGPRsForWavesPerEU: 1
; Occupancy: 16
; WaveLimiterHint : 0
; COMPUTE_PGM_RSRC2:SCRATCH_EN: 0
; COMPUTE_PGM_RSRC2:USER_SGPR: 2
; COMPUTE_PGM_RSRC2:TRAP_HANDLER: 0
; COMPUTE_PGM_RSRC2:TGID_X_EN: 1
; COMPUTE_PGM_RSRC2:TGID_Y_EN: 0
; COMPUTE_PGM_RSRC2:TGID_Z_EN: 0
; COMPUTE_PGM_RSRC2:TIDIG_COMP_CNT: 0
	.section	.text._ZN7rocprim17ROCPRIM_400000_NS6detail17trampoline_kernelINS0_14default_configENS1_25partition_config_selectorILNS1_17partition_subalgoE6EsNS0_10empty_typeEbEEZZNS1_14partition_implILS5_6ELb0ES3_mN6thrust23THRUST_200600_302600_NS6detail15normal_iteratorINSA_10device_ptrIsEEEEPS6_SG_NS0_5tupleIJSF_S6_EEENSH_IJSG_SG_EEES6_PlJNSB_9not_fun_tINSB_14equal_to_valueIsEEEEEEE10hipError_tPvRmT3_T4_T5_T6_T7_T9_mT8_P12ihipStream_tbDpT10_ENKUlT_T0_E_clISt17integral_constantIbLb0EES18_EEDaS13_S14_EUlS13_E_NS1_11comp_targetILNS1_3genE0ELNS1_11target_archE4294967295ELNS1_3gpuE0ELNS1_3repE0EEENS1_30default_config_static_selectorELNS0_4arch9wavefront6targetE0EEEvT1_,"axG",@progbits,_ZN7rocprim17ROCPRIM_400000_NS6detail17trampoline_kernelINS0_14default_configENS1_25partition_config_selectorILNS1_17partition_subalgoE6EsNS0_10empty_typeEbEEZZNS1_14partition_implILS5_6ELb0ES3_mN6thrust23THRUST_200600_302600_NS6detail15normal_iteratorINSA_10device_ptrIsEEEEPS6_SG_NS0_5tupleIJSF_S6_EEENSH_IJSG_SG_EEES6_PlJNSB_9not_fun_tINSB_14equal_to_valueIsEEEEEEE10hipError_tPvRmT3_T4_T5_T6_T7_T9_mT8_P12ihipStream_tbDpT10_ENKUlT_T0_E_clISt17integral_constantIbLb0EES18_EEDaS13_S14_EUlS13_E_NS1_11comp_targetILNS1_3genE0ELNS1_11target_archE4294967295ELNS1_3gpuE0ELNS1_3repE0EEENS1_30default_config_static_selectorELNS0_4arch9wavefront6targetE0EEEvT1_,comdat
	.protected	_ZN7rocprim17ROCPRIM_400000_NS6detail17trampoline_kernelINS0_14default_configENS1_25partition_config_selectorILNS1_17partition_subalgoE6EsNS0_10empty_typeEbEEZZNS1_14partition_implILS5_6ELb0ES3_mN6thrust23THRUST_200600_302600_NS6detail15normal_iteratorINSA_10device_ptrIsEEEEPS6_SG_NS0_5tupleIJSF_S6_EEENSH_IJSG_SG_EEES6_PlJNSB_9not_fun_tINSB_14equal_to_valueIsEEEEEEE10hipError_tPvRmT3_T4_T5_T6_T7_T9_mT8_P12ihipStream_tbDpT10_ENKUlT_T0_E_clISt17integral_constantIbLb0EES18_EEDaS13_S14_EUlS13_E_NS1_11comp_targetILNS1_3genE0ELNS1_11target_archE4294967295ELNS1_3gpuE0ELNS1_3repE0EEENS1_30default_config_static_selectorELNS0_4arch9wavefront6targetE0EEEvT1_ ; -- Begin function _ZN7rocprim17ROCPRIM_400000_NS6detail17trampoline_kernelINS0_14default_configENS1_25partition_config_selectorILNS1_17partition_subalgoE6EsNS0_10empty_typeEbEEZZNS1_14partition_implILS5_6ELb0ES3_mN6thrust23THRUST_200600_302600_NS6detail15normal_iteratorINSA_10device_ptrIsEEEEPS6_SG_NS0_5tupleIJSF_S6_EEENSH_IJSG_SG_EEES6_PlJNSB_9not_fun_tINSB_14equal_to_valueIsEEEEEEE10hipError_tPvRmT3_T4_T5_T6_T7_T9_mT8_P12ihipStream_tbDpT10_ENKUlT_T0_E_clISt17integral_constantIbLb0EES18_EEDaS13_S14_EUlS13_E_NS1_11comp_targetILNS1_3genE0ELNS1_11target_archE4294967295ELNS1_3gpuE0ELNS1_3repE0EEENS1_30default_config_static_selectorELNS0_4arch9wavefront6targetE0EEEvT1_
	.globl	_ZN7rocprim17ROCPRIM_400000_NS6detail17trampoline_kernelINS0_14default_configENS1_25partition_config_selectorILNS1_17partition_subalgoE6EsNS0_10empty_typeEbEEZZNS1_14partition_implILS5_6ELb0ES3_mN6thrust23THRUST_200600_302600_NS6detail15normal_iteratorINSA_10device_ptrIsEEEEPS6_SG_NS0_5tupleIJSF_S6_EEENSH_IJSG_SG_EEES6_PlJNSB_9not_fun_tINSB_14equal_to_valueIsEEEEEEE10hipError_tPvRmT3_T4_T5_T6_T7_T9_mT8_P12ihipStream_tbDpT10_ENKUlT_T0_E_clISt17integral_constantIbLb0EES18_EEDaS13_S14_EUlS13_E_NS1_11comp_targetILNS1_3genE0ELNS1_11target_archE4294967295ELNS1_3gpuE0ELNS1_3repE0EEENS1_30default_config_static_selectorELNS0_4arch9wavefront6targetE0EEEvT1_
	.p2align	8
	.type	_ZN7rocprim17ROCPRIM_400000_NS6detail17trampoline_kernelINS0_14default_configENS1_25partition_config_selectorILNS1_17partition_subalgoE6EsNS0_10empty_typeEbEEZZNS1_14partition_implILS5_6ELb0ES3_mN6thrust23THRUST_200600_302600_NS6detail15normal_iteratorINSA_10device_ptrIsEEEEPS6_SG_NS0_5tupleIJSF_S6_EEENSH_IJSG_SG_EEES6_PlJNSB_9not_fun_tINSB_14equal_to_valueIsEEEEEEE10hipError_tPvRmT3_T4_T5_T6_T7_T9_mT8_P12ihipStream_tbDpT10_ENKUlT_T0_E_clISt17integral_constantIbLb0EES18_EEDaS13_S14_EUlS13_E_NS1_11comp_targetILNS1_3genE0ELNS1_11target_archE4294967295ELNS1_3gpuE0ELNS1_3repE0EEENS1_30default_config_static_selectorELNS0_4arch9wavefront6targetE0EEEvT1_,@function
_ZN7rocprim17ROCPRIM_400000_NS6detail17trampoline_kernelINS0_14default_configENS1_25partition_config_selectorILNS1_17partition_subalgoE6EsNS0_10empty_typeEbEEZZNS1_14partition_implILS5_6ELb0ES3_mN6thrust23THRUST_200600_302600_NS6detail15normal_iteratorINSA_10device_ptrIsEEEEPS6_SG_NS0_5tupleIJSF_S6_EEENSH_IJSG_SG_EEES6_PlJNSB_9not_fun_tINSB_14equal_to_valueIsEEEEEEE10hipError_tPvRmT3_T4_T5_T6_T7_T9_mT8_P12ihipStream_tbDpT10_ENKUlT_T0_E_clISt17integral_constantIbLb0EES18_EEDaS13_S14_EUlS13_E_NS1_11comp_targetILNS1_3genE0ELNS1_11target_archE4294967295ELNS1_3gpuE0ELNS1_3repE0EEENS1_30default_config_static_selectorELNS0_4arch9wavefront6targetE0EEEvT1_: ; @_ZN7rocprim17ROCPRIM_400000_NS6detail17trampoline_kernelINS0_14default_configENS1_25partition_config_selectorILNS1_17partition_subalgoE6EsNS0_10empty_typeEbEEZZNS1_14partition_implILS5_6ELb0ES3_mN6thrust23THRUST_200600_302600_NS6detail15normal_iteratorINSA_10device_ptrIsEEEEPS6_SG_NS0_5tupleIJSF_S6_EEENSH_IJSG_SG_EEES6_PlJNSB_9not_fun_tINSB_14equal_to_valueIsEEEEEEE10hipError_tPvRmT3_T4_T5_T6_T7_T9_mT8_P12ihipStream_tbDpT10_ENKUlT_T0_E_clISt17integral_constantIbLb0EES18_EEDaS13_S14_EUlS13_E_NS1_11comp_targetILNS1_3genE0ELNS1_11target_archE4294967295ELNS1_3gpuE0ELNS1_3repE0EEENS1_30default_config_static_selectorELNS0_4arch9wavefront6targetE0EEEvT1_
; %bb.0:
	.section	.rodata,"a",@progbits
	.p2align	6, 0x0
	.amdhsa_kernel _ZN7rocprim17ROCPRIM_400000_NS6detail17trampoline_kernelINS0_14default_configENS1_25partition_config_selectorILNS1_17partition_subalgoE6EsNS0_10empty_typeEbEEZZNS1_14partition_implILS5_6ELb0ES3_mN6thrust23THRUST_200600_302600_NS6detail15normal_iteratorINSA_10device_ptrIsEEEEPS6_SG_NS0_5tupleIJSF_S6_EEENSH_IJSG_SG_EEES6_PlJNSB_9not_fun_tINSB_14equal_to_valueIsEEEEEEE10hipError_tPvRmT3_T4_T5_T6_T7_T9_mT8_P12ihipStream_tbDpT10_ENKUlT_T0_E_clISt17integral_constantIbLb0EES18_EEDaS13_S14_EUlS13_E_NS1_11comp_targetILNS1_3genE0ELNS1_11target_archE4294967295ELNS1_3gpuE0ELNS1_3repE0EEENS1_30default_config_static_selectorELNS0_4arch9wavefront6targetE0EEEvT1_
		.amdhsa_group_segment_fixed_size 0
		.amdhsa_private_segment_fixed_size 0
		.amdhsa_kernarg_size 112
		.amdhsa_user_sgpr_count 2
		.amdhsa_user_sgpr_dispatch_ptr 0
		.amdhsa_user_sgpr_queue_ptr 0
		.amdhsa_user_sgpr_kernarg_segment_ptr 1
		.amdhsa_user_sgpr_dispatch_id 0
		.amdhsa_user_sgpr_private_segment_size 0
		.amdhsa_wavefront_size32 1
		.amdhsa_uses_dynamic_stack 0
		.amdhsa_enable_private_segment 0
		.amdhsa_system_sgpr_workgroup_id_x 1
		.amdhsa_system_sgpr_workgroup_id_y 0
		.amdhsa_system_sgpr_workgroup_id_z 0
		.amdhsa_system_sgpr_workgroup_info 0
		.amdhsa_system_vgpr_workitem_id 0
		.amdhsa_next_free_vgpr 1
		.amdhsa_next_free_sgpr 1
		.amdhsa_reserve_vcc 0
		.amdhsa_float_round_mode_32 0
		.amdhsa_float_round_mode_16_64 0
		.amdhsa_float_denorm_mode_32 3
		.amdhsa_float_denorm_mode_16_64 3
		.amdhsa_fp16_overflow 0
		.amdhsa_workgroup_processor_mode 1
		.amdhsa_memory_ordered 1
		.amdhsa_forward_progress 1
		.amdhsa_inst_pref_size 0
		.amdhsa_round_robin_scheduling 0
		.amdhsa_exception_fp_ieee_invalid_op 0
		.amdhsa_exception_fp_denorm_src 0
		.amdhsa_exception_fp_ieee_div_zero 0
		.amdhsa_exception_fp_ieee_overflow 0
		.amdhsa_exception_fp_ieee_underflow 0
		.amdhsa_exception_fp_ieee_inexact 0
		.amdhsa_exception_int_div_zero 0
	.end_amdhsa_kernel
	.section	.text._ZN7rocprim17ROCPRIM_400000_NS6detail17trampoline_kernelINS0_14default_configENS1_25partition_config_selectorILNS1_17partition_subalgoE6EsNS0_10empty_typeEbEEZZNS1_14partition_implILS5_6ELb0ES3_mN6thrust23THRUST_200600_302600_NS6detail15normal_iteratorINSA_10device_ptrIsEEEEPS6_SG_NS0_5tupleIJSF_S6_EEENSH_IJSG_SG_EEES6_PlJNSB_9not_fun_tINSB_14equal_to_valueIsEEEEEEE10hipError_tPvRmT3_T4_T5_T6_T7_T9_mT8_P12ihipStream_tbDpT10_ENKUlT_T0_E_clISt17integral_constantIbLb0EES18_EEDaS13_S14_EUlS13_E_NS1_11comp_targetILNS1_3genE0ELNS1_11target_archE4294967295ELNS1_3gpuE0ELNS1_3repE0EEENS1_30default_config_static_selectorELNS0_4arch9wavefront6targetE0EEEvT1_,"axG",@progbits,_ZN7rocprim17ROCPRIM_400000_NS6detail17trampoline_kernelINS0_14default_configENS1_25partition_config_selectorILNS1_17partition_subalgoE6EsNS0_10empty_typeEbEEZZNS1_14partition_implILS5_6ELb0ES3_mN6thrust23THRUST_200600_302600_NS6detail15normal_iteratorINSA_10device_ptrIsEEEEPS6_SG_NS0_5tupleIJSF_S6_EEENSH_IJSG_SG_EEES6_PlJNSB_9not_fun_tINSB_14equal_to_valueIsEEEEEEE10hipError_tPvRmT3_T4_T5_T6_T7_T9_mT8_P12ihipStream_tbDpT10_ENKUlT_T0_E_clISt17integral_constantIbLb0EES18_EEDaS13_S14_EUlS13_E_NS1_11comp_targetILNS1_3genE0ELNS1_11target_archE4294967295ELNS1_3gpuE0ELNS1_3repE0EEENS1_30default_config_static_selectorELNS0_4arch9wavefront6targetE0EEEvT1_,comdat
.Lfunc_end501:
	.size	_ZN7rocprim17ROCPRIM_400000_NS6detail17trampoline_kernelINS0_14default_configENS1_25partition_config_selectorILNS1_17partition_subalgoE6EsNS0_10empty_typeEbEEZZNS1_14partition_implILS5_6ELb0ES3_mN6thrust23THRUST_200600_302600_NS6detail15normal_iteratorINSA_10device_ptrIsEEEEPS6_SG_NS0_5tupleIJSF_S6_EEENSH_IJSG_SG_EEES6_PlJNSB_9not_fun_tINSB_14equal_to_valueIsEEEEEEE10hipError_tPvRmT3_T4_T5_T6_T7_T9_mT8_P12ihipStream_tbDpT10_ENKUlT_T0_E_clISt17integral_constantIbLb0EES18_EEDaS13_S14_EUlS13_E_NS1_11comp_targetILNS1_3genE0ELNS1_11target_archE4294967295ELNS1_3gpuE0ELNS1_3repE0EEENS1_30default_config_static_selectorELNS0_4arch9wavefront6targetE0EEEvT1_, .Lfunc_end501-_ZN7rocprim17ROCPRIM_400000_NS6detail17trampoline_kernelINS0_14default_configENS1_25partition_config_selectorILNS1_17partition_subalgoE6EsNS0_10empty_typeEbEEZZNS1_14partition_implILS5_6ELb0ES3_mN6thrust23THRUST_200600_302600_NS6detail15normal_iteratorINSA_10device_ptrIsEEEEPS6_SG_NS0_5tupleIJSF_S6_EEENSH_IJSG_SG_EEES6_PlJNSB_9not_fun_tINSB_14equal_to_valueIsEEEEEEE10hipError_tPvRmT3_T4_T5_T6_T7_T9_mT8_P12ihipStream_tbDpT10_ENKUlT_T0_E_clISt17integral_constantIbLb0EES18_EEDaS13_S14_EUlS13_E_NS1_11comp_targetILNS1_3genE0ELNS1_11target_archE4294967295ELNS1_3gpuE0ELNS1_3repE0EEENS1_30default_config_static_selectorELNS0_4arch9wavefront6targetE0EEEvT1_
                                        ; -- End function
	.set _ZN7rocprim17ROCPRIM_400000_NS6detail17trampoline_kernelINS0_14default_configENS1_25partition_config_selectorILNS1_17partition_subalgoE6EsNS0_10empty_typeEbEEZZNS1_14partition_implILS5_6ELb0ES3_mN6thrust23THRUST_200600_302600_NS6detail15normal_iteratorINSA_10device_ptrIsEEEEPS6_SG_NS0_5tupleIJSF_S6_EEENSH_IJSG_SG_EEES6_PlJNSB_9not_fun_tINSB_14equal_to_valueIsEEEEEEE10hipError_tPvRmT3_T4_T5_T6_T7_T9_mT8_P12ihipStream_tbDpT10_ENKUlT_T0_E_clISt17integral_constantIbLb0EES18_EEDaS13_S14_EUlS13_E_NS1_11comp_targetILNS1_3genE0ELNS1_11target_archE4294967295ELNS1_3gpuE0ELNS1_3repE0EEENS1_30default_config_static_selectorELNS0_4arch9wavefront6targetE0EEEvT1_.num_vgpr, 0
	.set _ZN7rocprim17ROCPRIM_400000_NS6detail17trampoline_kernelINS0_14default_configENS1_25partition_config_selectorILNS1_17partition_subalgoE6EsNS0_10empty_typeEbEEZZNS1_14partition_implILS5_6ELb0ES3_mN6thrust23THRUST_200600_302600_NS6detail15normal_iteratorINSA_10device_ptrIsEEEEPS6_SG_NS0_5tupleIJSF_S6_EEENSH_IJSG_SG_EEES6_PlJNSB_9not_fun_tINSB_14equal_to_valueIsEEEEEEE10hipError_tPvRmT3_T4_T5_T6_T7_T9_mT8_P12ihipStream_tbDpT10_ENKUlT_T0_E_clISt17integral_constantIbLb0EES18_EEDaS13_S14_EUlS13_E_NS1_11comp_targetILNS1_3genE0ELNS1_11target_archE4294967295ELNS1_3gpuE0ELNS1_3repE0EEENS1_30default_config_static_selectorELNS0_4arch9wavefront6targetE0EEEvT1_.num_agpr, 0
	.set _ZN7rocprim17ROCPRIM_400000_NS6detail17trampoline_kernelINS0_14default_configENS1_25partition_config_selectorILNS1_17partition_subalgoE6EsNS0_10empty_typeEbEEZZNS1_14partition_implILS5_6ELb0ES3_mN6thrust23THRUST_200600_302600_NS6detail15normal_iteratorINSA_10device_ptrIsEEEEPS6_SG_NS0_5tupleIJSF_S6_EEENSH_IJSG_SG_EEES6_PlJNSB_9not_fun_tINSB_14equal_to_valueIsEEEEEEE10hipError_tPvRmT3_T4_T5_T6_T7_T9_mT8_P12ihipStream_tbDpT10_ENKUlT_T0_E_clISt17integral_constantIbLb0EES18_EEDaS13_S14_EUlS13_E_NS1_11comp_targetILNS1_3genE0ELNS1_11target_archE4294967295ELNS1_3gpuE0ELNS1_3repE0EEENS1_30default_config_static_selectorELNS0_4arch9wavefront6targetE0EEEvT1_.numbered_sgpr, 0
	.set _ZN7rocprim17ROCPRIM_400000_NS6detail17trampoline_kernelINS0_14default_configENS1_25partition_config_selectorILNS1_17partition_subalgoE6EsNS0_10empty_typeEbEEZZNS1_14partition_implILS5_6ELb0ES3_mN6thrust23THRUST_200600_302600_NS6detail15normal_iteratorINSA_10device_ptrIsEEEEPS6_SG_NS0_5tupleIJSF_S6_EEENSH_IJSG_SG_EEES6_PlJNSB_9not_fun_tINSB_14equal_to_valueIsEEEEEEE10hipError_tPvRmT3_T4_T5_T6_T7_T9_mT8_P12ihipStream_tbDpT10_ENKUlT_T0_E_clISt17integral_constantIbLb0EES18_EEDaS13_S14_EUlS13_E_NS1_11comp_targetILNS1_3genE0ELNS1_11target_archE4294967295ELNS1_3gpuE0ELNS1_3repE0EEENS1_30default_config_static_selectorELNS0_4arch9wavefront6targetE0EEEvT1_.num_named_barrier, 0
	.set _ZN7rocprim17ROCPRIM_400000_NS6detail17trampoline_kernelINS0_14default_configENS1_25partition_config_selectorILNS1_17partition_subalgoE6EsNS0_10empty_typeEbEEZZNS1_14partition_implILS5_6ELb0ES3_mN6thrust23THRUST_200600_302600_NS6detail15normal_iteratorINSA_10device_ptrIsEEEEPS6_SG_NS0_5tupleIJSF_S6_EEENSH_IJSG_SG_EEES6_PlJNSB_9not_fun_tINSB_14equal_to_valueIsEEEEEEE10hipError_tPvRmT3_T4_T5_T6_T7_T9_mT8_P12ihipStream_tbDpT10_ENKUlT_T0_E_clISt17integral_constantIbLb0EES18_EEDaS13_S14_EUlS13_E_NS1_11comp_targetILNS1_3genE0ELNS1_11target_archE4294967295ELNS1_3gpuE0ELNS1_3repE0EEENS1_30default_config_static_selectorELNS0_4arch9wavefront6targetE0EEEvT1_.private_seg_size, 0
	.set _ZN7rocprim17ROCPRIM_400000_NS6detail17trampoline_kernelINS0_14default_configENS1_25partition_config_selectorILNS1_17partition_subalgoE6EsNS0_10empty_typeEbEEZZNS1_14partition_implILS5_6ELb0ES3_mN6thrust23THRUST_200600_302600_NS6detail15normal_iteratorINSA_10device_ptrIsEEEEPS6_SG_NS0_5tupleIJSF_S6_EEENSH_IJSG_SG_EEES6_PlJNSB_9not_fun_tINSB_14equal_to_valueIsEEEEEEE10hipError_tPvRmT3_T4_T5_T6_T7_T9_mT8_P12ihipStream_tbDpT10_ENKUlT_T0_E_clISt17integral_constantIbLb0EES18_EEDaS13_S14_EUlS13_E_NS1_11comp_targetILNS1_3genE0ELNS1_11target_archE4294967295ELNS1_3gpuE0ELNS1_3repE0EEENS1_30default_config_static_selectorELNS0_4arch9wavefront6targetE0EEEvT1_.uses_vcc, 0
	.set _ZN7rocprim17ROCPRIM_400000_NS6detail17trampoline_kernelINS0_14default_configENS1_25partition_config_selectorILNS1_17partition_subalgoE6EsNS0_10empty_typeEbEEZZNS1_14partition_implILS5_6ELb0ES3_mN6thrust23THRUST_200600_302600_NS6detail15normal_iteratorINSA_10device_ptrIsEEEEPS6_SG_NS0_5tupleIJSF_S6_EEENSH_IJSG_SG_EEES6_PlJNSB_9not_fun_tINSB_14equal_to_valueIsEEEEEEE10hipError_tPvRmT3_T4_T5_T6_T7_T9_mT8_P12ihipStream_tbDpT10_ENKUlT_T0_E_clISt17integral_constantIbLb0EES18_EEDaS13_S14_EUlS13_E_NS1_11comp_targetILNS1_3genE0ELNS1_11target_archE4294967295ELNS1_3gpuE0ELNS1_3repE0EEENS1_30default_config_static_selectorELNS0_4arch9wavefront6targetE0EEEvT1_.uses_flat_scratch, 0
	.set _ZN7rocprim17ROCPRIM_400000_NS6detail17trampoline_kernelINS0_14default_configENS1_25partition_config_selectorILNS1_17partition_subalgoE6EsNS0_10empty_typeEbEEZZNS1_14partition_implILS5_6ELb0ES3_mN6thrust23THRUST_200600_302600_NS6detail15normal_iteratorINSA_10device_ptrIsEEEEPS6_SG_NS0_5tupleIJSF_S6_EEENSH_IJSG_SG_EEES6_PlJNSB_9not_fun_tINSB_14equal_to_valueIsEEEEEEE10hipError_tPvRmT3_T4_T5_T6_T7_T9_mT8_P12ihipStream_tbDpT10_ENKUlT_T0_E_clISt17integral_constantIbLb0EES18_EEDaS13_S14_EUlS13_E_NS1_11comp_targetILNS1_3genE0ELNS1_11target_archE4294967295ELNS1_3gpuE0ELNS1_3repE0EEENS1_30default_config_static_selectorELNS0_4arch9wavefront6targetE0EEEvT1_.has_dyn_sized_stack, 0
	.set _ZN7rocprim17ROCPRIM_400000_NS6detail17trampoline_kernelINS0_14default_configENS1_25partition_config_selectorILNS1_17partition_subalgoE6EsNS0_10empty_typeEbEEZZNS1_14partition_implILS5_6ELb0ES3_mN6thrust23THRUST_200600_302600_NS6detail15normal_iteratorINSA_10device_ptrIsEEEEPS6_SG_NS0_5tupleIJSF_S6_EEENSH_IJSG_SG_EEES6_PlJNSB_9not_fun_tINSB_14equal_to_valueIsEEEEEEE10hipError_tPvRmT3_T4_T5_T6_T7_T9_mT8_P12ihipStream_tbDpT10_ENKUlT_T0_E_clISt17integral_constantIbLb0EES18_EEDaS13_S14_EUlS13_E_NS1_11comp_targetILNS1_3genE0ELNS1_11target_archE4294967295ELNS1_3gpuE0ELNS1_3repE0EEENS1_30default_config_static_selectorELNS0_4arch9wavefront6targetE0EEEvT1_.has_recursion, 0
	.set _ZN7rocprim17ROCPRIM_400000_NS6detail17trampoline_kernelINS0_14default_configENS1_25partition_config_selectorILNS1_17partition_subalgoE6EsNS0_10empty_typeEbEEZZNS1_14partition_implILS5_6ELb0ES3_mN6thrust23THRUST_200600_302600_NS6detail15normal_iteratorINSA_10device_ptrIsEEEEPS6_SG_NS0_5tupleIJSF_S6_EEENSH_IJSG_SG_EEES6_PlJNSB_9not_fun_tINSB_14equal_to_valueIsEEEEEEE10hipError_tPvRmT3_T4_T5_T6_T7_T9_mT8_P12ihipStream_tbDpT10_ENKUlT_T0_E_clISt17integral_constantIbLb0EES18_EEDaS13_S14_EUlS13_E_NS1_11comp_targetILNS1_3genE0ELNS1_11target_archE4294967295ELNS1_3gpuE0ELNS1_3repE0EEENS1_30default_config_static_selectorELNS0_4arch9wavefront6targetE0EEEvT1_.has_indirect_call, 0
	.section	.AMDGPU.csdata,"",@progbits
; Kernel info:
; codeLenInByte = 0
; TotalNumSgprs: 0
; NumVgprs: 0
; ScratchSize: 0
; MemoryBound: 0
; FloatMode: 240
; IeeeMode: 1
; LDSByteSize: 0 bytes/workgroup (compile time only)
; SGPRBlocks: 0
; VGPRBlocks: 0
; NumSGPRsForWavesPerEU: 1
; NumVGPRsForWavesPerEU: 1
; Occupancy: 16
; WaveLimiterHint : 0
; COMPUTE_PGM_RSRC2:SCRATCH_EN: 0
; COMPUTE_PGM_RSRC2:USER_SGPR: 2
; COMPUTE_PGM_RSRC2:TRAP_HANDLER: 0
; COMPUTE_PGM_RSRC2:TGID_X_EN: 1
; COMPUTE_PGM_RSRC2:TGID_Y_EN: 0
; COMPUTE_PGM_RSRC2:TGID_Z_EN: 0
; COMPUTE_PGM_RSRC2:TIDIG_COMP_CNT: 0
	.section	.text._ZN7rocprim17ROCPRIM_400000_NS6detail17trampoline_kernelINS0_14default_configENS1_25partition_config_selectorILNS1_17partition_subalgoE6EsNS0_10empty_typeEbEEZZNS1_14partition_implILS5_6ELb0ES3_mN6thrust23THRUST_200600_302600_NS6detail15normal_iteratorINSA_10device_ptrIsEEEEPS6_SG_NS0_5tupleIJSF_S6_EEENSH_IJSG_SG_EEES6_PlJNSB_9not_fun_tINSB_14equal_to_valueIsEEEEEEE10hipError_tPvRmT3_T4_T5_T6_T7_T9_mT8_P12ihipStream_tbDpT10_ENKUlT_T0_E_clISt17integral_constantIbLb0EES18_EEDaS13_S14_EUlS13_E_NS1_11comp_targetILNS1_3genE5ELNS1_11target_archE942ELNS1_3gpuE9ELNS1_3repE0EEENS1_30default_config_static_selectorELNS0_4arch9wavefront6targetE0EEEvT1_,"axG",@progbits,_ZN7rocprim17ROCPRIM_400000_NS6detail17trampoline_kernelINS0_14default_configENS1_25partition_config_selectorILNS1_17partition_subalgoE6EsNS0_10empty_typeEbEEZZNS1_14partition_implILS5_6ELb0ES3_mN6thrust23THRUST_200600_302600_NS6detail15normal_iteratorINSA_10device_ptrIsEEEEPS6_SG_NS0_5tupleIJSF_S6_EEENSH_IJSG_SG_EEES6_PlJNSB_9not_fun_tINSB_14equal_to_valueIsEEEEEEE10hipError_tPvRmT3_T4_T5_T6_T7_T9_mT8_P12ihipStream_tbDpT10_ENKUlT_T0_E_clISt17integral_constantIbLb0EES18_EEDaS13_S14_EUlS13_E_NS1_11comp_targetILNS1_3genE5ELNS1_11target_archE942ELNS1_3gpuE9ELNS1_3repE0EEENS1_30default_config_static_selectorELNS0_4arch9wavefront6targetE0EEEvT1_,comdat
	.protected	_ZN7rocprim17ROCPRIM_400000_NS6detail17trampoline_kernelINS0_14default_configENS1_25partition_config_selectorILNS1_17partition_subalgoE6EsNS0_10empty_typeEbEEZZNS1_14partition_implILS5_6ELb0ES3_mN6thrust23THRUST_200600_302600_NS6detail15normal_iteratorINSA_10device_ptrIsEEEEPS6_SG_NS0_5tupleIJSF_S6_EEENSH_IJSG_SG_EEES6_PlJNSB_9not_fun_tINSB_14equal_to_valueIsEEEEEEE10hipError_tPvRmT3_T4_T5_T6_T7_T9_mT8_P12ihipStream_tbDpT10_ENKUlT_T0_E_clISt17integral_constantIbLb0EES18_EEDaS13_S14_EUlS13_E_NS1_11comp_targetILNS1_3genE5ELNS1_11target_archE942ELNS1_3gpuE9ELNS1_3repE0EEENS1_30default_config_static_selectorELNS0_4arch9wavefront6targetE0EEEvT1_ ; -- Begin function _ZN7rocprim17ROCPRIM_400000_NS6detail17trampoline_kernelINS0_14default_configENS1_25partition_config_selectorILNS1_17partition_subalgoE6EsNS0_10empty_typeEbEEZZNS1_14partition_implILS5_6ELb0ES3_mN6thrust23THRUST_200600_302600_NS6detail15normal_iteratorINSA_10device_ptrIsEEEEPS6_SG_NS0_5tupleIJSF_S6_EEENSH_IJSG_SG_EEES6_PlJNSB_9not_fun_tINSB_14equal_to_valueIsEEEEEEE10hipError_tPvRmT3_T4_T5_T6_T7_T9_mT8_P12ihipStream_tbDpT10_ENKUlT_T0_E_clISt17integral_constantIbLb0EES18_EEDaS13_S14_EUlS13_E_NS1_11comp_targetILNS1_3genE5ELNS1_11target_archE942ELNS1_3gpuE9ELNS1_3repE0EEENS1_30default_config_static_selectorELNS0_4arch9wavefront6targetE0EEEvT1_
	.globl	_ZN7rocprim17ROCPRIM_400000_NS6detail17trampoline_kernelINS0_14default_configENS1_25partition_config_selectorILNS1_17partition_subalgoE6EsNS0_10empty_typeEbEEZZNS1_14partition_implILS5_6ELb0ES3_mN6thrust23THRUST_200600_302600_NS6detail15normal_iteratorINSA_10device_ptrIsEEEEPS6_SG_NS0_5tupleIJSF_S6_EEENSH_IJSG_SG_EEES6_PlJNSB_9not_fun_tINSB_14equal_to_valueIsEEEEEEE10hipError_tPvRmT3_T4_T5_T6_T7_T9_mT8_P12ihipStream_tbDpT10_ENKUlT_T0_E_clISt17integral_constantIbLb0EES18_EEDaS13_S14_EUlS13_E_NS1_11comp_targetILNS1_3genE5ELNS1_11target_archE942ELNS1_3gpuE9ELNS1_3repE0EEENS1_30default_config_static_selectorELNS0_4arch9wavefront6targetE0EEEvT1_
	.p2align	8
	.type	_ZN7rocprim17ROCPRIM_400000_NS6detail17trampoline_kernelINS0_14default_configENS1_25partition_config_selectorILNS1_17partition_subalgoE6EsNS0_10empty_typeEbEEZZNS1_14partition_implILS5_6ELb0ES3_mN6thrust23THRUST_200600_302600_NS6detail15normal_iteratorINSA_10device_ptrIsEEEEPS6_SG_NS0_5tupleIJSF_S6_EEENSH_IJSG_SG_EEES6_PlJNSB_9not_fun_tINSB_14equal_to_valueIsEEEEEEE10hipError_tPvRmT3_T4_T5_T6_T7_T9_mT8_P12ihipStream_tbDpT10_ENKUlT_T0_E_clISt17integral_constantIbLb0EES18_EEDaS13_S14_EUlS13_E_NS1_11comp_targetILNS1_3genE5ELNS1_11target_archE942ELNS1_3gpuE9ELNS1_3repE0EEENS1_30default_config_static_selectorELNS0_4arch9wavefront6targetE0EEEvT1_,@function
_ZN7rocprim17ROCPRIM_400000_NS6detail17trampoline_kernelINS0_14default_configENS1_25partition_config_selectorILNS1_17partition_subalgoE6EsNS0_10empty_typeEbEEZZNS1_14partition_implILS5_6ELb0ES3_mN6thrust23THRUST_200600_302600_NS6detail15normal_iteratorINSA_10device_ptrIsEEEEPS6_SG_NS0_5tupleIJSF_S6_EEENSH_IJSG_SG_EEES6_PlJNSB_9not_fun_tINSB_14equal_to_valueIsEEEEEEE10hipError_tPvRmT3_T4_T5_T6_T7_T9_mT8_P12ihipStream_tbDpT10_ENKUlT_T0_E_clISt17integral_constantIbLb0EES18_EEDaS13_S14_EUlS13_E_NS1_11comp_targetILNS1_3genE5ELNS1_11target_archE942ELNS1_3gpuE9ELNS1_3repE0EEENS1_30default_config_static_selectorELNS0_4arch9wavefront6targetE0EEEvT1_: ; @_ZN7rocprim17ROCPRIM_400000_NS6detail17trampoline_kernelINS0_14default_configENS1_25partition_config_selectorILNS1_17partition_subalgoE6EsNS0_10empty_typeEbEEZZNS1_14partition_implILS5_6ELb0ES3_mN6thrust23THRUST_200600_302600_NS6detail15normal_iteratorINSA_10device_ptrIsEEEEPS6_SG_NS0_5tupleIJSF_S6_EEENSH_IJSG_SG_EEES6_PlJNSB_9not_fun_tINSB_14equal_to_valueIsEEEEEEE10hipError_tPvRmT3_T4_T5_T6_T7_T9_mT8_P12ihipStream_tbDpT10_ENKUlT_T0_E_clISt17integral_constantIbLb0EES18_EEDaS13_S14_EUlS13_E_NS1_11comp_targetILNS1_3genE5ELNS1_11target_archE942ELNS1_3gpuE9ELNS1_3repE0EEENS1_30default_config_static_selectorELNS0_4arch9wavefront6targetE0EEEvT1_
; %bb.0:
	.section	.rodata,"a",@progbits
	.p2align	6, 0x0
	.amdhsa_kernel _ZN7rocprim17ROCPRIM_400000_NS6detail17trampoline_kernelINS0_14default_configENS1_25partition_config_selectorILNS1_17partition_subalgoE6EsNS0_10empty_typeEbEEZZNS1_14partition_implILS5_6ELb0ES3_mN6thrust23THRUST_200600_302600_NS6detail15normal_iteratorINSA_10device_ptrIsEEEEPS6_SG_NS0_5tupleIJSF_S6_EEENSH_IJSG_SG_EEES6_PlJNSB_9not_fun_tINSB_14equal_to_valueIsEEEEEEE10hipError_tPvRmT3_T4_T5_T6_T7_T9_mT8_P12ihipStream_tbDpT10_ENKUlT_T0_E_clISt17integral_constantIbLb0EES18_EEDaS13_S14_EUlS13_E_NS1_11comp_targetILNS1_3genE5ELNS1_11target_archE942ELNS1_3gpuE9ELNS1_3repE0EEENS1_30default_config_static_selectorELNS0_4arch9wavefront6targetE0EEEvT1_
		.amdhsa_group_segment_fixed_size 0
		.amdhsa_private_segment_fixed_size 0
		.amdhsa_kernarg_size 112
		.amdhsa_user_sgpr_count 2
		.amdhsa_user_sgpr_dispatch_ptr 0
		.amdhsa_user_sgpr_queue_ptr 0
		.amdhsa_user_sgpr_kernarg_segment_ptr 1
		.amdhsa_user_sgpr_dispatch_id 0
		.amdhsa_user_sgpr_private_segment_size 0
		.amdhsa_wavefront_size32 1
		.amdhsa_uses_dynamic_stack 0
		.amdhsa_enable_private_segment 0
		.amdhsa_system_sgpr_workgroup_id_x 1
		.amdhsa_system_sgpr_workgroup_id_y 0
		.amdhsa_system_sgpr_workgroup_id_z 0
		.amdhsa_system_sgpr_workgroup_info 0
		.amdhsa_system_vgpr_workitem_id 0
		.amdhsa_next_free_vgpr 1
		.amdhsa_next_free_sgpr 1
		.amdhsa_reserve_vcc 0
		.amdhsa_float_round_mode_32 0
		.amdhsa_float_round_mode_16_64 0
		.amdhsa_float_denorm_mode_32 3
		.amdhsa_float_denorm_mode_16_64 3
		.amdhsa_fp16_overflow 0
		.amdhsa_workgroup_processor_mode 1
		.amdhsa_memory_ordered 1
		.amdhsa_forward_progress 1
		.amdhsa_inst_pref_size 0
		.amdhsa_round_robin_scheduling 0
		.amdhsa_exception_fp_ieee_invalid_op 0
		.amdhsa_exception_fp_denorm_src 0
		.amdhsa_exception_fp_ieee_div_zero 0
		.amdhsa_exception_fp_ieee_overflow 0
		.amdhsa_exception_fp_ieee_underflow 0
		.amdhsa_exception_fp_ieee_inexact 0
		.amdhsa_exception_int_div_zero 0
	.end_amdhsa_kernel
	.section	.text._ZN7rocprim17ROCPRIM_400000_NS6detail17trampoline_kernelINS0_14default_configENS1_25partition_config_selectorILNS1_17partition_subalgoE6EsNS0_10empty_typeEbEEZZNS1_14partition_implILS5_6ELb0ES3_mN6thrust23THRUST_200600_302600_NS6detail15normal_iteratorINSA_10device_ptrIsEEEEPS6_SG_NS0_5tupleIJSF_S6_EEENSH_IJSG_SG_EEES6_PlJNSB_9not_fun_tINSB_14equal_to_valueIsEEEEEEE10hipError_tPvRmT3_T4_T5_T6_T7_T9_mT8_P12ihipStream_tbDpT10_ENKUlT_T0_E_clISt17integral_constantIbLb0EES18_EEDaS13_S14_EUlS13_E_NS1_11comp_targetILNS1_3genE5ELNS1_11target_archE942ELNS1_3gpuE9ELNS1_3repE0EEENS1_30default_config_static_selectorELNS0_4arch9wavefront6targetE0EEEvT1_,"axG",@progbits,_ZN7rocprim17ROCPRIM_400000_NS6detail17trampoline_kernelINS0_14default_configENS1_25partition_config_selectorILNS1_17partition_subalgoE6EsNS0_10empty_typeEbEEZZNS1_14partition_implILS5_6ELb0ES3_mN6thrust23THRUST_200600_302600_NS6detail15normal_iteratorINSA_10device_ptrIsEEEEPS6_SG_NS0_5tupleIJSF_S6_EEENSH_IJSG_SG_EEES6_PlJNSB_9not_fun_tINSB_14equal_to_valueIsEEEEEEE10hipError_tPvRmT3_T4_T5_T6_T7_T9_mT8_P12ihipStream_tbDpT10_ENKUlT_T0_E_clISt17integral_constantIbLb0EES18_EEDaS13_S14_EUlS13_E_NS1_11comp_targetILNS1_3genE5ELNS1_11target_archE942ELNS1_3gpuE9ELNS1_3repE0EEENS1_30default_config_static_selectorELNS0_4arch9wavefront6targetE0EEEvT1_,comdat
.Lfunc_end502:
	.size	_ZN7rocprim17ROCPRIM_400000_NS6detail17trampoline_kernelINS0_14default_configENS1_25partition_config_selectorILNS1_17partition_subalgoE6EsNS0_10empty_typeEbEEZZNS1_14partition_implILS5_6ELb0ES3_mN6thrust23THRUST_200600_302600_NS6detail15normal_iteratorINSA_10device_ptrIsEEEEPS6_SG_NS0_5tupleIJSF_S6_EEENSH_IJSG_SG_EEES6_PlJNSB_9not_fun_tINSB_14equal_to_valueIsEEEEEEE10hipError_tPvRmT3_T4_T5_T6_T7_T9_mT8_P12ihipStream_tbDpT10_ENKUlT_T0_E_clISt17integral_constantIbLb0EES18_EEDaS13_S14_EUlS13_E_NS1_11comp_targetILNS1_3genE5ELNS1_11target_archE942ELNS1_3gpuE9ELNS1_3repE0EEENS1_30default_config_static_selectorELNS0_4arch9wavefront6targetE0EEEvT1_, .Lfunc_end502-_ZN7rocprim17ROCPRIM_400000_NS6detail17trampoline_kernelINS0_14default_configENS1_25partition_config_selectorILNS1_17partition_subalgoE6EsNS0_10empty_typeEbEEZZNS1_14partition_implILS5_6ELb0ES3_mN6thrust23THRUST_200600_302600_NS6detail15normal_iteratorINSA_10device_ptrIsEEEEPS6_SG_NS0_5tupleIJSF_S6_EEENSH_IJSG_SG_EEES6_PlJNSB_9not_fun_tINSB_14equal_to_valueIsEEEEEEE10hipError_tPvRmT3_T4_T5_T6_T7_T9_mT8_P12ihipStream_tbDpT10_ENKUlT_T0_E_clISt17integral_constantIbLb0EES18_EEDaS13_S14_EUlS13_E_NS1_11comp_targetILNS1_3genE5ELNS1_11target_archE942ELNS1_3gpuE9ELNS1_3repE0EEENS1_30default_config_static_selectorELNS0_4arch9wavefront6targetE0EEEvT1_
                                        ; -- End function
	.set _ZN7rocprim17ROCPRIM_400000_NS6detail17trampoline_kernelINS0_14default_configENS1_25partition_config_selectorILNS1_17partition_subalgoE6EsNS0_10empty_typeEbEEZZNS1_14partition_implILS5_6ELb0ES3_mN6thrust23THRUST_200600_302600_NS6detail15normal_iteratorINSA_10device_ptrIsEEEEPS6_SG_NS0_5tupleIJSF_S6_EEENSH_IJSG_SG_EEES6_PlJNSB_9not_fun_tINSB_14equal_to_valueIsEEEEEEE10hipError_tPvRmT3_T4_T5_T6_T7_T9_mT8_P12ihipStream_tbDpT10_ENKUlT_T0_E_clISt17integral_constantIbLb0EES18_EEDaS13_S14_EUlS13_E_NS1_11comp_targetILNS1_3genE5ELNS1_11target_archE942ELNS1_3gpuE9ELNS1_3repE0EEENS1_30default_config_static_selectorELNS0_4arch9wavefront6targetE0EEEvT1_.num_vgpr, 0
	.set _ZN7rocprim17ROCPRIM_400000_NS6detail17trampoline_kernelINS0_14default_configENS1_25partition_config_selectorILNS1_17partition_subalgoE6EsNS0_10empty_typeEbEEZZNS1_14partition_implILS5_6ELb0ES3_mN6thrust23THRUST_200600_302600_NS6detail15normal_iteratorINSA_10device_ptrIsEEEEPS6_SG_NS0_5tupleIJSF_S6_EEENSH_IJSG_SG_EEES6_PlJNSB_9not_fun_tINSB_14equal_to_valueIsEEEEEEE10hipError_tPvRmT3_T4_T5_T6_T7_T9_mT8_P12ihipStream_tbDpT10_ENKUlT_T0_E_clISt17integral_constantIbLb0EES18_EEDaS13_S14_EUlS13_E_NS1_11comp_targetILNS1_3genE5ELNS1_11target_archE942ELNS1_3gpuE9ELNS1_3repE0EEENS1_30default_config_static_selectorELNS0_4arch9wavefront6targetE0EEEvT1_.num_agpr, 0
	.set _ZN7rocprim17ROCPRIM_400000_NS6detail17trampoline_kernelINS0_14default_configENS1_25partition_config_selectorILNS1_17partition_subalgoE6EsNS0_10empty_typeEbEEZZNS1_14partition_implILS5_6ELb0ES3_mN6thrust23THRUST_200600_302600_NS6detail15normal_iteratorINSA_10device_ptrIsEEEEPS6_SG_NS0_5tupleIJSF_S6_EEENSH_IJSG_SG_EEES6_PlJNSB_9not_fun_tINSB_14equal_to_valueIsEEEEEEE10hipError_tPvRmT3_T4_T5_T6_T7_T9_mT8_P12ihipStream_tbDpT10_ENKUlT_T0_E_clISt17integral_constantIbLb0EES18_EEDaS13_S14_EUlS13_E_NS1_11comp_targetILNS1_3genE5ELNS1_11target_archE942ELNS1_3gpuE9ELNS1_3repE0EEENS1_30default_config_static_selectorELNS0_4arch9wavefront6targetE0EEEvT1_.numbered_sgpr, 0
	.set _ZN7rocprim17ROCPRIM_400000_NS6detail17trampoline_kernelINS0_14default_configENS1_25partition_config_selectorILNS1_17partition_subalgoE6EsNS0_10empty_typeEbEEZZNS1_14partition_implILS5_6ELb0ES3_mN6thrust23THRUST_200600_302600_NS6detail15normal_iteratorINSA_10device_ptrIsEEEEPS6_SG_NS0_5tupleIJSF_S6_EEENSH_IJSG_SG_EEES6_PlJNSB_9not_fun_tINSB_14equal_to_valueIsEEEEEEE10hipError_tPvRmT3_T4_T5_T6_T7_T9_mT8_P12ihipStream_tbDpT10_ENKUlT_T0_E_clISt17integral_constantIbLb0EES18_EEDaS13_S14_EUlS13_E_NS1_11comp_targetILNS1_3genE5ELNS1_11target_archE942ELNS1_3gpuE9ELNS1_3repE0EEENS1_30default_config_static_selectorELNS0_4arch9wavefront6targetE0EEEvT1_.num_named_barrier, 0
	.set _ZN7rocprim17ROCPRIM_400000_NS6detail17trampoline_kernelINS0_14default_configENS1_25partition_config_selectorILNS1_17partition_subalgoE6EsNS0_10empty_typeEbEEZZNS1_14partition_implILS5_6ELb0ES3_mN6thrust23THRUST_200600_302600_NS6detail15normal_iteratorINSA_10device_ptrIsEEEEPS6_SG_NS0_5tupleIJSF_S6_EEENSH_IJSG_SG_EEES6_PlJNSB_9not_fun_tINSB_14equal_to_valueIsEEEEEEE10hipError_tPvRmT3_T4_T5_T6_T7_T9_mT8_P12ihipStream_tbDpT10_ENKUlT_T0_E_clISt17integral_constantIbLb0EES18_EEDaS13_S14_EUlS13_E_NS1_11comp_targetILNS1_3genE5ELNS1_11target_archE942ELNS1_3gpuE9ELNS1_3repE0EEENS1_30default_config_static_selectorELNS0_4arch9wavefront6targetE0EEEvT1_.private_seg_size, 0
	.set _ZN7rocprim17ROCPRIM_400000_NS6detail17trampoline_kernelINS0_14default_configENS1_25partition_config_selectorILNS1_17partition_subalgoE6EsNS0_10empty_typeEbEEZZNS1_14partition_implILS5_6ELb0ES3_mN6thrust23THRUST_200600_302600_NS6detail15normal_iteratorINSA_10device_ptrIsEEEEPS6_SG_NS0_5tupleIJSF_S6_EEENSH_IJSG_SG_EEES6_PlJNSB_9not_fun_tINSB_14equal_to_valueIsEEEEEEE10hipError_tPvRmT3_T4_T5_T6_T7_T9_mT8_P12ihipStream_tbDpT10_ENKUlT_T0_E_clISt17integral_constantIbLb0EES18_EEDaS13_S14_EUlS13_E_NS1_11comp_targetILNS1_3genE5ELNS1_11target_archE942ELNS1_3gpuE9ELNS1_3repE0EEENS1_30default_config_static_selectorELNS0_4arch9wavefront6targetE0EEEvT1_.uses_vcc, 0
	.set _ZN7rocprim17ROCPRIM_400000_NS6detail17trampoline_kernelINS0_14default_configENS1_25partition_config_selectorILNS1_17partition_subalgoE6EsNS0_10empty_typeEbEEZZNS1_14partition_implILS5_6ELb0ES3_mN6thrust23THRUST_200600_302600_NS6detail15normal_iteratorINSA_10device_ptrIsEEEEPS6_SG_NS0_5tupleIJSF_S6_EEENSH_IJSG_SG_EEES6_PlJNSB_9not_fun_tINSB_14equal_to_valueIsEEEEEEE10hipError_tPvRmT3_T4_T5_T6_T7_T9_mT8_P12ihipStream_tbDpT10_ENKUlT_T0_E_clISt17integral_constantIbLb0EES18_EEDaS13_S14_EUlS13_E_NS1_11comp_targetILNS1_3genE5ELNS1_11target_archE942ELNS1_3gpuE9ELNS1_3repE0EEENS1_30default_config_static_selectorELNS0_4arch9wavefront6targetE0EEEvT1_.uses_flat_scratch, 0
	.set _ZN7rocprim17ROCPRIM_400000_NS6detail17trampoline_kernelINS0_14default_configENS1_25partition_config_selectorILNS1_17partition_subalgoE6EsNS0_10empty_typeEbEEZZNS1_14partition_implILS5_6ELb0ES3_mN6thrust23THRUST_200600_302600_NS6detail15normal_iteratorINSA_10device_ptrIsEEEEPS6_SG_NS0_5tupleIJSF_S6_EEENSH_IJSG_SG_EEES6_PlJNSB_9not_fun_tINSB_14equal_to_valueIsEEEEEEE10hipError_tPvRmT3_T4_T5_T6_T7_T9_mT8_P12ihipStream_tbDpT10_ENKUlT_T0_E_clISt17integral_constantIbLb0EES18_EEDaS13_S14_EUlS13_E_NS1_11comp_targetILNS1_3genE5ELNS1_11target_archE942ELNS1_3gpuE9ELNS1_3repE0EEENS1_30default_config_static_selectorELNS0_4arch9wavefront6targetE0EEEvT1_.has_dyn_sized_stack, 0
	.set _ZN7rocprim17ROCPRIM_400000_NS6detail17trampoline_kernelINS0_14default_configENS1_25partition_config_selectorILNS1_17partition_subalgoE6EsNS0_10empty_typeEbEEZZNS1_14partition_implILS5_6ELb0ES3_mN6thrust23THRUST_200600_302600_NS6detail15normal_iteratorINSA_10device_ptrIsEEEEPS6_SG_NS0_5tupleIJSF_S6_EEENSH_IJSG_SG_EEES6_PlJNSB_9not_fun_tINSB_14equal_to_valueIsEEEEEEE10hipError_tPvRmT3_T4_T5_T6_T7_T9_mT8_P12ihipStream_tbDpT10_ENKUlT_T0_E_clISt17integral_constantIbLb0EES18_EEDaS13_S14_EUlS13_E_NS1_11comp_targetILNS1_3genE5ELNS1_11target_archE942ELNS1_3gpuE9ELNS1_3repE0EEENS1_30default_config_static_selectorELNS0_4arch9wavefront6targetE0EEEvT1_.has_recursion, 0
	.set _ZN7rocprim17ROCPRIM_400000_NS6detail17trampoline_kernelINS0_14default_configENS1_25partition_config_selectorILNS1_17partition_subalgoE6EsNS0_10empty_typeEbEEZZNS1_14partition_implILS5_6ELb0ES3_mN6thrust23THRUST_200600_302600_NS6detail15normal_iteratorINSA_10device_ptrIsEEEEPS6_SG_NS0_5tupleIJSF_S6_EEENSH_IJSG_SG_EEES6_PlJNSB_9not_fun_tINSB_14equal_to_valueIsEEEEEEE10hipError_tPvRmT3_T4_T5_T6_T7_T9_mT8_P12ihipStream_tbDpT10_ENKUlT_T0_E_clISt17integral_constantIbLb0EES18_EEDaS13_S14_EUlS13_E_NS1_11comp_targetILNS1_3genE5ELNS1_11target_archE942ELNS1_3gpuE9ELNS1_3repE0EEENS1_30default_config_static_selectorELNS0_4arch9wavefront6targetE0EEEvT1_.has_indirect_call, 0
	.section	.AMDGPU.csdata,"",@progbits
; Kernel info:
; codeLenInByte = 0
; TotalNumSgprs: 0
; NumVgprs: 0
; ScratchSize: 0
; MemoryBound: 0
; FloatMode: 240
; IeeeMode: 1
; LDSByteSize: 0 bytes/workgroup (compile time only)
; SGPRBlocks: 0
; VGPRBlocks: 0
; NumSGPRsForWavesPerEU: 1
; NumVGPRsForWavesPerEU: 1
; Occupancy: 16
; WaveLimiterHint : 0
; COMPUTE_PGM_RSRC2:SCRATCH_EN: 0
; COMPUTE_PGM_RSRC2:USER_SGPR: 2
; COMPUTE_PGM_RSRC2:TRAP_HANDLER: 0
; COMPUTE_PGM_RSRC2:TGID_X_EN: 1
; COMPUTE_PGM_RSRC2:TGID_Y_EN: 0
; COMPUTE_PGM_RSRC2:TGID_Z_EN: 0
; COMPUTE_PGM_RSRC2:TIDIG_COMP_CNT: 0
	.section	.text._ZN7rocprim17ROCPRIM_400000_NS6detail17trampoline_kernelINS0_14default_configENS1_25partition_config_selectorILNS1_17partition_subalgoE6EsNS0_10empty_typeEbEEZZNS1_14partition_implILS5_6ELb0ES3_mN6thrust23THRUST_200600_302600_NS6detail15normal_iteratorINSA_10device_ptrIsEEEEPS6_SG_NS0_5tupleIJSF_S6_EEENSH_IJSG_SG_EEES6_PlJNSB_9not_fun_tINSB_14equal_to_valueIsEEEEEEE10hipError_tPvRmT3_T4_T5_T6_T7_T9_mT8_P12ihipStream_tbDpT10_ENKUlT_T0_E_clISt17integral_constantIbLb0EES18_EEDaS13_S14_EUlS13_E_NS1_11comp_targetILNS1_3genE4ELNS1_11target_archE910ELNS1_3gpuE8ELNS1_3repE0EEENS1_30default_config_static_selectorELNS0_4arch9wavefront6targetE0EEEvT1_,"axG",@progbits,_ZN7rocprim17ROCPRIM_400000_NS6detail17trampoline_kernelINS0_14default_configENS1_25partition_config_selectorILNS1_17partition_subalgoE6EsNS0_10empty_typeEbEEZZNS1_14partition_implILS5_6ELb0ES3_mN6thrust23THRUST_200600_302600_NS6detail15normal_iteratorINSA_10device_ptrIsEEEEPS6_SG_NS0_5tupleIJSF_S6_EEENSH_IJSG_SG_EEES6_PlJNSB_9not_fun_tINSB_14equal_to_valueIsEEEEEEE10hipError_tPvRmT3_T4_T5_T6_T7_T9_mT8_P12ihipStream_tbDpT10_ENKUlT_T0_E_clISt17integral_constantIbLb0EES18_EEDaS13_S14_EUlS13_E_NS1_11comp_targetILNS1_3genE4ELNS1_11target_archE910ELNS1_3gpuE8ELNS1_3repE0EEENS1_30default_config_static_selectorELNS0_4arch9wavefront6targetE0EEEvT1_,comdat
	.protected	_ZN7rocprim17ROCPRIM_400000_NS6detail17trampoline_kernelINS0_14default_configENS1_25partition_config_selectorILNS1_17partition_subalgoE6EsNS0_10empty_typeEbEEZZNS1_14partition_implILS5_6ELb0ES3_mN6thrust23THRUST_200600_302600_NS6detail15normal_iteratorINSA_10device_ptrIsEEEEPS6_SG_NS0_5tupleIJSF_S6_EEENSH_IJSG_SG_EEES6_PlJNSB_9not_fun_tINSB_14equal_to_valueIsEEEEEEE10hipError_tPvRmT3_T4_T5_T6_T7_T9_mT8_P12ihipStream_tbDpT10_ENKUlT_T0_E_clISt17integral_constantIbLb0EES18_EEDaS13_S14_EUlS13_E_NS1_11comp_targetILNS1_3genE4ELNS1_11target_archE910ELNS1_3gpuE8ELNS1_3repE0EEENS1_30default_config_static_selectorELNS0_4arch9wavefront6targetE0EEEvT1_ ; -- Begin function _ZN7rocprim17ROCPRIM_400000_NS6detail17trampoline_kernelINS0_14default_configENS1_25partition_config_selectorILNS1_17partition_subalgoE6EsNS0_10empty_typeEbEEZZNS1_14partition_implILS5_6ELb0ES3_mN6thrust23THRUST_200600_302600_NS6detail15normal_iteratorINSA_10device_ptrIsEEEEPS6_SG_NS0_5tupleIJSF_S6_EEENSH_IJSG_SG_EEES6_PlJNSB_9not_fun_tINSB_14equal_to_valueIsEEEEEEE10hipError_tPvRmT3_T4_T5_T6_T7_T9_mT8_P12ihipStream_tbDpT10_ENKUlT_T0_E_clISt17integral_constantIbLb0EES18_EEDaS13_S14_EUlS13_E_NS1_11comp_targetILNS1_3genE4ELNS1_11target_archE910ELNS1_3gpuE8ELNS1_3repE0EEENS1_30default_config_static_selectorELNS0_4arch9wavefront6targetE0EEEvT1_
	.globl	_ZN7rocprim17ROCPRIM_400000_NS6detail17trampoline_kernelINS0_14default_configENS1_25partition_config_selectorILNS1_17partition_subalgoE6EsNS0_10empty_typeEbEEZZNS1_14partition_implILS5_6ELb0ES3_mN6thrust23THRUST_200600_302600_NS6detail15normal_iteratorINSA_10device_ptrIsEEEEPS6_SG_NS0_5tupleIJSF_S6_EEENSH_IJSG_SG_EEES6_PlJNSB_9not_fun_tINSB_14equal_to_valueIsEEEEEEE10hipError_tPvRmT3_T4_T5_T6_T7_T9_mT8_P12ihipStream_tbDpT10_ENKUlT_T0_E_clISt17integral_constantIbLb0EES18_EEDaS13_S14_EUlS13_E_NS1_11comp_targetILNS1_3genE4ELNS1_11target_archE910ELNS1_3gpuE8ELNS1_3repE0EEENS1_30default_config_static_selectorELNS0_4arch9wavefront6targetE0EEEvT1_
	.p2align	8
	.type	_ZN7rocprim17ROCPRIM_400000_NS6detail17trampoline_kernelINS0_14default_configENS1_25partition_config_selectorILNS1_17partition_subalgoE6EsNS0_10empty_typeEbEEZZNS1_14partition_implILS5_6ELb0ES3_mN6thrust23THRUST_200600_302600_NS6detail15normal_iteratorINSA_10device_ptrIsEEEEPS6_SG_NS0_5tupleIJSF_S6_EEENSH_IJSG_SG_EEES6_PlJNSB_9not_fun_tINSB_14equal_to_valueIsEEEEEEE10hipError_tPvRmT3_T4_T5_T6_T7_T9_mT8_P12ihipStream_tbDpT10_ENKUlT_T0_E_clISt17integral_constantIbLb0EES18_EEDaS13_S14_EUlS13_E_NS1_11comp_targetILNS1_3genE4ELNS1_11target_archE910ELNS1_3gpuE8ELNS1_3repE0EEENS1_30default_config_static_selectorELNS0_4arch9wavefront6targetE0EEEvT1_,@function
_ZN7rocprim17ROCPRIM_400000_NS6detail17trampoline_kernelINS0_14default_configENS1_25partition_config_selectorILNS1_17partition_subalgoE6EsNS0_10empty_typeEbEEZZNS1_14partition_implILS5_6ELb0ES3_mN6thrust23THRUST_200600_302600_NS6detail15normal_iteratorINSA_10device_ptrIsEEEEPS6_SG_NS0_5tupleIJSF_S6_EEENSH_IJSG_SG_EEES6_PlJNSB_9not_fun_tINSB_14equal_to_valueIsEEEEEEE10hipError_tPvRmT3_T4_T5_T6_T7_T9_mT8_P12ihipStream_tbDpT10_ENKUlT_T0_E_clISt17integral_constantIbLb0EES18_EEDaS13_S14_EUlS13_E_NS1_11comp_targetILNS1_3genE4ELNS1_11target_archE910ELNS1_3gpuE8ELNS1_3repE0EEENS1_30default_config_static_selectorELNS0_4arch9wavefront6targetE0EEEvT1_: ; @_ZN7rocprim17ROCPRIM_400000_NS6detail17trampoline_kernelINS0_14default_configENS1_25partition_config_selectorILNS1_17partition_subalgoE6EsNS0_10empty_typeEbEEZZNS1_14partition_implILS5_6ELb0ES3_mN6thrust23THRUST_200600_302600_NS6detail15normal_iteratorINSA_10device_ptrIsEEEEPS6_SG_NS0_5tupleIJSF_S6_EEENSH_IJSG_SG_EEES6_PlJNSB_9not_fun_tINSB_14equal_to_valueIsEEEEEEE10hipError_tPvRmT3_T4_T5_T6_T7_T9_mT8_P12ihipStream_tbDpT10_ENKUlT_T0_E_clISt17integral_constantIbLb0EES18_EEDaS13_S14_EUlS13_E_NS1_11comp_targetILNS1_3genE4ELNS1_11target_archE910ELNS1_3gpuE8ELNS1_3repE0EEENS1_30default_config_static_selectorELNS0_4arch9wavefront6targetE0EEEvT1_
; %bb.0:
	.section	.rodata,"a",@progbits
	.p2align	6, 0x0
	.amdhsa_kernel _ZN7rocprim17ROCPRIM_400000_NS6detail17trampoline_kernelINS0_14default_configENS1_25partition_config_selectorILNS1_17partition_subalgoE6EsNS0_10empty_typeEbEEZZNS1_14partition_implILS5_6ELb0ES3_mN6thrust23THRUST_200600_302600_NS6detail15normal_iteratorINSA_10device_ptrIsEEEEPS6_SG_NS0_5tupleIJSF_S6_EEENSH_IJSG_SG_EEES6_PlJNSB_9not_fun_tINSB_14equal_to_valueIsEEEEEEE10hipError_tPvRmT3_T4_T5_T6_T7_T9_mT8_P12ihipStream_tbDpT10_ENKUlT_T0_E_clISt17integral_constantIbLb0EES18_EEDaS13_S14_EUlS13_E_NS1_11comp_targetILNS1_3genE4ELNS1_11target_archE910ELNS1_3gpuE8ELNS1_3repE0EEENS1_30default_config_static_selectorELNS0_4arch9wavefront6targetE0EEEvT1_
		.amdhsa_group_segment_fixed_size 0
		.amdhsa_private_segment_fixed_size 0
		.amdhsa_kernarg_size 112
		.amdhsa_user_sgpr_count 2
		.amdhsa_user_sgpr_dispatch_ptr 0
		.amdhsa_user_sgpr_queue_ptr 0
		.amdhsa_user_sgpr_kernarg_segment_ptr 1
		.amdhsa_user_sgpr_dispatch_id 0
		.amdhsa_user_sgpr_private_segment_size 0
		.amdhsa_wavefront_size32 1
		.amdhsa_uses_dynamic_stack 0
		.amdhsa_enable_private_segment 0
		.amdhsa_system_sgpr_workgroup_id_x 1
		.amdhsa_system_sgpr_workgroup_id_y 0
		.amdhsa_system_sgpr_workgroup_id_z 0
		.amdhsa_system_sgpr_workgroup_info 0
		.amdhsa_system_vgpr_workitem_id 0
		.amdhsa_next_free_vgpr 1
		.amdhsa_next_free_sgpr 1
		.amdhsa_reserve_vcc 0
		.amdhsa_float_round_mode_32 0
		.amdhsa_float_round_mode_16_64 0
		.amdhsa_float_denorm_mode_32 3
		.amdhsa_float_denorm_mode_16_64 3
		.amdhsa_fp16_overflow 0
		.amdhsa_workgroup_processor_mode 1
		.amdhsa_memory_ordered 1
		.amdhsa_forward_progress 1
		.amdhsa_inst_pref_size 0
		.amdhsa_round_robin_scheduling 0
		.amdhsa_exception_fp_ieee_invalid_op 0
		.amdhsa_exception_fp_denorm_src 0
		.amdhsa_exception_fp_ieee_div_zero 0
		.amdhsa_exception_fp_ieee_overflow 0
		.amdhsa_exception_fp_ieee_underflow 0
		.amdhsa_exception_fp_ieee_inexact 0
		.amdhsa_exception_int_div_zero 0
	.end_amdhsa_kernel
	.section	.text._ZN7rocprim17ROCPRIM_400000_NS6detail17trampoline_kernelINS0_14default_configENS1_25partition_config_selectorILNS1_17partition_subalgoE6EsNS0_10empty_typeEbEEZZNS1_14partition_implILS5_6ELb0ES3_mN6thrust23THRUST_200600_302600_NS6detail15normal_iteratorINSA_10device_ptrIsEEEEPS6_SG_NS0_5tupleIJSF_S6_EEENSH_IJSG_SG_EEES6_PlJNSB_9not_fun_tINSB_14equal_to_valueIsEEEEEEE10hipError_tPvRmT3_T4_T5_T6_T7_T9_mT8_P12ihipStream_tbDpT10_ENKUlT_T0_E_clISt17integral_constantIbLb0EES18_EEDaS13_S14_EUlS13_E_NS1_11comp_targetILNS1_3genE4ELNS1_11target_archE910ELNS1_3gpuE8ELNS1_3repE0EEENS1_30default_config_static_selectorELNS0_4arch9wavefront6targetE0EEEvT1_,"axG",@progbits,_ZN7rocprim17ROCPRIM_400000_NS6detail17trampoline_kernelINS0_14default_configENS1_25partition_config_selectorILNS1_17partition_subalgoE6EsNS0_10empty_typeEbEEZZNS1_14partition_implILS5_6ELb0ES3_mN6thrust23THRUST_200600_302600_NS6detail15normal_iteratorINSA_10device_ptrIsEEEEPS6_SG_NS0_5tupleIJSF_S6_EEENSH_IJSG_SG_EEES6_PlJNSB_9not_fun_tINSB_14equal_to_valueIsEEEEEEE10hipError_tPvRmT3_T4_T5_T6_T7_T9_mT8_P12ihipStream_tbDpT10_ENKUlT_T0_E_clISt17integral_constantIbLb0EES18_EEDaS13_S14_EUlS13_E_NS1_11comp_targetILNS1_3genE4ELNS1_11target_archE910ELNS1_3gpuE8ELNS1_3repE0EEENS1_30default_config_static_selectorELNS0_4arch9wavefront6targetE0EEEvT1_,comdat
.Lfunc_end503:
	.size	_ZN7rocprim17ROCPRIM_400000_NS6detail17trampoline_kernelINS0_14default_configENS1_25partition_config_selectorILNS1_17partition_subalgoE6EsNS0_10empty_typeEbEEZZNS1_14partition_implILS5_6ELb0ES3_mN6thrust23THRUST_200600_302600_NS6detail15normal_iteratorINSA_10device_ptrIsEEEEPS6_SG_NS0_5tupleIJSF_S6_EEENSH_IJSG_SG_EEES6_PlJNSB_9not_fun_tINSB_14equal_to_valueIsEEEEEEE10hipError_tPvRmT3_T4_T5_T6_T7_T9_mT8_P12ihipStream_tbDpT10_ENKUlT_T0_E_clISt17integral_constantIbLb0EES18_EEDaS13_S14_EUlS13_E_NS1_11comp_targetILNS1_3genE4ELNS1_11target_archE910ELNS1_3gpuE8ELNS1_3repE0EEENS1_30default_config_static_selectorELNS0_4arch9wavefront6targetE0EEEvT1_, .Lfunc_end503-_ZN7rocprim17ROCPRIM_400000_NS6detail17trampoline_kernelINS0_14default_configENS1_25partition_config_selectorILNS1_17partition_subalgoE6EsNS0_10empty_typeEbEEZZNS1_14partition_implILS5_6ELb0ES3_mN6thrust23THRUST_200600_302600_NS6detail15normal_iteratorINSA_10device_ptrIsEEEEPS6_SG_NS0_5tupleIJSF_S6_EEENSH_IJSG_SG_EEES6_PlJNSB_9not_fun_tINSB_14equal_to_valueIsEEEEEEE10hipError_tPvRmT3_T4_T5_T6_T7_T9_mT8_P12ihipStream_tbDpT10_ENKUlT_T0_E_clISt17integral_constantIbLb0EES18_EEDaS13_S14_EUlS13_E_NS1_11comp_targetILNS1_3genE4ELNS1_11target_archE910ELNS1_3gpuE8ELNS1_3repE0EEENS1_30default_config_static_selectorELNS0_4arch9wavefront6targetE0EEEvT1_
                                        ; -- End function
	.set _ZN7rocprim17ROCPRIM_400000_NS6detail17trampoline_kernelINS0_14default_configENS1_25partition_config_selectorILNS1_17partition_subalgoE6EsNS0_10empty_typeEbEEZZNS1_14partition_implILS5_6ELb0ES3_mN6thrust23THRUST_200600_302600_NS6detail15normal_iteratorINSA_10device_ptrIsEEEEPS6_SG_NS0_5tupleIJSF_S6_EEENSH_IJSG_SG_EEES6_PlJNSB_9not_fun_tINSB_14equal_to_valueIsEEEEEEE10hipError_tPvRmT3_T4_T5_T6_T7_T9_mT8_P12ihipStream_tbDpT10_ENKUlT_T0_E_clISt17integral_constantIbLb0EES18_EEDaS13_S14_EUlS13_E_NS1_11comp_targetILNS1_3genE4ELNS1_11target_archE910ELNS1_3gpuE8ELNS1_3repE0EEENS1_30default_config_static_selectorELNS0_4arch9wavefront6targetE0EEEvT1_.num_vgpr, 0
	.set _ZN7rocprim17ROCPRIM_400000_NS6detail17trampoline_kernelINS0_14default_configENS1_25partition_config_selectorILNS1_17partition_subalgoE6EsNS0_10empty_typeEbEEZZNS1_14partition_implILS5_6ELb0ES3_mN6thrust23THRUST_200600_302600_NS6detail15normal_iteratorINSA_10device_ptrIsEEEEPS6_SG_NS0_5tupleIJSF_S6_EEENSH_IJSG_SG_EEES6_PlJNSB_9not_fun_tINSB_14equal_to_valueIsEEEEEEE10hipError_tPvRmT3_T4_T5_T6_T7_T9_mT8_P12ihipStream_tbDpT10_ENKUlT_T0_E_clISt17integral_constantIbLb0EES18_EEDaS13_S14_EUlS13_E_NS1_11comp_targetILNS1_3genE4ELNS1_11target_archE910ELNS1_3gpuE8ELNS1_3repE0EEENS1_30default_config_static_selectorELNS0_4arch9wavefront6targetE0EEEvT1_.num_agpr, 0
	.set _ZN7rocprim17ROCPRIM_400000_NS6detail17trampoline_kernelINS0_14default_configENS1_25partition_config_selectorILNS1_17partition_subalgoE6EsNS0_10empty_typeEbEEZZNS1_14partition_implILS5_6ELb0ES3_mN6thrust23THRUST_200600_302600_NS6detail15normal_iteratorINSA_10device_ptrIsEEEEPS6_SG_NS0_5tupleIJSF_S6_EEENSH_IJSG_SG_EEES6_PlJNSB_9not_fun_tINSB_14equal_to_valueIsEEEEEEE10hipError_tPvRmT3_T4_T5_T6_T7_T9_mT8_P12ihipStream_tbDpT10_ENKUlT_T0_E_clISt17integral_constantIbLb0EES18_EEDaS13_S14_EUlS13_E_NS1_11comp_targetILNS1_3genE4ELNS1_11target_archE910ELNS1_3gpuE8ELNS1_3repE0EEENS1_30default_config_static_selectorELNS0_4arch9wavefront6targetE0EEEvT1_.numbered_sgpr, 0
	.set _ZN7rocprim17ROCPRIM_400000_NS6detail17trampoline_kernelINS0_14default_configENS1_25partition_config_selectorILNS1_17partition_subalgoE6EsNS0_10empty_typeEbEEZZNS1_14partition_implILS5_6ELb0ES3_mN6thrust23THRUST_200600_302600_NS6detail15normal_iteratorINSA_10device_ptrIsEEEEPS6_SG_NS0_5tupleIJSF_S6_EEENSH_IJSG_SG_EEES6_PlJNSB_9not_fun_tINSB_14equal_to_valueIsEEEEEEE10hipError_tPvRmT3_T4_T5_T6_T7_T9_mT8_P12ihipStream_tbDpT10_ENKUlT_T0_E_clISt17integral_constantIbLb0EES18_EEDaS13_S14_EUlS13_E_NS1_11comp_targetILNS1_3genE4ELNS1_11target_archE910ELNS1_3gpuE8ELNS1_3repE0EEENS1_30default_config_static_selectorELNS0_4arch9wavefront6targetE0EEEvT1_.num_named_barrier, 0
	.set _ZN7rocprim17ROCPRIM_400000_NS6detail17trampoline_kernelINS0_14default_configENS1_25partition_config_selectorILNS1_17partition_subalgoE6EsNS0_10empty_typeEbEEZZNS1_14partition_implILS5_6ELb0ES3_mN6thrust23THRUST_200600_302600_NS6detail15normal_iteratorINSA_10device_ptrIsEEEEPS6_SG_NS0_5tupleIJSF_S6_EEENSH_IJSG_SG_EEES6_PlJNSB_9not_fun_tINSB_14equal_to_valueIsEEEEEEE10hipError_tPvRmT3_T4_T5_T6_T7_T9_mT8_P12ihipStream_tbDpT10_ENKUlT_T0_E_clISt17integral_constantIbLb0EES18_EEDaS13_S14_EUlS13_E_NS1_11comp_targetILNS1_3genE4ELNS1_11target_archE910ELNS1_3gpuE8ELNS1_3repE0EEENS1_30default_config_static_selectorELNS0_4arch9wavefront6targetE0EEEvT1_.private_seg_size, 0
	.set _ZN7rocprim17ROCPRIM_400000_NS6detail17trampoline_kernelINS0_14default_configENS1_25partition_config_selectorILNS1_17partition_subalgoE6EsNS0_10empty_typeEbEEZZNS1_14partition_implILS5_6ELb0ES3_mN6thrust23THRUST_200600_302600_NS6detail15normal_iteratorINSA_10device_ptrIsEEEEPS6_SG_NS0_5tupleIJSF_S6_EEENSH_IJSG_SG_EEES6_PlJNSB_9not_fun_tINSB_14equal_to_valueIsEEEEEEE10hipError_tPvRmT3_T4_T5_T6_T7_T9_mT8_P12ihipStream_tbDpT10_ENKUlT_T0_E_clISt17integral_constantIbLb0EES18_EEDaS13_S14_EUlS13_E_NS1_11comp_targetILNS1_3genE4ELNS1_11target_archE910ELNS1_3gpuE8ELNS1_3repE0EEENS1_30default_config_static_selectorELNS0_4arch9wavefront6targetE0EEEvT1_.uses_vcc, 0
	.set _ZN7rocprim17ROCPRIM_400000_NS6detail17trampoline_kernelINS0_14default_configENS1_25partition_config_selectorILNS1_17partition_subalgoE6EsNS0_10empty_typeEbEEZZNS1_14partition_implILS5_6ELb0ES3_mN6thrust23THRUST_200600_302600_NS6detail15normal_iteratorINSA_10device_ptrIsEEEEPS6_SG_NS0_5tupleIJSF_S6_EEENSH_IJSG_SG_EEES6_PlJNSB_9not_fun_tINSB_14equal_to_valueIsEEEEEEE10hipError_tPvRmT3_T4_T5_T6_T7_T9_mT8_P12ihipStream_tbDpT10_ENKUlT_T0_E_clISt17integral_constantIbLb0EES18_EEDaS13_S14_EUlS13_E_NS1_11comp_targetILNS1_3genE4ELNS1_11target_archE910ELNS1_3gpuE8ELNS1_3repE0EEENS1_30default_config_static_selectorELNS0_4arch9wavefront6targetE0EEEvT1_.uses_flat_scratch, 0
	.set _ZN7rocprim17ROCPRIM_400000_NS6detail17trampoline_kernelINS0_14default_configENS1_25partition_config_selectorILNS1_17partition_subalgoE6EsNS0_10empty_typeEbEEZZNS1_14partition_implILS5_6ELb0ES3_mN6thrust23THRUST_200600_302600_NS6detail15normal_iteratorINSA_10device_ptrIsEEEEPS6_SG_NS0_5tupleIJSF_S6_EEENSH_IJSG_SG_EEES6_PlJNSB_9not_fun_tINSB_14equal_to_valueIsEEEEEEE10hipError_tPvRmT3_T4_T5_T6_T7_T9_mT8_P12ihipStream_tbDpT10_ENKUlT_T0_E_clISt17integral_constantIbLb0EES18_EEDaS13_S14_EUlS13_E_NS1_11comp_targetILNS1_3genE4ELNS1_11target_archE910ELNS1_3gpuE8ELNS1_3repE0EEENS1_30default_config_static_selectorELNS0_4arch9wavefront6targetE0EEEvT1_.has_dyn_sized_stack, 0
	.set _ZN7rocprim17ROCPRIM_400000_NS6detail17trampoline_kernelINS0_14default_configENS1_25partition_config_selectorILNS1_17partition_subalgoE6EsNS0_10empty_typeEbEEZZNS1_14partition_implILS5_6ELb0ES3_mN6thrust23THRUST_200600_302600_NS6detail15normal_iteratorINSA_10device_ptrIsEEEEPS6_SG_NS0_5tupleIJSF_S6_EEENSH_IJSG_SG_EEES6_PlJNSB_9not_fun_tINSB_14equal_to_valueIsEEEEEEE10hipError_tPvRmT3_T4_T5_T6_T7_T9_mT8_P12ihipStream_tbDpT10_ENKUlT_T0_E_clISt17integral_constantIbLb0EES18_EEDaS13_S14_EUlS13_E_NS1_11comp_targetILNS1_3genE4ELNS1_11target_archE910ELNS1_3gpuE8ELNS1_3repE0EEENS1_30default_config_static_selectorELNS0_4arch9wavefront6targetE0EEEvT1_.has_recursion, 0
	.set _ZN7rocprim17ROCPRIM_400000_NS6detail17trampoline_kernelINS0_14default_configENS1_25partition_config_selectorILNS1_17partition_subalgoE6EsNS0_10empty_typeEbEEZZNS1_14partition_implILS5_6ELb0ES3_mN6thrust23THRUST_200600_302600_NS6detail15normal_iteratorINSA_10device_ptrIsEEEEPS6_SG_NS0_5tupleIJSF_S6_EEENSH_IJSG_SG_EEES6_PlJNSB_9not_fun_tINSB_14equal_to_valueIsEEEEEEE10hipError_tPvRmT3_T4_T5_T6_T7_T9_mT8_P12ihipStream_tbDpT10_ENKUlT_T0_E_clISt17integral_constantIbLb0EES18_EEDaS13_S14_EUlS13_E_NS1_11comp_targetILNS1_3genE4ELNS1_11target_archE910ELNS1_3gpuE8ELNS1_3repE0EEENS1_30default_config_static_selectorELNS0_4arch9wavefront6targetE0EEEvT1_.has_indirect_call, 0
	.section	.AMDGPU.csdata,"",@progbits
; Kernel info:
; codeLenInByte = 0
; TotalNumSgprs: 0
; NumVgprs: 0
; ScratchSize: 0
; MemoryBound: 0
; FloatMode: 240
; IeeeMode: 1
; LDSByteSize: 0 bytes/workgroup (compile time only)
; SGPRBlocks: 0
; VGPRBlocks: 0
; NumSGPRsForWavesPerEU: 1
; NumVGPRsForWavesPerEU: 1
; Occupancy: 16
; WaveLimiterHint : 0
; COMPUTE_PGM_RSRC2:SCRATCH_EN: 0
; COMPUTE_PGM_RSRC2:USER_SGPR: 2
; COMPUTE_PGM_RSRC2:TRAP_HANDLER: 0
; COMPUTE_PGM_RSRC2:TGID_X_EN: 1
; COMPUTE_PGM_RSRC2:TGID_Y_EN: 0
; COMPUTE_PGM_RSRC2:TGID_Z_EN: 0
; COMPUTE_PGM_RSRC2:TIDIG_COMP_CNT: 0
	.section	.text._ZN7rocprim17ROCPRIM_400000_NS6detail17trampoline_kernelINS0_14default_configENS1_25partition_config_selectorILNS1_17partition_subalgoE6EsNS0_10empty_typeEbEEZZNS1_14partition_implILS5_6ELb0ES3_mN6thrust23THRUST_200600_302600_NS6detail15normal_iteratorINSA_10device_ptrIsEEEEPS6_SG_NS0_5tupleIJSF_S6_EEENSH_IJSG_SG_EEES6_PlJNSB_9not_fun_tINSB_14equal_to_valueIsEEEEEEE10hipError_tPvRmT3_T4_T5_T6_T7_T9_mT8_P12ihipStream_tbDpT10_ENKUlT_T0_E_clISt17integral_constantIbLb0EES18_EEDaS13_S14_EUlS13_E_NS1_11comp_targetILNS1_3genE3ELNS1_11target_archE908ELNS1_3gpuE7ELNS1_3repE0EEENS1_30default_config_static_selectorELNS0_4arch9wavefront6targetE0EEEvT1_,"axG",@progbits,_ZN7rocprim17ROCPRIM_400000_NS6detail17trampoline_kernelINS0_14default_configENS1_25partition_config_selectorILNS1_17partition_subalgoE6EsNS0_10empty_typeEbEEZZNS1_14partition_implILS5_6ELb0ES3_mN6thrust23THRUST_200600_302600_NS6detail15normal_iteratorINSA_10device_ptrIsEEEEPS6_SG_NS0_5tupleIJSF_S6_EEENSH_IJSG_SG_EEES6_PlJNSB_9not_fun_tINSB_14equal_to_valueIsEEEEEEE10hipError_tPvRmT3_T4_T5_T6_T7_T9_mT8_P12ihipStream_tbDpT10_ENKUlT_T0_E_clISt17integral_constantIbLb0EES18_EEDaS13_S14_EUlS13_E_NS1_11comp_targetILNS1_3genE3ELNS1_11target_archE908ELNS1_3gpuE7ELNS1_3repE0EEENS1_30default_config_static_selectorELNS0_4arch9wavefront6targetE0EEEvT1_,comdat
	.protected	_ZN7rocprim17ROCPRIM_400000_NS6detail17trampoline_kernelINS0_14default_configENS1_25partition_config_selectorILNS1_17partition_subalgoE6EsNS0_10empty_typeEbEEZZNS1_14partition_implILS5_6ELb0ES3_mN6thrust23THRUST_200600_302600_NS6detail15normal_iteratorINSA_10device_ptrIsEEEEPS6_SG_NS0_5tupleIJSF_S6_EEENSH_IJSG_SG_EEES6_PlJNSB_9not_fun_tINSB_14equal_to_valueIsEEEEEEE10hipError_tPvRmT3_T4_T5_T6_T7_T9_mT8_P12ihipStream_tbDpT10_ENKUlT_T0_E_clISt17integral_constantIbLb0EES18_EEDaS13_S14_EUlS13_E_NS1_11comp_targetILNS1_3genE3ELNS1_11target_archE908ELNS1_3gpuE7ELNS1_3repE0EEENS1_30default_config_static_selectorELNS0_4arch9wavefront6targetE0EEEvT1_ ; -- Begin function _ZN7rocprim17ROCPRIM_400000_NS6detail17trampoline_kernelINS0_14default_configENS1_25partition_config_selectorILNS1_17partition_subalgoE6EsNS0_10empty_typeEbEEZZNS1_14partition_implILS5_6ELb0ES3_mN6thrust23THRUST_200600_302600_NS6detail15normal_iteratorINSA_10device_ptrIsEEEEPS6_SG_NS0_5tupleIJSF_S6_EEENSH_IJSG_SG_EEES6_PlJNSB_9not_fun_tINSB_14equal_to_valueIsEEEEEEE10hipError_tPvRmT3_T4_T5_T6_T7_T9_mT8_P12ihipStream_tbDpT10_ENKUlT_T0_E_clISt17integral_constantIbLb0EES18_EEDaS13_S14_EUlS13_E_NS1_11comp_targetILNS1_3genE3ELNS1_11target_archE908ELNS1_3gpuE7ELNS1_3repE0EEENS1_30default_config_static_selectorELNS0_4arch9wavefront6targetE0EEEvT1_
	.globl	_ZN7rocprim17ROCPRIM_400000_NS6detail17trampoline_kernelINS0_14default_configENS1_25partition_config_selectorILNS1_17partition_subalgoE6EsNS0_10empty_typeEbEEZZNS1_14partition_implILS5_6ELb0ES3_mN6thrust23THRUST_200600_302600_NS6detail15normal_iteratorINSA_10device_ptrIsEEEEPS6_SG_NS0_5tupleIJSF_S6_EEENSH_IJSG_SG_EEES6_PlJNSB_9not_fun_tINSB_14equal_to_valueIsEEEEEEE10hipError_tPvRmT3_T4_T5_T6_T7_T9_mT8_P12ihipStream_tbDpT10_ENKUlT_T0_E_clISt17integral_constantIbLb0EES18_EEDaS13_S14_EUlS13_E_NS1_11comp_targetILNS1_3genE3ELNS1_11target_archE908ELNS1_3gpuE7ELNS1_3repE0EEENS1_30default_config_static_selectorELNS0_4arch9wavefront6targetE0EEEvT1_
	.p2align	8
	.type	_ZN7rocprim17ROCPRIM_400000_NS6detail17trampoline_kernelINS0_14default_configENS1_25partition_config_selectorILNS1_17partition_subalgoE6EsNS0_10empty_typeEbEEZZNS1_14partition_implILS5_6ELb0ES3_mN6thrust23THRUST_200600_302600_NS6detail15normal_iteratorINSA_10device_ptrIsEEEEPS6_SG_NS0_5tupleIJSF_S6_EEENSH_IJSG_SG_EEES6_PlJNSB_9not_fun_tINSB_14equal_to_valueIsEEEEEEE10hipError_tPvRmT3_T4_T5_T6_T7_T9_mT8_P12ihipStream_tbDpT10_ENKUlT_T0_E_clISt17integral_constantIbLb0EES18_EEDaS13_S14_EUlS13_E_NS1_11comp_targetILNS1_3genE3ELNS1_11target_archE908ELNS1_3gpuE7ELNS1_3repE0EEENS1_30default_config_static_selectorELNS0_4arch9wavefront6targetE0EEEvT1_,@function
_ZN7rocprim17ROCPRIM_400000_NS6detail17trampoline_kernelINS0_14default_configENS1_25partition_config_selectorILNS1_17partition_subalgoE6EsNS0_10empty_typeEbEEZZNS1_14partition_implILS5_6ELb0ES3_mN6thrust23THRUST_200600_302600_NS6detail15normal_iteratorINSA_10device_ptrIsEEEEPS6_SG_NS0_5tupleIJSF_S6_EEENSH_IJSG_SG_EEES6_PlJNSB_9not_fun_tINSB_14equal_to_valueIsEEEEEEE10hipError_tPvRmT3_T4_T5_T6_T7_T9_mT8_P12ihipStream_tbDpT10_ENKUlT_T0_E_clISt17integral_constantIbLb0EES18_EEDaS13_S14_EUlS13_E_NS1_11comp_targetILNS1_3genE3ELNS1_11target_archE908ELNS1_3gpuE7ELNS1_3repE0EEENS1_30default_config_static_selectorELNS0_4arch9wavefront6targetE0EEEvT1_: ; @_ZN7rocprim17ROCPRIM_400000_NS6detail17trampoline_kernelINS0_14default_configENS1_25partition_config_selectorILNS1_17partition_subalgoE6EsNS0_10empty_typeEbEEZZNS1_14partition_implILS5_6ELb0ES3_mN6thrust23THRUST_200600_302600_NS6detail15normal_iteratorINSA_10device_ptrIsEEEEPS6_SG_NS0_5tupleIJSF_S6_EEENSH_IJSG_SG_EEES6_PlJNSB_9not_fun_tINSB_14equal_to_valueIsEEEEEEE10hipError_tPvRmT3_T4_T5_T6_T7_T9_mT8_P12ihipStream_tbDpT10_ENKUlT_T0_E_clISt17integral_constantIbLb0EES18_EEDaS13_S14_EUlS13_E_NS1_11comp_targetILNS1_3genE3ELNS1_11target_archE908ELNS1_3gpuE7ELNS1_3repE0EEENS1_30default_config_static_selectorELNS0_4arch9wavefront6targetE0EEEvT1_
; %bb.0:
	.section	.rodata,"a",@progbits
	.p2align	6, 0x0
	.amdhsa_kernel _ZN7rocprim17ROCPRIM_400000_NS6detail17trampoline_kernelINS0_14default_configENS1_25partition_config_selectorILNS1_17partition_subalgoE6EsNS0_10empty_typeEbEEZZNS1_14partition_implILS5_6ELb0ES3_mN6thrust23THRUST_200600_302600_NS6detail15normal_iteratorINSA_10device_ptrIsEEEEPS6_SG_NS0_5tupleIJSF_S6_EEENSH_IJSG_SG_EEES6_PlJNSB_9not_fun_tINSB_14equal_to_valueIsEEEEEEE10hipError_tPvRmT3_T4_T5_T6_T7_T9_mT8_P12ihipStream_tbDpT10_ENKUlT_T0_E_clISt17integral_constantIbLb0EES18_EEDaS13_S14_EUlS13_E_NS1_11comp_targetILNS1_3genE3ELNS1_11target_archE908ELNS1_3gpuE7ELNS1_3repE0EEENS1_30default_config_static_selectorELNS0_4arch9wavefront6targetE0EEEvT1_
		.amdhsa_group_segment_fixed_size 0
		.amdhsa_private_segment_fixed_size 0
		.amdhsa_kernarg_size 112
		.amdhsa_user_sgpr_count 2
		.amdhsa_user_sgpr_dispatch_ptr 0
		.amdhsa_user_sgpr_queue_ptr 0
		.amdhsa_user_sgpr_kernarg_segment_ptr 1
		.amdhsa_user_sgpr_dispatch_id 0
		.amdhsa_user_sgpr_private_segment_size 0
		.amdhsa_wavefront_size32 1
		.amdhsa_uses_dynamic_stack 0
		.amdhsa_enable_private_segment 0
		.amdhsa_system_sgpr_workgroup_id_x 1
		.amdhsa_system_sgpr_workgroup_id_y 0
		.amdhsa_system_sgpr_workgroup_id_z 0
		.amdhsa_system_sgpr_workgroup_info 0
		.amdhsa_system_vgpr_workitem_id 0
		.amdhsa_next_free_vgpr 1
		.amdhsa_next_free_sgpr 1
		.amdhsa_reserve_vcc 0
		.amdhsa_float_round_mode_32 0
		.amdhsa_float_round_mode_16_64 0
		.amdhsa_float_denorm_mode_32 3
		.amdhsa_float_denorm_mode_16_64 3
		.amdhsa_fp16_overflow 0
		.amdhsa_workgroup_processor_mode 1
		.amdhsa_memory_ordered 1
		.amdhsa_forward_progress 1
		.amdhsa_inst_pref_size 0
		.amdhsa_round_robin_scheduling 0
		.amdhsa_exception_fp_ieee_invalid_op 0
		.amdhsa_exception_fp_denorm_src 0
		.amdhsa_exception_fp_ieee_div_zero 0
		.amdhsa_exception_fp_ieee_overflow 0
		.amdhsa_exception_fp_ieee_underflow 0
		.amdhsa_exception_fp_ieee_inexact 0
		.amdhsa_exception_int_div_zero 0
	.end_amdhsa_kernel
	.section	.text._ZN7rocprim17ROCPRIM_400000_NS6detail17trampoline_kernelINS0_14default_configENS1_25partition_config_selectorILNS1_17partition_subalgoE6EsNS0_10empty_typeEbEEZZNS1_14partition_implILS5_6ELb0ES3_mN6thrust23THRUST_200600_302600_NS6detail15normal_iteratorINSA_10device_ptrIsEEEEPS6_SG_NS0_5tupleIJSF_S6_EEENSH_IJSG_SG_EEES6_PlJNSB_9not_fun_tINSB_14equal_to_valueIsEEEEEEE10hipError_tPvRmT3_T4_T5_T6_T7_T9_mT8_P12ihipStream_tbDpT10_ENKUlT_T0_E_clISt17integral_constantIbLb0EES18_EEDaS13_S14_EUlS13_E_NS1_11comp_targetILNS1_3genE3ELNS1_11target_archE908ELNS1_3gpuE7ELNS1_3repE0EEENS1_30default_config_static_selectorELNS0_4arch9wavefront6targetE0EEEvT1_,"axG",@progbits,_ZN7rocprim17ROCPRIM_400000_NS6detail17trampoline_kernelINS0_14default_configENS1_25partition_config_selectorILNS1_17partition_subalgoE6EsNS0_10empty_typeEbEEZZNS1_14partition_implILS5_6ELb0ES3_mN6thrust23THRUST_200600_302600_NS6detail15normal_iteratorINSA_10device_ptrIsEEEEPS6_SG_NS0_5tupleIJSF_S6_EEENSH_IJSG_SG_EEES6_PlJNSB_9not_fun_tINSB_14equal_to_valueIsEEEEEEE10hipError_tPvRmT3_T4_T5_T6_T7_T9_mT8_P12ihipStream_tbDpT10_ENKUlT_T0_E_clISt17integral_constantIbLb0EES18_EEDaS13_S14_EUlS13_E_NS1_11comp_targetILNS1_3genE3ELNS1_11target_archE908ELNS1_3gpuE7ELNS1_3repE0EEENS1_30default_config_static_selectorELNS0_4arch9wavefront6targetE0EEEvT1_,comdat
.Lfunc_end504:
	.size	_ZN7rocprim17ROCPRIM_400000_NS6detail17trampoline_kernelINS0_14default_configENS1_25partition_config_selectorILNS1_17partition_subalgoE6EsNS0_10empty_typeEbEEZZNS1_14partition_implILS5_6ELb0ES3_mN6thrust23THRUST_200600_302600_NS6detail15normal_iteratorINSA_10device_ptrIsEEEEPS6_SG_NS0_5tupleIJSF_S6_EEENSH_IJSG_SG_EEES6_PlJNSB_9not_fun_tINSB_14equal_to_valueIsEEEEEEE10hipError_tPvRmT3_T4_T5_T6_T7_T9_mT8_P12ihipStream_tbDpT10_ENKUlT_T0_E_clISt17integral_constantIbLb0EES18_EEDaS13_S14_EUlS13_E_NS1_11comp_targetILNS1_3genE3ELNS1_11target_archE908ELNS1_3gpuE7ELNS1_3repE0EEENS1_30default_config_static_selectorELNS0_4arch9wavefront6targetE0EEEvT1_, .Lfunc_end504-_ZN7rocprim17ROCPRIM_400000_NS6detail17trampoline_kernelINS0_14default_configENS1_25partition_config_selectorILNS1_17partition_subalgoE6EsNS0_10empty_typeEbEEZZNS1_14partition_implILS5_6ELb0ES3_mN6thrust23THRUST_200600_302600_NS6detail15normal_iteratorINSA_10device_ptrIsEEEEPS6_SG_NS0_5tupleIJSF_S6_EEENSH_IJSG_SG_EEES6_PlJNSB_9not_fun_tINSB_14equal_to_valueIsEEEEEEE10hipError_tPvRmT3_T4_T5_T6_T7_T9_mT8_P12ihipStream_tbDpT10_ENKUlT_T0_E_clISt17integral_constantIbLb0EES18_EEDaS13_S14_EUlS13_E_NS1_11comp_targetILNS1_3genE3ELNS1_11target_archE908ELNS1_3gpuE7ELNS1_3repE0EEENS1_30default_config_static_selectorELNS0_4arch9wavefront6targetE0EEEvT1_
                                        ; -- End function
	.set _ZN7rocprim17ROCPRIM_400000_NS6detail17trampoline_kernelINS0_14default_configENS1_25partition_config_selectorILNS1_17partition_subalgoE6EsNS0_10empty_typeEbEEZZNS1_14partition_implILS5_6ELb0ES3_mN6thrust23THRUST_200600_302600_NS6detail15normal_iteratorINSA_10device_ptrIsEEEEPS6_SG_NS0_5tupleIJSF_S6_EEENSH_IJSG_SG_EEES6_PlJNSB_9not_fun_tINSB_14equal_to_valueIsEEEEEEE10hipError_tPvRmT3_T4_T5_T6_T7_T9_mT8_P12ihipStream_tbDpT10_ENKUlT_T0_E_clISt17integral_constantIbLb0EES18_EEDaS13_S14_EUlS13_E_NS1_11comp_targetILNS1_3genE3ELNS1_11target_archE908ELNS1_3gpuE7ELNS1_3repE0EEENS1_30default_config_static_selectorELNS0_4arch9wavefront6targetE0EEEvT1_.num_vgpr, 0
	.set _ZN7rocprim17ROCPRIM_400000_NS6detail17trampoline_kernelINS0_14default_configENS1_25partition_config_selectorILNS1_17partition_subalgoE6EsNS0_10empty_typeEbEEZZNS1_14partition_implILS5_6ELb0ES3_mN6thrust23THRUST_200600_302600_NS6detail15normal_iteratorINSA_10device_ptrIsEEEEPS6_SG_NS0_5tupleIJSF_S6_EEENSH_IJSG_SG_EEES6_PlJNSB_9not_fun_tINSB_14equal_to_valueIsEEEEEEE10hipError_tPvRmT3_T4_T5_T6_T7_T9_mT8_P12ihipStream_tbDpT10_ENKUlT_T0_E_clISt17integral_constantIbLb0EES18_EEDaS13_S14_EUlS13_E_NS1_11comp_targetILNS1_3genE3ELNS1_11target_archE908ELNS1_3gpuE7ELNS1_3repE0EEENS1_30default_config_static_selectorELNS0_4arch9wavefront6targetE0EEEvT1_.num_agpr, 0
	.set _ZN7rocprim17ROCPRIM_400000_NS6detail17trampoline_kernelINS0_14default_configENS1_25partition_config_selectorILNS1_17partition_subalgoE6EsNS0_10empty_typeEbEEZZNS1_14partition_implILS5_6ELb0ES3_mN6thrust23THRUST_200600_302600_NS6detail15normal_iteratorINSA_10device_ptrIsEEEEPS6_SG_NS0_5tupleIJSF_S6_EEENSH_IJSG_SG_EEES6_PlJNSB_9not_fun_tINSB_14equal_to_valueIsEEEEEEE10hipError_tPvRmT3_T4_T5_T6_T7_T9_mT8_P12ihipStream_tbDpT10_ENKUlT_T0_E_clISt17integral_constantIbLb0EES18_EEDaS13_S14_EUlS13_E_NS1_11comp_targetILNS1_3genE3ELNS1_11target_archE908ELNS1_3gpuE7ELNS1_3repE0EEENS1_30default_config_static_selectorELNS0_4arch9wavefront6targetE0EEEvT1_.numbered_sgpr, 0
	.set _ZN7rocprim17ROCPRIM_400000_NS6detail17trampoline_kernelINS0_14default_configENS1_25partition_config_selectorILNS1_17partition_subalgoE6EsNS0_10empty_typeEbEEZZNS1_14partition_implILS5_6ELb0ES3_mN6thrust23THRUST_200600_302600_NS6detail15normal_iteratorINSA_10device_ptrIsEEEEPS6_SG_NS0_5tupleIJSF_S6_EEENSH_IJSG_SG_EEES6_PlJNSB_9not_fun_tINSB_14equal_to_valueIsEEEEEEE10hipError_tPvRmT3_T4_T5_T6_T7_T9_mT8_P12ihipStream_tbDpT10_ENKUlT_T0_E_clISt17integral_constantIbLb0EES18_EEDaS13_S14_EUlS13_E_NS1_11comp_targetILNS1_3genE3ELNS1_11target_archE908ELNS1_3gpuE7ELNS1_3repE0EEENS1_30default_config_static_selectorELNS0_4arch9wavefront6targetE0EEEvT1_.num_named_barrier, 0
	.set _ZN7rocprim17ROCPRIM_400000_NS6detail17trampoline_kernelINS0_14default_configENS1_25partition_config_selectorILNS1_17partition_subalgoE6EsNS0_10empty_typeEbEEZZNS1_14partition_implILS5_6ELb0ES3_mN6thrust23THRUST_200600_302600_NS6detail15normal_iteratorINSA_10device_ptrIsEEEEPS6_SG_NS0_5tupleIJSF_S6_EEENSH_IJSG_SG_EEES6_PlJNSB_9not_fun_tINSB_14equal_to_valueIsEEEEEEE10hipError_tPvRmT3_T4_T5_T6_T7_T9_mT8_P12ihipStream_tbDpT10_ENKUlT_T0_E_clISt17integral_constantIbLb0EES18_EEDaS13_S14_EUlS13_E_NS1_11comp_targetILNS1_3genE3ELNS1_11target_archE908ELNS1_3gpuE7ELNS1_3repE0EEENS1_30default_config_static_selectorELNS0_4arch9wavefront6targetE0EEEvT1_.private_seg_size, 0
	.set _ZN7rocprim17ROCPRIM_400000_NS6detail17trampoline_kernelINS0_14default_configENS1_25partition_config_selectorILNS1_17partition_subalgoE6EsNS0_10empty_typeEbEEZZNS1_14partition_implILS5_6ELb0ES3_mN6thrust23THRUST_200600_302600_NS6detail15normal_iteratorINSA_10device_ptrIsEEEEPS6_SG_NS0_5tupleIJSF_S6_EEENSH_IJSG_SG_EEES6_PlJNSB_9not_fun_tINSB_14equal_to_valueIsEEEEEEE10hipError_tPvRmT3_T4_T5_T6_T7_T9_mT8_P12ihipStream_tbDpT10_ENKUlT_T0_E_clISt17integral_constantIbLb0EES18_EEDaS13_S14_EUlS13_E_NS1_11comp_targetILNS1_3genE3ELNS1_11target_archE908ELNS1_3gpuE7ELNS1_3repE0EEENS1_30default_config_static_selectorELNS0_4arch9wavefront6targetE0EEEvT1_.uses_vcc, 0
	.set _ZN7rocprim17ROCPRIM_400000_NS6detail17trampoline_kernelINS0_14default_configENS1_25partition_config_selectorILNS1_17partition_subalgoE6EsNS0_10empty_typeEbEEZZNS1_14partition_implILS5_6ELb0ES3_mN6thrust23THRUST_200600_302600_NS6detail15normal_iteratorINSA_10device_ptrIsEEEEPS6_SG_NS0_5tupleIJSF_S6_EEENSH_IJSG_SG_EEES6_PlJNSB_9not_fun_tINSB_14equal_to_valueIsEEEEEEE10hipError_tPvRmT3_T4_T5_T6_T7_T9_mT8_P12ihipStream_tbDpT10_ENKUlT_T0_E_clISt17integral_constantIbLb0EES18_EEDaS13_S14_EUlS13_E_NS1_11comp_targetILNS1_3genE3ELNS1_11target_archE908ELNS1_3gpuE7ELNS1_3repE0EEENS1_30default_config_static_selectorELNS0_4arch9wavefront6targetE0EEEvT1_.uses_flat_scratch, 0
	.set _ZN7rocprim17ROCPRIM_400000_NS6detail17trampoline_kernelINS0_14default_configENS1_25partition_config_selectorILNS1_17partition_subalgoE6EsNS0_10empty_typeEbEEZZNS1_14partition_implILS5_6ELb0ES3_mN6thrust23THRUST_200600_302600_NS6detail15normal_iteratorINSA_10device_ptrIsEEEEPS6_SG_NS0_5tupleIJSF_S6_EEENSH_IJSG_SG_EEES6_PlJNSB_9not_fun_tINSB_14equal_to_valueIsEEEEEEE10hipError_tPvRmT3_T4_T5_T6_T7_T9_mT8_P12ihipStream_tbDpT10_ENKUlT_T0_E_clISt17integral_constantIbLb0EES18_EEDaS13_S14_EUlS13_E_NS1_11comp_targetILNS1_3genE3ELNS1_11target_archE908ELNS1_3gpuE7ELNS1_3repE0EEENS1_30default_config_static_selectorELNS0_4arch9wavefront6targetE0EEEvT1_.has_dyn_sized_stack, 0
	.set _ZN7rocprim17ROCPRIM_400000_NS6detail17trampoline_kernelINS0_14default_configENS1_25partition_config_selectorILNS1_17partition_subalgoE6EsNS0_10empty_typeEbEEZZNS1_14partition_implILS5_6ELb0ES3_mN6thrust23THRUST_200600_302600_NS6detail15normal_iteratorINSA_10device_ptrIsEEEEPS6_SG_NS0_5tupleIJSF_S6_EEENSH_IJSG_SG_EEES6_PlJNSB_9not_fun_tINSB_14equal_to_valueIsEEEEEEE10hipError_tPvRmT3_T4_T5_T6_T7_T9_mT8_P12ihipStream_tbDpT10_ENKUlT_T0_E_clISt17integral_constantIbLb0EES18_EEDaS13_S14_EUlS13_E_NS1_11comp_targetILNS1_3genE3ELNS1_11target_archE908ELNS1_3gpuE7ELNS1_3repE0EEENS1_30default_config_static_selectorELNS0_4arch9wavefront6targetE0EEEvT1_.has_recursion, 0
	.set _ZN7rocprim17ROCPRIM_400000_NS6detail17trampoline_kernelINS0_14default_configENS1_25partition_config_selectorILNS1_17partition_subalgoE6EsNS0_10empty_typeEbEEZZNS1_14partition_implILS5_6ELb0ES3_mN6thrust23THRUST_200600_302600_NS6detail15normal_iteratorINSA_10device_ptrIsEEEEPS6_SG_NS0_5tupleIJSF_S6_EEENSH_IJSG_SG_EEES6_PlJNSB_9not_fun_tINSB_14equal_to_valueIsEEEEEEE10hipError_tPvRmT3_T4_T5_T6_T7_T9_mT8_P12ihipStream_tbDpT10_ENKUlT_T0_E_clISt17integral_constantIbLb0EES18_EEDaS13_S14_EUlS13_E_NS1_11comp_targetILNS1_3genE3ELNS1_11target_archE908ELNS1_3gpuE7ELNS1_3repE0EEENS1_30default_config_static_selectorELNS0_4arch9wavefront6targetE0EEEvT1_.has_indirect_call, 0
	.section	.AMDGPU.csdata,"",@progbits
; Kernel info:
; codeLenInByte = 0
; TotalNumSgprs: 0
; NumVgprs: 0
; ScratchSize: 0
; MemoryBound: 0
; FloatMode: 240
; IeeeMode: 1
; LDSByteSize: 0 bytes/workgroup (compile time only)
; SGPRBlocks: 0
; VGPRBlocks: 0
; NumSGPRsForWavesPerEU: 1
; NumVGPRsForWavesPerEU: 1
; Occupancy: 16
; WaveLimiterHint : 0
; COMPUTE_PGM_RSRC2:SCRATCH_EN: 0
; COMPUTE_PGM_RSRC2:USER_SGPR: 2
; COMPUTE_PGM_RSRC2:TRAP_HANDLER: 0
; COMPUTE_PGM_RSRC2:TGID_X_EN: 1
; COMPUTE_PGM_RSRC2:TGID_Y_EN: 0
; COMPUTE_PGM_RSRC2:TGID_Z_EN: 0
; COMPUTE_PGM_RSRC2:TIDIG_COMP_CNT: 0
	.section	.text._ZN7rocprim17ROCPRIM_400000_NS6detail17trampoline_kernelINS0_14default_configENS1_25partition_config_selectorILNS1_17partition_subalgoE6EsNS0_10empty_typeEbEEZZNS1_14partition_implILS5_6ELb0ES3_mN6thrust23THRUST_200600_302600_NS6detail15normal_iteratorINSA_10device_ptrIsEEEEPS6_SG_NS0_5tupleIJSF_S6_EEENSH_IJSG_SG_EEES6_PlJNSB_9not_fun_tINSB_14equal_to_valueIsEEEEEEE10hipError_tPvRmT3_T4_T5_T6_T7_T9_mT8_P12ihipStream_tbDpT10_ENKUlT_T0_E_clISt17integral_constantIbLb0EES18_EEDaS13_S14_EUlS13_E_NS1_11comp_targetILNS1_3genE2ELNS1_11target_archE906ELNS1_3gpuE6ELNS1_3repE0EEENS1_30default_config_static_selectorELNS0_4arch9wavefront6targetE0EEEvT1_,"axG",@progbits,_ZN7rocprim17ROCPRIM_400000_NS6detail17trampoline_kernelINS0_14default_configENS1_25partition_config_selectorILNS1_17partition_subalgoE6EsNS0_10empty_typeEbEEZZNS1_14partition_implILS5_6ELb0ES3_mN6thrust23THRUST_200600_302600_NS6detail15normal_iteratorINSA_10device_ptrIsEEEEPS6_SG_NS0_5tupleIJSF_S6_EEENSH_IJSG_SG_EEES6_PlJNSB_9not_fun_tINSB_14equal_to_valueIsEEEEEEE10hipError_tPvRmT3_T4_T5_T6_T7_T9_mT8_P12ihipStream_tbDpT10_ENKUlT_T0_E_clISt17integral_constantIbLb0EES18_EEDaS13_S14_EUlS13_E_NS1_11comp_targetILNS1_3genE2ELNS1_11target_archE906ELNS1_3gpuE6ELNS1_3repE0EEENS1_30default_config_static_selectorELNS0_4arch9wavefront6targetE0EEEvT1_,comdat
	.protected	_ZN7rocprim17ROCPRIM_400000_NS6detail17trampoline_kernelINS0_14default_configENS1_25partition_config_selectorILNS1_17partition_subalgoE6EsNS0_10empty_typeEbEEZZNS1_14partition_implILS5_6ELb0ES3_mN6thrust23THRUST_200600_302600_NS6detail15normal_iteratorINSA_10device_ptrIsEEEEPS6_SG_NS0_5tupleIJSF_S6_EEENSH_IJSG_SG_EEES6_PlJNSB_9not_fun_tINSB_14equal_to_valueIsEEEEEEE10hipError_tPvRmT3_T4_T5_T6_T7_T9_mT8_P12ihipStream_tbDpT10_ENKUlT_T0_E_clISt17integral_constantIbLb0EES18_EEDaS13_S14_EUlS13_E_NS1_11comp_targetILNS1_3genE2ELNS1_11target_archE906ELNS1_3gpuE6ELNS1_3repE0EEENS1_30default_config_static_selectorELNS0_4arch9wavefront6targetE0EEEvT1_ ; -- Begin function _ZN7rocprim17ROCPRIM_400000_NS6detail17trampoline_kernelINS0_14default_configENS1_25partition_config_selectorILNS1_17partition_subalgoE6EsNS0_10empty_typeEbEEZZNS1_14partition_implILS5_6ELb0ES3_mN6thrust23THRUST_200600_302600_NS6detail15normal_iteratorINSA_10device_ptrIsEEEEPS6_SG_NS0_5tupleIJSF_S6_EEENSH_IJSG_SG_EEES6_PlJNSB_9not_fun_tINSB_14equal_to_valueIsEEEEEEE10hipError_tPvRmT3_T4_T5_T6_T7_T9_mT8_P12ihipStream_tbDpT10_ENKUlT_T0_E_clISt17integral_constantIbLb0EES18_EEDaS13_S14_EUlS13_E_NS1_11comp_targetILNS1_3genE2ELNS1_11target_archE906ELNS1_3gpuE6ELNS1_3repE0EEENS1_30default_config_static_selectorELNS0_4arch9wavefront6targetE0EEEvT1_
	.globl	_ZN7rocprim17ROCPRIM_400000_NS6detail17trampoline_kernelINS0_14default_configENS1_25partition_config_selectorILNS1_17partition_subalgoE6EsNS0_10empty_typeEbEEZZNS1_14partition_implILS5_6ELb0ES3_mN6thrust23THRUST_200600_302600_NS6detail15normal_iteratorINSA_10device_ptrIsEEEEPS6_SG_NS0_5tupleIJSF_S6_EEENSH_IJSG_SG_EEES6_PlJNSB_9not_fun_tINSB_14equal_to_valueIsEEEEEEE10hipError_tPvRmT3_T4_T5_T6_T7_T9_mT8_P12ihipStream_tbDpT10_ENKUlT_T0_E_clISt17integral_constantIbLb0EES18_EEDaS13_S14_EUlS13_E_NS1_11comp_targetILNS1_3genE2ELNS1_11target_archE906ELNS1_3gpuE6ELNS1_3repE0EEENS1_30default_config_static_selectorELNS0_4arch9wavefront6targetE0EEEvT1_
	.p2align	8
	.type	_ZN7rocprim17ROCPRIM_400000_NS6detail17trampoline_kernelINS0_14default_configENS1_25partition_config_selectorILNS1_17partition_subalgoE6EsNS0_10empty_typeEbEEZZNS1_14partition_implILS5_6ELb0ES3_mN6thrust23THRUST_200600_302600_NS6detail15normal_iteratorINSA_10device_ptrIsEEEEPS6_SG_NS0_5tupleIJSF_S6_EEENSH_IJSG_SG_EEES6_PlJNSB_9not_fun_tINSB_14equal_to_valueIsEEEEEEE10hipError_tPvRmT3_T4_T5_T6_T7_T9_mT8_P12ihipStream_tbDpT10_ENKUlT_T0_E_clISt17integral_constantIbLb0EES18_EEDaS13_S14_EUlS13_E_NS1_11comp_targetILNS1_3genE2ELNS1_11target_archE906ELNS1_3gpuE6ELNS1_3repE0EEENS1_30default_config_static_selectorELNS0_4arch9wavefront6targetE0EEEvT1_,@function
_ZN7rocprim17ROCPRIM_400000_NS6detail17trampoline_kernelINS0_14default_configENS1_25partition_config_selectorILNS1_17partition_subalgoE6EsNS0_10empty_typeEbEEZZNS1_14partition_implILS5_6ELb0ES3_mN6thrust23THRUST_200600_302600_NS6detail15normal_iteratorINSA_10device_ptrIsEEEEPS6_SG_NS0_5tupleIJSF_S6_EEENSH_IJSG_SG_EEES6_PlJNSB_9not_fun_tINSB_14equal_to_valueIsEEEEEEE10hipError_tPvRmT3_T4_T5_T6_T7_T9_mT8_P12ihipStream_tbDpT10_ENKUlT_T0_E_clISt17integral_constantIbLb0EES18_EEDaS13_S14_EUlS13_E_NS1_11comp_targetILNS1_3genE2ELNS1_11target_archE906ELNS1_3gpuE6ELNS1_3repE0EEENS1_30default_config_static_selectorELNS0_4arch9wavefront6targetE0EEEvT1_: ; @_ZN7rocprim17ROCPRIM_400000_NS6detail17trampoline_kernelINS0_14default_configENS1_25partition_config_selectorILNS1_17partition_subalgoE6EsNS0_10empty_typeEbEEZZNS1_14partition_implILS5_6ELb0ES3_mN6thrust23THRUST_200600_302600_NS6detail15normal_iteratorINSA_10device_ptrIsEEEEPS6_SG_NS0_5tupleIJSF_S6_EEENSH_IJSG_SG_EEES6_PlJNSB_9not_fun_tINSB_14equal_to_valueIsEEEEEEE10hipError_tPvRmT3_T4_T5_T6_T7_T9_mT8_P12ihipStream_tbDpT10_ENKUlT_T0_E_clISt17integral_constantIbLb0EES18_EEDaS13_S14_EUlS13_E_NS1_11comp_targetILNS1_3genE2ELNS1_11target_archE906ELNS1_3gpuE6ELNS1_3repE0EEENS1_30default_config_static_selectorELNS0_4arch9wavefront6targetE0EEEvT1_
; %bb.0:
	.section	.rodata,"a",@progbits
	.p2align	6, 0x0
	.amdhsa_kernel _ZN7rocprim17ROCPRIM_400000_NS6detail17trampoline_kernelINS0_14default_configENS1_25partition_config_selectorILNS1_17partition_subalgoE6EsNS0_10empty_typeEbEEZZNS1_14partition_implILS5_6ELb0ES3_mN6thrust23THRUST_200600_302600_NS6detail15normal_iteratorINSA_10device_ptrIsEEEEPS6_SG_NS0_5tupleIJSF_S6_EEENSH_IJSG_SG_EEES6_PlJNSB_9not_fun_tINSB_14equal_to_valueIsEEEEEEE10hipError_tPvRmT3_T4_T5_T6_T7_T9_mT8_P12ihipStream_tbDpT10_ENKUlT_T0_E_clISt17integral_constantIbLb0EES18_EEDaS13_S14_EUlS13_E_NS1_11comp_targetILNS1_3genE2ELNS1_11target_archE906ELNS1_3gpuE6ELNS1_3repE0EEENS1_30default_config_static_selectorELNS0_4arch9wavefront6targetE0EEEvT1_
		.amdhsa_group_segment_fixed_size 0
		.amdhsa_private_segment_fixed_size 0
		.amdhsa_kernarg_size 112
		.amdhsa_user_sgpr_count 2
		.amdhsa_user_sgpr_dispatch_ptr 0
		.amdhsa_user_sgpr_queue_ptr 0
		.amdhsa_user_sgpr_kernarg_segment_ptr 1
		.amdhsa_user_sgpr_dispatch_id 0
		.amdhsa_user_sgpr_private_segment_size 0
		.amdhsa_wavefront_size32 1
		.amdhsa_uses_dynamic_stack 0
		.amdhsa_enable_private_segment 0
		.amdhsa_system_sgpr_workgroup_id_x 1
		.amdhsa_system_sgpr_workgroup_id_y 0
		.amdhsa_system_sgpr_workgroup_id_z 0
		.amdhsa_system_sgpr_workgroup_info 0
		.amdhsa_system_vgpr_workitem_id 0
		.amdhsa_next_free_vgpr 1
		.amdhsa_next_free_sgpr 1
		.amdhsa_reserve_vcc 0
		.amdhsa_float_round_mode_32 0
		.amdhsa_float_round_mode_16_64 0
		.amdhsa_float_denorm_mode_32 3
		.amdhsa_float_denorm_mode_16_64 3
		.amdhsa_fp16_overflow 0
		.amdhsa_workgroup_processor_mode 1
		.amdhsa_memory_ordered 1
		.amdhsa_forward_progress 1
		.amdhsa_inst_pref_size 0
		.amdhsa_round_robin_scheduling 0
		.amdhsa_exception_fp_ieee_invalid_op 0
		.amdhsa_exception_fp_denorm_src 0
		.amdhsa_exception_fp_ieee_div_zero 0
		.amdhsa_exception_fp_ieee_overflow 0
		.amdhsa_exception_fp_ieee_underflow 0
		.amdhsa_exception_fp_ieee_inexact 0
		.amdhsa_exception_int_div_zero 0
	.end_amdhsa_kernel
	.section	.text._ZN7rocprim17ROCPRIM_400000_NS6detail17trampoline_kernelINS0_14default_configENS1_25partition_config_selectorILNS1_17partition_subalgoE6EsNS0_10empty_typeEbEEZZNS1_14partition_implILS5_6ELb0ES3_mN6thrust23THRUST_200600_302600_NS6detail15normal_iteratorINSA_10device_ptrIsEEEEPS6_SG_NS0_5tupleIJSF_S6_EEENSH_IJSG_SG_EEES6_PlJNSB_9not_fun_tINSB_14equal_to_valueIsEEEEEEE10hipError_tPvRmT3_T4_T5_T6_T7_T9_mT8_P12ihipStream_tbDpT10_ENKUlT_T0_E_clISt17integral_constantIbLb0EES18_EEDaS13_S14_EUlS13_E_NS1_11comp_targetILNS1_3genE2ELNS1_11target_archE906ELNS1_3gpuE6ELNS1_3repE0EEENS1_30default_config_static_selectorELNS0_4arch9wavefront6targetE0EEEvT1_,"axG",@progbits,_ZN7rocprim17ROCPRIM_400000_NS6detail17trampoline_kernelINS0_14default_configENS1_25partition_config_selectorILNS1_17partition_subalgoE6EsNS0_10empty_typeEbEEZZNS1_14partition_implILS5_6ELb0ES3_mN6thrust23THRUST_200600_302600_NS6detail15normal_iteratorINSA_10device_ptrIsEEEEPS6_SG_NS0_5tupleIJSF_S6_EEENSH_IJSG_SG_EEES6_PlJNSB_9not_fun_tINSB_14equal_to_valueIsEEEEEEE10hipError_tPvRmT3_T4_T5_T6_T7_T9_mT8_P12ihipStream_tbDpT10_ENKUlT_T0_E_clISt17integral_constantIbLb0EES18_EEDaS13_S14_EUlS13_E_NS1_11comp_targetILNS1_3genE2ELNS1_11target_archE906ELNS1_3gpuE6ELNS1_3repE0EEENS1_30default_config_static_selectorELNS0_4arch9wavefront6targetE0EEEvT1_,comdat
.Lfunc_end505:
	.size	_ZN7rocprim17ROCPRIM_400000_NS6detail17trampoline_kernelINS0_14default_configENS1_25partition_config_selectorILNS1_17partition_subalgoE6EsNS0_10empty_typeEbEEZZNS1_14partition_implILS5_6ELb0ES3_mN6thrust23THRUST_200600_302600_NS6detail15normal_iteratorINSA_10device_ptrIsEEEEPS6_SG_NS0_5tupleIJSF_S6_EEENSH_IJSG_SG_EEES6_PlJNSB_9not_fun_tINSB_14equal_to_valueIsEEEEEEE10hipError_tPvRmT3_T4_T5_T6_T7_T9_mT8_P12ihipStream_tbDpT10_ENKUlT_T0_E_clISt17integral_constantIbLb0EES18_EEDaS13_S14_EUlS13_E_NS1_11comp_targetILNS1_3genE2ELNS1_11target_archE906ELNS1_3gpuE6ELNS1_3repE0EEENS1_30default_config_static_selectorELNS0_4arch9wavefront6targetE0EEEvT1_, .Lfunc_end505-_ZN7rocprim17ROCPRIM_400000_NS6detail17trampoline_kernelINS0_14default_configENS1_25partition_config_selectorILNS1_17partition_subalgoE6EsNS0_10empty_typeEbEEZZNS1_14partition_implILS5_6ELb0ES3_mN6thrust23THRUST_200600_302600_NS6detail15normal_iteratorINSA_10device_ptrIsEEEEPS6_SG_NS0_5tupleIJSF_S6_EEENSH_IJSG_SG_EEES6_PlJNSB_9not_fun_tINSB_14equal_to_valueIsEEEEEEE10hipError_tPvRmT3_T4_T5_T6_T7_T9_mT8_P12ihipStream_tbDpT10_ENKUlT_T0_E_clISt17integral_constantIbLb0EES18_EEDaS13_S14_EUlS13_E_NS1_11comp_targetILNS1_3genE2ELNS1_11target_archE906ELNS1_3gpuE6ELNS1_3repE0EEENS1_30default_config_static_selectorELNS0_4arch9wavefront6targetE0EEEvT1_
                                        ; -- End function
	.set _ZN7rocprim17ROCPRIM_400000_NS6detail17trampoline_kernelINS0_14default_configENS1_25partition_config_selectorILNS1_17partition_subalgoE6EsNS0_10empty_typeEbEEZZNS1_14partition_implILS5_6ELb0ES3_mN6thrust23THRUST_200600_302600_NS6detail15normal_iteratorINSA_10device_ptrIsEEEEPS6_SG_NS0_5tupleIJSF_S6_EEENSH_IJSG_SG_EEES6_PlJNSB_9not_fun_tINSB_14equal_to_valueIsEEEEEEE10hipError_tPvRmT3_T4_T5_T6_T7_T9_mT8_P12ihipStream_tbDpT10_ENKUlT_T0_E_clISt17integral_constantIbLb0EES18_EEDaS13_S14_EUlS13_E_NS1_11comp_targetILNS1_3genE2ELNS1_11target_archE906ELNS1_3gpuE6ELNS1_3repE0EEENS1_30default_config_static_selectorELNS0_4arch9wavefront6targetE0EEEvT1_.num_vgpr, 0
	.set _ZN7rocprim17ROCPRIM_400000_NS6detail17trampoline_kernelINS0_14default_configENS1_25partition_config_selectorILNS1_17partition_subalgoE6EsNS0_10empty_typeEbEEZZNS1_14partition_implILS5_6ELb0ES3_mN6thrust23THRUST_200600_302600_NS6detail15normal_iteratorINSA_10device_ptrIsEEEEPS6_SG_NS0_5tupleIJSF_S6_EEENSH_IJSG_SG_EEES6_PlJNSB_9not_fun_tINSB_14equal_to_valueIsEEEEEEE10hipError_tPvRmT3_T4_T5_T6_T7_T9_mT8_P12ihipStream_tbDpT10_ENKUlT_T0_E_clISt17integral_constantIbLb0EES18_EEDaS13_S14_EUlS13_E_NS1_11comp_targetILNS1_3genE2ELNS1_11target_archE906ELNS1_3gpuE6ELNS1_3repE0EEENS1_30default_config_static_selectorELNS0_4arch9wavefront6targetE0EEEvT1_.num_agpr, 0
	.set _ZN7rocprim17ROCPRIM_400000_NS6detail17trampoline_kernelINS0_14default_configENS1_25partition_config_selectorILNS1_17partition_subalgoE6EsNS0_10empty_typeEbEEZZNS1_14partition_implILS5_6ELb0ES3_mN6thrust23THRUST_200600_302600_NS6detail15normal_iteratorINSA_10device_ptrIsEEEEPS6_SG_NS0_5tupleIJSF_S6_EEENSH_IJSG_SG_EEES6_PlJNSB_9not_fun_tINSB_14equal_to_valueIsEEEEEEE10hipError_tPvRmT3_T4_T5_T6_T7_T9_mT8_P12ihipStream_tbDpT10_ENKUlT_T0_E_clISt17integral_constantIbLb0EES18_EEDaS13_S14_EUlS13_E_NS1_11comp_targetILNS1_3genE2ELNS1_11target_archE906ELNS1_3gpuE6ELNS1_3repE0EEENS1_30default_config_static_selectorELNS0_4arch9wavefront6targetE0EEEvT1_.numbered_sgpr, 0
	.set _ZN7rocprim17ROCPRIM_400000_NS6detail17trampoline_kernelINS0_14default_configENS1_25partition_config_selectorILNS1_17partition_subalgoE6EsNS0_10empty_typeEbEEZZNS1_14partition_implILS5_6ELb0ES3_mN6thrust23THRUST_200600_302600_NS6detail15normal_iteratorINSA_10device_ptrIsEEEEPS6_SG_NS0_5tupleIJSF_S6_EEENSH_IJSG_SG_EEES6_PlJNSB_9not_fun_tINSB_14equal_to_valueIsEEEEEEE10hipError_tPvRmT3_T4_T5_T6_T7_T9_mT8_P12ihipStream_tbDpT10_ENKUlT_T0_E_clISt17integral_constantIbLb0EES18_EEDaS13_S14_EUlS13_E_NS1_11comp_targetILNS1_3genE2ELNS1_11target_archE906ELNS1_3gpuE6ELNS1_3repE0EEENS1_30default_config_static_selectorELNS0_4arch9wavefront6targetE0EEEvT1_.num_named_barrier, 0
	.set _ZN7rocprim17ROCPRIM_400000_NS6detail17trampoline_kernelINS0_14default_configENS1_25partition_config_selectorILNS1_17partition_subalgoE6EsNS0_10empty_typeEbEEZZNS1_14partition_implILS5_6ELb0ES3_mN6thrust23THRUST_200600_302600_NS6detail15normal_iteratorINSA_10device_ptrIsEEEEPS6_SG_NS0_5tupleIJSF_S6_EEENSH_IJSG_SG_EEES6_PlJNSB_9not_fun_tINSB_14equal_to_valueIsEEEEEEE10hipError_tPvRmT3_T4_T5_T6_T7_T9_mT8_P12ihipStream_tbDpT10_ENKUlT_T0_E_clISt17integral_constantIbLb0EES18_EEDaS13_S14_EUlS13_E_NS1_11comp_targetILNS1_3genE2ELNS1_11target_archE906ELNS1_3gpuE6ELNS1_3repE0EEENS1_30default_config_static_selectorELNS0_4arch9wavefront6targetE0EEEvT1_.private_seg_size, 0
	.set _ZN7rocprim17ROCPRIM_400000_NS6detail17trampoline_kernelINS0_14default_configENS1_25partition_config_selectorILNS1_17partition_subalgoE6EsNS0_10empty_typeEbEEZZNS1_14partition_implILS5_6ELb0ES3_mN6thrust23THRUST_200600_302600_NS6detail15normal_iteratorINSA_10device_ptrIsEEEEPS6_SG_NS0_5tupleIJSF_S6_EEENSH_IJSG_SG_EEES6_PlJNSB_9not_fun_tINSB_14equal_to_valueIsEEEEEEE10hipError_tPvRmT3_T4_T5_T6_T7_T9_mT8_P12ihipStream_tbDpT10_ENKUlT_T0_E_clISt17integral_constantIbLb0EES18_EEDaS13_S14_EUlS13_E_NS1_11comp_targetILNS1_3genE2ELNS1_11target_archE906ELNS1_3gpuE6ELNS1_3repE0EEENS1_30default_config_static_selectorELNS0_4arch9wavefront6targetE0EEEvT1_.uses_vcc, 0
	.set _ZN7rocprim17ROCPRIM_400000_NS6detail17trampoline_kernelINS0_14default_configENS1_25partition_config_selectorILNS1_17partition_subalgoE6EsNS0_10empty_typeEbEEZZNS1_14partition_implILS5_6ELb0ES3_mN6thrust23THRUST_200600_302600_NS6detail15normal_iteratorINSA_10device_ptrIsEEEEPS6_SG_NS0_5tupleIJSF_S6_EEENSH_IJSG_SG_EEES6_PlJNSB_9not_fun_tINSB_14equal_to_valueIsEEEEEEE10hipError_tPvRmT3_T4_T5_T6_T7_T9_mT8_P12ihipStream_tbDpT10_ENKUlT_T0_E_clISt17integral_constantIbLb0EES18_EEDaS13_S14_EUlS13_E_NS1_11comp_targetILNS1_3genE2ELNS1_11target_archE906ELNS1_3gpuE6ELNS1_3repE0EEENS1_30default_config_static_selectorELNS0_4arch9wavefront6targetE0EEEvT1_.uses_flat_scratch, 0
	.set _ZN7rocprim17ROCPRIM_400000_NS6detail17trampoline_kernelINS0_14default_configENS1_25partition_config_selectorILNS1_17partition_subalgoE6EsNS0_10empty_typeEbEEZZNS1_14partition_implILS5_6ELb0ES3_mN6thrust23THRUST_200600_302600_NS6detail15normal_iteratorINSA_10device_ptrIsEEEEPS6_SG_NS0_5tupleIJSF_S6_EEENSH_IJSG_SG_EEES6_PlJNSB_9not_fun_tINSB_14equal_to_valueIsEEEEEEE10hipError_tPvRmT3_T4_T5_T6_T7_T9_mT8_P12ihipStream_tbDpT10_ENKUlT_T0_E_clISt17integral_constantIbLb0EES18_EEDaS13_S14_EUlS13_E_NS1_11comp_targetILNS1_3genE2ELNS1_11target_archE906ELNS1_3gpuE6ELNS1_3repE0EEENS1_30default_config_static_selectorELNS0_4arch9wavefront6targetE0EEEvT1_.has_dyn_sized_stack, 0
	.set _ZN7rocprim17ROCPRIM_400000_NS6detail17trampoline_kernelINS0_14default_configENS1_25partition_config_selectorILNS1_17partition_subalgoE6EsNS0_10empty_typeEbEEZZNS1_14partition_implILS5_6ELb0ES3_mN6thrust23THRUST_200600_302600_NS6detail15normal_iteratorINSA_10device_ptrIsEEEEPS6_SG_NS0_5tupleIJSF_S6_EEENSH_IJSG_SG_EEES6_PlJNSB_9not_fun_tINSB_14equal_to_valueIsEEEEEEE10hipError_tPvRmT3_T4_T5_T6_T7_T9_mT8_P12ihipStream_tbDpT10_ENKUlT_T0_E_clISt17integral_constantIbLb0EES18_EEDaS13_S14_EUlS13_E_NS1_11comp_targetILNS1_3genE2ELNS1_11target_archE906ELNS1_3gpuE6ELNS1_3repE0EEENS1_30default_config_static_selectorELNS0_4arch9wavefront6targetE0EEEvT1_.has_recursion, 0
	.set _ZN7rocprim17ROCPRIM_400000_NS6detail17trampoline_kernelINS0_14default_configENS1_25partition_config_selectorILNS1_17partition_subalgoE6EsNS0_10empty_typeEbEEZZNS1_14partition_implILS5_6ELb0ES3_mN6thrust23THRUST_200600_302600_NS6detail15normal_iteratorINSA_10device_ptrIsEEEEPS6_SG_NS0_5tupleIJSF_S6_EEENSH_IJSG_SG_EEES6_PlJNSB_9not_fun_tINSB_14equal_to_valueIsEEEEEEE10hipError_tPvRmT3_T4_T5_T6_T7_T9_mT8_P12ihipStream_tbDpT10_ENKUlT_T0_E_clISt17integral_constantIbLb0EES18_EEDaS13_S14_EUlS13_E_NS1_11comp_targetILNS1_3genE2ELNS1_11target_archE906ELNS1_3gpuE6ELNS1_3repE0EEENS1_30default_config_static_selectorELNS0_4arch9wavefront6targetE0EEEvT1_.has_indirect_call, 0
	.section	.AMDGPU.csdata,"",@progbits
; Kernel info:
; codeLenInByte = 0
; TotalNumSgprs: 0
; NumVgprs: 0
; ScratchSize: 0
; MemoryBound: 0
; FloatMode: 240
; IeeeMode: 1
; LDSByteSize: 0 bytes/workgroup (compile time only)
; SGPRBlocks: 0
; VGPRBlocks: 0
; NumSGPRsForWavesPerEU: 1
; NumVGPRsForWavesPerEU: 1
; Occupancy: 16
; WaveLimiterHint : 0
; COMPUTE_PGM_RSRC2:SCRATCH_EN: 0
; COMPUTE_PGM_RSRC2:USER_SGPR: 2
; COMPUTE_PGM_RSRC2:TRAP_HANDLER: 0
; COMPUTE_PGM_RSRC2:TGID_X_EN: 1
; COMPUTE_PGM_RSRC2:TGID_Y_EN: 0
; COMPUTE_PGM_RSRC2:TGID_Z_EN: 0
; COMPUTE_PGM_RSRC2:TIDIG_COMP_CNT: 0
	.section	.text._ZN7rocprim17ROCPRIM_400000_NS6detail17trampoline_kernelINS0_14default_configENS1_25partition_config_selectorILNS1_17partition_subalgoE6EsNS0_10empty_typeEbEEZZNS1_14partition_implILS5_6ELb0ES3_mN6thrust23THRUST_200600_302600_NS6detail15normal_iteratorINSA_10device_ptrIsEEEEPS6_SG_NS0_5tupleIJSF_S6_EEENSH_IJSG_SG_EEES6_PlJNSB_9not_fun_tINSB_14equal_to_valueIsEEEEEEE10hipError_tPvRmT3_T4_T5_T6_T7_T9_mT8_P12ihipStream_tbDpT10_ENKUlT_T0_E_clISt17integral_constantIbLb0EES18_EEDaS13_S14_EUlS13_E_NS1_11comp_targetILNS1_3genE10ELNS1_11target_archE1200ELNS1_3gpuE4ELNS1_3repE0EEENS1_30default_config_static_selectorELNS0_4arch9wavefront6targetE0EEEvT1_,"axG",@progbits,_ZN7rocprim17ROCPRIM_400000_NS6detail17trampoline_kernelINS0_14default_configENS1_25partition_config_selectorILNS1_17partition_subalgoE6EsNS0_10empty_typeEbEEZZNS1_14partition_implILS5_6ELb0ES3_mN6thrust23THRUST_200600_302600_NS6detail15normal_iteratorINSA_10device_ptrIsEEEEPS6_SG_NS0_5tupleIJSF_S6_EEENSH_IJSG_SG_EEES6_PlJNSB_9not_fun_tINSB_14equal_to_valueIsEEEEEEE10hipError_tPvRmT3_T4_T5_T6_T7_T9_mT8_P12ihipStream_tbDpT10_ENKUlT_T0_E_clISt17integral_constantIbLb0EES18_EEDaS13_S14_EUlS13_E_NS1_11comp_targetILNS1_3genE10ELNS1_11target_archE1200ELNS1_3gpuE4ELNS1_3repE0EEENS1_30default_config_static_selectorELNS0_4arch9wavefront6targetE0EEEvT1_,comdat
	.protected	_ZN7rocprim17ROCPRIM_400000_NS6detail17trampoline_kernelINS0_14default_configENS1_25partition_config_selectorILNS1_17partition_subalgoE6EsNS0_10empty_typeEbEEZZNS1_14partition_implILS5_6ELb0ES3_mN6thrust23THRUST_200600_302600_NS6detail15normal_iteratorINSA_10device_ptrIsEEEEPS6_SG_NS0_5tupleIJSF_S6_EEENSH_IJSG_SG_EEES6_PlJNSB_9not_fun_tINSB_14equal_to_valueIsEEEEEEE10hipError_tPvRmT3_T4_T5_T6_T7_T9_mT8_P12ihipStream_tbDpT10_ENKUlT_T0_E_clISt17integral_constantIbLb0EES18_EEDaS13_S14_EUlS13_E_NS1_11comp_targetILNS1_3genE10ELNS1_11target_archE1200ELNS1_3gpuE4ELNS1_3repE0EEENS1_30default_config_static_selectorELNS0_4arch9wavefront6targetE0EEEvT1_ ; -- Begin function _ZN7rocprim17ROCPRIM_400000_NS6detail17trampoline_kernelINS0_14default_configENS1_25partition_config_selectorILNS1_17partition_subalgoE6EsNS0_10empty_typeEbEEZZNS1_14partition_implILS5_6ELb0ES3_mN6thrust23THRUST_200600_302600_NS6detail15normal_iteratorINSA_10device_ptrIsEEEEPS6_SG_NS0_5tupleIJSF_S6_EEENSH_IJSG_SG_EEES6_PlJNSB_9not_fun_tINSB_14equal_to_valueIsEEEEEEE10hipError_tPvRmT3_T4_T5_T6_T7_T9_mT8_P12ihipStream_tbDpT10_ENKUlT_T0_E_clISt17integral_constantIbLb0EES18_EEDaS13_S14_EUlS13_E_NS1_11comp_targetILNS1_3genE10ELNS1_11target_archE1200ELNS1_3gpuE4ELNS1_3repE0EEENS1_30default_config_static_selectorELNS0_4arch9wavefront6targetE0EEEvT1_
	.globl	_ZN7rocprim17ROCPRIM_400000_NS6detail17trampoline_kernelINS0_14default_configENS1_25partition_config_selectorILNS1_17partition_subalgoE6EsNS0_10empty_typeEbEEZZNS1_14partition_implILS5_6ELb0ES3_mN6thrust23THRUST_200600_302600_NS6detail15normal_iteratorINSA_10device_ptrIsEEEEPS6_SG_NS0_5tupleIJSF_S6_EEENSH_IJSG_SG_EEES6_PlJNSB_9not_fun_tINSB_14equal_to_valueIsEEEEEEE10hipError_tPvRmT3_T4_T5_T6_T7_T9_mT8_P12ihipStream_tbDpT10_ENKUlT_T0_E_clISt17integral_constantIbLb0EES18_EEDaS13_S14_EUlS13_E_NS1_11comp_targetILNS1_3genE10ELNS1_11target_archE1200ELNS1_3gpuE4ELNS1_3repE0EEENS1_30default_config_static_selectorELNS0_4arch9wavefront6targetE0EEEvT1_
	.p2align	8
	.type	_ZN7rocprim17ROCPRIM_400000_NS6detail17trampoline_kernelINS0_14default_configENS1_25partition_config_selectorILNS1_17partition_subalgoE6EsNS0_10empty_typeEbEEZZNS1_14partition_implILS5_6ELb0ES3_mN6thrust23THRUST_200600_302600_NS6detail15normal_iteratorINSA_10device_ptrIsEEEEPS6_SG_NS0_5tupleIJSF_S6_EEENSH_IJSG_SG_EEES6_PlJNSB_9not_fun_tINSB_14equal_to_valueIsEEEEEEE10hipError_tPvRmT3_T4_T5_T6_T7_T9_mT8_P12ihipStream_tbDpT10_ENKUlT_T0_E_clISt17integral_constantIbLb0EES18_EEDaS13_S14_EUlS13_E_NS1_11comp_targetILNS1_3genE10ELNS1_11target_archE1200ELNS1_3gpuE4ELNS1_3repE0EEENS1_30default_config_static_selectorELNS0_4arch9wavefront6targetE0EEEvT1_,@function
_ZN7rocprim17ROCPRIM_400000_NS6detail17trampoline_kernelINS0_14default_configENS1_25partition_config_selectorILNS1_17partition_subalgoE6EsNS0_10empty_typeEbEEZZNS1_14partition_implILS5_6ELb0ES3_mN6thrust23THRUST_200600_302600_NS6detail15normal_iteratorINSA_10device_ptrIsEEEEPS6_SG_NS0_5tupleIJSF_S6_EEENSH_IJSG_SG_EEES6_PlJNSB_9not_fun_tINSB_14equal_to_valueIsEEEEEEE10hipError_tPvRmT3_T4_T5_T6_T7_T9_mT8_P12ihipStream_tbDpT10_ENKUlT_T0_E_clISt17integral_constantIbLb0EES18_EEDaS13_S14_EUlS13_E_NS1_11comp_targetILNS1_3genE10ELNS1_11target_archE1200ELNS1_3gpuE4ELNS1_3repE0EEENS1_30default_config_static_selectorELNS0_4arch9wavefront6targetE0EEEvT1_: ; @_ZN7rocprim17ROCPRIM_400000_NS6detail17trampoline_kernelINS0_14default_configENS1_25partition_config_selectorILNS1_17partition_subalgoE6EsNS0_10empty_typeEbEEZZNS1_14partition_implILS5_6ELb0ES3_mN6thrust23THRUST_200600_302600_NS6detail15normal_iteratorINSA_10device_ptrIsEEEEPS6_SG_NS0_5tupleIJSF_S6_EEENSH_IJSG_SG_EEES6_PlJNSB_9not_fun_tINSB_14equal_to_valueIsEEEEEEE10hipError_tPvRmT3_T4_T5_T6_T7_T9_mT8_P12ihipStream_tbDpT10_ENKUlT_T0_E_clISt17integral_constantIbLb0EES18_EEDaS13_S14_EUlS13_E_NS1_11comp_targetILNS1_3genE10ELNS1_11target_archE1200ELNS1_3gpuE4ELNS1_3repE0EEENS1_30default_config_static_selectorELNS0_4arch9wavefront6targetE0EEEvT1_
; %bb.0:
	v_dual_mov_b32 v1, 0 :: v_dual_lshlrev_b32 v18, 1, v0
	s_clause 0x3
	s_load_b128 s[4:7], s[0:1], 0x8
	s_load_b128 s[20:23], s[0:1], 0x40
	s_load_b32 s10, s[0:1], 0x68
	s_load_b64 s[2:3], s[0:1], 0x50
	global_load_u16 v17, v1, s[0:1] offset:110
	s_wait_kmcnt 0x0
	s_lshl_b64 s[8:9], s[6:7], 1
	s_load_b64 s[22:23], s[22:23], 0x0
	s_add_nc_u64 s[8:9], s[4:5], s[8:9]
	s_mul_i32 s4, s10, 0x1b00
	s_mov_b32 s5, 0
	s_add_co_i32 s12, s10, -1
	s_add_nc_u64 s[10:11], s[6:7], s[4:5]
	s_add_co_i32 s4, s4, s6
	v_cmp_le_u64_e64 s3, s[2:3], s[10:11]
	s_sub_co_i32 s27, s2, s4
	s_cmp_eq_u32 ttmp9, s12
	s_mul_i32 s2, ttmp9, 0x1b00
	s_cselect_b32 s24, -1, 0
	s_mov_b32 s4, -1
	s_and_b32 s6, s24, s3
	s_mov_b32 s3, s5
	s_xor_b32 s25, s6, -1
	s_wait_alu 0xfffe
	s_lshl_b64 s[2:3], s[2:3], 1
	s_and_b32 vcc_lo, exec_lo, s25
	s_wait_alu 0xfffe
	s_add_nc_u64 s[2:3], s[8:9], s[2:3]
	s_cbranch_vccz .LBB506_2
; %bb.1:
	s_wait_alu 0xfffe
	v_add_co_u32 v1, s4, s2, v18
	s_delay_alu instid0(VALU_DEP_1)
	v_add_co_ci_u32_e64 v2, null, s3, 0, s4
	s_mov_b32 s4, 0
	s_clause 0x11
	flat_load_u16 v3, v[1:2]
	flat_load_u16 v4, v[1:2] offset:768
	flat_load_u16 v5, v[1:2] offset:1536
	;; [unrolled: 1-line block ×17, first 2 shown]
	s_wait_loadcnt_dscnt 0x1111
	ds_store_b16 v18, v3
	s_wait_loadcnt_dscnt 0x1011
	ds_store_b16 v18, v4 offset:768
	s_wait_loadcnt_dscnt 0xf11
	ds_store_b16 v18, v5 offset:1536
	;; [unrolled: 2-line block ×17, first 2 shown]
	s_wait_dscnt 0x0
	s_barrier_signal -1
	s_barrier_wait -1
.LBB506_2:
	s_wait_alu 0xfffe
	s_and_not1_b32 vcc_lo, exec_lo, s4
	s_addk_co_i32 s27, 0x1b00
	s_cbranch_vccnz .LBB506_40
; %bb.3:
	v_mov_b32_e32 v1, 0
	s_mov_b32 s4, exec_lo
	s_delay_alu instid0(VALU_DEP_1)
	v_dual_mov_b32 v2, v1 :: v_dual_mov_b32 v3, v1
	v_dual_mov_b32 v4, v1 :: v_dual_mov_b32 v5, v1
	;; [unrolled: 1-line block ×4, first 2 shown]
	v_cmpx_gt_u32_e64 s27, v0
	s_cbranch_execz .LBB506_5
; %bb.4:
	v_add_co_u32 v3, s5, s2, v18
	s_wait_alu 0xf1ff
	v_add_co_ci_u32_e64 v4, null, s3, 0, s5
	v_mov_b32_e32 v2, v1
	v_dual_mov_b32 v6, v1 :: v_dual_mov_b32 v7, v1
	v_dual_mov_b32 v5, v1 :: v_dual_mov_b32 v8, v1
	v_mov_b32_e32 v9, v1
	flat_load_d16_b16 v2, v[3:4]
	v_dual_mov_b32 v3, v1 :: v_dual_mov_b32 v4, v1
	v_mov_b32_e32 v10, v1
	s_wait_loadcnt_dscnt 0x0
	v_mov_b32_e32 v1, v2
	s_delay_alu instid0(VALU_DEP_3)
	v_mov_b32_e32 v2, v3
	v_mov_b32_e32 v3, v4
	v_mov_b32_e32 v4, v5
	v_mov_b32_e32 v5, v6
	v_mov_b32_e32 v6, v7
	v_mov_b32_e32 v7, v8
	v_mov_b32_e32 v8, v9
	v_mov_b32_e32 v9, v10
	v_mov_b32_e32 v10, v11
	v_mov_b32_e32 v11, v12
	v_mov_b32_e32 v12, v13
	v_mov_b32_e32 v13, v14
	v_mov_b32_e32 v14, v15
	v_mov_b32_e32 v15, v16
	v_mov_b32_e32 v16, v17
.LBB506_5:
	s_wait_alu 0xfffe
	s_or_b32 exec_lo, exec_lo, s4
	v_add_nc_u32_e32 v10, 0x180, v0
	s_mov_b32 s4, exec_lo
	s_delay_alu instid0(VALU_DEP_1)
	v_cmpx_gt_u32_e64 s27, v10
	s_cbranch_execz .LBB506_7
; %bb.6:
	v_add_co_u32 v10, s5, s2, v18
	s_wait_alu 0xf1ff
	v_add_co_ci_u32_e64 v11, null, s3, 0, s5
	flat_load_d16_hi_b16 v1, v[10:11] offset:768
.LBB506_7:
	s_wait_alu 0xfffe
	s_or_b32 exec_lo, exec_lo, s4
	v_add_nc_u32_e32 v10, 0x300, v0
	s_mov_b32 s4, exec_lo
	s_delay_alu instid0(VALU_DEP_1)
	v_cmpx_gt_u32_e64 s27, v10
	s_cbranch_execz .LBB506_9
; %bb.8:
	v_add_co_u32 v10, s5, s2, v18
	s_wait_alu 0xf1ff
	v_add_co_ci_u32_e64 v11, null, s3, 0, s5
	flat_load_d16_b16 v2, v[10:11] offset:1536
.LBB506_9:
	s_wait_alu 0xfffe
	s_or_b32 exec_lo, exec_lo, s4
	v_add_nc_u32_e32 v10, 0x480, v0
	s_mov_b32 s4, exec_lo
	s_delay_alu instid0(VALU_DEP_1)
	v_cmpx_gt_u32_e64 s27, v10
	s_cbranch_execz .LBB506_11
; %bb.10:
	v_add_co_u32 v10, s5, s2, v18
	s_wait_alu 0xf1ff
	v_add_co_ci_u32_e64 v11, null, s3, 0, s5
	s_wait_loadcnt_dscnt 0x0
	flat_load_d16_hi_b16 v2, v[10:11] offset:2304
.LBB506_11:
	s_wait_alu 0xfffe
	s_or_b32 exec_lo, exec_lo, s4
	v_or_b32_e32 v10, 0x600, v0
	s_mov_b32 s4, exec_lo
	s_delay_alu instid0(VALU_DEP_1)
	v_cmpx_gt_u32_e64 s27, v10
	s_cbranch_execz .LBB506_13
; %bb.12:
	v_add_co_u32 v10, s5, s2, v18
	s_wait_alu 0xf1ff
	v_add_co_ci_u32_e64 v11, null, s3, 0, s5
	flat_load_d16_b16 v3, v[10:11] offset:3072
.LBB506_13:
	s_wait_alu 0xfffe
	s_or_b32 exec_lo, exec_lo, s4
	v_add_nc_u32_e32 v10, 0x780, v0
	s_mov_b32 s4, exec_lo
	s_delay_alu instid0(VALU_DEP_1)
	v_cmpx_gt_u32_e64 s27, v10
	s_cbranch_execz .LBB506_15
; %bb.14:
	v_add_co_u32 v10, s5, s2, v18
	s_wait_alu 0xf1ff
	v_add_co_ci_u32_e64 v11, null, s3, 0, s5
	s_wait_loadcnt_dscnt 0x0
	flat_load_d16_hi_b16 v3, v[10:11] offset:3840
.LBB506_15:
	s_wait_alu 0xfffe
	s_or_b32 exec_lo, exec_lo, s4
	v_add_nc_u32_e32 v10, 0x900, v0
	s_mov_b32 s4, exec_lo
	s_delay_alu instid0(VALU_DEP_1)
	v_cmpx_gt_u32_e64 s27, v10
	s_cbranch_execz .LBB506_17
; %bb.16:
	v_add_co_u32 v10, s5, s2, v18
	s_wait_alu 0xf1ff
	v_add_co_ci_u32_e64 v11, null, s3, 0, s5
	flat_load_d16_b16 v4, v[10:11] offset:4608
.LBB506_17:
	s_wait_alu 0xfffe
	s_or_b32 exec_lo, exec_lo, s4
	v_add_nc_u32_e32 v10, 0xa80, v0
	s_mov_b32 s4, exec_lo
	s_delay_alu instid0(VALU_DEP_1)
	v_cmpx_gt_u32_e64 s27, v10
	s_cbranch_execz .LBB506_19
; %bb.18:
	v_add_co_u32 v10, s5, s2, v18
	s_wait_alu 0xf1ff
	v_add_co_ci_u32_e64 v11, null, s3, 0, s5
	s_wait_loadcnt_dscnt 0x0
	flat_load_d16_hi_b16 v4, v[10:11] offset:5376
.LBB506_19:
	s_wait_alu 0xfffe
	s_or_b32 exec_lo, exec_lo, s4
	v_or_b32_e32 v10, 0xc00, v0
	s_mov_b32 s4, exec_lo
	s_delay_alu instid0(VALU_DEP_1)
	v_cmpx_gt_u32_e64 s27, v10
	s_cbranch_execz .LBB506_21
; %bb.20:
	v_add_co_u32 v10, s5, s2, v18
	s_wait_alu 0xf1ff
	v_add_co_ci_u32_e64 v11, null, s3, 0, s5
	flat_load_d16_b16 v5, v[10:11] offset:6144
.LBB506_21:
	s_wait_alu 0xfffe
	s_or_b32 exec_lo, exec_lo, s4
	v_add_nc_u32_e32 v10, 0xd80, v0
	s_mov_b32 s4, exec_lo
	s_delay_alu instid0(VALU_DEP_1)
	v_cmpx_gt_u32_e64 s27, v10
	s_cbranch_execz .LBB506_23
; %bb.22:
	v_add_co_u32 v10, s5, s2, v18
	s_wait_alu 0xf1ff
	v_add_co_ci_u32_e64 v11, null, s3, 0, s5
	s_wait_loadcnt_dscnt 0x0
	flat_load_d16_hi_b16 v5, v[10:11] offset:6912
.LBB506_23:
	;; [unrolled: 54-line block ×4, first 2 shown]
	s_wait_alu 0xfffe
	s_or_b32 exec_lo, exec_lo, s4
	s_wait_loadcnt_dscnt 0x0
	ds_store_b16 v18, v1
	ds_store_b16_d16_hi v18, v1 offset:768
	ds_store_b16 v18, v2 offset:1536
	ds_store_b16_d16_hi v18, v2 offset:2304
	ds_store_b16 v18, v3 offset:3072
	;; [unrolled: 2-line block ×8, first 2 shown]
	ds_store_b16_d16_hi v18, v9 offset:13056
	s_wait_dscnt 0x0
	s_barrier_signal -1
	s_barrier_wait -1
.LBB506_40:
	v_mul_u32_u24_e32 v5, 18, v0
	s_wait_loadcnt 0x0
	global_inv scope:SCOPE_SE
	s_and_not1_b32 vcc_lo, exec_lo, s25
	v_lshlrev_b32_e32 v6, 1, v5
	ds_load_u16 v51, v6 offset:4
	ds_load_u16 v50, v6 offset:34
	ds_load_b32 v52, v6
	ds_load_b128 v[1:4], v6 offset:6
	ds_load_b96 v[13:15], v6 offset:22
	s_wait_loadcnt_dscnt 0x0
	s_barrier_signal -1
	s_barrier_wait -1
	global_inv scope:SCOPE_SE
	v_cmp_ne_u16_e64 s2, v51, v17
	v_cmp_ne_u16_e64 s26, v50, v17
	;; [unrolled: 1-line block ×3, first 2 shown]
	v_lshrrev_b32_e32 v16, 16, v52
	v_cmp_ne_u16_e64 s8, v1, v17
	v_lshrrev_b32_e32 v12, 16, v1
	v_cmp_ne_u16_e64 s10, v2, v17
	;; [unrolled: 2-line block ×7, first 2 shown]
	v_lshrrev_b32_e32 v6, 16, v15
	s_cbranch_vccnz .LBB506_42
; %bb.41:
	v_cmp_ne_u16_e32 vcc_lo, v16, v17
	v_cndmask_b32_e64 v20, 0, 1, s8
	s_wait_alu 0xf1ff
	v_cndmask_b32_e64 v19, 0, 1, s10
	v_cndmask_b32_e64 v26, 0, 1, s3
	;; [unrolled: 1-line block ×3, first 2 shown]
	v_cndmask_b32_e64 v18, 0, 1, vcc_lo
	v_lshlrev_b16 v20, 8, v20
	v_cmp_ne_u16_e32 vcc_lo, v12, v17
	v_lshlrev_b16 v19, 8, v19
	v_cndmask_b32_e64 v22, 0, 1, s7
	v_lshlrev_b16 v18, 8, v18
	v_lshrrev_b32_e32 v20, 8, v20
	s_wait_alu 0xfffd
	v_cndmask_b32_e64 v28, 0, 1, vcc_lo
	v_cmp_ne_u16_e32 vcc_lo, v11, v17
	v_lshrrev_b32_e32 v19, 8, v19
	v_lshrrev_b32_e32 v18, 8, v18
	v_lshlrev_b16 v20, 8, v20
	v_cndmask_b32_e64 v23, 0, 1, s6
	v_cndmask_b32_e64 v24, 0, 1, s4
	v_lshlrev_b16 v19, 8, v19
	v_lshlrev_b16 v18, 8, v18
	v_or_b32_e32 v20, v27, v20
	v_lshlrev_b16 v22, 8, v22
	v_lshlrev_b16 v23, 8, v23
	;; [unrolled: 1-line block ×3, first 2 shown]
	v_or_b32_e32 v18, v26, v18
	s_wait_alu 0xfffd
	v_cndmask_b32_e64 v26, 0, 1, vcc_lo
	v_cmp_ne_u16_e32 vcc_lo, v10, v17
	v_or_b32_e32 v19, v28, v19
	v_cndmask_b32_e64 v21, 0, 1, s9
	v_cndmask_b32_e64 v25, 0, 1, s5
	v_lshrrev_b32_e32 v24, 8, v24
	s_wait_alu 0xfffd
	v_cndmask_b32_e64 v27, 0, 1, vcc_lo
	v_cmp_ne_u16_e32 vcc_lo, v9, v17
	v_lshrrev_b32_e32 v22, 8, v22
	v_lshrrev_b32_e32 v23, 8, v23
	v_lshlrev_b16 v21, 8, v21
	v_lshlrev_b16 v25, 8, v25
	s_wait_alu 0xfffd
	v_cndmask_b32_e64 v28, 0, 1, vcc_lo
	v_cmp_ne_u16_e32 vcc_lo, v8, v17
	v_lshlrev_b16 v22, 8, v22
	v_lshlrev_b16 v23, 8, v23
	;; [unrolled: 1-line block ×3, first 2 shown]
	v_or_b32_e32 v21, v26, v21
	s_wait_alu 0xfffd
	v_cndmask_b32_e64 v29, 0, 1, vcc_lo
	v_cmp_ne_u16_e32 vcc_lo, v7, v17
	v_or_b32_e32 v22, v27, v22
	v_or_b32_e32 v23, v28, v23
	v_and_b32_e32 v18, 0xffff, v18
	v_or_b32_e32 v24, v29, v24
	s_wait_alu 0xfffd
	v_cndmask_b32_e64 v30, 0, 1, vcc_lo
	v_lshlrev_b32_e32 v20, 16, v20
	v_and_b32_e32 v19, 0xffff, v19
	v_lshlrev_b32_e32 v21, 16, v21
	v_and_b32_e32 v22, 0xffff, v22
	v_or_b32_e32 v25, v30, v25
	v_lshlrev_b32_e32 v23, 16, v23
	v_and_b32_e32 v24, 0xffff, v24
	v_cmp_ne_u16_e32 vcc_lo, v6, v17
	v_or_b32_e32 v48, v18, v20
	v_lshlrev_b32_e32 v25, 16, v25
	v_or_b32_e32 v57, v19, v21
	v_or_b32_e32 v55, v22, v23
	s_wait_alu 0xfffd
	v_cndmask_b32_e64 v53, 0, 1, vcc_lo
	v_or_b32_e32 v54, v24, v25
	s_cbranch_execz .LBB506_43
	s_branch .LBB506_44
.LBB506_42:
                                        ; implicit-def: $sgpr26
                                        ; implicit-def: $vgpr53
                                        ; implicit-def: $vgpr54
                                        ; implicit-def: $vgpr55
                                        ; implicit-def: $vgpr57
                                        ; implicit-def: $vgpr48
.LBB506_43:
	v_or_b32_e32 v18, 1, v5
	v_cmp_ne_u16_e32 vcc_lo, v16, v17
	v_add_nc_u32_e32 v19, 3, v5
	v_add_nc_u32_e32 v16, 2, v5
	v_cmp_ne_u16_e64 s9, v2, v17
	v_cmp_gt_u32_e64 s4, s27, v18
	v_add_nc_u32_e32 v18, 4, v5
	v_cmp_gt_u32_e64 s7, s27, v19
	v_cmp_gt_u32_e64 s6, s27, v16
	v_add_nc_u32_e32 v16, 7, v5
	s_and_b32 s4, s4, vcc_lo
	v_cmp_ne_u16_e32 vcc_lo, v1, v17
	v_cmp_gt_u32_e64 s8, s27, v18
	v_add_nc_u32_e32 v18, 5, v5
	s_wait_alu 0xfffe
	v_cndmask_b32_e64 v20, 0, 1, s4
	v_cmp_ne_u16_e64 s4, v12, v17
	s_and_b32 s7, s7, vcc_lo
	v_cmp_ne_u16_e32 vcc_lo, v3, v17
	s_wait_alu 0xfffe
	v_cndmask_b32_e64 v19, 0, 1, s7
	v_cmp_gt_u32_e64 s7, s27, v16
	v_cmp_gt_u32_e64 s10, s27, v18
	v_lshlrev_b16 v12, 8, v20
	v_add_nc_u32_e32 v18, 6, v5
	v_lshlrev_b16 v16, 8, v19
	s_and_b32 s7, s7, vcc_lo
	v_cmp_ne_u16_e32 vcc_lo, v11, v17
	s_wait_alu 0xfffe
	v_cndmask_b32_e64 v19, 0, 1, s7
	s_and_b32 s7, s10, s9
	v_add_nc_u32_e32 v11, 8, v5
	s_wait_alu 0xfffe
	v_cndmask_b32_e64 v20, 0, 1, s7
	v_cmp_gt_u32_e64 s7, s27, v18
	v_lshlrev_b16 v18, 8, v19
	v_cmp_ne_u16_e64 s9, v10, v17
	v_cmp_gt_u32_e64 s10, s27, v11
	v_lshlrev_b16 v19, 8, v20
	v_add_nc_u32_e32 v10, 9, v5
	v_lshrrev_b32_e32 v11, 8, v18
	v_cmp_ne_u16_e64 s11, v4, v17
	v_cmp_ne_u16_e64 s14, v13, v17
	v_lshrrev_b32_e32 v18, 8, v19
	v_add_nc_u32_e32 v19, 11, v5
	v_cmp_gt_u32_e64 s12, s27, v10
	v_add_nc_u32_e32 v10, 10, v5
	v_cmp_ne_u16_e64 s13, v9, v17
	v_cmp_ne_u16_e64 s17, v15, v17
	v_cmp_gt_u32_e64 s15, s27, v19
	s_and_b32 s11, s12, s11
	v_cmp_ne_u16_e64 s2, v52, v17
	s_wait_alu 0xfffe
	v_cndmask_b32_e64 v9, 0, 1, s11
	v_cmp_gt_u32_e64 s11, s27, v10
	s_and_b32 s12, s15, s14
	v_add_nc_u32_e32 v10, 12, v5
	v_cndmask_b32_e64 v19, 0, 1, s12
	v_cmp_ne_u16_e64 s12, v8, v17
	v_add_nc_u32_e32 v8, 13, v5
	v_cmp_ne_u16_e64 s15, v14, v17
	v_cmp_gt_u32_e64 s14, s27, v10
	v_lshlrev_b16 v10, 8, v19
	v_add_nc_u32_e32 v19, 15, v5
	v_cmp_gt_u32_e64 s16, s27, v8
	v_cmp_gt_u32_e64 s3, s27, v5
	v_cmp_ne_u16_e64 s5, v51, v17
	v_cmp_ne_u16_e64 s19, v7, v17
	v_cmp_gt_u32_e64 s18, s27, v19
	s_and_b32 s15, s16, s15
	v_add_nc_u32_e32 v7, 16, v5
	v_cndmask_b32_e64 v8, 0, 1, s15
	s_and_b32 s2, s3, s2
	s_and_b32 s15, s18, s17
	v_add_nc_u32_e32 v20, 14, v5
	s_wait_alu 0xfffe
	v_cndmask_b32_e64 v19, 0, 1, s15
	v_cmp_ne_u16_e64 s15, v6, v17
	v_lshlrev_b16 v6, 8, v8
	v_lshrrev_b32_e32 v8, 8, v12
	v_lshrrev_b32_e32 v12, 8, v16
	v_cndmask_b32_e64 v16, 0, 1, s2
	s_and_b32 s2, s6, s5
	v_cmp_gt_u32_e64 s16, s27, v7
	v_lshlrev_b16 v7, 8, v19
	s_wait_alu 0xfffe
	v_cndmask_b32_e64 v19, 0, 1, s2
	s_and_b32 s2, s8, s4
	v_cmp_gt_u32_e64 s17, s27, v20
	v_lshlrev_b16 v8, 8, v8
	v_lshlrev_b16 v12, 8, v12
	;; [unrolled: 1-line block ×3, first 2 shown]
	s_wait_alu 0xfffe
	v_cndmask_b32_e64 v20, 0, 1, s2
	v_add_nc_u32_e32 v5, 17, v5
	v_or_b32_e32 v8, v16, v8
	v_or_b32_e32 v12, v19, v12
	v_lshlrev_b16 v9, 8, v9
	v_or_b32_e32 v16, v20, v18
	s_and_b32 s4, s7, vcc_lo
	v_cmp_gt_u32_e64 s2, s27, v5
	v_and_b32_e32 v5, 0xffff, v8
	v_lshlrev_b32_e32 v8, 16, v12
	v_and_b32_e32 v12, 0xffff, v16
	s_wait_alu 0xfffe
	v_cndmask_b32_e64 v16, 0, 1, s4
	s_and_b32 s4, s10, s9
	v_cmp_ne_u16_e64 s3, v50, v17
	s_wait_alu 0xfffe
	v_cndmask_b32_e64 v17, 0, 1, s4
	s_and_b32 s4, s11, s13
	v_lshrrev_b32_e32 v7, 8, v7
	v_lshrrev_b32_e32 v6, 8, v6
	;; [unrolled: 1-line block ×4, first 2 shown]
	s_wait_alu 0xfffe
	v_cndmask_b32_e64 v18, 0, 1, s4
	s_and_b32 s4, s14, s12
	v_lshlrev_b16 v11, 8, v11
	s_wait_alu 0xfffe
	v_cndmask_b32_e64 v19, 0, 1, s4
	s_and_b32 s4, s17, s19
	v_lshlrev_b16 v9, 8, v9
	v_lshlrev_b16 v10, 8, v10
	;; [unrolled: 1-line block ×4, first 2 shown]
	s_wait_alu 0xfffe
	v_cndmask_b32_e64 v20, 0, 1, s4
	v_or_b32_e32 v11, v16, v11
	v_or_b32_e32 v9, v17, v9
	;; [unrolled: 1-line block ×5, first 2 shown]
	v_lshlrev_b32_e32 v11, 16, v11
	v_and_b32_e32 v9, 0xffff, v9
	v_lshlrev_b32_e32 v10, 16, v10
	v_and_b32_e32 v6, 0xffff, v6
	v_lshlrev_b32_e32 v7, 16, v7
	s_and_b32 s15, s16, s15
	s_and_b32 s2, s2, s3
	s_wait_alu 0xfffe
	v_cndmask_b32_e64 v53, 0, 1, s15
	v_or_b32_e32 v48, v5, v8
	v_or_b32_e32 v57, v12, v11
	;; [unrolled: 1-line block ×4, first 2 shown]
	s_and_not1_b32 s3, s26, exec_lo
	s_and_b32 s2, s2, exec_lo
	s_wait_alu 0xfffe
	s_or_b32 s26, s3, s2
.LBB506_44:
	v_dual_mov_b32 v6, 0 :: v_dual_and_b32 v25, 0xff, v48
	v_bfe_u32 v24, v48, 8, 8
	s_wait_alu 0xfffe
	v_cndmask_b32_e64 v5, 0, 1, s26
	v_bfe_u32 v31, v48, 16, 8
	v_lshrrev_b32_e32 v60, 24, v48
	v_and_b32_e32 v30, 0xff, v57
	v_bfe_u32 v29, v57, 8, 8
	v_add3_u32 v5, v25, v5, v24
	v_bfe_u32 v28, v57, 16, 8
	v_lshrrev_b32_e32 v59, 24, v57
	v_and_b32_e32 v27, 0xff, v55
	v_bfe_u32 v26, v55, 8, 8
	v_add_co_u32 v5, s2, v5, v31
	s_wait_alu 0xf1ff
	v_add_co_ci_u32_e64 v7, null, 0, 0, s2
	v_bfe_u32 v64, v55, 16, 8
	s_delay_alu instid0(VALU_DEP_3) | instskip(SKIP_1) | instid1(VALU_DEP_3)
	v_add_co_u32 v5, vcc_lo, v5, v60
	s_wait_alu 0xfffd
	v_add_co_ci_u32_e64 v7, null, 0, v7, vcc_lo
	v_lshrrev_b32_e32 v58, 24, v55
	s_delay_alu instid0(VALU_DEP_3) | instskip(SKIP_1) | instid1(VALU_DEP_3)
	v_add_co_u32 v5, vcc_lo, v5, v30
	s_wait_alu 0xfffd
	v_add_co_ci_u32_e64 v7, null, 0, v7, vcc_lo
	v_and_b32_e32 v63, 0xff, v54
	s_delay_alu instid0(VALU_DEP_3) | instskip(SKIP_1) | instid1(VALU_DEP_3)
	v_add_co_u32 v5, vcc_lo, v5, v29
	s_wait_alu 0xfffd
	v_add_co_ci_u32_e64 v7, null, 0, v7, vcc_lo
	v_bfe_u32 v62, v54, 8, 8
	s_delay_alu instid0(VALU_DEP_3) | instskip(SKIP_1) | instid1(VALU_DEP_3)
	v_add_co_u32 v5, vcc_lo, v5, v28
	s_wait_alu 0xfffd
	v_add_co_ci_u32_e64 v7, null, 0, v7, vcc_lo
	v_bfe_u32 v61, v54, 16, 8
	s_delay_alu instid0(VALU_DEP_3) | instskip(SKIP_1) | instid1(VALU_DEP_3)
	v_add_co_u32 v5, vcc_lo, v5, v59
	s_wait_alu 0xfffd
	v_add_co_ci_u32_e64 v7, null, 0, v7, vcc_lo
	s_load_b64 s[6:7], s[0:1], 0x60
	v_add_co_u32 v5, vcc_lo, v5, v27
	s_wait_alu 0xfffd
	v_add_co_ci_u32_e64 v7, null, 0, v7, vcc_lo
	v_lshrrev_b32_e32 v56, 24, v54
	s_delay_alu instid0(VALU_DEP_3) | instskip(SKIP_1) | instid1(VALU_DEP_3)
	v_add_co_u32 v5, vcc_lo, v5, v26
	s_wait_alu 0xfffd
	v_add_co_ci_u32_e64 v7, null, 0, v7, vcc_lo
	v_mbcnt_lo_u32_b32 v32, -1, 0
	s_delay_alu instid0(VALU_DEP_3) | instskip(SKIP_1) | instid1(VALU_DEP_3)
	v_add_co_u32 v5, vcc_lo, v5, v64
	s_wait_alu 0xfffd
	v_add_co_ci_u32_e64 v7, null, 0, v7, vcc_lo
	v_and_b32_e32 v49, 0xff, v53
	s_delay_alu instid0(VALU_DEP_3) | instskip(SKIP_1) | instid1(VALU_DEP_3)
	v_add_co_u32 v5, vcc_lo, v5, v58
	s_wait_alu 0xfffd
	v_add_co_ci_u32_e64 v7, null, 0, v7, vcc_lo
	v_and_b32_e32 v33, 15, v32
	s_delay_alu instid0(VALU_DEP_3) | instskip(SKIP_1) | instid1(VALU_DEP_3)
	v_add_co_u32 v5, vcc_lo, v5, v63
	s_wait_alu 0xfffd
	v_add_co_ci_u32_e64 v7, null, 0, v7, vcc_lo
	s_delay_alu instid0(VALU_DEP_3) | instskip(NEXT) | instid1(VALU_DEP_3)
	v_cmp_ne_u32_e64 s2, 0, v33
	v_add_co_u32 v5, vcc_lo, v5, v62
	s_wait_alu 0xfffd
	s_delay_alu instid0(VALU_DEP_3)
	v_add_co_ci_u32_e64 v7, null, 0, v7, vcc_lo
	s_cmp_lg_u32 ttmp9, 0
	v_add_co_u32 v5, vcc_lo, v5, v61
	s_wait_alu 0xfffd
	v_add_co_ci_u32_e64 v7, null, 0, v7, vcc_lo
	s_mov_b32 s3, -1
	v_add_co_u32 v5, vcc_lo, v5, v56
	s_wait_alu 0xfffd
	v_add_co_ci_u32_e64 v7, null, 0, v7, vcc_lo
	s_delay_alu instid0(VALU_DEP_2) | instskip(SKIP_1) | instid1(VALU_DEP_2)
	v_add_co_u32 v16, vcc_lo, v5, v49
	s_wait_alu 0xfffd
	v_add_co_ci_u32_e64 v17, null, 0, v7, vcc_lo
	s_cbranch_scc0 .LBB506_103
; %bb.45:
	v_mov_b32_e32 v7, v16
	v_mov_b32_dpp v5, v16 row_shr:1 row_mask:0xf bank_mask:0xf
	v_mov_b32_dpp v10, v6 row_shr:1 row_mask:0xf bank_mask:0xf
	v_dual_mov_b32 v9, v16 :: v_dual_mov_b32 v8, v17
	s_and_saveexec_b32 s3, s2
; %bb.46:
	s_delay_alu instid0(VALU_DEP_3) | instskip(SKIP_2) | instid1(VALU_DEP_2)
	v_add_co_u32 v9, vcc_lo, v16, v5
	s_wait_alu 0xfffd
	v_add_co_ci_u32_e64 v6, null, 0, v17, vcc_lo
	v_add_co_u32 v5, vcc_lo, 0, v9
	s_wait_alu 0xfffd
	s_delay_alu instid0(VALU_DEP_2) | instskip(NEXT) | instid1(VALU_DEP_1)
	v_add_co_ci_u32_e64 v6, null, v10, v6, vcc_lo
	v_dual_mov_b32 v8, v6 :: v_dual_mov_b32 v7, v5
; %bb.47:
	s_wait_alu 0xfffe
	s_or_b32 exec_lo, exec_lo, s3
	v_mov_b32_dpp v5, v9 row_shr:2 row_mask:0xf bank_mask:0xf
	v_mov_b32_dpp v10, v6 row_shr:2 row_mask:0xf bank_mask:0xf
	v_cmp_lt_u32_e32 vcc_lo, 1, v33
	s_and_saveexec_b32 s4, vcc_lo
; %bb.48:
	s_delay_alu instid0(VALU_DEP_3) | instskip(SKIP_2) | instid1(VALU_DEP_2)
	v_add_co_u32 v9, s3, v7, v5
	s_wait_alu 0xf1ff
	v_add_co_ci_u32_e64 v6, null, 0, v8, s3
	v_add_co_u32 v5, s3, 0, v9
	s_wait_alu 0xf1ff
	s_delay_alu instid0(VALU_DEP_2) | instskip(NEXT) | instid1(VALU_DEP_1)
	v_add_co_ci_u32_e64 v6, null, v10, v6, s3
	v_dual_mov_b32 v8, v6 :: v_dual_mov_b32 v7, v5
; %bb.49:
	s_wait_alu 0xfffe
	s_or_b32 exec_lo, exec_lo, s4
	v_mov_b32_dpp v5, v9 row_shr:4 row_mask:0xf bank_mask:0xf
	v_mov_b32_dpp v10, v6 row_shr:4 row_mask:0xf bank_mask:0xf
	v_cmp_lt_u32_e64 s3, 3, v33
	s_and_saveexec_b32 s5, s3
; %bb.50:
	v_add_co_u32 v9, s4, v7, v5
	s_wait_alu 0xf1ff
	v_add_co_ci_u32_e64 v6, null, 0, v8, s4
	s_delay_alu instid0(VALU_DEP_2) | instskip(SKIP_1) | instid1(VALU_DEP_2)
	v_add_co_u32 v5, s4, 0, v9
	s_wait_alu 0xf1ff
	v_add_co_ci_u32_e64 v6, null, v10, v6, s4
	s_delay_alu instid0(VALU_DEP_1)
	v_dual_mov_b32 v8, v6 :: v_dual_mov_b32 v7, v5
; %bb.51:
	s_wait_alu 0xfffe
	s_or_b32 exec_lo, exec_lo, s5
	v_mov_b32_dpp v10, v9 row_shr:8 row_mask:0xf bank_mask:0xf
	v_mov_b32_dpp v5, v6 row_shr:8 row_mask:0xf bank_mask:0xf
	v_cmp_lt_u32_e64 s4, 7, v33
	s_and_saveexec_b32 s8, s4
; %bb.52:
	v_add_co_u32 v9, s5, v7, v10
	s_wait_alu 0xf1ff
	v_add_co_ci_u32_e64 v6, null, 0, v8, s5
	s_delay_alu instid0(VALU_DEP_2) | instskip(SKIP_1) | instid1(VALU_DEP_2)
	v_add_co_u32 v7, s5, 0, v9
	s_wait_alu 0xf1ff
	v_add_co_ci_u32_e64 v8, null, v5, v6, s5
	s_delay_alu instid0(VALU_DEP_1)
	v_mov_b32_e32 v6, v8
; %bb.53:
	s_wait_alu 0xfffe
	s_or_b32 exec_lo, exec_lo, s8
	ds_swizzle_b32 v5, v9 offset:swizzle(BROADCAST,32,15)
	ds_swizzle_b32 v10, v6 offset:swizzle(BROADCAST,32,15)
	v_and_b32_e32 v11, 16, v32
	s_mov_b32 s8, exec_lo
	s_delay_alu instid0(VALU_DEP_1)
	v_cmpx_ne_u32_e32 0, v11
	s_cbranch_execz .LBB506_55
; %bb.54:
	s_wait_dscnt 0x1
	v_add_co_u32 v9, s5, v7, v5
	s_wait_alu 0xf1ff
	v_add_co_ci_u32_e64 v6, null, 0, v8, s5
	s_delay_alu instid0(VALU_DEP_2) | instskip(SKIP_2) | instid1(VALU_DEP_2)
	v_add_co_u32 v5, s5, 0, v9
	s_wait_dscnt 0x0
	s_wait_alu 0xf1ff
	v_add_co_ci_u32_e64 v6, null, v10, v6, s5
	s_delay_alu instid0(VALU_DEP_1)
	v_dual_mov_b32 v8, v6 :: v_dual_mov_b32 v7, v5
.LBB506_55:
	s_wait_alu 0xfffe
	s_or_b32 exec_lo, exec_lo, s8
	s_wait_dscnt 0x1
	v_and_b32_e32 v5, 0x1e0, v0
	s_mov_b32 s8, exec_lo
	s_delay_alu instid0(VALU_DEP_1) | instskip(SKIP_1) | instid1(VALU_DEP_1)
	v_min_u32_e32 v5, 0x160, v5
	s_wait_dscnt 0x0
	v_or_b32_e32 v10, 31, v5
	v_lshrrev_b32_e32 v5, 5, v0
	s_delay_alu instid0(VALU_DEP_2)
	v_cmpx_eq_u32_e64 v0, v10
; %bb.56:
	s_delay_alu instid0(VALU_DEP_2)
	v_lshlrev_b32_e32 v10, 3, v5
	ds_store_b64 v10, v[7:8]
; %bb.57:
	s_wait_alu 0xfffe
	s_or_b32 exec_lo, exec_lo, s8
	s_delay_alu instid0(SALU_CYCLE_1)
	s_mov_b32 s8, exec_lo
	s_wait_loadcnt_dscnt 0x0
	s_barrier_signal -1
	s_barrier_wait -1
	global_inv scope:SCOPE_SE
	v_cmpx_gt_u32_e32 12, v0
	s_cbranch_execz .LBB506_67
; %bb.58:
	v_lshlrev_b32_e32 v10, 3, v0
	ds_load_b64 v[7:8], v10
	s_wait_dscnt 0x0
	v_mov_b32_dpp v18, v7 row_shr:1 row_mask:0xf bank_mask:0xf
	v_mov_b32_dpp v12, v8 row_shr:1 row_mask:0xf bank_mask:0xf
	v_mov_b32_e32 v11, v7
	s_and_saveexec_b32 s9, s2
; %bb.59:
	s_delay_alu instid0(VALU_DEP_3) | instskip(SKIP_2) | instid1(VALU_DEP_2)
	v_add_co_u32 v11, s5, v7, v18
	s_wait_alu 0xf1ff
	v_add_co_ci_u32_e64 v8, null, 0, v8, s5
	v_add_co_u32 v7, s5, 0, v11
	s_wait_alu 0xf1ff
	s_delay_alu instid0(VALU_DEP_2)
	v_add_co_ci_u32_e64 v8, null, v12, v8, s5
; %bb.60:
	s_wait_alu 0xfffe
	s_or_b32 exec_lo, exec_lo, s9
	v_mov_b32_dpp v18, v11 row_shr:2 row_mask:0xf bank_mask:0xf
	s_delay_alu instid0(VALU_DEP_2)
	v_mov_b32_dpp v12, v8 row_shr:2 row_mask:0xf bank_mask:0xf
	s_and_saveexec_b32 s5, vcc_lo
; %bb.61:
	s_delay_alu instid0(VALU_DEP_2) | instskip(SKIP_2) | instid1(VALU_DEP_2)
	v_add_co_u32 v11, vcc_lo, v7, v18
	s_wait_alu 0xfffd
	v_add_co_ci_u32_e64 v8, null, 0, v8, vcc_lo
	v_add_co_u32 v7, vcc_lo, 0, v11
	s_wait_alu 0xfffd
	s_delay_alu instid0(VALU_DEP_2)
	v_add_co_ci_u32_e64 v8, null, v12, v8, vcc_lo
; %bb.62:
	s_wait_alu 0xfffe
	s_or_b32 exec_lo, exec_lo, s5
	v_mov_b32_dpp v18, v11 row_shr:4 row_mask:0xf bank_mask:0xf
	s_delay_alu instid0(VALU_DEP_2)
	v_mov_b32_dpp v12, v8 row_shr:4 row_mask:0xf bank_mask:0xf
	s_and_saveexec_b32 s5, s3
; %bb.63:
	s_delay_alu instid0(VALU_DEP_2) | instskip(SKIP_2) | instid1(VALU_DEP_2)
	v_add_co_u32 v11, vcc_lo, v7, v18
	s_wait_alu 0xfffd
	v_add_co_ci_u32_e64 v8, null, 0, v8, vcc_lo
	v_add_co_u32 v7, vcc_lo, 0, v11
	s_wait_alu 0xfffd
	s_delay_alu instid0(VALU_DEP_2)
	v_add_co_ci_u32_e64 v8, null, v12, v8, vcc_lo
; %bb.64:
	s_wait_alu 0xfffe
	s_or_b32 exec_lo, exec_lo, s5
	v_mov_b32_dpp v12, v11 row_shr:8 row_mask:0xf bank_mask:0xf
	s_delay_alu instid0(VALU_DEP_2)
	v_mov_b32_dpp v11, v8 row_shr:8 row_mask:0xf bank_mask:0xf
	s_and_saveexec_b32 s3, s4
; %bb.65:
	s_delay_alu instid0(VALU_DEP_2) | instskip(SKIP_2) | instid1(VALU_DEP_2)
	v_add_co_u32 v7, vcc_lo, v7, v12
	s_wait_alu 0xfffd
	v_add_co_ci_u32_e64 v8, null, 0, v8, vcc_lo
	v_add_co_u32 v7, vcc_lo, v7, 0
	s_wait_alu 0xfffd
	s_delay_alu instid0(VALU_DEP_2)
	v_add_co_ci_u32_e64 v8, null, v8, v11, vcc_lo
; %bb.66:
	s_wait_alu 0xfffe
	s_or_b32 exec_lo, exec_lo, s3
	ds_store_b64 v10, v[7:8]
.LBB506_67:
	s_wait_alu 0xfffe
	s_or_b32 exec_lo, exec_lo, s8
	s_delay_alu instid0(SALU_CYCLE_1)
	s_mov_b32 s4, exec_lo
	v_cmp_gt_u32_e32 vcc_lo, 32, v0
	s_wait_loadcnt_dscnt 0x0
	s_barrier_signal -1
	s_barrier_wait -1
	global_inv scope:SCOPE_SE
                                        ; implicit-def: $vgpr18_vgpr19
	v_cmpx_lt_u32_e32 31, v0
	s_cbranch_execz .LBB506_69
; %bb.68:
	v_lshl_add_u32 v5, v5, 3, -8
	ds_load_b64 v[18:19], v5
	s_wait_dscnt 0x0
	v_add_co_u32 v9, s3, v9, v18
	s_wait_alu 0xf1ff
	v_add_co_ci_u32_e64 v6, null, v6, v19, s3
.LBB506_69:
	s_wait_alu 0xfffe
	s_or_b32 exec_lo, exec_lo, s4
	v_sub_co_u32 v5, s3, v32, 1
	s_delay_alu instid0(VALU_DEP_1) | instskip(SKIP_1) | instid1(VALU_DEP_1)
	v_cmp_gt_i32_e64 s4, 0, v5
	s_wait_alu 0xf1ff
	v_cndmask_b32_e64 v5, v5, v32, s4
	s_delay_alu instid0(VALU_DEP_1)
	v_lshlrev_b32_e32 v5, 2, v5
	ds_bpermute_b32 v34, v5, v9
	ds_bpermute_b32 v35, v5, v6
	s_and_saveexec_b32 s4, vcc_lo
	s_cbranch_execz .LBB506_108
; %bb.70:
	v_mov_b32_e32 v8, 0
	ds_load_b64 v[5:6], v8 offset:88
	s_and_saveexec_b32 s5, s3
	s_cbranch_execz .LBB506_72
; %bb.71:
	s_add_co_i32 s8, ttmp9, 32
	s_mov_b32 s9, 0
	s_wait_alu 0xfffe
	s_lshl_b64 s[8:9], s[8:9], 4
	s_wait_kmcnt 0x0
	s_wait_alu 0xfffe
	s_add_nc_u64 s[8:9], s[6:7], s[8:9]
	s_wait_alu 0xfffe
	v_dual_mov_b32 v7, 1 :: v_dual_mov_b32 v10, s9
	v_mov_b32_e32 v9, s8
	s_wait_dscnt 0x0
	;;#ASMSTART
	global_store_b128 v[9:10], v[5:8] off scope:SCOPE_DEV	
s_wait_storecnt 0x0
	;;#ASMEND
.LBB506_72:
	s_wait_alu 0xfffe
	s_or_b32 exec_lo, exec_lo, s5
	v_xad_u32 v20, v32, -1, ttmp9
	s_mov_b32 s8, 0
	s_mov_b32 s5, exec_lo
	s_delay_alu instid0(VALU_DEP_1) | instskip(NEXT) | instid1(VALU_DEP_1)
	v_add_nc_u32_e32 v7, 32, v20
	v_lshlrev_b64_e32 v[7:8], 4, v[7:8]
	s_wait_kmcnt 0x0
	s_delay_alu instid0(VALU_DEP_1) | instskip(SKIP_1) | instid1(VALU_DEP_2)
	v_add_co_u32 v7, vcc_lo, s6, v7
	s_wait_alu 0xfffd
	v_add_co_ci_u32_e64 v8, null, s7, v8, vcc_lo
	;;#ASMSTART
	global_load_b128 v[9:12], v[7:8] off scope:SCOPE_DEV	
s_wait_loadcnt 0x0
	;;#ASMEND
	v_and_b32_e32 v12, 0xff, v11
	s_delay_alu instid0(VALU_DEP_1)
	v_cmpx_eq_u16_e32 0, v12
	s_cbranch_execz .LBB506_75
.LBB506_73:                             ; =>This Inner Loop Header: Depth=1
	;;#ASMSTART
	global_load_b128 v[9:12], v[7:8] off scope:SCOPE_DEV	
s_wait_loadcnt 0x0
	;;#ASMEND
	v_and_b32_e32 v12, 0xff, v11
	s_delay_alu instid0(VALU_DEP_1)
	v_cmp_ne_u16_e32 vcc_lo, 0, v12
	s_wait_alu 0xfffe
	s_or_b32 s8, vcc_lo, s8
	s_wait_alu 0xfffe
	s_and_not1_b32 exec_lo, exec_lo, s8
	s_cbranch_execnz .LBB506_73
; %bb.74:
	s_or_b32 exec_lo, exec_lo, s8
.LBB506_75:
	s_wait_alu 0xfffe
	s_or_b32 exec_lo, exec_lo, s5
	v_cmp_ne_u32_e32 vcc_lo, 31, v32
	v_and_b32_e32 v8, 0xff, v11
	v_lshlrev_b32_e64 v37, v32, -1
	s_mov_b32 s5, exec_lo
	s_wait_alu 0xfffd
	v_add_co_ci_u32_e64 v7, null, 0, v32, vcc_lo
	v_cmp_eq_u16_e32 vcc_lo, 2, v8
	v_mov_b32_e32 v8, v9
	s_delay_alu instid0(VALU_DEP_3)
	v_lshlrev_b32_e32 v36, 2, v7
	s_wait_alu 0xfffd
	v_and_or_b32 v7, vcc_lo, v37, 0x80000000
	ds_bpermute_b32 v21, v36, v9
	ds_bpermute_b32 v12, v36, v10
	v_ctz_i32_b32_e32 v7, v7
	s_delay_alu instid0(VALU_DEP_1)
	v_cmpx_lt_u32_e64 v32, v7
	s_cbranch_execz .LBB506_77
; %bb.76:
	s_wait_dscnt 0x1
	v_add_co_u32 v8, vcc_lo, v9, v21
	s_wait_alu 0xfffd
	v_add_co_ci_u32_e64 v10, null, 0, v10, vcc_lo
	s_delay_alu instid0(VALU_DEP_2) | instskip(SKIP_2) | instid1(VALU_DEP_2)
	v_add_co_u32 v9, vcc_lo, 0, v8
	s_wait_dscnt 0x0
	s_wait_alu 0xfffd
	v_add_co_ci_u32_e64 v10, null, v12, v10, vcc_lo
.LBB506_77:
	s_wait_alu 0xfffe
	s_or_b32 exec_lo, exec_lo, s5
	v_cmp_gt_u32_e32 vcc_lo, 30, v32
	v_add_nc_u32_e32 v39, 2, v32
	s_mov_b32 s5, exec_lo
	s_wait_dscnt 0x0
	s_wait_alu 0xfffd
	v_cndmask_b32_e64 v12, 0, 2, vcc_lo
	s_delay_alu instid0(VALU_DEP_1)
	v_add_lshl_u32 v38, v12, v32, 2
	ds_bpermute_b32 v21, v38, v8
	ds_bpermute_b32 v12, v38, v10
	v_cmpx_le_u32_e64 v39, v7
	s_cbranch_execz .LBB506_79
; %bb.78:
	s_wait_dscnt 0x1
	v_add_co_u32 v8, vcc_lo, v9, v21
	s_wait_alu 0xfffd
	v_add_co_ci_u32_e64 v10, null, 0, v10, vcc_lo
	s_delay_alu instid0(VALU_DEP_2) | instskip(SKIP_2) | instid1(VALU_DEP_2)
	v_add_co_u32 v9, vcc_lo, 0, v8
	s_wait_dscnt 0x0
	s_wait_alu 0xfffd
	v_add_co_ci_u32_e64 v10, null, v12, v10, vcc_lo
.LBB506_79:
	s_wait_alu 0xfffe
	s_or_b32 exec_lo, exec_lo, s5
	v_cmp_gt_u32_e32 vcc_lo, 28, v32
	v_add_nc_u32_e32 v41, 4, v32
	s_mov_b32 s5, exec_lo
	s_wait_dscnt 0x0
	s_wait_alu 0xfffd
	v_cndmask_b32_e64 v12, 0, 4, vcc_lo
	s_delay_alu instid0(VALU_DEP_1)
	v_add_lshl_u32 v40, v12, v32, 2
	ds_bpermute_b32 v21, v40, v8
	ds_bpermute_b32 v12, v40, v10
	v_cmpx_le_u32_e64 v41, v7
	;; [unrolled: 25-line block ×3, first 2 shown]
	s_cbranch_execz .LBB506_83
; %bb.82:
	s_wait_dscnt 0x1
	v_add_co_u32 v8, vcc_lo, v9, v21
	s_wait_alu 0xfffd
	v_add_co_ci_u32_e64 v10, null, 0, v10, vcc_lo
	s_delay_alu instid0(VALU_DEP_2) | instskip(SKIP_2) | instid1(VALU_DEP_2)
	v_add_co_u32 v9, vcc_lo, 0, v8
	s_wait_dscnt 0x0
	s_wait_alu 0xfffd
	v_add_co_ci_u32_e64 v10, null, v12, v10, vcc_lo
.LBB506_83:
	s_wait_alu 0xfffe
	s_or_b32 exec_lo, exec_lo, s5
	v_lshl_or_b32 v44, v32, 2, 64
	v_add_nc_u32_e32 v45, 16, v32
	s_mov_b32 s5, exec_lo
	s_wait_dscnt 0x0
	ds_bpermute_b32 v12, v44, v8
	ds_bpermute_b32 v8, v44, v10
	v_cmpx_le_u32_e64 v45, v7
	s_cbranch_execz .LBB506_85
; %bb.84:
	s_wait_dscnt 0x1
	v_add_co_u32 v7, vcc_lo, v9, v12
	s_wait_alu 0xfffd
	v_add_co_ci_u32_e64 v10, null, 0, v10, vcc_lo
	s_delay_alu instid0(VALU_DEP_2) | instskip(SKIP_2) | instid1(VALU_DEP_2)
	v_add_co_u32 v9, vcc_lo, v7, 0
	s_wait_dscnt 0x0
	s_wait_alu 0xfffd
	v_add_co_ci_u32_e64 v10, null, v10, v8, vcc_lo
.LBB506_85:
	s_wait_alu 0xfffe
	s_or_b32 exec_lo, exec_lo, s5
	v_mov_b32_e32 v21, 0
	s_branch .LBB506_88
.LBB506_86:                             ;   in Loop: Header=BB506_88 Depth=1
	s_wait_alu 0xfffe
	s_or_b32 exec_lo, exec_lo, s5
	v_add_co_u32 v9, vcc_lo, v9, v7
	v_subrev_nc_u32_e32 v20, 32, v20
	s_wait_alu 0xfffd
	v_add_co_ci_u32_e64 v10, null, v10, v8, vcc_lo
	s_mov_b32 s5, 0
.LBB506_87:                             ;   in Loop: Header=BB506_88 Depth=1
	s_wait_alu 0xfffe
	s_and_b32 vcc_lo, exec_lo, s5
	s_wait_alu 0xfffe
	s_cbranch_vccnz .LBB506_104
.LBB506_88:                             ; =>This Loop Header: Depth=1
                                        ;     Child Loop BB506_91 Depth 2
	v_and_b32_e32 v7, 0xff, v11
	s_mov_b32 s5, -1
	s_delay_alu instid0(VALU_DEP_1)
	v_cmp_ne_u16_e32 vcc_lo, 2, v7
	s_wait_dscnt 0x0
	v_dual_mov_b32 v7, v9 :: v_dual_mov_b32 v8, v10
                                        ; implicit-def: $vgpr9_vgpr10
	s_cmp_lg_u32 vcc_lo, exec_lo
	s_cbranch_scc1 .LBB506_87
; %bb.89:                               ;   in Loop: Header=BB506_88 Depth=1
	v_lshlrev_b64_e32 v[9:10], 4, v[20:21]
	s_mov_b32 s5, exec_lo
	s_delay_alu instid0(VALU_DEP_1) | instskip(SKIP_1) | instid1(VALU_DEP_2)
	v_add_co_u32 v22, vcc_lo, s6, v9
	s_wait_alu 0xfffd
	v_add_co_ci_u32_e64 v23, null, s7, v10, vcc_lo
	;;#ASMSTART
	global_load_b128 v[9:12], v[22:23] off scope:SCOPE_DEV	
s_wait_loadcnt 0x0
	;;#ASMEND
	v_and_b32_e32 v12, 0xff, v11
	s_delay_alu instid0(VALU_DEP_1)
	v_cmpx_eq_u16_e32 0, v12
	s_cbranch_execz .LBB506_93
; %bb.90:                               ;   in Loop: Header=BB506_88 Depth=1
	s_mov_b32 s8, 0
.LBB506_91:                             ;   Parent Loop BB506_88 Depth=1
                                        ; =>  This Inner Loop Header: Depth=2
	;;#ASMSTART
	global_load_b128 v[9:12], v[22:23] off scope:SCOPE_DEV	
s_wait_loadcnt 0x0
	;;#ASMEND
	v_and_b32_e32 v12, 0xff, v11
	s_delay_alu instid0(VALU_DEP_1)
	v_cmp_ne_u16_e32 vcc_lo, 0, v12
	s_wait_alu 0xfffe
	s_or_b32 s8, vcc_lo, s8
	s_wait_alu 0xfffe
	s_and_not1_b32 exec_lo, exec_lo, s8
	s_cbranch_execnz .LBB506_91
; %bb.92:                               ;   in Loop: Header=BB506_88 Depth=1
	s_or_b32 exec_lo, exec_lo, s8
.LBB506_93:                             ;   in Loop: Header=BB506_88 Depth=1
	s_wait_alu 0xfffe
	s_or_b32 exec_lo, exec_lo, s5
	v_and_b32_e32 v12, 0xff, v11
	ds_bpermute_b32 v46, v36, v9
	ds_bpermute_b32 v23, v36, v10
	v_mov_b32_e32 v22, v9
	s_mov_b32 s5, exec_lo
	v_cmp_eq_u16_e32 vcc_lo, 2, v12
	s_wait_alu 0xfffd
	v_and_or_b32 v12, vcc_lo, v37, 0x80000000
	s_delay_alu instid0(VALU_DEP_1) | instskip(NEXT) | instid1(VALU_DEP_1)
	v_ctz_i32_b32_e32 v12, v12
	v_cmpx_lt_u32_e64 v32, v12
	s_cbranch_execz .LBB506_95
; %bb.94:                               ;   in Loop: Header=BB506_88 Depth=1
	s_wait_dscnt 0x1
	v_add_co_u32 v22, vcc_lo, v9, v46
	s_wait_alu 0xfffd
	v_add_co_ci_u32_e64 v10, null, 0, v10, vcc_lo
	s_delay_alu instid0(VALU_DEP_2) | instskip(SKIP_2) | instid1(VALU_DEP_2)
	v_add_co_u32 v9, vcc_lo, 0, v22
	s_wait_dscnt 0x0
	s_wait_alu 0xfffd
	v_add_co_ci_u32_e64 v10, null, v23, v10, vcc_lo
.LBB506_95:                             ;   in Loop: Header=BB506_88 Depth=1
	s_wait_alu 0xfffe
	s_or_b32 exec_lo, exec_lo, s5
	s_wait_dscnt 0x1
	ds_bpermute_b32 v46, v38, v22
	s_wait_dscnt 0x1
	ds_bpermute_b32 v23, v38, v10
	s_mov_b32 s5, exec_lo
	v_cmpx_le_u32_e64 v39, v12
	s_cbranch_execz .LBB506_97
; %bb.96:                               ;   in Loop: Header=BB506_88 Depth=1
	s_wait_dscnt 0x1
	v_add_co_u32 v22, vcc_lo, v9, v46
	s_wait_alu 0xfffd
	v_add_co_ci_u32_e64 v10, null, 0, v10, vcc_lo
	s_delay_alu instid0(VALU_DEP_2) | instskip(SKIP_2) | instid1(VALU_DEP_2)
	v_add_co_u32 v9, vcc_lo, 0, v22
	s_wait_dscnt 0x0
	s_wait_alu 0xfffd
	v_add_co_ci_u32_e64 v10, null, v23, v10, vcc_lo
.LBB506_97:                             ;   in Loop: Header=BB506_88 Depth=1
	s_wait_alu 0xfffe
	s_or_b32 exec_lo, exec_lo, s5
	s_wait_dscnt 0x1
	ds_bpermute_b32 v46, v40, v22
	s_wait_dscnt 0x1
	ds_bpermute_b32 v23, v40, v10
	s_mov_b32 s5, exec_lo
	v_cmpx_le_u32_e64 v41, v12
	;; [unrolled: 20-line block ×3, first 2 shown]
	s_cbranch_execz .LBB506_101
; %bb.100:                              ;   in Loop: Header=BB506_88 Depth=1
	s_wait_dscnt 0x1
	v_add_co_u32 v22, vcc_lo, v9, v46
	s_wait_alu 0xfffd
	v_add_co_ci_u32_e64 v10, null, 0, v10, vcc_lo
	s_delay_alu instid0(VALU_DEP_2) | instskip(SKIP_2) | instid1(VALU_DEP_2)
	v_add_co_u32 v9, vcc_lo, 0, v22
	s_wait_dscnt 0x0
	s_wait_alu 0xfffd
	v_add_co_ci_u32_e64 v10, null, v23, v10, vcc_lo
.LBB506_101:                            ;   in Loop: Header=BB506_88 Depth=1
	s_wait_alu 0xfffe
	s_or_b32 exec_lo, exec_lo, s5
	s_wait_dscnt 0x0
	ds_bpermute_b32 v23, v44, v22
	ds_bpermute_b32 v22, v44, v10
	s_mov_b32 s5, exec_lo
	v_cmpx_le_u32_e64 v45, v12
	s_cbranch_execz .LBB506_86
; %bb.102:                              ;   in Loop: Header=BB506_88 Depth=1
	s_wait_dscnt 0x1
	v_add_co_u32 v9, vcc_lo, v9, v23
	s_wait_alu 0xfffd
	v_add_co_ci_u32_e64 v10, null, 0, v10, vcc_lo
	s_delay_alu instid0(VALU_DEP_2) | instskip(SKIP_2) | instid1(VALU_DEP_2)
	v_add_co_u32 v9, vcc_lo, v9, 0
	s_wait_dscnt 0x0
	s_wait_alu 0xfffd
	v_add_co_ci_u32_e64 v10, null, v10, v22, vcc_lo
	s_branch .LBB506_86
.LBB506_103:
                                        ; implicit-def: $vgpr7_vgpr8
                                        ; implicit-def: $vgpr36_vgpr37
	s_wait_alu 0xfffe
	s_and_b32 vcc_lo, exec_lo, s3
	s_wait_alu 0xfffe
	s_cbranch_vccnz .LBB506_109
	s_branch .LBB506_136
.LBB506_104:
	s_and_saveexec_b32 s5, s3
	s_cbranch_execz .LBB506_106
; %bb.105:
	s_add_co_i32 s8, ttmp9, 32
	s_mov_b32 s9, 0
	v_add_co_u32 v9, vcc_lo, v7, v5
	s_wait_alu 0xfffe
	s_lshl_b64 s[8:9], s[8:9], 4
	v_dual_mov_b32 v11, 2 :: v_dual_mov_b32 v12, 0
	s_wait_alu 0xfffe
	s_add_nc_u64 s[8:9], s[6:7], s[8:9]
	s_wait_alu 0xfffd
	v_add_co_ci_u32_e64 v10, null, v8, v6, vcc_lo
	s_wait_alu 0xfffe
	v_dual_mov_b32 v21, s9 :: v_dual_mov_b32 v20, s8
	;;#ASMSTART
	global_store_b128 v[20:21], v[9:12] off scope:SCOPE_DEV	
s_wait_storecnt 0x0
	;;#ASMEND
	ds_store_b128 v12, v[5:8] offset:13824
.LBB506_106:
	s_wait_alu 0xfffe
	s_or_b32 exec_lo, exec_lo, s5
	v_cmp_eq_u32_e32 vcc_lo, 0, v0
	s_and_b32 exec_lo, exec_lo, vcc_lo
; %bb.107:
	v_mov_b32_e32 v5, 0
	ds_store_b64 v5, v[7:8] offset:88
.LBB506_108:
	s_wait_alu 0xfffe
	s_or_b32 exec_lo, exec_lo, s4
	s_wait_dscnt 0x0
	v_cndmask_b32_e64 v12, v35, v19, s3
	v_cmp_ne_u32_e32 vcc_lo, 0, v0
	v_mov_b32_e32 v5, 0
	s_wait_loadcnt 0x0
	s_barrier_signal -1
	s_barrier_wait -1
	global_inv scope:SCOPE_SE
	s_wait_alu 0xfffd
	v_cndmask_b32_e32 v12, 0, v12, vcc_lo
	ds_load_b64 v[9:10], v5 offset:88
	s_wait_loadcnt_dscnt 0x0
	s_barrier_signal -1
	s_barrier_wait -1
	global_inv scope:SCOPE_SE
	ds_load_b128 v[5:8], v5 offset:13824
	v_cndmask_b32_e64 v11, v34, v18, s3
	s_delay_alu instid0(VALU_DEP_1) | instskip(NEXT) | instid1(VALU_DEP_1)
	v_cndmask_b32_e32 v11, 0, v11, vcc_lo
	v_add_co_u32 v36, vcc_lo, v9, v11
	s_wait_alu 0xfffd
	v_add_co_ci_u32_e64 v37, null, v10, v12, vcc_lo
	s_branch .LBB506_136
.LBB506_109:
	s_wait_dscnt 0x0
	v_dual_mov_b32 v6, 0 :: v_dual_mov_b32 v7, v16
	v_mov_b32_dpp v8, v16 row_shr:1 row_mask:0xf bank_mask:0xf
	s_delay_alu instid0(VALU_DEP_2)
	v_mov_b32_dpp v5, v6 row_shr:1 row_mask:0xf bank_mask:0xf
	s_and_saveexec_b32 s3, s2
; %bb.110:
	s_delay_alu instid0(VALU_DEP_2) | instskip(SKIP_2) | instid1(VALU_DEP_2)
	v_add_co_u32 v7, vcc_lo, v16, v8
	s_wait_alu 0xfffd
	v_add_co_ci_u32_e64 v6, null, 0, v17, vcc_lo
	v_add_co_u32 v16, vcc_lo, 0, v7
	s_wait_alu 0xfffd
	s_delay_alu instid0(VALU_DEP_2) | instskip(NEXT) | instid1(VALU_DEP_1)
	v_add_co_ci_u32_e64 v17, null, v5, v6, vcc_lo
	v_mov_b32_e32 v6, v17
; %bb.111:
	s_wait_alu 0xfffe
	s_or_b32 exec_lo, exec_lo, s3
	v_mov_b32_dpp v5, v7 row_shr:2 row_mask:0xf bank_mask:0xf
	s_delay_alu instid0(VALU_DEP_2)
	v_mov_b32_dpp v8, v6 row_shr:2 row_mask:0xf bank_mask:0xf
	v_cmp_lt_u32_e32 vcc_lo, 1, v33
	s_and_saveexec_b32 s4, vcc_lo
; %bb.112:
	s_delay_alu instid0(VALU_DEP_3) | instskip(SKIP_2) | instid1(VALU_DEP_2)
	v_add_co_u32 v7, s3, v16, v5
	s_wait_alu 0xf1ff
	v_add_co_ci_u32_e64 v6, null, 0, v17, s3
	v_add_co_u32 v5, s3, 0, v7
	s_wait_alu 0xf1ff
	s_delay_alu instid0(VALU_DEP_2) | instskip(NEXT) | instid1(VALU_DEP_1)
	v_add_co_ci_u32_e64 v6, null, v8, v6, s3
	v_dual_mov_b32 v17, v6 :: v_dual_mov_b32 v16, v5
; %bb.113:
	s_wait_alu 0xfffe
	s_or_b32 exec_lo, exec_lo, s4
	v_mov_b32_dpp v5, v7 row_shr:4 row_mask:0xf bank_mask:0xf
	v_mov_b32_dpp v8, v6 row_shr:4 row_mask:0xf bank_mask:0xf
	v_cmp_lt_u32_e64 s3, 3, v33
	s_and_saveexec_b32 s5, s3
; %bb.114:
	v_add_co_u32 v7, s4, v16, v5
	s_wait_alu 0xf1ff
	v_add_co_ci_u32_e64 v6, null, 0, v17, s4
	s_delay_alu instid0(VALU_DEP_2) | instskip(SKIP_1) | instid1(VALU_DEP_2)
	v_add_co_u32 v5, s4, 0, v7
	s_wait_alu 0xf1ff
	v_add_co_ci_u32_e64 v6, null, v8, v6, s4
	s_delay_alu instid0(VALU_DEP_1)
	v_dual_mov_b32 v17, v6 :: v_dual_mov_b32 v16, v5
; %bb.115:
	s_wait_alu 0xfffe
	s_or_b32 exec_lo, exec_lo, s5
	v_mov_b32_dpp v8, v7 row_shr:8 row_mask:0xf bank_mask:0xf
	v_mov_b32_dpp v5, v6 row_shr:8 row_mask:0xf bank_mask:0xf
	v_cmp_lt_u32_e64 s4, 7, v33
	s_and_saveexec_b32 s8, s4
; %bb.116:
	v_add_co_u32 v7, s5, v16, v8
	s_wait_alu 0xf1ff
	v_add_co_ci_u32_e64 v6, null, 0, v17, s5
	s_delay_alu instid0(VALU_DEP_2) | instskip(SKIP_1) | instid1(VALU_DEP_2)
	v_add_co_u32 v16, s5, 0, v7
	s_wait_alu 0xf1ff
	v_add_co_ci_u32_e64 v17, null, v5, v6, s5
	s_delay_alu instid0(VALU_DEP_1)
	v_mov_b32_e32 v6, v17
; %bb.117:
	s_wait_alu 0xfffe
	s_or_b32 exec_lo, exec_lo, s8
	ds_swizzle_b32 v7, v7 offset:swizzle(BROADCAST,32,15)
	ds_swizzle_b32 v5, v6 offset:swizzle(BROADCAST,32,15)
	v_and_b32_e32 v6, 16, v32
	s_mov_b32 s8, exec_lo
	s_delay_alu instid0(VALU_DEP_1)
	v_cmpx_ne_u32_e32 0, v6
	s_cbranch_execz .LBB506_119
; %bb.118:
	s_wait_dscnt 0x1
	v_add_co_u32 v6, s5, v16, v7
	s_wait_alu 0xf1ff
	v_add_co_ci_u32_e64 v7, null, 0, v17, s5
	s_delay_alu instid0(VALU_DEP_2) | instskip(SKIP_2) | instid1(VALU_DEP_2)
	v_add_co_u32 v16, s5, v6, 0
	s_wait_dscnt 0x0
	s_wait_alu 0xf1ff
	v_add_co_ci_u32_e64 v17, null, v7, v5, s5
.LBB506_119:
	s_wait_alu 0xfffe
	s_or_b32 exec_lo, exec_lo, s8
	s_wait_dscnt 0x0
	v_and_b32_e32 v5, 0x1e0, v0
	v_lshrrev_b32_e32 v7, 5, v0
	s_mov_b32 s8, exec_lo
	s_delay_alu instid0(VALU_DEP_2) | instskip(NEXT) | instid1(VALU_DEP_1)
	v_min_u32_e32 v5, 0x160, v5
	v_or_b32_e32 v5, 31, v5
	s_delay_alu instid0(VALU_DEP_1)
	v_cmpx_eq_u32_e64 v0, v5
; %bb.120:
	v_lshlrev_b32_e32 v5, 3, v7
	ds_store_b64 v5, v[16:17]
; %bb.121:
	s_wait_alu 0xfffe
	s_or_b32 exec_lo, exec_lo, s8
	s_delay_alu instid0(SALU_CYCLE_1)
	s_mov_b32 s8, exec_lo
	s_wait_loadcnt_dscnt 0x0
	s_barrier_signal -1
	s_barrier_wait -1
	global_inv scope:SCOPE_SE
	v_cmpx_gt_u32_e32 12, v0
	s_cbranch_execz .LBB506_131
; %bb.122:
	v_lshlrev_b32_e32 v8, 3, v0
	ds_load_b64 v[5:6], v8
	s_wait_dscnt 0x0
	v_mov_b32_dpp v11, v5 row_shr:1 row_mask:0xf bank_mask:0xf
	v_mov_b32_dpp v10, v6 row_shr:1 row_mask:0xf bank_mask:0xf
	v_mov_b32_e32 v9, v5
	s_and_saveexec_b32 s5, s2
; %bb.123:
	s_delay_alu instid0(VALU_DEP_3) | instskip(SKIP_2) | instid1(VALU_DEP_2)
	v_add_co_u32 v9, s2, v5, v11
	s_wait_alu 0xf1ff
	v_add_co_ci_u32_e64 v6, null, 0, v6, s2
	v_add_co_u32 v5, s2, 0, v9
	s_wait_alu 0xf1ff
	s_delay_alu instid0(VALU_DEP_2)
	v_add_co_ci_u32_e64 v6, null, v10, v6, s2
; %bb.124:
	s_wait_alu 0xfffe
	s_or_b32 exec_lo, exec_lo, s5
	v_mov_b32_dpp v11, v9 row_shr:2 row_mask:0xf bank_mask:0xf
	s_delay_alu instid0(VALU_DEP_2)
	v_mov_b32_dpp v10, v6 row_shr:2 row_mask:0xf bank_mask:0xf
	s_and_saveexec_b32 s2, vcc_lo
; %bb.125:
	s_delay_alu instid0(VALU_DEP_2) | instskip(SKIP_2) | instid1(VALU_DEP_2)
	v_add_co_u32 v9, vcc_lo, v5, v11
	s_wait_alu 0xfffd
	v_add_co_ci_u32_e64 v6, null, 0, v6, vcc_lo
	v_add_co_u32 v5, vcc_lo, 0, v9
	s_wait_alu 0xfffd
	s_delay_alu instid0(VALU_DEP_2)
	v_add_co_ci_u32_e64 v6, null, v10, v6, vcc_lo
; %bb.126:
	s_wait_alu 0xfffe
	s_or_b32 exec_lo, exec_lo, s2
	v_mov_b32_dpp v11, v9 row_shr:4 row_mask:0xf bank_mask:0xf
	s_delay_alu instid0(VALU_DEP_2)
	v_mov_b32_dpp v10, v6 row_shr:4 row_mask:0xf bank_mask:0xf
	s_and_saveexec_b32 s2, s3
; %bb.127:
	s_delay_alu instid0(VALU_DEP_2) | instskip(SKIP_2) | instid1(VALU_DEP_2)
	v_add_co_u32 v9, vcc_lo, v5, v11
	s_wait_alu 0xfffd
	v_add_co_ci_u32_e64 v6, null, 0, v6, vcc_lo
	v_add_co_u32 v5, vcc_lo, 0, v9
	s_wait_alu 0xfffd
	s_delay_alu instid0(VALU_DEP_2)
	v_add_co_ci_u32_e64 v6, null, v10, v6, vcc_lo
; %bb.128:
	s_wait_alu 0xfffe
	s_or_b32 exec_lo, exec_lo, s2
	v_mov_b32_dpp v10, v9 row_shr:8 row_mask:0xf bank_mask:0xf
	s_delay_alu instid0(VALU_DEP_2)
	v_mov_b32_dpp v9, v6 row_shr:8 row_mask:0xf bank_mask:0xf
	s_and_saveexec_b32 s2, s4
; %bb.129:
	s_delay_alu instid0(VALU_DEP_2) | instskip(SKIP_2) | instid1(VALU_DEP_2)
	v_add_co_u32 v5, vcc_lo, v5, v10
	s_wait_alu 0xfffd
	v_add_co_ci_u32_e64 v6, null, 0, v6, vcc_lo
	v_add_co_u32 v5, vcc_lo, v5, 0
	s_wait_alu 0xfffd
	s_delay_alu instid0(VALU_DEP_2)
	v_add_co_ci_u32_e64 v6, null, v6, v9, vcc_lo
; %bb.130:
	s_wait_alu 0xfffe
	s_or_b32 exec_lo, exec_lo, s2
	ds_store_b64 v8, v[5:6]
.LBB506_131:
	s_wait_alu 0xfffe
	s_or_b32 exec_lo, exec_lo, s8
	v_mov_b32_e32 v9, 0
	v_mov_b32_e32 v10, 0
	s_mov_b32 s2, exec_lo
	s_wait_loadcnt_dscnt 0x0
	s_barrier_signal -1
	s_barrier_wait -1
	global_inv scope:SCOPE_SE
	v_cmpx_lt_u32_e32 31, v0
; %bb.132:
	v_lshl_add_u32 v5, v7, 3, -8
	ds_load_b64 v[9:10], v5
; %bb.133:
	s_wait_alu 0xfffe
	s_or_b32 exec_lo, exec_lo, s2
	v_sub_co_u32 v5, vcc_lo, v32, 1
	v_mov_b32_e32 v8, 0
	s_delay_alu instid0(VALU_DEP_2) | instskip(SKIP_1) | instid1(VALU_DEP_1)
	v_cmp_gt_i32_e64 s2, 0, v5
	s_wait_alu 0xf1ff
	v_cndmask_b32_e64 v5, v5, v32, s2
	s_wait_dscnt 0x0
	v_add_co_u32 v6, s2, v9, v16
	s_wait_alu 0xf1ff
	v_add_co_ci_u32_e64 v7, null, v10, v17, s2
	v_lshlrev_b32_e32 v5, 2, v5
	v_cmp_eq_u32_e64 s2, 0, v0
	ds_bpermute_b32 v11, v5, v6
	ds_bpermute_b32 v12, v5, v7
	ds_load_b64 v[5:6], v8 offset:88
	s_and_saveexec_b32 s3, s2
	s_cbranch_execz .LBB506_135
; %bb.134:
	s_wait_kmcnt 0x0
	s_add_nc_u64 s[4:5], s[6:7], 0x200
	v_mov_b32_e32 v7, 2
	s_wait_alu 0xfffe
	v_dual_mov_b32 v17, s5 :: v_dual_mov_b32 v16, s4
	s_wait_dscnt 0x0
	;;#ASMSTART
	global_store_b128 v[16:17], v[5:8] off scope:SCOPE_DEV	
s_wait_storecnt 0x0
	;;#ASMEND
.LBB506_135:
	s_wait_alu 0xfffe
	s_or_b32 exec_lo, exec_lo, s3
	s_wait_dscnt 0x1
	s_wait_alu 0xfffd
	v_dual_cndmask_b32 v10, v12, v10 :: v_dual_cndmask_b32 v9, v11, v9
	v_mov_b32_e32 v7, 0
	v_mov_b32_e32 v8, 0
	s_wait_loadcnt_dscnt 0x0
	s_delay_alu instid0(VALU_DEP_3)
	v_cndmask_b32_e64 v37, v10, 0, s2
	v_cndmask_b32_e64 v36, v9, 0, s2
	s_barrier_signal -1
	s_barrier_wait -1
	global_inv scope:SCOPE_SE
.LBB506_136:
	s_delay_alu instid0(VALU_DEP_2) | instskip(SKIP_1) | instid1(VALU_DEP_2)
	v_add_co_u32 v46, vcc_lo, v36, v25
	s_wait_alu 0xfffd
	v_add_co_ci_u32_e64 v47, null, 0, v37, vcc_lo
	s_load_b64 s[2:3], s[0:1], 0x28
	v_add_co_u32 v44, vcc_lo, v46, v24
	s_wait_alu 0xfffd
	v_add_co_ci_u32_e64 v45, null, 0, v47, vcc_lo
	v_lshrrev_b32_e32 v69, 16, v57
	s_delay_alu instid0(VALU_DEP_3) | instskip(SKIP_1) | instid1(VALU_DEP_3)
	v_add_co_u32 v42, vcc_lo, v44, v31
	s_wait_alu 0xfffd
	v_add_co_ci_u32_e64 v43, null, 0, v45, vcc_lo
	v_lshrrev_b32_e32 v70, 8, v57
	s_delay_alu instid0(VALU_DEP_3) | instskip(SKIP_1) | instid1(VALU_DEP_3)
	;; [unrolled: 5-line block ×8, first 2 shown]
	v_add_co_u32 v26, vcc_lo, v28, v26
	s_wait_alu 0xfffd
	v_add_co_ci_u32_e64 v27, null, 0, v29, vcc_lo
	s_mov_b32 s1, -1
	v_add_co_u32 v24, vcc_lo, v26, v64
	s_wait_alu 0xfffd
	v_add_co_ci_u32_e64 v25, null, 0, v27, vcc_lo
	s_delay_alu instid0(VALU_DEP_2) | instskip(SKIP_1) | instid1(VALU_DEP_2)
	v_add_co_u32 v22, vcc_lo, v24, v58
	s_wait_alu 0xfffd
	v_add_co_ci_u32_e64 v23, null, 0, v25, vcc_lo
	s_delay_alu instid0(VALU_DEP_2) | instskip(SKIP_1) | instid1(VALU_DEP_2)
	;; [unrolled: 4-line block ×3, first 2 shown]
	v_add_co_u32 v16, vcc_lo, v20, v62
	s_wait_alu 0xfffd
	v_add_co_ci_u32_e64 v17, null, 0, v21, vcc_lo
	s_wait_dscnt 0x0
	v_cmp_gt_u64_e32 vcc_lo, 0x181, v[5:6]
	v_add_co_u32 v18, s0, v16, v61
	s_wait_alu 0xf1ff
	v_add_co_ci_u32_e64 v19, null, 0, v17, s0
	v_and_b32_e32 v61, 1, v48
	s_delay_alu instid0(VALU_DEP_3) | instskip(SKIP_1) | instid1(VALU_DEP_3)
	v_add_co_u32 v11, s0, v18, v56
	s_wait_alu 0xf1ff
	v_add_co_ci_u32_e64 v12, null, 0, v19, s0
	s_delay_alu instid0(VALU_DEP_2) | instskip(SKIP_1) | instid1(VALU_DEP_2)
	v_add_co_u32 v9, s0, v11, v49
	s_wait_alu 0xf1ff
	v_add_co_ci_u32_e64 v10, null, 0, v12, s0
	v_cmp_eq_u32_e64 s0, 1, v61
	s_cbranch_vccnz .LBB506_140
; %bb.137:
	s_wait_alu 0xfffe
	s_and_b32 vcc_lo, exec_lo, s1
	s_wait_alu 0xfffe
	s_cbranch_vccnz .LBB506_177
.LBB506_138:
	v_cmp_eq_u32_e32 vcc_lo, 0, v0
	s_and_b32 s0, vcc_lo, s24
	s_wait_alu 0xfffe
	s_and_saveexec_b32 s1, s0
	s_cbranch_execnz .LBB506_216
.LBB506_139:
	s_endpgm
.LBB506_140:
	v_add_co_u32 v48, vcc_lo, v7, v5
	s_wait_alu 0xfffd
	v_add_co_ci_u32_e64 v49, null, v8, v6, vcc_lo
	s_wait_kmcnt 0x0
	s_lshl_b64 s[4:5], s[22:23], 1
	s_wait_alu 0xfffe
	s_add_nc_u64 s[4:5], s[2:3], s[4:5]
	v_cmp_lt_u64_e32 vcc_lo, v[36:37], v[48:49]
	s_or_b32 s1, s25, vcc_lo
	s_wait_alu 0xfffe
	s_and_b32 s1, s1, s0
	s_wait_alu 0xfffe
	s_and_saveexec_b32 s0, s1
	s_cbranch_execz .LBB506_142
; %bb.141:
	v_lshlrev_b64_e32 v[62:63], 1, v[36:37]
	s_delay_alu instid0(VALU_DEP_1) | instskip(SKIP_1) | instid1(VALU_DEP_2)
	v_add_co_u32 v62, vcc_lo, s4, v62
	s_wait_alu 0xfffd
	v_add_co_ci_u32_e64 v63, null, s5, v63, vcc_lo
	global_store_b16 v[62:63], v52, off
.LBB506_142:
	s_wait_alu 0xfffe
	s_or_b32 exec_lo, exec_lo, s0
	v_and_b32_e32 v37, 1, v72
	v_cmp_lt_u64_e32 vcc_lo, v[46:47], v[48:49]
	s_delay_alu instid0(VALU_DEP_2)
	v_cmp_eq_u32_e64 s0, 1, v37
	s_or_b32 s1, s25, vcc_lo
	s_wait_alu 0xfffe
	s_and_b32 s1, s1, s0
	s_wait_alu 0xfffe
	s_and_saveexec_b32 s0, s1
	s_cbranch_execz .LBB506_144
; %bb.143:
	v_lshlrev_b64_e32 v[62:63], 1, v[46:47]
	s_delay_alu instid0(VALU_DEP_1) | instskip(SKIP_1) | instid1(VALU_DEP_2)
	v_add_co_u32 v62, vcc_lo, s4, v62
	s_wait_alu 0xfffd
	v_add_co_ci_u32_e64 v63, null, s5, v63, vcc_lo
	global_store_d16_hi_b16 v[62:63], v52, off
.LBB506_144:
	s_wait_alu 0xfffe
	s_or_b32 exec_lo, exec_lo, s0
	v_and_b32_e32 v37, 1, v71
	v_cmp_lt_u64_e32 vcc_lo, v[44:45], v[48:49]
	s_delay_alu instid0(VALU_DEP_2)
	v_cmp_eq_u32_e64 s0, 1, v37
	s_or_b32 s1, s25, vcc_lo
	s_wait_alu 0xfffe
	s_and_b32 s1, s1, s0
	s_wait_alu 0xfffe
	s_and_saveexec_b32 s0, s1
	s_cbranch_execz .LBB506_146
; %bb.145:
	v_lshlrev_b64_e32 v[62:63], 1, v[44:45]
	s_delay_alu instid0(VALU_DEP_1) | instskip(SKIP_1) | instid1(VALU_DEP_2)
	v_add_co_u32 v62, vcc_lo, s4, v62
	s_wait_alu 0xfffd
	v_add_co_ci_u32_e64 v63, null, s5, v63, vcc_lo
	global_store_b16 v[62:63], v51, off
.LBB506_146:
	s_wait_alu 0xfffe
	s_or_b32 exec_lo, exec_lo, s0
	v_and_b32_e32 v37, 1, v60
	v_cmp_lt_u64_e32 vcc_lo, v[42:43], v[48:49]
	s_delay_alu instid0(VALU_DEP_2)
	v_cmp_eq_u32_e64 s0, 1, v37
	s_or_b32 s1, s25, vcc_lo
	s_wait_alu 0xfffe
	s_and_b32 s1, s1, s0
	s_wait_alu 0xfffe
	s_and_saveexec_b32 s0, s1
	s_cbranch_execz .LBB506_148
; %bb.147:
	v_lshlrev_b64_e32 v[62:63], 1, v[42:43]
	s_delay_alu instid0(VALU_DEP_1) | instskip(SKIP_1) | instid1(VALU_DEP_2)
	v_add_co_u32 v62, vcc_lo, s4, v62
	s_wait_alu 0xfffd
	v_add_co_ci_u32_e64 v63, null, s5, v63, vcc_lo
	global_store_b16 v[62:63], v1, off
.LBB506_148:
	s_wait_alu 0xfffe
	s_or_b32 exec_lo, exec_lo, s0
	v_and_b32_e32 v37, 1, v57
	v_cmp_lt_u64_e32 vcc_lo, v[40:41], v[48:49]
	s_delay_alu instid0(VALU_DEP_2)
	v_cmp_eq_u32_e64 s0, 1, v37
	s_or_b32 s1, s25, vcc_lo
	s_wait_alu 0xfffe
	s_and_b32 s1, s1, s0
	s_wait_alu 0xfffe
	s_and_saveexec_b32 s0, s1
	s_cbranch_execz .LBB506_150
; %bb.149:
	v_lshlrev_b64_e32 v[62:63], 1, v[40:41]
	s_delay_alu instid0(VALU_DEP_1) | instskip(SKIP_1) | instid1(VALU_DEP_2)
	v_add_co_u32 v62, vcc_lo, s4, v62
	s_wait_alu 0xfffd
	v_add_co_ci_u32_e64 v63, null, s5, v63, vcc_lo
	global_store_d16_hi_b16 v[62:63], v1, off
.LBB506_150:
	s_wait_alu 0xfffe
	s_or_b32 exec_lo, exec_lo, s0
	v_and_b32_e32 v37, 1, v70
	v_cmp_lt_u64_e32 vcc_lo, v[38:39], v[48:49]
	s_delay_alu instid0(VALU_DEP_2)
	v_cmp_eq_u32_e64 s0, 1, v37
	s_or_b32 s1, s25, vcc_lo
	s_wait_alu 0xfffe
	s_and_b32 s1, s1, s0
	s_wait_alu 0xfffe
	s_and_saveexec_b32 s0, s1
	s_cbranch_execz .LBB506_152
; %bb.151:
	v_lshlrev_b64_e32 v[62:63], 1, v[38:39]
	s_delay_alu instid0(VALU_DEP_1) | instskip(SKIP_1) | instid1(VALU_DEP_2)
	v_add_co_u32 v62, vcc_lo, s4, v62
	s_wait_alu 0xfffd
	v_add_co_ci_u32_e64 v63, null, s5, v63, vcc_lo
	global_store_b16 v[62:63], v2, off
.LBB506_152:
	s_wait_alu 0xfffe
	s_or_b32 exec_lo, exec_lo, s0
	v_and_b32_e32 v37, 1, v69
	v_cmp_lt_u64_e32 vcc_lo, v[34:35], v[48:49]
	s_delay_alu instid0(VALU_DEP_2)
	v_cmp_eq_u32_e64 s0, 1, v37
	s_or_b32 s1, s25, vcc_lo
	s_wait_alu 0xfffe
	s_and_b32 s1, s1, s0
	s_wait_alu 0xfffe
	s_and_saveexec_b32 s0, s1
	s_cbranch_execz .LBB506_154
; %bb.153:
	v_lshlrev_b64_e32 v[62:63], 1, v[34:35]
	s_delay_alu instid0(VALU_DEP_1) | instskip(SKIP_1) | instid1(VALU_DEP_2)
	v_add_co_u32 v62, vcc_lo, s4, v62
	s_wait_alu 0xfffd
	v_add_co_ci_u32_e64 v63, null, s5, v63, vcc_lo
	global_store_d16_hi_b16 v[62:63], v2, off
.LBB506_154:
	;; [unrolled: 40-line block ×7, first 2 shown]
	s_wait_alu 0xfffe
	s_or_b32 exec_lo, exec_lo, s0
	v_cmp_lt_u64_e32 vcc_lo, v[9:10], v[48:49]
	s_or_b32 s0, s25, vcc_lo
	s_wait_alu 0xfffe
	s_and_b32 s1, s0, s26
	s_wait_alu 0xfffe
	s_and_saveexec_b32 s0, s1
	s_cbranch_execz .LBB506_176
; %bb.175:
	v_lshlrev_b64_e32 v[47:48], 1, v[9:10]
	s_delay_alu instid0(VALU_DEP_1) | instskip(SKIP_1) | instid1(VALU_DEP_2)
	v_add_co_u32 v47, vcc_lo, s4, v47
	s_wait_alu 0xfffd
	v_add_co_ci_u32_e64 v48, null, s5, v48, vcc_lo
	global_store_b16 v[47:48], v50, off
.LBB506_176:
	s_wait_alu 0xfffe
	s_or_b32 exec_lo, exec_lo, s0
	s_branch .LBB506_138
.LBB506_177:
	s_mov_b32 s0, exec_lo
	v_cmpx_eq_u32_e32 1, v61
; %bb.178:
	v_sub_nc_u32_e32 v10, v36, v7
	s_delay_alu instid0(VALU_DEP_1)
	v_lshlrev_b32_e32 v10, 1, v10
	ds_store_b16 v10, v52
; %bb.179:
	s_wait_alu 0xfffe
	s_or_b32 exec_lo, exec_lo, s0
	v_and_b32_e32 v10, 1, v72
	s_mov_b32 s0, exec_lo
	s_delay_alu instid0(VALU_DEP_1)
	v_cmpx_eq_u32_e32 1, v10
; %bb.180:
	v_sub_nc_u32_e32 v10, v46, v7
	s_delay_alu instid0(VALU_DEP_1)
	v_lshlrev_b32_e32 v10, 1, v10
	ds_store_b16_d16_hi v10, v52
; %bb.181:
	s_wait_alu 0xfffe
	s_or_b32 exec_lo, exec_lo, s0
	v_and_b32_e32 v10, 1, v71
	s_mov_b32 s0, exec_lo
	s_delay_alu instid0(VALU_DEP_1)
	v_cmpx_eq_u32_e32 1, v10
; %bb.182:
	v_sub_nc_u32_e32 v10, v44, v7
	s_delay_alu instid0(VALU_DEP_1)
	v_lshlrev_b32_e32 v10, 1, v10
	ds_store_b16 v10, v51
; %bb.183:
	s_wait_alu 0xfffe
	s_or_b32 exec_lo, exec_lo, s0
	v_and_b32_e32 v10, 1, v60
	s_mov_b32 s0, exec_lo
	s_delay_alu instid0(VALU_DEP_1)
	v_cmpx_eq_u32_e32 1, v10
; %bb.184:
	v_sub_nc_u32_e32 v10, v42, v7
	s_delay_alu instid0(VALU_DEP_1)
	v_lshlrev_b32_e32 v10, 1, v10
	ds_store_b16 v10, v1
; %bb.185:
	s_wait_alu 0xfffe
	s_or_b32 exec_lo, exec_lo, s0
	v_and_b32_e32 v10, 1, v57
	s_mov_b32 s0, exec_lo
	s_delay_alu instid0(VALU_DEP_1)
	v_cmpx_eq_u32_e32 1, v10
; %bb.186:
	v_sub_nc_u32_e32 v10, v40, v7
	s_delay_alu instid0(VALU_DEP_1)
	v_lshlrev_b32_e32 v10, 1, v10
	ds_store_b16_d16_hi v10, v1
; %bb.187:
	s_wait_alu 0xfffe
	s_or_b32 exec_lo, exec_lo, s0
	v_and_b32_e32 v1, 1, v70
	s_mov_b32 s0, exec_lo
	s_delay_alu instid0(VALU_DEP_1)
	v_cmpx_eq_u32_e32 1, v1
; %bb.188:
	v_sub_nc_u32_e32 v1, v38, v7
	s_delay_alu instid0(VALU_DEP_1)
	v_lshlrev_b32_e32 v1, 1, v1
	ds_store_b16 v1, v2
; %bb.189:
	s_wait_alu 0xfffe
	s_or_b32 exec_lo, exec_lo, s0
	v_and_b32_e32 v1, 1, v69
	s_mov_b32 s0, exec_lo
	s_delay_alu instid0(VALU_DEP_1)
	v_cmpx_eq_u32_e32 1, v1
; %bb.190:
	v_sub_nc_u32_e32 v1, v34, v7
	s_delay_alu instid0(VALU_DEP_1)
	v_lshlrev_b32_e32 v1, 1, v1
	ds_store_b16_d16_hi v1, v2
	;; [unrolled: 24-line block ×7, first 2 shown]
; %bb.211:
	s_wait_alu 0xfffe
	s_or_b32 exec_lo, exec_lo, s0
	s_and_saveexec_b32 s0, s26
; %bb.212:
	v_sub_nc_u32_e32 v1, v9, v7
	s_delay_alu instid0(VALU_DEP_1)
	v_lshlrev_b32_e32 v1, 1, v1
	ds_store_b16 v1, v50
; %bb.213:
	s_wait_alu 0xfffe
	s_or_b32 exec_lo, exec_lo, s0
	v_dual_mov_b32 v3, 0 :: v_dual_add_nc_u32 v2, 0x180, v0
	v_lshlrev_b64_e32 v[9:10], 1, v[7:8]
	s_wait_kmcnt 0x0
	s_lshl_b64 s[0:1], s[22:23], 1
	s_wait_storecnt 0x0
	s_wait_loadcnt_dscnt 0x0
	v_mov_b32_e32 v1, v3
	s_wait_alu 0xfffe
	s_add_nc_u64 s[0:1], s[2:3], s[0:1]
	s_barrier_signal -1
	s_wait_alu 0xfffe
	v_add_co_u32 v4, vcc_lo, s0, v9
	s_wait_alu 0xfffd
	v_add_co_ci_u32_e64 v11, null, s1, v10, vcc_lo
	v_dual_mov_b32 v10, v1 :: v_dual_mov_b32 v9, v0
	s_mov_b32 s1, 0
	s_barrier_wait -1
	global_inv scope:SCOPE_SE
.LBB506_214:                            ; =>This Inner Loop Header: Depth=1
	v_lshlrev_b32_e32 v1, 1, v9
	v_lshlrev_b64_e32 v[12:13], 1, v[9:10]
	v_mov_b32_e32 v10, v3
	v_cmp_le_u64_e32 vcc_lo, v[5:6], v[2:3]
	v_dual_mov_b32 v9, v2 :: v_dual_add_nc_u32 v2, 0x180, v2
	ds_load_u16 v1, v1
	v_add_co_u32 v12, s0, v4, v12
	s_wait_alu 0xf1ff
	v_add_co_ci_u32_e64 v13, null, v11, v13, s0
	s_wait_alu 0xfffe
	s_or_b32 s1, vcc_lo, s1
	s_wait_dscnt 0x0
	global_store_b16 v[12:13], v1, off
	s_wait_alu 0xfffe
	s_and_not1_b32 exec_lo, exec_lo, s1
	s_cbranch_execnz .LBB506_214
; %bb.215:
	s_or_b32 exec_lo, exec_lo, s1
	v_cmp_eq_u32_e32 vcc_lo, 0, v0
	s_and_b32 s0, vcc_lo, s24
	s_wait_alu 0xfffe
	s_and_saveexec_b32 s1, s0
	s_cbranch_execz .LBB506_139
.LBB506_216:
	v_add_co_u32 v0, vcc_lo, v7, v5
	s_wait_alu 0xfffd
	v_add_co_ci_u32_e64 v1, null, v8, v6, vcc_lo
	v_mov_b32_e32 v2, 0
	s_wait_kmcnt 0x0
	v_add_co_u32 v0, vcc_lo, v0, s22
	s_wait_alu 0xfffd
	v_add_co_ci_u32_e64 v1, null, s23, v1, vcc_lo
	global_store_b64 v2, v[0:1], s[20:21]
	s_endpgm
	.section	.rodata,"a",@progbits
	.p2align	6, 0x0
	.amdhsa_kernel _ZN7rocprim17ROCPRIM_400000_NS6detail17trampoline_kernelINS0_14default_configENS1_25partition_config_selectorILNS1_17partition_subalgoE6EsNS0_10empty_typeEbEEZZNS1_14partition_implILS5_6ELb0ES3_mN6thrust23THRUST_200600_302600_NS6detail15normal_iteratorINSA_10device_ptrIsEEEEPS6_SG_NS0_5tupleIJSF_S6_EEENSH_IJSG_SG_EEES6_PlJNSB_9not_fun_tINSB_14equal_to_valueIsEEEEEEE10hipError_tPvRmT3_T4_T5_T6_T7_T9_mT8_P12ihipStream_tbDpT10_ENKUlT_T0_E_clISt17integral_constantIbLb0EES18_EEDaS13_S14_EUlS13_E_NS1_11comp_targetILNS1_3genE10ELNS1_11target_archE1200ELNS1_3gpuE4ELNS1_3repE0EEENS1_30default_config_static_selectorELNS0_4arch9wavefront6targetE0EEEvT1_
		.amdhsa_group_segment_fixed_size 13840
		.amdhsa_private_segment_fixed_size 0
		.amdhsa_kernarg_size 112
		.amdhsa_user_sgpr_count 2
		.amdhsa_user_sgpr_dispatch_ptr 0
		.amdhsa_user_sgpr_queue_ptr 0
		.amdhsa_user_sgpr_kernarg_segment_ptr 1
		.amdhsa_user_sgpr_dispatch_id 0
		.amdhsa_user_sgpr_private_segment_size 0
		.amdhsa_wavefront_size32 1
		.amdhsa_uses_dynamic_stack 0
		.amdhsa_enable_private_segment 0
		.amdhsa_system_sgpr_workgroup_id_x 1
		.amdhsa_system_sgpr_workgroup_id_y 0
		.amdhsa_system_sgpr_workgroup_id_z 0
		.amdhsa_system_sgpr_workgroup_info 0
		.amdhsa_system_vgpr_workitem_id 0
		.amdhsa_next_free_vgpr 73
		.amdhsa_next_free_sgpr 28
		.amdhsa_reserve_vcc 1
		.amdhsa_float_round_mode_32 0
		.amdhsa_float_round_mode_16_64 0
		.amdhsa_float_denorm_mode_32 3
		.amdhsa_float_denorm_mode_16_64 3
		.amdhsa_fp16_overflow 0
		.amdhsa_workgroup_processor_mode 1
		.amdhsa_memory_ordered 1
		.amdhsa_forward_progress 1
		.amdhsa_inst_pref_size 91
		.amdhsa_round_robin_scheduling 0
		.amdhsa_exception_fp_ieee_invalid_op 0
		.amdhsa_exception_fp_denorm_src 0
		.amdhsa_exception_fp_ieee_div_zero 0
		.amdhsa_exception_fp_ieee_overflow 0
		.amdhsa_exception_fp_ieee_underflow 0
		.amdhsa_exception_fp_ieee_inexact 0
		.amdhsa_exception_int_div_zero 0
	.end_amdhsa_kernel
	.section	.text._ZN7rocprim17ROCPRIM_400000_NS6detail17trampoline_kernelINS0_14default_configENS1_25partition_config_selectorILNS1_17partition_subalgoE6EsNS0_10empty_typeEbEEZZNS1_14partition_implILS5_6ELb0ES3_mN6thrust23THRUST_200600_302600_NS6detail15normal_iteratorINSA_10device_ptrIsEEEEPS6_SG_NS0_5tupleIJSF_S6_EEENSH_IJSG_SG_EEES6_PlJNSB_9not_fun_tINSB_14equal_to_valueIsEEEEEEE10hipError_tPvRmT3_T4_T5_T6_T7_T9_mT8_P12ihipStream_tbDpT10_ENKUlT_T0_E_clISt17integral_constantIbLb0EES18_EEDaS13_S14_EUlS13_E_NS1_11comp_targetILNS1_3genE10ELNS1_11target_archE1200ELNS1_3gpuE4ELNS1_3repE0EEENS1_30default_config_static_selectorELNS0_4arch9wavefront6targetE0EEEvT1_,"axG",@progbits,_ZN7rocprim17ROCPRIM_400000_NS6detail17trampoline_kernelINS0_14default_configENS1_25partition_config_selectorILNS1_17partition_subalgoE6EsNS0_10empty_typeEbEEZZNS1_14partition_implILS5_6ELb0ES3_mN6thrust23THRUST_200600_302600_NS6detail15normal_iteratorINSA_10device_ptrIsEEEEPS6_SG_NS0_5tupleIJSF_S6_EEENSH_IJSG_SG_EEES6_PlJNSB_9not_fun_tINSB_14equal_to_valueIsEEEEEEE10hipError_tPvRmT3_T4_T5_T6_T7_T9_mT8_P12ihipStream_tbDpT10_ENKUlT_T0_E_clISt17integral_constantIbLb0EES18_EEDaS13_S14_EUlS13_E_NS1_11comp_targetILNS1_3genE10ELNS1_11target_archE1200ELNS1_3gpuE4ELNS1_3repE0EEENS1_30default_config_static_selectorELNS0_4arch9wavefront6targetE0EEEvT1_,comdat
.Lfunc_end506:
	.size	_ZN7rocprim17ROCPRIM_400000_NS6detail17trampoline_kernelINS0_14default_configENS1_25partition_config_selectorILNS1_17partition_subalgoE6EsNS0_10empty_typeEbEEZZNS1_14partition_implILS5_6ELb0ES3_mN6thrust23THRUST_200600_302600_NS6detail15normal_iteratorINSA_10device_ptrIsEEEEPS6_SG_NS0_5tupleIJSF_S6_EEENSH_IJSG_SG_EEES6_PlJNSB_9not_fun_tINSB_14equal_to_valueIsEEEEEEE10hipError_tPvRmT3_T4_T5_T6_T7_T9_mT8_P12ihipStream_tbDpT10_ENKUlT_T0_E_clISt17integral_constantIbLb0EES18_EEDaS13_S14_EUlS13_E_NS1_11comp_targetILNS1_3genE10ELNS1_11target_archE1200ELNS1_3gpuE4ELNS1_3repE0EEENS1_30default_config_static_selectorELNS0_4arch9wavefront6targetE0EEEvT1_, .Lfunc_end506-_ZN7rocprim17ROCPRIM_400000_NS6detail17trampoline_kernelINS0_14default_configENS1_25partition_config_selectorILNS1_17partition_subalgoE6EsNS0_10empty_typeEbEEZZNS1_14partition_implILS5_6ELb0ES3_mN6thrust23THRUST_200600_302600_NS6detail15normal_iteratorINSA_10device_ptrIsEEEEPS6_SG_NS0_5tupleIJSF_S6_EEENSH_IJSG_SG_EEES6_PlJNSB_9not_fun_tINSB_14equal_to_valueIsEEEEEEE10hipError_tPvRmT3_T4_T5_T6_T7_T9_mT8_P12ihipStream_tbDpT10_ENKUlT_T0_E_clISt17integral_constantIbLb0EES18_EEDaS13_S14_EUlS13_E_NS1_11comp_targetILNS1_3genE10ELNS1_11target_archE1200ELNS1_3gpuE4ELNS1_3repE0EEENS1_30default_config_static_selectorELNS0_4arch9wavefront6targetE0EEEvT1_
                                        ; -- End function
	.set _ZN7rocprim17ROCPRIM_400000_NS6detail17trampoline_kernelINS0_14default_configENS1_25partition_config_selectorILNS1_17partition_subalgoE6EsNS0_10empty_typeEbEEZZNS1_14partition_implILS5_6ELb0ES3_mN6thrust23THRUST_200600_302600_NS6detail15normal_iteratorINSA_10device_ptrIsEEEEPS6_SG_NS0_5tupleIJSF_S6_EEENSH_IJSG_SG_EEES6_PlJNSB_9not_fun_tINSB_14equal_to_valueIsEEEEEEE10hipError_tPvRmT3_T4_T5_T6_T7_T9_mT8_P12ihipStream_tbDpT10_ENKUlT_T0_E_clISt17integral_constantIbLb0EES18_EEDaS13_S14_EUlS13_E_NS1_11comp_targetILNS1_3genE10ELNS1_11target_archE1200ELNS1_3gpuE4ELNS1_3repE0EEENS1_30default_config_static_selectorELNS0_4arch9wavefront6targetE0EEEvT1_.num_vgpr, 73
	.set _ZN7rocprim17ROCPRIM_400000_NS6detail17trampoline_kernelINS0_14default_configENS1_25partition_config_selectorILNS1_17partition_subalgoE6EsNS0_10empty_typeEbEEZZNS1_14partition_implILS5_6ELb0ES3_mN6thrust23THRUST_200600_302600_NS6detail15normal_iteratorINSA_10device_ptrIsEEEEPS6_SG_NS0_5tupleIJSF_S6_EEENSH_IJSG_SG_EEES6_PlJNSB_9not_fun_tINSB_14equal_to_valueIsEEEEEEE10hipError_tPvRmT3_T4_T5_T6_T7_T9_mT8_P12ihipStream_tbDpT10_ENKUlT_T0_E_clISt17integral_constantIbLb0EES18_EEDaS13_S14_EUlS13_E_NS1_11comp_targetILNS1_3genE10ELNS1_11target_archE1200ELNS1_3gpuE4ELNS1_3repE0EEENS1_30default_config_static_selectorELNS0_4arch9wavefront6targetE0EEEvT1_.num_agpr, 0
	.set _ZN7rocprim17ROCPRIM_400000_NS6detail17trampoline_kernelINS0_14default_configENS1_25partition_config_selectorILNS1_17partition_subalgoE6EsNS0_10empty_typeEbEEZZNS1_14partition_implILS5_6ELb0ES3_mN6thrust23THRUST_200600_302600_NS6detail15normal_iteratorINSA_10device_ptrIsEEEEPS6_SG_NS0_5tupleIJSF_S6_EEENSH_IJSG_SG_EEES6_PlJNSB_9not_fun_tINSB_14equal_to_valueIsEEEEEEE10hipError_tPvRmT3_T4_T5_T6_T7_T9_mT8_P12ihipStream_tbDpT10_ENKUlT_T0_E_clISt17integral_constantIbLb0EES18_EEDaS13_S14_EUlS13_E_NS1_11comp_targetILNS1_3genE10ELNS1_11target_archE1200ELNS1_3gpuE4ELNS1_3repE0EEENS1_30default_config_static_selectorELNS0_4arch9wavefront6targetE0EEEvT1_.numbered_sgpr, 28
	.set _ZN7rocprim17ROCPRIM_400000_NS6detail17trampoline_kernelINS0_14default_configENS1_25partition_config_selectorILNS1_17partition_subalgoE6EsNS0_10empty_typeEbEEZZNS1_14partition_implILS5_6ELb0ES3_mN6thrust23THRUST_200600_302600_NS6detail15normal_iteratorINSA_10device_ptrIsEEEEPS6_SG_NS0_5tupleIJSF_S6_EEENSH_IJSG_SG_EEES6_PlJNSB_9not_fun_tINSB_14equal_to_valueIsEEEEEEE10hipError_tPvRmT3_T4_T5_T6_T7_T9_mT8_P12ihipStream_tbDpT10_ENKUlT_T0_E_clISt17integral_constantIbLb0EES18_EEDaS13_S14_EUlS13_E_NS1_11comp_targetILNS1_3genE10ELNS1_11target_archE1200ELNS1_3gpuE4ELNS1_3repE0EEENS1_30default_config_static_selectorELNS0_4arch9wavefront6targetE0EEEvT1_.num_named_barrier, 0
	.set _ZN7rocprim17ROCPRIM_400000_NS6detail17trampoline_kernelINS0_14default_configENS1_25partition_config_selectorILNS1_17partition_subalgoE6EsNS0_10empty_typeEbEEZZNS1_14partition_implILS5_6ELb0ES3_mN6thrust23THRUST_200600_302600_NS6detail15normal_iteratorINSA_10device_ptrIsEEEEPS6_SG_NS0_5tupleIJSF_S6_EEENSH_IJSG_SG_EEES6_PlJNSB_9not_fun_tINSB_14equal_to_valueIsEEEEEEE10hipError_tPvRmT3_T4_T5_T6_T7_T9_mT8_P12ihipStream_tbDpT10_ENKUlT_T0_E_clISt17integral_constantIbLb0EES18_EEDaS13_S14_EUlS13_E_NS1_11comp_targetILNS1_3genE10ELNS1_11target_archE1200ELNS1_3gpuE4ELNS1_3repE0EEENS1_30default_config_static_selectorELNS0_4arch9wavefront6targetE0EEEvT1_.private_seg_size, 0
	.set _ZN7rocprim17ROCPRIM_400000_NS6detail17trampoline_kernelINS0_14default_configENS1_25partition_config_selectorILNS1_17partition_subalgoE6EsNS0_10empty_typeEbEEZZNS1_14partition_implILS5_6ELb0ES3_mN6thrust23THRUST_200600_302600_NS6detail15normal_iteratorINSA_10device_ptrIsEEEEPS6_SG_NS0_5tupleIJSF_S6_EEENSH_IJSG_SG_EEES6_PlJNSB_9not_fun_tINSB_14equal_to_valueIsEEEEEEE10hipError_tPvRmT3_T4_T5_T6_T7_T9_mT8_P12ihipStream_tbDpT10_ENKUlT_T0_E_clISt17integral_constantIbLb0EES18_EEDaS13_S14_EUlS13_E_NS1_11comp_targetILNS1_3genE10ELNS1_11target_archE1200ELNS1_3gpuE4ELNS1_3repE0EEENS1_30default_config_static_selectorELNS0_4arch9wavefront6targetE0EEEvT1_.uses_vcc, 1
	.set _ZN7rocprim17ROCPRIM_400000_NS6detail17trampoline_kernelINS0_14default_configENS1_25partition_config_selectorILNS1_17partition_subalgoE6EsNS0_10empty_typeEbEEZZNS1_14partition_implILS5_6ELb0ES3_mN6thrust23THRUST_200600_302600_NS6detail15normal_iteratorINSA_10device_ptrIsEEEEPS6_SG_NS0_5tupleIJSF_S6_EEENSH_IJSG_SG_EEES6_PlJNSB_9not_fun_tINSB_14equal_to_valueIsEEEEEEE10hipError_tPvRmT3_T4_T5_T6_T7_T9_mT8_P12ihipStream_tbDpT10_ENKUlT_T0_E_clISt17integral_constantIbLb0EES18_EEDaS13_S14_EUlS13_E_NS1_11comp_targetILNS1_3genE10ELNS1_11target_archE1200ELNS1_3gpuE4ELNS1_3repE0EEENS1_30default_config_static_selectorELNS0_4arch9wavefront6targetE0EEEvT1_.uses_flat_scratch, 1
	.set _ZN7rocprim17ROCPRIM_400000_NS6detail17trampoline_kernelINS0_14default_configENS1_25partition_config_selectorILNS1_17partition_subalgoE6EsNS0_10empty_typeEbEEZZNS1_14partition_implILS5_6ELb0ES3_mN6thrust23THRUST_200600_302600_NS6detail15normal_iteratorINSA_10device_ptrIsEEEEPS6_SG_NS0_5tupleIJSF_S6_EEENSH_IJSG_SG_EEES6_PlJNSB_9not_fun_tINSB_14equal_to_valueIsEEEEEEE10hipError_tPvRmT3_T4_T5_T6_T7_T9_mT8_P12ihipStream_tbDpT10_ENKUlT_T0_E_clISt17integral_constantIbLb0EES18_EEDaS13_S14_EUlS13_E_NS1_11comp_targetILNS1_3genE10ELNS1_11target_archE1200ELNS1_3gpuE4ELNS1_3repE0EEENS1_30default_config_static_selectorELNS0_4arch9wavefront6targetE0EEEvT1_.has_dyn_sized_stack, 0
	.set _ZN7rocprim17ROCPRIM_400000_NS6detail17trampoline_kernelINS0_14default_configENS1_25partition_config_selectorILNS1_17partition_subalgoE6EsNS0_10empty_typeEbEEZZNS1_14partition_implILS5_6ELb0ES3_mN6thrust23THRUST_200600_302600_NS6detail15normal_iteratorINSA_10device_ptrIsEEEEPS6_SG_NS0_5tupleIJSF_S6_EEENSH_IJSG_SG_EEES6_PlJNSB_9not_fun_tINSB_14equal_to_valueIsEEEEEEE10hipError_tPvRmT3_T4_T5_T6_T7_T9_mT8_P12ihipStream_tbDpT10_ENKUlT_T0_E_clISt17integral_constantIbLb0EES18_EEDaS13_S14_EUlS13_E_NS1_11comp_targetILNS1_3genE10ELNS1_11target_archE1200ELNS1_3gpuE4ELNS1_3repE0EEENS1_30default_config_static_selectorELNS0_4arch9wavefront6targetE0EEEvT1_.has_recursion, 0
	.set _ZN7rocprim17ROCPRIM_400000_NS6detail17trampoline_kernelINS0_14default_configENS1_25partition_config_selectorILNS1_17partition_subalgoE6EsNS0_10empty_typeEbEEZZNS1_14partition_implILS5_6ELb0ES3_mN6thrust23THRUST_200600_302600_NS6detail15normal_iteratorINSA_10device_ptrIsEEEEPS6_SG_NS0_5tupleIJSF_S6_EEENSH_IJSG_SG_EEES6_PlJNSB_9not_fun_tINSB_14equal_to_valueIsEEEEEEE10hipError_tPvRmT3_T4_T5_T6_T7_T9_mT8_P12ihipStream_tbDpT10_ENKUlT_T0_E_clISt17integral_constantIbLb0EES18_EEDaS13_S14_EUlS13_E_NS1_11comp_targetILNS1_3genE10ELNS1_11target_archE1200ELNS1_3gpuE4ELNS1_3repE0EEENS1_30default_config_static_selectorELNS0_4arch9wavefront6targetE0EEEvT1_.has_indirect_call, 0
	.section	.AMDGPU.csdata,"",@progbits
; Kernel info:
; codeLenInByte = 11640
; TotalNumSgprs: 30
; NumVgprs: 73
; ScratchSize: 0
; MemoryBound: 0
; FloatMode: 240
; IeeeMode: 1
; LDSByteSize: 13840 bytes/workgroup (compile time only)
; SGPRBlocks: 0
; VGPRBlocks: 9
; NumSGPRsForWavesPerEU: 30
; NumVGPRsForWavesPerEU: 73
; Occupancy: 15
; WaveLimiterHint : 1
; COMPUTE_PGM_RSRC2:SCRATCH_EN: 0
; COMPUTE_PGM_RSRC2:USER_SGPR: 2
; COMPUTE_PGM_RSRC2:TRAP_HANDLER: 0
; COMPUTE_PGM_RSRC2:TGID_X_EN: 1
; COMPUTE_PGM_RSRC2:TGID_Y_EN: 0
; COMPUTE_PGM_RSRC2:TGID_Z_EN: 0
; COMPUTE_PGM_RSRC2:TIDIG_COMP_CNT: 0
	.section	.text._ZN7rocprim17ROCPRIM_400000_NS6detail17trampoline_kernelINS0_14default_configENS1_25partition_config_selectorILNS1_17partition_subalgoE6EsNS0_10empty_typeEbEEZZNS1_14partition_implILS5_6ELb0ES3_mN6thrust23THRUST_200600_302600_NS6detail15normal_iteratorINSA_10device_ptrIsEEEEPS6_SG_NS0_5tupleIJSF_S6_EEENSH_IJSG_SG_EEES6_PlJNSB_9not_fun_tINSB_14equal_to_valueIsEEEEEEE10hipError_tPvRmT3_T4_T5_T6_T7_T9_mT8_P12ihipStream_tbDpT10_ENKUlT_T0_E_clISt17integral_constantIbLb0EES18_EEDaS13_S14_EUlS13_E_NS1_11comp_targetILNS1_3genE9ELNS1_11target_archE1100ELNS1_3gpuE3ELNS1_3repE0EEENS1_30default_config_static_selectorELNS0_4arch9wavefront6targetE0EEEvT1_,"axG",@progbits,_ZN7rocprim17ROCPRIM_400000_NS6detail17trampoline_kernelINS0_14default_configENS1_25partition_config_selectorILNS1_17partition_subalgoE6EsNS0_10empty_typeEbEEZZNS1_14partition_implILS5_6ELb0ES3_mN6thrust23THRUST_200600_302600_NS6detail15normal_iteratorINSA_10device_ptrIsEEEEPS6_SG_NS0_5tupleIJSF_S6_EEENSH_IJSG_SG_EEES6_PlJNSB_9not_fun_tINSB_14equal_to_valueIsEEEEEEE10hipError_tPvRmT3_T4_T5_T6_T7_T9_mT8_P12ihipStream_tbDpT10_ENKUlT_T0_E_clISt17integral_constantIbLb0EES18_EEDaS13_S14_EUlS13_E_NS1_11comp_targetILNS1_3genE9ELNS1_11target_archE1100ELNS1_3gpuE3ELNS1_3repE0EEENS1_30default_config_static_selectorELNS0_4arch9wavefront6targetE0EEEvT1_,comdat
	.protected	_ZN7rocprim17ROCPRIM_400000_NS6detail17trampoline_kernelINS0_14default_configENS1_25partition_config_selectorILNS1_17partition_subalgoE6EsNS0_10empty_typeEbEEZZNS1_14partition_implILS5_6ELb0ES3_mN6thrust23THRUST_200600_302600_NS6detail15normal_iteratorINSA_10device_ptrIsEEEEPS6_SG_NS0_5tupleIJSF_S6_EEENSH_IJSG_SG_EEES6_PlJNSB_9not_fun_tINSB_14equal_to_valueIsEEEEEEE10hipError_tPvRmT3_T4_T5_T6_T7_T9_mT8_P12ihipStream_tbDpT10_ENKUlT_T0_E_clISt17integral_constantIbLb0EES18_EEDaS13_S14_EUlS13_E_NS1_11comp_targetILNS1_3genE9ELNS1_11target_archE1100ELNS1_3gpuE3ELNS1_3repE0EEENS1_30default_config_static_selectorELNS0_4arch9wavefront6targetE0EEEvT1_ ; -- Begin function _ZN7rocprim17ROCPRIM_400000_NS6detail17trampoline_kernelINS0_14default_configENS1_25partition_config_selectorILNS1_17partition_subalgoE6EsNS0_10empty_typeEbEEZZNS1_14partition_implILS5_6ELb0ES3_mN6thrust23THRUST_200600_302600_NS6detail15normal_iteratorINSA_10device_ptrIsEEEEPS6_SG_NS0_5tupleIJSF_S6_EEENSH_IJSG_SG_EEES6_PlJNSB_9not_fun_tINSB_14equal_to_valueIsEEEEEEE10hipError_tPvRmT3_T4_T5_T6_T7_T9_mT8_P12ihipStream_tbDpT10_ENKUlT_T0_E_clISt17integral_constantIbLb0EES18_EEDaS13_S14_EUlS13_E_NS1_11comp_targetILNS1_3genE9ELNS1_11target_archE1100ELNS1_3gpuE3ELNS1_3repE0EEENS1_30default_config_static_selectorELNS0_4arch9wavefront6targetE0EEEvT1_
	.globl	_ZN7rocprim17ROCPRIM_400000_NS6detail17trampoline_kernelINS0_14default_configENS1_25partition_config_selectorILNS1_17partition_subalgoE6EsNS0_10empty_typeEbEEZZNS1_14partition_implILS5_6ELb0ES3_mN6thrust23THRUST_200600_302600_NS6detail15normal_iteratorINSA_10device_ptrIsEEEEPS6_SG_NS0_5tupleIJSF_S6_EEENSH_IJSG_SG_EEES6_PlJNSB_9not_fun_tINSB_14equal_to_valueIsEEEEEEE10hipError_tPvRmT3_T4_T5_T6_T7_T9_mT8_P12ihipStream_tbDpT10_ENKUlT_T0_E_clISt17integral_constantIbLb0EES18_EEDaS13_S14_EUlS13_E_NS1_11comp_targetILNS1_3genE9ELNS1_11target_archE1100ELNS1_3gpuE3ELNS1_3repE0EEENS1_30default_config_static_selectorELNS0_4arch9wavefront6targetE0EEEvT1_
	.p2align	8
	.type	_ZN7rocprim17ROCPRIM_400000_NS6detail17trampoline_kernelINS0_14default_configENS1_25partition_config_selectorILNS1_17partition_subalgoE6EsNS0_10empty_typeEbEEZZNS1_14partition_implILS5_6ELb0ES3_mN6thrust23THRUST_200600_302600_NS6detail15normal_iteratorINSA_10device_ptrIsEEEEPS6_SG_NS0_5tupleIJSF_S6_EEENSH_IJSG_SG_EEES6_PlJNSB_9not_fun_tINSB_14equal_to_valueIsEEEEEEE10hipError_tPvRmT3_T4_T5_T6_T7_T9_mT8_P12ihipStream_tbDpT10_ENKUlT_T0_E_clISt17integral_constantIbLb0EES18_EEDaS13_S14_EUlS13_E_NS1_11comp_targetILNS1_3genE9ELNS1_11target_archE1100ELNS1_3gpuE3ELNS1_3repE0EEENS1_30default_config_static_selectorELNS0_4arch9wavefront6targetE0EEEvT1_,@function
_ZN7rocprim17ROCPRIM_400000_NS6detail17trampoline_kernelINS0_14default_configENS1_25partition_config_selectorILNS1_17partition_subalgoE6EsNS0_10empty_typeEbEEZZNS1_14partition_implILS5_6ELb0ES3_mN6thrust23THRUST_200600_302600_NS6detail15normal_iteratorINSA_10device_ptrIsEEEEPS6_SG_NS0_5tupleIJSF_S6_EEENSH_IJSG_SG_EEES6_PlJNSB_9not_fun_tINSB_14equal_to_valueIsEEEEEEE10hipError_tPvRmT3_T4_T5_T6_T7_T9_mT8_P12ihipStream_tbDpT10_ENKUlT_T0_E_clISt17integral_constantIbLb0EES18_EEDaS13_S14_EUlS13_E_NS1_11comp_targetILNS1_3genE9ELNS1_11target_archE1100ELNS1_3gpuE3ELNS1_3repE0EEENS1_30default_config_static_selectorELNS0_4arch9wavefront6targetE0EEEvT1_: ; @_ZN7rocprim17ROCPRIM_400000_NS6detail17trampoline_kernelINS0_14default_configENS1_25partition_config_selectorILNS1_17partition_subalgoE6EsNS0_10empty_typeEbEEZZNS1_14partition_implILS5_6ELb0ES3_mN6thrust23THRUST_200600_302600_NS6detail15normal_iteratorINSA_10device_ptrIsEEEEPS6_SG_NS0_5tupleIJSF_S6_EEENSH_IJSG_SG_EEES6_PlJNSB_9not_fun_tINSB_14equal_to_valueIsEEEEEEE10hipError_tPvRmT3_T4_T5_T6_T7_T9_mT8_P12ihipStream_tbDpT10_ENKUlT_T0_E_clISt17integral_constantIbLb0EES18_EEDaS13_S14_EUlS13_E_NS1_11comp_targetILNS1_3genE9ELNS1_11target_archE1100ELNS1_3gpuE3ELNS1_3repE0EEENS1_30default_config_static_selectorELNS0_4arch9wavefront6targetE0EEEvT1_
; %bb.0:
	.section	.rodata,"a",@progbits
	.p2align	6, 0x0
	.amdhsa_kernel _ZN7rocprim17ROCPRIM_400000_NS6detail17trampoline_kernelINS0_14default_configENS1_25partition_config_selectorILNS1_17partition_subalgoE6EsNS0_10empty_typeEbEEZZNS1_14partition_implILS5_6ELb0ES3_mN6thrust23THRUST_200600_302600_NS6detail15normal_iteratorINSA_10device_ptrIsEEEEPS6_SG_NS0_5tupleIJSF_S6_EEENSH_IJSG_SG_EEES6_PlJNSB_9not_fun_tINSB_14equal_to_valueIsEEEEEEE10hipError_tPvRmT3_T4_T5_T6_T7_T9_mT8_P12ihipStream_tbDpT10_ENKUlT_T0_E_clISt17integral_constantIbLb0EES18_EEDaS13_S14_EUlS13_E_NS1_11comp_targetILNS1_3genE9ELNS1_11target_archE1100ELNS1_3gpuE3ELNS1_3repE0EEENS1_30default_config_static_selectorELNS0_4arch9wavefront6targetE0EEEvT1_
		.amdhsa_group_segment_fixed_size 0
		.amdhsa_private_segment_fixed_size 0
		.amdhsa_kernarg_size 112
		.amdhsa_user_sgpr_count 2
		.amdhsa_user_sgpr_dispatch_ptr 0
		.amdhsa_user_sgpr_queue_ptr 0
		.amdhsa_user_sgpr_kernarg_segment_ptr 1
		.amdhsa_user_sgpr_dispatch_id 0
		.amdhsa_user_sgpr_private_segment_size 0
		.amdhsa_wavefront_size32 1
		.amdhsa_uses_dynamic_stack 0
		.amdhsa_enable_private_segment 0
		.amdhsa_system_sgpr_workgroup_id_x 1
		.amdhsa_system_sgpr_workgroup_id_y 0
		.amdhsa_system_sgpr_workgroup_id_z 0
		.amdhsa_system_sgpr_workgroup_info 0
		.amdhsa_system_vgpr_workitem_id 0
		.amdhsa_next_free_vgpr 1
		.amdhsa_next_free_sgpr 1
		.amdhsa_reserve_vcc 0
		.amdhsa_float_round_mode_32 0
		.amdhsa_float_round_mode_16_64 0
		.amdhsa_float_denorm_mode_32 3
		.amdhsa_float_denorm_mode_16_64 3
		.amdhsa_fp16_overflow 0
		.amdhsa_workgroup_processor_mode 1
		.amdhsa_memory_ordered 1
		.amdhsa_forward_progress 1
		.amdhsa_inst_pref_size 0
		.amdhsa_round_robin_scheduling 0
		.amdhsa_exception_fp_ieee_invalid_op 0
		.amdhsa_exception_fp_denorm_src 0
		.amdhsa_exception_fp_ieee_div_zero 0
		.amdhsa_exception_fp_ieee_overflow 0
		.amdhsa_exception_fp_ieee_underflow 0
		.amdhsa_exception_fp_ieee_inexact 0
		.amdhsa_exception_int_div_zero 0
	.end_amdhsa_kernel
	.section	.text._ZN7rocprim17ROCPRIM_400000_NS6detail17trampoline_kernelINS0_14default_configENS1_25partition_config_selectorILNS1_17partition_subalgoE6EsNS0_10empty_typeEbEEZZNS1_14partition_implILS5_6ELb0ES3_mN6thrust23THRUST_200600_302600_NS6detail15normal_iteratorINSA_10device_ptrIsEEEEPS6_SG_NS0_5tupleIJSF_S6_EEENSH_IJSG_SG_EEES6_PlJNSB_9not_fun_tINSB_14equal_to_valueIsEEEEEEE10hipError_tPvRmT3_T4_T5_T6_T7_T9_mT8_P12ihipStream_tbDpT10_ENKUlT_T0_E_clISt17integral_constantIbLb0EES18_EEDaS13_S14_EUlS13_E_NS1_11comp_targetILNS1_3genE9ELNS1_11target_archE1100ELNS1_3gpuE3ELNS1_3repE0EEENS1_30default_config_static_selectorELNS0_4arch9wavefront6targetE0EEEvT1_,"axG",@progbits,_ZN7rocprim17ROCPRIM_400000_NS6detail17trampoline_kernelINS0_14default_configENS1_25partition_config_selectorILNS1_17partition_subalgoE6EsNS0_10empty_typeEbEEZZNS1_14partition_implILS5_6ELb0ES3_mN6thrust23THRUST_200600_302600_NS6detail15normal_iteratorINSA_10device_ptrIsEEEEPS6_SG_NS0_5tupleIJSF_S6_EEENSH_IJSG_SG_EEES6_PlJNSB_9not_fun_tINSB_14equal_to_valueIsEEEEEEE10hipError_tPvRmT3_T4_T5_T6_T7_T9_mT8_P12ihipStream_tbDpT10_ENKUlT_T0_E_clISt17integral_constantIbLb0EES18_EEDaS13_S14_EUlS13_E_NS1_11comp_targetILNS1_3genE9ELNS1_11target_archE1100ELNS1_3gpuE3ELNS1_3repE0EEENS1_30default_config_static_selectorELNS0_4arch9wavefront6targetE0EEEvT1_,comdat
.Lfunc_end507:
	.size	_ZN7rocprim17ROCPRIM_400000_NS6detail17trampoline_kernelINS0_14default_configENS1_25partition_config_selectorILNS1_17partition_subalgoE6EsNS0_10empty_typeEbEEZZNS1_14partition_implILS5_6ELb0ES3_mN6thrust23THRUST_200600_302600_NS6detail15normal_iteratorINSA_10device_ptrIsEEEEPS6_SG_NS0_5tupleIJSF_S6_EEENSH_IJSG_SG_EEES6_PlJNSB_9not_fun_tINSB_14equal_to_valueIsEEEEEEE10hipError_tPvRmT3_T4_T5_T6_T7_T9_mT8_P12ihipStream_tbDpT10_ENKUlT_T0_E_clISt17integral_constantIbLb0EES18_EEDaS13_S14_EUlS13_E_NS1_11comp_targetILNS1_3genE9ELNS1_11target_archE1100ELNS1_3gpuE3ELNS1_3repE0EEENS1_30default_config_static_selectorELNS0_4arch9wavefront6targetE0EEEvT1_, .Lfunc_end507-_ZN7rocprim17ROCPRIM_400000_NS6detail17trampoline_kernelINS0_14default_configENS1_25partition_config_selectorILNS1_17partition_subalgoE6EsNS0_10empty_typeEbEEZZNS1_14partition_implILS5_6ELb0ES3_mN6thrust23THRUST_200600_302600_NS6detail15normal_iteratorINSA_10device_ptrIsEEEEPS6_SG_NS0_5tupleIJSF_S6_EEENSH_IJSG_SG_EEES6_PlJNSB_9not_fun_tINSB_14equal_to_valueIsEEEEEEE10hipError_tPvRmT3_T4_T5_T6_T7_T9_mT8_P12ihipStream_tbDpT10_ENKUlT_T0_E_clISt17integral_constantIbLb0EES18_EEDaS13_S14_EUlS13_E_NS1_11comp_targetILNS1_3genE9ELNS1_11target_archE1100ELNS1_3gpuE3ELNS1_3repE0EEENS1_30default_config_static_selectorELNS0_4arch9wavefront6targetE0EEEvT1_
                                        ; -- End function
	.set _ZN7rocprim17ROCPRIM_400000_NS6detail17trampoline_kernelINS0_14default_configENS1_25partition_config_selectorILNS1_17partition_subalgoE6EsNS0_10empty_typeEbEEZZNS1_14partition_implILS5_6ELb0ES3_mN6thrust23THRUST_200600_302600_NS6detail15normal_iteratorINSA_10device_ptrIsEEEEPS6_SG_NS0_5tupleIJSF_S6_EEENSH_IJSG_SG_EEES6_PlJNSB_9not_fun_tINSB_14equal_to_valueIsEEEEEEE10hipError_tPvRmT3_T4_T5_T6_T7_T9_mT8_P12ihipStream_tbDpT10_ENKUlT_T0_E_clISt17integral_constantIbLb0EES18_EEDaS13_S14_EUlS13_E_NS1_11comp_targetILNS1_3genE9ELNS1_11target_archE1100ELNS1_3gpuE3ELNS1_3repE0EEENS1_30default_config_static_selectorELNS0_4arch9wavefront6targetE0EEEvT1_.num_vgpr, 0
	.set _ZN7rocprim17ROCPRIM_400000_NS6detail17trampoline_kernelINS0_14default_configENS1_25partition_config_selectorILNS1_17partition_subalgoE6EsNS0_10empty_typeEbEEZZNS1_14partition_implILS5_6ELb0ES3_mN6thrust23THRUST_200600_302600_NS6detail15normal_iteratorINSA_10device_ptrIsEEEEPS6_SG_NS0_5tupleIJSF_S6_EEENSH_IJSG_SG_EEES6_PlJNSB_9not_fun_tINSB_14equal_to_valueIsEEEEEEE10hipError_tPvRmT3_T4_T5_T6_T7_T9_mT8_P12ihipStream_tbDpT10_ENKUlT_T0_E_clISt17integral_constantIbLb0EES18_EEDaS13_S14_EUlS13_E_NS1_11comp_targetILNS1_3genE9ELNS1_11target_archE1100ELNS1_3gpuE3ELNS1_3repE0EEENS1_30default_config_static_selectorELNS0_4arch9wavefront6targetE0EEEvT1_.num_agpr, 0
	.set _ZN7rocprim17ROCPRIM_400000_NS6detail17trampoline_kernelINS0_14default_configENS1_25partition_config_selectorILNS1_17partition_subalgoE6EsNS0_10empty_typeEbEEZZNS1_14partition_implILS5_6ELb0ES3_mN6thrust23THRUST_200600_302600_NS6detail15normal_iteratorINSA_10device_ptrIsEEEEPS6_SG_NS0_5tupleIJSF_S6_EEENSH_IJSG_SG_EEES6_PlJNSB_9not_fun_tINSB_14equal_to_valueIsEEEEEEE10hipError_tPvRmT3_T4_T5_T6_T7_T9_mT8_P12ihipStream_tbDpT10_ENKUlT_T0_E_clISt17integral_constantIbLb0EES18_EEDaS13_S14_EUlS13_E_NS1_11comp_targetILNS1_3genE9ELNS1_11target_archE1100ELNS1_3gpuE3ELNS1_3repE0EEENS1_30default_config_static_selectorELNS0_4arch9wavefront6targetE0EEEvT1_.numbered_sgpr, 0
	.set _ZN7rocprim17ROCPRIM_400000_NS6detail17trampoline_kernelINS0_14default_configENS1_25partition_config_selectorILNS1_17partition_subalgoE6EsNS0_10empty_typeEbEEZZNS1_14partition_implILS5_6ELb0ES3_mN6thrust23THRUST_200600_302600_NS6detail15normal_iteratorINSA_10device_ptrIsEEEEPS6_SG_NS0_5tupleIJSF_S6_EEENSH_IJSG_SG_EEES6_PlJNSB_9not_fun_tINSB_14equal_to_valueIsEEEEEEE10hipError_tPvRmT3_T4_T5_T6_T7_T9_mT8_P12ihipStream_tbDpT10_ENKUlT_T0_E_clISt17integral_constantIbLb0EES18_EEDaS13_S14_EUlS13_E_NS1_11comp_targetILNS1_3genE9ELNS1_11target_archE1100ELNS1_3gpuE3ELNS1_3repE0EEENS1_30default_config_static_selectorELNS0_4arch9wavefront6targetE0EEEvT1_.num_named_barrier, 0
	.set _ZN7rocprim17ROCPRIM_400000_NS6detail17trampoline_kernelINS0_14default_configENS1_25partition_config_selectorILNS1_17partition_subalgoE6EsNS0_10empty_typeEbEEZZNS1_14partition_implILS5_6ELb0ES3_mN6thrust23THRUST_200600_302600_NS6detail15normal_iteratorINSA_10device_ptrIsEEEEPS6_SG_NS0_5tupleIJSF_S6_EEENSH_IJSG_SG_EEES6_PlJNSB_9not_fun_tINSB_14equal_to_valueIsEEEEEEE10hipError_tPvRmT3_T4_T5_T6_T7_T9_mT8_P12ihipStream_tbDpT10_ENKUlT_T0_E_clISt17integral_constantIbLb0EES18_EEDaS13_S14_EUlS13_E_NS1_11comp_targetILNS1_3genE9ELNS1_11target_archE1100ELNS1_3gpuE3ELNS1_3repE0EEENS1_30default_config_static_selectorELNS0_4arch9wavefront6targetE0EEEvT1_.private_seg_size, 0
	.set _ZN7rocprim17ROCPRIM_400000_NS6detail17trampoline_kernelINS0_14default_configENS1_25partition_config_selectorILNS1_17partition_subalgoE6EsNS0_10empty_typeEbEEZZNS1_14partition_implILS5_6ELb0ES3_mN6thrust23THRUST_200600_302600_NS6detail15normal_iteratorINSA_10device_ptrIsEEEEPS6_SG_NS0_5tupleIJSF_S6_EEENSH_IJSG_SG_EEES6_PlJNSB_9not_fun_tINSB_14equal_to_valueIsEEEEEEE10hipError_tPvRmT3_T4_T5_T6_T7_T9_mT8_P12ihipStream_tbDpT10_ENKUlT_T0_E_clISt17integral_constantIbLb0EES18_EEDaS13_S14_EUlS13_E_NS1_11comp_targetILNS1_3genE9ELNS1_11target_archE1100ELNS1_3gpuE3ELNS1_3repE0EEENS1_30default_config_static_selectorELNS0_4arch9wavefront6targetE0EEEvT1_.uses_vcc, 0
	.set _ZN7rocprim17ROCPRIM_400000_NS6detail17trampoline_kernelINS0_14default_configENS1_25partition_config_selectorILNS1_17partition_subalgoE6EsNS0_10empty_typeEbEEZZNS1_14partition_implILS5_6ELb0ES3_mN6thrust23THRUST_200600_302600_NS6detail15normal_iteratorINSA_10device_ptrIsEEEEPS6_SG_NS0_5tupleIJSF_S6_EEENSH_IJSG_SG_EEES6_PlJNSB_9not_fun_tINSB_14equal_to_valueIsEEEEEEE10hipError_tPvRmT3_T4_T5_T6_T7_T9_mT8_P12ihipStream_tbDpT10_ENKUlT_T0_E_clISt17integral_constantIbLb0EES18_EEDaS13_S14_EUlS13_E_NS1_11comp_targetILNS1_3genE9ELNS1_11target_archE1100ELNS1_3gpuE3ELNS1_3repE0EEENS1_30default_config_static_selectorELNS0_4arch9wavefront6targetE0EEEvT1_.uses_flat_scratch, 0
	.set _ZN7rocprim17ROCPRIM_400000_NS6detail17trampoline_kernelINS0_14default_configENS1_25partition_config_selectorILNS1_17partition_subalgoE6EsNS0_10empty_typeEbEEZZNS1_14partition_implILS5_6ELb0ES3_mN6thrust23THRUST_200600_302600_NS6detail15normal_iteratorINSA_10device_ptrIsEEEEPS6_SG_NS0_5tupleIJSF_S6_EEENSH_IJSG_SG_EEES6_PlJNSB_9not_fun_tINSB_14equal_to_valueIsEEEEEEE10hipError_tPvRmT3_T4_T5_T6_T7_T9_mT8_P12ihipStream_tbDpT10_ENKUlT_T0_E_clISt17integral_constantIbLb0EES18_EEDaS13_S14_EUlS13_E_NS1_11comp_targetILNS1_3genE9ELNS1_11target_archE1100ELNS1_3gpuE3ELNS1_3repE0EEENS1_30default_config_static_selectorELNS0_4arch9wavefront6targetE0EEEvT1_.has_dyn_sized_stack, 0
	.set _ZN7rocprim17ROCPRIM_400000_NS6detail17trampoline_kernelINS0_14default_configENS1_25partition_config_selectorILNS1_17partition_subalgoE6EsNS0_10empty_typeEbEEZZNS1_14partition_implILS5_6ELb0ES3_mN6thrust23THRUST_200600_302600_NS6detail15normal_iteratorINSA_10device_ptrIsEEEEPS6_SG_NS0_5tupleIJSF_S6_EEENSH_IJSG_SG_EEES6_PlJNSB_9not_fun_tINSB_14equal_to_valueIsEEEEEEE10hipError_tPvRmT3_T4_T5_T6_T7_T9_mT8_P12ihipStream_tbDpT10_ENKUlT_T0_E_clISt17integral_constantIbLb0EES18_EEDaS13_S14_EUlS13_E_NS1_11comp_targetILNS1_3genE9ELNS1_11target_archE1100ELNS1_3gpuE3ELNS1_3repE0EEENS1_30default_config_static_selectorELNS0_4arch9wavefront6targetE0EEEvT1_.has_recursion, 0
	.set _ZN7rocprim17ROCPRIM_400000_NS6detail17trampoline_kernelINS0_14default_configENS1_25partition_config_selectorILNS1_17partition_subalgoE6EsNS0_10empty_typeEbEEZZNS1_14partition_implILS5_6ELb0ES3_mN6thrust23THRUST_200600_302600_NS6detail15normal_iteratorINSA_10device_ptrIsEEEEPS6_SG_NS0_5tupleIJSF_S6_EEENSH_IJSG_SG_EEES6_PlJNSB_9not_fun_tINSB_14equal_to_valueIsEEEEEEE10hipError_tPvRmT3_T4_T5_T6_T7_T9_mT8_P12ihipStream_tbDpT10_ENKUlT_T0_E_clISt17integral_constantIbLb0EES18_EEDaS13_S14_EUlS13_E_NS1_11comp_targetILNS1_3genE9ELNS1_11target_archE1100ELNS1_3gpuE3ELNS1_3repE0EEENS1_30default_config_static_selectorELNS0_4arch9wavefront6targetE0EEEvT1_.has_indirect_call, 0
	.section	.AMDGPU.csdata,"",@progbits
; Kernel info:
; codeLenInByte = 0
; TotalNumSgprs: 0
; NumVgprs: 0
; ScratchSize: 0
; MemoryBound: 0
; FloatMode: 240
; IeeeMode: 1
; LDSByteSize: 0 bytes/workgroup (compile time only)
; SGPRBlocks: 0
; VGPRBlocks: 0
; NumSGPRsForWavesPerEU: 1
; NumVGPRsForWavesPerEU: 1
; Occupancy: 16
; WaveLimiterHint : 0
; COMPUTE_PGM_RSRC2:SCRATCH_EN: 0
; COMPUTE_PGM_RSRC2:USER_SGPR: 2
; COMPUTE_PGM_RSRC2:TRAP_HANDLER: 0
; COMPUTE_PGM_RSRC2:TGID_X_EN: 1
; COMPUTE_PGM_RSRC2:TGID_Y_EN: 0
; COMPUTE_PGM_RSRC2:TGID_Z_EN: 0
; COMPUTE_PGM_RSRC2:TIDIG_COMP_CNT: 0
	.section	.text._ZN7rocprim17ROCPRIM_400000_NS6detail17trampoline_kernelINS0_14default_configENS1_25partition_config_selectorILNS1_17partition_subalgoE6EsNS0_10empty_typeEbEEZZNS1_14partition_implILS5_6ELb0ES3_mN6thrust23THRUST_200600_302600_NS6detail15normal_iteratorINSA_10device_ptrIsEEEEPS6_SG_NS0_5tupleIJSF_S6_EEENSH_IJSG_SG_EEES6_PlJNSB_9not_fun_tINSB_14equal_to_valueIsEEEEEEE10hipError_tPvRmT3_T4_T5_T6_T7_T9_mT8_P12ihipStream_tbDpT10_ENKUlT_T0_E_clISt17integral_constantIbLb0EES18_EEDaS13_S14_EUlS13_E_NS1_11comp_targetILNS1_3genE8ELNS1_11target_archE1030ELNS1_3gpuE2ELNS1_3repE0EEENS1_30default_config_static_selectorELNS0_4arch9wavefront6targetE0EEEvT1_,"axG",@progbits,_ZN7rocprim17ROCPRIM_400000_NS6detail17trampoline_kernelINS0_14default_configENS1_25partition_config_selectorILNS1_17partition_subalgoE6EsNS0_10empty_typeEbEEZZNS1_14partition_implILS5_6ELb0ES3_mN6thrust23THRUST_200600_302600_NS6detail15normal_iteratorINSA_10device_ptrIsEEEEPS6_SG_NS0_5tupleIJSF_S6_EEENSH_IJSG_SG_EEES6_PlJNSB_9not_fun_tINSB_14equal_to_valueIsEEEEEEE10hipError_tPvRmT3_T4_T5_T6_T7_T9_mT8_P12ihipStream_tbDpT10_ENKUlT_T0_E_clISt17integral_constantIbLb0EES18_EEDaS13_S14_EUlS13_E_NS1_11comp_targetILNS1_3genE8ELNS1_11target_archE1030ELNS1_3gpuE2ELNS1_3repE0EEENS1_30default_config_static_selectorELNS0_4arch9wavefront6targetE0EEEvT1_,comdat
	.protected	_ZN7rocprim17ROCPRIM_400000_NS6detail17trampoline_kernelINS0_14default_configENS1_25partition_config_selectorILNS1_17partition_subalgoE6EsNS0_10empty_typeEbEEZZNS1_14partition_implILS5_6ELb0ES3_mN6thrust23THRUST_200600_302600_NS6detail15normal_iteratorINSA_10device_ptrIsEEEEPS6_SG_NS0_5tupleIJSF_S6_EEENSH_IJSG_SG_EEES6_PlJNSB_9not_fun_tINSB_14equal_to_valueIsEEEEEEE10hipError_tPvRmT3_T4_T5_T6_T7_T9_mT8_P12ihipStream_tbDpT10_ENKUlT_T0_E_clISt17integral_constantIbLb0EES18_EEDaS13_S14_EUlS13_E_NS1_11comp_targetILNS1_3genE8ELNS1_11target_archE1030ELNS1_3gpuE2ELNS1_3repE0EEENS1_30default_config_static_selectorELNS0_4arch9wavefront6targetE0EEEvT1_ ; -- Begin function _ZN7rocprim17ROCPRIM_400000_NS6detail17trampoline_kernelINS0_14default_configENS1_25partition_config_selectorILNS1_17partition_subalgoE6EsNS0_10empty_typeEbEEZZNS1_14partition_implILS5_6ELb0ES3_mN6thrust23THRUST_200600_302600_NS6detail15normal_iteratorINSA_10device_ptrIsEEEEPS6_SG_NS0_5tupleIJSF_S6_EEENSH_IJSG_SG_EEES6_PlJNSB_9not_fun_tINSB_14equal_to_valueIsEEEEEEE10hipError_tPvRmT3_T4_T5_T6_T7_T9_mT8_P12ihipStream_tbDpT10_ENKUlT_T0_E_clISt17integral_constantIbLb0EES18_EEDaS13_S14_EUlS13_E_NS1_11comp_targetILNS1_3genE8ELNS1_11target_archE1030ELNS1_3gpuE2ELNS1_3repE0EEENS1_30default_config_static_selectorELNS0_4arch9wavefront6targetE0EEEvT1_
	.globl	_ZN7rocprim17ROCPRIM_400000_NS6detail17trampoline_kernelINS0_14default_configENS1_25partition_config_selectorILNS1_17partition_subalgoE6EsNS0_10empty_typeEbEEZZNS1_14partition_implILS5_6ELb0ES3_mN6thrust23THRUST_200600_302600_NS6detail15normal_iteratorINSA_10device_ptrIsEEEEPS6_SG_NS0_5tupleIJSF_S6_EEENSH_IJSG_SG_EEES6_PlJNSB_9not_fun_tINSB_14equal_to_valueIsEEEEEEE10hipError_tPvRmT3_T4_T5_T6_T7_T9_mT8_P12ihipStream_tbDpT10_ENKUlT_T0_E_clISt17integral_constantIbLb0EES18_EEDaS13_S14_EUlS13_E_NS1_11comp_targetILNS1_3genE8ELNS1_11target_archE1030ELNS1_3gpuE2ELNS1_3repE0EEENS1_30default_config_static_selectorELNS0_4arch9wavefront6targetE0EEEvT1_
	.p2align	8
	.type	_ZN7rocprim17ROCPRIM_400000_NS6detail17trampoline_kernelINS0_14default_configENS1_25partition_config_selectorILNS1_17partition_subalgoE6EsNS0_10empty_typeEbEEZZNS1_14partition_implILS5_6ELb0ES3_mN6thrust23THRUST_200600_302600_NS6detail15normal_iteratorINSA_10device_ptrIsEEEEPS6_SG_NS0_5tupleIJSF_S6_EEENSH_IJSG_SG_EEES6_PlJNSB_9not_fun_tINSB_14equal_to_valueIsEEEEEEE10hipError_tPvRmT3_T4_T5_T6_T7_T9_mT8_P12ihipStream_tbDpT10_ENKUlT_T0_E_clISt17integral_constantIbLb0EES18_EEDaS13_S14_EUlS13_E_NS1_11comp_targetILNS1_3genE8ELNS1_11target_archE1030ELNS1_3gpuE2ELNS1_3repE0EEENS1_30default_config_static_selectorELNS0_4arch9wavefront6targetE0EEEvT1_,@function
_ZN7rocprim17ROCPRIM_400000_NS6detail17trampoline_kernelINS0_14default_configENS1_25partition_config_selectorILNS1_17partition_subalgoE6EsNS0_10empty_typeEbEEZZNS1_14partition_implILS5_6ELb0ES3_mN6thrust23THRUST_200600_302600_NS6detail15normal_iteratorINSA_10device_ptrIsEEEEPS6_SG_NS0_5tupleIJSF_S6_EEENSH_IJSG_SG_EEES6_PlJNSB_9not_fun_tINSB_14equal_to_valueIsEEEEEEE10hipError_tPvRmT3_T4_T5_T6_T7_T9_mT8_P12ihipStream_tbDpT10_ENKUlT_T0_E_clISt17integral_constantIbLb0EES18_EEDaS13_S14_EUlS13_E_NS1_11comp_targetILNS1_3genE8ELNS1_11target_archE1030ELNS1_3gpuE2ELNS1_3repE0EEENS1_30default_config_static_selectorELNS0_4arch9wavefront6targetE0EEEvT1_: ; @_ZN7rocprim17ROCPRIM_400000_NS6detail17trampoline_kernelINS0_14default_configENS1_25partition_config_selectorILNS1_17partition_subalgoE6EsNS0_10empty_typeEbEEZZNS1_14partition_implILS5_6ELb0ES3_mN6thrust23THRUST_200600_302600_NS6detail15normal_iteratorINSA_10device_ptrIsEEEEPS6_SG_NS0_5tupleIJSF_S6_EEENSH_IJSG_SG_EEES6_PlJNSB_9not_fun_tINSB_14equal_to_valueIsEEEEEEE10hipError_tPvRmT3_T4_T5_T6_T7_T9_mT8_P12ihipStream_tbDpT10_ENKUlT_T0_E_clISt17integral_constantIbLb0EES18_EEDaS13_S14_EUlS13_E_NS1_11comp_targetILNS1_3genE8ELNS1_11target_archE1030ELNS1_3gpuE2ELNS1_3repE0EEENS1_30default_config_static_selectorELNS0_4arch9wavefront6targetE0EEEvT1_
; %bb.0:
	.section	.rodata,"a",@progbits
	.p2align	6, 0x0
	.amdhsa_kernel _ZN7rocprim17ROCPRIM_400000_NS6detail17trampoline_kernelINS0_14default_configENS1_25partition_config_selectorILNS1_17partition_subalgoE6EsNS0_10empty_typeEbEEZZNS1_14partition_implILS5_6ELb0ES3_mN6thrust23THRUST_200600_302600_NS6detail15normal_iteratorINSA_10device_ptrIsEEEEPS6_SG_NS0_5tupleIJSF_S6_EEENSH_IJSG_SG_EEES6_PlJNSB_9not_fun_tINSB_14equal_to_valueIsEEEEEEE10hipError_tPvRmT3_T4_T5_T6_T7_T9_mT8_P12ihipStream_tbDpT10_ENKUlT_T0_E_clISt17integral_constantIbLb0EES18_EEDaS13_S14_EUlS13_E_NS1_11comp_targetILNS1_3genE8ELNS1_11target_archE1030ELNS1_3gpuE2ELNS1_3repE0EEENS1_30default_config_static_selectorELNS0_4arch9wavefront6targetE0EEEvT1_
		.amdhsa_group_segment_fixed_size 0
		.amdhsa_private_segment_fixed_size 0
		.amdhsa_kernarg_size 112
		.amdhsa_user_sgpr_count 2
		.amdhsa_user_sgpr_dispatch_ptr 0
		.amdhsa_user_sgpr_queue_ptr 0
		.amdhsa_user_sgpr_kernarg_segment_ptr 1
		.amdhsa_user_sgpr_dispatch_id 0
		.amdhsa_user_sgpr_private_segment_size 0
		.amdhsa_wavefront_size32 1
		.amdhsa_uses_dynamic_stack 0
		.amdhsa_enable_private_segment 0
		.amdhsa_system_sgpr_workgroup_id_x 1
		.amdhsa_system_sgpr_workgroup_id_y 0
		.amdhsa_system_sgpr_workgroup_id_z 0
		.amdhsa_system_sgpr_workgroup_info 0
		.amdhsa_system_vgpr_workitem_id 0
		.amdhsa_next_free_vgpr 1
		.amdhsa_next_free_sgpr 1
		.amdhsa_reserve_vcc 0
		.amdhsa_float_round_mode_32 0
		.amdhsa_float_round_mode_16_64 0
		.amdhsa_float_denorm_mode_32 3
		.amdhsa_float_denorm_mode_16_64 3
		.amdhsa_fp16_overflow 0
		.amdhsa_workgroup_processor_mode 1
		.amdhsa_memory_ordered 1
		.amdhsa_forward_progress 1
		.amdhsa_inst_pref_size 0
		.amdhsa_round_robin_scheduling 0
		.amdhsa_exception_fp_ieee_invalid_op 0
		.amdhsa_exception_fp_denorm_src 0
		.amdhsa_exception_fp_ieee_div_zero 0
		.amdhsa_exception_fp_ieee_overflow 0
		.amdhsa_exception_fp_ieee_underflow 0
		.amdhsa_exception_fp_ieee_inexact 0
		.amdhsa_exception_int_div_zero 0
	.end_amdhsa_kernel
	.section	.text._ZN7rocprim17ROCPRIM_400000_NS6detail17trampoline_kernelINS0_14default_configENS1_25partition_config_selectorILNS1_17partition_subalgoE6EsNS0_10empty_typeEbEEZZNS1_14partition_implILS5_6ELb0ES3_mN6thrust23THRUST_200600_302600_NS6detail15normal_iteratorINSA_10device_ptrIsEEEEPS6_SG_NS0_5tupleIJSF_S6_EEENSH_IJSG_SG_EEES6_PlJNSB_9not_fun_tINSB_14equal_to_valueIsEEEEEEE10hipError_tPvRmT3_T4_T5_T6_T7_T9_mT8_P12ihipStream_tbDpT10_ENKUlT_T0_E_clISt17integral_constantIbLb0EES18_EEDaS13_S14_EUlS13_E_NS1_11comp_targetILNS1_3genE8ELNS1_11target_archE1030ELNS1_3gpuE2ELNS1_3repE0EEENS1_30default_config_static_selectorELNS0_4arch9wavefront6targetE0EEEvT1_,"axG",@progbits,_ZN7rocprim17ROCPRIM_400000_NS6detail17trampoline_kernelINS0_14default_configENS1_25partition_config_selectorILNS1_17partition_subalgoE6EsNS0_10empty_typeEbEEZZNS1_14partition_implILS5_6ELb0ES3_mN6thrust23THRUST_200600_302600_NS6detail15normal_iteratorINSA_10device_ptrIsEEEEPS6_SG_NS0_5tupleIJSF_S6_EEENSH_IJSG_SG_EEES6_PlJNSB_9not_fun_tINSB_14equal_to_valueIsEEEEEEE10hipError_tPvRmT3_T4_T5_T6_T7_T9_mT8_P12ihipStream_tbDpT10_ENKUlT_T0_E_clISt17integral_constantIbLb0EES18_EEDaS13_S14_EUlS13_E_NS1_11comp_targetILNS1_3genE8ELNS1_11target_archE1030ELNS1_3gpuE2ELNS1_3repE0EEENS1_30default_config_static_selectorELNS0_4arch9wavefront6targetE0EEEvT1_,comdat
.Lfunc_end508:
	.size	_ZN7rocprim17ROCPRIM_400000_NS6detail17trampoline_kernelINS0_14default_configENS1_25partition_config_selectorILNS1_17partition_subalgoE6EsNS0_10empty_typeEbEEZZNS1_14partition_implILS5_6ELb0ES3_mN6thrust23THRUST_200600_302600_NS6detail15normal_iteratorINSA_10device_ptrIsEEEEPS6_SG_NS0_5tupleIJSF_S6_EEENSH_IJSG_SG_EEES6_PlJNSB_9not_fun_tINSB_14equal_to_valueIsEEEEEEE10hipError_tPvRmT3_T4_T5_T6_T7_T9_mT8_P12ihipStream_tbDpT10_ENKUlT_T0_E_clISt17integral_constantIbLb0EES18_EEDaS13_S14_EUlS13_E_NS1_11comp_targetILNS1_3genE8ELNS1_11target_archE1030ELNS1_3gpuE2ELNS1_3repE0EEENS1_30default_config_static_selectorELNS0_4arch9wavefront6targetE0EEEvT1_, .Lfunc_end508-_ZN7rocprim17ROCPRIM_400000_NS6detail17trampoline_kernelINS0_14default_configENS1_25partition_config_selectorILNS1_17partition_subalgoE6EsNS0_10empty_typeEbEEZZNS1_14partition_implILS5_6ELb0ES3_mN6thrust23THRUST_200600_302600_NS6detail15normal_iteratorINSA_10device_ptrIsEEEEPS6_SG_NS0_5tupleIJSF_S6_EEENSH_IJSG_SG_EEES6_PlJNSB_9not_fun_tINSB_14equal_to_valueIsEEEEEEE10hipError_tPvRmT3_T4_T5_T6_T7_T9_mT8_P12ihipStream_tbDpT10_ENKUlT_T0_E_clISt17integral_constantIbLb0EES18_EEDaS13_S14_EUlS13_E_NS1_11comp_targetILNS1_3genE8ELNS1_11target_archE1030ELNS1_3gpuE2ELNS1_3repE0EEENS1_30default_config_static_selectorELNS0_4arch9wavefront6targetE0EEEvT1_
                                        ; -- End function
	.set _ZN7rocprim17ROCPRIM_400000_NS6detail17trampoline_kernelINS0_14default_configENS1_25partition_config_selectorILNS1_17partition_subalgoE6EsNS0_10empty_typeEbEEZZNS1_14partition_implILS5_6ELb0ES3_mN6thrust23THRUST_200600_302600_NS6detail15normal_iteratorINSA_10device_ptrIsEEEEPS6_SG_NS0_5tupleIJSF_S6_EEENSH_IJSG_SG_EEES6_PlJNSB_9not_fun_tINSB_14equal_to_valueIsEEEEEEE10hipError_tPvRmT3_T4_T5_T6_T7_T9_mT8_P12ihipStream_tbDpT10_ENKUlT_T0_E_clISt17integral_constantIbLb0EES18_EEDaS13_S14_EUlS13_E_NS1_11comp_targetILNS1_3genE8ELNS1_11target_archE1030ELNS1_3gpuE2ELNS1_3repE0EEENS1_30default_config_static_selectorELNS0_4arch9wavefront6targetE0EEEvT1_.num_vgpr, 0
	.set _ZN7rocprim17ROCPRIM_400000_NS6detail17trampoline_kernelINS0_14default_configENS1_25partition_config_selectorILNS1_17partition_subalgoE6EsNS0_10empty_typeEbEEZZNS1_14partition_implILS5_6ELb0ES3_mN6thrust23THRUST_200600_302600_NS6detail15normal_iteratorINSA_10device_ptrIsEEEEPS6_SG_NS0_5tupleIJSF_S6_EEENSH_IJSG_SG_EEES6_PlJNSB_9not_fun_tINSB_14equal_to_valueIsEEEEEEE10hipError_tPvRmT3_T4_T5_T6_T7_T9_mT8_P12ihipStream_tbDpT10_ENKUlT_T0_E_clISt17integral_constantIbLb0EES18_EEDaS13_S14_EUlS13_E_NS1_11comp_targetILNS1_3genE8ELNS1_11target_archE1030ELNS1_3gpuE2ELNS1_3repE0EEENS1_30default_config_static_selectorELNS0_4arch9wavefront6targetE0EEEvT1_.num_agpr, 0
	.set _ZN7rocprim17ROCPRIM_400000_NS6detail17trampoline_kernelINS0_14default_configENS1_25partition_config_selectorILNS1_17partition_subalgoE6EsNS0_10empty_typeEbEEZZNS1_14partition_implILS5_6ELb0ES3_mN6thrust23THRUST_200600_302600_NS6detail15normal_iteratorINSA_10device_ptrIsEEEEPS6_SG_NS0_5tupleIJSF_S6_EEENSH_IJSG_SG_EEES6_PlJNSB_9not_fun_tINSB_14equal_to_valueIsEEEEEEE10hipError_tPvRmT3_T4_T5_T6_T7_T9_mT8_P12ihipStream_tbDpT10_ENKUlT_T0_E_clISt17integral_constantIbLb0EES18_EEDaS13_S14_EUlS13_E_NS1_11comp_targetILNS1_3genE8ELNS1_11target_archE1030ELNS1_3gpuE2ELNS1_3repE0EEENS1_30default_config_static_selectorELNS0_4arch9wavefront6targetE0EEEvT1_.numbered_sgpr, 0
	.set _ZN7rocprim17ROCPRIM_400000_NS6detail17trampoline_kernelINS0_14default_configENS1_25partition_config_selectorILNS1_17partition_subalgoE6EsNS0_10empty_typeEbEEZZNS1_14partition_implILS5_6ELb0ES3_mN6thrust23THRUST_200600_302600_NS6detail15normal_iteratorINSA_10device_ptrIsEEEEPS6_SG_NS0_5tupleIJSF_S6_EEENSH_IJSG_SG_EEES6_PlJNSB_9not_fun_tINSB_14equal_to_valueIsEEEEEEE10hipError_tPvRmT3_T4_T5_T6_T7_T9_mT8_P12ihipStream_tbDpT10_ENKUlT_T0_E_clISt17integral_constantIbLb0EES18_EEDaS13_S14_EUlS13_E_NS1_11comp_targetILNS1_3genE8ELNS1_11target_archE1030ELNS1_3gpuE2ELNS1_3repE0EEENS1_30default_config_static_selectorELNS0_4arch9wavefront6targetE0EEEvT1_.num_named_barrier, 0
	.set _ZN7rocprim17ROCPRIM_400000_NS6detail17trampoline_kernelINS0_14default_configENS1_25partition_config_selectorILNS1_17partition_subalgoE6EsNS0_10empty_typeEbEEZZNS1_14partition_implILS5_6ELb0ES3_mN6thrust23THRUST_200600_302600_NS6detail15normal_iteratorINSA_10device_ptrIsEEEEPS6_SG_NS0_5tupleIJSF_S6_EEENSH_IJSG_SG_EEES6_PlJNSB_9not_fun_tINSB_14equal_to_valueIsEEEEEEE10hipError_tPvRmT3_T4_T5_T6_T7_T9_mT8_P12ihipStream_tbDpT10_ENKUlT_T0_E_clISt17integral_constantIbLb0EES18_EEDaS13_S14_EUlS13_E_NS1_11comp_targetILNS1_3genE8ELNS1_11target_archE1030ELNS1_3gpuE2ELNS1_3repE0EEENS1_30default_config_static_selectorELNS0_4arch9wavefront6targetE0EEEvT1_.private_seg_size, 0
	.set _ZN7rocprim17ROCPRIM_400000_NS6detail17trampoline_kernelINS0_14default_configENS1_25partition_config_selectorILNS1_17partition_subalgoE6EsNS0_10empty_typeEbEEZZNS1_14partition_implILS5_6ELb0ES3_mN6thrust23THRUST_200600_302600_NS6detail15normal_iteratorINSA_10device_ptrIsEEEEPS6_SG_NS0_5tupleIJSF_S6_EEENSH_IJSG_SG_EEES6_PlJNSB_9not_fun_tINSB_14equal_to_valueIsEEEEEEE10hipError_tPvRmT3_T4_T5_T6_T7_T9_mT8_P12ihipStream_tbDpT10_ENKUlT_T0_E_clISt17integral_constantIbLb0EES18_EEDaS13_S14_EUlS13_E_NS1_11comp_targetILNS1_3genE8ELNS1_11target_archE1030ELNS1_3gpuE2ELNS1_3repE0EEENS1_30default_config_static_selectorELNS0_4arch9wavefront6targetE0EEEvT1_.uses_vcc, 0
	.set _ZN7rocprim17ROCPRIM_400000_NS6detail17trampoline_kernelINS0_14default_configENS1_25partition_config_selectorILNS1_17partition_subalgoE6EsNS0_10empty_typeEbEEZZNS1_14partition_implILS5_6ELb0ES3_mN6thrust23THRUST_200600_302600_NS6detail15normal_iteratorINSA_10device_ptrIsEEEEPS6_SG_NS0_5tupleIJSF_S6_EEENSH_IJSG_SG_EEES6_PlJNSB_9not_fun_tINSB_14equal_to_valueIsEEEEEEE10hipError_tPvRmT3_T4_T5_T6_T7_T9_mT8_P12ihipStream_tbDpT10_ENKUlT_T0_E_clISt17integral_constantIbLb0EES18_EEDaS13_S14_EUlS13_E_NS1_11comp_targetILNS1_3genE8ELNS1_11target_archE1030ELNS1_3gpuE2ELNS1_3repE0EEENS1_30default_config_static_selectorELNS0_4arch9wavefront6targetE0EEEvT1_.uses_flat_scratch, 0
	.set _ZN7rocprim17ROCPRIM_400000_NS6detail17trampoline_kernelINS0_14default_configENS1_25partition_config_selectorILNS1_17partition_subalgoE6EsNS0_10empty_typeEbEEZZNS1_14partition_implILS5_6ELb0ES3_mN6thrust23THRUST_200600_302600_NS6detail15normal_iteratorINSA_10device_ptrIsEEEEPS6_SG_NS0_5tupleIJSF_S6_EEENSH_IJSG_SG_EEES6_PlJNSB_9not_fun_tINSB_14equal_to_valueIsEEEEEEE10hipError_tPvRmT3_T4_T5_T6_T7_T9_mT8_P12ihipStream_tbDpT10_ENKUlT_T0_E_clISt17integral_constantIbLb0EES18_EEDaS13_S14_EUlS13_E_NS1_11comp_targetILNS1_3genE8ELNS1_11target_archE1030ELNS1_3gpuE2ELNS1_3repE0EEENS1_30default_config_static_selectorELNS0_4arch9wavefront6targetE0EEEvT1_.has_dyn_sized_stack, 0
	.set _ZN7rocprim17ROCPRIM_400000_NS6detail17trampoline_kernelINS0_14default_configENS1_25partition_config_selectorILNS1_17partition_subalgoE6EsNS0_10empty_typeEbEEZZNS1_14partition_implILS5_6ELb0ES3_mN6thrust23THRUST_200600_302600_NS6detail15normal_iteratorINSA_10device_ptrIsEEEEPS6_SG_NS0_5tupleIJSF_S6_EEENSH_IJSG_SG_EEES6_PlJNSB_9not_fun_tINSB_14equal_to_valueIsEEEEEEE10hipError_tPvRmT3_T4_T5_T6_T7_T9_mT8_P12ihipStream_tbDpT10_ENKUlT_T0_E_clISt17integral_constantIbLb0EES18_EEDaS13_S14_EUlS13_E_NS1_11comp_targetILNS1_3genE8ELNS1_11target_archE1030ELNS1_3gpuE2ELNS1_3repE0EEENS1_30default_config_static_selectorELNS0_4arch9wavefront6targetE0EEEvT1_.has_recursion, 0
	.set _ZN7rocprim17ROCPRIM_400000_NS6detail17trampoline_kernelINS0_14default_configENS1_25partition_config_selectorILNS1_17partition_subalgoE6EsNS0_10empty_typeEbEEZZNS1_14partition_implILS5_6ELb0ES3_mN6thrust23THRUST_200600_302600_NS6detail15normal_iteratorINSA_10device_ptrIsEEEEPS6_SG_NS0_5tupleIJSF_S6_EEENSH_IJSG_SG_EEES6_PlJNSB_9not_fun_tINSB_14equal_to_valueIsEEEEEEE10hipError_tPvRmT3_T4_T5_T6_T7_T9_mT8_P12ihipStream_tbDpT10_ENKUlT_T0_E_clISt17integral_constantIbLb0EES18_EEDaS13_S14_EUlS13_E_NS1_11comp_targetILNS1_3genE8ELNS1_11target_archE1030ELNS1_3gpuE2ELNS1_3repE0EEENS1_30default_config_static_selectorELNS0_4arch9wavefront6targetE0EEEvT1_.has_indirect_call, 0
	.section	.AMDGPU.csdata,"",@progbits
; Kernel info:
; codeLenInByte = 0
; TotalNumSgprs: 0
; NumVgprs: 0
; ScratchSize: 0
; MemoryBound: 0
; FloatMode: 240
; IeeeMode: 1
; LDSByteSize: 0 bytes/workgroup (compile time only)
; SGPRBlocks: 0
; VGPRBlocks: 0
; NumSGPRsForWavesPerEU: 1
; NumVGPRsForWavesPerEU: 1
; Occupancy: 16
; WaveLimiterHint : 0
; COMPUTE_PGM_RSRC2:SCRATCH_EN: 0
; COMPUTE_PGM_RSRC2:USER_SGPR: 2
; COMPUTE_PGM_RSRC2:TRAP_HANDLER: 0
; COMPUTE_PGM_RSRC2:TGID_X_EN: 1
; COMPUTE_PGM_RSRC2:TGID_Y_EN: 0
; COMPUTE_PGM_RSRC2:TGID_Z_EN: 0
; COMPUTE_PGM_RSRC2:TIDIG_COMP_CNT: 0
	.section	.text._ZN7rocprim17ROCPRIM_400000_NS6detail17trampoline_kernelINS0_14default_configENS1_25partition_config_selectorILNS1_17partition_subalgoE6EsNS0_10empty_typeEbEEZZNS1_14partition_implILS5_6ELb0ES3_mN6thrust23THRUST_200600_302600_NS6detail15normal_iteratorINSA_10device_ptrIsEEEEPS6_SG_NS0_5tupleIJSF_S6_EEENSH_IJSG_SG_EEES6_PlJNSB_9not_fun_tINSB_14equal_to_valueIsEEEEEEE10hipError_tPvRmT3_T4_T5_T6_T7_T9_mT8_P12ihipStream_tbDpT10_ENKUlT_T0_E_clISt17integral_constantIbLb1EES18_EEDaS13_S14_EUlS13_E_NS1_11comp_targetILNS1_3genE0ELNS1_11target_archE4294967295ELNS1_3gpuE0ELNS1_3repE0EEENS1_30default_config_static_selectorELNS0_4arch9wavefront6targetE0EEEvT1_,"axG",@progbits,_ZN7rocprim17ROCPRIM_400000_NS6detail17trampoline_kernelINS0_14default_configENS1_25partition_config_selectorILNS1_17partition_subalgoE6EsNS0_10empty_typeEbEEZZNS1_14partition_implILS5_6ELb0ES3_mN6thrust23THRUST_200600_302600_NS6detail15normal_iteratorINSA_10device_ptrIsEEEEPS6_SG_NS0_5tupleIJSF_S6_EEENSH_IJSG_SG_EEES6_PlJNSB_9not_fun_tINSB_14equal_to_valueIsEEEEEEE10hipError_tPvRmT3_T4_T5_T6_T7_T9_mT8_P12ihipStream_tbDpT10_ENKUlT_T0_E_clISt17integral_constantIbLb1EES18_EEDaS13_S14_EUlS13_E_NS1_11comp_targetILNS1_3genE0ELNS1_11target_archE4294967295ELNS1_3gpuE0ELNS1_3repE0EEENS1_30default_config_static_selectorELNS0_4arch9wavefront6targetE0EEEvT1_,comdat
	.protected	_ZN7rocprim17ROCPRIM_400000_NS6detail17trampoline_kernelINS0_14default_configENS1_25partition_config_selectorILNS1_17partition_subalgoE6EsNS0_10empty_typeEbEEZZNS1_14partition_implILS5_6ELb0ES3_mN6thrust23THRUST_200600_302600_NS6detail15normal_iteratorINSA_10device_ptrIsEEEEPS6_SG_NS0_5tupleIJSF_S6_EEENSH_IJSG_SG_EEES6_PlJNSB_9not_fun_tINSB_14equal_to_valueIsEEEEEEE10hipError_tPvRmT3_T4_T5_T6_T7_T9_mT8_P12ihipStream_tbDpT10_ENKUlT_T0_E_clISt17integral_constantIbLb1EES18_EEDaS13_S14_EUlS13_E_NS1_11comp_targetILNS1_3genE0ELNS1_11target_archE4294967295ELNS1_3gpuE0ELNS1_3repE0EEENS1_30default_config_static_selectorELNS0_4arch9wavefront6targetE0EEEvT1_ ; -- Begin function _ZN7rocprim17ROCPRIM_400000_NS6detail17trampoline_kernelINS0_14default_configENS1_25partition_config_selectorILNS1_17partition_subalgoE6EsNS0_10empty_typeEbEEZZNS1_14partition_implILS5_6ELb0ES3_mN6thrust23THRUST_200600_302600_NS6detail15normal_iteratorINSA_10device_ptrIsEEEEPS6_SG_NS0_5tupleIJSF_S6_EEENSH_IJSG_SG_EEES6_PlJNSB_9not_fun_tINSB_14equal_to_valueIsEEEEEEE10hipError_tPvRmT3_T4_T5_T6_T7_T9_mT8_P12ihipStream_tbDpT10_ENKUlT_T0_E_clISt17integral_constantIbLb1EES18_EEDaS13_S14_EUlS13_E_NS1_11comp_targetILNS1_3genE0ELNS1_11target_archE4294967295ELNS1_3gpuE0ELNS1_3repE0EEENS1_30default_config_static_selectorELNS0_4arch9wavefront6targetE0EEEvT1_
	.globl	_ZN7rocprim17ROCPRIM_400000_NS6detail17trampoline_kernelINS0_14default_configENS1_25partition_config_selectorILNS1_17partition_subalgoE6EsNS0_10empty_typeEbEEZZNS1_14partition_implILS5_6ELb0ES3_mN6thrust23THRUST_200600_302600_NS6detail15normal_iteratorINSA_10device_ptrIsEEEEPS6_SG_NS0_5tupleIJSF_S6_EEENSH_IJSG_SG_EEES6_PlJNSB_9not_fun_tINSB_14equal_to_valueIsEEEEEEE10hipError_tPvRmT3_T4_T5_T6_T7_T9_mT8_P12ihipStream_tbDpT10_ENKUlT_T0_E_clISt17integral_constantIbLb1EES18_EEDaS13_S14_EUlS13_E_NS1_11comp_targetILNS1_3genE0ELNS1_11target_archE4294967295ELNS1_3gpuE0ELNS1_3repE0EEENS1_30default_config_static_selectorELNS0_4arch9wavefront6targetE0EEEvT1_
	.p2align	8
	.type	_ZN7rocprim17ROCPRIM_400000_NS6detail17trampoline_kernelINS0_14default_configENS1_25partition_config_selectorILNS1_17partition_subalgoE6EsNS0_10empty_typeEbEEZZNS1_14partition_implILS5_6ELb0ES3_mN6thrust23THRUST_200600_302600_NS6detail15normal_iteratorINSA_10device_ptrIsEEEEPS6_SG_NS0_5tupleIJSF_S6_EEENSH_IJSG_SG_EEES6_PlJNSB_9not_fun_tINSB_14equal_to_valueIsEEEEEEE10hipError_tPvRmT3_T4_T5_T6_T7_T9_mT8_P12ihipStream_tbDpT10_ENKUlT_T0_E_clISt17integral_constantIbLb1EES18_EEDaS13_S14_EUlS13_E_NS1_11comp_targetILNS1_3genE0ELNS1_11target_archE4294967295ELNS1_3gpuE0ELNS1_3repE0EEENS1_30default_config_static_selectorELNS0_4arch9wavefront6targetE0EEEvT1_,@function
_ZN7rocprim17ROCPRIM_400000_NS6detail17trampoline_kernelINS0_14default_configENS1_25partition_config_selectorILNS1_17partition_subalgoE6EsNS0_10empty_typeEbEEZZNS1_14partition_implILS5_6ELb0ES3_mN6thrust23THRUST_200600_302600_NS6detail15normal_iteratorINSA_10device_ptrIsEEEEPS6_SG_NS0_5tupleIJSF_S6_EEENSH_IJSG_SG_EEES6_PlJNSB_9not_fun_tINSB_14equal_to_valueIsEEEEEEE10hipError_tPvRmT3_T4_T5_T6_T7_T9_mT8_P12ihipStream_tbDpT10_ENKUlT_T0_E_clISt17integral_constantIbLb1EES18_EEDaS13_S14_EUlS13_E_NS1_11comp_targetILNS1_3genE0ELNS1_11target_archE4294967295ELNS1_3gpuE0ELNS1_3repE0EEENS1_30default_config_static_selectorELNS0_4arch9wavefront6targetE0EEEvT1_: ; @_ZN7rocprim17ROCPRIM_400000_NS6detail17trampoline_kernelINS0_14default_configENS1_25partition_config_selectorILNS1_17partition_subalgoE6EsNS0_10empty_typeEbEEZZNS1_14partition_implILS5_6ELb0ES3_mN6thrust23THRUST_200600_302600_NS6detail15normal_iteratorINSA_10device_ptrIsEEEEPS6_SG_NS0_5tupleIJSF_S6_EEENSH_IJSG_SG_EEES6_PlJNSB_9not_fun_tINSB_14equal_to_valueIsEEEEEEE10hipError_tPvRmT3_T4_T5_T6_T7_T9_mT8_P12ihipStream_tbDpT10_ENKUlT_T0_E_clISt17integral_constantIbLb1EES18_EEDaS13_S14_EUlS13_E_NS1_11comp_targetILNS1_3genE0ELNS1_11target_archE4294967295ELNS1_3gpuE0ELNS1_3repE0EEENS1_30default_config_static_selectorELNS0_4arch9wavefront6targetE0EEEvT1_
; %bb.0:
	.section	.rodata,"a",@progbits
	.p2align	6, 0x0
	.amdhsa_kernel _ZN7rocprim17ROCPRIM_400000_NS6detail17trampoline_kernelINS0_14default_configENS1_25partition_config_selectorILNS1_17partition_subalgoE6EsNS0_10empty_typeEbEEZZNS1_14partition_implILS5_6ELb0ES3_mN6thrust23THRUST_200600_302600_NS6detail15normal_iteratorINSA_10device_ptrIsEEEEPS6_SG_NS0_5tupleIJSF_S6_EEENSH_IJSG_SG_EEES6_PlJNSB_9not_fun_tINSB_14equal_to_valueIsEEEEEEE10hipError_tPvRmT3_T4_T5_T6_T7_T9_mT8_P12ihipStream_tbDpT10_ENKUlT_T0_E_clISt17integral_constantIbLb1EES18_EEDaS13_S14_EUlS13_E_NS1_11comp_targetILNS1_3genE0ELNS1_11target_archE4294967295ELNS1_3gpuE0ELNS1_3repE0EEENS1_30default_config_static_selectorELNS0_4arch9wavefront6targetE0EEEvT1_
		.amdhsa_group_segment_fixed_size 0
		.amdhsa_private_segment_fixed_size 0
		.amdhsa_kernarg_size 128
		.amdhsa_user_sgpr_count 2
		.amdhsa_user_sgpr_dispatch_ptr 0
		.amdhsa_user_sgpr_queue_ptr 0
		.amdhsa_user_sgpr_kernarg_segment_ptr 1
		.amdhsa_user_sgpr_dispatch_id 0
		.amdhsa_user_sgpr_private_segment_size 0
		.amdhsa_wavefront_size32 1
		.amdhsa_uses_dynamic_stack 0
		.amdhsa_enable_private_segment 0
		.amdhsa_system_sgpr_workgroup_id_x 1
		.amdhsa_system_sgpr_workgroup_id_y 0
		.amdhsa_system_sgpr_workgroup_id_z 0
		.amdhsa_system_sgpr_workgroup_info 0
		.amdhsa_system_vgpr_workitem_id 0
		.amdhsa_next_free_vgpr 1
		.amdhsa_next_free_sgpr 1
		.amdhsa_reserve_vcc 0
		.amdhsa_float_round_mode_32 0
		.amdhsa_float_round_mode_16_64 0
		.amdhsa_float_denorm_mode_32 3
		.amdhsa_float_denorm_mode_16_64 3
		.amdhsa_fp16_overflow 0
		.amdhsa_workgroup_processor_mode 1
		.amdhsa_memory_ordered 1
		.amdhsa_forward_progress 1
		.amdhsa_inst_pref_size 0
		.amdhsa_round_robin_scheduling 0
		.amdhsa_exception_fp_ieee_invalid_op 0
		.amdhsa_exception_fp_denorm_src 0
		.amdhsa_exception_fp_ieee_div_zero 0
		.amdhsa_exception_fp_ieee_overflow 0
		.amdhsa_exception_fp_ieee_underflow 0
		.amdhsa_exception_fp_ieee_inexact 0
		.amdhsa_exception_int_div_zero 0
	.end_amdhsa_kernel
	.section	.text._ZN7rocprim17ROCPRIM_400000_NS6detail17trampoline_kernelINS0_14default_configENS1_25partition_config_selectorILNS1_17partition_subalgoE6EsNS0_10empty_typeEbEEZZNS1_14partition_implILS5_6ELb0ES3_mN6thrust23THRUST_200600_302600_NS6detail15normal_iteratorINSA_10device_ptrIsEEEEPS6_SG_NS0_5tupleIJSF_S6_EEENSH_IJSG_SG_EEES6_PlJNSB_9not_fun_tINSB_14equal_to_valueIsEEEEEEE10hipError_tPvRmT3_T4_T5_T6_T7_T9_mT8_P12ihipStream_tbDpT10_ENKUlT_T0_E_clISt17integral_constantIbLb1EES18_EEDaS13_S14_EUlS13_E_NS1_11comp_targetILNS1_3genE0ELNS1_11target_archE4294967295ELNS1_3gpuE0ELNS1_3repE0EEENS1_30default_config_static_selectorELNS0_4arch9wavefront6targetE0EEEvT1_,"axG",@progbits,_ZN7rocprim17ROCPRIM_400000_NS6detail17trampoline_kernelINS0_14default_configENS1_25partition_config_selectorILNS1_17partition_subalgoE6EsNS0_10empty_typeEbEEZZNS1_14partition_implILS5_6ELb0ES3_mN6thrust23THRUST_200600_302600_NS6detail15normal_iteratorINSA_10device_ptrIsEEEEPS6_SG_NS0_5tupleIJSF_S6_EEENSH_IJSG_SG_EEES6_PlJNSB_9not_fun_tINSB_14equal_to_valueIsEEEEEEE10hipError_tPvRmT3_T4_T5_T6_T7_T9_mT8_P12ihipStream_tbDpT10_ENKUlT_T0_E_clISt17integral_constantIbLb1EES18_EEDaS13_S14_EUlS13_E_NS1_11comp_targetILNS1_3genE0ELNS1_11target_archE4294967295ELNS1_3gpuE0ELNS1_3repE0EEENS1_30default_config_static_selectorELNS0_4arch9wavefront6targetE0EEEvT1_,comdat
.Lfunc_end509:
	.size	_ZN7rocprim17ROCPRIM_400000_NS6detail17trampoline_kernelINS0_14default_configENS1_25partition_config_selectorILNS1_17partition_subalgoE6EsNS0_10empty_typeEbEEZZNS1_14partition_implILS5_6ELb0ES3_mN6thrust23THRUST_200600_302600_NS6detail15normal_iteratorINSA_10device_ptrIsEEEEPS6_SG_NS0_5tupleIJSF_S6_EEENSH_IJSG_SG_EEES6_PlJNSB_9not_fun_tINSB_14equal_to_valueIsEEEEEEE10hipError_tPvRmT3_T4_T5_T6_T7_T9_mT8_P12ihipStream_tbDpT10_ENKUlT_T0_E_clISt17integral_constantIbLb1EES18_EEDaS13_S14_EUlS13_E_NS1_11comp_targetILNS1_3genE0ELNS1_11target_archE4294967295ELNS1_3gpuE0ELNS1_3repE0EEENS1_30default_config_static_selectorELNS0_4arch9wavefront6targetE0EEEvT1_, .Lfunc_end509-_ZN7rocprim17ROCPRIM_400000_NS6detail17trampoline_kernelINS0_14default_configENS1_25partition_config_selectorILNS1_17partition_subalgoE6EsNS0_10empty_typeEbEEZZNS1_14partition_implILS5_6ELb0ES3_mN6thrust23THRUST_200600_302600_NS6detail15normal_iteratorINSA_10device_ptrIsEEEEPS6_SG_NS0_5tupleIJSF_S6_EEENSH_IJSG_SG_EEES6_PlJNSB_9not_fun_tINSB_14equal_to_valueIsEEEEEEE10hipError_tPvRmT3_T4_T5_T6_T7_T9_mT8_P12ihipStream_tbDpT10_ENKUlT_T0_E_clISt17integral_constantIbLb1EES18_EEDaS13_S14_EUlS13_E_NS1_11comp_targetILNS1_3genE0ELNS1_11target_archE4294967295ELNS1_3gpuE0ELNS1_3repE0EEENS1_30default_config_static_selectorELNS0_4arch9wavefront6targetE0EEEvT1_
                                        ; -- End function
	.set _ZN7rocprim17ROCPRIM_400000_NS6detail17trampoline_kernelINS0_14default_configENS1_25partition_config_selectorILNS1_17partition_subalgoE6EsNS0_10empty_typeEbEEZZNS1_14partition_implILS5_6ELb0ES3_mN6thrust23THRUST_200600_302600_NS6detail15normal_iteratorINSA_10device_ptrIsEEEEPS6_SG_NS0_5tupleIJSF_S6_EEENSH_IJSG_SG_EEES6_PlJNSB_9not_fun_tINSB_14equal_to_valueIsEEEEEEE10hipError_tPvRmT3_T4_T5_T6_T7_T9_mT8_P12ihipStream_tbDpT10_ENKUlT_T0_E_clISt17integral_constantIbLb1EES18_EEDaS13_S14_EUlS13_E_NS1_11comp_targetILNS1_3genE0ELNS1_11target_archE4294967295ELNS1_3gpuE0ELNS1_3repE0EEENS1_30default_config_static_selectorELNS0_4arch9wavefront6targetE0EEEvT1_.num_vgpr, 0
	.set _ZN7rocprim17ROCPRIM_400000_NS6detail17trampoline_kernelINS0_14default_configENS1_25partition_config_selectorILNS1_17partition_subalgoE6EsNS0_10empty_typeEbEEZZNS1_14partition_implILS5_6ELb0ES3_mN6thrust23THRUST_200600_302600_NS6detail15normal_iteratorINSA_10device_ptrIsEEEEPS6_SG_NS0_5tupleIJSF_S6_EEENSH_IJSG_SG_EEES6_PlJNSB_9not_fun_tINSB_14equal_to_valueIsEEEEEEE10hipError_tPvRmT3_T4_T5_T6_T7_T9_mT8_P12ihipStream_tbDpT10_ENKUlT_T0_E_clISt17integral_constantIbLb1EES18_EEDaS13_S14_EUlS13_E_NS1_11comp_targetILNS1_3genE0ELNS1_11target_archE4294967295ELNS1_3gpuE0ELNS1_3repE0EEENS1_30default_config_static_selectorELNS0_4arch9wavefront6targetE0EEEvT1_.num_agpr, 0
	.set _ZN7rocprim17ROCPRIM_400000_NS6detail17trampoline_kernelINS0_14default_configENS1_25partition_config_selectorILNS1_17partition_subalgoE6EsNS0_10empty_typeEbEEZZNS1_14partition_implILS5_6ELb0ES3_mN6thrust23THRUST_200600_302600_NS6detail15normal_iteratorINSA_10device_ptrIsEEEEPS6_SG_NS0_5tupleIJSF_S6_EEENSH_IJSG_SG_EEES6_PlJNSB_9not_fun_tINSB_14equal_to_valueIsEEEEEEE10hipError_tPvRmT3_T4_T5_T6_T7_T9_mT8_P12ihipStream_tbDpT10_ENKUlT_T0_E_clISt17integral_constantIbLb1EES18_EEDaS13_S14_EUlS13_E_NS1_11comp_targetILNS1_3genE0ELNS1_11target_archE4294967295ELNS1_3gpuE0ELNS1_3repE0EEENS1_30default_config_static_selectorELNS0_4arch9wavefront6targetE0EEEvT1_.numbered_sgpr, 0
	.set _ZN7rocprim17ROCPRIM_400000_NS6detail17trampoline_kernelINS0_14default_configENS1_25partition_config_selectorILNS1_17partition_subalgoE6EsNS0_10empty_typeEbEEZZNS1_14partition_implILS5_6ELb0ES3_mN6thrust23THRUST_200600_302600_NS6detail15normal_iteratorINSA_10device_ptrIsEEEEPS6_SG_NS0_5tupleIJSF_S6_EEENSH_IJSG_SG_EEES6_PlJNSB_9not_fun_tINSB_14equal_to_valueIsEEEEEEE10hipError_tPvRmT3_T4_T5_T6_T7_T9_mT8_P12ihipStream_tbDpT10_ENKUlT_T0_E_clISt17integral_constantIbLb1EES18_EEDaS13_S14_EUlS13_E_NS1_11comp_targetILNS1_3genE0ELNS1_11target_archE4294967295ELNS1_3gpuE0ELNS1_3repE0EEENS1_30default_config_static_selectorELNS0_4arch9wavefront6targetE0EEEvT1_.num_named_barrier, 0
	.set _ZN7rocprim17ROCPRIM_400000_NS6detail17trampoline_kernelINS0_14default_configENS1_25partition_config_selectorILNS1_17partition_subalgoE6EsNS0_10empty_typeEbEEZZNS1_14partition_implILS5_6ELb0ES3_mN6thrust23THRUST_200600_302600_NS6detail15normal_iteratorINSA_10device_ptrIsEEEEPS6_SG_NS0_5tupleIJSF_S6_EEENSH_IJSG_SG_EEES6_PlJNSB_9not_fun_tINSB_14equal_to_valueIsEEEEEEE10hipError_tPvRmT3_T4_T5_T6_T7_T9_mT8_P12ihipStream_tbDpT10_ENKUlT_T0_E_clISt17integral_constantIbLb1EES18_EEDaS13_S14_EUlS13_E_NS1_11comp_targetILNS1_3genE0ELNS1_11target_archE4294967295ELNS1_3gpuE0ELNS1_3repE0EEENS1_30default_config_static_selectorELNS0_4arch9wavefront6targetE0EEEvT1_.private_seg_size, 0
	.set _ZN7rocprim17ROCPRIM_400000_NS6detail17trampoline_kernelINS0_14default_configENS1_25partition_config_selectorILNS1_17partition_subalgoE6EsNS0_10empty_typeEbEEZZNS1_14partition_implILS5_6ELb0ES3_mN6thrust23THRUST_200600_302600_NS6detail15normal_iteratorINSA_10device_ptrIsEEEEPS6_SG_NS0_5tupleIJSF_S6_EEENSH_IJSG_SG_EEES6_PlJNSB_9not_fun_tINSB_14equal_to_valueIsEEEEEEE10hipError_tPvRmT3_T4_T5_T6_T7_T9_mT8_P12ihipStream_tbDpT10_ENKUlT_T0_E_clISt17integral_constantIbLb1EES18_EEDaS13_S14_EUlS13_E_NS1_11comp_targetILNS1_3genE0ELNS1_11target_archE4294967295ELNS1_3gpuE0ELNS1_3repE0EEENS1_30default_config_static_selectorELNS0_4arch9wavefront6targetE0EEEvT1_.uses_vcc, 0
	.set _ZN7rocprim17ROCPRIM_400000_NS6detail17trampoline_kernelINS0_14default_configENS1_25partition_config_selectorILNS1_17partition_subalgoE6EsNS0_10empty_typeEbEEZZNS1_14partition_implILS5_6ELb0ES3_mN6thrust23THRUST_200600_302600_NS6detail15normal_iteratorINSA_10device_ptrIsEEEEPS6_SG_NS0_5tupleIJSF_S6_EEENSH_IJSG_SG_EEES6_PlJNSB_9not_fun_tINSB_14equal_to_valueIsEEEEEEE10hipError_tPvRmT3_T4_T5_T6_T7_T9_mT8_P12ihipStream_tbDpT10_ENKUlT_T0_E_clISt17integral_constantIbLb1EES18_EEDaS13_S14_EUlS13_E_NS1_11comp_targetILNS1_3genE0ELNS1_11target_archE4294967295ELNS1_3gpuE0ELNS1_3repE0EEENS1_30default_config_static_selectorELNS0_4arch9wavefront6targetE0EEEvT1_.uses_flat_scratch, 0
	.set _ZN7rocprim17ROCPRIM_400000_NS6detail17trampoline_kernelINS0_14default_configENS1_25partition_config_selectorILNS1_17partition_subalgoE6EsNS0_10empty_typeEbEEZZNS1_14partition_implILS5_6ELb0ES3_mN6thrust23THRUST_200600_302600_NS6detail15normal_iteratorINSA_10device_ptrIsEEEEPS6_SG_NS0_5tupleIJSF_S6_EEENSH_IJSG_SG_EEES6_PlJNSB_9not_fun_tINSB_14equal_to_valueIsEEEEEEE10hipError_tPvRmT3_T4_T5_T6_T7_T9_mT8_P12ihipStream_tbDpT10_ENKUlT_T0_E_clISt17integral_constantIbLb1EES18_EEDaS13_S14_EUlS13_E_NS1_11comp_targetILNS1_3genE0ELNS1_11target_archE4294967295ELNS1_3gpuE0ELNS1_3repE0EEENS1_30default_config_static_selectorELNS0_4arch9wavefront6targetE0EEEvT1_.has_dyn_sized_stack, 0
	.set _ZN7rocprim17ROCPRIM_400000_NS6detail17trampoline_kernelINS0_14default_configENS1_25partition_config_selectorILNS1_17partition_subalgoE6EsNS0_10empty_typeEbEEZZNS1_14partition_implILS5_6ELb0ES3_mN6thrust23THRUST_200600_302600_NS6detail15normal_iteratorINSA_10device_ptrIsEEEEPS6_SG_NS0_5tupleIJSF_S6_EEENSH_IJSG_SG_EEES6_PlJNSB_9not_fun_tINSB_14equal_to_valueIsEEEEEEE10hipError_tPvRmT3_T4_T5_T6_T7_T9_mT8_P12ihipStream_tbDpT10_ENKUlT_T0_E_clISt17integral_constantIbLb1EES18_EEDaS13_S14_EUlS13_E_NS1_11comp_targetILNS1_3genE0ELNS1_11target_archE4294967295ELNS1_3gpuE0ELNS1_3repE0EEENS1_30default_config_static_selectorELNS0_4arch9wavefront6targetE0EEEvT1_.has_recursion, 0
	.set _ZN7rocprim17ROCPRIM_400000_NS6detail17trampoline_kernelINS0_14default_configENS1_25partition_config_selectorILNS1_17partition_subalgoE6EsNS0_10empty_typeEbEEZZNS1_14partition_implILS5_6ELb0ES3_mN6thrust23THRUST_200600_302600_NS6detail15normal_iteratorINSA_10device_ptrIsEEEEPS6_SG_NS0_5tupleIJSF_S6_EEENSH_IJSG_SG_EEES6_PlJNSB_9not_fun_tINSB_14equal_to_valueIsEEEEEEE10hipError_tPvRmT3_T4_T5_T6_T7_T9_mT8_P12ihipStream_tbDpT10_ENKUlT_T0_E_clISt17integral_constantIbLb1EES18_EEDaS13_S14_EUlS13_E_NS1_11comp_targetILNS1_3genE0ELNS1_11target_archE4294967295ELNS1_3gpuE0ELNS1_3repE0EEENS1_30default_config_static_selectorELNS0_4arch9wavefront6targetE0EEEvT1_.has_indirect_call, 0
	.section	.AMDGPU.csdata,"",@progbits
; Kernel info:
; codeLenInByte = 0
; TotalNumSgprs: 0
; NumVgprs: 0
; ScratchSize: 0
; MemoryBound: 0
; FloatMode: 240
; IeeeMode: 1
; LDSByteSize: 0 bytes/workgroup (compile time only)
; SGPRBlocks: 0
; VGPRBlocks: 0
; NumSGPRsForWavesPerEU: 1
; NumVGPRsForWavesPerEU: 1
; Occupancy: 16
; WaveLimiterHint : 0
; COMPUTE_PGM_RSRC2:SCRATCH_EN: 0
; COMPUTE_PGM_RSRC2:USER_SGPR: 2
; COMPUTE_PGM_RSRC2:TRAP_HANDLER: 0
; COMPUTE_PGM_RSRC2:TGID_X_EN: 1
; COMPUTE_PGM_RSRC2:TGID_Y_EN: 0
; COMPUTE_PGM_RSRC2:TGID_Z_EN: 0
; COMPUTE_PGM_RSRC2:TIDIG_COMP_CNT: 0
	.section	.text._ZN7rocprim17ROCPRIM_400000_NS6detail17trampoline_kernelINS0_14default_configENS1_25partition_config_selectorILNS1_17partition_subalgoE6EsNS0_10empty_typeEbEEZZNS1_14partition_implILS5_6ELb0ES3_mN6thrust23THRUST_200600_302600_NS6detail15normal_iteratorINSA_10device_ptrIsEEEEPS6_SG_NS0_5tupleIJSF_S6_EEENSH_IJSG_SG_EEES6_PlJNSB_9not_fun_tINSB_14equal_to_valueIsEEEEEEE10hipError_tPvRmT3_T4_T5_T6_T7_T9_mT8_P12ihipStream_tbDpT10_ENKUlT_T0_E_clISt17integral_constantIbLb1EES18_EEDaS13_S14_EUlS13_E_NS1_11comp_targetILNS1_3genE5ELNS1_11target_archE942ELNS1_3gpuE9ELNS1_3repE0EEENS1_30default_config_static_selectorELNS0_4arch9wavefront6targetE0EEEvT1_,"axG",@progbits,_ZN7rocprim17ROCPRIM_400000_NS6detail17trampoline_kernelINS0_14default_configENS1_25partition_config_selectorILNS1_17partition_subalgoE6EsNS0_10empty_typeEbEEZZNS1_14partition_implILS5_6ELb0ES3_mN6thrust23THRUST_200600_302600_NS6detail15normal_iteratorINSA_10device_ptrIsEEEEPS6_SG_NS0_5tupleIJSF_S6_EEENSH_IJSG_SG_EEES6_PlJNSB_9not_fun_tINSB_14equal_to_valueIsEEEEEEE10hipError_tPvRmT3_T4_T5_T6_T7_T9_mT8_P12ihipStream_tbDpT10_ENKUlT_T0_E_clISt17integral_constantIbLb1EES18_EEDaS13_S14_EUlS13_E_NS1_11comp_targetILNS1_3genE5ELNS1_11target_archE942ELNS1_3gpuE9ELNS1_3repE0EEENS1_30default_config_static_selectorELNS0_4arch9wavefront6targetE0EEEvT1_,comdat
	.protected	_ZN7rocprim17ROCPRIM_400000_NS6detail17trampoline_kernelINS0_14default_configENS1_25partition_config_selectorILNS1_17partition_subalgoE6EsNS0_10empty_typeEbEEZZNS1_14partition_implILS5_6ELb0ES3_mN6thrust23THRUST_200600_302600_NS6detail15normal_iteratorINSA_10device_ptrIsEEEEPS6_SG_NS0_5tupleIJSF_S6_EEENSH_IJSG_SG_EEES6_PlJNSB_9not_fun_tINSB_14equal_to_valueIsEEEEEEE10hipError_tPvRmT3_T4_T5_T6_T7_T9_mT8_P12ihipStream_tbDpT10_ENKUlT_T0_E_clISt17integral_constantIbLb1EES18_EEDaS13_S14_EUlS13_E_NS1_11comp_targetILNS1_3genE5ELNS1_11target_archE942ELNS1_3gpuE9ELNS1_3repE0EEENS1_30default_config_static_selectorELNS0_4arch9wavefront6targetE0EEEvT1_ ; -- Begin function _ZN7rocprim17ROCPRIM_400000_NS6detail17trampoline_kernelINS0_14default_configENS1_25partition_config_selectorILNS1_17partition_subalgoE6EsNS0_10empty_typeEbEEZZNS1_14partition_implILS5_6ELb0ES3_mN6thrust23THRUST_200600_302600_NS6detail15normal_iteratorINSA_10device_ptrIsEEEEPS6_SG_NS0_5tupleIJSF_S6_EEENSH_IJSG_SG_EEES6_PlJNSB_9not_fun_tINSB_14equal_to_valueIsEEEEEEE10hipError_tPvRmT3_T4_T5_T6_T7_T9_mT8_P12ihipStream_tbDpT10_ENKUlT_T0_E_clISt17integral_constantIbLb1EES18_EEDaS13_S14_EUlS13_E_NS1_11comp_targetILNS1_3genE5ELNS1_11target_archE942ELNS1_3gpuE9ELNS1_3repE0EEENS1_30default_config_static_selectorELNS0_4arch9wavefront6targetE0EEEvT1_
	.globl	_ZN7rocprim17ROCPRIM_400000_NS6detail17trampoline_kernelINS0_14default_configENS1_25partition_config_selectorILNS1_17partition_subalgoE6EsNS0_10empty_typeEbEEZZNS1_14partition_implILS5_6ELb0ES3_mN6thrust23THRUST_200600_302600_NS6detail15normal_iteratorINSA_10device_ptrIsEEEEPS6_SG_NS0_5tupleIJSF_S6_EEENSH_IJSG_SG_EEES6_PlJNSB_9not_fun_tINSB_14equal_to_valueIsEEEEEEE10hipError_tPvRmT3_T4_T5_T6_T7_T9_mT8_P12ihipStream_tbDpT10_ENKUlT_T0_E_clISt17integral_constantIbLb1EES18_EEDaS13_S14_EUlS13_E_NS1_11comp_targetILNS1_3genE5ELNS1_11target_archE942ELNS1_3gpuE9ELNS1_3repE0EEENS1_30default_config_static_selectorELNS0_4arch9wavefront6targetE0EEEvT1_
	.p2align	8
	.type	_ZN7rocprim17ROCPRIM_400000_NS6detail17trampoline_kernelINS0_14default_configENS1_25partition_config_selectorILNS1_17partition_subalgoE6EsNS0_10empty_typeEbEEZZNS1_14partition_implILS5_6ELb0ES3_mN6thrust23THRUST_200600_302600_NS6detail15normal_iteratorINSA_10device_ptrIsEEEEPS6_SG_NS0_5tupleIJSF_S6_EEENSH_IJSG_SG_EEES6_PlJNSB_9not_fun_tINSB_14equal_to_valueIsEEEEEEE10hipError_tPvRmT3_T4_T5_T6_T7_T9_mT8_P12ihipStream_tbDpT10_ENKUlT_T0_E_clISt17integral_constantIbLb1EES18_EEDaS13_S14_EUlS13_E_NS1_11comp_targetILNS1_3genE5ELNS1_11target_archE942ELNS1_3gpuE9ELNS1_3repE0EEENS1_30default_config_static_selectorELNS0_4arch9wavefront6targetE0EEEvT1_,@function
_ZN7rocprim17ROCPRIM_400000_NS6detail17trampoline_kernelINS0_14default_configENS1_25partition_config_selectorILNS1_17partition_subalgoE6EsNS0_10empty_typeEbEEZZNS1_14partition_implILS5_6ELb0ES3_mN6thrust23THRUST_200600_302600_NS6detail15normal_iteratorINSA_10device_ptrIsEEEEPS6_SG_NS0_5tupleIJSF_S6_EEENSH_IJSG_SG_EEES6_PlJNSB_9not_fun_tINSB_14equal_to_valueIsEEEEEEE10hipError_tPvRmT3_T4_T5_T6_T7_T9_mT8_P12ihipStream_tbDpT10_ENKUlT_T0_E_clISt17integral_constantIbLb1EES18_EEDaS13_S14_EUlS13_E_NS1_11comp_targetILNS1_3genE5ELNS1_11target_archE942ELNS1_3gpuE9ELNS1_3repE0EEENS1_30default_config_static_selectorELNS0_4arch9wavefront6targetE0EEEvT1_: ; @_ZN7rocprim17ROCPRIM_400000_NS6detail17trampoline_kernelINS0_14default_configENS1_25partition_config_selectorILNS1_17partition_subalgoE6EsNS0_10empty_typeEbEEZZNS1_14partition_implILS5_6ELb0ES3_mN6thrust23THRUST_200600_302600_NS6detail15normal_iteratorINSA_10device_ptrIsEEEEPS6_SG_NS0_5tupleIJSF_S6_EEENSH_IJSG_SG_EEES6_PlJNSB_9not_fun_tINSB_14equal_to_valueIsEEEEEEE10hipError_tPvRmT3_T4_T5_T6_T7_T9_mT8_P12ihipStream_tbDpT10_ENKUlT_T0_E_clISt17integral_constantIbLb1EES18_EEDaS13_S14_EUlS13_E_NS1_11comp_targetILNS1_3genE5ELNS1_11target_archE942ELNS1_3gpuE9ELNS1_3repE0EEENS1_30default_config_static_selectorELNS0_4arch9wavefront6targetE0EEEvT1_
; %bb.0:
	.section	.rodata,"a",@progbits
	.p2align	6, 0x0
	.amdhsa_kernel _ZN7rocprim17ROCPRIM_400000_NS6detail17trampoline_kernelINS0_14default_configENS1_25partition_config_selectorILNS1_17partition_subalgoE6EsNS0_10empty_typeEbEEZZNS1_14partition_implILS5_6ELb0ES3_mN6thrust23THRUST_200600_302600_NS6detail15normal_iteratorINSA_10device_ptrIsEEEEPS6_SG_NS0_5tupleIJSF_S6_EEENSH_IJSG_SG_EEES6_PlJNSB_9not_fun_tINSB_14equal_to_valueIsEEEEEEE10hipError_tPvRmT3_T4_T5_T6_T7_T9_mT8_P12ihipStream_tbDpT10_ENKUlT_T0_E_clISt17integral_constantIbLb1EES18_EEDaS13_S14_EUlS13_E_NS1_11comp_targetILNS1_3genE5ELNS1_11target_archE942ELNS1_3gpuE9ELNS1_3repE0EEENS1_30default_config_static_selectorELNS0_4arch9wavefront6targetE0EEEvT1_
		.amdhsa_group_segment_fixed_size 0
		.amdhsa_private_segment_fixed_size 0
		.amdhsa_kernarg_size 128
		.amdhsa_user_sgpr_count 2
		.amdhsa_user_sgpr_dispatch_ptr 0
		.amdhsa_user_sgpr_queue_ptr 0
		.amdhsa_user_sgpr_kernarg_segment_ptr 1
		.amdhsa_user_sgpr_dispatch_id 0
		.amdhsa_user_sgpr_private_segment_size 0
		.amdhsa_wavefront_size32 1
		.amdhsa_uses_dynamic_stack 0
		.amdhsa_enable_private_segment 0
		.amdhsa_system_sgpr_workgroup_id_x 1
		.amdhsa_system_sgpr_workgroup_id_y 0
		.amdhsa_system_sgpr_workgroup_id_z 0
		.amdhsa_system_sgpr_workgroup_info 0
		.amdhsa_system_vgpr_workitem_id 0
		.amdhsa_next_free_vgpr 1
		.amdhsa_next_free_sgpr 1
		.amdhsa_reserve_vcc 0
		.amdhsa_float_round_mode_32 0
		.amdhsa_float_round_mode_16_64 0
		.amdhsa_float_denorm_mode_32 3
		.amdhsa_float_denorm_mode_16_64 3
		.amdhsa_fp16_overflow 0
		.amdhsa_workgroup_processor_mode 1
		.amdhsa_memory_ordered 1
		.amdhsa_forward_progress 1
		.amdhsa_inst_pref_size 0
		.amdhsa_round_robin_scheduling 0
		.amdhsa_exception_fp_ieee_invalid_op 0
		.amdhsa_exception_fp_denorm_src 0
		.amdhsa_exception_fp_ieee_div_zero 0
		.amdhsa_exception_fp_ieee_overflow 0
		.amdhsa_exception_fp_ieee_underflow 0
		.amdhsa_exception_fp_ieee_inexact 0
		.amdhsa_exception_int_div_zero 0
	.end_amdhsa_kernel
	.section	.text._ZN7rocprim17ROCPRIM_400000_NS6detail17trampoline_kernelINS0_14default_configENS1_25partition_config_selectorILNS1_17partition_subalgoE6EsNS0_10empty_typeEbEEZZNS1_14partition_implILS5_6ELb0ES3_mN6thrust23THRUST_200600_302600_NS6detail15normal_iteratorINSA_10device_ptrIsEEEEPS6_SG_NS0_5tupleIJSF_S6_EEENSH_IJSG_SG_EEES6_PlJNSB_9not_fun_tINSB_14equal_to_valueIsEEEEEEE10hipError_tPvRmT3_T4_T5_T6_T7_T9_mT8_P12ihipStream_tbDpT10_ENKUlT_T0_E_clISt17integral_constantIbLb1EES18_EEDaS13_S14_EUlS13_E_NS1_11comp_targetILNS1_3genE5ELNS1_11target_archE942ELNS1_3gpuE9ELNS1_3repE0EEENS1_30default_config_static_selectorELNS0_4arch9wavefront6targetE0EEEvT1_,"axG",@progbits,_ZN7rocprim17ROCPRIM_400000_NS6detail17trampoline_kernelINS0_14default_configENS1_25partition_config_selectorILNS1_17partition_subalgoE6EsNS0_10empty_typeEbEEZZNS1_14partition_implILS5_6ELb0ES3_mN6thrust23THRUST_200600_302600_NS6detail15normal_iteratorINSA_10device_ptrIsEEEEPS6_SG_NS0_5tupleIJSF_S6_EEENSH_IJSG_SG_EEES6_PlJNSB_9not_fun_tINSB_14equal_to_valueIsEEEEEEE10hipError_tPvRmT3_T4_T5_T6_T7_T9_mT8_P12ihipStream_tbDpT10_ENKUlT_T0_E_clISt17integral_constantIbLb1EES18_EEDaS13_S14_EUlS13_E_NS1_11comp_targetILNS1_3genE5ELNS1_11target_archE942ELNS1_3gpuE9ELNS1_3repE0EEENS1_30default_config_static_selectorELNS0_4arch9wavefront6targetE0EEEvT1_,comdat
.Lfunc_end510:
	.size	_ZN7rocprim17ROCPRIM_400000_NS6detail17trampoline_kernelINS0_14default_configENS1_25partition_config_selectorILNS1_17partition_subalgoE6EsNS0_10empty_typeEbEEZZNS1_14partition_implILS5_6ELb0ES3_mN6thrust23THRUST_200600_302600_NS6detail15normal_iteratorINSA_10device_ptrIsEEEEPS6_SG_NS0_5tupleIJSF_S6_EEENSH_IJSG_SG_EEES6_PlJNSB_9not_fun_tINSB_14equal_to_valueIsEEEEEEE10hipError_tPvRmT3_T4_T5_T6_T7_T9_mT8_P12ihipStream_tbDpT10_ENKUlT_T0_E_clISt17integral_constantIbLb1EES18_EEDaS13_S14_EUlS13_E_NS1_11comp_targetILNS1_3genE5ELNS1_11target_archE942ELNS1_3gpuE9ELNS1_3repE0EEENS1_30default_config_static_selectorELNS0_4arch9wavefront6targetE0EEEvT1_, .Lfunc_end510-_ZN7rocprim17ROCPRIM_400000_NS6detail17trampoline_kernelINS0_14default_configENS1_25partition_config_selectorILNS1_17partition_subalgoE6EsNS0_10empty_typeEbEEZZNS1_14partition_implILS5_6ELb0ES3_mN6thrust23THRUST_200600_302600_NS6detail15normal_iteratorINSA_10device_ptrIsEEEEPS6_SG_NS0_5tupleIJSF_S6_EEENSH_IJSG_SG_EEES6_PlJNSB_9not_fun_tINSB_14equal_to_valueIsEEEEEEE10hipError_tPvRmT3_T4_T5_T6_T7_T9_mT8_P12ihipStream_tbDpT10_ENKUlT_T0_E_clISt17integral_constantIbLb1EES18_EEDaS13_S14_EUlS13_E_NS1_11comp_targetILNS1_3genE5ELNS1_11target_archE942ELNS1_3gpuE9ELNS1_3repE0EEENS1_30default_config_static_selectorELNS0_4arch9wavefront6targetE0EEEvT1_
                                        ; -- End function
	.set _ZN7rocprim17ROCPRIM_400000_NS6detail17trampoline_kernelINS0_14default_configENS1_25partition_config_selectorILNS1_17partition_subalgoE6EsNS0_10empty_typeEbEEZZNS1_14partition_implILS5_6ELb0ES3_mN6thrust23THRUST_200600_302600_NS6detail15normal_iteratorINSA_10device_ptrIsEEEEPS6_SG_NS0_5tupleIJSF_S6_EEENSH_IJSG_SG_EEES6_PlJNSB_9not_fun_tINSB_14equal_to_valueIsEEEEEEE10hipError_tPvRmT3_T4_T5_T6_T7_T9_mT8_P12ihipStream_tbDpT10_ENKUlT_T0_E_clISt17integral_constantIbLb1EES18_EEDaS13_S14_EUlS13_E_NS1_11comp_targetILNS1_3genE5ELNS1_11target_archE942ELNS1_3gpuE9ELNS1_3repE0EEENS1_30default_config_static_selectorELNS0_4arch9wavefront6targetE0EEEvT1_.num_vgpr, 0
	.set _ZN7rocprim17ROCPRIM_400000_NS6detail17trampoline_kernelINS0_14default_configENS1_25partition_config_selectorILNS1_17partition_subalgoE6EsNS0_10empty_typeEbEEZZNS1_14partition_implILS5_6ELb0ES3_mN6thrust23THRUST_200600_302600_NS6detail15normal_iteratorINSA_10device_ptrIsEEEEPS6_SG_NS0_5tupleIJSF_S6_EEENSH_IJSG_SG_EEES6_PlJNSB_9not_fun_tINSB_14equal_to_valueIsEEEEEEE10hipError_tPvRmT3_T4_T5_T6_T7_T9_mT8_P12ihipStream_tbDpT10_ENKUlT_T0_E_clISt17integral_constantIbLb1EES18_EEDaS13_S14_EUlS13_E_NS1_11comp_targetILNS1_3genE5ELNS1_11target_archE942ELNS1_3gpuE9ELNS1_3repE0EEENS1_30default_config_static_selectorELNS0_4arch9wavefront6targetE0EEEvT1_.num_agpr, 0
	.set _ZN7rocprim17ROCPRIM_400000_NS6detail17trampoline_kernelINS0_14default_configENS1_25partition_config_selectorILNS1_17partition_subalgoE6EsNS0_10empty_typeEbEEZZNS1_14partition_implILS5_6ELb0ES3_mN6thrust23THRUST_200600_302600_NS6detail15normal_iteratorINSA_10device_ptrIsEEEEPS6_SG_NS0_5tupleIJSF_S6_EEENSH_IJSG_SG_EEES6_PlJNSB_9not_fun_tINSB_14equal_to_valueIsEEEEEEE10hipError_tPvRmT3_T4_T5_T6_T7_T9_mT8_P12ihipStream_tbDpT10_ENKUlT_T0_E_clISt17integral_constantIbLb1EES18_EEDaS13_S14_EUlS13_E_NS1_11comp_targetILNS1_3genE5ELNS1_11target_archE942ELNS1_3gpuE9ELNS1_3repE0EEENS1_30default_config_static_selectorELNS0_4arch9wavefront6targetE0EEEvT1_.numbered_sgpr, 0
	.set _ZN7rocprim17ROCPRIM_400000_NS6detail17trampoline_kernelINS0_14default_configENS1_25partition_config_selectorILNS1_17partition_subalgoE6EsNS0_10empty_typeEbEEZZNS1_14partition_implILS5_6ELb0ES3_mN6thrust23THRUST_200600_302600_NS6detail15normal_iteratorINSA_10device_ptrIsEEEEPS6_SG_NS0_5tupleIJSF_S6_EEENSH_IJSG_SG_EEES6_PlJNSB_9not_fun_tINSB_14equal_to_valueIsEEEEEEE10hipError_tPvRmT3_T4_T5_T6_T7_T9_mT8_P12ihipStream_tbDpT10_ENKUlT_T0_E_clISt17integral_constantIbLb1EES18_EEDaS13_S14_EUlS13_E_NS1_11comp_targetILNS1_3genE5ELNS1_11target_archE942ELNS1_3gpuE9ELNS1_3repE0EEENS1_30default_config_static_selectorELNS0_4arch9wavefront6targetE0EEEvT1_.num_named_barrier, 0
	.set _ZN7rocprim17ROCPRIM_400000_NS6detail17trampoline_kernelINS0_14default_configENS1_25partition_config_selectorILNS1_17partition_subalgoE6EsNS0_10empty_typeEbEEZZNS1_14partition_implILS5_6ELb0ES3_mN6thrust23THRUST_200600_302600_NS6detail15normal_iteratorINSA_10device_ptrIsEEEEPS6_SG_NS0_5tupleIJSF_S6_EEENSH_IJSG_SG_EEES6_PlJNSB_9not_fun_tINSB_14equal_to_valueIsEEEEEEE10hipError_tPvRmT3_T4_T5_T6_T7_T9_mT8_P12ihipStream_tbDpT10_ENKUlT_T0_E_clISt17integral_constantIbLb1EES18_EEDaS13_S14_EUlS13_E_NS1_11comp_targetILNS1_3genE5ELNS1_11target_archE942ELNS1_3gpuE9ELNS1_3repE0EEENS1_30default_config_static_selectorELNS0_4arch9wavefront6targetE0EEEvT1_.private_seg_size, 0
	.set _ZN7rocprim17ROCPRIM_400000_NS6detail17trampoline_kernelINS0_14default_configENS1_25partition_config_selectorILNS1_17partition_subalgoE6EsNS0_10empty_typeEbEEZZNS1_14partition_implILS5_6ELb0ES3_mN6thrust23THRUST_200600_302600_NS6detail15normal_iteratorINSA_10device_ptrIsEEEEPS6_SG_NS0_5tupleIJSF_S6_EEENSH_IJSG_SG_EEES6_PlJNSB_9not_fun_tINSB_14equal_to_valueIsEEEEEEE10hipError_tPvRmT3_T4_T5_T6_T7_T9_mT8_P12ihipStream_tbDpT10_ENKUlT_T0_E_clISt17integral_constantIbLb1EES18_EEDaS13_S14_EUlS13_E_NS1_11comp_targetILNS1_3genE5ELNS1_11target_archE942ELNS1_3gpuE9ELNS1_3repE0EEENS1_30default_config_static_selectorELNS0_4arch9wavefront6targetE0EEEvT1_.uses_vcc, 0
	.set _ZN7rocprim17ROCPRIM_400000_NS6detail17trampoline_kernelINS0_14default_configENS1_25partition_config_selectorILNS1_17partition_subalgoE6EsNS0_10empty_typeEbEEZZNS1_14partition_implILS5_6ELb0ES3_mN6thrust23THRUST_200600_302600_NS6detail15normal_iteratorINSA_10device_ptrIsEEEEPS6_SG_NS0_5tupleIJSF_S6_EEENSH_IJSG_SG_EEES6_PlJNSB_9not_fun_tINSB_14equal_to_valueIsEEEEEEE10hipError_tPvRmT3_T4_T5_T6_T7_T9_mT8_P12ihipStream_tbDpT10_ENKUlT_T0_E_clISt17integral_constantIbLb1EES18_EEDaS13_S14_EUlS13_E_NS1_11comp_targetILNS1_3genE5ELNS1_11target_archE942ELNS1_3gpuE9ELNS1_3repE0EEENS1_30default_config_static_selectorELNS0_4arch9wavefront6targetE0EEEvT1_.uses_flat_scratch, 0
	.set _ZN7rocprim17ROCPRIM_400000_NS6detail17trampoline_kernelINS0_14default_configENS1_25partition_config_selectorILNS1_17partition_subalgoE6EsNS0_10empty_typeEbEEZZNS1_14partition_implILS5_6ELb0ES3_mN6thrust23THRUST_200600_302600_NS6detail15normal_iteratorINSA_10device_ptrIsEEEEPS6_SG_NS0_5tupleIJSF_S6_EEENSH_IJSG_SG_EEES6_PlJNSB_9not_fun_tINSB_14equal_to_valueIsEEEEEEE10hipError_tPvRmT3_T4_T5_T6_T7_T9_mT8_P12ihipStream_tbDpT10_ENKUlT_T0_E_clISt17integral_constantIbLb1EES18_EEDaS13_S14_EUlS13_E_NS1_11comp_targetILNS1_3genE5ELNS1_11target_archE942ELNS1_3gpuE9ELNS1_3repE0EEENS1_30default_config_static_selectorELNS0_4arch9wavefront6targetE0EEEvT1_.has_dyn_sized_stack, 0
	.set _ZN7rocprim17ROCPRIM_400000_NS6detail17trampoline_kernelINS0_14default_configENS1_25partition_config_selectorILNS1_17partition_subalgoE6EsNS0_10empty_typeEbEEZZNS1_14partition_implILS5_6ELb0ES3_mN6thrust23THRUST_200600_302600_NS6detail15normal_iteratorINSA_10device_ptrIsEEEEPS6_SG_NS0_5tupleIJSF_S6_EEENSH_IJSG_SG_EEES6_PlJNSB_9not_fun_tINSB_14equal_to_valueIsEEEEEEE10hipError_tPvRmT3_T4_T5_T6_T7_T9_mT8_P12ihipStream_tbDpT10_ENKUlT_T0_E_clISt17integral_constantIbLb1EES18_EEDaS13_S14_EUlS13_E_NS1_11comp_targetILNS1_3genE5ELNS1_11target_archE942ELNS1_3gpuE9ELNS1_3repE0EEENS1_30default_config_static_selectorELNS0_4arch9wavefront6targetE0EEEvT1_.has_recursion, 0
	.set _ZN7rocprim17ROCPRIM_400000_NS6detail17trampoline_kernelINS0_14default_configENS1_25partition_config_selectorILNS1_17partition_subalgoE6EsNS0_10empty_typeEbEEZZNS1_14partition_implILS5_6ELb0ES3_mN6thrust23THRUST_200600_302600_NS6detail15normal_iteratorINSA_10device_ptrIsEEEEPS6_SG_NS0_5tupleIJSF_S6_EEENSH_IJSG_SG_EEES6_PlJNSB_9not_fun_tINSB_14equal_to_valueIsEEEEEEE10hipError_tPvRmT3_T4_T5_T6_T7_T9_mT8_P12ihipStream_tbDpT10_ENKUlT_T0_E_clISt17integral_constantIbLb1EES18_EEDaS13_S14_EUlS13_E_NS1_11comp_targetILNS1_3genE5ELNS1_11target_archE942ELNS1_3gpuE9ELNS1_3repE0EEENS1_30default_config_static_selectorELNS0_4arch9wavefront6targetE0EEEvT1_.has_indirect_call, 0
	.section	.AMDGPU.csdata,"",@progbits
; Kernel info:
; codeLenInByte = 0
; TotalNumSgprs: 0
; NumVgprs: 0
; ScratchSize: 0
; MemoryBound: 0
; FloatMode: 240
; IeeeMode: 1
; LDSByteSize: 0 bytes/workgroup (compile time only)
; SGPRBlocks: 0
; VGPRBlocks: 0
; NumSGPRsForWavesPerEU: 1
; NumVGPRsForWavesPerEU: 1
; Occupancy: 16
; WaveLimiterHint : 0
; COMPUTE_PGM_RSRC2:SCRATCH_EN: 0
; COMPUTE_PGM_RSRC2:USER_SGPR: 2
; COMPUTE_PGM_RSRC2:TRAP_HANDLER: 0
; COMPUTE_PGM_RSRC2:TGID_X_EN: 1
; COMPUTE_PGM_RSRC2:TGID_Y_EN: 0
; COMPUTE_PGM_RSRC2:TGID_Z_EN: 0
; COMPUTE_PGM_RSRC2:TIDIG_COMP_CNT: 0
	.section	.text._ZN7rocprim17ROCPRIM_400000_NS6detail17trampoline_kernelINS0_14default_configENS1_25partition_config_selectorILNS1_17partition_subalgoE6EsNS0_10empty_typeEbEEZZNS1_14partition_implILS5_6ELb0ES3_mN6thrust23THRUST_200600_302600_NS6detail15normal_iteratorINSA_10device_ptrIsEEEEPS6_SG_NS0_5tupleIJSF_S6_EEENSH_IJSG_SG_EEES6_PlJNSB_9not_fun_tINSB_14equal_to_valueIsEEEEEEE10hipError_tPvRmT3_T4_T5_T6_T7_T9_mT8_P12ihipStream_tbDpT10_ENKUlT_T0_E_clISt17integral_constantIbLb1EES18_EEDaS13_S14_EUlS13_E_NS1_11comp_targetILNS1_3genE4ELNS1_11target_archE910ELNS1_3gpuE8ELNS1_3repE0EEENS1_30default_config_static_selectorELNS0_4arch9wavefront6targetE0EEEvT1_,"axG",@progbits,_ZN7rocprim17ROCPRIM_400000_NS6detail17trampoline_kernelINS0_14default_configENS1_25partition_config_selectorILNS1_17partition_subalgoE6EsNS0_10empty_typeEbEEZZNS1_14partition_implILS5_6ELb0ES3_mN6thrust23THRUST_200600_302600_NS6detail15normal_iteratorINSA_10device_ptrIsEEEEPS6_SG_NS0_5tupleIJSF_S6_EEENSH_IJSG_SG_EEES6_PlJNSB_9not_fun_tINSB_14equal_to_valueIsEEEEEEE10hipError_tPvRmT3_T4_T5_T6_T7_T9_mT8_P12ihipStream_tbDpT10_ENKUlT_T0_E_clISt17integral_constantIbLb1EES18_EEDaS13_S14_EUlS13_E_NS1_11comp_targetILNS1_3genE4ELNS1_11target_archE910ELNS1_3gpuE8ELNS1_3repE0EEENS1_30default_config_static_selectorELNS0_4arch9wavefront6targetE0EEEvT1_,comdat
	.protected	_ZN7rocprim17ROCPRIM_400000_NS6detail17trampoline_kernelINS0_14default_configENS1_25partition_config_selectorILNS1_17partition_subalgoE6EsNS0_10empty_typeEbEEZZNS1_14partition_implILS5_6ELb0ES3_mN6thrust23THRUST_200600_302600_NS6detail15normal_iteratorINSA_10device_ptrIsEEEEPS6_SG_NS0_5tupleIJSF_S6_EEENSH_IJSG_SG_EEES6_PlJNSB_9not_fun_tINSB_14equal_to_valueIsEEEEEEE10hipError_tPvRmT3_T4_T5_T6_T7_T9_mT8_P12ihipStream_tbDpT10_ENKUlT_T0_E_clISt17integral_constantIbLb1EES18_EEDaS13_S14_EUlS13_E_NS1_11comp_targetILNS1_3genE4ELNS1_11target_archE910ELNS1_3gpuE8ELNS1_3repE0EEENS1_30default_config_static_selectorELNS0_4arch9wavefront6targetE0EEEvT1_ ; -- Begin function _ZN7rocprim17ROCPRIM_400000_NS6detail17trampoline_kernelINS0_14default_configENS1_25partition_config_selectorILNS1_17partition_subalgoE6EsNS0_10empty_typeEbEEZZNS1_14partition_implILS5_6ELb0ES3_mN6thrust23THRUST_200600_302600_NS6detail15normal_iteratorINSA_10device_ptrIsEEEEPS6_SG_NS0_5tupleIJSF_S6_EEENSH_IJSG_SG_EEES6_PlJNSB_9not_fun_tINSB_14equal_to_valueIsEEEEEEE10hipError_tPvRmT3_T4_T5_T6_T7_T9_mT8_P12ihipStream_tbDpT10_ENKUlT_T0_E_clISt17integral_constantIbLb1EES18_EEDaS13_S14_EUlS13_E_NS1_11comp_targetILNS1_3genE4ELNS1_11target_archE910ELNS1_3gpuE8ELNS1_3repE0EEENS1_30default_config_static_selectorELNS0_4arch9wavefront6targetE0EEEvT1_
	.globl	_ZN7rocprim17ROCPRIM_400000_NS6detail17trampoline_kernelINS0_14default_configENS1_25partition_config_selectorILNS1_17partition_subalgoE6EsNS0_10empty_typeEbEEZZNS1_14partition_implILS5_6ELb0ES3_mN6thrust23THRUST_200600_302600_NS6detail15normal_iteratorINSA_10device_ptrIsEEEEPS6_SG_NS0_5tupleIJSF_S6_EEENSH_IJSG_SG_EEES6_PlJNSB_9not_fun_tINSB_14equal_to_valueIsEEEEEEE10hipError_tPvRmT3_T4_T5_T6_T7_T9_mT8_P12ihipStream_tbDpT10_ENKUlT_T0_E_clISt17integral_constantIbLb1EES18_EEDaS13_S14_EUlS13_E_NS1_11comp_targetILNS1_3genE4ELNS1_11target_archE910ELNS1_3gpuE8ELNS1_3repE0EEENS1_30default_config_static_selectorELNS0_4arch9wavefront6targetE0EEEvT1_
	.p2align	8
	.type	_ZN7rocprim17ROCPRIM_400000_NS6detail17trampoline_kernelINS0_14default_configENS1_25partition_config_selectorILNS1_17partition_subalgoE6EsNS0_10empty_typeEbEEZZNS1_14partition_implILS5_6ELb0ES3_mN6thrust23THRUST_200600_302600_NS6detail15normal_iteratorINSA_10device_ptrIsEEEEPS6_SG_NS0_5tupleIJSF_S6_EEENSH_IJSG_SG_EEES6_PlJNSB_9not_fun_tINSB_14equal_to_valueIsEEEEEEE10hipError_tPvRmT3_T4_T5_T6_T7_T9_mT8_P12ihipStream_tbDpT10_ENKUlT_T0_E_clISt17integral_constantIbLb1EES18_EEDaS13_S14_EUlS13_E_NS1_11comp_targetILNS1_3genE4ELNS1_11target_archE910ELNS1_3gpuE8ELNS1_3repE0EEENS1_30default_config_static_selectorELNS0_4arch9wavefront6targetE0EEEvT1_,@function
_ZN7rocprim17ROCPRIM_400000_NS6detail17trampoline_kernelINS0_14default_configENS1_25partition_config_selectorILNS1_17partition_subalgoE6EsNS0_10empty_typeEbEEZZNS1_14partition_implILS5_6ELb0ES3_mN6thrust23THRUST_200600_302600_NS6detail15normal_iteratorINSA_10device_ptrIsEEEEPS6_SG_NS0_5tupleIJSF_S6_EEENSH_IJSG_SG_EEES6_PlJNSB_9not_fun_tINSB_14equal_to_valueIsEEEEEEE10hipError_tPvRmT3_T4_T5_T6_T7_T9_mT8_P12ihipStream_tbDpT10_ENKUlT_T0_E_clISt17integral_constantIbLb1EES18_EEDaS13_S14_EUlS13_E_NS1_11comp_targetILNS1_3genE4ELNS1_11target_archE910ELNS1_3gpuE8ELNS1_3repE0EEENS1_30default_config_static_selectorELNS0_4arch9wavefront6targetE0EEEvT1_: ; @_ZN7rocprim17ROCPRIM_400000_NS6detail17trampoline_kernelINS0_14default_configENS1_25partition_config_selectorILNS1_17partition_subalgoE6EsNS0_10empty_typeEbEEZZNS1_14partition_implILS5_6ELb0ES3_mN6thrust23THRUST_200600_302600_NS6detail15normal_iteratorINSA_10device_ptrIsEEEEPS6_SG_NS0_5tupleIJSF_S6_EEENSH_IJSG_SG_EEES6_PlJNSB_9not_fun_tINSB_14equal_to_valueIsEEEEEEE10hipError_tPvRmT3_T4_T5_T6_T7_T9_mT8_P12ihipStream_tbDpT10_ENKUlT_T0_E_clISt17integral_constantIbLb1EES18_EEDaS13_S14_EUlS13_E_NS1_11comp_targetILNS1_3genE4ELNS1_11target_archE910ELNS1_3gpuE8ELNS1_3repE0EEENS1_30default_config_static_selectorELNS0_4arch9wavefront6targetE0EEEvT1_
; %bb.0:
	.section	.rodata,"a",@progbits
	.p2align	6, 0x0
	.amdhsa_kernel _ZN7rocprim17ROCPRIM_400000_NS6detail17trampoline_kernelINS0_14default_configENS1_25partition_config_selectorILNS1_17partition_subalgoE6EsNS0_10empty_typeEbEEZZNS1_14partition_implILS5_6ELb0ES3_mN6thrust23THRUST_200600_302600_NS6detail15normal_iteratorINSA_10device_ptrIsEEEEPS6_SG_NS0_5tupleIJSF_S6_EEENSH_IJSG_SG_EEES6_PlJNSB_9not_fun_tINSB_14equal_to_valueIsEEEEEEE10hipError_tPvRmT3_T4_T5_T6_T7_T9_mT8_P12ihipStream_tbDpT10_ENKUlT_T0_E_clISt17integral_constantIbLb1EES18_EEDaS13_S14_EUlS13_E_NS1_11comp_targetILNS1_3genE4ELNS1_11target_archE910ELNS1_3gpuE8ELNS1_3repE0EEENS1_30default_config_static_selectorELNS0_4arch9wavefront6targetE0EEEvT1_
		.amdhsa_group_segment_fixed_size 0
		.amdhsa_private_segment_fixed_size 0
		.amdhsa_kernarg_size 128
		.amdhsa_user_sgpr_count 2
		.amdhsa_user_sgpr_dispatch_ptr 0
		.amdhsa_user_sgpr_queue_ptr 0
		.amdhsa_user_sgpr_kernarg_segment_ptr 1
		.amdhsa_user_sgpr_dispatch_id 0
		.amdhsa_user_sgpr_private_segment_size 0
		.amdhsa_wavefront_size32 1
		.amdhsa_uses_dynamic_stack 0
		.amdhsa_enable_private_segment 0
		.amdhsa_system_sgpr_workgroup_id_x 1
		.amdhsa_system_sgpr_workgroup_id_y 0
		.amdhsa_system_sgpr_workgroup_id_z 0
		.amdhsa_system_sgpr_workgroup_info 0
		.amdhsa_system_vgpr_workitem_id 0
		.amdhsa_next_free_vgpr 1
		.amdhsa_next_free_sgpr 1
		.amdhsa_reserve_vcc 0
		.amdhsa_float_round_mode_32 0
		.amdhsa_float_round_mode_16_64 0
		.amdhsa_float_denorm_mode_32 3
		.amdhsa_float_denorm_mode_16_64 3
		.amdhsa_fp16_overflow 0
		.amdhsa_workgroup_processor_mode 1
		.amdhsa_memory_ordered 1
		.amdhsa_forward_progress 1
		.amdhsa_inst_pref_size 0
		.amdhsa_round_robin_scheduling 0
		.amdhsa_exception_fp_ieee_invalid_op 0
		.amdhsa_exception_fp_denorm_src 0
		.amdhsa_exception_fp_ieee_div_zero 0
		.amdhsa_exception_fp_ieee_overflow 0
		.amdhsa_exception_fp_ieee_underflow 0
		.amdhsa_exception_fp_ieee_inexact 0
		.amdhsa_exception_int_div_zero 0
	.end_amdhsa_kernel
	.section	.text._ZN7rocprim17ROCPRIM_400000_NS6detail17trampoline_kernelINS0_14default_configENS1_25partition_config_selectorILNS1_17partition_subalgoE6EsNS0_10empty_typeEbEEZZNS1_14partition_implILS5_6ELb0ES3_mN6thrust23THRUST_200600_302600_NS6detail15normal_iteratorINSA_10device_ptrIsEEEEPS6_SG_NS0_5tupleIJSF_S6_EEENSH_IJSG_SG_EEES6_PlJNSB_9not_fun_tINSB_14equal_to_valueIsEEEEEEE10hipError_tPvRmT3_T4_T5_T6_T7_T9_mT8_P12ihipStream_tbDpT10_ENKUlT_T0_E_clISt17integral_constantIbLb1EES18_EEDaS13_S14_EUlS13_E_NS1_11comp_targetILNS1_3genE4ELNS1_11target_archE910ELNS1_3gpuE8ELNS1_3repE0EEENS1_30default_config_static_selectorELNS0_4arch9wavefront6targetE0EEEvT1_,"axG",@progbits,_ZN7rocprim17ROCPRIM_400000_NS6detail17trampoline_kernelINS0_14default_configENS1_25partition_config_selectorILNS1_17partition_subalgoE6EsNS0_10empty_typeEbEEZZNS1_14partition_implILS5_6ELb0ES3_mN6thrust23THRUST_200600_302600_NS6detail15normal_iteratorINSA_10device_ptrIsEEEEPS6_SG_NS0_5tupleIJSF_S6_EEENSH_IJSG_SG_EEES6_PlJNSB_9not_fun_tINSB_14equal_to_valueIsEEEEEEE10hipError_tPvRmT3_T4_T5_T6_T7_T9_mT8_P12ihipStream_tbDpT10_ENKUlT_T0_E_clISt17integral_constantIbLb1EES18_EEDaS13_S14_EUlS13_E_NS1_11comp_targetILNS1_3genE4ELNS1_11target_archE910ELNS1_3gpuE8ELNS1_3repE0EEENS1_30default_config_static_selectorELNS0_4arch9wavefront6targetE0EEEvT1_,comdat
.Lfunc_end511:
	.size	_ZN7rocprim17ROCPRIM_400000_NS6detail17trampoline_kernelINS0_14default_configENS1_25partition_config_selectorILNS1_17partition_subalgoE6EsNS0_10empty_typeEbEEZZNS1_14partition_implILS5_6ELb0ES3_mN6thrust23THRUST_200600_302600_NS6detail15normal_iteratorINSA_10device_ptrIsEEEEPS6_SG_NS0_5tupleIJSF_S6_EEENSH_IJSG_SG_EEES6_PlJNSB_9not_fun_tINSB_14equal_to_valueIsEEEEEEE10hipError_tPvRmT3_T4_T5_T6_T7_T9_mT8_P12ihipStream_tbDpT10_ENKUlT_T0_E_clISt17integral_constantIbLb1EES18_EEDaS13_S14_EUlS13_E_NS1_11comp_targetILNS1_3genE4ELNS1_11target_archE910ELNS1_3gpuE8ELNS1_3repE0EEENS1_30default_config_static_selectorELNS0_4arch9wavefront6targetE0EEEvT1_, .Lfunc_end511-_ZN7rocprim17ROCPRIM_400000_NS6detail17trampoline_kernelINS0_14default_configENS1_25partition_config_selectorILNS1_17partition_subalgoE6EsNS0_10empty_typeEbEEZZNS1_14partition_implILS5_6ELb0ES3_mN6thrust23THRUST_200600_302600_NS6detail15normal_iteratorINSA_10device_ptrIsEEEEPS6_SG_NS0_5tupleIJSF_S6_EEENSH_IJSG_SG_EEES6_PlJNSB_9not_fun_tINSB_14equal_to_valueIsEEEEEEE10hipError_tPvRmT3_T4_T5_T6_T7_T9_mT8_P12ihipStream_tbDpT10_ENKUlT_T0_E_clISt17integral_constantIbLb1EES18_EEDaS13_S14_EUlS13_E_NS1_11comp_targetILNS1_3genE4ELNS1_11target_archE910ELNS1_3gpuE8ELNS1_3repE0EEENS1_30default_config_static_selectorELNS0_4arch9wavefront6targetE0EEEvT1_
                                        ; -- End function
	.set _ZN7rocprim17ROCPRIM_400000_NS6detail17trampoline_kernelINS0_14default_configENS1_25partition_config_selectorILNS1_17partition_subalgoE6EsNS0_10empty_typeEbEEZZNS1_14partition_implILS5_6ELb0ES3_mN6thrust23THRUST_200600_302600_NS6detail15normal_iteratorINSA_10device_ptrIsEEEEPS6_SG_NS0_5tupleIJSF_S6_EEENSH_IJSG_SG_EEES6_PlJNSB_9not_fun_tINSB_14equal_to_valueIsEEEEEEE10hipError_tPvRmT3_T4_T5_T6_T7_T9_mT8_P12ihipStream_tbDpT10_ENKUlT_T0_E_clISt17integral_constantIbLb1EES18_EEDaS13_S14_EUlS13_E_NS1_11comp_targetILNS1_3genE4ELNS1_11target_archE910ELNS1_3gpuE8ELNS1_3repE0EEENS1_30default_config_static_selectorELNS0_4arch9wavefront6targetE0EEEvT1_.num_vgpr, 0
	.set _ZN7rocprim17ROCPRIM_400000_NS6detail17trampoline_kernelINS0_14default_configENS1_25partition_config_selectorILNS1_17partition_subalgoE6EsNS0_10empty_typeEbEEZZNS1_14partition_implILS5_6ELb0ES3_mN6thrust23THRUST_200600_302600_NS6detail15normal_iteratorINSA_10device_ptrIsEEEEPS6_SG_NS0_5tupleIJSF_S6_EEENSH_IJSG_SG_EEES6_PlJNSB_9not_fun_tINSB_14equal_to_valueIsEEEEEEE10hipError_tPvRmT3_T4_T5_T6_T7_T9_mT8_P12ihipStream_tbDpT10_ENKUlT_T0_E_clISt17integral_constantIbLb1EES18_EEDaS13_S14_EUlS13_E_NS1_11comp_targetILNS1_3genE4ELNS1_11target_archE910ELNS1_3gpuE8ELNS1_3repE0EEENS1_30default_config_static_selectorELNS0_4arch9wavefront6targetE0EEEvT1_.num_agpr, 0
	.set _ZN7rocprim17ROCPRIM_400000_NS6detail17trampoline_kernelINS0_14default_configENS1_25partition_config_selectorILNS1_17partition_subalgoE6EsNS0_10empty_typeEbEEZZNS1_14partition_implILS5_6ELb0ES3_mN6thrust23THRUST_200600_302600_NS6detail15normal_iteratorINSA_10device_ptrIsEEEEPS6_SG_NS0_5tupleIJSF_S6_EEENSH_IJSG_SG_EEES6_PlJNSB_9not_fun_tINSB_14equal_to_valueIsEEEEEEE10hipError_tPvRmT3_T4_T5_T6_T7_T9_mT8_P12ihipStream_tbDpT10_ENKUlT_T0_E_clISt17integral_constantIbLb1EES18_EEDaS13_S14_EUlS13_E_NS1_11comp_targetILNS1_3genE4ELNS1_11target_archE910ELNS1_3gpuE8ELNS1_3repE0EEENS1_30default_config_static_selectorELNS0_4arch9wavefront6targetE0EEEvT1_.numbered_sgpr, 0
	.set _ZN7rocprim17ROCPRIM_400000_NS6detail17trampoline_kernelINS0_14default_configENS1_25partition_config_selectorILNS1_17partition_subalgoE6EsNS0_10empty_typeEbEEZZNS1_14partition_implILS5_6ELb0ES3_mN6thrust23THRUST_200600_302600_NS6detail15normal_iteratorINSA_10device_ptrIsEEEEPS6_SG_NS0_5tupleIJSF_S6_EEENSH_IJSG_SG_EEES6_PlJNSB_9not_fun_tINSB_14equal_to_valueIsEEEEEEE10hipError_tPvRmT3_T4_T5_T6_T7_T9_mT8_P12ihipStream_tbDpT10_ENKUlT_T0_E_clISt17integral_constantIbLb1EES18_EEDaS13_S14_EUlS13_E_NS1_11comp_targetILNS1_3genE4ELNS1_11target_archE910ELNS1_3gpuE8ELNS1_3repE0EEENS1_30default_config_static_selectorELNS0_4arch9wavefront6targetE0EEEvT1_.num_named_barrier, 0
	.set _ZN7rocprim17ROCPRIM_400000_NS6detail17trampoline_kernelINS0_14default_configENS1_25partition_config_selectorILNS1_17partition_subalgoE6EsNS0_10empty_typeEbEEZZNS1_14partition_implILS5_6ELb0ES3_mN6thrust23THRUST_200600_302600_NS6detail15normal_iteratorINSA_10device_ptrIsEEEEPS6_SG_NS0_5tupleIJSF_S6_EEENSH_IJSG_SG_EEES6_PlJNSB_9not_fun_tINSB_14equal_to_valueIsEEEEEEE10hipError_tPvRmT3_T4_T5_T6_T7_T9_mT8_P12ihipStream_tbDpT10_ENKUlT_T0_E_clISt17integral_constantIbLb1EES18_EEDaS13_S14_EUlS13_E_NS1_11comp_targetILNS1_3genE4ELNS1_11target_archE910ELNS1_3gpuE8ELNS1_3repE0EEENS1_30default_config_static_selectorELNS0_4arch9wavefront6targetE0EEEvT1_.private_seg_size, 0
	.set _ZN7rocprim17ROCPRIM_400000_NS6detail17trampoline_kernelINS0_14default_configENS1_25partition_config_selectorILNS1_17partition_subalgoE6EsNS0_10empty_typeEbEEZZNS1_14partition_implILS5_6ELb0ES3_mN6thrust23THRUST_200600_302600_NS6detail15normal_iteratorINSA_10device_ptrIsEEEEPS6_SG_NS0_5tupleIJSF_S6_EEENSH_IJSG_SG_EEES6_PlJNSB_9not_fun_tINSB_14equal_to_valueIsEEEEEEE10hipError_tPvRmT3_T4_T5_T6_T7_T9_mT8_P12ihipStream_tbDpT10_ENKUlT_T0_E_clISt17integral_constantIbLb1EES18_EEDaS13_S14_EUlS13_E_NS1_11comp_targetILNS1_3genE4ELNS1_11target_archE910ELNS1_3gpuE8ELNS1_3repE0EEENS1_30default_config_static_selectorELNS0_4arch9wavefront6targetE0EEEvT1_.uses_vcc, 0
	.set _ZN7rocprim17ROCPRIM_400000_NS6detail17trampoline_kernelINS0_14default_configENS1_25partition_config_selectorILNS1_17partition_subalgoE6EsNS0_10empty_typeEbEEZZNS1_14partition_implILS5_6ELb0ES3_mN6thrust23THRUST_200600_302600_NS6detail15normal_iteratorINSA_10device_ptrIsEEEEPS6_SG_NS0_5tupleIJSF_S6_EEENSH_IJSG_SG_EEES6_PlJNSB_9not_fun_tINSB_14equal_to_valueIsEEEEEEE10hipError_tPvRmT3_T4_T5_T6_T7_T9_mT8_P12ihipStream_tbDpT10_ENKUlT_T0_E_clISt17integral_constantIbLb1EES18_EEDaS13_S14_EUlS13_E_NS1_11comp_targetILNS1_3genE4ELNS1_11target_archE910ELNS1_3gpuE8ELNS1_3repE0EEENS1_30default_config_static_selectorELNS0_4arch9wavefront6targetE0EEEvT1_.uses_flat_scratch, 0
	.set _ZN7rocprim17ROCPRIM_400000_NS6detail17trampoline_kernelINS0_14default_configENS1_25partition_config_selectorILNS1_17partition_subalgoE6EsNS0_10empty_typeEbEEZZNS1_14partition_implILS5_6ELb0ES3_mN6thrust23THRUST_200600_302600_NS6detail15normal_iteratorINSA_10device_ptrIsEEEEPS6_SG_NS0_5tupleIJSF_S6_EEENSH_IJSG_SG_EEES6_PlJNSB_9not_fun_tINSB_14equal_to_valueIsEEEEEEE10hipError_tPvRmT3_T4_T5_T6_T7_T9_mT8_P12ihipStream_tbDpT10_ENKUlT_T0_E_clISt17integral_constantIbLb1EES18_EEDaS13_S14_EUlS13_E_NS1_11comp_targetILNS1_3genE4ELNS1_11target_archE910ELNS1_3gpuE8ELNS1_3repE0EEENS1_30default_config_static_selectorELNS0_4arch9wavefront6targetE0EEEvT1_.has_dyn_sized_stack, 0
	.set _ZN7rocprim17ROCPRIM_400000_NS6detail17trampoline_kernelINS0_14default_configENS1_25partition_config_selectorILNS1_17partition_subalgoE6EsNS0_10empty_typeEbEEZZNS1_14partition_implILS5_6ELb0ES3_mN6thrust23THRUST_200600_302600_NS6detail15normal_iteratorINSA_10device_ptrIsEEEEPS6_SG_NS0_5tupleIJSF_S6_EEENSH_IJSG_SG_EEES6_PlJNSB_9not_fun_tINSB_14equal_to_valueIsEEEEEEE10hipError_tPvRmT3_T4_T5_T6_T7_T9_mT8_P12ihipStream_tbDpT10_ENKUlT_T0_E_clISt17integral_constantIbLb1EES18_EEDaS13_S14_EUlS13_E_NS1_11comp_targetILNS1_3genE4ELNS1_11target_archE910ELNS1_3gpuE8ELNS1_3repE0EEENS1_30default_config_static_selectorELNS0_4arch9wavefront6targetE0EEEvT1_.has_recursion, 0
	.set _ZN7rocprim17ROCPRIM_400000_NS6detail17trampoline_kernelINS0_14default_configENS1_25partition_config_selectorILNS1_17partition_subalgoE6EsNS0_10empty_typeEbEEZZNS1_14partition_implILS5_6ELb0ES3_mN6thrust23THRUST_200600_302600_NS6detail15normal_iteratorINSA_10device_ptrIsEEEEPS6_SG_NS0_5tupleIJSF_S6_EEENSH_IJSG_SG_EEES6_PlJNSB_9not_fun_tINSB_14equal_to_valueIsEEEEEEE10hipError_tPvRmT3_T4_T5_T6_T7_T9_mT8_P12ihipStream_tbDpT10_ENKUlT_T0_E_clISt17integral_constantIbLb1EES18_EEDaS13_S14_EUlS13_E_NS1_11comp_targetILNS1_3genE4ELNS1_11target_archE910ELNS1_3gpuE8ELNS1_3repE0EEENS1_30default_config_static_selectorELNS0_4arch9wavefront6targetE0EEEvT1_.has_indirect_call, 0
	.section	.AMDGPU.csdata,"",@progbits
; Kernel info:
; codeLenInByte = 0
; TotalNumSgprs: 0
; NumVgprs: 0
; ScratchSize: 0
; MemoryBound: 0
; FloatMode: 240
; IeeeMode: 1
; LDSByteSize: 0 bytes/workgroup (compile time only)
; SGPRBlocks: 0
; VGPRBlocks: 0
; NumSGPRsForWavesPerEU: 1
; NumVGPRsForWavesPerEU: 1
; Occupancy: 16
; WaveLimiterHint : 0
; COMPUTE_PGM_RSRC2:SCRATCH_EN: 0
; COMPUTE_PGM_RSRC2:USER_SGPR: 2
; COMPUTE_PGM_RSRC2:TRAP_HANDLER: 0
; COMPUTE_PGM_RSRC2:TGID_X_EN: 1
; COMPUTE_PGM_RSRC2:TGID_Y_EN: 0
; COMPUTE_PGM_RSRC2:TGID_Z_EN: 0
; COMPUTE_PGM_RSRC2:TIDIG_COMP_CNT: 0
	.section	.text._ZN7rocprim17ROCPRIM_400000_NS6detail17trampoline_kernelINS0_14default_configENS1_25partition_config_selectorILNS1_17partition_subalgoE6EsNS0_10empty_typeEbEEZZNS1_14partition_implILS5_6ELb0ES3_mN6thrust23THRUST_200600_302600_NS6detail15normal_iteratorINSA_10device_ptrIsEEEEPS6_SG_NS0_5tupleIJSF_S6_EEENSH_IJSG_SG_EEES6_PlJNSB_9not_fun_tINSB_14equal_to_valueIsEEEEEEE10hipError_tPvRmT3_T4_T5_T6_T7_T9_mT8_P12ihipStream_tbDpT10_ENKUlT_T0_E_clISt17integral_constantIbLb1EES18_EEDaS13_S14_EUlS13_E_NS1_11comp_targetILNS1_3genE3ELNS1_11target_archE908ELNS1_3gpuE7ELNS1_3repE0EEENS1_30default_config_static_selectorELNS0_4arch9wavefront6targetE0EEEvT1_,"axG",@progbits,_ZN7rocprim17ROCPRIM_400000_NS6detail17trampoline_kernelINS0_14default_configENS1_25partition_config_selectorILNS1_17partition_subalgoE6EsNS0_10empty_typeEbEEZZNS1_14partition_implILS5_6ELb0ES3_mN6thrust23THRUST_200600_302600_NS6detail15normal_iteratorINSA_10device_ptrIsEEEEPS6_SG_NS0_5tupleIJSF_S6_EEENSH_IJSG_SG_EEES6_PlJNSB_9not_fun_tINSB_14equal_to_valueIsEEEEEEE10hipError_tPvRmT3_T4_T5_T6_T7_T9_mT8_P12ihipStream_tbDpT10_ENKUlT_T0_E_clISt17integral_constantIbLb1EES18_EEDaS13_S14_EUlS13_E_NS1_11comp_targetILNS1_3genE3ELNS1_11target_archE908ELNS1_3gpuE7ELNS1_3repE0EEENS1_30default_config_static_selectorELNS0_4arch9wavefront6targetE0EEEvT1_,comdat
	.protected	_ZN7rocprim17ROCPRIM_400000_NS6detail17trampoline_kernelINS0_14default_configENS1_25partition_config_selectorILNS1_17partition_subalgoE6EsNS0_10empty_typeEbEEZZNS1_14partition_implILS5_6ELb0ES3_mN6thrust23THRUST_200600_302600_NS6detail15normal_iteratorINSA_10device_ptrIsEEEEPS6_SG_NS0_5tupleIJSF_S6_EEENSH_IJSG_SG_EEES6_PlJNSB_9not_fun_tINSB_14equal_to_valueIsEEEEEEE10hipError_tPvRmT3_T4_T5_T6_T7_T9_mT8_P12ihipStream_tbDpT10_ENKUlT_T0_E_clISt17integral_constantIbLb1EES18_EEDaS13_S14_EUlS13_E_NS1_11comp_targetILNS1_3genE3ELNS1_11target_archE908ELNS1_3gpuE7ELNS1_3repE0EEENS1_30default_config_static_selectorELNS0_4arch9wavefront6targetE0EEEvT1_ ; -- Begin function _ZN7rocprim17ROCPRIM_400000_NS6detail17trampoline_kernelINS0_14default_configENS1_25partition_config_selectorILNS1_17partition_subalgoE6EsNS0_10empty_typeEbEEZZNS1_14partition_implILS5_6ELb0ES3_mN6thrust23THRUST_200600_302600_NS6detail15normal_iteratorINSA_10device_ptrIsEEEEPS6_SG_NS0_5tupleIJSF_S6_EEENSH_IJSG_SG_EEES6_PlJNSB_9not_fun_tINSB_14equal_to_valueIsEEEEEEE10hipError_tPvRmT3_T4_T5_T6_T7_T9_mT8_P12ihipStream_tbDpT10_ENKUlT_T0_E_clISt17integral_constantIbLb1EES18_EEDaS13_S14_EUlS13_E_NS1_11comp_targetILNS1_3genE3ELNS1_11target_archE908ELNS1_3gpuE7ELNS1_3repE0EEENS1_30default_config_static_selectorELNS0_4arch9wavefront6targetE0EEEvT1_
	.globl	_ZN7rocprim17ROCPRIM_400000_NS6detail17trampoline_kernelINS0_14default_configENS1_25partition_config_selectorILNS1_17partition_subalgoE6EsNS0_10empty_typeEbEEZZNS1_14partition_implILS5_6ELb0ES3_mN6thrust23THRUST_200600_302600_NS6detail15normal_iteratorINSA_10device_ptrIsEEEEPS6_SG_NS0_5tupleIJSF_S6_EEENSH_IJSG_SG_EEES6_PlJNSB_9not_fun_tINSB_14equal_to_valueIsEEEEEEE10hipError_tPvRmT3_T4_T5_T6_T7_T9_mT8_P12ihipStream_tbDpT10_ENKUlT_T0_E_clISt17integral_constantIbLb1EES18_EEDaS13_S14_EUlS13_E_NS1_11comp_targetILNS1_3genE3ELNS1_11target_archE908ELNS1_3gpuE7ELNS1_3repE0EEENS1_30default_config_static_selectorELNS0_4arch9wavefront6targetE0EEEvT1_
	.p2align	8
	.type	_ZN7rocprim17ROCPRIM_400000_NS6detail17trampoline_kernelINS0_14default_configENS1_25partition_config_selectorILNS1_17partition_subalgoE6EsNS0_10empty_typeEbEEZZNS1_14partition_implILS5_6ELb0ES3_mN6thrust23THRUST_200600_302600_NS6detail15normal_iteratorINSA_10device_ptrIsEEEEPS6_SG_NS0_5tupleIJSF_S6_EEENSH_IJSG_SG_EEES6_PlJNSB_9not_fun_tINSB_14equal_to_valueIsEEEEEEE10hipError_tPvRmT3_T4_T5_T6_T7_T9_mT8_P12ihipStream_tbDpT10_ENKUlT_T0_E_clISt17integral_constantIbLb1EES18_EEDaS13_S14_EUlS13_E_NS1_11comp_targetILNS1_3genE3ELNS1_11target_archE908ELNS1_3gpuE7ELNS1_3repE0EEENS1_30default_config_static_selectorELNS0_4arch9wavefront6targetE0EEEvT1_,@function
_ZN7rocprim17ROCPRIM_400000_NS6detail17trampoline_kernelINS0_14default_configENS1_25partition_config_selectorILNS1_17partition_subalgoE6EsNS0_10empty_typeEbEEZZNS1_14partition_implILS5_6ELb0ES3_mN6thrust23THRUST_200600_302600_NS6detail15normal_iteratorINSA_10device_ptrIsEEEEPS6_SG_NS0_5tupleIJSF_S6_EEENSH_IJSG_SG_EEES6_PlJNSB_9not_fun_tINSB_14equal_to_valueIsEEEEEEE10hipError_tPvRmT3_T4_T5_T6_T7_T9_mT8_P12ihipStream_tbDpT10_ENKUlT_T0_E_clISt17integral_constantIbLb1EES18_EEDaS13_S14_EUlS13_E_NS1_11comp_targetILNS1_3genE3ELNS1_11target_archE908ELNS1_3gpuE7ELNS1_3repE0EEENS1_30default_config_static_selectorELNS0_4arch9wavefront6targetE0EEEvT1_: ; @_ZN7rocprim17ROCPRIM_400000_NS6detail17trampoline_kernelINS0_14default_configENS1_25partition_config_selectorILNS1_17partition_subalgoE6EsNS0_10empty_typeEbEEZZNS1_14partition_implILS5_6ELb0ES3_mN6thrust23THRUST_200600_302600_NS6detail15normal_iteratorINSA_10device_ptrIsEEEEPS6_SG_NS0_5tupleIJSF_S6_EEENSH_IJSG_SG_EEES6_PlJNSB_9not_fun_tINSB_14equal_to_valueIsEEEEEEE10hipError_tPvRmT3_T4_T5_T6_T7_T9_mT8_P12ihipStream_tbDpT10_ENKUlT_T0_E_clISt17integral_constantIbLb1EES18_EEDaS13_S14_EUlS13_E_NS1_11comp_targetILNS1_3genE3ELNS1_11target_archE908ELNS1_3gpuE7ELNS1_3repE0EEENS1_30default_config_static_selectorELNS0_4arch9wavefront6targetE0EEEvT1_
; %bb.0:
	.section	.rodata,"a",@progbits
	.p2align	6, 0x0
	.amdhsa_kernel _ZN7rocprim17ROCPRIM_400000_NS6detail17trampoline_kernelINS0_14default_configENS1_25partition_config_selectorILNS1_17partition_subalgoE6EsNS0_10empty_typeEbEEZZNS1_14partition_implILS5_6ELb0ES3_mN6thrust23THRUST_200600_302600_NS6detail15normal_iteratorINSA_10device_ptrIsEEEEPS6_SG_NS0_5tupleIJSF_S6_EEENSH_IJSG_SG_EEES6_PlJNSB_9not_fun_tINSB_14equal_to_valueIsEEEEEEE10hipError_tPvRmT3_T4_T5_T6_T7_T9_mT8_P12ihipStream_tbDpT10_ENKUlT_T0_E_clISt17integral_constantIbLb1EES18_EEDaS13_S14_EUlS13_E_NS1_11comp_targetILNS1_3genE3ELNS1_11target_archE908ELNS1_3gpuE7ELNS1_3repE0EEENS1_30default_config_static_selectorELNS0_4arch9wavefront6targetE0EEEvT1_
		.amdhsa_group_segment_fixed_size 0
		.amdhsa_private_segment_fixed_size 0
		.amdhsa_kernarg_size 128
		.amdhsa_user_sgpr_count 2
		.amdhsa_user_sgpr_dispatch_ptr 0
		.amdhsa_user_sgpr_queue_ptr 0
		.amdhsa_user_sgpr_kernarg_segment_ptr 1
		.amdhsa_user_sgpr_dispatch_id 0
		.amdhsa_user_sgpr_private_segment_size 0
		.amdhsa_wavefront_size32 1
		.amdhsa_uses_dynamic_stack 0
		.amdhsa_enable_private_segment 0
		.amdhsa_system_sgpr_workgroup_id_x 1
		.amdhsa_system_sgpr_workgroup_id_y 0
		.amdhsa_system_sgpr_workgroup_id_z 0
		.amdhsa_system_sgpr_workgroup_info 0
		.amdhsa_system_vgpr_workitem_id 0
		.amdhsa_next_free_vgpr 1
		.amdhsa_next_free_sgpr 1
		.amdhsa_reserve_vcc 0
		.amdhsa_float_round_mode_32 0
		.amdhsa_float_round_mode_16_64 0
		.amdhsa_float_denorm_mode_32 3
		.amdhsa_float_denorm_mode_16_64 3
		.amdhsa_fp16_overflow 0
		.amdhsa_workgroup_processor_mode 1
		.amdhsa_memory_ordered 1
		.amdhsa_forward_progress 1
		.amdhsa_inst_pref_size 0
		.amdhsa_round_robin_scheduling 0
		.amdhsa_exception_fp_ieee_invalid_op 0
		.amdhsa_exception_fp_denorm_src 0
		.amdhsa_exception_fp_ieee_div_zero 0
		.amdhsa_exception_fp_ieee_overflow 0
		.amdhsa_exception_fp_ieee_underflow 0
		.amdhsa_exception_fp_ieee_inexact 0
		.amdhsa_exception_int_div_zero 0
	.end_amdhsa_kernel
	.section	.text._ZN7rocprim17ROCPRIM_400000_NS6detail17trampoline_kernelINS0_14default_configENS1_25partition_config_selectorILNS1_17partition_subalgoE6EsNS0_10empty_typeEbEEZZNS1_14partition_implILS5_6ELb0ES3_mN6thrust23THRUST_200600_302600_NS6detail15normal_iteratorINSA_10device_ptrIsEEEEPS6_SG_NS0_5tupleIJSF_S6_EEENSH_IJSG_SG_EEES6_PlJNSB_9not_fun_tINSB_14equal_to_valueIsEEEEEEE10hipError_tPvRmT3_T4_T5_T6_T7_T9_mT8_P12ihipStream_tbDpT10_ENKUlT_T0_E_clISt17integral_constantIbLb1EES18_EEDaS13_S14_EUlS13_E_NS1_11comp_targetILNS1_3genE3ELNS1_11target_archE908ELNS1_3gpuE7ELNS1_3repE0EEENS1_30default_config_static_selectorELNS0_4arch9wavefront6targetE0EEEvT1_,"axG",@progbits,_ZN7rocprim17ROCPRIM_400000_NS6detail17trampoline_kernelINS0_14default_configENS1_25partition_config_selectorILNS1_17partition_subalgoE6EsNS0_10empty_typeEbEEZZNS1_14partition_implILS5_6ELb0ES3_mN6thrust23THRUST_200600_302600_NS6detail15normal_iteratorINSA_10device_ptrIsEEEEPS6_SG_NS0_5tupleIJSF_S6_EEENSH_IJSG_SG_EEES6_PlJNSB_9not_fun_tINSB_14equal_to_valueIsEEEEEEE10hipError_tPvRmT3_T4_T5_T6_T7_T9_mT8_P12ihipStream_tbDpT10_ENKUlT_T0_E_clISt17integral_constantIbLb1EES18_EEDaS13_S14_EUlS13_E_NS1_11comp_targetILNS1_3genE3ELNS1_11target_archE908ELNS1_3gpuE7ELNS1_3repE0EEENS1_30default_config_static_selectorELNS0_4arch9wavefront6targetE0EEEvT1_,comdat
.Lfunc_end512:
	.size	_ZN7rocprim17ROCPRIM_400000_NS6detail17trampoline_kernelINS0_14default_configENS1_25partition_config_selectorILNS1_17partition_subalgoE6EsNS0_10empty_typeEbEEZZNS1_14partition_implILS5_6ELb0ES3_mN6thrust23THRUST_200600_302600_NS6detail15normal_iteratorINSA_10device_ptrIsEEEEPS6_SG_NS0_5tupleIJSF_S6_EEENSH_IJSG_SG_EEES6_PlJNSB_9not_fun_tINSB_14equal_to_valueIsEEEEEEE10hipError_tPvRmT3_T4_T5_T6_T7_T9_mT8_P12ihipStream_tbDpT10_ENKUlT_T0_E_clISt17integral_constantIbLb1EES18_EEDaS13_S14_EUlS13_E_NS1_11comp_targetILNS1_3genE3ELNS1_11target_archE908ELNS1_3gpuE7ELNS1_3repE0EEENS1_30default_config_static_selectorELNS0_4arch9wavefront6targetE0EEEvT1_, .Lfunc_end512-_ZN7rocprim17ROCPRIM_400000_NS6detail17trampoline_kernelINS0_14default_configENS1_25partition_config_selectorILNS1_17partition_subalgoE6EsNS0_10empty_typeEbEEZZNS1_14partition_implILS5_6ELb0ES3_mN6thrust23THRUST_200600_302600_NS6detail15normal_iteratorINSA_10device_ptrIsEEEEPS6_SG_NS0_5tupleIJSF_S6_EEENSH_IJSG_SG_EEES6_PlJNSB_9not_fun_tINSB_14equal_to_valueIsEEEEEEE10hipError_tPvRmT3_T4_T5_T6_T7_T9_mT8_P12ihipStream_tbDpT10_ENKUlT_T0_E_clISt17integral_constantIbLb1EES18_EEDaS13_S14_EUlS13_E_NS1_11comp_targetILNS1_3genE3ELNS1_11target_archE908ELNS1_3gpuE7ELNS1_3repE0EEENS1_30default_config_static_selectorELNS0_4arch9wavefront6targetE0EEEvT1_
                                        ; -- End function
	.set _ZN7rocprim17ROCPRIM_400000_NS6detail17trampoline_kernelINS0_14default_configENS1_25partition_config_selectorILNS1_17partition_subalgoE6EsNS0_10empty_typeEbEEZZNS1_14partition_implILS5_6ELb0ES3_mN6thrust23THRUST_200600_302600_NS6detail15normal_iteratorINSA_10device_ptrIsEEEEPS6_SG_NS0_5tupleIJSF_S6_EEENSH_IJSG_SG_EEES6_PlJNSB_9not_fun_tINSB_14equal_to_valueIsEEEEEEE10hipError_tPvRmT3_T4_T5_T6_T7_T9_mT8_P12ihipStream_tbDpT10_ENKUlT_T0_E_clISt17integral_constantIbLb1EES18_EEDaS13_S14_EUlS13_E_NS1_11comp_targetILNS1_3genE3ELNS1_11target_archE908ELNS1_3gpuE7ELNS1_3repE0EEENS1_30default_config_static_selectorELNS0_4arch9wavefront6targetE0EEEvT1_.num_vgpr, 0
	.set _ZN7rocprim17ROCPRIM_400000_NS6detail17trampoline_kernelINS0_14default_configENS1_25partition_config_selectorILNS1_17partition_subalgoE6EsNS0_10empty_typeEbEEZZNS1_14partition_implILS5_6ELb0ES3_mN6thrust23THRUST_200600_302600_NS6detail15normal_iteratorINSA_10device_ptrIsEEEEPS6_SG_NS0_5tupleIJSF_S6_EEENSH_IJSG_SG_EEES6_PlJNSB_9not_fun_tINSB_14equal_to_valueIsEEEEEEE10hipError_tPvRmT3_T4_T5_T6_T7_T9_mT8_P12ihipStream_tbDpT10_ENKUlT_T0_E_clISt17integral_constantIbLb1EES18_EEDaS13_S14_EUlS13_E_NS1_11comp_targetILNS1_3genE3ELNS1_11target_archE908ELNS1_3gpuE7ELNS1_3repE0EEENS1_30default_config_static_selectorELNS0_4arch9wavefront6targetE0EEEvT1_.num_agpr, 0
	.set _ZN7rocprim17ROCPRIM_400000_NS6detail17trampoline_kernelINS0_14default_configENS1_25partition_config_selectorILNS1_17partition_subalgoE6EsNS0_10empty_typeEbEEZZNS1_14partition_implILS5_6ELb0ES3_mN6thrust23THRUST_200600_302600_NS6detail15normal_iteratorINSA_10device_ptrIsEEEEPS6_SG_NS0_5tupleIJSF_S6_EEENSH_IJSG_SG_EEES6_PlJNSB_9not_fun_tINSB_14equal_to_valueIsEEEEEEE10hipError_tPvRmT3_T4_T5_T6_T7_T9_mT8_P12ihipStream_tbDpT10_ENKUlT_T0_E_clISt17integral_constantIbLb1EES18_EEDaS13_S14_EUlS13_E_NS1_11comp_targetILNS1_3genE3ELNS1_11target_archE908ELNS1_3gpuE7ELNS1_3repE0EEENS1_30default_config_static_selectorELNS0_4arch9wavefront6targetE0EEEvT1_.numbered_sgpr, 0
	.set _ZN7rocprim17ROCPRIM_400000_NS6detail17trampoline_kernelINS0_14default_configENS1_25partition_config_selectorILNS1_17partition_subalgoE6EsNS0_10empty_typeEbEEZZNS1_14partition_implILS5_6ELb0ES3_mN6thrust23THRUST_200600_302600_NS6detail15normal_iteratorINSA_10device_ptrIsEEEEPS6_SG_NS0_5tupleIJSF_S6_EEENSH_IJSG_SG_EEES6_PlJNSB_9not_fun_tINSB_14equal_to_valueIsEEEEEEE10hipError_tPvRmT3_T4_T5_T6_T7_T9_mT8_P12ihipStream_tbDpT10_ENKUlT_T0_E_clISt17integral_constantIbLb1EES18_EEDaS13_S14_EUlS13_E_NS1_11comp_targetILNS1_3genE3ELNS1_11target_archE908ELNS1_3gpuE7ELNS1_3repE0EEENS1_30default_config_static_selectorELNS0_4arch9wavefront6targetE0EEEvT1_.num_named_barrier, 0
	.set _ZN7rocprim17ROCPRIM_400000_NS6detail17trampoline_kernelINS0_14default_configENS1_25partition_config_selectorILNS1_17partition_subalgoE6EsNS0_10empty_typeEbEEZZNS1_14partition_implILS5_6ELb0ES3_mN6thrust23THRUST_200600_302600_NS6detail15normal_iteratorINSA_10device_ptrIsEEEEPS6_SG_NS0_5tupleIJSF_S6_EEENSH_IJSG_SG_EEES6_PlJNSB_9not_fun_tINSB_14equal_to_valueIsEEEEEEE10hipError_tPvRmT3_T4_T5_T6_T7_T9_mT8_P12ihipStream_tbDpT10_ENKUlT_T0_E_clISt17integral_constantIbLb1EES18_EEDaS13_S14_EUlS13_E_NS1_11comp_targetILNS1_3genE3ELNS1_11target_archE908ELNS1_3gpuE7ELNS1_3repE0EEENS1_30default_config_static_selectorELNS0_4arch9wavefront6targetE0EEEvT1_.private_seg_size, 0
	.set _ZN7rocprim17ROCPRIM_400000_NS6detail17trampoline_kernelINS0_14default_configENS1_25partition_config_selectorILNS1_17partition_subalgoE6EsNS0_10empty_typeEbEEZZNS1_14partition_implILS5_6ELb0ES3_mN6thrust23THRUST_200600_302600_NS6detail15normal_iteratorINSA_10device_ptrIsEEEEPS6_SG_NS0_5tupleIJSF_S6_EEENSH_IJSG_SG_EEES6_PlJNSB_9not_fun_tINSB_14equal_to_valueIsEEEEEEE10hipError_tPvRmT3_T4_T5_T6_T7_T9_mT8_P12ihipStream_tbDpT10_ENKUlT_T0_E_clISt17integral_constantIbLb1EES18_EEDaS13_S14_EUlS13_E_NS1_11comp_targetILNS1_3genE3ELNS1_11target_archE908ELNS1_3gpuE7ELNS1_3repE0EEENS1_30default_config_static_selectorELNS0_4arch9wavefront6targetE0EEEvT1_.uses_vcc, 0
	.set _ZN7rocprim17ROCPRIM_400000_NS6detail17trampoline_kernelINS0_14default_configENS1_25partition_config_selectorILNS1_17partition_subalgoE6EsNS0_10empty_typeEbEEZZNS1_14partition_implILS5_6ELb0ES3_mN6thrust23THRUST_200600_302600_NS6detail15normal_iteratorINSA_10device_ptrIsEEEEPS6_SG_NS0_5tupleIJSF_S6_EEENSH_IJSG_SG_EEES6_PlJNSB_9not_fun_tINSB_14equal_to_valueIsEEEEEEE10hipError_tPvRmT3_T4_T5_T6_T7_T9_mT8_P12ihipStream_tbDpT10_ENKUlT_T0_E_clISt17integral_constantIbLb1EES18_EEDaS13_S14_EUlS13_E_NS1_11comp_targetILNS1_3genE3ELNS1_11target_archE908ELNS1_3gpuE7ELNS1_3repE0EEENS1_30default_config_static_selectorELNS0_4arch9wavefront6targetE0EEEvT1_.uses_flat_scratch, 0
	.set _ZN7rocprim17ROCPRIM_400000_NS6detail17trampoline_kernelINS0_14default_configENS1_25partition_config_selectorILNS1_17partition_subalgoE6EsNS0_10empty_typeEbEEZZNS1_14partition_implILS5_6ELb0ES3_mN6thrust23THRUST_200600_302600_NS6detail15normal_iteratorINSA_10device_ptrIsEEEEPS6_SG_NS0_5tupleIJSF_S6_EEENSH_IJSG_SG_EEES6_PlJNSB_9not_fun_tINSB_14equal_to_valueIsEEEEEEE10hipError_tPvRmT3_T4_T5_T6_T7_T9_mT8_P12ihipStream_tbDpT10_ENKUlT_T0_E_clISt17integral_constantIbLb1EES18_EEDaS13_S14_EUlS13_E_NS1_11comp_targetILNS1_3genE3ELNS1_11target_archE908ELNS1_3gpuE7ELNS1_3repE0EEENS1_30default_config_static_selectorELNS0_4arch9wavefront6targetE0EEEvT1_.has_dyn_sized_stack, 0
	.set _ZN7rocprim17ROCPRIM_400000_NS6detail17trampoline_kernelINS0_14default_configENS1_25partition_config_selectorILNS1_17partition_subalgoE6EsNS0_10empty_typeEbEEZZNS1_14partition_implILS5_6ELb0ES3_mN6thrust23THRUST_200600_302600_NS6detail15normal_iteratorINSA_10device_ptrIsEEEEPS6_SG_NS0_5tupleIJSF_S6_EEENSH_IJSG_SG_EEES6_PlJNSB_9not_fun_tINSB_14equal_to_valueIsEEEEEEE10hipError_tPvRmT3_T4_T5_T6_T7_T9_mT8_P12ihipStream_tbDpT10_ENKUlT_T0_E_clISt17integral_constantIbLb1EES18_EEDaS13_S14_EUlS13_E_NS1_11comp_targetILNS1_3genE3ELNS1_11target_archE908ELNS1_3gpuE7ELNS1_3repE0EEENS1_30default_config_static_selectorELNS0_4arch9wavefront6targetE0EEEvT1_.has_recursion, 0
	.set _ZN7rocprim17ROCPRIM_400000_NS6detail17trampoline_kernelINS0_14default_configENS1_25partition_config_selectorILNS1_17partition_subalgoE6EsNS0_10empty_typeEbEEZZNS1_14partition_implILS5_6ELb0ES3_mN6thrust23THRUST_200600_302600_NS6detail15normal_iteratorINSA_10device_ptrIsEEEEPS6_SG_NS0_5tupleIJSF_S6_EEENSH_IJSG_SG_EEES6_PlJNSB_9not_fun_tINSB_14equal_to_valueIsEEEEEEE10hipError_tPvRmT3_T4_T5_T6_T7_T9_mT8_P12ihipStream_tbDpT10_ENKUlT_T0_E_clISt17integral_constantIbLb1EES18_EEDaS13_S14_EUlS13_E_NS1_11comp_targetILNS1_3genE3ELNS1_11target_archE908ELNS1_3gpuE7ELNS1_3repE0EEENS1_30default_config_static_selectorELNS0_4arch9wavefront6targetE0EEEvT1_.has_indirect_call, 0
	.section	.AMDGPU.csdata,"",@progbits
; Kernel info:
; codeLenInByte = 0
; TotalNumSgprs: 0
; NumVgprs: 0
; ScratchSize: 0
; MemoryBound: 0
; FloatMode: 240
; IeeeMode: 1
; LDSByteSize: 0 bytes/workgroup (compile time only)
; SGPRBlocks: 0
; VGPRBlocks: 0
; NumSGPRsForWavesPerEU: 1
; NumVGPRsForWavesPerEU: 1
; Occupancy: 16
; WaveLimiterHint : 0
; COMPUTE_PGM_RSRC2:SCRATCH_EN: 0
; COMPUTE_PGM_RSRC2:USER_SGPR: 2
; COMPUTE_PGM_RSRC2:TRAP_HANDLER: 0
; COMPUTE_PGM_RSRC2:TGID_X_EN: 1
; COMPUTE_PGM_RSRC2:TGID_Y_EN: 0
; COMPUTE_PGM_RSRC2:TGID_Z_EN: 0
; COMPUTE_PGM_RSRC2:TIDIG_COMP_CNT: 0
	.section	.text._ZN7rocprim17ROCPRIM_400000_NS6detail17trampoline_kernelINS0_14default_configENS1_25partition_config_selectorILNS1_17partition_subalgoE6EsNS0_10empty_typeEbEEZZNS1_14partition_implILS5_6ELb0ES3_mN6thrust23THRUST_200600_302600_NS6detail15normal_iteratorINSA_10device_ptrIsEEEEPS6_SG_NS0_5tupleIJSF_S6_EEENSH_IJSG_SG_EEES6_PlJNSB_9not_fun_tINSB_14equal_to_valueIsEEEEEEE10hipError_tPvRmT3_T4_T5_T6_T7_T9_mT8_P12ihipStream_tbDpT10_ENKUlT_T0_E_clISt17integral_constantIbLb1EES18_EEDaS13_S14_EUlS13_E_NS1_11comp_targetILNS1_3genE2ELNS1_11target_archE906ELNS1_3gpuE6ELNS1_3repE0EEENS1_30default_config_static_selectorELNS0_4arch9wavefront6targetE0EEEvT1_,"axG",@progbits,_ZN7rocprim17ROCPRIM_400000_NS6detail17trampoline_kernelINS0_14default_configENS1_25partition_config_selectorILNS1_17partition_subalgoE6EsNS0_10empty_typeEbEEZZNS1_14partition_implILS5_6ELb0ES3_mN6thrust23THRUST_200600_302600_NS6detail15normal_iteratorINSA_10device_ptrIsEEEEPS6_SG_NS0_5tupleIJSF_S6_EEENSH_IJSG_SG_EEES6_PlJNSB_9not_fun_tINSB_14equal_to_valueIsEEEEEEE10hipError_tPvRmT3_T4_T5_T6_T7_T9_mT8_P12ihipStream_tbDpT10_ENKUlT_T0_E_clISt17integral_constantIbLb1EES18_EEDaS13_S14_EUlS13_E_NS1_11comp_targetILNS1_3genE2ELNS1_11target_archE906ELNS1_3gpuE6ELNS1_3repE0EEENS1_30default_config_static_selectorELNS0_4arch9wavefront6targetE0EEEvT1_,comdat
	.protected	_ZN7rocprim17ROCPRIM_400000_NS6detail17trampoline_kernelINS0_14default_configENS1_25partition_config_selectorILNS1_17partition_subalgoE6EsNS0_10empty_typeEbEEZZNS1_14partition_implILS5_6ELb0ES3_mN6thrust23THRUST_200600_302600_NS6detail15normal_iteratorINSA_10device_ptrIsEEEEPS6_SG_NS0_5tupleIJSF_S6_EEENSH_IJSG_SG_EEES6_PlJNSB_9not_fun_tINSB_14equal_to_valueIsEEEEEEE10hipError_tPvRmT3_T4_T5_T6_T7_T9_mT8_P12ihipStream_tbDpT10_ENKUlT_T0_E_clISt17integral_constantIbLb1EES18_EEDaS13_S14_EUlS13_E_NS1_11comp_targetILNS1_3genE2ELNS1_11target_archE906ELNS1_3gpuE6ELNS1_3repE0EEENS1_30default_config_static_selectorELNS0_4arch9wavefront6targetE0EEEvT1_ ; -- Begin function _ZN7rocprim17ROCPRIM_400000_NS6detail17trampoline_kernelINS0_14default_configENS1_25partition_config_selectorILNS1_17partition_subalgoE6EsNS0_10empty_typeEbEEZZNS1_14partition_implILS5_6ELb0ES3_mN6thrust23THRUST_200600_302600_NS6detail15normal_iteratorINSA_10device_ptrIsEEEEPS6_SG_NS0_5tupleIJSF_S6_EEENSH_IJSG_SG_EEES6_PlJNSB_9not_fun_tINSB_14equal_to_valueIsEEEEEEE10hipError_tPvRmT3_T4_T5_T6_T7_T9_mT8_P12ihipStream_tbDpT10_ENKUlT_T0_E_clISt17integral_constantIbLb1EES18_EEDaS13_S14_EUlS13_E_NS1_11comp_targetILNS1_3genE2ELNS1_11target_archE906ELNS1_3gpuE6ELNS1_3repE0EEENS1_30default_config_static_selectorELNS0_4arch9wavefront6targetE0EEEvT1_
	.globl	_ZN7rocprim17ROCPRIM_400000_NS6detail17trampoline_kernelINS0_14default_configENS1_25partition_config_selectorILNS1_17partition_subalgoE6EsNS0_10empty_typeEbEEZZNS1_14partition_implILS5_6ELb0ES3_mN6thrust23THRUST_200600_302600_NS6detail15normal_iteratorINSA_10device_ptrIsEEEEPS6_SG_NS0_5tupleIJSF_S6_EEENSH_IJSG_SG_EEES6_PlJNSB_9not_fun_tINSB_14equal_to_valueIsEEEEEEE10hipError_tPvRmT3_T4_T5_T6_T7_T9_mT8_P12ihipStream_tbDpT10_ENKUlT_T0_E_clISt17integral_constantIbLb1EES18_EEDaS13_S14_EUlS13_E_NS1_11comp_targetILNS1_3genE2ELNS1_11target_archE906ELNS1_3gpuE6ELNS1_3repE0EEENS1_30default_config_static_selectorELNS0_4arch9wavefront6targetE0EEEvT1_
	.p2align	8
	.type	_ZN7rocprim17ROCPRIM_400000_NS6detail17trampoline_kernelINS0_14default_configENS1_25partition_config_selectorILNS1_17partition_subalgoE6EsNS0_10empty_typeEbEEZZNS1_14partition_implILS5_6ELb0ES3_mN6thrust23THRUST_200600_302600_NS6detail15normal_iteratorINSA_10device_ptrIsEEEEPS6_SG_NS0_5tupleIJSF_S6_EEENSH_IJSG_SG_EEES6_PlJNSB_9not_fun_tINSB_14equal_to_valueIsEEEEEEE10hipError_tPvRmT3_T4_T5_T6_T7_T9_mT8_P12ihipStream_tbDpT10_ENKUlT_T0_E_clISt17integral_constantIbLb1EES18_EEDaS13_S14_EUlS13_E_NS1_11comp_targetILNS1_3genE2ELNS1_11target_archE906ELNS1_3gpuE6ELNS1_3repE0EEENS1_30default_config_static_selectorELNS0_4arch9wavefront6targetE0EEEvT1_,@function
_ZN7rocprim17ROCPRIM_400000_NS6detail17trampoline_kernelINS0_14default_configENS1_25partition_config_selectorILNS1_17partition_subalgoE6EsNS0_10empty_typeEbEEZZNS1_14partition_implILS5_6ELb0ES3_mN6thrust23THRUST_200600_302600_NS6detail15normal_iteratorINSA_10device_ptrIsEEEEPS6_SG_NS0_5tupleIJSF_S6_EEENSH_IJSG_SG_EEES6_PlJNSB_9not_fun_tINSB_14equal_to_valueIsEEEEEEE10hipError_tPvRmT3_T4_T5_T6_T7_T9_mT8_P12ihipStream_tbDpT10_ENKUlT_T0_E_clISt17integral_constantIbLb1EES18_EEDaS13_S14_EUlS13_E_NS1_11comp_targetILNS1_3genE2ELNS1_11target_archE906ELNS1_3gpuE6ELNS1_3repE0EEENS1_30default_config_static_selectorELNS0_4arch9wavefront6targetE0EEEvT1_: ; @_ZN7rocprim17ROCPRIM_400000_NS6detail17trampoline_kernelINS0_14default_configENS1_25partition_config_selectorILNS1_17partition_subalgoE6EsNS0_10empty_typeEbEEZZNS1_14partition_implILS5_6ELb0ES3_mN6thrust23THRUST_200600_302600_NS6detail15normal_iteratorINSA_10device_ptrIsEEEEPS6_SG_NS0_5tupleIJSF_S6_EEENSH_IJSG_SG_EEES6_PlJNSB_9not_fun_tINSB_14equal_to_valueIsEEEEEEE10hipError_tPvRmT3_T4_T5_T6_T7_T9_mT8_P12ihipStream_tbDpT10_ENKUlT_T0_E_clISt17integral_constantIbLb1EES18_EEDaS13_S14_EUlS13_E_NS1_11comp_targetILNS1_3genE2ELNS1_11target_archE906ELNS1_3gpuE6ELNS1_3repE0EEENS1_30default_config_static_selectorELNS0_4arch9wavefront6targetE0EEEvT1_
; %bb.0:
	.section	.rodata,"a",@progbits
	.p2align	6, 0x0
	.amdhsa_kernel _ZN7rocprim17ROCPRIM_400000_NS6detail17trampoline_kernelINS0_14default_configENS1_25partition_config_selectorILNS1_17partition_subalgoE6EsNS0_10empty_typeEbEEZZNS1_14partition_implILS5_6ELb0ES3_mN6thrust23THRUST_200600_302600_NS6detail15normal_iteratorINSA_10device_ptrIsEEEEPS6_SG_NS0_5tupleIJSF_S6_EEENSH_IJSG_SG_EEES6_PlJNSB_9not_fun_tINSB_14equal_to_valueIsEEEEEEE10hipError_tPvRmT3_T4_T5_T6_T7_T9_mT8_P12ihipStream_tbDpT10_ENKUlT_T0_E_clISt17integral_constantIbLb1EES18_EEDaS13_S14_EUlS13_E_NS1_11comp_targetILNS1_3genE2ELNS1_11target_archE906ELNS1_3gpuE6ELNS1_3repE0EEENS1_30default_config_static_selectorELNS0_4arch9wavefront6targetE0EEEvT1_
		.amdhsa_group_segment_fixed_size 0
		.amdhsa_private_segment_fixed_size 0
		.amdhsa_kernarg_size 128
		.amdhsa_user_sgpr_count 2
		.amdhsa_user_sgpr_dispatch_ptr 0
		.amdhsa_user_sgpr_queue_ptr 0
		.amdhsa_user_sgpr_kernarg_segment_ptr 1
		.amdhsa_user_sgpr_dispatch_id 0
		.amdhsa_user_sgpr_private_segment_size 0
		.amdhsa_wavefront_size32 1
		.amdhsa_uses_dynamic_stack 0
		.amdhsa_enable_private_segment 0
		.amdhsa_system_sgpr_workgroup_id_x 1
		.amdhsa_system_sgpr_workgroup_id_y 0
		.amdhsa_system_sgpr_workgroup_id_z 0
		.amdhsa_system_sgpr_workgroup_info 0
		.amdhsa_system_vgpr_workitem_id 0
		.amdhsa_next_free_vgpr 1
		.amdhsa_next_free_sgpr 1
		.amdhsa_reserve_vcc 0
		.amdhsa_float_round_mode_32 0
		.amdhsa_float_round_mode_16_64 0
		.amdhsa_float_denorm_mode_32 3
		.amdhsa_float_denorm_mode_16_64 3
		.amdhsa_fp16_overflow 0
		.amdhsa_workgroup_processor_mode 1
		.amdhsa_memory_ordered 1
		.amdhsa_forward_progress 1
		.amdhsa_inst_pref_size 0
		.amdhsa_round_robin_scheduling 0
		.amdhsa_exception_fp_ieee_invalid_op 0
		.amdhsa_exception_fp_denorm_src 0
		.amdhsa_exception_fp_ieee_div_zero 0
		.amdhsa_exception_fp_ieee_overflow 0
		.amdhsa_exception_fp_ieee_underflow 0
		.amdhsa_exception_fp_ieee_inexact 0
		.amdhsa_exception_int_div_zero 0
	.end_amdhsa_kernel
	.section	.text._ZN7rocprim17ROCPRIM_400000_NS6detail17trampoline_kernelINS0_14default_configENS1_25partition_config_selectorILNS1_17partition_subalgoE6EsNS0_10empty_typeEbEEZZNS1_14partition_implILS5_6ELb0ES3_mN6thrust23THRUST_200600_302600_NS6detail15normal_iteratorINSA_10device_ptrIsEEEEPS6_SG_NS0_5tupleIJSF_S6_EEENSH_IJSG_SG_EEES6_PlJNSB_9not_fun_tINSB_14equal_to_valueIsEEEEEEE10hipError_tPvRmT3_T4_T5_T6_T7_T9_mT8_P12ihipStream_tbDpT10_ENKUlT_T0_E_clISt17integral_constantIbLb1EES18_EEDaS13_S14_EUlS13_E_NS1_11comp_targetILNS1_3genE2ELNS1_11target_archE906ELNS1_3gpuE6ELNS1_3repE0EEENS1_30default_config_static_selectorELNS0_4arch9wavefront6targetE0EEEvT1_,"axG",@progbits,_ZN7rocprim17ROCPRIM_400000_NS6detail17trampoline_kernelINS0_14default_configENS1_25partition_config_selectorILNS1_17partition_subalgoE6EsNS0_10empty_typeEbEEZZNS1_14partition_implILS5_6ELb0ES3_mN6thrust23THRUST_200600_302600_NS6detail15normal_iteratorINSA_10device_ptrIsEEEEPS6_SG_NS0_5tupleIJSF_S6_EEENSH_IJSG_SG_EEES6_PlJNSB_9not_fun_tINSB_14equal_to_valueIsEEEEEEE10hipError_tPvRmT3_T4_T5_T6_T7_T9_mT8_P12ihipStream_tbDpT10_ENKUlT_T0_E_clISt17integral_constantIbLb1EES18_EEDaS13_S14_EUlS13_E_NS1_11comp_targetILNS1_3genE2ELNS1_11target_archE906ELNS1_3gpuE6ELNS1_3repE0EEENS1_30default_config_static_selectorELNS0_4arch9wavefront6targetE0EEEvT1_,comdat
.Lfunc_end513:
	.size	_ZN7rocprim17ROCPRIM_400000_NS6detail17trampoline_kernelINS0_14default_configENS1_25partition_config_selectorILNS1_17partition_subalgoE6EsNS0_10empty_typeEbEEZZNS1_14partition_implILS5_6ELb0ES3_mN6thrust23THRUST_200600_302600_NS6detail15normal_iteratorINSA_10device_ptrIsEEEEPS6_SG_NS0_5tupleIJSF_S6_EEENSH_IJSG_SG_EEES6_PlJNSB_9not_fun_tINSB_14equal_to_valueIsEEEEEEE10hipError_tPvRmT3_T4_T5_T6_T7_T9_mT8_P12ihipStream_tbDpT10_ENKUlT_T0_E_clISt17integral_constantIbLb1EES18_EEDaS13_S14_EUlS13_E_NS1_11comp_targetILNS1_3genE2ELNS1_11target_archE906ELNS1_3gpuE6ELNS1_3repE0EEENS1_30default_config_static_selectorELNS0_4arch9wavefront6targetE0EEEvT1_, .Lfunc_end513-_ZN7rocprim17ROCPRIM_400000_NS6detail17trampoline_kernelINS0_14default_configENS1_25partition_config_selectorILNS1_17partition_subalgoE6EsNS0_10empty_typeEbEEZZNS1_14partition_implILS5_6ELb0ES3_mN6thrust23THRUST_200600_302600_NS6detail15normal_iteratorINSA_10device_ptrIsEEEEPS6_SG_NS0_5tupleIJSF_S6_EEENSH_IJSG_SG_EEES6_PlJNSB_9not_fun_tINSB_14equal_to_valueIsEEEEEEE10hipError_tPvRmT3_T4_T5_T6_T7_T9_mT8_P12ihipStream_tbDpT10_ENKUlT_T0_E_clISt17integral_constantIbLb1EES18_EEDaS13_S14_EUlS13_E_NS1_11comp_targetILNS1_3genE2ELNS1_11target_archE906ELNS1_3gpuE6ELNS1_3repE0EEENS1_30default_config_static_selectorELNS0_4arch9wavefront6targetE0EEEvT1_
                                        ; -- End function
	.set _ZN7rocprim17ROCPRIM_400000_NS6detail17trampoline_kernelINS0_14default_configENS1_25partition_config_selectorILNS1_17partition_subalgoE6EsNS0_10empty_typeEbEEZZNS1_14partition_implILS5_6ELb0ES3_mN6thrust23THRUST_200600_302600_NS6detail15normal_iteratorINSA_10device_ptrIsEEEEPS6_SG_NS0_5tupleIJSF_S6_EEENSH_IJSG_SG_EEES6_PlJNSB_9not_fun_tINSB_14equal_to_valueIsEEEEEEE10hipError_tPvRmT3_T4_T5_T6_T7_T9_mT8_P12ihipStream_tbDpT10_ENKUlT_T0_E_clISt17integral_constantIbLb1EES18_EEDaS13_S14_EUlS13_E_NS1_11comp_targetILNS1_3genE2ELNS1_11target_archE906ELNS1_3gpuE6ELNS1_3repE0EEENS1_30default_config_static_selectorELNS0_4arch9wavefront6targetE0EEEvT1_.num_vgpr, 0
	.set _ZN7rocprim17ROCPRIM_400000_NS6detail17trampoline_kernelINS0_14default_configENS1_25partition_config_selectorILNS1_17partition_subalgoE6EsNS0_10empty_typeEbEEZZNS1_14partition_implILS5_6ELb0ES3_mN6thrust23THRUST_200600_302600_NS6detail15normal_iteratorINSA_10device_ptrIsEEEEPS6_SG_NS0_5tupleIJSF_S6_EEENSH_IJSG_SG_EEES6_PlJNSB_9not_fun_tINSB_14equal_to_valueIsEEEEEEE10hipError_tPvRmT3_T4_T5_T6_T7_T9_mT8_P12ihipStream_tbDpT10_ENKUlT_T0_E_clISt17integral_constantIbLb1EES18_EEDaS13_S14_EUlS13_E_NS1_11comp_targetILNS1_3genE2ELNS1_11target_archE906ELNS1_3gpuE6ELNS1_3repE0EEENS1_30default_config_static_selectorELNS0_4arch9wavefront6targetE0EEEvT1_.num_agpr, 0
	.set _ZN7rocprim17ROCPRIM_400000_NS6detail17trampoline_kernelINS0_14default_configENS1_25partition_config_selectorILNS1_17partition_subalgoE6EsNS0_10empty_typeEbEEZZNS1_14partition_implILS5_6ELb0ES3_mN6thrust23THRUST_200600_302600_NS6detail15normal_iteratorINSA_10device_ptrIsEEEEPS6_SG_NS0_5tupleIJSF_S6_EEENSH_IJSG_SG_EEES6_PlJNSB_9not_fun_tINSB_14equal_to_valueIsEEEEEEE10hipError_tPvRmT3_T4_T5_T6_T7_T9_mT8_P12ihipStream_tbDpT10_ENKUlT_T0_E_clISt17integral_constantIbLb1EES18_EEDaS13_S14_EUlS13_E_NS1_11comp_targetILNS1_3genE2ELNS1_11target_archE906ELNS1_3gpuE6ELNS1_3repE0EEENS1_30default_config_static_selectorELNS0_4arch9wavefront6targetE0EEEvT1_.numbered_sgpr, 0
	.set _ZN7rocprim17ROCPRIM_400000_NS6detail17trampoline_kernelINS0_14default_configENS1_25partition_config_selectorILNS1_17partition_subalgoE6EsNS0_10empty_typeEbEEZZNS1_14partition_implILS5_6ELb0ES3_mN6thrust23THRUST_200600_302600_NS6detail15normal_iteratorINSA_10device_ptrIsEEEEPS6_SG_NS0_5tupleIJSF_S6_EEENSH_IJSG_SG_EEES6_PlJNSB_9not_fun_tINSB_14equal_to_valueIsEEEEEEE10hipError_tPvRmT3_T4_T5_T6_T7_T9_mT8_P12ihipStream_tbDpT10_ENKUlT_T0_E_clISt17integral_constantIbLb1EES18_EEDaS13_S14_EUlS13_E_NS1_11comp_targetILNS1_3genE2ELNS1_11target_archE906ELNS1_3gpuE6ELNS1_3repE0EEENS1_30default_config_static_selectorELNS0_4arch9wavefront6targetE0EEEvT1_.num_named_barrier, 0
	.set _ZN7rocprim17ROCPRIM_400000_NS6detail17trampoline_kernelINS0_14default_configENS1_25partition_config_selectorILNS1_17partition_subalgoE6EsNS0_10empty_typeEbEEZZNS1_14partition_implILS5_6ELb0ES3_mN6thrust23THRUST_200600_302600_NS6detail15normal_iteratorINSA_10device_ptrIsEEEEPS6_SG_NS0_5tupleIJSF_S6_EEENSH_IJSG_SG_EEES6_PlJNSB_9not_fun_tINSB_14equal_to_valueIsEEEEEEE10hipError_tPvRmT3_T4_T5_T6_T7_T9_mT8_P12ihipStream_tbDpT10_ENKUlT_T0_E_clISt17integral_constantIbLb1EES18_EEDaS13_S14_EUlS13_E_NS1_11comp_targetILNS1_3genE2ELNS1_11target_archE906ELNS1_3gpuE6ELNS1_3repE0EEENS1_30default_config_static_selectorELNS0_4arch9wavefront6targetE0EEEvT1_.private_seg_size, 0
	.set _ZN7rocprim17ROCPRIM_400000_NS6detail17trampoline_kernelINS0_14default_configENS1_25partition_config_selectorILNS1_17partition_subalgoE6EsNS0_10empty_typeEbEEZZNS1_14partition_implILS5_6ELb0ES3_mN6thrust23THRUST_200600_302600_NS6detail15normal_iteratorINSA_10device_ptrIsEEEEPS6_SG_NS0_5tupleIJSF_S6_EEENSH_IJSG_SG_EEES6_PlJNSB_9not_fun_tINSB_14equal_to_valueIsEEEEEEE10hipError_tPvRmT3_T4_T5_T6_T7_T9_mT8_P12ihipStream_tbDpT10_ENKUlT_T0_E_clISt17integral_constantIbLb1EES18_EEDaS13_S14_EUlS13_E_NS1_11comp_targetILNS1_3genE2ELNS1_11target_archE906ELNS1_3gpuE6ELNS1_3repE0EEENS1_30default_config_static_selectorELNS0_4arch9wavefront6targetE0EEEvT1_.uses_vcc, 0
	.set _ZN7rocprim17ROCPRIM_400000_NS6detail17trampoline_kernelINS0_14default_configENS1_25partition_config_selectorILNS1_17partition_subalgoE6EsNS0_10empty_typeEbEEZZNS1_14partition_implILS5_6ELb0ES3_mN6thrust23THRUST_200600_302600_NS6detail15normal_iteratorINSA_10device_ptrIsEEEEPS6_SG_NS0_5tupleIJSF_S6_EEENSH_IJSG_SG_EEES6_PlJNSB_9not_fun_tINSB_14equal_to_valueIsEEEEEEE10hipError_tPvRmT3_T4_T5_T6_T7_T9_mT8_P12ihipStream_tbDpT10_ENKUlT_T0_E_clISt17integral_constantIbLb1EES18_EEDaS13_S14_EUlS13_E_NS1_11comp_targetILNS1_3genE2ELNS1_11target_archE906ELNS1_3gpuE6ELNS1_3repE0EEENS1_30default_config_static_selectorELNS0_4arch9wavefront6targetE0EEEvT1_.uses_flat_scratch, 0
	.set _ZN7rocprim17ROCPRIM_400000_NS6detail17trampoline_kernelINS0_14default_configENS1_25partition_config_selectorILNS1_17partition_subalgoE6EsNS0_10empty_typeEbEEZZNS1_14partition_implILS5_6ELb0ES3_mN6thrust23THRUST_200600_302600_NS6detail15normal_iteratorINSA_10device_ptrIsEEEEPS6_SG_NS0_5tupleIJSF_S6_EEENSH_IJSG_SG_EEES6_PlJNSB_9not_fun_tINSB_14equal_to_valueIsEEEEEEE10hipError_tPvRmT3_T4_T5_T6_T7_T9_mT8_P12ihipStream_tbDpT10_ENKUlT_T0_E_clISt17integral_constantIbLb1EES18_EEDaS13_S14_EUlS13_E_NS1_11comp_targetILNS1_3genE2ELNS1_11target_archE906ELNS1_3gpuE6ELNS1_3repE0EEENS1_30default_config_static_selectorELNS0_4arch9wavefront6targetE0EEEvT1_.has_dyn_sized_stack, 0
	.set _ZN7rocprim17ROCPRIM_400000_NS6detail17trampoline_kernelINS0_14default_configENS1_25partition_config_selectorILNS1_17partition_subalgoE6EsNS0_10empty_typeEbEEZZNS1_14partition_implILS5_6ELb0ES3_mN6thrust23THRUST_200600_302600_NS6detail15normal_iteratorINSA_10device_ptrIsEEEEPS6_SG_NS0_5tupleIJSF_S6_EEENSH_IJSG_SG_EEES6_PlJNSB_9not_fun_tINSB_14equal_to_valueIsEEEEEEE10hipError_tPvRmT3_T4_T5_T6_T7_T9_mT8_P12ihipStream_tbDpT10_ENKUlT_T0_E_clISt17integral_constantIbLb1EES18_EEDaS13_S14_EUlS13_E_NS1_11comp_targetILNS1_3genE2ELNS1_11target_archE906ELNS1_3gpuE6ELNS1_3repE0EEENS1_30default_config_static_selectorELNS0_4arch9wavefront6targetE0EEEvT1_.has_recursion, 0
	.set _ZN7rocprim17ROCPRIM_400000_NS6detail17trampoline_kernelINS0_14default_configENS1_25partition_config_selectorILNS1_17partition_subalgoE6EsNS0_10empty_typeEbEEZZNS1_14partition_implILS5_6ELb0ES3_mN6thrust23THRUST_200600_302600_NS6detail15normal_iteratorINSA_10device_ptrIsEEEEPS6_SG_NS0_5tupleIJSF_S6_EEENSH_IJSG_SG_EEES6_PlJNSB_9not_fun_tINSB_14equal_to_valueIsEEEEEEE10hipError_tPvRmT3_T4_T5_T6_T7_T9_mT8_P12ihipStream_tbDpT10_ENKUlT_T0_E_clISt17integral_constantIbLb1EES18_EEDaS13_S14_EUlS13_E_NS1_11comp_targetILNS1_3genE2ELNS1_11target_archE906ELNS1_3gpuE6ELNS1_3repE0EEENS1_30default_config_static_selectorELNS0_4arch9wavefront6targetE0EEEvT1_.has_indirect_call, 0
	.section	.AMDGPU.csdata,"",@progbits
; Kernel info:
; codeLenInByte = 0
; TotalNumSgprs: 0
; NumVgprs: 0
; ScratchSize: 0
; MemoryBound: 0
; FloatMode: 240
; IeeeMode: 1
; LDSByteSize: 0 bytes/workgroup (compile time only)
; SGPRBlocks: 0
; VGPRBlocks: 0
; NumSGPRsForWavesPerEU: 1
; NumVGPRsForWavesPerEU: 1
; Occupancy: 16
; WaveLimiterHint : 0
; COMPUTE_PGM_RSRC2:SCRATCH_EN: 0
; COMPUTE_PGM_RSRC2:USER_SGPR: 2
; COMPUTE_PGM_RSRC2:TRAP_HANDLER: 0
; COMPUTE_PGM_RSRC2:TGID_X_EN: 1
; COMPUTE_PGM_RSRC2:TGID_Y_EN: 0
; COMPUTE_PGM_RSRC2:TGID_Z_EN: 0
; COMPUTE_PGM_RSRC2:TIDIG_COMP_CNT: 0
	.section	.text._ZN7rocprim17ROCPRIM_400000_NS6detail17trampoline_kernelINS0_14default_configENS1_25partition_config_selectorILNS1_17partition_subalgoE6EsNS0_10empty_typeEbEEZZNS1_14partition_implILS5_6ELb0ES3_mN6thrust23THRUST_200600_302600_NS6detail15normal_iteratorINSA_10device_ptrIsEEEEPS6_SG_NS0_5tupleIJSF_S6_EEENSH_IJSG_SG_EEES6_PlJNSB_9not_fun_tINSB_14equal_to_valueIsEEEEEEE10hipError_tPvRmT3_T4_T5_T6_T7_T9_mT8_P12ihipStream_tbDpT10_ENKUlT_T0_E_clISt17integral_constantIbLb1EES18_EEDaS13_S14_EUlS13_E_NS1_11comp_targetILNS1_3genE10ELNS1_11target_archE1200ELNS1_3gpuE4ELNS1_3repE0EEENS1_30default_config_static_selectorELNS0_4arch9wavefront6targetE0EEEvT1_,"axG",@progbits,_ZN7rocprim17ROCPRIM_400000_NS6detail17trampoline_kernelINS0_14default_configENS1_25partition_config_selectorILNS1_17partition_subalgoE6EsNS0_10empty_typeEbEEZZNS1_14partition_implILS5_6ELb0ES3_mN6thrust23THRUST_200600_302600_NS6detail15normal_iteratorINSA_10device_ptrIsEEEEPS6_SG_NS0_5tupleIJSF_S6_EEENSH_IJSG_SG_EEES6_PlJNSB_9not_fun_tINSB_14equal_to_valueIsEEEEEEE10hipError_tPvRmT3_T4_T5_T6_T7_T9_mT8_P12ihipStream_tbDpT10_ENKUlT_T0_E_clISt17integral_constantIbLb1EES18_EEDaS13_S14_EUlS13_E_NS1_11comp_targetILNS1_3genE10ELNS1_11target_archE1200ELNS1_3gpuE4ELNS1_3repE0EEENS1_30default_config_static_selectorELNS0_4arch9wavefront6targetE0EEEvT1_,comdat
	.protected	_ZN7rocprim17ROCPRIM_400000_NS6detail17trampoline_kernelINS0_14default_configENS1_25partition_config_selectorILNS1_17partition_subalgoE6EsNS0_10empty_typeEbEEZZNS1_14partition_implILS5_6ELb0ES3_mN6thrust23THRUST_200600_302600_NS6detail15normal_iteratorINSA_10device_ptrIsEEEEPS6_SG_NS0_5tupleIJSF_S6_EEENSH_IJSG_SG_EEES6_PlJNSB_9not_fun_tINSB_14equal_to_valueIsEEEEEEE10hipError_tPvRmT3_T4_T5_T6_T7_T9_mT8_P12ihipStream_tbDpT10_ENKUlT_T0_E_clISt17integral_constantIbLb1EES18_EEDaS13_S14_EUlS13_E_NS1_11comp_targetILNS1_3genE10ELNS1_11target_archE1200ELNS1_3gpuE4ELNS1_3repE0EEENS1_30default_config_static_selectorELNS0_4arch9wavefront6targetE0EEEvT1_ ; -- Begin function _ZN7rocprim17ROCPRIM_400000_NS6detail17trampoline_kernelINS0_14default_configENS1_25partition_config_selectorILNS1_17partition_subalgoE6EsNS0_10empty_typeEbEEZZNS1_14partition_implILS5_6ELb0ES3_mN6thrust23THRUST_200600_302600_NS6detail15normal_iteratorINSA_10device_ptrIsEEEEPS6_SG_NS0_5tupleIJSF_S6_EEENSH_IJSG_SG_EEES6_PlJNSB_9not_fun_tINSB_14equal_to_valueIsEEEEEEE10hipError_tPvRmT3_T4_T5_T6_T7_T9_mT8_P12ihipStream_tbDpT10_ENKUlT_T0_E_clISt17integral_constantIbLb1EES18_EEDaS13_S14_EUlS13_E_NS1_11comp_targetILNS1_3genE10ELNS1_11target_archE1200ELNS1_3gpuE4ELNS1_3repE0EEENS1_30default_config_static_selectorELNS0_4arch9wavefront6targetE0EEEvT1_
	.globl	_ZN7rocprim17ROCPRIM_400000_NS6detail17trampoline_kernelINS0_14default_configENS1_25partition_config_selectorILNS1_17partition_subalgoE6EsNS0_10empty_typeEbEEZZNS1_14partition_implILS5_6ELb0ES3_mN6thrust23THRUST_200600_302600_NS6detail15normal_iteratorINSA_10device_ptrIsEEEEPS6_SG_NS0_5tupleIJSF_S6_EEENSH_IJSG_SG_EEES6_PlJNSB_9not_fun_tINSB_14equal_to_valueIsEEEEEEE10hipError_tPvRmT3_T4_T5_T6_T7_T9_mT8_P12ihipStream_tbDpT10_ENKUlT_T0_E_clISt17integral_constantIbLb1EES18_EEDaS13_S14_EUlS13_E_NS1_11comp_targetILNS1_3genE10ELNS1_11target_archE1200ELNS1_3gpuE4ELNS1_3repE0EEENS1_30default_config_static_selectorELNS0_4arch9wavefront6targetE0EEEvT1_
	.p2align	8
	.type	_ZN7rocprim17ROCPRIM_400000_NS6detail17trampoline_kernelINS0_14default_configENS1_25partition_config_selectorILNS1_17partition_subalgoE6EsNS0_10empty_typeEbEEZZNS1_14partition_implILS5_6ELb0ES3_mN6thrust23THRUST_200600_302600_NS6detail15normal_iteratorINSA_10device_ptrIsEEEEPS6_SG_NS0_5tupleIJSF_S6_EEENSH_IJSG_SG_EEES6_PlJNSB_9not_fun_tINSB_14equal_to_valueIsEEEEEEE10hipError_tPvRmT3_T4_T5_T6_T7_T9_mT8_P12ihipStream_tbDpT10_ENKUlT_T0_E_clISt17integral_constantIbLb1EES18_EEDaS13_S14_EUlS13_E_NS1_11comp_targetILNS1_3genE10ELNS1_11target_archE1200ELNS1_3gpuE4ELNS1_3repE0EEENS1_30default_config_static_selectorELNS0_4arch9wavefront6targetE0EEEvT1_,@function
_ZN7rocprim17ROCPRIM_400000_NS6detail17trampoline_kernelINS0_14default_configENS1_25partition_config_selectorILNS1_17partition_subalgoE6EsNS0_10empty_typeEbEEZZNS1_14partition_implILS5_6ELb0ES3_mN6thrust23THRUST_200600_302600_NS6detail15normal_iteratorINSA_10device_ptrIsEEEEPS6_SG_NS0_5tupleIJSF_S6_EEENSH_IJSG_SG_EEES6_PlJNSB_9not_fun_tINSB_14equal_to_valueIsEEEEEEE10hipError_tPvRmT3_T4_T5_T6_T7_T9_mT8_P12ihipStream_tbDpT10_ENKUlT_T0_E_clISt17integral_constantIbLb1EES18_EEDaS13_S14_EUlS13_E_NS1_11comp_targetILNS1_3genE10ELNS1_11target_archE1200ELNS1_3gpuE4ELNS1_3repE0EEENS1_30default_config_static_selectorELNS0_4arch9wavefront6targetE0EEEvT1_: ; @_ZN7rocprim17ROCPRIM_400000_NS6detail17trampoline_kernelINS0_14default_configENS1_25partition_config_selectorILNS1_17partition_subalgoE6EsNS0_10empty_typeEbEEZZNS1_14partition_implILS5_6ELb0ES3_mN6thrust23THRUST_200600_302600_NS6detail15normal_iteratorINSA_10device_ptrIsEEEEPS6_SG_NS0_5tupleIJSF_S6_EEENSH_IJSG_SG_EEES6_PlJNSB_9not_fun_tINSB_14equal_to_valueIsEEEEEEE10hipError_tPvRmT3_T4_T5_T6_T7_T9_mT8_P12ihipStream_tbDpT10_ENKUlT_T0_E_clISt17integral_constantIbLb1EES18_EEDaS13_S14_EUlS13_E_NS1_11comp_targetILNS1_3genE10ELNS1_11target_archE1200ELNS1_3gpuE4ELNS1_3repE0EEENS1_30default_config_static_selectorELNS0_4arch9wavefront6targetE0EEEvT1_
; %bb.0:
	s_endpgm
	.section	.rodata,"a",@progbits
	.p2align	6, 0x0
	.amdhsa_kernel _ZN7rocprim17ROCPRIM_400000_NS6detail17trampoline_kernelINS0_14default_configENS1_25partition_config_selectorILNS1_17partition_subalgoE6EsNS0_10empty_typeEbEEZZNS1_14partition_implILS5_6ELb0ES3_mN6thrust23THRUST_200600_302600_NS6detail15normal_iteratorINSA_10device_ptrIsEEEEPS6_SG_NS0_5tupleIJSF_S6_EEENSH_IJSG_SG_EEES6_PlJNSB_9not_fun_tINSB_14equal_to_valueIsEEEEEEE10hipError_tPvRmT3_T4_T5_T6_T7_T9_mT8_P12ihipStream_tbDpT10_ENKUlT_T0_E_clISt17integral_constantIbLb1EES18_EEDaS13_S14_EUlS13_E_NS1_11comp_targetILNS1_3genE10ELNS1_11target_archE1200ELNS1_3gpuE4ELNS1_3repE0EEENS1_30default_config_static_selectorELNS0_4arch9wavefront6targetE0EEEvT1_
		.amdhsa_group_segment_fixed_size 0
		.amdhsa_private_segment_fixed_size 0
		.amdhsa_kernarg_size 128
		.amdhsa_user_sgpr_count 2
		.amdhsa_user_sgpr_dispatch_ptr 0
		.amdhsa_user_sgpr_queue_ptr 0
		.amdhsa_user_sgpr_kernarg_segment_ptr 1
		.amdhsa_user_sgpr_dispatch_id 0
		.amdhsa_user_sgpr_private_segment_size 0
		.amdhsa_wavefront_size32 1
		.amdhsa_uses_dynamic_stack 0
		.amdhsa_enable_private_segment 0
		.amdhsa_system_sgpr_workgroup_id_x 1
		.amdhsa_system_sgpr_workgroup_id_y 0
		.amdhsa_system_sgpr_workgroup_id_z 0
		.amdhsa_system_sgpr_workgroup_info 0
		.amdhsa_system_vgpr_workitem_id 0
		.amdhsa_next_free_vgpr 1
		.amdhsa_next_free_sgpr 1
		.amdhsa_reserve_vcc 0
		.amdhsa_float_round_mode_32 0
		.amdhsa_float_round_mode_16_64 0
		.amdhsa_float_denorm_mode_32 3
		.amdhsa_float_denorm_mode_16_64 3
		.amdhsa_fp16_overflow 0
		.amdhsa_workgroup_processor_mode 1
		.amdhsa_memory_ordered 1
		.amdhsa_forward_progress 1
		.amdhsa_inst_pref_size 1
		.amdhsa_round_robin_scheduling 0
		.amdhsa_exception_fp_ieee_invalid_op 0
		.amdhsa_exception_fp_denorm_src 0
		.amdhsa_exception_fp_ieee_div_zero 0
		.amdhsa_exception_fp_ieee_overflow 0
		.amdhsa_exception_fp_ieee_underflow 0
		.amdhsa_exception_fp_ieee_inexact 0
		.amdhsa_exception_int_div_zero 0
	.end_amdhsa_kernel
	.section	.text._ZN7rocprim17ROCPRIM_400000_NS6detail17trampoline_kernelINS0_14default_configENS1_25partition_config_selectorILNS1_17partition_subalgoE6EsNS0_10empty_typeEbEEZZNS1_14partition_implILS5_6ELb0ES3_mN6thrust23THRUST_200600_302600_NS6detail15normal_iteratorINSA_10device_ptrIsEEEEPS6_SG_NS0_5tupleIJSF_S6_EEENSH_IJSG_SG_EEES6_PlJNSB_9not_fun_tINSB_14equal_to_valueIsEEEEEEE10hipError_tPvRmT3_T4_T5_T6_T7_T9_mT8_P12ihipStream_tbDpT10_ENKUlT_T0_E_clISt17integral_constantIbLb1EES18_EEDaS13_S14_EUlS13_E_NS1_11comp_targetILNS1_3genE10ELNS1_11target_archE1200ELNS1_3gpuE4ELNS1_3repE0EEENS1_30default_config_static_selectorELNS0_4arch9wavefront6targetE0EEEvT1_,"axG",@progbits,_ZN7rocprim17ROCPRIM_400000_NS6detail17trampoline_kernelINS0_14default_configENS1_25partition_config_selectorILNS1_17partition_subalgoE6EsNS0_10empty_typeEbEEZZNS1_14partition_implILS5_6ELb0ES3_mN6thrust23THRUST_200600_302600_NS6detail15normal_iteratorINSA_10device_ptrIsEEEEPS6_SG_NS0_5tupleIJSF_S6_EEENSH_IJSG_SG_EEES6_PlJNSB_9not_fun_tINSB_14equal_to_valueIsEEEEEEE10hipError_tPvRmT3_T4_T5_T6_T7_T9_mT8_P12ihipStream_tbDpT10_ENKUlT_T0_E_clISt17integral_constantIbLb1EES18_EEDaS13_S14_EUlS13_E_NS1_11comp_targetILNS1_3genE10ELNS1_11target_archE1200ELNS1_3gpuE4ELNS1_3repE0EEENS1_30default_config_static_selectorELNS0_4arch9wavefront6targetE0EEEvT1_,comdat
.Lfunc_end514:
	.size	_ZN7rocprim17ROCPRIM_400000_NS6detail17trampoline_kernelINS0_14default_configENS1_25partition_config_selectorILNS1_17partition_subalgoE6EsNS0_10empty_typeEbEEZZNS1_14partition_implILS5_6ELb0ES3_mN6thrust23THRUST_200600_302600_NS6detail15normal_iteratorINSA_10device_ptrIsEEEEPS6_SG_NS0_5tupleIJSF_S6_EEENSH_IJSG_SG_EEES6_PlJNSB_9not_fun_tINSB_14equal_to_valueIsEEEEEEE10hipError_tPvRmT3_T4_T5_T6_T7_T9_mT8_P12ihipStream_tbDpT10_ENKUlT_T0_E_clISt17integral_constantIbLb1EES18_EEDaS13_S14_EUlS13_E_NS1_11comp_targetILNS1_3genE10ELNS1_11target_archE1200ELNS1_3gpuE4ELNS1_3repE0EEENS1_30default_config_static_selectorELNS0_4arch9wavefront6targetE0EEEvT1_, .Lfunc_end514-_ZN7rocprim17ROCPRIM_400000_NS6detail17trampoline_kernelINS0_14default_configENS1_25partition_config_selectorILNS1_17partition_subalgoE6EsNS0_10empty_typeEbEEZZNS1_14partition_implILS5_6ELb0ES3_mN6thrust23THRUST_200600_302600_NS6detail15normal_iteratorINSA_10device_ptrIsEEEEPS6_SG_NS0_5tupleIJSF_S6_EEENSH_IJSG_SG_EEES6_PlJNSB_9not_fun_tINSB_14equal_to_valueIsEEEEEEE10hipError_tPvRmT3_T4_T5_T6_T7_T9_mT8_P12ihipStream_tbDpT10_ENKUlT_T0_E_clISt17integral_constantIbLb1EES18_EEDaS13_S14_EUlS13_E_NS1_11comp_targetILNS1_3genE10ELNS1_11target_archE1200ELNS1_3gpuE4ELNS1_3repE0EEENS1_30default_config_static_selectorELNS0_4arch9wavefront6targetE0EEEvT1_
                                        ; -- End function
	.set _ZN7rocprim17ROCPRIM_400000_NS6detail17trampoline_kernelINS0_14default_configENS1_25partition_config_selectorILNS1_17partition_subalgoE6EsNS0_10empty_typeEbEEZZNS1_14partition_implILS5_6ELb0ES3_mN6thrust23THRUST_200600_302600_NS6detail15normal_iteratorINSA_10device_ptrIsEEEEPS6_SG_NS0_5tupleIJSF_S6_EEENSH_IJSG_SG_EEES6_PlJNSB_9not_fun_tINSB_14equal_to_valueIsEEEEEEE10hipError_tPvRmT3_T4_T5_T6_T7_T9_mT8_P12ihipStream_tbDpT10_ENKUlT_T0_E_clISt17integral_constantIbLb1EES18_EEDaS13_S14_EUlS13_E_NS1_11comp_targetILNS1_3genE10ELNS1_11target_archE1200ELNS1_3gpuE4ELNS1_3repE0EEENS1_30default_config_static_selectorELNS0_4arch9wavefront6targetE0EEEvT1_.num_vgpr, 0
	.set _ZN7rocprim17ROCPRIM_400000_NS6detail17trampoline_kernelINS0_14default_configENS1_25partition_config_selectorILNS1_17partition_subalgoE6EsNS0_10empty_typeEbEEZZNS1_14partition_implILS5_6ELb0ES3_mN6thrust23THRUST_200600_302600_NS6detail15normal_iteratorINSA_10device_ptrIsEEEEPS6_SG_NS0_5tupleIJSF_S6_EEENSH_IJSG_SG_EEES6_PlJNSB_9not_fun_tINSB_14equal_to_valueIsEEEEEEE10hipError_tPvRmT3_T4_T5_T6_T7_T9_mT8_P12ihipStream_tbDpT10_ENKUlT_T0_E_clISt17integral_constantIbLb1EES18_EEDaS13_S14_EUlS13_E_NS1_11comp_targetILNS1_3genE10ELNS1_11target_archE1200ELNS1_3gpuE4ELNS1_3repE0EEENS1_30default_config_static_selectorELNS0_4arch9wavefront6targetE0EEEvT1_.num_agpr, 0
	.set _ZN7rocprim17ROCPRIM_400000_NS6detail17trampoline_kernelINS0_14default_configENS1_25partition_config_selectorILNS1_17partition_subalgoE6EsNS0_10empty_typeEbEEZZNS1_14partition_implILS5_6ELb0ES3_mN6thrust23THRUST_200600_302600_NS6detail15normal_iteratorINSA_10device_ptrIsEEEEPS6_SG_NS0_5tupleIJSF_S6_EEENSH_IJSG_SG_EEES6_PlJNSB_9not_fun_tINSB_14equal_to_valueIsEEEEEEE10hipError_tPvRmT3_T4_T5_T6_T7_T9_mT8_P12ihipStream_tbDpT10_ENKUlT_T0_E_clISt17integral_constantIbLb1EES18_EEDaS13_S14_EUlS13_E_NS1_11comp_targetILNS1_3genE10ELNS1_11target_archE1200ELNS1_3gpuE4ELNS1_3repE0EEENS1_30default_config_static_selectorELNS0_4arch9wavefront6targetE0EEEvT1_.numbered_sgpr, 0
	.set _ZN7rocprim17ROCPRIM_400000_NS6detail17trampoline_kernelINS0_14default_configENS1_25partition_config_selectorILNS1_17partition_subalgoE6EsNS0_10empty_typeEbEEZZNS1_14partition_implILS5_6ELb0ES3_mN6thrust23THRUST_200600_302600_NS6detail15normal_iteratorINSA_10device_ptrIsEEEEPS6_SG_NS0_5tupleIJSF_S6_EEENSH_IJSG_SG_EEES6_PlJNSB_9not_fun_tINSB_14equal_to_valueIsEEEEEEE10hipError_tPvRmT3_T4_T5_T6_T7_T9_mT8_P12ihipStream_tbDpT10_ENKUlT_T0_E_clISt17integral_constantIbLb1EES18_EEDaS13_S14_EUlS13_E_NS1_11comp_targetILNS1_3genE10ELNS1_11target_archE1200ELNS1_3gpuE4ELNS1_3repE0EEENS1_30default_config_static_selectorELNS0_4arch9wavefront6targetE0EEEvT1_.num_named_barrier, 0
	.set _ZN7rocprim17ROCPRIM_400000_NS6detail17trampoline_kernelINS0_14default_configENS1_25partition_config_selectorILNS1_17partition_subalgoE6EsNS0_10empty_typeEbEEZZNS1_14partition_implILS5_6ELb0ES3_mN6thrust23THRUST_200600_302600_NS6detail15normal_iteratorINSA_10device_ptrIsEEEEPS6_SG_NS0_5tupleIJSF_S6_EEENSH_IJSG_SG_EEES6_PlJNSB_9not_fun_tINSB_14equal_to_valueIsEEEEEEE10hipError_tPvRmT3_T4_T5_T6_T7_T9_mT8_P12ihipStream_tbDpT10_ENKUlT_T0_E_clISt17integral_constantIbLb1EES18_EEDaS13_S14_EUlS13_E_NS1_11comp_targetILNS1_3genE10ELNS1_11target_archE1200ELNS1_3gpuE4ELNS1_3repE0EEENS1_30default_config_static_selectorELNS0_4arch9wavefront6targetE0EEEvT1_.private_seg_size, 0
	.set _ZN7rocprim17ROCPRIM_400000_NS6detail17trampoline_kernelINS0_14default_configENS1_25partition_config_selectorILNS1_17partition_subalgoE6EsNS0_10empty_typeEbEEZZNS1_14partition_implILS5_6ELb0ES3_mN6thrust23THRUST_200600_302600_NS6detail15normal_iteratorINSA_10device_ptrIsEEEEPS6_SG_NS0_5tupleIJSF_S6_EEENSH_IJSG_SG_EEES6_PlJNSB_9not_fun_tINSB_14equal_to_valueIsEEEEEEE10hipError_tPvRmT3_T4_T5_T6_T7_T9_mT8_P12ihipStream_tbDpT10_ENKUlT_T0_E_clISt17integral_constantIbLb1EES18_EEDaS13_S14_EUlS13_E_NS1_11comp_targetILNS1_3genE10ELNS1_11target_archE1200ELNS1_3gpuE4ELNS1_3repE0EEENS1_30default_config_static_selectorELNS0_4arch9wavefront6targetE0EEEvT1_.uses_vcc, 0
	.set _ZN7rocprim17ROCPRIM_400000_NS6detail17trampoline_kernelINS0_14default_configENS1_25partition_config_selectorILNS1_17partition_subalgoE6EsNS0_10empty_typeEbEEZZNS1_14partition_implILS5_6ELb0ES3_mN6thrust23THRUST_200600_302600_NS6detail15normal_iteratorINSA_10device_ptrIsEEEEPS6_SG_NS0_5tupleIJSF_S6_EEENSH_IJSG_SG_EEES6_PlJNSB_9not_fun_tINSB_14equal_to_valueIsEEEEEEE10hipError_tPvRmT3_T4_T5_T6_T7_T9_mT8_P12ihipStream_tbDpT10_ENKUlT_T0_E_clISt17integral_constantIbLb1EES18_EEDaS13_S14_EUlS13_E_NS1_11comp_targetILNS1_3genE10ELNS1_11target_archE1200ELNS1_3gpuE4ELNS1_3repE0EEENS1_30default_config_static_selectorELNS0_4arch9wavefront6targetE0EEEvT1_.uses_flat_scratch, 0
	.set _ZN7rocprim17ROCPRIM_400000_NS6detail17trampoline_kernelINS0_14default_configENS1_25partition_config_selectorILNS1_17partition_subalgoE6EsNS0_10empty_typeEbEEZZNS1_14partition_implILS5_6ELb0ES3_mN6thrust23THRUST_200600_302600_NS6detail15normal_iteratorINSA_10device_ptrIsEEEEPS6_SG_NS0_5tupleIJSF_S6_EEENSH_IJSG_SG_EEES6_PlJNSB_9not_fun_tINSB_14equal_to_valueIsEEEEEEE10hipError_tPvRmT3_T4_T5_T6_T7_T9_mT8_P12ihipStream_tbDpT10_ENKUlT_T0_E_clISt17integral_constantIbLb1EES18_EEDaS13_S14_EUlS13_E_NS1_11comp_targetILNS1_3genE10ELNS1_11target_archE1200ELNS1_3gpuE4ELNS1_3repE0EEENS1_30default_config_static_selectorELNS0_4arch9wavefront6targetE0EEEvT1_.has_dyn_sized_stack, 0
	.set _ZN7rocprim17ROCPRIM_400000_NS6detail17trampoline_kernelINS0_14default_configENS1_25partition_config_selectorILNS1_17partition_subalgoE6EsNS0_10empty_typeEbEEZZNS1_14partition_implILS5_6ELb0ES3_mN6thrust23THRUST_200600_302600_NS6detail15normal_iteratorINSA_10device_ptrIsEEEEPS6_SG_NS0_5tupleIJSF_S6_EEENSH_IJSG_SG_EEES6_PlJNSB_9not_fun_tINSB_14equal_to_valueIsEEEEEEE10hipError_tPvRmT3_T4_T5_T6_T7_T9_mT8_P12ihipStream_tbDpT10_ENKUlT_T0_E_clISt17integral_constantIbLb1EES18_EEDaS13_S14_EUlS13_E_NS1_11comp_targetILNS1_3genE10ELNS1_11target_archE1200ELNS1_3gpuE4ELNS1_3repE0EEENS1_30default_config_static_selectorELNS0_4arch9wavefront6targetE0EEEvT1_.has_recursion, 0
	.set _ZN7rocprim17ROCPRIM_400000_NS6detail17trampoline_kernelINS0_14default_configENS1_25partition_config_selectorILNS1_17partition_subalgoE6EsNS0_10empty_typeEbEEZZNS1_14partition_implILS5_6ELb0ES3_mN6thrust23THRUST_200600_302600_NS6detail15normal_iteratorINSA_10device_ptrIsEEEEPS6_SG_NS0_5tupleIJSF_S6_EEENSH_IJSG_SG_EEES6_PlJNSB_9not_fun_tINSB_14equal_to_valueIsEEEEEEE10hipError_tPvRmT3_T4_T5_T6_T7_T9_mT8_P12ihipStream_tbDpT10_ENKUlT_T0_E_clISt17integral_constantIbLb1EES18_EEDaS13_S14_EUlS13_E_NS1_11comp_targetILNS1_3genE10ELNS1_11target_archE1200ELNS1_3gpuE4ELNS1_3repE0EEENS1_30default_config_static_selectorELNS0_4arch9wavefront6targetE0EEEvT1_.has_indirect_call, 0
	.section	.AMDGPU.csdata,"",@progbits
; Kernel info:
; codeLenInByte = 4
; TotalNumSgprs: 0
; NumVgprs: 0
; ScratchSize: 0
; MemoryBound: 0
; FloatMode: 240
; IeeeMode: 1
; LDSByteSize: 0 bytes/workgroup (compile time only)
; SGPRBlocks: 0
; VGPRBlocks: 0
; NumSGPRsForWavesPerEU: 1
; NumVGPRsForWavesPerEU: 1
; Occupancy: 16
; WaveLimiterHint : 0
; COMPUTE_PGM_RSRC2:SCRATCH_EN: 0
; COMPUTE_PGM_RSRC2:USER_SGPR: 2
; COMPUTE_PGM_RSRC2:TRAP_HANDLER: 0
; COMPUTE_PGM_RSRC2:TGID_X_EN: 1
; COMPUTE_PGM_RSRC2:TGID_Y_EN: 0
; COMPUTE_PGM_RSRC2:TGID_Z_EN: 0
; COMPUTE_PGM_RSRC2:TIDIG_COMP_CNT: 0
	.section	.text._ZN7rocprim17ROCPRIM_400000_NS6detail17trampoline_kernelINS0_14default_configENS1_25partition_config_selectorILNS1_17partition_subalgoE6EsNS0_10empty_typeEbEEZZNS1_14partition_implILS5_6ELb0ES3_mN6thrust23THRUST_200600_302600_NS6detail15normal_iteratorINSA_10device_ptrIsEEEEPS6_SG_NS0_5tupleIJSF_S6_EEENSH_IJSG_SG_EEES6_PlJNSB_9not_fun_tINSB_14equal_to_valueIsEEEEEEE10hipError_tPvRmT3_T4_T5_T6_T7_T9_mT8_P12ihipStream_tbDpT10_ENKUlT_T0_E_clISt17integral_constantIbLb1EES18_EEDaS13_S14_EUlS13_E_NS1_11comp_targetILNS1_3genE9ELNS1_11target_archE1100ELNS1_3gpuE3ELNS1_3repE0EEENS1_30default_config_static_selectorELNS0_4arch9wavefront6targetE0EEEvT1_,"axG",@progbits,_ZN7rocprim17ROCPRIM_400000_NS6detail17trampoline_kernelINS0_14default_configENS1_25partition_config_selectorILNS1_17partition_subalgoE6EsNS0_10empty_typeEbEEZZNS1_14partition_implILS5_6ELb0ES3_mN6thrust23THRUST_200600_302600_NS6detail15normal_iteratorINSA_10device_ptrIsEEEEPS6_SG_NS0_5tupleIJSF_S6_EEENSH_IJSG_SG_EEES6_PlJNSB_9not_fun_tINSB_14equal_to_valueIsEEEEEEE10hipError_tPvRmT3_T4_T5_T6_T7_T9_mT8_P12ihipStream_tbDpT10_ENKUlT_T0_E_clISt17integral_constantIbLb1EES18_EEDaS13_S14_EUlS13_E_NS1_11comp_targetILNS1_3genE9ELNS1_11target_archE1100ELNS1_3gpuE3ELNS1_3repE0EEENS1_30default_config_static_selectorELNS0_4arch9wavefront6targetE0EEEvT1_,comdat
	.protected	_ZN7rocprim17ROCPRIM_400000_NS6detail17trampoline_kernelINS0_14default_configENS1_25partition_config_selectorILNS1_17partition_subalgoE6EsNS0_10empty_typeEbEEZZNS1_14partition_implILS5_6ELb0ES3_mN6thrust23THRUST_200600_302600_NS6detail15normal_iteratorINSA_10device_ptrIsEEEEPS6_SG_NS0_5tupleIJSF_S6_EEENSH_IJSG_SG_EEES6_PlJNSB_9not_fun_tINSB_14equal_to_valueIsEEEEEEE10hipError_tPvRmT3_T4_T5_T6_T7_T9_mT8_P12ihipStream_tbDpT10_ENKUlT_T0_E_clISt17integral_constantIbLb1EES18_EEDaS13_S14_EUlS13_E_NS1_11comp_targetILNS1_3genE9ELNS1_11target_archE1100ELNS1_3gpuE3ELNS1_3repE0EEENS1_30default_config_static_selectorELNS0_4arch9wavefront6targetE0EEEvT1_ ; -- Begin function _ZN7rocprim17ROCPRIM_400000_NS6detail17trampoline_kernelINS0_14default_configENS1_25partition_config_selectorILNS1_17partition_subalgoE6EsNS0_10empty_typeEbEEZZNS1_14partition_implILS5_6ELb0ES3_mN6thrust23THRUST_200600_302600_NS6detail15normal_iteratorINSA_10device_ptrIsEEEEPS6_SG_NS0_5tupleIJSF_S6_EEENSH_IJSG_SG_EEES6_PlJNSB_9not_fun_tINSB_14equal_to_valueIsEEEEEEE10hipError_tPvRmT3_T4_T5_T6_T7_T9_mT8_P12ihipStream_tbDpT10_ENKUlT_T0_E_clISt17integral_constantIbLb1EES18_EEDaS13_S14_EUlS13_E_NS1_11comp_targetILNS1_3genE9ELNS1_11target_archE1100ELNS1_3gpuE3ELNS1_3repE0EEENS1_30default_config_static_selectorELNS0_4arch9wavefront6targetE0EEEvT1_
	.globl	_ZN7rocprim17ROCPRIM_400000_NS6detail17trampoline_kernelINS0_14default_configENS1_25partition_config_selectorILNS1_17partition_subalgoE6EsNS0_10empty_typeEbEEZZNS1_14partition_implILS5_6ELb0ES3_mN6thrust23THRUST_200600_302600_NS6detail15normal_iteratorINSA_10device_ptrIsEEEEPS6_SG_NS0_5tupleIJSF_S6_EEENSH_IJSG_SG_EEES6_PlJNSB_9not_fun_tINSB_14equal_to_valueIsEEEEEEE10hipError_tPvRmT3_T4_T5_T6_T7_T9_mT8_P12ihipStream_tbDpT10_ENKUlT_T0_E_clISt17integral_constantIbLb1EES18_EEDaS13_S14_EUlS13_E_NS1_11comp_targetILNS1_3genE9ELNS1_11target_archE1100ELNS1_3gpuE3ELNS1_3repE0EEENS1_30default_config_static_selectorELNS0_4arch9wavefront6targetE0EEEvT1_
	.p2align	8
	.type	_ZN7rocprim17ROCPRIM_400000_NS6detail17trampoline_kernelINS0_14default_configENS1_25partition_config_selectorILNS1_17partition_subalgoE6EsNS0_10empty_typeEbEEZZNS1_14partition_implILS5_6ELb0ES3_mN6thrust23THRUST_200600_302600_NS6detail15normal_iteratorINSA_10device_ptrIsEEEEPS6_SG_NS0_5tupleIJSF_S6_EEENSH_IJSG_SG_EEES6_PlJNSB_9not_fun_tINSB_14equal_to_valueIsEEEEEEE10hipError_tPvRmT3_T4_T5_T6_T7_T9_mT8_P12ihipStream_tbDpT10_ENKUlT_T0_E_clISt17integral_constantIbLb1EES18_EEDaS13_S14_EUlS13_E_NS1_11comp_targetILNS1_3genE9ELNS1_11target_archE1100ELNS1_3gpuE3ELNS1_3repE0EEENS1_30default_config_static_selectorELNS0_4arch9wavefront6targetE0EEEvT1_,@function
_ZN7rocprim17ROCPRIM_400000_NS6detail17trampoline_kernelINS0_14default_configENS1_25partition_config_selectorILNS1_17partition_subalgoE6EsNS0_10empty_typeEbEEZZNS1_14partition_implILS5_6ELb0ES3_mN6thrust23THRUST_200600_302600_NS6detail15normal_iteratorINSA_10device_ptrIsEEEEPS6_SG_NS0_5tupleIJSF_S6_EEENSH_IJSG_SG_EEES6_PlJNSB_9not_fun_tINSB_14equal_to_valueIsEEEEEEE10hipError_tPvRmT3_T4_T5_T6_T7_T9_mT8_P12ihipStream_tbDpT10_ENKUlT_T0_E_clISt17integral_constantIbLb1EES18_EEDaS13_S14_EUlS13_E_NS1_11comp_targetILNS1_3genE9ELNS1_11target_archE1100ELNS1_3gpuE3ELNS1_3repE0EEENS1_30default_config_static_selectorELNS0_4arch9wavefront6targetE0EEEvT1_: ; @_ZN7rocprim17ROCPRIM_400000_NS6detail17trampoline_kernelINS0_14default_configENS1_25partition_config_selectorILNS1_17partition_subalgoE6EsNS0_10empty_typeEbEEZZNS1_14partition_implILS5_6ELb0ES3_mN6thrust23THRUST_200600_302600_NS6detail15normal_iteratorINSA_10device_ptrIsEEEEPS6_SG_NS0_5tupleIJSF_S6_EEENSH_IJSG_SG_EEES6_PlJNSB_9not_fun_tINSB_14equal_to_valueIsEEEEEEE10hipError_tPvRmT3_T4_T5_T6_T7_T9_mT8_P12ihipStream_tbDpT10_ENKUlT_T0_E_clISt17integral_constantIbLb1EES18_EEDaS13_S14_EUlS13_E_NS1_11comp_targetILNS1_3genE9ELNS1_11target_archE1100ELNS1_3gpuE3ELNS1_3repE0EEENS1_30default_config_static_selectorELNS0_4arch9wavefront6targetE0EEEvT1_
; %bb.0:
	.section	.rodata,"a",@progbits
	.p2align	6, 0x0
	.amdhsa_kernel _ZN7rocprim17ROCPRIM_400000_NS6detail17trampoline_kernelINS0_14default_configENS1_25partition_config_selectorILNS1_17partition_subalgoE6EsNS0_10empty_typeEbEEZZNS1_14partition_implILS5_6ELb0ES3_mN6thrust23THRUST_200600_302600_NS6detail15normal_iteratorINSA_10device_ptrIsEEEEPS6_SG_NS0_5tupleIJSF_S6_EEENSH_IJSG_SG_EEES6_PlJNSB_9not_fun_tINSB_14equal_to_valueIsEEEEEEE10hipError_tPvRmT3_T4_T5_T6_T7_T9_mT8_P12ihipStream_tbDpT10_ENKUlT_T0_E_clISt17integral_constantIbLb1EES18_EEDaS13_S14_EUlS13_E_NS1_11comp_targetILNS1_3genE9ELNS1_11target_archE1100ELNS1_3gpuE3ELNS1_3repE0EEENS1_30default_config_static_selectorELNS0_4arch9wavefront6targetE0EEEvT1_
		.amdhsa_group_segment_fixed_size 0
		.amdhsa_private_segment_fixed_size 0
		.amdhsa_kernarg_size 128
		.amdhsa_user_sgpr_count 2
		.amdhsa_user_sgpr_dispatch_ptr 0
		.amdhsa_user_sgpr_queue_ptr 0
		.amdhsa_user_sgpr_kernarg_segment_ptr 1
		.amdhsa_user_sgpr_dispatch_id 0
		.amdhsa_user_sgpr_private_segment_size 0
		.amdhsa_wavefront_size32 1
		.amdhsa_uses_dynamic_stack 0
		.amdhsa_enable_private_segment 0
		.amdhsa_system_sgpr_workgroup_id_x 1
		.amdhsa_system_sgpr_workgroup_id_y 0
		.amdhsa_system_sgpr_workgroup_id_z 0
		.amdhsa_system_sgpr_workgroup_info 0
		.amdhsa_system_vgpr_workitem_id 0
		.amdhsa_next_free_vgpr 1
		.amdhsa_next_free_sgpr 1
		.amdhsa_reserve_vcc 0
		.amdhsa_float_round_mode_32 0
		.amdhsa_float_round_mode_16_64 0
		.amdhsa_float_denorm_mode_32 3
		.amdhsa_float_denorm_mode_16_64 3
		.amdhsa_fp16_overflow 0
		.amdhsa_workgroup_processor_mode 1
		.amdhsa_memory_ordered 1
		.amdhsa_forward_progress 1
		.amdhsa_inst_pref_size 0
		.amdhsa_round_robin_scheduling 0
		.amdhsa_exception_fp_ieee_invalid_op 0
		.amdhsa_exception_fp_denorm_src 0
		.amdhsa_exception_fp_ieee_div_zero 0
		.amdhsa_exception_fp_ieee_overflow 0
		.amdhsa_exception_fp_ieee_underflow 0
		.amdhsa_exception_fp_ieee_inexact 0
		.amdhsa_exception_int_div_zero 0
	.end_amdhsa_kernel
	.section	.text._ZN7rocprim17ROCPRIM_400000_NS6detail17trampoline_kernelINS0_14default_configENS1_25partition_config_selectorILNS1_17partition_subalgoE6EsNS0_10empty_typeEbEEZZNS1_14partition_implILS5_6ELb0ES3_mN6thrust23THRUST_200600_302600_NS6detail15normal_iteratorINSA_10device_ptrIsEEEEPS6_SG_NS0_5tupleIJSF_S6_EEENSH_IJSG_SG_EEES6_PlJNSB_9not_fun_tINSB_14equal_to_valueIsEEEEEEE10hipError_tPvRmT3_T4_T5_T6_T7_T9_mT8_P12ihipStream_tbDpT10_ENKUlT_T0_E_clISt17integral_constantIbLb1EES18_EEDaS13_S14_EUlS13_E_NS1_11comp_targetILNS1_3genE9ELNS1_11target_archE1100ELNS1_3gpuE3ELNS1_3repE0EEENS1_30default_config_static_selectorELNS0_4arch9wavefront6targetE0EEEvT1_,"axG",@progbits,_ZN7rocprim17ROCPRIM_400000_NS6detail17trampoline_kernelINS0_14default_configENS1_25partition_config_selectorILNS1_17partition_subalgoE6EsNS0_10empty_typeEbEEZZNS1_14partition_implILS5_6ELb0ES3_mN6thrust23THRUST_200600_302600_NS6detail15normal_iteratorINSA_10device_ptrIsEEEEPS6_SG_NS0_5tupleIJSF_S6_EEENSH_IJSG_SG_EEES6_PlJNSB_9not_fun_tINSB_14equal_to_valueIsEEEEEEE10hipError_tPvRmT3_T4_T5_T6_T7_T9_mT8_P12ihipStream_tbDpT10_ENKUlT_T0_E_clISt17integral_constantIbLb1EES18_EEDaS13_S14_EUlS13_E_NS1_11comp_targetILNS1_3genE9ELNS1_11target_archE1100ELNS1_3gpuE3ELNS1_3repE0EEENS1_30default_config_static_selectorELNS0_4arch9wavefront6targetE0EEEvT1_,comdat
.Lfunc_end515:
	.size	_ZN7rocprim17ROCPRIM_400000_NS6detail17trampoline_kernelINS0_14default_configENS1_25partition_config_selectorILNS1_17partition_subalgoE6EsNS0_10empty_typeEbEEZZNS1_14partition_implILS5_6ELb0ES3_mN6thrust23THRUST_200600_302600_NS6detail15normal_iteratorINSA_10device_ptrIsEEEEPS6_SG_NS0_5tupleIJSF_S6_EEENSH_IJSG_SG_EEES6_PlJNSB_9not_fun_tINSB_14equal_to_valueIsEEEEEEE10hipError_tPvRmT3_T4_T5_T6_T7_T9_mT8_P12ihipStream_tbDpT10_ENKUlT_T0_E_clISt17integral_constantIbLb1EES18_EEDaS13_S14_EUlS13_E_NS1_11comp_targetILNS1_3genE9ELNS1_11target_archE1100ELNS1_3gpuE3ELNS1_3repE0EEENS1_30default_config_static_selectorELNS0_4arch9wavefront6targetE0EEEvT1_, .Lfunc_end515-_ZN7rocprim17ROCPRIM_400000_NS6detail17trampoline_kernelINS0_14default_configENS1_25partition_config_selectorILNS1_17partition_subalgoE6EsNS0_10empty_typeEbEEZZNS1_14partition_implILS5_6ELb0ES3_mN6thrust23THRUST_200600_302600_NS6detail15normal_iteratorINSA_10device_ptrIsEEEEPS6_SG_NS0_5tupleIJSF_S6_EEENSH_IJSG_SG_EEES6_PlJNSB_9not_fun_tINSB_14equal_to_valueIsEEEEEEE10hipError_tPvRmT3_T4_T5_T6_T7_T9_mT8_P12ihipStream_tbDpT10_ENKUlT_T0_E_clISt17integral_constantIbLb1EES18_EEDaS13_S14_EUlS13_E_NS1_11comp_targetILNS1_3genE9ELNS1_11target_archE1100ELNS1_3gpuE3ELNS1_3repE0EEENS1_30default_config_static_selectorELNS0_4arch9wavefront6targetE0EEEvT1_
                                        ; -- End function
	.set _ZN7rocprim17ROCPRIM_400000_NS6detail17trampoline_kernelINS0_14default_configENS1_25partition_config_selectorILNS1_17partition_subalgoE6EsNS0_10empty_typeEbEEZZNS1_14partition_implILS5_6ELb0ES3_mN6thrust23THRUST_200600_302600_NS6detail15normal_iteratorINSA_10device_ptrIsEEEEPS6_SG_NS0_5tupleIJSF_S6_EEENSH_IJSG_SG_EEES6_PlJNSB_9not_fun_tINSB_14equal_to_valueIsEEEEEEE10hipError_tPvRmT3_T4_T5_T6_T7_T9_mT8_P12ihipStream_tbDpT10_ENKUlT_T0_E_clISt17integral_constantIbLb1EES18_EEDaS13_S14_EUlS13_E_NS1_11comp_targetILNS1_3genE9ELNS1_11target_archE1100ELNS1_3gpuE3ELNS1_3repE0EEENS1_30default_config_static_selectorELNS0_4arch9wavefront6targetE0EEEvT1_.num_vgpr, 0
	.set _ZN7rocprim17ROCPRIM_400000_NS6detail17trampoline_kernelINS0_14default_configENS1_25partition_config_selectorILNS1_17partition_subalgoE6EsNS0_10empty_typeEbEEZZNS1_14partition_implILS5_6ELb0ES3_mN6thrust23THRUST_200600_302600_NS6detail15normal_iteratorINSA_10device_ptrIsEEEEPS6_SG_NS0_5tupleIJSF_S6_EEENSH_IJSG_SG_EEES6_PlJNSB_9not_fun_tINSB_14equal_to_valueIsEEEEEEE10hipError_tPvRmT3_T4_T5_T6_T7_T9_mT8_P12ihipStream_tbDpT10_ENKUlT_T0_E_clISt17integral_constantIbLb1EES18_EEDaS13_S14_EUlS13_E_NS1_11comp_targetILNS1_3genE9ELNS1_11target_archE1100ELNS1_3gpuE3ELNS1_3repE0EEENS1_30default_config_static_selectorELNS0_4arch9wavefront6targetE0EEEvT1_.num_agpr, 0
	.set _ZN7rocprim17ROCPRIM_400000_NS6detail17trampoline_kernelINS0_14default_configENS1_25partition_config_selectorILNS1_17partition_subalgoE6EsNS0_10empty_typeEbEEZZNS1_14partition_implILS5_6ELb0ES3_mN6thrust23THRUST_200600_302600_NS6detail15normal_iteratorINSA_10device_ptrIsEEEEPS6_SG_NS0_5tupleIJSF_S6_EEENSH_IJSG_SG_EEES6_PlJNSB_9not_fun_tINSB_14equal_to_valueIsEEEEEEE10hipError_tPvRmT3_T4_T5_T6_T7_T9_mT8_P12ihipStream_tbDpT10_ENKUlT_T0_E_clISt17integral_constantIbLb1EES18_EEDaS13_S14_EUlS13_E_NS1_11comp_targetILNS1_3genE9ELNS1_11target_archE1100ELNS1_3gpuE3ELNS1_3repE0EEENS1_30default_config_static_selectorELNS0_4arch9wavefront6targetE0EEEvT1_.numbered_sgpr, 0
	.set _ZN7rocprim17ROCPRIM_400000_NS6detail17trampoline_kernelINS0_14default_configENS1_25partition_config_selectorILNS1_17partition_subalgoE6EsNS0_10empty_typeEbEEZZNS1_14partition_implILS5_6ELb0ES3_mN6thrust23THRUST_200600_302600_NS6detail15normal_iteratorINSA_10device_ptrIsEEEEPS6_SG_NS0_5tupleIJSF_S6_EEENSH_IJSG_SG_EEES6_PlJNSB_9not_fun_tINSB_14equal_to_valueIsEEEEEEE10hipError_tPvRmT3_T4_T5_T6_T7_T9_mT8_P12ihipStream_tbDpT10_ENKUlT_T0_E_clISt17integral_constantIbLb1EES18_EEDaS13_S14_EUlS13_E_NS1_11comp_targetILNS1_3genE9ELNS1_11target_archE1100ELNS1_3gpuE3ELNS1_3repE0EEENS1_30default_config_static_selectorELNS0_4arch9wavefront6targetE0EEEvT1_.num_named_barrier, 0
	.set _ZN7rocprim17ROCPRIM_400000_NS6detail17trampoline_kernelINS0_14default_configENS1_25partition_config_selectorILNS1_17partition_subalgoE6EsNS0_10empty_typeEbEEZZNS1_14partition_implILS5_6ELb0ES3_mN6thrust23THRUST_200600_302600_NS6detail15normal_iteratorINSA_10device_ptrIsEEEEPS6_SG_NS0_5tupleIJSF_S6_EEENSH_IJSG_SG_EEES6_PlJNSB_9not_fun_tINSB_14equal_to_valueIsEEEEEEE10hipError_tPvRmT3_T4_T5_T6_T7_T9_mT8_P12ihipStream_tbDpT10_ENKUlT_T0_E_clISt17integral_constantIbLb1EES18_EEDaS13_S14_EUlS13_E_NS1_11comp_targetILNS1_3genE9ELNS1_11target_archE1100ELNS1_3gpuE3ELNS1_3repE0EEENS1_30default_config_static_selectorELNS0_4arch9wavefront6targetE0EEEvT1_.private_seg_size, 0
	.set _ZN7rocprim17ROCPRIM_400000_NS6detail17trampoline_kernelINS0_14default_configENS1_25partition_config_selectorILNS1_17partition_subalgoE6EsNS0_10empty_typeEbEEZZNS1_14partition_implILS5_6ELb0ES3_mN6thrust23THRUST_200600_302600_NS6detail15normal_iteratorINSA_10device_ptrIsEEEEPS6_SG_NS0_5tupleIJSF_S6_EEENSH_IJSG_SG_EEES6_PlJNSB_9not_fun_tINSB_14equal_to_valueIsEEEEEEE10hipError_tPvRmT3_T4_T5_T6_T7_T9_mT8_P12ihipStream_tbDpT10_ENKUlT_T0_E_clISt17integral_constantIbLb1EES18_EEDaS13_S14_EUlS13_E_NS1_11comp_targetILNS1_3genE9ELNS1_11target_archE1100ELNS1_3gpuE3ELNS1_3repE0EEENS1_30default_config_static_selectorELNS0_4arch9wavefront6targetE0EEEvT1_.uses_vcc, 0
	.set _ZN7rocprim17ROCPRIM_400000_NS6detail17trampoline_kernelINS0_14default_configENS1_25partition_config_selectorILNS1_17partition_subalgoE6EsNS0_10empty_typeEbEEZZNS1_14partition_implILS5_6ELb0ES3_mN6thrust23THRUST_200600_302600_NS6detail15normal_iteratorINSA_10device_ptrIsEEEEPS6_SG_NS0_5tupleIJSF_S6_EEENSH_IJSG_SG_EEES6_PlJNSB_9not_fun_tINSB_14equal_to_valueIsEEEEEEE10hipError_tPvRmT3_T4_T5_T6_T7_T9_mT8_P12ihipStream_tbDpT10_ENKUlT_T0_E_clISt17integral_constantIbLb1EES18_EEDaS13_S14_EUlS13_E_NS1_11comp_targetILNS1_3genE9ELNS1_11target_archE1100ELNS1_3gpuE3ELNS1_3repE0EEENS1_30default_config_static_selectorELNS0_4arch9wavefront6targetE0EEEvT1_.uses_flat_scratch, 0
	.set _ZN7rocprim17ROCPRIM_400000_NS6detail17trampoline_kernelINS0_14default_configENS1_25partition_config_selectorILNS1_17partition_subalgoE6EsNS0_10empty_typeEbEEZZNS1_14partition_implILS5_6ELb0ES3_mN6thrust23THRUST_200600_302600_NS6detail15normal_iteratorINSA_10device_ptrIsEEEEPS6_SG_NS0_5tupleIJSF_S6_EEENSH_IJSG_SG_EEES6_PlJNSB_9not_fun_tINSB_14equal_to_valueIsEEEEEEE10hipError_tPvRmT3_T4_T5_T6_T7_T9_mT8_P12ihipStream_tbDpT10_ENKUlT_T0_E_clISt17integral_constantIbLb1EES18_EEDaS13_S14_EUlS13_E_NS1_11comp_targetILNS1_3genE9ELNS1_11target_archE1100ELNS1_3gpuE3ELNS1_3repE0EEENS1_30default_config_static_selectorELNS0_4arch9wavefront6targetE0EEEvT1_.has_dyn_sized_stack, 0
	.set _ZN7rocprim17ROCPRIM_400000_NS6detail17trampoline_kernelINS0_14default_configENS1_25partition_config_selectorILNS1_17partition_subalgoE6EsNS0_10empty_typeEbEEZZNS1_14partition_implILS5_6ELb0ES3_mN6thrust23THRUST_200600_302600_NS6detail15normal_iteratorINSA_10device_ptrIsEEEEPS6_SG_NS0_5tupleIJSF_S6_EEENSH_IJSG_SG_EEES6_PlJNSB_9not_fun_tINSB_14equal_to_valueIsEEEEEEE10hipError_tPvRmT3_T4_T5_T6_T7_T9_mT8_P12ihipStream_tbDpT10_ENKUlT_T0_E_clISt17integral_constantIbLb1EES18_EEDaS13_S14_EUlS13_E_NS1_11comp_targetILNS1_3genE9ELNS1_11target_archE1100ELNS1_3gpuE3ELNS1_3repE0EEENS1_30default_config_static_selectorELNS0_4arch9wavefront6targetE0EEEvT1_.has_recursion, 0
	.set _ZN7rocprim17ROCPRIM_400000_NS6detail17trampoline_kernelINS0_14default_configENS1_25partition_config_selectorILNS1_17partition_subalgoE6EsNS0_10empty_typeEbEEZZNS1_14partition_implILS5_6ELb0ES3_mN6thrust23THRUST_200600_302600_NS6detail15normal_iteratorINSA_10device_ptrIsEEEEPS6_SG_NS0_5tupleIJSF_S6_EEENSH_IJSG_SG_EEES6_PlJNSB_9not_fun_tINSB_14equal_to_valueIsEEEEEEE10hipError_tPvRmT3_T4_T5_T6_T7_T9_mT8_P12ihipStream_tbDpT10_ENKUlT_T0_E_clISt17integral_constantIbLb1EES18_EEDaS13_S14_EUlS13_E_NS1_11comp_targetILNS1_3genE9ELNS1_11target_archE1100ELNS1_3gpuE3ELNS1_3repE0EEENS1_30default_config_static_selectorELNS0_4arch9wavefront6targetE0EEEvT1_.has_indirect_call, 0
	.section	.AMDGPU.csdata,"",@progbits
; Kernel info:
; codeLenInByte = 0
; TotalNumSgprs: 0
; NumVgprs: 0
; ScratchSize: 0
; MemoryBound: 0
; FloatMode: 240
; IeeeMode: 1
; LDSByteSize: 0 bytes/workgroup (compile time only)
; SGPRBlocks: 0
; VGPRBlocks: 0
; NumSGPRsForWavesPerEU: 1
; NumVGPRsForWavesPerEU: 1
; Occupancy: 16
; WaveLimiterHint : 0
; COMPUTE_PGM_RSRC2:SCRATCH_EN: 0
; COMPUTE_PGM_RSRC2:USER_SGPR: 2
; COMPUTE_PGM_RSRC2:TRAP_HANDLER: 0
; COMPUTE_PGM_RSRC2:TGID_X_EN: 1
; COMPUTE_PGM_RSRC2:TGID_Y_EN: 0
; COMPUTE_PGM_RSRC2:TGID_Z_EN: 0
; COMPUTE_PGM_RSRC2:TIDIG_COMP_CNT: 0
	.section	.text._ZN7rocprim17ROCPRIM_400000_NS6detail17trampoline_kernelINS0_14default_configENS1_25partition_config_selectorILNS1_17partition_subalgoE6EsNS0_10empty_typeEbEEZZNS1_14partition_implILS5_6ELb0ES3_mN6thrust23THRUST_200600_302600_NS6detail15normal_iteratorINSA_10device_ptrIsEEEEPS6_SG_NS0_5tupleIJSF_S6_EEENSH_IJSG_SG_EEES6_PlJNSB_9not_fun_tINSB_14equal_to_valueIsEEEEEEE10hipError_tPvRmT3_T4_T5_T6_T7_T9_mT8_P12ihipStream_tbDpT10_ENKUlT_T0_E_clISt17integral_constantIbLb1EES18_EEDaS13_S14_EUlS13_E_NS1_11comp_targetILNS1_3genE8ELNS1_11target_archE1030ELNS1_3gpuE2ELNS1_3repE0EEENS1_30default_config_static_selectorELNS0_4arch9wavefront6targetE0EEEvT1_,"axG",@progbits,_ZN7rocprim17ROCPRIM_400000_NS6detail17trampoline_kernelINS0_14default_configENS1_25partition_config_selectorILNS1_17partition_subalgoE6EsNS0_10empty_typeEbEEZZNS1_14partition_implILS5_6ELb0ES3_mN6thrust23THRUST_200600_302600_NS6detail15normal_iteratorINSA_10device_ptrIsEEEEPS6_SG_NS0_5tupleIJSF_S6_EEENSH_IJSG_SG_EEES6_PlJNSB_9not_fun_tINSB_14equal_to_valueIsEEEEEEE10hipError_tPvRmT3_T4_T5_T6_T7_T9_mT8_P12ihipStream_tbDpT10_ENKUlT_T0_E_clISt17integral_constantIbLb1EES18_EEDaS13_S14_EUlS13_E_NS1_11comp_targetILNS1_3genE8ELNS1_11target_archE1030ELNS1_3gpuE2ELNS1_3repE0EEENS1_30default_config_static_selectorELNS0_4arch9wavefront6targetE0EEEvT1_,comdat
	.protected	_ZN7rocprim17ROCPRIM_400000_NS6detail17trampoline_kernelINS0_14default_configENS1_25partition_config_selectorILNS1_17partition_subalgoE6EsNS0_10empty_typeEbEEZZNS1_14partition_implILS5_6ELb0ES3_mN6thrust23THRUST_200600_302600_NS6detail15normal_iteratorINSA_10device_ptrIsEEEEPS6_SG_NS0_5tupleIJSF_S6_EEENSH_IJSG_SG_EEES6_PlJNSB_9not_fun_tINSB_14equal_to_valueIsEEEEEEE10hipError_tPvRmT3_T4_T5_T6_T7_T9_mT8_P12ihipStream_tbDpT10_ENKUlT_T0_E_clISt17integral_constantIbLb1EES18_EEDaS13_S14_EUlS13_E_NS1_11comp_targetILNS1_3genE8ELNS1_11target_archE1030ELNS1_3gpuE2ELNS1_3repE0EEENS1_30default_config_static_selectorELNS0_4arch9wavefront6targetE0EEEvT1_ ; -- Begin function _ZN7rocprim17ROCPRIM_400000_NS6detail17trampoline_kernelINS0_14default_configENS1_25partition_config_selectorILNS1_17partition_subalgoE6EsNS0_10empty_typeEbEEZZNS1_14partition_implILS5_6ELb0ES3_mN6thrust23THRUST_200600_302600_NS6detail15normal_iteratorINSA_10device_ptrIsEEEEPS6_SG_NS0_5tupleIJSF_S6_EEENSH_IJSG_SG_EEES6_PlJNSB_9not_fun_tINSB_14equal_to_valueIsEEEEEEE10hipError_tPvRmT3_T4_T5_T6_T7_T9_mT8_P12ihipStream_tbDpT10_ENKUlT_T0_E_clISt17integral_constantIbLb1EES18_EEDaS13_S14_EUlS13_E_NS1_11comp_targetILNS1_3genE8ELNS1_11target_archE1030ELNS1_3gpuE2ELNS1_3repE0EEENS1_30default_config_static_selectorELNS0_4arch9wavefront6targetE0EEEvT1_
	.globl	_ZN7rocprim17ROCPRIM_400000_NS6detail17trampoline_kernelINS0_14default_configENS1_25partition_config_selectorILNS1_17partition_subalgoE6EsNS0_10empty_typeEbEEZZNS1_14partition_implILS5_6ELb0ES3_mN6thrust23THRUST_200600_302600_NS6detail15normal_iteratorINSA_10device_ptrIsEEEEPS6_SG_NS0_5tupleIJSF_S6_EEENSH_IJSG_SG_EEES6_PlJNSB_9not_fun_tINSB_14equal_to_valueIsEEEEEEE10hipError_tPvRmT3_T4_T5_T6_T7_T9_mT8_P12ihipStream_tbDpT10_ENKUlT_T0_E_clISt17integral_constantIbLb1EES18_EEDaS13_S14_EUlS13_E_NS1_11comp_targetILNS1_3genE8ELNS1_11target_archE1030ELNS1_3gpuE2ELNS1_3repE0EEENS1_30default_config_static_selectorELNS0_4arch9wavefront6targetE0EEEvT1_
	.p2align	8
	.type	_ZN7rocprim17ROCPRIM_400000_NS6detail17trampoline_kernelINS0_14default_configENS1_25partition_config_selectorILNS1_17partition_subalgoE6EsNS0_10empty_typeEbEEZZNS1_14partition_implILS5_6ELb0ES3_mN6thrust23THRUST_200600_302600_NS6detail15normal_iteratorINSA_10device_ptrIsEEEEPS6_SG_NS0_5tupleIJSF_S6_EEENSH_IJSG_SG_EEES6_PlJNSB_9not_fun_tINSB_14equal_to_valueIsEEEEEEE10hipError_tPvRmT3_T4_T5_T6_T7_T9_mT8_P12ihipStream_tbDpT10_ENKUlT_T0_E_clISt17integral_constantIbLb1EES18_EEDaS13_S14_EUlS13_E_NS1_11comp_targetILNS1_3genE8ELNS1_11target_archE1030ELNS1_3gpuE2ELNS1_3repE0EEENS1_30default_config_static_selectorELNS0_4arch9wavefront6targetE0EEEvT1_,@function
_ZN7rocprim17ROCPRIM_400000_NS6detail17trampoline_kernelINS0_14default_configENS1_25partition_config_selectorILNS1_17partition_subalgoE6EsNS0_10empty_typeEbEEZZNS1_14partition_implILS5_6ELb0ES3_mN6thrust23THRUST_200600_302600_NS6detail15normal_iteratorINSA_10device_ptrIsEEEEPS6_SG_NS0_5tupleIJSF_S6_EEENSH_IJSG_SG_EEES6_PlJNSB_9not_fun_tINSB_14equal_to_valueIsEEEEEEE10hipError_tPvRmT3_T4_T5_T6_T7_T9_mT8_P12ihipStream_tbDpT10_ENKUlT_T0_E_clISt17integral_constantIbLb1EES18_EEDaS13_S14_EUlS13_E_NS1_11comp_targetILNS1_3genE8ELNS1_11target_archE1030ELNS1_3gpuE2ELNS1_3repE0EEENS1_30default_config_static_selectorELNS0_4arch9wavefront6targetE0EEEvT1_: ; @_ZN7rocprim17ROCPRIM_400000_NS6detail17trampoline_kernelINS0_14default_configENS1_25partition_config_selectorILNS1_17partition_subalgoE6EsNS0_10empty_typeEbEEZZNS1_14partition_implILS5_6ELb0ES3_mN6thrust23THRUST_200600_302600_NS6detail15normal_iteratorINSA_10device_ptrIsEEEEPS6_SG_NS0_5tupleIJSF_S6_EEENSH_IJSG_SG_EEES6_PlJNSB_9not_fun_tINSB_14equal_to_valueIsEEEEEEE10hipError_tPvRmT3_T4_T5_T6_T7_T9_mT8_P12ihipStream_tbDpT10_ENKUlT_T0_E_clISt17integral_constantIbLb1EES18_EEDaS13_S14_EUlS13_E_NS1_11comp_targetILNS1_3genE8ELNS1_11target_archE1030ELNS1_3gpuE2ELNS1_3repE0EEENS1_30default_config_static_selectorELNS0_4arch9wavefront6targetE0EEEvT1_
; %bb.0:
	.section	.rodata,"a",@progbits
	.p2align	6, 0x0
	.amdhsa_kernel _ZN7rocprim17ROCPRIM_400000_NS6detail17trampoline_kernelINS0_14default_configENS1_25partition_config_selectorILNS1_17partition_subalgoE6EsNS0_10empty_typeEbEEZZNS1_14partition_implILS5_6ELb0ES3_mN6thrust23THRUST_200600_302600_NS6detail15normal_iteratorINSA_10device_ptrIsEEEEPS6_SG_NS0_5tupleIJSF_S6_EEENSH_IJSG_SG_EEES6_PlJNSB_9not_fun_tINSB_14equal_to_valueIsEEEEEEE10hipError_tPvRmT3_T4_T5_T6_T7_T9_mT8_P12ihipStream_tbDpT10_ENKUlT_T0_E_clISt17integral_constantIbLb1EES18_EEDaS13_S14_EUlS13_E_NS1_11comp_targetILNS1_3genE8ELNS1_11target_archE1030ELNS1_3gpuE2ELNS1_3repE0EEENS1_30default_config_static_selectorELNS0_4arch9wavefront6targetE0EEEvT1_
		.amdhsa_group_segment_fixed_size 0
		.amdhsa_private_segment_fixed_size 0
		.amdhsa_kernarg_size 128
		.amdhsa_user_sgpr_count 2
		.amdhsa_user_sgpr_dispatch_ptr 0
		.amdhsa_user_sgpr_queue_ptr 0
		.amdhsa_user_sgpr_kernarg_segment_ptr 1
		.amdhsa_user_sgpr_dispatch_id 0
		.amdhsa_user_sgpr_private_segment_size 0
		.amdhsa_wavefront_size32 1
		.amdhsa_uses_dynamic_stack 0
		.amdhsa_enable_private_segment 0
		.amdhsa_system_sgpr_workgroup_id_x 1
		.amdhsa_system_sgpr_workgroup_id_y 0
		.amdhsa_system_sgpr_workgroup_id_z 0
		.amdhsa_system_sgpr_workgroup_info 0
		.amdhsa_system_vgpr_workitem_id 0
		.amdhsa_next_free_vgpr 1
		.amdhsa_next_free_sgpr 1
		.amdhsa_reserve_vcc 0
		.amdhsa_float_round_mode_32 0
		.amdhsa_float_round_mode_16_64 0
		.amdhsa_float_denorm_mode_32 3
		.amdhsa_float_denorm_mode_16_64 3
		.amdhsa_fp16_overflow 0
		.amdhsa_workgroup_processor_mode 1
		.amdhsa_memory_ordered 1
		.amdhsa_forward_progress 1
		.amdhsa_inst_pref_size 0
		.amdhsa_round_robin_scheduling 0
		.amdhsa_exception_fp_ieee_invalid_op 0
		.amdhsa_exception_fp_denorm_src 0
		.amdhsa_exception_fp_ieee_div_zero 0
		.amdhsa_exception_fp_ieee_overflow 0
		.amdhsa_exception_fp_ieee_underflow 0
		.amdhsa_exception_fp_ieee_inexact 0
		.amdhsa_exception_int_div_zero 0
	.end_amdhsa_kernel
	.section	.text._ZN7rocprim17ROCPRIM_400000_NS6detail17trampoline_kernelINS0_14default_configENS1_25partition_config_selectorILNS1_17partition_subalgoE6EsNS0_10empty_typeEbEEZZNS1_14partition_implILS5_6ELb0ES3_mN6thrust23THRUST_200600_302600_NS6detail15normal_iteratorINSA_10device_ptrIsEEEEPS6_SG_NS0_5tupleIJSF_S6_EEENSH_IJSG_SG_EEES6_PlJNSB_9not_fun_tINSB_14equal_to_valueIsEEEEEEE10hipError_tPvRmT3_T4_T5_T6_T7_T9_mT8_P12ihipStream_tbDpT10_ENKUlT_T0_E_clISt17integral_constantIbLb1EES18_EEDaS13_S14_EUlS13_E_NS1_11comp_targetILNS1_3genE8ELNS1_11target_archE1030ELNS1_3gpuE2ELNS1_3repE0EEENS1_30default_config_static_selectorELNS0_4arch9wavefront6targetE0EEEvT1_,"axG",@progbits,_ZN7rocprim17ROCPRIM_400000_NS6detail17trampoline_kernelINS0_14default_configENS1_25partition_config_selectorILNS1_17partition_subalgoE6EsNS0_10empty_typeEbEEZZNS1_14partition_implILS5_6ELb0ES3_mN6thrust23THRUST_200600_302600_NS6detail15normal_iteratorINSA_10device_ptrIsEEEEPS6_SG_NS0_5tupleIJSF_S6_EEENSH_IJSG_SG_EEES6_PlJNSB_9not_fun_tINSB_14equal_to_valueIsEEEEEEE10hipError_tPvRmT3_T4_T5_T6_T7_T9_mT8_P12ihipStream_tbDpT10_ENKUlT_T0_E_clISt17integral_constantIbLb1EES18_EEDaS13_S14_EUlS13_E_NS1_11comp_targetILNS1_3genE8ELNS1_11target_archE1030ELNS1_3gpuE2ELNS1_3repE0EEENS1_30default_config_static_selectorELNS0_4arch9wavefront6targetE0EEEvT1_,comdat
.Lfunc_end516:
	.size	_ZN7rocprim17ROCPRIM_400000_NS6detail17trampoline_kernelINS0_14default_configENS1_25partition_config_selectorILNS1_17partition_subalgoE6EsNS0_10empty_typeEbEEZZNS1_14partition_implILS5_6ELb0ES3_mN6thrust23THRUST_200600_302600_NS6detail15normal_iteratorINSA_10device_ptrIsEEEEPS6_SG_NS0_5tupleIJSF_S6_EEENSH_IJSG_SG_EEES6_PlJNSB_9not_fun_tINSB_14equal_to_valueIsEEEEEEE10hipError_tPvRmT3_T4_T5_T6_T7_T9_mT8_P12ihipStream_tbDpT10_ENKUlT_T0_E_clISt17integral_constantIbLb1EES18_EEDaS13_S14_EUlS13_E_NS1_11comp_targetILNS1_3genE8ELNS1_11target_archE1030ELNS1_3gpuE2ELNS1_3repE0EEENS1_30default_config_static_selectorELNS0_4arch9wavefront6targetE0EEEvT1_, .Lfunc_end516-_ZN7rocprim17ROCPRIM_400000_NS6detail17trampoline_kernelINS0_14default_configENS1_25partition_config_selectorILNS1_17partition_subalgoE6EsNS0_10empty_typeEbEEZZNS1_14partition_implILS5_6ELb0ES3_mN6thrust23THRUST_200600_302600_NS6detail15normal_iteratorINSA_10device_ptrIsEEEEPS6_SG_NS0_5tupleIJSF_S6_EEENSH_IJSG_SG_EEES6_PlJNSB_9not_fun_tINSB_14equal_to_valueIsEEEEEEE10hipError_tPvRmT3_T4_T5_T6_T7_T9_mT8_P12ihipStream_tbDpT10_ENKUlT_T0_E_clISt17integral_constantIbLb1EES18_EEDaS13_S14_EUlS13_E_NS1_11comp_targetILNS1_3genE8ELNS1_11target_archE1030ELNS1_3gpuE2ELNS1_3repE0EEENS1_30default_config_static_selectorELNS0_4arch9wavefront6targetE0EEEvT1_
                                        ; -- End function
	.set _ZN7rocprim17ROCPRIM_400000_NS6detail17trampoline_kernelINS0_14default_configENS1_25partition_config_selectorILNS1_17partition_subalgoE6EsNS0_10empty_typeEbEEZZNS1_14partition_implILS5_6ELb0ES3_mN6thrust23THRUST_200600_302600_NS6detail15normal_iteratorINSA_10device_ptrIsEEEEPS6_SG_NS0_5tupleIJSF_S6_EEENSH_IJSG_SG_EEES6_PlJNSB_9not_fun_tINSB_14equal_to_valueIsEEEEEEE10hipError_tPvRmT3_T4_T5_T6_T7_T9_mT8_P12ihipStream_tbDpT10_ENKUlT_T0_E_clISt17integral_constantIbLb1EES18_EEDaS13_S14_EUlS13_E_NS1_11comp_targetILNS1_3genE8ELNS1_11target_archE1030ELNS1_3gpuE2ELNS1_3repE0EEENS1_30default_config_static_selectorELNS0_4arch9wavefront6targetE0EEEvT1_.num_vgpr, 0
	.set _ZN7rocprim17ROCPRIM_400000_NS6detail17trampoline_kernelINS0_14default_configENS1_25partition_config_selectorILNS1_17partition_subalgoE6EsNS0_10empty_typeEbEEZZNS1_14partition_implILS5_6ELb0ES3_mN6thrust23THRUST_200600_302600_NS6detail15normal_iteratorINSA_10device_ptrIsEEEEPS6_SG_NS0_5tupleIJSF_S6_EEENSH_IJSG_SG_EEES6_PlJNSB_9not_fun_tINSB_14equal_to_valueIsEEEEEEE10hipError_tPvRmT3_T4_T5_T6_T7_T9_mT8_P12ihipStream_tbDpT10_ENKUlT_T0_E_clISt17integral_constantIbLb1EES18_EEDaS13_S14_EUlS13_E_NS1_11comp_targetILNS1_3genE8ELNS1_11target_archE1030ELNS1_3gpuE2ELNS1_3repE0EEENS1_30default_config_static_selectorELNS0_4arch9wavefront6targetE0EEEvT1_.num_agpr, 0
	.set _ZN7rocprim17ROCPRIM_400000_NS6detail17trampoline_kernelINS0_14default_configENS1_25partition_config_selectorILNS1_17partition_subalgoE6EsNS0_10empty_typeEbEEZZNS1_14partition_implILS5_6ELb0ES3_mN6thrust23THRUST_200600_302600_NS6detail15normal_iteratorINSA_10device_ptrIsEEEEPS6_SG_NS0_5tupleIJSF_S6_EEENSH_IJSG_SG_EEES6_PlJNSB_9not_fun_tINSB_14equal_to_valueIsEEEEEEE10hipError_tPvRmT3_T4_T5_T6_T7_T9_mT8_P12ihipStream_tbDpT10_ENKUlT_T0_E_clISt17integral_constantIbLb1EES18_EEDaS13_S14_EUlS13_E_NS1_11comp_targetILNS1_3genE8ELNS1_11target_archE1030ELNS1_3gpuE2ELNS1_3repE0EEENS1_30default_config_static_selectorELNS0_4arch9wavefront6targetE0EEEvT1_.numbered_sgpr, 0
	.set _ZN7rocprim17ROCPRIM_400000_NS6detail17trampoline_kernelINS0_14default_configENS1_25partition_config_selectorILNS1_17partition_subalgoE6EsNS0_10empty_typeEbEEZZNS1_14partition_implILS5_6ELb0ES3_mN6thrust23THRUST_200600_302600_NS6detail15normal_iteratorINSA_10device_ptrIsEEEEPS6_SG_NS0_5tupleIJSF_S6_EEENSH_IJSG_SG_EEES6_PlJNSB_9not_fun_tINSB_14equal_to_valueIsEEEEEEE10hipError_tPvRmT3_T4_T5_T6_T7_T9_mT8_P12ihipStream_tbDpT10_ENKUlT_T0_E_clISt17integral_constantIbLb1EES18_EEDaS13_S14_EUlS13_E_NS1_11comp_targetILNS1_3genE8ELNS1_11target_archE1030ELNS1_3gpuE2ELNS1_3repE0EEENS1_30default_config_static_selectorELNS0_4arch9wavefront6targetE0EEEvT1_.num_named_barrier, 0
	.set _ZN7rocprim17ROCPRIM_400000_NS6detail17trampoline_kernelINS0_14default_configENS1_25partition_config_selectorILNS1_17partition_subalgoE6EsNS0_10empty_typeEbEEZZNS1_14partition_implILS5_6ELb0ES3_mN6thrust23THRUST_200600_302600_NS6detail15normal_iteratorINSA_10device_ptrIsEEEEPS6_SG_NS0_5tupleIJSF_S6_EEENSH_IJSG_SG_EEES6_PlJNSB_9not_fun_tINSB_14equal_to_valueIsEEEEEEE10hipError_tPvRmT3_T4_T5_T6_T7_T9_mT8_P12ihipStream_tbDpT10_ENKUlT_T0_E_clISt17integral_constantIbLb1EES18_EEDaS13_S14_EUlS13_E_NS1_11comp_targetILNS1_3genE8ELNS1_11target_archE1030ELNS1_3gpuE2ELNS1_3repE0EEENS1_30default_config_static_selectorELNS0_4arch9wavefront6targetE0EEEvT1_.private_seg_size, 0
	.set _ZN7rocprim17ROCPRIM_400000_NS6detail17trampoline_kernelINS0_14default_configENS1_25partition_config_selectorILNS1_17partition_subalgoE6EsNS0_10empty_typeEbEEZZNS1_14partition_implILS5_6ELb0ES3_mN6thrust23THRUST_200600_302600_NS6detail15normal_iteratorINSA_10device_ptrIsEEEEPS6_SG_NS0_5tupleIJSF_S6_EEENSH_IJSG_SG_EEES6_PlJNSB_9not_fun_tINSB_14equal_to_valueIsEEEEEEE10hipError_tPvRmT3_T4_T5_T6_T7_T9_mT8_P12ihipStream_tbDpT10_ENKUlT_T0_E_clISt17integral_constantIbLb1EES18_EEDaS13_S14_EUlS13_E_NS1_11comp_targetILNS1_3genE8ELNS1_11target_archE1030ELNS1_3gpuE2ELNS1_3repE0EEENS1_30default_config_static_selectorELNS0_4arch9wavefront6targetE0EEEvT1_.uses_vcc, 0
	.set _ZN7rocprim17ROCPRIM_400000_NS6detail17trampoline_kernelINS0_14default_configENS1_25partition_config_selectorILNS1_17partition_subalgoE6EsNS0_10empty_typeEbEEZZNS1_14partition_implILS5_6ELb0ES3_mN6thrust23THRUST_200600_302600_NS6detail15normal_iteratorINSA_10device_ptrIsEEEEPS6_SG_NS0_5tupleIJSF_S6_EEENSH_IJSG_SG_EEES6_PlJNSB_9not_fun_tINSB_14equal_to_valueIsEEEEEEE10hipError_tPvRmT3_T4_T5_T6_T7_T9_mT8_P12ihipStream_tbDpT10_ENKUlT_T0_E_clISt17integral_constantIbLb1EES18_EEDaS13_S14_EUlS13_E_NS1_11comp_targetILNS1_3genE8ELNS1_11target_archE1030ELNS1_3gpuE2ELNS1_3repE0EEENS1_30default_config_static_selectorELNS0_4arch9wavefront6targetE0EEEvT1_.uses_flat_scratch, 0
	.set _ZN7rocprim17ROCPRIM_400000_NS6detail17trampoline_kernelINS0_14default_configENS1_25partition_config_selectorILNS1_17partition_subalgoE6EsNS0_10empty_typeEbEEZZNS1_14partition_implILS5_6ELb0ES3_mN6thrust23THRUST_200600_302600_NS6detail15normal_iteratorINSA_10device_ptrIsEEEEPS6_SG_NS0_5tupleIJSF_S6_EEENSH_IJSG_SG_EEES6_PlJNSB_9not_fun_tINSB_14equal_to_valueIsEEEEEEE10hipError_tPvRmT3_T4_T5_T6_T7_T9_mT8_P12ihipStream_tbDpT10_ENKUlT_T0_E_clISt17integral_constantIbLb1EES18_EEDaS13_S14_EUlS13_E_NS1_11comp_targetILNS1_3genE8ELNS1_11target_archE1030ELNS1_3gpuE2ELNS1_3repE0EEENS1_30default_config_static_selectorELNS0_4arch9wavefront6targetE0EEEvT1_.has_dyn_sized_stack, 0
	.set _ZN7rocprim17ROCPRIM_400000_NS6detail17trampoline_kernelINS0_14default_configENS1_25partition_config_selectorILNS1_17partition_subalgoE6EsNS0_10empty_typeEbEEZZNS1_14partition_implILS5_6ELb0ES3_mN6thrust23THRUST_200600_302600_NS6detail15normal_iteratorINSA_10device_ptrIsEEEEPS6_SG_NS0_5tupleIJSF_S6_EEENSH_IJSG_SG_EEES6_PlJNSB_9not_fun_tINSB_14equal_to_valueIsEEEEEEE10hipError_tPvRmT3_T4_T5_T6_T7_T9_mT8_P12ihipStream_tbDpT10_ENKUlT_T0_E_clISt17integral_constantIbLb1EES18_EEDaS13_S14_EUlS13_E_NS1_11comp_targetILNS1_3genE8ELNS1_11target_archE1030ELNS1_3gpuE2ELNS1_3repE0EEENS1_30default_config_static_selectorELNS0_4arch9wavefront6targetE0EEEvT1_.has_recursion, 0
	.set _ZN7rocprim17ROCPRIM_400000_NS6detail17trampoline_kernelINS0_14default_configENS1_25partition_config_selectorILNS1_17partition_subalgoE6EsNS0_10empty_typeEbEEZZNS1_14partition_implILS5_6ELb0ES3_mN6thrust23THRUST_200600_302600_NS6detail15normal_iteratorINSA_10device_ptrIsEEEEPS6_SG_NS0_5tupleIJSF_S6_EEENSH_IJSG_SG_EEES6_PlJNSB_9not_fun_tINSB_14equal_to_valueIsEEEEEEE10hipError_tPvRmT3_T4_T5_T6_T7_T9_mT8_P12ihipStream_tbDpT10_ENKUlT_T0_E_clISt17integral_constantIbLb1EES18_EEDaS13_S14_EUlS13_E_NS1_11comp_targetILNS1_3genE8ELNS1_11target_archE1030ELNS1_3gpuE2ELNS1_3repE0EEENS1_30default_config_static_selectorELNS0_4arch9wavefront6targetE0EEEvT1_.has_indirect_call, 0
	.section	.AMDGPU.csdata,"",@progbits
; Kernel info:
; codeLenInByte = 0
; TotalNumSgprs: 0
; NumVgprs: 0
; ScratchSize: 0
; MemoryBound: 0
; FloatMode: 240
; IeeeMode: 1
; LDSByteSize: 0 bytes/workgroup (compile time only)
; SGPRBlocks: 0
; VGPRBlocks: 0
; NumSGPRsForWavesPerEU: 1
; NumVGPRsForWavesPerEU: 1
; Occupancy: 16
; WaveLimiterHint : 0
; COMPUTE_PGM_RSRC2:SCRATCH_EN: 0
; COMPUTE_PGM_RSRC2:USER_SGPR: 2
; COMPUTE_PGM_RSRC2:TRAP_HANDLER: 0
; COMPUTE_PGM_RSRC2:TGID_X_EN: 1
; COMPUTE_PGM_RSRC2:TGID_Y_EN: 0
; COMPUTE_PGM_RSRC2:TGID_Z_EN: 0
; COMPUTE_PGM_RSRC2:TIDIG_COMP_CNT: 0
	.section	.text._ZN7rocprim17ROCPRIM_400000_NS6detail17trampoline_kernelINS0_14default_configENS1_25partition_config_selectorILNS1_17partition_subalgoE6EsNS0_10empty_typeEbEEZZNS1_14partition_implILS5_6ELb0ES3_mN6thrust23THRUST_200600_302600_NS6detail15normal_iteratorINSA_10device_ptrIsEEEEPS6_SG_NS0_5tupleIJSF_S6_EEENSH_IJSG_SG_EEES6_PlJNSB_9not_fun_tINSB_14equal_to_valueIsEEEEEEE10hipError_tPvRmT3_T4_T5_T6_T7_T9_mT8_P12ihipStream_tbDpT10_ENKUlT_T0_E_clISt17integral_constantIbLb1EES17_IbLb0EEEEDaS13_S14_EUlS13_E_NS1_11comp_targetILNS1_3genE0ELNS1_11target_archE4294967295ELNS1_3gpuE0ELNS1_3repE0EEENS1_30default_config_static_selectorELNS0_4arch9wavefront6targetE0EEEvT1_,"axG",@progbits,_ZN7rocprim17ROCPRIM_400000_NS6detail17trampoline_kernelINS0_14default_configENS1_25partition_config_selectorILNS1_17partition_subalgoE6EsNS0_10empty_typeEbEEZZNS1_14partition_implILS5_6ELb0ES3_mN6thrust23THRUST_200600_302600_NS6detail15normal_iteratorINSA_10device_ptrIsEEEEPS6_SG_NS0_5tupleIJSF_S6_EEENSH_IJSG_SG_EEES6_PlJNSB_9not_fun_tINSB_14equal_to_valueIsEEEEEEE10hipError_tPvRmT3_T4_T5_T6_T7_T9_mT8_P12ihipStream_tbDpT10_ENKUlT_T0_E_clISt17integral_constantIbLb1EES17_IbLb0EEEEDaS13_S14_EUlS13_E_NS1_11comp_targetILNS1_3genE0ELNS1_11target_archE4294967295ELNS1_3gpuE0ELNS1_3repE0EEENS1_30default_config_static_selectorELNS0_4arch9wavefront6targetE0EEEvT1_,comdat
	.protected	_ZN7rocprim17ROCPRIM_400000_NS6detail17trampoline_kernelINS0_14default_configENS1_25partition_config_selectorILNS1_17partition_subalgoE6EsNS0_10empty_typeEbEEZZNS1_14partition_implILS5_6ELb0ES3_mN6thrust23THRUST_200600_302600_NS6detail15normal_iteratorINSA_10device_ptrIsEEEEPS6_SG_NS0_5tupleIJSF_S6_EEENSH_IJSG_SG_EEES6_PlJNSB_9not_fun_tINSB_14equal_to_valueIsEEEEEEE10hipError_tPvRmT3_T4_T5_T6_T7_T9_mT8_P12ihipStream_tbDpT10_ENKUlT_T0_E_clISt17integral_constantIbLb1EES17_IbLb0EEEEDaS13_S14_EUlS13_E_NS1_11comp_targetILNS1_3genE0ELNS1_11target_archE4294967295ELNS1_3gpuE0ELNS1_3repE0EEENS1_30default_config_static_selectorELNS0_4arch9wavefront6targetE0EEEvT1_ ; -- Begin function _ZN7rocprim17ROCPRIM_400000_NS6detail17trampoline_kernelINS0_14default_configENS1_25partition_config_selectorILNS1_17partition_subalgoE6EsNS0_10empty_typeEbEEZZNS1_14partition_implILS5_6ELb0ES3_mN6thrust23THRUST_200600_302600_NS6detail15normal_iteratorINSA_10device_ptrIsEEEEPS6_SG_NS0_5tupleIJSF_S6_EEENSH_IJSG_SG_EEES6_PlJNSB_9not_fun_tINSB_14equal_to_valueIsEEEEEEE10hipError_tPvRmT3_T4_T5_T6_T7_T9_mT8_P12ihipStream_tbDpT10_ENKUlT_T0_E_clISt17integral_constantIbLb1EES17_IbLb0EEEEDaS13_S14_EUlS13_E_NS1_11comp_targetILNS1_3genE0ELNS1_11target_archE4294967295ELNS1_3gpuE0ELNS1_3repE0EEENS1_30default_config_static_selectorELNS0_4arch9wavefront6targetE0EEEvT1_
	.globl	_ZN7rocprim17ROCPRIM_400000_NS6detail17trampoline_kernelINS0_14default_configENS1_25partition_config_selectorILNS1_17partition_subalgoE6EsNS0_10empty_typeEbEEZZNS1_14partition_implILS5_6ELb0ES3_mN6thrust23THRUST_200600_302600_NS6detail15normal_iteratorINSA_10device_ptrIsEEEEPS6_SG_NS0_5tupleIJSF_S6_EEENSH_IJSG_SG_EEES6_PlJNSB_9not_fun_tINSB_14equal_to_valueIsEEEEEEE10hipError_tPvRmT3_T4_T5_T6_T7_T9_mT8_P12ihipStream_tbDpT10_ENKUlT_T0_E_clISt17integral_constantIbLb1EES17_IbLb0EEEEDaS13_S14_EUlS13_E_NS1_11comp_targetILNS1_3genE0ELNS1_11target_archE4294967295ELNS1_3gpuE0ELNS1_3repE0EEENS1_30default_config_static_selectorELNS0_4arch9wavefront6targetE0EEEvT1_
	.p2align	8
	.type	_ZN7rocprim17ROCPRIM_400000_NS6detail17trampoline_kernelINS0_14default_configENS1_25partition_config_selectorILNS1_17partition_subalgoE6EsNS0_10empty_typeEbEEZZNS1_14partition_implILS5_6ELb0ES3_mN6thrust23THRUST_200600_302600_NS6detail15normal_iteratorINSA_10device_ptrIsEEEEPS6_SG_NS0_5tupleIJSF_S6_EEENSH_IJSG_SG_EEES6_PlJNSB_9not_fun_tINSB_14equal_to_valueIsEEEEEEE10hipError_tPvRmT3_T4_T5_T6_T7_T9_mT8_P12ihipStream_tbDpT10_ENKUlT_T0_E_clISt17integral_constantIbLb1EES17_IbLb0EEEEDaS13_S14_EUlS13_E_NS1_11comp_targetILNS1_3genE0ELNS1_11target_archE4294967295ELNS1_3gpuE0ELNS1_3repE0EEENS1_30default_config_static_selectorELNS0_4arch9wavefront6targetE0EEEvT1_,@function
_ZN7rocprim17ROCPRIM_400000_NS6detail17trampoline_kernelINS0_14default_configENS1_25partition_config_selectorILNS1_17partition_subalgoE6EsNS0_10empty_typeEbEEZZNS1_14partition_implILS5_6ELb0ES3_mN6thrust23THRUST_200600_302600_NS6detail15normal_iteratorINSA_10device_ptrIsEEEEPS6_SG_NS0_5tupleIJSF_S6_EEENSH_IJSG_SG_EEES6_PlJNSB_9not_fun_tINSB_14equal_to_valueIsEEEEEEE10hipError_tPvRmT3_T4_T5_T6_T7_T9_mT8_P12ihipStream_tbDpT10_ENKUlT_T0_E_clISt17integral_constantIbLb1EES17_IbLb0EEEEDaS13_S14_EUlS13_E_NS1_11comp_targetILNS1_3genE0ELNS1_11target_archE4294967295ELNS1_3gpuE0ELNS1_3repE0EEENS1_30default_config_static_selectorELNS0_4arch9wavefront6targetE0EEEvT1_: ; @_ZN7rocprim17ROCPRIM_400000_NS6detail17trampoline_kernelINS0_14default_configENS1_25partition_config_selectorILNS1_17partition_subalgoE6EsNS0_10empty_typeEbEEZZNS1_14partition_implILS5_6ELb0ES3_mN6thrust23THRUST_200600_302600_NS6detail15normal_iteratorINSA_10device_ptrIsEEEEPS6_SG_NS0_5tupleIJSF_S6_EEENSH_IJSG_SG_EEES6_PlJNSB_9not_fun_tINSB_14equal_to_valueIsEEEEEEE10hipError_tPvRmT3_T4_T5_T6_T7_T9_mT8_P12ihipStream_tbDpT10_ENKUlT_T0_E_clISt17integral_constantIbLb1EES17_IbLb0EEEEDaS13_S14_EUlS13_E_NS1_11comp_targetILNS1_3genE0ELNS1_11target_archE4294967295ELNS1_3gpuE0ELNS1_3repE0EEENS1_30default_config_static_selectorELNS0_4arch9wavefront6targetE0EEEvT1_
; %bb.0:
	.section	.rodata,"a",@progbits
	.p2align	6, 0x0
	.amdhsa_kernel _ZN7rocprim17ROCPRIM_400000_NS6detail17trampoline_kernelINS0_14default_configENS1_25partition_config_selectorILNS1_17partition_subalgoE6EsNS0_10empty_typeEbEEZZNS1_14partition_implILS5_6ELb0ES3_mN6thrust23THRUST_200600_302600_NS6detail15normal_iteratorINSA_10device_ptrIsEEEEPS6_SG_NS0_5tupleIJSF_S6_EEENSH_IJSG_SG_EEES6_PlJNSB_9not_fun_tINSB_14equal_to_valueIsEEEEEEE10hipError_tPvRmT3_T4_T5_T6_T7_T9_mT8_P12ihipStream_tbDpT10_ENKUlT_T0_E_clISt17integral_constantIbLb1EES17_IbLb0EEEEDaS13_S14_EUlS13_E_NS1_11comp_targetILNS1_3genE0ELNS1_11target_archE4294967295ELNS1_3gpuE0ELNS1_3repE0EEENS1_30default_config_static_selectorELNS0_4arch9wavefront6targetE0EEEvT1_
		.amdhsa_group_segment_fixed_size 0
		.amdhsa_private_segment_fixed_size 0
		.amdhsa_kernarg_size 112
		.amdhsa_user_sgpr_count 2
		.amdhsa_user_sgpr_dispatch_ptr 0
		.amdhsa_user_sgpr_queue_ptr 0
		.amdhsa_user_sgpr_kernarg_segment_ptr 1
		.amdhsa_user_sgpr_dispatch_id 0
		.amdhsa_user_sgpr_private_segment_size 0
		.amdhsa_wavefront_size32 1
		.amdhsa_uses_dynamic_stack 0
		.amdhsa_enable_private_segment 0
		.amdhsa_system_sgpr_workgroup_id_x 1
		.amdhsa_system_sgpr_workgroup_id_y 0
		.amdhsa_system_sgpr_workgroup_id_z 0
		.amdhsa_system_sgpr_workgroup_info 0
		.amdhsa_system_vgpr_workitem_id 0
		.amdhsa_next_free_vgpr 1
		.amdhsa_next_free_sgpr 1
		.amdhsa_reserve_vcc 0
		.amdhsa_float_round_mode_32 0
		.amdhsa_float_round_mode_16_64 0
		.amdhsa_float_denorm_mode_32 3
		.amdhsa_float_denorm_mode_16_64 3
		.amdhsa_fp16_overflow 0
		.amdhsa_workgroup_processor_mode 1
		.amdhsa_memory_ordered 1
		.amdhsa_forward_progress 1
		.amdhsa_inst_pref_size 0
		.amdhsa_round_robin_scheduling 0
		.amdhsa_exception_fp_ieee_invalid_op 0
		.amdhsa_exception_fp_denorm_src 0
		.amdhsa_exception_fp_ieee_div_zero 0
		.amdhsa_exception_fp_ieee_overflow 0
		.amdhsa_exception_fp_ieee_underflow 0
		.amdhsa_exception_fp_ieee_inexact 0
		.amdhsa_exception_int_div_zero 0
	.end_amdhsa_kernel
	.section	.text._ZN7rocprim17ROCPRIM_400000_NS6detail17trampoline_kernelINS0_14default_configENS1_25partition_config_selectorILNS1_17partition_subalgoE6EsNS0_10empty_typeEbEEZZNS1_14partition_implILS5_6ELb0ES3_mN6thrust23THRUST_200600_302600_NS6detail15normal_iteratorINSA_10device_ptrIsEEEEPS6_SG_NS0_5tupleIJSF_S6_EEENSH_IJSG_SG_EEES6_PlJNSB_9not_fun_tINSB_14equal_to_valueIsEEEEEEE10hipError_tPvRmT3_T4_T5_T6_T7_T9_mT8_P12ihipStream_tbDpT10_ENKUlT_T0_E_clISt17integral_constantIbLb1EES17_IbLb0EEEEDaS13_S14_EUlS13_E_NS1_11comp_targetILNS1_3genE0ELNS1_11target_archE4294967295ELNS1_3gpuE0ELNS1_3repE0EEENS1_30default_config_static_selectorELNS0_4arch9wavefront6targetE0EEEvT1_,"axG",@progbits,_ZN7rocprim17ROCPRIM_400000_NS6detail17trampoline_kernelINS0_14default_configENS1_25partition_config_selectorILNS1_17partition_subalgoE6EsNS0_10empty_typeEbEEZZNS1_14partition_implILS5_6ELb0ES3_mN6thrust23THRUST_200600_302600_NS6detail15normal_iteratorINSA_10device_ptrIsEEEEPS6_SG_NS0_5tupleIJSF_S6_EEENSH_IJSG_SG_EEES6_PlJNSB_9not_fun_tINSB_14equal_to_valueIsEEEEEEE10hipError_tPvRmT3_T4_T5_T6_T7_T9_mT8_P12ihipStream_tbDpT10_ENKUlT_T0_E_clISt17integral_constantIbLb1EES17_IbLb0EEEEDaS13_S14_EUlS13_E_NS1_11comp_targetILNS1_3genE0ELNS1_11target_archE4294967295ELNS1_3gpuE0ELNS1_3repE0EEENS1_30default_config_static_selectorELNS0_4arch9wavefront6targetE0EEEvT1_,comdat
.Lfunc_end517:
	.size	_ZN7rocprim17ROCPRIM_400000_NS6detail17trampoline_kernelINS0_14default_configENS1_25partition_config_selectorILNS1_17partition_subalgoE6EsNS0_10empty_typeEbEEZZNS1_14partition_implILS5_6ELb0ES3_mN6thrust23THRUST_200600_302600_NS6detail15normal_iteratorINSA_10device_ptrIsEEEEPS6_SG_NS0_5tupleIJSF_S6_EEENSH_IJSG_SG_EEES6_PlJNSB_9not_fun_tINSB_14equal_to_valueIsEEEEEEE10hipError_tPvRmT3_T4_T5_T6_T7_T9_mT8_P12ihipStream_tbDpT10_ENKUlT_T0_E_clISt17integral_constantIbLb1EES17_IbLb0EEEEDaS13_S14_EUlS13_E_NS1_11comp_targetILNS1_3genE0ELNS1_11target_archE4294967295ELNS1_3gpuE0ELNS1_3repE0EEENS1_30default_config_static_selectorELNS0_4arch9wavefront6targetE0EEEvT1_, .Lfunc_end517-_ZN7rocprim17ROCPRIM_400000_NS6detail17trampoline_kernelINS0_14default_configENS1_25partition_config_selectorILNS1_17partition_subalgoE6EsNS0_10empty_typeEbEEZZNS1_14partition_implILS5_6ELb0ES3_mN6thrust23THRUST_200600_302600_NS6detail15normal_iteratorINSA_10device_ptrIsEEEEPS6_SG_NS0_5tupleIJSF_S6_EEENSH_IJSG_SG_EEES6_PlJNSB_9not_fun_tINSB_14equal_to_valueIsEEEEEEE10hipError_tPvRmT3_T4_T5_T6_T7_T9_mT8_P12ihipStream_tbDpT10_ENKUlT_T0_E_clISt17integral_constantIbLb1EES17_IbLb0EEEEDaS13_S14_EUlS13_E_NS1_11comp_targetILNS1_3genE0ELNS1_11target_archE4294967295ELNS1_3gpuE0ELNS1_3repE0EEENS1_30default_config_static_selectorELNS0_4arch9wavefront6targetE0EEEvT1_
                                        ; -- End function
	.set _ZN7rocprim17ROCPRIM_400000_NS6detail17trampoline_kernelINS0_14default_configENS1_25partition_config_selectorILNS1_17partition_subalgoE6EsNS0_10empty_typeEbEEZZNS1_14partition_implILS5_6ELb0ES3_mN6thrust23THRUST_200600_302600_NS6detail15normal_iteratorINSA_10device_ptrIsEEEEPS6_SG_NS0_5tupleIJSF_S6_EEENSH_IJSG_SG_EEES6_PlJNSB_9not_fun_tINSB_14equal_to_valueIsEEEEEEE10hipError_tPvRmT3_T4_T5_T6_T7_T9_mT8_P12ihipStream_tbDpT10_ENKUlT_T0_E_clISt17integral_constantIbLb1EES17_IbLb0EEEEDaS13_S14_EUlS13_E_NS1_11comp_targetILNS1_3genE0ELNS1_11target_archE4294967295ELNS1_3gpuE0ELNS1_3repE0EEENS1_30default_config_static_selectorELNS0_4arch9wavefront6targetE0EEEvT1_.num_vgpr, 0
	.set _ZN7rocprim17ROCPRIM_400000_NS6detail17trampoline_kernelINS0_14default_configENS1_25partition_config_selectorILNS1_17partition_subalgoE6EsNS0_10empty_typeEbEEZZNS1_14partition_implILS5_6ELb0ES3_mN6thrust23THRUST_200600_302600_NS6detail15normal_iteratorINSA_10device_ptrIsEEEEPS6_SG_NS0_5tupleIJSF_S6_EEENSH_IJSG_SG_EEES6_PlJNSB_9not_fun_tINSB_14equal_to_valueIsEEEEEEE10hipError_tPvRmT3_T4_T5_T6_T7_T9_mT8_P12ihipStream_tbDpT10_ENKUlT_T0_E_clISt17integral_constantIbLb1EES17_IbLb0EEEEDaS13_S14_EUlS13_E_NS1_11comp_targetILNS1_3genE0ELNS1_11target_archE4294967295ELNS1_3gpuE0ELNS1_3repE0EEENS1_30default_config_static_selectorELNS0_4arch9wavefront6targetE0EEEvT1_.num_agpr, 0
	.set _ZN7rocprim17ROCPRIM_400000_NS6detail17trampoline_kernelINS0_14default_configENS1_25partition_config_selectorILNS1_17partition_subalgoE6EsNS0_10empty_typeEbEEZZNS1_14partition_implILS5_6ELb0ES3_mN6thrust23THRUST_200600_302600_NS6detail15normal_iteratorINSA_10device_ptrIsEEEEPS6_SG_NS0_5tupleIJSF_S6_EEENSH_IJSG_SG_EEES6_PlJNSB_9not_fun_tINSB_14equal_to_valueIsEEEEEEE10hipError_tPvRmT3_T4_T5_T6_T7_T9_mT8_P12ihipStream_tbDpT10_ENKUlT_T0_E_clISt17integral_constantIbLb1EES17_IbLb0EEEEDaS13_S14_EUlS13_E_NS1_11comp_targetILNS1_3genE0ELNS1_11target_archE4294967295ELNS1_3gpuE0ELNS1_3repE0EEENS1_30default_config_static_selectorELNS0_4arch9wavefront6targetE0EEEvT1_.numbered_sgpr, 0
	.set _ZN7rocprim17ROCPRIM_400000_NS6detail17trampoline_kernelINS0_14default_configENS1_25partition_config_selectorILNS1_17partition_subalgoE6EsNS0_10empty_typeEbEEZZNS1_14partition_implILS5_6ELb0ES3_mN6thrust23THRUST_200600_302600_NS6detail15normal_iteratorINSA_10device_ptrIsEEEEPS6_SG_NS0_5tupleIJSF_S6_EEENSH_IJSG_SG_EEES6_PlJNSB_9not_fun_tINSB_14equal_to_valueIsEEEEEEE10hipError_tPvRmT3_T4_T5_T6_T7_T9_mT8_P12ihipStream_tbDpT10_ENKUlT_T0_E_clISt17integral_constantIbLb1EES17_IbLb0EEEEDaS13_S14_EUlS13_E_NS1_11comp_targetILNS1_3genE0ELNS1_11target_archE4294967295ELNS1_3gpuE0ELNS1_3repE0EEENS1_30default_config_static_selectorELNS0_4arch9wavefront6targetE0EEEvT1_.num_named_barrier, 0
	.set _ZN7rocprim17ROCPRIM_400000_NS6detail17trampoline_kernelINS0_14default_configENS1_25partition_config_selectorILNS1_17partition_subalgoE6EsNS0_10empty_typeEbEEZZNS1_14partition_implILS5_6ELb0ES3_mN6thrust23THRUST_200600_302600_NS6detail15normal_iteratorINSA_10device_ptrIsEEEEPS6_SG_NS0_5tupleIJSF_S6_EEENSH_IJSG_SG_EEES6_PlJNSB_9not_fun_tINSB_14equal_to_valueIsEEEEEEE10hipError_tPvRmT3_T4_T5_T6_T7_T9_mT8_P12ihipStream_tbDpT10_ENKUlT_T0_E_clISt17integral_constantIbLb1EES17_IbLb0EEEEDaS13_S14_EUlS13_E_NS1_11comp_targetILNS1_3genE0ELNS1_11target_archE4294967295ELNS1_3gpuE0ELNS1_3repE0EEENS1_30default_config_static_selectorELNS0_4arch9wavefront6targetE0EEEvT1_.private_seg_size, 0
	.set _ZN7rocprim17ROCPRIM_400000_NS6detail17trampoline_kernelINS0_14default_configENS1_25partition_config_selectorILNS1_17partition_subalgoE6EsNS0_10empty_typeEbEEZZNS1_14partition_implILS5_6ELb0ES3_mN6thrust23THRUST_200600_302600_NS6detail15normal_iteratorINSA_10device_ptrIsEEEEPS6_SG_NS0_5tupleIJSF_S6_EEENSH_IJSG_SG_EEES6_PlJNSB_9not_fun_tINSB_14equal_to_valueIsEEEEEEE10hipError_tPvRmT3_T4_T5_T6_T7_T9_mT8_P12ihipStream_tbDpT10_ENKUlT_T0_E_clISt17integral_constantIbLb1EES17_IbLb0EEEEDaS13_S14_EUlS13_E_NS1_11comp_targetILNS1_3genE0ELNS1_11target_archE4294967295ELNS1_3gpuE0ELNS1_3repE0EEENS1_30default_config_static_selectorELNS0_4arch9wavefront6targetE0EEEvT1_.uses_vcc, 0
	.set _ZN7rocprim17ROCPRIM_400000_NS6detail17trampoline_kernelINS0_14default_configENS1_25partition_config_selectorILNS1_17partition_subalgoE6EsNS0_10empty_typeEbEEZZNS1_14partition_implILS5_6ELb0ES3_mN6thrust23THRUST_200600_302600_NS6detail15normal_iteratorINSA_10device_ptrIsEEEEPS6_SG_NS0_5tupleIJSF_S6_EEENSH_IJSG_SG_EEES6_PlJNSB_9not_fun_tINSB_14equal_to_valueIsEEEEEEE10hipError_tPvRmT3_T4_T5_T6_T7_T9_mT8_P12ihipStream_tbDpT10_ENKUlT_T0_E_clISt17integral_constantIbLb1EES17_IbLb0EEEEDaS13_S14_EUlS13_E_NS1_11comp_targetILNS1_3genE0ELNS1_11target_archE4294967295ELNS1_3gpuE0ELNS1_3repE0EEENS1_30default_config_static_selectorELNS0_4arch9wavefront6targetE0EEEvT1_.uses_flat_scratch, 0
	.set _ZN7rocprim17ROCPRIM_400000_NS6detail17trampoline_kernelINS0_14default_configENS1_25partition_config_selectorILNS1_17partition_subalgoE6EsNS0_10empty_typeEbEEZZNS1_14partition_implILS5_6ELb0ES3_mN6thrust23THRUST_200600_302600_NS6detail15normal_iteratorINSA_10device_ptrIsEEEEPS6_SG_NS0_5tupleIJSF_S6_EEENSH_IJSG_SG_EEES6_PlJNSB_9not_fun_tINSB_14equal_to_valueIsEEEEEEE10hipError_tPvRmT3_T4_T5_T6_T7_T9_mT8_P12ihipStream_tbDpT10_ENKUlT_T0_E_clISt17integral_constantIbLb1EES17_IbLb0EEEEDaS13_S14_EUlS13_E_NS1_11comp_targetILNS1_3genE0ELNS1_11target_archE4294967295ELNS1_3gpuE0ELNS1_3repE0EEENS1_30default_config_static_selectorELNS0_4arch9wavefront6targetE0EEEvT1_.has_dyn_sized_stack, 0
	.set _ZN7rocprim17ROCPRIM_400000_NS6detail17trampoline_kernelINS0_14default_configENS1_25partition_config_selectorILNS1_17partition_subalgoE6EsNS0_10empty_typeEbEEZZNS1_14partition_implILS5_6ELb0ES3_mN6thrust23THRUST_200600_302600_NS6detail15normal_iteratorINSA_10device_ptrIsEEEEPS6_SG_NS0_5tupleIJSF_S6_EEENSH_IJSG_SG_EEES6_PlJNSB_9not_fun_tINSB_14equal_to_valueIsEEEEEEE10hipError_tPvRmT3_T4_T5_T6_T7_T9_mT8_P12ihipStream_tbDpT10_ENKUlT_T0_E_clISt17integral_constantIbLb1EES17_IbLb0EEEEDaS13_S14_EUlS13_E_NS1_11comp_targetILNS1_3genE0ELNS1_11target_archE4294967295ELNS1_3gpuE0ELNS1_3repE0EEENS1_30default_config_static_selectorELNS0_4arch9wavefront6targetE0EEEvT1_.has_recursion, 0
	.set _ZN7rocprim17ROCPRIM_400000_NS6detail17trampoline_kernelINS0_14default_configENS1_25partition_config_selectorILNS1_17partition_subalgoE6EsNS0_10empty_typeEbEEZZNS1_14partition_implILS5_6ELb0ES3_mN6thrust23THRUST_200600_302600_NS6detail15normal_iteratorINSA_10device_ptrIsEEEEPS6_SG_NS0_5tupleIJSF_S6_EEENSH_IJSG_SG_EEES6_PlJNSB_9not_fun_tINSB_14equal_to_valueIsEEEEEEE10hipError_tPvRmT3_T4_T5_T6_T7_T9_mT8_P12ihipStream_tbDpT10_ENKUlT_T0_E_clISt17integral_constantIbLb1EES17_IbLb0EEEEDaS13_S14_EUlS13_E_NS1_11comp_targetILNS1_3genE0ELNS1_11target_archE4294967295ELNS1_3gpuE0ELNS1_3repE0EEENS1_30default_config_static_selectorELNS0_4arch9wavefront6targetE0EEEvT1_.has_indirect_call, 0
	.section	.AMDGPU.csdata,"",@progbits
; Kernel info:
; codeLenInByte = 0
; TotalNumSgprs: 0
; NumVgprs: 0
; ScratchSize: 0
; MemoryBound: 0
; FloatMode: 240
; IeeeMode: 1
; LDSByteSize: 0 bytes/workgroup (compile time only)
; SGPRBlocks: 0
; VGPRBlocks: 0
; NumSGPRsForWavesPerEU: 1
; NumVGPRsForWavesPerEU: 1
; Occupancy: 16
; WaveLimiterHint : 0
; COMPUTE_PGM_RSRC2:SCRATCH_EN: 0
; COMPUTE_PGM_RSRC2:USER_SGPR: 2
; COMPUTE_PGM_RSRC2:TRAP_HANDLER: 0
; COMPUTE_PGM_RSRC2:TGID_X_EN: 1
; COMPUTE_PGM_RSRC2:TGID_Y_EN: 0
; COMPUTE_PGM_RSRC2:TGID_Z_EN: 0
; COMPUTE_PGM_RSRC2:TIDIG_COMP_CNT: 0
	.section	.text._ZN7rocprim17ROCPRIM_400000_NS6detail17trampoline_kernelINS0_14default_configENS1_25partition_config_selectorILNS1_17partition_subalgoE6EsNS0_10empty_typeEbEEZZNS1_14partition_implILS5_6ELb0ES3_mN6thrust23THRUST_200600_302600_NS6detail15normal_iteratorINSA_10device_ptrIsEEEEPS6_SG_NS0_5tupleIJSF_S6_EEENSH_IJSG_SG_EEES6_PlJNSB_9not_fun_tINSB_14equal_to_valueIsEEEEEEE10hipError_tPvRmT3_T4_T5_T6_T7_T9_mT8_P12ihipStream_tbDpT10_ENKUlT_T0_E_clISt17integral_constantIbLb1EES17_IbLb0EEEEDaS13_S14_EUlS13_E_NS1_11comp_targetILNS1_3genE5ELNS1_11target_archE942ELNS1_3gpuE9ELNS1_3repE0EEENS1_30default_config_static_selectorELNS0_4arch9wavefront6targetE0EEEvT1_,"axG",@progbits,_ZN7rocprim17ROCPRIM_400000_NS6detail17trampoline_kernelINS0_14default_configENS1_25partition_config_selectorILNS1_17partition_subalgoE6EsNS0_10empty_typeEbEEZZNS1_14partition_implILS5_6ELb0ES3_mN6thrust23THRUST_200600_302600_NS6detail15normal_iteratorINSA_10device_ptrIsEEEEPS6_SG_NS0_5tupleIJSF_S6_EEENSH_IJSG_SG_EEES6_PlJNSB_9not_fun_tINSB_14equal_to_valueIsEEEEEEE10hipError_tPvRmT3_T4_T5_T6_T7_T9_mT8_P12ihipStream_tbDpT10_ENKUlT_T0_E_clISt17integral_constantIbLb1EES17_IbLb0EEEEDaS13_S14_EUlS13_E_NS1_11comp_targetILNS1_3genE5ELNS1_11target_archE942ELNS1_3gpuE9ELNS1_3repE0EEENS1_30default_config_static_selectorELNS0_4arch9wavefront6targetE0EEEvT1_,comdat
	.protected	_ZN7rocprim17ROCPRIM_400000_NS6detail17trampoline_kernelINS0_14default_configENS1_25partition_config_selectorILNS1_17partition_subalgoE6EsNS0_10empty_typeEbEEZZNS1_14partition_implILS5_6ELb0ES3_mN6thrust23THRUST_200600_302600_NS6detail15normal_iteratorINSA_10device_ptrIsEEEEPS6_SG_NS0_5tupleIJSF_S6_EEENSH_IJSG_SG_EEES6_PlJNSB_9not_fun_tINSB_14equal_to_valueIsEEEEEEE10hipError_tPvRmT3_T4_T5_T6_T7_T9_mT8_P12ihipStream_tbDpT10_ENKUlT_T0_E_clISt17integral_constantIbLb1EES17_IbLb0EEEEDaS13_S14_EUlS13_E_NS1_11comp_targetILNS1_3genE5ELNS1_11target_archE942ELNS1_3gpuE9ELNS1_3repE0EEENS1_30default_config_static_selectorELNS0_4arch9wavefront6targetE0EEEvT1_ ; -- Begin function _ZN7rocprim17ROCPRIM_400000_NS6detail17trampoline_kernelINS0_14default_configENS1_25partition_config_selectorILNS1_17partition_subalgoE6EsNS0_10empty_typeEbEEZZNS1_14partition_implILS5_6ELb0ES3_mN6thrust23THRUST_200600_302600_NS6detail15normal_iteratorINSA_10device_ptrIsEEEEPS6_SG_NS0_5tupleIJSF_S6_EEENSH_IJSG_SG_EEES6_PlJNSB_9not_fun_tINSB_14equal_to_valueIsEEEEEEE10hipError_tPvRmT3_T4_T5_T6_T7_T9_mT8_P12ihipStream_tbDpT10_ENKUlT_T0_E_clISt17integral_constantIbLb1EES17_IbLb0EEEEDaS13_S14_EUlS13_E_NS1_11comp_targetILNS1_3genE5ELNS1_11target_archE942ELNS1_3gpuE9ELNS1_3repE0EEENS1_30default_config_static_selectorELNS0_4arch9wavefront6targetE0EEEvT1_
	.globl	_ZN7rocprim17ROCPRIM_400000_NS6detail17trampoline_kernelINS0_14default_configENS1_25partition_config_selectorILNS1_17partition_subalgoE6EsNS0_10empty_typeEbEEZZNS1_14partition_implILS5_6ELb0ES3_mN6thrust23THRUST_200600_302600_NS6detail15normal_iteratorINSA_10device_ptrIsEEEEPS6_SG_NS0_5tupleIJSF_S6_EEENSH_IJSG_SG_EEES6_PlJNSB_9not_fun_tINSB_14equal_to_valueIsEEEEEEE10hipError_tPvRmT3_T4_T5_T6_T7_T9_mT8_P12ihipStream_tbDpT10_ENKUlT_T0_E_clISt17integral_constantIbLb1EES17_IbLb0EEEEDaS13_S14_EUlS13_E_NS1_11comp_targetILNS1_3genE5ELNS1_11target_archE942ELNS1_3gpuE9ELNS1_3repE0EEENS1_30default_config_static_selectorELNS0_4arch9wavefront6targetE0EEEvT1_
	.p2align	8
	.type	_ZN7rocprim17ROCPRIM_400000_NS6detail17trampoline_kernelINS0_14default_configENS1_25partition_config_selectorILNS1_17partition_subalgoE6EsNS0_10empty_typeEbEEZZNS1_14partition_implILS5_6ELb0ES3_mN6thrust23THRUST_200600_302600_NS6detail15normal_iteratorINSA_10device_ptrIsEEEEPS6_SG_NS0_5tupleIJSF_S6_EEENSH_IJSG_SG_EEES6_PlJNSB_9not_fun_tINSB_14equal_to_valueIsEEEEEEE10hipError_tPvRmT3_T4_T5_T6_T7_T9_mT8_P12ihipStream_tbDpT10_ENKUlT_T0_E_clISt17integral_constantIbLb1EES17_IbLb0EEEEDaS13_S14_EUlS13_E_NS1_11comp_targetILNS1_3genE5ELNS1_11target_archE942ELNS1_3gpuE9ELNS1_3repE0EEENS1_30default_config_static_selectorELNS0_4arch9wavefront6targetE0EEEvT1_,@function
_ZN7rocprim17ROCPRIM_400000_NS6detail17trampoline_kernelINS0_14default_configENS1_25partition_config_selectorILNS1_17partition_subalgoE6EsNS0_10empty_typeEbEEZZNS1_14partition_implILS5_6ELb0ES3_mN6thrust23THRUST_200600_302600_NS6detail15normal_iteratorINSA_10device_ptrIsEEEEPS6_SG_NS0_5tupleIJSF_S6_EEENSH_IJSG_SG_EEES6_PlJNSB_9not_fun_tINSB_14equal_to_valueIsEEEEEEE10hipError_tPvRmT3_T4_T5_T6_T7_T9_mT8_P12ihipStream_tbDpT10_ENKUlT_T0_E_clISt17integral_constantIbLb1EES17_IbLb0EEEEDaS13_S14_EUlS13_E_NS1_11comp_targetILNS1_3genE5ELNS1_11target_archE942ELNS1_3gpuE9ELNS1_3repE0EEENS1_30default_config_static_selectorELNS0_4arch9wavefront6targetE0EEEvT1_: ; @_ZN7rocprim17ROCPRIM_400000_NS6detail17trampoline_kernelINS0_14default_configENS1_25partition_config_selectorILNS1_17partition_subalgoE6EsNS0_10empty_typeEbEEZZNS1_14partition_implILS5_6ELb0ES3_mN6thrust23THRUST_200600_302600_NS6detail15normal_iteratorINSA_10device_ptrIsEEEEPS6_SG_NS0_5tupleIJSF_S6_EEENSH_IJSG_SG_EEES6_PlJNSB_9not_fun_tINSB_14equal_to_valueIsEEEEEEE10hipError_tPvRmT3_T4_T5_T6_T7_T9_mT8_P12ihipStream_tbDpT10_ENKUlT_T0_E_clISt17integral_constantIbLb1EES17_IbLb0EEEEDaS13_S14_EUlS13_E_NS1_11comp_targetILNS1_3genE5ELNS1_11target_archE942ELNS1_3gpuE9ELNS1_3repE0EEENS1_30default_config_static_selectorELNS0_4arch9wavefront6targetE0EEEvT1_
; %bb.0:
	.section	.rodata,"a",@progbits
	.p2align	6, 0x0
	.amdhsa_kernel _ZN7rocprim17ROCPRIM_400000_NS6detail17trampoline_kernelINS0_14default_configENS1_25partition_config_selectorILNS1_17partition_subalgoE6EsNS0_10empty_typeEbEEZZNS1_14partition_implILS5_6ELb0ES3_mN6thrust23THRUST_200600_302600_NS6detail15normal_iteratorINSA_10device_ptrIsEEEEPS6_SG_NS0_5tupleIJSF_S6_EEENSH_IJSG_SG_EEES6_PlJNSB_9not_fun_tINSB_14equal_to_valueIsEEEEEEE10hipError_tPvRmT3_T4_T5_T6_T7_T9_mT8_P12ihipStream_tbDpT10_ENKUlT_T0_E_clISt17integral_constantIbLb1EES17_IbLb0EEEEDaS13_S14_EUlS13_E_NS1_11comp_targetILNS1_3genE5ELNS1_11target_archE942ELNS1_3gpuE9ELNS1_3repE0EEENS1_30default_config_static_selectorELNS0_4arch9wavefront6targetE0EEEvT1_
		.amdhsa_group_segment_fixed_size 0
		.amdhsa_private_segment_fixed_size 0
		.amdhsa_kernarg_size 112
		.amdhsa_user_sgpr_count 2
		.amdhsa_user_sgpr_dispatch_ptr 0
		.amdhsa_user_sgpr_queue_ptr 0
		.amdhsa_user_sgpr_kernarg_segment_ptr 1
		.amdhsa_user_sgpr_dispatch_id 0
		.amdhsa_user_sgpr_private_segment_size 0
		.amdhsa_wavefront_size32 1
		.amdhsa_uses_dynamic_stack 0
		.amdhsa_enable_private_segment 0
		.amdhsa_system_sgpr_workgroup_id_x 1
		.amdhsa_system_sgpr_workgroup_id_y 0
		.amdhsa_system_sgpr_workgroup_id_z 0
		.amdhsa_system_sgpr_workgroup_info 0
		.amdhsa_system_vgpr_workitem_id 0
		.amdhsa_next_free_vgpr 1
		.amdhsa_next_free_sgpr 1
		.amdhsa_reserve_vcc 0
		.amdhsa_float_round_mode_32 0
		.amdhsa_float_round_mode_16_64 0
		.amdhsa_float_denorm_mode_32 3
		.amdhsa_float_denorm_mode_16_64 3
		.amdhsa_fp16_overflow 0
		.amdhsa_workgroup_processor_mode 1
		.amdhsa_memory_ordered 1
		.amdhsa_forward_progress 1
		.amdhsa_inst_pref_size 0
		.amdhsa_round_robin_scheduling 0
		.amdhsa_exception_fp_ieee_invalid_op 0
		.amdhsa_exception_fp_denorm_src 0
		.amdhsa_exception_fp_ieee_div_zero 0
		.amdhsa_exception_fp_ieee_overflow 0
		.amdhsa_exception_fp_ieee_underflow 0
		.amdhsa_exception_fp_ieee_inexact 0
		.amdhsa_exception_int_div_zero 0
	.end_amdhsa_kernel
	.section	.text._ZN7rocprim17ROCPRIM_400000_NS6detail17trampoline_kernelINS0_14default_configENS1_25partition_config_selectorILNS1_17partition_subalgoE6EsNS0_10empty_typeEbEEZZNS1_14partition_implILS5_6ELb0ES3_mN6thrust23THRUST_200600_302600_NS6detail15normal_iteratorINSA_10device_ptrIsEEEEPS6_SG_NS0_5tupleIJSF_S6_EEENSH_IJSG_SG_EEES6_PlJNSB_9not_fun_tINSB_14equal_to_valueIsEEEEEEE10hipError_tPvRmT3_T4_T5_T6_T7_T9_mT8_P12ihipStream_tbDpT10_ENKUlT_T0_E_clISt17integral_constantIbLb1EES17_IbLb0EEEEDaS13_S14_EUlS13_E_NS1_11comp_targetILNS1_3genE5ELNS1_11target_archE942ELNS1_3gpuE9ELNS1_3repE0EEENS1_30default_config_static_selectorELNS0_4arch9wavefront6targetE0EEEvT1_,"axG",@progbits,_ZN7rocprim17ROCPRIM_400000_NS6detail17trampoline_kernelINS0_14default_configENS1_25partition_config_selectorILNS1_17partition_subalgoE6EsNS0_10empty_typeEbEEZZNS1_14partition_implILS5_6ELb0ES3_mN6thrust23THRUST_200600_302600_NS6detail15normal_iteratorINSA_10device_ptrIsEEEEPS6_SG_NS0_5tupleIJSF_S6_EEENSH_IJSG_SG_EEES6_PlJNSB_9not_fun_tINSB_14equal_to_valueIsEEEEEEE10hipError_tPvRmT3_T4_T5_T6_T7_T9_mT8_P12ihipStream_tbDpT10_ENKUlT_T0_E_clISt17integral_constantIbLb1EES17_IbLb0EEEEDaS13_S14_EUlS13_E_NS1_11comp_targetILNS1_3genE5ELNS1_11target_archE942ELNS1_3gpuE9ELNS1_3repE0EEENS1_30default_config_static_selectorELNS0_4arch9wavefront6targetE0EEEvT1_,comdat
.Lfunc_end518:
	.size	_ZN7rocprim17ROCPRIM_400000_NS6detail17trampoline_kernelINS0_14default_configENS1_25partition_config_selectorILNS1_17partition_subalgoE6EsNS0_10empty_typeEbEEZZNS1_14partition_implILS5_6ELb0ES3_mN6thrust23THRUST_200600_302600_NS6detail15normal_iteratorINSA_10device_ptrIsEEEEPS6_SG_NS0_5tupleIJSF_S6_EEENSH_IJSG_SG_EEES6_PlJNSB_9not_fun_tINSB_14equal_to_valueIsEEEEEEE10hipError_tPvRmT3_T4_T5_T6_T7_T9_mT8_P12ihipStream_tbDpT10_ENKUlT_T0_E_clISt17integral_constantIbLb1EES17_IbLb0EEEEDaS13_S14_EUlS13_E_NS1_11comp_targetILNS1_3genE5ELNS1_11target_archE942ELNS1_3gpuE9ELNS1_3repE0EEENS1_30default_config_static_selectorELNS0_4arch9wavefront6targetE0EEEvT1_, .Lfunc_end518-_ZN7rocprim17ROCPRIM_400000_NS6detail17trampoline_kernelINS0_14default_configENS1_25partition_config_selectorILNS1_17partition_subalgoE6EsNS0_10empty_typeEbEEZZNS1_14partition_implILS5_6ELb0ES3_mN6thrust23THRUST_200600_302600_NS6detail15normal_iteratorINSA_10device_ptrIsEEEEPS6_SG_NS0_5tupleIJSF_S6_EEENSH_IJSG_SG_EEES6_PlJNSB_9not_fun_tINSB_14equal_to_valueIsEEEEEEE10hipError_tPvRmT3_T4_T5_T6_T7_T9_mT8_P12ihipStream_tbDpT10_ENKUlT_T0_E_clISt17integral_constantIbLb1EES17_IbLb0EEEEDaS13_S14_EUlS13_E_NS1_11comp_targetILNS1_3genE5ELNS1_11target_archE942ELNS1_3gpuE9ELNS1_3repE0EEENS1_30default_config_static_selectorELNS0_4arch9wavefront6targetE0EEEvT1_
                                        ; -- End function
	.set _ZN7rocprim17ROCPRIM_400000_NS6detail17trampoline_kernelINS0_14default_configENS1_25partition_config_selectorILNS1_17partition_subalgoE6EsNS0_10empty_typeEbEEZZNS1_14partition_implILS5_6ELb0ES3_mN6thrust23THRUST_200600_302600_NS6detail15normal_iteratorINSA_10device_ptrIsEEEEPS6_SG_NS0_5tupleIJSF_S6_EEENSH_IJSG_SG_EEES6_PlJNSB_9not_fun_tINSB_14equal_to_valueIsEEEEEEE10hipError_tPvRmT3_T4_T5_T6_T7_T9_mT8_P12ihipStream_tbDpT10_ENKUlT_T0_E_clISt17integral_constantIbLb1EES17_IbLb0EEEEDaS13_S14_EUlS13_E_NS1_11comp_targetILNS1_3genE5ELNS1_11target_archE942ELNS1_3gpuE9ELNS1_3repE0EEENS1_30default_config_static_selectorELNS0_4arch9wavefront6targetE0EEEvT1_.num_vgpr, 0
	.set _ZN7rocprim17ROCPRIM_400000_NS6detail17trampoline_kernelINS0_14default_configENS1_25partition_config_selectorILNS1_17partition_subalgoE6EsNS0_10empty_typeEbEEZZNS1_14partition_implILS5_6ELb0ES3_mN6thrust23THRUST_200600_302600_NS6detail15normal_iteratorINSA_10device_ptrIsEEEEPS6_SG_NS0_5tupleIJSF_S6_EEENSH_IJSG_SG_EEES6_PlJNSB_9not_fun_tINSB_14equal_to_valueIsEEEEEEE10hipError_tPvRmT3_T4_T5_T6_T7_T9_mT8_P12ihipStream_tbDpT10_ENKUlT_T0_E_clISt17integral_constantIbLb1EES17_IbLb0EEEEDaS13_S14_EUlS13_E_NS1_11comp_targetILNS1_3genE5ELNS1_11target_archE942ELNS1_3gpuE9ELNS1_3repE0EEENS1_30default_config_static_selectorELNS0_4arch9wavefront6targetE0EEEvT1_.num_agpr, 0
	.set _ZN7rocprim17ROCPRIM_400000_NS6detail17trampoline_kernelINS0_14default_configENS1_25partition_config_selectorILNS1_17partition_subalgoE6EsNS0_10empty_typeEbEEZZNS1_14partition_implILS5_6ELb0ES3_mN6thrust23THRUST_200600_302600_NS6detail15normal_iteratorINSA_10device_ptrIsEEEEPS6_SG_NS0_5tupleIJSF_S6_EEENSH_IJSG_SG_EEES6_PlJNSB_9not_fun_tINSB_14equal_to_valueIsEEEEEEE10hipError_tPvRmT3_T4_T5_T6_T7_T9_mT8_P12ihipStream_tbDpT10_ENKUlT_T0_E_clISt17integral_constantIbLb1EES17_IbLb0EEEEDaS13_S14_EUlS13_E_NS1_11comp_targetILNS1_3genE5ELNS1_11target_archE942ELNS1_3gpuE9ELNS1_3repE0EEENS1_30default_config_static_selectorELNS0_4arch9wavefront6targetE0EEEvT1_.numbered_sgpr, 0
	.set _ZN7rocprim17ROCPRIM_400000_NS6detail17trampoline_kernelINS0_14default_configENS1_25partition_config_selectorILNS1_17partition_subalgoE6EsNS0_10empty_typeEbEEZZNS1_14partition_implILS5_6ELb0ES3_mN6thrust23THRUST_200600_302600_NS6detail15normal_iteratorINSA_10device_ptrIsEEEEPS6_SG_NS0_5tupleIJSF_S6_EEENSH_IJSG_SG_EEES6_PlJNSB_9not_fun_tINSB_14equal_to_valueIsEEEEEEE10hipError_tPvRmT3_T4_T5_T6_T7_T9_mT8_P12ihipStream_tbDpT10_ENKUlT_T0_E_clISt17integral_constantIbLb1EES17_IbLb0EEEEDaS13_S14_EUlS13_E_NS1_11comp_targetILNS1_3genE5ELNS1_11target_archE942ELNS1_3gpuE9ELNS1_3repE0EEENS1_30default_config_static_selectorELNS0_4arch9wavefront6targetE0EEEvT1_.num_named_barrier, 0
	.set _ZN7rocprim17ROCPRIM_400000_NS6detail17trampoline_kernelINS0_14default_configENS1_25partition_config_selectorILNS1_17partition_subalgoE6EsNS0_10empty_typeEbEEZZNS1_14partition_implILS5_6ELb0ES3_mN6thrust23THRUST_200600_302600_NS6detail15normal_iteratorINSA_10device_ptrIsEEEEPS6_SG_NS0_5tupleIJSF_S6_EEENSH_IJSG_SG_EEES6_PlJNSB_9not_fun_tINSB_14equal_to_valueIsEEEEEEE10hipError_tPvRmT3_T4_T5_T6_T7_T9_mT8_P12ihipStream_tbDpT10_ENKUlT_T0_E_clISt17integral_constantIbLb1EES17_IbLb0EEEEDaS13_S14_EUlS13_E_NS1_11comp_targetILNS1_3genE5ELNS1_11target_archE942ELNS1_3gpuE9ELNS1_3repE0EEENS1_30default_config_static_selectorELNS0_4arch9wavefront6targetE0EEEvT1_.private_seg_size, 0
	.set _ZN7rocprim17ROCPRIM_400000_NS6detail17trampoline_kernelINS0_14default_configENS1_25partition_config_selectorILNS1_17partition_subalgoE6EsNS0_10empty_typeEbEEZZNS1_14partition_implILS5_6ELb0ES3_mN6thrust23THRUST_200600_302600_NS6detail15normal_iteratorINSA_10device_ptrIsEEEEPS6_SG_NS0_5tupleIJSF_S6_EEENSH_IJSG_SG_EEES6_PlJNSB_9not_fun_tINSB_14equal_to_valueIsEEEEEEE10hipError_tPvRmT3_T4_T5_T6_T7_T9_mT8_P12ihipStream_tbDpT10_ENKUlT_T0_E_clISt17integral_constantIbLb1EES17_IbLb0EEEEDaS13_S14_EUlS13_E_NS1_11comp_targetILNS1_3genE5ELNS1_11target_archE942ELNS1_3gpuE9ELNS1_3repE0EEENS1_30default_config_static_selectorELNS0_4arch9wavefront6targetE0EEEvT1_.uses_vcc, 0
	.set _ZN7rocprim17ROCPRIM_400000_NS6detail17trampoline_kernelINS0_14default_configENS1_25partition_config_selectorILNS1_17partition_subalgoE6EsNS0_10empty_typeEbEEZZNS1_14partition_implILS5_6ELb0ES3_mN6thrust23THRUST_200600_302600_NS6detail15normal_iteratorINSA_10device_ptrIsEEEEPS6_SG_NS0_5tupleIJSF_S6_EEENSH_IJSG_SG_EEES6_PlJNSB_9not_fun_tINSB_14equal_to_valueIsEEEEEEE10hipError_tPvRmT3_T4_T5_T6_T7_T9_mT8_P12ihipStream_tbDpT10_ENKUlT_T0_E_clISt17integral_constantIbLb1EES17_IbLb0EEEEDaS13_S14_EUlS13_E_NS1_11comp_targetILNS1_3genE5ELNS1_11target_archE942ELNS1_3gpuE9ELNS1_3repE0EEENS1_30default_config_static_selectorELNS0_4arch9wavefront6targetE0EEEvT1_.uses_flat_scratch, 0
	.set _ZN7rocprim17ROCPRIM_400000_NS6detail17trampoline_kernelINS0_14default_configENS1_25partition_config_selectorILNS1_17partition_subalgoE6EsNS0_10empty_typeEbEEZZNS1_14partition_implILS5_6ELb0ES3_mN6thrust23THRUST_200600_302600_NS6detail15normal_iteratorINSA_10device_ptrIsEEEEPS6_SG_NS0_5tupleIJSF_S6_EEENSH_IJSG_SG_EEES6_PlJNSB_9not_fun_tINSB_14equal_to_valueIsEEEEEEE10hipError_tPvRmT3_T4_T5_T6_T7_T9_mT8_P12ihipStream_tbDpT10_ENKUlT_T0_E_clISt17integral_constantIbLb1EES17_IbLb0EEEEDaS13_S14_EUlS13_E_NS1_11comp_targetILNS1_3genE5ELNS1_11target_archE942ELNS1_3gpuE9ELNS1_3repE0EEENS1_30default_config_static_selectorELNS0_4arch9wavefront6targetE0EEEvT1_.has_dyn_sized_stack, 0
	.set _ZN7rocprim17ROCPRIM_400000_NS6detail17trampoline_kernelINS0_14default_configENS1_25partition_config_selectorILNS1_17partition_subalgoE6EsNS0_10empty_typeEbEEZZNS1_14partition_implILS5_6ELb0ES3_mN6thrust23THRUST_200600_302600_NS6detail15normal_iteratorINSA_10device_ptrIsEEEEPS6_SG_NS0_5tupleIJSF_S6_EEENSH_IJSG_SG_EEES6_PlJNSB_9not_fun_tINSB_14equal_to_valueIsEEEEEEE10hipError_tPvRmT3_T4_T5_T6_T7_T9_mT8_P12ihipStream_tbDpT10_ENKUlT_T0_E_clISt17integral_constantIbLb1EES17_IbLb0EEEEDaS13_S14_EUlS13_E_NS1_11comp_targetILNS1_3genE5ELNS1_11target_archE942ELNS1_3gpuE9ELNS1_3repE0EEENS1_30default_config_static_selectorELNS0_4arch9wavefront6targetE0EEEvT1_.has_recursion, 0
	.set _ZN7rocprim17ROCPRIM_400000_NS6detail17trampoline_kernelINS0_14default_configENS1_25partition_config_selectorILNS1_17partition_subalgoE6EsNS0_10empty_typeEbEEZZNS1_14partition_implILS5_6ELb0ES3_mN6thrust23THRUST_200600_302600_NS6detail15normal_iteratorINSA_10device_ptrIsEEEEPS6_SG_NS0_5tupleIJSF_S6_EEENSH_IJSG_SG_EEES6_PlJNSB_9not_fun_tINSB_14equal_to_valueIsEEEEEEE10hipError_tPvRmT3_T4_T5_T6_T7_T9_mT8_P12ihipStream_tbDpT10_ENKUlT_T0_E_clISt17integral_constantIbLb1EES17_IbLb0EEEEDaS13_S14_EUlS13_E_NS1_11comp_targetILNS1_3genE5ELNS1_11target_archE942ELNS1_3gpuE9ELNS1_3repE0EEENS1_30default_config_static_selectorELNS0_4arch9wavefront6targetE0EEEvT1_.has_indirect_call, 0
	.section	.AMDGPU.csdata,"",@progbits
; Kernel info:
; codeLenInByte = 0
; TotalNumSgprs: 0
; NumVgprs: 0
; ScratchSize: 0
; MemoryBound: 0
; FloatMode: 240
; IeeeMode: 1
; LDSByteSize: 0 bytes/workgroup (compile time only)
; SGPRBlocks: 0
; VGPRBlocks: 0
; NumSGPRsForWavesPerEU: 1
; NumVGPRsForWavesPerEU: 1
; Occupancy: 16
; WaveLimiterHint : 0
; COMPUTE_PGM_RSRC2:SCRATCH_EN: 0
; COMPUTE_PGM_RSRC2:USER_SGPR: 2
; COMPUTE_PGM_RSRC2:TRAP_HANDLER: 0
; COMPUTE_PGM_RSRC2:TGID_X_EN: 1
; COMPUTE_PGM_RSRC2:TGID_Y_EN: 0
; COMPUTE_PGM_RSRC2:TGID_Z_EN: 0
; COMPUTE_PGM_RSRC2:TIDIG_COMP_CNT: 0
	.section	.text._ZN7rocprim17ROCPRIM_400000_NS6detail17trampoline_kernelINS0_14default_configENS1_25partition_config_selectorILNS1_17partition_subalgoE6EsNS0_10empty_typeEbEEZZNS1_14partition_implILS5_6ELb0ES3_mN6thrust23THRUST_200600_302600_NS6detail15normal_iteratorINSA_10device_ptrIsEEEEPS6_SG_NS0_5tupleIJSF_S6_EEENSH_IJSG_SG_EEES6_PlJNSB_9not_fun_tINSB_14equal_to_valueIsEEEEEEE10hipError_tPvRmT3_T4_T5_T6_T7_T9_mT8_P12ihipStream_tbDpT10_ENKUlT_T0_E_clISt17integral_constantIbLb1EES17_IbLb0EEEEDaS13_S14_EUlS13_E_NS1_11comp_targetILNS1_3genE4ELNS1_11target_archE910ELNS1_3gpuE8ELNS1_3repE0EEENS1_30default_config_static_selectorELNS0_4arch9wavefront6targetE0EEEvT1_,"axG",@progbits,_ZN7rocprim17ROCPRIM_400000_NS6detail17trampoline_kernelINS0_14default_configENS1_25partition_config_selectorILNS1_17partition_subalgoE6EsNS0_10empty_typeEbEEZZNS1_14partition_implILS5_6ELb0ES3_mN6thrust23THRUST_200600_302600_NS6detail15normal_iteratorINSA_10device_ptrIsEEEEPS6_SG_NS0_5tupleIJSF_S6_EEENSH_IJSG_SG_EEES6_PlJNSB_9not_fun_tINSB_14equal_to_valueIsEEEEEEE10hipError_tPvRmT3_T4_T5_T6_T7_T9_mT8_P12ihipStream_tbDpT10_ENKUlT_T0_E_clISt17integral_constantIbLb1EES17_IbLb0EEEEDaS13_S14_EUlS13_E_NS1_11comp_targetILNS1_3genE4ELNS1_11target_archE910ELNS1_3gpuE8ELNS1_3repE0EEENS1_30default_config_static_selectorELNS0_4arch9wavefront6targetE0EEEvT1_,comdat
	.protected	_ZN7rocprim17ROCPRIM_400000_NS6detail17trampoline_kernelINS0_14default_configENS1_25partition_config_selectorILNS1_17partition_subalgoE6EsNS0_10empty_typeEbEEZZNS1_14partition_implILS5_6ELb0ES3_mN6thrust23THRUST_200600_302600_NS6detail15normal_iteratorINSA_10device_ptrIsEEEEPS6_SG_NS0_5tupleIJSF_S6_EEENSH_IJSG_SG_EEES6_PlJNSB_9not_fun_tINSB_14equal_to_valueIsEEEEEEE10hipError_tPvRmT3_T4_T5_T6_T7_T9_mT8_P12ihipStream_tbDpT10_ENKUlT_T0_E_clISt17integral_constantIbLb1EES17_IbLb0EEEEDaS13_S14_EUlS13_E_NS1_11comp_targetILNS1_3genE4ELNS1_11target_archE910ELNS1_3gpuE8ELNS1_3repE0EEENS1_30default_config_static_selectorELNS0_4arch9wavefront6targetE0EEEvT1_ ; -- Begin function _ZN7rocprim17ROCPRIM_400000_NS6detail17trampoline_kernelINS0_14default_configENS1_25partition_config_selectorILNS1_17partition_subalgoE6EsNS0_10empty_typeEbEEZZNS1_14partition_implILS5_6ELb0ES3_mN6thrust23THRUST_200600_302600_NS6detail15normal_iteratorINSA_10device_ptrIsEEEEPS6_SG_NS0_5tupleIJSF_S6_EEENSH_IJSG_SG_EEES6_PlJNSB_9not_fun_tINSB_14equal_to_valueIsEEEEEEE10hipError_tPvRmT3_T4_T5_T6_T7_T9_mT8_P12ihipStream_tbDpT10_ENKUlT_T0_E_clISt17integral_constantIbLb1EES17_IbLb0EEEEDaS13_S14_EUlS13_E_NS1_11comp_targetILNS1_3genE4ELNS1_11target_archE910ELNS1_3gpuE8ELNS1_3repE0EEENS1_30default_config_static_selectorELNS0_4arch9wavefront6targetE0EEEvT1_
	.globl	_ZN7rocprim17ROCPRIM_400000_NS6detail17trampoline_kernelINS0_14default_configENS1_25partition_config_selectorILNS1_17partition_subalgoE6EsNS0_10empty_typeEbEEZZNS1_14partition_implILS5_6ELb0ES3_mN6thrust23THRUST_200600_302600_NS6detail15normal_iteratorINSA_10device_ptrIsEEEEPS6_SG_NS0_5tupleIJSF_S6_EEENSH_IJSG_SG_EEES6_PlJNSB_9not_fun_tINSB_14equal_to_valueIsEEEEEEE10hipError_tPvRmT3_T4_T5_T6_T7_T9_mT8_P12ihipStream_tbDpT10_ENKUlT_T0_E_clISt17integral_constantIbLb1EES17_IbLb0EEEEDaS13_S14_EUlS13_E_NS1_11comp_targetILNS1_3genE4ELNS1_11target_archE910ELNS1_3gpuE8ELNS1_3repE0EEENS1_30default_config_static_selectorELNS0_4arch9wavefront6targetE0EEEvT1_
	.p2align	8
	.type	_ZN7rocprim17ROCPRIM_400000_NS6detail17trampoline_kernelINS0_14default_configENS1_25partition_config_selectorILNS1_17partition_subalgoE6EsNS0_10empty_typeEbEEZZNS1_14partition_implILS5_6ELb0ES3_mN6thrust23THRUST_200600_302600_NS6detail15normal_iteratorINSA_10device_ptrIsEEEEPS6_SG_NS0_5tupleIJSF_S6_EEENSH_IJSG_SG_EEES6_PlJNSB_9not_fun_tINSB_14equal_to_valueIsEEEEEEE10hipError_tPvRmT3_T4_T5_T6_T7_T9_mT8_P12ihipStream_tbDpT10_ENKUlT_T0_E_clISt17integral_constantIbLb1EES17_IbLb0EEEEDaS13_S14_EUlS13_E_NS1_11comp_targetILNS1_3genE4ELNS1_11target_archE910ELNS1_3gpuE8ELNS1_3repE0EEENS1_30default_config_static_selectorELNS0_4arch9wavefront6targetE0EEEvT1_,@function
_ZN7rocprim17ROCPRIM_400000_NS6detail17trampoline_kernelINS0_14default_configENS1_25partition_config_selectorILNS1_17partition_subalgoE6EsNS0_10empty_typeEbEEZZNS1_14partition_implILS5_6ELb0ES3_mN6thrust23THRUST_200600_302600_NS6detail15normal_iteratorINSA_10device_ptrIsEEEEPS6_SG_NS0_5tupleIJSF_S6_EEENSH_IJSG_SG_EEES6_PlJNSB_9not_fun_tINSB_14equal_to_valueIsEEEEEEE10hipError_tPvRmT3_T4_T5_T6_T7_T9_mT8_P12ihipStream_tbDpT10_ENKUlT_T0_E_clISt17integral_constantIbLb1EES17_IbLb0EEEEDaS13_S14_EUlS13_E_NS1_11comp_targetILNS1_3genE4ELNS1_11target_archE910ELNS1_3gpuE8ELNS1_3repE0EEENS1_30default_config_static_selectorELNS0_4arch9wavefront6targetE0EEEvT1_: ; @_ZN7rocprim17ROCPRIM_400000_NS6detail17trampoline_kernelINS0_14default_configENS1_25partition_config_selectorILNS1_17partition_subalgoE6EsNS0_10empty_typeEbEEZZNS1_14partition_implILS5_6ELb0ES3_mN6thrust23THRUST_200600_302600_NS6detail15normal_iteratorINSA_10device_ptrIsEEEEPS6_SG_NS0_5tupleIJSF_S6_EEENSH_IJSG_SG_EEES6_PlJNSB_9not_fun_tINSB_14equal_to_valueIsEEEEEEE10hipError_tPvRmT3_T4_T5_T6_T7_T9_mT8_P12ihipStream_tbDpT10_ENKUlT_T0_E_clISt17integral_constantIbLb1EES17_IbLb0EEEEDaS13_S14_EUlS13_E_NS1_11comp_targetILNS1_3genE4ELNS1_11target_archE910ELNS1_3gpuE8ELNS1_3repE0EEENS1_30default_config_static_selectorELNS0_4arch9wavefront6targetE0EEEvT1_
; %bb.0:
	.section	.rodata,"a",@progbits
	.p2align	6, 0x0
	.amdhsa_kernel _ZN7rocprim17ROCPRIM_400000_NS6detail17trampoline_kernelINS0_14default_configENS1_25partition_config_selectorILNS1_17partition_subalgoE6EsNS0_10empty_typeEbEEZZNS1_14partition_implILS5_6ELb0ES3_mN6thrust23THRUST_200600_302600_NS6detail15normal_iteratorINSA_10device_ptrIsEEEEPS6_SG_NS0_5tupleIJSF_S6_EEENSH_IJSG_SG_EEES6_PlJNSB_9not_fun_tINSB_14equal_to_valueIsEEEEEEE10hipError_tPvRmT3_T4_T5_T6_T7_T9_mT8_P12ihipStream_tbDpT10_ENKUlT_T0_E_clISt17integral_constantIbLb1EES17_IbLb0EEEEDaS13_S14_EUlS13_E_NS1_11comp_targetILNS1_3genE4ELNS1_11target_archE910ELNS1_3gpuE8ELNS1_3repE0EEENS1_30default_config_static_selectorELNS0_4arch9wavefront6targetE0EEEvT1_
		.amdhsa_group_segment_fixed_size 0
		.amdhsa_private_segment_fixed_size 0
		.amdhsa_kernarg_size 112
		.amdhsa_user_sgpr_count 2
		.amdhsa_user_sgpr_dispatch_ptr 0
		.amdhsa_user_sgpr_queue_ptr 0
		.amdhsa_user_sgpr_kernarg_segment_ptr 1
		.amdhsa_user_sgpr_dispatch_id 0
		.amdhsa_user_sgpr_private_segment_size 0
		.amdhsa_wavefront_size32 1
		.amdhsa_uses_dynamic_stack 0
		.amdhsa_enable_private_segment 0
		.amdhsa_system_sgpr_workgroup_id_x 1
		.amdhsa_system_sgpr_workgroup_id_y 0
		.amdhsa_system_sgpr_workgroup_id_z 0
		.amdhsa_system_sgpr_workgroup_info 0
		.amdhsa_system_vgpr_workitem_id 0
		.amdhsa_next_free_vgpr 1
		.amdhsa_next_free_sgpr 1
		.amdhsa_reserve_vcc 0
		.amdhsa_float_round_mode_32 0
		.amdhsa_float_round_mode_16_64 0
		.amdhsa_float_denorm_mode_32 3
		.amdhsa_float_denorm_mode_16_64 3
		.amdhsa_fp16_overflow 0
		.amdhsa_workgroup_processor_mode 1
		.amdhsa_memory_ordered 1
		.amdhsa_forward_progress 1
		.amdhsa_inst_pref_size 0
		.amdhsa_round_robin_scheduling 0
		.amdhsa_exception_fp_ieee_invalid_op 0
		.amdhsa_exception_fp_denorm_src 0
		.amdhsa_exception_fp_ieee_div_zero 0
		.amdhsa_exception_fp_ieee_overflow 0
		.amdhsa_exception_fp_ieee_underflow 0
		.amdhsa_exception_fp_ieee_inexact 0
		.amdhsa_exception_int_div_zero 0
	.end_amdhsa_kernel
	.section	.text._ZN7rocprim17ROCPRIM_400000_NS6detail17trampoline_kernelINS0_14default_configENS1_25partition_config_selectorILNS1_17partition_subalgoE6EsNS0_10empty_typeEbEEZZNS1_14partition_implILS5_6ELb0ES3_mN6thrust23THRUST_200600_302600_NS6detail15normal_iteratorINSA_10device_ptrIsEEEEPS6_SG_NS0_5tupleIJSF_S6_EEENSH_IJSG_SG_EEES6_PlJNSB_9not_fun_tINSB_14equal_to_valueIsEEEEEEE10hipError_tPvRmT3_T4_T5_T6_T7_T9_mT8_P12ihipStream_tbDpT10_ENKUlT_T0_E_clISt17integral_constantIbLb1EES17_IbLb0EEEEDaS13_S14_EUlS13_E_NS1_11comp_targetILNS1_3genE4ELNS1_11target_archE910ELNS1_3gpuE8ELNS1_3repE0EEENS1_30default_config_static_selectorELNS0_4arch9wavefront6targetE0EEEvT1_,"axG",@progbits,_ZN7rocprim17ROCPRIM_400000_NS6detail17trampoline_kernelINS0_14default_configENS1_25partition_config_selectorILNS1_17partition_subalgoE6EsNS0_10empty_typeEbEEZZNS1_14partition_implILS5_6ELb0ES3_mN6thrust23THRUST_200600_302600_NS6detail15normal_iteratorINSA_10device_ptrIsEEEEPS6_SG_NS0_5tupleIJSF_S6_EEENSH_IJSG_SG_EEES6_PlJNSB_9not_fun_tINSB_14equal_to_valueIsEEEEEEE10hipError_tPvRmT3_T4_T5_T6_T7_T9_mT8_P12ihipStream_tbDpT10_ENKUlT_T0_E_clISt17integral_constantIbLb1EES17_IbLb0EEEEDaS13_S14_EUlS13_E_NS1_11comp_targetILNS1_3genE4ELNS1_11target_archE910ELNS1_3gpuE8ELNS1_3repE0EEENS1_30default_config_static_selectorELNS0_4arch9wavefront6targetE0EEEvT1_,comdat
.Lfunc_end519:
	.size	_ZN7rocprim17ROCPRIM_400000_NS6detail17trampoline_kernelINS0_14default_configENS1_25partition_config_selectorILNS1_17partition_subalgoE6EsNS0_10empty_typeEbEEZZNS1_14partition_implILS5_6ELb0ES3_mN6thrust23THRUST_200600_302600_NS6detail15normal_iteratorINSA_10device_ptrIsEEEEPS6_SG_NS0_5tupleIJSF_S6_EEENSH_IJSG_SG_EEES6_PlJNSB_9not_fun_tINSB_14equal_to_valueIsEEEEEEE10hipError_tPvRmT3_T4_T5_T6_T7_T9_mT8_P12ihipStream_tbDpT10_ENKUlT_T0_E_clISt17integral_constantIbLb1EES17_IbLb0EEEEDaS13_S14_EUlS13_E_NS1_11comp_targetILNS1_3genE4ELNS1_11target_archE910ELNS1_3gpuE8ELNS1_3repE0EEENS1_30default_config_static_selectorELNS0_4arch9wavefront6targetE0EEEvT1_, .Lfunc_end519-_ZN7rocprim17ROCPRIM_400000_NS6detail17trampoline_kernelINS0_14default_configENS1_25partition_config_selectorILNS1_17partition_subalgoE6EsNS0_10empty_typeEbEEZZNS1_14partition_implILS5_6ELb0ES3_mN6thrust23THRUST_200600_302600_NS6detail15normal_iteratorINSA_10device_ptrIsEEEEPS6_SG_NS0_5tupleIJSF_S6_EEENSH_IJSG_SG_EEES6_PlJNSB_9not_fun_tINSB_14equal_to_valueIsEEEEEEE10hipError_tPvRmT3_T4_T5_T6_T7_T9_mT8_P12ihipStream_tbDpT10_ENKUlT_T0_E_clISt17integral_constantIbLb1EES17_IbLb0EEEEDaS13_S14_EUlS13_E_NS1_11comp_targetILNS1_3genE4ELNS1_11target_archE910ELNS1_3gpuE8ELNS1_3repE0EEENS1_30default_config_static_selectorELNS0_4arch9wavefront6targetE0EEEvT1_
                                        ; -- End function
	.set _ZN7rocprim17ROCPRIM_400000_NS6detail17trampoline_kernelINS0_14default_configENS1_25partition_config_selectorILNS1_17partition_subalgoE6EsNS0_10empty_typeEbEEZZNS1_14partition_implILS5_6ELb0ES3_mN6thrust23THRUST_200600_302600_NS6detail15normal_iteratorINSA_10device_ptrIsEEEEPS6_SG_NS0_5tupleIJSF_S6_EEENSH_IJSG_SG_EEES6_PlJNSB_9not_fun_tINSB_14equal_to_valueIsEEEEEEE10hipError_tPvRmT3_T4_T5_T6_T7_T9_mT8_P12ihipStream_tbDpT10_ENKUlT_T0_E_clISt17integral_constantIbLb1EES17_IbLb0EEEEDaS13_S14_EUlS13_E_NS1_11comp_targetILNS1_3genE4ELNS1_11target_archE910ELNS1_3gpuE8ELNS1_3repE0EEENS1_30default_config_static_selectorELNS0_4arch9wavefront6targetE0EEEvT1_.num_vgpr, 0
	.set _ZN7rocprim17ROCPRIM_400000_NS6detail17trampoline_kernelINS0_14default_configENS1_25partition_config_selectorILNS1_17partition_subalgoE6EsNS0_10empty_typeEbEEZZNS1_14partition_implILS5_6ELb0ES3_mN6thrust23THRUST_200600_302600_NS6detail15normal_iteratorINSA_10device_ptrIsEEEEPS6_SG_NS0_5tupleIJSF_S6_EEENSH_IJSG_SG_EEES6_PlJNSB_9not_fun_tINSB_14equal_to_valueIsEEEEEEE10hipError_tPvRmT3_T4_T5_T6_T7_T9_mT8_P12ihipStream_tbDpT10_ENKUlT_T0_E_clISt17integral_constantIbLb1EES17_IbLb0EEEEDaS13_S14_EUlS13_E_NS1_11comp_targetILNS1_3genE4ELNS1_11target_archE910ELNS1_3gpuE8ELNS1_3repE0EEENS1_30default_config_static_selectorELNS0_4arch9wavefront6targetE0EEEvT1_.num_agpr, 0
	.set _ZN7rocprim17ROCPRIM_400000_NS6detail17trampoline_kernelINS0_14default_configENS1_25partition_config_selectorILNS1_17partition_subalgoE6EsNS0_10empty_typeEbEEZZNS1_14partition_implILS5_6ELb0ES3_mN6thrust23THRUST_200600_302600_NS6detail15normal_iteratorINSA_10device_ptrIsEEEEPS6_SG_NS0_5tupleIJSF_S6_EEENSH_IJSG_SG_EEES6_PlJNSB_9not_fun_tINSB_14equal_to_valueIsEEEEEEE10hipError_tPvRmT3_T4_T5_T6_T7_T9_mT8_P12ihipStream_tbDpT10_ENKUlT_T0_E_clISt17integral_constantIbLb1EES17_IbLb0EEEEDaS13_S14_EUlS13_E_NS1_11comp_targetILNS1_3genE4ELNS1_11target_archE910ELNS1_3gpuE8ELNS1_3repE0EEENS1_30default_config_static_selectorELNS0_4arch9wavefront6targetE0EEEvT1_.numbered_sgpr, 0
	.set _ZN7rocprim17ROCPRIM_400000_NS6detail17trampoline_kernelINS0_14default_configENS1_25partition_config_selectorILNS1_17partition_subalgoE6EsNS0_10empty_typeEbEEZZNS1_14partition_implILS5_6ELb0ES3_mN6thrust23THRUST_200600_302600_NS6detail15normal_iteratorINSA_10device_ptrIsEEEEPS6_SG_NS0_5tupleIJSF_S6_EEENSH_IJSG_SG_EEES6_PlJNSB_9not_fun_tINSB_14equal_to_valueIsEEEEEEE10hipError_tPvRmT3_T4_T5_T6_T7_T9_mT8_P12ihipStream_tbDpT10_ENKUlT_T0_E_clISt17integral_constantIbLb1EES17_IbLb0EEEEDaS13_S14_EUlS13_E_NS1_11comp_targetILNS1_3genE4ELNS1_11target_archE910ELNS1_3gpuE8ELNS1_3repE0EEENS1_30default_config_static_selectorELNS0_4arch9wavefront6targetE0EEEvT1_.num_named_barrier, 0
	.set _ZN7rocprim17ROCPRIM_400000_NS6detail17trampoline_kernelINS0_14default_configENS1_25partition_config_selectorILNS1_17partition_subalgoE6EsNS0_10empty_typeEbEEZZNS1_14partition_implILS5_6ELb0ES3_mN6thrust23THRUST_200600_302600_NS6detail15normal_iteratorINSA_10device_ptrIsEEEEPS6_SG_NS0_5tupleIJSF_S6_EEENSH_IJSG_SG_EEES6_PlJNSB_9not_fun_tINSB_14equal_to_valueIsEEEEEEE10hipError_tPvRmT3_T4_T5_T6_T7_T9_mT8_P12ihipStream_tbDpT10_ENKUlT_T0_E_clISt17integral_constantIbLb1EES17_IbLb0EEEEDaS13_S14_EUlS13_E_NS1_11comp_targetILNS1_3genE4ELNS1_11target_archE910ELNS1_3gpuE8ELNS1_3repE0EEENS1_30default_config_static_selectorELNS0_4arch9wavefront6targetE0EEEvT1_.private_seg_size, 0
	.set _ZN7rocprim17ROCPRIM_400000_NS6detail17trampoline_kernelINS0_14default_configENS1_25partition_config_selectorILNS1_17partition_subalgoE6EsNS0_10empty_typeEbEEZZNS1_14partition_implILS5_6ELb0ES3_mN6thrust23THRUST_200600_302600_NS6detail15normal_iteratorINSA_10device_ptrIsEEEEPS6_SG_NS0_5tupleIJSF_S6_EEENSH_IJSG_SG_EEES6_PlJNSB_9not_fun_tINSB_14equal_to_valueIsEEEEEEE10hipError_tPvRmT3_T4_T5_T6_T7_T9_mT8_P12ihipStream_tbDpT10_ENKUlT_T0_E_clISt17integral_constantIbLb1EES17_IbLb0EEEEDaS13_S14_EUlS13_E_NS1_11comp_targetILNS1_3genE4ELNS1_11target_archE910ELNS1_3gpuE8ELNS1_3repE0EEENS1_30default_config_static_selectorELNS0_4arch9wavefront6targetE0EEEvT1_.uses_vcc, 0
	.set _ZN7rocprim17ROCPRIM_400000_NS6detail17trampoline_kernelINS0_14default_configENS1_25partition_config_selectorILNS1_17partition_subalgoE6EsNS0_10empty_typeEbEEZZNS1_14partition_implILS5_6ELb0ES3_mN6thrust23THRUST_200600_302600_NS6detail15normal_iteratorINSA_10device_ptrIsEEEEPS6_SG_NS0_5tupleIJSF_S6_EEENSH_IJSG_SG_EEES6_PlJNSB_9not_fun_tINSB_14equal_to_valueIsEEEEEEE10hipError_tPvRmT3_T4_T5_T6_T7_T9_mT8_P12ihipStream_tbDpT10_ENKUlT_T0_E_clISt17integral_constantIbLb1EES17_IbLb0EEEEDaS13_S14_EUlS13_E_NS1_11comp_targetILNS1_3genE4ELNS1_11target_archE910ELNS1_3gpuE8ELNS1_3repE0EEENS1_30default_config_static_selectorELNS0_4arch9wavefront6targetE0EEEvT1_.uses_flat_scratch, 0
	.set _ZN7rocprim17ROCPRIM_400000_NS6detail17trampoline_kernelINS0_14default_configENS1_25partition_config_selectorILNS1_17partition_subalgoE6EsNS0_10empty_typeEbEEZZNS1_14partition_implILS5_6ELb0ES3_mN6thrust23THRUST_200600_302600_NS6detail15normal_iteratorINSA_10device_ptrIsEEEEPS6_SG_NS0_5tupleIJSF_S6_EEENSH_IJSG_SG_EEES6_PlJNSB_9not_fun_tINSB_14equal_to_valueIsEEEEEEE10hipError_tPvRmT3_T4_T5_T6_T7_T9_mT8_P12ihipStream_tbDpT10_ENKUlT_T0_E_clISt17integral_constantIbLb1EES17_IbLb0EEEEDaS13_S14_EUlS13_E_NS1_11comp_targetILNS1_3genE4ELNS1_11target_archE910ELNS1_3gpuE8ELNS1_3repE0EEENS1_30default_config_static_selectorELNS0_4arch9wavefront6targetE0EEEvT1_.has_dyn_sized_stack, 0
	.set _ZN7rocprim17ROCPRIM_400000_NS6detail17trampoline_kernelINS0_14default_configENS1_25partition_config_selectorILNS1_17partition_subalgoE6EsNS0_10empty_typeEbEEZZNS1_14partition_implILS5_6ELb0ES3_mN6thrust23THRUST_200600_302600_NS6detail15normal_iteratorINSA_10device_ptrIsEEEEPS6_SG_NS0_5tupleIJSF_S6_EEENSH_IJSG_SG_EEES6_PlJNSB_9not_fun_tINSB_14equal_to_valueIsEEEEEEE10hipError_tPvRmT3_T4_T5_T6_T7_T9_mT8_P12ihipStream_tbDpT10_ENKUlT_T0_E_clISt17integral_constantIbLb1EES17_IbLb0EEEEDaS13_S14_EUlS13_E_NS1_11comp_targetILNS1_3genE4ELNS1_11target_archE910ELNS1_3gpuE8ELNS1_3repE0EEENS1_30default_config_static_selectorELNS0_4arch9wavefront6targetE0EEEvT1_.has_recursion, 0
	.set _ZN7rocprim17ROCPRIM_400000_NS6detail17trampoline_kernelINS0_14default_configENS1_25partition_config_selectorILNS1_17partition_subalgoE6EsNS0_10empty_typeEbEEZZNS1_14partition_implILS5_6ELb0ES3_mN6thrust23THRUST_200600_302600_NS6detail15normal_iteratorINSA_10device_ptrIsEEEEPS6_SG_NS0_5tupleIJSF_S6_EEENSH_IJSG_SG_EEES6_PlJNSB_9not_fun_tINSB_14equal_to_valueIsEEEEEEE10hipError_tPvRmT3_T4_T5_T6_T7_T9_mT8_P12ihipStream_tbDpT10_ENKUlT_T0_E_clISt17integral_constantIbLb1EES17_IbLb0EEEEDaS13_S14_EUlS13_E_NS1_11comp_targetILNS1_3genE4ELNS1_11target_archE910ELNS1_3gpuE8ELNS1_3repE0EEENS1_30default_config_static_selectorELNS0_4arch9wavefront6targetE0EEEvT1_.has_indirect_call, 0
	.section	.AMDGPU.csdata,"",@progbits
; Kernel info:
; codeLenInByte = 0
; TotalNumSgprs: 0
; NumVgprs: 0
; ScratchSize: 0
; MemoryBound: 0
; FloatMode: 240
; IeeeMode: 1
; LDSByteSize: 0 bytes/workgroup (compile time only)
; SGPRBlocks: 0
; VGPRBlocks: 0
; NumSGPRsForWavesPerEU: 1
; NumVGPRsForWavesPerEU: 1
; Occupancy: 16
; WaveLimiterHint : 0
; COMPUTE_PGM_RSRC2:SCRATCH_EN: 0
; COMPUTE_PGM_RSRC2:USER_SGPR: 2
; COMPUTE_PGM_RSRC2:TRAP_HANDLER: 0
; COMPUTE_PGM_RSRC2:TGID_X_EN: 1
; COMPUTE_PGM_RSRC2:TGID_Y_EN: 0
; COMPUTE_PGM_RSRC2:TGID_Z_EN: 0
; COMPUTE_PGM_RSRC2:TIDIG_COMP_CNT: 0
	.section	.text._ZN7rocprim17ROCPRIM_400000_NS6detail17trampoline_kernelINS0_14default_configENS1_25partition_config_selectorILNS1_17partition_subalgoE6EsNS0_10empty_typeEbEEZZNS1_14partition_implILS5_6ELb0ES3_mN6thrust23THRUST_200600_302600_NS6detail15normal_iteratorINSA_10device_ptrIsEEEEPS6_SG_NS0_5tupleIJSF_S6_EEENSH_IJSG_SG_EEES6_PlJNSB_9not_fun_tINSB_14equal_to_valueIsEEEEEEE10hipError_tPvRmT3_T4_T5_T6_T7_T9_mT8_P12ihipStream_tbDpT10_ENKUlT_T0_E_clISt17integral_constantIbLb1EES17_IbLb0EEEEDaS13_S14_EUlS13_E_NS1_11comp_targetILNS1_3genE3ELNS1_11target_archE908ELNS1_3gpuE7ELNS1_3repE0EEENS1_30default_config_static_selectorELNS0_4arch9wavefront6targetE0EEEvT1_,"axG",@progbits,_ZN7rocprim17ROCPRIM_400000_NS6detail17trampoline_kernelINS0_14default_configENS1_25partition_config_selectorILNS1_17partition_subalgoE6EsNS0_10empty_typeEbEEZZNS1_14partition_implILS5_6ELb0ES3_mN6thrust23THRUST_200600_302600_NS6detail15normal_iteratorINSA_10device_ptrIsEEEEPS6_SG_NS0_5tupleIJSF_S6_EEENSH_IJSG_SG_EEES6_PlJNSB_9not_fun_tINSB_14equal_to_valueIsEEEEEEE10hipError_tPvRmT3_T4_T5_T6_T7_T9_mT8_P12ihipStream_tbDpT10_ENKUlT_T0_E_clISt17integral_constantIbLb1EES17_IbLb0EEEEDaS13_S14_EUlS13_E_NS1_11comp_targetILNS1_3genE3ELNS1_11target_archE908ELNS1_3gpuE7ELNS1_3repE0EEENS1_30default_config_static_selectorELNS0_4arch9wavefront6targetE0EEEvT1_,comdat
	.protected	_ZN7rocprim17ROCPRIM_400000_NS6detail17trampoline_kernelINS0_14default_configENS1_25partition_config_selectorILNS1_17partition_subalgoE6EsNS0_10empty_typeEbEEZZNS1_14partition_implILS5_6ELb0ES3_mN6thrust23THRUST_200600_302600_NS6detail15normal_iteratorINSA_10device_ptrIsEEEEPS6_SG_NS0_5tupleIJSF_S6_EEENSH_IJSG_SG_EEES6_PlJNSB_9not_fun_tINSB_14equal_to_valueIsEEEEEEE10hipError_tPvRmT3_T4_T5_T6_T7_T9_mT8_P12ihipStream_tbDpT10_ENKUlT_T0_E_clISt17integral_constantIbLb1EES17_IbLb0EEEEDaS13_S14_EUlS13_E_NS1_11comp_targetILNS1_3genE3ELNS1_11target_archE908ELNS1_3gpuE7ELNS1_3repE0EEENS1_30default_config_static_selectorELNS0_4arch9wavefront6targetE0EEEvT1_ ; -- Begin function _ZN7rocprim17ROCPRIM_400000_NS6detail17trampoline_kernelINS0_14default_configENS1_25partition_config_selectorILNS1_17partition_subalgoE6EsNS0_10empty_typeEbEEZZNS1_14partition_implILS5_6ELb0ES3_mN6thrust23THRUST_200600_302600_NS6detail15normal_iteratorINSA_10device_ptrIsEEEEPS6_SG_NS0_5tupleIJSF_S6_EEENSH_IJSG_SG_EEES6_PlJNSB_9not_fun_tINSB_14equal_to_valueIsEEEEEEE10hipError_tPvRmT3_T4_T5_T6_T7_T9_mT8_P12ihipStream_tbDpT10_ENKUlT_T0_E_clISt17integral_constantIbLb1EES17_IbLb0EEEEDaS13_S14_EUlS13_E_NS1_11comp_targetILNS1_3genE3ELNS1_11target_archE908ELNS1_3gpuE7ELNS1_3repE0EEENS1_30default_config_static_selectorELNS0_4arch9wavefront6targetE0EEEvT1_
	.globl	_ZN7rocprim17ROCPRIM_400000_NS6detail17trampoline_kernelINS0_14default_configENS1_25partition_config_selectorILNS1_17partition_subalgoE6EsNS0_10empty_typeEbEEZZNS1_14partition_implILS5_6ELb0ES3_mN6thrust23THRUST_200600_302600_NS6detail15normal_iteratorINSA_10device_ptrIsEEEEPS6_SG_NS0_5tupleIJSF_S6_EEENSH_IJSG_SG_EEES6_PlJNSB_9not_fun_tINSB_14equal_to_valueIsEEEEEEE10hipError_tPvRmT3_T4_T5_T6_T7_T9_mT8_P12ihipStream_tbDpT10_ENKUlT_T0_E_clISt17integral_constantIbLb1EES17_IbLb0EEEEDaS13_S14_EUlS13_E_NS1_11comp_targetILNS1_3genE3ELNS1_11target_archE908ELNS1_3gpuE7ELNS1_3repE0EEENS1_30default_config_static_selectorELNS0_4arch9wavefront6targetE0EEEvT1_
	.p2align	8
	.type	_ZN7rocprim17ROCPRIM_400000_NS6detail17trampoline_kernelINS0_14default_configENS1_25partition_config_selectorILNS1_17partition_subalgoE6EsNS0_10empty_typeEbEEZZNS1_14partition_implILS5_6ELb0ES3_mN6thrust23THRUST_200600_302600_NS6detail15normal_iteratorINSA_10device_ptrIsEEEEPS6_SG_NS0_5tupleIJSF_S6_EEENSH_IJSG_SG_EEES6_PlJNSB_9not_fun_tINSB_14equal_to_valueIsEEEEEEE10hipError_tPvRmT3_T4_T5_T6_T7_T9_mT8_P12ihipStream_tbDpT10_ENKUlT_T0_E_clISt17integral_constantIbLb1EES17_IbLb0EEEEDaS13_S14_EUlS13_E_NS1_11comp_targetILNS1_3genE3ELNS1_11target_archE908ELNS1_3gpuE7ELNS1_3repE0EEENS1_30default_config_static_selectorELNS0_4arch9wavefront6targetE0EEEvT1_,@function
_ZN7rocprim17ROCPRIM_400000_NS6detail17trampoline_kernelINS0_14default_configENS1_25partition_config_selectorILNS1_17partition_subalgoE6EsNS0_10empty_typeEbEEZZNS1_14partition_implILS5_6ELb0ES3_mN6thrust23THRUST_200600_302600_NS6detail15normal_iteratorINSA_10device_ptrIsEEEEPS6_SG_NS0_5tupleIJSF_S6_EEENSH_IJSG_SG_EEES6_PlJNSB_9not_fun_tINSB_14equal_to_valueIsEEEEEEE10hipError_tPvRmT3_T4_T5_T6_T7_T9_mT8_P12ihipStream_tbDpT10_ENKUlT_T0_E_clISt17integral_constantIbLb1EES17_IbLb0EEEEDaS13_S14_EUlS13_E_NS1_11comp_targetILNS1_3genE3ELNS1_11target_archE908ELNS1_3gpuE7ELNS1_3repE0EEENS1_30default_config_static_selectorELNS0_4arch9wavefront6targetE0EEEvT1_: ; @_ZN7rocprim17ROCPRIM_400000_NS6detail17trampoline_kernelINS0_14default_configENS1_25partition_config_selectorILNS1_17partition_subalgoE6EsNS0_10empty_typeEbEEZZNS1_14partition_implILS5_6ELb0ES3_mN6thrust23THRUST_200600_302600_NS6detail15normal_iteratorINSA_10device_ptrIsEEEEPS6_SG_NS0_5tupleIJSF_S6_EEENSH_IJSG_SG_EEES6_PlJNSB_9not_fun_tINSB_14equal_to_valueIsEEEEEEE10hipError_tPvRmT3_T4_T5_T6_T7_T9_mT8_P12ihipStream_tbDpT10_ENKUlT_T0_E_clISt17integral_constantIbLb1EES17_IbLb0EEEEDaS13_S14_EUlS13_E_NS1_11comp_targetILNS1_3genE3ELNS1_11target_archE908ELNS1_3gpuE7ELNS1_3repE0EEENS1_30default_config_static_selectorELNS0_4arch9wavefront6targetE0EEEvT1_
; %bb.0:
	.section	.rodata,"a",@progbits
	.p2align	6, 0x0
	.amdhsa_kernel _ZN7rocprim17ROCPRIM_400000_NS6detail17trampoline_kernelINS0_14default_configENS1_25partition_config_selectorILNS1_17partition_subalgoE6EsNS0_10empty_typeEbEEZZNS1_14partition_implILS5_6ELb0ES3_mN6thrust23THRUST_200600_302600_NS6detail15normal_iteratorINSA_10device_ptrIsEEEEPS6_SG_NS0_5tupleIJSF_S6_EEENSH_IJSG_SG_EEES6_PlJNSB_9not_fun_tINSB_14equal_to_valueIsEEEEEEE10hipError_tPvRmT3_T4_T5_T6_T7_T9_mT8_P12ihipStream_tbDpT10_ENKUlT_T0_E_clISt17integral_constantIbLb1EES17_IbLb0EEEEDaS13_S14_EUlS13_E_NS1_11comp_targetILNS1_3genE3ELNS1_11target_archE908ELNS1_3gpuE7ELNS1_3repE0EEENS1_30default_config_static_selectorELNS0_4arch9wavefront6targetE0EEEvT1_
		.amdhsa_group_segment_fixed_size 0
		.amdhsa_private_segment_fixed_size 0
		.amdhsa_kernarg_size 112
		.amdhsa_user_sgpr_count 2
		.amdhsa_user_sgpr_dispatch_ptr 0
		.amdhsa_user_sgpr_queue_ptr 0
		.amdhsa_user_sgpr_kernarg_segment_ptr 1
		.amdhsa_user_sgpr_dispatch_id 0
		.amdhsa_user_sgpr_private_segment_size 0
		.amdhsa_wavefront_size32 1
		.amdhsa_uses_dynamic_stack 0
		.amdhsa_enable_private_segment 0
		.amdhsa_system_sgpr_workgroup_id_x 1
		.amdhsa_system_sgpr_workgroup_id_y 0
		.amdhsa_system_sgpr_workgroup_id_z 0
		.amdhsa_system_sgpr_workgroup_info 0
		.amdhsa_system_vgpr_workitem_id 0
		.amdhsa_next_free_vgpr 1
		.amdhsa_next_free_sgpr 1
		.amdhsa_reserve_vcc 0
		.amdhsa_float_round_mode_32 0
		.amdhsa_float_round_mode_16_64 0
		.amdhsa_float_denorm_mode_32 3
		.amdhsa_float_denorm_mode_16_64 3
		.amdhsa_fp16_overflow 0
		.amdhsa_workgroup_processor_mode 1
		.amdhsa_memory_ordered 1
		.amdhsa_forward_progress 1
		.amdhsa_inst_pref_size 0
		.amdhsa_round_robin_scheduling 0
		.amdhsa_exception_fp_ieee_invalid_op 0
		.amdhsa_exception_fp_denorm_src 0
		.amdhsa_exception_fp_ieee_div_zero 0
		.amdhsa_exception_fp_ieee_overflow 0
		.amdhsa_exception_fp_ieee_underflow 0
		.amdhsa_exception_fp_ieee_inexact 0
		.amdhsa_exception_int_div_zero 0
	.end_amdhsa_kernel
	.section	.text._ZN7rocprim17ROCPRIM_400000_NS6detail17trampoline_kernelINS0_14default_configENS1_25partition_config_selectorILNS1_17partition_subalgoE6EsNS0_10empty_typeEbEEZZNS1_14partition_implILS5_6ELb0ES3_mN6thrust23THRUST_200600_302600_NS6detail15normal_iteratorINSA_10device_ptrIsEEEEPS6_SG_NS0_5tupleIJSF_S6_EEENSH_IJSG_SG_EEES6_PlJNSB_9not_fun_tINSB_14equal_to_valueIsEEEEEEE10hipError_tPvRmT3_T4_T5_T6_T7_T9_mT8_P12ihipStream_tbDpT10_ENKUlT_T0_E_clISt17integral_constantIbLb1EES17_IbLb0EEEEDaS13_S14_EUlS13_E_NS1_11comp_targetILNS1_3genE3ELNS1_11target_archE908ELNS1_3gpuE7ELNS1_3repE0EEENS1_30default_config_static_selectorELNS0_4arch9wavefront6targetE0EEEvT1_,"axG",@progbits,_ZN7rocprim17ROCPRIM_400000_NS6detail17trampoline_kernelINS0_14default_configENS1_25partition_config_selectorILNS1_17partition_subalgoE6EsNS0_10empty_typeEbEEZZNS1_14partition_implILS5_6ELb0ES3_mN6thrust23THRUST_200600_302600_NS6detail15normal_iteratorINSA_10device_ptrIsEEEEPS6_SG_NS0_5tupleIJSF_S6_EEENSH_IJSG_SG_EEES6_PlJNSB_9not_fun_tINSB_14equal_to_valueIsEEEEEEE10hipError_tPvRmT3_T4_T5_T6_T7_T9_mT8_P12ihipStream_tbDpT10_ENKUlT_T0_E_clISt17integral_constantIbLb1EES17_IbLb0EEEEDaS13_S14_EUlS13_E_NS1_11comp_targetILNS1_3genE3ELNS1_11target_archE908ELNS1_3gpuE7ELNS1_3repE0EEENS1_30default_config_static_selectorELNS0_4arch9wavefront6targetE0EEEvT1_,comdat
.Lfunc_end520:
	.size	_ZN7rocprim17ROCPRIM_400000_NS6detail17trampoline_kernelINS0_14default_configENS1_25partition_config_selectorILNS1_17partition_subalgoE6EsNS0_10empty_typeEbEEZZNS1_14partition_implILS5_6ELb0ES3_mN6thrust23THRUST_200600_302600_NS6detail15normal_iteratorINSA_10device_ptrIsEEEEPS6_SG_NS0_5tupleIJSF_S6_EEENSH_IJSG_SG_EEES6_PlJNSB_9not_fun_tINSB_14equal_to_valueIsEEEEEEE10hipError_tPvRmT3_T4_T5_T6_T7_T9_mT8_P12ihipStream_tbDpT10_ENKUlT_T0_E_clISt17integral_constantIbLb1EES17_IbLb0EEEEDaS13_S14_EUlS13_E_NS1_11comp_targetILNS1_3genE3ELNS1_11target_archE908ELNS1_3gpuE7ELNS1_3repE0EEENS1_30default_config_static_selectorELNS0_4arch9wavefront6targetE0EEEvT1_, .Lfunc_end520-_ZN7rocprim17ROCPRIM_400000_NS6detail17trampoline_kernelINS0_14default_configENS1_25partition_config_selectorILNS1_17partition_subalgoE6EsNS0_10empty_typeEbEEZZNS1_14partition_implILS5_6ELb0ES3_mN6thrust23THRUST_200600_302600_NS6detail15normal_iteratorINSA_10device_ptrIsEEEEPS6_SG_NS0_5tupleIJSF_S6_EEENSH_IJSG_SG_EEES6_PlJNSB_9not_fun_tINSB_14equal_to_valueIsEEEEEEE10hipError_tPvRmT3_T4_T5_T6_T7_T9_mT8_P12ihipStream_tbDpT10_ENKUlT_T0_E_clISt17integral_constantIbLb1EES17_IbLb0EEEEDaS13_S14_EUlS13_E_NS1_11comp_targetILNS1_3genE3ELNS1_11target_archE908ELNS1_3gpuE7ELNS1_3repE0EEENS1_30default_config_static_selectorELNS0_4arch9wavefront6targetE0EEEvT1_
                                        ; -- End function
	.set _ZN7rocprim17ROCPRIM_400000_NS6detail17trampoline_kernelINS0_14default_configENS1_25partition_config_selectorILNS1_17partition_subalgoE6EsNS0_10empty_typeEbEEZZNS1_14partition_implILS5_6ELb0ES3_mN6thrust23THRUST_200600_302600_NS6detail15normal_iteratorINSA_10device_ptrIsEEEEPS6_SG_NS0_5tupleIJSF_S6_EEENSH_IJSG_SG_EEES6_PlJNSB_9not_fun_tINSB_14equal_to_valueIsEEEEEEE10hipError_tPvRmT3_T4_T5_T6_T7_T9_mT8_P12ihipStream_tbDpT10_ENKUlT_T0_E_clISt17integral_constantIbLb1EES17_IbLb0EEEEDaS13_S14_EUlS13_E_NS1_11comp_targetILNS1_3genE3ELNS1_11target_archE908ELNS1_3gpuE7ELNS1_3repE0EEENS1_30default_config_static_selectorELNS0_4arch9wavefront6targetE0EEEvT1_.num_vgpr, 0
	.set _ZN7rocprim17ROCPRIM_400000_NS6detail17trampoline_kernelINS0_14default_configENS1_25partition_config_selectorILNS1_17partition_subalgoE6EsNS0_10empty_typeEbEEZZNS1_14partition_implILS5_6ELb0ES3_mN6thrust23THRUST_200600_302600_NS6detail15normal_iteratorINSA_10device_ptrIsEEEEPS6_SG_NS0_5tupleIJSF_S6_EEENSH_IJSG_SG_EEES6_PlJNSB_9not_fun_tINSB_14equal_to_valueIsEEEEEEE10hipError_tPvRmT3_T4_T5_T6_T7_T9_mT8_P12ihipStream_tbDpT10_ENKUlT_T0_E_clISt17integral_constantIbLb1EES17_IbLb0EEEEDaS13_S14_EUlS13_E_NS1_11comp_targetILNS1_3genE3ELNS1_11target_archE908ELNS1_3gpuE7ELNS1_3repE0EEENS1_30default_config_static_selectorELNS0_4arch9wavefront6targetE0EEEvT1_.num_agpr, 0
	.set _ZN7rocprim17ROCPRIM_400000_NS6detail17trampoline_kernelINS0_14default_configENS1_25partition_config_selectorILNS1_17partition_subalgoE6EsNS0_10empty_typeEbEEZZNS1_14partition_implILS5_6ELb0ES3_mN6thrust23THRUST_200600_302600_NS6detail15normal_iteratorINSA_10device_ptrIsEEEEPS6_SG_NS0_5tupleIJSF_S6_EEENSH_IJSG_SG_EEES6_PlJNSB_9not_fun_tINSB_14equal_to_valueIsEEEEEEE10hipError_tPvRmT3_T4_T5_T6_T7_T9_mT8_P12ihipStream_tbDpT10_ENKUlT_T0_E_clISt17integral_constantIbLb1EES17_IbLb0EEEEDaS13_S14_EUlS13_E_NS1_11comp_targetILNS1_3genE3ELNS1_11target_archE908ELNS1_3gpuE7ELNS1_3repE0EEENS1_30default_config_static_selectorELNS0_4arch9wavefront6targetE0EEEvT1_.numbered_sgpr, 0
	.set _ZN7rocprim17ROCPRIM_400000_NS6detail17trampoline_kernelINS0_14default_configENS1_25partition_config_selectorILNS1_17partition_subalgoE6EsNS0_10empty_typeEbEEZZNS1_14partition_implILS5_6ELb0ES3_mN6thrust23THRUST_200600_302600_NS6detail15normal_iteratorINSA_10device_ptrIsEEEEPS6_SG_NS0_5tupleIJSF_S6_EEENSH_IJSG_SG_EEES6_PlJNSB_9not_fun_tINSB_14equal_to_valueIsEEEEEEE10hipError_tPvRmT3_T4_T5_T6_T7_T9_mT8_P12ihipStream_tbDpT10_ENKUlT_T0_E_clISt17integral_constantIbLb1EES17_IbLb0EEEEDaS13_S14_EUlS13_E_NS1_11comp_targetILNS1_3genE3ELNS1_11target_archE908ELNS1_3gpuE7ELNS1_3repE0EEENS1_30default_config_static_selectorELNS0_4arch9wavefront6targetE0EEEvT1_.num_named_barrier, 0
	.set _ZN7rocprim17ROCPRIM_400000_NS6detail17trampoline_kernelINS0_14default_configENS1_25partition_config_selectorILNS1_17partition_subalgoE6EsNS0_10empty_typeEbEEZZNS1_14partition_implILS5_6ELb0ES3_mN6thrust23THRUST_200600_302600_NS6detail15normal_iteratorINSA_10device_ptrIsEEEEPS6_SG_NS0_5tupleIJSF_S6_EEENSH_IJSG_SG_EEES6_PlJNSB_9not_fun_tINSB_14equal_to_valueIsEEEEEEE10hipError_tPvRmT3_T4_T5_T6_T7_T9_mT8_P12ihipStream_tbDpT10_ENKUlT_T0_E_clISt17integral_constantIbLb1EES17_IbLb0EEEEDaS13_S14_EUlS13_E_NS1_11comp_targetILNS1_3genE3ELNS1_11target_archE908ELNS1_3gpuE7ELNS1_3repE0EEENS1_30default_config_static_selectorELNS0_4arch9wavefront6targetE0EEEvT1_.private_seg_size, 0
	.set _ZN7rocprim17ROCPRIM_400000_NS6detail17trampoline_kernelINS0_14default_configENS1_25partition_config_selectorILNS1_17partition_subalgoE6EsNS0_10empty_typeEbEEZZNS1_14partition_implILS5_6ELb0ES3_mN6thrust23THRUST_200600_302600_NS6detail15normal_iteratorINSA_10device_ptrIsEEEEPS6_SG_NS0_5tupleIJSF_S6_EEENSH_IJSG_SG_EEES6_PlJNSB_9not_fun_tINSB_14equal_to_valueIsEEEEEEE10hipError_tPvRmT3_T4_T5_T6_T7_T9_mT8_P12ihipStream_tbDpT10_ENKUlT_T0_E_clISt17integral_constantIbLb1EES17_IbLb0EEEEDaS13_S14_EUlS13_E_NS1_11comp_targetILNS1_3genE3ELNS1_11target_archE908ELNS1_3gpuE7ELNS1_3repE0EEENS1_30default_config_static_selectorELNS0_4arch9wavefront6targetE0EEEvT1_.uses_vcc, 0
	.set _ZN7rocprim17ROCPRIM_400000_NS6detail17trampoline_kernelINS0_14default_configENS1_25partition_config_selectorILNS1_17partition_subalgoE6EsNS0_10empty_typeEbEEZZNS1_14partition_implILS5_6ELb0ES3_mN6thrust23THRUST_200600_302600_NS6detail15normal_iteratorINSA_10device_ptrIsEEEEPS6_SG_NS0_5tupleIJSF_S6_EEENSH_IJSG_SG_EEES6_PlJNSB_9not_fun_tINSB_14equal_to_valueIsEEEEEEE10hipError_tPvRmT3_T4_T5_T6_T7_T9_mT8_P12ihipStream_tbDpT10_ENKUlT_T0_E_clISt17integral_constantIbLb1EES17_IbLb0EEEEDaS13_S14_EUlS13_E_NS1_11comp_targetILNS1_3genE3ELNS1_11target_archE908ELNS1_3gpuE7ELNS1_3repE0EEENS1_30default_config_static_selectorELNS0_4arch9wavefront6targetE0EEEvT1_.uses_flat_scratch, 0
	.set _ZN7rocprim17ROCPRIM_400000_NS6detail17trampoline_kernelINS0_14default_configENS1_25partition_config_selectorILNS1_17partition_subalgoE6EsNS0_10empty_typeEbEEZZNS1_14partition_implILS5_6ELb0ES3_mN6thrust23THRUST_200600_302600_NS6detail15normal_iteratorINSA_10device_ptrIsEEEEPS6_SG_NS0_5tupleIJSF_S6_EEENSH_IJSG_SG_EEES6_PlJNSB_9not_fun_tINSB_14equal_to_valueIsEEEEEEE10hipError_tPvRmT3_T4_T5_T6_T7_T9_mT8_P12ihipStream_tbDpT10_ENKUlT_T0_E_clISt17integral_constantIbLb1EES17_IbLb0EEEEDaS13_S14_EUlS13_E_NS1_11comp_targetILNS1_3genE3ELNS1_11target_archE908ELNS1_3gpuE7ELNS1_3repE0EEENS1_30default_config_static_selectorELNS0_4arch9wavefront6targetE0EEEvT1_.has_dyn_sized_stack, 0
	.set _ZN7rocprim17ROCPRIM_400000_NS6detail17trampoline_kernelINS0_14default_configENS1_25partition_config_selectorILNS1_17partition_subalgoE6EsNS0_10empty_typeEbEEZZNS1_14partition_implILS5_6ELb0ES3_mN6thrust23THRUST_200600_302600_NS6detail15normal_iteratorINSA_10device_ptrIsEEEEPS6_SG_NS0_5tupleIJSF_S6_EEENSH_IJSG_SG_EEES6_PlJNSB_9not_fun_tINSB_14equal_to_valueIsEEEEEEE10hipError_tPvRmT3_T4_T5_T6_T7_T9_mT8_P12ihipStream_tbDpT10_ENKUlT_T0_E_clISt17integral_constantIbLb1EES17_IbLb0EEEEDaS13_S14_EUlS13_E_NS1_11comp_targetILNS1_3genE3ELNS1_11target_archE908ELNS1_3gpuE7ELNS1_3repE0EEENS1_30default_config_static_selectorELNS0_4arch9wavefront6targetE0EEEvT1_.has_recursion, 0
	.set _ZN7rocprim17ROCPRIM_400000_NS6detail17trampoline_kernelINS0_14default_configENS1_25partition_config_selectorILNS1_17partition_subalgoE6EsNS0_10empty_typeEbEEZZNS1_14partition_implILS5_6ELb0ES3_mN6thrust23THRUST_200600_302600_NS6detail15normal_iteratorINSA_10device_ptrIsEEEEPS6_SG_NS0_5tupleIJSF_S6_EEENSH_IJSG_SG_EEES6_PlJNSB_9not_fun_tINSB_14equal_to_valueIsEEEEEEE10hipError_tPvRmT3_T4_T5_T6_T7_T9_mT8_P12ihipStream_tbDpT10_ENKUlT_T0_E_clISt17integral_constantIbLb1EES17_IbLb0EEEEDaS13_S14_EUlS13_E_NS1_11comp_targetILNS1_3genE3ELNS1_11target_archE908ELNS1_3gpuE7ELNS1_3repE0EEENS1_30default_config_static_selectorELNS0_4arch9wavefront6targetE0EEEvT1_.has_indirect_call, 0
	.section	.AMDGPU.csdata,"",@progbits
; Kernel info:
; codeLenInByte = 0
; TotalNumSgprs: 0
; NumVgprs: 0
; ScratchSize: 0
; MemoryBound: 0
; FloatMode: 240
; IeeeMode: 1
; LDSByteSize: 0 bytes/workgroup (compile time only)
; SGPRBlocks: 0
; VGPRBlocks: 0
; NumSGPRsForWavesPerEU: 1
; NumVGPRsForWavesPerEU: 1
; Occupancy: 16
; WaveLimiterHint : 0
; COMPUTE_PGM_RSRC2:SCRATCH_EN: 0
; COMPUTE_PGM_RSRC2:USER_SGPR: 2
; COMPUTE_PGM_RSRC2:TRAP_HANDLER: 0
; COMPUTE_PGM_RSRC2:TGID_X_EN: 1
; COMPUTE_PGM_RSRC2:TGID_Y_EN: 0
; COMPUTE_PGM_RSRC2:TGID_Z_EN: 0
; COMPUTE_PGM_RSRC2:TIDIG_COMP_CNT: 0
	.section	.text._ZN7rocprim17ROCPRIM_400000_NS6detail17trampoline_kernelINS0_14default_configENS1_25partition_config_selectorILNS1_17partition_subalgoE6EsNS0_10empty_typeEbEEZZNS1_14partition_implILS5_6ELb0ES3_mN6thrust23THRUST_200600_302600_NS6detail15normal_iteratorINSA_10device_ptrIsEEEEPS6_SG_NS0_5tupleIJSF_S6_EEENSH_IJSG_SG_EEES6_PlJNSB_9not_fun_tINSB_14equal_to_valueIsEEEEEEE10hipError_tPvRmT3_T4_T5_T6_T7_T9_mT8_P12ihipStream_tbDpT10_ENKUlT_T0_E_clISt17integral_constantIbLb1EES17_IbLb0EEEEDaS13_S14_EUlS13_E_NS1_11comp_targetILNS1_3genE2ELNS1_11target_archE906ELNS1_3gpuE6ELNS1_3repE0EEENS1_30default_config_static_selectorELNS0_4arch9wavefront6targetE0EEEvT1_,"axG",@progbits,_ZN7rocprim17ROCPRIM_400000_NS6detail17trampoline_kernelINS0_14default_configENS1_25partition_config_selectorILNS1_17partition_subalgoE6EsNS0_10empty_typeEbEEZZNS1_14partition_implILS5_6ELb0ES3_mN6thrust23THRUST_200600_302600_NS6detail15normal_iteratorINSA_10device_ptrIsEEEEPS6_SG_NS0_5tupleIJSF_S6_EEENSH_IJSG_SG_EEES6_PlJNSB_9not_fun_tINSB_14equal_to_valueIsEEEEEEE10hipError_tPvRmT3_T4_T5_T6_T7_T9_mT8_P12ihipStream_tbDpT10_ENKUlT_T0_E_clISt17integral_constantIbLb1EES17_IbLb0EEEEDaS13_S14_EUlS13_E_NS1_11comp_targetILNS1_3genE2ELNS1_11target_archE906ELNS1_3gpuE6ELNS1_3repE0EEENS1_30default_config_static_selectorELNS0_4arch9wavefront6targetE0EEEvT1_,comdat
	.protected	_ZN7rocprim17ROCPRIM_400000_NS6detail17trampoline_kernelINS0_14default_configENS1_25partition_config_selectorILNS1_17partition_subalgoE6EsNS0_10empty_typeEbEEZZNS1_14partition_implILS5_6ELb0ES3_mN6thrust23THRUST_200600_302600_NS6detail15normal_iteratorINSA_10device_ptrIsEEEEPS6_SG_NS0_5tupleIJSF_S6_EEENSH_IJSG_SG_EEES6_PlJNSB_9not_fun_tINSB_14equal_to_valueIsEEEEEEE10hipError_tPvRmT3_T4_T5_T6_T7_T9_mT8_P12ihipStream_tbDpT10_ENKUlT_T0_E_clISt17integral_constantIbLb1EES17_IbLb0EEEEDaS13_S14_EUlS13_E_NS1_11comp_targetILNS1_3genE2ELNS1_11target_archE906ELNS1_3gpuE6ELNS1_3repE0EEENS1_30default_config_static_selectorELNS0_4arch9wavefront6targetE0EEEvT1_ ; -- Begin function _ZN7rocprim17ROCPRIM_400000_NS6detail17trampoline_kernelINS0_14default_configENS1_25partition_config_selectorILNS1_17partition_subalgoE6EsNS0_10empty_typeEbEEZZNS1_14partition_implILS5_6ELb0ES3_mN6thrust23THRUST_200600_302600_NS6detail15normal_iteratorINSA_10device_ptrIsEEEEPS6_SG_NS0_5tupleIJSF_S6_EEENSH_IJSG_SG_EEES6_PlJNSB_9not_fun_tINSB_14equal_to_valueIsEEEEEEE10hipError_tPvRmT3_T4_T5_T6_T7_T9_mT8_P12ihipStream_tbDpT10_ENKUlT_T0_E_clISt17integral_constantIbLb1EES17_IbLb0EEEEDaS13_S14_EUlS13_E_NS1_11comp_targetILNS1_3genE2ELNS1_11target_archE906ELNS1_3gpuE6ELNS1_3repE0EEENS1_30default_config_static_selectorELNS0_4arch9wavefront6targetE0EEEvT1_
	.globl	_ZN7rocprim17ROCPRIM_400000_NS6detail17trampoline_kernelINS0_14default_configENS1_25partition_config_selectorILNS1_17partition_subalgoE6EsNS0_10empty_typeEbEEZZNS1_14partition_implILS5_6ELb0ES3_mN6thrust23THRUST_200600_302600_NS6detail15normal_iteratorINSA_10device_ptrIsEEEEPS6_SG_NS0_5tupleIJSF_S6_EEENSH_IJSG_SG_EEES6_PlJNSB_9not_fun_tINSB_14equal_to_valueIsEEEEEEE10hipError_tPvRmT3_T4_T5_T6_T7_T9_mT8_P12ihipStream_tbDpT10_ENKUlT_T0_E_clISt17integral_constantIbLb1EES17_IbLb0EEEEDaS13_S14_EUlS13_E_NS1_11comp_targetILNS1_3genE2ELNS1_11target_archE906ELNS1_3gpuE6ELNS1_3repE0EEENS1_30default_config_static_selectorELNS0_4arch9wavefront6targetE0EEEvT1_
	.p2align	8
	.type	_ZN7rocprim17ROCPRIM_400000_NS6detail17trampoline_kernelINS0_14default_configENS1_25partition_config_selectorILNS1_17partition_subalgoE6EsNS0_10empty_typeEbEEZZNS1_14partition_implILS5_6ELb0ES3_mN6thrust23THRUST_200600_302600_NS6detail15normal_iteratorINSA_10device_ptrIsEEEEPS6_SG_NS0_5tupleIJSF_S6_EEENSH_IJSG_SG_EEES6_PlJNSB_9not_fun_tINSB_14equal_to_valueIsEEEEEEE10hipError_tPvRmT3_T4_T5_T6_T7_T9_mT8_P12ihipStream_tbDpT10_ENKUlT_T0_E_clISt17integral_constantIbLb1EES17_IbLb0EEEEDaS13_S14_EUlS13_E_NS1_11comp_targetILNS1_3genE2ELNS1_11target_archE906ELNS1_3gpuE6ELNS1_3repE0EEENS1_30default_config_static_selectorELNS0_4arch9wavefront6targetE0EEEvT1_,@function
_ZN7rocprim17ROCPRIM_400000_NS6detail17trampoline_kernelINS0_14default_configENS1_25partition_config_selectorILNS1_17partition_subalgoE6EsNS0_10empty_typeEbEEZZNS1_14partition_implILS5_6ELb0ES3_mN6thrust23THRUST_200600_302600_NS6detail15normal_iteratorINSA_10device_ptrIsEEEEPS6_SG_NS0_5tupleIJSF_S6_EEENSH_IJSG_SG_EEES6_PlJNSB_9not_fun_tINSB_14equal_to_valueIsEEEEEEE10hipError_tPvRmT3_T4_T5_T6_T7_T9_mT8_P12ihipStream_tbDpT10_ENKUlT_T0_E_clISt17integral_constantIbLb1EES17_IbLb0EEEEDaS13_S14_EUlS13_E_NS1_11comp_targetILNS1_3genE2ELNS1_11target_archE906ELNS1_3gpuE6ELNS1_3repE0EEENS1_30default_config_static_selectorELNS0_4arch9wavefront6targetE0EEEvT1_: ; @_ZN7rocprim17ROCPRIM_400000_NS6detail17trampoline_kernelINS0_14default_configENS1_25partition_config_selectorILNS1_17partition_subalgoE6EsNS0_10empty_typeEbEEZZNS1_14partition_implILS5_6ELb0ES3_mN6thrust23THRUST_200600_302600_NS6detail15normal_iteratorINSA_10device_ptrIsEEEEPS6_SG_NS0_5tupleIJSF_S6_EEENSH_IJSG_SG_EEES6_PlJNSB_9not_fun_tINSB_14equal_to_valueIsEEEEEEE10hipError_tPvRmT3_T4_T5_T6_T7_T9_mT8_P12ihipStream_tbDpT10_ENKUlT_T0_E_clISt17integral_constantIbLb1EES17_IbLb0EEEEDaS13_S14_EUlS13_E_NS1_11comp_targetILNS1_3genE2ELNS1_11target_archE906ELNS1_3gpuE6ELNS1_3repE0EEENS1_30default_config_static_selectorELNS0_4arch9wavefront6targetE0EEEvT1_
; %bb.0:
	.section	.rodata,"a",@progbits
	.p2align	6, 0x0
	.amdhsa_kernel _ZN7rocprim17ROCPRIM_400000_NS6detail17trampoline_kernelINS0_14default_configENS1_25partition_config_selectorILNS1_17partition_subalgoE6EsNS0_10empty_typeEbEEZZNS1_14partition_implILS5_6ELb0ES3_mN6thrust23THRUST_200600_302600_NS6detail15normal_iteratorINSA_10device_ptrIsEEEEPS6_SG_NS0_5tupleIJSF_S6_EEENSH_IJSG_SG_EEES6_PlJNSB_9not_fun_tINSB_14equal_to_valueIsEEEEEEE10hipError_tPvRmT3_T4_T5_T6_T7_T9_mT8_P12ihipStream_tbDpT10_ENKUlT_T0_E_clISt17integral_constantIbLb1EES17_IbLb0EEEEDaS13_S14_EUlS13_E_NS1_11comp_targetILNS1_3genE2ELNS1_11target_archE906ELNS1_3gpuE6ELNS1_3repE0EEENS1_30default_config_static_selectorELNS0_4arch9wavefront6targetE0EEEvT1_
		.amdhsa_group_segment_fixed_size 0
		.amdhsa_private_segment_fixed_size 0
		.amdhsa_kernarg_size 112
		.amdhsa_user_sgpr_count 2
		.amdhsa_user_sgpr_dispatch_ptr 0
		.amdhsa_user_sgpr_queue_ptr 0
		.amdhsa_user_sgpr_kernarg_segment_ptr 1
		.amdhsa_user_sgpr_dispatch_id 0
		.amdhsa_user_sgpr_private_segment_size 0
		.amdhsa_wavefront_size32 1
		.amdhsa_uses_dynamic_stack 0
		.amdhsa_enable_private_segment 0
		.amdhsa_system_sgpr_workgroup_id_x 1
		.amdhsa_system_sgpr_workgroup_id_y 0
		.amdhsa_system_sgpr_workgroup_id_z 0
		.amdhsa_system_sgpr_workgroup_info 0
		.amdhsa_system_vgpr_workitem_id 0
		.amdhsa_next_free_vgpr 1
		.amdhsa_next_free_sgpr 1
		.amdhsa_reserve_vcc 0
		.amdhsa_float_round_mode_32 0
		.amdhsa_float_round_mode_16_64 0
		.amdhsa_float_denorm_mode_32 3
		.amdhsa_float_denorm_mode_16_64 3
		.amdhsa_fp16_overflow 0
		.amdhsa_workgroup_processor_mode 1
		.amdhsa_memory_ordered 1
		.amdhsa_forward_progress 1
		.amdhsa_inst_pref_size 0
		.amdhsa_round_robin_scheduling 0
		.amdhsa_exception_fp_ieee_invalid_op 0
		.amdhsa_exception_fp_denorm_src 0
		.amdhsa_exception_fp_ieee_div_zero 0
		.amdhsa_exception_fp_ieee_overflow 0
		.amdhsa_exception_fp_ieee_underflow 0
		.amdhsa_exception_fp_ieee_inexact 0
		.amdhsa_exception_int_div_zero 0
	.end_amdhsa_kernel
	.section	.text._ZN7rocprim17ROCPRIM_400000_NS6detail17trampoline_kernelINS0_14default_configENS1_25partition_config_selectorILNS1_17partition_subalgoE6EsNS0_10empty_typeEbEEZZNS1_14partition_implILS5_6ELb0ES3_mN6thrust23THRUST_200600_302600_NS6detail15normal_iteratorINSA_10device_ptrIsEEEEPS6_SG_NS0_5tupleIJSF_S6_EEENSH_IJSG_SG_EEES6_PlJNSB_9not_fun_tINSB_14equal_to_valueIsEEEEEEE10hipError_tPvRmT3_T4_T5_T6_T7_T9_mT8_P12ihipStream_tbDpT10_ENKUlT_T0_E_clISt17integral_constantIbLb1EES17_IbLb0EEEEDaS13_S14_EUlS13_E_NS1_11comp_targetILNS1_3genE2ELNS1_11target_archE906ELNS1_3gpuE6ELNS1_3repE0EEENS1_30default_config_static_selectorELNS0_4arch9wavefront6targetE0EEEvT1_,"axG",@progbits,_ZN7rocprim17ROCPRIM_400000_NS6detail17trampoline_kernelINS0_14default_configENS1_25partition_config_selectorILNS1_17partition_subalgoE6EsNS0_10empty_typeEbEEZZNS1_14partition_implILS5_6ELb0ES3_mN6thrust23THRUST_200600_302600_NS6detail15normal_iteratorINSA_10device_ptrIsEEEEPS6_SG_NS0_5tupleIJSF_S6_EEENSH_IJSG_SG_EEES6_PlJNSB_9not_fun_tINSB_14equal_to_valueIsEEEEEEE10hipError_tPvRmT3_T4_T5_T6_T7_T9_mT8_P12ihipStream_tbDpT10_ENKUlT_T0_E_clISt17integral_constantIbLb1EES17_IbLb0EEEEDaS13_S14_EUlS13_E_NS1_11comp_targetILNS1_3genE2ELNS1_11target_archE906ELNS1_3gpuE6ELNS1_3repE0EEENS1_30default_config_static_selectorELNS0_4arch9wavefront6targetE0EEEvT1_,comdat
.Lfunc_end521:
	.size	_ZN7rocprim17ROCPRIM_400000_NS6detail17trampoline_kernelINS0_14default_configENS1_25partition_config_selectorILNS1_17partition_subalgoE6EsNS0_10empty_typeEbEEZZNS1_14partition_implILS5_6ELb0ES3_mN6thrust23THRUST_200600_302600_NS6detail15normal_iteratorINSA_10device_ptrIsEEEEPS6_SG_NS0_5tupleIJSF_S6_EEENSH_IJSG_SG_EEES6_PlJNSB_9not_fun_tINSB_14equal_to_valueIsEEEEEEE10hipError_tPvRmT3_T4_T5_T6_T7_T9_mT8_P12ihipStream_tbDpT10_ENKUlT_T0_E_clISt17integral_constantIbLb1EES17_IbLb0EEEEDaS13_S14_EUlS13_E_NS1_11comp_targetILNS1_3genE2ELNS1_11target_archE906ELNS1_3gpuE6ELNS1_3repE0EEENS1_30default_config_static_selectorELNS0_4arch9wavefront6targetE0EEEvT1_, .Lfunc_end521-_ZN7rocprim17ROCPRIM_400000_NS6detail17trampoline_kernelINS0_14default_configENS1_25partition_config_selectorILNS1_17partition_subalgoE6EsNS0_10empty_typeEbEEZZNS1_14partition_implILS5_6ELb0ES3_mN6thrust23THRUST_200600_302600_NS6detail15normal_iteratorINSA_10device_ptrIsEEEEPS6_SG_NS0_5tupleIJSF_S6_EEENSH_IJSG_SG_EEES6_PlJNSB_9not_fun_tINSB_14equal_to_valueIsEEEEEEE10hipError_tPvRmT3_T4_T5_T6_T7_T9_mT8_P12ihipStream_tbDpT10_ENKUlT_T0_E_clISt17integral_constantIbLb1EES17_IbLb0EEEEDaS13_S14_EUlS13_E_NS1_11comp_targetILNS1_3genE2ELNS1_11target_archE906ELNS1_3gpuE6ELNS1_3repE0EEENS1_30default_config_static_selectorELNS0_4arch9wavefront6targetE0EEEvT1_
                                        ; -- End function
	.set _ZN7rocprim17ROCPRIM_400000_NS6detail17trampoline_kernelINS0_14default_configENS1_25partition_config_selectorILNS1_17partition_subalgoE6EsNS0_10empty_typeEbEEZZNS1_14partition_implILS5_6ELb0ES3_mN6thrust23THRUST_200600_302600_NS6detail15normal_iteratorINSA_10device_ptrIsEEEEPS6_SG_NS0_5tupleIJSF_S6_EEENSH_IJSG_SG_EEES6_PlJNSB_9not_fun_tINSB_14equal_to_valueIsEEEEEEE10hipError_tPvRmT3_T4_T5_T6_T7_T9_mT8_P12ihipStream_tbDpT10_ENKUlT_T0_E_clISt17integral_constantIbLb1EES17_IbLb0EEEEDaS13_S14_EUlS13_E_NS1_11comp_targetILNS1_3genE2ELNS1_11target_archE906ELNS1_3gpuE6ELNS1_3repE0EEENS1_30default_config_static_selectorELNS0_4arch9wavefront6targetE0EEEvT1_.num_vgpr, 0
	.set _ZN7rocprim17ROCPRIM_400000_NS6detail17trampoline_kernelINS0_14default_configENS1_25partition_config_selectorILNS1_17partition_subalgoE6EsNS0_10empty_typeEbEEZZNS1_14partition_implILS5_6ELb0ES3_mN6thrust23THRUST_200600_302600_NS6detail15normal_iteratorINSA_10device_ptrIsEEEEPS6_SG_NS0_5tupleIJSF_S6_EEENSH_IJSG_SG_EEES6_PlJNSB_9not_fun_tINSB_14equal_to_valueIsEEEEEEE10hipError_tPvRmT3_T4_T5_T6_T7_T9_mT8_P12ihipStream_tbDpT10_ENKUlT_T0_E_clISt17integral_constantIbLb1EES17_IbLb0EEEEDaS13_S14_EUlS13_E_NS1_11comp_targetILNS1_3genE2ELNS1_11target_archE906ELNS1_3gpuE6ELNS1_3repE0EEENS1_30default_config_static_selectorELNS0_4arch9wavefront6targetE0EEEvT1_.num_agpr, 0
	.set _ZN7rocprim17ROCPRIM_400000_NS6detail17trampoline_kernelINS0_14default_configENS1_25partition_config_selectorILNS1_17partition_subalgoE6EsNS0_10empty_typeEbEEZZNS1_14partition_implILS5_6ELb0ES3_mN6thrust23THRUST_200600_302600_NS6detail15normal_iteratorINSA_10device_ptrIsEEEEPS6_SG_NS0_5tupleIJSF_S6_EEENSH_IJSG_SG_EEES6_PlJNSB_9not_fun_tINSB_14equal_to_valueIsEEEEEEE10hipError_tPvRmT3_T4_T5_T6_T7_T9_mT8_P12ihipStream_tbDpT10_ENKUlT_T0_E_clISt17integral_constantIbLb1EES17_IbLb0EEEEDaS13_S14_EUlS13_E_NS1_11comp_targetILNS1_3genE2ELNS1_11target_archE906ELNS1_3gpuE6ELNS1_3repE0EEENS1_30default_config_static_selectorELNS0_4arch9wavefront6targetE0EEEvT1_.numbered_sgpr, 0
	.set _ZN7rocprim17ROCPRIM_400000_NS6detail17trampoline_kernelINS0_14default_configENS1_25partition_config_selectorILNS1_17partition_subalgoE6EsNS0_10empty_typeEbEEZZNS1_14partition_implILS5_6ELb0ES3_mN6thrust23THRUST_200600_302600_NS6detail15normal_iteratorINSA_10device_ptrIsEEEEPS6_SG_NS0_5tupleIJSF_S6_EEENSH_IJSG_SG_EEES6_PlJNSB_9not_fun_tINSB_14equal_to_valueIsEEEEEEE10hipError_tPvRmT3_T4_T5_T6_T7_T9_mT8_P12ihipStream_tbDpT10_ENKUlT_T0_E_clISt17integral_constantIbLb1EES17_IbLb0EEEEDaS13_S14_EUlS13_E_NS1_11comp_targetILNS1_3genE2ELNS1_11target_archE906ELNS1_3gpuE6ELNS1_3repE0EEENS1_30default_config_static_selectorELNS0_4arch9wavefront6targetE0EEEvT1_.num_named_barrier, 0
	.set _ZN7rocprim17ROCPRIM_400000_NS6detail17trampoline_kernelINS0_14default_configENS1_25partition_config_selectorILNS1_17partition_subalgoE6EsNS0_10empty_typeEbEEZZNS1_14partition_implILS5_6ELb0ES3_mN6thrust23THRUST_200600_302600_NS6detail15normal_iteratorINSA_10device_ptrIsEEEEPS6_SG_NS0_5tupleIJSF_S6_EEENSH_IJSG_SG_EEES6_PlJNSB_9not_fun_tINSB_14equal_to_valueIsEEEEEEE10hipError_tPvRmT3_T4_T5_T6_T7_T9_mT8_P12ihipStream_tbDpT10_ENKUlT_T0_E_clISt17integral_constantIbLb1EES17_IbLb0EEEEDaS13_S14_EUlS13_E_NS1_11comp_targetILNS1_3genE2ELNS1_11target_archE906ELNS1_3gpuE6ELNS1_3repE0EEENS1_30default_config_static_selectorELNS0_4arch9wavefront6targetE0EEEvT1_.private_seg_size, 0
	.set _ZN7rocprim17ROCPRIM_400000_NS6detail17trampoline_kernelINS0_14default_configENS1_25partition_config_selectorILNS1_17partition_subalgoE6EsNS0_10empty_typeEbEEZZNS1_14partition_implILS5_6ELb0ES3_mN6thrust23THRUST_200600_302600_NS6detail15normal_iteratorINSA_10device_ptrIsEEEEPS6_SG_NS0_5tupleIJSF_S6_EEENSH_IJSG_SG_EEES6_PlJNSB_9not_fun_tINSB_14equal_to_valueIsEEEEEEE10hipError_tPvRmT3_T4_T5_T6_T7_T9_mT8_P12ihipStream_tbDpT10_ENKUlT_T0_E_clISt17integral_constantIbLb1EES17_IbLb0EEEEDaS13_S14_EUlS13_E_NS1_11comp_targetILNS1_3genE2ELNS1_11target_archE906ELNS1_3gpuE6ELNS1_3repE0EEENS1_30default_config_static_selectorELNS0_4arch9wavefront6targetE0EEEvT1_.uses_vcc, 0
	.set _ZN7rocprim17ROCPRIM_400000_NS6detail17trampoline_kernelINS0_14default_configENS1_25partition_config_selectorILNS1_17partition_subalgoE6EsNS0_10empty_typeEbEEZZNS1_14partition_implILS5_6ELb0ES3_mN6thrust23THRUST_200600_302600_NS6detail15normal_iteratorINSA_10device_ptrIsEEEEPS6_SG_NS0_5tupleIJSF_S6_EEENSH_IJSG_SG_EEES6_PlJNSB_9not_fun_tINSB_14equal_to_valueIsEEEEEEE10hipError_tPvRmT3_T4_T5_T6_T7_T9_mT8_P12ihipStream_tbDpT10_ENKUlT_T0_E_clISt17integral_constantIbLb1EES17_IbLb0EEEEDaS13_S14_EUlS13_E_NS1_11comp_targetILNS1_3genE2ELNS1_11target_archE906ELNS1_3gpuE6ELNS1_3repE0EEENS1_30default_config_static_selectorELNS0_4arch9wavefront6targetE0EEEvT1_.uses_flat_scratch, 0
	.set _ZN7rocprim17ROCPRIM_400000_NS6detail17trampoline_kernelINS0_14default_configENS1_25partition_config_selectorILNS1_17partition_subalgoE6EsNS0_10empty_typeEbEEZZNS1_14partition_implILS5_6ELb0ES3_mN6thrust23THRUST_200600_302600_NS6detail15normal_iteratorINSA_10device_ptrIsEEEEPS6_SG_NS0_5tupleIJSF_S6_EEENSH_IJSG_SG_EEES6_PlJNSB_9not_fun_tINSB_14equal_to_valueIsEEEEEEE10hipError_tPvRmT3_T4_T5_T6_T7_T9_mT8_P12ihipStream_tbDpT10_ENKUlT_T0_E_clISt17integral_constantIbLb1EES17_IbLb0EEEEDaS13_S14_EUlS13_E_NS1_11comp_targetILNS1_3genE2ELNS1_11target_archE906ELNS1_3gpuE6ELNS1_3repE0EEENS1_30default_config_static_selectorELNS0_4arch9wavefront6targetE0EEEvT1_.has_dyn_sized_stack, 0
	.set _ZN7rocprim17ROCPRIM_400000_NS6detail17trampoline_kernelINS0_14default_configENS1_25partition_config_selectorILNS1_17partition_subalgoE6EsNS0_10empty_typeEbEEZZNS1_14partition_implILS5_6ELb0ES3_mN6thrust23THRUST_200600_302600_NS6detail15normal_iteratorINSA_10device_ptrIsEEEEPS6_SG_NS0_5tupleIJSF_S6_EEENSH_IJSG_SG_EEES6_PlJNSB_9not_fun_tINSB_14equal_to_valueIsEEEEEEE10hipError_tPvRmT3_T4_T5_T6_T7_T9_mT8_P12ihipStream_tbDpT10_ENKUlT_T0_E_clISt17integral_constantIbLb1EES17_IbLb0EEEEDaS13_S14_EUlS13_E_NS1_11comp_targetILNS1_3genE2ELNS1_11target_archE906ELNS1_3gpuE6ELNS1_3repE0EEENS1_30default_config_static_selectorELNS0_4arch9wavefront6targetE0EEEvT1_.has_recursion, 0
	.set _ZN7rocprim17ROCPRIM_400000_NS6detail17trampoline_kernelINS0_14default_configENS1_25partition_config_selectorILNS1_17partition_subalgoE6EsNS0_10empty_typeEbEEZZNS1_14partition_implILS5_6ELb0ES3_mN6thrust23THRUST_200600_302600_NS6detail15normal_iteratorINSA_10device_ptrIsEEEEPS6_SG_NS0_5tupleIJSF_S6_EEENSH_IJSG_SG_EEES6_PlJNSB_9not_fun_tINSB_14equal_to_valueIsEEEEEEE10hipError_tPvRmT3_T4_T5_T6_T7_T9_mT8_P12ihipStream_tbDpT10_ENKUlT_T0_E_clISt17integral_constantIbLb1EES17_IbLb0EEEEDaS13_S14_EUlS13_E_NS1_11comp_targetILNS1_3genE2ELNS1_11target_archE906ELNS1_3gpuE6ELNS1_3repE0EEENS1_30default_config_static_selectorELNS0_4arch9wavefront6targetE0EEEvT1_.has_indirect_call, 0
	.section	.AMDGPU.csdata,"",@progbits
; Kernel info:
; codeLenInByte = 0
; TotalNumSgprs: 0
; NumVgprs: 0
; ScratchSize: 0
; MemoryBound: 0
; FloatMode: 240
; IeeeMode: 1
; LDSByteSize: 0 bytes/workgroup (compile time only)
; SGPRBlocks: 0
; VGPRBlocks: 0
; NumSGPRsForWavesPerEU: 1
; NumVGPRsForWavesPerEU: 1
; Occupancy: 16
; WaveLimiterHint : 0
; COMPUTE_PGM_RSRC2:SCRATCH_EN: 0
; COMPUTE_PGM_RSRC2:USER_SGPR: 2
; COMPUTE_PGM_RSRC2:TRAP_HANDLER: 0
; COMPUTE_PGM_RSRC2:TGID_X_EN: 1
; COMPUTE_PGM_RSRC2:TGID_Y_EN: 0
; COMPUTE_PGM_RSRC2:TGID_Z_EN: 0
; COMPUTE_PGM_RSRC2:TIDIG_COMP_CNT: 0
	.section	.text._ZN7rocprim17ROCPRIM_400000_NS6detail17trampoline_kernelINS0_14default_configENS1_25partition_config_selectorILNS1_17partition_subalgoE6EsNS0_10empty_typeEbEEZZNS1_14partition_implILS5_6ELb0ES3_mN6thrust23THRUST_200600_302600_NS6detail15normal_iteratorINSA_10device_ptrIsEEEEPS6_SG_NS0_5tupleIJSF_S6_EEENSH_IJSG_SG_EEES6_PlJNSB_9not_fun_tINSB_14equal_to_valueIsEEEEEEE10hipError_tPvRmT3_T4_T5_T6_T7_T9_mT8_P12ihipStream_tbDpT10_ENKUlT_T0_E_clISt17integral_constantIbLb1EES17_IbLb0EEEEDaS13_S14_EUlS13_E_NS1_11comp_targetILNS1_3genE10ELNS1_11target_archE1200ELNS1_3gpuE4ELNS1_3repE0EEENS1_30default_config_static_selectorELNS0_4arch9wavefront6targetE0EEEvT1_,"axG",@progbits,_ZN7rocprim17ROCPRIM_400000_NS6detail17trampoline_kernelINS0_14default_configENS1_25partition_config_selectorILNS1_17partition_subalgoE6EsNS0_10empty_typeEbEEZZNS1_14partition_implILS5_6ELb0ES3_mN6thrust23THRUST_200600_302600_NS6detail15normal_iteratorINSA_10device_ptrIsEEEEPS6_SG_NS0_5tupleIJSF_S6_EEENSH_IJSG_SG_EEES6_PlJNSB_9not_fun_tINSB_14equal_to_valueIsEEEEEEE10hipError_tPvRmT3_T4_T5_T6_T7_T9_mT8_P12ihipStream_tbDpT10_ENKUlT_T0_E_clISt17integral_constantIbLb1EES17_IbLb0EEEEDaS13_S14_EUlS13_E_NS1_11comp_targetILNS1_3genE10ELNS1_11target_archE1200ELNS1_3gpuE4ELNS1_3repE0EEENS1_30default_config_static_selectorELNS0_4arch9wavefront6targetE0EEEvT1_,comdat
	.protected	_ZN7rocprim17ROCPRIM_400000_NS6detail17trampoline_kernelINS0_14default_configENS1_25partition_config_selectorILNS1_17partition_subalgoE6EsNS0_10empty_typeEbEEZZNS1_14partition_implILS5_6ELb0ES3_mN6thrust23THRUST_200600_302600_NS6detail15normal_iteratorINSA_10device_ptrIsEEEEPS6_SG_NS0_5tupleIJSF_S6_EEENSH_IJSG_SG_EEES6_PlJNSB_9not_fun_tINSB_14equal_to_valueIsEEEEEEE10hipError_tPvRmT3_T4_T5_T6_T7_T9_mT8_P12ihipStream_tbDpT10_ENKUlT_T0_E_clISt17integral_constantIbLb1EES17_IbLb0EEEEDaS13_S14_EUlS13_E_NS1_11comp_targetILNS1_3genE10ELNS1_11target_archE1200ELNS1_3gpuE4ELNS1_3repE0EEENS1_30default_config_static_selectorELNS0_4arch9wavefront6targetE0EEEvT1_ ; -- Begin function _ZN7rocprim17ROCPRIM_400000_NS6detail17trampoline_kernelINS0_14default_configENS1_25partition_config_selectorILNS1_17partition_subalgoE6EsNS0_10empty_typeEbEEZZNS1_14partition_implILS5_6ELb0ES3_mN6thrust23THRUST_200600_302600_NS6detail15normal_iteratorINSA_10device_ptrIsEEEEPS6_SG_NS0_5tupleIJSF_S6_EEENSH_IJSG_SG_EEES6_PlJNSB_9not_fun_tINSB_14equal_to_valueIsEEEEEEE10hipError_tPvRmT3_T4_T5_T6_T7_T9_mT8_P12ihipStream_tbDpT10_ENKUlT_T0_E_clISt17integral_constantIbLb1EES17_IbLb0EEEEDaS13_S14_EUlS13_E_NS1_11comp_targetILNS1_3genE10ELNS1_11target_archE1200ELNS1_3gpuE4ELNS1_3repE0EEENS1_30default_config_static_selectorELNS0_4arch9wavefront6targetE0EEEvT1_
	.globl	_ZN7rocprim17ROCPRIM_400000_NS6detail17trampoline_kernelINS0_14default_configENS1_25partition_config_selectorILNS1_17partition_subalgoE6EsNS0_10empty_typeEbEEZZNS1_14partition_implILS5_6ELb0ES3_mN6thrust23THRUST_200600_302600_NS6detail15normal_iteratorINSA_10device_ptrIsEEEEPS6_SG_NS0_5tupleIJSF_S6_EEENSH_IJSG_SG_EEES6_PlJNSB_9not_fun_tINSB_14equal_to_valueIsEEEEEEE10hipError_tPvRmT3_T4_T5_T6_T7_T9_mT8_P12ihipStream_tbDpT10_ENKUlT_T0_E_clISt17integral_constantIbLb1EES17_IbLb0EEEEDaS13_S14_EUlS13_E_NS1_11comp_targetILNS1_3genE10ELNS1_11target_archE1200ELNS1_3gpuE4ELNS1_3repE0EEENS1_30default_config_static_selectorELNS0_4arch9wavefront6targetE0EEEvT1_
	.p2align	8
	.type	_ZN7rocprim17ROCPRIM_400000_NS6detail17trampoline_kernelINS0_14default_configENS1_25partition_config_selectorILNS1_17partition_subalgoE6EsNS0_10empty_typeEbEEZZNS1_14partition_implILS5_6ELb0ES3_mN6thrust23THRUST_200600_302600_NS6detail15normal_iteratorINSA_10device_ptrIsEEEEPS6_SG_NS0_5tupleIJSF_S6_EEENSH_IJSG_SG_EEES6_PlJNSB_9not_fun_tINSB_14equal_to_valueIsEEEEEEE10hipError_tPvRmT3_T4_T5_T6_T7_T9_mT8_P12ihipStream_tbDpT10_ENKUlT_T0_E_clISt17integral_constantIbLb1EES17_IbLb0EEEEDaS13_S14_EUlS13_E_NS1_11comp_targetILNS1_3genE10ELNS1_11target_archE1200ELNS1_3gpuE4ELNS1_3repE0EEENS1_30default_config_static_selectorELNS0_4arch9wavefront6targetE0EEEvT1_,@function
_ZN7rocprim17ROCPRIM_400000_NS6detail17trampoline_kernelINS0_14default_configENS1_25partition_config_selectorILNS1_17partition_subalgoE6EsNS0_10empty_typeEbEEZZNS1_14partition_implILS5_6ELb0ES3_mN6thrust23THRUST_200600_302600_NS6detail15normal_iteratorINSA_10device_ptrIsEEEEPS6_SG_NS0_5tupleIJSF_S6_EEENSH_IJSG_SG_EEES6_PlJNSB_9not_fun_tINSB_14equal_to_valueIsEEEEEEE10hipError_tPvRmT3_T4_T5_T6_T7_T9_mT8_P12ihipStream_tbDpT10_ENKUlT_T0_E_clISt17integral_constantIbLb1EES17_IbLb0EEEEDaS13_S14_EUlS13_E_NS1_11comp_targetILNS1_3genE10ELNS1_11target_archE1200ELNS1_3gpuE4ELNS1_3repE0EEENS1_30default_config_static_selectorELNS0_4arch9wavefront6targetE0EEEvT1_: ; @_ZN7rocprim17ROCPRIM_400000_NS6detail17trampoline_kernelINS0_14default_configENS1_25partition_config_selectorILNS1_17partition_subalgoE6EsNS0_10empty_typeEbEEZZNS1_14partition_implILS5_6ELb0ES3_mN6thrust23THRUST_200600_302600_NS6detail15normal_iteratorINSA_10device_ptrIsEEEEPS6_SG_NS0_5tupleIJSF_S6_EEENSH_IJSG_SG_EEES6_PlJNSB_9not_fun_tINSB_14equal_to_valueIsEEEEEEE10hipError_tPvRmT3_T4_T5_T6_T7_T9_mT8_P12ihipStream_tbDpT10_ENKUlT_T0_E_clISt17integral_constantIbLb1EES17_IbLb0EEEEDaS13_S14_EUlS13_E_NS1_11comp_targetILNS1_3genE10ELNS1_11target_archE1200ELNS1_3gpuE4ELNS1_3repE0EEENS1_30default_config_static_selectorELNS0_4arch9wavefront6targetE0EEEvT1_
; %bb.0:
	s_endpgm
	.section	.rodata,"a",@progbits
	.p2align	6, 0x0
	.amdhsa_kernel _ZN7rocprim17ROCPRIM_400000_NS6detail17trampoline_kernelINS0_14default_configENS1_25partition_config_selectorILNS1_17partition_subalgoE6EsNS0_10empty_typeEbEEZZNS1_14partition_implILS5_6ELb0ES3_mN6thrust23THRUST_200600_302600_NS6detail15normal_iteratorINSA_10device_ptrIsEEEEPS6_SG_NS0_5tupleIJSF_S6_EEENSH_IJSG_SG_EEES6_PlJNSB_9not_fun_tINSB_14equal_to_valueIsEEEEEEE10hipError_tPvRmT3_T4_T5_T6_T7_T9_mT8_P12ihipStream_tbDpT10_ENKUlT_T0_E_clISt17integral_constantIbLb1EES17_IbLb0EEEEDaS13_S14_EUlS13_E_NS1_11comp_targetILNS1_3genE10ELNS1_11target_archE1200ELNS1_3gpuE4ELNS1_3repE0EEENS1_30default_config_static_selectorELNS0_4arch9wavefront6targetE0EEEvT1_
		.amdhsa_group_segment_fixed_size 0
		.amdhsa_private_segment_fixed_size 0
		.amdhsa_kernarg_size 112
		.amdhsa_user_sgpr_count 2
		.amdhsa_user_sgpr_dispatch_ptr 0
		.amdhsa_user_sgpr_queue_ptr 0
		.amdhsa_user_sgpr_kernarg_segment_ptr 1
		.amdhsa_user_sgpr_dispatch_id 0
		.amdhsa_user_sgpr_private_segment_size 0
		.amdhsa_wavefront_size32 1
		.amdhsa_uses_dynamic_stack 0
		.amdhsa_enable_private_segment 0
		.amdhsa_system_sgpr_workgroup_id_x 1
		.amdhsa_system_sgpr_workgroup_id_y 0
		.amdhsa_system_sgpr_workgroup_id_z 0
		.amdhsa_system_sgpr_workgroup_info 0
		.amdhsa_system_vgpr_workitem_id 0
		.amdhsa_next_free_vgpr 1
		.amdhsa_next_free_sgpr 1
		.amdhsa_reserve_vcc 0
		.amdhsa_float_round_mode_32 0
		.amdhsa_float_round_mode_16_64 0
		.amdhsa_float_denorm_mode_32 3
		.amdhsa_float_denorm_mode_16_64 3
		.amdhsa_fp16_overflow 0
		.amdhsa_workgroup_processor_mode 1
		.amdhsa_memory_ordered 1
		.amdhsa_forward_progress 1
		.amdhsa_inst_pref_size 1
		.amdhsa_round_robin_scheduling 0
		.amdhsa_exception_fp_ieee_invalid_op 0
		.amdhsa_exception_fp_denorm_src 0
		.amdhsa_exception_fp_ieee_div_zero 0
		.amdhsa_exception_fp_ieee_overflow 0
		.amdhsa_exception_fp_ieee_underflow 0
		.amdhsa_exception_fp_ieee_inexact 0
		.amdhsa_exception_int_div_zero 0
	.end_amdhsa_kernel
	.section	.text._ZN7rocprim17ROCPRIM_400000_NS6detail17trampoline_kernelINS0_14default_configENS1_25partition_config_selectorILNS1_17partition_subalgoE6EsNS0_10empty_typeEbEEZZNS1_14partition_implILS5_6ELb0ES3_mN6thrust23THRUST_200600_302600_NS6detail15normal_iteratorINSA_10device_ptrIsEEEEPS6_SG_NS0_5tupleIJSF_S6_EEENSH_IJSG_SG_EEES6_PlJNSB_9not_fun_tINSB_14equal_to_valueIsEEEEEEE10hipError_tPvRmT3_T4_T5_T6_T7_T9_mT8_P12ihipStream_tbDpT10_ENKUlT_T0_E_clISt17integral_constantIbLb1EES17_IbLb0EEEEDaS13_S14_EUlS13_E_NS1_11comp_targetILNS1_3genE10ELNS1_11target_archE1200ELNS1_3gpuE4ELNS1_3repE0EEENS1_30default_config_static_selectorELNS0_4arch9wavefront6targetE0EEEvT1_,"axG",@progbits,_ZN7rocprim17ROCPRIM_400000_NS6detail17trampoline_kernelINS0_14default_configENS1_25partition_config_selectorILNS1_17partition_subalgoE6EsNS0_10empty_typeEbEEZZNS1_14partition_implILS5_6ELb0ES3_mN6thrust23THRUST_200600_302600_NS6detail15normal_iteratorINSA_10device_ptrIsEEEEPS6_SG_NS0_5tupleIJSF_S6_EEENSH_IJSG_SG_EEES6_PlJNSB_9not_fun_tINSB_14equal_to_valueIsEEEEEEE10hipError_tPvRmT3_T4_T5_T6_T7_T9_mT8_P12ihipStream_tbDpT10_ENKUlT_T0_E_clISt17integral_constantIbLb1EES17_IbLb0EEEEDaS13_S14_EUlS13_E_NS1_11comp_targetILNS1_3genE10ELNS1_11target_archE1200ELNS1_3gpuE4ELNS1_3repE0EEENS1_30default_config_static_selectorELNS0_4arch9wavefront6targetE0EEEvT1_,comdat
.Lfunc_end522:
	.size	_ZN7rocprim17ROCPRIM_400000_NS6detail17trampoline_kernelINS0_14default_configENS1_25partition_config_selectorILNS1_17partition_subalgoE6EsNS0_10empty_typeEbEEZZNS1_14partition_implILS5_6ELb0ES3_mN6thrust23THRUST_200600_302600_NS6detail15normal_iteratorINSA_10device_ptrIsEEEEPS6_SG_NS0_5tupleIJSF_S6_EEENSH_IJSG_SG_EEES6_PlJNSB_9not_fun_tINSB_14equal_to_valueIsEEEEEEE10hipError_tPvRmT3_T4_T5_T6_T7_T9_mT8_P12ihipStream_tbDpT10_ENKUlT_T0_E_clISt17integral_constantIbLb1EES17_IbLb0EEEEDaS13_S14_EUlS13_E_NS1_11comp_targetILNS1_3genE10ELNS1_11target_archE1200ELNS1_3gpuE4ELNS1_3repE0EEENS1_30default_config_static_selectorELNS0_4arch9wavefront6targetE0EEEvT1_, .Lfunc_end522-_ZN7rocprim17ROCPRIM_400000_NS6detail17trampoline_kernelINS0_14default_configENS1_25partition_config_selectorILNS1_17partition_subalgoE6EsNS0_10empty_typeEbEEZZNS1_14partition_implILS5_6ELb0ES3_mN6thrust23THRUST_200600_302600_NS6detail15normal_iteratorINSA_10device_ptrIsEEEEPS6_SG_NS0_5tupleIJSF_S6_EEENSH_IJSG_SG_EEES6_PlJNSB_9not_fun_tINSB_14equal_to_valueIsEEEEEEE10hipError_tPvRmT3_T4_T5_T6_T7_T9_mT8_P12ihipStream_tbDpT10_ENKUlT_T0_E_clISt17integral_constantIbLb1EES17_IbLb0EEEEDaS13_S14_EUlS13_E_NS1_11comp_targetILNS1_3genE10ELNS1_11target_archE1200ELNS1_3gpuE4ELNS1_3repE0EEENS1_30default_config_static_selectorELNS0_4arch9wavefront6targetE0EEEvT1_
                                        ; -- End function
	.set _ZN7rocprim17ROCPRIM_400000_NS6detail17trampoline_kernelINS0_14default_configENS1_25partition_config_selectorILNS1_17partition_subalgoE6EsNS0_10empty_typeEbEEZZNS1_14partition_implILS5_6ELb0ES3_mN6thrust23THRUST_200600_302600_NS6detail15normal_iteratorINSA_10device_ptrIsEEEEPS6_SG_NS0_5tupleIJSF_S6_EEENSH_IJSG_SG_EEES6_PlJNSB_9not_fun_tINSB_14equal_to_valueIsEEEEEEE10hipError_tPvRmT3_T4_T5_T6_T7_T9_mT8_P12ihipStream_tbDpT10_ENKUlT_T0_E_clISt17integral_constantIbLb1EES17_IbLb0EEEEDaS13_S14_EUlS13_E_NS1_11comp_targetILNS1_3genE10ELNS1_11target_archE1200ELNS1_3gpuE4ELNS1_3repE0EEENS1_30default_config_static_selectorELNS0_4arch9wavefront6targetE0EEEvT1_.num_vgpr, 0
	.set _ZN7rocprim17ROCPRIM_400000_NS6detail17trampoline_kernelINS0_14default_configENS1_25partition_config_selectorILNS1_17partition_subalgoE6EsNS0_10empty_typeEbEEZZNS1_14partition_implILS5_6ELb0ES3_mN6thrust23THRUST_200600_302600_NS6detail15normal_iteratorINSA_10device_ptrIsEEEEPS6_SG_NS0_5tupleIJSF_S6_EEENSH_IJSG_SG_EEES6_PlJNSB_9not_fun_tINSB_14equal_to_valueIsEEEEEEE10hipError_tPvRmT3_T4_T5_T6_T7_T9_mT8_P12ihipStream_tbDpT10_ENKUlT_T0_E_clISt17integral_constantIbLb1EES17_IbLb0EEEEDaS13_S14_EUlS13_E_NS1_11comp_targetILNS1_3genE10ELNS1_11target_archE1200ELNS1_3gpuE4ELNS1_3repE0EEENS1_30default_config_static_selectorELNS0_4arch9wavefront6targetE0EEEvT1_.num_agpr, 0
	.set _ZN7rocprim17ROCPRIM_400000_NS6detail17trampoline_kernelINS0_14default_configENS1_25partition_config_selectorILNS1_17partition_subalgoE6EsNS0_10empty_typeEbEEZZNS1_14partition_implILS5_6ELb0ES3_mN6thrust23THRUST_200600_302600_NS6detail15normal_iteratorINSA_10device_ptrIsEEEEPS6_SG_NS0_5tupleIJSF_S6_EEENSH_IJSG_SG_EEES6_PlJNSB_9not_fun_tINSB_14equal_to_valueIsEEEEEEE10hipError_tPvRmT3_T4_T5_T6_T7_T9_mT8_P12ihipStream_tbDpT10_ENKUlT_T0_E_clISt17integral_constantIbLb1EES17_IbLb0EEEEDaS13_S14_EUlS13_E_NS1_11comp_targetILNS1_3genE10ELNS1_11target_archE1200ELNS1_3gpuE4ELNS1_3repE0EEENS1_30default_config_static_selectorELNS0_4arch9wavefront6targetE0EEEvT1_.numbered_sgpr, 0
	.set _ZN7rocprim17ROCPRIM_400000_NS6detail17trampoline_kernelINS0_14default_configENS1_25partition_config_selectorILNS1_17partition_subalgoE6EsNS0_10empty_typeEbEEZZNS1_14partition_implILS5_6ELb0ES3_mN6thrust23THRUST_200600_302600_NS6detail15normal_iteratorINSA_10device_ptrIsEEEEPS6_SG_NS0_5tupleIJSF_S6_EEENSH_IJSG_SG_EEES6_PlJNSB_9not_fun_tINSB_14equal_to_valueIsEEEEEEE10hipError_tPvRmT3_T4_T5_T6_T7_T9_mT8_P12ihipStream_tbDpT10_ENKUlT_T0_E_clISt17integral_constantIbLb1EES17_IbLb0EEEEDaS13_S14_EUlS13_E_NS1_11comp_targetILNS1_3genE10ELNS1_11target_archE1200ELNS1_3gpuE4ELNS1_3repE0EEENS1_30default_config_static_selectorELNS0_4arch9wavefront6targetE0EEEvT1_.num_named_barrier, 0
	.set _ZN7rocprim17ROCPRIM_400000_NS6detail17trampoline_kernelINS0_14default_configENS1_25partition_config_selectorILNS1_17partition_subalgoE6EsNS0_10empty_typeEbEEZZNS1_14partition_implILS5_6ELb0ES3_mN6thrust23THRUST_200600_302600_NS6detail15normal_iteratorINSA_10device_ptrIsEEEEPS6_SG_NS0_5tupleIJSF_S6_EEENSH_IJSG_SG_EEES6_PlJNSB_9not_fun_tINSB_14equal_to_valueIsEEEEEEE10hipError_tPvRmT3_T4_T5_T6_T7_T9_mT8_P12ihipStream_tbDpT10_ENKUlT_T0_E_clISt17integral_constantIbLb1EES17_IbLb0EEEEDaS13_S14_EUlS13_E_NS1_11comp_targetILNS1_3genE10ELNS1_11target_archE1200ELNS1_3gpuE4ELNS1_3repE0EEENS1_30default_config_static_selectorELNS0_4arch9wavefront6targetE0EEEvT1_.private_seg_size, 0
	.set _ZN7rocprim17ROCPRIM_400000_NS6detail17trampoline_kernelINS0_14default_configENS1_25partition_config_selectorILNS1_17partition_subalgoE6EsNS0_10empty_typeEbEEZZNS1_14partition_implILS5_6ELb0ES3_mN6thrust23THRUST_200600_302600_NS6detail15normal_iteratorINSA_10device_ptrIsEEEEPS6_SG_NS0_5tupleIJSF_S6_EEENSH_IJSG_SG_EEES6_PlJNSB_9not_fun_tINSB_14equal_to_valueIsEEEEEEE10hipError_tPvRmT3_T4_T5_T6_T7_T9_mT8_P12ihipStream_tbDpT10_ENKUlT_T0_E_clISt17integral_constantIbLb1EES17_IbLb0EEEEDaS13_S14_EUlS13_E_NS1_11comp_targetILNS1_3genE10ELNS1_11target_archE1200ELNS1_3gpuE4ELNS1_3repE0EEENS1_30default_config_static_selectorELNS0_4arch9wavefront6targetE0EEEvT1_.uses_vcc, 0
	.set _ZN7rocprim17ROCPRIM_400000_NS6detail17trampoline_kernelINS0_14default_configENS1_25partition_config_selectorILNS1_17partition_subalgoE6EsNS0_10empty_typeEbEEZZNS1_14partition_implILS5_6ELb0ES3_mN6thrust23THRUST_200600_302600_NS6detail15normal_iteratorINSA_10device_ptrIsEEEEPS6_SG_NS0_5tupleIJSF_S6_EEENSH_IJSG_SG_EEES6_PlJNSB_9not_fun_tINSB_14equal_to_valueIsEEEEEEE10hipError_tPvRmT3_T4_T5_T6_T7_T9_mT8_P12ihipStream_tbDpT10_ENKUlT_T0_E_clISt17integral_constantIbLb1EES17_IbLb0EEEEDaS13_S14_EUlS13_E_NS1_11comp_targetILNS1_3genE10ELNS1_11target_archE1200ELNS1_3gpuE4ELNS1_3repE0EEENS1_30default_config_static_selectorELNS0_4arch9wavefront6targetE0EEEvT1_.uses_flat_scratch, 0
	.set _ZN7rocprim17ROCPRIM_400000_NS6detail17trampoline_kernelINS0_14default_configENS1_25partition_config_selectorILNS1_17partition_subalgoE6EsNS0_10empty_typeEbEEZZNS1_14partition_implILS5_6ELb0ES3_mN6thrust23THRUST_200600_302600_NS6detail15normal_iteratorINSA_10device_ptrIsEEEEPS6_SG_NS0_5tupleIJSF_S6_EEENSH_IJSG_SG_EEES6_PlJNSB_9not_fun_tINSB_14equal_to_valueIsEEEEEEE10hipError_tPvRmT3_T4_T5_T6_T7_T9_mT8_P12ihipStream_tbDpT10_ENKUlT_T0_E_clISt17integral_constantIbLb1EES17_IbLb0EEEEDaS13_S14_EUlS13_E_NS1_11comp_targetILNS1_3genE10ELNS1_11target_archE1200ELNS1_3gpuE4ELNS1_3repE0EEENS1_30default_config_static_selectorELNS0_4arch9wavefront6targetE0EEEvT1_.has_dyn_sized_stack, 0
	.set _ZN7rocprim17ROCPRIM_400000_NS6detail17trampoline_kernelINS0_14default_configENS1_25partition_config_selectorILNS1_17partition_subalgoE6EsNS0_10empty_typeEbEEZZNS1_14partition_implILS5_6ELb0ES3_mN6thrust23THRUST_200600_302600_NS6detail15normal_iteratorINSA_10device_ptrIsEEEEPS6_SG_NS0_5tupleIJSF_S6_EEENSH_IJSG_SG_EEES6_PlJNSB_9not_fun_tINSB_14equal_to_valueIsEEEEEEE10hipError_tPvRmT3_T4_T5_T6_T7_T9_mT8_P12ihipStream_tbDpT10_ENKUlT_T0_E_clISt17integral_constantIbLb1EES17_IbLb0EEEEDaS13_S14_EUlS13_E_NS1_11comp_targetILNS1_3genE10ELNS1_11target_archE1200ELNS1_3gpuE4ELNS1_3repE0EEENS1_30default_config_static_selectorELNS0_4arch9wavefront6targetE0EEEvT1_.has_recursion, 0
	.set _ZN7rocprim17ROCPRIM_400000_NS6detail17trampoline_kernelINS0_14default_configENS1_25partition_config_selectorILNS1_17partition_subalgoE6EsNS0_10empty_typeEbEEZZNS1_14partition_implILS5_6ELb0ES3_mN6thrust23THRUST_200600_302600_NS6detail15normal_iteratorINSA_10device_ptrIsEEEEPS6_SG_NS0_5tupleIJSF_S6_EEENSH_IJSG_SG_EEES6_PlJNSB_9not_fun_tINSB_14equal_to_valueIsEEEEEEE10hipError_tPvRmT3_T4_T5_T6_T7_T9_mT8_P12ihipStream_tbDpT10_ENKUlT_T0_E_clISt17integral_constantIbLb1EES17_IbLb0EEEEDaS13_S14_EUlS13_E_NS1_11comp_targetILNS1_3genE10ELNS1_11target_archE1200ELNS1_3gpuE4ELNS1_3repE0EEENS1_30default_config_static_selectorELNS0_4arch9wavefront6targetE0EEEvT1_.has_indirect_call, 0
	.section	.AMDGPU.csdata,"",@progbits
; Kernel info:
; codeLenInByte = 4
; TotalNumSgprs: 0
; NumVgprs: 0
; ScratchSize: 0
; MemoryBound: 0
; FloatMode: 240
; IeeeMode: 1
; LDSByteSize: 0 bytes/workgroup (compile time only)
; SGPRBlocks: 0
; VGPRBlocks: 0
; NumSGPRsForWavesPerEU: 1
; NumVGPRsForWavesPerEU: 1
; Occupancy: 16
; WaveLimiterHint : 0
; COMPUTE_PGM_RSRC2:SCRATCH_EN: 0
; COMPUTE_PGM_RSRC2:USER_SGPR: 2
; COMPUTE_PGM_RSRC2:TRAP_HANDLER: 0
; COMPUTE_PGM_RSRC2:TGID_X_EN: 1
; COMPUTE_PGM_RSRC2:TGID_Y_EN: 0
; COMPUTE_PGM_RSRC2:TGID_Z_EN: 0
; COMPUTE_PGM_RSRC2:TIDIG_COMP_CNT: 0
	.section	.text._ZN7rocprim17ROCPRIM_400000_NS6detail17trampoline_kernelINS0_14default_configENS1_25partition_config_selectorILNS1_17partition_subalgoE6EsNS0_10empty_typeEbEEZZNS1_14partition_implILS5_6ELb0ES3_mN6thrust23THRUST_200600_302600_NS6detail15normal_iteratorINSA_10device_ptrIsEEEEPS6_SG_NS0_5tupleIJSF_S6_EEENSH_IJSG_SG_EEES6_PlJNSB_9not_fun_tINSB_14equal_to_valueIsEEEEEEE10hipError_tPvRmT3_T4_T5_T6_T7_T9_mT8_P12ihipStream_tbDpT10_ENKUlT_T0_E_clISt17integral_constantIbLb1EES17_IbLb0EEEEDaS13_S14_EUlS13_E_NS1_11comp_targetILNS1_3genE9ELNS1_11target_archE1100ELNS1_3gpuE3ELNS1_3repE0EEENS1_30default_config_static_selectorELNS0_4arch9wavefront6targetE0EEEvT1_,"axG",@progbits,_ZN7rocprim17ROCPRIM_400000_NS6detail17trampoline_kernelINS0_14default_configENS1_25partition_config_selectorILNS1_17partition_subalgoE6EsNS0_10empty_typeEbEEZZNS1_14partition_implILS5_6ELb0ES3_mN6thrust23THRUST_200600_302600_NS6detail15normal_iteratorINSA_10device_ptrIsEEEEPS6_SG_NS0_5tupleIJSF_S6_EEENSH_IJSG_SG_EEES6_PlJNSB_9not_fun_tINSB_14equal_to_valueIsEEEEEEE10hipError_tPvRmT3_T4_T5_T6_T7_T9_mT8_P12ihipStream_tbDpT10_ENKUlT_T0_E_clISt17integral_constantIbLb1EES17_IbLb0EEEEDaS13_S14_EUlS13_E_NS1_11comp_targetILNS1_3genE9ELNS1_11target_archE1100ELNS1_3gpuE3ELNS1_3repE0EEENS1_30default_config_static_selectorELNS0_4arch9wavefront6targetE0EEEvT1_,comdat
	.protected	_ZN7rocprim17ROCPRIM_400000_NS6detail17trampoline_kernelINS0_14default_configENS1_25partition_config_selectorILNS1_17partition_subalgoE6EsNS0_10empty_typeEbEEZZNS1_14partition_implILS5_6ELb0ES3_mN6thrust23THRUST_200600_302600_NS6detail15normal_iteratorINSA_10device_ptrIsEEEEPS6_SG_NS0_5tupleIJSF_S6_EEENSH_IJSG_SG_EEES6_PlJNSB_9not_fun_tINSB_14equal_to_valueIsEEEEEEE10hipError_tPvRmT3_T4_T5_T6_T7_T9_mT8_P12ihipStream_tbDpT10_ENKUlT_T0_E_clISt17integral_constantIbLb1EES17_IbLb0EEEEDaS13_S14_EUlS13_E_NS1_11comp_targetILNS1_3genE9ELNS1_11target_archE1100ELNS1_3gpuE3ELNS1_3repE0EEENS1_30default_config_static_selectorELNS0_4arch9wavefront6targetE0EEEvT1_ ; -- Begin function _ZN7rocprim17ROCPRIM_400000_NS6detail17trampoline_kernelINS0_14default_configENS1_25partition_config_selectorILNS1_17partition_subalgoE6EsNS0_10empty_typeEbEEZZNS1_14partition_implILS5_6ELb0ES3_mN6thrust23THRUST_200600_302600_NS6detail15normal_iteratorINSA_10device_ptrIsEEEEPS6_SG_NS0_5tupleIJSF_S6_EEENSH_IJSG_SG_EEES6_PlJNSB_9not_fun_tINSB_14equal_to_valueIsEEEEEEE10hipError_tPvRmT3_T4_T5_T6_T7_T9_mT8_P12ihipStream_tbDpT10_ENKUlT_T0_E_clISt17integral_constantIbLb1EES17_IbLb0EEEEDaS13_S14_EUlS13_E_NS1_11comp_targetILNS1_3genE9ELNS1_11target_archE1100ELNS1_3gpuE3ELNS1_3repE0EEENS1_30default_config_static_selectorELNS0_4arch9wavefront6targetE0EEEvT1_
	.globl	_ZN7rocprim17ROCPRIM_400000_NS6detail17trampoline_kernelINS0_14default_configENS1_25partition_config_selectorILNS1_17partition_subalgoE6EsNS0_10empty_typeEbEEZZNS1_14partition_implILS5_6ELb0ES3_mN6thrust23THRUST_200600_302600_NS6detail15normal_iteratorINSA_10device_ptrIsEEEEPS6_SG_NS0_5tupleIJSF_S6_EEENSH_IJSG_SG_EEES6_PlJNSB_9not_fun_tINSB_14equal_to_valueIsEEEEEEE10hipError_tPvRmT3_T4_T5_T6_T7_T9_mT8_P12ihipStream_tbDpT10_ENKUlT_T0_E_clISt17integral_constantIbLb1EES17_IbLb0EEEEDaS13_S14_EUlS13_E_NS1_11comp_targetILNS1_3genE9ELNS1_11target_archE1100ELNS1_3gpuE3ELNS1_3repE0EEENS1_30default_config_static_selectorELNS0_4arch9wavefront6targetE0EEEvT1_
	.p2align	8
	.type	_ZN7rocprim17ROCPRIM_400000_NS6detail17trampoline_kernelINS0_14default_configENS1_25partition_config_selectorILNS1_17partition_subalgoE6EsNS0_10empty_typeEbEEZZNS1_14partition_implILS5_6ELb0ES3_mN6thrust23THRUST_200600_302600_NS6detail15normal_iteratorINSA_10device_ptrIsEEEEPS6_SG_NS0_5tupleIJSF_S6_EEENSH_IJSG_SG_EEES6_PlJNSB_9not_fun_tINSB_14equal_to_valueIsEEEEEEE10hipError_tPvRmT3_T4_T5_T6_T7_T9_mT8_P12ihipStream_tbDpT10_ENKUlT_T0_E_clISt17integral_constantIbLb1EES17_IbLb0EEEEDaS13_S14_EUlS13_E_NS1_11comp_targetILNS1_3genE9ELNS1_11target_archE1100ELNS1_3gpuE3ELNS1_3repE0EEENS1_30default_config_static_selectorELNS0_4arch9wavefront6targetE0EEEvT1_,@function
_ZN7rocprim17ROCPRIM_400000_NS6detail17trampoline_kernelINS0_14default_configENS1_25partition_config_selectorILNS1_17partition_subalgoE6EsNS0_10empty_typeEbEEZZNS1_14partition_implILS5_6ELb0ES3_mN6thrust23THRUST_200600_302600_NS6detail15normal_iteratorINSA_10device_ptrIsEEEEPS6_SG_NS0_5tupleIJSF_S6_EEENSH_IJSG_SG_EEES6_PlJNSB_9not_fun_tINSB_14equal_to_valueIsEEEEEEE10hipError_tPvRmT3_T4_T5_T6_T7_T9_mT8_P12ihipStream_tbDpT10_ENKUlT_T0_E_clISt17integral_constantIbLb1EES17_IbLb0EEEEDaS13_S14_EUlS13_E_NS1_11comp_targetILNS1_3genE9ELNS1_11target_archE1100ELNS1_3gpuE3ELNS1_3repE0EEENS1_30default_config_static_selectorELNS0_4arch9wavefront6targetE0EEEvT1_: ; @_ZN7rocprim17ROCPRIM_400000_NS6detail17trampoline_kernelINS0_14default_configENS1_25partition_config_selectorILNS1_17partition_subalgoE6EsNS0_10empty_typeEbEEZZNS1_14partition_implILS5_6ELb0ES3_mN6thrust23THRUST_200600_302600_NS6detail15normal_iteratorINSA_10device_ptrIsEEEEPS6_SG_NS0_5tupleIJSF_S6_EEENSH_IJSG_SG_EEES6_PlJNSB_9not_fun_tINSB_14equal_to_valueIsEEEEEEE10hipError_tPvRmT3_T4_T5_T6_T7_T9_mT8_P12ihipStream_tbDpT10_ENKUlT_T0_E_clISt17integral_constantIbLb1EES17_IbLb0EEEEDaS13_S14_EUlS13_E_NS1_11comp_targetILNS1_3genE9ELNS1_11target_archE1100ELNS1_3gpuE3ELNS1_3repE0EEENS1_30default_config_static_selectorELNS0_4arch9wavefront6targetE0EEEvT1_
; %bb.0:
	.section	.rodata,"a",@progbits
	.p2align	6, 0x0
	.amdhsa_kernel _ZN7rocprim17ROCPRIM_400000_NS6detail17trampoline_kernelINS0_14default_configENS1_25partition_config_selectorILNS1_17partition_subalgoE6EsNS0_10empty_typeEbEEZZNS1_14partition_implILS5_6ELb0ES3_mN6thrust23THRUST_200600_302600_NS6detail15normal_iteratorINSA_10device_ptrIsEEEEPS6_SG_NS0_5tupleIJSF_S6_EEENSH_IJSG_SG_EEES6_PlJNSB_9not_fun_tINSB_14equal_to_valueIsEEEEEEE10hipError_tPvRmT3_T4_T5_T6_T7_T9_mT8_P12ihipStream_tbDpT10_ENKUlT_T0_E_clISt17integral_constantIbLb1EES17_IbLb0EEEEDaS13_S14_EUlS13_E_NS1_11comp_targetILNS1_3genE9ELNS1_11target_archE1100ELNS1_3gpuE3ELNS1_3repE0EEENS1_30default_config_static_selectorELNS0_4arch9wavefront6targetE0EEEvT1_
		.amdhsa_group_segment_fixed_size 0
		.amdhsa_private_segment_fixed_size 0
		.amdhsa_kernarg_size 112
		.amdhsa_user_sgpr_count 2
		.amdhsa_user_sgpr_dispatch_ptr 0
		.amdhsa_user_sgpr_queue_ptr 0
		.amdhsa_user_sgpr_kernarg_segment_ptr 1
		.amdhsa_user_sgpr_dispatch_id 0
		.amdhsa_user_sgpr_private_segment_size 0
		.amdhsa_wavefront_size32 1
		.amdhsa_uses_dynamic_stack 0
		.amdhsa_enable_private_segment 0
		.amdhsa_system_sgpr_workgroup_id_x 1
		.amdhsa_system_sgpr_workgroup_id_y 0
		.amdhsa_system_sgpr_workgroup_id_z 0
		.amdhsa_system_sgpr_workgroup_info 0
		.amdhsa_system_vgpr_workitem_id 0
		.amdhsa_next_free_vgpr 1
		.amdhsa_next_free_sgpr 1
		.amdhsa_reserve_vcc 0
		.amdhsa_float_round_mode_32 0
		.amdhsa_float_round_mode_16_64 0
		.amdhsa_float_denorm_mode_32 3
		.amdhsa_float_denorm_mode_16_64 3
		.amdhsa_fp16_overflow 0
		.amdhsa_workgroup_processor_mode 1
		.amdhsa_memory_ordered 1
		.amdhsa_forward_progress 1
		.amdhsa_inst_pref_size 0
		.amdhsa_round_robin_scheduling 0
		.amdhsa_exception_fp_ieee_invalid_op 0
		.amdhsa_exception_fp_denorm_src 0
		.amdhsa_exception_fp_ieee_div_zero 0
		.amdhsa_exception_fp_ieee_overflow 0
		.amdhsa_exception_fp_ieee_underflow 0
		.amdhsa_exception_fp_ieee_inexact 0
		.amdhsa_exception_int_div_zero 0
	.end_amdhsa_kernel
	.section	.text._ZN7rocprim17ROCPRIM_400000_NS6detail17trampoline_kernelINS0_14default_configENS1_25partition_config_selectorILNS1_17partition_subalgoE6EsNS0_10empty_typeEbEEZZNS1_14partition_implILS5_6ELb0ES3_mN6thrust23THRUST_200600_302600_NS6detail15normal_iteratorINSA_10device_ptrIsEEEEPS6_SG_NS0_5tupleIJSF_S6_EEENSH_IJSG_SG_EEES6_PlJNSB_9not_fun_tINSB_14equal_to_valueIsEEEEEEE10hipError_tPvRmT3_T4_T5_T6_T7_T9_mT8_P12ihipStream_tbDpT10_ENKUlT_T0_E_clISt17integral_constantIbLb1EES17_IbLb0EEEEDaS13_S14_EUlS13_E_NS1_11comp_targetILNS1_3genE9ELNS1_11target_archE1100ELNS1_3gpuE3ELNS1_3repE0EEENS1_30default_config_static_selectorELNS0_4arch9wavefront6targetE0EEEvT1_,"axG",@progbits,_ZN7rocprim17ROCPRIM_400000_NS6detail17trampoline_kernelINS0_14default_configENS1_25partition_config_selectorILNS1_17partition_subalgoE6EsNS0_10empty_typeEbEEZZNS1_14partition_implILS5_6ELb0ES3_mN6thrust23THRUST_200600_302600_NS6detail15normal_iteratorINSA_10device_ptrIsEEEEPS6_SG_NS0_5tupleIJSF_S6_EEENSH_IJSG_SG_EEES6_PlJNSB_9not_fun_tINSB_14equal_to_valueIsEEEEEEE10hipError_tPvRmT3_T4_T5_T6_T7_T9_mT8_P12ihipStream_tbDpT10_ENKUlT_T0_E_clISt17integral_constantIbLb1EES17_IbLb0EEEEDaS13_S14_EUlS13_E_NS1_11comp_targetILNS1_3genE9ELNS1_11target_archE1100ELNS1_3gpuE3ELNS1_3repE0EEENS1_30default_config_static_selectorELNS0_4arch9wavefront6targetE0EEEvT1_,comdat
.Lfunc_end523:
	.size	_ZN7rocprim17ROCPRIM_400000_NS6detail17trampoline_kernelINS0_14default_configENS1_25partition_config_selectorILNS1_17partition_subalgoE6EsNS0_10empty_typeEbEEZZNS1_14partition_implILS5_6ELb0ES3_mN6thrust23THRUST_200600_302600_NS6detail15normal_iteratorINSA_10device_ptrIsEEEEPS6_SG_NS0_5tupleIJSF_S6_EEENSH_IJSG_SG_EEES6_PlJNSB_9not_fun_tINSB_14equal_to_valueIsEEEEEEE10hipError_tPvRmT3_T4_T5_T6_T7_T9_mT8_P12ihipStream_tbDpT10_ENKUlT_T0_E_clISt17integral_constantIbLb1EES17_IbLb0EEEEDaS13_S14_EUlS13_E_NS1_11comp_targetILNS1_3genE9ELNS1_11target_archE1100ELNS1_3gpuE3ELNS1_3repE0EEENS1_30default_config_static_selectorELNS0_4arch9wavefront6targetE0EEEvT1_, .Lfunc_end523-_ZN7rocprim17ROCPRIM_400000_NS6detail17trampoline_kernelINS0_14default_configENS1_25partition_config_selectorILNS1_17partition_subalgoE6EsNS0_10empty_typeEbEEZZNS1_14partition_implILS5_6ELb0ES3_mN6thrust23THRUST_200600_302600_NS6detail15normal_iteratorINSA_10device_ptrIsEEEEPS6_SG_NS0_5tupleIJSF_S6_EEENSH_IJSG_SG_EEES6_PlJNSB_9not_fun_tINSB_14equal_to_valueIsEEEEEEE10hipError_tPvRmT3_T4_T5_T6_T7_T9_mT8_P12ihipStream_tbDpT10_ENKUlT_T0_E_clISt17integral_constantIbLb1EES17_IbLb0EEEEDaS13_S14_EUlS13_E_NS1_11comp_targetILNS1_3genE9ELNS1_11target_archE1100ELNS1_3gpuE3ELNS1_3repE0EEENS1_30default_config_static_selectorELNS0_4arch9wavefront6targetE0EEEvT1_
                                        ; -- End function
	.set _ZN7rocprim17ROCPRIM_400000_NS6detail17trampoline_kernelINS0_14default_configENS1_25partition_config_selectorILNS1_17partition_subalgoE6EsNS0_10empty_typeEbEEZZNS1_14partition_implILS5_6ELb0ES3_mN6thrust23THRUST_200600_302600_NS6detail15normal_iteratorINSA_10device_ptrIsEEEEPS6_SG_NS0_5tupleIJSF_S6_EEENSH_IJSG_SG_EEES6_PlJNSB_9not_fun_tINSB_14equal_to_valueIsEEEEEEE10hipError_tPvRmT3_T4_T5_T6_T7_T9_mT8_P12ihipStream_tbDpT10_ENKUlT_T0_E_clISt17integral_constantIbLb1EES17_IbLb0EEEEDaS13_S14_EUlS13_E_NS1_11comp_targetILNS1_3genE9ELNS1_11target_archE1100ELNS1_3gpuE3ELNS1_3repE0EEENS1_30default_config_static_selectorELNS0_4arch9wavefront6targetE0EEEvT1_.num_vgpr, 0
	.set _ZN7rocprim17ROCPRIM_400000_NS6detail17trampoline_kernelINS0_14default_configENS1_25partition_config_selectorILNS1_17partition_subalgoE6EsNS0_10empty_typeEbEEZZNS1_14partition_implILS5_6ELb0ES3_mN6thrust23THRUST_200600_302600_NS6detail15normal_iteratorINSA_10device_ptrIsEEEEPS6_SG_NS0_5tupleIJSF_S6_EEENSH_IJSG_SG_EEES6_PlJNSB_9not_fun_tINSB_14equal_to_valueIsEEEEEEE10hipError_tPvRmT3_T4_T5_T6_T7_T9_mT8_P12ihipStream_tbDpT10_ENKUlT_T0_E_clISt17integral_constantIbLb1EES17_IbLb0EEEEDaS13_S14_EUlS13_E_NS1_11comp_targetILNS1_3genE9ELNS1_11target_archE1100ELNS1_3gpuE3ELNS1_3repE0EEENS1_30default_config_static_selectorELNS0_4arch9wavefront6targetE0EEEvT1_.num_agpr, 0
	.set _ZN7rocprim17ROCPRIM_400000_NS6detail17trampoline_kernelINS0_14default_configENS1_25partition_config_selectorILNS1_17partition_subalgoE6EsNS0_10empty_typeEbEEZZNS1_14partition_implILS5_6ELb0ES3_mN6thrust23THRUST_200600_302600_NS6detail15normal_iteratorINSA_10device_ptrIsEEEEPS6_SG_NS0_5tupleIJSF_S6_EEENSH_IJSG_SG_EEES6_PlJNSB_9not_fun_tINSB_14equal_to_valueIsEEEEEEE10hipError_tPvRmT3_T4_T5_T6_T7_T9_mT8_P12ihipStream_tbDpT10_ENKUlT_T0_E_clISt17integral_constantIbLb1EES17_IbLb0EEEEDaS13_S14_EUlS13_E_NS1_11comp_targetILNS1_3genE9ELNS1_11target_archE1100ELNS1_3gpuE3ELNS1_3repE0EEENS1_30default_config_static_selectorELNS0_4arch9wavefront6targetE0EEEvT1_.numbered_sgpr, 0
	.set _ZN7rocprim17ROCPRIM_400000_NS6detail17trampoline_kernelINS0_14default_configENS1_25partition_config_selectorILNS1_17partition_subalgoE6EsNS0_10empty_typeEbEEZZNS1_14partition_implILS5_6ELb0ES3_mN6thrust23THRUST_200600_302600_NS6detail15normal_iteratorINSA_10device_ptrIsEEEEPS6_SG_NS0_5tupleIJSF_S6_EEENSH_IJSG_SG_EEES6_PlJNSB_9not_fun_tINSB_14equal_to_valueIsEEEEEEE10hipError_tPvRmT3_T4_T5_T6_T7_T9_mT8_P12ihipStream_tbDpT10_ENKUlT_T0_E_clISt17integral_constantIbLb1EES17_IbLb0EEEEDaS13_S14_EUlS13_E_NS1_11comp_targetILNS1_3genE9ELNS1_11target_archE1100ELNS1_3gpuE3ELNS1_3repE0EEENS1_30default_config_static_selectorELNS0_4arch9wavefront6targetE0EEEvT1_.num_named_barrier, 0
	.set _ZN7rocprim17ROCPRIM_400000_NS6detail17trampoline_kernelINS0_14default_configENS1_25partition_config_selectorILNS1_17partition_subalgoE6EsNS0_10empty_typeEbEEZZNS1_14partition_implILS5_6ELb0ES3_mN6thrust23THRUST_200600_302600_NS6detail15normal_iteratorINSA_10device_ptrIsEEEEPS6_SG_NS0_5tupleIJSF_S6_EEENSH_IJSG_SG_EEES6_PlJNSB_9not_fun_tINSB_14equal_to_valueIsEEEEEEE10hipError_tPvRmT3_T4_T5_T6_T7_T9_mT8_P12ihipStream_tbDpT10_ENKUlT_T0_E_clISt17integral_constantIbLb1EES17_IbLb0EEEEDaS13_S14_EUlS13_E_NS1_11comp_targetILNS1_3genE9ELNS1_11target_archE1100ELNS1_3gpuE3ELNS1_3repE0EEENS1_30default_config_static_selectorELNS0_4arch9wavefront6targetE0EEEvT1_.private_seg_size, 0
	.set _ZN7rocprim17ROCPRIM_400000_NS6detail17trampoline_kernelINS0_14default_configENS1_25partition_config_selectorILNS1_17partition_subalgoE6EsNS0_10empty_typeEbEEZZNS1_14partition_implILS5_6ELb0ES3_mN6thrust23THRUST_200600_302600_NS6detail15normal_iteratorINSA_10device_ptrIsEEEEPS6_SG_NS0_5tupleIJSF_S6_EEENSH_IJSG_SG_EEES6_PlJNSB_9not_fun_tINSB_14equal_to_valueIsEEEEEEE10hipError_tPvRmT3_T4_T5_T6_T7_T9_mT8_P12ihipStream_tbDpT10_ENKUlT_T0_E_clISt17integral_constantIbLb1EES17_IbLb0EEEEDaS13_S14_EUlS13_E_NS1_11comp_targetILNS1_3genE9ELNS1_11target_archE1100ELNS1_3gpuE3ELNS1_3repE0EEENS1_30default_config_static_selectorELNS0_4arch9wavefront6targetE0EEEvT1_.uses_vcc, 0
	.set _ZN7rocprim17ROCPRIM_400000_NS6detail17trampoline_kernelINS0_14default_configENS1_25partition_config_selectorILNS1_17partition_subalgoE6EsNS0_10empty_typeEbEEZZNS1_14partition_implILS5_6ELb0ES3_mN6thrust23THRUST_200600_302600_NS6detail15normal_iteratorINSA_10device_ptrIsEEEEPS6_SG_NS0_5tupleIJSF_S6_EEENSH_IJSG_SG_EEES6_PlJNSB_9not_fun_tINSB_14equal_to_valueIsEEEEEEE10hipError_tPvRmT3_T4_T5_T6_T7_T9_mT8_P12ihipStream_tbDpT10_ENKUlT_T0_E_clISt17integral_constantIbLb1EES17_IbLb0EEEEDaS13_S14_EUlS13_E_NS1_11comp_targetILNS1_3genE9ELNS1_11target_archE1100ELNS1_3gpuE3ELNS1_3repE0EEENS1_30default_config_static_selectorELNS0_4arch9wavefront6targetE0EEEvT1_.uses_flat_scratch, 0
	.set _ZN7rocprim17ROCPRIM_400000_NS6detail17trampoline_kernelINS0_14default_configENS1_25partition_config_selectorILNS1_17partition_subalgoE6EsNS0_10empty_typeEbEEZZNS1_14partition_implILS5_6ELb0ES3_mN6thrust23THRUST_200600_302600_NS6detail15normal_iteratorINSA_10device_ptrIsEEEEPS6_SG_NS0_5tupleIJSF_S6_EEENSH_IJSG_SG_EEES6_PlJNSB_9not_fun_tINSB_14equal_to_valueIsEEEEEEE10hipError_tPvRmT3_T4_T5_T6_T7_T9_mT8_P12ihipStream_tbDpT10_ENKUlT_T0_E_clISt17integral_constantIbLb1EES17_IbLb0EEEEDaS13_S14_EUlS13_E_NS1_11comp_targetILNS1_3genE9ELNS1_11target_archE1100ELNS1_3gpuE3ELNS1_3repE0EEENS1_30default_config_static_selectorELNS0_4arch9wavefront6targetE0EEEvT1_.has_dyn_sized_stack, 0
	.set _ZN7rocprim17ROCPRIM_400000_NS6detail17trampoline_kernelINS0_14default_configENS1_25partition_config_selectorILNS1_17partition_subalgoE6EsNS0_10empty_typeEbEEZZNS1_14partition_implILS5_6ELb0ES3_mN6thrust23THRUST_200600_302600_NS6detail15normal_iteratorINSA_10device_ptrIsEEEEPS6_SG_NS0_5tupleIJSF_S6_EEENSH_IJSG_SG_EEES6_PlJNSB_9not_fun_tINSB_14equal_to_valueIsEEEEEEE10hipError_tPvRmT3_T4_T5_T6_T7_T9_mT8_P12ihipStream_tbDpT10_ENKUlT_T0_E_clISt17integral_constantIbLb1EES17_IbLb0EEEEDaS13_S14_EUlS13_E_NS1_11comp_targetILNS1_3genE9ELNS1_11target_archE1100ELNS1_3gpuE3ELNS1_3repE0EEENS1_30default_config_static_selectorELNS0_4arch9wavefront6targetE0EEEvT1_.has_recursion, 0
	.set _ZN7rocprim17ROCPRIM_400000_NS6detail17trampoline_kernelINS0_14default_configENS1_25partition_config_selectorILNS1_17partition_subalgoE6EsNS0_10empty_typeEbEEZZNS1_14partition_implILS5_6ELb0ES3_mN6thrust23THRUST_200600_302600_NS6detail15normal_iteratorINSA_10device_ptrIsEEEEPS6_SG_NS0_5tupleIJSF_S6_EEENSH_IJSG_SG_EEES6_PlJNSB_9not_fun_tINSB_14equal_to_valueIsEEEEEEE10hipError_tPvRmT3_T4_T5_T6_T7_T9_mT8_P12ihipStream_tbDpT10_ENKUlT_T0_E_clISt17integral_constantIbLb1EES17_IbLb0EEEEDaS13_S14_EUlS13_E_NS1_11comp_targetILNS1_3genE9ELNS1_11target_archE1100ELNS1_3gpuE3ELNS1_3repE0EEENS1_30default_config_static_selectorELNS0_4arch9wavefront6targetE0EEEvT1_.has_indirect_call, 0
	.section	.AMDGPU.csdata,"",@progbits
; Kernel info:
; codeLenInByte = 0
; TotalNumSgprs: 0
; NumVgprs: 0
; ScratchSize: 0
; MemoryBound: 0
; FloatMode: 240
; IeeeMode: 1
; LDSByteSize: 0 bytes/workgroup (compile time only)
; SGPRBlocks: 0
; VGPRBlocks: 0
; NumSGPRsForWavesPerEU: 1
; NumVGPRsForWavesPerEU: 1
; Occupancy: 16
; WaveLimiterHint : 0
; COMPUTE_PGM_RSRC2:SCRATCH_EN: 0
; COMPUTE_PGM_RSRC2:USER_SGPR: 2
; COMPUTE_PGM_RSRC2:TRAP_HANDLER: 0
; COMPUTE_PGM_RSRC2:TGID_X_EN: 1
; COMPUTE_PGM_RSRC2:TGID_Y_EN: 0
; COMPUTE_PGM_RSRC2:TGID_Z_EN: 0
; COMPUTE_PGM_RSRC2:TIDIG_COMP_CNT: 0
	.section	.text._ZN7rocprim17ROCPRIM_400000_NS6detail17trampoline_kernelINS0_14default_configENS1_25partition_config_selectorILNS1_17partition_subalgoE6EsNS0_10empty_typeEbEEZZNS1_14partition_implILS5_6ELb0ES3_mN6thrust23THRUST_200600_302600_NS6detail15normal_iteratorINSA_10device_ptrIsEEEEPS6_SG_NS0_5tupleIJSF_S6_EEENSH_IJSG_SG_EEES6_PlJNSB_9not_fun_tINSB_14equal_to_valueIsEEEEEEE10hipError_tPvRmT3_T4_T5_T6_T7_T9_mT8_P12ihipStream_tbDpT10_ENKUlT_T0_E_clISt17integral_constantIbLb1EES17_IbLb0EEEEDaS13_S14_EUlS13_E_NS1_11comp_targetILNS1_3genE8ELNS1_11target_archE1030ELNS1_3gpuE2ELNS1_3repE0EEENS1_30default_config_static_selectorELNS0_4arch9wavefront6targetE0EEEvT1_,"axG",@progbits,_ZN7rocprim17ROCPRIM_400000_NS6detail17trampoline_kernelINS0_14default_configENS1_25partition_config_selectorILNS1_17partition_subalgoE6EsNS0_10empty_typeEbEEZZNS1_14partition_implILS5_6ELb0ES3_mN6thrust23THRUST_200600_302600_NS6detail15normal_iteratorINSA_10device_ptrIsEEEEPS6_SG_NS0_5tupleIJSF_S6_EEENSH_IJSG_SG_EEES6_PlJNSB_9not_fun_tINSB_14equal_to_valueIsEEEEEEE10hipError_tPvRmT3_T4_T5_T6_T7_T9_mT8_P12ihipStream_tbDpT10_ENKUlT_T0_E_clISt17integral_constantIbLb1EES17_IbLb0EEEEDaS13_S14_EUlS13_E_NS1_11comp_targetILNS1_3genE8ELNS1_11target_archE1030ELNS1_3gpuE2ELNS1_3repE0EEENS1_30default_config_static_selectorELNS0_4arch9wavefront6targetE0EEEvT1_,comdat
	.protected	_ZN7rocprim17ROCPRIM_400000_NS6detail17trampoline_kernelINS0_14default_configENS1_25partition_config_selectorILNS1_17partition_subalgoE6EsNS0_10empty_typeEbEEZZNS1_14partition_implILS5_6ELb0ES3_mN6thrust23THRUST_200600_302600_NS6detail15normal_iteratorINSA_10device_ptrIsEEEEPS6_SG_NS0_5tupleIJSF_S6_EEENSH_IJSG_SG_EEES6_PlJNSB_9not_fun_tINSB_14equal_to_valueIsEEEEEEE10hipError_tPvRmT3_T4_T5_T6_T7_T9_mT8_P12ihipStream_tbDpT10_ENKUlT_T0_E_clISt17integral_constantIbLb1EES17_IbLb0EEEEDaS13_S14_EUlS13_E_NS1_11comp_targetILNS1_3genE8ELNS1_11target_archE1030ELNS1_3gpuE2ELNS1_3repE0EEENS1_30default_config_static_selectorELNS0_4arch9wavefront6targetE0EEEvT1_ ; -- Begin function _ZN7rocprim17ROCPRIM_400000_NS6detail17trampoline_kernelINS0_14default_configENS1_25partition_config_selectorILNS1_17partition_subalgoE6EsNS0_10empty_typeEbEEZZNS1_14partition_implILS5_6ELb0ES3_mN6thrust23THRUST_200600_302600_NS6detail15normal_iteratorINSA_10device_ptrIsEEEEPS6_SG_NS0_5tupleIJSF_S6_EEENSH_IJSG_SG_EEES6_PlJNSB_9not_fun_tINSB_14equal_to_valueIsEEEEEEE10hipError_tPvRmT3_T4_T5_T6_T7_T9_mT8_P12ihipStream_tbDpT10_ENKUlT_T0_E_clISt17integral_constantIbLb1EES17_IbLb0EEEEDaS13_S14_EUlS13_E_NS1_11comp_targetILNS1_3genE8ELNS1_11target_archE1030ELNS1_3gpuE2ELNS1_3repE0EEENS1_30default_config_static_selectorELNS0_4arch9wavefront6targetE0EEEvT1_
	.globl	_ZN7rocprim17ROCPRIM_400000_NS6detail17trampoline_kernelINS0_14default_configENS1_25partition_config_selectorILNS1_17partition_subalgoE6EsNS0_10empty_typeEbEEZZNS1_14partition_implILS5_6ELb0ES3_mN6thrust23THRUST_200600_302600_NS6detail15normal_iteratorINSA_10device_ptrIsEEEEPS6_SG_NS0_5tupleIJSF_S6_EEENSH_IJSG_SG_EEES6_PlJNSB_9not_fun_tINSB_14equal_to_valueIsEEEEEEE10hipError_tPvRmT3_T4_T5_T6_T7_T9_mT8_P12ihipStream_tbDpT10_ENKUlT_T0_E_clISt17integral_constantIbLb1EES17_IbLb0EEEEDaS13_S14_EUlS13_E_NS1_11comp_targetILNS1_3genE8ELNS1_11target_archE1030ELNS1_3gpuE2ELNS1_3repE0EEENS1_30default_config_static_selectorELNS0_4arch9wavefront6targetE0EEEvT1_
	.p2align	8
	.type	_ZN7rocprim17ROCPRIM_400000_NS6detail17trampoline_kernelINS0_14default_configENS1_25partition_config_selectorILNS1_17partition_subalgoE6EsNS0_10empty_typeEbEEZZNS1_14partition_implILS5_6ELb0ES3_mN6thrust23THRUST_200600_302600_NS6detail15normal_iteratorINSA_10device_ptrIsEEEEPS6_SG_NS0_5tupleIJSF_S6_EEENSH_IJSG_SG_EEES6_PlJNSB_9not_fun_tINSB_14equal_to_valueIsEEEEEEE10hipError_tPvRmT3_T4_T5_T6_T7_T9_mT8_P12ihipStream_tbDpT10_ENKUlT_T0_E_clISt17integral_constantIbLb1EES17_IbLb0EEEEDaS13_S14_EUlS13_E_NS1_11comp_targetILNS1_3genE8ELNS1_11target_archE1030ELNS1_3gpuE2ELNS1_3repE0EEENS1_30default_config_static_selectorELNS0_4arch9wavefront6targetE0EEEvT1_,@function
_ZN7rocprim17ROCPRIM_400000_NS6detail17trampoline_kernelINS0_14default_configENS1_25partition_config_selectorILNS1_17partition_subalgoE6EsNS0_10empty_typeEbEEZZNS1_14partition_implILS5_6ELb0ES3_mN6thrust23THRUST_200600_302600_NS6detail15normal_iteratorINSA_10device_ptrIsEEEEPS6_SG_NS0_5tupleIJSF_S6_EEENSH_IJSG_SG_EEES6_PlJNSB_9not_fun_tINSB_14equal_to_valueIsEEEEEEE10hipError_tPvRmT3_T4_T5_T6_T7_T9_mT8_P12ihipStream_tbDpT10_ENKUlT_T0_E_clISt17integral_constantIbLb1EES17_IbLb0EEEEDaS13_S14_EUlS13_E_NS1_11comp_targetILNS1_3genE8ELNS1_11target_archE1030ELNS1_3gpuE2ELNS1_3repE0EEENS1_30default_config_static_selectorELNS0_4arch9wavefront6targetE0EEEvT1_: ; @_ZN7rocprim17ROCPRIM_400000_NS6detail17trampoline_kernelINS0_14default_configENS1_25partition_config_selectorILNS1_17partition_subalgoE6EsNS0_10empty_typeEbEEZZNS1_14partition_implILS5_6ELb0ES3_mN6thrust23THRUST_200600_302600_NS6detail15normal_iteratorINSA_10device_ptrIsEEEEPS6_SG_NS0_5tupleIJSF_S6_EEENSH_IJSG_SG_EEES6_PlJNSB_9not_fun_tINSB_14equal_to_valueIsEEEEEEE10hipError_tPvRmT3_T4_T5_T6_T7_T9_mT8_P12ihipStream_tbDpT10_ENKUlT_T0_E_clISt17integral_constantIbLb1EES17_IbLb0EEEEDaS13_S14_EUlS13_E_NS1_11comp_targetILNS1_3genE8ELNS1_11target_archE1030ELNS1_3gpuE2ELNS1_3repE0EEENS1_30default_config_static_selectorELNS0_4arch9wavefront6targetE0EEEvT1_
; %bb.0:
	.section	.rodata,"a",@progbits
	.p2align	6, 0x0
	.amdhsa_kernel _ZN7rocprim17ROCPRIM_400000_NS6detail17trampoline_kernelINS0_14default_configENS1_25partition_config_selectorILNS1_17partition_subalgoE6EsNS0_10empty_typeEbEEZZNS1_14partition_implILS5_6ELb0ES3_mN6thrust23THRUST_200600_302600_NS6detail15normal_iteratorINSA_10device_ptrIsEEEEPS6_SG_NS0_5tupleIJSF_S6_EEENSH_IJSG_SG_EEES6_PlJNSB_9not_fun_tINSB_14equal_to_valueIsEEEEEEE10hipError_tPvRmT3_T4_T5_T6_T7_T9_mT8_P12ihipStream_tbDpT10_ENKUlT_T0_E_clISt17integral_constantIbLb1EES17_IbLb0EEEEDaS13_S14_EUlS13_E_NS1_11comp_targetILNS1_3genE8ELNS1_11target_archE1030ELNS1_3gpuE2ELNS1_3repE0EEENS1_30default_config_static_selectorELNS0_4arch9wavefront6targetE0EEEvT1_
		.amdhsa_group_segment_fixed_size 0
		.amdhsa_private_segment_fixed_size 0
		.amdhsa_kernarg_size 112
		.amdhsa_user_sgpr_count 2
		.amdhsa_user_sgpr_dispatch_ptr 0
		.amdhsa_user_sgpr_queue_ptr 0
		.amdhsa_user_sgpr_kernarg_segment_ptr 1
		.amdhsa_user_sgpr_dispatch_id 0
		.amdhsa_user_sgpr_private_segment_size 0
		.amdhsa_wavefront_size32 1
		.amdhsa_uses_dynamic_stack 0
		.amdhsa_enable_private_segment 0
		.amdhsa_system_sgpr_workgroup_id_x 1
		.amdhsa_system_sgpr_workgroup_id_y 0
		.amdhsa_system_sgpr_workgroup_id_z 0
		.amdhsa_system_sgpr_workgroup_info 0
		.amdhsa_system_vgpr_workitem_id 0
		.amdhsa_next_free_vgpr 1
		.amdhsa_next_free_sgpr 1
		.amdhsa_reserve_vcc 0
		.amdhsa_float_round_mode_32 0
		.amdhsa_float_round_mode_16_64 0
		.amdhsa_float_denorm_mode_32 3
		.amdhsa_float_denorm_mode_16_64 3
		.amdhsa_fp16_overflow 0
		.amdhsa_workgroup_processor_mode 1
		.amdhsa_memory_ordered 1
		.amdhsa_forward_progress 1
		.amdhsa_inst_pref_size 0
		.amdhsa_round_robin_scheduling 0
		.amdhsa_exception_fp_ieee_invalid_op 0
		.amdhsa_exception_fp_denorm_src 0
		.amdhsa_exception_fp_ieee_div_zero 0
		.amdhsa_exception_fp_ieee_overflow 0
		.amdhsa_exception_fp_ieee_underflow 0
		.amdhsa_exception_fp_ieee_inexact 0
		.amdhsa_exception_int_div_zero 0
	.end_amdhsa_kernel
	.section	.text._ZN7rocprim17ROCPRIM_400000_NS6detail17trampoline_kernelINS0_14default_configENS1_25partition_config_selectorILNS1_17partition_subalgoE6EsNS0_10empty_typeEbEEZZNS1_14partition_implILS5_6ELb0ES3_mN6thrust23THRUST_200600_302600_NS6detail15normal_iteratorINSA_10device_ptrIsEEEEPS6_SG_NS0_5tupleIJSF_S6_EEENSH_IJSG_SG_EEES6_PlJNSB_9not_fun_tINSB_14equal_to_valueIsEEEEEEE10hipError_tPvRmT3_T4_T5_T6_T7_T9_mT8_P12ihipStream_tbDpT10_ENKUlT_T0_E_clISt17integral_constantIbLb1EES17_IbLb0EEEEDaS13_S14_EUlS13_E_NS1_11comp_targetILNS1_3genE8ELNS1_11target_archE1030ELNS1_3gpuE2ELNS1_3repE0EEENS1_30default_config_static_selectorELNS0_4arch9wavefront6targetE0EEEvT1_,"axG",@progbits,_ZN7rocprim17ROCPRIM_400000_NS6detail17trampoline_kernelINS0_14default_configENS1_25partition_config_selectorILNS1_17partition_subalgoE6EsNS0_10empty_typeEbEEZZNS1_14partition_implILS5_6ELb0ES3_mN6thrust23THRUST_200600_302600_NS6detail15normal_iteratorINSA_10device_ptrIsEEEEPS6_SG_NS0_5tupleIJSF_S6_EEENSH_IJSG_SG_EEES6_PlJNSB_9not_fun_tINSB_14equal_to_valueIsEEEEEEE10hipError_tPvRmT3_T4_T5_T6_T7_T9_mT8_P12ihipStream_tbDpT10_ENKUlT_T0_E_clISt17integral_constantIbLb1EES17_IbLb0EEEEDaS13_S14_EUlS13_E_NS1_11comp_targetILNS1_3genE8ELNS1_11target_archE1030ELNS1_3gpuE2ELNS1_3repE0EEENS1_30default_config_static_selectorELNS0_4arch9wavefront6targetE0EEEvT1_,comdat
.Lfunc_end524:
	.size	_ZN7rocprim17ROCPRIM_400000_NS6detail17trampoline_kernelINS0_14default_configENS1_25partition_config_selectorILNS1_17partition_subalgoE6EsNS0_10empty_typeEbEEZZNS1_14partition_implILS5_6ELb0ES3_mN6thrust23THRUST_200600_302600_NS6detail15normal_iteratorINSA_10device_ptrIsEEEEPS6_SG_NS0_5tupleIJSF_S6_EEENSH_IJSG_SG_EEES6_PlJNSB_9not_fun_tINSB_14equal_to_valueIsEEEEEEE10hipError_tPvRmT3_T4_T5_T6_T7_T9_mT8_P12ihipStream_tbDpT10_ENKUlT_T0_E_clISt17integral_constantIbLb1EES17_IbLb0EEEEDaS13_S14_EUlS13_E_NS1_11comp_targetILNS1_3genE8ELNS1_11target_archE1030ELNS1_3gpuE2ELNS1_3repE0EEENS1_30default_config_static_selectorELNS0_4arch9wavefront6targetE0EEEvT1_, .Lfunc_end524-_ZN7rocprim17ROCPRIM_400000_NS6detail17trampoline_kernelINS0_14default_configENS1_25partition_config_selectorILNS1_17partition_subalgoE6EsNS0_10empty_typeEbEEZZNS1_14partition_implILS5_6ELb0ES3_mN6thrust23THRUST_200600_302600_NS6detail15normal_iteratorINSA_10device_ptrIsEEEEPS6_SG_NS0_5tupleIJSF_S6_EEENSH_IJSG_SG_EEES6_PlJNSB_9not_fun_tINSB_14equal_to_valueIsEEEEEEE10hipError_tPvRmT3_T4_T5_T6_T7_T9_mT8_P12ihipStream_tbDpT10_ENKUlT_T0_E_clISt17integral_constantIbLb1EES17_IbLb0EEEEDaS13_S14_EUlS13_E_NS1_11comp_targetILNS1_3genE8ELNS1_11target_archE1030ELNS1_3gpuE2ELNS1_3repE0EEENS1_30default_config_static_selectorELNS0_4arch9wavefront6targetE0EEEvT1_
                                        ; -- End function
	.set _ZN7rocprim17ROCPRIM_400000_NS6detail17trampoline_kernelINS0_14default_configENS1_25partition_config_selectorILNS1_17partition_subalgoE6EsNS0_10empty_typeEbEEZZNS1_14partition_implILS5_6ELb0ES3_mN6thrust23THRUST_200600_302600_NS6detail15normal_iteratorINSA_10device_ptrIsEEEEPS6_SG_NS0_5tupleIJSF_S6_EEENSH_IJSG_SG_EEES6_PlJNSB_9not_fun_tINSB_14equal_to_valueIsEEEEEEE10hipError_tPvRmT3_T4_T5_T6_T7_T9_mT8_P12ihipStream_tbDpT10_ENKUlT_T0_E_clISt17integral_constantIbLb1EES17_IbLb0EEEEDaS13_S14_EUlS13_E_NS1_11comp_targetILNS1_3genE8ELNS1_11target_archE1030ELNS1_3gpuE2ELNS1_3repE0EEENS1_30default_config_static_selectorELNS0_4arch9wavefront6targetE0EEEvT1_.num_vgpr, 0
	.set _ZN7rocprim17ROCPRIM_400000_NS6detail17trampoline_kernelINS0_14default_configENS1_25partition_config_selectorILNS1_17partition_subalgoE6EsNS0_10empty_typeEbEEZZNS1_14partition_implILS5_6ELb0ES3_mN6thrust23THRUST_200600_302600_NS6detail15normal_iteratorINSA_10device_ptrIsEEEEPS6_SG_NS0_5tupleIJSF_S6_EEENSH_IJSG_SG_EEES6_PlJNSB_9not_fun_tINSB_14equal_to_valueIsEEEEEEE10hipError_tPvRmT3_T4_T5_T6_T7_T9_mT8_P12ihipStream_tbDpT10_ENKUlT_T0_E_clISt17integral_constantIbLb1EES17_IbLb0EEEEDaS13_S14_EUlS13_E_NS1_11comp_targetILNS1_3genE8ELNS1_11target_archE1030ELNS1_3gpuE2ELNS1_3repE0EEENS1_30default_config_static_selectorELNS0_4arch9wavefront6targetE0EEEvT1_.num_agpr, 0
	.set _ZN7rocprim17ROCPRIM_400000_NS6detail17trampoline_kernelINS0_14default_configENS1_25partition_config_selectorILNS1_17partition_subalgoE6EsNS0_10empty_typeEbEEZZNS1_14partition_implILS5_6ELb0ES3_mN6thrust23THRUST_200600_302600_NS6detail15normal_iteratorINSA_10device_ptrIsEEEEPS6_SG_NS0_5tupleIJSF_S6_EEENSH_IJSG_SG_EEES6_PlJNSB_9not_fun_tINSB_14equal_to_valueIsEEEEEEE10hipError_tPvRmT3_T4_T5_T6_T7_T9_mT8_P12ihipStream_tbDpT10_ENKUlT_T0_E_clISt17integral_constantIbLb1EES17_IbLb0EEEEDaS13_S14_EUlS13_E_NS1_11comp_targetILNS1_3genE8ELNS1_11target_archE1030ELNS1_3gpuE2ELNS1_3repE0EEENS1_30default_config_static_selectorELNS0_4arch9wavefront6targetE0EEEvT1_.numbered_sgpr, 0
	.set _ZN7rocprim17ROCPRIM_400000_NS6detail17trampoline_kernelINS0_14default_configENS1_25partition_config_selectorILNS1_17partition_subalgoE6EsNS0_10empty_typeEbEEZZNS1_14partition_implILS5_6ELb0ES3_mN6thrust23THRUST_200600_302600_NS6detail15normal_iteratorINSA_10device_ptrIsEEEEPS6_SG_NS0_5tupleIJSF_S6_EEENSH_IJSG_SG_EEES6_PlJNSB_9not_fun_tINSB_14equal_to_valueIsEEEEEEE10hipError_tPvRmT3_T4_T5_T6_T7_T9_mT8_P12ihipStream_tbDpT10_ENKUlT_T0_E_clISt17integral_constantIbLb1EES17_IbLb0EEEEDaS13_S14_EUlS13_E_NS1_11comp_targetILNS1_3genE8ELNS1_11target_archE1030ELNS1_3gpuE2ELNS1_3repE0EEENS1_30default_config_static_selectorELNS0_4arch9wavefront6targetE0EEEvT1_.num_named_barrier, 0
	.set _ZN7rocprim17ROCPRIM_400000_NS6detail17trampoline_kernelINS0_14default_configENS1_25partition_config_selectorILNS1_17partition_subalgoE6EsNS0_10empty_typeEbEEZZNS1_14partition_implILS5_6ELb0ES3_mN6thrust23THRUST_200600_302600_NS6detail15normal_iteratorINSA_10device_ptrIsEEEEPS6_SG_NS0_5tupleIJSF_S6_EEENSH_IJSG_SG_EEES6_PlJNSB_9not_fun_tINSB_14equal_to_valueIsEEEEEEE10hipError_tPvRmT3_T4_T5_T6_T7_T9_mT8_P12ihipStream_tbDpT10_ENKUlT_T0_E_clISt17integral_constantIbLb1EES17_IbLb0EEEEDaS13_S14_EUlS13_E_NS1_11comp_targetILNS1_3genE8ELNS1_11target_archE1030ELNS1_3gpuE2ELNS1_3repE0EEENS1_30default_config_static_selectorELNS0_4arch9wavefront6targetE0EEEvT1_.private_seg_size, 0
	.set _ZN7rocprim17ROCPRIM_400000_NS6detail17trampoline_kernelINS0_14default_configENS1_25partition_config_selectorILNS1_17partition_subalgoE6EsNS0_10empty_typeEbEEZZNS1_14partition_implILS5_6ELb0ES3_mN6thrust23THRUST_200600_302600_NS6detail15normal_iteratorINSA_10device_ptrIsEEEEPS6_SG_NS0_5tupleIJSF_S6_EEENSH_IJSG_SG_EEES6_PlJNSB_9not_fun_tINSB_14equal_to_valueIsEEEEEEE10hipError_tPvRmT3_T4_T5_T6_T7_T9_mT8_P12ihipStream_tbDpT10_ENKUlT_T0_E_clISt17integral_constantIbLb1EES17_IbLb0EEEEDaS13_S14_EUlS13_E_NS1_11comp_targetILNS1_3genE8ELNS1_11target_archE1030ELNS1_3gpuE2ELNS1_3repE0EEENS1_30default_config_static_selectorELNS0_4arch9wavefront6targetE0EEEvT1_.uses_vcc, 0
	.set _ZN7rocprim17ROCPRIM_400000_NS6detail17trampoline_kernelINS0_14default_configENS1_25partition_config_selectorILNS1_17partition_subalgoE6EsNS0_10empty_typeEbEEZZNS1_14partition_implILS5_6ELb0ES3_mN6thrust23THRUST_200600_302600_NS6detail15normal_iteratorINSA_10device_ptrIsEEEEPS6_SG_NS0_5tupleIJSF_S6_EEENSH_IJSG_SG_EEES6_PlJNSB_9not_fun_tINSB_14equal_to_valueIsEEEEEEE10hipError_tPvRmT3_T4_T5_T6_T7_T9_mT8_P12ihipStream_tbDpT10_ENKUlT_T0_E_clISt17integral_constantIbLb1EES17_IbLb0EEEEDaS13_S14_EUlS13_E_NS1_11comp_targetILNS1_3genE8ELNS1_11target_archE1030ELNS1_3gpuE2ELNS1_3repE0EEENS1_30default_config_static_selectorELNS0_4arch9wavefront6targetE0EEEvT1_.uses_flat_scratch, 0
	.set _ZN7rocprim17ROCPRIM_400000_NS6detail17trampoline_kernelINS0_14default_configENS1_25partition_config_selectorILNS1_17partition_subalgoE6EsNS0_10empty_typeEbEEZZNS1_14partition_implILS5_6ELb0ES3_mN6thrust23THRUST_200600_302600_NS6detail15normal_iteratorINSA_10device_ptrIsEEEEPS6_SG_NS0_5tupleIJSF_S6_EEENSH_IJSG_SG_EEES6_PlJNSB_9not_fun_tINSB_14equal_to_valueIsEEEEEEE10hipError_tPvRmT3_T4_T5_T6_T7_T9_mT8_P12ihipStream_tbDpT10_ENKUlT_T0_E_clISt17integral_constantIbLb1EES17_IbLb0EEEEDaS13_S14_EUlS13_E_NS1_11comp_targetILNS1_3genE8ELNS1_11target_archE1030ELNS1_3gpuE2ELNS1_3repE0EEENS1_30default_config_static_selectorELNS0_4arch9wavefront6targetE0EEEvT1_.has_dyn_sized_stack, 0
	.set _ZN7rocprim17ROCPRIM_400000_NS6detail17trampoline_kernelINS0_14default_configENS1_25partition_config_selectorILNS1_17partition_subalgoE6EsNS0_10empty_typeEbEEZZNS1_14partition_implILS5_6ELb0ES3_mN6thrust23THRUST_200600_302600_NS6detail15normal_iteratorINSA_10device_ptrIsEEEEPS6_SG_NS0_5tupleIJSF_S6_EEENSH_IJSG_SG_EEES6_PlJNSB_9not_fun_tINSB_14equal_to_valueIsEEEEEEE10hipError_tPvRmT3_T4_T5_T6_T7_T9_mT8_P12ihipStream_tbDpT10_ENKUlT_T0_E_clISt17integral_constantIbLb1EES17_IbLb0EEEEDaS13_S14_EUlS13_E_NS1_11comp_targetILNS1_3genE8ELNS1_11target_archE1030ELNS1_3gpuE2ELNS1_3repE0EEENS1_30default_config_static_selectorELNS0_4arch9wavefront6targetE0EEEvT1_.has_recursion, 0
	.set _ZN7rocprim17ROCPRIM_400000_NS6detail17trampoline_kernelINS0_14default_configENS1_25partition_config_selectorILNS1_17partition_subalgoE6EsNS0_10empty_typeEbEEZZNS1_14partition_implILS5_6ELb0ES3_mN6thrust23THRUST_200600_302600_NS6detail15normal_iteratorINSA_10device_ptrIsEEEEPS6_SG_NS0_5tupleIJSF_S6_EEENSH_IJSG_SG_EEES6_PlJNSB_9not_fun_tINSB_14equal_to_valueIsEEEEEEE10hipError_tPvRmT3_T4_T5_T6_T7_T9_mT8_P12ihipStream_tbDpT10_ENKUlT_T0_E_clISt17integral_constantIbLb1EES17_IbLb0EEEEDaS13_S14_EUlS13_E_NS1_11comp_targetILNS1_3genE8ELNS1_11target_archE1030ELNS1_3gpuE2ELNS1_3repE0EEENS1_30default_config_static_selectorELNS0_4arch9wavefront6targetE0EEEvT1_.has_indirect_call, 0
	.section	.AMDGPU.csdata,"",@progbits
; Kernel info:
; codeLenInByte = 0
; TotalNumSgprs: 0
; NumVgprs: 0
; ScratchSize: 0
; MemoryBound: 0
; FloatMode: 240
; IeeeMode: 1
; LDSByteSize: 0 bytes/workgroup (compile time only)
; SGPRBlocks: 0
; VGPRBlocks: 0
; NumSGPRsForWavesPerEU: 1
; NumVGPRsForWavesPerEU: 1
; Occupancy: 16
; WaveLimiterHint : 0
; COMPUTE_PGM_RSRC2:SCRATCH_EN: 0
; COMPUTE_PGM_RSRC2:USER_SGPR: 2
; COMPUTE_PGM_RSRC2:TRAP_HANDLER: 0
; COMPUTE_PGM_RSRC2:TGID_X_EN: 1
; COMPUTE_PGM_RSRC2:TGID_Y_EN: 0
; COMPUTE_PGM_RSRC2:TGID_Z_EN: 0
; COMPUTE_PGM_RSRC2:TIDIG_COMP_CNT: 0
	.section	.text._ZN7rocprim17ROCPRIM_400000_NS6detail17trampoline_kernelINS0_14default_configENS1_25partition_config_selectorILNS1_17partition_subalgoE6EsNS0_10empty_typeEbEEZZNS1_14partition_implILS5_6ELb0ES3_mN6thrust23THRUST_200600_302600_NS6detail15normal_iteratorINSA_10device_ptrIsEEEEPS6_SG_NS0_5tupleIJSF_S6_EEENSH_IJSG_SG_EEES6_PlJNSB_9not_fun_tINSB_14equal_to_valueIsEEEEEEE10hipError_tPvRmT3_T4_T5_T6_T7_T9_mT8_P12ihipStream_tbDpT10_ENKUlT_T0_E_clISt17integral_constantIbLb0EES17_IbLb1EEEEDaS13_S14_EUlS13_E_NS1_11comp_targetILNS1_3genE0ELNS1_11target_archE4294967295ELNS1_3gpuE0ELNS1_3repE0EEENS1_30default_config_static_selectorELNS0_4arch9wavefront6targetE0EEEvT1_,"axG",@progbits,_ZN7rocprim17ROCPRIM_400000_NS6detail17trampoline_kernelINS0_14default_configENS1_25partition_config_selectorILNS1_17partition_subalgoE6EsNS0_10empty_typeEbEEZZNS1_14partition_implILS5_6ELb0ES3_mN6thrust23THRUST_200600_302600_NS6detail15normal_iteratorINSA_10device_ptrIsEEEEPS6_SG_NS0_5tupleIJSF_S6_EEENSH_IJSG_SG_EEES6_PlJNSB_9not_fun_tINSB_14equal_to_valueIsEEEEEEE10hipError_tPvRmT3_T4_T5_T6_T7_T9_mT8_P12ihipStream_tbDpT10_ENKUlT_T0_E_clISt17integral_constantIbLb0EES17_IbLb1EEEEDaS13_S14_EUlS13_E_NS1_11comp_targetILNS1_3genE0ELNS1_11target_archE4294967295ELNS1_3gpuE0ELNS1_3repE0EEENS1_30default_config_static_selectorELNS0_4arch9wavefront6targetE0EEEvT1_,comdat
	.protected	_ZN7rocprim17ROCPRIM_400000_NS6detail17trampoline_kernelINS0_14default_configENS1_25partition_config_selectorILNS1_17partition_subalgoE6EsNS0_10empty_typeEbEEZZNS1_14partition_implILS5_6ELb0ES3_mN6thrust23THRUST_200600_302600_NS6detail15normal_iteratorINSA_10device_ptrIsEEEEPS6_SG_NS0_5tupleIJSF_S6_EEENSH_IJSG_SG_EEES6_PlJNSB_9not_fun_tINSB_14equal_to_valueIsEEEEEEE10hipError_tPvRmT3_T4_T5_T6_T7_T9_mT8_P12ihipStream_tbDpT10_ENKUlT_T0_E_clISt17integral_constantIbLb0EES17_IbLb1EEEEDaS13_S14_EUlS13_E_NS1_11comp_targetILNS1_3genE0ELNS1_11target_archE4294967295ELNS1_3gpuE0ELNS1_3repE0EEENS1_30default_config_static_selectorELNS0_4arch9wavefront6targetE0EEEvT1_ ; -- Begin function _ZN7rocprim17ROCPRIM_400000_NS6detail17trampoline_kernelINS0_14default_configENS1_25partition_config_selectorILNS1_17partition_subalgoE6EsNS0_10empty_typeEbEEZZNS1_14partition_implILS5_6ELb0ES3_mN6thrust23THRUST_200600_302600_NS6detail15normal_iteratorINSA_10device_ptrIsEEEEPS6_SG_NS0_5tupleIJSF_S6_EEENSH_IJSG_SG_EEES6_PlJNSB_9not_fun_tINSB_14equal_to_valueIsEEEEEEE10hipError_tPvRmT3_T4_T5_T6_T7_T9_mT8_P12ihipStream_tbDpT10_ENKUlT_T0_E_clISt17integral_constantIbLb0EES17_IbLb1EEEEDaS13_S14_EUlS13_E_NS1_11comp_targetILNS1_3genE0ELNS1_11target_archE4294967295ELNS1_3gpuE0ELNS1_3repE0EEENS1_30default_config_static_selectorELNS0_4arch9wavefront6targetE0EEEvT1_
	.globl	_ZN7rocprim17ROCPRIM_400000_NS6detail17trampoline_kernelINS0_14default_configENS1_25partition_config_selectorILNS1_17partition_subalgoE6EsNS0_10empty_typeEbEEZZNS1_14partition_implILS5_6ELb0ES3_mN6thrust23THRUST_200600_302600_NS6detail15normal_iteratorINSA_10device_ptrIsEEEEPS6_SG_NS0_5tupleIJSF_S6_EEENSH_IJSG_SG_EEES6_PlJNSB_9not_fun_tINSB_14equal_to_valueIsEEEEEEE10hipError_tPvRmT3_T4_T5_T6_T7_T9_mT8_P12ihipStream_tbDpT10_ENKUlT_T0_E_clISt17integral_constantIbLb0EES17_IbLb1EEEEDaS13_S14_EUlS13_E_NS1_11comp_targetILNS1_3genE0ELNS1_11target_archE4294967295ELNS1_3gpuE0ELNS1_3repE0EEENS1_30default_config_static_selectorELNS0_4arch9wavefront6targetE0EEEvT1_
	.p2align	8
	.type	_ZN7rocprim17ROCPRIM_400000_NS6detail17trampoline_kernelINS0_14default_configENS1_25partition_config_selectorILNS1_17partition_subalgoE6EsNS0_10empty_typeEbEEZZNS1_14partition_implILS5_6ELb0ES3_mN6thrust23THRUST_200600_302600_NS6detail15normal_iteratorINSA_10device_ptrIsEEEEPS6_SG_NS0_5tupleIJSF_S6_EEENSH_IJSG_SG_EEES6_PlJNSB_9not_fun_tINSB_14equal_to_valueIsEEEEEEE10hipError_tPvRmT3_T4_T5_T6_T7_T9_mT8_P12ihipStream_tbDpT10_ENKUlT_T0_E_clISt17integral_constantIbLb0EES17_IbLb1EEEEDaS13_S14_EUlS13_E_NS1_11comp_targetILNS1_3genE0ELNS1_11target_archE4294967295ELNS1_3gpuE0ELNS1_3repE0EEENS1_30default_config_static_selectorELNS0_4arch9wavefront6targetE0EEEvT1_,@function
_ZN7rocprim17ROCPRIM_400000_NS6detail17trampoline_kernelINS0_14default_configENS1_25partition_config_selectorILNS1_17partition_subalgoE6EsNS0_10empty_typeEbEEZZNS1_14partition_implILS5_6ELb0ES3_mN6thrust23THRUST_200600_302600_NS6detail15normal_iteratorINSA_10device_ptrIsEEEEPS6_SG_NS0_5tupleIJSF_S6_EEENSH_IJSG_SG_EEES6_PlJNSB_9not_fun_tINSB_14equal_to_valueIsEEEEEEE10hipError_tPvRmT3_T4_T5_T6_T7_T9_mT8_P12ihipStream_tbDpT10_ENKUlT_T0_E_clISt17integral_constantIbLb0EES17_IbLb1EEEEDaS13_S14_EUlS13_E_NS1_11comp_targetILNS1_3genE0ELNS1_11target_archE4294967295ELNS1_3gpuE0ELNS1_3repE0EEENS1_30default_config_static_selectorELNS0_4arch9wavefront6targetE0EEEvT1_: ; @_ZN7rocprim17ROCPRIM_400000_NS6detail17trampoline_kernelINS0_14default_configENS1_25partition_config_selectorILNS1_17partition_subalgoE6EsNS0_10empty_typeEbEEZZNS1_14partition_implILS5_6ELb0ES3_mN6thrust23THRUST_200600_302600_NS6detail15normal_iteratorINSA_10device_ptrIsEEEEPS6_SG_NS0_5tupleIJSF_S6_EEENSH_IJSG_SG_EEES6_PlJNSB_9not_fun_tINSB_14equal_to_valueIsEEEEEEE10hipError_tPvRmT3_T4_T5_T6_T7_T9_mT8_P12ihipStream_tbDpT10_ENKUlT_T0_E_clISt17integral_constantIbLb0EES17_IbLb1EEEEDaS13_S14_EUlS13_E_NS1_11comp_targetILNS1_3genE0ELNS1_11target_archE4294967295ELNS1_3gpuE0ELNS1_3repE0EEENS1_30default_config_static_selectorELNS0_4arch9wavefront6targetE0EEEvT1_
; %bb.0:
	.section	.rodata,"a",@progbits
	.p2align	6, 0x0
	.amdhsa_kernel _ZN7rocprim17ROCPRIM_400000_NS6detail17trampoline_kernelINS0_14default_configENS1_25partition_config_selectorILNS1_17partition_subalgoE6EsNS0_10empty_typeEbEEZZNS1_14partition_implILS5_6ELb0ES3_mN6thrust23THRUST_200600_302600_NS6detail15normal_iteratorINSA_10device_ptrIsEEEEPS6_SG_NS0_5tupleIJSF_S6_EEENSH_IJSG_SG_EEES6_PlJNSB_9not_fun_tINSB_14equal_to_valueIsEEEEEEE10hipError_tPvRmT3_T4_T5_T6_T7_T9_mT8_P12ihipStream_tbDpT10_ENKUlT_T0_E_clISt17integral_constantIbLb0EES17_IbLb1EEEEDaS13_S14_EUlS13_E_NS1_11comp_targetILNS1_3genE0ELNS1_11target_archE4294967295ELNS1_3gpuE0ELNS1_3repE0EEENS1_30default_config_static_selectorELNS0_4arch9wavefront6targetE0EEEvT1_
		.amdhsa_group_segment_fixed_size 0
		.amdhsa_private_segment_fixed_size 0
		.amdhsa_kernarg_size 128
		.amdhsa_user_sgpr_count 2
		.amdhsa_user_sgpr_dispatch_ptr 0
		.amdhsa_user_sgpr_queue_ptr 0
		.amdhsa_user_sgpr_kernarg_segment_ptr 1
		.amdhsa_user_sgpr_dispatch_id 0
		.amdhsa_user_sgpr_private_segment_size 0
		.amdhsa_wavefront_size32 1
		.amdhsa_uses_dynamic_stack 0
		.amdhsa_enable_private_segment 0
		.amdhsa_system_sgpr_workgroup_id_x 1
		.amdhsa_system_sgpr_workgroup_id_y 0
		.amdhsa_system_sgpr_workgroup_id_z 0
		.amdhsa_system_sgpr_workgroup_info 0
		.amdhsa_system_vgpr_workitem_id 0
		.amdhsa_next_free_vgpr 1
		.amdhsa_next_free_sgpr 1
		.amdhsa_reserve_vcc 0
		.amdhsa_float_round_mode_32 0
		.amdhsa_float_round_mode_16_64 0
		.amdhsa_float_denorm_mode_32 3
		.amdhsa_float_denorm_mode_16_64 3
		.amdhsa_fp16_overflow 0
		.amdhsa_workgroup_processor_mode 1
		.amdhsa_memory_ordered 1
		.amdhsa_forward_progress 1
		.amdhsa_inst_pref_size 0
		.amdhsa_round_robin_scheduling 0
		.amdhsa_exception_fp_ieee_invalid_op 0
		.amdhsa_exception_fp_denorm_src 0
		.amdhsa_exception_fp_ieee_div_zero 0
		.amdhsa_exception_fp_ieee_overflow 0
		.amdhsa_exception_fp_ieee_underflow 0
		.amdhsa_exception_fp_ieee_inexact 0
		.amdhsa_exception_int_div_zero 0
	.end_amdhsa_kernel
	.section	.text._ZN7rocprim17ROCPRIM_400000_NS6detail17trampoline_kernelINS0_14default_configENS1_25partition_config_selectorILNS1_17partition_subalgoE6EsNS0_10empty_typeEbEEZZNS1_14partition_implILS5_6ELb0ES3_mN6thrust23THRUST_200600_302600_NS6detail15normal_iteratorINSA_10device_ptrIsEEEEPS6_SG_NS0_5tupleIJSF_S6_EEENSH_IJSG_SG_EEES6_PlJNSB_9not_fun_tINSB_14equal_to_valueIsEEEEEEE10hipError_tPvRmT3_T4_T5_T6_T7_T9_mT8_P12ihipStream_tbDpT10_ENKUlT_T0_E_clISt17integral_constantIbLb0EES17_IbLb1EEEEDaS13_S14_EUlS13_E_NS1_11comp_targetILNS1_3genE0ELNS1_11target_archE4294967295ELNS1_3gpuE0ELNS1_3repE0EEENS1_30default_config_static_selectorELNS0_4arch9wavefront6targetE0EEEvT1_,"axG",@progbits,_ZN7rocprim17ROCPRIM_400000_NS6detail17trampoline_kernelINS0_14default_configENS1_25partition_config_selectorILNS1_17partition_subalgoE6EsNS0_10empty_typeEbEEZZNS1_14partition_implILS5_6ELb0ES3_mN6thrust23THRUST_200600_302600_NS6detail15normal_iteratorINSA_10device_ptrIsEEEEPS6_SG_NS0_5tupleIJSF_S6_EEENSH_IJSG_SG_EEES6_PlJNSB_9not_fun_tINSB_14equal_to_valueIsEEEEEEE10hipError_tPvRmT3_T4_T5_T6_T7_T9_mT8_P12ihipStream_tbDpT10_ENKUlT_T0_E_clISt17integral_constantIbLb0EES17_IbLb1EEEEDaS13_S14_EUlS13_E_NS1_11comp_targetILNS1_3genE0ELNS1_11target_archE4294967295ELNS1_3gpuE0ELNS1_3repE0EEENS1_30default_config_static_selectorELNS0_4arch9wavefront6targetE0EEEvT1_,comdat
.Lfunc_end525:
	.size	_ZN7rocprim17ROCPRIM_400000_NS6detail17trampoline_kernelINS0_14default_configENS1_25partition_config_selectorILNS1_17partition_subalgoE6EsNS0_10empty_typeEbEEZZNS1_14partition_implILS5_6ELb0ES3_mN6thrust23THRUST_200600_302600_NS6detail15normal_iteratorINSA_10device_ptrIsEEEEPS6_SG_NS0_5tupleIJSF_S6_EEENSH_IJSG_SG_EEES6_PlJNSB_9not_fun_tINSB_14equal_to_valueIsEEEEEEE10hipError_tPvRmT3_T4_T5_T6_T7_T9_mT8_P12ihipStream_tbDpT10_ENKUlT_T0_E_clISt17integral_constantIbLb0EES17_IbLb1EEEEDaS13_S14_EUlS13_E_NS1_11comp_targetILNS1_3genE0ELNS1_11target_archE4294967295ELNS1_3gpuE0ELNS1_3repE0EEENS1_30default_config_static_selectorELNS0_4arch9wavefront6targetE0EEEvT1_, .Lfunc_end525-_ZN7rocprim17ROCPRIM_400000_NS6detail17trampoline_kernelINS0_14default_configENS1_25partition_config_selectorILNS1_17partition_subalgoE6EsNS0_10empty_typeEbEEZZNS1_14partition_implILS5_6ELb0ES3_mN6thrust23THRUST_200600_302600_NS6detail15normal_iteratorINSA_10device_ptrIsEEEEPS6_SG_NS0_5tupleIJSF_S6_EEENSH_IJSG_SG_EEES6_PlJNSB_9not_fun_tINSB_14equal_to_valueIsEEEEEEE10hipError_tPvRmT3_T4_T5_T6_T7_T9_mT8_P12ihipStream_tbDpT10_ENKUlT_T0_E_clISt17integral_constantIbLb0EES17_IbLb1EEEEDaS13_S14_EUlS13_E_NS1_11comp_targetILNS1_3genE0ELNS1_11target_archE4294967295ELNS1_3gpuE0ELNS1_3repE0EEENS1_30default_config_static_selectorELNS0_4arch9wavefront6targetE0EEEvT1_
                                        ; -- End function
	.set _ZN7rocprim17ROCPRIM_400000_NS6detail17trampoline_kernelINS0_14default_configENS1_25partition_config_selectorILNS1_17partition_subalgoE6EsNS0_10empty_typeEbEEZZNS1_14partition_implILS5_6ELb0ES3_mN6thrust23THRUST_200600_302600_NS6detail15normal_iteratorINSA_10device_ptrIsEEEEPS6_SG_NS0_5tupleIJSF_S6_EEENSH_IJSG_SG_EEES6_PlJNSB_9not_fun_tINSB_14equal_to_valueIsEEEEEEE10hipError_tPvRmT3_T4_T5_T6_T7_T9_mT8_P12ihipStream_tbDpT10_ENKUlT_T0_E_clISt17integral_constantIbLb0EES17_IbLb1EEEEDaS13_S14_EUlS13_E_NS1_11comp_targetILNS1_3genE0ELNS1_11target_archE4294967295ELNS1_3gpuE0ELNS1_3repE0EEENS1_30default_config_static_selectorELNS0_4arch9wavefront6targetE0EEEvT1_.num_vgpr, 0
	.set _ZN7rocprim17ROCPRIM_400000_NS6detail17trampoline_kernelINS0_14default_configENS1_25partition_config_selectorILNS1_17partition_subalgoE6EsNS0_10empty_typeEbEEZZNS1_14partition_implILS5_6ELb0ES3_mN6thrust23THRUST_200600_302600_NS6detail15normal_iteratorINSA_10device_ptrIsEEEEPS6_SG_NS0_5tupleIJSF_S6_EEENSH_IJSG_SG_EEES6_PlJNSB_9not_fun_tINSB_14equal_to_valueIsEEEEEEE10hipError_tPvRmT3_T4_T5_T6_T7_T9_mT8_P12ihipStream_tbDpT10_ENKUlT_T0_E_clISt17integral_constantIbLb0EES17_IbLb1EEEEDaS13_S14_EUlS13_E_NS1_11comp_targetILNS1_3genE0ELNS1_11target_archE4294967295ELNS1_3gpuE0ELNS1_3repE0EEENS1_30default_config_static_selectorELNS0_4arch9wavefront6targetE0EEEvT1_.num_agpr, 0
	.set _ZN7rocprim17ROCPRIM_400000_NS6detail17trampoline_kernelINS0_14default_configENS1_25partition_config_selectorILNS1_17partition_subalgoE6EsNS0_10empty_typeEbEEZZNS1_14partition_implILS5_6ELb0ES3_mN6thrust23THRUST_200600_302600_NS6detail15normal_iteratorINSA_10device_ptrIsEEEEPS6_SG_NS0_5tupleIJSF_S6_EEENSH_IJSG_SG_EEES6_PlJNSB_9not_fun_tINSB_14equal_to_valueIsEEEEEEE10hipError_tPvRmT3_T4_T5_T6_T7_T9_mT8_P12ihipStream_tbDpT10_ENKUlT_T0_E_clISt17integral_constantIbLb0EES17_IbLb1EEEEDaS13_S14_EUlS13_E_NS1_11comp_targetILNS1_3genE0ELNS1_11target_archE4294967295ELNS1_3gpuE0ELNS1_3repE0EEENS1_30default_config_static_selectorELNS0_4arch9wavefront6targetE0EEEvT1_.numbered_sgpr, 0
	.set _ZN7rocprim17ROCPRIM_400000_NS6detail17trampoline_kernelINS0_14default_configENS1_25partition_config_selectorILNS1_17partition_subalgoE6EsNS0_10empty_typeEbEEZZNS1_14partition_implILS5_6ELb0ES3_mN6thrust23THRUST_200600_302600_NS6detail15normal_iteratorINSA_10device_ptrIsEEEEPS6_SG_NS0_5tupleIJSF_S6_EEENSH_IJSG_SG_EEES6_PlJNSB_9not_fun_tINSB_14equal_to_valueIsEEEEEEE10hipError_tPvRmT3_T4_T5_T6_T7_T9_mT8_P12ihipStream_tbDpT10_ENKUlT_T0_E_clISt17integral_constantIbLb0EES17_IbLb1EEEEDaS13_S14_EUlS13_E_NS1_11comp_targetILNS1_3genE0ELNS1_11target_archE4294967295ELNS1_3gpuE0ELNS1_3repE0EEENS1_30default_config_static_selectorELNS0_4arch9wavefront6targetE0EEEvT1_.num_named_barrier, 0
	.set _ZN7rocprim17ROCPRIM_400000_NS6detail17trampoline_kernelINS0_14default_configENS1_25partition_config_selectorILNS1_17partition_subalgoE6EsNS0_10empty_typeEbEEZZNS1_14partition_implILS5_6ELb0ES3_mN6thrust23THRUST_200600_302600_NS6detail15normal_iteratorINSA_10device_ptrIsEEEEPS6_SG_NS0_5tupleIJSF_S6_EEENSH_IJSG_SG_EEES6_PlJNSB_9not_fun_tINSB_14equal_to_valueIsEEEEEEE10hipError_tPvRmT3_T4_T5_T6_T7_T9_mT8_P12ihipStream_tbDpT10_ENKUlT_T0_E_clISt17integral_constantIbLb0EES17_IbLb1EEEEDaS13_S14_EUlS13_E_NS1_11comp_targetILNS1_3genE0ELNS1_11target_archE4294967295ELNS1_3gpuE0ELNS1_3repE0EEENS1_30default_config_static_selectorELNS0_4arch9wavefront6targetE0EEEvT1_.private_seg_size, 0
	.set _ZN7rocprim17ROCPRIM_400000_NS6detail17trampoline_kernelINS0_14default_configENS1_25partition_config_selectorILNS1_17partition_subalgoE6EsNS0_10empty_typeEbEEZZNS1_14partition_implILS5_6ELb0ES3_mN6thrust23THRUST_200600_302600_NS6detail15normal_iteratorINSA_10device_ptrIsEEEEPS6_SG_NS0_5tupleIJSF_S6_EEENSH_IJSG_SG_EEES6_PlJNSB_9not_fun_tINSB_14equal_to_valueIsEEEEEEE10hipError_tPvRmT3_T4_T5_T6_T7_T9_mT8_P12ihipStream_tbDpT10_ENKUlT_T0_E_clISt17integral_constantIbLb0EES17_IbLb1EEEEDaS13_S14_EUlS13_E_NS1_11comp_targetILNS1_3genE0ELNS1_11target_archE4294967295ELNS1_3gpuE0ELNS1_3repE0EEENS1_30default_config_static_selectorELNS0_4arch9wavefront6targetE0EEEvT1_.uses_vcc, 0
	.set _ZN7rocprim17ROCPRIM_400000_NS6detail17trampoline_kernelINS0_14default_configENS1_25partition_config_selectorILNS1_17partition_subalgoE6EsNS0_10empty_typeEbEEZZNS1_14partition_implILS5_6ELb0ES3_mN6thrust23THRUST_200600_302600_NS6detail15normal_iteratorINSA_10device_ptrIsEEEEPS6_SG_NS0_5tupleIJSF_S6_EEENSH_IJSG_SG_EEES6_PlJNSB_9not_fun_tINSB_14equal_to_valueIsEEEEEEE10hipError_tPvRmT3_T4_T5_T6_T7_T9_mT8_P12ihipStream_tbDpT10_ENKUlT_T0_E_clISt17integral_constantIbLb0EES17_IbLb1EEEEDaS13_S14_EUlS13_E_NS1_11comp_targetILNS1_3genE0ELNS1_11target_archE4294967295ELNS1_3gpuE0ELNS1_3repE0EEENS1_30default_config_static_selectorELNS0_4arch9wavefront6targetE0EEEvT1_.uses_flat_scratch, 0
	.set _ZN7rocprim17ROCPRIM_400000_NS6detail17trampoline_kernelINS0_14default_configENS1_25partition_config_selectorILNS1_17partition_subalgoE6EsNS0_10empty_typeEbEEZZNS1_14partition_implILS5_6ELb0ES3_mN6thrust23THRUST_200600_302600_NS6detail15normal_iteratorINSA_10device_ptrIsEEEEPS6_SG_NS0_5tupleIJSF_S6_EEENSH_IJSG_SG_EEES6_PlJNSB_9not_fun_tINSB_14equal_to_valueIsEEEEEEE10hipError_tPvRmT3_T4_T5_T6_T7_T9_mT8_P12ihipStream_tbDpT10_ENKUlT_T0_E_clISt17integral_constantIbLb0EES17_IbLb1EEEEDaS13_S14_EUlS13_E_NS1_11comp_targetILNS1_3genE0ELNS1_11target_archE4294967295ELNS1_3gpuE0ELNS1_3repE0EEENS1_30default_config_static_selectorELNS0_4arch9wavefront6targetE0EEEvT1_.has_dyn_sized_stack, 0
	.set _ZN7rocprim17ROCPRIM_400000_NS6detail17trampoline_kernelINS0_14default_configENS1_25partition_config_selectorILNS1_17partition_subalgoE6EsNS0_10empty_typeEbEEZZNS1_14partition_implILS5_6ELb0ES3_mN6thrust23THRUST_200600_302600_NS6detail15normal_iteratorINSA_10device_ptrIsEEEEPS6_SG_NS0_5tupleIJSF_S6_EEENSH_IJSG_SG_EEES6_PlJNSB_9not_fun_tINSB_14equal_to_valueIsEEEEEEE10hipError_tPvRmT3_T4_T5_T6_T7_T9_mT8_P12ihipStream_tbDpT10_ENKUlT_T0_E_clISt17integral_constantIbLb0EES17_IbLb1EEEEDaS13_S14_EUlS13_E_NS1_11comp_targetILNS1_3genE0ELNS1_11target_archE4294967295ELNS1_3gpuE0ELNS1_3repE0EEENS1_30default_config_static_selectorELNS0_4arch9wavefront6targetE0EEEvT1_.has_recursion, 0
	.set _ZN7rocprim17ROCPRIM_400000_NS6detail17trampoline_kernelINS0_14default_configENS1_25partition_config_selectorILNS1_17partition_subalgoE6EsNS0_10empty_typeEbEEZZNS1_14partition_implILS5_6ELb0ES3_mN6thrust23THRUST_200600_302600_NS6detail15normal_iteratorINSA_10device_ptrIsEEEEPS6_SG_NS0_5tupleIJSF_S6_EEENSH_IJSG_SG_EEES6_PlJNSB_9not_fun_tINSB_14equal_to_valueIsEEEEEEE10hipError_tPvRmT3_T4_T5_T6_T7_T9_mT8_P12ihipStream_tbDpT10_ENKUlT_T0_E_clISt17integral_constantIbLb0EES17_IbLb1EEEEDaS13_S14_EUlS13_E_NS1_11comp_targetILNS1_3genE0ELNS1_11target_archE4294967295ELNS1_3gpuE0ELNS1_3repE0EEENS1_30default_config_static_selectorELNS0_4arch9wavefront6targetE0EEEvT1_.has_indirect_call, 0
	.section	.AMDGPU.csdata,"",@progbits
; Kernel info:
; codeLenInByte = 0
; TotalNumSgprs: 0
; NumVgprs: 0
; ScratchSize: 0
; MemoryBound: 0
; FloatMode: 240
; IeeeMode: 1
; LDSByteSize: 0 bytes/workgroup (compile time only)
; SGPRBlocks: 0
; VGPRBlocks: 0
; NumSGPRsForWavesPerEU: 1
; NumVGPRsForWavesPerEU: 1
; Occupancy: 16
; WaveLimiterHint : 0
; COMPUTE_PGM_RSRC2:SCRATCH_EN: 0
; COMPUTE_PGM_RSRC2:USER_SGPR: 2
; COMPUTE_PGM_RSRC2:TRAP_HANDLER: 0
; COMPUTE_PGM_RSRC2:TGID_X_EN: 1
; COMPUTE_PGM_RSRC2:TGID_Y_EN: 0
; COMPUTE_PGM_RSRC2:TGID_Z_EN: 0
; COMPUTE_PGM_RSRC2:TIDIG_COMP_CNT: 0
	.section	.text._ZN7rocprim17ROCPRIM_400000_NS6detail17trampoline_kernelINS0_14default_configENS1_25partition_config_selectorILNS1_17partition_subalgoE6EsNS0_10empty_typeEbEEZZNS1_14partition_implILS5_6ELb0ES3_mN6thrust23THRUST_200600_302600_NS6detail15normal_iteratorINSA_10device_ptrIsEEEEPS6_SG_NS0_5tupleIJSF_S6_EEENSH_IJSG_SG_EEES6_PlJNSB_9not_fun_tINSB_14equal_to_valueIsEEEEEEE10hipError_tPvRmT3_T4_T5_T6_T7_T9_mT8_P12ihipStream_tbDpT10_ENKUlT_T0_E_clISt17integral_constantIbLb0EES17_IbLb1EEEEDaS13_S14_EUlS13_E_NS1_11comp_targetILNS1_3genE5ELNS1_11target_archE942ELNS1_3gpuE9ELNS1_3repE0EEENS1_30default_config_static_selectorELNS0_4arch9wavefront6targetE0EEEvT1_,"axG",@progbits,_ZN7rocprim17ROCPRIM_400000_NS6detail17trampoline_kernelINS0_14default_configENS1_25partition_config_selectorILNS1_17partition_subalgoE6EsNS0_10empty_typeEbEEZZNS1_14partition_implILS5_6ELb0ES3_mN6thrust23THRUST_200600_302600_NS6detail15normal_iteratorINSA_10device_ptrIsEEEEPS6_SG_NS0_5tupleIJSF_S6_EEENSH_IJSG_SG_EEES6_PlJNSB_9not_fun_tINSB_14equal_to_valueIsEEEEEEE10hipError_tPvRmT3_T4_T5_T6_T7_T9_mT8_P12ihipStream_tbDpT10_ENKUlT_T0_E_clISt17integral_constantIbLb0EES17_IbLb1EEEEDaS13_S14_EUlS13_E_NS1_11comp_targetILNS1_3genE5ELNS1_11target_archE942ELNS1_3gpuE9ELNS1_3repE0EEENS1_30default_config_static_selectorELNS0_4arch9wavefront6targetE0EEEvT1_,comdat
	.protected	_ZN7rocprim17ROCPRIM_400000_NS6detail17trampoline_kernelINS0_14default_configENS1_25partition_config_selectorILNS1_17partition_subalgoE6EsNS0_10empty_typeEbEEZZNS1_14partition_implILS5_6ELb0ES3_mN6thrust23THRUST_200600_302600_NS6detail15normal_iteratorINSA_10device_ptrIsEEEEPS6_SG_NS0_5tupleIJSF_S6_EEENSH_IJSG_SG_EEES6_PlJNSB_9not_fun_tINSB_14equal_to_valueIsEEEEEEE10hipError_tPvRmT3_T4_T5_T6_T7_T9_mT8_P12ihipStream_tbDpT10_ENKUlT_T0_E_clISt17integral_constantIbLb0EES17_IbLb1EEEEDaS13_S14_EUlS13_E_NS1_11comp_targetILNS1_3genE5ELNS1_11target_archE942ELNS1_3gpuE9ELNS1_3repE0EEENS1_30default_config_static_selectorELNS0_4arch9wavefront6targetE0EEEvT1_ ; -- Begin function _ZN7rocprim17ROCPRIM_400000_NS6detail17trampoline_kernelINS0_14default_configENS1_25partition_config_selectorILNS1_17partition_subalgoE6EsNS0_10empty_typeEbEEZZNS1_14partition_implILS5_6ELb0ES3_mN6thrust23THRUST_200600_302600_NS6detail15normal_iteratorINSA_10device_ptrIsEEEEPS6_SG_NS0_5tupleIJSF_S6_EEENSH_IJSG_SG_EEES6_PlJNSB_9not_fun_tINSB_14equal_to_valueIsEEEEEEE10hipError_tPvRmT3_T4_T5_T6_T7_T9_mT8_P12ihipStream_tbDpT10_ENKUlT_T0_E_clISt17integral_constantIbLb0EES17_IbLb1EEEEDaS13_S14_EUlS13_E_NS1_11comp_targetILNS1_3genE5ELNS1_11target_archE942ELNS1_3gpuE9ELNS1_3repE0EEENS1_30default_config_static_selectorELNS0_4arch9wavefront6targetE0EEEvT1_
	.globl	_ZN7rocprim17ROCPRIM_400000_NS6detail17trampoline_kernelINS0_14default_configENS1_25partition_config_selectorILNS1_17partition_subalgoE6EsNS0_10empty_typeEbEEZZNS1_14partition_implILS5_6ELb0ES3_mN6thrust23THRUST_200600_302600_NS6detail15normal_iteratorINSA_10device_ptrIsEEEEPS6_SG_NS0_5tupleIJSF_S6_EEENSH_IJSG_SG_EEES6_PlJNSB_9not_fun_tINSB_14equal_to_valueIsEEEEEEE10hipError_tPvRmT3_T4_T5_T6_T7_T9_mT8_P12ihipStream_tbDpT10_ENKUlT_T0_E_clISt17integral_constantIbLb0EES17_IbLb1EEEEDaS13_S14_EUlS13_E_NS1_11comp_targetILNS1_3genE5ELNS1_11target_archE942ELNS1_3gpuE9ELNS1_3repE0EEENS1_30default_config_static_selectorELNS0_4arch9wavefront6targetE0EEEvT1_
	.p2align	8
	.type	_ZN7rocprim17ROCPRIM_400000_NS6detail17trampoline_kernelINS0_14default_configENS1_25partition_config_selectorILNS1_17partition_subalgoE6EsNS0_10empty_typeEbEEZZNS1_14partition_implILS5_6ELb0ES3_mN6thrust23THRUST_200600_302600_NS6detail15normal_iteratorINSA_10device_ptrIsEEEEPS6_SG_NS0_5tupleIJSF_S6_EEENSH_IJSG_SG_EEES6_PlJNSB_9not_fun_tINSB_14equal_to_valueIsEEEEEEE10hipError_tPvRmT3_T4_T5_T6_T7_T9_mT8_P12ihipStream_tbDpT10_ENKUlT_T0_E_clISt17integral_constantIbLb0EES17_IbLb1EEEEDaS13_S14_EUlS13_E_NS1_11comp_targetILNS1_3genE5ELNS1_11target_archE942ELNS1_3gpuE9ELNS1_3repE0EEENS1_30default_config_static_selectorELNS0_4arch9wavefront6targetE0EEEvT1_,@function
_ZN7rocprim17ROCPRIM_400000_NS6detail17trampoline_kernelINS0_14default_configENS1_25partition_config_selectorILNS1_17partition_subalgoE6EsNS0_10empty_typeEbEEZZNS1_14partition_implILS5_6ELb0ES3_mN6thrust23THRUST_200600_302600_NS6detail15normal_iteratorINSA_10device_ptrIsEEEEPS6_SG_NS0_5tupleIJSF_S6_EEENSH_IJSG_SG_EEES6_PlJNSB_9not_fun_tINSB_14equal_to_valueIsEEEEEEE10hipError_tPvRmT3_T4_T5_T6_T7_T9_mT8_P12ihipStream_tbDpT10_ENKUlT_T0_E_clISt17integral_constantIbLb0EES17_IbLb1EEEEDaS13_S14_EUlS13_E_NS1_11comp_targetILNS1_3genE5ELNS1_11target_archE942ELNS1_3gpuE9ELNS1_3repE0EEENS1_30default_config_static_selectorELNS0_4arch9wavefront6targetE0EEEvT1_: ; @_ZN7rocprim17ROCPRIM_400000_NS6detail17trampoline_kernelINS0_14default_configENS1_25partition_config_selectorILNS1_17partition_subalgoE6EsNS0_10empty_typeEbEEZZNS1_14partition_implILS5_6ELb0ES3_mN6thrust23THRUST_200600_302600_NS6detail15normal_iteratorINSA_10device_ptrIsEEEEPS6_SG_NS0_5tupleIJSF_S6_EEENSH_IJSG_SG_EEES6_PlJNSB_9not_fun_tINSB_14equal_to_valueIsEEEEEEE10hipError_tPvRmT3_T4_T5_T6_T7_T9_mT8_P12ihipStream_tbDpT10_ENKUlT_T0_E_clISt17integral_constantIbLb0EES17_IbLb1EEEEDaS13_S14_EUlS13_E_NS1_11comp_targetILNS1_3genE5ELNS1_11target_archE942ELNS1_3gpuE9ELNS1_3repE0EEENS1_30default_config_static_selectorELNS0_4arch9wavefront6targetE0EEEvT1_
; %bb.0:
	.section	.rodata,"a",@progbits
	.p2align	6, 0x0
	.amdhsa_kernel _ZN7rocprim17ROCPRIM_400000_NS6detail17trampoline_kernelINS0_14default_configENS1_25partition_config_selectorILNS1_17partition_subalgoE6EsNS0_10empty_typeEbEEZZNS1_14partition_implILS5_6ELb0ES3_mN6thrust23THRUST_200600_302600_NS6detail15normal_iteratorINSA_10device_ptrIsEEEEPS6_SG_NS0_5tupleIJSF_S6_EEENSH_IJSG_SG_EEES6_PlJNSB_9not_fun_tINSB_14equal_to_valueIsEEEEEEE10hipError_tPvRmT3_T4_T5_T6_T7_T9_mT8_P12ihipStream_tbDpT10_ENKUlT_T0_E_clISt17integral_constantIbLb0EES17_IbLb1EEEEDaS13_S14_EUlS13_E_NS1_11comp_targetILNS1_3genE5ELNS1_11target_archE942ELNS1_3gpuE9ELNS1_3repE0EEENS1_30default_config_static_selectorELNS0_4arch9wavefront6targetE0EEEvT1_
		.amdhsa_group_segment_fixed_size 0
		.amdhsa_private_segment_fixed_size 0
		.amdhsa_kernarg_size 128
		.amdhsa_user_sgpr_count 2
		.amdhsa_user_sgpr_dispatch_ptr 0
		.amdhsa_user_sgpr_queue_ptr 0
		.amdhsa_user_sgpr_kernarg_segment_ptr 1
		.amdhsa_user_sgpr_dispatch_id 0
		.amdhsa_user_sgpr_private_segment_size 0
		.amdhsa_wavefront_size32 1
		.amdhsa_uses_dynamic_stack 0
		.amdhsa_enable_private_segment 0
		.amdhsa_system_sgpr_workgroup_id_x 1
		.amdhsa_system_sgpr_workgroup_id_y 0
		.amdhsa_system_sgpr_workgroup_id_z 0
		.amdhsa_system_sgpr_workgroup_info 0
		.amdhsa_system_vgpr_workitem_id 0
		.amdhsa_next_free_vgpr 1
		.amdhsa_next_free_sgpr 1
		.amdhsa_reserve_vcc 0
		.amdhsa_float_round_mode_32 0
		.amdhsa_float_round_mode_16_64 0
		.amdhsa_float_denorm_mode_32 3
		.amdhsa_float_denorm_mode_16_64 3
		.amdhsa_fp16_overflow 0
		.amdhsa_workgroup_processor_mode 1
		.amdhsa_memory_ordered 1
		.amdhsa_forward_progress 1
		.amdhsa_inst_pref_size 0
		.amdhsa_round_robin_scheduling 0
		.amdhsa_exception_fp_ieee_invalid_op 0
		.amdhsa_exception_fp_denorm_src 0
		.amdhsa_exception_fp_ieee_div_zero 0
		.amdhsa_exception_fp_ieee_overflow 0
		.amdhsa_exception_fp_ieee_underflow 0
		.amdhsa_exception_fp_ieee_inexact 0
		.amdhsa_exception_int_div_zero 0
	.end_amdhsa_kernel
	.section	.text._ZN7rocprim17ROCPRIM_400000_NS6detail17trampoline_kernelINS0_14default_configENS1_25partition_config_selectorILNS1_17partition_subalgoE6EsNS0_10empty_typeEbEEZZNS1_14partition_implILS5_6ELb0ES3_mN6thrust23THRUST_200600_302600_NS6detail15normal_iteratorINSA_10device_ptrIsEEEEPS6_SG_NS0_5tupleIJSF_S6_EEENSH_IJSG_SG_EEES6_PlJNSB_9not_fun_tINSB_14equal_to_valueIsEEEEEEE10hipError_tPvRmT3_T4_T5_T6_T7_T9_mT8_P12ihipStream_tbDpT10_ENKUlT_T0_E_clISt17integral_constantIbLb0EES17_IbLb1EEEEDaS13_S14_EUlS13_E_NS1_11comp_targetILNS1_3genE5ELNS1_11target_archE942ELNS1_3gpuE9ELNS1_3repE0EEENS1_30default_config_static_selectorELNS0_4arch9wavefront6targetE0EEEvT1_,"axG",@progbits,_ZN7rocprim17ROCPRIM_400000_NS6detail17trampoline_kernelINS0_14default_configENS1_25partition_config_selectorILNS1_17partition_subalgoE6EsNS0_10empty_typeEbEEZZNS1_14partition_implILS5_6ELb0ES3_mN6thrust23THRUST_200600_302600_NS6detail15normal_iteratorINSA_10device_ptrIsEEEEPS6_SG_NS0_5tupleIJSF_S6_EEENSH_IJSG_SG_EEES6_PlJNSB_9not_fun_tINSB_14equal_to_valueIsEEEEEEE10hipError_tPvRmT3_T4_T5_T6_T7_T9_mT8_P12ihipStream_tbDpT10_ENKUlT_T0_E_clISt17integral_constantIbLb0EES17_IbLb1EEEEDaS13_S14_EUlS13_E_NS1_11comp_targetILNS1_3genE5ELNS1_11target_archE942ELNS1_3gpuE9ELNS1_3repE0EEENS1_30default_config_static_selectorELNS0_4arch9wavefront6targetE0EEEvT1_,comdat
.Lfunc_end526:
	.size	_ZN7rocprim17ROCPRIM_400000_NS6detail17trampoline_kernelINS0_14default_configENS1_25partition_config_selectorILNS1_17partition_subalgoE6EsNS0_10empty_typeEbEEZZNS1_14partition_implILS5_6ELb0ES3_mN6thrust23THRUST_200600_302600_NS6detail15normal_iteratorINSA_10device_ptrIsEEEEPS6_SG_NS0_5tupleIJSF_S6_EEENSH_IJSG_SG_EEES6_PlJNSB_9not_fun_tINSB_14equal_to_valueIsEEEEEEE10hipError_tPvRmT3_T4_T5_T6_T7_T9_mT8_P12ihipStream_tbDpT10_ENKUlT_T0_E_clISt17integral_constantIbLb0EES17_IbLb1EEEEDaS13_S14_EUlS13_E_NS1_11comp_targetILNS1_3genE5ELNS1_11target_archE942ELNS1_3gpuE9ELNS1_3repE0EEENS1_30default_config_static_selectorELNS0_4arch9wavefront6targetE0EEEvT1_, .Lfunc_end526-_ZN7rocprim17ROCPRIM_400000_NS6detail17trampoline_kernelINS0_14default_configENS1_25partition_config_selectorILNS1_17partition_subalgoE6EsNS0_10empty_typeEbEEZZNS1_14partition_implILS5_6ELb0ES3_mN6thrust23THRUST_200600_302600_NS6detail15normal_iteratorINSA_10device_ptrIsEEEEPS6_SG_NS0_5tupleIJSF_S6_EEENSH_IJSG_SG_EEES6_PlJNSB_9not_fun_tINSB_14equal_to_valueIsEEEEEEE10hipError_tPvRmT3_T4_T5_T6_T7_T9_mT8_P12ihipStream_tbDpT10_ENKUlT_T0_E_clISt17integral_constantIbLb0EES17_IbLb1EEEEDaS13_S14_EUlS13_E_NS1_11comp_targetILNS1_3genE5ELNS1_11target_archE942ELNS1_3gpuE9ELNS1_3repE0EEENS1_30default_config_static_selectorELNS0_4arch9wavefront6targetE0EEEvT1_
                                        ; -- End function
	.set _ZN7rocprim17ROCPRIM_400000_NS6detail17trampoline_kernelINS0_14default_configENS1_25partition_config_selectorILNS1_17partition_subalgoE6EsNS0_10empty_typeEbEEZZNS1_14partition_implILS5_6ELb0ES3_mN6thrust23THRUST_200600_302600_NS6detail15normal_iteratorINSA_10device_ptrIsEEEEPS6_SG_NS0_5tupleIJSF_S6_EEENSH_IJSG_SG_EEES6_PlJNSB_9not_fun_tINSB_14equal_to_valueIsEEEEEEE10hipError_tPvRmT3_T4_T5_T6_T7_T9_mT8_P12ihipStream_tbDpT10_ENKUlT_T0_E_clISt17integral_constantIbLb0EES17_IbLb1EEEEDaS13_S14_EUlS13_E_NS1_11comp_targetILNS1_3genE5ELNS1_11target_archE942ELNS1_3gpuE9ELNS1_3repE0EEENS1_30default_config_static_selectorELNS0_4arch9wavefront6targetE0EEEvT1_.num_vgpr, 0
	.set _ZN7rocprim17ROCPRIM_400000_NS6detail17trampoline_kernelINS0_14default_configENS1_25partition_config_selectorILNS1_17partition_subalgoE6EsNS0_10empty_typeEbEEZZNS1_14partition_implILS5_6ELb0ES3_mN6thrust23THRUST_200600_302600_NS6detail15normal_iteratorINSA_10device_ptrIsEEEEPS6_SG_NS0_5tupleIJSF_S6_EEENSH_IJSG_SG_EEES6_PlJNSB_9not_fun_tINSB_14equal_to_valueIsEEEEEEE10hipError_tPvRmT3_T4_T5_T6_T7_T9_mT8_P12ihipStream_tbDpT10_ENKUlT_T0_E_clISt17integral_constantIbLb0EES17_IbLb1EEEEDaS13_S14_EUlS13_E_NS1_11comp_targetILNS1_3genE5ELNS1_11target_archE942ELNS1_3gpuE9ELNS1_3repE0EEENS1_30default_config_static_selectorELNS0_4arch9wavefront6targetE0EEEvT1_.num_agpr, 0
	.set _ZN7rocprim17ROCPRIM_400000_NS6detail17trampoline_kernelINS0_14default_configENS1_25partition_config_selectorILNS1_17partition_subalgoE6EsNS0_10empty_typeEbEEZZNS1_14partition_implILS5_6ELb0ES3_mN6thrust23THRUST_200600_302600_NS6detail15normal_iteratorINSA_10device_ptrIsEEEEPS6_SG_NS0_5tupleIJSF_S6_EEENSH_IJSG_SG_EEES6_PlJNSB_9not_fun_tINSB_14equal_to_valueIsEEEEEEE10hipError_tPvRmT3_T4_T5_T6_T7_T9_mT8_P12ihipStream_tbDpT10_ENKUlT_T0_E_clISt17integral_constantIbLb0EES17_IbLb1EEEEDaS13_S14_EUlS13_E_NS1_11comp_targetILNS1_3genE5ELNS1_11target_archE942ELNS1_3gpuE9ELNS1_3repE0EEENS1_30default_config_static_selectorELNS0_4arch9wavefront6targetE0EEEvT1_.numbered_sgpr, 0
	.set _ZN7rocprim17ROCPRIM_400000_NS6detail17trampoline_kernelINS0_14default_configENS1_25partition_config_selectorILNS1_17partition_subalgoE6EsNS0_10empty_typeEbEEZZNS1_14partition_implILS5_6ELb0ES3_mN6thrust23THRUST_200600_302600_NS6detail15normal_iteratorINSA_10device_ptrIsEEEEPS6_SG_NS0_5tupleIJSF_S6_EEENSH_IJSG_SG_EEES6_PlJNSB_9not_fun_tINSB_14equal_to_valueIsEEEEEEE10hipError_tPvRmT3_T4_T5_T6_T7_T9_mT8_P12ihipStream_tbDpT10_ENKUlT_T0_E_clISt17integral_constantIbLb0EES17_IbLb1EEEEDaS13_S14_EUlS13_E_NS1_11comp_targetILNS1_3genE5ELNS1_11target_archE942ELNS1_3gpuE9ELNS1_3repE0EEENS1_30default_config_static_selectorELNS0_4arch9wavefront6targetE0EEEvT1_.num_named_barrier, 0
	.set _ZN7rocprim17ROCPRIM_400000_NS6detail17trampoline_kernelINS0_14default_configENS1_25partition_config_selectorILNS1_17partition_subalgoE6EsNS0_10empty_typeEbEEZZNS1_14partition_implILS5_6ELb0ES3_mN6thrust23THRUST_200600_302600_NS6detail15normal_iteratorINSA_10device_ptrIsEEEEPS6_SG_NS0_5tupleIJSF_S6_EEENSH_IJSG_SG_EEES6_PlJNSB_9not_fun_tINSB_14equal_to_valueIsEEEEEEE10hipError_tPvRmT3_T4_T5_T6_T7_T9_mT8_P12ihipStream_tbDpT10_ENKUlT_T0_E_clISt17integral_constantIbLb0EES17_IbLb1EEEEDaS13_S14_EUlS13_E_NS1_11comp_targetILNS1_3genE5ELNS1_11target_archE942ELNS1_3gpuE9ELNS1_3repE0EEENS1_30default_config_static_selectorELNS0_4arch9wavefront6targetE0EEEvT1_.private_seg_size, 0
	.set _ZN7rocprim17ROCPRIM_400000_NS6detail17trampoline_kernelINS0_14default_configENS1_25partition_config_selectorILNS1_17partition_subalgoE6EsNS0_10empty_typeEbEEZZNS1_14partition_implILS5_6ELb0ES3_mN6thrust23THRUST_200600_302600_NS6detail15normal_iteratorINSA_10device_ptrIsEEEEPS6_SG_NS0_5tupleIJSF_S6_EEENSH_IJSG_SG_EEES6_PlJNSB_9not_fun_tINSB_14equal_to_valueIsEEEEEEE10hipError_tPvRmT3_T4_T5_T6_T7_T9_mT8_P12ihipStream_tbDpT10_ENKUlT_T0_E_clISt17integral_constantIbLb0EES17_IbLb1EEEEDaS13_S14_EUlS13_E_NS1_11comp_targetILNS1_3genE5ELNS1_11target_archE942ELNS1_3gpuE9ELNS1_3repE0EEENS1_30default_config_static_selectorELNS0_4arch9wavefront6targetE0EEEvT1_.uses_vcc, 0
	.set _ZN7rocprim17ROCPRIM_400000_NS6detail17trampoline_kernelINS0_14default_configENS1_25partition_config_selectorILNS1_17partition_subalgoE6EsNS0_10empty_typeEbEEZZNS1_14partition_implILS5_6ELb0ES3_mN6thrust23THRUST_200600_302600_NS6detail15normal_iteratorINSA_10device_ptrIsEEEEPS6_SG_NS0_5tupleIJSF_S6_EEENSH_IJSG_SG_EEES6_PlJNSB_9not_fun_tINSB_14equal_to_valueIsEEEEEEE10hipError_tPvRmT3_T4_T5_T6_T7_T9_mT8_P12ihipStream_tbDpT10_ENKUlT_T0_E_clISt17integral_constantIbLb0EES17_IbLb1EEEEDaS13_S14_EUlS13_E_NS1_11comp_targetILNS1_3genE5ELNS1_11target_archE942ELNS1_3gpuE9ELNS1_3repE0EEENS1_30default_config_static_selectorELNS0_4arch9wavefront6targetE0EEEvT1_.uses_flat_scratch, 0
	.set _ZN7rocprim17ROCPRIM_400000_NS6detail17trampoline_kernelINS0_14default_configENS1_25partition_config_selectorILNS1_17partition_subalgoE6EsNS0_10empty_typeEbEEZZNS1_14partition_implILS5_6ELb0ES3_mN6thrust23THRUST_200600_302600_NS6detail15normal_iteratorINSA_10device_ptrIsEEEEPS6_SG_NS0_5tupleIJSF_S6_EEENSH_IJSG_SG_EEES6_PlJNSB_9not_fun_tINSB_14equal_to_valueIsEEEEEEE10hipError_tPvRmT3_T4_T5_T6_T7_T9_mT8_P12ihipStream_tbDpT10_ENKUlT_T0_E_clISt17integral_constantIbLb0EES17_IbLb1EEEEDaS13_S14_EUlS13_E_NS1_11comp_targetILNS1_3genE5ELNS1_11target_archE942ELNS1_3gpuE9ELNS1_3repE0EEENS1_30default_config_static_selectorELNS0_4arch9wavefront6targetE0EEEvT1_.has_dyn_sized_stack, 0
	.set _ZN7rocprim17ROCPRIM_400000_NS6detail17trampoline_kernelINS0_14default_configENS1_25partition_config_selectorILNS1_17partition_subalgoE6EsNS0_10empty_typeEbEEZZNS1_14partition_implILS5_6ELb0ES3_mN6thrust23THRUST_200600_302600_NS6detail15normal_iteratorINSA_10device_ptrIsEEEEPS6_SG_NS0_5tupleIJSF_S6_EEENSH_IJSG_SG_EEES6_PlJNSB_9not_fun_tINSB_14equal_to_valueIsEEEEEEE10hipError_tPvRmT3_T4_T5_T6_T7_T9_mT8_P12ihipStream_tbDpT10_ENKUlT_T0_E_clISt17integral_constantIbLb0EES17_IbLb1EEEEDaS13_S14_EUlS13_E_NS1_11comp_targetILNS1_3genE5ELNS1_11target_archE942ELNS1_3gpuE9ELNS1_3repE0EEENS1_30default_config_static_selectorELNS0_4arch9wavefront6targetE0EEEvT1_.has_recursion, 0
	.set _ZN7rocprim17ROCPRIM_400000_NS6detail17trampoline_kernelINS0_14default_configENS1_25partition_config_selectorILNS1_17partition_subalgoE6EsNS0_10empty_typeEbEEZZNS1_14partition_implILS5_6ELb0ES3_mN6thrust23THRUST_200600_302600_NS6detail15normal_iteratorINSA_10device_ptrIsEEEEPS6_SG_NS0_5tupleIJSF_S6_EEENSH_IJSG_SG_EEES6_PlJNSB_9not_fun_tINSB_14equal_to_valueIsEEEEEEE10hipError_tPvRmT3_T4_T5_T6_T7_T9_mT8_P12ihipStream_tbDpT10_ENKUlT_T0_E_clISt17integral_constantIbLb0EES17_IbLb1EEEEDaS13_S14_EUlS13_E_NS1_11comp_targetILNS1_3genE5ELNS1_11target_archE942ELNS1_3gpuE9ELNS1_3repE0EEENS1_30default_config_static_selectorELNS0_4arch9wavefront6targetE0EEEvT1_.has_indirect_call, 0
	.section	.AMDGPU.csdata,"",@progbits
; Kernel info:
; codeLenInByte = 0
; TotalNumSgprs: 0
; NumVgprs: 0
; ScratchSize: 0
; MemoryBound: 0
; FloatMode: 240
; IeeeMode: 1
; LDSByteSize: 0 bytes/workgroup (compile time only)
; SGPRBlocks: 0
; VGPRBlocks: 0
; NumSGPRsForWavesPerEU: 1
; NumVGPRsForWavesPerEU: 1
; Occupancy: 16
; WaveLimiterHint : 0
; COMPUTE_PGM_RSRC2:SCRATCH_EN: 0
; COMPUTE_PGM_RSRC2:USER_SGPR: 2
; COMPUTE_PGM_RSRC2:TRAP_HANDLER: 0
; COMPUTE_PGM_RSRC2:TGID_X_EN: 1
; COMPUTE_PGM_RSRC2:TGID_Y_EN: 0
; COMPUTE_PGM_RSRC2:TGID_Z_EN: 0
; COMPUTE_PGM_RSRC2:TIDIG_COMP_CNT: 0
	.section	.text._ZN7rocprim17ROCPRIM_400000_NS6detail17trampoline_kernelINS0_14default_configENS1_25partition_config_selectorILNS1_17partition_subalgoE6EsNS0_10empty_typeEbEEZZNS1_14partition_implILS5_6ELb0ES3_mN6thrust23THRUST_200600_302600_NS6detail15normal_iteratorINSA_10device_ptrIsEEEEPS6_SG_NS0_5tupleIJSF_S6_EEENSH_IJSG_SG_EEES6_PlJNSB_9not_fun_tINSB_14equal_to_valueIsEEEEEEE10hipError_tPvRmT3_T4_T5_T6_T7_T9_mT8_P12ihipStream_tbDpT10_ENKUlT_T0_E_clISt17integral_constantIbLb0EES17_IbLb1EEEEDaS13_S14_EUlS13_E_NS1_11comp_targetILNS1_3genE4ELNS1_11target_archE910ELNS1_3gpuE8ELNS1_3repE0EEENS1_30default_config_static_selectorELNS0_4arch9wavefront6targetE0EEEvT1_,"axG",@progbits,_ZN7rocprim17ROCPRIM_400000_NS6detail17trampoline_kernelINS0_14default_configENS1_25partition_config_selectorILNS1_17partition_subalgoE6EsNS0_10empty_typeEbEEZZNS1_14partition_implILS5_6ELb0ES3_mN6thrust23THRUST_200600_302600_NS6detail15normal_iteratorINSA_10device_ptrIsEEEEPS6_SG_NS0_5tupleIJSF_S6_EEENSH_IJSG_SG_EEES6_PlJNSB_9not_fun_tINSB_14equal_to_valueIsEEEEEEE10hipError_tPvRmT3_T4_T5_T6_T7_T9_mT8_P12ihipStream_tbDpT10_ENKUlT_T0_E_clISt17integral_constantIbLb0EES17_IbLb1EEEEDaS13_S14_EUlS13_E_NS1_11comp_targetILNS1_3genE4ELNS1_11target_archE910ELNS1_3gpuE8ELNS1_3repE0EEENS1_30default_config_static_selectorELNS0_4arch9wavefront6targetE0EEEvT1_,comdat
	.protected	_ZN7rocprim17ROCPRIM_400000_NS6detail17trampoline_kernelINS0_14default_configENS1_25partition_config_selectorILNS1_17partition_subalgoE6EsNS0_10empty_typeEbEEZZNS1_14partition_implILS5_6ELb0ES3_mN6thrust23THRUST_200600_302600_NS6detail15normal_iteratorINSA_10device_ptrIsEEEEPS6_SG_NS0_5tupleIJSF_S6_EEENSH_IJSG_SG_EEES6_PlJNSB_9not_fun_tINSB_14equal_to_valueIsEEEEEEE10hipError_tPvRmT3_T4_T5_T6_T7_T9_mT8_P12ihipStream_tbDpT10_ENKUlT_T0_E_clISt17integral_constantIbLb0EES17_IbLb1EEEEDaS13_S14_EUlS13_E_NS1_11comp_targetILNS1_3genE4ELNS1_11target_archE910ELNS1_3gpuE8ELNS1_3repE0EEENS1_30default_config_static_selectorELNS0_4arch9wavefront6targetE0EEEvT1_ ; -- Begin function _ZN7rocprim17ROCPRIM_400000_NS6detail17trampoline_kernelINS0_14default_configENS1_25partition_config_selectorILNS1_17partition_subalgoE6EsNS0_10empty_typeEbEEZZNS1_14partition_implILS5_6ELb0ES3_mN6thrust23THRUST_200600_302600_NS6detail15normal_iteratorINSA_10device_ptrIsEEEEPS6_SG_NS0_5tupleIJSF_S6_EEENSH_IJSG_SG_EEES6_PlJNSB_9not_fun_tINSB_14equal_to_valueIsEEEEEEE10hipError_tPvRmT3_T4_T5_T6_T7_T9_mT8_P12ihipStream_tbDpT10_ENKUlT_T0_E_clISt17integral_constantIbLb0EES17_IbLb1EEEEDaS13_S14_EUlS13_E_NS1_11comp_targetILNS1_3genE4ELNS1_11target_archE910ELNS1_3gpuE8ELNS1_3repE0EEENS1_30default_config_static_selectorELNS0_4arch9wavefront6targetE0EEEvT1_
	.globl	_ZN7rocprim17ROCPRIM_400000_NS6detail17trampoline_kernelINS0_14default_configENS1_25partition_config_selectorILNS1_17partition_subalgoE6EsNS0_10empty_typeEbEEZZNS1_14partition_implILS5_6ELb0ES3_mN6thrust23THRUST_200600_302600_NS6detail15normal_iteratorINSA_10device_ptrIsEEEEPS6_SG_NS0_5tupleIJSF_S6_EEENSH_IJSG_SG_EEES6_PlJNSB_9not_fun_tINSB_14equal_to_valueIsEEEEEEE10hipError_tPvRmT3_T4_T5_T6_T7_T9_mT8_P12ihipStream_tbDpT10_ENKUlT_T0_E_clISt17integral_constantIbLb0EES17_IbLb1EEEEDaS13_S14_EUlS13_E_NS1_11comp_targetILNS1_3genE4ELNS1_11target_archE910ELNS1_3gpuE8ELNS1_3repE0EEENS1_30default_config_static_selectorELNS0_4arch9wavefront6targetE0EEEvT1_
	.p2align	8
	.type	_ZN7rocprim17ROCPRIM_400000_NS6detail17trampoline_kernelINS0_14default_configENS1_25partition_config_selectorILNS1_17partition_subalgoE6EsNS0_10empty_typeEbEEZZNS1_14partition_implILS5_6ELb0ES3_mN6thrust23THRUST_200600_302600_NS6detail15normal_iteratorINSA_10device_ptrIsEEEEPS6_SG_NS0_5tupleIJSF_S6_EEENSH_IJSG_SG_EEES6_PlJNSB_9not_fun_tINSB_14equal_to_valueIsEEEEEEE10hipError_tPvRmT3_T4_T5_T6_T7_T9_mT8_P12ihipStream_tbDpT10_ENKUlT_T0_E_clISt17integral_constantIbLb0EES17_IbLb1EEEEDaS13_S14_EUlS13_E_NS1_11comp_targetILNS1_3genE4ELNS1_11target_archE910ELNS1_3gpuE8ELNS1_3repE0EEENS1_30default_config_static_selectorELNS0_4arch9wavefront6targetE0EEEvT1_,@function
_ZN7rocprim17ROCPRIM_400000_NS6detail17trampoline_kernelINS0_14default_configENS1_25partition_config_selectorILNS1_17partition_subalgoE6EsNS0_10empty_typeEbEEZZNS1_14partition_implILS5_6ELb0ES3_mN6thrust23THRUST_200600_302600_NS6detail15normal_iteratorINSA_10device_ptrIsEEEEPS6_SG_NS0_5tupleIJSF_S6_EEENSH_IJSG_SG_EEES6_PlJNSB_9not_fun_tINSB_14equal_to_valueIsEEEEEEE10hipError_tPvRmT3_T4_T5_T6_T7_T9_mT8_P12ihipStream_tbDpT10_ENKUlT_T0_E_clISt17integral_constantIbLb0EES17_IbLb1EEEEDaS13_S14_EUlS13_E_NS1_11comp_targetILNS1_3genE4ELNS1_11target_archE910ELNS1_3gpuE8ELNS1_3repE0EEENS1_30default_config_static_selectorELNS0_4arch9wavefront6targetE0EEEvT1_: ; @_ZN7rocprim17ROCPRIM_400000_NS6detail17trampoline_kernelINS0_14default_configENS1_25partition_config_selectorILNS1_17partition_subalgoE6EsNS0_10empty_typeEbEEZZNS1_14partition_implILS5_6ELb0ES3_mN6thrust23THRUST_200600_302600_NS6detail15normal_iteratorINSA_10device_ptrIsEEEEPS6_SG_NS0_5tupleIJSF_S6_EEENSH_IJSG_SG_EEES6_PlJNSB_9not_fun_tINSB_14equal_to_valueIsEEEEEEE10hipError_tPvRmT3_T4_T5_T6_T7_T9_mT8_P12ihipStream_tbDpT10_ENKUlT_T0_E_clISt17integral_constantIbLb0EES17_IbLb1EEEEDaS13_S14_EUlS13_E_NS1_11comp_targetILNS1_3genE4ELNS1_11target_archE910ELNS1_3gpuE8ELNS1_3repE0EEENS1_30default_config_static_selectorELNS0_4arch9wavefront6targetE0EEEvT1_
; %bb.0:
	.section	.rodata,"a",@progbits
	.p2align	6, 0x0
	.amdhsa_kernel _ZN7rocprim17ROCPRIM_400000_NS6detail17trampoline_kernelINS0_14default_configENS1_25partition_config_selectorILNS1_17partition_subalgoE6EsNS0_10empty_typeEbEEZZNS1_14partition_implILS5_6ELb0ES3_mN6thrust23THRUST_200600_302600_NS6detail15normal_iteratorINSA_10device_ptrIsEEEEPS6_SG_NS0_5tupleIJSF_S6_EEENSH_IJSG_SG_EEES6_PlJNSB_9not_fun_tINSB_14equal_to_valueIsEEEEEEE10hipError_tPvRmT3_T4_T5_T6_T7_T9_mT8_P12ihipStream_tbDpT10_ENKUlT_T0_E_clISt17integral_constantIbLb0EES17_IbLb1EEEEDaS13_S14_EUlS13_E_NS1_11comp_targetILNS1_3genE4ELNS1_11target_archE910ELNS1_3gpuE8ELNS1_3repE0EEENS1_30default_config_static_selectorELNS0_4arch9wavefront6targetE0EEEvT1_
		.amdhsa_group_segment_fixed_size 0
		.amdhsa_private_segment_fixed_size 0
		.amdhsa_kernarg_size 128
		.amdhsa_user_sgpr_count 2
		.amdhsa_user_sgpr_dispatch_ptr 0
		.amdhsa_user_sgpr_queue_ptr 0
		.amdhsa_user_sgpr_kernarg_segment_ptr 1
		.amdhsa_user_sgpr_dispatch_id 0
		.amdhsa_user_sgpr_private_segment_size 0
		.amdhsa_wavefront_size32 1
		.amdhsa_uses_dynamic_stack 0
		.amdhsa_enable_private_segment 0
		.amdhsa_system_sgpr_workgroup_id_x 1
		.amdhsa_system_sgpr_workgroup_id_y 0
		.amdhsa_system_sgpr_workgroup_id_z 0
		.amdhsa_system_sgpr_workgroup_info 0
		.amdhsa_system_vgpr_workitem_id 0
		.amdhsa_next_free_vgpr 1
		.amdhsa_next_free_sgpr 1
		.amdhsa_reserve_vcc 0
		.amdhsa_float_round_mode_32 0
		.amdhsa_float_round_mode_16_64 0
		.amdhsa_float_denorm_mode_32 3
		.amdhsa_float_denorm_mode_16_64 3
		.amdhsa_fp16_overflow 0
		.amdhsa_workgroup_processor_mode 1
		.amdhsa_memory_ordered 1
		.amdhsa_forward_progress 1
		.amdhsa_inst_pref_size 0
		.amdhsa_round_robin_scheduling 0
		.amdhsa_exception_fp_ieee_invalid_op 0
		.amdhsa_exception_fp_denorm_src 0
		.amdhsa_exception_fp_ieee_div_zero 0
		.amdhsa_exception_fp_ieee_overflow 0
		.amdhsa_exception_fp_ieee_underflow 0
		.amdhsa_exception_fp_ieee_inexact 0
		.amdhsa_exception_int_div_zero 0
	.end_amdhsa_kernel
	.section	.text._ZN7rocprim17ROCPRIM_400000_NS6detail17trampoline_kernelINS0_14default_configENS1_25partition_config_selectorILNS1_17partition_subalgoE6EsNS0_10empty_typeEbEEZZNS1_14partition_implILS5_6ELb0ES3_mN6thrust23THRUST_200600_302600_NS6detail15normal_iteratorINSA_10device_ptrIsEEEEPS6_SG_NS0_5tupleIJSF_S6_EEENSH_IJSG_SG_EEES6_PlJNSB_9not_fun_tINSB_14equal_to_valueIsEEEEEEE10hipError_tPvRmT3_T4_T5_T6_T7_T9_mT8_P12ihipStream_tbDpT10_ENKUlT_T0_E_clISt17integral_constantIbLb0EES17_IbLb1EEEEDaS13_S14_EUlS13_E_NS1_11comp_targetILNS1_3genE4ELNS1_11target_archE910ELNS1_3gpuE8ELNS1_3repE0EEENS1_30default_config_static_selectorELNS0_4arch9wavefront6targetE0EEEvT1_,"axG",@progbits,_ZN7rocprim17ROCPRIM_400000_NS6detail17trampoline_kernelINS0_14default_configENS1_25partition_config_selectorILNS1_17partition_subalgoE6EsNS0_10empty_typeEbEEZZNS1_14partition_implILS5_6ELb0ES3_mN6thrust23THRUST_200600_302600_NS6detail15normal_iteratorINSA_10device_ptrIsEEEEPS6_SG_NS0_5tupleIJSF_S6_EEENSH_IJSG_SG_EEES6_PlJNSB_9not_fun_tINSB_14equal_to_valueIsEEEEEEE10hipError_tPvRmT3_T4_T5_T6_T7_T9_mT8_P12ihipStream_tbDpT10_ENKUlT_T0_E_clISt17integral_constantIbLb0EES17_IbLb1EEEEDaS13_S14_EUlS13_E_NS1_11comp_targetILNS1_3genE4ELNS1_11target_archE910ELNS1_3gpuE8ELNS1_3repE0EEENS1_30default_config_static_selectorELNS0_4arch9wavefront6targetE0EEEvT1_,comdat
.Lfunc_end527:
	.size	_ZN7rocprim17ROCPRIM_400000_NS6detail17trampoline_kernelINS0_14default_configENS1_25partition_config_selectorILNS1_17partition_subalgoE6EsNS0_10empty_typeEbEEZZNS1_14partition_implILS5_6ELb0ES3_mN6thrust23THRUST_200600_302600_NS6detail15normal_iteratorINSA_10device_ptrIsEEEEPS6_SG_NS0_5tupleIJSF_S6_EEENSH_IJSG_SG_EEES6_PlJNSB_9not_fun_tINSB_14equal_to_valueIsEEEEEEE10hipError_tPvRmT3_T4_T5_T6_T7_T9_mT8_P12ihipStream_tbDpT10_ENKUlT_T0_E_clISt17integral_constantIbLb0EES17_IbLb1EEEEDaS13_S14_EUlS13_E_NS1_11comp_targetILNS1_3genE4ELNS1_11target_archE910ELNS1_3gpuE8ELNS1_3repE0EEENS1_30default_config_static_selectorELNS0_4arch9wavefront6targetE0EEEvT1_, .Lfunc_end527-_ZN7rocprim17ROCPRIM_400000_NS6detail17trampoline_kernelINS0_14default_configENS1_25partition_config_selectorILNS1_17partition_subalgoE6EsNS0_10empty_typeEbEEZZNS1_14partition_implILS5_6ELb0ES3_mN6thrust23THRUST_200600_302600_NS6detail15normal_iteratorINSA_10device_ptrIsEEEEPS6_SG_NS0_5tupleIJSF_S6_EEENSH_IJSG_SG_EEES6_PlJNSB_9not_fun_tINSB_14equal_to_valueIsEEEEEEE10hipError_tPvRmT3_T4_T5_T6_T7_T9_mT8_P12ihipStream_tbDpT10_ENKUlT_T0_E_clISt17integral_constantIbLb0EES17_IbLb1EEEEDaS13_S14_EUlS13_E_NS1_11comp_targetILNS1_3genE4ELNS1_11target_archE910ELNS1_3gpuE8ELNS1_3repE0EEENS1_30default_config_static_selectorELNS0_4arch9wavefront6targetE0EEEvT1_
                                        ; -- End function
	.set _ZN7rocprim17ROCPRIM_400000_NS6detail17trampoline_kernelINS0_14default_configENS1_25partition_config_selectorILNS1_17partition_subalgoE6EsNS0_10empty_typeEbEEZZNS1_14partition_implILS5_6ELb0ES3_mN6thrust23THRUST_200600_302600_NS6detail15normal_iteratorINSA_10device_ptrIsEEEEPS6_SG_NS0_5tupleIJSF_S6_EEENSH_IJSG_SG_EEES6_PlJNSB_9not_fun_tINSB_14equal_to_valueIsEEEEEEE10hipError_tPvRmT3_T4_T5_T6_T7_T9_mT8_P12ihipStream_tbDpT10_ENKUlT_T0_E_clISt17integral_constantIbLb0EES17_IbLb1EEEEDaS13_S14_EUlS13_E_NS1_11comp_targetILNS1_3genE4ELNS1_11target_archE910ELNS1_3gpuE8ELNS1_3repE0EEENS1_30default_config_static_selectorELNS0_4arch9wavefront6targetE0EEEvT1_.num_vgpr, 0
	.set _ZN7rocprim17ROCPRIM_400000_NS6detail17trampoline_kernelINS0_14default_configENS1_25partition_config_selectorILNS1_17partition_subalgoE6EsNS0_10empty_typeEbEEZZNS1_14partition_implILS5_6ELb0ES3_mN6thrust23THRUST_200600_302600_NS6detail15normal_iteratorINSA_10device_ptrIsEEEEPS6_SG_NS0_5tupleIJSF_S6_EEENSH_IJSG_SG_EEES6_PlJNSB_9not_fun_tINSB_14equal_to_valueIsEEEEEEE10hipError_tPvRmT3_T4_T5_T6_T7_T9_mT8_P12ihipStream_tbDpT10_ENKUlT_T0_E_clISt17integral_constantIbLb0EES17_IbLb1EEEEDaS13_S14_EUlS13_E_NS1_11comp_targetILNS1_3genE4ELNS1_11target_archE910ELNS1_3gpuE8ELNS1_3repE0EEENS1_30default_config_static_selectorELNS0_4arch9wavefront6targetE0EEEvT1_.num_agpr, 0
	.set _ZN7rocprim17ROCPRIM_400000_NS6detail17trampoline_kernelINS0_14default_configENS1_25partition_config_selectorILNS1_17partition_subalgoE6EsNS0_10empty_typeEbEEZZNS1_14partition_implILS5_6ELb0ES3_mN6thrust23THRUST_200600_302600_NS6detail15normal_iteratorINSA_10device_ptrIsEEEEPS6_SG_NS0_5tupleIJSF_S6_EEENSH_IJSG_SG_EEES6_PlJNSB_9not_fun_tINSB_14equal_to_valueIsEEEEEEE10hipError_tPvRmT3_T4_T5_T6_T7_T9_mT8_P12ihipStream_tbDpT10_ENKUlT_T0_E_clISt17integral_constantIbLb0EES17_IbLb1EEEEDaS13_S14_EUlS13_E_NS1_11comp_targetILNS1_3genE4ELNS1_11target_archE910ELNS1_3gpuE8ELNS1_3repE0EEENS1_30default_config_static_selectorELNS0_4arch9wavefront6targetE0EEEvT1_.numbered_sgpr, 0
	.set _ZN7rocprim17ROCPRIM_400000_NS6detail17trampoline_kernelINS0_14default_configENS1_25partition_config_selectorILNS1_17partition_subalgoE6EsNS0_10empty_typeEbEEZZNS1_14partition_implILS5_6ELb0ES3_mN6thrust23THRUST_200600_302600_NS6detail15normal_iteratorINSA_10device_ptrIsEEEEPS6_SG_NS0_5tupleIJSF_S6_EEENSH_IJSG_SG_EEES6_PlJNSB_9not_fun_tINSB_14equal_to_valueIsEEEEEEE10hipError_tPvRmT3_T4_T5_T6_T7_T9_mT8_P12ihipStream_tbDpT10_ENKUlT_T0_E_clISt17integral_constantIbLb0EES17_IbLb1EEEEDaS13_S14_EUlS13_E_NS1_11comp_targetILNS1_3genE4ELNS1_11target_archE910ELNS1_3gpuE8ELNS1_3repE0EEENS1_30default_config_static_selectorELNS0_4arch9wavefront6targetE0EEEvT1_.num_named_barrier, 0
	.set _ZN7rocprim17ROCPRIM_400000_NS6detail17trampoline_kernelINS0_14default_configENS1_25partition_config_selectorILNS1_17partition_subalgoE6EsNS0_10empty_typeEbEEZZNS1_14partition_implILS5_6ELb0ES3_mN6thrust23THRUST_200600_302600_NS6detail15normal_iteratorINSA_10device_ptrIsEEEEPS6_SG_NS0_5tupleIJSF_S6_EEENSH_IJSG_SG_EEES6_PlJNSB_9not_fun_tINSB_14equal_to_valueIsEEEEEEE10hipError_tPvRmT3_T4_T5_T6_T7_T9_mT8_P12ihipStream_tbDpT10_ENKUlT_T0_E_clISt17integral_constantIbLb0EES17_IbLb1EEEEDaS13_S14_EUlS13_E_NS1_11comp_targetILNS1_3genE4ELNS1_11target_archE910ELNS1_3gpuE8ELNS1_3repE0EEENS1_30default_config_static_selectorELNS0_4arch9wavefront6targetE0EEEvT1_.private_seg_size, 0
	.set _ZN7rocprim17ROCPRIM_400000_NS6detail17trampoline_kernelINS0_14default_configENS1_25partition_config_selectorILNS1_17partition_subalgoE6EsNS0_10empty_typeEbEEZZNS1_14partition_implILS5_6ELb0ES3_mN6thrust23THRUST_200600_302600_NS6detail15normal_iteratorINSA_10device_ptrIsEEEEPS6_SG_NS0_5tupleIJSF_S6_EEENSH_IJSG_SG_EEES6_PlJNSB_9not_fun_tINSB_14equal_to_valueIsEEEEEEE10hipError_tPvRmT3_T4_T5_T6_T7_T9_mT8_P12ihipStream_tbDpT10_ENKUlT_T0_E_clISt17integral_constantIbLb0EES17_IbLb1EEEEDaS13_S14_EUlS13_E_NS1_11comp_targetILNS1_3genE4ELNS1_11target_archE910ELNS1_3gpuE8ELNS1_3repE0EEENS1_30default_config_static_selectorELNS0_4arch9wavefront6targetE0EEEvT1_.uses_vcc, 0
	.set _ZN7rocprim17ROCPRIM_400000_NS6detail17trampoline_kernelINS0_14default_configENS1_25partition_config_selectorILNS1_17partition_subalgoE6EsNS0_10empty_typeEbEEZZNS1_14partition_implILS5_6ELb0ES3_mN6thrust23THRUST_200600_302600_NS6detail15normal_iteratorINSA_10device_ptrIsEEEEPS6_SG_NS0_5tupleIJSF_S6_EEENSH_IJSG_SG_EEES6_PlJNSB_9not_fun_tINSB_14equal_to_valueIsEEEEEEE10hipError_tPvRmT3_T4_T5_T6_T7_T9_mT8_P12ihipStream_tbDpT10_ENKUlT_T0_E_clISt17integral_constantIbLb0EES17_IbLb1EEEEDaS13_S14_EUlS13_E_NS1_11comp_targetILNS1_3genE4ELNS1_11target_archE910ELNS1_3gpuE8ELNS1_3repE0EEENS1_30default_config_static_selectorELNS0_4arch9wavefront6targetE0EEEvT1_.uses_flat_scratch, 0
	.set _ZN7rocprim17ROCPRIM_400000_NS6detail17trampoline_kernelINS0_14default_configENS1_25partition_config_selectorILNS1_17partition_subalgoE6EsNS0_10empty_typeEbEEZZNS1_14partition_implILS5_6ELb0ES3_mN6thrust23THRUST_200600_302600_NS6detail15normal_iteratorINSA_10device_ptrIsEEEEPS6_SG_NS0_5tupleIJSF_S6_EEENSH_IJSG_SG_EEES6_PlJNSB_9not_fun_tINSB_14equal_to_valueIsEEEEEEE10hipError_tPvRmT3_T4_T5_T6_T7_T9_mT8_P12ihipStream_tbDpT10_ENKUlT_T0_E_clISt17integral_constantIbLb0EES17_IbLb1EEEEDaS13_S14_EUlS13_E_NS1_11comp_targetILNS1_3genE4ELNS1_11target_archE910ELNS1_3gpuE8ELNS1_3repE0EEENS1_30default_config_static_selectorELNS0_4arch9wavefront6targetE0EEEvT1_.has_dyn_sized_stack, 0
	.set _ZN7rocprim17ROCPRIM_400000_NS6detail17trampoline_kernelINS0_14default_configENS1_25partition_config_selectorILNS1_17partition_subalgoE6EsNS0_10empty_typeEbEEZZNS1_14partition_implILS5_6ELb0ES3_mN6thrust23THRUST_200600_302600_NS6detail15normal_iteratorINSA_10device_ptrIsEEEEPS6_SG_NS0_5tupleIJSF_S6_EEENSH_IJSG_SG_EEES6_PlJNSB_9not_fun_tINSB_14equal_to_valueIsEEEEEEE10hipError_tPvRmT3_T4_T5_T6_T7_T9_mT8_P12ihipStream_tbDpT10_ENKUlT_T0_E_clISt17integral_constantIbLb0EES17_IbLb1EEEEDaS13_S14_EUlS13_E_NS1_11comp_targetILNS1_3genE4ELNS1_11target_archE910ELNS1_3gpuE8ELNS1_3repE0EEENS1_30default_config_static_selectorELNS0_4arch9wavefront6targetE0EEEvT1_.has_recursion, 0
	.set _ZN7rocprim17ROCPRIM_400000_NS6detail17trampoline_kernelINS0_14default_configENS1_25partition_config_selectorILNS1_17partition_subalgoE6EsNS0_10empty_typeEbEEZZNS1_14partition_implILS5_6ELb0ES3_mN6thrust23THRUST_200600_302600_NS6detail15normal_iteratorINSA_10device_ptrIsEEEEPS6_SG_NS0_5tupleIJSF_S6_EEENSH_IJSG_SG_EEES6_PlJNSB_9not_fun_tINSB_14equal_to_valueIsEEEEEEE10hipError_tPvRmT3_T4_T5_T6_T7_T9_mT8_P12ihipStream_tbDpT10_ENKUlT_T0_E_clISt17integral_constantIbLb0EES17_IbLb1EEEEDaS13_S14_EUlS13_E_NS1_11comp_targetILNS1_3genE4ELNS1_11target_archE910ELNS1_3gpuE8ELNS1_3repE0EEENS1_30default_config_static_selectorELNS0_4arch9wavefront6targetE0EEEvT1_.has_indirect_call, 0
	.section	.AMDGPU.csdata,"",@progbits
; Kernel info:
; codeLenInByte = 0
; TotalNumSgprs: 0
; NumVgprs: 0
; ScratchSize: 0
; MemoryBound: 0
; FloatMode: 240
; IeeeMode: 1
; LDSByteSize: 0 bytes/workgroup (compile time only)
; SGPRBlocks: 0
; VGPRBlocks: 0
; NumSGPRsForWavesPerEU: 1
; NumVGPRsForWavesPerEU: 1
; Occupancy: 16
; WaveLimiterHint : 0
; COMPUTE_PGM_RSRC2:SCRATCH_EN: 0
; COMPUTE_PGM_RSRC2:USER_SGPR: 2
; COMPUTE_PGM_RSRC2:TRAP_HANDLER: 0
; COMPUTE_PGM_RSRC2:TGID_X_EN: 1
; COMPUTE_PGM_RSRC2:TGID_Y_EN: 0
; COMPUTE_PGM_RSRC2:TGID_Z_EN: 0
; COMPUTE_PGM_RSRC2:TIDIG_COMP_CNT: 0
	.section	.text._ZN7rocprim17ROCPRIM_400000_NS6detail17trampoline_kernelINS0_14default_configENS1_25partition_config_selectorILNS1_17partition_subalgoE6EsNS0_10empty_typeEbEEZZNS1_14partition_implILS5_6ELb0ES3_mN6thrust23THRUST_200600_302600_NS6detail15normal_iteratorINSA_10device_ptrIsEEEEPS6_SG_NS0_5tupleIJSF_S6_EEENSH_IJSG_SG_EEES6_PlJNSB_9not_fun_tINSB_14equal_to_valueIsEEEEEEE10hipError_tPvRmT3_T4_T5_T6_T7_T9_mT8_P12ihipStream_tbDpT10_ENKUlT_T0_E_clISt17integral_constantIbLb0EES17_IbLb1EEEEDaS13_S14_EUlS13_E_NS1_11comp_targetILNS1_3genE3ELNS1_11target_archE908ELNS1_3gpuE7ELNS1_3repE0EEENS1_30default_config_static_selectorELNS0_4arch9wavefront6targetE0EEEvT1_,"axG",@progbits,_ZN7rocprim17ROCPRIM_400000_NS6detail17trampoline_kernelINS0_14default_configENS1_25partition_config_selectorILNS1_17partition_subalgoE6EsNS0_10empty_typeEbEEZZNS1_14partition_implILS5_6ELb0ES3_mN6thrust23THRUST_200600_302600_NS6detail15normal_iteratorINSA_10device_ptrIsEEEEPS6_SG_NS0_5tupleIJSF_S6_EEENSH_IJSG_SG_EEES6_PlJNSB_9not_fun_tINSB_14equal_to_valueIsEEEEEEE10hipError_tPvRmT3_T4_T5_T6_T7_T9_mT8_P12ihipStream_tbDpT10_ENKUlT_T0_E_clISt17integral_constantIbLb0EES17_IbLb1EEEEDaS13_S14_EUlS13_E_NS1_11comp_targetILNS1_3genE3ELNS1_11target_archE908ELNS1_3gpuE7ELNS1_3repE0EEENS1_30default_config_static_selectorELNS0_4arch9wavefront6targetE0EEEvT1_,comdat
	.protected	_ZN7rocprim17ROCPRIM_400000_NS6detail17trampoline_kernelINS0_14default_configENS1_25partition_config_selectorILNS1_17partition_subalgoE6EsNS0_10empty_typeEbEEZZNS1_14partition_implILS5_6ELb0ES3_mN6thrust23THRUST_200600_302600_NS6detail15normal_iteratorINSA_10device_ptrIsEEEEPS6_SG_NS0_5tupleIJSF_S6_EEENSH_IJSG_SG_EEES6_PlJNSB_9not_fun_tINSB_14equal_to_valueIsEEEEEEE10hipError_tPvRmT3_T4_T5_T6_T7_T9_mT8_P12ihipStream_tbDpT10_ENKUlT_T0_E_clISt17integral_constantIbLb0EES17_IbLb1EEEEDaS13_S14_EUlS13_E_NS1_11comp_targetILNS1_3genE3ELNS1_11target_archE908ELNS1_3gpuE7ELNS1_3repE0EEENS1_30default_config_static_selectorELNS0_4arch9wavefront6targetE0EEEvT1_ ; -- Begin function _ZN7rocprim17ROCPRIM_400000_NS6detail17trampoline_kernelINS0_14default_configENS1_25partition_config_selectorILNS1_17partition_subalgoE6EsNS0_10empty_typeEbEEZZNS1_14partition_implILS5_6ELb0ES3_mN6thrust23THRUST_200600_302600_NS6detail15normal_iteratorINSA_10device_ptrIsEEEEPS6_SG_NS0_5tupleIJSF_S6_EEENSH_IJSG_SG_EEES6_PlJNSB_9not_fun_tINSB_14equal_to_valueIsEEEEEEE10hipError_tPvRmT3_T4_T5_T6_T7_T9_mT8_P12ihipStream_tbDpT10_ENKUlT_T0_E_clISt17integral_constantIbLb0EES17_IbLb1EEEEDaS13_S14_EUlS13_E_NS1_11comp_targetILNS1_3genE3ELNS1_11target_archE908ELNS1_3gpuE7ELNS1_3repE0EEENS1_30default_config_static_selectorELNS0_4arch9wavefront6targetE0EEEvT1_
	.globl	_ZN7rocprim17ROCPRIM_400000_NS6detail17trampoline_kernelINS0_14default_configENS1_25partition_config_selectorILNS1_17partition_subalgoE6EsNS0_10empty_typeEbEEZZNS1_14partition_implILS5_6ELb0ES3_mN6thrust23THRUST_200600_302600_NS6detail15normal_iteratorINSA_10device_ptrIsEEEEPS6_SG_NS0_5tupleIJSF_S6_EEENSH_IJSG_SG_EEES6_PlJNSB_9not_fun_tINSB_14equal_to_valueIsEEEEEEE10hipError_tPvRmT3_T4_T5_T6_T7_T9_mT8_P12ihipStream_tbDpT10_ENKUlT_T0_E_clISt17integral_constantIbLb0EES17_IbLb1EEEEDaS13_S14_EUlS13_E_NS1_11comp_targetILNS1_3genE3ELNS1_11target_archE908ELNS1_3gpuE7ELNS1_3repE0EEENS1_30default_config_static_selectorELNS0_4arch9wavefront6targetE0EEEvT1_
	.p2align	8
	.type	_ZN7rocprim17ROCPRIM_400000_NS6detail17trampoline_kernelINS0_14default_configENS1_25partition_config_selectorILNS1_17partition_subalgoE6EsNS0_10empty_typeEbEEZZNS1_14partition_implILS5_6ELb0ES3_mN6thrust23THRUST_200600_302600_NS6detail15normal_iteratorINSA_10device_ptrIsEEEEPS6_SG_NS0_5tupleIJSF_S6_EEENSH_IJSG_SG_EEES6_PlJNSB_9not_fun_tINSB_14equal_to_valueIsEEEEEEE10hipError_tPvRmT3_T4_T5_T6_T7_T9_mT8_P12ihipStream_tbDpT10_ENKUlT_T0_E_clISt17integral_constantIbLb0EES17_IbLb1EEEEDaS13_S14_EUlS13_E_NS1_11comp_targetILNS1_3genE3ELNS1_11target_archE908ELNS1_3gpuE7ELNS1_3repE0EEENS1_30default_config_static_selectorELNS0_4arch9wavefront6targetE0EEEvT1_,@function
_ZN7rocprim17ROCPRIM_400000_NS6detail17trampoline_kernelINS0_14default_configENS1_25partition_config_selectorILNS1_17partition_subalgoE6EsNS0_10empty_typeEbEEZZNS1_14partition_implILS5_6ELb0ES3_mN6thrust23THRUST_200600_302600_NS6detail15normal_iteratorINSA_10device_ptrIsEEEEPS6_SG_NS0_5tupleIJSF_S6_EEENSH_IJSG_SG_EEES6_PlJNSB_9not_fun_tINSB_14equal_to_valueIsEEEEEEE10hipError_tPvRmT3_T4_T5_T6_T7_T9_mT8_P12ihipStream_tbDpT10_ENKUlT_T0_E_clISt17integral_constantIbLb0EES17_IbLb1EEEEDaS13_S14_EUlS13_E_NS1_11comp_targetILNS1_3genE3ELNS1_11target_archE908ELNS1_3gpuE7ELNS1_3repE0EEENS1_30default_config_static_selectorELNS0_4arch9wavefront6targetE0EEEvT1_: ; @_ZN7rocprim17ROCPRIM_400000_NS6detail17trampoline_kernelINS0_14default_configENS1_25partition_config_selectorILNS1_17partition_subalgoE6EsNS0_10empty_typeEbEEZZNS1_14partition_implILS5_6ELb0ES3_mN6thrust23THRUST_200600_302600_NS6detail15normal_iteratorINSA_10device_ptrIsEEEEPS6_SG_NS0_5tupleIJSF_S6_EEENSH_IJSG_SG_EEES6_PlJNSB_9not_fun_tINSB_14equal_to_valueIsEEEEEEE10hipError_tPvRmT3_T4_T5_T6_T7_T9_mT8_P12ihipStream_tbDpT10_ENKUlT_T0_E_clISt17integral_constantIbLb0EES17_IbLb1EEEEDaS13_S14_EUlS13_E_NS1_11comp_targetILNS1_3genE3ELNS1_11target_archE908ELNS1_3gpuE7ELNS1_3repE0EEENS1_30default_config_static_selectorELNS0_4arch9wavefront6targetE0EEEvT1_
; %bb.0:
	.section	.rodata,"a",@progbits
	.p2align	6, 0x0
	.amdhsa_kernel _ZN7rocprim17ROCPRIM_400000_NS6detail17trampoline_kernelINS0_14default_configENS1_25partition_config_selectorILNS1_17partition_subalgoE6EsNS0_10empty_typeEbEEZZNS1_14partition_implILS5_6ELb0ES3_mN6thrust23THRUST_200600_302600_NS6detail15normal_iteratorINSA_10device_ptrIsEEEEPS6_SG_NS0_5tupleIJSF_S6_EEENSH_IJSG_SG_EEES6_PlJNSB_9not_fun_tINSB_14equal_to_valueIsEEEEEEE10hipError_tPvRmT3_T4_T5_T6_T7_T9_mT8_P12ihipStream_tbDpT10_ENKUlT_T0_E_clISt17integral_constantIbLb0EES17_IbLb1EEEEDaS13_S14_EUlS13_E_NS1_11comp_targetILNS1_3genE3ELNS1_11target_archE908ELNS1_3gpuE7ELNS1_3repE0EEENS1_30default_config_static_selectorELNS0_4arch9wavefront6targetE0EEEvT1_
		.amdhsa_group_segment_fixed_size 0
		.amdhsa_private_segment_fixed_size 0
		.amdhsa_kernarg_size 128
		.amdhsa_user_sgpr_count 2
		.amdhsa_user_sgpr_dispatch_ptr 0
		.amdhsa_user_sgpr_queue_ptr 0
		.amdhsa_user_sgpr_kernarg_segment_ptr 1
		.amdhsa_user_sgpr_dispatch_id 0
		.amdhsa_user_sgpr_private_segment_size 0
		.amdhsa_wavefront_size32 1
		.amdhsa_uses_dynamic_stack 0
		.amdhsa_enable_private_segment 0
		.amdhsa_system_sgpr_workgroup_id_x 1
		.amdhsa_system_sgpr_workgroup_id_y 0
		.amdhsa_system_sgpr_workgroup_id_z 0
		.amdhsa_system_sgpr_workgroup_info 0
		.amdhsa_system_vgpr_workitem_id 0
		.amdhsa_next_free_vgpr 1
		.amdhsa_next_free_sgpr 1
		.amdhsa_reserve_vcc 0
		.amdhsa_float_round_mode_32 0
		.amdhsa_float_round_mode_16_64 0
		.amdhsa_float_denorm_mode_32 3
		.amdhsa_float_denorm_mode_16_64 3
		.amdhsa_fp16_overflow 0
		.amdhsa_workgroup_processor_mode 1
		.amdhsa_memory_ordered 1
		.amdhsa_forward_progress 1
		.amdhsa_inst_pref_size 0
		.amdhsa_round_robin_scheduling 0
		.amdhsa_exception_fp_ieee_invalid_op 0
		.amdhsa_exception_fp_denorm_src 0
		.amdhsa_exception_fp_ieee_div_zero 0
		.amdhsa_exception_fp_ieee_overflow 0
		.amdhsa_exception_fp_ieee_underflow 0
		.amdhsa_exception_fp_ieee_inexact 0
		.amdhsa_exception_int_div_zero 0
	.end_amdhsa_kernel
	.section	.text._ZN7rocprim17ROCPRIM_400000_NS6detail17trampoline_kernelINS0_14default_configENS1_25partition_config_selectorILNS1_17partition_subalgoE6EsNS0_10empty_typeEbEEZZNS1_14partition_implILS5_6ELb0ES3_mN6thrust23THRUST_200600_302600_NS6detail15normal_iteratorINSA_10device_ptrIsEEEEPS6_SG_NS0_5tupleIJSF_S6_EEENSH_IJSG_SG_EEES6_PlJNSB_9not_fun_tINSB_14equal_to_valueIsEEEEEEE10hipError_tPvRmT3_T4_T5_T6_T7_T9_mT8_P12ihipStream_tbDpT10_ENKUlT_T0_E_clISt17integral_constantIbLb0EES17_IbLb1EEEEDaS13_S14_EUlS13_E_NS1_11comp_targetILNS1_3genE3ELNS1_11target_archE908ELNS1_3gpuE7ELNS1_3repE0EEENS1_30default_config_static_selectorELNS0_4arch9wavefront6targetE0EEEvT1_,"axG",@progbits,_ZN7rocprim17ROCPRIM_400000_NS6detail17trampoline_kernelINS0_14default_configENS1_25partition_config_selectorILNS1_17partition_subalgoE6EsNS0_10empty_typeEbEEZZNS1_14partition_implILS5_6ELb0ES3_mN6thrust23THRUST_200600_302600_NS6detail15normal_iteratorINSA_10device_ptrIsEEEEPS6_SG_NS0_5tupleIJSF_S6_EEENSH_IJSG_SG_EEES6_PlJNSB_9not_fun_tINSB_14equal_to_valueIsEEEEEEE10hipError_tPvRmT3_T4_T5_T6_T7_T9_mT8_P12ihipStream_tbDpT10_ENKUlT_T0_E_clISt17integral_constantIbLb0EES17_IbLb1EEEEDaS13_S14_EUlS13_E_NS1_11comp_targetILNS1_3genE3ELNS1_11target_archE908ELNS1_3gpuE7ELNS1_3repE0EEENS1_30default_config_static_selectorELNS0_4arch9wavefront6targetE0EEEvT1_,comdat
.Lfunc_end528:
	.size	_ZN7rocprim17ROCPRIM_400000_NS6detail17trampoline_kernelINS0_14default_configENS1_25partition_config_selectorILNS1_17partition_subalgoE6EsNS0_10empty_typeEbEEZZNS1_14partition_implILS5_6ELb0ES3_mN6thrust23THRUST_200600_302600_NS6detail15normal_iteratorINSA_10device_ptrIsEEEEPS6_SG_NS0_5tupleIJSF_S6_EEENSH_IJSG_SG_EEES6_PlJNSB_9not_fun_tINSB_14equal_to_valueIsEEEEEEE10hipError_tPvRmT3_T4_T5_T6_T7_T9_mT8_P12ihipStream_tbDpT10_ENKUlT_T0_E_clISt17integral_constantIbLb0EES17_IbLb1EEEEDaS13_S14_EUlS13_E_NS1_11comp_targetILNS1_3genE3ELNS1_11target_archE908ELNS1_3gpuE7ELNS1_3repE0EEENS1_30default_config_static_selectorELNS0_4arch9wavefront6targetE0EEEvT1_, .Lfunc_end528-_ZN7rocprim17ROCPRIM_400000_NS6detail17trampoline_kernelINS0_14default_configENS1_25partition_config_selectorILNS1_17partition_subalgoE6EsNS0_10empty_typeEbEEZZNS1_14partition_implILS5_6ELb0ES3_mN6thrust23THRUST_200600_302600_NS6detail15normal_iteratorINSA_10device_ptrIsEEEEPS6_SG_NS0_5tupleIJSF_S6_EEENSH_IJSG_SG_EEES6_PlJNSB_9not_fun_tINSB_14equal_to_valueIsEEEEEEE10hipError_tPvRmT3_T4_T5_T6_T7_T9_mT8_P12ihipStream_tbDpT10_ENKUlT_T0_E_clISt17integral_constantIbLb0EES17_IbLb1EEEEDaS13_S14_EUlS13_E_NS1_11comp_targetILNS1_3genE3ELNS1_11target_archE908ELNS1_3gpuE7ELNS1_3repE0EEENS1_30default_config_static_selectorELNS0_4arch9wavefront6targetE0EEEvT1_
                                        ; -- End function
	.set _ZN7rocprim17ROCPRIM_400000_NS6detail17trampoline_kernelINS0_14default_configENS1_25partition_config_selectorILNS1_17partition_subalgoE6EsNS0_10empty_typeEbEEZZNS1_14partition_implILS5_6ELb0ES3_mN6thrust23THRUST_200600_302600_NS6detail15normal_iteratorINSA_10device_ptrIsEEEEPS6_SG_NS0_5tupleIJSF_S6_EEENSH_IJSG_SG_EEES6_PlJNSB_9not_fun_tINSB_14equal_to_valueIsEEEEEEE10hipError_tPvRmT3_T4_T5_T6_T7_T9_mT8_P12ihipStream_tbDpT10_ENKUlT_T0_E_clISt17integral_constantIbLb0EES17_IbLb1EEEEDaS13_S14_EUlS13_E_NS1_11comp_targetILNS1_3genE3ELNS1_11target_archE908ELNS1_3gpuE7ELNS1_3repE0EEENS1_30default_config_static_selectorELNS0_4arch9wavefront6targetE0EEEvT1_.num_vgpr, 0
	.set _ZN7rocprim17ROCPRIM_400000_NS6detail17trampoline_kernelINS0_14default_configENS1_25partition_config_selectorILNS1_17partition_subalgoE6EsNS0_10empty_typeEbEEZZNS1_14partition_implILS5_6ELb0ES3_mN6thrust23THRUST_200600_302600_NS6detail15normal_iteratorINSA_10device_ptrIsEEEEPS6_SG_NS0_5tupleIJSF_S6_EEENSH_IJSG_SG_EEES6_PlJNSB_9not_fun_tINSB_14equal_to_valueIsEEEEEEE10hipError_tPvRmT3_T4_T5_T6_T7_T9_mT8_P12ihipStream_tbDpT10_ENKUlT_T0_E_clISt17integral_constantIbLb0EES17_IbLb1EEEEDaS13_S14_EUlS13_E_NS1_11comp_targetILNS1_3genE3ELNS1_11target_archE908ELNS1_3gpuE7ELNS1_3repE0EEENS1_30default_config_static_selectorELNS0_4arch9wavefront6targetE0EEEvT1_.num_agpr, 0
	.set _ZN7rocprim17ROCPRIM_400000_NS6detail17trampoline_kernelINS0_14default_configENS1_25partition_config_selectorILNS1_17partition_subalgoE6EsNS0_10empty_typeEbEEZZNS1_14partition_implILS5_6ELb0ES3_mN6thrust23THRUST_200600_302600_NS6detail15normal_iteratorINSA_10device_ptrIsEEEEPS6_SG_NS0_5tupleIJSF_S6_EEENSH_IJSG_SG_EEES6_PlJNSB_9not_fun_tINSB_14equal_to_valueIsEEEEEEE10hipError_tPvRmT3_T4_T5_T6_T7_T9_mT8_P12ihipStream_tbDpT10_ENKUlT_T0_E_clISt17integral_constantIbLb0EES17_IbLb1EEEEDaS13_S14_EUlS13_E_NS1_11comp_targetILNS1_3genE3ELNS1_11target_archE908ELNS1_3gpuE7ELNS1_3repE0EEENS1_30default_config_static_selectorELNS0_4arch9wavefront6targetE0EEEvT1_.numbered_sgpr, 0
	.set _ZN7rocprim17ROCPRIM_400000_NS6detail17trampoline_kernelINS0_14default_configENS1_25partition_config_selectorILNS1_17partition_subalgoE6EsNS0_10empty_typeEbEEZZNS1_14partition_implILS5_6ELb0ES3_mN6thrust23THRUST_200600_302600_NS6detail15normal_iteratorINSA_10device_ptrIsEEEEPS6_SG_NS0_5tupleIJSF_S6_EEENSH_IJSG_SG_EEES6_PlJNSB_9not_fun_tINSB_14equal_to_valueIsEEEEEEE10hipError_tPvRmT3_T4_T5_T6_T7_T9_mT8_P12ihipStream_tbDpT10_ENKUlT_T0_E_clISt17integral_constantIbLb0EES17_IbLb1EEEEDaS13_S14_EUlS13_E_NS1_11comp_targetILNS1_3genE3ELNS1_11target_archE908ELNS1_3gpuE7ELNS1_3repE0EEENS1_30default_config_static_selectorELNS0_4arch9wavefront6targetE0EEEvT1_.num_named_barrier, 0
	.set _ZN7rocprim17ROCPRIM_400000_NS6detail17trampoline_kernelINS0_14default_configENS1_25partition_config_selectorILNS1_17partition_subalgoE6EsNS0_10empty_typeEbEEZZNS1_14partition_implILS5_6ELb0ES3_mN6thrust23THRUST_200600_302600_NS6detail15normal_iteratorINSA_10device_ptrIsEEEEPS6_SG_NS0_5tupleIJSF_S6_EEENSH_IJSG_SG_EEES6_PlJNSB_9not_fun_tINSB_14equal_to_valueIsEEEEEEE10hipError_tPvRmT3_T4_T5_T6_T7_T9_mT8_P12ihipStream_tbDpT10_ENKUlT_T0_E_clISt17integral_constantIbLb0EES17_IbLb1EEEEDaS13_S14_EUlS13_E_NS1_11comp_targetILNS1_3genE3ELNS1_11target_archE908ELNS1_3gpuE7ELNS1_3repE0EEENS1_30default_config_static_selectorELNS0_4arch9wavefront6targetE0EEEvT1_.private_seg_size, 0
	.set _ZN7rocprim17ROCPRIM_400000_NS6detail17trampoline_kernelINS0_14default_configENS1_25partition_config_selectorILNS1_17partition_subalgoE6EsNS0_10empty_typeEbEEZZNS1_14partition_implILS5_6ELb0ES3_mN6thrust23THRUST_200600_302600_NS6detail15normal_iteratorINSA_10device_ptrIsEEEEPS6_SG_NS0_5tupleIJSF_S6_EEENSH_IJSG_SG_EEES6_PlJNSB_9not_fun_tINSB_14equal_to_valueIsEEEEEEE10hipError_tPvRmT3_T4_T5_T6_T7_T9_mT8_P12ihipStream_tbDpT10_ENKUlT_T0_E_clISt17integral_constantIbLb0EES17_IbLb1EEEEDaS13_S14_EUlS13_E_NS1_11comp_targetILNS1_3genE3ELNS1_11target_archE908ELNS1_3gpuE7ELNS1_3repE0EEENS1_30default_config_static_selectorELNS0_4arch9wavefront6targetE0EEEvT1_.uses_vcc, 0
	.set _ZN7rocprim17ROCPRIM_400000_NS6detail17trampoline_kernelINS0_14default_configENS1_25partition_config_selectorILNS1_17partition_subalgoE6EsNS0_10empty_typeEbEEZZNS1_14partition_implILS5_6ELb0ES3_mN6thrust23THRUST_200600_302600_NS6detail15normal_iteratorINSA_10device_ptrIsEEEEPS6_SG_NS0_5tupleIJSF_S6_EEENSH_IJSG_SG_EEES6_PlJNSB_9not_fun_tINSB_14equal_to_valueIsEEEEEEE10hipError_tPvRmT3_T4_T5_T6_T7_T9_mT8_P12ihipStream_tbDpT10_ENKUlT_T0_E_clISt17integral_constantIbLb0EES17_IbLb1EEEEDaS13_S14_EUlS13_E_NS1_11comp_targetILNS1_3genE3ELNS1_11target_archE908ELNS1_3gpuE7ELNS1_3repE0EEENS1_30default_config_static_selectorELNS0_4arch9wavefront6targetE0EEEvT1_.uses_flat_scratch, 0
	.set _ZN7rocprim17ROCPRIM_400000_NS6detail17trampoline_kernelINS0_14default_configENS1_25partition_config_selectorILNS1_17partition_subalgoE6EsNS0_10empty_typeEbEEZZNS1_14partition_implILS5_6ELb0ES3_mN6thrust23THRUST_200600_302600_NS6detail15normal_iteratorINSA_10device_ptrIsEEEEPS6_SG_NS0_5tupleIJSF_S6_EEENSH_IJSG_SG_EEES6_PlJNSB_9not_fun_tINSB_14equal_to_valueIsEEEEEEE10hipError_tPvRmT3_T4_T5_T6_T7_T9_mT8_P12ihipStream_tbDpT10_ENKUlT_T0_E_clISt17integral_constantIbLb0EES17_IbLb1EEEEDaS13_S14_EUlS13_E_NS1_11comp_targetILNS1_3genE3ELNS1_11target_archE908ELNS1_3gpuE7ELNS1_3repE0EEENS1_30default_config_static_selectorELNS0_4arch9wavefront6targetE0EEEvT1_.has_dyn_sized_stack, 0
	.set _ZN7rocprim17ROCPRIM_400000_NS6detail17trampoline_kernelINS0_14default_configENS1_25partition_config_selectorILNS1_17partition_subalgoE6EsNS0_10empty_typeEbEEZZNS1_14partition_implILS5_6ELb0ES3_mN6thrust23THRUST_200600_302600_NS6detail15normal_iteratorINSA_10device_ptrIsEEEEPS6_SG_NS0_5tupleIJSF_S6_EEENSH_IJSG_SG_EEES6_PlJNSB_9not_fun_tINSB_14equal_to_valueIsEEEEEEE10hipError_tPvRmT3_T4_T5_T6_T7_T9_mT8_P12ihipStream_tbDpT10_ENKUlT_T0_E_clISt17integral_constantIbLb0EES17_IbLb1EEEEDaS13_S14_EUlS13_E_NS1_11comp_targetILNS1_3genE3ELNS1_11target_archE908ELNS1_3gpuE7ELNS1_3repE0EEENS1_30default_config_static_selectorELNS0_4arch9wavefront6targetE0EEEvT1_.has_recursion, 0
	.set _ZN7rocprim17ROCPRIM_400000_NS6detail17trampoline_kernelINS0_14default_configENS1_25partition_config_selectorILNS1_17partition_subalgoE6EsNS0_10empty_typeEbEEZZNS1_14partition_implILS5_6ELb0ES3_mN6thrust23THRUST_200600_302600_NS6detail15normal_iteratorINSA_10device_ptrIsEEEEPS6_SG_NS0_5tupleIJSF_S6_EEENSH_IJSG_SG_EEES6_PlJNSB_9not_fun_tINSB_14equal_to_valueIsEEEEEEE10hipError_tPvRmT3_T4_T5_T6_T7_T9_mT8_P12ihipStream_tbDpT10_ENKUlT_T0_E_clISt17integral_constantIbLb0EES17_IbLb1EEEEDaS13_S14_EUlS13_E_NS1_11comp_targetILNS1_3genE3ELNS1_11target_archE908ELNS1_3gpuE7ELNS1_3repE0EEENS1_30default_config_static_selectorELNS0_4arch9wavefront6targetE0EEEvT1_.has_indirect_call, 0
	.section	.AMDGPU.csdata,"",@progbits
; Kernel info:
; codeLenInByte = 0
; TotalNumSgprs: 0
; NumVgprs: 0
; ScratchSize: 0
; MemoryBound: 0
; FloatMode: 240
; IeeeMode: 1
; LDSByteSize: 0 bytes/workgroup (compile time only)
; SGPRBlocks: 0
; VGPRBlocks: 0
; NumSGPRsForWavesPerEU: 1
; NumVGPRsForWavesPerEU: 1
; Occupancy: 16
; WaveLimiterHint : 0
; COMPUTE_PGM_RSRC2:SCRATCH_EN: 0
; COMPUTE_PGM_RSRC2:USER_SGPR: 2
; COMPUTE_PGM_RSRC2:TRAP_HANDLER: 0
; COMPUTE_PGM_RSRC2:TGID_X_EN: 1
; COMPUTE_PGM_RSRC2:TGID_Y_EN: 0
; COMPUTE_PGM_RSRC2:TGID_Z_EN: 0
; COMPUTE_PGM_RSRC2:TIDIG_COMP_CNT: 0
	.section	.text._ZN7rocprim17ROCPRIM_400000_NS6detail17trampoline_kernelINS0_14default_configENS1_25partition_config_selectorILNS1_17partition_subalgoE6EsNS0_10empty_typeEbEEZZNS1_14partition_implILS5_6ELb0ES3_mN6thrust23THRUST_200600_302600_NS6detail15normal_iteratorINSA_10device_ptrIsEEEEPS6_SG_NS0_5tupleIJSF_S6_EEENSH_IJSG_SG_EEES6_PlJNSB_9not_fun_tINSB_14equal_to_valueIsEEEEEEE10hipError_tPvRmT3_T4_T5_T6_T7_T9_mT8_P12ihipStream_tbDpT10_ENKUlT_T0_E_clISt17integral_constantIbLb0EES17_IbLb1EEEEDaS13_S14_EUlS13_E_NS1_11comp_targetILNS1_3genE2ELNS1_11target_archE906ELNS1_3gpuE6ELNS1_3repE0EEENS1_30default_config_static_selectorELNS0_4arch9wavefront6targetE0EEEvT1_,"axG",@progbits,_ZN7rocprim17ROCPRIM_400000_NS6detail17trampoline_kernelINS0_14default_configENS1_25partition_config_selectorILNS1_17partition_subalgoE6EsNS0_10empty_typeEbEEZZNS1_14partition_implILS5_6ELb0ES3_mN6thrust23THRUST_200600_302600_NS6detail15normal_iteratorINSA_10device_ptrIsEEEEPS6_SG_NS0_5tupleIJSF_S6_EEENSH_IJSG_SG_EEES6_PlJNSB_9not_fun_tINSB_14equal_to_valueIsEEEEEEE10hipError_tPvRmT3_T4_T5_T6_T7_T9_mT8_P12ihipStream_tbDpT10_ENKUlT_T0_E_clISt17integral_constantIbLb0EES17_IbLb1EEEEDaS13_S14_EUlS13_E_NS1_11comp_targetILNS1_3genE2ELNS1_11target_archE906ELNS1_3gpuE6ELNS1_3repE0EEENS1_30default_config_static_selectorELNS0_4arch9wavefront6targetE0EEEvT1_,comdat
	.protected	_ZN7rocprim17ROCPRIM_400000_NS6detail17trampoline_kernelINS0_14default_configENS1_25partition_config_selectorILNS1_17partition_subalgoE6EsNS0_10empty_typeEbEEZZNS1_14partition_implILS5_6ELb0ES3_mN6thrust23THRUST_200600_302600_NS6detail15normal_iteratorINSA_10device_ptrIsEEEEPS6_SG_NS0_5tupleIJSF_S6_EEENSH_IJSG_SG_EEES6_PlJNSB_9not_fun_tINSB_14equal_to_valueIsEEEEEEE10hipError_tPvRmT3_T4_T5_T6_T7_T9_mT8_P12ihipStream_tbDpT10_ENKUlT_T0_E_clISt17integral_constantIbLb0EES17_IbLb1EEEEDaS13_S14_EUlS13_E_NS1_11comp_targetILNS1_3genE2ELNS1_11target_archE906ELNS1_3gpuE6ELNS1_3repE0EEENS1_30default_config_static_selectorELNS0_4arch9wavefront6targetE0EEEvT1_ ; -- Begin function _ZN7rocprim17ROCPRIM_400000_NS6detail17trampoline_kernelINS0_14default_configENS1_25partition_config_selectorILNS1_17partition_subalgoE6EsNS0_10empty_typeEbEEZZNS1_14partition_implILS5_6ELb0ES3_mN6thrust23THRUST_200600_302600_NS6detail15normal_iteratorINSA_10device_ptrIsEEEEPS6_SG_NS0_5tupleIJSF_S6_EEENSH_IJSG_SG_EEES6_PlJNSB_9not_fun_tINSB_14equal_to_valueIsEEEEEEE10hipError_tPvRmT3_T4_T5_T6_T7_T9_mT8_P12ihipStream_tbDpT10_ENKUlT_T0_E_clISt17integral_constantIbLb0EES17_IbLb1EEEEDaS13_S14_EUlS13_E_NS1_11comp_targetILNS1_3genE2ELNS1_11target_archE906ELNS1_3gpuE6ELNS1_3repE0EEENS1_30default_config_static_selectorELNS0_4arch9wavefront6targetE0EEEvT1_
	.globl	_ZN7rocprim17ROCPRIM_400000_NS6detail17trampoline_kernelINS0_14default_configENS1_25partition_config_selectorILNS1_17partition_subalgoE6EsNS0_10empty_typeEbEEZZNS1_14partition_implILS5_6ELb0ES3_mN6thrust23THRUST_200600_302600_NS6detail15normal_iteratorINSA_10device_ptrIsEEEEPS6_SG_NS0_5tupleIJSF_S6_EEENSH_IJSG_SG_EEES6_PlJNSB_9not_fun_tINSB_14equal_to_valueIsEEEEEEE10hipError_tPvRmT3_T4_T5_T6_T7_T9_mT8_P12ihipStream_tbDpT10_ENKUlT_T0_E_clISt17integral_constantIbLb0EES17_IbLb1EEEEDaS13_S14_EUlS13_E_NS1_11comp_targetILNS1_3genE2ELNS1_11target_archE906ELNS1_3gpuE6ELNS1_3repE0EEENS1_30default_config_static_selectorELNS0_4arch9wavefront6targetE0EEEvT1_
	.p2align	8
	.type	_ZN7rocprim17ROCPRIM_400000_NS6detail17trampoline_kernelINS0_14default_configENS1_25partition_config_selectorILNS1_17partition_subalgoE6EsNS0_10empty_typeEbEEZZNS1_14partition_implILS5_6ELb0ES3_mN6thrust23THRUST_200600_302600_NS6detail15normal_iteratorINSA_10device_ptrIsEEEEPS6_SG_NS0_5tupleIJSF_S6_EEENSH_IJSG_SG_EEES6_PlJNSB_9not_fun_tINSB_14equal_to_valueIsEEEEEEE10hipError_tPvRmT3_T4_T5_T6_T7_T9_mT8_P12ihipStream_tbDpT10_ENKUlT_T0_E_clISt17integral_constantIbLb0EES17_IbLb1EEEEDaS13_S14_EUlS13_E_NS1_11comp_targetILNS1_3genE2ELNS1_11target_archE906ELNS1_3gpuE6ELNS1_3repE0EEENS1_30default_config_static_selectorELNS0_4arch9wavefront6targetE0EEEvT1_,@function
_ZN7rocprim17ROCPRIM_400000_NS6detail17trampoline_kernelINS0_14default_configENS1_25partition_config_selectorILNS1_17partition_subalgoE6EsNS0_10empty_typeEbEEZZNS1_14partition_implILS5_6ELb0ES3_mN6thrust23THRUST_200600_302600_NS6detail15normal_iteratorINSA_10device_ptrIsEEEEPS6_SG_NS0_5tupleIJSF_S6_EEENSH_IJSG_SG_EEES6_PlJNSB_9not_fun_tINSB_14equal_to_valueIsEEEEEEE10hipError_tPvRmT3_T4_T5_T6_T7_T9_mT8_P12ihipStream_tbDpT10_ENKUlT_T0_E_clISt17integral_constantIbLb0EES17_IbLb1EEEEDaS13_S14_EUlS13_E_NS1_11comp_targetILNS1_3genE2ELNS1_11target_archE906ELNS1_3gpuE6ELNS1_3repE0EEENS1_30default_config_static_selectorELNS0_4arch9wavefront6targetE0EEEvT1_: ; @_ZN7rocprim17ROCPRIM_400000_NS6detail17trampoline_kernelINS0_14default_configENS1_25partition_config_selectorILNS1_17partition_subalgoE6EsNS0_10empty_typeEbEEZZNS1_14partition_implILS5_6ELb0ES3_mN6thrust23THRUST_200600_302600_NS6detail15normal_iteratorINSA_10device_ptrIsEEEEPS6_SG_NS0_5tupleIJSF_S6_EEENSH_IJSG_SG_EEES6_PlJNSB_9not_fun_tINSB_14equal_to_valueIsEEEEEEE10hipError_tPvRmT3_T4_T5_T6_T7_T9_mT8_P12ihipStream_tbDpT10_ENKUlT_T0_E_clISt17integral_constantIbLb0EES17_IbLb1EEEEDaS13_S14_EUlS13_E_NS1_11comp_targetILNS1_3genE2ELNS1_11target_archE906ELNS1_3gpuE6ELNS1_3repE0EEENS1_30default_config_static_selectorELNS0_4arch9wavefront6targetE0EEEvT1_
; %bb.0:
	.section	.rodata,"a",@progbits
	.p2align	6, 0x0
	.amdhsa_kernel _ZN7rocprim17ROCPRIM_400000_NS6detail17trampoline_kernelINS0_14default_configENS1_25partition_config_selectorILNS1_17partition_subalgoE6EsNS0_10empty_typeEbEEZZNS1_14partition_implILS5_6ELb0ES3_mN6thrust23THRUST_200600_302600_NS6detail15normal_iteratorINSA_10device_ptrIsEEEEPS6_SG_NS0_5tupleIJSF_S6_EEENSH_IJSG_SG_EEES6_PlJNSB_9not_fun_tINSB_14equal_to_valueIsEEEEEEE10hipError_tPvRmT3_T4_T5_T6_T7_T9_mT8_P12ihipStream_tbDpT10_ENKUlT_T0_E_clISt17integral_constantIbLb0EES17_IbLb1EEEEDaS13_S14_EUlS13_E_NS1_11comp_targetILNS1_3genE2ELNS1_11target_archE906ELNS1_3gpuE6ELNS1_3repE0EEENS1_30default_config_static_selectorELNS0_4arch9wavefront6targetE0EEEvT1_
		.amdhsa_group_segment_fixed_size 0
		.amdhsa_private_segment_fixed_size 0
		.amdhsa_kernarg_size 128
		.amdhsa_user_sgpr_count 2
		.amdhsa_user_sgpr_dispatch_ptr 0
		.amdhsa_user_sgpr_queue_ptr 0
		.amdhsa_user_sgpr_kernarg_segment_ptr 1
		.amdhsa_user_sgpr_dispatch_id 0
		.amdhsa_user_sgpr_private_segment_size 0
		.amdhsa_wavefront_size32 1
		.amdhsa_uses_dynamic_stack 0
		.amdhsa_enable_private_segment 0
		.amdhsa_system_sgpr_workgroup_id_x 1
		.amdhsa_system_sgpr_workgroup_id_y 0
		.amdhsa_system_sgpr_workgroup_id_z 0
		.amdhsa_system_sgpr_workgroup_info 0
		.amdhsa_system_vgpr_workitem_id 0
		.amdhsa_next_free_vgpr 1
		.amdhsa_next_free_sgpr 1
		.amdhsa_reserve_vcc 0
		.amdhsa_float_round_mode_32 0
		.amdhsa_float_round_mode_16_64 0
		.amdhsa_float_denorm_mode_32 3
		.amdhsa_float_denorm_mode_16_64 3
		.amdhsa_fp16_overflow 0
		.amdhsa_workgroup_processor_mode 1
		.amdhsa_memory_ordered 1
		.amdhsa_forward_progress 1
		.amdhsa_inst_pref_size 0
		.amdhsa_round_robin_scheduling 0
		.amdhsa_exception_fp_ieee_invalid_op 0
		.amdhsa_exception_fp_denorm_src 0
		.amdhsa_exception_fp_ieee_div_zero 0
		.amdhsa_exception_fp_ieee_overflow 0
		.amdhsa_exception_fp_ieee_underflow 0
		.amdhsa_exception_fp_ieee_inexact 0
		.amdhsa_exception_int_div_zero 0
	.end_amdhsa_kernel
	.section	.text._ZN7rocprim17ROCPRIM_400000_NS6detail17trampoline_kernelINS0_14default_configENS1_25partition_config_selectorILNS1_17partition_subalgoE6EsNS0_10empty_typeEbEEZZNS1_14partition_implILS5_6ELb0ES3_mN6thrust23THRUST_200600_302600_NS6detail15normal_iteratorINSA_10device_ptrIsEEEEPS6_SG_NS0_5tupleIJSF_S6_EEENSH_IJSG_SG_EEES6_PlJNSB_9not_fun_tINSB_14equal_to_valueIsEEEEEEE10hipError_tPvRmT3_T4_T5_T6_T7_T9_mT8_P12ihipStream_tbDpT10_ENKUlT_T0_E_clISt17integral_constantIbLb0EES17_IbLb1EEEEDaS13_S14_EUlS13_E_NS1_11comp_targetILNS1_3genE2ELNS1_11target_archE906ELNS1_3gpuE6ELNS1_3repE0EEENS1_30default_config_static_selectorELNS0_4arch9wavefront6targetE0EEEvT1_,"axG",@progbits,_ZN7rocprim17ROCPRIM_400000_NS6detail17trampoline_kernelINS0_14default_configENS1_25partition_config_selectorILNS1_17partition_subalgoE6EsNS0_10empty_typeEbEEZZNS1_14partition_implILS5_6ELb0ES3_mN6thrust23THRUST_200600_302600_NS6detail15normal_iteratorINSA_10device_ptrIsEEEEPS6_SG_NS0_5tupleIJSF_S6_EEENSH_IJSG_SG_EEES6_PlJNSB_9not_fun_tINSB_14equal_to_valueIsEEEEEEE10hipError_tPvRmT3_T4_T5_T6_T7_T9_mT8_P12ihipStream_tbDpT10_ENKUlT_T0_E_clISt17integral_constantIbLb0EES17_IbLb1EEEEDaS13_S14_EUlS13_E_NS1_11comp_targetILNS1_3genE2ELNS1_11target_archE906ELNS1_3gpuE6ELNS1_3repE0EEENS1_30default_config_static_selectorELNS0_4arch9wavefront6targetE0EEEvT1_,comdat
.Lfunc_end529:
	.size	_ZN7rocprim17ROCPRIM_400000_NS6detail17trampoline_kernelINS0_14default_configENS1_25partition_config_selectorILNS1_17partition_subalgoE6EsNS0_10empty_typeEbEEZZNS1_14partition_implILS5_6ELb0ES3_mN6thrust23THRUST_200600_302600_NS6detail15normal_iteratorINSA_10device_ptrIsEEEEPS6_SG_NS0_5tupleIJSF_S6_EEENSH_IJSG_SG_EEES6_PlJNSB_9not_fun_tINSB_14equal_to_valueIsEEEEEEE10hipError_tPvRmT3_T4_T5_T6_T7_T9_mT8_P12ihipStream_tbDpT10_ENKUlT_T0_E_clISt17integral_constantIbLb0EES17_IbLb1EEEEDaS13_S14_EUlS13_E_NS1_11comp_targetILNS1_3genE2ELNS1_11target_archE906ELNS1_3gpuE6ELNS1_3repE0EEENS1_30default_config_static_selectorELNS0_4arch9wavefront6targetE0EEEvT1_, .Lfunc_end529-_ZN7rocprim17ROCPRIM_400000_NS6detail17trampoline_kernelINS0_14default_configENS1_25partition_config_selectorILNS1_17partition_subalgoE6EsNS0_10empty_typeEbEEZZNS1_14partition_implILS5_6ELb0ES3_mN6thrust23THRUST_200600_302600_NS6detail15normal_iteratorINSA_10device_ptrIsEEEEPS6_SG_NS0_5tupleIJSF_S6_EEENSH_IJSG_SG_EEES6_PlJNSB_9not_fun_tINSB_14equal_to_valueIsEEEEEEE10hipError_tPvRmT3_T4_T5_T6_T7_T9_mT8_P12ihipStream_tbDpT10_ENKUlT_T0_E_clISt17integral_constantIbLb0EES17_IbLb1EEEEDaS13_S14_EUlS13_E_NS1_11comp_targetILNS1_3genE2ELNS1_11target_archE906ELNS1_3gpuE6ELNS1_3repE0EEENS1_30default_config_static_selectorELNS0_4arch9wavefront6targetE0EEEvT1_
                                        ; -- End function
	.set _ZN7rocprim17ROCPRIM_400000_NS6detail17trampoline_kernelINS0_14default_configENS1_25partition_config_selectorILNS1_17partition_subalgoE6EsNS0_10empty_typeEbEEZZNS1_14partition_implILS5_6ELb0ES3_mN6thrust23THRUST_200600_302600_NS6detail15normal_iteratorINSA_10device_ptrIsEEEEPS6_SG_NS0_5tupleIJSF_S6_EEENSH_IJSG_SG_EEES6_PlJNSB_9not_fun_tINSB_14equal_to_valueIsEEEEEEE10hipError_tPvRmT3_T4_T5_T6_T7_T9_mT8_P12ihipStream_tbDpT10_ENKUlT_T0_E_clISt17integral_constantIbLb0EES17_IbLb1EEEEDaS13_S14_EUlS13_E_NS1_11comp_targetILNS1_3genE2ELNS1_11target_archE906ELNS1_3gpuE6ELNS1_3repE0EEENS1_30default_config_static_selectorELNS0_4arch9wavefront6targetE0EEEvT1_.num_vgpr, 0
	.set _ZN7rocprim17ROCPRIM_400000_NS6detail17trampoline_kernelINS0_14default_configENS1_25partition_config_selectorILNS1_17partition_subalgoE6EsNS0_10empty_typeEbEEZZNS1_14partition_implILS5_6ELb0ES3_mN6thrust23THRUST_200600_302600_NS6detail15normal_iteratorINSA_10device_ptrIsEEEEPS6_SG_NS0_5tupleIJSF_S6_EEENSH_IJSG_SG_EEES6_PlJNSB_9not_fun_tINSB_14equal_to_valueIsEEEEEEE10hipError_tPvRmT3_T4_T5_T6_T7_T9_mT8_P12ihipStream_tbDpT10_ENKUlT_T0_E_clISt17integral_constantIbLb0EES17_IbLb1EEEEDaS13_S14_EUlS13_E_NS1_11comp_targetILNS1_3genE2ELNS1_11target_archE906ELNS1_3gpuE6ELNS1_3repE0EEENS1_30default_config_static_selectorELNS0_4arch9wavefront6targetE0EEEvT1_.num_agpr, 0
	.set _ZN7rocprim17ROCPRIM_400000_NS6detail17trampoline_kernelINS0_14default_configENS1_25partition_config_selectorILNS1_17partition_subalgoE6EsNS0_10empty_typeEbEEZZNS1_14partition_implILS5_6ELb0ES3_mN6thrust23THRUST_200600_302600_NS6detail15normal_iteratorINSA_10device_ptrIsEEEEPS6_SG_NS0_5tupleIJSF_S6_EEENSH_IJSG_SG_EEES6_PlJNSB_9not_fun_tINSB_14equal_to_valueIsEEEEEEE10hipError_tPvRmT3_T4_T5_T6_T7_T9_mT8_P12ihipStream_tbDpT10_ENKUlT_T0_E_clISt17integral_constantIbLb0EES17_IbLb1EEEEDaS13_S14_EUlS13_E_NS1_11comp_targetILNS1_3genE2ELNS1_11target_archE906ELNS1_3gpuE6ELNS1_3repE0EEENS1_30default_config_static_selectorELNS0_4arch9wavefront6targetE0EEEvT1_.numbered_sgpr, 0
	.set _ZN7rocprim17ROCPRIM_400000_NS6detail17trampoline_kernelINS0_14default_configENS1_25partition_config_selectorILNS1_17partition_subalgoE6EsNS0_10empty_typeEbEEZZNS1_14partition_implILS5_6ELb0ES3_mN6thrust23THRUST_200600_302600_NS6detail15normal_iteratorINSA_10device_ptrIsEEEEPS6_SG_NS0_5tupleIJSF_S6_EEENSH_IJSG_SG_EEES6_PlJNSB_9not_fun_tINSB_14equal_to_valueIsEEEEEEE10hipError_tPvRmT3_T4_T5_T6_T7_T9_mT8_P12ihipStream_tbDpT10_ENKUlT_T0_E_clISt17integral_constantIbLb0EES17_IbLb1EEEEDaS13_S14_EUlS13_E_NS1_11comp_targetILNS1_3genE2ELNS1_11target_archE906ELNS1_3gpuE6ELNS1_3repE0EEENS1_30default_config_static_selectorELNS0_4arch9wavefront6targetE0EEEvT1_.num_named_barrier, 0
	.set _ZN7rocprim17ROCPRIM_400000_NS6detail17trampoline_kernelINS0_14default_configENS1_25partition_config_selectorILNS1_17partition_subalgoE6EsNS0_10empty_typeEbEEZZNS1_14partition_implILS5_6ELb0ES3_mN6thrust23THRUST_200600_302600_NS6detail15normal_iteratorINSA_10device_ptrIsEEEEPS6_SG_NS0_5tupleIJSF_S6_EEENSH_IJSG_SG_EEES6_PlJNSB_9not_fun_tINSB_14equal_to_valueIsEEEEEEE10hipError_tPvRmT3_T4_T5_T6_T7_T9_mT8_P12ihipStream_tbDpT10_ENKUlT_T0_E_clISt17integral_constantIbLb0EES17_IbLb1EEEEDaS13_S14_EUlS13_E_NS1_11comp_targetILNS1_3genE2ELNS1_11target_archE906ELNS1_3gpuE6ELNS1_3repE0EEENS1_30default_config_static_selectorELNS0_4arch9wavefront6targetE0EEEvT1_.private_seg_size, 0
	.set _ZN7rocprim17ROCPRIM_400000_NS6detail17trampoline_kernelINS0_14default_configENS1_25partition_config_selectorILNS1_17partition_subalgoE6EsNS0_10empty_typeEbEEZZNS1_14partition_implILS5_6ELb0ES3_mN6thrust23THRUST_200600_302600_NS6detail15normal_iteratorINSA_10device_ptrIsEEEEPS6_SG_NS0_5tupleIJSF_S6_EEENSH_IJSG_SG_EEES6_PlJNSB_9not_fun_tINSB_14equal_to_valueIsEEEEEEE10hipError_tPvRmT3_T4_T5_T6_T7_T9_mT8_P12ihipStream_tbDpT10_ENKUlT_T0_E_clISt17integral_constantIbLb0EES17_IbLb1EEEEDaS13_S14_EUlS13_E_NS1_11comp_targetILNS1_3genE2ELNS1_11target_archE906ELNS1_3gpuE6ELNS1_3repE0EEENS1_30default_config_static_selectorELNS0_4arch9wavefront6targetE0EEEvT1_.uses_vcc, 0
	.set _ZN7rocprim17ROCPRIM_400000_NS6detail17trampoline_kernelINS0_14default_configENS1_25partition_config_selectorILNS1_17partition_subalgoE6EsNS0_10empty_typeEbEEZZNS1_14partition_implILS5_6ELb0ES3_mN6thrust23THRUST_200600_302600_NS6detail15normal_iteratorINSA_10device_ptrIsEEEEPS6_SG_NS0_5tupleIJSF_S6_EEENSH_IJSG_SG_EEES6_PlJNSB_9not_fun_tINSB_14equal_to_valueIsEEEEEEE10hipError_tPvRmT3_T4_T5_T6_T7_T9_mT8_P12ihipStream_tbDpT10_ENKUlT_T0_E_clISt17integral_constantIbLb0EES17_IbLb1EEEEDaS13_S14_EUlS13_E_NS1_11comp_targetILNS1_3genE2ELNS1_11target_archE906ELNS1_3gpuE6ELNS1_3repE0EEENS1_30default_config_static_selectorELNS0_4arch9wavefront6targetE0EEEvT1_.uses_flat_scratch, 0
	.set _ZN7rocprim17ROCPRIM_400000_NS6detail17trampoline_kernelINS0_14default_configENS1_25partition_config_selectorILNS1_17partition_subalgoE6EsNS0_10empty_typeEbEEZZNS1_14partition_implILS5_6ELb0ES3_mN6thrust23THRUST_200600_302600_NS6detail15normal_iteratorINSA_10device_ptrIsEEEEPS6_SG_NS0_5tupleIJSF_S6_EEENSH_IJSG_SG_EEES6_PlJNSB_9not_fun_tINSB_14equal_to_valueIsEEEEEEE10hipError_tPvRmT3_T4_T5_T6_T7_T9_mT8_P12ihipStream_tbDpT10_ENKUlT_T0_E_clISt17integral_constantIbLb0EES17_IbLb1EEEEDaS13_S14_EUlS13_E_NS1_11comp_targetILNS1_3genE2ELNS1_11target_archE906ELNS1_3gpuE6ELNS1_3repE0EEENS1_30default_config_static_selectorELNS0_4arch9wavefront6targetE0EEEvT1_.has_dyn_sized_stack, 0
	.set _ZN7rocprim17ROCPRIM_400000_NS6detail17trampoline_kernelINS0_14default_configENS1_25partition_config_selectorILNS1_17partition_subalgoE6EsNS0_10empty_typeEbEEZZNS1_14partition_implILS5_6ELb0ES3_mN6thrust23THRUST_200600_302600_NS6detail15normal_iteratorINSA_10device_ptrIsEEEEPS6_SG_NS0_5tupleIJSF_S6_EEENSH_IJSG_SG_EEES6_PlJNSB_9not_fun_tINSB_14equal_to_valueIsEEEEEEE10hipError_tPvRmT3_T4_T5_T6_T7_T9_mT8_P12ihipStream_tbDpT10_ENKUlT_T0_E_clISt17integral_constantIbLb0EES17_IbLb1EEEEDaS13_S14_EUlS13_E_NS1_11comp_targetILNS1_3genE2ELNS1_11target_archE906ELNS1_3gpuE6ELNS1_3repE0EEENS1_30default_config_static_selectorELNS0_4arch9wavefront6targetE0EEEvT1_.has_recursion, 0
	.set _ZN7rocprim17ROCPRIM_400000_NS6detail17trampoline_kernelINS0_14default_configENS1_25partition_config_selectorILNS1_17partition_subalgoE6EsNS0_10empty_typeEbEEZZNS1_14partition_implILS5_6ELb0ES3_mN6thrust23THRUST_200600_302600_NS6detail15normal_iteratorINSA_10device_ptrIsEEEEPS6_SG_NS0_5tupleIJSF_S6_EEENSH_IJSG_SG_EEES6_PlJNSB_9not_fun_tINSB_14equal_to_valueIsEEEEEEE10hipError_tPvRmT3_T4_T5_T6_T7_T9_mT8_P12ihipStream_tbDpT10_ENKUlT_T0_E_clISt17integral_constantIbLb0EES17_IbLb1EEEEDaS13_S14_EUlS13_E_NS1_11comp_targetILNS1_3genE2ELNS1_11target_archE906ELNS1_3gpuE6ELNS1_3repE0EEENS1_30default_config_static_selectorELNS0_4arch9wavefront6targetE0EEEvT1_.has_indirect_call, 0
	.section	.AMDGPU.csdata,"",@progbits
; Kernel info:
; codeLenInByte = 0
; TotalNumSgprs: 0
; NumVgprs: 0
; ScratchSize: 0
; MemoryBound: 0
; FloatMode: 240
; IeeeMode: 1
; LDSByteSize: 0 bytes/workgroup (compile time only)
; SGPRBlocks: 0
; VGPRBlocks: 0
; NumSGPRsForWavesPerEU: 1
; NumVGPRsForWavesPerEU: 1
; Occupancy: 16
; WaveLimiterHint : 0
; COMPUTE_PGM_RSRC2:SCRATCH_EN: 0
; COMPUTE_PGM_RSRC2:USER_SGPR: 2
; COMPUTE_PGM_RSRC2:TRAP_HANDLER: 0
; COMPUTE_PGM_RSRC2:TGID_X_EN: 1
; COMPUTE_PGM_RSRC2:TGID_Y_EN: 0
; COMPUTE_PGM_RSRC2:TGID_Z_EN: 0
; COMPUTE_PGM_RSRC2:TIDIG_COMP_CNT: 0
	.section	.text._ZN7rocprim17ROCPRIM_400000_NS6detail17trampoline_kernelINS0_14default_configENS1_25partition_config_selectorILNS1_17partition_subalgoE6EsNS0_10empty_typeEbEEZZNS1_14partition_implILS5_6ELb0ES3_mN6thrust23THRUST_200600_302600_NS6detail15normal_iteratorINSA_10device_ptrIsEEEEPS6_SG_NS0_5tupleIJSF_S6_EEENSH_IJSG_SG_EEES6_PlJNSB_9not_fun_tINSB_14equal_to_valueIsEEEEEEE10hipError_tPvRmT3_T4_T5_T6_T7_T9_mT8_P12ihipStream_tbDpT10_ENKUlT_T0_E_clISt17integral_constantIbLb0EES17_IbLb1EEEEDaS13_S14_EUlS13_E_NS1_11comp_targetILNS1_3genE10ELNS1_11target_archE1200ELNS1_3gpuE4ELNS1_3repE0EEENS1_30default_config_static_selectorELNS0_4arch9wavefront6targetE0EEEvT1_,"axG",@progbits,_ZN7rocprim17ROCPRIM_400000_NS6detail17trampoline_kernelINS0_14default_configENS1_25partition_config_selectorILNS1_17partition_subalgoE6EsNS0_10empty_typeEbEEZZNS1_14partition_implILS5_6ELb0ES3_mN6thrust23THRUST_200600_302600_NS6detail15normal_iteratorINSA_10device_ptrIsEEEEPS6_SG_NS0_5tupleIJSF_S6_EEENSH_IJSG_SG_EEES6_PlJNSB_9not_fun_tINSB_14equal_to_valueIsEEEEEEE10hipError_tPvRmT3_T4_T5_T6_T7_T9_mT8_P12ihipStream_tbDpT10_ENKUlT_T0_E_clISt17integral_constantIbLb0EES17_IbLb1EEEEDaS13_S14_EUlS13_E_NS1_11comp_targetILNS1_3genE10ELNS1_11target_archE1200ELNS1_3gpuE4ELNS1_3repE0EEENS1_30default_config_static_selectorELNS0_4arch9wavefront6targetE0EEEvT1_,comdat
	.protected	_ZN7rocprim17ROCPRIM_400000_NS6detail17trampoline_kernelINS0_14default_configENS1_25partition_config_selectorILNS1_17partition_subalgoE6EsNS0_10empty_typeEbEEZZNS1_14partition_implILS5_6ELb0ES3_mN6thrust23THRUST_200600_302600_NS6detail15normal_iteratorINSA_10device_ptrIsEEEEPS6_SG_NS0_5tupleIJSF_S6_EEENSH_IJSG_SG_EEES6_PlJNSB_9not_fun_tINSB_14equal_to_valueIsEEEEEEE10hipError_tPvRmT3_T4_T5_T6_T7_T9_mT8_P12ihipStream_tbDpT10_ENKUlT_T0_E_clISt17integral_constantIbLb0EES17_IbLb1EEEEDaS13_S14_EUlS13_E_NS1_11comp_targetILNS1_3genE10ELNS1_11target_archE1200ELNS1_3gpuE4ELNS1_3repE0EEENS1_30default_config_static_selectorELNS0_4arch9wavefront6targetE0EEEvT1_ ; -- Begin function _ZN7rocprim17ROCPRIM_400000_NS6detail17trampoline_kernelINS0_14default_configENS1_25partition_config_selectorILNS1_17partition_subalgoE6EsNS0_10empty_typeEbEEZZNS1_14partition_implILS5_6ELb0ES3_mN6thrust23THRUST_200600_302600_NS6detail15normal_iteratorINSA_10device_ptrIsEEEEPS6_SG_NS0_5tupleIJSF_S6_EEENSH_IJSG_SG_EEES6_PlJNSB_9not_fun_tINSB_14equal_to_valueIsEEEEEEE10hipError_tPvRmT3_T4_T5_T6_T7_T9_mT8_P12ihipStream_tbDpT10_ENKUlT_T0_E_clISt17integral_constantIbLb0EES17_IbLb1EEEEDaS13_S14_EUlS13_E_NS1_11comp_targetILNS1_3genE10ELNS1_11target_archE1200ELNS1_3gpuE4ELNS1_3repE0EEENS1_30default_config_static_selectorELNS0_4arch9wavefront6targetE0EEEvT1_
	.globl	_ZN7rocprim17ROCPRIM_400000_NS6detail17trampoline_kernelINS0_14default_configENS1_25partition_config_selectorILNS1_17partition_subalgoE6EsNS0_10empty_typeEbEEZZNS1_14partition_implILS5_6ELb0ES3_mN6thrust23THRUST_200600_302600_NS6detail15normal_iteratorINSA_10device_ptrIsEEEEPS6_SG_NS0_5tupleIJSF_S6_EEENSH_IJSG_SG_EEES6_PlJNSB_9not_fun_tINSB_14equal_to_valueIsEEEEEEE10hipError_tPvRmT3_T4_T5_T6_T7_T9_mT8_P12ihipStream_tbDpT10_ENKUlT_T0_E_clISt17integral_constantIbLb0EES17_IbLb1EEEEDaS13_S14_EUlS13_E_NS1_11comp_targetILNS1_3genE10ELNS1_11target_archE1200ELNS1_3gpuE4ELNS1_3repE0EEENS1_30default_config_static_selectorELNS0_4arch9wavefront6targetE0EEEvT1_
	.p2align	8
	.type	_ZN7rocprim17ROCPRIM_400000_NS6detail17trampoline_kernelINS0_14default_configENS1_25partition_config_selectorILNS1_17partition_subalgoE6EsNS0_10empty_typeEbEEZZNS1_14partition_implILS5_6ELb0ES3_mN6thrust23THRUST_200600_302600_NS6detail15normal_iteratorINSA_10device_ptrIsEEEEPS6_SG_NS0_5tupleIJSF_S6_EEENSH_IJSG_SG_EEES6_PlJNSB_9not_fun_tINSB_14equal_to_valueIsEEEEEEE10hipError_tPvRmT3_T4_T5_T6_T7_T9_mT8_P12ihipStream_tbDpT10_ENKUlT_T0_E_clISt17integral_constantIbLb0EES17_IbLb1EEEEDaS13_S14_EUlS13_E_NS1_11comp_targetILNS1_3genE10ELNS1_11target_archE1200ELNS1_3gpuE4ELNS1_3repE0EEENS1_30default_config_static_selectorELNS0_4arch9wavefront6targetE0EEEvT1_,@function
_ZN7rocprim17ROCPRIM_400000_NS6detail17trampoline_kernelINS0_14default_configENS1_25partition_config_selectorILNS1_17partition_subalgoE6EsNS0_10empty_typeEbEEZZNS1_14partition_implILS5_6ELb0ES3_mN6thrust23THRUST_200600_302600_NS6detail15normal_iteratorINSA_10device_ptrIsEEEEPS6_SG_NS0_5tupleIJSF_S6_EEENSH_IJSG_SG_EEES6_PlJNSB_9not_fun_tINSB_14equal_to_valueIsEEEEEEE10hipError_tPvRmT3_T4_T5_T6_T7_T9_mT8_P12ihipStream_tbDpT10_ENKUlT_T0_E_clISt17integral_constantIbLb0EES17_IbLb1EEEEDaS13_S14_EUlS13_E_NS1_11comp_targetILNS1_3genE10ELNS1_11target_archE1200ELNS1_3gpuE4ELNS1_3repE0EEENS1_30default_config_static_selectorELNS0_4arch9wavefront6targetE0EEEvT1_: ; @_ZN7rocprim17ROCPRIM_400000_NS6detail17trampoline_kernelINS0_14default_configENS1_25partition_config_selectorILNS1_17partition_subalgoE6EsNS0_10empty_typeEbEEZZNS1_14partition_implILS5_6ELb0ES3_mN6thrust23THRUST_200600_302600_NS6detail15normal_iteratorINSA_10device_ptrIsEEEEPS6_SG_NS0_5tupleIJSF_S6_EEENSH_IJSG_SG_EEES6_PlJNSB_9not_fun_tINSB_14equal_to_valueIsEEEEEEE10hipError_tPvRmT3_T4_T5_T6_T7_T9_mT8_P12ihipStream_tbDpT10_ENKUlT_T0_E_clISt17integral_constantIbLb0EES17_IbLb1EEEEDaS13_S14_EUlS13_E_NS1_11comp_targetILNS1_3genE10ELNS1_11target_archE1200ELNS1_3gpuE4ELNS1_3repE0EEENS1_30default_config_static_selectorELNS0_4arch9wavefront6targetE0EEEvT1_
; %bb.0:
	s_clause 0x3
	s_load_b64 s[24:25], s[0:1], 0x28
	s_load_b128 s[20:23], s[0:1], 0x40
	s_load_b64 s[8:9], s[0:1], 0x50
	s_load_b64 s[26:27], s[0:1], 0x60
	v_cmp_eq_u32_e64 s2, 0, v0
	s_and_saveexec_b32 s3, s2
	s_cbranch_execz .LBB530_4
; %bb.1:
	s_mov_b32 s5, exec_lo
	s_mov_b32 s4, exec_lo
	v_mbcnt_lo_u32_b32 v1, s5, 0
                                        ; implicit-def: $vgpr2
	s_delay_alu instid0(VALU_DEP_1)
	v_cmpx_eq_u32_e32 0, v1
	s_cbranch_execz .LBB530_3
; %bb.2:
	s_load_b64 s[6:7], s[0:1], 0x70
	s_bcnt1_i32_b32 s5, s5
	s_wait_alu 0xfffe
	v_dual_mov_b32 v2, 0 :: v_dual_mov_b32 v3, s5
	s_wait_kmcnt 0x0
	global_atomic_add_u32 v2, v2, v3, s[6:7] th:TH_ATOMIC_RETURN scope:SCOPE_DEV
.LBB530_3:
	s_or_b32 exec_lo, exec_lo, s4
	s_wait_loadcnt 0x0
	v_readfirstlane_b32 s4, v2
	s_wait_alu 0xf1ff
	s_delay_alu instid0(VALU_DEP_1)
	v_dual_mov_b32 v2, 0 :: v_dual_add_nc_u32 v1, s4, v1
	ds_store_b32 v2, v1
.LBB530_4:
	s_or_b32 exec_lo, exec_lo, s3
	v_dual_mov_b32 v2, 0 :: v_dual_lshlrev_b32 v19, 1, v0
	s_clause 0x2
	s_load_b128 s[4:7], s[0:1], 0x8
	s_load_b32 s3, s[0:1], 0x68
	s_load_b32 s29, s[0:1], 0x78
	s_wait_dscnt 0x0
	s_barrier_signal -1
	s_barrier_wait -1
	global_inv scope:SCOPE_SE
	ds_load_b32 v1, v2
	s_wait_loadcnt_dscnt 0x0
	s_barrier_signal -1
	s_barrier_wait -1
	global_inv scope:SCOPE_SE
	s_wait_kmcnt 0x0
	global_load_b64 v[17:18], v2, s[22:23]
	s_mov_b32 s11, 0
	s_lshl_b64 s[0:1], s[6:7], 1
	s_mul_i32 s10, s3, 0x1b00
	s_add_co_i32 s12, s3, -1
	s_add_co_i32 s3, s10, s6
	s_add_nc_u64 s[6:7], s[6:7], s[10:11]
	s_sub_co_i32 s30, s8, s3
	v_cmp_le_u64_e64 s3, s[8:9], s[6:7]
	v_readfirstlane_b32 s28, v1
	v_mul_lo_u32 v1, 0x1b00, v1
	s_add_nc_u64 s[0:1], s[4:5], s[0:1]
	s_cmp_eq_u32 s28, s12
	s_cselect_b32 s19, -1, 0
	s_delay_alu instid0(VALU_DEP_1) | instskip(SKIP_1) | instid1(SALU_CYCLE_1)
	v_lshlrev_b64_e32 v[1:2], 1, v[1:2]
	s_and_b32 s3, s3, s19
	s_xor_b32 s22, s3, -1
	s_delay_alu instid0(VALU_DEP_1) | instskip(NEXT) | instid1(VALU_DEP_1)
	v_add_co_u32 v20, vcc_lo, s0, v1
	v_add_co_ci_u32_e64 v21, null, s1, v2, vcc_lo
	s_and_b32 vcc_lo, exec_lo, s22
	s_mov_b32 s0, -1
	s_wait_alu 0xfffe
	s_cbranch_vccz .LBB530_6
; %bb.5:
	v_add_co_u32 v1, vcc_lo, v20, v19
	s_wait_alu 0xfffd
	v_add_co_ci_u32_e64 v2, null, 0, v21, vcc_lo
	s_mov_b32 s0, 0
	s_clause 0x11
	flat_load_u16 v3, v[1:2]
	flat_load_u16 v4, v[1:2] offset:768
	flat_load_u16 v5, v[1:2] offset:1536
	flat_load_u16 v6, v[1:2] offset:2304
	flat_load_u16 v7, v[1:2] offset:3072
	flat_load_u16 v8, v[1:2] offset:3840
	flat_load_u16 v9, v[1:2] offset:4608
	flat_load_u16 v10, v[1:2] offset:5376
	flat_load_u16 v11, v[1:2] offset:6144
	flat_load_u16 v12, v[1:2] offset:6912
	flat_load_u16 v13, v[1:2] offset:7680
	flat_load_u16 v14, v[1:2] offset:8448
	flat_load_u16 v15, v[1:2] offset:9216
	flat_load_u16 v16, v[1:2] offset:9984
	flat_load_u16 v22, v[1:2] offset:10752
	flat_load_u16 v23, v[1:2] offset:11520
	flat_load_u16 v24, v[1:2] offset:12288
	flat_load_u16 v1, v[1:2] offset:13056
	s_wait_loadcnt_dscnt 0x1111
	ds_store_b16 v19, v3
	s_wait_loadcnt_dscnt 0x1011
	ds_store_b16 v19, v4 offset:768
	s_wait_loadcnt_dscnt 0xf11
	ds_store_b16 v19, v5 offset:1536
	;; [unrolled: 2-line block ×17, first 2 shown]
	s_wait_dscnt 0x0
	s_barrier_signal -1
	s_barrier_wait -1
.LBB530_6:
	s_wait_alu 0xfffe
	s_and_not1_b32 vcc_lo, exec_lo, s0
	s_addk_co_i32 s30, 0x1b00
	s_wait_alu 0xfffe
	s_cbranch_vccnz .LBB530_44
; %bb.7:
	v_mov_b32_e32 v1, 0
	s_mov_b32 s0, exec_lo
	s_delay_alu instid0(VALU_DEP_1)
	v_dual_mov_b32 v2, v1 :: v_dual_mov_b32 v3, v1
	v_dual_mov_b32 v4, v1 :: v_dual_mov_b32 v5, v1
	;; [unrolled: 1-line block ×4, first 2 shown]
	v_cmpx_gt_u32_e64 s30, v0
	s_cbranch_execz .LBB530_9
; %bb.8:
	v_add_co_u32 v3, vcc_lo, v20, v19
	s_wait_alu 0xfffd
	v_add_co_ci_u32_e64 v4, null, 0, v21, vcc_lo
	v_mov_b32_e32 v2, v1
	v_dual_mov_b32 v6, v1 :: v_dual_mov_b32 v7, v1
	v_dual_mov_b32 v5, v1 :: v_dual_mov_b32 v8, v1
	v_mov_b32_e32 v9, v1
	flat_load_d16_b16 v2, v[3:4]
	v_dual_mov_b32 v3, v1 :: v_dual_mov_b32 v4, v1
	v_mov_b32_e32 v10, v1
	s_wait_loadcnt_dscnt 0x0
	v_mov_b32_e32 v1, v2
	s_delay_alu instid0(VALU_DEP_3)
	v_mov_b32_e32 v2, v3
	v_mov_b32_e32 v3, v4
	;; [unrolled: 1-line block ×15, first 2 shown]
.LBB530_9:
	s_wait_alu 0xfffe
	s_or_b32 exec_lo, exec_lo, s0
	v_add_nc_u32_e32 v10, 0x180, v0
	s_mov_b32 s0, exec_lo
	s_delay_alu instid0(VALU_DEP_1)
	v_cmpx_gt_u32_e64 s30, v10
	s_cbranch_execz .LBB530_11
; %bb.10:
	v_add_co_u32 v10, vcc_lo, v20, v19
	s_wait_alu 0xfffd
	v_add_co_ci_u32_e64 v11, null, 0, v21, vcc_lo
	flat_load_d16_hi_b16 v1, v[10:11] offset:768
.LBB530_11:
	s_wait_alu 0xfffe
	s_or_b32 exec_lo, exec_lo, s0
	v_add_nc_u32_e32 v10, 0x300, v0
	s_mov_b32 s0, exec_lo
	s_delay_alu instid0(VALU_DEP_1)
	v_cmpx_gt_u32_e64 s30, v10
	s_cbranch_execz .LBB530_13
; %bb.12:
	v_add_co_u32 v10, vcc_lo, v20, v19
	s_wait_alu 0xfffd
	v_add_co_ci_u32_e64 v11, null, 0, v21, vcc_lo
	flat_load_d16_b16 v2, v[10:11] offset:1536
.LBB530_13:
	s_wait_alu 0xfffe
	s_or_b32 exec_lo, exec_lo, s0
	v_add_nc_u32_e32 v10, 0x480, v0
	s_mov_b32 s0, exec_lo
	s_delay_alu instid0(VALU_DEP_1)
	v_cmpx_gt_u32_e64 s30, v10
	s_cbranch_execz .LBB530_15
; %bb.14:
	v_add_co_u32 v10, vcc_lo, v20, v19
	s_wait_alu 0xfffd
	v_add_co_ci_u32_e64 v11, null, 0, v21, vcc_lo
	s_wait_loadcnt_dscnt 0x0
	flat_load_d16_hi_b16 v2, v[10:11] offset:2304
.LBB530_15:
	s_wait_alu 0xfffe
	s_or_b32 exec_lo, exec_lo, s0
	v_or_b32_e32 v10, 0x600, v0
	s_mov_b32 s0, exec_lo
	s_delay_alu instid0(VALU_DEP_1)
	v_cmpx_gt_u32_e64 s30, v10
	s_cbranch_execz .LBB530_17
; %bb.16:
	v_add_co_u32 v10, vcc_lo, v20, v19
	s_wait_alu 0xfffd
	v_add_co_ci_u32_e64 v11, null, 0, v21, vcc_lo
	flat_load_d16_b16 v3, v[10:11] offset:3072
.LBB530_17:
	s_wait_alu 0xfffe
	s_or_b32 exec_lo, exec_lo, s0
	v_add_nc_u32_e32 v10, 0x780, v0
	s_mov_b32 s0, exec_lo
	s_delay_alu instid0(VALU_DEP_1)
	v_cmpx_gt_u32_e64 s30, v10
	s_cbranch_execz .LBB530_19
; %bb.18:
	v_add_co_u32 v10, vcc_lo, v20, v19
	s_wait_alu 0xfffd
	v_add_co_ci_u32_e64 v11, null, 0, v21, vcc_lo
	s_wait_loadcnt_dscnt 0x0
	flat_load_d16_hi_b16 v3, v[10:11] offset:3840
.LBB530_19:
	s_wait_alu 0xfffe
	s_or_b32 exec_lo, exec_lo, s0
	v_add_nc_u32_e32 v10, 0x900, v0
	s_mov_b32 s0, exec_lo
	s_delay_alu instid0(VALU_DEP_1)
	v_cmpx_gt_u32_e64 s30, v10
	s_cbranch_execz .LBB530_21
; %bb.20:
	v_add_co_u32 v10, vcc_lo, v20, v19
	s_wait_alu 0xfffd
	v_add_co_ci_u32_e64 v11, null, 0, v21, vcc_lo
	flat_load_d16_b16 v4, v[10:11] offset:4608
.LBB530_21:
	s_wait_alu 0xfffe
	s_or_b32 exec_lo, exec_lo, s0
	v_add_nc_u32_e32 v10, 0xa80, v0
	s_mov_b32 s0, exec_lo
	s_delay_alu instid0(VALU_DEP_1)
	v_cmpx_gt_u32_e64 s30, v10
	s_cbranch_execz .LBB530_23
; %bb.22:
	v_add_co_u32 v10, vcc_lo, v20, v19
	s_wait_alu 0xfffd
	v_add_co_ci_u32_e64 v11, null, 0, v21, vcc_lo
	s_wait_loadcnt_dscnt 0x0
	flat_load_d16_hi_b16 v4, v[10:11] offset:5376
.LBB530_23:
	s_wait_alu 0xfffe
	s_or_b32 exec_lo, exec_lo, s0
	v_or_b32_e32 v10, 0xc00, v0
	s_mov_b32 s0, exec_lo
	s_delay_alu instid0(VALU_DEP_1)
	v_cmpx_gt_u32_e64 s30, v10
	s_cbranch_execz .LBB530_25
; %bb.24:
	v_add_co_u32 v10, vcc_lo, v20, v19
	s_wait_alu 0xfffd
	v_add_co_ci_u32_e64 v11, null, 0, v21, vcc_lo
	flat_load_d16_b16 v5, v[10:11] offset:6144
.LBB530_25:
	s_wait_alu 0xfffe
	s_or_b32 exec_lo, exec_lo, s0
	v_add_nc_u32_e32 v10, 0xd80, v0
	s_mov_b32 s0, exec_lo
	s_delay_alu instid0(VALU_DEP_1)
	v_cmpx_gt_u32_e64 s30, v10
	s_cbranch_execz .LBB530_27
; %bb.26:
	v_add_co_u32 v10, vcc_lo, v20, v19
	s_wait_alu 0xfffd
	v_add_co_ci_u32_e64 v11, null, 0, v21, vcc_lo
	s_wait_loadcnt_dscnt 0x0
	flat_load_d16_hi_b16 v5, v[10:11] offset:6912
.LBB530_27:
	;; [unrolled: 54-line block ×4, first 2 shown]
	s_wait_alu 0xfffe
	s_or_b32 exec_lo, exec_lo, s0
	s_wait_loadcnt_dscnt 0x0
	ds_store_b16 v19, v1
	ds_store_b16_d16_hi v19, v1 offset:768
	ds_store_b16 v19, v2 offset:1536
	ds_store_b16_d16_hi v19, v2 offset:2304
	ds_store_b16 v19, v3 offset:3072
	ds_store_b16_d16_hi v19, v3 offset:3840
	ds_store_b16 v19, v4 offset:4608
	ds_store_b16_d16_hi v19, v4 offset:5376
	ds_store_b16 v19, v5 offset:6144
	ds_store_b16_d16_hi v19, v5 offset:6912
	ds_store_b16 v19, v6 offset:7680
	ds_store_b16_d16_hi v19, v6 offset:8448
	ds_store_b16 v19, v7 offset:9216
	ds_store_b16_d16_hi v19, v7 offset:9984
	ds_store_b16 v19, v8 offset:10752
	ds_store_b16_d16_hi v19, v8 offset:11520
	ds_store_b16 v19, v9 offset:12288
	ds_store_b16_d16_hi v19, v9 offset:13056
	s_wait_dscnt 0x0
	s_barrier_signal -1
	s_barrier_wait -1
.LBB530_44:
	v_mul_u32_u24_e32 v5, 18, v0
	s_wait_loadcnt 0x0
	global_inv scope:SCOPE_SE
	s_and_not1_b32 vcc_lo, exec_lo, s22
	v_lshlrev_b32_e32 v6, 1, v5
	ds_load_u16 v55, v6 offset:4
	ds_load_u16 v16, v6 offset:34
	ds_load_b32 v56, v6
	ds_load_b128 v[1:4], v6 offset:6
	ds_load_b96 v[13:15], v6 offset:22
	s_wait_loadcnt_dscnt 0x0
	s_barrier_signal -1
	s_barrier_wait -1
	global_inv scope:SCOPE_SE
	v_cmp_ne_u16_e64 s0, s29, v55
	v_cmp_ne_u16_e64 s23, s29, v16
	;; [unrolled: 1-line block ×3, first 2 shown]
	v_lshrrev_b32_e32 v19, 16, v56
	v_cmp_ne_u16_e64 s7, s29, v1
	v_lshrrev_b32_e32 v12, 16, v1
	v_cmp_ne_u16_e64 s9, s29, v2
	;; [unrolled: 2-line block ×7, first 2 shown]
	v_lshrrev_b32_e32 v6, 16, v15
	s_wait_alu 0xfffe
	s_cbranch_vccnz .LBB530_46
; %bb.45:
	v_cmp_ne_u16_e32 vcc_lo, s29, v19
	s_wait_alu 0xf1ff
	v_cndmask_b32_e64 v22, 0, 1, s7
	v_cndmask_b32_e64 v21, 0, 1, s9
	;; [unrolled: 1-line block ×4, first 2 shown]
	s_wait_alu 0xfffd
	v_cndmask_b32_e64 v20, 0, 1, vcc_lo
	v_lshlrev_b16 v22, 8, v22
	v_cmp_ne_u16_e32 vcc_lo, s29, v12
	v_lshlrev_b16 v21, 8, v21
	v_cndmask_b32_e64 v24, 0, 1, s6
	v_lshlrev_b16 v20, 8, v20
	v_lshrrev_b32_e32 v22, 8, v22
	s_wait_alu 0xfffd
	v_cndmask_b32_e64 v30, 0, 1, vcc_lo
	v_cmp_ne_u16_e32 vcc_lo, s29, v11
	v_lshrrev_b32_e32 v21, 8, v21
	v_lshrrev_b32_e32 v20, 8, v20
	v_lshlrev_b16 v22, 8, v22
	v_cndmask_b32_e64 v25, 0, 1, s5
	v_cndmask_b32_e64 v26, 0, 1, s3
	v_lshlrev_b16 v21, 8, v21
	v_lshlrev_b16 v20, 8, v20
	v_or_b32_e32 v22, v29, v22
	v_lshlrev_b16 v24, 8, v24
	v_lshlrev_b16 v25, 8, v25
	;; [unrolled: 1-line block ×3, first 2 shown]
	v_or_b32_e32 v20, v28, v20
	s_wait_alu 0xfffd
	v_cndmask_b32_e64 v28, 0, 1, vcc_lo
	v_cmp_ne_u16_e32 vcc_lo, s29, v10
	v_or_b32_e32 v21, v30, v21
	v_cndmask_b32_e64 v23, 0, 1, s8
	v_cndmask_b32_e64 v27, 0, 1, s4
	v_lshrrev_b32_e32 v26, 8, v26
	s_wait_alu 0xfffd
	v_cndmask_b32_e64 v29, 0, 1, vcc_lo
	v_cmp_ne_u16_e32 vcc_lo, s29, v9
	v_lshrrev_b32_e32 v24, 8, v24
	v_lshrrev_b32_e32 v25, 8, v25
	v_lshlrev_b16 v23, 8, v23
	v_lshlrev_b16 v27, 8, v27
	s_wait_alu 0xfffd
	v_cndmask_b32_e64 v30, 0, 1, vcc_lo
	v_cmp_ne_u16_e32 vcc_lo, s29, v8
	v_lshlrev_b16 v24, 8, v24
	v_lshlrev_b16 v25, 8, v25
	v_lshlrev_b16 v26, 8, v26
	v_or_b32_e32 v23, v28, v23
	s_wait_alu 0xfffd
	v_cndmask_b32_e64 v31, 0, 1, vcc_lo
	v_cmp_ne_u16_e32 vcc_lo, s29, v7
	v_or_b32_e32 v24, v29, v24
	v_or_b32_e32 v25, v30, v25
	v_and_b32_e32 v20, 0xffff, v20
	v_or_b32_e32 v26, v31, v26
	s_wait_alu 0xfffd
	v_cndmask_b32_e64 v32, 0, 1, vcc_lo
	v_lshlrev_b32_e32 v22, 16, v22
	v_and_b32_e32 v21, 0xffff, v21
	v_lshlrev_b32_e32 v23, 16, v23
	v_and_b32_e32 v24, 0xffff, v24
	v_or_b32_e32 v27, v32, v27
	v_lshlrev_b32_e32 v25, 16, v25
	v_and_b32_e32 v26, 0xffff, v26
	v_cmp_ne_u16_e32 vcc_lo, s29, v6
	v_or_b32_e32 v53, v20, v22
	v_lshlrev_b32_e32 v27, 16, v27
	v_or_b32_e32 v61, v21, v23
	v_or_b32_e32 v59, v24, v25
	s_wait_alu 0xfffd
	v_cndmask_b32_e64 v57, 0, 1, vcc_lo
	v_or_b32_e32 v58, v26, v27
	s_cbranch_execz .LBB530_47
	s_branch .LBB530_48
.LBB530_46:
                                        ; implicit-def: $sgpr23
                                        ; implicit-def: $vgpr57
                                        ; implicit-def: $vgpr58
                                        ; implicit-def: $vgpr59
                                        ; implicit-def: $vgpr61
                                        ; implicit-def: $vgpr53
.LBB530_47:
	v_or_b32_e32 v20, 1, v5
	v_cmp_ne_u16_e32 vcc_lo, s29, v19
	v_add_nc_u32_e32 v21, 3, v5
	v_add_nc_u32_e32 v19, 2, v5
	v_cmp_ne_u16_e64 s8, s29, v2
	v_cmp_gt_u32_e64 s3, s30, v20
	v_add_nc_u32_e32 v20, 4, v5
	v_cmp_gt_u32_e64 s6, s30, v21
	v_cmp_gt_u32_e64 s5, s30, v19
	v_add_nc_u32_e32 v19, 7, v5
	s_and_b32 s3, s3, vcc_lo
	v_cmp_ne_u16_e32 vcc_lo, s29, v1
	v_cmp_gt_u32_e64 s7, s30, v20
	v_add_nc_u32_e32 v20, 5, v5
	s_wait_alu 0xfffe
	v_cndmask_b32_e64 v22, 0, 1, s3
	v_cmp_ne_u16_e64 s3, s29, v12
	s_and_b32 s6, s6, vcc_lo
	v_cmp_ne_u16_e32 vcc_lo, s29, v3
	s_wait_alu 0xfffe
	v_cndmask_b32_e64 v21, 0, 1, s6
	v_cmp_gt_u32_e64 s6, s30, v19
	v_cmp_gt_u32_e64 s9, s30, v20
	v_lshlrev_b16 v12, 8, v22
	v_add_nc_u32_e32 v20, 6, v5
	v_lshlrev_b16 v19, 8, v21
	s_and_b32 s6, s6, vcc_lo
	v_cmp_ne_u16_e32 vcc_lo, s29, v11
	s_wait_alu 0xfffe
	v_cndmask_b32_e64 v21, 0, 1, s6
	s_and_b32 s6, s9, s8
	v_add_nc_u32_e32 v11, 8, v5
	s_wait_alu 0xfffe
	v_cndmask_b32_e64 v22, 0, 1, s6
	v_cmp_gt_u32_e64 s6, s30, v20
	v_lshlrev_b16 v20, 8, v21
	v_cmp_ne_u16_e64 s8, s29, v10
	v_cmp_gt_u32_e64 s9, s30, v11
	v_lshlrev_b16 v21, 8, v22
	v_add_nc_u32_e32 v10, 9, v5
	v_lshrrev_b32_e32 v11, 8, v20
	v_cmp_ne_u16_e64 s10, s29, v4
	v_cmp_ne_u16_e64 s13, s29, v13
	v_lshrrev_b32_e32 v20, 8, v21
	v_add_nc_u32_e32 v21, 11, v5
	v_cmp_gt_u32_e64 s11, s30, v10
	v_add_nc_u32_e32 v10, 10, v5
	v_cmp_ne_u16_e64 s12, s29, v9
	v_cmp_ne_u16_e64 s16, s29, v15
	v_cmp_gt_u32_e64 s14, s30, v21
	s_and_b32 s10, s11, s10
	v_cmp_ne_u16_e64 s0, s29, v56
	v_cndmask_b32_e64 v9, 0, 1, s10
	v_cmp_gt_u32_e64 s10, s30, v10
	s_and_b32 s11, s14, s13
	v_add_nc_u32_e32 v10, 12, v5
	s_wait_alu 0xfffe
	v_cndmask_b32_e64 v21, 0, 1, s11
	v_cmp_ne_u16_e64 s11, s29, v8
	v_add_nc_u32_e32 v8, 13, v5
	v_cmp_ne_u16_e64 s14, s29, v14
	v_cmp_gt_u32_e64 s13, s30, v10
	v_lshlrev_b16 v10, 8, v21
	v_add_nc_u32_e32 v21, 15, v5
	v_cmp_gt_u32_e64 s15, s30, v8
	v_cmp_gt_u32_e64 s1, s30, v5
	v_cmp_ne_u16_e64 s4, s29, v55
	v_cmp_ne_u16_e64 s18, s29, v7
	v_cmp_gt_u32_e64 s17, s30, v21
	s_and_b32 s14, s15, s14
	v_add_nc_u32_e32 v7, 16, v5
	v_cndmask_b32_e64 v8, 0, 1, s14
	s_and_b32 s0, s1, s0
	s_and_b32 s14, s17, s16
	v_add_nc_u32_e32 v22, 14, v5
	s_wait_alu 0xfffe
	v_cndmask_b32_e64 v21, 0, 1, s14
	v_cmp_ne_u16_e64 s14, s29, v6
	v_lshlrev_b16 v6, 8, v8
	v_lshrrev_b32_e32 v8, 8, v12
	v_lshrrev_b32_e32 v12, 8, v19
	v_cndmask_b32_e64 v19, 0, 1, s0
	s_and_b32 s0, s5, s4
	v_cmp_gt_u32_e64 s15, s30, v7
	v_lshlrev_b16 v7, 8, v21
	s_wait_alu 0xfffe
	v_cndmask_b32_e64 v21, 0, 1, s0
	s_and_b32 s0, s7, s3
	v_cmp_gt_u32_e64 s16, s30, v22
	v_lshlrev_b16 v8, 8, v8
	v_lshlrev_b16 v12, 8, v12
	;; [unrolled: 1-line block ×3, first 2 shown]
	s_wait_alu 0xfffe
	v_cndmask_b32_e64 v22, 0, 1, s0
	v_add_nc_u32_e32 v5, 17, v5
	v_or_b32_e32 v8, v19, v8
	v_or_b32_e32 v12, v21, v12
	v_lshlrev_b16 v9, 8, v9
	v_or_b32_e32 v19, v22, v20
	s_and_b32 s3, s6, vcc_lo
	v_cmp_gt_u32_e64 s0, s30, v5
	v_and_b32_e32 v5, 0xffff, v8
	v_lshlrev_b32_e32 v8, 16, v12
	v_and_b32_e32 v12, 0xffff, v19
	s_wait_alu 0xfffe
	v_cndmask_b32_e64 v19, 0, 1, s3
	s_and_b32 s3, s9, s8
	v_lshrrev_b32_e32 v7, 8, v7
	s_wait_alu 0xfffe
	v_cndmask_b32_e64 v20, 0, 1, s3
	s_and_b32 s3, s10, s12
	v_lshrrev_b32_e32 v6, 8, v6
	v_lshrrev_b32_e32 v9, 8, v9
	;; [unrolled: 1-line block ×3, first 2 shown]
	s_wait_alu 0xfffe
	v_cndmask_b32_e64 v21, 0, 1, s3
	s_and_b32 s3, s13, s11
	v_lshlrev_b16 v11, 8, v11
	s_wait_alu 0xfffe
	v_cndmask_b32_e64 v22, 0, 1, s3
	s_and_b32 s3, s16, s18
	v_lshlrev_b16 v9, 8, v9
	v_lshlrev_b16 v10, 8, v10
	;; [unrolled: 1-line block ×4, first 2 shown]
	s_wait_alu 0xfffe
	v_cndmask_b32_e64 v23, 0, 1, s3
	v_or_b32_e32 v11, v19, v11
	v_or_b32_e32 v9, v20, v9
	;; [unrolled: 1-line block ×5, first 2 shown]
	v_cmp_ne_u16_e64 s1, s29, v16
	v_lshlrev_b32_e32 v11, 16, v11
	v_and_b32_e32 v9, 0xffff, v9
	v_lshlrev_b32_e32 v10, 16, v10
	v_and_b32_e32 v6, 0xffff, v6
	v_lshlrev_b32_e32 v7, 16, v7
	s_and_b32 s14, s15, s14
	s_and_b32 s0, s0, s1
	s_wait_alu 0xfffe
	v_cndmask_b32_e64 v57, 0, 1, s14
	v_or_b32_e32 v53, v5, v8
	v_or_b32_e32 v61, v12, v11
	;; [unrolled: 1-line block ×4, first 2 shown]
	s_and_not1_b32 s1, s23, exec_lo
	s_and_b32 s0, s0, exec_lo
	s_wait_alu 0xfffe
	s_or_b32 s23, s1, s0
.LBB530_48:
	v_and_b32_e32 v28, 0xff, v53
	v_bfe_u32 v27, v53, 8, 8
	v_cndmask_b32_e64 v5, 0, 1, s23
	v_bfe_u32 v35, v53, 16, 8
	v_lshrrev_b32_e32 v64, 24, v53
	v_and_b32_e32 v34, 0xff, v61
	v_bfe_u32 v33, v61, 8, 8
	v_add3_u32 v5, v28, v5, v27
	v_bfe_u32 v32, v61, 16, 8
	v_lshrrev_b32_e32 v63, 24, v61
	v_dual_mov_b32 v6, 0 :: v_dual_and_b32 v31, 0xff, v59
	s_delay_alu instid0(VALU_DEP_4) | instskip(SKIP_3) | instid1(VALU_DEP_3)
	v_add_co_u32 v5, s0, v5, v35
	s_wait_alu 0xf1ff
	v_add_co_ci_u32_e64 v7, null, 0, 0, s0
	v_bfe_u32 v30, v59, 8, 8
	v_add_co_u32 v5, vcc_lo, v5, v64
	s_wait_alu 0xfffd
	s_delay_alu instid0(VALU_DEP_3) | instskip(SKIP_1) | instid1(VALU_DEP_3)
	v_add_co_ci_u32_e64 v7, null, 0, v7, vcc_lo
	v_bfe_u32 v29, v59, 16, 8
	v_add_co_u32 v5, vcc_lo, v5, v34
	s_wait_alu 0xfffd
	s_delay_alu instid0(VALU_DEP_3) | instskip(SKIP_1) | instid1(VALU_DEP_3)
	v_add_co_ci_u32_e64 v7, null, 0, v7, vcc_lo
	v_lshrrev_b32_e32 v62, 24, v59
	v_add_co_u32 v5, vcc_lo, v5, v33
	s_wait_alu 0xfffd
	s_delay_alu instid0(VALU_DEP_3) | instskip(SKIP_1) | instid1(VALU_DEP_3)
	v_add_co_ci_u32_e64 v7, null, 0, v7, vcc_lo
	v_and_b32_e32 v67, 0xff, v58
	v_add_co_u32 v5, vcc_lo, v5, v32
	s_wait_alu 0xfffd
	s_delay_alu instid0(VALU_DEP_3) | instskip(SKIP_1) | instid1(VALU_DEP_3)
	v_add_co_ci_u32_e64 v7, null, 0, v7, vcc_lo
	v_bfe_u32 v66, v58, 8, 8
	v_add_co_u32 v5, vcc_lo, v5, v63
	s_wait_alu 0xfffd
	s_delay_alu instid0(VALU_DEP_3) | instskip(SKIP_1) | instid1(VALU_DEP_3)
	v_add_co_ci_u32_e64 v7, null, 0, v7, vcc_lo
	v_bfe_u32 v65, v58, 16, 8
	v_add_co_u32 v5, vcc_lo, v5, v31
	s_wait_alu 0xfffd
	s_delay_alu instid0(VALU_DEP_3) | instskip(SKIP_1) | instid1(VALU_DEP_3)
	v_add_co_ci_u32_e64 v7, null, 0, v7, vcc_lo
	v_lshrrev_b32_e32 v60, 24, v58
	v_add_co_u32 v5, vcc_lo, v5, v30
	s_wait_alu 0xfffd
	s_delay_alu instid0(VALU_DEP_3) | instskip(SKIP_1) | instid1(VALU_DEP_3)
	v_add_co_ci_u32_e64 v7, null, 0, v7, vcc_lo
	v_mbcnt_lo_u32_b32 v36, -1, 0
	v_add_co_u32 v5, vcc_lo, v5, v29
	s_wait_alu 0xfffd
	s_delay_alu instid0(VALU_DEP_3) | instskip(SKIP_1) | instid1(VALU_DEP_3)
	v_add_co_ci_u32_e64 v7, null, 0, v7, vcc_lo
	v_and_b32_e32 v54, 0xff, v57
	v_add_co_u32 v5, vcc_lo, v5, v62
	s_wait_alu 0xfffd
	s_delay_alu instid0(VALU_DEP_3) | instskip(SKIP_1) | instid1(VALU_DEP_3)
	v_add_co_ci_u32_e64 v7, null, 0, v7, vcc_lo
	v_and_b32_e32 v37, 15, v36
	v_add_co_u32 v5, vcc_lo, v5, v67
	s_wait_alu 0xfffd
	s_delay_alu instid0(VALU_DEP_3) | instskip(NEXT) | instid1(VALU_DEP_3)
	v_add_co_ci_u32_e64 v7, null, 0, v7, vcc_lo
	v_cmp_ne_u32_e64 s0, 0, v37
	s_delay_alu instid0(VALU_DEP_3) | instskip(SKIP_1) | instid1(VALU_DEP_3)
	v_add_co_u32 v5, vcc_lo, v5, v66
	s_wait_alu 0xfffd
	v_add_co_ci_u32_e64 v7, null, 0, v7, vcc_lo
	s_cmp_lg_u32 s28, 0
	v_add_co_u32 v5, vcc_lo, v5, v65
	s_wait_alu 0xfffd
	v_add_co_ci_u32_e64 v7, null, 0, v7, vcc_lo
	s_mov_b32 s1, -1
	v_add_co_u32 v5, vcc_lo, v5, v60
	s_wait_alu 0xfffd
	v_add_co_ci_u32_e64 v7, null, 0, v7, vcc_lo
	s_delay_alu instid0(VALU_DEP_2) | instskip(SKIP_1) | instid1(VALU_DEP_2)
	v_add_co_u32 v19, vcc_lo, v5, v54
	s_wait_alu 0xfffd
	v_add_co_ci_u32_e64 v20, null, 0, v7, vcc_lo
	s_cbranch_scc0 .LBB530_107
; %bb.49:
	v_mov_b32_e32 v7, v19
	v_mov_b32_dpp v5, v19 row_shr:1 row_mask:0xf bank_mask:0xf
	v_mov_b32_dpp v10, v6 row_shr:1 row_mask:0xf bank_mask:0xf
	v_dual_mov_b32 v9, v19 :: v_dual_mov_b32 v8, v20
	s_and_saveexec_b32 s1, s0
; %bb.50:
	s_delay_alu instid0(VALU_DEP_3) | instskip(SKIP_2) | instid1(VALU_DEP_2)
	v_add_co_u32 v9, vcc_lo, v19, v5
	s_wait_alu 0xfffd
	v_add_co_ci_u32_e64 v6, null, 0, v20, vcc_lo
	v_add_co_u32 v5, vcc_lo, 0, v9
	s_wait_alu 0xfffd
	s_delay_alu instid0(VALU_DEP_2) | instskip(NEXT) | instid1(VALU_DEP_1)
	v_add_co_ci_u32_e64 v6, null, v10, v6, vcc_lo
	v_dual_mov_b32 v8, v6 :: v_dual_mov_b32 v7, v5
; %bb.51:
	s_wait_alu 0xfffe
	s_or_b32 exec_lo, exec_lo, s1
	v_mov_b32_dpp v5, v9 row_shr:2 row_mask:0xf bank_mask:0xf
	v_mov_b32_dpp v10, v6 row_shr:2 row_mask:0xf bank_mask:0xf
	v_cmp_lt_u32_e32 vcc_lo, 1, v37
	s_and_saveexec_b32 s3, vcc_lo
; %bb.52:
	s_delay_alu instid0(VALU_DEP_3) | instskip(SKIP_2) | instid1(VALU_DEP_2)
	v_add_co_u32 v9, s1, v7, v5
	s_wait_alu 0xf1ff
	v_add_co_ci_u32_e64 v6, null, 0, v8, s1
	v_add_co_u32 v5, s1, 0, v9
	s_wait_alu 0xf1ff
	s_delay_alu instid0(VALU_DEP_2) | instskip(NEXT) | instid1(VALU_DEP_1)
	v_add_co_ci_u32_e64 v6, null, v10, v6, s1
	v_dual_mov_b32 v8, v6 :: v_dual_mov_b32 v7, v5
; %bb.53:
	s_wait_alu 0xfffe
	s_or_b32 exec_lo, exec_lo, s3
	v_mov_b32_dpp v5, v9 row_shr:4 row_mask:0xf bank_mask:0xf
	v_mov_b32_dpp v10, v6 row_shr:4 row_mask:0xf bank_mask:0xf
	v_cmp_lt_u32_e64 s1, 3, v37
	s_and_saveexec_b32 s4, s1
; %bb.54:
	v_add_co_u32 v9, s3, v7, v5
	s_wait_alu 0xf1ff
	v_add_co_ci_u32_e64 v6, null, 0, v8, s3
	s_delay_alu instid0(VALU_DEP_2) | instskip(SKIP_1) | instid1(VALU_DEP_2)
	v_add_co_u32 v5, s3, 0, v9
	s_wait_alu 0xf1ff
	v_add_co_ci_u32_e64 v6, null, v10, v6, s3
	s_delay_alu instid0(VALU_DEP_1)
	v_dual_mov_b32 v8, v6 :: v_dual_mov_b32 v7, v5
; %bb.55:
	s_wait_alu 0xfffe
	s_or_b32 exec_lo, exec_lo, s4
	v_mov_b32_dpp v10, v9 row_shr:8 row_mask:0xf bank_mask:0xf
	v_mov_b32_dpp v5, v6 row_shr:8 row_mask:0xf bank_mask:0xf
	v_cmp_lt_u32_e64 s3, 7, v37
	s_and_saveexec_b32 s5, s3
; %bb.56:
	v_add_co_u32 v9, s4, v7, v10
	s_wait_alu 0xf1ff
	v_add_co_ci_u32_e64 v6, null, 0, v8, s4
	s_delay_alu instid0(VALU_DEP_2) | instskip(SKIP_1) | instid1(VALU_DEP_2)
	v_add_co_u32 v7, s4, 0, v9
	s_wait_alu 0xf1ff
	v_add_co_ci_u32_e64 v8, null, v5, v6, s4
	s_delay_alu instid0(VALU_DEP_1)
	v_mov_b32_e32 v6, v8
; %bb.57:
	s_wait_alu 0xfffe
	s_or_b32 exec_lo, exec_lo, s5
	ds_swizzle_b32 v5, v9 offset:swizzle(BROADCAST,32,15)
	ds_swizzle_b32 v10, v6 offset:swizzle(BROADCAST,32,15)
	v_and_b32_e32 v11, 16, v36
	s_mov_b32 s5, exec_lo
	s_delay_alu instid0(VALU_DEP_1)
	v_cmpx_ne_u32_e32 0, v11
	s_cbranch_execz .LBB530_59
; %bb.58:
	s_wait_dscnt 0x1
	v_add_co_u32 v9, s4, v7, v5
	s_wait_alu 0xf1ff
	v_add_co_ci_u32_e64 v6, null, 0, v8, s4
	s_delay_alu instid0(VALU_DEP_2) | instskip(SKIP_2) | instid1(VALU_DEP_2)
	v_add_co_u32 v5, s4, 0, v9
	s_wait_dscnt 0x0
	s_wait_alu 0xf1ff
	v_add_co_ci_u32_e64 v6, null, v10, v6, s4
	s_delay_alu instid0(VALU_DEP_1)
	v_dual_mov_b32 v8, v6 :: v_dual_mov_b32 v7, v5
.LBB530_59:
	s_wait_alu 0xfffe
	s_or_b32 exec_lo, exec_lo, s5
	s_wait_dscnt 0x1
	v_and_b32_e32 v5, 0x1e0, v0
	s_mov_b32 s5, exec_lo
	s_delay_alu instid0(VALU_DEP_1) | instskip(SKIP_1) | instid1(VALU_DEP_1)
	v_min_u32_e32 v5, 0x160, v5
	s_wait_dscnt 0x0
	v_or_b32_e32 v10, 31, v5
	v_lshrrev_b32_e32 v5, 5, v0
	s_delay_alu instid0(VALU_DEP_2)
	v_cmpx_eq_u32_e64 v0, v10
; %bb.60:
	s_delay_alu instid0(VALU_DEP_2)
	v_lshlrev_b32_e32 v10, 3, v5
	ds_store_b64 v10, v[7:8]
; %bb.61:
	s_wait_alu 0xfffe
	s_or_b32 exec_lo, exec_lo, s5
	s_delay_alu instid0(SALU_CYCLE_1)
	s_mov_b32 s5, exec_lo
	s_wait_loadcnt_dscnt 0x0
	s_barrier_signal -1
	s_barrier_wait -1
	global_inv scope:SCOPE_SE
	v_cmpx_gt_u32_e32 12, v0
	s_cbranch_execz .LBB530_71
; %bb.62:
	v_lshlrev_b32_e32 v10, 3, v0
	ds_load_b64 v[7:8], v10
	s_wait_dscnt 0x0
	v_mov_b32_dpp v21, v7 row_shr:1 row_mask:0xf bank_mask:0xf
	v_mov_b32_dpp v12, v8 row_shr:1 row_mask:0xf bank_mask:0xf
	v_mov_b32_e32 v11, v7
	s_and_saveexec_b32 s6, s0
; %bb.63:
	s_delay_alu instid0(VALU_DEP_3) | instskip(SKIP_2) | instid1(VALU_DEP_2)
	v_add_co_u32 v11, s4, v7, v21
	s_wait_alu 0xf1ff
	v_add_co_ci_u32_e64 v8, null, 0, v8, s4
	v_add_co_u32 v7, s4, 0, v11
	s_wait_alu 0xf1ff
	s_delay_alu instid0(VALU_DEP_2)
	v_add_co_ci_u32_e64 v8, null, v12, v8, s4
; %bb.64:
	s_wait_alu 0xfffe
	s_or_b32 exec_lo, exec_lo, s6
	v_mov_b32_dpp v21, v11 row_shr:2 row_mask:0xf bank_mask:0xf
	s_delay_alu instid0(VALU_DEP_2)
	v_mov_b32_dpp v12, v8 row_shr:2 row_mask:0xf bank_mask:0xf
	s_and_saveexec_b32 s4, vcc_lo
; %bb.65:
	s_delay_alu instid0(VALU_DEP_2) | instskip(SKIP_2) | instid1(VALU_DEP_2)
	v_add_co_u32 v11, vcc_lo, v7, v21
	s_wait_alu 0xfffd
	v_add_co_ci_u32_e64 v8, null, 0, v8, vcc_lo
	v_add_co_u32 v7, vcc_lo, 0, v11
	s_wait_alu 0xfffd
	s_delay_alu instid0(VALU_DEP_2)
	v_add_co_ci_u32_e64 v8, null, v12, v8, vcc_lo
; %bb.66:
	s_wait_alu 0xfffe
	s_or_b32 exec_lo, exec_lo, s4
	v_mov_b32_dpp v21, v11 row_shr:4 row_mask:0xf bank_mask:0xf
	s_delay_alu instid0(VALU_DEP_2)
	v_mov_b32_dpp v12, v8 row_shr:4 row_mask:0xf bank_mask:0xf
	s_and_saveexec_b32 s4, s1
; %bb.67:
	s_delay_alu instid0(VALU_DEP_2) | instskip(SKIP_2) | instid1(VALU_DEP_2)
	v_add_co_u32 v11, vcc_lo, v7, v21
	s_wait_alu 0xfffd
	v_add_co_ci_u32_e64 v8, null, 0, v8, vcc_lo
	v_add_co_u32 v7, vcc_lo, 0, v11
	s_wait_alu 0xfffd
	s_delay_alu instid0(VALU_DEP_2)
	v_add_co_ci_u32_e64 v8, null, v12, v8, vcc_lo
; %bb.68:
	s_wait_alu 0xfffe
	s_or_b32 exec_lo, exec_lo, s4
	v_mov_b32_dpp v12, v11 row_shr:8 row_mask:0xf bank_mask:0xf
	s_delay_alu instid0(VALU_DEP_2)
	v_mov_b32_dpp v11, v8 row_shr:8 row_mask:0xf bank_mask:0xf
	s_and_saveexec_b32 s1, s3
; %bb.69:
	s_delay_alu instid0(VALU_DEP_2) | instskip(SKIP_2) | instid1(VALU_DEP_2)
	v_add_co_u32 v7, vcc_lo, v7, v12
	s_wait_alu 0xfffd
	v_add_co_ci_u32_e64 v8, null, 0, v8, vcc_lo
	v_add_co_u32 v7, vcc_lo, v7, 0
	s_wait_alu 0xfffd
	s_delay_alu instid0(VALU_DEP_2)
	v_add_co_ci_u32_e64 v8, null, v8, v11, vcc_lo
; %bb.70:
	s_wait_alu 0xfffe
	s_or_b32 exec_lo, exec_lo, s1
	ds_store_b64 v10, v[7:8]
.LBB530_71:
	s_wait_alu 0xfffe
	s_or_b32 exec_lo, exec_lo, s5
	s_delay_alu instid0(SALU_CYCLE_1)
	s_mov_b32 s3, exec_lo
	v_cmp_gt_u32_e32 vcc_lo, 32, v0
	s_wait_loadcnt_dscnt 0x0
	s_barrier_signal -1
	s_barrier_wait -1
	global_inv scope:SCOPE_SE
                                        ; implicit-def: $vgpr21_vgpr22
	v_cmpx_lt_u32_e32 31, v0
	s_cbranch_execz .LBB530_73
; %bb.72:
	v_lshl_add_u32 v5, v5, 3, -8
	ds_load_b64 v[21:22], v5
	s_wait_dscnt 0x0
	v_add_co_u32 v9, s1, v9, v21
	s_wait_alu 0xf1ff
	v_add_co_ci_u32_e64 v6, null, v6, v22, s1
.LBB530_73:
	s_wait_alu 0xfffe
	s_or_b32 exec_lo, exec_lo, s3
	v_sub_co_u32 v5, s1, v36, 1
	s_delay_alu instid0(VALU_DEP_1) | instskip(SKIP_1) | instid1(VALU_DEP_1)
	v_cmp_gt_i32_e64 s3, 0, v5
	s_wait_alu 0xf1ff
	v_cndmask_b32_e64 v5, v5, v36, s3
	s_delay_alu instid0(VALU_DEP_1)
	v_lshlrev_b32_e32 v5, 2, v5
	ds_bpermute_b32 v38, v5, v9
	ds_bpermute_b32 v39, v5, v6
	s_and_saveexec_b32 s3, vcc_lo
	s_cbranch_execz .LBB530_112
; %bb.74:
	v_mov_b32_e32 v8, 0
	ds_load_b64 v[5:6], v8 offset:88
	s_and_saveexec_b32 s4, s1
	s_cbranch_execz .LBB530_76
; %bb.75:
	s_add_co_i32 s6, s28, 32
	s_mov_b32 s7, 0
	s_wait_alu 0xfffe
	s_lshl_b64 s[6:7], s[6:7], 4
	s_wait_alu 0xfffe
	s_add_nc_u64 s[6:7], s[26:27], s[6:7]
	s_wait_alu 0xfffe
	v_dual_mov_b32 v7, 1 :: v_dual_mov_b32 v10, s7
	v_mov_b32_e32 v9, s6
	s_wait_dscnt 0x0
	;;#ASMSTART
	global_store_b128 v[9:10], v[5:8] off scope:SCOPE_DEV	
s_wait_storecnt 0x0
	;;#ASMEND
.LBB530_76:
	s_wait_alu 0xfffe
	s_or_b32 exec_lo, exec_lo, s4
	v_xad_u32 v23, v36, -1, s28
	s_mov_b32 s5, 0
	s_mov_b32 s4, exec_lo
	s_delay_alu instid0(VALU_DEP_1) | instskip(NEXT) | instid1(VALU_DEP_1)
	v_add_nc_u32_e32 v7, 32, v23
	v_lshlrev_b64_e32 v[7:8], 4, v[7:8]
	s_delay_alu instid0(VALU_DEP_1) | instskip(SKIP_1) | instid1(VALU_DEP_2)
	v_add_co_u32 v7, vcc_lo, s26, v7
	s_wait_alu 0xfffd
	v_add_co_ci_u32_e64 v8, null, s27, v8, vcc_lo
	;;#ASMSTART
	global_load_b128 v[9:12], v[7:8] off scope:SCOPE_DEV	
s_wait_loadcnt 0x0
	;;#ASMEND
	v_and_b32_e32 v12, 0xff, v11
	s_delay_alu instid0(VALU_DEP_1)
	v_cmpx_eq_u16_e32 0, v12
	s_cbranch_execz .LBB530_79
.LBB530_77:                             ; =>This Inner Loop Header: Depth=1
	;;#ASMSTART
	global_load_b128 v[9:12], v[7:8] off scope:SCOPE_DEV	
s_wait_loadcnt 0x0
	;;#ASMEND
	v_and_b32_e32 v12, 0xff, v11
	s_delay_alu instid0(VALU_DEP_1)
	v_cmp_ne_u16_e32 vcc_lo, 0, v12
	s_wait_alu 0xfffe
	s_or_b32 s5, vcc_lo, s5
	s_wait_alu 0xfffe
	s_and_not1_b32 exec_lo, exec_lo, s5
	s_cbranch_execnz .LBB530_77
; %bb.78:
	s_or_b32 exec_lo, exec_lo, s5
.LBB530_79:
	s_wait_alu 0xfffe
	s_or_b32 exec_lo, exec_lo, s4
	v_cmp_ne_u32_e32 vcc_lo, 31, v36
	v_and_b32_e32 v8, 0xff, v11
	v_lshlrev_b32_e64 v41, v36, -1
	s_mov_b32 s4, exec_lo
	s_wait_alu 0xfffd
	v_add_co_ci_u32_e64 v7, null, 0, v36, vcc_lo
	v_cmp_eq_u16_e32 vcc_lo, 2, v8
	v_mov_b32_e32 v8, v9
	s_delay_alu instid0(VALU_DEP_3)
	v_lshlrev_b32_e32 v40, 2, v7
	s_wait_alu 0xfffd
	v_and_or_b32 v7, vcc_lo, v41, 0x80000000
	ds_bpermute_b32 v24, v40, v9
	ds_bpermute_b32 v12, v40, v10
	v_ctz_i32_b32_e32 v7, v7
	s_delay_alu instid0(VALU_DEP_1)
	v_cmpx_lt_u32_e64 v36, v7
	s_cbranch_execz .LBB530_81
; %bb.80:
	s_wait_dscnt 0x1
	v_add_co_u32 v8, vcc_lo, v9, v24
	s_wait_alu 0xfffd
	v_add_co_ci_u32_e64 v10, null, 0, v10, vcc_lo
	s_delay_alu instid0(VALU_DEP_2) | instskip(SKIP_2) | instid1(VALU_DEP_2)
	v_add_co_u32 v9, vcc_lo, 0, v8
	s_wait_dscnt 0x0
	s_wait_alu 0xfffd
	v_add_co_ci_u32_e64 v10, null, v12, v10, vcc_lo
.LBB530_81:
	s_wait_alu 0xfffe
	s_or_b32 exec_lo, exec_lo, s4
	v_cmp_gt_u32_e32 vcc_lo, 30, v36
	v_add_nc_u32_e32 v43, 2, v36
	s_mov_b32 s4, exec_lo
	s_wait_dscnt 0x0
	s_wait_alu 0xfffd
	v_cndmask_b32_e64 v12, 0, 2, vcc_lo
	s_delay_alu instid0(VALU_DEP_1)
	v_add_lshl_u32 v42, v12, v36, 2
	ds_bpermute_b32 v24, v42, v8
	ds_bpermute_b32 v12, v42, v10
	v_cmpx_le_u32_e64 v43, v7
	s_cbranch_execz .LBB530_83
; %bb.82:
	s_wait_dscnt 0x1
	v_add_co_u32 v8, vcc_lo, v9, v24
	s_wait_alu 0xfffd
	v_add_co_ci_u32_e64 v10, null, 0, v10, vcc_lo
	s_delay_alu instid0(VALU_DEP_2) | instskip(SKIP_2) | instid1(VALU_DEP_2)
	v_add_co_u32 v9, vcc_lo, 0, v8
	s_wait_dscnt 0x0
	s_wait_alu 0xfffd
	v_add_co_ci_u32_e64 v10, null, v12, v10, vcc_lo
.LBB530_83:
	s_wait_alu 0xfffe
	s_or_b32 exec_lo, exec_lo, s4
	v_cmp_gt_u32_e32 vcc_lo, 28, v36
	v_add_nc_u32_e32 v45, 4, v36
	s_mov_b32 s4, exec_lo
	s_wait_dscnt 0x0
	s_wait_alu 0xfffd
	v_cndmask_b32_e64 v12, 0, 4, vcc_lo
	s_delay_alu instid0(VALU_DEP_1)
	v_add_lshl_u32 v44, v12, v36, 2
	ds_bpermute_b32 v24, v44, v8
	ds_bpermute_b32 v12, v44, v10
	v_cmpx_le_u32_e64 v45, v7
	;; [unrolled: 25-line block ×3, first 2 shown]
	s_cbranch_execz .LBB530_87
; %bb.86:
	s_wait_dscnt 0x1
	v_add_co_u32 v8, vcc_lo, v9, v24
	s_wait_alu 0xfffd
	v_add_co_ci_u32_e64 v10, null, 0, v10, vcc_lo
	s_delay_alu instid0(VALU_DEP_2) | instskip(SKIP_2) | instid1(VALU_DEP_2)
	v_add_co_u32 v9, vcc_lo, 0, v8
	s_wait_dscnt 0x0
	s_wait_alu 0xfffd
	v_add_co_ci_u32_e64 v10, null, v12, v10, vcc_lo
.LBB530_87:
	s_wait_alu 0xfffe
	s_or_b32 exec_lo, exec_lo, s4
	v_lshl_or_b32 v48, v36, 2, 64
	v_add_nc_u32_e32 v49, 16, v36
	s_mov_b32 s4, exec_lo
	s_wait_dscnt 0x0
	ds_bpermute_b32 v12, v48, v8
	ds_bpermute_b32 v8, v48, v10
	v_cmpx_le_u32_e64 v49, v7
	s_cbranch_execz .LBB530_89
; %bb.88:
	s_wait_dscnt 0x1
	v_add_co_u32 v7, vcc_lo, v9, v12
	s_wait_alu 0xfffd
	v_add_co_ci_u32_e64 v10, null, 0, v10, vcc_lo
	s_delay_alu instid0(VALU_DEP_2) | instskip(SKIP_2) | instid1(VALU_DEP_2)
	v_add_co_u32 v9, vcc_lo, v7, 0
	s_wait_dscnt 0x0
	s_wait_alu 0xfffd
	v_add_co_ci_u32_e64 v10, null, v10, v8, vcc_lo
.LBB530_89:
	s_wait_alu 0xfffe
	s_or_b32 exec_lo, exec_lo, s4
	v_mov_b32_e32 v24, 0
	s_branch .LBB530_92
.LBB530_90:                             ;   in Loop: Header=BB530_92 Depth=1
	s_wait_alu 0xfffe
	s_or_b32 exec_lo, exec_lo, s4
	v_add_co_u32 v9, vcc_lo, v9, v7
	v_subrev_nc_u32_e32 v23, 32, v23
	s_wait_alu 0xfffd
	v_add_co_ci_u32_e64 v10, null, v10, v8, vcc_lo
	s_mov_b32 s4, 0
.LBB530_91:                             ;   in Loop: Header=BB530_92 Depth=1
	s_wait_alu 0xfffe
	s_and_b32 vcc_lo, exec_lo, s4
	s_wait_alu 0xfffe
	s_cbranch_vccnz .LBB530_108
.LBB530_92:                             ; =>This Loop Header: Depth=1
                                        ;     Child Loop BB530_95 Depth 2
	v_and_b32_e32 v7, 0xff, v11
	s_mov_b32 s4, -1
	s_delay_alu instid0(VALU_DEP_1)
	v_cmp_ne_u16_e32 vcc_lo, 2, v7
	s_wait_dscnt 0x0
	v_dual_mov_b32 v7, v9 :: v_dual_mov_b32 v8, v10
                                        ; implicit-def: $vgpr9_vgpr10
	s_cmp_lg_u32 vcc_lo, exec_lo
	s_cbranch_scc1 .LBB530_91
; %bb.93:                               ;   in Loop: Header=BB530_92 Depth=1
	v_lshlrev_b64_e32 v[9:10], 4, v[23:24]
	s_mov_b32 s4, exec_lo
	s_delay_alu instid0(VALU_DEP_1) | instskip(SKIP_1) | instid1(VALU_DEP_2)
	v_add_co_u32 v25, vcc_lo, s26, v9
	s_wait_alu 0xfffd
	v_add_co_ci_u32_e64 v26, null, s27, v10, vcc_lo
	;;#ASMSTART
	global_load_b128 v[9:12], v[25:26] off scope:SCOPE_DEV	
s_wait_loadcnt 0x0
	;;#ASMEND
	v_and_b32_e32 v12, 0xff, v11
	s_delay_alu instid0(VALU_DEP_1)
	v_cmpx_eq_u16_e32 0, v12
	s_cbranch_execz .LBB530_97
; %bb.94:                               ;   in Loop: Header=BB530_92 Depth=1
	s_mov_b32 s5, 0
.LBB530_95:                             ;   Parent Loop BB530_92 Depth=1
                                        ; =>  This Inner Loop Header: Depth=2
	;;#ASMSTART
	global_load_b128 v[9:12], v[25:26] off scope:SCOPE_DEV	
s_wait_loadcnt 0x0
	;;#ASMEND
	v_and_b32_e32 v12, 0xff, v11
	s_delay_alu instid0(VALU_DEP_1)
	v_cmp_ne_u16_e32 vcc_lo, 0, v12
	s_wait_alu 0xfffe
	s_or_b32 s5, vcc_lo, s5
	s_wait_alu 0xfffe
	s_and_not1_b32 exec_lo, exec_lo, s5
	s_cbranch_execnz .LBB530_95
; %bb.96:                               ;   in Loop: Header=BB530_92 Depth=1
	s_or_b32 exec_lo, exec_lo, s5
.LBB530_97:                             ;   in Loop: Header=BB530_92 Depth=1
	s_wait_alu 0xfffe
	s_or_b32 exec_lo, exec_lo, s4
	v_dual_mov_b32 v25, v9 :: v_dual_and_b32 v12, 0xff, v11
	ds_bpermute_b32 v50, v40, v9
	ds_bpermute_b32 v26, v40, v10
	s_mov_b32 s4, exec_lo
	v_cmp_eq_u16_e32 vcc_lo, 2, v12
	s_wait_alu 0xfffd
	v_and_or_b32 v12, vcc_lo, v41, 0x80000000
	s_delay_alu instid0(VALU_DEP_1) | instskip(NEXT) | instid1(VALU_DEP_1)
	v_ctz_i32_b32_e32 v12, v12
	v_cmpx_lt_u32_e64 v36, v12
	s_cbranch_execz .LBB530_99
; %bb.98:                               ;   in Loop: Header=BB530_92 Depth=1
	s_wait_dscnt 0x1
	v_add_co_u32 v25, vcc_lo, v9, v50
	s_wait_alu 0xfffd
	v_add_co_ci_u32_e64 v10, null, 0, v10, vcc_lo
	s_delay_alu instid0(VALU_DEP_2) | instskip(SKIP_2) | instid1(VALU_DEP_2)
	v_add_co_u32 v9, vcc_lo, 0, v25
	s_wait_dscnt 0x0
	s_wait_alu 0xfffd
	v_add_co_ci_u32_e64 v10, null, v26, v10, vcc_lo
.LBB530_99:                             ;   in Loop: Header=BB530_92 Depth=1
	s_wait_alu 0xfffe
	s_or_b32 exec_lo, exec_lo, s4
	s_wait_dscnt 0x1
	ds_bpermute_b32 v50, v42, v25
	s_wait_dscnt 0x1
	ds_bpermute_b32 v26, v42, v10
	s_mov_b32 s4, exec_lo
	v_cmpx_le_u32_e64 v43, v12
	s_cbranch_execz .LBB530_101
; %bb.100:                              ;   in Loop: Header=BB530_92 Depth=1
	s_wait_dscnt 0x1
	v_add_co_u32 v25, vcc_lo, v9, v50
	s_wait_alu 0xfffd
	v_add_co_ci_u32_e64 v10, null, 0, v10, vcc_lo
	s_delay_alu instid0(VALU_DEP_2) | instskip(SKIP_2) | instid1(VALU_DEP_2)
	v_add_co_u32 v9, vcc_lo, 0, v25
	s_wait_dscnt 0x0
	s_wait_alu 0xfffd
	v_add_co_ci_u32_e64 v10, null, v26, v10, vcc_lo
.LBB530_101:                            ;   in Loop: Header=BB530_92 Depth=1
	s_wait_alu 0xfffe
	s_or_b32 exec_lo, exec_lo, s4
	s_wait_dscnt 0x1
	ds_bpermute_b32 v50, v44, v25
	s_wait_dscnt 0x1
	ds_bpermute_b32 v26, v44, v10
	s_mov_b32 s4, exec_lo
	v_cmpx_le_u32_e64 v45, v12
	s_cbranch_execz .LBB530_103
; %bb.102:                              ;   in Loop: Header=BB530_92 Depth=1
	s_wait_dscnt 0x1
	v_add_co_u32 v25, vcc_lo, v9, v50
	s_wait_alu 0xfffd
	v_add_co_ci_u32_e64 v10, null, 0, v10, vcc_lo
	s_delay_alu instid0(VALU_DEP_2) | instskip(SKIP_2) | instid1(VALU_DEP_2)
	v_add_co_u32 v9, vcc_lo, 0, v25
	s_wait_dscnt 0x0
	s_wait_alu 0xfffd
	v_add_co_ci_u32_e64 v10, null, v26, v10, vcc_lo
.LBB530_103:                            ;   in Loop: Header=BB530_92 Depth=1
	;; [unrolled: 20-line block ×3, first 2 shown]
	s_wait_alu 0xfffe
	s_or_b32 exec_lo, exec_lo, s4
	s_wait_dscnt 0x0
	ds_bpermute_b32 v26, v48, v25
	ds_bpermute_b32 v25, v48, v10
	s_mov_b32 s4, exec_lo
	v_cmpx_le_u32_e64 v49, v12
	s_cbranch_execz .LBB530_90
; %bb.106:                              ;   in Loop: Header=BB530_92 Depth=1
	s_wait_dscnt 0x1
	v_add_co_u32 v9, vcc_lo, v9, v26
	s_wait_alu 0xfffd
	v_add_co_ci_u32_e64 v10, null, 0, v10, vcc_lo
	s_delay_alu instid0(VALU_DEP_2) | instskip(SKIP_2) | instid1(VALU_DEP_2)
	v_add_co_u32 v9, vcc_lo, v9, 0
	s_wait_dscnt 0x0
	s_wait_alu 0xfffd
	v_add_co_ci_u32_e64 v10, null, v10, v25, vcc_lo
	s_branch .LBB530_90
.LBB530_107:
                                        ; implicit-def: $vgpr7_vgpr8
                                        ; implicit-def: $vgpr41_vgpr42
	s_wait_alu 0xfffe
	s_and_b32 vcc_lo, exec_lo, s1
	s_wait_alu 0xfffe
	s_cbranch_vccnz .LBB530_113
	s_branch .LBB530_140
.LBB530_108:
	s_and_saveexec_b32 s4, s1
	s_cbranch_execz .LBB530_110
; %bb.109:
	s_add_co_i32 s6, s28, 32
	s_mov_b32 s7, 0
	v_add_co_u32 v9, vcc_lo, v7, v5
	s_wait_alu 0xfffe
	s_lshl_b64 s[6:7], s[6:7], 4
	v_dual_mov_b32 v11, 2 :: v_dual_mov_b32 v12, 0
	s_wait_alu 0xfffe
	s_add_nc_u64 s[6:7], s[26:27], s[6:7]
	s_wait_alu 0xfffd
	v_add_co_ci_u32_e64 v10, null, v8, v6, vcc_lo
	s_wait_alu 0xfffe
	v_dual_mov_b32 v24, s7 :: v_dual_mov_b32 v23, s6
	;;#ASMSTART
	global_store_b128 v[23:24], v[9:12] off scope:SCOPE_DEV	
s_wait_storecnt 0x0
	;;#ASMEND
	ds_store_b128 v12, v[5:8] offset:13824
.LBB530_110:
	s_wait_alu 0xfffe
	s_or_b32 exec_lo, exec_lo, s4
	s_delay_alu instid0(SALU_CYCLE_1)
	s_and_b32 exec_lo, exec_lo, s2
; %bb.111:
	v_mov_b32_e32 v5, 0
	ds_store_b64 v5, v[7:8] offset:88
.LBB530_112:
	s_wait_alu 0xfffe
	s_or_b32 exec_lo, exec_lo, s3
	v_mov_b32_e32 v5, 0
	s_wait_loadcnt_dscnt 0x0
	s_barrier_signal -1
	s_barrier_wait -1
	global_inv scope:SCOPE_SE
	ds_load_b64 v[9:10], v5 offset:88
	s_wait_loadcnt_dscnt 0x0
	s_barrier_signal -1
	s_barrier_wait -1
	global_inv scope:SCOPE_SE
	ds_load_b128 v[5:8], v5 offset:13824
	v_cndmask_b32_e64 v11, v38, v21, s1
	v_cndmask_b32_e64 v12, v39, v22, s1
	s_delay_alu instid0(VALU_DEP_2) | instskip(NEXT) | instid1(VALU_DEP_2)
	v_cndmask_b32_e64 v11, v11, 0, s2
	v_cndmask_b32_e64 v12, v12, 0, s2
	s_delay_alu instid0(VALU_DEP_2) | instskip(SKIP_1) | instid1(VALU_DEP_2)
	v_add_co_u32 v41, vcc_lo, v9, v11
	s_wait_alu 0xfffd
	v_add_co_ci_u32_e64 v42, null, v10, v12, vcc_lo
	s_branch .LBB530_140
.LBB530_113:
	s_wait_dscnt 0x0
	v_dual_mov_b32 v6, 0 :: v_dual_mov_b32 v7, v19
	v_mov_b32_dpp v8, v19 row_shr:1 row_mask:0xf bank_mask:0xf
	s_delay_alu instid0(VALU_DEP_2)
	v_mov_b32_dpp v5, v6 row_shr:1 row_mask:0xf bank_mask:0xf
	s_and_saveexec_b32 s1, s0
; %bb.114:
	s_delay_alu instid0(VALU_DEP_2) | instskip(SKIP_2) | instid1(VALU_DEP_2)
	v_add_co_u32 v7, vcc_lo, v19, v8
	s_wait_alu 0xfffd
	v_add_co_ci_u32_e64 v6, null, 0, v20, vcc_lo
	v_add_co_u32 v19, vcc_lo, 0, v7
	s_wait_alu 0xfffd
	s_delay_alu instid0(VALU_DEP_2) | instskip(NEXT) | instid1(VALU_DEP_1)
	v_add_co_ci_u32_e64 v20, null, v5, v6, vcc_lo
	v_mov_b32_e32 v6, v20
; %bb.115:
	s_wait_alu 0xfffe
	s_or_b32 exec_lo, exec_lo, s1
	v_mov_b32_dpp v5, v7 row_shr:2 row_mask:0xf bank_mask:0xf
	s_delay_alu instid0(VALU_DEP_2)
	v_mov_b32_dpp v8, v6 row_shr:2 row_mask:0xf bank_mask:0xf
	v_cmp_lt_u32_e32 vcc_lo, 1, v37
	s_and_saveexec_b32 s3, vcc_lo
; %bb.116:
	s_delay_alu instid0(VALU_DEP_3) | instskip(SKIP_2) | instid1(VALU_DEP_2)
	v_add_co_u32 v7, s1, v19, v5
	s_wait_alu 0xf1ff
	v_add_co_ci_u32_e64 v6, null, 0, v20, s1
	v_add_co_u32 v5, s1, 0, v7
	s_wait_alu 0xf1ff
	s_delay_alu instid0(VALU_DEP_2) | instskip(NEXT) | instid1(VALU_DEP_1)
	v_add_co_ci_u32_e64 v6, null, v8, v6, s1
	v_dual_mov_b32 v20, v6 :: v_dual_mov_b32 v19, v5
; %bb.117:
	s_wait_alu 0xfffe
	s_or_b32 exec_lo, exec_lo, s3
	v_mov_b32_dpp v5, v7 row_shr:4 row_mask:0xf bank_mask:0xf
	v_mov_b32_dpp v8, v6 row_shr:4 row_mask:0xf bank_mask:0xf
	v_cmp_lt_u32_e64 s1, 3, v37
	s_and_saveexec_b32 s4, s1
; %bb.118:
	v_add_co_u32 v7, s3, v19, v5
	s_wait_alu 0xf1ff
	v_add_co_ci_u32_e64 v6, null, 0, v20, s3
	s_delay_alu instid0(VALU_DEP_2) | instskip(SKIP_1) | instid1(VALU_DEP_2)
	v_add_co_u32 v5, s3, 0, v7
	s_wait_alu 0xf1ff
	v_add_co_ci_u32_e64 v6, null, v8, v6, s3
	s_delay_alu instid0(VALU_DEP_1)
	v_dual_mov_b32 v20, v6 :: v_dual_mov_b32 v19, v5
; %bb.119:
	s_wait_alu 0xfffe
	s_or_b32 exec_lo, exec_lo, s4
	v_mov_b32_dpp v8, v7 row_shr:8 row_mask:0xf bank_mask:0xf
	v_mov_b32_dpp v5, v6 row_shr:8 row_mask:0xf bank_mask:0xf
	v_cmp_lt_u32_e64 s3, 7, v37
	s_and_saveexec_b32 s5, s3
; %bb.120:
	v_add_co_u32 v7, s4, v19, v8
	s_wait_alu 0xf1ff
	v_add_co_ci_u32_e64 v6, null, 0, v20, s4
	s_delay_alu instid0(VALU_DEP_2) | instskip(SKIP_1) | instid1(VALU_DEP_2)
	v_add_co_u32 v19, s4, 0, v7
	s_wait_alu 0xf1ff
	v_add_co_ci_u32_e64 v20, null, v5, v6, s4
	s_delay_alu instid0(VALU_DEP_1)
	v_mov_b32_e32 v6, v20
; %bb.121:
	s_wait_alu 0xfffe
	s_or_b32 exec_lo, exec_lo, s5
	ds_swizzle_b32 v7, v7 offset:swizzle(BROADCAST,32,15)
	ds_swizzle_b32 v5, v6 offset:swizzle(BROADCAST,32,15)
	v_and_b32_e32 v6, 16, v36
	s_mov_b32 s5, exec_lo
	s_delay_alu instid0(VALU_DEP_1)
	v_cmpx_ne_u32_e32 0, v6
	s_cbranch_execz .LBB530_123
; %bb.122:
	s_wait_dscnt 0x1
	v_add_co_u32 v6, s4, v19, v7
	s_wait_alu 0xf1ff
	v_add_co_ci_u32_e64 v7, null, 0, v20, s4
	s_delay_alu instid0(VALU_DEP_2) | instskip(SKIP_2) | instid1(VALU_DEP_2)
	v_add_co_u32 v19, s4, v6, 0
	s_wait_dscnt 0x0
	s_wait_alu 0xf1ff
	v_add_co_ci_u32_e64 v20, null, v7, v5, s4
.LBB530_123:
	s_wait_alu 0xfffe
	s_or_b32 exec_lo, exec_lo, s5
	s_wait_dscnt 0x0
	v_and_b32_e32 v5, 0x1e0, v0
	v_lshrrev_b32_e32 v7, 5, v0
	s_mov_b32 s5, exec_lo
	s_delay_alu instid0(VALU_DEP_2) | instskip(NEXT) | instid1(VALU_DEP_1)
	v_min_u32_e32 v5, 0x160, v5
	v_or_b32_e32 v5, 31, v5
	s_delay_alu instid0(VALU_DEP_1)
	v_cmpx_eq_u32_e64 v0, v5
; %bb.124:
	v_lshlrev_b32_e32 v5, 3, v7
	ds_store_b64 v5, v[19:20]
; %bb.125:
	s_wait_alu 0xfffe
	s_or_b32 exec_lo, exec_lo, s5
	s_delay_alu instid0(SALU_CYCLE_1)
	s_mov_b32 s5, exec_lo
	s_wait_loadcnt_dscnt 0x0
	s_barrier_signal -1
	s_barrier_wait -1
	global_inv scope:SCOPE_SE
	v_cmpx_gt_u32_e32 12, v0
	s_cbranch_execz .LBB530_135
; %bb.126:
	v_lshlrev_b32_e32 v8, 3, v0
	ds_load_b64 v[5:6], v8
	s_wait_dscnt 0x0
	v_mov_b32_dpp v11, v5 row_shr:1 row_mask:0xf bank_mask:0xf
	v_mov_b32_dpp v10, v6 row_shr:1 row_mask:0xf bank_mask:0xf
	v_mov_b32_e32 v9, v5
	s_and_saveexec_b32 s4, s0
; %bb.127:
	s_delay_alu instid0(VALU_DEP_3) | instskip(SKIP_2) | instid1(VALU_DEP_2)
	v_add_co_u32 v9, s0, v5, v11
	s_wait_alu 0xf1ff
	v_add_co_ci_u32_e64 v6, null, 0, v6, s0
	v_add_co_u32 v5, s0, 0, v9
	s_wait_alu 0xf1ff
	s_delay_alu instid0(VALU_DEP_2)
	v_add_co_ci_u32_e64 v6, null, v10, v6, s0
; %bb.128:
	s_wait_alu 0xfffe
	s_or_b32 exec_lo, exec_lo, s4
	v_mov_b32_dpp v11, v9 row_shr:2 row_mask:0xf bank_mask:0xf
	s_delay_alu instid0(VALU_DEP_2)
	v_mov_b32_dpp v10, v6 row_shr:2 row_mask:0xf bank_mask:0xf
	s_and_saveexec_b32 s0, vcc_lo
; %bb.129:
	s_delay_alu instid0(VALU_DEP_2) | instskip(SKIP_2) | instid1(VALU_DEP_2)
	v_add_co_u32 v9, vcc_lo, v5, v11
	s_wait_alu 0xfffd
	v_add_co_ci_u32_e64 v6, null, 0, v6, vcc_lo
	v_add_co_u32 v5, vcc_lo, 0, v9
	s_wait_alu 0xfffd
	s_delay_alu instid0(VALU_DEP_2)
	v_add_co_ci_u32_e64 v6, null, v10, v6, vcc_lo
; %bb.130:
	s_wait_alu 0xfffe
	s_or_b32 exec_lo, exec_lo, s0
	v_mov_b32_dpp v11, v9 row_shr:4 row_mask:0xf bank_mask:0xf
	s_delay_alu instid0(VALU_DEP_2)
	v_mov_b32_dpp v10, v6 row_shr:4 row_mask:0xf bank_mask:0xf
	s_and_saveexec_b32 s0, s1
; %bb.131:
	s_delay_alu instid0(VALU_DEP_2) | instskip(SKIP_2) | instid1(VALU_DEP_2)
	v_add_co_u32 v9, vcc_lo, v5, v11
	s_wait_alu 0xfffd
	v_add_co_ci_u32_e64 v6, null, 0, v6, vcc_lo
	v_add_co_u32 v5, vcc_lo, 0, v9
	s_wait_alu 0xfffd
	s_delay_alu instid0(VALU_DEP_2)
	v_add_co_ci_u32_e64 v6, null, v10, v6, vcc_lo
; %bb.132:
	s_wait_alu 0xfffe
	s_or_b32 exec_lo, exec_lo, s0
	v_mov_b32_dpp v10, v9 row_shr:8 row_mask:0xf bank_mask:0xf
	s_delay_alu instid0(VALU_DEP_2)
	v_mov_b32_dpp v9, v6 row_shr:8 row_mask:0xf bank_mask:0xf
	s_and_saveexec_b32 s0, s3
; %bb.133:
	s_delay_alu instid0(VALU_DEP_2) | instskip(SKIP_2) | instid1(VALU_DEP_2)
	v_add_co_u32 v5, vcc_lo, v5, v10
	s_wait_alu 0xfffd
	v_add_co_ci_u32_e64 v6, null, 0, v6, vcc_lo
	v_add_co_u32 v5, vcc_lo, v5, 0
	s_wait_alu 0xfffd
	s_delay_alu instid0(VALU_DEP_2)
	v_add_co_ci_u32_e64 v6, null, v6, v9, vcc_lo
; %bb.134:
	s_wait_alu 0xfffe
	s_or_b32 exec_lo, exec_lo, s0
	ds_store_b64 v8, v[5:6]
.LBB530_135:
	s_wait_alu 0xfffe
	s_or_b32 exec_lo, exec_lo, s5
	v_mov_b32_e32 v9, 0
	v_mov_b32_e32 v10, 0
	s_mov_b32 s0, exec_lo
	s_wait_loadcnt_dscnt 0x0
	s_barrier_signal -1
	s_barrier_wait -1
	global_inv scope:SCOPE_SE
	v_cmpx_lt_u32_e32 31, v0
; %bb.136:
	v_lshl_add_u32 v5, v7, 3, -8
	ds_load_b64 v[9:10], v5
; %bb.137:
	s_wait_alu 0xfffe
	s_or_b32 exec_lo, exec_lo, s0
	v_sub_co_u32 v5, vcc_lo, v36, 1
	v_mov_b32_e32 v8, 0
	s_delay_alu instid0(VALU_DEP_2) | instskip(SKIP_1) | instid1(VALU_DEP_1)
	v_cmp_gt_i32_e64 s0, 0, v5
	s_wait_alu 0xf1ff
	v_cndmask_b32_e64 v5, v5, v36, s0
	s_wait_dscnt 0x0
	v_add_co_u32 v6, s0, v9, v19
	s_wait_alu 0xf1ff
	v_add_co_ci_u32_e64 v7, null, v10, v20, s0
	v_lshlrev_b32_e32 v5, 2, v5
	ds_bpermute_b32 v11, v5, v6
	ds_bpermute_b32 v12, v5, v7
	ds_load_b64 v[5:6], v8 offset:88
	s_and_saveexec_b32 s0, s2
	s_cbranch_execz .LBB530_139
; %bb.138:
	s_add_nc_u64 s[4:5], s[26:27], 0x200
	s_wait_alu 0xfffe
	v_dual_mov_b32 v7, 2 :: v_dual_mov_b32 v20, s5
	v_mov_b32_e32 v19, s4
	s_wait_dscnt 0x0
	;;#ASMSTART
	global_store_b128 v[19:20], v[5:8] off scope:SCOPE_DEV	
s_wait_storecnt 0x0
	;;#ASMEND
.LBB530_139:
	s_wait_alu 0xfffe
	s_or_b32 exec_lo, exec_lo, s0
	s_wait_dscnt 0x1
	s_wait_alu 0xfffd
	v_dual_cndmask_b32 v10, v12, v10 :: v_dual_cndmask_b32 v9, v11, v9
	v_mov_b32_e32 v7, 0
	v_mov_b32_e32 v8, 0
	s_wait_loadcnt_dscnt 0x0
	s_delay_alu instid0(VALU_DEP_3)
	v_cndmask_b32_e64 v42, v10, 0, s2
	v_cndmask_b32_e64 v41, v9, 0, s2
	s_barrier_signal -1
	s_barrier_wait -1
	global_inv scope:SCOPE_SE
.LBB530_140:
	s_delay_alu instid0(VALU_DEP_2) | instskip(SKIP_1) | instid1(VALU_DEP_2)
	v_add_co_u32 v51, vcc_lo, v41, v28
	s_wait_alu 0xfffd
	v_add_co_ci_u32_e64 v52, null, 0, v42, vcc_lo
	v_lshlrev_b64_e32 v[9:10], 1, v[17:18]
	s_delay_alu instid0(VALU_DEP_3) | instskip(SKIP_1) | instid1(VALU_DEP_3)
	v_add_co_u32 v49, vcc_lo, v51, v27
	s_wait_alu 0xfffd
	v_add_co_ci_u32_e64 v50, null, 0, v52, vcc_lo
	v_lshrrev_b32_e32 v72, 16, v61
	s_delay_alu instid0(VALU_DEP_3) | instskip(SKIP_1) | instid1(VALU_DEP_3)
	v_add_co_u32 v47, vcc_lo, v49, v35
	s_wait_alu 0xfffd
	v_add_co_ci_u32_e64 v48, null, 0, v50, vcc_lo
	v_lshrrev_b32_e32 v73, 8, v61
	;; [unrolled: 5-line block ×8, first 2 shown]
	s_delay_alu instid0(VALU_DEP_3) | instskip(SKIP_1) | instid1(VALU_DEP_3)
	v_add_co_u32 v31, vcc_lo, v33, v30
	s_wait_alu 0xfffd
	v_add_co_ci_u32_e64 v32, null, 0, v34, vcc_lo
	s_mov_b32 s1, -1
	v_add_co_u32 v29, vcc_lo, v31, v29
	s_wait_alu 0xfffd
	v_add_co_ci_u32_e64 v30, null, 0, v32, vcc_lo
	s_delay_alu instid0(VALU_DEP_2) | instskip(SKIP_1) | instid1(VALU_DEP_2)
	v_add_co_u32 v27, vcc_lo, v29, v62
	s_wait_alu 0xfffd
	v_add_co_ci_u32_e64 v28, null, 0, v30, vcc_lo
	s_delay_alu instid0(VALU_DEP_2) | instskip(SKIP_1) | instid1(VALU_DEP_2)
	v_add_co_u32 v21, vcc_lo, v27, v67
	s_wait_alu 0xfffd
	v_add_co_ci_u32_e64 v22, null, 0, v28, vcc_lo
	s_wait_dscnt 0x0
	v_cmp_gt_u64_e32 vcc_lo, 0x181, v[5:6]
	v_add_co_u32 v25, s0, v21, v66
	s_wait_alu 0xf1ff
	v_add_co_ci_u32_e64 v26, null, 0, v22, s0
	v_and_b32_e32 v66, 1, v53
	s_delay_alu instid0(VALU_DEP_3) | instskip(SKIP_1) | instid1(VALU_DEP_3)
	v_add_co_u32 v23, s0, v25, v65
	s_wait_alu 0xf1ff
	v_add_co_ci_u32_e64 v24, null, 0, v26, s0
	s_and_b32 vcc_lo, exec_lo, vcc_lo
	v_add_co_u32 v19, s0, v23, v60
	s_wait_alu 0xf1ff
	v_add_co_ci_u32_e64 v20, null, 0, v24, s0
	s_delay_alu instid0(VALU_DEP_2) | instskip(SKIP_1) | instid1(VALU_DEP_2)
	v_add_co_u32 v11, s0, v19, v54
	s_wait_alu 0xf1ff
	v_add_co_ci_u32_e64 v12, null, 0, v20, s0
	v_cmp_eq_u32_e64 s0, 1, v66
	s_wait_alu 0xfffe
	s_cbranch_vccnz .LBB530_144
; %bb.141:
	s_and_b32 vcc_lo, exec_lo, s1
	s_wait_alu 0xfffe
	s_cbranch_vccnz .LBB530_181
.LBB530_142:
	s_and_b32 s0, s2, s19
	s_wait_alu 0xfffe
	s_and_saveexec_b32 s1, s0
	s_cbranch_execnz .LBB530_220
.LBB530_143:
	s_endpgm
.LBB530_144:
	v_add_co_u32 v53, vcc_lo, v7, v5
	s_wait_alu 0xfffd
	v_add_co_ci_u32_e64 v54, null, v8, v6, vcc_lo
	v_add_co_u32 v65, s1, s24, v9
	s_wait_alu 0xf1ff
	v_add_co_ci_u32_e64 v67, null, s25, v10, s1
	s_delay_alu instid0(VALU_DEP_3)
	v_cmp_lt_u64_e32 vcc_lo, v[41:42], v[53:54]
	s_or_b32 s1, s22, vcc_lo
	s_wait_alu 0xfffe
	s_and_b32 s1, s1, s0
	s_wait_alu 0xfffe
	s_and_saveexec_b32 s0, s1
	s_cbranch_execz .LBB530_146
; %bb.145:
	v_lshlrev_b64_e32 v[76:77], 1, v[41:42]
	s_delay_alu instid0(VALU_DEP_1) | instskip(SKIP_1) | instid1(VALU_DEP_2)
	v_add_co_u32 v76, vcc_lo, v65, v76
	s_wait_alu 0xfffd
	v_add_co_ci_u32_e64 v77, null, v67, v77, vcc_lo
	global_store_b16 v[76:77], v56, off
.LBB530_146:
	s_wait_alu 0xfffe
	s_or_b32 exec_lo, exec_lo, s0
	v_and_b32_e32 v42, 1, v75
	v_cmp_lt_u64_e32 vcc_lo, v[51:52], v[53:54]
	s_delay_alu instid0(VALU_DEP_2)
	v_cmp_eq_u32_e64 s0, 1, v42
	s_or_b32 s1, s22, vcc_lo
	s_wait_alu 0xfffe
	s_and_b32 s1, s1, s0
	s_wait_alu 0xfffe
	s_and_saveexec_b32 s0, s1
	s_cbranch_execz .LBB530_148
; %bb.147:
	v_lshlrev_b64_e32 v[76:77], 1, v[51:52]
	s_delay_alu instid0(VALU_DEP_1) | instskip(SKIP_1) | instid1(VALU_DEP_2)
	v_add_co_u32 v76, vcc_lo, v65, v76
	s_wait_alu 0xfffd
	v_add_co_ci_u32_e64 v77, null, v67, v77, vcc_lo
	global_store_d16_hi_b16 v[76:77], v56, off
.LBB530_148:
	s_wait_alu 0xfffe
	s_or_b32 exec_lo, exec_lo, s0
	v_and_b32_e32 v42, 1, v74
	v_cmp_lt_u64_e32 vcc_lo, v[49:50], v[53:54]
	s_delay_alu instid0(VALU_DEP_2)
	v_cmp_eq_u32_e64 s0, 1, v42
	s_or_b32 s1, s22, vcc_lo
	s_wait_alu 0xfffe
	s_and_b32 s1, s1, s0
	s_wait_alu 0xfffe
	s_and_saveexec_b32 s0, s1
	s_cbranch_execz .LBB530_150
; %bb.149:
	v_lshlrev_b64_e32 v[76:77], 1, v[49:50]
	s_delay_alu instid0(VALU_DEP_1) | instskip(SKIP_1) | instid1(VALU_DEP_2)
	v_add_co_u32 v76, vcc_lo, v65, v76
	s_wait_alu 0xfffd
	v_add_co_ci_u32_e64 v77, null, v67, v77, vcc_lo
	global_store_b16 v[76:77], v55, off
.LBB530_150:
	s_wait_alu 0xfffe
	s_or_b32 exec_lo, exec_lo, s0
	v_and_b32_e32 v42, 1, v64
	v_cmp_lt_u64_e32 vcc_lo, v[47:48], v[53:54]
	s_delay_alu instid0(VALU_DEP_2)
	v_cmp_eq_u32_e64 s0, 1, v42
	s_or_b32 s1, s22, vcc_lo
	s_wait_alu 0xfffe
	s_and_b32 s1, s1, s0
	s_wait_alu 0xfffe
	s_and_saveexec_b32 s0, s1
	s_cbranch_execz .LBB530_152
; %bb.151:
	v_lshlrev_b64_e32 v[76:77], 1, v[47:48]
	s_delay_alu instid0(VALU_DEP_1) | instskip(SKIP_1) | instid1(VALU_DEP_2)
	v_add_co_u32 v76, vcc_lo, v65, v76
	s_wait_alu 0xfffd
	v_add_co_ci_u32_e64 v77, null, v67, v77, vcc_lo
	global_store_b16 v[76:77], v1, off
.LBB530_152:
	s_wait_alu 0xfffe
	s_or_b32 exec_lo, exec_lo, s0
	v_and_b32_e32 v42, 1, v61
	v_cmp_lt_u64_e32 vcc_lo, v[45:46], v[53:54]
	s_delay_alu instid0(VALU_DEP_2)
	v_cmp_eq_u32_e64 s0, 1, v42
	s_or_b32 s1, s22, vcc_lo
	s_wait_alu 0xfffe
	s_and_b32 s1, s1, s0
	s_wait_alu 0xfffe
	s_and_saveexec_b32 s0, s1
	s_cbranch_execz .LBB530_154
; %bb.153:
	v_lshlrev_b64_e32 v[76:77], 1, v[45:46]
	s_delay_alu instid0(VALU_DEP_1) | instskip(SKIP_1) | instid1(VALU_DEP_2)
	v_add_co_u32 v76, vcc_lo, v65, v76
	s_wait_alu 0xfffd
	v_add_co_ci_u32_e64 v77, null, v67, v77, vcc_lo
	global_store_d16_hi_b16 v[76:77], v1, off
.LBB530_154:
	s_wait_alu 0xfffe
	s_or_b32 exec_lo, exec_lo, s0
	v_and_b32_e32 v42, 1, v73
	v_cmp_lt_u64_e32 vcc_lo, v[43:44], v[53:54]
	s_delay_alu instid0(VALU_DEP_2)
	v_cmp_eq_u32_e64 s0, 1, v42
	s_or_b32 s1, s22, vcc_lo
	s_wait_alu 0xfffe
	s_and_b32 s1, s1, s0
	s_wait_alu 0xfffe
	s_and_saveexec_b32 s0, s1
	s_cbranch_execz .LBB530_156
; %bb.155:
	v_lshlrev_b64_e32 v[76:77], 1, v[43:44]
	s_delay_alu instid0(VALU_DEP_1) | instskip(SKIP_1) | instid1(VALU_DEP_2)
	v_add_co_u32 v76, vcc_lo, v65, v76
	s_wait_alu 0xfffd
	v_add_co_ci_u32_e64 v77, null, v67, v77, vcc_lo
	global_store_b16 v[76:77], v2, off
.LBB530_156:
	s_wait_alu 0xfffe
	s_or_b32 exec_lo, exec_lo, s0
	v_and_b32_e32 v42, 1, v72
	v_cmp_lt_u64_e32 vcc_lo, v[39:40], v[53:54]
	s_delay_alu instid0(VALU_DEP_2)
	v_cmp_eq_u32_e64 s0, 1, v42
	s_or_b32 s1, s22, vcc_lo
	s_wait_alu 0xfffe
	s_and_b32 s1, s1, s0
	s_wait_alu 0xfffe
	s_and_saveexec_b32 s0, s1
	s_cbranch_execz .LBB530_158
; %bb.157:
	v_lshlrev_b64_e32 v[76:77], 1, v[39:40]
	s_delay_alu instid0(VALU_DEP_1) | instskip(SKIP_1) | instid1(VALU_DEP_2)
	v_add_co_u32 v76, vcc_lo, v65, v76
	s_wait_alu 0xfffd
	v_add_co_ci_u32_e64 v77, null, v67, v77, vcc_lo
	global_store_d16_hi_b16 v[76:77], v2, off
.LBB530_158:
	;; [unrolled: 40-line block ×7, first 2 shown]
	s_wait_alu 0xfffe
	s_or_b32 exec_lo, exec_lo, s0
	v_cmp_lt_u64_e32 vcc_lo, v[11:12], v[53:54]
	s_or_b32 s0, s22, vcc_lo
	s_wait_alu 0xfffe
	s_and_b32 s1, s0, s23
	s_wait_alu 0xfffe
	s_and_saveexec_b32 s0, s1
	s_cbranch_execz .LBB530_180
; %bb.179:
	v_lshlrev_b64_e32 v[52:53], 1, v[11:12]
	s_delay_alu instid0(VALU_DEP_1) | instskip(SKIP_1) | instid1(VALU_DEP_2)
	v_add_co_u32 v52, vcc_lo, v65, v52
	s_wait_alu 0xfffd
	v_add_co_ci_u32_e64 v53, null, v67, v53, vcc_lo
	global_store_b16 v[52:53], v16, off
.LBB530_180:
	s_wait_alu 0xfffe
	s_or_b32 exec_lo, exec_lo, s0
	s_branch .LBB530_142
.LBB530_181:
	s_mov_b32 s0, exec_lo
	v_cmpx_eq_u32_e32 1, v66
; %bb.182:
	v_sub_nc_u32_e32 v12, v41, v7
	s_delay_alu instid0(VALU_DEP_1)
	v_lshlrev_b32_e32 v12, 1, v12
	ds_store_b16 v12, v56
; %bb.183:
	s_wait_alu 0xfffe
	s_or_b32 exec_lo, exec_lo, s0
	v_and_b32_e32 v12, 1, v75
	s_mov_b32 s0, exec_lo
	s_delay_alu instid0(VALU_DEP_1)
	v_cmpx_eq_u32_e32 1, v12
; %bb.184:
	v_sub_nc_u32_e32 v12, v51, v7
	s_delay_alu instid0(VALU_DEP_1)
	v_lshlrev_b32_e32 v12, 1, v12
	ds_store_b16_d16_hi v12, v56
; %bb.185:
	s_wait_alu 0xfffe
	s_or_b32 exec_lo, exec_lo, s0
	v_and_b32_e32 v12, 1, v74
	s_mov_b32 s0, exec_lo
	s_delay_alu instid0(VALU_DEP_1)
	v_cmpx_eq_u32_e32 1, v12
; %bb.186:
	v_sub_nc_u32_e32 v12, v49, v7
	s_delay_alu instid0(VALU_DEP_1)
	v_lshlrev_b32_e32 v12, 1, v12
	ds_store_b16 v12, v55
; %bb.187:
	s_wait_alu 0xfffe
	s_or_b32 exec_lo, exec_lo, s0
	v_and_b32_e32 v12, 1, v64
	s_mov_b32 s0, exec_lo
	s_delay_alu instid0(VALU_DEP_1)
	v_cmpx_eq_u32_e32 1, v12
; %bb.188:
	v_sub_nc_u32_e32 v12, v47, v7
	s_delay_alu instid0(VALU_DEP_1)
	v_lshlrev_b32_e32 v12, 1, v12
	ds_store_b16 v12, v1
; %bb.189:
	s_wait_alu 0xfffe
	s_or_b32 exec_lo, exec_lo, s0
	v_and_b32_e32 v12, 1, v61
	s_mov_b32 s0, exec_lo
	s_delay_alu instid0(VALU_DEP_1)
	v_cmpx_eq_u32_e32 1, v12
; %bb.190:
	v_sub_nc_u32_e32 v12, v45, v7
	s_delay_alu instid0(VALU_DEP_1)
	v_lshlrev_b32_e32 v12, 1, v12
	ds_store_b16_d16_hi v12, v1
; %bb.191:
	s_wait_alu 0xfffe
	s_or_b32 exec_lo, exec_lo, s0
	v_and_b32_e32 v1, 1, v73
	s_mov_b32 s0, exec_lo
	s_delay_alu instid0(VALU_DEP_1)
	v_cmpx_eq_u32_e32 1, v1
; %bb.192:
	v_sub_nc_u32_e32 v1, v43, v7
	s_delay_alu instid0(VALU_DEP_1)
	v_lshlrev_b32_e32 v1, 1, v1
	ds_store_b16 v1, v2
; %bb.193:
	s_wait_alu 0xfffe
	s_or_b32 exec_lo, exec_lo, s0
	v_and_b32_e32 v1, 1, v72
	s_mov_b32 s0, exec_lo
	s_delay_alu instid0(VALU_DEP_1)
	v_cmpx_eq_u32_e32 1, v1
; %bb.194:
	v_sub_nc_u32_e32 v1, v39, v7
	s_delay_alu instid0(VALU_DEP_1)
	v_lshlrev_b32_e32 v1, 1, v1
	ds_store_b16_d16_hi v1, v2
	;; [unrolled: 24-line block ×7, first 2 shown]
; %bb.215:
	s_wait_alu 0xfffe
	s_or_b32 exec_lo, exec_lo, s0
	s_and_saveexec_b32 s0, s23
; %bb.216:
	v_sub_nc_u32_e32 v1, v11, v7
	s_delay_alu instid0(VALU_DEP_1)
	v_lshlrev_b32_e32 v1, 1, v1
	ds_store_b16 v1, v16
; %bb.217:
	s_wait_alu 0xfffe
	s_or_b32 exec_lo, exec_lo, s0
	v_lshlrev_b64_e32 v[11:12], 1, v[7:8]
	v_add_co_u32 v4, vcc_lo, s24, v9
	v_mov_b32_e32 v1, 0
	s_wait_alu 0xfffd
	v_add_co_ci_u32_e64 v9, null, s25, v10, vcc_lo
	s_delay_alu instid0(VALU_DEP_3) | instskip(NEXT) | instid1(VALU_DEP_3)
	v_add_co_u32 v4, vcc_lo, v4, v11
	v_dual_mov_b32 v3, v1 :: v_dual_mov_b32 v2, v0
	s_wait_alu 0xfffd
	s_delay_alu instid0(VALU_DEP_3)
	v_add_co_ci_u32_e64 v9, null, v9, v12, vcc_lo
	v_add_nc_u32_e32 v0, 0x180, v0
	s_mov_b32 s1, 0
	s_wait_storecnt 0x0
	s_wait_loadcnt_dscnt 0x0
	s_barrier_signal -1
	s_barrier_wait -1
	global_inv scope:SCOPE_SE
.LBB530_218:                            ; =>This Inner Loop Header: Depth=1
	v_lshlrev_b32_e32 v10, 1, v2
	v_cmp_le_u64_e32 vcc_lo, v[5:6], v[0:1]
	ds_load_u16 v12, v10
	v_lshlrev_b64_e32 v[10:11], 1, v[2:3]
	v_dual_mov_b32 v3, v1 :: v_dual_mov_b32 v2, v0
	v_add_nc_u32_e32 v0, 0x180, v0
	s_wait_alu 0xfffe
	s_or_b32 s1, vcc_lo, s1
	s_delay_alu instid0(VALU_DEP_3)
	v_add_co_u32 v10, s0, v4, v10
	s_wait_alu 0xf1ff
	v_add_co_ci_u32_e64 v11, null, v9, v11, s0
	s_wait_dscnt 0x0
	global_store_b16 v[10:11], v12, off
	s_wait_alu 0xfffe
	s_and_not1_b32 exec_lo, exec_lo, s1
	s_cbranch_execnz .LBB530_218
; %bb.219:
	s_or_b32 exec_lo, exec_lo, s1
	s_and_b32 s0, s2, s19
	s_wait_alu 0xfffe
	s_and_saveexec_b32 s1, s0
	s_cbranch_execz .LBB530_143
.LBB530_220:
	v_add_co_u32 v0, vcc_lo, v7, v5
	s_wait_alu 0xfffd
	v_add_co_ci_u32_e64 v1, null, v8, v6, vcc_lo
	v_mov_b32_e32 v2, 0
	s_delay_alu instid0(VALU_DEP_3) | instskip(SKIP_1) | instid1(VALU_DEP_3)
	v_add_co_u32 v0, vcc_lo, v0, v17
	s_wait_alu 0xfffd
	v_add_co_ci_u32_e64 v1, null, v1, v18, vcc_lo
	global_store_b64 v2, v[0:1], s[20:21]
	s_endpgm
	.section	.rodata,"a",@progbits
	.p2align	6, 0x0
	.amdhsa_kernel _ZN7rocprim17ROCPRIM_400000_NS6detail17trampoline_kernelINS0_14default_configENS1_25partition_config_selectorILNS1_17partition_subalgoE6EsNS0_10empty_typeEbEEZZNS1_14partition_implILS5_6ELb0ES3_mN6thrust23THRUST_200600_302600_NS6detail15normal_iteratorINSA_10device_ptrIsEEEEPS6_SG_NS0_5tupleIJSF_S6_EEENSH_IJSG_SG_EEES6_PlJNSB_9not_fun_tINSB_14equal_to_valueIsEEEEEEE10hipError_tPvRmT3_T4_T5_T6_T7_T9_mT8_P12ihipStream_tbDpT10_ENKUlT_T0_E_clISt17integral_constantIbLb0EES17_IbLb1EEEEDaS13_S14_EUlS13_E_NS1_11comp_targetILNS1_3genE10ELNS1_11target_archE1200ELNS1_3gpuE4ELNS1_3repE0EEENS1_30default_config_static_selectorELNS0_4arch9wavefront6targetE0EEEvT1_
		.amdhsa_group_segment_fixed_size 13840
		.amdhsa_private_segment_fixed_size 0
		.amdhsa_kernarg_size 128
		.amdhsa_user_sgpr_count 2
		.amdhsa_user_sgpr_dispatch_ptr 0
		.amdhsa_user_sgpr_queue_ptr 0
		.amdhsa_user_sgpr_kernarg_segment_ptr 1
		.amdhsa_user_sgpr_dispatch_id 0
		.amdhsa_user_sgpr_private_segment_size 0
		.amdhsa_wavefront_size32 1
		.amdhsa_uses_dynamic_stack 0
		.amdhsa_enable_private_segment 0
		.amdhsa_system_sgpr_workgroup_id_x 1
		.amdhsa_system_sgpr_workgroup_id_y 0
		.amdhsa_system_sgpr_workgroup_id_z 0
		.amdhsa_system_sgpr_workgroup_info 0
		.amdhsa_system_vgpr_workitem_id 0
		.amdhsa_next_free_vgpr 78
		.amdhsa_next_free_sgpr 31
		.amdhsa_reserve_vcc 1
		.amdhsa_float_round_mode_32 0
		.amdhsa_float_round_mode_16_64 0
		.amdhsa_float_denorm_mode_32 3
		.amdhsa_float_denorm_mode_16_64 3
		.amdhsa_fp16_overflow 0
		.amdhsa_workgroup_processor_mode 1
		.amdhsa_memory_ordered 1
		.amdhsa_forward_progress 1
		.amdhsa_inst_pref_size 93
		.amdhsa_round_robin_scheduling 0
		.amdhsa_exception_fp_ieee_invalid_op 0
		.amdhsa_exception_fp_denorm_src 0
		.amdhsa_exception_fp_ieee_div_zero 0
		.amdhsa_exception_fp_ieee_overflow 0
		.amdhsa_exception_fp_ieee_underflow 0
		.amdhsa_exception_fp_ieee_inexact 0
		.amdhsa_exception_int_div_zero 0
	.end_amdhsa_kernel
	.section	.text._ZN7rocprim17ROCPRIM_400000_NS6detail17trampoline_kernelINS0_14default_configENS1_25partition_config_selectorILNS1_17partition_subalgoE6EsNS0_10empty_typeEbEEZZNS1_14partition_implILS5_6ELb0ES3_mN6thrust23THRUST_200600_302600_NS6detail15normal_iteratorINSA_10device_ptrIsEEEEPS6_SG_NS0_5tupleIJSF_S6_EEENSH_IJSG_SG_EEES6_PlJNSB_9not_fun_tINSB_14equal_to_valueIsEEEEEEE10hipError_tPvRmT3_T4_T5_T6_T7_T9_mT8_P12ihipStream_tbDpT10_ENKUlT_T0_E_clISt17integral_constantIbLb0EES17_IbLb1EEEEDaS13_S14_EUlS13_E_NS1_11comp_targetILNS1_3genE10ELNS1_11target_archE1200ELNS1_3gpuE4ELNS1_3repE0EEENS1_30default_config_static_selectorELNS0_4arch9wavefront6targetE0EEEvT1_,"axG",@progbits,_ZN7rocprim17ROCPRIM_400000_NS6detail17trampoline_kernelINS0_14default_configENS1_25partition_config_selectorILNS1_17partition_subalgoE6EsNS0_10empty_typeEbEEZZNS1_14partition_implILS5_6ELb0ES3_mN6thrust23THRUST_200600_302600_NS6detail15normal_iteratorINSA_10device_ptrIsEEEEPS6_SG_NS0_5tupleIJSF_S6_EEENSH_IJSG_SG_EEES6_PlJNSB_9not_fun_tINSB_14equal_to_valueIsEEEEEEE10hipError_tPvRmT3_T4_T5_T6_T7_T9_mT8_P12ihipStream_tbDpT10_ENKUlT_T0_E_clISt17integral_constantIbLb0EES17_IbLb1EEEEDaS13_S14_EUlS13_E_NS1_11comp_targetILNS1_3genE10ELNS1_11target_archE1200ELNS1_3gpuE4ELNS1_3repE0EEENS1_30default_config_static_selectorELNS0_4arch9wavefront6targetE0EEEvT1_,comdat
.Lfunc_end530:
	.size	_ZN7rocprim17ROCPRIM_400000_NS6detail17trampoline_kernelINS0_14default_configENS1_25partition_config_selectorILNS1_17partition_subalgoE6EsNS0_10empty_typeEbEEZZNS1_14partition_implILS5_6ELb0ES3_mN6thrust23THRUST_200600_302600_NS6detail15normal_iteratorINSA_10device_ptrIsEEEEPS6_SG_NS0_5tupleIJSF_S6_EEENSH_IJSG_SG_EEES6_PlJNSB_9not_fun_tINSB_14equal_to_valueIsEEEEEEE10hipError_tPvRmT3_T4_T5_T6_T7_T9_mT8_P12ihipStream_tbDpT10_ENKUlT_T0_E_clISt17integral_constantIbLb0EES17_IbLb1EEEEDaS13_S14_EUlS13_E_NS1_11comp_targetILNS1_3genE10ELNS1_11target_archE1200ELNS1_3gpuE4ELNS1_3repE0EEENS1_30default_config_static_selectorELNS0_4arch9wavefront6targetE0EEEvT1_, .Lfunc_end530-_ZN7rocprim17ROCPRIM_400000_NS6detail17trampoline_kernelINS0_14default_configENS1_25partition_config_selectorILNS1_17partition_subalgoE6EsNS0_10empty_typeEbEEZZNS1_14partition_implILS5_6ELb0ES3_mN6thrust23THRUST_200600_302600_NS6detail15normal_iteratorINSA_10device_ptrIsEEEEPS6_SG_NS0_5tupleIJSF_S6_EEENSH_IJSG_SG_EEES6_PlJNSB_9not_fun_tINSB_14equal_to_valueIsEEEEEEE10hipError_tPvRmT3_T4_T5_T6_T7_T9_mT8_P12ihipStream_tbDpT10_ENKUlT_T0_E_clISt17integral_constantIbLb0EES17_IbLb1EEEEDaS13_S14_EUlS13_E_NS1_11comp_targetILNS1_3genE10ELNS1_11target_archE1200ELNS1_3gpuE4ELNS1_3repE0EEENS1_30default_config_static_selectorELNS0_4arch9wavefront6targetE0EEEvT1_
                                        ; -- End function
	.set _ZN7rocprim17ROCPRIM_400000_NS6detail17trampoline_kernelINS0_14default_configENS1_25partition_config_selectorILNS1_17partition_subalgoE6EsNS0_10empty_typeEbEEZZNS1_14partition_implILS5_6ELb0ES3_mN6thrust23THRUST_200600_302600_NS6detail15normal_iteratorINSA_10device_ptrIsEEEEPS6_SG_NS0_5tupleIJSF_S6_EEENSH_IJSG_SG_EEES6_PlJNSB_9not_fun_tINSB_14equal_to_valueIsEEEEEEE10hipError_tPvRmT3_T4_T5_T6_T7_T9_mT8_P12ihipStream_tbDpT10_ENKUlT_T0_E_clISt17integral_constantIbLb0EES17_IbLb1EEEEDaS13_S14_EUlS13_E_NS1_11comp_targetILNS1_3genE10ELNS1_11target_archE1200ELNS1_3gpuE4ELNS1_3repE0EEENS1_30default_config_static_selectorELNS0_4arch9wavefront6targetE0EEEvT1_.num_vgpr, 78
	.set _ZN7rocprim17ROCPRIM_400000_NS6detail17trampoline_kernelINS0_14default_configENS1_25partition_config_selectorILNS1_17partition_subalgoE6EsNS0_10empty_typeEbEEZZNS1_14partition_implILS5_6ELb0ES3_mN6thrust23THRUST_200600_302600_NS6detail15normal_iteratorINSA_10device_ptrIsEEEEPS6_SG_NS0_5tupleIJSF_S6_EEENSH_IJSG_SG_EEES6_PlJNSB_9not_fun_tINSB_14equal_to_valueIsEEEEEEE10hipError_tPvRmT3_T4_T5_T6_T7_T9_mT8_P12ihipStream_tbDpT10_ENKUlT_T0_E_clISt17integral_constantIbLb0EES17_IbLb1EEEEDaS13_S14_EUlS13_E_NS1_11comp_targetILNS1_3genE10ELNS1_11target_archE1200ELNS1_3gpuE4ELNS1_3repE0EEENS1_30default_config_static_selectorELNS0_4arch9wavefront6targetE0EEEvT1_.num_agpr, 0
	.set _ZN7rocprim17ROCPRIM_400000_NS6detail17trampoline_kernelINS0_14default_configENS1_25partition_config_selectorILNS1_17partition_subalgoE6EsNS0_10empty_typeEbEEZZNS1_14partition_implILS5_6ELb0ES3_mN6thrust23THRUST_200600_302600_NS6detail15normal_iteratorINSA_10device_ptrIsEEEEPS6_SG_NS0_5tupleIJSF_S6_EEENSH_IJSG_SG_EEES6_PlJNSB_9not_fun_tINSB_14equal_to_valueIsEEEEEEE10hipError_tPvRmT3_T4_T5_T6_T7_T9_mT8_P12ihipStream_tbDpT10_ENKUlT_T0_E_clISt17integral_constantIbLb0EES17_IbLb1EEEEDaS13_S14_EUlS13_E_NS1_11comp_targetILNS1_3genE10ELNS1_11target_archE1200ELNS1_3gpuE4ELNS1_3repE0EEENS1_30default_config_static_selectorELNS0_4arch9wavefront6targetE0EEEvT1_.numbered_sgpr, 31
	.set _ZN7rocprim17ROCPRIM_400000_NS6detail17trampoline_kernelINS0_14default_configENS1_25partition_config_selectorILNS1_17partition_subalgoE6EsNS0_10empty_typeEbEEZZNS1_14partition_implILS5_6ELb0ES3_mN6thrust23THRUST_200600_302600_NS6detail15normal_iteratorINSA_10device_ptrIsEEEEPS6_SG_NS0_5tupleIJSF_S6_EEENSH_IJSG_SG_EEES6_PlJNSB_9not_fun_tINSB_14equal_to_valueIsEEEEEEE10hipError_tPvRmT3_T4_T5_T6_T7_T9_mT8_P12ihipStream_tbDpT10_ENKUlT_T0_E_clISt17integral_constantIbLb0EES17_IbLb1EEEEDaS13_S14_EUlS13_E_NS1_11comp_targetILNS1_3genE10ELNS1_11target_archE1200ELNS1_3gpuE4ELNS1_3repE0EEENS1_30default_config_static_selectorELNS0_4arch9wavefront6targetE0EEEvT1_.num_named_barrier, 0
	.set _ZN7rocprim17ROCPRIM_400000_NS6detail17trampoline_kernelINS0_14default_configENS1_25partition_config_selectorILNS1_17partition_subalgoE6EsNS0_10empty_typeEbEEZZNS1_14partition_implILS5_6ELb0ES3_mN6thrust23THRUST_200600_302600_NS6detail15normal_iteratorINSA_10device_ptrIsEEEEPS6_SG_NS0_5tupleIJSF_S6_EEENSH_IJSG_SG_EEES6_PlJNSB_9not_fun_tINSB_14equal_to_valueIsEEEEEEE10hipError_tPvRmT3_T4_T5_T6_T7_T9_mT8_P12ihipStream_tbDpT10_ENKUlT_T0_E_clISt17integral_constantIbLb0EES17_IbLb1EEEEDaS13_S14_EUlS13_E_NS1_11comp_targetILNS1_3genE10ELNS1_11target_archE1200ELNS1_3gpuE4ELNS1_3repE0EEENS1_30default_config_static_selectorELNS0_4arch9wavefront6targetE0EEEvT1_.private_seg_size, 0
	.set _ZN7rocprim17ROCPRIM_400000_NS6detail17trampoline_kernelINS0_14default_configENS1_25partition_config_selectorILNS1_17partition_subalgoE6EsNS0_10empty_typeEbEEZZNS1_14partition_implILS5_6ELb0ES3_mN6thrust23THRUST_200600_302600_NS6detail15normal_iteratorINSA_10device_ptrIsEEEEPS6_SG_NS0_5tupleIJSF_S6_EEENSH_IJSG_SG_EEES6_PlJNSB_9not_fun_tINSB_14equal_to_valueIsEEEEEEE10hipError_tPvRmT3_T4_T5_T6_T7_T9_mT8_P12ihipStream_tbDpT10_ENKUlT_T0_E_clISt17integral_constantIbLb0EES17_IbLb1EEEEDaS13_S14_EUlS13_E_NS1_11comp_targetILNS1_3genE10ELNS1_11target_archE1200ELNS1_3gpuE4ELNS1_3repE0EEENS1_30default_config_static_selectorELNS0_4arch9wavefront6targetE0EEEvT1_.uses_vcc, 1
	.set _ZN7rocprim17ROCPRIM_400000_NS6detail17trampoline_kernelINS0_14default_configENS1_25partition_config_selectorILNS1_17partition_subalgoE6EsNS0_10empty_typeEbEEZZNS1_14partition_implILS5_6ELb0ES3_mN6thrust23THRUST_200600_302600_NS6detail15normal_iteratorINSA_10device_ptrIsEEEEPS6_SG_NS0_5tupleIJSF_S6_EEENSH_IJSG_SG_EEES6_PlJNSB_9not_fun_tINSB_14equal_to_valueIsEEEEEEE10hipError_tPvRmT3_T4_T5_T6_T7_T9_mT8_P12ihipStream_tbDpT10_ENKUlT_T0_E_clISt17integral_constantIbLb0EES17_IbLb1EEEEDaS13_S14_EUlS13_E_NS1_11comp_targetILNS1_3genE10ELNS1_11target_archE1200ELNS1_3gpuE4ELNS1_3repE0EEENS1_30default_config_static_selectorELNS0_4arch9wavefront6targetE0EEEvT1_.uses_flat_scratch, 1
	.set _ZN7rocprim17ROCPRIM_400000_NS6detail17trampoline_kernelINS0_14default_configENS1_25partition_config_selectorILNS1_17partition_subalgoE6EsNS0_10empty_typeEbEEZZNS1_14partition_implILS5_6ELb0ES3_mN6thrust23THRUST_200600_302600_NS6detail15normal_iteratorINSA_10device_ptrIsEEEEPS6_SG_NS0_5tupleIJSF_S6_EEENSH_IJSG_SG_EEES6_PlJNSB_9not_fun_tINSB_14equal_to_valueIsEEEEEEE10hipError_tPvRmT3_T4_T5_T6_T7_T9_mT8_P12ihipStream_tbDpT10_ENKUlT_T0_E_clISt17integral_constantIbLb0EES17_IbLb1EEEEDaS13_S14_EUlS13_E_NS1_11comp_targetILNS1_3genE10ELNS1_11target_archE1200ELNS1_3gpuE4ELNS1_3repE0EEENS1_30default_config_static_selectorELNS0_4arch9wavefront6targetE0EEEvT1_.has_dyn_sized_stack, 0
	.set _ZN7rocprim17ROCPRIM_400000_NS6detail17trampoline_kernelINS0_14default_configENS1_25partition_config_selectorILNS1_17partition_subalgoE6EsNS0_10empty_typeEbEEZZNS1_14partition_implILS5_6ELb0ES3_mN6thrust23THRUST_200600_302600_NS6detail15normal_iteratorINSA_10device_ptrIsEEEEPS6_SG_NS0_5tupleIJSF_S6_EEENSH_IJSG_SG_EEES6_PlJNSB_9not_fun_tINSB_14equal_to_valueIsEEEEEEE10hipError_tPvRmT3_T4_T5_T6_T7_T9_mT8_P12ihipStream_tbDpT10_ENKUlT_T0_E_clISt17integral_constantIbLb0EES17_IbLb1EEEEDaS13_S14_EUlS13_E_NS1_11comp_targetILNS1_3genE10ELNS1_11target_archE1200ELNS1_3gpuE4ELNS1_3repE0EEENS1_30default_config_static_selectorELNS0_4arch9wavefront6targetE0EEEvT1_.has_recursion, 0
	.set _ZN7rocprim17ROCPRIM_400000_NS6detail17trampoline_kernelINS0_14default_configENS1_25partition_config_selectorILNS1_17partition_subalgoE6EsNS0_10empty_typeEbEEZZNS1_14partition_implILS5_6ELb0ES3_mN6thrust23THRUST_200600_302600_NS6detail15normal_iteratorINSA_10device_ptrIsEEEEPS6_SG_NS0_5tupleIJSF_S6_EEENSH_IJSG_SG_EEES6_PlJNSB_9not_fun_tINSB_14equal_to_valueIsEEEEEEE10hipError_tPvRmT3_T4_T5_T6_T7_T9_mT8_P12ihipStream_tbDpT10_ENKUlT_T0_E_clISt17integral_constantIbLb0EES17_IbLb1EEEEDaS13_S14_EUlS13_E_NS1_11comp_targetILNS1_3genE10ELNS1_11target_archE1200ELNS1_3gpuE4ELNS1_3repE0EEENS1_30default_config_static_selectorELNS0_4arch9wavefront6targetE0EEEvT1_.has_indirect_call, 0
	.section	.AMDGPU.csdata,"",@progbits
; Kernel info:
; codeLenInByte = 11848
; TotalNumSgprs: 33
; NumVgprs: 78
; ScratchSize: 0
; MemoryBound: 0
; FloatMode: 240
; IeeeMode: 1
; LDSByteSize: 13840 bytes/workgroup (compile time only)
; SGPRBlocks: 0
; VGPRBlocks: 9
; NumSGPRsForWavesPerEU: 33
; NumVGPRsForWavesPerEU: 78
; Occupancy: 15
; WaveLimiterHint : 1
; COMPUTE_PGM_RSRC2:SCRATCH_EN: 0
; COMPUTE_PGM_RSRC2:USER_SGPR: 2
; COMPUTE_PGM_RSRC2:TRAP_HANDLER: 0
; COMPUTE_PGM_RSRC2:TGID_X_EN: 1
; COMPUTE_PGM_RSRC2:TGID_Y_EN: 0
; COMPUTE_PGM_RSRC2:TGID_Z_EN: 0
; COMPUTE_PGM_RSRC2:TIDIG_COMP_CNT: 0
	.section	.text._ZN7rocprim17ROCPRIM_400000_NS6detail17trampoline_kernelINS0_14default_configENS1_25partition_config_selectorILNS1_17partition_subalgoE6EsNS0_10empty_typeEbEEZZNS1_14partition_implILS5_6ELb0ES3_mN6thrust23THRUST_200600_302600_NS6detail15normal_iteratorINSA_10device_ptrIsEEEEPS6_SG_NS0_5tupleIJSF_S6_EEENSH_IJSG_SG_EEES6_PlJNSB_9not_fun_tINSB_14equal_to_valueIsEEEEEEE10hipError_tPvRmT3_T4_T5_T6_T7_T9_mT8_P12ihipStream_tbDpT10_ENKUlT_T0_E_clISt17integral_constantIbLb0EES17_IbLb1EEEEDaS13_S14_EUlS13_E_NS1_11comp_targetILNS1_3genE9ELNS1_11target_archE1100ELNS1_3gpuE3ELNS1_3repE0EEENS1_30default_config_static_selectorELNS0_4arch9wavefront6targetE0EEEvT1_,"axG",@progbits,_ZN7rocprim17ROCPRIM_400000_NS6detail17trampoline_kernelINS0_14default_configENS1_25partition_config_selectorILNS1_17partition_subalgoE6EsNS0_10empty_typeEbEEZZNS1_14partition_implILS5_6ELb0ES3_mN6thrust23THRUST_200600_302600_NS6detail15normal_iteratorINSA_10device_ptrIsEEEEPS6_SG_NS0_5tupleIJSF_S6_EEENSH_IJSG_SG_EEES6_PlJNSB_9not_fun_tINSB_14equal_to_valueIsEEEEEEE10hipError_tPvRmT3_T4_T5_T6_T7_T9_mT8_P12ihipStream_tbDpT10_ENKUlT_T0_E_clISt17integral_constantIbLb0EES17_IbLb1EEEEDaS13_S14_EUlS13_E_NS1_11comp_targetILNS1_3genE9ELNS1_11target_archE1100ELNS1_3gpuE3ELNS1_3repE0EEENS1_30default_config_static_selectorELNS0_4arch9wavefront6targetE0EEEvT1_,comdat
	.protected	_ZN7rocprim17ROCPRIM_400000_NS6detail17trampoline_kernelINS0_14default_configENS1_25partition_config_selectorILNS1_17partition_subalgoE6EsNS0_10empty_typeEbEEZZNS1_14partition_implILS5_6ELb0ES3_mN6thrust23THRUST_200600_302600_NS6detail15normal_iteratorINSA_10device_ptrIsEEEEPS6_SG_NS0_5tupleIJSF_S6_EEENSH_IJSG_SG_EEES6_PlJNSB_9not_fun_tINSB_14equal_to_valueIsEEEEEEE10hipError_tPvRmT3_T4_T5_T6_T7_T9_mT8_P12ihipStream_tbDpT10_ENKUlT_T0_E_clISt17integral_constantIbLb0EES17_IbLb1EEEEDaS13_S14_EUlS13_E_NS1_11comp_targetILNS1_3genE9ELNS1_11target_archE1100ELNS1_3gpuE3ELNS1_3repE0EEENS1_30default_config_static_selectorELNS0_4arch9wavefront6targetE0EEEvT1_ ; -- Begin function _ZN7rocprim17ROCPRIM_400000_NS6detail17trampoline_kernelINS0_14default_configENS1_25partition_config_selectorILNS1_17partition_subalgoE6EsNS0_10empty_typeEbEEZZNS1_14partition_implILS5_6ELb0ES3_mN6thrust23THRUST_200600_302600_NS6detail15normal_iteratorINSA_10device_ptrIsEEEEPS6_SG_NS0_5tupleIJSF_S6_EEENSH_IJSG_SG_EEES6_PlJNSB_9not_fun_tINSB_14equal_to_valueIsEEEEEEE10hipError_tPvRmT3_T4_T5_T6_T7_T9_mT8_P12ihipStream_tbDpT10_ENKUlT_T0_E_clISt17integral_constantIbLb0EES17_IbLb1EEEEDaS13_S14_EUlS13_E_NS1_11comp_targetILNS1_3genE9ELNS1_11target_archE1100ELNS1_3gpuE3ELNS1_3repE0EEENS1_30default_config_static_selectorELNS0_4arch9wavefront6targetE0EEEvT1_
	.globl	_ZN7rocprim17ROCPRIM_400000_NS6detail17trampoline_kernelINS0_14default_configENS1_25partition_config_selectorILNS1_17partition_subalgoE6EsNS0_10empty_typeEbEEZZNS1_14partition_implILS5_6ELb0ES3_mN6thrust23THRUST_200600_302600_NS6detail15normal_iteratorINSA_10device_ptrIsEEEEPS6_SG_NS0_5tupleIJSF_S6_EEENSH_IJSG_SG_EEES6_PlJNSB_9not_fun_tINSB_14equal_to_valueIsEEEEEEE10hipError_tPvRmT3_T4_T5_T6_T7_T9_mT8_P12ihipStream_tbDpT10_ENKUlT_T0_E_clISt17integral_constantIbLb0EES17_IbLb1EEEEDaS13_S14_EUlS13_E_NS1_11comp_targetILNS1_3genE9ELNS1_11target_archE1100ELNS1_3gpuE3ELNS1_3repE0EEENS1_30default_config_static_selectorELNS0_4arch9wavefront6targetE0EEEvT1_
	.p2align	8
	.type	_ZN7rocprim17ROCPRIM_400000_NS6detail17trampoline_kernelINS0_14default_configENS1_25partition_config_selectorILNS1_17partition_subalgoE6EsNS0_10empty_typeEbEEZZNS1_14partition_implILS5_6ELb0ES3_mN6thrust23THRUST_200600_302600_NS6detail15normal_iteratorINSA_10device_ptrIsEEEEPS6_SG_NS0_5tupleIJSF_S6_EEENSH_IJSG_SG_EEES6_PlJNSB_9not_fun_tINSB_14equal_to_valueIsEEEEEEE10hipError_tPvRmT3_T4_T5_T6_T7_T9_mT8_P12ihipStream_tbDpT10_ENKUlT_T0_E_clISt17integral_constantIbLb0EES17_IbLb1EEEEDaS13_S14_EUlS13_E_NS1_11comp_targetILNS1_3genE9ELNS1_11target_archE1100ELNS1_3gpuE3ELNS1_3repE0EEENS1_30default_config_static_selectorELNS0_4arch9wavefront6targetE0EEEvT1_,@function
_ZN7rocprim17ROCPRIM_400000_NS6detail17trampoline_kernelINS0_14default_configENS1_25partition_config_selectorILNS1_17partition_subalgoE6EsNS0_10empty_typeEbEEZZNS1_14partition_implILS5_6ELb0ES3_mN6thrust23THRUST_200600_302600_NS6detail15normal_iteratorINSA_10device_ptrIsEEEEPS6_SG_NS0_5tupleIJSF_S6_EEENSH_IJSG_SG_EEES6_PlJNSB_9not_fun_tINSB_14equal_to_valueIsEEEEEEE10hipError_tPvRmT3_T4_T5_T6_T7_T9_mT8_P12ihipStream_tbDpT10_ENKUlT_T0_E_clISt17integral_constantIbLb0EES17_IbLb1EEEEDaS13_S14_EUlS13_E_NS1_11comp_targetILNS1_3genE9ELNS1_11target_archE1100ELNS1_3gpuE3ELNS1_3repE0EEENS1_30default_config_static_selectorELNS0_4arch9wavefront6targetE0EEEvT1_: ; @_ZN7rocprim17ROCPRIM_400000_NS6detail17trampoline_kernelINS0_14default_configENS1_25partition_config_selectorILNS1_17partition_subalgoE6EsNS0_10empty_typeEbEEZZNS1_14partition_implILS5_6ELb0ES3_mN6thrust23THRUST_200600_302600_NS6detail15normal_iteratorINSA_10device_ptrIsEEEEPS6_SG_NS0_5tupleIJSF_S6_EEENSH_IJSG_SG_EEES6_PlJNSB_9not_fun_tINSB_14equal_to_valueIsEEEEEEE10hipError_tPvRmT3_T4_T5_T6_T7_T9_mT8_P12ihipStream_tbDpT10_ENKUlT_T0_E_clISt17integral_constantIbLb0EES17_IbLb1EEEEDaS13_S14_EUlS13_E_NS1_11comp_targetILNS1_3genE9ELNS1_11target_archE1100ELNS1_3gpuE3ELNS1_3repE0EEENS1_30default_config_static_selectorELNS0_4arch9wavefront6targetE0EEEvT1_
; %bb.0:
	.section	.rodata,"a",@progbits
	.p2align	6, 0x0
	.amdhsa_kernel _ZN7rocprim17ROCPRIM_400000_NS6detail17trampoline_kernelINS0_14default_configENS1_25partition_config_selectorILNS1_17partition_subalgoE6EsNS0_10empty_typeEbEEZZNS1_14partition_implILS5_6ELb0ES3_mN6thrust23THRUST_200600_302600_NS6detail15normal_iteratorINSA_10device_ptrIsEEEEPS6_SG_NS0_5tupleIJSF_S6_EEENSH_IJSG_SG_EEES6_PlJNSB_9not_fun_tINSB_14equal_to_valueIsEEEEEEE10hipError_tPvRmT3_T4_T5_T6_T7_T9_mT8_P12ihipStream_tbDpT10_ENKUlT_T0_E_clISt17integral_constantIbLb0EES17_IbLb1EEEEDaS13_S14_EUlS13_E_NS1_11comp_targetILNS1_3genE9ELNS1_11target_archE1100ELNS1_3gpuE3ELNS1_3repE0EEENS1_30default_config_static_selectorELNS0_4arch9wavefront6targetE0EEEvT1_
		.amdhsa_group_segment_fixed_size 0
		.amdhsa_private_segment_fixed_size 0
		.amdhsa_kernarg_size 128
		.amdhsa_user_sgpr_count 2
		.amdhsa_user_sgpr_dispatch_ptr 0
		.amdhsa_user_sgpr_queue_ptr 0
		.amdhsa_user_sgpr_kernarg_segment_ptr 1
		.amdhsa_user_sgpr_dispatch_id 0
		.amdhsa_user_sgpr_private_segment_size 0
		.amdhsa_wavefront_size32 1
		.amdhsa_uses_dynamic_stack 0
		.amdhsa_enable_private_segment 0
		.amdhsa_system_sgpr_workgroup_id_x 1
		.amdhsa_system_sgpr_workgroup_id_y 0
		.amdhsa_system_sgpr_workgroup_id_z 0
		.amdhsa_system_sgpr_workgroup_info 0
		.amdhsa_system_vgpr_workitem_id 0
		.amdhsa_next_free_vgpr 1
		.amdhsa_next_free_sgpr 1
		.amdhsa_reserve_vcc 0
		.amdhsa_float_round_mode_32 0
		.amdhsa_float_round_mode_16_64 0
		.amdhsa_float_denorm_mode_32 3
		.amdhsa_float_denorm_mode_16_64 3
		.amdhsa_fp16_overflow 0
		.amdhsa_workgroup_processor_mode 1
		.amdhsa_memory_ordered 1
		.amdhsa_forward_progress 1
		.amdhsa_inst_pref_size 0
		.amdhsa_round_robin_scheduling 0
		.amdhsa_exception_fp_ieee_invalid_op 0
		.amdhsa_exception_fp_denorm_src 0
		.amdhsa_exception_fp_ieee_div_zero 0
		.amdhsa_exception_fp_ieee_overflow 0
		.amdhsa_exception_fp_ieee_underflow 0
		.amdhsa_exception_fp_ieee_inexact 0
		.amdhsa_exception_int_div_zero 0
	.end_amdhsa_kernel
	.section	.text._ZN7rocprim17ROCPRIM_400000_NS6detail17trampoline_kernelINS0_14default_configENS1_25partition_config_selectorILNS1_17partition_subalgoE6EsNS0_10empty_typeEbEEZZNS1_14partition_implILS5_6ELb0ES3_mN6thrust23THRUST_200600_302600_NS6detail15normal_iteratorINSA_10device_ptrIsEEEEPS6_SG_NS0_5tupleIJSF_S6_EEENSH_IJSG_SG_EEES6_PlJNSB_9not_fun_tINSB_14equal_to_valueIsEEEEEEE10hipError_tPvRmT3_T4_T5_T6_T7_T9_mT8_P12ihipStream_tbDpT10_ENKUlT_T0_E_clISt17integral_constantIbLb0EES17_IbLb1EEEEDaS13_S14_EUlS13_E_NS1_11comp_targetILNS1_3genE9ELNS1_11target_archE1100ELNS1_3gpuE3ELNS1_3repE0EEENS1_30default_config_static_selectorELNS0_4arch9wavefront6targetE0EEEvT1_,"axG",@progbits,_ZN7rocprim17ROCPRIM_400000_NS6detail17trampoline_kernelINS0_14default_configENS1_25partition_config_selectorILNS1_17partition_subalgoE6EsNS0_10empty_typeEbEEZZNS1_14partition_implILS5_6ELb0ES3_mN6thrust23THRUST_200600_302600_NS6detail15normal_iteratorINSA_10device_ptrIsEEEEPS6_SG_NS0_5tupleIJSF_S6_EEENSH_IJSG_SG_EEES6_PlJNSB_9not_fun_tINSB_14equal_to_valueIsEEEEEEE10hipError_tPvRmT3_T4_T5_T6_T7_T9_mT8_P12ihipStream_tbDpT10_ENKUlT_T0_E_clISt17integral_constantIbLb0EES17_IbLb1EEEEDaS13_S14_EUlS13_E_NS1_11comp_targetILNS1_3genE9ELNS1_11target_archE1100ELNS1_3gpuE3ELNS1_3repE0EEENS1_30default_config_static_selectorELNS0_4arch9wavefront6targetE0EEEvT1_,comdat
.Lfunc_end531:
	.size	_ZN7rocprim17ROCPRIM_400000_NS6detail17trampoline_kernelINS0_14default_configENS1_25partition_config_selectorILNS1_17partition_subalgoE6EsNS0_10empty_typeEbEEZZNS1_14partition_implILS5_6ELb0ES3_mN6thrust23THRUST_200600_302600_NS6detail15normal_iteratorINSA_10device_ptrIsEEEEPS6_SG_NS0_5tupleIJSF_S6_EEENSH_IJSG_SG_EEES6_PlJNSB_9not_fun_tINSB_14equal_to_valueIsEEEEEEE10hipError_tPvRmT3_T4_T5_T6_T7_T9_mT8_P12ihipStream_tbDpT10_ENKUlT_T0_E_clISt17integral_constantIbLb0EES17_IbLb1EEEEDaS13_S14_EUlS13_E_NS1_11comp_targetILNS1_3genE9ELNS1_11target_archE1100ELNS1_3gpuE3ELNS1_3repE0EEENS1_30default_config_static_selectorELNS0_4arch9wavefront6targetE0EEEvT1_, .Lfunc_end531-_ZN7rocprim17ROCPRIM_400000_NS6detail17trampoline_kernelINS0_14default_configENS1_25partition_config_selectorILNS1_17partition_subalgoE6EsNS0_10empty_typeEbEEZZNS1_14partition_implILS5_6ELb0ES3_mN6thrust23THRUST_200600_302600_NS6detail15normal_iteratorINSA_10device_ptrIsEEEEPS6_SG_NS0_5tupleIJSF_S6_EEENSH_IJSG_SG_EEES6_PlJNSB_9not_fun_tINSB_14equal_to_valueIsEEEEEEE10hipError_tPvRmT3_T4_T5_T6_T7_T9_mT8_P12ihipStream_tbDpT10_ENKUlT_T0_E_clISt17integral_constantIbLb0EES17_IbLb1EEEEDaS13_S14_EUlS13_E_NS1_11comp_targetILNS1_3genE9ELNS1_11target_archE1100ELNS1_3gpuE3ELNS1_3repE0EEENS1_30default_config_static_selectorELNS0_4arch9wavefront6targetE0EEEvT1_
                                        ; -- End function
	.set _ZN7rocprim17ROCPRIM_400000_NS6detail17trampoline_kernelINS0_14default_configENS1_25partition_config_selectorILNS1_17partition_subalgoE6EsNS0_10empty_typeEbEEZZNS1_14partition_implILS5_6ELb0ES3_mN6thrust23THRUST_200600_302600_NS6detail15normal_iteratorINSA_10device_ptrIsEEEEPS6_SG_NS0_5tupleIJSF_S6_EEENSH_IJSG_SG_EEES6_PlJNSB_9not_fun_tINSB_14equal_to_valueIsEEEEEEE10hipError_tPvRmT3_T4_T5_T6_T7_T9_mT8_P12ihipStream_tbDpT10_ENKUlT_T0_E_clISt17integral_constantIbLb0EES17_IbLb1EEEEDaS13_S14_EUlS13_E_NS1_11comp_targetILNS1_3genE9ELNS1_11target_archE1100ELNS1_3gpuE3ELNS1_3repE0EEENS1_30default_config_static_selectorELNS0_4arch9wavefront6targetE0EEEvT1_.num_vgpr, 0
	.set _ZN7rocprim17ROCPRIM_400000_NS6detail17trampoline_kernelINS0_14default_configENS1_25partition_config_selectorILNS1_17partition_subalgoE6EsNS0_10empty_typeEbEEZZNS1_14partition_implILS5_6ELb0ES3_mN6thrust23THRUST_200600_302600_NS6detail15normal_iteratorINSA_10device_ptrIsEEEEPS6_SG_NS0_5tupleIJSF_S6_EEENSH_IJSG_SG_EEES6_PlJNSB_9not_fun_tINSB_14equal_to_valueIsEEEEEEE10hipError_tPvRmT3_T4_T5_T6_T7_T9_mT8_P12ihipStream_tbDpT10_ENKUlT_T0_E_clISt17integral_constantIbLb0EES17_IbLb1EEEEDaS13_S14_EUlS13_E_NS1_11comp_targetILNS1_3genE9ELNS1_11target_archE1100ELNS1_3gpuE3ELNS1_3repE0EEENS1_30default_config_static_selectorELNS0_4arch9wavefront6targetE0EEEvT1_.num_agpr, 0
	.set _ZN7rocprim17ROCPRIM_400000_NS6detail17trampoline_kernelINS0_14default_configENS1_25partition_config_selectorILNS1_17partition_subalgoE6EsNS0_10empty_typeEbEEZZNS1_14partition_implILS5_6ELb0ES3_mN6thrust23THRUST_200600_302600_NS6detail15normal_iteratorINSA_10device_ptrIsEEEEPS6_SG_NS0_5tupleIJSF_S6_EEENSH_IJSG_SG_EEES6_PlJNSB_9not_fun_tINSB_14equal_to_valueIsEEEEEEE10hipError_tPvRmT3_T4_T5_T6_T7_T9_mT8_P12ihipStream_tbDpT10_ENKUlT_T0_E_clISt17integral_constantIbLb0EES17_IbLb1EEEEDaS13_S14_EUlS13_E_NS1_11comp_targetILNS1_3genE9ELNS1_11target_archE1100ELNS1_3gpuE3ELNS1_3repE0EEENS1_30default_config_static_selectorELNS0_4arch9wavefront6targetE0EEEvT1_.numbered_sgpr, 0
	.set _ZN7rocprim17ROCPRIM_400000_NS6detail17trampoline_kernelINS0_14default_configENS1_25partition_config_selectorILNS1_17partition_subalgoE6EsNS0_10empty_typeEbEEZZNS1_14partition_implILS5_6ELb0ES3_mN6thrust23THRUST_200600_302600_NS6detail15normal_iteratorINSA_10device_ptrIsEEEEPS6_SG_NS0_5tupleIJSF_S6_EEENSH_IJSG_SG_EEES6_PlJNSB_9not_fun_tINSB_14equal_to_valueIsEEEEEEE10hipError_tPvRmT3_T4_T5_T6_T7_T9_mT8_P12ihipStream_tbDpT10_ENKUlT_T0_E_clISt17integral_constantIbLb0EES17_IbLb1EEEEDaS13_S14_EUlS13_E_NS1_11comp_targetILNS1_3genE9ELNS1_11target_archE1100ELNS1_3gpuE3ELNS1_3repE0EEENS1_30default_config_static_selectorELNS0_4arch9wavefront6targetE0EEEvT1_.num_named_barrier, 0
	.set _ZN7rocprim17ROCPRIM_400000_NS6detail17trampoline_kernelINS0_14default_configENS1_25partition_config_selectorILNS1_17partition_subalgoE6EsNS0_10empty_typeEbEEZZNS1_14partition_implILS5_6ELb0ES3_mN6thrust23THRUST_200600_302600_NS6detail15normal_iteratorINSA_10device_ptrIsEEEEPS6_SG_NS0_5tupleIJSF_S6_EEENSH_IJSG_SG_EEES6_PlJNSB_9not_fun_tINSB_14equal_to_valueIsEEEEEEE10hipError_tPvRmT3_T4_T5_T6_T7_T9_mT8_P12ihipStream_tbDpT10_ENKUlT_T0_E_clISt17integral_constantIbLb0EES17_IbLb1EEEEDaS13_S14_EUlS13_E_NS1_11comp_targetILNS1_3genE9ELNS1_11target_archE1100ELNS1_3gpuE3ELNS1_3repE0EEENS1_30default_config_static_selectorELNS0_4arch9wavefront6targetE0EEEvT1_.private_seg_size, 0
	.set _ZN7rocprim17ROCPRIM_400000_NS6detail17trampoline_kernelINS0_14default_configENS1_25partition_config_selectorILNS1_17partition_subalgoE6EsNS0_10empty_typeEbEEZZNS1_14partition_implILS5_6ELb0ES3_mN6thrust23THRUST_200600_302600_NS6detail15normal_iteratorINSA_10device_ptrIsEEEEPS6_SG_NS0_5tupleIJSF_S6_EEENSH_IJSG_SG_EEES6_PlJNSB_9not_fun_tINSB_14equal_to_valueIsEEEEEEE10hipError_tPvRmT3_T4_T5_T6_T7_T9_mT8_P12ihipStream_tbDpT10_ENKUlT_T0_E_clISt17integral_constantIbLb0EES17_IbLb1EEEEDaS13_S14_EUlS13_E_NS1_11comp_targetILNS1_3genE9ELNS1_11target_archE1100ELNS1_3gpuE3ELNS1_3repE0EEENS1_30default_config_static_selectorELNS0_4arch9wavefront6targetE0EEEvT1_.uses_vcc, 0
	.set _ZN7rocprim17ROCPRIM_400000_NS6detail17trampoline_kernelINS0_14default_configENS1_25partition_config_selectorILNS1_17partition_subalgoE6EsNS0_10empty_typeEbEEZZNS1_14partition_implILS5_6ELb0ES3_mN6thrust23THRUST_200600_302600_NS6detail15normal_iteratorINSA_10device_ptrIsEEEEPS6_SG_NS0_5tupleIJSF_S6_EEENSH_IJSG_SG_EEES6_PlJNSB_9not_fun_tINSB_14equal_to_valueIsEEEEEEE10hipError_tPvRmT3_T4_T5_T6_T7_T9_mT8_P12ihipStream_tbDpT10_ENKUlT_T0_E_clISt17integral_constantIbLb0EES17_IbLb1EEEEDaS13_S14_EUlS13_E_NS1_11comp_targetILNS1_3genE9ELNS1_11target_archE1100ELNS1_3gpuE3ELNS1_3repE0EEENS1_30default_config_static_selectorELNS0_4arch9wavefront6targetE0EEEvT1_.uses_flat_scratch, 0
	.set _ZN7rocprim17ROCPRIM_400000_NS6detail17trampoline_kernelINS0_14default_configENS1_25partition_config_selectorILNS1_17partition_subalgoE6EsNS0_10empty_typeEbEEZZNS1_14partition_implILS5_6ELb0ES3_mN6thrust23THRUST_200600_302600_NS6detail15normal_iteratorINSA_10device_ptrIsEEEEPS6_SG_NS0_5tupleIJSF_S6_EEENSH_IJSG_SG_EEES6_PlJNSB_9not_fun_tINSB_14equal_to_valueIsEEEEEEE10hipError_tPvRmT3_T4_T5_T6_T7_T9_mT8_P12ihipStream_tbDpT10_ENKUlT_T0_E_clISt17integral_constantIbLb0EES17_IbLb1EEEEDaS13_S14_EUlS13_E_NS1_11comp_targetILNS1_3genE9ELNS1_11target_archE1100ELNS1_3gpuE3ELNS1_3repE0EEENS1_30default_config_static_selectorELNS0_4arch9wavefront6targetE0EEEvT1_.has_dyn_sized_stack, 0
	.set _ZN7rocprim17ROCPRIM_400000_NS6detail17trampoline_kernelINS0_14default_configENS1_25partition_config_selectorILNS1_17partition_subalgoE6EsNS0_10empty_typeEbEEZZNS1_14partition_implILS5_6ELb0ES3_mN6thrust23THRUST_200600_302600_NS6detail15normal_iteratorINSA_10device_ptrIsEEEEPS6_SG_NS0_5tupleIJSF_S6_EEENSH_IJSG_SG_EEES6_PlJNSB_9not_fun_tINSB_14equal_to_valueIsEEEEEEE10hipError_tPvRmT3_T4_T5_T6_T7_T9_mT8_P12ihipStream_tbDpT10_ENKUlT_T0_E_clISt17integral_constantIbLb0EES17_IbLb1EEEEDaS13_S14_EUlS13_E_NS1_11comp_targetILNS1_3genE9ELNS1_11target_archE1100ELNS1_3gpuE3ELNS1_3repE0EEENS1_30default_config_static_selectorELNS0_4arch9wavefront6targetE0EEEvT1_.has_recursion, 0
	.set _ZN7rocprim17ROCPRIM_400000_NS6detail17trampoline_kernelINS0_14default_configENS1_25partition_config_selectorILNS1_17partition_subalgoE6EsNS0_10empty_typeEbEEZZNS1_14partition_implILS5_6ELb0ES3_mN6thrust23THRUST_200600_302600_NS6detail15normal_iteratorINSA_10device_ptrIsEEEEPS6_SG_NS0_5tupleIJSF_S6_EEENSH_IJSG_SG_EEES6_PlJNSB_9not_fun_tINSB_14equal_to_valueIsEEEEEEE10hipError_tPvRmT3_T4_T5_T6_T7_T9_mT8_P12ihipStream_tbDpT10_ENKUlT_T0_E_clISt17integral_constantIbLb0EES17_IbLb1EEEEDaS13_S14_EUlS13_E_NS1_11comp_targetILNS1_3genE9ELNS1_11target_archE1100ELNS1_3gpuE3ELNS1_3repE0EEENS1_30default_config_static_selectorELNS0_4arch9wavefront6targetE0EEEvT1_.has_indirect_call, 0
	.section	.AMDGPU.csdata,"",@progbits
; Kernel info:
; codeLenInByte = 0
; TotalNumSgprs: 0
; NumVgprs: 0
; ScratchSize: 0
; MemoryBound: 0
; FloatMode: 240
; IeeeMode: 1
; LDSByteSize: 0 bytes/workgroup (compile time only)
; SGPRBlocks: 0
; VGPRBlocks: 0
; NumSGPRsForWavesPerEU: 1
; NumVGPRsForWavesPerEU: 1
; Occupancy: 16
; WaveLimiterHint : 0
; COMPUTE_PGM_RSRC2:SCRATCH_EN: 0
; COMPUTE_PGM_RSRC2:USER_SGPR: 2
; COMPUTE_PGM_RSRC2:TRAP_HANDLER: 0
; COMPUTE_PGM_RSRC2:TGID_X_EN: 1
; COMPUTE_PGM_RSRC2:TGID_Y_EN: 0
; COMPUTE_PGM_RSRC2:TGID_Z_EN: 0
; COMPUTE_PGM_RSRC2:TIDIG_COMP_CNT: 0
	.section	.text._ZN7rocprim17ROCPRIM_400000_NS6detail17trampoline_kernelINS0_14default_configENS1_25partition_config_selectorILNS1_17partition_subalgoE6EsNS0_10empty_typeEbEEZZNS1_14partition_implILS5_6ELb0ES3_mN6thrust23THRUST_200600_302600_NS6detail15normal_iteratorINSA_10device_ptrIsEEEEPS6_SG_NS0_5tupleIJSF_S6_EEENSH_IJSG_SG_EEES6_PlJNSB_9not_fun_tINSB_14equal_to_valueIsEEEEEEE10hipError_tPvRmT3_T4_T5_T6_T7_T9_mT8_P12ihipStream_tbDpT10_ENKUlT_T0_E_clISt17integral_constantIbLb0EES17_IbLb1EEEEDaS13_S14_EUlS13_E_NS1_11comp_targetILNS1_3genE8ELNS1_11target_archE1030ELNS1_3gpuE2ELNS1_3repE0EEENS1_30default_config_static_selectorELNS0_4arch9wavefront6targetE0EEEvT1_,"axG",@progbits,_ZN7rocprim17ROCPRIM_400000_NS6detail17trampoline_kernelINS0_14default_configENS1_25partition_config_selectorILNS1_17partition_subalgoE6EsNS0_10empty_typeEbEEZZNS1_14partition_implILS5_6ELb0ES3_mN6thrust23THRUST_200600_302600_NS6detail15normal_iteratorINSA_10device_ptrIsEEEEPS6_SG_NS0_5tupleIJSF_S6_EEENSH_IJSG_SG_EEES6_PlJNSB_9not_fun_tINSB_14equal_to_valueIsEEEEEEE10hipError_tPvRmT3_T4_T5_T6_T7_T9_mT8_P12ihipStream_tbDpT10_ENKUlT_T0_E_clISt17integral_constantIbLb0EES17_IbLb1EEEEDaS13_S14_EUlS13_E_NS1_11comp_targetILNS1_3genE8ELNS1_11target_archE1030ELNS1_3gpuE2ELNS1_3repE0EEENS1_30default_config_static_selectorELNS0_4arch9wavefront6targetE0EEEvT1_,comdat
	.protected	_ZN7rocprim17ROCPRIM_400000_NS6detail17trampoline_kernelINS0_14default_configENS1_25partition_config_selectorILNS1_17partition_subalgoE6EsNS0_10empty_typeEbEEZZNS1_14partition_implILS5_6ELb0ES3_mN6thrust23THRUST_200600_302600_NS6detail15normal_iteratorINSA_10device_ptrIsEEEEPS6_SG_NS0_5tupleIJSF_S6_EEENSH_IJSG_SG_EEES6_PlJNSB_9not_fun_tINSB_14equal_to_valueIsEEEEEEE10hipError_tPvRmT3_T4_T5_T6_T7_T9_mT8_P12ihipStream_tbDpT10_ENKUlT_T0_E_clISt17integral_constantIbLb0EES17_IbLb1EEEEDaS13_S14_EUlS13_E_NS1_11comp_targetILNS1_3genE8ELNS1_11target_archE1030ELNS1_3gpuE2ELNS1_3repE0EEENS1_30default_config_static_selectorELNS0_4arch9wavefront6targetE0EEEvT1_ ; -- Begin function _ZN7rocprim17ROCPRIM_400000_NS6detail17trampoline_kernelINS0_14default_configENS1_25partition_config_selectorILNS1_17partition_subalgoE6EsNS0_10empty_typeEbEEZZNS1_14partition_implILS5_6ELb0ES3_mN6thrust23THRUST_200600_302600_NS6detail15normal_iteratorINSA_10device_ptrIsEEEEPS6_SG_NS0_5tupleIJSF_S6_EEENSH_IJSG_SG_EEES6_PlJNSB_9not_fun_tINSB_14equal_to_valueIsEEEEEEE10hipError_tPvRmT3_T4_T5_T6_T7_T9_mT8_P12ihipStream_tbDpT10_ENKUlT_T0_E_clISt17integral_constantIbLb0EES17_IbLb1EEEEDaS13_S14_EUlS13_E_NS1_11comp_targetILNS1_3genE8ELNS1_11target_archE1030ELNS1_3gpuE2ELNS1_3repE0EEENS1_30default_config_static_selectorELNS0_4arch9wavefront6targetE0EEEvT1_
	.globl	_ZN7rocprim17ROCPRIM_400000_NS6detail17trampoline_kernelINS0_14default_configENS1_25partition_config_selectorILNS1_17partition_subalgoE6EsNS0_10empty_typeEbEEZZNS1_14partition_implILS5_6ELb0ES3_mN6thrust23THRUST_200600_302600_NS6detail15normal_iteratorINSA_10device_ptrIsEEEEPS6_SG_NS0_5tupleIJSF_S6_EEENSH_IJSG_SG_EEES6_PlJNSB_9not_fun_tINSB_14equal_to_valueIsEEEEEEE10hipError_tPvRmT3_T4_T5_T6_T7_T9_mT8_P12ihipStream_tbDpT10_ENKUlT_T0_E_clISt17integral_constantIbLb0EES17_IbLb1EEEEDaS13_S14_EUlS13_E_NS1_11comp_targetILNS1_3genE8ELNS1_11target_archE1030ELNS1_3gpuE2ELNS1_3repE0EEENS1_30default_config_static_selectorELNS0_4arch9wavefront6targetE0EEEvT1_
	.p2align	8
	.type	_ZN7rocprim17ROCPRIM_400000_NS6detail17trampoline_kernelINS0_14default_configENS1_25partition_config_selectorILNS1_17partition_subalgoE6EsNS0_10empty_typeEbEEZZNS1_14partition_implILS5_6ELb0ES3_mN6thrust23THRUST_200600_302600_NS6detail15normal_iteratorINSA_10device_ptrIsEEEEPS6_SG_NS0_5tupleIJSF_S6_EEENSH_IJSG_SG_EEES6_PlJNSB_9not_fun_tINSB_14equal_to_valueIsEEEEEEE10hipError_tPvRmT3_T4_T5_T6_T7_T9_mT8_P12ihipStream_tbDpT10_ENKUlT_T0_E_clISt17integral_constantIbLb0EES17_IbLb1EEEEDaS13_S14_EUlS13_E_NS1_11comp_targetILNS1_3genE8ELNS1_11target_archE1030ELNS1_3gpuE2ELNS1_3repE0EEENS1_30default_config_static_selectorELNS0_4arch9wavefront6targetE0EEEvT1_,@function
_ZN7rocprim17ROCPRIM_400000_NS6detail17trampoline_kernelINS0_14default_configENS1_25partition_config_selectorILNS1_17partition_subalgoE6EsNS0_10empty_typeEbEEZZNS1_14partition_implILS5_6ELb0ES3_mN6thrust23THRUST_200600_302600_NS6detail15normal_iteratorINSA_10device_ptrIsEEEEPS6_SG_NS0_5tupleIJSF_S6_EEENSH_IJSG_SG_EEES6_PlJNSB_9not_fun_tINSB_14equal_to_valueIsEEEEEEE10hipError_tPvRmT3_T4_T5_T6_T7_T9_mT8_P12ihipStream_tbDpT10_ENKUlT_T0_E_clISt17integral_constantIbLb0EES17_IbLb1EEEEDaS13_S14_EUlS13_E_NS1_11comp_targetILNS1_3genE8ELNS1_11target_archE1030ELNS1_3gpuE2ELNS1_3repE0EEENS1_30default_config_static_selectorELNS0_4arch9wavefront6targetE0EEEvT1_: ; @_ZN7rocprim17ROCPRIM_400000_NS6detail17trampoline_kernelINS0_14default_configENS1_25partition_config_selectorILNS1_17partition_subalgoE6EsNS0_10empty_typeEbEEZZNS1_14partition_implILS5_6ELb0ES3_mN6thrust23THRUST_200600_302600_NS6detail15normal_iteratorINSA_10device_ptrIsEEEEPS6_SG_NS0_5tupleIJSF_S6_EEENSH_IJSG_SG_EEES6_PlJNSB_9not_fun_tINSB_14equal_to_valueIsEEEEEEE10hipError_tPvRmT3_T4_T5_T6_T7_T9_mT8_P12ihipStream_tbDpT10_ENKUlT_T0_E_clISt17integral_constantIbLb0EES17_IbLb1EEEEDaS13_S14_EUlS13_E_NS1_11comp_targetILNS1_3genE8ELNS1_11target_archE1030ELNS1_3gpuE2ELNS1_3repE0EEENS1_30default_config_static_selectorELNS0_4arch9wavefront6targetE0EEEvT1_
; %bb.0:
	.section	.rodata,"a",@progbits
	.p2align	6, 0x0
	.amdhsa_kernel _ZN7rocprim17ROCPRIM_400000_NS6detail17trampoline_kernelINS0_14default_configENS1_25partition_config_selectorILNS1_17partition_subalgoE6EsNS0_10empty_typeEbEEZZNS1_14partition_implILS5_6ELb0ES3_mN6thrust23THRUST_200600_302600_NS6detail15normal_iteratorINSA_10device_ptrIsEEEEPS6_SG_NS0_5tupleIJSF_S6_EEENSH_IJSG_SG_EEES6_PlJNSB_9not_fun_tINSB_14equal_to_valueIsEEEEEEE10hipError_tPvRmT3_T4_T5_T6_T7_T9_mT8_P12ihipStream_tbDpT10_ENKUlT_T0_E_clISt17integral_constantIbLb0EES17_IbLb1EEEEDaS13_S14_EUlS13_E_NS1_11comp_targetILNS1_3genE8ELNS1_11target_archE1030ELNS1_3gpuE2ELNS1_3repE0EEENS1_30default_config_static_selectorELNS0_4arch9wavefront6targetE0EEEvT1_
		.amdhsa_group_segment_fixed_size 0
		.amdhsa_private_segment_fixed_size 0
		.amdhsa_kernarg_size 128
		.amdhsa_user_sgpr_count 2
		.amdhsa_user_sgpr_dispatch_ptr 0
		.amdhsa_user_sgpr_queue_ptr 0
		.amdhsa_user_sgpr_kernarg_segment_ptr 1
		.amdhsa_user_sgpr_dispatch_id 0
		.amdhsa_user_sgpr_private_segment_size 0
		.amdhsa_wavefront_size32 1
		.amdhsa_uses_dynamic_stack 0
		.amdhsa_enable_private_segment 0
		.amdhsa_system_sgpr_workgroup_id_x 1
		.amdhsa_system_sgpr_workgroup_id_y 0
		.amdhsa_system_sgpr_workgroup_id_z 0
		.amdhsa_system_sgpr_workgroup_info 0
		.amdhsa_system_vgpr_workitem_id 0
		.amdhsa_next_free_vgpr 1
		.amdhsa_next_free_sgpr 1
		.amdhsa_reserve_vcc 0
		.amdhsa_float_round_mode_32 0
		.amdhsa_float_round_mode_16_64 0
		.amdhsa_float_denorm_mode_32 3
		.amdhsa_float_denorm_mode_16_64 3
		.amdhsa_fp16_overflow 0
		.amdhsa_workgroup_processor_mode 1
		.amdhsa_memory_ordered 1
		.amdhsa_forward_progress 1
		.amdhsa_inst_pref_size 0
		.amdhsa_round_robin_scheduling 0
		.amdhsa_exception_fp_ieee_invalid_op 0
		.amdhsa_exception_fp_denorm_src 0
		.amdhsa_exception_fp_ieee_div_zero 0
		.amdhsa_exception_fp_ieee_overflow 0
		.amdhsa_exception_fp_ieee_underflow 0
		.amdhsa_exception_fp_ieee_inexact 0
		.amdhsa_exception_int_div_zero 0
	.end_amdhsa_kernel
	.section	.text._ZN7rocprim17ROCPRIM_400000_NS6detail17trampoline_kernelINS0_14default_configENS1_25partition_config_selectorILNS1_17partition_subalgoE6EsNS0_10empty_typeEbEEZZNS1_14partition_implILS5_6ELb0ES3_mN6thrust23THRUST_200600_302600_NS6detail15normal_iteratorINSA_10device_ptrIsEEEEPS6_SG_NS0_5tupleIJSF_S6_EEENSH_IJSG_SG_EEES6_PlJNSB_9not_fun_tINSB_14equal_to_valueIsEEEEEEE10hipError_tPvRmT3_T4_T5_T6_T7_T9_mT8_P12ihipStream_tbDpT10_ENKUlT_T0_E_clISt17integral_constantIbLb0EES17_IbLb1EEEEDaS13_S14_EUlS13_E_NS1_11comp_targetILNS1_3genE8ELNS1_11target_archE1030ELNS1_3gpuE2ELNS1_3repE0EEENS1_30default_config_static_selectorELNS0_4arch9wavefront6targetE0EEEvT1_,"axG",@progbits,_ZN7rocprim17ROCPRIM_400000_NS6detail17trampoline_kernelINS0_14default_configENS1_25partition_config_selectorILNS1_17partition_subalgoE6EsNS0_10empty_typeEbEEZZNS1_14partition_implILS5_6ELb0ES3_mN6thrust23THRUST_200600_302600_NS6detail15normal_iteratorINSA_10device_ptrIsEEEEPS6_SG_NS0_5tupleIJSF_S6_EEENSH_IJSG_SG_EEES6_PlJNSB_9not_fun_tINSB_14equal_to_valueIsEEEEEEE10hipError_tPvRmT3_T4_T5_T6_T7_T9_mT8_P12ihipStream_tbDpT10_ENKUlT_T0_E_clISt17integral_constantIbLb0EES17_IbLb1EEEEDaS13_S14_EUlS13_E_NS1_11comp_targetILNS1_3genE8ELNS1_11target_archE1030ELNS1_3gpuE2ELNS1_3repE0EEENS1_30default_config_static_selectorELNS0_4arch9wavefront6targetE0EEEvT1_,comdat
.Lfunc_end532:
	.size	_ZN7rocprim17ROCPRIM_400000_NS6detail17trampoline_kernelINS0_14default_configENS1_25partition_config_selectorILNS1_17partition_subalgoE6EsNS0_10empty_typeEbEEZZNS1_14partition_implILS5_6ELb0ES3_mN6thrust23THRUST_200600_302600_NS6detail15normal_iteratorINSA_10device_ptrIsEEEEPS6_SG_NS0_5tupleIJSF_S6_EEENSH_IJSG_SG_EEES6_PlJNSB_9not_fun_tINSB_14equal_to_valueIsEEEEEEE10hipError_tPvRmT3_T4_T5_T6_T7_T9_mT8_P12ihipStream_tbDpT10_ENKUlT_T0_E_clISt17integral_constantIbLb0EES17_IbLb1EEEEDaS13_S14_EUlS13_E_NS1_11comp_targetILNS1_3genE8ELNS1_11target_archE1030ELNS1_3gpuE2ELNS1_3repE0EEENS1_30default_config_static_selectorELNS0_4arch9wavefront6targetE0EEEvT1_, .Lfunc_end532-_ZN7rocprim17ROCPRIM_400000_NS6detail17trampoline_kernelINS0_14default_configENS1_25partition_config_selectorILNS1_17partition_subalgoE6EsNS0_10empty_typeEbEEZZNS1_14partition_implILS5_6ELb0ES3_mN6thrust23THRUST_200600_302600_NS6detail15normal_iteratorINSA_10device_ptrIsEEEEPS6_SG_NS0_5tupleIJSF_S6_EEENSH_IJSG_SG_EEES6_PlJNSB_9not_fun_tINSB_14equal_to_valueIsEEEEEEE10hipError_tPvRmT3_T4_T5_T6_T7_T9_mT8_P12ihipStream_tbDpT10_ENKUlT_T0_E_clISt17integral_constantIbLb0EES17_IbLb1EEEEDaS13_S14_EUlS13_E_NS1_11comp_targetILNS1_3genE8ELNS1_11target_archE1030ELNS1_3gpuE2ELNS1_3repE0EEENS1_30default_config_static_selectorELNS0_4arch9wavefront6targetE0EEEvT1_
                                        ; -- End function
	.set _ZN7rocprim17ROCPRIM_400000_NS6detail17trampoline_kernelINS0_14default_configENS1_25partition_config_selectorILNS1_17partition_subalgoE6EsNS0_10empty_typeEbEEZZNS1_14partition_implILS5_6ELb0ES3_mN6thrust23THRUST_200600_302600_NS6detail15normal_iteratorINSA_10device_ptrIsEEEEPS6_SG_NS0_5tupleIJSF_S6_EEENSH_IJSG_SG_EEES6_PlJNSB_9not_fun_tINSB_14equal_to_valueIsEEEEEEE10hipError_tPvRmT3_T4_T5_T6_T7_T9_mT8_P12ihipStream_tbDpT10_ENKUlT_T0_E_clISt17integral_constantIbLb0EES17_IbLb1EEEEDaS13_S14_EUlS13_E_NS1_11comp_targetILNS1_3genE8ELNS1_11target_archE1030ELNS1_3gpuE2ELNS1_3repE0EEENS1_30default_config_static_selectorELNS0_4arch9wavefront6targetE0EEEvT1_.num_vgpr, 0
	.set _ZN7rocprim17ROCPRIM_400000_NS6detail17trampoline_kernelINS0_14default_configENS1_25partition_config_selectorILNS1_17partition_subalgoE6EsNS0_10empty_typeEbEEZZNS1_14partition_implILS5_6ELb0ES3_mN6thrust23THRUST_200600_302600_NS6detail15normal_iteratorINSA_10device_ptrIsEEEEPS6_SG_NS0_5tupleIJSF_S6_EEENSH_IJSG_SG_EEES6_PlJNSB_9not_fun_tINSB_14equal_to_valueIsEEEEEEE10hipError_tPvRmT3_T4_T5_T6_T7_T9_mT8_P12ihipStream_tbDpT10_ENKUlT_T0_E_clISt17integral_constantIbLb0EES17_IbLb1EEEEDaS13_S14_EUlS13_E_NS1_11comp_targetILNS1_3genE8ELNS1_11target_archE1030ELNS1_3gpuE2ELNS1_3repE0EEENS1_30default_config_static_selectorELNS0_4arch9wavefront6targetE0EEEvT1_.num_agpr, 0
	.set _ZN7rocprim17ROCPRIM_400000_NS6detail17trampoline_kernelINS0_14default_configENS1_25partition_config_selectorILNS1_17partition_subalgoE6EsNS0_10empty_typeEbEEZZNS1_14partition_implILS5_6ELb0ES3_mN6thrust23THRUST_200600_302600_NS6detail15normal_iteratorINSA_10device_ptrIsEEEEPS6_SG_NS0_5tupleIJSF_S6_EEENSH_IJSG_SG_EEES6_PlJNSB_9not_fun_tINSB_14equal_to_valueIsEEEEEEE10hipError_tPvRmT3_T4_T5_T6_T7_T9_mT8_P12ihipStream_tbDpT10_ENKUlT_T0_E_clISt17integral_constantIbLb0EES17_IbLb1EEEEDaS13_S14_EUlS13_E_NS1_11comp_targetILNS1_3genE8ELNS1_11target_archE1030ELNS1_3gpuE2ELNS1_3repE0EEENS1_30default_config_static_selectorELNS0_4arch9wavefront6targetE0EEEvT1_.numbered_sgpr, 0
	.set _ZN7rocprim17ROCPRIM_400000_NS6detail17trampoline_kernelINS0_14default_configENS1_25partition_config_selectorILNS1_17partition_subalgoE6EsNS0_10empty_typeEbEEZZNS1_14partition_implILS5_6ELb0ES3_mN6thrust23THRUST_200600_302600_NS6detail15normal_iteratorINSA_10device_ptrIsEEEEPS6_SG_NS0_5tupleIJSF_S6_EEENSH_IJSG_SG_EEES6_PlJNSB_9not_fun_tINSB_14equal_to_valueIsEEEEEEE10hipError_tPvRmT3_T4_T5_T6_T7_T9_mT8_P12ihipStream_tbDpT10_ENKUlT_T0_E_clISt17integral_constantIbLb0EES17_IbLb1EEEEDaS13_S14_EUlS13_E_NS1_11comp_targetILNS1_3genE8ELNS1_11target_archE1030ELNS1_3gpuE2ELNS1_3repE0EEENS1_30default_config_static_selectorELNS0_4arch9wavefront6targetE0EEEvT1_.num_named_barrier, 0
	.set _ZN7rocprim17ROCPRIM_400000_NS6detail17trampoline_kernelINS0_14default_configENS1_25partition_config_selectorILNS1_17partition_subalgoE6EsNS0_10empty_typeEbEEZZNS1_14partition_implILS5_6ELb0ES3_mN6thrust23THRUST_200600_302600_NS6detail15normal_iteratorINSA_10device_ptrIsEEEEPS6_SG_NS0_5tupleIJSF_S6_EEENSH_IJSG_SG_EEES6_PlJNSB_9not_fun_tINSB_14equal_to_valueIsEEEEEEE10hipError_tPvRmT3_T4_T5_T6_T7_T9_mT8_P12ihipStream_tbDpT10_ENKUlT_T0_E_clISt17integral_constantIbLb0EES17_IbLb1EEEEDaS13_S14_EUlS13_E_NS1_11comp_targetILNS1_3genE8ELNS1_11target_archE1030ELNS1_3gpuE2ELNS1_3repE0EEENS1_30default_config_static_selectorELNS0_4arch9wavefront6targetE0EEEvT1_.private_seg_size, 0
	.set _ZN7rocprim17ROCPRIM_400000_NS6detail17trampoline_kernelINS0_14default_configENS1_25partition_config_selectorILNS1_17partition_subalgoE6EsNS0_10empty_typeEbEEZZNS1_14partition_implILS5_6ELb0ES3_mN6thrust23THRUST_200600_302600_NS6detail15normal_iteratorINSA_10device_ptrIsEEEEPS6_SG_NS0_5tupleIJSF_S6_EEENSH_IJSG_SG_EEES6_PlJNSB_9not_fun_tINSB_14equal_to_valueIsEEEEEEE10hipError_tPvRmT3_T4_T5_T6_T7_T9_mT8_P12ihipStream_tbDpT10_ENKUlT_T0_E_clISt17integral_constantIbLb0EES17_IbLb1EEEEDaS13_S14_EUlS13_E_NS1_11comp_targetILNS1_3genE8ELNS1_11target_archE1030ELNS1_3gpuE2ELNS1_3repE0EEENS1_30default_config_static_selectorELNS0_4arch9wavefront6targetE0EEEvT1_.uses_vcc, 0
	.set _ZN7rocprim17ROCPRIM_400000_NS6detail17trampoline_kernelINS0_14default_configENS1_25partition_config_selectorILNS1_17partition_subalgoE6EsNS0_10empty_typeEbEEZZNS1_14partition_implILS5_6ELb0ES3_mN6thrust23THRUST_200600_302600_NS6detail15normal_iteratorINSA_10device_ptrIsEEEEPS6_SG_NS0_5tupleIJSF_S6_EEENSH_IJSG_SG_EEES6_PlJNSB_9not_fun_tINSB_14equal_to_valueIsEEEEEEE10hipError_tPvRmT3_T4_T5_T6_T7_T9_mT8_P12ihipStream_tbDpT10_ENKUlT_T0_E_clISt17integral_constantIbLb0EES17_IbLb1EEEEDaS13_S14_EUlS13_E_NS1_11comp_targetILNS1_3genE8ELNS1_11target_archE1030ELNS1_3gpuE2ELNS1_3repE0EEENS1_30default_config_static_selectorELNS0_4arch9wavefront6targetE0EEEvT1_.uses_flat_scratch, 0
	.set _ZN7rocprim17ROCPRIM_400000_NS6detail17trampoline_kernelINS0_14default_configENS1_25partition_config_selectorILNS1_17partition_subalgoE6EsNS0_10empty_typeEbEEZZNS1_14partition_implILS5_6ELb0ES3_mN6thrust23THRUST_200600_302600_NS6detail15normal_iteratorINSA_10device_ptrIsEEEEPS6_SG_NS0_5tupleIJSF_S6_EEENSH_IJSG_SG_EEES6_PlJNSB_9not_fun_tINSB_14equal_to_valueIsEEEEEEE10hipError_tPvRmT3_T4_T5_T6_T7_T9_mT8_P12ihipStream_tbDpT10_ENKUlT_T0_E_clISt17integral_constantIbLb0EES17_IbLb1EEEEDaS13_S14_EUlS13_E_NS1_11comp_targetILNS1_3genE8ELNS1_11target_archE1030ELNS1_3gpuE2ELNS1_3repE0EEENS1_30default_config_static_selectorELNS0_4arch9wavefront6targetE0EEEvT1_.has_dyn_sized_stack, 0
	.set _ZN7rocprim17ROCPRIM_400000_NS6detail17trampoline_kernelINS0_14default_configENS1_25partition_config_selectorILNS1_17partition_subalgoE6EsNS0_10empty_typeEbEEZZNS1_14partition_implILS5_6ELb0ES3_mN6thrust23THRUST_200600_302600_NS6detail15normal_iteratorINSA_10device_ptrIsEEEEPS6_SG_NS0_5tupleIJSF_S6_EEENSH_IJSG_SG_EEES6_PlJNSB_9not_fun_tINSB_14equal_to_valueIsEEEEEEE10hipError_tPvRmT3_T4_T5_T6_T7_T9_mT8_P12ihipStream_tbDpT10_ENKUlT_T0_E_clISt17integral_constantIbLb0EES17_IbLb1EEEEDaS13_S14_EUlS13_E_NS1_11comp_targetILNS1_3genE8ELNS1_11target_archE1030ELNS1_3gpuE2ELNS1_3repE0EEENS1_30default_config_static_selectorELNS0_4arch9wavefront6targetE0EEEvT1_.has_recursion, 0
	.set _ZN7rocprim17ROCPRIM_400000_NS6detail17trampoline_kernelINS0_14default_configENS1_25partition_config_selectorILNS1_17partition_subalgoE6EsNS0_10empty_typeEbEEZZNS1_14partition_implILS5_6ELb0ES3_mN6thrust23THRUST_200600_302600_NS6detail15normal_iteratorINSA_10device_ptrIsEEEEPS6_SG_NS0_5tupleIJSF_S6_EEENSH_IJSG_SG_EEES6_PlJNSB_9not_fun_tINSB_14equal_to_valueIsEEEEEEE10hipError_tPvRmT3_T4_T5_T6_T7_T9_mT8_P12ihipStream_tbDpT10_ENKUlT_T0_E_clISt17integral_constantIbLb0EES17_IbLb1EEEEDaS13_S14_EUlS13_E_NS1_11comp_targetILNS1_3genE8ELNS1_11target_archE1030ELNS1_3gpuE2ELNS1_3repE0EEENS1_30default_config_static_selectorELNS0_4arch9wavefront6targetE0EEEvT1_.has_indirect_call, 0
	.section	.AMDGPU.csdata,"",@progbits
; Kernel info:
; codeLenInByte = 0
; TotalNumSgprs: 0
; NumVgprs: 0
; ScratchSize: 0
; MemoryBound: 0
; FloatMode: 240
; IeeeMode: 1
; LDSByteSize: 0 bytes/workgroup (compile time only)
; SGPRBlocks: 0
; VGPRBlocks: 0
; NumSGPRsForWavesPerEU: 1
; NumVGPRsForWavesPerEU: 1
; Occupancy: 16
; WaveLimiterHint : 0
; COMPUTE_PGM_RSRC2:SCRATCH_EN: 0
; COMPUTE_PGM_RSRC2:USER_SGPR: 2
; COMPUTE_PGM_RSRC2:TRAP_HANDLER: 0
; COMPUTE_PGM_RSRC2:TGID_X_EN: 1
; COMPUTE_PGM_RSRC2:TGID_Y_EN: 0
; COMPUTE_PGM_RSRC2:TGID_Z_EN: 0
; COMPUTE_PGM_RSRC2:TIDIG_COMP_CNT: 0
	.section	.text._ZN7rocprim17ROCPRIM_400000_NS6detail17trampoline_kernelINS0_14default_configENS1_25partition_config_selectorILNS1_17partition_subalgoE6EdNS0_10empty_typeEbEEZZNS1_14partition_implILS5_6ELb0ES3_mN6thrust23THRUST_200600_302600_NS6detail15normal_iteratorINSA_10device_ptrIdEEEEPS6_SG_NS0_5tupleIJSF_S6_EEENSH_IJSG_SG_EEES6_PlJNSB_9not_fun_tI7is_evenIdEEEEEE10hipError_tPvRmT3_T4_T5_T6_T7_T9_mT8_P12ihipStream_tbDpT10_ENKUlT_T0_E_clISt17integral_constantIbLb0EES18_EEDaS13_S14_EUlS13_E_NS1_11comp_targetILNS1_3genE0ELNS1_11target_archE4294967295ELNS1_3gpuE0ELNS1_3repE0EEENS1_30default_config_static_selectorELNS0_4arch9wavefront6targetE0EEEvT1_,"axG",@progbits,_ZN7rocprim17ROCPRIM_400000_NS6detail17trampoline_kernelINS0_14default_configENS1_25partition_config_selectorILNS1_17partition_subalgoE6EdNS0_10empty_typeEbEEZZNS1_14partition_implILS5_6ELb0ES3_mN6thrust23THRUST_200600_302600_NS6detail15normal_iteratorINSA_10device_ptrIdEEEEPS6_SG_NS0_5tupleIJSF_S6_EEENSH_IJSG_SG_EEES6_PlJNSB_9not_fun_tI7is_evenIdEEEEEE10hipError_tPvRmT3_T4_T5_T6_T7_T9_mT8_P12ihipStream_tbDpT10_ENKUlT_T0_E_clISt17integral_constantIbLb0EES18_EEDaS13_S14_EUlS13_E_NS1_11comp_targetILNS1_3genE0ELNS1_11target_archE4294967295ELNS1_3gpuE0ELNS1_3repE0EEENS1_30default_config_static_selectorELNS0_4arch9wavefront6targetE0EEEvT1_,comdat
	.protected	_ZN7rocprim17ROCPRIM_400000_NS6detail17trampoline_kernelINS0_14default_configENS1_25partition_config_selectorILNS1_17partition_subalgoE6EdNS0_10empty_typeEbEEZZNS1_14partition_implILS5_6ELb0ES3_mN6thrust23THRUST_200600_302600_NS6detail15normal_iteratorINSA_10device_ptrIdEEEEPS6_SG_NS0_5tupleIJSF_S6_EEENSH_IJSG_SG_EEES6_PlJNSB_9not_fun_tI7is_evenIdEEEEEE10hipError_tPvRmT3_T4_T5_T6_T7_T9_mT8_P12ihipStream_tbDpT10_ENKUlT_T0_E_clISt17integral_constantIbLb0EES18_EEDaS13_S14_EUlS13_E_NS1_11comp_targetILNS1_3genE0ELNS1_11target_archE4294967295ELNS1_3gpuE0ELNS1_3repE0EEENS1_30default_config_static_selectorELNS0_4arch9wavefront6targetE0EEEvT1_ ; -- Begin function _ZN7rocprim17ROCPRIM_400000_NS6detail17trampoline_kernelINS0_14default_configENS1_25partition_config_selectorILNS1_17partition_subalgoE6EdNS0_10empty_typeEbEEZZNS1_14partition_implILS5_6ELb0ES3_mN6thrust23THRUST_200600_302600_NS6detail15normal_iteratorINSA_10device_ptrIdEEEEPS6_SG_NS0_5tupleIJSF_S6_EEENSH_IJSG_SG_EEES6_PlJNSB_9not_fun_tI7is_evenIdEEEEEE10hipError_tPvRmT3_T4_T5_T6_T7_T9_mT8_P12ihipStream_tbDpT10_ENKUlT_T0_E_clISt17integral_constantIbLb0EES18_EEDaS13_S14_EUlS13_E_NS1_11comp_targetILNS1_3genE0ELNS1_11target_archE4294967295ELNS1_3gpuE0ELNS1_3repE0EEENS1_30default_config_static_selectorELNS0_4arch9wavefront6targetE0EEEvT1_
	.globl	_ZN7rocprim17ROCPRIM_400000_NS6detail17trampoline_kernelINS0_14default_configENS1_25partition_config_selectorILNS1_17partition_subalgoE6EdNS0_10empty_typeEbEEZZNS1_14partition_implILS5_6ELb0ES3_mN6thrust23THRUST_200600_302600_NS6detail15normal_iteratorINSA_10device_ptrIdEEEEPS6_SG_NS0_5tupleIJSF_S6_EEENSH_IJSG_SG_EEES6_PlJNSB_9not_fun_tI7is_evenIdEEEEEE10hipError_tPvRmT3_T4_T5_T6_T7_T9_mT8_P12ihipStream_tbDpT10_ENKUlT_T0_E_clISt17integral_constantIbLb0EES18_EEDaS13_S14_EUlS13_E_NS1_11comp_targetILNS1_3genE0ELNS1_11target_archE4294967295ELNS1_3gpuE0ELNS1_3repE0EEENS1_30default_config_static_selectorELNS0_4arch9wavefront6targetE0EEEvT1_
	.p2align	8
	.type	_ZN7rocprim17ROCPRIM_400000_NS6detail17trampoline_kernelINS0_14default_configENS1_25partition_config_selectorILNS1_17partition_subalgoE6EdNS0_10empty_typeEbEEZZNS1_14partition_implILS5_6ELb0ES3_mN6thrust23THRUST_200600_302600_NS6detail15normal_iteratorINSA_10device_ptrIdEEEEPS6_SG_NS0_5tupleIJSF_S6_EEENSH_IJSG_SG_EEES6_PlJNSB_9not_fun_tI7is_evenIdEEEEEE10hipError_tPvRmT3_T4_T5_T6_T7_T9_mT8_P12ihipStream_tbDpT10_ENKUlT_T0_E_clISt17integral_constantIbLb0EES18_EEDaS13_S14_EUlS13_E_NS1_11comp_targetILNS1_3genE0ELNS1_11target_archE4294967295ELNS1_3gpuE0ELNS1_3repE0EEENS1_30default_config_static_selectorELNS0_4arch9wavefront6targetE0EEEvT1_,@function
_ZN7rocprim17ROCPRIM_400000_NS6detail17trampoline_kernelINS0_14default_configENS1_25partition_config_selectorILNS1_17partition_subalgoE6EdNS0_10empty_typeEbEEZZNS1_14partition_implILS5_6ELb0ES3_mN6thrust23THRUST_200600_302600_NS6detail15normal_iteratorINSA_10device_ptrIdEEEEPS6_SG_NS0_5tupleIJSF_S6_EEENSH_IJSG_SG_EEES6_PlJNSB_9not_fun_tI7is_evenIdEEEEEE10hipError_tPvRmT3_T4_T5_T6_T7_T9_mT8_P12ihipStream_tbDpT10_ENKUlT_T0_E_clISt17integral_constantIbLb0EES18_EEDaS13_S14_EUlS13_E_NS1_11comp_targetILNS1_3genE0ELNS1_11target_archE4294967295ELNS1_3gpuE0ELNS1_3repE0EEENS1_30default_config_static_selectorELNS0_4arch9wavefront6targetE0EEEvT1_: ; @_ZN7rocprim17ROCPRIM_400000_NS6detail17trampoline_kernelINS0_14default_configENS1_25partition_config_selectorILNS1_17partition_subalgoE6EdNS0_10empty_typeEbEEZZNS1_14partition_implILS5_6ELb0ES3_mN6thrust23THRUST_200600_302600_NS6detail15normal_iteratorINSA_10device_ptrIdEEEEPS6_SG_NS0_5tupleIJSF_S6_EEENSH_IJSG_SG_EEES6_PlJNSB_9not_fun_tI7is_evenIdEEEEEE10hipError_tPvRmT3_T4_T5_T6_T7_T9_mT8_P12ihipStream_tbDpT10_ENKUlT_T0_E_clISt17integral_constantIbLb0EES18_EEDaS13_S14_EUlS13_E_NS1_11comp_targetILNS1_3genE0ELNS1_11target_archE4294967295ELNS1_3gpuE0ELNS1_3repE0EEENS1_30default_config_static_selectorELNS0_4arch9wavefront6targetE0EEEvT1_
; %bb.0:
	.section	.rodata,"a",@progbits
	.p2align	6, 0x0
	.amdhsa_kernel _ZN7rocprim17ROCPRIM_400000_NS6detail17trampoline_kernelINS0_14default_configENS1_25partition_config_selectorILNS1_17partition_subalgoE6EdNS0_10empty_typeEbEEZZNS1_14partition_implILS5_6ELb0ES3_mN6thrust23THRUST_200600_302600_NS6detail15normal_iteratorINSA_10device_ptrIdEEEEPS6_SG_NS0_5tupleIJSF_S6_EEENSH_IJSG_SG_EEES6_PlJNSB_9not_fun_tI7is_evenIdEEEEEE10hipError_tPvRmT3_T4_T5_T6_T7_T9_mT8_P12ihipStream_tbDpT10_ENKUlT_T0_E_clISt17integral_constantIbLb0EES18_EEDaS13_S14_EUlS13_E_NS1_11comp_targetILNS1_3genE0ELNS1_11target_archE4294967295ELNS1_3gpuE0ELNS1_3repE0EEENS1_30default_config_static_selectorELNS0_4arch9wavefront6targetE0EEEvT1_
		.amdhsa_group_segment_fixed_size 0
		.amdhsa_private_segment_fixed_size 0
		.amdhsa_kernarg_size 112
		.amdhsa_user_sgpr_count 2
		.amdhsa_user_sgpr_dispatch_ptr 0
		.amdhsa_user_sgpr_queue_ptr 0
		.amdhsa_user_sgpr_kernarg_segment_ptr 1
		.amdhsa_user_sgpr_dispatch_id 0
		.amdhsa_user_sgpr_private_segment_size 0
		.amdhsa_wavefront_size32 1
		.amdhsa_uses_dynamic_stack 0
		.amdhsa_enable_private_segment 0
		.amdhsa_system_sgpr_workgroup_id_x 1
		.amdhsa_system_sgpr_workgroup_id_y 0
		.amdhsa_system_sgpr_workgroup_id_z 0
		.amdhsa_system_sgpr_workgroup_info 0
		.amdhsa_system_vgpr_workitem_id 0
		.amdhsa_next_free_vgpr 1
		.amdhsa_next_free_sgpr 1
		.amdhsa_reserve_vcc 0
		.amdhsa_float_round_mode_32 0
		.amdhsa_float_round_mode_16_64 0
		.amdhsa_float_denorm_mode_32 3
		.amdhsa_float_denorm_mode_16_64 3
		.amdhsa_fp16_overflow 0
		.amdhsa_workgroup_processor_mode 1
		.amdhsa_memory_ordered 1
		.amdhsa_forward_progress 1
		.amdhsa_inst_pref_size 0
		.amdhsa_round_robin_scheduling 0
		.amdhsa_exception_fp_ieee_invalid_op 0
		.amdhsa_exception_fp_denorm_src 0
		.amdhsa_exception_fp_ieee_div_zero 0
		.amdhsa_exception_fp_ieee_overflow 0
		.amdhsa_exception_fp_ieee_underflow 0
		.amdhsa_exception_fp_ieee_inexact 0
		.amdhsa_exception_int_div_zero 0
	.end_amdhsa_kernel
	.section	.text._ZN7rocprim17ROCPRIM_400000_NS6detail17trampoline_kernelINS0_14default_configENS1_25partition_config_selectorILNS1_17partition_subalgoE6EdNS0_10empty_typeEbEEZZNS1_14partition_implILS5_6ELb0ES3_mN6thrust23THRUST_200600_302600_NS6detail15normal_iteratorINSA_10device_ptrIdEEEEPS6_SG_NS0_5tupleIJSF_S6_EEENSH_IJSG_SG_EEES6_PlJNSB_9not_fun_tI7is_evenIdEEEEEE10hipError_tPvRmT3_T4_T5_T6_T7_T9_mT8_P12ihipStream_tbDpT10_ENKUlT_T0_E_clISt17integral_constantIbLb0EES18_EEDaS13_S14_EUlS13_E_NS1_11comp_targetILNS1_3genE0ELNS1_11target_archE4294967295ELNS1_3gpuE0ELNS1_3repE0EEENS1_30default_config_static_selectorELNS0_4arch9wavefront6targetE0EEEvT1_,"axG",@progbits,_ZN7rocprim17ROCPRIM_400000_NS6detail17trampoline_kernelINS0_14default_configENS1_25partition_config_selectorILNS1_17partition_subalgoE6EdNS0_10empty_typeEbEEZZNS1_14partition_implILS5_6ELb0ES3_mN6thrust23THRUST_200600_302600_NS6detail15normal_iteratorINSA_10device_ptrIdEEEEPS6_SG_NS0_5tupleIJSF_S6_EEENSH_IJSG_SG_EEES6_PlJNSB_9not_fun_tI7is_evenIdEEEEEE10hipError_tPvRmT3_T4_T5_T6_T7_T9_mT8_P12ihipStream_tbDpT10_ENKUlT_T0_E_clISt17integral_constantIbLb0EES18_EEDaS13_S14_EUlS13_E_NS1_11comp_targetILNS1_3genE0ELNS1_11target_archE4294967295ELNS1_3gpuE0ELNS1_3repE0EEENS1_30default_config_static_selectorELNS0_4arch9wavefront6targetE0EEEvT1_,comdat
.Lfunc_end533:
	.size	_ZN7rocprim17ROCPRIM_400000_NS6detail17trampoline_kernelINS0_14default_configENS1_25partition_config_selectorILNS1_17partition_subalgoE6EdNS0_10empty_typeEbEEZZNS1_14partition_implILS5_6ELb0ES3_mN6thrust23THRUST_200600_302600_NS6detail15normal_iteratorINSA_10device_ptrIdEEEEPS6_SG_NS0_5tupleIJSF_S6_EEENSH_IJSG_SG_EEES6_PlJNSB_9not_fun_tI7is_evenIdEEEEEE10hipError_tPvRmT3_T4_T5_T6_T7_T9_mT8_P12ihipStream_tbDpT10_ENKUlT_T0_E_clISt17integral_constantIbLb0EES18_EEDaS13_S14_EUlS13_E_NS1_11comp_targetILNS1_3genE0ELNS1_11target_archE4294967295ELNS1_3gpuE0ELNS1_3repE0EEENS1_30default_config_static_selectorELNS0_4arch9wavefront6targetE0EEEvT1_, .Lfunc_end533-_ZN7rocprim17ROCPRIM_400000_NS6detail17trampoline_kernelINS0_14default_configENS1_25partition_config_selectorILNS1_17partition_subalgoE6EdNS0_10empty_typeEbEEZZNS1_14partition_implILS5_6ELb0ES3_mN6thrust23THRUST_200600_302600_NS6detail15normal_iteratorINSA_10device_ptrIdEEEEPS6_SG_NS0_5tupleIJSF_S6_EEENSH_IJSG_SG_EEES6_PlJNSB_9not_fun_tI7is_evenIdEEEEEE10hipError_tPvRmT3_T4_T5_T6_T7_T9_mT8_P12ihipStream_tbDpT10_ENKUlT_T0_E_clISt17integral_constantIbLb0EES18_EEDaS13_S14_EUlS13_E_NS1_11comp_targetILNS1_3genE0ELNS1_11target_archE4294967295ELNS1_3gpuE0ELNS1_3repE0EEENS1_30default_config_static_selectorELNS0_4arch9wavefront6targetE0EEEvT1_
                                        ; -- End function
	.set _ZN7rocprim17ROCPRIM_400000_NS6detail17trampoline_kernelINS0_14default_configENS1_25partition_config_selectorILNS1_17partition_subalgoE6EdNS0_10empty_typeEbEEZZNS1_14partition_implILS5_6ELb0ES3_mN6thrust23THRUST_200600_302600_NS6detail15normal_iteratorINSA_10device_ptrIdEEEEPS6_SG_NS0_5tupleIJSF_S6_EEENSH_IJSG_SG_EEES6_PlJNSB_9not_fun_tI7is_evenIdEEEEEE10hipError_tPvRmT3_T4_T5_T6_T7_T9_mT8_P12ihipStream_tbDpT10_ENKUlT_T0_E_clISt17integral_constantIbLb0EES18_EEDaS13_S14_EUlS13_E_NS1_11comp_targetILNS1_3genE0ELNS1_11target_archE4294967295ELNS1_3gpuE0ELNS1_3repE0EEENS1_30default_config_static_selectorELNS0_4arch9wavefront6targetE0EEEvT1_.num_vgpr, 0
	.set _ZN7rocprim17ROCPRIM_400000_NS6detail17trampoline_kernelINS0_14default_configENS1_25partition_config_selectorILNS1_17partition_subalgoE6EdNS0_10empty_typeEbEEZZNS1_14partition_implILS5_6ELb0ES3_mN6thrust23THRUST_200600_302600_NS6detail15normal_iteratorINSA_10device_ptrIdEEEEPS6_SG_NS0_5tupleIJSF_S6_EEENSH_IJSG_SG_EEES6_PlJNSB_9not_fun_tI7is_evenIdEEEEEE10hipError_tPvRmT3_T4_T5_T6_T7_T9_mT8_P12ihipStream_tbDpT10_ENKUlT_T0_E_clISt17integral_constantIbLb0EES18_EEDaS13_S14_EUlS13_E_NS1_11comp_targetILNS1_3genE0ELNS1_11target_archE4294967295ELNS1_3gpuE0ELNS1_3repE0EEENS1_30default_config_static_selectorELNS0_4arch9wavefront6targetE0EEEvT1_.num_agpr, 0
	.set _ZN7rocprim17ROCPRIM_400000_NS6detail17trampoline_kernelINS0_14default_configENS1_25partition_config_selectorILNS1_17partition_subalgoE6EdNS0_10empty_typeEbEEZZNS1_14partition_implILS5_6ELb0ES3_mN6thrust23THRUST_200600_302600_NS6detail15normal_iteratorINSA_10device_ptrIdEEEEPS6_SG_NS0_5tupleIJSF_S6_EEENSH_IJSG_SG_EEES6_PlJNSB_9not_fun_tI7is_evenIdEEEEEE10hipError_tPvRmT3_T4_T5_T6_T7_T9_mT8_P12ihipStream_tbDpT10_ENKUlT_T0_E_clISt17integral_constantIbLb0EES18_EEDaS13_S14_EUlS13_E_NS1_11comp_targetILNS1_3genE0ELNS1_11target_archE4294967295ELNS1_3gpuE0ELNS1_3repE0EEENS1_30default_config_static_selectorELNS0_4arch9wavefront6targetE0EEEvT1_.numbered_sgpr, 0
	.set _ZN7rocprim17ROCPRIM_400000_NS6detail17trampoline_kernelINS0_14default_configENS1_25partition_config_selectorILNS1_17partition_subalgoE6EdNS0_10empty_typeEbEEZZNS1_14partition_implILS5_6ELb0ES3_mN6thrust23THRUST_200600_302600_NS6detail15normal_iteratorINSA_10device_ptrIdEEEEPS6_SG_NS0_5tupleIJSF_S6_EEENSH_IJSG_SG_EEES6_PlJNSB_9not_fun_tI7is_evenIdEEEEEE10hipError_tPvRmT3_T4_T5_T6_T7_T9_mT8_P12ihipStream_tbDpT10_ENKUlT_T0_E_clISt17integral_constantIbLb0EES18_EEDaS13_S14_EUlS13_E_NS1_11comp_targetILNS1_3genE0ELNS1_11target_archE4294967295ELNS1_3gpuE0ELNS1_3repE0EEENS1_30default_config_static_selectorELNS0_4arch9wavefront6targetE0EEEvT1_.num_named_barrier, 0
	.set _ZN7rocprim17ROCPRIM_400000_NS6detail17trampoline_kernelINS0_14default_configENS1_25partition_config_selectorILNS1_17partition_subalgoE6EdNS0_10empty_typeEbEEZZNS1_14partition_implILS5_6ELb0ES3_mN6thrust23THRUST_200600_302600_NS6detail15normal_iteratorINSA_10device_ptrIdEEEEPS6_SG_NS0_5tupleIJSF_S6_EEENSH_IJSG_SG_EEES6_PlJNSB_9not_fun_tI7is_evenIdEEEEEE10hipError_tPvRmT3_T4_T5_T6_T7_T9_mT8_P12ihipStream_tbDpT10_ENKUlT_T0_E_clISt17integral_constantIbLb0EES18_EEDaS13_S14_EUlS13_E_NS1_11comp_targetILNS1_3genE0ELNS1_11target_archE4294967295ELNS1_3gpuE0ELNS1_3repE0EEENS1_30default_config_static_selectorELNS0_4arch9wavefront6targetE0EEEvT1_.private_seg_size, 0
	.set _ZN7rocprim17ROCPRIM_400000_NS6detail17trampoline_kernelINS0_14default_configENS1_25partition_config_selectorILNS1_17partition_subalgoE6EdNS0_10empty_typeEbEEZZNS1_14partition_implILS5_6ELb0ES3_mN6thrust23THRUST_200600_302600_NS6detail15normal_iteratorINSA_10device_ptrIdEEEEPS6_SG_NS0_5tupleIJSF_S6_EEENSH_IJSG_SG_EEES6_PlJNSB_9not_fun_tI7is_evenIdEEEEEE10hipError_tPvRmT3_T4_T5_T6_T7_T9_mT8_P12ihipStream_tbDpT10_ENKUlT_T0_E_clISt17integral_constantIbLb0EES18_EEDaS13_S14_EUlS13_E_NS1_11comp_targetILNS1_3genE0ELNS1_11target_archE4294967295ELNS1_3gpuE0ELNS1_3repE0EEENS1_30default_config_static_selectorELNS0_4arch9wavefront6targetE0EEEvT1_.uses_vcc, 0
	.set _ZN7rocprim17ROCPRIM_400000_NS6detail17trampoline_kernelINS0_14default_configENS1_25partition_config_selectorILNS1_17partition_subalgoE6EdNS0_10empty_typeEbEEZZNS1_14partition_implILS5_6ELb0ES3_mN6thrust23THRUST_200600_302600_NS6detail15normal_iteratorINSA_10device_ptrIdEEEEPS6_SG_NS0_5tupleIJSF_S6_EEENSH_IJSG_SG_EEES6_PlJNSB_9not_fun_tI7is_evenIdEEEEEE10hipError_tPvRmT3_T4_T5_T6_T7_T9_mT8_P12ihipStream_tbDpT10_ENKUlT_T0_E_clISt17integral_constantIbLb0EES18_EEDaS13_S14_EUlS13_E_NS1_11comp_targetILNS1_3genE0ELNS1_11target_archE4294967295ELNS1_3gpuE0ELNS1_3repE0EEENS1_30default_config_static_selectorELNS0_4arch9wavefront6targetE0EEEvT1_.uses_flat_scratch, 0
	.set _ZN7rocprim17ROCPRIM_400000_NS6detail17trampoline_kernelINS0_14default_configENS1_25partition_config_selectorILNS1_17partition_subalgoE6EdNS0_10empty_typeEbEEZZNS1_14partition_implILS5_6ELb0ES3_mN6thrust23THRUST_200600_302600_NS6detail15normal_iteratorINSA_10device_ptrIdEEEEPS6_SG_NS0_5tupleIJSF_S6_EEENSH_IJSG_SG_EEES6_PlJNSB_9not_fun_tI7is_evenIdEEEEEE10hipError_tPvRmT3_T4_T5_T6_T7_T9_mT8_P12ihipStream_tbDpT10_ENKUlT_T0_E_clISt17integral_constantIbLb0EES18_EEDaS13_S14_EUlS13_E_NS1_11comp_targetILNS1_3genE0ELNS1_11target_archE4294967295ELNS1_3gpuE0ELNS1_3repE0EEENS1_30default_config_static_selectorELNS0_4arch9wavefront6targetE0EEEvT1_.has_dyn_sized_stack, 0
	.set _ZN7rocprim17ROCPRIM_400000_NS6detail17trampoline_kernelINS0_14default_configENS1_25partition_config_selectorILNS1_17partition_subalgoE6EdNS0_10empty_typeEbEEZZNS1_14partition_implILS5_6ELb0ES3_mN6thrust23THRUST_200600_302600_NS6detail15normal_iteratorINSA_10device_ptrIdEEEEPS6_SG_NS0_5tupleIJSF_S6_EEENSH_IJSG_SG_EEES6_PlJNSB_9not_fun_tI7is_evenIdEEEEEE10hipError_tPvRmT3_T4_T5_T6_T7_T9_mT8_P12ihipStream_tbDpT10_ENKUlT_T0_E_clISt17integral_constantIbLb0EES18_EEDaS13_S14_EUlS13_E_NS1_11comp_targetILNS1_3genE0ELNS1_11target_archE4294967295ELNS1_3gpuE0ELNS1_3repE0EEENS1_30default_config_static_selectorELNS0_4arch9wavefront6targetE0EEEvT1_.has_recursion, 0
	.set _ZN7rocprim17ROCPRIM_400000_NS6detail17trampoline_kernelINS0_14default_configENS1_25partition_config_selectorILNS1_17partition_subalgoE6EdNS0_10empty_typeEbEEZZNS1_14partition_implILS5_6ELb0ES3_mN6thrust23THRUST_200600_302600_NS6detail15normal_iteratorINSA_10device_ptrIdEEEEPS6_SG_NS0_5tupleIJSF_S6_EEENSH_IJSG_SG_EEES6_PlJNSB_9not_fun_tI7is_evenIdEEEEEE10hipError_tPvRmT3_T4_T5_T6_T7_T9_mT8_P12ihipStream_tbDpT10_ENKUlT_T0_E_clISt17integral_constantIbLb0EES18_EEDaS13_S14_EUlS13_E_NS1_11comp_targetILNS1_3genE0ELNS1_11target_archE4294967295ELNS1_3gpuE0ELNS1_3repE0EEENS1_30default_config_static_selectorELNS0_4arch9wavefront6targetE0EEEvT1_.has_indirect_call, 0
	.section	.AMDGPU.csdata,"",@progbits
; Kernel info:
; codeLenInByte = 0
; TotalNumSgprs: 0
; NumVgprs: 0
; ScratchSize: 0
; MemoryBound: 0
; FloatMode: 240
; IeeeMode: 1
; LDSByteSize: 0 bytes/workgroup (compile time only)
; SGPRBlocks: 0
; VGPRBlocks: 0
; NumSGPRsForWavesPerEU: 1
; NumVGPRsForWavesPerEU: 1
; Occupancy: 16
; WaveLimiterHint : 0
; COMPUTE_PGM_RSRC2:SCRATCH_EN: 0
; COMPUTE_PGM_RSRC2:USER_SGPR: 2
; COMPUTE_PGM_RSRC2:TRAP_HANDLER: 0
; COMPUTE_PGM_RSRC2:TGID_X_EN: 1
; COMPUTE_PGM_RSRC2:TGID_Y_EN: 0
; COMPUTE_PGM_RSRC2:TGID_Z_EN: 0
; COMPUTE_PGM_RSRC2:TIDIG_COMP_CNT: 0
	.section	.text._ZN7rocprim17ROCPRIM_400000_NS6detail17trampoline_kernelINS0_14default_configENS1_25partition_config_selectorILNS1_17partition_subalgoE6EdNS0_10empty_typeEbEEZZNS1_14partition_implILS5_6ELb0ES3_mN6thrust23THRUST_200600_302600_NS6detail15normal_iteratorINSA_10device_ptrIdEEEEPS6_SG_NS0_5tupleIJSF_S6_EEENSH_IJSG_SG_EEES6_PlJNSB_9not_fun_tI7is_evenIdEEEEEE10hipError_tPvRmT3_T4_T5_T6_T7_T9_mT8_P12ihipStream_tbDpT10_ENKUlT_T0_E_clISt17integral_constantIbLb0EES18_EEDaS13_S14_EUlS13_E_NS1_11comp_targetILNS1_3genE5ELNS1_11target_archE942ELNS1_3gpuE9ELNS1_3repE0EEENS1_30default_config_static_selectorELNS0_4arch9wavefront6targetE0EEEvT1_,"axG",@progbits,_ZN7rocprim17ROCPRIM_400000_NS6detail17trampoline_kernelINS0_14default_configENS1_25partition_config_selectorILNS1_17partition_subalgoE6EdNS0_10empty_typeEbEEZZNS1_14partition_implILS5_6ELb0ES3_mN6thrust23THRUST_200600_302600_NS6detail15normal_iteratorINSA_10device_ptrIdEEEEPS6_SG_NS0_5tupleIJSF_S6_EEENSH_IJSG_SG_EEES6_PlJNSB_9not_fun_tI7is_evenIdEEEEEE10hipError_tPvRmT3_T4_T5_T6_T7_T9_mT8_P12ihipStream_tbDpT10_ENKUlT_T0_E_clISt17integral_constantIbLb0EES18_EEDaS13_S14_EUlS13_E_NS1_11comp_targetILNS1_3genE5ELNS1_11target_archE942ELNS1_3gpuE9ELNS1_3repE0EEENS1_30default_config_static_selectorELNS0_4arch9wavefront6targetE0EEEvT1_,comdat
	.protected	_ZN7rocprim17ROCPRIM_400000_NS6detail17trampoline_kernelINS0_14default_configENS1_25partition_config_selectorILNS1_17partition_subalgoE6EdNS0_10empty_typeEbEEZZNS1_14partition_implILS5_6ELb0ES3_mN6thrust23THRUST_200600_302600_NS6detail15normal_iteratorINSA_10device_ptrIdEEEEPS6_SG_NS0_5tupleIJSF_S6_EEENSH_IJSG_SG_EEES6_PlJNSB_9not_fun_tI7is_evenIdEEEEEE10hipError_tPvRmT3_T4_T5_T6_T7_T9_mT8_P12ihipStream_tbDpT10_ENKUlT_T0_E_clISt17integral_constantIbLb0EES18_EEDaS13_S14_EUlS13_E_NS1_11comp_targetILNS1_3genE5ELNS1_11target_archE942ELNS1_3gpuE9ELNS1_3repE0EEENS1_30default_config_static_selectorELNS0_4arch9wavefront6targetE0EEEvT1_ ; -- Begin function _ZN7rocprim17ROCPRIM_400000_NS6detail17trampoline_kernelINS0_14default_configENS1_25partition_config_selectorILNS1_17partition_subalgoE6EdNS0_10empty_typeEbEEZZNS1_14partition_implILS5_6ELb0ES3_mN6thrust23THRUST_200600_302600_NS6detail15normal_iteratorINSA_10device_ptrIdEEEEPS6_SG_NS0_5tupleIJSF_S6_EEENSH_IJSG_SG_EEES6_PlJNSB_9not_fun_tI7is_evenIdEEEEEE10hipError_tPvRmT3_T4_T5_T6_T7_T9_mT8_P12ihipStream_tbDpT10_ENKUlT_T0_E_clISt17integral_constantIbLb0EES18_EEDaS13_S14_EUlS13_E_NS1_11comp_targetILNS1_3genE5ELNS1_11target_archE942ELNS1_3gpuE9ELNS1_3repE0EEENS1_30default_config_static_selectorELNS0_4arch9wavefront6targetE0EEEvT1_
	.globl	_ZN7rocprim17ROCPRIM_400000_NS6detail17trampoline_kernelINS0_14default_configENS1_25partition_config_selectorILNS1_17partition_subalgoE6EdNS0_10empty_typeEbEEZZNS1_14partition_implILS5_6ELb0ES3_mN6thrust23THRUST_200600_302600_NS6detail15normal_iteratorINSA_10device_ptrIdEEEEPS6_SG_NS0_5tupleIJSF_S6_EEENSH_IJSG_SG_EEES6_PlJNSB_9not_fun_tI7is_evenIdEEEEEE10hipError_tPvRmT3_T4_T5_T6_T7_T9_mT8_P12ihipStream_tbDpT10_ENKUlT_T0_E_clISt17integral_constantIbLb0EES18_EEDaS13_S14_EUlS13_E_NS1_11comp_targetILNS1_3genE5ELNS1_11target_archE942ELNS1_3gpuE9ELNS1_3repE0EEENS1_30default_config_static_selectorELNS0_4arch9wavefront6targetE0EEEvT1_
	.p2align	8
	.type	_ZN7rocprim17ROCPRIM_400000_NS6detail17trampoline_kernelINS0_14default_configENS1_25partition_config_selectorILNS1_17partition_subalgoE6EdNS0_10empty_typeEbEEZZNS1_14partition_implILS5_6ELb0ES3_mN6thrust23THRUST_200600_302600_NS6detail15normal_iteratorINSA_10device_ptrIdEEEEPS6_SG_NS0_5tupleIJSF_S6_EEENSH_IJSG_SG_EEES6_PlJNSB_9not_fun_tI7is_evenIdEEEEEE10hipError_tPvRmT3_T4_T5_T6_T7_T9_mT8_P12ihipStream_tbDpT10_ENKUlT_T0_E_clISt17integral_constantIbLb0EES18_EEDaS13_S14_EUlS13_E_NS1_11comp_targetILNS1_3genE5ELNS1_11target_archE942ELNS1_3gpuE9ELNS1_3repE0EEENS1_30default_config_static_selectorELNS0_4arch9wavefront6targetE0EEEvT1_,@function
_ZN7rocprim17ROCPRIM_400000_NS6detail17trampoline_kernelINS0_14default_configENS1_25partition_config_selectorILNS1_17partition_subalgoE6EdNS0_10empty_typeEbEEZZNS1_14partition_implILS5_6ELb0ES3_mN6thrust23THRUST_200600_302600_NS6detail15normal_iteratorINSA_10device_ptrIdEEEEPS6_SG_NS0_5tupleIJSF_S6_EEENSH_IJSG_SG_EEES6_PlJNSB_9not_fun_tI7is_evenIdEEEEEE10hipError_tPvRmT3_T4_T5_T6_T7_T9_mT8_P12ihipStream_tbDpT10_ENKUlT_T0_E_clISt17integral_constantIbLb0EES18_EEDaS13_S14_EUlS13_E_NS1_11comp_targetILNS1_3genE5ELNS1_11target_archE942ELNS1_3gpuE9ELNS1_3repE0EEENS1_30default_config_static_selectorELNS0_4arch9wavefront6targetE0EEEvT1_: ; @_ZN7rocprim17ROCPRIM_400000_NS6detail17trampoline_kernelINS0_14default_configENS1_25partition_config_selectorILNS1_17partition_subalgoE6EdNS0_10empty_typeEbEEZZNS1_14partition_implILS5_6ELb0ES3_mN6thrust23THRUST_200600_302600_NS6detail15normal_iteratorINSA_10device_ptrIdEEEEPS6_SG_NS0_5tupleIJSF_S6_EEENSH_IJSG_SG_EEES6_PlJNSB_9not_fun_tI7is_evenIdEEEEEE10hipError_tPvRmT3_T4_T5_T6_T7_T9_mT8_P12ihipStream_tbDpT10_ENKUlT_T0_E_clISt17integral_constantIbLb0EES18_EEDaS13_S14_EUlS13_E_NS1_11comp_targetILNS1_3genE5ELNS1_11target_archE942ELNS1_3gpuE9ELNS1_3repE0EEENS1_30default_config_static_selectorELNS0_4arch9wavefront6targetE0EEEvT1_
; %bb.0:
	.section	.rodata,"a",@progbits
	.p2align	6, 0x0
	.amdhsa_kernel _ZN7rocprim17ROCPRIM_400000_NS6detail17trampoline_kernelINS0_14default_configENS1_25partition_config_selectorILNS1_17partition_subalgoE6EdNS0_10empty_typeEbEEZZNS1_14partition_implILS5_6ELb0ES3_mN6thrust23THRUST_200600_302600_NS6detail15normal_iteratorINSA_10device_ptrIdEEEEPS6_SG_NS0_5tupleIJSF_S6_EEENSH_IJSG_SG_EEES6_PlJNSB_9not_fun_tI7is_evenIdEEEEEE10hipError_tPvRmT3_T4_T5_T6_T7_T9_mT8_P12ihipStream_tbDpT10_ENKUlT_T0_E_clISt17integral_constantIbLb0EES18_EEDaS13_S14_EUlS13_E_NS1_11comp_targetILNS1_3genE5ELNS1_11target_archE942ELNS1_3gpuE9ELNS1_3repE0EEENS1_30default_config_static_selectorELNS0_4arch9wavefront6targetE0EEEvT1_
		.amdhsa_group_segment_fixed_size 0
		.amdhsa_private_segment_fixed_size 0
		.amdhsa_kernarg_size 112
		.amdhsa_user_sgpr_count 2
		.amdhsa_user_sgpr_dispatch_ptr 0
		.amdhsa_user_sgpr_queue_ptr 0
		.amdhsa_user_sgpr_kernarg_segment_ptr 1
		.amdhsa_user_sgpr_dispatch_id 0
		.amdhsa_user_sgpr_private_segment_size 0
		.amdhsa_wavefront_size32 1
		.amdhsa_uses_dynamic_stack 0
		.amdhsa_enable_private_segment 0
		.amdhsa_system_sgpr_workgroup_id_x 1
		.amdhsa_system_sgpr_workgroup_id_y 0
		.amdhsa_system_sgpr_workgroup_id_z 0
		.amdhsa_system_sgpr_workgroup_info 0
		.amdhsa_system_vgpr_workitem_id 0
		.amdhsa_next_free_vgpr 1
		.amdhsa_next_free_sgpr 1
		.amdhsa_reserve_vcc 0
		.amdhsa_float_round_mode_32 0
		.amdhsa_float_round_mode_16_64 0
		.amdhsa_float_denorm_mode_32 3
		.amdhsa_float_denorm_mode_16_64 3
		.amdhsa_fp16_overflow 0
		.amdhsa_workgroup_processor_mode 1
		.amdhsa_memory_ordered 1
		.amdhsa_forward_progress 1
		.amdhsa_inst_pref_size 0
		.amdhsa_round_robin_scheduling 0
		.amdhsa_exception_fp_ieee_invalid_op 0
		.amdhsa_exception_fp_denorm_src 0
		.amdhsa_exception_fp_ieee_div_zero 0
		.amdhsa_exception_fp_ieee_overflow 0
		.amdhsa_exception_fp_ieee_underflow 0
		.amdhsa_exception_fp_ieee_inexact 0
		.amdhsa_exception_int_div_zero 0
	.end_amdhsa_kernel
	.section	.text._ZN7rocprim17ROCPRIM_400000_NS6detail17trampoline_kernelINS0_14default_configENS1_25partition_config_selectorILNS1_17partition_subalgoE6EdNS0_10empty_typeEbEEZZNS1_14partition_implILS5_6ELb0ES3_mN6thrust23THRUST_200600_302600_NS6detail15normal_iteratorINSA_10device_ptrIdEEEEPS6_SG_NS0_5tupleIJSF_S6_EEENSH_IJSG_SG_EEES6_PlJNSB_9not_fun_tI7is_evenIdEEEEEE10hipError_tPvRmT3_T4_T5_T6_T7_T9_mT8_P12ihipStream_tbDpT10_ENKUlT_T0_E_clISt17integral_constantIbLb0EES18_EEDaS13_S14_EUlS13_E_NS1_11comp_targetILNS1_3genE5ELNS1_11target_archE942ELNS1_3gpuE9ELNS1_3repE0EEENS1_30default_config_static_selectorELNS0_4arch9wavefront6targetE0EEEvT1_,"axG",@progbits,_ZN7rocprim17ROCPRIM_400000_NS6detail17trampoline_kernelINS0_14default_configENS1_25partition_config_selectorILNS1_17partition_subalgoE6EdNS0_10empty_typeEbEEZZNS1_14partition_implILS5_6ELb0ES3_mN6thrust23THRUST_200600_302600_NS6detail15normal_iteratorINSA_10device_ptrIdEEEEPS6_SG_NS0_5tupleIJSF_S6_EEENSH_IJSG_SG_EEES6_PlJNSB_9not_fun_tI7is_evenIdEEEEEE10hipError_tPvRmT3_T4_T5_T6_T7_T9_mT8_P12ihipStream_tbDpT10_ENKUlT_T0_E_clISt17integral_constantIbLb0EES18_EEDaS13_S14_EUlS13_E_NS1_11comp_targetILNS1_3genE5ELNS1_11target_archE942ELNS1_3gpuE9ELNS1_3repE0EEENS1_30default_config_static_selectorELNS0_4arch9wavefront6targetE0EEEvT1_,comdat
.Lfunc_end534:
	.size	_ZN7rocprim17ROCPRIM_400000_NS6detail17trampoline_kernelINS0_14default_configENS1_25partition_config_selectorILNS1_17partition_subalgoE6EdNS0_10empty_typeEbEEZZNS1_14partition_implILS5_6ELb0ES3_mN6thrust23THRUST_200600_302600_NS6detail15normal_iteratorINSA_10device_ptrIdEEEEPS6_SG_NS0_5tupleIJSF_S6_EEENSH_IJSG_SG_EEES6_PlJNSB_9not_fun_tI7is_evenIdEEEEEE10hipError_tPvRmT3_T4_T5_T6_T7_T9_mT8_P12ihipStream_tbDpT10_ENKUlT_T0_E_clISt17integral_constantIbLb0EES18_EEDaS13_S14_EUlS13_E_NS1_11comp_targetILNS1_3genE5ELNS1_11target_archE942ELNS1_3gpuE9ELNS1_3repE0EEENS1_30default_config_static_selectorELNS0_4arch9wavefront6targetE0EEEvT1_, .Lfunc_end534-_ZN7rocprim17ROCPRIM_400000_NS6detail17trampoline_kernelINS0_14default_configENS1_25partition_config_selectorILNS1_17partition_subalgoE6EdNS0_10empty_typeEbEEZZNS1_14partition_implILS5_6ELb0ES3_mN6thrust23THRUST_200600_302600_NS6detail15normal_iteratorINSA_10device_ptrIdEEEEPS6_SG_NS0_5tupleIJSF_S6_EEENSH_IJSG_SG_EEES6_PlJNSB_9not_fun_tI7is_evenIdEEEEEE10hipError_tPvRmT3_T4_T5_T6_T7_T9_mT8_P12ihipStream_tbDpT10_ENKUlT_T0_E_clISt17integral_constantIbLb0EES18_EEDaS13_S14_EUlS13_E_NS1_11comp_targetILNS1_3genE5ELNS1_11target_archE942ELNS1_3gpuE9ELNS1_3repE0EEENS1_30default_config_static_selectorELNS0_4arch9wavefront6targetE0EEEvT1_
                                        ; -- End function
	.set _ZN7rocprim17ROCPRIM_400000_NS6detail17trampoline_kernelINS0_14default_configENS1_25partition_config_selectorILNS1_17partition_subalgoE6EdNS0_10empty_typeEbEEZZNS1_14partition_implILS5_6ELb0ES3_mN6thrust23THRUST_200600_302600_NS6detail15normal_iteratorINSA_10device_ptrIdEEEEPS6_SG_NS0_5tupleIJSF_S6_EEENSH_IJSG_SG_EEES6_PlJNSB_9not_fun_tI7is_evenIdEEEEEE10hipError_tPvRmT3_T4_T5_T6_T7_T9_mT8_P12ihipStream_tbDpT10_ENKUlT_T0_E_clISt17integral_constantIbLb0EES18_EEDaS13_S14_EUlS13_E_NS1_11comp_targetILNS1_3genE5ELNS1_11target_archE942ELNS1_3gpuE9ELNS1_3repE0EEENS1_30default_config_static_selectorELNS0_4arch9wavefront6targetE0EEEvT1_.num_vgpr, 0
	.set _ZN7rocprim17ROCPRIM_400000_NS6detail17trampoline_kernelINS0_14default_configENS1_25partition_config_selectorILNS1_17partition_subalgoE6EdNS0_10empty_typeEbEEZZNS1_14partition_implILS5_6ELb0ES3_mN6thrust23THRUST_200600_302600_NS6detail15normal_iteratorINSA_10device_ptrIdEEEEPS6_SG_NS0_5tupleIJSF_S6_EEENSH_IJSG_SG_EEES6_PlJNSB_9not_fun_tI7is_evenIdEEEEEE10hipError_tPvRmT3_T4_T5_T6_T7_T9_mT8_P12ihipStream_tbDpT10_ENKUlT_T0_E_clISt17integral_constantIbLb0EES18_EEDaS13_S14_EUlS13_E_NS1_11comp_targetILNS1_3genE5ELNS1_11target_archE942ELNS1_3gpuE9ELNS1_3repE0EEENS1_30default_config_static_selectorELNS0_4arch9wavefront6targetE0EEEvT1_.num_agpr, 0
	.set _ZN7rocprim17ROCPRIM_400000_NS6detail17trampoline_kernelINS0_14default_configENS1_25partition_config_selectorILNS1_17partition_subalgoE6EdNS0_10empty_typeEbEEZZNS1_14partition_implILS5_6ELb0ES3_mN6thrust23THRUST_200600_302600_NS6detail15normal_iteratorINSA_10device_ptrIdEEEEPS6_SG_NS0_5tupleIJSF_S6_EEENSH_IJSG_SG_EEES6_PlJNSB_9not_fun_tI7is_evenIdEEEEEE10hipError_tPvRmT3_T4_T5_T6_T7_T9_mT8_P12ihipStream_tbDpT10_ENKUlT_T0_E_clISt17integral_constantIbLb0EES18_EEDaS13_S14_EUlS13_E_NS1_11comp_targetILNS1_3genE5ELNS1_11target_archE942ELNS1_3gpuE9ELNS1_3repE0EEENS1_30default_config_static_selectorELNS0_4arch9wavefront6targetE0EEEvT1_.numbered_sgpr, 0
	.set _ZN7rocprim17ROCPRIM_400000_NS6detail17trampoline_kernelINS0_14default_configENS1_25partition_config_selectorILNS1_17partition_subalgoE6EdNS0_10empty_typeEbEEZZNS1_14partition_implILS5_6ELb0ES3_mN6thrust23THRUST_200600_302600_NS6detail15normal_iteratorINSA_10device_ptrIdEEEEPS6_SG_NS0_5tupleIJSF_S6_EEENSH_IJSG_SG_EEES6_PlJNSB_9not_fun_tI7is_evenIdEEEEEE10hipError_tPvRmT3_T4_T5_T6_T7_T9_mT8_P12ihipStream_tbDpT10_ENKUlT_T0_E_clISt17integral_constantIbLb0EES18_EEDaS13_S14_EUlS13_E_NS1_11comp_targetILNS1_3genE5ELNS1_11target_archE942ELNS1_3gpuE9ELNS1_3repE0EEENS1_30default_config_static_selectorELNS0_4arch9wavefront6targetE0EEEvT1_.num_named_barrier, 0
	.set _ZN7rocprim17ROCPRIM_400000_NS6detail17trampoline_kernelINS0_14default_configENS1_25partition_config_selectorILNS1_17partition_subalgoE6EdNS0_10empty_typeEbEEZZNS1_14partition_implILS5_6ELb0ES3_mN6thrust23THRUST_200600_302600_NS6detail15normal_iteratorINSA_10device_ptrIdEEEEPS6_SG_NS0_5tupleIJSF_S6_EEENSH_IJSG_SG_EEES6_PlJNSB_9not_fun_tI7is_evenIdEEEEEE10hipError_tPvRmT3_T4_T5_T6_T7_T9_mT8_P12ihipStream_tbDpT10_ENKUlT_T0_E_clISt17integral_constantIbLb0EES18_EEDaS13_S14_EUlS13_E_NS1_11comp_targetILNS1_3genE5ELNS1_11target_archE942ELNS1_3gpuE9ELNS1_3repE0EEENS1_30default_config_static_selectorELNS0_4arch9wavefront6targetE0EEEvT1_.private_seg_size, 0
	.set _ZN7rocprim17ROCPRIM_400000_NS6detail17trampoline_kernelINS0_14default_configENS1_25partition_config_selectorILNS1_17partition_subalgoE6EdNS0_10empty_typeEbEEZZNS1_14partition_implILS5_6ELb0ES3_mN6thrust23THRUST_200600_302600_NS6detail15normal_iteratorINSA_10device_ptrIdEEEEPS6_SG_NS0_5tupleIJSF_S6_EEENSH_IJSG_SG_EEES6_PlJNSB_9not_fun_tI7is_evenIdEEEEEE10hipError_tPvRmT3_T4_T5_T6_T7_T9_mT8_P12ihipStream_tbDpT10_ENKUlT_T0_E_clISt17integral_constantIbLb0EES18_EEDaS13_S14_EUlS13_E_NS1_11comp_targetILNS1_3genE5ELNS1_11target_archE942ELNS1_3gpuE9ELNS1_3repE0EEENS1_30default_config_static_selectorELNS0_4arch9wavefront6targetE0EEEvT1_.uses_vcc, 0
	.set _ZN7rocprim17ROCPRIM_400000_NS6detail17trampoline_kernelINS0_14default_configENS1_25partition_config_selectorILNS1_17partition_subalgoE6EdNS0_10empty_typeEbEEZZNS1_14partition_implILS5_6ELb0ES3_mN6thrust23THRUST_200600_302600_NS6detail15normal_iteratorINSA_10device_ptrIdEEEEPS6_SG_NS0_5tupleIJSF_S6_EEENSH_IJSG_SG_EEES6_PlJNSB_9not_fun_tI7is_evenIdEEEEEE10hipError_tPvRmT3_T4_T5_T6_T7_T9_mT8_P12ihipStream_tbDpT10_ENKUlT_T0_E_clISt17integral_constantIbLb0EES18_EEDaS13_S14_EUlS13_E_NS1_11comp_targetILNS1_3genE5ELNS1_11target_archE942ELNS1_3gpuE9ELNS1_3repE0EEENS1_30default_config_static_selectorELNS0_4arch9wavefront6targetE0EEEvT1_.uses_flat_scratch, 0
	.set _ZN7rocprim17ROCPRIM_400000_NS6detail17trampoline_kernelINS0_14default_configENS1_25partition_config_selectorILNS1_17partition_subalgoE6EdNS0_10empty_typeEbEEZZNS1_14partition_implILS5_6ELb0ES3_mN6thrust23THRUST_200600_302600_NS6detail15normal_iteratorINSA_10device_ptrIdEEEEPS6_SG_NS0_5tupleIJSF_S6_EEENSH_IJSG_SG_EEES6_PlJNSB_9not_fun_tI7is_evenIdEEEEEE10hipError_tPvRmT3_T4_T5_T6_T7_T9_mT8_P12ihipStream_tbDpT10_ENKUlT_T0_E_clISt17integral_constantIbLb0EES18_EEDaS13_S14_EUlS13_E_NS1_11comp_targetILNS1_3genE5ELNS1_11target_archE942ELNS1_3gpuE9ELNS1_3repE0EEENS1_30default_config_static_selectorELNS0_4arch9wavefront6targetE0EEEvT1_.has_dyn_sized_stack, 0
	.set _ZN7rocprim17ROCPRIM_400000_NS6detail17trampoline_kernelINS0_14default_configENS1_25partition_config_selectorILNS1_17partition_subalgoE6EdNS0_10empty_typeEbEEZZNS1_14partition_implILS5_6ELb0ES3_mN6thrust23THRUST_200600_302600_NS6detail15normal_iteratorINSA_10device_ptrIdEEEEPS6_SG_NS0_5tupleIJSF_S6_EEENSH_IJSG_SG_EEES6_PlJNSB_9not_fun_tI7is_evenIdEEEEEE10hipError_tPvRmT3_T4_T5_T6_T7_T9_mT8_P12ihipStream_tbDpT10_ENKUlT_T0_E_clISt17integral_constantIbLb0EES18_EEDaS13_S14_EUlS13_E_NS1_11comp_targetILNS1_3genE5ELNS1_11target_archE942ELNS1_3gpuE9ELNS1_3repE0EEENS1_30default_config_static_selectorELNS0_4arch9wavefront6targetE0EEEvT1_.has_recursion, 0
	.set _ZN7rocprim17ROCPRIM_400000_NS6detail17trampoline_kernelINS0_14default_configENS1_25partition_config_selectorILNS1_17partition_subalgoE6EdNS0_10empty_typeEbEEZZNS1_14partition_implILS5_6ELb0ES3_mN6thrust23THRUST_200600_302600_NS6detail15normal_iteratorINSA_10device_ptrIdEEEEPS6_SG_NS0_5tupleIJSF_S6_EEENSH_IJSG_SG_EEES6_PlJNSB_9not_fun_tI7is_evenIdEEEEEE10hipError_tPvRmT3_T4_T5_T6_T7_T9_mT8_P12ihipStream_tbDpT10_ENKUlT_T0_E_clISt17integral_constantIbLb0EES18_EEDaS13_S14_EUlS13_E_NS1_11comp_targetILNS1_3genE5ELNS1_11target_archE942ELNS1_3gpuE9ELNS1_3repE0EEENS1_30default_config_static_selectorELNS0_4arch9wavefront6targetE0EEEvT1_.has_indirect_call, 0
	.section	.AMDGPU.csdata,"",@progbits
; Kernel info:
; codeLenInByte = 0
; TotalNumSgprs: 0
; NumVgprs: 0
; ScratchSize: 0
; MemoryBound: 0
; FloatMode: 240
; IeeeMode: 1
; LDSByteSize: 0 bytes/workgroup (compile time only)
; SGPRBlocks: 0
; VGPRBlocks: 0
; NumSGPRsForWavesPerEU: 1
; NumVGPRsForWavesPerEU: 1
; Occupancy: 16
; WaveLimiterHint : 0
; COMPUTE_PGM_RSRC2:SCRATCH_EN: 0
; COMPUTE_PGM_RSRC2:USER_SGPR: 2
; COMPUTE_PGM_RSRC2:TRAP_HANDLER: 0
; COMPUTE_PGM_RSRC2:TGID_X_EN: 1
; COMPUTE_PGM_RSRC2:TGID_Y_EN: 0
; COMPUTE_PGM_RSRC2:TGID_Z_EN: 0
; COMPUTE_PGM_RSRC2:TIDIG_COMP_CNT: 0
	.section	.text._ZN7rocprim17ROCPRIM_400000_NS6detail17trampoline_kernelINS0_14default_configENS1_25partition_config_selectorILNS1_17partition_subalgoE6EdNS0_10empty_typeEbEEZZNS1_14partition_implILS5_6ELb0ES3_mN6thrust23THRUST_200600_302600_NS6detail15normal_iteratorINSA_10device_ptrIdEEEEPS6_SG_NS0_5tupleIJSF_S6_EEENSH_IJSG_SG_EEES6_PlJNSB_9not_fun_tI7is_evenIdEEEEEE10hipError_tPvRmT3_T4_T5_T6_T7_T9_mT8_P12ihipStream_tbDpT10_ENKUlT_T0_E_clISt17integral_constantIbLb0EES18_EEDaS13_S14_EUlS13_E_NS1_11comp_targetILNS1_3genE4ELNS1_11target_archE910ELNS1_3gpuE8ELNS1_3repE0EEENS1_30default_config_static_selectorELNS0_4arch9wavefront6targetE0EEEvT1_,"axG",@progbits,_ZN7rocprim17ROCPRIM_400000_NS6detail17trampoline_kernelINS0_14default_configENS1_25partition_config_selectorILNS1_17partition_subalgoE6EdNS0_10empty_typeEbEEZZNS1_14partition_implILS5_6ELb0ES3_mN6thrust23THRUST_200600_302600_NS6detail15normal_iteratorINSA_10device_ptrIdEEEEPS6_SG_NS0_5tupleIJSF_S6_EEENSH_IJSG_SG_EEES6_PlJNSB_9not_fun_tI7is_evenIdEEEEEE10hipError_tPvRmT3_T4_T5_T6_T7_T9_mT8_P12ihipStream_tbDpT10_ENKUlT_T0_E_clISt17integral_constantIbLb0EES18_EEDaS13_S14_EUlS13_E_NS1_11comp_targetILNS1_3genE4ELNS1_11target_archE910ELNS1_3gpuE8ELNS1_3repE0EEENS1_30default_config_static_selectorELNS0_4arch9wavefront6targetE0EEEvT1_,comdat
	.protected	_ZN7rocprim17ROCPRIM_400000_NS6detail17trampoline_kernelINS0_14default_configENS1_25partition_config_selectorILNS1_17partition_subalgoE6EdNS0_10empty_typeEbEEZZNS1_14partition_implILS5_6ELb0ES3_mN6thrust23THRUST_200600_302600_NS6detail15normal_iteratorINSA_10device_ptrIdEEEEPS6_SG_NS0_5tupleIJSF_S6_EEENSH_IJSG_SG_EEES6_PlJNSB_9not_fun_tI7is_evenIdEEEEEE10hipError_tPvRmT3_T4_T5_T6_T7_T9_mT8_P12ihipStream_tbDpT10_ENKUlT_T0_E_clISt17integral_constantIbLb0EES18_EEDaS13_S14_EUlS13_E_NS1_11comp_targetILNS1_3genE4ELNS1_11target_archE910ELNS1_3gpuE8ELNS1_3repE0EEENS1_30default_config_static_selectorELNS0_4arch9wavefront6targetE0EEEvT1_ ; -- Begin function _ZN7rocprim17ROCPRIM_400000_NS6detail17trampoline_kernelINS0_14default_configENS1_25partition_config_selectorILNS1_17partition_subalgoE6EdNS0_10empty_typeEbEEZZNS1_14partition_implILS5_6ELb0ES3_mN6thrust23THRUST_200600_302600_NS6detail15normal_iteratorINSA_10device_ptrIdEEEEPS6_SG_NS0_5tupleIJSF_S6_EEENSH_IJSG_SG_EEES6_PlJNSB_9not_fun_tI7is_evenIdEEEEEE10hipError_tPvRmT3_T4_T5_T6_T7_T9_mT8_P12ihipStream_tbDpT10_ENKUlT_T0_E_clISt17integral_constantIbLb0EES18_EEDaS13_S14_EUlS13_E_NS1_11comp_targetILNS1_3genE4ELNS1_11target_archE910ELNS1_3gpuE8ELNS1_3repE0EEENS1_30default_config_static_selectorELNS0_4arch9wavefront6targetE0EEEvT1_
	.globl	_ZN7rocprim17ROCPRIM_400000_NS6detail17trampoline_kernelINS0_14default_configENS1_25partition_config_selectorILNS1_17partition_subalgoE6EdNS0_10empty_typeEbEEZZNS1_14partition_implILS5_6ELb0ES3_mN6thrust23THRUST_200600_302600_NS6detail15normal_iteratorINSA_10device_ptrIdEEEEPS6_SG_NS0_5tupleIJSF_S6_EEENSH_IJSG_SG_EEES6_PlJNSB_9not_fun_tI7is_evenIdEEEEEE10hipError_tPvRmT3_T4_T5_T6_T7_T9_mT8_P12ihipStream_tbDpT10_ENKUlT_T0_E_clISt17integral_constantIbLb0EES18_EEDaS13_S14_EUlS13_E_NS1_11comp_targetILNS1_3genE4ELNS1_11target_archE910ELNS1_3gpuE8ELNS1_3repE0EEENS1_30default_config_static_selectorELNS0_4arch9wavefront6targetE0EEEvT1_
	.p2align	8
	.type	_ZN7rocprim17ROCPRIM_400000_NS6detail17trampoline_kernelINS0_14default_configENS1_25partition_config_selectorILNS1_17partition_subalgoE6EdNS0_10empty_typeEbEEZZNS1_14partition_implILS5_6ELb0ES3_mN6thrust23THRUST_200600_302600_NS6detail15normal_iteratorINSA_10device_ptrIdEEEEPS6_SG_NS0_5tupleIJSF_S6_EEENSH_IJSG_SG_EEES6_PlJNSB_9not_fun_tI7is_evenIdEEEEEE10hipError_tPvRmT3_T4_T5_T6_T7_T9_mT8_P12ihipStream_tbDpT10_ENKUlT_T0_E_clISt17integral_constantIbLb0EES18_EEDaS13_S14_EUlS13_E_NS1_11comp_targetILNS1_3genE4ELNS1_11target_archE910ELNS1_3gpuE8ELNS1_3repE0EEENS1_30default_config_static_selectorELNS0_4arch9wavefront6targetE0EEEvT1_,@function
_ZN7rocprim17ROCPRIM_400000_NS6detail17trampoline_kernelINS0_14default_configENS1_25partition_config_selectorILNS1_17partition_subalgoE6EdNS0_10empty_typeEbEEZZNS1_14partition_implILS5_6ELb0ES3_mN6thrust23THRUST_200600_302600_NS6detail15normal_iteratorINSA_10device_ptrIdEEEEPS6_SG_NS0_5tupleIJSF_S6_EEENSH_IJSG_SG_EEES6_PlJNSB_9not_fun_tI7is_evenIdEEEEEE10hipError_tPvRmT3_T4_T5_T6_T7_T9_mT8_P12ihipStream_tbDpT10_ENKUlT_T0_E_clISt17integral_constantIbLb0EES18_EEDaS13_S14_EUlS13_E_NS1_11comp_targetILNS1_3genE4ELNS1_11target_archE910ELNS1_3gpuE8ELNS1_3repE0EEENS1_30default_config_static_selectorELNS0_4arch9wavefront6targetE0EEEvT1_: ; @_ZN7rocprim17ROCPRIM_400000_NS6detail17trampoline_kernelINS0_14default_configENS1_25partition_config_selectorILNS1_17partition_subalgoE6EdNS0_10empty_typeEbEEZZNS1_14partition_implILS5_6ELb0ES3_mN6thrust23THRUST_200600_302600_NS6detail15normal_iteratorINSA_10device_ptrIdEEEEPS6_SG_NS0_5tupleIJSF_S6_EEENSH_IJSG_SG_EEES6_PlJNSB_9not_fun_tI7is_evenIdEEEEEE10hipError_tPvRmT3_T4_T5_T6_T7_T9_mT8_P12ihipStream_tbDpT10_ENKUlT_T0_E_clISt17integral_constantIbLb0EES18_EEDaS13_S14_EUlS13_E_NS1_11comp_targetILNS1_3genE4ELNS1_11target_archE910ELNS1_3gpuE8ELNS1_3repE0EEENS1_30default_config_static_selectorELNS0_4arch9wavefront6targetE0EEEvT1_
; %bb.0:
	.section	.rodata,"a",@progbits
	.p2align	6, 0x0
	.amdhsa_kernel _ZN7rocprim17ROCPRIM_400000_NS6detail17trampoline_kernelINS0_14default_configENS1_25partition_config_selectorILNS1_17partition_subalgoE6EdNS0_10empty_typeEbEEZZNS1_14partition_implILS5_6ELb0ES3_mN6thrust23THRUST_200600_302600_NS6detail15normal_iteratorINSA_10device_ptrIdEEEEPS6_SG_NS0_5tupleIJSF_S6_EEENSH_IJSG_SG_EEES6_PlJNSB_9not_fun_tI7is_evenIdEEEEEE10hipError_tPvRmT3_T4_T5_T6_T7_T9_mT8_P12ihipStream_tbDpT10_ENKUlT_T0_E_clISt17integral_constantIbLb0EES18_EEDaS13_S14_EUlS13_E_NS1_11comp_targetILNS1_3genE4ELNS1_11target_archE910ELNS1_3gpuE8ELNS1_3repE0EEENS1_30default_config_static_selectorELNS0_4arch9wavefront6targetE0EEEvT1_
		.amdhsa_group_segment_fixed_size 0
		.amdhsa_private_segment_fixed_size 0
		.amdhsa_kernarg_size 112
		.amdhsa_user_sgpr_count 2
		.amdhsa_user_sgpr_dispatch_ptr 0
		.amdhsa_user_sgpr_queue_ptr 0
		.amdhsa_user_sgpr_kernarg_segment_ptr 1
		.amdhsa_user_sgpr_dispatch_id 0
		.amdhsa_user_sgpr_private_segment_size 0
		.amdhsa_wavefront_size32 1
		.amdhsa_uses_dynamic_stack 0
		.amdhsa_enable_private_segment 0
		.amdhsa_system_sgpr_workgroup_id_x 1
		.amdhsa_system_sgpr_workgroup_id_y 0
		.amdhsa_system_sgpr_workgroup_id_z 0
		.amdhsa_system_sgpr_workgroup_info 0
		.amdhsa_system_vgpr_workitem_id 0
		.amdhsa_next_free_vgpr 1
		.amdhsa_next_free_sgpr 1
		.amdhsa_reserve_vcc 0
		.amdhsa_float_round_mode_32 0
		.amdhsa_float_round_mode_16_64 0
		.amdhsa_float_denorm_mode_32 3
		.amdhsa_float_denorm_mode_16_64 3
		.amdhsa_fp16_overflow 0
		.amdhsa_workgroup_processor_mode 1
		.amdhsa_memory_ordered 1
		.amdhsa_forward_progress 1
		.amdhsa_inst_pref_size 0
		.amdhsa_round_robin_scheduling 0
		.amdhsa_exception_fp_ieee_invalid_op 0
		.amdhsa_exception_fp_denorm_src 0
		.amdhsa_exception_fp_ieee_div_zero 0
		.amdhsa_exception_fp_ieee_overflow 0
		.amdhsa_exception_fp_ieee_underflow 0
		.amdhsa_exception_fp_ieee_inexact 0
		.amdhsa_exception_int_div_zero 0
	.end_amdhsa_kernel
	.section	.text._ZN7rocprim17ROCPRIM_400000_NS6detail17trampoline_kernelINS0_14default_configENS1_25partition_config_selectorILNS1_17partition_subalgoE6EdNS0_10empty_typeEbEEZZNS1_14partition_implILS5_6ELb0ES3_mN6thrust23THRUST_200600_302600_NS6detail15normal_iteratorINSA_10device_ptrIdEEEEPS6_SG_NS0_5tupleIJSF_S6_EEENSH_IJSG_SG_EEES6_PlJNSB_9not_fun_tI7is_evenIdEEEEEE10hipError_tPvRmT3_T4_T5_T6_T7_T9_mT8_P12ihipStream_tbDpT10_ENKUlT_T0_E_clISt17integral_constantIbLb0EES18_EEDaS13_S14_EUlS13_E_NS1_11comp_targetILNS1_3genE4ELNS1_11target_archE910ELNS1_3gpuE8ELNS1_3repE0EEENS1_30default_config_static_selectorELNS0_4arch9wavefront6targetE0EEEvT1_,"axG",@progbits,_ZN7rocprim17ROCPRIM_400000_NS6detail17trampoline_kernelINS0_14default_configENS1_25partition_config_selectorILNS1_17partition_subalgoE6EdNS0_10empty_typeEbEEZZNS1_14partition_implILS5_6ELb0ES3_mN6thrust23THRUST_200600_302600_NS6detail15normal_iteratorINSA_10device_ptrIdEEEEPS6_SG_NS0_5tupleIJSF_S6_EEENSH_IJSG_SG_EEES6_PlJNSB_9not_fun_tI7is_evenIdEEEEEE10hipError_tPvRmT3_T4_T5_T6_T7_T9_mT8_P12ihipStream_tbDpT10_ENKUlT_T0_E_clISt17integral_constantIbLb0EES18_EEDaS13_S14_EUlS13_E_NS1_11comp_targetILNS1_3genE4ELNS1_11target_archE910ELNS1_3gpuE8ELNS1_3repE0EEENS1_30default_config_static_selectorELNS0_4arch9wavefront6targetE0EEEvT1_,comdat
.Lfunc_end535:
	.size	_ZN7rocprim17ROCPRIM_400000_NS6detail17trampoline_kernelINS0_14default_configENS1_25partition_config_selectorILNS1_17partition_subalgoE6EdNS0_10empty_typeEbEEZZNS1_14partition_implILS5_6ELb0ES3_mN6thrust23THRUST_200600_302600_NS6detail15normal_iteratorINSA_10device_ptrIdEEEEPS6_SG_NS0_5tupleIJSF_S6_EEENSH_IJSG_SG_EEES6_PlJNSB_9not_fun_tI7is_evenIdEEEEEE10hipError_tPvRmT3_T4_T5_T6_T7_T9_mT8_P12ihipStream_tbDpT10_ENKUlT_T0_E_clISt17integral_constantIbLb0EES18_EEDaS13_S14_EUlS13_E_NS1_11comp_targetILNS1_3genE4ELNS1_11target_archE910ELNS1_3gpuE8ELNS1_3repE0EEENS1_30default_config_static_selectorELNS0_4arch9wavefront6targetE0EEEvT1_, .Lfunc_end535-_ZN7rocprim17ROCPRIM_400000_NS6detail17trampoline_kernelINS0_14default_configENS1_25partition_config_selectorILNS1_17partition_subalgoE6EdNS0_10empty_typeEbEEZZNS1_14partition_implILS5_6ELb0ES3_mN6thrust23THRUST_200600_302600_NS6detail15normal_iteratorINSA_10device_ptrIdEEEEPS6_SG_NS0_5tupleIJSF_S6_EEENSH_IJSG_SG_EEES6_PlJNSB_9not_fun_tI7is_evenIdEEEEEE10hipError_tPvRmT3_T4_T5_T6_T7_T9_mT8_P12ihipStream_tbDpT10_ENKUlT_T0_E_clISt17integral_constantIbLb0EES18_EEDaS13_S14_EUlS13_E_NS1_11comp_targetILNS1_3genE4ELNS1_11target_archE910ELNS1_3gpuE8ELNS1_3repE0EEENS1_30default_config_static_selectorELNS0_4arch9wavefront6targetE0EEEvT1_
                                        ; -- End function
	.set _ZN7rocprim17ROCPRIM_400000_NS6detail17trampoline_kernelINS0_14default_configENS1_25partition_config_selectorILNS1_17partition_subalgoE6EdNS0_10empty_typeEbEEZZNS1_14partition_implILS5_6ELb0ES3_mN6thrust23THRUST_200600_302600_NS6detail15normal_iteratorINSA_10device_ptrIdEEEEPS6_SG_NS0_5tupleIJSF_S6_EEENSH_IJSG_SG_EEES6_PlJNSB_9not_fun_tI7is_evenIdEEEEEE10hipError_tPvRmT3_T4_T5_T6_T7_T9_mT8_P12ihipStream_tbDpT10_ENKUlT_T0_E_clISt17integral_constantIbLb0EES18_EEDaS13_S14_EUlS13_E_NS1_11comp_targetILNS1_3genE4ELNS1_11target_archE910ELNS1_3gpuE8ELNS1_3repE0EEENS1_30default_config_static_selectorELNS0_4arch9wavefront6targetE0EEEvT1_.num_vgpr, 0
	.set _ZN7rocprim17ROCPRIM_400000_NS6detail17trampoline_kernelINS0_14default_configENS1_25partition_config_selectorILNS1_17partition_subalgoE6EdNS0_10empty_typeEbEEZZNS1_14partition_implILS5_6ELb0ES3_mN6thrust23THRUST_200600_302600_NS6detail15normal_iteratorINSA_10device_ptrIdEEEEPS6_SG_NS0_5tupleIJSF_S6_EEENSH_IJSG_SG_EEES6_PlJNSB_9not_fun_tI7is_evenIdEEEEEE10hipError_tPvRmT3_T4_T5_T6_T7_T9_mT8_P12ihipStream_tbDpT10_ENKUlT_T0_E_clISt17integral_constantIbLb0EES18_EEDaS13_S14_EUlS13_E_NS1_11comp_targetILNS1_3genE4ELNS1_11target_archE910ELNS1_3gpuE8ELNS1_3repE0EEENS1_30default_config_static_selectorELNS0_4arch9wavefront6targetE0EEEvT1_.num_agpr, 0
	.set _ZN7rocprim17ROCPRIM_400000_NS6detail17trampoline_kernelINS0_14default_configENS1_25partition_config_selectorILNS1_17partition_subalgoE6EdNS0_10empty_typeEbEEZZNS1_14partition_implILS5_6ELb0ES3_mN6thrust23THRUST_200600_302600_NS6detail15normal_iteratorINSA_10device_ptrIdEEEEPS6_SG_NS0_5tupleIJSF_S6_EEENSH_IJSG_SG_EEES6_PlJNSB_9not_fun_tI7is_evenIdEEEEEE10hipError_tPvRmT3_T4_T5_T6_T7_T9_mT8_P12ihipStream_tbDpT10_ENKUlT_T0_E_clISt17integral_constantIbLb0EES18_EEDaS13_S14_EUlS13_E_NS1_11comp_targetILNS1_3genE4ELNS1_11target_archE910ELNS1_3gpuE8ELNS1_3repE0EEENS1_30default_config_static_selectorELNS0_4arch9wavefront6targetE0EEEvT1_.numbered_sgpr, 0
	.set _ZN7rocprim17ROCPRIM_400000_NS6detail17trampoline_kernelINS0_14default_configENS1_25partition_config_selectorILNS1_17partition_subalgoE6EdNS0_10empty_typeEbEEZZNS1_14partition_implILS5_6ELb0ES3_mN6thrust23THRUST_200600_302600_NS6detail15normal_iteratorINSA_10device_ptrIdEEEEPS6_SG_NS0_5tupleIJSF_S6_EEENSH_IJSG_SG_EEES6_PlJNSB_9not_fun_tI7is_evenIdEEEEEE10hipError_tPvRmT3_T4_T5_T6_T7_T9_mT8_P12ihipStream_tbDpT10_ENKUlT_T0_E_clISt17integral_constantIbLb0EES18_EEDaS13_S14_EUlS13_E_NS1_11comp_targetILNS1_3genE4ELNS1_11target_archE910ELNS1_3gpuE8ELNS1_3repE0EEENS1_30default_config_static_selectorELNS0_4arch9wavefront6targetE0EEEvT1_.num_named_barrier, 0
	.set _ZN7rocprim17ROCPRIM_400000_NS6detail17trampoline_kernelINS0_14default_configENS1_25partition_config_selectorILNS1_17partition_subalgoE6EdNS0_10empty_typeEbEEZZNS1_14partition_implILS5_6ELb0ES3_mN6thrust23THRUST_200600_302600_NS6detail15normal_iteratorINSA_10device_ptrIdEEEEPS6_SG_NS0_5tupleIJSF_S6_EEENSH_IJSG_SG_EEES6_PlJNSB_9not_fun_tI7is_evenIdEEEEEE10hipError_tPvRmT3_T4_T5_T6_T7_T9_mT8_P12ihipStream_tbDpT10_ENKUlT_T0_E_clISt17integral_constantIbLb0EES18_EEDaS13_S14_EUlS13_E_NS1_11comp_targetILNS1_3genE4ELNS1_11target_archE910ELNS1_3gpuE8ELNS1_3repE0EEENS1_30default_config_static_selectorELNS0_4arch9wavefront6targetE0EEEvT1_.private_seg_size, 0
	.set _ZN7rocprim17ROCPRIM_400000_NS6detail17trampoline_kernelINS0_14default_configENS1_25partition_config_selectorILNS1_17partition_subalgoE6EdNS0_10empty_typeEbEEZZNS1_14partition_implILS5_6ELb0ES3_mN6thrust23THRUST_200600_302600_NS6detail15normal_iteratorINSA_10device_ptrIdEEEEPS6_SG_NS0_5tupleIJSF_S6_EEENSH_IJSG_SG_EEES6_PlJNSB_9not_fun_tI7is_evenIdEEEEEE10hipError_tPvRmT3_T4_T5_T6_T7_T9_mT8_P12ihipStream_tbDpT10_ENKUlT_T0_E_clISt17integral_constantIbLb0EES18_EEDaS13_S14_EUlS13_E_NS1_11comp_targetILNS1_3genE4ELNS1_11target_archE910ELNS1_3gpuE8ELNS1_3repE0EEENS1_30default_config_static_selectorELNS0_4arch9wavefront6targetE0EEEvT1_.uses_vcc, 0
	.set _ZN7rocprim17ROCPRIM_400000_NS6detail17trampoline_kernelINS0_14default_configENS1_25partition_config_selectorILNS1_17partition_subalgoE6EdNS0_10empty_typeEbEEZZNS1_14partition_implILS5_6ELb0ES3_mN6thrust23THRUST_200600_302600_NS6detail15normal_iteratorINSA_10device_ptrIdEEEEPS6_SG_NS0_5tupleIJSF_S6_EEENSH_IJSG_SG_EEES6_PlJNSB_9not_fun_tI7is_evenIdEEEEEE10hipError_tPvRmT3_T4_T5_T6_T7_T9_mT8_P12ihipStream_tbDpT10_ENKUlT_T0_E_clISt17integral_constantIbLb0EES18_EEDaS13_S14_EUlS13_E_NS1_11comp_targetILNS1_3genE4ELNS1_11target_archE910ELNS1_3gpuE8ELNS1_3repE0EEENS1_30default_config_static_selectorELNS0_4arch9wavefront6targetE0EEEvT1_.uses_flat_scratch, 0
	.set _ZN7rocprim17ROCPRIM_400000_NS6detail17trampoline_kernelINS0_14default_configENS1_25partition_config_selectorILNS1_17partition_subalgoE6EdNS0_10empty_typeEbEEZZNS1_14partition_implILS5_6ELb0ES3_mN6thrust23THRUST_200600_302600_NS6detail15normal_iteratorINSA_10device_ptrIdEEEEPS6_SG_NS0_5tupleIJSF_S6_EEENSH_IJSG_SG_EEES6_PlJNSB_9not_fun_tI7is_evenIdEEEEEE10hipError_tPvRmT3_T4_T5_T6_T7_T9_mT8_P12ihipStream_tbDpT10_ENKUlT_T0_E_clISt17integral_constantIbLb0EES18_EEDaS13_S14_EUlS13_E_NS1_11comp_targetILNS1_3genE4ELNS1_11target_archE910ELNS1_3gpuE8ELNS1_3repE0EEENS1_30default_config_static_selectorELNS0_4arch9wavefront6targetE0EEEvT1_.has_dyn_sized_stack, 0
	.set _ZN7rocprim17ROCPRIM_400000_NS6detail17trampoline_kernelINS0_14default_configENS1_25partition_config_selectorILNS1_17partition_subalgoE6EdNS0_10empty_typeEbEEZZNS1_14partition_implILS5_6ELb0ES3_mN6thrust23THRUST_200600_302600_NS6detail15normal_iteratorINSA_10device_ptrIdEEEEPS6_SG_NS0_5tupleIJSF_S6_EEENSH_IJSG_SG_EEES6_PlJNSB_9not_fun_tI7is_evenIdEEEEEE10hipError_tPvRmT3_T4_T5_T6_T7_T9_mT8_P12ihipStream_tbDpT10_ENKUlT_T0_E_clISt17integral_constantIbLb0EES18_EEDaS13_S14_EUlS13_E_NS1_11comp_targetILNS1_3genE4ELNS1_11target_archE910ELNS1_3gpuE8ELNS1_3repE0EEENS1_30default_config_static_selectorELNS0_4arch9wavefront6targetE0EEEvT1_.has_recursion, 0
	.set _ZN7rocprim17ROCPRIM_400000_NS6detail17trampoline_kernelINS0_14default_configENS1_25partition_config_selectorILNS1_17partition_subalgoE6EdNS0_10empty_typeEbEEZZNS1_14partition_implILS5_6ELb0ES3_mN6thrust23THRUST_200600_302600_NS6detail15normal_iteratorINSA_10device_ptrIdEEEEPS6_SG_NS0_5tupleIJSF_S6_EEENSH_IJSG_SG_EEES6_PlJNSB_9not_fun_tI7is_evenIdEEEEEE10hipError_tPvRmT3_T4_T5_T6_T7_T9_mT8_P12ihipStream_tbDpT10_ENKUlT_T0_E_clISt17integral_constantIbLb0EES18_EEDaS13_S14_EUlS13_E_NS1_11comp_targetILNS1_3genE4ELNS1_11target_archE910ELNS1_3gpuE8ELNS1_3repE0EEENS1_30default_config_static_selectorELNS0_4arch9wavefront6targetE0EEEvT1_.has_indirect_call, 0
	.section	.AMDGPU.csdata,"",@progbits
; Kernel info:
; codeLenInByte = 0
; TotalNumSgprs: 0
; NumVgprs: 0
; ScratchSize: 0
; MemoryBound: 0
; FloatMode: 240
; IeeeMode: 1
; LDSByteSize: 0 bytes/workgroup (compile time only)
; SGPRBlocks: 0
; VGPRBlocks: 0
; NumSGPRsForWavesPerEU: 1
; NumVGPRsForWavesPerEU: 1
; Occupancy: 16
; WaveLimiterHint : 0
; COMPUTE_PGM_RSRC2:SCRATCH_EN: 0
; COMPUTE_PGM_RSRC2:USER_SGPR: 2
; COMPUTE_PGM_RSRC2:TRAP_HANDLER: 0
; COMPUTE_PGM_RSRC2:TGID_X_EN: 1
; COMPUTE_PGM_RSRC2:TGID_Y_EN: 0
; COMPUTE_PGM_RSRC2:TGID_Z_EN: 0
; COMPUTE_PGM_RSRC2:TIDIG_COMP_CNT: 0
	.section	.text._ZN7rocprim17ROCPRIM_400000_NS6detail17trampoline_kernelINS0_14default_configENS1_25partition_config_selectorILNS1_17partition_subalgoE6EdNS0_10empty_typeEbEEZZNS1_14partition_implILS5_6ELb0ES3_mN6thrust23THRUST_200600_302600_NS6detail15normal_iteratorINSA_10device_ptrIdEEEEPS6_SG_NS0_5tupleIJSF_S6_EEENSH_IJSG_SG_EEES6_PlJNSB_9not_fun_tI7is_evenIdEEEEEE10hipError_tPvRmT3_T4_T5_T6_T7_T9_mT8_P12ihipStream_tbDpT10_ENKUlT_T0_E_clISt17integral_constantIbLb0EES18_EEDaS13_S14_EUlS13_E_NS1_11comp_targetILNS1_3genE3ELNS1_11target_archE908ELNS1_3gpuE7ELNS1_3repE0EEENS1_30default_config_static_selectorELNS0_4arch9wavefront6targetE0EEEvT1_,"axG",@progbits,_ZN7rocprim17ROCPRIM_400000_NS6detail17trampoline_kernelINS0_14default_configENS1_25partition_config_selectorILNS1_17partition_subalgoE6EdNS0_10empty_typeEbEEZZNS1_14partition_implILS5_6ELb0ES3_mN6thrust23THRUST_200600_302600_NS6detail15normal_iteratorINSA_10device_ptrIdEEEEPS6_SG_NS0_5tupleIJSF_S6_EEENSH_IJSG_SG_EEES6_PlJNSB_9not_fun_tI7is_evenIdEEEEEE10hipError_tPvRmT3_T4_T5_T6_T7_T9_mT8_P12ihipStream_tbDpT10_ENKUlT_T0_E_clISt17integral_constantIbLb0EES18_EEDaS13_S14_EUlS13_E_NS1_11comp_targetILNS1_3genE3ELNS1_11target_archE908ELNS1_3gpuE7ELNS1_3repE0EEENS1_30default_config_static_selectorELNS0_4arch9wavefront6targetE0EEEvT1_,comdat
	.protected	_ZN7rocprim17ROCPRIM_400000_NS6detail17trampoline_kernelINS0_14default_configENS1_25partition_config_selectorILNS1_17partition_subalgoE6EdNS0_10empty_typeEbEEZZNS1_14partition_implILS5_6ELb0ES3_mN6thrust23THRUST_200600_302600_NS6detail15normal_iteratorINSA_10device_ptrIdEEEEPS6_SG_NS0_5tupleIJSF_S6_EEENSH_IJSG_SG_EEES6_PlJNSB_9not_fun_tI7is_evenIdEEEEEE10hipError_tPvRmT3_T4_T5_T6_T7_T9_mT8_P12ihipStream_tbDpT10_ENKUlT_T0_E_clISt17integral_constantIbLb0EES18_EEDaS13_S14_EUlS13_E_NS1_11comp_targetILNS1_3genE3ELNS1_11target_archE908ELNS1_3gpuE7ELNS1_3repE0EEENS1_30default_config_static_selectorELNS0_4arch9wavefront6targetE0EEEvT1_ ; -- Begin function _ZN7rocprim17ROCPRIM_400000_NS6detail17trampoline_kernelINS0_14default_configENS1_25partition_config_selectorILNS1_17partition_subalgoE6EdNS0_10empty_typeEbEEZZNS1_14partition_implILS5_6ELb0ES3_mN6thrust23THRUST_200600_302600_NS6detail15normal_iteratorINSA_10device_ptrIdEEEEPS6_SG_NS0_5tupleIJSF_S6_EEENSH_IJSG_SG_EEES6_PlJNSB_9not_fun_tI7is_evenIdEEEEEE10hipError_tPvRmT3_T4_T5_T6_T7_T9_mT8_P12ihipStream_tbDpT10_ENKUlT_T0_E_clISt17integral_constantIbLb0EES18_EEDaS13_S14_EUlS13_E_NS1_11comp_targetILNS1_3genE3ELNS1_11target_archE908ELNS1_3gpuE7ELNS1_3repE0EEENS1_30default_config_static_selectorELNS0_4arch9wavefront6targetE0EEEvT1_
	.globl	_ZN7rocprim17ROCPRIM_400000_NS6detail17trampoline_kernelINS0_14default_configENS1_25partition_config_selectorILNS1_17partition_subalgoE6EdNS0_10empty_typeEbEEZZNS1_14partition_implILS5_6ELb0ES3_mN6thrust23THRUST_200600_302600_NS6detail15normal_iteratorINSA_10device_ptrIdEEEEPS6_SG_NS0_5tupleIJSF_S6_EEENSH_IJSG_SG_EEES6_PlJNSB_9not_fun_tI7is_evenIdEEEEEE10hipError_tPvRmT3_T4_T5_T6_T7_T9_mT8_P12ihipStream_tbDpT10_ENKUlT_T0_E_clISt17integral_constantIbLb0EES18_EEDaS13_S14_EUlS13_E_NS1_11comp_targetILNS1_3genE3ELNS1_11target_archE908ELNS1_3gpuE7ELNS1_3repE0EEENS1_30default_config_static_selectorELNS0_4arch9wavefront6targetE0EEEvT1_
	.p2align	8
	.type	_ZN7rocprim17ROCPRIM_400000_NS6detail17trampoline_kernelINS0_14default_configENS1_25partition_config_selectorILNS1_17partition_subalgoE6EdNS0_10empty_typeEbEEZZNS1_14partition_implILS5_6ELb0ES3_mN6thrust23THRUST_200600_302600_NS6detail15normal_iteratorINSA_10device_ptrIdEEEEPS6_SG_NS0_5tupleIJSF_S6_EEENSH_IJSG_SG_EEES6_PlJNSB_9not_fun_tI7is_evenIdEEEEEE10hipError_tPvRmT3_T4_T5_T6_T7_T9_mT8_P12ihipStream_tbDpT10_ENKUlT_T0_E_clISt17integral_constantIbLb0EES18_EEDaS13_S14_EUlS13_E_NS1_11comp_targetILNS1_3genE3ELNS1_11target_archE908ELNS1_3gpuE7ELNS1_3repE0EEENS1_30default_config_static_selectorELNS0_4arch9wavefront6targetE0EEEvT1_,@function
_ZN7rocprim17ROCPRIM_400000_NS6detail17trampoline_kernelINS0_14default_configENS1_25partition_config_selectorILNS1_17partition_subalgoE6EdNS0_10empty_typeEbEEZZNS1_14partition_implILS5_6ELb0ES3_mN6thrust23THRUST_200600_302600_NS6detail15normal_iteratorINSA_10device_ptrIdEEEEPS6_SG_NS0_5tupleIJSF_S6_EEENSH_IJSG_SG_EEES6_PlJNSB_9not_fun_tI7is_evenIdEEEEEE10hipError_tPvRmT3_T4_T5_T6_T7_T9_mT8_P12ihipStream_tbDpT10_ENKUlT_T0_E_clISt17integral_constantIbLb0EES18_EEDaS13_S14_EUlS13_E_NS1_11comp_targetILNS1_3genE3ELNS1_11target_archE908ELNS1_3gpuE7ELNS1_3repE0EEENS1_30default_config_static_selectorELNS0_4arch9wavefront6targetE0EEEvT1_: ; @_ZN7rocprim17ROCPRIM_400000_NS6detail17trampoline_kernelINS0_14default_configENS1_25partition_config_selectorILNS1_17partition_subalgoE6EdNS0_10empty_typeEbEEZZNS1_14partition_implILS5_6ELb0ES3_mN6thrust23THRUST_200600_302600_NS6detail15normal_iteratorINSA_10device_ptrIdEEEEPS6_SG_NS0_5tupleIJSF_S6_EEENSH_IJSG_SG_EEES6_PlJNSB_9not_fun_tI7is_evenIdEEEEEE10hipError_tPvRmT3_T4_T5_T6_T7_T9_mT8_P12ihipStream_tbDpT10_ENKUlT_T0_E_clISt17integral_constantIbLb0EES18_EEDaS13_S14_EUlS13_E_NS1_11comp_targetILNS1_3genE3ELNS1_11target_archE908ELNS1_3gpuE7ELNS1_3repE0EEENS1_30default_config_static_selectorELNS0_4arch9wavefront6targetE0EEEvT1_
; %bb.0:
	.section	.rodata,"a",@progbits
	.p2align	6, 0x0
	.amdhsa_kernel _ZN7rocprim17ROCPRIM_400000_NS6detail17trampoline_kernelINS0_14default_configENS1_25partition_config_selectorILNS1_17partition_subalgoE6EdNS0_10empty_typeEbEEZZNS1_14partition_implILS5_6ELb0ES3_mN6thrust23THRUST_200600_302600_NS6detail15normal_iteratorINSA_10device_ptrIdEEEEPS6_SG_NS0_5tupleIJSF_S6_EEENSH_IJSG_SG_EEES6_PlJNSB_9not_fun_tI7is_evenIdEEEEEE10hipError_tPvRmT3_T4_T5_T6_T7_T9_mT8_P12ihipStream_tbDpT10_ENKUlT_T0_E_clISt17integral_constantIbLb0EES18_EEDaS13_S14_EUlS13_E_NS1_11comp_targetILNS1_3genE3ELNS1_11target_archE908ELNS1_3gpuE7ELNS1_3repE0EEENS1_30default_config_static_selectorELNS0_4arch9wavefront6targetE0EEEvT1_
		.amdhsa_group_segment_fixed_size 0
		.amdhsa_private_segment_fixed_size 0
		.amdhsa_kernarg_size 112
		.amdhsa_user_sgpr_count 2
		.amdhsa_user_sgpr_dispatch_ptr 0
		.amdhsa_user_sgpr_queue_ptr 0
		.amdhsa_user_sgpr_kernarg_segment_ptr 1
		.amdhsa_user_sgpr_dispatch_id 0
		.amdhsa_user_sgpr_private_segment_size 0
		.amdhsa_wavefront_size32 1
		.amdhsa_uses_dynamic_stack 0
		.amdhsa_enable_private_segment 0
		.amdhsa_system_sgpr_workgroup_id_x 1
		.amdhsa_system_sgpr_workgroup_id_y 0
		.amdhsa_system_sgpr_workgroup_id_z 0
		.amdhsa_system_sgpr_workgroup_info 0
		.amdhsa_system_vgpr_workitem_id 0
		.amdhsa_next_free_vgpr 1
		.amdhsa_next_free_sgpr 1
		.amdhsa_reserve_vcc 0
		.amdhsa_float_round_mode_32 0
		.amdhsa_float_round_mode_16_64 0
		.amdhsa_float_denorm_mode_32 3
		.amdhsa_float_denorm_mode_16_64 3
		.amdhsa_fp16_overflow 0
		.amdhsa_workgroup_processor_mode 1
		.amdhsa_memory_ordered 1
		.amdhsa_forward_progress 1
		.amdhsa_inst_pref_size 0
		.amdhsa_round_robin_scheduling 0
		.amdhsa_exception_fp_ieee_invalid_op 0
		.amdhsa_exception_fp_denorm_src 0
		.amdhsa_exception_fp_ieee_div_zero 0
		.amdhsa_exception_fp_ieee_overflow 0
		.amdhsa_exception_fp_ieee_underflow 0
		.amdhsa_exception_fp_ieee_inexact 0
		.amdhsa_exception_int_div_zero 0
	.end_amdhsa_kernel
	.section	.text._ZN7rocprim17ROCPRIM_400000_NS6detail17trampoline_kernelINS0_14default_configENS1_25partition_config_selectorILNS1_17partition_subalgoE6EdNS0_10empty_typeEbEEZZNS1_14partition_implILS5_6ELb0ES3_mN6thrust23THRUST_200600_302600_NS6detail15normal_iteratorINSA_10device_ptrIdEEEEPS6_SG_NS0_5tupleIJSF_S6_EEENSH_IJSG_SG_EEES6_PlJNSB_9not_fun_tI7is_evenIdEEEEEE10hipError_tPvRmT3_T4_T5_T6_T7_T9_mT8_P12ihipStream_tbDpT10_ENKUlT_T0_E_clISt17integral_constantIbLb0EES18_EEDaS13_S14_EUlS13_E_NS1_11comp_targetILNS1_3genE3ELNS1_11target_archE908ELNS1_3gpuE7ELNS1_3repE0EEENS1_30default_config_static_selectorELNS0_4arch9wavefront6targetE0EEEvT1_,"axG",@progbits,_ZN7rocprim17ROCPRIM_400000_NS6detail17trampoline_kernelINS0_14default_configENS1_25partition_config_selectorILNS1_17partition_subalgoE6EdNS0_10empty_typeEbEEZZNS1_14partition_implILS5_6ELb0ES3_mN6thrust23THRUST_200600_302600_NS6detail15normal_iteratorINSA_10device_ptrIdEEEEPS6_SG_NS0_5tupleIJSF_S6_EEENSH_IJSG_SG_EEES6_PlJNSB_9not_fun_tI7is_evenIdEEEEEE10hipError_tPvRmT3_T4_T5_T6_T7_T9_mT8_P12ihipStream_tbDpT10_ENKUlT_T0_E_clISt17integral_constantIbLb0EES18_EEDaS13_S14_EUlS13_E_NS1_11comp_targetILNS1_3genE3ELNS1_11target_archE908ELNS1_3gpuE7ELNS1_3repE0EEENS1_30default_config_static_selectorELNS0_4arch9wavefront6targetE0EEEvT1_,comdat
.Lfunc_end536:
	.size	_ZN7rocprim17ROCPRIM_400000_NS6detail17trampoline_kernelINS0_14default_configENS1_25partition_config_selectorILNS1_17partition_subalgoE6EdNS0_10empty_typeEbEEZZNS1_14partition_implILS5_6ELb0ES3_mN6thrust23THRUST_200600_302600_NS6detail15normal_iteratorINSA_10device_ptrIdEEEEPS6_SG_NS0_5tupleIJSF_S6_EEENSH_IJSG_SG_EEES6_PlJNSB_9not_fun_tI7is_evenIdEEEEEE10hipError_tPvRmT3_T4_T5_T6_T7_T9_mT8_P12ihipStream_tbDpT10_ENKUlT_T0_E_clISt17integral_constantIbLb0EES18_EEDaS13_S14_EUlS13_E_NS1_11comp_targetILNS1_3genE3ELNS1_11target_archE908ELNS1_3gpuE7ELNS1_3repE0EEENS1_30default_config_static_selectorELNS0_4arch9wavefront6targetE0EEEvT1_, .Lfunc_end536-_ZN7rocprim17ROCPRIM_400000_NS6detail17trampoline_kernelINS0_14default_configENS1_25partition_config_selectorILNS1_17partition_subalgoE6EdNS0_10empty_typeEbEEZZNS1_14partition_implILS5_6ELb0ES3_mN6thrust23THRUST_200600_302600_NS6detail15normal_iteratorINSA_10device_ptrIdEEEEPS6_SG_NS0_5tupleIJSF_S6_EEENSH_IJSG_SG_EEES6_PlJNSB_9not_fun_tI7is_evenIdEEEEEE10hipError_tPvRmT3_T4_T5_T6_T7_T9_mT8_P12ihipStream_tbDpT10_ENKUlT_T0_E_clISt17integral_constantIbLb0EES18_EEDaS13_S14_EUlS13_E_NS1_11comp_targetILNS1_3genE3ELNS1_11target_archE908ELNS1_3gpuE7ELNS1_3repE0EEENS1_30default_config_static_selectorELNS0_4arch9wavefront6targetE0EEEvT1_
                                        ; -- End function
	.set _ZN7rocprim17ROCPRIM_400000_NS6detail17trampoline_kernelINS0_14default_configENS1_25partition_config_selectorILNS1_17partition_subalgoE6EdNS0_10empty_typeEbEEZZNS1_14partition_implILS5_6ELb0ES3_mN6thrust23THRUST_200600_302600_NS6detail15normal_iteratorINSA_10device_ptrIdEEEEPS6_SG_NS0_5tupleIJSF_S6_EEENSH_IJSG_SG_EEES6_PlJNSB_9not_fun_tI7is_evenIdEEEEEE10hipError_tPvRmT3_T4_T5_T6_T7_T9_mT8_P12ihipStream_tbDpT10_ENKUlT_T0_E_clISt17integral_constantIbLb0EES18_EEDaS13_S14_EUlS13_E_NS1_11comp_targetILNS1_3genE3ELNS1_11target_archE908ELNS1_3gpuE7ELNS1_3repE0EEENS1_30default_config_static_selectorELNS0_4arch9wavefront6targetE0EEEvT1_.num_vgpr, 0
	.set _ZN7rocprim17ROCPRIM_400000_NS6detail17trampoline_kernelINS0_14default_configENS1_25partition_config_selectorILNS1_17partition_subalgoE6EdNS0_10empty_typeEbEEZZNS1_14partition_implILS5_6ELb0ES3_mN6thrust23THRUST_200600_302600_NS6detail15normal_iteratorINSA_10device_ptrIdEEEEPS6_SG_NS0_5tupleIJSF_S6_EEENSH_IJSG_SG_EEES6_PlJNSB_9not_fun_tI7is_evenIdEEEEEE10hipError_tPvRmT3_T4_T5_T6_T7_T9_mT8_P12ihipStream_tbDpT10_ENKUlT_T0_E_clISt17integral_constantIbLb0EES18_EEDaS13_S14_EUlS13_E_NS1_11comp_targetILNS1_3genE3ELNS1_11target_archE908ELNS1_3gpuE7ELNS1_3repE0EEENS1_30default_config_static_selectorELNS0_4arch9wavefront6targetE0EEEvT1_.num_agpr, 0
	.set _ZN7rocprim17ROCPRIM_400000_NS6detail17trampoline_kernelINS0_14default_configENS1_25partition_config_selectorILNS1_17partition_subalgoE6EdNS0_10empty_typeEbEEZZNS1_14partition_implILS5_6ELb0ES3_mN6thrust23THRUST_200600_302600_NS6detail15normal_iteratorINSA_10device_ptrIdEEEEPS6_SG_NS0_5tupleIJSF_S6_EEENSH_IJSG_SG_EEES6_PlJNSB_9not_fun_tI7is_evenIdEEEEEE10hipError_tPvRmT3_T4_T5_T6_T7_T9_mT8_P12ihipStream_tbDpT10_ENKUlT_T0_E_clISt17integral_constantIbLb0EES18_EEDaS13_S14_EUlS13_E_NS1_11comp_targetILNS1_3genE3ELNS1_11target_archE908ELNS1_3gpuE7ELNS1_3repE0EEENS1_30default_config_static_selectorELNS0_4arch9wavefront6targetE0EEEvT1_.numbered_sgpr, 0
	.set _ZN7rocprim17ROCPRIM_400000_NS6detail17trampoline_kernelINS0_14default_configENS1_25partition_config_selectorILNS1_17partition_subalgoE6EdNS0_10empty_typeEbEEZZNS1_14partition_implILS5_6ELb0ES3_mN6thrust23THRUST_200600_302600_NS6detail15normal_iteratorINSA_10device_ptrIdEEEEPS6_SG_NS0_5tupleIJSF_S6_EEENSH_IJSG_SG_EEES6_PlJNSB_9not_fun_tI7is_evenIdEEEEEE10hipError_tPvRmT3_T4_T5_T6_T7_T9_mT8_P12ihipStream_tbDpT10_ENKUlT_T0_E_clISt17integral_constantIbLb0EES18_EEDaS13_S14_EUlS13_E_NS1_11comp_targetILNS1_3genE3ELNS1_11target_archE908ELNS1_3gpuE7ELNS1_3repE0EEENS1_30default_config_static_selectorELNS0_4arch9wavefront6targetE0EEEvT1_.num_named_barrier, 0
	.set _ZN7rocprim17ROCPRIM_400000_NS6detail17trampoline_kernelINS0_14default_configENS1_25partition_config_selectorILNS1_17partition_subalgoE6EdNS0_10empty_typeEbEEZZNS1_14partition_implILS5_6ELb0ES3_mN6thrust23THRUST_200600_302600_NS6detail15normal_iteratorINSA_10device_ptrIdEEEEPS6_SG_NS0_5tupleIJSF_S6_EEENSH_IJSG_SG_EEES6_PlJNSB_9not_fun_tI7is_evenIdEEEEEE10hipError_tPvRmT3_T4_T5_T6_T7_T9_mT8_P12ihipStream_tbDpT10_ENKUlT_T0_E_clISt17integral_constantIbLb0EES18_EEDaS13_S14_EUlS13_E_NS1_11comp_targetILNS1_3genE3ELNS1_11target_archE908ELNS1_3gpuE7ELNS1_3repE0EEENS1_30default_config_static_selectorELNS0_4arch9wavefront6targetE0EEEvT1_.private_seg_size, 0
	.set _ZN7rocprim17ROCPRIM_400000_NS6detail17trampoline_kernelINS0_14default_configENS1_25partition_config_selectorILNS1_17partition_subalgoE6EdNS0_10empty_typeEbEEZZNS1_14partition_implILS5_6ELb0ES3_mN6thrust23THRUST_200600_302600_NS6detail15normal_iteratorINSA_10device_ptrIdEEEEPS6_SG_NS0_5tupleIJSF_S6_EEENSH_IJSG_SG_EEES6_PlJNSB_9not_fun_tI7is_evenIdEEEEEE10hipError_tPvRmT3_T4_T5_T6_T7_T9_mT8_P12ihipStream_tbDpT10_ENKUlT_T0_E_clISt17integral_constantIbLb0EES18_EEDaS13_S14_EUlS13_E_NS1_11comp_targetILNS1_3genE3ELNS1_11target_archE908ELNS1_3gpuE7ELNS1_3repE0EEENS1_30default_config_static_selectorELNS0_4arch9wavefront6targetE0EEEvT1_.uses_vcc, 0
	.set _ZN7rocprim17ROCPRIM_400000_NS6detail17trampoline_kernelINS0_14default_configENS1_25partition_config_selectorILNS1_17partition_subalgoE6EdNS0_10empty_typeEbEEZZNS1_14partition_implILS5_6ELb0ES3_mN6thrust23THRUST_200600_302600_NS6detail15normal_iteratorINSA_10device_ptrIdEEEEPS6_SG_NS0_5tupleIJSF_S6_EEENSH_IJSG_SG_EEES6_PlJNSB_9not_fun_tI7is_evenIdEEEEEE10hipError_tPvRmT3_T4_T5_T6_T7_T9_mT8_P12ihipStream_tbDpT10_ENKUlT_T0_E_clISt17integral_constantIbLb0EES18_EEDaS13_S14_EUlS13_E_NS1_11comp_targetILNS1_3genE3ELNS1_11target_archE908ELNS1_3gpuE7ELNS1_3repE0EEENS1_30default_config_static_selectorELNS0_4arch9wavefront6targetE0EEEvT1_.uses_flat_scratch, 0
	.set _ZN7rocprim17ROCPRIM_400000_NS6detail17trampoline_kernelINS0_14default_configENS1_25partition_config_selectorILNS1_17partition_subalgoE6EdNS0_10empty_typeEbEEZZNS1_14partition_implILS5_6ELb0ES3_mN6thrust23THRUST_200600_302600_NS6detail15normal_iteratorINSA_10device_ptrIdEEEEPS6_SG_NS0_5tupleIJSF_S6_EEENSH_IJSG_SG_EEES6_PlJNSB_9not_fun_tI7is_evenIdEEEEEE10hipError_tPvRmT3_T4_T5_T6_T7_T9_mT8_P12ihipStream_tbDpT10_ENKUlT_T0_E_clISt17integral_constantIbLb0EES18_EEDaS13_S14_EUlS13_E_NS1_11comp_targetILNS1_3genE3ELNS1_11target_archE908ELNS1_3gpuE7ELNS1_3repE0EEENS1_30default_config_static_selectorELNS0_4arch9wavefront6targetE0EEEvT1_.has_dyn_sized_stack, 0
	.set _ZN7rocprim17ROCPRIM_400000_NS6detail17trampoline_kernelINS0_14default_configENS1_25partition_config_selectorILNS1_17partition_subalgoE6EdNS0_10empty_typeEbEEZZNS1_14partition_implILS5_6ELb0ES3_mN6thrust23THRUST_200600_302600_NS6detail15normal_iteratorINSA_10device_ptrIdEEEEPS6_SG_NS0_5tupleIJSF_S6_EEENSH_IJSG_SG_EEES6_PlJNSB_9not_fun_tI7is_evenIdEEEEEE10hipError_tPvRmT3_T4_T5_T6_T7_T9_mT8_P12ihipStream_tbDpT10_ENKUlT_T0_E_clISt17integral_constantIbLb0EES18_EEDaS13_S14_EUlS13_E_NS1_11comp_targetILNS1_3genE3ELNS1_11target_archE908ELNS1_3gpuE7ELNS1_3repE0EEENS1_30default_config_static_selectorELNS0_4arch9wavefront6targetE0EEEvT1_.has_recursion, 0
	.set _ZN7rocprim17ROCPRIM_400000_NS6detail17trampoline_kernelINS0_14default_configENS1_25partition_config_selectorILNS1_17partition_subalgoE6EdNS0_10empty_typeEbEEZZNS1_14partition_implILS5_6ELb0ES3_mN6thrust23THRUST_200600_302600_NS6detail15normal_iteratorINSA_10device_ptrIdEEEEPS6_SG_NS0_5tupleIJSF_S6_EEENSH_IJSG_SG_EEES6_PlJNSB_9not_fun_tI7is_evenIdEEEEEE10hipError_tPvRmT3_T4_T5_T6_T7_T9_mT8_P12ihipStream_tbDpT10_ENKUlT_T0_E_clISt17integral_constantIbLb0EES18_EEDaS13_S14_EUlS13_E_NS1_11comp_targetILNS1_3genE3ELNS1_11target_archE908ELNS1_3gpuE7ELNS1_3repE0EEENS1_30default_config_static_selectorELNS0_4arch9wavefront6targetE0EEEvT1_.has_indirect_call, 0
	.section	.AMDGPU.csdata,"",@progbits
; Kernel info:
; codeLenInByte = 0
; TotalNumSgprs: 0
; NumVgprs: 0
; ScratchSize: 0
; MemoryBound: 0
; FloatMode: 240
; IeeeMode: 1
; LDSByteSize: 0 bytes/workgroup (compile time only)
; SGPRBlocks: 0
; VGPRBlocks: 0
; NumSGPRsForWavesPerEU: 1
; NumVGPRsForWavesPerEU: 1
; Occupancy: 16
; WaveLimiterHint : 0
; COMPUTE_PGM_RSRC2:SCRATCH_EN: 0
; COMPUTE_PGM_RSRC2:USER_SGPR: 2
; COMPUTE_PGM_RSRC2:TRAP_HANDLER: 0
; COMPUTE_PGM_RSRC2:TGID_X_EN: 1
; COMPUTE_PGM_RSRC2:TGID_Y_EN: 0
; COMPUTE_PGM_RSRC2:TGID_Z_EN: 0
; COMPUTE_PGM_RSRC2:TIDIG_COMP_CNT: 0
	.section	.text._ZN7rocprim17ROCPRIM_400000_NS6detail17trampoline_kernelINS0_14default_configENS1_25partition_config_selectorILNS1_17partition_subalgoE6EdNS0_10empty_typeEbEEZZNS1_14partition_implILS5_6ELb0ES3_mN6thrust23THRUST_200600_302600_NS6detail15normal_iteratorINSA_10device_ptrIdEEEEPS6_SG_NS0_5tupleIJSF_S6_EEENSH_IJSG_SG_EEES6_PlJNSB_9not_fun_tI7is_evenIdEEEEEE10hipError_tPvRmT3_T4_T5_T6_T7_T9_mT8_P12ihipStream_tbDpT10_ENKUlT_T0_E_clISt17integral_constantIbLb0EES18_EEDaS13_S14_EUlS13_E_NS1_11comp_targetILNS1_3genE2ELNS1_11target_archE906ELNS1_3gpuE6ELNS1_3repE0EEENS1_30default_config_static_selectorELNS0_4arch9wavefront6targetE0EEEvT1_,"axG",@progbits,_ZN7rocprim17ROCPRIM_400000_NS6detail17trampoline_kernelINS0_14default_configENS1_25partition_config_selectorILNS1_17partition_subalgoE6EdNS0_10empty_typeEbEEZZNS1_14partition_implILS5_6ELb0ES3_mN6thrust23THRUST_200600_302600_NS6detail15normal_iteratorINSA_10device_ptrIdEEEEPS6_SG_NS0_5tupleIJSF_S6_EEENSH_IJSG_SG_EEES6_PlJNSB_9not_fun_tI7is_evenIdEEEEEE10hipError_tPvRmT3_T4_T5_T6_T7_T9_mT8_P12ihipStream_tbDpT10_ENKUlT_T0_E_clISt17integral_constantIbLb0EES18_EEDaS13_S14_EUlS13_E_NS1_11comp_targetILNS1_3genE2ELNS1_11target_archE906ELNS1_3gpuE6ELNS1_3repE0EEENS1_30default_config_static_selectorELNS0_4arch9wavefront6targetE0EEEvT1_,comdat
	.protected	_ZN7rocprim17ROCPRIM_400000_NS6detail17trampoline_kernelINS0_14default_configENS1_25partition_config_selectorILNS1_17partition_subalgoE6EdNS0_10empty_typeEbEEZZNS1_14partition_implILS5_6ELb0ES3_mN6thrust23THRUST_200600_302600_NS6detail15normal_iteratorINSA_10device_ptrIdEEEEPS6_SG_NS0_5tupleIJSF_S6_EEENSH_IJSG_SG_EEES6_PlJNSB_9not_fun_tI7is_evenIdEEEEEE10hipError_tPvRmT3_T4_T5_T6_T7_T9_mT8_P12ihipStream_tbDpT10_ENKUlT_T0_E_clISt17integral_constantIbLb0EES18_EEDaS13_S14_EUlS13_E_NS1_11comp_targetILNS1_3genE2ELNS1_11target_archE906ELNS1_3gpuE6ELNS1_3repE0EEENS1_30default_config_static_selectorELNS0_4arch9wavefront6targetE0EEEvT1_ ; -- Begin function _ZN7rocprim17ROCPRIM_400000_NS6detail17trampoline_kernelINS0_14default_configENS1_25partition_config_selectorILNS1_17partition_subalgoE6EdNS0_10empty_typeEbEEZZNS1_14partition_implILS5_6ELb0ES3_mN6thrust23THRUST_200600_302600_NS6detail15normal_iteratorINSA_10device_ptrIdEEEEPS6_SG_NS0_5tupleIJSF_S6_EEENSH_IJSG_SG_EEES6_PlJNSB_9not_fun_tI7is_evenIdEEEEEE10hipError_tPvRmT3_T4_T5_T6_T7_T9_mT8_P12ihipStream_tbDpT10_ENKUlT_T0_E_clISt17integral_constantIbLb0EES18_EEDaS13_S14_EUlS13_E_NS1_11comp_targetILNS1_3genE2ELNS1_11target_archE906ELNS1_3gpuE6ELNS1_3repE0EEENS1_30default_config_static_selectorELNS0_4arch9wavefront6targetE0EEEvT1_
	.globl	_ZN7rocprim17ROCPRIM_400000_NS6detail17trampoline_kernelINS0_14default_configENS1_25partition_config_selectorILNS1_17partition_subalgoE6EdNS0_10empty_typeEbEEZZNS1_14partition_implILS5_6ELb0ES3_mN6thrust23THRUST_200600_302600_NS6detail15normal_iteratorINSA_10device_ptrIdEEEEPS6_SG_NS0_5tupleIJSF_S6_EEENSH_IJSG_SG_EEES6_PlJNSB_9not_fun_tI7is_evenIdEEEEEE10hipError_tPvRmT3_T4_T5_T6_T7_T9_mT8_P12ihipStream_tbDpT10_ENKUlT_T0_E_clISt17integral_constantIbLb0EES18_EEDaS13_S14_EUlS13_E_NS1_11comp_targetILNS1_3genE2ELNS1_11target_archE906ELNS1_3gpuE6ELNS1_3repE0EEENS1_30default_config_static_selectorELNS0_4arch9wavefront6targetE0EEEvT1_
	.p2align	8
	.type	_ZN7rocprim17ROCPRIM_400000_NS6detail17trampoline_kernelINS0_14default_configENS1_25partition_config_selectorILNS1_17partition_subalgoE6EdNS0_10empty_typeEbEEZZNS1_14partition_implILS5_6ELb0ES3_mN6thrust23THRUST_200600_302600_NS6detail15normal_iteratorINSA_10device_ptrIdEEEEPS6_SG_NS0_5tupleIJSF_S6_EEENSH_IJSG_SG_EEES6_PlJNSB_9not_fun_tI7is_evenIdEEEEEE10hipError_tPvRmT3_T4_T5_T6_T7_T9_mT8_P12ihipStream_tbDpT10_ENKUlT_T0_E_clISt17integral_constantIbLb0EES18_EEDaS13_S14_EUlS13_E_NS1_11comp_targetILNS1_3genE2ELNS1_11target_archE906ELNS1_3gpuE6ELNS1_3repE0EEENS1_30default_config_static_selectorELNS0_4arch9wavefront6targetE0EEEvT1_,@function
_ZN7rocprim17ROCPRIM_400000_NS6detail17trampoline_kernelINS0_14default_configENS1_25partition_config_selectorILNS1_17partition_subalgoE6EdNS0_10empty_typeEbEEZZNS1_14partition_implILS5_6ELb0ES3_mN6thrust23THRUST_200600_302600_NS6detail15normal_iteratorINSA_10device_ptrIdEEEEPS6_SG_NS0_5tupleIJSF_S6_EEENSH_IJSG_SG_EEES6_PlJNSB_9not_fun_tI7is_evenIdEEEEEE10hipError_tPvRmT3_T4_T5_T6_T7_T9_mT8_P12ihipStream_tbDpT10_ENKUlT_T0_E_clISt17integral_constantIbLb0EES18_EEDaS13_S14_EUlS13_E_NS1_11comp_targetILNS1_3genE2ELNS1_11target_archE906ELNS1_3gpuE6ELNS1_3repE0EEENS1_30default_config_static_selectorELNS0_4arch9wavefront6targetE0EEEvT1_: ; @_ZN7rocprim17ROCPRIM_400000_NS6detail17trampoline_kernelINS0_14default_configENS1_25partition_config_selectorILNS1_17partition_subalgoE6EdNS0_10empty_typeEbEEZZNS1_14partition_implILS5_6ELb0ES3_mN6thrust23THRUST_200600_302600_NS6detail15normal_iteratorINSA_10device_ptrIdEEEEPS6_SG_NS0_5tupleIJSF_S6_EEENSH_IJSG_SG_EEES6_PlJNSB_9not_fun_tI7is_evenIdEEEEEE10hipError_tPvRmT3_T4_T5_T6_T7_T9_mT8_P12ihipStream_tbDpT10_ENKUlT_T0_E_clISt17integral_constantIbLb0EES18_EEDaS13_S14_EUlS13_E_NS1_11comp_targetILNS1_3genE2ELNS1_11target_archE906ELNS1_3gpuE6ELNS1_3repE0EEENS1_30default_config_static_selectorELNS0_4arch9wavefront6targetE0EEEvT1_
; %bb.0:
	.section	.rodata,"a",@progbits
	.p2align	6, 0x0
	.amdhsa_kernel _ZN7rocprim17ROCPRIM_400000_NS6detail17trampoline_kernelINS0_14default_configENS1_25partition_config_selectorILNS1_17partition_subalgoE6EdNS0_10empty_typeEbEEZZNS1_14partition_implILS5_6ELb0ES3_mN6thrust23THRUST_200600_302600_NS6detail15normal_iteratorINSA_10device_ptrIdEEEEPS6_SG_NS0_5tupleIJSF_S6_EEENSH_IJSG_SG_EEES6_PlJNSB_9not_fun_tI7is_evenIdEEEEEE10hipError_tPvRmT3_T4_T5_T6_T7_T9_mT8_P12ihipStream_tbDpT10_ENKUlT_T0_E_clISt17integral_constantIbLb0EES18_EEDaS13_S14_EUlS13_E_NS1_11comp_targetILNS1_3genE2ELNS1_11target_archE906ELNS1_3gpuE6ELNS1_3repE0EEENS1_30default_config_static_selectorELNS0_4arch9wavefront6targetE0EEEvT1_
		.amdhsa_group_segment_fixed_size 0
		.amdhsa_private_segment_fixed_size 0
		.amdhsa_kernarg_size 112
		.amdhsa_user_sgpr_count 2
		.amdhsa_user_sgpr_dispatch_ptr 0
		.amdhsa_user_sgpr_queue_ptr 0
		.amdhsa_user_sgpr_kernarg_segment_ptr 1
		.amdhsa_user_sgpr_dispatch_id 0
		.amdhsa_user_sgpr_private_segment_size 0
		.amdhsa_wavefront_size32 1
		.amdhsa_uses_dynamic_stack 0
		.amdhsa_enable_private_segment 0
		.amdhsa_system_sgpr_workgroup_id_x 1
		.amdhsa_system_sgpr_workgroup_id_y 0
		.amdhsa_system_sgpr_workgroup_id_z 0
		.amdhsa_system_sgpr_workgroup_info 0
		.amdhsa_system_vgpr_workitem_id 0
		.amdhsa_next_free_vgpr 1
		.amdhsa_next_free_sgpr 1
		.amdhsa_reserve_vcc 0
		.amdhsa_float_round_mode_32 0
		.amdhsa_float_round_mode_16_64 0
		.amdhsa_float_denorm_mode_32 3
		.amdhsa_float_denorm_mode_16_64 3
		.amdhsa_fp16_overflow 0
		.amdhsa_workgroup_processor_mode 1
		.amdhsa_memory_ordered 1
		.amdhsa_forward_progress 1
		.amdhsa_inst_pref_size 0
		.amdhsa_round_robin_scheduling 0
		.amdhsa_exception_fp_ieee_invalid_op 0
		.amdhsa_exception_fp_denorm_src 0
		.amdhsa_exception_fp_ieee_div_zero 0
		.amdhsa_exception_fp_ieee_overflow 0
		.amdhsa_exception_fp_ieee_underflow 0
		.amdhsa_exception_fp_ieee_inexact 0
		.amdhsa_exception_int_div_zero 0
	.end_amdhsa_kernel
	.section	.text._ZN7rocprim17ROCPRIM_400000_NS6detail17trampoline_kernelINS0_14default_configENS1_25partition_config_selectorILNS1_17partition_subalgoE6EdNS0_10empty_typeEbEEZZNS1_14partition_implILS5_6ELb0ES3_mN6thrust23THRUST_200600_302600_NS6detail15normal_iteratorINSA_10device_ptrIdEEEEPS6_SG_NS0_5tupleIJSF_S6_EEENSH_IJSG_SG_EEES6_PlJNSB_9not_fun_tI7is_evenIdEEEEEE10hipError_tPvRmT3_T4_T5_T6_T7_T9_mT8_P12ihipStream_tbDpT10_ENKUlT_T0_E_clISt17integral_constantIbLb0EES18_EEDaS13_S14_EUlS13_E_NS1_11comp_targetILNS1_3genE2ELNS1_11target_archE906ELNS1_3gpuE6ELNS1_3repE0EEENS1_30default_config_static_selectorELNS0_4arch9wavefront6targetE0EEEvT1_,"axG",@progbits,_ZN7rocprim17ROCPRIM_400000_NS6detail17trampoline_kernelINS0_14default_configENS1_25partition_config_selectorILNS1_17partition_subalgoE6EdNS0_10empty_typeEbEEZZNS1_14partition_implILS5_6ELb0ES3_mN6thrust23THRUST_200600_302600_NS6detail15normal_iteratorINSA_10device_ptrIdEEEEPS6_SG_NS0_5tupleIJSF_S6_EEENSH_IJSG_SG_EEES6_PlJNSB_9not_fun_tI7is_evenIdEEEEEE10hipError_tPvRmT3_T4_T5_T6_T7_T9_mT8_P12ihipStream_tbDpT10_ENKUlT_T0_E_clISt17integral_constantIbLb0EES18_EEDaS13_S14_EUlS13_E_NS1_11comp_targetILNS1_3genE2ELNS1_11target_archE906ELNS1_3gpuE6ELNS1_3repE0EEENS1_30default_config_static_selectorELNS0_4arch9wavefront6targetE0EEEvT1_,comdat
.Lfunc_end537:
	.size	_ZN7rocprim17ROCPRIM_400000_NS6detail17trampoline_kernelINS0_14default_configENS1_25partition_config_selectorILNS1_17partition_subalgoE6EdNS0_10empty_typeEbEEZZNS1_14partition_implILS5_6ELb0ES3_mN6thrust23THRUST_200600_302600_NS6detail15normal_iteratorINSA_10device_ptrIdEEEEPS6_SG_NS0_5tupleIJSF_S6_EEENSH_IJSG_SG_EEES6_PlJNSB_9not_fun_tI7is_evenIdEEEEEE10hipError_tPvRmT3_T4_T5_T6_T7_T9_mT8_P12ihipStream_tbDpT10_ENKUlT_T0_E_clISt17integral_constantIbLb0EES18_EEDaS13_S14_EUlS13_E_NS1_11comp_targetILNS1_3genE2ELNS1_11target_archE906ELNS1_3gpuE6ELNS1_3repE0EEENS1_30default_config_static_selectorELNS0_4arch9wavefront6targetE0EEEvT1_, .Lfunc_end537-_ZN7rocprim17ROCPRIM_400000_NS6detail17trampoline_kernelINS0_14default_configENS1_25partition_config_selectorILNS1_17partition_subalgoE6EdNS0_10empty_typeEbEEZZNS1_14partition_implILS5_6ELb0ES3_mN6thrust23THRUST_200600_302600_NS6detail15normal_iteratorINSA_10device_ptrIdEEEEPS6_SG_NS0_5tupleIJSF_S6_EEENSH_IJSG_SG_EEES6_PlJNSB_9not_fun_tI7is_evenIdEEEEEE10hipError_tPvRmT3_T4_T5_T6_T7_T9_mT8_P12ihipStream_tbDpT10_ENKUlT_T0_E_clISt17integral_constantIbLb0EES18_EEDaS13_S14_EUlS13_E_NS1_11comp_targetILNS1_3genE2ELNS1_11target_archE906ELNS1_3gpuE6ELNS1_3repE0EEENS1_30default_config_static_selectorELNS0_4arch9wavefront6targetE0EEEvT1_
                                        ; -- End function
	.set _ZN7rocprim17ROCPRIM_400000_NS6detail17trampoline_kernelINS0_14default_configENS1_25partition_config_selectorILNS1_17partition_subalgoE6EdNS0_10empty_typeEbEEZZNS1_14partition_implILS5_6ELb0ES3_mN6thrust23THRUST_200600_302600_NS6detail15normal_iteratorINSA_10device_ptrIdEEEEPS6_SG_NS0_5tupleIJSF_S6_EEENSH_IJSG_SG_EEES6_PlJNSB_9not_fun_tI7is_evenIdEEEEEE10hipError_tPvRmT3_T4_T5_T6_T7_T9_mT8_P12ihipStream_tbDpT10_ENKUlT_T0_E_clISt17integral_constantIbLb0EES18_EEDaS13_S14_EUlS13_E_NS1_11comp_targetILNS1_3genE2ELNS1_11target_archE906ELNS1_3gpuE6ELNS1_3repE0EEENS1_30default_config_static_selectorELNS0_4arch9wavefront6targetE0EEEvT1_.num_vgpr, 0
	.set _ZN7rocprim17ROCPRIM_400000_NS6detail17trampoline_kernelINS0_14default_configENS1_25partition_config_selectorILNS1_17partition_subalgoE6EdNS0_10empty_typeEbEEZZNS1_14partition_implILS5_6ELb0ES3_mN6thrust23THRUST_200600_302600_NS6detail15normal_iteratorINSA_10device_ptrIdEEEEPS6_SG_NS0_5tupleIJSF_S6_EEENSH_IJSG_SG_EEES6_PlJNSB_9not_fun_tI7is_evenIdEEEEEE10hipError_tPvRmT3_T4_T5_T6_T7_T9_mT8_P12ihipStream_tbDpT10_ENKUlT_T0_E_clISt17integral_constantIbLb0EES18_EEDaS13_S14_EUlS13_E_NS1_11comp_targetILNS1_3genE2ELNS1_11target_archE906ELNS1_3gpuE6ELNS1_3repE0EEENS1_30default_config_static_selectorELNS0_4arch9wavefront6targetE0EEEvT1_.num_agpr, 0
	.set _ZN7rocprim17ROCPRIM_400000_NS6detail17trampoline_kernelINS0_14default_configENS1_25partition_config_selectorILNS1_17partition_subalgoE6EdNS0_10empty_typeEbEEZZNS1_14partition_implILS5_6ELb0ES3_mN6thrust23THRUST_200600_302600_NS6detail15normal_iteratorINSA_10device_ptrIdEEEEPS6_SG_NS0_5tupleIJSF_S6_EEENSH_IJSG_SG_EEES6_PlJNSB_9not_fun_tI7is_evenIdEEEEEE10hipError_tPvRmT3_T4_T5_T6_T7_T9_mT8_P12ihipStream_tbDpT10_ENKUlT_T0_E_clISt17integral_constantIbLb0EES18_EEDaS13_S14_EUlS13_E_NS1_11comp_targetILNS1_3genE2ELNS1_11target_archE906ELNS1_3gpuE6ELNS1_3repE0EEENS1_30default_config_static_selectorELNS0_4arch9wavefront6targetE0EEEvT1_.numbered_sgpr, 0
	.set _ZN7rocprim17ROCPRIM_400000_NS6detail17trampoline_kernelINS0_14default_configENS1_25partition_config_selectorILNS1_17partition_subalgoE6EdNS0_10empty_typeEbEEZZNS1_14partition_implILS5_6ELb0ES3_mN6thrust23THRUST_200600_302600_NS6detail15normal_iteratorINSA_10device_ptrIdEEEEPS6_SG_NS0_5tupleIJSF_S6_EEENSH_IJSG_SG_EEES6_PlJNSB_9not_fun_tI7is_evenIdEEEEEE10hipError_tPvRmT3_T4_T5_T6_T7_T9_mT8_P12ihipStream_tbDpT10_ENKUlT_T0_E_clISt17integral_constantIbLb0EES18_EEDaS13_S14_EUlS13_E_NS1_11comp_targetILNS1_3genE2ELNS1_11target_archE906ELNS1_3gpuE6ELNS1_3repE0EEENS1_30default_config_static_selectorELNS0_4arch9wavefront6targetE0EEEvT1_.num_named_barrier, 0
	.set _ZN7rocprim17ROCPRIM_400000_NS6detail17trampoline_kernelINS0_14default_configENS1_25partition_config_selectorILNS1_17partition_subalgoE6EdNS0_10empty_typeEbEEZZNS1_14partition_implILS5_6ELb0ES3_mN6thrust23THRUST_200600_302600_NS6detail15normal_iteratorINSA_10device_ptrIdEEEEPS6_SG_NS0_5tupleIJSF_S6_EEENSH_IJSG_SG_EEES6_PlJNSB_9not_fun_tI7is_evenIdEEEEEE10hipError_tPvRmT3_T4_T5_T6_T7_T9_mT8_P12ihipStream_tbDpT10_ENKUlT_T0_E_clISt17integral_constantIbLb0EES18_EEDaS13_S14_EUlS13_E_NS1_11comp_targetILNS1_3genE2ELNS1_11target_archE906ELNS1_3gpuE6ELNS1_3repE0EEENS1_30default_config_static_selectorELNS0_4arch9wavefront6targetE0EEEvT1_.private_seg_size, 0
	.set _ZN7rocprim17ROCPRIM_400000_NS6detail17trampoline_kernelINS0_14default_configENS1_25partition_config_selectorILNS1_17partition_subalgoE6EdNS0_10empty_typeEbEEZZNS1_14partition_implILS5_6ELb0ES3_mN6thrust23THRUST_200600_302600_NS6detail15normal_iteratorINSA_10device_ptrIdEEEEPS6_SG_NS0_5tupleIJSF_S6_EEENSH_IJSG_SG_EEES6_PlJNSB_9not_fun_tI7is_evenIdEEEEEE10hipError_tPvRmT3_T4_T5_T6_T7_T9_mT8_P12ihipStream_tbDpT10_ENKUlT_T0_E_clISt17integral_constantIbLb0EES18_EEDaS13_S14_EUlS13_E_NS1_11comp_targetILNS1_3genE2ELNS1_11target_archE906ELNS1_3gpuE6ELNS1_3repE0EEENS1_30default_config_static_selectorELNS0_4arch9wavefront6targetE0EEEvT1_.uses_vcc, 0
	.set _ZN7rocprim17ROCPRIM_400000_NS6detail17trampoline_kernelINS0_14default_configENS1_25partition_config_selectorILNS1_17partition_subalgoE6EdNS0_10empty_typeEbEEZZNS1_14partition_implILS5_6ELb0ES3_mN6thrust23THRUST_200600_302600_NS6detail15normal_iteratorINSA_10device_ptrIdEEEEPS6_SG_NS0_5tupleIJSF_S6_EEENSH_IJSG_SG_EEES6_PlJNSB_9not_fun_tI7is_evenIdEEEEEE10hipError_tPvRmT3_T4_T5_T6_T7_T9_mT8_P12ihipStream_tbDpT10_ENKUlT_T0_E_clISt17integral_constantIbLb0EES18_EEDaS13_S14_EUlS13_E_NS1_11comp_targetILNS1_3genE2ELNS1_11target_archE906ELNS1_3gpuE6ELNS1_3repE0EEENS1_30default_config_static_selectorELNS0_4arch9wavefront6targetE0EEEvT1_.uses_flat_scratch, 0
	.set _ZN7rocprim17ROCPRIM_400000_NS6detail17trampoline_kernelINS0_14default_configENS1_25partition_config_selectorILNS1_17partition_subalgoE6EdNS0_10empty_typeEbEEZZNS1_14partition_implILS5_6ELb0ES3_mN6thrust23THRUST_200600_302600_NS6detail15normal_iteratorINSA_10device_ptrIdEEEEPS6_SG_NS0_5tupleIJSF_S6_EEENSH_IJSG_SG_EEES6_PlJNSB_9not_fun_tI7is_evenIdEEEEEE10hipError_tPvRmT3_T4_T5_T6_T7_T9_mT8_P12ihipStream_tbDpT10_ENKUlT_T0_E_clISt17integral_constantIbLb0EES18_EEDaS13_S14_EUlS13_E_NS1_11comp_targetILNS1_3genE2ELNS1_11target_archE906ELNS1_3gpuE6ELNS1_3repE0EEENS1_30default_config_static_selectorELNS0_4arch9wavefront6targetE0EEEvT1_.has_dyn_sized_stack, 0
	.set _ZN7rocprim17ROCPRIM_400000_NS6detail17trampoline_kernelINS0_14default_configENS1_25partition_config_selectorILNS1_17partition_subalgoE6EdNS0_10empty_typeEbEEZZNS1_14partition_implILS5_6ELb0ES3_mN6thrust23THRUST_200600_302600_NS6detail15normal_iteratorINSA_10device_ptrIdEEEEPS6_SG_NS0_5tupleIJSF_S6_EEENSH_IJSG_SG_EEES6_PlJNSB_9not_fun_tI7is_evenIdEEEEEE10hipError_tPvRmT3_T4_T5_T6_T7_T9_mT8_P12ihipStream_tbDpT10_ENKUlT_T0_E_clISt17integral_constantIbLb0EES18_EEDaS13_S14_EUlS13_E_NS1_11comp_targetILNS1_3genE2ELNS1_11target_archE906ELNS1_3gpuE6ELNS1_3repE0EEENS1_30default_config_static_selectorELNS0_4arch9wavefront6targetE0EEEvT1_.has_recursion, 0
	.set _ZN7rocprim17ROCPRIM_400000_NS6detail17trampoline_kernelINS0_14default_configENS1_25partition_config_selectorILNS1_17partition_subalgoE6EdNS0_10empty_typeEbEEZZNS1_14partition_implILS5_6ELb0ES3_mN6thrust23THRUST_200600_302600_NS6detail15normal_iteratorINSA_10device_ptrIdEEEEPS6_SG_NS0_5tupleIJSF_S6_EEENSH_IJSG_SG_EEES6_PlJNSB_9not_fun_tI7is_evenIdEEEEEE10hipError_tPvRmT3_T4_T5_T6_T7_T9_mT8_P12ihipStream_tbDpT10_ENKUlT_T0_E_clISt17integral_constantIbLb0EES18_EEDaS13_S14_EUlS13_E_NS1_11comp_targetILNS1_3genE2ELNS1_11target_archE906ELNS1_3gpuE6ELNS1_3repE0EEENS1_30default_config_static_selectorELNS0_4arch9wavefront6targetE0EEEvT1_.has_indirect_call, 0
	.section	.AMDGPU.csdata,"",@progbits
; Kernel info:
; codeLenInByte = 0
; TotalNumSgprs: 0
; NumVgprs: 0
; ScratchSize: 0
; MemoryBound: 0
; FloatMode: 240
; IeeeMode: 1
; LDSByteSize: 0 bytes/workgroup (compile time only)
; SGPRBlocks: 0
; VGPRBlocks: 0
; NumSGPRsForWavesPerEU: 1
; NumVGPRsForWavesPerEU: 1
; Occupancy: 16
; WaveLimiterHint : 0
; COMPUTE_PGM_RSRC2:SCRATCH_EN: 0
; COMPUTE_PGM_RSRC2:USER_SGPR: 2
; COMPUTE_PGM_RSRC2:TRAP_HANDLER: 0
; COMPUTE_PGM_RSRC2:TGID_X_EN: 1
; COMPUTE_PGM_RSRC2:TGID_Y_EN: 0
; COMPUTE_PGM_RSRC2:TGID_Z_EN: 0
; COMPUTE_PGM_RSRC2:TIDIG_COMP_CNT: 0
	.section	.text._ZN7rocprim17ROCPRIM_400000_NS6detail17trampoline_kernelINS0_14default_configENS1_25partition_config_selectorILNS1_17partition_subalgoE6EdNS0_10empty_typeEbEEZZNS1_14partition_implILS5_6ELb0ES3_mN6thrust23THRUST_200600_302600_NS6detail15normal_iteratorINSA_10device_ptrIdEEEEPS6_SG_NS0_5tupleIJSF_S6_EEENSH_IJSG_SG_EEES6_PlJNSB_9not_fun_tI7is_evenIdEEEEEE10hipError_tPvRmT3_T4_T5_T6_T7_T9_mT8_P12ihipStream_tbDpT10_ENKUlT_T0_E_clISt17integral_constantIbLb0EES18_EEDaS13_S14_EUlS13_E_NS1_11comp_targetILNS1_3genE10ELNS1_11target_archE1200ELNS1_3gpuE4ELNS1_3repE0EEENS1_30default_config_static_selectorELNS0_4arch9wavefront6targetE0EEEvT1_,"axG",@progbits,_ZN7rocprim17ROCPRIM_400000_NS6detail17trampoline_kernelINS0_14default_configENS1_25partition_config_selectorILNS1_17partition_subalgoE6EdNS0_10empty_typeEbEEZZNS1_14partition_implILS5_6ELb0ES3_mN6thrust23THRUST_200600_302600_NS6detail15normal_iteratorINSA_10device_ptrIdEEEEPS6_SG_NS0_5tupleIJSF_S6_EEENSH_IJSG_SG_EEES6_PlJNSB_9not_fun_tI7is_evenIdEEEEEE10hipError_tPvRmT3_T4_T5_T6_T7_T9_mT8_P12ihipStream_tbDpT10_ENKUlT_T0_E_clISt17integral_constantIbLb0EES18_EEDaS13_S14_EUlS13_E_NS1_11comp_targetILNS1_3genE10ELNS1_11target_archE1200ELNS1_3gpuE4ELNS1_3repE0EEENS1_30default_config_static_selectorELNS0_4arch9wavefront6targetE0EEEvT1_,comdat
	.protected	_ZN7rocprim17ROCPRIM_400000_NS6detail17trampoline_kernelINS0_14default_configENS1_25partition_config_selectorILNS1_17partition_subalgoE6EdNS0_10empty_typeEbEEZZNS1_14partition_implILS5_6ELb0ES3_mN6thrust23THRUST_200600_302600_NS6detail15normal_iteratorINSA_10device_ptrIdEEEEPS6_SG_NS0_5tupleIJSF_S6_EEENSH_IJSG_SG_EEES6_PlJNSB_9not_fun_tI7is_evenIdEEEEEE10hipError_tPvRmT3_T4_T5_T6_T7_T9_mT8_P12ihipStream_tbDpT10_ENKUlT_T0_E_clISt17integral_constantIbLb0EES18_EEDaS13_S14_EUlS13_E_NS1_11comp_targetILNS1_3genE10ELNS1_11target_archE1200ELNS1_3gpuE4ELNS1_3repE0EEENS1_30default_config_static_selectorELNS0_4arch9wavefront6targetE0EEEvT1_ ; -- Begin function _ZN7rocprim17ROCPRIM_400000_NS6detail17trampoline_kernelINS0_14default_configENS1_25partition_config_selectorILNS1_17partition_subalgoE6EdNS0_10empty_typeEbEEZZNS1_14partition_implILS5_6ELb0ES3_mN6thrust23THRUST_200600_302600_NS6detail15normal_iteratorINSA_10device_ptrIdEEEEPS6_SG_NS0_5tupleIJSF_S6_EEENSH_IJSG_SG_EEES6_PlJNSB_9not_fun_tI7is_evenIdEEEEEE10hipError_tPvRmT3_T4_T5_T6_T7_T9_mT8_P12ihipStream_tbDpT10_ENKUlT_T0_E_clISt17integral_constantIbLb0EES18_EEDaS13_S14_EUlS13_E_NS1_11comp_targetILNS1_3genE10ELNS1_11target_archE1200ELNS1_3gpuE4ELNS1_3repE0EEENS1_30default_config_static_selectorELNS0_4arch9wavefront6targetE0EEEvT1_
	.globl	_ZN7rocprim17ROCPRIM_400000_NS6detail17trampoline_kernelINS0_14default_configENS1_25partition_config_selectorILNS1_17partition_subalgoE6EdNS0_10empty_typeEbEEZZNS1_14partition_implILS5_6ELb0ES3_mN6thrust23THRUST_200600_302600_NS6detail15normal_iteratorINSA_10device_ptrIdEEEEPS6_SG_NS0_5tupleIJSF_S6_EEENSH_IJSG_SG_EEES6_PlJNSB_9not_fun_tI7is_evenIdEEEEEE10hipError_tPvRmT3_T4_T5_T6_T7_T9_mT8_P12ihipStream_tbDpT10_ENKUlT_T0_E_clISt17integral_constantIbLb0EES18_EEDaS13_S14_EUlS13_E_NS1_11comp_targetILNS1_3genE10ELNS1_11target_archE1200ELNS1_3gpuE4ELNS1_3repE0EEENS1_30default_config_static_selectorELNS0_4arch9wavefront6targetE0EEEvT1_
	.p2align	8
	.type	_ZN7rocprim17ROCPRIM_400000_NS6detail17trampoline_kernelINS0_14default_configENS1_25partition_config_selectorILNS1_17partition_subalgoE6EdNS0_10empty_typeEbEEZZNS1_14partition_implILS5_6ELb0ES3_mN6thrust23THRUST_200600_302600_NS6detail15normal_iteratorINSA_10device_ptrIdEEEEPS6_SG_NS0_5tupleIJSF_S6_EEENSH_IJSG_SG_EEES6_PlJNSB_9not_fun_tI7is_evenIdEEEEEE10hipError_tPvRmT3_T4_T5_T6_T7_T9_mT8_P12ihipStream_tbDpT10_ENKUlT_T0_E_clISt17integral_constantIbLb0EES18_EEDaS13_S14_EUlS13_E_NS1_11comp_targetILNS1_3genE10ELNS1_11target_archE1200ELNS1_3gpuE4ELNS1_3repE0EEENS1_30default_config_static_selectorELNS0_4arch9wavefront6targetE0EEEvT1_,@function
_ZN7rocprim17ROCPRIM_400000_NS6detail17trampoline_kernelINS0_14default_configENS1_25partition_config_selectorILNS1_17partition_subalgoE6EdNS0_10empty_typeEbEEZZNS1_14partition_implILS5_6ELb0ES3_mN6thrust23THRUST_200600_302600_NS6detail15normal_iteratorINSA_10device_ptrIdEEEEPS6_SG_NS0_5tupleIJSF_S6_EEENSH_IJSG_SG_EEES6_PlJNSB_9not_fun_tI7is_evenIdEEEEEE10hipError_tPvRmT3_T4_T5_T6_T7_T9_mT8_P12ihipStream_tbDpT10_ENKUlT_T0_E_clISt17integral_constantIbLb0EES18_EEDaS13_S14_EUlS13_E_NS1_11comp_targetILNS1_3genE10ELNS1_11target_archE1200ELNS1_3gpuE4ELNS1_3repE0EEENS1_30default_config_static_selectorELNS0_4arch9wavefront6targetE0EEEvT1_: ; @_ZN7rocprim17ROCPRIM_400000_NS6detail17trampoline_kernelINS0_14default_configENS1_25partition_config_selectorILNS1_17partition_subalgoE6EdNS0_10empty_typeEbEEZZNS1_14partition_implILS5_6ELb0ES3_mN6thrust23THRUST_200600_302600_NS6detail15normal_iteratorINSA_10device_ptrIdEEEEPS6_SG_NS0_5tupleIJSF_S6_EEENSH_IJSG_SG_EEES6_PlJNSB_9not_fun_tI7is_evenIdEEEEEE10hipError_tPvRmT3_T4_T5_T6_T7_T9_mT8_P12ihipStream_tbDpT10_ENKUlT_T0_E_clISt17integral_constantIbLb0EES18_EEDaS13_S14_EUlS13_E_NS1_11comp_targetILNS1_3genE10ELNS1_11target_archE1200ELNS1_3gpuE4ELNS1_3repE0EEENS1_30default_config_static_selectorELNS0_4arch9wavefront6targetE0EEEvT1_
; %bb.0:
	s_clause 0x3
	s_load_b128 s[16:19], s[0:1], 0x8
	s_load_b128 s[8:11], s[0:1], 0x40
	s_load_b32 s3, s[0:1], 0x68
	s_load_b64 s[4:5], s[0:1], 0x50
	s_mov_b32 s13, 0
	s_lshl_b32 s2, ttmp9, 10
	v_lshrrev_b32_e32 v9, 2, v0
	v_or_b32_e32 v11, 0x200, v0
	v_or_b32_e32 v10, 0x300, v0
	s_mov_b32 s14, -1
	s_wait_kmcnt 0x0
	s_lshl_b64 s[20:21], s[18:19], 3
	s_load_b64 s[6:7], s[10:11], 0x0
	s_lshl_b32 s12, s3, 10
	s_add_co_i32 s3, s3, -1
	s_add_nc_u64 s[10:11], s[18:19], s[12:13]
	s_lshl_b32 s12, s3, 10
	v_cmp_le_u64_e64 s10, s[4:5], s[10:11]
	s_add_co_i32 s5, s18, s12
	s_cmp_eq_u32 ttmp9, s3
	s_mov_b32 s3, s13
	s_cselect_b32 s12, -1, 0
	s_lshl_b64 s[2:3], s[2:3], 3
	s_and_b32 s13, s12, s10
	s_add_nc_u64 s[10:11], s[16:17], s[20:21]
	s_xor_b32 s13, s13, -1
	s_wait_alu 0xfffe
	s_add_nc_u64 s[2:3], s[10:11], s[2:3]
	s_and_b32 vcc_lo, exec_lo, s13
	s_cbranch_vccz .LBB538_2
; %bb.1:
	v_lshlrev_b32_e32 v12, 3, v0
	v_or_b32_e32 v13, 0x100, v0
	v_lshrrev_b32_e32 v14, 2, v11
	v_lshrrev_b32_e32 v15, 2, v10
	v_and_b32_e32 v16, 56, v9
	v_add_co_u32 v1, s10, s2, v12
	s_wait_alu 0xf1ff
	v_add_co_ci_u32_e64 v2, null, s3, 0, s10
	v_lshrrev_b32_e32 v13, 2, v13
	v_and_b32_e32 v14, 0xb8, v14
	v_and_b32_e32 v15, 0xf8, v15
	s_clause 0x3
	flat_load_b64 v[3:4], v[1:2]
	flat_load_b64 v[5:6], v[1:2] offset:2048
	flat_load_b64 v[7:8], v[1:2] offset:4096
	;; [unrolled: 1-line block ×3, first 2 shown]
	v_add_nc_u32_e32 v16, v16, v12
	v_and_b32_e32 v13, 0x78, v13
	v_add_nc_u32_e32 v14, v14, v12
	s_mov_b32 s14, 0
	s_delay_alu instid0(VALU_DEP_2)
	v_add_nc_u32_e32 v13, v13, v12
	v_add_nc_u32_e32 v12, v15, v12
	s_wait_loadcnt_dscnt 0x303
	ds_store_b64 v16, v[3:4]
	s_wait_loadcnt_dscnt 0x203
	ds_store_b64 v13, v[5:6] offset:2048
	s_wait_loadcnt_dscnt 0x103
	ds_store_b64 v14, v[7:8] offset:4096
	;; [unrolled: 2-line block ×3, first 2 shown]
	s_wait_dscnt 0x0
	s_barrier_signal -1
	s_barrier_wait -1
.LBB538_2:
	s_and_not1_b32 vcc_lo, exec_lo, s14
	s_sub_co_i32 s4, s4, s5
	s_cbranch_vccnz .LBB538_10
; %bb.3:
	v_mov_b32_e32 v1, 0
	s_mov_b32 s5, exec_lo
	s_delay_alu instid0(VALU_DEP_1)
	v_dual_mov_b32 v2, v1 :: v_dual_mov_b32 v3, v1
	v_dual_mov_b32 v4, v1 :: v_dual_mov_b32 v5, v1
	;; [unrolled: 1-line block ×3, first 2 shown]
	v_mov_b32_e32 v8, v1
	s_wait_alu 0xfffe
	v_cmpx_gt_u32_e64 s4, v0
	s_cbranch_execz .LBB538_5
; %bb.4:
	v_dual_mov_b32 v15, v1 :: v_dual_lshlrev_b32 v2, 3, v0
	v_dual_mov_b32 v14, v1 :: v_dual_mov_b32 v17, v1
	v_dual_mov_b32 v16, v1 :: v_dual_mov_b32 v19, v1
	s_delay_alu instid0(VALU_DEP_3)
	v_add_co_u32 v2, s10, s2, v2
	s_wait_alu 0xf1ff
	v_add_co_ci_u32_e64 v3, null, s3, 0, s10
	v_mov_b32_e32 v18, v1
	flat_load_b64 v[12:13], v[2:3]
	s_wait_loadcnt_dscnt 0x0
	v_dual_mov_b32 v1, v12 :: v_dual_mov_b32 v2, v13
	v_dual_mov_b32 v3, v14 :: v_dual_mov_b32 v4, v15
	;; [unrolled: 1-line block ×4, first 2 shown]
.LBB538_5:
	s_or_b32 exec_lo, exec_lo, s5
	v_or_b32_e32 v12, 0x100, v0
	s_mov_b32 s5, exec_lo
	s_delay_alu instid0(VALU_DEP_1)
	v_cmpx_gt_u32_e64 s4, v12
	s_cbranch_execnz .LBB538_128
; %bb.6:
	s_wait_alu 0xfffe
	s_or_b32 exec_lo, exec_lo, s5
	s_delay_alu instid0(SALU_CYCLE_1)
	s_mov_b32 s5, exec_lo
	v_cmpx_gt_u32_e64 s4, v11
	s_cbranch_execnz .LBB538_129
.LBB538_7:
	s_wait_alu 0xfffe
	s_or_b32 exec_lo, exec_lo, s5
	s_delay_alu instid0(SALU_CYCLE_1)
	s_mov_b32 s5, exec_lo
	v_cmpx_gt_u32_e64 s4, v10
	s_cbranch_execz .LBB538_9
.LBB538_8:
	v_lshlrev_b32_e32 v7, 3, v0
	s_delay_alu instid0(VALU_DEP_1)
	v_add_co_u32 v7, s2, s2, v7
	s_wait_alu 0xf1ff
	v_add_co_ci_u32_e64 v8, null, s3, 0, s2
	flat_load_b64 v[7:8], v[7:8] offset:6144
.LBB538_9:
	s_wait_alu 0xfffe
	s_or_b32 exec_lo, exec_lo, s5
	v_lshrrev_b32_e32 v12, 2, v12
	v_lshrrev_b32_e32 v11, 2, v11
	;; [unrolled: 1-line block ×3, first 2 shown]
	v_and_b32_e32 v9, 56, v9
	v_lshlrev_b32_e32 v13, 3, v0
	v_and_b32_e32 v12, 0x78, v12
	v_and_b32_e32 v11, 0xf8, v11
	;; [unrolled: 1-line block ×3, first 2 shown]
	s_delay_alu instid0(VALU_DEP_4) | instskip(NEXT) | instid1(VALU_DEP_4)
	v_add_nc_u32_e32 v9, v9, v13
	v_add_nc_u32_e32 v12, v12, v13
	s_delay_alu instid0(VALU_DEP_4) | instskip(NEXT) | instid1(VALU_DEP_4)
	v_add_nc_u32_e32 v11, v11, v13
	v_add_nc_u32_e32 v10, v10, v13
	ds_store_b64 v9, v[1:2]
	s_wait_loadcnt_dscnt 0x1
	ds_store_b64 v12, v[3:4] offset:2048
	ds_store_b64 v11, v[5:6] offset:4096
	;; [unrolled: 1-line block ×3, first 2 shown]
	s_wait_dscnt 0x0
	s_barrier_signal -1
	s_barrier_wait -1
.LBB538_10:
	v_and_b32_e32 v1, 0xf8, v0
	global_inv scope:SCOPE_SE
	s_and_not1_b32 vcc_lo, exec_lo, s13
	v_lshl_add_u32 v5, v0, 5, v1
	ds_load_2addr_b64 v[1:4], v5 offset0:2 offset1:3
	ds_load_2addr_b64 v[5:8], v5 offset1:1
	s_wait_loadcnt_dscnt 0x0
	s_barrier_signal -1
	s_barrier_wait -1
	global_inv scope:SCOPE_SE
	s_cbranch_vccnz .LBB538_12
; %bb.11:
	v_cvt_u32_f64_e32 v9, v[3:4]
	v_cvt_u32_f64_e32 v10, v[1:2]
	;; [unrolled: 1-line block ×4, first 2 shown]
	s_delay_alu instid0(VALU_DEP_4) | instskip(NEXT) | instid1(VALU_DEP_4)
	v_and_b32_e32 v25, 1, v9
	v_and_b32_e32 v26, 1, v10
	s_delay_alu instid0(VALU_DEP_4) | instskip(NEXT) | instid1(VALU_DEP_4)
	v_and_b32_e32 v27, 1, v11
	v_and_b32_e32 v28, 1, v12
	s_cbranch_execz .LBB538_13
	s_branch .LBB538_14
.LBB538_12:
                                        ; implicit-def: $vgpr28
                                        ; implicit-def: $vgpr27
                                        ; implicit-def: $vgpr26
                                        ; implicit-def: $vgpr25
.LBB538_13:
	v_cvt_u32_f64_e32 v9, v[3:4]
	v_cvt_u32_f64_e32 v10, v[1:2]
	;; [unrolled: 1-line block ×3, first 2 shown]
	v_lshlrev_b32_e32 v13, 2, v0
	v_cvt_u32_f64_e32 v12, v[5:6]
	s_delay_alu instid0(VALU_DEP_2) | instskip(SKIP_3) | instid1(VALU_DEP_3)
	v_or_b32_e32 v14, 3, v13
	v_or_b32_e32 v15, 2, v13
	;; [unrolled: 1-line block ×3, first 2 shown]
	s_wait_alu 0xfffe
	v_cmp_gt_u32_e32 vcc_lo, s4, v14
	v_cndmask_b32_e64 v14, 0, 1, vcc_lo
	v_cmp_gt_u32_e32 vcc_lo, s4, v15
	s_wait_alu 0xfffd
	v_cndmask_b32_e64 v15, 0, 1, vcc_lo
	v_cmp_gt_u32_e32 vcc_lo, s4, v16
	v_and_b32_e32 v9, v14, v9
	s_wait_alu 0xfffd
	v_cndmask_b32_e64 v14, 0, 1, vcc_lo
	v_and_b32_e32 v10, v15, v10
	v_cmp_gt_u32_e32 vcc_lo, s4, v13
	v_lshlrev_b16 v9, 8, v9
	s_delay_alu instid0(VALU_DEP_4) | instskip(NEXT) | instid1(VALU_DEP_2)
	v_and_b32_e32 v11, v14, v11
	v_or_b32_e32 v26, v10, v9
	s_delay_alu instid0(VALU_DEP_2) | instskip(SKIP_2) | instid1(VALU_DEP_3)
	v_lshlrev_b16 v9, 8, v11
	s_wait_alu 0xfffd
	v_cndmask_b32_e64 v10, 0, 1, vcc_lo
	v_lshlrev_b32_e32 v11, 16, v26
	s_delay_alu instid0(VALU_DEP_3) | instskip(NEXT) | instid1(VALU_DEP_3)
	v_and_b32_e32 v13, 0xffff, v9
	v_and_b32_e32 v10, v10, v12
	s_delay_alu instid0(VALU_DEP_3) | instskip(NEXT) | instid1(VALU_DEP_3)
	v_lshrrev_b32_e32 v25, 24, v11
	v_or_b32_e32 v12, v13, v11
	s_delay_alu instid0(VALU_DEP_3) | instskip(NEXT) | instid1(VALU_DEP_2)
	v_or_b32_e32 v28, v10, v9
	v_lshrrev_b32_e32 v27, 8, v12
.LBB538_14:
	s_load_b64 s[10:11], s[0:1], 0x60
	s_delay_alu instid0(VALU_DEP_1) | instskip(NEXT) | instid1(VALU_DEP_2)
	v_dual_mov_b32 v10, 0 :: v_dual_and_b32 v31, 0xff, v28
	v_and_b32_e32 v30, 0xff, v27
	v_and_b32_e32 v29, 0xff, v26
	v_mbcnt_lo_u32_b32 v32, -1, 0
	v_and_b32_e32 v9, 0xff, v25
	s_cmp_lg_u32 ttmp9, 0
	s_mov_b32 s3, -1
	v_add3_u32 v11, v30, v31, v29
	v_and_b32_e32 v33, 15, v32
	s_delay_alu instid0(VALU_DEP_2) | instskip(SKIP_2) | instid1(VALU_DEP_3)
	v_add_co_u32 v17, s2, v11, v9
	s_wait_alu 0xf1ff
	v_add_co_ci_u32_e64 v18, null, 0, 0, s2
	v_cmp_ne_u32_e64 s2, 0, v33
	s_cbranch_scc0 .LBB538_71
; %bb.15:
	v_mov_b32_e32 v11, v17
	v_mov_b32_dpp v9, v17 row_shr:1 row_mask:0xf bank_mask:0xf
	v_mov_b32_dpp v14, v10 row_shr:1 row_mask:0xf bank_mask:0xf
	v_dual_mov_b32 v13, v17 :: v_dual_mov_b32 v12, v18
	s_and_saveexec_b32 s3, s2
; %bb.16:
	s_delay_alu instid0(VALU_DEP_3) | instskip(SKIP_2) | instid1(VALU_DEP_2)
	v_add_co_u32 v13, vcc_lo, v17, v9
	s_wait_alu 0xfffd
	v_add_co_ci_u32_e64 v10, null, 0, v18, vcc_lo
	v_add_co_u32 v9, vcc_lo, 0, v13
	s_wait_alu 0xfffd
	s_delay_alu instid0(VALU_DEP_2) | instskip(NEXT) | instid1(VALU_DEP_1)
	v_add_co_ci_u32_e64 v10, null, v14, v10, vcc_lo
	v_dual_mov_b32 v12, v10 :: v_dual_mov_b32 v11, v9
; %bb.17:
	s_wait_alu 0xfffe
	s_or_b32 exec_lo, exec_lo, s3
	v_mov_b32_dpp v9, v13 row_shr:2 row_mask:0xf bank_mask:0xf
	v_mov_b32_dpp v14, v10 row_shr:2 row_mask:0xf bank_mask:0xf
	s_mov_b32 s3, exec_lo
	v_cmpx_lt_u32_e32 1, v33
; %bb.18:
	s_delay_alu instid0(VALU_DEP_3) | instskip(SKIP_2) | instid1(VALU_DEP_2)
	v_add_co_u32 v13, vcc_lo, v11, v9
	s_wait_alu 0xfffd
	v_add_co_ci_u32_e64 v10, null, 0, v12, vcc_lo
	v_add_co_u32 v9, vcc_lo, 0, v13
	s_wait_alu 0xfffd
	s_delay_alu instid0(VALU_DEP_2) | instskip(NEXT) | instid1(VALU_DEP_1)
	v_add_co_ci_u32_e64 v10, null, v14, v10, vcc_lo
	v_dual_mov_b32 v12, v10 :: v_dual_mov_b32 v11, v9
; %bb.19:
	s_wait_alu 0xfffe
	s_or_b32 exec_lo, exec_lo, s3
	v_mov_b32_dpp v9, v13 row_shr:4 row_mask:0xf bank_mask:0xf
	v_mov_b32_dpp v14, v10 row_shr:4 row_mask:0xf bank_mask:0xf
	s_mov_b32 s3, exec_lo
	v_cmpx_lt_u32_e32 3, v33
	;; [unrolled: 17-line block ×3, first 2 shown]
; %bb.22:
	s_delay_alu instid0(VALU_DEP_3) | instskip(SKIP_2) | instid1(VALU_DEP_2)
	v_add_co_u32 v13, vcc_lo, v11, v14
	s_wait_alu 0xfffd
	v_add_co_ci_u32_e64 v10, null, 0, v12, vcc_lo
	v_add_co_u32 v11, vcc_lo, 0, v13
	s_wait_alu 0xfffd
	s_delay_alu instid0(VALU_DEP_2) | instskip(NEXT) | instid1(VALU_DEP_1)
	v_add_co_ci_u32_e64 v12, null, v9, v10, vcc_lo
	v_mov_b32_e32 v10, v12
; %bb.23:
	s_wait_alu 0xfffe
	s_or_b32 exec_lo, exec_lo, s3
	ds_swizzle_b32 v9, v13 offset:swizzle(BROADCAST,32,15)
	ds_swizzle_b32 v14, v10 offset:swizzle(BROADCAST,32,15)
	v_and_b32_e32 v15, 16, v32
	s_mov_b32 s3, exec_lo
	s_delay_alu instid0(VALU_DEP_1)
	v_cmpx_ne_u32_e32 0, v15
	s_cbranch_execz .LBB538_25
; %bb.24:
	s_wait_dscnt 0x1
	v_add_co_u32 v13, vcc_lo, v11, v9
	s_wait_alu 0xfffd
	v_add_co_ci_u32_e64 v10, null, 0, v12, vcc_lo
	s_delay_alu instid0(VALU_DEP_2) | instskip(SKIP_2) | instid1(VALU_DEP_2)
	v_add_co_u32 v9, vcc_lo, 0, v13
	s_wait_dscnt 0x0
	s_wait_alu 0xfffd
	v_add_co_ci_u32_e64 v10, null, v14, v10, vcc_lo
	s_delay_alu instid0(VALU_DEP_1)
	v_dual_mov_b32 v12, v10 :: v_dual_mov_b32 v11, v9
.LBB538_25:
	s_wait_alu 0xfffe
	s_or_b32 exec_lo, exec_lo, s3
	s_wait_dscnt 0x0
	v_or_b32_e32 v14, 31, v0
	v_lshrrev_b32_e32 v9, 5, v0
	s_mov_b32 s3, exec_lo
	s_delay_alu instid0(VALU_DEP_2)
	v_cmpx_eq_u32_e64 v0, v14
; %bb.26:
	s_delay_alu instid0(VALU_DEP_2)
	v_lshlrev_b32_e32 v14, 3, v9
	ds_store_b64 v14, v[11:12]
; %bb.27:
	s_wait_alu 0xfffe
	s_or_b32 exec_lo, exec_lo, s3
	s_delay_alu instid0(SALU_CYCLE_1)
	s_mov_b32 s3, exec_lo
	s_wait_loadcnt_dscnt 0x0
	s_barrier_signal -1
	s_barrier_wait -1
	global_inv scope:SCOPE_SE
	v_cmpx_gt_u32_e32 8, v0
	s_cbranch_execz .LBB538_35
; %bb.28:
	v_lshlrev_b32_e32 v14, 3, v0
	s_mov_b32 s4, exec_lo
	ds_load_b64 v[11:12], v14
	s_wait_dscnt 0x0
	v_dual_mov_b32 v16, v11 :: v_dual_and_b32 v15, 7, v32
	v_mov_b32_dpp v20, v11 row_shr:1 row_mask:0xf bank_mask:0xf
	v_mov_b32_dpp v19, v12 row_shr:1 row_mask:0xf bank_mask:0xf
	s_delay_alu instid0(VALU_DEP_3)
	v_cmpx_ne_u32_e32 0, v15
; %bb.29:
	s_delay_alu instid0(VALU_DEP_3) | instskip(SKIP_2) | instid1(VALU_DEP_2)
	v_add_co_u32 v16, vcc_lo, v11, v20
	s_wait_alu 0xfffd
	v_add_co_ci_u32_e64 v12, null, 0, v12, vcc_lo
	v_add_co_u32 v11, vcc_lo, 0, v16
	s_wait_alu 0xfffd
	s_delay_alu instid0(VALU_DEP_2)
	v_add_co_ci_u32_e64 v12, null, v19, v12, vcc_lo
; %bb.30:
	s_wait_alu 0xfffe
	s_or_b32 exec_lo, exec_lo, s4
	v_mov_b32_dpp v20, v16 row_shr:2 row_mask:0xf bank_mask:0xf
	s_delay_alu instid0(VALU_DEP_2)
	v_mov_b32_dpp v19, v12 row_shr:2 row_mask:0xf bank_mask:0xf
	s_mov_b32 s4, exec_lo
	v_cmpx_lt_u32_e32 1, v15
; %bb.31:
	s_delay_alu instid0(VALU_DEP_3) | instskip(SKIP_2) | instid1(VALU_DEP_2)
	v_add_co_u32 v16, vcc_lo, v11, v20
	s_wait_alu 0xfffd
	v_add_co_ci_u32_e64 v12, null, 0, v12, vcc_lo
	v_add_co_u32 v11, vcc_lo, 0, v16
	s_wait_alu 0xfffd
	s_delay_alu instid0(VALU_DEP_2)
	v_add_co_ci_u32_e64 v12, null, v19, v12, vcc_lo
; %bb.32:
	s_wait_alu 0xfffe
	s_or_b32 exec_lo, exec_lo, s4
	v_mov_b32_dpp v19, v16 row_shr:4 row_mask:0xf bank_mask:0xf
	s_delay_alu instid0(VALU_DEP_2)
	v_mov_b32_dpp v16, v12 row_shr:4 row_mask:0xf bank_mask:0xf
	s_mov_b32 s4, exec_lo
	v_cmpx_lt_u32_e32 3, v15
; %bb.33:
	s_delay_alu instid0(VALU_DEP_3) | instskip(SKIP_2) | instid1(VALU_DEP_2)
	v_add_co_u32 v11, vcc_lo, v11, v19
	s_wait_alu 0xfffd
	v_add_co_ci_u32_e64 v12, null, 0, v12, vcc_lo
	v_add_co_u32 v11, vcc_lo, v11, 0
	s_wait_alu 0xfffd
	s_delay_alu instid0(VALU_DEP_2)
	v_add_co_ci_u32_e64 v12, null, v12, v16, vcc_lo
; %bb.34:
	s_wait_alu 0xfffe
	s_or_b32 exec_lo, exec_lo, s4
	ds_store_b64 v14, v[11:12]
.LBB538_35:
	s_wait_alu 0xfffe
	s_or_b32 exec_lo, exec_lo, s3
	s_delay_alu instid0(SALU_CYCLE_1)
	s_mov_b32 s4, exec_lo
	v_cmp_gt_u32_e32 vcc_lo, 32, v0
	s_wait_loadcnt_dscnt 0x0
	s_barrier_signal -1
	s_barrier_wait -1
	global_inv scope:SCOPE_SE
                                        ; implicit-def: $vgpr19_vgpr20
	v_cmpx_lt_u32_e32 31, v0
	s_cbranch_execz .LBB538_37
; %bb.36:
	v_lshl_add_u32 v9, v9, 3, -8
	ds_load_b64 v[19:20], v9
	s_wait_dscnt 0x0
	v_add_co_u32 v13, s3, v13, v19
	s_wait_alu 0xf1ff
	v_add_co_ci_u32_e64 v10, null, v10, v20, s3
.LBB538_37:
	s_wait_alu 0xfffe
	s_or_b32 exec_lo, exec_lo, s4
	v_sub_co_u32 v9, s3, v32, 1
	s_delay_alu instid0(VALU_DEP_1) | instskip(SKIP_1) | instid1(VALU_DEP_1)
	v_cmp_gt_i32_e64 s4, 0, v9
	s_wait_alu 0xf1ff
	v_cndmask_b32_e64 v9, v9, v32, s4
	s_delay_alu instid0(VALU_DEP_1)
	v_lshlrev_b32_e32 v9, 2, v9
	ds_bpermute_b32 v34, v9, v13
	ds_bpermute_b32 v35, v9, v10
	s_and_saveexec_b32 s4, vcc_lo
	s_cbranch_execz .LBB538_76
; %bb.38:
	v_mov_b32_e32 v12, 0
	ds_load_b64 v[9:10], v12 offset:56
	s_and_saveexec_b32 s5, s3
	s_cbranch_execz .LBB538_40
; %bb.39:
	s_add_co_i32 s14, ttmp9, 32
	s_mov_b32 s15, 0
	s_delay_alu instid0(SALU_CYCLE_1)
	s_lshl_b64 s[14:15], s[14:15], 4
	s_wait_kmcnt 0x0
	s_add_nc_u64 s[14:15], s[10:11], s[14:15]
	v_mov_b32_e32 v11, 1
	v_dual_mov_b32 v13, s14 :: v_dual_mov_b32 v14, s15
	s_wait_dscnt 0x0
	;;#ASMSTART
	global_store_b128 v[13:14], v[9:12] off scope:SCOPE_DEV	
s_wait_storecnt 0x0
	;;#ASMEND
.LBB538_40:
	s_wait_alu 0xfffe
	s_or_b32 exec_lo, exec_lo, s5
	v_xad_u32 v21, v32, -1, ttmp9
	s_mov_b32 s14, 0
	s_mov_b32 s5, exec_lo
	s_delay_alu instid0(VALU_DEP_1) | instskip(NEXT) | instid1(VALU_DEP_1)
	v_add_nc_u32_e32 v11, 32, v21
	v_lshlrev_b64_e32 v[11:12], 4, v[11:12]
	s_wait_kmcnt 0x0
	s_delay_alu instid0(VALU_DEP_1) | instskip(SKIP_1) | instid1(VALU_DEP_2)
	v_add_co_u32 v11, vcc_lo, s10, v11
	s_wait_alu 0xfffd
	v_add_co_ci_u32_e64 v12, null, s11, v12, vcc_lo
	;;#ASMSTART
	global_load_b128 v[13:16], v[11:12] off scope:SCOPE_DEV	
s_wait_loadcnt 0x0
	;;#ASMEND
	v_and_b32_e32 v16, 0xff, v15
	s_delay_alu instid0(VALU_DEP_1)
	v_cmpx_eq_u16_e32 0, v16
	s_cbranch_execz .LBB538_43
.LBB538_41:                             ; =>This Inner Loop Header: Depth=1
	;;#ASMSTART
	global_load_b128 v[13:16], v[11:12] off scope:SCOPE_DEV	
s_wait_loadcnt 0x0
	;;#ASMEND
	v_and_b32_e32 v16, 0xff, v15
	s_delay_alu instid0(VALU_DEP_1)
	v_cmp_ne_u16_e32 vcc_lo, 0, v16
	s_wait_alu 0xfffe
	s_or_b32 s14, vcc_lo, s14
	s_wait_alu 0xfffe
	s_and_not1_b32 exec_lo, exec_lo, s14
	s_cbranch_execnz .LBB538_41
; %bb.42:
	s_or_b32 exec_lo, exec_lo, s14
.LBB538_43:
	s_wait_alu 0xfffe
	s_or_b32 exec_lo, exec_lo, s5
	v_cmp_ne_u32_e32 vcc_lo, 31, v32
	v_and_b32_e32 v12, 0xff, v15
	v_lshlrev_b32_e64 v37, v32, -1
	s_mov_b32 s5, exec_lo
	s_wait_alu 0xfffd
	v_add_co_ci_u32_e64 v11, null, 0, v32, vcc_lo
	v_cmp_eq_u16_e32 vcc_lo, 2, v12
	v_mov_b32_e32 v12, v13
	s_delay_alu instid0(VALU_DEP_3)
	v_lshlrev_b32_e32 v36, 2, v11
	s_wait_alu 0xfffd
	v_and_or_b32 v11, vcc_lo, v37, 0x80000000
	ds_bpermute_b32 v22, v36, v13
	ds_bpermute_b32 v16, v36, v14
	v_ctz_i32_b32_e32 v11, v11
	s_delay_alu instid0(VALU_DEP_1)
	v_cmpx_lt_u32_e64 v32, v11
	s_cbranch_execz .LBB538_45
; %bb.44:
	s_wait_dscnt 0x1
	v_add_co_u32 v12, vcc_lo, v13, v22
	s_wait_alu 0xfffd
	v_add_co_ci_u32_e64 v14, null, 0, v14, vcc_lo
	s_delay_alu instid0(VALU_DEP_2) | instskip(SKIP_2) | instid1(VALU_DEP_2)
	v_add_co_u32 v13, vcc_lo, 0, v12
	s_wait_dscnt 0x0
	s_wait_alu 0xfffd
	v_add_co_ci_u32_e64 v14, null, v16, v14, vcc_lo
.LBB538_45:
	s_wait_alu 0xfffe
	s_or_b32 exec_lo, exec_lo, s5
	v_cmp_gt_u32_e32 vcc_lo, 30, v32
	v_add_nc_u32_e32 v39, 2, v32
	s_mov_b32 s5, exec_lo
	s_wait_dscnt 0x0
	s_wait_alu 0xfffd
	v_cndmask_b32_e64 v16, 0, 2, vcc_lo
	s_delay_alu instid0(VALU_DEP_1)
	v_add_lshl_u32 v38, v16, v32, 2
	ds_bpermute_b32 v22, v38, v12
	ds_bpermute_b32 v16, v38, v14
	v_cmpx_le_u32_e64 v39, v11
	s_cbranch_execz .LBB538_47
; %bb.46:
	s_wait_dscnt 0x1
	v_add_co_u32 v12, vcc_lo, v13, v22
	s_wait_alu 0xfffd
	v_add_co_ci_u32_e64 v14, null, 0, v14, vcc_lo
	s_delay_alu instid0(VALU_DEP_2) | instskip(SKIP_2) | instid1(VALU_DEP_2)
	v_add_co_u32 v13, vcc_lo, 0, v12
	s_wait_dscnt 0x0
	s_wait_alu 0xfffd
	v_add_co_ci_u32_e64 v14, null, v16, v14, vcc_lo
.LBB538_47:
	s_wait_alu 0xfffe
	s_or_b32 exec_lo, exec_lo, s5
	v_cmp_gt_u32_e32 vcc_lo, 28, v32
	v_add_nc_u32_e32 v41, 4, v32
	s_mov_b32 s5, exec_lo
	s_wait_dscnt 0x0
	s_wait_alu 0xfffd
	v_cndmask_b32_e64 v16, 0, 4, vcc_lo
	s_delay_alu instid0(VALU_DEP_1)
	v_add_lshl_u32 v40, v16, v32, 2
	ds_bpermute_b32 v22, v40, v12
	ds_bpermute_b32 v16, v40, v14
	v_cmpx_le_u32_e64 v41, v11
	;; [unrolled: 25-line block ×3, first 2 shown]
	s_cbranch_execz .LBB538_51
; %bb.50:
	s_wait_dscnt 0x1
	v_add_co_u32 v12, vcc_lo, v13, v22
	s_wait_alu 0xfffd
	v_add_co_ci_u32_e64 v14, null, 0, v14, vcc_lo
	s_delay_alu instid0(VALU_DEP_2) | instskip(SKIP_2) | instid1(VALU_DEP_2)
	v_add_co_u32 v13, vcc_lo, 0, v12
	s_wait_dscnt 0x0
	s_wait_alu 0xfffd
	v_add_co_ci_u32_e64 v14, null, v16, v14, vcc_lo
.LBB538_51:
	s_wait_alu 0xfffe
	s_or_b32 exec_lo, exec_lo, s5
	v_lshl_or_b32 v44, v32, 2, 64
	v_add_nc_u32_e32 v45, 16, v32
	s_mov_b32 s5, exec_lo
	s_wait_dscnt 0x0
	ds_bpermute_b32 v16, v44, v12
	ds_bpermute_b32 v12, v44, v14
	v_cmpx_le_u32_e64 v45, v11
	s_cbranch_execz .LBB538_53
; %bb.52:
	s_wait_dscnt 0x1
	v_add_co_u32 v11, vcc_lo, v13, v16
	s_wait_alu 0xfffd
	v_add_co_ci_u32_e64 v14, null, 0, v14, vcc_lo
	s_delay_alu instid0(VALU_DEP_2) | instskip(SKIP_2) | instid1(VALU_DEP_2)
	v_add_co_u32 v13, vcc_lo, v11, 0
	s_wait_dscnt 0x0
	s_wait_alu 0xfffd
	v_add_co_ci_u32_e64 v14, null, v14, v12, vcc_lo
.LBB538_53:
	s_wait_alu 0xfffe
	s_or_b32 exec_lo, exec_lo, s5
	v_mov_b32_e32 v22, 0
	s_branch .LBB538_56
.LBB538_54:                             ;   in Loop: Header=BB538_56 Depth=1
	s_wait_alu 0xfffe
	s_or_b32 exec_lo, exec_lo, s5
	v_add_co_u32 v13, vcc_lo, v13, v11
	v_subrev_nc_u32_e32 v21, 32, v21
	s_wait_alu 0xfffd
	v_add_co_ci_u32_e64 v14, null, v14, v12, vcc_lo
	s_mov_b32 s5, 0
.LBB538_55:                             ;   in Loop: Header=BB538_56 Depth=1
	s_wait_alu 0xfffe
	s_and_b32 vcc_lo, exec_lo, s5
	s_wait_alu 0xfffe
	s_cbranch_vccnz .LBB538_72
.LBB538_56:                             ; =>This Loop Header: Depth=1
                                        ;     Child Loop BB538_59 Depth 2
	v_and_b32_e32 v11, 0xff, v15
	s_mov_b32 s5, -1
	s_delay_alu instid0(VALU_DEP_1)
	v_cmp_ne_u16_e32 vcc_lo, 2, v11
	s_wait_dscnt 0x0
	v_dual_mov_b32 v11, v13 :: v_dual_mov_b32 v12, v14
                                        ; implicit-def: $vgpr13_vgpr14
	s_cmp_lg_u32 vcc_lo, exec_lo
	s_cbranch_scc1 .LBB538_55
; %bb.57:                               ;   in Loop: Header=BB538_56 Depth=1
	v_lshlrev_b64_e32 v[13:14], 4, v[21:22]
	s_mov_b32 s5, exec_lo
	s_delay_alu instid0(VALU_DEP_1) | instskip(SKIP_1) | instid1(VALU_DEP_2)
	v_add_co_u32 v23, vcc_lo, s10, v13
	s_wait_alu 0xfffd
	v_add_co_ci_u32_e64 v24, null, s11, v14, vcc_lo
	;;#ASMSTART
	global_load_b128 v[13:16], v[23:24] off scope:SCOPE_DEV	
s_wait_loadcnt 0x0
	;;#ASMEND
	v_and_b32_e32 v16, 0xff, v15
	s_delay_alu instid0(VALU_DEP_1)
	v_cmpx_eq_u16_e32 0, v16
	s_cbranch_execz .LBB538_61
; %bb.58:                               ;   in Loop: Header=BB538_56 Depth=1
	s_mov_b32 s14, 0
.LBB538_59:                             ;   Parent Loop BB538_56 Depth=1
                                        ; =>  This Inner Loop Header: Depth=2
	;;#ASMSTART
	global_load_b128 v[13:16], v[23:24] off scope:SCOPE_DEV	
s_wait_loadcnt 0x0
	;;#ASMEND
	v_and_b32_e32 v16, 0xff, v15
	s_delay_alu instid0(VALU_DEP_1)
	v_cmp_ne_u16_e32 vcc_lo, 0, v16
	s_wait_alu 0xfffe
	s_or_b32 s14, vcc_lo, s14
	s_wait_alu 0xfffe
	s_and_not1_b32 exec_lo, exec_lo, s14
	s_cbranch_execnz .LBB538_59
; %bb.60:                               ;   in Loop: Header=BB538_56 Depth=1
	s_or_b32 exec_lo, exec_lo, s14
.LBB538_61:                             ;   in Loop: Header=BB538_56 Depth=1
	s_wait_alu 0xfffe
	s_or_b32 exec_lo, exec_lo, s5
	v_dual_mov_b32 v23, v13 :: v_dual_and_b32 v16, 0xff, v15
	ds_bpermute_b32 v46, v36, v13
	ds_bpermute_b32 v24, v36, v14
	s_mov_b32 s5, exec_lo
	v_cmp_eq_u16_e32 vcc_lo, 2, v16
	s_wait_alu 0xfffd
	v_and_or_b32 v16, vcc_lo, v37, 0x80000000
	s_delay_alu instid0(VALU_DEP_1) | instskip(NEXT) | instid1(VALU_DEP_1)
	v_ctz_i32_b32_e32 v16, v16
	v_cmpx_lt_u32_e64 v32, v16
	s_cbranch_execz .LBB538_63
; %bb.62:                               ;   in Loop: Header=BB538_56 Depth=1
	s_wait_dscnt 0x1
	v_add_co_u32 v23, vcc_lo, v13, v46
	s_wait_alu 0xfffd
	v_add_co_ci_u32_e64 v14, null, 0, v14, vcc_lo
	s_delay_alu instid0(VALU_DEP_2) | instskip(SKIP_2) | instid1(VALU_DEP_2)
	v_add_co_u32 v13, vcc_lo, 0, v23
	s_wait_dscnt 0x0
	s_wait_alu 0xfffd
	v_add_co_ci_u32_e64 v14, null, v24, v14, vcc_lo
.LBB538_63:                             ;   in Loop: Header=BB538_56 Depth=1
	s_wait_alu 0xfffe
	s_or_b32 exec_lo, exec_lo, s5
	s_wait_dscnt 0x1
	ds_bpermute_b32 v46, v38, v23
	s_wait_dscnt 0x1
	ds_bpermute_b32 v24, v38, v14
	s_mov_b32 s5, exec_lo
	v_cmpx_le_u32_e64 v39, v16
	s_cbranch_execz .LBB538_65
; %bb.64:                               ;   in Loop: Header=BB538_56 Depth=1
	s_wait_dscnt 0x1
	v_add_co_u32 v23, vcc_lo, v13, v46
	s_wait_alu 0xfffd
	v_add_co_ci_u32_e64 v14, null, 0, v14, vcc_lo
	s_delay_alu instid0(VALU_DEP_2) | instskip(SKIP_2) | instid1(VALU_DEP_2)
	v_add_co_u32 v13, vcc_lo, 0, v23
	s_wait_dscnt 0x0
	s_wait_alu 0xfffd
	v_add_co_ci_u32_e64 v14, null, v24, v14, vcc_lo
.LBB538_65:                             ;   in Loop: Header=BB538_56 Depth=1
	s_wait_alu 0xfffe
	s_or_b32 exec_lo, exec_lo, s5
	s_wait_dscnt 0x1
	ds_bpermute_b32 v46, v40, v23
	s_wait_dscnt 0x1
	ds_bpermute_b32 v24, v40, v14
	s_mov_b32 s5, exec_lo
	v_cmpx_le_u32_e64 v41, v16
	;; [unrolled: 20-line block ×3, first 2 shown]
	s_cbranch_execz .LBB538_69
; %bb.68:                               ;   in Loop: Header=BB538_56 Depth=1
	s_wait_dscnt 0x1
	v_add_co_u32 v23, vcc_lo, v13, v46
	s_wait_alu 0xfffd
	v_add_co_ci_u32_e64 v14, null, 0, v14, vcc_lo
	s_delay_alu instid0(VALU_DEP_2) | instskip(SKIP_2) | instid1(VALU_DEP_2)
	v_add_co_u32 v13, vcc_lo, 0, v23
	s_wait_dscnt 0x0
	s_wait_alu 0xfffd
	v_add_co_ci_u32_e64 v14, null, v24, v14, vcc_lo
.LBB538_69:                             ;   in Loop: Header=BB538_56 Depth=1
	s_wait_alu 0xfffe
	s_or_b32 exec_lo, exec_lo, s5
	s_wait_dscnt 0x0
	ds_bpermute_b32 v24, v44, v23
	ds_bpermute_b32 v23, v44, v14
	s_mov_b32 s5, exec_lo
	v_cmpx_le_u32_e64 v45, v16
	s_cbranch_execz .LBB538_54
; %bb.70:                               ;   in Loop: Header=BB538_56 Depth=1
	s_wait_dscnt 0x1
	v_add_co_u32 v13, vcc_lo, v13, v24
	s_wait_alu 0xfffd
	v_add_co_ci_u32_e64 v14, null, 0, v14, vcc_lo
	s_delay_alu instid0(VALU_DEP_2) | instskip(SKIP_2) | instid1(VALU_DEP_2)
	v_add_co_u32 v13, vcc_lo, v13, 0
	s_wait_dscnt 0x0
	s_wait_alu 0xfffd
	v_add_co_ci_u32_e64 v14, null, v14, v23, vcc_lo
	s_branch .LBB538_54
.LBB538_71:
                                        ; implicit-def: $vgpr13_vgpr14
                                        ; implicit-def: $vgpr15_vgpr16
                                        ; implicit-def: $vgpr19_vgpr20
                                        ; implicit-def: $vgpr21_vgpr22
                                        ; implicit-def: $vgpr11_vgpr12
	s_load_b64 s[4:5], s[0:1], 0x28
	s_and_b32 vcc_lo, exec_lo, s3
	s_wait_alu 0xfffe
	s_cbranch_vccnz .LBB538_77
	s_branch .LBB538_102
.LBB538_72:
	s_and_saveexec_b32 s5, s3
	s_cbranch_execz .LBB538_74
; %bb.73:
	s_add_co_i32 s14, ttmp9, 32
	s_mov_b32 s15, 0
	v_add_co_u32 v13, vcc_lo, v11, v9
	s_wait_alu 0xfffe
	s_lshl_b64 s[14:15], s[14:15], 4
	v_dual_mov_b32 v15, 2 :: v_dual_mov_b32 v16, 0
	s_wait_alu 0xfffe
	s_add_nc_u64 s[14:15], s[10:11], s[14:15]
	s_wait_alu 0xfffd
	v_add_co_ci_u32_e64 v14, null, v12, v10, vcc_lo
	s_wait_alu 0xfffe
	v_dual_mov_b32 v22, s15 :: v_dual_mov_b32 v21, s14
	;;#ASMSTART
	global_store_b128 v[21:22], v[13:16] off scope:SCOPE_DEV	
s_wait_storecnt 0x0
	;;#ASMEND
	ds_store_b128 v16, v[9:12] offset:8448
.LBB538_74:
	s_wait_alu 0xfffe
	s_or_b32 exec_lo, exec_lo, s5
	v_cmp_eq_u32_e32 vcc_lo, 0, v0
	s_and_b32 exec_lo, exec_lo, vcc_lo
; %bb.75:
	v_mov_b32_e32 v9, 0
	ds_store_b64 v9, v[11:12] offset:56
.LBB538_76:
	s_wait_alu 0xfffe
	s_or_b32 exec_lo, exec_lo, s4
	s_wait_dscnt 0x1
	v_cndmask_b32_e64 v10, v34, v19, s3
	v_cmp_ne_u32_e32 vcc_lo, 0, v0
	v_mov_b32_e32 v9, 0
	s_wait_loadcnt_dscnt 0x0
	s_barrier_signal -1
	s_barrier_wait -1
	global_inv scope:SCOPE_SE
	s_wait_alu 0xfffd
	v_cndmask_b32_e32 v16, 0, v10, vcc_lo
	ds_load_b64 v[13:14], v9 offset:56
	v_cndmask_b32_e64 v11, v35, v20, s3
	s_wait_loadcnt_dscnt 0x0
	s_barrier_signal -1
	s_barrier_wait -1
	global_inv scope:SCOPE_SE
	v_cndmask_b32_e32 v15, 0, v11, vcc_lo
	ds_load_b128 v[9:12], v9 offset:8448
	v_add_co_u32 v21, vcc_lo, v13, v16
	s_wait_alu 0xfffd
	v_add_co_ci_u32_e64 v22, null, v14, v15, vcc_lo
	s_delay_alu instid0(VALU_DEP_2) | instskip(SKIP_1) | instid1(VALU_DEP_2)
	v_add_co_u32 v19, vcc_lo, v21, v31
	s_wait_alu 0xfffd
	v_add_co_ci_u32_e64 v20, null, 0, v22, vcc_lo
	s_delay_alu instid0(VALU_DEP_2) | instskip(SKIP_1) | instid1(VALU_DEP_2)
	;; [unrolled: 4-line block ×3, first 2 shown]
	v_add_co_u32 v13, vcc_lo, v15, v29
	s_wait_alu 0xfffd
	v_add_co_ci_u32_e64 v14, null, 0, v16, vcc_lo
	s_load_b64 s[4:5], s[0:1], 0x28
	s_branch .LBB538_102
.LBB538_77:
	s_wait_dscnt 0x0
	v_dual_mov_b32 v10, 0 :: v_dual_mov_b32 v11, v17
	v_mov_b32_dpp v12, v17 row_shr:1 row_mask:0xf bank_mask:0xf
	s_delay_alu instid0(VALU_DEP_2)
	v_mov_b32_dpp v9, v10 row_shr:1 row_mask:0xf bank_mask:0xf
	s_and_saveexec_b32 s0, s2
; %bb.78:
	s_delay_alu instid0(VALU_DEP_2) | instskip(SKIP_2) | instid1(VALU_DEP_2)
	v_add_co_u32 v11, vcc_lo, v17, v12
	s_wait_alu 0xfffd
	v_add_co_ci_u32_e64 v10, null, 0, v18, vcc_lo
	v_add_co_u32 v17, vcc_lo, 0, v11
	s_wait_alu 0xfffd
	s_delay_alu instid0(VALU_DEP_2) | instskip(NEXT) | instid1(VALU_DEP_1)
	v_add_co_ci_u32_e64 v18, null, v9, v10, vcc_lo
	v_mov_b32_e32 v10, v18
; %bb.79:
	s_or_b32 exec_lo, exec_lo, s0
	v_mov_b32_dpp v9, v11 row_shr:2 row_mask:0xf bank_mask:0xf
	s_delay_alu instid0(VALU_DEP_2)
	v_mov_b32_dpp v12, v10 row_shr:2 row_mask:0xf bank_mask:0xf
	s_mov_b32 s0, exec_lo
	v_cmpx_lt_u32_e32 1, v33
; %bb.80:
	s_delay_alu instid0(VALU_DEP_3) | instskip(SKIP_2) | instid1(VALU_DEP_2)
	v_add_co_u32 v11, vcc_lo, v17, v9
	s_wait_alu 0xfffd
	v_add_co_ci_u32_e64 v10, null, 0, v18, vcc_lo
	v_add_co_u32 v9, vcc_lo, 0, v11
	s_wait_alu 0xfffd
	s_delay_alu instid0(VALU_DEP_2) | instskip(NEXT) | instid1(VALU_DEP_1)
	v_add_co_ci_u32_e64 v10, null, v12, v10, vcc_lo
	v_dual_mov_b32 v18, v10 :: v_dual_mov_b32 v17, v9
; %bb.81:
	s_or_b32 exec_lo, exec_lo, s0
	v_mov_b32_dpp v9, v11 row_shr:4 row_mask:0xf bank_mask:0xf
	v_mov_b32_dpp v12, v10 row_shr:4 row_mask:0xf bank_mask:0xf
	s_mov_b32 s0, exec_lo
	v_cmpx_lt_u32_e32 3, v33
; %bb.82:
	s_delay_alu instid0(VALU_DEP_3) | instskip(SKIP_2) | instid1(VALU_DEP_2)
	v_add_co_u32 v11, vcc_lo, v17, v9
	s_wait_alu 0xfffd
	v_add_co_ci_u32_e64 v10, null, 0, v18, vcc_lo
	v_add_co_u32 v9, vcc_lo, 0, v11
	s_wait_alu 0xfffd
	s_delay_alu instid0(VALU_DEP_2) | instskip(NEXT) | instid1(VALU_DEP_1)
	v_add_co_ci_u32_e64 v10, null, v12, v10, vcc_lo
	v_dual_mov_b32 v18, v10 :: v_dual_mov_b32 v17, v9
; %bb.83:
	s_or_b32 exec_lo, exec_lo, s0
	v_mov_b32_dpp v12, v11 row_shr:8 row_mask:0xf bank_mask:0xf
	v_mov_b32_dpp v9, v10 row_shr:8 row_mask:0xf bank_mask:0xf
	s_mov_b32 s0, exec_lo
	v_cmpx_lt_u32_e32 7, v33
; %bb.84:
	s_delay_alu instid0(VALU_DEP_3) | instskip(SKIP_2) | instid1(VALU_DEP_2)
	v_add_co_u32 v11, vcc_lo, v17, v12
	s_wait_alu 0xfffd
	v_add_co_ci_u32_e64 v10, null, 0, v18, vcc_lo
	v_add_co_u32 v17, vcc_lo, 0, v11
	s_wait_alu 0xfffd
	s_delay_alu instid0(VALU_DEP_2) | instskip(NEXT) | instid1(VALU_DEP_1)
	v_add_co_ci_u32_e64 v18, null, v9, v10, vcc_lo
	v_mov_b32_e32 v10, v18
; %bb.85:
	s_or_b32 exec_lo, exec_lo, s0
	ds_swizzle_b32 v11, v11 offset:swizzle(BROADCAST,32,15)
	ds_swizzle_b32 v9, v10 offset:swizzle(BROADCAST,32,15)
	v_and_b32_e32 v10, 16, v32
	s_mov_b32 s0, exec_lo
	s_delay_alu instid0(VALU_DEP_1)
	v_cmpx_ne_u32_e32 0, v10
	s_cbranch_execz .LBB538_87
; %bb.86:
	s_wait_dscnt 0x1
	v_add_co_u32 v10, vcc_lo, v17, v11
	s_wait_alu 0xfffd
	v_add_co_ci_u32_e64 v11, null, 0, v18, vcc_lo
	s_delay_alu instid0(VALU_DEP_2) | instskip(SKIP_2) | instid1(VALU_DEP_2)
	v_add_co_u32 v17, vcc_lo, v10, 0
	s_wait_dscnt 0x0
	s_wait_alu 0xfffd
	v_add_co_ci_u32_e64 v18, null, v11, v9, vcc_lo
.LBB538_87:
	s_or_b32 exec_lo, exec_lo, s0
	s_wait_dscnt 0x0
	v_or_b32_e32 v9, 31, v0
	v_lshrrev_b32_e32 v11, 5, v0
	s_mov_b32 s0, exec_lo
	s_delay_alu instid0(VALU_DEP_2)
	v_cmpx_eq_u32_e64 v0, v9
; %bb.88:
	s_delay_alu instid0(VALU_DEP_2)
	v_lshlrev_b32_e32 v9, 3, v11
	ds_store_b64 v9, v[17:18]
; %bb.89:
	s_or_b32 exec_lo, exec_lo, s0
	s_delay_alu instid0(SALU_CYCLE_1)
	s_mov_b32 s0, exec_lo
	s_wait_loadcnt_dscnt 0x0
	s_barrier_signal -1
	s_barrier_wait -1
	global_inv scope:SCOPE_SE
	v_cmpx_gt_u32_e32 8, v0
	s_cbranch_execz .LBB538_97
; %bb.90:
	v_lshlrev_b32_e32 v12, 3, v0
	s_mov_b32 s1, exec_lo
	ds_load_b64 v[9:10], v12
	s_wait_dscnt 0x0
	v_dual_mov_b32 v14, v9 :: v_dual_and_b32 v13, 7, v32
	v_mov_b32_dpp v16, v9 row_shr:1 row_mask:0xf bank_mask:0xf
	v_mov_b32_dpp v15, v10 row_shr:1 row_mask:0xf bank_mask:0xf
	s_delay_alu instid0(VALU_DEP_3)
	v_cmpx_ne_u32_e32 0, v13
; %bb.91:
	s_delay_alu instid0(VALU_DEP_3) | instskip(SKIP_2) | instid1(VALU_DEP_2)
	v_add_co_u32 v14, vcc_lo, v9, v16
	s_wait_alu 0xfffd
	v_add_co_ci_u32_e64 v10, null, 0, v10, vcc_lo
	v_add_co_u32 v9, vcc_lo, 0, v14
	s_wait_alu 0xfffd
	s_delay_alu instid0(VALU_DEP_2)
	v_add_co_ci_u32_e64 v10, null, v15, v10, vcc_lo
; %bb.92:
	s_or_b32 exec_lo, exec_lo, s1
	v_mov_b32_dpp v16, v14 row_shr:2 row_mask:0xf bank_mask:0xf
	s_delay_alu instid0(VALU_DEP_2)
	v_mov_b32_dpp v15, v10 row_shr:2 row_mask:0xf bank_mask:0xf
	s_mov_b32 s1, exec_lo
	v_cmpx_lt_u32_e32 1, v13
; %bb.93:
	s_delay_alu instid0(VALU_DEP_3) | instskip(SKIP_2) | instid1(VALU_DEP_2)
	v_add_co_u32 v14, vcc_lo, v9, v16
	s_wait_alu 0xfffd
	v_add_co_ci_u32_e64 v10, null, 0, v10, vcc_lo
	v_add_co_u32 v9, vcc_lo, 0, v14
	s_wait_alu 0xfffd
	s_delay_alu instid0(VALU_DEP_2)
	v_add_co_ci_u32_e64 v10, null, v15, v10, vcc_lo
; %bb.94:
	s_or_b32 exec_lo, exec_lo, s1
	v_mov_b32_dpp v15, v14 row_shr:4 row_mask:0xf bank_mask:0xf
	s_delay_alu instid0(VALU_DEP_2)
	v_mov_b32_dpp v14, v10 row_shr:4 row_mask:0xf bank_mask:0xf
	s_mov_b32 s1, exec_lo
	v_cmpx_lt_u32_e32 3, v13
; %bb.95:
	s_delay_alu instid0(VALU_DEP_3) | instskip(SKIP_2) | instid1(VALU_DEP_2)
	v_add_co_u32 v9, vcc_lo, v9, v15
	s_wait_alu 0xfffd
	v_add_co_ci_u32_e64 v10, null, 0, v10, vcc_lo
	v_add_co_u32 v9, vcc_lo, v9, 0
	s_wait_alu 0xfffd
	s_delay_alu instid0(VALU_DEP_2)
	v_add_co_ci_u32_e64 v10, null, v10, v14, vcc_lo
; %bb.96:
	s_or_b32 exec_lo, exec_lo, s1
	ds_store_b64 v12, v[9:10]
.LBB538_97:
	s_or_b32 exec_lo, exec_lo, s0
	v_mov_b32_e32 v13, 0
	v_mov_b32_e32 v14, 0
	s_mov_b32 s0, exec_lo
	s_wait_loadcnt_dscnt 0x0
	s_barrier_signal -1
	s_barrier_wait -1
	global_inv scope:SCOPE_SE
	v_cmpx_lt_u32_e32 31, v0
; %bb.98:
	v_lshl_add_u32 v9, v11, 3, -8
	ds_load_b64 v[13:14], v9
; %bb.99:
	s_or_b32 exec_lo, exec_lo, s0
	v_sub_co_u32 v9, vcc_lo, v32, 1
	v_mov_b32_e32 v12, 0
	s_delay_alu instid0(VALU_DEP_2) | instskip(NEXT) | instid1(VALU_DEP_1)
	v_cmp_gt_i32_e64 s0, 0, v9
	v_cndmask_b32_e64 v9, v9, v32, s0
	s_wait_dscnt 0x0
	v_add_co_u32 v10, s0, v13, v17
	s_wait_alu 0xf1ff
	v_add_co_ci_u32_e64 v11, null, v14, v18, s0
	v_lshlrev_b32_e32 v9, 2, v9
	v_cmp_eq_u32_e64 s0, 0, v0
	ds_bpermute_b32 v15, v9, v10
	ds_bpermute_b32 v16, v9, v11
	ds_load_b64 v[9:10], v12 offset:56
	s_and_saveexec_b32 s1, s0
	s_cbranch_execz .LBB538_101
; %bb.100:
	s_wait_kmcnt 0x0
	s_add_nc_u64 s[2:3], s[10:11], 0x200
	s_wait_alu 0xfffe
	v_dual_mov_b32 v11, 2 :: v_dual_mov_b32 v18, s3
	v_mov_b32_e32 v17, s2
	s_wait_dscnt 0x0
	;;#ASMSTART
	global_store_b128 v[17:18], v[9:12] off scope:SCOPE_DEV	
s_wait_storecnt 0x0
	;;#ASMEND
.LBB538_101:
	s_wait_alu 0xfffe
	s_or_b32 exec_lo, exec_lo, s1
	s_wait_dscnt 0x1
	s_wait_alu 0xfffd
	v_dual_cndmask_b32 v11, v15, v13 :: v_dual_cndmask_b32 v12, v16, v14
	s_wait_loadcnt_dscnt 0x0
	s_barrier_signal -1
	s_barrier_wait -1
	s_delay_alu instid0(VALU_DEP_1)
	v_cndmask_b32_e64 v21, v11, 0, s0
	v_cndmask_b32_e64 v22, v12, 0, s0
	v_mov_b32_e32 v11, 0
	v_mov_b32_e32 v12, 0
	global_inv scope:SCOPE_SE
	v_add_co_u32 v19, vcc_lo, v21, v31
	s_wait_alu 0xfffd
	v_add_co_ci_u32_e64 v20, null, 0, v22, vcc_lo
	s_delay_alu instid0(VALU_DEP_2) | instskip(SKIP_1) | instid1(VALU_DEP_2)
	v_add_co_u32 v15, vcc_lo, v19, v30
	s_wait_alu 0xfffd
	v_add_co_ci_u32_e64 v16, null, 0, v20, vcc_lo
	s_delay_alu instid0(VALU_DEP_2) | instskip(SKIP_1) | instid1(VALU_DEP_2)
	v_add_co_u32 v13, vcc_lo, v15, v29
	s_wait_alu 0xfffd
	v_add_co_ci_u32_e64 v14, null, 0, v16, vcc_lo
.LBB538_102:
	v_and_b32_e32 v23, 1, v28
	s_wait_dscnt 0x0
	v_cmp_gt_u64_e32 vcc_lo, 0x101, v[9:10]
	s_mov_b32 s1, -1
	s_delay_alu instid0(VALU_DEP_2)
	v_cmp_eq_u32_e64 s0, 1, v23
	s_cbranch_vccnz .LBB538_106
; %bb.103:
	s_wait_alu 0xfffe
	s_and_b32 vcc_lo, exec_lo, s1
	s_wait_alu 0xfffe
	s_cbranch_vccnz .LBB538_115
.LBB538_104:
	v_cmp_eq_u32_e32 vcc_lo, 0, v0
	s_and_b32 s0, vcc_lo, s12
	s_wait_alu 0xfffe
	s_and_saveexec_b32 s1, s0
	s_cbranch_execnz .LBB538_127
.LBB538_105:
	s_endpgm
.LBB538_106:
	v_add_co_u32 v17, vcc_lo, v11, v9
	s_wait_alu 0xfffd
	v_add_co_ci_u32_e64 v18, null, v12, v10, vcc_lo
	s_wait_kmcnt 0x0
	s_lshl_b64 s[2:3], s[6:7], 3
	s_wait_alu 0xfffe
	s_add_nc_u64 s[2:3], s[4:5], s[2:3]
	v_cmp_lt_u64_e32 vcc_lo, v[21:22], v[17:18]
	s_or_b32 s1, s13, vcc_lo
	s_wait_alu 0xfffe
	s_and_b32 s1, s1, s0
	s_wait_alu 0xfffe
	s_and_saveexec_b32 s0, s1
	s_cbranch_execz .LBB538_108
; %bb.107:
	v_lshlrev_b64_e32 v[28:29], 3, v[21:22]
	s_delay_alu instid0(VALU_DEP_1) | instskip(SKIP_1) | instid1(VALU_DEP_2)
	v_add_co_u32 v28, vcc_lo, s2, v28
	s_wait_alu 0xfffd
	v_add_co_ci_u32_e64 v29, null, s3, v29, vcc_lo
	global_store_b64 v[28:29], v[5:6], off
.LBB538_108:
	s_wait_alu 0xfffe
	s_or_b32 exec_lo, exec_lo, s0
	v_and_b32_e32 v22, 1, v27
	v_cmp_lt_u64_e32 vcc_lo, v[19:20], v[17:18]
	s_delay_alu instid0(VALU_DEP_2)
	v_cmp_eq_u32_e64 s0, 1, v22
	s_or_b32 s1, s13, vcc_lo
	s_wait_alu 0xfffe
	s_and_b32 s1, s1, s0
	s_wait_alu 0xfffe
	s_and_saveexec_b32 s0, s1
	s_cbranch_execz .LBB538_110
; %bb.109:
	v_lshlrev_b64_e32 v[28:29], 3, v[19:20]
	s_delay_alu instid0(VALU_DEP_1) | instskip(SKIP_1) | instid1(VALU_DEP_2)
	v_add_co_u32 v28, vcc_lo, s2, v28
	s_wait_alu 0xfffd
	v_add_co_ci_u32_e64 v29, null, s3, v29, vcc_lo
	global_store_b64 v[28:29], v[7:8], off
.LBB538_110:
	s_wait_alu 0xfffe
	s_or_b32 exec_lo, exec_lo, s0
	v_and_b32_e32 v20, 1, v26
	v_cmp_lt_u64_e32 vcc_lo, v[15:16], v[17:18]
	s_delay_alu instid0(VALU_DEP_2)
	v_cmp_eq_u32_e64 s0, 1, v20
	;; [unrolled: 20-line block ×3, first 2 shown]
	s_or_b32 s1, s13, vcc_lo
	s_wait_alu 0xfffe
	s_and_b32 s1, s1, s0
	s_wait_alu 0xfffe
	s_and_saveexec_b32 s0, s1
	s_cbranch_execz .LBB538_114
; %bb.113:
	v_lshlrev_b64_e32 v[16:17], 3, v[13:14]
	s_delay_alu instid0(VALU_DEP_1) | instskip(SKIP_1) | instid1(VALU_DEP_2)
	v_add_co_u32 v16, vcc_lo, s2, v16
	s_wait_alu 0xfffd
	v_add_co_ci_u32_e64 v17, null, s3, v17, vcc_lo
	global_store_b64 v[16:17], v[3:4], off
.LBB538_114:
	s_wait_alu 0xfffe
	s_or_b32 exec_lo, exec_lo, s0
	s_branch .LBB538_104
.LBB538_115:
	s_mov_b32 s0, exec_lo
	v_cmpx_eq_u32_e32 1, v23
; %bb.116:
	v_sub_nc_u32_e32 v14, v21, v11
	s_delay_alu instid0(VALU_DEP_1)
	v_lshlrev_b32_e32 v14, 3, v14
	ds_store_b64 v14, v[5:6]
; %bb.117:
	s_wait_alu 0xfffe
	s_or_b32 exec_lo, exec_lo, s0
	v_and_b32_e32 v5, 1, v27
	s_mov_b32 s0, exec_lo
	s_delay_alu instid0(VALU_DEP_1)
	v_cmpx_eq_u32_e32 1, v5
; %bb.118:
	v_sub_nc_u32_e32 v5, v19, v11
	s_delay_alu instid0(VALU_DEP_1)
	v_lshlrev_b32_e32 v5, 3, v5
	ds_store_b64 v5, v[7:8]
; %bb.119:
	s_wait_alu 0xfffe
	s_or_b32 exec_lo, exec_lo, s0
	v_and_b32_e32 v5, 1, v26
	s_mov_b32 s0, exec_lo
	s_delay_alu instid0(VALU_DEP_1)
	;; [unrolled: 12-line block ×3, first 2 shown]
	v_cmpx_eq_u32_e32 1, v1
; %bb.122:
	v_sub_nc_u32_e32 v1, v13, v11
	s_delay_alu instid0(VALU_DEP_1)
	v_lshlrev_b32_e32 v1, 3, v1
	ds_store_b64 v1, v[3:4]
; %bb.123:
	s_wait_alu 0xfffe
	s_or_b32 exec_lo, exec_lo, s0
	v_mov_b32_e32 v3, 0
	s_mov_b32 s1, exec_lo
	s_wait_storecnt 0x0
	s_wait_loadcnt_dscnt 0x0
	s_barrier_signal -1
	s_barrier_wait -1
	v_mov_b32_e32 v1, v3
	global_inv scope:SCOPE_SE
	v_cmpx_gt_u64_e64 v[9:10], v[0:1]
	s_cbranch_execz .LBB538_126
; %bb.124:
	v_lshlrev_b64_e32 v[4:5], 3, v[11:12]
	s_wait_kmcnt 0x0
	s_lshl_b64 s[2:3], s[6:7], 3
	v_or_b32_e32 v2, 0x100, v0
	s_delay_alu instid0(VALU_DEP_2) | instskip(SKIP_3) | instid1(VALU_DEP_2)
	v_add_co_u32 v4, vcc_lo, s4, v4
	s_wait_alu 0xfffd
	v_add_co_ci_u32_e64 v5, null, s5, v5, vcc_lo
	s_wait_alu 0xfffe
	v_add_co_u32 v6, vcc_lo, v4, s2
	s_wait_alu 0xfffd
	s_delay_alu instid0(VALU_DEP_2)
	v_add_co_ci_u32_e64 v7, null, s3, v5, vcc_lo
	v_dual_mov_b32 v5, v1 :: v_dual_mov_b32 v4, v0
	s_mov_b32 s2, 0
.LBB538_125:                            ; =>This Inner Loop Header: Depth=1
	s_delay_alu instid0(VALU_DEP_1) | instskip(NEXT) | instid1(VALU_DEP_2)
	v_lshlrev_b32_e32 v1, 3, v4
	v_lshlrev_b64_e32 v[15:16], 3, v[4:5]
	v_dual_mov_b32 v5, v3 :: v_dual_mov_b32 v4, v2
	v_cmp_le_u64_e32 vcc_lo, v[9:10], v[2:3]
	ds_load_b64 v[13:14], v1
	v_add_nc_u32_e32 v2, 0x100, v2
	v_add_co_u32 v15, s0, v6, v15
	s_wait_alu 0xf1ff
	v_add_co_ci_u32_e64 v16, null, v7, v16, s0
	s_wait_alu 0xfffe
	s_or_b32 s2, vcc_lo, s2
	s_wait_dscnt 0x0
	global_store_b64 v[15:16], v[13:14], off
	s_wait_alu 0xfffe
	s_and_not1_b32 exec_lo, exec_lo, s2
	s_cbranch_execnz .LBB538_125
.LBB538_126:
	s_wait_alu 0xfffe
	s_or_b32 exec_lo, exec_lo, s1
	v_cmp_eq_u32_e32 vcc_lo, 0, v0
	s_and_b32 s0, vcc_lo, s12
	s_wait_alu 0xfffe
	s_and_saveexec_b32 s1, s0
	s_cbranch_execz .LBB538_105
.LBB538_127:
	v_add_co_u32 v0, vcc_lo, v11, v9
	s_wait_alu 0xfffd
	v_add_co_ci_u32_e64 v1, null, v12, v10, vcc_lo
	v_mov_b32_e32 v2, 0
	s_wait_kmcnt 0x0
	v_add_co_u32 v0, vcc_lo, v0, s6
	s_wait_alu 0xfffd
	v_add_co_ci_u32_e64 v1, null, s7, v1, vcc_lo
	global_store_b64 v2, v[0:1], s[8:9]
	s_endpgm
.LBB538_128:
	v_lshlrev_b32_e32 v3, 3, v0
	s_delay_alu instid0(VALU_DEP_1)
	v_add_co_u32 v3, s10, s2, v3
	s_wait_alu 0xf1ff
	v_add_co_ci_u32_e64 v4, null, s3, 0, s10
	flat_load_b64 v[3:4], v[3:4] offset:2048
	s_wait_alu 0xfffe
	s_or_b32 exec_lo, exec_lo, s5
	s_delay_alu instid0(SALU_CYCLE_1)
	s_mov_b32 s5, exec_lo
	v_cmpx_gt_u32_e64 s4, v11
	s_cbranch_execz .LBB538_7
.LBB538_129:
	v_lshlrev_b32_e32 v5, 3, v0
	s_delay_alu instid0(VALU_DEP_1)
	v_add_co_u32 v5, s10, s2, v5
	s_wait_alu 0xf1ff
	v_add_co_ci_u32_e64 v6, null, s3, 0, s10
	flat_load_b64 v[5:6], v[5:6] offset:4096
	s_wait_alu 0xfffe
	s_or_b32 exec_lo, exec_lo, s5
	s_delay_alu instid0(SALU_CYCLE_1)
	s_mov_b32 s5, exec_lo
	v_cmpx_gt_u32_e64 s4, v10
	s_cbranch_execnz .LBB538_8
	s_branch .LBB538_9
	.section	.rodata,"a",@progbits
	.p2align	6, 0x0
	.amdhsa_kernel _ZN7rocprim17ROCPRIM_400000_NS6detail17trampoline_kernelINS0_14default_configENS1_25partition_config_selectorILNS1_17partition_subalgoE6EdNS0_10empty_typeEbEEZZNS1_14partition_implILS5_6ELb0ES3_mN6thrust23THRUST_200600_302600_NS6detail15normal_iteratorINSA_10device_ptrIdEEEEPS6_SG_NS0_5tupleIJSF_S6_EEENSH_IJSG_SG_EEES6_PlJNSB_9not_fun_tI7is_evenIdEEEEEE10hipError_tPvRmT3_T4_T5_T6_T7_T9_mT8_P12ihipStream_tbDpT10_ENKUlT_T0_E_clISt17integral_constantIbLb0EES18_EEDaS13_S14_EUlS13_E_NS1_11comp_targetILNS1_3genE10ELNS1_11target_archE1200ELNS1_3gpuE4ELNS1_3repE0EEENS1_30default_config_static_selectorELNS0_4arch9wavefront6targetE0EEEvT1_
		.amdhsa_group_segment_fixed_size 8464
		.amdhsa_private_segment_fixed_size 0
		.amdhsa_kernarg_size 112
		.amdhsa_user_sgpr_count 2
		.amdhsa_user_sgpr_dispatch_ptr 0
		.amdhsa_user_sgpr_queue_ptr 0
		.amdhsa_user_sgpr_kernarg_segment_ptr 1
		.amdhsa_user_sgpr_dispatch_id 0
		.amdhsa_user_sgpr_private_segment_size 0
		.amdhsa_wavefront_size32 1
		.amdhsa_uses_dynamic_stack 0
		.amdhsa_enable_private_segment 0
		.amdhsa_system_sgpr_workgroup_id_x 1
		.amdhsa_system_sgpr_workgroup_id_y 0
		.amdhsa_system_sgpr_workgroup_id_z 0
		.amdhsa_system_sgpr_workgroup_info 0
		.amdhsa_system_vgpr_workitem_id 0
		.amdhsa_next_free_vgpr 47
		.amdhsa_next_free_sgpr 22
		.amdhsa_reserve_vcc 1
		.amdhsa_float_round_mode_32 0
		.amdhsa_float_round_mode_16_64 0
		.amdhsa_float_denorm_mode_32 3
		.amdhsa_float_denorm_mode_16_64 3
		.amdhsa_fp16_overflow 0
		.amdhsa_workgroup_processor_mode 1
		.amdhsa_memory_ordered 1
		.amdhsa_forward_progress 1
		.amdhsa_inst_pref_size 50
		.amdhsa_round_robin_scheduling 0
		.amdhsa_exception_fp_ieee_invalid_op 0
		.amdhsa_exception_fp_denorm_src 0
		.amdhsa_exception_fp_ieee_div_zero 0
		.amdhsa_exception_fp_ieee_overflow 0
		.amdhsa_exception_fp_ieee_underflow 0
		.amdhsa_exception_fp_ieee_inexact 0
		.amdhsa_exception_int_div_zero 0
	.end_amdhsa_kernel
	.section	.text._ZN7rocprim17ROCPRIM_400000_NS6detail17trampoline_kernelINS0_14default_configENS1_25partition_config_selectorILNS1_17partition_subalgoE6EdNS0_10empty_typeEbEEZZNS1_14partition_implILS5_6ELb0ES3_mN6thrust23THRUST_200600_302600_NS6detail15normal_iteratorINSA_10device_ptrIdEEEEPS6_SG_NS0_5tupleIJSF_S6_EEENSH_IJSG_SG_EEES6_PlJNSB_9not_fun_tI7is_evenIdEEEEEE10hipError_tPvRmT3_T4_T5_T6_T7_T9_mT8_P12ihipStream_tbDpT10_ENKUlT_T0_E_clISt17integral_constantIbLb0EES18_EEDaS13_S14_EUlS13_E_NS1_11comp_targetILNS1_3genE10ELNS1_11target_archE1200ELNS1_3gpuE4ELNS1_3repE0EEENS1_30default_config_static_selectorELNS0_4arch9wavefront6targetE0EEEvT1_,"axG",@progbits,_ZN7rocprim17ROCPRIM_400000_NS6detail17trampoline_kernelINS0_14default_configENS1_25partition_config_selectorILNS1_17partition_subalgoE6EdNS0_10empty_typeEbEEZZNS1_14partition_implILS5_6ELb0ES3_mN6thrust23THRUST_200600_302600_NS6detail15normal_iteratorINSA_10device_ptrIdEEEEPS6_SG_NS0_5tupleIJSF_S6_EEENSH_IJSG_SG_EEES6_PlJNSB_9not_fun_tI7is_evenIdEEEEEE10hipError_tPvRmT3_T4_T5_T6_T7_T9_mT8_P12ihipStream_tbDpT10_ENKUlT_T0_E_clISt17integral_constantIbLb0EES18_EEDaS13_S14_EUlS13_E_NS1_11comp_targetILNS1_3genE10ELNS1_11target_archE1200ELNS1_3gpuE4ELNS1_3repE0EEENS1_30default_config_static_selectorELNS0_4arch9wavefront6targetE0EEEvT1_,comdat
.Lfunc_end538:
	.size	_ZN7rocprim17ROCPRIM_400000_NS6detail17trampoline_kernelINS0_14default_configENS1_25partition_config_selectorILNS1_17partition_subalgoE6EdNS0_10empty_typeEbEEZZNS1_14partition_implILS5_6ELb0ES3_mN6thrust23THRUST_200600_302600_NS6detail15normal_iteratorINSA_10device_ptrIdEEEEPS6_SG_NS0_5tupleIJSF_S6_EEENSH_IJSG_SG_EEES6_PlJNSB_9not_fun_tI7is_evenIdEEEEEE10hipError_tPvRmT3_T4_T5_T6_T7_T9_mT8_P12ihipStream_tbDpT10_ENKUlT_T0_E_clISt17integral_constantIbLb0EES18_EEDaS13_S14_EUlS13_E_NS1_11comp_targetILNS1_3genE10ELNS1_11target_archE1200ELNS1_3gpuE4ELNS1_3repE0EEENS1_30default_config_static_selectorELNS0_4arch9wavefront6targetE0EEEvT1_, .Lfunc_end538-_ZN7rocprim17ROCPRIM_400000_NS6detail17trampoline_kernelINS0_14default_configENS1_25partition_config_selectorILNS1_17partition_subalgoE6EdNS0_10empty_typeEbEEZZNS1_14partition_implILS5_6ELb0ES3_mN6thrust23THRUST_200600_302600_NS6detail15normal_iteratorINSA_10device_ptrIdEEEEPS6_SG_NS0_5tupleIJSF_S6_EEENSH_IJSG_SG_EEES6_PlJNSB_9not_fun_tI7is_evenIdEEEEEE10hipError_tPvRmT3_T4_T5_T6_T7_T9_mT8_P12ihipStream_tbDpT10_ENKUlT_T0_E_clISt17integral_constantIbLb0EES18_EEDaS13_S14_EUlS13_E_NS1_11comp_targetILNS1_3genE10ELNS1_11target_archE1200ELNS1_3gpuE4ELNS1_3repE0EEENS1_30default_config_static_selectorELNS0_4arch9wavefront6targetE0EEEvT1_
                                        ; -- End function
	.set _ZN7rocprim17ROCPRIM_400000_NS6detail17trampoline_kernelINS0_14default_configENS1_25partition_config_selectorILNS1_17partition_subalgoE6EdNS0_10empty_typeEbEEZZNS1_14partition_implILS5_6ELb0ES3_mN6thrust23THRUST_200600_302600_NS6detail15normal_iteratorINSA_10device_ptrIdEEEEPS6_SG_NS0_5tupleIJSF_S6_EEENSH_IJSG_SG_EEES6_PlJNSB_9not_fun_tI7is_evenIdEEEEEE10hipError_tPvRmT3_T4_T5_T6_T7_T9_mT8_P12ihipStream_tbDpT10_ENKUlT_T0_E_clISt17integral_constantIbLb0EES18_EEDaS13_S14_EUlS13_E_NS1_11comp_targetILNS1_3genE10ELNS1_11target_archE1200ELNS1_3gpuE4ELNS1_3repE0EEENS1_30default_config_static_selectorELNS0_4arch9wavefront6targetE0EEEvT1_.num_vgpr, 47
	.set _ZN7rocprim17ROCPRIM_400000_NS6detail17trampoline_kernelINS0_14default_configENS1_25partition_config_selectorILNS1_17partition_subalgoE6EdNS0_10empty_typeEbEEZZNS1_14partition_implILS5_6ELb0ES3_mN6thrust23THRUST_200600_302600_NS6detail15normal_iteratorINSA_10device_ptrIdEEEEPS6_SG_NS0_5tupleIJSF_S6_EEENSH_IJSG_SG_EEES6_PlJNSB_9not_fun_tI7is_evenIdEEEEEE10hipError_tPvRmT3_T4_T5_T6_T7_T9_mT8_P12ihipStream_tbDpT10_ENKUlT_T0_E_clISt17integral_constantIbLb0EES18_EEDaS13_S14_EUlS13_E_NS1_11comp_targetILNS1_3genE10ELNS1_11target_archE1200ELNS1_3gpuE4ELNS1_3repE0EEENS1_30default_config_static_selectorELNS0_4arch9wavefront6targetE0EEEvT1_.num_agpr, 0
	.set _ZN7rocprim17ROCPRIM_400000_NS6detail17trampoline_kernelINS0_14default_configENS1_25partition_config_selectorILNS1_17partition_subalgoE6EdNS0_10empty_typeEbEEZZNS1_14partition_implILS5_6ELb0ES3_mN6thrust23THRUST_200600_302600_NS6detail15normal_iteratorINSA_10device_ptrIdEEEEPS6_SG_NS0_5tupleIJSF_S6_EEENSH_IJSG_SG_EEES6_PlJNSB_9not_fun_tI7is_evenIdEEEEEE10hipError_tPvRmT3_T4_T5_T6_T7_T9_mT8_P12ihipStream_tbDpT10_ENKUlT_T0_E_clISt17integral_constantIbLb0EES18_EEDaS13_S14_EUlS13_E_NS1_11comp_targetILNS1_3genE10ELNS1_11target_archE1200ELNS1_3gpuE4ELNS1_3repE0EEENS1_30default_config_static_selectorELNS0_4arch9wavefront6targetE0EEEvT1_.numbered_sgpr, 22
	.set _ZN7rocprim17ROCPRIM_400000_NS6detail17trampoline_kernelINS0_14default_configENS1_25partition_config_selectorILNS1_17partition_subalgoE6EdNS0_10empty_typeEbEEZZNS1_14partition_implILS5_6ELb0ES3_mN6thrust23THRUST_200600_302600_NS6detail15normal_iteratorINSA_10device_ptrIdEEEEPS6_SG_NS0_5tupleIJSF_S6_EEENSH_IJSG_SG_EEES6_PlJNSB_9not_fun_tI7is_evenIdEEEEEE10hipError_tPvRmT3_T4_T5_T6_T7_T9_mT8_P12ihipStream_tbDpT10_ENKUlT_T0_E_clISt17integral_constantIbLb0EES18_EEDaS13_S14_EUlS13_E_NS1_11comp_targetILNS1_3genE10ELNS1_11target_archE1200ELNS1_3gpuE4ELNS1_3repE0EEENS1_30default_config_static_selectorELNS0_4arch9wavefront6targetE0EEEvT1_.num_named_barrier, 0
	.set _ZN7rocprim17ROCPRIM_400000_NS6detail17trampoline_kernelINS0_14default_configENS1_25partition_config_selectorILNS1_17partition_subalgoE6EdNS0_10empty_typeEbEEZZNS1_14partition_implILS5_6ELb0ES3_mN6thrust23THRUST_200600_302600_NS6detail15normal_iteratorINSA_10device_ptrIdEEEEPS6_SG_NS0_5tupleIJSF_S6_EEENSH_IJSG_SG_EEES6_PlJNSB_9not_fun_tI7is_evenIdEEEEEE10hipError_tPvRmT3_T4_T5_T6_T7_T9_mT8_P12ihipStream_tbDpT10_ENKUlT_T0_E_clISt17integral_constantIbLb0EES18_EEDaS13_S14_EUlS13_E_NS1_11comp_targetILNS1_3genE10ELNS1_11target_archE1200ELNS1_3gpuE4ELNS1_3repE0EEENS1_30default_config_static_selectorELNS0_4arch9wavefront6targetE0EEEvT1_.private_seg_size, 0
	.set _ZN7rocprim17ROCPRIM_400000_NS6detail17trampoline_kernelINS0_14default_configENS1_25partition_config_selectorILNS1_17partition_subalgoE6EdNS0_10empty_typeEbEEZZNS1_14partition_implILS5_6ELb0ES3_mN6thrust23THRUST_200600_302600_NS6detail15normal_iteratorINSA_10device_ptrIdEEEEPS6_SG_NS0_5tupleIJSF_S6_EEENSH_IJSG_SG_EEES6_PlJNSB_9not_fun_tI7is_evenIdEEEEEE10hipError_tPvRmT3_T4_T5_T6_T7_T9_mT8_P12ihipStream_tbDpT10_ENKUlT_T0_E_clISt17integral_constantIbLb0EES18_EEDaS13_S14_EUlS13_E_NS1_11comp_targetILNS1_3genE10ELNS1_11target_archE1200ELNS1_3gpuE4ELNS1_3repE0EEENS1_30default_config_static_selectorELNS0_4arch9wavefront6targetE0EEEvT1_.uses_vcc, 1
	.set _ZN7rocprim17ROCPRIM_400000_NS6detail17trampoline_kernelINS0_14default_configENS1_25partition_config_selectorILNS1_17partition_subalgoE6EdNS0_10empty_typeEbEEZZNS1_14partition_implILS5_6ELb0ES3_mN6thrust23THRUST_200600_302600_NS6detail15normal_iteratorINSA_10device_ptrIdEEEEPS6_SG_NS0_5tupleIJSF_S6_EEENSH_IJSG_SG_EEES6_PlJNSB_9not_fun_tI7is_evenIdEEEEEE10hipError_tPvRmT3_T4_T5_T6_T7_T9_mT8_P12ihipStream_tbDpT10_ENKUlT_T0_E_clISt17integral_constantIbLb0EES18_EEDaS13_S14_EUlS13_E_NS1_11comp_targetILNS1_3genE10ELNS1_11target_archE1200ELNS1_3gpuE4ELNS1_3repE0EEENS1_30default_config_static_selectorELNS0_4arch9wavefront6targetE0EEEvT1_.uses_flat_scratch, 1
	.set _ZN7rocprim17ROCPRIM_400000_NS6detail17trampoline_kernelINS0_14default_configENS1_25partition_config_selectorILNS1_17partition_subalgoE6EdNS0_10empty_typeEbEEZZNS1_14partition_implILS5_6ELb0ES3_mN6thrust23THRUST_200600_302600_NS6detail15normal_iteratorINSA_10device_ptrIdEEEEPS6_SG_NS0_5tupleIJSF_S6_EEENSH_IJSG_SG_EEES6_PlJNSB_9not_fun_tI7is_evenIdEEEEEE10hipError_tPvRmT3_T4_T5_T6_T7_T9_mT8_P12ihipStream_tbDpT10_ENKUlT_T0_E_clISt17integral_constantIbLb0EES18_EEDaS13_S14_EUlS13_E_NS1_11comp_targetILNS1_3genE10ELNS1_11target_archE1200ELNS1_3gpuE4ELNS1_3repE0EEENS1_30default_config_static_selectorELNS0_4arch9wavefront6targetE0EEEvT1_.has_dyn_sized_stack, 0
	.set _ZN7rocprim17ROCPRIM_400000_NS6detail17trampoline_kernelINS0_14default_configENS1_25partition_config_selectorILNS1_17partition_subalgoE6EdNS0_10empty_typeEbEEZZNS1_14partition_implILS5_6ELb0ES3_mN6thrust23THRUST_200600_302600_NS6detail15normal_iteratorINSA_10device_ptrIdEEEEPS6_SG_NS0_5tupleIJSF_S6_EEENSH_IJSG_SG_EEES6_PlJNSB_9not_fun_tI7is_evenIdEEEEEE10hipError_tPvRmT3_T4_T5_T6_T7_T9_mT8_P12ihipStream_tbDpT10_ENKUlT_T0_E_clISt17integral_constantIbLb0EES18_EEDaS13_S14_EUlS13_E_NS1_11comp_targetILNS1_3genE10ELNS1_11target_archE1200ELNS1_3gpuE4ELNS1_3repE0EEENS1_30default_config_static_selectorELNS0_4arch9wavefront6targetE0EEEvT1_.has_recursion, 0
	.set _ZN7rocprim17ROCPRIM_400000_NS6detail17trampoline_kernelINS0_14default_configENS1_25partition_config_selectorILNS1_17partition_subalgoE6EdNS0_10empty_typeEbEEZZNS1_14partition_implILS5_6ELb0ES3_mN6thrust23THRUST_200600_302600_NS6detail15normal_iteratorINSA_10device_ptrIdEEEEPS6_SG_NS0_5tupleIJSF_S6_EEENSH_IJSG_SG_EEES6_PlJNSB_9not_fun_tI7is_evenIdEEEEEE10hipError_tPvRmT3_T4_T5_T6_T7_T9_mT8_P12ihipStream_tbDpT10_ENKUlT_T0_E_clISt17integral_constantIbLb0EES18_EEDaS13_S14_EUlS13_E_NS1_11comp_targetILNS1_3genE10ELNS1_11target_archE1200ELNS1_3gpuE4ELNS1_3repE0EEENS1_30default_config_static_selectorELNS0_4arch9wavefront6targetE0EEEvT1_.has_indirect_call, 0
	.section	.AMDGPU.csdata,"",@progbits
; Kernel info:
; codeLenInByte = 6368
; TotalNumSgprs: 24
; NumVgprs: 47
; ScratchSize: 0
; MemoryBound: 0
; FloatMode: 240
; IeeeMode: 1
; LDSByteSize: 8464 bytes/workgroup (compile time only)
; SGPRBlocks: 0
; VGPRBlocks: 5
; NumSGPRsForWavesPerEU: 24
; NumVGPRsForWavesPerEU: 47
; Occupancy: 16
; WaveLimiterHint : 1
; COMPUTE_PGM_RSRC2:SCRATCH_EN: 0
; COMPUTE_PGM_RSRC2:USER_SGPR: 2
; COMPUTE_PGM_RSRC2:TRAP_HANDLER: 0
; COMPUTE_PGM_RSRC2:TGID_X_EN: 1
; COMPUTE_PGM_RSRC2:TGID_Y_EN: 0
; COMPUTE_PGM_RSRC2:TGID_Z_EN: 0
; COMPUTE_PGM_RSRC2:TIDIG_COMP_CNT: 0
	.section	.text._ZN7rocprim17ROCPRIM_400000_NS6detail17trampoline_kernelINS0_14default_configENS1_25partition_config_selectorILNS1_17partition_subalgoE6EdNS0_10empty_typeEbEEZZNS1_14partition_implILS5_6ELb0ES3_mN6thrust23THRUST_200600_302600_NS6detail15normal_iteratorINSA_10device_ptrIdEEEEPS6_SG_NS0_5tupleIJSF_S6_EEENSH_IJSG_SG_EEES6_PlJNSB_9not_fun_tI7is_evenIdEEEEEE10hipError_tPvRmT3_T4_T5_T6_T7_T9_mT8_P12ihipStream_tbDpT10_ENKUlT_T0_E_clISt17integral_constantIbLb0EES18_EEDaS13_S14_EUlS13_E_NS1_11comp_targetILNS1_3genE9ELNS1_11target_archE1100ELNS1_3gpuE3ELNS1_3repE0EEENS1_30default_config_static_selectorELNS0_4arch9wavefront6targetE0EEEvT1_,"axG",@progbits,_ZN7rocprim17ROCPRIM_400000_NS6detail17trampoline_kernelINS0_14default_configENS1_25partition_config_selectorILNS1_17partition_subalgoE6EdNS0_10empty_typeEbEEZZNS1_14partition_implILS5_6ELb0ES3_mN6thrust23THRUST_200600_302600_NS6detail15normal_iteratorINSA_10device_ptrIdEEEEPS6_SG_NS0_5tupleIJSF_S6_EEENSH_IJSG_SG_EEES6_PlJNSB_9not_fun_tI7is_evenIdEEEEEE10hipError_tPvRmT3_T4_T5_T6_T7_T9_mT8_P12ihipStream_tbDpT10_ENKUlT_T0_E_clISt17integral_constantIbLb0EES18_EEDaS13_S14_EUlS13_E_NS1_11comp_targetILNS1_3genE9ELNS1_11target_archE1100ELNS1_3gpuE3ELNS1_3repE0EEENS1_30default_config_static_selectorELNS0_4arch9wavefront6targetE0EEEvT1_,comdat
	.protected	_ZN7rocprim17ROCPRIM_400000_NS6detail17trampoline_kernelINS0_14default_configENS1_25partition_config_selectorILNS1_17partition_subalgoE6EdNS0_10empty_typeEbEEZZNS1_14partition_implILS5_6ELb0ES3_mN6thrust23THRUST_200600_302600_NS6detail15normal_iteratorINSA_10device_ptrIdEEEEPS6_SG_NS0_5tupleIJSF_S6_EEENSH_IJSG_SG_EEES6_PlJNSB_9not_fun_tI7is_evenIdEEEEEE10hipError_tPvRmT3_T4_T5_T6_T7_T9_mT8_P12ihipStream_tbDpT10_ENKUlT_T0_E_clISt17integral_constantIbLb0EES18_EEDaS13_S14_EUlS13_E_NS1_11comp_targetILNS1_3genE9ELNS1_11target_archE1100ELNS1_3gpuE3ELNS1_3repE0EEENS1_30default_config_static_selectorELNS0_4arch9wavefront6targetE0EEEvT1_ ; -- Begin function _ZN7rocprim17ROCPRIM_400000_NS6detail17trampoline_kernelINS0_14default_configENS1_25partition_config_selectorILNS1_17partition_subalgoE6EdNS0_10empty_typeEbEEZZNS1_14partition_implILS5_6ELb0ES3_mN6thrust23THRUST_200600_302600_NS6detail15normal_iteratorINSA_10device_ptrIdEEEEPS6_SG_NS0_5tupleIJSF_S6_EEENSH_IJSG_SG_EEES6_PlJNSB_9not_fun_tI7is_evenIdEEEEEE10hipError_tPvRmT3_T4_T5_T6_T7_T9_mT8_P12ihipStream_tbDpT10_ENKUlT_T0_E_clISt17integral_constantIbLb0EES18_EEDaS13_S14_EUlS13_E_NS1_11comp_targetILNS1_3genE9ELNS1_11target_archE1100ELNS1_3gpuE3ELNS1_3repE0EEENS1_30default_config_static_selectorELNS0_4arch9wavefront6targetE0EEEvT1_
	.globl	_ZN7rocprim17ROCPRIM_400000_NS6detail17trampoline_kernelINS0_14default_configENS1_25partition_config_selectorILNS1_17partition_subalgoE6EdNS0_10empty_typeEbEEZZNS1_14partition_implILS5_6ELb0ES3_mN6thrust23THRUST_200600_302600_NS6detail15normal_iteratorINSA_10device_ptrIdEEEEPS6_SG_NS0_5tupleIJSF_S6_EEENSH_IJSG_SG_EEES6_PlJNSB_9not_fun_tI7is_evenIdEEEEEE10hipError_tPvRmT3_T4_T5_T6_T7_T9_mT8_P12ihipStream_tbDpT10_ENKUlT_T0_E_clISt17integral_constantIbLb0EES18_EEDaS13_S14_EUlS13_E_NS1_11comp_targetILNS1_3genE9ELNS1_11target_archE1100ELNS1_3gpuE3ELNS1_3repE0EEENS1_30default_config_static_selectorELNS0_4arch9wavefront6targetE0EEEvT1_
	.p2align	8
	.type	_ZN7rocprim17ROCPRIM_400000_NS6detail17trampoline_kernelINS0_14default_configENS1_25partition_config_selectorILNS1_17partition_subalgoE6EdNS0_10empty_typeEbEEZZNS1_14partition_implILS5_6ELb0ES3_mN6thrust23THRUST_200600_302600_NS6detail15normal_iteratorINSA_10device_ptrIdEEEEPS6_SG_NS0_5tupleIJSF_S6_EEENSH_IJSG_SG_EEES6_PlJNSB_9not_fun_tI7is_evenIdEEEEEE10hipError_tPvRmT3_T4_T5_T6_T7_T9_mT8_P12ihipStream_tbDpT10_ENKUlT_T0_E_clISt17integral_constantIbLb0EES18_EEDaS13_S14_EUlS13_E_NS1_11comp_targetILNS1_3genE9ELNS1_11target_archE1100ELNS1_3gpuE3ELNS1_3repE0EEENS1_30default_config_static_selectorELNS0_4arch9wavefront6targetE0EEEvT1_,@function
_ZN7rocprim17ROCPRIM_400000_NS6detail17trampoline_kernelINS0_14default_configENS1_25partition_config_selectorILNS1_17partition_subalgoE6EdNS0_10empty_typeEbEEZZNS1_14partition_implILS5_6ELb0ES3_mN6thrust23THRUST_200600_302600_NS6detail15normal_iteratorINSA_10device_ptrIdEEEEPS6_SG_NS0_5tupleIJSF_S6_EEENSH_IJSG_SG_EEES6_PlJNSB_9not_fun_tI7is_evenIdEEEEEE10hipError_tPvRmT3_T4_T5_T6_T7_T9_mT8_P12ihipStream_tbDpT10_ENKUlT_T0_E_clISt17integral_constantIbLb0EES18_EEDaS13_S14_EUlS13_E_NS1_11comp_targetILNS1_3genE9ELNS1_11target_archE1100ELNS1_3gpuE3ELNS1_3repE0EEENS1_30default_config_static_selectorELNS0_4arch9wavefront6targetE0EEEvT1_: ; @_ZN7rocprim17ROCPRIM_400000_NS6detail17trampoline_kernelINS0_14default_configENS1_25partition_config_selectorILNS1_17partition_subalgoE6EdNS0_10empty_typeEbEEZZNS1_14partition_implILS5_6ELb0ES3_mN6thrust23THRUST_200600_302600_NS6detail15normal_iteratorINSA_10device_ptrIdEEEEPS6_SG_NS0_5tupleIJSF_S6_EEENSH_IJSG_SG_EEES6_PlJNSB_9not_fun_tI7is_evenIdEEEEEE10hipError_tPvRmT3_T4_T5_T6_T7_T9_mT8_P12ihipStream_tbDpT10_ENKUlT_T0_E_clISt17integral_constantIbLb0EES18_EEDaS13_S14_EUlS13_E_NS1_11comp_targetILNS1_3genE9ELNS1_11target_archE1100ELNS1_3gpuE3ELNS1_3repE0EEENS1_30default_config_static_selectorELNS0_4arch9wavefront6targetE0EEEvT1_
; %bb.0:
	.section	.rodata,"a",@progbits
	.p2align	6, 0x0
	.amdhsa_kernel _ZN7rocprim17ROCPRIM_400000_NS6detail17trampoline_kernelINS0_14default_configENS1_25partition_config_selectorILNS1_17partition_subalgoE6EdNS0_10empty_typeEbEEZZNS1_14partition_implILS5_6ELb0ES3_mN6thrust23THRUST_200600_302600_NS6detail15normal_iteratorINSA_10device_ptrIdEEEEPS6_SG_NS0_5tupleIJSF_S6_EEENSH_IJSG_SG_EEES6_PlJNSB_9not_fun_tI7is_evenIdEEEEEE10hipError_tPvRmT3_T4_T5_T6_T7_T9_mT8_P12ihipStream_tbDpT10_ENKUlT_T0_E_clISt17integral_constantIbLb0EES18_EEDaS13_S14_EUlS13_E_NS1_11comp_targetILNS1_3genE9ELNS1_11target_archE1100ELNS1_3gpuE3ELNS1_3repE0EEENS1_30default_config_static_selectorELNS0_4arch9wavefront6targetE0EEEvT1_
		.amdhsa_group_segment_fixed_size 0
		.amdhsa_private_segment_fixed_size 0
		.amdhsa_kernarg_size 112
		.amdhsa_user_sgpr_count 2
		.amdhsa_user_sgpr_dispatch_ptr 0
		.amdhsa_user_sgpr_queue_ptr 0
		.amdhsa_user_sgpr_kernarg_segment_ptr 1
		.amdhsa_user_sgpr_dispatch_id 0
		.amdhsa_user_sgpr_private_segment_size 0
		.amdhsa_wavefront_size32 1
		.amdhsa_uses_dynamic_stack 0
		.amdhsa_enable_private_segment 0
		.amdhsa_system_sgpr_workgroup_id_x 1
		.amdhsa_system_sgpr_workgroup_id_y 0
		.amdhsa_system_sgpr_workgroup_id_z 0
		.amdhsa_system_sgpr_workgroup_info 0
		.amdhsa_system_vgpr_workitem_id 0
		.amdhsa_next_free_vgpr 1
		.amdhsa_next_free_sgpr 1
		.amdhsa_reserve_vcc 0
		.amdhsa_float_round_mode_32 0
		.amdhsa_float_round_mode_16_64 0
		.amdhsa_float_denorm_mode_32 3
		.amdhsa_float_denorm_mode_16_64 3
		.amdhsa_fp16_overflow 0
		.amdhsa_workgroup_processor_mode 1
		.amdhsa_memory_ordered 1
		.amdhsa_forward_progress 1
		.amdhsa_inst_pref_size 0
		.amdhsa_round_robin_scheduling 0
		.amdhsa_exception_fp_ieee_invalid_op 0
		.amdhsa_exception_fp_denorm_src 0
		.amdhsa_exception_fp_ieee_div_zero 0
		.amdhsa_exception_fp_ieee_overflow 0
		.amdhsa_exception_fp_ieee_underflow 0
		.amdhsa_exception_fp_ieee_inexact 0
		.amdhsa_exception_int_div_zero 0
	.end_amdhsa_kernel
	.section	.text._ZN7rocprim17ROCPRIM_400000_NS6detail17trampoline_kernelINS0_14default_configENS1_25partition_config_selectorILNS1_17partition_subalgoE6EdNS0_10empty_typeEbEEZZNS1_14partition_implILS5_6ELb0ES3_mN6thrust23THRUST_200600_302600_NS6detail15normal_iteratorINSA_10device_ptrIdEEEEPS6_SG_NS0_5tupleIJSF_S6_EEENSH_IJSG_SG_EEES6_PlJNSB_9not_fun_tI7is_evenIdEEEEEE10hipError_tPvRmT3_T4_T5_T6_T7_T9_mT8_P12ihipStream_tbDpT10_ENKUlT_T0_E_clISt17integral_constantIbLb0EES18_EEDaS13_S14_EUlS13_E_NS1_11comp_targetILNS1_3genE9ELNS1_11target_archE1100ELNS1_3gpuE3ELNS1_3repE0EEENS1_30default_config_static_selectorELNS0_4arch9wavefront6targetE0EEEvT1_,"axG",@progbits,_ZN7rocprim17ROCPRIM_400000_NS6detail17trampoline_kernelINS0_14default_configENS1_25partition_config_selectorILNS1_17partition_subalgoE6EdNS0_10empty_typeEbEEZZNS1_14partition_implILS5_6ELb0ES3_mN6thrust23THRUST_200600_302600_NS6detail15normal_iteratorINSA_10device_ptrIdEEEEPS6_SG_NS0_5tupleIJSF_S6_EEENSH_IJSG_SG_EEES6_PlJNSB_9not_fun_tI7is_evenIdEEEEEE10hipError_tPvRmT3_T4_T5_T6_T7_T9_mT8_P12ihipStream_tbDpT10_ENKUlT_T0_E_clISt17integral_constantIbLb0EES18_EEDaS13_S14_EUlS13_E_NS1_11comp_targetILNS1_3genE9ELNS1_11target_archE1100ELNS1_3gpuE3ELNS1_3repE0EEENS1_30default_config_static_selectorELNS0_4arch9wavefront6targetE0EEEvT1_,comdat
.Lfunc_end539:
	.size	_ZN7rocprim17ROCPRIM_400000_NS6detail17trampoline_kernelINS0_14default_configENS1_25partition_config_selectorILNS1_17partition_subalgoE6EdNS0_10empty_typeEbEEZZNS1_14partition_implILS5_6ELb0ES3_mN6thrust23THRUST_200600_302600_NS6detail15normal_iteratorINSA_10device_ptrIdEEEEPS6_SG_NS0_5tupleIJSF_S6_EEENSH_IJSG_SG_EEES6_PlJNSB_9not_fun_tI7is_evenIdEEEEEE10hipError_tPvRmT3_T4_T5_T6_T7_T9_mT8_P12ihipStream_tbDpT10_ENKUlT_T0_E_clISt17integral_constantIbLb0EES18_EEDaS13_S14_EUlS13_E_NS1_11comp_targetILNS1_3genE9ELNS1_11target_archE1100ELNS1_3gpuE3ELNS1_3repE0EEENS1_30default_config_static_selectorELNS0_4arch9wavefront6targetE0EEEvT1_, .Lfunc_end539-_ZN7rocprim17ROCPRIM_400000_NS6detail17trampoline_kernelINS0_14default_configENS1_25partition_config_selectorILNS1_17partition_subalgoE6EdNS0_10empty_typeEbEEZZNS1_14partition_implILS5_6ELb0ES3_mN6thrust23THRUST_200600_302600_NS6detail15normal_iteratorINSA_10device_ptrIdEEEEPS6_SG_NS0_5tupleIJSF_S6_EEENSH_IJSG_SG_EEES6_PlJNSB_9not_fun_tI7is_evenIdEEEEEE10hipError_tPvRmT3_T4_T5_T6_T7_T9_mT8_P12ihipStream_tbDpT10_ENKUlT_T0_E_clISt17integral_constantIbLb0EES18_EEDaS13_S14_EUlS13_E_NS1_11comp_targetILNS1_3genE9ELNS1_11target_archE1100ELNS1_3gpuE3ELNS1_3repE0EEENS1_30default_config_static_selectorELNS0_4arch9wavefront6targetE0EEEvT1_
                                        ; -- End function
	.set _ZN7rocprim17ROCPRIM_400000_NS6detail17trampoline_kernelINS0_14default_configENS1_25partition_config_selectorILNS1_17partition_subalgoE6EdNS0_10empty_typeEbEEZZNS1_14partition_implILS5_6ELb0ES3_mN6thrust23THRUST_200600_302600_NS6detail15normal_iteratorINSA_10device_ptrIdEEEEPS6_SG_NS0_5tupleIJSF_S6_EEENSH_IJSG_SG_EEES6_PlJNSB_9not_fun_tI7is_evenIdEEEEEE10hipError_tPvRmT3_T4_T5_T6_T7_T9_mT8_P12ihipStream_tbDpT10_ENKUlT_T0_E_clISt17integral_constantIbLb0EES18_EEDaS13_S14_EUlS13_E_NS1_11comp_targetILNS1_3genE9ELNS1_11target_archE1100ELNS1_3gpuE3ELNS1_3repE0EEENS1_30default_config_static_selectorELNS0_4arch9wavefront6targetE0EEEvT1_.num_vgpr, 0
	.set _ZN7rocprim17ROCPRIM_400000_NS6detail17trampoline_kernelINS0_14default_configENS1_25partition_config_selectorILNS1_17partition_subalgoE6EdNS0_10empty_typeEbEEZZNS1_14partition_implILS5_6ELb0ES3_mN6thrust23THRUST_200600_302600_NS6detail15normal_iteratorINSA_10device_ptrIdEEEEPS6_SG_NS0_5tupleIJSF_S6_EEENSH_IJSG_SG_EEES6_PlJNSB_9not_fun_tI7is_evenIdEEEEEE10hipError_tPvRmT3_T4_T5_T6_T7_T9_mT8_P12ihipStream_tbDpT10_ENKUlT_T0_E_clISt17integral_constantIbLb0EES18_EEDaS13_S14_EUlS13_E_NS1_11comp_targetILNS1_3genE9ELNS1_11target_archE1100ELNS1_3gpuE3ELNS1_3repE0EEENS1_30default_config_static_selectorELNS0_4arch9wavefront6targetE0EEEvT1_.num_agpr, 0
	.set _ZN7rocprim17ROCPRIM_400000_NS6detail17trampoline_kernelINS0_14default_configENS1_25partition_config_selectorILNS1_17partition_subalgoE6EdNS0_10empty_typeEbEEZZNS1_14partition_implILS5_6ELb0ES3_mN6thrust23THRUST_200600_302600_NS6detail15normal_iteratorINSA_10device_ptrIdEEEEPS6_SG_NS0_5tupleIJSF_S6_EEENSH_IJSG_SG_EEES6_PlJNSB_9not_fun_tI7is_evenIdEEEEEE10hipError_tPvRmT3_T4_T5_T6_T7_T9_mT8_P12ihipStream_tbDpT10_ENKUlT_T0_E_clISt17integral_constantIbLb0EES18_EEDaS13_S14_EUlS13_E_NS1_11comp_targetILNS1_3genE9ELNS1_11target_archE1100ELNS1_3gpuE3ELNS1_3repE0EEENS1_30default_config_static_selectorELNS0_4arch9wavefront6targetE0EEEvT1_.numbered_sgpr, 0
	.set _ZN7rocprim17ROCPRIM_400000_NS6detail17trampoline_kernelINS0_14default_configENS1_25partition_config_selectorILNS1_17partition_subalgoE6EdNS0_10empty_typeEbEEZZNS1_14partition_implILS5_6ELb0ES3_mN6thrust23THRUST_200600_302600_NS6detail15normal_iteratorINSA_10device_ptrIdEEEEPS6_SG_NS0_5tupleIJSF_S6_EEENSH_IJSG_SG_EEES6_PlJNSB_9not_fun_tI7is_evenIdEEEEEE10hipError_tPvRmT3_T4_T5_T6_T7_T9_mT8_P12ihipStream_tbDpT10_ENKUlT_T0_E_clISt17integral_constantIbLb0EES18_EEDaS13_S14_EUlS13_E_NS1_11comp_targetILNS1_3genE9ELNS1_11target_archE1100ELNS1_3gpuE3ELNS1_3repE0EEENS1_30default_config_static_selectorELNS0_4arch9wavefront6targetE0EEEvT1_.num_named_barrier, 0
	.set _ZN7rocprim17ROCPRIM_400000_NS6detail17trampoline_kernelINS0_14default_configENS1_25partition_config_selectorILNS1_17partition_subalgoE6EdNS0_10empty_typeEbEEZZNS1_14partition_implILS5_6ELb0ES3_mN6thrust23THRUST_200600_302600_NS6detail15normal_iteratorINSA_10device_ptrIdEEEEPS6_SG_NS0_5tupleIJSF_S6_EEENSH_IJSG_SG_EEES6_PlJNSB_9not_fun_tI7is_evenIdEEEEEE10hipError_tPvRmT3_T4_T5_T6_T7_T9_mT8_P12ihipStream_tbDpT10_ENKUlT_T0_E_clISt17integral_constantIbLb0EES18_EEDaS13_S14_EUlS13_E_NS1_11comp_targetILNS1_3genE9ELNS1_11target_archE1100ELNS1_3gpuE3ELNS1_3repE0EEENS1_30default_config_static_selectorELNS0_4arch9wavefront6targetE0EEEvT1_.private_seg_size, 0
	.set _ZN7rocprim17ROCPRIM_400000_NS6detail17trampoline_kernelINS0_14default_configENS1_25partition_config_selectorILNS1_17partition_subalgoE6EdNS0_10empty_typeEbEEZZNS1_14partition_implILS5_6ELb0ES3_mN6thrust23THRUST_200600_302600_NS6detail15normal_iteratorINSA_10device_ptrIdEEEEPS6_SG_NS0_5tupleIJSF_S6_EEENSH_IJSG_SG_EEES6_PlJNSB_9not_fun_tI7is_evenIdEEEEEE10hipError_tPvRmT3_T4_T5_T6_T7_T9_mT8_P12ihipStream_tbDpT10_ENKUlT_T0_E_clISt17integral_constantIbLb0EES18_EEDaS13_S14_EUlS13_E_NS1_11comp_targetILNS1_3genE9ELNS1_11target_archE1100ELNS1_3gpuE3ELNS1_3repE0EEENS1_30default_config_static_selectorELNS0_4arch9wavefront6targetE0EEEvT1_.uses_vcc, 0
	.set _ZN7rocprim17ROCPRIM_400000_NS6detail17trampoline_kernelINS0_14default_configENS1_25partition_config_selectorILNS1_17partition_subalgoE6EdNS0_10empty_typeEbEEZZNS1_14partition_implILS5_6ELb0ES3_mN6thrust23THRUST_200600_302600_NS6detail15normal_iteratorINSA_10device_ptrIdEEEEPS6_SG_NS0_5tupleIJSF_S6_EEENSH_IJSG_SG_EEES6_PlJNSB_9not_fun_tI7is_evenIdEEEEEE10hipError_tPvRmT3_T4_T5_T6_T7_T9_mT8_P12ihipStream_tbDpT10_ENKUlT_T0_E_clISt17integral_constantIbLb0EES18_EEDaS13_S14_EUlS13_E_NS1_11comp_targetILNS1_3genE9ELNS1_11target_archE1100ELNS1_3gpuE3ELNS1_3repE0EEENS1_30default_config_static_selectorELNS0_4arch9wavefront6targetE0EEEvT1_.uses_flat_scratch, 0
	.set _ZN7rocprim17ROCPRIM_400000_NS6detail17trampoline_kernelINS0_14default_configENS1_25partition_config_selectorILNS1_17partition_subalgoE6EdNS0_10empty_typeEbEEZZNS1_14partition_implILS5_6ELb0ES3_mN6thrust23THRUST_200600_302600_NS6detail15normal_iteratorINSA_10device_ptrIdEEEEPS6_SG_NS0_5tupleIJSF_S6_EEENSH_IJSG_SG_EEES6_PlJNSB_9not_fun_tI7is_evenIdEEEEEE10hipError_tPvRmT3_T4_T5_T6_T7_T9_mT8_P12ihipStream_tbDpT10_ENKUlT_T0_E_clISt17integral_constantIbLb0EES18_EEDaS13_S14_EUlS13_E_NS1_11comp_targetILNS1_3genE9ELNS1_11target_archE1100ELNS1_3gpuE3ELNS1_3repE0EEENS1_30default_config_static_selectorELNS0_4arch9wavefront6targetE0EEEvT1_.has_dyn_sized_stack, 0
	.set _ZN7rocprim17ROCPRIM_400000_NS6detail17trampoline_kernelINS0_14default_configENS1_25partition_config_selectorILNS1_17partition_subalgoE6EdNS0_10empty_typeEbEEZZNS1_14partition_implILS5_6ELb0ES3_mN6thrust23THRUST_200600_302600_NS6detail15normal_iteratorINSA_10device_ptrIdEEEEPS6_SG_NS0_5tupleIJSF_S6_EEENSH_IJSG_SG_EEES6_PlJNSB_9not_fun_tI7is_evenIdEEEEEE10hipError_tPvRmT3_T4_T5_T6_T7_T9_mT8_P12ihipStream_tbDpT10_ENKUlT_T0_E_clISt17integral_constantIbLb0EES18_EEDaS13_S14_EUlS13_E_NS1_11comp_targetILNS1_3genE9ELNS1_11target_archE1100ELNS1_3gpuE3ELNS1_3repE0EEENS1_30default_config_static_selectorELNS0_4arch9wavefront6targetE0EEEvT1_.has_recursion, 0
	.set _ZN7rocprim17ROCPRIM_400000_NS6detail17trampoline_kernelINS0_14default_configENS1_25partition_config_selectorILNS1_17partition_subalgoE6EdNS0_10empty_typeEbEEZZNS1_14partition_implILS5_6ELb0ES3_mN6thrust23THRUST_200600_302600_NS6detail15normal_iteratorINSA_10device_ptrIdEEEEPS6_SG_NS0_5tupleIJSF_S6_EEENSH_IJSG_SG_EEES6_PlJNSB_9not_fun_tI7is_evenIdEEEEEE10hipError_tPvRmT3_T4_T5_T6_T7_T9_mT8_P12ihipStream_tbDpT10_ENKUlT_T0_E_clISt17integral_constantIbLb0EES18_EEDaS13_S14_EUlS13_E_NS1_11comp_targetILNS1_3genE9ELNS1_11target_archE1100ELNS1_3gpuE3ELNS1_3repE0EEENS1_30default_config_static_selectorELNS0_4arch9wavefront6targetE0EEEvT1_.has_indirect_call, 0
	.section	.AMDGPU.csdata,"",@progbits
; Kernel info:
; codeLenInByte = 0
; TotalNumSgprs: 0
; NumVgprs: 0
; ScratchSize: 0
; MemoryBound: 0
; FloatMode: 240
; IeeeMode: 1
; LDSByteSize: 0 bytes/workgroup (compile time only)
; SGPRBlocks: 0
; VGPRBlocks: 0
; NumSGPRsForWavesPerEU: 1
; NumVGPRsForWavesPerEU: 1
; Occupancy: 16
; WaveLimiterHint : 0
; COMPUTE_PGM_RSRC2:SCRATCH_EN: 0
; COMPUTE_PGM_RSRC2:USER_SGPR: 2
; COMPUTE_PGM_RSRC2:TRAP_HANDLER: 0
; COMPUTE_PGM_RSRC2:TGID_X_EN: 1
; COMPUTE_PGM_RSRC2:TGID_Y_EN: 0
; COMPUTE_PGM_RSRC2:TGID_Z_EN: 0
; COMPUTE_PGM_RSRC2:TIDIG_COMP_CNT: 0
	.section	.text._ZN7rocprim17ROCPRIM_400000_NS6detail17trampoline_kernelINS0_14default_configENS1_25partition_config_selectorILNS1_17partition_subalgoE6EdNS0_10empty_typeEbEEZZNS1_14partition_implILS5_6ELb0ES3_mN6thrust23THRUST_200600_302600_NS6detail15normal_iteratorINSA_10device_ptrIdEEEEPS6_SG_NS0_5tupleIJSF_S6_EEENSH_IJSG_SG_EEES6_PlJNSB_9not_fun_tI7is_evenIdEEEEEE10hipError_tPvRmT3_T4_T5_T6_T7_T9_mT8_P12ihipStream_tbDpT10_ENKUlT_T0_E_clISt17integral_constantIbLb0EES18_EEDaS13_S14_EUlS13_E_NS1_11comp_targetILNS1_3genE8ELNS1_11target_archE1030ELNS1_3gpuE2ELNS1_3repE0EEENS1_30default_config_static_selectorELNS0_4arch9wavefront6targetE0EEEvT1_,"axG",@progbits,_ZN7rocprim17ROCPRIM_400000_NS6detail17trampoline_kernelINS0_14default_configENS1_25partition_config_selectorILNS1_17partition_subalgoE6EdNS0_10empty_typeEbEEZZNS1_14partition_implILS5_6ELb0ES3_mN6thrust23THRUST_200600_302600_NS6detail15normal_iteratorINSA_10device_ptrIdEEEEPS6_SG_NS0_5tupleIJSF_S6_EEENSH_IJSG_SG_EEES6_PlJNSB_9not_fun_tI7is_evenIdEEEEEE10hipError_tPvRmT3_T4_T5_T6_T7_T9_mT8_P12ihipStream_tbDpT10_ENKUlT_T0_E_clISt17integral_constantIbLb0EES18_EEDaS13_S14_EUlS13_E_NS1_11comp_targetILNS1_3genE8ELNS1_11target_archE1030ELNS1_3gpuE2ELNS1_3repE0EEENS1_30default_config_static_selectorELNS0_4arch9wavefront6targetE0EEEvT1_,comdat
	.protected	_ZN7rocprim17ROCPRIM_400000_NS6detail17trampoline_kernelINS0_14default_configENS1_25partition_config_selectorILNS1_17partition_subalgoE6EdNS0_10empty_typeEbEEZZNS1_14partition_implILS5_6ELb0ES3_mN6thrust23THRUST_200600_302600_NS6detail15normal_iteratorINSA_10device_ptrIdEEEEPS6_SG_NS0_5tupleIJSF_S6_EEENSH_IJSG_SG_EEES6_PlJNSB_9not_fun_tI7is_evenIdEEEEEE10hipError_tPvRmT3_T4_T5_T6_T7_T9_mT8_P12ihipStream_tbDpT10_ENKUlT_T0_E_clISt17integral_constantIbLb0EES18_EEDaS13_S14_EUlS13_E_NS1_11comp_targetILNS1_3genE8ELNS1_11target_archE1030ELNS1_3gpuE2ELNS1_3repE0EEENS1_30default_config_static_selectorELNS0_4arch9wavefront6targetE0EEEvT1_ ; -- Begin function _ZN7rocprim17ROCPRIM_400000_NS6detail17trampoline_kernelINS0_14default_configENS1_25partition_config_selectorILNS1_17partition_subalgoE6EdNS0_10empty_typeEbEEZZNS1_14partition_implILS5_6ELb0ES3_mN6thrust23THRUST_200600_302600_NS6detail15normal_iteratorINSA_10device_ptrIdEEEEPS6_SG_NS0_5tupleIJSF_S6_EEENSH_IJSG_SG_EEES6_PlJNSB_9not_fun_tI7is_evenIdEEEEEE10hipError_tPvRmT3_T4_T5_T6_T7_T9_mT8_P12ihipStream_tbDpT10_ENKUlT_T0_E_clISt17integral_constantIbLb0EES18_EEDaS13_S14_EUlS13_E_NS1_11comp_targetILNS1_3genE8ELNS1_11target_archE1030ELNS1_3gpuE2ELNS1_3repE0EEENS1_30default_config_static_selectorELNS0_4arch9wavefront6targetE0EEEvT1_
	.globl	_ZN7rocprim17ROCPRIM_400000_NS6detail17trampoline_kernelINS0_14default_configENS1_25partition_config_selectorILNS1_17partition_subalgoE6EdNS0_10empty_typeEbEEZZNS1_14partition_implILS5_6ELb0ES3_mN6thrust23THRUST_200600_302600_NS6detail15normal_iteratorINSA_10device_ptrIdEEEEPS6_SG_NS0_5tupleIJSF_S6_EEENSH_IJSG_SG_EEES6_PlJNSB_9not_fun_tI7is_evenIdEEEEEE10hipError_tPvRmT3_T4_T5_T6_T7_T9_mT8_P12ihipStream_tbDpT10_ENKUlT_T0_E_clISt17integral_constantIbLb0EES18_EEDaS13_S14_EUlS13_E_NS1_11comp_targetILNS1_3genE8ELNS1_11target_archE1030ELNS1_3gpuE2ELNS1_3repE0EEENS1_30default_config_static_selectorELNS0_4arch9wavefront6targetE0EEEvT1_
	.p2align	8
	.type	_ZN7rocprim17ROCPRIM_400000_NS6detail17trampoline_kernelINS0_14default_configENS1_25partition_config_selectorILNS1_17partition_subalgoE6EdNS0_10empty_typeEbEEZZNS1_14partition_implILS5_6ELb0ES3_mN6thrust23THRUST_200600_302600_NS6detail15normal_iteratorINSA_10device_ptrIdEEEEPS6_SG_NS0_5tupleIJSF_S6_EEENSH_IJSG_SG_EEES6_PlJNSB_9not_fun_tI7is_evenIdEEEEEE10hipError_tPvRmT3_T4_T5_T6_T7_T9_mT8_P12ihipStream_tbDpT10_ENKUlT_T0_E_clISt17integral_constantIbLb0EES18_EEDaS13_S14_EUlS13_E_NS1_11comp_targetILNS1_3genE8ELNS1_11target_archE1030ELNS1_3gpuE2ELNS1_3repE0EEENS1_30default_config_static_selectorELNS0_4arch9wavefront6targetE0EEEvT1_,@function
_ZN7rocprim17ROCPRIM_400000_NS6detail17trampoline_kernelINS0_14default_configENS1_25partition_config_selectorILNS1_17partition_subalgoE6EdNS0_10empty_typeEbEEZZNS1_14partition_implILS5_6ELb0ES3_mN6thrust23THRUST_200600_302600_NS6detail15normal_iteratorINSA_10device_ptrIdEEEEPS6_SG_NS0_5tupleIJSF_S6_EEENSH_IJSG_SG_EEES6_PlJNSB_9not_fun_tI7is_evenIdEEEEEE10hipError_tPvRmT3_T4_T5_T6_T7_T9_mT8_P12ihipStream_tbDpT10_ENKUlT_T0_E_clISt17integral_constantIbLb0EES18_EEDaS13_S14_EUlS13_E_NS1_11comp_targetILNS1_3genE8ELNS1_11target_archE1030ELNS1_3gpuE2ELNS1_3repE0EEENS1_30default_config_static_selectorELNS0_4arch9wavefront6targetE0EEEvT1_: ; @_ZN7rocprim17ROCPRIM_400000_NS6detail17trampoline_kernelINS0_14default_configENS1_25partition_config_selectorILNS1_17partition_subalgoE6EdNS0_10empty_typeEbEEZZNS1_14partition_implILS5_6ELb0ES3_mN6thrust23THRUST_200600_302600_NS6detail15normal_iteratorINSA_10device_ptrIdEEEEPS6_SG_NS0_5tupleIJSF_S6_EEENSH_IJSG_SG_EEES6_PlJNSB_9not_fun_tI7is_evenIdEEEEEE10hipError_tPvRmT3_T4_T5_T6_T7_T9_mT8_P12ihipStream_tbDpT10_ENKUlT_T0_E_clISt17integral_constantIbLb0EES18_EEDaS13_S14_EUlS13_E_NS1_11comp_targetILNS1_3genE8ELNS1_11target_archE1030ELNS1_3gpuE2ELNS1_3repE0EEENS1_30default_config_static_selectorELNS0_4arch9wavefront6targetE0EEEvT1_
; %bb.0:
	.section	.rodata,"a",@progbits
	.p2align	6, 0x0
	.amdhsa_kernel _ZN7rocprim17ROCPRIM_400000_NS6detail17trampoline_kernelINS0_14default_configENS1_25partition_config_selectorILNS1_17partition_subalgoE6EdNS0_10empty_typeEbEEZZNS1_14partition_implILS5_6ELb0ES3_mN6thrust23THRUST_200600_302600_NS6detail15normal_iteratorINSA_10device_ptrIdEEEEPS6_SG_NS0_5tupleIJSF_S6_EEENSH_IJSG_SG_EEES6_PlJNSB_9not_fun_tI7is_evenIdEEEEEE10hipError_tPvRmT3_T4_T5_T6_T7_T9_mT8_P12ihipStream_tbDpT10_ENKUlT_T0_E_clISt17integral_constantIbLb0EES18_EEDaS13_S14_EUlS13_E_NS1_11comp_targetILNS1_3genE8ELNS1_11target_archE1030ELNS1_3gpuE2ELNS1_3repE0EEENS1_30default_config_static_selectorELNS0_4arch9wavefront6targetE0EEEvT1_
		.amdhsa_group_segment_fixed_size 0
		.amdhsa_private_segment_fixed_size 0
		.amdhsa_kernarg_size 112
		.amdhsa_user_sgpr_count 2
		.amdhsa_user_sgpr_dispatch_ptr 0
		.amdhsa_user_sgpr_queue_ptr 0
		.amdhsa_user_sgpr_kernarg_segment_ptr 1
		.amdhsa_user_sgpr_dispatch_id 0
		.amdhsa_user_sgpr_private_segment_size 0
		.amdhsa_wavefront_size32 1
		.amdhsa_uses_dynamic_stack 0
		.amdhsa_enable_private_segment 0
		.amdhsa_system_sgpr_workgroup_id_x 1
		.amdhsa_system_sgpr_workgroup_id_y 0
		.amdhsa_system_sgpr_workgroup_id_z 0
		.amdhsa_system_sgpr_workgroup_info 0
		.amdhsa_system_vgpr_workitem_id 0
		.amdhsa_next_free_vgpr 1
		.amdhsa_next_free_sgpr 1
		.amdhsa_reserve_vcc 0
		.amdhsa_float_round_mode_32 0
		.amdhsa_float_round_mode_16_64 0
		.amdhsa_float_denorm_mode_32 3
		.amdhsa_float_denorm_mode_16_64 3
		.amdhsa_fp16_overflow 0
		.amdhsa_workgroup_processor_mode 1
		.amdhsa_memory_ordered 1
		.amdhsa_forward_progress 1
		.amdhsa_inst_pref_size 0
		.amdhsa_round_robin_scheduling 0
		.amdhsa_exception_fp_ieee_invalid_op 0
		.amdhsa_exception_fp_denorm_src 0
		.amdhsa_exception_fp_ieee_div_zero 0
		.amdhsa_exception_fp_ieee_overflow 0
		.amdhsa_exception_fp_ieee_underflow 0
		.amdhsa_exception_fp_ieee_inexact 0
		.amdhsa_exception_int_div_zero 0
	.end_amdhsa_kernel
	.section	.text._ZN7rocprim17ROCPRIM_400000_NS6detail17trampoline_kernelINS0_14default_configENS1_25partition_config_selectorILNS1_17partition_subalgoE6EdNS0_10empty_typeEbEEZZNS1_14partition_implILS5_6ELb0ES3_mN6thrust23THRUST_200600_302600_NS6detail15normal_iteratorINSA_10device_ptrIdEEEEPS6_SG_NS0_5tupleIJSF_S6_EEENSH_IJSG_SG_EEES6_PlJNSB_9not_fun_tI7is_evenIdEEEEEE10hipError_tPvRmT3_T4_T5_T6_T7_T9_mT8_P12ihipStream_tbDpT10_ENKUlT_T0_E_clISt17integral_constantIbLb0EES18_EEDaS13_S14_EUlS13_E_NS1_11comp_targetILNS1_3genE8ELNS1_11target_archE1030ELNS1_3gpuE2ELNS1_3repE0EEENS1_30default_config_static_selectorELNS0_4arch9wavefront6targetE0EEEvT1_,"axG",@progbits,_ZN7rocprim17ROCPRIM_400000_NS6detail17trampoline_kernelINS0_14default_configENS1_25partition_config_selectorILNS1_17partition_subalgoE6EdNS0_10empty_typeEbEEZZNS1_14partition_implILS5_6ELb0ES3_mN6thrust23THRUST_200600_302600_NS6detail15normal_iteratorINSA_10device_ptrIdEEEEPS6_SG_NS0_5tupleIJSF_S6_EEENSH_IJSG_SG_EEES6_PlJNSB_9not_fun_tI7is_evenIdEEEEEE10hipError_tPvRmT3_T4_T5_T6_T7_T9_mT8_P12ihipStream_tbDpT10_ENKUlT_T0_E_clISt17integral_constantIbLb0EES18_EEDaS13_S14_EUlS13_E_NS1_11comp_targetILNS1_3genE8ELNS1_11target_archE1030ELNS1_3gpuE2ELNS1_3repE0EEENS1_30default_config_static_selectorELNS0_4arch9wavefront6targetE0EEEvT1_,comdat
.Lfunc_end540:
	.size	_ZN7rocprim17ROCPRIM_400000_NS6detail17trampoline_kernelINS0_14default_configENS1_25partition_config_selectorILNS1_17partition_subalgoE6EdNS0_10empty_typeEbEEZZNS1_14partition_implILS5_6ELb0ES3_mN6thrust23THRUST_200600_302600_NS6detail15normal_iteratorINSA_10device_ptrIdEEEEPS6_SG_NS0_5tupleIJSF_S6_EEENSH_IJSG_SG_EEES6_PlJNSB_9not_fun_tI7is_evenIdEEEEEE10hipError_tPvRmT3_T4_T5_T6_T7_T9_mT8_P12ihipStream_tbDpT10_ENKUlT_T0_E_clISt17integral_constantIbLb0EES18_EEDaS13_S14_EUlS13_E_NS1_11comp_targetILNS1_3genE8ELNS1_11target_archE1030ELNS1_3gpuE2ELNS1_3repE0EEENS1_30default_config_static_selectorELNS0_4arch9wavefront6targetE0EEEvT1_, .Lfunc_end540-_ZN7rocprim17ROCPRIM_400000_NS6detail17trampoline_kernelINS0_14default_configENS1_25partition_config_selectorILNS1_17partition_subalgoE6EdNS0_10empty_typeEbEEZZNS1_14partition_implILS5_6ELb0ES3_mN6thrust23THRUST_200600_302600_NS6detail15normal_iteratorINSA_10device_ptrIdEEEEPS6_SG_NS0_5tupleIJSF_S6_EEENSH_IJSG_SG_EEES6_PlJNSB_9not_fun_tI7is_evenIdEEEEEE10hipError_tPvRmT3_T4_T5_T6_T7_T9_mT8_P12ihipStream_tbDpT10_ENKUlT_T0_E_clISt17integral_constantIbLb0EES18_EEDaS13_S14_EUlS13_E_NS1_11comp_targetILNS1_3genE8ELNS1_11target_archE1030ELNS1_3gpuE2ELNS1_3repE0EEENS1_30default_config_static_selectorELNS0_4arch9wavefront6targetE0EEEvT1_
                                        ; -- End function
	.set _ZN7rocprim17ROCPRIM_400000_NS6detail17trampoline_kernelINS0_14default_configENS1_25partition_config_selectorILNS1_17partition_subalgoE6EdNS0_10empty_typeEbEEZZNS1_14partition_implILS5_6ELb0ES3_mN6thrust23THRUST_200600_302600_NS6detail15normal_iteratorINSA_10device_ptrIdEEEEPS6_SG_NS0_5tupleIJSF_S6_EEENSH_IJSG_SG_EEES6_PlJNSB_9not_fun_tI7is_evenIdEEEEEE10hipError_tPvRmT3_T4_T5_T6_T7_T9_mT8_P12ihipStream_tbDpT10_ENKUlT_T0_E_clISt17integral_constantIbLb0EES18_EEDaS13_S14_EUlS13_E_NS1_11comp_targetILNS1_3genE8ELNS1_11target_archE1030ELNS1_3gpuE2ELNS1_3repE0EEENS1_30default_config_static_selectorELNS0_4arch9wavefront6targetE0EEEvT1_.num_vgpr, 0
	.set _ZN7rocprim17ROCPRIM_400000_NS6detail17trampoline_kernelINS0_14default_configENS1_25partition_config_selectorILNS1_17partition_subalgoE6EdNS0_10empty_typeEbEEZZNS1_14partition_implILS5_6ELb0ES3_mN6thrust23THRUST_200600_302600_NS6detail15normal_iteratorINSA_10device_ptrIdEEEEPS6_SG_NS0_5tupleIJSF_S6_EEENSH_IJSG_SG_EEES6_PlJNSB_9not_fun_tI7is_evenIdEEEEEE10hipError_tPvRmT3_T4_T5_T6_T7_T9_mT8_P12ihipStream_tbDpT10_ENKUlT_T0_E_clISt17integral_constantIbLb0EES18_EEDaS13_S14_EUlS13_E_NS1_11comp_targetILNS1_3genE8ELNS1_11target_archE1030ELNS1_3gpuE2ELNS1_3repE0EEENS1_30default_config_static_selectorELNS0_4arch9wavefront6targetE0EEEvT1_.num_agpr, 0
	.set _ZN7rocprim17ROCPRIM_400000_NS6detail17trampoline_kernelINS0_14default_configENS1_25partition_config_selectorILNS1_17partition_subalgoE6EdNS0_10empty_typeEbEEZZNS1_14partition_implILS5_6ELb0ES3_mN6thrust23THRUST_200600_302600_NS6detail15normal_iteratorINSA_10device_ptrIdEEEEPS6_SG_NS0_5tupleIJSF_S6_EEENSH_IJSG_SG_EEES6_PlJNSB_9not_fun_tI7is_evenIdEEEEEE10hipError_tPvRmT3_T4_T5_T6_T7_T9_mT8_P12ihipStream_tbDpT10_ENKUlT_T0_E_clISt17integral_constantIbLb0EES18_EEDaS13_S14_EUlS13_E_NS1_11comp_targetILNS1_3genE8ELNS1_11target_archE1030ELNS1_3gpuE2ELNS1_3repE0EEENS1_30default_config_static_selectorELNS0_4arch9wavefront6targetE0EEEvT1_.numbered_sgpr, 0
	.set _ZN7rocprim17ROCPRIM_400000_NS6detail17trampoline_kernelINS0_14default_configENS1_25partition_config_selectorILNS1_17partition_subalgoE6EdNS0_10empty_typeEbEEZZNS1_14partition_implILS5_6ELb0ES3_mN6thrust23THRUST_200600_302600_NS6detail15normal_iteratorINSA_10device_ptrIdEEEEPS6_SG_NS0_5tupleIJSF_S6_EEENSH_IJSG_SG_EEES6_PlJNSB_9not_fun_tI7is_evenIdEEEEEE10hipError_tPvRmT3_T4_T5_T6_T7_T9_mT8_P12ihipStream_tbDpT10_ENKUlT_T0_E_clISt17integral_constantIbLb0EES18_EEDaS13_S14_EUlS13_E_NS1_11comp_targetILNS1_3genE8ELNS1_11target_archE1030ELNS1_3gpuE2ELNS1_3repE0EEENS1_30default_config_static_selectorELNS0_4arch9wavefront6targetE0EEEvT1_.num_named_barrier, 0
	.set _ZN7rocprim17ROCPRIM_400000_NS6detail17trampoline_kernelINS0_14default_configENS1_25partition_config_selectorILNS1_17partition_subalgoE6EdNS0_10empty_typeEbEEZZNS1_14partition_implILS5_6ELb0ES3_mN6thrust23THRUST_200600_302600_NS6detail15normal_iteratorINSA_10device_ptrIdEEEEPS6_SG_NS0_5tupleIJSF_S6_EEENSH_IJSG_SG_EEES6_PlJNSB_9not_fun_tI7is_evenIdEEEEEE10hipError_tPvRmT3_T4_T5_T6_T7_T9_mT8_P12ihipStream_tbDpT10_ENKUlT_T0_E_clISt17integral_constantIbLb0EES18_EEDaS13_S14_EUlS13_E_NS1_11comp_targetILNS1_3genE8ELNS1_11target_archE1030ELNS1_3gpuE2ELNS1_3repE0EEENS1_30default_config_static_selectorELNS0_4arch9wavefront6targetE0EEEvT1_.private_seg_size, 0
	.set _ZN7rocprim17ROCPRIM_400000_NS6detail17trampoline_kernelINS0_14default_configENS1_25partition_config_selectorILNS1_17partition_subalgoE6EdNS0_10empty_typeEbEEZZNS1_14partition_implILS5_6ELb0ES3_mN6thrust23THRUST_200600_302600_NS6detail15normal_iteratorINSA_10device_ptrIdEEEEPS6_SG_NS0_5tupleIJSF_S6_EEENSH_IJSG_SG_EEES6_PlJNSB_9not_fun_tI7is_evenIdEEEEEE10hipError_tPvRmT3_T4_T5_T6_T7_T9_mT8_P12ihipStream_tbDpT10_ENKUlT_T0_E_clISt17integral_constantIbLb0EES18_EEDaS13_S14_EUlS13_E_NS1_11comp_targetILNS1_3genE8ELNS1_11target_archE1030ELNS1_3gpuE2ELNS1_3repE0EEENS1_30default_config_static_selectorELNS0_4arch9wavefront6targetE0EEEvT1_.uses_vcc, 0
	.set _ZN7rocprim17ROCPRIM_400000_NS6detail17trampoline_kernelINS0_14default_configENS1_25partition_config_selectorILNS1_17partition_subalgoE6EdNS0_10empty_typeEbEEZZNS1_14partition_implILS5_6ELb0ES3_mN6thrust23THRUST_200600_302600_NS6detail15normal_iteratorINSA_10device_ptrIdEEEEPS6_SG_NS0_5tupleIJSF_S6_EEENSH_IJSG_SG_EEES6_PlJNSB_9not_fun_tI7is_evenIdEEEEEE10hipError_tPvRmT3_T4_T5_T6_T7_T9_mT8_P12ihipStream_tbDpT10_ENKUlT_T0_E_clISt17integral_constantIbLb0EES18_EEDaS13_S14_EUlS13_E_NS1_11comp_targetILNS1_3genE8ELNS1_11target_archE1030ELNS1_3gpuE2ELNS1_3repE0EEENS1_30default_config_static_selectorELNS0_4arch9wavefront6targetE0EEEvT1_.uses_flat_scratch, 0
	.set _ZN7rocprim17ROCPRIM_400000_NS6detail17trampoline_kernelINS0_14default_configENS1_25partition_config_selectorILNS1_17partition_subalgoE6EdNS0_10empty_typeEbEEZZNS1_14partition_implILS5_6ELb0ES3_mN6thrust23THRUST_200600_302600_NS6detail15normal_iteratorINSA_10device_ptrIdEEEEPS6_SG_NS0_5tupleIJSF_S6_EEENSH_IJSG_SG_EEES6_PlJNSB_9not_fun_tI7is_evenIdEEEEEE10hipError_tPvRmT3_T4_T5_T6_T7_T9_mT8_P12ihipStream_tbDpT10_ENKUlT_T0_E_clISt17integral_constantIbLb0EES18_EEDaS13_S14_EUlS13_E_NS1_11comp_targetILNS1_3genE8ELNS1_11target_archE1030ELNS1_3gpuE2ELNS1_3repE0EEENS1_30default_config_static_selectorELNS0_4arch9wavefront6targetE0EEEvT1_.has_dyn_sized_stack, 0
	.set _ZN7rocprim17ROCPRIM_400000_NS6detail17trampoline_kernelINS0_14default_configENS1_25partition_config_selectorILNS1_17partition_subalgoE6EdNS0_10empty_typeEbEEZZNS1_14partition_implILS5_6ELb0ES3_mN6thrust23THRUST_200600_302600_NS6detail15normal_iteratorINSA_10device_ptrIdEEEEPS6_SG_NS0_5tupleIJSF_S6_EEENSH_IJSG_SG_EEES6_PlJNSB_9not_fun_tI7is_evenIdEEEEEE10hipError_tPvRmT3_T4_T5_T6_T7_T9_mT8_P12ihipStream_tbDpT10_ENKUlT_T0_E_clISt17integral_constantIbLb0EES18_EEDaS13_S14_EUlS13_E_NS1_11comp_targetILNS1_3genE8ELNS1_11target_archE1030ELNS1_3gpuE2ELNS1_3repE0EEENS1_30default_config_static_selectorELNS0_4arch9wavefront6targetE0EEEvT1_.has_recursion, 0
	.set _ZN7rocprim17ROCPRIM_400000_NS6detail17trampoline_kernelINS0_14default_configENS1_25partition_config_selectorILNS1_17partition_subalgoE6EdNS0_10empty_typeEbEEZZNS1_14partition_implILS5_6ELb0ES3_mN6thrust23THRUST_200600_302600_NS6detail15normal_iteratorINSA_10device_ptrIdEEEEPS6_SG_NS0_5tupleIJSF_S6_EEENSH_IJSG_SG_EEES6_PlJNSB_9not_fun_tI7is_evenIdEEEEEE10hipError_tPvRmT3_T4_T5_T6_T7_T9_mT8_P12ihipStream_tbDpT10_ENKUlT_T0_E_clISt17integral_constantIbLb0EES18_EEDaS13_S14_EUlS13_E_NS1_11comp_targetILNS1_3genE8ELNS1_11target_archE1030ELNS1_3gpuE2ELNS1_3repE0EEENS1_30default_config_static_selectorELNS0_4arch9wavefront6targetE0EEEvT1_.has_indirect_call, 0
	.section	.AMDGPU.csdata,"",@progbits
; Kernel info:
; codeLenInByte = 0
; TotalNumSgprs: 0
; NumVgprs: 0
; ScratchSize: 0
; MemoryBound: 0
; FloatMode: 240
; IeeeMode: 1
; LDSByteSize: 0 bytes/workgroup (compile time only)
; SGPRBlocks: 0
; VGPRBlocks: 0
; NumSGPRsForWavesPerEU: 1
; NumVGPRsForWavesPerEU: 1
; Occupancy: 16
; WaveLimiterHint : 0
; COMPUTE_PGM_RSRC2:SCRATCH_EN: 0
; COMPUTE_PGM_RSRC2:USER_SGPR: 2
; COMPUTE_PGM_RSRC2:TRAP_HANDLER: 0
; COMPUTE_PGM_RSRC2:TGID_X_EN: 1
; COMPUTE_PGM_RSRC2:TGID_Y_EN: 0
; COMPUTE_PGM_RSRC2:TGID_Z_EN: 0
; COMPUTE_PGM_RSRC2:TIDIG_COMP_CNT: 0
	.section	.text._ZN7rocprim17ROCPRIM_400000_NS6detail17trampoline_kernelINS0_14default_configENS1_25partition_config_selectorILNS1_17partition_subalgoE6EdNS0_10empty_typeEbEEZZNS1_14partition_implILS5_6ELb0ES3_mN6thrust23THRUST_200600_302600_NS6detail15normal_iteratorINSA_10device_ptrIdEEEEPS6_SG_NS0_5tupleIJSF_S6_EEENSH_IJSG_SG_EEES6_PlJNSB_9not_fun_tI7is_evenIdEEEEEE10hipError_tPvRmT3_T4_T5_T6_T7_T9_mT8_P12ihipStream_tbDpT10_ENKUlT_T0_E_clISt17integral_constantIbLb1EES18_EEDaS13_S14_EUlS13_E_NS1_11comp_targetILNS1_3genE0ELNS1_11target_archE4294967295ELNS1_3gpuE0ELNS1_3repE0EEENS1_30default_config_static_selectorELNS0_4arch9wavefront6targetE0EEEvT1_,"axG",@progbits,_ZN7rocprim17ROCPRIM_400000_NS6detail17trampoline_kernelINS0_14default_configENS1_25partition_config_selectorILNS1_17partition_subalgoE6EdNS0_10empty_typeEbEEZZNS1_14partition_implILS5_6ELb0ES3_mN6thrust23THRUST_200600_302600_NS6detail15normal_iteratorINSA_10device_ptrIdEEEEPS6_SG_NS0_5tupleIJSF_S6_EEENSH_IJSG_SG_EEES6_PlJNSB_9not_fun_tI7is_evenIdEEEEEE10hipError_tPvRmT3_T4_T5_T6_T7_T9_mT8_P12ihipStream_tbDpT10_ENKUlT_T0_E_clISt17integral_constantIbLb1EES18_EEDaS13_S14_EUlS13_E_NS1_11comp_targetILNS1_3genE0ELNS1_11target_archE4294967295ELNS1_3gpuE0ELNS1_3repE0EEENS1_30default_config_static_selectorELNS0_4arch9wavefront6targetE0EEEvT1_,comdat
	.protected	_ZN7rocprim17ROCPRIM_400000_NS6detail17trampoline_kernelINS0_14default_configENS1_25partition_config_selectorILNS1_17partition_subalgoE6EdNS0_10empty_typeEbEEZZNS1_14partition_implILS5_6ELb0ES3_mN6thrust23THRUST_200600_302600_NS6detail15normal_iteratorINSA_10device_ptrIdEEEEPS6_SG_NS0_5tupleIJSF_S6_EEENSH_IJSG_SG_EEES6_PlJNSB_9not_fun_tI7is_evenIdEEEEEE10hipError_tPvRmT3_T4_T5_T6_T7_T9_mT8_P12ihipStream_tbDpT10_ENKUlT_T0_E_clISt17integral_constantIbLb1EES18_EEDaS13_S14_EUlS13_E_NS1_11comp_targetILNS1_3genE0ELNS1_11target_archE4294967295ELNS1_3gpuE0ELNS1_3repE0EEENS1_30default_config_static_selectorELNS0_4arch9wavefront6targetE0EEEvT1_ ; -- Begin function _ZN7rocprim17ROCPRIM_400000_NS6detail17trampoline_kernelINS0_14default_configENS1_25partition_config_selectorILNS1_17partition_subalgoE6EdNS0_10empty_typeEbEEZZNS1_14partition_implILS5_6ELb0ES3_mN6thrust23THRUST_200600_302600_NS6detail15normal_iteratorINSA_10device_ptrIdEEEEPS6_SG_NS0_5tupleIJSF_S6_EEENSH_IJSG_SG_EEES6_PlJNSB_9not_fun_tI7is_evenIdEEEEEE10hipError_tPvRmT3_T4_T5_T6_T7_T9_mT8_P12ihipStream_tbDpT10_ENKUlT_T0_E_clISt17integral_constantIbLb1EES18_EEDaS13_S14_EUlS13_E_NS1_11comp_targetILNS1_3genE0ELNS1_11target_archE4294967295ELNS1_3gpuE0ELNS1_3repE0EEENS1_30default_config_static_selectorELNS0_4arch9wavefront6targetE0EEEvT1_
	.globl	_ZN7rocprim17ROCPRIM_400000_NS6detail17trampoline_kernelINS0_14default_configENS1_25partition_config_selectorILNS1_17partition_subalgoE6EdNS0_10empty_typeEbEEZZNS1_14partition_implILS5_6ELb0ES3_mN6thrust23THRUST_200600_302600_NS6detail15normal_iteratorINSA_10device_ptrIdEEEEPS6_SG_NS0_5tupleIJSF_S6_EEENSH_IJSG_SG_EEES6_PlJNSB_9not_fun_tI7is_evenIdEEEEEE10hipError_tPvRmT3_T4_T5_T6_T7_T9_mT8_P12ihipStream_tbDpT10_ENKUlT_T0_E_clISt17integral_constantIbLb1EES18_EEDaS13_S14_EUlS13_E_NS1_11comp_targetILNS1_3genE0ELNS1_11target_archE4294967295ELNS1_3gpuE0ELNS1_3repE0EEENS1_30default_config_static_selectorELNS0_4arch9wavefront6targetE0EEEvT1_
	.p2align	8
	.type	_ZN7rocprim17ROCPRIM_400000_NS6detail17trampoline_kernelINS0_14default_configENS1_25partition_config_selectorILNS1_17partition_subalgoE6EdNS0_10empty_typeEbEEZZNS1_14partition_implILS5_6ELb0ES3_mN6thrust23THRUST_200600_302600_NS6detail15normal_iteratorINSA_10device_ptrIdEEEEPS6_SG_NS0_5tupleIJSF_S6_EEENSH_IJSG_SG_EEES6_PlJNSB_9not_fun_tI7is_evenIdEEEEEE10hipError_tPvRmT3_T4_T5_T6_T7_T9_mT8_P12ihipStream_tbDpT10_ENKUlT_T0_E_clISt17integral_constantIbLb1EES18_EEDaS13_S14_EUlS13_E_NS1_11comp_targetILNS1_3genE0ELNS1_11target_archE4294967295ELNS1_3gpuE0ELNS1_3repE0EEENS1_30default_config_static_selectorELNS0_4arch9wavefront6targetE0EEEvT1_,@function
_ZN7rocprim17ROCPRIM_400000_NS6detail17trampoline_kernelINS0_14default_configENS1_25partition_config_selectorILNS1_17partition_subalgoE6EdNS0_10empty_typeEbEEZZNS1_14partition_implILS5_6ELb0ES3_mN6thrust23THRUST_200600_302600_NS6detail15normal_iteratorINSA_10device_ptrIdEEEEPS6_SG_NS0_5tupleIJSF_S6_EEENSH_IJSG_SG_EEES6_PlJNSB_9not_fun_tI7is_evenIdEEEEEE10hipError_tPvRmT3_T4_T5_T6_T7_T9_mT8_P12ihipStream_tbDpT10_ENKUlT_T0_E_clISt17integral_constantIbLb1EES18_EEDaS13_S14_EUlS13_E_NS1_11comp_targetILNS1_3genE0ELNS1_11target_archE4294967295ELNS1_3gpuE0ELNS1_3repE0EEENS1_30default_config_static_selectorELNS0_4arch9wavefront6targetE0EEEvT1_: ; @_ZN7rocprim17ROCPRIM_400000_NS6detail17trampoline_kernelINS0_14default_configENS1_25partition_config_selectorILNS1_17partition_subalgoE6EdNS0_10empty_typeEbEEZZNS1_14partition_implILS5_6ELb0ES3_mN6thrust23THRUST_200600_302600_NS6detail15normal_iteratorINSA_10device_ptrIdEEEEPS6_SG_NS0_5tupleIJSF_S6_EEENSH_IJSG_SG_EEES6_PlJNSB_9not_fun_tI7is_evenIdEEEEEE10hipError_tPvRmT3_T4_T5_T6_T7_T9_mT8_P12ihipStream_tbDpT10_ENKUlT_T0_E_clISt17integral_constantIbLb1EES18_EEDaS13_S14_EUlS13_E_NS1_11comp_targetILNS1_3genE0ELNS1_11target_archE4294967295ELNS1_3gpuE0ELNS1_3repE0EEENS1_30default_config_static_selectorELNS0_4arch9wavefront6targetE0EEEvT1_
; %bb.0:
	.section	.rodata,"a",@progbits
	.p2align	6, 0x0
	.amdhsa_kernel _ZN7rocprim17ROCPRIM_400000_NS6detail17trampoline_kernelINS0_14default_configENS1_25partition_config_selectorILNS1_17partition_subalgoE6EdNS0_10empty_typeEbEEZZNS1_14partition_implILS5_6ELb0ES3_mN6thrust23THRUST_200600_302600_NS6detail15normal_iteratorINSA_10device_ptrIdEEEEPS6_SG_NS0_5tupleIJSF_S6_EEENSH_IJSG_SG_EEES6_PlJNSB_9not_fun_tI7is_evenIdEEEEEE10hipError_tPvRmT3_T4_T5_T6_T7_T9_mT8_P12ihipStream_tbDpT10_ENKUlT_T0_E_clISt17integral_constantIbLb1EES18_EEDaS13_S14_EUlS13_E_NS1_11comp_targetILNS1_3genE0ELNS1_11target_archE4294967295ELNS1_3gpuE0ELNS1_3repE0EEENS1_30default_config_static_selectorELNS0_4arch9wavefront6targetE0EEEvT1_
		.amdhsa_group_segment_fixed_size 0
		.amdhsa_private_segment_fixed_size 0
		.amdhsa_kernarg_size 128
		.amdhsa_user_sgpr_count 2
		.amdhsa_user_sgpr_dispatch_ptr 0
		.amdhsa_user_sgpr_queue_ptr 0
		.amdhsa_user_sgpr_kernarg_segment_ptr 1
		.amdhsa_user_sgpr_dispatch_id 0
		.amdhsa_user_sgpr_private_segment_size 0
		.amdhsa_wavefront_size32 1
		.amdhsa_uses_dynamic_stack 0
		.amdhsa_enable_private_segment 0
		.amdhsa_system_sgpr_workgroup_id_x 1
		.amdhsa_system_sgpr_workgroup_id_y 0
		.amdhsa_system_sgpr_workgroup_id_z 0
		.amdhsa_system_sgpr_workgroup_info 0
		.amdhsa_system_vgpr_workitem_id 0
		.amdhsa_next_free_vgpr 1
		.amdhsa_next_free_sgpr 1
		.amdhsa_reserve_vcc 0
		.amdhsa_float_round_mode_32 0
		.amdhsa_float_round_mode_16_64 0
		.amdhsa_float_denorm_mode_32 3
		.amdhsa_float_denorm_mode_16_64 3
		.amdhsa_fp16_overflow 0
		.amdhsa_workgroup_processor_mode 1
		.amdhsa_memory_ordered 1
		.amdhsa_forward_progress 1
		.amdhsa_inst_pref_size 0
		.amdhsa_round_robin_scheduling 0
		.amdhsa_exception_fp_ieee_invalid_op 0
		.amdhsa_exception_fp_denorm_src 0
		.amdhsa_exception_fp_ieee_div_zero 0
		.amdhsa_exception_fp_ieee_overflow 0
		.amdhsa_exception_fp_ieee_underflow 0
		.amdhsa_exception_fp_ieee_inexact 0
		.amdhsa_exception_int_div_zero 0
	.end_amdhsa_kernel
	.section	.text._ZN7rocprim17ROCPRIM_400000_NS6detail17trampoline_kernelINS0_14default_configENS1_25partition_config_selectorILNS1_17partition_subalgoE6EdNS0_10empty_typeEbEEZZNS1_14partition_implILS5_6ELb0ES3_mN6thrust23THRUST_200600_302600_NS6detail15normal_iteratorINSA_10device_ptrIdEEEEPS6_SG_NS0_5tupleIJSF_S6_EEENSH_IJSG_SG_EEES6_PlJNSB_9not_fun_tI7is_evenIdEEEEEE10hipError_tPvRmT3_T4_T5_T6_T7_T9_mT8_P12ihipStream_tbDpT10_ENKUlT_T0_E_clISt17integral_constantIbLb1EES18_EEDaS13_S14_EUlS13_E_NS1_11comp_targetILNS1_3genE0ELNS1_11target_archE4294967295ELNS1_3gpuE0ELNS1_3repE0EEENS1_30default_config_static_selectorELNS0_4arch9wavefront6targetE0EEEvT1_,"axG",@progbits,_ZN7rocprim17ROCPRIM_400000_NS6detail17trampoline_kernelINS0_14default_configENS1_25partition_config_selectorILNS1_17partition_subalgoE6EdNS0_10empty_typeEbEEZZNS1_14partition_implILS5_6ELb0ES3_mN6thrust23THRUST_200600_302600_NS6detail15normal_iteratorINSA_10device_ptrIdEEEEPS6_SG_NS0_5tupleIJSF_S6_EEENSH_IJSG_SG_EEES6_PlJNSB_9not_fun_tI7is_evenIdEEEEEE10hipError_tPvRmT3_T4_T5_T6_T7_T9_mT8_P12ihipStream_tbDpT10_ENKUlT_T0_E_clISt17integral_constantIbLb1EES18_EEDaS13_S14_EUlS13_E_NS1_11comp_targetILNS1_3genE0ELNS1_11target_archE4294967295ELNS1_3gpuE0ELNS1_3repE0EEENS1_30default_config_static_selectorELNS0_4arch9wavefront6targetE0EEEvT1_,comdat
.Lfunc_end541:
	.size	_ZN7rocprim17ROCPRIM_400000_NS6detail17trampoline_kernelINS0_14default_configENS1_25partition_config_selectorILNS1_17partition_subalgoE6EdNS0_10empty_typeEbEEZZNS1_14partition_implILS5_6ELb0ES3_mN6thrust23THRUST_200600_302600_NS6detail15normal_iteratorINSA_10device_ptrIdEEEEPS6_SG_NS0_5tupleIJSF_S6_EEENSH_IJSG_SG_EEES6_PlJNSB_9not_fun_tI7is_evenIdEEEEEE10hipError_tPvRmT3_T4_T5_T6_T7_T9_mT8_P12ihipStream_tbDpT10_ENKUlT_T0_E_clISt17integral_constantIbLb1EES18_EEDaS13_S14_EUlS13_E_NS1_11comp_targetILNS1_3genE0ELNS1_11target_archE4294967295ELNS1_3gpuE0ELNS1_3repE0EEENS1_30default_config_static_selectorELNS0_4arch9wavefront6targetE0EEEvT1_, .Lfunc_end541-_ZN7rocprim17ROCPRIM_400000_NS6detail17trampoline_kernelINS0_14default_configENS1_25partition_config_selectorILNS1_17partition_subalgoE6EdNS0_10empty_typeEbEEZZNS1_14partition_implILS5_6ELb0ES3_mN6thrust23THRUST_200600_302600_NS6detail15normal_iteratorINSA_10device_ptrIdEEEEPS6_SG_NS0_5tupleIJSF_S6_EEENSH_IJSG_SG_EEES6_PlJNSB_9not_fun_tI7is_evenIdEEEEEE10hipError_tPvRmT3_T4_T5_T6_T7_T9_mT8_P12ihipStream_tbDpT10_ENKUlT_T0_E_clISt17integral_constantIbLb1EES18_EEDaS13_S14_EUlS13_E_NS1_11comp_targetILNS1_3genE0ELNS1_11target_archE4294967295ELNS1_3gpuE0ELNS1_3repE0EEENS1_30default_config_static_selectorELNS0_4arch9wavefront6targetE0EEEvT1_
                                        ; -- End function
	.set _ZN7rocprim17ROCPRIM_400000_NS6detail17trampoline_kernelINS0_14default_configENS1_25partition_config_selectorILNS1_17partition_subalgoE6EdNS0_10empty_typeEbEEZZNS1_14partition_implILS5_6ELb0ES3_mN6thrust23THRUST_200600_302600_NS6detail15normal_iteratorINSA_10device_ptrIdEEEEPS6_SG_NS0_5tupleIJSF_S6_EEENSH_IJSG_SG_EEES6_PlJNSB_9not_fun_tI7is_evenIdEEEEEE10hipError_tPvRmT3_T4_T5_T6_T7_T9_mT8_P12ihipStream_tbDpT10_ENKUlT_T0_E_clISt17integral_constantIbLb1EES18_EEDaS13_S14_EUlS13_E_NS1_11comp_targetILNS1_3genE0ELNS1_11target_archE4294967295ELNS1_3gpuE0ELNS1_3repE0EEENS1_30default_config_static_selectorELNS0_4arch9wavefront6targetE0EEEvT1_.num_vgpr, 0
	.set _ZN7rocprim17ROCPRIM_400000_NS6detail17trampoline_kernelINS0_14default_configENS1_25partition_config_selectorILNS1_17partition_subalgoE6EdNS0_10empty_typeEbEEZZNS1_14partition_implILS5_6ELb0ES3_mN6thrust23THRUST_200600_302600_NS6detail15normal_iteratorINSA_10device_ptrIdEEEEPS6_SG_NS0_5tupleIJSF_S6_EEENSH_IJSG_SG_EEES6_PlJNSB_9not_fun_tI7is_evenIdEEEEEE10hipError_tPvRmT3_T4_T5_T6_T7_T9_mT8_P12ihipStream_tbDpT10_ENKUlT_T0_E_clISt17integral_constantIbLb1EES18_EEDaS13_S14_EUlS13_E_NS1_11comp_targetILNS1_3genE0ELNS1_11target_archE4294967295ELNS1_3gpuE0ELNS1_3repE0EEENS1_30default_config_static_selectorELNS0_4arch9wavefront6targetE0EEEvT1_.num_agpr, 0
	.set _ZN7rocprim17ROCPRIM_400000_NS6detail17trampoline_kernelINS0_14default_configENS1_25partition_config_selectorILNS1_17partition_subalgoE6EdNS0_10empty_typeEbEEZZNS1_14partition_implILS5_6ELb0ES3_mN6thrust23THRUST_200600_302600_NS6detail15normal_iteratorINSA_10device_ptrIdEEEEPS6_SG_NS0_5tupleIJSF_S6_EEENSH_IJSG_SG_EEES6_PlJNSB_9not_fun_tI7is_evenIdEEEEEE10hipError_tPvRmT3_T4_T5_T6_T7_T9_mT8_P12ihipStream_tbDpT10_ENKUlT_T0_E_clISt17integral_constantIbLb1EES18_EEDaS13_S14_EUlS13_E_NS1_11comp_targetILNS1_3genE0ELNS1_11target_archE4294967295ELNS1_3gpuE0ELNS1_3repE0EEENS1_30default_config_static_selectorELNS0_4arch9wavefront6targetE0EEEvT1_.numbered_sgpr, 0
	.set _ZN7rocprim17ROCPRIM_400000_NS6detail17trampoline_kernelINS0_14default_configENS1_25partition_config_selectorILNS1_17partition_subalgoE6EdNS0_10empty_typeEbEEZZNS1_14partition_implILS5_6ELb0ES3_mN6thrust23THRUST_200600_302600_NS6detail15normal_iteratorINSA_10device_ptrIdEEEEPS6_SG_NS0_5tupleIJSF_S6_EEENSH_IJSG_SG_EEES6_PlJNSB_9not_fun_tI7is_evenIdEEEEEE10hipError_tPvRmT3_T4_T5_T6_T7_T9_mT8_P12ihipStream_tbDpT10_ENKUlT_T0_E_clISt17integral_constantIbLb1EES18_EEDaS13_S14_EUlS13_E_NS1_11comp_targetILNS1_3genE0ELNS1_11target_archE4294967295ELNS1_3gpuE0ELNS1_3repE0EEENS1_30default_config_static_selectorELNS0_4arch9wavefront6targetE0EEEvT1_.num_named_barrier, 0
	.set _ZN7rocprim17ROCPRIM_400000_NS6detail17trampoline_kernelINS0_14default_configENS1_25partition_config_selectorILNS1_17partition_subalgoE6EdNS0_10empty_typeEbEEZZNS1_14partition_implILS5_6ELb0ES3_mN6thrust23THRUST_200600_302600_NS6detail15normal_iteratorINSA_10device_ptrIdEEEEPS6_SG_NS0_5tupleIJSF_S6_EEENSH_IJSG_SG_EEES6_PlJNSB_9not_fun_tI7is_evenIdEEEEEE10hipError_tPvRmT3_T4_T5_T6_T7_T9_mT8_P12ihipStream_tbDpT10_ENKUlT_T0_E_clISt17integral_constantIbLb1EES18_EEDaS13_S14_EUlS13_E_NS1_11comp_targetILNS1_3genE0ELNS1_11target_archE4294967295ELNS1_3gpuE0ELNS1_3repE0EEENS1_30default_config_static_selectorELNS0_4arch9wavefront6targetE0EEEvT1_.private_seg_size, 0
	.set _ZN7rocprim17ROCPRIM_400000_NS6detail17trampoline_kernelINS0_14default_configENS1_25partition_config_selectorILNS1_17partition_subalgoE6EdNS0_10empty_typeEbEEZZNS1_14partition_implILS5_6ELb0ES3_mN6thrust23THRUST_200600_302600_NS6detail15normal_iteratorINSA_10device_ptrIdEEEEPS6_SG_NS0_5tupleIJSF_S6_EEENSH_IJSG_SG_EEES6_PlJNSB_9not_fun_tI7is_evenIdEEEEEE10hipError_tPvRmT3_T4_T5_T6_T7_T9_mT8_P12ihipStream_tbDpT10_ENKUlT_T0_E_clISt17integral_constantIbLb1EES18_EEDaS13_S14_EUlS13_E_NS1_11comp_targetILNS1_3genE0ELNS1_11target_archE4294967295ELNS1_3gpuE0ELNS1_3repE0EEENS1_30default_config_static_selectorELNS0_4arch9wavefront6targetE0EEEvT1_.uses_vcc, 0
	.set _ZN7rocprim17ROCPRIM_400000_NS6detail17trampoline_kernelINS0_14default_configENS1_25partition_config_selectorILNS1_17partition_subalgoE6EdNS0_10empty_typeEbEEZZNS1_14partition_implILS5_6ELb0ES3_mN6thrust23THRUST_200600_302600_NS6detail15normal_iteratorINSA_10device_ptrIdEEEEPS6_SG_NS0_5tupleIJSF_S6_EEENSH_IJSG_SG_EEES6_PlJNSB_9not_fun_tI7is_evenIdEEEEEE10hipError_tPvRmT3_T4_T5_T6_T7_T9_mT8_P12ihipStream_tbDpT10_ENKUlT_T0_E_clISt17integral_constantIbLb1EES18_EEDaS13_S14_EUlS13_E_NS1_11comp_targetILNS1_3genE0ELNS1_11target_archE4294967295ELNS1_3gpuE0ELNS1_3repE0EEENS1_30default_config_static_selectorELNS0_4arch9wavefront6targetE0EEEvT1_.uses_flat_scratch, 0
	.set _ZN7rocprim17ROCPRIM_400000_NS6detail17trampoline_kernelINS0_14default_configENS1_25partition_config_selectorILNS1_17partition_subalgoE6EdNS0_10empty_typeEbEEZZNS1_14partition_implILS5_6ELb0ES3_mN6thrust23THRUST_200600_302600_NS6detail15normal_iteratorINSA_10device_ptrIdEEEEPS6_SG_NS0_5tupleIJSF_S6_EEENSH_IJSG_SG_EEES6_PlJNSB_9not_fun_tI7is_evenIdEEEEEE10hipError_tPvRmT3_T4_T5_T6_T7_T9_mT8_P12ihipStream_tbDpT10_ENKUlT_T0_E_clISt17integral_constantIbLb1EES18_EEDaS13_S14_EUlS13_E_NS1_11comp_targetILNS1_3genE0ELNS1_11target_archE4294967295ELNS1_3gpuE0ELNS1_3repE0EEENS1_30default_config_static_selectorELNS0_4arch9wavefront6targetE0EEEvT1_.has_dyn_sized_stack, 0
	.set _ZN7rocprim17ROCPRIM_400000_NS6detail17trampoline_kernelINS0_14default_configENS1_25partition_config_selectorILNS1_17partition_subalgoE6EdNS0_10empty_typeEbEEZZNS1_14partition_implILS5_6ELb0ES3_mN6thrust23THRUST_200600_302600_NS6detail15normal_iteratorINSA_10device_ptrIdEEEEPS6_SG_NS0_5tupleIJSF_S6_EEENSH_IJSG_SG_EEES6_PlJNSB_9not_fun_tI7is_evenIdEEEEEE10hipError_tPvRmT3_T4_T5_T6_T7_T9_mT8_P12ihipStream_tbDpT10_ENKUlT_T0_E_clISt17integral_constantIbLb1EES18_EEDaS13_S14_EUlS13_E_NS1_11comp_targetILNS1_3genE0ELNS1_11target_archE4294967295ELNS1_3gpuE0ELNS1_3repE0EEENS1_30default_config_static_selectorELNS0_4arch9wavefront6targetE0EEEvT1_.has_recursion, 0
	.set _ZN7rocprim17ROCPRIM_400000_NS6detail17trampoline_kernelINS0_14default_configENS1_25partition_config_selectorILNS1_17partition_subalgoE6EdNS0_10empty_typeEbEEZZNS1_14partition_implILS5_6ELb0ES3_mN6thrust23THRUST_200600_302600_NS6detail15normal_iteratorINSA_10device_ptrIdEEEEPS6_SG_NS0_5tupleIJSF_S6_EEENSH_IJSG_SG_EEES6_PlJNSB_9not_fun_tI7is_evenIdEEEEEE10hipError_tPvRmT3_T4_T5_T6_T7_T9_mT8_P12ihipStream_tbDpT10_ENKUlT_T0_E_clISt17integral_constantIbLb1EES18_EEDaS13_S14_EUlS13_E_NS1_11comp_targetILNS1_3genE0ELNS1_11target_archE4294967295ELNS1_3gpuE0ELNS1_3repE0EEENS1_30default_config_static_selectorELNS0_4arch9wavefront6targetE0EEEvT1_.has_indirect_call, 0
	.section	.AMDGPU.csdata,"",@progbits
; Kernel info:
; codeLenInByte = 0
; TotalNumSgprs: 0
; NumVgprs: 0
; ScratchSize: 0
; MemoryBound: 0
; FloatMode: 240
; IeeeMode: 1
; LDSByteSize: 0 bytes/workgroup (compile time only)
; SGPRBlocks: 0
; VGPRBlocks: 0
; NumSGPRsForWavesPerEU: 1
; NumVGPRsForWavesPerEU: 1
; Occupancy: 16
; WaveLimiterHint : 0
; COMPUTE_PGM_RSRC2:SCRATCH_EN: 0
; COMPUTE_PGM_RSRC2:USER_SGPR: 2
; COMPUTE_PGM_RSRC2:TRAP_HANDLER: 0
; COMPUTE_PGM_RSRC2:TGID_X_EN: 1
; COMPUTE_PGM_RSRC2:TGID_Y_EN: 0
; COMPUTE_PGM_RSRC2:TGID_Z_EN: 0
; COMPUTE_PGM_RSRC2:TIDIG_COMP_CNT: 0
	.section	.text._ZN7rocprim17ROCPRIM_400000_NS6detail17trampoline_kernelINS0_14default_configENS1_25partition_config_selectorILNS1_17partition_subalgoE6EdNS0_10empty_typeEbEEZZNS1_14partition_implILS5_6ELb0ES3_mN6thrust23THRUST_200600_302600_NS6detail15normal_iteratorINSA_10device_ptrIdEEEEPS6_SG_NS0_5tupleIJSF_S6_EEENSH_IJSG_SG_EEES6_PlJNSB_9not_fun_tI7is_evenIdEEEEEE10hipError_tPvRmT3_T4_T5_T6_T7_T9_mT8_P12ihipStream_tbDpT10_ENKUlT_T0_E_clISt17integral_constantIbLb1EES18_EEDaS13_S14_EUlS13_E_NS1_11comp_targetILNS1_3genE5ELNS1_11target_archE942ELNS1_3gpuE9ELNS1_3repE0EEENS1_30default_config_static_selectorELNS0_4arch9wavefront6targetE0EEEvT1_,"axG",@progbits,_ZN7rocprim17ROCPRIM_400000_NS6detail17trampoline_kernelINS0_14default_configENS1_25partition_config_selectorILNS1_17partition_subalgoE6EdNS0_10empty_typeEbEEZZNS1_14partition_implILS5_6ELb0ES3_mN6thrust23THRUST_200600_302600_NS6detail15normal_iteratorINSA_10device_ptrIdEEEEPS6_SG_NS0_5tupleIJSF_S6_EEENSH_IJSG_SG_EEES6_PlJNSB_9not_fun_tI7is_evenIdEEEEEE10hipError_tPvRmT3_T4_T5_T6_T7_T9_mT8_P12ihipStream_tbDpT10_ENKUlT_T0_E_clISt17integral_constantIbLb1EES18_EEDaS13_S14_EUlS13_E_NS1_11comp_targetILNS1_3genE5ELNS1_11target_archE942ELNS1_3gpuE9ELNS1_3repE0EEENS1_30default_config_static_selectorELNS0_4arch9wavefront6targetE0EEEvT1_,comdat
	.protected	_ZN7rocprim17ROCPRIM_400000_NS6detail17trampoline_kernelINS0_14default_configENS1_25partition_config_selectorILNS1_17partition_subalgoE6EdNS0_10empty_typeEbEEZZNS1_14partition_implILS5_6ELb0ES3_mN6thrust23THRUST_200600_302600_NS6detail15normal_iteratorINSA_10device_ptrIdEEEEPS6_SG_NS0_5tupleIJSF_S6_EEENSH_IJSG_SG_EEES6_PlJNSB_9not_fun_tI7is_evenIdEEEEEE10hipError_tPvRmT3_T4_T5_T6_T7_T9_mT8_P12ihipStream_tbDpT10_ENKUlT_T0_E_clISt17integral_constantIbLb1EES18_EEDaS13_S14_EUlS13_E_NS1_11comp_targetILNS1_3genE5ELNS1_11target_archE942ELNS1_3gpuE9ELNS1_3repE0EEENS1_30default_config_static_selectorELNS0_4arch9wavefront6targetE0EEEvT1_ ; -- Begin function _ZN7rocprim17ROCPRIM_400000_NS6detail17trampoline_kernelINS0_14default_configENS1_25partition_config_selectorILNS1_17partition_subalgoE6EdNS0_10empty_typeEbEEZZNS1_14partition_implILS5_6ELb0ES3_mN6thrust23THRUST_200600_302600_NS6detail15normal_iteratorINSA_10device_ptrIdEEEEPS6_SG_NS0_5tupleIJSF_S6_EEENSH_IJSG_SG_EEES6_PlJNSB_9not_fun_tI7is_evenIdEEEEEE10hipError_tPvRmT3_T4_T5_T6_T7_T9_mT8_P12ihipStream_tbDpT10_ENKUlT_T0_E_clISt17integral_constantIbLb1EES18_EEDaS13_S14_EUlS13_E_NS1_11comp_targetILNS1_3genE5ELNS1_11target_archE942ELNS1_3gpuE9ELNS1_3repE0EEENS1_30default_config_static_selectorELNS0_4arch9wavefront6targetE0EEEvT1_
	.globl	_ZN7rocprim17ROCPRIM_400000_NS6detail17trampoline_kernelINS0_14default_configENS1_25partition_config_selectorILNS1_17partition_subalgoE6EdNS0_10empty_typeEbEEZZNS1_14partition_implILS5_6ELb0ES3_mN6thrust23THRUST_200600_302600_NS6detail15normal_iteratorINSA_10device_ptrIdEEEEPS6_SG_NS0_5tupleIJSF_S6_EEENSH_IJSG_SG_EEES6_PlJNSB_9not_fun_tI7is_evenIdEEEEEE10hipError_tPvRmT3_T4_T5_T6_T7_T9_mT8_P12ihipStream_tbDpT10_ENKUlT_T0_E_clISt17integral_constantIbLb1EES18_EEDaS13_S14_EUlS13_E_NS1_11comp_targetILNS1_3genE5ELNS1_11target_archE942ELNS1_3gpuE9ELNS1_3repE0EEENS1_30default_config_static_selectorELNS0_4arch9wavefront6targetE0EEEvT1_
	.p2align	8
	.type	_ZN7rocprim17ROCPRIM_400000_NS6detail17trampoline_kernelINS0_14default_configENS1_25partition_config_selectorILNS1_17partition_subalgoE6EdNS0_10empty_typeEbEEZZNS1_14partition_implILS5_6ELb0ES3_mN6thrust23THRUST_200600_302600_NS6detail15normal_iteratorINSA_10device_ptrIdEEEEPS6_SG_NS0_5tupleIJSF_S6_EEENSH_IJSG_SG_EEES6_PlJNSB_9not_fun_tI7is_evenIdEEEEEE10hipError_tPvRmT3_T4_T5_T6_T7_T9_mT8_P12ihipStream_tbDpT10_ENKUlT_T0_E_clISt17integral_constantIbLb1EES18_EEDaS13_S14_EUlS13_E_NS1_11comp_targetILNS1_3genE5ELNS1_11target_archE942ELNS1_3gpuE9ELNS1_3repE0EEENS1_30default_config_static_selectorELNS0_4arch9wavefront6targetE0EEEvT1_,@function
_ZN7rocprim17ROCPRIM_400000_NS6detail17trampoline_kernelINS0_14default_configENS1_25partition_config_selectorILNS1_17partition_subalgoE6EdNS0_10empty_typeEbEEZZNS1_14partition_implILS5_6ELb0ES3_mN6thrust23THRUST_200600_302600_NS6detail15normal_iteratorINSA_10device_ptrIdEEEEPS6_SG_NS0_5tupleIJSF_S6_EEENSH_IJSG_SG_EEES6_PlJNSB_9not_fun_tI7is_evenIdEEEEEE10hipError_tPvRmT3_T4_T5_T6_T7_T9_mT8_P12ihipStream_tbDpT10_ENKUlT_T0_E_clISt17integral_constantIbLb1EES18_EEDaS13_S14_EUlS13_E_NS1_11comp_targetILNS1_3genE5ELNS1_11target_archE942ELNS1_3gpuE9ELNS1_3repE0EEENS1_30default_config_static_selectorELNS0_4arch9wavefront6targetE0EEEvT1_: ; @_ZN7rocprim17ROCPRIM_400000_NS6detail17trampoline_kernelINS0_14default_configENS1_25partition_config_selectorILNS1_17partition_subalgoE6EdNS0_10empty_typeEbEEZZNS1_14partition_implILS5_6ELb0ES3_mN6thrust23THRUST_200600_302600_NS6detail15normal_iteratorINSA_10device_ptrIdEEEEPS6_SG_NS0_5tupleIJSF_S6_EEENSH_IJSG_SG_EEES6_PlJNSB_9not_fun_tI7is_evenIdEEEEEE10hipError_tPvRmT3_T4_T5_T6_T7_T9_mT8_P12ihipStream_tbDpT10_ENKUlT_T0_E_clISt17integral_constantIbLb1EES18_EEDaS13_S14_EUlS13_E_NS1_11comp_targetILNS1_3genE5ELNS1_11target_archE942ELNS1_3gpuE9ELNS1_3repE0EEENS1_30default_config_static_selectorELNS0_4arch9wavefront6targetE0EEEvT1_
; %bb.0:
	.section	.rodata,"a",@progbits
	.p2align	6, 0x0
	.amdhsa_kernel _ZN7rocprim17ROCPRIM_400000_NS6detail17trampoline_kernelINS0_14default_configENS1_25partition_config_selectorILNS1_17partition_subalgoE6EdNS0_10empty_typeEbEEZZNS1_14partition_implILS5_6ELb0ES3_mN6thrust23THRUST_200600_302600_NS6detail15normal_iteratorINSA_10device_ptrIdEEEEPS6_SG_NS0_5tupleIJSF_S6_EEENSH_IJSG_SG_EEES6_PlJNSB_9not_fun_tI7is_evenIdEEEEEE10hipError_tPvRmT3_T4_T5_T6_T7_T9_mT8_P12ihipStream_tbDpT10_ENKUlT_T0_E_clISt17integral_constantIbLb1EES18_EEDaS13_S14_EUlS13_E_NS1_11comp_targetILNS1_3genE5ELNS1_11target_archE942ELNS1_3gpuE9ELNS1_3repE0EEENS1_30default_config_static_selectorELNS0_4arch9wavefront6targetE0EEEvT1_
		.amdhsa_group_segment_fixed_size 0
		.amdhsa_private_segment_fixed_size 0
		.amdhsa_kernarg_size 128
		.amdhsa_user_sgpr_count 2
		.amdhsa_user_sgpr_dispatch_ptr 0
		.amdhsa_user_sgpr_queue_ptr 0
		.amdhsa_user_sgpr_kernarg_segment_ptr 1
		.amdhsa_user_sgpr_dispatch_id 0
		.amdhsa_user_sgpr_private_segment_size 0
		.amdhsa_wavefront_size32 1
		.amdhsa_uses_dynamic_stack 0
		.amdhsa_enable_private_segment 0
		.amdhsa_system_sgpr_workgroup_id_x 1
		.amdhsa_system_sgpr_workgroup_id_y 0
		.amdhsa_system_sgpr_workgroup_id_z 0
		.amdhsa_system_sgpr_workgroup_info 0
		.amdhsa_system_vgpr_workitem_id 0
		.amdhsa_next_free_vgpr 1
		.amdhsa_next_free_sgpr 1
		.amdhsa_reserve_vcc 0
		.amdhsa_float_round_mode_32 0
		.amdhsa_float_round_mode_16_64 0
		.amdhsa_float_denorm_mode_32 3
		.amdhsa_float_denorm_mode_16_64 3
		.amdhsa_fp16_overflow 0
		.amdhsa_workgroup_processor_mode 1
		.amdhsa_memory_ordered 1
		.amdhsa_forward_progress 1
		.amdhsa_inst_pref_size 0
		.amdhsa_round_robin_scheduling 0
		.amdhsa_exception_fp_ieee_invalid_op 0
		.amdhsa_exception_fp_denorm_src 0
		.amdhsa_exception_fp_ieee_div_zero 0
		.amdhsa_exception_fp_ieee_overflow 0
		.amdhsa_exception_fp_ieee_underflow 0
		.amdhsa_exception_fp_ieee_inexact 0
		.amdhsa_exception_int_div_zero 0
	.end_amdhsa_kernel
	.section	.text._ZN7rocprim17ROCPRIM_400000_NS6detail17trampoline_kernelINS0_14default_configENS1_25partition_config_selectorILNS1_17partition_subalgoE6EdNS0_10empty_typeEbEEZZNS1_14partition_implILS5_6ELb0ES3_mN6thrust23THRUST_200600_302600_NS6detail15normal_iteratorINSA_10device_ptrIdEEEEPS6_SG_NS0_5tupleIJSF_S6_EEENSH_IJSG_SG_EEES6_PlJNSB_9not_fun_tI7is_evenIdEEEEEE10hipError_tPvRmT3_T4_T5_T6_T7_T9_mT8_P12ihipStream_tbDpT10_ENKUlT_T0_E_clISt17integral_constantIbLb1EES18_EEDaS13_S14_EUlS13_E_NS1_11comp_targetILNS1_3genE5ELNS1_11target_archE942ELNS1_3gpuE9ELNS1_3repE0EEENS1_30default_config_static_selectorELNS0_4arch9wavefront6targetE0EEEvT1_,"axG",@progbits,_ZN7rocprim17ROCPRIM_400000_NS6detail17trampoline_kernelINS0_14default_configENS1_25partition_config_selectorILNS1_17partition_subalgoE6EdNS0_10empty_typeEbEEZZNS1_14partition_implILS5_6ELb0ES3_mN6thrust23THRUST_200600_302600_NS6detail15normal_iteratorINSA_10device_ptrIdEEEEPS6_SG_NS0_5tupleIJSF_S6_EEENSH_IJSG_SG_EEES6_PlJNSB_9not_fun_tI7is_evenIdEEEEEE10hipError_tPvRmT3_T4_T5_T6_T7_T9_mT8_P12ihipStream_tbDpT10_ENKUlT_T0_E_clISt17integral_constantIbLb1EES18_EEDaS13_S14_EUlS13_E_NS1_11comp_targetILNS1_3genE5ELNS1_11target_archE942ELNS1_3gpuE9ELNS1_3repE0EEENS1_30default_config_static_selectorELNS0_4arch9wavefront6targetE0EEEvT1_,comdat
.Lfunc_end542:
	.size	_ZN7rocprim17ROCPRIM_400000_NS6detail17trampoline_kernelINS0_14default_configENS1_25partition_config_selectorILNS1_17partition_subalgoE6EdNS0_10empty_typeEbEEZZNS1_14partition_implILS5_6ELb0ES3_mN6thrust23THRUST_200600_302600_NS6detail15normal_iteratorINSA_10device_ptrIdEEEEPS6_SG_NS0_5tupleIJSF_S6_EEENSH_IJSG_SG_EEES6_PlJNSB_9not_fun_tI7is_evenIdEEEEEE10hipError_tPvRmT3_T4_T5_T6_T7_T9_mT8_P12ihipStream_tbDpT10_ENKUlT_T0_E_clISt17integral_constantIbLb1EES18_EEDaS13_S14_EUlS13_E_NS1_11comp_targetILNS1_3genE5ELNS1_11target_archE942ELNS1_3gpuE9ELNS1_3repE0EEENS1_30default_config_static_selectorELNS0_4arch9wavefront6targetE0EEEvT1_, .Lfunc_end542-_ZN7rocprim17ROCPRIM_400000_NS6detail17trampoline_kernelINS0_14default_configENS1_25partition_config_selectorILNS1_17partition_subalgoE6EdNS0_10empty_typeEbEEZZNS1_14partition_implILS5_6ELb0ES3_mN6thrust23THRUST_200600_302600_NS6detail15normal_iteratorINSA_10device_ptrIdEEEEPS6_SG_NS0_5tupleIJSF_S6_EEENSH_IJSG_SG_EEES6_PlJNSB_9not_fun_tI7is_evenIdEEEEEE10hipError_tPvRmT3_T4_T5_T6_T7_T9_mT8_P12ihipStream_tbDpT10_ENKUlT_T0_E_clISt17integral_constantIbLb1EES18_EEDaS13_S14_EUlS13_E_NS1_11comp_targetILNS1_3genE5ELNS1_11target_archE942ELNS1_3gpuE9ELNS1_3repE0EEENS1_30default_config_static_selectorELNS0_4arch9wavefront6targetE0EEEvT1_
                                        ; -- End function
	.set _ZN7rocprim17ROCPRIM_400000_NS6detail17trampoline_kernelINS0_14default_configENS1_25partition_config_selectorILNS1_17partition_subalgoE6EdNS0_10empty_typeEbEEZZNS1_14partition_implILS5_6ELb0ES3_mN6thrust23THRUST_200600_302600_NS6detail15normal_iteratorINSA_10device_ptrIdEEEEPS6_SG_NS0_5tupleIJSF_S6_EEENSH_IJSG_SG_EEES6_PlJNSB_9not_fun_tI7is_evenIdEEEEEE10hipError_tPvRmT3_T4_T5_T6_T7_T9_mT8_P12ihipStream_tbDpT10_ENKUlT_T0_E_clISt17integral_constantIbLb1EES18_EEDaS13_S14_EUlS13_E_NS1_11comp_targetILNS1_3genE5ELNS1_11target_archE942ELNS1_3gpuE9ELNS1_3repE0EEENS1_30default_config_static_selectorELNS0_4arch9wavefront6targetE0EEEvT1_.num_vgpr, 0
	.set _ZN7rocprim17ROCPRIM_400000_NS6detail17trampoline_kernelINS0_14default_configENS1_25partition_config_selectorILNS1_17partition_subalgoE6EdNS0_10empty_typeEbEEZZNS1_14partition_implILS5_6ELb0ES3_mN6thrust23THRUST_200600_302600_NS6detail15normal_iteratorINSA_10device_ptrIdEEEEPS6_SG_NS0_5tupleIJSF_S6_EEENSH_IJSG_SG_EEES6_PlJNSB_9not_fun_tI7is_evenIdEEEEEE10hipError_tPvRmT3_T4_T5_T6_T7_T9_mT8_P12ihipStream_tbDpT10_ENKUlT_T0_E_clISt17integral_constantIbLb1EES18_EEDaS13_S14_EUlS13_E_NS1_11comp_targetILNS1_3genE5ELNS1_11target_archE942ELNS1_3gpuE9ELNS1_3repE0EEENS1_30default_config_static_selectorELNS0_4arch9wavefront6targetE0EEEvT1_.num_agpr, 0
	.set _ZN7rocprim17ROCPRIM_400000_NS6detail17trampoline_kernelINS0_14default_configENS1_25partition_config_selectorILNS1_17partition_subalgoE6EdNS0_10empty_typeEbEEZZNS1_14partition_implILS5_6ELb0ES3_mN6thrust23THRUST_200600_302600_NS6detail15normal_iteratorINSA_10device_ptrIdEEEEPS6_SG_NS0_5tupleIJSF_S6_EEENSH_IJSG_SG_EEES6_PlJNSB_9not_fun_tI7is_evenIdEEEEEE10hipError_tPvRmT3_T4_T5_T6_T7_T9_mT8_P12ihipStream_tbDpT10_ENKUlT_T0_E_clISt17integral_constantIbLb1EES18_EEDaS13_S14_EUlS13_E_NS1_11comp_targetILNS1_3genE5ELNS1_11target_archE942ELNS1_3gpuE9ELNS1_3repE0EEENS1_30default_config_static_selectorELNS0_4arch9wavefront6targetE0EEEvT1_.numbered_sgpr, 0
	.set _ZN7rocprim17ROCPRIM_400000_NS6detail17trampoline_kernelINS0_14default_configENS1_25partition_config_selectorILNS1_17partition_subalgoE6EdNS0_10empty_typeEbEEZZNS1_14partition_implILS5_6ELb0ES3_mN6thrust23THRUST_200600_302600_NS6detail15normal_iteratorINSA_10device_ptrIdEEEEPS6_SG_NS0_5tupleIJSF_S6_EEENSH_IJSG_SG_EEES6_PlJNSB_9not_fun_tI7is_evenIdEEEEEE10hipError_tPvRmT3_T4_T5_T6_T7_T9_mT8_P12ihipStream_tbDpT10_ENKUlT_T0_E_clISt17integral_constantIbLb1EES18_EEDaS13_S14_EUlS13_E_NS1_11comp_targetILNS1_3genE5ELNS1_11target_archE942ELNS1_3gpuE9ELNS1_3repE0EEENS1_30default_config_static_selectorELNS0_4arch9wavefront6targetE0EEEvT1_.num_named_barrier, 0
	.set _ZN7rocprim17ROCPRIM_400000_NS6detail17trampoline_kernelINS0_14default_configENS1_25partition_config_selectorILNS1_17partition_subalgoE6EdNS0_10empty_typeEbEEZZNS1_14partition_implILS5_6ELb0ES3_mN6thrust23THRUST_200600_302600_NS6detail15normal_iteratorINSA_10device_ptrIdEEEEPS6_SG_NS0_5tupleIJSF_S6_EEENSH_IJSG_SG_EEES6_PlJNSB_9not_fun_tI7is_evenIdEEEEEE10hipError_tPvRmT3_T4_T5_T6_T7_T9_mT8_P12ihipStream_tbDpT10_ENKUlT_T0_E_clISt17integral_constantIbLb1EES18_EEDaS13_S14_EUlS13_E_NS1_11comp_targetILNS1_3genE5ELNS1_11target_archE942ELNS1_3gpuE9ELNS1_3repE0EEENS1_30default_config_static_selectorELNS0_4arch9wavefront6targetE0EEEvT1_.private_seg_size, 0
	.set _ZN7rocprim17ROCPRIM_400000_NS6detail17trampoline_kernelINS0_14default_configENS1_25partition_config_selectorILNS1_17partition_subalgoE6EdNS0_10empty_typeEbEEZZNS1_14partition_implILS5_6ELb0ES3_mN6thrust23THRUST_200600_302600_NS6detail15normal_iteratorINSA_10device_ptrIdEEEEPS6_SG_NS0_5tupleIJSF_S6_EEENSH_IJSG_SG_EEES6_PlJNSB_9not_fun_tI7is_evenIdEEEEEE10hipError_tPvRmT3_T4_T5_T6_T7_T9_mT8_P12ihipStream_tbDpT10_ENKUlT_T0_E_clISt17integral_constantIbLb1EES18_EEDaS13_S14_EUlS13_E_NS1_11comp_targetILNS1_3genE5ELNS1_11target_archE942ELNS1_3gpuE9ELNS1_3repE0EEENS1_30default_config_static_selectorELNS0_4arch9wavefront6targetE0EEEvT1_.uses_vcc, 0
	.set _ZN7rocprim17ROCPRIM_400000_NS6detail17trampoline_kernelINS0_14default_configENS1_25partition_config_selectorILNS1_17partition_subalgoE6EdNS0_10empty_typeEbEEZZNS1_14partition_implILS5_6ELb0ES3_mN6thrust23THRUST_200600_302600_NS6detail15normal_iteratorINSA_10device_ptrIdEEEEPS6_SG_NS0_5tupleIJSF_S6_EEENSH_IJSG_SG_EEES6_PlJNSB_9not_fun_tI7is_evenIdEEEEEE10hipError_tPvRmT3_T4_T5_T6_T7_T9_mT8_P12ihipStream_tbDpT10_ENKUlT_T0_E_clISt17integral_constantIbLb1EES18_EEDaS13_S14_EUlS13_E_NS1_11comp_targetILNS1_3genE5ELNS1_11target_archE942ELNS1_3gpuE9ELNS1_3repE0EEENS1_30default_config_static_selectorELNS0_4arch9wavefront6targetE0EEEvT1_.uses_flat_scratch, 0
	.set _ZN7rocprim17ROCPRIM_400000_NS6detail17trampoline_kernelINS0_14default_configENS1_25partition_config_selectorILNS1_17partition_subalgoE6EdNS0_10empty_typeEbEEZZNS1_14partition_implILS5_6ELb0ES3_mN6thrust23THRUST_200600_302600_NS6detail15normal_iteratorINSA_10device_ptrIdEEEEPS6_SG_NS0_5tupleIJSF_S6_EEENSH_IJSG_SG_EEES6_PlJNSB_9not_fun_tI7is_evenIdEEEEEE10hipError_tPvRmT3_T4_T5_T6_T7_T9_mT8_P12ihipStream_tbDpT10_ENKUlT_T0_E_clISt17integral_constantIbLb1EES18_EEDaS13_S14_EUlS13_E_NS1_11comp_targetILNS1_3genE5ELNS1_11target_archE942ELNS1_3gpuE9ELNS1_3repE0EEENS1_30default_config_static_selectorELNS0_4arch9wavefront6targetE0EEEvT1_.has_dyn_sized_stack, 0
	.set _ZN7rocprim17ROCPRIM_400000_NS6detail17trampoline_kernelINS0_14default_configENS1_25partition_config_selectorILNS1_17partition_subalgoE6EdNS0_10empty_typeEbEEZZNS1_14partition_implILS5_6ELb0ES3_mN6thrust23THRUST_200600_302600_NS6detail15normal_iteratorINSA_10device_ptrIdEEEEPS6_SG_NS0_5tupleIJSF_S6_EEENSH_IJSG_SG_EEES6_PlJNSB_9not_fun_tI7is_evenIdEEEEEE10hipError_tPvRmT3_T4_T5_T6_T7_T9_mT8_P12ihipStream_tbDpT10_ENKUlT_T0_E_clISt17integral_constantIbLb1EES18_EEDaS13_S14_EUlS13_E_NS1_11comp_targetILNS1_3genE5ELNS1_11target_archE942ELNS1_3gpuE9ELNS1_3repE0EEENS1_30default_config_static_selectorELNS0_4arch9wavefront6targetE0EEEvT1_.has_recursion, 0
	.set _ZN7rocprim17ROCPRIM_400000_NS6detail17trampoline_kernelINS0_14default_configENS1_25partition_config_selectorILNS1_17partition_subalgoE6EdNS0_10empty_typeEbEEZZNS1_14partition_implILS5_6ELb0ES3_mN6thrust23THRUST_200600_302600_NS6detail15normal_iteratorINSA_10device_ptrIdEEEEPS6_SG_NS0_5tupleIJSF_S6_EEENSH_IJSG_SG_EEES6_PlJNSB_9not_fun_tI7is_evenIdEEEEEE10hipError_tPvRmT3_T4_T5_T6_T7_T9_mT8_P12ihipStream_tbDpT10_ENKUlT_T0_E_clISt17integral_constantIbLb1EES18_EEDaS13_S14_EUlS13_E_NS1_11comp_targetILNS1_3genE5ELNS1_11target_archE942ELNS1_3gpuE9ELNS1_3repE0EEENS1_30default_config_static_selectorELNS0_4arch9wavefront6targetE0EEEvT1_.has_indirect_call, 0
	.section	.AMDGPU.csdata,"",@progbits
; Kernel info:
; codeLenInByte = 0
; TotalNumSgprs: 0
; NumVgprs: 0
; ScratchSize: 0
; MemoryBound: 0
; FloatMode: 240
; IeeeMode: 1
; LDSByteSize: 0 bytes/workgroup (compile time only)
; SGPRBlocks: 0
; VGPRBlocks: 0
; NumSGPRsForWavesPerEU: 1
; NumVGPRsForWavesPerEU: 1
; Occupancy: 16
; WaveLimiterHint : 0
; COMPUTE_PGM_RSRC2:SCRATCH_EN: 0
; COMPUTE_PGM_RSRC2:USER_SGPR: 2
; COMPUTE_PGM_RSRC2:TRAP_HANDLER: 0
; COMPUTE_PGM_RSRC2:TGID_X_EN: 1
; COMPUTE_PGM_RSRC2:TGID_Y_EN: 0
; COMPUTE_PGM_RSRC2:TGID_Z_EN: 0
; COMPUTE_PGM_RSRC2:TIDIG_COMP_CNT: 0
	.section	.text._ZN7rocprim17ROCPRIM_400000_NS6detail17trampoline_kernelINS0_14default_configENS1_25partition_config_selectorILNS1_17partition_subalgoE6EdNS0_10empty_typeEbEEZZNS1_14partition_implILS5_6ELb0ES3_mN6thrust23THRUST_200600_302600_NS6detail15normal_iteratorINSA_10device_ptrIdEEEEPS6_SG_NS0_5tupleIJSF_S6_EEENSH_IJSG_SG_EEES6_PlJNSB_9not_fun_tI7is_evenIdEEEEEE10hipError_tPvRmT3_T4_T5_T6_T7_T9_mT8_P12ihipStream_tbDpT10_ENKUlT_T0_E_clISt17integral_constantIbLb1EES18_EEDaS13_S14_EUlS13_E_NS1_11comp_targetILNS1_3genE4ELNS1_11target_archE910ELNS1_3gpuE8ELNS1_3repE0EEENS1_30default_config_static_selectorELNS0_4arch9wavefront6targetE0EEEvT1_,"axG",@progbits,_ZN7rocprim17ROCPRIM_400000_NS6detail17trampoline_kernelINS0_14default_configENS1_25partition_config_selectorILNS1_17partition_subalgoE6EdNS0_10empty_typeEbEEZZNS1_14partition_implILS5_6ELb0ES3_mN6thrust23THRUST_200600_302600_NS6detail15normal_iteratorINSA_10device_ptrIdEEEEPS6_SG_NS0_5tupleIJSF_S6_EEENSH_IJSG_SG_EEES6_PlJNSB_9not_fun_tI7is_evenIdEEEEEE10hipError_tPvRmT3_T4_T5_T6_T7_T9_mT8_P12ihipStream_tbDpT10_ENKUlT_T0_E_clISt17integral_constantIbLb1EES18_EEDaS13_S14_EUlS13_E_NS1_11comp_targetILNS1_3genE4ELNS1_11target_archE910ELNS1_3gpuE8ELNS1_3repE0EEENS1_30default_config_static_selectorELNS0_4arch9wavefront6targetE0EEEvT1_,comdat
	.protected	_ZN7rocprim17ROCPRIM_400000_NS6detail17trampoline_kernelINS0_14default_configENS1_25partition_config_selectorILNS1_17partition_subalgoE6EdNS0_10empty_typeEbEEZZNS1_14partition_implILS5_6ELb0ES3_mN6thrust23THRUST_200600_302600_NS6detail15normal_iteratorINSA_10device_ptrIdEEEEPS6_SG_NS0_5tupleIJSF_S6_EEENSH_IJSG_SG_EEES6_PlJNSB_9not_fun_tI7is_evenIdEEEEEE10hipError_tPvRmT3_T4_T5_T6_T7_T9_mT8_P12ihipStream_tbDpT10_ENKUlT_T0_E_clISt17integral_constantIbLb1EES18_EEDaS13_S14_EUlS13_E_NS1_11comp_targetILNS1_3genE4ELNS1_11target_archE910ELNS1_3gpuE8ELNS1_3repE0EEENS1_30default_config_static_selectorELNS0_4arch9wavefront6targetE0EEEvT1_ ; -- Begin function _ZN7rocprim17ROCPRIM_400000_NS6detail17trampoline_kernelINS0_14default_configENS1_25partition_config_selectorILNS1_17partition_subalgoE6EdNS0_10empty_typeEbEEZZNS1_14partition_implILS5_6ELb0ES3_mN6thrust23THRUST_200600_302600_NS6detail15normal_iteratorINSA_10device_ptrIdEEEEPS6_SG_NS0_5tupleIJSF_S6_EEENSH_IJSG_SG_EEES6_PlJNSB_9not_fun_tI7is_evenIdEEEEEE10hipError_tPvRmT3_T4_T5_T6_T7_T9_mT8_P12ihipStream_tbDpT10_ENKUlT_T0_E_clISt17integral_constantIbLb1EES18_EEDaS13_S14_EUlS13_E_NS1_11comp_targetILNS1_3genE4ELNS1_11target_archE910ELNS1_3gpuE8ELNS1_3repE0EEENS1_30default_config_static_selectorELNS0_4arch9wavefront6targetE0EEEvT1_
	.globl	_ZN7rocprim17ROCPRIM_400000_NS6detail17trampoline_kernelINS0_14default_configENS1_25partition_config_selectorILNS1_17partition_subalgoE6EdNS0_10empty_typeEbEEZZNS1_14partition_implILS5_6ELb0ES3_mN6thrust23THRUST_200600_302600_NS6detail15normal_iteratorINSA_10device_ptrIdEEEEPS6_SG_NS0_5tupleIJSF_S6_EEENSH_IJSG_SG_EEES6_PlJNSB_9not_fun_tI7is_evenIdEEEEEE10hipError_tPvRmT3_T4_T5_T6_T7_T9_mT8_P12ihipStream_tbDpT10_ENKUlT_T0_E_clISt17integral_constantIbLb1EES18_EEDaS13_S14_EUlS13_E_NS1_11comp_targetILNS1_3genE4ELNS1_11target_archE910ELNS1_3gpuE8ELNS1_3repE0EEENS1_30default_config_static_selectorELNS0_4arch9wavefront6targetE0EEEvT1_
	.p2align	8
	.type	_ZN7rocprim17ROCPRIM_400000_NS6detail17trampoline_kernelINS0_14default_configENS1_25partition_config_selectorILNS1_17partition_subalgoE6EdNS0_10empty_typeEbEEZZNS1_14partition_implILS5_6ELb0ES3_mN6thrust23THRUST_200600_302600_NS6detail15normal_iteratorINSA_10device_ptrIdEEEEPS6_SG_NS0_5tupleIJSF_S6_EEENSH_IJSG_SG_EEES6_PlJNSB_9not_fun_tI7is_evenIdEEEEEE10hipError_tPvRmT3_T4_T5_T6_T7_T9_mT8_P12ihipStream_tbDpT10_ENKUlT_T0_E_clISt17integral_constantIbLb1EES18_EEDaS13_S14_EUlS13_E_NS1_11comp_targetILNS1_3genE4ELNS1_11target_archE910ELNS1_3gpuE8ELNS1_3repE0EEENS1_30default_config_static_selectorELNS0_4arch9wavefront6targetE0EEEvT1_,@function
_ZN7rocprim17ROCPRIM_400000_NS6detail17trampoline_kernelINS0_14default_configENS1_25partition_config_selectorILNS1_17partition_subalgoE6EdNS0_10empty_typeEbEEZZNS1_14partition_implILS5_6ELb0ES3_mN6thrust23THRUST_200600_302600_NS6detail15normal_iteratorINSA_10device_ptrIdEEEEPS6_SG_NS0_5tupleIJSF_S6_EEENSH_IJSG_SG_EEES6_PlJNSB_9not_fun_tI7is_evenIdEEEEEE10hipError_tPvRmT3_T4_T5_T6_T7_T9_mT8_P12ihipStream_tbDpT10_ENKUlT_T0_E_clISt17integral_constantIbLb1EES18_EEDaS13_S14_EUlS13_E_NS1_11comp_targetILNS1_3genE4ELNS1_11target_archE910ELNS1_3gpuE8ELNS1_3repE0EEENS1_30default_config_static_selectorELNS0_4arch9wavefront6targetE0EEEvT1_: ; @_ZN7rocprim17ROCPRIM_400000_NS6detail17trampoline_kernelINS0_14default_configENS1_25partition_config_selectorILNS1_17partition_subalgoE6EdNS0_10empty_typeEbEEZZNS1_14partition_implILS5_6ELb0ES3_mN6thrust23THRUST_200600_302600_NS6detail15normal_iteratorINSA_10device_ptrIdEEEEPS6_SG_NS0_5tupleIJSF_S6_EEENSH_IJSG_SG_EEES6_PlJNSB_9not_fun_tI7is_evenIdEEEEEE10hipError_tPvRmT3_T4_T5_T6_T7_T9_mT8_P12ihipStream_tbDpT10_ENKUlT_T0_E_clISt17integral_constantIbLb1EES18_EEDaS13_S14_EUlS13_E_NS1_11comp_targetILNS1_3genE4ELNS1_11target_archE910ELNS1_3gpuE8ELNS1_3repE0EEENS1_30default_config_static_selectorELNS0_4arch9wavefront6targetE0EEEvT1_
; %bb.0:
	.section	.rodata,"a",@progbits
	.p2align	6, 0x0
	.amdhsa_kernel _ZN7rocprim17ROCPRIM_400000_NS6detail17trampoline_kernelINS0_14default_configENS1_25partition_config_selectorILNS1_17partition_subalgoE6EdNS0_10empty_typeEbEEZZNS1_14partition_implILS5_6ELb0ES3_mN6thrust23THRUST_200600_302600_NS6detail15normal_iteratorINSA_10device_ptrIdEEEEPS6_SG_NS0_5tupleIJSF_S6_EEENSH_IJSG_SG_EEES6_PlJNSB_9not_fun_tI7is_evenIdEEEEEE10hipError_tPvRmT3_T4_T5_T6_T7_T9_mT8_P12ihipStream_tbDpT10_ENKUlT_T0_E_clISt17integral_constantIbLb1EES18_EEDaS13_S14_EUlS13_E_NS1_11comp_targetILNS1_3genE4ELNS1_11target_archE910ELNS1_3gpuE8ELNS1_3repE0EEENS1_30default_config_static_selectorELNS0_4arch9wavefront6targetE0EEEvT1_
		.amdhsa_group_segment_fixed_size 0
		.amdhsa_private_segment_fixed_size 0
		.amdhsa_kernarg_size 128
		.amdhsa_user_sgpr_count 2
		.amdhsa_user_sgpr_dispatch_ptr 0
		.amdhsa_user_sgpr_queue_ptr 0
		.amdhsa_user_sgpr_kernarg_segment_ptr 1
		.amdhsa_user_sgpr_dispatch_id 0
		.amdhsa_user_sgpr_private_segment_size 0
		.amdhsa_wavefront_size32 1
		.amdhsa_uses_dynamic_stack 0
		.amdhsa_enable_private_segment 0
		.amdhsa_system_sgpr_workgroup_id_x 1
		.amdhsa_system_sgpr_workgroup_id_y 0
		.amdhsa_system_sgpr_workgroup_id_z 0
		.amdhsa_system_sgpr_workgroup_info 0
		.amdhsa_system_vgpr_workitem_id 0
		.amdhsa_next_free_vgpr 1
		.amdhsa_next_free_sgpr 1
		.amdhsa_reserve_vcc 0
		.amdhsa_float_round_mode_32 0
		.amdhsa_float_round_mode_16_64 0
		.amdhsa_float_denorm_mode_32 3
		.amdhsa_float_denorm_mode_16_64 3
		.amdhsa_fp16_overflow 0
		.amdhsa_workgroup_processor_mode 1
		.amdhsa_memory_ordered 1
		.amdhsa_forward_progress 1
		.amdhsa_inst_pref_size 0
		.amdhsa_round_robin_scheduling 0
		.amdhsa_exception_fp_ieee_invalid_op 0
		.amdhsa_exception_fp_denorm_src 0
		.amdhsa_exception_fp_ieee_div_zero 0
		.amdhsa_exception_fp_ieee_overflow 0
		.amdhsa_exception_fp_ieee_underflow 0
		.amdhsa_exception_fp_ieee_inexact 0
		.amdhsa_exception_int_div_zero 0
	.end_amdhsa_kernel
	.section	.text._ZN7rocprim17ROCPRIM_400000_NS6detail17trampoline_kernelINS0_14default_configENS1_25partition_config_selectorILNS1_17partition_subalgoE6EdNS0_10empty_typeEbEEZZNS1_14partition_implILS5_6ELb0ES3_mN6thrust23THRUST_200600_302600_NS6detail15normal_iteratorINSA_10device_ptrIdEEEEPS6_SG_NS0_5tupleIJSF_S6_EEENSH_IJSG_SG_EEES6_PlJNSB_9not_fun_tI7is_evenIdEEEEEE10hipError_tPvRmT3_T4_T5_T6_T7_T9_mT8_P12ihipStream_tbDpT10_ENKUlT_T0_E_clISt17integral_constantIbLb1EES18_EEDaS13_S14_EUlS13_E_NS1_11comp_targetILNS1_3genE4ELNS1_11target_archE910ELNS1_3gpuE8ELNS1_3repE0EEENS1_30default_config_static_selectorELNS0_4arch9wavefront6targetE0EEEvT1_,"axG",@progbits,_ZN7rocprim17ROCPRIM_400000_NS6detail17trampoline_kernelINS0_14default_configENS1_25partition_config_selectorILNS1_17partition_subalgoE6EdNS0_10empty_typeEbEEZZNS1_14partition_implILS5_6ELb0ES3_mN6thrust23THRUST_200600_302600_NS6detail15normal_iteratorINSA_10device_ptrIdEEEEPS6_SG_NS0_5tupleIJSF_S6_EEENSH_IJSG_SG_EEES6_PlJNSB_9not_fun_tI7is_evenIdEEEEEE10hipError_tPvRmT3_T4_T5_T6_T7_T9_mT8_P12ihipStream_tbDpT10_ENKUlT_T0_E_clISt17integral_constantIbLb1EES18_EEDaS13_S14_EUlS13_E_NS1_11comp_targetILNS1_3genE4ELNS1_11target_archE910ELNS1_3gpuE8ELNS1_3repE0EEENS1_30default_config_static_selectorELNS0_4arch9wavefront6targetE0EEEvT1_,comdat
.Lfunc_end543:
	.size	_ZN7rocprim17ROCPRIM_400000_NS6detail17trampoline_kernelINS0_14default_configENS1_25partition_config_selectorILNS1_17partition_subalgoE6EdNS0_10empty_typeEbEEZZNS1_14partition_implILS5_6ELb0ES3_mN6thrust23THRUST_200600_302600_NS6detail15normal_iteratorINSA_10device_ptrIdEEEEPS6_SG_NS0_5tupleIJSF_S6_EEENSH_IJSG_SG_EEES6_PlJNSB_9not_fun_tI7is_evenIdEEEEEE10hipError_tPvRmT3_T4_T5_T6_T7_T9_mT8_P12ihipStream_tbDpT10_ENKUlT_T0_E_clISt17integral_constantIbLb1EES18_EEDaS13_S14_EUlS13_E_NS1_11comp_targetILNS1_3genE4ELNS1_11target_archE910ELNS1_3gpuE8ELNS1_3repE0EEENS1_30default_config_static_selectorELNS0_4arch9wavefront6targetE0EEEvT1_, .Lfunc_end543-_ZN7rocprim17ROCPRIM_400000_NS6detail17trampoline_kernelINS0_14default_configENS1_25partition_config_selectorILNS1_17partition_subalgoE6EdNS0_10empty_typeEbEEZZNS1_14partition_implILS5_6ELb0ES3_mN6thrust23THRUST_200600_302600_NS6detail15normal_iteratorINSA_10device_ptrIdEEEEPS6_SG_NS0_5tupleIJSF_S6_EEENSH_IJSG_SG_EEES6_PlJNSB_9not_fun_tI7is_evenIdEEEEEE10hipError_tPvRmT3_T4_T5_T6_T7_T9_mT8_P12ihipStream_tbDpT10_ENKUlT_T0_E_clISt17integral_constantIbLb1EES18_EEDaS13_S14_EUlS13_E_NS1_11comp_targetILNS1_3genE4ELNS1_11target_archE910ELNS1_3gpuE8ELNS1_3repE0EEENS1_30default_config_static_selectorELNS0_4arch9wavefront6targetE0EEEvT1_
                                        ; -- End function
	.set _ZN7rocprim17ROCPRIM_400000_NS6detail17trampoline_kernelINS0_14default_configENS1_25partition_config_selectorILNS1_17partition_subalgoE6EdNS0_10empty_typeEbEEZZNS1_14partition_implILS5_6ELb0ES3_mN6thrust23THRUST_200600_302600_NS6detail15normal_iteratorINSA_10device_ptrIdEEEEPS6_SG_NS0_5tupleIJSF_S6_EEENSH_IJSG_SG_EEES6_PlJNSB_9not_fun_tI7is_evenIdEEEEEE10hipError_tPvRmT3_T4_T5_T6_T7_T9_mT8_P12ihipStream_tbDpT10_ENKUlT_T0_E_clISt17integral_constantIbLb1EES18_EEDaS13_S14_EUlS13_E_NS1_11comp_targetILNS1_3genE4ELNS1_11target_archE910ELNS1_3gpuE8ELNS1_3repE0EEENS1_30default_config_static_selectorELNS0_4arch9wavefront6targetE0EEEvT1_.num_vgpr, 0
	.set _ZN7rocprim17ROCPRIM_400000_NS6detail17trampoline_kernelINS0_14default_configENS1_25partition_config_selectorILNS1_17partition_subalgoE6EdNS0_10empty_typeEbEEZZNS1_14partition_implILS5_6ELb0ES3_mN6thrust23THRUST_200600_302600_NS6detail15normal_iteratorINSA_10device_ptrIdEEEEPS6_SG_NS0_5tupleIJSF_S6_EEENSH_IJSG_SG_EEES6_PlJNSB_9not_fun_tI7is_evenIdEEEEEE10hipError_tPvRmT3_T4_T5_T6_T7_T9_mT8_P12ihipStream_tbDpT10_ENKUlT_T0_E_clISt17integral_constantIbLb1EES18_EEDaS13_S14_EUlS13_E_NS1_11comp_targetILNS1_3genE4ELNS1_11target_archE910ELNS1_3gpuE8ELNS1_3repE0EEENS1_30default_config_static_selectorELNS0_4arch9wavefront6targetE0EEEvT1_.num_agpr, 0
	.set _ZN7rocprim17ROCPRIM_400000_NS6detail17trampoline_kernelINS0_14default_configENS1_25partition_config_selectorILNS1_17partition_subalgoE6EdNS0_10empty_typeEbEEZZNS1_14partition_implILS5_6ELb0ES3_mN6thrust23THRUST_200600_302600_NS6detail15normal_iteratorINSA_10device_ptrIdEEEEPS6_SG_NS0_5tupleIJSF_S6_EEENSH_IJSG_SG_EEES6_PlJNSB_9not_fun_tI7is_evenIdEEEEEE10hipError_tPvRmT3_T4_T5_T6_T7_T9_mT8_P12ihipStream_tbDpT10_ENKUlT_T0_E_clISt17integral_constantIbLb1EES18_EEDaS13_S14_EUlS13_E_NS1_11comp_targetILNS1_3genE4ELNS1_11target_archE910ELNS1_3gpuE8ELNS1_3repE0EEENS1_30default_config_static_selectorELNS0_4arch9wavefront6targetE0EEEvT1_.numbered_sgpr, 0
	.set _ZN7rocprim17ROCPRIM_400000_NS6detail17trampoline_kernelINS0_14default_configENS1_25partition_config_selectorILNS1_17partition_subalgoE6EdNS0_10empty_typeEbEEZZNS1_14partition_implILS5_6ELb0ES3_mN6thrust23THRUST_200600_302600_NS6detail15normal_iteratorINSA_10device_ptrIdEEEEPS6_SG_NS0_5tupleIJSF_S6_EEENSH_IJSG_SG_EEES6_PlJNSB_9not_fun_tI7is_evenIdEEEEEE10hipError_tPvRmT3_T4_T5_T6_T7_T9_mT8_P12ihipStream_tbDpT10_ENKUlT_T0_E_clISt17integral_constantIbLb1EES18_EEDaS13_S14_EUlS13_E_NS1_11comp_targetILNS1_3genE4ELNS1_11target_archE910ELNS1_3gpuE8ELNS1_3repE0EEENS1_30default_config_static_selectorELNS0_4arch9wavefront6targetE0EEEvT1_.num_named_barrier, 0
	.set _ZN7rocprim17ROCPRIM_400000_NS6detail17trampoline_kernelINS0_14default_configENS1_25partition_config_selectorILNS1_17partition_subalgoE6EdNS0_10empty_typeEbEEZZNS1_14partition_implILS5_6ELb0ES3_mN6thrust23THRUST_200600_302600_NS6detail15normal_iteratorINSA_10device_ptrIdEEEEPS6_SG_NS0_5tupleIJSF_S6_EEENSH_IJSG_SG_EEES6_PlJNSB_9not_fun_tI7is_evenIdEEEEEE10hipError_tPvRmT3_T4_T5_T6_T7_T9_mT8_P12ihipStream_tbDpT10_ENKUlT_T0_E_clISt17integral_constantIbLb1EES18_EEDaS13_S14_EUlS13_E_NS1_11comp_targetILNS1_3genE4ELNS1_11target_archE910ELNS1_3gpuE8ELNS1_3repE0EEENS1_30default_config_static_selectorELNS0_4arch9wavefront6targetE0EEEvT1_.private_seg_size, 0
	.set _ZN7rocprim17ROCPRIM_400000_NS6detail17trampoline_kernelINS0_14default_configENS1_25partition_config_selectorILNS1_17partition_subalgoE6EdNS0_10empty_typeEbEEZZNS1_14partition_implILS5_6ELb0ES3_mN6thrust23THRUST_200600_302600_NS6detail15normal_iteratorINSA_10device_ptrIdEEEEPS6_SG_NS0_5tupleIJSF_S6_EEENSH_IJSG_SG_EEES6_PlJNSB_9not_fun_tI7is_evenIdEEEEEE10hipError_tPvRmT3_T4_T5_T6_T7_T9_mT8_P12ihipStream_tbDpT10_ENKUlT_T0_E_clISt17integral_constantIbLb1EES18_EEDaS13_S14_EUlS13_E_NS1_11comp_targetILNS1_3genE4ELNS1_11target_archE910ELNS1_3gpuE8ELNS1_3repE0EEENS1_30default_config_static_selectorELNS0_4arch9wavefront6targetE0EEEvT1_.uses_vcc, 0
	.set _ZN7rocprim17ROCPRIM_400000_NS6detail17trampoline_kernelINS0_14default_configENS1_25partition_config_selectorILNS1_17partition_subalgoE6EdNS0_10empty_typeEbEEZZNS1_14partition_implILS5_6ELb0ES3_mN6thrust23THRUST_200600_302600_NS6detail15normal_iteratorINSA_10device_ptrIdEEEEPS6_SG_NS0_5tupleIJSF_S6_EEENSH_IJSG_SG_EEES6_PlJNSB_9not_fun_tI7is_evenIdEEEEEE10hipError_tPvRmT3_T4_T5_T6_T7_T9_mT8_P12ihipStream_tbDpT10_ENKUlT_T0_E_clISt17integral_constantIbLb1EES18_EEDaS13_S14_EUlS13_E_NS1_11comp_targetILNS1_3genE4ELNS1_11target_archE910ELNS1_3gpuE8ELNS1_3repE0EEENS1_30default_config_static_selectorELNS0_4arch9wavefront6targetE0EEEvT1_.uses_flat_scratch, 0
	.set _ZN7rocprim17ROCPRIM_400000_NS6detail17trampoline_kernelINS0_14default_configENS1_25partition_config_selectorILNS1_17partition_subalgoE6EdNS0_10empty_typeEbEEZZNS1_14partition_implILS5_6ELb0ES3_mN6thrust23THRUST_200600_302600_NS6detail15normal_iteratorINSA_10device_ptrIdEEEEPS6_SG_NS0_5tupleIJSF_S6_EEENSH_IJSG_SG_EEES6_PlJNSB_9not_fun_tI7is_evenIdEEEEEE10hipError_tPvRmT3_T4_T5_T6_T7_T9_mT8_P12ihipStream_tbDpT10_ENKUlT_T0_E_clISt17integral_constantIbLb1EES18_EEDaS13_S14_EUlS13_E_NS1_11comp_targetILNS1_3genE4ELNS1_11target_archE910ELNS1_3gpuE8ELNS1_3repE0EEENS1_30default_config_static_selectorELNS0_4arch9wavefront6targetE0EEEvT1_.has_dyn_sized_stack, 0
	.set _ZN7rocprim17ROCPRIM_400000_NS6detail17trampoline_kernelINS0_14default_configENS1_25partition_config_selectorILNS1_17partition_subalgoE6EdNS0_10empty_typeEbEEZZNS1_14partition_implILS5_6ELb0ES3_mN6thrust23THRUST_200600_302600_NS6detail15normal_iteratorINSA_10device_ptrIdEEEEPS6_SG_NS0_5tupleIJSF_S6_EEENSH_IJSG_SG_EEES6_PlJNSB_9not_fun_tI7is_evenIdEEEEEE10hipError_tPvRmT3_T4_T5_T6_T7_T9_mT8_P12ihipStream_tbDpT10_ENKUlT_T0_E_clISt17integral_constantIbLb1EES18_EEDaS13_S14_EUlS13_E_NS1_11comp_targetILNS1_3genE4ELNS1_11target_archE910ELNS1_3gpuE8ELNS1_3repE0EEENS1_30default_config_static_selectorELNS0_4arch9wavefront6targetE0EEEvT1_.has_recursion, 0
	.set _ZN7rocprim17ROCPRIM_400000_NS6detail17trampoline_kernelINS0_14default_configENS1_25partition_config_selectorILNS1_17partition_subalgoE6EdNS0_10empty_typeEbEEZZNS1_14partition_implILS5_6ELb0ES3_mN6thrust23THRUST_200600_302600_NS6detail15normal_iteratorINSA_10device_ptrIdEEEEPS6_SG_NS0_5tupleIJSF_S6_EEENSH_IJSG_SG_EEES6_PlJNSB_9not_fun_tI7is_evenIdEEEEEE10hipError_tPvRmT3_T4_T5_T6_T7_T9_mT8_P12ihipStream_tbDpT10_ENKUlT_T0_E_clISt17integral_constantIbLb1EES18_EEDaS13_S14_EUlS13_E_NS1_11comp_targetILNS1_3genE4ELNS1_11target_archE910ELNS1_3gpuE8ELNS1_3repE0EEENS1_30default_config_static_selectorELNS0_4arch9wavefront6targetE0EEEvT1_.has_indirect_call, 0
	.section	.AMDGPU.csdata,"",@progbits
; Kernel info:
; codeLenInByte = 0
; TotalNumSgprs: 0
; NumVgprs: 0
; ScratchSize: 0
; MemoryBound: 0
; FloatMode: 240
; IeeeMode: 1
; LDSByteSize: 0 bytes/workgroup (compile time only)
; SGPRBlocks: 0
; VGPRBlocks: 0
; NumSGPRsForWavesPerEU: 1
; NumVGPRsForWavesPerEU: 1
; Occupancy: 16
; WaveLimiterHint : 0
; COMPUTE_PGM_RSRC2:SCRATCH_EN: 0
; COMPUTE_PGM_RSRC2:USER_SGPR: 2
; COMPUTE_PGM_RSRC2:TRAP_HANDLER: 0
; COMPUTE_PGM_RSRC2:TGID_X_EN: 1
; COMPUTE_PGM_RSRC2:TGID_Y_EN: 0
; COMPUTE_PGM_RSRC2:TGID_Z_EN: 0
; COMPUTE_PGM_RSRC2:TIDIG_COMP_CNT: 0
	.section	.text._ZN7rocprim17ROCPRIM_400000_NS6detail17trampoline_kernelINS0_14default_configENS1_25partition_config_selectorILNS1_17partition_subalgoE6EdNS0_10empty_typeEbEEZZNS1_14partition_implILS5_6ELb0ES3_mN6thrust23THRUST_200600_302600_NS6detail15normal_iteratorINSA_10device_ptrIdEEEEPS6_SG_NS0_5tupleIJSF_S6_EEENSH_IJSG_SG_EEES6_PlJNSB_9not_fun_tI7is_evenIdEEEEEE10hipError_tPvRmT3_T4_T5_T6_T7_T9_mT8_P12ihipStream_tbDpT10_ENKUlT_T0_E_clISt17integral_constantIbLb1EES18_EEDaS13_S14_EUlS13_E_NS1_11comp_targetILNS1_3genE3ELNS1_11target_archE908ELNS1_3gpuE7ELNS1_3repE0EEENS1_30default_config_static_selectorELNS0_4arch9wavefront6targetE0EEEvT1_,"axG",@progbits,_ZN7rocprim17ROCPRIM_400000_NS6detail17trampoline_kernelINS0_14default_configENS1_25partition_config_selectorILNS1_17partition_subalgoE6EdNS0_10empty_typeEbEEZZNS1_14partition_implILS5_6ELb0ES3_mN6thrust23THRUST_200600_302600_NS6detail15normal_iteratorINSA_10device_ptrIdEEEEPS6_SG_NS0_5tupleIJSF_S6_EEENSH_IJSG_SG_EEES6_PlJNSB_9not_fun_tI7is_evenIdEEEEEE10hipError_tPvRmT3_T4_T5_T6_T7_T9_mT8_P12ihipStream_tbDpT10_ENKUlT_T0_E_clISt17integral_constantIbLb1EES18_EEDaS13_S14_EUlS13_E_NS1_11comp_targetILNS1_3genE3ELNS1_11target_archE908ELNS1_3gpuE7ELNS1_3repE0EEENS1_30default_config_static_selectorELNS0_4arch9wavefront6targetE0EEEvT1_,comdat
	.protected	_ZN7rocprim17ROCPRIM_400000_NS6detail17trampoline_kernelINS0_14default_configENS1_25partition_config_selectorILNS1_17partition_subalgoE6EdNS0_10empty_typeEbEEZZNS1_14partition_implILS5_6ELb0ES3_mN6thrust23THRUST_200600_302600_NS6detail15normal_iteratorINSA_10device_ptrIdEEEEPS6_SG_NS0_5tupleIJSF_S6_EEENSH_IJSG_SG_EEES6_PlJNSB_9not_fun_tI7is_evenIdEEEEEE10hipError_tPvRmT3_T4_T5_T6_T7_T9_mT8_P12ihipStream_tbDpT10_ENKUlT_T0_E_clISt17integral_constantIbLb1EES18_EEDaS13_S14_EUlS13_E_NS1_11comp_targetILNS1_3genE3ELNS1_11target_archE908ELNS1_3gpuE7ELNS1_3repE0EEENS1_30default_config_static_selectorELNS0_4arch9wavefront6targetE0EEEvT1_ ; -- Begin function _ZN7rocprim17ROCPRIM_400000_NS6detail17trampoline_kernelINS0_14default_configENS1_25partition_config_selectorILNS1_17partition_subalgoE6EdNS0_10empty_typeEbEEZZNS1_14partition_implILS5_6ELb0ES3_mN6thrust23THRUST_200600_302600_NS6detail15normal_iteratorINSA_10device_ptrIdEEEEPS6_SG_NS0_5tupleIJSF_S6_EEENSH_IJSG_SG_EEES6_PlJNSB_9not_fun_tI7is_evenIdEEEEEE10hipError_tPvRmT3_T4_T5_T6_T7_T9_mT8_P12ihipStream_tbDpT10_ENKUlT_T0_E_clISt17integral_constantIbLb1EES18_EEDaS13_S14_EUlS13_E_NS1_11comp_targetILNS1_3genE3ELNS1_11target_archE908ELNS1_3gpuE7ELNS1_3repE0EEENS1_30default_config_static_selectorELNS0_4arch9wavefront6targetE0EEEvT1_
	.globl	_ZN7rocprim17ROCPRIM_400000_NS6detail17trampoline_kernelINS0_14default_configENS1_25partition_config_selectorILNS1_17partition_subalgoE6EdNS0_10empty_typeEbEEZZNS1_14partition_implILS5_6ELb0ES3_mN6thrust23THRUST_200600_302600_NS6detail15normal_iteratorINSA_10device_ptrIdEEEEPS6_SG_NS0_5tupleIJSF_S6_EEENSH_IJSG_SG_EEES6_PlJNSB_9not_fun_tI7is_evenIdEEEEEE10hipError_tPvRmT3_T4_T5_T6_T7_T9_mT8_P12ihipStream_tbDpT10_ENKUlT_T0_E_clISt17integral_constantIbLb1EES18_EEDaS13_S14_EUlS13_E_NS1_11comp_targetILNS1_3genE3ELNS1_11target_archE908ELNS1_3gpuE7ELNS1_3repE0EEENS1_30default_config_static_selectorELNS0_4arch9wavefront6targetE0EEEvT1_
	.p2align	8
	.type	_ZN7rocprim17ROCPRIM_400000_NS6detail17trampoline_kernelINS0_14default_configENS1_25partition_config_selectorILNS1_17partition_subalgoE6EdNS0_10empty_typeEbEEZZNS1_14partition_implILS5_6ELb0ES3_mN6thrust23THRUST_200600_302600_NS6detail15normal_iteratorINSA_10device_ptrIdEEEEPS6_SG_NS0_5tupleIJSF_S6_EEENSH_IJSG_SG_EEES6_PlJNSB_9not_fun_tI7is_evenIdEEEEEE10hipError_tPvRmT3_T4_T5_T6_T7_T9_mT8_P12ihipStream_tbDpT10_ENKUlT_T0_E_clISt17integral_constantIbLb1EES18_EEDaS13_S14_EUlS13_E_NS1_11comp_targetILNS1_3genE3ELNS1_11target_archE908ELNS1_3gpuE7ELNS1_3repE0EEENS1_30default_config_static_selectorELNS0_4arch9wavefront6targetE0EEEvT1_,@function
_ZN7rocprim17ROCPRIM_400000_NS6detail17trampoline_kernelINS0_14default_configENS1_25partition_config_selectorILNS1_17partition_subalgoE6EdNS0_10empty_typeEbEEZZNS1_14partition_implILS5_6ELb0ES3_mN6thrust23THRUST_200600_302600_NS6detail15normal_iteratorINSA_10device_ptrIdEEEEPS6_SG_NS0_5tupleIJSF_S6_EEENSH_IJSG_SG_EEES6_PlJNSB_9not_fun_tI7is_evenIdEEEEEE10hipError_tPvRmT3_T4_T5_T6_T7_T9_mT8_P12ihipStream_tbDpT10_ENKUlT_T0_E_clISt17integral_constantIbLb1EES18_EEDaS13_S14_EUlS13_E_NS1_11comp_targetILNS1_3genE3ELNS1_11target_archE908ELNS1_3gpuE7ELNS1_3repE0EEENS1_30default_config_static_selectorELNS0_4arch9wavefront6targetE0EEEvT1_: ; @_ZN7rocprim17ROCPRIM_400000_NS6detail17trampoline_kernelINS0_14default_configENS1_25partition_config_selectorILNS1_17partition_subalgoE6EdNS0_10empty_typeEbEEZZNS1_14partition_implILS5_6ELb0ES3_mN6thrust23THRUST_200600_302600_NS6detail15normal_iteratorINSA_10device_ptrIdEEEEPS6_SG_NS0_5tupleIJSF_S6_EEENSH_IJSG_SG_EEES6_PlJNSB_9not_fun_tI7is_evenIdEEEEEE10hipError_tPvRmT3_T4_T5_T6_T7_T9_mT8_P12ihipStream_tbDpT10_ENKUlT_T0_E_clISt17integral_constantIbLb1EES18_EEDaS13_S14_EUlS13_E_NS1_11comp_targetILNS1_3genE3ELNS1_11target_archE908ELNS1_3gpuE7ELNS1_3repE0EEENS1_30default_config_static_selectorELNS0_4arch9wavefront6targetE0EEEvT1_
; %bb.0:
	.section	.rodata,"a",@progbits
	.p2align	6, 0x0
	.amdhsa_kernel _ZN7rocprim17ROCPRIM_400000_NS6detail17trampoline_kernelINS0_14default_configENS1_25partition_config_selectorILNS1_17partition_subalgoE6EdNS0_10empty_typeEbEEZZNS1_14partition_implILS5_6ELb0ES3_mN6thrust23THRUST_200600_302600_NS6detail15normal_iteratorINSA_10device_ptrIdEEEEPS6_SG_NS0_5tupleIJSF_S6_EEENSH_IJSG_SG_EEES6_PlJNSB_9not_fun_tI7is_evenIdEEEEEE10hipError_tPvRmT3_T4_T5_T6_T7_T9_mT8_P12ihipStream_tbDpT10_ENKUlT_T0_E_clISt17integral_constantIbLb1EES18_EEDaS13_S14_EUlS13_E_NS1_11comp_targetILNS1_3genE3ELNS1_11target_archE908ELNS1_3gpuE7ELNS1_3repE0EEENS1_30default_config_static_selectorELNS0_4arch9wavefront6targetE0EEEvT1_
		.amdhsa_group_segment_fixed_size 0
		.amdhsa_private_segment_fixed_size 0
		.amdhsa_kernarg_size 128
		.amdhsa_user_sgpr_count 2
		.amdhsa_user_sgpr_dispatch_ptr 0
		.amdhsa_user_sgpr_queue_ptr 0
		.amdhsa_user_sgpr_kernarg_segment_ptr 1
		.amdhsa_user_sgpr_dispatch_id 0
		.amdhsa_user_sgpr_private_segment_size 0
		.amdhsa_wavefront_size32 1
		.amdhsa_uses_dynamic_stack 0
		.amdhsa_enable_private_segment 0
		.amdhsa_system_sgpr_workgroup_id_x 1
		.amdhsa_system_sgpr_workgroup_id_y 0
		.amdhsa_system_sgpr_workgroup_id_z 0
		.amdhsa_system_sgpr_workgroup_info 0
		.amdhsa_system_vgpr_workitem_id 0
		.amdhsa_next_free_vgpr 1
		.amdhsa_next_free_sgpr 1
		.amdhsa_reserve_vcc 0
		.amdhsa_float_round_mode_32 0
		.amdhsa_float_round_mode_16_64 0
		.amdhsa_float_denorm_mode_32 3
		.amdhsa_float_denorm_mode_16_64 3
		.amdhsa_fp16_overflow 0
		.amdhsa_workgroup_processor_mode 1
		.amdhsa_memory_ordered 1
		.amdhsa_forward_progress 1
		.amdhsa_inst_pref_size 0
		.amdhsa_round_robin_scheduling 0
		.amdhsa_exception_fp_ieee_invalid_op 0
		.amdhsa_exception_fp_denorm_src 0
		.amdhsa_exception_fp_ieee_div_zero 0
		.amdhsa_exception_fp_ieee_overflow 0
		.amdhsa_exception_fp_ieee_underflow 0
		.amdhsa_exception_fp_ieee_inexact 0
		.amdhsa_exception_int_div_zero 0
	.end_amdhsa_kernel
	.section	.text._ZN7rocprim17ROCPRIM_400000_NS6detail17trampoline_kernelINS0_14default_configENS1_25partition_config_selectorILNS1_17partition_subalgoE6EdNS0_10empty_typeEbEEZZNS1_14partition_implILS5_6ELb0ES3_mN6thrust23THRUST_200600_302600_NS6detail15normal_iteratorINSA_10device_ptrIdEEEEPS6_SG_NS0_5tupleIJSF_S6_EEENSH_IJSG_SG_EEES6_PlJNSB_9not_fun_tI7is_evenIdEEEEEE10hipError_tPvRmT3_T4_T5_T6_T7_T9_mT8_P12ihipStream_tbDpT10_ENKUlT_T0_E_clISt17integral_constantIbLb1EES18_EEDaS13_S14_EUlS13_E_NS1_11comp_targetILNS1_3genE3ELNS1_11target_archE908ELNS1_3gpuE7ELNS1_3repE0EEENS1_30default_config_static_selectorELNS0_4arch9wavefront6targetE0EEEvT1_,"axG",@progbits,_ZN7rocprim17ROCPRIM_400000_NS6detail17trampoline_kernelINS0_14default_configENS1_25partition_config_selectorILNS1_17partition_subalgoE6EdNS0_10empty_typeEbEEZZNS1_14partition_implILS5_6ELb0ES3_mN6thrust23THRUST_200600_302600_NS6detail15normal_iteratorINSA_10device_ptrIdEEEEPS6_SG_NS0_5tupleIJSF_S6_EEENSH_IJSG_SG_EEES6_PlJNSB_9not_fun_tI7is_evenIdEEEEEE10hipError_tPvRmT3_T4_T5_T6_T7_T9_mT8_P12ihipStream_tbDpT10_ENKUlT_T0_E_clISt17integral_constantIbLb1EES18_EEDaS13_S14_EUlS13_E_NS1_11comp_targetILNS1_3genE3ELNS1_11target_archE908ELNS1_3gpuE7ELNS1_3repE0EEENS1_30default_config_static_selectorELNS0_4arch9wavefront6targetE0EEEvT1_,comdat
.Lfunc_end544:
	.size	_ZN7rocprim17ROCPRIM_400000_NS6detail17trampoline_kernelINS0_14default_configENS1_25partition_config_selectorILNS1_17partition_subalgoE6EdNS0_10empty_typeEbEEZZNS1_14partition_implILS5_6ELb0ES3_mN6thrust23THRUST_200600_302600_NS6detail15normal_iteratorINSA_10device_ptrIdEEEEPS6_SG_NS0_5tupleIJSF_S6_EEENSH_IJSG_SG_EEES6_PlJNSB_9not_fun_tI7is_evenIdEEEEEE10hipError_tPvRmT3_T4_T5_T6_T7_T9_mT8_P12ihipStream_tbDpT10_ENKUlT_T0_E_clISt17integral_constantIbLb1EES18_EEDaS13_S14_EUlS13_E_NS1_11comp_targetILNS1_3genE3ELNS1_11target_archE908ELNS1_3gpuE7ELNS1_3repE0EEENS1_30default_config_static_selectorELNS0_4arch9wavefront6targetE0EEEvT1_, .Lfunc_end544-_ZN7rocprim17ROCPRIM_400000_NS6detail17trampoline_kernelINS0_14default_configENS1_25partition_config_selectorILNS1_17partition_subalgoE6EdNS0_10empty_typeEbEEZZNS1_14partition_implILS5_6ELb0ES3_mN6thrust23THRUST_200600_302600_NS6detail15normal_iteratorINSA_10device_ptrIdEEEEPS6_SG_NS0_5tupleIJSF_S6_EEENSH_IJSG_SG_EEES6_PlJNSB_9not_fun_tI7is_evenIdEEEEEE10hipError_tPvRmT3_T4_T5_T6_T7_T9_mT8_P12ihipStream_tbDpT10_ENKUlT_T0_E_clISt17integral_constantIbLb1EES18_EEDaS13_S14_EUlS13_E_NS1_11comp_targetILNS1_3genE3ELNS1_11target_archE908ELNS1_3gpuE7ELNS1_3repE0EEENS1_30default_config_static_selectorELNS0_4arch9wavefront6targetE0EEEvT1_
                                        ; -- End function
	.set _ZN7rocprim17ROCPRIM_400000_NS6detail17trampoline_kernelINS0_14default_configENS1_25partition_config_selectorILNS1_17partition_subalgoE6EdNS0_10empty_typeEbEEZZNS1_14partition_implILS5_6ELb0ES3_mN6thrust23THRUST_200600_302600_NS6detail15normal_iteratorINSA_10device_ptrIdEEEEPS6_SG_NS0_5tupleIJSF_S6_EEENSH_IJSG_SG_EEES6_PlJNSB_9not_fun_tI7is_evenIdEEEEEE10hipError_tPvRmT3_T4_T5_T6_T7_T9_mT8_P12ihipStream_tbDpT10_ENKUlT_T0_E_clISt17integral_constantIbLb1EES18_EEDaS13_S14_EUlS13_E_NS1_11comp_targetILNS1_3genE3ELNS1_11target_archE908ELNS1_3gpuE7ELNS1_3repE0EEENS1_30default_config_static_selectorELNS0_4arch9wavefront6targetE0EEEvT1_.num_vgpr, 0
	.set _ZN7rocprim17ROCPRIM_400000_NS6detail17trampoline_kernelINS0_14default_configENS1_25partition_config_selectorILNS1_17partition_subalgoE6EdNS0_10empty_typeEbEEZZNS1_14partition_implILS5_6ELb0ES3_mN6thrust23THRUST_200600_302600_NS6detail15normal_iteratorINSA_10device_ptrIdEEEEPS6_SG_NS0_5tupleIJSF_S6_EEENSH_IJSG_SG_EEES6_PlJNSB_9not_fun_tI7is_evenIdEEEEEE10hipError_tPvRmT3_T4_T5_T6_T7_T9_mT8_P12ihipStream_tbDpT10_ENKUlT_T0_E_clISt17integral_constantIbLb1EES18_EEDaS13_S14_EUlS13_E_NS1_11comp_targetILNS1_3genE3ELNS1_11target_archE908ELNS1_3gpuE7ELNS1_3repE0EEENS1_30default_config_static_selectorELNS0_4arch9wavefront6targetE0EEEvT1_.num_agpr, 0
	.set _ZN7rocprim17ROCPRIM_400000_NS6detail17trampoline_kernelINS0_14default_configENS1_25partition_config_selectorILNS1_17partition_subalgoE6EdNS0_10empty_typeEbEEZZNS1_14partition_implILS5_6ELb0ES3_mN6thrust23THRUST_200600_302600_NS6detail15normal_iteratorINSA_10device_ptrIdEEEEPS6_SG_NS0_5tupleIJSF_S6_EEENSH_IJSG_SG_EEES6_PlJNSB_9not_fun_tI7is_evenIdEEEEEE10hipError_tPvRmT3_T4_T5_T6_T7_T9_mT8_P12ihipStream_tbDpT10_ENKUlT_T0_E_clISt17integral_constantIbLb1EES18_EEDaS13_S14_EUlS13_E_NS1_11comp_targetILNS1_3genE3ELNS1_11target_archE908ELNS1_3gpuE7ELNS1_3repE0EEENS1_30default_config_static_selectorELNS0_4arch9wavefront6targetE0EEEvT1_.numbered_sgpr, 0
	.set _ZN7rocprim17ROCPRIM_400000_NS6detail17trampoline_kernelINS0_14default_configENS1_25partition_config_selectorILNS1_17partition_subalgoE6EdNS0_10empty_typeEbEEZZNS1_14partition_implILS5_6ELb0ES3_mN6thrust23THRUST_200600_302600_NS6detail15normal_iteratorINSA_10device_ptrIdEEEEPS6_SG_NS0_5tupleIJSF_S6_EEENSH_IJSG_SG_EEES6_PlJNSB_9not_fun_tI7is_evenIdEEEEEE10hipError_tPvRmT3_T4_T5_T6_T7_T9_mT8_P12ihipStream_tbDpT10_ENKUlT_T0_E_clISt17integral_constantIbLb1EES18_EEDaS13_S14_EUlS13_E_NS1_11comp_targetILNS1_3genE3ELNS1_11target_archE908ELNS1_3gpuE7ELNS1_3repE0EEENS1_30default_config_static_selectorELNS0_4arch9wavefront6targetE0EEEvT1_.num_named_barrier, 0
	.set _ZN7rocprim17ROCPRIM_400000_NS6detail17trampoline_kernelINS0_14default_configENS1_25partition_config_selectorILNS1_17partition_subalgoE6EdNS0_10empty_typeEbEEZZNS1_14partition_implILS5_6ELb0ES3_mN6thrust23THRUST_200600_302600_NS6detail15normal_iteratorINSA_10device_ptrIdEEEEPS6_SG_NS0_5tupleIJSF_S6_EEENSH_IJSG_SG_EEES6_PlJNSB_9not_fun_tI7is_evenIdEEEEEE10hipError_tPvRmT3_T4_T5_T6_T7_T9_mT8_P12ihipStream_tbDpT10_ENKUlT_T0_E_clISt17integral_constantIbLb1EES18_EEDaS13_S14_EUlS13_E_NS1_11comp_targetILNS1_3genE3ELNS1_11target_archE908ELNS1_3gpuE7ELNS1_3repE0EEENS1_30default_config_static_selectorELNS0_4arch9wavefront6targetE0EEEvT1_.private_seg_size, 0
	.set _ZN7rocprim17ROCPRIM_400000_NS6detail17trampoline_kernelINS0_14default_configENS1_25partition_config_selectorILNS1_17partition_subalgoE6EdNS0_10empty_typeEbEEZZNS1_14partition_implILS5_6ELb0ES3_mN6thrust23THRUST_200600_302600_NS6detail15normal_iteratorINSA_10device_ptrIdEEEEPS6_SG_NS0_5tupleIJSF_S6_EEENSH_IJSG_SG_EEES6_PlJNSB_9not_fun_tI7is_evenIdEEEEEE10hipError_tPvRmT3_T4_T5_T6_T7_T9_mT8_P12ihipStream_tbDpT10_ENKUlT_T0_E_clISt17integral_constantIbLb1EES18_EEDaS13_S14_EUlS13_E_NS1_11comp_targetILNS1_3genE3ELNS1_11target_archE908ELNS1_3gpuE7ELNS1_3repE0EEENS1_30default_config_static_selectorELNS0_4arch9wavefront6targetE0EEEvT1_.uses_vcc, 0
	.set _ZN7rocprim17ROCPRIM_400000_NS6detail17trampoline_kernelINS0_14default_configENS1_25partition_config_selectorILNS1_17partition_subalgoE6EdNS0_10empty_typeEbEEZZNS1_14partition_implILS5_6ELb0ES3_mN6thrust23THRUST_200600_302600_NS6detail15normal_iteratorINSA_10device_ptrIdEEEEPS6_SG_NS0_5tupleIJSF_S6_EEENSH_IJSG_SG_EEES6_PlJNSB_9not_fun_tI7is_evenIdEEEEEE10hipError_tPvRmT3_T4_T5_T6_T7_T9_mT8_P12ihipStream_tbDpT10_ENKUlT_T0_E_clISt17integral_constantIbLb1EES18_EEDaS13_S14_EUlS13_E_NS1_11comp_targetILNS1_3genE3ELNS1_11target_archE908ELNS1_3gpuE7ELNS1_3repE0EEENS1_30default_config_static_selectorELNS0_4arch9wavefront6targetE0EEEvT1_.uses_flat_scratch, 0
	.set _ZN7rocprim17ROCPRIM_400000_NS6detail17trampoline_kernelINS0_14default_configENS1_25partition_config_selectorILNS1_17partition_subalgoE6EdNS0_10empty_typeEbEEZZNS1_14partition_implILS5_6ELb0ES3_mN6thrust23THRUST_200600_302600_NS6detail15normal_iteratorINSA_10device_ptrIdEEEEPS6_SG_NS0_5tupleIJSF_S6_EEENSH_IJSG_SG_EEES6_PlJNSB_9not_fun_tI7is_evenIdEEEEEE10hipError_tPvRmT3_T4_T5_T6_T7_T9_mT8_P12ihipStream_tbDpT10_ENKUlT_T0_E_clISt17integral_constantIbLb1EES18_EEDaS13_S14_EUlS13_E_NS1_11comp_targetILNS1_3genE3ELNS1_11target_archE908ELNS1_3gpuE7ELNS1_3repE0EEENS1_30default_config_static_selectorELNS0_4arch9wavefront6targetE0EEEvT1_.has_dyn_sized_stack, 0
	.set _ZN7rocprim17ROCPRIM_400000_NS6detail17trampoline_kernelINS0_14default_configENS1_25partition_config_selectorILNS1_17partition_subalgoE6EdNS0_10empty_typeEbEEZZNS1_14partition_implILS5_6ELb0ES3_mN6thrust23THRUST_200600_302600_NS6detail15normal_iteratorINSA_10device_ptrIdEEEEPS6_SG_NS0_5tupleIJSF_S6_EEENSH_IJSG_SG_EEES6_PlJNSB_9not_fun_tI7is_evenIdEEEEEE10hipError_tPvRmT3_T4_T5_T6_T7_T9_mT8_P12ihipStream_tbDpT10_ENKUlT_T0_E_clISt17integral_constantIbLb1EES18_EEDaS13_S14_EUlS13_E_NS1_11comp_targetILNS1_3genE3ELNS1_11target_archE908ELNS1_3gpuE7ELNS1_3repE0EEENS1_30default_config_static_selectorELNS0_4arch9wavefront6targetE0EEEvT1_.has_recursion, 0
	.set _ZN7rocprim17ROCPRIM_400000_NS6detail17trampoline_kernelINS0_14default_configENS1_25partition_config_selectorILNS1_17partition_subalgoE6EdNS0_10empty_typeEbEEZZNS1_14partition_implILS5_6ELb0ES3_mN6thrust23THRUST_200600_302600_NS6detail15normal_iteratorINSA_10device_ptrIdEEEEPS6_SG_NS0_5tupleIJSF_S6_EEENSH_IJSG_SG_EEES6_PlJNSB_9not_fun_tI7is_evenIdEEEEEE10hipError_tPvRmT3_T4_T5_T6_T7_T9_mT8_P12ihipStream_tbDpT10_ENKUlT_T0_E_clISt17integral_constantIbLb1EES18_EEDaS13_S14_EUlS13_E_NS1_11comp_targetILNS1_3genE3ELNS1_11target_archE908ELNS1_3gpuE7ELNS1_3repE0EEENS1_30default_config_static_selectorELNS0_4arch9wavefront6targetE0EEEvT1_.has_indirect_call, 0
	.section	.AMDGPU.csdata,"",@progbits
; Kernel info:
; codeLenInByte = 0
; TotalNumSgprs: 0
; NumVgprs: 0
; ScratchSize: 0
; MemoryBound: 0
; FloatMode: 240
; IeeeMode: 1
; LDSByteSize: 0 bytes/workgroup (compile time only)
; SGPRBlocks: 0
; VGPRBlocks: 0
; NumSGPRsForWavesPerEU: 1
; NumVGPRsForWavesPerEU: 1
; Occupancy: 16
; WaveLimiterHint : 0
; COMPUTE_PGM_RSRC2:SCRATCH_EN: 0
; COMPUTE_PGM_RSRC2:USER_SGPR: 2
; COMPUTE_PGM_RSRC2:TRAP_HANDLER: 0
; COMPUTE_PGM_RSRC2:TGID_X_EN: 1
; COMPUTE_PGM_RSRC2:TGID_Y_EN: 0
; COMPUTE_PGM_RSRC2:TGID_Z_EN: 0
; COMPUTE_PGM_RSRC2:TIDIG_COMP_CNT: 0
	.section	.text._ZN7rocprim17ROCPRIM_400000_NS6detail17trampoline_kernelINS0_14default_configENS1_25partition_config_selectorILNS1_17partition_subalgoE6EdNS0_10empty_typeEbEEZZNS1_14partition_implILS5_6ELb0ES3_mN6thrust23THRUST_200600_302600_NS6detail15normal_iteratorINSA_10device_ptrIdEEEEPS6_SG_NS0_5tupleIJSF_S6_EEENSH_IJSG_SG_EEES6_PlJNSB_9not_fun_tI7is_evenIdEEEEEE10hipError_tPvRmT3_T4_T5_T6_T7_T9_mT8_P12ihipStream_tbDpT10_ENKUlT_T0_E_clISt17integral_constantIbLb1EES18_EEDaS13_S14_EUlS13_E_NS1_11comp_targetILNS1_3genE2ELNS1_11target_archE906ELNS1_3gpuE6ELNS1_3repE0EEENS1_30default_config_static_selectorELNS0_4arch9wavefront6targetE0EEEvT1_,"axG",@progbits,_ZN7rocprim17ROCPRIM_400000_NS6detail17trampoline_kernelINS0_14default_configENS1_25partition_config_selectorILNS1_17partition_subalgoE6EdNS0_10empty_typeEbEEZZNS1_14partition_implILS5_6ELb0ES3_mN6thrust23THRUST_200600_302600_NS6detail15normal_iteratorINSA_10device_ptrIdEEEEPS6_SG_NS0_5tupleIJSF_S6_EEENSH_IJSG_SG_EEES6_PlJNSB_9not_fun_tI7is_evenIdEEEEEE10hipError_tPvRmT3_T4_T5_T6_T7_T9_mT8_P12ihipStream_tbDpT10_ENKUlT_T0_E_clISt17integral_constantIbLb1EES18_EEDaS13_S14_EUlS13_E_NS1_11comp_targetILNS1_3genE2ELNS1_11target_archE906ELNS1_3gpuE6ELNS1_3repE0EEENS1_30default_config_static_selectorELNS0_4arch9wavefront6targetE0EEEvT1_,comdat
	.protected	_ZN7rocprim17ROCPRIM_400000_NS6detail17trampoline_kernelINS0_14default_configENS1_25partition_config_selectorILNS1_17partition_subalgoE6EdNS0_10empty_typeEbEEZZNS1_14partition_implILS5_6ELb0ES3_mN6thrust23THRUST_200600_302600_NS6detail15normal_iteratorINSA_10device_ptrIdEEEEPS6_SG_NS0_5tupleIJSF_S6_EEENSH_IJSG_SG_EEES6_PlJNSB_9not_fun_tI7is_evenIdEEEEEE10hipError_tPvRmT3_T4_T5_T6_T7_T9_mT8_P12ihipStream_tbDpT10_ENKUlT_T0_E_clISt17integral_constantIbLb1EES18_EEDaS13_S14_EUlS13_E_NS1_11comp_targetILNS1_3genE2ELNS1_11target_archE906ELNS1_3gpuE6ELNS1_3repE0EEENS1_30default_config_static_selectorELNS0_4arch9wavefront6targetE0EEEvT1_ ; -- Begin function _ZN7rocprim17ROCPRIM_400000_NS6detail17trampoline_kernelINS0_14default_configENS1_25partition_config_selectorILNS1_17partition_subalgoE6EdNS0_10empty_typeEbEEZZNS1_14partition_implILS5_6ELb0ES3_mN6thrust23THRUST_200600_302600_NS6detail15normal_iteratorINSA_10device_ptrIdEEEEPS6_SG_NS0_5tupleIJSF_S6_EEENSH_IJSG_SG_EEES6_PlJNSB_9not_fun_tI7is_evenIdEEEEEE10hipError_tPvRmT3_T4_T5_T6_T7_T9_mT8_P12ihipStream_tbDpT10_ENKUlT_T0_E_clISt17integral_constantIbLb1EES18_EEDaS13_S14_EUlS13_E_NS1_11comp_targetILNS1_3genE2ELNS1_11target_archE906ELNS1_3gpuE6ELNS1_3repE0EEENS1_30default_config_static_selectorELNS0_4arch9wavefront6targetE0EEEvT1_
	.globl	_ZN7rocprim17ROCPRIM_400000_NS6detail17trampoline_kernelINS0_14default_configENS1_25partition_config_selectorILNS1_17partition_subalgoE6EdNS0_10empty_typeEbEEZZNS1_14partition_implILS5_6ELb0ES3_mN6thrust23THRUST_200600_302600_NS6detail15normal_iteratorINSA_10device_ptrIdEEEEPS6_SG_NS0_5tupleIJSF_S6_EEENSH_IJSG_SG_EEES6_PlJNSB_9not_fun_tI7is_evenIdEEEEEE10hipError_tPvRmT3_T4_T5_T6_T7_T9_mT8_P12ihipStream_tbDpT10_ENKUlT_T0_E_clISt17integral_constantIbLb1EES18_EEDaS13_S14_EUlS13_E_NS1_11comp_targetILNS1_3genE2ELNS1_11target_archE906ELNS1_3gpuE6ELNS1_3repE0EEENS1_30default_config_static_selectorELNS0_4arch9wavefront6targetE0EEEvT1_
	.p2align	8
	.type	_ZN7rocprim17ROCPRIM_400000_NS6detail17trampoline_kernelINS0_14default_configENS1_25partition_config_selectorILNS1_17partition_subalgoE6EdNS0_10empty_typeEbEEZZNS1_14partition_implILS5_6ELb0ES3_mN6thrust23THRUST_200600_302600_NS6detail15normal_iteratorINSA_10device_ptrIdEEEEPS6_SG_NS0_5tupleIJSF_S6_EEENSH_IJSG_SG_EEES6_PlJNSB_9not_fun_tI7is_evenIdEEEEEE10hipError_tPvRmT3_T4_T5_T6_T7_T9_mT8_P12ihipStream_tbDpT10_ENKUlT_T0_E_clISt17integral_constantIbLb1EES18_EEDaS13_S14_EUlS13_E_NS1_11comp_targetILNS1_3genE2ELNS1_11target_archE906ELNS1_3gpuE6ELNS1_3repE0EEENS1_30default_config_static_selectorELNS0_4arch9wavefront6targetE0EEEvT1_,@function
_ZN7rocprim17ROCPRIM_400000_NS6detail17trampoline_kernelINS0_14default_configENS1_25partition_config_selectorILNS1_17partition_subalgoE6EdNS0_10empty_typeEbEEZZNS1_14partition_implILS5_6ELb0ES3_mN6thrust23THRUST_200600_302600_NS6detail15normal_iteratorINSA_10device_ptrIdEEEEPS6_SG_NS0_5tupleIJSF_S6_EEENSH_IJSG_SG_EEES6_PlJNSB_9not_fun_tI7is_evenIdEEEEEE10hipError_tPvRmT3_T4_T5_T6_T7_T9_mT8_P12ihipStream_tbDpT10_ENKUlT_T0_E_clISt17integral_constantIbLb1EES18_EEDaS13_S14_EUlS13_E_NS1_11comp_targetILNS1_3genE2ELNS1_11target_archE906ELNS1_3gpuE6ELNS1_3repE0EEENS1_30default_config_static_selectorELNS0_4arch9wavefront6targetE0EEEvT1_: ; @_ZN7rocprim17ROCPRIM_400000_NS6detail17trampoline_kernelINS0_14default_configENS1_25partition_config_selectorILNS1_17partition_subalgoE6EdNS0_10empty_typeEbEEZZNS1_14partition_implILS5_6ELb0ES3_mN6thrust23THRUST_200600_302600_NS6detail15normal_iteratorINSA_10device_ptrIdEEEEPS6_SG_NS0_5tupleIJSF_S6_EEENSH_IJSG_SG_EEES6_PlJNSB_9not_fun_tI7is_evenIdEEEEEE10hipError_tPvRmT3_T4_T5_T6_T7_T9_mT8_P12ihipStream_tbDpT10_ENKUlT_T0_E_clISt17integral_constantIbLb1EES18_EEDaS13_S14_EUlS13_E_NS1_11comp_targetILNS1_3genE2ELNS1_11target_archE906ELNS1_3gpuE6ELNS1_3repE0EEENS1_30default_config_static_selectorELNS0_4arch9wavefront6targetE0EEEvT1_
; %bb.0:
	.section	.rodata,"a",@progbits
	.p2align	6, 0x0
	.amdhsa_kernel _ZN7rocprim17ROCPRIM_400000_NS6detail17trampoline_kernelINS0_14default_configENS1_25partition_config_selectorILNS1_17partition_subalgoE6EdNS0_10empty_typeEbEEZZNS1_14partition_implILS5_6ELb0ES3_mN6thrust23THRUST_200600_302600_NS6detail15normal_iteratorINSA_10device_ptrIdEEEEPS6_SG_NS0_5tupleIJSF_S6_EEENSH_IJSG_SG_EEES6_PlJNSB_9not_fun_tI7is_evenIdEEEEEE10hipError_tPvRmT3_T4_T5_T6_T7_T9_mT8_P12ihipStream_tbDpT10_ENKUlT_T0_E_clISt17integral_constantIbLb1EES18_EEDaS13_S14_EUlS13_E_NS1_11comp_targetILNS1_3genE2ELNS1_11target_archE906ELNS1_3gpuE6ELNS1_3repE0EEENS1_30default_config_static_selectorELNS0_4arch9wavefront6targetE0EEEvT1_
		.amdhsa_group_segment_fixed_size 0
		.amdhsa_private_segment_fixed_size 0
		.amdhsa_kernarg_size 128
		.amdhsa_user_sgpr_count 2
		.amdhsa_user_sgpr_dispatch_ptr 0
		.amdhsa_user_sgpr_queue_ptr 0
		.amdhsa_user_sgpr_kernarg_segment_ptr 1
		.amdhsa_user_sgpr_dispatch_id 0
		.amdhsa_user_sgpr_private_segment_size 0
		.amdhsa_wavefront_size32 1
		.amdhsa_uses_dynamic_stack 0
		.amdhsa_enable_private_segment 0
		.amdhsa_system_sgpr_workgroup_id_x 1
		.amdhsa_system_sgpr_workgroup_id_y 0
		.amdhsa_system_sgpr_workgroup_id_z 0
		.amdhsa_system_sgpr_workgroup_info 0
		.amdhsa_system_vgpr_workitem_id 0
		.amdhsa_next_free_vgpr 1
		.amdhsa_next_free_sgpr 1
		.amdhsa_reserve_vcc 0
		.amdhsa_float_round_mode_32 0
		.amdhsa_float_round_mode_16_64 0
		.amdhsa_float_denorm_mode_32 3
		.amdhsa_float_denorm_mode_16_64 3
		.amdhsa_fp16_overflow 0
		.amdhsa_workgroup_processor_mode 1
		.amdhsa_memory_ordered 1
		.amdhsa_forward_progress 1
		.amdhsa_inst_pref_size 0
		.amdhsa_round_robin_scheduling 0
		.amdhsa_exception_fp_ieee_invalid_op 0
		.amdhsa_exception_fp_denorm_src 0
		.amdhsa_exception_fp_ieee_div_zero 0
		.amdhsa_exception_fp_ieee_overflow 0
		.amdhsa_exception_fp_ieee_underflow 0
		.amdhsa_exception_fp_ieee_inexact 0
		.amdhsa_exception_int_div_zero 0
	.end_amdhsa_kernel
	.section	.text._ZN7rocprim17ROCPRIM_400000_NS6detail17trampoline_kernelINS0_14default_configENS1_25partition_config_selectorILNS1_17partition_subalgoE6EdNS0_10empty_typeEbEEZZNS1_14partition_implILS5_6ELb0ES3_mN6thrust23THRUST_200600_302600_NS6detail15normal_iteratorINSA_10device_ptrIdEEEEPS6_SG_NS0_5tupleIJSF_S6_EEENSH_IJSG_SG_EEES6_PlJNSB_9not_fun_tI7is_evenIdEEEEEE10hipError_tPvRmT3_T4_T5_T6_T7_T9_mT8_P12ihipStream_tbDpT10_ENKUlT_T0_E_clISt17integral_constantIbLb1EES18_EEDaS13_S14_EUlS13_E_NS1_11comp_targetILNS1_3genE2ELNS1_11target_archE906ELNS1_3gpuE6ELNS1_3repE0EEENS1_30default_config_static_selectorELNS0_4arch9wavefront6targetE0EEEvT1_,"axG",@progbits,_ZN7rocprim17ROCPRIM_400000_NS6detail17trampoline_kernelINS0_14default_configENS1_25partition_config_selectorILNS1_17partition_subalgoE6EdNS0_10empty_typeEbEEZZNS1_14partition_implILS5_6ELb0ES3_mN6thrust23THRUST_200600_302600_NS6detail15normal_iteratorINSA_10device_ptrIdEEEEPS6_SG_NS0_5tupleIJSF_S6_EEENSH_IJSG_SG_EEES6_PlJNSB_9not_fun_tI7is_evenIdEEEEEE10hipError_tPvRmT3_T4_T5_T6_T7_T9_mT8_P12ihipStream_tbDpT10_ENKUlT_T0_E_clISt17integral_constantIbLb1EES18_EEDaS13_S14_EUlS13_E_NS1_11comp_targetILNS1_3genE2ELNS1_11target_archE906ELNS1_3gpuE6ELNS1_3repE0EEENS1_30default_config_static_selectorELNS0_4arch9wavefront6targetE0EEEvT1_,comdat
.Lfunc_end545:
	.size	_ZN7rocprim17ROCPRIM_400000_NS6detail17trampoline_kernelINS0_14default_configENS1_25partition_config_selectorILNS1_17partition_subalgoE6EdNS0_10empty_typeEbEEZZNS1_14partition_implILS5_6ELb0ES3_mN6thrust23THRUST_200600_302600_NS6detail15normal_iteratorINSA_10device_ptrIdEEEEPS6_SG_NS0_5tupleIJSF_S6_EEENSH_IJSG_SG_EEES6_PlJNSB_9not_fun_tI7is_evenIdEEEEEE10hipError_tPvRmT3_T4_T5_T6_T7_T9_mT8_P12ihipStream_tbDpT10_ENKUlT_T0_E_clISt17integral_constantIbLb1EES18_EEDaS13_S14_EUlS13_E_NS1_11comp_targetILNS1_3genE2ELNS1_11target_archE906ELNS1_3gpuE6ELNS1_3repE0EEENS1_30default_config_static_selectorELNS0_4arch9wavefront6targetE0EEEvT1_, .Lfunc_end545-_ZN7rocprim17ROCPRIM_400000_NS6detail17trampoline_kernelINS0_14default_configENS1_25partition_config_selectorILNS1_17partition_subalgoE6EdNS0_10empty_typeEbEEZZNS1_14partition_implILS5_6ELb0ES3_mN6thrust23THRUST_200600_302600_NS6detail15normal_iteratorINSA_10device_ptrIdEEEEPS6_SG_NS0_5tupleIJSF_S6_EEENSH_IJSG_SG_EEES6_PlJNSB_9not_fun_tI7is_evenIdEEEEEE10hipError_tPvRmT3_T4_T5_T6_T7_T9_mT8_P12ihipStream_tbDpT10_ENKUlT_T0_E_clISt17integral_constantIbLb1EES18_EEDaS13_S14_EUlS13_E_NS1_11comp_targetILNS1_3genE2ELNS1_11target_archE906ELNS1_3gpuE6ELNS1_3repE0EEENS1_30default_config_static_selectorELNS0_4arch9wavefront6targetE0EEEvT1_
                                        ; -- End function
	.set _ZN7rocprim17ROCPRIM_400000_NS6detail17trampoline_kernelINS0_14default_configENS1_25partition_config_selectorILNS1_17partition_subalgoE6EdNS0_10empty_typeEbEEZZNS1_14partition_implILS5_6ELb0ES3_mN6thrust23THRUST_200600_302600_NS6detail15normal_iteratorINSA_10device_ptrIdEEEEPS6_SG_NS0_5tupleIJSF_S6_EEENSH_IJSG_SG_EEES6_PlJNSB_9not_fun_tI7is_evenIdEEEEEE10hipError_tPvRmT3_T4_T5_T6_T7_T9_mT8_P12ihipStream_tbDpT10_ENKUlT_T0_E_clISt17integral_constantIbLb1EES18_EEDaS13_S14_EUlS13_E_NS1_11comp_targetILNS1_3genE2ELNS1_11target_archE906ELNS1_3gpuE6ELNS1_3repE0EEENS1_30default_config_static_selectorELNS0_4arch9wavefront6targetE0EEEvT1_.num_vgpr, 0
	.set _ZN7rocprim17ROCPRIM_400000_NS6detail17trampoline_kernelINS0_14default_configENS1_25partition_config_selectorILNS1_17partition_subalgoE6EdNS0_10empty_typeEbEEZZNS1_14partition_implILS5_6ELb0ES3_mN6thrust23THRUST_200600_302600_NS6detail15normal_iteratorINSA_10device_ptrIdEEEEPS6_SG_NS0_5tupleIJSF_S6_EEENSH_IJSG_SG_EEES6_PlJNSB_9not_fun_tI7is_evenIdEEEEEE10hipError_tPvRmT3_T4_T5_T6_T7_T9_mT8_P12ihipStream_tbDpT10_ENKUlT_T0_E_clISt17integral_constantIbLb1EES18_EEDaS13_S14_EUlS13_E_NS1_11comp_targetILNS1_3genE2ELNS1_11target_archE906ELNS1_3gpuE6ELNS1_3repE0EEENS1_30default_config_static_selectorELNS0_4arch9wavefront6targetE0EEEvT1_.num_agpr, 0
	.set _ZN7rocprim17ROCPRIM_400000_NS6detail17trampoline_kernelINS0_14default_configENS1_25partition_config_selectorILNS1_17partition_subalgoE6EdNS0_10empty_typeEbEEZZNS1_14partition_implILS5_6ELb0ES3_mN6thrust23THRUST_200600_302600_NS6detail15normal_iteratorINSA_10device_ptrIdEEEEPS6_SG_NS0_5tupleIJSF_S6_EEENSH_IJSG_SG_EEES6_PlJNSB_9not_fun_tI7is_evenIdEEEEEE10hipError_tPvRmT3_T4_T5_T6_T7_T9_mT8_P12ihipStream_tbDpT10_ENKUlT_T0_E_clISt17integral_constantIbLb1EES18_EEDaS13_S14_EUlS13_E_NS1_11comp_targetILNS1_3genE2ELNS1_11target_archE906ELNS1_3gpuE6ELNS1_3repE0EEENS1_30default_config_static_selectorELNS0_4arch9wavefront6targetE0EEEvT1_.numbered_sgpr, 0
	.set _ZN7rocprim17ROCPRIM_400000_NS6detail17trampoline_kernelINS0_14default_configENS1_25partition_config_selectorILNS1_17partition_subalgoE6EdNS0_10empty_typeEbEEZZNS1_14partition_implILS5_6ELb0ES3_mN6thrust23THRUST_200600_302600_NS6detail15normal_iteratorINSA_10device_ptrIdEEEEPS6_SG_NS0_5tupleIJSF_S6_EEENSH_IJSG_SG_EEES6_PlJNSB_9not_fun_tI7is_evenIdEEEEEE10hipError_tPvRmT3_T4_T5_T6_T7_T9_mT8_P12ihipStream_tbDpT10_ENKUlT_T0_E_clISt17integral_constantIbLb1EES18_EEDaS13_S14_EUlS13_E_NS1_11comp_targetILNS1_3genE2ELNS1_11target_archE906ELNS1_3gpuE6ELNS1_3repE0EEENS1_30default_config_static_selectorELNS0_4arch9wavefront6targetE0EEEvT1_.num_named_barrier, 0
	.set _ZN7rocprim17ROCPRIM_400000_NS6detail17trampoline_kernelINS0_14default_configENS1_25partition_config_selectorILNS1_17partition_subalgoE6EdNS0_10empty_typeEbEEZZNS1_14partition_implILS5_6ELb0ES3_mN6thrust23THRUST_200600_302600_NS6detail15normal_iteratorINSA_10device_ptrIdEEEEPS6_SG_NS0_5tupleIJSF_S6_EEENSH_IJSG_SG_EEES6_PlJNSB_9not_fun_tI7is_evenIdEEEEEE10hipError_tPvRmT3_T4_T5_T6_T7_T9_mT8_P12ihipStream_tbDpT10_ENKUlT_T0_E_clISt17integral_constantIbLb1EES18_EEDaS13_S14_EUlS13_E_NS1_11comp_targetILNS1_3genE2ELNS1_11target_archE906ELNS1_3gpuE6ELNS1_3repE0EEENS1_30default_config_static_selectorELNS0_4arch9wavefront6targetE0EEEvT1_.private_seg_size, 0
	.set _ZN7rocprim17ROCPRIM_400000_NS6detail17trampoline_kernelINS0_14default_configENS1_25partition_config_selectorILNS1_17partition_subalgoE6EdNS0_10empty_typeEbEEZZNS1_14partition_implILS5_6ELb0ES3_mN6thrust23THRUST_200600_302600_NS6detail15normal_iteratorINSA_10device_ptrIdEEEEPS6_SG_NS0_5tupleIJSF_S6_EEENSH_IJSG_SG_EEES6_PlJNSB_9not_fun_tI7is_evenIdEEEEEE10hipError_tPvRmT3_T4_T5_T6_T7_T9_mT8_P12ihipStream_tbDpT10_ENKUlT_T0_E_clISt17integral_constantIbLb1EES18_EEDaS13_S14_EUlS13_E_NS1_11comp_targetILNS1_3genE2ELNS1_11target_archE906ELNS1_3gpuE6ELNS1_3repE0EEENS1_30default_config_static_selectorELNS0_4arch9wavefront6targetE0EEEvT1_.uses_vcc, 0
	.set _ZN7rocprim17ROCPRIM_400000_NS6detail17trampoline_kernelINS0_14default_configENS1_25partition_config_selectorILNS1_17partition_subalgoE6EdNS0_10empty_typeEbEEZZNS1_14partition_implILS5_6ELb0ES3_mN6thrust23THRUST_200600_302600_NS6detail15normal_iteratorINSA_10device_ptrIdEEEEPS6_SG_NS0_5tupleIJSF_S6_EEENSH_IJSG_SG_EEES6_PlJNSB_9not_fun_tI7is_evenIdEEEEEE10hipError_tPvRmT3_T4_T5_T6_T7_T9_mT8_P12ihipStream_tbDpT10_ENKUlT_T0_E_clISt17integral_constantIbLb1EES18_EEDaS13_S14_EUlS13_E_NS1_11comp_targetILNS1_3genE2ELNS1_11target_archE906ELNS1_3gpuE6ELNS1_3repE0EEENS1_30default_config_static_selectorELNS0_4arch9wavefront6targetE0EEEvT1_.uses_flat_scratch, 0
	.set _ZN7rocprim17ROCPRIM_400000_NS6detail17trampoline_kernelINS0_14default_configENS1_25partition_config_selectorILNS1_17partition_subalgoE6EdNS0_10empty_typeEbEEZZNS1_14partition_implILS5_6ELb0ES3_mN6thrust23THRUST_200600_302600_NS6detail15normal_iteratorINSA_10device_ptrIdEEEEPS6_SG_NS0_5tupleIJSF_S6_EEENSH_IJSG_SG_EEES6_PlJNSB_9not_fun_tI7is_evenIdEEEEEE10hipError_tPvRmT3_T4_T5_T6_T7_T9_mT8_P12ihipStream_tbDpT10_ENKUlT_T0_E_clISt17integral_constantIbLb1EES18_EEDaS13_S14_EUlS13_E_NS1_11comp_targetILNS1_3genE2ELNS1_11target_archE906ELNS1_3gpuE6ELNS1_3repE0EEENS1_30default_config_static_selectorELNS0_4arch9wavefront6targetE0EEEvT1_.has_dyn_sized_stack, 0
	.set _ZN7rocprim17ROCPRIM_400000_NS6detail17trampoline_kernelINS0_14default_configENS1_25partition_config_selectorILNS1_17partition_subalgoE6EdNS0_10empty_typeEbEEZZNS1_14partition_implILS5_6ELb0ES3_mN6thrust23THRUST_200600_302600_NS6detail15normal_iteratorINSA_10device_ptrIdEEEEPS6_SG_NS0_5tupleIJSF_S6_EEENSH_IJSG_SG_EEES6_PlJNSB_9not_fun_tI7is_evenIdEEEEEE10hipError_tPvRmT3_T4_T5_T6_T7_T9_mT8_P12ihipStream_tbDpT10_ENKUlT_T0_E_clISt17integral_constantIbLb1EES18_EEDaS13_S14_EUlS13_E_NS1_11comp_targetILNS1_3genE2ELNS1_11target_archE906ELNS1_3gpuE6ELNS1_3repE0EEENS1_30default_config_static_selectorELNS0_4arch9wavefront6targetE0EEEvT1_.has_recursion, 0
	.set _ZN7rocprim17ROCPRIM_400000_NS6detail17trampoline_kernelINS0_14default_configENS1_25partition_config_selectorILNS1_17partition_subalgoE6EdNS0_10empty_typeEbEEZZNS1_14partition_implILS5_6ELb0ES3_mN6thrust23THRUST_200600_302600_NS6detail15normal_iteratorINSA_10device_ptrIdEEEEPS6_SG_NS0_5tupleIJSF_S6_EEENSH_IJSG_SG_EEES6_PlJNSB_9not_fun_tI7is_evenIdEEEEEE10hipError_tPvRmT3_T4_T5_T6_T7_T9_mT8_P12ihipStream_tbDpT10_ENKUlT_T0_E_clISt17integral_constantIbLb1EES18_EEDaS13_S14_EUlS13_E_NS1_11comp_targetILNS1_3genE2ELNS1_11target_archE906ELNS1_3gpuE6ELNS1_3repE0EEENS1_30default_config_static_selectorELNS0_4arch9wavefront6targetE0EEEvT1_.has_indirect_call, 0
	.section	.AMDGPU.csdata,"",@progbits
; Kernel info:
; codeLenInByte = 0
; TotalNumSgprs: 0
; NumVgprs: 0
; ScratchSize: 0
; MemoryBound: 0
; FloatMode: 240
; IeeeMode: 1
; LDSByteSize: 0 bytes/workgroup (compile time only)
; SGPRBlocks: 0
; VGPRBlocks: 0
; NumSGPRsForWavesPerEU: 1
; NumVGPRsForWavesPerEU: 1
; Occupancy: 16
; WaveLimiterHint : 0
; COMPUTE_PGM_RSRC2:SCRATCH_EN: 0
; COMPUTE_PGM_RSRC2:USER_SGPR: 2
; COMPUTE_PGM_RSRC2:TRAP_HANDLER: 0
; COMPUTE_PGM_RSRC2:TGID_X_EN: 1
; COMPUTE_PGM_RSRC2:TGID_Y_EN: 0
; COMPUTE_PGM_RSRC2:TGID_Z_EN: 0
; COMPUTE_PGM_RSRC2:TIDIG_COMP_CNT: 0
	.section	.text._ZN7rocprim17ROCPRIM_400000_NS6detail17trampoline_kernelINS0_14default_configENS1_25partition_config_selectorILNS1_17partition_subalgoE6EdNS0_10empty_typeEbEEZZNS1_14partition_implILS5_6ELb0ES3_mN6thrust23THRUST_200600_302600_NS6detail15normal_iteratorINSA_10device_ptrIdEEEEPS6_SG_NS0_5tupleIJSF_S6_EEENSH_IJSG_SG_EEES6_PlJNSB_9not_fun_tI7is_evenIdEEEEEE10hipError_tPvRmT3_T4_T5_T6_T7_T9_mT8_P12ihipStream_tbDpT10_ENKUlT_T0_E_clISt17integral_constantIbLb1EES18_EEDaS13_S14_EUlS13_E_NS1_11comp_targetILNS1_3genE10ELNS1_11target_archE1200ELNS1_3gpuE4ELNS1_3repE0EEENS1_30default_config_static_selectorELNS0_4arch9wavefront6targetE0EEEvT1_,"axG",@progbits,_ZN7rocprim17ROCPRIM_400000_NS6detail17trampoline_kernelINS0_14default_configENS1_25partition_config_selectorILNS1_17partition_subalgoE6EdNS0_10empty_typeEbEEZZNS1_14partition_implILS5_6ELb0ES3_mN6thrust23THRUST_200600_302600_NS6detail15normal_iteratorINSA_10device_ptrIdEEEEPS6_SG_NS0_5tupleIJSF_S6_EEENSH_IJSG_SG_EEES6_PlJNSB_9not_fun_tI7is_evenIdEEEEEE10hipError_tPvRmT3_T4_T5_T6_T7_T9_mT8_P12ihipStream_tbDpT10_ENKUlT_T0_E_clISt17integral_constantIbLb1EES18_EEDaS13_S14_EUlS13_E_NS1_11comp_targetILNS1_3genE10ELNS1_11target_archE1200ELNS1_3gpuE4ELNS1_3repE0EEENS1_30default_config_static_selectorELNS0_4arch9wavefront6targetE0EEEvT1_,comdat
	.protected	_ZN7rocprim17ROCPRIM_400000_NS6detail17trampoline_kernelINS0_14default_configENS1_25partition_config_selectorILNS1_17partition_subalgoE6EdNS0_10empty_typeEbEEZZNS1_14partition_implILS5_6ELb0ES3_mN6thrust23THRUST_200600_302600_NS6detail15normal_iteratorINSA_10device_ptrIdEEEEPS6_SG_NS0_5tupleIJSF_S6_EEENSH_IJSG_SG_EEES6_PlJNSB_9not_fun_tI7is_evenIdEEEEEE10hipError_tPvRmT3_T4_T5_T6_T7_T9_mT8_P12ihipStream_tbDpT10_ENKUlT_T0_E_clISt17integral_constantIbLb1EES18_EEDaS13_S14_EUlS13_E_NS1_11comp_targetILNS1_3genE10ELNS1_11target_archE1200ELNS1_3gpuE4ELNS1_3repE0EEENS1_30default_config_static_selectorELNS0_4arch9wavefront6targetE0EEEvT1_ ; -- Begin function _ZN7rocprim17ROCPRIM_400000_NS6detail17trampoline_kernelINS0_14default_configENS1_25partition_config_selectorILNS1_17partition_subalgoE6EdNS0_10empty_typeEbEEZZNS1_14partition_implILS5_6ELb0ES3_mN6thrust23THRUST_200600_302600_NS6detail15normal_iteratorINSA_10device_ptrIdEEEEPS6_SG_NS0_5tupleIJSF_S6_EEENSH_IJSG_SG_EEES6_PlJNSB_9not_fun_tI7is_evenIdEEEEEE10hipError_tPvRmT3_T4_T5_T6_T7_T9_mT8_P12ihipStream_tbDpT10_ENKUlT_T0_E_clISt17integral_constantIbLb1EES18_EEDaS13_S14_EUlS13_E_NS1_11comp_targetILNS1_3genE10ELNS1_11target_archE1200ELNS1_3gpuE4ELNS1_3repE0EEENS1_30default_config_static_selectorELNS0_4arch9wavefront6targetE0EEEvT1_
	.globl	_ZN7rocprim17ROCPRIM_400000_NS6detail17trampoline_kernelINS0_14default_configENS1_25partition_config_selectorILNS1_17partition_subalgoE6EdNS0_10empty_typeEbEEZZNS1_14partition_implILS5_6ELb0ES3_mN6thrust23THRUST_200600_302600_NS6detail15normal_iteratorINSA_10device_ptrIdEEEEPS6_SG_NS0_5tupleIJSF_S6_EEENSH_IJSG_SG_EEES6_PlJNSB_9not_fun_tI7is_evenIdEEEEEE10hipError_tPvRmT3_T4_T5_T6_T7_T9_mT8_P12ihipStream_tbDpT10_ENKUlT_T0_E_clISt17integral_constantIbLb1EES18_EEDaS13_S14_EUlS13_E_NS1_11comp_targetILNS1_3genE10ELNS1_11target_archE1200ELNS1_3gpuE4ELNS1_3repE0EEENS1_30default_config_static_selectorELNS0_4arch9wavefront6targetE0EEEvT1_
	.p2align	8
	.type	_ZN7rocprim17ROCPRIM_400000_NS6detail17trampoline_kernelINS0_14default_configENS1_25partition_config_selectorILNS1_17partition_subalgoE6EdNS0_10empty_typeEbEEZZNS1_14partition_implILS5_6ELb0ES3_mN6thrust23THRUST_200600_302600_NS6detail15normal_iteratorINSA_10device_ptrIdEEEEPS6_SG_NS0_5tupleIJSF_S6_EEENSH_IJSG_SG_EEES6_PlJNSB_9not_fun_tI7is_evenIdEEEEEE10hipError_tPvRmT3_T4_T5_T6_T7_T9_mT8_P12ihipStream_tbDpT10_ENKUlT_T0_E_clISt17integral_constantIbLb1EES18_EEDaS13_S14_EUlS13_E_NS1_11comp_targetILNS1_3genE10ELNS1_11target_archE1200ELNS1_3gpuE4ELNS1_3repE0EEENS1_30default_config_static_selectorELNS0_4arch9wavefront6targetE0EEEvT1_,@function
_ZN7rocprim17ROCPRIM_400000_NS6detail17trampoline_kernelINS0_14default_configENS1_25partition_config_selectorILNS1_17partition_subalgoE6EdNS0_10empty_typeEbEEZZNS1_14partition_implILS5_6ELb0ES3_mN6thrust23THRUST_200600_302600_NS6detail15normal_iteratorINSA_10device_ptrIdEEEEPS6_SG_NS0_5tupleIJSF_S6_EEENSH_IJSG_SG_EEES6_PlJNSB_9not_fun_tI7is_evenIdEEEEEE10hipError_tPvRmT3_T4_T5_T6_T7_T9_mT8_P12ihipStream_tbDpT10_ENKUlT_T0_E_clISt17integral_constantIbLb1EES18_EEDaS13_S14_EUlS13_E_NS1_11comp_targetILNS1_3genE10ELNS1_11target_archE1200ELNS1_3gpuE4ELNS1_3repE0EEENS1_30default_config_static_selectorELNS0_4arch9wavefront6targetE0EEEvT1_: ; @_ZN7rocprim17ROCPRIM_400000_NS6detail17trampoline_kernelINS0_14default_configENS1_25partition_config_selectorILNS1_17partition_subalgoE6EdNS0_10empty_typeEbEEZZNS1_14partition_implILS5_6ELb0ES3_mN6thrust23THRUST_200600_302600_NS6detail15normal_iteratorINSA_10device_ptrIdEEEEPS6_SG_NS0_5tupleIJSF_S6_EEENSH_IJSG_SG_EEES6_PlJNSB_9not_fun_tI7is_evenIdEEEEEE10hipError_tPvRmT3_T4_T5_T6_T7_T9_mT8_P12ihipStream_tbDpT10_ENKUlT_T0_E_clISt17integral_constantIbLb1EES18_EEDaS13_S14_EUlS13_E_NS1_11comp_targetILNS1_3genE10ELNS1_11target_archE1200ELNS1_3gpuE4ELNS1_3repE0EEENS1_30default_config_static_selectorELNS0_4arch9wavefront6targetE0EEEvT1_
; %bb.0:
	s_endpgm
	.section	.rodata,"a",@progbits
	.p2align	6, 0x0
	.amdhsa_kernel _ZN7rocprim17ROCPRIM_400000_NS6detail17trampoline_kernelINS0_14default_configENS1_25partition_config_selectorILNS1_17partition_subalgoE6EdNS0_10empty_typeEbEEZZNS1_14partition_implILS5_6ELb0ES3_mN6thrust23THRUST_200600_302600_NS6detail15normal_iteratorINSA_10device_ptrIdEEEEPS6_SG_NS0_5tupleIJSF_S6_EEENSH_IJSG_SG_EEES6_PlJNSB_9not_fun_tI7is_evenIdEEEEEE10hipError_tPvRmT3_T4_T5_T6_T7_T9_mT8_P12ihipStream_tbDpT10_ENKUlT_T0_E_clISt17integral_constantIbLb1EES18_EEDaS13_S14_EUlS13_E_NS1_11comp_targetILNS1_3genE10ELNS1_11target_archE1200ELNS1_3gpuE4ELNS1_3repE0EEENS1_30default_config_static_selectorELNS0_4arch9wavefront6targetE0EEEvT1_
		.amdhsa_group_segment_fixed_size 0
		.amdhsa_private_segment_fixed_size 0
		.amdhsa_kernarg_size 128
		.amdhsa_user_sgpr_count 2
		.amdhsa_user_sgpr_dispatch_ptr 0
		.amdhsa_user_sgpr_queue_ptr 0
		.amdhsa_user_sgpr_kernarg_segment_ptr 1
		.amdhsa_user_sgpr_dispatch_id 0
		.amdhsa_user_sgpr_private_segment_size 0
		.amdhsa_wavefront_size32 1
		.amdhsa_uses_dynamic_stack 0
		.amdhsa_enable_private_segment 0
		.amdhsa_system_sgpr_workgroup_id_x 1
		.amdhsa_system_sgpr_workgroup_id_y 0
		.amdhsa_system_sgpr_workgroup_id_z 0
		.amdhsa_system_sgpr_workgroup_info 0
		.amdhsa_system_vgpr_workitem_id 0
		.amdhsa_next_free_vgpr 1
		.amdhsa_next_free_sgpr 1
		.amdhsa_reserve_vcc 0
		.amdhsa_float_round_mode_32 0
		.amdhsa_float_round_mode_16_64 0
		.amdhsa_float_denorm_mode_32 3
		.amdhsa_float_denorm_mode_16_64 3
		.amdhsa_fp16_overflow 0
		.amdhsa_workgroup_processor_mode 1
		.amdhsa_memory_ordered 1
		.amdhsa_forward_progress 1
		.amdhsa_inst_pref_size 1
		.amdhsa_round_robin_scheduling 0
		.amdhsa_exception_fp_ieee_invalid_op 0
		.amdhsa_exception_fp_denorm_src 0
		.amdhsa_exception_fp_ieee_div_zero 0
		.amdhsa_exception_fp_ieee_overflow 0
		.amdhsa_exception_fp_ieee_underflow 0
		.amdhsa_exception_fp_ieee_inexact 0
		.amdhsa_exception_int_div_zero 0
	.end_amdhsa_kernel
	.section	.text._ZN7rocprim17ROCPRIM_400000_NS6detail17trampoline_kernelINS0_14default_configENS1_25partition_config_selectorILNS1_17partition_subalgoE6EdNS0_10empty_typeEbEEZZNS1_14partition_implILS5_6ELb0ES3_mN6thrust23THRUST_200600_302600_NS6detail15normal_iteratorINSA_10device_ptrIdEEEEPS6_SG_NS0_5tupleIJSF_S6_EEENSH_IJSG_SG_EEES6_PlJNSB_9not_fun_tI7is_evenIdEEEEEE10hipError_tPvRmT3_T4_T5_T6_T7_T9_mT8_P12ihipStream_tbDpT10_ENKUlT_T0_E_clISt17integral_constantIbLb1EES18_EEDaS13_S14_EUlS13_E_NS1_11comp_targetILNS1_3genE10ELNS1_11target_archE1200ELNS1_3gpuE4ELNS1_3repE0EEENS1_30default_config_static_selectorELNS0_4arch9wavefront6targetE0EEEvT1_,"axG",@progbits,_ZN7rocprim17ROCPRIM_400000_NS6detail17trampoline_kernelINS0_14default_configENS1_25partition_config_selectorILNS1_17partition_subalgoE6EdNS0_10empty_typeEbEEZZNS1_14partition_implILS5_6ELb0ES3_mN6thrust23THRUST_200600_302600_NS6detail15normal_iteratorINSA_10device_ptrIdEEEEPS6_SG_NS0_5tupleIJSF_S6_EEENSH_IJSG_SG_EEES6_PlJNSB_9not_fun_tI7is_evenIdEEEEEE10hipError_tPvRmT3_T4_T5_T6_T7_T9_mT8_P12ihipStream_tbDpT10_ENKUlT_T0_E_clISt17integral_constantIbLb1EES18_EEDaS13_S14_EUlS13_E_NS1_11comp_targetILNS1_3genE10ELNS1_11target_archE1200ELNS1_3gpuE4ELNS1_3repE0EEENS1_30default_config_static_selectorELNS0_4arch9wavefront6targetE0EEEvT1_,comdat
.Lfunc_end546:
	.size	_ZN7rocprim17ROCPRIM_400000_NS6detail17trampoline_kernelINS0_14default_configENS1_25partition_config_selectorILNS1_17partition_subalgoE6EdNS0_10empty_typeEbEEZZNS1_14partition_implILS5_6ELb0ES3_mN6thrust23THRUST_200600_302600_NS6detail15normal_iteratorINSA_10device_ptrIdEEEEPS6_SG_NS0_5tupleIJSF_S6_EEENSH_IJSG_SG_EEES6_PlJNSB_9not_fun_tI7is_evenIdEEEEEE10hipError_tPvRmT3_T4_T5_T6_T7_T9_mT8_P12ihipStream_tbDpT10_ENKUlT_T0_E_clISt17integral_constantIbLb1EES18_EEDaS13_S14_EUlS13_E_NS1_11comp_targetILNS1_3genE10ELNS1_11target_archE1200ELNS1_3gpuE4ELNS1_3repE0EEENS1_30default_config_static_selectorELNS0_4arch9wavefront6targetE0EEEvT1_, .Lfunc_end546-_ZN7rocprim17ROCPRIM_400000_NS6detail17trampoline_kernelINS0_14default_configENS1_25partition_config_selectorILNS1_17partition_subalgoE6EdNS0_10empty_typeEbEEZZNS1_14partition_implILS5_6ELb0ES3_mN6thrust23THRUST_200600_302600_NS6detail15normal_iteratorINSA_10device_ptrIdEEEEPS6_SG_NS0_5tupleIJSF_S6_EEENSH_IJSG_SG_EEES6_PlJNSB_9not_fun_tI7is_evenIdEEEEEE10hipError_tPvRmT3_T4_T5_T6_T7_T9_mT8_P12ihipStream_tbDpT10_ENKUlT_T0_E_clISt17integral_constantIbLb1EES18_EEDaS13_S14_EUlS13_E_NS1_11comp_targetILNS1_3genE10ELNS1_11target_archE1200ELNS1_3gpuE4ELNS1_3repE0EEENS1_30default_config_static_selectorELNS0_4arch9wavefront6targetE0EEEvT1_
                                        ; -- End function
	.set _ZN7rocprim17ROCPRIM_400000_NS6detail17trampoline_kernelINS0_14default_configENS1_25partition_config_selectorILNS1_17partition_subalgoE6EdNS0_10empty_typeEbEEZZNS1_14partition_implILS5_6ELb0ES3_mN6thrust23THRUST_200600_302600_NS6detail15normal_iteratorINSA_10device_ptrIdEEEEPS6_SG_NS0_5tupleIJSF_S6_EEENSH_IJSG_SG_EEES6_PlJNSB_9not_fun_tI7is_evenIdEEEEEE10hipError_tPvRmT3_T4_T5_T6_T7_T9_mT8_P12ihipStream_tbDpT10_ENKUlT_T0_E_clISt17integral_constantIbLb1EES18_EEDaS13_S14_EUlS13_E_NS1_11comp_targetILNS1_3genE10ELNS1_11target_archE1200ELNS1_3gpuE4ELNS1_3repE0EEENS1_30default_config_static_selectorELNS0_4arch9wavefront6targetE0EEEvT1_.num_vgpr, 0
	.set _ZN7rocprim17ROCPRIM_400000_NS6detail17trampoline_kernelINS0_14default_configENS1_25partition_config_selectorILNS1_17partition_subalgoE6EdNS0_10empty_typeEbEEZZNS1_14partition_implILS5_6ELb0ES3_mN6thrust23THRUST_200600_302600_NS6detail15normal_iteratorINSA_10device_ptrIdEEEEPS6_SG_NS0_5tupleIJSF_S6_EEENSH_IJSG_SG_EEES6_PlJNSB_9not_fun_tI7is_evenIdEEEEEE10hipError_tPvRmT3_T4_T5_T6_T7_T9_mT8_P12ihipStream_tbDpT10_ENKUlT_T0_E_clISt17integral_constantIbLb1EES18_EEDaS13_S14_EUlS13_E_NS1_11comp_targetILNS1_3genE10ELNS1_11target_archE1200ELNS1_3gpuE4ELNS1_3repE0EEENS1_30default_config_static_selectorELNS0_4arch9wavefront6targetE0EEEvT1_.num_agpr, 0
	.set _ZN7rocprim17ROCPRIM_400000_NS6detail17trampoline_kernelINS0_14default_configENS1_25partition_config_selectorILNS1_17partition_subalgoE6EdNS0_10empty_typeEbEEZZNS1_14partition_implILS5_6ELb0ES3_mN6thrust23THRUST_200600_302600_NS6detail15normal_iteratorINSA_10device_ptrIdEEEEPS6_SG_NS0_5tupleIJSF_S6_EEENSH_IJSG_SG_EEES6_PlJNSB_9not_fun_tI7is_evenIdEEEEEE10hipError_tPvRmT3_T4_T5_T6_T7_T9_mT8_P12ihipStream_tbDpT10_ENKUlT_T0_E_clISt17integral_constantIbLb1EES18_EEDaS13_S14_EUlS13_E_NS1_11comp_targetILNS1_3genE10ELNS1_11target_archE1200ELNS1_3gpuE4ELNS1_3repE0EEENS1_30default_config_static_selectorELNS0_4arch9wavefront6targetE0EEEvT1_.numbered_sgpr, 0
	.set _ZN7rocprim17ROCPRIM_400000_NS6detail17trampoline_kernelINS0_14default_configENS1_25partition_config_selectorILNS1_17partition_subalgoE6EdNS0_10empty_typeEbEEZZNS1_14partition_implILS5_6ELb0ES3_mN6thrust23THRUST_200600_302600_NS6detail15normal_iteratorINSA_10device_ptrIdEEEEPS6_SG_NS0_5tupleIJSF_S6_EEENSH_IJSG_SG_EEES6_PlJNSB_9not_fun_tI7is_evenIdEEEEEE10hipError_tPvRmT3_T4_T5_T6_T7_T9_mT8_P12ihipStream_tbDpT10_ENKUlT_T0_E_clISt17integral_constantIbLb1EES18_EEDaS13_S14_EUlS13_E_NS1_11comp_targetILNS1_3genE10ELNS1_11target_archE1200ELNS1_3gpuE4ELNS1_3repE0EEENS1_30default_config_static_selectorELNS0_4arch9wavefront6targetE0EEEvT1_.num_named_barrier, 0
	.set _ZN7rocprim17ROCPRIM_400000_NS6detail17trampoline_kernelINS0_14default_configENS1_25partition_config_selectorILNS1_17partition_subalgoE6EdNS0_10empty_typeEbEEZZNS1_14partition_implILS5_6ELb0ES3_mN6thrust23THRUST_200600_302600_NS6detail15normal_iteratorINSA_10device_ptrIdEEEEPS6_SG_NS0_5tupleIJSF_S6_EEENSH_IJSG_SG_EEES6_PlJNSB_9not_fun_tI7is_evenIdEEEEEE10hipError_tPvRmT3_T4_T5_T6_T7_T9_mT8_P12ihipStream_tbDpT10_ENKUlT_T0_E_clISt17integral_constantIbLb1EES18_EEDaS13_S14_EUlS13_E_NS1_11comp_targetILNS1_3genE10ELNS1_11target_archE1200ELNS1_3gpuE4ELNS1_3repE0EEENS1_30default_config_static_selectorELNS0_4arch9wavefront6targetE0EEEvT1_.private_seg_size, 0
	.set _ZN7rocprim17ROCPRIM_400000_NS6detail17trampoline_kernelINS0_14default_configENS1_25partition_config_selectorILNS1_17partition_subalgoE6EdNS0_10empty_typeEbEEZZNS1_14partition_implILS5_6ELb0ES3_mN6thrust23THRUST_200600_302600_NS6detail15normal_iteratorINSA_10device_ptrIdEEEEPS6_SG_NS0_5tupleIJSF_S6_EEENSH_IJSG_SG_EEES6_PlJNSB_9not_fun_tI7is_evenIdEEEEEE10hipError_tPvRmT3_T4_T5_T6_T7_T9_mT8_P12ihipStream_tbDpT10_ENKUlT_T0_E_clISt17integral_constantIbLb1EES18_EEDaS13_S14_EUlS13_E_NS1_11comp_targetILNS1_3genE10ELNS1_11target_archE1200ELNS1_3gpuE4ELNS1_3repE0EEENS1_30default_config_static_selectorELNS0_4arch9wavefront6targetE0EEEvT1_.uses_vcc, 0
	.set _ZN7rocprim17ROCPRIM_400000_NS6detail17trampoline_kernelINS0_14default_configENS1_25partition_config_selectorILNS1_17partition_subalgoE6EdNS0_10empty_typeEbEEZZNS1_14partition_implILS5_6ELb0ES3_mN6thrust23THRUST_200600_302600_NS6detail15normal_iteratorINSA_10device_ptrIdEEEEPS6_SG_NS0_5tupleIJSF_S6_EEENSH_IJSG_SG_EEES6_PlJNSB_9not_fun_tI7is_evenIdEEEEEE10hipError_tPvRmT3_T4_T5_T6_T7_T9_mT8_P12ihipStream_tbDpT10_ENKUlT_T0_E_clISt17integral_constantIbLb1EES18_EEDaS13_S14_EUlS13_E_NS1_11comp_targetILNS1_3genE10ELNS1_11target_archE1200ELNS1_3gpuE4ELNS1_3repE0EEENS1_30default_config_static_selectorELNS0_4arch9wavefront6targetE0EEEvT1_.uses_flat_scratch, 0
	.set _ZN7rocprim17ROCPRIM_400000_NS6detail17trampoline_kernelINS0_14default_configENS1_25partition_config_selectorILNS1_17partition_subalgoE6EdNS0_10empty_typeEbEEZZNS1_14partition_implILS5_6ELb0ES3_mN6thrust23THRUST_200600_302600_NS6detail15normal_iteratorINSA_10device_ptrIdEEEEPS6_SG_NS0_5tupleIJSF_S6_EEENSH_IJSG_SG_EEES6_PlJNSB_9not_fun_tI7is_evenIdEEEEEE10hipError_tPvRmT3_T4_T5_T6_T7_T9_mT8_P12ihipStream_tbDpT10_ENKUlT_T0_E_clISt17integral_constantIbLb1EES18_EEDaS13_S14_EUlS13_E_NS1_11comp_targetILNS1_3genE10ELNS1_11target_archE1200ELNS1_3gpuE4ELNS1_3repE0EEENS1_30default_config_static_selectorELNS0_4arch9wavefront6targetE0EEEvT1_.has_dyn_sized_stack, 0
	.set _ZN7rocprim17ROCPRIM_400000_NS6detail17trampoline_kernelINS0_14default_configENS1_25partition_config_selectorILNS1_17partition_subalgoE6EdNS0_10empty_typeEbEEZZNS1_14partition_implILS5_6ELb0ES3_mN6thrust23THRUST_200600_302600_NS6detail15normal_iteratorINSA_10device_ptrIdEEEEPS6_SG_NS0_5tupleIJSF_S6_EEENSH_IJSG_SG_EEES6_PlJNSB_9not_fun_tI7is_evenIdEEEEEE10hipError_tPvRmT3_T4_T5_T6_T7_T9_mT8_P12ihipStream_tbDpT10_ENKUlT_T0_E_clISt17integral_constantIbLb1EES18_EEDaS13_S14_EUlS13_E_NS1_11comp_targetILNS1_3genE10ELNS1_11target_archE1200ELNS1_3gpuE4ELNS1_3repE0EEENS1_30default_config_static_selectorELNS0_4arch9wavefront6targetE0EEEvT1_.has_recursion, 0
	.set _ZN7rocprim17ROCPRIM_400000_NS6detail17trampoline_kernelINS0_14default_configENS1_25partition_config_selectorILNS1_17partition_subalgoE6EdNS0_10empty_typeEbEEZZNS1_14partition_implILS5_6ELb0ES3_mN6thrust23THRUST_200600_302600_NS6detail15normal_iteratorINSA_10device_ptrIdEEEEPS6_SG_NS0_5tupleIJSF_S6_EEENSH_IJSG_SG_EEES6_PlJNSB_9not_fun_tI7is_evenIdEEEEEE10hipError_tPvRmT3_T4_T5_T6_T7_T9_mT8_P12ihipStream_tbDpT10_ENKUlT_T0_E_clISt17integral_constantIbLb1EES18_EEDaS13_S14_EUlS13_E_NS1_11comp_targetILNS1_3genE10ELNS1_11target_archE1200ELNS1_3gpuE4ELNS1_3repE0EEENS1_30default_config_static_selectorELNS0_4arch9wavefront6targetE0EEEvT1_.has_indirect_call, 0
	.section	.AMDGPU.csdata,"",@progbits
; Kernel info:
; codeLenInByte = 4
; TotalNumSgprs: 0
; NumVgprs: 0
; ScratchSize: 0
; MemoryBound: 0
; FloatMode: 240
; IeeeMode: 1
; LDSByteSize: 0 bytes/workgroup (compile time only)
; SGPRBlocks: 0
; VGPRBlocks: 0
; NumSGPRsForWavesPerEU: 1
; NumVGPRsForWavesPerEU: 1
; Occupancy: 16
; WaveLimiterHint : 0
; COMPUTE_PGM_RSRC2:SCRATCH_EN: 0
; COMPUTE_PGM_RSRC2:USER_SGPR: 2
; COMPUTE_PGM_RSRC2:TRAP_HANDLER: 0
; COMPUTE_PGM_RSRC2:TGID_X_EN: 1
; COMPUTE_PGM_RSRC2:TGID_Y_EN: 0
; COMPUTE_PGM_RSRC2:TGID_Z_EN: 0
; COMPUTE_PGM_RSRC2:TIDIG_COMP_CNT: 0
	.section	.text._ZN7rocprim17ROCPRIM_400000_NS6detail17trampoline_kernelINS0_14default_configENS1_25partition_config_selectorILNS1_17partition_subalgoE6EdNS0_10empty_typeEbEEZZNS1_14partition_implILS5_6ELb0ES3_mN6thrust23THRUST_200600_302600_NS6detail15normal_iteratorINSA_10device_ptrIdEEEEPS6_SG_NS0_5tupleIJSF_S6_EEENSH_IJSG_SG_EEES6_PlJNSB_9not_fun_tI7is_evenIdEEEEEE10hipError_tPvRmT3_T4_T5_T6_T7_T9_mT8_P12ihipStream_tbDpT10_ENKUlT_T0_E_clISt17integral_constantIbLb1EES18_EEDaS13_S14_EUlS13_E_NS1_11comp_targetILNS1_3genE9ELNS1_11target_archE1100ELNS1_3gpuE3ELNS1_3repE0EEENS1_30default_config_static_selectorELNS0_4arch9wavefront6targetE0EEEvT1_,"axG",@progbits,_ZN7rocprim17ROCPRIM_400000_NS6detail17trampoline_kernelINS0_14default_configENS1_25partition_config_selectorILNS1_17partition_subalgoE6EdNS0_10empty_typeEbEEZZNS1_14partition_implILS5_6ELb0ES3_mN6thrust23THRUST_200600_302600_NS6detail15normal_iteratorINSA_10device_ptrIdEEEEPS6_SG_NS0_5tupleIJSF_S6_EEENSH_IJSG_SG_EEES6_PlJNSB_9not_fun_tI7is_evenIdEEEEEE10hipError_tPvRmT3_T4_T5_T6_T7_T9_mT8_P12ihipStream_tbDpT10_ENKUlT_T0_E_clISt17integral_constantIbLb1EES18_EEDaS13_S14_EUlS13_E_NS1_11comp_targetILNS1_3genE9ELNS1_11target_archE1100ELNS1_3gpuE3ELNS1_3repE0EEENS1_30default_config_static_selectorELNS0_4arch9wavefront6targetE0EEEvT1_,comdat
	.protected	_ZN7rocprim17ROCPRIM_400000_NS6detail17trampoline_kernelINS0_14default_configENS1_25partition_config_selectorILNS1_17partition_subalgoE6EdNS0_10empty_typeEbEEZZNS1_14partition_implILS5_6ELb0ES3_mN6thrust23THRUST_200600_302600_NS6detail15normal_iteratorINSA_10device_ptrIdEEEEPS6_SG_NS0_5tupleIJSF_S6_EEENSH_IJSG_SG_EEES6_PlJNSB_9not_fun_tI7is_evenIdEEEEEE10hipError_tPvRmT3_T4_T5_T6_T7_T9_mT8_P12ihipStream_tbDpT10_ENKUlT_T0_E_clISt17integral_constantIbLb1EES18_EEDaS13_S14_EUlS13_E_NS1_11comp_targetILNS1_3genE9ELNS1_11target_archE1100ELNS1_3gpuE3ELNS1_3repE0EEENS1_30default_config_static_selectorELNS0_4arch9wavefront6targetE0EEEvT1_ ; -- Begin function _ZN7rocprim17ROCPRIM_400000_NS6detail17trampoline_kernelINS0_14default_configENS1_25partition_config_selectorILNS1_17partition_subalgoE6EdNS0_10empty_typeEbEEZZNS1_14partition_implILS5_6ELb0ES3_mN6thrust23THRUST_200600_302600_NS6detail15normal_iteratorINSA_10device_ptrIdEEEEPS6_SG_NS0_5tupleIJSF_S6_EEENSH_IJSG_SG_EEES6_PlJNSB_9not_fun_tI7is_evenIdEEEEEE10hipError_tPvRmT3_T4_T5_T6_T7_T9_mT8_P12ihipStream_tbDpT10_ENKUlT_T0_E_clISt17integral_constantIbLb1EES18_EEDaS13_S14_EUlS13_E_NS1_11comp_targetILNS1_3genE9ELNS1_11target_archE1100ELNS1_3gpuE3ELNS1_3repE0EEENS1_30default_config_static_selectorELNS0_4arch9wavefront6targetE0EEEvT1_
	.globl	_ZN7rocprim17ROCPRIM_400000_NS6detail17trampoline_kernelINS0_14default_configENS1_25partition_config_selectorILNS1_17partition_subalgoE6EdNS0_10empty_typeEbEEZZNS1_14partition_implILS5_6ELb0ES3_mN6thrust23THRUST_200600_302600_NS6detail15normal_iteratorINSA_10device_ptrIdEEEEPS6_SG_NS0_5tupleIJSF_S6_EEENSH_IJSG_SG_EEES6_PlJNSB_9not_fun_tI7is_evenIdEEEEEE10hipError_tPvRmT3_T4_T5_T6_T7_T9_mT8_P12ihipStream_tbDpT10_ENKUlT_T0_E_clISt17integral_constantIbLb1EES18_EEDaS13_S14_EUlS13_E_NS1_11comp_targetILNS1_3genE9ELNS1_11target_archE1100ELNS1_3gpuE3ELNS1_3repE0EEENS1_30default_config_static_selectorELNS0_4arch9wavefront6targetE0EEEvT1_
	.p2align	8
	.type	_ZN7rocprim17ROCPRIM_400000_NS6detail17trampoline_kernelINS0_14default_configENS1_25partition_config_selectorILNS1_17partition_subalgoE6EdNS0_10empty_typeEbEEZZNS1_14partition_implILS5_6ELb0ES3_mN6thrust23THRUST_200600_302600_NS6detail15normal_iteratorINSA_10device_ptrIdEEEEPS6_SG_NS0_5tupleIJSF_S6_EEENSH_IJSG_SG_EEES6_PlJNSB_9not_fun_tI7is_evenIdEEEEEE10hipError_tPvRmT3_T4_T5_T6_T7_T9_mT8_P12ihipStream_tbDpT10_ENKUlT_T0_E_clISt17integral_constantIbLb1EES18_EEDaS13_S14_EUlS13_E_NS1_11comp_targetILNS1_3genE9ELNS1_11target_archE1100ELNS1_3gpuE3ELNS1_3repE0EEENS1_30default_config_static_selectorELNS0_4arch9wavefront6targetE0EEEvT1_,@function
_ZN7rocprim17ROCPRIM_400000_NS6detail17trampoline_kernelINS0_14default_configENS1_25partition_config_selectorILNS1_17partition_subalgoE6EdNS0_10empty_typeEbEEZZNS1_14partition_implILS5_6ELb0ES3_mN6thrust23THRUST_200600_302600_NS6detail15normal_iteratorINSA_10device_ptrIdEEEEPS6_SG_NS0_5tupleIJSF_S6_EEENSH_IJSG_SG_EEES6_PlJNSB_9not_fun_tI7is_evenIdEEEEEE10hipError_tPvRmT3_T4_T5_T6_T7_T9_mT8_P12ihipStream_tbDpT10_ENKUlT_T0_E_clISt17integral_constantIbLb1EES18_EEDaS13_S14_EUlS13_E_NS1_11comp_targetILNS1_3genE9ELNS1_11target_archE1100ELNS1_3gpuE3ELNS1_3repE0EEENS1_30default_config_static_selectorELNS0_4arch9wavefront6targetE0EEEvT1_: ; @_ZN7rocprim17ROCPRIM_400000_NS6detail17trampoline_kernelINS0_14default_configENS1_25partition_config_selectorILNS1_17partition_subalgoE6EdNS0_10empty_typeEbEEZZNS1_14partition_implILS5_6ELb0ES3_mN6thrust23THRUST_200600_302600_NS6detail15normal_iteratorINSA_10device_ptrIdEEEEPS6_SG_NS0_5tupleIJSF_S6_EEENSH_IJSG_SG_EEES6_PlJNSB_9not_fun_tI7is_evenIdEEEEEE10hipError_tPvRmT3_T4_T5_T6_T7_T9_mT8_P12ihipStream_tbDpT10_ENKUlT_T0_E_clISt17integral_constantIbLb1EES18_EEDaS13_S14_EUlS13_E_NS1_11comp_targetILNS1_3genE9ELNS1_11target_archE1100ELNS1_3gpuE3ELNS1_3repE0EEENS1_30default_config_static_selectorELNS0_4arch9wavefront6targetE0EEEvT1_
; %bb.0:
	.section	.rodata,"a",@progbits
	.p2align	6, 0x0
	.amdhsa_kernel _ZN7rocprim17ROCPRIM_400000_NS6detail17trampoline_kernelINS0_14default_configENS1_25partition_config_selectorILNS1_17partition_subalgoE6EdNS0_10empty_typeEbEEZZNS1_14partition_implILS5_6ELb0ES3_mN6thrust23THRUST_200600_302600_NS6detail15normal_iteratorINSA_10device_ptrIdEEEEPS6_SG_NS0_5tupleIJSF_S6_EEENSH_IJSG_SG_EEES6_PlJNSB_9not_fun_tI7is_evenIdEEEEEE10hipError_tPvRmT3_T4_T5_T6_T7_T9_mT8_P12ihipStream_tbDpT10_ENKUlT_T0_E_clISt17integral_constantIbLb1EES18_EEDaS13_S14_EUlS13_E_NS1_11comp_targetILNS1_3genE9ELNS1_11target_archE1100ELNS1_3gpuE3ELNS1_3repE0EEENS1_30default_config_static_selectorELNS0_4arch9wavefront6targetE0EEEvT1_
		.amdhsa_group_segment_fixed_size 0
		.amdhsa_private_segment_fixed_size 0
		.amdhsa_kernarg_size 128
		.amdhsa_user_sgpr_count 2
		.amdhsa_user_sgpr_dispatch_ptr 0
		.amdhsa_user_sgpr_queue_ptr 0
		.amdhsa_user_sgpr_kernarg_segment_ptr 1
		.amdhsa_user_sgpr_dispatch_id 0
		.amdhsa_user_sgpr_private_segment_size 0
		.amdhsa_wavefront_size32 1
		.amdhsa_uses_dynamic_stack 0
		.amdhsa_enable_private_segment 0
		.amdhsa_system_sgpr_workgroup_id_x 1
		.amdhsa_system_sgpr_workgroup_id_y 0
		.amdhsa_system_sgpr_workgroup_id_z 0
		.amdhsa_system_sgpr_workgroup_info 0
		.amdhsa_system_vgpr_workitem_id 0
		.amdhsa_next_free_vgpr 1
		.amdhsa_next_free_sgpr 1
		.amdhsa_reserve_vcc 0
		.amdhsa_float_round_mode_32 0
		.amdhsa_float_round_mode_16_64 0
		.amdhsa_float_denorm_mode_32 3
		.amdhsa_float_denorm_mode_16_64 3
		.amdhsa_fp16_overflow 0
		.amdhsa_workgroup_processor_mode 1
		.amdhsa_memory_ordered 1
		.amdhsa_forward_progress 1
		.amdhsa_inst_pref_size 0
		.amdhsa_round_robin_scheduling 0
		.amdhsa_exception_fp_ieee_invalid_op 0
		.amdhsa_exception_fp_denorm_src 0
		.amdhsa_exception_fp_ieee_div_zero 0
		.amdhsa_exception_fp_ieee_overflow 0
		.amdhsa_exception_fp_ieee_underflow 0
		.amdhsa_exception_fp_ieee_inexact 0
		.amdhsa_exception_int_div_zero 0
	.end_amdhsa_kernel
	.section	.text._ZN7rocprim17ROCPRIM_400000_NS6detail17trampoline_kernelINS0_14default_configENS1_25partition_config_selectorILNS1_17partition_subalgoE6EdNS0_10empty_typeEbEEZZNS1_14partition_implILS5_6ELb0ES3_mN6thrust23THRUST_200600_302600_NS6detail15normal_iteratorINSA_10device_ptrIdEEEEPS6_SG_NS0_5tupleIJSF_S6_EEENSH_IJSG_SG_EEES6_PlJNSB_9not_fun_tI7is_evenIdEEEEEE10hipError_tPvRmT3_T4_T5_T6_T7_T9_mT8_P12ihipStream_tbDpT10_ENKUlT_T0_E_clISt17integral_constantIbLb1EES18_EEDaS13_S14_EUlS13_E_NS1_11comp_targetILNS1_3genE9ELNS1_11target_archE1100ELNS1_3gpuE3ELNS1_3repE0EEENS1_30default_config_static_selectorELNS0_4arch9wavefront6targetE0EEEvT1_,"axG",@progbits,_ZN7rocprim17ROCPRIM_400000_NS6detail17trampoline_kernelINS0_14default_configENS1_25partition_config_selectorILNS1_17partition_subalgoE6EdNS0_10empty_typeEbEEZZNS1_14partition_implILS5_6ELb0ES3_mN6thrust23THRUST_200600_302600_NS6detail15normal_iteratorINSA_10device_ptrIdEEEEPS6_SG_NS0_5tupleIJSF_S6_EEENSH_IJSG_SG_EEES6_PlJNSB_9not_fun_tI7is_evenIdEEEEEE10hipError_tPvRmT3_T4_T5_T6_T7_T9_mT8_P12ihipStream_tbDpT10_ENKUlT_T0_E_clISt17integral_constantIbLb1EES18_EEDaS13_S14_EUlS13_E_NS1_11comp_targetILNS1_3genE9ELNS1_11target_archE1100ELNS1_3gpuE3ELNS1_3repE0EEENS1_30default_config_static_selectorELNS0_4arch9wavefront6targetE0EEEvT1_,comdat
.Lfunc_end547:
	.size	_ZN7rocprim17ROCPRIM_400000_NS6detail17trampoline_kernelINS0_14default_configENS1_25partition_config_selectorILNS1_17partition_subalgoE6EdNS0_10empty_typeEbEEZZNS1_14partition_implILS5_6ELb0ES3_mN6thrust23THRUST_200600_302600_NS6detail15normal_iteratorINSA_10device_ptrIdEEEEPS6_SG_NS0_5tupleIJSF_S6_EEENSH_IJSG_SG_EEES6_PlJNSB_9not_fun_tI7is_evenIdEEEEEE10hipError_tPvRmT3_T4_T5_T6_T7_T9_mT8_P12ihipStream_tbDpT10_ENKUlT_T0_E_clISt17integral_constantIbLb1EES18_EEDaS13_S14_EUlS13_E_NS1_11comp_targetILNS1_3genE9ELNS1_11target_archE1100ELNS1_3gpuE3ELNS1_3repE0EEENS1_30default_config_static_selectorELNS0_4arch9wavefront6targetE0EEEvT1_, .Lfunc_end547-_ZN7rocprim17ROCPRIM_400000_NS6detail17trampoline_kernelINS0_14default_configENS1_25partition_config_selectorILNS1_17partition_subalgoE6EdNS0_10empty_typeEbEEZZNS1_14partition_implILS5_6ELb0ES3_mN6thrust23THRUST_200600_302600_NS6detail15normal_iteratorINSA_10device_ptrIdEEEEPS6_SG_NS0_5tupleIJSF_S6_EEENSH_IJSG_SG_EEES6_PlJNSB_9not_fun_tI7is_evenIdEEEEEE10hipError_tPvRmT3_T4_T5_T6_T7_T9_mT8_P12ihipStream_tbDpT10_ENKUlT_T0_E_clISt17integral_constantIbLb1EES18_EEDaS13_S14_EUlS13_E_NS1_11comp_targetILNS1_3genE9ELNS1_11target_archE1100ELNS1_3gpuE3ELNS1_3repE0EEENS1_30default_config_static_selectorELNS0_4arch9wavefront6targetE0EEEvT1_
                                        ; -- End function
	.set _ZN7rocprim17ROCPRIM_400000_NS6detail17trampoline_kernelINS0_14default_configENS1_25partition_config_selectorILNS1_17partition_subalgoE6EdNS0_10empty_typeEbEEZZNS1_14partition_implILS5_6ELb0ES3_mN6thrust23THRUST_200600_302600_NS6detail15normal_iteratorINSA_10device_ptrIdEEEEPS6_SG_NS0_5tupleIJSF_S6_EEENSH_IJSG_SG_EEES6_PlJNSB_9not_fun_tI7is_evenIdEEEEEE10hipError_tPvRmT3_T4_T5_T6_T7_T9_mT8_P12ihipStream_tbDpT10_ENKUlT_T0_E_clISt17integral_constantIbLb1EES18_EEDaS13_S14_EUlS13_E_NS1_11comp_targetILNS1_3genE9ELNS1_11target_archE1100ELNS1_3gpuE3ELNS1_3repE0EEENS1_30default_config_static_selectorELNS0_4arch9wavefront6targetE0EEEvT1_.num_vgpr, 0
	.set _ZN7rocprim17ROCPRIM_400000_NS6detail17trampoline_kernelINS0_14default_configENS1_25partition_config_selectorILNS1_17partition_subalgoE6EdNS0_10empty_typeEbEEZZNS1_14partition_implILS5_6ELb0ES3_mN6thrust23THRUST_200600_302600_NS6detail15normal_iteratorINSA_10device_ptrIdEEEEPS6_SG_NS0_5tupleIJSF_S6_EEENSH_IJSG_SG_EEES6_PlJNSB_9not_fun_tI7is_evenIdEEEEEE10hipError_tPvRmT3_T4_T5_T6_T7_T9_mT8_P12ihipStream_tbDpT10_ENKUlT_T0_E_clISt17integral_constantIbLb1EES18_EEDaS13_S14_EUlS13_E_NS1_11comp_targetILNS1_3genE9ELNS1_11target_archE1100ELNS1_3gpuE3ELNS1_3repE0EEENS1_30default_config_static_selectorELNS0_4arch9wavefront6targetE0EEEvT1_.num_agpr, 0
	.set _ZN7rocprim17ROCPRIM_400000_NS6detail17trampoline_kernelINS0_14default_configENS1_25partition_config_selectorILNS1_17partition_subalgoE6EdNS0_10empty_typeEbEEZZNS1_14partition_implILS5_6ELb0ES3_mN6thrust23THRUST_200600_302600_NS6detail15normal_iteratorINSA_10device_ptrIdEEEEPS6_SG_NS0_5tupleIJSF_S6_EEENSH_IJSG_SG_EEES6_PlJNSB_9not_fun_tI7is_evenIdEEEEEE10hipError_tPvRmT3_T4_T5_T6_T7_T9_mT8_P12ihipStream_tbDpT10_ENKUlT_T0_E_clISt17integral_constantIbLb1EES18_EEDaS13_S14_EUlS13_E_NS1_11comp_targetILNS1_3genE9ELNS1_11target_archE1100ELNS1_3gpuE3ELNS1_3repE0EEENS1_30default_config_static_selectorELNS0_4arch9wavefront6targetE0EEEvT1_.numbered_sgpr, 0
	.set _ZN7rocprim17ROCPRIM_400000_NS6detail17trampoline_kernelINS0_14default_configENS1_25partition_config_selectorILNS1_17partition_subalgoE6EdNS0_10empty_typeEbEEZZNS1_14partition_implILS5_6ELb0ES3_mN6thrust23THRUST_200600_302600_NS6detail15normal_iteratorINSA_10device_ptrIdEEEEPS6_SG_NS0_5tupleIJSF_S6_EEENSH_IJSG_SG_EEES6_PlJNSB_9not_fun_tI7is_evenIdEEEEEE10hipError_tPvRmT3_T4_T5_T6_T7_T9_mT8_P12ihipStream_tbDpT10_ENKUlT_T0_E_clISt17integral_constantIbLb1EES18_EEDaS13_S14_EUlS13_E_NS1_11comp_targetILNS1_3genE9ELNS1_11target_archE1100ELNS1_3gpuE3ELNS1_3repE0EEENS1_30default_config_static_selectorELNS0_4arch9wavefront6targetE0EEEvT1_.num_named_barrier, 0
	.set _ZN7rocprim17ROCPRIM_400000_NS6detail17trampoline_kernelINS0_14default_configENS1_25partition_config_selectorILNS1_17partition_subalgoE6EdNS0_10empty_typeEbEEZZNS1_14partition_implILS5_6ELb0ES3_mN6thrust23THRUST_200600_302600_NS6detail15normal_iteratorINSA_10device_ptrIdEEEEPS6_SG_NS0_5tupleIJSF_S6_EEENSH_IJSG_SG_EEES6_PlJNSB_9not_fun_tI7is_evenIdEEEEEE10hipError_tPvRmT3_T4_T5_T6_T7_T9_mT8_P12ihipStream_tbDpT10_ENKUlT_T0_E_clISt17integral_constantIbLb1EES18_EEDaS13_S14_EUlS13_E_NS1_11comp_targetILNS1_3genE9ELNS1_11target_archE1100ELNS1_3gpuE3ELNS1_3repE0EEENS1_30default_config_static_selectorELNS0_4arch9wavefront6targetE0EEEvT1_.private_seg_size, 0
	.set _ZN7rocprim17ROCPRIM_400000_NS6detail17trampoline_kernelINS0_14default_configENS1_25partition_config_selectorILNS1_17partition_subalgoE6EdNS0_10empty_typeEbEEZZNS1_14partition_implILS5_6ELb0ES3_mN6thrust23THRUST_200600_302600_NS6detail15normal_iteratorINSA_10device_ptrIdEEEEPS6_SG_NS0_5tupleIJSF_S6_EEENSH_IJSG_SG_EEES6_PlJNSB_9not_fun_tI7is_evenIdEEEEEE10hipError_tPvRmT3_T4_T5_T6_T7_T9_mT8_P12ihipStream_tbDpT10_ENKUlT_T0_E_clISt17integral_constantIbLb1EES18_EEDaS13_S14_EUlS13_E_NS1_11comp_targetILNS1_3genE9ELNS1_11target_archE1100ELNS1_3gpuE3ELNS1_3repE0EEENS1_30default_config_static_selectorELNS0_4arch9wavefront6targetE0EEEvT1_.uses_vcc, 0
	.set _ZN7rocprim17ROCPRIM_400000_NS6detail17trampoline_kernelINS0_14default_configENS1_25partition_config_selectorILNS1_17partition_subalgoE6EdNS0_10empty_typeEbEEZZNS1_14partition_implILS5_6ELb0ES3_mN6thrust23THRUST_200600_302600_NS6detail15normal_iteratorINSA_10device_ptrIdEEEEPS6_SG_NS0_5tupleIJSF_S6_EEENSH_IJSG_SG_EEES6_PlJNSB_9not_fun_tI7is_evenIdEEEEEE10hipError_tPvRmT3_T4_T5_T6_T7_T9_mT8_P12ihipStream_tbDpT10_ENKUlT_T0_E_clISt17integral_constantIbLb1EES18_EEDaS13_S14_EUlS13_E_NS1_11comp_targetILNS1_3genE9ELNS1_11target_archE1100ELNS1_3gpuE3ELNS1_3repE0EEENS1_30default_config_static_selectorELNS0_4arch9wavefront6targetE0EEEvT1_.uses_flat_scratch, 0
	.set _ZN7rocprim17ROCPRIM_400000_NS6detail17trampoline_kernelINS0_14default_configENS1_25partition_config_selectorILNS1_17partition_subalgoE6EdNS0_10empty_typeEbEEZZNS1_14partition_implILS5_6ELb0ES3_mN6thrust23THRUST_200600_302600_NS6detail15normal_iteratorINSA_10device_ptrIdEEEEPS6_SG_NS0_5tupleIJSF_S6_EEENSH_IJSG_SG_EEES6_PlJNSB_9not_fun_tI7is_evenIdEEEEEE10hipError_tPvRmT3_T4_T5_T6_T7_T9_mT8_P12ihipStream_tbDpT10_ENKUlT_T0_E_clISt17integral_constantIbLb1EES18_EEDaS13_S14_EUlS13_E_NS1_11comp_targetILNS1_3genE9ELNS1_11target_archE1100ELNS1_3gpuE3ELNS1_3repE0EEENS1_30default_config_static_selectorELNS0_4arch9wavefront6targetE0EEEvT1_.has_dyn_sized_stack, 0
	.set _ZN7rocprim17ROCPRIM_400000_NS6detail17trampoline_kernelINS0_14default_configENS1_25partition_config_selectorILNS1_17partition_subalgoE6EdNS0_10empty_typeEbEEZZNS1_14partition_implILS5_6ELb0ES3_mN6thrust23THRUST_200600_302600_NS6detail15normal_iteratorINSA_10device_ptrIdEEEEPS6_SG_NS0_5tupleIJSF_S6_EEENSH_IJSG_SG_EEES6_PlJNSB_9not_fun_tI7is_evenIdEEEEEE10hipError_tPvRmT3_T4_T5_T6_T7_T9_mT8_P12ihipStream_tbDpT10_ENKUlT_T0_E_clISt17integral_constantIbLb1EES18_EEDaS13_S14_EUlS13_E_NS1_11comp_targetILNS1_3genE9ELNS1_11target_archE1100ELNS1_3gpuE3ELNS1_3repE0EEENS1_30default_config_static_selectorELNS0_4arch9wavefront6targetE0EEEvT1_.has_recursion, 0
	.set _ZN7rocprim17ROCPRIM_400000_NS6detail17trampoline_kernelINS0_14default_configENS1_25partition_config_selectorILNS1_17partition_subalgoE6EdNS0_10empty_typeEbEEZZNS1_14partition_implILS5_6ELb0ES3_mN6thrust23THRUST_200600_302600_NS6detail15normal_iteratorINSA_10device_ptrIdEEEEPS6_SG_NS0_5tupleIJSF_S6_EEENSH_IJSG_SG_EEES6_PlJNSB_9not_fun_tI7is_evenIdEEEEEE10hipError_tPvRmT3_T4_T5_T6_T7_T9_mT8_P12ihipStream_tbDpT10_ENKUlT_T0_E_clISt17integral_constantIbLb1EES18_EEDaS13_S14_EUlS13_E_NS1_11comp_targetILNS1_3genE9ELNS1_11target_archE1100ELNS1_3gpuE3ELNS1_3repE0EEENS1_30default_config_static_selectorELNS0_4arch9wavefront6targetE0EEEvT1_.has_indirect_call, 0
	.section	.AMDGPU.csdata,"",@progbits
; Kernel info:
; codeLenInByte = 0
; TotalNumSgprs: 0
; NumVgprs: 0
; ScratchSize: 0
; MemoryBound: 0
; FloatMode: 240
; IeeeMode: 1
; LDSByteSize: 0 bytes/workgroup (compile time only)
; SGPRBlocks: 0
; VGPRBlocks: 0
; NumSGPRsForWavesPerEU: 1
; NumVGPRsForWavesPerEU: 1
; Occupancy: 16
; WaveLimiterHint : 0
; COMPUTE_PGM_RSRC2:SCRATCH_EN: 0
; COMPUTE_PGM_RSRC2:USER_SGPR: 2
; COMPUTE_PGM_RSRC2:TRAP_HANDLER: 0
; COMPUTE_PGM_RSRC2:TGID_X_EN: 1
; COMPUTE_PGM_RSRC2:TGID_Y_EN: 0
; COMPUTE_PGM_RSRC2:TGID_Z_EN: 0
; COMPUTE_PGM_RSRC2:TIDIG_COMP_CNT: 0
	.section	.text._ZN7rocprim17ROCPRIM_400000_NS6detail17trampoline_kernelINS0_14default_configENS1_25partition_config_selectorILNS1_17partition_subalgoE6EdNS0_10empty_typeEbEEZZNS1_14partition_implILS5_6ELb0ES3_mN6thrust23THRUST_200600_302600_NS6detail15normal_iteratorINSA_10device_ptrIdEEEEPS6_SG_NS0_5tupleIJSF_S6_EEENSH_IJSG_SG_EEES6_PlJNSB_9not_fun_tI7is_evenIdEEEEEE10hipError_tPvRmT3_T4_T5_T6_T7_T9_mT8_P12ihipStream_tbDpT10_ENKUlT_T0_E_clISt17integral_constantIbLb1EES18_EEDaS13_S14_EUlS13_E_NS1_11comp_targetILNS1_3genE8ELNS1_11target_archE1030ELNS1_3gpuE2ELNS1_3repE0EEENS1_30default_config_static_selectorELNS0_4arch9wavefront6targetE0EEEvT1_,"axG",@progbits,_ZN7rocprim17ROCPRIM_400000_NS6detail17trampoline_kernelINS0_14default_configENS1_25partition_config_selectorILNS1_17partition_subalgoE6EdNS0_10empty_typeEbEEZZNS1_14partition_implILS5_6ELb0ES3_mN6thrust23THRUST_200600_302600_NS6detail15normal_iteratorINSA_10device_ptrIdEEEEPS6_SG_NS0_5tupleIJSF_S6_EEENSH_IJSG_SG_EEES6_PlJNSB_9not_fun_tI7is_evenIdEEEEEE10hipError_tPvRmT3_T4_T5_T6_T7_T9_mT8_P12ihipStream_tbDpT10_ENKUlT_T0_E_clISt17integral_constantIbLb1EES18_EEDaS13_S14_EUlS13_E_NS1_11comp_targetILNS1_3genE8ELNS1_11target_archE1030ELNS1_3gpuE2ELNS1_3repE0EEENS1_30default_config_static_selectorELNS0_4arch9wavefront6targetE0EEEvT1_,comdat
	.protected	_ZN7rocprim17ROCPRIM_400000_NS6detail17trampoline_kernelINS0_14default_configENS1_25partition_config_selectorILNS1_17partition_subalgoE6EdNS0_10empty_typeEbEEZZNS1_14partition_implILS5_6ELb0ES3_mN6thrust23THRUST_200600_302600_NS6detail15normal_iteratorINSA_10device_ptrIdEEEEPS6_SG_NS0_5tupleIJSF_S6_EEENSH_IJSG_SG_EEES6_PlJNSB_9not_fun_tI7is_evenIdEEEEEE10hipError_tPvRmT3_T4_T5_T6_T7_T9_mT8_P12ihipStream_tbDpT10_ENKUlT_T0_E_clISt17integral_constantIbLb1EES18_EEDaS13_S14_EUlS13_E_NS1_11comp_targetILNS1_3genE8ELNS1_11target_archE1030ELNS1_3gpuE2ELNS1_3repE0EEENS1_30default_config_static_selectorELNS0_4arch9wavefront6targetE0EEEvT1_ ; -- Begin function _ZN7rocprim17ROCPRIM_400000_NS6detail17trampoline_kernelINS0_14default_configENS1_25partition_config_selectorILNS1_17partition_subalgoE6EdNS0_10empty_typeEbEEZZNS1_14partition_implILS5_6ELb0ES3_mN6thrust23THRUST_200600_302600_NS6detail15normal_iteratorINSA_10device_ptrIdEEEEPS6_SG_NS0_5tupleIJSF_S6_EEENSH_IJSG_SG_EEES6_PlJNSB_9not_fun_tI7is_evenIdEEEEEE10hipError_tPvRmT3_T4_T5_T6_T7_T9_mT8_P12ihipStream_tbDpT10_ENKUlT_T0_E_clISt17integral_constantIbLb1EES18_EEDaS13_S14_EUlS13_E_NS1_11comp_targetILNS1_3genE8ELNS1_11target_archE1030ELNS1_3gpuE2ELNS1_3repE0EEENS1_30default_config_static_selectorELNS0_4arch9wavefront6targetE0EEEvT1_
	.globl	_ZN7rocprim17ROCPRIM_400000_NS6detail17trampoline_kernelINS0_14default_configENS1_25partition_config_selectorILNS1_17partition_subalgoE6EdNS0_10empty_typeEbEEZZNS1_14partition_implILS5_6ELb0ES3_mN6thrust23THRUST_200600_302600_NS6detail15normal_iteratorINSA_10device_ptrIdEEEEPS6_SG_NS0_5tupleIJSF_S6_EEENSH_IJSG_SG_EEES6_PlJNSB_9not_fun_tI7is_evenIdEEEEEE10hipError_tPvRmT3_T4_T5_T6_T7_T9_mT8_P12ihipStream_tbDpT10_ENKUlT_T0_E_clISt17integral_constantIbLb1EES18_EEDaS13_S14_EUlS13_E_NS1_11comp_targetILNS1_3genE8ELNS1_11target_archE1030ELNS1_3gpuE2ELNS1_3repE0EEENS1_30default_config_static_selectorELNS0_4arch9wavefront6targetE0EEEvT1_
	.p2align	8
	.type	_ZN7rocprim17ROCPRIM_400000_NS6detail17trampoline_kernelINS0_14default_configENS1_25partition_config_selectorILNS1_17partition_subalgoE6EdNS0_10empty_typeEbEEZZNS1_14partition_implILS5_6ELb0ES3_mN6thrust23THRUST_200600_302600_NS6detail15normal_iteratorINSA_10device_ptrIdEEEEPS6_SG_NS0_5tupleIJSF_S6_EEENSH_IJSG_SG_EEES6_PlJNSB_9not_fun_tI7is_evenIdEEEEEE10hipError_tPvRmT3_T4_T5_T6_T7_T9_mT8_P12ihipStream_tbDpT10_ENKUlT_T0_E_clISt17integral_constantIbLb1EES18_EEDaS13_S14_EUlS13_E_NS1_11comp_targetILNS1_3genE8ELNS1_11target_archE1030ELNS1_3gpuE2ELNS1_3repE0EEENS1_30default_config_static_selectorELNS0_4arch9wavefront6targetE0EEEvT1_,@function
_ZN7rocprim17ROCPRIM_400000_NS6detail17trampoline_kernelINS0_14default_configENS1_25partition_config_selectorILNS1_17partition_subalgoE6EdNS0_10empty_typeEbEEZZNS1_14partition_implILS5_6ELb0ES3_mN6thrust23THRUST_200600_302600_NS6detail15normal_iteratorINSA_10device_ptrIdEEEEPS6_SG_NS0_5tupleIJSF_S6_EEENSH_IJSG_SG_EEES6_PlJNSB_9not_fun_tI7is_evenIdEEEEEE10hipError_tPvRmT3_T4_T5_T6_T7_T9_mT8_P12ihipStream_tbDpT10_ENKUlT_T0_E_clISt17integral_constantIbLb1EES18_EEDaS13_S14_EUlS13_E_NS1_11comp_targetILNS1_3genE8ELNS1_11target_archE1030ELNS1_3gpuE2ELNS1_3repE0EEENS1_30default_config_static_selectorELNS0_4arch9wavefront6targetE0EEEvT1_: ; @_ZN7rocprim17ROCPRIM_400000_NS6detail17trampoline_kernelINS0_14default_configENS1_25partition_config_selectorILNS1_17partition_subalgoE6EdNS0_10empty_typeEbEEZZNS1_14partition_implILS5_6ELb0ES3_mN6thrust23THRUST_200600_302600_NS6detail15normal_iteratorINSA_10device_ptrIdEEEEPS6_SG_NS0_5tupleIJSF_S6_EEENSH_IJSG_SG_EEES6_PlJNSB_9not_fun_tI7is_evenIdEEEEEE10hipError_tPvRmT3_T4_T5_T6_T7_T9_mT8_P12ihipStream_tbDpT10_ENKUlT_T0_E_clISt17integral_constantIbLb1EES18_EEDaS13_S14_EUlS13_E_NS1_11comp_targetILNS1_3genE8ELNS1_11target_archE1030ELNS1_3gpuE2ELNS1_3repE0EEENS1_30default_config_static_selectorELNS0_4arch9wavefront6targetE0EEEvT1_
; %bb.0:
	.section	.rodata,"a",@progbits
	.p2align	6, 0x0
	.amdhsa_kernel _ZN7rocprim17ROCPRIM_400000_NS6detail17trampoline_kernelINS0_14default_configENS1_25partition_config_selectorILNS1_17partition_subalgoE6EdNS0_10empty_typeEbEEZZNS1_14partition_implILS5_6ELb0ES3_mN6thrust23THRUST_200600_302600_NS6detail15normal_iteratorINSA_10device_ptrIdEEEEPS6_SG_NS0_5tupleIJSF_S6_EEENSH_IJSG_SG_EEES6_PlJNSB_9not_fun_tI7is_evenIdEEEEEE10hipError_tPvRmT3_T4_T5_T6_T7_T9_mT8_P12ihipStream_tbDpT10_ENKUlT_T0_E_clISt17integral_constantIbLb1EES18_EEDaS13_S14_EUlS13_E_NS1_11comp_targetILNS1_3genE8ELNS1_11target_archE1030ELNS1_3gpuE2ELNS1_3repE0EEENS1_30default_config_static_selectorELNS0_4arch9wavefront6targetE0EEEvT1_
		.amdhsa_group_segment_fixed_size 0
		.amdhsa_private_segment_fixed_size 0
		.amdhsa_kernarg_size 128
		.amdhsa_user_sgpr_count 2
		.amdhsa_user_sgpr_dispatch_ptr 0
		.amdhsa_user_sgpr_queue_ptr 0
		.amdhsa_user_sgpr_kernarg_segment_ptr 1
		.amdhsa_user_sgpr_dispatch_id 0
		.amdhsa_user_sgpr_private_segment_size 0
		.amdhsa_wavefront_size32 1
		.amdhsa_uses_dynamic_stack 0
		.amdhsa_enable_private_segment 0
		.amdhsa_system_sgpr_workgroup_id_x 1
		.amdhsa_system_sgpr_workgroup_id_y 0
		.amdhsa_system_sgpr_workgroup_id_z 0
		.amdhsa_system_sgpr_workgroup_info 0
		.amdhsa_system_vgpr_workitem_id 0
		.amdhsa_next_free_vgpr 1
		.amdhsa_next_free_sgpr 1
		.amdhsa_reserve_vcc 0
		.amdhsa_float_round_mode_32 0
		.amdhsa_float_round_mode_16_64 0
		.amdhsa_float_denorm_mode_32 3
		.amdhsa_float_denorm_mode_16_64 3
		.amdhsa_fp16_overflow 0
		.amdhsa_workgroup_processor_mode 1
		.amdhsa_memory_ordered 1
		.amdhsa_forward_progress 1
		.amdhsa_inst_pref_size 0
		.amdhsa_round_robin_scheduling 0
		.amdhsa_exception_fp_ieee_invalid_op 0
		.amdhsa_exception_fp_denorm_src 0
		.amdhsa_exception_fp_ieee_div_zero 0
		.amdhsa_exception_fp_ieee_overflow 0
		.amdhsa_exception_fp_ieee_underflow 0
		.amdhsa_exception_fp_ieee_inexact 0
		.amdhsa_exception_int_div_zero 0
	.end_amdhsa_kernel
	.section	.text._ZN7rocprim17ROCPRIM_400000_NS6detail17trampoline_kernelINS0_14default_configENS1_25partition_config_selectorILNS1_17partition_subalgoE6EdNS0_10empty_typeEbEEZZNS1_14partition_implILS5_6ELb0ES3_mN6thrust23THRUST_200600_302600_NS6detail15normal_iteratorINSA_10device_ptrIdEEEEPS6_SG_NS0_5tupleIJSF_S6_EEENSH_IJSG_SG_EEES6_PlJNSB_9not_fun_tI7is_evenIdEEEEEE10hipError_tPvRmT3_T4_T5_T6_T7_T9_mT8_P12ihipStream_tbDpT10_ENKUlT_T0_E_clISt17integral_constantIbLb1EES18_EEDaS13_S14_EUlS13_E_NS1_11comp_targetILNS1_3genE8ELNS1_11target_archE1030ELNS1_3gpuE2ELNS1_3repE0EEENS1_30default_config_static_selectorELNS0_4arch9wavefront6targetE0EEEvT1_,"axG",@progbits,_ZN7rocprim17ROCPRIM_400000_NS6detail17trampoline_kernelINS0_14default_configENS1_25partition_config_selectorILNS1_17partition_subalgoE6EdNS0_10empty_typeEbEEZZNS1_14partition_implILS5_6ELb0ES3_mN6thrust23THRUST_200600_302600_NS6detail15normal_iteratorINSA_10device_ptrIdEEEEPS6_SG_NS0_5tupleIJSF_S6_EEENSH_IJSG_SG_EEES6_PlJNSB_9not_fun_tI7is_evenIdEEEEEE10hipError_tPvRmT3_T4_T5_T6_T7_T9_mT8_P12ihipStream_tbDpT10_ENKUlT_T0_E_clISt17integral_constantIbLb1EES18_EEDaS13_S14_EUlS13_E_NS1_11comp_targetILNS1_3genE8ELNS1_11target_archE1030ELNS1_3gpuE2ELNS1_3repE0EEENS1_30default_config_static_selectorELNS0_4arch9wavefront6targetE0EEEvT1_,comdat
.Lfunc_end548:
	.size	_ZN7rocprim17ROCPRIM_400000_NS6detail17trampoline_kernelINS0_14default_configENS1_25partition_config_selectorILNS1_17partition_subalgoE6EdNS0_10empty_typeEbEEZZNS1_14partition_implILS5_6ELb0ES3_mN6thrust23THRUST_200600_302600_NS6detail15normal_iteratorINSA_10device_ptrIdEEEEPS6_SG_NS0_5tupleIJSF_S6_EEENSH_IJSG_SG_EEES6_PlJNSB_9not_fun_tI7is_evenIdEEEEEE10hipError_tPvRmT3_T4_T5_T6_T7_T9_mT8_P12ihipStream_tbDpT10_ENKUlT_T0_E_clISt17integral_constantIbLb1EES18_EEDaS13_S14_EUlS13_E_NS1_11comp_targetILNS1_3genE8ELNS1_11target_archE1030ELNS1_3gpuE2ELNS1_3repE0EEENS1_30default_config_static_selectorELNS0_4arch9wavefront6targetE0EEEvT1_, .Lfunc_end548-_ZN7rocprim17ROCPRIM_400000_NS6detail17trampoline_kernelINS0_14default_configENS1_25partition_config_selectorILNS1_17partition_subalgoE6EdNS0_10empty_typeEbEEZZNS1_14partition_implILS5_6ELb0ES3_mN6thrust23THRUST_200600_302600_NS6detail15normal_iteratorINSA_10device_ptrIdEEEEPS6_SG_NS0_5tupleIJSF_S6_EEENSH_IJSG_SG_EEES6_PlJNSB_9not_fun_tI7is_evenIdEEEEEE10hipError_tPvRmT3_T4_T5_T6_T7_T9_mT8_P12ihipStream_tbDpT10_ENKUlT_T0_E_clISt17integral_constantIbLb1EES18_EEDaS13_S14_EUlS13_E_NS1_11comp_targetILNS1_3genE8ELNS1_11target_archE1030ELNS1_3gpuE2ELNS1_3repE0EEENS1_30default_config_static_selectorELNS0_4arch9wavefront6targetE0EEEvT1_
                                        ; -- End function
	.set _ZN7rocprim17ROCPRIM_400000_NS6detail17trampoline_kernelINS0_14default_configENS1_25partition_config_selectorILNS1_17partition_subalgoE6EdNS0_10empty_typeEbEEZZNS1_14partition_implILS5_6ELb0ES3_mN6thrust23THRUST_200600_302600_NS6detail15normal_iteratorINSA_10device_ptrIdEEEEPS6_SG_NS0_5tupleIJSF_S6_EEENSH_IJSG_SG_EEES6_PlJNSB_9not_fun_tI7is_evenIdEEEEEE10hipError_tPvRmT3_T4_T5_T6_T7_T9_mT8_P12ihipStream_tbDpT10_ENKUlT_T0_E_clISt17integral_constantIbLb1EES18_EEDaS13_S14_EUlS13_E_NS1_11comp_targetILNS1_3genE8ELNS1_11target_archE1030ELNS1_3gpuE2ELNS1_3repE0EEENS1_30default_config_static_selectorELNS0_4arch9wavefront6targetE0EEEvT1_.num_vgpr, 0
	.set _ZN7rocprim17ROCPRIM_400000_NS6detail17trampoline_kernelINS0_14default_configENS1_25partition_config_selectorILNS1_17partition_subalgoE6EdNS0_10empty_typeEbEEZZNS1_14partition_implILS5_6ELb0ES3_mN6thrust23THRUST_200600_302600_NS6detail15normal_iteratorINSA_10device_ptrIdEEEEPS6_SG_NS0_5tupleIJSF_S6_EEENSH_IJSG_SG_EEES6_PlJNSB_9not_fun_tI7is_evenIdEEEEEE10hipError_tPvRmT3_T4_T5_T6_T7_T9_mT8_P12ihipStream_tbDpT10_ENKUlT_T0_E_clISt17integral_constantIbLb1EES18_EEDaS13_S14_EUlS13_E_NS1_11comp_targetILNS1_3genE8ELNS1_11target_archE1030ELNS1_3gpuE2ELNS1_3repE0EEENS1_30default_config_static_selectorELNS0_4arch9wavefront6targetE0EEEvT1_.num_agpr, 0
	.set _ZN7rocprim17ROCPRIM_400000_NS6detail17trampoline_kernelINS0_14default_configENS1_25partition_config_selectorILNS1_17partition_subalgoE6EdNS0_10empty_typeEbEEZZNS1_14partition_implILS5_6ELb0ES3_mN6thrust23THRUST_200600_302600_NS6detail15normal_iteratorINSA_10device_ptrIdEEEEPS6_SG_NS0_5tupleIJSF_S6_EEENSH_IJSG_SG_EEES6_PlJNSB_9not_fun_tI7is_evenIdEEEEEE10hipError_tPvRmT3_T4_T5_T6_T7_T9_mT8_P12ihipStream_tbDpT10_ENKUlT_T0_E_clISt17integral_constantIbLb1EES18_EEDaS13_S14_EUlS13_E_NS1_11comp_targetILNS1_3genE8ELNS1_11target_archE1030ELNS1_3gpuE2ELNS1_3repE0EEENS1_30default_config_static_selectorELNS0_4arch9wavefront6targetE0EEEvT1_.numbered_sgpr, 0
	.set _ZN7rocprim17ROCPRIM_400000_NS6detail17trampoline_kernelINS0_14default_configENS1_25partition_config_selectorILNS1_17partition_subalgoE6EdNS0_10empty_typeEbEEZZNS1_14partition_implILS5_6ELb0ES3_mN6thrust23THRUST_200600_302600_NS6detail15normal_iteratorINSA_10device_ptrIdEEEEPS6_SG_NS0_5tupleIJSF_S6_EEENSH_IJSG_SG_EEES6_PlJNSB_9not_fun_tI7is_evenIdEEEEEE10hipError_tPvRmT3_T4_T5_T6_T7_T9_mT8_P12ihipStream_tbDpT10_ENKUlT_T0_E_clISt17integral_constantIbLb1EES18_EEDaS13_S14_EUlS13_E_NS1_11comp_targetILNS1_3genE8ELNS1_11target_archE1030ELNS1_3gpuE2ELNS1_3repE0EEENS1_30default_config_static_selectorELNS0_4arch9wavefront6targetE0EEEvT1_.num_named_barrier, 0
	.set _ZN7rocprim17ROCPRIM_400000_NS6detail17trampoline_kernelINS0_14default_configENS1_25partition_config_selectorILNS1_17partition_subalgoE6EdNS0_10empty_typeEbEEZZNS1_14partition_implILS5_6ELb0ES3_mN6thrust23THRUST_200600_302600_NS6detail15normal_iteratorINSA_10device_ptrIdEEEEPS6_SG_NS0_5tupleIJSF_S6_EEENSH_IJSG_SG_EEES6_PlJNSB_9not_fun_tI7is_evenIdEEEEEE10hipError_tPvRmT3_T4_T5_T6_T7_T9_mT8_P12ihipStream_tbDpT10_ENKUlT_T0_E_clISt17integral_constantIbLb1EES18_EEDaS13_S14_EUlS13_E_NS1_11comp_targetILNS1_3genE8ELNS1_11target_archE1030ELNS1_3gpuE2ELNS1_3repE0EEENS1_30default_config_static_selectorELNS0_4arch9wavefront6targetE0EEEvT1_.private_seg_size, 0
	.set _ZN7rocprim17ROCPRIM_400000_NS6detail17trampoline_kernelINS0_14default_configENS1_25partition_config_selectorILNS1_17partition_subalgoE6EdNS0_10empty_typeEbEEZZNS1_14partition_implILS5_6ELb0ES3_mN6thrust23THRUST_200600_302600_NS6detail15normal_iteratorINSA_10device_ptrIdEEEEPS6_SG_NS0_5tupleIJSF_S6_EEENSH_IJSG_SG_EEES6_PlJNSB_9not_fun_tI7is_evenIdEEEEEE10hipError_tPvRmT3_T4_T5_T6_T7_T9_mT8_P12ihipStream_tbDpT10_ENKUlT_T0_E_clISt17integral_constantIbLb1EES18_EEDaS13_S14_EUlS13_E_NS1_11comp_targetILNS1_3genE8ELNS1_11target_archE1030ELNS1_3gpuE2ELNS1_3repE0EEENS1_30default_config_static_selectorELNS0_4arch9wavefront6targetE0EEEvT1_.uses_vcc, 0
	.set _ZN7rocprim17ROCPRIM_400000_NS6detail17trampoline_kernelINS0_14default_configENS1_25partition_config_selectorILNS1_17partition_subalgoE6EdNS0_10empty_typeEbEEZZNS1_14partition_implILS5_6ELb0ES3_mN6thrust23THRUST_200600_302600_NS6detail15normal_iteratorINSA_10device_ptrIdEEEEPS6_SG_NS0_5tupleIJSF_S6_EEENSH_IJSG_SG_EEES6_PlJNSB_9not_fun_tI7is_evenIdEEEEEE10hipError_tPvRmT3_T4_T5_T6_T7_T9_mT8_P12ihipStream_tbDpT10_ENKUlT_T0_E_clISt17integral_constantIbLb1EES18_EEDaS13_S14_EUlS13_E_NS1_11comp_targetILNS1_3genE8ELNS1_11target_archE1030ELNS1_3gpuE2ELNS1_3repE0EEENS1_30default_config_static_selectorELNS0_4arch9wavefront6targetE0EEEvT1_.uses_flat_scratch, 0
	.set _ZN7rocprim17ROCPRIM_400000_NS6detail17trampoline_kernelINS0_14default_configENS1_25partition_config_selectorILNS1_17partition_subalgoE6EdNS0_10empty_typeEbEEZZNS1_14partition_implILS5_6ELb0ES3_mN6thrust23THRUST_200600_302600_NS6detail15normal_iteratorINSA_10device_ptrIdEEEEPS6_SG_NS0_5tupleIJSF_S6_EEENSH_IJSG_SG_EEES6_PlJNSB_9not_fun_tI7is_evenIdEEEEEE10hipError_tPvRmT3_T4_T5_T6_T7_T9_mT8_P12ihipStream_tbDpT10_ENKUlT_T0_E_clISt17integral_constantIbLb1EES18_EEDaS13_S14_EUlS13_E_NS1_11comp_targetILNS1_3genE8ELNS1_11target_archE1030ELNS1_3gpuE2ELNS1_3repE0EEENS1_30default_config_static_selectorELNS0_4arch9wavefront6targetE0EEEvT1_.has_dyn_sized_stack, 0
	.set _ZN7rocprim17ROCPRIM_400000_NS6detail17trampoline_kernelINS0_14default_configENS1_25partition_config_selectorILNS1_17partition_subalgoE6EdNS0_10empty_typeEbEEZZNS1_14partition_implILS5_6ELb0ES3_mN6thrust23THRUST_200600_302600_NS6detail15normal_iteratorINSA_10device_ptrIdEEEEPS6_SG_NS0_5tupleIJSF_S6_EEENSH_IJSG_SG_EEES6_PlJNSB_9not_fun_tI7is_evenIdEEEEEE10hipError_tPvRmT3_T4_T5_T6_T7_T9_mT8_P12ihipStream_tbDpT10_ENKUlT_T0_E_clISt17integral_constantIbLb1EES18_EEDaS13_S14_EUlS13_E_NS1_11comp_targetILNS1_3genE8ELNS1_11target_archE1030ELNS1_3gpuE2ELNS1_3repE0EEENS1_30default_config_static_selectorELNS0_4arch9wavefront6targetE0EEEvT1_.has_recursion, 0
	.set _ZN7rocprim17ROCPRIM_400000_NS6detail17trampoline_kernelINS0_14default_configENS1_25partition_config_selectorILNS1_17partition_subalgoE6EdNS0_10empty_typeEbEEZZNS1_14partition_implILS5_6ELb0ES3_mN6thrust23THRUST_200600_302600_NS6detail15normal_iteratorINSA_10device_ptrIdEEEEPS6_SG_NS0_5tupleIJSF_S6_EEENSH_IJSG_SG_EEES6_PlJNSB_9not_fun_tI7is_evenIdEEEEEE10hipError_tPvRmT3_T4_T5_T6_T7_T9_mT8_P12ihipStream_tbDpT10_ENKUlT_T0_E_clISt17integral_constantIbLb1EES18_EEDaS13_S14_EUlS13_E_NS1_11comp_targetILNS1_3genE8ELNS1_11target_archE1030ELNS1_3gpuE2ELNS1_3repE0EEENS1_30default_config_static_selectorELNS0_4arch9wavefront6targetE0EEEvT1_.has_indirect_call, 0
	.section	.AMDGPU.csdata,"",@progbits
; Kernel info:
; codeLenInByte = 0
; TotalNumSgprs: 0
; NumVgprs: 0
; ScratchSize: 0
; MemoryBound: 0
; FloatMode: 240
; IeeeMode: 1
; LDSByteSize: 0 bytes/workgroup (compile time only)
; SGPRBlocks: 0
; VGPRBlocks: 0
; NumSGPRsForWavesPerEU: 1
; NumVGPRsForWavesPerEU: 1
; Occupancy: 16
; WaveLimiterHint : 0
; COMPUTE_PGM_RSRC2:SCRATCH_EN: 0
; COMPUTE_PGM_RSRC2:USER_SGPR: 2
; COMPUTE_PGM_RSRC2:TRAP_HANDLER: 0
; COMPUTE_PGM_RSRC2:TGID_X_EN: 1
; COMPUTE_PGM_RSRC2:TGID_Y_EN: 0
; COMPUTE_PGM_RSRC2:TGID_Z_EN: 0
; COMPUTE_PGM_RSRC2:TIDIG_COMP_CNT: 0
	.section	.text._ZN7rocprim17ROCPRIM_400000_NS6detail17trampoline_kernelINS0_14default_configENS1_25partition_config_selectorILNS1_17partition_subalgoE6EdNS0_10empty_typeEbEEZZNS1_14partition_implILS5_6ELb0ES3_mN6thrust23THRUST_200600_302600_NS6detail15normal_iteratorINSA_10device_ptrIdEEEEPS6_SG_NS0_5tupleIJSF_S6_EEENSH_IJSG_SG_EEES6_PlJNSB_9not_fun_tI7is_evenIdEEEEEE10hipError_tPvRmT3_T4_T5_T6_T7_T9_mT8_P12ihipStream_tbDpT10_ENKUlT_T0_E_clISt17integral_constantIbLb1EES17_IbLb0EEEEDaS13_S14_EUlS13_E_NS1_11comp_targetILNS1_3genE0ELNS1_11target_archE4294967295ELNS1_3gpuE0ELNS1_3repE0EEENS1_30default_config_static_selectorELNS0_4arch9wavefront6targetE0EEEvT1_,"axG",@progbits,_ZN7rocprim17ROCPRIM_400000_NS6detail17trampoline_kernelINS0_14default_configENS1_25partition_config_selectorILNS1_17partition_subalgoE6EdNS0_10empty_typeEbEEZZNS1_14partition_implILS5_6ELb0ES3_mN6thrust23THRUST_200600_302600_NS6detail15normal_iteratorINSA_10device_ptrIdEEEEPS6_SG_NS0_5tupleIJSF_S6_EEENSH_IJSG_SG_EEES6_PlJNSB_9not_fun_tI7is_evenIdEEEEEE10hipError_tPvRmT3_T4_T5_T6_T7_T9_mT8_P12ihipStream_tbDpT10_ENKUlT_T0_E_clISt17integral_constantIbLb1EES17_IbLb0EEEEDaS13_S14_EUlS13_E_NS1_11comp_targetILNS1_3genE0ELNS1_11target_archE4294967295ELNS1_3gpuE0ELNS1_3repE0EEENS1_30default_config_static_selectorELNS0_4arch9wavefront6targetE0EEEvT1_,comdat
	.protected	_ZN7rocprim17ROCPRIM_400000_NS6detail17trampoline_kernelINS0_14default_configENS1_25partition_config_selectorILNS1_17partition_subalgoE6EdNS0_10empty_typeEbEEZZNS1_14partition_implILS5_6ELb0ES3_mN6thrust23THRUST_200600_302600_NS6detail15normal_iteratorINSA_10device_ptrIdEEEEPS6_SG_NS0_5tupleIJSF_S6_EEENSH_IJSG_SG_EEES6_PlJNSB_9not_fun_tI7is_evenIdEEEEEE10hipError_tPvRmT3_T4_T5_T6_T7_T9_mT8_P12ihipStream_tbDpT10_ENKUlT_T0_E_clISt17integral_constantIbLb1EES17_IbLb0EEEEDaS13_S14_EUlS13_E_NS1_11comp_targetILNS1_3genE0ELNS1_11target_archE4294967295ELNS1_3gpuE0ELNS1_3repE0EEENS1_30default_config_static_selectorELNS0_4arch9wavefront6targetE0EEEvT1_ ; -- Begin function _ZN7rocprim17ROCPRIM_400000_NS6detail17trampoline_kernelINS0_14default_configENS1_25partition_config_selectorILNS1_17partition_subalgoE6EdNS0_10empty_typeEbEEZZNS1_14partition_implILS5_6ELb0ES3_mN6thrust23THRUST_200600_302600_NS6detail15normal_iteratorINSA_10device_ptrIdEEEEPS6_SG_NS0_5tupleIJSF_S6_EEENSH_IJSG_SG_EEES6_PlJNSB_9not_fun_tI7is_evenIdEEEEEE10hipError_tPvRmT3_T4_T5_T6_T7_T9_mT8_P12ihipStream_tbDpT10_ENKUlT_T0_E_clISt17integral_constantIbLb1EES17_IbLb0EEEEDaS13_S14_EUlS13_E_NS1_11comp_targetILNS1_3genE0ELNS1_11target_archE4294967295ELNS1_3gpuE0ELNS1_3repE0EEENS1_30default_config_static_selectorELNS0_4arch9wavefront6targetE0EEEvT1_
	.globl	_ZN7rocprim17ROCPRIM_400000_NS6detail17trampoline_kernelINS0_14default_configENS1_25partition_config_selectorILNS1_17partition_subalgoE6EdNS0_10empty_typeEbEEZZNS1_14partition_implILS5_6ELb0ES3_mN6thrust23THRUST_200600_302600_NS6detail15normal_iteratorINSA_10device_ptrIdEEEEPS6_SG_NS0_5tupleIJSF_S6_EEENSH_IJSG_SG_EEES6_PlJNSB_9not_fun_tI7is_evenIdEEEEEE10hipError_tPvRmT3_T4_T5_T6_T7_T9_mT8_P12ihipStream_tbDpT10_ENKUlT_T0_E_clISt17integral_constantIbLb1EES17_IbLb0EEEEDaS13_S14_EUlS13_E_NS1_11comp_targetILNS1_3genE0ELNS1_11target_archE4294967295ELNS1_3gpuE0ELNS1_3repE0EEENS1_30default_config_static_selectorELNS0_4arch9wavefront6targetE0EEEvT1_
	.p2align	8
	.type	_ZN7rocprim17ROCPRIM_400000_NS6detail17trampoline_kernelINS0_14default_configENS1_25partition_config_selectorILNS1_17partition_subalgoE6EdNS0_10empty_typeEbEEZZNS1_14partition_implILS5_6ELb0ES3_mN6thrust23THRUST_200600_302600_NS6detail15normal_iteratorINSA_10device_ptrIdEEEEPS6_SG_NS0_5tupleIJSF_S6_EEENSH_IJSG_SG_EEES6_PlJNSB_9not_fun_tI7is_evenIdEEEEEE10hipError_tPvRmT3_T4_T5_T6_T7_T9_mT8_P12ihipStream_tbDpT10_ENKUlT_T0_E_clISt17integral_constantIbLb1EES17_IbLb0EEEEDaS13_S14_EUlS13_E_NS1_11comp_targetILNS1_3genE0ELNS1_11target_archE4294967295ELNS1_3gpuE0ELNS1_3repE0EEENS1_30default_config_static_selectorELNS0_4arch9wavefront6targetE0EEEvT1_,@function
_ZN7rocprim17ROCPRIM_400000_NS6detail17trampoline_kernelINS0_14default_configENS1_25partition_config_selectorILNS1_17partition_subalgoE6EdNS0_10empty_typeEbEEZZNS1_14partition_implILS5_6ELb0ES3_mN6thrust23THRUST_200600_302600_NS6detail15normal_iteratorINSA_10device_ptrIdEEEEPS6_SG_NS0_5tupleIJSF_S6_EEENSH_IJSG_SG_EEES6_PlJNSB_9not_fun_tI7is_evenIdEEEEEE10hipError_tPvRmT3_T4_T5_T6_T7_T9_mT8_P12ihipStream_tbDpT10_ENKUlT_T0_E_clISt17integral_constantIbLb1EES17_IbLb0EEEEDaS13_S14_EUlS13_E_NS1_11comp_targetILNS1_3genE0ELNS1_11target_archE4294967295ELNS1_3gpuE0ELNS1_3repE0EEENS1_30default_config_static_selectorELNS0_4arch9wavefront6targetE0EEEvT1_: ; @_ZN7rocprim17ROCPRIM_400000_NS6detail17trampoline_kernelINS0_14default_configENS1_25partition_config_selectorILNS1_17partition_subalgoE6EdNS0_10empty_typeEbEEZZNS1_14partition_implILS5_6ELb0ES3_mN6thrust23THRUST_200600_302600_NS6detail15normal_iteratorINSA_10device_ptrIdEEEEPS6_SG_NS0_5tupleIJSF_S6_EEENSH_IJSG_SG_EEES6_PlJNSB_9not_fun_tI7is_evenIdEEEEEE10hipError_tPvRmT3_T4_T5_T6_T7_T9_mT8_P12ihipStream_tbDpT10_ENKUlT_T0_E_clISt17integral_constantIbLb1EES17_IbLb0EEEEDaS13_S14_EUlS13_E_NS1_11comp_targetILNS1_3genE0ELNS1_11target_archE4294967295ELNS1_3gpuE0ELNS1_3repE0EEENS1_30default_config_static_selectorELNS0_4arch9wavefront6targetE0EEEvT1_
; %bb.0:
	.section	.rodata,"a",@progbits
	.p2align	6, 0x0
	.amdhsa_kernel _ZN7rocprim17ROCPRIM_400000_NS6detail17trampoline_kernelINS0_14default_configENS1_25partition_config_selectorILNS1_17partition_subalgoE6EdNS0_10empty_typeEbEEZZNS1_14partition_implILS5_6ELb0ES3_mN6thrust23THRUST_200600_302600_NS6detail15normal_iteratorINSA_10device_ptrIdEEEEPS6_SG_NS0_5tupleIJSF_S6_EEENSH_IJSG_SG_EEES6_PlJNSB_9not_fun_tI7is_evenIdEEEEEE10hipError_tPvRmT3_T4_T5_T6_T7_T9_mT8_P12ihipStream_tbDpT10_ENKUlT_T0_E_clISt17integral_constantIbLb1EES17_IbLb0EEEEDaS13_S14_EUlS13_E_NS1_11comp_targetILNS1_3genE0ELNS1_11target_archE4294967295ELNS1_3gpuE0ELNS1_3repE0EEENS1_30default_config_static_selectorELNS0_4arch9wavefront6targetE0EEEvT1_
		.amdhsa_group_segment_fixed_size 0
		.amdhsa_private_segment_fixed_size 0
		.amdhsa_kernarg_size 112
		.amdhsa_user_sgpr_count 2
		.amdhsa_user_sgpr_dispatch_ptr 0
		.amdhsa_user_sgpr_queue_ptr 0
		.amdhsa_user_sgpr_kernarg_segment_ptr 1
		.amdhsa_user_sgpr_dispatch_id 0
		.amdhsa_user_sgpr_private_segment_size 0
		.amdhsa_wavefront_size32 1
		.amdhsa_uses_dynamic_stack 0
		.amdhsa_enable_private_segment 0
		.amdhsa_system_sgpr_workgroup_id_x 1
		.amdhsa_system_sgpr_workgroup_id_y 0
		.amdhsa_system_sgpr_workgroup_id_z 0
		.amdhsa_system_sgpr_workgroup_info 0
		.amdhsa_system_vgpr_workitem_id 0
		.amdhsa_next_free_vgpr 1
		.amdhsa_next_free_sgpr 1
		.amdhsa_reserve_vcc 0
		.amdhsa_float_round_mode_32 0
		.amdhsa_float_round_mode_16_64 0
		.amdhsa_float_denorm_mode_32 3
		.amdhsa_float_denorm_mode_16_64 3
		.amdhsa_fp16_overflow 0
		.amdhsa_workgroup_processor_mode 1
		.amdhsa_memory_ordered 1
		.amdhsa_forward_progress 1
		.amdhsa_inst_pref_size 0
		.amdhsa_round_robin_scheduling 0
		.amdhsa_exception_fp_ieee_invalid_op 0
		.amdhsa_exception_fp_denorm_src 0
		.amdhsa_exception_fp_ieee_div_zero 0
		.amdhsa_exception_fp_ieee_overflow 0
		.amdhsa_exception_fp_ieee_underflow 0
		.amdhsa_exception_fp_ieee_inexact 0
		.amdhsa_exception_int_div_zero 0
	.end_amdhsa_kernel
	.section	.text._ZN7rocprim17ROCPRIM_400000_NS6detail17trampoline_kernelINS0_14default_configENS1_25partition_config_selectorILNS1_17partition_subalgoE6EdNS0_10empty_typeEbEEZZNS1_14partition_implILS5_6ELb0ES3_mN6thrust23THRUST_200600_302600_NS6detail15normal_iteratorINSA_10device_ptrIdEEEEPS6_SG_NS0_5tupleIJSF_S6_EEENSH_IJSG_SG_EEES6_PlJNSB_9not_fun_tI7is_evenIdEEEEEE10hipError_tPvRmT3_T4_T5_T6_T7_T9_mT8_P12ihipStream_tbDpT10_ENKUlT_T0_E_clISt17integral_constantIbLb1EES17_IbLb0EEEEDaS13_S14_EUlS13_E_NS1_11comp_targetILNS1_3genE0ELNS1_11target_archE4294967295ELNS1_3gpuE0ELNS1_3repE0EEENS1_30default_config_static_selectorELNS0_4arch9wavefront6targetE0EEEvT1_,"axG",@progbits,_ZN7rocprim17ROCPRIM_400000_NS6detail17trampoline_kernelINS0_14default_configENS1_25partition_config_selectorILNS1_17partition_subalgoE6EdNS0_10empty_typeEbEEZZNS1_14partition_implILS5_6ELb0ES3_mN6thrust23THRUST_200600_302600_NS6detail15normal_iteratorINSA_10device_ptrIdEEEEPS6_SG_NS0_5tupleIJSF_S6_EEENSH_IJSG_SG_EEES6_PlJNSB_9not_fun_tI7is_evenIdEEEEEE10hipError_tPvRmT3_T4_T5_T6_T7_T9_mT8_P12ihipStream_tbDpT10_ENKUlT_T0_E_clISt17integral_constantIbLb1EES17_IbLb0EEEEDaS13_S14_EUlS13_E_NS1_11comp_targetILNS1_3genE0ELNS1_11target_archE4294967295ELNS1_3gpuE0ELNS1_3repE0EEENS1_30default_config_static_selectorELNS0_4arch9wavefront6targetE0EEEvT1_,comdat
.Lfunc_end549:
	.size	_ZN7rocprim17ROCPRIM_400000_NS6detail17trampoline_kernelINS0_14default_configENS1_25partition_config_selectorILNS1_17partition_subalgoE6EdNS0_10empty_typeEbEEZZNS1_14partition_implILS5_6ELb0ES3_mN6thrust23THRUST_200600_302600_NS6detail15normal_iteratorINSA_10device_ptrIdEEEEPS6_SG_NS0_5tupleIJSF_S6_EEENSH_IJSG_SG_EEES6_PlJNSB_9not_fun_tI7is_evenIdEEEEEE10hipError_tPvRmT3_T4_T5_T6_T7_T9_mT8_P12ihipStream_tbDpT10_ENKUlT_T0_E_clISt17integral_constantIbLb1EES17_IbLb0EEEEDaS13_S14_EUlS13_E_NS1_11comp_targetILNS1_3genE0ELNS1_11target_archE4294967295ELNS1_3gpuE0ELNS1_3repE0EEENS1_30default_config_static_selectorELNS0_4arch9wavefront6targetE0EEEvT1_, .Lfunc_end549-_ZN7rocprim17ROCPRIM_400000_NS6detail17trampoline_kernelINS0_14default_configENS1_25partition_config_selectorILNS1_17partition_subalgoE6EdNS0_10empty_typeEbEEZZNS1_14partition_implILS5_6ELb0ES3_mN6thrust23THRUST_200600_302600_NS6detail15normal_iteratorINSA_10device_ptrIdEEEEPS6_SG_NS0_5tupleIJSF_S6_EEENSH_IJSG_SG_EEES6_PlJNSB_9not_fun_tI7is_evenIdEEEEEE10hipError_tPvRmT3_T4_T5_T6_T7_T9_mT8_P12ihipStream_tbDpT10_ENKUlT_T0_E_clISt17integral_constantIbLb1EES17_IbLb0EEEEDaS13_S14_EUlS13_E_NS1_11comp_targetILNS1_3genE0ELNS1_11target_archE4294967295ELNS1_3gpuE0ELNS1_3repE0EEENS1_30default_config_static_selectorELNS0_4arch9wavefront6targetE0EEEvT1_
                                        ; -- End function
	.set _ZN7rocprim17ROCPRIM_400000_NS6detail17trampoline_kernelINS0_14default_configENS1_25partition_config_selectorILNS1_17partition_subalgoE6EdNS0_10empty_typeEbEEZZNS1_14partition_implILS5_6ELb0ES3_mN6thrust23THRUST_200600_302600_NS6detail15normal_iteratorINSA_10device_ptrIdEEEEPS6_SG_NS0_5tupleIJSF_S6_EEENSH_IJSG_SG_EEES6_PlJNSB_9not_fun_tI7is_evenIdEEEEEE10hipError_tPvRmT3_T4_T5_T6_T7_T9_mT8_P12ihipStream_tbDpT10_ENKUlT_T0_E_clISt17integral_constantIbLb1EES17_IbLb0EEEEDaS13_S14_EUlS13_E_NS1_11comp_targetILNS1_3genE0ELNS1_11target_archE4294967295ELNS1_3gpuE0ELNS1_3repE0EEENS1_30default_config_static_selectorELNS0_4arch9wavefront6targetE0EEEvT1_.num_vgpr, 0
	.set _ZN7rocprim17ROCPRIM_400000_NS6detail17trampoline_kernelINS0_14default_configENS1_25partition_config_selectorILNS1_17partition_subalgoE6EdNS0_10empty_typeEbEEZZNS1_14partition_implILS5_6ELb0ES3_mN6thrust23THRUST_200600_302600_NS6detail15normal_iteratorINSA_10device_ptrIdEEEEPS6_SG_NS0_5tupleIJSF_S6_EEENSH_IJSG_SG_EEES6_PlJNSB_9not_fun_tI7is_evenIdEEEEEE10hipError_tPvRmT3_T4_T5_T6_T7_T9_mT8_P12ihipStream_tbDpT10_ENKUlT_T0_E_clISt17integral_constantIbLb1EES17_IbLb0EEEEDaS13_S14_EUlS13_E_NS1_11comp_targetILNS1_3genE0ELNS1_11target_archE4294967295ELNS1_3gpuE0ELNS1_3repE0EEENS1_30default_config_static_selectorELNS0_4arch9wavefront6targetE0EEEvT1_.num_agpr, 0
	.set _ZN7rocprim17ROCPRIM_400000_NS6detail17trampoline_kernelINS0_14default_configENS1_25partition_config_selectorILNS1_17partition_subalgoE6EdNS0_10empty_typeEbEEZZNS1_14partition_implILS5_6ELb0ES3_mN6thrust23THRUST_200600_302600_NS6detail15normal_iteratorINSA_10device_ptrIdEEEEPS6_SG_NS0_5tupleIJSF_S6_EEENSH_IJSG_SG_EEES6_PlJNSB_9not_fun_tI7is_evenIdEEEEEE10hipError_tPvRmT3_T4_T5_T6_T7_T9_mT8_P12ihipStream_tbDpT10_ENKUlT_T0_E_clISt17integral_constantIbLb1EES17_IbLb0EEEEDaS13_S14_EUlS13_E_NS1_11comp_targetILNS1_3genE0ELNS1_11target_archE4294967295ELNS1_3gpuE0ELNS1_3repE0EEENS1_30default_config_static_selectorELNS0_4arch9wavefront6targetE0EEEvT1_.numbered_sgpr, 0
	.set _ZN7rocprim17ROCPRIM_400000_NS6detail17trampoline_kernelINS0_14default_configENS1_25partition_config_selectorILNS1_17partition_subalgoE6EdNS0_10empty_typeEbEEZZNS1_14partition_implILS5_6ELb0ES3_mN6thrust23THRUST_200600_302600_NS6detail15normal_iteratorINSA_10device_ptrIdEEEEPS6_SG_NS0_5tupleIJSF_S6_EEENSH_IJSG_SG_EEES6_PlJNSB_9not_fun_tI7is_evenIdEEEEEE10hipError_tPvRmT3_T4_T5_T6_T7_T9_mT8_P12ihipStream_tbDpT10_ENKUlT_T0_E_clISt17integral_constantIbLb1EES17_IbLb0EEEEDaS13_S14_EUlS13_E_NS1_11comp_targetILNS1_3genE0ELNS1_11target_archE4294967295ELNS1_3gpuE0ELNS1_3repE0EEENS1_30default_config_static_selectorELNS0_4arch9wavefront6targetE0EEEvT1_.num_named_barrier, 0
	.set _ZN7rocprim17ROCPRIM_400000_NS6detail17trampoline_kernelINS0_14default_configENS1_25partition_config_selectorILNS1_17partition_subalgoE6EdNS0_10empty_typeEbEEZZNS1_14partition_implILS5_6ELb0ES3_mN6thrust23THRUST_200600_302600_NS6detail15normal_iteratorINSA_10device_ptrIdEEEEPS6_SG_NS0_5tupleIJSF_S6_EEENSH_IJSG_SG_EEES6_PlJNSB_9not_fun_tI7is_evenIdEEEEEE10hipError_tPvRmT3_T4_T5_T6_T7_T9_mT8_P12ihipStream_tbDpT10_ENKUlT_T0_E_clISt17integral_constantIbLb1EES17_IbLb0EEEEDaS13_S14_EUlS13_E_NS1_11comp_targetILNS1_3genE0ELNS1_11target_archE4294967295ELNS1_3gpuE0ELNS1_3repE0EEENS1_30default_config_static_selectorELNS0_4arch9wavefront6targetE0EEEvT1_.private_seg_size, 0
	.set _ZN7rocprim17ROCPRIM_400000_NS6detail17trampoline_kernelINS0_14default_configENS1_25partition_config_selectorILNS1_17partition_subalgoE6EdNS0_10empty_typeEbEEZZNS1_14partition_implILS5_6ELb0ES3_mN6thrust23THRUST_200600_302600_NS6detail15normal_iteratorINSA_10device_ptrIdEEEEPS6_SG_NS0_5tupleIJSF_S6_EEENSH_IJSG_SG_EEES6_PlJNSB_9not_fun_tI7is_evenIdEEEEEE10hipError_tPvRmT3_T4_T5_T6_T7_T9_mT8_P12ihipStream_tbDpT10_ENKUlT_T0_E_clISt17integral_constantIbLb1EES17_IbLb0EEEEDaS13_S14_EUlS13_E_NS1_11comp_targetILNS1_3genE0ELNS1_11target_archE4294967295ELNS1_3gpuE0ELNS1_3repE0EEENS1_30default_config_static_selectorELNS0_4arch9wavefront6targetE0EEEvT1_.uses_vcc, 0
	.set _ZN7rocprim17ROCPRIM_400000_NS6detail17trampoline_kernelINS0_14default_configENS1_25partition_config_selectorILNS1_17partition_subalgoE6EdNS0_10empty_typeEbEEZZNS1_14partition_implILS5_6ELb0ES3_mN6thrust23THRUST_200600_302600_NS6detail15normal_iteratorINSA_10device_ptrIdEEEEPS6_SG_NS0_5tupleIJSF_S6_EEENSH_IJSG_SG_EEES6_PlJNSB_9not_fun_tI7is_evenIdEEEEEE10hipError_tPvRmT3_T4_T5_T6_T7_T9_mT8_P12ihipStream_tbDpT10_ENKUlT_T0_E_clISt17integral_constantIbLb1EES17_IbLb0EEEEDaS13_S14_EUlS13_E_NS1_11comp_targetILNS1_3genE0ELNS1_11target_archE4294967295ELNS1_3gpuE0ELNS1_3repE0EEENS1_30default_config_static_selectorELNS0_4arch9wavefront6targetE0EEEvT1_.uses_flat_scratch, 0
	.set _ZN7rocprim17ROCPRIM_400000_NS6detail17trampoline_kernelINS0_14default_configENS1_25partition_config_selectorILNS1_17partition_subalgoE6EdNS0_10empty_typeEbEEZZNS1_14partition_implILS5_6ELb0ES3_mN6thrust23THRUST_200600_302600_NS6detail15normal_iteratorINSA_10device_ptrIdEEEEPS6_SG_NS0_5tupleIJSF_S6_EEENSH_IJSG_SG_EEES6_PlJNSB_9not_fun_tI7is_evenIdEEEEEE10hipError_tPvRmT3_T4_T5_T6_T7_T9_mT8_P12ihipStream_tbDpT10_ENKUlT_T0_E_clISt17integral_constantIbLb1EES17_IbLb0EEEEDaS13_S14_EUlS13_E_NS1_11comp_targetILNS1_3genE0ELNS1_11target_archE4294967295ELNS1_3gpuE0ELNS1_3repE0EEENS1_30default_config_static_selectorELNS0_4arch9wavefront6targetE0EEEvT1_.has_dyn_sized_stack, 0
	.set _ZN7rocprim17ROCPRIM_400000_NS6detail17trampoline_kernelINS0_14default_configENS1_25partition_config_selectorILNS1_17partition_subalgoE6EdNS0_10empty_typeEbEEZZNS1_14partition_implILS5_6ELb0ES3_mN6thrust23THRUST_200600_302600_NS6detail15normal_iteratorINSA_10device_ptrIdEEEEPS6_SG_NS0_5tupleIJSF_S6_EEENSH_IJSG_SG_EEES6_PlJNSB_9not_fun_tI7is_evenIdEEEEEE10hipError_tPvRmT3_T4_T5_T6_T7_T9_mT8_P12ihipStream_tbDpT10_ENKUlT_T0_E_clISt17integral_constantIbLb1EES17_IbLb0EEEEDaS13_S14_EUlS13_E_NS1_11comp_targetILNS1_3genE0ELNS1_11target_archE4294967295ELNS1_3gpuE0ELNS1_3repE0EEENS1_30default_config_static_selectorELNS0_4arch9wavefront6targetE0EEEvT1_.has_recursion, 0
	.set _ZN7rocprim17ROCPRIM_400000_NS6detail17trampoline_kernelINS0_14default_configENS1_25partition_config_selectorILNS1_17partition_subalgoE6EdNS0_10empty_typeEbEEZZNS1_14partition_implILS5_6ELb0ES3_mN6thrust23THRUST_200600_302600_NS6detail15normal_iteratorINSA_10device_ptrIdEEEEPS6_SG_NS0_5tupleIJSF_S6_EEENSH_IJSG_SG_EEES6_PlJNSB_9not_fun_tI7is_evenIdEEEEEE10hipError_tPvRmT3_T4_T5_T6_T7_T9_mT8_P12ihipStream_tbDpT10_ENKUlT_T0_E_clISt17integral_constantIbLb1EES17_IbLb0EEEEDaS13_S14_EUlS13_E_NS1_11comp_targetILNS1_3genE0ELNS1_11target_archE4294967295ELNS1_3gpuE0ELNS1_3repE0EEENS1_30default_config_static_selectorELNS0_4arch9wavefront6targetE0EEEvT1_.has_indirect_call, 0
	.section	.AMDGPU.csdata,"",@progbits
; Kernel info:
; codeLenInByte = 0
; TotalNumSgprs: 0
; NumVgprs: 0
; ScratchSize: 0
; MemoryBound: 0
; FloatMode: 240
; IeeeMode: 1
; LDSByteSize: 0 bytes/workgroup (compile time only)
; SGPRBlocks: 0
; VGPRBlocks: 0
; NumSGPRsForWavesPerEU: 1
; NumVGPRsForWavesPerEU: 1
; Occupancy: 16
; WaveLimiterHint : 0
; COMPUTE_PGM_RSRC2:SCRATCH_EN: 0
; COMPUTE_PGM_RSRC2:USER_SGPR: 2
; COMPUTE_PGM_RSRC2:TRAP_HANDLER: 0
; COMPUTE_PGM_RSRC2:TGID_X_EN: 1
; COMPUTE_PGM_RSRC2:TGID_Y_EN: 0
; COMPUTE_PGM_RSRC2:TGID_Z_EN: 0
; COMPUTE_PGM_RSRC2:TIDIG_COMP_CNT: 0
	.section	.text._ZN7rocprim17ROCPRIM_400000_NS6detail17trampoline_kernelINS0_14default_configENS1_25partition_config_selectorILNS1_17partition_subalgoE6EdNS0_10empty_typeEbEEZZNS1_14partition_implILS5_6ELb0ES3_mN6thrust23THRUST_200600_302600_NS6detail15normal_iteratorINSA_10device_ptrIdEEEEPS6_SG_NS0_5tupleIJSF_S6_EEENSH_IJSG_SG_EEES6_PlJNSB_9not_fun_tI7is_evenIdEEEEEE10hipError_tPvRmT3_T4_T5_T6_T7_T9_mT8_P12ihipStream_tbDpT10_ENKUlT_T0_E_clISt17integral_constantIbLb1EES17_IbLb0EEEEDaS13_S14_EUlS13_E_NS1_11comp_targetILNS1_3genE5ELNS1_11target_archE942ELNS1_3gpuE9ELNS1_3repE0EEENS1_30default_config_static_selectorELNS0_4arch9wavefront6targetE0EEEvT1_,"axG",@progbits,_ZN7rocprim17ROCPRIM_400000_NS6detail17trampoline_kernelINS0_14default_configENS1_25partition_config_selectorILNS1_17partition_subalgoE6EdNS0_10empty_typeEbEEZZNS1_14partition_implILS5_6ELb0ES3_mN6thrust23THRUST_200600_302600_NS6detail15normal_iteratorINSA_10device_ptrIdEEEEPS6_SG_NS0_5tupleIJSF_S6_EEENSH_IJSG_SG_EEES6_PlJNSB_9not_fun_tI7is_evenIdEEEEEE10hipError_tPvRmT3_T4_T5_T6_T7_T9_mT8_P12ihipStream_tbDpT10_ENKUlT_T0_E_clISt17integral_constantIbLb1EES17_IbLb0EEEEDaS13_S14_EUlS13_E_NS1_11comp_targetILNS1_3genE5ELNS1_11target_archE942ELNS1_3gpuE9ELNS1_3repE0EEENS1_30default_config_static_selectorELNS0_4arch9wavefront6targetE0EEEvT1_,comdat
	.protected	_ZN7rocprim17ROCPRIM_400000_NS6detail17trampoline_kernelINS0_14default_configENS1_25partition_config_selectorILNS1_17partition_subalgoE6EdNS0_10empty_typeEbEEZZNS1_14partition_implILS5_6ELb0ES3_mN6thrust23THRUST_200600_302600_NS6detail15normal_iteratorINSA_10device_ptrIdEEEEPS6_SG_NS0_5tupleIJSF_S6_EEENSH_IJSG_SG_EEES6_PlJNSB_9not_fun_tI7is_evenIdEEEEEE10hipError_tPvRmT3_T4_T5_T6_T7_T9_mT8_P12ihipStream_tbDpT10_ENKUlT_T0_E_clISt17integral_constantIbLb1EES17_IbLb0EEEEDaS13_S14_EUlS13_E_NS1_11comp_targetILNS1_3genE5ELNS1_11target_archE942ELNS1_3gpuE9ELNS1_3repE0EEENS1_30default_config_static_selectorELNS0_4arch9wavefront6targetE0EEEvT1_ ; -- Begin function _ZN7rocprim17ROCPRIM_400000_NS6detail17trampoline_kernelINS0_14default_configENS1_25partition_config_selectorILNS1_17partition_subalgoE6EdNS0_10empty_typeEbEEZZNS1_14partition_implILS5_6ELb0ES3_mN6thrust23THRUST_200600_302600_NS6detail15normal_iteratorINSA_10device_ptrIdEEEEPS6_SG_NS0_5tupleIJSF_S6_EEENSH_IJSG_SG_EEES6_PlJNSB_9not_fun_tI7is_evenIdEEEEEE10hipError_tPvRmT3_T4_T5_T6_T7_T9_mT8_P12ihipStream_tbDpT10_ENKUlT_T0_E_clISt17integral_constantIbLb1EES17_IbLb0EEEEDaS13_S14_EUlS13_E_NS1_11comp_targetILNS1_3genE5ELNS1_11target_archE942ELNS1_3gpuE9ELNS1_3repE0EEENS1_30default_config_static_selectorELNS0_4arch9wavefront6targetE0EEEvT1_
	.globl	_ZN7rocprim17ROCPRIM_400000_NS6detail17trampoline_kernelINS0_14default_configENS1_25partition_config_selectorILNS1_17partition_subalgoE6EdNS0_10empty_typeEbEEZZNS1_14partition_implILS5_6ELb0ES3_mN6thrust23THRUST_200600_302600_NS6detail15normal_iteratorINSA_10device_ptrIdEEEEPS6_SG_NS0_5tupleIJSF_S6_EEENSH_IJSG_SG_EEES6_PlJNSB_9not_fun_tI7is_evenIdEEEEEE10hipError_tPvRmT3_T4_T5_T6_T7_T9_mT8_P12ihipStream_tbDpT10_ENKUlT_T0_E_clISt17integral_constantIbLb1EES17_IbLb0EEEEDaS13_S14_EUlS13_E_NS1_11comp_targetILNS1_3genE5ELNS1_11target_archE942ELNS1_3gpuE9ELNS1_3repE0EEENS1_30default_config_static_selectorELNS0_4arch9wavefront6targetE0EEEvT1_
	.p2align	8
	.type	_ZN7rocprim17ROCPRIM_400000_NS6detail17trampoline_kernelINS0_14default_configENS1_25partition_config_selectorILNS1_17partition_subalgoE6EdNS0_10empty_typeEbEEZZNS1_14partition_implILS5_6ELb0ES3_mN6thrust23THRUST_200600_302600_NS6detail15normal_iteratorINSA_10device_ptrIdEEEEPS6_SG_NS0_5tupleIJSF_S6_EEENSH_IJSG_SG_EEES6_PlJNSB_9not_fun_tI7is_evenIdEEEEEE10hipError_tPvRmT3_T4_T5_T6_T7_T9_mT8_P12ihipStream_tbDpT10_ENKUlT_T0_E_clISt17integral_constantIbLb1EES17_IbLb0EEEEDaS13_S14_EUlS13_E_NS1_11comp_targetILNS1_3genE5ELNS1_11target_archE942ELNS1_3gpuE9ELNS1_3repE0EEENS1_30default_config_static_selectorELNS0_4arch9wavefront6targetE0EEEvT1_,@function
_ZN7rocprim17ROCPRIM_400000_NS6detail17trampoline_kernelINS0_14default_configENS1_25partition_config_selectorILNS1_17partition_subalgoE6EdNS0_10empty_typeEbEEZZNS1_14partition_implILS5_6ELb0ES3_mN6thrust23THRUST_200600_302600_NS6detail15normal_iteratorINSA_10device_ptrIdEEEEPS6_SG_NS0_5tupleIJSF_S6_EEENSH_IJSG_SG_EEES6_PlJNSB_9not_fun_tI7is_evenIdEEEEEE10hipError_tPvRmT3_T4_T5_T6_T7_T9_mT8_P12ihipStream_tbDpT10_ENKUlT_T0_E_clISt17integral_constantIbLb1EES17_IbLb0EEEEDaS13_S14_EUlS13_E_NS1_11comp_targetILNS1_3genE5ELNS1_11target_archE942ELNS1_3gpuE9ELNS1_3repE0EEENS1_30default_config_static_selectorELNS0_4arch9wavefront6targetE0EEEvT1_: ; @_ZN7rocprim17ROCPRIM_400000_NS6detail17trampoline_kernelINS0_14default_configENS1_25partition_config_selectorILNS1_17partition_subalgoE6EdNS0_10empty_typeEbEEZZNS1_14partition_implILS5_6ELb0ES3_mN6thrust23THRUST_200600_302600_NS6detail15normal_iteratorINSA_10device_ptrIdEEEEPS6_SG_NS0_5tupleIJSF_S6_EEENSH_IJSG_SG_EEES6_PlJNSB_9not_fun_tI7is_evenIdEEEEEE10hipError_tPvRmT3_T4_T5_T6_T7_T9_mT8_P12ihipStream_tbDpT10_ENKUlT_T0_E_clISt17integral_constantIbLb1EES17_IbLb0EEEEDaS13_S14_EUlS13_E_NS1_11comp_targetILNS1_3genE5ELNS1_11target_archE942ELNS1_3gpuE9ELNS1_3repE0EEENS1_30default_config_static_selectorELNS0_4arch9wavefront6targetE0EEEvT1_
; %bb.0:
	.section	.rodata,"a",@progbits
	.p2align	6, 0x0
	.amdhsa_kernel _ZN7rocprim17ROCPRIM_400000_NS6detail17trampoline_kernelINS0_14default_configENS1_25partition_config_selectorILNS1_17partition_subalgoE6EdNS0_10empty_typeEbEEZZNS1_14partition_implILS5_6ELb0ES3_mN6thrust23THRUST_200600_302600_NS6detail15normal_iteratorINSA_10device_ptrIdEEEEPS6_SG_NS0_5tupleIJSF_S6_EEENSH_IJSG_SG_EEES6_PlJNSB_9not_fun_tI7is_evenIdEEEEEE10hipError_tPvRmT3_T4_T5_T6_T7_T9_mT8_P12ihipStream_tbDpT10_ENKUlT_T0_E_clISt17integral_constantIbLb1EES17_IbLb0EEEEDaS13_S14_EUlS13_E_NS1_11comp_targetILNS1_3genE5ELNS1_11target_archE942ELNS1_3gpuE9ELNS1_3repE0EEENS1_30default_config_static_selectorELNS0_4arch9wavefront6targetE0EEEvT1_
		.amdhsa_group_segment_fixed_size 0
		.amdhsa_private_segment_fixed_size 0
		.amdhsa_kernarg_size 112
		.amdhsa_user_sgpr_count 2
		.amdhsa_user_sgpr_dispatch_ptr 0
		.amdhsa_user_sgpr_queue_ptr 0
		.amdhsa_user_sgpr_kernarg_segment_ptr 1
		.amdhsa_user_sgpr_dispatch_id 0
		.amdhsa_user_sgpr_private_segment_size 0
		.amdhsa_wavefront_size32 1
		.amdhsa_uses_dynamic_stack 0
		.amdhsa_enable_private_segment 0
		.amdhsa_system_sgpr_workgroup_id_x 1
		.amdhsa_system_sgpr_workgroup_id_y 0
		.amdhsa_system_sgpr_workgroup_id_z 0
		.amdhsa_system_sgpr_workgroup_info 0
		.amdhsa_system_vgpr_workitem_id 0
		.amdhsa_next_free_vgpr 1
		.amdhsa_next_free_sgpr 1
		.amdhsa_reserve_vcc 0
		.amdhsa_float_round_mode_32 0
		.amdhsa_float_round_mode_16_64 0
		.amdhsa_float_denorm_mode_32 3
		.amdhsa_float_denorm_mode_16_64 3
		.amdhsa_fp16_overflow 0
		.amdhsa_workgroup_processor_mode 1
		.amdhsa_memory_ordered 1
		.amdhsa_forward_progress 1
		.amdhsa_inst_pref_size 0
		.amdhsa_round_robin_scheduling 0
		.amdhsa_exception_fp_ieee_invalid_op 0
		.amdhsa_exception_fp_denorm_src 0
		.amdhsa_exception_fp_ieee_div_zero 0
		.amdhsa_exception_fp_ieee_overflow 0
		.amdhsa_exception_fp_ieee_underflow 0
		.amdhsa_exception_fp_ieee_inexact 0
		.amdhsa_exception_int_div_zero 0
	.end_amdhsa_kernel
	.section	.text._ZN7rocprim17ROCPRIM_400000_NS6detail17trampoline_kernelINS0_14default_configENS1_25partition_config_selectorILNS1_17partition_subalgoE6EdNS0_10empty_typeEbEEZZNS1_14partition_implILS5_6ELb0ES3_mN6thrust23THRUST_200600_302600_NS6detail15normal_iteratorINSA_10device_ptrIdEEEEPS6_SG_NS0_5tupleIJSF_S6_EEENSH_IJSG_SG_EEES6_PlJNSB_9not_fun_tI7is_evenIdEEEEEE10hipError_tPvRmT3_T4_T5_T6_T7_T9_mT8_P12ihipStream_tbDpT10_ENKUlT_T0_E_clISt17integral_constantIbLb1EES17_IbLb0EEEEDaS13_S14_EUlS13_E_NS1_11comp_targetILNS1_3genE5ELNS1_11target_archE942ELNS1_3gpuE9ELNS1_3repE0EEENS1_30default_config_static_selectorELNS0_4arch9wavefront6targetE0EEEvT1_,"axG",@progbits,_ZN7rocprim17ROCPRIM_400000_NS6detail17trampoline_kernelINS0_14default_configENS1_25partition_config_selectorILNS1_17partition_subalgoE6EdNS0_10empty_typeEbEEZZNS1_14partition_implILS5_6ELb0ES3_mN6thrust23THRUST_200600_302600_NS6detail15normal_iteratorINSA_10device_ptrIdEEEEPS6_SG_NS0_5tupleIJSF_S6_EEENSH_IJSG_SG_EEES6_PlJNSB_9not_fun_tI7is_evenIdEEEEEE10hipError_tPvRmT3_T4_T5_T6_T7_T9_mT8_P12ihipStream_tbDpT10_ENKUlT_T0_E_clISt17integral_constantIbLb1EES17_IbLb0EEEEDaS13_S14_EUlS13_E_NS1_11comp_targetILNS1_3genE5ELNS1_11target_archE942ELNS1_3gpuE9ELNS1_3repE0EEENS1_30default_config_static_selectorELNS0_4arch9wavefront6targetE0EEEvT1_,comdat
.Lfunc_end550:
	.size	_ZN7rocprim17ROCPRIM_400000_NS6detail17trampoline_kernelINS0_14default_configENS1_25partition_config_selectorILNS1_17partition_subalgoE6EdNS0_10empty_typeEbEEZZNS1_14partition_implILS5_6ELb0ES3_mN6thrust23THRUST_200600_302600_NS6detail15normal_iteratorINSA_10device_ptrIdEEEEPS6_SG_NS0_5tupleIJSF_S6_EEENSH_IJSG_SG_EEES6_PlJNSB_9not_fun_tI7is_evenIdEEEEEE10hipError_tPvRmT3_T4_T5_T6_T7_T9_mT8_P12ihipStream_tbDpT10_ENKUlT_T0_E_clISt17integral_constantIbLb1EES17_IbLb0EEEEDaS13_S14_EUlS13_E_NS1_11comp_targetILNS1_3genE5ELNS1_11target_archE942ELNS1_3gpuE9ELNS1_3repE0EEENS1_30default_config_static_selectorELNS0_4arch9wavefront6targetE0EEEvT1_, .Lfunc_end550-_ZN7rocprim17ROCPRIM_400000_NS6detail17trampoline_kernelINS0_14default_configENS1_25partition_config_selectorILNS1_17partition_subalgoE6EdNS0_10empty_typeEbEEZZNS1_14partition_implILS5_6ELb0ES3_mN6thrust23THRUST_200600_302600_NS6detail15normal_iteratorINSA_10device_ptrIdEEEEPS6_SG_NS0_5tupleIJSF_S6_EEENSH_IJSG_SG_EEES6_PlJNSB_9not_fun_tI7is_evenIdEEEEEE10hipError_tPvRmT3_T4_T5_T6_T7_T9_mT8_P12ihipStream_tbDpT10_ENKUlT_T0_E_clISt17integral_constantIbLb1EES17_IbLb0EEEEDaS13_S14_EUlS13_E_NS1_11comp_targetILNS1_3genE5ELNS1_11target_archE942ELNS1_3gpuE9ELNS1_3repE0EEENS1_30default_config_static_selectorELNS0_4arch9wavefront6targetE0EEEvT1_
                                        ; -- End function
	.set _ZN7rocprim17ROCPRIM_400000_NS6detail17trampoline_kernelINS0_14default_configENS1_25partition_config_selectorILNS1_17partition_subalgoE6EdNS0_10empty_typeEbEEZZNS1_14partition_implILS5_6ELb0ES3_mN6thrust23THRUST_200600_302600_NS6detail15normal_iteratorINSA_10device_ptrIdEEEEPS6_SG_NS0_5tupleIJSF_S6_EEENSH_IJSG_SG_EEES6_PlJNSB_9not_fun_tI7is_evenIdEEEEEE10hipError_tPvRmT3_T4_T5_T6_T7_T9_mT8_P12ihipStream_tbDpT10_ENKUlT_T0_E_clISt17integral_constantIbLb1EES17_IbLb0EEEEDaS13_S14_EUlS13_E_NS1_11comp_targetILNS1_3genE5ELNS1_11target_archE942ELNS1_3gpuE9ELNS1_3repE0EEENS1_30default_config_static_selectorELNS0_4arch9wavefront6targetE0EEEvT1_.num_vgpr, 0
	.set _ZN7rocprim17ROCPRIM_400000_NS6detail17trampoline_kernelINS0_14default_configENS1_25partition_config_selectorILNS1_17partition_subalgoE6EdNS0_10empty_typeEbEEZZNS1_14partition_implILS5_6ELb0ES3_mN6thrust23THRUST_200600_302600_NS6detail15normal_iteratorINSA_10device_ptrIdEEEEPS6_SG_NS0_5tupleIJSF_S6_EEENSH_IJSG_SG_EEES6_PlJNSB_9not_fun_tI7is_evenIdEEEEEE10hipError_tPvRmT3_T4_T5_T6_T7_T9_mT8_P12ihipStream_tbDpT10_ENKUlT_T0_E_clISt17integral_constantIbLb1EES17_IbLb0EEEEDaS13_S14_EUlS13_E_NS1_11comp_targetILNS1_3genE5ELNS1_11target_archE942ELNS1_3gpuE9ELNS1_3repE0EEENS1_30default_config_static_selectorELNS0_4arch9wavefront6targetE0EEEvT1_.num_agpr, 0
	.set _ZN7rocprim17ROCPRIM_400000_NS6detail17trampoline_kernelINS0_14default_configENS1_25partition_config_selectorILNS1_17partition_subalgoE6EdNS0_10empty_typeEbEEZZNS1_14partition_implILS5_6ELb0ES3_mN6thrust23THRUST_200600_302600_NS6detail15normal_iteratorINSA_10device_ptrIdEEEEPS6_SG_NS0_5tupleIJSF_S6_EEENSH_IJSG_SG_EEES6_PlJNSB_9not_fun_tI7is_evenIdEEEEEE10hipError_tPvRmT3_T4_T5_T6_T7_T9_mT8_P12ihipStream_tbDpT10_ENKUlT_T0_E_clISt17integral_constantIbLb1EES17_IbLb0EEEEDaS13_S14_EUlS13_E_NS1_11comp_targetILNS1_3genE5ELNS1_11target_archE942ELNS1_3gpuE9ELNS1_3repE0EEENS1_30default_config_static_selectorELNS0_4arch9wavefront6targetE0EEEvT1_.numbered_sgpr, 0
	.set _ZN7rocprim17ROCPRIM_400000_NS6detail17trampoline_kernelINS0_14default_configENS1_25partition_config_selectorILNS1_17partition_subalgoE6EdNS0_10empty_typeEbEEZZNS1_14partition_implILS5_6ELb0ES3_mN6thrust23THRUST_200600_302600_NS6detail15normal_iteratorINSA_10device_ptrIdEEEEPS6_SG_NS0_5tupleIJSF_S6_EEENSH_IJSG_SG_EEES6_PlJNSB_9not_fun_tI7is_evenIdEEEEEE10hipError_tPvRmT3_T4_T5_T6_T7_T9_mT8_P12ihipStream_tbDpT10_ENKUlT_T0_E_clISt17integral_constantIbLb1EES17_IbLb0EEEEDaS13_S14_EUlS13_E_NS1_11comp_targetILNS1_3genE5ELNS1_11target_archE942ELNS1_3gpuE9ELNS1_3repE0EEENS1_30default_config_static_selectorELNS0_4arch9wavefront6targetE0EEEvT1_.num_named_barrier, 0
	.set _ZN7rocprim17ROCPRIM_400000_NS6detail17trampoline_kernelINS0_14default_configENS1_25partition_config_selectorILNS1_17partition_subalgoE6EdNS0_10empty_typeEbEEZZNS1_14partition_implILS5_6ELb0ES3_mN6thrust23THRUST_200600_302600_NS6detail15normal_iteratorINSA_10device_ptrIdEEEEPS6_SG_NS0_5tupleIJSF_S6_EEENSH_IJSG_SG_EEES6_PlJNSB_9not_fun_tI7is_evenIdEEEEEE10hipError_tPvRmT3_T4_T5_T6_T7_T9_mT8_P12ihipStream_tbDpT10_ENKUlT_T0_E_clISt17integral_constantIbLb1EES17_IbLb0EEEEDaS13_S14_EUlS13_E_NS1_11comp_targetILNS1_3genE5ELNS1_11target_archE942ELNS1_3gpuE9ELNS1_3repE0EEENS1_30default_config_static_selectorELNS0_4arch9wavefront6targetE0EEEvT1_.private_seg_size, 0
	.set _ZN7rocprim17ROCPRIM_400000_NS6detail17trampoline_kernelINS0_14default_configENS1_25partition_config_selectorILNS1_17partition_subalgoE6EdNS0_10empty_typeEbEEZZNS1_14partition_implILS5_6ELb0ES3_mN6thrust23THRUST_200600_302600_NS6detail15normal_iteratorINSA_10device_ptrIdEEEEPS6_SG_NS0_5tupleIJSF_S6_EEENSH_IJSG_SG_EEES6_PlJNSB_9not_fun_tI7is_evenIdEEEEEE10hipError_tPvRmT3_T4_T5_T6_T7_T9_mT8_P12ihipStream_tbDpT10_ENKUlT_T0_E_clISt17integral_constantIbLb1EES17_IbLb0EEEEDaS13_S14_EUlS13_E_NS1_11comp_targetILNS1_3genE5ELNS1_11target_archE942ELNS1_3gpuE9ELNS1_3repE0EEENS1_30default_config_static_selectorELNS0_4arch9wavefront6targetE0EEEvT1_.uses_vcc, 0
	.set _ZN7rocprim17ROCPRIM_400000_NS6detail17trampoline_kernelINS0_14default_configENS1_25partition_config_selectorILNS1_17partition_subalgoE6EdNS0_10empty_typeEbEEZZNS1_14partition_implILS5_6ELb0ES3_mN6thrust23THRUST_200600_302600_NS6detail15normal_iteratorINSA_10device_ptrIdEEEEPS6_SG_NS0_5tupleIJSF_S6_EEENSH_IJSG_SG_EEES6_PlJNSB_9not_fun_tI7is_evenIdEEEEEE10hipError_tPvRmT3_T4_T5_T6_T7_T9_mT8_P12ihipStream_tbDpT10_ENKUlT_T0_E_clISt17integral_constantIbLb1EES17_IbLb0EEEEDaS13_S14_EUlS13_E_NS1_11comp_targetILNS1_3genE5ELNS1_11target_archE942ELNS1_3gpuE9ELNS1_3repE0EEENS1_30default_config_static_selectorELNS0_4arch9wavefront6targetE0EEEvT1_.uses_flat_scratch, 0
	.set _ZN7rocprim17ROCPRIM_400000_NS6detail17trampoline_kernelINS0_14default_configENS1_25partition_config_selectorILNS1_17partition_subalgoE6EdNS0_10empty_typeEbEEZZNS1_14partition_implILS5_6ELb0ES3_mN6thrust23THRUST_200600_302600_NS6detail15normal_iteratorINSA_10device_ptrIdEEEEPS6_SG_NS0_5tupleIJSF_S6_EEENSH_IJSG_SG_EEES6_PlJNSB_9not_fun_tI7is_evenIdEEEEEE10hipError_tPvRmT3_T4_T5_T6_T7_T9_mT8_P12ihipStream_tbDpT10_ENKUlT_T0_E_clISt17integral_constantIbLb1EES17_IbLb0EEEEDaS13_S14_EUlS13_E_NS1_11comp_targetILNS1_3genE5ELNS1_11target_archE942ELNS1_3gpuE9ELNS1_3repE0EEENS1_30default_config_static_selectorELNS0_4arch9wavefront6targetE0EEEvT1_.has_dyn_sized_stack, 0
	.set _ZN7rocprim17ROCPRIM_400000_NS6detail17trampoline_kernelINS0_14default_configENS1_25partition_config_selectorILNS1_17partition_subalgoE6EdNS0_10empty_typeEbEEZZNS1_14partition_implILS5_6ELb0ES3_mN6thrust23THRUST_200600_302600_NS6detail15normal_iteratorINSA_10device_ptrIdEEEEPS6_SG_NS0_5tupleIJSF_S6_EEENSH_IJSG_SG_EEES6_PlJNSB_9not_fun_tI7is_evenIdEEEEEE10hipError_tPvRmT3_T4_T5_T6_T7_T9_mT8_P12ihipStream_tbDpT10_ENKUlT_T0_E_clISt17integral_constantIbLb1EES17_IbLb0EEEEDaS13_S14_EUlS13_E_NS1_11comp_targetILNS1_3genE5ELNS1_11target_archE942ELNS1_3gpuE9ELNS1_3repE0EEENS1_30default_config_static_selectorELNS0_4arch9wavefront6targetE0EEEvT1_.has_recursion, 0
	.set _ZN7rocprim17ROCPRIM_400000_NS6detail17trampoline_kernelINS0_14default_configENS1_25partition_config_selectorILNS1_17partition_subalgoE6EdNS0_10empty_typeEbEEZZNS1_14partition_implILS5_6ELb0ES3_mN6thrust23THRUST_200600_302600_NS6detail15normal_iteratorINSA_10device_ptrIdEEEEPS6_SG_NS0_5tupleIJSF_S6_EEENSH_IJSG_SG_EEES6_PlJNSB_9not_fun_tI7is_evenIdEEEEEE10hipError_tPvRmT3_T4_T5_T6_T7_T9_mT8_P12ihipStream_tbDpT10_ENKUlT_T0_E_clISt17integral_constantIbLb1EES17_IbLb0EEEEDaS13_S14_EUlS13_E_NS1_11comp_targetILNS1_3genE5ELNS1_11target_archE942ELNS1_3gpuE9ELNS1_3repE0EEENS1_30default_config_static_selectorELNS0_4arch9wavefront6targetE0EEEvT1_.has_indirect_call, 0
	.section	.AMDGPU.csdata,"",@progbits
; Kernel info:
; codeLenInByte = 0
; TotalNumSgprs: 0
; NumVgprs: 0
; ScratchSize: 0
; MemoryBound: 0
; FloatMode: 240
; IeeeMode: 1
; LDSByteSize: 0 bytes/workgroup (compile time only)
; SGPRBlocks: 0
; VGPRBlocks: 0
; NumSGPRsForWavesPerEU: 1
; NumVGPRsForWavesPerEU: 1
; Occupancy: 16
; WaveLimiterHint : 0
; COMPUTE_PGM_RSRC2:SCRATCH_EN: 0
; COMPUTE_PGM_RSRC2:USER_SGPR: 2
; COMPUTE_PGM_RSRC2:TRAP_HANDLER: 0
; COMPUTE_PGM_RSRC2:TGID_X_EN: 1
; COMPUTE_PGM_RSRC2:TGID_Y_EN: 0
; COMPUTE_PGM_RSRC2:TGID_Z_EN: 0
; COMPUTE_PGM_RSRC2:TIDIG_COMP_CNT: 0
	.section	.text._ZN7rocprim17ROCPRIM_400000_NS6detail17trampoline_kernelINS0_14default_configENS1_25partition_config_selectorILNS1_17partition_subalgoE6EdNS0_10empty_typeEbEEZZNS1_14partition_implILS5_6ELb0ES3_mN6thrust23THRUST_200600_302600_NS6detail15normal_iteratorINSA_10device_ptrIdEEEEPS6_SG_NS0_5tupleIJSF_S6_EEENSH_IJSG_SG_EEES6_PlJNSB_9not_fun_tI7is_evenIdEEEEEE10hipError_tPvRmT3_T4_T5_T6_T7_T9_mT8_P12ihipStream_tbDpT10_ENKUlT_T0_E_clISt17integral_constantIbLb1EES17_IbLb0EEEEDaS13_S14_EUlS13_E_NS1_11comp_targetILNS1_3genE4ELNS1_11target_archE910ELNS1_3gpuE8ELNS1_3repE0EEENS1_30default_config_static_selectorELNS0_4arch9wavefront6targetE0EEEvT1_,"axG",@progbits,_ZN7rocprim17ROCPRIM_400000_NS6detail17trampoline_kernelINS0_14default_configENS1_25partition_config_selectorILNS1_17partition_subalgoE6EdNS0_10empty_typeEbEEZZNS1_14partition_implILS5_6ELb0ES3_mN6thrust23THRUST_200600_302600_NS6detail15normal_iteratorINSA_10device_ptrIdEEEEPS6_SG_NS0_5tupleIJSF_S6_EEENSH_IJSG_SG_EEES6_PlJNSB_9not_fun_tI7is_evenIdEEEEEE10hipError_tPvRmT3_T4_T5_T6_T7_T9_mT8_P12ihipStream_tbDpT10_ENKUlT_T0_E_clISt17integral_constantIbLb1EES17_IbLb0EEEEDaS13_S14_EUlS13_E_NS1_11comp_targetILNS1_3genE4ELNS1_11target_archE910ELNS1_3gpuE8ELNS1_3repE0EEENS1_30default_config_static_selectorELNS0_4arch9wavefront6targetE0EEEvT1_,comdat
	.protected	_ZN7rocprim17ROCPRIM_400000_NS6detail17trampoline_kernelINS0_14default_configENS1_25partition_config_selectorILNS1_17partition_subalgoE6EdNS0_10empty_typeEbEEZZNS1_14partition_implILS5_6ELb0ES3_mN6thrust23THRUST_200600_302600_NS6detail15normal_iteratorINSA_10device_ptrIdEEEEPS6_SG_NS0_5tupleIJSF_S6_EEENSH_IJSG_SG_EEES6_PlJNSB_9not_fun_tI7is_evenIdEEEEEE10hipError_tPvRmT3_T4_T5_T6_T7_T9_mT8_P12ihipStream_tbDpT10_ENKUlT_T0_E_clISt17integral_constantIbLb1EES17_IbLb0EEEEDaS13_S14_EUlS13_E_NS1_11comp_targetILNS1_3genE4ELNS1_11target_archE910ELNS1_3gpuE8ELNS1_3repE0EEENS1_30default_config_static_selectorELNS0_4arch9wavefront6targetE0EEEvT1_ ; -- Begin function _ZN7rocprim17ROCPRIM_400000_NS6detail17trampoline_kernelINS0_14default_configENS1_25partition_config_selectorILNS1_17partition_subalgoE6EdNS0_10empty_typeEbEEZZNS1_14partition_implILS5_6ELb0ES3_mN6thrust23THRUST_200600_302600_NS6detail15normal_iteratorINSA_10device_ptrIdEEEEPS6_SG_NS0_5tupleIJSF_S6_EEENSH_IJSG_SG_EEES6_PlJNSB_9not_fun_tI7is_evenIdEEEEEE10hipError_tPvRmT3_T4_T5_T6_T7_T9_mT8_P12ihipStream_tbDpT10_ENKUlT_T0_E_clISt17integral_constantIbLb1EES17_IbLb0EEEEDaS13_S14_EUlS13_E_NS1_11comp_targetILNS1_3genE4ELNS1_11target_archE910ELNS1_3gpuE8ELNS1_3repE0EEENS1_30default_config_static_selectorELNS0_4arch9wavefront6targetE0EEEvT1_
	.globl	_ZN7rocprim17ROCPRIM_400000_NS6detail17trampoline_kernelINS0_14default_configENS1_25partition_config_selectorILNS1_17partition_subalgoE6EdNS0_10empty_typeEbEEZZNS1_14partition_implILS5_6ELb0ES3_mN6thrust23THRUST_200600_302600_NS6detail15normal_iteratorINSA_10device_ptrIdEEEEPS6_SG_NS0_5tupleIJSF_S6_EEENSH_IJSG_SG_EEES6_PlJNSB_9not_fun_tI7is_evenIdEEEEEE10hipError_tPvRmT3_T4_T5_T6_T7_T9_mT8_P12ihipStream_tbDpT10_ENKUlT_T0_E_clISt17integral_constantIbLb1EES17_IbLb0EEEEDaS13_S14_EUlS13_E_NS1_11comp_targetILNS1_3genE4ELNS1_11target_archE910ELNS1_3gpuE8ELNS1_3repE0EEENS1_30default_config_static_selectorELNS0_4arch9wavefront6targetE0EEEvT1_
	.p2align	8
	.type	_ZN7rocprim17ROCPRIM_400000_NS6detail17trampoline_kernelINS0_14default_configENS1_25partition_config_selectorILNS1_17partition_subalgoE6EdNS0_10empty_typeEbEEZZNS1_14partition_implILS5_6ELb0ES3_mN6thrust23THRUST_200600_302600_NS6detail15normal_iteratorINSA_10device_ptrIdEEEEPS6_SG_NS0_5tupleIJSF_S6_EEENSH_IJSG_SG_EEES6_PlJNSB_9not_fun_tI7is_evenIdEEEEEE10hipError_tPvRmT3_T4_T5_T6_T7_T9_mT8_P12ihipStream_tbDpT10_ENKUlT_T0_E_clISt17integral_constantIbLb1EES17_IbLb0EEEEDaS13_S14_EUlS13_E_NS1_11comp_targetILNS1_3genE4ELNS1_11target_archE910ELNS1_3gpuE8ELNS1_3repE0EEENS1_30default_config_static_selectorELNS0_4arch9wavefront6targetE0EEEvT1_,@function
_ZN7rocprim17ROCPRIM_400000_NS6detail17trampoline_kernelINS0_14default_configENS1_25partition_config_selectorILNS1_17partition_subalgoE6EdNS0_10empty_typeEbEEZZNS1_14partition_implILS5_6ELb0ES3_mN6thrust23THRUST_200600_302600_NS6detail15normal_iteratorINSA_10device_ptrIdEEEEPS6_SG_NS0_5tupleIJSF_S6_EEENSH_IJSG_SG_EEES6_PlJNSB_9not_fun_tI7is_evenIdEEEEEE10hipError_tPvRmT3_T4_T5_T6_T7_T9_mT8_P12ihipStream_tbDpT10_ENKUlT_T0_E_clISt17integral_constantIbLb1EES17_IbLb0EEEEDaS13_S14_EUlS13_E_NS1_11comp_targetILNS1_3genE4ELNS1_11target_archE910ELNS1_3gpuE8ELNS1_3repE0EEENS1_30default_config_static_selectorELNS0_4arch9wavefront6targetE0EEEvT1_: ; @_ZN7rocprim17ROCPRIM_400000_NS6detail17trampoline_kernelINS0_14default_configENS1_25partition_config_selectorILNS1_17partition_subalgoE6EdNS0_10empty_typeEbEEZZNS1_14partition_implILS5_6ELb0ES3_mN6thrust23THRUST_200600_302600_NS6detail15normal_iteratorINSA_10device_ptrIdEEEEPS6_SG_NS0_5tupleIJSF_S6_EEENSH_IJSG_SG_EEES6_PlJNSB_9not_fun_tI7is_evenIdEEEEEE10hipError_tPvRmT3_T4_T5_T6_T7_T9_mT8_P12ihipStream_tbDpT10_ENKUlT_T0_E_clISt17integral_constantIbLb1EES17_IbLb0EEEEDaS13_S14_EUlS13_E_NS1_11comp_targetILNS1_3genE4ELNS1_11target_archE910ELNS1_3gpuE8ELNS1_3repE0EEENS1_30default_config_static_selectorELNS0_4arch9wavefront6targetE0EEEvT1_
; %bb.0:
	.section	.rodata,"a",@progbits
	.p2align	6, 0x0
	.amdhsa_kernel _ZN7rocprim17ROCPRIM_400000_NS6detail17trampoline_kernelINS0_14default_configENS1_25partition_config_selectorILNS1_17partition_subalgoE6EdNS0_10empty_typeEbEEZZNS1_14partition_implILS5_6ELb0ES3_mN6thrust23THRUST_200600_302600_NS6detail15normal_iteratorINSA_10device_ptrIdEEEEPS6_SG_NS0_5tupleIJSF_S6_EEENSH_IJSG_SG_EEES6_PlJNSB_9not_fun_tI7is_evenIdEEEEEE10hipError_tPvRmT3_T4_T5_T6_T7_T9_mT8_P12ihipStream_tbDpT10_ENKUlT_T0_E_clISt17integral_constantIbLb1EES17_IbLb0EEEEDaS13_S14_EUlS13_E_NS1_11comp_targetILNS1_3genE4ELNS1_11target_archE910ELNS1_3gpuE8ELNS1_3repE0EEENS1_30default_config_static_selectorELNS0_4arch9wavefront6targetE0EEEvT1_
		.amdhsa_group_segment_fixed_size 0
		.amdhsa_private_segment_fixed_size 0
		.amdhsa_kernarg_size 112
		.amdhsa_user_sgpr_count 2
		.amdhsa_user_sgpr_dispatch_ptr 0
		.amdhsa_user_sgpr_queue_ptr 0
		.amdhsa_user_sgpr_kernarg_segment_ptr 1
		.amdhsa_user_sgpr_dispatch_id 0
		.amdhsa_user_sgpr_private_segment_size 0
		.amdhsa_wavefront_size32 1
		.amdhsa_uses_dynamic_stack 0
		.amdhsa_enable_private_segment 0
		.amdhsa_system_sgpr_workgroup_id_x 1
		.amdhsa_system_sgpr_workgroup_id_y 0
		.amdhsa_system_sgpr_workgroup_id_z 0
		.amdhsa_system_sgpr_workgroup_info 0
		.amdhsa_system_vgpr_workitem_id 0
		.amdhsa_next_free_vgpr 1
		.amdhsa_next_free_sgpr 1
		.amdhsa_reserve_vcc 0
		.amdhsa_float_round_mode_32 0
		.amdhsa_float_round_mode_16_64 0
		.amdhsa_float_denorm_mode_32 3
		.amdhsa_float_denorm_mode_16_64 3
		.amdhsa_fp16_overflow 0
		.amdhsa_workgroup_processor_mode 1
		.amdhsa_memory_ordered 1
		.amdhsa_forward_progress 1
		.amdhsa_inst_pref_size 0
		.amdhsa_round_robin_scheduling 0
		.amdhsa_exception_fp_ieee_invalid_op 0
		.amdhsa_exception_fp_denorm_src 0
		.amdhsa_exception_fp_ieee_div_zero 0
		.amdhsa_exception_fp_ieee_overflow 0
		.amdhsa_exception_fp_ieee_underflow 0
		.amdhsa_exception_fp_ieee_inexact 0
		.amdhsa_exception_int_div_zero 0
	.end_amdhsa_kernel
	.section	.text._ZN7rocprim17ROCPRIM_400000_NS6detail17trampoline_kernelINS0_14default_configENS1_25partition_config_selectorILNS1_17partition_subalgoE6EdNS0_10empty_typeEbEEZZNS1_14partition_implILS5_6ELb0ES3_mN6thrust23THRUST_200600_302600_NS6detail15normal_iteratorINSA_10device_ptrIdEEEEPS6_SG_NS0_5tupleIJSF_S6_EEENSH_IJSG_SG_EEES6_PlJNSB_9not_fun_tI7is_evenIdEEEEEE10hipError_tPvRmT3_T4_T5_T6_T7_T9_mT8_P12ihipStream_tbDpT10_ENKUlT_T0_E_clISt17integral_constantIbLb1EES17_IbLb0EEEEDaS13_S14_EUlS13_E_NS1_11comp_targetILNS1_3genE4ELNS1_11target_archE910ELNS1_3gpuE8ELNS1_3repE0EEENS1_30default_config_static_selectorELNS0_4arch9wavefront6targetE0EEEvT1_,"axG",@progbits,_ZN7rocprim17ROCPRIM_400000_NS6detail17trampoline_kernelINS0_14default_configENS1_25partition_config_selectorILNS1_17partition_subalgoE6EdNS0_10empty_typeEbEEZZNS1_14partition_implILS5_6ELb0ES3_mN6thrust23THRUST_200600_302600_NS6detail15normal_iteratorINSA_10device_ptrIdEEEEPS6_SG_NS0_5tupleIJSF_S6_EEENSH_IJSG_SG_EEES6_PlJNSB_9not_fun_tI7is_evenIdEEEEEE10hipError_tPvRmT3_T4_T5_T6_T7_T9_mT8_P12ihipStream_tbDpT10_ENKUlT_T0_E_clISt17integral_constantIbLb1EES17_IbLb0EEEEDaS13_S14_EUlS13_E_NS1_11comp_targetILNS1_3genE4ELNS1_11target_archE910ELNS1_3gpuE8ELNS1_3repE0EEENS1_30default_config_static_selectorELNS0_4arch9wavefront6targetE0EEEvT1_,comdat
.Lfunc_end551:
	.size	_ZN7rocprim17ROCPRIM_400000_NS6detail17trampoline_kernelINS0_14default_configENS1_25partition_config_selectorILNS1_17partition_subalgoE6EdNS0_10empty_typeEbEEZZNS1_14partition_implILS5_6ELb0ES3_mN6thrust23THRUST_200600_302600_NS6detail15normal_iteratorINSA_10device_ptrIdEEEEPS6_SG_NS0_5tupleIJSF_S6_EEENSH_IJSG_SG_EEES6_PlJNSB_9not_fun_tI7is_evenIdEEEEEE10hipError_tPvRmT3_T4_T5_T6_T7_T9_mT8_P12ihipStream_tbDpT10_ENKUlT_T0_E_clISt17integral_constantIbLb1EES17_IbLb0EEEEDaS13_S14_EUlS13_E_NS1_11comp_targetILNS1_3genE4ELNS1_11target_archE910ELNS1_3gpuE8ELNS1_3repE0EEENS1_30default_config_static_selectorELNS0_4arch9wavefront6targetE0EEEvT1_, .Lfunc_end551-_ZN7rocprim17ROCPRIM_400000_NS6detail17trampoline_kernelINS0_14default_configENS1_25partition_config_selectorILNS1_17partition_subalgoE6EdNS0_10empty_typeEbEEZZNS1_14partition_implILS5_6ELb0ES3_mN6thrust23THRUST_200600_302600_NS6detail15normal_iteratorINSA_10device_ptrIdEEEEPS6_SG_NS0_5tupleIJSF_S6_EEENSH_IJSG_SG_EEES6_PlJNSB_9not_fun_tI7is_evenIdEEEEEE10hipError_tPvRmT3_T4_T5_T6_T7_T9_mT8_P12ihipStream_tbDpT10_ENKUlT_T0_E_clISt17integral_constantIbLb1EES17_IbLb0EEEEDaS13_S14_EUlS13_E_NS1_11comp_targetILNS1_3genE4ELNS1_11target_archE910ELNS1_3gpuE8ELNS1_3repE0EEENS1_30default_config_static_selectorELNS0_4arch9wavefront6targetE0EEEvT1_
                                        ; -- End function
	.set _ZN7rocprim17ROCPRIM_400000_NS6detail17trampoline_kernelINS0_14default_configENS1_25partition_config_selectorILNS1_17partition_subalgoE6EdNS0_10empty_typeEbEEZZNS1_14partition_implILS5_6ELb0ES3_mN6thrust23THRUST_200600_302600_NS6detail15normal_iteratorINSA_10device_ptrIdEEEEPS6_SG_NS0_5tupleIJSF_S6_EEENSH_IJSG_SG_EEES6_PlJNSB_9not_fun_tI7is_evenIdEEEEEE10hipError_tPvRmT3_T4_T5_T6_T7_T9_mT8_P12ihipStream_tbDpT10_ENKUlT_T0_E_clISt17integral_constantIbLb1EES17_IbLb0EEEEDaS13_S14_EUlS13_E_NS1_11comp_targetILNS1_3genE4ELNS1_11target_archE910ELNS1_3gpuE8ELNS1_3repE0EEENS1_30default_config_static_selectorELNS0_4arch9wavefront6targetE0EEEvT1_.num_vgpr, 0
	.set _ZN7rocprim17ROCPRIM_400000_NS6detail17trampoline_kernelINS0_14default_configENS1_25partition_config_selectorILNS1_17partition_subalgoE6EdNS0_10empty_typeEbEEZZNS1_14partition_implILS5_6ELb0ES3_mN6thrust23THRUST_200600_302600_NS6detail15normal_iteratorINSA_10device_ptrIdEEEEPS6_SG_NS0_5tupleIJSF_S6_EEENSH_IJSG_SG_EEES6_PlJNSB_9not_fun_tI7is_evenIdEEEEEE10hipError_tPvRmT3_T4_T5_T6_T7_T9_mT8_P12ihipStream_tbDpT10_ENKUlT_T0_E_clISt17integral_constantIbLb1EES17_IbLb0EEEEDaS13_S14_EUlS13_E_NS1_11comp_targetILNS1_3genE4ELNS1_11target_archE910ELNS1_3gpuE8ELNS1_3repE0EEENS1_30default_config_static_selectorELNS0_4arch9wavefront6targetE0EEEvT1_.num_agpr, 0
	.set _ZN7rocprim17ROCPRIM_400000_NS6detail17trampoline_kernelINS0_14default_configENS1_25partition_config_selectorILNS1_17partition_subalgoE6EdNS0_10empty_typeEbEEZZNS1_14partition_implILS5_6ELb0ES3_mN6thrust23THRUST_200600_302600_NS6detail15normal_iteratorINSA_10device_ptrIdEEEEPS6_SG_NS0_5tupleIJSF_S6_EEENSH_IJSG_SG_EEES6_PlJNSB_9not_fun_tI7is_evenIdEEEEEE10hipError_tPvRmT3_T4_T5_T6_T7_T9_mT8_P12ihipStream_tbDpT10_ENKUlT_T0_E_clISt17integral_constantIbLb1EES17_IbLb0EEEEDaS13_S14_EUlS13_E_NS1_11comp_targetILNS1_3genE4ELNS1_11target_archE910ELNS1_3gpuE8ELNS1_3repE0EEENS1_30default_config_static_selectorELNS0_4arch9wavefront6targetE0EEEvT1_.numbered_sgpr, 0
	.set _ZN7rocprim17ROCPRIM_400000_NS6detail17trampoline_kernelINS0_14default_configENS1_25partition_config_selectorILNS1_17partition_subalgoE6EdNS0_10empty_typeEbEEZZNS1_14partition_implILS5_6ELb0ES3_mN6thrust23THRUST_200600_302600_NS6detail15normal_iteratorINSA_10device_ptrIdEEEEPS6_SG_NS0_5tupleIJSF_S6_EEENSH_IJSG_SG_EEES6_PlJNSB_9not_fun_tI7is_evenIdEEEEEE10hipError_tPvRmT3_T4_T5_T6_T7_T9_mT8_P12ihipStream_tbDpT10_ENKUlT_T0_E_clISt17integral_constantIbLb1EES17_IbLb0EEEEDaS13_S14_EUlS13_E_NS1_11comp_targetILNS1_3genE4ELNS1_11target_archE910ELNS1_3gpuE8ELNS1_3repE0EEENS1_30default_config_static_selectorELNS0_4arch9wavefront6targetE0EEEvT1_.num_named_barrier, 0
	.set _ZN7rocprim17ROCPRIM_400000_NS6detail17trampoline_kernelINS0_14default_configENS1_25partition_config_selectorILNS1_17partition_subalgoE6EdNS0_10empty_typeEbEEZZNS1_14partition_implILS5_6ELb0ES3_mN6thrust23THRUST_200600_302600_NS6detail15normal_iteratorINSA_10device_ptrIdEEEEPS6_SG_NS0_5tupleIJSF_S6_EEENSH_IJSG_SG_EEES6_PlJNSB_9not_fun_tI7is_evenIdEEEEEE10hipError_tPvRmT3_T4_T5_T6_T7_T9_mT8_P12ihipStream_tbDpT10_ENKUlT_T0_E_clISt17integral_constantIbLb1EES17_IbLb0EEEEDaS13_S14_EUlS13_E_NS1_11comp_targetILNS1_3genE4ELNS1_11target_archE910ELNS1_3gpuE8ELNS1_3repE0EEENS1_30default_config_static_selectorELNS0_4arch9wavefront6targetE0EEEvT1_.private_seg_size, 0
	.set _ZN7rocprim17ROCPRIM_400000_NS6detail17trampoline_kernelINS0_14default_configENS1_25partition_config_selectorILNS1_17partition_subalgoE6EdNS0_10empty_typeEbEEZZNS1_14partition_implILS5_6ELb0ES3_mN6thrust23THRUST_200600_302600_NS6detail15normal_iteratorINSA_10device_ptrIdEEEEPS6_SG_NS0_5tupleIJSF_S6_EEENSH_IJSG_SG_EEES6_PlJNSB_9not_fun_tI7is_evenIdEEEEEE10hipError_tPvRmT3_T4_T5_T6_T7_T9_mT8_P12ihipStream_tbDpT10_ENKUlT_T0_E_clISt17integral_constantIbLb1EES17_IbLb0EEEEDaS13_S14_EUlS13_E_NS1_11comp_targetILNS1_3genE4ELNS1_11target_archE910ELNS1_3gpuE8ELNS1_3repE0EEENS1_30default_config_static_selectorELNS0_4arch9wavefront6targetE0EEEvT1_.uses_vcc, 0
	.set _ZN7rocprim17ROCPRIM_400000_NS6detail17trampoline_kernelINS0_14default_configENS1_25partition_config_selectorILNS1_17partition_subalgoE6EdNS0_10empty_typeEbEEZZNS1_14partition_implILS5_6ELb0ES3_mN6thrust23THRUST_200600_302600_NS6detail15normal_iteratorINSA_10device_ptrIdEEEEPS6_SG_NS0_5tupleIJSF_S6_EEENSH_IJSG_SG_EEES6_PlJNSB_9not_fun_tI7is_evenIdEEEEEE10hipError_tPvRmT3_T4_T5_T6_T7_T9_mT8_P12ihipStream_tbDpT10_ENKUlT_T0_E_clISt17integral_constantIbLb1EES17_IbLb0EEEEDaS13_S14_EUlS13_E_NS1_11comp_targetILNS1_3genE4ELNS1_11target_archE910ELNS1_3gpuE8ELNS1_3repE0EEENS1_30default_config_static_selectorELNS0_4arch9wavefront6targetE0EEEvT1_.uses_flat_scratch, 0
	.set _ZN7rocprim17ROCPRIM_400000_NS6detail17trampoline_kernelINS0_14default_configENS1_25partition_config_selectorILNS1_17partition_subalgoE6EdNS0_10empty_typeEbEEZZNS1_14partition_implILS5_6ELb0ES3_mN6thrust23THRUST_200600_302600_NS6detail15normal_iteratorINSA_10device_ptrIdEEEEPS6_SG_NS0_5tupleIJSF_S6_EEENSH_IJSG_SG_EEES6_PlJNSB_9not_fun_tI7is_evenIdEEEEEE10hipError_tPvRmT3_T4_T5_T6_T7_T9_mT8_P12ihipStream_tbDpT10_ENKUlT_T0_E_clISt17integral_constantIbLb1EES17_IbLb0EEEEDaS13_S14_EUlS13_E_NS1_11comp_targetILNS1_3genE4ELNS1_11target_archE910ELNS1_3gpuE8ELNS1_3repE0EEENS1_30default_config_static_selectorELNS0_4arch9wavefront6targetE0EEEvT1_.has_dyn_sized_stack, 0
	.set _ZN7rocprim17ROCPRIM_400000_NS6detail17trampoline_kernelINS0_14default_configENS1_25partition_config_selectorILNS1_17partition_subalgoE6EdNS0_10empty_typeEbEEZZNS1_14partition_implILS5_6ELb0ES3_mN6thrust23THRUST_200600_302600_NS6detail15normal_iteratorINSA_10device_ptrIdEEEEPS6_SG_NS0_5tupleIJSF_S6_EEENSH_IJSG_SG_EEES6_PlJNSB_9not_fun_tI7is_evenIdEEEEEE10hipError_tPvRmT3_T4_T5_T6_T7_T9_mT8_P12ihipStream_tbDpT10_ENKUlT_T0_E_clISt17integral_constantIbLb1EES17_IbLb0EEEEDaS13_S14_EUlS13_E_NS1_11comp_targetILNS1_3genE4ELNS1_11target_archE910ELNS1_3gpuE8ELNS1_3repE0EEENS1_30default_config_static_selectorELNS0_4arch9wavefront6targetE0EEEvT1_.has_recursion, 0
	.set _ZN7rocprim17ROCPRIM_400000_NS6detail17trampoline_kernelINS0_14default_configENS1_25partition_config_selectorILNS1_17partition_subalgoE6EdNS0_10empty_typeEbEEZZNS1_14partition_implILS5_6ELb0ES3_mN6thrust23THRUST_200600_302600_NS6detail15normal_iteratorINSA_10device_ptrIdEEEEPS6_SG_NS0_5tupleIJSF_S6_EEENSH_IJSG_SG_EEES6_PlJNSB_9not_fun_tI7is_evenIdEEEEEE10hipError_tPvRmT3_T4_T5_T6_T7_T9_mT8_P12ihipStream_tbDpT10_ENKUlT_T0_E_clISt17integral_constantIbLb1EES17_IbLb0EEEEDaS13_S14_EUlS13_E_NS1_11comp_targetILNS1_3genE4ELNS1_11target_archE910ELNS1_3gpuE8ELNS1_3repE0EEENS1_30default_config_static_selectorELNS0_4arch9wavefront6targetE0EEEvT1_.has_indirect_call, 0
	.section	.AMDGPU.csdata,"",@progbits
; Kernel info:
; codeLenInByte = 0
; TotalNumSgprs: 0
; NumVgprs: 0
; ScratchSize: 0
; MemoryBound: 0
; FloatMode: 240
; IeeeMode: 1
; LDSByteSize: 0 bytes/workgroup (compile time only)
; SGPRBlocks: 0
; VGPRBlocks: 0
; NumSGPRsForWavesPerEU: 1
; NumVGPRsForWavesPerEU: 1
; Occupancy: 16
; WaveLimiterHint : 0
; COMPUTE_PGM_RSRC2:SCRATCH_EN: 0
; COMPUTE_PGM_RSRC2:USER_SGPR: 2
; COMPUTE_PGM_RSRC2:TRAP_HANDLER: 0
; COMPUTE_PGM_RSRC2:TGID_X_EN: 1
; COMPUTE_PGM_RSRC2:TGID_Y_EN: 0
; COMPUTE_PGM_RSRC2:TGID_Z_EN: 0
; COMPUTE_PGM_RSRC2:TIDIG_COMP_CNT: 0
	.section	.text._ZN7rocprim17ROCPRIM_400000_NS6detail17trampoline_kernelINS0_14default_configENS1_25partition_config_selectorILNS1_17partition_subalgoE6EdNS0_10empty_typeEbEEZZNS1_14partition_implILS5_6ELb0ES3_mN6thrust23THRUST_200600_302600_NS6detail15normal_iteratorINSA_10device_ptrIdEEEEPS6_SG_NS0_5tupleIJSF_S6_EEENSH_IJSG_SG_EEES6_PlJNSB_9not_fun_tI7is_evenIdEEEEEE10hipError_tPvRmT3_T4_T5_T6_T7_T9_mT8_P12ihipStream_tbDpT10_ENKUlT_T0_E_clISt17integral_constantIbLb1EES17_IbLb0EEEEDaS13_S14_EUlS13_E_NS1_11comp_targetILNS1_3genE3ELNS1_11target_archE908ELNS1_3gpuE7ELNS1_3repE0EEENS1_30default_config_static_selectorELNS0_4arch9wavefront6targetE0EEEvT1_,"axG",@progbits,_ZN7rocprim17ROCPRIM_400000_NS6detail17trampoline_kernelINS0_14default_configENS1_25partition_config_selectorILNS1_17partition_subalgoE6EdNS0_10empty_typeEbEEZZNS1_14partition_implILS5_6ELb0ES3_mN6thrust23THRUST_200600_302600_NS6detail15normal_iteratorINSA_10device_ptrIdEEEEPS6_SG_NS0_5tupleIJSF_S6_EEENSH_IJSG_SG_EEES6_PlJNSB_9not_fun_tI7is_evenIdEEEEEE10hipError_tPvRmT3_T4_T5_T6_T7_T9_mT8_P12ihipStream_tbDpT10_ENKUlT_T0_E_clISt17integral_constantIbLb1EES17_IbLb0EEEEDaS13_S14_EUlS13_E_NS1_11comp_targetILNS1_3genE3ELNS1_11target_archE908ELNS1_3gpuE7ELNS1_3repE0EEENS1_30default_config_static_selectorELNS0_4arch9wavefront6targetE0EEEvT1_,comdat
	.protected	_ZN7rocprim17ROCPRIM_400000_NS6detail17trampoline_kernelINS0_14default_configENS1_25partition_config_selectorILNS1_17partition_subalgoE6EdNS0_10empty_typeEbEEZZNS1_14partition_implILS5_6ELb0ES3_mN6thrust23THRUST_200600_302600_NS6detail15normal_iteratorINSA_10device_ptrIdEEEEPS6_SG_NS0_5tupleIJSF_S6_EEENSH_IJSG_SG_EEES6_PlJNSB_9not_fun_tI7is_evenIdEEEEEE10hipError_tPvRmT3_T4_T5_T6_T7_T9_mT8_P12ihipStream_tbDpT10_ENKUlT_T0_E_clISt17integral_constantIbLb1EES17_IbLb0EEEEDaS13_S14_EUlS13_E_NS1_11comp_targetILNS1_3genE3ELNS1_11target_archE908ELNS1_3gpuE7ELNS1_3repE0EEENS1_30default_config_static_selectorELNS0_4arch9wavefront6targetE0EEEvT1_ ; -- Begin function _ZN7rocprim17ROCPRIM_400000_NS6detail17trampoline_kernelINS0_14default_configENS1_25partition_config_selectorILNS1_17partition_subalgoE6EdNS0_10empty_typeEbEEZZNS1_14partition_implILS5_6ELb0ES3_mN6thrust23THRUST_200600_302600_NS6detail15normal_iteratorINSA_10device_ptrIdEEEEPS6_SG_NS0_5tupleIJSF_S6_EEENSH_IJSG_SG_EEES6_PlJNSB_9not_fun_tI7is_evenIdEEEEEE10hipError_tPvRmT3_T4_T5_T6_T7_T9_mT8_P12ihipStream_tbDpT10_ENKUlT_T0_E_clISt17integral_constantIbLb1EES17_IbLb0EEEEDaS13_S14_EUlS13_E_NS1_11comp_targetILNS1_3genE3ELNS1_11target_archE908ELNS1_3gpuE7ELNS1_3repE0EEENS1_30default_config_static_selectorELNS0_4arch9wavefront6targetE0EEEvT1_
	.globl	_ZN7rocprim17ROCPRIM_400000_NS6detail17trampoline_kernelINS0_14default_configENS1_25partition_config_selectorILNS1_17partition_subalgoE6EdNS0_10empty_typeEbEEZZNS1_14partition_implILS5_6ELb0ES3_mN6thrust23THRUST_200600_302600_NS6detail15normal_iteratorINSA_10device_ptrIdEEEEPS6_SG_NS0_5tupleIJSF_S6_EEENSH_IJSG_SG_EEES6_PlJNSB_9not_fun_tI7is_evenIdEEEEEE10hipError_tPvRmT3_T4_T5_T6_T7_T9_mT8_P12ihipStream_tbDpT10_ENKUlT_T0_E_clISt17integral_constantIbLb1EES17_IbLb0EEEEDaS13_S14_EUlS13_E_NS1_11comp_targetILNS1_3genE3ELNS1_11target_archE908ELNS1_3gpuE7ELNS1_3repE0EEENS1_30default_config_static_selectorELNS0_4arch9wavefront6targetE0EEEvT1_
	.p2align	8
	.type	_ZN7rocprim17ROCPRIM_400000_NS6detail17trampoline_kernelINS0_14default_configENS1_25partition_config_selectorILNS1_17partition_subalgoE6EdNS0_10empty_typeEbEEZZNS1_14partition_implILS5_6ELb0ES3_mN6thrust23THRUST_200600_302600_NS6detail15normal_iteratorINSA_10device_ptrIdEEEEPS6_SG_NS0_5tupleIJSF_S6_EEENSH_IJSG_SG_EEES6_PlJNSB_9not_fun_tI7is_evenIdEEEEEE10hipError_tPvRmT3_T4_T5_T6_T7_T9_mT8_P12ihipStream_tbDpT10_ENKUlT_T0_E_clISt17integral_constantIbLb1EES17_IbLb0EEEEDaS13_S14_EUlS13_E_NS1_11comp_targetILNS1_3genE3ELNS1_11target_archE908ELNS1_3gpuE7ELNS1_3repE0EEENS1_30default_config_static_selectorELNS0_4arch9wavefront6targetE0EEEvT1_,@function
_ZN7rocprim17ROCPRIM_400000_NS6detail17trampoline_kernelINS0_14default_configENS1_25partition_config_selectorILNS1_17partition_subalgoE6EdNS0_10empty_typeEbEEZZNS1_14partition_implILS5_6ELb0ES3_mN6thrust23THRUST_200600_302600_NS6detail15normal_iteratorINSA_10device_ptrIdEEEEPS6_SG_NS0_5tupleIJSF_S6_EEENSH_IJSG_SG_EEES6_PlJNSB_9not_fun_tI7is_evenIdEEEEEE10hipError_tPvRmT3_T4_T5_T6_T7_T9_mT8_P12ihipStream_tbDpT10_ENKUlT_T0_E_clISt17integral_constantIbLb1EES17_IbLb0EEEEDaS13_S14_EUlS13_E_NS1_11comp_targetILNS1_3genE3ELNS1_11target_archE908ELNS1_3gpuE7ELNS1_3repE0EEENS1_30default_config_static_selectorELNS0_4arch9wavefront6targetE0EEEvT1_: ; @_ZN7rocprim17ROCPRIM_400000_NS6detail17trampoline_kernelINS0_14default_configENS1_25partition_config_selectorILNS1_17partition_subalgoE6EdNS0_10empty_typeEbEEZZNS1_14partition_implILS5_6ELb0ES3_mN6thrust23THRUST_200600_302600_NS6detail15normal_iteratorINSA_10device_ptrIdEEEEPS6_SG_NS0_5tupleIJSF_S6_EEENSH_IJSG_SG_EEES6_PlJNSB_9not_fun_tI7is_evenIdEEEEEE10hipError_tPvRmT3_T4_T5_T6_T7_T9_mT8_P12ihipStream_tbDpT10_ENKUlT_T0_E_clISt17integral_constantIbLb1EES17_IbLb0EEEEDaS13_S14_EUlS13_E_NS1_11comp_targetILNS1_3genE3ELNS1_11target_archE908ELNS1_3gpuE7ELNS1_3repE0EEENS1_30default_config_static_selectorELNS0_4arch9wavefront6targetE0EEEvT1_
; %bb.0:
	.section	.rodata,"a",@progbits
	.p2align	6, 0x0
	.amdhsa_kernel _ZN7rocprim17ROCPRIM_400000_NS6detail17trampoline_kernelINS0_14default_configENS1_25partition_config_selectorILNS1_17partition_subalgoE6EdNS0_10empty_typeEbEEZZNS1_14partition_implILS5_6ELb0ES3_mN6thrust23THRUST_200600_302600_NS6detail15normal_iteratorINSA_10device_ptrIdEEEEPS6_SG_NS0_5tupleIJSF_S6_EEENSH_IJSG_SG_EEES6_PlJNSB_9not_fun_tI7is_evenIdEEEEEE10hipError_tPvRmT3_T4_T5_T6_T7_T9_mT8_P12ihipStream_tbDpT10_ENKUlT_T0_E_clISt17integral_constantIbLb1EES17_IbLb0EEEEDaS13_S14_EUlS13_E_NS1_11comp_targetILNS1_3genE3ELNS1_11target_archE908ELNS1_3gpuE7ELNS1_3repE0EEENS1_30default_config_static_selectorELNS0_4arch9wavefront6targetE0EEEvT1_
		.amdhsa_group_segment_fixed_size 0
		.amdhsa_private_segment_fixed_size 0
		.amdhsa_kernarg_size 112
		.amdhsa_user_sgpr_count 2
		.amdhsa_user_sgpr_dispatch_ptr 0
		.amdhsa_user_sgpr_queue_ptr 0
		.amdhsa_user_sgpr_kernarg_segment_ptr 1
		.amdhsa_user_sgpr_dispatch_id 0
		.amdhsa_user_sgpr_private_segment_size 0
		.amdhsa_wavefront_size32 1
		.amdhsa_uses_dynamic_stack 0
		.amdhsa_enable_private_segment 0
		.amdhsa_system_sgpr_workgroup_id_x 1
		.amdhsa_system_sgpr_workgroup_id_y 0
		.amdhsa_system_sgpr_workgroup_id_z 0
		.amdhsa_system_sgpr_workgroup_info 0
		.amdhsa_system_vgpr_workitem_id 0
		.amdhsa_next_free_vgpr 1
		.amdhsa_next_free_sgpr 1
		.amdhsa_reserve_vcc 0
		.amdhsa_float_round_mode_32 0
		.amdhsa_float_round_mode_16_64 0
		.amdhsa_float_denorm_mode_32 3
		.amdhsa_float_denorm_mode_16_64 3
		.amdhsa_fp16_overflow 0
		.amdhsa_workgroup_processor_mode 1
		.amdhsa_memory_ordered 1
		.amdhsa_forward_progress 1
		.amdhsa_inst_pref_size 0
		.amdhsa_round_robin_scheduling 0
		.amdhsa_exception_fp_ieee_invalid_op 0
		.amdhsa_exception_fp_denorm_src 0
		.amdhsa_exception_fp_ieee_div_zero 0
		.amdhsa_exception_fp_ieee_overflow 0
		.amdhsa_exception_fp_ieee_underflow 0
		.amdhsa_exception_fp_ieee_inexact 0
		.amdhsa_exception_int_div_zero 0
	.end_amdhsa_kernel
	.section	.text._ZN7rocprim17ROCPRIM_400000_NS6detail17trampoline_kernelINS0_14default_configENS1_25partition_config_selectorILNS1_17partition_subalgoE6EdNS0_10empty_typeEbEEZZNS1_14partition_implILS5_6ELb0ES3_mN6thrust23THRUST_200600_302600_NS6detail15normal_iteratorINSA_10device_ptrIdEEEEPS6_SG_NS0_5tupleIJSF_S6_EEENSH_IJSG_SG_EEES6_PlJNSB_9not_fun_tI7is_evenIdEEEEEE10hipError_tPvRmT3_T4_T5_T6_T7_T9_mT8_P12ihipStream_tbDpT10_ENKUlT_T0_E_clISt17integral_constantIbLb1EES17_IbLb0EEEEDaS13_S14_EUlS13_E_NS1_11comp_targetILNS1_3genE3ELNS1_11target_archE908ELNS1_3gpuE7ELNS1_3repE0EEENS1_30default_config_static_selectorELNS0_4arch9wavefront6targetE0EEEvT1_,"axG",@progbits,_ZN7rocprim17ROCPRIM_400000_NS6detail17trampoline_kernelINS0_14default_configENS1_25partition_config_selectorILNS1_17partition_subalgoE6EdNS0_10empty_typeEbEEZZNS1_14partition_implILS5_6ELb0ES3_mN6thrust23THRUST_200600_302600_NS6detail15normal_iteratorINSA_10device_ptrIdEEEEPS6_SG_NS0_5tupleIJSF_S6_EEENSH_IJSG_SG_EEES6_PlJNSB_9not_fun_tI7is_evenIdEEEEEE10hipError_tPvRmT3_T4_T5_T6_T7_T9_mT8_P12ihipStream_tbDpT10_ENKUlT_T0_E_clISt17integral_constantIbLb1EES17_IbLb0EEEEDaS13_S14_EUlS13_E_NS1_11comp_targetILNS1_3genE3ELNS1_11target_archE908ELNS1_3gpuE7ELNS1_3repE0EEENS1_30default_config_static_selectorELNS0_4arch9wavefront6targetE0EEEvT1_,comdat
.Lfunc_end552:
	.size	_ZN7rocprim17ROCPRIM_400000_NS6detail17trampoline_kernelINS0_14default_configENS1_25partition_config_selectorILNS1_17partition_subalgoE6EdNS0_10empty_typeEbEEZZNS1_14partition_implILS5_6ELb0ES3_mN6thrust23THRUST_200600_302600_NS6detail15normal_iteratorINSA_10device_ptrIdEEEEPS6_SG_NS0_5tupleIJSF_S6_EEENSH_IJSG_SG_EEES6_PlJNSB_9not_fun_tI7is_evenIdEEEEEE10hipError_tPvRmT3_T4_T5_T6_T7_T9_mT8_P12ihipStream_tbDpT10_ENKUlT_T0_E_clISt17integral_constantIbLb1EES17_IbLb0EEEEDaS13_S14_EUlS13_E_NS1_11comp_targetILNS1_3genE3ELNS1_11target_archE908ELNS1_3gpuE7ELNS1_3repE0EEENS1_30default_config_static_selectorELNS0_4arch9wavefront6targetE0EEEvT1_, .Lfunc_end552-_ZN7rocprim17ROCPRIM_400000_NS6detail17trampoline_kernelINS0_14default_configENS1_25partition_config_selectorILNS1_17partition_subalgoE6EdNS0_10empty_typeEbEEZZNS1_14partition_implILS5_6ELb0ES3_mN6thrust23THRUST_200600_302600_NS6detail15normal_iteratorINSA_10device_ptrIdEEEEPS6_SG_NS0_5tupleIJSF_S6_EEENSH_IJSG_SG_EEES6_PlJNSB_9not_fun_tI7is_evenIdEEEEEE10hipError_tPvRmT3_T4_T5_T6_T7_T9_mT8_P12ihipStream_tbDpT10_ENKUlT_T0_E_clISt17integral_constantIbLb1EES17_IbLb0EEEEDaS13_S14_EUlS13_E_NS1_11comp_targetILNS1_3genE3ELNS1_11target_archE908ELNS1_3gpuE7ELNS1_3repE0EEENS1_30default_config_static_selectorELNS0_4arch9wavefront6targetE0EEEvT1_
                                        ; -- End function
	.set _ZN7rocprim17ROCPRIM_400000_NS6detail17trampoline_kernelINS0_14default_configENS1_25partition_config_selectorILNS1_17partition_subalgoE6EdNS0_10empty_typeEbEEZZNS1_14partition_implILS5_6ELb0ES3_mN6thrust23THRUST_200600_302600_NS6detail15normal_iteratorINSA_10device_ptrIdEEEEPS6_SG_NS0_5tupleIJSF_S6_EEENSH_IJSG_SG_EEES6_PlJNSB_9not_fun_tI7is_evenIdEEEEEE10hipError_tPvRmT3_T4_T5_T6_T7_T9_mT8_P12ihipStream_tbDpT10_ENKUlT_T0_E_clISt17integral_constantIbLb1EES17_IbLb0EEEEDaS13_S14_EUlS13_E_NS1_11comp_targetILNS1_3genE3ELNS1_11target_archE908ELNS1_3gpuE7ELNS1_3repE0EEENS1_30default_config_static_selectorELNS0_4arch9wavefront6targetE0EEEvT1_.num_vgpr, 0
	.set _ZN7rocprim17ROCPRIM_400000_NS6detail17trampoline_kernelINS0_14default_configENS1_25partition_config_selectorILNS1_17partition_subalgoE6EdNS0_10empty_typeEbEEZZNS1_14partition_implILS5_6ELb0ES3_mN6thrust23THRUST_200600_302600_NS6detail15normal_iteratorINSA_10device_ptrIdEEEEPS6_SG_NS0_5tupleIJSF_S6_EEENSH_IJSG_SG_EEES6_PlJNSB_9not_fun_tI7is_evenIdEEEEEE10hipError_tPvRmT3_T4_T5_T6_T7_T9_mT8_P12ihipStream_tbDpT10_ENKUlT_T0_E_clISt17integral_constantIbLb1EES17_IbLb0EEEEDaS13_S14_EUlS13_E_NS1_11comp_targetILNS1_3genE3ELNS1_11target_archE908ELNS1_3gpuE7ELNS1_3repE0EEENS1_30default_config_static_selectorELNS0_4arch9wavefront6targetE0EEEvT1_.num_agpr, 0
	.set _ZN7rocprim17ROCPRIM_400000_NS6detail17trampoline_kernelINS0_14default_configENS1_25partition_config_selectorILNS1_17partition_subalgoE6EdNS0_10empty_typeEbEEZZNS1_14partition_implILS5_6ELb0ES3_mN6thrust23THRUST_200600_302600_NS6detail15normal_iteratorINSA_10device_ptrIdEEEEPS6_SG_NS0_5tupleIJSF_S6_EEENSH_IJSG_SG_EEES6_PlJNSB_9not_fun_tI7is_evenIdEEEEEE10hipError_tPvRmT3_T4_T5_T6_T7_T9_mT8_P12ihipStream_tbDpT10_ENKUlT_T0_E_clISt17integral_constantIbLb1EES17_IbLb0EEEEDaS13_S14_EUlS13_E_NS1_11comp_targetILNS1_3genE3ELNS1_11target_archE908ELNS1_3gpuE7ELNS1_3repE0EEENS1_30default_config_static_selectorELNS0_4arch9wavefront6targetE0EEEvT1_.numbered_sgpr, 0
	.set _ZN7rocprim17ROCPRIM_400000_NS6detail17trampoline_kernelINS0_14default_configENS1_25partition_config_selectorILNS1_17partition_subalgoE6EdNS0_10empty_typeEbEEZZNS1_14partition_implILS5_6ELb0ES3_mN6thrust23THRUST_200600_302600_NS6detail15normal_iteratorINSA_10device_ptrIdEEEEPS6_SG_NS0_5tupleIJSF_S6_EEENSH_IJSG_SG_EEES6_PlJNSB_9not_fun_tI7is_evenIdEEEEEE10hipError_tPvRmT3_T4_T5_T6_T7_T9_mT8_P12ihipStream_tbDpT10_ENKUlT_T0_E_clISt17integral_constantIbLb1EES17_IbLb0EEEEDaS13_S14_EUlS13_E_NS1_11comp_targetILNS1_3genE3ELNS1_11target_archE908ELNS1_3gpuE7ELNS1_3repE0EEENS1_30default_config_static_selectorELNS0_4arch9wavefront6targetE0EEEvT1_.num_named_barrier, 0
	.set _ZN7rocprim17ROCPRIM_400000_NS6detail17trampoline_kernelINS0_14default_configENS1_25partition_config_selectorILNS1_17partition_subalgoE6EdNS0_10empty_typeEbEEZZNS1_14partition_implILS5_6ELb0ES3_mN6thrust23THRUST_200600_302600_NS6detail15normal_iteratorINSA_10device_ptrIdEEEEPS6_SG_NS0_5tupleIJSF_S6_EEENSH_IJSG_SG_EEES6_PlJNSB_9not_fun_tI7is_evenIdEEEEEE10hipError_tPvRmT3_T4_T5_T6_T7_T9_mT8_P12ihipStream_tbDpT10_ENKUlT_T0_E_clISt17integral_constantIbLb1EES17_IbLb0EEEEDaS13_S14_EUlS13_E_NS1_11comp_targetILNS1_3genE3ELNS1_11target_archE908ELNS1_3gpuE7ELNS1_3repE0EEENS1_30default_config_static_selectorELNS0_4arch9wavefront6targetE0EEEvT1_.private_seg_size, 0
	.set _ZN7rocprim17ROCPRIM_400000_NS6detail17trampoline_kernelINS0_14default_configENS1_25partition_config_selectorILNS1_17partition_subalgoE6EdNS0_10empty_typeEbEEZZNS1_14partition_implILS5_6ELb0ES3_mN6thrust23THRUST_200600_302600_NS6detail15normal_iteratorINSA_10device_ptrIdEEEEPS6_SG_NS0_5tupleIJSF_S6_EEENSH_IJSG_SG_EEES6_PlJNSB_9not_fun_tI7is_evenIdEEEEEE10hipError_tPvRmT3_T4_T5_T6_T7_T9_mT8_P12ihipStream_tbDpT10_ENKUlT_T0_E_clISt17integral_constantIbLb1EES17_IbLb0EEEEDaS13_S14_EUlS13_E_NS1_11comp_targetILNS1_3genE3ELNS1_11target_archE908ELNS1_3gpuE7ELNS1_3repE0EEENS1_30default_config_static_selectorELNS0_4arch9wavefront6targetE0EEEvT1_.uses_vcc, 0
	.set _ZN7rocprim17ROCPRIM_400000_NS6detail17trampoline_kernelINS0_14default_configENS1_25partition_config_selectorILNS1_17partition_subalgoE6EdNS0_10empty_typeEbEEZZNS1_14partition_implILS5_6ELb0ES3_mN6thrust23THRUST_200600_302600_NS6detail15normal_iteratorINSA_10device_ptrIdEEEEPS6_SG_NS0_5tupleIJSF_S6_EEENSH_IJSG_SG_EEES6_PlJNSB_9not_fun_tI7is_evenIdEEEEEE10hipError_tPvRmT3_T4_T5_T6_T7_T9_mT8_P12ihipStream_tbDpT10_ENKUlT_T0_E_clISt17integral_constantIbLb1EES17_IbLb0EEEEDaS13_S14_EUlS13_E_NS1_11comp_targetILNS1_3genE3ELNS1_11target_archE908ELNS1_3gpuE7ELNS1_3repE0EEENS1_30default_config_static_selectorELNS0_4arch9wavefront6targetE0EEEvT1_.uses_flat_scratch, 0
	.set _ZN7rocprim17ROCPRIM_400000_NS6detail17trampoline_kernelINS0_14default_configENS1_25partition_config_selectorILNS1_17partition_subalgoE6EdNS0_10empty_typeEbEEZZNS1_14partition_implILS5_6ELb0ES3_mN6thrust23THRUST_200600_302600_NS6detail15normal_iteratorINSA_10device_ptrIdEEEEPS6_SG_NS0_5tupleIJSF_S6_EEENSH_IJSG_SG_EEES6_PlJNSB_9not_fun_tI7is_evenIdEEEEEE10hipError_tPvRmT3_T4_T5_T6_T7_T9_mT8_P12ihipStream_tbDpT10_ENKUlT_T0_E_clISt17integral_constantIbLb1EES17_IbLb0EEEEDaS13_S14_EUlS13_E_NS1_11comp_targetILNS1_3genE3ELNS1_11target_archE908ELNS1_3gpuE7ELNS1_3repE0EEENS1_30default_config_static_selectorELNS0_4arch9wavefront6targetE0EEEvT1_.has_dyn_sized_stack, 0
	.set _ZN7rocprim17ROCPRIM_400000_NS6detail17trampoline_kernelINS0_14default_configENS1_25partition_config_selectorILNS1_17partition_subalgoE6EdNS0_10empty_typeEbEEZZNS1_14partition_implILS5_6ELb0ES3_mN6thrust23THRUST_200600_302600_NS6detail15normal_iteratorINSA_10device_ptrIdEEEEPS6_SG_NS0_5tupleIJSF_S6_EEENSH_IJSG_SG_EEES6_PlJNSB_9not_fun_tI7is_evenIdEEEEEE10hipError_tPvRmT3_T4_T5_T6_T7_T9_mT8_P12ihipStream_tbDpT10_ENKUlT_T0_E_clISt17integral_constantIbLb1EES17_IbLb0EEEEDaS13_S14_EUlS13_E_NS1_11comp_targetILNS1_3genE3ELNS1_11target_archE908ELNS1_3gpuE7ELNS1_3repE0EEENS1_30default_config_static_selectorELNS0_4arch9wavefront6targetE0EEEvT1_.has_recursion, 0
	.set _ZN7rocprim17ROCPRIM_400000_NS6detail17trampoline_kernelINS0_14default_configENS1_25partition_config_selectorILNS1_17partition_subalgoE6EdNS0_10empty_typeEbEEZZNS1_14partition_implILS5_6ELb0ES3_mN6thrust23THRUST_200600_302600_NS6detail15normal_iteratorINSA_10device_ptrIdEEEEPS6_SG_NS0_5tupleIJSF_S6_EEENSH_IJSG_SG_EEES6_PlJNSB_9not_fun_tI7is_evenIdEEEEEE10hipError_tPvRmT3_T4_T5_T6_T7_T9_mT8_P12ihipStream_tbDpT10_ENKUlT_T0_E_clISt17integral_constantIbLb1EES17_IbLb0EEEEDaS13_S14_EUlS13_E_NS1_11comp_targetILNS1_3genE3ELNS1_11target_archE908ELNS1_3gpuE7ELNS1_3repE0EEENS1_30default_config_static_selectorELNS0_4arch9wavefront6targetE0EEEvT1_.has_indirect_call, 0
	.section	.AMDGPU.csdata,"",@progbits
; Kernel info:
; codeLenInByte = 0
; TotalNumSgprs: 0
; NumVgprs: 0
; ScratchSize: 0
; MemoryBound: 0
; FloatMode: 240
; IeeeMode: 1
; LDSByteSize: 0 bytes/workgroup (compile time only)
; SGPRBlocks: 0
; VGPRBlocks: 0
; NumSGPRsForWavesPerEU: 1
; NumVGPRsForWavesPerEU: 1
; Occupancy: 16
; WaveLimiterHint : 0
; COMPUTE_PGM_RSRC2:SCRATCH_EN: 0
; COMPUTE_PGM_RSRC2:USER_SGPR: 2
; COMPUTE_PGM_RSRC2:TRAP_HANDLER: 0
; COMPUTE_PGM_RSRC2:TGID_X_EN: 1
; COMPUTE_PGM_RSRC2:TGID_Y_EN: 0
; COMPUTE_PGM_RSRC2:TGID_Z_EN: 0
; COMPUTE_PGM_RSRC2:TIDIG_COMP_CNT: 0
	.section	.text._ZN7rocprim17ROCPRIM_400000_NS6detail17trampoline_kernelINS0_14default_configENS1_25partition_config_selectorILNS1_17partition_subalgoE6EdNS0_10empty_typeEbEEZZNS1_14partition_implILS5_6ELb0ES3_mN6thrust23THRUST_200600_302600_NS6detail15normal_iteratorINSA_10device_ptrIdEEEEPS6_SG_NS0_5tupleIJSF_S6_EEENSH_IJSG_SG_EEES6_PlJNSB_9not_fun_tI7is_evenIdEEEEEE10hipError_tPvRmT3_T4_T5_T6_T7_T9_mT8_P12ihipStream_tbDpT10_ENKUlT_T0_E_clISt17integral_constantIbLb1EES17_IbLb0EEEEDaS13_S14_EUlS13_E_NS1_11comp_targetILNS1_3genE2ELNS1_11target_archE906ELNS1_3gpuE6ELNS1_3repE0EEENS1_30default_config_static_selectorELNS0_4arch9wavefront6targetE0EEEvT1_,"axG",@progbits,_ZN7rocprim17ROCPRIM_400000_NS6detail17trampoline_kernelINS0_14default_configENS1_25partition_config_selectorILNS1_17partition_subalgoE6EdNS0_10empty_typeEbEEZZNS1_14partition_implILS5_6ELb0ES3_mN6thrust23THRUST_200600_302600_NS6detail15normal_iteratorINSA_10device_ptrIdEEEEPS6_SG_NS0_5tupleIJSF_S6_EEENSH_IJSG_SG_EEES6_PlJNSB_9not_fun_tI7is_evenIdEEEEEE10hipError_tPvRmT3_T4_T5_T6_T7_T9_mT8_P12ihipStream_tbDpT10_ENKUlT_T0_E_clISt17integral_constantIbLb1EES17_IbLb0EEEEDaS13_S14_EUlS13_E_NS1_11comp_targetILNS1_3genE2ELNS1_11target_archE906ELNS1_3gpuE6ELNS1_3repE0EEENS1_30default_config_static_selectorELNS0_4arch9wavefront6targetE0EEEvT1_,comdat
	.protected	_ZN7rocprim17ROCPRIM_400000_NS6detail17trampoline_kernelINS0_14default_configENS1_25partition_config_selectorILNS1_17partition_subalgoE6EdNS0_10empty_typeEbEEZZNS1_14partition_implILS5_6ELb0ES3_mN6thrust23THRUST_200600_302600_NS6detail15normal_iteratorINSA_10device_ptrIdEEEEPS6_SG_NS0_5tupleIJSF_S6_EEENSH_IJSG_SG_EEES6_PlJNSB_9not_fun_tI7is_evenIdEEEEEE10hipError_tPvRmT3_T4_T5_T6_T7_T9_mT8_P12ihipStream_tbDpT10_ENKUlT_T0_E_clISt17integral_constantIbLb1EES17_IbLb0EEEEDaS13_S14_EUlS13_E_NS1_11comp_targetILNS1_3genE2ELNS1_11target_archE906ELNS1_3gpuE6ELNS1_3repE0EEENS1_30default_config_static_selectorELNS0_4arch9wavefront6targetE0EEEvT1_ ; -- Begin function _ZN7rocprim17ROCPRIM_400000_NS6detail17trampoline_kernelINS0_14default_configENS1_25partition_config_selectorILNS1_17partition_subalgoE6EdNS0_10empty_typeEbEEZZNS1_14partition_implILS5_6ELb0ES3_mN6thrust23THRUST_200600_302600_NS6detail15normal_iteratorINSA_10device_ptrIdEEEEPS6_SG_NS0_5tupleIJSF_S6_EEENSH_IJSG_SG_EEES6_PlJNSB_9not_fun_tI7is_evenIdEEEEEE10hipError_tPvRmT3_T4_T5_T6_T7_T9_mT8_P12ihipStream_tbDpT10_ENKUlT_T0_E_clISt17integral_constantIbLb1EES17_IbLb0EEEEDaS13_S14_EUlS13_E_NS1_11comp_targetILNS1_3genE2ELNS1_11target_archE906ELNS1_3gpuE6ELNS1_3repE0EEENS1_30default_config_static_selectorELNS0_4arch9wavefront6targetE0EEEvT1_
	.globl	_ZN7rocprim17ROCPRIM_400000_NS6detail17trampoline_kernelINS0_14default_configENS1_25partition_config_selectorILNS1_17partition_subalgoE6EdNS0_10empty_typeEbEEZZNS1_14partition_implILS5_6ELb0ES3_mN6thrust23THRUST_200600_302600_NS6detail15normal_iteratorINSA_10device_ptrIdEEEEPS6_SG_NS0_5tupleIJSF_S6_EEENSH_IJSG_SG_EEES6_PlJNSB_9not_fun_tI7is_evenIdEEEEEE10hipError_tPvRmT3_T4_T5_T6_T7_T9_mT8_P12ihipStream_tbDpT10_ENKUlT_T0_E_clISt17integral_constantIbLb1EES17_IbLb0EEEEDaS13_S14_EUlS13_E_NS1_11comp_targetILNS1_3genE2ELNS1_11target_archE906ELNS1_3gpuE6ELNS1_3repE0EEENS1_30default_config_static_selectorELNS0_4arch9wavefront6targetE0EEEvT1_
	.p2align	8
	.type	_ZN7rocprim17ROCPRIM_400000_NS6detail17trampoline_kernelINS0_14default_configENS1_25partition_config_selectorILNS1_17partition_subalgoE6EdNS0_10empty_typeEbEEZZNS1_14partition_implILS5_6ELb0ES3_mN6thrust23THRUST_200600_302600_NS6detail15normal_iteratorINSA_10device_ptrIdEEEEPS6_SG_NS0_5tupleIJSF_S6_EEENSH_IJSG_SG_EEES6_PlJNSB_9not_fun_tI7is_evenIdEEEEEE10hipError_tPvRmT3_T4_T5_T6_T7_T9_mT8_P12ihipStream_tbDpT10_ENKUlT_T0_E_clISt17integral_constantIbLb1EES17_IbLb0EEEEDaS13_S14_EUlS13_E_NS1_11comp_targetILNS1_3genE2ELNS1_11target_archE906ELNS1_3gpuE6ELNS1_3repE0EEENS1_30default_config_static_selectorELNS0_4arch9wavefront6targetE0EEEvT1_,@function
_ZN7rocprim17ROCPRIM_400000_NS6detail17trampoline_kernelINS0_14default_configENS1_25partition_config_selectorILNS1_17partition_subalgoE6EdNS0_10empty_typeEbEEZZNS1_14partition_implILS5_6ELb0ES3_mN6thrust23THRUST_200600_302600_NS6detail15normal_iteratorINSA_10device_ptrIdEEEEPS6_SG_NS0_5tupleIJSF_S6_EEENSH_IJSG_SG_EEES6_PlJNSB_9not_fun_tI7is_evenIdEEEEEE10hipError_tPvRmT3_T4_T5_T6_T7_T9_mT8_P12ihipStream_tbDpT10_ENKUlT_T0_E_clISt17integral_constantIbLb1EES17_IbLb0EEEEDaS13_S14_EUlS13_E_NS1_11comp_targetILNS1_3genE2ELNS1_11target_archE906ELNS1_3gpuE6ELNS1_3repE0EEENS1_30default_config_static_selectorELNS0_4arch9wavefront6targetE0EEEvT1_: ; @_ZN7rocprim17ROCPRIM_400000_NS6detail17trampoline_kernelINS0_14default_configENS1_25partition_config_selectorILNS1_17partition_subalgoE6EdNS0_10empty_typeEbEEZZNS1_14partition_implILS5_6ELb0ES3_mN6thrust23THRUST_200600_302600_NS6detail15normal_iteratorINSA_10device_ptrIdEEEEPS6_SG_NS0_5tupleIJSF_S6_EEENSH_IJSG_SG_EEES6_PlJNSB_9not_fun_tI7is_evenIdEEEEEE10hipError_tPvRmT3_T4_T5_T6_T7_T9_mT8_P12ihipStream_tbDpT10_ENKUlT_T0_E_clISt17integral_constantIbLb1EES17_IbLb0EEEEDaS13_S14_EUlS13_E_NS1_11comp_targetILNS1_3genE2ELNS1_11target_archE906ELNS1_3gpuE6ELNS1_3repE0EEENS1_30default_config_static_selectorELNS0_4arch9wavefront6targetE0EEEvT1_
; %bb.0:
	.section	.rodata,"a",@progbits
	.p2align	6, 0x0
	.amdhsa_kernel _ZN7rocprim17ROCPRIM_400000_NS6detail17trampoline_kernelINS0_14default_configENS1_25partition_config_selectorILNS1_17partition_subalgoE6EdNS0_10empty_typeEbEEZZNS1_14partition_implILS5_6ELb0ES3_mN6thrust23THRUST_200600_302600_NS6detail15normal_iteratorINSA_10device_ptrIdEEEEPS6_SG_NS0_5tupleIJSF_S6_EEENSH_IJSG_SG_EEES6_PlJNSB_9not_fun_tI7is_evenIdEEEEEE10hipError_tPvRmT3_T4_T5_T6_T7_T9_mT8_P12ihipStream_tbDpT10_ENKUlT_T0_E_clISt17integral_constantIbLb1EES17_IbLb0EEEEDaS13_S14_EUlS13_E_NS1_11comp_targetILNS1_3genE2ELNS1_11target_archE906ELNS1_3gpuE6ELNS1_3repE0EEENS1_30default_config_static_selectorELNS0_4arch9wavefront6targetE0EEEvT1_
		.amdhsa_group_segment_fixed_size 0
		.amdhsa_private_segment_fixed_size 0
		.amdhsa_kernarg_size 112
		.amdhsa_user_sgpr_count 2
		.amdhsa_user_sgpr_dispatch_ptr 0
		.amdhsa_user_sgpr_queue_ptr 0
		.amdhsa_user_sgpr_kernarg_segment_ptr 1
		.amdhsa_user_sgpr_dispatch_id 0
		.amdhsa_user_sgpr_private_segment_size 0
		.amdhsa_wavefront_size32 1
		.amdhsa_uses_dynamic_stack 0
		.amdhsa_enable_private_segment 0
		.amdhsa_system_sgpr_workgroup_id_x 1
		.amdhsa_system_sgpr_workgroup_id_y 0
		.amdhsa_system_sgpr_workgroup_id_z 0
		.amdhsa_system_sgpr_workgroup_info 0
		.amdhsa_system_vgpr_workitem_id 0
		.amdhsa_next_free_vgpr 1
		.amdhsa_next_free_sgpr 1
		.amdhsa_reserve_vcc 0
		.amdhsa_float_round_mode_32 0
		.amdhsa_float_round_mode_16_64 0
		.amdhsa_float_denorm_mode_32 3
		.amdhsa_float_denorm_mode_16_64 3
		.amdhsa_fp16_overflow 0
		.amdhsa_workgroup_processor_mode 1
		.amdhsa_memory_ordered 1
		.amdhsa_forward_progress 1
		.amdhsa_inst_pref_size 0
		.amdhsa_round_robin_scheduling 0
		.amdhsa_exception_fp_ieee_invalid_op 0
		.amdhsa_exception_fp_denorm_src 0
		.amdhsa_exception_fp_ieee_div_zero 0
		.amdhsa_exception_fp_ieee_overflow 0
		.amdhsa_exception_fp_ieee_underflow 0
		.amdhsa_exception_fp_ieee_inexact 0
		.amdhsa_exception_int_div_zero 0
	.end_amdhsa_kernel
	.section	.text._ZN7rocprim17ROCPRIM_400000_NS6detail17trampoline_kernelINS0_14default_configENS1_25partition_config_selectorILNS1_17partition_subalgoE6EdNS0_10empty_typeEbEEZZNS1_14partition_implILS5_6ELb0ES3_mN6thrust23THRUST_200600_302600_NS6detail15normal_iteratorINSA_10device_ptrIdEEEEPS6_SG_NS0_5tupleIJSF_S6_EEENSH_IJSG_SG_EEES6_PlJNSB_9not_fun_tI7is_evenIdEEEEEE10hipError_tPvRmT3_T4_T5_T6_T7_T9_mT8_P12ihipStream_tbDpT10_ENKUlT_T0_E_clISt17integral_constantIbLb1EES17_IbLb0EEEEDaS13_S14_EUlS13_E_NS1_11comp_targetILNS1_3genE2ELNS1_11target_archE906ELNS1_3gpuE6ELNS1_3repE0EEENS1_30default_config_static_selectorELNS0_4arch9wavefront6targetE0EEEvT1_,"axG",@progbits,_ZN7rocprim17ROCPRIM_400000_NS6detail17trampoline_kernelINS0_14default_configENS1_25partition_config_selectorILNS1_17partition_subalgoE6EdNS0_10empty_typeEbEEZZNS1_14partition_implILS5_6ELb0ES3_mN6thrust23THRUST_200600_302600_NS6detail15normal_iteratorINSA_10device_ptrIdEEEEPS6_SG_NS0_5tupleIJSF_S6_EEENSH_IJSG_SG_EEES6_PlJNSB_9not_fun_tI7is_evenIdEEEEEE10hipError_tPvRmT3_T4_T5_T6_T7_T9_mT8_P12ihipStream_tbDpT10_ENKUlT_T0_E_clISt17integral_constantIbLb1EES17_IbLb0EEEEDaS13_S14_EUlS13_E_NS1_11comp_targetILNS1_3genE2ELNS1_11target_archE906ELNS1_3gpuE6ELNS1_3repE0EEENS1_30default_config_static_selectorELNS0_4arch9wavefront6targetE0EEEvT1_,comdat
.Lfunc_end553:
	.size	_ZN7rocprim17ROCPRIM_400000_NS6detail17trampoline_kernelINS0_14default_configENS1_25partition_config_selectorILNS1_17partition_subalgoE6EdNS0_10empty_typeEbEEZZNS1_14partition_implILS5_6ELb0ES3_mN6thrust23THRUST_200600_302600_NS6detail15normal_iteratorINSA_10device_ptrIdEEEEPS6_SG_NS0_5tupleIJSF_S6_EEENSH_IJSG_SG_EEES6_PlJNSB_9not_fun_tI7is_evenIdEEEEEE10hipError_tPvRmT3_T4_T5_T6_T7_T9_mT8_P12ihipStream_tbDpT10_ENKUlT_T0_E_clISt17integral_constantIbLb1EES17_IbLb0EEEEDaS13_S14_EUlS13_E_NS1_11comp_targetILNS1_3genE2ELNS1_11target_archE906ELNS1_3gpuE6ELNS1_3repE0EEENS1_30default_config_static_selectorELNS0_4arch9wavefront6targetE0EEEvT1_, .Lfunc_end553-_ZN7rocprim17ROCPRIM_400000_NS6detail17trampoline_kernelINS0_14default_configENS1_25partition_config_selectorILNS1_17partition_subalgoE6EdNS0_10empty_typeEbEEZZNS1_14partition_implILS5_6ELb0ES3_mN6thrust23THRUST_200600_302600_NS6detail15normal_iteratorINSA_10device_ptrIdEEEEPS6_SG_NS0_5tupleIJSF_S6_EEENSH_IJSG_SG_EEES6_PlJNSB_9not_fun_tI7is_evenIdEEEEEE10hipError_tPvRmT3_T4_T5_T6_T7_T9_mT8_P12ihipStream_tbDpT10_ENKUlT_T0_E_clISt17integral_constantIbLb1EES17_IbLb0EEEEDaS13_S14_EUlS13_E_NS1_11comp_targetILNS1_3genE2ELNS1_11target_archE906ELNS1_3gpuE6ELNS1_3repE0EEENS1_30default_config_static_selectorELNS0_4arch9wavefront6targetE0EEEvT1_
                                        ; -- End function
	.set _ZN7rocprim17ROCPRIM_400000_NS6detail17trampoline_kernelINS0_14default_configENS1_25partition_config_selectorILNS1_17partition_subalgoE6EdNS0_10empty_typeEbEEZZNS1_14partition_implILS5_6ELb0ES3_mN6thrust23THRUST_200600_302600_NS6detail15normal_iteratorINSA_10device_ptrIdEEEEPS6_SG_NS0_5tupleIJSF_S6_EEENSH_IJSG_SG_EEES6_PlJNSB_9not_fun_tI7is_evenIdEEEEEE10hipError_tPvRmT3_T4_T5_T6_T7_T9_mT8_P12ihipStream_tbDpT10_ENKUlT_T0_E_clISt17integral_constantIbLb1EES17_IbLb0EEEEDaS13_S14_EUlS13_E_NS1_11comp_targetILNS1_3genE2ELNS1_11target_archE906ELNS1_3gpuE6ELNS1_3repE0EEENS1_30default_config_static_selectorELNS0_4arch9wavefront6targetE0EEEvT1_.num_vgpr, 0
	.set _ZN7rocprim17ROCPRIM_400000_NS6detail17trampoline_kernelINS0_14default_configENS1_25partition_config_selectorILNS1_17partition_subalgoE6EdNS0_10empty_typeEbEEZZNS1_14partition_implILS5_6ELb0ES3_mN6thrust23THRUST_200600_302600_NS6detail15normal_iteratorINSA_10device_ptrIdEEEEPS6_SG_NS0_5tupleIJSF_S6_EEENSH_IJSG_SG_EEES6_PlJNSB_9not_fun_tI7is_evenIdEEEEEE10hipError_tPvRmT3_T4_T5_T6_T7_T9_mT8_P12ihipStream_tbDpT10_ENKUlT_T0_E_clISt17integral_constantIbLb1EES17_IbLb0EEEEDaS13_S14_EUlS13_E_NS1_11comp_targetILNS1_3genE2ELNS1_11target_archE906ELNS1_3gpuE6ELNS1_3repE0EEENS1_30default_config_static_selectorELNS0_4arch9wavefront6targetE0EEEvT1_.num_agpr, 0
	.set _ZN7rocprim17ROCPRIM_400000_NS6detail17trampoline_kernelINS0_14default_configENS1_25partition_config_selectorILNS1_17partition_subalgoE6EdNS0_10empty_typeEbEEZZNS1_14partition_implILS5_6ELb0ES3_mN6thrust23THRUST_200600_302600_NS6detail15normal_iteratorINSA_10device_ptrIdEEEEPS6_SG_NS0_5tupleIJSF_S6_EEENSH_IJSG_SG_EEES6_PlJNSB_9not_fun_tI7is_evenIdEEEEEE10hipError_tPvRmT3_T4_T5_T6_T7_T9_mT8_P12ihipStream_tbDpT10_ENKUlT_T0_E_clISt17integral_constantIbLb1EES17_IbLb0EEEEDaS13_S14_EUlS13_E_NS1_11comp_targetILNS1_3genE2ELNS1_11target_archE906ELNS1_3gpuE6ELNS1_3repE0EEENS1_30default_config_static_selectorELNS0_4arch9wavefront6targetE0EEEvT1_.numbered_sgpr, 0
	.set _ZN7rocprim17ROCPRIM_400000_NS6detail17trampoline_kernelINS0_14default_configENS1_25partition_config_selectorILNS1_17partition_subalgoE6EdNS0_10empty_typeEbEEZZNS1_14partition_implILS5_6ELb0ES3_mN6thrust23THRUST_200600_302600_NS6detail15normal_iteratorINSA_10device_ptrIdEEEEPS6_SG_NS0_5tupleIJSF_S6_EEENSH_IJSG_SG_EEES6_PlJNSB_9not_fun_tI7is_evenIdEEEEEE10hipError_tPvRmT3_T4_T5_T6_T7_T9_mT8_P12ihipStream_tbDpT10_ENKUlT_T0_E_clISt17integral_constantIbLb1EES17_IbLb0EEEEDaS13_S14_EUlS13_E_NS1_11comp_targetILNS1_3genE2ELNS1_11target_archE906ELNS1_3gpuE6ELNS1_3repE0EEENS1_30default_config_static_selectorELNS0_4arch9wavefront6targetE0EEEvT1_.num_named_barrier, 0
	.set _ZN7rocprim17ROCPRIM_400000_NS6detail17trampoline_kernelINS0_14default_configENS1_25partition_config_selectorILNS1_17partition_subalgoE6EdNS0_10empty_typeEbEEZZNS1_14partition_implILS5_6ELb0ES3_mN6thrust23THRUST_200600_302600_NS6detail15normal_iteratorINSA_10device_ptrIdEEEEPS6_SG_NS0_5tupleIJSF_S6_EEENSH_IJSG_SG_EEES6_PlJNSB_9not_fun_tI7is_evenIdEEEEEE10hipError_tPvRmT3_T4_T5_T6_T7_T9_mT8_P12ihipStream_tbDpT10_ENKUlT_T0_E_clISt17integral_constantIbLb1EES17_IbLb0EEEEDaS13_S14_EUlS13_E_NS1_11comp_targetILNS1_3genE2ELNS1_11target_archE906ELNS1_3gpuE6ELNS1_3repE0EEENS1_30default_config_static_selectorELNS0_4arch9wavefront6targetE0EEEvT1_.private_seg_size, 0
	.set _ZN7rocprim17ROCPRIM_400000_NS6detail17trampoline_kernelINS0_14default_configENS1_25partition_config_selectorILNS1_17partition_subalgoE6EdNS0_10empty_typeEbEEZZNS1_14partition_implILS5_6ELb0ES3_mN6thrust23THRUST_200600_302600_NS6detail15normal_iteratorINSA_10device_ptrIdEEEEPS6_SG_NS0_5tupleIJSF_S6_EEENSH_IJSG_SG_EEES6_PlJNSB_9not_fun_tI7is_evenIdEEEEEE10hipError_tPvRmT3_T4_T5_T6_T7_T9_mT8_P12ihipStream_tbDpT10_ENKUlT_T0_E_clISt17integral_constantIbLb1EES17_IbLb0EEEEDaS13_S14_EUlS13_E_NS1_11comp_targetILNS1_3genE2ELNS1_11target_archE906ELNS1_3gpuE6ELNS1_3repE0EEENS1_30default_config_static_selectorELNS0_4arch9wavefront6targetE0EEEvT1_.uses_vcc, 0
	.set _ZN7rocprim17ROCPRIM_400000_NS6detail17trampoline_kernelINS0_14default_configENS1_25partition_config_selectorILNS1_17partition_subalgoE6EdNS0_10empty_typeEbEEZZNS1_14partition_implILS5_6ELb0ES3_mN6thrust23THRUST_200600_302600_NS6detail15normal_iteratorINSA_10device_ptrIdEEEEPS6_SG_NS0_5tupleIJSF_S6_EEENSH_IJSG_SG_EEES6_PlJNSB_9not_fun_tI7is_evenIdEEEEEE10hipError_tPvRmT3_T4_T5_T6_T7_T9_mT8_P12ihipStream_tbDpT10_ENKUlT_T0_E_clISt17integral_constantIbLb1EES17_IbLb0EEEEDaS13_S14_EUlS13_E_NS1_11comp_targetILNS1_3genE2ELNS1_11target_archE906ELNS1_3gpuE6ELNS1_3repE0EEENS1_30default_config_static_selectorELNS0_4arch9wavefront6targetE0EEEvT1_.uses_flat_scratch, 0
	.set _ZN7rocprim17ROCPRIM_400000_NS6detail17trampoline_kernelINS0_14default_configENS1_25partition_config_selectorILNS1_17partition_subalgoE6EdNS0_10empty_typeEbEEZZNS1_14partition_implILS5_6ELb0ES3_mN6thrust23THRUST_200600_302600_NS6detail15normal_iteratorINSA_10device_ptrIdEEEEPS6_SG_NS0_5tupleIJSF_S6_EEENSH_IJSG_SG_EEES6_PlJNSB_9not_fun_tI7is_evenIdEEEEEE10hipError_tPvRmT3_T4_T5_T6_T7_T9_mT8_P12ihipStream_tbDpT10_ENKUlT_T0_E_clISt17integral_constantIbLb1EES17_IbLb0EEEEDaS13_S14_EUlS13_E_NS1_11comp_targetILNS1_3genE2ELNS1_11target_archE906ELNS1_3gpuE6ELNS1_3repE0EEENS1_30default_config_static_selectorELNS0_4arch9wavefront6targetE0EEEvT1_.has_dyn_sized_stack, 0
	.set _ZN7rocprim17ROCPRIM_400000_NS6detail17trampoline_kernelINS0_14default_configENS1_25partition_config_selectorILNS1_17partition_subalgoE6EdNS0_10empty_typeEbEEZZNS1_14partition_implILS5_6ELb0ES3_mN6thrust23THRUST_200600_302600_NS6detail15normal_iteratorINSA_10device_ptrIdEEEEPS6_SG_NS0_5tupleIJSF_S6_EEENSH_IJSG_SG_EEES6_PlJNSB_9not_fun_tI7is_evenIdEEEEEE10hipError_tPvRmT3_T4_T5_T6_T7_T9_mT8_P12ihipStream_tbDpT10_ENKUlT_T0_E_clISt17integral_constantIbLb1EES17_IbLb0EEEEDaS13_S14_EUlS13_E_NS1_11comp_targetILNS1_3genE2ELNS1_11target_archE906ELNS1_3gpuE6ELNS1_3repE0EEENS1_30default_config_static_selectorELNS0_4arch9wavefront6targetE0EEEvT1_.has_recursion, 0
	.set _ZN7rocprim17ROCPRIM_400000_NS6detail17trampoline_kernelINS0_14default_configENS1_25partition_config_selectorILNS1_17partition_subalgoE6EdNS0_10empty_typeEbEEZZNS1_14partition_implILS5_6ELb0ES3_mN6thrust23THRUST_200600_302600_NS6detail15normal_iteratorINSA_10device_ptrIdEEEEPS6_SG_NS0_5tupleIJSF_S6_EEENSH_IJSG_SG_EEES6_PlJNSB_9not_fun_tI7is_evenIdEEEEEE10hipError_tPvRmT3_T4_T5_T6_T7_T9_mT8_P12ihipStream_tbDpT10_ENKUlT_T0_E_clISt17integral_constantIbLb1EES17_IbLb0EEEEDaS13_S14_EUlS13_E_NS1_11comp_targetILNS1_3genE2ELNS1_11target_archE906ELNS1_3gpuE6ELNS1_3repE0EEENS1_30default_config_static_selectorELNS0_4arch9wavefront6targetE0EEEvT1_.has_indirect_call, 0
	.section	.AMDGPU.csdata,"",@progbits
; Kernel info:
; codeLenInByte = 0
; TotalNumSgprs: 0
; NumVgprs: 0
; ScratchSize: 0
; MemoryBound: 0
; FloatMode: 240
; IeeeMode: 1
; LDSByteSize: 0 bytes/workgroup (compile time only)
; SGPRBlocks: 0
; VGPRBlocks: 0
; NumSGPRsForWavesPerEU: 1
; NumVGPRsForWavesPerEU: 1
; Occupancy: 16
; WaveLimiterHint : 0
; COMPUTE_PGM_RSRC2:SCRATCH_EN: 0
; COMPUTE_PGM_RSRC2:USER_SGPR: 2
; COMPUTE_PGM_RSRC2:TRAP_HANDLER: 0
; COMPUTE_PGM_RSRC2:TGID_X_EN: 1
; COMPUTE_PGM_RSRC2:TGID_Y_EN: 0
; COMPUTE_PGM_RSRC2:TGID_Z_EN: 0
; COMPUTE_PGM_RSRC2:TIDIG_COMP_CNT: 0
	.section	.text._ZN7rocprim17ROCPRIM_400000_NS6detail17trampoline_kernelINS0_14default_configENS1_25partition_config_selectorILNS1_17partition_subalgoE6EdNS0_10empty_typeEbEEZZNS1_14partition_implILS5_6ELb0ES3_mN6thrust23THRUST_200600_302600_NS6detail15normal_iteratorINSA_10device_ptrIdEEEEPS6_SG_NS0_5tupleIJSF_S6_EEENSH_IJSG_SG_EEES6_PlJNSB_9not_fun_tI7is_evenIdEEEEEE10hipError_tPvRmT3_T4_T5_T6_T7_T9_mT8_P12ihipStream_tbDpT10_ENKUlT_T0_E_clISt17integral_constantIbLb1EES17_IbLb0EEEEDaS13_S14_EUlS13_E_NS1_11comp_targetILNS1_3genE10ELNS1_11target_archE1200ELNS1_3gpuE4ELNS1_3repE0EEENS1_30default_config_static_selectorELNS0_4arch9wavefront6targetE0EEEvT1_,"axG",@progbits,_ZN7rocprim17ROCPRIM_400000_NS6detail17trampoline_kernelINS0_14default_configENS1_25partition_config_selectorILNS1_17partition_subalgoE6EdNS0_10empty_typeEbEEZZNS1_14partition_implILS5_6ELb0ES3_mN6thrust23THRUST_200600_302600_NS6detail15normal_iteratorINSA_10device_ptrIdEEEEPS6_SG_NS0_5tupleIJSF_S6_EEENSH_IJSG_SG_EEES6_PlJNSB_9not_fun_tI7is_evenIdEEEEEE10hipError_tPvRmT3_T4_T5_T6_T7_T9_mT8_P12ihipStream_tbDpT10_ENKUlT_T0_E_clISt17integral_constantIbLb1EES17_IbLb0EEEEDaS13_S14_EUlS13_E_NS1_11comp_targetILNS1_3genE10ELNS1_11target_archE1200ELNS1_3gpuE4ELNS1_3repE0EEENS1_30default_config_static_selectorELNS0_4arch9wavefront6targetE0EEEvT1_,comdat
	.protected	_ZN7rocprim17ROCPRIM_400000_NS6detail17trampoline_kernelINS0_14default_configENS1_25partition_config_selectorILNS1_17partition_subalgoE6EdNS0_10empty_typeEbEEZZNS1_14partition_implILS5_6ELb0ES3_mN6thrust23THRUST_200600_302600_NS6detail15normal_iteratorINSA_10device_ptrIdEEEEPS6_SG_NS0_5tupleIJSF_S6_EEENSH_IJSG_SG_EEES6_PlJNSB_9not_fun_tI7is_evenIdEEEEEE10hipError_tPvRmT3_T4_T5_T6_T7_T9_mT8_P12ihipStream_tbDpT10_ENKUlT_T0_E_clISt17integral_constantIbLb1EES17_IbLb0EEEEDaS13_S14_EUlS13_E_NS1_11comp_targetILNS1_3genE10ELNS1_11target_archE1200ELNS1_3gpuE4ELNS1_3repE0EEENS1_30default_config_static_selectorELNS0_4arch9wavefront6targetE0EEEvT1_ ; -- Begin function _ZN7rocprim17ROCPRIM_400000_NS6detail17trampoline_kernelINS0_14default_configENS1_25partition_config_selectorILNS1_17partition_subalgoE6EdNS0_10empty_typeEbEEZZNS1_14partition_implILS5_6ELb0ES3_mN6thrust23THRUST_200600_302600_NS6detail15normal_iteratorINSA_10device_ptrIdEEEEPS6_SG_NS0_5tupleIJSF_S6_EEENSH_IJSG_SG_EEES6_PlJNSB_9not_fun_tI7is_evenIdEEEEEE10hipError_tPvRmT3_T4_T5_T6_T7_T9_mT8_P12ihipStream_tbDpT10_ENKUlT_T0_E_clISt17integral_constantIbLb1EES17_IbLb0EEEEDaS13_S14_EUlS13_E_NS1_11comp_targetILNS1_3genE10ELNS1_11target_archE1200ELNS1_3gpuE4ELNS1_3repE0EEENS1_30default_config_static_selectorELNS0_4arch9wavefront6targetE0EEEvT1_
	.globl	_ZN7rocprim17ROCPRIM_400000_NS6detail17trampoline_kernelINS0_14default_configENS1_25partition_config_selectorILNS1_17partition_subalgoE6EdNS0_10empty_typeEbEEZZNS1_14partition_implILS5_6ELb0ES3_mN6thrust23THRUST_200600_302600_NS6detail15normal_iteratorINSA_10device_ptrIdEEEEPS6_SG_NS0_5tupleIJSF_S6_EEENSH_IJSG_SG_EEES6_PlJNSB_9not_fun_tI7is_evenIdEEEEEE10hipError_tPvRmT3_T4_T5_T6_T7_T9_mT8_P12ihipStream_tbDpT10_ENKUlT_T0_E_clISt17integral_constantIbLb1EES17_IbLb0EEEEDaS13_S14_EUlS13_E_NS1_11comp_targetILNS1_3genE10ELNS1_11target_archE1200ELNS1_3gpuE4ELNS1_3repE0EEENS1_30default_config_static_selectorELNS0_4arch9wavefront6targetE0EEEvT1_
	.p2align	8
	.type	_ZN7rocprim17ROCPRIM_400000_NS6detail17trampoline_kernelINS0_14default_configENS1_25partition_config_selectorILNS1_17partition_subalgoE6EdNS0_10empty_typeEbEEZZNS1_14partition_implILS5_6ELb0ES3_mN6thrust23THRUST_200600_302600_NS6detail15normal_iteratorINSA_10device_ptrIdEEEEPS6_SG_NS0_5tupleIJSF_S6_EEENSH_IJSG_SG_EEES6_PlJNSB_9not_fun_tI7is_evenIdEEEEEE10hipError_tPvRmT3_T4_T5_T6_T7_T9_mT8_P12ihipStream_tbDpT10_ENKUlT_T0_E_clISt17integral_constantIbLb1EES17_IbLb0EEEEDaS13_S14_EUlS13_E_NS1_11comp_targetILNS1_3genE10ELNS1_11target_archE1200ELNS1_3gpuE4ELNS1_3repE0EEENS1_30default_config_static_selectorELNS0_4arch9wavefront6targetE0EEEvT1_,@function
_ZN7rocprim17ROCPRIM_400000_NS6detail17trampoline_kernelINS0_14default_configENS1_25partition_config_selectorILNS1_17partition_subalgoE6EdNS0_10empty_typeEbEEZZNS1_14partition_implILS5_6ELb0ES3_mN6thrust23THRUST_200600_302600_NS6detail15normal_iteratorINSA_10device_ptrIdEEEEPS6_SG_NS0_5tupleIJSF_S6_EEENSH_IJSG_SG_EEES6_PlJNSB_9not_fun_tI7is_evenIdEEEEEE10hipError_tPvRmT3_T4_T5_T6_T7_T9_mT8_P12ihipStream_tbDpT10_ENKUlT_T0_E_clISt17integral_constantIbLb1EES17_IbLb0EEEEDaS13_S14_EUlS13_E_NS1_11comp_targetILNS1_3genE10ELNS1_11target_archE1200ELNS1_3gpuE4ELNS1_3repE0EEENS1_30default_config_static_selectorELNS0_4arch9wavefront6targetE0EEEvT1_: ; @_ZN7rocprim17ROCPRIM_400000_NS6detail17trampoline_kernelINS0_14default_configENS1_25partition_config_selectorILNS1_17partition_subalgoE6EdNS0_10empty_typeEbEEZZNS1_14partition_implILS5_6ELb0ES3_mN6thrust23THRUST_200600_302600_NS6detail15normal_iteratorINSA_10device_ptrIdEEEEPS6_SG_NS0_5tupleIJSF_S6_EEENSH_IJSG_SG_EEES6_PlJNSB_9not_fun_tI7is_evenIdEEEEEE10hipError_tPvRmT3_T4_T5_T6_T7_T9_mT8_P12ihipStream_tbDpT10_ENKUlT_T0_E_clISt17integral_constantIbLb1EES17_IbLb0EEEEDaS13_S14_EUlS13_E_NS1_11comp_targetILNS1_3genE10ELNS1_11target_archE1200ELNS1_3gpuE4ELNS1_3repE0EEENS1_30default_config_static_selectorELNS0_4arch9wavefront6targetE0EEEvT1_
; %bb.0:
	s_endpgm
	.section	.rodata,"a",@progbits
	.p2align	6, 0x0
	.amdhsa_kernel _ZN7rocprim17ROCPRIM_400000_NS6detail17trampoline_kernelINS0_14default_configENS1_25partition_config_selectorILNS1_17partition_subalgoE6EdNS0_10empty_typeEbEEZZNS1_14partition_implILS5_6ELb0ES3_mN6thrust23THRUST_200600_302600_NS6detail15normal_iteratorINSA_10device_ptrIdEEEEPS6_SG_NS0_5tupleIJSF_S6_EEENSH_IJSG_SG_EEES6_PlJNSB_9not_fun_tI7is_evenIdEEEEEE10hipError_tPvRmT3_T4_T5_T6_T7_T9_mT8_P12ihipStream_tbDpT10_ENKUlT_T0_E_clISt17integral_constantIbLb1EES17_IbLb0EEEEDaS13_S14_EUlS13_E_NS1_11comp_targetILNS1_3genE10ELNS1_11target_archE1200ELNS1_3gpuE4ELNS1_3repE0EEENS1_30default_config_static_selectorELNS0_4arch9wavefront6targetE0EEEvT1_
		.amdhsa_group_segment_fixed_size 0
		.amdhsa_private_segment_fixed_size 0
		.amdhsa_kernarg_size 112
		.amdhsa_user_sgpr_count 2
		.amdhsa_user_sgpr_dispatch_ptr 0
		.amdhsa_user_sgpr_queue_ptr 0
		.amdhsa_user_sgpr_kernarg_segment_ptr 1
		.amdhsa_user_sgpr_dispatch_id 0
		.amdhsa_user_sgpr_private_segment_size 0
		.amdhsa_wavefront_size32 1
		.amdhsa_uses_dynamic_stack 0
		.amdhsa_enable_private_segment 0
		.amdhsa_system_sgpr_workgroup_id_x 1
		.amdhsa_system_sgpr_workgroup_id_y 0
		.amdhsa_system_sgpr_workgroup_id_z 0
		.amdhsa_system_sgpr_workgroup_info 0
		.amdhsa_system_vgpr_workitem_id 0
		.amdhsa_next_free_vgpr 1
		.amdhsa_next_free_sgpr 1
		.amdhsa_reserve_vcc 0
		.amdhsa_float_round_mode_32 0
		.amdhsa_float_round_mode_16_64 0
		.amdhsa_float_denorm_mode_32 3
		.amdhsa_float_denorm_mode_16_64 3
		.amdhsa_fp16_overflow 0
		.amdhsa_workgroup_processor_mode 1
		.amdhsa_memory_ordered 1
		.amdhsa_forward_progress 1
		.amdhsa_inst_pref_size 1
		.amdhsa_round_robin_scheduling 0
		.amdhsa_exception_fp_ieee_invalid_op 0
		.amdhsa_exception_fp_denorm_src 0
		.amdhsa_exception_fp_ieee_div_zero 0
		.amdhsa_exception_fp_ieee_overflow 0
		.amdhsa_exception_fp_ieee_underflow 0
		.amdhsa_exception_fp_ieee_inexact 0
		.amdhsa_exception_int_div_zero 0
	.end_amdhsa_kernel
	.section	.text._ZN7rocprim17ROCPRIM_400000_NS6detail17trampoline_kernelINS0_14default_configENS1_25partition_config_selectorILNS1_17partition_subalgoE6EdNS0_10empty_typeEbEEZZNS1_14partition_implILS5_6ELb0ES3_mN6thrust23THRUST_200600_302600_NS6detail15normal_iteratorINSA_10device_ptrIdEEEEPS6_SG_NS0_5tupleIJSF_S6_EEENSH_IJSG_SG_EEES6_PlJNSB_9not_fun_tI7is_evenIdEEEEEE10hipError_tPvRmT3_T4_T5_T6_T7_T9_mT8_P12ihipStream_tbDpT10_ENKUlT_T0_E_clISt17integral_constantIbLb1EES17_IbLb0EEEEDaS13_S14_EUlS13_E_NS1_11comp_targetILNS1_3genE10ELNS1_11target_archE1200ELNS1_3gpuE4ELNS1_3repE0EEENS1_30default_config_static_selectorELNS0_4arch9wavefront6targetE0EEEvT1_,"axG",@progbits,_ZN7rocprim17ROCPRIM_400000_NS6detail17trampoline_kernelINS0_14default_configENS1_25partition_config_selectorILNS1_17partition_subalgoE6EdNS0_10empty_typeEbEEZZNS1_14partition_implILS5_6ELb0ES3_mN6thrust23THRUST_200600_302600_NS6detail15normal_iteratorINSA_10device_ptrIdEEEEPS6_SG_NS0_5tupleIJSF_S6_EEENSH_IJSG_SG_EEES6_PlJNSB_9not_fun_tI7is_evenIdEEEEEE10hipError_tPvRmT3_T4_T5_T6_T7_T9_mT8_P12ihipStream_tbDpT10_ENKUlT_T0_E_clISt17integral_constantIbLb1EES17_IbLb0EEEEDaS13_S14_EUlS13_E_NS1_11comp_targetILNS1_3genE10ELNS1_11target_archE1200ELNS1_3gpuE4ELNS1_3repE0EEENS1_30default_config_static_selectorELNS0_4arch9wavefront6targetE0EEEvT1_,comdat
.Lfunc_end554:
	.size	_ZN7rocprim17ROCPRIM_400000_NS6detail17trampoline_kernelINS0_14default_configENS1_25partition_config_selectorILNS1_17partition_subalgoE6EdNS0_10empty_typeEbEEZZNS1_14partition_implILS5_6ELb0ES3_mN6thrust23THRUST_200600_302600_NS6detail15normal_iteratorINSA_10device_ptrIdEEEEPS6_SG_NS0_5tupleIJSF_S6_EEENSH_IJSG_SG_EEES6_PlJNSB_9not_fun_tI7is_evenIdEEEEEE10hipError_tPvRmT3_T4_T5_T6_T7_T9_mT8_P12ihipStream_tbDpT10_ENKUlT_T0_E_clISt17integral_constantIbLb1EES17_IbLb0EEEEDaS13_S14_EUlS13_E_NS1_11comp_targetILNS1_3genE10ELNS1_11target_archE1200ELNS1_3gpuE4ELNS1_3repE0EEENS1_30default_config_static_selectorELNS0_4arch9wavefront6targetE0EEEvT1_, .Lfunc_end554-_ZN7rocprim17ROCPRIM_400000_NS6detail17trampoline_kernelINS0_14default_configENS1_25partition_config_selectorILNS1_17partition_subalgoE6EdNS0_10empty_typeEbEEZZNS1_14partition_implILS5_6ELb0ES3_mN6thrust23THRUST_200600_302600_NS6detail15normal_iteratorINSA_10device_ptrIdEEEEPS6_SG_NS0_5tupleIJSF_S6_EEENSH_IJSG_SG_EEES6_PlJNSB_9not_fun_tI7is_evenIdEEEEEE10hipError_tPvRmT3_T4_T5_T6_T7_T9_mT8_P12ihipStream_tbDpT10_ENKUlT_T0_E_clISt17integral_constantIbLb1EES17_IbLb0EEEEDaS13_S14_EUlS13_E_NS1_11comp_targetILNS1_3genE10ELNS1_11target_archE1200ELNS1_3gpuE4ELNS1_3repE0EEENS1_30default_config_static_selectorELNS0_4arch9wavefront6targetE0EEEvT1_
                                        ; -- End function
	.set _ZN7rocprim17ROCPRIM_400000_NS6detail17trampoline_kernelINS0_14default_configENS1_25partition_config_selectorILNS1_17partition_subalgoE6EdNS0_10empty_typeEbEEZZNS1_14partition_implILS5_6ELb0ES3_mN6thrust23THRUST_200600_302600_NS6detail15normal_iteratorINSA_10device_ptrIdEEEEPS6_SG_NS0_5tupleIJSF_S6_EEENSH_IJSG_SG_EEES6_PlJNSB_9not_fun_tI7is_evenIdEEEEEE10hipError_tPvRmT3_T4_T5_T6_T7_T9_mT8_P12ihipStream_tbDpT10_ENKUlT_T0_E_clISt17integral_constantIbLb1EES17_IbLb0EEEEDaS13_S14_EUlS13_E_NS1_11comp_targetILNS1_3genE10ELNS1_11target_archE1200ELNS1_3gpuE4ELNS1_3repE0EEENS1_30default_config_static_selectorELNS0_4arch9wavefront6targetE0EEEvT1_.num_vgpr, 0
	.set _ZN7rocprim17ROCPRIM_400000_NS6detail17trampoline_kernelINS0_14default_configENS1_25partition_config_selectorILNS1_17partition_subalgoE6EdNS0_10empty_typeEbEEZZNS1_14partition_implILS5_6ELb0ES3_mN6thrust23THRUST_200600_302600_NS6detail15normal_iteratorINSA_10device_ptrIdEEEEPS6_SG_NS0_5tupleIJSF_S6_EEENSH_IJSG_SG_EEES6_PlJNSB_9not_fun_tI7is_evenIdEEEEEE10hipError_tPvRmT3_T4_T5_T6_T7_T9_mT8_P12ihipStream_tbDpT10_ENKUlT_T0_E_clISt17integral_constantIbLb1EES17_IbLb0EEEEDaS13_S14_EUlS13_E_NS1_11comp_targetILNS1_3genE10ELNS1_11target_archE1200ELNS1_3gpuE4ELNS1_3repE0EEENS1_30default_config_static_selectorELNS0_4arch9wavefront6targetE0EEEvT1_.num_agpr, 0
	.set _ZN7rocprim17ROCPRIM_400000_NS6detail17trampoline_kernelINS0_14default_configENS1_25partition_config_selectorILNS1_17partition_subalgoE6EdNS0_10empty_typeEbEEZZNS1_14partition_implILS5_6ELb0ES3_mN6thrust23THRUST_200600_302600_NS6detail15normal_iteratorINSA_10device_ptrIdEEEEPS6_SG_NS0_5tupleIJSF_S6_EEENSH_IJSG_SG_EEES6_PlJNSB_9not_fun_tI7is_evenIdEEEEEE10hipError_tPvRmT3_T4_T5_T6_T7_T9_mT8_P12ihipStream_tbDpT10_ENKUlT_T0_E_clISt17integral_constantIbLb1EES17_IbLb0EEEEDaS13_S14_EUlS13_E_NS1_11comp_targetILNS1_3genE10ELNS1_11target_archE1200ELNS1_3gpuE4ELNS1_3repE0EEENS1_30default_config_static_selectorELNS0_4arch9wavefront6targetE0EEEvT1_.numbered_sgpr, 0
	.set _ZN7rocprim17ROCPRIM_400000_NS6detail17trampoline_kernelINS0_14default_configENS1_25partition_config_selectorILNS1_17partition_subalgoE6EdNS0_10empty_typeEbEEZZNS1_14partition_implILS5_6ELb0ES3_mN6thrust23THRUST_200600_302600_NS6detail15normal_iteratorINSA_10device_ptrIdEEEEPS6_SG_NS0_5tupleIJSF_S6_EEENSH_IJSG_SG_EEES6_PlJNSB_9not_fun_tI7is_evenIdEEEEEE10hipError_tPvRmT3_T4_T5_T6_T7_T9_mT8_P12ihipStream_tbDpT10_ENKUlT_T0_E_clISt17integral_constantIbLb1EES17_IbLb0EEEEDaS13_S14_EUlS13_E_NS1_11comp_targetILNS1_3genE10ELNS1_11target_archE1200ELNS1_3gpuE4ELNS1_3repE0EEENS1_30default_config_static_selectorELNS0_4arch9wavefront6targetE0EEEvT1_.num_named_barrier, 0
	.set _ZN7rocprim17ROCPRIM_400000_NS6detail17trampoline_kernelINS0_14default_configENS1_25partition_config_selectorILNS1_17partition_subalgoE6EdNS0_10empty_typeEbEEZZNS1_14partition_implILS5_6ELb0ES3_mN6thrust23THRUST_200600_302600_NS6detail15normal_iteratorINSA_10device_ptrIdEEEEPS6_SG_NS0_5tupleIJSF_S6_EEENSH_IJSG_SG_EEES6_PlJNSB_9not_fun_tI7is_evenIdEEEEEE10hipError_tPvRmT3_T4_T5_T6_T7_T9_mT8_P12ihipStream_tbDpT10_ENKUlT_T0_E_clISt17integral_constantIbLb1EES17_IbLb0EEEEDaS13_S14_EUlS13_E_NS1_11comp_targetILNS1_3genE10ELNS1_11target_archE1200ELNS1_3gpuE4ELNS1_3repE0EEENS1_30default_config_static_selectorELNS0_4arch9wavefront6targetE0EEEvT1_.private_seg_size, 0
	.set _ZN7rocprim17ROCPRIM_400000_NS6detail17trampoline_kernelINS0_14default_configENS1_25partition_config_selectorILNS1_17partition_subalgoE6EdNS0_10empty_typeEbEEZZNS1_14partition_implILS5_6ELb0ES3_mN6thrust23THRUST_200600_302600_NS6detail15normal_iteratorINSA_10device_ptrIdEEEEPS6_SG_NS0_5tupleIJSF_S6_EEENSH_IJSG_SG_EEES6_PlJNSB_9not_fun_tI7is_evenIdEEEEEE10hipError_tPvRmT3_T4_T5_T6_T7_T9_mT8_P12ihipStream_tbDpT10_ENKUlT_T0_E_clISt17integral_constantIbLb1EES17_IbLb0EEEEDaS13_S14_EUlS13_E_NS1_11comp_targetILNS1_3genE10ELNS1_11target_archE1200ELNS1_3gpuE4ELNS1_3repE0EEENS1_30default_config_static_selectorELNS0_4arch9wavefront6targetE0EEEvT1_.uses_vcc, 0
	.set _ZN7rocprim17ROCPRIM_400000_NS6detail17trampoline_kernelINS0_14default_configENS1_25partition_config_selectorILNS1_17partition_subalgoE6EdNS0_10empty_typeEbEEZZNS1_14partition_implILS5_6ELb0ES3_mN6thrust23THRUST_200600_302600_NS6detail15normal_iteratorINSA_10device_ptrIdEEEEPS6_SG_NS0_5tupleIJSF_S6_EEENSH_IJSG_SG_EEES6_PlJNSB_9not_fun_tI7is_evenIdEEEEEE10hipError_tPvRmT3_T4_T5_T6_T7_T9_mT8_P12ihipStream_tbDpT10_ENKUlT_T0_E_clISt17integral_constantIbLb1EES17_IbLb0EEEEDaS13_S14_EUlS13_E_NS1_11comp_targetILNS1_3genE10ELNS1_11target_archE1200ELNS1_3gpuE4ELNS1_3repE0EEENS1_30default_config_static_selectorELNS0_4arch9wavefront6targetE0EEEvT1_.uses_flat_scratch, 0
	.set _ZN7rocprim17ROCPRIM_400000_NS6detail17trampoline_kernelINS0_14default_configENS1_25partition_config_selectorILNS1_17partition_subalgoE6EdNS0_10empty_typeEbEEZZNS1_14partition_implILS5_6ELb0ES3_mN6thrust23THRUST_200600_302600_NS6detail15normal_iteratorINSA_10device_ptrIdEEEEPS6_SG_NS0_5tupleIJSF_S6_EEENSH_IJSG_SG_EEES6_PlJNSB_9not_fun_tI7is_evenIdEEEEEE10hipError_tPvRmT3_T4_T5_T6_T7_T9_mT8_P12ihipStream_tbDpT10_ENKUlT_T0_E_clISt17integral_constantIbLb1EES17_IbLb0EEEEDaS13_S14_EUlS13_E_NS1_11comp_targetILNS1_3genE10ELNS1_11target_archE1200ELNS1_3gpuE4ELNS1_3repE0EEENS1_30default_config_static_selectorELNS0_4arch9wavefront6targetE0EEEvT1_.has_dyn_sized_stack, 0
	.set _ZN7rocprim17ROCPRIM_400000_NS6detail17trampoline_kernelINS0_14default_configENS1_25partition_config_selectorILNS1_17partition_subalgoE6EdNS0_10empty_typeEbEEZZNS1_14partition_implILS5_6ELb0ES3_mN6thrust23THRUST_200600_302600_NS6detail15normal_iteratorINSA_10device_ptrIdEEEEPS6_SG_NS0_5tupleIJSF_S6_EEENSH_IJSG_SG_EEES6_PlJNSB_9not_fun_tI7is_evenIdEEEEEE10hipError_tPvRmT3_T4_T5_T6_T7_T9_mT8_P12ihipStream_tbDpT10_ENKUlT_T0_E_clISt17integral_constantIbLb1EES17_IbLb0EEEEDaS13_S14_EUlS13_E_NS1_11comp_targetILNS1_3genE10ELNS1_11target_archE1200ELNS1_3gpuE4ELNS1_3repE0EEENS1_30default_config_static_selectorELNS0_4arch9wavefront6targetE0EEEvT1_.has_recursion, 0
	.set _ZN7rocprim17ROCPRIM_400000_NS6detail17trampoline_kernelINS0_14default_configENS1_25partition_config_selectorILNS1_17partition_subalgoE6EdNS0_10empty_typeEbEEZZNS1_14partition_implILS5_6ELb0ES3_mN6thrust23THRUST_200600_302600_NS6detail15normal_iteratorINSA_10device_ptrIdEEEEPS6_SG_NS0_5tupleIJSF_S6_EEENSH_IJSG_SG_EEES6_PlJNSB_9not_fun_tI7is_evenIdEEEEEE10hipError_tPvRmT3_T4_T5_T6_T7_T9_mT8_P12ihipStream_tbDpT10_ENKUlT_T0_E_clISt17integral_constantIbLb1EES17_IbLb0EEEEDaS13_S14_EUlS13_E_NS1_11comp_targetILNS1_3genE10ELNS1_11target_archE1200ELNS1_3gpuE4ELNS1_3repE0EEENS1_30default_config_static_selectorELNS0_4arch9wavefront6targetE0EEEvT1_.has_indirect_call, 0
	.section	.AMDGPU.csdata,"",@progbits
; Kernel info:
; codeLenInByte = 4
; TotalNumSgprs: 0
; NumVgprs: 0
; ScratchSize: 0
; MemoryBound: 0
; FloatMode: 240
; IeeeMode: 1
; LDSByteSize: 0 bytes/workgroup (compile time only)
; SGPRBlocks: 0
; VGPRBlocks: 0
; NumSGPRsForWavesPerEU: 1
; NumVGPRsForWavesPerEU: 1
; Occupancy: 16
; WaveLimiterHint : 0
; COMPUTE_PGM_RSRC2:SCRATCH_EN: 0
; COMPUTE_PGM_RSRC2:USER_SGPR: 2
; COMPUTE_PGM_RSRC2:TRAP_HANDLER: 0
; COMPUTE_PGM_RSRC2:TGID_X_EN: 1
; COMPUTE_PGM_RSRC2:TGID_Y_EN: 0
; COMPUTE_PGM_RSRC2:TGID_Z_EN: 0
; COMPUTE_PGM_RSRC2:TIDIG_COMP_CNT: 0
	.section	.text._ZN7rocprim17ROCPRIM_400000_NS6detail17trampoline_kernelINS0_14default_configENS1_25partition_config_selectorILNS1_17partition_subalgoE6EdNS0_10empty_typeEbEEZZNS1_14partition_implILS5_6ELb0ES3_mN6thrust23THRUST_200600_302600_NS6detail15normal_iteratorINSA_10device_ptrIdEEEEPS6_SG_NS0_5tupleIJSF_S6_EEENSH_IJSG_SG_EEES6_PlJNSB_9not_fun_tI7is_evenIdEEEEEE10hipError_tPvRmT3_T4_T5_T6_T7_T9_mT8_P12ihipStream_tbDpT10_ENKUlT_T0_E_clISt17integral_constantIbLb1EES17_IbLb0EEEEDaS13_S14_EUlS13_E_NS1_11comp_targetILNS1_3genE9ELNS1_11target_archE1100ELNS1_3gpuE3ELNS1_3repE0EEENS1_30default_config_static_selectorELNS0_4arch9wavefront6targetE0EEEvT1_,"axG",@progbits,_ZN7rocprim17ROCPRIM_400000_NS6detail17trampoline_kernelINS0_14default_configENS1_25partition_config_selectorILNS1_17partition_subalgoE6EdNS0_10empty_typeEbEEZZNS1_14partition_implILS5_6ELb0ES3_mN6thrust23THRUST_200600_302600_NS6detail15normal_iteratorINSA_10device_ptrIdEEEEPS6_SG_NS0_5tupleIJSF_S6_EEENSH_IJSG_SG_EEES6_PlJNSB_9not_fun_tI7is_evenIdEEEEEE10hipError_tPvRmT3_T4_T5_T6_T7_T9_mT8_P12ihipStream_tbDpT10_ENKUlT_T0_E_clISt17integral_constantIbLb1EES17_IbLb0EEEEDaS13_S14_EUlS13_E_NS1_11comp_targetILNS1_3genE9ELNS1_11target_archE1100ELNS1_3gpuE3ELNS1_3repE0EEENS1_30default_config_static_selectorELNS0_4arch9wavefront6targetE0EEEvT1_,comdat
	.protected	_ZN7rocprim17ROCPRIM_400000_NS6detail17trampoline_kernelINS0_14default_configENS1_25partition_config_selectorILNS1_17partition_subalgoE6EdNS0_10empty_typeEbEEZZNS1_14partition_implILS5_6ELb0ES3_mN6thrust23THRUST_200600_302600_NS6detail15normal_iteratorINSA_10device_ptrIdEEEEPS6_SG_NS0_5tupleIJSF_S6_EEENSH_IJSG_SG_EEES6_PlJNSB_9not_fun_tI7is_evenIdEEEEEE10hipError_tPvRmT3_T4_T5_T6_T7_T9_mT8_P12ihipStream_tbDpT10_ENKUlT_T0_E_clISt17integral_constantIbLb1EES17_IbLb0EEEEDaS13_S14_EUlS13_E_NS1_11comp_targetILNS1_3genE9ELNS1_11target_archE1100ELNS1_3gpuE3ELNS1_3repE0EEENS1_30default_config_static_selectorELNS0_4arch9wavefront6targetE0EEEvT1_ ; -- Begin function _ZN7rocprim17ROCPRIM_400000_NS6detail17trampoline_kernelINS0_14default_configENS1_25partition_config_selectorILNS1_17partition_subalgoE6EdNS0_10empty_typeEbEEZZNS1_14partition_implILS5_6ELb0ES3_mN6thrust23THRUST_200600_302600_NS6detail15normal_iteratorINSA_10device_ptrIdEEEEPS6_SG_NS0_5tupleIJSF_S6_EEENSH_IJSG_SG_EEES6_PlJNSB_9not_fun_tI7is_evenIdEEEEEE10hipError_tPvRmT3_T4_T5_T6_T7_T9_mT8_P12ihipStream_tbDpT10_ENKUlT_T0_E_clISt17integral_constantIbLb1EES17_IbLb0EEEEDaS13_S14_EUlS13_E_NS1_11comp_targetILNS1_3genE9ELNS1_11target_archE1100ELNS1_3gpuE3ELNS1_3repE0EEENS1_30default_config_static_selectorELNS0_4arch9wavefront6targetE0EEEvT1_
	.globl	_ZN7rocprim17ROCPRIM_400000_NS6detail17trampoline_kernelINS0_14default_configENS1_25partition_config_selectorILNS1_17partition_subalgoE6EdNS0_10empty_typeEbEEZZNS1_14partition_implILS5_6ELb0ES3_mN6thrust23THRUST_200600_302600_NS6detail15normal_iteratorINSA_10device_ptrIdEEEEPS6_SG_NS0_5tupleIJSF_S6_EEENSH_IJSG_SG_EEES6_PlJNSB_9not_fun_tI7is_evenIdEEEEEE10hipError_tPvRmT3_T4_T5_T6_T7_T9_mT8_P12ihipStream_tbDpT10_ENKUlT_T0_E_clISt17integral_constantIbLb1EES17_IbLb0EEEEDaS13_S14_EUlS13_E_NS1_11comp_targetILNS1_3genE9ELNS1_11target_archE1100ELNS1_3gpuE3ELNS1_3repE0EEENS1_30default_config_static_selectorELNS0_4arch9wavefront6targetE0EEEvT1_
	.p2align	8
	.type	_ZN7rocprim17ROCPRIM_400000_NS6detail17trampoline_kernelINS0_14default_configENS1_25partition_config_selectorILNS1_17partition_subalgoE6EdNS0_10empty_typeEbEEZZNS1_14partition_implILS5_6ELb0ES3_mN6thrust23THRUST_200600_302600_NS6detail15normal_iteratorINSA_10device_ptrIdEEEEPS6_SG_NS0_5tupleIJSF_S6_EEENSH_IJSG_SG_EEES6_PlJNSB_9not_fun_tI7is_evenIdEEEEEE10hipError_tPvRmT3_T4_T5_T6_T7_T9_mT8_P12ihipStream_tbDpT10_ENKUlT_T0_E_clISt17integral_constantIbLb1EES17_IbLb0EEEEDaS13_S14_EUlS13_E_NS1_11comp_targetILNS1_3genE9ELNS1_11target_archE1100ELNS1_3gpuE3ELNS1_3repE0EEENS1_30default_config_static_selectorELNS0_4arch9wavefront6targetE0EEEvT1_,@function
_ZN7rocprim17ROCPRIM_400000_NS6detail17trampoline_kernelINS0_14default_configENS1_25partition_config_selectorILNS1_17partition_subalgoE6EdNS0_10empty_typeEbEEZZNS1_14partition_implILS5_6ELb0ES3_mN6thrust23THRUST_200600_302600_NS6detail15normal_iteratorINSA_10device_ptrIdEEEEPS6_SG_NS0_5tupleIJSF_S6_EEENSH_IJSG_SG_EEES6_PlJNSB_9not_fun_tI7is_evenIdEEEEEE10hipError_tPvRmT3_T4_T5_T6_T7_T9_mT8_P12ihipStream_tbDpT10_ENKUlT_T0_E_clISt17integral_constantIbLb1EES17_IbLb0EEEEDaS13_S14_EUlS13_E_NS1_11comp_targetILNS1_3genE9ELNS1_11target_archE1100ELNS1_3gpuE3ELNS1_3repE0EEENS1_30default_config_static_selectorELNS0_4arch9wavefront6targetE0EEEvT1_: ; @_ZN7rocprim17ROCPRIM_400000_NS6detail17trampoline_kernelINS0_14default_configENS1_25partition_config_selectorILNS1_17partition_subalgoE6EdNS0_10empty_typeEbEEZZNS1_14partition_implILS5_6ELb0ES3_mN6thrust23THRUST_200600_302600_NS6detail15normal_iteratorINSA_10device_ptrIdEEEEPS6_SG_NS0_5tupleIJSF_S6_EEENSH_IJSG_SG_EEES6_PlJNSB_9not_fun_tI7is_evenIdEEEEEE10hipError_tPvRmT3_T4_T5_T6_T7_T9_mT8_P12ihipStream_tbDpT10_ENKUlT_T0_E_clISt17integral_constantIbLb1EES17_IbLb0EEEEDaS13_S14_EUlS13_E_NS1_11comp_targetILNS1_3genE9ELNS1_11target_archE1100ELNS1_3gpuE3ELNS1_3repE0EEENS1_30default_config_static_selectorELNS0_4arch9wavefront6targetE0EEEvT1_
; %bb.0:
	.section	.rodata,"a",@progbits
	.p2align	6, 0x0
	.amdhsa_kernel _ZN7rocprim17ROCPRIM_400000_NS6detail17trampoline_kernelINS0_14default_configENS1_25partition_config_selectorILNS1_17partition_subalgoE6EdNS0_10empty_typeEbEEZZNS1_14partition_implILS5_6ELb0ES3_mN6thrust23THRUST_200600_302600_NS6detail15normal_iteratorINSA_10device_ptrIdEEEEPS6_SG_NS0_5tupleIJSF_S6_EEENSH_IJSG_SG_EEES6_PlJNSB_9not_fun_tI7is_evenIdEEEEEE10hipError_tPvRmT3_T4_T5_T6_T7_T9_mT8_P12ihipStream_tbDpT10_ENKUlT_T0_E_clISt17integral_constantIbLb1EES17_IbLb0EEEEDaS13_S14_EUlS13_E_NS1_11comp_targetILNS1_3genE9ELNS1_11target_archE1100ELNS1_3gpuE3ELNS1_3repE0EEENS1_30default_config_static_selectorELNS0_4arch9wavefront6targetE0EEEvT1_
		.amdhsa_group_segment_fixed_size 0
		.amdhsa_private_segment_fixed_size 0
		.amdhsa_kernarg_size 112
		.amdhsa_user_sgpr_count 2
		.amdhsa_user_sgpr_dispatch_ptr 0
		.amdhsa_user_sgpr_queue_ptr 0
		.amdhsa_user_sgpr_kernarg_segment_ptr 1
		.amdhsa_user_sgpr_dispatch_id 0
		.amdhsa_user_sgpr_private_segment_size 0
		.amdhsa_wavefront_size32 1
		.amdhsa_uses_dynamic_stack 0
		.amdhsa_enable_private_segment 0
		.amdhsa_system_sgpr_workgroup_id_x 1
		.amdhsa_system_sgpr_workgroup_id_y 0
		.amdhsa_system_sgpr_workgroup_id_z 0
		.amdhsa_system_sgpr_workgroup_info 0
		.amdhsa_system_vgpr_workitem_id 0
		.amdhsa_next_free_vgpr 1
		.amdhsa_next_free_sgpr 1
		.amdhsa_reserve_vcc 0
		.amdhsa_float_round_mode_32 0
		.amdhsa_float_round_mode_16_64 0
		.amdhsa_float_denorm_mode_32 3
		.amdhsa_float_denorm_mode_16_64 3
		.amdhsa_fp16_overflow 0
		.amdhsa_workgroup_processor_mode 1
		.amdhsa_memory_ordered 1
		.amdhsa_forward_progress 1
		.amdhsa_inst_pref_size 0
		.amdhsa_round_robin_scheduling 0
		.amdhsa_exception_fp_ieee_invalid_op 0
		.amdhsa_exception_fp_denorm_src 0
		.amdhsa_exception_fp_ieee_div_zero 0
		.amdhsa_exception_fp_ieee_overflow 0
		.amdhsa_exception_fp_ieee_underflow 0
		.amdhsa_exception_fp_ieee_inexact 0
		.amdhsa_exception_int_div_zero 0
	.end_amdhsa_kernel
	.section	.text._ZN7rocprim17ROCPRIM_400000_NS6detail17trampoline_kernelINS0_14default_configENS1_25partition_config_selectorILNS1_17partition_subalgoE6EdNS0_10empty_typeEbEEZZNS1_14partition_implILS5_6ELb0ES3_mN6thrust23THRUST_200600_302600_NS6detail15normal_iteratorINSA_10device_ptrIdEEEEPS6_SG_NS0_5tupleIJSF_S6_EEENSH_IJSG_SG_EEES6_PlJNSB_9not_fun_tI7is_evenIdEEEEEE10hipError_tPvRmT3_T4_T5_T6_T7_T9_mT8_P12ihipStream_tbDpT10_ENKUlT_T0_E_clISt17integral_constantIbLb1EES17_IbLb0EEEEDaS13_S14_EUlS13_E_NS1_11comp_targetILNS1_3genE9ELNS1_11target_archE1100ELNS1_3gpuE3ELNS1_3repE0EEENS1_30default_config_static_selectorELNS0_4arch9wavefront6targetE0EEEvT1_,"axG",@progbits,_ZN7rocprim17ROCPRIM_400000_NS6detail17trampoline_kernelINS0_14default_configENS1_25partition_config_selectorILNS1_17partition_subalgoE6EdNS0_10empty_typeEbEEZZNS1_14partition_implILS5_6ELb0ES3_mN6thrust23THRUST_200600_302600_NS6detail15normal_iteratorINSA_10device_ptrIdEEEEPS6_SG_NS0_5tupleIJSF_S6_EEENSH_IJSG_SG_EEES6_PlJNSB_9not_fun_tI7is_evenIdEEEEEE10hipError_tPvRmT3_T4_T5_T6_T7_T9_mT8_P12ihipStream_tbDpT10_ENKUlT_T0_E_clISt17integral_constantIbLb1EES17_IbLb0EEEEDaS13_S14_EUlS13_E_NS1_11comp_targetILNS1_3genE9ELNS1_11target_archE1100ELNS1_3gpuE3ELNS1_3repE0EEENS1_30default_config_static_selectorELNS0_4arch9wavefront6targetE0EEEvT1_,comdat
.Lfunc_end555:
	.size	_ZN7rocprim17ROCPRIM_400000_NS6detail17trampoline_kernelINS0_14default_configENS1_25partition_config_selectorILNS1_17partition_subalgoE6EdNS0_10empty_typeEbEEZZNS1_14partition_implILS5_6ELb0ES3_mN6thrust23THRUST_200600_302600_NS6detail15normal_iteratorINSA_10device_ptrIdEEEEPS6_SG_NS0_5tupleIJSF_S6_EEENSH_IJSG_SG_EEES6_PlJNSB_9not_fun_tI7is_evenIdEEEEEE10hipError_tPvRmT3_T4_T5_T6_T7_T9_mT8_P12ihipStream_tbDpT10_ENKUlT_T0_E_clISt17integral_constantIbLb1EES17_IbLb0EEEEDaS13_S14_EUlS13_E_NS1_11comp_targetILNS1_3genE9ELNS1_11target_archE1100ELNS1_3gpuE3ELNS1_3repE0EEENS1_30default_config_static_selectorELNS0_4arch9wavefront6targetE0EEEvT1_, .Lfunc_end555-_ZN7rocprim17ROCPRIM_400000_NS6detail17trampoline_kernelINS0_14default_configENS1_25partition_config_selectorILNS1_17partition_subalgoE6EdNS0_10empty_typeEbEEZZNS1_14partition_implILS5_6ELb0ES3_mN6thrust23THRUST_200600_302600_NS6detail15normal_iteratorINSA_10device_ptrIdEEEEPS6_SG_NS0_5tupleIJSF_S6_EEENSH_IJSG_SG_EEES6_PlJNSB_9not_fun_tI7is_evenIdEEEEEE10hipError_tPvRmT3_T4_T5_T6_T7_T9_mT8_P12ihipStream_tbDpT10_ENKUlT_T0_E_clISt17integral_constantIbLb1EES17_IbLb0EEEEDaS13_S14_EUlS13_E_NS1_11comp_targetILNS1_3genE9ELNS1_11target_archE1100ELNS1_3gpuE3ELNS1_3repE0EEENS1_30default_config_static_selectorELNS0_4arch9wavefront6targetE0EEEvT1_
                                        ; -- End function
	.set _ZN7rocprim17ROCPRIM_400000_NS6detail17trampoline_kernelINS0_14default_configENS1_25partition_config_selectorILNS1_17partition_subalgoE6EdNS0_10empty_typeEbEEZZNS1_14partition_implILS5_6ELb0ES3_mN6thrust23THRUST_200600_302600_NS6detail15normal_iteratorINSA_10device_ptrIdEEEEPS6_SG_NS0_5tupleIJSF_S6_EEENSH_IJSG_SG_EEES6_PlJNSB_9not_fun_tI7is_evenIdEEEEEE10hipError_tPvRmT3_T4_T5_T6_T7_T9_mT8_P12ihipStream_tbDpT10_ENKUlT_T0_E_clISt17integral_constantIbLb1EES17_IbLb0EEEEDaS13_S14_EUlS13_E_NS1_11comp_targetILNS1_3genE9ELNS1_11target_archE1100ELNS1_3gpuE3ELNS1_3repE0EEENS1_30default_config_static_selectorELNS0_4arch9wavefront6targetE0EEEvT1_.num_vgpr, 0
	.set _ZN7rocprim17ROCPRIM_400000_NS6detail17trampoline_kernelINS0_14default_configENS1_25partition_config_selectorILNS1_17partition_subalgoE6EdNS0_10empty_typeEbEEZZNS1_14partition_implILS5_6ELb0ES3_mN6thrust23THRUST_200600_302600_NS6detail15normal_iteratorINSA_10device_ptrIdEEEEPS6_SG_NS0_5tupleIJSF_S6_EEENSH_IJSG_SG_EEES6_PlJNSB_9not_fun_tI7is_evenIdEEEEEE10hipError_tPvRmT3_T4_T5_T6_T7_T9_mT8_P12ihipStream_tbDpT10_ENKUlT_T0_E_clISt17integral_constantIbLb1EES17_IbLb0EEEEDaS13_S14_EUlS13_E_NS1_11comp_targetILNS1_3genE9ELNS1_11target_archE1100ELNS1_3gpuE3ELNS1_3repE0EEENS1_30default_config_static_selectorELNS0_4arch9wavefront6targetE0EEEvT1_.num_agpr, 0
	.set _ZN7rocprim17ROCPRIM_400000_NS6detail17trampoline_kernelINS0_14default_configENS1_25partition_config_selectorILNS1_17partition_subalgoE6EdNS0_10empty_typeEbEEZZNS1_14partition_implILS5_6ELb0ES3_mN6thrust23THRUST_200600_302600_NS6detail15normal_iteratorINSA_10device_ptrIdEEEEPS6_SG_NS0_5tupleIJSF_S6_EEENSH_IJSG_SG_EEES6_PlJNSB_9not_fun_tI7is_evenIdEEEEEE10hipError_tPvRmT3_T4_T5_T6_T7_T9_mT8_P12ihipStream_tbDpT10_ENKUlT_T0_E_clISt17integral_constantIbLb1EES17_IbLb0EEEEDaS13_S14_EUlS13_E_NS1_11comp_targetILNS1_3genE9ELNS1_11target_archE1100ELNS1_3gpuE3ELNS1_3repE0EEENS1_30default_config_static_selectorELNS0_4arch9wavefront6targetE0EEEvT1_.numbered_sgpr, 0
	.set _ZN7rocprim17ROCPRIM_400000_NS6detail17trampoline_kernelINS0_14default_configENS1_25partition_config_selectorILNS1_17partition_subalgoE6EdNS0_10empty_typeEbEEZZNS1_14partition_implILS5_6ELb0ES3_mN6thrust23THRUST_200600_302600_NS6detail15normal_iteratorINSA_10device_ptrIdEEEEPS6_SG_NS0_5tupleIJSF_S6_EEENSH_IJSG_SG_EEES6_PlJNSB_9not_fun_tI7is_evenIdEEEEEE10hipError_tPvRmT3_T4_T5_T6_T7_T9_mT8_P12ihipStream_tbDpT10_ENKUlT_T0_E_clISt17integral_constantIbLb1EES17_IbLb0EEEEDaS13_S14_EUlS13_E_NS1_11comp_targetILNS1_3genE9ELNS1_11target_archE1100ELNS1_3gpuE3ELNS1_3repE0EEENS1_30default_config_static_selectorELNS0_4arch9wavefront6targetE0EEEvT1_.num_named_barrier, 0
	.set _ZN7rocprim17ROCPRIM_400000_NS6detail17trampoline_kernelINS0_14default_configENS1_25partition_config_selectorILNS1_17partition_subalgoE6EdNS0_10empty_typeEbEEZZNS1_14partition_implILS5_6ELb0ES3_mN6thrust23THRUST_200600_302600_NS6detail15normal_iteratorINSA_10device_ptrIdEEEEPS6_SG_NS0_5tupleIJSF_S6_EEENSH_IJSG_SG_EEES6_PlJNSB_9not_fun_tI7is_evenIdEEEEEE10hipError_tPvRmT3_T4_T5_T6_T7_T9_mT8_P12ihipStream_tbDpT10_ENKUlT_T0_E_clISt17integral_constantIbLb1EES17_IbLb0EEEEDaS13_S14_EUlS13_E_NS1_11comp_targetILNS1_3genE9ELNS1_11target_archE1100ELNS1_3gpuE3ELNS1_3repE0EEENS1_30default_config_static_selectorELNS0_4arch9wavefront6targetE0EEEvT1_.private_seg_size, 0
	.set _ZN7rocprim17ROCPRIM_400000_NS6detail17trampoline_kernelINS0_14default_configENS1_25partition_config_selectorILNS1_17partition_subalgoE6EdNS0_10empty_typeEbEEZZNS1_14partition_implILS5_6ELb0ES3_mN6thrust23THRUST_200600_302600_NS6detail15normal_iteratorINSA_10device_ptrIdEEEEPS6_SG_NS0_5tupleIJSF_S6_EEENSH_IJSG_SG_EEES6_PlJNSB_9not_fun_tI7is_evenIdEEEEEE10hipError_tPvRmT3_T4_T5_T6_T7_T9_mT8_P12ihipStream_tbDpT10_ENKUlT_T0_E_clISt17integral_constantIbLb1EES17_IbLb0EEEEDaS13_S14_EUlS13_E_NS1_11comp_targetILNS1_3genE9ELNS1_11target_archE1100ELNS1_3gpuE3ELNS1_3repE0EEENS1_30default_config_static_selectorELNS0_4arch9wavefront6targetE0EEEvT1_.uses_vcc, 0
	.set _ZN7rocprim17ROCPRIM_400000_NS6detail17trampoline_kernelINS0_14default_configENS1_25partition_config_selectorILNS1_17partition_subalgoE6EdNS0_10empty_typeEbEEZZNS1_14partition_implILS5_6ELb0ES3_mN6thrust23THRUST_200600_302600_NS6detail15normal_iteratorINSA_10device_ptrIdEEEEPS6_SG_NS0_5tupleIJSF_S6_EEENSH_IJSG_SG_EEES6_PlJNSB_9not_fun_tI7is_evenIdEEEEEE10hipError_tPvRmT3_T4_T5_T6_T7_T9_mT8_P12ihipStream_tbDpT10_ENKUlT_T0_E_clISt17integral_constantIbLb1EES17_IbLb0EEEEDaS13_S14_EUlS13_E_NS1_11comp_targetILNS1_3genE9ELNS1_11target_archE1100ELNS1_3gpuE3ELNS1_3repE0EEENS1_30default_config_static_selectorELNS0_4arch9wavefront6targetE0EEEvT1_.uses_flat_scratch, 0
	.set _ZN7rocprim17ROCPRIM_400000_NS6detail17trampoline_kernelINS0_14default_configENS1_25partition_config_selectorILNS1_17partition_subalgoE6EdNS0_10empty_typeEbEEZZNS1_14partition_implILS5_6ELb0ES3_mN6thrust23THRUST_200600_302600_NS6detail15normal_iteratorINSA_10device_ptrIdEEEEPS6_SG_NS0_5tupleIJSF_S6_EEENSH_IJSG_SG_EEES6_PlJNSB_9not_fun_tI7is_evenIdEEEEEE10hipError_tPvRmT3_T4_T5_T6_T7_T9_mT8_P12ihipStream_tbDpT10_ENKUlT_T0_E_clISt17integral_constantIbLb1EES17_IbLb0EEEEDaS13_S14_EUlS13_E_NS1_11comp_targetILNS1_3genE9ELNS1_11target_archE1100ELNS1_3gpuE3ELNS1_3repE0EEENS1_30default_config_static_selectorELNS0_4arch9wavefront6targetE0EEEvT1_.has_dyn_sized_stack, 0
	.set _ZN7rocprim17ROCPRIM_400000_NS6detail17trampoline_kernelINS0_14default_configENS1_25partition_config_selectorILNS1_17partition_subalgoE6EdNS0_10empty_typeEbEEZZNS1_14partition_implILS5_6ELb0ES3_mN6thrust23THRUST_200600_302600_NS6detail15normal_iteratorINSA_10device_ptrIdEEEEPS6_SG_NS0_5tupleIJSF_S6_EEENSH_IJSG_SG_EEES6_PlJNSB_9not_fun_tI7is_evenIdEEEEEE10hipError_tPvRmT3_T4_T5_T6_T7_T9_mT8_P12ihipStream_tbDpT10_ENKUlT_T0_E_clISt17integral_constantIbLb1EES17_IbLb0EEEEDaS13_S14_EUlS13_E_NS1_11comp_targetILNS1_3genE9ELNS1_11target_archE1100ELNS1_3gpuE3ELNS1_3repE0EEENS1_30default_config_static_selectorELNS0_4arch9wavefront6targetE0EEEvT1_.has_recursion, 0
	.set _ZN7rocprim17ROCPRIM_400000_NS6detail17trampoline_kernelINS0_14default_configENS1_25partition_config_selectorILNS1_17partition_subalgoE6EdNS0_10empty_typeEbEEZZNS1_14partition_implILS5_6ELb0ES3_mN6thrust23THRUST_200600_302600_NS6detail15normal_iteratorINSA_10device_ptrIdEEEEPS6_SG_NS0_5tupleIJSF_S6_EEENSH_IJSG_SG_EEES6_PlJNSB_9not_fun_tI7is_evenIdEEEEEE10hipError_tPvRmT3_T4_T5_T6_T7_T9_mT8_P12ihipStream_tbDpT10_ENKUlT_T0_E_clISt17integral_constantIbLb1EES17_IbLb0EEEEDaS13_S14_EUlS13_E_NS1_11comp_targetILNS1_3genE9ELNS1_11target_archE1100ELNS1_3gpuE3ELNS1_3repE0EEENS1_30default_config_static_selectorELNS0_4arch9wavefront6targetE0EEEvT1_.has_indirect_call, 0
	.section	.AMDGPU.csdata,"",@progbits
; Kernel info:
; codeLenInByte = 0
; TotalNumSgprs: 0
; NumVgprs: 0
; ScratchSize: 0
; MemoryBound: 0
; FloatMode: 240
; IeeeMode: 1
; LDSByteSize: 0 bytes/workgroup (compile time only)
; SGPRBlocks: 0
; VGPRBlocks: 0
; NumSGPRsForWavesPerEU: 1
; NumVGPRsForWavesPerEU: 1
; Occupancy: 16
; WaveLimiterHint : 0
; COMPUTE_PGM_RSRC2:SCRATCH_EN: 0
; COMPUTE_PGM_RSRC2:USER_SGPR: 2
; COMPUTE_PGM_RSRC2:TRAP_HANDLER: 0
; COMPUTE_PGM_RSRC2:TGID_X_EN: 1
; COMPUTE_PGM_RSRC2:TGID_Y_EN: 0
; COMPUTE_PGM_RSRC2:TGID_Z_EN: 0
; COMPUTE_PGM_RSRC2:TIDIG_COMP_CNT: 0
	.section	.text._ZN7rocprim17ROCPRIM_400000_NS6detail17trampoline_kernelINS0_14default_configENS1_25partition_config_selectorILNS1_17partition_subalgoE6EdNS0_10empty_typeEbEEZZNS1_14partition_implILS5_6ELb0ES3_mN6thrust23THRUST_200600_302600_NS6detail15normal_iteratorINSA_10device_ptrIdEEEEPS6_SG_NS0_5tupleIJSF_S6_EEENSH_IJSG_SG_EEES6_PlJNSB_9not_fun_tI7is_evenIdEEEEEE10hipError_tPvRmT3_T4_T5_T6_T7_T9_mT8_P12ihipStream_tbDpT10_ENKUlT_T0_E_clISt17integral_constantIbLb1EES17_IbLb0EEEEDaS13_S14_EUlS13_E_NS1_11comp_targetILNS1_3genE8ELNS1_11target_archE1030ELNS1_3gpuE2ELNS1_3repE0EEENS1_30default_config_static_selectorELNS0_4arch9wavefront6targetE0EEEvT1_,"axG",@progbits,_ZN7rocprim17ROCPRIM_400000_NS6detail17trampoline_kernelINS0_14default_configENS1_25partition_config_selectorILNS1_17partition_subalgoE6EdNS0_10empty_typeEbEEZZNS1_14partition_implILS5_6ELb0ES3_mN6thrust23THRUST_200600_302600_NS6detail15normal_iteratorINSA_10device_ptrIdEEEEPS6_SG_NS0_5tupleIJSF_S6_EEENSH_IJSG_SG_EEES6_PlJNSB_9not_fun_tI7is_evenIdEEEEEE10hipError_tPvRmT3_T4_T5_T6_T7_T9_mT8_P12ihipStream_tbDpT10_ENKUlT_T0_E_clISt17integral_constantIbLb1EES17_IbLb0EEEEDaS13_S14_EUlS13_E_NS1_11comp_targetILNS1_3genE8ELNS1_11target_archE1030ELNS1_3gpuE2ELNS1_3repE0EEENS1_30default_config_static_selectorELNS0_4arch9wavefront6targetE0EEEvT1_,comdat
	.protected	_ZN7rocprim17ROCPRIM_400000_NS6detail17trampoline_kernelINS0_14default_configENS1_25partition_config_selectorILNS1_17partition_subalgoE6EdNS0_10empty_typeEbEEZZNS1_14partition_implILS5_6ELb0ES3_mN6thrust23THRUST_200600_302600_NS6detail15normal_iteratorINSA_10device_ptrIdEEEEPS6_SG_NS0_5tupleIJSF_S6_EEENSH_IJSG_SG_EEES6_PlJNSB_9not_fun_tI7is_evenIdEEEEEE10hipError_tPvRmT3_T4_T5_T6_T7_T9_mT8_P12ihipStream_tbDpT10_ENKUlT_T0_E_clISt17integral_constantIbLb1EES17_IbLb0EEEEDaS13_S14_EUlS13_E_NS1_11comp_targetILNS1_3genE8ELNS1_11target_archE1030ELNS1_3gpuE2ELNS1_3repE0EEENS1_30default_config_static_selectorELNS0_4arch9wavefront6targetE0EEEvT1_ ; -- Begin function _ZN7rocprim17ROCPRIM_400000_NS6detail17trampoline_kernelINS0_14default_configENS1_25partition_config_selectorILNS1_17partition_subalgoE6EdNS0_10empty_typeEbEEZZNS1_14partition_implILS5_6ELb0ES3_mN6thrust23THRUST_200600_302600_NS6detail15normal_iteratorINSA_10device_ptrIdEEEEPS6_SG_NS0_5tupleIJSF_S6_EEENSH_IJSG_SG_EEES6_PlJNSB_9not_fun_tI7is_evenIdEEEEEE10hipError_tPvRmT3_T4_T5_T6_T7_T9_mT8_P12ihipStream_tbDpT10_ENKUlT_T0_E_clISt17integral_constantIbLb1EES17_IbLb0EEEEDaS13_S14_EUlS13_E_NS1_11comp_targetILNS1_3genE8ELNS1_11target_archE1030ELNS1_3gpuE2ELNS1_3repE0EEENS1_30default_config_static_selectorELNS0_4arch9wavefront6targetE0EEEvT1_
	.globl	_ZN7rocprim17ROCPRIM_400000_NS6detail17trampoline_kernelINS0_14default_configENS1_25partition_config_selectorILNS1_17partition_subalgoE6EdNS0_10empty_typeEbEEZZNS1_14partition_implILS5_6ELb0ES3_mN6thrust23THRUST_200600_302600_NS6detail15normal_iteratorINSA_10device_ptrIdEEEEPS6_SG_NS0_5tupleIJSF_S6_EEENSH_IJSG_SG_EEES6_PlJNSB_9not_fun_tI7is_evenIdEEEEEE10hipError_tPvRmT3_T4_T5_T6_T7_T9_mT8_P12ihipStream_tbDpT10_ENKUlT_T0_E_clISt17integral_constantIbLb1EES17_IbLb0EEEEDaS13_S14_EUlS13_E_NS1_11comp_targetILNS1_3genE8ELNS1_11target_archE1030ELNS1_3gpuE2ELNS1_3repE0EEENS1_30default_config_static_selectorELNS0_4arch9wavefront6targetE0EEEvT1_
	.p2align	8
	.type	_ZN7rocprim17ROCPRIM_400000_NS6detail17trampoline_kernelINS0_14default_configENS1_25partition_config_selectorILNS1_17partition_subalgoE6EdNS0_10empty_typeEbEEZZNS1_14partition_implILS5_6ELb0ES3_mN6thrust23THRUST_200600_302600_NS6detail15normal_iteratorINSA_10device_ptrIdEEEEPS6_SG_NS0_5tupleIJSF_S6_EEENSH_IJSG_SG_EEES6_PlJNSB_9not_fun_tI7is_evenIdEEEEEE10hipError_tPvRmT3_T4_T5_T6_T7_T9_mT8_P12ihipStream_tbDpT10_ENKUlT_T0_E_clISt17integral_constantIbLb1EES17_IbLb0EEEEDaS13_S14_EUlS13_E_NS1_11comp_targetILNS1_3genE8ELNS1_11target_archE1030ELNS1_3gpuE2ELNS1_3repE0EEENS1_30default_config_static_selectorELNS0_4arch9wavefront6targetE0EEEvT1_,@function
_ZN7rocprim17ROCPRIM_400000_NS6detail17trampoline_kernelINS0_14default_configENS1_25partition_config_selectorILNS1_17partition_subalgoE6EdNS0_10empty_typeEbEEZZNS1_14partition_implILS5_6ELb0ES3_mN6thrust23THRUST_200600_302600_NS6detail15normal_iteratorINSA_10device_ptrIdEEEEPS6_SG_NS0_5tupleIJSF_S6_EEENSH_IJSG_SG_EEES6_PlJNSB_9not_fun_tI7is_evenIdEEEEEE10hipError_tPvRmT3_T4_T5_T6_T7_T9_mT8_P12ihipStream_tbDpT10_ENKUlT_T0_E_clISt17integral_constantIbLb1EES17_IbLb0EEEEDaS13_S14_EUlS13_E_NS1_11comp_targetILNS1_3genE8ELNS1_11target_archE1030ELNS1_3gpuE2ELNS1_3repE0EEENS1_30default_config_static_selectorELNS0_4arch9wavefront6targetE0EEEvT1_: ; @_ZN7rocprim17ROCPRIM_400000_NS6detail17trampoline_kernelINS0_14default_configENS1_25partition_config_selectorILNS1_17partition_subalgoE6EdNS0_10empty_typeEbEEZZNS1_14partition_implILS5_6ELb0ES3_mN6thrust23THRUST_200600_302600_NS6detail15normal_iteratorINSA_10device_ptrIdEEEEPS6_SG_NS0_5tupleIJSF_S6_EEENSH_IJSG_SG_EEES6_PlJNSB_9not_fun_tI7is_evenIdEEEEEE10hipError_tPvRmT3_T4_T5_T6_T7_T9_mT8_P12ihipStream_tbDpT10_ENKUlT_T0_E_clISt17integral_constantIbLb1EES17_IbLb0EEEEDaS13_S14_EUlS13_E_NS1_11comp_targetILNS1_3genE8ELNS1_11target_archE1030ELNS1_3gpuE2ELNS1_3repE0EEENS1_30default_config_static_selectorELNS0_4arch9wavefront6targetE0EEEvT1_
; %bb.0:
	.section	.rodata,"a",@progbits
	.p2align	6, 0x0
	.amdhsa_kernel _ZN7rocprim17ROCPRIM_400000_NS6detail17trampoline_kernelINS0_14default_configENS1_25partition_config_selectorILNS1_17partition_subalgoE6EdNS0_10empty_typeEbEEZZNS1_14partition_implILS5_6ELb0ES3_mN6thrust23THRUST_200600_302600_NS6detail15normal_iteratorINSA_10device_ptrIdEEEEPS6_SG_NS0_5tupleIJSF_S6_EEENSH_IJSG_SG_EEES6_PlJNSB_9not_fun_tI7is_evenIdEEEEEE10hipError_tPvRmT3_T4_T5_T6_T7_T9_mT8_P12ihipStream_tbDpT10_ENKUlT_T0_E_clISt17integral_constantIbLb1EES17_IbLb0EEEEDaS13_S14_EUlS13_E_NS1_11comp_targetILNS1_3genE8ELNS1_11target_archE1030ELNS1_3gpuE2ELNS1_3repE0EEENS1_30default_config_static_selectorELNS0_4arch9wavefront6targetE0EEEvT1_
		.amdhsa_group_segment_fixed_size 0
		.amdhsa_private_segment_fixed_size 0
		.amdhsa_kernarg_size 112
		.amdhsa_user_sgpr_count 2
		.amdhsa_user_sgpr_dispatch_ptr 0
		.amdhsa_user_sgpr_queue_ptr 0
		.amdhsa_user_sgpr_kernarg_segment_ptr 1
		.amdhsa_user_sgpr_dispatch_id 0
		.amdhsa_user_sgpr_private_segment_size 0
		.amdhsa_wavefront_size32 1
		.amdhsa_uses_dynamic_stack 0
		.amdhsa_enable_private_segment 0
		.amdhsa_system_sgpr_workgroup_id_x 1
		.amdhsa_system_sgpr_workgroup_id_y 0
		.amdhsa_system_sgpr_workgroup_id_z 0
		.amdhsa_system_sgpr_workgroup_info 0
		.amdhsa_system_vgpr_workitem_id 0
		.amdhsa_next_free_vgpr 1
		.amdhsa_next_free_sgpr 1
		.amdhsa_reserve_vcc 0
		.amdhsa_float_round_mode_32 0
		.amdhsa_float_round_mode_16_64 0
		.amdhsa_float_denorm_mode_32 3
		.amdhsa_float_denorm_mode_16_64 3
		.amdhsa_fp16_overflow 0
		.amdhsa_workgroup_processor_mode 1
		.amdhsa_memory_ordered 1
		.amdhsa_forward_progress 1
		.amdhsa_inst_pref_size 0
		.amdhsa_round_robin_scheduling 0
		.amdhsa_exception_fp_ieee_invalid_op 0
		.amdhsa_exception_fp_denorm_src 0
		.amdhsa_exception_fp_ieee_div_zero 0
		.amdhsa_exception_fp_ieee_overflow 0
		.amdhsa_exception_fp_ieee_underflow 0
		.amdhsa_exception_fp_ieee_inexact 0
		.amdhsa_exception_int_div_zero 0
	.end_amdhsa_kernel
	.section	.text._ZN7rocprim17ROCPRIM_400000_NS6detail17trampoline_kernelINS0_14default_configENS1_25partition_config_selectorILNS1_17partition_subalgoE6EdNS0_10empty_typeEbEEZZNS1_14partition_implILS5_6ELb0ES3_mN6thrust23THRUST_200600_302600_NS6detail15normal_iteratorINSA_10device_ptrIdEEEEPS6_SG_NS0_5tupleIJSF_S6_EEENSH_IJSG_SG_EEES6_PlJNSB_9not_fun_tI7is_evenIdEEEEEE10hipError_tPvRmT3_T4_T5_T6_T7_T9_mT8_P12ihipStream_tbDpT10_ENKUlT_T0_E_clISt17integral_constantIbLb1EES17_IbLb0EEEEDaS13_S14_EUlS13_E_NS1_11comp_targetILNS1_3genE8ELNS1_11target_archE1030ELNS1_3gpuE2ELNS1_3repE0EEENS1_30default_config_static_selectorELNS0_4arch9wavefront6targetE0EEEvT1_,"axG",@progbits,_ZN7rocprim17ROCPRIM_400000_NS6detail17trampoline_kernelINS0_14default_configENS1_25partition_config_selectorILNS1_17partition_subalgoE6EdNS0_10empty_typeEbEEZZNS1_14partition_implILS5_6ELb0ES3_mN6thrust23THRUST_200600_302600_NS6detail15normal_iteratorINSA_10device_ptrIdEEEEPS6_SG_NS0_5tupleIJSF_S6_EEENSH_IJSG_SG_EEES6_PlJNSB_9not_fun_tI7is_evenIdEEEEEE10hipError_tPvRmT3_T4_T5_T6_T7_T9_mT8_P12ihipStream_tbDpT10_ENKUlT_T0_E_clISt17integral_constantIbLb1EES17_IbLb0EEEEDaS13_S14_EUlS13_E_NS1_11comp_targetILNS1_3genE8ELNS1_11target_archE1030ELNS1_3gpuE2ELNS1_3repE0EEENS1_30default_config_static_selectorELNS0_4arch9wavefront6targetE0EEEvT1_,comdat
.Lfunc_end556:
	.size	_ZN7rocprim17ROCPRIM_400000_NS6detail17trampoline_kernelINS0_14default_configENS1_25partition_config_selectorILNS1_17partition_subalgoE6EdNS0_10empty_typeEbEEZZNS1_14partition_implILS5_6ELb0ES3_mN6thrust23THRUST_200600_302600_NS6detail15normal_iteratorINSA_10device_ptrIdEEEEPS6_SG_NS0_5tupleIJSF_S6_EEENSH_IJSG_SG_EEES6_PlJNSB_9not_fun_tI7is_evenIdEEEEEE10hipError_tPvRmT3_T4_T5_T6_T7_T9_mT8_P12ihipStream_tbDpT10_ENKUlT_T0_E_clISt17integral_constantIbLb1EES17_IbLb0EEEEDaS13_S14_EUlS13_E_NS1_11comp_targetILNS1_3genE8ELNS1_11target_archE1030ELNS1_3gpuE2ELNS1_3repE0EEENS1_30default_config_static_selectorELNS0_4arch9wavefront6targetE0EEEvT1_, .Lfunc_end556-_ZN7rocprim17ROCPRIM_400000_NS6detail17trampoline_kernelINS0_14default_configENS1_25partition_config_selectorILNS1_17partition_subalgoE6EdNS0_10empty_typeEbEEZZNS1_14partition_implILS5_6ELb0ES3_mN6thrust23THRUST_200600_302600_NS6detail15normal_iteratorINSA_10device_ptrIdEEEEPS6_SG_NS0_5tupleIJSF_S6_EEENSH_IJSG_SG_EEES6_PlJNSB_9not_fun_tI7is_evenIdEEEEEE10hipError_tPvRmT3_T4_T5_T6_T7_T9_mT8_P12ihipStream_tbDpT10_ENKUlT_T0_E_clISt17integral_constantIbLb1EES17_IbLb0EEEEDaS13_S14_EUlS13_E_NS1_11comp_targetILNS1_3genE8ELNS1_11target_archE1030ELNS1_3gpuE2ELNS1_3repE0EEENS1_30default_config_static_selectorELNS0_4arch9wavefront6targetE0EEEvT1_
                                        ; -- End function
	.set _ZN7rocprim17ROCPRIM_400000_NS6detail17trampoline_kernelINS0_14default_configENS1_25partition_config_selectorILNS1_17partition_subalgoE6EdNS0_10empty_typeEbEEZZNS1_14partition_implILS5_6ELb0ES3_mN6thrust23THRUST_200600_302600_NS6detail15normal_iteratorINSA_10device_ptrIdEEEEPS6_SG_NS0_5tupleIJSF_S6_EEENSH_IJSG_SG_EEES6_PlJNSB_9not_fun_tI7is_evenIdEEEEEE10hipError_tPvRmT3_T4_T5_T6_T7_T9_mT8_P12ihipStream_tbDpT10_ENKUlT_T0_E_clISt17integral_constantIbLb1EES17_IbLb0EEEEDaS13_S14_EUlS13_E_NS1_11comp_targetILNS1_3genE8ELNS1_11target_archE1030ELNS1_3gpuE2ELNS1_3repE0EEENS1_30default_config_static_selectorELNS0_4arch9wavefront6targetE0EEEvT1_.num_vgpr, 0
	.set _ZN7rocprim17ROCPRIM_400000_NS6detail17trampoline_kernelINS0_14default_configENS1_25partition_config_selectorILNS1_17partition_subalgoE6EdNS0_10empty_typeEbEEZZNS1_14partition_implILS5_6ELb0ES3_mN6thrust23THRUST_200600_302600_NS6detail15normal_iteratorINSA_10device_ptrIdEEEEPS6_SG_NS0_5tupleIJSF_S6_EEENSH_IJSG_SG_EEES6_PlJNSB_9not_fun_tI7is_evenIdEEEEEE10hipError_tPvRmT3_T4_T5_T6_T7_T9_mT8_P12ihipStream_tbDpT10_ENKUlT_T0_E_clISt17integral_constantIbLb1EES17_IbLb0EEEEDaS13_S14_EUlS13_E_NS1_11comp_targetILNS1_3genE8ELNS1_11target_archE1030ELNS1_3gpuE2ELNS1_3repE0EEENS1_30default_config_static_selectorELNS0_4arch9wavefront6targetE0EEEvT1_.num_agpr, 0
	.set _ZN7rocprim17ROCPRIM_400000_NS6detail17trampoline_kernelINS0_14default_configENS1_25partition_config_selectorILNS1_17partition_subalgoE6EdNS0_10empty_typeEbEEZZNS1_14partition_implILS5_6ELb0ES3_mN6thrust23THRUST_200600_302600_NS6detail15normal_iteratorINSA_10device_ptrIdEEEEPS6_SG_NS0_5tupleIJSF_S6_EEENSH_IJSG_SG_EEES6_PlJNSB_9not_fun_tI7is_evenIdEEEEEE10hipError_tPvRmT3_T4_T5_T6_T7_T9_mT8_P12ihipStream_tbDpT10_ENKUlT_T0_E_clISt17integral_constantIbLb1EES17_IbLb0EEEEDaS13_S14_EUlS13_E_NS1_11comp_targetILNS1_3genE8ELNS1_11target_archE1030ELNS1_3gpuE2ELNS1_3repE0EEENS1_30default_config_static_selectorELNS0_4arch9wavefront6targetE0EEEvT1_.numbered_sgpr, 0
	.set _ZN7rocprim17ROCPRIM_400000_NS6detail17trampoline_kernelINS0_14default_configENS1_25partition_config_selectorILNS1_17partition_subalgoE6EdNS0_10empty_typeEbEEZZNS1_14partition_implILS5_6ELb0ES3_mN6thrust23THRUST_200600_302600_NS6detail15normal_iteratorINSA_10device_ptrIdEEEEPS6_SG_NS0_5tupleIJSF_S6_EEENSH_IJSG_SG_EEES6_PlJNSB_9not_fun_tI7is_evenIdEEEEEE10hipError_tPvRmT3_T4_T5_T6_T7_T9_mT8_P12ihipStream_tbDpT10_ENKUlT_T0_E_clISt17integral_constantIbLb1EES17_IbLb0EEEEDaS13_S14_EUlS13_E_NS1_11comp_targetILNS1_3genE8ELNS1_11target_archE1030ELNS1_3gpuE2ELNS1_3repE0EEENS1_30default_config_static_selectorELNS0_4arch9wavefront6targetE0EEEvT1_.num_named_barrier, 0
	.set _ZN7rocprim17ROCPRIM_400000_NS6detail17trampoline_kernelINS0_14default_configENS1_25partition_config_selectorILNS1_17partition_subalgoE6EdNS0_10empty_typeEbEEZZNS1_14partition_implILS5_6ELb0ES3_mN6thrust23THRUST_200600_302600_NS6detail15normal_iteratorINSA_10device_ptrIdEEEEPS6_SG_NS0_5tupleIJSF_S6_EEENSH_IJSG_SG_EEES6_PlJNSB_9not_fun_tI7is_evenIdEEEEEE10hipError_tPvRmT3_T4_T5_T6_T7_T9_mT8_P12ihipStream_tbDpT10_ENKUlT_T0_E_clISt17integral_constantIbLb1EES17_IbLb0EEEEDaS13_S14_EUlS13_E_NS1_11comp_targetILNS1_3genE8ELNS1_11target_archE1030ELNS1_3gpuE2ELNS1_3repE0EEENS1_30default_config_static_selectorELNS0_4arch9wavefront6targetE0EEEvT1_.private_seg_size, 0
	.set _ZN7rocprim17ROCPRIM_400000_NS6detail17trampoline_kernelINS0_14default_configENS1_25partition_config_selectorILNS1_17partition_subalgoE6EdNS0_10empty_typeEbEEZZNS1_14partition_implILS5_6ELb0ES3_mN6thrust23THRUST_200600_302600_NS6detail15normal_iteratorINSA_10device_ptrIdEEEEPS6_SG_NS0_5tupleIJSF_S6_EEENSH_IJSG_SG_EEES6_PlJNSB_9not_fun_tI7is_evenIdEEEEEE10hipError_tPvRmT3_T4_T5_T6_T7_T9_mT8_P12ihipStream_tbDpT10_ENKUlT_T0_E_clISt17integral_constantIbLb1EES17_IbLb0EEEEDaS13_S14_EUlS13_E_NS1_11comp_targetILNS1_3genE8ELNS1_11target_archE1030ELNS1_3gpuE2ELNS1_3repE0EEENS1_30default_config_static_selectorELNS0_4arch9wavefront6targetE0EEEvT1_.uses_vcc, 0
	.set _ZN7rocprim17ROCPRIM_400000_NS6detail17trampoline_kernelINS0_14default_configENS1_25partition_config_selectorILNS1_17partition_subalgoE6EdNS0_10empty_typeEbEEZZNS1_14partition_implILS5_6ELb0ES3_mN6thrust23THRUST_200600_302600_NS6detail15normal_iteratorINSA_10device_ptrIdEEEEPS6_SG_NS0_5tupleIJSF_S6_EEENSH_IJSG_SG_EEES6_PlJNSB_9not_fun_tI7is_evenIdEEEEEE10hipError_tPvRmT3_T4_T5_T6_T7_T9_mT8_P12ihipStream_tbDpT10_ENKUlT_T0_E_clISt17integral_constantIbLb1EES17_IbLb0EEEEDaS13_S14_EUlS13_E_NS1_11comp_targetILNS1_3genE8ELNS1_11target_archE1030ELNS1_3gpuE2ELNS1_3repE0EEENS1_30default_config_static_selectorELNS0_4arch9wavefront6targetE0EEEvT1_.uses_flat_scratch, 0
	.set _ZN7rocprim17ROCPRIM_400000_NS6detail17trampoline_kernelINS0_14default_configENS1_25partition_config_selectorILNS1_17partition_subalgoE6EdNS0_10empty_typeEbEEZZNS1_14partition_implILS5_6ELb0ES3_mN6thrust23THRUST_200600_302600_NS6detail15normal_iteratorINSA_10device_ptrIdEEEEPS6_SG_NS0_5tupleIJSF_S6_EEENSH_IJSG_SG_EEES6_PlJNSB_9not_fun_tI7is_evenIdEEEEEE10hipError_tPvRmT3_T4_T5_T6_T7_T9_mT8_P12ihipStream_tbDpT10_ENKUlT_T0_E_clISt17integral_constantIbLb1EES17_IbLb0EEEEDaS13_S14_EUlS13_E_NS1_11comp_targetILNS1_3genE8ELNS1_11target_archE1030ELNS1_3gpuE2ELNS1_3repE0EEENS1_30default_config_static_selectorELNS0_4arch9wavefront6targetE0EEEvT1_.has_dyn_sized_stack, 0
	.set _ZN7rocprim17ROCPRIM_400000_NS6detail17trampoline_kernelINS0_14default_configENS1_25partition_config_selectorILNS1_17partition_subalgoE6EdNS0_10empty_typeEbEEZZNS1_14partition_implILS5_6ELb0ES3_mN6thrust23THRUST_200600_302600_NS6detail15normal_iteratorINSA_10device_ptrIdEEEEPS6_SG_NS0_5tupleIJSF_S6_EEENSH_IJSG_SG_EEES6_PlJNSB_9not_fun_tI7is_evenIdEEEEEE10hipError_tPvRmT3_T4_T5_T6_T7_T9_mT8_P12ihipStream_tbDpT10_ENKUlT_T0_E_clISt17integral_constantIbLb1EES17_IbLb0EEEEDaS13_S14_EUlS13_E_NS1_11comp_targetILNS1_3genE8ELNS1_11target_archE1030ELNS1_3gpuE2ELNS1_3repE0EEENS1_30default_config_static_selectorELNS0_4arch9wavefront6targetE0EEEvT1_.has_recursion, 0
	.set _ZN7rocprim17ROCPRIM_400000_NS6detail17trampoline_kernelINS0_14default_configENS1_25partition_config_selectorILNS1_17partition_subalgoE6EdNS0_10empty_typeEbEEZZNS1_14partition_implILS5_6ELb0ES3_mN6thrust23THRUST_200600_302600_NS6detail15normal_iteratorINSA_10device_ptrIdEEEEPS6_SG_NS0_5tupleIJSF_S6_EEENSH_IJSG_SG_EEES6_PlJNSB_9not_fun_tI7is_evenIdEEEEEE10hipError_tPvRmT3_T4_T5_T6_T7_T9_mT8_P12ihipStream_tbDpT10_ENKUlT_T0_E_clISt17integral_constantIbLb1EES17_IbLb0EEEEDaS13_S14_EUlS13_E_NS1_11comp_targetILNS1_3genE8ELNS1_11target_archE1030ELNS1_3gpuE2ELNS1_3repE0EEENS1_30default_config_static_selectorELNS0_4arch9wavefront6targetE0EEEvT1_.has_indirect_call, 0
	.section	.AMDGPU.csdata,"",@progbits
; Kernel info:
; codeLenInByte = 0
; TotalNumSgprs: 0
; NumVgprs: 0
; ScratchSize: 0
; MemoryBound: 0
; FloatMode: 240
; IeeeMode: 1
; LDSByteSize: 0 bytes/workgroup (compile time only)
; SGPRBlocks: 0
; VGPRBlocks: 0
; NumSGPRsForWavesPerEU: 1
; NumVGPRsForWavesPerEU: 1
; Occupancy: 16
; WaveLimiterHint : 0
; COMPUTE_PGM_RSRC2:SCRATCH_EN: 0
; COMPUTE_PGM_RSRC2:USER_SGPR: 2
; COMPUTE_PGM_RSRC2:TRAP_HANDLER: 0
; COMPUTE_PGM_RSRC2:TGID_X_EN: 1
; COMPUTE_PGM_RSRC2:TGID_Y_EN: 0
; COMPUTE_PGM_RSRC2:TGID_Z_EN: 0
; COMPUTE_PGM_RSRC2:TIDIG_COMP_CNT: 0
	.section	.text._ZN7rocprim17ROCPRIM_400000_NS6detail17trampoline_kernelINS0_14default_configENS1_25partition_config_selectorILNS1_17partition_subalgoE6EdNS0_10empty_typeEbEEZZNS1_14partition_implILS5_6ELb0ES3_mN6thrust23THRUST_200600_302600_NS6detail15normal_iteratorINSA_10device_ptrIdEEEEPS6_SG_NS0_5tupleIJSF_S6_EEENSH_IJSG_SG_EEES6_PlJNSB_9not_fun_tI7is_evenIdEEEEEE10hipError_tPvRmT3_T4_T5_T6_T7_T9_mT8_P12ihipStream_tbDpT10_ENKUlT_T0_E_clISt17integral_constantIbLb0EES17_IbLb1EEEEDaS13_S14_EUlS13_E_NS1_11comp_targetILNS1_3genE0ELNS1_11target_archE4294967295ELNS1_3gpuE0ELNS1_3repE0EEENS1_30default_config_static_selectorELNS0_4arch9wavefront6targetE0EEEvT1_,"axG",@progbits,_ZN7rocprim17ROCPRIM_400000_NS6detail17trampoline_kernelINS0_14default_configENS1_25partition_config_selectorILNS1_17partition_subalgoE6EdNS0_10empty_typeEbEEZZNS1_14partition_implILS5_6ELb0ES3_mN6thrust23THRUST_200600_302600_NS6detail15normal_iteratorINSA_10device_ptrIdEEEEPS6_SG_NS0_5tupleIJSF_S6_EEENSH_IJSG_SG_EEES6_PlJNSB_9not_fun_tI7is_evenIdEEEEEE10hipError_tPvRmT3_T4_T5_T6_T7_T9_mT8_P12ihipStream_tbDpT10_ENKUlT_T0_E_clISt17integral_constantIbLb0EES17_IbLb1EEEEDaS13_S14_EUlS13_E_NS1_11comp_targetILNS1_3genE0ELNS1_11target_archE4294967295ELNS1_3gpuE0ELNS1_3repE0EEENS1_30default_config_static_selectorELNS0_4arch9wavefront6targetE0EEEvT1_,comdat
	.protected	_ZN7rocprim17ROCPRIM_400000_NS6detail17trampoline_kernelINS0_14default_configENS1_25partition_config_selectorILNS1_17partition_subalgoE6EdNS0_10empty_typeEbEEZZNS1_14partition_implILS5_6ELb0ES3_mN6thrust23THRUST_200600_302600_NS6detail15normal_iteratorINSA_10device_ptrIdEEEEPS6_SG_NS0_5tupleIJSF_S6_EEENSH_IJSG_SG_EEES6_PlJNSB_9not_fun_tI7is_evenIdEEEEEE10hipError_tPvRmT3_T4_T5_T6_T7_T9_mT8_P12ihipStream_tbDpT10_ENKUlT_T0_E_clISt17integral_constantIbLb0EES17_IbLb1EEEEDaS13_S14_EUlS13_E_NS1_11comp_targetILNS1_3genE0ELNS1_11target_archE4294967295ELNS1_3gpuE0ELNS1_3repE0EEENS1_30default_config_static_selectorELNS0_4arch9wavefront6targetE0EEEvT1_ ; -- Begin function _ZN7rocprim17ROCPRIM_400000_NS6detail17trampoline_kernelINS0_14default_configENS1_25partition_config_selectorILNS1_17partition_subalgoE6EdNS0_10empty_typeEbEEZZNS1_14partition_implILS5_6ELb0ES3_mN6thrust23THRUST_200600_302600_NS6detail15normal_iteratorINSA_10device_ptrIdEEEEPS6_SG_NS0_5tupleIJSF_S6_EEENSH_IJSG_SG_EEES6_PlJNSB_9not_fun_tI7is_evenIdEEEEEE10hipError_tPvRmT3_T4_T5_T6_T7_T9_mT8_P12ihipStream_tbDpT10_ENKUlT_T0_E_clISt17integral_constantIbLb0EES17_IbLb1EEEEDaS13_S14_EUlS13_E_NS1_11comp_targetILNS1_3genE0ELNS1_11target_archE4294967295ELNS1_3gpuE0ELNS1_3repE0EEENS1_30default_config_static_selectorELNS0_4arch9wavefront6targetE0EEEvT1_
	.globl	_ZN7rocprim17ROCPRIM_400000_NS6detail17trampoline_kernelINS0_14default_configENS1_25partition_config_selectorILNS1_17partition_subalgoE6EdNS0_10empty_typeEbEEZZNS1_14partition_implILS5_6ELb0ES3_mN6thrust23THRUST_200600_302600_NS6detail15normal_iteratorINSA_10device_ptrIdEEEEPS6_SG_NS0_5tupleIJSF_S6_EEENSH_IJSG_SG_EEES6_PlJNSB_9not_fun_tI7is_evenIdEEEEEE10hipError_tPvRmT3_T4_T5_T6_T7_T9_mT8_P12ihipStream_tbDpT10_ENKUlT_T0_E_clISt17integral_constantIbLb0EES17_IbLb1EEEEDaS13_S14_EUlS13_E_NS1_11comp_targetILNS1_3genE0ELNS1_11target_archE4294967295ELNS1_3gpuE0ELNS1_3repE0EEENS1_30default_config_static_selectorELNS0_4arch9wavefront6targetE0EEEvT1_
	.p2align	8
	.type	_ZN7rocprim17ROCPRIM_400000_NS6detail17trampoline_kernelINS0_14default_configENS1_25partition_config_selectorILNS1_17partition_subalgoE6EdNS0_10empty_typeEbEEZZNS1_14partition_implILS5_6ELb0ES3_mN6thrust23THRUST_200600_302600_NS6detail15normal_iteratorINSA_10device_ptrIdEEEEPS6_SG_NS0_5tupleIJSF_S6_EEENSH_IJSG_SG_EEES6_PlJNSB_9not_fun_tI7is_evenIdEEEEEE10hipError_tPvRmT3_T4_T5_T6_T7_T9_mT8_P12ihipStream_tbDpT10_ENKUlT_T0_E_clISt17integral_constantIbLb0EES17_IbLb1EEEEDaS13_S14_EUlS13_E_NS1_11comp_targetILNS1_3genE0ELNS1_11target_archE4294967295ELNS1_3gpuE0ELNS1_3repE0EEENS1_30default_config_static_selectorELNS0_4arch9wavefront6targetE0EEEvT1_,@function
_ZN7rocprim17ROCPRIM_400000_NS6detail17trampoline_kernelINS0_14default_configENS1_25partition_config_selectorILNS1_17partition_subalgoE6EdNS0_10empty_typeEbEEZZNS1_14partition_implILS5_6ELb0ES3_mN6thrust23THRUST_200600_302600_NS6detail15normal_iteratorINSA_10device_ptrIdEEEEPS6_SG_NS0_5tupleIJSF_S6_EEENSH_IJSG_SG_EEES6_PlJNSB_9not_fun_tI7is_evenIdEEEEEE10hipError_tPvRmT3_T4_T5_T6_T7_T9_mT8_P12ihipStream_tbDpT10_ENKUlT_T0_E_clISt17integral_constantIbLb0EES17_IbLb1EEEEDaS13_S14_EUlS13_E_NS1_11comp_targetILNS1_3genE0ELNS1_11target_archE4294967295ELNS1_3gpuE0ELNS1_3repE0EEENS1_30default_config_static_selectorELNS0_4arch9wavefront6targetE0EEEvT1_: ; @_ZN7rocprim17ROCPRIM_400000_NS6detail17trampoline_kernelINS0_14default_configENS1_25partition_config_selectorILNS1_17partition_subalgoE6EdNS0_10empty_typeEbEEZZNS1_14partition_implILS5_6ELb0ES3_mN6thrust23THRUST_200600_302600_NS6detail15normal_iteratorINSA_10device_ptrIdEEEEPS6_SG_NS0_5tupleIJSF_S6_EEENSH_IJSG_SG_EEES6_PlJNSB_9not_fun_tI7is_evenIdEEEEEE10hipError_tPvRmT3_T4_T5_T6_T7_T9_mT8_P12ihipStream_tbDpT10_ENKUlT_T0_E_clISt17integral_constantIbLb0EES17_IbLb1EEEEDaS13_S14_EUlS13_E_NS1_11comp_targetILNS1_3genE0ELNS1_11target_archE4294967295ELNS1_3gpuE0ELNS1_3repE0EEENS1_30default_config_static_selectorELNS0_4arch9wavefront6targetE0EEEvT1_
; %bb.0:
	.section	.rodata,"a",@progbits
	.p2align	6, 0x0
	.amdhsa_kernel _ZN7rocprim17ROCPRIM_400000_NS6detail17trampoline_kernelINS0_14default_configENS1_25partition_config_selectorILNS1_17partition_subalgoE6EdNS0_10empty_typeEbEEZZNS1_14partition_implILS5_6ELb0ES3_mN6thrust23THRUST_200600_302600_NS6detail15normal_iteratorINSA_10device_ptrIdEEEEPS6_SG_NS0_5tupleIJSF_S6_EEENSH_IJSG_SG_EEES6_PlJNSB_9not_fun_tI7is_evenIdEEEEEE10hipError_tPvRmT3_T4_T5_T6_T7_T9_mT8_P12ihipStream_tbDpT10_ENKUlT_T0_E_clISt17integral_constantIbLb0EES17_IbLb1EEEEDaS13_S14_EUlS13_E_NS1_11comp_targetILNS1_3genE0ELNS1_11target_archE4294967295ELNS1_3gpuE0ELNS1_3repE0EEENS1_30default_config_static_selectorELNS0_4arch9wavefront6targetE0EEEvT1_
		.amdhsa_group_segment_fixed_size 0
		.amdhsa_private_segment_fixed_size 0
		.amdhsa_kernarg_size 128
		.amdhsa_user_sgpr_count 2
		.amdhsa_user_sgpr_dispatch_ptr 0
		.amdhsa_user_sgpr_queue_ptr 0
		.amdhsa_user_sgpr_kernarg_segment_ptr 1
		.amdhsa_user_sgpr_dispatch_id 0
		.amdhsa_user_sgpr_private_segment_size 0
		.amdhsa_wavefront_size32 1
		.amdhsa_uses_dynamic_stack 0
		.amdhsa_enable_private_segment 0
		.amdhsa_system_sgpr_workgroup_id_x 1
		.amdhsa_system_sgpr_workgroup_id_y 0
		.amdhsa_system_sgpr_workgroup_id_z 0
		.amdhsa_system_sgpr_workgroup_info 0
		.amdhsa_system_vgpr_workitem_id 0
		.amdhsa_next_free_vgpr 1
		.amdhsa_next_free_sgpr 1
		.amdhsa_reserve_vcc 0
		.amdhsa_float_round_mode_32 0
		.amdhsa_float_round_mode_16_64 0
		.amdhsa_float_denorm_mode_32 3
		.amdhsa_float_denorm_mode_16_64 3
		.amdhsa_fp16_overflow 0
		.amdhsa_workgroup_processor_mode 1
		.amdhsa_memory_ordered 1
		.amdhsa_forward_progress 1
		.amdhsa_inst_pref_size 0
		.amdhsa_round_robin_scheduling 0
		.amdhsa_exception_fp_ieee_invalid_op 0
		.amdhsa_exception_fp_denorm_src 0
		.amdhsa_exception_fp_ieee_div_zero 0
		.amdhsa_exception_fp_ieee_overflow 0
		.amdhsa_exception_fp_ieee_underflow 0
		.amdhsa_exception_fp_ieee_inexact 0
		.amdhsa_exception_int_div_zero 0
	.end_amdhsa_kernel
	.section	.text._ZN7rocprim17ROCPRIM_400000_NS6detail17trampoline_kernelINS0_14default_configENS1_25partition_config_selectorILNS1_17partition_subalgoE6EdNS0_10empty_typeEbEEZZNS1_14partition_implILS5_6ELb0ES3_mN6thrust23THRUST_200600_302600_NS6detail15normal_iteratorINSA_10device_ptrIdEEEEPS6_SG_NS0_5tupleIJSF_S6_EEENSH_IJSG_SG_EEES6_PlJNSB_9not_fun_tI7is_evenIdEEEEEE10hipError_tPvRmT3_T4_T5_T6_T7_T9_mT8_P12ihipStream_tbDpT10_ENKUlT_T0_E_clISt17integral_constantIbLb0EES17_IbLb1EEEEDaS13_S14_EUlS13_E_NS1_11comp_targetILNS1_3genE0ELNS1_11target_archE4294967295ELNS1_3gpuE0ELNS1_3repE0EEENS1_30default_config_static_selectorELNS0_4arch9wavefront6targetE0EEEvT1_,"axG",@progbits,_ZN7rocprim17ROCPRIM_400000_NS6detail17trampoline_kernelINS0_14default_configENS1_25partition_config_selectorILNS1_17partition_subalgoE6EdNS0_10empty_typeEbEEZZNS1_14partition_implILS5_6ELb0ES3_mN6thrust23THRUST_200600_302600_NS6detail15normal_iteratorINSA_10device_ptrIdEEEEPS6_SG_NS0_5tupleIJSF_S6_EEENSH_IJSG_SG_EEES6_PlJNSB_9not_fun_tI7is_evenIdEEEEEE10hipError_tPvRmT3_T4_T5_T6_T7_T9_mT8_P12ihipStream_tbDpT10_ENKUlT_T0_E_clISt17integral_constantIbLb0EES17_IbLb1EEEEDaS13_S14_EUlS13_E_NS1_11comp_targetILNS1_3genE0ELNS1_11target_archE4294967295ELNS1_3gpuE0ELNS1_3repE0EEENS1_30default_config_static_selectorELNS0_4arch9wavefront6targetE0EEEvT1_,comdat
.Lfunc_end557:
	.size	_ZN7rocprim17ROCPRIM_400000_NS6detail17trampoline_kernelINS0_14default_configENS1_25partition_config_selectorILNS1_17partition_subalgoE6EdNS0_10empty_typeEbEEZZNS1_14partition_implILS5_6ELb0ES3_mN6thrust23THRUST_200600_302600_NS6detail15normal_iteratorINSA_10device_ptrIdEEEEPS6_SG_NS0_5tupleIJSF_S6_EEENSH_IJSG_SG_EEES6_PlJNSB_9not_fun_tI7is_evenIdEEEEEE10hipError_tPvRmT3_T4_T5_T6_T7_T9_mT8_P12ihipStream_tbDpT10_ENKUlT_T0_E_clISt17integral_constantIbLb0EES17_IbLb1EEEEDaS13_S14_EUlS13_E_NS1_11comp_targetILNS1_3genE0ELNS1_11target_archE4294967295ELNS1_3gpuE0ELNS1_3repE0EEENS1_30default_config_static_selectorELNS0_4arch9wavefront6targetE0EEEvT1_, .Lfunc_end557-_ZN7rocprim17ROCPRIM_400000_NS6detail17trampoline_kernelINS0_14default_configENS1_25partition_config_selectorILNS1_17partition_subalgoE6EdNS0_10empty_typeEbEEZZNS1_14partition_implILS5_6ELb0ES3_mN6thrust23THRUST_200600_302600_NS6detail15normal_iteratorINSA_10device_ptrIdEEEEPS6_SG_NS0_5tupleIJSF_S6_EEENSH_IJSG_SG_EEES6_PlJNSB_9not_fun_tI7is_evenIdEEEEEE10hipError_tPvRmT3_T4_T5_T6_T7_T9_mT8_P12ihipStream_tbDpT10_ENKUlT_T0_E_clISt17integral_constantIbLb0EES17_IbLb1EEEEDaS13_S14_EUlS13_E_NS1_11comp_targetILNS1_3genE0ELNS1_11target_archE4294967295ELNS1_3gpuE0ELNS1_3repE0EEENS1_30default_config_static_selectorELNS0_4arch9wavefront6targetE0EEEvT1_
                                        ; -- End function
	.set _ZN7rocprim17ROCPRIM_400000_NS6detail17trampoline_kernelINS0_14default_configENS1_25partition_config_selectorILNS1_17partition_subalgoE6EdNS0_10empty_typeEbEEZZNS1_14partition_implILS5_6ELb0ES3_mN6thrust23THRUST_200600_302600_NS6detail15normal_iteratorINSA_10device_ptrIdEEEEPS6_SG_NS0_5tupleIJSF_S6_EEENSH_IJSG_SG_EEES6_PlJNSB_9not_fun_tI7is_evenIdEEEEEE10hipError_tPvRmT3_T4_T5_T6_T7_T9_mT8_P12ihipStream_tbDpT10_ENKUlT_T0_E_clISt17integral_constantIbLb0EES17_IbLb1EEEEDaS13_S14_EUlS13_E_NS1_11comp_targetILNS1_3genE0ELNS1_11target_archE4294967295ELNS1_3gpuE0ELNS1_3repE0EEENS1_30default_config_static_selectorELNS0_4arch9wavefront6targetE0EEEvT1_.num_vgpr, 0
	.set _ZN7rocprim17ROCPRIM_400000_NS6detail17trampoline_kernelINS0_14default_configENS1_25partition_config_selectorILNS1_17partition_subalgoE6EdNS0_10empty_typeEbEEZZNS1_14partition_implILS5_6ELb0ES3_mN6thrust23THRUST_200600_302600_NS6detail15normal_iteratorINSA_10device_ptrIdEEEEPS6_SG_NS0_5tupleIJSF_S6_EEENSH_IJSG_SG_EEES6_PlJNSB_9not_fun_tI7is_evenIdEEEEEE10hipError_tPvRmT3_T4_T5_T6_T7_T9_mT8_P12ihipStream_tbDpT10_ENKUlT_T0_E_clISt17integral_constantIbLb0EES17_IbLb1EEEEDaS13_S14_EUlS13_E_NS1_11comp_targetILNS1_3genE0ELNS1_11target_archE4294967295ELNS1_3gpuE0ELNS1_3repE0EEENS1_30default_config_static_selectorELNS0_4arch9wavefront6targetE0EEEvT1_.num_agpr, 0
	.set _ZN7rocprim17ROCPRIM_400000_NS6detail17trampoline_kernelINS0_14default_configENS1_25partition_config_selectorILNS1_17partition_subalgoE6EdNS0_10empty_typeEbEEZZNS1_14partition_implILS5_6ELb0ES3_mN6thrust23THRUST_200600_302600_NS6detail15normal_iteratorINSA_10device_ptrIdEEEEPS6_SG_NS0_5tupleIJSF_S6_EEENSH_IJSG_SG_EEES6_PlJNSB_9not_fun_tI7is_evenIdEEEEEE10hipError_tPvRmT3_T4_T5_T6_T7_T9_mT8_P12ihipStream_tbDpT10_ENKUlT_T0_E_clISt17integral_constantIbLb0EES17_IbLb1EEEEDaS13_S14_EUlS13_E_NS1_11comp_targetILNS1_3genE0ELNS1_11target_archE4294967295ELNS1_3gpuE0ELNS1_3repE0EEENS1_30default_config_static_selectorELNS0_4arch9wavefront6targetE0EEEvT1_.numbered_sgpr, 0
	.set _ZN7rocprim17ROCPRIM_400000_NS6detail17trampoline_kernelINS0_14default_configENS1_25partition_config_selectorILNS1_17partition_subalgoE6EdNS0_10empty_typeEbEEZZNS1_14partition_implILS5_6ELb0ES3_mN6thrust23THRUST_200600_302600_NS6detail15normal_iteratorINSA_10device_ptrIdEEEEPS6_SG_NS0_5tupleIJSF_S6_EEENSH_IJSG_SG_EEES6_PlJNSB_9not_fun_tI7is_evenIdEEEEEE10hipError_tPvRmT3_T4_T5_T6_T7_T9_mT8_P12ihipStream_tbDpT10_ENKUlT_T0_E_clISt17integral_constantIbLb0EES17_IbLb1EEEEDaS13_S14_EUlS13_E_NS1_11comp_targetILNS1_3genE0ELNS1_11target_archE4294967295ELNS1_3gpuE0ELNS1_3repE0EEENS1_30default_config_static_selectorELNS0_4arch9wavefront6targetE0EEEvT1_.num_named_barrier, 0
	.set _ZN7rocprim17ROCPRIM_400000_NS6detail17trampoline_kernelINS0_14default_configENS1_25partition_config_selectorILNS1_17partition_subalgoE6EdNS0_10empty_typeEbEEZZNS1_14partition_implILS5_6ELb0ES3_mN6thrust23THRUST_200600_302600_NS6detail15normal_iteratorINSA_10device_ptrIdEEEEPS6_SG_NS0_5tupleIJSF_S6_EEENSH_IJSG_SG_EEES6_PlJNSB_9not_fun_tI7is_evenIdEEEEEE10hipError_tPvRmT3_T4_T5_T6_T7_T9_mT8_P12ihipStream_tbDpT10_ENKUlT_T0_E_clISt17integral_constantIbLb0EES17_IbLb1EEEEDaS13_S14_EUlS13_E_NS1_11comp_targetILNS1_3genE0ELNS1_11target_archE4294967295ELNS1_3gpuE0ELNS1_3repE0EEENS1_30default_config_static_selectorELNS0_4arch9wavefront6targetE0EEEvT1_.private_seg_size, 0
	.set _ZN7rocprim17ROCPRIM_400000_NS6detail17trampoline_kernelINS0_14default_configENS1_25partition_config_selectorILNS1_17partition_subalgoE6EdNS0_10empty_typeEbEEZZNS1_14partition_implILS5_6ELb0ES3_mN6thrust23THRUST_200600_302600_NS6detail15normal_iteratorINSA_10device_ptrIdEEEEPS6_SG_NS0_5tupleIJSF_S6_EEENSH_IJSG_SG_EEES6_PlJNSB_9not_fun_tI7is_evenIdEEEEEE10hipError_tPvRmT3_T4_T5_T6_T7_T9_mT8_P12ihipStream_tbDpT10_ENKUlT_T0_E_clISt17integral_constantIbLb0EES17_IbLb1EEEEDaS13_S14_EUlS13_E_NS1_11comp_targetILNS1_3genE0ELNS1_11target_archE4294967295ELNS1_3gpuE0ELNS1_3repE0EEENS1_30default_config_static_selectorELNS0_4arch9wavefront6targetE0EEEvT1_.uses_vcc, 0
	.set _ZN7rocprim17ROCPRIM_400000_NS6detail17trampoline_kernelINS0_14default_configENS1_25partition_config_selectorILNS1_17partition_subalgoE6EdNS0_10empty_typeEbEEZZNS1_14partition_implILS5_6ELb0ES3_mN6thrust23THRUST_200600_302600_NS6detail15normal_iteratorINSA_10device_ptrIdEEEEPS6_SG_NS0_5tupleIJSF_S6_EEENSH_IJSG_SG_EEES6_PlJNSB_9not_fun_tI7is_evenIdEEEEEE10hipError_tPvRmT3_T4_T5_T6_T7_T9_mT8_P12ihipStream_tbDpT10_ENKUlT_T0_E_clISt17integral_constantIbLb0EES17_IbLb1EEEEDaS13_S14_EUlS13_E_NS1_11comp_targetILNS1_3genE0ELNS1_11target_archE4294967295ELNS1_3gpuE0ELNS1_3repE0EEENS1_30default_config_static_selectorELNS0_4arch9wavefront6targetE0EEEvT1_.uses_flat_scratch, 0
	.set _ZN7rocprim17ROCPRIM_400000_NS6detail17trampoline_kernelINS0_14default_configENS1_25partition_config_selectorILNS1_17partition_subalgoE6EdNS0_10empty_typeEbEEZZNS1_14partition_implILS5_6ELb0ES3_mN6thrust23THRUST_200600_302600_NS6detail15normal_iteratorINSA_10device_ptrIdEEEEPS6_SG_NS0_5tupleIJSF_S6_EEENSH_IJSG_SG_EEES6_PlJNSB_9not_fun_tI7is_evenIdEEEEEE10hipError_tPvRmT3_T4_T5_T6_T7_T9_mT8_P12ihipStream_tbDpT10_ENKUlT_T0_E_clISt17integral_constantIbLb0EES17_IbLb1EEEEDaS13_S14_EUlS13_E_NS1_11comp_targetILNS1_3genE0ELNS1_11target_archE4294967295ELNS1_3gpuE0ELNS1_3repE0EEENS1_30default_config_static_selectorELNS0_4arch9wavefront6targetE0EEEvT1_.has_dyn_sized_stack, 0
	.set _ZN7rocprim17ROCPRIM_400000_NS6detail17trampoline_kernelINS0_14default_configENS1_25partition_config_selectorILNS1_17partition_subalgoE6EdNS0_10empty_typeEbEEZZNS1_14partition_implILS5_6ELb0ES3_mN6thrust23THRUST_200600_302600_NS6detail15normal_iteratorINSA_10device_ptrIdEEEEPS6_SG_NS0_5tupleIJSF_S6_EEENSH_IJSG_SG_EEES6_PlJNSB_9not_fun_tI7is_evenIdEEEEEE10hipError_tPvRmT3_T4_T5_T6_T7_T9_mT8_P12ihipStream_tbDpT10_ENKUlT_T0_E_clISt17integral_constantIbLb0EES17_IbLb1EEEEDaS13_S14_EUlS13_E_NS1_11comp_targetILNS1_3genE0ELNS1_11target_archE4294967295ELNS1_3gpuE0ELNS1_3repE0EEENS1_30default_config_static_selectorELNS0_4arch9wavefront6targetE0EEEvT1_.has_recursion, 0
	.set _ZN7rocprim17ROCPRIM_400000_NS6detail17trampoline_kernelINS0_14default_configENS1_25partition_config_selectorILNS1_17partition_subalgoE6EdNS0_10empty_typeEbEEZZNS1_14partition_implILS5_6ELb0ES3_mN6thrust23THRUST_200600_302600_NS6detail15normal_iteratorINSA_10device_ptrIdEEEEPS6_SG_NS0_5tupleIJSF_S6_EEENSH_IJSG_SG_EEES6_PlJNSB_9not_fun_tI7is_evenIdEEEEEE10hipError_tPvRmT3_T4_T5_T6_T7_T9_mT8_P12ihipStream_tbDpT10_ENKUlT_T0_E_clISt17integral_constantIbLb0EES17_IbLb1EEEEDaS13_S14_EUlS13_E_NS1_11comp_targetILNS1_3genE0ELNS1_11target_archE4294967295ELNS1_3gpuE0ELNS1_3repE0EEENS1_30default_config_static_selectorELNS0_4arch9wavefront6targetE0EEEvT1_.has_indirect_call, 0
	.section	.AMDGPU.csdata,"",@progbits
; Kernel info:
; codeLenInByte = 0
; TotalNumSgprs: 0
; NumVgprs: 0
; ScratchSize: 0
; MemoryBound: 0
; FloatMode: 240
; IeeeMode: 1
; LDSByteSize: 0 bytes/workgroup (compile time only)
; SGPRBlocks: 0
; VGPRBlocks: 0
; NumSGPRsForWavesPerEU: 1
; NumVGPRsForWavesPerEU: 1
; Occupancy: 16
; WaveLimiterHint : 0
; COMPUTE_PGM_RSRC2:SCRATCH_EN: 0
; COMPUTE_PGM_RSRC2:USER_SGPR: 2
; COMPUTE_PGM_RSRC2:TRAP_HANDLER: 0
; COMPUTE_PGM_RSRC2:TGID_X_EN: 1
; COMPUTE_PGM_RSRC2:TGID_Y_EN: 0
; COMPUTE_PGM_RSRC2:TGID_Z_EN: 0
; COMPUTE_PGM_RSRC2:TIDIG_COMP_CNT: 0
	.section	.text._ZN7rocprim17ROCPRIM_400000_NS6detail17trampoline_kernelINS0_14default_configENS1_25partition_config_selectorILNS1_17partition_subalgoE6EdNS0_10empty_typeEbEEZZNS1_14partition_implILS5_6ELb0ES3_mN6thrust23THRUST_200600_302600_NS6detail15normal_iteratorINSA_10device_ptrIdEEEEPS6_SG_NS0_5tupleIJSF_S6_EEENSH_IJSG_SG_EEES6_PlJNSB_9not_fun_tI7is_evenIdEEEEEE10hipError_tPvRmT3_T4_T5_T6_T7_T9_mT8_P12ihipStream_tbDpT10_ENKUlT_T0_E_clISt17integral_constantIbLb0EES17_IbLb1EEEEDaS13_S14_EUlS13_E_NS1_11comp_targetILNS1_3genE5ELNS1_11target_archE942ELNS1_3gpuE9ELNS1_3repE0EEENS1_30default_config_static_selectorELNS0_4arch9wavefront6targetE0EEEvT1_,"axG",@progbits,_ZN7rocprim17ROCPRIM_400000_NS6detail17trampoline_kernelINS0_14default_configENS1_25partition_config_selectorILNS1_17partition_subalgoE6EdNS0_10empty_typeEbEEZZNS1_14partition_implILS5_6ELb0ES3_mN6thrust23THRUST_200600_302600_NS6detail15normal_iteratorINSA_10device_ptrIdEEEEPS6_SG_NS0_5tupleIJSF_S6_EEENSH_IJSG_SG_EEES6_PlJNSB_9not_fun_tI7is_evenIdEEEEEE10hipError_tPvRmT3_T4_T5_T6_T7_T9_mT8_P12ihipStream_tbDpT10_ENKUlT_T0_E_clISt17integral_constantIbLb0EES17_IbLb1EEEEDaS13_S14_EUlS13_E_NS1_11comp_targetILNS1_3genE5ELNS1_11target_archE942ELNS1_3gpuE9ELNS1_3repE0EEENS1_30default_config_static_selectorELNS0_4arch9wavefront6targetE0EEEvT1_,comdat
	.protected	_ZN7rocprim17ROCPRIM_400000_NS6detail17trampoline_kernelINS0_14default_configENS1_25partition_config_selectorILNS1_17partition_subalgoE6EdNS0_10empty_typeEbEEZZNS1_14partition_implILS5_6ELb0ES3_mN6thrust23THRUST_200600_302600_NS6detail15normal_iteratorINSA_10device_ptrIdEEEEPS6_SG_NS0_5tupleIJSF_S6_EEENSH_IJSG_SG_EEES6_PlJNSB_9not_fun_tI7is_evenIdEEEEEE10hipError_tPvRmT3_T4_T5_T6_T7_T9_mT8_P12ihipStream_tbDpT10_ENKUlT_T0_E_clISt17integral_constantIbLb0EES17_IbLb1EEEEDaS13_S14_EUlS13_E_NS1_11comp_targetILNS1_3genE5ELNS1_11target_archE942ELNS1_3gpuE9ELNS1_3repE0EEENS1_30default_config_static_selectorELNS0_4arch9wavefront6targetE0EEEvT1_ ; -- Begin function _ZN7rocprim17ROCPRIM_400000_NS6detail17trampoline_kernelINS0_14default_configENS1_25partition_config_selectorILNS1_17partition_subalgoE6EdNS0_10empty_typeEbEEZZNS1_14partition_implILS5_6ELb0ES3_mN6thrust23THRUST_200600_302600_NS6detail15normal_iteratorINSA_10device_ptrIdEEEEPS6_SG_NS0_5tupleIJSF_S6_EEENSH_IJSG_SG_EEES6_PlJNSB_9not_fun_tI7is_evenIdEEEEEE10hipError_tPvRmT3_T4_T5_T6_T7_T9_mT8_P12ihipStream_tbDpT10_ENKUlT_T0_E_clISt17integral_constantIbLb0EES17_IbLb1EEEEDaS13_S14_EUlS13_E_NS1_11comp_targetILNS1_3genE5ELNS1_11target_archE942ELNS1_3gpuE9ELNS1_3repE0EEENS1_30default_config_static_selectorELNS0_4arch9wavefront6targetE0EEEvT1_
	.globl	_ZN7rocprim17ROCPRIM_400000_NS6detail17trampoline_kernelINS0_14default_configENS1_25partition_config_selectorILNS1_17partition_subalgoE6EdNS0_10empty_typeEbEEZZNS1_14partition_implILS5_6ELb0ES3_mN6thrust23THRUST_200600_302600_NS6detail15normal_iteratorINSA_10device_ptrIdEEEEPS6_SG_NS0_5tupleIJSF_S6_EEENSH_IJSG_SG_EEES6_PlJNSB_9not_fun_tI7is_evenIdEEEEEE10hipError_tPvRmT3_T4_T5_T6_T7_T9_mT8_P12ihipStream_tbDpT10_ENKUlT_T0_E_clISt17integral_constantIbLb0EES17_IbLb1EEEEDaS13_S14_EUlS13_E_NS1_11comp_targetILNS1_3genE5ELNS1_11target_archE942ELNS1_3gpuE9ELNS1_3repE0EEENS1_30default_config_static_selectorELNS0_4arch9wavefront6targetE0EEEvT1_
	.p2align	8
	.type	_ZN7rocprim17ROCPRIM_400000_NS6detail17trampoline_kernelINS0_14default_configENS1_25partition_config_selectorILNS1_17partition_subalgoE6EdNS0_10empty_typeEbEEZZNS1_14partition_implILS5_6ELb0ES3_mN6thrust23THRUST_200600_302600_NS6detail15normal_iteratorINSA_10device_ptrIdEEEEPS6_SG_NS0_5tupleIJSF_S6_EEENSH_IJSG_SG_EEES6_PlJNSB_9not_fun_tI7is_evenIdEEEEEE10hipError_tPvRmT3_T4_T5_T6_T7_T9_mT8_P12ihipStream_tbDpT10_ENKUlT_T0_E_clISt17integral_constantIbLb0EES17_IbLb1EEEEDaS13_S14_EUlS13_E_NS1_11comp_targetILNS1_3genE5ELNS1_11target_archE942ELNS1_3gpuE9ELNS1_3repE0EEENS1_30default_config_static_selectorELNS0_4arch9wavefront6targetE0EEEvT1_,@function
_ZN7rocprim17ROCPRIM_400000_NS6detail17trampoline_kernelINS0_14default_configENS1_25partition_config_selectorILNS1_17partition_subalgoE6EdNS0_10empty_typeEbEEZZNS1_14partition_implILS5_6ELb0ES3_mN6thrust23THRUST_200600_302600_NS6detail15normal_iteratorINSA_10device_ptrIdEEEEPS6_SG_NS0_5tupleIJSF_S6_EEENSH_IJSG_SG_EEES6_PlJNSB_9not_fun_tI7is_evenIdEEEEEE10hipError_tPvRmT3_T4_T5_T6_T7_T9_mT8_P12ihipStream_tbDpT10_ENKUlT_T0_E_clISt17integral_constantIbLb0EES17_IbLb1EEEEDaS13_S14_EUlS13_E_NS1_11comp_targetILNS1_3genE5ELNS1_11target_archE942ELNS1_3gpuE9ELNS1_3repE0EEENS1_30default_config_static_selectorELNS0_4arch9wavefront6targetE0EEEvT1_: ; @_ZN7rocprim17ROCPRIM_400000_NS6detail17trampoline_kernelINS0_14default_configENS1_25partition_config_selectorILNS1_17partition_subalgoE6EdNS0_10empty_typeEbEEZZNS1_14partition_implILS5_6ELb0ES3_mN6thrust23THRUST_200600_302600_NS6detail15normal_iteratorINSA_10device_ptrIdEEEEPS6_SG_NS0_5tupleIJSF_S6_EEENSH_IJSG_SG_EEES6_PlJNSB_9not_fun_tI7is_evenIdEEEEEE10hipError_tPvRmT3_T4_T5_T6_T7_T9_mT8_P12ihipStream_tbDpT10_ENKUlT_T0_E_clISt17integral_constantIbLb0EES17_IbLb1EEEEDaS13_S14_EUlS13_E_NS1_11comp_targetILNS1_3genE5ELNS1_11target_archE942ELNS1_3gpuE9ELNS1_3repE0EEENS1_30default_config_static_selectorELNS0_4arch9wavefront6targetE0EEEvT1_
; %bb.0:
	.section	.rodata,"a",@progbits
	.p2align	6, 0x0
	.amdhsa_kernel _ZN7rocprim17ROCPRIM_400000_NS6detail17trampoline_kernelINS0_14default_configENS1_25partition_config_selectorILNS1_17partition_subalgoE6EdNS0_10empty_typeEbEEZZNS1_14partition_implILS5_6ELb0ES3_mN6thrust23THRUST_200600_302600_NS6detail15normal_iteratorINSA_10device_ptrIdEEEEPS6_SG_NS0_5tupleIJSF_S6_EEENSH_IJSG_SG_EEES6_PlJNSB_9not_fun_tI7is_evenIdEEEEEE10hipError_tPvRmT3_T4_T5_T6_T7_T9_mT8_P12ihipStream_tbDpT10_ENKUlT_T0_E_clISt17integral_constantIbLb0EES17_IbLb1EEEEDaS13_S14_EUlS13_E_NS1_11comp_targetILNS1_3genE5ELNS1_11target_archE942ELNS1_3gpuE9ELNS1_3repE0EEENS1_30default_config_static_selectorELNS0_4arch9wavefront6targetE0EEEvT1_
		.amdhsa_group_segment_fixed_size 0
		.amdhsa_private_segment_fixed_size 0
		.amdhsa_kernarg_size 128
		.amdhsa_user_sgpr_count 2
		.amdhsa_user_sgpr_dispatch_ptr 0
		.amdhsa_user_sgpr_queue_ptr 0
		.amdhsa_user_sgpr_kernarg_segment_ptr 1
		.amdhsa_user_sgpr_dispatch_id 0
		.amdhsa_user_sgpr_private_segment_size 0
		.amdhsa_wavefront_size32 1
		.amdhsa_uses_dynamic_stack 0
		.amdhsa_enable_private_segment 0
		.amdhsa_system_sgpr_workgroup_id_x 1
		.amdhsa_system_sgpr_workgroup_id_y 0
		.amdhsa_system_sgpr_workgroup_id_z 0
		.amdhsa_system_sgpr_workgroup_info 0
		.amdhsa_system_vgpr_workitem_id 0
		.amdhsa_next_free_vgpr 1
		.amdhsa_next_free_sgpr 1
		.amdhsa_reserve_vcc 0
		.amdhsa_float_round_mode_32 0
		.amdhsa_float_round_mode_16_64 0
		.amdhsa_float_denorm_mode_32 3
		.amdhsa_float_denorm_mode_16_64 3
		.amdhsa_fp16_overflow 0
		.amdhsa_workgroup_processor_mode 1
		.amdhsa_memory_ordered 1
		.amdhsa_forward_progress 1
		.amdhsa_inst_pref_size 0
		.amdhsa_round_robin_scheduling 0
		.amdhsa_exception_fp_ieee_invalid_op 0
		.amdhsa_exception_fp_denorm_src 0
		.amdhsa_exception_fp_ieee_div_zero 0
		.amdhsa_exception_fp_ieee_overflow 0
		.amdhsa_exception_fp_ieee_underflow 0
		.amdhsa_exception_fp_ieee_inexact 0
		.amdhsa_exception_int_div_zero 0
	.end_amdhsa_kernel
	.section	.text._ZN7rocprim17ROCPRIM_400000_NS6detail17trampoline_kernelINS0_14default_configENS1_25partition_config_selectorILNS1_17partition_subalgoE6EdNS0_10empty_typeEbEEZZNS1_14partition_implILS5_6ELb0ES3_mN6thrust23THRUST_200600_302600_NS6detail15normal_iteratorINSA_10device_ptrIdEEEEPS6_SG_NS0_5tupleIJSF_S6_EEENSH_IJSG_SG_EEES6_PlJNSB_9not_fun_tI7is_evenIdEEEEEE10hipError_tPvRmT3_T4_T5_T6_T7_T9_mT8_P12ihipStream_tbDpT10_ENKUlT_T0_E_clISt17integral_constantIbLb0EES17_IbLb1EEEEDaS13_S14_EUlS13_E_NS1_11comp_targetILNS1_3genE5ELNS1_11target_archE942ELNS1_3gpuE9ELNS1_3repE0EEENS1_30default_config_static_selectorELNS0_4arch9wavefront6targetE0EEEvT1_,"axG",@progbits,_ZN7rocprim17ROCPRIM_400000_NS6detail17trampoline_kernelINS0_14default_configENS1_25partition_config_selectorILNS1_17partition_subalgoE6EdNS0_10empty_typeEbEEZZNS1_14partition_implILS5_6ELb0ES3_mN6thrust23THRUST_200600_302600_NS6detail15normal_iteratorINSA_10device_ptrIdEEEEPS6_SG_NS0_5tupleIJSF_S6_EEENSH_IJSG_SG_EEES6_PlJNSB_9not_fun_tI7is_evenIdEEEEEE10hipError_tPvRmT3_T4_T5_T6_T7_T9_mT8_P12ihipStream_tbDpT10_ENKUlT_T0_E_clISt17integral_constantIbLb0EES17_IbLb1EEEEDaS13_S14_EUlS13_E_NS1_11comp_targetILNS1_3genE5ELNS1_11target_archE942ELNS1_3gpuE9ELNS1_3repE0EEENS1_30default_config_static_selectorELNS0_4arch9wavefront6targetE0EEEvT1_,comdat
.Lfunc_end558:
	.size	_ZN7rocprim17ROCPRIM_400000_NS6detail17trampoline_kernelINS0_14default_configENS1_25partition_config_selectorILNS1_17partition_subalgoE6EdNS0_10empty_typeEbEEZZNS1_14partition_implILS5_6ELb0ES3_mN6thrust23THRUST_200600_302600_NS6detail15normal_iteratorINSA_10device_ptrIdEEEEPS6_SG_NS0_5tupleIJSF_S6_EEENSH_IJSG_SG_EEES6_PlJNSB_9not_fun_tI7is_evenIdEEEEEE10hipError_tPvRmT3_T4_T5_T6_T7_T9_mT8_P12ihipStream_tbDpT10_ENKUlT_T0_E_clISt17integral_constantIbLb0EES17_IbLb1EEEEDaS13_S14_EUlS13_E_NS1_11comp_targetILNS1_3genE5ELNS1_11target_archE942ELNS1_3gpuE9ELNS1_3repE0EEENS1_30default_config_static_selectorELNS0_4arch9wavefront6targetE0EEEvT1_, .Lfunc_end558-_ZN7rocprim17ROCPRIM_400000_NS6detail17trampoline_kernelINS0_14default_configENS1_25partition_config_selectorILNS1_17partition_subalgoE6EdNS0_10empty_typeEbEEZZNS1_14partition_implILS5_6ELb0ES3_mN6thrust23THRUST_200600_302600_NS6detail15normal_iteratorINSA_10device_ptrIdEEEEPS6_SG_NS0_5tupleIJSF_S6_EEENSH_IJSG_SG_EEES6_PlJNSB_9not_fun_tI7is_evenIdEEEEEE10hipError_tPvRmT3_T4_T5_T6_T7_T9_mT8_P12ihipStream_tbDpT10_ENKUlT_T0_E_clISt17integral_constantIbLb0EES17_IbLb1EEEEDaS13_S14_EUlS13_E_NS1_11comp_targetILNS1_3genE5ELNS1_11target_archE942ELNS1_3gpuE9ELNS1_3repE0EEENS1_30default_config_static_selectorELNS0_4arch9wavefront6targetE0EEEvT1_
                                        ; -- End function
	.set _ZN7rocprim17ROCPRIM_400000_NS6detail17trampoline_kernelINS0_14default_configENS1_25partition_config_selectorILNS1_17partition_subalgoE6EdNS0_10empty_typeEbEEZZNS1_14partition_implILS5_6ELb0ES3_mN6thrust23THRUST_200600_302600_NS6detail15normal_iteratorINSA_10device_ptrIdEEEEPS6_SG_NS0_5tupleIJSF_S6_EEENSH_IJSG_SG_EEES6_PlJNSB_9not_fun_tI7is_evenIdEEEEEE10hipError_tPvRmT3_T4_T5_T6_T7_T9_mT8_P12ihipStream_tbDpT10_ENKUlT_T0_E_clISt17integral_constantIbLb0EES17_IbLb1EEEEDaS13_S14_EUlS13_E_NS1_11comp_targetILNS1_3genE5ELNS1_11target_archE942ELNS1_3gpuE9ELNS1_3repE0EEENS1_30default_config_static_selectorELNS0_4arch9wavefront6targetE0EEEvT1_.num_vgpr, 0
	.set _ZN7rocprim17ROCPRIM_400000_NS6detail17trampoline_kernelINS0_14default_configENS1_25partition_config_selectorILNS1_17partition_subalgoE6EdNS0_10empty_typeEbEEZZNS1_14partition_implILS5_6ELb0ES3_mN6thrust23THRUST_200600_302600_NS6detail15normal_iteratorINSA_10device_ptrIdEEEEPS6_SG_NS0_5tupleIJSF_S6_EEENSH_IJSG_SG_EEES6_PlJNSB_9not_fun_tI7is_evenIdEEEEEE10hipError_tPvRmT3_T4_T5_T6_T7_T9_mT8_P12ihipStream_tbDpT10_ENKUlT_T0_E_clISt17integral_constantIbLb0EES17_IbLb1EEEEDaS13_S14_EUlS13_E_NS1_11comp_targetILNS1_3genE5ELNS1_11target_archE942ELNS1_3gpuE9ELNS1_3repE0EEENS1_30default_config_static_selectorELNS0_4arch9wavefront6targetE0EEEvT1_.num_agpr, 0
	.set _ZN7rocprim17ROCPRIM_400000_NS6detail17trampoline_kernelINS0_14default_configENS1_25partition_config_selectorILNS1_17partition_subalgoE6EdNS0_10empty_typeEbEEZZNS1_14partition_implILS5_6ELb0ES3_mN6thrust23THRUST_200600_302600_NS6detail15normal_iteratorINSA_10device_ptrIdEEEEPS6_SG_NS0_5tupleIJSF_S6_EEENSH_IJSG_SG_EEES6_PlJNSB_9not_fun_tI7is_evenIdEEEEEE10hipError_tPvRmT3_T4_T5_T6_T7_T9_mT8_P12ihipStream_tbDpT10_ENKUlT_T0_E_clISt17integral_constantIbLb0EES17_IbLb1EEEEDaS13_S14_EUlS13_E_NS1_11comp_targetILNS1_3genE5ELNS1_11target_archE942ELNS1_3gpuE9ELNS1_3repE0EEENS1_30default_config_static_selectorELNS0_4arch9wavefront6targetE0EEEvT1_.numbered_sgpr, 0
	.set _ZN7rocprim17ROCPRIM_400000_NS6detail17trampoline_kernelINS0_14default_configENS1_25partition_config_selectorILNS1_17partition_subalgoE6EdNS0_10empty_typeEbEEZZNS1_14partition_implILS5_6ELb0ES3_mN6thrust23THRUST_200600_302600_NS6detail15normal_iteratorINSA_10device_ptrIdEEEEPS6_SG_NS0_5tupleIJSF_S6_EEENSH_IJSG_SG_EEES6_PlJNSB_9not_fun_tI7is_evenIdEEEEEE10hipError_tPvRmT3_T4_T5_T6_T7_T9_mT8_P12ihipStream_tbDpT10_ENKUlT_T0_E_clISt17integral_constantIbLb0EES17_IbLb1EEEEDaS13_S14_EUlS13_E_NS1_11comp_targetILNS1_3genE5ELNS1_11target_archE942ELNS1_3gpuE9ELNS1_3repE0EEENS1_30default_config_static_selectorELNS0_4arch9wavefront6targetE0EEEvT1_.num_named_barrier, 0
	.set _ZN7rocprim17ROCPRIM_400000_NS6detail17trampoline_kernelINS0_14default_configENS1_25partition_config_selectorILNS1_17partition_subalgoE6EdNS0_10empty_typeEbEEZZNS1_14partition_implILS5_6ELb0ES3_mN6thrust23THRUST_200600_302600_NS6detail15normal_iteratorINSA_10device_ptrIdEEEEPS6_SG_NS0_5tupleIJSF_S6_EEENSH_IJSG_SG_EEES6_PlJNSB_9not_fun_tI7is_evenIdEEEEEE10hipError_tPvRmT3_T4_T5_T6_T7_T9_mT8_P12ihipStream_tbDpT10_ENKUlT_T0_E_clISt17integral_constantIbLb0EES17_IbLb1EEEEDaS13_S14_EUlS13_E_NS1_11comp_targetILNS1_3genE5ELNS1_11target_archE942ELNS1_3gpuE9ELNS1_3repE0EEENS1_30default_config_static_selectorELNS0_4arch9wavefront6targetE0EEEvT1_.private_seg_size, 0
	.set _ZN7rocprim17ROCPRIM_400000_NS6detail17trampoline_kernelINS0_14default_configENS1_25partition_config_selectorILNS1_17partition_subalgoE6EdNS0_10empty_typeEbEEZZNS1_14partition_implILS5_6ELb0ES3_mN6thrust23THRUST_200600_302600_NS6detail15normal_iteratorINSA_10device_ptrIdEEEEPS6_SG_NS0_5tupleIJSF_S6_EEENSH_IJSG_SG_EEES6_PlJNSB_9not_fun_tI7is_evenIdEEEEEE10hipError_tPvRmT3_T4_T5_T6_T7_T9_mT8_P12ihipStream_tbDpT10_ENKUlT_T0_E_clISt17integral_constantIbLb0EES17_IbLb1EEEEDaS13_S14_EUlS13_E_NS1_11comp_targetILNS1_3genE5ELNS1_11target_archE942ELNS1_3gpuE9ELNS1_3repE0EEENS1_30default_config_static_selectorELNS0_4arch9wavefront6targetE0EEEvT1_.uses_vcc, 0
	.set _ZN7rocprim17ROCPRIM_400000_NS6detail17trampoline_kernelINS0_14default_configENS1_25partition_config_selectorILNS1_17partition_subalgoE6EdNS0_10empty_typeEbEEZZNS1_14partition_implILS5_6ELb0ES3_mN6thrust23THRUST_200600_302600_NS6detail15normal_iteratorINSA_10device_ptrIdEEEEPS6_SG_NS0_5tupleIJSF_S6_EEENSH_IJSG_SG_EEES6_PlJNSB_9not_fun_tI7is_evenIdEEEEEE10hipError_tPvRmT3_T4_T5_T6_T7_T9_mT8_P12ihipStream_tbDpT10_ENKUlT_T0_E_clISt17integral_constantIbLb0EES17_IbLb1EEEEDaS13_S14_EUlS13_E_NS1_11comp_targetILNS1_3genE5ELNS1_11target_archE942ELNS1_3gpuE9ELNS1_3repE0EEENS1_30default_config_static_selectorELNS0_4arch9wavefront6targetE0EEEvT1_.uses_flat_scratch, 0
	.set _ZN7rocprim17ROCPRIM_400000_NS6detail17trampoline_kernelINS0_14default_configENS1_25partition_config_selectorILNS1_17partition_subalgoE6EdNS0_10empty_typeEbEEZZNS1_14partition_implILS5_6ELb0ES3_mN6thrust23THRUST_200600_302600_NS6detail15normal_iteratorINSA_10device_ptrIdEEEEPS6_SG_NS0_5tupleIJSF_S6_EEENSH_IJSG_SG_EEES6_PlJNSB_9not_fun_tI7is_evenIdEEEEEE10hipError_tPvRmT3_T4_T5_T6_T7_T9_mT8_P12ihipStream_tbDpT10_ENKUlT_T0_E_clISt17integral_constantIbLb0EES17_IbLb1EEEEDaS13_S14_EUlS13_E_NS1_11comp_targetILNS1_3genE5ELNS1_11target_archE942ELNS1_3gpuE9ELNS1_3repE0EEENS1_30default_config_static_selectorELNS0_4arch9wavefront6targetE0EEEvT1_.has_dyn_sized_stack, 0
	.set _ZN7rocprim17ROCPRIM_400000_NS6detail17trampoline_kernelINS0_14default_configENS1_25partition_config_selectorILNS1_17partition_subalgoE6EdNS0_10empty_typeEbEEZZNS1_14partition_implILS5_6ELb0ES3_mN6thrust23THRUST_200600_302600_NS6detail15normal_iteratorINSA_10device_ptrIdEEEEPS6_SG_NS0_5tupleIJSF_S6_EEENSH_IJSG_SG_EEES6_PlJNSB_9not_fun_tI7is_evenIdEEEEEE10hipError_tPvRmT3_T4_T5_T6_T7_T9_mT8_P12ihipStream_tbDpT10_ENKUlT_T0_E_clISt17integral_constantIbLb0EES17_IbLb1EEEEDaS13_S14_EUlS13_E_NS1_11comp_targetILNS1_3genE5ELNS1_11target_archE942ELNS1_3gpuE9ELNS1_3repE0EEENS1_30default_config_static_selectorELNS0_4arch9wavefront6targetE0EEEvT1_.has_recursion, 0
	.set _ZN7rocprim17ROCPRIM_400000_NS6detail17trampoline_kernelINS0_14default_configENS1_25partition_config_selectorILNS1_17partition_subalgoE6EdNS0_10empty_typeEbEEZZNS1_14partition_implILS5_6ELb0ES3_mN6thrust23THRUST_200600_302600_NS6detail15normal_iteratorINSA_10device_ptrIdEEEEPS6_SG_NS0_5tupleIJSF_S6_EEENSH_IJSG_SG_EEES6_PlJNSB_9not_fun_tI7is_evenIdEEEEEE10hipError_tPvRmT3_T4_T5_T6_T7_T9_mT8_P12ihipStream_tbDpT10_ENKUlT_T0_E_clISt17integral_constantIbLb0EES17_IbLb1EEEEDaS13_S14_EUlS13_E_NS1_11comp_targetILNS1_3genE5ELNS1_11target_archE942ELNS1_3gpuE9ELNS1_3repE0EEENS1_30default_config_static_selectorELNS0_4arch9wavefront6targetE0EEEvT1_.has_indirect_call, 0
	.section	.AMDGPU.csdata,"",@progbits
; Kernel info:
; codeLenInByte = 0
; TotalNumSgprs: 0
; NumVgprs: 0
; ScratchSize: 0
; MemoryBound: 0
; FloatMode: 240
; IeeeMode: 1
; LDSByteSize: 0 bytes/workgroup (compile time only)
; SGPRBlocks: 0
; VGPRBlocks: 0
; NumSGPRsForWavesPerEU: 1
; NumVGPRsForWavesPerEU: 1
; Occupancy: 16
; WaveLimiterHint : 0
; COMPUTE_PGM_RSRC2:SCRATCH_EN: 0
; COMPUTE_PGM_RSRC2:USER_SGPR: 2
; COMPUTE_PGM_RSRC2:TRAP_HANDLER: 0
; COMPUTE_PGM_RSRC2:TGID_X_EN: 1
; COMPUTE_PGM_RSRC2:TGID_Y_EN: 0
; COMPUTE_PGM_RSRC2:TGID_Z_EN: 0
; COMPUTE_PGM_RSRC2:TIDIG_COMP_CNT: 0
	.section	.text._ZN7rocprim17ROCPRIM_400000_NS6detail17trampoline_kernelINS0_14default_configENS1_25partition_config_selectorILNS1_17partition_subalgoE6EdNS0_10empty_typeEbEEZZNS1_14partition_implILS5_6ELb0ES3_mN6thrust23THRUST_200600_302600_NS6detail15normal_iteratorINSA_10device_ptrIdEEEEPS6_SG_NS0_5tupleIJSF_S6_EEENSH_IJSG_SG_EEES6_PlJNSB_9not_fun_tI7is_evenIdEEEEEE10hipError_tPvRmT3_T4_T5_T6_T7_T9_mT8_P12ihipStream_tbDpT10_ENKUlT_T0_E_clISt17integral_constantIbLb0EES17_IbLb1EEEEDaS13_S14_EUlS13_E_NS1_11comp_targetILNS1_3genE4ELNS1_11target_archE910ELNS1_3gpuE8ELNS1_3repE0EEENS1_30default_config_static_selectorELNS0_4arch9wavefront6targetE0EEEvT1_,"axG",@progbits,_ZN7rocprim17ROCPRIM_400000_NS6detail17trampoline_kernelINS0_14default_configENS1_25partition_config_selectorILNS1_17partition_subalgoE6EdNS0_10empty_typeEbEEZZNS1_14partition_implILS5_6ELb0ES3_mN6thrust23THRUST_200600_302600_NS6detail15normal_iteratorINSA_10device_ptrIdEEEEPS6_SG_NS0_5tupleIJSF_S6_EEENSH_IJSG_SG_EEES6_PlJNSB_9not_fun_tI7is_evenIdEEEEEE10hipError_tPvRmT3_T4_T5_T6_T7_T9_mT8_P12ihipStream_tbDpT10_ENKUlT_T0_E_clISt17integral_constantIbLb0EES17_IbLb1EEEEDaS13_S14_EUlS13_E_NS1_11comp_targetILNS1_3genE4ELNS1_11target_archE910ELNS1_3gpuE8ELNS1_3repE0EEENS1_30default_config_static_selectorELNS0_4arch9wavefront6targetE0EEEvT1_,comdat
	.protected	_ZN7rocprim17ROCPRIM_400000_NS6detail17trampoline_kernelINS0_14default_configENS1_25partition_config_selectorILNS1_17partition_subalgoE6EdNS0_10empty_typeEbEEZZNS1_14partition_implILS5_6ELb0ES3_mN6thrust23THRUST_200600_302600_NS6detail15normal_iteratorINSA_10device_ptrIdEEEEPS6_SG_NS0_5tupleIJSF_S6_EEENSH_IJSG_SG_EEES6_PlJNSB_9not_fun_tI7is_evenIdEEEEEE10hipError_tPvRmT3_T4_T5_T6_T7_T9_mT8_P12ihipStream_tbDpT10_ENKUlT_T0_E_clISt17integral_constantIbLb0EES17_IbLb1EEEEDaS13_S14_EUlS13_E_NS1_11comp_targetILNS1_3genE4ELNS1_11target_archE910ELNS1_3gpuE8ELNS1_3repE0EEENS1_30default_config_static_selectorELNS0_4arch9wavefront6targetE0EEEvT1_ ; -- Begin function _ZN7rocprim17ROCPRIM_400000_NS6detail17trampoline_kernelINS0_14default_configENS1_25partition_config_selectorILNS1_17partition_subalgoE6EdNS0_10empty_typeEbEEZZNS1_14partition_implILS5_6ELb0ES3_mN6thrust23THRUST_200600_302600_NS6detail15normal_iteratorINSA_10device_ptrIdEEEEPS6_SG_NS0_5tupleIJSF_S6_EEENSH_IJSG_SG_EEES6_PlJNSB_9not_fun_tI7is_evenIdEEEEEE10hipError_tPvRmT3_T4_T5_T6_T7_T9_mT8_P12ihipStream_tbDpT10_ENKUlT_T0_E_clISt17integral_constantIbLb0EES17_IbLb1EEEEDaS13_S14_EUlS13_E_NS1_11comp_targetILNS1_3genE4ELNS1_11target_archE910ELNS1_3gpuE8ELNS1_3repE0EEENS1_30default_config_static_selectorELNS0_4arch9wavefront6targetE0EEEvT1_
	.globl	_ZN7rocprim17ROCPRIM_400000_NS6detail17trampoline_kernelINS0_14default_configENS1_25partition_config_selectorILNS1_17partition_subalgoE6EdNS0_10empty_typeEbEEZZNS1_14partition_implILS5_6ELb0ES3_mN6thrust23THRUST_200600_302600_NS6detail15normal_iteratorINSA_10device_ptrIdEEEEPS6_SG_NS0_5tupleIJSF_S6_EEENSH_IJSG_SG_EEES6_PlJNSB_9not_fun_tI7is_evenIdEEEEEE10hipError_tPvRmT3_T4_T5_T6_T7_T9_mT8_P12ihipStream_tbDpT10_ENKUlT_T0_E_clISt17integral_constantIbLb0EES17_IbLb1EEEEDaS13_S14_EUlS13_E_NS1_11comp_targetILNS1_3genE4ELNS1_11target_archE910ELNS1_3gpuE8ELNS1_3repE0EEENS1_30default_config_static_selectorELNS0_4arch9wavefront6targetE0EEEvT1_
	.p2align	8
	.type	_ZN7rocprim17ROCPRIM_400000_NS6detail17trampoline_kernelINS0_14default_configENS1_25partition_config_selectorILNS1_17partition_subalgoE6EdNS0_10empty_typeEbEEZZNS1_14partition_implILS5_6ELb0ES3_mN6thrust23THRUST_200600_302600_NS6detail15normal_iteratorINSA_10device_ptrIdEEEEPS6_SG_NS0_5tupleIJSF_S6_EEENSH_IJSG_SG_EEES6_PlJNSB_9not_fun_tI7is_evenIdEEEEEE10hipError_tPvRmT3_T4_T5_T6_T7_T9_mT8_P12ihipStream_tbDpT10_ENKUlT_T0_E_clISt17integral_constantIbLb0EES17_IbLb1EEEEDaS13_S14_EUlS13_E_NS1_11comp_targetILNS1_3genE4ELNS1_11target_archE910ELNS1_3gpuE8ELNS1_3repE0EEENS1_30default_config_static_selectorELNS0_4arch9wavefront6targetE0EEEvT1_,@function
_ZN7rocprim17ROCPRIM_400000_NS6detail17trampoline_kernelINS0_14default_configENS1_25partition_config_selectorILNS1_17partition_subalgoE6EdNS0_10empty_typeEbEEZZNS1_14partition_implILS5_6ELb0ES3_mN6thrust23THRUST_200600_302600_NS6detail15normal_iteratorINSA_10device_ptrIdEEEEPS6_SG_NS0_5tupleIJSF_S6_EEENSH_IJSG_SG_EEES6_PlJNSB_9not_fun_tI7is_evenIdEEEEEE10hipError_tPvRmT3_T4_T5_T6_T7_T9_mT8_P12ihipStream_tbDpT10_ENKUlT_T0_E_clISt17integral_constantIbLb0EES17_IbLb1EEEEDaS13_S14_EUlS13_E_NS1_11comp_targetILNS1_3genE4ELNS1_11target_archE910ELNS1_3gpuE8ELNS1_3repE0EEENS1_30default_config_static_selectorELNS0_4arch9wavefront6targetE0EEEvT1_: ; @_ZN7rocprim17ROCPRIM_400000_NS6detail17trampoline_kernelINS0_14default_configENS1_25partition_config_selectorILNS1_17partition_subalgoE6EdNS0_10empty_typeEbEEZZNS1_14partition_implILS5_6ELb0ES3_mN6thrust23THRUST_200600_302600_NS6detail15normal_iteratorINSA_10device_ptrIdEEEEPS6_SG_NS0_5tupleIJSF_S6_EEENSH_IJSG_SG_EEES6_PlJNSB_9not_fun_tI7is_evenIdEEEEEE10hipError_tPvRmT3_T4_T5_T6_T7_T9_mT8_P12ihipStream_tbDpT10_ENKUlT_T0_E_clISt17integral_constantIbLb0EES17_IbLb1EEEEDaS13_S14_EUlS13_E_NS1_11comp_targetILNS1_3genE4ELNS1_11target_archE910ELNS1_3gpuE8ELNS1_3repE0EEENS1_30default_config_static_selectorELNS0_4arch9wavefront6targetE0EEEvT1_
; %bb.0:
	.section	.rodata,"a",@progbits
	.p2align	6, 0x0
	.amdhsa_kernel _ZN7rocprim17ROCPRIM_400000_NS6detail17trampoline_kernelINS0_14default_configENS1_25partition_config_selectorILNS1_17partition_subalgoE6EdNS0_10empty_typeEbEEZZNS1_14partition_implILS5_6ELb0ES3_mN6thrust23THRUST_200600_302600_NS6detail15normal_iteratorINSA_10device_ptrIdEEEEPS6_SG_NS0_5tupleIJSF_S6_EEENSH_IJSG_SG_EEES6_PlJNSB_9not_fun_tI7is_evenIdEEEEEE10hipError_tPvRmT3_T4_T5_T6_T7_T9_mT8_P12ihipStream_tbDpT10_ENKUlT_T0_E_clISt17integral_constantIbLb0EES17_IbLb1EEEEDaS13_S14_EUlS13_E_NS1_11comp_targetILNS1_3genE4ELNS1_11target_archE910ELNS1_3gpuE8ELNS1_3repE0EEENS1_30default_config_static_selectorELNS0_4arch9wavefront6targetE0EEEvT1_
		.amdhsa_group_segment_fixed_size 0
		.amdhsa_private_segment_fixed_size 0
		.amdhsa_kernarg_size 128
		.amdhsa_user_sgpr_count 2
		.amdhsa_user_sgpr_dispatch_ptr 0
		.amdhsa_user_sgpr_queue_ptr 0
		.amdhsa_user_sgpr_kernarg_segment_ptr 1
		.amdhsa_user_sgpr_dispatch_id 0
		.amdhsa_user_sgpr_private_segment_size 0
		.amdhsa_wavefront_size32 1
		.amdhsa_uses_dynamic_stack 0
		.amdhsa_enable_private_segment 0
		.amdhsa_system_sgpr_workgroup_id_x 1
		.amdhsa_system_sgpr_workgroup_id_y 0
		.amdhsa_system_sgpr_workgroup_id_z 0
		.amdhsa_system_sgpr_workgroup_info 0
		.amdhsa_system_vgpr_workitem_id 0
		.amdhsa_next_free_vgpr 1
		.amdhsa_next_free_sgpr 1
		.amdhsa_reserve_vcc 0
		.amdhsa_float_round_mode_32 0
		.amdhsa_float_round_mode_16_64 0
		.amdhsa_float_denorm_mode_32 3
		.amdhsa_float_denorm_mode_16_64 3
		.amdhsa_fp16_overflow 0
		.amdhsa_workgroup_processor_mode 1
		.amdhsa_memory_ordered 1
		.amdhsa_forward_progress 1
		.amdhsa_inst_pref_size 0
		.amdhsa_round_robin_scheduling 0
		.amdhsa_exception_fp_ieee_invalid_op 0
		.amdhsa_exception_fp_denorm_src 0
		.amdhsa_exception_fp_ieee_div_zero 0
		.amdhsa_exception_fp_ieee_overflow 0
		.amdhsa_exception_fp_ieee_underflow 0
		.amdhsa_exception_fp_ieee_inexact 0
		.amdhsa_exception_int_div_zero 0
	.end_amdhsa_kernel
	.section	.text._ZN7rocprim17ROCPRIM_400000_NS6detail17trampoline_kernelINS0_14default_configENS1_25partition_config_selectorILNS1_17partition_subalgoE6EdNS0_10empty_typeEbEEZZNS1_14partition_implILS5_6ELb0ES3_mN6thrust23THRUST_200600_302600_NS6detail15normal_iteratorINSA_10device_ptrIdEEEEPS6_SG_NS0_5tupleIJSF_S6_EEENSH_IJSG_SG_EEES6_PlJNSB_9not_fun_tI7is_evenIdEEEEEE10hipError_tPvRmT3_T4_T5_T6_T7_T9_mT8_P12ihipStream_tbDpT10_ENKUlT_T0_E_clISt17integral_constantIbLb0EES17_IbLb1EEEEDaS13_S14_EUlS13_E_NS1_11comp_targetILNS1_3genE4ELNS1_11target_archE910ELNS1_3gpuE8ELNS1_3repE0EEENS1_30default_config_static_selectorELNS0_4arch9wavefront6targetE0EEEvT1_,"axG",@progbits,_ZN7rocprim17ROCPRIM_400000_NS6detail17trampoline_kernelINS0_14default_configENS1_25partition_config_selectorILNS1_17partition_subalgoE6EdNS0_10empty_typeEbEEZZNS1_14partition_implILS5_6ELb0ES3_mN6thrust23THRUST_200600_302600_NS6detail15normal_iteratorINSA_10device_ptrIdEEEEPS6_SG_NS0_5tupleIJSF_S6_EEENSH_IJSG_SG_EEES6_PlJNSB_9not_fun_tI7is_evenIdEEEEEE10hipError_tPvRmT3_T4_T5_T6_T7_T9_mT8_P12ihipStream_tbDpT10_ENKUlT_T0_E_clISt17integral_constantIbLb0EES17_IbLb1EEEEDaS13_S14_EUlS13_E_NS1_11comp_targetILNS1_3genE4ELNS1_11target_archE910ELNS1_3gpuE8ELNS1_3repE0EEENS1_30default_config_static_selectorELNS0_4arch9wavefront6targetE0EEEvT1_,comdat
.Lfunc_end559:
	.size	_ZN7rocprim17ROCPRIM_400000_NS6detail17trampoline_kernelINS0_14default_configENS1_25partition_config_selectorILNS1_17partition_subalgoE6EdNS0_10empty_typeEbEEZZNS1_14partition_implILS5_6ELb0ES3_mN6thrust23THRUST_200600_302600_NS6detail15normal_iteratorINSA_10device_ptrIdEEEEPS6_SG_NS0_5tupleIJSF_S6_EEENSH_IJSG_SG_EEES6_PlJNSB_9not_fun_tI7is_evenIdEEEEEE10hipError_tPvRmT3_T4_T5_T6_T7_T9_mT8_P12ihipStream_tbDpT10_ENKUlT_T0_E_clISt17integral_constantIbLb0EES17_IbLb1EEEEDaS13_S14_EUlS13_E_NS1_11comp_targetILNS1_3genE4ELNS1_11target_archE910ELNS1_3gpuE8ELNS1_3repE0EEENS1_30default_config_static_selectorELNS0_4arch9wavefront6targetE0EEEvT1_, .Lfunc_end559-_ZN7rocprim17ROCPRIM_400000_NS6detail17trampoline_kernelINS0_14default_configENS1_25partition_config_selectorILNS1_17partition_subalgoE6EdNS0_10empty_typeEbEEZZNS1_14partition_implILS5_6ELb0ES3_mN6thrust23THRUST_200600_302600_NS6detail15normal_iteratorINSA_10device_ptrIdEEEEPS6_SG_NS0_5tupleIJSF_S6_EEENSH_IJSG_SG_EEES6_PlJNSB_9not_fun_tI7is_evenIdEEEEEE10hipError_tPvRmT3_T4_T5_T6_T7_T9_mT8_P12ihipStream_tbDpT10_ENKUlT_T0_E_clISt17integral_constantIbLb0EES17_IbLb1EEEEDaS13_S14_EUlS13_E_NS1_11comp_targetILNS1_3genE4ELNS1_11target_archE910ELNS1_3gpuE8ELNS1_3repE0EEENS1_30default_config_static_selectorELNS0_4arch9wavefront6targetE0EEEvT1_
                                        ; -- End function
	.set _ZN7rocprim17ROCPRIM_400000_NS6detail17trampoline_kernelINS0_14default_configENS1_25partition_config_selectorILNS1_17partition_subalgoE6EdNS0_10empty_typeEbEEZZNS1_14partition_implILS5_6ELb0ES3_mN6thrust23THRUST_200600_302600_NS6detail15normal_iteratorINSA_10device_ptrIdEEEEPS6_SG_NS0_5tupleIJSF_S6_EEENSH_IJSG_SG_EEES6_PlJNSB_9not_fun_tI7is_evenIdEEEEEE10hipError_tPvRmT3_T4_T5_T6_T7_T9_mT8_P12ihipStream_tbDpT10_ENKUlT_T0_E_clISt17integral_constantIbLb0EES17_IbLb1EEEEDaS13_S14_EUlS13_E_NS1_11comp_targetILNS1_3genE4ELNS1_11target_archE910ELNS1_3gpuE8ELNS1_3repE0EEENS1_30default_config_static_selectorELNS0_4arch9wavefront6targetE0EEEvT1_.num_vgpr, 0
	.set _ZN7rocprim17ROCPRIM_400000_NS6detail17trampoline_kernelINS0_14default_configENS1_25partition_config_selectorILNS1_17partition_subalgoE6EdNS0_10empty_typeEbEEZZNS1_14partition_implILS5_6ELb0ES3_mN6thrust23THRUST_200600_302600_NS6detail15normal_iteratorINSA_10device_ptrIdEEEEPS6_SG_NS0_5tupleIJSF_S6_EEENSH_IJSG_SG_EEES6_PlJNSB_9not_fun_tI7is_evenIdEEEEEE10hipError_tPvRmT3_T4_T5_T6_T7_T9_mT8_P12ihipStream_tbDpT10_ENKUlT_T0_E_clISt17integral_constantIbLb0EES17_IbLb1EEEEDaS13_S14_EUlS13_E_NS1_11comp_targetILNS1_3genE4ELNS1_11target_archE910ELNS1_3gpuE8ELNS1_3repE0EEENS1_30default_config_static_selectorELNS0_4arch9wavefront6targetE0EEEvT1_.num_agpr, 0
	.set _ZN7rocprim17ROCPRIM_400000_NS6detail17trampoline_kernelINS0_14default_configENS1_25partition_config_selectorILNS1_17partition_subalgoE6EdNS0_10empty_typeEbEEZZNS1_14partition_implILS5_6ELb0ES3_mN6thrust23THRUST_200600_302600_NS6detail15normal_iteratorINSA_10device_ptrIdEEEEPS6_SG_NS0_5tupleIJSF_S6_EEENSH_IJSG_SG_EEES6_PlJNSB_9not_fun_tI7is_evenIdEEEEEE10hipError_tPvRmT3_T4_T5_T6_T7_T9_mT8_P12ihipStream_tbDpT10_ENKUlT_T0_E_clISt17integral_constantIbLb0EES17_IbLb1EEEEDaS13_S14_EUlS13_E_NS1_11comp_targetILNS1_3genE4ELNS1_11target_archE910ELNS1_3gpuE8ELNS1_3repE0EEENS1_30default_config_static_selectorELNS0_4arch9wavefront6targetE0EEEvT1_.numbered_sgpr, 0
	.set _ZN7rocprim17ROCPRIM_400000_NS6detail17trampoline_kernelINS0_14default_configENS1_25partition_config_selectorILNS1_17partition_subalgoE6EdNS0_10empty_typeEbEEZZNS1_14partition_implILS5_6ELb0ES3_mN6thrust23THRUST_200600_302600_NS6detail15normal_iteratorINSA_10device_ptrIdEEEEPS6_SG_NS0_5tupleIJSF_S6_EEENSH_IJSG_SG_EEES6_PlJNSB_9not_fun_tI7is_evenIdEEEEEE10hipError_tPvRmT3_T4_T5_T6_T7_T9_mT8_P12ihipStream_tbDpT10_ENKUlT_T0_E_clISt17integral_constantIbLb0EES17_IbLb1EEEEDaS13_S14_EUlS13_E_NS1_11comp_targetILNS1_3genE4ELNS1_11target_archE910ELNS1_3gpuE8ELNS1_3repE0EEENS1_30default_config_static_selectorELNS0_4arch9wavefront6targetE0EEEvT1_.num_named_barrier, 0
	.set _ZN7rocprim17ROCPRIM_400000_NS6detail17trampoline_kernelINS0_14default_configENS1_25partition_config_selectorILNS1_17partition_subalgoE6EdNS0_10empty_typeEbEEZZNS1_14partition_implILS5_6ELb0ES3_mN6thrust23THRUST_200600_302600_NS6detail15normal_iteratorINSA_10device_ptrIdEEEEPS6_SG_NS0_5tupleIJSF_S6_EEENSH_IJSG_SG_EEES6_PlJNSB_9not_fun_tI7is_evenIdEEEEEE10hipError_tPvRmT3_T4_T5_T6_T7_T9_mT8_P12ihipStream_tbDpT10_ENKUlT_T0_E_clISt17integral_constantIbLb0EES17_IbLb1EEEEDaS13_S14_EUlS13_E_NS1_11comp_targetILNS1_3genE4ELNS1_11target_archE910ELNS1_3gpuE8ELNS1_3repE0EEENS1_30default_config_static_selectorELNS0_4arch9wavefront6targetE0EEEvT1_.private_seg_size, 0
	.set _ZN7rocprim17ROCPRIM_400000_NS6detail17trampoline_kernelINS0_14default_configENS1_25partition_config_selectorILNS1_17partition_subalgoE6EdNS0_10empty_typeEbEEZZNS1_14partition_implILS5_6ELb0ES3_mN6thrust23THRUST_200600_302600_NS6detail15normal_iteratorINSA_10device_ptrIdEEEEPS6_SG_NS0_5tupleIJSF_S6_EEENSH_IJSG_SG_EEES6_PlJNSB_9not_fun_tI7is_evenIdEEEEEE10hipError_tPvRmT3_T4_T5_T6_T7_T9_mT8_P12ihipStream_tbDpT10_ENKUlT_T0_E_clISt17integral_constantIbLb0EES17_IbLb1EEEEDaS13_S14_EUlS13_E_NS1_11comp_targetILNS1_3genE4ELNS1_11target_archE910ELNS1_3gpuE8ELNS1_3repE0EEENS1_30default_config_static_selectorELNS0_4arch9wavefront6targetE0EEEvT1_.uses_vcc, 0
	.set _ZN7rocprim17ROCPRIM_400000_NS6detail17trampoline_kernelINS0_14default_configENS1_25partition_config_selectorILNS1_17partition_subalgoE6EdNS0_10empty_typeEbEEZZNS1_14partition_implILS5_6ELb0ES3_mN6thrust23THRUST_200600_302600_NS6detail15normal_iteratorINSA_10device_ptrIdEEEEPS6_SG_NS0_5tupleIJSF_S6_EEENSH_IJSG_SG_EEES6_PlJNSB_9not_fun_tI7is_evenIdEEEEEE10hipError_tPvRmT3_T4_T5_T6_T7_T9_mT8_P12ihipStream_tbDpT10_ENKUlT_T0_E_clISt17integral_constantIbLb0EES17_IbLb1EEEEDaS13_S14_EUlS13_E_NS1_11comp_targetILNS1_3genE4ELNS1_11target_archE910ELNS1_3gpuE8ELNS1_3repE0EEENS1_30default_config_static_selectorELNS0_4arch9wavefront6targetE0EEEvT1_.uses_flat_scratch, 0
	.set _ZN7rocprim17ROCPRIM_400000_NS6detail17trampoline_kernelINS0_14default_configENS1_25partition_config_selectorILNS1_17partition_subalgoE6EdNS0_10empty_typeEbEEZZNS1_14partition_implILS5_6ELb0ES3_mN6thrust23THRUST_200600_302600_NS6detail15normal_iteratorINSA_10device_ptrIdEEEEPS6_SG_NS0_5tupleIJSF_S6_EEENSH_IJSG_SG_EEES6_PlJNSB_9not_fun_tI7is_evenIdEEEEEE10hipError_tPvRmT3_T4_T5_T6_T7_T9_mT8_P12ihipStream_tbDpT10_ENKUlT_T0_E_clISt17integral_constantIbLb0EES17_IbLb1EEEEDaS13_S14_EUlS13_E_NS1_11comp_targetILNS1_3genE4ELNS1_11target_archE910ELNS1_3gpuE8ELNS1_3repE0EEENS1_30default_config_static_selectorELNS0_4arch9wavefront6targetE0EEEvT1_.has_dyn_sized_stack, 0
	.set _ZN7rocprim17ROCPRIM_400000_NS6detail17trampoline_kernelINS0_14default_configENS1_25partition_config_selectorILNS1_17partition_subalgoE6EdNS0_10empty_typeEbEEZZNS1_14partition_implILS5_6ELb0ES3_mN6thrust23THRUST_200600_302600_NS6detail15normal_iteratorINSA_10device_ptrIdEEEEPS6_SG_NS0_5tupleIJSF_S6_EEENSH_IJSG_SG_EEES6_PlJNSB_9not_fun_tI7is_evenIdEEEEEE10hipError_tPvRmT3_T4_T5_T6_T7_T9_mT8_P12ihipStream_tbDpT10_ENKUlT_T0_E_clISt17integral_constantIbLb0EES17_IbLb1EEEEDaS13_S14_EUlS13_E_NS1_11comp_targetILNS1_3genE4ELNS1_11target_archE910ELNS1_3gpuE8ELNS1_3repE0EEENS1_30default_config_static_selectorELNS0_4arch9wavefront6targetE0EEEvT1_.has_recursion, 0
	.set _ZN7rocprim17ROCPRIM_400000_NS6detail17trampoline_kernelINS0_14default_configENS1_25partition_config_selectorILNS1_17partition_subalgoE6EdNS0_10empty_typeEbEEZZNS1_14partition_implILS5_6ELb0ES3_mN6thrust23THRUST_200600_302600_NS6detail15normal_iteratorINSA_10device_ptrIdEEEEPS6_SG_NS0_5tupleIJSF_S6_EEENSH_IJSG_SG_EEES6_PlJNSB_9not_fun_tI7is_evenIdEEEEEE10hipError_tPvRmT3_T4_T5_T6_T7_T9_mT8_P12ihipStream_tbDpT10_ENKUlT_T0_E_clISt17integral_constantIbLb0EES17_IbLb1EEEEDaS13_S14_EUlS13_E_NS1_11comp_targetILNS1_3genE4ELNS1_11target_archE910ELNS1_3gpuE8ELNS1_3repE0EEENS1_30default_config_static_selectorELNS0_4arch9wavefront6targetE0EEEvT1_.has_indirect_call, 0
	.section	.AMDGPU.csdata,"",@progbits
; Kernel info:
; codeLenInByte = 0
; TotalNumSgprs: 0
; NumVgprs: 0
; ScratchSize: 0
; MemoryBound: 0
; FloatMode: 240
; IeeeMode: 1
; LDSByteSize: 0 bytes/workgroup (compile time only)
; SGPRBlocks: 0
; VGPRBlocks: 0
; NumSGPRsForWavesPerEU: 1
; NumVGPRsForWavesPerEU: 1
; Occupancy: 16
; WaveLimiterHint : 0
; COMPUTE_PGM_RSRC2:SCRATCH_EN: 0
; COMPUTE_PGM_RSRC2:USER_SGPR: 2
; COMPUTE_PGM_RSRC2:TRAP_HANDLER: 0
; COMPUTE_PGM_RSRC2:TGID_X_EN: 1
; COMPUTE_PGM_RSRC2:TGID_Y_EN: 0
; COMPUTE_PGM_RSRC2:TGID_Z_EN: 0
; COMPUTE_PGM_RSRC2:TIDIG_COMP_CNT: 0
	.section	.text._ZN7rocprim17ROCPRIM_400000_NS6detail17trampoline_kernelINS0_14default_configENS1_25partition_config_selectorILNS1_17partition_subalgoE6EdNS0_10empty_typeEbEEZZNS1_14partition_implILS5_6ELb0ES3_mN6thrust23THRUST_200600_302600_NS6detail15normal_iteratorINSA_10device_ptrIdEEEEPS6_SG_NS0_5tupleIJSF_S6_EEENSH_IJSG_SG_EEES6_PlJNSB_9not_fun_tI7is_evenIdEEEEEE10hipError_tPvRmT3_T4_T5_T6_T7_T9_mT8_P12ihipStream_tbDpT10_ENKUlT_T0_E_clISt17integral_constantIbLb0EES17_IbLb1EEEEDaS13_S14_EUlS13_E_NS1_11comp_targetILNS1_3genE3ELNS1_11target_archE908ELNS1_3gpuE7ELNS1_3repE0EEENS1_30default_config_static_selectorELNS0_4arch9wavefront6targetE0EEEvT1_,"axG",@progbits,_ZN7rocprim17ROCPRIM_400000_NS6detail17trampoline_kernelINS0_14default_configENS1_25partition_config_selectorILNS1_17partition_subalgoE6EdNS0_10empty_typeEbEEZZNS1_14partition_implILS5_6ELb0ES3_mN6thrust23THRUST_200600_302600_NS6detail15normal_iteratorINSA_10device_ptrIdEEEEPS6_SG_NS0_5tupleIJSF_S6_EEENSH_IJSG_SG_EEES6_PlJNSB_9not_fun_tI7is_evenIdEEEEEE10hipError_tPvRmT3_T4_T5_T6_T7_T9_mT8_P12ihipStream_tbDpT10_ENKUlT_T0_E_clISt17integral_constantIbLb0EES17_IbLb1EEEEDaS13_S14_EUlS13_E_NS1_11comp_targetILNS1_3genE3ELNS1_11target_archE908ELNS1_3gpuE7ELNS1_3repE0EEENS1_30default_config_static_selectorELNS0_4arch9wavefront6targetE0EEEvT1_,comdat
	.protected	_ZN7rocprim17ROCPRIM_400000_NS6detail17trampoline_kernelINS0_14default_configENS1_25partition_config_selectorILNS1_17partition_subalgoE6EdNS0_10empty_typeEbEEZZNS1_14partition_implILS5_6ELb0ES3_mN6thrust23THRUST_200600_302600_NS6detail15normal_iteratorINSA_10device_ptrIdEEEEPS6_SG_NS0_5tupleIJSF_S6_EEENSH_IJSG_SG_EEES6_PlJNSB_9not_fun_tI7is_evenIdEEEEEE10hipError_tPvRmT3_T4_T5_T6_T7_T9_mT8_P12ihipStream_tbDpT10_ENKUlT_T0_E_clISt17integral_constantIbLb0EES17_IbLb1EEEEDaS13_S14_EUlS13_E_NS1_11comp_targetILNS1_3genE3ELNS1_11target_archE908ELNS1_3gpuE7ELNS1_3repE0EEENS1_30default_config_static_selectorELNS0_4arch9wavefront6targetE0EEEvT1_ ; -- Begin function _ZN7rocprim17ROCPRIM_400000_NS6detail17trampoline_kernelINS0_14default_configENS1_25partition_config_selectorILNS1_17partition_subalgoE6EdNS0_10empty_typeEbEEZZNS1_14partition_implILS5_6ELb0ES3_mN6thrust23THRUST_200600_302600_NS6detail15normal_iteratorINSA_10device_ptrIdEEEEPS6_SG_NS0_5tupleIJSF_S6_EEENSH_IJSG_SG_EEES6_PlJNSB_9not_fun_tI7is_evenIdEEEEEE10hipError_tPvRmT3_T4_T5_T6_T7_T9_mT8_P12ihipStream_tbDpT10_ENKUlT_T0_E_clISt17integral_constantIbLb0EES17_IbLb1EEEEDaS13_S14_EUlS13_E_NS1_11comp_targetILNS1_3genE3ELNS1_11target_archE908ELNS1_3gpuE7ELNS1_3repE0EEENS1_30default_config_static_selectorELNS0_4arch9wavefront6targetE0EEEvT1_
	.globl	_ZN7rocprim17ROCPRIM_400000_NS6detail17trampoline_kernelINS0_14default_configENS1_25partition_config_selectorILNS1_17partition_subalgoE6EdNS0_10empty_typeEbEEZZNS1_14partition_implILS5_6ELb0ES3_mN6thrust23THRUST_200600_302600_NS6detail15normal_iteratorINSA_10device_ptrIdEEEEPS6_SG_NS0_5tupleIJSF_S6_EEENSH_IJSG_SG_EEES6_PlJNSB_9not_fun_tI7is_evenIdEEEEEE10hipError_tPvRmT3_T4_T5_T6_T7_T9_mT8_P12ihipStream_tbDpT10_ENKUlT_T0_E_clISt17integral_constantIbLb0EES17_IbLb1EEEEDaS13_S14_EUlS13_E_NS1_11comp_targetILNS1_3genE3ELNS1_11target_archE908ELNS1_3gpuE7ELNS1_3repE0EEENS1_30default_config_static_selectorELNS0_4arch9wavefront6targetE0EEEvT1_
	.p2align	8
	.type	_ZN7rocprim17ROCPRIM_400000_NS6detail17trampoline_kernelINS0_14default_configENS1_25partition_config_selectorILNS1_17partition_subalgoE6EdNS0_10empty_typeEbEEZZNS1_14partition_implILS5_6ELb0ES3_mN6thrust23THRUST_200600_302600_NS6detail15normal_iteratorINSA_10device_ptrIdEEEEPS6_SG_NS0_5tupleIJSF_S6_EEENSH_IJSG_SG_EEES6_PlJNSB_9not_fun_tI7is_evenIdEEEEEE10hipError_tPvRmT3_T4_T5_T6_T7_T9_mT8_P12ihipStream_tbDpT10_ENKUlT_T0_E_clISt17integral_constantIbLb0EES17_IbLb1EEEEDaS13_S14_EUlS13_E_NS1_11comp_targetILNS1_3genE3ELNS1_11target_archE908ELNS1_3gpuE7ELNS1_3repE0EEENS1_30default_config_static_selectorELNS0_4arch9wavefront6targetE0EEEvT1_,@function
_ZN7rocprim17ROCPRIM_400000_NS6detail17trampoline_kernelINS0_14default_configENS1_25partition_config_selectorILNS1_17partition_subalgoE6EdNS0_10empty_typeEbEEZZNS1_14partition_implILS5_6ELb0ES3_mN6thrust23THRUST_200600_302600_NS6detail15normal_iteratorINSA_10device_ptrIdEEEEPS6_SG_NS0_5tupleIJSF_S6_EEENSH_IJSG_SG_EEES6_PlJNSB_9not_fun_tI7is_evenIdEEEEEE10hipError_tPvRmT3_T4_T5_T6_T7_T9_mT8_P12ihipStream_tbDpT10_ENKUlT_T0_E_clISt17integral_constantIbLb0EES17_IbLb1EEEEDaS13_S14_EUlS13_E_NS1_11comp_targetILNS1_3genE3ELNS1_11target_archE908ELNS1_3gpuE7ELNS1_3repE0EEENS1_30default_config_static_selectorELNS0_4arch9wavefront6targetE0EEEvT1_: ; @_ZN7rocprim17ROCPRIM_400000_NS6detail17trampoline_kernelINS0_14default_configENS1_25partition_config_selectorILNS1_17partition_subalgoE6EdNS0_10empty_typeEbEEZZNS1_14partition_implILS5_6ELb0ES3_mN6thrust23THRUST_200600_302600_NS6detail15normal_iteratorINSA_10device_ptrIdEEEEPS6_SG_NS0_5tupleIJSF_S6_EEENSH_IJSG_SG_EEES6_PlJNSB_9not_fun_tI7is_evenIdEEEEEE10hipError_tPvRmT3_T4_T5_T6_T7_T9_mT8_P12ihipStream_tbDpT10_ENKUlT_T0_E_clISt17integral_constantIbLb0EES17_IbLb1EEEEDaS13_S14_EUlS13_E_NS1_11comp_targetILNS1_3genE3ELNS1_11target_archE908ELNS1_3gpuE7ELNS1_3repE0EEENS1_30default_config_static_selectorELNS0_4arch9wavefront6targetE0EEEvT1_
; %bb.0:
	.section	.rodata,"a",@progbits
	.p2align	6, 0x0
	.amdhsa_kernel _ZN7rocprim17ROCPRIM_400000_NS6detail17trampoline_kernelINS0_14default_configENS1_25partition_config_selectorILNS1_17partition_subalgoE6EdNS0_10empty_typeEbEEZZNS1_14partition_implILS5_6ELb0ES3_mN6thrust23THRUST_200600_302600_NS6detail15normal_iteratorINSA_10device_ptrIdEEEEPS6_SG_NS0_5tupleIJSF_S6_EEENSH_IJSG_SG_EEES6_PlJNSB_9not_fun_tI7is_evenIdEEEEEE10hipError_tPvRmT3_T4_T5_T6_T7_T9_mT8_P12ihipStream_tbDpT10_ENKUlT_T0_E_clISt17integral_constantIbLb0EES17_IbLb1EEEEDaS13_S14_EUlS13_E_NS1_11comp_targetILNS1_3genE3ELNS1_11target_archE908ELNS1_3gpuE7ELNS1_3repE0EEENS1_30default_config_static_selectorELNS0_4arch9wavefront6targetE0EEEvT1_
		.amdhsa_group_segment_fixed_size 0
		.amdhsa_private_segment_fixed_size 0
		.amdhsa_kernarg_size 128
		.amdhsa_user_sgpr_count 2
		.amdhsa_user_sgpr_dispatch_ptr 0
		.amdhsa_user_sgpr_queue_ptr 0
		.amdhsa_user_sgpr_kernarg_segment_ptr 1
		.amdhsa_user_sgpr_dispatch_id 0
		.amdhsa_user_sgpr_private_segment_size 0
		.amdhsa_wavefront_size32 1
		.amdhsa_uses_dynamic_stack 0
		.amdhsa_enable_private_segment 0
		.amdhsa_system_sgpr_workgroup_id_x 1
		.amdhsa_system_sgpr_workgroup_id_y 0
		.amdhsa_system_sgpr_workgroup_id_z 0
		.amdhsa_system_sgpr_workgroup_info 0
		.amdhsa_system_vgpr_workitem_id 0
		.amdhsa_next_free_vgpr 1
		.amdhsa_next_free_sgpr 1
		.amdhsa_reserve_vcc 0
		.amdhsa_float_round_mode_32 0
		.amdhsa_float_round_mode_16_64 0
		.amdhsa_float_denorm_mode_32 3
		.amdhsa_float_denorm_mode_16_64 3
		.amdhsa_fp16_overflow 0
		.amdhsa_workgroup_processor_mode 1
		.amdhsa_memory_ordered 1
		.amdhsa_forward_progress 1
		.amdhsa_inst_pref_size 0
		.amdhsa_round_robin_scheduling 0
		.amdhsa_exception_fp_ieee_invalid_op 0
		.amdhsa_exception_fp_denorm_src 0
		.amdhsa_exception_fp_ieee_div_zero 0
		.amdhsa_exception_fp_ieee_overflow 0
		.amdhsa_exception_fp_ieee_underflow 0
		.amdhsa_exception_fp_ieee_inexact 0
		.amdhsa_exception_int_div_zero 0
	.end_amdhsa_kernel
	.section	.text._ZN7rocprim17ROCPRIM_400000_NS6detail17trampoline_kernelINS0_14default_configENS1_25partition_config_selectorILNS1_17partition_subalgoE6EdNS0_10empty_typeEbEEZZNS1_14partition_implILS5_6ELb0ES3_mN6thrust23THRUST_200600_302600_NS6detail15normal_iteratorINSA_10device_ptrIdEEEEPS6_SG_NS0_5tupleIJSF_S6_EEENSH_IJSG_SG_EEES6_PlJNSB_9not_fun_tI7is_evenIdEEEEEE10hipError_tPvRmT3_T4_T5_T6_T7_T9_mT8_P12ihipStream_tbDpT10_ENKUlT_T0_E_clISt17integral_constantIbLb0EES17_IbLb1EEEEDaS13_S14_EUlS13_E_NS1_11comp_targetILNS1_3genE3ELNS1_11target_archE908ELNS1_3gpuE7ELNS1_3repE0EEENS1_30default_config_static_selectorELNS0_4arch9wavefront6targetE0EEEvT1_,"axG",@progbits,_ZN7rocprim17ROCPRIM_400000_NS6detail17trampoline_kernelINS0_14default_configENS1_25partition_config_selectorILNS1_17partition_subalgoE6EdNS0_10empty_typeEbEEZZNS1_14partition_implILS5_6ELb0ES3_mN6thrust23THRUST_200600_302600_NS6detail15normal_iteratorINSA_10device_ptrIdEEEEPS6_SG_NS0_5tupleIJSF_S6_EEENSH_IJSG_SG_EEES6_PlJNSB_9not_fun_tI7is_evenIdEEEEEE10hipError_tPvRmT3_T4_T5_T6_T7_T9_mT8_P12ihipStream_tbDpT10_ENKUlT_T0_E_clISt17integral_constantIbLb0EES17_IbLb1EEEEDaS13_S14_EUlS13_E_NS1_11comp_targetILNS1_3genE3ELNS1_11target_archE908ELNS1_3gpuE7ELNS1_3repE0EEENS1_30default_config_static_selectorELNS0_4arch9wavefront6targetE0EEEvT1_,comdat
.Lfunc_end560:
	.size	_ZN7rocprim17ROCPRIM_400000_NS6detail17trampoline_kernelINS0_14default_configENS1_25partition_config_selectorILNS1_17partition_subalgoE6EdNS0_10empty_typeEbEEZZNS1_14partition_implILS5_6ELb0ES3_mN6thrust23THRUST_200600_302600_NS6detail15normal_iteratorINSA_10device_ptrIdEEEEPS6_SG_NS0_5tupleIJSF_S6_EEENSH_IJSG_SG_EEES6_PlJNSB_9not_fun_tI7is_evenIdEEEEEE10hipError_tPvRmT3_T4_T5_T6_T7_T9_mT8_P12ihipStream_tbDpT10_ENKUlT_T0_E_clISt17integral_constantIbLb0EES17_IbLb1EEEEDaS13_S14_EUlS13_E_NS1_11comp_targetILNS1_3genE3ELNS1_11target_archE908ELNS1_3gpuE7ELNS1_3repE0EEENS1_30default_config_static_selectorELNS0_4arch9wavefront6targetE0EEEvT1_, .Lfunc_end560-_ZN7rocprim17ROCPRIM_400000_NS6detail17trampoline_kernelINS0_14default_configENS1_25partition_config_selectorILNS1_17partition_subalgoE6EdNS0_10empty_typeEbEEZZNS1_14partition_implILS5_6ELb0ES3_mN6thrust23THRUST_200600_302600_NS6detail15normal_iteratorINSA_10device_ptrIdEEEEPS6_SG_NS0_5tupleIJSF_S6_EEENSH_IJSG_SG_EEES6_PlJNSB_9not_fun_tI7is_evenIdEEEEEE10hipError_tPvRmT3_T4_T5_T6_T7_T9_mT8_P12ihipStream_tbDpT10_ENKUlT_T0_E_clISt17integral_constantIbLb0EES17_IbLb1EEEEDaS13_S14_EUlS13_E_NS1_11comp_targetILNS1_3genE3ELNS1_11target_archE908ELNS1_3gpuE7ELNS1_3repE0EEENS1_30default_config_static_selectorELNS0_4arch9wavefront6targetE0EEEvT1_
                                        ; -- End function
	.set _ZN7rocprim17ROCPRIM_400000_NS6detail17trampoline_kernelINS0_14default_configENS1_25partition_config_selectorILNS1_17partition_subalgoE6EdNS0_10empty_typeEbEEZZNS1_14partition_implILS5_6ELb0ES3_mN6thrust23THRUST_200600_302600_NS6detail15normal_iteratorINSA_10device_ptrIdEEEEPS6_SG_NS0_5tupleIJSF_S6_EEENSH_IJSG_SG_EEES6_PlJNSB_9not_fun_tI7is_evenIdEEEEEE10hipError_tPvRmT3_T4_T5_T6_T7_T9_mT8_P12ihipStream_tbDpT10_ENKUlT_T0_E_clISt17integral_constantIbLb0EES17_IbLb1EEEEDaS13_S14_EUlS13_E_NS1_11comp_targetILNS1_3genE3ELNS1_11target_archE908ELNS1_3gpuE7ELNS1_3repE0EEENS1_30default_config_static_selectorELNS0_4arch9wavefront6targetE0EEEvT1_.num_vgpr, 0
	.set _ZN7rocprim17ROCPRIM_400000_NS6detail17trampoline_kernelINS0_14default_configENS1_25partition_config_selectorILNS1_17partition_subalgoE6EdNS0_10empty_typeEbEEZZNS1_14partition_implILS5_6ELb0ES3_mN6thrust23THRUST_200600_302600_NS6detail15normal_iteratorINSA_10device_ptrIdEEEEPS6_SG_NS0_5tupleIJSF_S6_EEENSH_IJSG_SG_EEES6_PlJNSB_9not_fun_tI7is_evenIdEEEEEE10hipError_tPvRmT3_T4_T5_T6_T7_T9_mT8_P12ihipStream_tbDpT10_ENKUlT_T0_E_clISt17integral_constantIbLb0EES17_IbLb1EEEEDaS13_S14_EUlS13_E_NS1_11comp_targetILNS1_3genE3ELNS1_11target_archE908ELNS1_3gpuE7ELNS1_3repE0EEENS1_30default_config_static_selectorELNS0_4arch9wavefront6targetE0EEEvT1_.num_agpr, 0
	.set _ZN7rocprim17ROCPRIM_400000_NS6detail17trampoline_kernelINS0_14default_configENS1_25partition_config_selectorILNS1_17partition_subalgoE6EdNS0_10empty_typeEbEEZZNS1_14partition_implILS5_6ELb0ES3_mN6thrust23THRUST_200600_302600_NS6detail15normal_iteratorINSA_10device_ptrIdEEEEPS6_SG_NS0_5tupleIJSF_S6_EEENSH_IJSG_SG_EEES6_PlJNSB_9not_fun_tI7is_evenIdEEEEEE10hipError_tPvRmT3_T4_T5_T6_T7_T9_mT8_P12ihipStream_tbDpT10_ENKUlT_T0_E_clISt17integral_constantIbLb0EES17_IbLb1EEEEDaS13_S14_EUlS13_E_NS1_11comp_targetILNS1_3genE3ELNS1_11target_archE908ELNS1_3gpuE7ELNS1_3repE0EEENS1_30default_config_static_selectorELNS0_4arch9wavefront6targetE0EEEvT1_.numbered_sgpr, 0
	.set _ZN7rocprim17ROCPRIM_400000_NS6detail17trampoline_kernelINS0_14default_configENS1_25partition_config_selectorILNS1_17partition_subalgoE6EdNS0_10empty_typeEbEEZZNS1_14partition_implILS5_6ELb0ES3_mN6thrust23THRUST_200600_302600_NS6detail15normal_iteratorINSA_10device_ptrIdEEEEPS6_SG_NS0_5tupleIJSF_S6_EEENSH_IJSG_SG_EEES6_PlJNSB_9not_fun_tI7is_evenIdEEEEEE10hipError_tPvRmT3_T4_T5_T6_T7_T9_mT8_P12ihipStream_tbDpT10_ENKUlT_T0_E_clISt17integral_constantIbLb0EES17_IbLb1EEEEDaS13_S14_EUlS13_E_NS1_11comp_targetILNS1_3genE3ELNS1_11target_archE908ELNS1_3gpuE7ELNS1_3repE0EEENS1_30default_config_static_selectorELNS0_4arch9wavefront6targetE0EEEvT1_.num_named_barrier, 0
	.set _ZN7rocprim17ROCPRIM_400000_NS6detail17trampoline_kernelINS0_14default_configENS1_25partition_config_selectorILNS1_17partition_subalgoE6EdNS0_10empty_typeEbEEZZNS1_14partition_implILS5_6ELb0ES3_mN6thrust23THRUST_200600_302600_NS6detail15normal_iteratorINSA_10device_ptrIdEEEEPS6_SG_NS0_5tupleIJSF_S6_EEENSH_IJSG_SG_EEES6_PlJNSB_9not_fun_tI7is_evenIdEEEEEE10hipError_tPvRmT3_T4_T5_T6_T7_T9_mT8_P12ihipStream_tbDpT10_ENKUlT_T0_E_clISt17integral_constantIbLb0EES17_IbLb1EEEEDaS13_S14_EUlS13_E_NS1_11comp_targetILNS1_3genE3ELNS1_11target_archE908ELNS1_3gpuE7ELNS1_3repE0EEENS1_30default_config_static_selectorELNS0_4arch9wavefront6targetE0EEEvT1_.private_seg_size, 0
	.set _ZN7rocprim17ROCPRIM_400000_NS6detail17trampoline_kernelINS0_14default_configENS1_25partition_config_selectorILNS1_17partition_subalgoE6EdNS0_10empty_typeEbEEZZNS1_14partition_implILS5_6ELb0ES3_mN6thrust23THRUST_200600_302600_NS6detail15normal_iteratorINSA_10device_ptrIdEEEEPS6_SG_NS0_5tupleIJSF_S6_EEENSH_IJSG_SG_EEES6_PlJNSB_9not_fun_tI7is_evenIdEEEEEE10hipError_tPvRmT3_T4_T5_T6_T7_T9_mT8_P12ihipStream_tbDpT10_ENKUlT_T0_E_clISt17integral_constantIbLb0EES17_IbLb1EEEEDaS13_S14_EUlS13_E_NS1_11comp_targetILNS1_3genE3ELNS1_11target_archE908ELNS1_3gpuE7ELNS1_3repE0EEENS1_30default_config_static_selectorELNS0_4arch9wavefront6targetE0EEEvT1_.uses_vcc, 0
	.set _ZN7rocprim17ROCPRIM_400000_NS6detail17trampoline_kernelINS0_14default_configENS1_25partition_config_selectorILNS1_17partition_subalgoE6EdNS0_10empty_typeEbEEZZNS1_14partition_implILS5_6ELb0ES3_mN6thrust23THRUST_200600_302600_NS6detail15normal_iteratorINSA_10device_ptrIdEEEEPS6_SG_NS0_5tupleIJSF_S6_EEENSH_IJSG_SG_EEES6_PlJNSB_9not_fun_tI7is_evenIdEEEEEE10hipError_tPvRmT3_T4_T5_T6_T7_T9_mT8_P12ihipStream_tbDpT10_ENKUlT_T0_E_clISt17integral_constantIbLb0EES17_IbLb1EEEEDaS13_S14_EUlS13_E_NS1_11comp_targetILNS1_3genE3ELNS1_11target_archE908ELNS1_3gpuE7ELNS1_3repE0EEENS1_30default_config_static_selectorELNS0_4arch9wavefront6targetE0EEEvT1_.uses_flat_scratch, 0
	.set _ZN7rocprim17ROCPRIM_400000_NS6detail17trampoline_kernelINS0_14default_configENS1_25partition_config_selectorILNS1_17partition_subalgoE6EdNS0_10empty_typeEbEEZZNS1_14partition_implILS5_6ELb0ES3_mN6thrust23THRUST_200600_302600_NS6detail15normal_iteratorINSA_10device_ptrIdEEEEPS6_SG_NS0_5tupleIJSF_S6_EEENSH_IJSG_SG_EEES6_PlJNSB_9not_fun_tI7is_evenIdEEEEEE10hipError_tPvRmT3_T4_T5_T6_T7_T9_mT8_P12ihipStream_tbDpT10_ENKUlT_T0_E_clISt17integral_constantIbLb0EES17_IbLb1EEEEDaS13_S14_EUlS13_E_NS1_11comp_targetILNS1_3genE3ELNS1_11target_archE908ELNS1_3gpuE7ELNS1_3repE0EEENS1_30default_config_static_selectorELNS0_4arch9wavefront6targetE0EEEvT1_.has_dyn_sized_stack, 0
	.set _ZN7rocprim17ROCPRIM_400000_NS6detail17trampoline_kernelINS0_14default_configENS1_25partition_config_selectorILNS1_17partition_subalgoE6EdNS0_10empty_typeEbEEZZNS1_14partition_implILS5_6ELb0ES3_mN6thrust23THRUST_200600_302600_NS6detail15normal_iteratorINSA_10device_ptrIdEEEEPS6_SG_NS0_5tupleIJSF_S6_EEENSH_IJSG_SG_EEES6_PlJNSB_9not_fun_tI7is_evenIdEEEEEE10hipError_tPvRmT3_T4_T5_T6_T7_T9_mT8_P12ihipStream_tbDpT10_ENKUlT_T0_E_clISt17integral_constantIbLb0EES17_IbLb1EEEEDaS13_S14_EUlS13_E_NS1_11comp_targetILNS1_3genE3ELNS1_11target_archE908ELNS1_3gpuE7ELNS1_3repE0EEENS1_30default_config_static_selectorELNS0_4arch9wavefront6targetE0EEEvT1_.has_recursion, 0
	.set _ZN7rocprim17ROCPRIM_400000_NS6detail17trampoline_kernelINS0_14default_configENS1_25partition_config_selectorILNS1_17partition_subalgoE6EdNS0_10empty_typeEbEEZZNS1_14partition_implILS5_6ELb0ES3_mN6thrust23THRUST_200600_302600_NS6detail15normal_iteratorINSA_10device_ptrIdEEEEPS6_SG_NS0_5tupleIJSF_S6_EEENSH_IJSG_SG_EEES6_PlJNSB_9not_fun_tI7is_evenIdEEEEEE10hipError_tPvRmT3_T4_T5_T6_T7_T9_mT8_P12ihipStream_tbDpT10_ENKUlT_T0_E_clISt17integral_constantIbLb0EES17_IbLb1EEEEDaS13_S14_EUlS13_E_NS1_11comp_targetILNS1_3genE3ELNS1_11target_archE908ELNS1_3gpuE7ELNS1_3repE0EEENS1_30default_config_static_selectorELNS0_4arch9wavefront6targetE0EEEvT1_.has_indirect_call, 0
	.section	.AMDGPU.csdata,"",@progbits
; Kernel info:
; codeLenInByte = 0
; TotalNumSgprs: 0
; NumVgprs: 0
; ScratchSize: 0
; MemoryBound: 0
; FloatMode: 240
; IeeeMode: 1
; LDSByteSize: 0 bytes/workgroup (compile time only)
; SGPRBlocks: 0
; VGPRBlocks: 0
; NumSGPRsForWavesPerEU: 1
; NumVGPRsForWavesPerEU: 1
; Occupancy: 16
; WaveLimiterHint : 0
; COMPUTE_PGM_RSRC2:SCRATCH_EN: 0
; COMPUTE_PGM_RSRC2:USER_SGPR: 2
; COMPUTE_PGM_RSRC2:TRAP_HANDLER: 0
; COMPUTE_PGM_RSRC2:TGID_X_EN: 1
; COMPUTE_PGM_RSRC2:TGID_Y_EN: 0
; COMPUTE_PGM_RSRC2:TGID_Z_EN: 0
; COMPUTE_PGM_RSRC2:TIDIG_COMP_CNT: 0
	.section	.text._ZN7rocprim17ROCPRIM_400000_NS6detail17trampoline_kernelINS0_14default_configENS1_25partition_config_selectorILNS1_17partition_subalgoE6EdNS0_10empty_typeEbEEZZNS1_14partition_implILS5_6ELb0ES3_mN6thrust23THRUST_200600_302600_NS6detail15normal_iteratorINSA_10device_ptrIdEEEEPS6_SG_NS0_5tupleIJSF_S6_EEENSH_IJSG_SG_EEES6_PlJNSB_9not_fun_tI7is_evenIdEEEEEE10hipError_tPvRmT3_T4_T5_T6_T7_T9_mT8_P12ihipStream_tbDpT10_ENKUlT_T0_E_clISt17integral_constantIbLb0EES17_IbLb1EEEEDaS13_S14_EUlS13_E_NS1_11comp_targetILNS1_3genE2ELNS1_11target_archE906ELNS1_3gpuE6ELNS1_3repE0EEENS1_30default_config_static_selectorELNS0_4arch9wavefront6targetE0EEEvT1_,"axG",@progbits,_ZN7rocprim17ROCPRIM_400000_NS6detail17trampoline_kernelINS0_14default_configENS1_25partition_config_selectorILNS1_17partition_subalgoE6EdNS0_10empty_typeEbEEZZNS1_14partition_implILS5_6ELb0ES3_mN6thrust23THRUST_200600_302600_NS6detail15normal_iteratorINSA_10device_ptrIdEEEEPS6_SG_NS0_5tupleIJSF_S6_EEENSH_IJSG_SG_EEES6_PlJNSB_9not_fun_tI7is_evenIdEEEEEE10hipError_tPvRmT3_T4_T5_T6_T7_T9_mT8_P12ihipStream_tbDpT10_ENKUlT_T0_E_clISt17integral_constantIbLb0EES17_IbLb1EEEEDaS13_S14_EUlS13_E_NS1_11comp_targetILNS1_3genE2ELNS1_11target_archE906ELNS1_3gpuE6ELNS1_3repE0EEENS1_30default_config_static_selectorELNS0_4arch9wavefront6targetE0EEEvT1_,comdat
	.protected	_ZN7rocprim17ROCPRIM_400000_NS6detail17trampoline_kernelINS0_14default_configENS1_25partition_config_selectorILNS1_17partition_subalgoE6EdNS0_10empty_typeEbEEZZNS1_14partition_implILS5_6ELb0ES3_mN6thrust23THRUST_200600_302600_NS6detail15normal_iteratorINSA_10device_ptrIdEEEEPS6_SG_NS0_5tupleIJSF_S6_EEENSH_IJSG_SG_EEES6_PlJNSB_9not_fun_tI7is_evenIdEEEEEE10hipError_tPvRmT3_T4_T5_T6_T7_T9_mT8_P12ihipStream_tbDpT10_ENKUlT_T0_E_clISt17integral_constantIbLb0EES17_IbLb1EEEEDaS13_S14_EUlS13_E_NS1_11comp_targetILNS1_3genE2ELNS1_11target_archE906ELNS1_3gpuE6ELNS1_3repE0EEENS1_30default_config_static_selectorELNS0_4arch9wavefront6targetE0EEEvT1_ ; -- Begin function _ZN7rocprim17ROCPRIM_400000_NS6detail17trampoline_kernelINS0_14default_configENS1_25partition_config_selectorILNS1_17partition_subalgoE6EdNS0_10empty_typeEbEEZZNS1_14partition_implILS5_6ELb0ES3_mN6thrust23THRUST_200600_302600_NS6detail15normal_iteratorINSA_10device_ptrIdEEEEPS6_SG_NS0_5tupleIJSF_S6_EEENSH_IJSG_SG_EEES6_PlJNSB_9not_fun_tI7is_evenIdEEEEEE10hipError_tPvRmT3_T4_T5_T6_T7_T9_mT8_P12ihipStream_tbDpT10_ENKUlT_T0_E_clISt17integral_constantIbLb0EES17_IbLb1EEEEDaS13_S14_EUlS13_E_NS1_11comp_targetILNS1_3genE2ELNS1_11target_archE906ELNS1_3gpuE6ELNS1_3repE0EEENS1_30default_config_static_selectorELNS0_4arch9wavefront6targetE0EEEvT1_
	.globl	_ZN7rocprim17ROCPRIM_400000_NS6detail17trampoline_kernelINS0_14default_configENS1_25partition_config_selectorILNS1_17partition_subalgoE6EdNS0_10empty_typeEbEEZZNS1_14partition_implILS5_6ELb0ES3_mN6thrust23THRUST_200600_302600_NS6detail15normal_iteratorINSA_10device_ptrIdEEEEPS6_SG_NS0_5tupleIJSF_S6_EEENSH_IJSG_SG_EEES6_PlJNSB_9not_fun_tI7is_evenIdEEEEEE10hipError_tPvRmT3_T4_T5_T6_T7_T9_mT8_P12ihipStream_tbDpT10_ENKUlT_T0_E_clISt17integral_constantIbLb0EES17_IbLb1EEEEDaS13_S14_EUlS13_E_NS1_11comp_targetILNS1_3genE2ELNS1_11target_archE906ELNS1_3gpuE6ELNS1_3repE0EEENS1_30default_config_static_selectorELNS0_4arch9wavefront6targetE0EEEvT1_
	.p2align	8
	.type	_ZN7rocprim17ROCPRIM_400000_NS6detail17trampoline_kernelINS0_14default_configENS1_25partition_config_selectorILNS1_17partition_subalgoE6EdNS0_10empty_typeEbEEZZNS1_14partition_implILS5_6ELb0ES3_mN6thrust23THRUST_200600_302600_NS6detail15normal_iteratorINSA_10device_ptrIdEEEEPS6_SG_NS0_5tupleIJSF_S6_EEENSH_IJSG_SG_EEES6_PlJNSB_9not_fun_tI7is_evenIdEEEEEE10hipError_tPvRmT3_T4_T5_T6_T7_T9_mT8_P12ihipStream_tbDpT10_ENKUlT_T0_E_clISt17integral_constantIbLb0EES17_IbLb1EEEEDaS13_S14_EUlS13_E_NS1_11comp_targetILNS1_3genE2ELNS1_11target_archE906ELNS1_3gpuE6ELNS1_3repE0EEENS1_30default_config_static_selectorELNS0_4arch9wavefront6targetE0EEEvT1_,@function
_ZN7rocprim17ROCPRIM_400000_NS6detail17trampoline_kernelINS0_14default_configENS1_25partition_config_selectorILNS1_17partition_subalgoE6EdNS0_10empty_typeEbEEZZNS1_14partition_implILS5_6ELb0ES3_mN6thrust23THRUST_200600_302600_NS6detail15normal_iteratorINSA_10device_ptrIdEEEEPS6_SG_NS0_5tupleIJSF_S6_EEENSH_IJSG_SG_EEES6_PlJNSB_9not_fun_tI7is_evenIdEEEEEE10hipError_tPvRmT3_T4_T5_T6_T7_T9_mT8_P12ihipStream_tbDpT10_ENKUlT_T0_E_clISt17integral_constantIbLb0EES17_IbLb1EEEEDaS13_S14_EUlS13_E_NS1_11comp_targetILNS1_3genE2ELNS1_11target_archE906ELNS1_3gpuE6ELNS1_3repE0EEENS1_30default_config_static_selectorELNS0_4arch9wavefront6targetE0EEEvT1_: ; @_ZN7rocprim17ROCPRIM_400000_NS6detail17trampoline_kernelINS0_14default_configENS1_25partition_config_selectorILNS1_17partition_subalgoE6EdNS0_10empty_typeEbEEZZNS1_14partition_implILS5_6ELb0ES3_mN6thrust23THRUST_200600_302600_NS6detail15normal_iteratorINSA_10device_ptrIdEEEEPS6_SG_NS0_5tupleIJSF_S6_EEENSH_IJSG_SG_EEES6_PlJNSB_9not_fun_tI7is_evenIdEEEEEE10hipError_tPvRmT3_T4_T5_T6_T7_T9_mT8_P12ihipStream_tbDpT10_ENKUlT_T0_E_clISt17integral_constantIbLb0EES17_IbLb1EEEEDaS13_S14_EUlS13_E_NS1_11comp_targetILNS1_3genE2ELNS1_11target_archE906ELNS1_3gpuE6ELNS1_3repE0EEENS1_30default_config_static_selectorELNS0_4arch9wavefront6targetE0EEEvT1_
; %bb.0:
	.section	.rodata,"a",@progbits
	.p2align	6, 0x0
	.amdhsa_kernel _ZN7rocprim17ROCPRIM_400000_NS6detail17trampoline_kernelINS0_14default_configENS1_25partition_config_selectorILNS1_17partition_subalgoE6EdNS0_10empty_typeEbEEZZNS1_14partition_implILS5_6ELb0ES3_mN6thrust23THRUST_200600_302600_NS6detail15normal_iteratorINSA_10device_ptrIdEEEEPS6_SG_NS0_5tupleIJSF_S6_EEENSH_IJSG_SG_EEES6_PlJNSB_9not_fun_tI7is_evenIdEEEEEE10hipError_tPvRmT3_T4_T5_T6_T7_T9_mT8_P12ihipStream_tbDpT10_ENKUlT_T0_E_clISt17integral_constantIbLb0EES17_IbLb1EEEEDaS13_S14_EUlS13_E_NS1_11comp_targetILNS1_3genE2ELNS1_11target_archE906ELNS1_3gpuE6ELNS1_3repE0EEENS1_30default_config_static_selectorELNS0_4arch9wavefront6targetE0EEEvT1_
		.amdhsa_group_segment_fixed_size 0
		.amdhsa_private_segment_fixed_size 0
		.amdhsa_kernarg_size 128
		.amdhsa_user_sgpr_count 2
		.amdhsa_user_sgpr_dispatch_ptr 0
		.amdhsa_user_sgpr_queue_ptr 0
		.amdhsa_user_sgpr_kernarg_segment_ptr 1
		.amdhsa_user_sgpr_dispatch_id 0
		.amdhsa_user_sgpr_private_segment_size 0
		.amdhsa_wavefront_size32 1
		.amdhsa_uses_dynamic_stack 0
		.amdhsa_enable_private_segment 0
		.amdhsa_system_sgpr_workgroup_id_x 1
		.amdhsa_system_sgpr_workgroup_id_y 0
		.amdhsa_system_sgpr_workgroup_id_z 0
		.amdhsa_system_sgpr_workgroup_info 0
		.amdhsa_system_vgpr_workitem_id 0
		.amdhsa_next_free_vgpr 1
		.amdhsa_next_free_sgpr 1
		.amdhsa_reserve_vcc 0
		.amdhsa_float_round_mode_32 0
		.amdhsa_float_round_mode_16_64 0
		.amdhsa_float_denorm_mode_32 3
		.amdhsa_float_denorm_mode_16_64 3
		.amdhsa_fp16_overflow 0
		.amdhsa_workgroup_processor_mode 1
		.amdhsa_memory_ordered 1
		.amdhsa_forward_progress 1
		.amdhsa_inst_pref_size 0
		.amdhsa_round_robin_scheduling 0
		.amdhsa_exception_fp_ieee_invalid_op 0
		.amdhsa_exception_fp_denorm_src 0
		.amdhsa_exception_fp_ieee_div_zero 0
		.amdhsa_exception_fp_ieee_overflow 0
		.amdhsa_exception_fp_ieee_underflow 0
		.amdhsa_exception_fp_ieee_inexact 0
		.amdhsa_exception_int_div_zero 0
	.end_amdhsa_kernel
	.section	.text._ZN7rocprim17ROCPRIM_400000_NS6detail17trampoline_kernelINS0_14default_configENS1_25partition_config_selectorILNS1_17partition_subalgoE6EdNS0_10empty_typeEbEEZZNS1_14partition_implILS5_6ELb0ES3_mN6thrust23THRUST_200600_302600_NS6detail15normal_iteratorINSA_10device_ptrIdEEEEPS6_SG_NS0_5tupleIJSF_S6_EEENSH_IJSG_SG_EEES6_PlJNSB_9not_fun_tI7is_evenIdEEEEEE10hipError_tPvRmT3_T4_T5_T6_T7_T9_mT8_P12ihipStream_tbDpT10_ENKUlT_T0_E_clISt17integral_constantIbLb0EES17_IbLb1EEEEDaS13_S14_EUlS13_E_NS1_11comp_targetILNS1_3genE2ELNS1_11target_archE906ELNS1_3gpuE6ELNS1_3repE0EEENS1_30default_config_static_selectorELNS0_4arch9wavefront6targetE0EEEvT1_,"axG",@progbits,_ZN7rocprim17ROCPRIM_400000_NS6detail17trampoline_kernelINS0_14default_configENS1_25partition_config_selectorILNS1_17partition_subalgoE6EdNS0_10empty_typeEbEEZZNS1_14partition_implILS5_6ELb0ES3_mN6thrust23THRUST_200600_302600_NS6detail15normal_iteratorINSA_10device_ptrIdEEEEPS6_SG_NS0_5tupleIJSF_S6_EEENSH_IJSG_SG_EEES6_PlJNSB_9not_fun_tI7is_evenIdEEEEEE10hipError_tPvRmT3_T4_T5_T6_T7_T9_mT8_P12ihipStream_tbDpT10_ENKUlT_T0_E_clISt17integral_constantIbLb0EES17_IbLb1EEEEDaS13_S14_EUlS13_E_NS1_11comp_targetILNS1_3genE2ELNS1_11target_archE906ELNS1_3gpuE6ELNS1_3repE0EEENS1_30default_config_static_selectorELNS0_4arch9wavefront6targetE0EEEvT1_,comdat
.Lfunc_end561:
	.size	_ZN7rocprim17ROCPRIM_400000_NS6detail17trampoline_kernelINS0_14default_configENS1_25partition_config_selectorILNS1_17partition_subalgoE6EdNS0_10empty_typeEbEEZZNS1_14partition_implILS5_6ELb0ES3_mN6thrust23THRUST_200600_302600_NS6detail15normal_iteratorINSA_10device_ptrIdEEEEPS6_SG_NS0_5tupleIJSF_S6_EEENSH_IJSG_SG_EEES6_PlJNSB_9not_fun_tI7is_evenIdEEEEEE10hipError_tPvRmT3_T4_T5_T6_T7_T9_mT8_P12ihipStream_tbDpT10_ENKUlT_T0_E_clISt17integral_constantIbLb0EES17_IbLb1EEEEDaS13_S14_EUlS13_E_NS1_11comp_targetILNS1_3genE2ELNS1_11target_archE906ELNS1_3gpuE6ELNS1_3repE0EEENS1_30default_config_static_selectorELNS0_4arch9wavefront6targetE0EEEvT1_, .Lfunc_end561-_ZN7rocprim17ROCPRIM_400000_NS6detail17trampoline_kernelINS0_14default_configENS1_25partition_config_selectorILNS1_17partition_subalgoE6EdNS0_10empty_typeEbEEZZNS1_14partition_implILS5_6ELb0ES3_mN6thrust23THRUST_200600_302600_NS6detail15normal_iteratorINSA_10device_ptrIdEEEEPS6_SG_NS0_5tupleIJSF_S6_EEENSH_IJSG_SG_EEES6_PlJNSB_9not_fun_tI7is_evenIdEEEEEE10hipError_tPvRmT3_T4_T5_T6_T7_T9_mT8_P12ihipStream_tbDpT10_ENKUlT_T0_E_clISt17integral_constantIbLb0EES17_IbLb1EEEEDaS13_S14_EUlS13_E_NS1_11comp_targetILNS1_3genE2ELNS1_11target_archE906ELNS1_3gpuE6ELNS1_3repE0EEENS1_30default_config_static_selectorELNS0_4arch9wavefront6targetE0EEEvT1_
                                        ; -- End function
	.set _ZN7rocprim17ROCPRIM_400000_NS6detail17trampoline_kernelINS0_14default_configENS1_25partition_config_selectorILNS1_17partition_subalgoE6EdNS0_10empty_typeEbEEZZNS1_14partition_implILS5_6ELb0ES3_mN6thrust23THRUST_200600_302600_NS6detail15normal_iteratorINSA_10device_ptrIdEEEEPS6_SG_NS0_5tupleIJSF_S6_EEENSH_IJSG_SG_EEES6_PlJNSB_9not_fun_tI7is_evenIdEEEEEE10hipError_tPvRmT3_T4_T5_T6_T7_T9_mT8_P12ihipStream_tbDpT10_ENKUlT_T0_E_clISt17integral_constantIbLb0EES17_IbLb1EEEEDaS13_S14_EUlS13_E_NS1_11comp_targetILNS1_3genE2ELNS1_11target_archE906ELNS1_3gpuE6ELNS1_3repE0EEENS1_30default_config_static_selectorELNS0_4arch9wavefront6targetE0EEEvT1_.num_vgpr, 0
	.set _ZN7rocprim17ROCPRIM_400000_NS6detail17trampoline_kernelINS0_14default_configENS1_25partition_config_selectorILNS1_17partition_subalgoE6EdNS0_10empty_typeEbEEZZNS1_14partition_implILS5_6ELb0ES3_mN6thrust23THRUST_200600_302600_NS6detail15normal_iteratorINSA_10device_ptrIdEEEEPS6_SG_NS0_5tupleIJSF_S6_EEENSH_IJSG_SG_EEES6_PlJNSB_9not_fun_tI7is_evenIdEEEEEE10hipError_tPvRmT3_T4_T5_T6_T7_T9_mT8_P12ihipStream_tbDpT10_ENKUlT_T0_E_clISt17integral_constantIbLb0EES17_IbLb1EEEEDaS13_S14_EUlS13_E_NS1_11comp_targetILNS1_3genE2ELNS1_11target_archE906ELNS1_3gpuE6ELNS1_3repE0EEENS1_30default_config_static_selectorELNS0_4arch9wavefront6targetE0EEEvT1_.num_agpr, 0
	.set _ZN7rocprim17ROCPRIM_400000_NS6detail17trampoline_kernelINS0_14default_configENS1_25partition_config_selectorILNS1_17partition_subalgoE6EdNS0_10empty_typeEbEEZZNS1_14partition_implILS5_6ELb0ES3_mN6thrust23THRUST_200600_302600_NS6detail15normal_iteratorINSA_10device_ptrIdEEEEPS6_SG_NS0_5tupleIJSF_S6_EEENSH_IJSG_SG_EEES6_PlJNSB_9not_fun_tI7is_evenIdEEEEEE10hipError_tPvRmT3_T4_T5_T6_T7_T9_mT8_P12ihipStream_tbDpT10_ENKUlT_T0_E_clISt17integral_constantIbLb0EES17_IbLb1EEEEDaS13_S14_EUlS13_E_NS1_11comp_targetILNS1_3genE2ELNS1_11target_archE906ELNS1_3gpuE6ELNS1_3repE0EEENS1_30default_config_static_selectorELNS0_4arch9wavefront6targetE0EEEvT1_.numbered_sgpr, 0
	.set _ZN7rocprim17ROCPRIM_400000_NS6detail17trampoline_kernelINS0_14default_configENS1_25partition_config_selectorILNS1_17partition_subalgoE6EdNS0_10empty_typeEbEEZZNS1_14partition_implILS5_6ELb0ES3_mN6thrust23THRUST_200600_302600_NS6detail15normal_iteratorINSA_10device_ptrIdEEEEPS6_SG_NS0_5tupleIJSF_S6_EEENSH_IJSG_SG_EEES6_PlJNSB_9not_fun_tI7is_evenIdEEEEEE10hipError_tPvRmT3_T4_T5_T6_T7_T9_mT8_P12ihipStream_tbDpT10_ENKUlT_T0_E_clISt17integral_constantIbLb0EES17_IbLb1EEEEDaS13_S14_EUlS13_E_NS1_11comp_targetILNS1_3genE2ELNS1_11target_archE906ELNS1_3gpuE6ELNS1_3repE0EEENS1_30default_config_static_selectorELNS0_4arch9wavefront6targetE0EEEvT1_.num_named_barrier, 0
	.set _ZN7rocprim17ROCPRIM_400000_NS6detail17trampoline_kernelINS0_14default_configENS1_25partition_config_selectorILNS1_17partition_subalgoE6EdNS0_10empty_typeEbEEZZNS1_14partition_implILS5_6ELb0ES3_mN6thrust23THRUST_200600_302600_NS6detail15normal_iteratorINSA_10device_ptrIdEEEEPS6_SG_NS0_5tupleIJSF_S6_EEENSH_IJSG_SG_EEES6_PlJNSB_9not_fun_tI7is_evenIdEEEEEE10hipError_tPvRmT3_T4_T5_T6_T7_T9_mT8_P12ihipStream_tbDpT10_ENKUlT_T0_E_clISt17integral_constantIbLb0EES17_IbLb1EEEEDaS13_S14_EUlS13_E_NS1_11comp_targetILNS1_3genE2ELNS1_11target_archE906ELNS1_3gpuE6ELNS1_3repE0EEENS1_30default_config_static_selectorELNS0_4arch9wavefront6targetE0EEEvT1_.private_seg_size, 0
	.set _ZN7rocprim17ROCPRIM_400000_NS6detail17trampoline_kernelINS0_14default_configENS1_25partition_config_selectorILNS1_17partition_subalgoE6EdNS0_10empty_typeEbEEZZNS1_14partition_implILS5_6ELb0ES3_mN6thrust23THRUST_200600_302600_NS6detail15normal_iteratorINSA_10device_ptrIdEEEEPS6_SG_NS0_5tupleIJSF_S6_EEENSH_IJSG_SG_EEES6_PlJNSB_9not_fun_tI7is_evenIdEEEEEE10hipError_tPvRmT3_T4_T5_T6_T7_T9_mT8_P12ihipStream_tbDpT10_ENKUlT_T0_E_clISt17integral_constantIbLb0EES17_IbLb1EEEEDaS13_S14_EUlS13_E_NS1_11comp_targetILNS1_3genE2ELNS1_11target_archE906ELNS1_3gpuE6ELNS1_3repE0EEENS1_30default_config_static_selectorELNS0_4arch9wavefront6targetE0EEEvT1_.uses_vcc, 0
	.set _ZN7rocprim17ROCPRIM_400000_NS6detail17trampoline_kernelINS0_14default_configENS1_25partition_config_selectorILNS1_17partition_subalgoE6EdNS0_10empty_typeEbEEZZNS1_14partition_implILS5_6ELb0ES3_mN6thrust23THRUST_200600_302600_NS6detail15normal_iteratorINSA_10device_ptrIdEEEEPS6_SG_NS0_5tupleIJSF_S6_EEENSH_IJSG_SG_EEES6_PlJNSB_9not_fun_tI7is_evenIdEEEEEE10hipError_tPvRmT3_T4_T5_T6_T7_T9_mT8_P12ihipStream_tbDpT10_ENKUlT_T0_E_clISt17integral_constantIbLb0EES17_IbLb1EEEEDaS13_S14_EUlS13_E_NS1_11comp_targetILNS1_3genE2ELNS1_11target_archE906ELNS1_3gpuE6ELNS1_3repE0EEENS1_30default_config_static_selectorELNS0_4arch9wavefront6targetE0EEEvT1_.uses_flat_scratch, 0
	.set _ZN7rocprim17ROCPRIM_400000_NS6detail17trampoline_kernelINS0_14default_configENS1_25partition_config_selectorILNS1_17partition_subalgoE6EdNS0_10empty_typeEbEEZZNS1_14partition_implILS5_6ELb0ES3_mN6thrust23THRUST_200600_302600_NS6detail15normal_iteratorINSA_10device_ptrIdEEEEPS6_SG_NS0_5tupleIJSF_S6_EEENSH_IJSG_SG_EEES6_PlJNSB_9not_fun_tI7is_evenIdEEEEEE10hipError_tPvRmT3_T4_T5_T6_T7_T9_mT8_P12ihipStream_tbDpT10_ENKUlT_T0_E_clISt17integral_constantIbLb0EES17_IbLb1EEEEDaS13_S14_EUlS13_E_NS1_11comp_targetILNS1_3genE2ELNS1_11target_archE906ELNS1_3gpuE6ELNS1_3repE0EEENS1_30default_config_static_selectorELNS0_4arch9wavefront6targetE0EEEvT1_.has_dyn_sized_stack, 0
	.set _ZN7rocprim17ROCPRIM_400000_NS6detail17trampoline_kernelINS0_14default_configENS1_25partition_config_selectorILNS1_17partition_subalgoE6EdNS0_10empty_typeEbEEZZNS1_14partition_implILS5_6ELb0ES3_mN6thrust23THRUST_200600_302600_NS6detail15normal_iteratorINSA_10device_ptrIdEEEEPS6_SG_NS0_5tupleIJSF_S6_EEENSH_IJSG_SG_EEES6_PlJNSB_9not_fun_tI7is_evenIdEEEEEE10hipError_tPvRmT3_T4_T5_T6_T7_T9_mT8_P12ihipStream_tbDpT10_ENKUlT_T0_E_clISt17integral_constantIbLb0EES17_IbLb1EEEEDaS13_S14_EUlS13_E_NS1_11comp_targetILNS1_3genE2ELNS1_11target_archE906ELNS1_3gpuE6ELNS1_3repE0EEENS1_30default_config_static_selectorELNS0_4arch9wavefront6targetE0EEEvT1_.has_recursion, 0
	.set _ZN7rocprim17ROCPRIM_400000_NS6detail17trampoline_kernelINS0_14default_configENS1_25partition_config_selectorILNS1_17partition_subalgoE6EdNS0_10empty_typeEbEEZZNS1_14partition_implILS5_6ELb0ES3_mN6thrust23THRUST_200600_302600_NS6detail15normal_iteratorINSA_10device_ptrIdEEEEPS6_SG_NS0_5tupleIJSF_S6_EEENSH_IJSG_SG_EEES6_PlJNSB_9not_fun_tI7is_evenIdEEEEEE10hipError_tPvRmT3_T4_T5_T6_T7_T9_mT8_P12ihipStream_tbDpT10_ENKUlT_T0_E_clISt17integral_constantIbLb0EES17_IbLb1EEEEDaS13_S14_EUlS13_E_NS1_11comp_targetILNS1_3genE2ELNS1_11target_archE906ELNS1_3gpuE6ELNS1_3repE0EEENS1_30default_config_static_selectorELNS0_4arch9wavefront6targetE0EEEvT1_.has_indirect_call, 0
	.section	.AMDGPU.csdata,"",@progbits
; Kernel info:
; codeLenInByte = 0
; TotalNumSgprs: 0
; NumVgprs: 0
; ScratchSize: 0
; MemoryBound: 0
; FloatMode: 240
; IeeeMode: 1
; LDSByteSize: 0 bytes/workgroup (compile time only)
; SGPRBlocks: 0
; VGPRBlocks: 0
; NumSGPRsForWavesPerEU: 1
; NumVGPRsForWavesPerEU: 1
; Occupancy: 16
; WaveLimiterHint : 0
; COMPUTE_PGM_RSRC2:SCRATCH_EN: 0
; COMPUTE_PGM_RSRC2:USER_SGPR: 2
; COMPUTE_PGM_RSRC2:TRAP_HANDLER: 0
; COMPUTE_PGM_RSRC2:TGID_X_EN: 1
; COMPUTE_PGM_RSRC2:TGID_Y_EN: 0
; COMPUTE_PGM_RSRC2:TGID_Z_EN: 0
; COMPUTE_PGM_RSRC2:TIDIG_COMP_CNT: 0
	.section	.text._ZN7rocprim17ROCPRIM_400000_NS6detail17trampoline_kernelINS0_14default_configENS1_25partition_config_selectorILNS1_17partition_subalgoE6EdNS0_10empty_typeEbEEZZNS1_14partition_implILS5_6ELb0ES3_mN6thrust23THRUST_200600_302600_NS6detail15normal_iteratorINSA_10device_ptrIdEEEEPS6_SG_NS0_5tupleIJSF_S6_EEENSH_IJSG_SG_EEES6_PlJNSB_9not_fun_tI7is_evenIdEEEEEE10hipError_tPvRmT3_T4_T5_T6_T7_T9_mT8_P12ihipStream_tbDpT10_ENKUlT_T0_E_clISt17integral_constantIbLb0EES17_IbLb1EEEEDaS13_S14_EUlS13_E_NS1_11comp_targetILNS1_3genE10ELNS1_11target_archE1200ELNS1_3gpuE4ELNS1_3repE0EEENS1_30default_config_static_selectorELNS0_4arch9wavefront6targetE0EEEvT1_,"axG",@progbits,_ZN7rocprim17ROCPRIM_400000_NS6detail17trampoline_kernelINS0_14default_configENS1_25partition_config_selectorILNS1_17partition_subalgoE6EdNS0_10empty_typeEbEEZZNS1_14partition_implILS5_6ELb0ES3_mN6thrust23THRUST_200600_302600_NS6detail15normal_iteratorINSA_10device_ptrIdEEEEPS6_SG_NS0_5tupleIJSF_S6_EEENSH_IJSG_SG_EEES6_PlJNSB_9not_fun_tI7is_evenIdEEEEEE10hipError_tPvRmT3_T4_T5_T6_T7_T9_mT8_P12ihipStream_tbDpT10_ENKUlT_T0_E_clISt17integral_constantIbLb0EES17_IbLb1EEEEDaS13_S14_EUlS13_E_NS1_11comp_targetILNS1_3genE10ELNS1_11target_archE1200ELNS1_3gpuE4ELNS1_3repE0EEENS1_30default_config_static_selectorELNS0_4arch9wavefront6targetE0EEEvT1_,comdat
	.protected	_ZN7rocprim17ROCPRIM_400000_NS6detail17trampoline_kernelINS0_14default_configENS1_25partition_config_selectorILNS1_17partition_subalgoE6EdNS0_10empty_typeEbEEZZNS1_14partition_implILS5_6ELb0ES3_mN6thrust23THRUST_200600_302600_NS6detail15normal_iteratorINSA_10device_ptrIdEEEEPS6_SG_NS0_5tupleIJSF_S6_EEENSH_IJSG_SG_EEES6_PlJNSB_9not_fun_tI7is_evenIdEEEEEE10hipError_tPvRmT3_T4_T5_T6_T7_T9_mT8_P12ihipStream_tbDpT10_ENKUlT_T0_E_clISt17integral_constantIbLb0EES17_IbLb1EEEEDaS13_S14_EUlS13_E_NS1_11comp_targetILNS1_3genE10ELNS1_11target_archE1200ELNS1_3gpuE4ELNS1_3repE0EEENS1_30default_config_static_selectorELNS0_4arch9wavefront6targetE0EEEvT1_ ; -- Begin function _ZN7rocprim17ROCPRIM_400000_NS6detail17trampoline_kernelINS0_14default_configENS1_25partition_config_selectorILNS1_17partition_subalgoE6EdNS0_10empty_typeEbEEZZNS1_14partition_implILS5_6ELb0ES3_mN6thrust23THRUST_200600_302600_NS6detail15normal_iteratorINSA_10device_ptrIdEEEEPS6_SG_NS0_5tupleIJSF_S6_EEENSH_IJSG_SG_EEES6_PlJNSB_9not_fun_tI7is_evenIdEEEEEE10hipError_tPvRmT3_T4_T5_T6_T7_T9_mT8_P12ihipStream_tbDpT10_ENKUlT_T0_E_clISt17integral_constantIbLb0EES17_IbLb1EEEEDaS13_S14_EUlS13_E_NS1_11comp_targetILNS1_3genE10ELNS1_11target_archE1200ELNS1_3gpuE4ELNS1_3repE0EEENS1_30default_config_static_selectorELNS0_4arch9wavefront6targetE0EEEvT1_
	.globl	_ZN7rocprim17ROCPRIM_400000_NS6detail17trampoline_kernelINS0_14default_configENS1_25partition_config_selectorILNS1_17partition_subalgoE6EdNS0_10empty_typeEbEEZZNS1_14partition_implILS5_6ELb0ES3_mN6thrust23THRUST_200600_302600_NS6detail15normal_iteratorINSA_10device_ptrIdEEEEPS6_SG_NS0_5tupleIJSF_S6_EEENSH_IJSG_SG_EEES6_PlJNSB_9not_fun_tI7is_evenIdEEEEEE10hipError_tPvRmT3_T4_T5_T6_T7_T9_mT8_P12ihipStream_tbDpT10_ENKUlT_T0_E_clISt17integral_constantIbLb0EES17_IbLb1EEEEDaS13_S14_EUlS13_E_NS1_11comp_targetILNS1_3genE10ELNS1_11target_archE1200ELNS1_3gpuE4ELNS1_3repE0EEENS1_30default_config_static_selectorELNS0_4arch9wavefront6targetE0EEEvT1_
	.p2align	8
	.type	_ZN7rocprim17ROCPRIM_400000_NS6detail17trampoline_kernelINS0_14default_configENS1_25partition_config_selectorILNS1_17partition_subalgoE6EdNS0_10empty_typeEbEEZZNS1_14partition_implILS5_6ELb0ES3_mN6thrust23THRUST_200600_302600_NS6detail15normal_iteratorINSA_10device_ptrIdEEEEPS6_SG_NS0_5tupleIJSF_S6_EEENSH_IJSG_SG_EEES6_PlJNSB_9not_fun_tI7is_evenIdEEEEEE10hipError_tPvRmT3_T4_T5_T6_T7_T9_mT8_P12ihipStream_tbDpT10_ENKUlT_T0_E_clISt17integral_constantIbLb0EES17_IbLb1EEEEDaS13_S14_EUlS13_E_NS1_11comp_targetILNS1_3genE10ELNS1_11target_archE1200ELNS1_3gpuE4ELNS1_3repE0EEENS1_30default_config_static_selectorELNS0_4arch9wavefront6targetE0EEEvT1_,@function
_ZN7rocprim17ROCPRIM_400000_NS6detail17trampoline_kernelINS0_14default_configENS1_25partition_config_selectorILNS1_17partition_subalgoE6EdNS0_10empty_typeEbEEZZNS1_14partition_implILS5_6ELb0ES3_mN6thrust23THRUST_200600_302600_NS6detail15normal_iteratorINSA_10device_ptrIdEEEEPS6_SG_NS0_5tupleIJSF_S6_EEENSH_IJSG_SG_EEES6_PlJNSB_9not_fun_tI7is_evenIdEEEEEE10hipError_tPvRmT3_T4_T5_T6_T7_T9_mT8_P12ihipStream_tbDpT10_ENKUlT_T0_E_clISt17integral_constantIbLb0EES17_IbLb1EEEEDaS13_S14_EUlS13_E_NS1_11comp_targetILNS1_3genE10ELNS1_11target_archE1200ELNS1_3gpuE4ELNS1_3repE0EEENS1_30default_config_static_selectorELNS0_4arch9wavefront6targetE0EEEvT1_: ; @_ZN7rocprim17ROCPRIM_400000_NS6detail17trampoline_kernelINS0_14default_configENS1_25partition_config_selectorILNS1_17partition_subalgoE6EdNS0_10empty_typeEbEEZZNS1_14partition_implILS5_6ELb0ES3_mN6thrust23THRUST_200600_302600_NS6detail15normal_iteratorINSA_10device_ptrIdEEEEPS6_SG_NS0_5tupleIJSF_S6_EEENSH_IJSG_SG_EEES6_PlJNSB_9not_fun_tI7is_evenIdEEEEEE10hipError_tPvRmT3_T4_T5_T6_T7_T9_mT8_P12ihipStream_tbDpT10_ENKUlT_T0_E_clISt17integral_constantIbLb0EES17_IbLb1EEEEDaS13_S14_EUlS13_E_NS1_11comp_targetILNS1_3genE10ELNS1_11target_archE1200ELNS1_3gpuE4ELNS1_3repE0EEENS1_30default_config_static_selectorELNS0_4arch9wavefront6targetE0EEEvT1_
; %bb.0:
	s_clause 0x3
	s_load_b64 s[12:13], s[0:1], 0x28
	s_load_b128 s[4:7], s[0:1], 0x40
	s_load_b64 s[16:17], s[0:1], 0x50
	s_load_b64 s[14:15], s[0:1], 0x60
	v_cmp_eq_u32_e64 s2, 0, v0
	s_and_saveexec_b32 s3, s2
	s_cbranch_execz .LBB562_4
; %bb.1:
	s_mov_b32 s9, exec_lo
	s_mov_b32 s8, exec_lo
	v_mbcnt_lo_u32_b32 v1, s9, 0
                                        ; implicit-def: $vgpr2
	s_delay_alu instid0(VALU_DEP_1)
	v_cmpx_eq_u32_e32 0, v1
	s_cbranch_execz .LBB562_3
; %bb.2:
	s_load_b64 s[10:11], s[0:1], 0x70
	s_bcnt1_i32_b32 s9, s9
	s_wait_alu 0xfffe
	v_dual_mov_b32 v2, 0 :: v_dual_mov_b32 v3, s9
	s_wait_kmcnt 0x0
	global_atomic_add_u32 v2, v2, v3, s[10:11] th:TH_ATOMIC_RETURN scope:SCOPE_DEV
.LBB562_3:
	s_or_b32 exec_lo, exec_lo, s8
	s_wait_loadcnt 0x0
	v_readfirstlane_b32 s8, v2
	s_wait_alu 0xf1ff
	s_delay_alu instid0(VALU_DEP_1)
	v_dual_mov_b32 v2, 0 :: v_dual_add_nc_u32 v1, s8, v1
	ds_store_b32 v2, v1
.LBB562_4:
	s_or_b32 exec_lo, exec_lo, s3
	v_mov_b32_e32 v2, 0
	s_clause 0x1
	s_load_b128 s[8:11], s[0:1], 0x8
	s_load_b32 s0, s[0:1], 0x68
	s_wait_dscnt 0x0
	s_barrier_signal -1
	s_barrier_wait -1
	global_inv scope:SCOPE_SE
	ds_load_b32 v1, v2
	s_wait_loadcnt_dscnt 0x0
	s_barrier_signal -1
	s_barrier_wait -1
	global_inv scope:SCOPE_SE
	s_mov_b32 s1, 0
	v_lshrrev_b32_e32 v9, 2, v0
	v_or_b32_e32 v11, 0x200, v0
	v_or_b32_e32 v10, 0x300, v0
	s_wait_kmcnt 0x0
	s_lshl_b64 s[20:21], s[10:11], 3
	s_add_co_i32 s3, s0, -1
	s_lshl_b32 s0, s0, 10
	s_lshl_b32 s19, s3, 10
	s_add_nc_u64 s[8:9], s[8:9], s[20:21]
	v_readfirstlane_b32 s18, v1
	v_lshlrev_b32_e32 v1, 10, v1
	global_load_b64 v[17:18], v2, s[6:7]
	s_add_nc_u64 s[6:7], s[10:11], s[0:1]
	s_add_co_i32 s0, s10, s19
	v_cmp_le_u64_e64 s1, s[16:17], s[6:7]
	v_lshlrev_b64_e32 v[1:2], 3, v[1:2]
	s_cmp_eq_u32 s18, s3
	s_cselect_b32 s6, -1, 0
	s_wait_alu 0xfffe
	s_and_b32 s1, s1, s6
	s_delay_alu instid0(VALU_DEP_1) | instskip(NEXT) | instid1(VALU_DEP_1)
	v_add_co_u32 v12, vcc_lo, s8, v1
	v_add_co_ci_u32_e64 v13, null, s9, v2, vcc_lo
	s_xor_b32 s7, s1, -1
	s_mov_b32 s1, -1
	s_wait_alu 0xfffe
	s_and_b32 vcc_lo, exec_lo, s7
	s_wait_alu 0xfffe
	s_cbranch_vccz .LBB562_6
; %bb.5:
	v_lshlrev_b32_e32 v14, 3, v0
	v_or_b32_e32 v15, 0x100, v0
	v_lshrrev_b32_e32 v16, 2, v11
	v_lshrrev_b32_e32 v19, 2, v10
	v_and_b32_e32 v20, 56, v9
	v_add_co_u32 v1, vcc_lo, v12, v14
	s_wait_alu 0xfffd
	v_add_co_ci_u32_e64 v2, null, 0, v13, vcc_lo
	v_lshrrev_b32_e32 v15, 2, v15
	v_and_b32_e32 v16, 0xb8, v16
	v_and_b32_e32 v19, 0xf8, v19
	s_clause 0x3
	flat_load_b64 v[3:4], v[1:2]
	flat_load_b64 v[5:6], v[1:2] offset:2048
	flat_load_b64 v[7:8], v[1:2] offset:4096
	;; [unrolled: 1-line block ×3, first 2 shown]
	v_add_nc_u32_e32 v20, v20, v14
	v_and_b32_e32 v15, 0x78, v15
	v_add_nc_u32_e32 v16, v16, v14
	s_mov_b32 s1, 0
	s_delay_alu instid0(VALU_DEP_2)
	v_add_nc_u32_e32 v15, v15, v14
	v_add_nc_u32_e32 v14, v19, v14
	s_wait_loadcnt_dscnt 0x303
	ds_store_b64 v20, v[3:4]
	s_wait_loadcnt_dscnt 0x203
	ds_store_b64 v15, v[5:6] offset:2048
	s_wait_loadcnt_dscnt 0x103
	ds_store_b64 v16, v[7:8] offset:4096
	;; [unrolled: 2-line block ×3, first 2 shown]
	s_wait_dscnt 0x0
	s_barrier_signal -1
	s_barrier_wait -1
.LBB562_6:
	s_and_not1_b32 vcc_lo, exec_lo, s1
	s_sub_co_i32 s0, s16, s0
	s_wait_alu 0xfffe
	s_cbranch_vccnz .LBB562_14
; %bb.7:
	v_mov_b32_e32 v1, 0
	s_mov_b32 s1, exec_lo
	s_delay_alu instid0(VALU_DEP_1)
	v_dual_mov_b32 v2, v1 :: v_dual_mov_b32 v3, v1
	v_dual_mov_b32 v4, v1 :: v_dual_mov_b32 v5, v1
	;; [unrolled: 1-line block ×3, first 2 shown]
	v_mov_b32_e32 v8, v1
	v_cmpx_gt_u32_e64 s0, v0
	s_cbranch_execz .LBB562_9
; %bb.8:
	v_dual_mov_b32 v21, v1 :: v_dual_lshlrev_b32 v2, 3, v0
	v_dual_mov_b32 v22, v1 :: v_dual_mov_b32 v23, v1
	v_dual_mov_b32 v24, v1 :: v_dual_mov_b32 v25, v1
	s_delay_alu instid0(VALU_DEP_3)
	v_add_co_u32 v2, vcc_lo, v12, v2
	s_wait_alu 0xfffd
	v_add_co_ci_u32_e64 v3, null, 0, v13, vcc_lo
	v_mov_b32_e32 v26, v1
	flat_load_b64 v[19:20], v[2:3]
	s_wait_loadcnt_dscnt 0x0
	v_dual_mov_b32 v1, v19 :: v_dual_mov_b32 v2, v20
	v_dual_mov_b32 v3, v21 :: v_dual_mov_b32 v4, v22
	v_dual_mov_b32 v5, v23 :: v_dual_mov_b32 v6, v24
	v_dual_mov_b32 v7, v25 :: v_dual_mov_b32 v8, v26
.LBB562_9:
	s_or_b32 exec_lo, exec_lo, s1
	v_or_b32_e32 v14, 0x100, v0
	s_mov_b32 s1, exec_lo
	s_delay_alu instid0(VALU_DEP_1)
	v_cmpx_gt_u32_e64 s0, v14
	s_cbranch_execnz .LBB562_132
; %bb.10:
	s_wait_alu 0xfffe
	s_or_b32 exec_lo, exec_lo, s1
	s_delay_alu instid0(SALU_CYCLE_1)
	s_mov_b32 s1, exec_lo
	v_cmpx_gt_u32_e64 s0, v11
	s_cbranch_execnz .LBB562_133
.LBB562_11:
	s_wait_alu 0xfffe
	s_or_b32 exec_lo, exec_lo, s1
	s_delay_alu instid0(SALU_CYCLE_1)
	s_mov_b32 s1, exec_lo
	v_cmpx_gt_u32_e64 s0, v10
	s_cbranch_execz .LBB562_13
.LBB562_12:
	v_lshlrev_b32_e32 v7, 3, v0
	s_delay_alu instid0(VALU_DEP_1)
	v_add_co_u32 v7, vcc_lo, v12, v7
	s_wait_alu 0xfffd
	v_add_co_ci_u32_e64 v8, null, 0, v13, vcc_lo
	flat_load_b64 v[7:8], v[7:8] offset:6144
.LBB562_13:
	s_wait_alu 0xfffe
	s_or_b32 exec_lo, exec_lo, s1
	v_lshrrev_b32_e32 v12, 2, v14
	v_lshrrev_b32_e32 v11, 2, v11
	;; [unrolled: 1-line block ×3, first 2 shown]
	v_and_b32_e32 v9, 56, v9
	v_lshlrev_b32_e32 v13, 3, v0
	v_and_b32_e32 v12, 0x78, v12
	v_and_b32_e32 v11, 0xf8, v11
	;; [unrolled: 1-line block ×3, first 2 shown]
	s_delay_alu instid0(VALU_DEP_4) | instskip(NEXT) | instid1(VALU_DEP_4)
	v_add_nc_u32_e32 v9, v9, v13
	v_add_nc_u32_e32 v12, v12, v13
	s_delay_alu instid0(VALU_DEP_4) | instskip(NEXT) | instid1(VALU_DEP_4)
	v_add_nc_u32_e32 v11, v11, v13
	v_add_nc_u32_e32 v10, v10, v13
	ds_store_b64 v9, v[1:2]
	s_wait_loadcnt_dscnt 0x1
	ds_store_b64 v12, v[3:4] offset:2048
	ds_store_b64 v11, v[5:6] offset:4096
	;; [unrolled: 1-line block ×3, first 2 shown]
	s_wait_dscnt 0x0
	s_barrier_signal -1
	s_barrier_wait -1
.LBB562_14:
	v_and_b32_e32 v1, 0xf8, v0
	s_wait_loadcnt 0x0
	global_inv scope:SCOPE_SE
	s_and_not1_b32 vcc_lo, exec_lo, s7
	v_lshl_add_u32 v5, v0, 5, v1
	ds_load_2addr_b64 v[1:4], v5 offset0:2 offset1:3
	ds_load_2addr_b64 v[5:8], v5 offset1:1
	s_wait_loadcnt_dscnt 0x0
	s_barrier_signal -1
	s_barrier_wait -1
	global_inv scope:SCOPE_SE
	s_wait_alu 0xfffe
	s_cbranch_vccnz .LBB562_16
; %bb.15:
	v_cvt_u32_f64_e32 v9, v[3:4]
	v_cvt_u32_f64_e32 v10, v[1:2]
	;; [unrolled: 1-line block ×4, first 2 shown]
	s_delay_alu instid0(VALU_DEP_4) | instskip(NEXT) | instid1(VALU_DEP_4)
	v_and_b32_e32 v27, 1, v9
	v_and_b32_e32 v28, 1, v10
	s_delay_alu instid0(VALU_DEP_4) | instskip(NEXT) | instid1(VALU_DEP_4)
	v_and_b32_e32 v29, 1, v11
	v_and_b32_e32 v30, 1, v12
	s_cbranch_execz .LBB562_17
	s_branch .LBB562_18
.LBB562_16:
                                        ; implicit-def: $vgpr30
                                        ; implicit-def: $vgpr29
                                        ; implicit-def: $vgpr28
                                        ; implicit-def: $vgpr27
.LBB562_17:
	v_cvt_u32_f64_e32 v9, v[3:4]
	v_cvt_u32_f64_e32 v10, v[1:2]
	;; [unrolled: 1-line block ×3, first 2 shown]
	v_lshlrev_b32_e32 v13, 2, v0
	v_cvt_u32_f64_e32 v12, v[5:6]
	s_delay_alu instid0(VALU_DEP_2) | instskip(SKIP_2) | instid1(VALU_DEP_3)
	v_or_b32_e32 v14, 3, v13
	v_or_b32_e32 v15, 2, v13
	;; [unrolled: 1-line block ×3, first 2 shown]
	v_cmp_gt_u32_e32 vcc_lo, s0, v14
	s_wait_alu 0xfffd
	v_cndmask_b32_e64 v14, 0, 1, vcc_lo
	v_cmp_gt_u32_e32 vcc_lo, s0, v15
	s_wait_alu 0xfffd
	v_cndmask_b32_e64 v15, 0, 1, vcc_lo
	v_cmp_gt_u32_e32 vcc_lo, s0, v16
	v_and_b32_e32 v9, v14, v9
	s_wait_alu 0xfffd
	v_cndmask_b32_e64 v14, 0, 1, vcc_lo
	v_and_b32_e32 v10, v15, v10
	v_cmp_gt_u32_e32 vcc_lo, s0, v13
	v_lshlrev_b16 v9, 8, v9
	s_delay_alu instid0(VALU_DEP_4) | instskip(NEXT) | instid1(VALU_DEP_2)
	v_and_b32_e32 v11, v14, v11
	v_or_b32_e32 v28, v10, v9
	s_delay_alu instid0(VALU_DEP_2) | instskip(SKIP_2) | instid1(VALU_DEP_3)
	v_lshlrev_b16 v9, 8, v11
	s_wait_alu 0xfffd
	v_cndmask_b32_e64 v10, 0, 1, vcc_lo
	v_lshlrev_b32_e32 v11, 16, v28
	s_delay_alu instid0(VALU_DEP_3) | instskip(NEXT) | instid1(VALU_DEP_3)
	v_and_b32_e32 v13, 0xffff, v9
	v_and_b32_e32 v10, v10, v12
	s_delay_alu instid0(VALU_DEP_3) | instskip(NEXT) | instid1(VALU_DEP_3)
	v_lshrrev_b32_e32 v27, 24, v11
	v_or_b32_e32 v12, v13, v11
	s_delay_alu instid0(VALU_DEP_3) | instskip(NEXT) | instid1(VALU_DEP_2)
	v_or_b32_e32 v30, v10, v9
	v_lshrrev_b32_e32 v29, 8, v12
.LBB562_18:
	s_delay_alu instid0(VALU_DEP_1) | instskip(NEXT) | instid1(VALU_DEP_2)
	v_dual_mov_b32 v10, 0 :: v_dual_and_b32 v33, 0xff, v30
	v_and_b32_e32 v32, 0xff, v29
	v_and_b32_e32 v31, 0xff, v28
	v_mbcnt_lo_u32_b32 v34, -1, 0
	v_and_b32_e32 v9, 0xff, v27
	s_cmp_lg_u32 s18, 0
	s_mov_b32 s1, -1
	v_add3_u32 v11, v32, v33, v31
	v_and_b32_e32 v35, 15, v34
	s_delay_alu instid0(VALU_DEP_2) | instskip(SKIP_2) | instid1(VALU_DEP_3)
	v_add_co_u32 v19, s0, v11, v9
	s_wait_alu 0xf1ff
	v_add_co_ci_u32_e64 v20, null, 0, 0, s0
	v_cmp_ne_u32_e64 s0, 0, v35
	s_cbranch_scc0 .LBB562_75
; %bb.19:
	v_mov_b32_e32 v11, v19
	v_mov_b32_dpp v9, v19 row_shr:1 row_mask:0xf bank_mask:0xf
	v_mov_b32_dpp v14, v10 row_shr:1 row_mask:0xf bank_mask:0xf
	v_dual_mov_b32 v13, v19 :: v_dual_mov_b32 v12, v20
	s_and_saveexec_b32 s1, s0
; %bb.20:
	s_delay_alu instid0(VALU_DEP_3) | instskip(SKIP_2) | instid1(VALU_DEP_2)
	v_add_co_u32 v13, vcc_lo, v19, v9
	s_wait_alu 0xfffd
	v_add_co_ci_u32_e64 v10, null, 0, v20, vcc_lo
	v_add_co_u32 v9, vcc_lo, 0, v13
	s_wait_alu 0xfffd
	s_delay_alu instid0(VALU_DEP_2) | instskip(NEXT) | instid1(VALU_DEP_1)
	v_add_co_ci_u32_e64 v10, null, v14, v10, vcc_lo
	v_dual_mov_b32 v12, v10 :: v_dual_mov_b32 v11, v9
; %bb.21:
	s_wait_alu 0xfffe
	s_or_b32 exec_lo, exec_lo, s1
	v_mov_b32_dpp v9, v13 row_shr:2 row_mask:0xf bank_mask:0xf
	v_mov_b32_dpp v14, v10 row_shr:2 row_mask:0xf bank_mask:0xf
	s_mov_b32 s1, exec_lo
	v_cmpx_lt_u32_e32 1, v35
; %bb.22:
	s_delay_alu instid0(VALU_DEP_3) | instskip(SKIP_2) | instid1(VALU_DEP_2)
	v_add_co_u32 v13, vcc_lo, v11, v9
	s_wait_alu 0xfffd
	v_add_co_ci_u32_e64 v10, null, 0, v12, vcc_lo
	v_add_co_u32 v9, vcc_lo, 0, v13
	s_wait_alu 0xfffd
	s_delay_alu instid0(VALU_DEP_2) | instskip(NEXT) | instid1(VALU_DEP_1)
	v_add_co_ci_u32_e64 v10, null, v14, v10, vcc_lo
	v_dual_mov_b32 v12, v10 :: v_dual_mov_b32 v11, v9
; %bb.23:
	s_wait_alu 0xfffe
	s_or_b32 exec_lo, exec_lo, s1
	v_mov_b32_dpp v9, v13 row_shr:4 row_mask:0xf bank_mask:0xf
	v_mov_b32_dpp v14, v10 row_shr:4 row_mask:0xf bank_mask:0xf
	s_mov_b32 s1, exec_lo
	v_cmpx_lt_u32_e32 3, v35
; %bb.24:
	s_delay_alu instid0(VALU_DEP_3) | instskip(SKIP_2) | instid1(VALU_DEP_2)
	v_add_co_u32 v13, vcc_lo, v11, v9
	s_wait_alu 0xfffd
	v_add_co_ci_u32_e64 v10, null, 0, v12, vcc_lo
	v_add_co_u32 v9, vcc_lo, 0, v13
	s_wait_alu 0xfffd
	s_delay_alu instid0(VALU_DEP_2) | instskip(NEXT) | instid1(VALU_DEP_1)
	v_add_co_ci_u32_e64 v10, null, v14, v10, vcc_lo
	v_dual_mov_b32 v12, v10 :: v_dual_mov_b32 v11, v9
; %bb.25:
	s_wait_alu 0xfffe
	s_or_b32 exec_lo, exec_lo, s1
	v_mov_b32_dpp v14, v13 row_shr:8 row_mask:0xf bank_mask:0xf
	v_mov_b32_dpp v9, v10 row_shr:8 row_mask:0xf bank_mask:0xf
	s_mov_b32 s1, exec_lo
	v_cmpx_lt_u32_e32 7, v35
; %bb.26:
	s_delay_alu instid0(VALU_DEP_3) | instskip(SKIP_2) | instid1(VALU_DEP_2)
	v_add_co_u32 v13, vcc_lo, v11, v14
	s_wait_alu 0xfffd
	v_add_co_ci_u32_e64 v10, null, 0, v12, vcc_lo
	v_add_co_u32 v11, vcc_lo, 0, v13
	s_wait_alu 0xfffd
	s_delay_alu instid0(VALU_DEP_2) | instskip(NEXT) | instid1(VALU_DEP_1)
	v_add_co_ci_u32_e64 v12, null, v9, v10, vcc_lo
	v_mov_b32_e32 v10, v12
; %bb.27:
	s_wait_alu 0xfffe
	s_or_b32 exec_lo, exec_lo, s1
	ds_swizzle_b32 v9, v13 offset:swizzle(BROADCAST,32,15)
	ds_swizzle_b32 v14, v10 offset:swizzle(BROADCAST,32,15)
	v_and_b32_e32 v15, 16, v34
	s_mov_b32 s1, exec_lo
	s_delay_alu instid0(VALU_DEP_1)
	v_cmpx_ne_u32_e32 0, v15
	s_cbranch_execz .LBB562_29
; %bb.28:
	s_wait_dscnt 0x1
	v_add_co_u32 v13, vcc_lo, v11, v9
	s_wait_alu 0xfffd
	v_add_co_ci_u32_e64 v10, null, 0, v12, vcc_lo
	s_delay_alu instid0(VALU_DEP_2) | instskip(SKIP_2) | instid1(VALU_DEP_2)
	v_add_co_u32 v9, vcc_lo, 0, v13
	s_wait_dscnt 0x0
	s_wait_alu 0xfffd
	v_add_co_ci_u32_e64 v10, null, v14, v10, vcc_lo
	s_delay_alu instid0(VALU_DEP_1)
	v_dual_mov_b32 v12, v10 :: v_dual_mov_b32 v11, v9
.LBB562_29:
	s_wait_alu 0xfffe
	s_or_b32 exec_lo, exec_lo, s1
	s_wait_dscnt 0x0
	v_or_b32_e32 v14, 31, v0
	v_lshrrev_b32_e32 v9, 5, v0
	s_mov_b32 s1, exec_lo
	s_delay_alu instid0(VALU_DEP_2)
	v_cmpx_eq_u32_e64 v0, v14
; %bb.30:
	s_delay_alu instid0(VALU_DEP_2)
	v_lshlrev_b32_e32 v14, 3, v9
	ds_store_b64 v14, v[11:12]
; %bb.31:
	s_wait_alu 0xfffe
	s_or_b32 exec_lo, exec_lo, s1
	s_delay_alu instid0(SALU_CYCLE_1)
	s_mov_b32 s1, exec_lo
	s_wait_loadcnt_dscnt 0x0
	s_barrier_signal -1
	s_barrier_wait -1
	global_inv scope:SCOPE_SE
	v_cmpx_gt_u32_e32 8, v0
	s_cbranch_execz .LBB562_39
; %bb.32:
	v_lshlrev_b32_e32 v14, 3, v0
	s_mov_b32 s3, exec_lo
	ds_load_b64 v[11:12], v14
	s_wait_dscnt 0x0
	v_dual_mov_b32 v16, v11 :: v_dual_and_b32 v15, 7, v34
	v_mov_b32_dpp v22, v11 row_shr:1 row_mask:0xf bank_mask:0xf
	v_mov_b32_dpp v21, v12 row_shr:1 row_mask:0xf bank_mask:0xf
	s_delay_alu instid0(VALU_DEP_3)
	v_cmpx_ne_u32_e32 0, v15
; %bb.33:
	s_delay_alu instid0(VALU_DEP_3) | instskip(SKIP_2) | instid1(VALU_DEP_2)
	v_add_co_u32 v16, vcc_lo, v11, v22
	s_wait_alu 0xfffd
	v_add_co_ci_u32_e64 v12, null, 0, v12, vcc_lo
	v_add_co_u32 v11, vcc_lo, 0, v16
	s_wait_alu 0xfffd
	s_delay_alu instid0(VALU_DEP_2)
	v_add_co_ci_u32_e64 v12, null, v21, v12, vcc_lo
; %bb.34:
	s_or_b32 exec_lo, exec_lo, s3
	v_mov_b32_dpp v22, v16 row_shr:2 row_mask:0xf bank_mask:0xf
	s_delay_alu instid0(VALU_DEP_2)
	v_mov_b32_dpp v21, v12 row_shr:2 row_mask:0xf bank_mask:0xf
	s_mov_b32 s3, exec_lo
	v_cmpx_lt_u32_e32 1, v15
; %bb.35:
	s_delay_alu instid0(VALU_DEP_3) | instskip(SKIP_2) | instid1(VALU_DEP_2)
	v_add_co_u32 v16, vcc_lo, v11, v22
	s_wait_alu 0xfffd
	v_add_co_ci_u32_e64 v12, null, 0, v12, vcc_lo
	v_add_co_u32 v11, vcc_lo, 0, v16
	s_wait_alu 0xfffd
	s_delay_alu instid0(VALU_DEP_2)
	v_add_co_ci_u32_e64 v12, null, v21, v12, vcc_lo
; %bb.36:
	s_or_b32 exec_lo, exec_lo, s3
	v_mov_b32_dpp v21, v16 row_shr:4 row_mask:0xf bank_mask:0xf
	s_delay_alu instid0(VALU_DEP_2)
	v_mov_b32_dpp v16, v12 row_shr:4 row_mask:0xf bank_mask:0xf
	s_mov_b32 s3, exec_lo
	v_cmpx_lt_u32_e32 3, v15
; %bb.37:
	s_delay_alu instid0(VALU_DEP_3) | instskip(SKIP_2) | instid1(VALU_DEP_2)
	v_add_co_u32 v11, vcc_lo, v11, v21
	s_wait_alu 0xfffd
	v_add_co_ci_u32_e64 v12, null, 0, v12, vcc_lo
	v_add_co_u32 v11, vcc_lo, v11, 0
	s_wait_alu 0xfffd
	s_delay_alu instid0(VALU_DEP_2)
	v_add_co_ci_u32_e64 v12, null, v12, v16, vcc_lo
; %bb.38:
	s_or_b32 exec_lo, exec_lo, s3
	ds_store_b64 v14, v[11:12]
.LBB562_39:
	s_wait_alu 0xfffe
	s_or_b32 exec_lo, exec_lo, s1
	s_delay_alu instid0(SALU_CYCLE_1)
	s_mov_b32 s3, exec_lo
	v_cmp_gt_u32_e32 vcc_lo, 32, v0
	s_wait_loadcnt_dscnt 0x0
	s_barrier_signal -1
	s_barrier_wait -1
	global_inv scope:SCOPE_SE
                                        ; implicit-def: $vgpr21_vgpr22
	v_cmpx_lt_u32_e32 31, v0
	s_cbranch_execz .LBB562_41
; %bb.40:
	v_lshl_add_u32 v9, v9, 3, -8
	ds_load_b64 v[21:22], v9
	s_wait_dscnt 0x0
	v_add_co_u32 v13, s1, v13, v21
	s_wait_alu 0xf1ff
	v_add_co_ci_u32_e64 v10, null, v10, v22, s1
.LBB562_41:
	s_or_b32 exec_lo, exec_lo, s3
	v_sub_co_u32 v9, s1, v34, 1
	s_delay_alu instid0(VALU_DEP_1) | instskip(NEXT) | instid1(VALU_DEP_1)
	v_cmp_gt_i32_e64 s3, 0, v9
	v_cndmask_b32_e64 v9, v9, v34, s3
	s_delay_alu instid0(VALU_DEP_1)
	v_lshlrev_b32_e32 v9, 2, v9
	ds_bpermute_b32 v36, v9, v13
	ds_bpermute_b32 v37, v9, v10
	s_and_saveexec_b32 s3, vcc_lo
	s_cbranch_execz .LBB562_80
; %bb.42:
	v_mov_b32_e32 v12, 0
	ds_load_b64 v[9:10], v12 offset:56
	s_and_saveexec_b32 s8, s1
	s_cbranch_execz .LBB562_44
; %bb.43:
	s_add_co_i32 s10, s18, 32
	s_mov_b32 s11, 0
	s_delay_alu instid0(SALU_CYCLE_1) | instskip(NEXT) | instid1(SALU_CYCLE_1)
	s_lshl_b64 s[10:11], s[10:11], 4
	s_add_nc_u64 s[10:11], s[14:15], s[10:11]
	s_delay_alu instid0(SALU_CYCLE_1)
	v_dual_mov_b32 v11, 1 :: v_dual_mov_b32 v14, s11
	v_mov_b32_e32 v13, s10
	s_wait_dscnt 0x0
	;;#ASMSTART
	global_store_b128 v[13:14], v[9:12] off scope:SCOPE_DEV	
s_wait_storecnt 0x0
	;;#ASMEND
.LBB562_44:
	s_wait_alu 0xfffe
	s_or_b32 exec_lo, exec_lo, s8
	v_xad_u32 v23, v34, -1, s18
	s_mov_b32 s9, 0
	s_mov_b32 s8, exec_lo
	s_delay_alu instid0(VALU_DEP_1) | instskip(NEXT) | instid1(VALU_DEP_1)
	v_add_nc_u32_e32 v11, 32, v23
	v_lshlrev_b64_e32 v[11:12], 4, v[11:12]
	s_delay_alu instid0(VALU_DEP_1) | instskip(SKIP_1) | instid1(VALU_DEP_2)
	v_add_co_u32 v11, vcc_lo, s14, v11
	s_wait_alu 0xfffd
	v_add_co_ci_u32_e64 v12, null, s15, v12, vcc_lo
	;;#ASMSTART
	global_load_b128 v[13:16], v[11:12] off scope:SCOPE_DEV	
s_wait_loadcnt 0x0
	;;#ASMEND
	v_and_b32_e32 v16, 0xff, v15
	s_delay_alu instid0(VALU_DEP_1)
	v_cmpx_eq_u16_e32 0, v16
	s_cbranch_execz .LBB562_47
.LBB562_45:                             ; =>This Inner Loop Header: Depth=1
	;;#ASMSTART
	global_load_b128 v[13:16], v[11:12] off scope:SCOPE_DEV	
s_wait_loadcnt 0x0
	;;#ASMEND
	v_and_b32_e32 v16, 0xff, v15
	s_delay_alu instid0(VALU_DEP_1)
	v_cmp_ne_u16_e32 vcc_lo, 0, v16
	s_wait_alu 0xfffe
	s_or_b32 s9, vcc_lo, s9
	s_wait_alu 0xfffe
	s_and_not1_b32 exec_lo, exec_lo, s9
	s_cbranch_execnz .LBB562_45
; %bb.46:
	s_or_b32 exec_lo, exec_lo, s9
.LBB562_47:
	s_wait_alu 0xfffe
	s_or_b32 exec_lo, exec_lo, s8
	v_cmp_ne_u32_e32 vcc_lo, 31, v34
	v_and_b32_e32 v12, 0xff, v15
	v_lshlrev_b32_e64 v39, v34, -1
	s_mov_b32 s8, exec_lo
	s_wait_alu 0xfffd
	v_add_co_ci_u32_e64 v11, null, 0, v34, vcc_lo
	v_cmp_eq_u16_e32 vcc_lo, 2, v12
	v_mov_b32_e32 v12, v13
	s_delay_alu instid0(VALU_DEP_3)
	v_lshlrev_b32_e32 v38, 2, v11
	s_wait_alu 0xfffd
	v_and_or_b32 v11, vcc_lo, v39, 0x80000000
	ds_bpermute_b32 v24, v38, v13
	ds_bpermute_b32 v16, v38, v14
	v_ctz_i32_b32_e32 v11, v11
	s_delay_alu instid0(VALU_DEP_1)
	v_cmpx_lt_u32_e64 v34, v11
	s_cbranch_execz .LBB562_49
; %bb.48:
	s_wait_dscnt 0x1
	v_add_co_u32 v12, vcc_lo, v13, v24
	s_wait_alu 0xfffd
	v_add_co_ci_u32_e64 v14, null, 0, v14, vcc_lo
	s_delay_alu instid0(VALU_DEP_2) | instskip(SKIP_2) | instid1(VALU_DEP_2)
	v_add_co_u32 v13, vcc_lo, 0, v12
	s_wait_dscnt 0x0
	s_wait_alu 0xfffd
	v_add_co_ci_u32_e64 v14, null, v16, v14, vcc_lo
.LBB562_49:
	s_wait_alu 0xfffe
	s_or_b32 exec_lo, exec_lo, s8
	v_cmp_gt_u32_e32 vcc_lo, 30, v34
	v_add_nc_u32_e32 v41, 2, v34
	s_mov_b32 s8, exec_lo
	s_wait_dscnt 0x0
	s_wait_alu 0xfffd
	v_cndmask_b32_e64 v16, 0, 2, vcc_lo
	s_delay_alu instid0(VALU_DEP_1)
	v_add_lshl_u32 v40, v16, v34, 2
	ds_bpermute_b32 v24, v40, v12
	ds_bpermute_b32 v16, v40, v14
	v_cmpx_le_u32_e64 v41, v11
	s_cbranch_execz .LBB562_51
; %bb.50:
	s_wait_dscnt 0x1
	v_add_co_u32 v12, vcc_lo, v13, v24
	s_wait_alu 0xfffd
	v_add_co_ci_u32_e64 v14, null, 0, v14, vcc_lo
	s_delay_alu instid0(VALU_DEP_2) | instskip(SKIP_2) | instid1(VALU_DEP_2)
	v_add_co_u32 v13, vcc_lo, 0, v12
	s_wait_dscnt 0x0
	s_wait_alu 0xfffd
	v_add_co_ci_u32_e64 v14, null, v16, v14, vcc_lo
.LBB562_51:
	s_wait_alu 0xfffe
	s_or_b32 exec_lo, exec_lo, s8
	v_cmp_gt_u32_e32 vcc_lo, 28, v34
	v_add_nc_u32_e32 v43, 4, v34
	s_mov_b32 s8, exec_lo
	s_wait_dscnt 0x0
	s_wait_alu 0xfffd
	v_cndmask_b32_e64 v16, 0, 4, vcc_lo
	s_delay_alu instid0(VALU_DEP_1)
	v_add_lshl_u32 v42, v16, v34, 2
	ds_bpermute_b32 v24, v42, v12
	ds_bpermute_b32 v16, v42, v14
	v_cmpx_le_u32_e64 v43, v11
	;; [unrolled: 25-line block ×3, first 2 shown]
	s_cbranch_execz .LBB562_55
; %bb.54:
	s_wait_dscnt 0x1
	v_add_co_u32 v12, vcc_lo, v13, v24
	s_wait_alu 0xfffd
	v_add_co_ci_u32_e64 v14, null, 0, v14, vcc_lo
	s_delay_alu instid0(VALU_DEP_2) | instskip(SKIP_2) | instid1(VALU_DEP_2)
	v_add_co_u32 v13, vcc_lo, 0, v12
	s_wait_dscnt 0x0
	s_wait_alu 0xfffd
	v_add_co_ci_u32_e64 v14, null, v16, v14, vcc_lo
.LBB562_55:
	s_wait_alu 0xfffe
	s_or_b32 exec_lo, exec_lo, s8
	v_lshl_or_b32 v46, v34, 2, 64
	v_add_nc_u32_e32 v47, 16, v34
	s_mov_b32 s8, exec_lo
	s_wait_dscnt 0x0
	ds_bpermute_b32 v16, v46, v12
	ds_bpermute_b32 v12, v46, v14
	v_cmpx_le_u32_e64 v47, v11
	s_cbranch_execz .LBB562_57
; %bb.56:
	s_wait_dscnt 0x1
	v_add_co_u32 v11, vcc_lo, v13, v16
	s_wait_alu 0xfffd
	v_add_co_ci_u32_e64 v14, null, 0, v14, vcc_lo
	s_delay_alu instid0(VALU_DEP_2) | instskip(SKIP_2) | instid1(VALU_DEP_2)
	v_add_co_u32 v13, vcc_lo, v11, 0
	s_wait_dscnt 0x0
	s_wait_alu 0xfffd
	v_add_co_ci_u32_e64 v14, null, v14, v12, vcc_lo
.LBB562_57:
	s_wait_alu 0xfffe
	s_or_b32 exec_lo, exec_lo, s8
	v_mov_b32_e32 v24, 0
	s_branch .LBB562_60
.LBB562_58:                             ;   in Loop: Header=BB562_60 Depth=1
	s_wait_alu 0xfffe
	s_or_b32 exec_lo, exec_lo, s8
	v_add_co_u32 v13, vcc_lo, v13, v11
	v_subrev_nc_u32_e32 v23, 32, v23
	s_wait_alu 0xfffd
	v_add_co_ci_u32_e64 v14, null, v14, v12, vcc_lo
	s_mov_b32 s8, 0
.LBB562_59:                             ;   in Loop: Header=BB562_60 Depth=1
	s_wait_alu 0xfffe
	s_and_b32 vcc_lo, exec_lo, s8
	s_wait_alu 0xfffe
	s_cbranch_vccnz .LBB562_76
.LBB562_60:                             ; =>This Loop Header: Depth=1
                                        ;     Child Loop BB562_63 Depth 2
	v_and_b32_e32 v11, 0xff, v15
	s_mov_b32 s8, -1
	s_delay_alu instid0(VALU_DEP_1)
	v_cmp_ne_u16_e32 vcc_lo, 2, v11
	s_wait_dscnt 0x0
	v_dual_mov_b32 v11, v13 :: v_dual_mov_b32 v12, v14
                                        ; implicit-def: $vgpr13_vgpr14
	s_cmp_lg_u32 vcc_lo, exec_lo
	s_cbranch_scc1 .LBB562_59
; %bb.61:                               ;   in Loop: Header=BB562_60 Depth=1
	v_lshlrev_b64_e32 v[13:14], 4, v[23:24]
	s_mov_b32 s8, exec_lo
	s_delay_alu instid0(VALU_DEP_1) | instskip(SKIP_1) | instid1(VALU_DEP_2)
	v_add_co_u32 v25, vcc_lo, s14, v13
	s_wait_alu 0xfffd
	v_add_co_ci_u32_e64 v26, null, s15, v14, vcc_lo
	;;#ASMSTART
	global_load_b128 v[13:16], v[25:26] off scope:SCOPE_DEV	
s_wait_loadcnt 0x0
	;;#ASMEND
	v_and_b32_e32 v16, 0xff, v15
	s_delay_alu instid0(VALU_DEP_1)
	v_cmpx_eq_u16_e32 0, v16
	s_cbranch_execz .LBB562_65
; %bb.62:                               ;   in Loop: Header=BB562_60 Depth=1
	s_mov_b32 s9, 0
.LBB562_63:                             ;   Parent Loop BB562_60 Depth=1
                                        ; =>  This Inner Loop Header: Depth=2
	;;#ASMSTART
	global_load_b128 v[13:16], v[25:26] off scope:SCOPE_DEV	
s_wait_loadcnt 0x0
	;;#ASMEND
	v_and_b32_e32 v16, 0xff, v15
	s_delay_alu instid0(VALU_DEP_1)
	v_cmp_ne_u16_e32 vcc_lo, 0, v16
	s_wait_alu 0xfffe
	s_or_b32 s9, vcc_lo, s9
	s_wait_alu 0xfffe
	s_and_not1_b32 exec_lo, exec_lo, s9
	s_cbranch_execnz .LBB562_63
; %bb.64:                               ;   in Loop: Header=BB562_60 Depth=1
	s_or_b32 exec_lo, exec_lo, s9
.LBB562_65:                             ;   in Loop: Header=BB562_60 Depth=1
	s_wait_alu 0xfffe
	s_or_b32 exec_lo, exec_lo, s8
	v_dual_mov_b32 v25, v13 :: v_dual_and_b32 v16, 0xff, v15
	ds_bpermute_b32 v48, v38, v13
	ds_bpermute_b32 v26, v38, v14
	s_mov_b32 s8, exec_lo
	v_cmp_eq_u16_e32 vcc_lo, 2, v16
	s_wait_alu 0xfffd
	v_and_or_b32 v16, vcc_lo, v39, 0x80000000
	s_delay_alu instid0(VALU_DEP_1) | instskip(NEXT) | instid1(VALU_DEP_1)
	v_ctz_i32_b32_e32 v16, v16
	v_cmpx_lt_u32_e64 v34, v16
	s_cbranch_execz .LBB562_67
; %bb.66:                               ;   in Loop: Header=BB562_60 Depth=1
	s_wait_dscnt 0x1
	v_add_co_u32 v25, vcc_lo, v13, v48
	s_wait_alu 0xfffd
	v_add_co_ci_u32_e64 v14, null, 0, v14, vcc_lo
	s_delay_alu instid0(VALU_DEP_2) | instskip(SKIP_2) | instid1(VALU_DEP_2)
	v_add_co_u32 v13, vcc_lo, 0, v25
	s_wait_dscnt 0x0
	s_wait_alu 0xfffd
	v_add_co_ci_u32_e64 v14, null, v26, v14, vcc_lo
.LBB562_67:                             ;   in Loop: Header=BB562_60 Depth=1
	s_wait_alu 0xfffe
	s_or_b32 exec_lo, exec_lo, s8
	s_wait_dscnt 0x1
	ds_bpermute_b32 v48, v40, v25
	s_wait_dscnt 0x1
	ds_bpermute_b32 v26, v40, v14
	s_mov_b32 s8, exec_lo
	v_cmpx_le_u32_e64 v41, v16
	s_cbranch_execz .LBB562_69
; %bb.68:                               ;   in Loop: Header=BB562_60 Depth=1
	s_wait_dscnt 0x1
	v_add_co_u32 v25, vcc_lo, v13, v48
	s_wait_alu 0xfffd
	v_add_co_ci_u32_e64 v14, null, 0, v14, vcc_lo
	s_delay_alu instid0(VALU_DEP_2) | instskip(SKIP_2) | instid1(VALU_DEP_2)
	v_add_co_u32 v13, vcc_lo, 0, v25
	s_wait_dscnt 0x0
	s_wait_alu 0xfffd
	v_add_co_ci_u32_e64 v14, null, v26, v14, vcc_lo
.LBB562_69:                             ;   in Loop: Header=BB562_60 Depth=1
	s_wait_alu 0xfffe
	s_or_b32 exec_lo, exec_lo, s8
	s_wait_dscnt 0x1
	ds_bpermute_b32 v48, v42, v25
	s_wait_dscnt 0x1
	ds_bpermute_b32 v26, v42, v14
	s_mov_b32 s8, exec_lo
	v_cmpx_le_u32_e64 v43, v16
	;; [unrolled: 20-line block ×3, first 2 shown]
	s_cbranch_execz .LBB562_73
; %bb.72:                               ;   in Loop: Header=BB562_60 Depth=1
	s_wait_dscnt 0x1
	v_add_co_u32 v25, vcc_lo, v13, v48
	s_wait_alu 0xfffd
	v_add_co_ci_u32_e64 v14, null, 0, v14, vcc_lo
	s_delay_alu instid0(VALU_DEP_2) | instskip(SKIP_2) | instid1(VALU_DEP_2)
	v_add_co_u32 v13, vcc_lo, 0, v25
	s_wait_dscnt 0x0
	s_wait_alu 0xfffd
	v_add_co_ci_u32_e64 v14, null, v26, v14, vcc_lo
.LBB562_73:                             ;   in Loop: Header=BB562_60 Depth=1
	s_wait_alu 0xfffe
	s_or_b32 exec_lo, exec_lo, s8
	s_wait_dscnt 0x0
	ds_bpermute_b32 v26, v46, v25
	ds_bpermute_b32 v25, v46, v14
	s_mov_b32 s8, exec_lo
	v_cmpx_le_u32_e64 v47, v16
	s_cbranch_execz .LBB562_58
; %bb.74:                               ;   in Loop: Header=BB562_60 Depth=1
	s_wait_dscnt 0x1
	v_add_co_u32 v13, vcc_lo, v13, v26
	s_wait_alu 0xfffd
	v_add_co_ci_u32_e64 v14, null, 0, v14, vcc_lo
	s_delay_alu instid0(VALU_DEP_2) | instskip(SKIP_2) | instid1(VALU_DEP_2)
	v_add_co_u32 v13, vcc_lo, v13, 0
	s_wait_dscnt 0x0
	s_wait_alu 0xfffd
	v_add_co_ci_u32_e64 v14, null, v14, v25, vcc_lo
	s_branch .LBB562_58
.LBB562_75:
                                        ; implicit-def: $vgpr13_vgpr14
                                        ; implicit-def: $vgpr15_vgpr16
                                        ; implicit-def: $vgpr21_vgpr22
                                        ; implicit-def: $vgpr23_vgpr24
                                        ; implicit-def: $vgpr11_vgpr12
	s_wait_alu 0xfffe
	s_and_b32 vcc_lo, exec_lo, s1
	s_wait_alu 0xfffe
	s_cbranch_vccnz .LBB562_81
	s_branch .LBB562_106
.LBB562_76:
	s_and_saveexec_b32 s8, s1
	s_cbranch_execz .LBB562_78
; %bb.77:
	s_add_co_i32 s10, s18, 32
	s_mov_b32 s11, 0
	v_add_co_u32 v13, vcc_lo, v11, v9
	s_wait_alu 0xfffe
	s_lshl_b64 s[10:11], s[10:11], 4
	v_dual_mov_b32 v15, 2 :: v_dual_mov_b32 v16, 0
	s_wait_alu 0xfffe
	s_add_nc_u64 s[10:11], s[14:15], s[10:11]
	s_wait_alu 0xfffd
	v_add_co_ci_u32_e64 v14, null, v12, v10, vcc_lo
	s_wait_alu 0xfffe
	v_dual_mov_b32 v24, s11 :: v_dual_mov_b32 v23, s10
	;;#ASMSTART
	global_store_b128 v[23:24], v[13:16] off scope:SCOPE_DEV	
s_wait_storecnt 0x0
	;;#ASMEND
	ds_store_b128 v16, v[9:12] offset:8448
.LBB562_78:
	s_wait_alu 0xfffe
	s_or_b32 exec_lo, exec_lo, s8
	s_delay_alu instid0(SALU_CYCLE_1)
	s_and_b32 exec_lo, exec_lo, s2
; %bb.79:
	v_mov_b32_e32 v9, 0
	ds_store_b64 v9, v[11:12] offset:56
.LBB562_80:
	s_wait_alu 0xfffe
	s_or_b32 exec_lo, exec_lo, s3
	v_mov_b32_e32 v9, 0
	s_wait_loadcnt_dscnt 0x0
	s_barrier_signal -1
	s_barrier_wait -1
	global_inv scope:SCOPE_SE
	ds_load_b64 v[13:14], v9 offset:56
	v_cndmask_b32_e64 v11, v36, v21, s1
	v_cndmask_b32_e64 v10, v37, v22, s1
	s_wait_loadcnt_dscnt 0x0
	s_barrier_signal -1
	s_barrier_wait -1
	v_cndmask_b32_e64 v16, v11, 0, s2
	v_cndmask_b32_e64 v15, v10, 0, s2
	global_inv scope:SCOPE_SE
	ds_load_b128 v[9:12], v9 offset:8448
	v_add_co_u32 v23, vcc_lo, v13, v16
	s_wait_alu 0xfffd
	v_add_co_ci_u32_e64 v24, null, v14, v15, vcc_lo
	s_delay_alu instid0(VALU_DEP_2) | instskip(SKIP_1) | instid1(VALU_DEP_2)
	v_add_co_u32 v21, vcc_lo, v23, v33
	s_wait_alu 0xfffd
	v_add_co_ci_u32_e64 v22, null, 0, v24, vcc_lo
	s_delay_alu instid0(VALU_DEP_2) | instskip(SKIP_1) | instid1(VALU_DEP_2)
	;; [unrolled: 4-line block ×3, first 2 shown]
	v_add_co_u32 v13, vcc_lo, v15, v31
	s_wait_alu 0xfffd
	v_add_co_ci_u32_e64 v14, null, 0, v16, vcc_lo
	s_branch .LBB562_106
.LBB562_81:
	s_wait_dscnt 0x0
	v_dual_mov_b32 v10, 0 :: v_dual_mov_b32 v11, v19
	v_mov_b32_dpp v12, v19 row_shr:1 row_mask:0xf bank_mask:0xf
	s_delay_alu instid0(VALU_DEP_2)
	v_mov_b32_dpp v9, v10 row_shr:1 row_mask:0xf bank_mask:0xf
	s_and_saveexec_b32 s1, s0
; %bb.82:
	s_delay_alu instid0(VALU_DEP_2) | instskip(SKIP_2) | instid1(VALU_DEP_2)
	v_add_co_u32 v11, vcc_lo, v19, v12
	s_wait_alu 0xfffd
	v_add_co_ci_u32_e64 v10, null, 0, v20, vcc_lo
	v_add_co_u32 v19, vcc_lo, 0, v11
	s_wait_alu 0xfffd
	s_delay_alu instid0(VALU_DEP_2) | instskip(NEXT) | instid1(VALU_DEP_1)
	v_add_co_ci_u32_e64 v20, null, v9, v10, vcc_lo
	v_mov_b32_e32 v10, v20
; %bb.83:
	s_wait_alu 0xfffe
	s_or_b32 exec_lo, exec_lo, s1
	v_mov_b32_dpp v9, v11 row_shr:2 row_mask:0xf bank_mask:0xf
	s_delay_alu instid0(VALU_DEP_2)
	v_mov_b32_dpp v12, v10 row_shr:2 row_mask:0xf bank_mask:0xf
	s_mov_b32 s0, exec_lo
	v_cmpx_lt_u32_e32 1, v35
; %bb.84:
	s_delay_alu instid0(VALU_DEP_3) | instskip(SKIP_2) | instid1(VALU_DEP_2)
	v_add_co_u32 v11, vcc_lo, v19, v9
	s_wait_alu 0xfffd
	v_add_co_ci_u32_e64 v10, null, 0, v20, vcc_lo
	v_add_co_u32 v9, vcc_lo, 0, v11
	s_wait_alu 0xfffd
	s_delay_alu instid0(VALU_DEP_2) | instskip(NEXT) | instid1(VALU_DEP_1)
	v_add_co_ci_u32_e64 v10, null, v12, v10, vcc_lo
	v_dual_mov_b32 v20, v10 :: v_dual_mov_b32 v19, v9
; %bb.85:
	s_wait_alu 0xfffe
	s_or_b32 exec_lo, exec_lo, s0
	v_mov_b32_dpp v9, v11 row_shr:4 row_mask:0xf bank_mask:0xf
	v_mov_b32_dpp v12, v10 row_shr:4 row_mask:0xf bank_mask:0xf
	s_mov_b32 s0, exec_lo
	v_cmpx_lt_u32_e32 3, v35
; %bb.86:
	s_delay_alu instid0(VALU_DEP_3) | instskip(SKIP_2) | instid1(VALU_DEP_2)
	v_add_co_u32 v11, vcc_lo, v19, v9
	s_wait_alu 0xfffd
	v_add_co_ci_u32_e64 v10, null, 0, v20, vcc_lo
	v_add_co_u32 v9, vcc_lo, 0, v11
	s_wait_alu 0xfffd
	s_delay_alu instid0(VALU_DEP_2) | instskip(NEXT) | instid1(VALU_DEP_1)
	v_add_co_ci_u32_e64 v10, null, v12, v10, vcc_lo
	v_dual_mov_b32 v20, v10 :: v_dual_mov_b32 v19, v9
; %bb.87:
	s_wait_alu 0xfffe
	s_or_b32 exec_lo, exec_lo, s0
	v_mov_b32_dpp v12, v11 row_shr:8 row_mask:0xf bank_mask:0xf
	v_mov_b32_dpp v9, v10 row_shr:8 row_mask:0xf bank_mask:0xf
	s_mov_b32 s0, exec_lo
	v_cmpx_lt_u32_e32 7, v35
; %bb.88:
	s_delay_alu instid0(VALU_DEP_3) | instskip(SKIP_2) | instid1(VALU_DEP_2)
	v_add_co_u32 v11, vcc_lo, v19, v12
	s_wait_alu 0xfffd
	v_add_co_ci_u32_e64 v10, null, 0, v20, vcc_lo
	v_add_co_u32 v19, vcc_lo, 0, v11
	s_wait_alu 0xfffd
	s_delay_alu instid0(VALU_DEP_2) | instskip(NEXT) | instid1(VALU_DEP_1)
	v_add_co_ci_u32_e64 v20, null, v9, v10, vcc_lo
	v_mov_b32_e32 v10, v20
; %bb.89:
	s_wait_alu 0xfffe
	s_or_b32 exec_lo, exec_lo, s0
	ds_swizzle_b32 v11, v11 offset:swizzle(BROADCAST,32,15)
	ds_swizzle_b32 v9, v10 offset:swizzle(BROADCAST,32,15)
	v_and_b32_e32 v10, 16, v34
	s_mov_b32 s0, exec_lo
	s_delay_alu instid0(VALU_DEP_1)
	v_cmpx_ne_u32_e32 0, v10
	s_cbranch_execz .LBB562_91
; %bb.90:
	s_wait_dscnt 0x1
	v_add_co_u32 v10, vcc_lo, v19, v11
	s_wait_alu 0xfffd
	v_add_co_ci_u32_e64 v11, null, 0, v20, vcc_lo
	s_delay_alu instid0(VALU_DEP_2) | instskip(SKIP_2) | instid1(VALU_DEP_2)
	v_add_co_u32 v19, vcc_lo, v10, 0
	s_wait_dscnt 0x0
	s_wait_alu 0xfffd
	v_add_co_ci_u32_e64 v20, null, v11, v9, vcc_lo
.LBB562_91:
	s_wait_alu 0xfffe
	s_or_b32 exec_lo, exec_lo, s0
	s_wait_dscnt 0x0
	v_or_b32_e32 v9, 31, v0
	v_lshrrev_b32_e32 v11, 5, v0
	s_mov_b32 s0, exec_lo
	s_delay_alu instid0(VALU_DEP_2)
	v_cmpx_eq_u32_e64 v0, v9
; %bb.92:
	s_delay_alu instid0(VALU_DEP_2)
	v_lshlrev_b32_e32 v9, 3, v11
	ds_store_b64 v9, v[19:20]
; %bb.93:
	s_wait_alu 0xfffe
	s_or_b32 exec_lo, exec_lo, s0
	s_delay_alu instid0(SALU_CYCLE_1)
	s_mov_b32 s0, exec_lo
	s_wait_loadcnt_dscnt 0x0
	s_barrier_signal -1
	s_barrier_wait -1
	global_inv scope:SCOPE_SE
	v_cmpx_gt_u32_e32 8, v0
	s_cbranch_execz .LBB562_101
; %bb.94:
	v_lshlrev_b32_e32 v12, 3, v0
	s_mov_b32 s1, exec_lo
	ds_load_b64 v[9:10], v12
	s_wait_dscnt 0x0
	v_dual_mov_b32 v14, v9 :: v_dual_and_b32 v13, 7, v34
	v_mov_b32_dpp v16, v9 row_shr:1 row_mask:0xf bank_mask:0xf
	v_mov_b32_dpp v15, v10 row_shr:1 row_mask:0xf bank_mask:0xf
	s_delay_alu instid0(VALU_DEP_3)
	v_cmpx_ne_u32_e32 0, v13
; %bb.95:
	s_delay_alu instid0(VALU_DEP_3) | instskip(SKIP_2) | instid1(VALU_DEP_2)
	v_add_co_u32 v14, vcc_lo, v9, v16
	s_wait_alu 0xfffd
	v_add_co_ci_u32_e64 v10, null, 0, v10, vcc_lo
	v_add_co_u32 v9, vcc_lo, 0, v14
	s_wait_alu 0xfffd
	s_delay_alu instid0(VALU_DEP_2)
	v_add_co_ci_u32_e64 v10, null, v15, v10, vcc_lo
; %bb.96:
	s_wait_alu 0xfffe
	s_or_b32 exec_lo, exec_lo, s1
	v_mov_b32_dpp v16, v14 row_shr:2 row_mask:0xf bank_mask:0xf
	s_delay_alu instid0(VALU_DEP_2)
	v_mov_b32_dpp v15, v10 row_shr:2 row_mask:0xf bank_mask:0xf
	s_mov_b32 s1, exec_lo
	v_cmpx_lt_u32_e32 1, v13
; %bb.97:
	s_delay_alu instid0(VALU_DEP_3) | instskip(SKIP_2) | instid1(VALU_DEP_2)
	v_add_co_u32 v14, vcc_lo, v9, v16
	s_wait_alu 0xfffd
	v_add_co_ci_u32_e64 v10, null, 0, v10, vcc_lo
	v_add_co_u32 v9, vcc_lo, 0, v14
	s_wait_alu 0xfffd
	s_delay_alu instid0(VALU_DEP_2)
	v_add_co_ci_u32_e64 v10, null, v15, v10, vcc_lo
; %bb.98:
	s_wait_alu 0xfffe
	s_or_b32 exec_lo, exec_lo, s1
	v_mov_b32_dpp v15, v14 row_shr:4 row_mask:0xf bank_mask:0xf
	s_delay_alu instid0(VALU_DEP_2)
	v_mov_b32_dpp v14, v10 row_shr:4 row_mask:0xf bank_mask:0xf
	s_mov_b32 s1, exec_lo
	v_cmpx_lt_u32_e32 3, v13
; %bb.99:
	s_delay_alu instid0(VALU_DEP_3) | instskip(SKIP_2) | instid1(VALU_DEP_2)
	v_add_co_u32 v9, vcc_lo, v9, v15
	s_wait_alu 0xfffd
	v_add_co_ci_u32_e64 v10, null, 0, v10, vcc_lo
	v_add_co_u32 v9, vcc_lo, v9, 0
	s_wait_alu 0xfffd
	s_delay_alu instid0(VALU_DEP_2)
	v_add_co_ci_u32_e64 v10, null, v10, v14, vcc_lo
; %bb.100:
	s_wait_alu 0xfffe
	s_or_b32 exec_lo, exec_lo, s1
	ds_store_b64 v12, v[9:10]
.LBB562_101:
	s_wait_alu 0xfffe
	s_or_b32 exec_lo, exec_lo, s0
	v_mov_b32_e32 v13, 0
	v_mov_b32_e32 v14, 0
	s_mov_b32 s0, exec_lo
	s_wait_loadcnt_dscnt 0x0
	s_barrier_signal -1
	s_barrier_wait -1
	global_inv scope:SCOPE_SE
	v_cmpx_lt_u32_e32 31, v0
; %bb.102:
	v_lshl_add_u32 v9, v11, 3, -8
	ds_load_b64 v[13:14], v9
; %bb.103:
	s_wait_alu 0xfffe
	s_or_b32 exec_lo, exec_lo, s0
	v_sub_co_u32 v9, vcc_lo, v34, 1
	v_mov_b32_e32 v12, 0
	s_delay_alu instid0(VALU_DEP_2) | instskip(SKIP_1) | instid1(VALU_DEP_1)
	v_cmp_gt_i32_e64 s0, 0, v9
	s_wait_alu 0xf1ff
	v_cndmask_b32_e64 v9, v9, v34, s0
	s_wait_dscnt 0x0
	v_add_co_u32 v10, s0, v13, v19
	s_wait_alu 0xf1ff
	v_add_co_ci_u32_e64 v11, null, v14, v20, s0
	v_lshlrev_b32_e32 v9, 2, v9
	ds_bpermute_b32 v15, v9, v10
	ds_bpermute_b32 v16, v9, v11
	ds_load_b64 v[9:10], v12 offset:56
	s_and_saveexec_b32 s0, s2
	s_cbranch_execz .LBB562_105
; %bb.104:
	s_add_nc_u64 s[8:9], s[14:15], 0x200
	s_wait_alu 0xfffe
	v_dual_mov_b32 v11, 2 :: v_dual_mov_b32 v20, s9
	v_mov_b32_e32 v19, s8
	s_wait_dscnt 0x0
	;;#ASMSTART
	global_store_b128 v[19:20], v[9:12] off scope:SCOPE_DEV	
s_wait_storecnt 0x0
	;;#ASMEND
.LBB562_105:
	s_wait_alu 0xfffe
	s_or_b32 exec_lo, exec_lo, s0
	s_wait_dscnt 0x1
	s_wait_alu 0xfffd
	v_dual_cndmask_b32 v11, v15, v13 :: v_dual_cndmask_b32 v12, v16, v14
	s_wait_loadcnt_dscnt 0x0
	s_barrier_signal -1
	s_barrier_wait -1
	s_delay_alu instid0(VALU_DEP_1)
	v_cndmask_b32_e64 v23, v11, 0, s2
	v_cndmask_b32_e64 v24, v12, 0, s2
	v_mov_b32_e32 v11, 0
	v_mov_b32_e32 v12, 0
	global_inv scope:SCOPE_SE
	v_add_co_u32 v21, vcc_lo, v23, v33
	s_wait_alu 0xfffd
	v_add_co_ci_u32_e64 v22, null, 0, v24, vcc_lo
	s_delay_alu instid0(VALU_DEP_2) | instskip(SKIP_1) | instid1(VALU_DEP_2)
	v_add_co_u32 v15, vcc_lo, v21, v32
	s_wait_alu 0xfffd
	v_add_co_ci_u32_e64 v16, null, 0, v22, vcc_lo
	s_delay_alu instid0(VALU_DEP_2) | instskip(SKIP_1) | instid1(VALU_DEP_2)
	v_add_co_u32 v13, vcc_lo, v15, v31
	s_wait_alu 0xfffd
	v_add_co_ci_u32_e64 v14, null, 0, v16, vcc_lo
.LBB562_106:
	v_and_b32_e32 v25, 1, v30
	s_wait_dscnt 0x0
	v_cmp_gt_u64_e32 vcc_lo, 0x101, v[9:10]
	s_mov_b32 s1, -1
	s_delay_alu instid0(VALU_DEP_2)
	v_cmp_eq_u32_e64 s0, 1, v25
	s_cbranch_vccnz .LBB562_110
; %bb.107:
	s_wait_alu 0xfffe
	s_and_b32 vcc_lo, exec_lo, s1
	s_wait_alu 0xfffe
	s_cbranch_vccnz .LBB562_119
.LBB562_108:
	s_and_b32 s0, s2, s6
	s_wait_alu 0xfffe
	s_and_saveexec_b32 s1, s0
	s_cbranch_execnz .LBB562_131
.LBB562_109:
	s_endpgm
.LBB562_110:
	v_add_co_u32 v19, vcc_lo, v11, v9
	s_wait_alu 0xfffd
	v_add_co_ci_u32_e64 v20, null, v12, v10, vcc_lo
	v_lshlrev_b64_e32 v[30:31], 3, v[17:18]
	s_delay_alu instid0(VALU_DEP_2) | instskip(NEXT) | instid1(VALU_DEP_2)
	v_cmp_lt_u64_e32 vcc_lo, v[23:24], v[19:20]
	v_add_co_u32 v26, s1, s12, v30
	s_wait_alu 0xf1fe
	s_delay_alu instid0(VALU_DEP_3)
	v_add_co_ci_u32_e64 v30, null, s13, v31, s1
	s_or_b32 s1, s7, vcc_lo
	s_wait_alu 0xfffe
	s_and_b32 s1, s1, s0
	s_wait_alu 0xfffe
	s_and_saveexec_b32 s0, s1
	s_cbranch_execz .LBB562_112
; %bb.111:
	v_lshlrev_b64_e32 v[31:32], 3, v[23:24]
	s_delay_alu instid0(VALU_DEP_1) | instskip(SKIP_1) | instid1(VALU_DEP_2)
	v_add_co_u32 v31, vcc_lo, v26, v31
	s_wait_alu 0xfffd
	v_add_co_ci_u32_e64 v32, null, v30, v32, vcc_lo
	global_store_b64 v[31:32], v[5:6], off
.LBB562_112:
	s_wait_alu 0xfffe
	s_or_b32 exec_lo, exec_lo, s0
	v_and_b32_e32 v24, 1, v29
	v_cmp_lt_u64_e32 vcc_lo, v[21:22], v[19:20]
	s_delay_alu instid0(VALU_DEP_2)
	v_cmp_eq_u32_e64 s0, 1, v24
	s_or_b32 s1, s7, vcc_lo
	s_wait_alu 0xfffe
	s_and_b32 s1, s1, s0
	s_wait_alu 0xfffe
	s_and_saveexec_b32 s0, s1
	s_cbranch_execz .LBB562_114
; %bb.113:
	v_lshlrev_b64_e32 v[31:32], 3, v[21:22]
	s_delay_alu instid0(VALU_DEP_1) | instskip(SKIP_1) | instid1(VALU_DEP_2)
	v_add_co_u32 v31, vcc_lo, v26, v31
	s_wait_alu 0xfffd
	v_add_co_ci_u32_e64 v32, null, v30, v32, vcc_lo
	global_store_b64 v[31:32], v[7:8], off
.LBB562_114:
	s_wait_alu 0xfffe
	s_or_b32 exec_lo, exec_lo, s0
	v_and_b32_e32 v22, 1, v28
	v_cmp_lt_u64_e32 vcc_lo, v[15:16], v[19:20]
	s_delay_alu instid0(VALU_DEP_2)
	v_cmp_eq_u32_e64 s0, 1, v22
	;; [unrolled: 20-line block ×3, first 2 shown]
	s_or_b32 s1, s7, vcc_lo
	s_wait_alu 0xfffe
	s_and_b32 s1, s1, s0
	s_wait_alu 0xfffe
	s_and_saveexec_b32 s0, s1
	s_cbranch_execz .LBB562_118
; %bb.117:
	v_lshlrev_b64_e32 v[19:20], 3, v[13:14]
	s_delay_alu instid0(VALU_DEP_1) | instskip(SKIP_1) | instid1(VALU_DEP_2)
	v_add_co_u32 v19, vcc_lo, v26, v19
	s_wait_alu 0xfffd
	v_add_co_ci_u32_e64 v20, null, v30, v20, vcc_lo
	global_store_b64 v[19:20], v[3:4], off
.LBB562_118:
	s_wait_alu 0xfffe
	s_or_b32 exec_lo, exec_lo, s0
	s_branch .LBB562_108
.LBB562_119:
	s_mov_b32 s0, exec_lo
	v_cmpx_eq_u32_e32 1, v25
; %bb.120:
	v_sub_nc_u32_e32 v14, v23, v11
	s_delay_alu instid0(VALU_DEP_1)
	v_lshlrev_b32_e32 v14, 3, v14
	ds_store_b64 v14, v[5:6]
; %bb.121:
	s_wait_alu 0xfffe
	s_or_b32 exec_lo, exec_lo, s0
	v_and_b32_e32 v5, 1, v29
	s_mov_b32 s0, exec_lo
	s_delay_alu instid0(VALU_DEP_1)
	v_cmpx_eq_u32_e32 1, v5
; %bb.122:
	v_sub_nc_u32_e32 v5, v21, v11
	s_delay_alu instid0(VALU_DEP_1)
	v_lshlrev_b32_e32 v5, 3, v5
	ds_store_b64 v5, v[7:8]
; %bb.123:
	s_wait_alu 0xfffe
	s_or_b32 exec_lo, exec_lo, s0
	v_and_b32_e32 v5, 1, v28
	s_mov_b32 s0, exec_lo
	s_delay_alu instid0(VALU_DEP_1)
	;; [unrolled: 12-line block ×3, first 2 shown]
	v_cmpx_eq_u32_e32 1, v1
; %bb.126:
	v_sub_nc_u32_e32 v1, v13, v11
	s_delay_alu instid0(VALU_DEP_1)
	v_lshlrev_b32_e32 v1, 3, v1
	ds_store_b64 v1, v[3:4]
; %bb.127:
	s_wait_alu 0xfffe
	s_or_b32 exec_lo, exec_lo, s0
	v_mov_b32_e32 v1, 0
	s_mov_b32 s1, exec_lo
	s_wait_storecnt 0x0
	s_wait_loadcnt_dscnt 0x0
	s_barrier_signal -1
	s_barrier_wait -1
	global_inv scope:SCOPE_SE
	v_cmpx_gt_u64_e64 v[9:10], v[0:1]
	s_cbranch_execz .LBB562_130
; %bb.128:
	v_lshlrev_b64_e32 v[2:3], 3, v[11:12]
	v_lshlrev_b64_e32 v[4:5], 3, v[17:18]
	s_mov_b32 s3, 0
	s_delay_alu instid0(VALU_DEP_2) | instskip(SKIP_1) | instid1(VALU_DEP_3)
	v_add_co_u32 v6, vcc_lo, s12, v2
	s_wait_alu 0xfffd
	v_add_co_ci_u32_e64 v7, null, s13, v3, vcc_lo
	v_dual_mov_b32 v3, v1 :: v_dual_mov_b32 v2, v0
	s_delay_alu instid0(VALU_DEP_3) | instskip(SKIP_1) | instid1(VALU_DEP_3)
	v_add_co_u32 v4, vcc_lo, v6, v4
	s_wait_alu 0xfffd
	v_add_co_ci_u32_e64 v5, null, v7, v5, vcc_lo
	v_or_b32_e32 v0, 0x100, v0
.LBB562_129:                            ; =>This Inner Loop Header: Depth=1
	v_lshlrev_b32_e32 v6, 3, v2
	v_lshlrev_b64_e32 v[13:14], 3, v[2:3]
	v_mov_b32_e32 v3, v1
	s_delay_alu instid0(VALU_DEP_4)
	v_cmp_le_u64_e32 vcc_lo, v[9:10], v[0:1]
	v_mov_b32_e32 v2, v0
	ds_load_b64 v[6:7], v6
	v_add_nc_u32_e32 v0, 0x100, v0
	v_add_co_u32 v13, s0, v4, v13
	s_wait_alu 0xf1ff
	v_add_co_ci_u32_e64 v14, null, v5, v14, s0
	s_wait_alu 0xfffe
	s_or_b32 s3, vcc_lo, s3
	s_wait_dscnt 0x0
	global_store_b64 v[13:14], v[6:7], off
	s_wait_alu 0xfffe
	s_and_not1_b32 exec_lo, exec_lo, s3
	s_cbranch_execnz .LBB562_129
.LBB562_130:
	s_wait_alu 0xfffe
	s_or_b32 exec_lo, exec_lo, s1
	s_and_b32 s0, s2, s6
	s_wait_alu 0xfffe
	s_and_saveexec_b32 s1, s0
	s_cbranch_execz .LBB562_109
.LBB562_131:
	v_add_co_u32 v0, vcc_lo, v11, v9
	s_wait_alu 0xfffd
	v_add_co_ci_u32_e64 v1, null, v12, v10, vcc_lo
	v_mov_b32_e32 v2, 0
	s_delay_alu instid0(VALU_DEP_3) | instskip(SKIP_1) | instid1(VALU_DEP_3)
	v_add_co_u32 v0, vcc_lo, v0, v17
	s_wait_alu 0xfffd
	v_add_co_ci_u32_e64 v1, null, v1, v18, vcc_lo
	global_store_b64 v2, v[0:1], s[4:5]
	s_endpgm
.LBB562_132:
	v_lshlrev_b32_e32 v3, 3, v0
	s_delay_alu instid0(VALU_DEP_1)
	v_add_co_u32 v3, vcc_lo, v12, v3
	s_wait_alu 0xfffd
	v_add_co_ci_u32_e64 v4, null, 0, v13, vcc_lo
	flat_load_b64 v[3:4], v[3:4] offset:2048
	s_wait_alu 0xfffe
	s_or_b32 exec_lo, exec_lo, s1
	s_delay_alu instid0(SALU_CYCLE_1)
	s_mov_b32 s1, exec_lo
	v_cmpx_gt_u32_e64 s0, v11
	s_cbranch_execz .LBB562_11
.LBB562_133:
	v_lshlrev_b32_e32 v5, 3, v0
	s_delay_alu instid0(VALU_DEP_1)
	v_add_co_u32 v5, vcc_lo, v12, v5
	s_wait_alu 0xfffd
	v_add_co_ci_u32_e64 v6, null, 0, v13, vcc_lo
	flat_load_b64 v[5:6], v[5:6] offset:4096
	s_wait_alu 0xfffe
	s_or_b32 exec_lo, exec_lo, s1
	s_delay_alu instid0(SALU_CYCLE_1)
	s_mov_b32 s1, exec_lo
	v_cmpx_gt_u32_e64 s0, v10
	s_cbranch_execnz .LBB562_12
	s_branch .LBB562_13
	.section	.rodata,"a",@progbits
	.p2align	6, 0x0
	.amdhsa_kernel _ZN7rocprim17ROCPRIM_400000_NS6detail17trampoline_kernelINS0_14default_configENS1_25partition_config_selectorILNS1_17partition_subalgoE6EdNS0_10empty_typeEbEEZZNS1_14partition_implILS5_6ELb0ES3_mN6thrust23THRUST_200600_302600_NS6detail15normal_iteratorINSA_10device_ptrIdEEEEPS6_SG_NS0_5tupleIJSF_S6_EEENSH_IJSG_SG_EEES6_PlJNSB_9not_fun_tI7is_evenIdEEEEEE10hipError_tPvRmT3_T4_T5_T6_T7_T9_mT8_P12ihipStream_tbDpT10_ENKUlT_T0_E_clISt17integral_constantIbLb0EES17_IbLb1EEEEDaS13_S14_EUlS13_E_NS1_11comp_targetILNS1_3genE10ELNS1_11target_archE1200ELNS1_3gpuE4ELNS1_3repE0EEENS1_30default_config_static_selectorELNS0_4arch9wavefront6targetE0EEEvT1_
		.amdhsa_group_segment_fixed_size 8464
		.amdhsa_private_segment_fixed_size 0
		.amdhsa_kernarg_size 128
		.amdhsa_user_sgpr_count 2
		.amdhsa_user_sgpr_dispatch_ptr 0
		.amdhsa_user_sgpr_queue_ptr 0
		.amdhsa_user_sgpr_kernarg_segment_ptr 1
		.amdhsa_user_sgpr_dispatch_id 0
		.amdhsa_user_sgpr_private_segment_size 0
		.amdhsa_wavefront_size32 1
		.amdhsa_uses_dynamic_stack 0
		.amdhsa_enable_private_segment 0
		.amdhsa_system_sgpr_workgroup_id_x 1
		.amdhsa_system_sgpr_workgroup_id_y 0
		.amdhsa_system_sgpr_workgroup_id_z 0
		.amdhsa_system_sgpr_workgroup_info 0
		.amdhsa_system_vgpr_workitem_id 0
		.amdhsa_next_free_vgpr 49
		.amdhsa_next_free_sgpr 22
		.amdhsa_reserve_vcc 1
		.amdhsa_float_round_mode_32 0
		.amdhsa_float_round_mode_16_64 0
		.amdhsa_float_denorm_mode_32 3
		.amdhsa_float_denorm_mode_16_64 3
		.amdhsa_fp16_overflow 0
		.amdhsa_workgroup_processor_mode 1
		.amdhsa_memory_ordered 1
		.amdhsa_forward_progress 1
		.amdhsa_inst_pref_size 52
		.amdhsa_round_robin_scheduling 0
		.amdhsa_exception_fp_ieee_invalid_op 0
		.amdhsa_exception_fp_denorm_src 0
		.amdhsa_exception_fp_ieee_div_zero 0
		.amdhsa_exception_fp_ieee_overflow 0
		.amdhsa_exception_fp_ieee_underflow 0
		.amdhsa_exception_fp_ieee_inexact 0
		.amdhsa_exception_int_div_zero 0
	.end_amdhsa_kernel
	.section	.text._ZN7rocprim17ROCPRIM_400000_NS6detail17trampoline_kernelINS0_14default_configENS1_25partition_config_selectorILNS1_17partition_subalgoE6EdNS0_10empty_typeEbEEZZNS1_14partition_implILS5_6ELb0ES3_mN6thrust23THRUST_200600_302600_NS6detail15normal_iteratorINSA_10device_ptrIdEEEEPS6_SG_NS0_5tupleIJSF_S6_EEENSH_IJSG_SG_EEES6_PlJNSB_9not_fun_tI7is_evenIdEEEEEE10hipError_tPvRmT3_T4_T5_T6_T7_T9_mT8_P12ihipStream_tbDpT10_ENKUlT_T0_E_clISt17integral_constantIbLb0EES17_IbLb1EEEEDaS13_S14_EUlS13_E_NS1_11comp_targetILNS1_3genE10ELNS1_11target_archE1200ELNS1_3gpuE4ELNS1_3repE0EEENS1_30default_config_static_selectorELNS0_4arch9wavefront6targetE0EEEvT1_,"axG",@progbits,_ZN7rocprim17ROCPRIM_400000_NS6detail17trampoline_kernelINS0_14default_configENS1_25partition_config_selectorILNS1_17partition_subalgoE6EdNS0_10empty_typeEbEEZZNS1_14partition_implILS5_6ELb0ES3_mN6thrust23THRUST_200600_302600_NS6detail15normal_iteratorINSA_10device_ptrIdEEEEPS6_SG_NS0_5tupleIJSF_S6_EEENSH_IJSG_SG_EEES6_PlJNSB_9not_fun_tI7is_evenIdEEEEEE10hipError_tPvRmT3_T4_T5_T6_T7_T9_mT8_P12ihipStream_tbDpT10_ENKUlT_T0_E_clISt17integral_constantIbLb0EES17_IbLb1EEEEDaS13_S14_EUlS13_E_NS1_11comp_targetILNS1_3genE10ELNS1_11target_archE1200ELNS1_3gpuE4ELNS1_3repE0EEENS1_30default_config_static_selectorELNS0_4arch9wavefront6targetE0EEEvT1_,comdat
.Lfunc_end562:
	.size	_ZN7rocprim17ROCPRIM_400000_NS6detail17trampoline_kernelINS0_14default_configENS1_25partition_config_selectorILNS1_17partition_subalgoE6EdNS0_10empty_typeEbEEZZNS1_14partition_implILS5_6ELb0ES3_mN6thrust23THRUST_200600_302600_NS6detail15normal_iteratorINSA_10device_ptrIdEEEEPS6_SG_NS0_5tupleIJSF_S6_EEENSH_IJSG_SG_EEES6_PlJNSB_9not_fun_tI7is_evenIdEEEEEE10hipError_tPvRmT3_T4_T5_T6_T7_T9_mT8_P12ihipStream_tbDpT10_ENKUlT_T0_E_clISt17integral_constantIbLb0EES17_IbLb1EEEEDaS13_S14_EUlS13_E_NS1_11comp_targetILNS1_3genE10ELNS1_11target_archE1200ELNS1_3gpuE4ELNS1_3repE0EEENS1_30default_config_static_selectorELNS0_4arch9wavefront6targetE0EEEvT1_, .Lfunc_end562-_ZN7rocprim17ROCPRIM_400000_NS6detail17trampoline_kernelINS0_14default_configENS1_25partition_config_selectorILNS1_17partition_subalgoE6EdNS0_10empty_typeEbEEZZNS1_14partition_implILS5_6ELb0ES3_mN6thrust23THRUST_200600_302600_NS6detail15normal_iteratorINSA_10device_ptrIdEEEEPS6_SG_NS0_5tupleIJSF_S6_EEENSH_IJSG_SG_EEES6_PlJNSB_9not_fun_tI7is_evenIdEEEEEE10hipError_tPvRmT3_T4_T5_T6_T7_T9_mT8_P12ihipStream_tbDpT10_ENKUlT_T0_E_clISt17integral_constantIbLb0EES17_IbLb1EEEEDaS13_S14_EUlS13_E_NS1_11comp_targetILNS1_3genE10ELNS1_11target_archE1200ELNS1_3gpuE4ELNS1_3repE0EEENS1_30default_config_static_selectorELNS0_4arch9wavefront6targetE0EEEvT1_
                                        ; -- End function
	.set _ZN7rocprim17ROCPRIM_400000_NS6detail17trampoline_kernelINS0_14default_configENS1_25partition_config_selectorILNS1_17partition_subalgoE6EdNS0_10empty_typeEbEEZZNS1_14partition_implILS5_6ELb0ES3_mN6thrust23THRUST_200600_302600_NS6detail15normal_iteratorINSA_10device_ptrIdEEEEPS6_SG_NS0_5tupleIJSF_S6_EEENSH_IJSG_SG_EEES6_PlJNSB_9not_fun_tI7is_evenIdEEEEEE10hipError_tPvRmT3_T4_T5_T6_T7_T9_mT8_P12ihipStream_tbDpT10_ENKUlT_T0_E_clISt17integral_constantIbLb0EES17_IbLb1EEEEDaS13_S14_EUlS13_E_NS1_11comp_targetILNS1_3genE10ELNS1_11target_archE1200ELNS1_3gpuE4ELNS1_3repE0EEENS1_30default_config_static_selectorELNS0_4arch9wavefront6targetE0EEEvT1_.num_vgpr, 49
	.set _ZN7rocprim17ROCPRIM_400000_NS6detail17trampoline_kernelINS0_14default_configENS1_25partition_config_selectorILNS1_17partition_subalgoE6EdNS0_10empty_typeEbEEZZNS1_14partition_implILS5_6ELb0ES3_mN6thrust23THRUST_200600_302600_NS6detail15normal_iteratorINSA_10device_ptrIdEEEEPS6_SG_NS0_5tupleIJSF_S6_EEENSH_IJSG_SG_EEES6_PlJNSB_9not_fun_tI7is_evenIdEEEEEE10hipError_tPvRmT3_T4_T5_T6_T7_T9_mT8_P12ihipStream_tbDpT10_ENKUlT_T0_E_clISt17integral_constantIbLb0EES17_IbLb1EEEEDaS13_S14_EUlS13_E_NS1_11comp_targetILNS1_3genE10ELNS1_11target_archE1200ELNS1_3gpuE4ELNS1_3repE0EEENS1_30default_config_static_selectorELNS0_4arch9wavefront6targetE0EEEvT1_.num_agpr, 0
	.set _ZN7rocprim17ROCPRIM_400000_NS6detail17trampoline_kernelINS0_14default_configENS1_25partition_config_selectorILNS1_17partition_subalgoE6EdNS0_10empty_typeEbEEZZNS1_14partition_implILS5_6ELb0ES3_mN6thrust23THRUST_200600_302600_NS6detail15normal_iteratorINSA_10device_ptrIdEEEEPS6_SG_NS0_5tupleIJSF_S6_EEENSH_IJSG_SG_EEES6_PlJNSB_9not_fun_tI7is_evenIdEEEEEE10hipError_tPvRmT3_T4_T5_T6_T7_T9_mT8_P12ihipStream_tbDpT10_ENKUlT_T0_E_clISt17integral_constantIbLb0EES17_IbLb1EEEEDaS13_S14_EUlS13_E_NS1_11comp_targetILNS1_3genE10ELNS1_11target_archE1200ELNS1_3gpuE4ELNS1_3repE0EEENS1_30default_config_static_selectorELNS0_4arch9wavefront6targetE0EEEvT1_.numbered_sgpr, 22
	.set _ZN7rocprim17ROCPRIM_400000_NS6detail17trampoline_kernelINS0_14default_configENS1_25partition_config_selectorILNS1_17partition_subalgoE6EdNS0_10empty_typeEbEEZZNS1_14partition_implILS5_6ELb0ES3_mN6thrust23THRUST_200600_302600_NS6detail15normal_iteratorINSA_10device_ptrIdEEEEPS6_SG_NS0_5tupleIJSF_S6_EEENSH_IJSG_SG_EEES6_PlJNSB_9not_fun_tI7is_evenIdEEEEEE10hipError_tPvRmT3_T4_T5_T6_T7_T9_mT8_P12ihipStream_tbDpT10_ENKUlT_T0_E_clISt17integral_constantIbLb0EES17_IbLb1EEEEDaS13_S14_EUlS13_E_NS1_11comp_targetILNS1_3genE10ELNS1_11target_archE1200ELNS1_3gpuE4ELNS1_3repE0EEENS1_30default_config_static_selectorELNS0_4arch9wavefront6targetE0EEEvT1_.num_named_barrier, 0
	.set _ZN7rocprim17ROCPRIM_400000_NS6detail17trampoline_kernelINS0_14default_configENS1_25partition_config_selectorILNS1_17partition_subalgoE6EdNS0_10empty_typeEbEEZZNS1_14partition_implILS5_6ELb0ES3_mN6thrust23THRUST_200600_302600_NS6detail15normal_iteratorINSA_10device_ptrIdEEEEPS6_SG_NS0_5tupleIJSF_S6_EEENSH_IJSG_SG_EEES6_PlJNSB_9not_fun_tI7is_evenIdEEEEEE10hipError_tPvRmT3_T4_T5_T6_T7_T9_mT8_P12ihipStream_tbDpT10_ENKUlT_T0_E_clISt17integral_constantIbLb0EES17_IbLb1EEEEDaS13_S14_EUlS13_E_NS1_11comp_targetILNS1_3genE10ELNS1_11target_archE1200ELNS1_3gpuE4ELNS1_3repE0EEENS1_30default_config_static_selectorELNS0_4arch9wavefront6targetE0EEEvT1_.private_seg_size, 0
	.set _ZN7rocprim17ROCPRIM_400000_NS6detail17trampoline_kernelINS0_14default_configENS1_25partition_config_selectorILNS1_17partition_subalgoE6EdNS0_10empty_typeEbEEZZNS1_14partition_implILS5_6ELb0ES3_mN6thrust23THRUST_200600_302600_NS6detail15normal_iteratorINSA_10device_ptrIdEEEEPS6_SG_NS0_5tupleIJSF_S6_EEENSH_IJSG_SG_EEES6_PlJNSB_9not_fun_tI7is_evenIdEEEEEE10hipError_tPvRmT3_T4_T5_T6_T7_T9_mT8_P12ihipStream_tbDpT10_ENKUlT_T0_E_clISt17integral_constantIbLb0EES17_IbLb1EEEEDaS13_S14_EUlS13_E_NS1_11comp_targetILNS1_3genE10ELNS1_11target_archE1200ELNS1_3gpuE4ELNS1_3repE0EEENS1_30default_config_static_selectorELNS0_4arch9wavefront6targetE0EEEvT1_.uses_vcc, 1
	.set _ZN7rocprim17ROCPRIM_400000_NS6detail17trampoline_kernelINS0_14default_configENS1_25partition_config_selectorILNS1_17partition_subalgoE6EdNS0_10empty_typeEbEEZZNS1_14partition_implILS5_6ELb0ES3_mN6thrust23THRUST_200600_302600_NS6detail15normal_iteratorINSA_10device_ptrIdEEEEPS6_SG_NS0_5tupleIJSF_S6_EEENSH_IJSG_SG_EEES6_PlJNSB_9not_fun_tI7is_evenIdEEEEEE10hipError_tPvRmT3_T4_T5_T6_T7_T9_mT8_P12ihipStream_tbDpT10_ENKUlT_T0_E_clISt17integral_constantIbLb0EES17_IbLb1EEEEDaS13_S14_EUlS13_E_NS1_11comp_targetILNS1_3genE10ELNS1_11target_archE1200ELNS1_3gpuE4ELNS1_3repE0EEENS1_30default_config_static_selectorELNS0_4arch9wavefront6targetE0EEEvT1_.uses_flat_scratch, 1
	.set _ZN7rocprim17ROCPRIM_400000_NS6detail17trampoline_kernelINS0_14default_configENS1_25partition_config_selectorILNS1_17partition_subalgoE6EdNS0_10empty_typeEbEEZZNS1_14partition_implILS5_6ELb0ES3_mN6thrust23THRUST_200600_302600_NS6detail15normal_iteratorINSA_10device_ptrIdEEEEPS6_SG_NS0_5tupleIJSF_S6_EEENSH_IJSG_SG_EEES6_PlJNSB_9not_fun_tI7is_evenIdEEEEEE10hipError_tPvRmT3_T4_T5_T6_T7_T9_mT8_P12ihipStream_tbDpT10_ENKUlT_T0_E_clISt17integral_constantIbLb0EES17_IbLb1EEEEDaS13_S14_EUlS13_E_NS1_11comp_targetILNS1_3genE10ELNS1_11target_archE1200ELNS1_3gpuE4ELNS1_3repE0EEENS1_30default_config_static_selectorELNS0_4arch9wavefront6targetE0EEEvT1_.has_dyn_sized_stack, 0
	.set _ZN7rocprim17ROCPRIM_400000_NS6detail17trampoline_kernelINS0_14default_configENS1_25partition_config_selectorILNS1_17partition_subalgoE6EdNS0_10empty_typeEbEEZZNS1_14partition_implILS5_6ELb0ES3_mN6thrust23THRUST_200600_302600_NS6detail15normal_iteratorINSA_10device_ptrIdEEEEPS6_SG_NS0_5tupleIJSF_S6_EEENSH_IJSG_SG_EEES6_PlJNSB_9not_fun_tI7is_evenIdEEEEEE10hipError_tPvRmT3_T4_T5_T6_T7_T9_mT8_P12ihipStream_tbDpT10_ENKUlT_T0_E_clISt17integral_constantIbLb0EES17_IbLb1EEEEDaS13_S14_EUlS13_E_NS1_11comp_targetILNS1_3genE10ELNS1_11target_archE1200ELNS1_3gpuE4ELNS1_3repE0EEENS1_30default_config_static_selectorELNS0_4arch9wavefront6targetE0EEEvT1_.has_recursion, 0
	.set _ZN7rocprim17ROCPRIM_400000_NS6detail17trampoline_kernelINS0_14default_configENS1_25partition_config_selectorILNS1_17partition_subalgoE6EdNS0_10empty_typeEbEEZZNS1_14partition_implILS5_6ELb0ES3_mN6thrust23THRUST_200600_302600_NS6detail15normal_iteratorINSA_10device_ptrIdEEEEPS6_SG_NS0_5tupleIJSF_S6_EEENSH_IJSG_SG_EEES6_PlJNSB_9not_fun_tI7is_evenIdEEEEEE10hipError_tPvRmT3_T4_T5_T6_T7_T9_mT8_P12ihipStream_tbDpT10_ENKUlT_T0_E_clISt17integral_constantIbLb0EES17_IbLb1EEEEDaS13_S14_EUlS13_E_NS1_11comp_targetILNS1_3genE10ELNS1_11target_archE1200ELNS1_3gpuE4ELNS1_3repE0EEENS1_30default_config_static_selectorELNS0_4arch9wavefront6targetE0EEEvT1_.has_indirect_call, 0
	.section	.AMDGPU.csdata,"",@progbits
; Kernel info:
; codeLenInByte = 6592
; TotalNumSgprs: 24
; NumVgprs: 49
; ScratchSize: 0
; MemoryBound: 0
; FloatMode: 240
; IeeeMode: 1
; LDSByteSize: 8464 bytes/workgroup (compile time only)
; SGPRBlocks: 0
; VGPRBlocks: 6
; NumSGPRsForWavesPerEU: 24
; NumVGPRsForWavesPerEU: 49
; Occupancy: 16
; WaveLimiterHint : 1
; COMPUTE_PGM_RSRC2:SCRATCH_EN: 0
; COMPUTE_PGM_RSRC2:USER_SGPR: 2
; COMPUTE_PGM_RSRC2:TRAP_HANDLER: 0
; COMPUTE_PGM_RSRC2:TGID_X_EN: 1
; COMPUTE_PGM_RSRC2:TGID_Y_EN: 0
; COMPUTE_PGM_RSRC2:TGID_Z_EN: 0
; COMPUTE_PGM_RSRC2:TIDIG_COMP_CNT: 0
	.section	.text._ZN7rocprim17ROCPRIM_400000_NS6detail17trampoline_kernelINS0_14default_configENS1_25partition_config_selectorILNS1_17partition_subalgoE6EdNS0_10empty_typeEbEEZZNS1_14partition_implILS5_6ELb0ES3_mN6thrust23THRUST_200600_302600_NS6detail15normal_iteratorINSA_10device_ptrIdEEEEPS6_SG_NS0_5tupleIJSF_S6_EEENSH_IJSG_SG_EEES6_PlJNSB_9not_fun_tI7is_evenIdEEEEEE10hipError_tPvRmT3_T4_T5_T6_T7_T9_mT8_P12ihipStream_tbDpT10_ENKUlT_T0_E_clISt17integral_constantIbLb0EES17_IbLb1EEEEDaS13_S14_EUlS13_E_NS1_11comp_targetILNS1_3genE9ELNS1_11target_archE1100ELNS1_3gpuE3ELNS1_3repE0EEENS1_30default_config_static_selectorELNS0_4arch9wavefront6targetE0EEEvT1_,"axG",@progbits,_ZN7rocprim17ROCPRIM_400000_NS6detail17trampoline_kernelINS0_14default_configENS1_25partition_config_selectorILNS1_17partition_subalgoE6EdNS0_10empty_typeEbEEZZNS1_14partition_implILS5_6ELb0ES3_mN6thrust23THRUST_200600_302600_NS6detail15normal_iteratorINSA_10device_ptrIdEEEEPS6_SG_NS0_5tupleIJSF_S6_EEENSH_IJSG_SG_EEES6_PlJNSB_9not_fun_tI7is_evenIdEEEEEE10hipError_tPvRmT3_T4_T5_T6_T7_T9_mT8_P12ihipStream_tbDpT10_ENKUlT_T0_E_clISt17integral_constantIbLb0EES17_IbLb1EEEEDaS13_S14_EUlS13_E_NS1_11comp_targetILNS1_3genE9ELNS1_11target_archE1100ELNS1_3gpuE3ELNS1_3repE0EEENS1_30default_config_static_selectorELNS0_4arch9wavefront6targetE0EEEvT1_,comdat
	.protected	_ZN7rocprim17ROCPRIM_400000_NS6detail17trampoline_kernelINS0_14default_configENS1_25partition_config_selectorILNS1_17partition_subalgoE6EdNS0_10empty_typeEbEEZZNS1_14partition_implILS5_6ELb0ES3_mN6thrust23THRUST_200600_302600_NS6detail15normal_iteratorINSA_10device_ptrIdEEEEPS6_SG_NS0_5tupleIJSF_S6_EEENSH_IJSG_SG_EEES6_PlJNSB_9not_fun_tI7is_evenIdEEEEEE10hipError_tPvRmT3_T4_T5_T6_T7_T9_mT8_P12ihipStream_tbDpT10_ENKUlT_T0_E_clISt17integral_constantIbLb0EES17_IbLb1EEEEDaS13_S14_EUlS13_E_NS1_11comp_targetILNS1_3genE9ELNS1_11target_archE1100ELNS1_3gpuE3ELNS1_3repE0EEENS1_30default_config_static_selectorELNS0_4arch9wavefront6targetE0EEEvT1_ ; -- Begin function _ZN7rocprim17ROCPRIM_400000_NS6detail17trampoline_kernelINS0_14default_configENS1_25partition_config_selectorILNS1_17partition_subalgoE6EdNS0_10empty_typeEbEEZZNS1_14partition_implILS5_6ELb0ES3_mN6thrust23THRUST_200600_302600_NS6detail15normal_iteratorINSA_10device_ptrIdEEEEPS6_SG_NS0_5tupleIJSF_S6_EEENSH_IJSG_SG_EEES6_PlJNSB_9not_fun_tI7is_evenIdEEEEEE10hipError_tPvRmT3_T4_T5_T6_T7_T9_mT8_P12ihipStream_tbDpT10_ENKUlT_T0_E_clISt17integral_constantIbLb0EES17_IbLb1EEEEDaS13_S14_EUlS13_E_NS1_11comp_targetILNS1_3genE9ELNS1_11target_archE1100ELNS1_3gpuE3ELNS1_3repE0EEENS1_30default_config_static_selectorELNS0_4arch9wavefront6targetE0EEEvT1_
	.globl	_ZN7rocprim17ROCPRIM_400000_NS6detail17trampoline_kernelINS0_14default_configENS1_25partition_config_selectorILNS1_17partition_subalgoE6EdNS0_10empty_typeEbEEZZNS1_14partition_implILS5_6ELb0ES3_mN6thrust23THRUST_200600_302600_NS6detail15normal_iteratorINSA_10device_ptrIdEEEEPS6_SG_NS0_5tupleIJSF_S6_EEENSH_IJSG_SG_EEES6_PlJNSB_9not_fun_tI7is_evenIdEEEEEE10hipError_tPvRmT3_T4_T5_T6_T7_T9_mT8_P12ihipStream_tbDpT10_ENKUlT_T0_E_clISt17integral_constantIbLb0EES17_IbLb1EEEEDaS13_S14_EUlS13_E_NS1_11comp_targetILNS1_3genE9ELNS1_11target_archE1100ELNS1_3gpuE3ELNS1_3repE0EEENS1_30default_config_static_selectorELNS0_4arch9wavefront6targetE0EEEvT1_
	.p2align	8
	.type	_ZN7rocprim17ROCPRIM_400000_NS6detail17trampoline_kernelINS0_14default_configENS1_25partition_config_selectorILNS1_17partition_subalgoE6EdNS0_10empty_typeEbEEZZNS1_14partition_implILS5_6ELb0ES3_mN6thrust23THRUST_200600_302600_NS6detail15normal_iteratorINSA_10device_ptrIdEEEEPS6_SG_NS0_5tupleIJSF_S6_EEENSH_IJSG_SG_EEES6_PlJNSB_9not_fun_tI7is_evenIdEEEEEE10hipError_tPvRmT3_T4_T5_T6_T7_T9_mT8_P12ihipStream_tbDpT10_ENKUlT_T0_E_clISt17integral_constantIbLb0EES17_IbLb1EEEEDaS13_S14_EUlS13_E_NS1_11comp_targetILNS1_3genE9ELNS1_11target_archE1100ELNS1_3gpuE3ELNS1_3repE0EEENS1_30default_config_static_selectorELNS0_4arch9wavefront6targetE0EEEvT1_,@function
_ZN7rocprim17ROCPRIM_400000_NS6detail17trampoline_kernelINS0_14default_configENS1_25partition_config_selectorILNS1_17partition_subalgoE6EdNS0_10empty_typeEbEEZZNS1_14partition_implILS5_6ELb0ES3_mN6thrust23THRUST_200600_302600_NS6detail15normal_iteratorINSA_10device_ptrIdEEEEPS6_SG_NS0_5tupleIJSF_S6_EEENSH_IJSG_SG_EEES6_PlJNSB_9not_fun_tI7is_evenIdEEEEEE10hipError_tPvRmT3_T4_T5_T6_T7_T9_mT8_P12ihipStream_tbDpT10_ENKUlT_T0_E_clISt17integral_constantIbLb0EES17_IbLb1EEEEDaS13_S14_EUlS13_E_NS1_11comp_targetILNS1_3genE9ELNS1_11target_archE1100ELNS1_3gpuE3ELNS1_3repE0EEENS1_30default_config_static_selectorELNS0_4arch9wavefront6targetE0EEEvT1_: ; @_ZN7rocprim17ROCPRIM_400000_NS6detail17trampoline_kernelINS0_14default_configENS1_25partition_config_selectorILNS1_17partition_subalgoE6EdNS0_10empty_typeEbEEZZNS1_14partition_implILS5_6ELb0ES3_mN6thrust23THRUST_200600_302600_NS6detail15normal_iteratorINSA_10device_ptrIdEEEEPS6_SG_NS0_5tupleIJSF_S6_EEENSH_IJSG_SG_EEES6_PlJNSB_9not_fun_tI7is_evenIdEEEEEE10hipError_tPvRmT3_T4_T5_T6_T7_T9_mT8_P12ihipStream_tbDpT10_ENKUlT_T0_E_clISt17integral_constantIbLb0EES17_IbLb1EEEEDaS13_S14_EUlS13_E_NS1_11comp_targetILNS1_3genE9ELNS1_11target_archE1100ELNS1_3gpuE3ELNS1_3repE0EEENS1_30default_config_static_selectorELNS0_4arch9wavefront6targetE0EEEvT1_
; %bb.0:
	.section	.rodata,"a",@progbits
	.p2align	6, 0x0
	.amdhsa_kernel _ZN7rocprim17ROCPRIM_400000_NS6detail17trampoline_kernelINS0_14default_configENS1_25partition_config_selectorILNS1_17partition_subalgoE6EdNS0_10empty_typeEbEEZZNS1_14partition_implILS5_6ELb0ES3_mN6thrust23THRUST_200600_302600_NS6detail15normal_iteratorINSA_10device_ptrIdEEEEPS6_SG_NS0_5tupleIJSF_S6_EEENSH_IJSG_SG_EEES6_PlJNSB_9not_fun_tI7is_evenIdEEEEEE10hipError_tPvRmT3_T4_T5_T6_T7_T9_mT8_P12ihipStream_tbDpT10_ENKUlT_T0_E_clISt17integral_constantIbLb0EES17_IbLb1EEEEDaS13_S14_EUlS13_E_NS1_11comp_targetILNS1_3genE9ELNS1_11target_archE1100ELNS1_3gpuE3ELNS1_3repE0EEENS1_30default_config_static_selectorELNS0_4arch9wavefront6targetE0EEEvT1_
		.amdhsa_group_segment_fixed_size 0
		.amdhsa_private_segment_fixed_size 0
		.amdhsa_kernarg_size 128
		.amdhsa_user_sgpr_count 2
		.amdhsa_user_sgpr_dispatch_ptr 0
		.amdhsa_user_sgpr_queue_ptr 0
		.amdhsa_user_sgpr_kernarg_segment_ptr 1
		.amdhsa_user_sgpr_dispatch_id 0
		.amdhsa_user_sgpr_private_segment_size 0
		.amdhsa_wavefront_size32 1
		.amdhsa_uses_dynamic_stack 0
		.amdhsa_enable_private_segment 0
		.amdhsa_system_sgpr_workgroup_id_x 1
		.amdhsa_system_sgpr_workgroup_id_y 0
		.amdhsa_system_sgpr_workgroup_id_z 0
		.amdhsa_system_sgpr_workgroup_info 0
		.amdhsa_system_vgpr_workitem_id 0
		.amdhsa_next_free_vgpr 1
		.amdhsa_next_free_sgpr 1
		.amdhsa_reserve_vcc 0
		.amdhsa_float_round_mode_32 0
		.amdhsa_float_round_mode_16_64 0
		.amdhsa_float_denorm_mode_32 3
		.amdhsa_float_denorm_mode_16_64 3
		.amdhsa_fp16_overflow 0
		.amdhsa_workgroup_processor_mode 1
		.amdhsa_memory_ordered 1
		.amdhsa_forward_progress 1
		.amdhsa_inst_pref_size 0
		.amdhsa_round_robin_scheduling 0
		.amdhsa_exception_fp_ieee_invalid_op 0
		.amdhsa_exception_fp_denorm_src 0
		.amdhsa_exception_fp_ieee_div_zero 0
		.amdhsa_exception_fp_ieee_overflow 0
		.amdhsa_exception_fp_ieee_underflow 0
		.amdhsa_exception_fp_ieee_inexact 0
		.amdhsa_exception_int_div_zero 0
	.end_amdhsa_kernel
	.section	.text._ZN7rocprim17ROCPRIM_400000_NS6detail17trampoline_kernelINS0_14default_configENS1_25partition_config_selectorILNS1_17partition_subalgoE6EdNS0_10empty_typeEbEEZZNS1_14partition_implILS5_6ELb0ES3_mN6thrust23THRUST_200600_302600_NS6detail15normal_iteratorINSA_10device_ptrIdEEEEPS6_SG_NS0_5tupleIJSF_S6_EEENSH_IJSG_SG_EEES6_PlJNSB_9not_fun_tI7is_evenIdEEEEEE10hipError_tPvRmT3_T4_T5_T6_T7_T9_mT8_P12ihipStream_tbDpT10_ENKUlT_T0_E_clISt17integral_constantIbLb0EES17_IbLb1EEEEDaS13_S14_EUlS13_E_NS1_11comp_targetILNS1_3genE9ELNS1_11target_archE1100ELNS1_3gpuE3ELNS1_3repE0EEENS1_30default_config_static_selectorELNS0_4arch9wavefront6targetE0EEEvT1_,"axG",@progbits,_ZN7rocprim17ROCPRIM_400000_NS6detail17trampoline_kernelINS0_14default_configENS1_25partition_config_selectorILNS1_17partition_subalgoE6EdNS0_10empty_typeEbEEZZNS1_14partition_implILS5_6ELb0ES3_mN6thrust23THRUST_200600_302600_NS6detail15normal_iteratorINSA_10device_ptrIdEEEEPS6_SG_NS0_5tupleIJSF_S6_EEENSH_IJSG_SG_EEES6_PlJNSB_9not_fun_tI7is_evenIdEEEEEE10hipError_tPvRmT3_T4_T5_T6_T7_T9_mT8_P12ihipStream_tbDpT10_ENKUlT_T0_E_clISt17integral_constantIbLb0EES17_IbLb1EEEEDaS13_S14_EUlS13_E_NS1_11comp_targetILNS1_3genE9ELNS1_11target_archE1100ELNS1_3gpuE3ELNS1_3repE0EEENS1_30default_config_static_selectorELNS0_4arch9wavefront6targetE0EEEvT1_,comdat
.Lfunc_end563:
	.size	_ZN7rocprim17ROCPRIM_400000_NS6detail17trampoline_kernelINS0_14default_configENS1_25partition_config_selectorILNS1_17partition_subalgoE6EdNS0_10empty_typeEbEEZZNS1_14partition_implILS5_6ELb0ES3_mN6thrust23THRUST_200600_302600_NS6detail15normal_iteratorINSA_10device_ptrIdEEEEPS6_SG_NS0_5tupleIJSF_S6_EEENSH_IJSG_SG_EEES6_PlJNSB_9not_fun_tI7is_evenIdEEEEEE10hipError_tPvRmT3_T4_T5_T6_T7_T9_mT8_P12ihipStream_tbDpT10_ENKUlT_T0_E_clISt17integral_constantIbLb0EES17_IbLb1EEEEDaS13_S14_EUlS13_E_NS1_11comp_targetILNS1_3genE9ELNS1_11target_archE1100ELNS1_3gpuE3ELNS1_3repE0EEENS1_30default_config_static_selectorELNS0_4arch9wavefront6targetE0EEEvT1_, .Lfunc_end563-_ZN7rocprim17ROCPRIM_400000_NS6detail17trampoline_kernelINS0_14default_configENS1_25partition_config_selectorILNS1_17partition_subalgoE6EdNS0_10empty_typeEbEEZZNS1_14partition_implILS5_6ELb0ES3_mN6thrust23THRUST_200600_302600_NS6detail15normal_iteratorINSA_10device_ptrIdEEEEPS6_SG_NS0_5tupleIJSF_S6_EEENSH_IJSG_SG_EEES6_PlJNSB_9not_fun_tI7is_evenIdEEEEEE10hipError_tPvRmT3_T4_T5_T6_T7_T9_mT8_P12ihipStream_tbDpT10_ENKUlT_T0_E_clISt17integral_constantIbLb0EES17_IbLb1EEEEDaS13_S14_EUlS13_E_NS1_11comp_targetILNS1_3genE9ELNS1_11target_archE1100ELNS1_3gpuE3ELNS1_3repE0EEENS1_30default_config_static_selectorELNS0_4arch9wavefront6targetE0EEEvT1_
                                        ; -- End function
	.set _ZN7rocprim17ROCPRIM_400000_NS6detail17trampoline_kernelINS0_14default_configENS1_25partition_config_selectorILNS1_17partition_subalgoE6EdNS0_10empty_typeEbEEZZNS1_14partition_implILS5_6ELb0ES3_mN6thrust23THRUST_200600_302600_NS6detail15normal_iteratorINSA_10device_ptrIdEEEEPS6_SG_NS0_5tupleIJSF_S6_EEENSH_IJSG_SG_EEES6_PlJNSB_9not_fun_tI7is_evenIdEEEEEE10hipError_tPvRmT3_T4_T5_T6_T7_T9_mT8_P12ihipStream_tbDpT10_ENKUlT_T0_E_clISt17integral_constantIbLb0EES17_IbLb1EEEEDaS13_S14_EUlS13_E_NS1_11comp_targetILNS1_3genE9ELNS1_11target_archE1100ELNS1_3gpuE3ELNS1_3repE0EEENS1_30default_config_static_selectorELNS0_4arch9wavefront6targetE0EEEvT1_.num_vgpr, 0
	.set _ZN7rocprim17ROCPRIM_400000_NS6detail17trampoline_kernelINS0_14default_configENS1_25partition_config_selectorILNS1_17partition_subalgoE6EdNS0_10empty_typeEbEEZZNS1_14partition_implILS5_6ELb0ES3_mN6thrust23THRUST_200600_302600_NS6detail15normal_iteratorINSA_10device_ptrIdEEEEPS6_SG_NS0_5tupleIJSF_S6_EEENSH_IJSG_SG_EEES6_PlJNSB_9not_fun_tI7is_evenIdEEEEEE10hipError_tPvRmT3_T4_T5_T6_T7_T9_mT8_P12ihipStream_tbDpT10_ENKUlT_T0_E_clISt17integral_constantIbLb0EES17_IbLb1EEEEDaS13_S14_EUlS13_E_NS1_11comp_targetILNS1_3genE9ELNS1_11target_archE1100ELNS1_3gpuE3ELNS1_3repE0EEENS1_30default_config_static_selectorELNS0_4arch9wavefront6targetE0EEEvT1_.num_agpr, 0
	.set _ZN7rocprim17ROCPRIM_400000_NS6detail17trampoline_kernelINS0_14default_configENS1_25partition_config_selectorILNS1_17partition_subalgoE6EdNS0_10empty_typeEbEEZZNS1_14partition_implILS5_6ELb0ES3_mN6thrust23THRUST_200600_302600_NS6detail15normal_iteratorINSA_10device_ptrIdEEEEPS6_SG_NS0_5tupleIJSF_S6_EEENSH_IJSG_SG_EEES6_PlJNSB_9not_fun_tI7is_evenIdEEEEEE10hipError_tPvRmT3_T4_T5_T6_T7_T9_mT8_P12ihipStream_tbDpT10_ENKUlT_T0_E_clISt17integral_constantIbLb0EES17_IbLb1EEEEDaS13_S14_EUlS13_E_NS1_11comp_targetILNS1_3genE9ELNS1_11target_archE1100ELNS1_3gpuE3ELNS1_3repE0EEENS1_30default_config_static_selectorELNS0_4arch9wavefront6targetE0EEEvT1_.numbered_sgpr, 0
	.set _ZN7rocprim17ROCPRIM_400000_NS6detail17trampoline_kernelINS0_14default_configENS1_25partition_config_selectorILNS1_17partition_subalgoE6EdNS0_10empty_typeEbEEZZNS1_14partition_implILS5_6ELb0ES3_mN6thrust23THRUST_200600_302600_NS6detail15normal_iteratorINSA_10device_ptrIdEEEEPS6_SG_NS0_5tupleIJSF_S6_EEENSH_IJSG_SG_EEES6_PlJNSB_9not_fun_tI7is_evenIdEEEEEE10hipError_tPvRmT3_T4_T5_T6_T7_T9_mT8_P12ihipStream_tbDpT10_ENKUlT_T0_E_clISt17integral_constantIbLb0EES17_IbLb1EEEEDaS13_S14_EUlS13_E_NS1_11comp_targetILNS1_3genE9ELNS1_11target_archE1100ELNS1_3gpuE3ELNS1_3repE0EEENS1_30default_config_static_selectorELNS0_4arch9wavefront6targetE0EEEvT1_.num_named_barrier, 0
	.set _ZN7rocprim17ROCPRIM_400000_NS6detail17trampoline_kernelINS0_14default_configENS1_25partition_config_selectorILNS1_17partition_subalgoE6EdNS0_10empty_typeEbEEZZNS1_14partition_implILS5_6ELb0ES3_mN6thrust23THRUST_200600_302600_NS6detail15normal_iteratorINSA_10device_ptrIdEEEEPS6_SG_NS0_5tupleIJSF_S6_EEENSH_IJSG_SG_EEES6_PlJNSB_9not_fun_tI7is_evenIdEEEEEE10hipError_tPvRmT3_T4_T5_T6_T7_T9_mT8_P12ihipStream_tbDpT10_ENKUlT_T0_E_clISt17integral_constantIbLb0EES17_IbLb1EEEEDaS13_S14_EUlS13_E_NS1_11comp_targetILNS1_3genE9ELNS1_11target_archE1100ELNS1_3gpuE3ELNS1_3repE0EEENS1_30default_config_static_selectorELNS0_4arch9wavefront6targetE0EEEvT1_.private_seg_size, 0
	.set _ZN7rocprim17ROCPRIM_400000_NS6detail17trampoline_kernelINS0_14default_configENS1_25partition_config_selectorILNS1_17partition_subalgoE6EdNS0_10empty_typeEbEEZZNS1_14partition_implILS5_6ELb0ES3_mN6thrust23THRUST_200600_302600_NS6detail15normal_iteratorINSA_10device_ptrIdEEEEPS6_SG_NS0_5tupleIJSF_S6_EEENSH_IJSG_SG_EEES6_PlJNSB_9not_fun_tI7is_evenIdEEEEEE10hipError_tPvRmT3_T4_T5_T6_T7_T9_mT8_P12ihipStream_tbDpT10_ENKUlT_T0_E_clISt17integral_constantIbLb0EES17_IbLb1EEEEDaS13_S14_EUlS13_E_NS1_11comp_targetILNS1_3genE9ELNS1_11target_archE1100ELNS1_3gpuE3ELNS1_3repE0EEENS1_30default_config_static_selectorELNS0_4arch9wavefront6targetE0EEEvT1_.uses_vcc, 0
	.set _ZN7rocprim17ROCPRIM_400000_NS6detail17trampoline_kernelINS0_14default_configENS1_25partition_config_selectorILNS1_17partition_subalgoE6EdNS0_10empty_typeEbEEZZNS1_14partition_implILS5_6ELb0ES3_mN6thrust23THRUST_200600_302600_NS6detail15normal_iteratorINSA_10device_ptrIdEEEEPS6_SG_NS0_5tupleIJSF_S6_EEENSH_IJSG_SG_EEES6_PlJNSB_9not_fun_tI7is_evenIdEEEEEE10hipError_tPvRmT3_T4_T5_T6_T7_T9_mT8_P12ihipStream_tbDpT10_ENKUlT_T0_E_clISt17integral_constantIbLb0EES17_IbLb1EEEEDaS13_S14_EUlS13_E_NS1_11comp_targetILNS1_3genE9ELNS1_11target_archE1100ELNS1_3gpuE3ELNS1_3repE0EEENS1_30default_config_static_selectorELNS0_4arch9wavefront6targetE0EEEvT1_.uses_flat_scratch, 0
	.set _ZN7rocprim17ROCPRIM_400000_NS6detail17trampoline_kernelINS0_14default_configENS1_25partition_config_selectorILNS1_17partition_subalgoE6EdNS0_10empty_typeEbEEZZNS1_14partition_implILS5_6ELb0ES3_mN6thrust23THRUST_200600_302600_NS6detail15normal_iteratorINSA_10device_ptrIdEEEEPS6_SG_NS0_5tupleIJSF_S6_EEENSH_IJSG_SG_EEES6_PlJNSB_9not_fun_tI7is_evenIdEEEEEE10hipError_tPvRmT3_T4_T5_T6_T7_T9_mT8_P12ihipStream_tbDpT10_ENKUlT_T0_E_clISt17integral_constantIbLb0EES17_IbLb1EEEEDaS13_S14_EUlS13_E_NS1_11comp_targetILNS1_3genE9ELNS1_11target_archE1100ELNS1_3gpuE3ELNS1_3repE0EEENS1_30default_config_static_selectorELNS0_4arch9wavefront6targetE0EEEvT1_.has_dyn_sized_stack, 0
	.set _ZN7rocprim17ROCPRIM_400000_NS6detail17trampoline_kernelINS0_14default_configENS1_25partition_config_selectorILNS1_17partition_subalgoE6EdNS0_10empty_typeEbEEZZNS1_14partition_implILS5_6ELb0ES3_mN6thrust23THRUST_200600_302600_NS6detail15normal_iteratorINSA_10device_ptrIdEEEEPS6_SG_NS0_5tupleIJSF_S6_EEENSH_IJSG_SG_EEES6_PlJNSB_9not_fun_tI7is_evenIdEEEEEE10hipError_tPvRmT3_T4_T5_T6_T7_T9_mT8_P12ihipStream_tbDpT10_ENKUlT_T0_E_clISt17integral_constantIbLb0EES17_IbLb1EEEEDaS13_S14_EUlS13_E_NS1_11comp_targetILNS1_3genE9ELNS1_11target_archE1100ELNS1_3gpuE3ELNS1_3repE0EEENS1_30default_config_static_selectorELNS0_4arch9wavefront6targetE0EEEvT1_.has_recursion, 0
	.set _ZN7rocprim17ROCPRIM_400000_NS6detail17trampoline_kernelINS0_14default_configENS1_25partition_config_selectorILNS1_17partition_subalgoE6EdNS0_10empty_typeEbEEZZNS1_14partition_implILS5_6ELb0ES3_mN6thrust23THRUST_200600_302600_NS6detail15normal_iteratorINSA_10device_ptrIdEEEEPS6_SG_NS0_5tupleIJSF_S6_EEENSH_IJSG_SG_EEES6_PlJNSB_9not_fun_tI7is_evenIdEEEEEE10hipError_tPvRmT3_T4_T5_T6_T7_T9_mT8_P12ihipStream_tbDpT10_ENKUlT_T0_E_clISt17integral_constantIbLb0EES17_IbLb1EEEEDaS13_S14_EUlS13_E_NS1_11comp_targetILNS1_3genE9ELNS1_11target_archE1100ELNS1_3gpuE3ELNS1_3repE0EEENS1_30default_config_static_selectorELNS0_4arch9wavefront6targetE0EEEvT1_.has_indirect_call, 0
	.section	.AMDGPU.csdata,"",@progbits
; Kernel info:
; codeLenInByte = 0
; TotalNumSgprs: 0
; NumVgprs: 0
; ScratchSize: 0
; MemoryBound: 0
; FloatMode: 240
; IeeeMode: 1
; LDSByteSize: 0 bytes/workgroup (compile time only)
; SGPRBlocks: 0
; VGPRBlocks: 0
; NumSGPRsForWavesPerEU: 1
; NumVGPRsForWavesPerEU: 1
; Occupancy: 16
; WaveLimiterHint : 0
; COMPUTE_PGM_RSRC2:SCRATCH_EN: 0
; COMPUTE_PGM_RSRC2:USER_SGPR: 2
; COMPUTE_PGM_RSRC2:TRAP_HANDLER: 0
; COMPUTE_PGM_RSRC2:TGID_X_EN: 1
; COMPUTE_PGM_RSRC2:TGID_Y_EN: 0
; COMPUTE_PGM_RSRC2:TGID_Z_EN: 0
; COMPUTE_PGM_RSRC2:TIDIG_COMP_CNT: 0
	.section	.text._ZN7rocprim17ROCPRIM_400000_NS6detail17trampoline_kernelINS0_14default_configENS1_25partition_config_selectorILNS1_17partition_subalgoE6EdNS0_10empty_typeEbEEZZNS1_14partition_implILS5_6ELb0ES3_mN6thrust23THRUST_200600_302600_NS6detail15normal_iteratorINSA_10device_ptrIdEEEEPS6_SG_NS0_5tupleIJSF_S6_EEENSH_IJSG_SG_EEES6_PlJNSB_9not_fun_tI7is_evenIdEEEEEE10hipError_tPvRmT3_T4_T5_T6_T7_T9_mT8_P12ihipStream_tbDpT10_ENKUlT_T0_E_clISt17integral_constantIbLb0EES17_IbLb1EEEEDaS13_S14_EUlS13_E_NS1_11comp_targetILNS1_3genE8ELNS1_11target_archE1030ELNS1_3gpuE2ELNS1_3repE0EEENS1_30default_config_static_selectorELNS0_4arch9wavefront6targetE0EEEvT1_,"axG",@progbits,_ZN7rocprim17ROCPRIM_400000_NS6detail17trampoline_kernelINS0_14default_configENS1_25partition_config_selectorILNS1_17partition_subalgoE6EdNS0_10empty_typeEbEEZZNS1_14partition_implILS5_6ELb0ES3_mN6thrust23THRUST_200600_302600_NS6detail15normal_iteratorINSA_10device_ptrIdEEEEPS6_SG_NS0_5tupleIJSF_S6_EEENSH_IJSG_SG_EEES6_PlJNSB_9not_fun_tI7is_evenIdEEEEEE10hipError_tPvRmT3_T4_T5_T6_T7_T9_mT8_P12ihipStream_tbDpT10_ENKUlT_T0_E_clISt17integral_constantIbLb0EES17_IbLb1EEEEDaS13_S14_EUlS13_E_NS1_11comp_targetILNS1_3genE8ELNS1_11target_archE1030ELNS1_3gpuE2ELNS1_3repE0EEENS1_30default_config_static_selectorELNS0_4arch9wavefront6targetE0EEEvT1_,comdat
	.protected	_ZN7rocprim17ROCPRIM_400000_NS6detail17trampoline_kernelINS0_14default_configENS1_25partition_config_selectorILNS1_17partition_subalgoE6EdNS0_10empty_typeEbEEZZNS1_14partition_implILS5_6ELb0ES3_mN6thrust23THRUST_200600_302600_NS6detail15normal_iteratorINSA_10device_ptrIdEEEEPS6_SG_NS0_5tupleIJSF_S6_EEENSH_IJSG_SG_EEES6_PlJNSB_9not_fun_tI7is_evenIdEEEEEE10hipError_tPvRmT3_T4_T5_T6_T7_T9_mT8_P12ihipStream_tbDpT10_ENKUlT_T0_E_clISt17integral_constantIbLb0EES17_IbLb1EEEEDaS13_S14_EUlS13_E_NS1_11comp_targetILNS1_3genE8ELNS1_11target_archE1030ELNS1_3gpuE2ELNS1_3repE0EEENS1_30default_config_static_selectorELNS0_4arch9wavefront6targetE0EEEvT1_ ; -- Begin function _ZN7rocprim17ROCPRIM_400000_NS6detail17trampoline_kernelINS0_14default_configENS1_25partition_config_selectorILNS1_17partition_subalgoE6EdNS0_10empty_typeEbEEZZNS1_14partition_implILS5_6ELb0ES3_mN6thrust23THRUST_200600_302600_NS6detail15normal_iteratorINSA_10device_ptrIdEEEEPS6_SG_NS0_5tupleIJSF_S6_EEENSH_IJSG_SG_EEES6_PlJNSB_9not_fun_tI7is_evenIdEEEEEE10hipError_tPvRmT3_T4_T5_T6_T7_T9_mT8_P12ihipStream_tbDpT10_ENKUlT_T0_E_clISt17integral_constantIbLb0EES17_IbLb1EEEEDaS13_S14_EUlS13_E_NS1_11comp_targetILNS1_3genE8ELNS1_11target_archE1030ELNS1_3gpuE2ELNS1_3repE0EEENS1_30default_config_static_selectorELNS0_4arch9wavefront6targetE0EEEvT1_
	.globl	_ZN7rocprim17ROCPRIM_400000_NS6detail17trampoline_kernelINS0_14default_configENS1_25partition_config_selectorILNS1_17partition_subalgoE6EdNS0_10empty_typeEbEEZZNS1_14partition_implILS5_6ELb0ES3_mN6thrust23THRUST_200600_302600_NS6detail15normal_iteratorINSA_10device_ptrIdEEEEPS6_SG_NS0_5tupleIJSF_S6_EEENSH_IJSG_SG_EEES6_PlJNSB_9not_fun_tI7is_evenIdEEEEEE10hipError_tPvRmT3_T4_T5_T6_T7_T9_mT8_P12ihipStream_tbDpT10_ENKUlT_T0_E_clISt17integral_constantIbLb0EES17_IbLb1EEEEDaS13_S14_EUlS13_E_NS1_11comp_targetILNS1_3genE8ELNS1_11target_archE1030ELNS1_3gpuE2ELNS1_3repE0EEENS1_30default_config_static_selectorELNS0_4arch9wavefront6targetE0EEEvT1_
	.p2align	8
	.type	_ZN7rocprim17ROCPRIM_400000_NS6detail17trampoline_kernelINS0_14default_configENS1_25partition_config_selectorILNS1_17partition_subalgoE6EdNS0_10empty_typeEbEEZZNS1_14partition_implILS5_6ELb0ES3_mN6thrust23THRUST_200600_302600_NS6detail15normal_iteratorINSA_10device_ptrIdEEEEPS6_SG_NS0_5tupleIJSF_S6_EEENSH_IJSG_SG_EEES6_PlJNSB_9not_fun_tI7is_evenIdEEEEEE10hipError_tPvRmT3_T4_T5_T6_T7_T9_mT8_P12ihipStream_tbDpT10_ENKUlT_T0_E_clISt17integral_constantIbLb0EES17_IbLb1EEEEDaS13_S14_EUlS13_E_NS1_11comp_targetILNS1_3genE8ELNS1_11target_archE1030ELNS1_3gpuE2ELNS1_3repE0EEENS1_30default_config_static_selectorELNS0_4arch9wavefront6targetE0EEEvT1_,@function
_ZN7rocprim17ROCPRIM_400000_NS6detail17trampoline_kernelINS0_14default_configENS1_25partition_config_selectorILNS1_17partition_subalgoE6EdNS0_10empty_typeEbEEZZNS1_14partition_implILS5_6ELb0ES3_mN6thrust23THRUST_200600_302600_NS6detail15normal_iteratorINSA_10device_ptrIdEEEEPS6_SG_NS0_5tupleIJSF_S6_EEENSH_IJSG_SG_EEES6_PlJNSB_9not_fun_tI7is_evenIdEEEEEE10hipError_tPvRmT3_T4_T5_T6_T7_T9_mT8_P12ihipStream_tbDpT10_ENKUlT_T0_E_clISt17integral_constantIbLb0EES17_IbLb1EEEEDaS13_S14_EUlS13_E_NS1_11comp_targetILNS1_3genE8ELNS1_11target_archE1030ELNS1_3gpuE2ELNS1_3repE0EEENS1_30default_config_static_selectorELNS0_4arch9wavefront6targetE0EEEvT1_: ; @_ZN7rocprim17ROCPRIM_400000_NS6detail17trampoline_kernelINS0_14default_configENS1_25partition_config_selectorILNS1_17partition_subalgoE6EdNS0_10empty_typeEbEEZZNS1_14partition_implILS5_6ELb0ES3_mN6thrust23THRUST_200600_302600_NS6detail15normal_iteratorINSA_10device_ptrIdEEEEPS6_SG_NS0_5tupleIJSF_S6_EEENSH_IJSG_SG_EEES6_PlJNSB_9not_fun_tI7is_evenIdEEEEEE10hipError_tPvRmT3_T4_T5_T6_T7_T9_mT8_P12ihipStream_tbDpT10_ENKUlT_T0_E_clISt17integral_constantIbLb0EES17_IbLb1EEEEDaS13_S14_EUlS13_E_NS1_11comp_targetILNS1_3genE8ELNS1_11target_archE1030ELNS1_3gpuE2ELNS1_3repE0EEENS1_30default_config_static_selectorELNS0_4arch9wavefront6targetE0EEEvT1_
; %bb.0:
	.section	.rodata,"a",@progbits
	.p2align	6, 0x0
	.amdhsa_kernel _ZN7rocprim17ROCPRIM_400000_NS6detail17trampoline_kernelINS0_14default_configENS1_25partition_config_selectorILNS1_17partition_subalgoE6EdNS0_10empty_typeEbEEZZNS1_14partition_implILS5_6ELb0ES3_mN6thrust23THRUST_200600_302600_NS6detail15normal_iteratorINSA_10device_ptrIdEEEEPS6_SG_NS0_5tupleIJSF_S6_EEENSH_IJSG_SG_EEES6_PlJNSB_9not_fun_tI7is_evenIdEEEEEE10hipError_tPvRmT3_T4_T5_T6_T7_T9_mT8_P12ihipStream_tbDpT10_ENKUlT_T0_E_clISt17integral_constantIbLb0EES17_IbLb1EEEEDaS13_S14_EUlS13_E_NS1_11comp_targetILNS1_3genE8ELNS1_11target_archE1030ELNS1_3gpuE2ELNS1_3repE0EEENS1_30default_config_static_selectorELNS0_4arch9wavefront6targetE0EEEvT1_
		.amdhsa_group_segment_fixed_size 0
		.amdhsa_private_segment_fixed_size 0
		.amdhsa_kernarg_size 128
		.amdhsa_user_sgpr_count 2
		.amdhsa_user_sgpr_dispatch_ptr 0
		.amdhsa_user_sgpr_queue_ptr 0
		.amdhsa_user_sgpr_kernarg_segment_ptr 1
		.amdhsa_user_sgpr_dispatch_id 0
		.amdhsa_user_sgpr_private_segment_size 0
		.amdhsa_wavefront_size32 1
		.amdhsa_uses_dynamic_stack 0
		.amdhsa_enable_private_segment 0
		.amdhsa_system_sgpr_workgroup_id_x 1
		.amdhsa_system_sgpr_workgroup_id_y 0
		.amdhsa_system_sgpr_workgroup_id_z 0
		.amdhsa_system_sgpr_workgroup_info 0
		.amdhsa_system_vgpr_workitem_id 0
		.amdhsa_next_free_vgpr 1
		.amdhsa_next_free_sgpr 1
		.amdhsa_reserve_vcc 0
		.amdhsa_float_round_mode_32 0
		.amdhsa_float_round_mode_16_64 0
		.amdhsa_float_denorm_mode_32 3
		.amdhsa_float_denorm_mode_16_64 3
		.amdhsa_fp16_overflow 0
		.amdhsa_workgroup_processor_mode 1
		.amdhsa_memory_ordered 1
		.amdhsa_forward_progress 1
		.amdhsa_inst_pref_size 0
		.amdhsa_round_robin_scheduling 0
		.amdhsa_exception_fp_ieee_invalid_op 0
		.amdhsa_exception_fp_denorm_src 0
		.amdhsa_exception_fp_ieee_div_zero 0
		.amdhsa_exception_fp_ieee_overflow 0
		.amdhsa_exception_fp_ieee_underflow 0
		.amdhsa_exception_fp_ieee_inexact 0
		.amdhsa_exception_int_div_zero 0
	.end_amdhsa_kernel
	.section	.text._ZN7rocprim17ROCPRIM_400000_NS6detail17trampoline_kernelINS0_14default_configENS1_25partition_config_selectorILNS1_17partition_subalgoE6EdNS0_10empty_typeEbEEZZNS1_14partition_implILS5_6ELb0ES3_mN6thrust23THRUST_200600_302600_NS6detail15normal_iteratorINSA_10device_ptrIdEEEEPS6_SG_NS0_5tupleIJSF_S6_EEENSH_IJSG_SG_EEES6_PlJNSB_9not_fun_tI7is_evenIdEEEEEE10hipError_tPvRmT3_T4_T5_T6_T7_T9_mT8_P12ihipStream_tbDpT10_ENKUlT_T0_E_clISt17integral_constantIbLb0EES17_IbLb1EEEEDaS13_S14_EUlS13_E_NS1_11comp_targetILNS1_3genE8ELNS1_11target_archE1030ELNS1_3gpuE2ELNS1_3repE0EEENS1_30default_config_static_selectorELNS0_4arch9wavefront6targetE0EEEvT1_,"axG",@progbits,_ZN7rocprim17ROCPRIM_400000_NS6detail17trampoline_kernelINS0_14default_configENS1_25partition_config_selectorILNS1_17partition_subalgoE6EdNS0_10empty_typeEbEEZZNS1_14partition_implILS5_6ELb0ES3_mN6thrust23THRUST_200600_302600_NS6detail15normal_iteratorINSA_10device_ptrIdEEEEPS6_SG_NS0_5tupleIJSF_S6_EEENSH_IJSG_SG_EEES6_PlJNSB_9not_fun_tI7is_evenIdEEEEEE10hipError_tPvRmT3_T4_T5_T6_T7_T9_mT8_P12ihipStream_tbDpT10_ENKUlT_T0_E_clISt17integral_constantIbLb0EES17_IbLb1EEEEDaS13_S14_EUlS13_E_NS1_11comp_targetILNS1_3genE8ELNS1_11target_archE1030ELNS1_3gpuE2ELNS1_3repE0EEENS1_30default_config_static_selectorELNS0_4arch9wavefront6targetE0EEEvT1_,comdat
.Lfunc_end564:
	.size	_ZN7rocprim17ROCPRIM_400000_NS6detail17trampoline_kernelINS0_14default_configENS1_25partition_config_selectorILNS1_17partition_subalgoE6EdNS0_10empty_typeEbEEZZNS1_14partition_implILS5_6ELb0ES3_mN6thrust23THRUST_200600_302600_NS6detail15normal_iteratorINSA_10device_ptrIdEEEEPS6_SG_NS0_5tupleIJSF_S6_EEENSH_IJSG_SG_EEES6_PlJNSB_9not_fun_tI7is_evenIdEEEEEE10hipError_tPvRmT3_T4_T5_T6_T7_T9_mT8_P12ihipStream_tbDpT10_ENKUlT_T0_E_clISt17integral_constantIbLb0EES17_IbLb1EEEEDaS13_S14_EUlS13_E_NS1_11comp_targetILNS1_3genE8ELNS1_11target_archE1030ELNS1_3gpuE2ELNS1_3repE0EEENS1_30default_config_static_selectorELNS0_4arch9wavefront6targetE0EEEvT1_, .Lfunc_end564-_ZN7rocprim17ROCPRIM_400000_NS6detail17trampoline_kernelINS0_14default_configENS1_25partition_config_selectorILNS1_17partition_subalgoE6EdNS0_10empty_typeEbEEZZNS1_14partition_implILS5_6ELb0ES3_mN6thrust23THRUST_200600_302600_NS6detail15normal_iteratorINSA_10device_ptrIdEEEEPS6_SG_NS0_5tupleIJSF_S6_EEENSH_IJSG_SG_EEES6_PlJNSB_9not_fun_tI7is_evenIdEEEEEE10hipError_tPvRmT3_T4_T5_T6_T7_T9_mT8_P12ihipStream_tbDpT10_ENKUlT_T0_E_clISt17integral_constantIbLb0EES17_IbLb1EEEEDaS13_S14_EUlS13_E_NS1_11comp_targetILNS1_3genE8ELNS1_11target_archE1030ELNS1_3gpuE2ELNS1_3repE0EEENS1_30default_config_static_selectorELNS0_4arch9wavefront6targetE0EEEvT1_
                                        ; -- End function
	.set _ZN7rocprim17ROCPRIM_400000_NS6detail17trampoline_kernelINS0_14default_configENS1_25partition_config_selectorILNS1_17partition_subalgoE6EdNS0_10empty_typeEbEEZZNS1_14partition_implILS5_6ELb0ES3_mN6thrust23THRUST_200600_302600_NS6detail15normal_iteratorINSA_10device_ptrIdEEEEPS6_SG_NS0_5tupleIJSF_S6_EEENSH_IJSG_SG_EEES6_PlJNSB_9not_fun_tI7is_evenIdEEEEEE10hipError_tPvRmT3_T4_T5_T6_T7_T9_mT8_P12ihipStream_tbDpT10_ENKUlT_T0_E_clISt17integral_constantIbLb0EES17_IbLb1EEEEDaS13_S14_EUlS13_E_NS1_11comp_targetILNS1_3genE8ELNS1_11target_archE1030ELNS1_3gpuE2ELNS1_3repE0EEENS1_30default_config_static_selectorELNS0_4arch9wavefront6targetE0EEEvT1_.num_vgpr, 0
	.set _ZN7rocprim17ROCPRIM_400000_NS6detail17trampoline_kernelINS0_14default_configENS1_25partition_config_selectorILNS1_17partition_subalgoE6EdNS0_10empty_typeEbEEZZNS1_14partition_implILS5_6ELb0ES3_mN6thrust23THRUST_200600_302600_NS6detail15normal_iteratorINSA_10device_ptrIdEEEEPS6_SG_NS0_5tupleIJSF_S6_EEENSH_IJSG_SG_EEES6_PlJNSB_9not_fun_tI7is_evenIdEEEEEE10hipError_tPvRmT3_T4_T5_T6_T7_T9_mT8_P12ihipStream_tbDpT10_ENKUlT_T0_E_clISt17integral_constantIbLb0EES17_IbLb1EEEEDaS13_S14_EUlS13_E_NS1_11comp_targetILNS1_3genE8ELNS1_11target_archE1030ELNS1_3gpuE2ELNS1_3repE0EEENS1_30default_config_static_selectorELNS0_4arch9wavefront6targetE0EEEvT1_.num_agpr, 0
	.set _ZN7rocprim17ROCPRIM_400000_NS6detail17trampoline_kernelINS0_14default_configENS1_25partition_config_selectorILNS1_17partition_subalgoE6EdNS0_10empty_typeEbEEZZNS1_14partition_implILS5_6ELb0ES3_mN6thrust23THRUST_200600_302600_NS6detail15normal_iteratorINSA_10device_ptrIdEEEEPS6_SG_NS0_5tupleIJSF_S6_EEENSH_IJSG_SG_EEES6_PlJNSB_9not_fun_tI7is_evenIdEEEEEE10hipError_tPvRmT3_T4_T5_T6_T7_T9_mT8_P12ihipStream_tbDpT10_ENKUlT_T0_E_clISt17integral_constantIbLb0EES17_IbLb1EEEEDaS13_S14_EUlS13_E_NS1_11comp_targetILNS1_3genE8ELNS1_11target_archE1030ELNS1_3gpuE2ELNS1_3repE0EEENS1_30default_config_static_selectorELNS0_4arch9wavefront6targetE0EEEvT1_.numbered_sgpr, 0
	.set _ZN7rocprim17ROCPRIM_400000_NS6detail17trampoline_kernelINS0_14default_configENS1_25partition_config_selectorILNS1_17partition_subalgoE6EdNS0_10empty_typeEbEEZZNS1_14partition_implILS5_6ELb0ES3_mN6thrust23THRUST_200600_302600_NS6detail15normal_iteratorINSA_10device_ptrIdEEEEPS6_SG_NS0_5tupleIJSF_S6_EEENSH_IJSG_SG_EEES6_PlJNSB_9not_fun_tI7is_evenIdEEEEEE10hipError_tPvRmT3_T4_T5_T6_T7_T9_mT8_P12ihipStream_tbDpT10_ENKUlT_T0_E_clISt17integral_constantIbLb0EES17_IbLb1EEEEDaS13_S14_EUlS13_E_NS1_11comp_targetILNS1_3genE8ELNS1_11target_archE1030ELNS1_3gpuE2ELNS1_3repE0EEENS1_30default_config_static_selectorELNS0_4arch9wavefront6targetE0EEEvT1_.num_named_barrier, 0
	.set _ZN7rocprim17ROCPRIM_400000_NS6detail17trampoline_kernelINS0_14default_configENS1_25partition_config_selectorILNS1_17partition_subalgoE6EdNS0_10empty_typeEbEEZZNS1_14partition_implILS5_6ELb0ES3_mN6thrust23THRUST_200600_302600_NS6detail15normal_iteratorINSA_10device_ptrIdEEEEPS6_SG_NS0_5tupleIJSF_S6_EEENSH_IJSG_SG_EEES6_PlJNSB_9not_fun_tI7is_evenIdEEEEEE10hipError_tPvRmT3_T4_T5_T6_T7_T9_mT8_P12ihipStream_tbDpT10_ENKUlT_T0_E_clISt17integral_constantIbLb0EES17_IbLb1EEEEDaS13_S14_EUlS13_E_NS1_11comp_targetILNS1_3genE8ELNS1_11target_archE1030ELNS1_3gpuE2ELNS1_3repE0EEENS1_30default_config_static_selectorELNS0_4arch9wavefront6targetE0EEEvT1_.private_seg_size, 0
	.set _ZN7rocprim17ROCPRIM_400000_NS6detail17trampoline_kernelINS0_14default_configENS1_25partition_config_selectorILNS1_17partition_subalgoE6EdNS0_10empty_typeEbEEZZNS1_14partition_implILS5_6ELb0ES3_mN6thrust23THRUST_200600_302600_NS6detail15normal_iteratorINSA_10device_ptrIdEEEEPS6_SG_NS0_5tupleIJSF_S6_EEENSH_IJSG_SG_EEES6_PlJNSB_9not_fun_tI7is_evenIdEEEEEE10hipError_tPvRmT3_T4_T5_T6_T7_T9_mT8_P12ihipStream_tbDpT10_ENKUlT_T0_E_clISt17integral_constantIbLb0EES17_IbLb1EEEEDaS13_S14_EUlS13_E_NS1_11comp_targetILNS1_3genE8ELNS1_11target_archE1030ELNS1_3gpuE2ELNS1_3repE0EEENS1_30default_config_static_selectorELNS0_4arch9wavefront6targetE0EEEvT1_.uses_vcc, 0
	.set _ZN7rocprim17ROCPRIM_400000_NS6detail17trampoline_kernelINS0_14default_configENS1_25partition_config_selectorILNS1_17partition_subalgoE6EdNS0_10empty_typeEbEEZZNS1_14partition_implILS5_6ELb0ES3_mN6thrust23THRUST_200600_302600_NS6detail15normal_iteratorINSA_10device_ptrIdEEEEPS6_SG_NS0_5tupleIJSF_S6_EEENSH_IJSG_SG_EEES6_PlJNSB_9not_fun_tI7is_evenIdEEEEEE10hipError_tPvRmT3_T4_T5_T6_T7_T9_mT8_P12ihipStream_tbDpT10_ENKUlT_T0_E_clISt17integral_constantIbLb0EES17_IbLb1EEEEDaS13_S14_EUlS13_E_NS1_11comp_targetILNS1_3genE8ELNS1_11target_archE1030ELNS1_3gpuE2ELNS1_3repE0EEENS1_30default_config_static_selectorELNS0_4arch9wavefront6targetE0EEEvT1_.uses_flat_scratch, 0
	.set _ZN7rocprim17ROCPRIM_400000_NS6detail17trampoline_kernelINS0_14default_configENS1_25partition_config_selectorILNS1_17partition_subalgoE6EdNS0_10empty_typeEbEEZZNS1_14partition_implILS5_6ELb0ES3_mN6thrust23THRUST_200600_302600_NS6detail15normal_iteratorINSA_10device_ptrIdEEEEPS6_SG_NS0_5tupleIJSF_S6_EEENSH_IJSG_SG_EEES6_PlJNSB_9not_fun_tI7is_evenIdEEEEEE10hipError_tPvRmT3_T4_T5_T6_T7_T9_mT8_P12ihipStream_tbDpT10_ENKUlT_T0_E_clISt17integral_constantIbLb0EES17_IbLb1EEEEDaS13_S14_EUlS13_E_NS1_11comp_targetILNS1_3genE8ELNS1_11target_archE1030ELNS1_3gpuE2ELNS1_3repE0EEENS1_30default_config_static_selectorELNS0_4arch9wavefront6targetE0EEEvT1_.has_dyn_sized_stack, 0
	.set _ZN7rocprim17ROCPRIM_400000_NS6detail17trampoline_kernelINS0_14default_configENS1_25partition_config_selectorILNS1_17partition_subalgoE6EdNS0_10empty_typeEbEEZZNS1_14partition_implILS5_6ELb0ES3_mN6thrust23THRUST_200600_302600_NS6detail15normal_iteratorINSA_10device_ptrIdEEEEPS6_SG_NS0_5tupleIJSF_S6_EEENSH_IJSG_SG_EEES6_PlJNSB_9not_fun_tI7is_evenIdEEEEEE10hipError_tPvRmT3_T4_T5_T6_T7_T9_mT8_P12ihipStream_tbDpT10_ENKUlT_T0_E_clISt17integral_constantIbLb0EES17_IbLb1EEEEDaS13_S14_EUlS13_E_NS1_11comp_targetILNS1_3genE8ELNS1_11target_archE1030ELNS1_3gpuE2ELNS1_3repE0EEENS1_30default_config_static_selectorELNS0_4arch9wavefront6targetE0EEEvT1_.has_recursion, 0
	.set _ZN7rocprim17ROCPRIM_400000_NS6detail17trampoline_kernelINS0_14default_configENS1_25partition_config_selectorILNS1_17partition_subalgoE6EdNS0_10empty_typeEbEEZZNS1_14partition_implILS5_6ELb0ES3_mN6thrust23THRUST_200600_302600_NS6detail15normal_iteratorINSA_10device_ptrIdEEEEPS6_SG_NS0_5tupleIJSF_S6_EEENSH_IJSG_SG_EEES6_PlJNSB_9not_fun_tI7is_evenIdEEEEEE10hipError_tPvRmT3_T4_T5_T6_T7_T9_mT8_P12ihipStream_tbDpT10_ENKUlT_T0_E_clISt17integral_constantIbLb0EES17_IbLb1EEEEDaS13_S14_EUlS13_E_NS1_11comp_targetILNS1_3genE8ELNS1_11target_archE1030ELNS1_3gpuE2ELNS1_3repE0EEENS1_30default_config_static_selectorELNS0_4arch9wavefront6targetE0EEEvT1_.has_indirect_call, 0
	.section	.AMDGPU.csdata,"",@progbits
; Kernel info:
; codeLenInByte = 0
; TotalNumSgprs: 0
; NumVgprs: 0
; ScratchSize: 0
; MemoryBound: 0
; FloatMode: 240
; IeeeMode: 1
; LDSByteSize: 0 bytes/workgroup (compile time only)
; SGPRBlocks: 0
; VGPRBlocks: 0
; NumSGPRsForWavesPerEU: 1
; NumVGPRsForWavesPerEU: 1
; Occupancy: 16
; WaveLimiterHint : 0
; COMPUTE_PGM_RSRC2:SCRATCH_EN: 0
; COMPUTE_PGM_RSRC2:USER_SGPR: 2
; COMPUTE_PGM_RSRC2:TRAP_HANDLER: 0
; COMPUTE_PGM_RSRC2:TGID_X_EN: 1
; COMPUTE_PGM_RSRC2:TGID_Y_EN: 0
; COMPUTE_PGM_RSRC2:TGID_Z_EN: 0
; COMPUTE_PGM_RSRC2:TIDIG_COMP_CNT: 0
	.section	.text._ZN7rocprim17ROCPRIM_400000_NS6detail17trampoline_kernelINS0_14default_configENS1_25partition_config_selectorILNS1_17partition_subalgoE6EfNS0_10empty_typeEbEEZZNS1_14partition_implILS5_6ELb0ES3_mN6thrust23THRUST_200600_302600_NS6detail15normal_iteratorINSA_10device_ptrIfEEEEPS6_SG_NS0_5tupleIJSF_S6_EEENSH_IJSG_SG_EEES6_PlJNSB_9not_fun_tI7is_evenIfEEEEEE10hipError_tPvRmT3_T4_T5_T6_T7_T9_mT8_P12ihipStream_tbDpT10_ENKUlT_T0_E_clISt17integral_constantIbLb0EES18_EEDaS13_S14_EUlS13_E_NS1_11comp_targetILNS1_3genE0ELNS1_11target_archE4294967295ELNS1_3gpuE0ELNS1_3repE0EEENS1_30default_config_static_selectorELNS0_4arch9wavefront6targetE0EEEvT1_,"axG",@progbits,_ZN7rocprim17ROCPRIM_400000_NS6detail17trampoline_kernelINS0_14default_configENS1_25partition_config_selectorILNS1_17partition_subalgoE6EfNS0_10empty_typeEbEEZZNS1_14partition_implILS5_6ELb0ES3_mN6thrust23THRUST_200600_302600_NS6detail15normal_iteratorINSA_10device_ptrIfEEEEPS6_SG_NS0_5tupleIJSF_S6_EEENSH_IJSG_SG_EEES6_PlJNSB_9not_fun_tI7is_evenIfEEEEEE10hipError_tPvRmT3_T4_T5_T6_T7_T9_mT8_P12ihipStream_tbDpT10_ENKUlT_T0_E_clISt17integral_constantIbLb0EES18_EEDaS13_S14_EUlS13_E_NS1_11comp_targetILNS1_3genE0ELNS1_11target_archE4294967295ELNS1_3gpuE0ELNS1_3repE0EEENS1_30default_config_static_selectorELNS0_4arch9wavefront6targetE0EEEvT1_,comdat
	.protected	_ZN7rocprim17ROCPRIM_400000_NS6detail17trampoline_kernelINS0_14default_configENS1_25partition_config_selectorILNS1_17partition_subalgoE6EfNS0_10empty_typeEbEEZZNS1_14partition_implILS5_6ELb0ES3_mN6thrust23THRUST_200600_302600_NS6detail15normal_iteratorINSA_10device_ptrIfEEEEPS6_SG_NS0_5tupleIJSF_S6_EEENSH_IJSG_SG_EEES6_PlJNSB_9not_fun_tI7is_evenIfEEEEEE10hipError_tPvRmT3_T4_T5_T6_T7_T9_mT8_P12ihipStream_tbDpT10_ENKUlT_T0_E_clISt17integral_constantIbLb0EES18_EEDaS13_S14_EUlS13_E_NS1_11comp_targetILNS1_3genE0ELNS1_11target_archE4294967295ELNS1_3gpuE0ELNS1_3repE0EEENS1_30default_config_static_selectorELNS0_4arch9wavefront6targetE0EEEvT1_ ; -- Begin function _ZN7rocprim17ROCPRIM_400000_NS6detail17trampoline_kernelINS0_14default_configENS1_25partition_config_selectorILNS1_17partition_subalgoE6EfNS0_10empty_typeEbEEZZNS1_14partition_implILS5_6ELb0ES3_mN6thrust23THRUST_200600_302600_NS6detail15normal_iteratorINSA_10device_ptrIfEEEEPS6_SG_NS0_5tupleIJSF_S6_EEENSH_IJSG_SG_EEES6_PlJNSB_9not_fun_tI7is_evenIfEEEEEE10hipError_tPvRmT3_T4_T5_T6_T7_T9_mT8_P12ihipStream_tbDpT10_ENKUlT_T0_E_clISt17integral_constantIbLb0EES18_EEDaS13_S14_EUlS13_E_NS1_11comp_targetILNS1_3genE0ELNS1_11target_archE4294967295ELNS1_3gpuE0ELNS1_3repE0EEENS1_30default_config_static_selectorELNS0_4arch9wavefront6targetE0EEEvT1_
	.globl	_ZN7rocprim17ROCPRIM_400000_NS6detail17trampoline_kernelINS0_14default_configENS1_25partition_config_selectorILNS1_17partition_subalgoE6EfNS0_10empty_typeEbEEZZNS1_14partition_implILS5_6ELb0ES3_mN6thrust23THRUST_200600_302600_NS6detail15normal_iteratorINSA_10device_ptrIfEEEEPS6_SG_NS0_5tupleIJSF_S6_EEENSH_IJSG_SG_EEES6_PlJNSB_9not_fun_tI7is_evenIfEEEEEE10hipError_tPvRmT3_T4_T5_T6_T7_T9_mT8_P12ihipStream_tbDpT10_ENKUlT_T0_E_clISt17integral_constantIbLb0EES18_EEDaS13_S14_EUlS13_E_NS1_11comp_targetILNS1_3genE0ELNS1_11target_archE4294967295ELNS1_3gpuE0ELNS1_3repE0EEENS1_30default_config_static_selectorELNS0_4arch9wavefront6targetE0EEEvT1_
	.p2align	8
	.type	_ZN7rocprim17ROCPRIM_400000_NS6detail17trampoline_kernelINS0_14default_configENS1_25partition_config_selectorILNS1_17partition_subalgoE6EfNS0_10empty_typeEbEEZZNS1_14partition_implILS5_6ELb0ES3_mN6thrust23THRUST_200600_302600_NS6detail15normal_iteratorINSA_10device_ptrIfEEEEPS6_SG_NS0_5tupleIJSF_S6_EEENSH_IJSG_SG_EEES6_PlJNSB_9not_fun_tI7is_evenIfEEEEEE10hipError_tPvRmT3_T4_T5_T6_T7_T9_mT8_P12ihipStream_tbDpT10_ENKUlT_T0_E_clISt17integral_constantIbLb0EES18_EEDaS13_S14_EUlS13_E_NS1_11comp_targetILNS1_3genE0ELNS1_11target_archE4294967295ELNS1_3gpuE0ELNS1_3repE0EEENS1_30default_config_static_selectorELNS0_4arch9wavefront6targetE0EEEvT1_,@function
_ZN7rocprim17ROCPRIM_400000_NS6detail17trampoline_kernelINS0_14default_configENS1_25partition_config_selectorILNS1_17partition_subalgoE6EfNS0_10empty_typeEbEEZZNS1_14partition_implILS5_6ELb0ES3_mN6thrust23THRUST_200600_302600_NS6detail15normal_iteratorINSA_10device_ptrIfEEEEPS6_SG_NS0_5tupleIJSF_S6_EEENSH_IJSG_SG_EEES6_PlJNSB_9not_fun_tI7is_evenIfEEEEEE10hipError_tPvRmT3_T4_T5_T6_T7_T9_mT8_P12ihipStream_tbDpT10_ENKUlT_T0_E_clISt17integral_constantIbLb0EES18_EEDaS13_S14_EUlS13_E_NS1_11comp_targetILNS1_3genE0ELNS1_11target_archE4294967295ELNS1_3gpuE0ELNS1_3repE0EEENS1_30default_config_static_selectorELNS0_4arch9wavefront6targetE0EEEvT1_: ; @_ZN7rocprim17ROCPRIM_400000_NS6detail17trampoline_kernelINS0_14default_configENS1_25partition_config_selectorILNS1_17partition_subalgoE6EfNS0_10empty_typeEbEEZZNS1_14partition_implILS5_6ELb0ES3_mN6thrust23THRUST_200600_302600_NS6detail15normal_iteratorINSA_10device_ptrIfEEEEPS6_SG_NS0_5tupleIJSF_S6_EEENSH_IJSG_SG_EEES6_PlJNSB_9not_fun_tI7is_evenIfEEEEEE10hipError_tPvRmT3_T4_T5_T6_T7_T9_mT8_P12ihipStream_tbDpT10_ENKUlT_T0_E_clISt17integral_constantIbLb0EES18_EEDaS13_S14_EUlS13_E_NS1_11comp_targetILNS1_3genE0ELNS1_11target_archE4294967295ELNS1_3gpuE0ELNS1_3repE0EEENS1_30default_config_static_selectorELNS0_4arch9wavefront6targetE0EEEvT1_
; %bb.0:
	.section	.rodata,"a",@progbits
	.p2align	6, 0x0
	.amdhsa_kernel _ZN7rocprim17ROCPRIM_400000_NS6detail17trampoline_kernelINS0_14default_configENS1_25partition_config_selectorILNS1_17partition_subalgoE6EfNS0_10empty_typeEbEEZZNS1_14partition_implILS5_6ELb0ES3_mN6thrust23THRUST_200600_302600_NS6detail15normal_iteratorINSA_10device_ptrIfEEEEPS6_SG_NS0_5tupleIJSF_S6_EEENSH_IJSG_SG_EEES6_PlJNSB_9not_fun_tI7is_evenIfEEEEEE10hipError_tPvRmT3_T4_T5_T6_T7_T9_mT8_P12ihipStream_tbDpT10_ENKUlT_T0_E_clISt17integral_constantIbLb0EES18_EEDaS13_S14_EUlS13_E_NS1_11comp_targetILNS1_3genE0ELNS1_11target_archE4294967295ELNS1_3gpuE0ELNS1_3repE0EEENS1_30default_config_static_selectorELNS0_4arch9wavefront6targetE0EEEvT1_
		.amdhsa_group_segment_fixed_size 0
		.amdhsa_private_segment_fixed_size 0
		.amdhsa_kernarg_size 112
		.amdhsa_user_sgpr_count 2
		.amdhsa_user_sgpr_dispatch_ptr 0
		.amdhsa_user_sgpr_queue_ptr 0
		.amdhsa_user_sgpr_kernarg_segment_ptr 1
		.amdhsa_user_sgpr_dispatch_id 0
		.amdhsa_user_sgpr_private_segment_size 0
		.amdhsa_wavefront_size32 1
		.amdhsa_uses_dynamic_stack 0
		.amdhsa_enable_private_segment 0
		.amdhsa_system_sgpr_workgroup_id_x 1
		.amdhsa_system_sgpr_workgroup_id_y 0
		.amdhsa_system_sgpr_workgroup_id_z 0
		.amdhsa_system_sgpr_workgroup_info 0
		.amdhsa_system_vgpr_workitem_id 0
		.amdhsa_next_free_vgpr 1
		.amdhsa_next_free_sgpr 1
		.amdhsa_reserve_vcc 0
		.amdhsa_float_round_mode_32 0
		.amdhsa_float_round_mode_16_64 0
		.amdhsa_float_denorm_mode_32 3
		.amdhsa_float_denorm_mode_16_64 3
		.amdhsa_fp16_overflow 0
		.amdhsa_workgroup_processor_mode 1
		.amdhsa_memory_ordered 1
		.amdhsa_forward_progress 1
		.amdhsa_inst_pref_size 0
		.amdhsa_round_robin_scheduling 0
		.amdhsa_exception_fp_ieee_invalid_op 0
		.amdhsa_exception_fp_denorm_src 0
		.amdhsa_exception_fp_ieee_div_zero 0
		.amdhsa_exception_fp_ieee_overflow 0
		.amdhsa_exception_fp_ieee_underflow 0
		.amdhsa_exception_fp_ieee_inexact 0
		.amdhsa_exception_int_div_zero 0
	.end_amdhsa_kernel
	.section	.text._ZN7rocprim17ROCPRIM_400000_NS6detail17trampoline_kernelINS0_14default_configENS1_25partition_config_selectorILNS1_17partition_subalgoE6EfNS0_10empty_typeEbEEZZNS1_14partition_implILS5_6ELb0ES3_mN6thrust23THRUST_200600_302600_NS6detail15normal_iteratorINSA_10device_ptrIfEEEEPS6_SG_NS0_5tupleIJSF_S6_EEENSH_IJSG_SG_EEES6_PlJNSB_9not_fun_tI7is_evenIfEEEEEE10hipError_tPvRmT3_T4_T5_T6_T7_T9_mT8_P12ihipStream_tbDpT10_ENKUlT_T0_E_clISt17integral_constantIbLb0EES18_EEDaS13_S14_EUlS13_E_NS1_11comp_targetILNS1_3genE0ELNS1_11target_archE4294967295ELNS1_3gpuE0ELNS1_3repE0EEENS1_30default_config_static_selectorELNS0_4arch9wavefront6targetE0EEEvT1_,"axG",@progbits,_ZN7rocprim17ROCPRIM_400000_NS6detail17trampoline_kernelINS0_14default_configENS1_25partition_config_selectorILNS1_17partition_subalgoE6EfNS0_10empty_typeEbEEZZNS1_14partition_implILS5_6ELb0ES3_mN6thrust23THRUST_200600_302600_NS6detail15normal_iteratorINSA_10device_ptrIfEEEEPS6_SG_NS0_5tupleIJSF_S6_EEENSH_IJSG_SG_EEES6_PlJNSB_9not_fun_tI7is_evenIfEEEEEE10hipError_tPvRmT3_T4_T5_T6_T7_T9_mT8_P12ihipStream_tbDpT10_ENKUlT_T0_E_clISt17integral_constantIbLb0EES18_EEDaS13_S14_EUlS13_E_NS1_11comp_targetILNS1_3genE0ELNS1_11target_archE4294967295ELNS1_3gpuE0ELNS1_3repE0EEENS1_30default_config_static_selectorELNS0_4arch9wavefront6targetE0EEEvT1_,comdat
.Lfunc_end565:
	.size	_ZN7rocprim17ROCPRIM_400000_NS6detail17trampoline_kernelINS0_14default_configENS1_25partition_config_selectorILNS1_17partition_subalgoE6EfNS0_10empty_typeEbEEZZNS1_14partition_implILS5_6ELb0ES3_mN6thrust23THRUST_200600_302600_NS6detail15normal_iteratorINSA_10device_ptrIfEEEEPS6_SG_NS0_5tupleIJSF_S6_EEENSH_IJSG_SG_EEES6_PlJNSB_9not_fun_tI7is_evenIfEEEEEE10hipError_tPvRmT3_T4_T5_T6_T7_T9_mT8_P12ihipStream_tbDpT10_ENKUlT_T0_E_clISt17integral_constantIbLb0EES18_EEDaS13_S14_EUlS13_E_NS1_11comp_targetILNS1_3genE0ELNS1_11target_archE4294967295ELNS1_3gpuE0ELNS1_3repE0EEENS1_30default_config_static_selectorELNS0_4arch9wavefront6targetE0EEEvT1_, .Lfunc_end565-_ZN7rocprim17ROCPRIM_400000_NS6detail17trampoline_kernelINS0_14default_configENS1_25partition_config_selectorILNS1_17partition_subalgoE6EfNS0_10empty_typeEbEEZZNS1_14partition_implILS5_6ELb0ES3_mN6thrust23THRUST_200600_302600_NS6detail15normal_iteratorINSA_10device_ptrIfEEEEPS6_SG_NS0_5tupleIJSF_S6_EEENSH_IJSG_SG_EEES6_PlJNSB_9not_fun_tI7is_evenIfEEEEEE10hipError_tPvRmT3_T4_T5_T6_T7_T9_mT8_P12ihipStream_tbDpT10_ENKUlT_T0_E_clISt17integral_constantIbLb0EES18_EEDaS13_S14_EUlS13_E_NS1_11comp_targetILNS1_3genE0ELNS1_11target_archE4294967295ELNS1_3gpuE0ELNS1_3repE0EEENS1_30default_config_static_selectorELNS0_4arch9wavefront6targetE0EEEvT1_
                                        ; -- End function
	.set _ZN7rocprim17ROCPRIM_400000_NS6detail17trampoline_kernelINS0_14default_configENS1_25partition_config_selectorILNS1_17partition_subalgoE6EfNS0_10empty_typeEbEEZZNS1_14partition_implILS5_6ELb0ES3_mN6thrust23THRUST_200600_302600_NS6detail15normal_iteratorINSA_10device_ptrIfEEEEPS6_SG_NS0_5tupleIJSF_S6_EEENSH_IJSG_SG_EEES6_PlJNSB_9not_fun_tI7is_evenIfEEEEEE10hipError_tPvRmT3_T4_T5_T6_T7_T9_mT8_P12ihipStream_tbDpT10_ENKUlT_T0_E_clISt17integral_constantIbLb0EES18_EEDaS13_S14_EUlS13_E_NS1_11comp_targetILNS1_3genE0ELNS1_11target_archE4294967295ELNS1_3gpuE0ELNS1_3repE0EEENS1_30default_config_static_selectorELNS0_4arch9wavefront6targetE0EEEvT1_.num_vgpr, 0
	.set _ZN7rocprim17ROCPRIM_400000_NS6detail17trampoline_kernelINS0_14default_configENS1_25partition_config_selectorILNS1_17partition_subalgoE6EfNS0_10empty_typeEbEEZZNS1_14partition_implILS5_6ELb0ES3_mN6thrust23THRUST_200600_302600_NS6detail15normal_iteratorINSA_10device_ptrIfEEEEPS6_SG_NS0_5tupleIJSF_S6_EEENSH_IJSG_SG_EEES6_PlJNSB_9not_fun_tI7is_evenIfEEEEEE10hipError_tPvRmT3_T4_T5_T6_T7_T9_mT8_P12ihipStream_tbDpT10_ENKUlT_T0_E_clISt17integral_constantIbLb0EES18_EEDaS13_S14_EUlS13_E_NS1_11comp_targetILNS1_3genE0ELNS1_11target_archE4294967295ELNS1_3gpuE0ELNS1_3repE0EEENS1_30default_config_static_selectorELNS0_4arch9wavefront6targetE0EEEvT1_.num_agpr, 0
	.set _ZN7rocprim17ROCPRIM_400000_NS6detail17trampoline_kernelINS0_14default_configENS1_25partition_config_selectorILNS1_17partition_subalgoE6EfNS0_10empty_typeEbEEZZNS1_14partition_implILS5_6ELb0ES3_mN6thrust23THRUST_200600_302600_NS6detail15normal_iteratorINSA_10device_ptrIfEEEEPS6_SG_NS0_5tupleIJSF_S6_EEENSH_IJSG_SG_EEES6_PlJNSB_9not_fun_tI7is_evenIfEEEEEE10hipError_tPvRmT3_T4_T5_T6_T7_T9_mT8_P12ihipStream_tbDpT10_ENKUlT_T0_E_clISt17integral_constantIbLb0EES18_EEDaS13_S14_EUlS13_E_NS1_11comp_targetILNS1_3genE0ELNS1_11target_archE4294967295ELNS1_3gpuE0ELNS1_3repE0EEENS1_30default_config_static_selectorELNS0_4arch9wavefront6targetE0EEEvT1_.numbered_sgpr, 0
	.set _ZN7rocprim17ROCPRIM_400000_NS6detail17trampoline_kernelINS0_14default_configENS1_25partition_config_selectorILNS1_17partition_subalgoE6EfNS0_10empty_typeEbEEZZNS1_14partition_implILS5_6ELb0ES3_mN6thrust23THRUST_200600_302600_NS6detail15normal_iteratorINSA_10device_ptrIfEEEEPS6_SG_NS0_5tupleIJSF_S6_EEENSH_IJSG_SG_EEES6_PlJNSB_9not_fun_tI7is_evenIfEEEEEE10hipError_tPvRmT3_T4_T5_T6_T7_T9_mT8_P12ihipStream_tbDpT10_ENKUlT_T0_E_clISt17integral_constantIbLb0EES18_EEDaS13_S14_EUlS13_E_NS1_11comp_targetILNS1_3genE0ELNS1_11target_archE4294967295ELNS1_3gpuE0ELNS1_3repE0EEENS1_30default_config_static_selectorELNS0_4arch9wavefront6targetE0EEEvT1_.num_named_barrier, 0
	.set _ZN7rocprim17ROCPRIM_400000_NS6detail17trampoline_kernelINS0_14default_configENS1_25partition_config_selectorILNS1_17partition_subalgoE6EfNS0_10empty_typeEbEEZZNS1_14partition_implILS5_6ELb0ES3_mN6thrust23THRUST_200600_302600_NS6detail15normal_iteratorINSA_10device_ptrIfEEEEPS6_SG_NS0_5tupleIJSF_S6_EEENSH_IJSG_SG_EEES6_PlJNSB_9not_fun_tI7is_evenIfEEEEEE10hipError_tPvRmT3_T4_T5_T6_T7_T9_mT8_P12ihipStream_tbDpT10_ENKUlT_T0_E_clISt17integral_constantIbLb0EES18_EEDaS13_S14_EUlS13_E_NS1_11comp_targetILNS1_3genE0ELNS1_11target_archE4294967295ELNS1_3gpuE0ELNS1_3repE0EEENS1_30default_config_static_selectorELNS0_4arch9wavefront6targetE0EEEvT1_.private_seg_size, 0
	.set _ZN7rocprim17ROCPRIM_400000_NS6detail17trampoline_kernelINS0_14default_configENS1_25partition_config_selectorILNS1_17partition_subalgoE6EfNS0_10empty_typeEbEEZZNS1_14partition_implILS5_6ELb0ES3_mN6thrust23THRUST_200600_302600_NS6detail15normal_iteratorINSA_10device_ptrIfEEEEPS6_SG_NS0_5tupleIJSF_S6_EEENSH_IJSG_SG_EEES6_PlJNSB_9not_fun_tI7is_evenIfEEEEEE10hipError_tPvRmT3_T4_T5_T6_T7_T9_mT8_P12ihipStream_tbDpT10_ENKUlT_T0_E_clISt17integral_constantIbLb0EES18_EEDaS13_S14_EUlS13_E_NS1_11comp_targetILNS1_3genE0ELNS1_11target_archE4294967295ELNS1_3gpuE0ELNS1_3repE0EEENS1_30default_config_static_selectorELNS0_4arch9wavefront6targetE0EEEvT1_.uses_vcc, 0
	.set _ZN7rocprim17ROCPRIM_400000_NS6detail17trampoline_kernelINS0_14default_configENS1_25partition_config_selectorILNS1_17partition_subalgoE6EfNS0_10empty_typeEbEEZZNS1_14partition_implILS5_6ELb0ES3_mN6thrust23THRUST_200600_302600_NS6detail15normal_iteratorINSA_10device_ptrIfEEEEPS6_SG_NS0_5tupleIJSF_S6_EEENSH_IJSG_SG_EEES6_PlJNSB_9not_fun_tI7is_evenIfEEEEEE10hipError_tPvRmT3_T4_T5_T6_T7_T9_mT8_P12ihipStream_tbDpT10_ENKUlT_T0_E_clISt17integral_constantIbLb0EES18_EEDaS13_S14_EUlS13_E_NS1_11comp_targetILNS1_3genE0ELNS1_11target_archE4294967295ELNS1_3gpuE0ELNS1_3repE0EEENS1_30default_config_static_selectorELNS0_4arch9wavefront6targetE0EEEvT1_.uses_flat_scratch, 0
	.set _ZN7rocprim17ROCPRIM_400000_NS6detail17trampoline_kernelINS0_14default_configENS1_25partition_config_selectorILNS1_17partition_subalgoE6EfNS0_10empty_typeEbEEZZNS1_14partition_implILS5_6ELb0ES3_mN6thrust23THRUST_200600_302600_NS6detail15normal_iteratorINSA_10device_ptrIfEEEEPS6_SG_NS0_5tupleIJSF_S6_EEENSH_IJSG_SG_EEES6_PlJNSB_9not_fun_tI7is_evenIfEEEEEE10hipError_tPvRmT3_T4_T5_T6_T7_T9_mT8_P12ihipStream_tbDpT10_ENKUlT_T0_E_clISt17integral_constantIbLb0EES18_EEDaS13_S14_EUlS13_E_NS1_11comp_targetILNS1_3genE0ELNS1_11target_archE4294967295ELNS1_3gpuE0ELNS1_3repE0EEENS1_30default_config_static_selectorELNS0_4arch9wavefront6targetE0EEEvT1_.has_dyn_sized_stack, 0
	.set _ZN7rocprim17ROCPRIM_400000_NS6detail17trampoline_kernelINS0_14default_configENS1_25partition_config_selectorILNS1_17partition_subalgoE6EfNS0_10empty_typeEbEEZZNS1_14partition_implILS5_6ELb0ES3_mN6thrust23THRUST_200600_302600_NS6detail15normal_iteratorINSA_10device_ptrIfEEEEPS6_SG_NS0_5tupleIJSF_S6_EEENSH_IJSG_SG_EEES6_PlJNSB_9not_fun_tI7is_evenIfEEEEEE10hipError_tPvRmT3_T4_T5_T6_T7_T9_mT8_P12ihipStream_tbDpT10_ENKUlT_T0_E_clISt17integral_constantIbLb0EES18_EEDaS13_S14_EUlS13_E_NS1_11comp_targetILNS1_3genE0ELNS1_11target_archE4294967295ELNS1_3gpuE0ELNS1_3repE0EEENS1_30default_config_static_selectorELNS0_4arch9wavefront6targetE0EEEvT1_.has_recursion, 0
	.set _ZN7rocprim17ROCPRIM_400000_NS6detail17trampoline_kernelINS0_14default_configENS1_25partition_config_selectorILNS1_17partition_subalgoE6EfNS0_10empty_typeEbEEZZNS1_14partition_implILS5_6ELb0ES3_mN6thrust23THRUST_200600_302600_NS6detail15normal_iteratorINSA_10device_ptrIfEEEEPS6_SG_NS0_5tupleIJSF_S6_EEENSH_IJSG_SG_EEES6_PlJNSB_9not_fun_tI7is_evenIfEEEEEE10hipError_tPvRmT3_T4_T5_T6_T7_T9_mT8_P12ihipStream_tbDpT10_ENKUlT_T0_E_clISt17integral_constantIbLb0EES18_EEDaS13_S14_EUlS13_E_NS1_11comp_targetILNS1_3genE0ELNS1_11target_archE4294967295ELNS1_3gpuE0ELNS1_3repE0EEENS1_30default_config_static_selectorELNS0_4arch9wavefront6targetE0EEEvT1_.has_indirect_call, 0
	.section	.AMDGPU.csdata,"",@progbits
; Kernel info:
; codeLenInByte = 0
; TotalNumSgprs: 0
; NumVgprs: 0
; ScratchSize: 0
; MemoryBound: 0
; FloatMode: 240
; IeeeMode: 1
; LDSByteSize: 0 bytes/workgroup (compile time only)
; SGPRBlocks: 0
; VGPRBlocks: 0
; NumSGPRsForWavesPerEU: 1
; NumVGPRsForWavesPerEU: 1
; Occupancy: 16
; WaveLimiterHint : 0
; COMPUTE_PGM_RSRC2:SCRATCH_EN: 0
; COMPUTE_PGM_RSRC2:USER_SGPR: 2
; COMPUTE_PGM_RSRC2:TRAP_HANDLER: 0
; COMPUTE_PGM_RSRC2:TGID_X_EN: 1
; COMPUTE_PGM_RSRC2:TGID_Y_EN: 0
; COMPUTE_PGM_RSRC2:TGID_Z_EN: 0
; COMPUTE_PGM_RSRC2:TIDIG_COMP_CNT: 0
	.section	.text._ZN7rocprim17ROCPRIM_400000_NS6detail17trampoline_kernelINS0_14default_configENS1_25partition_config_selectorILNS1_17partition_subalgoE6EfNS0_10empty_typeEbEEZZNS1_14partition_implILS5_6ELb0ES3_mN6thrust23THRUST_200600_302600_NS6detail15normal_iteratorINSA_10device_ptrIfEEEEPS6_SG_NS0_5tupleIJSF_S6_EEENSH_IJSG_SG_EEES6_PlJNSB_9not_fun_tI7is_evenIfEEEEEE10hipError_tPvRmT3_T4_T5_T6_T7_T9_mT8_P12ihipStream_tbDpT10_ENKUlT_T0_E_clISt17integral_constantIbLb0EES18_EEDaS13_S14_EUlS13_E_NS1_11comp_targetILNS1_3genE5ELNS1_11target_archE942ELNS1_3gpuE9ELNS1_3repE0EEENS1_30default_config_static_selectorELNS0_4arch9wavefront6targetE0EEEvT1_,"axG",@progbits,_ZN7rocprim17ROCPRIM_400000_NS6detail17trampoline_kernelINS0_14default_configENS1_25partition_config_selectorILNS1_17partition_subalgoE6EfNS0_10empty_typeEbEEZZNS1_14partition_implILS5_6ELb0ES3_mN6thrust23THRUST_200600_302600_NS6detail15normal_iteratorINSA_10device_ptrIfEEEEPS6_SG_NS0_5tupleIJSF_S6_EEENSH_IJSG_SG_EEES6_PlJNSB_9not_fun_tI7is_evenIfEEEEEE10hipError_tPvRmT3_T4_T5_T6_T7_T9_mT8_P12ihipStream_tbDpT10_ENKUlT_T0_E_clISt17integral_constantIbLb0EES18_EEDaS13_S14_EUlS13_E_NS1_11comp_targetILNS1_3genE5ELNS1_11target_archE942ELNS1_3gpuE9ELNS1_3repE0EEENS1_30default_config_static_selectorELNS0_4arch9wavefront6targetE0EEEvT1_,comdat
	.protected	_ZN7rocprim17ROCPRIM_400000_NS6detail17trampoline_kernelINS0_14default_configENS1_25partition_config_selectorILNS1_17partition_subalgoE6EfNS0_10empty_typeEbEEZZNS1_14partition_implILS5_6ELb0ES3_mN6thrust23THRUST_200600_302600_NS6detail15normal_iteratorINSA_10device_ptrIfEEEEPS6_SG_NS0_5tupleIJSF_S6_EEENSH_IJSG_SG_EEES6_PlJNSB_9not_fun_tI7is_evenIfEEEEEE10hipError_tPvRmT3_T4_T5_T6_T7_T9_mT8_P12ihipStream_tbDpT10_ENKUlT_T0_E_clISt17integral_constantIbLb0EES18_EEDaS13_S14_EUlS13_E_NS1_11comp_targetILNS1_3genE5ELNS1_11target_archE942ELNS1_3gpuE9ELNS1_3repE0EEENS1_30default_config_static_selectorELNS0_4arch9wavefront6targetE0EEEvT1_ ; -- Begin function _ZN7rocprim17ROCPRIM_400000_NS6detail17trampoline_kernelINS0_14default_configENS1_25partition_config_selectorILNS1_17partition_subalgoE6EfNS0_10empty_typeEbEEZZNS1_14partition_implILS5_6ELb0ES3_mN6thrust23THRUST_200600_302600_NS6detail15normal_iteratorINSA_10device_ptrIfEEEEPS6_SG_NS0_5tupleIJSF_S6_EEENSH_IJSG_SG_EEES6_PlJNSB_9not_fun_tI7is_evenIfEEEEEE10hipError_tPvRmT3_T4_T5_T6_T7_T9_mT8_P12ihipStream_tbDpT10_ENKUlT_T0_E_clISt17integral_constantIbLb0EES18_EEDaS13_S14_EUlS13_E_NS1_11comp_targetILNS1_3genE5ELNS1_11target_archE942ELNS1_3gpuE9ELNS1_3repE0EEENS1_30default_config_static_selectorELNS0_4arch9wavefront6targetE0EEEvT1_
	.globl	_ZN7rocprim17ROCPRIM_400000_NS6detail17trampoline_kernelINS0_14default_configENS1_25partition_config_selectorILNS1_17partition_subalgoE6EfNS0_10empty_typeEbEEZZNS1_14partition_implILS5_6ELb0ES3_mN6thrust23THRUST_200600_302600_NS6detail15normal_iteratorINSA_10device_ptrIfEEEEPS6_SG_NS0_5tupleIJSF_S6_EEENSH_IJSG_SG_EEES6_PlJNSB_9not_fun_tI7is_evenIfEEEEEE10hipError_tPvRmT3_T4_T5_T6_T7_T9_mT8_P12ihipStream_tbDpT10_ENKUlT_T0_E_clISt17integral_constantIbLb0EES18_EEDaS13_S14_EUlS13_E_NS1_11comp_targetILNS1_3genE5ELNS1_11target_archE942ELNS1_3gpuE9ELNS1_3repE0EEENS1_30default_config_static_selectorELNS0_4arch9wavefront6targetE0EEEvT1_
	.p2align	8
	.type	_ZN7rocprim17ROCPRIM_400000_NS6detail17trampoline_kernelINS0_14default_configENS1_25partition_config_selectorILNS1_17partition_subalgoE6EfNS0_10empty_typeEbEEZZNS1_14partition_implILS5_6ELb0ES3_mN6thrust23THRUST_200600_302600_NS6detail15normal_iteratorINSA_10device_ptrIfEEEEPS6_SG_NS0_5tupleIJSF_S6_EEENSH_IJSG_SG_EEES6_PlJNSB_9not_fun_tI7is_evenIfEEEEEE10hipError_tPvRmT3_T4_T5_T6_T7_T9_mT8_P12ihipStream_tbDpT10_ENKUlT_T0_E_clISt17integral_constantIbLb0EES18_EEDaS13_S14_EUlS13_E_NS1_11comp_targetILNS1_3genE5ELNS1_11target_archE942ELNS1_3gpuE9ELNS1_3repE0EEENS1_30default_config_static_selectorELNS0_4arch9wavefront6targetE0EEEvT1_,@function
_ZN7rocprim17ROCPRIM_400000_NS6detail17trampoline_kernelINS0_14default_configENS1_25partition_config_selectorILNS1_17partition_subalgoE6EfNS0_10empty_typeEbEEZZNS1_14partition_implILS5_6ELb0ES3_mN6thrust23THRUST_200600_302600_NS6detail15normal_iteratorINSA_10device_ptrIfEEEEPS6_SG_NS0_5tupleIJSF_S6_EEENSH_IJSG_SG_EEES6_PlJNSB_9not_fun_tI7is_evenIfEEEEEE10hipError_tPvRmT3_T4_T5_T6_T7_T9_mT8_P12ihipStream_tbDpT10_ENKUlT_T0_E_clISt17integral_constantIbLb0EES18_EEDaS13_S14_EUlS13_E_NS1_11comp_targetILNS1_3genE5ELNS1_11target_archE942ELNS1_3gpuE9ELNS1_3repE0EEENS1_30default_config_static_selectorELNS0_4arch9wavefront6targetE0EEEvT1_: ; @_ZN7rocprim17ROCPRIM_400000_NS6detail17trampoline_kernelINS0_14default_configENS1_25partition_config_selectorILNS1_17partition_subalgoE6EfNS0_10empty_typeEbEEZZNS1_14partition_implILS5_6ELb0ES3_mN6thrust23THRUST_200600_302600_NS6detail15normal_iteratorINSA_10device_ptrIfEEEEPS6_SG_NS0_5tupleIJSF_S6_EEENSH_IJSG_SG_EEES6_PlJNSB_9not_fun_tI7is_evenIfEEEEEE10hipError_tPvRmT3_T4_T5_T6_T7_T9_mT8_P12ihipStream_tbDpT10_ENKUlT_T0_E_clISt17integral_constantIbLb0EES18_EEDaS13_S14_EUlS13_E_NS1_11comp_targetILNS1_3genE5ELNS1_11target_archE942ELNS1_3gpuE9ELNS1_3repE0EEENS1_30default_config_static_selectorELNS0_4arch9wavefront6targetE0EEEvT1_
; %bb.0:
	.section	.rodata,"a",@progbits
	.p2align	6, 0x0
	.amdhsa_kernel _ZN7rocprim17ROCPRIM_400000_NS6detail17trampoline_kernelINS0_14default_configENS1_25partition_config_selectorILNS1_17partition_subalgoE6EfNS0_10empty_typeEbEEZZNS1_14partition_implILS5_6ELb0ES3_mN6thrust23THRUST_200600_302600_NS6detail15normal_iteratorINSA_10device_ptrIfEEEEPS6_SG_NS0_5tupleIJSF_S6_EEENSH_IJSG_SG_EEES6_PlJNSB_9not_fun_tI7is_evenIfEEEEEE10hipError_tPvRmT3_T4_T5_T6_T7_T9_mT8_P12ihipStream_tbDpT10_ENKUlT_T0_E_clISt17integral_constantIbLb0EES18_EEDaS13_S14_EUlS13_E_NS1_11comp_targetILNS1_3genE5ELNS1_11target_archE942ELNS1_3gpuE9ELNS1_3repE0EEENS1_30default_config_static_selectorELNS0_4arch9wavefront6targetE0EEEvT1_
		.amdhsa_group_segment_fixed_size 0
		.amdhsa_private_segment_fixed_size 0
		.amdhsa_kernarg_size 112
		.amdhsa_user_sgpr_count 2
		.amdhsa_user_sgpr_dispatch_ptr 0
		.amdhsa_user_sgpr_queue_ptr 0
		.amdhsa_user_sgpr_kernarg_segment_ptr 1
		.amdhsa_user_sgpr_dispatch_id 0
		.amdhsa_user_sgpr_private_segment_size 0
		.amdhsa_wavefront_size32 1
		.amdhsa_uses_dynamic_stack 0
		.amdhsa_enable_private_segment 0
		.amdhsa_system_sgpr_workgroup_id_x 1
		.amdhsa_system_sgpr_workgroup_id_y 0
		.amdhsa_system_sgpr_workgroup_id_z 0
		.amdhsa_system_sgpr_workgroup_info 0
		.amdhsa_system_vgpr_workitem_id 0
		.amdhsa_next_free_vgpr 1
		.amdhsa_next_free_sgpr 1
		.amdhsa_reserve_vcc 0
		.amdhsa_float_round_mode_32 0
		.amdhsa_float_round_mode_16_64 0
		.amdhsa_float_denorm_mode_32 3
		.amdhsa_float_denorm_mode_16_64 3
		.amdhsa_fp16_overflow 0
		.amdhsa_workgroup_processor_mode 1
		.amdhsa_memory_ordered 1
		.amdhsa_forward_progress 1
		.amdhsa_inst_pref_size 0
		.amdhsa_round_robin_scheduling 0
		.amdhsa_exception_fp_ieee_invalid_op 0
		.amdhsa_exception_fp_denorm_src 0
		.amdhsa_exception_fp_ieee_div_zero 0
		.amdhsa_exception_fp_ieee_overflow 0
		.amdhsa_exception_fp_ieee_underflow 0
		.amdhsa_exception_fp_ieee_inexact 0
		.amdhsa_exception_int_div_zero 0
	.end_amdhsa_kernel
	.section	.text._ZN7rocprim17ROCPRIM_400000_NS6detail17trampoline_kernelINS0_14default_configENS1_25partition_config_selectorILNS1_17partition_subalgoE6EfNS0_10empty_typeEbEEZZNS1_14partition_implILS5_6ELb0ES3_mN6thrust23THRUST_200600_302600_NS6detail15normal_iteratorINSA_10device_ptrIfEEEEPS6_SG_NS0_5tupleIJSF_S6_EEENSH_IJSG_SG_EEES6_PlJNSB_9not_fun_tI7is_evenIfEEEEEE10hipError_tPvRmT3_T4_T5_T6_T7_T9_mT8_P12ihipStream_tbDpT10_ENKUlT_T0_E_clISt17integral_constantIbLb0EES18_EEDaS13_S14_EUlS13_E_NS1_11comp_targetILNS1_3genE5ELNS1_11target_archE942ELNS1_3gpuE9ELNS1_3repE0EEENS1_30default_config_static_selectorELNS0_4arch9wavefront6targetE0EEEvT1_,"axG",@progbits,_ZN7rocprim17ROCPRIM_400000_NS6detail17trampoline_kernelINS0_14default_configENS1_25partition_config_selectorILNS1_17partition_subalgoE6EfNS0_10empty_typeEbEEZZNS1_14partition_implILS5_6ELb0ES3_mN6thrust23THRUST_200600_302600_NS6detail15normal_iteratorINSA_10device_ptrIfEEEEPS6_SG_NS0_5tupleIJSF_S6_EEENSH_IJSG_SG_EEES6_PlJNSB_9not_fun_tI7is_evenIfEEEEEE10hipError_tPvRmT3_T4_T5_T6_T7_T9_mT8_P12ihipStream_tbDpT10_ENKUlT_T0_E_clISt17integral_constantIbLb0EES18_EEDaS13_S14_EUlS13_E_NS1_11comp_targetILNS1_3genE5ELNS1_11target_archE942ELNS1_3gpuE9ELNS1_3repE0EEENS1_30default_config_static_selectorELNS0_4arch9wavefront6targetE0EEEvT1_,comdat
.Lfunc_end566:
	.size	_ZN7rocprim17ROCPRIM_400000_NS6detail17trampoline_kernelINS0_14default_configENS1_25partition_config_selectorILNS1_17partition_subalgoE6EfNS0_10empty_typeEbEEZZNS1_14partition_implILS5_6ELb0ES3_mN6thrust23THRUST_200600_302600_NS6detail15normal_iteratorINSA_10device_ptrIfEEEEPS6_SG_NS0_5tupleIJSF_S6_EEENSH_IJSG_SG_EEES6_PlJNSB_9not_fun_tI7is_evenIfEEEEEE10hipError_tPvRmT3_T4_T5_T6_T7_T9_mT8_P12ihipStream_tbDpT10_ENKUlT_T0_E_clISt17integral_constantIbLb0EES18_EEDaS13_S14_EUlS13_E_NS1_11comp_targetILNS1_3genE5ELNS1_11target_archE942ELNS1_3gpuE9ELNS1_3repE0EEENS1_30default_config_static_selectorELNS0_4arch9wavefront6targetE0EEEvT1_, .Lfunc_end566-_ZN7rocprim17ROCPRIM_400000_NS6detail17trampoline_kernelINS0_14default_configENS1_25partition_config_selectorILNS1_17partition_subalgoE6EfNS0_10empty_typeEbEEZZNS1_14partition_implILS5_6ELb0ES3_mN6thrust23THRUST_200600_302600_NS6detail15normal_iteratorINSA_10device_ptrIfEEEEPS6_SG_NS0_5tupleIJSF_S6_EEENSH_IJSG_SG_EEES6_PlJNSB_9not_fun_tI7is_evenIfEEEEEE10hipError_tPvRmT3_T4_T5_T6_T7_T9_mT8_P12ihipStream_tbDpT10_ENKUlT_T0_E_clISt17integral_constantIbLb0EES18_EEDaS13_S14_EUlS13_E_NS1_11comp_targetILNS1_3genE5ELNS1_11target_archE942ELNS1_3gpuE9ELNS1_3repE0EEENS1_30default_config_static_selectorELNS0_4arch9wavefront6targetE0EEEvT1_
                                        ; -- End function
	.set _ZN7rocprim17ROCPRIM_400000_NS6detail17trampoline_kernelINS0_14default_configENS1_25partition_config_selectorILNS1_17partition_subalgoE6EfNS0_10empty_typeEbEEZZNS1_14partition_implILS5_6ELb0ES3_mN6thrust23THRUST_200600_302600_NS6detail15normal_iteratorINSA_10device_ptrIfEEEEPS6_SG_NS0_5tupleIJSF_S6_EEENSH_IJSG_SG_EEES6_PlJNSB_9not_fun_tI7is_evenIfEEEEEE10hipError_tPvRmT3_T4_T5_T6_T7_T9_mT8_P12ihipStream_tbDpT10_ENKUlT_T0_E_clISt17integral_constantIbLb0EES18_EEDaS13_S14_EUlS13_E_NS1_11comp_targetILNS1_3genE5ELNS1_11target_archE942ELNS1_3gpuE9ELNS1_3repE0EEENS1_30default_config_static_selectorELNS0_4arch9wavefront6targetE0EEEvT1_.num_vgpr, 0
	.set _ZN7rocprim17ROCPRIM_400000_NS6detail17trampoline_kernelINS0_14default_configENS1_25partition_config_selectorILNS1_17partition_subalgoE6EfNS0_10empty_typeEbEEZZNS1_14partition_implILS5_6ELb0ES3_mN6thrust23THRUST_200600_302600_NS6detail15normal_iteratorINSA_10device_ptrIfEEEEPS6_SG_NS0_5tupleIJSF_S6_EEENSH_IJSG_SG_EEES6_PlJNSB_9not_fun_tI7is_evenIfEEEEEE10hipError_tPvRmT3_T4_T5_T6_T7_T9_mT8_P12ihipStream_tbDpT10_ENKUlT_T0_E_clISt17integral_constantIbLb0EES18_EEDaS13_S14_EUlS13_E_NS1_11comp_targetILNS1_3genE5ELNS1_11target_archE942ELNS1_3gpuE9ELNS1_3repE0EEENS1_30default_config_static_selectorELNS0_4arch9wavefront6targetE0EEEvT1_.num_agpr, 0
	.set _ZN7rocprim17ROCPRIM_400000_NS6detail17trampoline_kernelINS0_14default_configENS1_25partition_config_selectorILNS1_17partition_subalgoE6EfNS0_10empty_typeEbEEZZNS1_14partition_implILS5_6ELb0ES3_mN6thrust23THRUST_200600_302600_NS6detail15normal_iteratorINSA_10device_ptrIfEEEEPS6_SG_NS0_5tupleIJSF_S6_EEENSH_IJSG_SG_EEES6_PlJNSB_9not_fun_tI7is_evenIfEEEEEE10hipError_tPvRmT3_T4_T5_T6_T7_T9_mT8_P12ihipStream_tbDpT10_ENKUlT_T0_E_clISt17integral_constantIbLb0EES18_EEDaS13_S14_EUlS13_E_NS1_11comp_targetILNS1_3genE5ELNS1_11target_archE942ELNS1_3gpuE9ELNS1_3repE0EEENS1_30default_config_static_selectorELNS0_4arch9wavefront6targetE0EEEvT1_.numbered_sgpr, 0
	.set _ZN7rocprim17ROCPRIM_400000_NS6detail17trampoline_kernelINS0_14default_configENS1_25partition_config_selectorILNS1_17partition_subalgoE6EfNS0_10empty_typeEbEEZZNS1_14partition_implILS5_6ELb0ES3_mN6thrust23THRUST_200600_302600_NS6detail15normal_iteratorINSA_10device_ptrIfEEEEPS6_SG_NS0_5tupleIJSF_S6_EEENSH_IJSG_SG_EEES6_PlJNSB_9not_fun_tI7is_evenIfEEEEEE10hipError_tPvRmT3_T4_T5_T6_T7_T9_mT8_P12ihipStream_tbDpT10_ENKUlT_T0_E_clISt17integral_constantIbLb0EES18_EEDaS13_S14_EUlS13_E_NS1_11comp_targetILNS1_3genE5ELNS1_11target_archE942ELNS1_3gpuE9ELNS1_3repE0EEENS1_30default_config_static_selectorELNS0_4arch9wavefront6targetE0EEEvT1_.num_named_barrier, 0
	.set _ZN7rocprim17ROCPRIM_400000_NS6detail17trampoline_kernelINS0_14default_configENS1_25partition_config_selectorILNS1_17partition_subalgoE6EfNS0_10empty_typeEbEEZZNS1_14partition_implILS5_6ELb0ES3_mN6thrust23THRUST_200600_302600_NS6detail15normal_iteratorINSA_10device_ptrIfEEEEPS6_SG_NS0_5tupleIJSF_S6_EEENSH_IJSG_SG_EEES6_PlJNSB_9not_fun_tI7is_evenIfEEEEEE10hipError_tPvRmT3_T4_T5_T6_T7_T9_mT8_P12ihipStream_tbDpT10_ENKUlT_T0_E_clISt17integral_constantIbLb0EES18_EEDaS13_S14_EUlS13_E_NS1_11comp_targetILNS1_3genE5ELNS1_11target_archE942ELNS1_3gpuE9ELNS1_3repE0EEENS1_30default_config_static_selectorELNS0_4arch9wavefront6targetE0EEEvT1_.private_seg_size, 0
	.set _ZN7rocprim17ROCPRIM_400000_NS6detail17trampoline_kernelINS0_14default_configENS1_25partition_config_selectorILNS1_17partition_subalgoE6EfNS0_10empty_typeEbEEZZNS1_14partition_implILS5_6ELb0ES3_mN6thrust23THRUST_200600_302600_NS6detail15normal_iteratorINSA_10device_ptrIfEEEEPS6_SG_NS0_5tupleIJSF_S6_EEENSH_IJSG_SG_EEES6_PlJNSB_9not_fun_tI7is_evenIfEEEEEE10hipError_tPvRmT3_T4_T5_T6_T7_T9_mT8_P12ihipStream_tbDpT10_ENKUlT_T0_E_clISt17integral_constantIbLb0EES18_EEDaS13_S14_EUlS13_E_NS1_11comp_targetILNS1_3genE5ELNS1_11target_archE942ELNS1_3gpuE9ELNS1_3repE0EEENS1_30default_config_static_selectorELNS0_4arch9wavefront6targetE0EEEvT1_.uses_vcc, 0
	.set _ZN7rocprim17ROCPRIM_400000_NS6detail17trampoline_kernelINS0_14default_configENS1_25partition_config_selectorILNS1_17partition_subalgoE6EfNS0_10empty_typeEbEEZZNS1_14partition_implILS5_6ELb0ES3_mN6thrust23THRUST_200600_302600_NS6detail15normal_iteratorINSA_10device_ptrIfEEEEPS6_SG_NS0_5tupleIJSF_S6_EEENSH_IJSG_SG_EEES6_PlJNSB_9not_fun_tI7is_evenIfEEEEEE10hipError_tPvRmT3_T4_T5_T6_T7_T9_mT8_P12ihipStream_tbDpT10_ENKUlT_T0_E_clISt17integral_constantIbLb0EES18_EEDaS13_S14_EUlS13_E_NS1_11comp_targetILNS1_3genE5ELNS1_11target_archE942ELNS1_3gpuE9ELNS1_3repE0EEENS1_30default_config_static_selectorELNS0_4arch9wavefront6targetE0EEEvT1_.uses_flat_scratch, 0
	.set _ZN7rocprim17ROCPRIM_400000_NS6detail17trampoline_kernelINS0_14default_configENS1_25partition_config_selectorILNS1_17partition_subalgoE6EfNS0_10empty_typeEbEEZZNS1_14partition_implILS5_6ELb0ES3_mN6thrust23THRUST_200600_302600_NS6detail15normal_iteratorINSA_10device_ptrIfEEEEPS6_SG_NS0_5tupleIJSF_S6_EEENSH_IJSG_SG_EEES6_PlJNSB_9not_fun_tI7is_evenIfEEEEEE10hipError_tPvRmT3_T4_T5_T6_T7_T9_mT8_P12ihipStream_tbDpT10_ENKUlT_T0_E_clISt17integral_constantIbLb0EES18_EEDaS13_S14_EUlS13_E_NS1_11comp_targetILNS1_3genE5ELNS1_11target_archE942ELNS1_3gpuE9ELNS1_3repE0EEENS1_30default_config_static_selectorELNS0_4arch9wavefront6targetE0EEEvT1_.has_dyn_sized_stack, 0
	.set _ZN7rocprim17ROCPRIM_400000_NS6detail17trampoline_kernelINS0_14default_configENS1_25partition_config_selectorILNS1_17partition_subalgoE6EfNS0_10empty_typeEbEEZZNS1_14partition_implILS5_6ELb0ES3_mN6thrust23THRUST_200600_302600_NS6detail15normal_iteratorINSA_10device_ptrIfEEEEPS6_SG_NS0_5tupleIJSF_S6_EEENSH_IJSG_SG_EEES6_PlJNSB_9not_fun_tI7is_evenIfEEEEEE10hipError_tPvRmT3_T4_T5_T6_T7_T9_mT8_P12ihipStream_tbDpT10_ENKUlT_T0_E_clISt17integral_constantIbLb0EES18_EEDaS13_S14_EUlS13_E_NS1_11comp_targetILNS1_3genE5ELNS1_11target_archE942ELNS1_3gpuE9ELNS1_3repE0EEENS1_30default_config_static_selectorELNS0_4arch9wavefront6targetE0EEEvT1_.has_recursion, 0
	.set _ZN7rocprim17ROCPRIM_400000_NS6detail17trampoline_kernelINS0_14default_configENS1_25partition_config_selectorILNS1_17partition_subalgoE6EfNS0_10empty_typeEbEEZZNS1_14partition_implILS5_6ELb0ES3_mN6thrust23THRUST_200600_302600_NS6detail15normal_iteratorINSA_10device_ptrIfEEEEPS6_SG_NS0_5tupleIJSF_S6_EEENSH_IJSG_SG_EEES6_PlJNSB_9not_fun_tI7is_evenIfEEEEEE10hipError_tPvRmT3_T4_T5_T6_T7_T9_mT8_P12ihipStream_tbDpT10_ENKUlT_T0_E_clISt17integral_constantIbLb0EES18_EEDaS13_S14_EUlS13_E_NS1_11comp_targetILNS1_3genE5ELNS1_11target_archE942ELNS1_3gpuE9ELNS1_3repE0EEENS1_30default_config_static_selectorELNS0_4arch9wavefront6targetE0EEEvT1_.has_indirect_call, 0
	.section	.AMDGPU.csdata,"",@progbits
; Kernel info:
; codeLenInByte = 0
; TotalNumSgprs: 0
; NumVgprs: 0
; ScratchSize: 0
; MemoryBound: 0
; FloatMode: 240
; IeeeMode: 1
; LDSByteSize: 0 bytes/workgroup (compile time only)
; SGPRBlocks: 0
; VGPRBlocks: 0
; NumSGPRsForWavesPerEU: 1
; NumVGPRsForWavesPerEU: 1
; Occupancy: 16
; WaveLimiterHint : 0
; COMPUTE_PGM_RSRC2:SCRATCH_EN: 0
; COMPUTE_PGM_RSRC2:USER_SGPR: 2
; COMPUTE_PGM_RSRC2:TRAP_HANDLER: 0
; COMPUTE_PGM_RSRC2:TGID_X_EN: 1
; COMPUTE_PGM_RSRC2:TGID_Y_EN: 0
; COMPUTE_PGM_RSRC2:TGID_Z_EN: 0
; COMPUTE_PGM_RSRC2:TIDIG_COMP_CNT: 0
	.section	.text._ZN7rocprim17ROCPRIM_400000_NS6detail17trampoline_kernelINS0_14default_configENS1_25partition_config_selectorILNS1_17partition_subalgoE6EfNS0_10empty_typeEbEEZZNS1_14partition_implILS5_6ELb0ES3_mN6thrust23THRUST_200600_302600_NS6detail15normal_iteratorINSA_10device_ptrIfEEEEPS6_SG_NS0_5tupleIJSF_S6_EEENSH_IJSG_SG_EEES6_PlJNSB_9not_fun_tI7is_evenIfEEEEEE10hipError_tPvRmT3_T4_T5_T6_T7_T9_mT8_P12ihipStream_tbDpT10_ENKUlT_T0_E_clISt17integral_constantIbLb0EES18_EEDaS13_S14_EUlS13_E_NS1_11comp_targetILNS1_3genE4ELNS1_11target_archE910ELNS1_3gpuE8ELNS1_3repE0EEENS1_30default_config_static_selectorELNS0_4arch9wavefront6targetE0EEEvT1_,"axG",@progbits,_ZN7rocprim17ROCPRIM_400000_NS6detail17trampoline_kernelINS0_14default_configENS1_25partition_config_selectorILNS1_17partition_subalgoE6EfNS0_10empty_typeEbEEZZNS1_14partition_implILS5_6ELb0ES3_mN6thrust23THRUST_200600_302600_NS6detail15normal_iteratorINSA_10device_ptrIfEEEEPS6_SG_NS0_5tupleIJSF_S6_EEENSH_IJSG_SG_EEES6_PlJNSB_9not_fun_tI7is_evenIfEEEEEE10hipError_tPvRmT3_T4_T5_T6_T7_T9_mT8_P12ihipStream_tbDpT10_ENKUlT_T0_E_clISt17integral_constantIbLb0EES18_EEDaS13_S14_EUlS13_E_NS1_11comp_targetILNS1_3genE4ELNS1_11target_archE910ELNS1_3gpuE8ELNS1_3repE0EEENS1_30default_config_static_selectorELNS0_4arch9wavefront6targetE0EEEvT1_,comdat
	.protected	_ZN7rocprim17ROCPRIM_400000_NS6detail17trampoline_kernelINS0_14default_configENS1_25partition_config_selectorILNS1_17partition_subalgoE6EfNS0_10empty_typeEbEEZZNS1_14partition_implILS5_6ELb0ES3_mN6thrust23THRUST_200600_302600_NS6detail15normal_iteratorINSA_10device_ptrIfEEEEPS6_SG_NS0_5tupleIJSF_S6_EEENSH_IJSG_SG_EEES6_PlJNSB_9not_fun_tI7is_evenIfEEEEEE10hipError_tPvRmT3_T4_T5_T6_T7_T9_mT8_P12ihipStream_tbDpT10_ENKUlT_T0_E_clISt17integral_constantIbLb0EES18_EEDaS13_S14_EUlS13_E_NS1_11comp_targetILNS1_3genE4ELNS1_11target_archE910ELNS1_3gpuE8ELNS1_3repE0EEENS1_30default_config_static_selectorELNS0_4arch9wavefront6targetE0EEEvT1_ ; -- Begin function _ZN7rocprim17ROCPRIM_400000_NS6detail17trampoline_kernelINS0_14default_configENS1_25partition_config_selectorILNS1_17partition_subalgoE6EfNS0_10empty_typeEbEEZZNS1_14partition_implILS5_6ELb0ES3_mN6thrust23THRUST_200600_302600_NS6detail15normal_iteratorINSA_10device_ptrIfEEEEPS6_SG_NS0_5tupleIJSF_S6_EEENSH_IJSG_SG_EEES6_PlJNSB_9not_fun_tI7is_evenIfEEEEEE10hipError_tPvRmT3_T4_T5_T6_T7_T9_mT8_P12ihipStream_tbDpT10_ENKUlT_T0_E_clISt17integral_constantIbLb0EES18_EEDaS13_S14_EUlS13_E_NS1_11comp_targetILNS1_3genE4ELNS1_11target_archE910ELNS1_3gpuE8ELNS1_3repE0EEENS1_30default_config_static_selectorELNS0_4arch9wavefront6targetE0EEEvT1_
	.globl	_ZN7rocprim17ROCPRIM_400000_NS6detail17trampoline_kernelINS0_14default_configENS1_25partition_config_selectorILNS1_17partition_subalgoE6EfNS0_10empty_typeEbEEZZNS1_14partition_implILS5_6ELb0ES3_mN6thrust23THRUST_200600_302600_NS6detail15normal_iteratorINSA_10device_ptrIfEEEEPS6_SG_NS0_5tupleIJSF_S6_EEENSH_IJSG_SG_EEES6_PlJNSB_9not_fun_tI7is_evenIfEEEEEE10hipError_tPvRmT3_T4_T5_T6_T7_T9_mT8_P12ihipStream_tbDpT10_ENKUlT_T0_E_clISt17integral_constantIbLb0EES18_EEDaS13_S14_EUlS13_E_NS1_11comp_targetILNS1_3genE4ELNS1_11target_archE910ELNS1_3gpuE8ELNS1_3repE0EEENS1_30default_config_static_selectorELNS0_4arch9wavefront6targetE0EEEvT1_
	.p2align	8
	.type	_ZN7rocprim17ROCPRIM_400000_NS6detail17trampoline_kernelINS0_14default_configENS1_25partition_config_selectorILNS1_17partition_subalgoE6EfNS0_10empty_typeEbEEZZNS1_14partition_implILS5_6ELb0ES3_mN6thrust23THRUST_200600_302600_NS6detail15normal_iteratorINSA_10device_ptrIfEEEEPS6_SG_NS0_5tupleIJSF_S6_EEENSH_IJSG_SG_EEES6_PlJNSB_9not_fun_tI7is_evenIfEEEEEE10hipError_tPvRmT3_T4_T5_T6_T7_T9_mT8_P12ihipStream_tbDpT10_ENKUlT_T0_E_clISt17integral_constantIbLb0EES18_EEDaS13_S14_EUlS13_E_NS1_11comp_targetILNS1_3genE4ELNS1_11target_archE910ELNS1_3gpuE8ELNS1_3repE0EEENS1_30default_config_static_selectorELNS0_4arch9wavefront6targetE0EEEvT1_,@function
_ZN7rocprim17ROCPRIM_400000_NS6detail17trampoline_kernelINS0_14default_configENS1_25partition_config_selectorILNS1_17partition_subalgoE6EfNS0_10empty_typeEbEEZZNS1_14partition_implILS5_6ELb0ES3_mN6thrust23THRUST_200600_302600_NS6detail15normal_iteratorINSA_10device_ptrIfEEEEPS6_SG_NS0_5tupleIJSF_S6_EEENSH_IJSG_SG_EEES6_PlJNSB_9not_fun_tI7is_evenIfEEEEEE10hipError_tPvRmT3_T4_T5_T6_T7_T9_mT8_P12ihipStream_tbDpT10_ENKUlT_T0_E_clISt17integral_constantIbLb0EES18_EEDaS13_S14_EUlS13_E_NS1_11comp_targetILNS1_3genE4ELNS1_11target_archE910ELNS1_3gpuE8ELNS1_3repE0EEENS1_30default_config_static_selectorELNS0_4arch9wavefront6targetE0EEEvT1_: ; @_ZN7rocprim17ROCPRIM_400000_NS6detail17trampoline_kernelINS0_14default_configENS1_25partition_config_selectorILNS1_17partition_subalgoE6EfNS0_10empty_typeEbEEZZNS1_14partition_implILS5_6ELb0ES3_mN6thrust23THRUST_200600_302600_NS6detail15normal_iteratorINSA_10device_ptrIfEEEEPS6_SG_NS0_5tupleIJSF_S6_EEENSH_IJSG_SG_EEES6_PlJNSB_9not_fun_tI7is_evenIfEEEEEE10hipError_tPvRmT3_T4_T5_T6_T7_T9_mT8_P12ihipStream_tbDpT10_ENKUlT_T0_E_clISt17integral_constantIbLb0EES18_EEDaS13_S14_EUlS13_E_NS1_11comp_targetILNS1_3genE4ELNS1_11target_archE910ELNS1_3gpuE8ELNS1_3repE0EEENS1_30default_config_static_selectorELNS0_4arch9wavefront6targetE0EEEvT1_
; %bb.0:
	.section	.rodata,"a",@progbits
	.p2align	6, 0x0
	.amdhsa_kernel _ZN7rocprim17ROCPRIM_400000_NS6detail17trampoline_kernelINS0_14default_configENS1_25partition_config_selectorILNS1_17partition_subalgoE6EfNS0_10empty_typeEbEEZZNS1_14partition_implILS5_6ELb0ES3_mN6thrust23THRUST_200600_302600_NS6detail15normal_iteratorINSA_10device_ptrIfEEEEPS6_SG_NS0_5tupleIJSF_S6_EEENSH_IJSG_SG_EEES6_PlJNSB_9not_fun_tI7is_evenIfEEEEEE10hipError_tPvRmT3_T4_T5_T6_T7_T9_mT8_P12ihipStream_tbDpT10_ENKUlT_T0_E_clISt17integral_constantIbLb0EES18_EEDaS13_S14_EUlS13_E_NS1_11comp_targetILNS1_3genE4ELNS1_11target_archE910ELNS1_3gpuE8ELNS1_3repE0EEENS1_30default_config_static_selectorELNS0_4arch9wavefront6targetE0EEEvT1_
		.amdhsa_group_segment_fixed_size 0
		.amdhsa_private_segment_fixed_size 0
		.amdhsa_kernarg_size 112
		.amdhsa_user_sgpr_count 2
		.amdhsa_user_sgpr_dispatch_ptr 0
		.amdhsa_user_sgpr_queue_ptr 0
		.amdhsa_user_sgpr_kernarg_segment_ptr 1
		.amdhsa_user_sgpr_dispatch_id 0
		.amdhsa_user_sgpr_private_segment_size 0
		.amdhsa_wavefront_size32 1
		.amdhsa_uses_dynamic_stack 0
		.amdhsa_enable_private_segment 0
		.amdhsa_system_sgpr_workgroup_id_x 1
		.amdhsa_system_sgpr_workgroup_id_y 0
		.amdhsa_system_sgpr_workgroup_id_z 0
		.amdhsa_system_sgpr_workgroup_info 0
		.amdhsa_system_vgpr_workitem_id 0
		.amdhsa_next_free_vgpr 1
		.amdhsa_next_free_sgpr 1
		.amdhsa_reserve_vcc 0
		.amdhsa_float_round_mode_32 0
		.amdhsa_float_round_mode_16_64 0
		.amdhsa_float_denorm_mode_32 3
		.amdhsa_float_denorm_mode_16_64 3
		.amdhsa_fp16_overflow 0
		.amdhsa_workgroup_processor_mode 1
		.amdhsa_memory_ordered 1
		.amdhsa_forward_progress 1
		.amdhsa_inst_pref_size 0
		.amdhsa_round_robin_scheduling 0
		.amdhsa_exception_fp_ieee_invalid_op 0
		.amdhsa_exception_fp_denorm_src 0
		.amdhsa_exception_fp_ieee_div_zero 0
		.amdhsa_exception_fp_ieee_overflow 0
		.amdhsa_exception_fp_ieee_underflow 0
		.amdhsa_exception_fp_ieee_inexact 0
		.amdhsa_exception_int_div_zero 0
	.end_amdhsa_kernel
	.section	.text._ZN7rocprim17ROCPRIM_400000_NS6detail17trampoline_kernelINS0_14default_configENS1_25partition_config_selectorILNS1_17partition_subalgoE6EfNS0_10empty_typeEbEEZZNS1_14partition_implILS5_6ELb0ES3_mN6thrust23THRUST_200600_302600_NS6detail15normal_iteratorINSA_10device_ptrIfEEEEPS6_SG_NS0_5tupleIJSF_S6_EEENSH_IJSG_SG_EEES6_PlJNSB_9not_fun_tI7is_evenIfEEEEEE10hipError_tPvRmT3_T4_T5_T6_T7_T9_mT8_P12ihipStream_tbDpT10_ENKUlT_T0_E_clISt17integral_constantIbLb0EES18_EEDaS13_S14_EUlS13_E_NS1_11comp_targetILNS1_3genE4ELNS1_11target_archE910ELNS1_3gpuE8ELNS1_3repE0EEENS1_30default_config_static_selectorELNS0_4arch9wavefront6targetE0EEEvT1_,"axG",@progbits,_ZN7rocprim17ROCPRIM_400000_NS6detail17trampoline_kernelINS0_14default_configENS1_25partition_config_selectorILNS1_17partition_subalgoE6EfNS0_10empty_typeEbEEZZNS1_14partition_implILS5_6ELb0ES3_mN6thrust23THRUST_200600_302600_NS6detail15normal_iteratorINSA_10device_ptrIfEEEEPS6_SG_NS0_5tupleIJSF_S6_EEENSH_IJSG_SG_EEES6_PlJNSB_9not_fun_tI7is_evenIfEEEEEE10hipError_tPvRmT3_T4_T5_T6_T7_T9_mT8_P12ihipStream_tbDpT10_ENKUlT_T0_E_clISt17integral_constantIbLb0EES18_EEDaS13_S14_EUlS13_E_NS1_11comp_targetILNS1_3genE4ELNS1_11target_archE910ELNS1_3gpuE8ELNS1_3repE0EEENS1_30default_config_static_selectorELNS0_4arch9wavefront6targetE0EEEvT1_,comdat
.Lfunc_end567:
	.size	_ZN7rocprim17ROCPRIM_400000_NS6detail17trampoline_kernelINS0_14default_configENS1_25partition_config_selectorILNS1_17partition_subalgoE6EfNS0_10empty_typeEbEEZZNS1_14partition_implILS5_6ELb0ES3_mN6thrust23THRUST_200600_302600_NS6detail15normal_iteratorINSA_10device_ptrIfEEEEPS6_SG_NS0_5tupleIJSF_S6_EEENSH_IJSG_SG_EEES6_PlJNSB_9not_fun_tI7is_evenIfEEEEEE10hipError_tPvRmT3_T4_T5_T6_T7_T9_mT8_P12ihipStream_tbDpT10_ENKUlT_T0_E_clISt17integral_constantIbLb0EES18_EEDaS13_S14_EUlS13_E_NS1_11comp_targetILNS1_3genE4ELNS1_11target_archE910ELNS1_3gpuE8ELNS1_3repE0EEENS1_30default_config_static_selectorELNS0_4arch9wavefront6targetE0EEEvT1_, .Lfunc_end567-_ZN7rocprim17ROCPRIM_400000_NS6detail17trampoline_kernelINS0_14default_configENS1_25partition_config_selectorILNS1_17partition_subalgoE6EfNS0_10empty_typeEbEEZZNS1_14partition_implILS5_6ELb0ES3_mN6thrust23THRUST_200600_302600_NS6detail15normal_iteratorINSA_10device_ptrIfEEEEPS6_SG_NS0_5tupleIJSF_S6_EEENSH_IJSG_SG_EEES6_PlJNSB_9not_fun_tI7is_evenIfEEEEEE10hipError_tPvRmT3_T4_T5_T6_T7_T9_mT8_P12ihipStream_tbDpT10_ENKUlT_T0_E_clISt17integral_constantIbLb0EES18_EEDaS13_S14_EUlS13_E_NS1_11comp_targetILNS1_3genE4ELNS1_11target_archE910ELNS1_3gpuE8ELNS1_3repE0EEENS1_30default_config_static_selectorELNS0_4arch9wavefront6targetE0EEEvT1_
                                        ; -- End function
	.set _ZN7rocprim17ROCPRIM_400000_NS6detail17trampoline_kernelINS0_14default_configENS1_25partition_config_selectorILNS1_17partition_subalgoE6EfNS0_10empty_typeEbEEZZNS1_14partition_implILS5_6ELb0ES3_mN6thrust23THRUST_200600_302600_NS6detail15normal_iteratorINSA_10device_ptrIfEEEEPS6_SG_NS0_5tupleIJSF_S6_EEENSH_IJSG_SG_EEES6_PlJNSB_9not_fun_tI7is_evenIfEEEEEE10hipError_tPvRmT3_T4_T5_T6_T7_T9_mT8_P12ihipStream_tbDpT10_ENKUlT_T0_E_clISt17integral_constantIbLb0EES18_EEDaS13_S14_EUlS13_E_NS1_11comp_targetILNS1_3genE4ELNS1_11target_archE910ELNS1_3gpuE8ELNS1_3repE0EEENS1_30default_config_static_selectorELNS0_4arch9wavefront6targetE0EEEvT1_.num_vgpr, 0
	.set _ZN7rocprim17ROCPRIM_400000_NS6detail17trampoline_kernelINS0_14default_configENS1_25partition_config_selectorILNS1_17partition_subalgoE6EfNS0_10empty_typeEbEEZZNS1_14partition_implILS5_6ELb0ES3_mN6thrust23THRUST_200600_302600_NS6detail15normal_iteratorINSA_10device_ptrIfEEEEPS6_SG_NS0_5tupleIJSF_S6_EEENSH_IJSG_SG_EEES6_PlJNSB_9not_fun_tI7is_evenIfEEEEEE10hipError_tPvRmT3_T4_T5_T6_T7_T9_mT8_P12ihipStream_tbDpT10_ENKUlT_T0_E_clISt17integral_constantIbLb0EES18_EEDaS13_S14_EUlS13_E_NS1_11comp_targetILNS1_3genE4ELNS1_11target_archE910ELNS1_3gpuE8ELNS1_3repE0EEENS1_30default_config_static_selectorELNS0_4arch9wavefront6targetE0EEEvT1_.num_agpr, 0
	.set _ZN7rocprim17ROCPRIM_400000_NS6detail17trampoline_kernelINS0_14default_configENS1_25partition_config_selectorILNS1_17partition_subalgoE6EfNS0_10empty_typeEbEEZZNS1_14partition_implILS5_6ELb0ES3_mN6thrust23THRUST_200600_302600_NS6detail15normal_iteratorINSA_10device_ptrIfEEEEPS6_SG_NS0_5tupleIJSF_S6_EEENSH_IJSG_SG_EEES6_PlJNSB_9not_fun_tI7is_evenIfEEEEEE10hipError_tPvRmT3_T4_T5_T6_T7_T9_mT8_P12ihipStream_tbDpT10_ENKUlT_T0_E_clISt17integral_constantIbLb0EES18_EEDaS13_S14_EUlS13_E_NS1_11comp_targetILNS1_3genE4ELNS1_11target_archE910ELNS1_3gpuE8ELNS1_3repE0EEENS1_30default_config_static_selectorELNS0_4arch9wavefront6targetE0EEEvT1_.numbered_sgpr, 0
	.set _ZN7rocprim17ROCPRIM_400000_NS6detail17trampoline_kernelINS0_14default_configENS1_25partition_config_selectorILNS1_17partition_subalgoE6EfNS0_10empty_typeEbEEZZNS1_14partition_implILS5_6ELb0ES3_mN6thrust23THRUST_200600_302600_NS6detail15normal_iteratorINSA_10device_ptrIfEEEEPS6_SG_NS0_5tupleIJSF_S6_EEENSH_IJSG_SG_EEES6_PlJNSB_9not_fun_tI7is_evenIfEEEEEE10hipError_tPvRmT3_T4_T5_T6_T7_T9_mT8_P12ihipStream_tbDpT10_ENKUlT_T0_E_clISt17integral_constantIbLb0EES18_EEDaS13_S14_EUlS13_E_NS1_11comp_targetILNS1_3genE4ELNS1_11target_archE910ELNS1_3gpuE8ELNS1_3repE0EEENS1_30default_config_static_selectorELNS0_4arch9wavefront6targetE0EEEvT1_.num_named_barrier, 0
	.set _ZN7rocprim17ROCPRIM_400000_NS6detail17trampoline_kernelINS0_14default_configENS1_25partition_config_selectorILNS1_17partition_subalgoE6EfNS0_10empty_typeEbEEZZNS1_14partition_implILS5_6ELb0ES3_mN6thrust23THRUST_200600_302600_NS6detail15normal_iteratorINSA_10device_ptrIfEEEEPS6_SG_NS0_5tupleIJSF_S6_EEENSH_IJSG_SG_EEES6_PlJNSB_9not_fun_tI7is_evenIfEEEEEE10hipError_tPvRmT3_T4_T5_T6_T7_T9_mT8_P12ihipStream_tbDpT10_ENKUlT_T0_E_clISt17integral_constantIbLb0EES18_EEDaS13_S14_EUlS13_E_NS1_11comp_targetILNS1_3genE4ELNS1_11target_archE910ELNS1_3gpuE8ELNS1_3repE0EEENS1_30default_config_static_selectorELNS0_4arch9wavefront6targetE0EEEvT1_.private_seg_size, 0
	.set _ZN7rocprim17ROCPRIM_400000_NS6detail17trampoline_kernelINS0_14default_configENS1_25partition_config_selectorILNS1_17partition_subalgoE6EfNS0_10empty_typeEbEEZZNS1_14partition_implILS5_6ELb0ES3_mN6thrust23THRUST_200600_302600_NS6detail15normal_iteratorINSA_10device_ptrIfEEEEPS6_SG_NS0_5tupleIJSF_S6_EEENSH_IJSG_SG_EEES6_PlJNSB_9not_fun_tI7is_evenIfEEEEEE10hipError_tPvRmT3_T4_T5_T6_T7_T9_mT8_P12ihipStream_tbDpT10_ENKUlT_T0_E_clISt17integral_constantIbLb0EES18_EEDaS13_S14_EUlS13_E_NS1_11comp_targetILNS1_3genE4ELNS1_11target_archE910ELNS1_3gpuE8ELNS1_3repE0EEENS1_30default_config_static_selectorELNS0_4arch9wavefront6targetE0EEEvT1_.uses_vcc, 0
	.set _ZN7rocprim17ROCPRIM_400000_NS6detail17trampoline_kernelINS0_14default_configENS1_25partition_config_selectorILNS1_17partition_subalgoE6EfNS0_10empty_typeEbEEZZNS1_14partition_implILS5_6ELb0ES3_mN6thrust23THRUST_200600_302600_NS6detail15normal_iteratorINSA_10device_ptrIfEEEEPS6_SG_NS0_5tupleIJSF_S6_EEENSH_IJSG_SG_EEES6_PlJNSB_9not_fun_tI7is_evenIfEEEEEE10hipError_tPvRmT3_T4_T5_T6_T7_T9_mT8_P12ihipStream_tbDpT10_ENKUlT_T0_E_clISt17integral_constantIbLb0EES18_EEDaS13_S14_EUlS13_E_NS1_11comp_targetILNS1_3genE4ELNS1_11target_archE910ELNS1_3gpuE8ELNS1_3repE0EEENS1_30default_config_static_selectorELNS0_4arch9wavefront6targetE0EEEvT1_.uses_flat_scratch, 0
	.set _ZN7rocprim17ROCPRIM_400000_NS6detail17trampoline_kernelINS0_14default_configENS1_25partition_config_selectorILNS1_17partition_subalgoE6EfNS0_10empty_typeEbEEZZNS1_14partition_implILS5_6ELb0ES3_mN6thrust23THRUST_200600_302600_NS6detail15normal_iteratorINSA_10device_ptrIfEEEEPS6_SG_NS0_5tupleIJSF_S6_EEENSH_IJSG_SG_EEES6_PlJNSB_9not_fun_tI7is_evenIfEEEEEE10hipError_tPvRmT3_T4_T5_T6_T7_T9_mT8_P12ihipStream_tbDpT10_ENKUlT_T0_E_clISt17integral_constantIbLb0EES18_EEDaS13_S14_EUlS13_E_NS1_11comp_targetILNS1_3genE4ELNS1_11target_archE910ELNS1_3gpuE8ELNS1_3repE0EEENS1_30default_config_static_selectorELNS0_4arch9wavefront6targetE0EEEvT1_.has_dyn_sized_stack, 0
	.set _ZN7rocprim17ROCPRIM_400000_NS6detail17trampoline_kernelINS0_14default_configENS1_25partition_config_selectorILNS1_17partition_subalgoE6EfNS0_10empty_typeEbEEZZNS1_14partition_implILS5_6ELb0ES3_mN6thrust23THRUST_200600_302600_NS6detail15normal_iteratorINSA_10device_ptrIfEEEEPS6_SG_NS0_5tupleIJSF_S6_EEENSH_IJSG_SG_EEES6_PlJNSB_9not_fun_tI7is_evenIfEEEEEE10hipError_tPvRmT3_T4_T5_T6_T7_T9_mT8_P12ihipStream_tbDpT10_ENKUlT_T0_E_clISt17integral_constantIbLb0EES18_EEDaS13_S14_EUlS13_E_NS1_11comp_targetILNS1_3genE4ELNS1_11target_archE910ELNS1_3gpuE8ELNS1_3repE0EEENS1_30default_config_static_selectorELNS0_4arch9wavefront6targetE0EEEvT1_.has_recursion, 0
	.set _ZN7rocprim17ROCPRIM_400000_NS6detail17trampoline_kernelINS0_14default_configENS1_25partition_config_selectorILNS1_17partition_subalgoE6EfNS0_10empty_typeEbEEZZNS1_14partition_implILS5_6ELb0ES3_mN6thrust23THRUST_200600_302600_NS6detail15normal_iteratorINSA_10device_ptrIfEEEEPS6_SG_NS0_5tupleIJSF_S6_EEENSH_IJSG_SG_EEES6_PlJNSB_9not_fun_tI7is_evenIfEEEEEE10hipError_tPvRmT3_T4_T5_T6_T7_T9_mT8_P12ihipStream_tbDpT10_ENKUlT_T0_E_clISt17integral_constantIbLb0EES18_EEDaS13_S14_EUlS13_E_NS1_11comp_targetILNS1_3genE4ELNS1_11target_archE910ELNS1_3gpuE8ELNS1_3repE0EEENS1_30default_config_static_selectorELNS0_4arch9wavefront6targetE0EEEvT1_.has_indirect_call, 0
	.section	.AMDGPU.csdata,"",@progbits
; Kernel info:
; codeLenInByte = 0
; TotalNumSgprs: 0
; NumVgprs: 0
; ScratchSize: 0
; MemoryBound: 0
; FloatMode: 240
; IeeeMode: 1
; LDSByteSize: 0 bytes/workgroup (compile time only)
; SGPRBlocks: 0
; VGPRBlocks: 0
; NumSGPRsForWavesPerEU: 1
; NumVGPRsForWavesPerEU: 1
; Occupancy: 16
; WaveLimiterHint : 0
; COMPUTE_PGM_RSRC2:SCRATCH_EN: 0
; COMPUTE_PGM_RSRC2:USER_SGPR: 2
; COMPUTE_PGM_RSRC2:TRAP_HANDLER: 0
; COMPUTE_PGM_RSRC2:TGID_X_EN: 1
; COMPUTE_PGM_RSRC2:TGID_Y_EN: 0
; COMPUTE_PGM_RSRC2:TGID_Z_EN: 0
; COMPUTE_PGM_RSRC2:TIDIG_COMP_CNT: 0
	.section	.text._ZN7rocprim17ROCPRIM_400000_NS6detail17trampoline_kernelINS0_14default_configENS1_25partition_config_selectorILNS1_17partition_subalgoE6EfNS0_10empty_typeEbEEZZNS1_14partition_implILS5_6ELb0ES3_mN6thrust23THRUST_200600_302600_NS6detail15normal_iteratorINSA_10device_ptrIfEEEEPS6_SG_NS0_5tupleIJSF_S6_EEENSH_IJSG_SG_EEES6_PlJNSB_9not_fun_tI7is_evenIfEEEEEE10hipError_tPvRmT3_T4_T5_T6_T7_T9_mT8_P12ihipStream_tbDpT10_ENKUlT_T0_E_clISt17integral_constantIbLb0EES18_EEDaS13_S14_EUlS13_E_NS1_11comp_targetILNS1_3genE3ELNS1_11target_archE908ELNS1_3gpuE7ELNS1_3repE0EEENS1_30default_config_static_selectorELNS0_4arch9wavefront6targetE0EEEvT1_,"axG",@progbits,_ZN7rocprim17ROCPRIM_400000_NS6detail17trampoline_kernelINS0_14default_configENS1_25partition_config_selectorILNS1_17partition_subalgoE6EfNS0_10empty_typeEbEEZZNS1_14partition_implILS5_6ELb0ES3_mN6thrust23THRUST_200600_302600_NS6detail15normal_iteratorINSA_10device_ptrIfEEEEPS6_SG_NS0_5tupleIJSF_S6_EEENSH_IJSG_SG_EEES6_PlJNSB_9not_fun_tI7is_evenIfEEEEEE10hipError_tPvRmT3_T4_T5_T6_T7_T9_mT8_P12ihipStream_tbDpT10_ENKUlT_T0_E_clISt17integral_constantIbLb0EES18_EEDaS13_S14_EUlS13_E_NS1_11comp_targetILNS1_3genE3ELNS1_11target_archE908ELNS1_3gpuE7ELNS1_3repE0EEENS1_30default_config_static_selectorELNS0_4arch9wavefront6targetE0EEEvT1_,comdat
	.protected	_ZN7rocprim17ROCPRIM_400000_NS6detail17trampoline_kernelINS0_14default_configENS1_25partition_config_selectorILNS1_17partition_subalgoE6EfNS0_10empty_typeEbEEZZNS1_14partition_implILS5_6ELb0ES3_mN6thrust23THRUST_200600_302600_NS6detail15normal_iteratorINSA_10device_ptrIfEEEEPS6_SG_NS0_5tupleIJSF_S6_EEENSH_IJSG_SG_EEES6_PlJNSB_9not_fun_tI7is_evenIfEEEEEE10hipError_tPvRmT3_T4_T5_T6_T7_T9_mT8_P12ihipStream_tbDpT10_ENKUlT_T0_E_clISt17integral_constantIbLb0EES18_EEDaS13_S14_EUlS13_E_NS1_11comp_targetILNS1_3genE3ELNS1_11target_archE908ELNS1_3gpuE7ELNS1_3repE0EEENS1_30default_config_static_selectorELNS0_4arch9wavefront6targetE0EEEvT1_ ; -- Begin function _ZN7rocprim17ROCPRIM_400000_NS6detail17trampoline_kernelINS0_14default_configENS1_25partition_config_selectorILNS1_17partition_subalgoE6EfNS0_10empty_typeEbEEZZNS1_14partition_implILS5_6ELb0ES3_mN6thrust23THRUST_200600_302600_NS6detail15normal_iteratorINSA_10device_ptrIfEEEEPS6_SG_NS0_5tupleIJSF_S6_EEENSH_IJSG_SG_EEES6_PlJNSB_9not_fun_tI7is_evenIfEEEEEE10hipError_tPvRmT3_T4_T5_T6_T7_T9_mT8_P12ihipStream_tbDpT10_ENKUlT_T0_E_clISt17integral_constantIbLb0EES18_EEDaS13_S14_EUlS13_E_NS1_11comp_targetILNS1_3genE3ELNS1_11target_archE908ELNS1_3gpuE7ELNS1_3repE0EEENS1_30default_config_static_selectorELNS0_4arch9wavefront6targetE0EEEvT1_
	.globl	_ZN7rocprim17ROCPRIM_400000_NS6detail17trampoline_kernelINS0_14default_configENS1_25partition_config_selectorILNS1_17partition_subalgoE6EfNS0_10empty_typeEbEEZZNS1_14partition_implILS5_6ELb0ES3_mN6thrust23THRUST_200600_302600_NS6detail15normal_iteratorINSA_10device_ptrIfEEEEPS6_SG_NS0_5tupleIJSF_S6_EEENSH_IJSG_SG_EEES6_PlJNSB_9not_fun_tI7is_evenIfEEEEEE10hipError_tPvRmT3_T4_T5_T6_T7_T9_mT8_P12ihipStream_tbDpT10_ENKUlT_T0_E_clISt17integral_constantIbLb0EES18_EEDaS13_S14_EUlS13_E_NS1_11comp_targetILNS1_3genE3ELNS1_11target_archE908ELNS1_3gpuE7ELNS1_3repE0EEENS1_30default_config_static_selectorELNS0_4arch9wavefront6targetE0EEEvT1_
	.p2align	8
	.type	_ZN7rocprim17ROCPRIM_400000_NS6detail17trampoline_kernelINS0_14default_configENS1_25partition_config_selectorILNS1_17partition_subalgoE6EfNS0_10empty_typeEbEEZZNS1_14partition_implILS5_6ELb0ES3_mN6thrust23THRUST_200600_302600_NS6detail15normal_iteratorINSA_10device_ptrIfEEEEPS6_SG_NS0_5tupleIJSF_S6_EEENSH_IJSG_SG_EEES6_PlJNSB_9not_fun_tI7is_evenIfEEEEEE10hipError_tPvRmT3_T4_T5_T6_T7_T9_mT8_P12ihipStream_tbDpT10_ENKUlT_T0_E_clISt17integral_constantIbLb0EES18_EEDaS13_S14_EUlS13_E_NS1_11comp_targetILNS1_3genE3ELNS1_11target_archE908ELNS1_3gpuE7ELNS1_3repE0EEENS1_30default_config_static_selectorELNS0_4arch9wavefront6targetE0EEEvT1_,@function
_ZN7rocprim17ROCPRIM_400000_NS6detail17trampoline_kernelINS0_14default_configENS1_25partition_config_selectorILNS1_17partition_subalgoE6EfNS0_10empty_typeEbEEZZNS1_14partition_implILS5_6ELb0ES3_mN6thrust23THRUST_200600_302600_NS6detail15normal_iteratorINSA_10device_ptrIfEEEEPS6_SG_NS0_5tupleIJSF_S6_EEENSH_IJSG_SG_EEES6_PlJNSB_9not_fun_tI7is_evenIfEEEEEE10hipError_tPvRmT3_T4_T5_T6_T7_T9_mT8_P12ihipStream_tbDpT10_ENKUlT_T0_E_clISt17integral_constantIbLb0EES18_EEDaS13_S14_EUlS13_E_NS1_11comp_targetILNS1_3genE3ELNS1_11target_archE908ELNS1_3gpuE7ELNS1_3repE0EEENS1_30default_config_static_selectorELNS0_4arch9wavefront6targetE0EEEvT1_: ; @_ZN7rocprim17ROCPRIM_400000_NS6detail17trampoline_kernelINS0_14default_configENS1_25partition_config_selectorILNS1_17partition_subalgoE6EfNS0_10empty_typeEbEEZZNS1_14partition_implILS5_6ELb0ES3_mN6thrust23THRUST_200600_302600_NS6detail15normal_iteratorINSA_10device_ptrIfEEEEPS6_SG_NS0_5tupleIJSF_S6_EEENSH_IJSG_SG_EEES6_PlJNSB_9not_fun_tI7is_evenIfEEEEEE10hipError_tPvRmT3_T4_T5_T6_T7_T9_mT8_P12ihipStream_tbDpT10_ENKUlT_T0_E_clISt17integral_constantIbLb0EES18_EEDaS13_S14_EUlS13_E_NS1_11comp_targetILNS1_3genE3ELNS1_11target_archE908ELNS1_3gpuE7ELNS1_3repE0EEENS1_30default_config_static_selectorELNS0_4arch9wavefront6targetE0EEEvT1_
; %bb.0:
	.section	.rodata,"a",@progbits
	.p2align	6, 0x0
	.amdhsa_kernel _ZN7rocprim17ROCPRIM_400000_NS6detail17trampoline_kernelINS0_14default_configENS1_25partition_config_selectorILNS1_17partition_subalgoE6EfNS0_10empty_typeEbEEZZNS1_14partition_implILS5_6ELb0ES3_mN6thrust23THRUST_200600_302600_NS6detail15normal_iteratorINSA_10device_ptrIfEEEEPS6_SG_NS0_5tupleIJSF_S6_EEENSH_IJSG_SG_EEES6_PlJNSB_9not_fun_tI7is_evenIfEEEEEE10hipError_tPvRmT3_T4_T5_T6_T7_T9_mT8_P12ihipStream_tbDpT10_ENKUlT_T0_E_clISt17integral_constantIbLb0EES18_EEDaS13_S14_EUlS13_E_NS1_11comp_targetILNS1_3genE3ELNS1_11target_archE908ELNS1_3gpuE7ELNS1_3repE0EEENS1_30default_config_static_selectorELNS0_4arch9wavefront6targetE0EEEvT1_
		.amdhsa_group_segment_fixed_size 0
		.amdhsa_private_segment_fixed_size 0
		.amdhsa_kernarg_size 112
		.amdhsa_user_sgpr_count 2
		.amdhsa_user_sgpr_dispatch_ptr 0
		.amdhsa_user_sgpr_queue_ptr 0
		.amdhsa_user_sgpr_kernarg_segment_ptr 1
		.amdhsa_user_sgpr_dispatch_id 0
		.amdhsa_user_sgpr_private_segment_size 0
		.amdhsa_wavefront_size32 1
		.amdhsa_uses_dynamic_stack 0
		.amdhsa_enable_private_segment 0
		.amdhsa_system_sgpr_workgroup_id_x 1
		.amdhsa_system_sgpr_workgroup_id_y 0
		.amdhsa_system_sgpr_workgroup_id_z 0
		.amdhsa_system_sgpr_workgroup_info 0
		.amdhsa_system_vgpr_workitem_id 0
		.amdhsa_next_free_vgpr 1
		.amdhsa_next_free_sgpr 1
		.amdhsa_reserve_vcc 0
		.amdhsa_float_round_mode_32 0
		.amdhsa_float_round_mode_16_64 0
		.amdhsa_float_denorm_mode_32 3
		.amdhsa_float_denorm_mode_16_64 3
		.amdhsa_fp16_overflow 0
		.amdhsa_workgroup_processor_mode 1
		.amdhsa_memory_ordered 1
		.amdhsa_forward_progress 1
		.amdhsa_inst_pref_size 0
		.amdhsa_round_robin_scheduling 0
		.amdhsa_exception_fp_ieee_invalid_op 0
		.amdhsa_exception_fp_denorm_src 0
		.amdhsa_exception_fp_ieee_div_zero 0
		.amdhsa_exception_fp_ieee_overflow 0
		.amdhsa_exception_fp_ieee_underflow 0
		.amdhsa_exception_fp_ieee_inexact 0
		.amdhsa_exception_int_div_zero 0
	.end_amdhsa_kernel
	.section	.text._ZN7rocprim17ROCPRIM_400000_NS6detail17trampoline_kernelINS0_14default_configENS1_25partition_config_selectorILNS1_17partition_subalgoE6EfNS0_10empty_typeEbEEZZNS1_14partition_implILS5_6ELb0ES3_mN6thrust23THRUST_200600_302600_NS6detail15normal_iteratorINSA_10device_ptrIfEEEEPS6_SG_NS0_5tupleIJSF_S6_EEENSH_IJSG_SG_EEES6_PlJNSB_9not_fun_tI7is_evenIfEEEEEE10hipError_tPvRmT3_T4_T5_T6_T7_T9_mT8_P12ihipStream_tbDpT10_ENKUlT_T0_E_clISt17integral_constantIbLb0EES18_EEDaS13_S14_EUlS13_E_NS1_11comp_targetILNS1_3genE3ELNS1_11target_archE908ELNS1_3gpuE7ELNS1_3repE0EEENS1_30default_config_static_selectorELNS0_4arch9wavefront6targetE0EEEvT1_,"axG",@progbits,_ZN7rocprim17ROCPRIM_400000_NS6detail17trampoline_kernelINS0_14default_configENS1_25partition_config_selectorILNS1_17partition_subalgoE6EfNS0_10empty_typeEbEEZZNS1_14partition_implILS5_6ELb0ES3_mN6thrust23THRUST_200600_302600_NS6detail15normal_iteratorINSA_10device_ptrIfEEEEPS6_SG_NS0_5tupleIJSF_S6_EEENSH_IJSG_SG_EEES6_PlJNSB_9not_fun_tI7is_evenIfEEEEEE10hipError_tPvRmT3_T4_T5_T6_T7_T9_mT8_P12ihipStream_tbDpT10_ENKUlT_T0_E_clISt17integral_constantIbLb0EES18_EEDaS13_S14_EUlS13_E_NS1_11comp_targetILNS1_3genE3ELNS1_11target_archE908ELNS1_3gpuE7ELNS1_3repE0EEENS1_30default_config_static_selectorELNS0_4arch9wavefront6targetE0EEEvT1_,comdat
.Lfunc_end568:
	.size	_ZN7rocprim17ROCPRIM_400000_NS6detail17trampoline_kernelINS0_14default_configENS1_25partition_config_selectorILNS1_17partition_subalgoE6EfNS0_10empty_typeEbEEZZNS1_14partition_implILS5_6ELb0ES3_mN6thrust23THRUST_200600_302600_NS6detail15normal_iteratorINSA_10device_ptrIfEEEEPS6_SG_NS0_5tupleIJSF_S6_EEENSH_IJSG_SG_EEES6_PlJNSB_9not_fun_tI7is_evenIfEEEEEE10hipError_tPvRmT3_T4_T5_T6_T7_T9_mT8_P12ihipStream_tbDpT10_ENKUlT_T0_E_clISt17integral_constantIbLb0EES18_EEDaS13_S14_EUlS13_E_NS1_11comp_targetILNS1_3genE3ELNS1_11target_archE908ELNS1_3gpuE7ELNS1_3repE0EEENS1_30default_config_static_selectorELNS0_4arch9wavefront6targetE0EEEvT1_, .Lfunc_end568-_ZN7rocprim17ROCPRIM_400000_NS6detail17trampoline_kernelINS0_14default_configENS1_25partition_config_selectorILNS1_17partition_subalgoE6EfNS0_10empty_typeEbEEZZNS1_14partition_implILS5_6ELb0ES3_mN6thrust23THRUST_200600_302600_NS6detail15normal_iteratorINSA_10device_ptrIfEEEEPS6_SG_NS0_5tupleIJSF_S6_EEENSH_IJSG_SG_EEES6_PlJNSB_9not_fun_tI7is_evenIfEEEEEE10hipError_tPvRmT3_T4_T5_T6_T7_T9_mT8_P12ihipStream_tbDpT10_ENKUlT_T0_E_clISt17integral_constantIbLb0EES18_EEDaS13_S14_EUlS13_E_NS1_11comp_targetILNS1_3genE3ELNS1_11target_archE908ELNS1_3gpuE7ELNS1_3repE0EEENS1_30default_config_static_selectorELNS0_4arch9wavefront6targetE0EEEvT1_
                                        ; -- End function
	.set _ZN7rocprim17ROCPRIM_400000_NS6detail17trampoline_kernelINS0_14default_configENS1_25partition_config_selectorILNS1_17partition_subalgoE6EfNS0_10empty_typeEbEEZZNS1_14partition_implILS5_6ELb0ES3_mN6thrust23THRUST_200600_302600_NS6detail15normal_iteratorINSA_10device_ptrIfEEEEPS6_SG_NS0_5tupleIJSF_S6_EEENSH_IJSG_SG_EEES6_PlJNSB_9not_fun_tI7is_evenIfEEEEEE10hipError_tPvRmT3_T4_T5_T6_T7_T9_mT8_P12ihipStream_tbDpT10_ENKUlT_T0_E_clISt17integral_constantIbLb0EES18_EEDaS13_S14_EUlS13_E_NS1_11comp_targetILNS1_3genE3ELNS1_11target_archE908ELNS1_3gpuE7ELNS1_3repE0EEENS1_30default_config_static_selectorELNS0_4arch9wavefront6targetE0EEEvT1_.num_vgpr, 0
	.set _ZN7rocprim17ROCPRIM_400000_NS6detail17trampoline_kernelINS0_14default_configENS1_25partition_config_selectorILNS1_17partition_subalgoE6EfNS0_10empty_typeEbEEZZNS1_14partition_implILS5_6ELb0ES3_mN6thrust23THRUST_200600_302600_NS6detail15normal_iteratorINSA_10device_ptrIfEEEEPS6_SG_NS0_5tupleIJSF_S6_EEENSH_IJSG_SG_EEES6_PlJNSB_9not_fun_tI7is_evenIfEEEEEE10hipError_tPvRmT3_T4_T5_T6_T7_T9_mT8_P12ihipStream_tbDpT10_ENKUlT_T0_E_clISt17integral_constantIbLb0EES18_EEDaS13_S14_EUlS13_E_NS1_11comp_targetILNS1_3genE3ELNS1_11target_archE908ELNS1_3gpuE7ELNS1_3repE0EEENS1_30default_config_static_selectorELNS0_4arch9wavefront6targetE0EEEvT1_.num_agpr, 0
	.set _ZN7rocprim17ROCPRIM_400000_NS6detail17trampoline_kernelINS0_14default_configENS1_25partition_config_selectorILNS1_17partition_subalgoE6EfNS0_10empty_typeEbEEZZNS1_14partition_implILS5_6ELb0ES3_mN6thrust23THRUST_200600_302600_NS6detail15normal_iteratorINSA_10device_ptrIfEEEEPS6_SG_NS0_5tupleIJSF_S6_EEENSH_IJSG_SG_EEES6_PlJNSB_9not_fun_tI7is_evenIfEEEEEE10hipError_tPvRmT3_T4_T5_T6_T7_T9_mT8_P12ihipStream_tbDpT10_ENKUlT_T0_E_clISt17integral_constantIbLb0EES18_EEDaS13_S14_EUlS13_E_NS1_11comp_targetILNS1_3genE3ELNS1_11target_archE908ELNS1_3gpuE7ELNS1_3repE0EEENS1_30default_config_static_selectorELNS0_4arch9wavefront6targetE0EEEvT1_.numbered_sgpr, 0
	.set _ZN7rocprim17ROCPRIM_400000_NS6detail17trampoline_kernelINS0_14default_configENS1_25partition_config_selectorILNS1_17partition_subalgoE6EfNS0_10empty_typeEbEEZZNS1_14partition_implILS5_6ELb0ES3_mN6thrust23THRUST_200600_302600_NS6detail15normal_iteratorINSA_10device_ptrIfEEEEPS6_SG_NS0_5tupleIJSF_S6_EEENSH_IJSG_SG_EEES6_PlJNSB_9not_fun_tI7is_evenIfEEEEEE10hipError_tPvRmT3_T4_T5_T6_T7_T9_mT8_P12ihipStream_tbDpT10_ENKUlT_T0_E_clISt17integral_constantIbLb0EES18_EEDaS13_S14_EUlS13_E_NS1_11comp_targetILNS1_3genE3ELNS1_11target_archE908ELNS1_3gpuE7ELNS1_3repE0EEENS1_30default_config_static_selectorELNS0_4arch9wavefront6targetE0EEEvT1_.num_named_barrier, 0
	.set _ZN7rocprim17ROCPRIM_400000_NS6detail17trampoline_kernelINS0_14default_configENS1_25partition_config_selectorILNS1_17partition_subalgoE6EfNS0_10empty_typeEbEEZZNS1_14partition_implILS5_6ELb0ES3_mN6thrust23THRUST_200600_302600_NS6detail15normal_iteratorINSA_10device_ptrIfEEEEPS6_SG_NS0_5tupleIJSF_S6_EEENSH_IJSG_SG_EEES6_PlJNSB_9not_fun_tI7is_evenIfEEEEEE10hipError_tPvRmT3_T4_T5_T6_T7_T9_mT8_P12ihipStream_tbDpT10_ENKUlT_T0_E_clISt17integral_constantIbLb0EES18_EEDaS13_S14_EUlS13_E_NS1_11comp_targetILNS1_3genE3ELNS1_11target_archE908ELNS1_3gpuE7ELNS1_3repE0EEENS1_30default_config_static_selectorELNS0_4arch9wavefront6targetE0EEEvT1_.private_seg_size, 0
	.set _ZN7rocprim17ROCPRIM_400000_NS6detail17trampoline_kernelINS0_14default_configENS1_25partition_config_selectorILNS1_17partition_subalgoE6EfNS0_10empty_typeEbEEZZNS1_14partition_implILS5_6ELb0ES3_mN6thrust23THRUST_200600_302600_NS6detail15normal_iteratorINSA_10device_ptrIfEEEEPS6_SG_NS0_5tupleIJSF_S6_EEENSH_IJSG_SG_EEES6_PlJNSB_9not_fun_tI7is_evenIfEEEEEE10hipError_tPvRmT3_T4_T5_T6_T7_T9_mT8_P12ihipStream_tbDpT10_ENKUlT_T0_E_clISt17integral_constantIbLb0EES18_EEDaS13_S14_EUlS13_E_NS1_11comp_targetILNS1_3genE3ELNS1_11target_archE908ELNS1_3gpuE7ELNS1_3repE0EEENS1_30default_config_static_selectorELNS0_4arch9wavefront6targetE0EEEvT1_.uses_vcc, 0
	.set _ZN7rocprim17ROCPRIM_400000_NS6detail17trampoline_kernelINS0_14default_configENS1_25partition_config_selectorILNS1_17partition_subalgoE6EfNS0_10empty_typeEbEEZZNS1_14partition_implILS5_6ELb0ES3_mN6thrust23THRUST_200600_302600_NS6detail15normal_iteratorINSA_10device_ptrIfEEEEPS6_SG_NS0_5tupleIJSF_S6_EEENSH_IJSG_SG_EEES6_PlJNSB_9not_fun_tI7is_evenIfEEEEEE10hipError_tPvRmT3_T4_T5_T6_T7_T9_mT8_P12ihipStream_tbDpT10_ENKUlT_T0_E_clISt17integral_constantIbLb0EES18_EEDaS13_S14_EUlS13_E_NS1_11comp_targetILNS1_3genE3ELNS1_11target_archE908ELNS1_3gpuE7ELNS1_3repE0EEENS1_30default_config_static_selectorELNS0_4arch9wavefront6targetE0EEEvT1_.uses_flat_scratch, 0
	.set _ZN7rocprim17ROCPRIM_400000_NS6detail17trampoline_kernelINS0_14default_configENS1_25partition_config_selectorILNS1_17partition_subalgoE6EfNS0_10empty_typeEbEEZZNS1_14partition_implILS5_6ELb0ES3_mN6thrust23THRUST_200600_302600_NS6detail15normal_iteratorINSA_10device_ptrIfEEEEPS6_SG_NS0_5tupleIJSF_S6_EEENSH_IJSG_SG_EEES6_PlJNSB_9not_fun_tI7is_evenIfEEEEEE10hipError_tPvRmT3_T4_T5_T6_T7_T9_mT8_P12ihipStream_tbDpT10_ENKUlT_T0_E_clISt17integral_constantIbLb0EES18_EEDaS13_S14_EUlS13_E_NS1_11comp_targetILNS1_3genE3ELNS1_11target_archE908ELNS1_3gpuE7ELNS1_3repE0EEENS1_30default_config_static_selectorELNS0_4arch9wavefront6targetE0EEEvT1_.has_dyn_sized_stack, 0
	.set _ZN7rocprim17ROCPRIM_400000_NS6detail17trampoline_kernelINS0_14default_configENS1_25partition_config_selectorILNS1_17partition_subalgoE6EfNS0_10empty_typeEbEEZZNS1_14partition_implILS5_6ELb0ES3_mN6thrust23THRUST_200600_302600_NS6detail15normal_iteratorINSA_10device_ptrIfEEEEPS6_SG_NS0_5tupleIJSF_S6_EEENSH_IJSG_SG_EEES6_PlJNSB_9not_fun_tI7is_evenIfEEEEEE10hipError_tPvRmT3_T4_T5_T6_T7_T9_mT8_P12ihipStream_tbDpT10_ENKUlT_T0_E_clISt17integral_constantIbLb0EES18_EEDaS13_S14_EUlS13_E_NS1_11comp_targetILNS1_3genE3ELNS1_11target_archE908ELNS1_3gpuE7ELNS1_3repE0EEENS1_30default_config_static_selectorELNS0_4arch9wavefront6targetE0EEEvT1_.has_recursion, 0
	.set _ZN7rocprim17ROCPRIM_400000_NS6detail17trampoline_kernelINS0_14default_configENS1_25partition_config_selectorILNS1_17partition_subalgoE6EfNS0_10empty_typeEbEEZZNS1_14partition_implILS5_6ELb0ES3_mN6thrust23THRUST_200600_302600_NS6detail15normal_iteratorINSA_10device_ptrIfEEEEPS6_SG_NS0_5tupleIJSF_S6_EEENSH_IJSG_SG_EEES6_PlJNSB_9not_fun_tI7is_evenIfEEEEEE10hipError_tPvRmT3_T4_T5_T6_T7_T9_mT8_P12ihipStream_tbDpT10_ENKUlT_T0_E_clISt17integral_constantIbLb0EES18_EEDaS13_S14_EUlS13_E_NS1_11comp_targetILNS1_3genE3ELNS1_11target_archE908ELNS1_3gpuE7ELNS1_3repE0EEENS1_30default_config_static_selectorELNS0_4arch9wavefront6targetE0EEEvT1_.has_indirect_call, 0
	.section	.AMDGPU.csdata,"",@progbits
; Kernel info:
; codeLenInByte = 0
; TotalNumSgprs: 0
; NumVgprs: 0
; ScratchSize: 0
; MemoryBound: 0
; FloatMode: 240
; IeeeMode: 1
; LDSByteSize: 0 bytes/workgroup (compile time only)
; SGPRBlocks: 0
; VGPRBlocks: 0
; NumSGPRsForWavesPerEU: 1
; NumVGPRsForWavesPerEU: 1
; Occupancy: 16
; WaveLimiterHint : 0
; COMPUTE_PGM_RSRC2:SCRATCH_EN: 0
; COMPUTE_PGM_RSRC2:USER_SGPR: 2
; COMPUTE_PGM_RSRC2:TRAP_HANDLER: 0
; COMPUTE_PGM_RSRC2:TGID_X_EN: 1
; COMPUTE_PGM_RSRC2:TGID_Y_EN: 0
; COMPUTE_PGM_RSRC2:TGID_Z_EN: 0
; COMPUTE_PGM_RSRC2:TIDIG_COMP_CNT: 0
	.section	.text._ZN7rocprim17ROCPRIM_400000_NS6detail17trampoline_kernelINS0_14default_configENS1_25partition_config_selectorILNS1_17partition_subalgoE6EfNS0_10empty_typeEbEEZZNS1_14partition_implILS5_6ELb0ES3_mN6thrust23THRUST_200600_302600_NS6detail15normal_iteratorINSA_10device_ptrIfEEEEPS6_SG_NS0_5tupleIJSF_S6_EEENSH_IJSG_SG_EEES6_PlJNSB_9not_fun_tI7is_evenIfEEEEEE10hipError_tPvRmT3_T4_T5_T6_T7_T9_mT8_P12ihipStream_tbDpT10_ENKUlT_T0_E_clISt17integral_constantIbLb0EES18_EEDaS13_S14_EUlS13_E_NS1_11comp_targetILNS1_3genE2ELNS1_11target_archE906ELNS1_3gpuE6ELNS1_3repE0EEENS1_30default_config_static_selectorELNS0_4arch9wavefront6targetE0EEEvT1_,"axG",@progbits,_ZN7rocprim17ROCPRIM_400000_NS6detail17trampoline_kernelINS0_14default_configENS1_25partition_config_selectorILNS1_17partition_subalgoE6EfNS0_10empty_typeEbEEZZNS1_14partition_implILS5_6ELb0ES3_mN6thrust23THRUST_200600_302600_NS6detail15normal_iteratorINSA_10device_ptrIfEEEEPS6_SG_NS0_5tupleIJSF_S6_EEENSH_IJSG_SG_EEES6_PlJNSB_9not_fun_tI7is_evenIfEEEEEE10hipError_tPvRmT3_T4_T5_T6_T7_T9_mT8_P12ihipStream_tbDpT10_ENKUlT_T0_E_clISt17integral_constantIbLb0EES18_EEDaS13_S14_EUlS13_E_NS1_11comp_targetILNS1_3genE2ELNS1_11target_archE906ELNS1_3gpuE6ELNS1_3repE0EEENS1_30default_config_static_selectorELNS0_4arch9wavefront6targetE0EEEvT1_,comdat
	.protected	_ZN7rocprim17ROCPRIM_400000_NS6detail17trampoline_kernelINS0_14default_configENS1_25partition_config_selectorILNS1_17partition_subalgoE6EfNS0_10empty_typeEbEEZZNS1_14partition_implILS5_6ELb0ES3_mN6thrust23THRUST_200600_302600_NS6detail15normal_iteratorINSA_10device_ptrIfEEEEPS6_SG_NS0_5tupleIJSF_S6_EEENSH_IJSG_SG_EEES6_PlJNSB_9not_fun_tI7is_evenIfEEEEEE10hipError_tPvRmT3_T4_T5_T6_T7_T9_mT8_P12ihipStream_tbDpT10_ENKUlT_T0_E_clISt17integral_constantIbLb0EES18_EEDaS13_S14_EUlS13_E_NS1_11comp_targetILNS1_3genE2ELNS1_11target_archE906ELNS1_3gpuE6ELNS1_3repE0EEENS1_30default_config_static_selectorELNS0_4arch9wavefront6targetE0EEEvT1_ ; -- Begin function _ZN7rocprim17ROCPRIM_400000_NS6detail17trampoline_kernelINS0_14default_configENS1_25partition_config_selectorILNS1_17partition_subalgoE6EfNS0_10empty_typeEbEEZZNS1_14partition_implILS5_6ELb0ES3_mN6thrust23THRUST_200600_302600_NS6detail15normal_iteratorINSA_10device_ptrIfEEEEPS6_SG_NS0_5tupleIJSF_S6_EEENSH_IJSG_SG_EEES6_PlJNSB_9not_fun_tI7is_evenIfEEEEEE10hipError_tPvRmT3_T4_T5_T6_T7_T9_mT8_P12ihipStream_tbDpT10_ENKUlT_T0_E_clISt17integral_constantIbLb0EES18_EEDaS13_S14_EUlS13_E_NS1_11comp_targetILNS1_3genE2ELNS1_11target_archE906ELNS1_3gpuE6ELNS1_3repE0EEENS1_30default_config_static_selectorELNS0_4arch9wavefront6targetE0EEEvT1_
	.globl	_ZN7rocprim17ROCPRIM_400000_NS6detail17trampoline_kernelINS0_14default_configENS1_25partition_config_selectorILNS1_17partition_subalgoE6EfNS0_10empty_typeEbEEZZNS1_14partition_implILS5_6ELb0ES3_mN6thrust23THRUST_200600_302600_NS6detail15normal_iteratorINSA_10device_ptrIfEEEEPS6_SG_NS0_5tupleIJSF_S6_EEENSH_IJSG_SG_EEES6_PlJNSB_9not_fun_tI7is_evenIfEEEEEE10hipError_tPvRmT3_T4_T5_T6_T7_T9_mT8_P12ihipStream_tbDpT10_ENKUlT_T0_E_clISt17integral_constantIbLb0EES18_EEDaS13_S14_EUlS13_E_NS1_11comp_targetILNS1_3genE2ELNS1_11target_archE906ELNS1_3gpuE6ELNS1_3repE0EEENS1_30default_config_static_selectorELNS0_4arch9wavefront6targetE0EEEvT1_
	.p2align	8
	.type	_ZN7rocprim17ROCPRIM_400000_NS6detail17trampoline_kernelINS0_14default_configENS1_25partition_config_selectorILNS1_17partition_subalgoE6EfNS0_10empty_typeEbEEZZNS1_14partition_implILS5_6ELb0ES3_mN6thrust23THRUST_200600_302600_NS6detail15normal_iteratorINSA_10device_ptrIfEEEEPS6_SG_NS0_5tupleIJSF_S6_EEENSH_IJSG_SG_EEES6_PlJNSB_9not_fun_tI7is_evenIfEEEEEE10hipError_tPvRmT3_T4_T5_T6_T7_T9_mT8_P12ihipStream_tbDpT10_ENKUlT_T0_E_clISt17integral_constantIbLb0EES18_EEDaS13_S14_EUlS13_E_NS1_11comp_targetILNS1_3genE2ELNS1_11target_archE906ELNS1_3gpuE6ELNS1_3repE0EEENS1_30default_config_static_selectorELNS0_4arch9wavefront6targetE0EEEvT1_,@function
_ZN7rocprim17ROCPRIM_400000_NS6detail17trampoline_kernelINS0_14default_configENS1_25partition_config_selectorILNS1_17partition_subalgoE6EfNS0_10empty_typeEbEEZZNS1_14partition_implILS5_6ELb0ES3_mN6thrust23THRUST_200600_302600_NS6detail15normal_iteratorINSA_10device_ptrIfEEEEPS6_SG_NS0_5tupleIJSF_S6_EEENSH_IJSG_SG_EEES6_PlJNSB_9not_fun_tI7is_evenIfEEEEEE10hipError_tPvRmT3_T4_T5_T6_T7_T9_mT8_P12ihipStream_tbDpT10_ENKUlT_T0_E_clISt17integral_constantIbLb0EES18_EEDaS13_S14_EUlS13_E_NS1_11comp_targetILNS1_3genE2ELNS1_11target_archE906ELNS1_3gpuE6ELNS1_3repE0EEENS1_30default_config_static_selectorELNS0_4arch9wavefront6targetE0EEEvT1_: ; @_ZN7rocprim17ROCPRIM_400000_NS6detail17trampoline_kernelINS0_14default_configENS1_25partition_config_selectorILNS1_17partition_subalgoE6EfNS0_10empty_typeEbEEZZNS1_14partition_implILS5_6ELb0ES3_mN6thrust23THRUST_200600_302600_NS6detail15normal_iteratorINSA_10device_ptrIfEEEEPS6_SG_NS0_5tupleIJSF_S6_EEENSH_IJSG_SG_EEES6_PlJNSB_9not_fun_tI7is_evenIfEEEEEE10hipError_tPvRmT3_T4_T5_T6_T7_T9_mT8_P12ihipStream_tbDpT10_ENKUlT_T0_E_clISt17integral_constantIbLb0EES18_EEDaS13_S14_EUlS13_E_NS1_11comp_targetILNS1_3genE2ELNS1_11target_archE906ELNS1_3gpuE6ELNS1_3repE0EEENS1_30default_config_static_selectorELNS0_4arch9wavefront6targetE0EEEvT1_
; %bb.0:
	.section	.rodata,"a",@progbits
	.p2align	6, 0x0
	.amdhsa_kernel _ZN7rocprim17ROCPRIM_400000_NS6detail17trampoline_kernelINS0_14default_configENS1_25partition_config_selectorILNS1_17partition_subalgoE6EfNS0_10empty_typeEbEEZZNS1_14partition_implILS5_6ELb0ES3_mN6thrust23THRUST_200600_302600_NS6detail15normal_iteratorINSA_10device_ptrIfEEEEPS6_SG_NS0_5tupleIJSF_S6_EEENSH_IJSG_SG_EEES6_PlJNSB_9not_fun_tI7is_evenIfEEEEEE10hipError_tPvRmT3_T4_T5_T6_T7_T9_mT8_P12ihipStream_tbDpT10_ENKUlT_T0_E_clISt17integral_constantIbLb0EES18_EEDaS13_S14_EUlS13_E_NS1_11comp_targetILNS1_3genE2ELNS1_11target_archE906ELNS1_3gpuE6ELNS1_3repE0EEENS1_30default_config_static_selectorELNS0_4arch9wavefront6targetE0EEEvT1_
		.amdhsa_group_segment_fixed_size 0
		.amdhsa_private_segment_fixed_size 0
		.amdhsa_kernarg_size 112
		.amdhsa_user_sgpr_count 2
		.amdhsa_user_sgpr_dispatch_ptr 0
		.amdhsa_user_sgpr_queue_ptr 0
		.amdhsa_user_sgpr_kernarg_segment_ptr 1
		.amdhsa_user_sgpr_dispatch_id 0
		.amdhsa_user_sgpr_private_segment_size 0
		.amdhsa_wavefront_size32 1
		.amdhsa_uses_dynamic_stack 0
		.amdhsa_enable_private_segment 0
		.amdhsa_system_sgpr_workgroup_id_x 1
		.amdhsa_system_sgpr_workgroup_id_y 0
		.amdhsa_system_sgpr_workgroup_id_z 0
		.amdhsa_system_sgpr_workgroup_info 0
		.amdhsa_system_vgpr_workitem_id 0
		.amdhsa_next_free_vgpr 1
		.amdhsa_next_free_sgpr 1
		.amdhsa_reserve_vcc 0
		.amdhsa_float_round_mode_32 0
		.amdhsa_float_round_mode_16_64 0
		.amdhsa_float_denorm_mode_32 3
		.amdhsa_float_denorm_mode_16_64 3
		.amdhsa_fp16_overflow 0
		.amdhsa_workgroup_processor_mode 1
		.amdhsa_memory_ordered 1
		.amdhsa_forward_progress 1
		.amdhsa_inst_pref_size 0
		.amdhsa_round_robin_scheduling 0
		.amdhsa_exception_fp_ieee_invalid_op 0
		.amdhsa_exception_fp_denorm_src 0
		.amdhsa_exception_fp_ieee_div_zero 0
		.amdhsa_exception_fp_ieee_overflow 0
		.amdhsa_exception_fp_ieee_underflow 0
		.amdhsa_exception_fp_ieee_inexact 0
		.amdhsa_exception_int_div_zero 0
	.end_amdhsa_kernel
	.section	.text._ZN7rocprim17ROCPRIM_400000_NS6detail17trampoline_kernelINS0_14default_configENS1_25partition_config_selectorILNS1_17partition_subalgoE6EfNS0_10empty_typeEbEEZZNS1_14partition_implILS5_6ELb0ES3_mN6thrust23THRUST_200600_302600_NS6detail15normal_iteratorINSA_10device_ptrIfEEEEPS6_SG_NS0_5tupleIJSF_S6_EEENSH_IJSG_SG_EEES6_PlJNSB_9not_fun_tI7is_evenIfEEEEEE10hipError_tPvRmT3_T4_T5_T6_T7_T9_mT8_P12ihipStream_tbDpT10_ENKUlT_T0_E_clISt17integral_constantIbLb0EES18_EEDaS13_S14_EUlS13_E_NS1_11comp_targetILNS1_3genE2ELNS1_11target_archE906ELNS1_3gpuE6ELNS1_3repE0EEENS1_30default_config_static_selectorELNS0_4arch9wavefront6targetE0EEEvT1_,"axG",@progbits,_ZN7rocprim17ROCPRIM_400000_NS6detail17trampoline_kernelINS0_14default_configENS1_25partition_config_selectorILNS1_17partition_subalgoE6EfNS0_10empty_typeEbEEZZNS1_14partition_implILS5_6ELb0ES3_mN6thrust23THRUST_200600_302600_NS6detail15normal_iteratorINSA_10device_ptrIfEEEEPS6_SG_NS0_5tupleIJSF_S6_EEENSH_IJSG_SG_EEES6_PlJNSB_9not_fun_tI7is_evenIfEEEEEE10hipError_tPvRmT3_T4_T5_T6_T7_T9_mT8_P12ihipStream_tbDpT10_ENKUlT_T0_E_clISt17integral_constantIbLb0EES18_EEDaS13_S14_EUlS13_E_NS1_11comp_targetILNS1_3genE2ELNS1_11target_archE906ELNS1_3gpuE6ELNS1_3repE0EEENS1_30default_config_static_selectorELNS0_4arch9wavefront6targetE0EEEvT1_,comdat
.Lfunc_end569:
	.size	_ZN7rocprim17ROCPRIM_400000_NS6detail17trampoline_kernelINS0_14default_configENS1_25partition_config_selectorILNS1_17partition_subalgoE6EfNS0_10empty_typeEbEEZZNS1_14partition_implILS5_6ELb0ES3_mN6thrust23THRUST_200600_302600_NS6detail15normal_iteratorINSA_10device_ptrIfEEEEPS6_SG_NS0_5tupleIJSF_S6_EEENSH_IJSG_SG_EEES6_PlJNSB_9not_fun_tI7is_evenIfEEEEEE10hipError_tPvRmT3_T4_T5_T6_T7_T9_mT8_P12ihipStream_tbDpT10_ENKUlT_T0_E_clISt17integral_constantIbLb0EES18_EEDaS13_S14_EUlS13_E_NS1_11comp_targetILNS1_3genE2ELNS1_11target_archE906ELNS1_3gpuE6ELNS1_3repE0EEENS1_30default_config_static_selectorELNS0_4arch9wavefront6targetE0EEEvT1_, .Lfunc_end569-_ZN7rocprim17ROCPRIM_400000_NS6detail17trampoline_kernelINS0_14default_configENS1_25partition_config_selectorILNS1_17partition_subalgoE6EfNS0_10empty_typeEbEEZZNS1_14partition_implILS5_6ELb0ES3_mN6thrust23THRUST_200600_302600_NS6detail15normal_iteratorINSA_10device_ptrIfEEEEPS6_SG_NS0_5tupleIJSF_S6_EEENSH_IJSG_SG_EEES6_PlJNSB_9not_fun_tI7is_evenIfEEEEEE10hipError_tPvRmT3_T4_T5_T6_T7_T9_mT8_P12ihipStream_tbDpT10_ENKUlT_T0_E_clISt17integral_constantIbLb0EES18_EEDaS13_S14_EUlS13_E_NS1_11comp_targetILNS1_3genE2ELNS1_11target_archE906ELNS1_3gpuE6ELNS1_3repE0EEENS1_30default_config_static_selectorELNS0_4arch9wavefront6targetE0EEEvT1_
                                        ; -- End function
	.set _ZN7rocprim17ROCPRIM_400000_NS6detail17trampoline_kernelINS0_14default_configENS1_25partition_config_selectorILNS1_17partition_subalgoE6EfNS0_10empty_typeEbEEZZNS1_14partition_implILS5_6ELb0ES3_mN6thrust23THRUST_200600_302600_NS6detail15normal_iteratorINSA_10device_ptrIfEEEEPS6_SG_NS0_5tupleIJSF_S6_EEENSH_IJSG_SG_EEES6_PlJNSB_9not_fun_tI7is_evenIfEEEEEE10hipError_tPvRmT3_T4_T5_T6_T7_T9_mT8_P12ihipStream_tbDpT10_ENKUlT_T0_E_clISt17integral_constantIbLb0EES18_EEDaS13_S14_EUlS13_E_NS1_11comp_targetILNS1_3genE2ELNS1_11target_archE906ELNS1_3gpuE6ELNS1_3repE0EEENS1_30default_config_static_selectorELNS0_4arch9wavefront6targetE0EEEvT1_.num_vgpr, 0
	.set _ZN7rocprim17ROCPRIM_400000_NS6detail17trampoline_kernelINS0_14default_configENS1_25partition_config_selectorILNS1_17partition_subalgoE6EfNS0_10empty_typeEbEEZZNS1_14partition_implILS5_6ELb0ES3_mN6thrust23THRUST_200600_302600_NS6detail15normal_iteratorINSA_10device_ptrIfEEEEPS6_SG_NS0_5tupleIJSF_S6_EEENSH_IJSG_SG_EEES6_PlJNSB_9not_fun_tI7is_evenIfEEEEEE10hipError_tPvRmT3_T4_T5_T6_T7_T9_mT8_P12ihipStream_tbDpT10_ENKUlT_T0_E_clISt17integral_constantIbLb0EES18_EEDaS13_S14_EUlS13_E_NS1_11comp_targetILNS1_3genE2ELNS1_11target_archE906ELNS1_3gpuE6ELNS1_3repE0EEENS1_30default_config_static_selectorELNS0_4arch9wavefront6targetE0EEEvT1_.num_agpr, 0
	.set _ZN7rocprim17ROCPRIM_400000_NS6detail17trampoline_kernelINS0_14default_configENS1_25partition_config_selectorILNS1_17partition_subalgoE6EfNS0_10empty_typeEbEEZZNS1_14partition_implILS5_6ELb0ES3_mN6thrust23THRUST_200600_302600_NS6detail15normal_iteratorINSA_10device_ptrIfEEEEPS6_SG_NS0_5tupleIJSF_S6_EEENSH_IJSG_SG_EEES6_PlJNSB_9not_fun_tI7is_evenIfEEEEEE10hipError_tPvRmT3_T4_T5_T6_T7_T9_mT8_P12ihipStream_tbDpT10_ENKUlT_T0_E_clISt17integral_constantIbLb0EES18_EEDaS13_S14_EUlS13_E_NS1_11comp_targetILNS1_3genE2ELNS1_11target_archE906ELNS1_3gpuE6ELNS1_3repE0EEENS1_30default_config_static_selectorELNS0_4arch9wavefront6targetE0EEEvT1_.numbered_sgpr, 0
	.set _ZN7rocprim17ROCPRIM_400000_NS6detail17trampoline_kernelINS0_14default_configENS1_25partition_config_selectorILNS1_17partition_subalgoE6EfNS0_10empty_typeEbEEZZNS1_14partition_implILS5_6ELb0ES3_mN6thrust23THRUST_200600_302600_NS6detail15normal_iteratorINSA_10device_ptrIfEEEEPS6_SG_NS0_5tupleIJSF_S6_EEENSH_IJSG_SG_EEES6_PlJNSB_9not_fun_tI7is_evenIfEEEEEE10hipError_tPvRmT3_T4_T5_T6_T7_T9_mT8_P12ihipStream_tbDpT10_ENKUlT_T0_E_clISt17integral_constantIbLb0EES18_EEDaS13_S14_EUlS13_E_NS1_11comp_targetILNS1_3genE2ELNS1_11target_archE906ELNS1_3gpuE6ELNS1_3repE0EEENS1_30default_config_static_selectorELNS0_4arch9wavefront6targetE0EEEvT1_.num_named_barrier, 0
	.set _ZN7rocprim17ROCPRIM_400000_NS6detail17trampoline_kernelINS0_14default_configENS1_25partition_config_selectorILNS1_17partition_subalgoE6EfNS0_10empty_typeEbEEZZNS1_14partition_implILS5_6ELb0ES3_mN6thrust23THRUST_200600_302600_NS6detail15normal_iteratorINSA_10device_ptrIfEEEEPS6_SG_NS0_5tupleIJSF_S6_EEENSH_IJSG_SG_EEES6_PlJNSB_9not_fun_tI7is_evenIfEEEEEE10hipError_tPvRmT3_T4_T5_T6_T7_T9_mT8_P12ihipStream_tbDpT10_ENKUlT_T0_E_clISt17integral_constantIbLb0EES18_EEDaS13_S14_EUlS13_E_NS1_11comp_targetILNS1_3genE2ELNS1_11target_archE906ELNS1_3gpuE6ELNS1_3repE0EEENS1_30default_config_static_selectorELNS0_4arch9wavefront6targetE0EEEvT1_.private_seg_size, 0
	.set _ZN7rocprim17ROCPRIM_400000_NS6detail17trampoline_kernelINS0_14default_configENS1_25partition_config_selectorILNS1_17partition_subalgoE6EfNS0_10empty_typeEbEEZZNS1_14partition_implILS5_6ELb0ES3_mN6thrust23THRUST_200600_302600_NS6detail15normal_iteratorINSA_10device_ptrIfEEEEPS6_SG_NS0_5tupleIJSF_S6_EEENSH_IJSG_SG_EEES6_PlJNSB_9not_fun_tI7is_evenIfEEEEEE10hipError_tPvRmT3_T4_T5_T6_T7_T9_mT8_P12ihipStream_tbDpT10_ENKUlT_T0_E_clISt17integral_constantIbLb0EES18_EEDaS13_S14_EUlS13_E_NS1_11comp_targetILNS1_3genE2ELNS1_11target_archE906ELNS1_3gpuE6ELNS1_3repE0EEENS1_30default_config_static_selectorELNS0_4arch9wavefront6targetE0EEEvT1_.uses_vcc, 0
	.set _ZN7rocprim17ROCPRIM_400000_NS6detail17trampoline_kernelINS0_14default_configENS1_25partition_config_selectorILNS1_17partition_subalgoE6EfNS0_10empty_typeEbEEZZNS1_14partition_implILS5_6ELb0ES3_mN6thrust23THRUST_200600_302600_NS6detail15normal_iteratorINSA_10device_ptrIfEEEEPS6_SG_NS0_5tupleIJSF_S6_EEENSH_IJSG_SG_EEES6_PlJNSB_9not_fun_tI7is_evenIfEEEEEE10hipError_tPvRmT3_T4_T5_T6_T7_T9_mT8_P12ihipStream_tbDpT10_ENKUlT_T0_E_clISt17integral_constantIbLb0EES18_EEDaS13_S14_EUlS13_E_NS1_11comp_targetILNS1_3genE2ELNS1_11target_archE906ELNS1_3gpuE6ELNS1_3repE0EEENS1_30default_config_static_selectorELNS0_4arch9wavefront6targetE0EEEvT1_.uses_flat_scratch, 0
	.set _ZN7rocprim17ROCPRIM_400000_NS6detail17trampoline_kernelINS0_14default_configENS1_25partition_config_selectorILNS1_17partition_subalgoE6EfNS0_10empty_typeEbEEZZNS1_14partition_implILS5_6ELb0ES3_mN6thrust23THRUST_200600_302600_NS6detail15normal_iteratorINSA_10device_ptrIfEEEEPS6_SG_NS0_5tupleIJSF_S6_EEENSH_IJSG_SG_EEES6_PlJNSB_9not_fun_tI7is_evenIfEEEEEE10hipError_tPvRmT3_T4_T5_T6_T7_T9_mT8_P12ihipStream_tbDpT10_ENKUlT_T0_E_clISt17integral_constantIbLb0EES18_EEDaS13_S14_EUlS13_E_NS1_11comp_targetILNS1_3genE2ELNS1_11target_archE906ELNS1_3gpuE6ELNS1_3repE0EEENS1_30default_config_static_selectorELNS0_4arch9wavefront6targetE0EEEvT1_.has_dyn_sized_stack, 0
	.set _ZN7rocprim17ROCPRIM_400000_NS6detail17trampoline_kernelINS0_14default_configENS1_25partition_config_selectorILNS1_17partition_subalgoE6EfNS0_10empty_typeEbEEZZNS1_14partition_implILS5_6ELb0ES3_mN6thrust23THRUST_200600_302600_NS6detail15normal_iteratorINSA_10device_ptrIfEEEEPS6_SG_NS0_5tupleIJSF_S6_EEENSH_IJSG_SG_EEES6_PlJNSB_9not_fun_tI7is_evenIfEEEEEE10hipError_tPvRmT3_T4_T5_T6_T7_T9_mT8_P12ihipStream_tbDpT10_ENKUlT_T0_E_clISt17integral_constantIbLb0EES18_EEDaS13_S14_EUlS13_E_NS1_11comp_targetILNS1_3genE2ELNS1_11target_archE906ELNS1_3gpuE6ELNS1_3repE0EEENS1_30default_config_static_selectorELNS0_4arch9wavefront6targetE0EEEvT1_.has_recursion, 0
	.set _ZN7rocprim17ROCPRIM_400000_NS6detail17trampoline_kernelINS0_14default_configENS1_25partition_config_selectorILNS1_17partition_subalgoE6EfNS0_10empty_typeEbEEZZNS1_14partition_implILS5_6ELb0ES3_mN6thrust23THRUST_200600_302600_NS6detail15normal_iteratorINSA_10device_ptrIfEEEEPS6_SG_NS0_5tupleIJSF_S6_EEENSH_IJSG_SG_EEES6_PlJNSB_9not_fun_tI7is_evenIfEEEEEE10hipError_tPvRmT3_T4_T5_T6_T7_T9_mT8_P12ihipStream_tbDpT10_ENKUlT_T0_E_clISt17integral_constantIbLb0EES18_EEDaS13_S14_EUlS13_E_NS1_11comp_targetILNS1_3genE2ELNS1_11target_archE906ELNS1_3gpuE6ELNS1_3repE0EEENS1_30default_config_static_selectorELNS0_4arch9wavefront6targetE0EEEvT1_.has_indirect_call, 0
	.section	.AMDGPU.csdata,"",@progbits
; Kernel info:
; codeLenInByte = 0
; TotalNumSgprs: 0
; NumVgprs: 0
; ScratchSize: 0
; MemoryBound: 0
; FloatMode: 240
; IeeeMode: 1
; LDSByteSize: 0 bytes/workgroup (compile time only)
; SGPRBlocks: 0
; VGPRBlocks: 0
; NumSGPRsForWavesPerEU: 1
; NumVGPRsForWavesPerEU: 1
; Occupancy: 16
; WaveLimiterHint : 0
; COMPUTE_PGM_RSRC2:SCRATCH_EN: 0
; COMPUTE_PGM_RSRC2:USER_SGPR: 2
; COMPUTE_PGM_RSRC2:TRAP_HANDLER: 0
; COMPUTE_PGM_RSRC2:TGID_X_EN: 1
; COMPUTE_PGM_RSRC2:TGID_Y_EN: 0
; COMPUTE_PGM_RSRC2:TGID_Z_EN: 0
; COMPUTE_PGM_RSRC2:TIDIG_COMP_CNT: 0
	.section	.text._ZN7rocprim17ROCPRIM_400000_NS6detail17trampoline_kernelINS0_14default_configENS1_25partition_config_selectorILNS1_17partition_subalgoE6EfNS0_10empty_typeEbEEZZNS1_14partition_implILS5_6ELb0ES3_mN6thrust23THRUST_200600_302600_NS6detail15normal_iteratorINSA_10device_ptrIfEEEEPS6_SG_NS0_5tupleIJSF_S6_EEENSH_IJSG_SG_EEES6_PlJNSB_9not_fun_tI7is_evenIfEEEEEE10hipError_tPvRmT3_T4_T5_T6_T7_T9_mT8_P12ihipStream_tbDpT10_ENKUlT_T0_E_clISt17integral_constantIbLb0EES18_EEDaS13_S14_EUlS13_E_NS1_11comp_targetILNS1_3genE10ELNS1_11target_archE1200ELNS1_3gpuE4ELNS1_3repE0EEENS1_30default_config_static_selectorELNS0_4arch9wavefront6targetE0EEEvT1_,"axG",@progbits,_ZN7rocprim17ROCPRIM_400000_NS6detail17trampoline_kernelINS0_14default_configENS1_25partition_config_selectorILNS1_17partition_subalgoE6EfNS0_10empty_typeEbEEZZNS1_14partition_implILS5_6ELb0ES3_mN6thrust23THRUST_200600_302600_NS6detail15normal_iteratorINSA_10device_ptrIfEEEEPS6_SG_NS0_5tupleIJSF_S6_EEENSH_IJSG_SG_EEES6_PlJNSB_9not_fun_tI7is_evenIfEEEEEE10hipError_tPvRmT3_T4_T5_T6_T7_T9_mT8_P12ihipStream_tbDpT10_ENKUlT_T0_E_clISt17integral_constantIbLb0EES18_EEDaS13_S14_EUlS13_E_NS1_11comp_targetILNS1_3genE10ELNS1_11target_archE1200ELNS1_3gpuE4ELNS1_3repE0EEENS1_30default_config_static_selectorELNS0_4arch9wavefront6targetE0EEEvT1_,comdat
	.protected	_ZN7rocprim17ROCPRIM_400000_NS6detail17trampoline_kernelINS0_14default_configENS1_25partition_config_selectorILNS1_17partition_subalgoE6EfNS0_10empty_typeEbEEZZNS1_14partition_implILS5_6ELb0ES3_mN6thrust23THRUST_200600_302600_NS6detail15normal_iteratorINSA_10device_ptrIfEEEEPS6_SG_NS0_5tupleIJSF_S6_EEENSH_IJSG_SG_EEES6_PlJNSB_9not_fun_tI7is_evenIfEEEEEE10hipError_tPvRmT3_T4_T5_T6_T7_T9_mT8_P12ihipStream_tbDpT10_ENKUlT_T0_E_clISt17integral_constantIbLb0EES18_EEDaS13_S14_EUlS13_E_NS1_11comp_targetILNS1_3genE10ELNS1_11target_archE1200ELNS1_3gpuE4ELNS1_3repE0EEENS1_30default_config_static_selectorELNS0_4arch9wavefront6targetE0EEEvT1_ ; -- Begin function _ZN7rocprim17ROCPRIM_400000_NS6detail17trampoline_kernelINS0_14default_configENS1_25partition_config_selectorILNS1_17partition_subalgoE6EfNS0_10empty_typeEbEEZZNS1_14partition_implILS5_6ELb0ES3_mN6thrust23THRUST_200600_302600_NS6detail15normal_iteratorINSA_10device_ptrIfEEEEPS6_SG_NS0_5tupleIJSF_S6_EEENSH_IJSG_SG_EEES6_PlJNSB_9not_fun_tI7is_evenIfEEEEEE10hipError_tPvRmT3_T4_T5_T6_T7_T9_mT8_P12ihipStream_tbDpT10_ENKUlT_T0_E_clISt17integral_constantIbLb0EES18_EEDaS13_S14_EUlS13_E_NS1_11comp_targetILNS1_3genE10ELNS1_11target_archE1200ELNS1_3gpuE4ELNS1_3repE0EEENS1_30default_config_static_selectorELNS0_4arch9wavefront6targetE0EEEvT1_
	.globl	_ZN7rocprim17ROCPRIM_400000_NS6detail17trampoline_kernelINS0_14default_configENS1_25partition_config_selectorILNS1_17partition_subalgoE6EfNS0_10empty_typeEbEEZZNS1_14partition_implILS5_6ELb0ES3_mN6thrust23THRUST_200600_302600_NS6detail15normal_iteratorINSA_10device_ptrIfEEEEPS6_SG_NS0_5tupleIJSF_S6_EEENSH_IJSG_SG_EEES6_PlJNSB_9not_fun_tI7is_evenIfEEEEEE10hipError_tPvRmT3_T4_T5_T6_T7_T9_mT8_P12ihipStream_tbDpT10_ENKUlT_T0_E_clISt17integral_constantIbLb0EES18_EEDaS13_S14_EUlS13_E_NS1_11comp_targetILNS1_3genE10ELNS1_11target_archE1200ELNS1_3gpuE4ELNS1_3repE0EEENS1_30default_config_static_selectorELNS0_4arch9wavefront6targetE0EEEvT1_
	.p2align	8
	.type	_ZN7rocprim17ROCPRIM_400000_NS6detail17trampoline_kernelINS0_14default_configENS1_25partition_config_selectorILNS1_17partition_subalgoE6EfNS0_10empty_typeEbEEZZNS1_14partition_implILS5_6ELb0ES3_mN6thrust23THRUST_200600_302600_NS6detail15normal_iteratorINSA_10device_ptrIfEEEEPS6_SG_NS0_5tupleIJSF_S6_EEENSH_IJSG_SG_EEES6_PlJNSB_9not_fun_tI7is_evenIfEEEEEE10hipError_tPvRmT3_T4_T5_T6_T7_T9_mT8_P12ihipStream_tbDpT10_ENKUlT_T0_E_clISt17integral_constantIbLb0EES18_EEDaS13_S14_EUlS13_E_NS1_11comp_targetILNS1_3genE10ELNS1_11target_archE1200ELNS1_3gpuE4ELNS1_3repE0EEENS1_30default_config_static_selectorELNS0_4arch9wavefront6targetE0EEEvT1_,@function
_ZN7rocprim17ROCPRIM_400000_NS6detail17trampoline_kernelINS0_14default_configENS1_25partition_config_selectorILNS1_17partition_subalgoE6EfNS0_10empty_typeEbEEZZNS1_14partition_implILS5_6ELb0ES3_mN6thrust23THRUST_200600_302600_NS6detail15normal_iteratorINSA_10device_ptrIfEEEEPS6_SG_NS0_5tupleIJSF_S6_EEENSH_IJSG_SG_EEES6_PlJNSB_9not_fun_tI7is_evenIfEEEEEE10hipError_tPvRmT3_T4_T5_T6_T7_T9_mT8_P12ihipStream_tbDpT10_ENKUlT_T0_E_clISt17integral_constantIbLb0EES18_EEDaS13_S14_EUlS13_E_NS1_11comp_targetILNS1_3genE10ELNS1_11target_archE1200ELNS1_3gpuE4ELNS1_3repE0EEENS1_30default_config_static_selectorELNS0_4arch9wavefront6targetE0EEEvT1_: ; @_ZN7rocprim17ROCPRIM_400000_NS6detail17trampoline_kernelINS0_14default_configENS1_25partition_config_selectorILNS1_17partition_subalgoE6EfNS0_10empty_typeEbEEZZNS1_14partition_implILS5_6ELb0ES3_mN6thrust23THRUST_200600_302600_NS6detail15normal_iteratorINSA_10device_ptrIfEEEEPS6_SG_NS0_5tupleIJSF_S6_EEENSH_IJSG_SG_EEES6_PlJNSB_9not_fun_tI7is_evenIfEEEEEE10hipError_tPvRmT3_T4_T5_T6_T7_T9_mT8_P12ihipStream_tbDpT10_ENKUlT_T0_E_clISt17integral_constantIbLb0EES18_EEDaS13_S14_EUlS13_E_NS1_11comp_targetILNS1_3genE10ELNS1_11target_archE1200ELNS1_3gpuE4ELNS1_3repE0EEENS1_30default_config_static_selectorELNS0_4arch9wavefront6targetE0EEEvT1_
; %bb.0:
	s_clause 0x3
	s_load_b128 s[12:15], s[0:1], 0x8
	s_load_b128 s[8:11], s[0:1], 0x40
	s_load_b32 s16, s[0:1], 0x68
	s_load_b64 s[2:3], s[0:1], 0x50
	s_mov_b32 s17, 0
	v_lshlrev_b32_e32 v8, 2, v0
	s_wait_kmcnt 0x0
	s_lshl_b64 s[4:5], s[14:15], 2
	s_load_b64 s[6:7], s[10:11], 0x0
	s_add_co_i32 s18, s16, -1
	s_mulk_i32 s16, 0xa80
	s_add_nc_u64 s[10:11], s[12:13], s[4:5]
	s_add_nc_u64 s[4:5], s[14:15], s[16:17]
	s_add_co_i32 s12, s16, s14
	v_cmp_le_u64_e64 s3, s[2:3], s[4:5]
	s_sub_co_i32 s4, s2, s12
	s_cmp_eq_u32 ttmp9, s18
	s_mul_i32 s16, ttmp9, 0xa80
	s_cselect_b32 s12, -1, 0
	s_mov_b32 s5, -1
	s_and_b32 s2, s12, s3
	s_wait_alu 0xfffe
	s_xor_b32 s13, s2, -1
	s_lshl_b64 s[2:3], s[16:17], 2
	s_and_b32 vcc_lo, exec_lo, s13
	s_wait_alu 0xfffe
	s_add_nc_u64 s[2:3], s[10:11], s[2:3]
	s_cbranch_vccz .LBB570_2
; %bb.1:
	s_wait_alu 0xfffe
	v_add_co_u32 v1, s5, s2, v8
	s_wait_alu 0xf1ff
	v_add_co_ci_u32_e64 v2, null, s3, 0, s5
	s_mov_b32 s5, 0
	s_clause 0x6
	flat_load_b32 v3, v[1:2]
	flat_load_b32 v4, v[1:2] offset:1536
	flat_load_b32 v5, v[1:2] offset:3072
	;; [unrolled: 1-line block ×6, first 2 shown]
	s_wait_loadcnt_dscnt 0x505
	ds_store_2addr_stride64_b32 v8, v3, v4 offset1:6
	s_wait_loadcnt_dscnt 0x304
	ds_store_2addr_stride64_b32 v8, v5, v6 offset0:12 offset1:18
	s_wait_loadcnt_dscnt 0x103
	ds_store_2addr_stride64_b32 v8, v7, v9 offset0:24 offset1:30
	s_wait_loadcnt_dscnt 0x3
	ds_store_b32 v8, v1 offset:9216
	s_wait_dscnt 0x0
	s_barrier_signal -1
	s_barrier_wait -1
.LBB570_2:
	s_wait_alu 0xfffe
	s_and_not1_b32 vcc_lo, exec_lo, s5
	s_addk_co_i32 s4, 0xa80
	s_cbranch_vccnz .LBB570_18
; %bb.3:
	v_mov_b32_e32 v1, 0
	s_mov_b32 s5, exec_lo
	s_delay_alu instid0(VALU_DEP_1)
	v_dual_mov_b32 v2, v1 :: v_dual_mov_b32 v3, v1
	v_dual_mov_b32 v4, v1 :: v_dual_mov_b32 v5, v1
	;; [unrolled: 1-line block ×3, first 2 shown]
	s_wait_alu 0xfffe
	v_cmpx_gt_u32_e64 s4, v0
	s_cbranch_execz .LBB570_5
; %bb.4:
	v_add_co_u32 v2, s10, s2, v8
	s_delay_alu instid0(VALU_DEP_1)
	v_add_co_ci_u32_e64 v3, null, s3, 0, s10
	v_dual_mov_b32 v10, v1 :: v_dual_mov_b32 v11, v1
	v_dual_mov_b32 v12, v1 :: v_dual_mov_b32 v13, v1
	flat_load_b32 v9, v[2:3]
	v_dual_mov_b32 v14, v1 :: v_dual_mov_b32 v15, v1
	s_wait_loadcnt_dscnt 0x0
	v_dual_mov_b32 v1, v9 :: v_dual_mov_b32 v2, v10
	v_dual_mov_b32 v3, v11 :: v_dual_mov_b32 v4, v12
	s_delay_alu instid0(VALU_DEP_3)
	v_dual_mov_b32 v5, v13 :: v_dual_mov_b32 v6, v14
	v_mov_b32_e32 v7, v15
.LBB570_5:
	s_or_b32 exec_lo, exec_lo, s5
	v_add_nc_u32_e32 v9, 0x180, v0
	s_mov_b32 s5, exec_lo
	s_delay_alu instid0(VALU_DEP_1)
	v_cmpx_gt_u32_e64 s4, v9
	s_cbranch_execz .LBB570_7
; %bb.6:
	v_add_co_u32 v9, s10, s2, v8
	s_wait_alu 0xf1ff
	v_add_co_ci_u32_e64 v10, null, s3, 0, s10
	flat_load_b32 v2, v[9:10] offset:1536
.LBB570_7:
	s_wait_alu 0xfffe
	s_or_b32 exec_lo, exec_lo, s5
	v_add_nc_u32_e32 v9, 0x300, v0
	s_mov_b32 s5, exec_lo
	s_delay_alu instid0(VALU_DEP_1)
	v_cmpx_gt_u32_e64 s4, v9
	s_cbranch_execz .LBB570_9
; %bb.8:
	v_add_co_u32 v9, s10, s2, v8
	s_wait_alu 0xf1ff
	v_add_co_ci_u32_e64 v10, null, s3, 0, s10
	flat_load_b32 v3, v[9:10] offset:3072
.LBB570_9:
	s_wait_alu 0xfffe
	;; [unrolled: 13-line block ×3, first 2 shown]
	s_or_b32 exec_lo, exec_lo, s5
	v_or_b32_e32 v9, 0x600, v0
	s_mov_b32 s5, exec_lo
	s_delay_alu instid0(VALU_DEP_1)
	v_cmpx_gt_u32_e64 s4, v9
	s_cbranch_execz .LBB570_13
; %bb.12:
	v_add_co_u32 v9, s10, s2, v8
	s_wait_alu 0xf1ff
	v_add_co_ci_u32_e64 v10, null, s3, 0, s10
	flat_load_b32 v5, v[9:10] offset:6144
.LBB570_13:
	s_wait_alu 0xfffe
	s_or_b32 exec_lo, exec_lo, s5
	v_add_nc_u32_e32 v9, 0x780, v0
	s_mov_b32 s5, exec_lo
	s_delay_alu instid0(VALU_DEP_1)
	v_cmpx_gt_u32_e64 s4, v9
	s_cbranch_execz .LBB570_15
; %bb.14:
	v_add_co_u32 v9, s10, s2, v8
	s_wait_alu 0xf1ff
	v_add_co_ci_u32_e64 v10, null, s3, 0, s10
	flat_load_b32 v6, v[9:10] offset:7680
.LBB570_15:
	s_wait_alu 0xfffe
	s_or_b32 exec_lo, exec_lo, s5
	v_add_nc_u32_e32 v9, 0x900, v0
	s_mov_b32 s5, exec_lo
	s_delay_alu instid0(VALU_DEP_1)
	v_cmpx_gt_u32_e64 s4, v9
	s_cbranch_execz .LBB570_17
; %bb.16:
	v_add_co_u32 v9, s2, s2, v8
	s_wait_alu 0xf1ff
	v_add_co_ci_u32_e64 v10, null, s3, 0, s2
	flat_load_b32 v7, v[9:10] offset:9216
.LBB570_17:
	s_wait_alu 0xfffe
	s_or_b32 exec_lo, exec_lo, s5
	s_wait_loadcnt_dscnt 0x0
	ds_store_2addr_stride64_b32 v8, v1, v2 offset1:6
	ds_store_2addr_stride64_b32 v8, v3, v4 offset0:12 offset1:18
	ds_store_2addr_stride64_b32 v8, v5, v6 offset0:24 offset1:30
	ds_store_b32 v8, v7 offset:9216
	s_wait_dscnt 0x0
	s_barrier_signal -1
	s_barrier_wait -1
.LBB570_18:
	v_mul_u32_u24_e32 v2, 7, v0
	global_inv scope:SCOPE_SE
	s_and_not1_b32 vcc_lo, exec_lo, s13
	v_lshlrev_b32_e32 v35, 2, v2
	ds_load_b32 v29, v35 offset:16
	ds_load_2addr_b32 v[9:10], v35 offset0:5 offset1:6
	ds_load_2addr_b32 v[13:14], v35 offset1:1
	ds_load_2addr_b32 v[11:12], v35 offset0:2 offset1:3
	s_wait_loadcnt_dscnt 0x0
	s_barrier_signal -1
	s_barrier_wait -1
	global_inv scope:SCOPE_SE
	v_cvt_u32_f32_e32 v1, v29
	v_cvt_u32_f32_e32 v3, v9
	;; [unrolled: 1-line block ×7, first 2 shown]
	s_cbranch_vccnz .LBB570_20
; %bb.19:
	v_and_b32_e32 v15, 1, v7
	s_delay_alu instid0(VALU_DEP_3)
	v_and_b32_e32 v16, 1, v8
	v_and_b32_e32 v17, 1, v5
	;; [unrolled: 1-line block ×4, first 2 shown]
	v_lshlrev_b16 v15, 8, v15
	v_lshlrev_b16 v16, 8, v16
	v_and_b32_e32 v31, 1, v3
	v_and_b32_e32 v30, 1, v4
	s_delay_alu instid0(VALU_DEP_4) | instskip(NEXT) | instid1(VALU_DEP_4)
	v_or_b32_e32 v15, v17, v15
	v_or_b32_e32 v16, v18, v16
	s_delay_alu instid0(VALU_DEP_2) | instskip(NEXT) | instid1(VALU_DEP_2)
	v_and_b32_e32 v15, 0xffff, v15
	v_lshlrev_b32_e32 v16, 16, v16
	s_delay_alu instid0(VALU_DEP_1)
	v_or_b32_e32 v34, v15, v16
	s_cbranch_execz .LBB570_21
	s_branch .LBB570_22
.LBB570_20:
                                        ; implicit-def: $vgpr30
                                        ; implicit-def: $vgpr31
                                        ; implicit-def: $vgpr32
                                        ; implicit-def: $vgpr34
.LBB570_21:
	v_add_nc_u32_e32 v15, 3, v2
	v_add_nc_u32_e32 v16, 1, v2
	;; [unrolled: 1-line block ×4, first 2 shown]
	s_wait_alu 0xfffe
	v_cmp_gt_u32_e32 vcc_lo, s4, v15
	v_cndmask_b32_e64 v15, 0, 1, vcc_lo
	v_cmp_gt_u32_e32 vcc_lo, s4, v16
	s_delay_alu instid0(VALU_DEP_2) | instskip(SKIP_3) | instid1(VALU_DEP_3)
	v_and_b32_e32 v8, v15, v8
	s_wait_alu 0xfffd
	v_cndmask_b32_e64 v16, 0, 1, vcc_lo
	v_cmp_gt_u32_e32 vcc_lo, s4, v2
	v_lshlrev_b16 v8, 8, v8
	s_delay_alu instid0(VALU_DEP_3)
	v_and_b32_e32 v7, v16, v7
	s_wait_alu 0xfffd
	v_cndmask_b32_e64 v15, 0, 1, vcc_lo
	v_cmp_gt_u32_e32 vcc_lo, s4, v17
	v_add_nc_u32_e32 v16, 5, v2
	v_lshrrev_b32_e32 v8, 8, v8
	v_lshlrev_b16 v7, 8, v7
	v_add_nc_u32_e32 v2, 6, v2
	s_wait_alu 0xfffd
	v_cndmask_b32_e64 v17, 0, 1, vcc_lo
	v_and_b32_e32 v5, v15, v5
	v_and_b32_e32 v8, 1, v8
	v_lshrrev_b32_e32 v7, 8, v7
	v_cmp_gt_u32_e32 vcc_lo, s4, v2
	v_and_b32_e32 v6, v17, v6
	v_and_b32_e32 v5, 1, v5
	v_lshlrev_b16 v8, 8, v8
	v_lshlrev_b16 v7, 8, v7
	s_wait_alu 0xfffd
	v_cndmask_b32_e64 v2, 0, 1, vcc_lo
	v_and_b32_e32 v6, 1, v6
	v_cmp_gt_u32_e32 vcc_lo, s4, v16
	s_delay_alu instid0(VALU_DEP_3)
	v_and_b32_e32 v30, v2, v4
	v_or_b32_e32 v2, v5, v7
	s_wait_alu 0xfffd
	v_cndmask_b32_e64 v15, 0, 1, vcc_lo
	v_or_b32_e32 v4, v6, v8
	v_cmp_gt_u32_e32 vcc_lo, s4, v18
	v_lshlrev_b16 v6, 8, v30
	v_and_b32_e32 v2, 0xffff, v2
	v_and_b32_e32 v3, v15, v3
	v_lshlrev_b32_e32 v4, 16, v4
	s_wait_alu 0xfffd
	v_cndmask_b32_e64 v5, 0, 1, vcc_lo
	s_delay_alu instid0(VALU_DEP_3) | instskip(NEXT) | instid1(VALU_DEP_3)
	v_or_b32_e32 v31, v3, v6
	v_or_b32_e32 v34, v2, v4
	s_delay_alu instid0(VALU_DEP_3)
	v_and_b32_e32 v32, v5, v1
.LBB570_22:
	s_delay_alu instid0(VALU_DEP_1)
	v_and_b32_e32 v40, 0xff, v34
	v_bfe_u32 v38, v34, 8, 8
	v_bfe_u32 v37, v34, 16, 8
	v_lshrrev_b32_e32 v33, 24, v34
	v_dual_mov_b32 v2, 0 :: v_dual_and_b32 v39, 0xff, v32
	s_load_b64 s[10:11], s[0:1], 0x60
	s_delay_alu instid0(VALU_DEP_3)
	v_add3_u32 v1, v38, v40, v37
	v_and_b32_e32 v36, 0xff, v31
	v_mbcnt_lo_u32_b32 v41, -1, 0
	v_and_b32_e32 v4, 0xff, v30
	s_cmp_lg_u32 ttmp9, 0
	v_add_co_u32 v1, s2, v1, v33
	s_wait_alu 0xf1ff
	v_add_co_ci_u32_e64 v3, null, 0, 0, s2
	v_and_b32_e32 v42, 15, v41
	s_delay_alu instid0(VALU_DEP_3) | instskip(SKIP_1) | instid1(VALU_DEP_3)
	v_add_co_u32 v1, vcc_lo, v1, v39
	s_wait_alu 0xfffd
	v_add_co_ci_u32_e64 v3, null, 0, v3, vcc_lo
	s_delay_alu instid0(VALU_DEP_3) | instskip(NEXT) | instid1(VALU_DEP_3)
	v_cmp_ne_u32_e64 s2, 0, v42
	v_add_co_u32 v1, vcc_lo, v1, v36
	s_wait_alu 0xfffd
	s_delay_alu instid0(VALU_DEP_3)
	v_add_co_ci_u32_e64 v3, null, 0, v3, vcc_lo
	s_mov_b32 s3, -1
	v_add_co_u32 v15, vcc_lo, v1, v4
	s_wait_alu 0xfffd
	v_add_co_ci_u32_e64 v16, null, 0, v3, vcc_lo
	s_cbranch_scc0 .LBB570_81
; %bb.23:
	v_mov_b32_e32 v3, v15
	v_mov_b32_dpp v1, v15 row_shr:1 row_mask:0xf bank_mask:0xf
	v_mov_b32_dpp v6, v2 row_shr:1 row_mask:0xf bank_mask:0xf
	v_dual_mov_b32 v5, v15 :: v_dual_mov_b32 v4, v16
	s_and_saveexec_b32 s3, s2
; %bb.24:
	s_delay_alu instid0(VALU_DEP_3) | instskip(SKIP_2) | instid1(VALU_DEP_2)
	v_add_co_u32 v5, vcc_lo, v15, v1
	s_wait_alu 0xfffd
	v_add_co_ci_u32_e64 v2, null, 0, v16, vcc_lo
	v_add_co_u32 v1, vcc_lo, 0, v5
	s_wait_alu 0xfffd
	s_delay_alu instid0(VALU_DEP_2) | instskip(NEXT) | instid1(VALU_DEP_1)
	v_add_co_ci_u32_e64 v2, null, v6, v2, vcc_lo
	v_dual_mov_b32 v4, v2 :: v_dual_mov_b32 v3, v1
; %bb.25:
	s_wait_alu 0xfffe
	s_or_b32 exec_lo, exec_lo, s3
	v_mov_b32_dpp v1, v5 row_shr:2 row_mask:0xf bank_mask:0xf
	v_mov_b32_dpp v6, v2 row_shr:2 row_mask:0xf bank_mask:0xf
	v_cmp_lt_u32_e32 vcc_lo, 1, v42
	s_and_saveexec_b32 s4, vcc_lo
; %bb.26:
	s_delay_alu instid0(VALU_DEP_3) | instskip(SKIP_2) | instid1(VALU_DEP_2)
	v_add_co_u32 v5, s3, v3, v1
	s_wait_alu 0xf1ff
	v_add_co_ci_u32_e64 v2, null, 0, v4, s3
	v_add_co_u32 v1, s3, 0, v5
	s_wait_alu 0xf1ff
	s_delay_alu instid0(VALU_DEP_2) | instskip(NEXT) | instid1(VALU_DEP_1)
	v_add_co_ci_u32_e64 v2, null, v6, v2, s3
	v_dual_mov_b32 v4, v2 :: v_dual_mov_b32 v3, v1
; %bb.27:
	s_wait_alu 0xfffe
	s_or_b32 exec_lo, exec_lo, s4
	v_mov_b32_dpp v1, v5 row_shr:4 row_mask:0xf bank_mask:0xf
	v_mov_b32_dpp v6, v2 row_shr:4 row_mask:0xf bank_mask:0xf
	v_cmp_lt_u32_e64 s3, 3, v42
	s_and_saveexec_b32 s5, s3
; %bb.28:
	v_add_co_u32 v5, s4, v3, v1
	s_wait_alu 0xf1ff
	v_add_co_ci_u32_e64 v2, null, 0, v4, s4
	s_delay_alu instid0(VALU_DEP_2) | instskip(SKIP_1) | instid1(VALU_DEP_2)
	v_add_co_u32 v1, s4, 0, v5
	s_wait_alu 0xf1ff
	v_add_co_ci_u32_e64 v2, null, v6, v2, s4
	s_delay_alu instid0(VALU_DEP_1)
	v_dual_mov_b32 v4, v2 :: v_dual_mov_b32 v3, v1
; %bb.29:
	s_wait_alu 0xfffe
	s_or_b32 exec_lo, exec_lo, s5
	v_mov_b32_dpp v6, v5 row_shr:8 row_mask:0xf bank_mask:0xf
	v_mov_b32_dpp v1, v2 row_shr:8 row_mask:0xf bank_mask:0xf
	v_cmp_lt_u32_e64 s4, 7, v42
	s_and_saveexec_b32 s14, s4
; %bb.30:
	v_add_co_u32 v5, s5, v3, v6
	s_wait_alu 0xf1ff
	v_add_co_ci_u32_e64 v2, null, 0, v4, s5
	s_delay_alu instid0(VALU_DEP_2) | instskip(SKIP_1) | instid1(VALU_DEP_2)
	v_add_co_u32 v3, s5, 0, v5
	s_wait_alu 0xf1ff
	v_add_co_ci_u32_e64 v4, null, v1, v2, s5
	s_delay_alu instid0(VALU_DEP_1)
	v_mov_b32_e32 v2, v4
; %bb.31:
	s_or_b32 exec_lo, exec_lo, s14
	ds_swizzle_b32 v1, v5 offset:swizzle(BROADCAST,32,15)
	ds_swizzle_b32 v6, v2 offset:swizzle(BROADCAST,32,15)
	v_and_b32_e32 v7, 16, v41
	s_mov_b32 s14, exec_lo
	s_delay_alu instid0(VALU_DEP_1)
	v_cmpx_ne_u32_e32 0, v7
	s_cbranch_execz .LBB570_33
; %bb.32:
	s_wait_dscnt 0x1
	v_add_co_u32 v5, s5, v3, v1
	s_wait_alu 0xf1ff
	v_add_co_ci_u32_e64 v2, null, 0, v4, s5
	s_delay_alu instid0(VALU_DEP_2) | instskip(SKIP_2) | instid1(VALU_DEP_2)
	v_add_co_u32 v1, s5, 0, v5
	s_wait_dscnt 0x0
	s_wait_alu 0xf1ff
	v_add_co_ci_u32_e64 v2, null, v6, v2, s5
	s_delay_alu instid0(VALU_DEP_1)
	v_dual_mov_b32 v4, v2 :: v_dual_mov_b32 v3, v1
.LBB570_33:
	s_or_b32 exec_lo, exec_lo, s14
	s_wait_dscnt 0x1
	v_and_b32_e32 v1, 0x1e0, v0
	s_mov_b32 s14, exec_lo
	s_delay_alu instid0(VALU_DEP_1) | instskip(SKIP_1) | instid1(VALU_DEP_1)
	v_min_u32_e32 v1, 0x160, v1
	s_wait_dscnt 0x0
	v_or_b32_e32 v6, 31, v1
	v_lshrrev_b32_e32 v1, 5, v0
	s_delay_alu instid0(VALU_DEP_2)
	v_cmpx_eq_u32_e64 v0, v6
; %bb.34:
	s_delay_alu instid0(VALU_DEP_2)
	v_lshlrev_b32_e32 v6, 3, v1
	ds_store_b64 v6, v[3:4]
; %bb.35:
	s_or_b32 exec_lo, exec_lo, s14
	s_delay_alu instid0(SALU_CYCLE_1)
	s_mov_b32 s14, exec_lo
	s_wait_loadcnt_dscnt 0x0
	s_barrier_signal -1
	s_barrier_wait -1
	global_inv scope:SCOPE_SE
	v_cmpx_gt_u32_e32 12, v0
	s_cbranch_execz .LBB570_45
; %bb.36:
	v_lshlrev_b32_e32 v6, 3, v0
	ds_load_b64 v[3:4], v6
	s_wait_dscnt 0x0
	v_mov_b32_dpp v17, v3 row_shr:1 row_mask:0xf bank_mask:0xf
	v_mov_b32_dpp v8, v4 row_shr:1 row_mask:0xf bank_mask:0xf
	v_mov_b32_e32 v7, v3
	s_and_saveexec_b32 s15, s2
; %bb.37:
	s_delay_alu instid0(VALU_DEP_3) | instskip(SKIP_2) | instid1(VALU_DEP_2)
	v_add_co_u32 v7, s5, v3, v17
	s_wait_alu 0xf1ff
	v_add_co_ci_u32_e64 v4, null, 0, v4, s5
	v_add_co_u32 v3, s5, 0, v7
	s_wait_alu 0xf1ff
	s_delay_alu instid0(VALU_DEP_2)
	v_add_co_ci_u32_e64 v4, null, v8, v4, s5
; %bb.38:
	s_or_b32 exec_lo, exec_lo, s15
	v_mov_b32_dpp v17, v7 row_shr:2 row_mask:0xf bank_mask:0xf
	s_delay_alu instid0(VALU_DEP_2)
	v_mov_b32_dpp v8, v4 row_shr:2 row_mask:0xf bank_mask:0xf
	s_and_saveexec_b32 s5, vcc_lo
; %bb.39:
	s_delay_alu instid0(VALU_DEP_2) | instskip(SKIP_2) | instid1(VALU_DEP_2)
	v_add_co_u32 v7, vcc_lo, v3, v17
	s_wait_alu 0xfffd
	v_add_co_ci_u32_e64 v4, null, 0, v4, vcc_lo
	v_add_co_u32 v3, vcc_lo, 0, v7
	s_wait_alu 0xfffd
	s_delay_alu instid0(VALU_DEP_2)
	v_add_co_ci_u32_e64 v4, null, v8, v4, vcc_lo
; %bb.40:
	s_wait_alu 0xfffe
	s_or_b32 exec_lo, exec_lo, s5
	v_mov_b32_dpp v17, v7 row_shr:4 row_mask:0xf bank_mask:0xf
	s_delay_alu instid0(VALU_DEP_2)
	v_mov_b32_dpp v8, v4 row_shr:4 row_mask:0xf bank_mask:0xf
	s_and_saveexec_b32 s5, s3
; %bb.41:
	s_delay_alu instid0(VALU_DEP_2) | instskip(SKIP_2) | instid1(VALU_DEP_2)
	v_add_co_u32 v7, vcc_lo, v3, v17
	s_wait_alu 0xfffd
	v_add_co_ci_u32_e64 v4, null, 0, v4, vcc_lo
	v_add_co_u32 v3, vcc_lo, 0, v7
	s_wait_alu 0xfffd
	s_delay_alu instid0(VALU_DEP_2)
	v_add_co_ci_u32_e64 v4, null, v8, v4, vcc_lo
; %bb.42:
	s_wait_alu 0xfffe
	s_or_b32 exec_lo, exec_lo, s5
	v_mov_b32_dpp v8, v7 row_shr:8 row_mask:0xf bank_mask:0xf
	s_delay_alu instid0(VALU_DEP_2)
	v_mov_b32_dpp v7, v4 row_shr:8 row_mask:0xf bank_mask:0xf
	s_and_saveexec_b32 s3, s4
; %bb.43:
	s_delay_alu instid0(VALU_DEP_2) | instskip(SKIP_2) | instid1(VALU_DEP_2)
	v_add_co_u32 v3, vcc_lo, v3, v8
	s_wait_alu 0xfffd
	v_add_co_ci_u32_e64 v4, null, 0, v4, vcc_lo
	v_add_co_u32 v3, vcc_lo, v3, 0
	s_wait_alu 0xfffd
	s_delay_alu instid0(VALU_DEP_2)
	v_add_co_ci_u32_e64 v4, null, v4, v7, vcc_lo
; %bb.44:
	s_wait_alu 0xfffe
	s_or_b32 exec_lo, exec_lo, s3
	ds_store_b64 v6, v[3:4]
.LBB570_45:
	s_or_b32 exec_lo, exec_lo, s14
	s_delay_alu instid0(SALU_CYCLE_1)
	s_mov_b32 s4, exec_lo
	v_cmp_gt_u32_e32 vcc_lo, 32, v0
	s_wait_loadcnt_dscnt 0x0
	s_barrier_signal -1
	s_barrier_wait -1
	global_inv scope:SCOPE_SE
                                        ; implicit-def: $vgpr17_vgpr18
	v_cmpx_lt_u32_e32 31, v0
	s_cbranch_execz .LBB570_47
; %bb.46:
	v_lshl_add_u32 v1, v1, 3, -8
	ds_load_b64 v[17:18], v1
	s_wait_dscnt 0x0
	v_add_co_u32 v5, s3, v5, v17
	s_wait_alu 0xf1ff
	v_add_co_ci_u32_e64 v2, null, v2, v18, s3
.LBB570_47:
	s_wait_alu 0xfffe
	s_or_b32 exec_lo, exec_lo, s4
	v_sub_co_u32 v1, s3, v41, 1
	s_delay_alu instid0(VALU_DEP_1) | instskip(SKIP_1) | instid1(VALU_DEP_1)
	v_cmp_gt_i32_e64 s4, 0, v1
	s_wait_alu 0xf1ff
	v_cndmask_b32_e64 v1, v1, v41, s4
	s_delay_alu instid0(VALU_DEP_1)
	v_lshlrev_b32_e32 v1, 2, v1
	ds_bpermute_b32 v23, v1, v5
	ds_bpermute_b32 v24, v1, v2
	s_and_saveexec_b32 s4, vcc_lo
	s_cbranch_execz .LBB570_86
; %bb.48:
	v_mov_b32_e32 v4, 0
	ds_load_b64 v[1:2], v4 offset:88
	s_and_saveexec_b32 s5, s3
	s_cbranch_execz .LBB570_50
; %bb.49:
	s_add_co_i32 s14, ttmp9, 32
	s_mov_b32 s15, 0
	s_delay_alu instid0(SALU_CYCLE_1)
	s_lshl_b64 s[14:15], s[14:15], 4
	s_wait_kmcnt 0x0
	s_add_nc_u64 s[14:15], s[10:11], s[14:15]
	v_mov_b32_e32 v3, 1
	v_dual_mov_b32 v5, s14 :: v_dual_mov_b32 v6, s15
	s_wait_dscnt 0x0
	;;#ASMSTART
	global_store_b128 v[5:6], v[1:4] off scope:SCOPE_DEV	
s_wait_storecnt 0x0
	;;#ASMEND
.LBB570_50:
	s_wait_alu 0xfffe
	s_or_b32 exec_lo, exec_lo, s5
	v_xad_u32 v19, v41, -1, ttmp9
	s_mov_b32 s14, 0
	s_mov_b32 s5, exec_lo
	s_delay_alu instid0(VALU_DEP_1) | instskip(NEXT) | instid1(VALU_DEP_1)
	v_add_nc_u32_e32 v3, 32, v19
	v_lshlrev_b64_e32 v[3:4], 4, v[3:4]
	s_wait_kmcnt 0x0
	s_delay_alu instid0(VALU_DEP_1) | instskip(SKIP_1) | instid1(VALU_DEP_2)
	v_add_co_u32 v3, vcc_lo, s10, v3
	s_wait_alu 0xfffd
	v_add_co_ci_u32_e64 v4, null, s11, v4, vcc_lo
	;;#ASMSTART
	global_load_b128 v[5:8], v[3:4] off scope:SCOPE_DEV	
s_wait_loadcnt 0x0
	;;#ASMEND
	v_and_b32_e32 v8, 0xff, v7
	s_delay_alu instid0(VALU_DEP_1)
	v_cmpx_eq_u16_e32 0, v8
	s_cbranch_execz .LBB570_53
.LBB570_51:                             ; =>This Inner Loop Header: Depth=1
	;;#ASMSTART
	global_load_b128 v[5:8], v[3:4] off scope:SCOPE_DEV	
s_wait_loadcnt 0x0
	;;#ASMEND
	v_and_b32_e32 v8, 0xff, v7
	s_delay_alu instid0(VALU_DEP_1)
	v_cmp_ne_u16_e32 vcc_lo, 0, v8
	s_wait_alu 0xfffe
	s_or_b32 s14, vcc_lo, s14
	s_wait_alu 0xfffe
	s_and_not1_b32 exec_lo, exec_lo, s14
	s_cbranch_execnz .LBB570_51
; %bb.52:
	s_or_b32 exec_lo, exec_lo, s14
.LBB570_53:
	s_wait_alu 0xfffe
	s_or_b32 exec_lo, exec_lo, s5
	v_cmp_ne_u32_e32 vcc_lo, 31, v41
	v_and_b32_e32 v4, 0xff, v7
	v_lshlrev_b32_e64 v26, v41, -1
	s_mov_b32 s5, exec_lo
	s_wait_alu 0xfffd
	v_add_co_ci_u32_e64 v3, null, 0, v41, vcc_lo
	v_cmp_eq_u16_e32 vcc_lo, 2, v4
	s_delay_alu instid0(VALU_DEP_2)
	v_dual_mov_b32 v4, v5 :: v_dual_lshlrev_b32 v25, 2, v3
	s_wait_alu 0xfffd
	v_and_or_b32 v3, vcc_lo, v26, 0x80000000
	ds_bpermute_b32 v20, v25, v5
	ds_bpermute_b32 v8, v25, v6
	v_ctz_i32_b32_e32 v3, v3
	s_delay_alu instid0(VALU_DEP_1)
	v_cmpx_lt_u32_e64 v41, v3
	s_cbranch_execz .LBB570_55
; %bb.54:
	s_wait_dscnt 0x1
	v_add_co_u32 v4, vcc_lo, v5, v20
	s_wait_alu 0xfffd
	v_add_co_ci_u32_e64 v6, null, 0, v6, vcc_lo
	s_delay_alu instid0(VALU_DEP_2) | instskip(SKIP_2) | instid1(VALU_DEP_2)
	v_add_co_u32 v5, vcc_lo, 0, v4
	s_wait_dscnt 0x0
	s_wait_alu 0xfffd
	v_add_co_ci_u32_e64 v6, null, v8, v6, vcc_lo
.LBB570_55:
	s_wait_alu 0xfffe
	s_or_b32 exec_lo, exec_lo, s5
	v_cmp_gt_u32_e32 vcc_lo, 30, v41
	v_add_nc_u32_e32 v28, 2, v41
	s_mov_b32 s5, exec_lo
	s_wait_dscnt 0x0
	s_wait_alu 0xfffd
	v_cndmask_b32_e64 v8, 0, 2, vcc_lo
	s_delay_alu instid0(VALU_DEP_1)
	v_add_lshl_u32 v27, v8, v41, 2
	ds_bpermute_b32 v20, v27, v4
	ds_bpermute_b32 v8, v27, v6
	v_cmpx_le_u32_e64 v28, v3
	s_cbranch_execz .LBB570_57
; %bb.56:
	s_wait_dscnt 0x1
	v_add_co_u32 v4, vcc_lo, v5, v20
	s_wait_alu 0xfffd
	v_add_co_ci_u32_e64 v6, null, 0, v6, vcc_lo
	s_delay_alu instid0(VALU_DEP_2) | instskip(SKIP_2) | instid1(VALU_DEP_2)
	v_add_co_u32 v5, vcc_lo, 0, v4
	s_wait_dscnt 0x0
	s_wait_alu 0xfffd
	v_add_co_ci_u32_e64 v6, null, v8, v6, vcc_lo
.LBB570_57:
	s_wait_alu 0xfffe
	s_or_b32 exec_lo, exec_lo, s5
	v_cmp_gt_u32_e32 vcc_lo, 28, v41
	v_add_nc_u32_e32 v44, 4, v41
	s_mov_b32 s5, exec_lo
	s_wait_dscnt 0x0
	s_wait_alu 0xfffd
	v_cndmask_b32_e64 v8, 0, 4, vcc_lo
	s_delay_alu instid0(VALU_DEP_1)
	v_add_lshl_u32 v43, v8, v41, 2
	ds_bpermute_b32 v20, v43, v4
	ds_bpermute_b32 v8, v43, v6
	v_cmpx_le_u32_e64 v44, v3
	s_cbranch_execz .LBB570_59
; %bb.58:
	s_wait_dscnt 0x1
	v_add_co_u32 v4, vcc_lo, v5, v20
	s_wait_alu 0xfffd
	v_add_co_ci_u32_e64 v6, null, 0, v6, vcc_lo
	s_delay_alu instid0(VALU_DEP_2) | instskip(SKIP_2) | instid1(VALU_DEP_2)
	v_add_co_u32 v5, vcc_lo, 0, v4
	s_wait_dscnt 0x0
	s_wait_alu 0xfffd
	v_add_co_ci_u32_e64 v6, null, v8, v6, vcc_lo
.LBB570_59:
	s_wait_alu 0xfffe
	s_or_b32 exec_lo, exec_lo, s5
	v_cmp_gt_u32_e32 vcc_lo, 24, v41
	v_add_nc_u32_e32 v46, 8, v41
	s_mov_b32 s5, exec_lo
	s_wait_dscnt 0x0
	s_wait_alu 0xfffd
	v_cndmask_b32_e64 v8, 0, 8, vcc_lo
	s_delay_alu instid0(VALU_DEP_1)
	v_add_lshl_u32 v45, v8, v41, 2
	ds_bpermute_b32 v20, v45, v4
	ds_bpermute_b32 v8, v45, v6
	v_cmpx_le_u32_e64 v46, v3
	s_cbranch_execz .LBB570_61
; %bb.60:
	s_wait_dscnt 0x1
	v_add_co_u32 v4, vcc_lo, v5, v20
	s_wait_alu 0xfffd
	v_add_co_ci_u32_e64 v6, null, 0, v6, vcc_lo
	s_delay_alu instid0(VALU_DEP_2) | instskip(SKIP_2) | instid1(VALU_DEP_2)
	v_add_co_u32 v5, vcc_lo, 0, v4
	s_wait_dscnt 0x0
	s_wait_alu 0xfffd
	v_add_co_ci_u32_e64 v6, null, v8, v6, vcc_lo
.LBB570_61:
	s_wait_alu 0xfffe
	s_or_b32 exec_lo, exec_lo, s5
	v_lshl_or_b32 v47, v41, 2, 64
	v_add_nc_u32_e32 v48, 16, v41
	s_mov_b32 s5, exec_lo
	s_wait_dscnt 0x0
	ds_bpermute_b32 v8, v47, v4
	ds_bpermute_b32 v4, v47, v6
	v_cmpx_le_u32_e64 v48, v3
	s_cbranch_execz .LBB570_63
; %bb.62:
	s_wait_dscnt 0x1
	v_add_co_u32 v3, vcc_lo, v5, v8
	s_wait_alu 0xfffd
	v_add_co_ci_u32_e64 v6, null, 0, v6, vcc_lo
	s_delay_alu instid0(VALU_DEP_2) | instskip(SKIP_2) | instid1(VALU_DEP_2)
	v_add_co_u32 v5, vcc_lo, v3, 0
	s_wait_dscnt 0x0
	s_wait_alu 0xfffd
	v_add_co_ci_u32_e64 v6, null, v6, v4, vcc_lo
.LBB570_63:
	s_wait_alu 0xfffe
	s_or_b32 exec_lo, exec_lo, s5
	v_mov_b32_e32 v20, 0
	s_branch .LBB570_66
.LBB570_64:                             ;   in Loop: Header=BB570_66 Depth=1
	s_wait_alu 0xfffe
	s_or_b32 exec_lo, exec_lo, s5
	v_add_co_u32 v5, vcc_lo, v5, v3
	v_subrev_nc_u32_e32 v19, 32, v19
	s_wait_alu 0xfffd
	v_add_co_ci_u32_e64 v6, null, v6, v4, vcc_lo
	s_mov_b32 s5, 0
.LBB570_65:                             ;   in Loop: Header=BB570_66 Depth=1
	s_wait_alu 0xfffe
	s_and_b32 vcc_lo, exec_lo, s5
	s_wait_alu 0xfffe
	s_cbranch_vccnz .LBB570_82
.LBB570_66:                             ; =>This Loop Header: Depth=1
                                        ;     Child Loop BB570_69 Depth 2
	v_and_b32_e32 v3, 0xff, v7
	s_mov_b32 s5, -1
	s_delay_alu instid0(VALU_DEP_1)
	v_cmp_ne_u16_e32 vcc_lo, 2, v3
	s_wait_dscnt 0x0
	v_dual_mov_b32 v3, v5 :: v_dual_mov_b32 v4, v6
                                        ; implicit-def: $vgpr5_vgpr6
	s_cmp_lg_u32 vcc_lo, exec_lo
	s_cbranch_scc1 .LBB570_65
; %bb.67:                               ;   in Loop: Header=BB570_66 Depth=1
	v_lshlrev_b64_e32 v[5:6], 4, v[19:20]
	s_mov_b32 s5, exec_lo
	s_delay_alu instid0(VALU_DEP_1) | instskip(SKIP_1) | instid1(VALU_DEP_2)
	v_add_co_u32 v21, vcc_lo, s10, v5
	s_wait_alu 0xfffd
	v_add_co_ci_u32_e64 v22, null, s11, v6, vcc_lo
	;;#ASMSTART
	global_load_b128 v[5:8], v[21:22] off scope:SCOPE_DEV	
s_wait_loadcnt 0x0
	;;#ASMEND
	v_and_b32_e32 v8, 0xff, v7
	s_delay_alu instid0(VALU_DEP_1)
	v_cmpx_eq_u16_e32 0, v8
	s_cbranch_execz .LBB570_71
; %bb.68:                               ;   in Loop: Header=BB570_66 Depth=1
	s_mov_b32 s14, 0
.LBB570_69:                             ;   Parent Loop BB570_66 Depth=1
                                        ; =>  This Inner Loop Header: Depth=2
	;;#ASMSTART
	global_load_b128 v[5:8], v[21:22] off scope:SCOPE_DEV	
s_wait_loadcnt 0x0
	;;#ASMEND
	v_and_b32_e32 v8, 0xff, v7
	s_delay_alu instid0(VALU_DEP_1)
	v_cmp_ne_u16_e32 vcc_lo, 0, v8
	s_wait_alu 0xfffe
	s_or_b32 s14, vcc_lo, s14
	s_wait_alu 0xfffe
	s_and_not1_b32 exec_lo, exec_lo, s14
	s_cbranch_execnz .LBB570_69
; %bb.70:                               ;   in Loop: Header=BB570_66 Depth=1
	s_or_b32 exec_lo, exec_lo, s14
.LBB570_71:                             ;   in Loop: Header=BB570_66 Depth=1
	s_wait_alu 0xfffe
	s_or_b32 exec_lo, exec_lo, s5
	v_dual_mov_b32 v21, v5 :: v_dual_and_b32 v8, 0xff, v7
	ds_bpermute_b32 v49, v25, v5
	ds_bpermute_b32 v22, v25, v6
	s_mov_b32 s5, exec_lo
	v_cmp_eq_u16_e32 vcc_lo, 2, v8
	s_wait_alu 0xfffd
	v_and_or_b32 v8, vcc_lo, v26, 0x80000000
	s_delay_alu instid0(VALU_DEP_1) | instskip(NEXT) | instid1(VALU_DEP_1)
	v_ctz_i32_b32_e32 v8, v8
	v_cmpx_lt_u32_e64 v41, v8
	s_cbranch_execz .LBB570_73
; %bb.72:                               ;   in Loop: Header=BB570_66 Depth=1
	s_wait_dscnt 0x1
	v_add_co_u32 v21, vcc_lo, v5, v49
	s_wait_alu 0xfffd
	v_add_co_ci_u32_e64 v6, null, 0, v6, vcc_lo
	s_delay_alu instid0(VALU_DEP_2) | instskip(SKIP_2) | instid1(VALU_DEP_2)
	v_add_co_u32 v5, vcc_lo, 0, v21
	s_wait_dscnt 0x0
	s_wait_alu 0xfffd
	v_add_co_ci_u32_e64 v6, null, v22, v6, vcc_lo
.LBB570_73:                             ;   in Loop: Header=BB570_66 Depth=1
	s_wait_alu 0xfffe
	s_or_b32 exec_lo, exec_lo, s5
	s_wait_dscnt 0x1
	ds_bpermute_b32 v49, v27, v21
	s_wait_dscnt 0x1
	ds_bpermute_b32 v22, v27, v6
	s_mov_b32 s5, exec_lo
	v_cmpx_le_u32_e64 v28, v8
	s_cbranch_execz .LBB570_75
; %bb.74:                               ;   in Loop: Header=BB570_66 Depth=1
	s_wait_dscnt 0x1
	v_add_co_u32 v21, vcc_lo, v5, v49
	s_wait_alu 0xfffd
	v_add_co_ci_u32_e64 v6, null, 0, v6, vcc_lo
	s_delay_alu instid0(VALU_DEP_2) | instskip(SKIP_2) | instid1(VALU_DEP_2)
	v_add_co_u32 v5, vcc_lo, 0, v21
	s_wait_dscnt 0x0
	s_wait_alu 0xfffd
	v_add_co_ci_u32_e64 v6, null, v22, v6, vcc_lo
.LBB570_75:                             ;   in Loop: Header=BB570_66 Depth=1
	s_wait_alu 0xfffe
	s_or_b32 exec_lo, exec_lo, s5
	s_wait_dscnt 0x1
	ds_bpermute_b32 v49, v43, v21
	s_wait_dscnt 0x1
	ds_bpermute_b32 v22, v43, v6
	s_mov_b32 s5, exec_lo
	v_cmpx_le_u32_e64 v44, v8
	;; [unrolled: 20-line block ×3, first 2 shown]
	s_cbranch_execz .LBB570_79
; %bb.78:                               ;   in Loop: Header=BB570_66 Depth=1
	s_wait_dscnt 0x1
	v_add_co_u32 v21, vcc_lo, v5, v49
	s_wait_alu 0xfffd
	v_add_co_ci_u32_e64 v6, null, 0, v6, vcc_lo
	s_delay_alu instid0(VALU_DEP_2) | instskip(SKIP_2) | instid1(VALU_DEP_2)
	v_add_co_u32 v5, vcc_lo, 0, v21
	s_wait_dscnt 0x0
	s_wait_alu 0xfffd
	v_add_co_ci_u32_e64 v6, null, v22, v6, vcc_lo
.LBB570_79:                             ;   in Loop: Header=BB570_66 Depth=1
	s_wait_alu 0xfffe
	s_or_b32 exec_lo, exec_lo, s5
	s_wait_dscnt 0x0
	ds_bpermute_b32 v22, v47, v21
	ds_bpermute_b32 v21, v47, v6
	s_mov_b32 s5, exec_lo
	v_cmpx_le_u32_e64 v48, v8
	s_cbranch_execz .LBB570_64
; %bb.80:                               ;   in Loop: Header=BB570_66 Depth=1
	s_wait_dscnt 0x1
	v_add_co_u32 v5, vcc_lo, v5, v22
	s_wait_alu 0xfffd
	v_add_co_ci_u32_e64 v6, null, 0, v6, vcc_lo
	s_delay_alu instid0(VALU_DEP_2) | instskip(SKIP_2) | instid1(VALU_DEP_2)
	v_add_co_u32 v5, vcc_lo, v5, 0
	s_wait_dscnt 0x0
	s_wait_alu 0xfffd
	v_add_co_ci_u32_e64 v6, null, v6, v21, vcc_lo
	s_branch .LBB570_64
.LBB570_81:
                                        ; implicit-def: $vgpr17_vgpr18
                                        ; implicit-def: $vgpr6_vgpr7
                                        ; implicit-def: $vgpr19_vgpr20
                                        ; implicit-def: $vgpr21_vgpr22
                                        ; implicit-def: $vgpr23_vgpr24
                                        ; implicit-def: $vgpr25_vgpr26
                                        ; implicit-def: $vgpr27_vgpr28
                                        ; implicit-def: $vgpr4_vgpr5
	s_load_b64 s[4:5], s[0:1], 0x28
	s_and_b32 vcc_lo, exec_lo, s3
	s_wait_alu 0xfffe
	s_cbranch_vccnz .LBB570_87
	s_branch .LBB570_114
.LBB570_82:
	s_and_saveexec_b32 s5, s3
	s_cbranch_execz .LBB570_84
; %bb.83:
	s_add_co_i32 s14, ttmp9, 32
	s_mov_b32 s15, 0
	v_add_co_u32 v5, vcc_lo, v3, v1
	s_wait_alu 0xfffe
	s_lshl_b64 s[14:15], s[14:15], 4
	v_dual_mov_b32 v7, 2 :: v_dual_mov_b32 v8, 0
	s_wait_alu 0xfffe
	s_add_nc_u64 s[14:15], s[10:11], s[14:15]
	s_wait_alu 0xfffd
	v_add_co_ci_u32_e64 v6, null, v4, v2, vcc_lo
	s_wait_alu 0xfffe
	v_dual_mov_b32 v20, s15 :: v_dual_mov_b32 v19, s14
	;;#ASMSTART
	global_store_b128 v[19:20], v[5:8] off scope:SCOPE_DEV	
s_wait_storecnt 0x0
	;;#ASMEND
	ds_store_b128 v8, v[1:4] offset:10752
.LBB570_84:
	s_wait_alu 0xfffe
	s_or_b32 exec_lo, exec_lo, s5
	v_cmp_eq_u32_e32 vcc_lo, 0, v0
	s_and_b32 exec_lo, exec_lo, vcc_lo
; %bb.85:
	v_mov_b32_e32 v1, 0
	ds_store_b64 v1, v[3:4] offset:88
.LBB570_86:
	s_wait_alu 0xfffe
	s_or_b32 exec_lo, exec_lo, s4
	s_wait_dscnt 0x1
	v_cndmask_b32_e64 v4, v23, v17, s3
	v_cmp_ne_u32_e32 vcc_lo, 0, v0
	v_mov_b32_e32 v3, 0
	s_wait_loadcnt_dscnt 0x0
	s_barrier_signal -1
	s_barrier_wait -1
	global_inv scope:SCOPE_SE
	s_wait_alu 0xfffd
	v_cndmask_b32_e32 v4, 0, v4, vcc_lo
	ds_load_b64 v[1:2], v3 offset:88
	v_cndmask_b32_e64 v5, v24, v18, s3
	s_wait_loadcnt_dscnt 0x0
	s_barrier_signal -1
	s_barrier_wait -1
	global_inv scope:SCOPE_SE
	v_cndmask_b32_e32 v5, 0, v5, vcc_lo
	v_add_co_u32 v27, vcc_lo, v1, v4
	s_wait_alu 0xfffd
	s_delay_alu instid0(VALU_DEP_2) | instskip(SKIP_4) | instid1(VALU_DEP_2)
	v_add_co_ci_u32_e64 v28, null, v2, v5, vcc_lo
	ds_load_b128 v[2:5], v3 offset:10752
	v_add_co_u32 v25, vcc_lo, v27, v40
	s_wait_alu 0xfffd
	v_add_co_ci_u32_e64 v26, null, 0, v28, vcc_lo
	v_add_co_u32 v23, vcc_lo, v25, v38
	s_wait_alu 0xfffd
	s_delay_alu instid0(VALU_DEP_2) | instskip(NEXT) | instid1(VALU_DEP_2)
	v_add_co_ci_u32_e64 v24, null, 0, v26, vcc_lo
	v_add_co_u32 v21, vcc_lo, v23, v37
	s_wait_alu 0xfffd
	s_delay_alu instid0(VALU_DEP_2) | instskip(NEXT) | instid1(VALU_DEP_2)
	;; [unrolled: 4-line block ×4, first 2 shown]
	v_add_co_ci_u32_e64 v7, null, 0, v20, vcc_lo
	v_add_co_u32 v17, vcc_lo, v6, v36
	s_wait_alu 0xfffd
	s_delay_alu instid0(VALU_DEP_2)
	v_add_co_ci_u32_e64 v18, null, 0, v7, vcc_lo
	s_load_b64 s[4:5], s[0:1], 0x28
	s_branch .LBB570_114
.LBB570_87:
	s_wait_dscnt 0x0
	v_dual_mov_b32 v2, 0 :: v_dual_mov_b32 v3, v15
	v_mov_b32_dpp v4, v15 row_shr:1 row_mask:0xf bank_mask:0xf
	s_delay_alu instid0(VALU_DEP_2)
	v_mov_b32_dpp v1, v2 row_shr:1 row_mask:0xf bank_mask:0xf
	s_and_saveexec_b32 s0, s2
; %bb.88:
	s_delay_alu instid0(VALU_DEP_2) | instskip(SKIP_2) | instid1(VALU_DEP_2)
	v_add_co_u32 v3, vcc_lo, v15, v4
	s_wait_alu 0xfffd
	v_add_co_ci_u32_e64 v2, null, 0, v16, vcc_lo
	v_add_co_u32 v15, vcc_lo, 0, v3
	s_wait_alu 0xfffd
	s_delay_alu instid0(VALU_DEP_2) | instskip(NEXT) | instid1(VALU_DEP_1)
	v_add_co_ci_u32_e64 v16, null, v1, v2, vcc_lo
	v_mov_b32_e32 v2, v16
; %bb.89:
	s_or_b32 exec_lo, exec_lo, s0
	v_mov_b32_dpp v1, v3 row_shr:2 row_mask:0xf bank_mask:0xf
	s_delay_alu instid0(VALU_DEP_2)
	v_mov_b32_dpp v4, v2 row_shr:2 row_mask:0xf bank_mask:0xf
	v_cmp_lt_u32_e32 vcc_lo, 1, v42
	s_and_saveexec_b32 s1, vcc_lo
; %bb.90:
	s_delay_alu instid0(VALU_DEP_3) | instskip(NEXT) | instid1(VALU_DEP_1)
	v_add_co_u32 v3, s0, v15, v1
	v_add_co_ci_u32_e64 v2, null, 0, v16, s0
	s_delay_alu instid0(VALU_DEP_2) | instskip(SKIP_1) | instid1(VALU_DEP_2)
	v_add_co_u32 v1, s0, 0, v3
	s_wait_alu 0xf1ff
	v_add_co_ci_u32_e64 v2, null, v4, v2, s0
	s_delay_alu instid0(VALU_DEP_1)
	v_dual_mov_b32 v16, v2 :: v_dual_mov_b32 v15, v1
; %bb.91:
	s_or_b32 exec_lo, exec_lo, s1
	v_mov_b32_dpp v1, v3 row_shr:4 row_mask:0xf bank_mask:0xf
	v_mov_b32_dpp v4, v2 row_shr:4 row_mask:0xf bank_mask:0xf
	v_cmp_lt_u32_e64 s0, 3, v42
	s_and_saveexec_b32 s3, s0
; %bb.92:
	v_add_co_u32 v3, s1, v15, v1
	s_wait_alu 0xf1ff
	v_add_co_ci_u32_e64 v2, null, 0, v16, s1
	s_delay_alu instid0(VALU_DEP_2) | instskip(SKIP_1) | instid1(VALU_DEP_2)
	v_add_co_u32 v1, s1, 0, v3
	s_wait_alu 0xf1ff
	v_add_co_ci_u32_e64 v2, null, v4, v2, s1
	s_delay_alu instid0(VALU_DEP_1)
	v_dual_mov_b32 v16, v2 :: v_dual_mov_b32 v15, v1
; %bb.93:
	s_wait_alu 0xfffe
	s_or_b32 exec_lo, exec_lo, s3
	v_mov_b32_dpp v4, v3 row_shr:8 row_mask:0xf bank_mask:0xf
	v_mov_b32_dpp v1, v2 row_shr:8 row_mask:0xf bank_mask:0xf
	v_cmp_lt_u32_e64 s1, 7, v42
	s_and_saveexec_b32 s14, s1
; %bb.94:
	v_add_co_u32 v3, s3, v15, v4
	s_wait_alu 0xf1ff
	v_add_co_ci_u32_e64 v2, null, 0, v16, s3
	s_delay_alu instid0(VALU_DEP_2) | instskip(SKIP_1) | instid1(VALU_DEP_2)
	v_add_co_u32 v15, s3, 0, v3
	s_wait_alu 0xf1ff
	v_add_co_ci_u32_e64 v16, null, v1, v2, s3
	s_delay_alu instid0(VALU_DEP_1)
	v_mov_b32_e32 v2, v16
; %bb.95:
	s_or_b32 exec_lo, exec_lo, s14
	ds_swizzle_b32 v3, v3 offset:swizzle(BROADCAST,32,15)
	ds_swizzle_b32 v1, v2 offset:swizzle(BROADCAST,32,15)
	v_and_b32_e32 v2, 16, v41
	s_mov_b32 s14, exec_lo
	s_delay_alu instid0(VALU_DEP_1)
	v_cmpx_ne_u32_e32 0, v2
	s_cbranch_execz .LBB570_97
; %bb.96:
	s_wait_dscnt 0x1
	v_add_co_u32 v2, s3, v15, v3
	s_wait_alu 0xf1ff
	v_add_co_ci_u32_e64 v3, null, 0, v16, s3
	s_delay_alu instid0(VALU_DEP_2) | instskip(SKIP_2) | instid1(VALU_DEP_2)
	v_add_co_u32 v15, s3, v2, 0
	s_wait_dscnt 0x0
	s_wait_alu 0xf1ff
	v_add_co_ci_u32_e64 v16, null, v3, v1, s3
.LBB570_97:
	s_or_b32 exec_lo, exec_lo, s14
	s_wait_dscnt 0x0
	v_and_b32_e32 v1, 0x1e0, v0
	v_lshrrev_b32_e32 v3, 5, v0
	s_mov_b32 s14, exec_lo
	s_delay_alu instid0(VALU_DEP_2) | instskip(NEXT) | instid1(VALU_DEP_1)
	v_min_u32_e32 v1, 0x160, v1
	v_or_b32_e32 v1, 31, v1
	s_delay_alu instid0(VALU_DEP_1)
	v_cmpx_eq_u32_e64 v0, v1
; %bb.98:
	v_lshlrev_b32_e32 v1, 3, v3
	ds_store_b64 v1, v[15:16]
; %bb.99:
	s_or_b32 exec_lo, exec_lo, s14
	s_delay_alu instid0(SALU_CYCLE_1)
	s_mov_b32 s14, exec_lo
	s_wait_loadcnt_dscnt 0x0
	s_barrier_signal -1
	s_barrier_wait -1
	global_inv scope:SCOPE_SE
	v_cmpx_gt_u32_e32 12, v0
	s_cbranch_execz .LBB570_109
; %bb.100:
	v_mad_i32_i24 v1, 0xffffffec, v0, v35
	ds_load_b64 v[1:2], v1
	s_wait_dscnt 0x0
	v_mov_b32_dpp v6, v1 row_shr:1 row_mask:0xf bank_mask:0xf
	v_mov_b32_dpp v5, v2 row_shr:1 row_mask:0xf bank_mask:0xf
	v_mov_b32_e32 v4, v1
	s_and_saveexec_b32 s3, s2
; %bb.101:
	s_delay_alu instid0(VALU_DEP_3) | instskip(SKIP_2) | instid1(VALU_DEP_2)
	v_add_co_u32 v4, s2, v1, v6
	s_wait_alu 0xf1ff
	v_add_co_ci_u32_e64 v2, null, 0, v2, s2
	v_add_co_u32 v1, s2, 0, v4
	s_wait_alu 0xf1ff
	s_delay_alu instid0(VALU_DEP_2)
	v_add_co_ci_u32_e64 v2, null, v5, v2, s2
; %bb.102:
	s_wait_alu 0xfffe
	s_or_b32 exec_lo, exec_lo, s3
	v_mov_b32_dpp v6, v4 row_shr:2 row_mask:0xf bank_mask:0xf
	s_delay_alu instid0(VALU_DEP_2)
	v_mov_b32_dpp v5, v2 row_shr:2 row_mask:0xf bank_mask:0xf
	s_and_saveexec_b32 s2, vcc_lo
; %bb.103:
	s_delay_alu instid0(VALU_DEP_2) | instskip(SKIP_2) | instid1(VALU_DEP_2)
	v_add_co_u32 v4, vcc_lo, v1, v6
	s_wait_alu 0xfffd
	v_add_co_ci_u32_e64 v2, null, 0, v2, vcc_lo
	v_add_co_u32 v1, vcc_lo, 0, v4
	s_wait_alu 0xfffd
	s_delay_alu instid0(VALU_DEP_2)
	v_add_co_ci_u32_e64 v2, null, v5, v2, vcc_lo
; %bb.104:
	s_wait_alu 0xfffe
	s_or_b32 exec_lo, exec_lo, s2
	v_mov_b32_dpp v6, v4 row_shr:4 row_mask:0xf bank_mask:0xf
	s_delay_alu instid0(VALU_DEP_2)
	v_mov_b32_dpp v5, v2 row_shr:4 row_mask:0xf bank_mask:0xf
	s_and_saveexec_b32 s2, s0
; %bb.105:
	s_delay_alu instid0(VALU_DEP_2) | instskip(SKIP_2) | instid1(VALU_DEP_2)
	v_add_co_u32 v4, vcc_lo, v1, v6
	s_wait_alu 0xfffd
	v_add_co_ci_u32_e64 v2, null, 0, v2, vcc_lo
	v_add_co_u32 v1, vcc_lo, 0, v4
	s_wait_alu 0xfffd
	s_delay_alu instid0(VALU_DEP_2)
	v_add_co_ci_u32_e64 v2, null, v5, v2, vcc_lo
; %bb.106:
	s_wait_alu 0xfffe
	s_or_b32 exec_lo, exec_lo, s2
	v_mul_i32_i24_e32 v5, 0xffffffec, v0
	v_mov_b32_dpp v6, v4 row_shr:8 row_mask:0xf bank_mask:0xf
	v_mov_b32_dpp v4, v2 row_shr:8 row_mask:0xf bank_mask:0xf
	s_and_saveexec_b32 s0, s1
; %bb.107:
	s_delay_alu instid0(VALU_DEP_2) | instskip(SKIP_2) | instid1(VALU_DEP_2)
	v_add_co_u32 v1, vcc_lo, v1, v6
	s_wait_alu 0xfffd
	v_add_co_ci_u32_e64 v2, null, 0, v2, vcc_lo
	v_add_co_u32 v1, vcc_lo, v1, 0
	s_wait_alu 0xfffd
	s_delay_alu instid0(VALU_DEP_2)
	v_add_co_ci_u32_e64 v2, null, v2, v4, vcc_lo
; %bb.108:
	s_wait_alu 0xfffe
	s_or_b32 exec_lo, exec_lo, s0
	v_add_nc_u32_e32 v4, v35, v5
	ds_store_b64 v4, v[1:2]
.LBB570_109:
	s_or_b32 exec_lo, exec_lo, s14
	v_mov_b32_e32 v6, 0
	v_mov_b32_e32 v7, 0
	s_mov_b32 s0, exec_lo
	s_wait_loadcnt_dscnt 0x0
	s_barrier_signal -1
	s_barrier_wait -1
	global_inv scope:SCOPE_SE
	v_cmpx_lt_u32_e32 31, v0
; %bb.110:
	v_lshl_add_u32 v1, v3, 3, -8
	ds_load_b64 v[6:7], v1
; %bb.111:
	s_wait_alu 0xfffe
	s_or_b32 exec_lo, exec_lo, s0
	v_sub_co_u32 v1, vcc_lo, v41, 1
	v_mov_b32_e32 v5, 0
	s_delay_alu instid0(VALU_DEP_2) | instskip(SKIP_1) | instid1(VALU_DEP_1)
	v_cmp_gt_i32_e64 s0, 0, v1
	s_wait_alu 0xf1ff
	v_cndmask_b32_e64 v1, v1, v41, s0
	s_delay_alu instid0(VALU_DEP_1)
	v_lshlrev_b32_e32 v2, 2, v1
	s_wait_dscnt 0x0
	v_add_co_u32 v1, s0, v6, v15
	s_wait_alu 0xf1ff
	v_add_co_ci_u32_e64 v3, null, v7, v16, s0
	v_cmp_eq_u32_e64 s0, 0, v0
	ds_bpermute_b32 v1, v2, v1
	ds_bpermute_b32 v8, v2, v3
	ds_load_b64 v[2:3], v5 offset:88
	s_and_saveexec_b32 s1, s0
	s_cbranch_execz .LBB570_113
; %bb.112:
	s_wait_kmcnt 0x0
	s_add_nc_u64 s[2:3], s[10:11], 0x200
	v_mov_b32_e32 v4, 2
	s_wait_alu 0xfffe
	v_dual_mov_b32 v16, s3 :: v_dual_mov_b32 v15, s2
	s_wait_dscnt 0x0
	;;#ASMSTART
	global_store_b128 v[15:16], v[2:5] off scope:SCOPE_DEV	
s_wait_storecnt 0x0
	;;#ASMEND
.LBB570_113:
	s_wait_alu 0xfffe
	s_or_b32 exec_lo, exec_lo, s1
	s_wait_dscnt 0x1
	s_wait_alu 0xfffd
	v_dual_cndmask_b32 v1, v1, v6 :: v_dual_cndmask_b32 v4, v8, v7
	s_wait_loadcnt_dscnt 0x0
	s_barrier_signal -1
	s_barrier_wait -1
	s_delay_alu instid0(VALU_DEP_1)
	v_cndmask_b32_e64 v27, v1, 0, s0
	v_cndmask_b32_e64 v28, v4, 0, s0
	v_mov_b32_e32 v4, 0
	v_mov_b32_e32 v5, 0
	global_inv scope:SCOPE_SE
	v_add_co_u32 v25, vcc_lo, v27, v40
	s_wait_alu 0xfffd
	v_add_co_ci_u32_e64 v26, null, 0, v28, vcc_lo
	s_delay_alu instid0(VALU_DEP_2) | instskip(SKIP_1) | instid1(VALU_DEP_2)
	v_add_co_u32 v23, vcc_lo, v25, v38
	s_wait_alu 0xfffd
	v_add_co_ci_u32_e64 v24, null, 0, v26, vcc_lo
	s_delay_alu instid0(VALU_DEP_2) | instskip(SKIP_1) | instid1(VALU_DEP_2)
	;; [unrolled: 4-line block ×5, first 2 shown]
	v_add_co_u32 v17, vcc_lo, v6, v36
	s_wait_alu 0xfffd
	v_add_co_ci_u32_e64 v18, null, 0, v7, vcc_lo
.LBB570_114:
	v_lshrrev_b32_e32 v8, 8, v34
	v_lshrrev_b32_e32 v1, 16, v34
	v_and_b32_e32 v34, 1, v34
	s_wait_dscnt 0x0
	v_cmp_gt_u64_e32 vcc_lo, 0x181, v[2:3]
	s_mov_b32 s1, -1
	s_delay_alu instid0(VALU_DEP_2)
	v_cmp_eq_u32_e64 s0, 1, v34
	s_cbranch_vccnz .LBB570_118
; %bb.115:
	s_wait_alu 0xfffe
	s_and_b32 vcc_lo, exec_lo, s1
	s_wait_alu 0xfffe
	s_cbranch_vccnz .LBB570_133
.LBB570_116:
	v_cmp_eq_u32_e32 vcc_lo, 0, v0
	s_and_b32 s0, vcc_lo, s12
	s_wait_alu 0xfffe
	s_and_saveexec_b32 s1, s0
	s_cbranch_execnz .LBB570_150
.LBB570_117:
	s_endpgm
.LBB570_118:
	v_add_co_u32 v15, vcc_lo, v4, v2
	s_wait_alu 0xfffd
	v_add_co_ci_u32_e64 v16, null, v5, v3, vcc_lo
	s_wait_kmcnt 0x0
	s_lshl_b64 s[2:3], s[6:7], 2
	s_wait_alu 0xfffe
	s_add_nc_u64 s[2:3], s[4:5], s[2:3]
	v_cmp_lt_u64_e32 vcc_lo, v[27:28], v[15:16]
	s_or_b32 s1, s13, vcc_lo
	s_wait_alu 0xfffe
	s_and_b32 s1, s1, s0
	s_wait_alu 0xfffe
	s_and_saveexec_b32 s0, s1
	s_cbranch_execz .LBB570_120
; %bb.119:
	v_lshlrev_b64_e32 v[35:36], 2, v[27:28]
	s_delay_alu instid0(VALU_DEP_1) | instskip(SKIP_1) | instid1(VALU_DEP_2)
	v_add_co_u32 v35, vcc_lo, s2, v35
	s_wait_alu 0xfffd
	v_add_co_ci_u32_e64 v36, null, s3, v36, vcc_lo
	global_store_b32 v[35:36], v13, off
.LBB570_120:
	s_wait_alu 0xfffe
	s_or_b32 exec_lo, exec_lo, s0
	v_and_b32_e32 v28, 1, v8
	v_cmp_lt_u64_e32 vcc_lo, v[25:26], v[15:16]
	s_delay_alu instid0(VALU_DEP_2)
	v_cmp_eq_u32_e64 s0, 1, v28
	s_or_b32 s1, s13, vcc_lo
	s_wait_alu 0xfffe
	s_and_b32 s1, s1, s0
	s_wait_alu 0xfffe
	s_and_saveexec_b32 s0, s1
	s_cbranch_execz .LBB570_122
; %bb.121:
	v_lshlrev_b64_e32 v[35:36], 2, v[25:26]
	s_delay_alu instid0(VALU_DEP_1) | instskip(SKIP_1) | instid1(VALU_DEP_2)
	v_add_co_u32 v35, vcc_lo, s2, v35
	s_wait_alu 0xfffd
	v_add_co_ci_u32_e64 v36, null, s3, v36, vcc_lo
	global_store_b32 v[35:36], v14, off
.LBB570_122:
	s_wait_alu 0xfffe
	s_or_b32 exec_lo, exec_lo, s0
	v_and_b32_e32 v26, 1, v1
	v_cmp_lt_u64_e32 vcc_lo, v[23:24], v[15:16]
	s_delay_alu instid0(VALU_DEP_2)
	v_cmp_eq_u32_e64 s0, 1, v26
	;; [unrolled: 20-line block ×6, first 2 shown]
	s_or_b32 s1, s13, vcc_lo
	s_wait_alu 0xfffe
	s_and_b32 s1, s1, s0
	s_wait_alu 0xfffe
	s_and_saveexec_b32 s0, s1
	s_cbranch_execz .LBB570_132
; %bb.131:
	v_lshlrev_b64_e32 v[15:16], 2, v[17:18]
	s_delay_alu instid0(VALU_DEP_1) | instskip(SKIP_1) | instid1(VALU_DEP_2)
	v_add_co_u32 v15, vcc_lo, s2, v15
	s_wait_alu 0xfffd
	v_add_co_ci_u32_e64 v16, null, s3, v16, vcc_lo
	global_store_b32 v[15:16], v10, off
.LBB570_132:
	s_wait_alu 0xfffe
	s_or_b32 exec_lo, exec_lo, s0
	s_branch .LBB570_116
.LBB570_133:
	s_mov_b32 s0, exec_lo
	v_cmpx_eq_u32_e32 1, v34
; %bb.134:
	v_sub_nc_u32_e32 v7, v27, v4
	s_delay_alu instid0(VALU_DEP_1)
	v_lshlrev_b32_e32 v7, 2, v7
	ds_store_b32 v7, v13
; %bb.135:
	s_wait_alu 0xfffe
	s_or_b32 exec_lo, exec_lo, s0
	v_and_b32_e32 v7, 1, v8
	s_mov_b32 s0, exec_lo
	s_delay_alu instid0(VALU_DEP_1)
	v_cmpx_eq_u32_e32 1, v7
; %bb.136:
	v_sub_nc_u32_e32 v7, v25, v4
	s_delay_alu instid0(VALU_DEP_1)
	v_lshlrev_b32_e32 v7, 2, v7
	ds_store_b32 v7, v14
; %bb.137:
	s_wait_alu 0xfffe
	s_or_b32 exec_lo, exec_lo, s0
	v_and_b32_e32 v1, 1, v1
	s_mov_b32 s0, exec_lo
	s_delay_alu instid0(VALU_DEP_1)
	;; [unrolled: 12-line block ×6, first 2 shown]
	v_cmpx_eq_u32_e32 1, v1
; %bb.146:
	v_sub_nc_u32_e32 v1, v17, v4
	s_delay_alu instid0(VALU_DEP_1)
	v_lshlrev_b32_e32 v1, 2, v1
	ds_store_b32 v1, v10
; %bb.147:
	s_wait_alu 0xfffe
	s_or_b32 exec_lo, exec_lo, s0
	v_lshlrev_b64_e32 v[8:9], 2, v[4:5]
	v_mov_b32_e32 v7, 0
	s_wait_kmcnt 0x0
	s_lshl_b64 s[0:1], s[6:7], 2
	s_wait_storecnt 0x0
	s_wait_loadcnt_dscnt 0x0
	s_barrier_signal -1
	s_barrier_wait -1
	v_add_co_u32 v6, vcc_lo, s4, v8
	s_wait_alu 0xfffd
	v_add_co_ci_u32_e64 v8, null, s5, v9, vcc_lo
	global_inv scope:SCOPE_SE
	s_wait_alu 0xfffe
	v_add_co_u32 v10, vcc_lo, v6, s0
	v_dual_mov_b32 v1, v7 :: v_dual_add_nc_u32 v6, 0x180, v0
	s_wait_alu 0xfffd
	v_add_co_ci_u32_e64 v11, null, s1, v8, vcc_lo
	s_mov_b32 s1, 0
	v_dual_mov_b32 v9, v1 :: v_dual_mov_b32 v8, v0
.LBB570_148:                            ; =>This Inner Loop Header: Depth=1
	s_delay_alu instid0(VALU_DEP_1) | instskip(NEXT) | instid1(VALU_DEP_2)
	v_lshlrev_b32_e32 v1, 2, v8
	v_lshlrev_b64_e32 v[12:13], 2, v[8:9]
	v_dual_mov_b32 v9, v7 :: v_dual_mov_b32 v8, v6
	v_cmp_le_u64_e32 vcc_lo, v[2:3], v[6:7]
	ds_load_b32 v1, v1
	v_add_nc_u32_e32 v6, 0x180, v6
	v_add_co_u32 v12, s0, v10, v12
	s_wait_alu 0xf1ff
	v_add_co_ci_u32_e64 v13, null, v11, v13, s0
	s_wait_alu 0xfffe
	s_or_b32 s1, vcc_lo, s1
	s_wait_dscnt 0x0
	global_store_b32 v[12:13], v1, off
	s_wait_alu 0xfffe
	s_and_not1_b32 exec_lo, exec_lo, s1
	s_cbranch_execnz .LBB570_148
; %bb.149:
	s_or_b32 exec_lo, exec_lo, s1
	v_cmp_eq_u32_e32 vcc_lo, 0, v0
	s_and_b32 s0, vcc_lo, s12
	s_wait_alu 0xfffe
	s_and_saveexec_b32 s1, s0
	s_cbranch_execz .LBB570_117
.LBB570_150:
	v_add_co_u32 v0, vcc_lo, v4, v2
	s_wait_alu 0xfffd
	v_add_co_ci_u32_e64 v1, null, v5, v3, vcc_lo
	v_mov_b32_e32 v2, 0
	s_wait_kmcnt 0x0
	v_add_co_u32 v0, vcc_lo, v0, s6
	s_wait_alu 0xfffd
	v_add_co_ci_u32_e64 v1, null, s7, v1, vcc_lo
	global_store_b64 v2, v[0:1], s[8:9]
	s_endpgm
	.section	.rodata,"a",@progbits
	.p2align	6, 0x0
	.amdhsa_kernel _ZN7rocprim17ROCPRIM_400000_NS6detail17trampoline_kernelINS0_14default_configENS1_25partition_config_selectorILNS1_17partition_subalgoE6EfNS0_10empty_typeEbEEZZNS1_14partition_implILS5_6ELb0ES3_mN6thrust23THRUST_200600_302600_NS6detail15normal_iteratorINSA_10device_ptrIfEEEEPS6_SG_NS0_5tupleIJSF_S6_EEENSH_IJSG_SG_EEES6_PlJNSB_9not_fun_tI7is_evenIfEEEEEE10hipError_tPvRmT3_T4_T5_T6_T7_T9_mT8_P12ihipStream_tbDpT10_ENKUlT_T0_E_clISt17integral_constantIbLb0EES18_EEDaS13_S14_EUlS13_E_NS1_11comp_targetILNS1_3genE10ELNS1_11target_archE1200ELNS1_3gpuE4ELNS1_3repE0EEENS1_30default_config_static_selectorELNS0_4arch9wavefront6targetE0EEEvT1_
		.amdhsa_group_segment_fixed_size 10768
		.amdhsa_private_segment_fixed_size 0
		.amdhsa_kernarg_size 112
		.amdhsa_user_sgpr_count 2
		.amdhsa_user_sgpr_dispatch_ptr 0
		.amdhsa_user_sgpr_queue_ptr 0
		.amdhsa_user_sgpr_kernarg_segment_ptr 1
		.amdhsa_user_sgpr_dispatch_id 0
		.amdhsa_user_sgpr_private_segment_size 0
		.amdhsa_wavefront_size32 1
		.amdhsa_uses_dynamic_stack 0
		.amdhsa_enable_private_segment 0
		.amdhsa_system_sgpr_workgroup_id_x 1
		.amdhsa_system_sgpr_workgroup_id_y 0
		.amdhsa_system_sgpr_workgroup_id_z 0
		.amdhsa_system_sgpr_workgroup_info 0
		.amdhsa_system_vgpr_workitem_id 0
		.amdhsa_next_free_vgpr 50
		.amdhsa_next_free_sgpr 19
		.amdhsa_reserve_vcc 1
		.amdhsa_float_round_mode_32 0
		.amdhsa_float_round_mode_16_64 0
		.amdhsa_float_denorm_mode_32 3
		.amdhsa_float_denorm_mode_16_64 3
		.amdhsa_fp16_overflow 0
		.amdhsa_workgroup_processor_mode 1
		.amdhsa_memory_ordered 1
		.amdhsa_forward_progress 1
		.amdhsa_inst_pref_size 58
		.amdhsa_round_robin_scheduling 0
		.amdhsa_exception_fp_ieee_invalid_op 0
		.amdhsa_exception_fp_denorm_src 0
		.amdhsa_exception_fp_ieee_div_zero 0
		.amdhsa_exception_fp_ieee_overflow 0
		.amdhsa_exception_fp_ieee_underflow 0
		.amdhsa_exception_fp_ieee_inexact 0
		.amdhsa_exception_int_div_zero 0
	.end_amdhsa_kernel
	.section	.text._ZN7rocprim17ROCPRIM_400000_NS6detail17trampoline_kernelINS0_14default_configENS1_25partition_config_selectorILNS1_17partition_subalgoE6EfNS0_10empty_typeEbEEZZNS1_14partition_implILS5_6ELb0ES3_mN6thrust23THRUST_200600_302600_NS6detail15normal_iteratorINSA_10device_ptrIfEEEEPS6_SG_NS0_5tupleIJSF_S6_EEENSH_IJSG_SG_EEES6_PlJNSB_9not_fun_tI7is_evenIfEEEEEE10hipError_tPvRmT3_T4_T5_T6_T7_T9_mT8_P12ihipStream_tbDpT10_ENKUlT_T0_E_clISt17integral_constantIbLb0EES18_EEDaS13_S14_EUlS13_E_NS1_11comp_targetILNS1_3genE10ELNS1_11target_archE1200ELNS1_3gpuE4ELNS1_3repE0EEENS1_30default_config_static_selectorELNS0_4arch9wavefront6targetE0EEEvT1_,"axG",@progbits,_ZN7rocprim17ROCPRIM_400000_NS6detail17trampoline_kernelINS0_14default_configENS1_25partition_config_selectorILNS1_17partition_subalgoE6EfNS0_10empty_typeEbEEZZNS1_14partition_implILS5_6ELb0ES3_mN6thrust23THRUST_200600_302600_NS6detail15normal_iteratorINSA_10device_ptrIfEEEEPS6_SG_NS0_5tupleIJSF_S6_EEENSH_IJSG_SG_EEES6_PlJNSB_9not_fun_tI7is_evenIfEEEEEE10hipError_tPvRmT3_T4_T5_T6_T7_T9_mT8_P12ihipStream_tbDpT10_ENKUlT_T0_E_clISt17integral_constantIbLb0EES18_EEDaS13_S14_EUlS13_E_NS1_11comp_targetILNS1_3genE10ELNS1_11target_archE1200ELNS1_3gpuE4ELNS1_3repE0EEENS1_30default_config_static_selectorELNS0_4arch9wavefront6targetE0EEEvT1_,comdat
.Lfunc_end570:
	.size	_ZN7rocprim17ROCPRIM_400000_NS6detail17trampoline_kernelINS0_14default_configENS1_25partition_config_selectorILNS1_17partition_subalgoE6EfNS0_10empty_typeEbEEZZNS1_14partition_implILS5_6ELb0ES3_mN6thrust23THRUST_200600_302600_NS6detail15normal_iteratorINSA_10device_ptrIfEEEEPS6_SG_NS0_5tupleIJSF_S6_EEENSH_IJSG_SG_EEES6_PlJNSB_9not_fun_tI7is_evenIfEEEEEE10hipError_tPvRmT3_T4_T5_T6_T7_T9_mT8_P12ihipStream_tbDpT10_ENKUlT_T0_E_clISt17integral_constantIbLb0EES18_EEDaS13_S14_EUlS13_E_NS1_11comp_targetILNS1_3genE10ELNS1_11target_archE1200ELNS1_3gpuE4ELNS1_3repE0EEENS1_30default_config_static_selectorELNS0_4arch9wavefront6targetE0EEEvT1_, .Lfunc_end570-_ZN7rocprim17ROCPRIM_400000_NS6detail17trampoline_kernelINS0_14default_configENS1_25partition_config_selectorILNS1_17partition_subalgoE6EfNS0_10empty_typeEbEEZZNS1_14partition_implILS5_6ELb0ES3_mN6thrust23THRUST_200600_302600_NS6detail15normal_iteratorINSA_10device_ptrIfEEEEPS6_SG_NS0_5tupleIJSF_S6_EEENSH_IJSG_SG_EEES6_PlJNSB_9not_fun_tI7is_evenIfEEEEEE10hipError_tPvRmT3_T4_T5_T6_T7_T9_mT8_P12ihipStream_tbDpT10_ENKUlT_T0_E_clISt17integral_constantIbLb0EES18_EEDaS13_S14_EUlS13_E_NS1_11comp_targetILNS1_3genE10ELNS1_11target_archE1200ELNS1_3gpuE4ELNS1_3repE0EEENS1_30default_config_static_selectorELNS0_4arch9wavefront6targetE0EEEvT1_
                                        ; -- End function
	.set _ZN7rocprim17ROCPRIM_400000_NS6detail17trampoline_kernelINS0_14default_configENS1_25partition_config_selectorILNS1_17partition_subalgoE6EfNS0_10empty_typeEbEEZZNS1_14partition_implILS5_6ELb0ES3_mN6thrust23THRUST_200600_302600_NS6detail15normal_iteratorINSA_10device_ptrIfEEEEPS6_SG_NS0_5tupleIJSF_S6_EEENSH_IJSG_SG_EEES6_PlJNSB_9not_fun_tI7is_evenIfEEEEEE10hipError_tPvRmT3_T4_T5_T6_T7_T9_mT8_P12ihipStream_tbDpT10_ENKUlT_T0_E_clISt17integral_constantIbLb0EES18_EEDaS13_S14_EUlS13_E_NS1_11comp_targetILNS1_3genE10ELNS1_11target_archE1200ELNS1_3gpuE4ELNS1_3repE0EEENS1_30default_config_static_selectorELNS0_4arch9wavefront6targetE0EEEvT1_.num_vgpr, 50
	.set _ZN7rocprim17ROCPRIM_400000_NS6detail17trampoline_kernelINS0_14default_configENS1_25partition_config_selectorILNS1_17partition_subalgoE6EfNS0_10empty_typeEbEEZZNS1_14partition_implILS5_6ELb0ES3_mN6thrust23THRUST_200600_302600_NS6detail15normal_iteratorINSA_10device_ptrIfEEEEPS6_SG_NS0_5tupleIJSF_S6_EEENSH_IJSG_SG_EEES6_PlJNSB_9not_fun_tI7is_evenIfEEEEEE10hipError_tPvRmT3_T4_T5_T6_T7_T9_mT8_P12ihipStream_tbDpT10_ENKUlT_T0_E_clISt17integral_constantIbLb0EES18_EEDaS13_S14_EUlS13_E_NS1_11comp_targetILNS1_3genE10ELNS1_11target_archE1200ELNS1_3gpuE4ELNS1_3repE0EEENS1_30default_config_static_selectorELNS0_4arch9wavefront6targetE0EEEvT1_.num_agpr, 0
	.set _ZN7rocprim17ROCPRIM_400000_NS6detail17trampoline_kernelINS0_14default_configENS1_25partition_config_selectorILNS1_17partition_subalgoE6EfNS0_10empty_typeEbEEZZNS1_14partition_implILS5_6ELb0ES3_mN6thrust23THRUST_200600_302600_NS6detail15normal_iteratorINSA_10device_ptrIfEEEEPS6_SG_NS0_5tupleIJSF_S6_EEENSH_IJSG_SG_EEES6_PlJNSB_9not_fun_tI7is_evenIfEEEEEE10hipError_tPvRmT3_T4_T5_T6_T7_T9_mT8_P12ihipStream_tbDpT10_ENKUlT_T0_E_clISt17integral_constantIbLb0EES18_EEDaS13_S14_EUlS13_E_NS1_11comp_targetILNS1_3genE10ELNS1_11target_archE1200ELNS1_3gpuE4ELNS1_3repE0EEENS1_30default_config_static_selectorELNS0_4arch9wavefront6targetE0EEEvT1_.numbered_sgpr, 19
	.set _ZN7rocprim17ROCPRIM_400000_NS6detail17trampoline_kernelINS0_14default_configENS1_25partition_config_selectorILNS1_17partition_subalgoE6EfNS0_10empty_typeEbEEZZNS1_14partition_implILS5_6ELb0ES3_mN6thrust23THRUST_200600_302600_NS6detail15normal_iteratorINSA_10device_ptrIfEEEEPS6_SG_NS0_5tupleIJSF_S6_EEENSH_IJSG_SG_EEES6_PlJNSB_9not_fun_tI7is_evenIfEEEEEE10hipError_tPvRmT3_T4_T5_T6_T7_T9_mT8_P12ihipStream_tbDpT10_ENKUlT_T0_E_clISt17integral_constantIbLb0EES18_EEDaS13_S14_EUlS13_E_NS1_11comp_targetILNS1_3genE10ELNS1_11target_archE1200ELNS1_3gpuE4ELNS1_3repE0EEENS1_30default_config_static_selectorELNS0_4arch9wavefront6targetE0EEEvT1_.num_named_barrier, 0
	.set _ZN7rocprim17ROCPRIM_400000_NS6detail17trampoline_kernelINS0_14default_configENS1_25partition_config_selectorILNS1_17partition_subalgoE6EfNS0_10empty_typeEbEEZZNS1_14partition_implILS5_6ELb0ES3_mN6thrust23THRUST_200600_302600_NS6detail15normal_iteratorINSA_10device_ptrIfEEEEPS6_SG_NS0_5tupleIJSF_S6_EEENSH_IJSG_SG_EEES6_PlJNSB_9not_fun_tI7is_evenIfEEEEEE10hipError_tPvRmT3_T4_T5_T6_T7_T9_mT8_P12ihipStream_tbDpT10_ENKUlT_T0_E_clISt17integral_constantIbLb0EES18_EEDaS13_S14_EUlS13_E_NS1_11comp_targetILNS1_3genE10ELNS1_11target_archE1200ELNS1_3gpuE4ELNS1_3repE0EEENS1_30default_config_static_selectorELNS0_4arch9wavefront6targetE0EEEvT1_.private_seg_size, 0
	.set _ZN7rocprim17ROCPRIM_400000_NS6detail17trampoline_kernelINS0_14default_configENS1_25partition_config_selectorILNS1_17partition_subalgoE6EfNS0_10empty_typeEbEEZZNS1_14partition_implILS5_6ELb0ES3_mN6thrust23THRUST_200600_302600_NS6detail15normal_iteratorINSA_10device_ptrIfEEEEPS6_SG_NS0_5tupleIJSF_S6_EEENSH_IJSG_SG_EEES6_PlJNSB_9not_fun_tI7is_evenIfEEEEEE10hipError_tPvRmT3_T4_T5_T6_T7_T9_mT8_P12ihipStream_tbDpT10_ENKUlT_T0_E_clISt17integral_constantIbLb0EES18_EEDaS13_S14_EUlS13_E_NS1_11comp_targetILNS1_3genE10ELNS1_11target_archE1200ELNS1_3gpuE4ELNS1_3repE0EEENS1_30default_config_static_selectorELNS0_4arch9wavefront6targetE0EEEvT1_.uses_vcc, 1
	.set _ZN7rocprim17ROCPRIM_400000_NS6detail17trampoline_kernelINS0_14default_configENS1_25partition_config_selectorILNS1_17partition_subalgoE6EfNS0_10empty_typeEbEEZZNS1_14partition_implILS5_6ELb0ES3_mN6thrust23THRUST_200600_302600_NS6detail15normal_iteratorINSA_10device_ptrIfEEEEPS6_SG_NS0_5tupleIJSF_S6_EEENSH_IJSG_SG_EEES6_PlJNSB_9not_fun_tI7is_evenIfEEEEEE10hipError_tPvRmT3_T4_T5_T6_T7_T9_mT8_P12ihipStream_tbDpT10_ENKUlT_T0_E_clISt17integral_constantIbLb0EES18_EEDaS13_S14_EUlS13_E_NS1_11comp_targetILNS1_3genE10ELNS1_11target_archE1200ELNS1_3gpuE4ELNS1_3repE0EEENS1_30default_config_static_selectorELNS0_4arch9wavefront6targetE0EEEvT1_.uses_flat_scratch, 1
	.set _ZN7rocprim17ROCPRIM_400000_NS6detail17trampoline_kernelINS0_14default_configENS1_25partition_config_selectorILNS1_17partition_subalgoE6EfNS0_10empty_typeEbEEZZNS1_14partition_implILS5_6ELb0ES3_mN6thrust23THRUST_200600_302600_NS6detail15normal_iteratorINSA_10device_ptrIfEEEEPS6_SG_NS0_5tupleIJSF_S6_EEENSH_IJSG_SG_EEES6_PlJNSB_9not_fun_tI7is_evenIfEEEEEE10hipError_tPvRmT3_T4_T5_T6_T7_T9_mT8_P12ihipStream_tbDpT10_ENKUlT_T0_E_clISt17integral_constantIbLb0EES18_EEDaS13_S14_EUlS13_E_NS1_11comp_targetILNS1_3genE10ELNS1_11target_archE1200ELNS1_3gpuE4ELNS1_3repE0EEENS1_30default_config_static_selectorELNS0_4arch9wavefront6targetE0EEEvT1_.has_dyn_sized_stack, 0
	.set _ZN7rocprim17ROCPRIM_400000_NS6detail17trampoline_kernelINS0_14default_configENS1_25partition_config_selectorILNS1_17partition_subalgoE6EfNS0_10empty_typeEbEEZZNS1_14partition_implILS5_6ELb0ES3_mN6thrust23THRUST_200600_302600_NS6detail15normal_iteratorINSA_10device_ptrIfEEEEPS6_SG_NS0_5tupleIJSF_S6_EEENSH_IJSG_SG_EEES6_PlJNSB_9not_fun_tI7is_evenIfEEEEEE10hipError_tPvRmT3_T4_T5_T6_T7_T9_mT8_P12ihipStream_tbDpT10_ENKUlT_T0_E_clISt17integral_constantIbLb0EES18_EEDaS13_S14_EUlS13_E_NS1_11comp_targetILNS1_3genE10ELNS1_11target_archE1200ELNS1_3gpuE4ELNS1_3repE0EEENS1_30default_config_static_selectorELNS0_4arch9wavefront6targetE0EEEvT1_.has_recursion, 0
	.set _ZN7rocprim17ROCPRIM_400000_NS6detail17trampoline_kernelINS0_14default_configENS1_25partition_config_selectorILNS1_17partition_subalgoE6EfNS0_10empty_typeEbEEZZNS1_14partition_implILS5_6ELb0ES3_mN6thrust23THRUST_200600_302600_NS6detail15normal_iteratorINSA_10device_ptrIfEEEEPS6_SG_NS0_5tupleIJSF_S6_EEENSH_IJSG_SG_EEES6_PlJNSB_9not_fun_tI7is_evenIfEEEEEE10hipError_tPvRmT3_T4_T5_T6_T7_T9_mT8_P12ihipStream_tbDpT10_ENKUlT_T0_E_clISt17integral_constantIbLb0EES18_EEDaS13_S14_EUlS13_E_NS1_11comp_targetILNS1_3genE10ELNS1_11target_archE1200ELNS1_3gpuE4ELNS1_3repE0EEENS1_30default_config_static_selectorELNS0_4arch9wavefront6targetE0EEEvT1_.has_indirect_call, 0
	.section	.AMDGPU.csdata,"",@progbits
; Kernel info:
; codeLenInByte = 7376
; TotalNumSgprs: 21
; NumVgprs: 50
; ScratchSize: 0
; MemoryBound: 0
; FloatMode: 240
; IeeeMode: 1
; LDSByteSize: 10768 bytes/workgroup (compile time only)
; SGPRBlocks: 0
; VGPRBlocks: 6
; NumSGPRsForWavesPerEU: 21
; NumVGPRsForWavesPerEU: 50
; Occupancy: 15
; WaveLimiterHint : 1
; COMPUTE_PGM_RSRC2:SCRATCH_EN: 0
; COMPUTE_PGM_RSRC2:USER_SGPR: 2
; COMPUTE_PGM_RSRC2:TRAP_HANDLER: 0
; COMPUTE_PGM_RSRC2:TGID_X_EN: 1
; COMPUTE_PGM_RSRC2:TGID_Y_EN: 0
; COMPUTE_PGM_RSRC2:TGID_Z_EN: 0
; COMPUTE_PGM_RSRC2:TIDIG_COMP_CNT: 0
	.section	.text._ZN7rocprim17ROCPRIM_400000_NS6detail17trampoline_kernelINS0_14default_configENS1_25partition_config_selectorILNS1_17partition_subalgoE6EfNS0_10empty_typeEbEEZZNS1_14partition_implILS5_6ELb0ES3_mN6thrust23THRUST_200600_302600_NS6detail15normal_iteratorINSA_10device_ptrIfEEEEPS6_SG_NS0_5tupleIJSF_S6_EEENSH_IJSG_SG_EEES6_PlJNSB_9not_fun_tI7is_evenIfEEEEEE10hipError_tPvRmT3_T4_T5_T6_T7_T9_mT8_P12ihipStream_tbDpT10_ENKUlT_T0_E_clISt17integral_constantIbLb0EES18_EEDaS13_S14_EUlS13_E_NS1_11comp_targetILNS1_3genE9ELNS1_11target_archE1100ELNS1_3gpuE3ELNS1_3repE0EEENS1_30default_config_static_selectorELNS0_4arch9wavefront6targetE0EEEvT1_,"axG",@progbits,_ZN7rocprim17ROCPRIM_400000_NS6detail17trampoline_kernelINS0_14default_configENS1_25partition_config_selectorILNS1_17partition_subalgoE6EfNS0_10empty_typeEbEEZZNS1_14partition_implILS5_6ELb0ES3_mN6thrust23THRUST_200600_302600_NS6detail15normal_iteratorINSA_10device_ptrIfEEEEPS6_SG_NS0_5tupleIJSF_S6_EEENSH_IJSG_SG_EEES6_PlJNSB_9not_fun_tI7is_evenIfEEEEEE10hipError_tPvRmT3_T4_T5_T6_T7_T9_mT8_P12ihipStream_tbDpT10_ENKUlT_T0_E_clISt17integral_constantIbLb0EES18_EEDaS13_S14_EUlS13_E_NS1_11comp_targetILNS1_3genE9ELNS1_11target_archE1100ELNS1_3gpuE3ELNS1_3repE0EEENS1_30default_config_static_selectorELNS0_4arch9wavefront6targetE0EEEvT1_,comdat
	.protected	_ZN7rocprim17ROCPRIM_400000_NS6detail17trampoline_kernelINS0_14default_configENS1_25partition_config_selectorILNS1_17partition_subalgoE6EfNS0_10empty_typeEbEEZZNS1_14partition_implILS5_6ELb0ES3_mN6thrust23THRUST_200600_302600_NS6detail15normal_iteratorINSA_10device_ptrIfEEEEPS6_SG_NS0_5tupleIJSF_S6_EEENSH_IJSG_SG_EEES6_PlJNSB_9not_fun_tI7is_evenIfEEEEEE10hipError_tPvRmT3_T4_T5_T6_T7_T9_mT8_P12ihipStream_tbDpT10_ENKUlT_T0_E_clISt17integral_constantIbLb0EES18_EEDaS13_S14_EUlS13_E_NS1_11comp_targetILNS1_3genE9ELNS1_11target_archE1100ELNS1_3gpuE3ELNS1_3repE0EEENS1_30default_config_static_selectorELNS0_4arch9wavefront6targetE0EEEvT1_ ; -- Begin function _ZN7rocprim17ROCPRIM_400000_NS6detail17trampoline_kernelINS0_14default_configENS1_25partition_config_selectorILNS1_17partition_subalgoE6EfNS0_10empty_typeEbEEZZNS1_14partition_implILS5_6ELb0ES3_mN6thrust23THRUST_200600_302600_NS6detail15normal_iteratorINSA_10device_ptrIfEEEEPS6_SG_NS0_5tupleIJSF_S6_EEENSH_IJSG_SG_EEES6_PlJNSB_9not_fun_tI7is_evenIfEEEEEE10hipError_tPvRmT3_T4_T5_T6_T7_T9_mT8_P12ihipStream_tbDpT10_ENKUlT_T0_E_clISt17integral_constantIbLb0EES18_EEDaS13_S14_EUlS13_E_NS1_11comp_targetILNS1_3genE9ELNS1_11target_archE1100ELNS1_3gpuE3ELNS1_3repE0EEENS1_30default_config_static_selectorELNS0_4arch9wavefront6targetE0EEEvT1_
	.globl	_ZN7rocprim17ROCPRIM_400000_NS6detail17trampoline_kernelINS0_14default_configENS1_25partition_config_selectorILNS1_17partition_subalgoE6EfNS0_10empty_typeEbEEZZNS1_14partition_implILS5_6ELb0ES3_mN6thrust23THRUST_200600_302600_NS6detail15normal_iteratorINSA_10device_ptrIfEEEEPS6_SG_NS0_5tupleIJSF_S6_EEENSH_IJSG_SG_EEES6_PlJNSB_9not_fun_tI7is_evenIfEEEEEE10hipError_tPvRmT3_T4_T5_T6_T7_T9_mT8_P12ihipStream_tbDpT10_ENKUlT_T0_E_clISt17integral_constantIbLb0EES18_EEDaS13_S14_EUlS13_E_NS1_11comp_targetILNS1_3genE9ELNS1_11target_archE1100ELNS1_3gpuE3ELNS1_3repE0EEENS1_30default_config_static_selectorELNS0_4arch9wavefront6targetE0EEEvT1_
	.p2align	8
	.type	_ZN7rocprim17ROCPRIM_400000_NS6detail17trampoline_kernelINS0_14default_configENS1_25partition_config_selectorILNS1_17partition_subalgoE6EfNS0_10empty_typeEbEEZZNS1_14partition_implILS5_6ELb0ES3_mN6thrust23THRUST_200600_302600_NS6detail15normal_iteratorINSA_10device_ptrIfEEEEPS6_SG_NS0_5tupleIJSF_S6_EEENSH_IJSG_SG_EEES6_PlJNSB_9not_fun_tI7is_evenIfEEEEEE10hipError_tPvRmT3_T4_T5_T6_T7_T9_mT8_P12ihipStream_tbDpT10_ENKUlT_T0_E_clISt17integral_constantIbLb0EES18_EEDaS13_S14_EUlS13_E_NS1_11comp_targetILNS1_3genE9ELNS1_11target_archE1100ELNS1_3gpuE3ELNS1_3repE0EEENS1_30default_config_static_selectorELNS0_4arch9wavefront6targetE0EEEvT1_,@function
_ZN7rocprim17ROCPRIM_400000_NS6detail17trampoline_kernelINS0_14default_configENS1_25partition_config_selectorILNS1_17partition_subalgoE6EfNS0_10empty_typeEbEEZZNS1_14partition_implILS5_6ELb0ES3_mN6thrust23THRUST_200600_302600_NS6detail15normal_iteratorINSA_10device_ptrIfEEEEPS6_SG_NS0_5tupleIJSF_S6_EEENSH_IJSG_SG_EEES6_PlJNSB_9not_fun_tI7is_evenIfEEEEEE10hipError_tPvRmT3_T4_T5_T6_T7_T9_mT8_P12ihipStream_tbDpT10_ENKUlT_T0_E_clISt17integral_constantIbLb0EES18_EEDaS13_S14_EUlS13_E_NS1_11comp_targetILNS1_3genE9ELNS1_11target_archE1100ELNS1_3gpuE3ELNS1_3repE0EEENS1_30default_config_static_selectorELNS0_4arch9wavefront6targetE0EEEvT1_: ; @_ZN7rocprim17ROCPRIM_400000_NS6detail17trampoline_kernelINS0_14default_configENS1_25partition_config_selectorILNS1_17partition_subalgoE6EfNS0_10empty_typeEbEEZZNS1_14partition_implILS5_6ELb0ES3_mN6thrust23THRUST_200600_302600_NS6detail15normal_iteratorINSA_10device_ptrIfEEEEPS6_SG_NS0_5tupleIJSF_S6_EEENSH_IJSG_SG_EEES6_PlJNSB_9not_fun_tI7is_evenIfEEEEEE10hipError_tPvRmT3_T4_T5_T6_T7_T9_mT8_P12ihipStream_tbDpT10_ENKUlT_T0_E_clISt17integral_constantIbLb0EES18_EEDaS13_S14_EUlS13_E_NS1_11comp_targetILNS1_3genE9ELNS1_11target_archE1100ELNS1_3gpuE3ELNS1_3repE0EEENS1_30default_config_static_selectorELNS0_4arch9wavefront6targetE0EEEvT1_
; %bb.0:
	.section	.rodata,"a",@progbits
	.p2align	6, 0x0
	.amdhsa_kernel _ZN7rocprim17ROCPRIM_400000_NS6detail17trampoline_kernelINS0_14default_configENS1_25partition_config_selectorILNS1_17partition_subalgoE6EfNS0_10empty_typeEbEEZZNS1_14partition_implILS5_6ELb0ES3_mN6thrust23THRUST_200600_302600_NS6detail15normal_iteratorINSA_10device_ptrIfEEEEPS6_SG_NS0_5tupleIJSF_S6_EEENSH_IJSG_SG_EEES6_PlJNSB_9not_fun_tI7is_evenIfEEEEEE10hipError_tPvRmT3_T4_T5_T6_T7_T9_mT8_P12ihipStream_tbDpT10_ENKUlT_T0_E_clISt17integral_constantIbLb0EES18_EEDaS13_S14_EUlS13_E_NS1_11comp_targetILNS1_3genE9ELNS1_11target_archE1100ELNS1_3gpuE3ELNS1_3repE0EEENS1_30default_config_static_selectorELNS0_4arch9wavefront6targetE0EEEvT1_
		.amdhsa_group_segment_fixed_size 0
		.amdhsa_private_segment_fixed_size 0
		.amdhsa_kernarg_size 112
		.amdhsa_user_sgpr_count 2
		.amdhsa_user_sgpr_dispatch_ptr 0
		.amdhsa_user_sgpr_queue_ptr 0
		.amdhsa_user_sgpr_kernarg_segment_ptr 1
		.amdhsa_user_sgpr_dispatch_id 0
		.amdhsa_user_sgpr_private_segment_size 0
		.amdhsa_wavefront_size32 1
		.amdhsa_uses_dynamic_stack 0
		.amdhsa_enable_private_segment 0
		.amdhsa_system_sgpr_workgroup_id_x 1
		.amdhsa_system_sgpr_workgroup_id_y 0
		.amdhsa_system_sgpr_workgroup_id_z 0
		.amdhsa_system_sgpr_workgroup_info 0
		.amdhsa_system_vgpr_workitem_id 0
		.amdhsa_next_free_vgpr 1
		.amdhsa_next_free_sgpr 1
		.amdhsa_reserve_vcc 0
		.amdhsa_float_round_mode_32 0
		.amdhsa_float_round_mode_16_64 0
		.amdhsa_float_denorm_mode_32 3
		.amdhsa_float_denorm_mode_16_64 3
		.amdhsa_fp16_overflow 0
		.amdhsa_workgroup_processor_mode 1
		.amdhsa_memory_ordered 1
		.amdhsa_forward_progress 1
		.amdhsa_inst_pref_size 0
		.amdhsa_round_robin_scheduling 0
		.amdhsa_exception_fp_ieee_invalid_op 0
		.amdhsa_exception_fp_denorm_src 0
		.amdhsa_exception_fp_ieee_div_zero 0
		.amdhsa_exception_fp_ieee_overflow 0
		.amdhsa_exception_fp_ieee_underflow 0
		.amdhsa_exception_fp_ieee_inexact 0
		.amdhsa_exception_int_div_zero 0
	.end_amdhsa_kernel
	.section	.text._ZN7rocprim17ROCPRIM_400000_NS6detail17trampoline_kernelINS0_14default_configENS1_25partition_config_selectorILNS1_17partition_subalgoE6EfNS0_10empty_typeEbEEZZNS1_14partition_implILS5_6ELb0ES3_mN6thrust23THRUST_200600_302600_NS6detail15normal_iteratorINSA_10device_ptrIfEEEEPS6_SG_NS0_5tupleIJSF_S6_EEENSH_IJSG_SG_EEES6_PlJNSB_9not_fun_tI7is_evenIfEEEEEE10hipError_tPvRmT3_T4_T5_T6_T7_T9_mT8_P12ihipStream_tbDpT10_ENKUlT_T0_E_clISt17integral_constantIbLb0EES18_EEDaS13_S14_EUlS13_E_NS1_11comp_targetILNS1_3genE9ELNS1_11target_archE1100ELNS1_3gpuE3ELNS1_3repE0EEENS1_30default_config_static_selectorELNS0_4arch9wavefront6targetE0EEEvT1_,"axG",@progbits,_ZN7rocprim17ROCPRIM_400000_NS6detail17trampoline_kernelINS0_14default_configENS1_25partition_config_selectorILNS1_17partition_subalgoE6EfNS0_10empty_typeEbEEZZNS1_14partition_implILS5_6ELb0ES3_mN6thrust23THRUST_200600_302600_NS6detail15normal_iteratorINSA_10device_ptrIfEEEEPS6_SG_NS0_5tupleIJSF_S6_EEENSH_IJSG_SG_EEES6_PlJNSB_9not_fun_tI7is_evenIfEEEEEE10hipError_tPvRmT3_T4_T5_T6_T7_T9_mT8_P12ihipStream_tbDpT10_ENKUlT_T0_E_clISt17integral_constantIbLb0EES18_EEDaS13_S14_EUlS13_E_NS1_11comp_targetILNS1_3genE9ELNS1_11target_archE1100ELNS1_3gpuE3ELNS1_3repE0EEENS1_30default_config_static_selectorELNS0_4arch9wavefront6targetE0EEEvT1_,comdat
.Lfunc_end571:
	.size	_ZN7rocprim17ROCPRIM_400000_NS6detail17trampoline_kernelINS0_14default_configENS1_25partition_config_selectorILNS1_17partition_subalgoE6EfNS0_10empty_typeEbEEZZNS1_14partition_implILS5_6ELb0ES3_mN6thrust23THRUST_200600_302600_NS6detail15normal_iteratorINSA_10device_ptrIfEEEEPS6_SG_NS0_5tupleIJSF_S6_EEENSH_IJSG_SG_EEES6_PlJNSB_9not_fun_tI7is_evenIfEEEEEE10hipError_tPvRmT3_T4_T5_T6_T7_T9_mT8_P12ihipStream_tbDpT10_ENKUlT_T0_E_clISt17integral_constantIbLb0EES18_EEDaS13_S14_EUlS13_E_NS1_11comp_targetILNS1_3genE9ELNS1_11target_archE1100ELNS1_3gpuE3ELNS1_3repE0EEENS1_30default_config_static_selectorELNS0_4arch9wavefront6targetE0EEEvT1_, .Lfunc_end571-_ZN7rocprim17ROCPRIM_400000_NS6detail17trampoline_kernelINS0_14default_configENS1_25partition_config_selectorILNS1_17partition_subalgoE6EfNS0_10empty_typeEbEEZZNS1_14partition_implILS5_6ELb0ES3_mN6thrust23THRUST_200600_302600_NS6detail15normal_iteratorINSA_10device_ptrIfEEEEPS6_SG_NS0_5tupleIJSF_S6_EEENSH_IJSG_SG_EEES6_PlJNSB_9not_fun_tI7is_evenIfEEEEEE10hipError_tPvRmT3_T4_T5_T6_T7_T9_mT8_P12ihipStream_tbDpT10_ENKUlT_T0_E_clISt17integral_constantIbLb0EES18_EEDaS13_S14_EUlS13_E_NS1_11comp_targetILNS1_3genE9ELNS1_11target_archE1100ELNS1_3gpuE3ELNS1_3repE0EEENS1_30default_config_static_selectorELNS0_4arch9wavefront6targetE0EEEvT1_
                                        ; -- End function
	.set _ZN7rocprim17ROCPRIM_400000_NS6detail17trampoline_kernelINS0_14default_configENS1_25partition_config_selectorILNS1_17partition_subalgoE6EfNS0_10empty_typeEbEEZZNS1_14partition_implILS5_6ELb0ES3_mN6thrust23THRUST_200600_302600_NS6detail15normal_iteratorINSA_10device_ptrIfEEEEPS6_SG_NS0_5tupleIJSF_S6_EEENSH_IJSG_SG_EEES6_PlJNSB_9not_fun_tI7is_evenIfEEEEEE10hipError_tPvRmT3_T4_T5_T6_T7_T9_mT8_P12ihipStream_tbDpT10_ENKUlT_T0_E_clISt17integral_constantIbLb0EES18_EEDaS13_S14_EUlS13_E_NS1_11comp_targetILNS1_3genE9ELNS1_11target_archE1100ELNS1_3gpuE3ELNS1_3repE0EEENS1_30default_config_static_selectorELNS0_4arch9wavefront6targetE0EEEvT1_.num_vgpr, 0
	.set _ZN7rocprim17ROCPRIM_400000_NS6detail17trampoline_kernelINS0_14default_configENS1_25partition_config_selectorILNS1_17partition_subalgoE6EfNS0_10empty_typeEbEEZZNS1_14partition_implILS5_6ELb0ES3_mN6thrust23THRUST_200600_302600_NS6detail15normal_iteratorINSA_10device_ptrIfEEEEPS6_SG_NS0_5tupleIJSF_S6_EEENSH_IJSG_SG_EEES6_PlJNSB_9not_fun_tI7is_evenIfEEEEEE10hipError_tPvRmT3_T4_T5_T6_T7_T9_mT8_P12ihipStream_tbDpT10_ENKUlT_T0_E_clISt17integral_constantIbLb0EES18_EEDaS13_S14_EUlS13_E_NS1_11comp_targetILNS1_3genE9ELNS1_11target_archE1100ELNS1_3gpuE3ELNS1_3repE0EEENS1_30default_config_static_selectorELNS0_4arch9wavefront6targetE0EEEvT1_.num_agpr, 0
	.set _ZN7rocprim17ROCPRIM_400000_NS6detail17trampoline_kernelINS0_14default_configENS1_25partition_config_selectorILNS1_17partition_subalgoE6EfNS0_10empty_typeEbEEZZNS1_14partition_implILS5_6ELb0ES3_mN6thrust23THRUST_200600_302600_NS6detail15normal_iteratorINSA_10device_ptrIfEEEEPS6_SG_NS0_5tupleIJSF_S6_EEENSH_IJSG_SG_EEES6_PlJNSB_9not_fun_tI7is_evenIfEEEEEE10hipError_tPvRmT3_T4_T5_T6_T7_T9_mT8_P12ihipStream_tbDpT10_ENKUlT_T0_E_clISt17integral_constantIbLb0EES18_EEDaS13_S14_EUlS13_E_NS1_11comp_targetILNS1_3genE9ELNS1_11target_archE1100ELNS1_3gpuE3ELNS1_3repE0EEENS1_30default_config_static_selectorELNS0_4arch9wavefront6targetE0EEEvT1_.numbered_sgpr, 0
	.set _ZN7rocprim17ROCPRIM_400000_NS6detail17trampoline_kernelINS0_14default_configENS1_25partition_config_selectorILNS1_17partition_subalgoE6EfNS0_10empty_typeEbEEZZNS1_14partition_implILS5_6ELb0ES3_mN6thrust23THRUST_200600_302600_NS6detail15normal_iteratorINSA_10device_ptrIfEEEEPS6_SG_NS0_5tupleIJSF_S6_EEENSH_IJSG_SG_EEES6_PlJNSB_9not_fun_tI7is_evenIfEEEEEE10hipError_tPvRmT3_T4_T5_T6_T7_T9_mT8_P12ihipStream_tbDpT10_ENKUlT_T0_E_clISt17integral_constantIbLb0EES18_EEDaS13_S14_EUlS13_E_NS1_11comp_targetILNS1_3genE9ELNS1_11target_archE1100ELNS1_3gpuE3ELNS1_3repE0EEENS1_30default_config_static_selectorELNS0_4arch9wavefront6targetE0EEEvT1_.num_named_barrier, 0
	.set _ZN7rocprim17ROCPRIM_400000_NS6detail17trampoline_kernelINS0_14default_configENS1_25partition_config_selectorILNS1_17partition_subalgoE6EfNS0_10empty_typeEbEEZZNS1_14partition_implILS5_6ELb0ES3_mN6thrust23THRUST_200600_302600_NS6detail15normal_iteratorINSA_10device_ptrIfEEEEPS6_SG_NS0_5tupleIJSF_S6_EEENSH_IJSG_SG_EEES6_PlJNSB_9not_fun_tI7is_evenIfEEEEEE10hipError_tPvRmT3_T4_T5_T6_T7_T9_mT8_P12ihipStream_tbDpT10_ENKUlT_T0_E_clISt17integral_constantIbLb0EES18_EEDaS13_S14_EUlS13_E_NS1_11comp_targetILNS1_3genE9ELNS1_11target_archE1100ELNS1_3gpuE3ELNS1_3repE0EEENS1_30default_config_static_selectorELNS0_4arch9wavefront6targetE0EEEvT1_.private_seg_size, 0
	.set _ZN7rocprim17ROCPRIM_400000_NS6detail17trampoline_kernelINS0_14default_configENS1_25partition_config_selectorILNS1_17partition_subalgoE6EfNS0_10empty_typeEbEEZZNS1_14partition_implILS5_6ELb0ES3_mN6thrust23THRUST_200600_302600_NS6detail15normal_iteratorINSA_10device_ptrIfEEEEPS6_SG_NS0_5tupleIJSF_S6_EEENSH_IJSG_SG_EEES6_PlJNSB_9not_fun_tI7is_evenIfEEEEEE10hipError_tPvRmT3_T4_T5_T6_T7_T9_mT8_P12ihipStream_tbDpT10_ENKUlT_T0_E_clISt17integral_constantIbLb0EES18_EEDaS13_S14_EUlS13_E_NS1_11comp_targetILNS1_3genE9ELNS1_11target_archE1100ELNS1_3gpuE3ELNS1_3repE0EEENS1_30default_config_static_selectorELNS0_4arch9wavefront6targetE0EEEvT1_.uses_vcc, 0
	.set _ZN7rocprim17ROCPRIM_400000_NS6detail17trampoline_kernelINS0_14default_configENS1_25partition_config_selectorILNS1_17partition_subalgoE6EfNS0_10empty_typeEbEEZZNS1_14partition_implILS5_6ELb0ES3_mN6thrust23THRUST_200600_302600_NS6detail15normal_iteratorINSA_10device_ptrIfEEEEPS6_SG_NS0_5tupleIJSF_S6_EEENSH_IJSG_SG_EEES6_PlJNSB_9not_fun_tI7is_evenIfEEEEEE10hipError_tPvRmT3_T4_T5_T6_T7_T9_mT8_P12ihipStream_tbDpT10_ENKUlT_T0_E_clISt17integral_constantIbLb0EES18_EEDaS13_S14_EUlS13_E_NS1_11comp_targetILNS1_3genE9ELNS1_11target_archE1100ELNS1_3gpuE3ELNS1_3repE0EEENS1_30default_config_static_selectorELNS0_4arch9wavefront6targetE0EEEvT1_.uses_flat_scratch, 0
	.set _ZN7rocprim17ROCPRIM_400000_NS6detail17trampoline_kernelINS0_14default_configENS1_25partition_config_selectorILNS1_17partition_subalgoE6EfNS0_10empty_typeEbEEZZNS1_14partition_implILS5_6ELb0ES3_mN6thrust23THRUST_200600_302600_NS6detail15normal_iteratorINSA_10device_ptrIfEEEEPS6_SG_NS0_5tupleIJSF_S6_EEENSH_IJSG_SG_EEES6_PlJNSB_9not_fun_tI7is_evenIfEEEEEE10hipError_tPvRmT3_T4_T5_T6_T7_T9_mT8_P12ihipStream_tbDpT10_ENKUlT_T0_E_clISt17integral_constantIbLb0EES18_EEDaS13_S14_EUlS13_E_NS1_11comp_targetILNS1_3genE9ELNS1_11target_archE1100ELNS1_3gpuE3ELNS1_3repE0EEENS1_30default_config_static_selectorELNS0_4arch9wavefront6targetE0EEEvT1_.has_dyn_sized_stack, 0
	.set _ZN7rocprim17ROCPRIM_400000_NS6detail17trampoline_kernelINS0_14default_configENS1_25partition_config_selectorILNS1_17partition_subalgoE6EfNS0_10empty_typeEbEEZZNS1_14partition_implILS5_6ELb0ES3_mN6thrust23THRUST_200600_302600_NS6detail15normal_iteratorINSA_10device_ptrIfEEEEPS6_SG_NS0_5tupleIJSF_S6_EEENSH_IJSG_SG_EEES6_PlJNSB_9not_fun_tI7is_evenIfEEEEEE10hipError_tPvRmT3_T4_T5_T6_T7_T9_mT8_P12ihipStream_tbDpT10_ENKUlT_T0_E_clISt17integral_constantIbLb0EES18_EEDaS13_S14_EUlS13_E_NS1_11comp_targetILNS1_3genE9ELNS1_11target_archE1100ELNS1_3gpuE3ELNS1_3repE0EEENS1_30default_config_static_selectorELNS0_4arch9wavefront6targetE0EEEvT1_.has_recursion, 0
	.set _ZN7rocprim17ROCPRIM_400000_NS6detail17trampoline_kernelINS0_14default_configENS1_25partition_config_selectorILNS1_17partition_subalgoE6EfNS0_10empty_typeEbEEZZNS1_14partition_implILS5_6ELb0ES3_mN6thrust23THRUST_200600_302600_NS6detail15normal_iteratorINSA_10device_ptrIfEEEEPS6_SG_NS0_5tupleIJSF_S6_EEENSH_IJSG_SG_EEES6_PlJNSB_9not_fun_tI7is_evenIfEEEEEE10hipError_tPvRmT3_T4_T5_T6_T7_T9_mT8_P12ihipStream_tbDpT10_ENKUlT_T0_E_clISt17integral_constantIbLb0EES18_EEDaS13_S14_EUlS13_E_NS1_11comp_targetILNS1_3genE9ELNS1_11target_archE1100ELNS1_3gpuE3ELNS1_3repE0EEENS1_30default_config_static_selectorELNS0_4arch9wavefront6targetE0EEEvT1_.has_indirect_call, 0
	.section	.AMDGPU.csdata,"",@progbits
; Kernel info:
; codeLenInByte = 0
; TotalNumSgprs: 0
; NumVgprs: 0
; ScratchSize: 0
; MemoryBound: 0
; FloatMode: 240
; IeeeMode: 1
; LDSByteSize: 0 bytes/workgroup (compile time only)
; SGPRBlocks: 0
; VGPRBlocks: 0
; NumSGPRsForWavesPerEU: 1
; NumVGPRsForWavesPerEU: 1
; Occupancy: 16
; WaveLimiterHint : 0
; COMPUTE_PGM_RSRC2:SCRATCH_EN: 0
; COMPUTE_PGM_RSRC2:USER_SGPR: 2
; COMPUTE_PGM_RSRC2:TRAP_HANDLER: 0
; COMPUTE_PGM_RSRC2:TGID_X_EN: 1
; COMPUTE_PGM_RSRC2:TGID_Y_EN: 0
; COMPUTE_PGM_RSRC2:TGID_Z_EN: 0
; COMPUTE_PGM_RSRC2:TIDIG_COMP_CNT: 0
	.section	.text._ZN7rocprim17ROCPRIM_400000_NS6detail17trampoline_kernelINS0_14default_configENS1_25partition_config_selectorILNS1_17partition_subalgoE6EfNS0_10empty_typeEbEEZZNS1_14partition_implILS5_6ELb0ES3_mN6thrust23THRUST_200600_302600_NS6detail15normal_iteratorINSA_10device_ptrIfEEEEPS6_SG_NS0_5tupleIJSF_S6_EEENSH_IJSG_SG_EEES6_PlJNSB_9not_fun_tI7is_evenIfEEEEEE10hipError_tPvRmT3_T4_T5_T6_T7_T9_mT8_P12ihipStream_tbDpT10_ENKUlT_T0_E_clISt17integral_constantIbLb0EES18_EEDaS13_S14_EUlS13_E_NS1_11comp_targetILNS1_3genE8ELNS1_11target_archE1030ELNS1_3gpuE2ELNS1_3repE0EEENS1_30default_config_static_selectorELNS0_4arch9wavefront6targetE0EEEvT1_,"axG",@progbits,_ZN7rocprim17ROCPRIM_400000_NS6detail17trampoline_kernelINS0_14default_configENS1_25partition_config_selectorILNS1_17partition_subalgoE6EfNS0_10empty_typeEbEEZZNS1_14partition_implILS5_6ELb0ES3_mN6thrust23THRUST_200600_302600_NS6detail15normal_iteratorINSA_10device_ptrIfEEEEPS6_SG_NS0_5tupleIJSF_S6_EEENSH_IJSG_SG_EEES6_PlJNSB_9not_fun_tI7is_evenIfEEEEEE10hipError_tPvRmT3_T4_T5_T6_T7_T9_mT8_P12ihipStream_tbDpT10_ENKUlT_T0_E_clISt17integral_constantIbLb0EES18_EEDaS13_S14_EUlS13_E_NS1_11comp_targetILNS1_3genE8ELNS1_11target_archE1030ELNS1_3gpuE2ELNS1_3repE0EEENS1_30default_config_static_selectorELNS0_4arch9wavefront6targetE0EEEvT1_,comdat
	.protected	_ZN7rocprim17ROCPRIM_400000_NS6detail17trampoline_kernelINS0_14default_configENS1_25partition_config_selectorILNS1_17partition_subalgoE6EfNS0_10empty_typeEbEEZZNS1_14partition_implILS5_6ELb0ES3_mN6thrust23THRUST_200600_302600_NS6detail15normal_iteratorINSA_10device_ptrIfEEEEPS6_SG_NS0_5tupleIJSF_S6_EEENSH_IJSG_SG_EEES6_PlJNSB_9not_fun_tI7is_evenIfEEEEEE10hipError_tPvRmT3_T4_T5_T6_T7_T9_mT8_P12ihipStream_tbDpT10_ENKUlT_T0_E_clISt17integral_constantIbLb0EES18_EEDaS13_S14_EUlS13_E_NS1_11comp_targetILNS1_3genE8ELNS1_11target_archE1030ELNS1_3gpuE2ELNS1_3repE0EEENS1_30default_config_static_selectorELNS0_4arch9wavefront6targetE0EEEvT1_ ; -- Begin function _ZN7rocprim17ROCPRIM_400000_NS6detail17trampoline_kernelINS0_14default_configENS1_25partition_config_selectorILNS1_17partition_subalgoE6EfNS0_10empty_typeEbEEZZNS1_14partition_implILS5_6ELb0ES3_mN6thrust23THRUST_200600_302600_NS6detail15normal_iteratorINSA_10device_ptrIfEEEEPS6_SG_NS0_5tupleIJSF_S6_EEENSH_IJSG_SG_EEES6_PlJNSB_9not_fun_tI7is_evenIfEEEEEE10hipError_tPvRmT3_T4_T5_T6_T7_T9_mT8_P12ihipStream_tbDpT10_ENKUlT_T0_E_clISt17integral_constantIbLb0EES18_EEDaS13_S14_EUlS13_E_NS1_11comp_targetILNS1_3genE8ELNS1_11target_archE1030ELNS1_3gpuE2ELNS1_3repE0EEENS1_30default_config_static_selectorELNS0_4arch9wavefront6targetE0EEEvT1_
	.globl	_ZN7rocprim17ROCPRIM_400000_NS6detail17trampoline_kernelINS0_14default_configENS1_25partition_config_selectorILNS1_17partition_subalgoE6EfNS0_10empty_typeEbEEZZNS1_14partition_implILS5_6ELb0ES3_mN6thrust23THRUST_200600_302600_NS6detail15normal_iteratorINSA_10device_ptrIfEEEEPS6_SG_NS0_5tupleIJSF_S6_EEENSH_IJSG_SG_EEES6_PlJNSB_9not_fun_tI7is_evenIfEEEEEE10hipError_tPvRmT3_T4_T5_T6_T7_T9_mT8_P12ihipStream_tbDpT10_ENKUlT_T0_E_clISt17integral_constantIbLb0EES18_EEDaS13_S14_EUlS13_E_NS1_11comp_targetILNS1_3genE8ELNS1_11target_archE1030ELNS1_3gpuE2ELNS1_3repE0EEENS1_30default_config_static_selectorELNS0_4arch9wavefront6targetE0EEEvT1_
	.p2align	8
	.type	_ZN7rocprim17ROCPRIM_400000_NS6detail17trampoline_kernelINS0_14default_configENS1_25partition_config_selectorILNS1_17partition_subalgoE6EfNS0_10empty_typeEbEEZZNS1_14partition_implILS5_6ELb0ES3_mN6thrust23THRUST_200600_302600_NS6detail15normal_iteratorINSA_10device_ptrIfEEEEPS6_SG_NS0_5tupleIJSF_S6_EEENSH_IJSG_SG_EEES6_PlJNSB_9not_fun_tI7is_evenIfEEEEEE10hipError_tPvRmT3_T4_T5_T6_T7_T9_mT8_P12ihipStream_tbDpT10_ENKUlT_T0_E_clISt17integral_constantIbLb0EES18_EEDaS13_S14_EUlS13_E_NS1_11comp_targetILNS1_3genE8ELNS1_11target_archE1030ELNS1_3gpuE2ELNS1_3repE0EEENS1_30default_config_static_selectorELNS0_4arch9wavefront6targetE0EEEvT1_,@function
_ZN7rocprim17ROCPRIM_400000_NS6detail17trampoline_kernelINS0_14default_configENS1_25partition_config_selectorILNS1_17partition_subalgoE6EfNS0_10empty_typeEbEEZZNS1_14partition_implILS5_6ELb0ES3_mN6thrust23THRUST_200600_302600_NS6detail15normal_iteratorINSA_10device_ptrIfEEEEPS6_SG_NS0_5tupleIJSF_S6_EEENSH_IJSG_SG_EEES6_PlJNSB_9not_fun_tI7is_evenIfEEEEEE10hipError_tPvRmT3_T4_T5_T6_T7_T9_mT8_P12ihipStream_tbDpT10_ENKUlT_T0_E_clISt17integral_constantIbLb0EES18_EEDaS13_S14_EUlS13_E_NS1_11comp_targetILNS1_3genE8ELNS1_11target_archE1030ELNS1_3gpuE2ELNS1_3repE0EEENS1_30default_config_static_selectorELNS0_4arch9wavefront6targetE0EEEvT1_: ; @_ZN7rocprim17ROCPRIM_400000_NS6detail17trampoline_kernelINS0_14default_configENS1_25partition_config_selectorILNS1_17partition_subalgoE6EfNS0_10empty_typeEbEEZZNS1_14partition_implILS5_6ELb0ES3_mN6thrust23THRUST_200600_302600_NS6detail15normal_iteratorINSA_10device_ptrIfEEEEPS6_SG_NS0_5tupleIJSF_S6_EEENSH_IJSG_SG_EEES6_PlJNSB_9not_fun_tI7is_evenIfEEEEEE10hipError_tPvRmT3_T4_T5_T6_T7_T9_mT8_P12ihipStream_tbDpT10_ENKUlT_T0_E_clISt17integral_constantIbLb0EES18_EEDaS13_S14_EUlS13_E_NS1_11comp_targetILNS1_3genE8ELNS1_11target_archE1030ELNS1_3gpuE2ELNS1_3repE0EEENS1_30default_config_static_selectorELNS0_4arch9wavefront6targetE0EEEvT1_
; %bb.0:
	.section	.rodata,"a",@progbits
	.p2align	6, 0x0
	.amdhsa_kernel _ZN7rocprim17ROCPRIM_400000_NS6detail17trampoline_kernelINS0_14default_configENS1_25partition_config_selectorILNS1_17partition_subalgoE6EfNS0_10empty_typeEbEEZZNS1_14partition_implILS5_6ELb0ES3_mN6thrust23THRUST_200600_302600_NS6detail15normal_iteratorINSA_10device_ptrIfEEEEPS6_SG_NS0_5tupleIJSF_S6_EEENSH_IJSG_SG_EEES6_PlJNSB_9not_fun_tI7is_evenIfEEEEEE10hipError_tPvRmT3_T4_T5_T6_T7_T9_mT8_P12ihipStream_tbDpT10_ENKUlT_T0_E_clISt17integral_constantIbLb0EES18_EEDaS13_S14_EUlS13_E_NS1_11comp_targetILNS1_3genE8ELNS1_11target_archE1030ELNS1_3gpuE2ELNS1_3repE0EEENS1_30default_config_static_selectorELNS0_4arch9wavefront6targetE0EEEvT1_
		.amdhsa_group_segment_fixed_size 0
		.amdhsa_private_segment_fixed_size 0
		.amdhsa_kernarg_size 112
		.amdhsa_user_sgpr_count 2
		.amdhsa_user_sgpr_dispatch_ptr 0
		.amdhsa_user_sgpr_queue_ptr 0
		.amdhsa_user_sgpr_kernarg_segment_ptr 1
		.amdhsa_user_sgpr_dispatch_id 0
		.amdhsa_user_sgpr_private_segment_size 0
		.amdhsa_wavefront_size32 1
		.amdhsa_uses_dynamic_stack 0
		.amdhsa_enable_private_segment 0
		.amdhsa_system_sgpr_workgroup_id_x 1
		.amdhsa_system_sgpr_workgroup_id_y 0
		.amdhsa_system_sgpr_workgroup_id_z 0
		.amdhsa_system_sgpr_workgroup_info 0
		.amdhsa_system_vgpr_workitem_id 0
		.amdhsa_next_free_vgpr 1
		.amdhsa_next_free_sgpr 1
		.amdhsa_reserve_vcc 0
		.amdhsa_float_round_mode_32 0
		.amdhsa_float_round_mode_16_64 0
		.amdhsa_float_denorm_mode_32 3
		.amdhsa_float_denorm_mode_16_64 3
		.amdhsa_fp16_overflow 0
		.amdhsa_workgroup_processor_mode 1
		.amdhsa_memory_ordered 1
		.amdhsa_forward_progress 1
		.amdhsa_inst_pref_size 0
		.amdhsa_round_robin_scheduling 0
		.amdhsa_exception_fp_ieee_invalid_op 0
		.amdhsa_exception_fp_denorm_src 0
		.amdhsa_exception_fp_ieee_div_zero 0
		.amdhsa_exception_fp_ieee_overflow 0
		.amdhsa_exception_fp_ieee_underflow 0
		.amdhsa_exception_fp_ieee_inexact 0
		.amdhsa_exception_int_div_zero 0
	.end_amdhsa_kernel
	.section	.text._ZN7rocprim17ROCPRIM_400000_NS6detail17trampoline_kernelINS0_14default_configENS1_25partition_config_selectorILNS1_17partition_subalgoE6EfNS0_10empty_typeEbEEZZNS1_14partition_implILS5_6ELb0ES3_mN6thrust23THRUST_200600_302600_NS6detail15normal_iteratorINSA_10device_ptrIfEEEEPS6_SG_NS0_5tupleIJSF_S6_EEENSH_IJSG_SG_EEES6_PlJNSB_9not_fun_tI7is_evenIfEEEEEE10hipError_tPvRmT3_T4_T5_T6_T7_T9_mT8_P12ihipStream_tbDpT10_ENKUlT_T0_E_clISt17integral_constantIbLb0EES18_EEDaS13_S14_EUlS13_E_NS1_11comp_targetILNS1_3genE8ELNS1_11target_archE1030ELNS1_3gpuE2ELNS1_3repE0EEENS1_30default_config_static_selectorELNS0_4arch9wavefront6targetE0EEEvT1_,"axG",@progbits,_ZN7rocprim17ROCPRIM_400000_NS6detail17trampoline_kernelINS0_14default_configENS1_25partition_config_selectorILNS1_17partition_subalgoE6EfNS0_10empty_typeEbEEZZNS1_14partition_implILS5_6ELb0ES3_mN6thrust23THRUST_200600_302600_NS6detail15normal_iteratorINSA_10device_ptrIfEEEEPS6_SG_NS0_5tupleIJSF_S6_EEENSH_IJSG_SG_EEES6_PlJNSB_9not_fun_tI7is_evenIfEEEEEE10hipError_tPvRmT3_T4_T5_T6_T7_T9_mT8_P12ihipStream_tbDpT10_ENKUlT_T0_E_clISt17integral_constantIbLb0EES18_EEDaS13_S14_EUlS13_E_NS1_11comp_targetILNS1_3genE8ELNS1_11target_archE1030ELNS1_3gpuE2ELNS1_3repE0EEENS1_30default_config_static_selectorELNS0_4arch9wavefront6targetE0EEEvT1_,comdat
.Lfunc_end572:
	.size	_ZN7rocprim17ROCPRIM_400000_NS6detail17trampoline_kernelINS0_14default_configENS1_25partition_config_selectorILNS1_17partition_subalgoE6EfNS0_10empty_typeEbEEZZNS1_14partition_implILS5_6ELb0ES3_mN6thrust23THRUST_200600_302600_NS6detail15normal_iteratorINSA_10device_ptrIfEEEEPS6_SG_NS0_5tupleIJSF_S6_EEENSH_IJSG_SG_EEES6_PlJNSB_9not_fun_tI7is_evenIfEEEEEE10hipError_tPvRmT3_T4_T5_T6_T7_T9_mT8_P12ihipStream_tbDpT10_ENKUlT_T0_E_clISt17integral_constantIbLb0EES18_EEDaS13_S14_EUlS13_E_NS1_11comp_targetILNS1_3genE8ELNS1_11target_archE1030ELNS1_3gpuE2ELNS1_3repE0EEENS1_30default_config_static_selectorELNS0_4arch9wavefront6targetE0EEEvT1_, .Lfunc_end572-_ZN7rocprim17ROCPRIM_400000_NS6detail17trampoline_kernelINS0_14default_configENS1_25partition_config_selectorILNS1_17partition_subalgoE6EfNS0_10empty_typeEbEEZZNS1_14partition_implILS5_6ELb0ES3_mN6thrust23THRUST_200600_302600_NS6detail15normal_iteratorINSA_10device_ptrIfEEEEPS6_SG_NS0_5tupleIJSF_S6_EEENSH_IJSG_SG_EEES6_PlJNSB_9not_fun_tI7is_evenIfEEEEEE10hipError_tPvRmT3_T4_T5_T6_T7_T9_mT8_P12ihipStream_tbDpT10_ENKUlT_T0_E_clISt17integral_constantIbLb0EES18_EEDaS13_S14_EUlS13_E_NS1_11comp_targetILNS1_3genE8ELNS1_11target_archE1030ELNS1_3gpuE2ELNS1_3repE0EEENS1_30default_config_static_selectorELNS0_4arch9wavefront6targetE0EEEvT1_
                                        ; -- End function
	.set _ZN7rocprim17ROCPRIM_400000_NS6detail17trampoline_kernelINS0_14default_configENS1_25partition_config_selectorILNS1_17partition_subalgoE6EfNS0_10empty_typeEbEEZZNS1_14partition_implILS5_6ELb0ES3_mN6thrust23THRUST_200600_302600_NS6detail15normal_iteratorINSA_10device_ptrIfEEEEPS6_SG_NS0_5tupleIJSF_S6_EEENSH_IJSG_SG_EEES6_PlJNSB_9not_fun_tI7is_evenIfEEEEEE10hipError_tPvRmT3_T4_T5_T6_T7_T9_mT8_P12ihipStream_tbDpT10_ENKUlT_T0_E_clISt17integral_constantIbLb0EES18_EEDaS13_S14_EUlS13_E_NS1_11comp_targetILNS1_3genE8ELNS1_11target_archE1030ELNS1_3gpuE2ELNS1_3repE0EEENS1_30default_config_static_selectorELNS0_4arch9wavefront6targetE0EEEvT1_.num_vgpr, 0
	.set _ZN7rocprim17ROCPRIM_400000_NS6detail17trampoline_kernelINS0_14default_configENS1_25partition_config_selectorILNS1_17partition_subalgoE6EfNS0_10empty_typeEbEEZZNS1_14partition_implILS5_6ELb0ES3_mN6thrust23THRUST_200600_302600_NS6detail15normal_iteratorINSA_10device_ptrIfEEEEPS6_SG_NS0_5tupleIJSF_S6_EEENSH_IJSG_SG_EEES6_PlJNSB_9not_fun_tI7is_evenIfEEEEEE10hipError_tPvRmT3_T4_T5_T6_T7_T9_mT8_P12ihipStream_tbDpT10_ENKUlT_T0_E_clISt17integral_constantIbLb0EES18_EEDaS13_S14_EUlS13_E_NS1_11comp_targetILNS1_3genE8ELNS1_11target_archE1030ELNS1_3gpuE2ELNS1_3repE0EEENS1_30default_config_static_selectorELNS0_4arch9wavefront6targetE0EEEvT1_.num_agpr, 0
	.set _ZN7rocprim17ROCPRIM_400000_NS6detail17trampoline_kernelINS0_14default_configENS1_25partition_config_selectorILNS1_17partition_subalgoE6EfNS0_10empty_typeEbEEZZNS1_14partition_implILS5_6ELb0ES3_mN6thrust23THRUST_200600_302600_NS6detail15normal_iteratorINSA_10device_ptrIfEEEEPS6_SG_NS0_5tupleIJSF_S6_EEENSH_IJSG_SG_EEES6_PlJNSB_9not_fun_tI7is_evenIfEEEEEE10hipError_tPvRmT3_T4_T5_T6_T7_T9_mT8_P12ihipStream_tbDpT10_ENKUlT_T0_E_clISt17integral_constantIbLb0EES18_EEDaS13_S14_EUlS13_E_NS1_11comp_targetILNS1_3genE8ELNS1_11target_archE1030ELNS1_3gpuE2ELNS1_3repE0EEENS1_30default_config_static_selectorELNS0_4arch9wavefront6targetE0EEEvT1_.numbered_sgpr, 0
	.set _ZN7rocprim17ROCPRIM_400000_NS6detail17trampoline_kernelINS0_14default_configENS1_25partition_config_selectorILNS1_17partition_subalgoE6EfNS0_10empty_typeEbEEZZNS1_14partition_implILS5_6ELb0ES3_mN6thrust23THRUST_200600_302600_NS6detail15normal_iteratorINSA_10device_ptrIfEEEEPS6_SG_NS0_5tupleIJSF_S6_EEENSH_IJSG_SG_EEES6_PlJNSB_9not_fun_tI7is_evenIfEEEEEE10hipError_tPvRmT3_T4_T5_T6_T7_T9_mT8_P12ihipStream_tbDpT10_ENKUlT_T0_E_clISt17integral_constantIbLb0EES18_EEDaS13_S14_EUlS13_E_NS1_11comp_targetILNS1_3genE8ELNS1_11target_archE1030ELNS1_3gpuE2ELNS1_3repE0EEENS1_30default_config_static_selectorELNS0_4arch9wavefront6targetE0EEEvT1_.num_named_barrier, 0
	.set _ZN7rocprim17ROCPRIM_400000_NS6detail17trampoline_kernelINS0_14default_configENS1_25partition_config_selectorILNS1_17partition_subalgoE6EfNS0_10empty_typeEbEEZZNS1_14partition_implILS5_6ELb0ES3_mN6thrust23THRUST_200600_302600_NS6detail15normal_iteratorINSA_10device_ptrIfEEEEPS6_SG_NS0_5tupleIJSF_S6_EEENSH_IJSG_SG_EEES6_PlJNSB_9not_fun_tI7is_evenIfEEEEEE10hipError_tPvRmT3_T4_T5_T6_T7_T9_mT8_P12ihipStream_tbDpT10_ENKUlT_T0_E_clISt17integral_constantIbLb0EES18_EEDaS13_S14_EUlS13_E_NS1_11comp_targetILNS1_3genE8ELNS1_11target_archE1030ELNS1_3gpuE2ELNS1_3repE0EEENS1_30default_config_static_selectorELNS0_4arch9wavefront6targetE0EEEvT1_.private_seg_size, 0
	.set _ZN7rocprim17ROCPRIM_400000_NS6detail17trampoline_kernelINS0_14default_configENS1_25partition_config_selectorILNS1_17partition_subalgoE6EfNS0_10empty_typeEbEEZZNS1_14partition_implILS5_6ELb0ES3_mN6thrust23THRUST_200600_302600_NS6detail15normal_iteratorINSA_10device_ptrIfEEEEPS6_SG_NS0_5tupleIJSF_S6_EEENSH_IJSG_SG_EEES6_PlJNSB_9not_fun_tI7is_evenIfEEEEEE10hipError_tPvRmT3_T4_T5_T6_T7_T9_mT8_P12ihipStream_tbDpT10_ENKUlT_T0_E_clISt17integral_constantIbLb0EES18_EEDaS13_S14_EUlS13_E_NS1_11comp_targetILNS1_3genE8ELNS1_11target_archE1030ELNS1_3gpuE2ELNS1_3repE0EEENS1_30default_config_static_selectorELNS0_4arch9wavefront6targetE0EEEvT1_.uses_vcc, 0
	.set _ZN7rocprim17ROCPRIM_400000_NS6detail17trampoline_kernelINS0_14default_configENS1_25partition_config_selectorILNS1_17partition_subalgoE6EfNS0_10empty_typeEbEEZZNS1_14partition_implILS5_6ELb0ES3_mN6thrust23THRUST_200600_302600_NS6detail15normal_iteratorINSA_10device_ptrIfEEEEPS6_SG_NS0_5tupleIJSF_S6_EEENSH_IJSG_SG_EEES6_PlJNSB_9not_fun_tI7is_evenIfEEEEEE10hipError_tPvRmT3_T4_T5_T6_T7_T9_mT8_P12ihipStream_tbDpT10_ENKUlT_T0_E_clISt17integral_constantIbLb0EES18_EEDaS13_S14_EUlS13_E_NS1_11comp_targetILNS1_3genE8ELNS1_11target_archE1030ELNS1_3gpuE2ELNS1_3repE0EEENS1_30default_config_static_selectorELNS0_4arch9wavefront6targetE0EEEvT1_.uses_flat_scratch, 0
	.set _ZN7rocprim17ROCPRIM_400000_NS6detail17trampoline_kernelINS0_14default_configENS1_25partition_config_selectorILNS1_17partition_subalgoE6EfNS0_10empty_typeEbEEZZNS1_14partition_implILS5_6ELb0ES3_mN6thrust23THRUST_200600_302600_NS6detail15normal_iteratorINSA_10device_ptrIfEEEEPS6_SG_NS0_5tupleIJSF_S6_EEENSH_IJSG_SG_EEES6_PlJNSB_9not_fun_tI7is_evenIfEEEEEE10hipError_tPvRmT3_T4_T5_T6_T7_T9_mT8_P12ihipStream_tbDpT10_ENKUlT_T0_E_clISt17integral_constantIbLb0EES18_EEDaS13_S14_EUlS13_E_NS1_11comp_targetILNS1_3genE8ELNS1_11target_archE1030ELNS1_3gpuE2ELNS1_3repE0EEENS1_30default_config_static_selectorELNS0_4arch9wavefront6targetE0EEEvT1_.has_dyn_sized_stack, 0
	.set _ZN7rocprim17ROCPRIM_400000_NS6detail17trampoline_kernelINS0_14default_configENS1_25partition_config_selectorILNS1_17partition_subalgoE6EfNS0_10empty_typeEbEEZZNS1_14partition_implILS5_6ELb0ES3_mN6thrust23THRUST_200600_302600_NS6detail15normal_iteratorINSA_10device_ptrIfEEEEPS6_SG_NS0_5tupleIJSF_S6_EEENSH_IJSG_SG_EEES6_PlJNSB_9not_fun_tI7is_evenIfEEEEEE10hipError_tPvRmT3_T4_T5_T6_T7_T9_mT8_P12ihipStream_tbDpT10_ENKUlT_T0_E_clISt17integral_constantIbLb0EES18_EEDaS13_S14_EUlS13_E_NS1_11comp_targetILNS1_3genE8ELNS1_11target_archE1030ELNS1_3gpuE2ELNS1_3repE0EEENS1_30default_config_static_selectorELNS0_4arch9wavefront6targetE0EEEvT1_.has_recursion, 0
	.set _ZN7rocprim17ROCPRIM_400000_NS6detail17trampoline_kernelINS0_14default_configENS1_25partition_config_selectorILNS1_17partition_subalgoE6EfNS0_10empty_typeEbEEZZNS1_14partition_implILS5_6ELb0ES3_mN6thrust23THRUST_200600_302600_NS6detail15normal_iteratorINSA_10device_ptrIfEEEEPS6_SG_NS0_5tupleIJSF_S6_EEENSH_IJSG_SG_EEES6_PlJNSB_9not_fun_tI7is_evenIfEEEEEE10hipError_tPvRmT3_T4_T5_T6_T7_T9_mT8_P12ihipStream_tbDpT10_ENKUlT_T0_E_clISt17integral_constantIbLb0EES18_EEDaS13_S14_EUlS13_E_NS1_11comp_targetILNS1_3genE8ELNS1_11target_archE1030ELNS1_3gpuE2ELNS1_3repE0EEENS1_30default_config_static_selectorELNS0_4arch9wavefront6targetE0EEEvT1_.has_indirect_call, 0
	.section	.AMDGPU.csdata,"",@progbits
; Kernel info:
; codeLenInByte = 0
; TotalNumSgprs: 0
; NumVgprs: 0
; ScratchSize: 0
; MemoryBound: 0
; FloatMode: 240
; IeeeMode: 1
; LDSByteSize: 0 bytes/workgroup (compile time only)
; SGPRBlocks: 0
; VGPRBlocks: 0
; NumSGPRsForWavesPerEU: 1
; NumVGPRsForWavesPerEU: 1
; Occupancy: 16
; WaveLimiterHint : 0
; COMPUTE_PGM_RSRC2:SCRATCH_EN: 0
; COMPUTE_PGM_RSRC2:USER_SGPR: 2
; COMPUTE_PGM_RSRC2:TRAP_HANDLER: 0
; COMPUTE_PGM_RSRC2:TGID_X_EN: 1
; COMPUTE_PGM_RSRC2:TGID_Y_EN: 0
; COMPUTE_PGM_RSRC2:TGID_Z_EN: 0
; COMPUTE_PGM_RSRC2:TIDIG_COMP_CNT: 0
	.section	.text._ZN7rocprim17ROCPRIM_400000_NS6detail17trampoline_kernelINS0_14default_configENS1_25partition_config_selectorILNS1_17partition_subalgoE6EfNS0_10empty_typeEbEEZZNS1_14partition_implILS5_6ELb0ES3_mN6thrust23THRUST_200600_302600_NS6detail15normal_iteratorINSA_10device_ptrIfEEEEPS6_SG_NS0_5tupleIJSF_S6_EEENSH_IJSG_SG_EEES6_PlJNSB_9not_fun_tI7is_evenIfEEEEEE10hipError_tPvRmT3_T4_T5_T6_T7_T9_mT8_P12ihipStream_tbDpT10_ENKUlT_T0_E_clISt17integral_constantIbLb1EES18_EEDaS13_S14_EUlS13_E_NS1_11comp_targetILNS1_3genE0ELNS1_11target_archE4294967295ELNS1_3gpuE0ELNS1_3repE0EEENS1_30default_config_static_selectorELNS0_4arch9wavefront6targetE0EEEvT1_,"axG",@progbits,_ZN7rocprim17ROCPRIM_400000_NS6detail17trampoline_kernelINS0_14default_configENS1_25partition_config_selectorILNS1_17partition_subalgoE6EfNS0_10empty_typeEbEEZZNS1_14partition_implILS5_6ELb0ES3_mN6thrust23THRUST_200600_302600_NS6detail15normal_iteratorINSA_10device_ptrIfEEEEPS6_SG_NS0_5tupleIJSF_S6_EEENSH_IJSG_SG_EEES6_PlJNSB_9not_fun_tI7is_evenIfEEEEEE10hipError_tPvRmT3_T4_T5_T6_T7_T9_mT8_P12ihipStream_tbDpT10_ENKUlT_T0_E_clISt17integral_constantIbLb1EES18_EEDaS13_S14_EUlS13_E_NS1_11comp_targetILNS1_3genE0ELNS1_11target_archE4294967295ELNS1_3gpuE0ELNS1_3repE0EEENS1_30default_config_static_selectorELNS0_4arch9wavefront6targetE0EEEvT1_,comdat
	.protected	_ZN7rocprim17ROCPRIM_400000_NS6detail17trampoline_kernelINS0_14default_configENS1_25partition_config_selectorILNS1_17partition_subalgoE6EfNS0_10empty_typeEbEEZZNS1_14partition_implILS5_6ELb0ES3_mN6thrust23THRUST_200600_302600_NS6detail15normal_iteratorINSA_10device_ptrIfEEEEPS6_SG_NS0_5tupleIJSF_S6_EEENSH_IJSG_SG_EEES6_PlJNSB_9not_fun_tI7is_evenIfEEEEEE10hipError_tPvRmT3_T4_T5_T6_T7_T9_mT8_P12ihipStream_tbDpT10_ENKUlT_T0_E_clISt17integral_constantIbLb1EES18_EEDaS13_S14_EUlS13_E_NS1_11comp_targetILNS1_3genE0ELNS1_11target_archE4294967295ELNS1_3gpuE0ELNS1_3repE0EEENS1_30default_config_static_selectorELNS0_4arch9wavefront6targetE0EEEvT1_ ; -- Begin function _ZN7rocprim17ROCPRIM_400000_NS6detail17trampoline_kernelINS0_14default_configENS1_25partition_config_selectorILNS1_17partition_subalgoE6EfNS0_10empty_typeEbEEZZNS1_14partition_implILS5_6ELb0ES3_mN6thrust23THRUST_200600_302600_NS6detail15normal_iteratorINSA_10device_ptrIfEEEEPS6_SG_NS0_5tupleIJSF_S6_EEENSH_IJSG_SG_EEES6_PlJNSB_9not_fun_tI7is_evenIfEEEEEE10hipError_tPvRmT3_T4_T5_T6_T7_T9_mT8_P12ihipStream_tbDpT10_ENKUlT_T0_E_clISt17integral_constantIbLb1EES18_EEDaS13_S14_EUlS13_E_NS1_11comp_targetILNS1_3genE0ELNS1_11target_archE4294967295ELNS1_3gpuE0ELNS1_3repE0EEENS1_30default_config_static_selectorELNS0_4arch9wavefront6targetE0EEEvT1_
	.globl	_ZN7rocprim17ROCPRIM_400000_NS6detail17trampoline_kernelINS0_14default_configENS1_25partition_config_selectorILNS1_17partition_subalgoE6EfNS0_10empty_typeEbEEZZNS1_14partition_implILS5_6ELb0ES3_mN6thrust23THRUST_200600_302600_NS6detail15normal_iteratorINSA_10device_ptrIfEEEEPS6_SG_NS0_5tupleIJSF_S6_EEENSH_IJSG_SG_EEES6_PlJNSB_9not_fun_tI7is_evenIfEEEEEE10hipError_tPvRmT3_T4_T5_T6_T7_T9_mT8_P12ihipStream_tbDpT10_ENKUlT_T0_E_clISt17integral_constantIbLb1EES18_EEDaS13_S14_EUlS13_E_NS1_11comp_targetILNS1_3genE0ELNS1_11target_archE4294967295ELNS1_3gpuE0ELNS1_3repE0EEENS1_30default_config_static_selectorELNS0_4arch9wavefront6targetE0EEEvT1_
	.p2align	8
	.type	_ZN7rocprim17ROCPRIM_400000_NS6detail17trampoline_kernelINS0_14default_configENS1_25partition_config_selectorILNS1_17partition_subalgoE6EfNS0_10empty_typeEbEEZZNS1_14partition_implILS5_6ELb0ES3_mN6thrust23THRUST_200600_302600_NS6detail15normal_iteratorINSA_10device_ptrIfEEEEPS6_SG_NS0_5tupleIJSF_S6_EEENSH_IJSG_SG_EEES6_PlJNSB_9not_fun_tI7is_evenIfEEEEEE10hipError_tPvRmT3_T4_T5_T6_T7_T9_mT8_P12ihipStream_tbDpT10_ENKUlT_T0_E_clISt17integral_constantIbLb1EES18_EEDaS13_S14_EUlS13_E_NS1_11comp_targetILNS1_3genE0ELNS1_11target_archE4294967295ELNS1_3gpuE0ELNS1_3repE0EEENS1_30default_config_static_selectorELNS0_4arch9wavefront6targetE0EEEvT1_,@function
_ZN7rocprim17ROCPRIM_400000_NS6detail17trampoline_kernelINS0_14default_configENS1_25partition_config_selectorILNS1_17partition_subalgoE6EfNS0_10empty_typeEbEEZZNS1_14partition_implILS5_6ELb0ES3_mN6thrust23THRUST_200600_302600_NS6detail15normal_iteratorINSA_10device_ptrIfEEEEPS6_SG_NS0_5tupleIJSF_S6_EEENSH_IJSG_SG_EEES6_PlJNSB_9not_fun_tI7is_evenIfEEEEEE10hipError_tPvRmT3_T4_T5_T6_T7_T9_mT8_P12ihipStream_tbDpT10_ENKUlT_T0_E_clISt17integral_constantIbLb1EES18_EEDaS13_S14_EUlS13_E_NS1_11comp_targetILNS1_3genE0ELNS1_11target_archE4294967295ELNS1_3gpuE0ELNS1_3repE0EEENS1_30default_config_static_selectorELNS0_4arch9wavefront6targetE0EEEvT1_: ; @_ZN7rocprim17ROCPRIM_400000_NS6detail17trampoline_kernelINS0_14default_configENS1_25partition_config_selectorILNS1_17partition_subalgoE6EfNS0_10empty_typeEbEEZZNS1_14partition_implILS5_6ELb0ES3_mN6thrust23THRUST_200600_302600_NS6detail15normal_iteratorINSA_10device_ptrIfEEEEPS6_SG_NS0_5tupleIJSF_S6_EEENSH_IJSG_SG_EEES6_PlJNSB_9not_fun_tI7is_evenIfEEEEEE10hipError_tPvRmT3_T4_T5_T6_T7_T9_mT8_P12ihipStream_tbDpT10_ENKUlT_T0_E_clISt17integral_constantIbLb1EES18_EEDaS13_S14_EUlS13_E_NS1_11comp_targetILNS1_3genE0ELNS1_11target_archE4294967295ELNS1_3gpuE0ELNS1_3repE0EEENS1_30default_config_static_selectorELNS0_4arch9wavefront6targetE0EEEvT1_
; %bb.0:
	.section	.rodata,"a",@progbits
	.p2align	6, 0x0
	.amdhsa_kernel _ZN7rocprim17ROCPRIM_400000_NS6detail17trampoline_kernelINS0_14default_configENS1_25partition_config_selectorILNS1_17partition_subalgoE6EfNS0_10empty_typeEbEEZZNS1_14partition_implILS5_6ELb0ES3_mN6thrust23THRUST_200600_302600_NS6detail15normal_iteratorINSA_10device_ptrIfEEEEPS6_SG_NS0_5tupleIJSF_S6_EEENSH_IJSG_SG_EEES6_PlJNSB_9not_fun_tI7is_evenIfEEEEEE10hipError_tPvRmT3_T4_T5_T6_T7_T9_mT8_P12ihipStream_tbDpT10_ENKUlT_T0_E_clISt17integral_constantIbLb1EES18_EEDaS13_S14_EUlS13_E_NS1_11comp_targetILNS1_3genE0ELNS1_11target_archE4294967295ELNS1_3gpuE0ELNS1_3repE0EEENS1_30default_config_static_selectorELNS0_4arch9wavefront6targetE0EEEvT1_
		.amdhsa_group_segment_fixed_size 0
		.amdhsa_private_segment_fixed_size 0
		.amdhsa_kernarg_size 128
		.amdhsa_user_sgpr_count 2
		.amdhsa_user_sgpr_dispatch_ptr 0
		.amdhsa_user_sgpr_queue_ptr 0
		.amdhsa_user_sgpr_kernarg_segment_ptr 1
		.amdhsa_user_sgpr_dispatch_id 0
		.amdhsa_user_sgpr_private_segment_size 0
		.amdhsa_wavefront_size32 1
		.amdhsa_uses_dynamic_stack 0
		.amdhsa_enable_private_segment 0
		.amdhsa_system_sgpr_workgroup_id_x 1
		.amdhsa_system_sgpr_workgroup_id_y 0
		.amdhsa_system_sgpr_workgroup_id_z 0
		.amdhsa_system_sgpr_workgroup_info 0
		.amdhsa_system_vgpr_workitem_id 0
		.amdhsa_next_free_vgpr 1
		.amdhsa_next_free_sgpr 1
		.amdhsa_reserve_vcc 0
		.amdhsa_float_round_mode_32 0
		.amdhsa_float_round_mode_16_64 0
		.amdhsa_float_denorm_mode_32 3
		.amdhsa_float_denorm_mode_16_64 3
		.amdhsa_fp16_overflow 0
		.amdhsa_workgroup_processor_mode 1
		.amdhsa_memory_ordered 1
		.amdhsa_forward_progress 1
		.amdhsa_inst_pref_size 0
		.amdhsa_round_robin_scheduling 0
		.amdhsa_exception_fp_ieee_invalid_op 0
		.amdhsa_exception_fp_denorm_src 0
		.amdhsa_exception_fp_ieee_div_zero 0
		.amdhsa_exception_fp_ieee_overflow 0
		.amdhsa_exception_fp_ieee_underflow 0
		.amdhsa_exception_fp_ieee_inexact 0
		.amdhsa_exception_int_div_zero 0
	.end_amdhsa_kernel
	.section	.text._ZN7rocprim17ROCPRIM_400000_NS6detail17trampoline_kernelINS0_14default_configENS1_25partition_config_selectorILNS1_17partition_subalgoE6EfNS0_10empty_typeEbEEZZNS1_14partition_implILS5_6ELb0ES3_mN6thrust23THRUST_200600_302600_NS6detail15normal_iteratorINSA_10device_ptrIfEEEEPS6_SG_NS0_5tupleIJSF_S6_EEENSH_IJSG_SG_EEES6_PlJNSB_9not_fun_tI7is_evenIfEEEEEE10hipError_tPvRmT3_T4_T5_T6_T7_T9_mT8_P12ihipStream_tbDpT10_ENKUlT_T0_E_clISt17integral_constantIbLb1EES18_EEDaS13_S14_EUlS13_E_NS1_11comp_targetILNS1_3genE0ELNS1_11target_archE4294967295ELNS1_3gpuE0ELNS1_3repE0EEENS1_30default_config_static_selectorELNS0_4arch9wavefront6targetE0EEEvT1_,"axG",@progbits,_ZN7rocprim17ROCPRIM_400000_NS6detail17trampoline_kernelINS0_14default_configENS1_25partition_config_selectorILNS1_17partition_subalgoE6EfNS0_10empty_typeEbEEZZNS1_14partition_implILS5_6ELb0ES3_mN6thrust23THRUST_200600_302600_NS6detail15normal_iteratorINSA_10device_ptrIfEEEEPS6_SG_NS0_5tupleIJSF_S6_EEENSH_IJSG_SG_EEES6_PlJNSB_9not_fun_tI7is_evenIfEEEEEE10hipError_tPvRmT3_T4_T5_T6_T7_T9_mT8_P12ihipStream_tbDpT10_ENKUlT_T0_E_clISt17integral_constantIbLb1EES18_EEDaS13_S14_EUlS13_E_NS1_11comp_targetILNS1_3genE0ELNS1_11target_archE4294967295ELNS1_3gpuE0ELNS1_3repE0EEENS1_30default_config_static_selectorELNS0_4arch9wavefront6targetE0EEEvT1_,comdat
.Lfunc_end573:
	.size	_ZN7rocprim17ROCPRIM_400000_NS6detail17trampoline_kernelINS0_14default_configENS1_25partition_config_selectorILNS1_17partition_subalgoE6EfNS0_10empty_typeEbEEZZNS1_14partition_implILS5_6ELb0ES3_mN6thrust23THRUST_200600_302600_NS6detail15normal_iteratorINSA_10device_ptrIfEEEEPS6_SG_NS0_5tupleIJSF_S6_EEENSH_IJSG_SG_EEES6_PlJNSB_9not_fun_tI7is_evenIfEEEEEE10hipError_tPvRmT3_T4_T5_T6_T7_T9_mT8_P12ihipStream_tbDpT10_ENKUlT_T0_E_clISt17integral_constantIbLb1EES18_EEDaS13_S14_EUlS13_E_NS1_11comp_targetILNS1_3genE0ELNS1_11target_archE4294967295ELNS1_3gpuE0ELNS1_3repE0EEENS1_30default_config_static_selectorELNS0_4arch9wavefront6targetE0EEEvT1_, .Lfunc_end573-_ZN7rocprim17ROCPRIM_400000_NS6detail17trampoline_kernelINS0_14default_configENS1_25partition_config_selectorILNS1_17partition_subalgoE6EfNS0_10empty_typeEbEEZZNS1_14partition_implILS5_6ELb0ES3_mN6thrust23THRUST_200600_302600_NS6detail15normal_iteratorINSA_10device_ptrIfEEEEPS6_SG_NS0_5tupleIJSF_S6_EEENSH_IJSG_SG_EEES6_PlJNSB_9not_fun_tI7is_evenIfEEEEEE10hipError_tPvRmT3_T4_T5_T6_T7_T9_mT8_P12ihipStream_tbDpT10_ENKUlT_T0_E_clISt17integral_constantIbLb1EES18_EEDaS13_S14_EUlS13_E_NS1_11comp_targetILNS1_3genE0ELNS1_11target_archE4294967295ELNS1_3gpuE0ELNS1_3repE0EEENS1_30default_config_static_selectorELNS0_4arch9wavefront6targetE0EEEvT1_
                                        ; -- End function
	.set _ZN7rocprim17ROCPRIM_400000_NS6detail17trampoline_kernelINS0_14default_configENS1_25partition_config_selectorILNS1_17partition_subalgoE6EfNS0_10empty_typeEbEEZZNS1_14partition_implILS5_6ELb0ES3_mN6thrust23THRUST_200600_302600_NS6detail15normal_iteratorINSA_10device_ptrIfEEEEPS6_SG_NS0_5tupleIJSF_S6_EEENSH_IJSG_SG_EEES6_PlJNSB_9not_fun_tI7is_evenIfEEEEEE10hipError_tPvRmT3_T4_T5_T6_T7_T9_mT8_P12ihipStream_tbDpT10_ENKUlT_T0_E_clISt17integral_constantIbLb1EES18_EEDaS13_S14_EUlS13_E_NS1_11comp_targetILNS1_3genE0ELNS1_11target_archE4294967295ELNS1_3gpuE0ELNS1_3repE0EEENS1_30default_config_static_selectorELNS0_4arch9wavefront6targetE0EEEvT1_.num_vgpr, 0
	.set _ZN7rocprim17ROCPRIM_400000_NS6detail17trampoline_kernelINS0_14default_configENS1_25partition_config_selectorILNS1_17partition_subalgoE6EfNS0_10empty_typeEbEEZZNS1_14partition_implILS5_6ELb0ES3_mN6thrust23THRUST_200600_302600_NS6detail15normal_iteratorINSA_10device_ptrIfEEEEPS6_SG_NS0_5tupleIJSF_S6_EEENSH_IJSG_SG_EEES6_PlJNSB_9not_fun_tI7is_evenIfEEEEEE10hipError_tPvRmT3_T4_T5_T6_T7_T9_mT8_P12ihipStream_tbDpT10_ENKUlT_T0_E_clISt17integral_constantIbLb1EES18_EEDaS13_S14_EUlS13_E_NS1_11comp_targetILNS1_3genE0ELNS1_11target_archE4294967295ELNS1_3gpuE0ELNS1_3repE0EEENS1_30default_config_static_selectorELNS0_4arch9wavefront6targetE0EEEvT1_.num_agpr, 0
	.set _ZN7rocprim17ROCPRIM_400000_NS6detail17trampoline_kernelINS0_14default_configENS1_25partition_config_selectorILNS1_17partition_subalgoE6EfNS0_10empty_typeEbEEZZNS1_14partition_implILS5_6ELb0ES3_mN6thrust23THRUST_200600_302600_NS6detail15normal_iteratorINSA_10device_ptrIfEEEEPS6_SG_NS0_5tupleIJSF_S6_EEENSH_IJSG_SG_EEES6_PlJNSB_9not_fun_tI7is_evenIfEEEEEE10hipError_tPvRmT3_T4_T5_T6_T7_T9_mT8_P12ihipStream_tbDpT10_ENKUlT_T0_E_clISt17integral_constantIbLb1EES18_EEDaS13_S14_EUlS13_E_NS1_11comp_targetILNS1_3genE0ELNS1_11target_archE4294967295ELNS1_3gpuE0ELNS1_3repE0EEENS1_30default_config_static_selectorELNS0_4arch9wavefront6targetE0EEEvT1_.numbered_sgpr, 0
	.set _ZN7rocprim17ROCPRIM_400000_NS6detail17trampoline_kernelINS0_14default_configENS1_25partition_config_selectorILNS1_17partition_subalgoE6EfNS0_10empty_typeEbEEZZNS1_14partition_implILS5_6ELb0ES3_mN6thrust23THRUST_200600_302600_NS6detail15normal_iteratorINSA_10device_ptrIfEEEEPS6_SG_NS0_5tupleIJSF_S6_EEENSH_IJSG_SG_EEES6_PlJNSB_9not_fun_tI7is_evenIfEEEEEE10hipError_tPvRmT3_T4_T5_T6_T7_T9_mT8_P12ihipStream_tbDpT10_ENKUlT_T0_E_clISt17integral_constantIbLb1EES18_EEDaS13_S14_EUlS13_E_NS1_11comp_targetILNS1_3genE0ELNS1_11target_archE4294967295ELNS1_3gpuE0ELNS1_3repE0EEENS1_30default_config_static_selectorELNS0_4arch9wavefront6targetE0EEEvT1_.num_named_barrier, 0
	.set _ZN7rocprim17ROCPRIM_400000_NS6detail17trampoline_kernelINS0_14default_configENS1_25partition_config_selectorILNS1_17partition_subalgoE6EfNS0_10empty_typeEbEEZZNS1_14partition_implILS5_6ELb0ES3_mN6thrust23THRUST_200600_302600_NS6detail15normal_iteratorINSA_10device_ptrIfEEEEPS6_SG_NS0_5tupleIJSF_S6_EEENSH_IJSG_SG_EEES6_PlJNSB_9not_fun_tI7is_evenIfEEEEEE10hipError_tPvRmT3_T4_T5_T6_T7_T9_mT8_P12ihipStream_tbDpT10_ENKUlT_T0_E_clISt17integral_constantIbLb1EES18_EEDaS13_S14_EUlS13_E_NS1_11comp_targetILNS1_3genE0ELNS1_11target_archE4294967295ELNS1_3gpuE0ELNS1_3repE0EEENS1_30default_config_static_selectorELNS0_4arch9wavefront6targetE0EEEvT1_.private_seg_size, 0
	.set _ZN7rocprim17ROCPRIM_400000_NS6detail17trampoline_kernelINS0_14default_configENS1_25partition_config_selectorILNS1_17partition_subalgoE6EfNS0_10empty_typeEbEEZZNS1_14partition_implILS5_6ELb0ES3_mN6thrust23THRUST_200600_302600_NS6detail15normal_iteratorINSA_10device_ptrIfEEEEPS6_SG_NS0_5tupleIJSF_S6_EEENSH_IJSG_SG_EEES6_PlJNSB_9not_fun_tI7is_evenIfEEEEEE10hipError_tPvRmT3_T4_T5_T6_T7_T9_mT8_P12ihipStream_tbDpT10_ENKUlT_T0_E_clISt17integral_constantIbLb1EES18_EEDaS13_S14_EUlS13_E_NS1_11comp_targetILNS1_3genE0ELNS1_11target_archE4294967295ELNS1_3gpuE0ELNS1_3repE0EEENS1_30default_config_static_selectorELNS0_4arch9wavefront6targetE0EEEvT1_.uses_vcc, 0
	.set _ZN7rocprim17ROCPRIM_400000_NS6detail17trampoline_kernelINS0_14default_configENS1_25partition_config_selectorILNS1_17partition_subalgoE6EfNS0_10empty_typeEbEEZZNS1_14partition_implILS5_6ELb0ES3_mN6thrust23THRUST_200600_302600_NS6detail15normal_iteratorINSA_10device_ptrIfEEEEPS6_SG_NS0_5tupleIJSF_S6_EEENSH_IJSG_SG_EEES6_PlJNSB_9not_fun_tI7is_evenIfEEEEEE10hipError_tPvRmT3_T4_T5_T6_T7_T9_mT8_P12ihipStream_tbDpT10_ENKUlT_T0_E_clISt17integral_constantIbLb1EES18_EEDaS13_S14_EUlS13_E_NS1_11comp_targetILNS1_3genE0ELNS1_11target_archE4294967295ELNS1_3gpuE0ELNS1_3repE0EEENS1_30default_config_static_selectorELNS0_4arch9wavefront6targetE0EEEvT1_.uses_flat_scratch, 0
	.set _ZN7rocprim17ROCPRIM_400000_NS6detail17trampoline_kernelINS0_14default_configENS1_25partition_config_selectorILNS1_17partition_subalgoE6EfNS0_10empty_typeEbEEZZNS1_14partition_implILS5_6ELb0ES3_mN6thrust23THRUST_200600_302600_NS6detail15normal_iteratorINSA_10device_ptrIfEEEEPS6_SG_NS0_5tupleIJSF_S6_EEENSH_IJSG_SG_EEES6_PlJNSB_9not_fun_tI7is_evenIfEEEEEE10hipError_tPvRmT3_T4_T5_T6_T7_T9_mT8_P12ihipStream_tbDpT10_ENKUlT_T0_E_clISt17integral_constantIbLb1EES18_EEDaS13_S14_EUlS13_E_NS1_11comp_targetILNS1_3genE0ELNS1_11target_archE4294967295ELNS1_3gpuE0ELNS1_3repE0EEENS1_30default_config_static_selectorELNS0_4arch9wavefront6targetE0EEEvT1_.has_dyn_sized_stack, 0
	.set _ZN7rocprim17ROCPRIM_400000_NS6detail17trampoline_kernelINS0_14default_configENS1_25partition_config_selectorILNS1_17partition_subalgoE6EfNS0_10empty_typeEbEEZZNS1_14partition_implILS5_6ELb0ES3_mN6thrust23THRUST_200600_302600_NS6detail15normal_iteratorINSA_10device_ptrIfEEEEPS6_SG_NS0_5tupleIJSF_S6_EEENSH_IJSG_SG_EEES6_PlJNSB_9not_fun_tI7is_evenIfEEEEEE10hipError_tPvRmT3_T4_T5_T6_T7_T9_mT8_P12ihipStream_tbDpT10_ENKUlT_T0_E_clISt17integral_constantIbLb1EES18_EEDaS13_S14_EUlS13_E_NS1_11comp_targetILNS1_3genE0ELNS1_11target_archE4294967295ELNS1_3gpuE0ELNS1_3repE0EEENS1_30default_config_static_selectorELNS0_4arch9wavefront6targetE0EEEvT1_.has_recursion, 0
	.set _ZN7rocprim17ROCPRIM_400000_NS6detail17trampoline_kernelINS0_14default_configENS1_25partition_config_selectorILNS1_17partition_subalgoE6EfNS0_10empty_typeEbEEZZNS1_14partition_implILS5_6ELb0ES3_mN6thrust23THRUST_200600_302600_NS6detail15normal_iteratorINSA_10device_ptrIfEEEEPS6_SG_NS0_5tupleIJSF_S6_EEENSH_IJSG_SG_EEES6_PlJNSB_9not_fun_tI7is_evenIfEEEEEE10hipError_tPvRmT3_T4_T5_T6_T7_T9_mT8_P12ihipStream_tbDpT10_ENKUlT_T0_E_clISt17integral_constantIbLb1EES18_EEDaS13_S14_EUlS13_E_NS1_11comp_targetILNS1_3genE0ELNS1_11target_archE4294967295ELNS1_3gpuE0ELNS1_3repE0EEENS1_30default_config_static_selectorELNS0_4arch9wavefront6targetE0EEEvT1_.has_indirect_call, 0
	.section	.AMDGPU.csdata,"",@progbits
; Kernel info:
; codeLenInByte = 0
; TotalNumSgprs: 0
; NumVgprs: 0
; ScratchSize: 0
; MemoryBound: 0
; FloatMode: 240
; IeeeMode: 1
; LDSByteSize: 0 bytes/workgroup (compile time only)
; SGPRBlocks: 0
; VGPRBlocks: 0
; NumSGPRsForWavesPerEU: 1
; NumVGPRsForWavesPerEU: 1
; Occupancy: 16
; WaveLimiterHint : 0
; COMPUTE_PGM_RSRC2:SCRATCH_EN: 0
; COMPUTE_PGM_RSRC2:USER_SGPR: 2
; COMPUTE_PGM_RSRC2:TRAP_HANDLER: 0
; COMPUTE_PGM_RSRC2:TGID_X_EN: 1
; COMPUTE_PGM_RSRC2:TGID_Y_EN: 0
; COMPUTE_PGM_RSRC2:TGID_Z_EN: 0
; COMPUTE_PGM_RSRC2:TIDIG_COMP_CNT: 0
	.section	.text._ZN7rocprim17ROCPRIM_400000_NS6detail17trampoline_kernelINS0_14default_configENS1_25partition_config_selectorILNS1_17partition_subalgoE6EfNS0_10empty_typeEbEEZZNS1_14partition_implILS5_6ELb0ES3_mN6thrust23THRUST_200600_302600_NS6detail15normal_iteratorINSA_10device_ptrIfEEEEPS6_SG_NS0_5tupleIJSF_S6_EEENSH_IJSG_SG_EEES6_PlJNSB_9not_fun_tI7is_evenIfEEEEEE10hipError_tPvRmT3_T4_T5_T6_T7_T9_mT8_P12ihipStream_tbDpT10_ENKUlT_T0_E_clISt17integral_constantIbLb1EES18_EEDaS13_S14_EUlS13_E_NS1_11comp_targetILNS1_3genE5ELNS1_11target_archE942ELNS1_3gpuE9ELNS1_3repE0EEENS1_30default_config_static_selectorELNS0_4arch9wavefront6targetE0EEEvT1_,"axG",@progbits,_ZN7rocprim17ROCPRIM_400000_NS6detail17trampoline_kernelINS0_14default_configENS1_25partition_config_selectorILNS1_17partition_subalgoE6EfNS0_10empty_typeEbEEZZNS1_14partition_implILS5_6ELb0ES3_mN6thrust23THRUST_200600_302600_NS6detail15normal_iteratorINSA_10device_ptrIfEEEEPS6_SG_NS0_5tupleIJSF_S6_EEENSH_IJSG_SG_EEES6_PlJNSB_9not_fun_tI7is_evenIfEEEEEE10hipError_tPvRmT3_T4_T5_T6_T7_T9_mT8_P12ihipStream_tbDpT10_ENKUlT_T0_E_clISt17integral_constantIbLb1EES18_EEDaS13_S14_EUlS13_E_NS1_11comp_targetILNS1_3genE5ELNS1_11target_archE942ELNS1_3gpuE9ELNS1_3repE0EEENS1_30default_config_static_selectorELNS0_4arch9wavefront6targetE0EEEvT1_,comdat
	.protected	_ZN7rocprim17ROCPRIM_400000_NS6detail17trampoline_kernelINS0_14default_configENS1_25partition_config_selectorILNS1_17partition_subalgoE6EfNS0_10empty_typeEbEEZZNS1_14partition_implILS5_6ELb0ES3_mN6thrust23THRUST_200600_302600_NS6detail15normal_iteratorINSA_10device_ptrIfEEEEPS6_SG_NS0_5tupleIJSF_S6_EEENSH_IJSG_SG_EEES6_PlJNSB_9not_fun_tI7is_evenIfEEEEEE10hipError_tPvRmT3_T4_T5_T6_T7_T9_mT8_P12ihipStream_tbDpT10_ENKUlT_T0_E_clISt17integral_constantIbLb1EES18_EEDaS13_S14_EUlS13_E_NS1_11comp_targetILNS1_3genE5ELNS1_11target_archE942ELNS1_3gpuE9ELNS1_3repE0EEENS1_30default_config_static_selectorELNS0_4arch9wavefront6targetE0EEEvT1_ ; -- Begin function _ZN7rocprim17ROCPRIM_400000_NS6detail17trampoline_kernelINS0_14default_configENS1_25partition_config_selectorILNS1_17partition_subalgoE6EfNS0_10empty_typeEbEEZZNS1_14partition_implILS5_6ELb0ES3_mN6thrust23THRUST_200600_302600_NS6detail15normal_iteratorINSA_10device_ptrIfEEEEPS6_SG_NS0_5tupleIJSF_S6_EEENSH_IJSG_SG_EEES6_PlJNSB_9not_fun_tI7is_evenIfEEEEEE10hipError_tPvRmT3_T4_T5_T6_T7_T9_mT8_P12ihipStream_tbDpT10_ENKUlT_T0_E_clISt17integral_constantIbLb1EES18_EEDaS13_S14_EUlS13_E_NS1_11comp_targetILNS1_3genE5ELNS1_11target_archE942ELNS1_3gpuE9ELNS1_3repE0EEENS1_30default_config_static_selectorELNS0_4arch9wavefront6targetE0EEEvT1_
	.globl	_ZN7rocprim17ROCPRIM_400000_NS6detail17trampoline_kernelINS0_14default_configENS1_25partition_config_selectorILNS1_17partition_subalgoE6EfNS0_10empty_typeEbEEZZNS1_14partition_implILS5_6ELb0ES3_mN6thrust23THRUST_200600_302600_NS6detail15normal_iteratorINSA_10device_ptrIfEEEEPS6_SG_NS0_5tupleIJSF_S6_EEENSH_IJSG_SG_EEES6_PlJNSB_9not_fun_tI7is_evenIfEEEEEE10hipError_tPvRmT3_T4_T5_T6_T7_T9_mT8_P12ihipStream_tbDpT10_ENKUlT_T0_E_clISt17integral_constantIbLb1EES18_EEDaS13_S14_EUlS13_E_NS1_11comp_targetILNS1_3genE5ELNS1_11target_archE942ELNS1_3gpuE9ELNS1_3repE0EEENS1_30default_config_static_selectorELNS0_4arch9wavefront6targetE0EEEvT1_
	.p2align	8
	.type	_ZN7rocprim17ROCPRIM_400000_NS6detail17trampoline_kernelINS0_14default_configENS1_25partition_config_selectorILNS1_17partition_subalgoE6EfNS0_10empty_typeEbEEZZNS1_14partition_implILS5_6ELb0ES3_mN6thrust23THRUST_200600_302600_NS6detail15normal_iteratorINSA_10device_ptrIfEEEEPS6_SG_NS0_5tupleIJSF_S6_EEENSH_IJSG_SG_EEES6_PlJNSB_9not_fun_tI7is_evenIfEEEEEE10hipError_tPvRmT3_T4_T5_T6_T7_T9_mT8_P12ihipStream_tbDpT10_ENKUlT_T0_E_clISt17integral_constantIbLb1EES18_EEDaS13_S14_EUlS13_E_NS1_11comp_targetILNS1_3genE5ELNS1_11target_archE942ELNS1_3gpuE9ELNS1_3repE0EEENS1_30default_config_static_selectorELNS0_4arch9wavefront6targetE0EEEvT1_,@function
_ZN7rocprim17ROCPRIM_400000_NS6detail17trampoline_kernelINS0_14default_configENS1_25partition_config_selectorILNS1_17partition_subalgoE6EfNS0_10empty_typeEbEEZZNS1_14partition_implILS5_6ELb0ES3_mN6thrust23THRUST_200600_302600_NS6detail15normal_iteratorINSA_10device_ptrIfEEEEPS6_SG_NS0_5tupleIJSF_S6_EEENSH_IJSG_SG_EEES6_PlJNSB_9not_fun_tI7is_evenIfEEEEEE10hipError_tPvRmT3_T4_T5_T6_T7_T9_mT8_P12ihipStream_tbDpT10_ENKUlT_T0_E_clISt17integral_constantIbLb1EES18_EEDaS13_S14_EUlS13_E_NS1_11comp_targetILNS1_3genE5ELNS1_11target_archE942ELNS1_3gpuE9ELNS1_3repE0EEENS1_30default_config_static_selectorELNS0_4arch9wavefront6targetE0EEEvT1_: ; @_ZN7rocprim17ROCPRIM_400000_NS6detail17trampoline_kernelINS0_14default_configENS1_25partition_config_selectorILNS1_17partition_subalgoE6EfNS0_10empty_typeEbEEZZNS1_14partition_implILS5_6ELb0ES3_mN6thrust23THRUST_200600_302600_NS6detail15normal_iteratorINSA_10device_ptrIfEEEEPS6_SG_NS0_5tupleIJSF_S6_EEENSH_IJSG_SG_EEES6_PlJNSB_9not_fun_tI7is_evenIfEEEEEE10hipError_tPvRmT3_T4_T5_T6_T7_T9_mT8_P12ihipStream_tbDpT10_ENKUlT_T0_E_clISt17integral_constantIbLb1EES18_EEDaS13_S14_EUlS13_E_NS1_11comp_targetILNS1_3genE5ELNS1_11target_archE942ELNS1_3gpuE9ELNS1_3repE0EEENS1_30default_config_static_selectorELNS0_4arch9wavefront6targetE0EEEvT1_
; %bb.0:
	.section	.rodata,"a",@progbits
	.p2align	6, 0x0
	.amdhsa_kernel _ZN7rocprim17ROCPRIM_400000_NS6detail17trampoline_kernelINS0_14default_configENS1_25partition_config_selectorILNS1_17partition_subalgoE6EfNS0_10empty_typeEbEEZZNS1_14partition_implILS5_6ELb0ES3_mN6thrust23THRUST_200600_302600_NS6detail15normal_iteratorINSA_10device_ptrIfEEEEPS6_SG_NS0_5tupleIJSF_S6_EEENSH_IJSG_SG_EEES6_PlJNSB_9not_fun_tI7is_evenIfEEEEEE10hipError_tPvRmT3_T4_T5_T6_T7_T9_mT8_P12ihipStream_tbDpT10_ENKUlT_T0_E_clISt17integral_constantIbLb1EES18_EEDaS13_S14_EUlS13_E_NS1_11comp_targetILNS1_3genE5ELNS1_11target_archE942ELNS1_3gpuE9ELNS1_3repE0EEENS1_30default_config_static_selectorELNS0_4arch9wavefront6targetE0EEEvT1_
		.amdhsa_group_segment_fixed_size 0
		.amdhsa_private_segment_fixed_size 0
		.amdhsa_kernarg_size 128
		.amdhsa_user_sgpr_count 2
		.amdhsa_user_sgpr_dispatch_ptr 0
		.amdhsa_user_sgpr_queue_ptr 0
		.amdhsa_user_sgpr_kernarg_segment_ptr 1
		.amdhsa_user_sgpr_dispatch_id 0
		.amdhsa_user_sgpr_private_segment_size 0
		.amdhsa_wavefront_size32 1
		.amdhsa_uses_dynamic_stack 0
		.amdhsa_enable_private_segment 0
		.amdhsa_system_sgpr_workgroup_id_x 1
		.amdhsa_system_sgpr_workgroup_id_y 0
		.amdhsa_system_sgpr_workgroup_id_z 0
		.amdhsa_system_sgpr_workgroup_info 0
		.amdhsa_system_vgpr_workitem_id 0
		.amdhsa_next_free_vgpr 1
		.amdhsa_next_free_sgpr 1
		.amdhsa_reserve_vcc 0
		.amdhsa_float_round_mode_32 0
		.amdhsa_float_round_mode_16_64 0
		.amdhsa_float_denorm_mode_32 3
		.amdhsa_float_denorm_mode_16_64 3
		.amdhsa_fp16_overflow 0
		.amdhsa_workgroup_processor_mode 1
		.amdhsa_memory_ordered 1
		.amdhsa_forward_progress 1
		.amdhsa_inst_pref_size 0
		.amdhsa_round_robin_scheduling 0
		.amdhsa_exception_fp_ieee_invalid_op 0
		.amdhsa_exception_fp_denorm_src 0
		.amdhsa_exception_fp_ieee_div_zero 0
		.amdhsa_exception_fp_ieee_overflow 0
		.amdhsa_exception_fp_ieee_underflow 0
		.amdhsa_exception_fp_ieee_inexact 0
		.amdhsa_exception_int_div_zero 0
	.end_amdhsa_kernel
	.section	.text._ZN7rocprim17ROCPRIM_400000_NS6detail17trampoline_kernelINS0_14default_configENS1_25partition_config_selectorILNS1_17partition_subalgoE6EfNS0_10empty_typeEbEEZZNS1_14partition_implILS5_6ELb0ES3_mN6thrust23THRUST_200600_302600_NS6detail15normal_iteratorINSA_10device_ptrIfEEEEPS6_SG_NS0_5tupleIJSF_S6_EEENSH_IJSG_SG_EEES6_PlJNSB_9not_fun_tI7is_evenIfEEEEEE10hipError_tPvRmT3_T4_T5_T6_T7_T9_mT8_P12ihipStream_tbDpT10_ENKUlT_T0_E_clISt17integral_constantIbLb1EES18_EEDaS13_S14_EUlS13_E_NS1_11comp_targetILNS1_3genE5ELNS1_11target_archE942ELNS1_3gpuE9ELNS1_3repE0EEENS1_30default_config_static_selectorELNS0_4arch9wavefront6targetE0EEEvT1_,"axG",@progbits,_ZN7rocprim17ROCPRIM_400000_NS6detail17trampoline_kernelINS0_14default_configENS1_25partition_config_selectorILNS1_17partition_subalgoE6EfNS0_10empty_typeEbEEZZNS1_14partition_implILS5_6ELb0ES3_mN6thrust23THRUST_200600_302600_NS6detail15normal_iteratorINSA_10device_ptrIfEEEEPS6_SG_NS0_5tupleIJSF_S6_EEENSH_IJSG_SG_EEES6_PlJNSB_9not_fun_tI7is_evenIfEEEEEE10hipError_tPvRmT3_T4_T5_T6_T7_T9_mT8_P12ihipStream_tbDpT10_ENKUlT_T0_E_clISt17integral_constantIbLb1EES18_EEDaS13_S14_EUlS13_E_NS1_11comp_targetILNS1_3genE5ELNS1_11target_archE942ELNS1_3gpuE9ELNS1_3repE0EEENS1_30default_config_static_selectorELNS0_4arch9wavefront6targetE0EEEvT1_,comdat
.Lfunc_end574:
	.size	_ZN7rocprim17ROCPRIM_400000_NS6detail17trampoline_kernelINS0_14default_configENS1_25partition_config_selectorILNS1_17partition_subalgoE6EfNS0_10empty_typeEbEEZZNS1_14partition_implILS5_6ELb0ES3_mN6thrust23THRUST_200600_302600_NS6detail15normal_iteratorINSA_10device_ptrIfEEEEPS6_SG_NS0_5tupleIJSF_S6_EEENSH_IJSG_SG_EEES6_PlJNSB_9not_fun_tI7is_evenIfEEEEEE10hipError_tPvRmT3_T4_T5_T6_T7_T9_mT8_P12ihipStream_tbDpT10_ENKUlT_T0_E_clISt17integral_constantIbLb1EES18_EEDaS13_S14_EUlS13_E_NS1_11comp_targetILNS1_3genE5ELNS1_11target_archE942ELNS1_3gpuE9ELNS1_3repE0EEENS1_30default_config_static_selectorELNS0_4arch9wavefront6targetE0EEEvT1_, .Lfunc_end574-_ZN7rocprim17ROCPRIM_400000_NS6detail17trampoline_kernelINS0_14default_configENS1_25partition_config_selectorILNS1_17partition_subalgoE6EfNS0_10empty_typeEbEEZZNS1_14partition_implILS5_6ELb0ES3_mN6thrust23THRUST_200600_302600_NS6detail15normal_iteratorINSA_10device_ptrIfEEEEPS6_SG_NS0_5tupleIJSF_S6_EEENSH_IJSG_SG_EEES6_PlJNSB_9not_fun_tI7is_evenIfEEEEEE10hipError_tPvRmT3_T4_T5_T6_T7_T9_mT8_P12ihipStream_tbDpT10_ENKUlT_T0_E_clISt17integral_constantIbLb1EES18_EEDaS13_S14_EUlS13_E_NS1_11comp_targetILNS1_3genE5ELNS1_11target_archE942ELNS1_3gpuE9ELNS1_3repE0EEENS1_30default_config_static_selectorELNS0_4arch9wavefront6targetE0EEEvT1_
                                        ; -- End function
	.set _ZN7rocprim17ROCPRIM_400000_NS6detail17trampoline_kernelINS0_14default_configENS1_25partition_config_selectorILNS1_17partition_subalgoE6EfNS0_10empty_typeEbEEZZNS1_14partition_implILS5_6ELb0ES3_mN6thrust23THRUST_200600_302600_NS6detail15normal_iteratorINSA_10device_ptrIfEEEEPS6_SG_NS0_5tupleIJSF_S6_EEENSH_IJSG_SG_EEES6_PlJNSB_9not_fun_tI7is_evenIfEEEEEE10hipError_tPvRmT3_T4_T5_T6_T7_T9_mT8_P12ihipStream_tbDpT10_ENKUlT_T0_E_clISt17integral_constantIbLb1EES18_EEDaS13_S14_EUlS13_E_NS1_11comp_targetILNS1_3genE5ELNS1_11target_archE942ELNS1_3gpuE9ELNS1_3repE0EEENS1_30default_config_static_selectorELNS0_4arch9wavefront6targetE0EEEvT1_.num_vgpr, 0
	.set _ZN7rocprim17ROCPRIM_400000_NS6detail17trampoline_kernelINS0_14default_configENS1_25partition_config_selectorILNS1_17partition_subalgoE6EfNS0_10empty_typeEbEEZZNS1_14partition_implILS5_6ELb0ES3_mN6thrust23THRUST_200600_302600_NS6detail15normal_iteratorINSA_10device_ptrIfEEEEPS6_SG_NS0_5tupleIJSF_S6_EEENSH_IJSG_SG_EEES6_PlJNSB_9not_fun_tI7is_evenIfEEEEEE10hipError_tPvRmT3_T4_T5_T6_T7_T9_mT8_P12ihipStream_tbDpT10_ENKUlT_T0_E_clISt17integral_constantIbLb1EES18_EEDaS13_S14_EUlS13_E_NS1_11comp_targetILNS1_3genE5ELNS1_11target_archE942ELNS1_3gpuE9ELNS1_3repE0EEENS1_30default_config_static_selectorELNS0_4arch9wavefront6targetE0EEEvT1_.num_agpr, 0
	.set _ZN7rocprim17ROCPRIM_400000_NS6detail17trampoline_kernelINS0_14default_configENS1_25partition_config_selectorILNS1_17partition_subalgoE6EfNS0_10empty_typeEbEEZZNS1_14partition_implILS5_6ELb0ES3_mN6thrust23THRUST_200600_302600_NS6detail15normal_iteratorINSA_10device_ptrIfEEEEPS6_SG_NS0_5tupleIJSF_S6_EEENSH_IJSG_SG_EEES6_PlJNSB_9not_fun_tI7is_evenIfEEEEEE10hipError_tPvRmT3_T4_T5_T6_T7_T9_mT8_P12ihipStream_tbDpT10_ENKUlT_T0_E_clISt17integral_constantIbLb1EES18_EEDaS13_S14_EUlS13_E_NS1_11comp_targetILNS1_3genE5ELNS1_11target_archE942ELNS1_3gpuE9ELNS1_3repE0EEENS1_30default_config_static_selectorELNS0_4arch9wavefront6targetE0EEEvT1_.numbered_sgpr, 0
	.set _ZN7rocprim17ROCPRIM_400000_NS6detail17trampoline_kernelINS0_14default_configENS1_25partition_config_selectorILNS1_17partition_subalgoE6EfNS0_10empty_typeEbEEZZNS1_14partition_implILS5_6ELb0ES3_mN6thrust23THRUST_200600_302600_NS6detail15normal_iteratorINSA_10device_ptrIfEEEEPS6_SG_NS0_5tupleIJSF_S6_EEENSH_IJSG_SG_EEES6_PlJNSB_9not_fun_tI7is_evenIfEEEEEE10hipError_tPvRmT3_T4_T5_T6_T7_T9_mT8_P12ihipStream_tbDpT10_ENKUlT_T0_E_clISt17integral_constantIbLb1EES18_EEDaS13_S14_EUlS13_E_NS1_11comp_targetILNS1_3genE5ELNS1_11target_archE942ELNS1_3gpuE9ELNS1_3repE0EEENS1_30default_config_static_selectorELNS0_4arch9wavefront6targetE0EEEvT1_.num_named_barrier, 0
	.set _ZN7rocprim17ROCPRIM_400000_NS6detail17trampoline_kernelINS0_14default_configENS1_25partition_config_selectorILNS1_17partition_subalgoE6EfNS0_10empty_typeEbEEZZNS1_14partition_implILS5_6ELb0ES3_mN6thrust23THRUST_200600_302600_NS6detail15normal_iteratorINSA_10device_ptrIfEEEEPS6_SG_NS0_5tupleIJSF_S6_EEENSH_IJSG_SG_EEES6_PlJNSB_9not_fun_tI7is_evenIfEEEEEE10hipError_tPvRmT3_T4_T5_T6_T7_T9_mT8_P12ihipStream_tbDpT10_ENKUlT_T0_E_clISt17integral_constantIbLb1EES18_EEDaS13_S14_EUlS13_E_NS1_11comp_targetILNS1_3genE5ELNS1_11target_archE942ELNS1_3gpuE9ELNS1_3repE0EEENS1_30default_config_static_selectorELNS0_4arch9wavefront6targetE0EEEvT1_.private_seg_size, 0
	.set _ZN7rocprim17ROCPRIM_400000_NS6detail17trampoline_kernelINS0_14default_configENS1_25partition_config_selectorILNS1_17partition_subalgoE6EfNS0_10empty_typeEbEEZZNS1_14partition_implILS5_6ELb0ES3_mN6thrust23THRUST_200600_302600_NS6detail15normal_iteratorINSA_10device_ptrIfEEEEPS6_SG_NS0_5tupleIJSF_S6_EEENSH_IJSG_SG_EEES6_PlJNSB_9not_fun_tI7is_evenIfEEEEEE10hipError_tPvRmT3_T4_T5_T6_T7_T9_mT8_P12ihipStream_tbDpT10_ENKUlT_T0_E_clISt17integral_constantIbLb1EES18_EEDaS13_S14_EUlS13_E_NS1_11comp_targetILNS1_3genE5ELNS1_11target_archE942ELNS1_3gpuE9ELNS1_3repE0EEENS1_30default_config_static_selectorELNS0_4arch9wavefront6targetE0EEEvT1_.uses_vcc, 0
	.set _ZN7rocprim17ROCPRIM_400000_NS6detail17trampoline_kernelINS0_14default_configENS1_25partition_config_selectorILNS1_17partition_subalgoE6EfNS0_10empty_typeEbEEZZNS1_14partition_implILS5_6ELb0ES3_mN6thrust23THRUST_200600_302600_NS6detail15normal_iteratorINSA_10device_ptrIfEEEEPS6_SG_NS0_5tupleIJSF_S6_EEENSH_IJSG_SG_EEES6_PlJNSB_9not_fun_tI7is_evenIfEEEEEE10hipError_tPvRmT3_T4_T5_T6_T7_T9_mT8_P12ihipStream_tbDpT10_ENKUlT_T0_E_clISt17integral_constantIbLb1EES18_EEDaS13_S14_EUlS13_E_NS1_11comp_targetILNS1_3genE5ELNS1_11target_archE942ELNS1_3gpuE9ELNS1_3repE0EEENS1_30default_config_static_selectorELNS0_4arch9wavefront6targetE0EEEvT1_.uses_flat_scratch, 0
	.set _ZN7rocprim17ROCPRIM_400000_NS6detail17trampoline_kernelINS0_14default_configENS1_25partition_config_selectorILNS1_17partition_subalgoE6EfNS0_10empty_typeEbEEZZNS1_14partition_implILS5_6ELb0ES3_mN6thrust23THRUST_200600_302600_NS6detail15normal_iteratorINSA_10device_ptrIfEEEEPS6_SG_NS0_5tupleIJSF_S6_EEENSH_IJSG_SG_EEES6_PlJNSB_9not_fun_tI7is_evenIfEEEEEE10hipError_tPvRmT3_T4_T5_T6_T7_T9_mT8_P12ihipStream_tbDpT10_ENKUlT_T0_E_clISt17integral_constantIbLb1EES18_EEDaS13_S14_EUlS13_E_NS1_11comp_targetILNS1_3genE5ELNS1_11target_archE942ELNS1_3gpuE9ELNS1_3repE0EEENS1_30default_config_static_selectorELNS0_4arch9wavefront6targetE0EEEvT1_.has_dyn_sized_stack, 0
	.set _ZN7rocprim17ROCPRIM_400000_NS6detail17trampoline_kernelINS0_14default_configENS1_25partition_config_selectorILNS1_17partition_subalgoE6EfNS0_10empty_typeEbEEZZNS1_14partition_implILS5_6ELb0ES3_mN6thrust23THRUST_200600_302600_NS6detail15normal_iteratorINSA_10device_ptrIfEEEEPS6_SG_NS0_5tupleIJSF_S6_EEENSH_IJSG_SG_EEES6_PlJNSB_9not_fun_tI7is_evenIfEEEEEE10hipError_tPvRmT3_T4_T5_T6_T7_T9_mT8_P12ihipStream_tbDpT10_ENKUlT_T0_E_clISt17integral_constantIbLb1EES18_EEDaS13_S14_EUlS13_E_NS1_11comp_targetILNS1_3genE5ELNS1_11target_archE942ELNS1_3gpuE9ELNS1_3repE0EEENS1_30default_config_static_selectorELNS0_4arch9wavefront6targetE0EEEvT1_.has_recursion, 0
	.set _ZN7rocprim17ROCPRIM_400000_NS6detail17trampoline_kernelINS0_14default_configENS1_25partition_config_selectorILNS1_17partition_subalgoE6EfNS0_10empty_typeEbEEZZNS1_14partition_implILS5_6ELb0ES3_mN6thrust23THRUST_200600_302600_NS6detail15normal_iteratorINSA_10device_ptrIfEEEEPS6_SG_NS0_5tupleIJSF_S6_EEENSH_IJSG_SG_EEES6_PlJNSB_9not_fun_tI7is_evenIfEEEEEE10hipError_tPvRmT3_T4_T5_T6_T7_T9_mT8_P12ihipStream_tbDpT10_ENKUlT_T0_E_clISt17integral_constantIbLb1EES18_EEDaS13_S14_EUlS13_E_NS1_11comp_targetILNS1_3genE5ELNS1_11target_archE942ELNS1_3gpuE9ELNS1_3repE0EEENS1_30default_config_static_selectorELNS0_4arch9wavefront6targetE0EEEvT1_.has_indirect_call, 0
	.section	.AMDGPU.csdata,"",@progbits
; Kernel info:
; codeLenInByte = 0
; TotalNumSgprs: 0
; NumVgprs: 0
; ScratchSize: 0
; MemoryBound: 0
; FloatMode: 240
; IeeeMode: 1
; LDSByteSize: 0 bytes/workgroup (compile time only)
; SGPRBlocks: 0
; VGPRBlocks: 0
; NumSGPRsForWavesPerEU: 1
; NumVGPRsForWavesPerEU: 1
; Occupancy: 16
; WaveLimiterHint : 0
; COMPUTE_PGM_RSRC2:SCRATCH_EN: 0
; COMPUTE_PGM_RSRC2:USER_SGPR: 2
; COMPUTE_PGM_RSRC2:TRAP_HANDLER: 0
; COMPUTE_PGM_RSRC2:TGID_X_EN: 1
; COMPUTE_PGM_RSRC2:TGID_Y_EN: 0
; COMPUTE_PGM_RSRC2:TGID_Z_EN: 0
; COMPUTE_PGM_RSRC2:TIDIG_COMP_CNT: 0
	.section	.text._ZN7rocprim17ROCPRIM_400000_NS6detail17trampoline_kernelINS0_14default_configENS1_25partition_config_selectorILNS1_17partition_subalgoE6EfNS0_10empty_typeEbEEZZNS1_14partition_implILS5_6ELb0ES3_mN6thrust23THRUST_200600_302600_NS6detail15normal_iteratorINSA_10device_ptrIfEEEEPS6_SG_NS0_5tupleIJSF_S6_EEENSH_IJSG_SG_EEES6_PlJNSB_9not_fun_tI7is_evenIfEEEEEE10hipError_tPvRmT3_T4_T5_T6_T7_T9_mT8_P12ihipStream_tbDpT10_ENKUlT_T0_E_clISt17integral_constantIbLb1EES18_EEDaS13_S14_EUlS13_E_NS1_11comp_targetILNS1_3genE4ELNS1_11target_archE910ELNS1_3gpuE8ELNS1_3repE0EEENS1_30default_config_static_selectorELNS0_4arch9wavefront6targetE0EEEvT1_,"axG",@progbits,_ZN7rocprim17ROCPRIM_400000_NS6detail17trampoline_kernelINS0_14default_configENS1_25partition_config_selectorILNS1_17partition_subalgoE6EfNS0_10empty_typeEbEEZZNS1_14partition_implILS5_6ELb0ES3_mN6thrust23THRUST_200600_302600_NS6detail15normal_iteratorINSA_10device_ptrIfEEEEPS6_SG_NS0_5tupleIJSF_S6_EEENSH_IJSG_SG_EEES6_PlJNSB_9not_fun_tI7is_evenIfEEEEEE10hipError_tPvRmT3_T4_T5_T6_T7_T9_mT8_P12ihipStream_tbDpT10_ENKUlT_T0_E_clISt17integral_constantIbLb1EES18_EEDaS13_S14_EUlS13_E_NS1_11comp_targetILNS1_3genE4ELNS1_11target_archE910ELNS1_3gpuE8ELNS1_3repE0EEENS1_30default_config_static_selectorELNS0_4arch9wavefront6targetE0EEEvT1_,comdat
	.protected	_ZN7rocprim17ROCPRIM_400000_NS6detail17trampoline_kernelINS0_14default_configENS1_25partition_config_selectorILNS1_17partition_subalgoE6EfNS0_10empty_typeEbEEZZNS1_14partition_implILS5_6ELb0ES3_mN6thrust23THRUST_200600_302600_NS6detail15normal_iteratorINSA_10device_ptrIfEEEEPS6_SG_NS0_5tupleIJSF_S6_EEENSH_IJSG_SG_EEES6_PlJNSB_9not_fun_tI7is_evenIfEEEEEE10hipError_tPvRmT3_T4_T5_T6_T7_T9_mT8_P12ihipStream_tbDpT10_ENKUlT_T0_E_clISt17integral_constantIbLb1EES18_EEDaS13_S14_EUlS13_E_NS1_11comp_targetILNS1_3genE4ELNS1_11target_archE910ELNS1_3gpuE8ELNS1_3repE0EEENS1_30default_config_static_selectorELNS0_4arch9wavefront6targetE0EEEvT1_ ; -- Begin function _ZN7rocprim17ROCPRIM_400000_NS6detail17trampoline_kernelINS0_14default_configENS1_25partition_config_selectorILNS1_17partition_subalgoE6EfNS0_10empty_typeEbEEZZNS1_14partition_implILS5_6ELb0ES3_mN6thrust23THRUST_200600_302600_NS6detail15normal_iteratorINSA_10device_ptrIfEEEEPS6_SG_NS0_5tupleIJSF_S6_EEENSH_IJSG_SG_EEES6_PlJNSB_9not_fun_tI7is_evenIfEEEEEE10hipError_tPvRmT3_T4_T5_T6_T7_T9_mT8_P12ihipStream_tbDpT10_ENKUlT_T0_E_clISt17integral_constantIbLb1EES18_EEDaS13_S14_EUlS13_E_NS1_11comp_targetILNS1_3genE4ELNS1_11target_archE910ELNS1_3gpuE8ELNS1_3repE0EEENS1_30default_config_static_selectorELNS0_4arch9wavefront6targetE0EEEvT1_
	.globl	_ZN7rocprim17ROCPRIM_400000_NS6detail17trampoline_kernelINS0_14default_configENS1_25partition_config_selectorILNS1_17partition_subalgoE6EfNS0_10empty_typeEbEEZZNS1_14partition_implILS5_6ELb0ES3_mN6thrust23THRUST_200600_302600_NS6detail15normal_iteratorINSA_10device_ptrIfEEEEPS6_SG_NS0_5tupleIJSF_S6_EEENSH_IJSG_SG_EEES6_PlJNSB_9not_fun_tI7is_evenIfEEEEEE10hipError_tPvRmT3_T4_T5_T6_T7_T9_mT8_P12ihipStream_tbDpT10_ENKUlT_T0_E_clISt17integral_constantIbLb1EES18_EEDaS13_S14_EUlS13_E_NS1_11comp_targetILNS1_3genE4ELNS1_11target_archE910ELNS1_3gpuE8ELNS1_3repE0EEENS1_30default_config_static_selectorELNS0_4arch9wavefront6targetE0EEEvT1_
	.p2align	8
	.type	_ZN7rocprim17ROCPRIM_400000_NS6detail17trampoline_kernelINS0_14default_configENS1_25partition_config_selectorILNS1_17partition_subalgoE6EfNS0_10empty_typeEbEEZZNS1_14partition_implILS5_6ELb0ES3_mN6thrust23THRUST_200600_302600_NS6detail15normal_iteratorINSA_10device_ptrIfEEEEPS6_SG_NS0_5tupleIJSF_S6_EEENSH_IJSG_SG_EEES6_PlJNSB_9not_fun_tI7is_evenIfEEEEEE10hipError_tPvRmT3_T4_T5_T6_T7_T9_mT8_P12ihipStream_tbDpT10_ENKUlT_T0_E_clISt17integral_constantIbLb1EES18_EEDaS13_S14_EUlS13_E_NS1_11comp_targetILNS1_3genE4ELNS1_11target_archE910ELNS1_3gpuE8ELNS1_3repE0EEENS1_30default_config_static_selectorELNS0_4arch9wavefront6targetE0EEEvT1_,@function
_ZN7rocprim17ROCPRIM_400000_NS6detail17trampoline_kernelINS0_14default_configENS1_25partition_config_selectorILNS1_17partition_subalgoE6EfNS0_10empty_typeEbEEZZNS1_14partition_implILS5_6ELb0ES3_mN6thrust23THRUST_200600_302600_NS6detail15normal_iteratorINSA_10device_ptrIfEEEEPS6_SG_NS0_5tupleIJSF_S6_EEENSH_IJSG_SG_EEES6_PlJNSB_9not_fun_tI7is_evenIfEEEEEE10hipError_tPvRmT3_T4_T5_T6_T7_T9_mT8_P12ihipStream_tbDpT10_ENKUlT_T0_E_clISt17integral_constantIbLb1EES18_EEDaS13_S14_EUlS13_E_NS1_11comp_targetILNS1_3genE4ELNS1_11target_archE910ELNS1_3gpuE8ELNS1_3repE0EEENS1_30default_config_static_selectorELNS0_4arch9wavefront6targetE0EEEvT1_: ; @_ZN7rocprim17ROCPRIM_400000_NS6detail17trampoline_kernelINS0_14default_configENS1_25partition_config_selectorILNS1_17partition_subalgoE6EfNS0_10empty_typeEbEEZZNS1_14partition_implILS5_6ELb0ES3_mN6thrust23THRUST_200600_302600_NS6detail15normal_iteratorINSA_10device_ptrIfEEEEPS6_SG_NS0_5tupleIJSF_S6_EEENSH_IJSG_SG_EEES6_PlJNSB_9not_fun_tI7is_evenIfEEEEEE10hipError_tPvRmT3_T4_T5_T6_T7_T9_mT8_P12ihipStream_tbDpT10_ENKUlT_T0_E_clISt17integral_constantIbLb1EES18_EEDaS13_S14_EUlS13_E_NS1_11comp_targetILNS1_3genE4ELNS1_11target_archE910ELNS1_3gpuE8ELNS1_3repE0EEENS1_30default_config_static_selectorELNS0_4arch9wavefront6targetE0EEEvT1_
; %bb.0:
	.section	.rodata,"a",@progbits
	.p2align	6, 0x0
	.amdhsa_kernel _ZN7rocprim17ROCPRIM_400000_NS6detail17trampoline_kernelINS0_14default_configENS1_25partition_config_selectorILNS1_17partition_subalgoE6EfNS0_10empty_typeEbEEZZNS1_14partition_implILS5_6ELb0ES3_mN6thrust23THRUST_200600_302600_NS6detail15normal_iteratorINSA_10device_ptrIfEEEEPS6_SG_NS0_5tupleIJSF_S6_EEENSH_IJSG_SG_EEES6_PlJNSB_9not_fun_tI7is_evenIfEEEEEE10hipError_tPvRmT3_T4_T5_T6_T7_T9_mT8_P12ihipStream_tbDpT10_ENKUlT_T0_E_clISt17integral_constantIbLb1EES18_EEDaS13_S14_EUlS13_E_NS1_11comp_targetILNS1_3genE4ELNS1_11target_archE910ELNS1_3gpuE8ELNS1_3repE0EEENS1_30default_config_static_selectorELNS0_4arch9wavefront6targetE0EEEvT1_
		.amdhsa_group_segment_fixed_size 0
		.amdhsa_private_segment_fixed_size 0
		.amdhsa_kernarg_size 128
		.amdhsa_user_sgpr_count 2
		.amdhsa_user_sgpr_dispatch_ptr 0
		.amdhsa_user_sgpr_queue_ptr 0
		.amdhsa_user_sgpr_kernarg_segment_ptr 1
		.amdhsa_user_sgpr_dispatch_id 0
		.amdhsa_user_sgpr_private_segment_size 0
		.amdhsa_wavefront_size32 1
		.amdhsa_uses_dynamic_stack 0
		.amdhsa_enable_private_segment 0
		.amdhsa_system_sgpr_workgroup_id_x 1
		.amdhsa_system_sgpr_workgroup_id_y 0
		.amdhsa_system_sgpr_workgroup_id_z 0
		.amdhsa_system_sgpr_workgroup_info 0
		.amdhsa_system_vgpr_workitem_id 0
		.amdhsa_next_free_vgpr 1
		.amdhsa_next_free_sgpr 1
		.amdhsa_reserve_vcc 0
		.amdhsa_float_round_mode_32 0
		.amdhsa_float_round_mode_16_64 0
		.amdhsa_float_denorm_mode_32 3
		.amdhsa_float_denorm_mode_16_64 3
		.amdhsa_fp16_overflow 0
		.amdhsa_workgroup_processor_mode 1
		.amdhsa_memory_ordered 1
		.amdhsa_forward_progress 1
		.amdhsa_inst_pref_size 0
		.amdhsa_round_robin_scheduling 0
		.amdhsa_exception_fp_ieee_invalid_op 0
		.amdhsa_exception_fp_denorm_src 0
		.amdhsa_exception_fp_ieee_div_zero 0
		.amdhsa_exception_fp_ieee_overflow 0
		.amdhsa_exception_fp_ieee_underflow 0
		.amdhsa_exception_fp_ieee_inexact 0
		.amdhsa_exception_int_div_zero 0
	.end_amdhsa_kernel
	.section	.text._ZN7rocprim17ROCPRIM_400000_NS6detail17trampoline_kernelINS0_14default_configENS1_25partition_config_selectorILNS1_17partition_subalgoE6EfNS0_10empty_typeEbEEZZNS1_14partition_implILS5_6ELb0ES3_mN6thrust23THRUST_200600_302600_NS6detail15normal_iteratorINSA_10device_ptrIfEEEEPS6_SG_NS0_5tupleIJSF_S6_EEENSH_IJSG_SG_EEES6_PlJNSB_9not_fun_tI7is_evenIfEEEEEE10hipError_tPvRmT3_T4_T5_T6_T7_T9_mT8_P12ihipStream_tbDpT10_ENKUlT_T0_E_clISt17integral_constantIbLb1EES18_EEDaS13_S14_EUlS13_E_NS1_11comp_targetILNS1_3genE4ELNS1_11target_archE910ELNS1_3gpuE8ELNS1_3repE0EEENS1_30default_config_static_selectorELNS0_4arch9wavefront6targetE0EEEvT1_,"axG",@progbits,_ZN7rocprim17ROCPRIM_400000_NS6detail17trampoline_kernelINS0_14default_configENS1_25partition_config_selectorILNS1_17partition_subalgoE6EfNS0_10empty_typeEbEEZZNS1_14partition_implILS5_6ELb0ES3_mN6thrust23THRUST_200600_302600_NS6detail15normal_iteratorINSA_10device_ptrIfEEEEPS6_SG_NS0_5tupleIJSF_S6_EEENSH_IJSG_SG_EEES6_PlJNSB_9not_fun_tI7is_evenIfEEEEEE10hipError_tPvRmT3_T4_T5_T6_T7_T9_mT8_P12ihipStream_tbDpT10_ENKUlT_T0_E_clISt17integral_constantIbLb1EES18_EEDaS13_S14_EUlS13_E_NS1_11comp_targetILNS1_3genE4ELNS1_11target_archE910ELNS1_3gpuE8ELNS1_3repE0EEENS1_30default_config_static_selectorELNS0_4arch9wavefront6targetE0EEEvT1_,comdat
.Lfunc_end575:
	.size	_ZN7rocprim17ROCPRIM_400000_NS6detail17trampoline_kernelINS0_14default_configENS1_25partition_config_selectorILNS1_17partition_subalgoE6EfNS0_10empty_typeEbEEZZNS1_14partition_implILS5_6ELb0ES3_mN6thrust23THRUST_200600_302600_NS6detail15normal_iteratorINSA_10device_ptrIfEEEEPS6_SG_NS0_5tupleIJSF_S6_EEENSH_IJSG_SG_EEES6_PlJNSB_9not_fun_tI7is_evenIfEEEEEE10hipError_tPvRmT3_T4_T5_T6_T7_T9_mT8_P12ihipStream_tbDpT10_ENKUlT_T0_E_clISt17integral_constantIbLb1EES18_EEDaS13_S14_EUlS13_E_NS1_11comp_targetILNS1_3genE4ELNS1_11target_archE910ELNS1_3gpuE8ELNS1_3repE0EEENS1_30default_config_static_selectorELNS0_4arch9wavefront6targetE0EEEvT1_, .Lfunc_end575-_ZN7rocprim17ROCPRIM_400000_NS6detail17trampoline_kernelINS0_14default_configENS1_25partition_config_selectorILNS1_17partition_subalgoE6EfNS0_10empty_typeEbEEZZNS1_14partition_implILS5_6ELb0ES3_mN6thrust23THRUST_200600_302600_NS6detail15normal_iteratorINSA_10device_ptrIfEEEEPS6_SG_NS0_5tupleIJSF_S6_EEENSH_IJSG_SG_EEES6_PlJNSB_9not_fun_tI7is_evenIfEEEEEE10hipError_tPvRmT3_T4_T5_T6_T7_T9_mT8_P12ihipStream_tbDpT10_ENKUlT_T0_E_clISt17integral_constantIbLb1EES18_EEDaS13_S14_EUlS13_E_NS1_11comp_targetILNS1_3genE4ELNS1_11target_archE910ELNS1_3gpuE8ELNS1_3repE0EEENS1_30default_config_static_selectorELNS0_4arch9wavefront6targetE0EEEvT1_
                                        ; -- End function
	.set _ZN7rocprim17ROCPRIM_400000_NS6detail17trampoline_kernelINS0_14default_configENS1_25partition_config_selectorILNS1_17partition_subalgoE6EfNS0_10empty_typeEbEEZZNS1_14partition_implILS5_6ELb0ES3_mN6thrust23THRUST_200600_302600_NS6detail15normal_iteratorINSA_10device_ptrIfEEEEPS6_SG_NS0_5tupleIJSF_S6_EEENSH_IJSG_SG_EEES6_PlJNSB_9not_fun_tI7is_evenIfEEEEEE10hipError_tPvRmT3_T4_T5_T6_T7_T9_mT8_P12ihipStream_tbDpT10_ENKUlT_T0_E_clISt17integral_constantIbLb1EES18_EEDaS13_S14_EUlS13_E_NS1_11comp_targetILNS1_3genE4ELNS1_11target_archE910ELNS1_3gpuE8ELNS1_3repE0EEENS1_30default_config_static_selectorELNS0_4arch9wavefront6targetE0EEEvT1_.num_vgpr, 0
	.set _ZN7rocprim17ROCPRIM_400000_NS6detail17trampoline_kernelINS0_14default_configENS1_25partition_config_selectorILNS1_17partition_subalgoE6EfNS0_10empty_typeEbEEZZNS1_14partition_implILS5_6ELb0ES3_mN6thrust23THRUST_200600_302600_NS6detail15normal_iteratorINSA_10device_ptrIfEEEEPS6_SG_NS0_5tupleIJSF_S6_EEENSH_IJSG_SG_EEES6_PlJNSB_9not_fun_tI7is_evenIfEEEEEE10hipError_tPvRmT3_T4_T5_T6_T7_T9_mT8_P12ihipStream_tbDpT10_ENKUlT_T0_E_clISt17integral_constantIbLb1EES18_EEDaS13_S14_EUlS13_E_NS1_11comp_targetILNS1_3genE4ELNS1_11target_archE910ELNS1_3gpuE8ELNS1_3repE0EEENS1_30default_config_static_selectorELNS0_4arch9wavefront6targetE0EEEvT1_.num_agpr, 0
	.set _ZN7rocprim17ROCPRIM_400000_NS6detail17trampoline_kernelINS0_14default_configENS1_25partition_config_selectorILNS1_17partition_subalgoE6EfNS0_10empty_typeEbEEZZNS1_14partition_implILS5_6ELb0ES3_mN6thrust23THRUST_200600_302600_NS6detail15normal_iteratorINSA_10device_ptrIfEEEEPS6_SG_NS0_5tupleIJSF_S6_EEENSH_IJSG_SG_EEES6_PlJNSB_9not_fun_tI7is_evenIfEEEEEE10hipError_tPvRmT3_T4_T5_T6_T7_T9_mT8_P12ihipStream_tbDpT10_ENKUlT_T0_E_clISt17integral_constantIbLb1EES18_EEDaS13_S14_EUlS13_E_NS1_11comp_targetILNS1_3genE4ELNS1_11target_archE910ELNS1_3gpuE8ELNS1_3repE0EEENS1_30default_config_static_selectorELNS0_4arch9wavefront6targetE0EEEvT1_.numbered_sgpr, 0
	.set _ZN7rocprim17ROCPRIM_400000_NS6detail17trampoline_kernelINS0_14default_configENS1_25partition_config_selectorILNS1_17partition_subalgoE6EfNS0_10empty_typeEbEEZZNS1_14partition_implILS5_6ELb0ES3_mN6thrust23THRUST_200600_302600_NS6detail15normal_iteratorINSA_10device_ptrIfEEEEPS6_SG_NS0_5tupleIJSF_S6_EEENSH_IJSG_SG_EEES6_PlJNSB_9not_fun_tI7is_evenIfEEEEEE10hipError_tPvRmT3_T4_T5_T6_T7_T9_mT8_P12ihipStream_tbDpT10_ENKUlT_T0_E_clISt17integral_constantIbLb1EES18_EEDaS13_S14_EUlS13_E_NS1_11comp_targetILNS1_3genE4ELNS1_11target_archE910ELNS1_3gpuE8ELNS1_3repE0EEENS1_30default_config_static_selectorELNS0_4arch9wavefront6targetE0EEEvT1_.num_named_barrier, 0
	.set _ZN7rocprim17ROCPRIM_400000_NS6detail17trampoline_kernelINS0_14default_configENS1_25partition_config_selectorILNS1_17partition_subalgoE6EfNS0_10empty_typeEbEEZZNS1_14partition_implILS5_6ELb0ES3_mN6thrust23THRUST_200600_302600_NS6detail15normal_iteratorINSA_10device_ptrIfEEEEPS6_SG_NS0_5tupleIJSF_S6_EEENSH_IJSG_SG_EEES6_PlJNSB_9not_fun_tI7is_evenIfEEEEEE10hipError_tPvRmT3_T4_T5_T6_T7_T9_mT8_P12ihipStream_tbDpT10_ENKUlT_T0_E_clISt17integral_constantIbLb1EES18_EEDaS13_S14_EUlS13_E_NS1_11comp_targetILNS1_3genE4ELNS1_11target_archE910ELNS1_3gpuE8ELNS1_3repE0EEENS1_30default_config_static_selectorELNS0_4arch9wavefront6targetE0EEEvT1_.private_seg_size, 0
	.set _ZN7rocprim17ROCPRIM_400000_NS6detail17trampoline_kernelINS0_14default_configENS1_25partition_config_selectorILNS1_17partition_subalgoE6EfNS0_10empty_typeEbEEZZNS1_14partition_implILS5_6ELb0ES3_mN6thrust23THRUST_200600_302600_NS6detail15normal_iteratorINSA_10device_ptrIfEEEEPS6_SG_NS0_5tupleIJSF_S6_EEENSH_IJSG_SG_EEES6_PlJNSB_9not_fun_tI7is_evenIfEEEEEE10hipError_tPvRmT3_T4_T5_T6_T7_T9_mT8_P12ihipStream_tbDpT10_ENKUlT_T0_E_clISt17integral_constantIbLb1EES18_EEDaS13_S14_EUlS13_E_NS1_11comp_targetILNS1_3genE4ELNS1_11target_archE910ELNS1_3gpuE8ELNS1_3repE0EEENS1_30default_config_static_selectorELNS0_4arch9wavefront6targetE0EEEvT1_.uses_vcc, 0
	.set _ZN7rocprim17ROCPRIM_400000_NS6detail17trampoline_kernelINS0_14default_configENS1_25partition_config_selectorILNS1_17partition_subalgoE6EfNS0_10empty_typeEbEEZZNS1_14partition_implILS5_6ELb0ES3_mN6thrust23THRUST_200600_302600_NS6detail15normal_iteratorINSA_10device_ptrIfEEEEPS6_SG_NS0_5tupleIJSF_S6_EEENSH_IJSG_SG_EEES6_PlJNSB_9not_fun_tI7is_evenIfEEEEEE10hipError_tPvRmT3_T4_T5_T6_T7_T9_mT8_P12ihipStream_tbDpT10_ENKUlT_T0_E_clISt17integral_constantIbLb1EES18_EEDaS13_S14_EUlS13_E_NS1_11comp_targetILNS1_3genE4ELNS1_11target_archE910ELNS1_3gpuE8ELNS1_3repE0EEENS1_30default_config_static_selectorELNS0_4arch9wavefront6targetE0EEEvT1_.uses_flat_scratch, 0
	.set _ZN7rocprim17ROCPRIM_400000_NS6detail17trampoline_kernelINS0_14default_configENS1_25partition_config_selectorILNS1_17partition_subalgoE6EfNS0_10empty_typeEbEEZZNS1_14partition_implILS5_6ELb0ES3_mN6thrust23THRUST_200600_302600_NS6detail15normal_iteratorINSA_10device_ptrIfEEEEPS6_SG_NS0_5tupleIJSF_S6_EEENSH_IJSG_SG_EEES6_PlJNSB_9not_fun_tI7is_evenIfEEEEEE10hipError_tPvRmT3_T4_T5_T6_T7_T9_mT8_P12ihipStream_tbDpT10_ENKUlT_T0_E_clISt17integral_constantIbLb1EES18_EEDaS13_S14_EUlS13_E_NS1_11comp_targetILNS1_3genE4ELNS1_11target_archE910ELNS1_3gpuE8ELNS1_3repE0EEENS1_30default_config_static_selectorELNS0_4arch9wavefront6targetE0EEEvT1_.has_dyn_sized_stack, 0
	.set _ZN7rocprim17ROCPRIM_400000_NS6detail17trampoline_kernelINS0_14default_configENS1_25partition_config_selectorILNS1_17partition_subalgoE6EfNS0_10empty_typeEbEEZZNS1_14partition_implILS5_6ELb0ES3_mN6thrust23THRUST_200600_302600_NS6detail15normal_iteratorINSA_10device_ptrIfEEEEPS6_SG_NS0_5tupleIJSF_S6_EEENSH_IJSG_SG_EEES6_PlJNSB_9not_fun_tI7is_evenIfEEEEEE10hipError_tPvRmT3_T4_T5_T6_T7_T9_mT8_P12ihipStream_tbDpT10_ENKUlT_T0_E_clISt17integral_constantIbLb1EES18_EEDaS13_S14_EUlS13_E_NS1_11comp_targetILNS1_3genE4ELNS1_11target_archE910ELNS1_3gpuE8ELNS1_3repE0EEENS1_30default_config_static_selectorELNS0_4arch9wavefront6targetE0EEEvT1_.has_recursion, 0
	.set _ZN7rocprim17ROCPRIM_400000_NS6detail17trampoline_kernelINS0_14default_configENS1_25partition_config_selectorILNS1_17partition_subalgoE6EfNS0_10empty_typeEbEEZZNS1_14partition_implILS5_6ELb0ES3_mN6thrust23THRUST_200600_302600_NS6detail15normal_iteratorINSA_10device_ptrIfEEEEPS6_SG_NS0_5tupleIJSF_S6_EEENSH_IJSG_SG_EEES6_PlJNSB_9not_fun_tI7is_evenIfEEEEEE10hipError_tPvRmT3_T4_T5_T6_T7_T9_mT8_P12ihipStream_tbDpT10_ENKUlT_T0_E_clISt17integral_constantIbLb1EES18_EEDaS13_S14_EUlS13_E_NS1_11comp_targetILNS1_3genE4ELNS1_11target_archE910ELNS1_3gpuE8ELNS1_3repE0EEENS1_30default_config_static_selectorELNS0_4arch9wavefront6targetE0EEEvT1_.has_indirect_call, 0
	.section	.AMDGPU.csdata,"",@progbits
; Kernel info:
; codeLenInByte = 0
; TotalNumSgprs: 0
; NumVgprs: 0
; ScratchSize: 0
; MemoryBound: 0
; FloatMode: 240
; IeeeMode: 1
; LDSByteSize: 0 bytes/workgroup (compile time only)
; SGPRBlocks: 0
; VGPRBlocks: 0
; NumSGPRsForWavesPerEU: 1
; NumVGPRsForWavesPerEU: 1
; Occupancy: 16
; WaveLimiterHint : 0
; COMPUTE_PGM_RSRC2:SCRATCH_EN: 0
; COMPUTE_PGM_RSRC2:USER_SGPR: 2
; COMPUTE_PGM_RSRC2:TRAP_HANDLER: 0
; COMPUTE_PGM_RSRC2:TGID_X_EN: 1
; COMPUTE_PGM_RSRC2:TGID_Y_EN: 0
; COMPUTE_PGM_RSRC2:TGID_Z_EN: 0
; COMPUTE_PGM_RSRC2:TIDIG_COMP_CNT: 0
	.section	.text._ZN7rocprim17ROCPRIM_400000_NS6detail17trampoline_kernelINS0_14default_configENS1_25partition_config_selectorILNS1_17partition_subalgoE6EfNS0_10empty_typeEbEEZZNS1_14partition_implILS5_6ELb0ES3_mN6thrust23THRUST_200600_302600_NS6detail15normal_iteratorINSA_10device_ptrIfEEEEPS6_SG_NS0_5tupleIJSF_S6_EEENSH_IJSG_SG_EEES6_PlJNSB_9not_fun_tI7is_evenIfEEEEEE10hipError_tPvRmT3_T4_T5_T6_T7_T9_mT8_P12ihipStream_tbDpT10_ENKUlT_T0_E_clISt17integral_constantIbLb1EES18_EEDaS13_S14_EUlS13_E_NS1_11comp_targetILNS1_3genE3ELNS1_11target_archE908ELNS1_3gpuE7ELNS1_3repE0EEENS1_30default_config_static_selectorELNS0_4arch9wavefront6targetE0EEEvT1_,"axG",@progbits,_ZN7rocprim17ROCPRIM_400000_NS6detail17trampoline_kernelINS0_14default_configENS1_25partition_config_selectorILNS1_17partition_subalgoE6EfNS0_10empty_typeEbEEZZNS1_14partition_implILS5_6ELb0ES3_mN6thrust23THRUST_200600_302600_NS6detail15normal_iteratorINSA_10device_ptrIfEEEEPS6_SG_NS0_5tupleIJSF_S6_EEENSH_IJSG_SG_EEES6_PlJNSB_9not_fun_tI7is_evenIfEEEEEE10hipError_tPvRmT3_T4_T5_T6_T7_T9_mT8_P12ihipStream_tbDpT10_ENKUlT_T0_E_clISt17integral_constantIbLb1EES18_EEDaS13_S14_EUlS13_E_NS1_11comp_targetILNS1_3genE3ELNS1_11target_archE908ELNS1_3gpuE7ELNS1_3repE0EEENS1_30default_config_static_selectorELNS0_4arch9wavefront6targetE0EEEvT1_,comdat
	.protected	_ZN7rocprim17ROCPRIM_400000_NS6detail17trampoline_kernelINS0_14default_configENS1_25partition_config_selectorILNS1_17partition_subalgoE6EfNS0_10empty_typeEbEEZZNS1_14partition_implILS5_6ELb0ES3_mN6thrust23THRUST_200600_302600_NS6detail15normal_iteratorINSA_10device_ptrIfEEEEPS6_SG_NS0_5tupleIJSF_S6_EEENSH_IJSG_SG_EEES6_PlJNSB_9not_fun_tI7is_evenIfEEEEEE10hipError_tPvRmT3_T4_T5_T6_T7_T9_mT8_P12ihipStream_tbDpT10_ENKUlT_T0_E_clISt17integral_constantIbLb1EES18_EEDaS13_S14_EUlS13_E_NS1_11comp_targetILNS1_3genE3ELNS1_11target_archE908ELNS1_3gpuE7ELNS1_3repE0EEENS1_30default_config_static_selectorELNS0_4arch9wavefront6targetE0EEEvT1_ ; -- Begin function _ZN7rocprim17ROCPRIM_400000_NS6detail17trampoline_kernelINS0_14default_configENS1_25partition_config_selectorILNS1_17partition_subalgoE6EfNS0_10empty_typeEbEEZZNS1_14partition_implILS5_6ELb0ES3_mN6thrust23THRUST_200600_302600_NS6detail15normal_iteratorINSA_10device_ptrIfEEEEPS6_SG_NS0_5tupleIJSF_S6_EEENSH_IJSG_SG_EEES6_PlJNSB_9not_fun_tI7is_evenIfEEEEEE10hipError_tPvRmT3_T4_T5_T6_T7_T9_mT8_P12ihipStream_tbDpT10_ENKUlT_T0_E_clISt17integral_constantIbLb1EES18_EEDaS13_S14_EUlS13_E_NS1_11comp_targetILNS1_3genE3ELNS1_11target_archE908ELNS1_3gpuE7ELNS1_3repE0EEENS1_30default_config_static_selectorELNS0_4arch9wavefront6targetE0EEEvT1_
	.globl	_ZN7rocprim17ROCPRIM_400000_NS6detail17trampoline_kernelINS0_14default_configENS1_25partition_config_selectorILNS1_17partition_subalgoE6EfNS0_10empty_typeEbEEZZNS1_14partition_implILS5_6ELb0ES3_mN6thrust23THRUST_200600_302600_NS6detail15normal_iteratorINSA_10device_ptrIfEEEEPS6_SG_NS0_5tupleIJSF_S6_EEENSH_IJSG_SG_EEES6_PlJNSB_9not_fun_tI7is_evenIfEEEEEE10hipError_tPvRmT3_T4_T5_T6_T7_T9_mT8_P12ihipStream_tbDpT10_ENKUlT_T0_E_clISt17integral_constantIbLb1EES18_EEDaS13_S14_EUlS13_E_NS1_11comp_targetILNS1_3genE3ELNS1_11target_archE908ELNS1_3gpuE7ELNS1_3repE0EEENS1_30default_config_static_selectorELNS0_4arch9wavefront6targetE0EEEvT1_
	.p2align	8
	.type	_ZN7rocprim17ROCPRIM_400000_NS6detail17trampoline_kernelINS0_14default_configENS1_25partition_config_selectorILNS1_17partition_subalgoE6EfNS0_10empty_typeEbEEZZNS1_14partition_implILS5_6ELb0ES3_mN6thrust23THRUST_200600_302600_NS6detail15normal_iteratorINSA_10device_ptrIfEEEEPS6_SG_NS0_5tupleIJSF_S6_EEENSH_IJSG_SG_EEES6_PlJNSB_9not_fun_tI7is_evenIfEEEEEE10hipError_tPvRmT3_T4_T5_T6_T7_T9_mT8_P12ihipStream_tbDpT10_ENKUlT_T0_E_clISt17integral_constantIbLb1EES18_EEDaS13_S14_EUlS13_E_NS1_11comp_targetILNS1_3genE3ELNS1_11target_archE908ELNS1_3gpuE7ELNS1_3repE0EEENS1_30default_config_static_selectorELNS0_4arch9wavefront6targetE0EEEvT1_,@function
_ZN7rocprim17ROCPRIM_400000_NS6detail17trampoline_kernelINS0_14default_configENS1_25partition_config_selectorILNS1_17partition_subalgoE6EfNS0_10empty_typeEbEEZZNS1_14partition_implILS5_6ELb0ES3_mN6thrust23THRUST_200600_302600_NS6detail15normal_iteratorINSA_10device_ptrIfEEEEPS6_SG_NS0_5tupleIJSF_S6_EEENSH_IJSG_SG_EEES6_PlJNSB_9not_fun_tI7is_evenIfEEEEEE10hipError_tPvRmT3_T4_T5_T6_T7_T9_mT8_P12ihipStream_tbDpT10_ENKUlT_T0_E_clISt17integral_constantIbLb1EES18_EEDaS13_S14_EUlS13_E_NS1_11comp_targetILNS1_3genE3ELNS1_11target_archE908ELNS1_3gpuE7ELNS1_3repE0EEENS1_30default_config_static_selectorELNS0_4arch9wavefront6targetE0EEEvT1_: ; @_ZN7rocprim17ROCPRIM_400000_NS6detail17trampoline_kernelINS0_14default_configENS1_25partition_config_selectorILNS1_17partition_subalgoE6EfNS0_10empty_typeEbEEZZNS1_14partition_implILS5_6ELb0ES3_mN6thrust23THRUST_200600_302600_NS6detail15normal_iteratorINSA_10device_ptrIfEEEEPS6_SG_NS0_5tupleIJSF_S6_EEENSH_IJSG_SG_EEES6_PlJNSB_9not_fun_tI7is_evenIfEEEEEE10hipError_tPvRmT3_T4_T5_T6_T7_T9_mT8_P12ihipStream_tbDpT10_ENKUlT_T0_E_clISt17integral_constantIbLb1EES18_EEDaS13_S14_EUlS13_E_NS1_11comp_targetILNS1_3genE3ELNS1_11target_archE908ELNS1_3gpuE7ELNS1_3repE0EEENS1_30default_config_static_selectorELNS0_4arch9wavefront6targetE0EEEvT1_
; %bb.0:
	.section	.rodata,"a",@progbits
	.p2align	6, 0x0
	.amdhsa_kernel _ZN7rocprim17ROCPRIM_400000_NS6detail17trampoline_kernelINS0_14default_configENS1_25partition_config_selectorILNS1_17partition_subalgoE6EfNS0_10empty_typeEbEEZZNS1_14partition_implILS5_6ELb0ES3_mN6thrust23THRUST_200600_302600_NS6detail15normal_iteratorINSA_10device_ptrIfEEEEPS6_SG_NS0_5tupleIJSF_S6_EEENSH_IJSG_SG_EEES6_PlJNSB_9not_fun_tI7is_evenIfEEEEEE10hipError_tPvRmT3_T4_T5_T6_T7_T9_mT8_P12ihipStream_tbDpT10_ENKUlT_T0_E_clISt17integral_constantIbLb1EES18_EEDaS13_S14_EUlS13_E_NS1_11comp_targetILNS1_3genE3ELNS1_11target_archE908ELNS1_3gpuE7ELNS1_3repE0EEENS1_30default_config_static_selectorELNS0_4arch9wavefront6targetE0EEEvT1_
		.amdhsa_group_segment_fixed_size 0
		.amdhsa_private_segment_fixed_size 0
		.amdhsa_kernarg_size 128
		.amdhsa_user_sgpr_count 2
		.amdhsa_user_sgpr_dispatch_ptr 0
		.amdhsa_user_sgpr_queue_ptr 0
		.amdhsa_user_sgpr_kernarg_segment_ptr 1
		.amdhsa_user_sgpr_dispatch_id 0
		.amdhsa_user_sgpr_private_segment_size 0
		.amdhsa_wavefront_size32 1
		.amdhsa_uses_dynamic_stack 0
		.amdhsa_enable_private_segment 0
		.amdhsa_system_sgpr_workgroup_id_x 1
		.amdhsa_system_sgpr_workgroup_id_y 0
		.amdhsa_system_sgpr_workgroup_id_z 0
		.amdhsa_system_sgpr_workgroup_info 0
		.amdhsa_system_vgpr_workitem_id 0
		.amdhsa_next_free_vgpr 1
		.amdhsa_next_free_sgpr 1
		.amdhsa_reserve_vcc 0
		.amdhsa_float_round_mode_32 0
		.amdhsa_float_round_mode_16_64 0
		.amdhsa_float_denorm_mode_32 3
		.amdhsa_float_denorm_mode_16_64 3
		.amdhsa_fp16_overflow 0
		.amdhsa_workgroup_processor_mode 1
		.amdhsa_memory_ordered 1
		.amdhsa_forward_progress 1
		.amdhsa_inst_pref_size 0
		.amdhsa_round_robin_scheduling 0
		.amdhsa_exception_fp_ieee_invalid_op 0
		.amdhsa_exception_fp_denorm_src 0
		.amdhsa_exception_fp_ieee_div_zero 0
		.amdhsa_exception_fp_ieee_overflow 0
		.amdhsa_exception_fp_ieee_underflow 0
		.amdhsa_exception_fp_ieee_inexact 0
		.amdhsa_exception_int_div_zero 0
	.end_amdhsa_kernel
	.section	.text._ZN7rocprim17ROCPRIM_400000_NS6detail17trampoline_kernelINS0_14default_configENS1_25partition_config_selectorILNS1_17partition_subalgoE6EfNS0_10empty_typeEbEEZZNS1_14partition_implILS5_6ELb0ES3_mN6thrust23THRUST_200600_302600_NS6detail15normal_iteratorINSA_10device_ptrIfEEEEPS6_SG_NS0_5tupleIJSF_S6_EEENSH_IJSG_SG_EEES6_PlJNSB_9not_fun_tI7is_evenIfEEEEEE10hipError_tPvRmT3_T4_T5_T6_T7_T9_mT8_P12ihipStream_tbDpT10_ENKUlT_T0_E_clISt17integral_constantIbLb1EES18_EEDaS13_S14_EUlS13_E_NS1_11comp_targetILNS1_3genE3ELNS1_11target_archE908ELNS1_3gpuE7ELNS1_3repE0EEENS1_30default_config_static_selectorELNS0_4arch9wavefront6targetE0EEEvT1_,"axG",@progbits,_ZN7rocprim17ROCPRIM_400000_NS6detail17trampoline_kernelINS0_14default_configENS1_25partition_config_selectorILNS1_17partition_subalgoE6EfNS0_10empty_typeEbEEZZNS1_14partition_implILS5_6ELb0ES3_mN6thrust23THRUST_200600_302600_NS6detail15normal_iteratorINSA_10device_ptrIfEEEEPS6_SG_NS0_5tupleIJSF_S6_EEENSH_IJSG_SG_EEES6_PlJNSB_9not_fun_tI7is_evenIfEEEEEE10hipError_tPvRmT3_T4_T5_T6_T7_T9_mT8_P12ihipStream_tbDpT10_ENKUlT_T0_E_clISt17integral_constantIbLb1EES18_EEDaS13_S14_EUlS13_E_NS1_11comp_targetILNS1_3genE3ELNS1_11target_archE908ELNS1_3gpuE7ELNS1_3repE0EEENS1_30default_config_static_selectorELNS0_4arch9wavefront6targetE0EEEvT1_,comdat
.Lfunc_end576:
	.size	_ZN7rocprim17ROCPRIM_400000_NS6detail17trampoline_kernelINS0_14default_configENS1_25partition_config_selectorILNS1_17partition_subalgoE6EfNS0_10empty_typeEbEEZZNS1_14partition_implILS5_6ELb0ES3_mN6thrust23THRUST_200600_302600_NS6detail15normal_iteratorINSA_10device_ptrIfEEEEPS6_SG_NS0_5tupleIJSF_S6_EEENSH_IJSG_SG_EEES6_PlJNSB_9not_fun_tI7is_evenIfEEEEEE10hipError_tPvRmT3_T4_T5_T6_T7_T9_mT8_P12ihipStream_tbDpT10_ENKUlT_T0_E_clISt17integral_constantIbLb1EES18_EEDaS13_S14_EUlS13_E_NS1_11comp_targetILNS1_3genE3ELNS1_11target_archE908ELNS1_3gpuE7ELNS1_3repE0EEENS1_30default_config_static_selectorELNS0_4arch9wavefront6targetE0EEEvT1_, .Lfunc_end576-_ZN7rocprim17ROCPRIM_400000_NS6detail17trampoline_kernelINS0_14default_configENS1_25partition_config_selectorILNS1_17partition_subalgoE6EfNS0_10empty_typeEbEEZZNS1_14partition_implILS5_6ELb0ES3_mN6thrust23THRUST_200600_302600_NS6detail15normal_iteratorINSA_10device_ptrIfEEEEPS6_SG_NS0_5tupleIJSF_S6_EEENSH_IJSG_SG_EEES6_PlJNSB_9not_fun_tI7is_evenIfEEEEEE10hipError_tPvRmT3_T4_T5_T6_T7_T9_mT8_P12ihipStream_tbDpT10_ENKUlT_T0_E_clISt17integral_constantIbLb1EES18_EEDaS13_S14_EUlS13_E_NS1_11comp_targetILNS1_3genE3ELNS1_11target_archE908ELNS1_3gpuE7ELNS1_3repE0EEENS1_30default_config_static_selectorELNS0_4arch9wavefront6targetE0EEEvT1_
                                        ; -- End function
	.set _ZN7rocprim17ROCPRIM_400000_NS6detail17trampoline_kernelINS0_14default_configENS1_25partition_config_selectorILNS1_17partition_subalgoE6EfNS0_10empty_typeEbEEZZNS1_14partition_implILS5_6ELb0ES3_mN6thrust23THRUST_200600_302600_NS6detail15normal_iteratorINSA_10device_ptrIfEEEEPS6_SG_NS0_5tupleIJSF_S6_EEENSH_IJSG_SG_EEES6_PlJNSB_9not_fun_tI7is_evenIfEEEEEE10hipError_tPvRmT3_T4_T5_T6_T7_T9_mT8_P12ihipStream_tbDpT10_ENKUlT_T0_E_clISt17integral_constantIbLb1EES18_EEDaS13_S14_EUlS13_E_NS1_11comp_targetILNS1_3genE3ELNS1_11target_archE908ELNS1_3gpuE7ELNS1_3repE0EEENS1_30default_config_static_selectorELNS0_4arch9wavefront6targetE0EEEvT1_.num_vgpr, 0
	.set _ZN7rocprim17ROCPRIM_400000_NS6detail17trampoline_kernelINS0_14default_configENS1_25partition_config_selectorILNS1_17partition_subalgoE6EfNS0_10empty_typeEbEEZZNS1_14partition_implILS5_6ELb0ES3_mN6thrust23THRUST_200600_302600_NS6detail15normal_iteratorINSA_10device_ptrIfEEEEPS6_SG_NS0_5tupleIJSF_S6_EEENSH_IJSG_SG_EEES6_PlJNSB_9not_fun_tI7is_evenIfEEEEEE10hipError_tPvRmT3_T4_T5_T6_T7_T9_mT8_P12ihipStream_tbDpT10_ENKUlT_T0_E_clISt17integral_constantIbLb1EES18_EEDaS13_S14_EUlS13_E_NS1_11comp_targetILNS1_3genE3ELNS1_11target_archE908ELNS1_3gpuE7ELNS1_3repE0EEENS1_30default_config_static_selectorELNS0_4arch9wavefront6targetE0EEEvT1_.num_agpr, 0
	.set _ZN7rocprim17ROCPRIM_400000_NS6detail17trampoline_kernelINS0_14default_configENS1_25partition_config_selectorILNS1_17partition_subalgoE6EfNS0_10empty_typeEbEEZZNS1_14partition_implILS5_6ELb0ES3_mN6thrust23THRUST_200600_302600_NS6detail15normal_iteratorINSA_10device_ptrIfEEEEPS6_SG_NS0_5tupleIJSF_S6_EEENSH_IJSG_SG_EEES6_PlJNSB_9not_fun_tI7is_evenIfEEEEEE10hipError_tPvRmT3_T4_T5_T6_T7_T9_mT8_P12ihipStream_tbDpT10_ENKUlT_T0_E_clISt17integral_constantIbLb1EES18_EEDaS13_S14_EUlS13_E_NS1_11comp_targetILNS1_3genE3ELNS1_11target_archE908ELNS1_3gpuE7ELNS1_3repE0EEENS1_30default_config_static_selectorELNS0_4arch9wavefront6targetE0EEEvT1_.numbered_sgpr, 0
	.set _ZN7rocprim17ROCPRIM_400000_NS6detail17trampoline_kernelINS0_14default_configENS1_25partition_config_selectorILNS1_17partition_subalgoE6EfNS0_10empty_typeEbEEZZNS1_14partition_implILS5_6ELb0ES3_mN6thrust23THRUST_200600_302600_NS6detail15normal_iteratorINSA_10device_ptrIfEEEEPS6_SG_NS0_5tupleIJSF_S6_EEENSH_IJSG_SG_EEES6_PlJNSB_9not_fun_tI7is_evenIfEEEEEE10hipError_tPvRmT3_T4_T5_T6_T7_T9_mT8_P12ihipStream_tbDpT10_ENKUlT_T0_E_clISt17integral_constantIbLb1EES18_EEDaS13_S14_EUlS13_E_NS1_11comp_targetILNS1_3genE3ELNS1_11target_archE908ELNS1_3gpuE7ELNS1_3repE0EEENS1_30default_config_static_selectorELNS0_4arch9wavefront6targetE0EEEvT1_.num_named_barrier, 0
	.set _ZN7rocprim17ROCPRIM_400000_NS6detail17trampoline_kernelINS0_14default_configENS1_25partition_config_selectorILNS1_17partition_subalgoE6EfNS0_10empty_typeEbEEZZNS1_14partition_implILS5_6ELb0ES3_mN6thrust23THRUST_200600_302600_NS6detail15normal_iteratorINSA_10device_ptrIfEEEEPS6_SG_NS0_5tupleIJSF_S6_EEENSH_IJSG_SG_EEES6_PlJNSB_9not_fun_tI7is_evenIfEEEEEE10hipError_tPvRmT3_T4_T5_T6_T7_T9_mT8_P12ihipStream_tbDpT10_ENKUlT_T0_E_clISt17integral_constantIbLb1EES18_EEDaS13_S14_EUlS13_E_NS1_11comp_targetILNS1_3genE3ELNS1_11target_archE908ELNS1_3gpuE7ELNS1_3repE0EEENS1_30default_config_static_selectorELNS0_4arch9wavefront6targetE0EEEvT1_.private_seg_size, 0
	.set _ZN7rocprim17ROCPRIM_400000_NS6detail17trampoline_kernelINS0_14default_configENS1_25partition_config_selectorILNS1_17partition_subalgoE6EfNS0_10empty_typeEbEEZZNS1_14partition_implILS5_6ELb0ES3_mN6thrust23THRUST_200600_302600_NS6detail15normal_iteratorINSA_10device_ptrIfEEEEPS6_SG_NS0_5tupleIJSF_S6_EEENSH_IJSG_SG_EEES6_PlJNSB_9not_fun_tI7is_evenIfEEEEEE10hipError_tPvRmT3_T4_T5_T6_T7_T9_mT8_P12ihipStream_tbDpT10_ENKUlT_T0_E_clISt17integral_constantIbLb1EES18_EEDaS13_S14_EUlS13_E_NS1_11comp_targetILNS1_3genE3ELNS1_11target_archE908ELNS1_3gpuE7ELNS1_3repE0EEENS1_30default_config_static_selectorELNS0_4arch9wavefront6targetE0EEEvT1_.uses_vcc, 0
	.set _ZN7rocprim17ROCPRIM_400000_NS6detail17trampoline_kernelINS0_14default_configENS1_25partition_config_selectorILNS1_17partition_subalgoE6EfNS0_10empty_typeEbEEZZNS1_14partition_implILS5_6ELb0ES3_mN6thrust23THRUST_200600_302600_NS6detail15normal_iteratorINSA_10device_ptrIfEEEEPS6_SG_NS0_5tupleIJSF_S6_EEENSH_IJSG_SG_EEES6_PlJNSB_9not_fun_tI7is_evenIfEEEEEE10hipError_tPvRmT3_T4_T5_T6_T7_T9_mT8_P12ihipStream_tbDpT10_ENKUlT_T0_E_clISt17integral_constantIbLb1EES18_EEDaS13_S14_EUlS13_E_NS1_11comp_targetILNS1_3genE3ELNS1_11target_archE908ELNS1_3gpuE7ELNS1_3repE0EEENS1_30default_config_static_selectorELNS0_4arch9wavefront6targetE0EEEvT1_.uses_flat_scratch, 0
	.set _ZN7rocprim17ROCPRIM_400000_NS6detail17trampoline_kernelINS0_14default_configENS1_25partition_config_selectorILNS1_17partition_subalgoE6EfNS0_10empty_typeEbEEZZNS1_14partition_implILS5_6ELb0ES3_mN6thrust23THRUST_200600_302600_NS6detail15normal_iteratorINSA_10device_ptrIfEEEEPS6_SG_NS0_5tupleIJSF_S6_EEENSH_IJSG_SG_EEES6_PlJNSB_9not_fun_tI7is_evenIfEEEEEE10hipError_tPvRmT3_T4_T5_T6_T7_T9_mT8_P12ihipStream_tbDpT10_ENKUlT_T0_E_clISt17integral_constantIbLb1EES18_EEDaS13_S14_EUlS13_E_NS1_11comp_targetILNS1_3genE3ELNS1_11target_archE908ELNS1_3gpuE7ELNS1_3repE0EEENS1_30default_config_static_selectorELNS0_4arch9wavefront6targetE0EEEvT1_.has_dyn_sized_stack, 0
	.set _ZN7rocprim17ROCPRIM_400000_NS6detail17trampoline_kernelINS0_14default_configENS1_25partition_config_selectorILNS1_17partition_subalgoE6EfNS0_10empty_typeEbEEZZNS1_14partition_implILS5_6ELb0ES3_mN6thrust23THRUST_200600_302600_NS6detail15normal_iteratorINSA_10device_ptrIfEEEEPS6_SG_NS0_5tupleIJSF_S6_EEENSH_IJSG_SG_EEES6_PlJNSB_9not_fun_tI7is_evenIfEEEEEE10hipError_tPvRmT3_T4_T5_T6_T7_T9_mT8_P12ihipStream_tbDpT10_ENKUlT_T0_E_clISt17integral_constantIbLb1EES18_EEDaS13_S14_EUlS13_E_NS1_11comp_targetILNS1_3genE3ELNS1_11target_archE908ELNS1_3gpuE7ELNS1_3repE0EEENS1_30default_config_static_selectorELNS0_4arch9wavefront6targetE0EEEvT1_.has_recursion, 0
	.set _ZN7rocprim17ROCPRIM_400000_NS6detail17trampoline_kernelINS0_14default_configENS1_25partition_config_selectorILNS1_17partition_subalgoE6EfNS0_10empty_typeEbEEZZNS1_14partition_implILS5_6ELb0ES3_mN6thrust23THRUST_200600_302600_NS6detail15normal_iteratorINSA_10device_ptrIfEEEEPS6_SG_NS0_5tupleIJSF_S6_EEENSH_IJSG_SG_EEES6_PlJNSB_9not_fun_tI7is_evenIfEEEEEE10hipError_tPvRmT3_T4_T5_T6_T7_T9_mT8_P12ihipStream_tbDpT10_ENKUlT_T0_E_clISt17integral_constantIbLb1EES18_EEDaS13_S14_EUlS13_E_NS1_11comp_targetILNS1_3genE3ELNS1_11target_archE908ELNS1_3gpuE7ELNS1_3repE0EEENS1_30default_config_static_selectorELNS0_4arch9wavefront6targetE0EEEvT1_.has_indirect_call, 0
	.section	.AMDGPU.csdata,"",@progbits
; Kernel info:
; codeLenInByte = 0
; TotalNumSgprs: 0
; NumVgprs: 0
; ScratchSize: 0
; MemoryBound: 0
; FloatMode: 240
; IeeeMode: 1
; LDSByteSize: 0 bytes/workgroup (compile time only)
; SGPRBlocks: 0
; VGPRBlocks: 0
; NumSGPRsForWavesPerEU: 1
; NumVGPRsForWavesPerEU: 1
; Occupancy: 16
; WaveLimiterHint : 0
; COMPUTE_PGM_RSRC2:SCRATCH_EN: 0
; COMPUTE_PGM_RSRC2:USER_SGPR: 2
; COMPUTE_PGM_RSRC2:TRAP_HANDLER: 0
; COMPUTE_PGM_RSRC2:TGID_X_EN: 1
; COMPUTE_PGM_RSRC2:TGID_Y_EN: 0
; COMPUTE_PGM_RSRC2:TGID_Z_EN: 0
; COMPUTE_PGM_RSRC2:TIDIG_COMP_CNT: 0
	.section	.text._ZN7rocprim17ROCPRIM_400000_NS6detail17trampoline_kernelINS0_14default_configENS1_25partition_config_selectorILNS1_17partition_subalgoE6EfNS0_10empty_typeEbEEZZNS1_14partition_implILS5_6ELb0ES3_mN6thrust23THRUST_200600_302600_NS6detail15normal_iteratorINSA_10device_ptrIfEEEEPS6_SG_NS0_5tupleIJSF_S6_EEENSH_IJSG_SG_EEES6_PlJNSB_9not_fun_tI7is_evenIfEEEEEE10hipError_tPvRmT3_T4_T5_T6_T7_T9_mT8_P12ihipStream_tbDpT10_ENKUlT_T0_E_clISt17integral_constantIbLb1EES18_EEDaS13_S14_EUlS13_E_NS1_11comp_targetILNS1_3genE2ELNS1_11target_archE906ELNS1_3gpuE6ELNS1_3repE0EEENS1_30default_config_static_selectorELNS0_4arch9wavefront6targetE0EEEvT1_,"axG",@progbits,_ZN7rocprim17ROCPRIM_400000_NS6detail17trampoline_kernelINS0_14default_configENS1_25partition_config_selectorILNS1_17partition_subalgoE6EfNS0_10empty_typeEbEEZZNS1_14partition_implILS5_6ELb0ES3_mN6thrust23THRUST_200600_302600_NS6detail15normal_iteratorINSA_10device_ptrIfEEEEPS6_SG_NS0_5tupleIJSF_S6_EEENSH_IJSG_SG_EEES6_PlJNSB_9not_fun_tI7is_evenIfEEEEEE10hipError_tPvRmT3_T4_T5_T6_T7_T9_mT8_P12ihipStream_tbDpT10_ENKUlT_T0_E_clISt17integral_constantIbLb1EES18_EEDaS13_S14_EUlS13_E_NS1_11comp_targetILNS1_3genE2ELNS1_11target_archE906ELNS1_3gpuE6ELNS1_3repE0EEENS1_30default_config_static_selectorELNS0_4arch9wavefront6targetE0EEEvT1_,comdat
	.protected	_ZN7rocprim17ROCPRIM_400000_NS6detail17trampoline_kernelINS0_14default_configENS1_25partition_config_selectorILNS1_17partition_subalgoE6EfNS0_10empty_typeEbEEZZNS1_14partition_implILS5_6ELb0ES3_mN6thrust23THRUST_200600_302600_NS6detail15normal_iteratorINSA_10device_ptrIfEEEEPS6_SG_NS0_5tupleIJSF_S6_EEENSH_IJSG_SG_EEES6_PlJNSB_9not_fun_tI7is_evenIfEEEEEE10hipError_tPvRmT3_T4_T5_T6_T7_T9_mT8_P12ihipStream_tbDpT10_ENKUlT_T0_E_clISt17integral_constantIbLb1EES18_EEDaS13_S14_EUlS13_E_NS1_11comp_targetILNS1_3genE2ELNS1_11target_archE906ELNS1_3gpuE6ELNS1_3repE0EEENS1_30default_config_static_selectorELNS0_4arch9wavefront6targetE0EEEvT1_ ; -- Begin function _ZN7rocprim17ROCPRIM_400000_NS6detail17trampoline_kernelINS0_14default_configENS1_25partition_config_selectorILNS1_17partition_subalgoE6EfNS0_10empty_typeEbEEZZNS1_14partition_implILS5_6ELb0ES3_mN6thrust23THRUST_200600_302600_NS6detail15normal_iteratorINSA_10device_ptrIfEEEEPS6_SG_NS0_5tupleIJSF_S6_EEENSH_IJSG_SG_EEES6_PlJNSB_9not_fun_tI7is_evenIfEEEEEE10hipError_tPvRmT3_T4_T5_T6_T7_T9_mT8_P12ihipStream_tbDpT10_ENKUlT_T0_E_clISt17integral_constantIbLb1EES18_EEDaS13_S14_EUlS13_E_NS1_11comp_targetILNS1_3genE2ELNS1_11target_archE906ELNS1_3gpuE6ELNS1_3repE0EEENS1_30default_config_static_selectorELNS0_4arch9wavefront6targetE0EEEvT1_
	.globl	_ZN7rocprim17ROCPRIM_400000_NS6detail17trampoline_kernelINS0_14default_configENS1_25partition_config_selectorILNS1_17partition_subalgoE6EfNS0_10empty_typeEbEEZZNS1_14partition_implILS5_6ELb0ES3_mN6thrust23THRUST_200600_302600_NS6detail15normal_iteratorINSA_10device_ptrIfEEEEPS6_SG_NS0_5tupleIJSF_S6_EEENSH_IJSG_SG_EEES6_PlJNSB_9not_fun_tI7is_evenIfEEEEEE10hipError_tPvRmT3_T4_T5_T6_T7_T9_mT8_P12ihipStream_tbDpT10_ENKUlT_T0_E_clISt17integral_constantIbLb1EES18_EEDaS13_S14_EUlS13_E_NS1_11comp_targetILNS1_3genE2ELNS1_11target_archE906ELNS1_3gpuE6ELNS1_3repE0EEENS1_30default_config_static_selectorELNS0_4arch9wavefront6targetE0EEEvT1_
	.p2align	8
	.type	_ZN7rocprim17ROCPRIM_400000_NS6detail17trampoline_kernelINS0_14default_configENS1_25partition_config_selectorILNS1_17partition_subalgoE6EfNS0_10empty_typeEbEEZZNS1_14partition_implILS5_6ELb0ES3_mN6thrust23THRUST_200600_302600_NS6detail15normal_iteratorINSA_10device_ptrIfEEEEPS6_SG_NS0_5tupleIJSF_S6_EEENSH_IJSG_SG_EEES6_PlJNSB_9not_fun_tI7is_evenIfEEEEEE10hipError_tPvRmT3_T4_T5_T6_T7_T9_mT8_P12ihipStream_tbDpT10_ENKUlT_T0_E_clISt17integral_constantIbLb1EES18_EEDaS13_S14_EUlS13_E_NS1_11comp_targetILNS1_3genE2ELNS1_11target_archE906ELNS1_3gpuE6ELNS1_3repE0EEENS1_30default_config_static_selectorELNS0_4arch9wavefront6targetE0EEEvT1_,@function
_ZN7rocprim17ROCPRIM_400000_NS6detail17trampoline_kernelINS0_14default_configENS1_25partition_config_selectorILNS1_17partition_subalgoE6EfNS0_10empty_typeEbEEZZNS1_14partition_implILS5_6ELb0ES3_mN6thrust23THRUST_200600_302600_NS6detail15normal_iteratorINSA_10device_ptrIfEEEEPS6_SG_NS0_5tupleIJSF_S6_EEENSH_IJSG_SG_EEES6_PlJNSB_9not_fun_tI7is_evenIfEEEEEE10hipError_tPvRmT3_T4_T5_T6_T7_T9_mT8_P12ihipStream_tbDpT10_ENKUlT_T0_E_clISt17integral_constantIbLb1EES18_EEDaS13_S14_EUlS13_E_NS1_11comp_targetILNS1_3genE2ELNS1_11target_archE906ELNS1_3gpuE6ELNS1_3repE0EEENS1_30default_config_static_selectorELNS0_4arch9wavefront6targetE0EEEvT1_: ; @_ZN7rocprim17ROCPRIM_400000_NS6detail17trampoline_kernelINS0_14default_configENS1_25partition_config_selectorILNS1_17partition_subalgoE6EfNS0_10empty_typeEbEEZZNS1_14partition_implILS5_6ELb0ES3_mN6thrust23THRUST_200600_302600_NS6detail15normal_iteratorINSA_10device_ptrIfEEEEPS6_SG_NS0_5tupleIJSF_S6_EEENSH_IJSG_SG_EEES6_PlJNSB_9not_fun_tI7is_evenIfEEEEEE10hipError_tPvRmT3_T4_T5_T6_T7_T9_mT8_P12ihipStream_tbDpT10_ENKUlT_T0_E_clISt17integral_constantIbLb1EES18_EEDaS13_S14_EUlS13_E_NS1_11comp_targetILNS1_3genE2ELNS1_11target_archE906ELNS1_3gpuE6ELNS1_3repE0EEENS1_30default_config_static_selectorELNS0_4arch9wavefront6targetE0EEEvT1_
; %bb.0:
	.section	.rodata,"a",@progbits
	.p2align	6, 0x0
	.amdhsa_kernel _ZN7rocprim17ROCPRIM_400000_NS6detail17trampoline_kernelINS0_14default_configENS1_25partition_config_selectorILNS1_17partition_subalgoE6EfNS0_10empty_typeEbEEZZNS1_14partition_implILS5_6ELb0ES3_mN6thrust23THRUST_200600_302600_NS6detail15normal_iteratorINSA_10device_ptrIfEEEEPS6_SG_NS0_5tupleIJSF_S6_EEENSH_IJSG_SG_EEES6_PlJNSB_9not_fun_tI7is_evenIfEEEEEE10hipError_tPvRmT3_T4_T5_T6_T7_T9_mT8_P12ihipStream_tbDpT10_ENKUlT_T0_E_clISt17integral_constantIbLb1EES18_EEDaS13_S14_EUlS13_E_NS1_11comp_targetILNS1_3genE2ELNS1_11target_archE906ELNS1_3gpuE6ELNS1_3repE0EEENS1_30default_config_static_selectorELNS0_4arch9wavefront6targetE0EEEvT1_
		.amdhsa_group_segment_fixed_size 0
		.amdhsa_private_segment_fixed_size 0
		.amdhsa_kernarg_size 128
		.amdhsa_user_sgpr_count 2
		.amdhsa_user_sgpr_dispatch_ptr 0
		.amdhsa_user_sgpr_queue_ptr 0
		.amdhsa_user_sgpr_kernarg_segment_ptr 1
		.amdhsa_user_sgpr_dispatch_id 0
		.amdhsa_user_sgpr_private_segment_size 0
		.amdhsa_wavefront_size32 1
		.amdhsa_uses_dynamic_stack 0
		.amdhsa_enable_private_segment 0
		.amdhsa_system_sgpr_workgroup_id_x 1
		.amdhsa_system_sgpr_workgroup_id_y 0
		.amdhsa_system_sgpr_workgroup_id_z 0
		.amdhsa_system_sgpr_workgroup_info 0
		.amdhsa_system_vgpr_workitem_id 0
		.amdhsa_next_free_vgpr 1
		.amdhsa_next_free_sgpr 1
		.amdhsa_reserve_vcc 0
		.amdhsa_float_round_mode_32 0
		.amdhsa_float_round_mode_16_64 0
		.amdhsa_float_denorm_mode_32 3
		.amdhsa_float_denorm_mode_16_64 3
		.amdhsa_fp16_overflow 0
		.amdhsa_workgroup_processor_mode 1
		.amdhsa_memory_ordered 1
		.amdhsa_forward_progress 1
		.amdhsa_inst_pref_size 0
		.amdhsa_round_robin_scheduling 0
		.amdhsa_exception_fp_ieee_invalid_op 0
		.amdhsa_exception_fp_denorm_src 0
		.amdhsa_exception_fp_ieee_div_zero 0
		.amdhsa_exception_fp_ieee_overflow 0
		.amdhsa_exception_fp_ieee_underflow 0
		.amdhsa_exception_fp_ieee_inexact 0
		.amdhsa_exception_int_div_zero 0
	.end_amdhsa_kernel
	.section	.text._ZN7rocprim17ROCPRIM_400000_NS6detail17trampoline_kernelINS0_14default_configENS1_25partition_config_selectorILNS1_17partition_subalgoE6EfNS0_10empty_typeEbEEZZNS1_14partition_implILS5_6ELb0ES3_mN6thrust23THRUST_200600_302600_NS6detail15normal_iteratorINSA_10device_ptrIfEEEEPS6_SG_NS0_5tupleIJSF_S6_EEENSH_IJSG_SG_EEES6_PlJNSB_9not_fun_tI7is_evenIfEEEEEE10hipError_tPvRmT3_T4_T5_T6_T7_T9_mT8_P12ihipStream_tbDpT10_ENKUlT_T0_E_clISt17integral_constantIbLb1EES18_EEDaS13_S14_EUlS13_E_NS1_11comp_targetILNS1_3genE2ELNS1_11target_archE906ELNS1_3gpuE6ELNS1_3repE0EEENS1_30default_config_static_selectorELNS0_4arch9wavefront6targetE0EEEvT1_,"axG",@progbits,_ZN7rocprim17ROCPRIM_400000_NS6detail17trampoline_kernelINS0_14default_configENS1_25partition_config_selectorILNS1_17partition_subalgoE6EfNS0_10empty_typeEbEEZZNS1_14partition_implILS5_6ELb0ES3_mN6thrust23THRUST_200600_302600_NS6detail15normal_iteratorINSA_10device_ptrIfEEEEPS6_SG_NS0_5tupleIJSF_S6_EEENSH_IJSG_SG_EEES6_PlJNSB_9not_fun_tI7is_evenIfEEEEEE10hipError_tPvRmT3_T4_T5_T6_T7_T9_mT8_P12ihipStream_tbDpT10_ENKUlT_T0_E_clISt17integral_constantIbLb1EES18_EEDaS13_S14_EUlS13_E_NS1_11comp_targetILNS1_3genE2ELNS1_11target_archE906ELNS1_3gpuE6ELNS1_3repE0EEENS1_30default_config_static_selectorELNS0_4arch9wavefront6targetE0EEEvT1_,comdat
.Lfunc_end577:
	.size	_ZN7rocprim17ROCPRIM_400000_NS6detail17trampoline_kernelINS0_14default_configENS1_25partition_config_selectorILNS1_17partition_subalgoE6EfNS0_10empty_typeEbEEZZNS1_14partition_implILS5_6ELb0ES3_mN6thrust23THRUST_200600_302600_NS6detail15normal_iteratorINSA_10device_ptrIfEEEEPS6_SG_NS0_5tupleIJSF_S6_EEENSH_IJSG_SG_EEES6_PlJNSB_9not_fun_tI7is_evenIfEEEEEE10hipError_tPvRmT3_T4_T5_T6_T7_T9_mT8_P12ihipStream_tbDpT10_ENKUlT_T0_E_clISt17integral_constantIbLb1EES18_EEDaS13_S14_EUlS13_E_NS1_11comp_targetILNS1_3genE2ELNS1_11target_archE906ELNS1_3gpuE6ELNS1_3repE0EEENS1_30default_config_static_selectorELNS0_4arch9wavefront6targetE0EEEvT1_, .Lfunc_end577-_ZN7rocprim17ROCPRIM_400000_NS6detail17trampoline_kernelINS0_14default_configENS1_25partition_config_selectorILNS1_17partition_subalgoE6EfNS0_10empty_typeEbEEZZNS1_14partition_implILS5_6ELb0ES3_mN6thrust23THRUST_200600_302600_NS6detail15normal_iteratorINSA_10device_ptrIfEEEEPS6_SG_NS0_5tupleIJSF_S6_EEENSH_IJSG_SG_EEES6_PlJNSB_9not_fun_tI7is_evenIfEEEEEE10hipError_tPvRmT3_T4_T5_T6_T7_T9_mT8_P12ihipStream_tbDpT10_ENKUlT_T0_E_clISt17integral_constantIbLb1EES18_EEDaS13_S14_EUlS13_E_NS1_11comp_targetILNS1_3genE2ELNS1_11target_archE906ELNS1_3gpuE6ELNS1_3repE0EEENS1_30default_config_static_selectorELNS0_4arch9wavefront6targetE0EEEvT1_
                                        ; -- End function
	.set _ZN7rocprim17ROCPRIM_400000_NS6detail17trampoline_kernelINS0_14default_configENS1_25partition_config_selectorILNS1_17partition_subalgoE6EfNS0_10empty_typeEbEEZZNS1_14partition_implILS5_6ELb0ES3_mN6thrust23THRUST_200600_302600_NS6detail15normal_iteratorINSA_10device_ptrIfEEEEPS6_SG_NS0_5tupleIJSF_S6_EEENSH_IJSG_SG_EEES6_PlJNSB_9not_fun_tI7is_evenIfEEEEEE10hipError_tPvRmT3_T4_T5_T6_T7_T9_mT8_P12ihipStream_tbDpT10_ENKUlT_T0_E_clISt17integral_constantIbLb1EES18_EEDaS13_S14_EUlS13_E_NS1_11comp_targetILNS1_3genE2ELNS1_11target_archE906ELNS1_3gpuE6ELNS1_3repE0EEENS1_30default_config_static_selectorELNS0_4arch9wavefront6targetE0EEEvT1_.num_vgpr, 0
	.set _ZN7rocprim17ROCPRIM_400000_NS6detail17trampoline_kernelINS0_14default_configENS1_25partition_config_selectorILNS1_17partition_subalgoE6EfNS0_10empty_typeEbEEZZNS1_14partition_implILS5_6ELb0ES3_mN6thrust23THRUST_200600_302600_NS6detail15normal_iteratorINSA_10device_ptrIfEEEEPS6_SG_NS0_5tupleIJSF_S6_EEENSH_IJSG_SG_EEES6_PlJNSB_9not_fun_tI7is_evenIfEEEEEE10hipError_tPvRmT3_T4_T5_T6_T7_T9_mT8_P12ihipStream_tbDpT10_ENKUlT_T0_E_clISt17integral_constantIbLb1EES18_EEDaS13_S14_EUlS13_E_NS1_11comp_targetILNS1_3genE2ELNS1_11target_archE906ELNS1_3gpuE6ELNS1_3repE0EEENS1_30default_config_static_selectorELNS0_4arch9wavefront6targetE0EEEvT1_.num_agpr, 0
	.set _ZN7rocprim17ROCPRIM_400000_NS6detail17trampoline_kernelINS0_14default_configENS1_25partition_config_selectorILNS1_17partition_subalgoE6EfNS0_10empty_typeEbEEZZNS1_14partition_implILS5_6ELb0ES3_mN6thrust23THRUST_200600_302600_NS6detail15normal_iteratorINSA_10device_ptrIfEEEEPS6_SG_NS0_5tupleIJSF_S6_EEENSH_IJSG_SG_EEES6_PlJNSB_9not_fun_tI7is_evenIfEEEEEE10hipError_tPvRmT3_T4_T5_T6_T7_T9_mT8_P12ihipStream_tbDpT10_ENKUlT_T0_E_clISt17integral_constantIbLb1EES18_EEDaS13_S14_EUlS13_E_NS1_11comp_targetILNS1_3genE2ELNS1_11target_archE906ELNS1_3gpuE6ELNS1_3repE0EEENS1_30default_config_static_selectorELNS0_4arch9wavefront6targetE0EEEvT1_.numbered_sgpr, 0
	.set _ZN7rocprim17ROCPRIM_400000_NS6detail17trampoline_kernelINS0_14default_configENS1_25partition_config_selectorILNS1_17partition_subalgoE6EfNS0_10empty_typeEbEEZZNS1_14partition_implILS5_6ELb0ES3_mN6thrust23THRUST_200600_302600_NS6detail15normal_iteratorINSA_10device_ptrIfEEEEPS6_SG_NS0_5tupleIJSF_S6_EEENSH_IJSG_SG_EEES6_PlJNSB_9not_fun_tI7is_evenIfEEEEEE10hipError_tPvRmT3_T4_T5_T6_T7_T9_mT8_P12ihipStream_tbDpT10_ENKUlT_T0_E_clISt17integral_constantIbLb1EES18_EEDaS13_S14_EUlS13_E_NS1_11comp_targetILNS1_3genE2ELNS1_11target_archE906ELNS1_3gpuE6ELNS1_3repE0EEENS1_30default_config_static_selectorELNS0_4arch9wavefront6targetE0EEEvT1_.num_named_barrier, 0
	.set _ZN7rocprim17ROCPRIM_400000_NS6detail17trampoline_kernelINS0_14default_configENS1_25partition_config_selectorILNS1_17partition_subalgoE6EfNS0_10empty_typeEbEEZZNS1_14partition_implILS5_6ELb0ES3_mN6thrust23THRUST_200600_302600_NS6detail15normal_iteratorINSA_10device_ptrIfEEEEPS6_SG_NS0_5tupleIJSF_S6_EEENSH_IJSG_SG_EEES6_PlJNSB_9not_fun_tI7is_evenIfEEEEEE10hipError_tPvRmT3_T4_T5_T6_T7_T9_mT8_P12ihipStream_tbDpT10_ENKUlT_T0_E_clISt17integral_constantIbLb1EES18_EEDaS13_S14_EUlS13_E_NS1_11comp_targetILNS1_3genE2ELNS1_11target_archE906ELNS1_3gpuE6ELNS1_3repE0EEENS1_30default_config_static_selectorELNS0_4arch9wavefront6targetE0EEEvT1_.private_seg_size, 0
	.set _ZN7rocprim17ROCPRIM_400000_NS6detail17trampoline_kernelINS0_14default_configENS1_25partition_config_selectorILNS1_17partition_subalgoE6EfNS0_10empty_typeEbEEZZNS1_14partition_implILS5_6ELb0ES3_mN6thrust23THRUST_200600_302600_NS6detail15normal_iteratorINSA_10device_ptrIfEEEEPS6_SG_NS0_5tupleIJSF_S6_EEENSH_IJSG_SG_EEES6_PlJNSB_9not_fun_tI7is_evenIfEEEEEE10hipError_tPvRmT3_T4_T5_T6_T7_T9_mT8_P12ihipStream_tbDpT10_ENKUlT_T0_E_clISt17integral_constantIbLb1EES18_EEDaS13_S14_EUlS13_E_NS1_11comp_targetILNS1_3genE2ELNS1_11target_archE906ELNS1_3gpuE6ELNS1_3repE0EEENS1_30default_config_static_selectorELNS0_4arch9wavefront6targetE0EEEvT1_.uses_vcc, 0
	.set _ZN7rocprim17ROCPRIM_400000_NS6detail17trampoline_kernelINS0_14default_configENS1_25partition_config_selectorILNS1_17partition_subalgoE6EfNS0_10empty_typeEbEEZZNS1_14partition_implILS5_6ELb0ES3_mN6thrust23THRUST_200600_302600_NS6detail15normal_iteratorINSA_10device_ptrIfEEEEPS6_SG_NS0_5tupleIJSF_S6_EEENSH_IJSG_SG_EEES6_PlJNSB_9not_fun_tI7is_evenIfEEEEEE10hipError_tPvRmT3_T4_T5_T6_T7_T9_mT8_P12ihipStream_tbDpT10_ENKUlT_T0_E_clISt17integral_constantIbLb1EES18_EEDaS13_S14_EUlS13_E_NS1_11comp_targetILNS1_3genE2ELNS1_11target_archE906ELNS1_3gpuE6ELNS1_3repE0EEENS1_30default_config_static_selectorELNS0_4arch9wavefront6targetE0EEEvT1_.uses_flat_scratch, 0
	.set _ZN7rocprim17ROCPRIM_400000_NS6detail17trampoline_kernelINS0_14default_configENS1_25partition_config_selectorILNS1_17partition_subalgoE6EfNS0_10empty_typeEbEEZZNS1_14partition_implILS5_6ELb0ES3_mN6thrust23THRUST_200600_302600_NS6detail15normal_iteratorINSA_10device_ptrIfEEEEPS6_SG_NS0_5tupleIJSF_S6_EEENSH_IJSG_SG_EEES6_PlJNSB_9not_fun_tI7is_evenIfEEEEEE10hipError_tPvRmT3_T4_T5_T6_T7_T9_mT8_P12ihipStream_tbDpT10_ENKUlT_T0_E_clISt17integral_constantIbLb1EES18_EEDaS13_S14_EUlS13_E_NS1_11comp_targetILNS1_3genE2ELNS1_11target_archE906ELNS1_3gpuE6ELNS1_3repE0EEENS1_30default_config_static_selectorELNS0_4arch9wavefront6targetE0EEEvT1_.has_dyn_sized_stack, 0
	.set _ZN7rocprim17ROCPRIM_400000_NS6detail17trampoline_kernelINS0_14default_configENS1_25partition_config_selectorILNS1_17partition_subalgoE6EfNS0_10empty_typeEbEEZZNS1_14partition_implILS5_6ELb0ES3_mN6thrust23THRUST_200600_302600_NS6detail15normal_iteratorINSA_10device_ptrIfEEEEPS6_SG_NS0_5tupleIJSF_S6_EEENSH_IJSG_SG_EEES6_PlJNSB_9not_fun_tI7is_evenIfEEEEEE10hipError_tPvRmT3_T4_T5_T6_T7_T9_mT8_P12ihipStream_tbDpT10_ENKUlT_T0_E_clISt17integral_constantIbLb1EES18_EEDaS13_S14_EUlS13_E_NS1_11comp_targetILNS1_3genE2ELNS1_11target_archE906ELNS1_3gpuE6ELNS1_3repE0EEENS1_30default_config_static_selectorELNS0_4arch9wavefront6targetE0EEEvT1_.has_recursion, 0
	.set _ZN7rocprim17ROCPRIM_400000_NS6detail17trampoline_kernelINS0_14default_configENS1_25partition_config_selectorILNS1_17partition_subalgoE6EfNS0_10empty_typeEbEEZZNS1_14partition_implILS5_6ELb0ES3_mN6thrust23THRUST_200600_302600_NS6detail15normal_iteratorINSA_10device_ptrIfEEEEPS6_SG_NS0_5tupleIJSF_S6_EEENSH_IJSG_SG_EEES6_PlJNSB_9not_fun_tI7is_evenIfEEEEEE10hipError_tPvRmT3_T4_T5_T6_T7_T9_mT8_P12ihipStream_tbDpT10_ENKUlT_T0_E_clISt17integral_constantIbLb1EES18_EEDaS13_S14_EUlS13_E_NS1_11comp_targetILNS1_3genE2ELNS1_11target_archE906ELNS1_3gpuE6ELNS1_3repE0EEENS1_30default_config_static_selectorELNS0_4arch9wavefront6targetE0EEEvT1_.has_indirect_call, 0
	.section	.AMDGPU.csdata,"",@progbits
; Kernel info:
; codeLenInByte = 0
; TotalNumSgprs: 0
; NumVgprs: 0
; ScratchSize: 0
; MemoryBound: 0
; FloatMode: 240
; IeeeMode: 1
; LDSByteSize: 0 bytes/workgroup (compile time only)
; SGPRBlocks: 0
; VGPRBlocks: 0
; NumSGPRsForWavesPerEU: 1
; NumVGPRsForWavesPerEU: 1
; Occupancy: 16
; WaveLimiterHint : 0
; COMPUTE_PGM_RSRC2:SCRATCH_EN: 0
; COMPUTE_PGM_RSRC2:USER_SGPR: 2
; COMPUTE_PGM_RSRC2:TRAP_HANDLER: 0
; COMPUTE_PGM_RSRC2:TGID_X_EN: 1
; COMPUTE_PGM_RSRC2:TGID_Y_EN: 0
; COMPUTE_PGM_RSRC2:TGID_Z_EN: 0
; COMPUTE_PGM_RSRC2:TIDIG_COMP_CNT: 0
	.section	.text._ZN7rocprim17ROCPRIM_400000_NS6detail17trampoline_kernelINS0_14default_configENS1_25partition_config_selectorILNS1_17partition_subalgoE6EfNS0_10empty_typeEbEEZZNS1_14partition_implILS5_6ELb0ES3_mN6thrust23THRUST_200600_302600_NS6detail15normal_iteratorINSA_10device_ptrIfEEEEPS6_SG_NS0_5tupleIJSF_S6_EEENSH_IJSG_SG_EEES6_PlJNSB_9not_fun_tI7is_evenIfEEEEEE10hipError_tPvRmT3_T4_T5_T6_T7_T9_mT8_P12ihipStream_tbDpT10_ENKUlT_T0_E_clISt17integral_constantIbLb1EES18_EEDaS13_S14_EUlS13_E_NS1_11comp_targetILNS1_3genE10ELNS1_11target_archE1200ELNS1_3gpuE4ELNS1_3repE0EEENS1_30default_config_static_selectorELNS0_4arch9wavefront6targetE0EEEvT1_,"axG",@progbits,_ZN7rocprim17ROCPRIM_400000_NS6detail17trampoline_kernelINS0_14default_configENS1_25partition_config_selectorILNS1_17partition_subalgoE6EfNS0_10empty_typeEbEEZZNS1_14partition_implILS5_6ELb0ES3_mN6thrust23THRUST_200600_302600_NS6detail15normal_iteratorINSA_10device_ptrIfEEEEPS6_SG_NS0_5tupleIJSF_S6_EEENSH_IJSG_SG_EEES6_PlJNSB_9not_fun_tI7is_evenIfEEEEEE10hipError_tPvRmT3_T4_T5_T6_T7_T9_mT8_P12ihipStream_tbDpT10_ENKUlT_T0_E_clISt17integral_constantIbLb1EES18_EEDaS13_S14_EUlS13_E_NS1_11comp_targetILNS1_3genE10ELNS1_11target_archE1200ELNS1_3gpuE4ELNS1_3repE0EEENS1_30default_config_static_selectorELNS0_4arch9wavefront6targetE0EEEvT1_,comdat
	.protected	_ZN7rocprim17ROCPRIM_400000_NS6detail17trampoline_kernelINS0_14default_configENS1_25partition_config_selectorILNS1_17partition_subalgoE6EfNS0_10empty_typeEbEEZZNS1_14partition_implILS5_6ELb0ES3_mN6thrust23THRUST_200600_302600_NS6detail15normal_iteratorINSA_10device_ptrIfEEEEPS6_SG_NS0_5tupleIJSF_S6_EEENSH_IJSG_SG_EEES6_PlJNSB_9not_fun_tI7is_evenIfEEEEEE10hipError_tPvRmT3_T4_T5_T6_T7_T9_mT8_P12ihipStream_tbDpT10_ENKUlT_T0_E_clISt17integral_constantIbLb1EES18_EEDaS13_S14_EUlS13_E_NS1_11comp_targetILNS1_3genE10ELNS1_11target_archE1200ELNS1_3gpuE4ELNS1_3repE0EEENS1_30default_config_static_selectorELNS0_4arch9wavefront6targetE0EEEvT1_ ; -- Begin function _ZN7rocprim17ROCPRIM_400000_NS6detail17trampoline_kernelINS0_14default_configENS1_25partition_config_selectorILNS1_17partition_subalgoE6EfNS0_10empty_typeEbEEZZNS1_14partition_implILS5_6ELb0ES3_mN6thrust23THRUST_200600_302600_NS6detail15normal_iteratorINSA_10device_ptrIfEEEEPS6_SG_NS0_5tupleIJSF_S6_EEENSH_IJSG_SG_EEES6_PlJNSB_9not_fun_tI7is_evenIfEEEEEE10hipError_tPvRmT3_T4_T5_T6_T7_T9_mT8_P12ihipStream_tbDpT10_ENKUlT_T0_E_clISt17integral_constantIbLb1EES18_EEDaS13_S14_EUlS13_E_NS1_11comp_targetILNS1_3genE10ELNS1_11target_archE1200ELNS1_3gpuE4ELNS1_3repE0EEENS1_30default_config_static_selectorELNS0_4arch9wavefront6targetE0EEEvT1_
	.globl	_ZN7rocprim17ROCPRIM_400000_NS6detail17trampoline_kernelINS0_14default_configENS1_25partition_config_selectorILNS1_17partition_subalgoE6EfNS0_10empty_typeEbEEZZNS1_14partition_implILS5_6ELb0ES3_mN6thrust23THRUST_200600_302600_NS6detail15normal_iteratorINSA_10device_ptrIfEEEEPS6_SG_NS0_5tupleIJSF_S6_EEENSH_IJSG_SG_EEES6_PlJNSB_9not_fun_tI7is_evenIfEEEEEE10hipError_tPvRmT3_T4_T5_T6_T7_T9_mT8_P12ihipStream_tbDpT10_ENKUlT_T0_E_clISt17integral_constantIbLb1EES18_EEDaS13_S14_EUlS13_E_NS1_11comp_targetILNS1_3genE10ELNS1_11target_archE1200ELNS1_3gpuE4ELNS1_3repE0EEENS1_30default_config_static_selectorELNS0_4arch9wavefront6targetE0EEEvT1_
	.p2align	8
	.type	_ZN7rocprim17ROCPRIM_400000_NS6detail17trampoline_kernelINS0_14default_configENS1_25partition_config_selectorILNS1_17partition_subalgoE6EfNS0_10empty_typeEbEEZZNS1_14partition_implILS5_6ELb0ES3_mN6thrust23THRUST_200600_302600_NS6detail15normal_iteratorINSA_10device_ptrIfEEEEPS6_SG_NS0_5tupleIJSF_S6_EEENSH_IJSG_SG_EEES6_PlJNSB_9not_fun_tI7is_evenIfEEEEEE10hipError_tPvRmT3_T4_T5_T6_T7_T9_mT8_P12ihipStream_tbDpT10_ENKUlT_T0_E_clISt17integral_constantIbLb1EES18_EEDaS13_S14_EUlS13_E_NS1_11comp_targetILNS1_3genE10ELNS1_11target_archE1200ELNS1_3gpuE4ELNS1_3repE0EEENS1_30default_config_static_selectorELNS0_4arch9wavefront6targetE0EEEvT1_,@function
_ZN7rocprim17ROCPRIM_400000_NS6detail17trampoline_kernelINS0_14default_configENS1_25partition_config_selectorILNS1_17partition_subalgoE6EfNS0_10empty_typeEbEEZZNS1_14partition_implILS5_6ELb0ES3_mN6thrust23THRUST_200600_302600_NS6detail15normal_iteratorINSA_10device_ptrIfEEEEPS6_SG_NS0_5tupleIJSF_S6_EEENSH_IJSG_SG_EEES6_PlJNSB_9not_fun_tI7is_evenIfEEEEEE10hipError_tPvRmT3_T4_T5_T6_T7_T9_mT8_P12ihipStream_tbDpT10_ENKUlT_T0_E_clISt17integral_constantIbLb1EES18_EEDaS13_S14_EUlS13_E_NS1_11comp_targetILNS1_3genE10ELNS1_11target_archE1200ELNS1_3gpuE4ELNS1_3repE0EEENS1_30default_config_static_selectorELNS0_4arch9wavefront6targetE0EEEvT1_: ; @_ZN7rocprim17ROCPRIM_400000_NS6detail17trampoline_kernelINS0_14default_configENS1_25partition_config_selectorILNS1_17partition_subalgoE6EfNS0_10empty_typeEbEEZZNS1_14partition_implILS5_6ELb0ES3_mN6thrust23THRUST_200600_302600_NS6detail15normal_iteratorINSA_10device_ptrIfEEEEPS6_SG_NS0_5tupleIJSF_S6_EEENSH_IJSG_SG_EEES6_PlJNSB_9not_fun_tI7is_evenIfEEEEEE10hipError_tPvRmT3_T4_T5_T6_T7_T9_mT8_P12ihipStream_tbDpT10_ENKUlT_T0_E_clISt17integral_constantIbLb1EES18_EEDaS13_S14_EUlS13_E_NS1_11comp_targetILNS1_3genE10ELNS1_11target_archE1200ELNS1_3gpuE4ELNS1_3repE0EEENS1_30default_config_static_selectorELNS0_4arch9wavefront6targetE0EEEvT1_
; %bb.0:
	s_endpgm
	.section	.rodata,"a",@progbits
	.p2align	6, 0x0
	.amdhsa_kernel _ZN7rocprim17ROCPRIM_400000_NS6detail17trampoline_kernelINS0_14default_configENS1_25partition_config_selectorILNS1_17partition_subalgoE6EfNS0_10empty_typeEbEEZZNS1_14partition_implILS5_6ELb0ES3_mN6thrust23THRUST_200600_302600_NS6detail15normal_iteratorINSA_10device_ptrIfEEEEPS6_SG_NS0_5tupleIJSF_S6_EEENSH_IJSG_SG_EEES6_PlJNSB_9not_fun_tI7is_evenIfEEEEEE10hipError_tPvRmT3_T4_T5_T6_T7_T9_mT8_P12ihipStream_tbDpT10_ENKUlT_T0_E_clISt17integral_constantIbLb1EES18_EEDaS13_S14_EUlS13_E_NS1_11comp_targetILNS1_3genE10ELNS1_11target_archE1200ELNS1_3gpuE4ELNS1_3repE0EEENS1_30default_config_static_selectorELNS0_4arch9wavefront6targetE0EEEvT1_
		.amdhsa_group_segment_fixed_size 0
		.amdhsa_private_segment_fixed_size 0
		.amdhsa_kernarg_size 128
		.amdhsa_user_sgpr_count 2
		.amdhsa_user_sgpr_dispatch_ptr 0
		.amdhsa_user_sgpr_queue_ptr 0
		.amdhsa_user_sgpr_kernarg_segment_ptr 1
		.amdhsa_user_sgpr_dispatch_id 0
		.amdhsa_user_sgpr_private_segment_size 0
		.amdhsa_wavefront_size32 1
		.amdhsa_uses_dynamic_stack 0
		.amdhsa_enable_private_segment 0
		.amdhsa_system_sgpr_workgroup_id_x 1
		.amdhsa_system_sgpr_workgroup_id_y 0
		.amdhsa_system_sgpr_workgroup_id_z 0
		.amdhsa_system_sgpr_workgroup_info 0
		.amdhsa_system_vgpr_workitem_id 0
		.amdhsa_next_free_vgpr 1
		.amdhsa_next_free_sgpr 1
		.amdhsa_reserve_vcc 0
		.amdhsa_float_round_mode_32 0
		.amdhsa_float_round_mode_16_64 0
		.amdhsa_float_denorm_mode_32 3
		.amdhsa_float_denorm_mode_16_64 3
		.amdhsa_fp16_overflow 0
		.amdhsa_workgroup_processor_mode 1
		.amdhsa_memory_ordered 1
		.amdhsa_forward_progress 1
		.amdhsa_inst_pref_size 1
		.amdhsa_round_robin_scheduling 0
		.amdhsa_exception_fp_ieee_invalid_op 0
		.amdhsa_exception_fp_denorm_src 0
		.amdhsa_exception_fp_ieee_div_zero 0
		.amdhsa_exception_fp_ieee_overflow 0
		.amdhsa_exception_fp_ieee_underflow 0
		.amdhsa_exception_fp_ieee_inexact 0
		.amdhsa_exception_int_div_zero 0
	.end_amdhsa_kernel
	.section	.text._ZN7rocprim17ROCPRIM_400000_NS6detail17trampoline_kernelINS0_14default_configENS1_25partition_config_selectorILNS1_17partition_subalgoE6EfNS0_10empty_typeEbEEZZNS1_14partition_implILS5_6ELb0ES3_mN6thrust23THRUST_200600_302600_NS6detail15normal_iteratorINSA_10device_ptrIfEEEEPS6_SG_NS0_5tupleIJSF_S6_EEENSH_IJSG_SG_EEES6_PlJNSB_9not_fun_tI7is_evenIfEEEEEE10hipError_tPvRmT3_T4_T5_T6_T7_T9_mT8_P12ihipStream_tbDpT10_ENKUlT_T0_E_clISt17integral_constantIbLb1EES18_EEDaS13_S14_EUlS13_E_NS1_11comp_targetILNS1_3genE10ELNS1_11target_archE1200ELNS1_3gpuE4ELNS1_3repE0EEENS1_30default_config_static_selectorELNS0_4arch9wavefront6targetE0EEEvT1_,"axG",@progbits,_ZN7rocprim17ROCPRIM_400000_NS6detail17trampoline_kernelINS0_14default_configENS1_25partition_config_selectorILNS1_17partition_subalgoE6EfNS0_10empty_typeEbEEZZNS1_14partition_implILS5_6ELb0ES3_mN6thrust23THRUST_200600_302600_NS6detail15normal_iteratorINSA_10device_ptrIfEEEEPS6_SG_NS0_5tupleIJSF_S6_EEENSH_IJSG_SG_EEES6_PlJNSB_9not_fun_tI7is_evenIfEEEEEE10hipError_tPvRmT3_T4_T5_T6_T7_T9_mT8_P12ihipStream_tbDpT10_ENKUlT_T0_E_clISt17integral_constantIbLb1EES18_EEDaS13_S14_EUlS13_E_NS1_11comp_targetILNS1_3genE10ELNS1_11target_archE1200ELNS1_3gpuE4ELNS1_3repE0EEENS1_30default_config_static_selectorELNS0_4arch9wavefront6targetE0EEEvT1_,comdat
.Lfunc_end578:
	.size	_ZN7rocprim17ROCPRIM_400000_NS6detail17trampoline_kernelINS0_14default_configENS1_25partition_config_selectorILNS1_17partition_subalgoE6EfNS0_10empty_typeEbEEZZNS1_14partition_implILS5_6ELb0ES3_mN6thrust23THRUST_200600_302600_NS6detail15normal_iteratorINSA_10device_ptrIfEEEEPS6_SG_NS0_5tupleIJSF_S6_EEENSH_IJSG_SG_EEES6_PlJNSB_9not_fun_tI7is_evenIfEEEEEE10hipError_tPvRmT3_T4_T5_T6_T7_T9_mT8_P12ihipStream_tbDpT10_ENKUlT_T0_E_clISt17integral_constantIbLb1EES18_EEDaS13_S14_EUlS13_E_NS1_11comp_targetILNS1_3genE10ELNS1_11target_archE1200ELNS1_3gpuE4ELNS1_3repE0EEENS1_30default_config_static_selectorELNS0_4arch9wavefront6targetE0EEEvT1_, .Lfunc_end578-_ZN7rocprim17ROCPRIM_400000_NS6detail17trampoline_kernelINS0_14default_configENS1_25partition_config_selectorILNS1_17partition_subalgoE6EfNS0_10empty_typeEbEEZZNS1_14partition_implILS5_6ELb0ES3_mN6thrust23THRUST_200600_302600_NS6detail15normal_iteratorINSA_10device_ptrIfEEEEPS6_SG_NS0_5tupleIJSF_S6_EEENSH_IJSG_SG_EEES6_PlJNSB_9not_fun_tI7is_evenIfEEEEEE10hipError_tPvRmT3_T4_T5_T6_T7_T9_mT8_P12ihipStream_tbDpT10_ENKUlT_T0_E_clISt17integral_constantIbLb1EES18_EEDaS13_S14_EUlS13_E_NS1_11comp_targetILNS1_3genE10ELNS1_11target_archE1200ELNS1_3gpuE4ELNS1_3repE0EEENS1_30default_config_static_selectorELNS0_4arch9wavefront6targetE0EEEvT1_
                                        ; -- End function
	.set _ZN7rocprim17ROCPRIM_400000_NS6detail17trampoline_kernelINS0_14default_configENS1_25partition_config_selectorILNS1_17partition_subalgoE6EfNS0_10empty_typeEbEEZZNS1_14partition_implILS5_6ELb0ES3_mN6thrust23THRUST_200600_302600_NS6detail15normal_iteratorINSA_10device_ptrIfEEEEPS6_SG_NS0_5tupleIJSF_S6_EEENSH_IJSG_SG_EEES6_PlJNSB_9not_fun_tI7is_evenIfEEEEEE10hipError_tPvRmT3_T4_T5_T6_T7_T9_mT8_P12ihipStream_tbDpT10_ENKUlT_T0_E_clISt17integral_constantIbLb1EES18_EEDaS13_S14_EUlS13_E_NS1_11comp_targetILNS1_3genE10ELNS1_11target_archE1200ELNS1_3gpuE4ELNS1_3repE0EEENS1_30default_config_static_selectorELNS0_4arch9wavefront6targetE0EEEvT1_.num_vgpr, 0
	.set _ZN7rocprim17ROCPRIM_400000_NS6detail17trampoline_kernelINS0_14default_configENS1_25partition_config_selectorILNS1_17partition_subalgoE6EfNS0_10empty_typeEbEEZZNS1_14partition_implILS5_6ELb0ES3_mN6thrust23THRUST_200600_302600_NS6detail15normal_iteratorINSA_10device_ptrIfEEEEPS6_SG_NS0_5tupleIJSF_S6_EEENSH_IJSG_SG_EEES6_PlJNSB_9not_fun_tI7is_evenIfEEEEEE10hipError_tPvRmT3_T4_T5_T6_T7_T9_mT8_P12ihipStream_tbDpT10_ENKUlT_T0_E_clISt17integral_constantIbLb1EES18_EEDaS13_S14_EUlS13_E_NS1_11comp_targetILNS1_3genE10ELNS1_11target_archE1200ELNS1_3gpuE4ELNS1_3repE0EEENS1_30default_config_static_selectorELNS0_4arch9wavefront6targetE0EEEvT1_.num_agpr, 0
	.set _ZN7rocprim17ROCPRIM_400000_NS6detail17trampoline_kernelINS0_14default_configENS1_25partition_config_selectorILNS1_17partition_subalgoE6EfNS0_10empty_typeEbEEZZNS1_14partition_implILS5_6ELb0ES3_mN6thrust23THRUST_200600_302600_NS6detail15normal_iteratorINSA_10device_ptrIfEEEEPS6_SG_NS0_5tupleIJSF_S6_EEENSH_IJSG_SG_EEES6_PlJNSB_9not_fun_tI7is_evenIfEEEEEE10hipError_tPvRmT3_T4_T5_T6_T7_T9_mT8_P12ihipStream_tbDpT10_ENKUlT_T0_E_clISt17integral_constantIbLb1EES18_EEDaS13_S14_EUlS13_E_NS1_11comp_targetILNS1_3genE10ELNS1_11target_archE1200ELNS1_3gpuE4ELNS1_3repE0EEENS1_30default_config_static_selectorELNS0_4arch9wavefront6targetE0EEEvT1_.numbered_sgpr, 0
	.set _ZN7rocprim17ROCPRIM_400000_NS6detail17trampoline_kernelINS0_14default_configENS1_25partition_config_selectorILNS1_17partition_subalgoE6EfNS0_10empty_typeEbEEZZNS1_14partition_implILS5_6ELb0ES3_mN6thrust23THRUST_200600_302600_NS6detail15normal_iteratorINSA_10device_ptrIfEEEEPS6_SG_NS0_5tupleIJSF_S6_EEENSH_IJSG_SG_EEES6_PlJNSB_9not_fun_tI7is_evenIfEEEEEE10hipError_tPvRmT3_T4_T5_T6_T7_T9_mT8_P12ihipStream_tbDpT10_ENKUlT_T0_E_clISt17integral_constantIbLb1EES18_EEDaS13_S14_EUlS13_E_NS1_11comp_targetILNS1_3genE10ELNS1_11target_archE1200ELNS1_3gpuE4ELNS1_3repE0EEENS1_30default_config_static_selectorELNS0_4arch9wavefront6targetE0EEEvT1_.num_named_barrier, 0
	.set _ZN7rocprim17ROCPRIM_400000_NS6detail17trampoline_kernelINS0_14default_configENS1_25partition_config_selectorILNS1_17partition_subalgoE6EfNS0_10empty_typeEbEEZZNS1_14partition_implILS5_6ELb0ES3_mN6thrust23THRUST_200600_302600_NS6detail15normal_iteratorINSA_10device_ptrIfEEEEPS6_SG_NS0_5tupleIJSF_S6_EEENSH_IJSG_SG_EEES6_PlJNSB_9not_fun_tI7is_evenIfEEEEEE10hipError_tPvRmT3_T4_T5_T6_T7_T9_mT8_P12ihipStream_tbDpT10_ENKUlT_T0_E_clISt17integral_constantIbLb1EES18_EEDaS13_S14_EUlS13_E_NS1_11comp_targetILNS1_3genE10ELNS1_11target_archE1200ELNS1_3gpuE4ELNS1_3repE0EEENS1_30default_config_static_selectorELNS0_4arch9wavefront6targetE0EEEvT1_.private_seg_size, 0
	.set _ZN7rocprim17ROCPRIM_400000_NS6detail17trampoline_kernelINS0_14default_configENS1_25partition_config_selectorILNS1_17partition_subalgoE6EfNS0_10empty_typeEbEEZZNS1_14partition_implILS5_6ELb0ES3_mN6thrust23THRUST_200600_302600_NS6detail15normal_iteratorINSA_10device_ptrIfEEEEPS6_SG_NS0_5tupleIJSF_S6_EEENSH_IJSG_SG_EEES6_PlJNSB_9not_fun_tI7is_evenIfEEEEEE10hipError_tPvRmT3_T4_T5_T6_T7_T9_mT8_P12ihipStream_tbDpT10_ENKUlT_T0_E_clISt17integral_constantIbLb1EES18_EEDaS13_S14_EUlS13_E_NS1_11comp_targetILNS1_3genE10ELNS1_11target_archE1200ELNS1_3gpuE4ELNS1_3repE0EEENS1_30default_config_static_selectorELNS0_4arch9wavefront6targetE0EEEvT1_.uses_vcc, 0
	.set _ZN7rocprim17ROCPRIM_400000_NS6detail17trampoline_kernelINS0_14default_configENS1_25partition_config_selectorILNS1_17partition_subalgoE6EfNS0_10empty_typeEbEEZZNS1_14partition_implILS5_6ELb0ES3_mN6thrust23THRUST_200600_302600_NS6detail15normal_iteratorINSA_10device_ptrIfEEEEPS6_SG_NS0_5tupleIJSF_S6_EEENSH_IJSG_SG_EEES6_PlJNSB_9not_fun_tI7is_evenIfEEEEEE10hipError_tPvRmT3_T4_T5_T6_T7_T9_mT8_P12ihipStream_tbDpT10_ENKUlT_T0_E_clISt17integral_constantIbLb1EES18_EEDaS13_S14_EUlS13_E_NS1_11comp_targetILNS1_3genE10ELNS1_11target_archE1200ELNS1_3gpuE4ELNS1_3repE0EEENS1_30default_config_static_selectorELNS0_4arch9wavefront6targetE0EEEvT1_.uses_flat_scratch, 0
	.set _ZN7rocprim17ROCPRIM_400000_NS6detail17trampoline_kernelINS0_14default_configENS1_25partition_config_selectorILNS1_17partition_subalgoE6EfNS0_10empty_typeEbEEZZNS1_14partition_implILS5_6ELb0ES3_mN6thrust23THRUST_200600_302600_NS6detail15normal_iteratorINSA_10device_ptrIfEEEEPS6_SG_NS0_5tupleIJSF_S6_EEENSH_IJSG_SG_EEES6_PlJNSB_9not_fun_tI7is_evenIfEEEEEE10hipError_tPvRmT3_T4_T5_T6_T7_T9_mT8_P12ihipStream_tbDpT10_ENKUlT_T0_E_clISt17integral_constantIbLb1EES18_EEDaS13_S14_EUlS13_E_NS1_11comp_targetILNS1_3genE10ELNS1_11target_archE1200ELNS1_3gpuE4ELNS1_3repE0EEENS1_30default_config_static_selectorELNS0_4arch9wavefront6targetE0EEEvT1_.has_dyn_sized_stack, 0
	.set _ZN7rocprim17ROCPRIM_400000_NS6detail17trampoline_kernelINS0_14default_configENS1_25partition_config_selectorILNS1_17partition_subalgoE6EfNS0_10empty_typeEbEEZZNS1_14partition_implILS5_6ELb0ES3_mN6thrust23THRUST_200600_302600_NS6detail15normal_iteratorINSA_10device_ptrIfEEEEPS6_SG_NS0_5tupleIJSF_S6_EEENSH_IJSG_SG_EEES6_PlJNSB_9not_fun_tI7is_evenIfEEEEEE10hipError_tPvRmT3_T4_T5_T6_T7_T9_mT8_P12ihipStream_tbDpT10_ENKUlT_T0_E_clISt17integral_constantIbLb1EES18_EEDaS13_S14_EUlS13_E_NS1_11comp_targetILNS1_3genE10ELNS1_11target_archE1200ELNS1_3gpuE4ELNS1_3repE0EEENS1_30default_config_static_selectorELNS0_4arch9wavefront6targetE0EEEvT1_.has_recursion, 0
	.set _ZN7rocprim17ROCPRIM_400000_NS6detail17trampoline_kernelINS0_14default_configENS1_25partition_config_selectorILNS1_17partition_subalgoE6EfNS0_10empty_typeEbEEZZNS1_14partition_implILS5_6ELb0ES3_mN6thrust23THRUST_200600_302600_NS6detail15normal_iteratorINSA_10device_ptrIfEEEEPS6_SG_NS0_5tupleIJSF_S6_EEENSH_IJSG_SG_EEES6_PlJNSB_9not_fun_tI7is_evenIfEEEEEE10hipError_tPvRmT3_T4_T5_T6_T7_T9_mT8_P12ihipStream_tbDpT10_ENKUlT_T0_E_clISt17integral_constantIbLb1EES18_EEDaS13_S14_EUlS13_E_NS1_11comp_targetILNS1_3genE10ELNS1_11target_archE1200ELNS1_3gpuE4ELNS1_3repE0EEENS1_30default_config_static_selectorELNS0_4arch9wavefront6targetE0EEEvT1_.has_indirect_call, 0
	.section	.AMDGPU.csdata,"",@progbits
; Kernel info:
; codeLenInByte = 4
; TotalNumSgprs: 0
; NumVgprs: 0
; ScratchSize: 0
; MemoryBound: 0
; FloatMode: 240
; IeeeMode: 1
; LDSByteSize: 0 bytes/workgroup (compile time only)
; SGPRBlocks: 0
; VGPRBlocks: 0
; NumSGPRsForWavesPerEU: 1
; NumVGPRsForWavesPerEU: 1
; Occupancy: 16
; WaveLimiterHint : 0
; COMPUTE_PGM_RSRC2:SCRATCH_EN: 0
; COMPUTE_PGM_RSRC2:USER_SGPR: 2
; COMPUTE_PGM_RSRC2:TRAP_HANDLER: 0
; COMPUTE_PGM_RSRC2:TGID_X_EN: 1
; COMPUTE_PGM_RSRC2:TGID_Y_EN: 0
; COMPUTE_PGM_RSRC2:TGID_Z_EN: 0
; COMPUTE_PGM_RSRC2:TIDIG_COMP_CNT: 0
	.section	.text._ZN7rocprim17ROCPRIM_400000_NS6detail17trampoline_kernelINS0_14default_configENS1_25partition_config_selectorILNS1_17partition_subalgoE6EfNS0_10empty_typeEbEEZZNS1_14partition_implILS5_6ELb0ES3_mN6thrust23THRUST_200600_302600_NS6detail15normal_iteratorINSA_10device_ptrIfEEEEPS6_SG_NS0_5tupleIJSF_S6_EEENSH_IJSG_SG_EEES6_PlJNSB_9not_fun_tI7is_evenIfEEEEEE10hipError_tPvRmT3_T4_T5_T6_T7_T9_mT8_P12ihipStream_tbDpT10_ENKUlT_T0_E_clISt17integral_constantIbLb1EES18_EEDaS13_S14_EUlS13_E_NS1_11comp_targetILNS1_3genE9ELNS1_11target_archE1100ELNS1_3gpuE3ELNS1_3repE0EEENS1_30default_config_static_selectorELNS0_4arch9wavefront6targetE0EEEvT1_,"axG",@progbits,_ZN7rocprim17ROCPRIM_400000_NS6detail17trampoline_kernelINS0_14default_configENS1_25partition_config_selectorILNS1_17partition_subalgoE6EfNS0_10empty_typeEbEEZZNS1_14partition_implILS5_6ELb0ES3_mN6thrust23THRUST_200600_302600_NS6detail15normal_iteratorINSA_10device_ptrIfEEEEPS6_SG_NS0_5tupleIJSF_S6_EEENSH_IJSG_SG_EEES6_PlJNSB_9not_fun_tI7is_evenIfEEEEEE10hipError_tPvRmT3_T4_T5_T6_T7_T9_mT8_P12ihipStream_tbDpT10_ENKUlT_T0_E_clISt17integral_constantIbLb1EES18_EEDaS13_S14_EUlS13_E_NS1_11comp_targetILNS1_3genE9ELNS1_11target_archE1100ELNS1_3gpuE3ELNS1_3repE0EEENS1_30default_config_static_selectorELNS0_4arch9wavefront6targetE0EEEvT1_,comdat
	.protected	_ZN7rocprim17ROCPRIM_400000_NS6detail17trampoline_kernelINS0_14default_configENS1_25partition_config_selectorILNS1_17partition_subalgoE6EfNS0_10empty_typeEbEEZZNS1_14partition_implILS5_6ELb0ES3_mN6thrust23THRUST_200600_302600_NS6detail15normal_iteratorINSA_10device_ptrIfEEEEPS6_SG_NS0_5tupleIJSF_S6_EEENSH_IJSG_SG_EEES6_PlJNSB_9not_fun_tI7is_evenIfEEEEEE10hipError_tPvRmT3_T4_T5_T6_T7_T9_mT8_P12ihipStream_tbDpT10_ENKUlT_T0_E_clISt17integral_constantIbLb1EES18_EEDaS13_S14_EUlS13_E_NS1_11comp_targetILNS1_3genE9ELNS1_11target_archE1100ELNS1_3gpuE3ELNS1_3repE0EEENS1_30default_config_static_selectorELNS0_4arch9wavefront6targetE0EEEvT1_ ; -- Begin function _ZN7rocprim17ROCPRIM_400000_NS6detail17trampoline_kernelINS0_14default_configENS1_25partition_config_selectorILNS1_17partition_subalgoE6EfNS0_10empty_typeEbEEZZNS1_14partition_implILS5_6ELb0ES3_mN6thrust23THRUST_200600_302600_NS6detail15normal_iteratorINSA_10device_ptrIfEEEEPS6_SG_NS0_5tupleIJSF_S6_EEENSH_IJSG_SG_EEES6_PlJNSB_9not_fun_tI7is_evenIfEEEEEE10hipError_tPvRmT3_T4_T5_T6_T7_T9_mT8_P12ihipStream_tbDpT10_ENKUlT_T0_E_clISt17integral_constantIbLb1EES18_EEDaS13_S14_EUlS13_E_NS1_11comp_targetILNS1_3genE9ELNS1_11target_archE1100ELNS1_3gpuE3ELNS1_3repE0EEENS1_30default_config_static_selectorELNS0_4arch9wavefront6targetE0EEEvT1_
	.globl	_ZN7rocprim17ROCPRIM_400000_NS6detail17trampoline_kernelINS0_14default_configENS1_25partition_config_selectorILNS1_17partition_subalgoE6EfNS0_10empty_typeEbEEZZNS1_14partition_implILS5_6ELb0ES3_mN6thrust23THRUST_200600_302600_NS6detail15normal_iteratorINSA_10device_ptrIfEEEEPS6_SG_NS0_5tupleIJSF_S6_EEENSH_IJSG_SG_EEES6_PlJNSB_9not_fun_tI7is_evenIfEEEEEE10hipError_tPvRmT3_T4_T5_T6_T7_T9_mT8_P12ihipStream_tbDpT10_ENKUlT_T0_E_clISt17integral_constantIbLb1EES18_EEDaS13_S14_EUlS13_E_NS1_11comp_targetILNS1_3genE9ELNS1_11target_archE1100ELNS1_3gpuE3ELNS1_3repE0EEENS1_30default_config_static_selectorELNS0_4arch9wavefront6targetE0EEEvT1_
	.p2align	8
	.type	_ZN7rocprim17ROCPRIM_400000_NS6detail17trampoline_kernelINS0_14default_configENS1_25partition_config_selectorILNS1_17partition_subalgoE6EfNS0_10empty_typeEbEEZZNS1_14partition_implILS5_6ELb0ES3_mN6thrust23THRUST_200600_302600_NS6detail15normal_iteratorINSA_10device_ptrIfEEEEPS6_SG_NS0_5tupleIJSF_S6_EEENSH_IJSG_SG_EEES6_PlJNSB_9not_fun_tI7is_evenIfEEEEEE10hipError_tPvRmT3_T4_T5_T6_T7_T9_mT8_P12ihipStream_tbDpT10_ENKUlT_T0_E_clISt17integral_constantIbLb1EES18_EEDaS13_S14_EUlS13_E_NS1_11comp_targetILNS1_3genE9ELNS1_11target_archE1100ELNS1_3gpuE3ELNS1_3repE0EEENS1_30default_config_static_selectorELNS0_4arch9wavefront6targetE0EEEvT1_,@function
_ZN7rocprim17ROCPRIM_400000_NS6detail17trampoline_kernelINS0_14default_configENS1_25partition_config_selectorILNS1_17partition_subalgoE6EfNS0_10empty_typeEbEEZZNS1_14partition_implILS5_6ELb0ES3_mN6thrust23THRUST_200600_302600_NS6detail15normal_iteratorINSA_10device_ptrIfEEEEPS6_SG_NS0_5tupleIJSF_S6_EEENSH_IJSG_SG_EEES6_PlJNSB_9not_fun_tI7is_evenIfEEEEEE10hipError_tPvRmT3_T4_T5_T6_T7_T9_mT8_P12ihipStream_tbDpT10_ENKUlT_T0_E_clISt17integral_constantIbLb1EES18_EEDaS13_S14_EUlS13_E_NS1_11comp_targetILNS1_3genE9ELNS1_11target_archE1100ELNS1_3gpuE3ELNS1_3repE0EEENS1_30default_config_static_selectorELNS0_4arch9wavefront6targetE0EEEvT1_: ; @_ZN7rocprim17ROCPRIM_400000_NS6detail17trampoline_kernelINS0_14default_configENS1_25partition_config_selectorILNS1_17partition_subalgoE6EfNS0_10empty_typeEbEEZZNS1_14partition_implILS5_6ELb0ES3_mN6thrust23THRUST_200600_302600_NS6detail15normal_iteratorINSA_10device_ptrIfEEEEPS6_SG_NS0_5tupleIJSF_S6_EEENSH_IJSG_SG_EEES6_PlJNSB_9not_fun_tI7is_evenIfEEEEEE10hipError_tPvRmT3_T4_T5_T6_T7_T9_mT8_P12ihipStream_tbDpT10_ENKUlT_T0_E_clISt17integral_constantIbLb1EES18_EEDaS13_S14_EUlS13_E_NS1_11comp_targetILNS1_3genE9ELNS1_11target_archE1100ELNS1_3gpuE3ELNS1_3repE0EEENS1_30default_config_static_selectorELNS0_4arch9wavefront6targetE0EEEvT1_
; %bb.0:
	.section	.rodata,"a",@progbits
	.p2align	6, 0x0
	.amdhsa_kernel _ZN7rocprim17ROCPRIM_400000_NS6detail17trampoline_kernelINS0_14default_configENS1_25partition_config_selectorILNS1_17partition_subalgoE6EfNS0_10empty_typeEbEEZZNS1_14partition_implILS5_6ELb0ES3_mN6thrust23THRUST_200600_302600_NS6detail15normal_iteratorINSA_10device_ptrIfEEEEPS6_SG_NS0_5tupleIJSF_S6_EEENSH_IJSG_SG_EEES6_PlJNSB_9not_fun_tI7is_evenIfEEEEEE10hipError_tPvRmT3_T4_T5_T6_T7_T9_mT8_P12ihipStream_tbDpT10_ENKUlT_T0_E_clISt17integral_constantIbLb1EES18_EEDaS13_S14_EUlS13_E_NS1_11comp_targetILNS1_3genE9ELNS1_11target_archE1100ELNS1_3gpuE3ELNS1_3repE0EEENS1_30default_config_static_selectorELNS0_4arch9wavefront6targetE0EEEvT1_
		.amdhsa_group_segment_fixed_size 0
		.amdhsa_private_segment_fixed_size 0
		.amdhsa_kernarg_size 128
		.amdhsa_user_sgpr_count 2
		.amdhsa_user_sgpr_dispatch_ptr 0
		.amdhsa_user_sgpr_queue_ptr 0
		.amdhsa_user_sgpr_kernarg_segment_ptr 1
		.amdhsa_user_sgpr_dispatch_id 0
		.amdhsa_user_sgpr_private_segment_size 0
		.amdhsa_wavefront_size32 1
		.amdhsa_uses_dynamic_stack 0
		.amdhsa_enable_private_segment 0
		.amdhsa_system_sgpr_workgroup_id_x 1
		.amdhsa_system_sgpr_workgroup_id_y 0
		.amdhsa_system_sgpr_workgroup_id_z 0
		.amdhsa_system_sgpr_workgroup_info 0
		.amdhsa_system_vgpr_workitem_id 0
		.amdhsa_next_free_vgpr 1
		.amdhsa_next_free_sgpr 1
		.amdhsa_reserve_vcc 0
		.amdhsa_float_round_mode_32 0
		.amdhsa_float_round_mode_16_64 0
		.amdhsa_float_denorm_mode_32 3
		.amdhsa_float_denorm_mode_16_64 3
		.amdhsa_fp16_overflow 0
		.amdhsa_workgroup_processor_mode 1
		.amdhsa_memory_ordered 1
		.amdhsa_forward_progress 1
		.amdhsa_inst_pref_size 0
		.amdhsa_round_robin_scheduling 0
		.amdhsa_exception_fp_ieee_invalid_op 0
		.amdhsa_exception_fp_denorm_src 0
		.amdhsa_exception_fp_ieee_div_zero 0
		.amdhsa_exception_fp_ieee_overflow 0
		.amdhsa_exception_fp_ieee_underflow 0
		.amdhsa_exception_fp_ieee_inexact 0
		.amdhsa_exception_int_div_zero 0
	.end_amdhsa_kernel
	.section	.text._ZN7rocprim17ROCPRIM_400000_NS6detail17trampoline_kernelINS0_14default_configENS1_25partition_config_selectorILNS1_17partition_subalgoE6EfNS0_10empty_typeEbEEZZNS1_14partition_implILS5_6ELb0ES3_mN6thrust23THRUST_200600_302600_NS6detail15normal_iteratorINSA_10device_ptrIfEEEEPS6_SG_NS0_5tupleIJSF_S6_EEENSH_IJSG_SG_EEES6_PlJNSB_9not_fun_tI7is_evenIfEEEEEE10hipError_tPvRmT3_T4_T5_T6_T7_T9_mT8_P12ihipStream_tbDpT10_ENKUlT_T0_E_clISt17integral_constantIbLb1EES18_EEDaS13_S14_EUlS13_E_NS1_11comp_targetILNS1_3genE9ELNS1_11target_archE1100ELNS1_3gpuE3ELNS1_3repE0EEENS1_30default_config_static_selectorELNS0_4arch9wavefront6targetE0EEEvT1_,"axG",@progbits,_ZN7rocprim17ROCPRIM_400000_NS6detail17trampoline_kernelINS0_14default_configENS1_25partition_config_selectorILNS1_17partition_subalgoE6EfNS0_10empty_typeEbEEZZNS1_14partition_implILS5_6ELb0ES3_mN6thrust23THRUST_200600_302600_NS6detail15normal_iteratorINSA_10device_ptrIfEEEEPS6_SG_NS0_5tupleIJSF_S6_EEENSH_IJSG_SG_EEES6_PlJNSB_9not_fun_tI7is_evenIfEEEEEE10hipError_tPvRmT3_T4_T5_T6_T7_T9_mT8_P12ihipStream_tbDpT10_ENKUlT_T0_E_clISt17integral_constantIbLb1EES18_EEDaS13_S14_EUlS13_E_NS1_11comp_targetILNS1_3genE9ELNS1_11target_archE1100ELNS1_3gpuE3ELNS1_3repE0EEENS1_30default_config_static_selectorELNS0_4arch9wavefront6targetE0EEEvT1_,comdat
.Lfunc_end579:
	.size	_ZN7rocprim17ROCPRIM_400000_NS6detail17trampoline_kernelINS0_14default_configENS1_25partition_config_selectorILNS1_17partition_subalgoE6EfNS0_10empty_typeEbEEZZNS1_14partition_implILS5_6ELb0ES3_mN6thrust23THRUST_200600_302600_NS6detail15normal_iteratorINSA_10device_ptrIfEEEEPS6_SG_NS0_5tupleIJSF_S6_EEENSH_IJSG_SG_EEES6_PlJNSB_9not_fun_tI7is_evenIfEEEEEE10hipError_tPvRmT3_T4_T5_T6_T7_T9_mT8_P12ihipStream_tbDpT10_ENKUlT_T0_E_clISt17integral_constantIbLb1EES18_EEDaS13_S14_EUlS13_E_NS1_11comp_targetILNS1_3genE9ELNS1_11target_archE1100ELNS1_3gpuE3ELNS1_3repE0EEENS1_30default_config_static_selectorELNS0_4arch9wavefront6targetE0EEEvT1_, .Lfunc_end579-_ZN7rocprim17ROCPRIM_400000_NS6detail17trampoline_kernelINS0_14default_configENS1_25partition_config_selectorILNS1_17partition_subalgoE6EfNS0_10empty_typeEbEEZZNS1_14partition_implILS5_6ELb0ES3_mN6thrust23THRUST_200600_302600_NS6detail15normal_iteratorINSA_10device_ptrIfEEEEPS6_SG_NS0_5tupleIJSF_S6_EEENSH_IJSG_SG_EEES6_PlJNSB_9not_fun_tI7is_evenIfEEEEEE10hipError_tPvRmT3_T4_T5_T6_T7_T9_mT8_P12ihipStream_tbDpT10_ENKUlT_T0_E_clISt17integral_constantIbLb1EES18_EEDaS13_S14_EUlS13_E_NS1_11comp_targetILNS1_3genE9ELNS1_11target_archE1100ELNS1_3gpuE3ELNS1_3repE0EEENS1_30default_config_static_selectorELNS0_4arch9wavefront6targetE0EEEvT1_
                                        ; -- End function
	.set _ZN7rocprim17ROCPRIM_400000_NS6detail17trampoline_kernelINS0_14default_configENS1_25partition_config_selectorILNS1_17partition_subalgoE6EfNS0_10empty_typeEbEEZZNS1_14partition_implILS5_6ELb0ES3_mN6thrust23THRUST_200600_302600_NS6detail15normal_iteratorINSA_10device_ptrIfEEEEPS6_SG_NS0_5tupleIJSF_S6_EEENSH_IJSG_SG_EEES6_PlJNSB_9not_fun_tI7is_evenIfEEEEEE10hipError_tPvRmT3_T4_T5_T6_T7_T9_mT8_P12ihipStream_tbDpT10_ENKUlT_T0_E_clISt17integral_constantIbLb1EES18_EEDaS13_S14_EUlS13_E_NS1_11comp_targetILNS1_3genE9ELNS1_11target_archE1100ELNS1_3gpuE3ELNS1_3repE0EEENS1_30default_config_static_selectorELNS0_4arch9wavefront6targetE0EEEvT1_.num_vgpr, 0
	.set _ZN7rocprim17ROCPRIM_400000_NS6detail17trampoline_kernelINS0_14default_configENS1_25partition_config_selectorILNS1_17partition_subalgoE6EfNS0_10empty_typeEbEEZZNS1_14partition_implILS5_6ELb0ES3_mN6thrust23THRUST_200600_302600_NS6detail15normal_iteratorINSA_10device_ptrIfEEEEPS6_SG_NS0_5tupleIJSF_S6_EEENSH_IJSG_SG_EEES6_PlJNSB_9not_fun_tI7is_evenIfEEEEEE10hipError_tPvRmT3_T4_T5_T6_T7_T9_mT8_P12ihipStream_tbDpT10_ENKUlT_T0_E_clISt17integral_constantIbLb1EES18_EEDaS13_S14_EUlS13_E_NS1_11comp_targetILNS1_3genE9ELNS1_11target_archE1100ELNS1_3gpuE3ELNS1_3repE0EEENS1_30default_config_static_selectorELNS0_4arch9wavefront6targetE0EEEvT1_.num_agpr, 0
	.set _ZN7rocprim17ROCPRIM_400000_NS6detail17trampoline_kernelINS0_14default_configENS1_25partition_config_selectorILNS1_17partition_subalgoE6EfNS0_10empty_typeEbEEZZNS1_14partition_implILS5_6ELb0ES3_mN6thrust23THRUST_200600_302600_NS6detail15normal_iteratorINSA_10device_ptrIfEEEEPS6_SG_NS0_5tupleIJSF_S6_EEENSH_IJSG_SG_EEES6_PlJNSB_9not_fun_tI7is_evenIfEEEEEE10hipError_tPvRmT3_T4_T5_T6_T7_T9_mT8_P12ihipStream_tbDpT10_ENKUlT_T0_E_clISt17integral_constantIbLb1EES18_EEDaS13_S14_EUlS13_E_NS1_11comp_targetILNS1_3genE9ELNS1_11target_archE1100ELNS1_3gpuE3ELNS1_3repE0EEENS1_30default_config_static_selectorELNS0_4arch9wavefront6targetE0EEEvT1_.numbered_sgpr, 0
	.set _ZN7rocprim17ROCPRIM_400000_NS6detail17trampoline_kernelINS0_14default_configENS1_25partition_config_selectorILNS1_17partition_subalgoE6EfNS0_10empty_typeEbEEZZNS1_14partition_implILS5_6ELb0ES3_mN6thrust23THRUST_200600_302600_NS6detail15normal_iteratorINSA_10device_ptrIfEEEEPS6_SG_NS0_5tupleIJSF_S6_EEENSH_IJSG_SG_EEES6_PlJNSB_9not_fun_tI7is_evenIfEEEEEE10hipError_tPvRmT3_T4_T5_T6_T7_T9_mT8_P12ihipStream_tbDpT10_ENKUlT_T0_E_clISt17integral_constantIbLb1EES18_EEDaS13_S14_EUlS13_E_NS1_11comp_targetILNS1_3genE9ELNS1_11target_archE1100ELNS1_3gpuE3ELNS1_3repE0EEENS1_30default_config_static_selectorELNS0_4arch9wavefront6targetE0EEEvT1_.num_named_barrier, 0
	.set _ZN7rocprim17ROCPRIM_400000_NS6detail17trampoline_kernelINS0_14default_configENS1_25partition_config_selectorILNS1_17partition_subalgoE6EfNS0_10empty_typeEbEEZZNS1_14partition_implILS5_6ELb0ES3_mN6thrust23THRUST_200600_302600_NS6detail15normal_iteratorINSA_10device_ptrIfEEEEPS6_SG_NS0_5tupleIJSF_S6_EEENSH_IJSG_SG_EEES6_PlJNSB_9not_fun_tI7is_evenIfEEEEEE10hipError_tPvRmT3_T4_T5_T6_T7_T9_mT8_P12ihipStream_tbDpT10_ENKUlT_T0_E_clISt17integral_constantIbLb1EES18_EEDaS13_S14_EUlS13_E_NS1_11comp_targetILNS1_3genE9ELNS1_11target_archE1100ELNS1_3gpuE3ELNS1_3repE0EEENS1_30default_config_static_selectorELNS0_4arch9wavefront6targetE0EEEvT1_.private_seg_size, 0
	.set _ZN7rocprim17ROCPRIM_400000_NS6detail17trampoline_kernelINS0_14default_configENS1_25partition_config_selectorILNS1_17partition_subalgoE6EfNS0_10empty_typeEbEEZZNS1_14partition_implILS5_6ELb0ES3_mN6thrust23THRUST_200600_302600_NS6detail15normal_iteratorINSA_10device_ptrIfEEEEPS6_SG_NS0_5tupleIJSF_S6_EEENSH_IJSG_SG_EEES6_PlJNSB_9not_fun_tI7is_evenIfEEEEEE10hipError_tPvRmT3_T4_T5_T6_T7_T9_mT8_P12ihipStream_tbDpT10_ENKUlT_T0_E_clISt17integral_constantIbLb1EES18_EEDaS13_S14_EUlS13_E_NS1_11comp_targetILNS1_3genE9ELNS1_11target_archE1100ELNS1_3gpuE3ELNS1_3repE0EEENS1_30default_config_static_selectorELNS0_4arch9wavefront6targetE0EEEvT1_.uses_vcc, 0
	.set _ZN7rocprim17ROCPRIM_400000_NS6detail17trampoline_kernelINS0_14default_configENS1_25partition_config_selectorILNS1_17partition_subalgoE6EfNS0_10empty_typeEbEEZZNS1_14partition_implILS5_6ELb0ES3_mN6thrust23THRUST_200600_302600_NS6detail15normal_iteratorINSA_10device_ptrIfEEEEPS6_SG_NS0_5tupleIJSF_S6_EEENSH_IJSG_SG_EEES6_PlJNSB_9not_fun_tI7is_evenIfEEEEEE10hipError_tPvRmT3_T4_T5_T6_T7_T9_mT8_P12ihipStream_tbDpT10_ENKUlT_T0_E_clISt17integral_constantIbLb1EES18_EEDaS13_S14_EUlS13_E_NS1_11comp_targetILNS1_3genE9ELNS1_11target_archE1100ELNS1_3gpuE3ELNS1_3repE0EEENS1_30default_config_static_selectorELNS0_4arch9wavefront6targetE0EEEvT1_.uses_flat_scratch, 0
	.set _ZN7rocprim17ROCPRIM_400000_NS6detail17trampoline_kernelINS0_14default_configENS1_25partition_config_selectorILNS1_17partition_subalgoE6EfNS0_10empty_typeEbEEZZNS1_14partition_implILS5_6ELb0ES3_mN6thrust23THRUST_200600_302600_NS6detail15normal_iteratorINSA_10device_ptrIfEEEEPS6_SG_NS0_5tupleIJSF_S6_EEENSH_IJSG_SG_EEES6_PlJNSB_9not_fun_tI7is_evenIfEEEEEE10hipError_tPvRmT3_T4_T5_T6_T7_T9_mT8_P12ihipStream_tbDpT10_ENKUlT_T0_E_clISt17integral_constantIbLb1EES18_EEDaS13_S14_EUlS13_E_NS1_11comp_targetILNS1_3genE9ELNS1_11target_archE1100ELNS1_3gpuE3ELNS1_3repE0EEENS1_30default_config_static_selectorELNS0_4arch9wavefront6targetE0EEEvT1_.has_dyn_sized_stack, 0
	.set _ZN7rocprim17ROCPRIM_400000_NS6detail17trampoline_kernelINS0_14default_configENS1_25partition_config_selectorILNS1_17partition_subalgoE6EfNS0_10empty_typeEbEEZZNS1_14partition_implILS5_6ELb0ES3_mN6thrust23THRUST_200600_302600_NS6detail15normal_iteratorINSA_10device_ptrIfEEEEPS6_SG_NS0_5tupleIJSF_S6_EEENSH_IJSG_SG_EEES6_PlJNSB_9not_fun_tI7is_evenIfEEEEEE10hipError_tPvRmT3_T4_T5_T6_T7_T9_mT8_P12ihipStream_tbDpT10_ENKUlT_T0_E_clISt17integral_constantIbLb1EES18_EEDaS13_S14_EUlS13_E_NS1_11comp_targetILNS1_3genE9ELNS1_11target_archE1100ELNS1_3gpuE3ELNS1_3repE0EEENS1_30default_config_static_selectorELNS0_4arch9wavefront6targetE0EEEvT1_.has_recursion, 0
	.set _ZN7rocprim17ROCPRIM_400000_NS6detail17trampoline_kernelINS0_14default_configENS1_25partition_config_selectorILNS1_17partition_subalgoE6EfNS0_10empty_typeEbEEZZNS1_14partition_implILS5_6ELb0ES3_mN6thrust23THRUST_200600_302600_NS6detail15normal_iteratorINSA_10device_ptrIfEEEEPS6_SG_NS0_5tupleIJSF_S6_EEENSH_IJSG_SG_EEES6_PlJNSB_9not_fun_tI7is_evenIfEEEEEE10hipError_tPvRmT3_T4_T5_T6_T7_T9_mT8_P12ihipStream_tbDpT10_ENKUlT_T0_E_clISt17integral_constantIbLb1EES18_EEDaS13_S14_EUlS13_E_NS1_11comp_targetILNS1_3genE9ELNS1_11target_archE1100ELNS1_3gpuE3ELNS1_3repE0EEENS1_30default_config_static_selectorELNS0_4arch9wavefront6targetE0EEEvT1_.has_indirect_call, 0
	.section	.AMDGPU.csdata,"",@progbits
; Kernel info:
; codeLenInByte = 0
; TotalNumSgprs: 0
; NumVgprs: 0
; ScratchSize: 0
; MemoryBound: 0
; FloatMode: 240
; IeeeMode: 1
; LDSByteSize: 0 bytes/workgroup (compile time only)
; SGPRBlocks: 0
; VGPRBlocks: 0
; NumSGPRsForWavesPerEU: 1
; NumVGPRsForWavesPerEU: 1
; Occupancy: 16
; WaveLimiterHint : 0
; COMPUTE_PGM_RSRC2:SCRATCH_EN: 0
; COMPUTE_PGM_RSRC2:USER_SGPR: 2
; COMPUTE_PGM_RSRC2:TRAP_HANDLER: 0
; COMPUTE_PGM_RSRC2:TGID_X_EN: 1
; COMPUTE_PGM_RSRC2:TGID_Y_EN: 0
; COMPUTE_PGM_RSRC2:TGID_Z_EN: 0
; COMPUTE_PGM_RSRC2:TIDIG_COMP_CNT: 0
	.section	.text._ZN7rocprim17ROCPRIM_400000_NS6detail17trampoline_kernelINS0_14default_configENS1_25partition_config_selectorILNS1_17partition_subalgoE6EfNS0_10empty_typeEbEEZZNS1_14partition_implILS5_6ELb0ES3_mN6thrust23THRUST_200600_302600_NS6detail15normal_iteratorINSA_10device_ptrIfEEEEPS6_SG_NS0_5tupleIJSF_S6_EEENSH_IJSG_SG_EEES6_PlJNSB_9not_fun_tI7is_evenIfEEEEEE10hipError_tPvRmT3_T4_T5_T6_T7_T9_mT8_P12ihipStream_tbDpT10_ENKUlT_T0_E_clISt17integral_constantIbLb1EES18_EEDaS13_S14_EUlS13_E_NS1_11comp_targetILNS1_3genE8ELNS1_11target_archE1030ELNS1_3gpuE2ELNS1_3repE0EEENS1_30default_config_static_selectorELNS0_4arch9wavefront6targetE0EEEvT1_,"axG",@progbits,_ZN7rocprim17ROCPRIM_400000_NS6detail17trampoline_kernelINS0_14default_configENS1_25partition_config_selectorILNS1_17partition_subalgoE6EfNS0_10empty_typeEbEEZZNS1_14partition_implILS5_6ELb0ES3_mN6thrust23THRUST_200600_302600_NS6detail15normal_iteratorINSA_10device_ptrIfEEEEPS6_SG_NS0_5tupleIJSF_S6_EEENSH_IJSG_SG_EEES6_PlJNSB_9not_fun_tI7is_evenIfEEEEEE10hipError_tPvRmT3_T4_T5_T6_T7_T9_mT8_P12ihipStream_tbDpT10_ENKUlT_T0_E_clISt17integral_constantIbLb1EES18_EEDaS13_S14_EUlS13_E_NS1_11comp_targetILNS1_3genE8ELNS1_11target_archE1030ELNS1_3gpuE2ELNS1_3repE0EEENS1_30default_config_static_selectorELNS0_4arch9wavefront6targetE0EEEvT1_,comdat
	.protected	_ZN7rocprim17ROCPRIM_400000_NS6detail17trampoline_kernelINS0_14default_configENS1_25partition_config_selectorILNS1_17partition_subalgoE6EfNS0_10empty_typeEbEEZZNS1_14partition_implILS5_6ELb0ES3_mN6thrust23THRUST_200600_302600_NS6detail15normal_iteratorINSA_10device_ptrIfEEEEPS6_SG_NS0_5tupleIJSF_S6_EEENSH_IJSG_SG_EEES6_PlJNSB_9not_fun_tI7is_evenIfEEEEEE10hipError_tPvRmT3_T4_T5_T6_T7_T9_mT8_P12ihipStream_tbDpT10_ENKUlT_T0_E_clISt17integral_constantIbLb1EES18_EEDaS13_S14_EUlS13_E_NS1_11comp_targetILNS1_3genE8ELNS1_11target_archE1030ELNS1_3gpuE2ELNS1_3repE0EEENS1_30default_config_static_selectorELNS0_4arch9wavefront6targetE0EEEvT1_ ; -- Begin function _ZN7rocprim17ROCPRIM_400000_NS6detail17trampoline_kernelINS0_14default_configENS1_25partition_config_selectorILNS1_17partition_subalgoE6EfNS0_10empty_typeEbEEZZNS1_14partition_implILS5_6ELb0ES3_mN6thrust23THRUST_200600_302600_NS6detail15normal_iteratorINSA_10device_ptrIfEEEEPS6_SG_NS0_5tupleIJSF_S6_EEENSH_IJSG_SG_EEES6_PlJNSB_9not_fun_tI7is_evenIfEEEEEE10hipError_tPvRmT3_T4_T5_T6_T7_T9_mT8_P12ihipStream_tbDpT10_ENKUlT_T0_E_clISt17integral_constantIbLb1EES18_EEDaS13_S14_EUlS13_E_NS1_11comp_targetILNS1_3genE8ELNS1_11target_archE1030ELNS1_3gpuE2ELNS1_3repE0EEENS1_30default_config_static_selectorELNS0_4arch9wavefront6targetE0EEEvT1_
	.globl	_ZN7rocprim17ROCPRIM_400000_NS6detail17trampoline_kernelINS0_14default_configENS1_25partition_config_selectorILNS1_17partition_subalgoE6EfNS0_10empty_typeEbEEZZNS1_14partition_implILS5_6ELb0ES3_mN6thrust23THRUST_200600_302600_NS6detail15normal_iteratorINSA_10device_ptrIfEEEEPS6_SG_NS0_5tupleIJSF_S6_EEENSH_IJSG_SG_EEES6_PlJNSB_9not_fun_tI7is_evenIfEEEEEE10hipError_tPvRmT3_T4_T5_T6_T7_T9_mT8_P12ihipStream_tbDpT10_ENKUlT_T0_E_clISt17integral_constantIbLb1EES18_EEDaS13_S14_EUlS13_E_NS1_11comp_targetILNS1_3genE8ELNS1_11target_archE1030ELNS1_3gpuE2ELNS1_3repE0EEENS1_30default_config_static_selectorELNS0_4arch9wavefront6targetE0EEEvT1_
	.p2align	8
	.type	_ZN7rocprim17ROCPRIM_400000_NS6detail17trampoline_kernelINS0_14default_configENS1_25partition_config_selectorILNS1_17partition_subalgoE6EfNS0_10empty_typeEbEEZZNS1_14partition_implILS5_6ELb0ES3_mN6thrust23THRUST_200600_302600_NS6detail15normal_iteratorINSA_10device_ptrIfEEEEPS6_SG_NS0_5tupleIJSF_S6_EEENSH_IJSG_SG_EEES6_PlJNSB_9not_fun_tI7is_evenIfEEEEEE10hipError_tPvRmT3_T4_T5_T6_T7_T9_mT8_P12ihipStream_tbDpT10_ENKUlT_T0_E_clISt17integral_constantIbLb1EES18_EEDaS13_S14_EUlS13_E_NS1_11comp_targetILNS1_3genE8ELNS1_11target_archE1030ELNS1_3gpuE2ELNS1_3repE0EEENS1_30default_config_static_selectorELNS0_4arch9wavefront6targetE0EEEvT1_,@function
_ZN7rocprim17ROCPRIM_400000_NS6detail17trampoline_kernelINS0_14default_configENS1_25partition_config_selectorILNS1_17partition_subalgoE6EfNS0_10empty_typeEbEEZZNS1_14partition_implILS5_6ELb0ES3_mN6thrust23THRUST_200600_302600_NS6detail15normal_iteratorINSA_10device_ptrIfEEEEPS6_SG_NS0_5tupleIJSF_S6_EEENSH_IJSG_SG_EEES6_PlJNSB_9not_fun_tI7is_evenIfEEEEEE10hipError_tPvRmT3_T4_T5_T6_T7_T9_mT8_P12ihipStream_tbDpT10_ENKUlT_T0_E_clISt17integral_constantIbLb1EES18_EEDaS13_S14_EUlS13_E_NS1_11comp_targetILNS1_3genE8ELNS1_11target_archE1030ELNS1_3gpuE2ELNS1_3repE0EEENS1_30default_config_static_selectorELNS0_4arch9wavefront6targetE0EEEvT1_: ; @_ZN7rocprim17ROCPRIM_400000_NS6detail17trampoline_kernelINS0_14default_configENS1_25partition_config_selectorILNS1_17partition_subalgoE6EfNS0_10empty_typeEbEEZZNS1_14partition_implILS5_6ELb0ES3_mN6thrust23THRUST_200600_302600_NS6detail15normal_iteratorINSA_10device_ptrIfEEEEPS6_SG_NS0_5tupleIJSF_S6_EEENSH_IJSG_SG_EEES6_PlJNSB_9not_fun_tI7is_evenIfEEEEEE10hipError_tPvRmT3_T4_T5_T6_T7_T9_mT8_P12ihipStream_tbDpT10_ENKUlT_T0_E_clISt17integral_constantIbLb1EES18_EEDaS13_S14_EUlS13_E_NS1_11comp_targetILNS1_3genE8ELNS1_11target_archE1030ELNS1_3gpuE2ELNS1_3repE0EEENS1_30default_config_static_selectorELNS0_4arch9wavefront6targetE0EEEvT1_
; %bb.0:
	.section	.rodata,"a",@progbits
	.p2align	6, 0x0
	.amdhsa_kernel _ZN7rocprim17ROCPRIM_400000_NS6detail17trampoline_kernelINS0_14default_configENS1_25partition_config_selectorILNS1_17partition_subalgoE6EfNS0_10empty_typeEbEEZZNS1_14partition_implILS5_6ELb0ES3_mN6thrust23THRUST_200600_302600_NS6detail15normal_iteratorINSA_10device_ptrIfEEEEPS6_SG_NS0_5tupleIJSF_S6_EEENSH_IJSG_SG_EEES6_PlJNSB_9not_fun_tI7is_evenIfEEEEEE10hipError_tPvRmT3_T4_T5_T6_T7_T9_mT8_P12ihipStream_tbDpT10_ENKUlT_T0_E_clISt17integral_constantIbLb1EES18_EEDaS13_S14_EUlS13_E_NS1_11comp_targetILNS1_3genE8ELNS1_11target_archE1030ELNS1_3gpuE2ELNS1_3repE0EEENS1_30default_config_static_selectorELNS0_4arch9wavefront6targetE0EEEvT1_
		.amdhsa_group_segment_fixed_size 0
		.amdhsa_private_segment_fixed_size 0
		.amdhsa_kernarg_size 128
		.amdhsa_user_sgpr_count 2
		.amdhsa_user_sgpr_dispatch_ptr 0
		.amdhsa_user_sgpr_queue_ptr 0
		.amdhsa_user_sgpr_kernarg_segment_ptr 1
		.amdhsa_user_sgpr_dispatch_id 0
		.amdhsa_user_sgpr_private_segment_size 0
		.amdhsa_wavefront_size32 1
		.amdhsa_uses_dynamic_stack 0
		.amdhsa_enable_private_segment 0
		.amdhsa_system_sgpr_workgroup_id_x 1
		.amdhsa_system_sgpr_workgroup_id_y 0
		.amdhsa_system_sgpr_workgroup_id_z 0
		.amdhsa_system_sgpr_workgroup_info 0
		.amdhsa_system_vgpr_workitem_id 0
		.amdhsa_next_free_vgpr 1
		.amdhsa_next_free_sgpr 1
		.amdhsa_reserve_vcc 0
		.amdhsa_float_round_mode_32 0
		.amdhsa_float_round_mode_16_64 0
		.amdhsa_float_denorm_mode_32 3
		.amdhsa_float_denorm_mode_16_64 3
		.amdhsa_fp16_overflow 0
		.amdhsa_workgroup_processor_mode 1
		.amdhsa_memory_ordered 1
		.amdhsa_forward_progress 1
		.amdhsa_inst_pref_size 0
		.amdhsa_round_robin_scheduling 0
		.amdhsa_exception_fp_ieee_invalid_op 0
		.amdhsa_exception_fp_denorm_src 0
		.amdhsa_exception_fp_ieee_div_zero 0
		.amdhsa_exception_fp_ieee_overflow 0
		.amdhsa_exception_fp_ieee_underflow 0
		.amdhsa_exception_fp_ieee_inexact 0
		.amdhsa_exception_int_div_zero 0
	.end_amdhsa_kernel
	.section	.text._ZN7rocprim17ROCPRIM_400000_NS6detail17trampoline_kernelINS0_14default_configENS1_25partition_config_selectorILNS1_17partition_subalgoE6EfNS0_10empty_typeEbEEZZNS1_14partition_implILS5_6ELb0ES3_mN6thrust23THRUST_200600_302600_NS6detail15normal_iteratorINSA_10device_ptrIfEEEEPS6_SG_NS0_5tupleIJSF_S6_EEENSH_IJSG_SG_EEES6_PlJNSB_9not_fun_tI7is_evenIfEEEEEE10hipError_tPvRmT3_T4_T5_T6_T7_T9_mT8_P12ihipStream_tbDpT10_ENKUlT_T0_E_clISt17integral_constantIbLb1EES18_EEDaS13_S14_EUlS13_E_NS1_11comp_targetILNS1_3genE8ELNS1_11target_archE1030ELNS1_3gpuE2ELNS1_3repE0EEENS1_30default_config_static_selectorELNS0_4arch9wavefront6targetE0EEEvT1_,"axG",@progbits,_ZN7rocprim17ROCPRIM_400000_NS6detail17trampoline_kernelINS0_14default_configENS1_25partition_config_selectorILNS1_17partition_subalgoE6EfNS0_10empty_typeEbEEZZNS1_14partition_implILS5_6ELb0ES3_mN6thrust23THRUST_200600_302600_NS6detail15normal_iteratorINSA_10device_ptrIfEEEEPS6_SG_NS0_5tupleIJSF_S6_EEENSH_IJSG_SG_EEES6_PlJNSB_9not_fun_tI7is_evenIfEEEEEE10hipError_tPvRmT3_T4_T5_T6_T7_T9_mT8_P12ihipStream_tbDpT10_ENKUlT_T0_E_clISt17integral_constantIbLb1EES18_EEDaS13_S14_EUlS13_E_NS1_11comp_targetILNS1_3genE8ELNS1_11target_archE1030ELNS1_3gpuE2ELNS1_3repE0EEENS1_30default_config_static_selectorELNS0_4arch9wavefront6targetE0EEEvT1_,comdat
.Lfunc_end580:
	.size	_ZN7rocprim17ROCPRIM_400000_NS6detail17trampoline_kernelINS0_14default_configENS1_25partition_config_selectorILNS1_17partition_subalgoE6EfNS0_10empty_typeEbEEZZNS1_14partition_implILS5_6ELb0ES3_mN6thrust23THRUST_200600_302600_NS6detail15normal_iteratorINSA_10device_ptrIfEEEEPS6_SG_NS0_5tupleIJSF_S6_EEENSH_IJSG_SG_EEES6_PlJNSB_9not_fun_tI7is_evenIfEEEEEE10hipError_tPvRmT3_T4_T5_T6_T7_T9_mT8_P12ihipStream_tbDpT10_ENKUlT_T0_E_clISt17integral_constantIbLb1EES18_EEDaS13_S14_EUlS13_E_NS1_11comp_targetILNS1_3genE8ELNS1_11target_archE1030ELNS1_3gpuE2ELNS1_3repE0EEENS1_30default_config_static_selectorELNS0_4arch9wavefront6targetE0EEEvT1_, .Lfunc_end580-_ZN7rocprim17ROCPRIM_400000_NS6detail17trampoline_kernelINS0_14default_configENS1_25partition_config_selectorILNS1_17partition_subalgoE6EfNS0_10empty_typeEbEEZZNS1_14partition_implILS5_6ELb0ES3_mN6thrust23THRUST_200600_302600_NS6detail15normal_iteratorINSA_10device_ptrIfEEEEPS6_SG_NS0_5tupleIJSF_S6_EEENSH_IJSG_SG_EEES6_PlJNSB_9not_fun_tI7is_evenIfEEEEEE10hipError_tPvRmT3_T4_T5_T6_T7_T9_mT8_P12ihipStream_tbDpT10_ENKUlT_T0_E_clISt17integral_constantIbLb1EES18_EEDaS13_S14_EUlS13_E_NS1_11comp_targetILNS1_3genE8ELNS1_11target_archE1030ELNS1_3gpuE2ELNS1_3repE0EEENS1_30default_config_static_selectorELNS0_4arch9wavefront6targetE0EEEvT1_
                                        ; -- End function
	.set _ZN7rocprim17ROCPRIM_400000_NS6detail17trampoline_kernelINS0_14default_configENS1_25partition_config_selectorILNS1_17partition_subalgoE6EfNS0_10empty_typeEbEEZZNS1_14partition_implILS5_6ELb0ES3_mN6thrust23THRUST_200600_302600_NS6detail15normal_iteratorINSA_10device_ptrIfEEEEPS6_SG_NS0_5tupleIJSF_S6_EEENSH_IJSG_SG_EEES6_PlJNSB_9not_fun_tI7is_evenIfEEEEEE10hipError_tPvRmT3_T4_T5_T6_T7_T9_mT8_P12ihipStream_tbDpT10_ENKUlT_T0_E_clISt17integral_constantIbLb1EES18_EEDaS13_S14_EUlS13_E_NS1_11comp_targetILNS1_3genE8ELNS1_11target_archE1030ELNS1_3gpuE2ELNS1_3repE0EEENS1_30default_config_static_selectorELNS0_4arch9wavefront6targetE0EEEvT1_.num_vgpr, 0
	.set _ZN7rocprim17ROCPRIM_400000_NS6detail17trampoline_kernelINS0_14default_configENS1_25partition_config_selectorILNS1_17partition_subalgoE6EfNS0_10empty_typeEbEEZZNS1_14partition_implILS5_6ELb0ES3_mN6thrust23THRUST_200600_302600_NS6detail15normal_iteratorINSA_10device_ptrIfEEEEPS6_SG_NS0_5tupleIJSF_S6_EEENSH_IJSG_SG_EEES6_PlJNSB_9not_fun_tI7is_evenIfEEEEEE10hipError_tPvRmT3_T4_T5_T6_T7_T9_mT8_P12ihipStream_tbDpT10_ENKUlT_T0_E_clISt17integral_constantIbLb1EES18_EEDaS13_S14_EUlS13_E_NS1_11comp_targetILNS1_3genE8ELNS1_11target_archE1030ELNS1_3gpuE2ELNS1_3repE0EEENS1_30default_config_static_selectorELNS0_4arch9wavefront6targetE0EEEvT1_.num_agpr, 0
	.set _ZN7rocprim17ROCPRIM_400000_NS6detail17trampoline_kernelINS0_14default_configENS1_25partition_config_selectorILNS1_17partition_subalgoE6EfNS0_10empty_typeEbEEZZNS1_14partition_implILS5_6ELb0ES3_mN6thrust23THRUST_200600_302600_NS6detail15normal_iteratorINSA_10device_ptrIfEEEEPS6_SG_NS0_5tupleIJSF_S6_EEENSH_IJSG_SG_EEES6_PlJNSB_9not_fun_tI7is_evenIfEEEEEE10hipError_tPvRmT3_T4_T5_T6_T7_T9_mT8_P12ihipStream_tbDpT10_ENKUlT_T0_E_clISt17integral_constantIbLb1EES18_EEDaS13_S14_EUlS13_E_NS1_11comp_targetILNS1_3genE8ELNS1_11target_archE1030ELNS1_3gpuE2ELNS1_3repE0EEENS1_30default_config_static_selectorELNS0_4arch9wavefront6targetE0EEEvT1_.numbered_sgpr, 0
	.set _ZN7rocprim17ROCPRIM_400000_NS6detail17trampoline_kernelINS0_14default_configENS1_25partition_config_selectorILNS1_17partition_subalgoE6EfNS0_10empty_typeEbEEZZNS1_14partition_implILS5_6ELb0ES3_mN6thrust23THRUST_200600_302600_NS6detail15normal_iteratorINSA_10device_ptrIfEEEEPS6_SG_NS0_5tupleIJSF_S6_EEENSH_IJSG_SG_EEES6_PlJNSB_9not_fun_tI7is_evenIfEEEEEE10hipError_tPvRmT3_T4_T5_T6_T7_T9_mT8_P12ihipStream_tbDpT10_ENKUlT_T0_E_clISt17integral_constantIbLb1EES18_EEDaS13_S14_EUlS13_E_NS1_11comp_targetILNS1_3genE8ELNS1_11target_archE1030ELNS1_3gpuE2ELNS1_3repE0EEENS1_30default_config_static_selectorELNS0_4arch9wavefront6targetE0EEEvT1_.num_named_barrier, 0
	.set _ZN7rocprim17ROCPRIM_400000_NS6detail17trampoline_kernelINS0_14default_configENS1_25partition_config_selectorILNS1_17partition_subalgoE6EfNS0_10empty_typeEbEEZZNS1_14partition_implILS5_6ELb0ES3_mN6thrust23THRUST_200600_302600_NS6detail15normal_iteratorINSA_10device_ptrIfEEEEPS6_SG_NS0_5tupleIJSF_S6_EEENSH_IJSG_SG_EEES6_PlJNSB_9not_fun_tI7is_evenIfEEEEEE10hipError_tPvRmT3_T4_T5_T6_T7_T9_mT8_P12ihipStream_tbDpT10_ENKUlT_T0_E_clISt17integral_constantIbLb1EES18_EEDaS13_S14_EUlS13_E_NS1_11comp_targetILNS1_3genE8ELNS1_11target_archE1030ELNS1_3gpuE2ELNS1_3repE0EEENS1_30default_config_static_selectorELNS0_4arch9wavefront6targetE0EEEvT1_.private_seg_size, 0
	.set _ZN7rocprim17ROCPRIM_400000_NS6detail17trampoline_kernelINS0_14default_configENS1_25partition_config_selectorILNS1_17partition_subalgoE6EfNS0_10empty_typeEbEEZZNS1_14partition_implILS5_6ELb0ES3_mN6thrust23THRUST_200600_302600_NS6detail15normal_iteratorINSA_10device_ptrIfEEEEPS6_SG_NS0_5tupleIJSF_S6_EEENSH_IJSG_SG_EEES6_PlJNSB_9not_fun_tI7is_evenIfEEEEEE10hipError_tPvRmT3_T4_T5_T6_T7_T9_mT8_P12ihipStream_tbDpT10_ENKUlT_T0_E_clISt17integral_constantIbLb1EES18_EEDaS13_S14_EUlS13_E_NS1_11comp_targetILNS1_3genE8ELNS1_11target_archE1030ELNS1_3gpuE2ELNS1_3repE0EEENS1_30default_config_static_selectorELNS0_4arch9wavefront6targetE0EEEvT1_.uses_vcc, 0
	.set _ZN7rocprim17ROCPRIM_400000_NS6detail17trampoline_kernelINS0_14default_configENS1_25partition_config_selectorILNS1_17partition_subalgoE6EfNS0_10empty_typeEbEEZZNS1_14partition_implILS5_6ELb0ES3_mN6thrust23THRUST_200600_302600_NS6detail15normal_iteratorINSA_10device_ptrIfEEEEPS6_SG_NS0_5tupleIJSF_S6_EEENSH_IJSG_SG_EEES6_PlJNSB_9not_fun_tI7is_evenIfEEEEEE10hipError_tPvRmT3_T4_T5_T6_T7_T9_mT8_P12ihipStream_tbDpT10_ENKUlT_T0_E_clISt17integral_constantIbLb1EES18_EEDaS13_S14_EUlS13_E_NS1_11comp_targetILNS1_3genE8ELNS1_11target_archE1030ELNS1_3gpuE2ELNS1_3repE0EEENS1_30default_config_static_selectorELNS0_4arch9wavefront6targetE0EEEvT1_.uses_flat_scratch, 0
	.set _ZN7rocprim17ROCPRIM_400000_NS6detail17trampoline_kernelINS0_14default_configENS1_25partition_config_selectorILNS1_17partition_subalgoE6EfNS0_10empty_typeEbEEZZNS1_14partition_implILS5_6ELb0ES3_mN6thrust23THRUST_200600_302600_NS6detail15normal_iteratorINSA_10device_ptrIfEEEEPS6_SG_NS0_5tupleIJSF_S6_EEENSH_IJSG_SG_EEES6_PlJNSB_9not_fun_tI7is_evenIfEEEEEE10hipError_tPvRmT3_T4_T5_T6_T7_T9_mT8_P12ihipStream_tbDpT10_ENKUlT_T0_E_clISt17integral_constantIbLb1EES18_EEDaS13_S14_EUlS13_E_NS1_11comp_targetILNS1_3genE8ELNS1_11target_archE1030ELNS1_3gpuE2ELNS1_3repE0EEENS1_30default_config_static_selectorELNS0_4arch9wavefront6targetE0EEEvT1_.has_dyn_sized_stack, 0
	.set _ZN7rocprim17ROCPRIM_400000_NS6detail17trampoline_kernelINS0_14default_configENS1_25partition_config_selectorILNS1_17partition_subalgoE6EfNS0_10empty_typeEbEEZZNS1_14partition_implILS5_6ELb0ES3_mN6thrust23THRUST_200600_302600_NS6detail15normal_iteratorINSA_10device_ptrIfEEEEPS6_SG_NS0_5tupleIJSF_S6_EEENSH_IJSG_SG_EEES6_PlJNSB_9not_fun_tI7is_evenIfEEEEEE10hipError_tPvRmT3_T4_T5_T6_T7_T9_mT8_P12ihipStream_tbDpT10_ENKUlT_T0_E_clISt17integral_constantIbLb1EES18_EEDaS13_S14_EUlS13_E_NS1_11comp_targetILNS1_3genE8ELNS1_11target_archE1030ELNS1_3gpuE2ELNS1_3repE0EEENS1_30default_config_static_selectorELNS0_4arch9wavefront6targetE0EEEvT1_.has_recursion, 0
	.set _ZN7rocprim17ROCPRIM_400000_NS6detail17trampoline_kernelINS0_14default_configENS1_25partition_config_selectorILNS1_17partition_subalgoE6EfNS0_10empty_typeEbEEZZNS1_14partition_implILS5_6ELb0ES3_mN6thrust23THRUST_200600_302600_NS6detail15normal_iteratorINSA_10device_ptrIfEEEEPS6_SG_NS0_5tupleIJSF_S6_EEENSH_IJSG_SG_EEES6_PlJNSB_9not_fun_tI7is_evenIfEEEEEE10hipError_tPvRmT3_T4_T5_T6_T7_T9_mT8_P12ihipStream_tbDpT10_ENKUlT_T0_E_clISt17integral_constantIbLb1EES18_EEDaS13_S14_EUlS13_E_NS1_11comp_targetILNS1_3genE8ELNS1_11target_archE1030ELNS1_3gpuE2ELNS1_3repE0EEENS1_30default_config_static_selectorELNS0_4arch9wavefront6targetE0EEEvT1_.has_indirect_call, 0
	.section	.AMDGPU.csdata,"",@progbits
; Kernel info:
; codeLenInByte = 0
; TotalNumSgprs: 0
; NumVgprs: 0
; ScratchSize: 0
; MemoryBound: 0
; FloatMode: 240
; IeeeMode: 1
; LDSByteSize: 0 bytes/workgroup (compile time only)
; SGPRBlocks: 0
; VGPRBlocks: 0
; NumSGPRsForWavesPerEU: 1
; NumVGPRsForWavesPerEU: 1
; Occupancy: 16
; WaveLimiterHint : 0
; COMPUTE_PGM_RSRC2:SCRATCH_EN: 0
; COMPUTE_PGM_RSRC2:USER_SGPR: 2
; COMPUTE_PGM_RSRC2:TRAP_HANDLER: 0
; COMPUTE_PGM_RSRC2:TGID_X_EN: 1
; COMPUTE_PGM_RSRC2:TGID_Y_EN: 0
; COMPUTE_PGM_RSRC2:TGID_Z_EN: 0
; COMPUTE_PGM_RSRC2:TIDIG_COMP_CNT: 0
	.section	.text._ZN7rocprim17ROCPRIM_400000_NS6detail17trampoline_kernelINS0_14default_configENS1_25partition_config_selectorILNS1_17partition_subalgoE6EfNS0_10empty_typeEbEEZZNS1_14partition_implILS5_6ELb0ES3_mN6thrust23THRUST_200600_302600_NS6detail15normal_iteratorINSA_10device_ptrIfEEEEPS6_SG_NS0_5tupleIJSF_S6_EEENSH_IJSG_SG_EEES6_PlJNSB_9not_fun_tI7is_evenIfEEEEEE10hipError_tPvRmT3_T4_T5_T6_T7_T9_mT8_P12ihipStream_tbDpT10_ENKUlT_T0_E_clISt17integral_constantIbLb1EES17_IbLb0EEEEDaS13_S14_EUlS13_E_NS1_11comp_targetILNS1_3genE0ELNS1_11target_archE4294967295ELNS1_3gpuE0ELNS1_3repE0EEENS1_30default_config_static_selectorELNS0_4arch9wavefront6targetE0EEEvT1_,"axG",@progbits,_ZN7rocprim17ROCPRIM_400000_NS6detail17trampoline_kernelINS0_14default_configENS1_25partition_config_selectorILNS1_17partition_subalgoE6EfNS0_10empty_typeEbEEZZNS1_14partition_implILS5_6ELb0ES3_mN6thrust23THRUST_200600_302600_NS6detail15normal_iteratorINSA_10device_ptrIfEEEEPS6_SG_NS0_5tupleIJSF_S6_EEENSH_IJSG_SG_EEES6_PlJNSB_9not_fun_tI7is_evenIfEEEEEE10hipError_tPvRmT3_T4_T5_T6_T7_T9_mT8_P12ihipStream_tbDpT10_ENKUlT_T0_E_clISt17integral_constantIbLb1EES17_IbLb0EEEEDaS13_S14_EUlS13_E_NS1_11comp_targetILNS1_3genE0ELNS1_11target_archE4294967295ELNS1_3gpuE0ELNS1_3repE0EEENS1_30default_config_static_selectorELNS0_4arch9wavefront6targetE0EEEvT1_,comdat
	.protected	_ZN7rocprim17ROCPRIM_400000_NS6detail17trampoline_kernelINS0_14default_configENS1_25partition_config_selectorILNS1_17partition_subalgoE6EfNS0_10empty_typeEbEEZZNS1_14partition_implILS5_6ELb0ES3_mN6thrust23THRUST_200600_302600_NS6detail15normal_iteratorINSA_10device_ptrIfEEEEPS6_SG_NS0_5tupleIJSF_S6_EEENSH_IJSG_SG_EEES6_PlJNSB_9not_fun_tI7is_evenIfEEEEEE10hipError_tPvRmT3_T4_T5_T6_T7_T9_mT8_P12ihipStream_tbDpT10_ENKUlT_T0_E_clISt17integral_constantIbLb1EES17_IbLb0EEEEDaS13_S14_EUlS13_E_NS1_11comp_targetILNS1_3genE0ELNS1_11target_archE4294967295ELNS1_3gpuE0ELNS1_3repE0EEENS1_30default_config_static_selectorELNS0_4arch9wavefront6targetE0EEEvT1_ ; -- Begin function _ZN7rocprim17ROCPRIM_400000_NS6detail17trampoline_kernelINS0_14default_configENS1_25partition_config_selectorILNS1_17partition_subalgoE6EfNS0_10empty_typeEbEEZZNS1_14partition_implILS5_6ELb0ES3_mN6thrust23THRUST_200600_302600_NS6detail15normal_iteratorINSA_10device_ptrIfEEEEPS6_SG_NS0_5tupleIJSF_S6_EEENSH_IJSG_SG_EEES6_PlJNSB_9not_fun_tI7is_evenIfEEEEEE10hipError_tPvRmT3_T4_T5_T6_T7_T9_mT8_P12ihipStream_tbDpT10_ENKUlT_T0_E_clISt17integral_constantIbLb1EES17_IbLb0EEEEDaS13_S14_EUlS13_E_NS1_11comp_targetILNS1_3genE0ELNS1_11target_archE4294967295ELNS1_3gpuE0ELNS1_3repE0EEENS1_30default_config_static_selectorELNS0_4arch9wavefront6targetE0EEEvT1_
	.globl	_ZN7rocprim17ROCPRIM_400000_NS6detail17trampoline_kernelINS0_14default_configENS1_25partition_config_selectorILNS1_17partition_subalgoE6EfNS0_10empty_typeEbEEZZNS1_14partition_implILS5_6ELb0ES3_mN6thrust23THRUST_200600_302600_NS6detail15normal_iteratorINSA_10device_ptrIfEEEEPS6_SG_NS0_5tupleIJSF_S6_EEENSH_IJSG_SG_EEES6_PlJNSB_9not_fun_tI7is_evenIfEEEEEE10hipError_tPvRmT3_T4_T5_T6_T7_T9_mT8_P12ihipStream_tbDpT10_ENKUlT_T0_E_clISt17integral_constantIbLb1EES17_IbLb0EEEEDaS13_S14_EUlS13_E_NS1_11comp_targetILNS1_3genE0ELNS1_11target_archE4294967295ELNS1_3gpuE0ELNS1_3repE0EEENS1_30default_config_static_selectorELNS0_4arch9wavefront6targetE0EEEvT1_
	.p2align	8
	.type	_ZN7rocprim17ROCPRIM_400000_NS6detail17trampoline_kernelINS0_14default_configENS1_25partition_config_selectorILNS1_17partition_subalgoE6EfNS0_10empty_typeEbEEZZNS1_14partition_implILS5_6ELb0ES3_mN6thrust23THRUST_200600_302600_NS6detail15normal_iteratorINSA_10device_ptrIfEEEEPS6_SG_NS0_5tupleIJSF_S6_EEENSH_IJSG_SG_EEES6_PlJNSB_9not_fun_tI7is_evenIfEEEEEE10hipError_tPvRmT3_T4_T5_T6_T7_T9_mT8_P12ihipStream_tbDpT10_ENKUlT_T0_E_clISt17integral_constantIbLb1EES17_IbLb0EEEEDaS13_S14_EUlS13_E_NS1_11comp_targetILNS1_3genE0ELNS1_11target_archE4294967295ELNS1_3gpuE0ELNS1_3repE0EEENS1_30default_config_static_selectorELNS0_4arch9wavefront6targetE0EEEvT1_,@function
_ZN7rocprim17ROCPRIM_400000_NS6detail17trampoline_kernelINS0_14default_configENS1_25partition_config_selectorILNS1_17partition_subalgoE6EfNS0_10empty_typeEbEEZZNS1_14partition_implILS5_6ELb0ES3_mN6thrust23THRUST_200600_302600_NS6detail15normal_iteratorINSA_10device_ptrIfEEEEPS6_SG_NS0_5tupleIJSF_S6_EEENSH_IJSG_SG_EEES6_PlJNSB_9not_fun_tI7is_evenIfEEEEEE10hipError_tPvRmT3_T4_T5_T6_T7_T9_mT8_P12ihipStream_tbDpT10_ENKUlT_T0_E_clISt17integral_constantIbLb1EES17_IbLb0EEEEDaS13_S14_EUlS13_E_NS1_11comp_targetILNS1_3genE0ELNS1_11target_archE4294967295ELNS1_3gpuE0ELNS1_3repE0EEENS1_30default_config_static_selectorELNS0_4arch9wavefront6targetE0EEEvT1_: ; @_ZN7rocprim17ROCPRIM_400000_NS6detail17trampoline_kernelINS0_14default_configENS1_25partition_config_selectorILNS1_17partition_subalgoE6EfNS0_10empty_typeEbEEZZNS1_14partition_implILS5_6ELb0ES3_mN6thrust23THRUST_200600_302600_NS6detail15normal_iteratorINSA_10device_ptrIfEEEEPS6_SG_NS0_5tupleIJSF_S6_EEENSH_IJSG_SG_EEES6_PlJNSB_9not_fun_tI7is_evenIfEEEEEE10hipError_tPvRmT3_T4_T5_T6_T7_T9_mT8_P12ihipStream_tbDpT10_ENKUlT_T0_E_clISt17integral_constantIbLb1EES17_IbLb0EEEEDaS13_S14_EUlS13_E_NS1_11comp_targetILNS1_3genE0ELNS1_11target_archE4294967295ELNS1_3gpuE0ELNS1_3repE0EEENS1_30default_config_static_selectorELNS0_4arch9wavefront6targetE0EEEvT1_
; %bb.0:
	.section	.rodata,"a",@progbits
	.p2align	6, 0x0
	.amdhsa_kernel _ZN7rocprim17ROCPRIM_400000_NS6detail17trampoline_kernelINS0_14default_configENS1_25partition_config_selectorILNS1_17partition_subalgoE6EfNS0_10empty_typeEbEEZZNS1_14partition_implILS5_6ELb0ES3_mN6thrust23THRUST_200600_302600_NS6detail15normal_iteratorINSA_10device_ptrIfEEEEPS6_SG_NS0_5tupleIJSF_S6_EEENSH_IJSG_SG_EEES6_PlJNSB_9not_fun_tI7is_evenIfEEEEEE10hipError_tPvRmT3_T4_T5_T6_T7_T9_mT8_P12ihipStream_tbDpT10_ENKUlT_T0_E_clISt17integral_constantIbLb1EES17_IbLb0EEEEDaS13_S14_EUlS13_E_NS1_11comp_targetILNS1_3genE0ELNS1_11target_archE4294967295ELNS1_3gpuE0ELNS1_3repE0EEENS1_30default_config_static_selectorELNS0_4arch9wavefront6targetE0EEEvT1_
		.amdhsa_group_segment_fixed_size 0
		.amdhsa_private_segment_fixed_size 0
		.amdhsa_kernarg_size 112
		.amdhsa_user_sgpr_count 2
		.amdhsa_user_sgpr_dispatch_ptr 0
		.amdhsa_user_sgpr_queue_ptr 0
		.amdhsa_user_sgpr_kernarg_segment_ptr 1
		.amdhsa_user_sgpr_dispatch_id 0
		.amdhsa_user_sgpr_private_segment_size 0
		.amdhsa_wavefront_size32 1
		.amdhsa_uses_dynamic_stack 0
		.amdhsa_enable_private_segment 0
		.amdhsa_system_sgpr_workgroup_id_x 1
		.amdhsa_system_sgpr_workgroup_id_y 0
		.amdhsa_system_sgpr_workgroup_id_z 0
		.amdhsa_system_sgpr_workgroup_info 0
		.amdhsa_system_vgpr_workitem_id 0
		.amdhsa_next_free_vgpr 1
		.amdhsa_next_free_sgpr 1
		.amdhsa_reserve_vcc 0
		.amdhsa_float_round_mode_32 0
		.amdhsa_float_round_mode_16_64 0
		.amdhsa_float_denorm_mode_32 3
		.amdhsa_float_denorm_mode_16_64 3
		.amdhsa_fp16_overflow 0
		.amdhsa_workgroup_processor_mode 1
		.amdhsa_memory_ordered 1
		.amdhsa_forward_progress 1
		.amdhsa_inst_pref_size 0
		.amdhsa_round_robin_scheduling 0
		.amdhsa_exception_fp_ieee_invalid_op 0
		.amdhsa_exception_fp_denorm_src 0
		.amdhsa_exception_fp_ieee_div_zero 0
		.amdhsa_exception_fp_ieee_overflow 0
		.amdhsa_exception_fp_ieee_underflow 0
		.amdhsa_exception_fp_ieee_inexact 0
		.amdhsa_exception_int_div_zero 0
	.end_amdhsa_kernel
	.section	.text._ZN7rocprim17ROCPRIM_400000_NS6detail17trampoline_kernelINS0_14default_configENS1_25partition_config_selectorILNS1_17partition_subalgoE6EfNS0_10empty_typeEbEEZZNS1_14partition_implILS5_6ELb0ES3_mN6thrust23THRUST_200600_302600_NS6detail15normal_iteratorINSA_10device_ptrIfEEEEPS6_SG_NS0_5tupleIJSF_S6_EEENSH_IJSG_SG_EEES6_PlJNSB_9not_fun_tI7is_evenIfEEEEEE10hipError_tPvRmT3_T4_T5_T6_T7_T9_mT8_P12ihipStream_tbDpT10_ENKUlT_T0_E_clISt17integral_constantIbLb1EES17_IbLb0EEEEDaS13_S14_EUlS13_E_NS1_11comp_targetILNS1_3genE0ELNS1_11target_archE4294967295ELNS1_3gpuE0ELNS1_3repE0EEENS1_30default_config_static_selectorELNS0_4arch9wavefront6targetE0EEEvT1_,"axG",@progbits,_ZN7rocprim17ROCPRIM_400000_NS6detail17trampoline_kernelINS0_14default_configENS1_25partition_config_selectorILNS1_17partition_subalgoE6EfNS0_10empty_typeEbEEZZNS1_14partition_implILS5_6ELb0ES3_mN6thrust23THRUST_200600_302600_NS6detail15normal_iteratorINSA_10device_ptrIfEEEEPS6_SG_NS0_5tupleIJSF_S6_EEENSH_IJSG_SG_EEES6_PlJNSB_9not_fun_tI7is_evenIfEEEEEE10hipError_tPvRmT3_T4_T5_T6_T7_T9_mT8_P12ihipStream_tbDpT10_ENKUlT_T0_E_clISt17integral_constantIbLb1EES17_IbLb0EEEEDaS13_S14_EUlS13_E_NS1_11comp_targetILNS1_3genE0ELNS1_11target_archE4294967295ELNS1_3gpuE0ELNS1_3repE0EEENS1_30default_config_static_selectorELNS0_4arch9wavefront6targetE0EEEvT1_,comdat
.Lfunc_end581:
	.size	_ZN7rocprim17ROCPRIM_400000_NS6detail17trampoline_kernelINS0_14default_configENS1_25partition_config_selectorILNS1_17partition_subalgoE6EfNS0_10empty_typeEbEEZZNS1_14partition_implILS5_6ELb0ES3_mN6thrust23THRUST_200600_302600_NS6detail15normal_iteratorINSA_10device_ptrIfEEEEPS6_SG_NS0_5tupleIJSF_S6_EEENSH_IJSG_SG_EEES6_PlJNSB_9not_fun_tI7is_evenIfEEEEEE10hipError_tPvRmT3_T4_T5_T6_T7_T9_mT8_P12ihipStream_tbDpT10_ENKUlT_T0_E_clISt17integral_constantIbLb1EES17_IbLb0EEEEDaS13_S14_EUlS13_E_NS1_11comp_targetILNS1_3genE0ELNS1_11target_archE4294967295ELNS1_3gpuE0ELNS1_3repE0EEENS1_30default_config_static_selectorELNS0_4arch9wavefront6targetE0EEEvT1_, .Lfunc_end581-_ZN7rocprim17ROCPRIM_400000_NS6detail17trampoline_kernelINS0_14default_configENS1_25partition_config_selectorILNS1_17partition_subalgoE6EfNS0_10empty_typeEbEEZZNS1_14partition_implILS5_6ELb0ES3_mN6thrust23THRUST_200600_302600_NS6detail15normal_iteratorINSA_10device_ptrIfEEEEPS6_SG_NS0_5tupleIJSF_S6_EEENSH_IJSG_SG_EEES6_PlJNSB_9not_fun_tI7is_evenIfEEEEEE10hipError_tPvRmT3_T4_T5_T6_T7_T9_mT8_P12ihipStream_tbDpT10_ENKUlT_T0_E_clISt17integral_constantIbLb1EES17_IbLb0EEEEDaS13_S14_EUlS13_E_NS1_11comp_targetILNS1_3genE0ELNS1_11target_archE4294967295ELNS1_3gpuE0ELNS1_3repE0EEENS1_30default_config_static_selectorELNS0_4arch9wavefront6targetE0EEEvT1_
                                        ; -- End function
	.set _ZN7rocprim17ROCPRIM_400000_NS6detail17trampoline_kernelINS0_14default_configENS1_25partition_config_selectorILNS1_17partition_subalgoE6EfNS0_10empty_typeEbEEZZNS1_14partition_implILS5_6ELb0ES3_mN6thrust23THRUST_200600_302600_NS6detail15normal_iteratorINSA_10device_ptrIfEEEEPS6_SG_NS0_5tupleIJSF_S6_EEENSH_IJSG_SG_EEES6_PlJNSB_9not_fun_tI7is_evenIfEEEEEE10hipError_tPvRmT3_T4_T5_T6_T7_T9_mT8_P12ihipStream_tbDpT10_ENKUlT_T0_E_clISt17integral_constantIbLb1EES17_IbLb0EEEEDaS13_S14_EUlS13_E_NS1_11comp_targetILNS1_3genE0ELNS1_11target_archE4294967295ELNS1_3gpuE0ELNS1_3repE0EEENS1_30default_config_static_selectorELNS0_4arch9wavefront6targetE0EEEvT1_.num_vgpr, 0
	.set _ZN7rocprim17ROCPRIM_400000_NS6detail17trampoline_kernelINS0_14default_configENS1_25partition_config_selectorILNS1_17partition_subalgoE6EfNS0_10empty_typeEbEEZZNS1_14partition_implILS5_6ELb0ES3_mN6thrust23THRUST_200600_302600_NS6detail15normal_iteratorINSA_10device_ptrIfEEEEPS6_SG_NS0_5tupleIJSF_S6_EEENSH_IJSG_SG_EEES6_PlJNSB_9not_fun_tI7is_evenIfEEEEEE10hipError_tPvRmT3_T4_T5_T6_T7_T9_mT8_P12ihipStream_tbDpT10_ENKUlT_T0_E_clISt17integral_constantIbLb1EES17_IbLb0EEEEDaS13_S14_EUlS13_E_NS1_11comp_targetILNS1_3genE0ELNS1_11target_archE4294967295ELNS1_3gpuE0ELNS1_3repE0EEENS1_30default_config_static_selectorELNS0_4arch9wavefront6targetE0EEEvT1_.num_agpr, 0
	.set _ZN7rocprim17ROCPRIM_400000_NS6detail17trampoline_kernelINS0_14default_configENS1_25partition_config_selectorILNS1_17partition_subalgoE6EfNS0_10empty_typeEbEEZZNS1_14partition_implILS5_6ELb0ES3_mN6thrust23THRUST_200600_302600_NS6detail15normal_iteratorINSA_10device_ptrIfEEEEPS6_SG_NS0_5tupleIJSF_S6_EEENSH_IJSG_SG_EEES6_PlJNSB_9not_fun_tI7is_evenIfEEEEEE10hipError_tPvRmT3_T4_T5_T6_T7_T9_mT8_P12ihipStream_tbDpT10_ENKUlT_T0_E_clISt17integral_constantIbLb1EES17_IbLb0EEEEDaS13_S14_EUlS13_E_NS1_11comp_targetILNS1_3genE0ELNS1_11target_archE4294967295ELNS1_3gpuE0ELNS1_3repE0EEENS1_30default_config_static_selectorELNS0_4arch9wavefront6targetE0EEEvT1_.numbered_sgpr, 0
	.set _ZN7rocprim17ROCPRIM_400000_NS6detail17trampoline_kernelINS0_14default_configENS1_25partition_config_selectorILNS1_17partition_subalgoE6EfNS0_10empty_typeEbEEZZNS1_14partition_implILS5_6ELb0ES3_mN6thrust23THRUST_200600_302600_NS6detail15normal_iteratorINSA_10device_ptrIfEEEEPS6_SG_NS0_5tupleIJSF_S6_EEENSH_IJSG_SG_EEES6_PlJNSB_9not_fun_tI7is_evenIfEEEEEE10hipError_tPvRmT3_T4_T5_T6_T7_T9_mT8_P12ihipStream_tbDpT10_ENKUlT_T0_E_clISt17integral_constantIbLb1EES17_IbLb0EEEEDaS13_S14_EUlS13_E_NS1_11comp_targetILNS1_3genE0ELNS1_11target_archE4294967295ELNS1_3gpuE0ELNS1_3repE0EEENS1_30default_config_static_selectorELNS0_4arch9wavefront6targetE0EEEvT1_.num_named_barrier, 0
	.set _ZN7rocprim17ROCPRIM_400000_NS6detail17trampoline_kernelINS0_14default_configENS1_25partition_config_selectorILNS1_17partition_subalgoE6EfNS0_10empty_typeEbEEZZNS1_14partition_implILS5_6ELb0ES3_mN6thrust23THRUST_200600_302600_NS6detail15normal_iteratorINSA_10device_ptrIfEEEEPS6_SG_NS0_5tupleIJSF_S6_EEENSH_IJSG_SG_EEES6_PlJNSB_9not_fun_tI7is_evenIfEEEEEE10hipError_tPvRmT3_T4_T5_T6_T7_T9_mT8_P12ihipStream_tbDpT10_ENKUlT_T0_E_clISt17integral_constantIbLb1EES17_IbLb0EEEEDaS13_S14_EUlS13_E_NS1_11comp_targetILNS1_3genE0ELNS1_11target_archE4294967295ELNS1_3gpuE0ELNS1_3repE0EEENS1_30default_config_static_selectorELNS0_4arch9wavefront6targetE0EEEvT1_.private_seg_size, 0
	.set _ZN7rocprim17ROCPRIM_400000_NS6detail17trampoline_kernelINS0_14default_configENS1_25partition_config_selectorILNS1_17partition_subalgoE6EfNS0_10empty_typeEbEEZZNS1_14partition_implILS5_6ELb0ES3_mN6thrust23THRUST_200600_302600_NS6detail15normal_iteratorINSA_10device_ptrIfEEEEPS6_SG_NS0_5tupleIJSF_S6_EEENSH_IJSG_SG_EEES6_PlJNSB_9not_fun_tI7is_evenIfEEEEEE10hipError_tPvRmT3_T4_T5_T6_T7_T9_mT8_P12ihipStream_tbDpT10_ENKUlT_T0_E_clISt17integral_constantIbLb1EES17_IbLb0EEEEDaS13_S14_EUlS13_E_NS1_11comp_targetILNS1_3genE0ELNS1_11target_archE4294967295ELNS1_3gpuE0ELNS1_3repE0EEENS1_30default_config_static_selectorELNS0_4arch9wavefront6targetE0EEEvT1_.uses_vcc, 0
	.set _ZN7rocprim17ROCPRIM_400000_NS6detail17trampoline_kernelINS0_14default_configENS1_25partition_config_selectorILNS1_17partition_subalgoE6EfNS0_10empty_typeEbEEZZNS1_14partition_implILS5_6ELb0ES3_mN6thrust23THRUST_200600_302600_NS6detail15normal_iteratorINSA_10device_ptrIfEEEEPS6_SG_NS0_5tupleIJSF_S6_EEENSH_IJSG_SG_EEES6_PlJNSB_9not_fun_tI7is_evenIfEEEEEE10hipError_tPvRmT3_T4_T5_T6_T7_T9_mT8_P12ihipStream_tbDpT10_ENKUlT_T0_E_clISt17integral_constantIbLb1EES17_IbLb0EEEEDaS13_S14_EUlS13_E_NS1_11comp_targetILNS1_3genE0ELNS1_11target_archE4294967295ELNS1_3gpuE0ELNS1_3repE0EEENS1_30default_config_static_selectorELNS0_4arch9wavefront6targetE0EEEvT1_.uses_flat_scratch, 0
	.set _ZN7rocprim17ROCPRIM_400000_NS6detail17trampoline_kernelINS0_14default_configENS1_25partition_config_selectorILNS1_17partition_subalgoE6EfNS0_10empty_typeEbEEZZNS1_14partition_implILS5_6ELb0ES3_mN6thrust23THRUST_200600_302600_NS6detail15normal_iteratorINSA_10device_ptrIfEEEEPS6_SG_NS0_5tupleIJSF_S6_EEENSH_IJSG_SG_EEES6_PlJNSB_9not_fun_tI7is_evenIfEEEEEE10hipError_tPvRmT3_T4_T5_T6_T7_T9_mT8_P12ihipStream_tbDpT10_ENKUlT_T0_E_clISt17integral_constantIbLb1EES17_IbLb0EEEEDaS13_S14_EUlS13_E_NS1_11comp_targetILNS1_3genE0ELNS1_11target_archE4294967295ELNS1_3gpuE0ELNS1_3repE0EEENS1_30default_config_static_selectorELNS0_4arch9wavefront6targetE0EEEvT1_.has_dyn_sized_stack, 0
	.set _ZN7rocprim17ROCPRIM_400000_NS6detail17trampoline_kernelINS0_14default_configENS1_25partition_config_selectorILNS1_17partition_subalgoE6EfNS0_10empty_typeEbEEZZNS1_14partition_implILS5_6ELb0ES3_mN6thrust23THRUST_200600_302600_NS6detail15normal_iteratorINSA_10device_ptrIfEEEEPS6_SG_NS0_5tupleIJSF_S6_EEENSH_IJSG_SG_EEES6_PlJNSB_9not_fun_tI7is_evenIfEEEEEE10hipError_tPvRmT3_T4_T5_T6_T7_T9_mT8_P12ihipStream_tbDpT10_ENKUlT_T0_E_clISt17integral_constantIbLb1EES17_IbLb0EEEEDaS13_S14_EUlS13_E_NS1_11comp_targetILNS1_3genE0ELNS1_11target_archE4294967295ELNS1_3gpuE0ELNS1_3repE0EEENS1_30default_config_static_selectorELNS0_4arch9wavefront6targetE0EEEvT1_.has_recursion, 0
	.set _ZN7rocprim17ROCPRIM_400000_NS6detail17trampoline_kernelINS0_14default_configENS1_25partition_config_selectorILNS1_17partition_subalgoE6EfNS0_10empty_typeEbEEZZNS1_14partition_implILS5_6ELb0ES3_mN6thrust23THRUST_200600_302600_NS6detail15normal_iteratorINSA_10device_ptrIfEEEEPS6_SG_NS0_5tupleIJSF_S6_EEENSH_IJSG_SG_EEES6_PlJNSB_9not_fun_tI7is_evenIfEEEEEE10hipError_tPvRmT3_T4_T5_T6_T7_T9_mT8_P12ihipStream_tbDpT10_ENKUlT_T0_E_clISt17integral_constantIbLb1EES17_IbLb0EEEEDaS13_S14_EUlS13_E_NS1_11comp_targetILNS1_3genE0ELNS1_11target_archE4294967295ELNS1_3gpuE0ELNS1_3repE0EEENS1_30default_config_static_selectorELNS0_4arch9wavefront6targetE0EEEvT1_.has_indirect_call, 0
	.section	.AMDGPU.csdata,"",@progbits
; Kernel info:
; codeLenInByte = 0
; TotalNumSgprs: 0
; NumVgprs: 0
; ScratchSize: 0
; MemoryBound: 0
; FloatMode: 240
; IeeeMode: 1
; LDSByteSize: 0 bytes/workgroup (compile time only)
; SGPRBlocks: 0
; VGPRBlocks: 0
; NumSGPRsForWavesPerEU: 1
; NumVGPRsForWavesPerEU: 1
; Occupancy: 16
; WaveLimiterHint : 0
; COMPUTE_PGM_RSRC2:SCRATCH_EN: 0
; COMPUTE_PGM_RSRC2:USER_SGPR: 2
; COMPUTE_PGM_RSRC2:TRAP_HANDLER: 0
; COMPUTE_PGM_RSRC2:TGID_X_EN: 1
; COMPUTE_PGM_RSRC2:TGID_Y_EN: 0
; COMPUTE_PGM_RSRC2:TGID_Z_EN: 0
; COMPUTE_PGM_RSRC2:TIDIG_COMP_CNT: 0
	.section	.text._ZN7rocprim17ROCPRIM_400000_NS6detail17trampoline_kernelINS0_14default_configENS1_25partition_config_selectorILNS1_17partition_subalgoE6EfNS0_10empty_typeEbEEZZNS1_14partition_implILS5_6ELb0ES3_mN6thrust23THRUST_200600_302600_NS6detail15normal_iteratorINSA_10device_ptrIfEEEEPS6_SG_NS0_5tupleIJSF_S6_EEENSH_IJSG_SG_EEES6_PlJNSB_9not_fun_tI7is_evenIfEEEEEE10hipError_tPvRmT3_T4_T5_T6_T7_T9_mT8_P12ihipStream_tbDpT10_ENKUlT_T0_E_clISt17integral_constantIbLb1EES17_IbLb0EEEEDaS13_S14_EUlS13_E_NS1_11comp_targetILNS1_3genE5ELNS1_11target_archE942ELNS1_3gpuE9ELNS1_3repE0EEENS1_30default_config_static_selectorELNS0_4arch9wavefront6targetE0EEEvT1_,"axG",@progbits,_ZN7rocprim17ROCPRIM_400000_NS6detail17trampoline_kernelINS0_14default_configENS1_25partition_config_selectorILNS1_17partition_subalgoE6EfNS0_10empty_typeEbEEZZNS1_14partition_implILS5_6ELb0ES3_mN6thrust23THRUST_200600_302600_NS6detail15normal_iteratorINSA_10device_ptrIfEEEEPS6_SG_NS0_5tupleIJSF_S6_EEENSH_IJSG_SG_EEES6_PlJNSB_9not_fun_tI7is_evenIfEEEEEE10hipError_tPvRmT3_T4_T5_T6_T7_T9_mT8_P12ihipStream_tbDpT10_ENKUlT_T0_E_clISt17integral_constantIbLb1EES17_IbLb0EEEEDaS13_S14_EUlS13_E_NS1_11comp_targetILNS1_3genE5ELNS1_11target_archE942ELNS1_3gpuE9ELNS1_3repE0EEENS1_30default_config_static_selectorELNS0_4arch9wavefront6targetE0EEEvT1_,comdat
	.protected	_ZN7rocprim17ROCPRIM_400000_NS6detail17trampoline_kernelINS0_14default_configENS1_25partition_config_selectorILNS1_17partition_subalgoE6EfNS0_10empty_typeEbEEZZNS1_14partition_implILS5_6ELb0ES3_mN6thrust23THRUST_200600_302600_NS6detail15normal_iteratorINSA_10device_ptrIfEEEEPS6_SG_NS0_5tupleIJSF_S6_EEENSH_IJSG_SG_EEES6_PlJNSB_9not_fun_tI7is_evenIfEEEEEE10hipError_tPvRmT3_T4_T5_T6_T7_T9_mT8_P12ihipStream_tbDpT10_ENKUlT_T0_E_clISt17integral_constantIbLb1EES17_IbLb0EEEEDaS13_S14_EUlS13_E_NS1_11comp_targetILNS1_3genE5ELNS1_11target_archE942ELNS1_3gpuE9ELNS1_3repE0EEENS1_30default_config_static_selectorELNS0_4arch9wavefront6targetE0EEEvT1_ ; -- Begin function _ZN7rocprim17ROCPRIM_400000_NS6detail17trampoline_kernelINS0_14default_configENS1_25partition_config_selectorILNS1_17partition_subalgoE6EfNS0_10empty_typeEbEEZZNS1_14partition_implILS5_6ELb0ES3_mN6thrust23THRUST_200600_302600_NS6detail15normal_iteratorINSA_10device_ptrIfEEEEPS6_SG_NS0_5tupleIJSF_S6_EEENSH_IJSG_SG_EEES6_PlJNSB_9not_fun_tI7is_evenIfEEEEEE10hipError_tPvRmT3_T4_T5_T6_T7_T9_mT8_P12ihipStream_tbDpT10_ENKUlT_T0_E_clISt17integral_constantIbLb1EES17_IbLb0EEEEDaS13_S14_EUlS13_E_NS1_11comp_targetILNS1_3genE5ELNS1_11target_archE942ELNS1_3gpuE9ELNS1_3repE0EEENS1_30default_config_static_selectorELNS0_4arch9wavefront6targetE0EEEvT1_
	.globl	_ZN7rocprim17ROCPRIM_400000_NS6detail17trampoline_kernelINS0_14default_configENS1_25partition_config_selectorILNS1_17partition_subalgoE6EfNS0_10empty_typeEbEEZZNS1_14partition_implILS5_6ELb0ES3_mN6thrust23THRUST_200600_302600_NS6detail15normal_iteratorINSA_10device_ptrIfEEEEPS6_SG_NS0_5tupleIJSF_S6_EEENSH_IJSG_SG_EEES6_PlJNSB_9not_fun_tI7is_evenIfEEEEEE10hipError_tPvRmT3_T4_T5_T6_T7_T9_mT8_P12ihipStream_tbDpT10_ENKUlT_T0_E_clISt17integral_constantIbLb1EES17_IbLb0EEEEDaS13_S14_EUlS13_E_NS1_11comp_targetILNS1_3genE5ELNS1_11target_archE942ELNS1_3gpuE9ELNS1_3repE0EEENS1_30default_config_static_selectorELNS0_4arch9wavefront6targetE0EEEvT1_
	.p2align	8
	.type	_ZN7rocprim17ROCPRIM_400000_NS6detail17trampoline_kernelINS0_14default_configENS1_25partition_config_selectorILNS1_17partition_subalgoE6EfNS0_10empty_typeEbEEZZNS1_14partition_implILS5_6ELb0ES3_mN6thrust23THRUST_200600_302600_NS6detail15normal_iteratorINSA_10device_ptrIfEEEEPS6_SG_NS0_5tupleIJSF_S6_EEENSH_IJSG_SG_EEES6_PlJNSB_9not_fun_tI7is_evenIfEEEEEE10hipError_tPvRmT3_T4_T5_T6_T7_T9_mT8_P12ihipStream_tbDpT10_ENKUlT_T0_E_clISt17integral_constantIbLb1EES17_IbLb0EEEEDaS13_S14_EUlS13_E_NS1_11comp_targetILNS1_3genE5ELNS1_11target_archE942ELNS1_3gpuE9ELNS1_3repE0EEENS1_30default_config_static_selectorELNS0_4arch9wavefront6targetE0EEEvT1_,@function
_ZN7rocprim17ROCPRIM_400000_NS6detail17trampoline_kernelINS0_14default_configENS1_25partition_config_selectorILNS1_17partition_subalgoE6EfNS0_10empty_typeEbEEZZNS1_14partition_implILS5_6ELb0ES3_mN6thrust23THRUST_200600_302600_NS6detail15normal_iteratorINSA_10device_ptrIfEEEEPS6_SG_NS0_5tupleIJSF_S6_EEENSH_IJSG_SG_EEES6_PlJNSB_9not_fun_tI7is_evenIfEEEEEE10hipError_tPvRmT3_T4_T5_T6_T7_T9_mT8_P12ihipStream_tbDpT10_ENKUlT_T0_E_clISt17integral_constantIbLb1EES17_IbLb0EEEEDaS13_S14_EUlS13_E_NS1_11comp_targetILNS1_3genE5ELNS1_11target_archE942ELNS1_3gpuE9ELNS1_3repE0EEENS1_30default_config_static_selectorELNS0_4arch9wavefront6targetE0EEEvT1_: ; @_ZN7rocprim17ROCPRIM_400000_NS6detail17trampoline_kernelINS0_14default_configENS1_25partition_config_selectorILNS1_17partition_subalgoE6EfNS0_10empty_typeEbEEZZNS1_14partition_implILS5_6ELb0ES3_mN6thrust23THRUST_200600_302600_NS6detail15normal_iteratorINSA_10device_ptrIfEEEEPS6_SG_NS0_5tupleIJSF_S6_EEENSH_IJSG_SG_EEES6_PlJNSB_9not_fun_tI7is_evenIfEEEEEE10hipError_tPvRmT3_T4_T5_T6_T7_T9_mT8_P12ihipStream_tbDpT10_ENKUlT_T0_E_clISt17integral_constantIbLb1EES17_IbLb0EEEEDaS13_S14_EUlS13_E_NS1_11comp_targetILNS1_3genE5ELNS1_11target_archE942ELNS1_3gpuE9ELNS1_3repE0EEENS1_30default_config_static_selectorELNS0_4arch9wavefront6targetE0EEEvT1_
; %bb.0:
	.section	.rodata,"a",@progbits
	.p2align	6, 0x0
	.amdhsa_kernel _ZN7rocprim17ROCPRIM_400000_NS6detail17trampoline_kernelINS0_14default_configENS1_25partition_config_selectorILNS1_17partition_subalgoE6EfNS0_10empty_typeEbEEZZNS1_14partition_implILS5_6ELb0ES3_mN6thrust23THRUST_200600_302600_NS6detail15normal_iteratorINSA_10device_ptrIfEEEEPS6_SG_NS0_5tupleIJSF_S6_EEENSH_IJSG_SG_EEES6_PlJNSB_9not_fun_tI7is_evenIfEEEEEE10hipError_tPvRmT3_T4_T5_T6_T7_T9_mT8_P12ihipStream_tbDpT10_ENKUlT_T0_E_clISt17integral_constantIbLb1EES17_IbLb0EEEEDaS13_S14_EUlS13_E_NS1_11comp_targetILNS1_3genE5ELNS1_11target_archE942ELNS1_3gpuE9ELNS1_3repE0EEENS1_30default_config_static_selectorELNS0_4arch9wavefront6targetE0EEEvT1_
		.amdhsa_group_segment_fixed_size 0
		.amdhsa_private_segment_fixed_size 0
		.amdhsa_kernarg_size 112
		.amdhsa_user_sgpr_count 2
		.amdhsa_user_sgpr_dispatch_ptr 0
		.amdhsa_user_sgpr_queue_ptr 0
		.amdhsa_user_sgpr_kernarg_segment_ptr 1
		.amdhsa_user_sgpr_dispatch_id 0
		.amdhsa_user_sgpr_private_segment_size 0
		.amdhsa_wavefront_size32 1
		.amdhsa_uses_dynamic_stack 0
		.amdhsa_enable_private_segment 0
		.amdhsa_system_sgpr_workgroup_id_x 1
		.amdhsa_system_sgpr_workgroup_id_y 0
		.amdhsa_system_sgpr_workgroup_id_z 0
		.amdhsa_system_sgpr_workgroup_info 0
		.amdhsa_system_vgpr_workitem_id 0
		.amdhsa_next_free_vgpr 1
		.amdhsa_next_free_sgpr 1
		.amdhsa_reserve_vcc 0
		.amdhsa_float_round_mode_32 0
		.amdhsa_float_round_mode_16_64 0
		.amdhsa_float_denorm_mode_32 3
		.amdhsa_float_denorm_mode_16_64 3
		.amdhsa_fp16_overflow 0
		.amdhsa_workgroup_processor_mode 1
		.amdhsa_memory_ordered 1
		.amdhsa_forward_progress 1
		.amdhsa_inst_pref_size 0
		.amdhsa_round_robin_scheduling 0
		.amdhsa_exception_fp_ieee_invalid_op 0
		.amdhsa_exception_fp_denorm_src 0
		.amdhsa_exception_fp_ieee_div_zero 0
		.amdhsa_exception_fp_ieee_overflow 0
		.amdhsa_exception_fp_ieee_underflow 0
		.amdhsa_exception_fp_ieee_inexact 0
		.amdhsa_exception_int_div_zero 0
	.end_amdhsa_kernel
	.section	.text._ZN7rocprim17ROCPRIM_400000_NS6detail17trampoline_kernelINS0_14default_configENS1_25partition_config_selectorILNS1_17partition_subalgoE6EfNS0_10empty_typeEbEEZZNS1_14partition_implILS5_6ELb0ES3_mN6thrust23THRUST_200600_302600_NS6detail15normal_iteratorINSA_10device_ptrIfEEEEPS6_SG_NS0_5tupleIJSF_S6_EEENSH_IJSG_SG_EEES6_PlJNSB_9not_fun_tI7is_evenIfEEEEEE10hipError_tPvRmT3_T4_T5_T6_T7_T9_mT8_P12ihipStream_tbDpT10_ENKUlT_T0_E_clISt17integral_constantIbLb1EES17_IbLb0EEEEDaS13_S14_EUlS13_E_NS1_11comp_targetILNS1_3genE5ELNS1_11target_archE942ELNS1_3gpuE9ELNS1_3repE0EEENS1_30default_config_static_selectorELNS0_4arch9wavefront6targetE0EEEvT1_,"axG",@progbits,_ZN7rocprim17ROCPRIM_400000_NS6detail17trampoline_kernelINS0_14default_configENS1_25partition_config_selectorILNS1_17partition_subalgoE6EfNS0_10empty_typeEbEEZZNS1_14partition_implILS5_6ELb0ES3_mN6thrust23THRUST_200600_302600_NS6detail15normal_iteratorINSA_10device_ptrIfEEEEPS6_SG_NS0_5tupleIJSF_S6_EEENSH_IJSG_SG_EEES6_PlJNSB_9not_fun_tI7is_evenIfEEEEEE10hipError_tPvRmT3_T4_T5_T6_T7_T9_mT8_P12ihipStream_tbDpT10_ENKUlT_T0_E_clISt17integral_constantIbLb1EES17_IbLb0EEEEDaS13_S14_EUlS13_E_NS1_11comp_targetILNS1_3genE5ELNS1_11target_archE942ELNS1_3gpuE9ELNS1_3repE0EEENS1_30default_config_static_selectorELNS0_4arch9wavefront6targetE0EEEvT1_,comdat
.Lfunc_end582:
	.size	_ZN7rocprim17ROCPRIM_400000_NS6detail17trampoline_kernelINS0_14default_configENS1_25partition_config_selectorILNS1_17partition_subalgoE6EfNS0_10empty_typeEbEEZZNS1_14partition_implILS5_6ELb0ES3_mN6thrust23THRUST_200600_302600_NS6detail15normal_iteratorINSA_10device_ptrIfEEEEPS6_SG_NS0_5tupleIJSF_S6_EEENSH_IJSG_SG_EEES6_PlJNSB_9not_fun_tI7is_evenIfEEEEEE10hipError_tPvRmT3_T4_T5_T6_T7_T9_mT8_P12ihipStream_tbDpT10_ENKUlT_T0_E_clISt17integral_constantIbLb1EES17_IbLb0EEEEDaS13_S14_EUlS13_E_NS1_11comp_targetILNS1_3genE5ELNS1_11target_archE942ELNS1_3gpuE9ELNS1_3repE0EEENS1_30default_config_static_selectorELNS0_4arch9wavefront6targetE0EEEvT1_, .Lfunc_end582-_ZN7rocprim17ROCPRIM_400000_NS6detail17trampoline_kernelINS0_14default_configENS1_25partition_config_selectorILNS1_17partition_subalgoE6EfNS0_10empty_typeEbEEZZNS1_14partition_implILS5_6ELb0ES3_mN6thrust23THRUST_200600_302600_NS6detail15normal_iteratorINSA_10device_ptrIfEEEEPS6_SG_NS0_5tupleIJSF_S6_EEENSH_IJSG_SG_EEES6_PlJNSB_9not_fun_tI7is_evenIfEEEEEE10hipError_tPvRmT3_T4_T5_T6_T7_T9_mT8_P12ihipStream_tbDpT10_ENKUlT_T0_E_clISt17integral_constantIbLb1EES17_IbLb0EEEEDaS13_S14_EUlS13_E_NS1_11comp_targetILNS1_3genE5ELNS1_11target_archE942ELNS1_3gpuE9ELNS1_3repE0EEENS1_30default_config_static_selectorELNS0_4arch9wavefront6targetE0EEEvT1_
                                        ; -- End function
	.set _ZN7rocprim17ROCPRIM_400000_NS6detail17trampoline_kernelINS0_14default_configENS1_25partition_config_selectorILNS1_17partition_subalgoE6EfNS0_10empty_typeEbEEZZNS1_14partition_implILS5_6ELb0ES3_mN6thrust23THRUST_200600_302600_NS6detail15normal_iteratorINSA_10device_ptrIfEEEEPS6_SG_NS0_5tupleIJSF_S6_EEENSH_IJSG_SG_EEES6_PlJNSB_9not_fun_tI7is_evenIfEEEEEE10hipError_tPvRmT3_T4_T5_T6_T7_T9_mT8_P12ihipStream_tbDpT10_ENKUlT_T0_E_clISt17integral_constantIbLb1EES17_IbLb0EEEEDaS13_S14_EUlS13_E_NS1_11comp_targetILNS1_3genE5ELNS1_11target_archE942ELNS1_3gpuE9ELNS1_3repE0EEENS1_30default_config_static_selectorELNS0_4arch9wavefront6targetE0EEEvT1_.num_vgpr, 0
	.set _ZN7rocprim17ROCPRIM_400000_NS6detail17trampoline_kernelINS0_14default_configENS1_25partition_config_selectorILNS1_17partition_subalgoE6EfNS0_10empty_typeEbEEZZNS1_14partition_implILS5_6ELb0ES3_mN6thrust23THRUST_200600_302600_NS6detail15normal_iteratorINSA_10device_ptrIfEEEEPS6_SG_NS0_5tupleIJSF_S6_EEENSH_IJSG_SG_EEES6_PlJNSB_9not_fun_tI7is_evenIfEEEEEE10hipError_tPvRmT3_T4_T5_T6_T7_T9_mT8_P12ihipStream_tbDpT10_ENKUlT_T0_E_clISt17integral_constantIbLb1EES17_IbLb0EEEEDaS13_S14_EUlS13_E_NS1_11comp_targetILNS1_3genE5ELNS1_11target_archE942ELNS1_3gpuE9ELNS1_3repE0EEENS1_30default_config_static_selectorELNS0_4arch9wavefront6targetE0EEEvT1_.num_agpr, 0
	.set _ZN7rocprim17ROCPRIM_400000_NS6detail17trampoline_kernelINS0_14default_configENS1_25partition_config_selectorILNS1_17partition_subalgoE6EfNS0_10empty_typeEbEEZZNS1_14partition_implILS5_6ELb0ES3_mN6thrust23THRUST_200600_302600_NS6detail15normal_iteratorINSA_10device_ptrIfEEEEPS6_SG_NS0_5tupleIJSF_S6_EEENSH_IJSG_SG_EEES6_PlJNSB_9not_fun_tI7is_evenIfEEEEEE10hipError_tPvRmT3_T4_T5_T6_T7_T9_mT8_P12ihipStream_tbDpT10_ENKUlT_T0_E_clISt17integral_constantIbLb1EES17_IbLb0EEEEDaS13_S14_EUlS13_E_NS1_11comp_targetILNS1_3genE5ELNS1_11target_archE942ELNS1_3gpuE9ELNS1_3repE0EEENS1_30default_config_static_selectorELNS0_4arch9wavefront6targetE0EEEvT1_.numbered_sgpr, 0
	.set _ZN7rocprim17ROCPRIM_400000_NS6detail17trampoline_kernelINS0_14default_configENS1_25partition_config_selectorILNS1_17partition_subalgoE6EfNS0_10empty_typeEbEEZZNS1_14partition_implILS5_6ELb0ES3_mN6thrust23THRUST_200600_302600_NS6detail15normal_iteratorINSA_10device_ptrIfEEEEPS6_SG_NS0_5tupleIJSF_S6_EEENSH_IJSG_SG_EEES6_PlJNSB_9not_fun_tI7is_evenIfEEEEEE10hipError_tPvRmT3_T4_T5_T6_T7_T9_mT8_P12ihipStream_tbDpT10_ENKUlT_T0_E_clISt17integral_constantIbLb1EES17_IbLb0EEEEDaS13_S14_EUlS13_E_NS1_11comp_targetILNS1_3genE5ELNS1_11target_archE942ELNS1_3gpuE9ELNS1_3repE0EEENS1_30default_config_static_selectorELNS0_4arch9wavefront6targetE0EEEvT1_.num_named_barrier, 0
	.set _ZN7rocprim17ROCPRIM_400000_NS6detail17trampoline_kernelINS0_14default_configENS1_25partition_config_selectorILNS1_17partition_subalgoE6EfNS0_10empty_typeEbEEZZNS1_14partition_implILS5_6ELb0ES3_mN6thrust23THRUST_200600_302600_NS6detail15normal_iteratorINSA_10device_ptrIfEEEEPS6_SG_NS0_5tupleIJSF_S6_EEENSH_IJSG_SG_EEES6_PlJNSB_9not_fun_tI7is_evenIfEEEEEE10hipError_tPvRmT3_T4_T5_T6_T7_T9_mT8_P12ihipStream_tbDpT10_ENKUlT_T0_E_clISt17integral_constantIbLb1EES17_IbLb0EEEEDaS13_S14_EUlS13_E_NS1_11comp_targetILNS1_3genE5ELNS1_11target_archE942ELNS1_3gpuE9ELNS1_3repE0EEENS1_30default_config_static_selectorELNS0_4arch9wavefront6targetE0EEEvT1_.private_seg_size, 0
	.set _ZN7rocprim17ROCPRIM_400000_NS6detail17trampoline_kernelINS0_14default_configENS1_25partition_config_selectorILNS1_17partition_subalgoE6EfNS0_10empty_typeEbEEZZNS1_14partition_implILS5_6ELb0ES3_mN6thrust23THRUST_200600_302600_NS6detail15normal_iteratorINSA_10device_ptrIfEEEEPS6_SG_NS0_5tupleIJSF_S6_EEENSH_IJSG_SG_EEES6_PlJNSB_9not_fun_tI7is_evenIfEEEEEE10hipError_tPvRmT3_T4_T5_T6_T7_T9_mT8_P12ihipStream_tbDpT10_ENKUlT_T0_E_clISt17integral_constantIbLb1EES17_IbLb0EEEEDaS13_S14_EUlS13_E_NS1_11comp_targetILNS1_3genE5ELNS1_11target_archE942ELNS1_3gpuE9ELNS1_3repE0EEENS1_30default_config_static_selectorELNS0_4arch9wavefront6targetE0EEEvT1_.uses_vcc, 0
	.set _ZN7rocprim17ROCPRIM_400000_NS6detail17trampoline_kernelINS0_14default_configENS1_25partition_config_selectorILNS1_17partition_subalgoE6EfNS0_10empty_typeEbEEZZNS1_14partition_implILS5_6ELb0ES3_mN6thrust23THRUST_200600_302600_NS6detail15normal_iteratorINSA_10device_ptrIfEEEEPS6_SG_NS0_5tupleIJSF_S6_EEENSH_IJSG_SG_EEES6_PlJNSB_9not_fun_tI7is_evenIfEEEEEE10hipError_tPvRmT3_T4_T5_T6_T7_T9_mT8_P12ihipStream_tbDpT10_ENKUlT_T0_E_clISt17integral_constantIbLb1EES17_IbLb0EEEEDaS13_S14_EUlS13_E_NS1_11comp_targetILNS1_3genE5ELNS1_11target_archE942ELNS1_3gpuE9ELNS1_3repE0EEENS1_30default_config_static_selectorELNS0_4arch9wavefront6targetE0EEEvT1_.uses_flat_scratch, 0
	.set _ZN7rocprim17ROCPRIM_400000_NS6detail17trampoline_kernelINS0_14default_configENS1_25partition_config_selectorILNS1_17partition_subalgoE6EfNS0_10empty_typeEbEEZZNS1_14partition_implILS5_6ELb0ES3_mN6thrust23THRUST_200600_302600_NS6detail15normal_iteratorINSA_10device_ptrIfEEEEPS6_SG_NS0_5tupleIJSF_S6_EEENSH_IJSG_SG_EEES6_PlJNSB_9not_fun_tI7is_evenIfEEEEEE10hipError_tPvRmT3_T4_T5_T6_T7_T9_mT8_P12ihipStream_tbDpT10_ENKUlT_T0_E_clISt17integral_constantIbLb1EES17_IbLb0EEEEDaS13_S14_EUlS13_E_NS1_11comp_targetILNS1_3genE5ELNS1_11target_archE942ELNS1_3gpuE9ELNS1_3repE0EEENS1_30default_config_static_selectorELNS0_4arch9wavefront6targetE0EEEvT1_.has_dyn_sized_stack, 0
	.set _ZN7rocprim17ROCPRIM_400000_NS6detail17trampoline_kernelINS0_14default_configENS1_25partition_config_selectorILNS1_17partition_subalgoE6EfNS0_10empty_typeEbEEZZNS1_14partition_implILS5_6ELb0ES3_mN6thrust23THRUST_200600_302600_NS6detail15normal_iteratorINSA_10device_ptrIfEEEEPS6_SG_NS0_5tupleIJSF_S6_EEENSH_IJSG_SG_EEES6_PlJNSB_9not_fun_tI7is_evenIfEEEEEE10hipError_tPvRmT3_T4_T5_T6_T7_T9_mT8_P12ihipStream_tbDpT10_ENKUlT_T0_E_clISt17integral_constantIbLb1EES17_IbLb0EEEEDaS13_S14_EUlS13_E_NS1_11comp_targetILNS1_3genE5ELNS1_11target_archE942ELNS1_3gpuE9ELNS1_3repE0EEENS1_30default_config_static_selectorELNS0_4arch9wavefront6targetE0EEEvT1_.has_recursion, 0
	.set _ZN7rocprim17ROCPRIM_400000_NS6detail17trampoline_kernelINS0_14default_configENS1_25partition_config_selectorILNS1_17partition_subalgoE6EfNS0_10empty_typeEbEEZZNS1_14partition_implILS5_6ELb0ES3_mN6thrust23THRUST_200600_302600_NS6detail15normal_iteratorINSA_10device_ptrIfEEEEPS6_SG_NS0_5tupleIJSF_S6_EEENSH_IJSG_SG_EEES6_PlJNSB_9not_fun_tI7is_evenIfEEEEEE10hipError_tPvRmT3_T4_T5_T6_T7_T9_mT8_P12ihipStream_tbDpT10_ENKUlT_T0_E_clISt17integral_constantIbLb1EES17_IbLb0EEEEDaS13_S14_EUlS13_E_NS1_11comp_targetILNS1_3genE5ELNS1_11target_archE942ELNS1_3gpuE9ELNS1_3repE0EEENS1_30default_config_static_selectorELNS0_4arch9wavefront6targetE0EEEvT1_.has_indirect_call, 0
	.section	.AMDGPU.csdata,"",@progbits
; Kernel info:
; codeLenInByte = 0
; TotalNumSgprs: 0
; NumVgprs: 0
; ScratchSize: 0
; MemoryBound: 0
; FloatMode: 240
; IeeeMode: 1
; LDSByteSize: 0 bytes/workgroup (compile time only)
; SGPRBlocks: 0
; VGPRBlocks: 0
; NumSGPRsForWavesPerEU: 1
; NumVGPRsForWavesPerEU: 1
; Occupancy: 16
; WaveLimiterHint : 0
; COMPUTE_PGM_RSRC2:SCRATCH_EN: 0
; COMPUTE_PGM_RSRC2:USER_SGPR: 2
; COMPUTE_PGM_RSRC2:TRAP_HANDLER: 0
; COMPUTE_PGM_RSRC2:TGID_X_EN: 1
; COMPUTE_PGM_RSRC2:TGID_Y_EN: 0
; COMPUTE_PGM_RSRC2:TGID_Z_EN: 0
; COMPUTE_PGM_RSRC2:TIDIG_COMP_CNT: 0
	.section	.text._ZN7rocprim17ROCPRIM_400000_NS6detail17trampoline_kernelINS0_14default_configENS1_25partition_config_selectorILNS1_17partition_subalgoE6EfNS0_10empty_typeEbEEZZNS1_14partition_implILS5_6ELb0ES3_mN6thrust23THRUST_200600_302600_NS6detail15normal_iteratorINSA_10device_ptrIfEEEEPS6_SG_NS0_5tupleIJSF_S6_EEENSH_IJSG_SG_EEES6_PlJNSB_9not_fun_tI7is_evenIfEEEEEE10hipError_tPvRmT3_T4_T5_T6_T7_T9_mT8_P12ihipStream_tbDpT10_ENKUlT_T0_E_clISt17integral_constantIbLb1EES17_IbLb0EEEEDaS13_S14_EUlS13_E_NS1_11comp_targetILNS1_3genE4ELNS1_11target_archE910ELNS1_3gpuE8ELNS1_3repE0EEENS1_30default_config_static_selectorELNS0_4arch9wavefront6targetE0EEEvT1_,"axG",@progbits,_ZN7rocprim17ROCPRIM_400000_NS6detail17trampoline_kernelINS0_14default_configENS1_25partition_config_selectorILNS1_17partition_subalgoE6EfNS0_10empty_typeEbEEZZNS1_14partition_implILS5_6ELb0ES3_mN6thrust23THRUST_200600_302600_NS6detail15normal_iteratorINSA_10device_ptrIfEEEEPS6_SG_NS0_5tupleIJSF_S6_EEENSH_IJSG_SG_EEES6_PlJNSB_9not_fun_tI7is_evenIfEEEEEE10hipError_tPvRmT3_T4_T5_T6_T7_T9_mT8_P12ihipStream_tbDpT10_ENKUlT_T0_E_clISt17integral_constantIbLb1EES17_IbLb0EEEEDaS13_S14_EUlS13_E_NS1_11comp_targetILNS1_3genE4ELNS1_11target_archE910ELNS1_3gpuE8ELNS1_3repE0EEENS1_30default_config_static_selectorELNS0_4arch9wavefront6targetE0EEEvT1_,comdat
	.protected	_ZN7rocprim17ROCPRIM_400000_NS6detail17trampoline_kernelINS0_14default_configENS1_25partition_config_selectorILNS1_17partition_subalgoE6EfNS0_10empty_typeEbEEZZNS1_14partition_implILS5_6ELb0ES3_mN6thrust23THRUST_200600_302600_NS6detail15normal_iteratorINSA_10device_ptrIfEEEEPS6_SG_NS0_5tupleIJSF_S6_EEENSH_IJSG_SG_EEES6_PlJNSB_9not_fun_tI7is_evenIfEEEEEE10hipError_tPvRmT3_T4_T5_T6_T7_T9_mT8_P12ihipStream_tbDpT10_ENKUlT_T0_E_clISt17integral_constantIbLb1EES17_IbLb0EEEEDaS13_S14_EUlS13_E_NS1_11comp_targetILNS1_3genE4ELNS1_11target_archE910ELNS1_3gpuE8ELNS1_3repE0EEENS1_30default_config_static_selectorELNS0_4arch9wavefront6targetE0EEEvT1_ ; -- Begin function _ZN7rocprim17ROCPRIM_400000_NS6detail17trampoline_kernelINS0_14default_configENS1_25partition_config_selectorILNS1_17partition_subalgoE6EfNS0_10empty_typeEbEEZZNS1_14partition_implILS5_6ELb0ES3_mN6thrust23THRUST_200600_302600_NS6detail15normal_iteratorINSA_10device_ptrIfEEEEPS6_SG_NS0_5tupleIJSF_S6_EEENSH_IJSG_SG_EEES6_PlJNSB_9not_fun_tI7is_evenIfEEEEEE10hipError_tPvRmT3_T4_T5_T6_T7_T9_mT8_P12ihipStream_tbDpT10_ENKUlT_T0_E_clISt17integral_constantIbLb1EES17_IbLb0EEEEDaS13_S14_EUlS13_E_NS1_11comp_targetILNS1_3genE4ELNS1_11target_archE910ELNS1_3gpuE8ELNS1_3repE0EEENS1_30default_config_static_selectorELNS0_4arch9wavefront6targetE0EEEvT1_
	.globl	_ZN7rocprim17ROCPRIM_400000_NS6detail17trampoline_kernelINS0_14default_configENS1_25partition_config_selectorILNS1_17partition_subalgoE6EfNS0_10empty_typeEbEEZZNS1_14partition_implILS5_6ELb0ES3_mN6thrust23THRUST_200600_302600_NS6detail15normal_iteratorINSA_10device_ptrIfEEEEPS6_SG_NS0_5tupleIJSF_S6_EEENSH_IJSG_SG_EEES6_PlJNSB_9not_fun_tI7is_evenIfEEEEEE10hipError_tPvRmT3_T4_T5_T6_T7_T9_mT8_P12ihipStream_tbDpT10_ENKUlT_T0_E_clISt17integral_constantIbLb1EES17_IbLb0EEEEDaS13_S14_EUlS13_E_NS1_11comp_targetILNS1_3genE4ELNS1_11target_archE910ELNS1_3gpuE8ELNS1_3repE0EEENS1_30default_config_static_selectorELNS0_4arch9wavefront6targetE0EEEvT1_
	.p2align	8
	.type	_ZN7rocprim17ROCPRIM_400000_NS6detail17trampoline_kernelINS0_14default_configENS1_25partition_config_selectorILNS1_17partition_subalgoE6EfNS0_10empty_typeEbEEZZNS1_14partition_implILS5_6ELb0ES3_mN6thrust23THRUST_200600_302600_NS6detail15normal_iteratorINSA_10device_ptrIfEEEEPS6_SG_NS0_5tupleIJSF_S6_EEENSH_IJSG_SG_EEES6_PlJNSB_9not_fun_tI7is_evenIfEEEEEE10hipError_tPvRmT3_T4_T5_T6_T7_T9_mT8_P12ihipStream_tbDpT10_ENKUlT_T0_E_clISt17integral_constantIbLb1EES17_IbLb0EEEEDaS13_S14_EUlS13_E_NS1_11comp_targetILNS1_3genE4ELNS1_11target_archE910ELNS1_3gpuE8ELNS1_3repE0EEENS1_30default_config_static_selectorELNS0_4arch9wavefront6targetE0EEEvT1_,@function
_ZN7rocprim17ROCPRIM_400000_NS6detail17trampoline_kernelINS0_14default_configENS1_25partition_config_selectorILNS1_17partition_subalgoE6EfNS0_10empty_typeEbEEZZNS1_14partition_implILS5_6ELb0ES3_mN6thrust23THRUST_200600_302600_NS6detail15normal_iteratorINSA_10device_ptrIfEEEEPS6_SG_NS0_5tupleIJSF_S6_EEENSH_IJSG_SG_EEES6_PlJNSB_9not_fun_tI7is_evenIfEEEEEE10hipError_tPvRmT3_T4_T5_T6_T7_T9_mT8_P12ihipStream_tbDpT10_ENKUlT_T0_E_clISt17integral_constantIbLb1EES17_IbLb0EEEEDaS13_S14_EUlS13_E_NS1_11comp_targetILNS1_3genE4ELNS1_11target_archE910ELNS1_3gpuE8ELNS1_3repE0EEENS1_30default_config_static_selectorELNS0_4arch9wavefront6targetE0EEEvT1_: ; @_ZN7rocprim17ROCPRIM_400000_NS6detail17trampoline_kernelINS0_14default_configENS1_25partition_config_selectorILNS1_17partition_subalgoE6EfNS0_10empty_typeEbEEZZNS1_14partition_implILS5_6ELb0ES3_mN6thrust23THRUST_200600_302600_NS6detail15normal_iteratorINSA_10device_ptrIfEEEEPS6_SG_NS0_5tupleIJSF_S6_EEENSH_IJSG_SG_EEES6_PlJNSB_9not_fun_tI7is_evenIfEEEEEE10hipError_tPvRmT3_T4_T5_T6_T7_T9_mT8_P12ihipStream_tbDpT10_ENKUlT_T0_E_clISt17integral_constantIbLb1EES17_IbLb0EEEEDaS13_S14_EUlS13_E_NS1_11comp_targetILNS1_3genE4ELNS1_11target_archE910ELNS1_3gpuE8ELNS1_3repE0EEENS1_30default_config_static_selectorELNS0_4arch9wavefront6targetE0EEEvT1_
; %bb.0:
	.section	.rodata,"a",@progbits
	.p2align	6, 0x0
	.amdhsa_kernel _ZN7rocprim17ROCPRIM_400000_NS6detail17trampoline_kernelINS0_14default_configENS1_25partition_config_selectorILNS1_17partition_subalgoE6EfNS0_10empty_typeEbEEZZNS1_14partition_implILS5_6ELb0ES3_mN6thrust23THRUST_200600_302600_NS6detail15normal_iteratorINSA_10device_ptrIfEEEEPS6_SG_NS0_5tupleIJSF_S6_EEENSH_IJSG_SG_EEES6_PlJNSB_9not_fun_tI7is_evenIfEEEEEE10hipError_tPvRmT3_T4_T5_T6_T7_T9_mT8_P12ihipStream_tbDpT10_ENKUlT_T0_E_clISt17integral_constantIbLb1EES17_IbLb0EEEEDaS13_S14_EUlS13_E_NS1_11comp_targetILNS1_3genE4ELNS1_11target_archE910ELNS1_3gpuE8ELNS1_3repE0EEENS1_30default_config_static_selectorELNS0_4arch9wavefront6targetE0EEEvT1_
		.amdhsa_group_segment_fixed_size 0
		.amdhsa_private_segment_fixed_size 0
		.amdhsa_kernarg_size 112
		.amdhsa_user_sgpr_count 2
		.amdhsa_user_sgpr_dispatch_ptr 0
		.amdhsa_user_sgpr_queue_ptr 0
		.amdhsa_user_sgpr_kernarg_segment_ptr 1
		.amdhsa_user_sgpr_dispatch_id 0
		.amdhsa_user_sgpr_private_segment_size 0
		.amdhsa_wavefront_size32 1
		.amdhsa_uses_dynamic_stack 0
		.amdhsa_enable_private_segment 0
		.amdhsa_system_sgpr_workgroup_id_x 1
		.amdhsa_system_sgpr_workgroup_id_y 0
		.amdhsa_system_sgpr_workgroup_id_z 0
		.amdhsa_system_sgpr_workgroup_info 0
		.amdhsa_system_vgpr_workitem_id 0
		.amdhsa_next_free_vgpr 1
		.amdhsa_next_free_sgpr 1
		.amdhsa_reserve_vcc 0
		.amdhsa_float_round_mode_32 0
		.amdhsa_float_round_mode_16_64 0
		.amdhsa_float_denorm_mode_32 3
		.amdhsa_float_denorm_mode_16_64 3
		.amdhsa_fp16_overflow 0
		.amdhsa_workgroup_processor_mode 1
		.amdhsa_memory_ordered 1
		.amdhsa_forward_progress 1
		.amdhsa_inst_pref_size 0
		.amdhsa_round_robin_scheduling 0
		.amdhsa_exception_fp_ieee_invalid_op 0
		.amdhsa_exception_fp_denorm_src 0
		.amdhsa_exception_fp_ieee_div_zero 0
		.amdhsa_exception_fp_ieee_overflow 0
		.amdhsa_exception_fp_ieee_underflow 0
		.amdhsa_exception_fp_ieee_inexact 0
		.amdhsa_exception_int_div_zero 0
	.end_amdhsa_kernel
	.section	.text._ZN7rocprim17ROCPRIM_400000_NS6detail17trampoline_kernelINS0_14default_configENS1_25partition_config_selectorILNS1_17partition_subalgoE6EfNS0_10empty_typeEbEEZZNS1_14partition_implILS5_6ELb0ES3_mN6thrust23THRUST_200600_302600_NS6detail15normal_iteratorINSA_10device_ptrIfEEEEPS6_SG_NS0_5tupleIJSF_S6_EEENSH_IJSG_SG_EEES6_PlJNSB_9not_fun_tI7is_evenIfEEEEEE10hipError_tPvRmT3_T4_T5_T6_T7_T9_mT8_P12ihipStream_tbDpT10_ENKUlT_T0_E_clISt17integral_constantIbLb1EES17_IbLb0EEEEDaS13_S14_EUlS13_E_NS1_11comp_targetILNS1_3genE4ELNS1_11target_archE910ELNS1_3gpuE8ELNS1_3repE0EEENS1_30default_config_static_selectorELNS0_4arch9wavefront6targetE0EEEvT1_,"axG",@progbits,_ZN7rocprim17ROCPRIM_400000_NS6detail17trampoline_kernelINS0_14default_configENS1_25partition_config_selectorILNS1_17partition_subalgoE6EfNS0_10empty_typeEbEEZZNS1_14partition_implILS5_6ELb0ES3_mN6thrust23THRUST_200600_302600_NS6detail15normal_iteratorINSA_10device_ptrIfEEEEPS6_SG_NS0_5tupleIJSF_S6_EEENSH_IJSG_SG_EEES6_PlJNSB_9not_fun_tI7is_evenIfEEEEEE10hipError_tPvRmT3_T4_T5_T6_T7_T9_mT8_P12ihipStream_tbDpT10_ENKUlT_T0_E_clISt17integral_constantIbLb1EES17_IbLb0EEEEDaS13_S14_EUlS13_E_NS1_11comp_targetILNS1_3genE4ELNS1_11target_archE910ELNS1_3gpuE8ELNS1_3repE0EEENS1_30default_config_static_selectorELNS0_4arch9wavefront6targetE0EEEvT1_,comdat
.Lfunc_end583:
	.size	_ZN7rocprim17ROCPRIM_400000_NS6detail17trampoline_kernelINS0_14default_configENS1_25partition_config_selectorILNS1_17partition_subalgoE6EfNS0_10empty_typeEbEEZZNS1_14partition_implILS5_6ELb0ES3_mN6thrust23THRUST_200600_302600_NS6detail15normal_iteratorINSA_10device_ptrIfEEEEPS6_SG_NS0_5tupleIJSF_S6_EEENSH_IJSG_SG_EEES6_PlJNSB_9not_fun_tI7is_evenIfEEEEEE10hipError_tPvRmT3_T4_T5_T6_T7_T9_mT8_P12ihipStream_tbDpT10_ENKUlT_T0_E_clISt17integral_constantIbLb1EES17_IbLb0EEEEDaS13_S14_EUlS13_E_NS1_11comp_targetILNS1_3genE4ELNS1_11target_archE910ELNS1_3gpuE8ELNS1_3repE0EEENS1_30default_config_static_selectorELNS0_4arch9wavefront6targetE0EEEvT1_, .Lfunc_end583-_ZN7rocprim17ROCPRIM_400000_NS6detail17trampoline_kernelINS0_14default_configENS1_25partition_config_selectorILNS1_17partition_subalgoE6EfNS0_10empty_typeEbEEZZNS1_14partition_implILS5_6ELb0ES3_mN6thrust23THRUST_200600_302600_NS6detail15normal_iteratorINSA_10device_ptrIfEEEEPS6_SG_NS0_5tupleIJSF_S6_EEENSH_IJSG_SG_EEES6_PlJNSB_9not_fun_tI7is_evenIfEEEEEE10hipError_tPvRmT3_T4_T5_T6_T7_T9_mT8_P12ihipStream_tbDpT10_ENKUlT_T0_E_clISt17integral_constantIbLb1EES17_IbLb0EEEEDaS13_S14_EUlS13_E_NS1_11comp_targetILNS1_3genE4ELNS1_11target_archE910ELNS1_3gpuE8ELNS1_3repE0EEENS1_30default_config_static_selectorELNS0_4arch9wavefront6targetE0EEEvT1_
                                        ; -- End function
	.set _ZN7rocprim17ROCPRIM_400000_NS6detail17trampoline_kernelINS0_14default_configENS1_25partition_config_selectorILNS1_17partition_subalgoE6EfNS0_10empty_typeEbEEZZNS1_14partition_implILS5_6ELb0ES3_mN6thrust23THRUST_200600_302600_NS6detail15normal_iteratorINSA_10device_ptrIfEEEEPS6_SG_NS0_5tupleIJSF_S6_EEENSH_IJSG_SG_EEES6_PlJNSB_9not_fun_tI7is_evenIfEEEEEE10hipError_tPvRmT3_T4_T5_T6_T7_T9_mT8_P12ihipStream_tbDpT10_ENKUlT_T0_E_clISt17integral_constantIbLb1EES17_IbLb0EEEEDaS13_S14_EUlS13_E_NS1_11comp_targetILNS1_3genE4ELNS1_11target_archE910ELNS1_3gpuE8ELNS1_3repE0EEENS1_30default_config_static_selectorELNS0_4arch9wavefront6targetE0EEEvT1_.num_vgpr, 0
	.set _ZN7rocprim17ROCPRIM_400000_NS6detail17trampoline_kernelINS0_14default_configENS1_25partition_config_selectorILNS1_17partition_subalgoE6EfNS0_10empty_typeEbEEZZNS1_14partition_implILS5_6ELb0ES3_mN6thrust23THRUST_200600_302600_NS6detail15normal_iteratorINSA_10device_ptrIfEEEEPS6_SG_NS0_5tupleIJSF_S6_EEENSH_IJSG_SG_EEES6_PlJNSB_9not_fun_tI7is_evenIfEEEEEE10hipError_tPvRmT3_T4_T5_T6_T7_T9_mT8_P12ihipStream_tbDpT10_ENKUlT_T0_E_clISt17integral_constantIbLb1EES17_IbLb0EEEEDaS13_S14_EUlS13_E_NS1_11comp_targetILNS1_3genE4ELNS1_11target_archE910ELNS1_3gpuE8ELNS1_3repE0EEENS1_30default_config_static_selectorELNS0_4arch9wavefront6targetE0EEEvT1_.num_agpr, 0
	.set _ZN7rocprim17ROCPRIM_400000_NS6detail17trampoline_kernelINS0_14default_configENS1_25partition_config_selectorILNS1_17partition_subalgoE6EfNS0_10empty_typeEbEEZZNS1_14partition_implILS5_6ELb0ES3_mN6thrust23THRUST_200600_302600_NS6detail15normal_iteratorINSA_10device_ptrIfEEEEPS6_SG_NS0_5tupleIJSF_S6_EEENSH_IJSG_SG_EEES6_PlJNSB_9not_fun_tI7is_evenIfEEEEEE10hipError_tPvRmT3_T4_T5_T6_T7_T9_mT8_P12ihipStream_tbDpT10_ENKUlT_T0_E_clISt17integral_constantIbLb1EES17_IbLb0EEEEDaS13_S14_EUlS13_E_NS1_11comp_targetILNS1_3genE4ELNS1_11target_archE910ELNS1_3gpuE8ELNS1_3repE0EEENS1_30default_config_static_selectorELNS0_4arch9wavefront6targetE0EEEvT1_.numbered_sgpr, 0
	.set _ZN7rocprim17ROCPRIM_400000_NS6detail17trampoline_kernelINS0_14default_configENS1_25partition_config_selectorILNS1_17partition_subalgoE6EfNS0_10empty_typeEbEEZZNS1_14partition_implILS5_6ELb0ES3_mN6thrust23THRUST_200600_302600_NS6detail15normal_iteratorINSA_10device_ptrIfEEEEPS6_SG_NS0_5tupleIJSF_S6_EEENSH_IJSG_SG_EEES6_PlJNSB_9not_fun_tI7is_evenIfEEEEEE10hipError_tPvRmT3_T4_T5_T6_T7_T9_mT8_P12ihipStream_tbDpT10_ENKUlT_T0_E_clISt17integral_constantIbLb1EES17_IbLb0EEEEDaS13_S14_EUlS13_E_NS1_11comp_targetILNS1_3genE4ELNS1_11target_archE910ELNS1_3gpuE8ELNS1_3repE0EEENS1_30default_config_static_selectorELNS0_4arch9wavefront6targetE0EEEvT1_.num_named_barrier, 0
	.set _ZN7rocprim17ROCPRIM_400000_NS6detail17trampoline_kernelINS0_14default_configENS1_25partition_config_selectorILNS1_17partition_subalgoE6EfNS0_10empty_typeEbEEZZNS1_14partition_implILS5_6ELb0ES3_mN6thrust23THRUST_200600_302600_NS6detail15normal_iteratorINSA_10device_ptrIfEEEEPS6_SG_NS0_5tupleIJSF_S6_EEENSH_IJSG_SG_EEES6_PlJNSB_9not_fun_tI7is_evenIfEEEEEE10hipError_tPvRmT3_T4_T5_T6_T7_T9_mT8_P12ihipStream_tbDpT10_ENKUlT_T0_E_clISt17integral_constantIbLb1EES17_IbLb0EEEEDaS13_S14_EUlS13_E_NS1_11comp_targetILNS1_3genE4ELNS1_11target_archE910ELNS1_3gpuE8ELNS1_3repE0EEENS1_30default_config_static_selectorELNS0_4arch9wavefront6targetE0EEEvT1_.private_seg_size, 0
	.set _ZN7rocprim17ROCPRIM_400000_NS6detail17trampoline_kernelINS0_14default_configENS1_25partition_config_selectorILNS1_17partition_subalgoE6EfNS0_10empty_typeEbEEZZNS1_14partition_implILS5_6ELb0ES3_mN6thrust23THRUST_200600_302600_NS6detail15normal_iteratorINSA_10device_ptrIfEEEEPS6_SG_NS0_5tupleIJSF_S6_EEENSH_IJSG_SG_EEES6_PlJNSB_9not_fun_tI7is_evenIfEEEEEE10hipError_tPvRmT3_T4_T5_T6_T7_T9_mT8_P12ihipStream_tbDpT10_ENKUlT_T0_E_clISt17integral_constantIbLb1EES17_IbLb0EEEEDaS13_S14_EUlS13_E_NS1_11comp_targetILNS1_3genE4ELNS1_11target_archE910ELNS1_3gpuE8ELNS1_3repE0EEENS1_30default_config_static_selectorELNS0_4arch9wavefront6targetE0EEEvT1_.uses_vcc, 0
	.set _ZN7rocprim17ROCPRIM_400000_NS6detail17trampoline_kernelINS0_14default_configENS1_25partition_config_selectorILNS1_17partition_subalgoE6EfNS0_10empty_typeEbEEZZNS1_14partition_implILS5_6ELb0ES3_mN6thrust23THRUST_200600_302600_NS6detail15normal_iteratorINSA_10device_ptrIfEEEEPS6_SG_NS0_5tupleIJSF_S6_EEENSH_IJSG_SG_EEES6_PlJNSB_9not_fun_tI7is_evenIfEEEEEE10hipError_tPvRmT3_T4_T5_T6_T7_T9_mT8_P12ihipStream_tbDpT10_ENKUlT_T0_E_clISt17integral_constantIbLb1EES17_IbLb0EEEEDaS13_S14_EUlS13_E_NS1_11comp_targetILNS1_3genE4ELNS1_11target_archE910ELNS1_3gpuE8ELNS1_3repE0EEENS1_30default_config_static_selectorELNS0_4arch9wavefront6targetE0EEEvT1_.uses_flat_scratch, 0
	.set _ZN7rocprim17ROCPRIM_400000_NS6detail17trampoline_kernelINS0_14default_configENS1_25partition_config_selectorILNS1_17partition_subalgoE6EfNS0_10empty_typeEbEEZZNS1_14partition_implILS5_6ELb0ES3_mN6thrust23THRUST_200600_302600_NS6detail15normal_iteratorINSA_10device_ptrIfEEEEPS6_SG_NS0_5tupleIJSF_S6_EEENSH_IJSG_SG_EEES6_PlJNSB_9not_fun_tI7is_evenIfEEEEEE10hipError_tPvRmT3_T4_T5_T6_T7_T9_mT8_P12ihipStream_tbDpT10_ENKUlT_T0_E_clISt17integral_constantIbLb1EES17_IbLb0EEEEDaS13_S14_EUlS13_E_NS1_11comp_targetILNS1_3genE4ELNS1_11target_archE910ELNS1_3gpuE8ELNS1_3repE0EEENS1_30default_config_static_selectorELNS0_4arch9wavefront6targetE0EEEvT1_.has_dyn_sized_stack, 0
	.set _ZN7rocprim17ROCPRIM_400000_NS6detail17trampoline_kernelINS0_14default_configENS1_25partition_config_selectorILNS1_17partition_subalgoE6EfNS0_10empty_typeEbEEZZNS1_14partition_implILS5_6ELb0ES3_mN6thrust23THRUST_200600_302600_NS6detail15normal_iteratorINSA_10device_ptrIfEEEEPS6_SG_NS0_5tupleIJSF_S6_EEENSH_IJSG_SG_EEES6_PlJNSB_9not_fun_tI7is_evenIfEEEEEE10hipError_tPvRmT3_T4_T5_T6_T7_T9_mT8_P12ihipStream_tbDpT10_ENKUlT_T0_E_clISt17integral_constantIbLb1EES17_IbLb0EEEEDaS13_S14_EUlS13_E_NS1_11comp_targetILNS1_3genE4ELNS1_11target_archE910ELNS1_3gpuE8ELNS1_3repE0EEENS1_30default_config_static_selectorELNS0_4arch9wavefront6targetE0EEEvT1_.has_recursion, 0
	.set _ZN7rocprim17ROCPRIM_400000_NS6detail17trampoline_kernelINS0_14default_configENS1_25partition_config_selectorILNS1_17partition_subalgoE6EfNS0_10empty_typeEbEEZZNS1_14partition_implILS5_6ELb0ES3_mN6thrust23THRUST_200600_302600_NS6detail15normal_iteratorINSA_10device_ptrIfEEEEPS6_SG_NS0_5tupleIJSF_S6_EEENSH_IJSG_SG_EEES6_PlJNSB_9not_fun_tI7is_evenIfEEEEEE10hipError_tPvRmT3_T4_T5_T6_T7_T9_mT8_P12ihipStream_tbDpT10_ENKUlT_T0_E_clISt17integral_constantIbLb1EES17_IbLb0EEEEDaS13_S14_EUlS13_E_NS1_11comp_targetILNS1_3genE4ELNS1_11target_archE910ELNS1_3gpuE8ELNS1_3repE0EEENS1_30default_config_static_selectorELNS0_4arch9wavefront6targetE0EEEvT1_.has_indirect_call, 0
	.section	.AMDGPU.csdata,"",@progbits
; Kernel info:
; codeLenInByte = 0
; TotalNumSgprs: 0
; NumVgprs: 0
; ScratchSize: 0
; MemoryBound: 0
; FloatMode: 240
; IeeeMode: 1
; LDSByteSize: 0 bytes/workgroup (compile time only)
; SGPRBlocks: 0
; VGPRBlocks: 0
; NumSGPRsForWavesPerEU: 1
; NumVGPRsForWavesPerEU: 1
; Occupancy: 16
; WaveLimiterHint : 0
; COMPUTE_PGM_RSRC2:SCRATCH_EN: 0
; COMPUTE_PGM_RSRC2:USER_SGPR: 2
; COMPUTE_PGM_RSRC2:TRAP_HANDLER: 0
; COMPUTE_PGM_RSRC2:TGID_X_EN: 1
; COMPUTE_PGM_RSRC2:TGID_Y_EN: 0
; COMPUTE_PGM_RSRC2:TGID_Z_EN: 0
; COMPUTE_PGM_RSRC2:TIDIG_COMP_CNT: 0
	.section	.text._ZN7rocprim17ROCPRIM_400000_NS6detail17trampoline_kernelINS0_14default_configENS1_25partition_config_selectorILNS1_17partition_subalgoE6EfNS0_10empty_typeEbEEZZNS1_14partition_implILS5_6ELb0ES3_mN6thrust23THRUST_200600_302600_NS6detail15normal_iteratorINSA_10device_ptrIfEEEEPS6_SG_NS0_5tupleIJSF_S6_EEENSH_IJSG_SG_EEES6_PlJNSB_9not_fun_tI7is_evenIfEEEEEE10hipError_tPvRmT3_T4_T5_T6_T7_T9_mT8_P12ihipStream_tbDpT10_ENKUlT_T0_E_clISt17integral_constantIbLb1EES17_IbLb0EEEEDaS13_S14_EUlS13_E_NS1_11comp_targetILNS1_3genE3ELNS1_11target_archE908ELNS1_3gpuE7ELNS1_3repE0EEENS1_30default_config_static_selectorELNS0_4arch9wavefront6targetE0EEEvT1_,"axG",@progbits,_ZN7rocprim17ROCPRIM_400000_NS6detail17trampoline_kernelINS0_14default_configENS1_25partition_config_selectorILNS1_17partition_subalgoE6EfNS0_10empty_typeEbEEZZNS1_14partition_implILS5_6ELb0ES3_mN6thrust23THRUST_200600_302600_NS6detail15normal_iteratorINSA_10device_ptrIfEEEEPS6_SG_NS0_5tupleIJSF_S6_EEENSH_IJSG_SG_EEES6_PlJNSB_9not_fun_tI7is_evenIfEEEEEE10hipError_tPvRmT3_T4_T5_T6_T7_T9_mT8_P12ihipStream_tbDpT10_ENKUlT_T0_E_clISt17integral_constantIbLb1EES17_IbLb0EEEEDaS13_S14_EUlS13_E_NS1_11comp_targetILNS1_3genE3ELNS1_11target_archE908ELNS1_3gpuE7ELNS1_3repE0EEENS1_30default_config_static_selectorELNS0_4arch9wavefront6targetE0EEEvT1_,comdat
	.protected	_ZN7rocprim17ROCPRIM_400000_NS6detail17trampoline_kernelINS0_14default_configENS1_25partition_config_selectorILNS1_17partition_subalgoE6EfNS0_10empty_typeEbEEZZNS1_14partition_implILS5_6ELb0ES3_mN6thrust23THRUST_200600_302600_NS6detail15normal_iteratorINSA_10device_ptrIfEEEEPS6_SG_NS0_5tupleIJSF_S6_EEENSH_IJSG_SG_EEES6_PlJNSB_9not_fun_tI7is_evenIfEEEEEE10hipError_tPvRmT3_T4_T5_T6_T7_T9_mT8_P12ihipStream_tbDpT10_ENKUlT_T0_E_clISt17integral_constantIbLb1EES17_IbLb0EEEEDaS13_S14_EUlS13_E_NS1_11comp_targetILNS1_3genE3ELNS1_11target_archE908ELNS1_3gpuE7ELNS1_3repE0EEENS1_30default_config_static_selectorELNS0_4arch9wavefront6targetE0EEEvT1_ ; -- Begin function _ZN7rocprim17ROCPRIM_400000_NS6detail17trampoline_kernelINS0_14default_configENS1_25partition_config_selectorILNS1_17partition_subalgoE6EfNS0_10empty_typeEbEEZZNS1_14partition_implILS5_6ELb0ES3_mN6thrust23THRUST_200600_302600_NS6detail15normal_iteratorINSA_10device_ptrIfEEEEPS6_SG_NS0_5tupleIJSF_S6_EEENSH_IJSG_SG_EEES6_PlJNSB_9not_fun_tI7is_evenIfEEEEEE10hipError_tPvRmT3_T4_T5_T6_T7_T9_mT8_P12ihipStream_tbDpT10_ENKUlT_T0_E_clISt17integral_constantIbLb1EES17_IbLb0EEEEDaS13_S14_EUlS13_E_NS1_11comp_targetILNS1_3genE3ELNS1_11target_archE908ELNS1_3gpuE7ELNS1_3repE0EEENS1_30default_config_static_selectorELNS0_4arch9wavefront6targetE0EEEvT1_
	.globl	_ZN7rocprim17ROCPRIM_400000_NS6detail17trampoline_kernelINS0_14default_configENS1_25partition_config_selectorILNS1_17partition_subalgoE6EfNS0_10empty_typeEbEEZZNS1_14partition_implILS5_6ELb0ES3_mN6thrust23THRUST_200600_302600_NS6detail15normal_iteratorINSA_10device_ptrIfEEEEPS6_SG_NS0_5tupleIJSF_S6_EEENSH_IJSG_SG_EEES6_PlJNSB_9not_fun_tI7is_evenIfEEEEEE10hipError_tPvRmT3_T4_T5_T6_T7_T9_mT8_P12ihipStream_tbDpT10_ENKUlT_T0_E_clISt17integral_constantIbLb1EES17_IbLb0EEEEDaS13_S14_EUlS13_E_NS1_11comp_targetILNS1_3genE3ELNS1_11target_archE908ELNS1_3gpuE7ELNS1_3repE0EEENS1_30default_config_static_selectorELNS0_4arch9wavefront6targetE0EEEvT1_
	.p2align	8
	.type	_ZN7rocprim17ROCPRIM_400000_NS6detail17trampoline_kernelINS0_14default_configENS1_25partition_config_selectorILNS1_17partition_subalgoE6EfNS0_10empty_typeEbEEZZNS1_14partition_implILS5_6ELb0ES3_mN6thrust23THRUST_200600_302600_NS6detail15normal_iteratorINSA_10device_ptrIfEEEEPS6_SG_NS0_5tupleIJSF_S6_EEENSH_IJSG_SG_EEES6_PlJNSB_9not_fun_tI7is_evenIfEEEEEE10hipError_tPvRmT3_T4_T5_T6_T7_T9_mT8_P12ihipStream_tbDpT10_ENKUlT_T0_E_clISt17integral_constantIbLb1EES17_IbLb0EEEEDaS13_S14_EUlS13_E_NS1_11comp_targetILNS1_3genE3ELNS1_11target_archE908ELNS1_3gpuE7ELNS1_3repE0EEENS1_30default_config_static_selectorELNS0_4arch9wavefront6targetE0EEEvT1_,@function
_ZN7rocprim17ROCPRIM_400000_NS6detail17trampoline_kernelINS0_14default_configENS1_25partition_config_selectorILNS1_17partition_subalgoE6EfNS0_10empty_typeEbEEZZNS1_14partition_implILS5_6ELb0ES3_mN6thrust23THRUST_200600_302600_NS6detail15normal_iteratorINSA_10device_ptrIfEEEEPS6_SG_NS0_5tupleIJSF_S6_EEENSH_IJSG_SG_EEES6_PlJNSB_9not_fun_tI7is_evenIfEEEEEE10hipError_tPvRmT3_T4_T5_T6_T7_T9_mT8_P12ihipStream_tbDpT10_ENKUlT_T0_E_clISt17integral_constantIbLb1EES17_IbLb0EEEEDaS13_S14_EUlS13_E_NS1_11comp_targetILNS1_3genE3ELNS1_11target_archE908ELNS1_3gpuE7ELNS1_3repE0EEENS1_30default_config_static_selectorELNS0_4arch9wavefront6targetE0EEEvT1_: ; @_ZN7rocprim17ROCPRIM_400000_NS6detail17trampoline_kernelINS0_14default_configENS1_25partition_config_selectorILNS1_17partition_subalgoE6EfNS0_10empty_typeEbEEZZNS1_14partition_implILS5_6ELb0ES3_mN6thrust23THRUST_200600_302600_NS6detail15normal_iteratorINSA_10device_ptrIfEEEEPS6_SG_NS0_5tupleIJSF_S6_EEENSH_IJSG_SG_EEES6_PlJNSB_9not_fun_tI7is_evenIfEEEEEE10hipError_tPvRmT3_T4_T5_T6_T7_T9_mT8_P12ihipStream_tbDpT10_ENKUlT_T0_E_clISt17integral_constantIbLb1EES17_IbLb0EEEEDaS13_S14_EUlS13_E_NS1_11comp_targetILNS1_3genE3ELNS1_11target_archE908ELNS1_3gpuE7ELNS1_3repE0EEENS1_30default_config_static_selectorELNS0_4arch9wavefront6targetE0EEEvT1_
; %bb.0:
	.section	.rodata,"a",@progbits
	.p2align	6, 0x0
	.amdhsa_kernel _ZN7rocprim17ROCPRIM_400000_NS6detail17trampoline_kernelINS0_14default_configENS1_25partition_config_selectorILNS1_17partition_subalgoE6EfNS0_10empty_typeEbEEZZNS1_14partition_implILS5_6ELb0ES3_mN6thrust23THRUST_200600_302600_NS6detail15normal_iteratorINSA_10device_ptrIfEEEEPS6_SG_NS0_5tupleIJSF_S6_EEENSH_IJSG_SG_EEES6_PlJNSB_9not_fun_tI7is_evenIfEEEEEE10hipError_tPvRmT3_T4_T5_T6_T7_T9_mT8_P12ihipStream_tbDpT10_ENKUlT_T0_E_clISt17integral_constantIbLb1EES17_IbLb0EEEEDaS13_S14_EUlS13_E_NS1_11comp_targetILNS1_3genE3ELNS1_11target_archE908ELNS1_3gpuE7ELNS1_3repE0EEENS1_30default_config_static_selectorELNS0_4arch9wavefront6targetE0EEEvT1_
		.amdhsa_group_segment_fixed_size 0
		.amdhsa_private_segment_fixed_size 0
		.amdhsa_kernarg_size 112
		.amdhsa_user_sgpr_count 2
		.amdhsa_user_sgpr_dispatch_ptr 0
		.amdhsa_user_sgpr_queue_ptr 0
		.amdhsa_user_sgpr_kernarg_segment_ptr 1
		.amdhsa_user_sgpr_dispatch_id 0
		.amdhsa_user_sgpr_private_segment_size 0
		.amdhsa_wavefront_size32 1
		.amdhsa_uses_dynamic_stack 0
		.amdhsa_enable_private_segment 0
		.amdhsa_system_sgpr_workgroup_id_x 1
		.amdhsa_system_sgpr_workgroup_id_y 0
		.amdhsa_system_sgpr_workgroup_id_z 0
		.amdhsa_system_sgpr_workgroup_info 0
		.amdhsa_system_vgpr_workitem_id 0
		.amdhsa_next_free_vgpr 1
		.amdhsa_next_free_sgpr 1
		.amdhsa_reserve_vcc 0
		.amdhsa_float_round_mode_32 0
		.amdhsa_float_round_mode_16_64 0
		.amdhsa_float_denorm_mode_32 3
		.amdhsa_float_denorm_mode_16_64 3
		.amdhsa_fp16_overflow 0
		.amdhsa_workgroup_processor_mode 1
		.amdhsa_memory_ordered 1
		.amdhsa_forward_progress 1
		.amdhsa_inst_pref_size 0
		.amdhsa_round_robin_scheduling 0
		.amdhsa_exception_fp_ieee_invalid_op 0
		.amdhsa_exception_fp_denorm_src 0
		.amdhsa_exception_fp_ieee_div_zero 0
		.amdhsa_exception_fp_ieee_overflow 0
		.amdhsa_exception_fp_ieee_underflow 0
		.amdhsa_exception_fp_ieee_inexact 0
		.amdhsa_exception_int_div_zero 0
	.end_amdhsa_kernel
	.section	.text._ZN7rocprim17ROCPRIM_400000_NS6detail17trampoline_kernelINS0_14default_configENS1_25partition_config_selectorILNS1_17partition_subalgoE6EfNS0_10empty_typeEbEEZZNS1_14partition_implILS5_6ELb0ES3_mN6thrust23THRUST_200600_302600_NS6detail15normal_iteratorINSA_10device_ptrIfEEEEPS6_SG_NS0_5tupleIJSF_S6_EEENSH_IJSG_SG_EEES6_PlJNSB_9not_fun_tI7is_evenIfEEEEEE10hipError_tPvRmT3_T4_T5_T6_T7_T9_mT8_P12ihipStream_tbDpT10_ENKUlT_T0_E_clISt17integral_constantIbLb1EES17_IbLb0EEEEDaS13_S14_EUlS13_E_NS1_11comp_targetILNS1_3genE3ELNS1_11target_archE908ELNS1_3gpuE7ELNS1_3repE0EEENS1_30default_config_static_selectorELNS0_4arch9wavefront6targetE0EEEvT1_,"axG",@progbits,_ZN7rocprim17ROCPRIM_400000_NS6detail17trampoline_kernelINS0_14default_configENS1_25partition_config_selectorILNS1_17partition_subalgoE6EfNS0_10empty_typeEbEEZZNS1_14partition_implILS5_6ELb0ES3_mN6thrust23THRUST_200600_302600_NS6detail15normal_iteratorINSA_10device_ptrIfEEEEPS6_SG_NS0_5tupleIJSF_S6_EEENSH_IJSG_SG_EEES6_PlJNSB_9not_fun_tI7is_evenIfEEEEEE10hipError_tPvRmT3_T4_T5_T6_T7_T9_mT8_P12ihipStream_tbDpT10_ENKUlT_T0_E_clISt17integral_constantIbLb1EES17_IbLb0EEEEDaS13_S14_EUlS13_E_NS1_11comp_targetILNS1_3genE3ELNS1_11target_archE908ELNS1_3gpuE7ELNS1_3repE0EEENS1_30default_config_static_selectorELNS0_4arch9wavefront6targetE0EEEvT1_,comdat
.Lfunc_end584:
	.size	_ZN7rocprim17ROCPRIM_400000_NS6detail17trampoline_kernelINS0_14default_configENS1_25partition_config_selectorILNS1_17partition_subalgoE6EfNS0_10empty_typeEbEEZZNS1_14partition_implILS5_6ELb0ES3_mN6thrust23THRUST_200600_302600_NS6detail15normal_iteratorINSA_10device_ptrIfEEEEPS6_SG_NS0_5tupleIJSF_S6_EEENSH_IJSG_SG_EEES6_PlJNSB_9not_fun_tI7is_evenIfEEEEEE10hipError_tPvRmT3_T4_T5_T6_T7_T9_mT8_P12ihipStream_tbDpT10_ENKUlT_T0_E_clISt17integral_constantIbLb1EES17_IbLb0EEEEDaS13_S14_EUlS13_E_NS1_11comp_targetILNS1_3genE3ELNS1_11target_archE908ELNS1_3gpuE7ELNS1_3repE0EEENS1_30default_config_static_selectorELNS0_4arch9wavefront6targetE0EEEvT1_, .Lfunc_end584-_ZN7rocprim17ROCPRIM_400000_NS6detail17trampoline_kernelINS0_14default_configENS1_25partition_config_selectorILNS1_17partition_subalgoE6EfNS0_10empty_typeEbEEZZNS1_14partition_implILS5_6ELb0ES3_mN6thrust23THRUST_200600_302600_NS6detail15normal_iteratorINSA_10device_ptrIfEEEEPS6_SG_NS0_5tupleIJSF_S6_EEENSH_IJSG_SG_EEES6_PlJNSB_9not_fun_tI7is_evenIfEEEEEE10hipError_tPvRmT3_T4_T5_T6_T7_T9_mT8_P12ihipStream_tbDpT10_ENKUlT_T0_E_clISt17integral_constantIbLb1EES17_IbLb0EEEEDaS13_S14_EUlS13_E_NS1_11comp_targetILNS1_3genE3ELNS1_11target_archE908ELNS1_3gpuE7ELNS1_3repE0EEENS1_30default_config_static_selectorELNS0_4arch9wavefront6targetE0EEEvT1_
                                        ; -- End function
	.set _ZN7rocprim17ROCPRIM_400000_NS6detail17trampoline_kernelINS0_14default_configENS1_25partition_config_selectorILNS1_17partition_subalgoE6EfNS0_10empty_typeEbEEZZNS1_14partition_implILS5_6ELb0ES3_mN6thrust23THRUST_200600_302600_NS6detail15normal_iteratorINSA_10device_ptrIfEEEEPS6_SG_NS0_5tupleIJSF_S6_EEENSH_IJSG_SG_EEES6_PlJNSB_9not_fun_tI7is_evenIfEEEEEE10hipError_tPvRmT3_T4_T5_T6_T7_T9_mT8_P12ihipStream_tbDpT10_ENKUlT_T0_E_clISt17integral_constantIbLb1EES17_IbLb0EEEEDaS13_S14_EUlS13_E_NS1_11comp_targetILNS1_3genE3ELNS1_11target_archE908ELNS1_3gpuE7ELNS1_3repE0EEENS1_30default_config_static_selectorELNS0_4arch9wavefront6targetE0EEEvT1_.num_vgpr, 0
	.set _ZN7rocprim17ROCPRIM_400000_NS6detail17trampoline_kernelINS0_14default_configENS1_25partition_config_selectorILNS1_17partition_subalgoE6EfNS0_10empty_typeEbEEZZNS1_14partition_implILS5_6ELb0ES3_mN6thrust23THRUST_200600_302600_NS6detail15normal_iteratorINSA_10device_ptrIfEEEEPS6_SG_NS0_5tupleIJSF_S6_EEENSH_IJSG_SG_EEES6_PlJNSB_9not_fun_tI7is_evenIfEEEEEE10hipError_tPvRmT3_T4_T5_T6_T7_T9_mT8_P12ihipStream_tbDpT10_ENKUlT_T0_E_clISt17integral_constantIbLb1EES17_IbLb0EEEEDaS13_S14_EUlS13_E_NS1_11comp_targetILNS1_3genE3ELNS1_11target_archE908ELNS1_3gpuE7ELNS1_3repE0EEENS1_30default_config_static_selectorELNS0_4arch9wavefront6targetE0EEEvT1_.num_agpr, 0
	.set _ZN7rocprim17ROCPRIM_400000_NS6detail17trampoline_kernelINS0_14default_configENS1_25partition_config_selectorILNS1_17partition_subalgoE6EfNS0_10empty_typeEbEEZZNS1_14partition_implILS5_6ELb0ES3_mN6thrust23THRUST_200600_302600_NS6detail15normal_iteratorINSA_10device_ptrIfEEEEPS6_SG_NS0_5tupleIJSF_S6_EEENSH_IJSG_SG_EEES6_PlJNSB_9not_fun_tI7is_evenIfEEEEEE10hipError_tPvRmT3_T4_T5_T6_T7_T9_mT8_P12ihipStream_tbDpT10_ENKUlT_T0_E_clISt17integral_constantIbLb1EES17_IbLb0EEEEDaS13_S14_EUlS13_E_NS1_11comp_targetILNS1_3genE3ELNS1_11target_archE908ELNS1_3gpuE7ELNS1_3repE0EEENS1_30default_config_static_selectorELNS0_4arch9wavefront6targetE0EEEvT1_.numbered_sgpr, 0
	.set _ZN7rocprim17ROCPRIM_400000_NS6detail17trampoline_kernelINS0_14default_configENS1_25partition_config_selectorILNS1_17partition_subalgoE6EfNS0_10empty_typeEbEEZZNS1_14partition_implILS5_6ELb0ES3_mN6thrust23THRUST_200600_302600_NS6detail15normal_iteratorINSA_10device_ptrIfEEEEPS6_SG_NS0_5tupleIJSF_S6_EEENSH_IJSG_SG_EEES6_PlJNSB_9not_fun_tI7is_evenIfEEEEEE10hipError_tPvRmT3_T4_T5_T6_T7_T9_mT8_P12ihipStream_tbDpT10_ENKUlT_T0_E_clISt17integral_constantIbLb1EES17_IbLb0EEEEDaS13_S14_EUlS13_E_NS1_11comp_targetILNS1_3genE3ELNS1_11target_archE908ELNS1_3gpuE7ELNS1_3repE0EEENS1_30default_config_static_selectorELNS0_4arch9wavefront6targetE0EEEvT1_.num_named_barrier, 0
	.set _ZN7rocprim17ROCPRIM_400000_NS6detail17trampoline_kernelINS0_14default_configENS1_25partition_config_selectorILNS1_17partition_subalgoE6EfNS0_10empty_typeEbEEZZNS1_14partition_implILS5_6ELb0ES3_mN6thrust23THRUST_200600_302600_NS6detail15normal_iteratorINSA_10device_ptrIfEEEEPS6_SG_NS0_5tupleIJSF_S6_EEENSH_IJSG_SG_EEES6_PlJNSB_9not_fun_tI7is_evenIfEEEEEE10hipError_tPvRmT3_T4_T5_T6_T7_T9_mT8_P12ihipStream_tbDpT10_ENKUlT_T0_E_clISt17integral_constantIbLb1EES17_IbLb0EEEEDaS13_S14_EUlS13_E_NS1_11comp_targetILNS1_3genE3ELNS1_11target_archE908ELNS1_3gpuE7ELNS1_3repE0EEENS1_30default_config_static_selectorELNS0_4arch9wavefront6targetE0EEEvT1_.private_seg_size, 0
	.set _ZN7rocprim17ROCPRIM_400000_NS6detail17trampoline_kernelINS0_14default_configENS1_25partition_config_selectorILNS1_17partition_subalgoE6EfNS0_10empty_typeEbEEZZNS1_14partition_implILS5_6ELb0ES3_mN6thrust23THRUST_200600_302600_NS6detail15normal_iteratorINSA_10device_ptrIfEEEEPS6_SG_NS0_5tupleIJSF_S6_EEENSH_IJSG_SG_EEES6_PlJNSB_9not_fun_tI7is_evenIfEEEEEE10hipError_tPvRmT3_T4_T5_T6_T7_T9_mT8_P12ihipStream_tbDpT10_ENKUlT_T0_E_clISt17integral_constantIbLb1EES17_IbLb0EEEEDaS13_S14_EUlS13_E_NS1_11comp_targetILNS1_3genE3ELNS1_11target_archE908ELNS1_3gpuE7ELNS1_3repE0EEENS1_30default_config_static_selectorELNS0_4arch9wavefront6targetE0EEEvT1_.uses_vcc, 0
	.set _ZN7rocprim17ROCPRIM_400000_NS6detail17trampoline_kernelINS0_14default_configENS1_25partition_config_selectorILNS1_17partition_subalgoE6EfNS0_10empty_typeEbEEZZNS1_14partition_implILS5_6ELb0ES3_mN6thrust23THRUST_200600_302600_NS6detail15normal_iteratorINSA_10device_ptrIfEEEEPS6_SG_NS0_5tupleIJSF_S6_EEENSH_IJSG_SG_EEES6_PlJNSB_9not_fun_tI7is_evenIfEEEEEE10hipError_tPvRmT3_T4_T5_T6_T7_T9_mT8_P12ihipStream_tbDpT10_ENKUlT_T0_E_clISt17integral_constantIbLb1EES17_IbLb0EEEEDaS13_S14_EUlS13_E_NS1_11comp_targetILNS1_3genE3ELNS1_11target_archE908ELNS1_3gpuE7ELNS1_3repE0EEENS1_30default_config_static_selectorELNS0_4arch9wavefront6targetE0EEEvT1_.uses_flat_scratch, 0
	.set _ZN7rocprim17ROCPRIM_400000_NS6detail17trampoline_kernelINS0_14default_configENS1_25partition_config_selectorILNS1_17partition_subalgoE6EfNS0_10empty_typeEbEEZZNS1_14partition_implILS5_6ELb0ES3_mN6thrust23THRUST_200600_302600_NS6detail15normal_iteratorINSA_10device_ptrIfEEEEPS6_SG_NS0_5tupleIJSF_S6_EEENSH_IJSG_SG_EEES6_PlJNSB_9not_fun_tI7is_evenIfEEEEEE10hipError_tPvRmT3_T4_T5_T6_T7_T9_mT8_P12ihipStream_tbDpT10_ENKUlT_T0_E_clISt17integral_constantIbLb1EES17_IbLb0EEEEDaS13_S14_EUlS13_E_NS1_11comp_targetILNS1_3genE3ELNS1_11target_archE908ELNS1_3gpuE7ELNS1_3repE0EEENS1_30default_config_static_selectorELNS0_4arch9wavefront6targetE0EEEvT1_.has_dyn_sized_stack, 0
	.set _ZN7rocprim17ROCPRIM_400000_NS6detail17trampoline_kernelINS0_14default_configENS1_25partition_config_selectorILNS1_17partition_subalgoE6EfNS0_10empty_typeEbEEZZNS1_14partition_implILS5_6ELb0ES3_mN6thrust23THRUST_200600_302600_NS6detail15normal_iteratorINSA_10device_ptrIfEEEEPS6_SG_NS0_5tupleIJSF_S6_EEENSH_IJSG_SG_EEES6_PlJNSB_9not_fun_tI7is_evenIfEEEEEE10hipError_tPvRmT3_T4_T5_T6_T7_T9_mT8_P12ihipStream_tbDpT10_ENKUlT_T0_E_clISt17integral_constantIbLb1EES17_IbLb0EEEEDaS13_S14_EUlS13_E_NS1_11comp_targetILNS1_3genE3ELNS1_11target_archE908ELNS1_3gpuE7ELNS1_3repE0EEENS1_30default_config_static_selectorELNS0_4arch9wavefront6targetE0EEEvT1_.has_recursion, 0
	.set _ZN7rocprim17ROCPRIM_400000_NS6detail17trampoline_kernelINS0_14default_configENS1_25partition_config_selectorILNS1_17partition_subalgoE6EfNS0_10empty_typeEbEEZZNS1_14partition_implILS5_6ELb0ES3_mN6thrust23THRUST_200600_302600_NS6detail15normal_iteratorINSA_10device_ptrIfEEEEPS6_SG_NS0_5tupleIJSF_S6_EEENSH_IJSG_SG_EEES6_PlJNSB_9not_fun_tI7is_evenIfEEEEEE10hipError_tPvRmT3_T4_T5_T6_T7_T9_mT8_P12ihipStream_tbDpT10_ENKUlT_T0_E_clISt17integral_constantIbLb1EES17_IbLb0EEEEDaS13_S14_EUlS13_E_NS1_11comp_targetILNS1_3genE3ELNS1_11target_archE908ELNS1_3gpuE7ELNS1_3repE0EEENS1_30default_config_static_selectorELNS0_4arch9wavefront6targetE0EEEvT1_.has_indirect_call, 0
	.section	.AMDGPU.csdata,"",@progbits
; Kernel info:
; codeLenInByte = 0
; TotalNumSgprs: 0
; NumVgprs: 0
; ScratchSize: 0
; MemoryBound: 0
; FloatMode: 240
; IeeeMode: 1
; LDSByteSize: 0 bytes/workgroup (compile time only)
; SGPRBlocks: 0
; VGPRBlocks: 0
; NumSGPRsForWavesPerEU: 1
; NumVGPRsForWavesPerEU: 1
; Occupancy: 16
; WaveLimiterHint : 0
; COMPUTE_PGM_RSRC2:SCRATCH_EN: 0
; COMPUTE_PGM_RSRC2:USER_SGPR: 2
; COMPUTE_PGM_RSRC2:TRAP_HANDLER: 0
; COMPUTE_PGM_RSRC2:TGID_X_EN: 1
; COMPUTE_PGM_RSRC2:TGID_Y_EN: 0
; COMPUTE_PGM_RSRC2:TGID_Z_EN: 0
; COMPUTE_PGM_RSRC2:TIDIG_COMP_CNT: 0
	.section	.text._ZN7rocprim17ROCPRIM_400000_NS6detail17trampoline_kernelINS0_14default_configENS1_25partition_config_selectorILNS1_17partition_subalgoE6EfNS0_10empty_typeEbEEZZNS1_14partition_implILS5_6ELb0ES3_mN6thrust23THRUST_200600_302600_NS6detail15normal_iteratorINSA_10device_ptrIfEEEEPS6_SG_NS0_5tupleIJSF_S6_EEENSH_IJSG_SG_EEES6_PlJNSB_9not_fun_tI7is_evenIfEEEEEE10hipError_tPvRmT3_T4_T5_T6_T7_T9_mT8_P12ihipStream_tbDpT10_ENKUlT_T0_E_clISt17integral_constantIbLb1EES17_IbLb0EEEEDaS13_S14_EUlS13_E_NS1_11comp_targetILNS1_3genE2ELNS1_11target_archE906ELNS1_3gpuE6ELNS1_3repE0EEENS1_30default_config_static_selectorELNS0_4arch9wavefront6targetE0EEEvT1_,"axG",@progbits,_ZN7rocprim17ROCPRIM_400000_NS6detail17trampoline_kernelINS0_14default_configENS1_25partition_config_selectorILNS1_17partition_subalgoE6EfNS0_10empty_typeEbEEZZNS1_14partition_implILS5_6ELb0ES3_mN6thrust23THRUST_200600_302600_NS6detail15normal_iteratorINSA_10device_ptrIfEEEEPS6_SG_NS0_5tupleIJSF_S6_EEENSH_IJSG_SG_EEES6_PlJNSB_9not_fun_tI7is_evenIfEEEEEE10hipError_tPvRmT3_T4_T5_T6_T7_T9_mT8_P12ihipStream_tbDpT10_ENKUlT_T0_E_clISt17integral_constantIbLb1EES17_IbLb0EEEEDaS13_S14_EUlS13_E_NS1_11comp_targetILNS1_3genE2ELNS1_11target_archE906ELNS1_3gpuE6ELNS1_3repE0EEENS1_30default_config_static_selectorELNS0_4arch9wavefront6targetE0EEEvT1_,comdat
	.protected	_ZN7rocprim17ROCPRIM_400000_NS6detail17trampoline_kernelINS0_14default_configENS1_25partition_config_selectorILNS1_17partition_subalgoE6EfNS0_10empty_typeEbEEZZNS1_14partition_implILS5_6ELb0ES3_mN6thrust23THRUST_200600_302600_NS6detail15normal_iteratorINSA_10device_ptrIfEEEEPS6_SG_NS0_5tupleIJSF_S6_EEENSH_IJSG_SG_EEES6_PlJNSB_9not_fun_tI7is_evenIfEEEEEE10hipError_tPvRmT3_T4_T5_T6_T7_T9_mT8_P12ihipStream_tbDpT10_ENKUlT_T0_E_clISt17integral_constantIbLb1EES17_IbLb0EEEEDaS13_S14_EUlS13_E_NS1_11comp_targetILNS1_3genE2ELNS1_11target_archE906ELNS1_3gpuE6ELNS1_3repE0EEENS1_30default_config_static_selectorELNS0_4arch9wavefront6targetE0EEEvT1_ ; -- Begin function _ZN7rocprim17ROCPRIM_400000_NS6detail17trampoline_kernelINS0_14default_configENS1_25partition_config_selectorILNS1_17partition_subalgoE6EfNS0_10empty_typeEbEEZZNS1_14partition_implILS5_6ELb0ES3_mN6thrust23THRUST_200600_302600_NS6detail15normal_iteratorINSA_10device_ptrIfEEEEPS6_SG_NS0_5tupleIJSF_S6_EEENSH_IJSG_SG_EEES6_PlJNSB_9not_fun_tI7is_evenIfEEEEEE10hipError_tPvRmT3_T4_T5_T6_T7_T9_mT8_P12ihipStream_tbDpT10_ENKUlT_T0_E_clISt17integral_constantIbLb1EES17_IbLb0EEEEDaS13_S14_EUlS13_E_NS1_11comp_targetILNS1_3genE2ELNS1_11target_archE906ELNS1_3gpuE6ELNS1_3repE0EEENS1_30default_config_static_selectorELNS0_4arch9wavefront6targetE0EEEvT1_
	.globl	_ZN7rocprim17ROCPRIM_400000_NS6detail17trampoline_kernelINS0_14default_configENS1_25partition_config_selectorILNS1_17partition_subalgoE6EfNS0_10empty_typeEbEEZZNS1_14partition_implILS5_6ELb0ES3_mN6thrust23THRUST_200600_302600_NS6detail15normal_iteratorINSA_10device_ptrIfEEEEPS6_SG_NS0_5tupleIJSF_S6_EEENSH_IJSG_SG_EEES6_PlJNSB_9not_fun_tI7is_evenIfEEEEEE10hipError_tPvRmT3_T4_T5_T6_T7_T9_mT8_P12ihipStream_tbDpT10_ENKUlT_T0_E_clISt17integral_constantIbLb1EES17_IbLb0EEEEDaS13_S14_EUlS13_E_NS1_11comp_targetILNS1_3genE2ELNS1_11target_archE906ELNS1_3gpuE6ELNS1_3repE0EEENS1_30default_config_static_selectorELNS0_4arch9wavefront6targetE0EEEvT1_
	.p2align	8
	.type	_ZN7rocprim17ROCPRIM_400000_NS6detail17trampoline_kernelINS0_14default_configENS1_25partition_config_selectorILNS1_17partition_subalgoE6EfNS0_10empty_typeEbEEZZNS1_14partition_implILS5_6ELb0ES3_mN6thrust23THRUST_200600_302600_NS6detail15normal_iteratorINSA_10device_ptrIfEEEEPS6_SG_NS0_5tupleIJSF_S6_EEENSH_IJSG_SG_EEES6_PlJNSB_9not_fun_tI7is_evenIfEEEEEE10hipError_tPvRmT3_T4_T5_T6_T7_T9_mT8_P12ihipStream_tbDpT10_ENKUlT_T0_E_clISt17integral_constantIbLb1EES17_IbLb0EEEEDaS13_S14_EUlS13_E_NS1_11comp_targetILNS1_3genE2ELNS1_11target_archE906ELNS1_3gpuE6ELNS1_3repE0EEENS1_30default_config_static_selectorELNS0_4arch9wavefront6targetE0EEEvT1_,@function
_ZN7rocprim17ROCPRIM_400000_NS6detail17trampoline_kernelINS0_14default_configENS1_25partition_config_selectorILNS1_17partition_subalgoE6EfNS0_10empty_typeEbEEZZNS1_14partition_implILS5_6ELb0ES3_mN6thrust23THRUST_200600_302600_NS6detail15normal_iteratorINSA_10device_ptrIfEEEEPS6_SG_NS0_5tupleIJSF_S6_EEENSH_IJSG_SG_EEES6_PlJNSB_9not_fun_tI7is_evenIfEEEEEE10hipError_tPvRmT3_T4_T5_T6_T7_T9_mT8_P12ihipStream_tbDpT10_ENKUlT_T0_E_clISt17integral_constantIbLb1EES17_IbLb0EEEEDaS13_S14_EUlS13_E_NS1_11comp_targetILNS1_3genE2ELNS1_11target_archE906ELNS1_3gpuE6ELNS1_3repE0EEENS1_30default_config_static_selectorELNS0_4arch9wavefront6targetE0EEEvT1_: ; @_ZN7rocprim17ROCPRIM_400000_NS6detail17trampoline_kernelINS0_14default_configENS1_25partition_config_selectorILNS1_17partition_subalgoE6EfNS0_10empty_typeEbEEZZNS1_14partition_implILS5_6ELb0ES3_mN6thrust23THRUST_200600_302600_NS6detail15normal_iteratorINSA_10device_ptrIfEEEEPS6_SG_NS0_5tupleIJSF_S6_EEENSH_IJSG_SG_EEES6_PlJNSB_9not_fun_tI7is_evenIfEEEEEE10hipError_tPvRmT3_T4_T5_T6_T7_T9_mT8_P12ihipStream_tbDpT10_ENKUlT_T0_E_clISt17integral_constantIbLb1EES17_IbLb0EEEEDaS13_S14_EUlS13_E_NS1_11comp_targetILNS1_3genE2ELNS1_11target_archE906ELNS1_3gpuE6ELNS1_3repE0EEENS1_30default_config_static_selectorELNS0_4arch9wavefront6targetE0EEEvT1_
; %bb.0:
	.section	.rodata,"a",@progbits
	.p2align	6, 0x0
	.amdhsa_kernel _ZN7rocprim17ROCPRIM_400000_NS6detail17trampoline_kernelINS0_14default_configENS1_25partition_config_selectorILNS1_17partition_subalgoE6EfNS0_10empty_typeEbEEZZNS1_14partition_implILS5_6ELb0ES3_mN6thrust23THRUST_200600_302600_NS6detail15normal_iteratorINSA_10device_ptrIfEEEEPS6_SG_NS0_5tupleIJSF_S6_EEENSH_IJSG_SG_EEES6_PlJNSB_9not_fun_tI7is_evenIfEEEEEE10hipError_tPvRmT3_T4_T5_T6_T7_T9_mT8_P12ihipStream_tbDpT10_ENKUlT_T0_E_clISt17integral_constantIbLb1EES17_IbLb0EEEEDaS13_S14_EUlS13_E_NS1_11comp_targetILNS1_3genE2ELNS1_11target_archE906ELNS1_3gpuE6ELNS1_3repE0EEENS1_30default_config_static_selectorELNS0_4arch9wavefront6targetE0EEEvT1_
		.amdhsa_group_segment_fixed_size 0
		.amdhsa_private_segment_fixed_size 0
		.amdhsa_kernarg_size 112
		.amdhsa_user_sgpr_count 2
		.amdhsa_user_sgpr_dispatch_ptr 0
		.amdhsa_user_sgpr_queue_ptr 0
		.amdhsa_user_sgpr_kernarg_segment_ptr 1
		.amdhsa_user_sgpr_dispatch_id 0
		.amdhsa_user_sgpr_private_segment_size 0
		.amdhsa_wavefront_size32 1
		.amdhsa_uses_dynamic_stack 0
		.amdhsa_enable_private_segment 0
		.amdhsa_system_sgpr_workgroup_id_x 1
		.amdhsa_system_sgpr_workgroup_id_y 0
		.amdhsa_system_sgpr_workgroup_id_z 0
		.amdhsa_system_sgpr_workgroup_info 0
		.amdhsa_system_vgpr_workitem_id 0
		.amdhsa_next_free_vgpr 1
		.amdhsa_next_free_sgpr 1
		.amdhsa_reserve_vcc 0
		.amdhsa_float_round_mode_32 0
		.amdhsa_float_round_mode_16_64 0
		.amdhsa_float_denorm_mode_32 3
		.amdhsa_float_denorm_mode_16_64 3
		.amdhsa_fp16_overflow 0
		.amdhsa_workgroup_processor_mode 1
		.amdhsa_memory_ordered 1
		.amdhsa_forward_progress 1
		.amdhsa_inst_pref_size 0
		.amdhsa_round_robin_scheduling 0
		.amdhsa_exception_fp_ieee_invalid_op 0
		.amdhsa_exception_fp_denorm_src 0
		.amdhsa_exception_fp_ieee_div_zero 0
		.amdhsa_exception_fp_ieee_overflow 0
		.amdhsa_exception_fp_ieee_underflow 0
		.amdhsa_exception_fp_ieee_inexact 0
		.amdhsa_exception_int_div_zero 0
	.end_amdhsa_kernel
	.section	.text._ZN7rocprim17ROCPRIM_400000_NS6detail17trampoline_kernelINS0_14default_configENS1_25partition_config_selectorILNS1_17partition_subalgoE6EfNS0_10empty_typeEbEEZZNS1_14partition_implILS5_6ELb0ES3_mN6thrust23THRUST_200600_302600_NS6detail15normal_iteratorINSA_10device_ptrIfEEEEPS6_SG_NS0_5tupleIJSF_S6_EEENSH_IJSG_SG_EEES6_PlJNSB_9not_fun_tI7is_evenIfEEEEEE10hipError_tPvRmT3_T4_T5_T6_T7_T9_mT8_P12ihipStream_tbDpT10_ENKUlT_T0_E_clISt17integral_constantIbLb1EES17_IbLb0EEEEDaS13_S14_EUlS13_E_NS1_11comp_targetILNS1_3genE2ELNS1_11target_archE906ELNS1_3gpuE6ELNS1_3repE0EEENS1_30default_config_static_selectorELNS0_4arch9wavefront6targetE0EEEvT1_,"axG",@progbits,_ZN7rocprim17ROCPRIM_400000_NS6detail17trampoline_kernelINS0_14default_configENS1_25partition_config_selectorILNS1_17partition_subalgoE6EfNS0_10empty_typeEbEEZZNS1_14partition_implILS5_6ELb0ES3_mN6thrust23THRUST_200600_302600_NS6detail15normal_iteratorINSA_10device_ptrIfEEEEPS6_SG_NS0_5tupleIJSF_S6_EEENSH_IJSG_SG_EEES6_PlJNSB_9not_fun_tI7is_evenIfEEEEEE10hipError_tPvRmT3_T4_T5_T6_T7_T9_mT8_P12ihipStream_tbDpT10_ENKUlT_T0_E_clISt17integral_constantIbLb1EES17_IbLb0EEEEDaS13_S14_EUlS13_E_NS1_11comp_targetILNS1_3genE2ELNS1_11target_archE906ELNS1_3gpuE6ELNS1_3repE0EEENS1_30default_config_static_selectorELNS0_4arch9wavefront6targetE0EEEvT1_,comdat
.Lfunc_end585:
	.size	_ZN7rocprim17ROCPRIM_400000_NS6detail17trampoline_kernelINS0_14default_configENS1_25partition_config_selectorILNS1_17partition_subalgoE6EfNS0_10empty_typeEbEEZZNS1_14partition_implILS5_6ELb0ES3_mN6thrust23THRUST_200600_302600_NS6detail15normal_iteratorINSA_10device_ptrIfEEEEPS6_SG_NS0_5tupleIJSF_S6_EEENSH_IJSG_SG_EEES6_PlJNSB_9not_fun_tI7is_evenIfEEEEEE10hipError_tPvRmT3_T4_T5_T6_T7_T9_mT8_P12ihipStream_tbDpT10_ENKUlT_T0_E_clISt17integral_constantIbLb1EES17_IbLb0EEEEDaS13_S14_EUlS13_E_NS1_11comp_targetILNS1_3genE2ELNS1_11target_archE906ELNS1_3gpuE6ELNS1_3repE0EEENS1_30default_config_static_selectorELNS0_4arch9wavefront6targetE0EEEvT1_, .Lfunc_end585-_ZN7rocprim17ROCPRIM_400000_NS6detail17trampoline_kernelINS0_14default_configENS1_25partition_config_selectorILNS1_17partition_subalgoE6EfNS0_10empty_typeEbEEZZNS1_14partition_implILS5_6ELb0ES3_mN6thrust23THRUST_200600_302600_NS6detail15normal_iteratorINSA_10device_ptrIfEEEEPS6_SG_NS0_5tupleIJSF_S6_EEENSH_IJSG_SG_EEES6_PlJNSB_9not_fun_tI7is_evenIfEEEEEE10hipError_tPvRmT3_T4_T5_T6_T7_T9_mT8_P12ihipStream_tbDpT10_ENKUlT_T0_E_clISt17integral_constantIbLb1EES17_IbLb0EEEEDaS13_S14_EUlS13_E_NS1_11comp_targetILNS1_3genE2ELNS1_11target_archE906ELNS1_3gpuE6ELNS1_3repE0EEENS1_30default_config_static_selectorELNS0_4arch9wavefront6targetE0EEEvT1_
                                        ; -- End function
	.set _ZN7rocprim17ROCPRIM_400000_NS6detail17trampoline_kernelINS0_14default_configENS1_25partition_config_selectorILNS1_17partition_subalgoE6EfNS0_10empty_typeEbEEZZNS1_14partition_implILS5_6ELb0ES3_mN6thrust23THRUST_200600_302600_NS6detail15normal_iteratorINSA_10device_ptrIfEEEEPS6_SG_NS0_5tupleIJSF_S6_EEENSH_IJSG_SG_EEES6_PlJNSB_9not_fun_tI7is_evenIfEEEEEE10hipError_tPvRmT3_T4_T5_T6_T7_T9_mT8_P12ihipStream_tbDpT10_ENKUlT_T0_E_clISt17integral_constantIbLb1EES17_IbLb0EEEEDaS13_S14_EUlS13_E_NS1_11comp_targetILNS1_3genE2ELNS1_11target_archE906ELNS1_3gpuE6ELNS1_3repE0EEENS1_30default_config_static_selectorELNS0_4arch9wavefront6targetE0EEEvT1_.num_vgpr, 0
	.set _ZN7rocprim17ROCPRIM_400000_NS6detail17trampoline_kernelINS0_14default_configENS1_25partition_config_selectorILNS1_17partition_subalgoE6EfNS0_10empty_typeEbEEZZNS1_14partition_implILS5_6ELb0ES3_mN6thrust23THRUST_200600_302600_NS6detail15normal_iteratorINSA_10device_ptrIfEEEEPS6_SG_NS0_5tupleIJSF_S6_EEENSH_IJSG_SG_EEES6_PlJNSB_9not_fun_tI7is_evenIfEEEEEE10hipError_tPvRmT3_T4_T5_T6_T7_T9_mT8_P12ihipStream_tbDpT10_ENKUlT_T0_E_clISt17integral_constantIbLb1EES17_IbLb0EEEEDaS13_S14_EUlS13_E_NS1_11comp_targetILNS1_3genE2ELNS1_11target_archE906ELNS1_3gpuE6ELNS1_3repE0EEENS1_30default_config_static_selectorELNS0_4arch9wavefront6targetE0EEEvT1_.num_agpr, 0
	.set _ZN7rocprim17ROCPRIM_400000_NS6detail17trampoline_kernelINS0_14default_configENS1_25partition_config_selectorILNS1_17partition_subalgoE6EfNS0_10empty_typeEbEEZZNS1_14partition_implILS5_6ELb0ES3_mN6thrust23THRUST_200600_302600_NS6detail15normal_iteratorINSA_10device_ptrIfEEEEPS6_SG_NS0_5tupleIJSF_S6_EEENSH_IJSG_SG_EEES6_PlJNSB_9not_fun_tI7is_evenIfEEEEEE10hipError_tPvRmT3_T4_T5_T6_T7_T9_mT8_P12ihipStream_tbDpT10_ENKUlT_T0_E_clISt17integral_constantIbLb1EES17_IbLb0EEEEDaS13_S14_EUlS13_E_NS1_11comp_targetILNS1_3genE2ELNS1_11target_archE906ELNS1_3gpuE6ELNS1_3repE0EEENS1_30default_config_static_selectorELNS0_4arch9wavefront6targetE0EEEvT1_.numbered_sgpr, 0
	.set _ZN7rocprim17ROCPRIM_400000_NS6detail17trampoline_kernelINS0_14default_configENS1_25partition_config_selectorILNS1_17partition_subalgoE6EfNS0_10empty_typeEbEEZZNS1_14partition_implILS5_6ELb0ES3_mN6thrust23THRUST_200600_302600_NS6detail15normal_iteratorINSA_10device_ptrIfEEEEPS6_SG_NS0_5tupleIJSF_S6_EEENSH_IJSG_SG_EEES6_PlJNSB_9not_fun_tI7is_evenIfEEEEEE10hipError_tPvRmT3_T4_T5_T6_T7_T9_mT8_P12ihipStream_tbDpT10_ENKUlT_T0_E_clISt17integral_constantIbLb1EES17_IbLb0EEEEDaS13_S14_EUlS13_E_NS1_11comp_targetILNS1_3genE2ELNS1_11target_archE906ELNS1_3gpuE6ELNS1_3repE0EEENS1_30default_config_static_selectorELNS0_4arch9wavefront6targetE0EEEvT1_.num_named_barrier, 0
	.set _ZN7rocprim17ROCPRIM_400000_NS6detail17trampoline_kernelINS0_14default_configENS1_25partition_config_selectorILNS1_17partition_subalgoE6EfNS0_10empty_typeEbEEZZNS1_14partition_implILS5_6ELb0ES3_mN6thrust23THRUST_200600_302600_NS6detail15normal_iteratorINSA_10device_ptrIfEEEEPS6_SG_NS0_5tupleIJSF_S6_EEENSH_IJSG_SG_EEES6_PlJNSB_9not_fun_tI7is_evenIfEEEEEE10hipError_tPvRmT3_T4_T5_T6_T7_T9_mT8_P12ihipStream_tbDpT10_ENKUlT_T0_E_clISt17integral_constantIbLb1EES17_IbLb0EEEEDaS13_S14_EUlS13_E_NS1_11comp_targetILNS1_3genE2ELNS1_11target_archE906ELNS1_3gpuE6ELNS1_3repE0EEENS1_30default_config_static_selectorELNS0_4arch9wavefront6targetE0EEEvT1_.private_seg_size, 0
	.set _ZN7rocprim17ROCPRIM_400000_NS6detail17trampoline_kernelINS0_14default_configENS1_25partition_config_selectorILNS1_17partition_subalgoE6EfNS0_10empty_typeEbEEZZNS1_14partition_implILS5_6ELb0ES3_mN6thrust23THRUST_200600_302600_NS6detail15normal_iteratorINSA_10device_ptrIfEEEEPS6_SG_NS0_5tupleIJSF_S6_EEENSH_IJSG_SG_EEES6_PlJNSB_9not_fun_tI7is_evenIfEEEEEE10hipError_tPvRmT3_T4_T5_T6_T7_T9_mT8_P12ihipStream_tbDpT10_ENKUlT_T0_E_clISt17integral_constantIbLb1EES17_IbLb0EEEEDaS13_S14_EUlS13_E_NS1_11comp_targetILNS1_3genE2ELNS1_11target_archE906ELNS1_3gpuE6ELNS1_3repE0EEENS1_30default_config_static_selectorELNS0_4arch9wavefront6targetE0EEEvT1_.uses_vcc, 0
	.set _ZN7rocprim17ROCPRIM_400000_NS6detail17trampoline_kernelINS0_14default_configENS1_25partition_config_selectorILNS1_17partition_subalgoE6EfNS0_10empty_typeEbEEZZNS1_14partition_implILS5_6ELb0ES3_mN6thrust23THRUST_200600_302600_NS6detail15normal_iteratorINSA_10device_ptrIfEEEEPS6_SG_NS0_5tupleIJSF_S6_EEENSH_IJSG_SG_EEES6_PlJNSB_9not_fun_tI7is_evenIfEEEEEE10hipError_tPvRmT3_T4_T5_T6_T7_T9_mT8_P12ihipStream_tbDpT10_ENKUlT_T0_E_clISt17integral_constantIbLb1EES17_IbLb0EEEEDaS13_S14_EUlS13_E_NS1_11comp_targetILNS1_3genE2ELNS1_11target_archE906ELNS1_3gpuE6ELNS1_3repE0EEENS1_30default_config_static_selectorELNS0_4arch9wavefront6targetE0EEEvT1_.uses_flat_scratch, 0
	.set _ZN7rocprim17ROCPRIM_400000_NS6detail17trampoline_kernelINS0_14default_configENS1_25partition_config_selectorILNS1_17partition_subalgoE6EfNS0_10empty_typeEbEEZZNS1_14partition_implILS5_6ELb0ES3_mN6thrust23THRUST_200600_302600_NS6detail15normal_iteratorINSA_10device_ptrIfEEEEPS6_SG_NS0_5tupleIJSF_S6_EEENSH_IJSG_SG_EEES6_PlJNSB_9not_fun_tI7is_evenIfEEEEEE10hipError_tPvRmT3_T4_T5_T6_T7_T9_mT8_P12ihipStream_tbDpT10_ENKUlT_T0_E_clISt17integral_constantIbLb1EES17_IbLb0EEEEDaS13_S14_EUlS13_E_NS1_11comp_targetILNS1_3genE2ELNS1_11target_archE906ELNS1_3gpuE6ELNS1_3repE0EEENS1_30default_config_static_selectorELNS0_4arch9wavefront6targetE0EEEvT1_.has_dyn_sized_stack, 0
	.set _ZN7rocprim17ROCPRIM_400000_NS6detail17trampoline_kernelINS0_14default_configENS1_25partition_config_selectorILNS1_17partition_subalgoE6EfNS0_10empty_typeEbEEZZNS1_14partition_implILS5_6ELb0ES3_mN6thrust23THRUST_200600_302600_NS6detail15normal_iteratorINSA_10device_ptrIfEEEEPS6_SG_NS0_5tupleIJSF_S6_EEENSH_IJSG_SG_EEES6_PlJNSB_9not_fun_tI7is_evenIfEEEEEE10hipError_tPvRmT3_T4_T5_T6_T7_T9_mT8_P12ihipStream_tbDpT10_ENKUlT_T0_E_clISt17integral_constantIbLb1EES17_IbLb0EEEEDaS13_S14_EUlS13_E_NS1_11comp_targetILNS1_3genE2ELNS1_11target_archE906ELNS1_3gpuE6ELNS1_3repE0EEENS1_30default_config_static_selectorELNS0_4arch9wavefront6targetE0EEEvT1_.has_recursion, 0
	.set _ZN7rocprim17ROCPRIM_400000_NS6detail17trampoline_kernelINS0_14default_configENS1_25partition_config_selectorILNS1_17partition_subalgoE6EfNS0_10empty_typeEbEEZZNS1_14partition_implILS5_6ELb0ES3_mN6thrust23THRUST_200600_302600_NS6detail15normal_iteratorINSA_10device_ptrIfEEEEPS6_SG_NS0_5tupleIJSF_S6_EEENSH_IJSG_SG_EEES6_PlJNSB_9not_fun_tI7is_evenIfEEEEEE10hipError_tPvRmT3_T4_T5_T6_T7_T9_mT8_P12ihipStream_tbDpT10_ENKUlT_T0_E_clISt17integral_constantIbLb1EES17_IbLb0EEEEDaS13_S14_EUlS13_E_NS1_11comp_targetILNS1_3genE2ELNS1_11target_archE906ELNS1_3gpuE6ELNS1_3repE0EEENS1_30default_config_static_selectorELNS0_4arch9wavefront6targetE0EEEvT1_.has_indirect_call, 0
	.section	.AMDGPU.csdata,"",@progbits
; Kernel info:
; codeLenInByte = 0
; TotalNumSgprs: 0
; NumVgprs: 0
; ScratchSize: 0
; MemoryBound: 0
; FloatMode: 240
; IeeeMode: 1
; LDSByteSize: 0 bytes/workgroup (compile time only)
; SGPRBlocks: 0
; VGPRBlocks: 0
; NumSGPRsForWavesPerEU: 1
; NumVGPRsForWavesPerEU: 1
; Occupancy: 16
; WaveLimiterHint : 0
; COMPUTE_PGM_RSRC2:SCRATCH_EN: 0
; COMPUTE_PGM_RSRC2:USER_SGPR: 2
; COMPUTE_PGM_RSRC2:TRAP_HANDLER: 0
; COMPUTE_PGM_RSRC2:TGID_X_EN: 1
; COMPUTE_PGM_RSRC2:TGID_Y_EN: 0
; COMPUTE_PGM_RSRC2:TGID_Z_EN: 0
; COMPUTE_PGM_RSRC2:TIDIG_COMP_CNT: 0
	.section	.text._ZN7rocprim17ROCPRIM_400000_NS6detail17trampoline_kernelINS0_14default_configENS1_25partition_config_selectorILNS1_17partition_subalgoE6EfNS0_10empty_typeEbEEZZNS1_14partition_implILS5_6ELb0ES3_mN6thrust23THRUST_200600_302600_NS6detail15normal_iteratorINSA_10device_ptrIfEEEEPS6_SG_NS0_5tupleIJSF_S6_EEENSH_IJSG_SG_EEES6_PlJNSB_9not_fun_tI7is_evenIfEEEEEE10hipError_tPvRmT3_T4_T5_T6_T7_T9_mT8_P12ihipStream_tbDpT10_ENKUlT_T0_E_clISt17integral_constantIbLb1EES17_IbLb0EEEEDaS13_S14_EUlS13_E_NS1_11comp_targetILNS1_3genE10ELNS1_11target_archE1200ELNS1_3gpuE4ELNS1_3repE0EEENS1_30default_config_static_selectorELNS0_4arch9wavefront6targetE0EEEvT1_,"axG",@progbits,_ZN7rocprim17ROCPRIM_400000_NS6detail17trampoline_kernelINS0_14default_configENS1_25partition_config_selectorILNS1_17partition_subalgoE6EfNS0_10empty_typeEbEEZZNS1_14partition_implILS5_6ELb0ES3_mN6thrust23THRUST_200600_302600_NS6detail15normal_iteratorINSA_10device_ptrIfEEEEPS6_SG_NS0_5tupleIJSF_S6_EEENSH_IJSG_SG_EEES6_PlJNSB_9not_fun_tI7is_evenIfEEEEEE10hipError_tPvRmT3_T4_T5_T6_T7_T9_mT8_P12ihipStream_tbDpT10_ENKUlT_T0_E_clISt17integral_constantIbLb1EES17_IbLb0EEEEDaS13_S14_EUlS13_E_NS1_11comp_targetILNS1_3genE10ELNS1_11target_archE1200ELNS1_3gpuE4ELNS1_3repE0EEENS1_30default_config_static_selectorELNS0_4arch9wavefront6targetE0EEEvT1_,comdat
	.protected	_ZN7rocprim17ROCPRIM_400000_NS6detail17trampoline_kernelINS0_14default_configENS1_25partition_config_selectorILNS1_17partition_subalgoE6EfNS0_10empty_typeEbEEZZNS1_14partition_implILS5_6ELb0ES3_mN6thrust23THRUST_200600_302600_NS6detail15normal_iteratorINSA_10device_ptrIfEEEEPS6_SG_NS0_5tupleIJSF_S6_EEENSH_IJSG_SG_EEES6_PlJNSB_9not_fun_tI7is_evenIfEEEEEE10hipError_tPvRmT3_T4_T5_T6_T7_T9_mT8_P12ihipStream_tbDpT10_ENKUlT_T0_E_clISt17integral_constantIbLb1EES17_IbLb0EEEEDaS13_S14_EUlS13_E_NS1_11comp_targetILNS1_3genE10ELNS1_11target_archE1200ELNS1_3gpuE4ELNS1_3repE0EEENS1_30default_config_static_selectorELNS0_4arch9wavefront6targetE0EEEvT1_ ; -- Begin function _ZN7rocprim17ROCPRIM_400000_NS6detail17trampoline_kernelINS0_14default_configENS1_25partition_config_selectorILNS1_17partition_subalgoE6EfNS0_10empty_typeEbEEZZNS1_14partition_implILS5_6ELb0ES3_mN6thrust23THRUST_200600_302600_NS6detail15normal_iteratorINSA_10device_ptrIfEEEEPS6_SG_NS0_5tupleIJSF_S6_EEENSH_IJSG_SG_EEES6_PlJNSB_9not_fun_tI7is_evenIfEEEEEE10hipError_tPvRmT3_T4_T5_T6_T7_T9_mT8_P12ihipStream_tbDpT10_ENKUlT_T0_E_clISt17integral_constantIbLb1EES17_IbLb0EEEEDaS13_S14_EUlS13_E_NS1_11comp_targetILNS1_3genE10ELNS1_11target_archE1200ELNS1_3gpuE4ELNS1_3repE0EEENS1_30default_config_static_selectorELNS0_4arch9wavefront6targetE0EEEvT1_
	.globl	_ZN7rocprim17ROCPRIM_400000_NS6detail17trampoline_kernelINS0_14default_configENS1_25partition_config_selectorILNS1_17partition_subalgoE6EfNS0_10empty_typeEbEEZZNS1_14partition_implILS5_6ELb0ES3_mN6thrust23THRUST_200600_302600_NS6detail15normal_iteratorINSA_10device_ptrIfEEEEPS6_SG_NS0_5tupleIJSF_S6_EEENSH_IJSG_SG_EEES6_PlJNSB_9not_fun_tI7is_evenIfEEEEEE10hipError_tPvRmT3_T4_T5_T6_T7_T9_mT8_P12ihipStream_tbDpT10_ENKUlT_T0_E_clISt17integral_constantIbLb1EES17_IbLb0EEEEDaS13_S14_EUlS13_E_NS1_11comp_targetILNS1_3genE10ELNS1_11target_archE1200ELNS1_3gpuE4ELNS1_3repE0EEENS1_30default_config_static_selectorELNS0_4arch9wavefront6targetE0EEEvT1_
	.p2align	8
	.type	_ZN7rocprim17ROCPRIM_400000_NS6detail17trampoline_kernelINS0_14default_configENS1_25partition_config_selectorILNS1_17partition_subalgoE6EfNS0_10empty_typeEbEEZZNS1_14partition_implILS5_6ELb0ES3_mN6thrust23THRUST_200600_302600_NS6detail15normal_iteratorINSA_10device_ptrIfEEEEPS6_SG_NS0_5tupleIJSF_S6_EEENSH_IJSG_SG_EEES6_PlJNSB_9not_fun_tI7is_evenIfEEEEEE10hipError_tPvRmT3_T4_T5_T6_T7_T9_mT8_P12ihipStream_tbDpT10_ENKUlT_T0_E_clISt17integral_constantIbLb1EES17_IbLb0EEEEDaS13_S14_EUlS13_E_NS1_11comp_targetILNS1_3genE10ELNS1_11target_archE1200ELNS1_3gpuE4ELNS1_3repE0EEENS1_30default_config_static_selectorELNS0_4arch9wavefront6targetE0EEEvT1_,@function
_ZN7rocprim17ROCPRIM_400000_NS6detail17trampoline_kernelINS0_14default_configENS1_25partition_config_selectorILNS1_17partition_subalgoE6EfNS0_10empty_typeEbEEZZNS1_14partition_implILS5_6ELb0ES3_mN6thrust23THRUST_200600_302600_NS6detail15normal_iteratorINSA_10device_ptrIfEEEEPS6_SG_NS0_5tupleIJSF_S6_EEENSH_IJSG_SG_EEES6_PlJNSB_9not_fun_tI7is_evenIfEEEEEE10hipError_tPvRmT3_T4_T5_T6_T7_T9_mT8_P12ihipStream_tbDpT10_ENKUlT_T0_E_clISt17integral_constantIbLb1EES17_IbLb0EEEEDaS13_S14_EUlS13_E_NS1_11comp_targetILNS1_3genE10ELNS1_11target_archE1200ELNS1_3gpuE4ELNS1_3repE0EEENS1_30default_config_static_selectorELNS0_4arch9wavefront6targetE0EEEvT1_: ; @_ZN7rocprim17ROCPRIM_400000_NS6detail17trampoline_kernelINS0_14default_configENS1_25partition_config_selectorILNS1_17partition_subalgoE6EfNS0_10empty_typeEbEEZZNS1_14partition_implILS5_6ELb0ES3_mN6thrust23THRUST_200600_302600_NS6detail15normal_iteratorINSA_10device_ptrIfEEEEPS6_SG_NS0_5tupleIJSF_S6_EEENSH_IJSG_SG_EEES6_PlJNSB_9not_fun_tI7is_evenIfEEEEEE10hipError_tPvRmT3_T4_T5_T6_T7_T9_mT8_P12ihipStream_tbDpT10_ENKUlT_T0_E_clISt17integral_constantIbLb1EES17_IbLb0EEEEDaS13_S14_EUlS13_E_NS1_11comp_targetILNS1_3genE10ELNS1_11target_archE1200ELNS1_3gpuE4ELNS1_3repE0EEENS1_30default_config_static_selectorELNS0_4arch9wavefront6targetE0EEEvT1_
; %bb.0:
	s_endpgm
	.section	.rodata,"a",@progbits
	.p2align	6, 0x0
	.amdhsa_kernel _ZN7rocprim17ROCPRIM_400000_NS6detail17trampoline_kernelINS0_14default_configENS1_25partition_config_selectorILNS1_17partition_subalgoE6EfNS0_10empty_typeEbEEZZNS1_14partition_implILS5_6ELb0ES3_mN6thrust23THRUST_200600_302600_NS6detail15normal_iteratorINSA_10device_ptrIfEEEEPS6_SG_NS0_5tupleIJSF_S6_EEENSH_IJSG_SG_EEES6_PlJNSB_9not_fun_tI7is_evenIfEEEEEE10hipError_tPvRmT3_T4_T5_T6_T7_T9_mT8_P12ihipStream_tbDpT10_ENKUlT_T0_E_clISt17integral_constantIbLb1EES17_IbLb0EEEEDaS13_S14_EUlS13_E_NS1_11comp_targetILNS1_3genE10ELNS1_11target_archE1200ELNS1_3gpuE4ELNS1_3repE0EEENS1_30default_config_static_selectorELNS0_4arch9wavefront6targetE0EEEvT1_
		.amdhsa_group_segment_fixed_size 0
		.amdhsa_private_segment_fixed_size 0
		.amdhsa_kernarg_size 112
		.amdhsa_user_sgpr_count 2
		.amdhsa_user_sgpr_dispatch_ptr 0
		.amdhsa_user_sgpr_queue_ptr 0
		.amdhsa_user_sgpr_kernarg_segment_ptr 1
		.amdhsa_user_sgpr_dispatch_id 0
		.amdhsa_user_sgpr_private_segment_size 0
		.amdhsa_wavefront_size32 1
		.amdhsa_uses_dynamic_stack 0
		.amdhsa_enable_private_segment 0
		.amdhsa_system_sgpr_workgroup_id_x 1
		.amdhsa_system_sgpr_workgroup_id_y 0
		.amdhsa_system_sgpr_workgroup_id_z 0
		.amdhsa_system_sgpr_workgroup_info 0
		.amdhsa_system_vgpr_workitem_id 0
		.amdhsa_next_free_vgpr 1
		.amdhsa_next_free_sgpr 1
		.amdhsa_reserve_vcc 0
		.amdhsa_float_round_mode_32 0
		.amdhsa_float_round_mode_16_64 0
		.amdhsa_float_denorm_mode_32 3
		.amdhsa_float_denorm_mode_16_64 3
		.amdhsa_fp16_overflow 0
		.amdhsa_workgroup_processor_mode 1
		.amdhsa_memory_ordered 1
		.amdhsa_forward_progress 1
		.amdhsa_inst_pref_size 1
		.amdhsa_round_robin_scheduling 0
		.amdhsa_exception_fp_ieee_invalid_op 0
		.amdhsa_exception_fp_denorm_src 0
		.amdhsa_exception_fp_ieee_div_zero 0
		.amdhsa_exception_fp_ieee_overflow 0
		.amdhsa_exception_fp_ieee_underflow 0
		.amdhsa_exception_fp_ieee_inexact 0
		.amdhsa_exception_int_div_zero 0
	.end_amdhsa_kernel
	.section	.text._ZN7rocprim17ROCPRIM_400000_NS6detail17trampoline_kernelINS0_14default_configENS1_25partition_config_selectorILNS1_17partition_subalgoE6EfNS0_10empty_typeEbEEZZNS1_14partition_implILS5_6ELb0ES3_mN6thrust23THRUST_200600_302600_NS6detail15normal_iteratorINSA_10device_ptrIfEEEEPS6_SG_NS0_5tupleIJSF_S6_EEENSH_IJSG_SG_EEES6_PlJNSB_9not_fun_tI7is_evenIfEEEEEE10hipError_tPvRmT3_T4_T5_T6_T7_T9_mT8_P12ihipStream_tbDpT10_ENKUlT_T0_E_clISt17integral_constantIbLb1EES17_IbLb0EEEEDaS13_S14_EUlS13_E_NS1_11comp_targetILNS1_3genE10ELNS1_11target_archE1200ELNS1_3gpuE4ELNS1_3repE0EEENS1_30default_config_static_selectorELNS0_4arch9wavefront6targetE0EEEvT1_,"axG",@progbits,_ZN7rocprim17ROCPRIM_400000_NS6detail17trampoline_kernelINS0_14default_configENS1_25partition_config_selectorILNS1_17partition_subalgoE6EfNS0_10empty_typeEbEEZZNS1_14partition_implILS5_6ELb0ES3_mN6thrust23THRUST_200600_302600_NS6detail15normal_iteratorINSA_10device_ptrIfEEEEPS6_SG_NS0_5tupleIJSF_S6_EEENSH_IJSG_SG_EEES6_PlJNSB_9not_fun_tI7is_evenIfEEEEEE10hipError_tPvRmT3_T4_T5_T6_T7_T9_mT8_P12ihipStream_tbDpT10_ENKUlT_T0_E_clISt17integral_constantIbLb1EES17_IbLb0EEEEDaS13_S14_EUlS13_E_NS1_11comp_targetILNS1_3genE10ELNS1_11target_archE1200ELNS1_3gpuE4ELNS1_3repE0EEENS1_30default_config_static_selectorELNS0_4arch9wavefront6targetE0EEEvT1_,comdat
.Lfunc_end586:
	.size	_ZN7rocprim17ROCPRIM_400000_NS6detail17trampoline_kernelINS0_14default_configENS1_25partition_config_selectorILNS1_17partition_subalgoE6EfNS0_10empty_typeEbEEZZNS1_14partition_implILS5_6ELb0ES3_mN6thrust23THRUST_200600_302600_NS6detail15normal_iteratorINSA_10device_ptrIfEEEEPS6_SG_NS0_5tupleIJSF_S6_EEENSH_IJSG_SG_EEES6_PlJNSB_9not_fun_tI7is_evenIfEEEEEE10hipError_tPvRmT3_T4_T5_T6_T7_T9_mT8_P12ihipStream_tbDpT10_ENKUlT_T0_E_clISt17integral_constantIbLb1EES17_IbLb0EEEEDaS13_S14_EUlS13_E_NS1_11comp_targetILNS1_3genE10ELNS1_11target_archE1200ELNS1_3gpuE4ELNS1_3repE0EEENS1_30default_config_static_selectorELNS0_4arch9wavefront6targetE0EEEvT1_, .Lfunc_end586-_ZN7rocprim17ROCPRIM_400000_NS6detail17trampoline_kernelINS0_14default_configENS1_25partition_config_selectorILNS1_17partition_subalgoE6EfNS0_10empty_typeEbEEZZNS1_14partition_implILS5_6ELb0ES3_mN6thrust23THRUST_200600_302600_NS6detail15normal_iteratorINSA_10device_ptrIfEEEEPS6_SG_NS0_5tupleIJSF_S6_EEENSH_IJSG_SG_EEES6_PlJNSB_9not_fun_tI7is_evenIfEEEEEE10hipError_tPvRmT3_T4_T5_T6_T7_T9_mT8_P12ihipStream_tbDpT10_ENKUlT_T0_E_clISt17integral_constantIbLb1EES17_IbLb0EEEEDaS13_S14_EUlS13_E_NS1_11comp_targetILNS1_3genE10ELNS1_11target_archE1200ELNS1_3gpuE4ELNS1_3repE0EEENS1_30default_config_static_selectorELNS0_4arch9wavefront6targetE0EEEvT1_
                                        ; -- End function
	.set _ZN7rocprim17ROCPRIM_400000_NS6detail17trampoline_kernelINS0_14default_configENS1_25partition_config_selectorILNS1_17partition_subalgoE6EfNS0_10empty_typeEbEEZZNS1_14partition_implILS5_6ELb0ES3_mN6thrust23THRUST_200600_302600_NS6detail15normal_iteratorINSA_10device_ptrIfEEEEPS6_SG_NS0_5tupleIJSF_S6_EEENSH_IJSG_SG_EEES6_PlJNSB_9not_fun_tI7is_evenIfEEEEEE10hipError_tPvRmT3_T4_T5_T6_T7_T9_mT8_P12ihipStream_tbDpT10_ENKUlT_T0_E_clISt17integral_constantIbLb1EES17_IbLb0EEEEDaS13_S14_EUlS13_E_NS1_11comp_targetILNS1_3genE10ELNS1_11target_archE1200ELNS1_3gpuE4ELNS1_3repE0EEENS1_30default_config_static_selectorELNS0_4arch9wavefront6targetE0EEEvT1_.num_vgpr, 0
	.set _ZN7rocprim17ROCPRIM_400000_NS6detail17trampoline_kernelINS0_14default_configENS1_25partition_config_selectorILNS1_17partition_subalgoE6EfNS0_10empty_typeEbEEZZNS1_14partition_implILS5_6ELb0ES3_mN6thrust23THRUST_200600_302600_NS6detail15normal_iteratorINSA_10device_ptrIfEEEEPS6_SG_NS0_5tupleIJSF_S6_EEENSH_IJSG_SG_EEES6_PlJNSB_9not_fun_tI7is_evenIfEEEEEE10hipError_tPvRmT3_T4_T5_T6_T7_T9_mT8_P12ihipStream_tbDpT10_ENKUlT_T0_E_clISt17integral_constantIbLb1EES17_IbLb0EEEEDaS13_S14_EUlS13_E_NS1_11comp_targetILNS1_3genE10ELNS1_11target_archE1200ELNS1_3gpuE4ELNS1_3repE0EEENS1_30default_config_static_selectorELNS0_4arch9wavefront6targetE0EEEvT1_.num_agpr, 0
	.set _ZN7rocprim17ROCPRIM_400000_NS6detail17trampoline_kernelINS0_14default_configENS1_25partition_config_selectorILNS1_17partition_subalgoE6EfNS0_10empty_typeEbEEZZNS1_14partition_implILS5_6ELb0ES3_mN6thrust23THRUST_200600_302600_NS6detail15normal_iteratorINSA_10device_ptrIfEEEEPS6_SG_NS0_5tupleIJSF_S6_EEENSH_IJSG_SG_EEES6_PlJNSB_9not_fun_tI7is_evenIfEEEEEE10hipError_tPvRmT3_T4_T5_T6_T7_T9_mT8_P12ihipStream_tbDpT10_ENKUlT_T0_E_clISt17integral_constantIbLb1EES17_IbLb0EEEEDaS13_S14_EUlS13_E_NS1_11comp_targetILNS1_3genE10ELNS1_11target_archE1200ELNS1_3gpuE4ELNS1_3repE0EEENS1_30default_config_static_selectorELNS0_4arch9wavefront6targetE0EEEvT1_.numbered_sgpr, 0
	.set _ZN7rocprim17ROCPRIM_400000_NS6detail17trampoline_kernelINS0_14default_configENS1_25partition_config_selectorILNS1_17partition_subalgoE6EfNS0_10empty_typeEbEEZZNS1_14partition_implILS5_6ELb0ES3_mN6thrust23THRUST_200600_302600_NS6detail15normal_iteratorINSA_10device_ptrIfEEEEPS6_SG_NS0_5tupleIJSF_S6_EEENSH_IJSG_SG_EEES6_PlJNSB_9not_fun_tI7is_evenIfEEEEEE10hipError_tPvRmT3_T4_T5_T6_T7_T9_mT8_P12ihipStream_tbDpT10_ENKUlT_T0_E_clISt17integral_constantIbLb1EES17_IbLb0EEEEDaS13_S14_EUlS13_E_NS1_11comp_targetILNS1_3genE10ELNS1_11target_archE1200ELNS1_3gpuE4ELNS1_3repE0EEENS1_30default_config_static_selectorELNS0_4arch9wavefront6targetE0EEEvT1_.num_named_barrier, 0
	.set _ZN7rocprim17ROCPRIM_400000_NS6detail17trampoline_kernelINS0_14default_configENS1_25partition_config_selectorILNS1_17partition_subalgoE6EfNS0_10empty_typeEbEEZZNS1_14partition_implILS5_6ELb0ES3_mN6thrust23THRUST_200600_302600_NS6detail15normal_iteratorINSA_10device_ptrIfEEEEPS6_SG_NS0_5tupleIJSF_S6_EEENSH_IJSG_SG_EEES6_PlJNSB_9not_fun_tI7is_evenIfEEEEEE10hipError_tPvRmT3_T4_T5_T6_T7_T9_mT8_P12ihipStream_tbDpT10_ENKUlT_T0_E_clISt17integral_constantIbLb1EES17_IbLb0EEEEDaS13_S14_EUlS13_E_NS1_11comp_targetILNS1_3genE10ELNS1_11target_archE1200ELNS1_3gpuE4ELNS1_3repE0EEENS1_30default_config_static_selectorELNS0_4arch9wavefront6targetE0EEEvT1_.private_seg_size, 0
	.set _ZN7rocprim17ROCPRIM_400000_NS6detail17trampoline_kernelINS0_14default_configENS1_25partition_config_selectorILNS1_17partition_subalgoE6EfNS0_10empty_typeEbEEZZNS1_14partition_implILS5_6ELb0ES3_mN6thrust23THRUST_200600_302600_NS6detail15normal_iteratorINSA_10device_ptrIfEEEEPS6_SG_NS0_5tupleIJSF_S6_EEENSH_IJSG_SG_EEES6_PlJNSB_9not_fun_tI7is_evenIfEEEEEE10hipError_tPvRmT3_T4_T5_T6_T7_T9_mT8_P12ihipStream_tbDpT10_ENKUlT_T0_E_clISt17integral_constantIbLb1EES17_IbLb0EEEEDaS13_S14_EUlS13_E_NS1_11comp_targetILNS1_3genE10ELNS1_11target_archE1200ELNS1_3gpuE4ELNS1_3repE0EEENS1_30default_config_static_selectorELNS0_4arch9wavefront6targetE0EEEvT1_.uses_vcc, 0
	.set _ZN7rocprim17ROCPRIM_400000_NS6detail17trampoline_kernelINS0_14default_configENS1_25partition_config_selectorILNS1_17partition_subalgoE6EfNS0_10empty_typeEbEEZZNS1_14partition_implILS5_6ELb0ES3_mN6thrust23THRUST_200600_302600_NS6detail15normal_iteratorINSA_10device_ptrIfEEEEPS6_SG_NS0_5tupleIJSF_S6_EEENSH_IJSG_SG_EEES6_PlJNSB_9not_fun_tI7is_evenIfEEEEEE10hipError_tPvRmT3_T4_T5_T6_T7_T9_mT8_P12ihipStream_tbDpT10_ENKUlT_T0_E_clISt17integral_constantIbLb1EES17_IbLb0EEEEDaS13_S14_EUlS13_E_NS1_11comp_targetILNS1_3genE10ELNS1_11target_archE1200ELNS1_3gpuE4ELNS1_3repE0EEENS1_30default_config_static_selectorELNS0_4arch9wavefront6targetE0EEEvT1_.uses_flat_scratch, 0
	.set _ZN7rocprim17ROCPRIM_400000_NS6detail17trampoline_kernelINS0_14default_configENS1_25partition_config_selectorILNS1_17partition_subalgoE6EfNS0_10empty_typeEbEEZZNS1_14partition_implILS5_6ELb0ES3_mN6thrust23THRUST_200600_302600_NS6detail15normal_iteratorINSA_10device_ptrIfEEEEPS6_SG_NS0_5tupleIJSF_S6_EEENSH_IJSG_SG_EEES6_PlJNSB_9not_fun_tI7is_evenIfEEEEEE10hipError_tPvRmT3_T4_T5_T6_T7_T9_mT8_P12ihipStream_tbDpT10_ENKUlT_T0_E_clISt17integral_constantIbLb1EES17_IbLb0EEEEDaS13_S14_EUlS13_E_NS1_11comp_targetILNS1_3genE10ELNS1_11target_archE1200ELNS1_3gpuE4ELNS1_3repE0EEENS1_30default_config_static_selectorELNS0_4arch9wavefront6targetE0EEEvT1_.has_dyn_sized_stack, 0
	.set _ZN7rocprim17ROCPRIM_400000_NS6detail17trampoline_kernelINS0_14default_configENS1_25partition_config_selectorILNS1_17partition_subalgoE6EfNS0_10empty_typeEbEEZZNS1_14partition_implILS5_6ELb0ES3_mN6thrust23THRUST_200600_302600_NS6detail15normal_iteratorINSA_10device_ptrIfEEEEPS6_SG_NS0_5tupleIJSF_S6_EEENSH_IJSG_SG_EEES6_PlJNSB_9not_fun_tI7is_evenIfEEEEEE10hipError_tPvRmT3_T4_T5_T6_T7_T9_mT8_P12ihipStream_tbDpT10_ENKUlT_T0_E_clISt17integral_constantIbLb1EES17_IbLb0EEEEDaS13_S14_EUlS13_E_NS1_11comp_targetILNS1_3genE10ELNS1_11target_archE1200ELNS1_3gpuE4ELNS1_3repE0EEENS1_30default_config_static_selectorELNS0_4arch9wavefront6targetE0EEEvT1_.has_recursion, 0
	.set _ZN7rocprim17ROCPRIM_400000_NS6detail17trampoline_kernelINS0_14default_configENS1_25partition_config_selectorILNS1_17partition_subalgoE6EfNS0_10empty_typeEbEEZZNS1_14partition_implILS5_6ELb0ES3_mN6thrust23THRUST_200600_302600_NS6detail15normal_iteratorINSA_10device_ptrIfEEEEPS6_SG_NS0_5tupleIJSF_S6_EEENSH_IJSG_SG_EEES6_PlJNSB_9not_fun_tI7is_evenIfEEEEEE10hipError_tPvRmT3_T4_T5_T6_T7_T9_mT8_P12ihipStream_tbDpT10_ENKUlT_T0_E_clISt17integral_constantIbLb1EES17_IbLb0EEEEDaS13_S14_EUlS13_E_NS1_11comp_targetILNS1_3genE10ELNS1_11target_archE1200ELNS1_3gpuE4ELNS1_3repE0EEENS1_30default_config_static_selectorELNS0_4arch9wavefront6targetE0EEEvT1_.has_indirect_call, 0
	.section	.AMDGPU.csdata,"",@progbits
; Kernel info:
; codeLenInByte = 4
; TotalNumSgprs: 0
; NumVgprs: 0
; ScratchSize: 0
; MemoryBound: 0
; FloatMode: 240
; IeeeMode: 1
; LDSByteSize: 0 bytes/workgroup (compile time only)
; SGPRBlocks: 0
; VGPRBlocks: 0
; NumSGPRsForWavesPerEU: 1
; NumVGPRsForWavesPerEU: 1
; Occupancy: 16
; WaveLimiterHint : 0
; COMPUTE_PGM_RSRC2:SCRATCH_EN: 0
; COMPUTE_PGM_RSRC2:USER_SGPR: 2
; COMPUTE_PGM_RSRC2:TRAP_HANDLER: 0
; COMPUTE_PGM_RSRC2:TGID_X_EN: 1
; COMPUTE_PGM_RSRC2:TGID_Y_EN: 0
; COMPUTE_PGM_RSRC2:TGID_Z_EN: 0
; COMPUTE_PGM_RSRC2:TIDIG_COMP_CNT: 0
	.section	.text._ZN7rocprim17ROCPRIM_400000_NS6detail17trampoline_kernelINS0_14default_configENS1_25partition_config_selectorILNS1_17partition_subalgoE6EfNS0_10empty_typeEbEEZZNS1_14partition_implILS5_6ELb0ES3_mN6thrust23THRUST_200600_302600_NS6detail15normal_iteratorINSA_10device_ptrIfEEEEPS6_SG_NS0_5tupleIJSF_S6_EEENSH_IJSG_SG_EEES6_PlJNSB_9not_fun_tI7is_evenIfEEEEEE10hipError_tPvRmT3_T4_T5_T6_T7_T9_mT8_P12ihipStream_tbDpT10_ENKUlT_T0_E_clISt17integral_constantIbLb1EES17_IbLb0EEEEDaS13_S14_EUlS13_E_NS1_11comp_targetILNS1_3genE9ELNS1_11target_archE1100ELNS1_3gpuE3ELNS1_3repE0EEENS1_30default_config_static_selectorELNS0_4arch9wavefront6targetE0EEEvT1_,"axG",@progbits,_ZN7rocprim17ROCPRIM_400000_NS6detail17trampoline_kernelINS0_14default_configENS1_25partition_config_selectorILNS1_17partition_subalgoE6EfNS0_10empty_typeEbEEZZNS1_14partition_implILS5_6ELb0ES3_mN6thrust23THRUST_200600_302600_NS6detail15normal_iteratorINSA_10device_ptrIfEEEEPS6_SG_NS0_5tupleIJSF_S6_EEENSH_IJSG_SG_EEES6_PlJNSB_9not_fun_tI7is_evenIfEEEEEE10hipError_tPvRmT3_T4_T5_T6_T7_T9_mT8_P12ihipStream_tbDpT10_ENKUlT_T0_E_clISt17integral_constantIbLb1EES17_IbLb0EEEEDaS13_S14_EUlS13_E_NS1_11comp_targetILNS1_3genE9ELNS1_11target_archE1100ELNS1_3gpuE3ELNS1_3repE0EEENS1_30default_config_static_selectorELNS0_4arch9wavefront6targetE0EEEvT1_,comdat
	.protected	_ZN7rocprim17ROCPRIM_400000_NS6detail17trampoline_kernelINS0_14default_configENS1_25partition_config_selectorILNS1_17partition_subalgoE6EfNS0_10empty_typeEbEEZZNS1_14partition_implILS5_6ELb0ES3_mN6thrust23THRUST_200600_302600_NS6detail15normal_iteratorINSA_10device_ptrIfEEEEPS6_SG_NS0_5tupleIJSF_S6_EEENSH_IJSG_SG_EEES6_PlJNSB_9not_fun_tI7is_evenIfEEEEEE10hipError_tPvRmT3_T4_T5_T6_T7_T9_mT8_P12ihipStream_tbDpT10_ENKUlT_T0_E_clISt17integral_constantIbLb1EES17_IbLb0EEEEDaS13_S14_EUlS13_E_NS1_11comp_targetILNS1_3genE9ELNS1_11target_archE1100ELNS1_3gpuE3ELNS1_3repE0EEENS1_30default_config_static_selectorELNS0_4arch9wavefront6targetE0EEEvT1_ ; -- Begin function _ZN7rocprim17ROCPRIM_400000_NS6detail17trampoline_kernelINS0_14default_configENS1_25partition_config_selectorILNS1_17partition_subalgoE6EfNS0_10empty_typeEbEEZZNS1_14partition_implILS5_6ELb0ES3_mN6thrust23THRUST_200600_302600_NS6detail15normal_iteratorINSA_10device_ptrIfEEEEPS6_SG_NS0_5tupleIJSF_S6_EEENSH_IJSG_SG_EEES6_PlJNSB_9not_fun_tI7is_evenIfEEEEEE10hipError_tPvRmT3_T4_T5_T6_T7_T9_mT8_P12ihipStream_tbDpT10_ENKUlT_T0_E_clISt17integral_constantIbLb1EES17_IbLb0EEEEDaS13_S14_EUlS13_E_NS1_11comp_targetILNS1_3genE9ELNS1_11target_archE1100ELNS1_3gpuE3ELNS1_3repE0EEENS1_30default_config_static_selectorELNS0_4arch9wavefront6targetE0EEEvT1_
	.globl	_ZN7rocprim17ROCPRIM_400000_NS6detail17trampoline_kernelINS0_14default_configENS1_25partition_config_selectorILNS1_17partition_subalgoE6EfNS0_10empty_typeEbEEZZNS1_14partition_implILS5_6ELb0ES3_mN6thrust23THRUST_200600_302600_NS6detail15normal_iteratorINSA_10device_ptrIfEEEEPS6_SG_NS0_5tupleIJSF_S6_EEENSH_IJSG_SG_EEES6_PlJNSB_9not_fun_tI7is_evenIfEEEEEE10hipError_tPvRmT3_T4_T5_T6_T7_T9_mT8_P12ihipStream_tbDpT10_ENKUlT_T0_E_clISt17integral_constantIbLb1EES17_IbLb0EEEEDaS13_S14_EUlS13_E_NS1_11comp_targetILNS1_3genE9ELNS1_11target_archE1100ELNS1_3gpuE3ELNS1_3repE0EEENS1_30default_config_static_selectorELNS0_4arch9wavefront6targetE0EEEvT1_
	.p2align	8
	.type	_ZN7rocprim17ROCPRIM_400000_NS6detail17trampoline_kernelINS0_14default_configENS1_25partition_config_selectorILNS1_17partition_subalgoE6EfNS0_10empty_typeEbEEZZNS1_14partition_implILS5_6ELb0ES3_mN6thrust23THRUST_200600_302600_NS6detail15normal_iteratorINSA_10device_ptrIfEEEEPS6_SG_NS0_5tupleIJSF_S6_EEENSH_IJSG_SG_EEES6_PlJNSB_9not_fun_tI7is_evenIfEEEEEE10hipError_tPvRmT3_T4_T5_T6_T7_T9_mT8_P12ihipStream_tbDpT10_ENKUlT_T0_E_clISt17integral_constantIbLb1EES17_IbLb0EEEEDaS13_S14_EUlS13_E_NS1_11comp_targetILNS1_3genE9ELNS1_11target_archE1100ELNS1_3gpuE3ELNS1_3repE0EEENS1_30default_config_static_selectorELNS0_4arch9wavefront6targetE0EEEvT1_,@function
_ZN7rocprim17ROCPRIM_400000_NS6detail17trampoline_kernelINS0_14default_configENS1_25partition_config_selectorILNS1_17partition_subalgoE6EfNS0_10empty_typeEbEEZZNS1_14partition_implILS5_6ELb0ES3_mN6thrust23THRUST_200600_302600_NS6detail15normal_iteratorINSA_10device_ptrIfEEEEPS6_SG_NS0_5tupleIJSF_S6_EEENSH_IJSG_SG_EEES6_PlJNSB_9not_fun_tI7is_evenIfEEEEEE10hipError_tPvRmT3_T4_T5_T6_T7_T9_mT8_P12ihipStream_tbDpT10_ENKUlT_T0_E_clISt17integral_constantIbLb1EES17_IbLb0EEEEDaS13_S14_EUlS13_E_NS1_11comp_targetILNS1_3genE9ELNS1_11target_archE1100ELNS1_3gpuE3ELNS1_3repE0EEENS1_30default_config_static_selectorELNS0_4arch9wavefront6targetE0EEEvT1_: ; @_ZN7rocprim17ROCPRIM_400000_NS6detail17trampoline_kernelINS0_14default_configENS1_25partition_config_selectorILNS1_17partition_subalgoE6EfNS0_10empty_typeEbEEZZNS1_14partition_implILS5_6ELb0ES3_mN6thrust23THRUST_200600_302600_NS6detail15normal_iteratorINSA_10device_ptrIfEEEEPS6_SG_NS0_5tupleIJSF_S6_EEENSH_IJSG_SG_EEES6_PlJNSB_9not_fun_tI7is_evenIfEEEEEE10hipError_tPvRmT3_T4_T5_T6_T7_T9_mT8_P12ihipStream_tbDpT10_ENKUlT_T0_E_clISt17integral_constantIbLb1EES17_IbLb0EEEEDaS13_S14_EUlS13_E_NS1_11comp_targetILNS1_3genE9ELNS1_11target_archE1100ELNS1_3gpuE3ELNS1_3repE0EEENS1_30default_config_static_selectorELNS0_4arch9wavefront6targetE0EEEvT1_
; %bb.0:
	.section	.rodata,"a",@progbits
	.p2align	6, 0x0
	.amdhsa_kernel _ZN7rocprim17ROCPRIM_400000_NS6detail17trampoline_kernelINS0_14default_configENS1_25partition_config_selectorILNS1_17partition_subalgoE6EfNS0_10empty_typeEbEEZZNS1_14partition_implILS5_6ELb0ES3_mN6thrust23THRUST_200600_302600_NS6detail15normal_iteratorINSA_10device_ptrIfEEEEPS6_SG_NS0_5tupleIJSF_S6_EEENSH_IJSG_SG_EEES6_PlJNSB_9not_fun_tI7is_evenIfEEEEEE10hipError_tPvRmT3_T4_T5_T6_T7_T9_mT8_P12ihipStream_tbDpT10_ENKUlT_T0_E_clISt17integral_constantIbLb1EES17_IbLb0EEEEDaS13_S14_EUlS13_E_NS1_11comp_targetILNS1_3genE9ELNS1_11target_archE1100ELNS1_3gpuE3ELNS1_3repE0EEENS1_30default_config_static_selectorELNS0_4arch9wavefront6targetE0EEEvT1_
		.amdhsa_group_segment_fixed_size 0
		.amdhsa_private_segment_fixed_size 0
		.amdhsa_kernarg_size 112
		.amdhsa_user_sgpr_count 2
		.amdhsa_user_sgpr_dispatch_ptr 0
		.amdhsa_user_sgpr_queue_ptr 0
		.amdhsa_user_sgpr_kernarg_segment_ptr 1
		.amdhsa_user_sgpr_dispatch_id 0
		.amdhsa_user_sgpr_private_segment_size 0
		.amdhsa_wavefront_size32 1
		.amdhsa_uses_dynamic_stack 0
		.amdhsa_enable_private_segment 0
		.amdhsa_system_sgpr_workgroup_id_x 1
		.amdhsa_system_sgpr_workgroup_id_y 0
		.amdhsa_system_sgpr_workgroup_id_z 0
		.amdhsa_system_sgpr_workgroup_info 0
		.amdhsa_system_vgpr_workitem_id 0
		.amdhsa_next_free_vgpr 1
		.amdhsa_next_free_sgpr 1
		.amdhsa_reserve_vcc 0
		.amdhsa_float_round_mode_32 0
		.amdhsa_float_round_mode_16_64 0
		.amdhsa_float_denorm_mode_32 3
		.amdhsa_float_denorm_mode_16_64 3
		.amdhsa_fp16_overflow 0
		.amdhsa_workgroup_processor_mode 1
		.amdhsa_memory_ordered 1
		.amdhsa_forward_progress 1
		.amdhsa_inst_pref_size 0
		.amdhsa_round_robin_scheduling 0
		.amdhsa_exception_fp_ieee_invalid_op 0
		.amdhsa_exception_fp_denorm_src 0
		.amdhsa_exception_fp_ieee_div_zero 0
		.amdhsa_exception_fp_ieee_overflow 0
		.amdhsa_exception_fp_ieee_underflow 0
		.amdhsa_exception_fp_ieee_inexact 0
		.amdhsa_exception_int_div_zero 0
	.end_amdhsa_kernel
	.section	.text._ZN7rocprim17ROCPRIM_400000_NS6detail17trampoline_kernelINS0_14default_configENS1_25partition_config_selectorILNS1_17partition_subalgoE6EfNS0_10empty_typeEbEEZZNS1_14partition_implILS5_6ELb0ES3_mN6thrust23THRUST_200600_302600_NS6detail15normal_iteratorINSA_10device_ptrIfEEEEPS6_SG_NS0_5tupleIJSF_S6_EEENSH_IJSG_SG_EEES6_PlJNSB_9not_fun_tI7is_evenIfEEEEEE10hipError_tPvRmT3_T4_T5_T6_T7_T9_mT8_P12ihipStream_tbDpT10_ENKUlT_T0_E_clISt17integral_constantIbLb1EES17_IbLb0EEEEDaS13_S14_EUlS13_E_NS1_11comp_targetILNS1_3genE9ELNS1_11target_archE1100ELNS1_3gpuE3ELNS1_3repE0EEENS1_30default_config_static_selectorELNS0_4arch9wavefront6targetE0EEEvT1_,"axG",@progbits,_ZN7rocprim17ROCPRIM_400000_NS6detail17trampoline_kernelINS0_14default_configENS1_25partition_config_selectorILNS1_17partition_subalgoE6EfNS0_10empty_typeEbEEZZNS1_14partition_implILS5_6ELb0ES3_mN6thrust23THRUST_200600_302600_NS6detail15normal_iteratorINSA_10device_ptrIfEEEEPS6_SG_NS0_5tupleIJSF_S6_EEENSH_IJSG_SG_EEES6_PlJNSB_9not_fun_tI7is_evenIfEEEEEE10hipError_tPvRmT3_T4_T5_T6_T7_T9_mT8_P12ihipStream_tbDpT10_ENKUlT_T0_E_clISt17integral_constantIbLb1EES17_IbLb0EEEEDaS13_S14_EUlS13_E_NS1_11comp_targetILNS1_3genE9ELNS1_11target_archE1100ELNS1_3gpuE3ELNS1_3repE0EEENS1_30default_config_static_selectorELNS0_4arch9wavefront6targetE0EEEvT1_,comdat
.Lfunc_end587:
	.size	_ZN7rocprim17ROCPRIM_400000_NS6detail17trampoline_kernelINS0_14default_configENS1_25partition_config_selectorILNS1_17partition_subalgoE6EfNS0_10empty_typeEbEEZZNS1_14partition_implILS5_6ELb0ES3_mN6thrust23THRUST_200600_302600_NS6detail15normal_iteratorINSA_10device_ptrIfEEEEPS6_SG_NS0_5tupleIJSF_S6_EEENSH_IJSG_SG_EEES6_PlJNSB_9not_fun_tI7is_evenIfEEEEEE10hipError_tPvRmT3_T4_T5_T6_T7_T9_mT8_P12ihipStream_tbDpT10_ENKUlT_T0_E_clISt17integral_constantIbLb1EES17_IbLb0EEEEDaS13_S14_EUlS13_E_NS1_11comp_targetILNS1_3genE9ELNS1_11target_archE1100ELNS1_3gpuE3ELNS1_3repE0EEENS1_30default_config_static_selectorELNS0_4arch9wavefront6targetE0EEEvT1_, .Lfunc_end587-_ZN7rocprim17ROCPRIM_400000_NS6detail17trampoline_kernelINS0_14default_configENS1_25partition_config_selectorILNS1_17partition_subalgoE6EfNS0_10empty_typeEbEEZZNS1_14partition_implILS5_6ELb0ES3_mN6thrust23THRUST_200600_302600_NS6detail15normal_iteratorINSA_10device_ptrIfEEEEPS6_SG_NS0_5tupleIJSF_S6_EEENSH_IJSG_SG_EEES6_PlJNSB_9not_fun_tI7is_evenIfEEEEEE10hipError_tPvRmT3_T4_T5_T6_T7_T9_mT8_P12ihipStream_tbDpT10_ENKUlT_T0_E_clISt17integral_constantIbLb1EES17_IbLb0EEEEDaS13_S14_EUlS13_E_NS1_11comp_targetILNS1_3genE9ELNS1_11target_archE1100ELNS1_3gpuE3ELNS1_3repE0EEENS1_30default_config_static_selectorELNS0_4arch9wavefront6targetE0EEEvT1_
                                        ; -- End function
	.set _ZN7rocprim17ROCPRIM_400000_NS6detail17trampoline_kernelINS0_14default_configENS1_25partition_config_selectorILNS1_17partition_subalgoE6EfNS0_10empty_typeEbEEZZNS1_14partition_implILS5_6ELb0ES3_mN6thrust23THRUST_200600_302600_NS6detail15normal_iteratorINSA_10device_ptrIfEEEEPS6_SG_NS0_5tupleIJSF_S6_EEENSH_IJSG_SG_EEES6_PlJNSB_9not_fun_tI7is_evenIfEEEEEE10hipError_tPvRmT3_T4_T5_T6_T7_T9_mT8_P12ihipStream_tbDpT10_ENKUlT_T0_E_clISt17integral_constantIbLb1EES17_IbLb0EEEEDaS13_S14_EUlS13_E_NS1_11comp_targetILNS1_3genE9ELNS1_11target_archE1100ELNS1_3gpuE3ELNS1_3repE0EEENS1_30default_config_static_selectorELNS0_4arch9wavefront6targetE0EEEvT1_.num_vgpr, 0
	.set _ZN7rocprim17ROCPRIM_400000_NS6detail17trampoline_kernelINS0_14default_configENS1_25partition_config_selectorILNS1_17partition_subalgoE6EfNS0_10empty_typeEbEEZZNS1_14partition_implILS5_6ELb0ES3_mN6thrust23THRUST_200600_302600_NS6detail15normal_iteratorINSA_10device_ptrIfEEEEPS6_SG_NS0_5tupleIJSF_S6_EEENSH_IJSG_SG_EEES6_PlJNSB_9not_fun_tI7is_evenIfEEEEEE10hipError_tPvRmT3_T4_T5_T6_T7_T9_mT8_P12ihipStream_tbDpT10_ENKUlT_T0_E_clISt17integral_constantIbLb1EES17_IbLb0EEEEDaS13_S14_EUlS13_E_NS1_11comp_targetILNS1_3genE9ELNS1_11target_archE1100ELNS1_3gpuE3ELNS1_3repE0EEENS1_30default_config_static_selectorELNS0_4arch9wavefront6targetE0EEEvT1_.num_agpr, 0
	.set _ZN7rocprim17ROCPRIM_400000_NS6detail17trampoline_kernelINS0_14default_configENS1_25partition_config_selectorILNS1_17partition_subalgoE6EfNS0_10empty_typeEbEEZZNS1_14partition_implILS5_6ELb0ES3_mN6thrust23THRUST_200600_302600_NS6detail15normal_iteratorINSA_10device_ptrIfEEEEPS6_SG_NS0_5tupleIJSF_S6_EEENSH_IJSG_SG_EEES6_PlJNSB_9not_fun_tI7is_evenIfEEEEEE10hipError_tPvRmT3_T4_T5_T6_T7_T9_mT8_P12ihipStream_tbDpT10_ENKUlT_T0_E_clISt17integral_constantIbLb1EES17_IbLb0EEEEDaS13_S14_EUlS13_E_NS1_11comp_targetILNS1_3genE9ELNS1_11target_archE1100ELNS1_3gpuE3ELNS1_3repE0EEENS1_30default_config_static_selectorELNS0_4arch9wavefront6targetE0EEEvT1_.numbered_sgpr, 0
	.set _ZN7rocprim17ROCPRIM_400000_NS6detail17trampoline_kernelINS0_14default_configENS1_25partition_config_selectorILNS1_17partition_subalgoE6EfNS0_10empty_typeEbEEZZNS1_14partition_implILS5_6ELb0ES3_mN6thrust23THRUST_200600_302600_NS6detail15normal_iteratorINSA_10device_ptrIfEEEEPS6_SG_NS0_5tupleIJSF_S6_EEENSH_IJSG_SG_EEES6_PlJNSB_9not_fun_tI7is_evenIfEEEEEE10hipError_tPvRmT3_T4_T5_T6_T7_T9_mT8_P12ihipStream_tbDpT10_ENKUlT_T0_E_clISt17integral_constantIbLb1EES17_IbLb0EEEEDaS13_S14_EUlS13_E_NS1_11comp_targetILNS1_3genE9ELNS1_11target_archE1100ELNS1_3gpuE3ELNS1_3repE0EEENS1_30default_config_static_selectorELNS0_4arch9wavefront6targetE0EEEvT1_.num_named_barrier, 0
	.set _ZN7rocprim17ROCPRIM_400000_NS6detail17trampoline_kernelINS0_14default_configENS1_25partition_config_selectorILNS1_17partition_subalgoE6EfNS0_10empty_typeEbEEZZNS1_14partition_implILS5_6ELb0ES3_mN6thrust23THRUST_200600_302600_NS6detail15normal_iteratorINSA_10device_ptrIfEEEEPS6_SG_NS0_5tupleIJSF_S6_EEENSH_IJSG_SG_EEES6_PlJNSB_9not_fun_tI7is_evenIfEEEEEE10hipError_tPvRmT3_T4_T5_T6_T7_T9_mT8_P12ihipStream_tbDpT10_ENKUlT_T0_E_clISt17integral_constantIbLb1EES17_IbLb0EEEEDaS13_S14_EUlS13_E_NS1_11comp_targetILNS1_3genE9ELNS1_11target_archE1100ELNS1_3gpuE3ELNS1_3repE0EEENS1_30default_config_static_selectorELNS0_4arch9wavefront6targetE0EEEvT1_.private_seg_size, 0
	.set _ZN7rocprim17ROCPRIM_400000_NS6detail17trampoline_kernelINS0_14default_configENS1_25partition_config_selectorILNS1_17partition_subalgoE6EfNS0_10empty_typeEbEEZZNS1_14partition_implILS5_6ELb0ES3_mN6thrust23THRUST_200600_302600_NS6detail15normal_iteratorINSA_10device_ptrIfEEEEPS6_SG_NS0_5tupleIJSF_S6_EEENSH_IJSG_SG_EEES6_PlJNSB_9not_fun_tI7is_evenIfEEEEEE10hipError_tPvRmT3_T4_T5_T6_T7_T9_mT8_P12ihipStream_tbDpT10_ENKUlT_T0_E_clISt17integral_constantIbLb1EES17_IbLb0EEEEDaS13_S14_EUlS13_E_NS1_11comp_targetILNS1_3genE9ELNS1_11target_archE1100ELNS1_3gpuE3ELNS1_3repE0EEENS1_30default_config_static_selectorELNS0_4arch9wavefront6targetE0EEEvT1_.uses_vcc, 0
	.set _ZN7rocprim17ROCPRIM_400000_NS6detail17trampoline_kernelINS0_14default_configENS1_25partition_config_selectorILNS1_17partition_subalgoE6EfNS0_10empty_typeEbEEZZNS1_14partition_implILS5_6ELb0ES3_mN6thrust23THRUST_200600_302600_NS6detail15normal_iteratorINSA_10device_ptrIfEEEEPS6_SG_NS0_5tupleIJSF_S6_EEENSH_IJSG_SG_EEES6_PlJNSB_9not_fun_tI7is_evenIfEEEEEE10hipError_tPvRmT3_T4_T5_T6_T7_T9_mT8_P12ihipStream_tbDpT10_ENKUlT_T0_E_clISt17integral_constantIbLb1EES17_IbLb0EEEEDaS13_S14_EUlS13_E_NS1_11comp_targetILNS1_3genE9ELNS1_11target_archE1100ELNS1_3gpuE3ELNS1_3repE0EEENS1_30default_config_static_selectorELNS0_4arch9wavefront6targetE0EEEvT1_.uses_flat_scratch, 0
	.set _ZN7rocprim17ROCPRIM_400000_NS6detail17trampoline_kernelINS0_14default_configENS1_25partition_config_selectorILNS1_17partition_subalgoE6EfNS0_10empty_typeEbEEZZNS1_14partition_implILS5_6ELb0ES3_mN6thrust23THRUST_200600_302600_NS6detail15normal_iteratorINSA_10device_ptrIfEEEEPS6_SG_NS0_5tupleIJSF_S6_EEENSH_IJSG_SG_EEES6_PlJNSB_9not_fun_tI7is_evenIfEEEEEE10hipError_tPvRmT3_T4_T5_T6_T7_T9_mT8_P12ihipStream_tbDpT10_ENKUlT_T0_E_clISt17integral_constantIbLb1EES17_IbLb0EEEEDaS13_S14_EUlS13_E_NS1_11comp_targetILNS1_3genE9ELNS1_11target_archE1100ELNS1_3gpuE3ELNS1_3repE0EEENS1_30default_config_static_selectorELNS0_4arch9wavefront6targetE0EEEvT1_.has_dyn_sized_stack, 0
	.set _ZN7rocprim17ROCPRIM_400000_NS6detail17trampoline_kernelINS0_14default_configENS1_25partition_config_selectorILNS1_17partition_subalgoE6EfNS0_10empty_typeEbEEZZNS1_14partition_implILS5_6ELb0ES3_mN6thrust23THRUST_200600_302600_NS6detail15normal_iteratorINSA_10device_ptrIfEEEEPS6_SG_NS0_5tupleIJSF_S6_EEENSH_IJSG_SG_EEES6_PlJNSB_9not_fun_tI7is_evenIfEEEEEE10hipError_tPvRmT3_T4_T5_T6_T7_T9_mT8_P12ihipStream_tbDpT10_ENKUlT_T0_E_clISt17integral_constantIbLb1EES17_IbLb0EEEEDaS13_S14_EUlS13_E_NS1_11comp_targetILNS1_3genE9ELNS1_11target_archE1100ELNS1_3gpuE3ELNS1_3repE0EEENS1_30default_config_static_selectorELNS0_4arch9wavefront6targetE0EEEvT1_.has_recursion, 0
	.set _ZN7rocprim17ROCPRIM_400000_NS6detail17trampoline_kernelINS0_14default_configENS1_25partition_config_selectorILNS1_17partition_subalgoE6EfNS0_10empty_typeEbEEZZNS1_14partition_implILS5_6ELb0ES3_mN6thrust23THRUST_200600_302600_NS6detail15normal_iteratorINSA_10device_ptrIfEEEEPS6_SG_NS0_5tupleIJSF_S6_EEENSH_IJSG_SG_EEES6_PlJNSB_9not_fun_tI7is_evenIfEEEEEE10hipError_tPvRmT3_T4_T5_T6_T7_T9_mT8_P12ihipStream_tbDpT10_ENKUlT_T0_E_clISt17integral_constantIbLb1EES17_IbLb0EEEEDaS13_S14_EUlS13_E_NS1_11comp_targetILNS1_3genE9ELNS1_11target_archE1100ELNS1_3gpuE3ELNS1_3repE0EEENS1_30default_config_static_selectorELNS0_4arch9wavefront6targetE0EEEvT1_.has_indirect_call, 0
	.section	.AMDGPU.csdata,"",@progbits
; Kernel info:
; codeLenInByte = 0
; TotalNumSgprs: 0
; NumVgprs: 0
; ScratchSize: 0
; MemoryBound: 0
; FloatMode: 240
; IeeeMode: 1
; LDSByteSize: 0 bytes/workgroup (compile time only)
; SGPRBlocks: 0
; VGPRBlocks: 0
; NumSGPRsForWavesPerEU: 1
; NumVGPRsForWavesPerEU: 1
; Occupancy: 16
; WaveLimiterHint : 0
; COMPUTE_PGM_RSRC2:SCRATCH_EN: 0
; COMPUTE_PGM_RSRC2:USER_SGPR: 2
; COMPUTE_PGM_RSRC2:TRAP_HANDLER: 0
; COMPUTE_PGM_RSRC2:TGID_X_EN: 1
; COMPUTE_PGM_RSRC2:TGID_Y_EN: 0
; COMPUTE_PGM_RSRC2:TGID_Z_EN: 0
; COMPUTE_PGM_RSRC2:TIDIG_COMP_CNT: 0
	.section	.text._ZN7rocprim17ROCPRIM_400000_NS6detail17trampoline_kernelINS0_14default_configENS1_25partition_config_selectorILNS1_17partition_subalgoE6EfNS0_10empty_typeEbEEZZNS1_14partition_implILS5_6ELb0ES3_mN6thrust23THRUST_200600_302600_NS6detail15normal_iteratorINSA_10device_ptrIfEEEEPS6_SG_NS0_5tupleIJSF_S6_EEENSH_IJSG_SG_EEES6_PlJNSB_9not_fun_tI7is_evenIfEEEEEE10hipError_tPvRmT3_T4_T5_T6_T7_T9_mT8_P12ihipStream_tbDpT10_ENKUlT_T0_E_clISt17integral_constantIbLb1EES17_IbLb0EEEEDaS13_S14_EUlS13_E_NS1_11comp_targetILNS1_3genE8ELNS1_11target_archE1030ELNS1_3gpuE2ELNS1_3repE0EEENS1_30default_config_static_selectorELNS0_4arch9wavefront6targetE0EEEvT1_,"axG",@progbits,_ZN7rocprim17ROCPRIM_400000_NS6detail17trampoline_kernelINS0_14default_configENS1_25partition_config_selectorILNS1_17partition_subalgoE6EfNS0_10empty_typeEbEEZZNS1_14partition_implILS5_6ELb0ES3_mN6thrust23THRUST_200600_302600_NS6detail15normal_iteratorINSA_10device_ptrIfEEEEPS6_SG_NS0_5tupleIJSF_S6_EEENSH_IJSG_SG_EEES6_PlJNSB_9not_fun_tI7is_evenIfEEEEEE10hipError_tPvRmT3_T4_T5_T6_T7_T9_mT8_P12ihipStream_tbDpT10_ENKUlT_T0_E_clISt17integral_constantIbLb1EES17_IbLb0EEEEDaS13_S14_EUlS13_E_NS1_11comp_targetILNS1_3genE8ELNS1_11target_archE1030ELNS1_3gpuE2ELNS1_3repE0EEENS1_30default_config_static_selectorELNS0_4arch9wavefront6targetE0EEEvT1_,comdat
	.protected	_ZN7rocprim17ROCPRIM_400000_NS6detail17trampoline_kernelINS0_14default_configENS1_25partition_config_selectorILNS1_17partition_subalgoE6EfNS0_10empty_typeEbEEZZNS1_14partition_implILS5_6ELb0ES3_mN6thrust23THRUST_200600_302600_NS6detail15normal_iteratorINSA_10device_ptrIfEEEEPS6_SG_NS0_5tupleIJSF_S6_EEENSH_IJSG_SG_EEES6_PlJNSB_9not_fun_tI7is_evenIfEEEEEE10hipError_tPvRmT3_T4_T5_T6_T7_T9_mT8_P12ihipStream_tbDpT10_ENKUlT_T0_E_clISt17integral_constantIbLb1EES17_IbLb0EEEEDaS13_S14_EUlS13_E_NS1_11comp_targetILNS1_3genE8ELNS1_11target_archE1030ELNS1_3gpuE2ELNS1_3repE0EEENS1_30default_config_static_selectorELNS0_4arch9wavefront6targetE0EEEvT1_ ; -- Begin function _ZN7rocprim17ROCPRIM_400000_NS6detail17trampoline_kernelINS0_14default_configENS1_25partition_config_selectorILNS1_17partition_subalgoE6EfNS0_10empty_typeEbEEZZNS1_14partition_implILS5_6ELb0ES3_mN6thrust23THRUST_200600_302600_NS6detail15normal_iteratorINSA_10device_ptrIfEEEEPS6_SG_NS0_5tupleIJSF_S6_EEENSH_IJSG_SG_EEES6_PlJNSB_9not_fun_tI7is_evenIfEEEEEE10hipError_tPvRmT3_T4_T5_T6_T7_T9_mT8_P12ihipStream_tbDpT10_ENKUlT_T0_E_clISt17integral_constantIbLb1EES17_IbLb0EEEEDaS13_S14_EUlS13_E_NS1_11comp_targetILNS1_3genE8ELNS1_11target_archE1030ELNS1_3gpuE2ELNS1_3repE0EEENS1_30default_config_static_selectorELNS0_4arch9wavefront6targetE0EEEvT1_
	.globl	_ZN7rocprim17ROCPRIM_400000_NS6detail17trampoline_kernelINS0_14default_configENS1_25partition_config_selectorILNS1_17partition_subalgoE6EfNS0_10empty_typeEbEEZZNS1_14partition_implILS5_6ELb0ES3_mN6thrust23THRUST_200600_302600_NS6detail15normal_iteratorINSA_10device_ptrIfEEEEPS6_SG_NS0_5tupleIJSF_S6_EEENSH_IJSG_SG_EEES6_PlJNSB_9not_fun_tI7is_evenIfEEEEEE10hipError_tPvRmT3_T4_T5_T6_T7_T9_mT8_P12ihipStream_tbDpT10_ENKUlT_T0_E_clISt17integral_constantIbLb1EES17_IbLb0EEEEDaS13_S14_EUlS13_E_NS1_11comp_targetILNS1_3genE8ELNS1_11target_archE1030ELNS1_3gpuE2ELNS1_3repE0EEENS1_30default_config_static_selectorELNS0_4arch9wavefront6targetE0EEEvT1_
	.p2align	8
	.type	_ZN7rocprim17ROCPRIM_400000_NS6detail17trampoline_kernelINS0_14default_configENS1_25partition_config_selectorILNS1_17partition_subalgoE6EfNS0_10empty_typeEbEEZZNS1_14partition_implILS5_6ELb0ES3_mN6thrust23THRUST_200600_302600_NS6detail15normal_iteratorINSA_10device_ptrIfEEEEPS6_SG_NS0_5tupleIJSF_S6_EEENSH_IJSG_SG_EEES6_PlJNSB_9not_fun_tI7is_evenIfEEEEEE10hipError_tPvRmT3_T4_T5_T6_T7_T9_mT8_P12ihipStream_tbDpT10_ENKUlT_T0_E_clISt17integral_constantIbLb1EES17_IbLb0EEEEDaS13_S14_EUlS13_E_NS1_11comp_targetILNS1_3genE8ELNS1_11target_archE1030ELNS1_3gpuE2ELNS1_3repE0EEENS1_30default_config_static_selectorELNS0_4arch9wavefront6targetE0EEEvT1_,@function
_ZN7rocprim17ROCPRIM_400000_NS6detail17trampoline_kernelINS0_14default_configENS1_25partition_config_selectorILNS1_17partition_subalgoE6EfNS0_10empty_typeEbEEZZNS1_14partition_implILS5_6ELb0ES3_mN6thrust23THRUST_200600_302600_NS6detail15normal_iteratorINSA_10device_ptrIfEEEEPS6_SG_NS0_5tupleIJSF_S6_EEENSH_IJSG_SG_EEES6_PlJNSB_9not_fun_tI7is_evenIfEEEEEE10hipError_tPvRmT3_T4_T5_T6_T7_T9_mT8_P12ihipStream_tbDpT10_ENKUlT_T0_E_clISt17integral_constantIbLb1EES17_IbLb0EEEEDaS13_S14_EUlS13_E_NS1_11comp_targetILNS1_3genE8ELNS1_11target_archE1030ELNS1_3gpuE2ELNS1_3repE0EEENS1_30default_config_static_selectorELNS0_4arch9wavefront6targetE0EEEvT1_: ; @_ZN7rocprim17ROCPRIM_400000_NS6detail17trampoline_kernelINS0_14default_configENS1_25partition_config_selectorILNS1_17partition_subalgoE6EfNS0_10empty_typeEbEEZZNS1_14partition_implILS5_6ELb0ES3_mN6thrust23THRUST_200600_302600_NS6detail15normal_iteratorINSA_10device_ptrIfEEEEPS6_SG_NS0_5tupleIJSF_S6_EEENSH_IJSG_SG_EEES6_PlJNSB_9not_fun_tI7is_evenIfEEEEEE10hipError_tPvRmT3_T4_T5_T6_T7_T9_mT8_P12ihipStream_tbDpT10_ENKUlT_T0_E_clISt17integral_constantIbLb1EES17_IbLb0EEEEDaS13_S14_EUlS13_E_NS1_11comp_targetILNS1_3genE8ELNS1_11target_archE1030ELNS1_3gpuE2ELNS1_3repE0EEENS1_30default_config_static_selectorELNS0_4arch9wavefront6targetE0EEEvT1_
; %bb.0:
	.section	.rodata,"a",@progbits
	.p2align	6, 0x0
	.amdhsa_kernel _ZN7rocprim17ROCPRIM_400000_NS6detail17trampoline_kernelINS0_14default_configENS1_25partition_config_selectorILNS1_17partition_subalgoE6EfNS0_10empty_typeEbEEZZNS1_14partition_implILS5_6ELb0ES3_mN6thrust23THRUST_200600_302600_NS6detail15normal_iteratorINSA_10device_ptrIfEEEEPS6_SG_NS0_5tupleIJSF_S6_EEENSH_IJSG_SG_EEES6_PlJNSB_9not_fun_tI7is_evenIfEEEEEE10hipError_tPvRmT3_T4_T5_T6_T7_T9_mT8_P12ihipStream_tbDpT10_ENKUlT_T0_E_clISt17integral_constantIbLb1EES17_IbLb0EEEEDaS13_S14_EUlS13_E_NS1_11comp_targetILNS1_3genE8ELNS1_11target_archE1030ELNS1_3gpuE2ELNS1_3repE0EEENS1_30default_config_static_selectorELNS0_4arch9wavefront6targetE0EEEvT1_
		.amdhsa_group_segment_fixed_size 0
		.amdhsa_private_segment_fixed_size 0
		.amdhsa_kernarg_size 112
		.amdhsa_user_sgpr_count 2
		.amdhsa_user_sgpr_dispatch_ptr 0
		.amdhsa_user_sgpr_queue_ptr 0
		.amdhsa_user_sgpr_kernarg_segment_ptr 1
		.amdhsa_user_sgpr_dispatch_id 0
		.amdhsa_user_sgpr_private_segment_size 0
		.amdhsa_wavefront_size32 1
		.amdhsa_uses_dynamic_stack 0
		.amdhsa_enable_private_segment 0
		.amdhsa_system_sgpr_workgroup_id_x 1
		.amdhsa_system_sgpr_workgroup_id_y 0
		.amdhsa_system_sgpr_workgroup_id_z 0
		.amdhsa_system_sgpr_workgroup_info 0
		.amdhsa_system_vgpr_workitem_id 0
		.amdhsa_next_free_vgpr 1
		.amdhsa_next_free_sgpr 1
		.amdhsa_reserve_vcc 0
		.amdhsa_float_round_mode_32 0
		.amdhsa_float_round_mode_16_64 0
		.amdhsa_float_denorm_mode_32 3
		.amdhsa_float_denorm_mode_16_64 3
		.amdhsa_fp16_overflow 0
		.amdhsa_workgroup_processor_mode 1
		.amdhsa_memory_ordered 1
		.amdhsa_forward_progress 1
		.amdhsa_inst_pref_size 0
		.amdhsa_round_robin_scheduling 0
		.amdhsa_exception_fp_ieee_invalid_op 0
		.amdhsa_exception_fp_denorm_src 0
		.amdhsa_exception_fp_ieee_div_zero 0
		.amdhsa_exception_fp_ieee_overflow 0
		.amdhsa_exception_fp_ieee_underflow 0
		.amdhsa_exception_fp_ieee_inexact 0
		.amdhsa_exception_int_div_zero 0
	.end_amdhsa_kernel
	.section	.text._ZN7rocprim17ROCPRIM_400000_NS6detail17trampoline_kernelINS0_14default_configENS1_25partition_config_selectorILNS1_17partition_subalgoE6EfNS0_10empty_typeEbEEZZNS1_14partition_implILS5_6ELb0ES3_mN6thrust23THRUST_200600_302600_NS6detail15normal_iteratorINSA_10device_ptrIfEEEEPS6_SG_NS0_5tupleIJSF_S6_EEENSH_IJSG_SG_EEES6_PlJNSB_9not_fun_tI7is_evenIfEEEEEE10hipError_tPvRmT3_T4_T5_T6_T7_T9_mT8_P12ihipStream_tbDpT10_ENKUlT_T0_E_clISt17integral_constantIbLb1EES17_IbLb0EEEEDaS13_S14_EUlS13_E_NS1_11comp_targetILNS1_3genE8ELNS1_11target_archE1030ELNS1_3gpuE2ELNS1_3repE0EEENS1_30default_config_static_selectorELNS0_4arch9wavefront6targetE0EEEvT1_,"axG",@progbits,_ZN7rocprim17ROCPRIM_400000_NS6detail17trampoline_kernelINS0_14default_configENS1_25partition_config_selectorILNS1_17partition_subalgoE6EfNS0_10empty_typeEbEEZZNS1_14partition_implILS5_6ELb0ES3_mN6thrust23THRUST_200600_302600_NS6detail15normal_iteratorINSA_10device_ptrIfEEEEPS6_SG_NS0_5tupleIJSF_S6_EEENSH_IJSG_SG_EEES6_PlJNSB_9not_fun_tI7is_evenIfEEEEEE10hipError_tPvRmT3_T4_T5_T6_T7_T9_mT8_P12ihipStream_tbDpT10_ENKUlT_T0_E_clISt17integral_constantIbLb1EES17_IbLb0EEEEDaS13_S14_EUlS13_E_NS1_11comp_targetILNS1_3genE8ELNS1_11target_archE1030ELNS1_3gpuE2ELNS1_3repE0EEENS1_30default_config_static_selectorELNS0_4arch9wavefront6targetE0EEEvT1_,comdat
.Lfunc_end588:
	.size	_ZN7rocprim17ROCPRIM_400000_NS6detail17trampoline_kernelINS0_14default_configENS1_25partition_config_selectorILNS1_17partition_subalgoE6EfNS0_10empty_typeEbEEZZNS1_14partition_implILS5_6ELb0ES3_mN6thrust23THRUST_200600_302600_NS6detail15normal_iteratorINSA_10device_ptrIfEEEEPS6_SG_NS0_5tupleIJSF_S6_EEENSH_IJSG_SG_EEES6_PlJNSB_9not_fun_tI7is_evenIfEEEEEE10hipError_tPvRmT3_T4_T5_T6_T7_T9_mT8_P12ihipStream_tbDpT10_ENKUlT_T0_E_clISt17integral_constantIbLb1EES17_IbLb0EEEEDaS13_S14_EUlS13_E_NS1_11comp_targetILNS1_3genE8ELNS1_11target_archE1030ELNS1_3gpuE2ELNS1_3repE0EEENS1_30default_config_static_selectorELNS0_4arch9wavefront6targetE0EEEvT1_, .Lfunc_end588-_ZN7rocprim17ROCPRIM_400000_NS6detail17trampoline_kernelINS0_14default_configENS1_25partition_config_selectorILNS1_17partition_subalgoE6EfNS0_10empty_typeEbEEZZNS1_14partition_implILS5_6ELb0ES3_mN6thrust23THRUST_200600_302600_NS6detail15normal_iteratorINSA_10device_ptrIfEEEEPS6_SG_NS0_5tupleIJSF_S6_EEENSH_IJSG_SG_EEES6_PlJNSB_9not_fun_tI7is_evenIfEEEEEE10hipError_tPvRmT3_T4_T5_T6_T7_T9_mT8_P12ihipStream_tbDpT10_ENKUlT_T0_E_clISt17integral_constantIbLb1EES17_IbLb0EEEEDaS13_S14_EUlS13_E_NS1_11comp_targetILNS1_3genE8ELNS1_11target_archE1030ELNS1_3gpuE2ELNS1_3repE0EEENS1_30default_config_static_selectorELNS0_4arch9wavefront6targetE0EEEvT1_
                                        ; -- End function
	.set _ZN7rocprim17ROCPRIM_400000_NS6detail17trampoline_kernelINS0_14default_configENS1_25partition_config_selectorILNS1_17partition_subalgoE6EfNS0_10empty_typeEbEEZZNS1_14partition_implILS5_6ELb0ES3_mN6thrust23THRUST_200600_302600_NS6detail15normal_iteratorINSA_10device_ptrIfEEEEPS6_SG_NS0_5tupleIJSF_S6_EEENSH_IJSG_SG_EEES6_PlJNSB_9not_fun_tI7is_evenIfEEEEEE10hipError_tPvRmT3_T4_T5_T6_T7_T9_mT8_P12ihipStream_tbDpT10_ENKUlT_T0_E_clISt17integral_constantIbLb1EES17_IbLb0EEEEDaS13_S14_EUlS13_E_NS1_11comp_targetILNS1_3genE8ELNS1_11target_archE1030ELNS1_3gpuE2ELNS1_3repE0EEENS1_30default_config_static_selectorELNS0_4arch9wavefront6targetE0EEEvT1_.num_vgpr, 0
	.set _ZN7rocprim17ROCPRIM_400000_NS6detail17trampoline_kernelINS0_14default_configENS1_25partition_config_selectorILNS1_17partition_subalgoE6EfNS0_10empty_typeEbEEZZNS1_14partition_implILS5_6ELb0ES3_mN6thrust23THRUST_200600_302600_NS6detail15normal_iteratorINSA_10device_ptrIfEEEEPS6_SG_NS0_5tupleIJSF_S6_EEENSH_IJSG_SG_EEES6_PlJNSB_9not_fun_tI7is_evenIfEEEEEE10hipError_tPvRmT3_T4_T5_T6_T7_T9_mT8_P12ihipStream_tbDpT10_ENKUlT_T0_E_clISt17integral_constantIbLb1EES17_IbLb0EEEEDaS13_S14_EUlS13_E_NS1_11comp_targetILNS1_3genE8ELNS1_11target_archE1030ELNS1_3gpuE2ELNS1_3repE0EEENS1_30default_config_static_selectorELNS0_4arch9wavefront6targetE0EEEvT1_.num_agpr, 0
	.set _ZN7rocprim17ROCPRIM_400000_NS6detail17trampoline_kernelINS0_14default_configENS1_25partition_config_selectorILNS1_17partition_subalgoE6EfNS0_10empty_typeEbEEZZNS1_14partition_implILS5_6ELb0ES3_mN6thrust23THRUST_200600_302600_NS6detail15normal_iteratorINSA_10device_ptrIfEEEEPS6_SG_NS0_5tupleIJSF_S6_EEENSH_IJSG_SG_EEES6_PlJNSB_9not_fun_tI7is_evenIfEEEEEE10hipError_tPvRmT3_T4_T5_T6_T7_T9_mT8_P12ihipStream_tbDpT10_ENKUlT_T0_E_clISt17integral_constantIbLb1EES17_IbLb0EEEEDaS13_S14_EUlS13_E_NS1_11comp_targetILNS1_3genE8ELNS1_11target_archE1030ELNS1_3gpuE2ELNS1_3repE0EEENS1_30default_config_static_selectorELNS0_4arch9wavefront6targetE0EEEvT1_.numbered_sgpr, 0
	.set _ZN7rocprim17ROCPRIM_400000_NS6detail17trampoline_kernelINS0_14default_configENS1_25partition_config_selectorILNS1_17partition_subalgoE6EfNS0_10empty_typeEbEEZZNS1_14partition_implILS5_6ELb0ES3_mN6thrust23THRUST_200600_302600_NS6detail15normal_iteratorINSA_10device_ptrIfEEEEPS6_SG_NS0_5tupleIJSF_S6_EEENSH_IJSG_SG_EEES6_PlJNSB_9not_fun_tI7is_evenIfEEEEEE10hipError_tPvRmT3_T4_T5_T6_T7_T9_mT8_P12ihipStream_tbDpT10_ENKUlT_T0_E_clISt17integral_constantIbLb1EES17_IbLb0EEEEDaS13_S14_EUlS13_E_NS1_11comp_targetILNS1_3genE8ELNS1_11target_archE1030ELNS1_3gpuE2ELNS1_3repE0EEENS1_30default_config_static_selectorELNS0_4arch9wavefront6targetE0EEEvT1_.num_named_barrier, 0
	.set _ZN7rocprim17ROCPRIM_400000_NS6detail17trampoline_kernelINS0_14default_configENS1_25partition_config_selectorILNS1_17partition_subalgoE6EfNS0_10empty_typeEbEEZZNS1_14partition_implILS5_6ELb0ES3_mN6thrust23THRUST_200600_302600_NS6detail15normal_iteratorINSA_10device_ptrIfEEEEPS6_SG_NS0_5tupleIJSF_S6_EEENSH_IJSG_SG_EEES6_PlJNSB_9not_fun_tI7is_evenIfEEEEEE10hipError_tPvRmT3_T4_T5_T6_T7_T9_mT8_P12ihipStream_tbDpT10_ENKUlT_T0_E_clISt17integral_constantIbLb1EES17_IbLb0EEEEDaS13_S14_EUlS13_E_NS1_11comp_targetILNS1_3genE8ELNS1_11target_archE1030ELNS1_3gpuE2ELNS1_3repE0EEENS1_30default_config_static_selectorELNS0_4arch9wavefront6targetE0EEEvT1_.private_seg_size, 0
	.set _ZN7rocprim17ROCPRIM_400000_NS6detail17trampoline_kernelINS0_14default_configENS1_25partition_config_selectorILNS1_17partition_subalgoE6EfNS0_10empty_typeEbEEZZNS1_14partition_implILS5_6ELb0ES3_mN6thrust23THRUST_200600_302600_NS6detail15normal_iteratorINSA_10device_ptrIfEEEEPS6_SG_NS0_5tupleIJSF_S6_EEENSH_IJSG_SG_EEES6_PlJNSB_9not_fun_tI7is_evenIfEEEEEE10hipError_tPvRmT3_T4_T5_T6_T7_T9_mT8_P12ihipStream_tbDpT10_ENKUlT_T0_E_clISt17integral_constantIbLb1EES17_IbLb0EEEEDaS13_S14_EUlS13_E_NS1_11comp_targetILNS1_3genE8ELNS1_11target_archE1030ELNS1_3gpuE2ELNS1_3repE0EEENS1_30default_config_static_selectorELNS0_4arch9wavefront6targetE0EEEvT1_.uses_vcc, 0
	.set _ZN7rocprim17ROCPRIM_400000_NS6detail17trampoline_kernelINS0_14default_configENS1_25partition_config_selectorILNS1_17partition_subalgoE6EfNS0_10empty_typeEbEEZZNS1_14partition_implILS5_6ELb0ES3_mN6thrust23THRUST_200600_302600_NS6detail15normal_iteratorINSA_10device_ptrIfEEEEPS6_SG_NS0_5tupleIJSF_S6_EEENSH_IJSG_SG_EEES6_PlJNSB_9not_fun_tI7is_evenIfEEEEEE10hipError_tPvRmT3_T4_T5_T6_T7_T9_mT8_P12ihipStream_tbDpT10_ENKUlT_T0_E_clISt17integral_constantIbLb1EES17_IbLb0EEEEDaS13_S14_EUlS13_E_NS1_11comp_targetILNS1_3genE8ELNS1_11target_archE1030ELNS1_3gpuE2ELNS1_3repE0EEENS1_30default_config_static_selectorELNS0_4arch9wavefront6targetE0EEEvT1_.uses_flat_scratch, 0
	.set _ZN7rocprim17ROCPRIM_400000_NS6detail17trampoline_kernelINS0_14default_configENS1_25partition_config_selectorILNS1_17partition_subalgoE6EfNS0_10empty_typeEbEEZZNS1_14partition_implILS5_6ELb0ES3_mN6thrust23THRUST_200600_302600_NS6detail15normal_iteratorINSA_10device_ptrIfEEEEPS6_SG_NS0_5tupleIJSF_S6_EEENSH_IJSG_SG_EEES6_PlJNSB_9not_fun_tI7is_evenIfEEEEEE10hipError_tPvRmT3_T4_T5_T6_T7_T9_mT8_P12ihipStream_tbDpT10_ENKUlT_T0_E_clISt17integral_constantIbLb1EES17_IbLb0EEEEDaS13_S14_EUlS13_E_NS1_11comp_targetILNS1_3genE8ELNS1_11target_archE1030ELNS1_3gpuE2ELNS1_3repE0EEENS1_30default_config_static_selectorELNS0_4arch9wavefront6targetE0EEEvT1_.has_dyn_sized_stack, 0
	.set _ZN7rocprim17ROCPRIM_400000_NS6detail17trampoline_kernelINS0_14default_configENS1_25partition_config_selectorILNS1_17partition_subalgoE6EfNS0_10empty_typeEbEEZZNS1_14partition_implILS5_6ELb0ES3_mN6thrust23THRUST_200600_302600_NS6detail15normal_iteratorINSA_10device_ptrIfEEEEPS6_SG_NS0_5tupleIJSF_S6_EEENSH_IJSG_SG_EEES6_PlJNSB_9not_fun_tI7is_evenIfEEEEEE10hipError_tPvRmT3_T4_T5_T6_T7_T9_mT8_P12ihipStream_tbDpT10_ENKUlT_T0_E_clISt17integral_constantIbLb1EES17_IbLb0EEEEDaS13_S14_EUlS13_E_NS1_11comp_targetILNS1_3genE8ELNS1_11target_archE1030ELNS1_3gpuE2ELNS1_3repE0EEENS1_30default_config_static_selectorELNS0_4arch9wavefront6targetE0EEEvT1_.has_recursion, 0
	.set _ZN7rocprim17ROCPRIM_400000_NS6detail17trampoline_kernelINS0_14default_configENS1_25partition_config_selectorILNS1_17partition_subalgoE6EfNS0_10empty_typeEbEEZZNS1_14partition_implILS5_6ELb0ES3_mN6thrust23THRUST_200600_302600_NS6detail15normal_iteratorINSA_10device_ptrIfEEEEPS6_SG_NS0_5tupleIJSF_S6_EEENSH_IJSG_SG_EEES6_PlJNSB_9not_fun_tI7is_evenIfEEEEEE10hipError_tPvRmT3_T4_T5_T6_T7_T9_mT8_P12ihipStream_tbDpT10_ENKUlT_T0_E_clISt17integral_constantIbLb1EES17_IbLb0EEEEDaS13_S14_EUlS13_E_NS1_11comp_targetILNS1_3genE8ELNS1_11target_archE1030ELNS1_3gpuE2ELNS1_3repE0EEENS1_30default_config_static_selectorELNS0_4arch9wavefront6targetE0EEEvT1_.has_indirect_call, 0
	.section	.AMDGPU.csdata,"",@progbits
; Kernel info:
; codeLenInByte = 0
; TotalNumSgprs: 0
; NumVgprs: 0
; ScratchSize: 0
; MemoryBound: 0
; FloatMode: 240
; IeeeMode: 1
; LDSByteSize: 0 bytes/workgroup (compile time only)
; SGPRBlocks: 0
; VGPRBlocks: 0
; NumSGPRsForWavesPerEU: 1
; NumVGPRsForWavesPerEU: 1
; Occupancy: 16
; WaveLimiterHint : 0
; COMPUTE_PGM_RSRC2:SCRATCH_EN: 0
; COMPUTE_PGM_RSRC2:USER_SGPR: 2
; COMPUTE_PGM_RSRC2:TRAP_HANDLER: 0
; COMPUTE_PGM_RSRC2:TGID_X_EN: 1
; COMPUTE_PGM_RSRC2:TGID_Y_EN: 0
; COMPUTE_PGM_RSRC2:TGID_Z_EN: 0
; COMPUTE_PGM_RSRC2:TIDIG_COMP_CNT: 0
	.section	.text._ZN7rocprim17ROCPRIM_400000_NS6detail17trampoline_kernelINS0_14default_configENS1_25partition_config_selectorILNS1_17partition_subalgoE6EfNS0_10empty_typeEbEEZZNS1_14partition_implILS5_6ELb0ES3_mN6thrust23THRUST_200600_302600_NS6detail15normal_iteratorINSA_10device_ptrIfEEEEPS6_SG_NS0_5tupleIJSF_S6_EEENSH_IJSG_SG_EEES6_PlJNSB_9not_fun_tI7is_evenIfEEEEEE10hipError_tPvRmT3_T4_T5_T6_T7_T9_mT8_P12ihipStream_tbDpT10_ENKUlT_T0_E_clISt17integral_constantIbLb0EES17_IbLb1EEEEDaS13_S14_EUlS13_E_NS1_11comp_targetILNS1_3genE0ELNS1_11target_archE4294967295ELNS1_3gpuE0ELNS1_3repE0EEENS1_30default_config_static_selectorELNS0_4arch9wavefront6targetE0EEEvT1_,"axG",@progbits,_ZN7rocprim17ROCPRIM_400000_NS6detail17trampoline_kernelINS0_14default_configENS1_25partition_config_selectorILNS1_17partition_subalgoE6EfNS0_10empty_typeEbEEZZNS1_14partition_implILS5_6ELb0ES3_mN6thrust23THRUST_200600_302600_NS6detail15normal_iteratorINSA_10device_ptrIfEEEEPS6_SG_NS0_5tupleIJSF_S6_EEENSH_IJSG_SG_EEES6_PlJNSB_9not_fun_tI7is_evenIfEEEEEE10hipError_tPvRmT3_T4_T5_T6_T7_T9_mT8_P12ihipStream_tbDpT10_ENKUlT_T0_E_clISt17integral_constantIbLb0EES17_IbLb1EEEEDaS13_S14_EUlS13_E_NS1_11comp_targetILNS1_3genE0ELNS1_11target_archE4294967295ELNS1_3gpuE0ELNS1_3repE0EEENS1_30default_config_static_selectorELNS0_4arch9wavefront6targetE0EEEvT1_,comdat
	.protected	_ZN7rocprim17ROCPRIM_400000_NS6detail17trampoline_kernelINS0_14default_configENS1_25partition_config_selectorILNS1_17partition_subalgoE6EfNS0_10empty_typeEbEEZZNS1_14partition_implILS5_6ELb0ES3_mN6thrust23THRUST_200600_302600_NS6detail15normal_iteratorINSA_10device_ptrIfEEEEPS6_SG_NS0_5tupleIJSF_S6_EEENSH_IJSG_SG_EEES6_PlJNSB_9not_fun_tI7is_evenIfEEEEEE10hipError_tPvRmT3_T4_T5_T6_T7_T9_mT8_P12ihipStream_tbDpT10_ENKUlT_T0_E_clISt17integral_constantIbLb0EES17_IbLb1EEEEDaS13_S14_EUlS13_E_NS1_11comp_targetILNS1_3genE0ELNS1_11target_archE4294967295ELNS1_3gpuE0ELNS1_3repE0EEENS1_30default_config_static_selectorELNS0_4arch9wavefront6targetE0EEEvT1_ ; -- Begin function _ZN7rocprim17ROCPRIM_400000_NS6detail17trampoline_kernelINS0_14default_configENS1_25partition_config_selectorILNS1_17partition_subalgoE6EfNS0_10empty_typeEbEEZZNS1_14partition_implILS5_6ELb0ES3_mN6thrust23THRUST_200600_302600_NS6detail15normal_iteratorINSA_10device_ptrIfEEEEPS6_SG_NS0_5tupleIJSF_S6_EEENSH_IJSG_SG_EEES6_PlJNSB_9not_fun_tI7is_evenIfEEEEEE10hipError_tPvRmT3_T4_T5_T6_T7_T9_mT8_P12ihipStream_tbDpT10_ENKUlT_T0_E_clISt17integral_constantIbLb0EES17_IbLb1EEEEDaS13_S14_EUlS13_E_NS1_11comp_targetILNS1_3genE0ELNS1_11target_archE4294967295ELNS1_3gpuE0ELNS1_3repE0EEENS1_30default_config_static_selectorELNS0_4arch9wavefront6targetE0EEEvT1_
	.globl	_ZN7rocprim17ROCPRIM_400000_NS6detail17trampoline_kernelINS0_14default_configENS1_25partition_config_selectorILNS1_17partition_subalgoE6EfNS0_10empty_typeEbEEZZNS1_14partition_implILS5_6ELb0ES3_mN6thrust23THRUST_200600_302600_NS6detail15normal_iteratorINSA_10device_ptrIfEEEEPS6_SG_NS0_5tupleIJSF_S6_EEENSH_IJSG_SG_EEES6_PlJNSB_9not_fun_tI7is_evenIfEEEEEE10hipError_tPvRmT3_T4_T5_T6_T7_T9_mT8_P12ihipStream_tbDpT10_ENKUlT_T0_E_clISt17integral_constantIbLb0EES17_IbLb1EEEEDaS13_S14_EUlS13_E_NS1_11comp_targetILNS1_3genE0ELNS1_11target_archE4294967295ELNS1_3gpuE0ELNS1_3repE0EEENS1_30default_config_static_selectorELNS0_4arch9wavefront6targetE0EEEvT1_
	.p2align	8
	.type	_ZN7rocprim17ROCPRIM_400000_NS6detail17trampoline_kernelINS0_14default_configENS1_25partition_config_selectorILNS1_17partition_subalgoE6EfNS0_10empty_typeEbEEZZNS1_14partition_implILS5_6ELb0ES3_mN6thrust23THRUST_200600_302600_NS6detail15normal_iteratorINSA_10device_ptrIfEEEEPS6_SG_NS0_5tupleIJSF_S6_EEENSH_IJSG_SG_EEES6_PlJNSB_9not_fun_tI7is_evenIfEEEEEE10hipError_tPvRmT3_T4_T5_T6_T7_T9_mT8_P12ihipStream_tbDpT10_ENKUlT_T0_E_clISt17integral_constantIbLb0EES17_IbLb1EEEEDaS13_S14_EUlS13_E_NS1_11comp_targetILNS1_3genE0ELNS1_11target_archE4294967295ELNS1_3gpuE0ELNS1_3repE0EEENS1_30default_config_static_selectorELNS0_4arch9wavefront6targetE0EEEvT1_,@function
_ZN7rocprim17ROCPRIM_400000_NS6detail17trampoline_kernelINS0_14default_configENS1_25partition_config_selectorILNS1_17partition_subalgoE6EfNS0_10empty_typeEbEEZZNS1_14partition_implILS5_6ELb0ES3_mN6thrust23THRUST_200600_302600_NS6detail15normal_iteratorINSA_10device_ptrIfEEEEPS6_SG_NS0_5tupleIJSF_S6_EEENSH_IJSG_SG_EEES6_PlJNSB_9not_fun_tI7is_evenIfEEEEEE10hipError_tPvRmT3_T4_T5_T6_T7_T9_mT8_P12ihipStream_tbDpT10_ENKUlT_T0_E_clISt17integral_constantIbLb0EES17_IbLb1EEEEDaS13_S14_EUlS13_E_NS1_11comp_targetILNS1_3genE0ELNS1_11target_archE4294967295ELNS1_3gpuE0ELNS1_3repE0EEENS1_30default_config_static_selectorELNS0_4arch9wavefront6targetE0EEEvT1_: ; @_ZN7rocprim17ROCPRIM_400000_NS6detail17trampoline_kernelINS0_14default_configENS1_25partition_config_selectorILNS1_17partition_subalgoE6EfNS0_10empty_typeEbEEZZNS1_14partition_implILS5_6ELb0ES3_mN6thrust23THRUST_200600_302600_NS6detail15normal_iteratorINSA_10device_ptrIfEEEEPS6_SG_NS0_5tupleIJSF_S6_EEENSH_IJSG_SG_EEES6_PlJNSB_9not_fun_tI7is_evenIfEEEEEE10hipError_tPvRmT3_T4_T5_T6_T7_T9_mT8_P12ihipStream_tbDpT10_ENKUlT_T0_E_clISt17integral_constantIbLb0EES17_IbLb1EEEEDaS13_S14_EUlS13_E_NS1_11comp_targetILNS1_3genE0ELNS1_11target_archE4294967295ELNS1_3gpuE0ELNS1_3repE0EEENS1_30default_config_static_selectorELNS0_4arch9wavefront6targetE0EEEvT1_
; %bb.0:
	.section	.rodata,"a",@progbits
	.p2align	6, 0x0
	.amdhsa_kernel _ZN7rocprim17ROCPRIM_400000_NS6detail17trampoline_kernelINS0_14default_configENS1_25partition_config_selectorILNS1_17partition_subalgoE6EfNS0_10empty_typeEbEEZZNS1_14partition_implILS5_6ELb0ES3_mN6thrust23THRUST_200600_302600_NS6detail15normal_iteratorINSA_10device_ptrIfEEEEPS6_SG_NS0_5tupleIJSF_S6_EEENSH_IJSG_SG_EEES6_PlJNSB_9not_fun_tI7is_evenIfEEEEEE10hipError_tPvRmT3_T4_T5_T6_T7_T9_mT8_P12ihipStream_tbDpT10_ENKUlT_T0_E_clISt17integral_constantIbLb0EES17_IbLb1EEEEDaS13_S14_EUlS13_E_NS1_11comp_targetILNS1_3genE0ELNS1_11target_archE4294967295ELNS1_3gpuE0ELNS1_3repE0EEENS1_30default_config_static_selectorELNS0_4arch9wavefront6targetE0EEEvT1_
		.amdhsa_group_segment_fixed_size 0
		.amdhsa_private_segment_fixed_size 0
		.amdhsa_kernarg_size 128
		.amdhsa_user_sgpr_count 2
		.amdhsa_user_sgpr_dispatch_ptr 0
		.amdhsa_user_sgpr_queue_ptr 0
		.amdhsa_user_sgpr_kernarg_segment_ptr 1
		.amdhsa_user_sgpr_dispatch_id 0
		.amdhsa_user_sgpr_private_segment_size 0
		.amdhsa_wavefront_size32 1
		.amdhsa_uses_dynamic_stack 0
		.amdhsa_enable_private_segment 0
		.amdhsa_system_sgpr_workgroup_id_x 1
		.amdhsa_system_sgpr_workgroup_id_y 0
		.amdhsa_system_sgpr_workgroup_id_z 0
		.amdhsa_system_sgpr_workgroup_info 0
		.amdhsa_system_vgpr_workitem_id 0
		.amdhsa_next_free_vgpr 1
		.amdhsa_next_free_sgpr 1
		.amdhsa_reserve_vcc 0
		.amdhsa_float_round_mode_32 0
		.amdhsa_float_round_mode_16_64 0
		.amdhsa_float_denorm_mode_32 3
		.amdhsa_float_denorm_mode_16_64 3
		.amdhsa_fp16_overflow 0
		.amdhsa_workgroup_processor_mode 1
		.amdhsa_memory_ordered 1
		.amdhsa_forward_progress 1
		.amdhsa_inst_pref_size 0
		.amdhsa_round_robin_scheduling 0
		.amdhsa_exception_fp_ieee_invalid_op 0
		.amdhsa_exception_fp_denorm_src 0
		.amdhsa_exception_fp_ieee_div_zero 0
		.amdhsa_exception_fp_ieee_overflow 0
		.amdhsa_exception_fp_ieee_underflow 0
		.amdhsa_exception_fp_ieee_inexact 0
		.amdhsa_exception_int_div_zero 0
	.end_amdhsa_kernel
	.section	.text._ZN7rocprim17ROCPRIM_400000_NS6detail17trampoline_kernelINS0_14default_configENS1_25partition_config_selectorILNS1_17partition_subalgoE6EfNS0_10empty_typeEbEEZZNS1_14partition_implILS5_6ELb0ES3_mN6thrust23THRUST_200600_302600_NS6detail15normal_iteratorINSA_10device_ptrIfEEEEPS6_SG_NS0_5tupleIJSF_S6_EEENSH_IJSG_SG_EEES6_PlJNSB_9not_fun_tI7is_evenIfEEEEEE10hipError_tPvRmT3_T4_T5_T6_T7_T9_mT8_P12ihipStream_tbDpT10_ENKUlT_T0_E_clISt17integral_constantIbLb0EES17_IbLb1EEEEDaS13_S14_EUlS13_E_NS1_11comp_targetILNS1_3genE0ELNS1_11target_archE4294967295ELNS1_3gpuE0ELNS1_3repE0EEENS1_30default_config_static_selectorELNS0_4arch9wavefront6targetE0EEEvT1_,"axG",@progbits,_ZN7rocprim17ROCPRIM_400000_NS6detail17trampoline_kernelINS0_14default_configENS1_25partition_config_selectorILNS1_17partition_subalgoE6EfNS0_10empty_typeEbEEZZNS1_14partition_implILS5_6ELb0ES3_mN6thrust23THRUST_200600_302600_NS6detail15normal_iteratorINSA_10device_ptrIfEEEEPS6_SG_NS0_5tupleIJSF_S6_EEENSH_IJSG_SG_EEES6_PlJNSB_9not_fun_tI7is_evenIfEEEEEE10hipError_tPvRmT3_T4_T5_T6_T7_T9_mT8_P12ihipStream_tbDpT10_ENKUlT_T0_E_clISt17integral_constantIbLb0EES17_IbLb1EEEEDaS13_S14_EUlS13_E_NS1_11comp_targetILNS1_3genE0ELNS1_11target_archE4294967295ELNS1_3gpuE0ELNS1_3repE0EEENS1_30default_config_static_selectorELNS0_4arch9wavefront6targetE0EEEvT1_,comdat
.Lfunc_end589:
	.size	_ZN7rocprim17ROCPRIM_400000_NS6detail17trampoline_kernelINS0_14default_configENS1_25partition_config_selectorILNS1_17partition_subalgoE6EfNS0_10empty_typeEbEEZZNS1_14partition_implILS5_6ELb0ES3_mN6thrust23THRUST_200600_302600_NS6detail15normal_iteratorINSA_10device_ptrIfEEEEPS6_SG_NS0_5tupleIJSF_S6_EEENSH_IJSG_SG_EEES6_PlJNSB_9not_fun_tI7is_evenIfEEEEEE10hipError_tPvRmT3_T4_T5_T6_T7_T9_mT8_P12ihipStream_tbDpT10_ENKUlT_T0_E_clISt17integral_constantIbLb0EES17_IbLb1EEEEDaS13_S14_EUlS13_E_NS1_11comp_targetILNS1_3genE0ELNS1_11target_archE4294967295ELNS1_3gpuE0ELNS1_3repE0EEENS1_30default_config_static_selectorELNS0_4arch9wavefront6targetE0EEEvT1_, .Lfunc_end589-_ZN7rocprim17ROCPRIM_400000_NS6detail17trampoline_kernelINS0_14default_configENS1_25partition_config_selectorILNS1_17partition_subalgoE6EfNS0_10empty_typeEbEEZZNS1_14partition_implILS5_6ELb0ES3_mN6thrust23THRUST_200600_302600_NS6detail15normal_iteratorINSA_10device_ptrIfEEEEPS6_SG_NS0_5tupleIJSF_S6_EEENSH_IJSG_SG_EEES6_PlJNSB_9not_fun_tI7is_evenIfEEEEEE10hipError_tPvRmT3_T4_T5_T6_T7_T9_mT8_P12ihipStream_tbDpT10_ENKUlT_T0_E_clISt17integral_constantIbLb0EES17_IbLb1EEEEDaS13_S14_EUlS13_E_NS1_11comp_targetILNS1_3genE0ELNS1_11target_archE4294967295ELNS1_3gpuE0ELNS1_3repE0EEENS1_30default_config_static_selectorELNS0_4arch9wavefront6targetE0EEEvT1_
                                        ; -- End function
	.set _ZN7rocprim17ROCPRIM_400000_NS6detail17trampoline_kernelINS0_14default_configENS1_25partition_config_selectorILNS1_17partition_subalgoE6EfNS0_10empty_typeEbEEZZNS1_14partition_implILS5_6ELb0ES3_mN6thrust23THRUST_200600_302600_NS6detail15normal_iteratorINSA_10device_ptrIfEEEEPS6_SG_NS0_5tupleIJSF_S6_EEENSH_IJSG_SG_EEES6_PlJNSB_9not_fun_tI7is_evenIfEEEEEE10hipError_tPvRmT3_T4_T5_T6_T7_T9_mT8_P12ihipStream_tbDpT10_ENKUlT_T0_E_clISt17integral_constantIbLb0EES17_IbLb1EEEEDaS13_S14_EUlS13_E_NS1_11comp_targetILNS1_3genE0ELNS1_11target_archE4294967295ELNS1_3gpuE0ELNS1_3repE0EEENS1_30default_config_static_selectorELNS0_4arch9wavefront6targetE0EEEvT1_.num_vgpr, 0
	.set _ZN7rocprim17ROCPRIM_400000_NS6detail17trampoline_kernelINS0_14default_configENS1_25partition_config_selectorILNS1_17partition_subalgoE6EfNS0_10empty_typeEbEEZZNS1_14partition_implILS5_6ELb0ES3_mN6thrust23THRUST_200600_302600_NS6detail15normal_iteratorINSA_10device_ptrIfEEEEPS6_SG_NS0_5tupleIJSF_S6_EEENSH_IJSG_SG_EEES6_PlJNSB_9not_fun_tI7is_evenIfEEEEEE10hipError_tPvRmT3_T4_T5_T6_T7_T9_mT8_P12ihipStream_tbDpT10_ENKUlT_T0_E_clISt17integral_constantIbLb0EES17_IbLb1EEEEDaS13_S14_EUlS13_E_NS1_11comp_targetILNS1_3genE0ELNS1_11target_archE4294967295ELNS1_3gpuE0ELNS1_3repE0EEENS1_30default_config_static_selectorELNS0_4arch9wavefront6targetE0EEEvT1_.num_agpr, 0
	.set _ZN7rocprim17ROCPRIM_400000_NS6detail17trampoline_kernelINS0_14default_configENS1_25partition_config_selectorILNS1_17partition_subalgoE6EfNS0_10empty_typeEbEEZZNS1_14partition_implILS5_6ELb0ES3_mN6thrust23THRUST_200600_302600_NS6detail15normal_iteratorINSA_10device_ptrIfEEEEPS6_SG_NS0_5tupleIJSF_S6_EEENSH_IJSG_SG_EEES6_PlJNSB_9not_fun_tI7is_evenIfEEEEEE10hipError_tPvRmT3_T4_T5_T6_T7_T9_mT8_P12ihipStream_tbDpT10_ENKUlT_T0_E_clISt17integral_constantIbLb0EES17_IbLb1EEEEDaS13_S14_EUlS13_E_NS1_11comp_targetILNS1_3genE0ELNS1_11target_archE4294967295ELNS1_3gpuE0ELNS1_3repE0EEENS1_30default_config_static_selectorELNS0_4arch9wavefront6targetE0EEEvT1_.numbered_sgpr, 0
	.set _ZN7rocprim17ROCPRIM_400000_NS6detail17trampoline_kernelINS0_14default_configENS1_25partition_config_selectorILNS1_17partition_subalgoE6EfNS0_10empty_typeEbEEZZNS1_14partition_implILS5_6ELb0ES3_mN6thrust23THRUST_200600_302600_NS6detail15normal_iteratorINSA_10device_ptrIfEEEEPS6_SG_NS0_5tupleIJSF_S6_EEENSH_IJSG_SG_EEES6_PlJNSB_9not_fun_tI7is_evenIfEEEEEE10hipError_tPvRmT3_T4_T5_T6_T7_T9_mT8_P12ihipStream_tbDpT10_ENKUlT_T0_E_clISt17integral_constantIbLb0EES17_IbLb1EEEEDaS13_S14_EUlS13_E_NS1_11comp_targetILNS1_3genE0ELNS1_11target_archE4294967295ELNS1_3gpuE0ELNS1_3repE0EEENS1_30default_config_static_selectorELNS0_4arch9wavefront6targetE0EEEvT1_.num_named_barrier, 0
	.set _ZN7rocprim17ROCPRIM_400000_NS6detail17trampoline_kernelINS0_14default_configENS1_25partition_config_selectorILNS1_17partition_subalgoE6EfNS0_10empty_typeEbEEZZNS1_14partition_implILS5_6ELb0ES3_mN6thrust23THRUST_200600_302600_NS6detail15normal_iteratorINSA_10device_ptrIfEEEEPS6_SG_NS0_5tupleIJSF_S6_EEENSH_IJSG_SG_EEES6_PlJNSB_9not_fun_tI7is_evenIfEEEEEE10hipError_tPvRmT3_T4_T5_T6_T7_T9_mT8_P12ihipStream_tbDpT10_ENKUlT_T0_E_clISt17integral_constantIbLb0EES17_IbLb1EEEEDaS13_S14_EUlS13_E_NS1_11comp_targetILNS1_3genE0ELNS1_11target_archE4294967295ELNS1_3gpuE0ELNS1_3repE0EEENS1_30default_config_static_selectorELNS0_4arch9wavefront6targetE0EEEvT1_.private_seg_size, 0
	.set _ZN7rocprim17ROCPRIM_400000_NS6detail17trampoline_kernelINS0_14default_configENS1_25partition_config_selectorILNS1_17partition_subalgoE6EfNS0_10empty_typeEbEEZZNS1_14partition_implILS5_6ELb0ES3_mN6thrust23THRUST_200600_302600_NS6detail15normal_iteratorINSA_10device_ptrIfEEEEPS6_SG_NS0_5tupleIJSF_S6_EEENSH_IJSG_SG_EEES6_PlJNSB_9not_fun_tI7is_evenIfEEEEEE10hipError_tPvRmT3_T4_T5_T6_T7_T9_mT8_P12ihipStream_tbDpT10_ENKUlT_T0_E_clISt17integral_constantIbLb0EES17_IbLb1EEEEDaS13_S14_EUlS13_E_NS1_11comp_targetILNS1_3genE0ELNS1_11target_archE4294967295ELNS1_3gpuE0ELNS1_3repE0EEENS1_30default_config_static_selectorELNS0_4arch9wavefront6targetE0EEEvT1_.uses_vcc, 0
	.set _ZN7rocprim17ROCPRIM_400000_NS6detail17trampoline_kernelINS0_14default_configENS1_25partition_config_selectorILNS1_17partition_subalgoE6EfNS0_10empty_typeEbEEZZNS1_14partition_implILS5_6ELb0ES3_mN6thrust23THRUST_200600_302600_NS6detail15normal_iteratorINSA_10device_ptrIfEEEEPS6_SG_NS0_5tupleIJSF_S6_EEENSH_IJSG_SG_EEES6_PlJNSB_9not_fun_tI7is_evenIfEEEEEE10hipError_tPvRmT3_T4_T5_T6_T7_T9_mT8_P12ihipStream_tbDpT10_ENKUlT_T0_E_clISt17integral_constantIbLb0EES17_IbLb1EEEEDaS13_S14_EUlS13_E_NS1_11comp_targetILNS1_3genE0ELNS1_11target_archE4294967295ELNS1_3gpuE0ELNS1_3repE0EEENS1_30default_config_static_selectorELNS0_4arch9wavefront6targetE0EEEvT1_.uses_flat_scratch, 0
	.set _ZN7rocprim17ROCPRIM_400000_NS6detail17trampoline_kernelINS0_14default_configENS1_25partition_config_selectorILNS1_17partition_subalgoE6EfNS0_10empty_typeEbEEZZNS1_14partition_implILS5_6ELb0ES3_mN6thrust23THRUST_200600_302600_NS6detail15normal_iteratorINSA_10device_ptrIfEEEEPS6_SG_NS0_5tupleIJSF_S6_EEENSH_IJSG_SG_EEES6_PlJNSB_9not_fun_tI7is_evenIfEEEEEE10hipError_tPvRmT3_T4_T5_T6_T7_T9_mT8_P12ihipStream_tbDpT10_ENKUlT_T0_E_clISt17integral_constantIbLb0EES17_IbLb1EEEEDaS13_S14_EUlS13_E_NS1_11comp_targetILNS1_3genE0ELNS1_11target_archE4294967295ELNS1_3gpuE0ELNS1_3repE0EEENS1_30default_config_static_selectorELNS0_4arch9wavefront6targetE0EEEvT1_.has_dyn_sized_stack, 0
	.set _ZN7rocprim17ROCPRIM_400000_NS6detail17trampoline_kernelINS0_14default_configENS1_25partition_config_selectorILNS1_17partition_subalgoE6EfNS0_10empty_typeEbEEZZNS1_14partition_implILS5_6ELb0ES3_mN6thrust23THRUST_200600_302600_NS6detail15normal_iteratorINSA_10device_ptrIfEEEEPS6_SG_NS0_5tupleIJSF_S6_EEENSH_IJSG_SG_EEES6_PlJNSB_9not_fun_tI7is_evenIfEEEEEE10hipError_tPvRmT3_T4_T5_T6_T7_T9_mT8_P12ihipStream_tbDpT10_ENKUlT_T0_E_clISt17integral_constantIbLb0EES17_IbLb1EEEEDaS13_S14_EUlS13_E_NS1_11comp_targetILNS1_3genE0ELNS1_11target_archE4294967295ELNS1_3gpuE0ELNS1_3repE0EEENS1_30default_config_static_selectorELNS0_4arch9wavefront6targetE0EEEvT1_.has_recursion, 0
	.set _ZN7rocprim17ROCPRIM_400000_NS6detail17trampoline_kernelINS0_14default_configENS1_25partition_config_selectorILNS1_17partition_subalgoE6EfNS0_10empty_typeEbEEZZNS1_14partition_implILS5_6ELb0ES3_mN6thrust23THRUST_200600_302600_NS6detail15normal_iteratorINSA_10device_ptrIfEEEEPS6_SG_NS0_5tupleIJSF_S6_EEENSH_IJSG_SG_EEES6_PlJNSB_9not_fun_tI7is_evenIfEEEEEE10hipError_tPvRmT3_T4_T5_T6_T7_T9_mT8_P12ihipStream_tbDpT10_ENKUlT_T0_E_clISt17integral_constantIbLb0EES17_IbLb1EEEEDaS13_S14_EUlS13_E_NS1_11comp_targetILNS1_3genE0ELNS1_11target_archE4294967295ELNS1_3gpuE0ELNS1_3repE0EEENS1_30default_config_static_selectorELNS0_4arch9wavefront6targetE0EEEvT1_.has_indirect_call, 0
	.section	.AMDGPU.csdata,"",@progbits
; Kernel info:
; codeLenInByte = 0
; TotalNumSgprs: 0
; NumVgprs: 0
; ScratchSize: 0
; MemoryBound: 0
; FloatMode: 240
; IeeeMode: 1
; LDSByteSize: 0 bytes/workgroup (compile time only)
; SGPRBlocks: 0
; VGPRBlocks: 0
; NumSGPRsForWavesPerEU: 1
; NumVGPRsForWavesPerEU: 1
; Occupancy: 16
; WaveLimiterHint : 0
; COMPUTE_PGM_RSRC2:SCRATCH_EN: 0
; COMPUTE_PGM_RSRC2:USER_SGPR: 2
; COMPUTE_PGM_RSRC2:TRAP_HANDLER: 0
; COMPUTE_PGM_RSRC2:TGID_X_EN: 1
; COMPUTE_PGM_RSRC2:TGID_Y_EN: 0
; COMPUTE_PGM_RSRC2:TGID_Z_EN: 0
; COMPUTE_PGM_RSRC2:TIDIG_COMP_CNT: 0
	.section	.text._ZN7rocprim17ROCPRIM_400000_NS6detail17trampoline_kernelINS0_14default_configENS1_25partition_config_selectorILNS1_17partition_subalgoE6EfNS0_10empty_typeEbEEZZNS1_14partition_implILS5_6ELb0ES3_mN6thrust23THRUST_200600_302600_NS6detail15normal_iteratorINSA_10device_ptrIfEEEEPS6_SG_NS0_5tupleIJSF_S6_EEENSH_IJSG_SG_EEES6_PlJNSB_9not_fun_tI7is_evenIfEEEEEE10hipError_tPvRmT3_T4_T5_T6_T7_T9_mT8_P12ihipStream_tbDpT10_ENKUlT_T0_E_clISt17integral_constantIbLb0EES17_IbLb1EEEEDaS13_S14_EUlS13_E_NS1_11comp_targetILNS1_3genE5ELNS1_11target_archE942ELNS1_3gpuE9ELNS1_3repE0EEENS1_30default_config_static_selectorELNS0_4arch9wavefront6targetE0EEEvT1_,"axG",@progbits,_ZN7rocprim17ROCPRIM_400000_NS6detail17trampoline_kernelINS0_14default_configENS1_25partition_config_selectorILNS1_17partition_subalgoE6EfNS0_10empty_typeEbEEZZNS1_14partition_implILS5_6ELb0ES3_mN6thrust23THRUST_200600_302600_NS6detail15normal_iteratorINSA_10device_ptrIfEEEEPS6_SG_NS0_5tupleIJSF_S6_EEENSH_IJSG_SG_EEES6_PlJNSB_9not_fun_tI7is_evenIfEEEEEE10hipError_tPvRmT3_T4_T5_T6_T7_T9_mT8_P12ihipStream_tbDpT10_ENKUlT_T0_E_clISt17integral_constantIbLb0EES17_IbLb1EEEEDaS13_S14_EUlS13_E_NS1_11comp_targetILNS1_3genE5ELNS1_11target_archE942ELNS1_3gpuE9ELNS1_3repE0EEENS1_30default_config_static_selectorELNS0_4arch9wavefront6targetE0EEEvT1_,comdat
	.protected	_ZN7rocprim17ROCPRIM_400000_NS6detail17trampoline_kernelINS0_14default_configENS1_25partition_config_selectorILNS1_17partition_subalgoE6EfNS0_10empty_typeEbEEZZNS1_14partition_implILS5_6ELb0ES3_mN6thrust23THRUST_200600_302600_NS6detail15normal_iteratorINSA_10device_ptrIfEEEEPS6_SG_NS0_5tupleIJSF_S6_EEENSH_IJSG_SG_EEES6_PlJNSB_9not_fun_tI7is_evenIfEEEEEE10hipError_tPvRmT3_T4_T5_T6_T7_T9_mT8_P12ihipStream_tbDpT10_ENKUlT_T0_E_clISt17integral_constantIbLb0EES17_IbLb1EEEEDaS13_S14_EUlS13_E_NS1_11comp_targetILNS1_3genE5ELNS1_11target_archE942ELNS1_3gpuE9ELNS1_3repE0EEENS1_30default_config_static_selectorELNS0_4arch9wavefront6targetE0EEEvT1_ ; -- Begin function _ZN7rocprim17ROCPRIM_400000_NS6detail17trampoline_kernelINS0_14default_configENS1_25partition_config_selectorILNS1_17partition_subalgoE6EfNS0_10empty_typeEbEEZZNS1_14partition_implILS5_6ELb0ES3_mN6thrust23THRUST_200600_302600_NS6detail15normal_iteratorINSA_10device_ptrIfEEEEPS6_SG_NS0_5tupleIJSF_S6_EEENSH_IJSG_SG_EEES6_PlJNSB_9not_fun_tI7is_evenIfEEEEEE10hipError_tPvRmT3_T4_T5_T6_T7_T9_mT8_P12ihipStream_tbDpT10_ENKUlT_T0_E_clISt17integral_constantIbLb0EES17_IbLb1EEEEDaS13_S14_EUlS13_E_NS1_11comp_targetILNS1_3genE5ELNS1_11target_archE942ELNS1_3gpuE9ELNS1_3repE0EEENS1_30default_config_static_selectorELNS0_4arch9wavefront6targetE0EEEvT1_
	.globl	_ZN7rocprim17ROCPRIM_400000_NS6detail17trampoline_kernelINS0_14default_configENS1_25partition_config_selectorILNS1_17partition_subalgoE6EfNS0_10empty_typeEbEEZZNS1_14partition_implILS5_6ELb0ES3_mN6thrust23THRUST_200600_302600_NS6detail15normal_iteratorINSA_10device_ptrIfEEEEPS6_SG_NS0_5tupleIJSF_S6_EEENSH_IJSG_SG_EEES6_PlJNSB_9not_fun_tI7is_evenIfEEEEEE10hipError_tPvRmT3_T4_T5_T6_T7_T9_mT8_P12ihipStream_tbDpT10_ENKUlT_T0_E_clISt17integral_constantIbLb0EES17_IbLb1EEEEDaS13_S14_EUlS13_E_NS1_11comp_targetILNS1_3genE5ELNS1_11target_archE942ELNS1_3gpuE9ELNS1_3repE0EEENS1_30default_config_static_selectorELNS0_4arch9wavefront6targetE0EEEvT1_
	.p2align	8
	.type	_ZN7rocprim17ROCPRIM_400000_NS6detail17trampoline_kernelINS0_14default_configENS1_25partition_config_selectorILNS1_17partition_subalgoE6EfNS0_10empty_typeEbEEZZNS1_14partition_implILS5_6ELb0ES3_mN6thrust23THRUST_200600_302600_NS6detail15normal_iteratorINSA_10device_ptrIfEEEEPS6_SG_NS0_5tupleIJSF_S6_EEENSH_IJSG_SG_EEES6_PlJNSB_9not_fun_tI7is_evenIfEEEEEE10hipError_tPvRmT3_T4_T5_T6_T7_T9_mT8_P12ihipStream_tbDpT10_ENKUlT_T0_E_clISt17integral_constantIbLb0EES17_IbLb1EEEEDaS13_S14_EUlS13_E_NS1_11comp_targetILNS1_3genE5ELNS1_11target_archE942ELNS1_3gpuE9ELNS1_3repE0EEENS1_30default_config_static_selectorELNS0_4arch9wavefront6targetE0EEEvT1_,@function
_ZN7rocprim17ROCPRIM_400000_NS6detail17trampoline_kernelINS0_14default_configENS1_25partition_config_selectorILNS1_17partition_subalgoE6EfNS0_10empty_typeEbEEZZNS1_14partition_implILS5_6ELb0ES3_mN6thrust23THRUST_200600_302600_NS6detail15normal_iteratorINSA_10device_ptrIfEEEEPS6_SG_NS0_5tupleIJSF_S6_EEENSH_IJSG_SG_EEES6_PlJNSB_9not_fun_tI7is_evenIfEEEEEE10hipError_tPvRmT3_T4_T5_T6_T7_T9_mT8_P12ihipStream_tbDpT10_ENKUlT_T0_E_clISt17integral_constantIbLb0EES17_IbLb1EEEEDaS13_S14_EUlS13_E_NS1_11comp_targetILNS1_3genE5ELNS1_11target_archE942ELNS1_3gpuE9ELNS1_3repE0EEENS1_30default_config_static_selectorELNS0_4arch9wavefront6targetE0EEEvT1_: ; @_ZN7rocprim17ROCPRIM_400000_NS6detail17trampoline_kernelINS0_14default_configENS1_25partition_config_selectorILNS1_17partition_subalgoE6EfNS0_10empty_typeEbEEZZNS1_14partition_implILS5_6ELb0ES3_mN6thrust23THRUST_200600_302600_NS6detail15normal_iteratorINSA_10device_ptrIfEEEEPS6_SG_NS0_5tupleIJSF_S6_EEENSH_IJSG_SG_EEES6_PlJNSB_9not_fun_tI7is_evenIfEEEEEE10hipError_tPvRmT3_T4_T5_T6_T7_T9_mT8_P12ihipStream_tbDpT10_ENKUlT_T0_E_clISt17integral_constantIbLb0EES17_IbLb1EEEEDaS13_S14_EUlS13_E_NS1_11comp_targetILNS1_3genE5ELNS1_11target_archE942ELNS1_3gpuE9ELNS1_3repE0EEENS1_30default_config_static_selectorELNS0_4arch9wavefront6targetE0EEEvT1_
; %bb.0:
	.section	.rodata,"a",@progbits
	.p2align	6, 0x0
	.amdhsa_kernel _ZN7rocprim17ROCPRIM_400000_NS6detail17trampoline_kernelINS0_14default_configENS1_25partition_config_selectorILNS1_17partition_subalgoE6EfNS0_10empty_typeEbEEZZNS1_14partition_implILS5_6ELb0ES3_mN6thrust23THRUST_200600_302600_NS6detail15normal_iteratorINSA_10device_ptrIfEEEEPS6_SG_NS0_5tupleIJSF_S6_EEENSH_IJSG_SG_EEES6_PlJNSB_9not_fun_tI7is_evenIfEEEEEE10hipError_tPvRmT3_T4_T5_T6_T7_T9_mT8_P12ihipStream_tbDpT10_ENKUlT_T0_E_clISt17integral_constantIbLb0EES17_IbLb1EEEEDaS13_S14_EUlS13_E_NS1_11comp_targetILNS1_3genE5ELNS1_11target_archE942ELNS1_3gpuE9ELNS1_3repE0EEENS1_30default_config_static_selectorELNS0_4arch9wavefront6targetE0EEEvT1_
		.amdhsa_group_segment_fixed_size 0
		.amdhsa_private_segment_fixed_size 0
		.amdhsa_kernarg_size 128
		.amdhsa_user_sgpr_count 2
		.amdhsa_user_sgpr_dispatch_ptr 0
		.amdhsa_user_sgpr_queue_ptr 0
		.amdhsa_user_sgpr_kernarg_segment_ptr 1
		.amdhsa_user_sgpr_dispatch_id 0
		.amdhsa_user_sgpr_private_segment_size 0
		.amdhsa_wavefront_size32 1
		.amdhsa_uses_dynamic_stack 0
		.amdhsa_enable_private_segment 0
		.amdhsa_system_sgpr_workgroup_id_x 1
		.amdhsa_system_sgpr_workgroup_id_y 0
		.amdhsa_system_sgpr_workgroup_id_z 0
		.amdhsa_system_sgpr_workgroup_info 0
		.amdhsa_system_vgpr_workitem_id 0
		.amdhsa_next_free_vgpr 1
		.amdhsa_next_free_sgpr 1
		.amdhsa_reserve_vcc 0
		.amdhsa_float_round_mode_32 0
		.amdhsa_float_round_mode_16_64 0
		.amdhsa_float_denorm_mode_32 3
		.amdhsa_float_denorm_mode_16_64 3
		.amdhsa_fp16_overflow 0
		.amdhsa_workgroup_processor_mode 1
		.amdhsa_memory_ordered 1
		.amdhsa_forward_progress 1
		.amdhsa_inst_pref_size 0
		.amdhsa_round_robin_scheduling 0
		.amdhsa_exception_fp_ieee_invalid_op 0
		.amdhsa_exception_fp_denorm_src 0
		.amdhsa_exception_fp_ieee_div_zero 0
		.amdhsa_exception_fp_ieee_overflow 0
		.amdhsa_exception_fp_ieee_underflow 0
		.amdhsa_exception_fp_ieee_inexact 0
		.amdhsa_exception_int_div_zero 0
	.end_amdhsa_kernel
	.section	.text._ZN7rocprim17ROCPRIM_400000_NS6detail17trampoline_kernelINS0_14default_configENS1_25partition_config_selectorILNS1_17partition_subalgoE6EfNS0_10empty_typeEbEEZZNS1_14partition_implILS5_6ELb0ES3_mN6thrust23THRUST_200600_302600_NS6detail15normal_iteratorINSA_10device_ptrIfEEEEPS6_SG_NS0_5tupleIJSF_S6_EEENSH_IJSG_SG_EEES6_PlJNSB_9not_fun_tI7is_evenIfEEEEEE10hipError_tPvRmT3_T4_T5_T6_T7_T9_mT8_P12ihipStream_tbDpT10_ENKUlT_T0_E_clISt17integral_constantIbLb0EES17_IbLb1EEEEDaS13_S14_EUlS13_E_NS1_11comp_targetILNS1_3genE5ELNS1_11target_archE942ELNS1_3gpuE9ELNS1_3repE0EEENS1_30default_config_static_selectorELNS0_4arch9wavefront6targetE0EEEvT1_,"axG",@progbits,_ZN7rocprim17ROCPRIM_400000_NS6detail17trampoline_kernelINS0_14default_configENS1_25partition_config_selectorILNS1_17partition_subalgoE6EfNS0_10empty_typeEbEEZZNS1_14partition_implILS5_6ELb0ES3_mN6thrust23THRUST_200600_302600_NS6detail15normal_iteratorINSA_10device_ptrIfEEEEPS6_SG_NS0_5tupleIJSF_S6_EEENSH_IJSG_SG_EEES6_PlJNSB_9not_fun_tI7is_evenIfEEEEEE10hipError_tPvRmT3_T4_T5_T6_T7_T9_mT8_P12ihipStream_tbDpT10_ENKUlT_T0_E_clISt17integral_constantIbLb0EES17_IbLb1EEEEDaS13_S14_EUlS13_E_NS1_11comp_targetILNS1_3genE5ELNS1_11target_archE942ELNS1_3gpuE9ELNS1_3repE0EEENS1_30default_config_static_selectorELNS0_4arch9wavefront6targetE0EEEvT1_,comdat
.Lfunc_end590:
	.size	_ZN7rocprim17ROCPRIM_400000_NS6detail17trampoline_kernelINS0_14default_configENS1_25partition_config_selectorILNS1_17partition_subalgoE6EfNS0_10empty_typeEbEEZZNS1_14partition_implILS5_6ELb0ES3_mN6thrust23THRUST_200600_302600_NS6detail15normal_iteratorINSA_10device_ptrIfEEEEPS6_SG_NS0_5tupleIJSF_S6_EEENSH_IJSG_SG_EEES6_PlJNSB_9not_fun_tI7is_evenIfEEEEEE10hipError_tPvRmT3_T4_T5_T6_T7_T9_mT8_P12ihipStream_tbDpT10_ENKUlT_T0_E_clISt17integral_constantIbLb0EES17_IbLb1EEEEDaS13_S14_EUlS13_E_NS1_11comp_targetILNS1_3genE5ELNS1_11target_archE942ELNS1_3gpuE9ELNS1_3repE0EEENS1_30default_config_static_selectorELNS0_4arch9wavefront6targetE0EEEvT1_, .Lfunc_end590-_ZN7rocprim17ROCPRIM_400000_NS6detail17trampoline_kernelINS0_14default_configENS1_25partition_config_selectorILNS1_17partition_subalgoE6EfNS0_10empty_typeEbEEZZNS1_14partition_implILS5_6ELb0ES3_mN6thrust23THRUST_200600_302600_NS6detail15normal_iteratorINSA_10device_ptrIfEEEEPS6_SG_NS0_5tupleIJSF_S6_EEENSH_IJSG_SG_EEES6_PlJNSB_9not_fun_tI7is_evenIfEEEEEE10hipError_tPvRmT3_T4_T5_T6_T7_T9_mT8_P12ihipStream_tbDpT10_ENKUlT_T0_E_clISt17integral_constantIbLb0EES17_IbLb1EEEEDaS13_S14_EUlS13_E_NS1_11comp_targetILNS1_3genE5ELNS1_11target_archE942ELNS1_3gpuE9ELNS1_3repE0EEENS1_30default_config_static_selectorELNS0_4arch9wavefront6targetE0EEEvT1_
                                        ; -- End function
	.set _ZN7rocprim17ROCPRIM_400000_NS6detail17trampoline_kernelINS0_14default_configENS1_25partition_config_selectorILNS1_17partition_subalgoE6EfNS0_10empty_typeEbEEZZNS1_14partition_implILS5_6ELb0ES3_mN6thrust23THRUST_200600_302600_NS6detail15normal_iteratorINSA_10device_ptrIfEEEEPS6_SG_NS0_5tupleIJSF_S6_EEENSH_IJSG_SG_EEES6_PlJNSB_9not_fun_tI7is_evenIfEEEEEE10hipError_tPvRmT3_T4_T5_T6_T7_T9_mT8_P12ihipStream_tbDpT10_ENKUlT_T0_E_clISt17integral_constantIbLb0EES17_IbLb1EEEEDaS13_S14_EUlS13_E_NS1_11comp_targetILNS1_3genE5ELNS1_11target_archE942ELNS1_3gpuE9ELNS1_3repE0EEENS1_30default_config_static_selectorELNS0_4arch9wavefront6targetE0EEEvT1_.num_vgpr, 0
	.set _ZN7rocprim17ROCPRIM_400000_NS6detail17trampoline_kernelINS0_14default_configENS1_25partition_config_selectorILNS1_17partition_subalgoE6EfNS0_10empty_typeEbEEZZNS1_14partition_implILS5_6ELb0ES3_mN6thrust23THRUST_200600_302600_NS6detail15normal_iteratorINSA_10device_ptrIfEEEEPS6_SG_NS0_5tupleIJSF_S6_EEENSH_IJSG_SG_EEES6_PlJNSB_9not_fun_tI7is_evenIfEEEEEE10hipError_tPvRmT3_T4_T5_T6_T7_T9_mT8_P12ihipStream_tbDpT10_ENKUlT_T0_E_clISt17integral_constantIbLb0EES17_IbLb1EEEEDaS13_S14_EUlS13_E_NS1_11comp_targetILNS1_3genE5ELNS1_11target_archE942ELNS1_3gpuE9ELNS1_3repE0EEENS1_30default_config_static_selectorELNS0_4arch9wavefront6targetE0EEEvT1_.num_agpr, 0
	.set _ZN7rocprim17ROCPRIM_400000_NS6detail17trampoline_kernelINS0_14default_configENS1_25partition_config_selectorILNS1_17partition_subalgoE6EfNS0_10empty_typeEbEEZZNS1_14partition_implILS5_6ELb0ES3_mN6thrust23THRUST_200600_302600_NS6detail15normal_iteratorINSA_10device_ptrIfEEEEPS6_SG_NS0_5tupleIJSF_S6_EEENSH_IJSG_SG_EEES6_PlJNSB_9not_fun_tI7is_evenIfEEEEEE10hipError_tPvRmT3_T4_T5_T6_T7_T9_mT8_P12ihipStream_tbDpT10_ENKUlT_T0_E_clISt17integral_constantIbLb0EES17_IbLb1EEEEDaS13_S14_EUlS13_E_NS1_11comp_targetILNS1_3genE5ELNS1_11target_archE942ELNS1_3gpuE9ELNS1_3repE0EEENS1_30default_config_static_selectorELNS0_4arch9wavefront6targetE0EEEvT1_.numbered_sgpr, 0
	.set _ZN7rocprim17ROCPRIM_400000_NS6detail17trampoline_kernelINS0_14default_configENS1_25partition_config_selectorILNS1_17partition_subalgoE6EfNS0_10empty_typeEbEEZZNS1_14partition_implILS5_6ELb0ES3_mN6thrust23THRUST_200600_302600_NS6detail15normal_iteratorINSA_10device_ptrIfEEEEPS6_SG_NS0_5tupleIJSF_S6_EEENSH_IJSG_SG_EEES6_PlJNSB_9not_fun_tI7is_evenIfEEEEEE10hipError_tPvRmT3_T4_T5_T6_T7_T9_mT8_P12ihipStream_tbDpT10_ENKUlT_T0_E_clISt17integral_constantIbLb0EES17_IbLb1EEEEDaS13_S14_EUlS13_E_NS1_11comp_targetILNS1_3genE5ELNS1_11target_archE942ELNS1_3gpuE9ELNS1_3repE0EEENS1_30default_config_static_selectorELNS0_4arch9wavefront6targetE0EEEvT1_.num_named_barrier, 0
	.set _ZN7rocprim17ROCPRIM_400000_NS6detail17trampoline_kernelINS0_14default_configENS1_25partition_config_selectorILNS1_17partition_subalgoE6EfNS0_10empty_typeEbEEZZNS1_14partition_implILS5_6ELb0ES3_mN6thrust23THRUST_200600_302600_NS6detail15normal_iteratorINSA_10device_ptrIfEEEEPS6_SG_NS0_5tupleIJSF_S6_EEENSH_IJSG_SG_EEES6_PlJNSB_9not_fun_tI7is_evenIfEEEEEE10hipError_tPvRmT3_T4_T5_T6_T7_T9_mT8_P12ihipStream_tbDpT10_ENKUlT_T0_E_clISt17integral_constantIbLb0EES17_IbLb1EEEEDaS13_S14_EUlS13_E_NS1_11comp_targetILNS1_3genE5ELNS1_11target_archE942ELNS1_3gpuE9ELNS1_3repE0EEENS1_30default_config_static_selectorELNS0_4arch9wavefront6targetE0EEEvT1_.private_seg_size, 0
	.set _ZN7rocprim17ROCPRIM_400000_NS6detail17trampoline_kernelINS0_14default_configENS1_25partition_config_selectorILNS1_17partition_subalgoE6EfNS0_10empty_typeEbEEZZNS1_14partition_implILS5_6ELb0ES3_mN6thrust23THRUST_200600_302600_NS6detail15normal_iteratorINSA_10device_ptrIfEEEEPS6_SG_NS0_5tupleIJSF_S6_EEENSH_IJSG_SG_EEES6_PlJNSB_9not_fun_tI7is_evenIfEEEEEE10hipError_tPvRmT3_T4_T5_T6_T7_T9_mT8_P12ihipStream_tbDpT10_ENKUlT_T0_E_clISt17integral_constantIbLb0EES17_IbLb1EEEEDaS13_S14_EUlS13_E_NS1_11comp_targetILNS1_3genE5ELNS1_11target_archE942ELNS1_3gpuE9ELNS1_3repE0EEENS1_30default_config_static_selectorELNS0_4arch9wavefront6targetE0EEEvT1_.uses_vcc, 0
	.set _ZN7rocprim17ROCPRIM_400000_NS6detail17trampoline_kernelINS0_14default_configENS1_25partition_config_selectorILNS1_17partition_subalgoE6EfNS0_10empty_typeEbEEZZNS1_14partition_implILS5_6ELb0ES3_mN6thrust23THRUST_200600_302600_NS6detail15normal_iteratorINSA_10device_ptrIfEEEEPS6_SG_NS0_5tupleIJSF_S6_EEENSH_IJSG_SG_EEES6_PlJNSB_9not_fun_tI7is_evenIfEEEEEE10hipError_tPvRmT3_T4_T5_T6_T7_T9_mT8_P12ihipStream_tbDpT10_ENKUlT_T0_E_clISt17integral_constantIbLb0EES17_IbLb1EEEEDaS13_S14_EUlS13_E_NS1_11comp_targetILNS1_3genE5ELNS1_11target_archE942ELNS1_3gpuE9ELNS1_3repE0EEENS1_30default_config_static_selectorELNS0_4arch9wavefront6targetE0EEEvT1_.uses_flat_scratch, 0
	.set _ZN7rocprim17ROCPRIM_400000_NS6detail17trampoline_kernelINS0_14default_configENS1_25partition_config_selectorILNS1_17partition_subalgoE6EfNS0_10empty_typeEbEEZZNS1_14partition_implILS5_6ELb0ES3_mN6thrust23THRUST_200600_302600_NS6detail15normal_iteratorINSA_10device_ptrIfEEEEPS6_SG_NS0_5tupleIJSF_S6_EEENSH_IJSG_SG_EEES6_PlJNSB_9not_fun_tI7is_evenIfEEEEEE10hipError_tPvRmT3_T4_T5_T6_T7_T9_mT8_P12ihipStream_tbDpT10_ENKUlT_T0_E_clISt17integral_constantIbLb0EES17_IbLb1EEEEDaS13_S14_EUlS13_E_NS1_11comp_targetILNS1_3genE5ELNS1_11target_archE942ELNS1_3gpuE9ELNS1_3repE0EEENS1_30default_config_static_selectorELNS0_4arch9wavefront6targetE0EEEvT1_.has_dyn_sized_stack, 0
	.set _ZN7rocprim17ROCPRIM_400000_NS6detail17trampoline_kernelINS0_14default_configENS1_25partition_config_selectorILNS1_17partition_subalgoE6EfNS0_10empty_typeEbEEZZNS1_14partition_implILS5_6ELb0ES3_mN6thrust23THRUST_200600_302600_NS6detail15normal_iteratorINSA_10device_ptrIfEEEEPS6_SG_NS0_5tupleIJSF_S6_EEENSH_IJSG_SG_EEES6_PlJNSB_9not_fun_tI7is_evenIfEEEEEE10hipError_tPvRmT3_T4_T5_T6_T7_T9_mT8_P12ihipStream_tbDpT10_ENKUlT_T0_E_clISt17integral_constantIbLb0EES17_IbLb1EEEEDaS13_S14_EUlS13_E_NS1_11comp_targetILNS1_3genE5ELNS1_11target_archE942ELNS1_3gpuE9ELNS1_3repE0EEENS1_30default_config_static_selectorELNS0_4arch9wavefront6targetE0EEEvT1_.has_recursion, 0
	.set _ZN7rocprim17ROCPRIM_400000_NS6detail17trampoline_kernelINS0_14default_configENS1_25partition_config_selectorILNS1_17partition_subalgoE6EfNS0_10empty_typeEbEEZZNS1_14partition_implILS5_6ELb0ES3_mN6thrust23THRUST_200600_302600_NS6detail15normal_iteratorINSA_10device_ptrIfEEEEPS6_SG_NS0_5tupleIJSF_S6_EEENSH_IJSG_SG_EEES6_PlJNSB_9not_fun_tI7is_evenIfEEEEEE10hipError_tPvRmT3_T4_T5_T6_T7_T9_mT8_P12ihipStream_tbDpT10_ENKUlT_T0_E_clISt17integral_constantIbLb0EES17_IbLb1EEEEDaS13_S14_EUlS13_E_NS1_11comp_targetILNS1_3genE5ELNS1_11target_archE942ELNS1_3gpuE9ELNS1_3repE0EEENS1_30default_config_static_selectorELNS0_4arch9wavefront6targetE0EEEvT1_.has_indirect_call, 0
	.section	.AMDGPU.csdata,"",@progbits
; Kernel info:
; codeLenInByte = 0
; TotalNumSgprs: 0
; NumVgprs: 0
; ScratchSize: 0
; MemoryBound: 0
; FloatMode: 240
; IeeeMode: 1
; LDSByteSize: 0 bytes/workgroup (compile time only)
; SGPRBlocks: 0
; VGPRBlocks: 0
; NumSGPRsForWavesPerEU: 1
; NumVGPRsForWavesPerEU: 1
; Occupancy: 16
; WaveLimiterHint : 0
; COMPUTE_PGM_RSRC2:SCRATCH_EN: 0
; COMPUTE_PGM_RSRC2:USER_SGPR: 2
; COMPUTE_PGM_RSRC2:TRAP_HANDLER: 0
; COMPUTE_PGM_RSRC2:TGID_X_EN: 1
; COMPUTE_PGM_RSRC2:TGID_Y_EN: 0
; COMPUTE_PGM_RSRC2:TGID_Z_EN: 0
; COMPUTE_PGM_RSRC2:TIDIG_COMP_CNT: 0
	.section	.text._ZN7rocprim17ROCPRIM_400000_NS6detail17trampoline_kernelINS0_14default_configENS1_25partition_config_selectorILNS1_17partition_subalgoE6EfNS0_10empty_typeEbEEZZNS1_14partition_implILS5_6ELb0ES3_mN6thrust23THRUST_200600_302600_NS6detail15normal_iteratorINSA_10device_ptrIfEEEEPS6_SG_NS0_5tupleIJSF_S6_EEENSH_IJSG_SG_EEES6_PlJNSB_9not_fun_tI7is_evenIfEEEEEE10hipError_tPvRmT3_T4_T5_T6_T7_T9_mT8_P12ihipStream_tbDpT10_ENKUlT_T0_E_clISt17integral_constantIbLb0EES17_IbLb1EEEEDaS13_S14_EUlS13_E_NS1_11comp_targetILNS1_3genE4ELNS1_11target_archE910ELNS1_3gpuE8ELNS1_3repE0EEENS1_30default_config_static_selectorELNS0_4arch9wavefront6targetE0EEEvT1_,"axG",@progbits,_ZN7rocprim17ROCPRIM_400000_NS6detail17trampoline_kernelINS0_14default_configENS1_25partition_config_selectorILNS1_17partition_subalgoE6EfNS0_10empty_typeEbEEZZNS1_14partition_implILS5_6ELb0ES3_mN6thrust23THRUST_200600_302600_NS6detail15normal_iteratorINSA_10device_ptrIfEEEEPS6_SG_NS0_5tupleIJSF_S6_EEENSH_IJSG_SG_EEES6_PlJNSB_9not_fun_tI7is_evenIfEEEEEE10hipError_tPvRmT3_T4_T5_T6_T7_T9_mT8_P12ihipStream_tbDpT10_ENKUlT_T0_E_clISt17integral_constantIbLb0EES17_IbLb1EEEEDaS13_S14_EUlS13_E_NS1_11comp_targetILNS1_3genE4ELNS1_11target_archE910ELNS1_3gpuE8ELNS1_3repE0EEENS1_30default_config_static_selectorELNS0_4arch9wavefront6targetE0EEEvT1_,comdat
	.protected	_ZN7rocprim17ROCPRIM_400000_NS6detail17trampoline_kernelINS0_14default_configENS1_25partition_config_selectorILNS1_17partition_subalgoE6EfNS0_10empty_typeEbEEZZNS1_14partition_implILS5_6ELb0ES3_mN6thrust23THRUST_200600_302600_NS6detail15normal_iteratorINSA_10device_ptrIfEEEEPS6_SG_NS0_5tupleIJSF_S6_EEENSH_IJSG_SG_EEES6_PlJNSB_9not_fun_tI7is_evenIfEEEEEE10hipError_tPvRmT3_T4_T5_T6_T7_T9_mT8_P12ihipStream_tbDpT10_ENKUlT_T0_E_clISt17integral_constantIbLb0EES17_IbLb1EEEEDaS13_S14_EUlS13_E_NS1_11comp_targetILNS1_3genE4ELNS1_11target_archE910ELNS1_3gpuE8ELNS1_3repE0EEENS1_30default_config_static_selectorELNS0_4arch9wavefront6targetE0EEEvT1_ ; -- Begin function _ZN7rocprim17ROCPRIM_400000_NS6detail17trampoline_kernelINS0_14default_configENS1_25partition_config_selectorILNS1_17partition_subalgoE6EfNS0_10empty_typeEbEEZZNS1_14partition_implILS5_6ELb0ES3_mN6thrust23THRUST_200600_302600_NS6detail15normal_iteratorINSA_10device_ptrIfEEEEPS6_SG_NS0_5tupleIJSF_S6_EEENSH_IJSG_SG_EEES6_PlJNSB_9not_fun_tI7is_evenIfEEEEEE10hipError_tPvRmT3_T4_T5_T6_T7_T9_mT8_P12ihipStream_tbDpT10_ENKUlT_T0_E_clISt17integral_constantIbLb0EES17_IbLb1EEEEDaS13_S14_EUlS13_E_NS1_11comp_targetILNS1_3genE4ELNS1_11target_archE910ELNS1_3gpuE8ELNS1_3repE0EEENS1_30default_config_static_selectorELNS0_4arch9wavefront6targetE0EEEvT1_
	.globl	_ZN7rocprim17ROCPRIM_400000_NS6detail17trampoline_kernelINS0_14default_configENS1_25partition_config_selectorILNS1_17partition_subalgoE6EfNS0_10empty_typeEbEEZZNS1_14partition_implILS5_6ELb0ES3_mN6thrust23THRUST_200600_302600_NS6detail15normal_iteratorINSA_10device_ptrIfEEEEPS6_SG_NS0_5tupleIJSF_S6_EEENSH_IJSG_SG_EEES6_PlJNSB_9not_fun_tI7is_evenIfEEEEEE10hipError_tPvRmT3_T4_T5_T6_T7_T9_mT8_P12ihipStream_tbDpT10_ENKUlT_T0_E_clISt17integral_constantIbLb0EES17_IbLb1EEEEDaS13_S14_EUlS13_E_NS1_11comp_targetILNS1_3genE4ELNS1_11target_archE910ELNS1_3gpuE8ELNS1_3repE0EEENS1_30default_config_static_selectorELNS0_4arch9wavefront6targetE0EEEvT1_
	.p2align	8
	.type	_ZN7rocprim17ROCPRIM_400000_NS6detail17trampoline_kernelINS0_14default_configENS1_25partition_config_selectorILNS1_17partition_subalgoE6EfNS0_10empty_typeEbEEZZNS1_14partition_implILS5_6ELb0ES3_mN6thrust23THRUST_200600_302600_NS6detail15normal_iteratorINSA_10device_ptrIfEEEEPS6_SG_NS0_5tupleIJSF_S6_EEENSH_IJSG_SG_EEES6_PlJNSB_9not_fun_tI7is_evenIfEEEEEE10hipError_tPvRmT3_T4_T5_T6_T7_T9_mT8_P12ihipStream_tbDpT10_ENKUlT_T0_E_clISt17integral_constantIbLb0EES17_IbLb1EEEEDaS13_S14_EUlS13_E_NS1_11comp_targetILNS1_3genE4ELNS1_11target_archE910ELNS1_3gpuE8ELNS1_3repE0EEENS1_30default_config_static_selectorELNS0_4arch9wavefront6targetE0EEEvT1_,@function
_ZN7rocprim17ROCPRIM_400000_NS6detail17trampoline_kernelINS0_14default_configENS1_25partition_config_selectorILNS1_17partition_subalgoE6EfNS0_10empty_typeEbEEZZNS1_14partition_implILS5_6ELb0ES3_mN6thrust23THRUST_200600_302600_NS6detail15normal_iteratorINSA_10device_ptrIfEEEEPS6_SG_NS0_5tupleIJSF_S6_EEENSH_IJSG_SG_EEES6_PlJNSB_9not_fun_tI7is_evenIfEEEEEE10hipError_tPvRmT3_T4_T5_T6_T7_T9_mT8_P12ihipStream_tbDpT10_ENKUlT_T0_E_clISt17integral_constantIbLb0EES17_IbLb1EEEEDaS13_S14_EUlS13_E_NS1_11comp_targetILNS1_3genE4ELNS1_11target_archE910ELNS1_3gpuE8ELNS1_3repE0EEENS1_30default_config_static_selectorELNS0_4arch9wavefront6targetE0EEEvT1_: ; @_ZN7rocprim17ROCPRIM_400000_NS6detail17trampoline_kernelINS0_14default_configENS1_25partition_config_selectorILNS1_17partition_subalgoE6EfNS0_10empty_typeEbEEZZNS1_14partition_implILS5_6ELb0ES3_mN6thrust23THRUST_200600_302600_NS6detail15normal_iteratorINSA_10device_ptrIfEEEEPS6_SG_NS0_5tupleIJSF_S6_EEENSH_IJSG_SG_EEES6_PlJNSB_9not_fun_tI7is_evenIfEEEEEE10hipError_tPvRmT3_T4_T5_T6_T7_T9_mT8_P12ihipStream_tbDpT10_ENKUlT_T0_E_clISt17integral_constantIbLb0EES17_IbLb1EEEEDaS13_S14_EUlS13_E_NS1_11comp_targetILNS1_3genE4ELNS1_11target_archE910ELNS1_3gpuE8ELNS1_3repE0EEENS1_30default_config_static_selectorELNS0_4arch9wavefront6targetE0EEEvT1_
; %bb.0:
	.section	.rodata,"a",@progbits
	.p2align	6, 0x0
	.amdhsa_kernel _ZN7rocprim17ROCPRIM_400000_NS6detail17trampoline_kernelINS0_14default_configENS1_25partition_config_selectorILNS1_17partition_subalgoE6EfNS0_10empty_typeEbEEZZNS1_14partition_implILS5_6ELb0ES3_mN6thrust23THRUST_200600_302600_NS6detail15normal_iteratorINSA_10device_ptrIfEEEEPS6_SG_NS0_5tupleIJSF_S6_EEENSH_IJSG_SG_EEES6_PlJNSB_9not_fun_tI7is_evenIfEEEEEE10hipError_tPvRmT3_T4_T5_T6_T7_T9_mT8_P12ihipStream_tbDpT10_ENKUlT_T0_E_clISt17integral_constantIbLb0EES17_IbLb1EEEEDaS13_S14_EUlS13_E_NS1_11comp_targetILNS1_3genE4ELNS1_11target_archE910ELNS1_3gpuE8ELNS1_3repE0EEENS1_30default_config_static_selectorELNS0_4arch9wavefront6targetE0EEEvT1_
		.amdhsa_group_segment_fixed_size 0
		.amdhsa_private_segment_fixed_size 0
		.amdhsa_kernarg_size 128
		.amdhsa_user_sgpr_count 2
		.amdhsa_user_sgpr_dispatch_ptr 0
		.amdhsa_user_sgpr_queue_ptr 0
		.amdhsa_user_sgpr_kernarg_segment_ptr 1
		.amdhsa_user_sgpr_dispatch_id 0
		.amdhsa_user_sgpr_private_segment_size 0
		.amdhsa_wavefront_size32 1
		.amdhsa_uses_dynamic_stack 0
		.amdhsa_enable_private_segment 0
		.amdhsa_system_sgpr_workgroup_id_x 1
		.amdhsa_system_sgpr_workgroup_id_y 0
		.amdhsa_system_sgpr_workgroup_id_z 0
		.amdhsa_system_sgpr_workgroup_info 0
		.amdhsa_system_vgpr_workitem_id 0
		.amdhsa_next_free_vgpr 1
		.amdhsa_next_free_sgpr 1
		.amdhsa_reserve_vcc 0
		.amdhsa_float_round_mode_32 0
		.amdhsa_float_round_mode_16_64 0
		.amdhsa_float_denorm_mode_32 3
		.amdhsa_float_denorm_mode_16_64 3
		.amdhsa_fp16_overflow 0
		.amdhsa_workgroup_processor_mode 1
		.amdhsa_memory_ordered 1
		.amdhsa_forward_progress 1
		.amdhsa_inst_pref_size 0
		.amdhsa_round_robin_scheduling 0
		.amdhsa_exception_fp_ieee_invalid_op 0
		.amdhsa_exception_fp_denorm_src 0
		.amdhsa_exception_fp_ieee_div_zero 0
		.amdhsa_exception_fp_ieee_overflow 0
		.amdhsa_exception_fp_ieee_underflow 0
		.amdhsa_exception_fp_ieee_inexact 0
		.amdhsa_exception_int_div_zero 0
	.end_amdhsa_kernel
	.section	.text._ZN7rocprim17ROCPRIM_400000_NS6detail17trampoline_kernelINS0_14default_configENS1_25partition_config_selectorILNS1_17partition_subalgoE6EfNS0_10empty_typeEbEEZZNS1_14partition_implILS5_6ELb0ES3_mN6thrust23THRUST_200600_302600_NS6detail15normal_iteratorINSA_10device_ptrIfEEEEPS6_SG_NS0_5tupleIJSF_S6_EEENSH_IJSG_SG_EEES6_PlJNSB_9not_fun_tI7is_evenIfEEEEEE10hipError_tPvRmT3_T4_T5_T6_T7_T9_mT8_P12ihipStream_tbDpT10_ENKUlT_T0_E_clISt17integral_constantIbLb0EES17_IbLb1EEEEDaS13_S14_EUlS13_E_NS1_11comp_targetILNS1_3genE4ELNS1_11target_archE910ELNS1_3gpuE8ELNS1_3repE0EEENS1_30default_config_static_selectorELNS0_4arch9wavefront6targetE0EEEvT1_,"axG",@progbits,_ZN7rocprim17ROCPRIM_400000_NS6detail17trampoline_kernelINS0_14default_configENS1_25partition_config_selectorILNS1_17partition_subalgoE6EfNS0_10empty_typeEbEEZZNS1_14partition_implILS5_6ELb0ES3_mN6thrust23THRUST_200600_302600_NS6detail15normal_iteratorINSA_10device_ptrIfEEEEPS6_SG_NS0_5tupleIJSF_S6_EEENSH_IJSG_SG_EEES6_PlJNSB_9not_fun_tI7is_evenIfEEEEEE10hipError_tPvRmT3_T4_T5_T6_T7_T9_mT8_P12ihipStream_tbDpT10_ENKUlT_T0_E_clISt17integral_constantIbLb0EES17_IbLb1EEEEDaS13_S14_EUlS13_E_NS1_11comp_targetILNS1_3genE4ELNS1_11target_archE910ELNS1_3gpuE8ELNS1_3repE0EEENS1_30default_config_static_selectorELNS0_4arch9wavefront6targetE0EEEvT1_,comdat
.Lfunc_end591:
	.size	_ZN7rocprim17ROCPRIM_400000_NS6detail17trampoline_kernelINS0_14default_configENS1_25partition_config_selectorILNS1_17partition_subalgoE6EfNS0_10empty_typeEbEEZZNS1_14partition_implILS5_6ELb0ES3_mN6thrust23THRUST_200600_302600_NS6detail15normal_iteratorINSA_10device_ptrIfEEEEPS6_SG_NS0_5tupleIJSF_S6_EEENSH_IJSG_SG_EEES6_PlJNSB_9not_fun_tI7is_evenIfEEEEEE10hipError_tPvRmT3_T4_T5_T6_T7_T9_mT8_P12ihipStream_tbDpT10_ENKUlT_T0_E_clISt17integral_constantIbLb0EES17_IbLb1EEEEDaS13_S14_EUlS13_E_NS1_11comp_targetILNS1_3genE4ELNS1_11target_archE910ELNS1_3gpuE8ELNS1_3repE0EEENS1_30default_config_static_selectorELNS0_4arch9wavefront6targetE0EEEvT1_, .Lfunc_end591-_ZN7rocprim17ROCPRIM_400000_NS6detail17trampoline_kernelINS0_14default_configENS1_25partition_config_selectorILNS1_17partition_subalgoE6EfNS0_10empty_typeEbEEZZNS1_14partition_implILS5_6ELb0ES3_mN6thrust23THRUST_200600_302600_NS6detail15normal_iteratorINSA_10device_ptrIfEEEEPS6_SG_NS0_5tupleIJSF_S6_EEENSH_IJSG_SG_EEES6_PlJNSB_9not_fun_tI7is_evenIfEEEEEE10hipError_tPvRmT3_T4_T5_T6_T7_T9_mT8_P12ihipStream_tbDpT10_ENKUlT_T0_E_clISt17integral_constantIbLb0EES17_IbLb1EEEEDaS13_S14_EUlS13_E_NS1_11comp_targetILNS1_3genE4ELNS1_11target_archE910ELNS1_3gpuE8ELNS1_3repE0EEENS1_30default_config_static_selectorELNS0_4arch9wavefront6targetE0EEEvT1_
                                        ; -- End function
	.set _ZN7rocprim17ROCPRIM_400000_NS6detail17trampoline_kernelINS0_14default_configENS1_25partition_config_selectorILNS1_17partition_subalgoE6EfNS0_10empty_typeEbEEZZNS1_14partition_implILS5_6ELb0ES3_mN6thrust23THRUST_200600_302600_NS6detail15normal_iteratorINSA_10device_ptrIfEEEEPS6_SG_NS0_5tupleIJSF_S6_EEENSH_IJSG_SG_EEES6_PlJNSB_9not_fun_tI7is_evenIfEEEEEE10hipError_tPvRmT3_T4_T5_T6_T7_T9_mT8_P12ihipStream_tbDpT10_ENKUlT_T0_E_clISt17integral_constantIbLb0EES17_IbLb1EEEEDaS13_S14_EUlS13_E_NS1_11comp_targetILNS1_3genE4ELNS1_11target_archE910ELNS1_3gpuE8ELNS1_3repE0EEENS1_30default_config_static_selectorELNS0_4arch9wavefront6targetE0EEEvT1_.num_vgpr, 0
	.set _ZN7rocprim17ROCPRIM_400000_NS6detail17trampoline_kernelINS0_14default_configENS1_25partition_config_selectorILNS1_17partition_subalgoE6EfNS0_10empty_typeEbEEZZNS1_14partition_implILS5_6ELb0ES3_mN6thrust23THRUST_200600_302600_NS6detail15normal_iteratorINSA_10device_ptrIfEEEEPS6_SG_NS0_5tupleIJSF_S6_EEENSH_IJSG_SG_EEES6_PlJNSB_9not_fun_tI7is_evenIfEEEEEE10hipError_tPvRmT3_T4_T5_T6_T7_T9_mT8_P12ihipStream_tbDpT10_ENKUlT_T0_E_clISt17integral_constantIbLb0EES17_IbLb1EEEEDaS13_S14_EUlS13_E_NS1_11comp_targetILNS1_3genE4ELNS1_11target_archE910ELNS1_3gpuE8ELNS1_3repE0EEENS1_30default_config_static_selectorELNS0_4arch9wavefront6targetE0EEEvT1_.num_agpr, 0
	.set _ZN7rocprim17ROCPRIM_400000_NS6detail17trampoline_kernelINS0_14default_configENS1_25partition_config_selectorILNS1_17partition_subalgoE6EfNS0_10empty_typeEbEEZZNS1_14partition_implILS5_6ELb0ES3_mN6thrust23THRUST_200600_302600_NS6detail15normal_iteratorINSA_10device_ptrIfEEEEPS6_SG_NS0_5tupleIJSF_S6_EEENSH_IJSG_SG_EEES6_PlJNSB_9not_fun_tI7is_evenIfEEEEEE10hipError_tPvRmT3_T4_T5_T6_T7_T9_mT8_P12ihipStream_tbDpT10_ENKUlT_T0_E_clISt17integral_constantIbLb0EES17_IbLb1EEEEDaS13_S14_EUlS13_E_NS1_11comp_targetILNS1_3genE4ELNS1_11target_archE910ELNS1_3gpuE8ELNS1_3repE0EEENS1_30default_config_static_selectorELNS0_4arch9wavefront6targetE0EEEvT1_.numbered_sgpr, 0
	.set _ZN7rocprim17ROCPRIM_400000_NS6detail17trampoline_kernelINS0_14default_configENS1_25partition_config_selectorILNS1_17partition_subalgoE6EfNS0_10empty_typeEbEEZZNS1_14partition_implILS5_6ELb0ES3_mN6thrust23THRUST_200600_302600_NS6detail15normal_iteratorINSA_10device_ptrIfEEEEPS6_SG_NS0_5tupleIJSF_S6_EEENSH_IJSG_SG_EEES6_PlJNSB_9not_fun_tI7is_evenIfEEEEEE10hipError_tPvRmT3_T4_T5_T6_T7_T9_mT8_P12ihipStream_tbDpT10_ENKUlT_T0_E_clISt17integral_constantIbLb0EES17_IbLb1EEEEDaS13_S14_EUlS13_E_NS1_11comp_targetILNS1_3genE4ELNS1_11target_archE910ELNS1_3gpuE8ELNS1_3repE0EEENS1_30default_config_static_selectorELNS0_4arch9wavefront6targetE0EEEvT1_.num_named_barrier, 0
	.set _ZN7rocprim17ROCPRIM_400000_NS6detail17trampoline_kernelINS0_14default_configENS1_25partition_config_selectorILNS1_17partition_subalgoE6EfNS0_10empty_typeEbEEZZNS1_14partition_implILS5_6ELb0ES3_mN6thrust23THRUST_200600_302600_NS6detail15normal_iteratorINSA_10device_ptrIfEEEEPS6_SG_NS0_5tupleIJSF_S6_EEENSH_IJSG_SG_EEES6_PlJNSB_9not_fun_tI7is_evenIfEEEEEE10hipError_tPvRmT3_T4_T5_T6_T7_T9_mT8_P12ihipStream_tbDpT10_ENKUlT_T0_E_clISt17integral_constantIbLb0EES17_IbLb1EEEEDaS13_S14_EUlS13_E_NS1_11comp_targetILNS1_3genE4ELNS1_11target_archE910ELNS1_3gpuE8ELNS1_3repE0EEENS1_30default_config_static_selectorELNS0_4arch9wavefront6targetE0EEEvT1_.private_seg_size, 0
	.set _ZN7rocprim17ROCPRIM_400000_NS6detail17trampoline_kernelINS0_14default_configENS1_25partition_config_selectorILNS1_17partition_subalgoE6EfNS0_10empty_typeEbEEZZNS1_14partition_implILS5_6ELb0ES3_mN6thrust23THRUST_200600_302600_NS6detail15normal_iteratorINSA_10device_ptrIfEEEEPS6_SG_NS0_5tupleIJSF_S6_EEENSH_IJSG_SG_EEES6_PlJNSB_9not_fun_tI7is_evenIfEEEEEE10hipError_tPvRmT3_T4_T5_T6_T7_T9_mT8_P12ihipStream_tbDpT10_ENKUlT_T0_E_clISt17integral_constantIbLb0EES17_IbLb1EEEEDaS13_S14_EUlS13_E_NS1_11comp_targetILNS1_3genE4ELNS1_11target_archE910ELNS1_3gpuE8ELNS1_3repE0EEENS1_30default_config_static_selectorELNS0_4arch9wavefront6targetE0EEEvT1_.uses_vcc, 0
	.set _ZN7rocprim17ROCPRIM_400000_NS6detail17trampoline_kernelINS0_14default_configENS1_25partition_config_selectorILNS1_17partition_subalgoE6EfNS0_10empty_typeEbEEZZNS1_14partition_implILS5_6ELb0ES3_mN6thrust23THRUST_200600_302600_NS6detail15normal_iteratorINSA_10device_ptrIfEEEEPS6_SG_NS0_5tupleIJSF_S6_EEENSH_IJSG_SG_EEES6_PlJNSB_9not_fun_tI7is_evenIfEEEEEE10hipError_tPvRmT3_T4_T5_T6_T7_T9_mT8_P12ihipStream_tbDpT10_ENKUlT_T0_E_clISt17integral_constantIbLb0EES17_IbLb1EEEEDaS13_S14_EUlS13_E_NS1_11comp_targetILNS1_3genE4ELNS1_11target_archE910ELNS1_3gpuE8ELNS1_3repE0EEENS1_30default_config_static_selectorELNS0_4arch9wavefront6targetE0EEEvT1_.uses_flat_scratch, 0
	.set _ZN7rocprim17ROCPRIM_400000_NS6detail17trampoline_kernelINS0_14default_configENS1_25partition_config_selectorILNS1_17partition_subalgoE6EfNS0_10empty_typeEbEEZZNS1_14partition_implILS5_6ELb0ES3_mN6thrust23THRUST_200600_302600_NS6detail15normal_iteratorINSA_10device_ptrIfEEEEPS6_SG_NS0_5tupleIJSF_S6_EEENSH_IJSG_SG_EEES6_PlJNSB_9not_fun_tI7is_evenIfEEEEEE10hipError_tPvRmT3_T4_T5_T6_T7_T9_mT8_P12ihipStream_tbDpT10_ENKUlT_T0_E_clISt17integral_constantIbLb0EES17_IbLb1EEEEDaS13_S14_EUlS13_E_NS1_11comp_targetILNS1_3genE4ELNS1_11target_archE910ELNS1_3gpuE8ELNS1_3repE0EEENS1_30default_config_static_selectorELNS0_4arch9wavefront6targetE0EEEvT1_.has_dyn_sized_stack, 0
	.set _ZN7rocprim17ROCPRIM_400000_NS6detail17trampoline_kernelINS0_14default_configENS1_25partition_config_selectorILNS1_17partition_subalgoE6EfNS0_10empty_typeEbEEZZNS1_14partition_implILS5_6ELb0ES3_mN6thrust23THRUST_200600_302600_NS6detail15normal_iteratorINSA_10device_ptrIfEEEEPS6_SG_NS0_5tupleIJSF_S6_EEENSH_IJSG_SG_EEES6_PlJNSB_9not_fun_tI7is_evenIfEEEEEE10hipError_tPvRmT3_T4_T5_T6_T7_T9_mT8_P12ihipStream_tbDpT10_ENKUlT_T0_E_clISt17integral_constantIbLb0EES17_IbLb1EEEEDaS13_S14_EUlS13_E_NS1_11comp_targetILNS1_3genE4ELNS1_11target_archE910ELNS1_3gpuE8ELNS1_3repE0EEENS1_30default_config_static_selectorELNS0_4arch9wavefront6targetE0EEEvT1_.has_recursion, 0
	.set _ZN7rocprim17ROCPRIM_400000_NS6detail17trampoline_kernelINS0_14default_configENS1_25partition_config_selectorILNS1_17partition_subalgoE6EfNS0_10empty_typeEbEEZZNS1_14partition_implILS5_6ELb0ES3_mN6thrust23THRUST_200600_302600_NS6detail15normal_iteratorINSA_10device_ptrIfEEEEPS6_SG_NS0_5tupleIJSF_S6_EEENSH_IJSG_SG_EEES6_PlJNSB_9not_fun_tI7is_evenIfEEEEEE10hipError_tPvRmT3_T4_T5_T6_T7_T9_mT8_P12ihipStream_tbDpT10_ENKUlT_T0_E_clISt17integral_constantIbLb0EES17_IbLb1EEEEDaS13_S14_EUlS13_E_NS1_11comp_targetILNS1_3genE4ELNS1_11target_archE910ELNS1_3gpuE8ELNS1_3repE0EEENS1_30default_config_static_selectorELNS0_4arch9wavefront6targetE0EEEvT1_.has_indirect_call, 0
	.section	.AMDGPU.csdata,"",@progbits
; Kernel info:
; codeLenInByte = 0
; TotalNumSgprs: 0
; NumVgprs: 0
; ScratchSize: 0
; MemoryBound: 0
; FloatMode: 240
; IeeeMode: 1
; LDSByteSize: 0 bytes/workgroup (compile time only)
; SGPRBlocks: 0
; VGPRBlocks: 0
; NumSGPRsForWavesPerEU: 1
; NumVGPRsForWavesPerEU: 1
; Occupancy: 16
; WaveLimiterHint : 0
; COMPUTE_PGM_RSRC2:SCRATCH_EN: 0
; COMPUTE_PGM_RSRC2:USER_SGPR: 2
; COMPUTE_PGM_RSRC2:TRAP_HANDLER: 0
; COMPUTE_PGM_RSRC2:TGID_X_EN: 1
; COMPUTE_PGM_RSRC2:TGID_Y_EN: 0
; COMPUTE_PGM_RSRC2:TGID_Z_EN: 0
; COMPUTE_PGM_RSRC2:TIDIG_COMP_CNT: 0
	.section	.text._ZN7rocprim17ROCPRIM_400000_NS6detail17trampoline_kernelINS0_14default_configENS1_25partition_config_selectorILNS1_17partition_subalgoE6EfNS0_10empty_typeEbEEZZNS1_14partition_implILS5_6ELb0ES3_mN6thrust23THRUST_200600_302600_NS6detail15normal_iteratorINSA_10device_ptrIfEEEEPS6_SG_NS0_5tupleIJSF_S6_EEENSH_IJSG_SG_EEES6_PlJNSB_9not_fun_tI7is_evenIfEEEEEE10hipError_tPvRmT3_T4_T5_T6_T7_T9_mT8_P12ihipStream_tbDpT10_ENKUlT_T0_E_clISt17integral_constantIbLb0EES17_IbLb1EEEEDaS13_S14_EUlS13_E_NS1_11comp_targetILNS1_3genE3ELNS1_11target_archE908ELNS1_3gpuE7ELNS1_3repE0EEENS1_30default_config_static_selectorELNS0_4arch9wavefront6targetE0EEEvT1_,"axG",@progbits,_ZN7rocprim17ROCPRIM_400000_NS6detail17trampoline_kernelINS0_14default_configENS1_25partition_config_selectorILNS1_17partition_subalgoE6EfNS0_10empty_typeEbEEZZNS1_14partition_implILS5_6ELb0ES3_mN6thrust23THRUST_200600_302600_NS6detail15normal_iteratorINSA_10device_ptrIfEEEEPS6_SG_NS0_5tupleIJSF_S6_EEENSH_IJSG_SG_EEES6_PlJNSB_9not_fun_tI7is_evenIfEEEEEE10hipError_tPvRmT3_T4_T5_T6_T7_T9_mT8_P12ihipStream_tbDpT10_ENKUlT_T0_E_clISt17integral_constantIbLb0EES17_IbLb1EEEEDaS13_S14_EUlS13_E_NS1_11comp_targetILNS1_3genE3ELNS1_11target_archE908ELNS1_3gpuE7ELNS1_3repE0EEENS1_30default_config_static_selectorELNS0_4arch9wavefront6targetE0EEEvT1_,comdat
	.protected	_ZN7rocprim17ROCPRIM_400000_NS6detail17trampoline_kernelINS0_14default_configENS1_25partition_config_selectorILNS1_17partition_subalgoE6EfNS0_10empty_typeEbEEZZNS1_14partition_implILS5_6ELb0ES3_mN6thrust23THRUST_200600_302600_NS6detail15normal_iteratorINSA_10device_ptrIfEEEEPS6_SG_NS0_5tupleIJSF_S6_EEENSH_IJSG_SG_EEES6_PlJNSB_9not_fun_tI7is_evenIfEEEEEE10hipError_tPvRmT3_T4_T5_T6_T7_T9_mT8_P12ihipStream_tbDpT10_ENKUlT_T0_E_clISt17integral_constantIbLb0EES17_IbLb1EEEEDaS13_S14_EUlS13_E_NS1_11comp_targetILNS1_3genE3ELNS1_11target_archE908ELNS1_3gpuE7ELNS1_3repE0EEENS1_30default_config_static_selectorELNS0_4arch9wavefront6targetE0EEEvT1_ ; -- Begin function _ZN7rocprim17ROCPRIM_400000_NS6detail17trampoline_kernelINS0_14default_configENS1_25partition_config_selectorILNS1_17partition_subalgoE6EfNS0_10empty_typeEbEEZZNS1_14partition_implILS5_6ELb0ES3_mN6thrust23THRUST_200600_302600_NS6detail15normal_iteratorINSA_10device_ptrIfEEEEPS6_SG_NS0_5tupleIJSF_S6_EEENSH_IJSG_SG_EEES6_PlJNSB_9not_fun_tI7is_evenIfEEEEEE10hipError_tPvRmT3_T4_T5_T6_T7_T9_mT8_P12ihipStream_tbDpT10_ENKUlT_T0_E_clISt17integral_constantIbLb0EES17_IbLb1EEEEDaS13_S14_EUlS13_E_NS1_11comp_targetILNS1_3genE3ELNS1_11target_archE908ELNS1_3gpuE7ELNS1_3repE0EEENS1_30default_config_static_selectorELNS0_4arch9wavefront6targetE0EEEvT1_
	.globl	_ZN7rocprim17ROCPRIM_400000_NS6detail17trampoline_kernelINS0_14default_configENS1_25partition_config_selectorILNS1_17partition_subalgoE6EfNS0_10empty_typeEbEEZZNS1_14partition_implILS5_6ELb0ES3_mN6thrust23THRUST_200600_302600_NS6detail15normal_iteratorINSA_10device_ptrIfEEEEPS6_SG_NS0_5tupleIJSF_S6_EEENSH_IJSG_SG_EEES6_PlJNSB_9not_fun_tI7is_evenIfEEEEEE10hipError_tPvRmT3_T4_T5_T6_T7_T9_mT8_P12ihipStream_tbDpT10_ENKUlT_T0_E_clISt17integral_constantIbLb0EES17_IbLb1EEEEDaS13_S14_EUlS13_E_NS1_11comp_targetILNS1_3genE3ELNS1_11target_archE908ELNS1_3gpuE7ELNS1_3repE0EEENS1_30default_config_static_selectorELNS0_4arch9wavefront6targetE0EEEvT1_
	.p2align	8
	.type	_ZN7rocprim17ROCPRIM_400000_NS6detail17trampoline_kernelINS0_14default_configENS1_25partition_config_selectorILNS1_17partition_subalgoE6EfNS0_10empty_typeEbEEZZNS1_14partition_implILS5_6ELb0ES3_mN6thrust23THRUST_200600_302600_NS6detail15normal_iteratorINSA_10device_ptrIfEEEEPS6_SG_NS0_5tupleIJSF_S6_EEENSH_IJSG_SG_EEES6_PlJNSB_9not_fun_tI7is_evenIfEEEEEE10hipError_tPvRmT3_T4_T5_T6_T7_T9_mT8_P12ihipStream_tbDpT10_ENKUlT_T0_E_clISt17integral_constantIbLb0EES17_IbLb1EEEEDaS13_S14_EUlS13_E_NS1_11comp_targetILNS1_3genE3ELNS1_11target_archE908ELNS1_3gpuE7ELNS1_3repE0EEENS1_30default_config_static_selectorELNS0_4arch9wavefront6targetE0EEEvT1_,@function
_ZN7rocprim17ROCPRIM_400000_NS6detail17trampoline_kernelINS0_14default_configENS1_25partition_config_selectorILNS1_17partition_subalgoE6EfNS0_10empty_typeEbEEZZNS1_14partition_implILS5_6ELb0ES3_mN6thrust23THRUST_200600_302600_NS6detail15normal_iteratorINSA_10device_ptrIfEEEEPS6_SG_NS0_5tupleIJSF_S6_EEENSH_IJSG_SG_EEES6_PlJNSB_9not_fun_tI7is_evenIfEEEEEE10hipError_tPvRmT3_T4_T5_T6_T7_T9_mT8_P12ihipStream_tbDpT10_ENKUlT_T0_E_clISt17integral_constantIbLb0EES17_IbLb1EEEEDaS13_S14_EUlS13_E_NS1_11comp_targetILNS1_3genE3ELNS1_11target_archE908ELNS1_3gpuE7ELNS1_3repE0EEENS1_30default_config_static_selectorELNS0_4arch9wavefront6targetE0EEEvT1_: ; @_ZN7rocprim17ROCPRIM_400000_NS6detail17trampoline_kernelINS0_14default_configENS1_25partition_config_selectorILNS1_17partition_subalgoE6EfNS0_10empty_typeEbEEZZNS1_14partition_implILS5_6ELb0ES3_mN6thrust23THRUST_200600_302600_NS6detail15normal_iteratorINSA_10device_ptrIfEEEEPS6_SG_NS0_5tupleIJSF_S6_EEENSH_IJSG_SG_EEES6_PlJNSB_9not_fun_tI7is_evenIfEEEEEE10hipError_tPvRmT3_T4_T5_T6_T7_T9_mT8_P12ihipStream_tbDpT10_ENKUlT_T0_E_clISt17integral_constantIbLb0EES17_IbLb1EEEEDaS13_S14_EUlS13_E_NS1_11comp_targetILNS1_3genE3ELNS1_11target_archE908ELNS1_3gpuE7ELNS1_3repE0EEENS1_30default_config_static_selectorELNS0_4arch9wavefront6targetE0EEEvT1_
; %bb.0:
	.section	.rodata,"a",@progbits
	.p2align	6, 0x0
	.amdhsa_kernel _ZN7rocprim17ROCPRIM_400000_NS6detail17trampoline_kernelINS0_14default_configENS1_25partition_config_selectorILNS1_17partition_subalgoE6EfNS0_10empty_typeEbEEZZNS1_14partition_implILS5_6ELb0ES3_mN6thrust23THRUST_200600_302600_NS6detail15normal_iteratorINSA_10device_ptrIfEEEEPS6_SG_NS0_5tupleIJSF_S6_EEENSH_IJSG_SG_EEES6_PlJNSB_9not_fun_tI7is_evenIfEEEEEE10hipError_tPvRmT3_T4_T5_T6_T7_T9_mT8_P12ihipStream_tbDpT10_ENKUlT_T0_E_clISt17integral_constantIbLb0EES17_IbLb1EEEEDaS13_S14_EUlS13_E_NS1_11comp_targetILNS1_3genE3ELNS1_11target_archE908ELNS1_3gpuE7ELNS1_3repE0EEENS1_30default_config_static_selectorELNS0_4arch9wavefront6targetE0EEEvT1_
		.amdhsa_group_segment_fixed_size 0
		.amdhsa_private_segment_fixed_size 0
		.amdhsa_kernarg_size 128
		.amdhsa_user_sgpr_count 2
		.amdhsa_user_sgpr_dispatch_ptr 0
		.amdhsa_user_sgpr_queue_ptr 0
		.amdhsa_user_sgpr_kernarg_segment_ptr 1
		.amdhsa_user_sgpr_dispatch_id 0
		.amdhsa_user_sgpr_private_segment_size 0
		.amdhsa_wavefront_size32 1
		.amdhsa_uses_dynamic_stack 0
		.amdhsa_enable_private_segment 0
		.amdhsa_system_sgpr_workgroup_id_x 1
		.amdhsa_system_sgpr_workgroup_id_y 0
		.amdhsa_system_sgpr_workgroup_id_z 0
		.amdhsa_system_sgpr_workgroup_info 0
		.amdhsa_system_vgpr_workitem_id 0
		.amdhsa_next_free_vgpr 1
		.amdhsa_next_free_sgpr 1
		.amdhsa_reserve_vcc 0
		.amdhsa_float_round_mode_32 0
		.amdhsa_float_round_mode_16_64 0
		.amdhsa_float_denorm_mode_32 3
		.amdhsa_float_denorm_mode_16_64 3
		.amdhsa_fp16_overflow 0
		.amdhsa_workgroup_processor_mode 1
		.amdhsa_memory_ordered 1
		.amdhsa_forward_progress 1
		.amdhsa_inst_pref_size 0
		.amdhsa_round_robin_scheduling 0
		.amdhsa_exception_fp_ieee_invalid_op 0
		.amdhsa_exception_fp_denorm_src 0
		.amdhsa_exception_fp_ieee_div_zero 0
		.amdhsa_exception_fp_ieee_overflow 0
		.amdhsa_exception_fp_ieee_underflow 0
		.amdhsa_exception_fp_ieee_inexact 0
		.amdhsa_exception_int_div_zero 0
	.end_amdhsa_kernel
	.section	.text._ZN7rocprim17ROCPRIM_400000_NS6detail17trampoline_kernelINS0_14default_configENS1_25partition_config_selectorILNS1_17partition_subalgoE6EfNS0_10empty_typeEbEEZZNS1_14partition_implILS5_6ELb0ES3_mN6thrust23THRUST_200600_302600_NS6detail15normal_iteratorINSA_10device_ptrIfEEEEPS6_SG_NS0_5tupleIJSF_S6_EEENSH_IJSG_SG_EEES6_PlJNSB_9not_fun_tI7is_evenIfEEEEEE10hipError_tPvRmT3_T4_T5_T6_T7_T9_mT8_P12ihipStream_tbDpT10_ENKUlT_T0_E_clISt17integral_constantIbLb0EES17_IbLb1EEEEDaS13_S14_EUlS13_E_NS1_11comp_targetILNS1_3genE3ELNS1_11target_archE908ELNS1_3gpuE7ELNS1_3repE0EEENS1_30default_config_static_selectorELNS0_4arch9wavefront6targetE0EEEvT1_,"axG",@progbits,_ZN7rocprim17ROCPRIM_400000_NS6detail17trampoline_kernelINS0_14default_configENS1_25partition_config_selectorILNS1_17partition_subalgoE6EfNS0_10empty_typeEbEEZZNS1_14partition_implILS5_6ELb0ES3_mN6thrust23THRUST_200600_302600_NS6detail15normal_iteratorINSA_10device_ptrIfEEEEPS6_SG_NS0_5tupleIJSF_S6_EEENSH_IJSG_SG_EEES6_PlJNSB_9not_fun_tI7is_evenIfEEEEEE10hipError_tPvRmT3_T4_T5_T6_T7_T9_mT8_P12ihipStream_tbDpT10_ENKUlT_T0_E_clISt17integral_constantIbLb0EES17_IbLb1EEEEDaS13_S14_EUlS13_E_NS1_11comp_targetILNS1_3genE3ELNS1_11target_archE908ELNS1_3gpuE7ELNS1_3repE0EEENS1_30default_config_static_selectorELNS0_4arch9wavefront6targetE0EEEvT1_,comdat
.Lfunc_end592:
	.size	_ZN7rocprim17ROCPRIM_400000_NS6detail17trampoline_kernelINS0_14default_configENS1_25partition_config_selectorILNS1_17partition_subalgoE6EfNS0_10empty_typeEbEEZZNS1_14partition_implILS5_6ELb0ES3_mN6thrust23THRUST_200600_302600_NS6detail15normal_iteratorINSA_10device_ptrIfEEEEPS6_SG_NS0_5tupleIJSF_S6_EEENSH_IJSG_SG_EEES6_PlJNSB_9not_fun_tI7is_evenIfEEEEEE10hipError_tPvRmT3_T4_T5_T6_T7_T9_mT8_P12ihipStream_tbDpT10_ENKUlT_T0_E_clISt17integral_constantIbLb0EES17_IbLb1EEEEDaS13_S14_EUlS13_E_NS1_11comp_targetILNS1_3genE3ELNS1_11target_archE908ELNS1_3gpuE7ELNS1_3repE0EEENS1_30default_config_static_selectorELNS0_4arch9wavefront6targetE0EEEvT1_, .Lfunc_end592-_ZN7rocprim17ROCPRIM_400000_NS6detail17trampoline_kernelINS0_14default_configENS1_25partition_config_selectorILNS1_17partition_subalgoE6EfNS0_10empty_typeEbEEZZNS1_14partition_implILS5_6ELb0ES3_mN6thrust23THRUST_200600_302600_NS6detail15normal_iteratorINSA_10device_ptrIfEEEEPS6_SG_NS0_5tupleIJSF_S6_EEENSH_IJSG_SG_EEES6_PlJNSB_9not_fun_tI7is_evenIfEEEEEE10hipError_tPvRmT3_T4_T5_T6_T7_T9_mT8_P12ihipStream_tbDpT10_ENKUlT_T0_E_clISt17integral_constantIbLb0EES17_IbLb1EEEEDaS13_S14_EUlS13_E_NS1_11comp_targetILNS1_3genE3ELNS1_11target_archE908ELNS1_3gpuE7ELNS1_3repE0EEENS1_30default_config_static_selectorELNS0_4arch9wavefront6targetE0EEEvT1_
                                        ; -- End function
	.set _ZN7rocprim17ROCPRIM_400000_NS6detail17trampoline_kernelINS0_14default_configENS1_25partition_config_selectorILNS1_17partition_subalgoE6EfNS0_10empty_typeEbEEZZNS1_14partition_implILS5_6ELb0ES3_mN6thrust23THRUST_200600_302600_NS6detail15normal_iteratorINSA_10device_ptrIfEEEEPS6_SG_NS0_5tupleIJSF_S6_EEENSH_IJSG_SG_EEES6_PlJNSB_9not_fun_tI7is_evenIfEEEEEE10hipError_tPvRmT3_T4_T5_T6_T7_T9_mT8_P12ihipStream_tbDpT10_ENKUlT_T0_E_clISt17integral_constantIbLb0EES17_IbLb1EEEEDaS13_S14_EUlS13_E_NS1_11comp_targetILNS1_3genE3ELNS1_11target_archE908ELNS1_3gpuE7ELNS1_3repE0EEENS1_30default_config_static_selectorELNS0_4arch9wavefront6targetE0EEEvT1_.num_vgpr, 0
	.set _ZN7rocprim17ROCPRIM_400000_NS6detail17trampoline_kernelINS0_14default_configENS1_25partition_config_selectorILNS1_17partition_subalgoE6EfNS0_10empty_typeEbEEZZNS1_14partition_implILS5_6ELb0ES3_mN6thrust23THRUST_200600_302600_NS6detail15normal_iteratorINSA_10device_ptrIfEEEEPS6_SG_NS0_5tupleIJSF_S6_EEENSH_IJSG_SG_EEES6_PlJNSB_9not_fun_tI7is_evenIfEEEEEE10hipError_tPvRmT3_T4_T5_T6_T7_T9_mT8_P12ihipStream_tbDpT10_ENKUlT_T0_E_clISt17integral_constantIbLb0EES17_IbLb1EEEEDaS13_S14_EUlS13_E_NS1_11comp_targetILNS1_3genE3ELNS1_11target_archE908ELNS1_3gpuE7ELNS1_3repE0EEENS1_30default_config_static_selectorELNS0_4arch9wavefront6targetE0EEEvT1_.num_agpr, 0
	.set _ZN7rocprim17ROCPRIM_400000_NS6detail17trampoline_kernelINS0_14default_configENS1_25partition_config_selectorILNS1_17partition_subalgoE6EfNS0_10empty_typeEbEEZZNS1_14partition_implILS5_6ELb0ES3_mN6thrust23THRUST_200600_302600_NS6detail15normal_iteratorINSA_10device_ptrIfEEEEPS6_SG_NS0_5tupleIJSF_S6_EEENSH_IJSG_SG_EEES6_PlJNSB_9not_fun_tI7is_evenIfEEEEEE10hipError_tPvRmT3_T4_T5_T6_T7_T9_mT8_P12ihipStream_tbDpT10_ENKUlT_T0_E_clISt17integral_constantIbLb0EES17_IbLb1EEEEDaS13_S14_EUlS13_E_NS1_11comp_targetILNS1_3genE3ELNS1_11target_archE908ELNS1_3gpuE7ELNS1_3repE0EEENS1_30default_config_static_selectorELNS0_4arch9wavefront6targetE0EEEvT1_.numbered_sgpr, 0
	.set _ZN7rocprim17ROCPRIM_400000_NS6detail17trampoline_kernelINS0_14default_configENS1_25partition_config_selectorILNS1_17partition_subalgoE6EfNS0_10empty_typeEbEEZZNS1_14partition_implILS5_6ELb0ES3_mN6thrust23THRUST_200600_302600_NS6detail15normal_iteratorINSA_10device_ptrIfEEEEPS6_SG_NS0_5tupleIJSF_S6_EEENSH_IJSG_SG_EEES6_PlJNSB_9not_fun_tI7is_evenIfEEEEEE10hipError_tPvRmT3_T4_T5_T6_T7_T9_mT8_P12ihipStream_tbDpT10_ENKUlT_T0_E_clISt17integral_constantIbLb0EES17_IbLb1EEEEDaS13_S14_EUlS13_E_NS1_11comp_targetILNS1_3genE3ELNS1_11target_archE908ELNS1_3gpuE7ELNS1_3repE0EEENS1_30default_config_static_selectorELNS0_4arch9wavefront6targetE0EEEvT1_.num_named_barrier, 0
	.set _ZN7rocprim17ROCPRIM_400000_NS6detail17trampoline_kernelINS0_14default_configENS1_25partition_config_selectorILNS1_17partition_subalgoE6EfNS0_10empty_typeEbEEZZNS1_14partition_implILS5_6ELb0ES3_mN6thrust23THRUST_200600_302600_NS6detail15normal_iteratorINSA_10device_ptrIfEEEEPS6_SG_NS0_5tupleIJSF_S6_EEENSH_IJSG_SG_EEES6_PlJNSB_9not_fun_tI7is_evenIfEEEEEE10hipError_tPvRmT3_T4_T5_T6_T7_T9_mT8_P12ihipStream_tbDpT10_ENKUlT_T0_E_clISt17integral_constantIbLb0EES17_IbLb1EEEEDaS13_S14_EUlS13_E_NS1_11comp_targetILNS1_3genE3ELNS1_11target_archE908ELNS1_3gpuE7ELNS1_3repE0EEENS1_30default_config_static_selectorELNS0_4arch9wavefront6targetE0EEEvT1_.private_seg_size, 0
	.set _ZN7rocprim17ROCPRIM_400000_NS6detail17trampoline_kernelINS0_14default_configENS1_25partition_config_selectorILNS1_17partition_subalgoE6EfNS0_10empty_typeEbEEZZNS1_14partition_implILS5_6ELb0ES3_mN6thrust23THRUST_200600_302600_NS6detail15normal_iteratorINSA_10device_ptrIfEEEEPS6_SG_NS0_5tupleIJSF_S6_EEENSH_IJSG_SG_EEES6_PlJNSB_9not_fun_tI7is_evenIfEEEEEE10hipError_tPvRmT3_T4_T5_T6_T7_T9_mT8_P12ihipStream_tbDpT10_ENKUlT_T0_E_clISt17integral_constantIbLb0EES17_IbLb1EEEEDaS13_S14_EUlS13_E_NS1_11comp_targetILNS1_3genE3ELNS1_11target_archE908ELNS1_3gpuE7ELNS1_3repE0EEENS1_30default_config_static_selectorELNS0_4arch9wavefront6targetE0EEEvT1_.uses_vcc, 0
	.set _ZN7rocprim17ROCPRIM_400000_NS6detail17trampoline_kernelINS0_14default_configENS1_25partition_config_selectorILNS1_17partition_subalgoE6EfNS0_10empty_typeEbEEZZNS1_14partition_implILS5_6ELb0ES3_mN6thrust23THRUST_200600_302600_NS6detail15normal_iteratorINSA_10device_ptrIfEEEEPS6_SG_NS0_5tupleIJSF_S6_EEENSH_IJSG_SG_EEES6_PlJNSB_9not_fun_tI7is_evenIfEEEEEE10hipError_tPvRmT3_T4_T5_T6_T7_T9_mT8_P12ihipStream_tbDpT10_ENKUlT_T0_E_clISt17integral_constantIbLb0EES17_IbLb1EEEEDaS13_S14_EUlS13_E_NS1_11comp_targetILNS1_3genE3ELNS1_11target_archE908ELNS1_3gpuE7ELNS1_3repE0EEENS1_30default_config_static_selectorELNS0_4arch9wavefront6targetE0EEEvT1_.uses_flat_scratch, 0
	.set _ZN7rocprim17ROCPRIM_400000_NS6detail17trampoline_kernelINS0_14default_configENS1_25partition_config_selectorILNS1_17partition_subalgoE6EfNS0_10empty_typeEbEEZZNS1_14partition_implILS5_6ELb0ES3_mN6thrust23THRUST_200600_302600_NS6detail15normal_iteratorINSA_10device_ptrIfEEEEPS6_SG_NS0_5tupleIJSF_S6_EEENSH_IJSG_SG_EEES6_PlJNSB_9not_fun_tI7is_evenIfEEEEEE10hipError_tPvRmT3_T4_T5_T6_T7_T9_mT8_P12ihipStream_tbDpT10_ENKUlT_T0_E_clISt17integral_constantIbLb0EES17_IbLb1EEEEDaS13_S14_EUlS13_E_NS1_11comp_targetILNS1_3genE3ELNS1_11target_archE908ELNS1_3gpuE7ELNS1_3repE0EEENS1_30default_config_static_selectorELNS0_4arch9wavefront6targetE0EEEvT1_.has_dyn_sized_stack, 0
	.set _ZN7rocprim17ROCPRIM_400000_NS6detail17trampoline_kernelINS0_14default_configENS1_25partition_config_selectorILNS1_17partition_subalgoE6EfNS0_10empty_typeEbEEZZNS1_14partition_implILS5_6ELb0ES3_mN6thrust23THRUST_200600_302600_NS6detail15normal_iteratorINSA_10device_ptrIfEEEEPS6_SG_NS0_5tupleIJSF_S6_EEENSH_IJSG_SG_EEES6_PlJNSB_9not_fun_tI7is_evenIfEEEEEE10hipError_tPvRmT3_T4_T5_T6_T7_T9_mT8_P12ihipStream_tbDpT10_ENKUlT_T0_E_clISt17integral_constantIbLb0EES17_IbLb1EEEEDaS13_S14_EUlS13_E_NS1_11comp_targetILNS1_3genE3ELNS1_11target_archE908ELNS1_3gpuE7ELNS1_3repE0EEENS1_30default_config_static_selectorELNS0_4arch9wavefront6targetE0EEEvT1_.has_recursion, 0
	.set _ZN7rocprim17ROCPRIM_400000_NS6detail17trampoline_kernelINS0_14default_configENS1_25partition_config_selectorILNS1_17partition_subalgoE6EfNS0_10empty_typeEbEEZZNS1_14partition_implILS5_6ELb0ES3_mN6thrust23THRUST_200600_302600_NS6detail15normal_iteratorINSA_10device_ptrIfEEEEPS6_SG_NS0_5tupleIJSF_S6_EEENSH_IJSG_SG_EEES6_PlJNSB_9not_fun_tI7is_evenIfEEEEEE10hipError_tPvRmT3_T4_T5_T6_T7_T9_mT8_P12ihipStream_tbDpT10_ENKUlT_T0_E_clISt17integral_constantIbLb0EES17_IbLb1EEEEDaS13_S14_EUlS13_E_NS1_11comp_targetILNS1_3genE3ELNS1_11target_archE908ELNS1_3gpuE7ELNS1_3repE0EEENS1_30default_config_static_selectorELNS0_4arch9wavefront6targetE0EEEvT1_.has_indirect_call, 0
	.section	.AMDGPU.csdata,"",@progbits
; Kernel info:
; codeLenInByte = 0
; TotalNumSgprs: 0
; NumVgprs: 0
; ScratchSize: 0
; MemoryBound: 0
; FloatMode: 240
; IeeeMode: 1
; LDSByteSize: 0 bytes/workgroup (compile time only)
; SGPRBlocks: 0
; VGPRBlocks: 0
; NumSGPRsForWavesPerEU: 1
; NumVGPRsForWavesPerEU: 1
; Occupancy: 16
; WaveLimiterHint : 0
; COMPUTE_PGM_RSRC2:SCRATCH_EN: 0
; COMPUTE_PGM_RSRC2:USER_SGPR: 2
; COMPUTE_PGM_RSRC2:TRAP_HANDLER: 0
; COMPUTE_PGM_RSRC2:TGID_X_EN: 1
; COMPUTE_PGM_RSRC2:TGID_Y_EN: 0
; COMPUTE_PGM_RSRC2:TGID_Z_EN: 0
; COMPUTE_PGM_RSRC2:TIDIG_COMP_CNT: 0
	.section	.text._ZN7rocprim17ROCPRIM_400000_NS6detail17trampoline_kernelINS0_14default_configENS1_25partition_config_selectorILNS1_17partition_subalgoE6EfNS0_10empty_typeEbEEZZNS1_14partition_implILS5_6ELb0ES3_mN6thrust23THRUST_200600_302600_NS6detail15normal_iteratorINSA_10device_ptrIfEEEEPS6_SG_NS0_5tupleIJSF_S6_EEENSH_IJSG_SG_EEES6_PlJNSB_9not_fun_tI7is_evenIfEEEEEE10hipError_tPvRmT3_T4_T5_T6_T7_T9_mT8_P12ihipStream_tbDpT10_ENKUlT_T0_E_clISt17integral_constantIbLb0EES17_IbLb1EEEEDaS13_S14_EUlS13_E_NS1_11comp_targetILNS1_3genE2ELNS1_11target_archE906ELNS1_3gpuE6ELNS1_3repE0EEENS1_30default_config_static_selectorELNS0_4arch9wavefront6targetE0EEEvT1_,"axG",@progbits,_ZN7rocprim17ROCPRIM_400000_NS6detail17trampoline_kernelINS0_14default_configENS1_25partition_config_selectorILNS1_17partition_subalgoE6EfNS0_10empty_typeEbEEZZNS1_14partition_implILS5_6ELb0ES3_mN6thrust23THRUST_200600_302600_NS6detail15normal_iteratorINSA_10device_ptrIfEEEEPS6_SG_NS0_5tupleIJSF_S6_EEENSH_IJSG_SG_EEES6_PlJNSB_9not_fun_tI7is_evenIfEEEEEE10hipError_tPvRmT3_T4_T5_T6_T7_T9_mT8_P12ihipStream_tbDpT10_ENKUlT_T0_E_clISt17integral_constantIbLb0EES17_IbLb1EEEEDaS13_S14_EUlS13_E_NS1_11comp_targetILNS1_3genE2ELNS1_11target_archE906ELNS1_3gpuE6ELNS1_3repE0EEENS1_30default_config_static_selectorELNS0_4arch9wavefront6targetE0EEEvT1_,comdat
	.protected	_ZN7rocprim17ROCPRIM_400000_NS6detail17trampoline_kernelINS0_14default_configENS1_25partition_config_selectorILNS1_17partition_subalgoE6EfNS0_10empty_typeEbEEZZNS1_14partition_implILS5_6ELb0ES3_mN6thrust23THRUST_200600_302600_NS6detail15normal_iteratorINSA_10device_ptrIfEEEEPS6_SG_NS0_5tupleIJSF_S6_EEENSH_IJSG_SG_EEES6_PlJNSB_9not_fun_tI7is_evenIfEEEEEE10hipError_tPvRmT3_T4_T5_T6_T7_T9_mT8_P12ihipStream_tbDpT10_ENKUlT_T0_E_clISt17integral_constantIbLb0EES17_IbLb1EEEEDaS13_S14_EUlS13_E_NS1_11comp_targetILNS1_3genE2ELNS1_11target_archE906ELNS1_3gpuE6ELNS1_3repE0EEENS1_30default_config_static_selectorELNS0_4arch9wavefront6targetE0EEEvT1_ ; -- Begin function _ZN7rocprim17ROCPRIM_400000_NS6detail17trampoline_kernelINS0_14default_configENS1_25partition_config_selectorILNS1_17partition_subalgoE6EfNS0_10empty_typeEbEEZZNS1_14partition_implILS5_6ELb0ES3_mN6thrust23THRUST_200600_302600_NS6detail15normal_iteratorINSA_10device_ptrIfEEEEPS6_SG_NS0_5tupleIJSF_S6_EEENSH_IJSG_SG_EEES6_PlJNSB_9not_fun_tI7is_evenIfEEEEEE10hipError_tPvRmT3_T4_T5_T6_T7_T9_mT8_P12ihipStream_tbDpT10_ENKUlT_T0_E_clISt17integral_constantIbLb0EES17_IbLb1EEEEDaS13_S14_EUlS13_E_NS1_11comp_targetILNS1_3genE2ELNS1_11target_archE906ELNS1_3gpuE6ELNS1_3repE0EEENS1_30default_config_static_selectorELNS0_4arch9wavefront6targetE0EEEvT1_
	.globl	_ZN7rocprim17ROCPRIM_400000_NS6detail17trampoline_kernelINS0_14default_configENS1_25partition_config_selectorILNS1_17partition_subalgoE6EfNS0_10empty_typeEbEEZZNS1_14partition_implILS5_6ELb0ES3_mN6thrust23THRUST_200600_302600_NS6detail15normal_iteratorINSA_10device_ptrIfEEEEPS6_SG_NS0_5tupleIJSF_S6_EEENSH_IJSG_SG_EEES6_PlJNSB_9not_fun_tI7is_evenIfEEEEEE10hipError_tPvRmT3_T4_T5_T6_T7_T9_mT8_P12ihipStream_tbDpT10_ENKUlT_T0_E_clISt17integral_constantIbLb0EES17_IbLb1EEEEDaS13_S14_EUlS13_E_NS1_11comp_targetILNS1_3genE2ELNS1_11target_archE906ELNS1_3gpuE6ELNS1_3repE0EEENS1_30default_config_static_selectorELNS0_4arch9wavefront6targetE0EEEvT1_
	.p2align	8
	.type	_ZN7rocprim17ROCPRIM_400000_NS6detail17trampoline_kernelINS0_14default_configENS1_25partition_config_selectorILNS1_17partition_subalgoE6EfNS0_10empty_typeEbEEZZNS1_14partition_implILS5_6ELb0ES3_mN6thrust23THRUST_200600_302600_NS6detail15normal_iteratorINSA_10device_ptrIfEEEEPS6_SG_NS0_5tupleIJSF_S6_EEENSH_IJSG_SG_EEES6_PlJNSB_9not_fun_tI7is_evenIfEEEEEE10hipError_tPvRmT3_T4_T5_T6_T7_T9_mT8_P12ihipStream_tbDpT10_ENKUlT_T0_E_clISt17integral_constantIbLb0EES17_IbLb1EEEEDaS13_S14_EUlS13_E_NS1_11comp_targetILNS1_3genE2ELNS1_11target_archE906ELNS1_3gpuE6ELNS1_3repE0EEENS1_30default_config_static_selectorELNS0_4arch9wavefront6targetE0EEEvT1_,@function
_ZN7rocprim17ROCPRIM_400000_NS6detail17trampoline_kernelINS0_14default_configENS1_25partition_config_selectorILNS1_17partition_subalgoE6EfNS0_10empty_typeEbEEZZNS1_14partition_implILS5_6ELb0ES3_mN6thrust23THRUST_200600_302600_NS6detail15normal_iteratorINSA_10device_ptrIfEEEEPS6_SG_NS0_5tupleIJSF_S6_EEENSH_IJSG_SG_EEES6_PlJNSB_9not_fun_tI7is_evenIfEEEEEE10hipError_tPvRmT3_T4_T5_T6_T7_T9_mT8_P12ihipStream_tbDpT10_ENKUlT_T0_E_clISt17integral_constantIbLb0EES17_IbLb1EEEEDaS13_S14_EUlS13_E_NS1_11comp_targetILNS1_3genE2ELNS1_11target_archE906ELNS1_3gpuE6ELNS1_3repE0EEENS1_30default_config_static_selectorELNS0_4arch9wavefront6targetE0EEEvT1_: ; @_ZN7rocprim17ROCPRIM_400000_NS6detail17trampoline_kernelINS0_14default_configENS1_25partition_config_selectorILNS1_17partition_subalgoE6EfNS0_10empty_typeEbEEZZNS1_14partition_implILS5_6ELb0ES3_mN6thrust23THRUST_200600_302600_NS6detail15normal_iteratorINSA_10device_ptrIfEEEEPS6_SG_NS0_5tupleIJSF_S6_EEENSH_IJSG_SG_EEES6_PlJNSB_9not_fun_tI7is_evenIfEEEEEE10hipError_tPvRmT3_T4_T5_T6_T7_T9_mT8_P12ihipStream_tbDpT10_ENKUlT_T0_E_clISt17integral_constantIbLb0EES17_IbLb1EEEEDaS13_S14_EUlS13_E_NS1_11comp_targetILNS1_3genE2ELNS1_11target_archE906ELNS1_3gpuE6ELNS1_3repE0EEENS1_30default_config_static_selectorELNS0_4arch9wavefront6targetE0EEEvT1_
; %bb.0:
	.section	.rodata,"a",@progbits
	.p2align	6, 0x0
	.amdhsa_kernel _ZN7rocprim17ROCPRIM_400000_NS6detail17trampoline_kernelINS0_14default_configENS1_25partition_config_selectorILNS1_17partition_subalgoE6EfNS0_10empty_typeEbEEZZNS1_14partition_implILS5_6ELb0ES3_mN6thrust23THRUST_200600_302600_NS6detail15normal_iteratorINSA_10device_ptrIfEEEEPS6_SG_NS0_5tupleIJSF_S6_EEENSH_IJSG_SG_EEES6_PlJNSB_9not_fun_tI7is_evenIfEEEEEE10hipError_tPvRmT3_T4_T5_T6_T7_T9_mT8_P12ihipStream_tbDpT10_ENKUlT_T0_E_clISt17integral_constantIbLb0EES17_IbLb1EEEEDaS13_S14_EUlS13_E_NS1_11comp_targetILNS1_3genE2ELNS1_11target_archE906ELNS1_3gpuE6ELNS1_3repE0EEENS1_30default_config_static_selectorELNS0_4arch9wavefront6targetE0EEEvT1_
		.amdhsa_group_segment_fixed_size 0
		.amdhsa_private_segment_fixed_size 0
		.amdhsa_kernarg_size 128
		.amdhsa_user_sgpr_count 2
		.amdhsa_user_sgpr_dispatch_ptr 0
		.amdhsa_user_sgpr_queue_ptr 0
		.amdhsa_user_sgpr_kernarg_segment_ptr 1
		.amdhsa_user_sgpr_dispatch_id 0
		.amdhsa_user_sgpr_private_segment_size 0
		.amdhsa_wavefront_size32 1
		.amdhsa_uses_dynamic_stack 0
		.amdhsa_enable_private_segment 0
		.amdhsa_system_sgpr_workgroup_id_x 1
		.amdhsa_system_sgpr_workgroup_id_y 0
		.amdhsa_system_sgpr_workgroup_id_z 0
		.amdhsa_system_sgpr_workgroup_info 0
		.amdhsa_system_vgpr_workitem_id 0
		.amdhsa_next_free_vgpr 1
		.amdhsa_next_free_sgpr 1
		.amdhsa_reserve_vcc 0
		.amdhsa_float_round_mode_32 0
		.amdhsa_float_round_mode_16_64 0
		.amdhsa_float_denorm_mode_32 3
		.amdhsa_float_denorm_mode_16_64 3
		.amdhsa_fp16_overflow 0
		.amdhsa_workgroup_processor_mode 1
		.amdhsa_memory_ordered 1
		.amdhsa_forward_progress 1
		.amdhsa_inst_pref_size 0
		.amdhsa_round_robin_scheduling 0
		.amdhsa_exception_fp_ieee_invalid_op 0
		.amdhsa_exception_fp_denorm_src 0
		.amdhsa_exception_fp_ieee_div_zero 0
		.amdhsa_exception_fp_ieee_overflow 0
		.amdhsa_exception_fp_ieee_underflow 0
		.amdhsa_exception_fp_ieee_inexact 0
		.amdhsa_exception_int_div_zero 0
	.end_amdhsa_kernel
	.section	.text._ZN7rocprim17ROCPRIM_400000_NS6detail17trampoline_kernelINS0_14default_configENS1_25partition_config_selectorILNS1_17partition_subalgoE6EfNS0_10empty_typeEbEEZZNS1_14partition_implILS5_6ELb0ES3_mN6thrust23THRUST_200600_302600_NS6detail15normal_iteratorINSA_10device_ptrIfEEEEPS6_SG_NS0_5tupleIJSF_S6_EEENSH_IJSG_SG_EEES6_PlJNSB_9not_fun_tI7is_evenIfEEEEEE10hipError_tPvRmT3_T4_T5_T6_T7_T9_mT8_P12ihipStream_tbDpT10_ENKUlT_T0_E_clISt17integral_constantIbLb0EES17_IbLb1EEEEDaS13_S14_EUlS13_E_NS1_11comp_targetILNS1_3genE2ELNS1_11target_archE906ELNS1_3gpuE6ELNS1_3repE0EEENS1_30default_config_static_selectorELNS0_4arch9wavefront6targetE0EEEvT1_,"axG",@progbits,_ZN7rocprim17ROCPRIM_400000_NS6detail17trampoline_kernelINS0_14default_configENS1_25partition_config_selectorILNS1_17partition_subalgoE6EfNS0_10empty_typeEbEEZZNS1_14partition_implILS5_6ELb0ES3_mN6thrust23THRUST_200600_302600_NS6detail15normal_iteratorINSA_10device_ptrIfEEEEPS6_SG_NS0_5tupleIJSF_S6_EEENSH_IJSG_SG_EEES6_PlJNSB_9not_fun_tI7is_evenIfEEEEEE10hipError_tPvRmT3_T4_T5_T6_T7_T9_mT8_P12ihipStream_tbDpT10_ENKUlT_T0_E_clISt17integral_constantIbLb0EES17_IbLb1EEEEDaS13_S14_EUlS13_E_NS1_11comp_targetILNS1_3genE2ELNS1_11target_archE906ELNS1_3gpuE6ELNS1_3repE0EEENS1_30default_config_static_selectorELNS0_4arch9wavefront6targetE0EEEvT1_,comdat
.Lfunc_end593:
	.size	_ZN7rocprim17ROCPRIM_400000_NS6detail17trampoline_kernelINS0_14default_configENS1_25partition_config_selectorILNS1_17partition_subalgoE6EfNS0_10empty_typeEbEEZZNS1_14partition_implILS5_6ELb0ES3_mN6thrust23THRUST_200600_302600_NS6detail15normal_iteratorINSA_10device_ptrIfEEEEPS6_SG_NS0_5tupleIJSF_S6_EEENSH_IJSG_SG_EEES6_PlJNSB_9not_fun_tI7is_evenIfEEEEEE10hipError_tPvRmT3_T4_T5_T6_T7_T9_mT8_P12ihipStream_tbDpT10_ENKUlT_T0_E_clISt17integral_constantIbLb0EES17_IbLb1EEEEDaS13_S14_EUlS13_E_NS1_11comp_targetILNS1_3genE2ELNS1_11target_archE906ELNS1_3gpuE6ELNS1_3repE0EEENS1_30default_config_static_selectorELNS0_4arch9wavefront6targetE0EEEvT1_, .Lfunc_end593-_ZN7rocprim17ROCPRIM_400000_NS6detail17trampoline_kernelINS0_14default_configENS1_25partition_config_selectorILNS1_17partition_subalgoE6EfNS0_10empty_typeEbEEZZNS1_14partition_implILS5_6ELb0ES3_mN6thrust23THRUST_200600_302600_NS6detail15normal_iteratorINSA_10device_ptrIfEEEEPS6_SG_NS0_5tupleIJSF_S6_EEENSH_IJSG_SG_EEES6_PlJNSB_9not_fun_tI7is_evenIfEEEEEE10hipError_tPvRmT3_T4_T5_T6_T7_T9_mT8_P12ihipStream_tbDpT10_ENKUlT_T0_E_clISt17integral_constantIbLb0EES17_IbLb1EEEEDaS13_S14_EUlS13_E_NS1_11comp_targetILNS1_3genE2ELNS1_11target_archE906ELNS1_3gpuE6ELNS1_3repE0EEENS1_30default_config_static_selectorELNS0_4arch9wavefront6targetE0EEEvT1_
                                        ; -- End function
	.set _ZN7rocprim17ROCPRIM_400000_NS6detail17trampoline_kernelINS0_14default_configENS1_25partition_config_selectorILNS1_17partition_subalgoE6EfNS0_10empty_typeEbEEZZNS1_14partition_implILS5_6ELb0ES3_mN6thrust23THRUST_200600_302600_NS6detail15normal_iteratorINSA_10device_ptrIfEEEEPS6_SG_NS0_5tupleIJSF_S6_EEENSH_IJSG_SG_EEES6_PlJNSB_9not_fun_tI7is_evenIfEEEEEE10hipError_tPvRmT3_T4_T5_T6_T7_T9_mT8_P12ihipStream_tbDpT10_ENKUlT_T0_E_clISt17integral_constantIbLb0EES17_IbLb1EEEEDaS13_S14_EUlS13_E_NS1_11comp_targetILNS1_3genE2ELNS1_11target_archE906ELNS1_3gpuE6ELNS1_3repE0EEENS1_30default_config_static_selectorELNS0_4arch9wavefront6targetE0EEEvT1_.num_vgpr, 0
	.set _ZN7rocprim17ROCPRIM_400000_NS6detail17trampoline_kernelINS0_14default_configENS1_25partition_config_selectorILNS1_17partition_subalgoE6EfNS0_10empty_typeEbEEZZNS1_14partition_implILS5_6ELb0ES3_mN6thrust23THRUST_200600_302600_NS6detail15normal_iteratorINSA_10device_ptrIfEEEEPS6_SG_NS0_5tupleIJSF_S6_EEENSH_IJSG_SG_EEES6_PlJNSB_9not_fun_tI7is_evenIfEEEEEE10hipError_tPvRmT3_T4_T5_T6_T7_T9_mT8_P12ihipStream_tbDpT10_ENKUlT_T0_E_clISt17integral_constantIbLb0EES17_IbLb1EEEEDaS13_S14_EUlS13_E_NS1_11comp_targetILNS1_3genE2ELNS1_11target_archE906ELNS1_3gpuE6ELNS1_3repE0EEENS1_30default_config_static_selectorELNS0_4arch9wavefront6targetE0EEEvT1_.num_agpr, 0
	.set _ZN7rocprim17ROCPRIM_400000_NS6detail17trampoline_kernelINS0_14default_configENS1_25partition_config_selectorILNS1_17partition_subalgoE6EfNS0_10empty_typeEbEEZZNS1_14partition_implILS5_6ELb0ES3_mN6thrust23THRUST_200600_302600_NS6detail15normal_iteratorINSA_10device_ptrIfEEEEPS6_SG_NS0_5tupleIJSF_S6_EEENSH_IJSG_SG_EEES6_PlJNSB_9not_fun_tI7is_evenIfEEEEEE10hipError_tPvRmT3_T4_T5_T6_T7_T9_mT8_P12ihipStream_tbDpT10_ENKUlT_T0_E_clISt17integral_constantIbLb0EES17_IbLb1EEEEDaS13_S14_EUlS13_E_NS1_11comp_targetILNS1_3genE2ELNS1_11target_archE906ELNS1_3gpuE6ELNS1_3repE0EEENS1_30default_config_static_selectorELNS0_4arch9wavefront6targetE0EEEvT1_.numbered_sgpr, 0
	.set _ZN7rocprim17ROCPRIM_400000_NS6detail17trampoline_kernelINS0_14default_configENS1_25partition_config_selectorILNS1_17partition_subalgoE6EfNS0_10empty_typeEbEEZZNS1_14partition_implILS5_6ELb0ES3_mN6thrust23THRUST_200600_302600_NS6detail15normal_iteratorINSA_10device_ptrIfEEEEPS6_SG_NS0_5tupleIJSF_S6_EEENSH_IJSG_SG_EEES6_PlJNSB_9not_fun_tI7is_evenIfEEEEEE10hipError_tPvRmT3_T4_T5_T6_T7_T9_mT8_P12ihipStream_tbDpT10_ENKUlT_T0_E_clISt17integral_constantIbLb0EES17_IbLb1EEEEDaS13_S14_EUlS13_E_NS1_11comp_targetILNS1_3genE2ELNS1_11target_archE906ELNS1_3gpuE6ELNS1_3repE0EEENS1_30default_config_static_selectorELNS0_4arch9wavefront6targetE0EEEvT1_.num_named_barrier, 0
	.set _ZN7rocprim17ROCPRIM_400000_NS6detail17trampoline_kernelINS0_14default_configENS1_25partition_config_selectorILNS1_17partition_subalgoE6EfNS0_10empty_typeEbEEZZNS1_14partition_implILS5_6ELb0ES3_mN6thrust23THRUST_200600_302600_NS6detail15normal_iteratorINSA_10device_ptrIfEEEEPS6_SG_NS0_5tupleIJSF_S6_EEENSH_IJSG_SG_EEES6_PlJNSB_9not_fun_tI7is_evenIfEEEEEE10hipError_tPvRmT3_T4_T5_T6_T7_T9_mT8_P12ihipStream_tbDpT10_ENKUlT_T0_E_clISt17integral_constantIbLb0EES17_IbLb1EEEEDaS13_S14_EUlS13_E_NS1_11comp_targetILNS1_3genE2ELNS1_11target_archE906ELNS1_3gpuE6ELNS1_3repE0EEENS1_30default_config_static_selectorELNS0_4arch9wavefront6targetE0EEEvT1_.private_seg_size, 0
	.set _ZN7rocprim17ROCPRIM_400000_NS6detail17trampoline_kernelINS0_14default_configENS1_25partition_config_selectorILNS1_17partition_subalgoE6EfNS0_10empty_typeEbEEZZNS1_14partition_implILS5_6ELb0ES3_mN6thrust23THRUST_200600_302600_NS6detail15normal_iteratorINSA_10device_ptrIfEEEEPS6_SG_NS0_5tupleIJSF_S6_EEENSH_IJSG_SG_EEES6_PlJNSB_9not_fun_tI7is_evenIfEEEEEE10hipError_tPvRmT3_T4_T5_T6_T7_T9_mT8_P12ihipStream_tbDpT10_ENKUlT_T0_E_clISt17integral_constantIbLb0EES17_IbLb1EEEEDaS13_S14_EUlS13_E_NS1_11comp_targetILNS1_3genE2ELNS1_11target_archE906ELNS1_3gpuE6ELNS1_3repE0EEENS1_30default_config_static_selectorELNS0_4arch9wavefront6targetE0EEEvT1_.uses_vcc, 0
	.set _ZN7rocprim17ROCPRIM_400000_NS6detail17trampoline_kernelINS0_14default_configENS1_25partition_config_selectorILNS1_17partition_subalgoE6EfNS0_10empty_typeEbEEZZNS1_14partition_implILS5_6ELb0ES3_mN6thrust23THRUST_200600_302600_NS6detail15normal_iteratorINSA_10device_ptrIfEEEEPS6_SG_NS0_5tupleIJSF_S6_EEENSH_IJSG_SG_EEES6_PlJNSB_9not_fun_tI7is_evenIfEEEEEE10hipError_tPvRmT3_T4_T5_T6_T7_T9_mT8_P12ihipStream_tbDpT10_ENKUlT_T0_E_clISt17integral_constantIbLb0EES17_IbLb1EEEEDaS13_S14_EUlS13_E_NS1_11comp_targetILNS1_3genE2ELNS1_11target_archE906ELNS1_3gpuE6ELNS1_3repE0EEENS1_30default_config_static_selectorELNS0_4arch9wavefront6targetE0EEEvT1_.uses_flat_scratch, 0
	.set _ZN7rocprim17ROCPRIM_400000_NS6detail17trampoline_kernelINS0_14default_configENS1_25partition_config_selectorILNS1_17partition_subalgoE6EfNS0_10empty_typeEbEEZZNS1_14partition_implILS5_6ELb0ES3_mN6thrust23THRUST_200600_302600_NS6detail15normal_iteratorINSA_10device_ptrIfEEEEPS6_SG_NS0_5tupleIJSF_S6_EEENSH_IJSG_SG_EEES6_PlJNSB_9not_fun_tI7is_evenIfEEEEEE10hipError_tPvRmT3_T4_T5_T6_T7_T9_mT8_P12ihipStream_tbDpT10_ENKUlT_T0_E_clISt17integral_constantIbLb0EES17_IbLb1EEEEDaS13_S14_EUlS13_E_NS1_11comp_targetILNS1_3genE2ELNS1_11target_archE906ELNS1_3gpuE6ELNS1_3repE0EEENS1_30default_config_static_selectorELNS0_4arch9wavefront6targetE0EEEvT1_.has_dyn_sized_stack, 0
	.set _ZN7rocprim17ROCPRIM_400000_NS6detail17trampoline_kernelINS0_14default_configENS1_25partition_config_selectorILNS1_17partition_subalgoE6EfNS0_10empty_typeEbEEZZNS1_14partition_implILS5_6ELb0ES3_mN6thrust23THRUST_200600_302600_NS6detail15normal_iteratorINSA_10device_ptrIfEEEEPS6_SG_NS0_5tupleIJSF_S6_EEENSH_IJSG_SG_EEES6_PlJNSB_9not_fun_tI7is_evenIfEEEEEE10hipError_tPvRmT3_T4_T5_T6_T7_T9_mT8_P12ihipStream_tbDpT10_ENKUlT_T0_E_clISt17integral_constantIbLb0EES17_IbLb1EEEEDaS13_S14_EUlS13_E_NS1_11comp_targetILNS1_3genE2ELNS1_11target_archE906ELNS1_3gpuE6ELNS1_3repE0EEENS1_30default_config_static_selectorELNS0_4arch9wavefront6targetE0EEEvT1_.has_recursion, 0
	.set _ZN7rocprim17ROCPRIM_400000_NS6detail17trampoline_kernelINS0_14default_configENS1_25partition_config_selectorILNS1_17partition_subalgoE6EfNS0_10empty_typeEbEEZZNS1_14partition_implILS5_6ELb0ES3_mN6thrust23THRUST_200600_302600_NS6detail15normal_iteratorINSA_10device_ptrIfEEEEPS6_SG_NS0_5tupleIJSF_S6_EEENSH_IJSG_SG_EEES6_PlJNSB_9not_fun_tI7is_evenIfEEEEEE10hipError_tPvRmT3_T4_T5_T6_T7_T9_mT8_P12ihipStream_tbDpT10_ENKUlT_T0_E_clISt17integral_constantIbLb0EES17_IbLb1EEEEDaS13_S14_EUlS13_E_NS1_11comp_targetILNS1_3genE2ELNS1_11target_archE906ELNS1_3gpuE6ELNS1_3repE0EEENS1_30default_config_static_selectorELNS0_4arch9wavefront6targetE0EEEvT1_.has_indirect_call, 0
	.section	.AMDGPU.csdata,"",@progbits
; Kernel info:
; codeLenInByte = 0
; TotalNumSgprs: 0
; NumVgprs: 0
; ScratchSize: 0
; MemoryBound: 0
; FloatMode: 240
; IeeeMode: 1
; LDSByteSize: 0 bytes/workgroup (compile time only)
; SGPRBlocks: 0
; VGPRBlocks: 0
; NumSGPRsForWavesPerEU: 1
; NumVGPRsForWavesPerEU: 1
; Occupancy: 16
; WaveLimiterHint : 0
; COMPUTE_PGM_RSRC2:SCRATCH_EN: 0
; COMPUTE_PGM_RSRC2:USER_SGPR: 2
; COMPUTE_PGM_RSRC2:TRAP_HANDLER: 0
; COMPUTE_PGM_RSRC2:TGID_X_EN: 1
; COMPUTE_PGM_RSRC2:TGID_Y_EN: 0
; COMPUTE_PGM_RSRC2:TGID_Z_EN: 0
; COMPUTE_PGM_RSRC2:TIDIG_COMP_CNT: 0
	.section	.text._ZN7rocprim17ROCPRIM_400000_NS6detail17trampoline_kernelINS0_14default_configENS1_25partition_config_selectorILNS1_17partition_subalgoE6EfNS0_10empty_typeEbEEZZNS1_14partition_implILS5_6ELb0ES3_mN6thrust23THRUST_200600_302600_NS6detail15normal_iteratorINSA_10device_ptrIfEEEEPS6_SG_NS0_5tupleIJSF_S6_EEENSH_IJSG_SG_EEES6_PlJNSB_9not_fun_tI7is_evenIfEEEEEE10hipError_tPvRmT3_T4_T5_T6_T7_T9_mT8_P12ihipStream_tbDpT10_ENKUlT_T0_E_clISt17integral_constantIbLb0EES17_IbLb1EEEEDaS13_S14_EUlS13_E_NS1_11comp_targetILNS1_3genE10ELNS1_11target_archE1200ELNS1_3gpuE4ELNS1_3repE0EEENS1_30default_config_static_selectorELNS0_4arch9wavefront6targetE0EEEvT1_,"axG",@progbits,_ZN7rocprim17ROCPRIM_400000_NS6detail17trampoline_kernelINS0_14default_configENS1_25partition_config_selectorILNS1_17partition_subalgoE6EfNS0_10empty_typeEbEEZZNS1_14partition_implILS5_6ELb0ES3_mN6thrust23THRUST_200600_302600_NS6detail15normal_iteratorINSA_10device_ptrIfEEEEPS6_SG_NS0_5tupleIJSF_S6_EEENSH_IJSG_SG_EEES6_PlJNSB_9not_fun_tI7is_evenIfEEEEEE10hipError_tPvRmT3_T4_T5_T6_T7_T9_mT8_P12ihipStream_tbDpT10_ENKUlT_T0_E_clISt17integral_constantIbLb0EES17_IbLb1EEEEDaS13_S14_EUlS13_E_NS1_11comp_targetILNS1_3genE10ELNS1_11target_archE1200ELNS1_3gpuE4ELNS1_3repE0EEENS1_30default_config_static_selectorELNS0_4arch9wavefront6targetE0EEEvT1_,comdat
	.protected	_ZN7rocprim17ROCPRIM_400000_NS6detail17trampoline_kernelINS0_14default_configENS1_25partition_config_selectorILNS1_17partition_subalgoE6EfNS0_10empty_typeEbEEZZNS1_14partition_implILS5_6ELb0ES3_mN6thrust23THRUST_200600_302600_NS6detail15normal_iteratorINSA_10device_ptrIfEEEEPS6_SG_NS0_5tupleIJSF_S6_EEENSH_IJSG_SG_EEES6_PlJNSB_9not_fun_tI7is_evenIfEEEEEE10hipError_tPvRmT3_T4_T5_T6_T7_T9_mT8_P12ihipStream_tbDpT10_ENKUlT_T0_E_clISt17integral_constantIbLb0EES17_IbLb1EEEEDaS13_S14_EUlS13_E_NS1_11comp_targetILNS1_3genE10ELNS1_11target_archE1200ELNS1_3gpuE4ELNS1_3repE0EEENS1_30default_config_static_selectorELNS0_4arch9wavefront6targetE0EEEvT1_ ; -- Begin function _ZN7rocprim17ROCPRIM_400000_NS6detail17trampoline_kernelINS0_14default_configENS1_25partition_config_selectorILNS1_17partition_subalgoE6EfNS0_10empty_typeEbEEZZNS1_14partition_implILS5_6ELb0ES3_mN6thrust23THRUST_200600_302600_NS6detail15normal_iteratorINSA_10device_ptrIfEEEEPS6_SG_NS0_5tupleIJSF_S6_EEENSH_IJSG_SG_EEES6_PlJNSB_9not_fun_tI7is_evenIfEEEEEE10hipError_tPvRmT3_T4_T5_T6_T7_T9_mT8_P12ihipStream_tbDpT10_ENKUlT_T0_E_clISt17integral_constantIbLb0EES17_IbLb1EEEEDaS13_S14_EUlS13_E_NS1_11comp_targetILNS1_3genE10ELNS1_11target_archE1200ELNS1_3gpuE4ELNS1_3repE0EEENS1_30default_config_static_selectorELNS0_4arch9wavefront6targetE0EEEvT1_
	.globl	_ZN7rocprim17ROCPRIM_400000_NS6detail17trampoline_kernelINS0_14default_configENS1_25partition_config_selectorILNS1_17partition_subalgoE6EfNS0_10empty_typeEbEEZZNS1_14partition_implILS5_6ELb0ES3_mN6thrust23THRUST_200600_302600_NS6detail15normal_iteratorINSA_10device_ptrIfEEEEPS6_SG_NS0_5tupleIJSF_S6_EEENSH_IJSG_SG_EEES6_PlJNSB_9not_fun_tI7is_evenIfEEEEEE10hipError_tPvRmT3_T4_T5_T6_T7_T9_mT8_P12ihipStream_tbDpT10_ENKUlT_T0_E_clISt17integral_constantIbLb0EES17_IbLb1EEEEDaS13_S14_EUlS13_E_NS1_11comp_targetILNS1_3genE10ELNS1_11target_archE1200ELNS1_3gpuE4ELNS1_3repE0EEENS1_30default_config_static_selectorELNS0_4arch9wavefront6targetE0EEEvT1_
	.p2align	8
	.type	_ZN7rocprim17ROCPRIM_400000_NS6detail17trampoline_kernelINS0_14default_configENS1_25partition_config_selectorILNS1_17partition_subalgoE6EfNS0_10empty_typeEbEEZZNS1_14partition_implILS5_6ELb0ES3_mN6thrust23THRUST_200600_302600_NS6detail15normal_iteratorINSA_10device_ptrIfEEEEPS6_SG_NS0_5tupleIJSF_S6_EEENSH_IJSG_SG_EEES6_PlJNSB_9not_fun_tI7is_evenIfEEEEEE10hipError_tPvRmT3_T4_T5_T6_T7_T9_mT8_P12ihipStream_tbDpT10_ENKUlT_T0_E_clISt17integral_constantIbLb0EES17_IbLb1EEEEDaS13_S14_EUlS13_E_NS1_11comp_targetILNS1_3genE10ELNS1_11target_archE1200ELNS1_3gpuE4ELNS1_3repE0EEENS1_30default_config_static_selectorELNS0_4arch9wavefront6targetE0EEEvT1_,@function
_ZN7rocprim17ROCPRIM_400000_NS6detail17trampoline_kernelINS0_14default_configENS1_25partition_config_selectorILNS1_17partition_subalgoE6EfNS0_10empty_typeEbEEZZNS1_14partition_implILS5_6ELb0ES3_mN6thrust23THRUST_200600_302600_NS6detail15normal_iteratorINSA_10device_ptrIfEEEEPS6_SG_NS0_5tupleIJSF_S6_EEENSH_IJSG_SG_EEES6_PlJNSB_9not_fun_tI7is_evenIfEEEEEE10hipError_tPvRmT3_T4_T5_T6_T7_T9_mT8_P12ihipStream_tbDpT10_ENKUlT_T0_E_clISt17integral_constantIbLb0EES17_IbLb1EEEEDaS13_S14_EUlS13_E_NS1_11comp_targetILNS1_3genE10ELNS1_11target_archE1200ELNS1_3gpuE4ELNS1_3repE0EEENS1_30default_config_static_selectorELNS0_4arch9wavefront6targetE0EEEvT1_: ; @_ZN7rocprim17ROCPRIM_400000_NS6detail17trampoline_kernelINS0_14default_configENS1_25partition_config_selectorILNS1_17partition_subalgoE6EfNS0_10empty_typeEbEEZZNS1_14partition_implILS5_6ELb0ES3_mN6thrust23THRUST_200600_302600_NS6detail15normal_iteratorINSA_10device_ptrIfEEEEPS6_SG_NS0_5tupleIJSF_S6_EEENSH_IJSG_SG_EEES6_PlJNSB_9not_fun_tI7is_evenIfEEEEEE10hipError_tPvRmT3_T4_T5_T6_T7_T9_mT8_P12ihipStream_tbDpT10_ENKUlT_T0_E_clISt17integral_constantIbLb0EES17_IbLb1EEEEDaS13_S14_EUlS13_E_NS1_11comp_targetILNS1_3genE10ELNS1_11target_archE1200ELNS1_3gpuE4ELNS1_3repE0EEENS1_30default_config_static_selectorELNS0_4arch9wavefront6targetE0EEEvT1_
; %bb.0:
	s_clause 0x3
	s_load_b64 s[12:13], s[0:1], 0x28
	s_load_b128 s[8:11], s[0:1], 0x40
	s_load_b64 s[16:17], s[0:1], 0x50
	s_load_b64 s[14:15], s[0:1], 0x60
	v_cmp_eq_u32_e64 s2, 0, v0
	s_and_saveexec_b32 s3, s2
	s_cbranch_execz .LBB594_4
; %bb.1:
	s_mov_b32 s5, exec_lo
	s_mov_b32 s4, exec_lo
	v_mbcnt_lo_u32_b32 v1, s5, 0
                                        ; implicit-def: $vgpr2
	s_delay_alu instid0(VALU_DEP_1)
	v_cmpx_eq_u32_e32 0, v1
	s_cbranch_execz .LBB594_3
; %bb.2:
	s_load_b64 s[6:7], s[0:1], 0x70
	s_bcnt1_i32_b32 s5, s5
	s_wait_alu 0xfffe
	v_dual_mov_b32 v2, 0 :: v_dual_mov_b32 v3, s5
	s_wait_kmcnt 0x0
	global_atomic_add_u32 v2, v2, v3, s[6:7] th:TH_ATOMIC_RETURN scope:SCOPE_DEV
.LBB594_3:
	s_or_b32 exec_lo, exec_lo, s4
	s_wait_loadcnt 0x0
	v_readfirstlane_b32 s4, v2
	s_wait_alu 0xf1ff
	s_delay_alu instid0(VALU_DEP_1)
	v_dual_mov_b32 v2, 0 :: v_dual_add_nc_u32 v1, s4, v1
	ds_store_b32 v2, v1
.LBB594_4:
	s_or_b32 exec_lo, exec_lo, s3
	v_mov_b32_e32 v2, 0
	s_clause 0x1
	s_load_b128 s[4:7], s[0:1], 0x8
	s_load_b32 s0, s[0:1], 0x68
	s_wait_dscnt 0x0
	s_barrier_signal -1
	s_barrier_wait -1
	global_inv scope:SCOPE_SE
	ds_load_b32 v1, v2
	s_wait_loadcnt_dscnt 0x0
	s_barrier_signal -1
	s_barrier_wait -1
	global_inv scope:SCOPE_SE
	s_wait_kmcnt 0x0
	global_load_b64 v[9:10], v2, s[10:11]
	s_mov_b32 s1, 0
	v_lshlrev_b32_e32 v8, 2, v0
	s_lshl_b64 s[18:19], s[6:7], 2
	s_add_co_i32 s3, s0, -1
	s_mulk_i32 s0, 0xa80
	s_delay_alu instid0(SALU_CYCLE_1)
	s_add_co_i32 s11, s0, s6
	s_add_nc_u64 s[6:7], s[6:7], s[0:1]
	v_readfirstlane_b32 s10, v1
	v_mul_lo_u32 v1, 0xa80, v1
	v_cmp_le_u64_e64 s1, s[16:17], s[6:7]
	s_sub_co_i32 s0, s16, s11
	s_add_nc_u64 s[16:17], s[4:5], s[18:19]
	s_cmp_eq_u32 s10, s3
	s_cselect_b32 s6, -1, 0
	v_lshlrev_b64_e32 v[1:2], 2, v[1:2]
	s_wait_alu 0xfffe
	s_and_b32 s1, s1, s6
	s_delay_alu instid0(SALU_CYCLE_1) | instskip(SKIP_1) | instid1(VALU_DEP_1)
	s_xor_b32 s5, s1, -1
	s_mov_b32 s1, -1
	v_add_co_u32 v11, vcc_lo, s16, v1
	s_delay_alu instid0(VALU_DEP_1)
	v_add_co_ci_u32_e64 v12, null, s17, v2, vcc_lo
	s_wait_alu 0xfffe
	s_and_b32 vcc_lo, exec_lo, s5
	s_wait_alu 0xfffe
	s_cbranch_vccz .LBB594_6
; %bb.5:
	v_add_co_u32 v1, vcc_lo, v11, v8
	s_wait_alu 0xfffd
	v_add_co_ci_u32_e64 v2, null, 0, v12, vcc_lo
	s_mov_b32 s1, 0
	s_clause 0x6
	flat_load_b32 v3, v[1:2]
	flat_load_b32 v4, v[1:2] offset:1536
	flat_load_b32 v5, v[1:2] offset:3072
	;; [unrolled: 1-line block ×6, first 2 shown]
	s_wait_loadcnt_dscnt 0x505
	ds_store_2addr_stride64_b32 v8, v3, v4 offset1:6
	s_wait_loadcnt_dscnt 0x304
	ds_store_2addr_stride64_b32 v8, v5, v6 offset0:12 offset1:18
	s_wait_loadcnt_dscnt 0x103
	ds_store_2addr_stride64_b32 v8, v7, v13 offset0:24 offset1:30
	s_wait_loadcnt_dscnt 0x3
	ds_store_b32 v8, v1 offset:9216
	s_wait_dscnt 0x0
	s_barrier_signal -1
	s_barrier_wait -1
.LBB594_6:
	s_and_not1_b32 vcc_lo, exec_lo, s1
	s_addk_co_i32 s0, 0xa80
	s_wait_alu 0xfffe
	s_cbranch_vccnz .LBB594_22
; %bb.7:
	v_mov_b32_e32 v1, 0
	s_mov_b32 s1, exec_lo
	s_delay_alu instid0(VALU_DEP_1)
	v_dual_mov_b32 v2, v1 :: v_dual_mov_b32 v3, v1
	v_dual_mov_b32 v4, v1 :: v_dual_mov_b32 v5, v1
	;; [unrolled: 1-line block ×3, first 2 shown]
	v_cmpx_gt_u32_e64 s0, v0
	s_cbranch_execz .LBB594_9
; %bb.8:
	v_add_co_u32 v2, vcc_lo, v11, v8
	s_wait_alu 0xfffd
	v_add_co_ci_u32_e64 v3, null, 0, v12, vcc_lo
	v_dual_mov_b32 v14, v1 :: v_dual_mov_b32 v15, v1
	v_dual_mov_b32 v16, v1 :: v_dual_mov_b32 v17, v1
	flat_load_b32 v13, v[2:3]
	v_dual_mov_b32 v18, v1 :: v_dual_mov_b32 v19, v1
	s_wait_loadcnt_dscnt 0x0
	v_dual_mov_b32 v1, v13 :: v_dual_mov_b32 v2, v14
	v_dual_mov_b32 v3, v15 :: v_dual_mov_b32 v4, v16
	s_delay_alu instid0(VALU_DEP_3)
	v_dual_mov_b32 v5, v17 :: v_dual_mov_b32 v6, v18
	v_mov_b32_e32 v7, v19
.LBB594_9:
	s_or_b32 exec_lo, exec_lo, s1
	v_add_nc_u32_e32 v13, 0x180, v0
	s_mov_b32 s1, exec_lo
	s_delay_alu instid0(VALU_DEP_1)
	v_cmpx_gt_u32_e64 s0, v13
	s_cbranch_execz .LBB594_11
; %bb.10:
	v_add_co_u32 v13, vcc_lo, v11, v8
	s_wait_alu 0xfffd
	v_add_co_ci_u32_e64 v14, null, 0, v12, vcc_lo
	flat_load_b32 v2, v[13:14] offset:1536
.LBB594_11:
	s_wait_alu 0xfffe
	s_or_b32 exec_lo, exec_lo, s1
	v_add_nc_u32_e32 v13, 0x300, v0
	s_mov_b32 s1, exec_lo
	s_delay_alu instid0(VALU_DEP_1)
	v_cmpx_gt_u32_e64 s0, v13
	s_cbranch_execz .LBB594_13
; %bb.12:
	v_add_co_u32 v13, vcc_lo, v11, v8
	s_wait_alu 0xfffd
	v_add_co_ci_u32_e64 v14, null, 0, v12, vcc_lo
	flat_load_b32 v3, v[13:14] offset:3072
.LBB594_13:
	s_wait_alu 0xfffe
	;; [unrolled: 13-line block ×3, first 2 shown]
	s_or_b32 exec_lo, exec_lo, s1
	v_or_b32_e32 v13, 0x600, v0
	s_mov_b32 s1, exec_lo
	s_delay_alu instid0(VALU_DEP_1)
	v_cmpx_gt_u32_e64 s0, v13
	s_cbranch_execz .LBB594_17
; %bb.16:
	v_add_co_u32 v13, vcc_lo, v11, v8
	s_wait_alu 0xfffd
	v_add_co_ci_u32_e64 v14, null, 0, v12, vcc_lo
	flat_load_b32 v5, v[13:14] offset:6144
.LBB594_17:
	s_wait_alu 0xfffe
	s_or_b32 exec_lo, exec_lo, s1
	v_add_nc_u32_e32 v13, 0x780, v0
	s_mov_b32 s1, exec_lo
	s_delay_alu instid0(VALU_DEP_1)
	v_cmpx_gt_u32_e64 s0, v13
	s_cbranch_execz .LBB594_19
; %bb.18:
	v_add_co_u32 v13, vcc_lo, v11, v8
	s_wait_alu 0xfffd
	v_add_co_ci_u32_e64 v14, null, 0, v12, vcc_lo
	flat_load_b32 v6, v[13:14] offset:7680
.LBB594_19:
	s_wait_alu 0xfffe
	s_or_b32 exec_lo, exec_lo, s1
	v_add_nc_u32_e32 v13, 0x900, v0
	s_mov_b32 s1, exec_lo
	s_delay_alu instid0(VALU_DEP_1)
	v_cmpx_gt_u32_e64 s0, v13
	s_cbranch_execz .LBB594_21
; %bb.20:
	v_add_co_u32 v11, vcc_lo, v11, v8
	s_wait_alu 0xfffd
	v_add_co_ci_u32_e64 v12, null, 0, v12, vcc_lo
	flat_load_b32 v7, v[11:12] offset:9216
.LBB594_21:
	s_wait_alu 0xfffe
	s_or_b32 exec_lo, exec_lo, s1
	s_wait_loadcnt_dscnt 0x0
	ds_store_2addr_stride64_b32 v8, v1, v2 offset1:6
	ds_store_2addr_stride64_b32 v8, v3, v4 offset0:12 offset1:18
	ds_store_2addr_stride64_b32 v8, v5, v6 offset0:24 offset1:30
	ds_store_b32 v8, v7 offset:9216
	s_wait_dscnt 0x0
	s_barrier_signal -1
	s_barrier_wait -1
.LBB594_22:
	v_mul_u32_u24_e32 v2, 7, v0
	s_wait_loadcnt 0x0
	global_inv scope:SCOPE_SE
	s_and_not1_b32 vcc_lo, exec_lo, s5
	v_lshlrev_b32_e32 v32, 2, v2
	ds_load_b32 v33, v32 offset:16
	ds_load_2addr_b32 v[11:12], v32 offset0:5 offset1:6
	ds_load_2addr_b32 v[15:16], v32 offset1:1
	ds_load_2addr_b32 v[13:14], v32 offset0:2 offset1:3
	s_wait_loadcnt_dscnt 0x0
	s_barrier_signal -1
	s_barrier_wait -1
	global_inv scope:SCOPE_SE
	v_cvt_u32_f32_e32 v1, v33
	v_cvt_u32_f32_e32 v3, v11
	;; [unrolled: 1-line block ×7, first 2 shown]
	s_wait_alu 0xfffe
	s_cbranch_vccnz .LBB594_24
; %bb.23:
	v_and_b32_e32 v17, 1, v7
	v_and_b32_e32 v18, 1, v8
	;; [unrolled: 1-line block ×5, first 2 shown]
	v_lshlrev_b16 v17, 8, v17
	v_lshlrev_b16 v18, 8, v18
	v_and_b32_e32 v35, 1, v3
	v_and_b32_e32 v34, 1, v4
	s_delay_alu instid0(VALU_DEP_4) | instskip(NEXT) | instid1(VALU_DEP_4)
	v_or_b32_e32 v17, v19, v17
	v_or_b32_e32 v18, v20, v18
	s_delay_alu instid0(VALU_DEP_2) | instskip(NEXT) | instid1(VALU_DEP_2)
	v_and_b32_e32 v17, 0xffff, v17
	v_lshlrev_b32_e32 v18, 16, v18
	s_delay_alu instid0(VALU_DEP_1)
	v_or_b32_e32 v31, v17, v18
	s_cbranch_execz .LBB594_25
	s_branch .LBB594_26
.LBB594_24:
                                        ; implicit-def: $vgpr34
                                        ; implicit-def: $vgpr35
                                        ; implicit-def: $vgpr36
                                        ; implicit-def: $vgpr31
.LBB594_25:
	v_add_nc_u32_e32 v17, 3, v2
	v_add_nc_u32_e32 v18, 1, v2
	;; [unrolled: 1-line block ×4, first 2 shown]
	s_delay_alu instid0(VALU_DEP_4) | instskip(SKIP_3) | instid1(VALU_DEP_2)
	v_cmp_gt_u32_e32 vcc_lo, s0, v17
	s_wait_alu 0xfffd
	v_cndmask_b32_e64 v17, 0, 1, vcc_lo
	v_cmp_gt_u32_e32 vcc_lo, s0, v18
	v_and_b32_e32 v8, v17, v8
	s_wait_alu 0xfffd
	v_cndmask_b32_e64 v18, 0, 1, vcc_lo
	v_cmp_gt_u32_e32 vcc_lo, s0, v2
	s_delay_alu instid0(VALU_DEP_3) | instskip(NEXT) | instid1(VALU_DEP_3)
	v_lshlrev_b16 v8, 8, v8
	v_and_b32_e32 v7, v18, v7
	s_wait_alu 0xfffd
	v_cndmask_b32_e64 v17, 0, 1, vcc_lo
	v_cmp_gt_u32_e32 vcc_lo, s0, v19
	v_add_nc_u32_e32 v18, 5, v2
	v_lshrrev_b32_e32 v8, 8, v8
	v_lshlrev_b16 v7, 8, v7
	v_add_nc_u32_e32 v2, 6, v2
	s_wait_alu 0xfffd
	v_cndmask_b32_e64 v19, 0, 1, vcc_lo
	v_and_b32_e32 v5, v17, v5
	v_and_b32_e32 v8, 1, v8
	v_lshrrev_b32_e32 v7, 8, v7
	v_cmp_gt_u32_e32 vcc_lo, s0, v2
	v_and_b32_e32 v6, v19, v6
	v_and_b32_e32 v5, 1, v5
	v_lshlrev_b16 v8, 8, v8
	v_lshlrev_b16 v7, 8, v7
	s_wait_alu 0xfffd
	v_cndmask_b32_e64 v2, 0, 1, vcc_lo
	v_and_b32_e32 v6, 1, v6
	v_cmp_gt_u32_e32 vcc_lo, s0, v18
	s_delay_alu instid0(VALU_DEP_3)
	v_and_b32_e32 v34, v2, v4
	v_or_b32_e32 v2, v5, v7
	s_wait_alu 0xfffd
	v_cndmask_b32_e64 v17, 0, 1, vcc_lo
	v_or_b32_e32 v4, v6, v8
	v_cmp_gt_u32_e32 vcc_lo, s0, v20
	v_lshlrev_b16 v6, 8, v34
	v_and_b32_e32 v2, 0xffff, v2
	v_and_b32_e32 v3, v17, v3
	v_lshlrev_b32_e32 v4, 16, v4
	s_wait_alu 0xfffd
	v_cndmask_b32_e64 v5, 0, 1, vcc_lo
	s_delay_alu instid0(VALU_DEP_3) | instskip(NEXT) | instid1(VALU_DEP_3)
	v_or_b32_e32 v35, v3, v6
	v_or_b32_e32 v31, v2, v4
	s_delay_alu instid0(VALU_DEP_3)
	v_and_b32_e32 v36, v5, v1
.LBB594_26:
	s_delay_alu instid0(VALU_DEP_1)
	v_and_b32_e32 v42, 0xff, v31
	v_bfe_u32 v40, v31, 8, 8
	v_bfe_u32 v39, v31, 16, 8
	v_lshrrev_b32_e32 v37, 24, v31
	v_dual_mov_b32 v2, 0 :: v_dual_and_b32 v41, 0xff, v36
	v_and_b32_e32 v38, 0xff, v35
	s_delay_alu instid0(VALU_DEP_4)
	v_add3_u32 v1, v40, v42, v39
	v_mbcnt_lo_u32_b32 v43, -1, 0
	v_and_b32_e32 v4, 0xff, v34
	s_cmp_lg_u32 s10, 0
	s_mov_b32 s1, -1
	v_add_co_u32 v1, s0, v1, v37
	s_wait_alu 0xf1ff
	v_add_co_ci_u32_e64 v3, null, 0, 0, s0
	v_and_b32_e32 v44, 15, v43
	s_delay_alu instid0(VALU_DEP_3) | instskip(SKIP_1) | instid1(VALU_DEP_3)
	v_add_co_u32 v1, vcc_lo, v1, v41
	s_wait_alu 0xfffd
	v_add_co_ci_u32_e64 v3, null, 0, v3, vcc_lo
	s_delay_alu instid0(VALU_DEP_3) | instskip(NEXT) | instid1(VALU_DEP_3)
	v_cmp_ne_u32_e64 s0, 0, v44
	v_add_co_u32 v1, vcc_lo, v1, v38
	s_wait_alu 0xfffd
	s_delay_alu instid0(VALU_DEP_3) | instskip(NEXT) | instid1(VALU_DEP_2)
	v_add_co_ci_u32_e64 v3, null, 0, v3, vcc_lo
	v_add_co_u32 v17, vcc_lo, v1, v4
	s_wait_alu 0xfffd
	s_delay_alu instid0(VALU_DEP_2)
	v_add_co_ci_u32_e64 v18, null, 0, v3, vcc_lo
	s_cbranch_scc0 .LBB594_85
; %bb.27:
	v_mov_b32_e32 v3, v17
	v_mov_b32_dpp v1, v17 row_shr:1 row_mask:0xf bank_mask:0xf
	v_mov_b32_dpp v6, v2 row_shr:1 row_mask:0xf bank_mask:0xf
	v_dual_mov_b32 v5, v17 :: v_dual_mov_b32 v4, v18
	s_and_saveexec_b32 s1, s0
; %bb.28:
	s_delay_alu instid0(VALU_DEP_3) | instskip(SKIP_2) | instid1(VALU_DEP_2)
	v_add_co_u32 v5, vcc_lo, v17, v1
	s_wait_alu 0xfffd
	v_add_co_ci_u32_e64 v2, null, 0, v18, vcc_lo
	v_add_co_u32 v1, vcc_lo, 0, v5
	s_wait_alu 0xfffd
	s_delay_alu instid0(VALU_DEP_2) | instskip(NEXT) | instid1(VALU_DEP_1)
	v_add_co_ci_u32_e64 v2, null, v6, v2, vcc_lo
	v_dual_mov_b32 v4, v2 :: v_dual_mov_b32 v3, v1
; %bb.29:
	s_wait_alu 0xfffe
	s_or_b32 exec_lo, exec_lo, s1
	v_mov_b32_dpp v1, v5 row_shr:2 row_mask:0xf bank_mask:0xf
	v_mov_b32_dpp v6, v2 row_shr:2 row_mask:0xf bank_mask:0xf
	v_cmp_lt_u32_e32 vcc_lo, 1, v44
	s_and_saveexec_b32 s3, vcc_lo
; %bb.30:
	s_delay_alu instid0(VALU_DEP_3) | instskip(SKIP_2) | instid1(VALU_DEP_2)
	v_add_co_u32 v5, s1, v3, v1
	s_wait_alu 0xf1ff
	v_add_co_ci_u32_e64 v2, null, 0, v4, s1
	v_add_co_u32 v1, s1, 0, v5
	s_wait_alu 0xf1ff
	s_delay_alu instid0(VALU_DEP_2) | instskip(NEXT) | instid1(VALU_DEP_1)
	v_add_co_ci_u32_e64 v2, null, v6, v2, s1
	v_dual_mov_b32 v4, v2 :: v_dual_mov_b32 v3, v1
; %bb.31:
	s_or_b32 exec_lo, exec_lo, s3
	v_mov_b32_dpp v1, v5 row_shr:4 row_mask:0xf bank_mask:0xf
	v_mov_b32_dpp v6, v2 row_shr:4 row_mask:0xf bank_mask:0xf
	v_cmp_lt_u32_e64 s1, 3, v44
	s_and_saveexec_b32 s4, s1
; %bb.32:
	v_add_co_u32 v5, s3, v3, v1
	s_delay_alu instid0(VALU_DEP_1) | instskip(NEXT) | instid1(VALU_DEP_2)
	v_add_co_ci_u32_e64 v2, null, 0, v4, s3
	v_add_co_u32 v1, s3, 0, v5
	s_wait_alu 0xf1ff
	s_delay_alu instid0(VALU_DEP_2) | instskip(NEXT) | instid1(VALU_DEP_1)
	v_add_co_ci_u32_e64 v2, null, v6, v2, s3
	v_dual_mov_b32 v4, v2 :: v_dual_mov_b32 v3, v1
; %bb.33:
	s_wait_alu 0xfffe
	s_or_b32 exec_lo, exec_lo, s4
	v_mov_b32_dpp v6, v5 row_shr:8 row_mask:0xf bank_mask:0xf
	v_mov_b32_dpp v1, v2 row_shr:8 row_mask:0xf bank_mask:0xf
	v_cmp_lt_u32_e64 s3, 7, v44
	s_and_saveexec_b32 s7, s3
; %bb.34:
	v_add_co_u32 v5, s4, v3, v6
	s_wait_alu 0xf1ff
	v_add_co_ci_u32_e64 v2, null, 0, v4, s4
	s_delay_alu instid0(VALU_DEP_2) | instskip(SKIP_1) | instid1(VALU_DEP_2)
	v_add_co_u32 v3, s4, 0, v5
	s_wait_alu 0xf1ff
	v_add_co_ci_u32_e64 v4, null, v1, v2, s4
	s_delay_alu instid0(VALU_DEP_1)
	v_mov_b32_e32 v2, v4
; %bb.35:
	s_wait_alu 0xfffe
	s_or_b32 exec_lo, exec_lo, s7
	ds_swizzle_b32 v1, v5 offset:swizzle(BROADCAST,32,15)
	ds_swizzle_b32 v6, v2 offset:swizzle(BROADCAST,32,15)
	v_and_b32_e32 v7, 16, v43
	s_mov_b32 s7, exec_lo
	s_delay_alu instid0(VALU_DEP_1)
	v_cmpx_ne_u32_e32 0, v7
	s_cbranch_execz .LBB594_37
; %bb.36:
	s_wait_dscnt 0x1
	v_add_co_u32 v5, s4, v3, v1
	s_wait_alu 0xf1ff
	v_add_co_ci_u32_e64 v2, null, 0, v4, s4
	s_delay_alu instid0(VALU_DEP_2) | instskip(SKIP_2) | instid1(VALU_DEP_2)
	v_add_co_u32 v1, s4, 0, v5
	s_wait_dscnt 0x0
	s_wait_alu 0xf1ff
	v_add_co_ci_u32_e64 v2, null, v6, v2, s4
	s_delay_alu instid0(VALU_DEP_1)
	v_dual_mov_b32 v4, v2 :: v_dual_mov_b32 v3, v1
.LBB594_37:
	s_wait_alu 0xfffe
	s_or_b32 exec_lo, exec_lo, s7
	s_wait_dscnt 0x1
	v_and_b32_e32 v1, 0x1e0, v0
	s_mov_b32 s7, exec_lo
	s_delay_alu instid0(VALU_DEP_1) | instskip(SKIP_1) | instid1(VALU_DEP_1)
	v_min_u32_e32 v1, 0x160, v1
	s_wait_dscnt 0x0
	v_or_b32_e32 v6, 31, v1
	v_lshrrev_b32_e32 v1, 5, v0
	s_delay_alu instid0(VALU_DEP_2)
	v_cmpx_eq_u32_e64 v0, v6
; %bb.38:
	s_delay_alu instid0(VALU_DEP_2)
	v_lshlrev_b32_e32 v6, 3, v1
	ds_store_b64 v6, v[3:4]
; %bb.39:
	s_wait_alu 0xfffe
	s_or_b32 exec_lo, exec_lo, s7
	s_delay_alu instid0(SALU_CYCLE_1)
	s_mov_b32 s7, exec_lo
	s_wait_loadcnt_dscnt 0x0
	s_barrier_signal -1
	s_barrier_wait -1
	global_inv scope:SCOPE_SE
	v_cmpx_gt_u32_e32 12, v0
	s_cbranch_execz .LBB594_49
; %bb.40:
	v_lshlrev_b32_e32 v6, 3, v0
	ds_load_b64 v[3:4], v6
	s_wait_dscnt 0x0
	v_mov_b32_dpp v19, v3 row_shr:1 row_mask:0xf bank_mask:0xf
	v_mov_b32_dpp v8, v4 row_shr:1 row_mask:0xf bank_mask:0xf
	v_mov_b32_e32 v7, v3
	s_and_saveexec_b32 s11, s0
; %bb.41:
	s_delay_alu instid0(VALU_DEP_3) | instskip(SKIP_2) | instid1(VALU_DEP_2)
	v_add_co_u32 v7, s4, v3, v19
	s_wait_alu 0xf1ff
	v_add_co_ci_u32_e64 v4, null, 0, v4, s4
	v_add_co_u32 v3, s4, 0, v7
	s_wait_alu 0xf1ff
	s_delay_alu instid0(VALU_DEP_2)
	v_add_co_ci_u32_e64 v4, null, v8, v4, s4
; %bb.42:
	s_or_b32 exec_lo, exec_lo, s11
	v_mov_b32_dpp v19, v7 row_shr:2 row_mask:0xf bank_mask:0xf
	s_delay_alu instid0(VALU_DEP_2)
	v_mov_b32_dpp v8, v4 row_shr:2 row_mask:0xf bank_mask:0xf
	s_and_saveexec_b32 s4, vcc_lo
; %bb.43:
	s_delay_alu instid0(VALU_DEP_2) | instskip(SKIP_2) | instid1(VALU_DEP_2)
	v_add_co_u32 v7, vcc_lo, v3, v19
	s_wait_alu 0xfffd
	v_add_co_ci_u32_e64 v4, null, 0, v4, vcc_lo
	v_add_co_u32 v3, vcc_lo, 0, v7
	s_wait_alu 0xfffd
	s_delay_alu instid0(VALU_DEP_2)
	v_add_co_ci_u32_e64 v4, null, v8, v4, vcc_lo
; %bb.44:
	s_wait_alu 0xfffe
	s_or_b32 exec_lo, exec_lo, s4
	v_mov_b32_dpp v19, v7 row_shr:4 row_mask:0xf bank_mask:0xf
	s_delay_alu instid0(VALU_DEP_2)
	v_mov_b32_dpp v8, v4 row_shr:4 row_mask:0xf bank_mask:0xf
	s_and_saveexec_b32 s4, s1
; %bb.45:
	s_delay_alu instid0(VALU_DEP_2) | instskip(SKIP_2) | instid1(VALU_DEP_2)
	v_add_co_u32 v7, vcc_lo, v3, v19
	s_wait_alu 0xfffd
	v_add_co_ci_u32_e64 v4, null, 0, v4, vcc_lo
	v_add_co_u32 v3, vcc_lo, 0, v7
	s_wait_alu 0xfffd
	s_delay_alu instid0(VALU_DEP_2)
	v_add_co_ci_u32_e64 v4, null, v8, v4, vcc_lo
; %bb.46:
	s_wait_alu 0xfffe
	s_or_b32 exec_lo, exec_lo, s4
	v_mov_b32_dpp v8, v7 row_shr:8 row_mask:0xf bank_mask:0xf
	s_delay_alu instid0(VALU_DEP_2)
	v_mov_b32_dpp v7, v4 row_shr:8 row_mask:0xf bank_mask:0xf
	s_and_saveexec_b32 s1, s3
; %bb.47:
	s_delay_alu instid0(VALU_DEP_2) | instskip(SKIP_2) | instid1(VALU_DEP_2)
	v_add_co_u32 v3, vcc_lo, v3, v8
	s_wait_alu 0xfffd
	v_add_co_ci_u32_e64 v4, null, 0, v4, vcc_lo
	v_add_co_u32 v3, vcc_lo, v3, 0
	s_wait_alu 0xfffd
	s_delay_alu instid0(VALU_DEP_2)
	v_add_co_ci_u32_e64 v4, null, v4, v7, vcc_lo
; %bb.48:
	s_wait_alu 0xfffe
	s_or_b32 exec_lo, exec_lo, s1
	ds_store_b64 v6, v[3:4]
.LBB594_49:
	s_wait_alu 0xfffe
	s_or_b32 exec_lo, exec_lo, s7
	s_delay_alu instid0(SALU_CYCLE_1)
	s_mov_b32 s3, exec_lo
	v_cmp_gt_u32_e32 vcc_lo, 32, v0
	s_wait_loadcnt_dscnt 0x0
	s_barrier_signal -1
	s_barrier_wait -1
	global_inv scope:SCOPE_SE
                                        ; implicit-def: $vgpr19_vgpr20
	v_cmpx_lt_u32_e32 31, v0
	s_cbranch_execz .LBB594_51
; %bb.50:
	v_lshl_add_u32 v1, v1, 3, -8
	ds_load_b64 v[19:20], v1
	s_wait_dscnt 0x0
	v_add_co_u32 v5, s1, v5, v19
	s_wait_alu 0xf1ff
	v_add_co_ci_u32_e64 v2, null, v2, v20, s1
.LBB594_51:
	s_wait_alu 0xfffe
	s_or_b32 exec_lo, exec_lo, s3
	v_sub_co_u32 v1, s1, v43, 1
	s_delay_alu instid0(VALU_DEP_1) | instskip(SKIP_1) | instid1(VALU_DEP_1)
	v_cmp_gt_i32_e64 s3, 0, v1
	s_wait_alu 0xf1ff
	v_cndmask_b32_e64 v1, v1, v43, s3
	s_delay_alu instid0(VALU_DEP_1)
	v_lshlrev_b32_e32 v1, 2, v1
	ds_bpermute_b32 v25, v1, v5
	ds_bpermute_b32 v26, v1, v2
	s_and_saveexec_b32 s3, vcc_lo
	s_cbranch_execz .LBB594_90
; %bb.52:
	v_mov_b32_e32 v4, 0
	ds_load_b64 v[1:2], v4 offset:88
	s_and_saveexec_b32 s4, s1
	s_cbranch_execz .LBB594_54
; %bb.53:
	s_add_co_i32 s16, s10, 32
	s_mov_b32 s17, 0
	s_wait_alu 0xfffe
	s_lshl_b64 s[16:17], s[16:17], 4
	s_wait_alu 0xfffe
	s_add_nc_u64 s[16:17], s[14:15], s[16:17]
	v_mov_b32_e32 v3, 1
	s_wait_alu 0xfffe
	v_dual_mov_b32 v5, s16 :: v_dual_mov_b32 v6, s17
	s_wait_dscnt 0x0
	;;#ASMSTART
	global_store_b128 v[5:6], v[1:4] off scope:SCOPE_DEV	
s_wait_storecnt 0x0
	;;#ASMEND
.LBB594_54:
	s_wait_alu 0xfffe
	s_or_b32 exec_lo, exec_lo, s4
	v_xad_u32 v21, v43, -1, s10
	s_mov_b32 s7, 0
	s_mov_b32 s4, exec_lo
	s_delay_alu instid0(VALU_DEP_1) | instskip(NEXT) | instid1(VALU_DEP_1)
	v_add_nc_u32_e32 v3, 32, v21
	v_lshlrev_b64_e32 v[3:4], 4, v[3:4]
	s_delay_alu instid0(VALU_DEP_1) | instskip(SKIP_1) | instid1(VALU_DEP_2)
	v_add_co_u32 v3, vcc_lo, s14, v3
	s_wait_alu 0xfffd
	v_add_co_ci_u32_e64 v4, null, s15, v4, vcc_lo
	;;#ASMSTART
	global_load_b128 v[5:8], v[3:4] off scope:SCOPE_DEV	
s_wait_loadcnt 0x0
	;;#ASMEND
	v_and_b32_e32 v8, 0xff, v7
	s_delay_alu instid0(VALU_DEP_1)
	v_cmpx_eq_u16_e32 0, v8
	s_cbranch_execz .LBB594_57
.LBB594_55:                             ; =>This Inner Loop Header: Depth=1
	;;#ASMSTART
	global_load_b128 v[5:8], v[3:4] off scope:SCOPE_DEV	
s_wait_loadcnt 0x0
	;;#ASMEND
	v_and_b32_e32 v8, 0xff, v7
	s_delay_alu instid0(VALU_DEP_1)
	v_cmp_ne_u16_e32 vcc_lo, 0, v8
	s_wait_alu 0xfffe
	s_or_b32 s7, vcc_lo, s7
	s_wait_alu 0xfffe
	s_and_not1_b32 exec_lo, exec_lo, s7
	s_cbranch_execnz .LBB594_55
; %bb.56:
	s_or_b32 exec_lo, exec_lo, s7
.LBB594_57:
	s_wait_alu 0xfffe
	s_or_b32 exec_lo, exec_lo, s4
	v_cmp_ne_u32_e32 vcc_lo, 31, v43
	v_and_b32_e32 v4, 0xff, v7
	v_lshlrev_b32_e64 v28, v43, -1
	s_mov_b32 s4, exec_lo
	s_wait_alu 0xfffd
	v_add_co_ci_u32_e64 v3, null, 0, v43, vcc_lo
	v_cmp_eq_u16_e32 vcc_lo, 2, v4
	s_delay_alu instid0(VALU_DEP_2)
	v_dual_mov_b32 v4, v5 :: v_dual_lshlrev_b32 v27, 2, v3
	s_wait_alu 0xfffd
	v_and_or_b32 v3, vcc_lo, v28, 0x80000000
	ds_bpermute_b32 v22, v27, v5
	ds_bpermute_b32 v8, v27, v6
	v_ctz_i32_b32_e32 v3, v3
	s_delay_alu instid0(VALU_DEP_1)
	v_cmpx_lt_u32_e64 v43, v3
	s_cbranch_execz .LBB594_59
; %bb.58:
	s_wait_dscnt 0x1
	v_add_co_u32 v4, vcc_lo, v5, v22
	s_wait_alu 0xfffd
	v_add_co_ci_u32_e64 v6, null, 0, v6, vcc_lo
	s_delay_alu instid0(VALU_DEP_2) | instskip(SKIP_2) | instid1(VALU_DEP_2)
	v_add_co_u32 v5, vcc_lo, 0, v4
	s_wait_dscnt 0x0
	s_wait_alu 0xfffd
	v_add_co_ci_u32_e64 v6, null, v8, v6, vcc_lo
.LBB594_59:
	s_wait_alu 0xfffe
	s_or_b32 exec_lo, exec_lo, s4
	v_cmp_gt_u32_e32 vcc_lo, 30, v43
	v_add_nc_u32_e32 v30, 2, v43
	s_mov_b32 s4, exec_lo
	s_wait_dscnt 0x0
	s_wait_alu 0xfffd
	v_cndmask_b32_e64 v8, 0, 2, vcc_lo
	s_delay_alu instid0(VALU_DEP_1)
	v_add_lshl_u32 v29, v8, v43, 2
	ds_bpermute_b32 v22, v29, v4
	ds_bpermute_b32 v8, v29, v6
	v_cmpx_le_u32_e64 v30, v3
	s_cbranch_execz .LBB594_61
; %bb.60:
	s_wait_dscnt 0x1
	v_add_co_u32 v4, vcc_lo, v5, v22
	s_wait_alu 0xfffd
	v_add_co_ci_u32_e64 v6, null, 0, v6, vcc_lo
	s_delay_alu instid0(VALU_DEP_2) | instskip(SKIP_2) | instid1(VALU_DEP_2)
	v_add_co_u32 v5, vcc_lo, 0, v4
	s_wait_dscnt 0x0
	s_wait_alu 0xfffd
	v_add_co_ci_u32_e64 v6, null, v8, v6, vcc_lo
.LBB594_61:
	s_wait_alu 0xfffe
	s_or_b32 exec_lo, exec_lo, s4
	v_cmp_gt_u32_e32 vcc_lo, 28, v43
	v_add_nc_u32_e32 v46, 4, v43
	s_mov_b32 s4, exec_lo
	s_wait_dscnt 0x0
	s_wait_alu 0xfffd
	v_cndmask_b32_e64 v8, 0, 4, vcc_lo
	s_delay_alu instid0(VALU_DEP_1)
	v_add_lshl_u32 v45, v8, v43, 2
	ds_bpermute_b32 v22, v45, v4
	ds_bpermute_b32 v8, v45, v6
	v_cmpx_le_u32_e64 v46, v3
	;; [unrolled: 25-line block ×3, first 2 shown]
	s_cbranch_execz .LBB594_65
; %bb.64:
	s_wait_dscnt 0x1
	v_add_co_u32 v4, vcc_lo, v5, v22
	s_wait_alu 0xfffd
	v_add_co_ci_u32_e64 v6, null, 0, v6, vcc_lo
	s_delay_alu instid0(VALU_DEP_2) | instskip(SKIP_2) | instid1(VALU_DEP_2)
	v_add_co_u32 v5, vcc_lo, 0, v4
	s_wait_dscnt 0x0
	s_wait_alu 0xfffd
	v_add_co_ci_u32_e64 v6, null, v8, v6, vcc_lo
.LBB594_65:
	s_wait_alu 0xfffe
	s_or_b32 exec_lo, exec_lo, s4
	v_lshl_or_b32 v49, v43, 2, 64
	v_add_nc_u32_e32 v50, 16, v43
	s_mov_b32 s4, exec_lo
	s_wait_dscnt 0x0
	ds_bpermute_b32 v8, v49, v4
	ds_bpermute_b32 v4, v49, v6
	v_cmpx_le_u32_e64 v50, v3
	s_cbranch_execz .LBB594_67
; %bb.66:
	s_wait_dscnt 0x1
	v_add_co_u32 v3, vcc_lo, v5, v8
	s_wait_alu 0xfffd
	v_add_co_ci_u32_e64 v6, null, 0, v6, vcc_lo
	s_delay_alu instid0(VALU_DEP_2) | instskip(SKIP_2) | instid1(VALU_DEP_2)
	v_add_co_u32 v5, vcc_lo, v3, 0
	s_wait_dscnt 0x0
	s_wait_alu 0xfffd
	v_add_co_ci_u32_e64 v6, null, v6, v4, vcc_lo
.LBB594_67:
	s_wait_alu 0xfffe
	s_or_b32 exec_lo, exec_lo, s4
	v_mov_b32_e32 v22, 0
	s_branch .LBB594_70
.LBB594_68:                             ;   in Loop: Header=BB594_70 Depth=1
	s_wait_alu 0xfffe
	s_or_b32 exec_lo, exec_lo, s4
	v_add_co_u32 v5, vcc_lo, v5, v3
	v_subrev_nc_u32_e32 v21, 32, v21
	s_wait_alu 0xfffd
	v_add_co_ci_u32_e64 v6, null, v6, v4, vcc_lo
	s_mov_b32 s4, 0
.LBB594_69:                             ;   in Loop: Header=BB594_70 Depth=1
	s_wait_alu 0xfffe
	s_and_b32 vcc_lo, exec_lo, s4
	s_wait_alu 0xfffe
	s_cbranch_vccnz .LBB594_86
.LBB594_70:                             ; =>This Loop Header: Depth=1
                                        ;     Child Loop BB594_73 Depth 2
	v_and_b32_e32 v3, 0xff, v7
	s_mov_b32 s4, -1
	s_delay_alu instid0(VALU_DEP_1)
	v_cmp_ne_u16_e32 vcc_lo, 2, v3
	s_wait_dscnt 0x0
	v_dual_mov_b32 v3, v5 :: v_dual_mov_b32 v4, v6
                                        ; implicit-def: $vgpr5_vgpr6
	s_cmp_lg_u32 vcc_lo, exec_lo
	s_cbranch_scc1 .LBB594_69
; %bb.71:                               ;   in Loop: Header=BB594_70 Depth=1
	v_lshlrev_b64_e32 v[5:6], 4, v[21:22]
	s_mov_b32 s4, exec_lo
	s_delay_alu instid0(VALU_DEP_1) | instskip(SKIP_1) | instid1(VALU_DEP_2)
	v_add_co_u32 v23, vcc_lo, s14, v5
	s_wait_alu 0xfffd
	v_add_co_ci_u32_e64 v24, null, s15, v6, vcc_lo
	;;#ASMSTART
	global_load_b128 v[5:8], v[23:24] off scope:SCOPE_DEV	
s_wait_loadcnt 0x0
	;;#ASMEND
	v_and_b32_e32 v8, 0xff, v7
	s_delay_alu instid0(VALU_DEP_1)
	v_cmpx_eq_u16_e32 0, v8
	s_cbranch_execz .LBB594_75
; %bb.72:                               ;   in Loop: Header=BB594_70 Depth=1
	s_mov_b32 s7, 0
.LBB594_73:                             ;   Parent Loop BB594_70 Depth=1
                                        ; =>  This Inner Loop Header: Depth=2
	;;#ASMSTART
	global_load_b128 v[5:8], v[23:24] off scope:SCOPE_DEV	
s_wait_loadcnt 0x0
	;;#ASMEND
	v_and_b32_e32 v8, 0xff, v7
	s_delay_alu instid0(VALU_DEP_1)
	v_cmp_ne_u16_e32 vcc_lo, 0, v8
	s_wait_alu 0xfffe
	s_or_b32 s7, vcc_lo, s7
	s_wait_alu 0xfffe
	s_and_not1_b32 exec_lo, exec_lo, s7
	s_cbranch_execnz .LBB594_73
; %bb.74:                               ;   in Loop: Header=BB594_70 Depth=1
	s_or_b32 exec_lo, exec_lo, s7
.LBB594_75:                             ;   in Loop: Header=BB594_70 Depth=1
	s_wait_alu 0xfffe
	s_or_b32 exec_lo, exec_lo, s4
	v_dual_mov_b32 v23, v5 :: v_dual_and_b32 v8, 0xff, v7
	ds_bpermute_b32 v51, v27, v5
	ds_bpermute_b32 v24, v27, v6
	s_mov_b32 s4, exec_lo
	v_cmp_eq_u16_e32 vcc_lo, 2, v8
	s_wait_alu 0xfffd
	v_and_or_b32 v8, vcc_lo, v28, 0x80000000
	s_delay_alu instid0(VALU_DEP_1) | instskip(NEXT) | instid1(VALU_DEP_1)
	v_ctz_i32_b32_e32 v8, v8
	v_cmpx_lt_u32_e64 v43, v8
	s_cbranch_execz .LBB594_77
; %bb.76:                               ;   in Loop: Header=BB594_70 Depth=1
	s_wait_dscnt 0x1
	v_add_co_u32 v23, vcc_lo, v5, v51
	s_wait_alu 0xfffd
	v_add_co_ci_u32_e64 v6, null, 0, v6, vcc_lo
	s_delay_alu instid0(VALU_DEP_2) | instskip(SKIP_2) | instid1(VALU_DEP_2)
	v_add_co_u32 v5, vcc_lo, 0, v23
	s_wait_dscnt 0x0
	s_wait_alu 0xfffd
	v_add_co_ci_u32_e64 v6, null, v24, v6, vcc_lo
.LBB594_77:                             ;   in Loop: Header=BB594_70 Depth=1
	s_wait_alu 0xfffe
	s_or_b32 exec_lo, exec_lo, s4
	s_wait_dscnt 0x1
	ds_bpermute_b32 v51, v29, v23
	s_wait_dscnt 0x1
	ds_bpermute_b32 v24, v29, v6
	s_mov_b32 s4, exec_lo
	v_cmpx_le_u32_e64 v30, v8
	s_cbranch_execz .LBB594_79
; %bb.78:                               ;   in Loop: Header=BB594_70 Depth=1
	s_wait_dscnt 0x1
	v_add_co_u32 v23, vcc_lo, v5, v51
	s_wait_alu 0xfffd
	v_add_co_ci_u32_e64 v6, null, 0, v6, vcc_lo
	s_delay_alu instid0(VALU_DEP_2) | instskip(SKIP_2) | instid1(VALU_DEP_2)
	v_add_co_u32 v5, vcc_lo, 0, v23
	s_wait_dscnt 0x0
	s_wait_alu 0xfffd
	v_add_co_ci_u32_e64 v6, null, v24, v6, vcc_lo
.LBB594_79:                             ;   in Loop: Header=BB594_70 Depth=1
	s_wait_alu 0xfffe
	s_or_b32 exec_lo, exec_lo, s4
	s_wait_dscnt 0x1
	ds_bpermute_b32 v51, v45, v23
	s_wait_dscnt 0x1
	ds_bpermute_b32 v24, v45, v6
	s_mov_b32 s4, exec_lo
	v_cmpx_le_u32_e64 v46, v8
	;; [unrolled: 20-line block ×3, first 2 shown]
	s_cbranch_execz .LBB594_83
; %bb.82:                               ;   in Loop: Header=BB594_70 Depth=1
	s_wait_dscnt 0x1
	v_add_co_u32 v23, vcc_lo, v5, v51
	s_wait_alu 0xfffd
	v_add_co_ci_u32_e64 v6, null, 0, v6, vcc_lo
	s_delay_alu instid0(VALU_DEP_2) | instskip(SKIP_2) | instid1(VALU_DEP_2)
	v_add_co_u32 v5, vcc_lo, 0, v23
	s_wait_dscnt 0x0
	s_wait_alu 0xfffd
	v_add_co_ci_u32_e64 v6, null, v24, v6, vcc_lo
.LBB594_83:                             ;   in Loop: Header=BB594_70 Depth=1
	s_wait_alu 0xfffe
	s_or_b32 exec_lo, exec_lo, s4
	s_wait_dscnt 0x0
	ds_bpermute_b32 v24, v49, v23
	ds_bpermute_b32 v23, v49, v6
	s_mov_b32 s4, exec_lo
	v_cmpx_le_u32_e64 v50, v8
	s_cbranch_execz .LBB594_68
; %bb.84:                               ;   in Loop: Header=BB594_70 Depth=1
	s_wait_dscnt 0x1
	v_add_co_u32 v5, vcc_lo, v5, v24
	s_wait_alu 0xfffd
	v_add_co_ci_u32_e64 v6, null, 0, v6, vcc_lo
	s_delay_alu instid0(VALU_DEP_2) | instskip(SKIP_2) | instid1(VALU_DEP_2)
	v_add_co_u32 v5, vcc_lo, v5, 0
	s_wait_dscnt 0x0
	s_wait_alu 0xfffd
	v_add_co_ci_u32_e64 v6, null, v6, v23, vcc_lo
	s_branch .LBB594_68
.LBB594_85:
                                        ; implicit-def: $vgpr19_vgpr20
                                        ; implicit-def: $vgpr6_vgpr7
                                        ; implicit-def: $vgpr21_vgpr22
                                        ; implicit-def: $vgpr23_vgpr24
                                        ; implicit-def: $vgpr25_vgpr26
                                        ; implicit-def: $vgpr27_vgpr28
                                        ; implicit-def: $vgpr29_vgpr30
                                        ; implicit-def: $vgpr4_vgpr5
	s_wait_alu 0xfffe
	s_and_b32 vcc_lo, exec_lo, s1
	s_wait_alu 0xfffe
	s_cbranch_vccnz .LBB594_91
	s_branch .LBB594_118
.LBB594_86:
	s_and_saveexec_b32 s4, s1
	s_cbranch_execz .LBB594_88
; %bb.87:
	s_add_co_i32 s10, s10, 32
	s_mov_b32 s11, 0
	v_add_co_u32 v5, vcc_lo, v3, v1
	s_wait_alu 0xfffe
	s_lshl_b64 s[10:11], s[10:11], 4
	v_dual_mov_b32 v7, 2 :: v_dual_mov_b32 v8, 0
	s_wait_alu 0xfffe
	s_add_nc_u64 s[10:11], s[14:15], s[10:11]
	s_wait_alu 0xfffd
	v_add_co_ci_u32_e64 v6, null, v4, v2, vcc_lo
	s_wait_alu 0xfffe
	v_dual_mov_b32 v22, s11 :: v_dual_mov_b32 v21, s10
	;;#ASMSTART
	global_store_b128 v[21:22], v[5:8] off scope:SCOPE_DEV	
s_wait_storecnt 0x0
	;;#ASMEND
	ds_store_b128 v8, v[1:4] offset:10752
.LBB594_88:
	s_wait_alu 0xfffe
	s_or_b32 exec_lo, exec_lo, s4
	s_delay_alu instid0(SALU_CYCLE_1)
	s_and_b32 exec_lo, exec_lo, s2
; %bb.89:
	v_mov_b32_e32 v1, 0
	ds_store_b64 v1, v[3:4] offset:88
.LBB594_90:
	s_wait_alu 0xfffe
	s_or_b32 exec_lo, exec_lo, s3
	v_mov_b32_e32 v3, 0
	s_wait_loadcnt_dscnt 0x0
	s_barrier_signal -1
	s_barrier_wait -1
	global_inv scope:SCOPE_SE
	ds_load_b64 v[1:2], v3 offset:88
	v_cndmask_b32_e64 v4, v25, v19, s1
	v_cndmask_b32_e64 v5, v26, v20, s1
	s_wait_loadcnt_dscnt 0x0
	s_barrier_signal -1
	s_barrier_wait -1
	v_cndmask_b32_e64 v4, v4, 0, s2
	v_cndmask_b32_e64 v5, v5, 0, s2
	global_inv scope:SCOPE_SE
	v_add_co_u32 v29, vcc_lo, v1, v4
	s_wait_alu 0xfffd
	v_add_co_ci_u32_e64 v30, null, v2, v5, vcc_lo
	ds_load_b128 v[2:5], v3 offset:10752
	v_add_co_u32 v27, vcc_lo, v29, v42
	s_wait_alu 0xfffd
	v_add_co_ci_u32_e64 v28, null, 0, v30, vcc_lo
	s_delay_alu instid0(VALU_DEP_2) | instskip(SKIP_1) | instid1(VALU_DEP_2)
	v_add_co_u32 v25, vcc_lo, v27, v40
	s_wait_alu 0xfffd
	v_add_co_ci_u32_e64 v26, null, 0, v28, vcc_lo
	s_delay_alu instid0(VALU_DEP_2) | instskip(SKIP_1) | instid1(VALU_DEP_2)
	;; [unrolled: 4-line block ×5, first 2 shown]
	v_add_co_u32 v19, vcc_lo, v6, v38
	s_wait_alu 0xfffd
	v_add_co_ci_u32_e64 v20, null, 0, v7, vcc_lo
	s_branch .LBB594_118
.LBB594_91:
	s_wait_dscnt 0x0
	v_dual_mov_b32 v2, 0 :: v_dual_mov_b32 v3, v17
	v_mov_b32_dpp v4, v17 row_shr:1 row_mask:0xf bank_mask:0xf
	s_delay_alu instid0(VALU_DEP_2)
	v_mov_b32_dpp v1, v2 row_shr:1 row_mask:0xf bank_mask:0xf
	s_and_saveexec_b32 s1, s0
; %bb.92:
	s_delay_alu instid0(VALU_DEP_2) | instskip(SKIP_2) | instid1(VALU_DEP_2)
	v_add_co_u32 v3, vcc_lo, v17, v4
	s_wait_alu 0xfffd
	v_add_co_ci_u32_e64 v2, null, 0, v18, vcc_lo
	v_add_co_u32 v17, vcc_lo, 0, v3
	s_wait_alu 0xfffd
	s_delay_alu instid0(VALU_DEP_2) | instskip(NEXT) | instid1(VALU_DEP_1)
	v_add_co_ci_u32_e64 v18, null, v1, v2, vcc_lo
	v_mov_b32_e32 v2, v18
; %bb.93:
	s_wait_alu 0xfffe
	s_or_b32 exec_lo, exec_lo, s1
	v_mov_b32_dpp v1, v3 row_shr:2 row_mask:0xf bank_mask:0xf
	s_delay_alu instid0(VALU_DEP_2)
	v_mov_b32_dpp v4, v2 row_shr:2 row_mask:0xf bank_mask:0xf
	v_cmp_lt_u32_e32 vcc_lo, 1, v44
	s_and_saveexec_b32 s3, vcc_lo
; %bb.94:
	s_delay_alu instid0(VALU_DEP_3) | instskip(SKIP_2) | instid1(VALU_DEP_2)
	v_add_co_u32 v3, s1, v17, v1
	s_wait_alu 0xf1ff
	v_add_co_ci_u32_e64 v2, null, 0, v18, s1
	v_add_co_u32 v1, s1, 0, v3
	s_wait_alu 0xf1ff
	s_delay_alu instid0(VALU_DEP_2) | instskip(NEXT) | instid1(VALU_DEP_1)
	v_add_co_ci_u32_e64 v2, null, v4, v2, s1
	v_dual_mov_b32 v18, v2 :: v_dual_mov_b32 v17, v1
; %bb.95:
	s_or_b32 exec_lo, exec_lo, s3
	v_mov_b32_dpp v1, v3 row_shr:4 row_mask:0xf bank_mask:0xf
	v_mov_b32_dpp v4, v2 row_shr:4 row_mask:0xf bank_mask:0xf
	v_cmp_lt_u32_e64 s1, 3, v44
	s_and_saveexec_b32 s4, s1
; %bb.96:
	v_add_co_u32 v3, s3, v17, v1
	s_delay_alu instid0(VALU_DEP_1) | instskip(NEXT) | instid1(VALU_DEP_2)
	v_add_co_ci_u32_e64 v2, null, 0, v18, s3
	v_add_co_u32 v1, s3, 0, v3
	s_wait_alu 0xf1ff
	s_delay_alu instid0(VALU_DEP_2) | instskip(NEXT) | instid1(VALU_DEP_1)
	v_add_co_ci_u32_e64 v2, null, v4, v2, s3
	v_dual_mov_b32 v18, v2 :: v_dual_mov_b32 v17, v1
; %bb.97:
	s_wait_alu 0xfffe
	s_or_b32 exec_lo, exec_lo, s4
	v_mov_b32_dpp v4, v3 row_shr:8 row_mask:0xf bank_mask:0xf
	v_mov_b32_dpp v1, v2 row_shr:8 row_mask:0xf bank_mask:0xf
	v_cmp_lt_u32_e64 s3, 7, v44
	s_and_saveexec_b32 s7, s3
; %bb.98:
	v_add_co_u32 v3, s4, v17, v4
	s_wait_alu 0xf1ff
	v_add_co_ci_u32_e64 v2, null, 0, v18, s4
	s_delay_alu instid0(VALU_DEP_2) | instskip(SKIP_1) | instid1(VALU_DEP_2)
	v_add_co_u32 v17, s4, 0, v3
	s_wait_alu 0xf1ff
	v_add_co_ci_u32_e64 v18, null, v1, v2, s4
	s_delay_alu instid0(VALU_DEP_1)
	v_mov_b32_e32 v2, v18
; %bb.99:
	s_wait_alu 0xfffe
	s_or_b32 exec_lo, exec_lo, s7
	ds_swizzle_b32 v3, v3 offset:swizzle(BROADCAST,32,15)
	ds_swizzle_b32 v1, v2 offset:swizzle(BROADCAST,32,15)
	v_and_b32_e32 v2, 16, v43
	s_mov_b32 s7, exec_lo
	s_delay_alu instid0(VALU_DEP_1)
	v_cmpx_ne_u32_e32 0, v2
	s_cbranch_execz .LBB594_101
; %bb.100:
	s_wait_dscnt 0x1
	v_add_co_u32 v2, s4, v17, v3
	s_wait_alu 0xf1ff
	v_add_co_ci_u32_e64 v3, null, 0, v18, s4
	s_delay_alu instid0(VALU_DEP_2) | instskip(SKIP_2) | instid1(VALU_DEP_2)
	v_add_co_u32 v17, s4, v2, 0
	s_wait_dscnt 0x0
	s_wait_alu 0xf1ff
	v_add_co_ci_u32_e64 v18, null, v3, v1, s4
.LBB594_101:
	s_wait_alu 0xfffe
	s_or_b32 exec_lo, exec_lo, s7
	s_wait_dscnt 0x0
	v_and_b32_e32 v1, 0x1e0, v0
	v_lshrrev_b32_e32 v3, 5, v0
	s_mov_b32 s7, exec_lo
	s_delay_alu instid0(VALU_DEP_2) | instskip(NEXT) | instid1(VALU_DEP_1)
	v_min_u32_e32 v1, 0x160, v1
	v_or_b32_e32 v1, 31, v1
	s_delay_alu instid0(VALU_DEP_1)
	v_cmpx_eq_u32_e64 v0, v1
; %bb.102:
	v_lshlrev_b32_e32 v1, 3, v3
	ds_store_b64 v1, v[17:18]
; %bb.103:
	s_wait_alu 0xfffe
	s_or_b32 exec_lo, exec_lo, s7
	s_delay_alu instid0(SALU_CYCLE_1)
	s_mov_b32 s7, exec_lo
	s_wait_loadcnt_dscnt 0x0
	s_barrier_signal -1
	s_barrier_wait -1
	global_inv scope:SCOPE_SE
	v_cmpx_gt_u32_e32 12, v0
	s_cbranch_execz .LBB594_113
; %bb.104:
	v_mad_i32_i24 v1, 0xffffffec, v0, v32
	ds_load_b64 v[1:2], v1
	s_wait_dscnt 0x0
	v_mov_b32_dpp v6, v1 row_shr:1 row_mask:0xf bank_mask:0xf
	v_mov_b32_dpp v5, v2 row_shr:1 row_mask:0xf bank_mask:0xf
	v_mov_b32_e32 v4, v1
	s_and_saveexec_b32 s4, s0
; %bb.105:
	s_delay_alu instid0(VALU_DEP_3) | instskip(SKIP_2) | instid1(VALU_DEP_2)
	v_add_co_u32 v4, s0, v1, v6
	s_wait_alu 0xf1ff
	v_add_co_ci_u32_e64 v2, null, 0, v2, s0
	v_add_co_u32 v1, s0, 0, v4
	s_wait_alu 0xf1ff
	s_delay_alu instid0(VALU_DEP_2)
	v_add_co_ci_u32_e64 v2, null, v5, v2, s0
; %bb.106:
	s_wait_alu 0xfffe
	s_or_b32 exec_lo, exec_lo, s4
	v_mov_b32_dpp v6, v4 row_shr:2 row_mask:0xf bank_mask:0xf
	s_delay_alu instid0(VALU_DEP_2)
	v_mov_b32_dpp v5, v2 row_shr:2 row_mask:0xf bank_mask:0xf
	s_and_saveexec_b32 s0, vcc_lo
; %bb.107:
	s_delay_alu instid0(VALU_DEP_2) | instskip(SKIP_2) | instid1(VALU_DEP_2)
	v_add_co_u32 v4, vcc_lo, v1, v6
	s_wait_alu 0xfffd
	v_add_co_ci_u32_e64 v2, null, 0, v2, vcc_lo
	v_add_co_u32 v1, vcc_lo, 0, v4
	s_wait_alu 0xfffd
	s_delay_alu instid0(VALU_DEP_2)
	v_add_co_ci_u32_e64 v2, null, v5, v2, vcc_lo
; %bb.108:
	s_wait_alu 0xfffe
	s_or_b32 exec_lo, exec_lo, s0
	v_mov_b32_dpp v6, v4 row_shr:4 row_mask:0xf bank_mask:0xf
	s_delay_alu instid0(VALU_DEP_2)
	v_mov_b32_dpp v5, v2 row_shr:4 row_mask:0xf bank_mask:0xf
	s_and_saveexec_b32 s0, s1
; %bb.109:
	s_delay_alu instid0(VALU_DEP_2) | instskip(SKIP_2) | instid1(VALU_DEP_2)
	v_add_co_u32 v4, vcc_lo, v1, v6
	s_wait_alu 0xfffd
	v_add_co_ci_u32_e64 v2, null, 0, v2, vcc_lo
	v_add_co_u32 v1, vcc_lo, 0, v4
	s_wait_alu 0xfffd
	s_delay_alu instid0(VALU_DEP_2)
	v_add_co_ci_u32_e64 v2, null, v5, v2, vcc_lo
; %bb.110:
	s_wait_alu 0xfffe
	s_or_b32 exec_lo, exec_lo, s0
	v_mul_i32_i24_e32 v5, 0xffffffec, v0
	v_mov_b32_dpp v6, v4 row_shr:8 row_mask:0xf bank_mask:0xf
	v_mov_b32_dpp v4, v2 row_shr:8 row_mask:0xf bank_mask:0xf
	s_and_saveexec_b32 s0, s3
; %bb.111:
	s_delay_alu instid0(VALU_DEP_2) | instskip(SKIP_2) | instid1(VALU_DEP_2)
	v_add_co_u32 v1, vcc_lo, v1, v6
	s_wait_alu 0xfffd
	v_add_co_ci_u32_e64 v2, null, 0, v2, vcc_lo
	v_add_co_u32 v1, vcc_lo, v1, 0
	s_wait_alu 0xfffd
	s_delay_alu instid0(VALU_DEP_2)
	v_add_co_ci_u32_e64 v2, null, v2, v4, vcc_lo
; %bb.112:
	s_wait_alu 0xfffe
	s_or_b32 exec_lo, exec_lo, s0
	v_add_nc_u32_e32 v4, v32, v5
	ds_store_b64 v4, v[1:2]
.LBB594_113:
	s_wait_alu 0xfffe
	s_or_b32 exec_lo, exec_lo, s7
	v_mov_b32_e32 v6, 0
	v_mov_b32_e32 v7, 0
	s_mov_b32 s0, exec_lo
	s_wait_loadcnt_dscnt 0x0
	s_barrier_signal -1
	s_barrier_wait -1
	global_inv scope:SCOPE_SE
	v_cmpx_lt_u32_e32 31, v0
; %bb.114:
	v_lshl_add_u32 v1, v3, 3, -8
	ds_load_b64 v[6:7], v1
; %bb.115:
	s_wait_alu 0xfffe
	s_or_b32 exec_lo, exec_lo, s0
	v_sub_co_u32 v1, vcc_lo, v43, 1
	v_mov_b32_e32 v5, 0
	s_delay_alu instid0(VALU_DEP_2) | instskip(SKIP_1) | instid1(VALU_DEP_1)
	v_cmp_gt_i32_e64 s0, 0, v1
	s_wait_alu 0xf1ff
	v_cndmask_b32_e64 v1, v1, v43, s0
	s_delay_alu instid0(VALU_DEP_1)
	v_lshlrev_b32_e32 v2, 2, v1
	s_wait_dscnt 0x0
	v_add_co_u32 v1, s0, v6, v17
	s_wait_alu 0xf1ff
	v_add_co_ci_u32_e64 v3, null, v7, v18, s0
	ds_bpermute_b32 v1, v2, v1
	ds_bpermute_b32 v8, v2, v3
	ds_load_b64 v[2:3], v5 offset:88
	s_and_saveexec_b32 s0, s2
	s_cbranch_execz .LBB594_117
; %bb.116:
	s_add_nc_u64 s[10:11], s[14:15], 0x200
	v_mov_b32_e32 v4, 2
	v_dual_mov_b32 v18, s11 :: v_dual_mov_b32 v17, s10
	s_wait_dscnt 0x0
	;;#ASMSTART
	global_store_b128 v[17:18], v[2:5] off scope:SCOPE_DEV	
s_wait_storecnt 0x0
	;;#ASMEND
.LBB594_117:
	s_wait_alu 0xfffe
	s_or_b32 exec_lo, exec_lo, s0
	s_wait_dscnt 0x1
	s_wait_alu 0xfffd
	v_dual_cndmask_b32 v1, v1, v6 :: v_dual_cndmask_b32 v4, v8, v7
	s_wait_loadcnt_dscnt 0x0
	s_barrier_signal -1
	s_barrier_wait -1
	s_delay_alu instid0(VALU_DEP_1)
	v_cndmask_b32_e64 v29, v1, 0, s2
	v_cndmask_b32_e64 v30, v4, 0, s2
	v_mov_b32_e32 v4, 0
	v_mov_b32_e32 v5, 0
	global_inv scope:SCOPE_SE
	v_add_co_u32 v27, vcc_lo, v29, v42
	s_wait_alu 0xfffd
	v_add_co_ci_u32_e64 v28, null, 0, v30, vcc_lo
	s_delay_alu instid0(VALU_DEP_2) | instskip(SKIP_1) | instid1(VALU_DEP_2)
	v_add_co_u32 v25, vcc_lo, v27, v40
	s_wait_alu 0xfffd
	v_add_co_ci_u32_e64 v26, null, 0, v28, vcc_lo
	s_delay_alu instid0(VALU_DEP_2) | instskip(SKIP_1) | instid1(VALU_DEP_2)
	;; [unrolled: 4-line block ×5, first 2 shown]
	v_add_co_u32 v19, vcc_lo, v6, v38
	s_wait_alu 0xfffd
	v_add_co_ci_u32_e64 v20, null, 0, v7, vcc_lo
.LBB594_118:
	v_and_b32_e32 v38, 1, v31
	s_wait_dscnt 0x0
	v_cmp_gt_u64_e32 vcc_lo, 0x181, v[2:3]
	v_lshlrev_b64_e32 v[17:18], 2, v[9:10]
	v_lshrrev_b32_e32 v8, 8, v31
	v_lshrrev_b32_e32 v1, 16, v31
	v_cmp_eq_u32_e64 s0, 1, v38
	s_mov_b32 s1, -1
	s_cbranch_vccnz .LBB594_122
; %bb.119:
	s_wait_alu 0xfffe
	s_and_b32 vcc_lo, exec_lo, s1
	s_wait_alu 0xfffe
	s_cbranch_vccnz .LBB594_137
.LBB594_120:
	s_and_b32 s0, s2, s6
	s_wait_alu 0xfffe
	s_and_saveexec_b32 s1, s0
	s_cbranch_execnz .LBB594_154
.LBB594_121:
	s_endpgm
.LBB594_122:
	v_add_co_u32 v31, vcc_lo, v4, v2
	s_wait_alu 0xfffd
	v_add_co_ci_u32_e64 v32, null, v5, v3, vcc_lo
	v_add_co_u32 v39, s1, s12, v17
	s_wait_alu 0xf1fe
	v_add_co_ci_u32_e64 v40, null, s13, v18, s1
	s_delay_alu instid0(VALU_DEP_3)
	v_cmp_lt_u64_e32 vcc_lo, v[29:30], v[31:32]
	s_or_b32 s1, s5, vcc_lo
	s_wait_alu 0xfffe
	s_and_b32 s1, s1, s0
	s_wait_alu 0xfffe
	s_and_saveexec_b32 s0, s1
	s_cbranch_execz .LBB594_124
; %bb.123:
	v_lshlrev_b64_e32 v[41:42], 2, v[29:30]
	s_delay_alu instid0(VALU_DEP_1) | instskip(SKIP_1) | instid1(VALU_DEP_2)
	v_add_co_u32 v41, vcc_lo, v39, v41
	s_wait_alu 0xfffd
	v_add_co_ci_u32_e64 v42, null, v40, v42, vcc_lo
	global_store_b32 v[41:42], v15, off
.LBB594_124:
	s_wait_alu 0xfffe
	s_or_b32 exec_lo, exec_lo, s0
	v_and_b32_e32 v30, 1, v8
	v_cmp_lt_u64_e32 vcc_lo, v[27:28], v[31:32]
	s_delay_alu instid0(VALU_DEP_2)
	v_cmp_eq_u32_e64 s0, 1, v30
	s_or_b32 s1, s5, vcc_lo
	s_wait_alu 0xfffe
	s_and_b32 s1, s1, s0
	s_wait_alu 0xfffe
	s_and_saveexec_b32 s0, s1
	s_cbranch_execz .LBB594_126
; %bb.125:
	v_lshlrev_b64_e32 v[41:42], 2, v[27:28]
	s_delay_alu instid0(VALU_DEP_1) | instskip(SKIP_1) | instid1(VALU_DEP_2)
	v_add_co_u32 v41, vcc_lo, v39, v41
	s_wait_alu 0xfffd
	v_add_co_ci_u32_e64 v42, null, v40, v42, vcc_lo
	global_store_b32 v[41:42], v16, off
.LBB594_126:
	s_wait_alu 0xfffe
	s_or_b32 exec_lo, exec_lo, s0
	v_and_b32_e32 v28, 1, v1
	v_cmp_lt_u64_e32 vcc_lo, v[25:26], v[31:32]
	s_delay_alu instid0(VALU_DEP_2)
	v_cmp_eq_u32_e64 s0, 1, v28
	s_or_b32 s1, s5, vcc_lo
	s_wait_alu 0xfffe
	s_and_b32 s1, s1, s0
	s_wait_alu 0xfffe
	s_and_saveexec_b32 s0, s1
	s_cbranch_execz .LBB594_128
; %bb.127:
	v_lshlrev_b64_e32 v[41:42], 2, v[25:26]
	s_delay_alu instid0(VALU_DEP_1) | instskip(SKIP_1) | instid1(VALU_DEP_2)
	v_add_co_u32 v41, vcc_lo, v39, v41
	s_wait_alu 0xfffd
	v_add_co_ci_u32_e64 v42, null, v40, v42, vcc_lo
	global_store_b32 v[41:42], v13, off
.LBB594_128:
	s_wait_alu 0xfffe
	s_or_b32 exec_lo, exec_lo, s0
	v_and_b32_e32 v26, 1, v37
	v_cmp_lt_u64_e32 vcc_lo, v[23:24], v[31:32]
	s_delay_alu instid0(VALU_DEP_2)
	v_cmp_eq_u32_e64 s0, 1, v26
	s_or_b32 s1, s5, vcc_lo
	s_wait_alu 0xfffe
	s_and_b32 s1, s1, s0
	s_wait_alu 0xfffe
	s_and_saveexec_b32 s0, s1
	s_cbranch_execz .LBB594_130
; %bb.129:
	v_lshlrev_b64_e32 v[41:42], 2, v[23:24]
	s_delay_alu instid0(VALU_DEP_1) | instskip(SKIP_1) | instid1(VALU_DEP_2)
	v_add_co_u32 v41, vcc_lo, v39, v41
	s_wait_alu 0xfffd
	v_add_co_ci_u32_e64 v42, null, v40, v42, vcc_lo
	global_store_b32 v[41:42], v14, off
.LBB594_130:
	s_wait_alu 0xfffe
	s_or_b32 exec_lo, exec_lo, s0
	v_and_b32_e32 v24, 1, v36
	v_cmp_lt_u64_e32 vcc_lo, v[21:22], v[31:32]
	s_delay_alu instid0(VALU_DEP_2)
	v_cmp_eq_u32_e64 s0, 1, v24
	s_or_b32 s1, s5, vcc_lo
	s_wait_alu 0xfffe
	s_and_b32 s1, s1, s0
	s_wait_alu 0xfffe
	s_and_saveexec_b32 s0, s1
	s_cbranch_execz .LBB594_132
; %bb.131:
	v_lshlrev_b64_e32 v[41:42], 2, v[21:22]
	s_delay_alu instid0(VALU_DEP_1) | instskip(SKIP_1) | instid1(VALU_DEP_2)
	v_add_co_u32 v41, vcc_lo, v39, v41
	s_wait_alu 0xfffd
	v_add_co_ci_u32_e64 v42, null, v40, v42, vcc_lo
	global_store_b32 v[41:42], v33, off
.LBB594_132:
	s_wait_alu 0xfffe
	s_or_b32 exec_lo, exec_lo, s0
	v_and_b32_e32 v22, 1, v35
	v_cmp_lt_u64_e32 vcc_lo, v[6:7], v[31:32]
	s_delay_alu instid0(VALU_DEP_2)
	v_cmp_eq_u32_e64 s0, 1, v22
	s_or_b32 s1, s5, vcc_lo
	s_wait_alu 0xfffe
	s_and_b32 s1, s1, s0
	s_wait_alu 0xfffe
	s_and_saveexec_b32 s0, s1
	s_cbranch_execz .LBB594_134
; %bb.133:
	v_lshlrev_b64_e32 v[41:42], 2, v[6:7]
	s_delay_alu instid0(VALU_DEP_1) | instskip(SKIP_1) | instid1(VALU_DEP_2)
	v_add_co_u32 v41, vcc_lo, v39, v41
	s_wait_alu 0xfffd
	v_add_co_ci_u32_e64 v42, null, v40, v42, vcc_lo
	global_store_b32 v[41:42], v11, off
.LBB594_134:
	s_wait_alu 0xfffe
	s_or_b32 exec_lo, exec_lo, s0
	v_and_b32_e32 v7, 1, v34
	v_cmp_lt_u64_e32 vcc_lo, v[19:20], v[31:32]
	s_delay_alu instid0(VALU_DEP_2)
	v_cmp_eq_u32_e64 s0, 1, v7
	s_or_b32 s1, s5, vcc_lo
	s_wait_alu 0xfffe
	s_and_b32 s1, s1, s0
	s_wait_alu 0xfffe
	s_and_saveexec_b32 s0, s1
	s_cbranch_execz .LBB594_136
; %bb.135:
	v_lshlrev_b64_e32 v[30:31], 2, v[19:20]
	s_delay_alu instid0(VALU_DEP_1) | instskip(SKIP_1) | instid1(VALU_DEP_2)
	v_add_co_u32 v30, vcc_lo, v39, v30
	s_wait_alu 0xfffd
	v_add_co_ci_u32_e64 v31, null, v40, v31, vcc_lo
	global_store_b32 v[30:31], v12, off
.LBB594_136:
	s_wait_alu 0xfffe
	s_or_b32 exec_lo, exec_lo, s0
	s_branch .LBB594_120
.LBB594_137:
	s_mov_b32 s0, exec_lo
	v_cmpx_eq_u32_e32 1, v38
; %bb.138:
	v_sub_nc_u32_e32 v7, v29, v4
	s_delay_alu instid0(VALU_DEP_1)
	v_lshlrev_b32_e32 v7, 2, v7
	ds_store_b32 v7, v15
; %bb.139:
	s_wait_alu 0xfffe
	s_or_b32 exec_lo, exec_lo, s0
	v_and_b32_e32 v7, 1, v8
	s_mov_b32 s0, exec_lo
	s_delay_alu instid0(VALU_DEP_1)
	v_cmpx_eq_u32_e32 1, v7
; %bb.140:
	v_sub_nc_u32_e32 v7, v27, v4
	s_delay_alu instid0(VALU_DEP_1)
	v_lshlrev_b32_e32 v7, 2, v7
	ds_store_b32 v7, v16
; %bb.141:
	s_wait_alu 0xfffe
	s_or_b32 exec_lo, exec_lo, s0
	v_and_b32_e32 v1, 1, v1
	s_mov_b32 s0, exec_lo
	s_delay_alu instid0(VALU_DEP_1)
	;; [unrolled: 12-line block ×6, first 2 shown]
	v_cmpx_eq_u32_e32 1, v1
; %bb.150:
	v_sub_nc_u32_e32 v1, v19, v4
	s_delay_alu instid0(VALU_DEP_1)
	v_lshlrev_b32_e32 v1, 2, v1
	ds_store_b32 v1, v12
; %bb.151:
	s_wait_alu 0xfffe
	s_or_b32 exec_lo, exec_lo, s0
	v_lshlrev_b64_e32 v[6:7], 2, v[4:5]
	v_mov_b32_e32 v1, 0
	s_mov_b32 s1, 0
	s_wait_storecnt 0x0
	s_wait_loadcnt_dscnt 0x0
	s_barrier_signal -1
	s_barrier_wait -1
	v_add_co_u32 v8, vcc_lo, s12, v6
	s_wait_alu 0xfffd
	v_add_co_ci_u32_e64 v11, null, s13, v7, vcc_lo
	v_dual_mov_b32 v7, v1 :: v_dual_mov_b32 v6, v0
	s_delay_alu instid0(VALU_DEP_3) | instskip(SKIP_1) | instid1(VALU_DEP_3)
	v_add_co_u32 v8, vcc_lo, v8, v17
	s_wait_alu 0xfffd
	v_add_co_ci_u32_e64 v11, null, v11, v18, vcc_lo
	v_add_nc_u32_e32 v0, 0x180, v0
	global_inv scope:SCOPE_SE
.LBB594_152:                            ; =>This Inner Loop Header: Depth=1
	v_lshlrev_b32_e32 v12, 2, v6
	v_cmp_le_u64_e32 vcc_lo, v[2:3], v[0:1]
	ds_load_b32 v14, v12
	v_lshlrev_b64_e32 v[12:13], 2, v[6:7]
	v_dual_mov_b32 v7, v1 :: v_dual_mov_b32 v6, v0
	v_add_nc_u32_e32 v0, 0x180, v0
	s_wait_alu 0xfffe
	s_or_b32 s1, vcc_lo, s1
	s_delay_alu instid0(VALU_DEP_3)
	v_add_co_u32 v12, s0, v8, v12
	s_wait_alu 0xf1ff
	v_add_co_ci_u32_e64 v13, null, v11, v13, s0
	s_wait_dscnt 0x0
	global_store_b32 v[12:13], v14, off
	s_wait_alu 0xfffe
	s_and_not1_b32 exec_lo, exec_lo, s1
	s_cbranch_execnz .LBB594_152
; %bb.153:
	s_or_b32 exec_lo, exec_lo, s1
	s_and_b32 s0, s2, s6
	s_wait_alu 0xfffe
	s_and_saveexec_b32 s1, s0
	s_cbranch_execz .LBB594_121
.LBB594_154:
	v_add_co_u32 v0, vcc_lo, v4, v2
	s_wait_alu 0xfffd
	v_add_co_ci_u32_e64 v1, null, v5, v3, vcc_lo
	v_mov_b32_e32 v2, 0
	s_delay_alu instid0(VALU_DEP_3) | instskip(SKIP_1) | instid1(VALU_DEP_3)
	v_add_co_u32 v0, vcc_lo, v0, v9
	s_wait_alu 0xfffd
	v_add_co_ci_u32_e64 v1, null, v1, v10, vcc_lo
	global_store_b64 v2, v[0:1], s[8:9]
	s_endpgm
	.section	.rodata,"a",@progbits
	.p2align	6, 0x0
	.amdhsa_kernel _ZN7rocprim17ROCPRIM_400000_NS6detail17trampoline_kernelINS0_14default_configENS1_25partition_config_selectorILNS1_17partition_subalgoE6EfNS0_10empty_typeEbEEZZNS1_14partition_implILS5_6ELb0ES3_mN6thrust23THRUST_200600_302600_NS6detail15normal_iteratorINSA_10device_ptrIfEEEEPS6_SG_NS0_5tupleIJSF_S6_EEENSH_IJSG_SG_EEES6_PlJNSB_9not_fun_tI7is_evenIfEEEEEE10hipError_tPvRmT3_T4_T5_T6_T7_T9_mT8_P12ihipStream_tbDpT10_ENKUlT_T0_E_clISt17integral_constantIbLb0EES17_IbLb1EEEEDaS13_S14_EUlS13_E_NS1_11comp_targetILNS1_3genE10ELNS1_11target_archE1200ELNS1_3gpuE4ELNS1_3repE0EEENS1_30default_config_static_selectorELNS0_4arch9wavefront6targetE0EEEvT1_
		.amdhsa_group_segment_fixed_size 10768
		.amdhsa_private_segment_fixed_size 0
		.amdhsa_kernarg_size 128
		.amdhsa_user_sgpr_count 2
		.amdhsa_user_sgpr_dispatch_ptr 0
		.amdhsa_user_sgpr_queue_ptr 0
		.amdhsa_user_sgpr_kernarg_segment_ptr 1
		.amdhsa_user_sgpr_dispatch_id 0
		.amdhsa_user_sgpr_private_segment_size 0
		.amdhsa_wavefront_size32 1
		.amdhsa_uses_dynamic_stack 0
		.amdhsa_enable_private_segment 0
		.amdhsa_system_sgpr_workgroup_id_x 1
		.amdhsa_system_sgpr_workgroup_id_y 0
		.amdhsa_system_sgpr_workgroup_id_z 0
		.amdhsa_system_sgpr_workgroup_info 0
		.amdhsa_system_vgpr_workitem_id 0
		.amdhsa_next_free_vgpr 52
		.amdhsa_next_free_sgpr 20
		.amdhsa_reserve_vcc 1
		.amdhsa_float_round_mode_32 0
		.amdhsa_float_round_mode_16_64 0
		.amdhsa_float_denorm_mode_32 3
		.amdhsa_float_denorm_mode_16_64 3
		.amdhsa_fp16_overflow 0
		.amdhsa_workgroup_processor_mode 1
		.amdhsa_memory_ordered 1
		.amdhsa_forward_progress 1
		.amdhsa_inst_pref_size 60
		.amdhsa_round_robin_scheduling 0
		.amdhsa_exception_fp_ieee_invalid_op 0
		.amdhsa_exception_fp_denorm_src 0
		.amdhsa_exception_fp_ieee_div_zero 0
		.amdhsa_exception_fp_ieee_overflow 0
		.amdhsa_exception_fp_ieee_underflow 0
		.amdhsa_exception_fp_ieee_inexact 0
		.amdhsa_exception_int_div_zero 0
	.end_amdhsa_kernel
	.section	.text._ZN7rocprim17ROCPRIM_400000_NS6detail17trampoline_kernelINS0_14default_configENS1_25partition_config_selectorILNS1_17partition_subalgoE6EfNS0_10empty_typeEbEEZZNS1_14partition_implILS5_6ELb0ES3_mN6thrust23THRUST_200600_302600_NS6detail15normal_iteratorINSA_10device_ptrIfEEEEPS6_SG_NS0_5tupleIJSF_S6_EEENSH_IJSG_SG_EEES6_PlJNSB_9not_fun_tI7is_evenIfEEEEEE10hipError_tPvRmT3_T4_T5_T6_T7_T9_mT8_P12ihipStream_tbDpT10_ENKUlT_T0_E_clISt17integral_constantIbLb0EES17_IbLb1EEEEDaS13_S14_EUlS13_E_NS1_11comp_targetILNS1_3genE10ELNS1_11target_archE1200ELNS1_3gpuE4ELNS1_3repE0EEENS1_30default_config_static_selectorELNS0_4arch9wavefront6targetE0EEEvT1_,"axG",@progbits,_ZN7rocprim17ROCPRIM_400000_NS6detail17trampoline_kernelINS0_14default_configENS1_25partition_config_selectorILNS1_17partition_subalgoE6EfNS0_10empty_typeEbEEZZNS1_14partition_implILS5_6ELb0ES3_mN6thrust23THRUST_200600_302600_NS6detail15normal_iteratorINSA_10device_ptrIfEEEEPS6_SG_NS0_5tupleIJSF_S6_EEENSH_IJSG_SG_EEES6_PlJNSB_9not_fun_tI7is_evenIfEEEEEE10hipError_tPvRmT3_T4_T5_T6_T7_T9_mT8_P12ihipStream_tbDpT10_ENKUlT_T0_E_clISt17integral_constantIbLb0EES17_IbLb1EEEEDaS13_S14_EUlS13_E_NS1_11comp_targetILNS1_3genE10ELNS1_11target_archE1200ELNS1_3gpuE4ELNS1_3repE0EEENS1_30default_config_static_selectorELNS0_4arch9wavefront6targetE0EEEvT1_,comdat
.Lfunc_end594:
	.size	_ZN7rocprim17ROCPRIM_400000_NS6detail17trampoline_kernelINS0_14default_configENS1_25partition_config_selectorILNS1_17partition_subalgoE6EfNS0_10empty_typeEbEEZZNS1_14partition_implILS5_6ELb0ES3_mN6thrust23THRUST_200600_302600_NS6detail15normal_iteratorINSA_10device_ptrIfEEEEPS6_SG_NS0_5tupleIJSF_S6_EEENSH_IJSG_SG_EEES6_PlJNSB_9not_fun_tI7is_evenIfEEEEEE10hipError_tPvRmT3_T4_T5_T6_T7_T9_mT8_P12ihipStream_tbDpT10_ENKUlT_T0_E_clISt17integral_constantIbLb0EES17_IbLb1EEEEDaS13_S14_EUlS13_E_NS1_11comp_targetILNS1_3genE10ELNS1_11target_archE1200ELNS1_3gpuE4ELNS1_3repE0EEENS1_30default_config_static_selectorELNS0_4arch9wavefront6targetE0EEEvT1_, .Lfunc_end594-_ZN7rocprim17ROCPRIM_400000_NS6detail17trampoline_kernelINS0_14default_configENS1_25partition_config_selectorILNS1_17partition_subalgoE6EfNS0_10empty_typeEbEEZZNS1_14partition_implILS5_6ELb0ES3_mN6thrust23THRUST_200600_302600_NS6detail15normal_iteratorINSA_10device_ptrIfEEEEPS6_SG_NS0_5tupleIJSF_S6_EEENSH_IJSG_SG_EEES6_PlJNSB_9not_fun_tI7is_evenIfEEEEEE10hipError_tPvRmT3_T4_T5_T6_T7_T9_mT8_P12ihipStream_tbDpT10_ENKUlT_T0_E_clISt17integral_constantIbLb0EES17_IbLb1EEEEDaS13_S14_EUlS13_E_NS1_11comp_targetILNS1_3genE10ELNS1_11target_archE1200ELNS1_3gpuE4ELNS1_3repE0EEENS1_30default_config_static_selectorELNS0_4arch9wavefront6targetE0EEEvT1_
                                        ; -- End function
	.set _ZN7rocprim17ROCPRIM_400000_NS6detail17trampoline_kernelINS0_14default_configENS1_25partition_config_selectorILNS1_17partition_subalgoE6EfNS0_10empty_typeEbEEZZNS1_14partition_implILS5_6ELb0ES3_mN6thrust23THRUST_200600_302600_NS6detail15normal_iteratorINSA_10device_ptrIfEEEEPS6_SG_NS0_5tupleIJSF_S6_EEENSH_IJSG_SG_EEES6_PlJNSB_9not_fun_tI7is_evenIfEEEEEE10hipError_tPvRmT3_T4_T5_T6_T7_T9_mT8_P12ihipStream_tbDpT10_ENKUlT_T0_E_clISt17integral_constantIbLb0EES17_IbLb1EEEEDaS13_S14_EUlS13_E_NS1_11comp_targetILNS1_3genE10ELNS1_11target_archE1200ELNS1_3gpuE4ELNS1_3repE0EEENS1_30default_config_static_selectorELNS0_4arch9wavefront6targetE0EEEvT1_.num_vgpr, 52
	.set _ZN7rocprim17ROCPRIM_400000_NS6detail17trampoline_kernelINS0_14default_configENS1_25partition_config_selectorILNS1_17partition_subalgoE6EfNS0_10empty_typeEbEEZZNS1_14partition_implILS5_6ELb0ES3_mN6thrust23THRUST_200600_302600_NS6detail15normal_iteratorINSA_10device_ptrIfEEEEPS6_SG_NS0_5tupleIJSF_S6_EEENSH_IJSG_SG_EEES6_PlJNSB_9not_fun_tI7is_evenIfEEEEEE10hipError_tPvRmT3_T4_T5_T6_T7_T9_mT8_P12ihipStream_tbDpT10_ENKUlT_T0_E_clISt17integral_constantIbLb0EES17_IbLb1EEEEDaS13_S14_EUlS13_E_NS1_11comp_targetILNS1_3genE10ELNS1_11target_archE1200ELNS1_3gpuE4ELNS1_3repE0EEENS1_30default_config_static_selectorELNS0_4arch9wavefront6targetE0EEEvT1_.num_agpr, 0
	.set _ZN7rocprim17ROCPRIM_400000_NS6detail17trampoline_kernelINS0_14default_configENS1_25partition_config_selectorILNS1_17partition_subalgoE6EfNS0_10empty_typeEbEEZZNS1_14partition_implILS5_6ELb0ES3_mN6thrust23THRUST_200600_302600_NS6detail15normal_iteratorINSA_10device_ptrIfEEEEPS6_SG_NS0_5tupleIJSF_S6_EEENSH_IJSG_SG_EEES6_PlJNSB_9not_fun_tI7is_evenIfEEEEEE10hipError_tPvRmT3_T4_T5_T6_T7_T9_mT8_P12ihipStream_tbDpT10_ENKUlT_T0_E_clISt17integral_constantIbLb0EES17_IbLb1EEEEDaS13_S14_EUlS13_E_NS1_11comp_targetILNS1_3genE10ELNS1_11target_archE1200ELNS1_3gpuE4ELNS1_3repE0EEENS1_30default_config_static_selectorELNS0_4arch9wavefront6targetE0EEEvT1_.numbered_sgpr, 20
	.set _ZN7rocprim17ROCPRIM_400000_NS6detail17trampoline_kernelINS0_14default_configENS1_25partition_config_selectorILNS1_17partition_subalgoE6EfNS0_10empty_typeEbEEZZNS1_14partition_implILS5_6ELb0ES3_mN6thrust23THRUST_200600_302600_NS6detail15normal_iteratorINSA_10device_ptrIfEEEEPS6_SG_NS0_5tupleIJSF_S6_EEENSH_IJSG_SG_EEES6_PlJNSB_9not_fun_tI7is_evenIfEEEEEE10hipError_tPvRmT3_T4_T5_T6_T7_T9_mT8_P12ihipStream_tbDpT10_ENKUlT_T0_E_clISt17integral_constantIbLb0EES17_IbLb1EEEEDaS13_S14_EUlS13_E_NS1_11comp_targetILNS1_3genE10ELNS1_11target_archE1200ELNS1_3gpuE4ELNS1_3repE0EEENS1_30default_config_static_selectorELNS0_4arch9wavefront6targetE0EEEvT1_.num_named_barrier, 0
	.set _ZN7rocprim17ROCPRIM_400000_NS6detail17trampoline_kernelINS0_14default_configENS1_25partition_config_selectorILNS1_17partition_subalgoE6EfNS0_10empty_typeEbEEZZNS1_14partition_implILS5_6ELb0ES3_mN6thrust23THRUST_200600_302600_NS6detail15normal_iteratorINSA_10device_ptrIfEEEEPS6_SG_NS0_5tupleIJSF_S6_EEENSH_IJSG_SG_EEES6_PlJNSB_9not_fun_tI7is_evenIfEEEEEE10hipError_tPvRmT3_T4_T5_T6_T7_T9_mT8_P12ihipStream_tbDpT10_ENKUlT_T0_E_clISt17integral_constantIbLb0EES17_IbLb1EEEEDaS13_S14_EUlS13_E_NS1_11comp_targetILNS1_3genE10ELNS1_11target_archE1200ELNS1_3gpuE4ELNS1_3repE0EEENS1_30default_config_static_selectorELNS0_4arch9wavefront6targetE0EEEvT1_.private_seg_size, 0
	.set _ZN7rocprim17ROCPRIM_400000_NS6detail17trampoline_kernelINS0_14default_configENS1_25partition_config_selectorILNS1_17partition_subalgoE6EfNS0_10empty_typeEbEEZZNS1_14partition_implILS5_6ELb0ES3_mN6thrust23THRUST_200600_302600_NS6detail15normal_iteratorINSA_10device_ptrIfEEEEPS6_SG_NS0_5tupleIJSF_S6_EEENSH_IJSG_SG_EEES6_PlJNSB_9not_fun_tI7is_evenIfEEEEEE10hipError_tPvRmT3_T4_T5_T6_T7_T9_mT8_P12ihipStream_tbDpT10_ENKUlT_T0_E_clISt17integral_constantIbLb0EES17_IbLb1EEEEDaS13_S14_EUlS13_E_NS1_11comp_targetILNS1_3genE10ELNS1_11target_archE1200ELNS1_3gpuE4ELNS1_3repE0EEENS1_30default_config_static_selectorELNS0_4arch9wavefront6targetE0EEEvT1_.uses_vcc, 1
	.set _ZN7rocprim17ROCPRIM_400000_NS6detail17trampoline_kernelINS0_14default_configENS1_25partition_config_selectorILNS1_17partition_subalgoE6EfNS0_10empty_typeEbEEZZNS1_14partition_implILS5_6ELb0ES3_mN6thrust23THRUST_200600_302600_NS6detail15normal_iteratorINSA_10device_ptrIfEEEEPS6_SG_NS0_5tupleIJSF_S6_EEENSH_IJSG_SG_EEES6_PlJNSB_9not_fun_tI7is_evenIfEEEEEE10hipError_tPvRmT3_T4_T5_T6_T7_T9_mT8_P12ihipStream_tbDpT10_ENKUlT_T0_E_clISt17integral_constantIbLb0EES17_IbLb1EEEEDaS13_S14_EUlS13_E_NS1_11comp_targetILNS1_3genE10ELNS1_11target_archE1200ELNS1_3gpuE4ELNS1_3repE0EEENS1_30default_config_static_selectorELNS0_4arch9wavefront6targetE0EEEvT1_.uses_flat_scratch, 1
	.set _ZN7rocprim17ROCPRIM_400000_NS6detail17trampoline_kernelINS0_14default_configENS1_25partition_config_selectorILNS1_17partition_subalgoE6EfNS0_10empty_typeEbEEZZNS1_14partition_implILS5_6ELb0ES3_mN6thrust23THRUST_200600_302600_NS6detail15normal_iteratorINSA_10device_ptrIfEEEEPS6_SG_NS0_5tupleIJSF_S6_EEENSH_IJSG_SG_EEES6_PlJNSB_9not_fun_tI7is_evenIfEEEEEE10hipError_tPvRmT3_T4_T5_T6_T7_T9_mT8_P12ihipStream_tbDpT10_ENKUlT_T0_E_clISt17integral_constantIbLb0EES17_IbLb1EEEEDaS13_S14_EUlS13_E_NS1_11comp_targetILNS1_3genE10ELNS1_11target_archE1200ELNS1_3gpuE4ELNS1_3repE0EEENS1_30default_config_static_selectorELNS0_4arch9wavefront6targetE0EEEvT1_.has_dyn_sized_stack, 0
	.set _ZN7rocprim17ROCPRIM_400000_NS6detail17trampoline_kernelINS0_14default_configENS1_25partition_config_selectorILNS1_17partition_subalgoE6EfNS0_10empty_typeEbEEZZNS1_14partition_implILS5_6ELb0ES3_mN6thrust23THRUST_200600_302600_NS6detail15normal_iteratorINSA_10device_ptrIfEEEEPS6_SG_NS0_5tupleIJSF_S6_EEENSH_IJSG_SG_EEES6_PlJNSB_9not_fun_tI7is_evenIfEEEEEE10hipError_tPvRmT3_T4_T5_T6_T7_T9_mT8_P12ihipStream_tbDpT10_ENKUlT_T0_E_clISt17integral_constantIbLb0EES17_IbLb1EEEEDaS13_S14_EUlS13_E_NS1_11comp_targetILNS1_3genE10ELNS1_11target_archE1200ELNS1_3gpuE4ELNS1_3repE0EEENS1_30default_config_static_selectorELNS0_4arch9wavefront6targetE0EEEvT1_.has_recursion, 0
	.set _ZN7rocprim17ROCPRIM_400000_NS6detail17trampoline_kernelINS0_14default_configENS1_25partition_config_selectorILNS1_17partition_subalgoE6EfNS0_10empty_typeEbEEZZNS1_14partition_implILS5_6ELb0ES3_mN6thrust23THRUST_200600_302600_NS6detail15normal_iteratorINSA_10device_ptrIfEEEEPS6_SG_NS0_5tupleIJSF_S6_EEENSH_IJSG_SG_EEES6_PlJNSB_9not_fun_tI7is_evenIfEEEEEE10hipError_tPvRmT3_T4_T5_T6_T7_T9_mT8_P12ihipStream_tbDpT10_ENKUlT_T0_E_clISt17integral_constantIbLb0EES17_IbLb1EEEEDaS13_S14_EUlS13_E_NS1_11comp_targetILNS1_3genE10ELNS1_11target_archE1200ELNS1_3gpuE4ELNS1_3repE0EEENS1_30default_config_static_selectorELNS0_4arch9wavefront6targetE0EEEvT1_.has_indirect_call, 0
	.section	.AMDGPU.csdata,"",@progbits
; Kernel info:
; codeLenInByte = 7588
; TotalNumSgprs: 22
; NumVgprs: 52
; ScratchSize: 0
; MemoryBound: 0
; FloatMode: 240
; IeeeMode: 1
; LDSByteSize: 10768 bytes/workgroup (compile time only)
; SGPRBlocks: 0
; VGPRBlocks: 6
; NumSGPRsForWavesPerEU: 22
; NumVGPRsForWavesPerEU: 52
; Occupancy: 15
; WaveLimiterHint : 1
; COMPUTE_PGM_RSRC2:SCRATCH_EN: 0
; COMPUTE_PGM_RSRC2:USER_SGPR: 2
; COMPUTE_PGM_RSRC2:TRAP_HANDLER: 0
; COMPUTE_PGM_RSRC2:TGID_X_EN: 1
; COMPUTE_PGM_RSRC2:TGID_Y_EN: 0
; COMPUTE_PGM_RSRC2:TGID_Z_EN: 0
; COMPUTE_PGM_RSRC2:TIDIG_COMP_CNT: 0
	.section	.text._ZN7rocprim17ROCPRIM_400000_NS6detail17trampoline_kernelINS0_14default_configENS1_25partition_config_selectorILNS1_17partition_subalgoE6EfNS0_10empty_typeEbEEZZNS1_14partition_implILS5_6ELb0ES3_mN6thrust23THRUST_200600_302600_NS6detail15normal_iteratorINSA_10device_ptrIfEEEEPS6_SG_NS0_5tupleIJSF_S6_EEENSH_IJSG_SG_EEES6_PlJNSB_9not_fun_tI7is_evenIfEEEEEE10hipError_tPvRmT3_T4_T5_T6_T7_T9_mT8_P12ihipStream_tbDpT10_ENKUlT_T0_E_clISt17integral_constantIbLb0EES17_IbLb1EEEEDaS13_S14_EUlS13_E_NS1_11comp_targetILNS1_3genE9ELNS1_11target_archE1100ELNS1_3gpuE3ELNS1_3repE0EEENS1_30default_config_static_selectorELNS0_4arch9wavefront6targetE0EEEvT1_,"axG",@progbits,_ZN7rocprim17ROCPRIM_400000_NS6detail17trampoline_kernelINS0_14default_configENS1_25partition_config_selectorILNS1_17partition_subalgoE6EfNS0_10empty_typeEbEEZZNS1_14partition_implILS5_6ELb0ES3_mN6thrust23THRUST_200600_302600_NS6detail15normal_iteratorINSA_10device_ptrIfEEEEPS6_SG_NS0_5tupleIJSF_S6_EEENSH_IJSG_SG_EEES6_PlJNSB_9not_fun_tI7is_evenIfEEEEEE10hipError_tPvRmT3_T4_T5_T6_T7_T9_mT8_P12ihipStream_tbDpT10_ENKUlT_T0_E_clISt17integral_constantIbLb0EES17_IbLb1EEEEDaS13_S14_EUlS13_E_NS1_11comp_targetILNS1_3genE9ELNS1_11target_archE1100ELNS1_3gpuE3ELNS1_3repE0EEENS1_30default_config_static_selectorELNS0_4arch9wavefront6targetE0EEEvT1_,comdat
	.protected	_ZN7rocprim17ROCPRIM_400000_NS6detail17trampoline_kernelINS0_14default_configENS1_25partition_config_selectorILNS1_17partition_subalgoE6EfNS0_10empty_typeEbEEZZNS1_14partition_implILS5_6ELb0ES3_mN6thrust23THRUST_200600_302600_NS6detail15normal_iteratorINSA_10device_ptrIfEEEEPS6_SG_NS0_5tupleIJSF_S6_EEENSH_IJSG_SG_EEES6_PlJNSB_9not_fun_tI7is_evenIfEEEEEE10hipError_tPvRmT3_T4_T5_T6_T7_T9_mT8_P12ihipStream_tbDpT10_ENKUlT_T0_E_clISt17integral_constantIbLb0EES17_IbLb1EEEEDaS13_S14_EUlS13_E_NS1_11comp_targetILNS1_3genE9ELNS1_11target_archE1100ELNS1_3gpuE3ELNS1_3repE0EEENS1_30default_config_static_selectorELNS0_4arch9wavefront6targetE0EEEvT1_ ; -- Begin function _ZN7rocprim17ROCPRIM_400000_NS6detail17trampoline_kernelINS0_14default_configENS1_25partition_config_selectorILNS1_17partition_subalgoE6EfNS0_10empty_typeEbEEZZNS1_14partition_implILS5_6ELb0ES3_mN6thrust23THRUST_200600_302600_NS6detail15normal_iteratorINSA_10device_ptrIfEEEEPS6_SG_NS0_5tupleIJSF_S6_EEENSH_IJSG_SG_EEES6_PlJNSB_9not_fun_tI7is_evenIfEEEEEE10hipError_tPvRmT3_T4_T5_T6_T7_T9_mT8_P12ihipStream_tbDpT10_ENKUlT_T0_E_clISt17integral_constantIbLb0EES17_IbLb1EEEEDaS13_S14_EUlS13_E_NS1_11comp_targetILNS1_3genE9ELNS1_11target_archE1100ELNS1_3gpuE3ELNS1_3repE0EEENS1_30default_config_static_selectorELNS0_4arch9wavefront6targetE0EEEvT1_
	.globl	_ZN7rocprim17ROCPRIM_400000_NS6detail17trampoline_kernelINS0_14default_configENS1_25partition_config_selectorILNS1_17partition_subalgoE6EfNS0_10empty_typeEbEEZZNS1_14partition_implILS5_6ELb0ES3_mN6thrust23THRUST_200600_302600_NS6detail15normal_iteratorINSA_10device_ptrIfEEEEPS6_SG_NS0_5tupleIJSF_S6_EEENSH_IJSG_SG_EEES6_PlJNSB_9not_fun_tI7is_evenIfEEEEEE10hipError_tPvRmT3_T4_T5_T6_T7_T9_mT8_P12ihipStream_tbDpT10_ENKUlT_T0_E_clISt17integral_constantIbLb0EES17_IbLb1EEEEDaS13_S14_EUlS13_E_NS1_11comp_targetILNS1_3genE9ELNS1_11target_archE1100ELNS1_3gpuE3ELNS1_3repE0EEENS1_30default_config_static_selectorELNS0_4arch9wavefront6targetE0EEEvT1_
	.p2align	8
	.type	_ZN7rocprim17ROCPRIM_400000_NS6detail17trampoline_kernelINS0_14default_configENS1_25partition_config_selectorILNS1_17partition_subalgoE6EfNS0_10empty_typeEbEEZZNS1_14partition_implILS5_6ELb0ES3_mN6thrust23THRUST_200600_302600_NS6detail15normal_iteratorINSA_10device_ptrIfEEEEPS6_SG_NS0_5tupleIJSF_S6_EEENSH_IJSG_SG_EEES6_PlJNSB_9not_fun_tI7is_evenIfEEEEEE10hipError_tPvRmT3_T4_T5_T6_T7_T9_mT8_P12ihipStream_tbDpT10_ENKUlT_T0_E_clISt17integral_constantIbLb0EES17_IbLb1EEEEDaS13_S14_EUlS13_E_NS1_11comp_targetILNS1_3genE9ELNS1_11target_archE1100ELNS1_3gpuE3ELNS1_3repE0EEENS1_30default_config_static_selectorELNS0_4arch9wavefront6targetE0EEEvT1_,@function
_ZN7rocprim17ROCPRIM_400000_NS6detail17trampoline_kernelINS0_14default_configENS1_25partition_config_selectorILNS1_17partition_subalgoE6EfNS0_10empty_typeEbEEZZNS1_14partition_implILS5_6ELb0ES3_mN6thrust23THRUST_200600_302600_NS6detail15normal_iteratorINSA_10device_ptrIfEEEEPS6_SG_NS0_5tupleIJSF_S6_EEENSH_IJSG_SG_EEES6_PlJNSB_9not_fun_tI7is_evenIfEEEEEE10hipError_tPvRmT3_T4_T5_T6_T7_T9_mT8_P12ihipStream_tbDpT10_ENKUlT_T0_E_clISt17integral_constantIbLb0EES17_IbLb1EEEEDaS13_S14_EUlS13_E_NS1_11comp_targetILNS1_3genE9ELNS1_11target_archE1100ELNS1_3gpuE3ELNS1_3repE0EEENS1_30default_config_static_selectorELNS0_4arch9wavefront6targetE0EEEvT1_: ; @_ZN7rocprim17ROCPRIM_400000_NS6detail17trampoline_kernelINS0_14default_configENS1_25partition_config_selectorILNS1_17partition_subalgoE6EfNS0_10empty_typeEbEEZZNS1_14partition_implILS5_6ELb0ES3_mN6thrust23THRUST_200600_302600_NS6detail15normal_iteratorINSA_10device_ptrIfEEEEPS6_SG_NS0_5tupleIJSF_S6_EEENSH_IJSG_SG_EEES6_PlJNSB_9not_fun_tI7is_evenIfEEEEEE10hipError_tPvRmT3_T4_T5_T6_T7_T9_mT8_P12ihipStream_tbDpT10_ENKUlT_T0_E_clISt17integral_constantIbLb0EES17_IbLb1EEEEDaS13_S14_EUlS13_E_NS1_11comp_targetILNS1_3genE9ELNS1_11target_archE1100ELNS1_3gpuE3ELNS1_3repE0EEENS1_30default_config_static_selectorELNS0_4arch9wavefront6targetE0EEEvT1_
; %bb.0:
	.section	.rodata,"a",@progbits
	.p2align	6, 0x0
	.amdhsa_kernel _ZN7rocprim17ROCPRIM_400000_NS6detail17trampoline_kernelINS0_14default_configENS1_25partition_config_selectorILNS1_17partition_subalgoE6EfNS0_10empty_typeEbEEZZNS1_14partition_implILS5_6ELb0ES3_mN6thrust23THRUST_200600_302600_NS6detail15normal_iteratorINSA_10device_ptrIfEEEEPS6_SG_NS0_5tupleIJSF_S6_EEENSH_IJSG_SG_EEES6_PlJNSB_9not_fun_tI7is_evenIfEEEEEE10hipError_tPvRmT3_T4_T5_T6_T7_T9_mT8_P12ihipStream_tbDpT10_ENKUlT_T0_E_clISt17integral_constantIbLb0EES17_IbLb1EEEEDaS13_S14_EUlS13_E_NS1_11comp_targetILNS1_3genE9ELNS1_11target_archE1100ELNS1_3gpuE3ELNS1_3repE0EEENS1_30default_config_static_selectorELNS0_4arch9wavefront6targetE0EEEvT1_
		.amdhsa_group_segment_fixed_size 0
		.amdhsa_private_segment_fixed_size 0
		.amdhsa_kernarg_size 128
		.amdhsa_user_sgpr_count 2
		.amdhsa_user_sgpr_dispatch_ptr 0
		.amdhsa_user_sgpr_queue_ptr 0
		.amdhsa_user_sgpr_kernarg_segment_ptr 1
		.amdhsa_user_sgpr_dispatch_id 0
		.amdhsa_user_sgpr_private_segment_size 0
		.amdhsa_wavefront_size32 1
		.amdhsa_uses_dynamic_stack 0
		.amdhsa_enable_private_segment 0
		.amdhsa_system_sgpr_workgroup_id_x 1
		.amdhsa_system_sgpr_workgroup_id_y 0
		.amdhsa_system_sgpr_workgroup_id_z 0
		.amdhsa_system_sgpr_workgroup_info 0
		.amdhsa_system_vgpr_workitem_id 0
		.amdhsa_next_free_vgpr 1
		.amdhsa_next_free_sgpr 1
		.amdhsa_reserve_vcc 0
		.amdhsa_float_round_mode_32 0
		.amdhsa_float_round_mode_16_64 0
		.amdhsa_float_denorm_mode_32 3
		.amdhsa_float_denorm_mode_16_64 3
		.amdhsa_fp16_overflow 0
		.amdhsa_workgroup_processor_mode 1
		.amdhsa_memory_ordered 1
		.amdhsa_forward_progress 1
		.amdhsa_inst_pref_size 0
		.amdhsa_round_robin_scheduling 0
		.amdhsa_exception_fp_ieee_invalid_op 0
		.amdhsa_exception_fp_denorm_src 0
		.amdhsa_exception_fp_ieee_div_zero 0
		.amdhsa_exception_fp_ieee_overflow 0
		.amdhsa_exception_fp_ieee_underflow 0
		.amdhsa_exception_fp_ieee_inexact 0
		.amdhsa_exception_int_div_zero 0
	.end_amdhsa_kernel
	.section	.text._ZN7rocprim17ROCPRIM_400000_NS6detail17trampoline_kernelINS0_14default_configENS1_25partition_config_selectorILNS1_17partition_subalgoE6EfNS0_10empty_typeEbEEZZNS1_14partition_implILS5_6ELb0ES3_mN6thrust23THRUST_200600_302600_NS6detail15normal_iteratorINSA_10device_ptrIfEEEEPS6_SG_NS0_5tupleIJSF_S6_EEENSH_IJSG_SG_EEES6_PlJNSB_9not_fun_tI7is_evenIfEEEEEE10hipError_tPvRmT3_T4_T5_T6_T7_T9_mT8_P12ihipStream_tbDpT10_ENKUlT_T0_E_clISt17integral_constantIbLb0EES17_IbLb1EEEEDaS13_S14_EUlS13_E_NS1_11comp_targetILNS1_3genE9ELNS1_11target_archE1100ELNS1_3gpuE3ELNS1_3repE0EEENS1_30default_config_static_selectorELNS0_4arch9wavefront6targetE0EEEvT1_,"axG",@progbits,_ZN7rocprim17ROCPRIM_400000_NS6detail17trampoline_kernelINS0_14default_configENS1_25partition_config_selectorILNS1_17partition_subalgoE6EfNS0_10empty_typeEbEEZZNS1_14partition_implILS5_6ELb0ES3_mN6thrust23THRUST_200600_302600_NS6detail15normal_iteratorINSA_10device_ptrIfEEEEPS6_SG_NS0_5tupleIJSF_S6_EEENSH_IJSG_SG_EEES6_PlJNSB_9not_fun_tI7is_evenIfEEEEEE10hipError_tPvRmT3_T4_T5_T6_T7_T9_mT8_P12ihipStream_tbDpT10_ENKUlT_T0_E_clISt17integral_constantIbLb0EES17_IbLb1EEEEDaS13_S14_EUlS13_E_NS1_11comp_targetILNS1_3genE9ELNS1_11target_archE1100ELNS1_3gpuE3ELNS1_3repE0EEENS1_30default_config_static_selectorELNS0_4arch9wavefront6targetE0EEEvT1_,comdat
.Lfunc_end595:
	.size	_ZN7rocprim17ROCPRIM_400000_NS6detail17trampoline_kernelINS0_14default_configENS1_25partition_config_selectorILNS1_17partition_subalgoE6EfNS0_10empty_typeEbEEZZNS1_14partition_implILS5_6ELb0ES3_mN6thrust23THRUST_200600_302600_NS6detail15normal_iteratorINSA_10device_ptrIfEEEEPS6_SG_NS0_5tupleIJSF_S6_EEENSH_IJSG_SG_EEES6_PlJNSB_9not_fun_tI7is_evenIfEEEEEE10hipError_tPvRmT3_T4_T5_T6_T7_T9_mT8_P12ihipStream_tbDpT10_ENKUlT_T0_E_clISt17integral_constantIbLb0EES17_IbLb1EEEEDaS13_S14_EUlS13_E_NS1_11comp_targetILNS1_3genE9ELNS1_11target_archE1100ELNS1_3gpuE3ELNS1_3repE0EEENS1_30default_config_static_selectorELNS0_4arch9wavefront6targetE0EEEvT1_, .Lfunc_end595-_ZN7rocprim17ROCPRIM_400000_NS6detail17trampoline_kernelINS0_14default_configENS1_25partition_config_selectorILNS1_17partition_subalgoE6EfNS0_10empty_typeEbEEZZNS1_14partition_implILS5_6ELb0ES3_mN6thrust23THRUST_200600_302600_NS6detail15normal_iteratorINSA_10device_ptrIfEEEEPS6_SG_NS0_5tupleIJSF_S6_EEENSH_IJSG_SG_EEES6_PlJNSB_9not_fun_tI7is_evenIfEEEEEE10hipError_tPvRmT3_T4_T5_T6_T7_T9_mT8_P12ihipStream_tbDpT10_ENKUlT_T0_E_clISt17integral_constantIbLb0EES17_IbLb1EEEEDaS13_S14_EUlS13_E_NS1_11comp_targetILNS1_3genE9ELNS1_11target_archE1100ELNS1_3gpuE3ELNS1_3repE0EEENS1_30default_config_static_selectorELNS0_4arch9wavefront6targetE0EEEvT1_
                                        ; -- End function
	.set _ZN7rocprim17ROCPRIM_400000_NS6detail17trampoline_kernelINS0_14default_configENS1_25partition_config_selectorILNS1_17partition_subalgoE6EfNS0_10empty_typeEbEEZZNS1_14partition_implILS5_6ELb0ES3_mN6thrust23THRUST_200600_302600_NS6detail15normal_iteratorINSA_10device_ptrIfEEEEPS6_SG_NS0_5tupleIJSF_S6_EEENSH_IJSG_SG_EEES6_PlJNSB_9not_fun_tI7is_evenIfEEEEEE10hipError_tPvRmT3_T4_T5_T6_T7_T9_mT8_P12ihipStream_tbDpT10_ENKUlT_T0_E_clISt17integral_constantIbLb0EES17_IbLb1EEEEDaS13_S14_EUlS13_E_NS1_11comp_targetILNS1_3genE9ELNS1_11target_archE1100ELNS1_3gpuE3ELNS1_3repE0EEENS1_30default_config_static_selectorELNS0_4arch9wavefront6targetE0EEEvT1_.num_vgpr, 0
	.set _ZN7rocprim17ROCPRIM_400000_NS6detail17trampoline_kernelINS0_14default_configENS1_25partition_config_selectorILNS1_17partition_subalgoE6EfNS0_10empty_typeEbEEZZNS1_14partition_implILS5_6ELb0ES3_mN6thrust23THRUST_200600_302600_NS6detail15normal_iteratorINSA_10device_ptrIfEEEEPS6_SG_NS0_5tupleIJSF_S6_EEENSH_IJSG_SG_EEES6_PlJNSB_9not_fun_tI7is_evenIfEEEEEE10hipError_tPvRmT3_T4_T5_T6_T7_T9_mT8_P12ihipStream_tbDpT10_ENKUlT_T0_E_clISt17integral_constantIbLb0EES17_IbLb1EEEEDaS13_S14_EUlS13_E_NS1_11comp_targetILNS1_3genE9ELNS1_11target_archE1100ELNS1_3gpuE3ELNS1_3repE0EEENS1_30default_config_static_selectorELNS0_4arch9wavefront6targetE0EEEvT1_.num_agpr, 0
	.set _ZN7rocprim17ROCPRIM_400000_NS6detail17trampoline_kernelINS0_14default_configENS1_25partition_config_selectorILNS1_17partition_subalgoE6EfNS0_10empty_typeEbEEZZNS1_14partition_implILS5_6ELb0ES3_mN6thrust23THRUST_200600_302600_NS6detail15normal_iteratorINSA_10device_ptrIfEEEEPS6_SG_NS0_5tupleIJSF_S6_EEENSH_IJSG_SG_EEES6_PlJNSB_9not_fun_tI7is_evenIfEEEEEE10hipError_tPvRmT3_T4_T5_T6_T7_T9_mT8_P12ihipStream_tbDpT10_ENKUlT_T0_E_clISt17integral_constantIbLb0EES17_IbLb1EEEEDaS13_S14_EUlS13_E_NS1_11comp_targetILNS1_3genE9ELNS1_11target_archE1100ELNS1_3gpuE3ELNS1_3repE0EEENS1_30default_config_static_selectorELNS0_4arch9wavefront6targetE0EEEvT1_.numbered_sgpr, 0
	.set _ZN7rocprim17ROCPRIM_400000_NS6detail17trampoline_kernelINS0_14default_configENS1_25partition_config_selectorILNS1_17partition_subalgoE6EfNS0_10empty_typeEbEEZZNS1_14partition_implILS5_6ELb0ES3_mN6thrust23THRUST_200600_302600_NS6detail15normal_iteratorINSA_10device_ptrIfEEEEPS6_SG_NS0_5tupleIJSF_S6_EEENSH_IJSG_SG_EEES6_PlJNSB_9not_fun_tI7is_evenIfEEEEEE10hipError_tPvRmT3_T4_T5_T6_T7_T9_mT8_P12ihipStream_tbDpT10_ENKUlT_T0_E_clISt17integral_constantIbLb0EES17_IbLb1EEEEDaS13_S14_EUlS13_E_NS1_11comp_targetILNS1_3genE9ELNS1_11target_archE1100ELNS1_3gpuE3ELNS1_3repE0EEENS1_30default_config_static_selectorELNS0_4arch9wavefront6targetE0EEEvT1_.num_named_barrier, 0
	.set _ZN7rocprim17ROCPRIM_400000_NS6detail17trampoline_kernelINS0_14default_configENS1_25partition_config_selectorILNS1_17partition_subalgoE6EfNS0_10empty_typeEbEEZZNS1_14partition_implILS5_6ELb0ES3_mN6thrust23THRUST_200600_302600_NS6detail15normal_iteratorINSA_10device_ptrIfEEEEPS6_SG_NS0_5tupleIJSF_S6_EEENSH_IJSG_SG_EEES6_PlJNSB_9not_fun_tI7is_evenIfEEEEEE10hipError_tPvRmT3_T4_T5_T6_T7_T9_mT8_P12ihipStream_tbDpT10_ENKUlT_T0_E_clISt17integral_constantIbLb0EES17_IbLb1EEEEDaS13_S14_EUlS13_E_NS1_11comp_targetILNS1_3genE9ELNS1_11target_archE1100ELNS1_3gpuE3ELNS1_3repE0EEENS1_30default_config_static_selectorELNS0_4arch9wavefront6targetE0EEEvT1_.private_seg_size, 0
	.set _ZN7rocprim17ROCPRIM_400000_NS6detail17trampoline_kernelINS0_14default_configENS1_25partition_config_selectorILNS1_17partition_subalgoE6EfNS0_10empty_typeEbEEZZNS1_14partition_implILS5_6ELb0ES3_mN6thrust23THRUST_200600_302600_NS6detail15normal_iteratorINSA_10device_ptrIfEEEEPS6_SG_NS0_5tupleIJSF_S6_EEENSH_IJSG_SG_EEES6_PlJNSB_9not_fun_tI7is_evenIfEEEEEE10hipError_tPvRmT3_T4_T5_T6_T7_T9_mT8_P12ihipStream_tbDpT10_ENKUlT_T0_E_clISt17integral_constantIbLb0EES17_IbLb1EEEEDaS13_S14_EUlS13_E_NS1_11comp_targetILNS1_3genE9ELNS1_11target_archE1100ELNS1_3gpuE3ELNS1_3repE0EEENS1_30default_config_static_selectorELNS0_4arch9wavefront6targetE0EEEvT1_.uses_vcc, 0
	.set _ZN7rocprim17ROCPRIM_400000_NS6detail17trampoline_kernelINS0_14default_configENS1_25partition_config_selectorILNS1_17partition_subalgoE6EfNS0_10empty_typeEbEEZZNS1_14partition_implILS5_6ELb0ES3_mN6thrust23THRUST_200600_302600_NS6detail15normal_iteratorINSA_10device_ptrIfEEEEPS6_SG_NS0_5tupleIJSF_S6_EEENSH_IJSG_SG_EEES6_PlJNSB_9not_fun_tI7is_evenIfEEEEEE10hipError_tPvRmT3_T4_T5_T6_T7_T9_mT8_P12ihipStream_tbDpT10_ENKUlT_T0_E_clISt17integral_constantIbLb0EES17_IbLb1EEEEDaS13_S14_EUlS13_E_NS1_11comp_targetILNS1_3genE9ELNS1_11target_archE1100ELNS1_3gpuE3ELNS1_3repE0EEENS1_30default_config_static_selectorELNS0_4arch9wavefront6targetE0EEEvT1_.uses_flat_scratch, 0
	.set _ZN7rocprim17ROCPRIM_400000_NS6detail17trampoline_kernelINS0_14default_configENS1_25partition_config_selectorILNS1_17partition_subalgoE6EfNS0_10empty_typeEbEEZZNS1_14partition_implILS5_6ELb0ES3_mN6thrust23THRUST_200600_302600_NS6detail15normal_iteratorINSA_10device_ptrIfEEEEPS6_SG_NS0_5tupleIJSF_S6_EEENSH_IJSG_SG_EEES6_PlJNSB_9not_fun_tI7is_evenIfEEEEEE10hipError_tPvRmT3_T4_T5_T6_T7_T9_mT8_P12ihipStream_tbDpT10_ENKUlT_T0_E_clISt17integral_constantIbLb0EES17_IbLb1EEEEDaS13_S14_EUlS13_E_NS1_11comp_targetILNS1_3genE9ELNS1_11target_archE1100ELNS1_3gpuE3ELNS1_3repE0EEENS1_30default_config_static_selectorELNS0_4arch9wavefront6targetE0EEEvT1_.has_dyn_sized_stack, 0
	.set _ZN7rocprim17ROCPRIM_400000_NS6detail17trampoline_kernelINS0_14default_configENS1_25partition_config_selectorILNS1_17partition_subalgoE6EfNS0_10empty_typeEbEEZZNS1_14partition_implILS5_6ELb0ES3_mN6thrust23THRUST_200600_302600_NS6detail15normal_iteratorINSA_10device_ptrIfEEEEPS6_SG_NS0_5tupleIJSF_S6_EEENSH_IJSG_SG_EEES6_PlJNSB_9not_fun_tI7is_evenIfEEEEEE10hipError_tPvRmT3_T4_T5_T6_T7_T9_mT8_P12ihipStream_tbDpT10_ENKUlT_T0_E_clISt17integral_constantIbLb0EES17_IbLb1EEEEDaS13_S14_EUlS13_E_NS1_11comp_targetILNS1_3genE9ELNS1_11target_archE1100ELNS1_3gpuE3ELNS1_3repE0EEENS1_30default_config_static_selectorELNS0_4arch9wavefront6targetE0EEEvT1_.has_recursion, 0
	.set _ZN7rocprim17ROCPRIM_400000_NS6detail17trampoline_kernelINS0_14default_configENS1_25partition_config_selectorILNS1_17partition_subalgoE6EfNS0_10empty_typeEbEEZZNS1_14partition_implILS5_6ELb0ES3_mN6thrust23THRUST_200600_302600_NS6detail15normal_iteratorINSA_10device_ptrIfEEEEPS6_SG_NS0_5tupleIJSF_S6_EEENSH_IJSG_SG_EEES6_PlJNSB_9not_fun_tI7is_evenIfEEEEEE10hipError_tPvRmT3_T4_T5_T6_T7_T9_mT8_P12ihipStream_tbDpT10_ENKUlT_T0_E_clISt17integral_constantIbLb0EES17_IbLb1EEEEDaS13_S14_EUlS13_E_NS1_11comp_targetILNS1_3genE9ELNS1_11target_archE1100ELNS1_3gpuE3ELNS1_3repE0EEENS1_30default_config_static_selectorELNS0_4arch9wavefront6targetE0EEEvT1_.has_indirect_call, 0
	.section	.AMDGPU.csdata,"",@progbits
; Kernel info:
; codeLenInByte = 0
; TotalNumSgprs: 0
; NumVgprs: 0
; ScratchSize: 0
; MemoryBound: 0
; FloatMode: 240
; IeeeMode: 1
; LDSByteSize: 0 bytes/workgroup (compile time only)
; SGPRBlocks: 0
; VGPRBlocks: 0
; NumSGPRsForWavesPerEU: 1
; NumVGPRsForWavesPerEU: 1
; Occupancy: 16
; WaveLimiterHint : 0
; COMPUTE_PGM_RSRC2:SCRATCH_EN: 0
; COMPUTE_PGM_RSRC2:USER_SGPR: 2
; COMPUTE_PGM_RSRC2:TRAP_HANDLER: 0
; COMPUTE_PGM_RSRC2:TGID_X_EN: 1
; COMPUTE_PGM_RSRC2:TGID_Y_EN: 0
; COMPUTE_PGM_RSRC2:TGID_Z_EN: 0
; COMPUTE_PGM_RSRC2:TIDIG_COMP_CNT: 0
	.section	.text._ZN7rocprim17ROCPRIM_400000_NS6detail17trampoline_kernelINS0_14default_configENS1_25partition_config_selectorILNS1_17partition_subalgoE6EfNS0_10empty_typeEbEEZZNS1_14partition_implILS5_6ELb0ES3_mN6thrust23THRUST_200600_302600_NS6detail15normal_iteratorINSA_10device_ptrIfEEEEPS6_SG_NS0_5tupleIJSF_S6_EEENSH_IJSG_SG_EEES6_PlJNSB_9not_fun_tI7is_evenIfEEEEEE10hipError_tPvRmT3_T4_T5_T6_T7_T9_mT8_P12ihipStream_tbDpT10_ENKUlT_T0_E_clISt17integral_constantIbLb0EES17_IbLb1EEEEDaS13_S14_EUlS13_E_NS1_11comp_targetILNS1_3genE8ELNS1_11target_archE1030ELNS1_3gpuE2ELNS1_3repE0EEENS1_30default_config_static_selectorELNS0_4arch9wavefront6targetE0EEEvT1_,"axG",@progbits,_ZN7rocprim17ROCPRIM_400000_NS6detail17trampoline_kernelINS0_14default_configENS1_25partition_config_selectorILNS1_17partition_subalgoE6EfNS0_10empty_typeEbEEZZNS1_14partition_implILS5_6ELb0ES3_mN6thrust23THRUST_200600_302600_NS6detail15normal_iteratorINSA_10device_ptrIfEEEEPS6_SG_NS0_5tupleIJSF_S6_EEENSH_IJSG_SG_EEES6_PlJNSB_9not_fun_tI7is_evenIfEEEEEE10hipError_tPvRmT3_T4_T5_T6_T7_T9_mT8_P12ihipStream_tbDpT10_ENKUlT_T0_E_clISt17integral_constantIbLb0EES17_IbLb1EEEEDaS13_S14_EUlS13_E_NS1_11comp_targetILNS1_3genE8ELNS1_11target_archE1030ELNS1_3gpuE2ELNS1_3repE0EEENS1_30default_config_static_selectorELNS0_4arch9wavefront6targetE0EEEvT1_,comdat
	.protected	_ZN7rocprim17ROCPRIM_400000_NS6detail17trampoline_kernelINS0_14default_configENS1_25partition_config_selectorILNS1_17partition_subalgoE6EfNS0_10empty_typeEbEEZZNS1_14partition_implILS5_6ELb0ES3_mN6thrust23THRUST_200600_302600_NS6detail15normal_iteratorINSA_10device_ptrIfEEEEPS6_SG_NS0_5tupleIJSF_S6_EEENSH_IJSG_SG_EEES6_PlJNSB_9not_fun_tI7is_evenIfEEEEEE10hipError_tPvRmT3_T4_T5_T6_T7_T9_mT8_P12ihipStream_tbDpT10_ENKUlT_T0_E_clISt17integral_constantIbLb0EES17_IbLb1EEEEDaS13_S14_EUlS13_E_NS1_11comp_targetILNS1_3genE8ELNS1_11target_archE1030ELNS1_3gpuE2ELNS1_3repE0EEENS1_30default_config_static_selectorELNS0_4arch9wavefront6targetE0EEEvT1_ ; -- Begin function _ZN7rocprim17ROCPRIM_400000_NS6detail17trampoline_kernelINS0_14default_configENS1_25partition_config_selectorILNS1_17partition_subalgoE6EfNS0_10empty_typeEbEEZZNS1_14partition_implILS5_6ELb0ES3_mN6thrust23THRUST_200600_302600_NS6detail15normal_iteratorINSA_10device_ptrIfEEEEPS6_SG_NS0_5tupleIJSF_S6_EEENSH_IJSG_SG_EEES6_PlJNSB_9not_fun_tI7is_evenIfEEEEEE10hipError_tPvRmT3_T4_T5_T6_T7_T9_mT8_P12ihipStream_tbDpT10_ENKUlT_T0_E_clISt17integral_constantIbLb0EES17_IbLb1EEEEDaS13_S14_EUlS13_E_NS1_11comp_targetILNS1_3genE8ELNS1_11target_archE1030ELNS1_3gpuE2ELNS1_3repE0EEENS1_30default_config_static_selectorELNS0_4arch9wavefront6targetE0EEEvT1_
	.globl	_ZN7rocprim17ROCPRIM_400000_NS6detail17trampoline_kernelINS0_14default_configENS1_25partition_config_selectorILNS1_17partition_subalgoE6EfNS0_10empty_typeEbEEZZNS1_14partition_implILS5_6ELb0ES3_mN6thrust23THRUST_200600_302600_NS6detail15normal_iteratorINSA_10device_ptrIfEEEEPS6_SG_NS0_5tupleIJSF_S6_EEENSH_IJSG_SG_EEES6_PlJNSB_9not_fun_tI7is_evenIfEEEEEE10hipError_tPvRmT3_T4_T5_T6_T7_T9_mT8_P12ihipStream_tbDpT10_ENKUlT_T0_E_clISt17integral_constantIbLb0EES17_IbLb1EEEEDaS13_S14_EUlS13_E_NS1_11comp_targetILNS1_3genE8ELNS1_11target_archE1030ELNS1_3gpuE2ELNS1_3repE0EEENS1_30default_config_static_selectorELNS0_4arch9wavefront6targetE0EEEvT1_
	.p2align	8
	.type	_ZN7rocprim17ROCPRIM_400000_NS6detail17trampoline_kernelINS0_14default_configENS1_25partition_config_selectorILNS1_17partition_subalgoE6EfNS0_10empty_typeEbEEZZNS1_14partition_implILS5_6ELb0ES3_mN6thrust23THRUST_200600_302600_NS6detail15normal_iteratorINSA_10device_ptrIfEEEEPS6_SG_NS0_5tupleIJSF_S6_EEENSH_IJSG_SG_EEES6_PlJNSB_9not_fun_tI7is_evenIfEEEEEE10hipError_tPvRmT3_T4_T5_T6_T7_T9_mT8_P12ihipStream_tbDpT10_ENKUlT_T0_E_clISt17integral_constantIbLb0EES17_IbLb1EEEEDaS13_S14_EUlS13_E_NS1_11comp_targetILNS1_3genE8ELNS1_11target_archE1030ELNS1_3gpuE2ELNS1_3repE0EEENS1_30default_config_static_selectorELNS0_4arch9wavefront6targetE0EEEvT1_,@function
_ZN7rocprim17ROCPRIM_400000_NS6detail17trampoline_kernelINS0_14default_configENS1_25partition_config_selectorILNS1_17partition_subalgoE6EfNS0_10empty_typeEbEEZZNS1_14partition_implILS5_6ELb0ES3_mN6thrust23THRUST_200600_302600_NS6detail15normal_iteratorINSA_10device_ptrIfEEEEPS6_SG_NS0_5tupleIJSF_S6_EEENSH_IJSG_SG_EEES6_PlJNSB_9not_fun_tI7is_evenIfEEEEEE10hipError_tPvRmT3_T4_T5_T6_T7_T9_mT8_P12ihipStream_tbDpT10_ENKUlT_T0_E_clISt17integral_constantIbLb0EES17_IbLb1EEEEDaS13_S14_EUlS13_E_NS1_11comp_targetILNS1_3genE8ELNS1_11target_archE1030ELNS1_3gpuE2ELNS1_3repE0EEENS1_30default_config_static_selectorELNS0_4arch9wavefront6targetE0EEEvT1_: ; @_ZN7rocprim17ROCPRIM_400000_NS6detail17trampoline_kernelINS0_14default_configENS1_25partition_config_selectorILNS1_17partition_subalgoE6EfNS0_10empty_typeEbEEZZNS1_14partition_implILS5_6ELb0ES3_mN6thrust23THRUST_200600_302600_NS6detail15normal_iteratorINSA_10device_ptrIfEEEEPS6_SG_NS0_5tupleIJSF_S6_EEENSH_IJSG_SG_EEES6_PlJNSB_9not_fun_tI7is_evenIfEEEEEE10hipError_tPvRmT3_T4_T5_T6_T7_T9_mT8_P12ihipStream_tbDpT10_ENKUlT_T0_E_clISt17integral_constantIbLb0EES17_IbLb1EEEEDaS13_S14_EUlS13_E_NS1_11comp_targetILNS1_3genE8ELNS1_11target_archE1030ELNS1_3gpuE2ELNS1_3repE0EEENS1_30default_config_static_selectorELNS0_4arch9wavefront6targetE0EEEvT1_
; %bb.0:
	.section	.rodata,"a",@progbits
	.p2align	6, 0x0
	.amdhsa_kernel _ZN7rocprim17ROCPRIM_400000_NS6detail17trampoline_kernelINS0_14default_configENS1_25partition_config_selectorILNS1_17partition_subalgoE6EfNS0_10empty_typeEbEEZZNS1_14partition_implILS5_6ELb0ES3_mN6thrust23THRUST_200600_302600_NS6detail15normal_iteratorINSA_10device_ptrIfEEEEPS6_SG_NS0_5tupleIJSF_S6_EEENSH_IJSG_SG_EEES6_PlJNSB_9not_fun_tI7is_evenIfEEEEEE10hipError_tPvRmT3_T4_T5_T6_T7_T9_mT8_P12ihipStream_tbDpT10_ENKUlT_T0_E_clISt17integral_constantIbLb0EES17_IbLb1EEEEDaS13_S14_EUlS13_E_NS1_11comp_targetILNS1_3genE8ELNS1_11target_archE1030ELNS1_3gpuE2ELNS1_3repE0EEENS1_30default_config_static_selectorELNS0_4arch9wavefront6targetE0EEEvT1_
		.amdhsa_group_segment_fixed_size 0
		.amdhsa_private_segment_fixed_size 0
		.amdhsa_kernarg_size 128
		.amdhsa_user_sgpr_count 2
		.amdhsa_user_sgpr_dispatch_ptr 0
		.amdhsa_user_sgpr_queue_ptr 0
		.amdhsa_user_sgpr_kernarg_segment_ptr 1
		.amdhsa_user_sgpr_dispatch_id 0
		.amdhsa_user_sgpr_private_segment_size 0
		.amdhsa_wavefront_size32 1
		.amdhsa_uses_dynamic_stack 0
		.amdhsa_enable_private_segment 0
		.amdhsa_system_sgpr_workgroup_id_x 1
		.amdhsa_system_sgpr_workgroup_id_y 0
		.amdhsa_system_sgpr_workgroup_id_z 0
		.amdhsa_system_sgpr_workgroup_info 0
		.amdhsa_system_vgpr_workitem_id 0
		.amdhsa_next_free_vgpr 1
		.amdhsa_next_free_sgpr 1
		.amdhsa_reserve_vcc 0
		.amdhsa_float_round_mode_32 0
		.amdhsa_float_round_mode_16_64 0
		.amdhsa_float_denorm_mode_32 3
		.amdhsa_float_denorm_mode_16_64 3
		.amdhsa_fp16_overflow 0
		.amdhsa_workgroup_processor_mode 1
		.amdhsa_memory_ordered 1
		.amdhsa_forward_progress 1
		.amdhsa_inst_pref_size 0
		.amdhsa_round_robin_scheduling 0
		.amdhsa_exception_fp_ieee_invalid_op 0
		.amdhsa_exception_fp_denorm_src 0
		.amdhsa_exception_fp_ieee_div_zero 0
		.amdhsa_exception_fp_ieee_overflow 0
		.amdhsa_exception_fp_ieee_underflow 0
		.amdhsa_exception_fp_ieee_inexact 0
		.amdhsa_exception_int_div_zero 0
	.end_amdhsa_kernel
	.section	.text._ZN7rocprim17ROCPRIM_400000_NS6detail17trampoline_kernelINS0_14default_configENS1_25partition_config_selectorILNS1_17partition_subalgoE6EfNS0_10empty_typeEbEEZZNS1_14partition_implILS5_6ELb0ES3_mN6thrust23THRUST_200600_302600_NS6detail15normal_iteratorINSA_10device_ptrIfEEEEPS6_SG_NS0_5tupleIJSF_S6_EEENSH_IJSG_SG_EEES6_PlJNSB_9not_fun_tI7is_evenIfEEEEEE10hipError_tPvRmT3_T4_T5_T6_T7_T9_mT8_P12ihipStream_tbDpT10_ENKUlT_T0_E_clISt17integral_constantIbLb0EES17_IbLb1EEEEDaS13_S14_EUlS13_E_NS1_11comp_targetILNS1_3genE8ELNS1_11target_archE1030ELNS1_3gpuE2ELNS1_3repE0EEENS1_30default_config_static_selectorELNS0_4arch9wavefront6targetE0EEEvT1_,"axG",@progbits,_ZN7rocprim17ROCPRIM_400000_NS6detail17trampoline_kernelINS0_14default_configENS1_25partition_config_selectorILNS1_17partition_subalgoE6EfNS0_10empty_typeEbEEZZNS1_14partition_implILS5_6ELb0ES3_mN6thrust23THRUST_200600_302600_NS6detail15normal_iteratorINSA_10device_ptrIfEEEEPS6_SG_NS0_5tupleIJSF_S6_EEENSH_IJSG_SG_EEES6_PlJNSB_9not_fun_tI7is_evenIfEEEEEE10hipError_tPvRmT3_T4_T5_T6_T7_T9_mT8_P12ihipStream_tbDpT10_ENKUlT_T0_E_clISt17integral_constantIbLb0EES17_IbLb1EEEEDaS13_S14_EUlS13_E_NS1_11comp_targetILNS1_3genE8ELNS1_11target_archE1030ELNS1_3gpuE2ELNS1_3repE0EEENS1_30default_config_static_selectorELNS0_4arch9wavefront6targetE0EEEvT1_,comdat
.Lfunc_end596:
	.size	_ZN7rocprim17ROCPRIM_400000_NS6detail17trampoline_kernelINS0_14default_configENS1_25partition_config_selectorILNS1_17partition_subalgoE6EfNS0_10empty_typeEbEEZZNS1_14partition_implILS5_6ELb0ES3_mN6thrust23THRUST_200600_302600_NS6detail15normal_iteratorINSA_10device_ptrIfEEEEPS6_SG_NS0_5tupleIJSF_S6_EEENSH_IJSG_SG_EEES6_PlJNSB_9not_fun_tI7is_evenIfEEEEEE10hipError_tPvRmT3_T4_T5_T6_T7_T9_mT8_P12ihipStream_tbDpT10_ENKUlT_T0_E_clISt17integral_constantIbLb0EES17_IbLb1EEEEDaS13_S14_EUlS13_E_NS1_11comp_targetILNS1_3genE8ELNS1_11target_archE1030ELNS1_3gpuE2ELNS1_3repE0EEENS1_30default_config_static_selectorELNS0_4arch9wavefront6targetE0EEEvT1_, .Lfunc_end596-_ZN7rocprim17ROCPRIM_400000_NS6detail17trampoline_kernelINS0_14default_configENS1_25partition_config_selectorILNS1_17partition_subalgoE6EfNS0_10empty_typeEbEEZZNS1_14partition_implILS5_6ELb0ES3_mN6thrust23THRUST_200600_302600_NS6detail15normal_iteratorINSA_10device_ptrIfEEEEPS6_SG_NS0_5tupleIJSF_S6_EEENSH_IJSG_SG_EEES6_PlJNSB_9not_fun_tI7is_evenIfEEEEEE10hipError_tPvRmT3_T4_T5_T6_T7_T9_mT8_P12ihipStream_tbDpT10_ENKUlT_T0_E_clISt17integral_constantIbLb0EES17_IbLb1EEEEDaS13_S14_EUlS13_E_NS1_11comp_targetILNS1_3genE8ELNS1_11target_archE1030ELNS1_3gpuE2ELNS1_3repE0EEENS1_30default_config_static_selectorELNS0_4arch9wavefront6targetE0EEEvT1_
                                        ; -- End function
	.set _ZN7rocprim17ROCPRIM_400000_NS6detail17trampoline_kernelINS0_14default_configENS1_25partition_config_selectorILNS1_17partition_subalgoE6EfNS0_10empty_typeEbEEZZNS1_14partition_implILS5_6ELb0ES3_mN6thrust23THRUST_200600_302600_NS6detail15normal_iteratorINSA_10device_ptrIfEEEEPS6_SG_NS0_5tupleIJSF_S6_EEENSH_IJSG_SG_EEES6_PlJNSB_9not_fun_tI7is_evenIfEEEEEE10hipError_tPvRmT3_T4_T5_T6_T7_T9_mT8_P12ihipStream_tbDpT10_ENKUlT_T0_E_clISt17integral_constantIbLb0EES17_IbLb1EEEEDaS13_S14_EUlS13_E_NS1_11comp_targetILNS1_3genE8ELNS1_11target_archE1030ELNS1_3gpuE2ELNS1_3repE0EEENS1_30default_config_static_selectorELNS0_4arch9wavefront6targetE0EEEvT1_.num_vgpr, 0
	.set _ZN7rocprim17ROCPRIM_400000_NS6detail17trampoline_kernelINS0_14default_configENS1_25partition_config_selectorILNS1_17partition_subalgoE6EfNS0_10empty_typeEbEEZZNS1_14partition_implILS5_6ELb0ES3_mN6thrust23THRUST_200600_302600_NS6detail15normal_iteratorINSA_10device_ptrIfEEEEPS6_SG_NS0_5tupleIJSF_S6_EEENSH_IJSG_SG_EEES6_PlJNSB_9not_fun_tI7is_evenIfEEEEEE10hipError_tPvRmT3_T4_T5_T6_T7_T9_mT8_P12ihipStream_tbDpT10_ENKUlT_T0_E_clISt17integral_constantIbLb0EES17_IbLb1EEEEDaS13_S14_EUlS13_E_NS1_11comp_targetILNS1_3genE8ELNS1_11target_archE1030ELNS1_3gpuE2ELNS1_3repE0EEENS1_30default_config_static_selectorELNS0_4arch9wavefront6targetE0EEEvT1_.num_agpr, 0
	.set _ZN7rocprim17ROCPRIM_400000_NS6detail17trampoline_kernelINS0_14default_configENS1_25partition_config_selectorILNS1_17partition_subalgoE6EfNS0_10empty_typeEbEEZZNS1_14partition_implILS5_6ELb0ES3_mN6thrust23THRUST_200600_302600_NS6detail15normal_iteratorINSA_10device_ptrIfEEEEPS6_SG_NS0_5tupleIJSF_S6_EEENSH_IJSG_SG_EEES6_PlJNSB_9not_fun_tI7is_evenIfEEEEEE10hipError_tPvRmT3_T4_T5_T6_T7_T9_mT8_P12ihipStream_tbDpT10_ENKUlT_T0_E_clISt17integral_constantIbLb0EES17_IbLb1EEEEDaS13_S14_EUlS13_E_NS1_11comp_targetILNS1_3genE8ELNS1_11target_archE1030ELNS1_3gpuE2ELNS1_3repE0EEENS1_30default_config_static_selectorELNS0_4arch9wavefront6targetE0EEEvT1_.numbered_sgpr, 0
	.set _ZN7rocprim17ROCPRIM_400000_NS6detail17trampoline_kernelINS0_14default_configENS1_25partition_config_selectorILNS1_17partition_subalgoE6EfNS0_10empty_typeEbEEZZNS1_14partition_implILS5_6ELb0ES3_mN6thrust23THRUST_200600_302600_NS6detail15normal_iteratorINSA_10device_ptrIfEEEEPS6_SG_NS0_5tupleIJSF_S6_EEENSH_IJSG_SG_EEES6_PlJNSB_9not_fun_tI7is_evenIfEEEEEE10hipError_tPvRmT3_T4_T5_T6_T7_T9_mT8_P12ihipStream_tbDpT10_ENKUlT_T0_E_clISt17integral_constantIbLb0EES17_IbLb1EEEEDaS13_S14_EUlS13_E_NS1_11comp_targetILNS1_3genE8ELNS1_11target_archE1030ELNS1_3gpuE2ELNS1_3repE0EEENS1_30default_config_static_selectorELNS0_4arch9wavefront6targetE0EEEvT1_.num_named_barrier, 0
	.set _ZN7rocprim17ROCPRIM_400000_NS6detail17trampoline_kernelINS0_14default_configENS1_25partition_config_selectorILNS1_17partition_subalgoE6EfNS0_10empty_typeEbEEZZNS1_14partition_implILS5_6ELb0ES3_mN6thrust23THRUST_200600_302600_NS6detail15normal_iteratorINSA_10device_ptrIfEEEEPS6_SG_NS0_5tupleIJSF_S6_EEENSH_IJSG_SG_EEES6_PlJNSB_9not_fun_tI7is_evenIfEEEEEE10hipError_tPvRmT3_T4_T5_T6_T7_T9_mT8_P12ihipStream_tbDpT10_ENKUlT_T0_E_clISt17integral_constantIbLb0EES17_IbLb1EEEEDaS13_S14_EUlS13_E_NS1_11comp_targetILNS1_3genE8ELNS1_11target_archE1030ELNS1_3gpuE2ELNS1_3repE0EEENS1_30default_config_static_selectorELNS0_4arch9wavefront6targetE0EEEvT1_.private_seg_size, 0
	.set _ZN7rocprim17ROCPRIM_400000_NS6detail17trampoline_kernelINS0_14default_configENS1_25partition_config_selectorILNS1_17partition_subalgoE6EfNS0_10empty_typeEbEEZZNS1_14partition_implILS5_6ELb0ES3_mN6thrust23THRUST_200600_302600_NS6detail15normal_iteratorINSA_10device_ptrIfEEEEPS6_SG_NS0_5tupleIJSF_S6_EEENSH_IJSG_SG_EEES6_PlJNSB_9not_fun_tI7is_evenIfEEEEEE10hipError_tPvRmT3_T4_T5_T6_T7_T9_mT8_P12ihipStream_tbDpT10_ENKUlT_T0_E_clISt17integral_constantIbLb0EES17_IbLb1EEEEDaS13_S14_EUlS13_E_NS1_11comp_targetILNS1_3genE8ELNS1_11target_archE1030ELNS1_3gpuE2ELNS1_3repE0EEENS1_30default_config_static_selectorELNS0_4arch9wavefront6targetE0EEEvT1_.uses_vcc, 0
	.set _ZN7rocprim17ROCPRIM_400000_NS6detail17trampoline_kernelINS0_14default_configENS1_25partition_config_selectorILNS1_17partition_subalgoE6EfNS0_10empty_typeEbEEZZNS1_14partition_implILS5_6ELb0ES3_mN6thrust23THRUST_200600_302600_NS6detail15normal_iteratorINSA_10device_ptrIfEEEEPS6_SG_NS0_5tupleIJSF_S6_EEENSH_IJSG_SG_EEES6_PlJNSB_9not_fun_tI7is_evenIfEEEEEE10hipError_tPvRmT3_T4_T5_T6_T7_T9_mT8_P12ihipStream_tbDpT10_ENKUlT_T0_E_clISt17integral_constantIbLb0EES17_IbLb1EEEEDaS13_S14_EUlS13_E_NS1_11comp_targetILNS1_3genE8ELNS1_11target_archE1030ELNS1_3gpuE2ELNS1_3repE0EEENS1_30default_config_static_selectorELNS0_4arch9wavefront6targetE0EEEvT1_.uses_flat_scratch, 0
	.set _ZN7rocprim17ROCPRIM_400000_NS6detail17trampoline_kernelINS0_14default_configENS1_25partition_config_selectorILNS1_17partition_subalgoE6EfNS0_10empty_typeEbEEZZNS1_14partition_implILS5_6ELb0ES3_mN6thrust23THRUST_200600_302600_NS6detail15normal_iteratorINSA_10device_ptrIfEEEEPS6_SG_NS0_5tupleIJSF_S6_EEENSH_IJSG_SG_EEES6_PlJNSB_9not_fun_tI7is_evenIfEEEEEE10hipError_tPvRmT3_T4_T5_T6_T7_T9_mT8_P12ihipStream_tbDpT10_ENKUlT_T0_E_clISt17integral_constantIbLb0EES17_IbLb1EEEEDaS13_S14_EUlS13_E_NS1_11comp_targetILNS1_3genE8ELNS1_11target_archE1030ELNS1_3gpuE2ELNS1_3repE0EEENS1_30default_config_static_selectorELNS0_4arch9wavefront6targetE0EEEvT1_.has_dyn_sized_stack, 0
	.set _ZN7rocprim17ROCPRIM_400000_NS6detail17trampoline_kernelINS0_14default_configENS1_25partition_config_selectorILNS1_17partition_subalgoE6EfNS0_10empty_typeEbEEZZNS1_14partition_implILS5_6ELb0ES3_mN6thrust23THRUST_200600_302600_NS6detail15normal_iteratorINSA_10device_ptrIfEEEEPS6_SG_NS0_5tupleIJSF_S6_EEENSH_IJSG_SG_EEES6_PlJNSB_9not_fun_tI7is_evenIfEEEEEE10hipError_tPvRmT3_T4_T5_T6_T7_T9_mT8_P12ihipStream_tbDpT10_ENKUlT_T0_E_clISt17integral_constantIbLb0EES17_IbLb1EEEEDaS13_S14_EUlS13_E_NS1_11comp_targetILNS1_3genE8ELNS1_11target_archE1030ELNS1_3gpuE2ELNS1_3repE0EEENS1_30default_config_static_selectorELNS0_4arch9wavefront6targetE0EEEvT1_.has_recursion, 0
	.set _ZN7rocprim17ROCPRIM_400000_NS6detail17trampoline_kernelINS0_14default_configENS1_25partition_config_selectorILNS1_17partition_subalgoE6EfNS0_10empty_typeEbEEZZNS1_14partition_implILS5_6ELb0ES3_mN6thrust23THRUST_200600_302600_NS6detail15normal_iteratorINSA_10device_ptrIfEEEEPS6_SG_NS0_5tupleIJSF_S6_EEENSH_IJSG_SG_EEES6_PlJNSB_9not_fun_tI7is_evenIfEEEEEE10hipError_tPvRmT3_T4_T5_T6_T7_T9_mT8_P12ihipStream_tbDpT10_ENKUlT_T0_E_clISt17integral_constantIbLb0EES17_IbLb1EEEEDaS13_S14_EUlS13_E_NS1_11comp_targetILNS1_3genE8ELNS1_11target_archE1030ELNS1_3gpuE2ELNS1_3repE0EEENS1_30default_config_static_selectorELNS0_4arch9wavefront6targetE0EEEvT1_.has_indirect_call, 0
	.section	.AMDGPU.csdata,"",@progbits
; Kernel info:
; codeLenInByte = 0
; TotalNumSgprs: 0
; NumVgprs: 0
; ScratchSize: 0
; MemoryBound: 0
; FloatMode: 240
; IeeeMode: 1
; LDSByteSize: 0 bytes/workgroup (compile time only)
; SGPRBlocks: 0
; VGPRBlocks: 0
; NumSGPRsForWavesPerEU: 1
; NumVGPRsForWavesPerEU: 1
; Occupancy: 16
; WaveLimiterHint : 0
; COMPUTE_PGM_RSRC2:SCRATCH_EN: 0
; COMPUTE_PGM_RSRC2:USER_SGPR: 2
; COMPUTE_PGM_RSRC2:TRAP_HANDLER: 0
; COMPUTE_PGM_RSRC2:TGID_X_EN: 1
; COMPUTE_PGM_RSRC2:TGID_Y_EN: 0
; COMPUTE_PGM_RSRC2:TGID_Z_EN: 0
; COMPUTE_PGM_RSRC2:TIDIG_COMP_CNT: 0
	.section	.text._ZN7rocprim17ROCPRIM_400000_NS6detail17trampoline_kernelINS0_14default_configENS1_25partition_config_selectorILNS1_17partition_subalgoE6EyNS0_10empty_typeEbEEZZNS1_14partition_implILS5_6ELb0ES3_mN6thrust23THRUST_200600_302600_NS6detail15normal_iteratorINSA_10device_ptrIyEEEEPS6_SG_NS0_5tupleIJSF_S6_EEENSH_IJSG_SG_EEES6_PlJNSB_9not_fun_tI7is_evenIyEEEEEE10hipError_tPvRmT3_T4_T5_T6_T7_T9_mT8_P12ihipStream_tbDpT10_ENKUlT_T0_E_clISt17integral_constantIbLb0EES18_EEDaS13_S14_EUlS13_E_NS1_11comp_targetILNS1_3genE0ELNS1_11target_archE4294967295ELNS1_3gpuE0ELNS1_3repE0EEENS1_30default_config_static_selectorELNS0_4arch9wavefront6targetE0EEEvT1_,"axG",@progbits,_ZN7rocprim17ROCPRIM_400000_NS6detail17trampoline_kernelINS0_14default_configENS1_25partition_config_selectorILNS1_17partition_subalgoE6EyNS0_10empty_typeEbEEZZNS1_14partition_implILS5_6ELb0ES3_mN6thrust23THRUST_200600_302600_NS6detail15normal_iteratorINSA_10device_ptrIyEEEEPS6_SG_NS0_5tupleIJSF_S6_EEENSH_IJSG_SG_EEES6_PlJNSB_9not_fun_tI7is_evenIyEEEEEE10hipError_tPvRmT3_T4_T5_T6_T7_T9_mT8_P12ihipStream_tbDpT10_ENKUlT_T0_E_clISt17integral_constantIbLb0EES18_EEDaS13_S14_EUlS13_E_NS1_11comp_targetILNS1_3genE0ELNS1_11target_archE4294967295ELNS1_3gpuE0ELNS1_3repE0EEENS1_30default_config_static_selectorELNS0_4arch9wavefront6targetE0EEEvT1_,comdat
	.protected	_ZN7rocprim17ROCPRIM_400000_NS6detail17trampoline_kernelINS0_14default_configENS1_25partition_config_selectorILNS1_17partition_subalgoE6EyNS0_10empty_typeEbEEZZNS1_14partition_implILS5_6ELb0ES3_mN6thrust23THRUST_200600_302600_NS6detail15normal_iteratorINSA_10device_ptrIyEEEEPS6_SG_NS0_5tupleIJSF_S6_EEENSH_IJSG_SG_EEES6_PlJNSB_9not_fun_tI7is_evenIyEEEEEE10hipError_tPvRmT3_T4_T5_T6_T7_T9_mT8_P12ihipStream_tbDpT10_ENKUlT_T0_E_clISt17integral_constantIbLb0EES18_EEDaS13_S14_EUlS13_E_NS1_11comp_targetILNS1_3genE0ELNS1_11target_archE4294967295ELNS1_3gpuE0ELNS1_3repE0EEENS1_30default_config_static_selectorELNS0_4arch9wavefront6targetE0EEEvT1_ ; -- Begin function _ZN7rocprim17ROCPRIM_400000_NS6detail17trampoline_kernelINS0_14default_configENS1_25partition_config_selectorILNS1_17partition_subalgoE6EyNS0_10empty_typeEbEEZZNS1_14partition_implILS5_6ELb0ES3_mN6thrust23THRUST_200600_302600_NS6detail15normal_iteratorINSA_10device_ptrIyEEEEPS6_SG_NS0_5tupleIJSF_S6_EEENSH_IJSG_SG_EEES6_PlJNSB_9not_fun_tI7is_evenIyEEEEEE10hipError_tPvRmT3_T4_T5_T6_T7_T9_mT8_P12ihipStream_tbDpT10_ENKUlT_T0_E_clISt17integral_constantIbLb0EES18_EEDaS13_S14_EUlS13_E_NS1_11comp_targetILNS1_3genE0ELNS1_11target_archE4294967295ELNS1_3gpuE0ELNS1_3repE0EEENS1_30default_config_static_selectorELNS0_4arch9wavefront6targetE0EEEvT1_
	.globl	_ZN7rocprim17ROCPRIM_400000_NS6detail17trampoline_kernelINS0_14default_configENS1_25partition_config_selectorILNS1_17partition_subalgoE6EyNS0_10empty_typeEbEEZZNS1_14partition_implILS5_6ELb0ES3_mN6thrust23THRUST_200600_302600_NS6detail15normal_iteratorINSA_10device_ptrIyEEEEPS6_SG_NS0_5tupleIJSF_S6_EEENSH_IJSG_SG_EEES6_PlJNSB_9not_fun_tI7is_evenIyEEEEEE10hipError_tPvRmT3_T4_T5_T6_T7_T9_mT8_P12ihipStream_tbDpT10_ENKUlT_T0_E_clISt17integral_constantIbLb0EES18_EEDaS13_S14_EUlS13_E_NS1_11comp_targetILNS1_3genE0ELNS1_11target_archE4294967295ELNS1_3gpuE0ELNS1_3repE0EEENS1_30default_config_static_selectorELNS0_4arch9wavefront6targetE0EEEvT1_
	.p2align	8
	.type	_ZN7rocprim17ROCPRIM_400000_NS6detail17trampoline_kernelINS0_14default_configENS1_25partition_config_selectorILNS1_17partition_subalgoE6EyNS0_10empty_typeEbEEZZNS1_14partition_implILS5_6ELb0ES3_mN6thrust23THRUST_200600_302600_NS6detail15normal_iteratorINSA_10device_ptrIyEEEEPS6_SG_NS0_5tupleIJSF_S6_EEENSH_IJSG_SG_EEES6_PlJNSB_9not_fun_tI7is_evenIyEEEEEE10hipError_tPvRmT3_T4_T5_T6_T7_T9_mT8_P12ihipStream_tbDpT10_ENKUlT_T0_E_clISt17integral_constantIbLb0EES18_EEDaS13_S14_EUlS13_E_NS1_11comp_targetILNS1_3genE0ELNS1_11target_archE4294967295ELNS1_3gpuE0ELNS1_3repE0EEENS1_30default_config_static_selectorELNS0_4arch9wavefront6targetE0EEEvT1_,@function
_ZN7rocprim17ROCPRIM_400000_NS6detail17trampoline_kernelINS0_14default_configENS1_25partition_config_selectorILNS1_17partition_subalgoE6EyNS0_10empty_typeEbEEZZNS1_14partition_implILS5_6ELb0ES3_mN6thrust23THRUST_200600_302600_NS6detail15normal_iteratorINSA_10device_ptrIyEEEEPS6_SG_NS0_5tupleIJSF_S6_EEENSH_IJSG_SG_EEES6_PlJNSB_9not_fun_tI7is_evenIyEEEEEE10hipError_tPvRmT3_T4_T5_T6_T7_T9_mT8_P12ihipStream_tbDpT10_ENKUlT_T0_E_clISt17integral_constantIbLb0EES18_EEDaS13_S14_EUlS13_E_NS1_11comp_targetILNS1_3genE0ELNS1_11target_archE4294967295ELNS1_3gpuE0ELNS1_3repE0EEENS1_30default_config_static_selectorELNS0_4arch9wavefront6targetE0EEEvT1_: ; @_ZN7rocprim17ROCPRIM_400000_NS6detail17trampoline_kernelINS0_14default_configENS1_25partition_config_selectorILNS1_17partition_subalgoE6EyNS0_10empty_typeEbEEZZNS1_14partition_implILS5_6ELb0ES3_mN6thrust23THRUST_200600_302600_NS6detail15normal_iteratorINSA_10device_ptrIyEEEEPS6_SG_NS0_5tupleIJSF_S6_EEENSH_IJSG_SG_EEES6_PlJNSB_9not_fun_tI7is_evenIyEEEEEE10hipError_tPvRmT3_T4_T5_T6_T7_T9_mT8_P12ihipStream_tbDpT10_ENKUlT_T0_E_clISt17integral_constantIbLb0EES18_EEDaS13_S14_EUlS13_E_NS1_11comp_targetILNS1_3genE0ELNS1_11target_archE4294967295ELNS1_3gpuE0ELNS1_3repE0EEENS1_30default_config_static_selectorELNS0_4arch9wavefront6targetE0EEEvT1_
; %bb.0:
	.section	.rodata,"a",@progbits
	.p2align	6, 0x0
	.amdhsa_kernel _ZN7rocprim17ROCPRIM_400000_NS6detail17trampoline_kernelINS0_14default_configENS1_25partition_config_selectorILNS1_17partition_subalgoE6EyNS0_10empty_typeEbEEZZNS1_14partition_implILS5_6ELb0ES3_mN6thrust23THRUST_200600_302600_NS6detail15normal_iteratorINSA_10device_ptrIyEEEEPS6_SG_NS0_5tupleIJSF_S6_EEENSH_IJSG_SG_EEES6_PlJNSB_9not_fun_tI7is_evenIyEEEEEE10hipError_tPvRmT3_T4_T5_T6_T7_T9_mT8_P12ihipStream_tbDpT10_ENKUlT_T0_E_clISt17integral_constantIbLb0EES18_EEDaS13_S14_EUlS13_E_NS1_11comp_targetILNS1_3genE0ELNS1_11target_archE4294967295ELNS1_3gpuE0ELNS1_3repE0EEENS1_30default_config_static_selectorELNS0_4arch9wavefront6targetE0EEEvT1_
		.amdhsa_group_segment_fixed_size 0
		.amdhsa_private_segment_fixed_size 0
		.amdhsa_kernarg_size 112
		.amdhsa_user_sgpr_count 2
		.amdhsa_user_sgpr_dispatch_ptr 0
		.amdhsa_user_sgpr_queue_ptr 0
		.amdhsa_user_sgpr_kernarg_segment_ptr 1
		.amdhsa_user_sgpr_dispatch_id 0
		.amdhsa_user_sgpr_private_segment_size 0
		.amdhsa_wavefront_size32 1
		.amdhsa_uses_dynamic_stack 0
		.amdhsa_enable_private_segment 0
		.amdhsa_system_sgpr_workgroup_id_x 1
		.amdhsa_system_sgpr_workgroup_id_y 0
		.amdhsa_system_sgpr_workgroup_id_z 0
		.amdhsa_system_sgpr_workgroup_info 0
		.amdhsa_system_vgpr_workitem_id 0
		.amdhsa_next_free_vgpr 1
		.amdhsa_next_free_sgpr 1
		.amdhsa_reserve_vcc 0
		.amdhsa_float_round_mode_32 0
		.amdhsa_float_round_mode_16_64 0
		.amdhsa_float_denorm_mode_32 3
		.amdhsa_float_denorm_mode_16_64 3
		.amdhsa_fp16_overflow 0
		.amdhsa_workgroup_processor_mode 1
		.amdhsa_memory_ordered 1
		.amdhsa_forward_progress 1
		.amdhsa_inst_pref_size 0
		.amdhsa_round_robin_scheduling 0
		.amdhsa_exception_fp_ieee_invalid_op 0
		.amdhsa_exception_fp_denorm_src 0
		.amdhsa_exception_fp_ieee_div_zero 0
		.amdhsa_exception_fp_ieee_overflow 0
		.amdhsa_exception_fp_ieee_underflow 0
		.amdhsa_exception_fp_ieee_inexact 0
		.amdhsa_exception_int_div_zero 0
	.end_amdhsa_kernel
	.section	.text._ZN7rocprim17ROCPRIM_400000_NS6detail17trampoline_kernelINS0_14default_configENS1_25partition_config_selectorILNS1_17partition_subalgoE6EyNS0_10empty_typeEbEEZZNS1_14partition_implILS5_6ELb0ES3_mN6thrust23THRUST_200600_302600_NS6detail15normal_iteratorINSA_10device_ptrIyEEEEPS6_SG_NS0_5tupleIJSF_S6_EEENSH_IJSG_SG_EEES6_PlJNSB_9not_fun_tI7is_evenIyEEEEEE10hipError_tPvRmT3_T4_T5_T6_T7_T9_mT8_P12ihipStream_tbDpT10_ENKUlT_T0_E_clISt17integral_constantIbLb0EES18_EEDaS13_S14_EUlS13_E_NS1_11comp_targetILNS1_3genE0ELNS1_11target_archE4294967295ELNS1_3gpuE0ELNS1_3repE0EEENS1_30default_config_static_selectorELNS0_4arch9wavefront6targetE0EEEvT1_,"axG",@progbits,_ZN7rocprim17ROCPRIM_400000_NS6detail17trampoline_kernelINS0_14default_configENS1_25partition_config_selectorILNS1_17partition_subalgoE6EyNS0_10empty_typeEbEEZZNS1_14partition_implILS5_6ELb0ES3_mN6thrust23THRUST_200600_302600_NS6detail15normal_iteratorINSA_10device_ptrIyEEEEPS6_SG_NS0_5tupleIJSF_S6_EEENSH_IJSG_SG_EEES6_PlJNSB_9not_fun_tI7is_evenIyEEEEEE10hipError_tPvRmT3_T4_T5_T6_T7_T9_mT8_P12ihipStream_tbDpT10_ENKUlT_T0_E_clISt17integral_constantIbLb0EES18_EEDaS13_S14_EUlS13_E_NS1_11comp_targetILNS1_3genE0ELNS1_11target_archE4294967295ELNS1_3gpuE0ELNS1_3repE0EEENS1_30default_config_static_selectorELNS0_4arch9wavefront6targetE0EEEvT1_,comdat
.Lfunc_end597:
	.size	_ZN7rocprim17ROCPRIM_400000_NS6detail17trampoline_kernelINS0_14default_configENS1_25partition_config_selectorILNS1_17partition_subalgoE6EyNS0_10empty_typeEbEEZZNS1_14partition_implILS5_6ELb0ES3_mN6thrust23THRUST_200600_302600_NS6detail15normal_iteratorINSA_10device_ptrIyEEEEPS6_SG_NS0_5tupleIJSF_S6_EEENSH_IJSG_SG_EEES6_PlJNSB_9not_fun_tI7is_evenIyEEEEEE10hipError_tPvRmT3_T4_T5_T6_T7_T9_mT8_P12ihipStream_tbDpT10_ENKUlT_T0_E_clISt17integral_constantIbLb0EES18_EEDaS13_S14_EUlS13_E_NS1_11comp_targetILNS1_3genE0ELNS1_11target_archE4294967295ELNS1_3gpuE0ELNS1_3repE0EEENS1_30default_config_static_selectorELNS0_4arch9wavefront6targetE0EEEvT1_, .Lfunc_end597-_ZN7rocprim17ROCPRIM_400000_NS6detail17trampoline_kernelINS0_14default_configENS1_25partition_config_selectorILNS1_17partition_subalgoE6EyNS0_10empty_typeEbEEZZNS1_14partition_implILS5_6ELb0ES3_mN6thrust23THRUST_200600_302600_NS6detail15normal_iteratorINSA_10device_ptrIyEEEEPS6_SG_NS0_5tupleIJSF_S6_EEENSH_IJSG_SG_EEES6_PlJNSB_9not_fun_tI7is_evenIyEEEEEE10hipError_tPvRmT3_T4_T5_T6_T7_T9_mT8_P12ihipStream_tbDpT10_ENKUlT_T0_E_clISt17integral_constantIbLb0EES18_EEDaS13_S14_EUlS13_E_NS1_11comp_targetILNS1_3genE0ELNS1_11target_archE4294967295ELNS1_3gpuE0ELNS1_3repE0EEENS1_30default_config_static_selectorELNS0_4arch9wavefront6targetE0EEEvT1_
                                        ; -- End function
	.set _ZN7rocprim17ROCPRIM_400000_NS6detail17trampoline_kernelINS0_14default_configENS1_25partition_config_selectorILNS1_17partition_subalgoE6EyNS0_10empty_typeEbEEZZNS1_14partition_implILS5_6ELb0ES3_mN6thrust23THRUST_200600_302600_NS6detail15normal_iteratorINSA_10device_ptrIyEEEEPS6_SG_NS0_5tupleIJSF_S6_EEENSH_IJSG_SG_EEES6_PlJNSB_9not_fun_tI7is_evenIyEEEEEE10hipError_tPvRmT3_T4_T5_T6_T7_T9_mT8_P12ihipStream_tbDpT10_ENKUlT_T0_E_clISt17integral_constantIbLb0EES18_EEDaS13_S14_EUlS13_E_NS1_11comp_targetILNS1_3genE0ELNS1_11target_archE4294967295ELNS1_3gpuE0ELNS1_3repE0EEENS1_30default_config_static_selectorELNS0_4arch9wavefront6targetE0EEEvT1_.num_vgpr, 0
	.set _ZN7rocprim17ROCPRIM_400000_NS6detail17trampoline_kernelINS0_14default_configENS1_25partition_config_selectorILNS1_17partition_subalgoE6EyNS0_10empty_typeEbEEZZNS1_14partition_implILS5_6ELb0ES3_mN6thrust23THRUST_200600_302600_NS6detail15normal_iteratorINSA_10device_ptrIyEEEEPS6_SG_NS0_5tupleIJSF_S6_EEENSH_IJSG_SG_EEES6_PlJNSB_9not_fun_tI7is_evenIyEEEEEE10hipError_tPvRmT3_T4_T5_T6_T7_T9_mT8_P12ihipStream_tbDpT10_ENKUlT_T0_E_clISt17integral_constantIbLb0EES18_EEDaS13_S14_EUlS13_E_NS1_11comp_targetILNS1_3genE0ELNS1_11target_archE4294967295ELNS1_3gpuE0ELNS1_3repE0EEENS1_30default_config_static_selectorELNS0_4arch9wavefront6targetE0EEEvT1_.num_agpr, 0
	.set _ZN7rocprim17ROCPRIM_400000_NS6detail17trampoline_kernelINS0_14default_configENS1_25partition_config_selectorILNS1_17partition_subalgoE6EyNS0_10empty_typeEbEEZZNS1_14partition_implILS5_6ELb0ES3_mN6thrust23THRUST_200600_302600_NS6detail15normal_iteratorINSA_10device_ptrIyEEEEPS6_SG_NS0_5tupleIJSF_S6_EEENSH_IJSG_SG_EEES6_PlJNSB_9not_fun_tI7is_evenIyEEEEEE10hipError_tPvRmT3_T4_T5_T6_T7_T9_mT8_P12ihipStream_tbDpT10_ENKUlT_T0_E_clISt17integral_constantIbLb0EES18_EEDaS13_S14_EUlS13_E_NS1_11comp_targetILNS1_3genE0ELNS1_11target_archE4294967295ELNS1_3gpuE0ELNS1_3repE0EEENS1_30default_config_static_selectorELNS0_4arch9wavefront6targetE0EEEvT1_.numbered_sgpr, 0
	.set _ZN7rocprim17ROCPRIM_400000_NS6detail17trampoline_kernelINS0_14default_configENS1_25partition_config_selectorILNS1_17partition_subalgoE6EyNS0_10empty_typeEbEEZZNS1_14partition_implILS5_6ELb0ES3_mN6thrust23THRUST_200600_302600_NS6detail15normal_iteratorINSA_10device_ptrIyEEEEPS6_SG_NS0_5tupleIJSF_S6_EEENSH_IJSG_SG_EEES6_PlJNSB_9not_fun_tI7is_evenIyEEEEEE10hipError_tPvRmT3_T4_T5_T6_T7_T9_mT8_P12ihipStream_tbDpT10_ENKUlT_T0_E_clISt17integral_constantIbLb0EES18_EEDaS13_S14_EUlS13_E_NS1_11comp_targetILNS1_3genE0ELNS1_11target_archE4294967295ELNS1_3gpuE0ELNS1_3repE0EEENS1_30default_config_static_selectorELNS0_4arch9wavefront6targetE0EEEvT1_.num_named_barrier, 0
	.set _ZN7rocprim17ROCPRIM_400000_NS6detail17trampoline_kernelINS0_14default_configENS1_25partition_config_selectorILNS1_17partition_subalgoE6EyNS0_10empty_typeEbEEZZNS1_14partition_implILS5_6ELb0ES3_mN6thrust23THRUST_200600_302600_NS6detail15normal_iteratorINSA_10device_ptrIyEEEEPS6_SG_NS0_5tupleIJSF_S6_EEENSH_IJSG_SG_EEES6_PlJNSB_9not_fun_tI7is_evenIyEEEEEE10hipError_tPvRmT3_T4_T5_T6_T7_T9_mT8_P12ihipStream_tbDpT10_ENKUlT_T0_E_clISt17integral_constantIbLb0EES18_EEDaS13_S14_EUlS13_E_NS1_11comp_targetILNS1_3genE0ELNS1_11target_archE4294967295ELNS1_3gpuE0ELNS1_3repE0EEENS1_30default_config_static_selectorELNS0_4arch9wavefront6targetE0EEEvT1_.private_seg_size, 0
	.set _ZN7rocprim17ROCPRIM_400000_NS6detail17trampoline_kernelINS0_14default_configENS1_25partition_config_selectorILNS1_17partition_subalgoE6EyNS0_10empty_typeEbEEZZNS1_14partition_implILS5_6ELb0ES3_mN6thrust23THRUST_200600_302600_NS6detail15normal_iteratorINSA_10device_ptrIyEEEEPS6_SG_NS0_5tupleIJSF_S6_EEENSH_IJSG_SG_EEES6_PlJNSB_9not_fun_tI7is_evenIyEEEEEE10hipError_tPvRmT3_T4_T5_T6_T7_T9_mT8_P12ihipStream_tbDpT10_ENKUlT_T0_E_clISt17integral_constantIbLb0EES18_EEDaS13_S14_EUlS13_E_NS1_11comp_targetILNS1_3genE0ELNS1_11target_archE4294967295ELNS1_3gpuE0ELNS1_3repE0EEENS1_30default_config_static_selectorELNS0_4arch9wavefront6targetE0EEEvT1_.uses_vcc, 0
	.set _ZN7rocprim17ROCPRIM_400000_NS6detail17trampoline_kernelINS0_14default_configENS1_25partition_config_selectorILNS1_17partition_subalgoE6EyNS0_10empty_typeEbEEZZNS1_14partition_implILS5_6ELb0ES3_mN6thrust23THRUST_200600_302600_NS6detail15normal_iteratorINSA_10device_ptrIyEEEEPS6_SG_NS0_5tupleIJSF_S6_EEENSH_IJSG_SG_EEES6_PlJNSB_9not_fun_tI7is_evenIyEEEEEE10hipError_tPvRmT3_T4_T5_T6_T7_T9_mT8_P12ihipStream_tbDpT10_ENKUlT_T0_E_clISt17integral_constantIbLb0EES18_EEDaS13_S14_EUlS13_E_NS1_11comp_targetILNS1_3genE0ELNS1_11target_archE4294967295ELNS1_3gpuE0ELNS1_3repE0EEENS1_30default_config_static_selectorELNS0_4arch9wavefront6targetE0EEEvT1_.uses_flat_scratch, 0
	.set _ZN7rocprim17ROCPRIM_400000_NS6detail17trampoline_kernelINS0_14default_configENS1_25partition_config_selectorILNS1_17partition_subalgoE6EyNS0_10empty_typeEbEEZZNS1_14partition_implILS5_6ELb0ES3_mN6thrust23THRUST_200600_302600_NS6detail15normal_iteratorINSA_10device_ptrIyEEEEPS6_SG_NS0_5tupleIJSF_S6_EEENSH_IJSG_SG_EEES6_PlJNSB_9not_fun_tI7is_evenIyEEEEEE10hipError_tPvRmT3_T4_T5_T6_T7_T9_mT8_P12ihipStream_tbDpT10_ENKUlT_T0_E_clISt17integral_constantIbLb0EES18_EEDaS13_S14_EUlS13_E_NS1_11comp_targetILNS1_3genE0ELNS1_11target_archE4294967295ELNS1_3gpuE0ELNS1_3repE0EEENS1_30default_config_static_selectorELNS0_4arch9wavefront6targetE0EEEvT1_.has_dyn_sized_stack, 0
	.set _ZN7rocprim17ROCPRIM_400000_NS6detail17trampoline_kernelINS0_14default_configENS1_25partition_config_selectorILNS1_17partition_subalgoE6EyNS0_10empty_typeEbEEZZNS1_14partition_implILS5_6ELb0ES3_mN6thrust23THRUST_200600_302600_NS6detail15normal_iteratorINSA_10device_ptrIyEEEEPS6_SG_NS0_5tupleIJSF_S6_EEENSH_IJSG_SG_EEES6_PlJNSB_9not_fun_tI7is_evenIyEEEEEE10hipError_tPvRmT3_T4_T5_T6_T7_T9_mT8_P12ihipStream_tbDpT10_ENKUlT_T0_E_clISt17integral_constantIbLb0EES18_EEDaS13_S14_EUlS13_E_NS1_11comp_targetILNS1_3genE0ELNS1_11target_archE4294967295ELNS1_3gpuE0ELNS1_3repE0EEENS1_30default_config_static_selectorELNS0_4arch9wavefront6targetE0EEEvT1_.has_recursion, 0
	.set _ZN7rocprim17ROCPRIM_400000_NS6detail17trampoline_kernelINS0_14default_configENS1_25partition_config_selectorILNS1_17partition_subalgoE6EyNS0_10empty_typeEbEEZZNS1_14partition_implILS5_6ELb0ES3_mN6thrust23THRUST_200600_302600_NS6detail15normal_iteratorINSA_10device_ptrIyEEEEPS6_SG_NS0_5tupleIJSF_S6_EEENSH_IJSG_SG_EEES6_PlJNSB_9not_fun_tI7is_evenIyEEEEEE10hipError_tPvRmT3_T4_T5_T6_T7_T9_mT8_P12ihipStream_tbDpT10_ENKUlT_T0_E_clISt17integral_constantIbLb0EES18_EEDaS13_S14_EUlS13_E_NS1_11comp_targetILNS1_3genE0ELNS1_11target_archE4294967295ELNS1_3gpuE0ELNS1_3repE0EEENS1_30default_config_static_selectorELNS0_4arch9wavefront6targetE0EEEvT1_.has_indirect_call, 0
	.section	.AMDGPU.csdata,"",@progbits
; Kernel info:
; codeLenInByte = 0
; TotalNumSgprs: 0
; NumVgprs: 0
; ScratchSize: 0
; MemoryBound: 0
; FloatMode: 240
; IeeeMode: 1
; LDSByteSize: 0 bytes/workgroup (compile time only)
; SGPRBlocks: 0
; VGPRBlocks: 0
; NumSGPRsForWavesPerEU: 1
; NumVGPRsForWavesPerEU: 1
; Occupancy: 16
; WaveLimiterHint : 0
; COMPUTE_PGM_RSRC2:SCRATCH_EN: 0
; COMPUTE_PGM_RSRC2:USER_SGPR: 2
; COMPUTE_PGM_RSRC2:TRAP_HANDLER: 0
; COMPUTE_PGM_RSRC2:TGID_X_EN: 1
; COMPUTE_PGM_RSRC2:TGID_Y_EN: 0
; COMPUTE_PGM_RSRC2:TGID_Z_EN: 0
; COMPUTE_PGM_RSRC2:TIDIG_COMP_CNT: 0
	.section	.text._ZN7rocprim17ROCPRIM_400000_NS6detail17trampoline_kernelINS0_14default_configENS1_25partition_config_selectorILNS1_17partition_subalgoE6EyNS0_10empty_typeEbEEZZNS1_14partition_implILS5_6ELb0ES3_mN6thrust23THRUST_200600_302600_NS6detail15normal_iteratorINSA_10device_ptrIyEEEEPS6_SG_NS0_5tupleIJSF_S6_EEENSH_IJSG_SG_EEES6_PlJNSB_9not_fun_tI7is_evenIyEEEEEE10hipError_tPvRmT3_T4_T5_T6_T7_T9_mT8_P12ihipStream_tbDpT10_ENKUlT_T0_E_clISt17integral_constantIbLb0EES18_EEDaS13_S14_EUlS13_E_NS1_11comp_targetILNS1_3genE5ELNS1_11target_archE942ELNS1_3gpuE9ELNS1_3repE0EEENS1_30default_config_static_selectorELNS0_4arch9wavefront6targetE0EEEvT1_,"axG",@progbits,_ZN7rocprim17ROCPRIM_400000_NS6detail17trampoline_kernelINS0_14default_configENS1_25partition_config_selectorILNS1_17partition_subalgoE6EyNS0_10empty_typeEbEEZZNS1_14partition_implILS5_6ELb0ES3_mN6thrust23THRUST_200600_302600_NS6detail15normal_iteratorINSA_10device_ptrIyEEEEPS6_SG_NS0_5tupleIJSF_S6_EEENSH_IJSG_SG_EEES6_PlJNSB_9not_fun_tI7is_evenIyEEEEEE10hipError_tPvRmT3_T4_T5_T6_T7_T9_mT8_P12ihipStream_tbDpT10_ENKUlT_T0_E_clISt17integral_constantIbLb0EES18_EEDaS13_S14_EUlS13_E_NS1_11comp_targetILNS1_3genE5ELNS1_11target_archE942ELNS1_3gpuE9ELNS1_3repE0EEENS1_30default_config_static_selectorELNS0_4arch9wavefront6targetE0EEEvT1_,comdat
	.protected	_ZN7rocprim17ROCPRIM_400000_NS6detail17trampoline_kernelINS0_14default_configENS1_25partition_config_selectorILNS1_17partition_subalgoE6EyNS0_10empty_typeEbEEZZNS1_14partition_implILS5_6ELb0ES3_mN6thrust23THRUST_200600_302600_NS6detail15normal_iteratorINSA_10device_ptrIyEEEEPS6_SG_NS0_5tupleIJSF_S6_EEENSH_IJSG_SG_EEES6_PlJNSB_9not_fun_tI7is_evenIyEEEEEE10hipError_tPvRmT3_T4_T5_T6_T7_T9_mT8_P12ihipStream_tbDpT10_ENKUlT_T0_E_clISt17integral_constantIbLb0EES18_EEDaS13_S14_EUlS13_E_NS1_11comp_targetILNS1_3genE5ELNS1_11target_archE942ELNS1_3gpuE9ELNS1_3repE0EEENS1_30default_config_static_selectorELNS0_4arch9wavefront6targetE0EEEvT1_ ; -- Begin function _ZN7rocprim17ROCPRIM_400000_NS6detail17trampoline_kernelINS0_14default_configENS1_25partition_config_selectorILNS1_17partition_subalgoE6EyNS0_10empty_typeEbEEZZNS1_14partition_implILS5_6ELb0ES3_mN6thrust23THRUST_200600_302600_NS6detail15normal_iteratorINSA_10device_ptrIyEEEEPS6_SG_NS0_5tupleIJSF_S6_EEENSH_IJSG_SG_EEES6_PlJNSB_9not_fun_tI7is_evenIyEEEEEE10hipError_tPvRmT3_T4_T5_T6_T7_T9_mT8_P12ihipStream_tbDpT10_ENKUlT_T0_E_clISt17integral_constantIbLb0EES18_EEDaS13_S14_EUlS13_E_NS1_11comp_targetILNS1_3genE5ELNS1_11target_archE942ELNS1_3gpuE9ELNS1_3repE0EEENS1_30default_config_static_selectorELNS0_4arch9wavefront6targetE0EEEvT1_
	.globl	_ZN7rocprim17ROCPRIM_400000_NS6detail17trampoline_kernelINS0_14default_configENS1_25partition_config_selectorILNS1_17partition_subalgoE6EyNS0_10empty_typeEbEEZZNS1_14partition_implILS5_6ELb0ES3_mN6thrust23THRUST_200600_302600_NS6detail15normal_iteratorINSA_10device_ptrIyEEEEPS6_SG_NS0_5tupleIJSF_S6_EEENSH_IJSG_SG_EEES6_PlJNSB_9not_fun_tI7is_evenIyEEEEEE10hipError_tPvRmT3_T4_T5_T6_T7_T9_mT8_P12ihipStream_tbDpT10_ENKUlT_T0_E_clISt17integral_constantIbLb0EES18_EEDaS13_S14_EUlS13_E_NS1_11comp_targetILNS1_3genE5ELNS1_11target_archE942ELNS1_3gpuE9ELNS1_3repE0EEENS1_30default_config_static_selectorELNS0_4arch9wavefront6targetE0EEEvT1_
	.p2align	8
	.type	_ZN7rocprim17ROCPRIM_400000_NS6detail17trampoline_kernelINS0_14default_configENS1_25partition_config_selectorILNS1_17partition_subalgoE6EyNS0_10empty_typeEbEEZZNS1_14partition_implILS5_6ELb0ES3_mN6thrust23THRUST_200600_302600_NS6detail15normal_iteratorINSA_10device_ptrIyEEEEPS6_SG_NS0_5tupleIJSF_S6_EEENSH_IJSG_SG_EEES6_PlJNSB_9not_fun_tI7is_evenIyEEEEEE10hipError_tPvRmT3_T4_T5_T6_T7_T9_mT8_P12ihipStream_tbDpT10_ENKUlT_T0_E_clISt17integral_constantIbLb0EES18_EEDaS13_S14_EUlS13_E_NS1_11comp_targetILNS1_3genE5ELNS1_11target_archE942ELNS1_3gpuE9ELNS1_3repE0EEENS1_30default_config_static_selectorELNS0_4arch9wavefront6targetE0EEEvT1_,@function
_ZN7rocprim17ROCPRIM_400000_NS6detail17trampoline_kernelINS0_14default_configENS1_25partition_config_selectorILNS1_17partition_subalgoE6EyNS0_10empty_typeEbEEZZNS1_14partition_implILS5_6ELb0ES3_mN6thrust23THRUST_200600_302600_NS6detail15normal_iteratorINSA_10device_ptrIyEEEEPS6_SG_NS0_5tupleIJSF_S6_EEENSH_IJSG_SG_EEES6_PlJNSB_9not_fun_tI7is_evenIyEEEEEE10hipError_tPvRmT3_T4_T5_T6_T7_T9_mT8_P12ihipStream_tbDpT10_ENKUlT_T0_E_clISt17integral_constantIbLb0EES18_EEDaS13_S14_EUlS13_E_NS1_11comp_targetILNS1_3genE5ELNS1_11target_archE942ELNS1_3gpuE9ELNS1_3repE0EEENS1_30default_config_static_selectorELNS0_4arch9wavefront6targetE0EEEvT1_: ; @_ZN7rocprim17ROCPRIM_400000_NS6detail17trampoline_kernelINS0_14default_configENS1_25partition_config_selectorILNS1_17partition_subalgoE6EyNS0_10empty_typeEbEEZZNS1_14partition_implILS5_6ELb0ES3_mN6thrust23THRUST_200600_302600_NS6detail15normal_iteratorINSA_10device_ptrIyEEEEPS6_SG_NS0_5tupleIJSF_S6_EEENSH_IJSG_SG_EEES6_PlJNSB_9not_fun_tI7is_evenIyEEEEEE10hipError_tPvRmT3_T4_T5_T6_T7_T9_mT8_P12ihipStream_tbDpT10_ENKUlT_T0_E_clISt17integral_constantIbLb0EES18_EEDaS13_S14_EUlS13_E_NS1_11comp_targetILNS1_3genE5ELNS1_11target_archE942ELNS1_3gpuE9ELNS1_3repE0EEENS1_30default_config_static_selectorELNS0_4arch9wavefront6targetE0EEEvT1_
; %bb.0:
	.section	.rodata,"a",@progbits
	.p2align	6, 0x0
	.amdhsa_kernel _ZN7rocprim17ROCPRIM_400000_NS6detail17trampoline_kernelINS0_14default_configENS1_25partition_config_selectorILNS1_17partition_subalgoE6EyNS0_10empty_typeEbEEZZNS1_14partition_implILS5_6ELb0ES3_mN6thrust23THRUST_200600_302600_NS6detail15normal_iteratorINSA_10device_ptrIyEEEEPS6_SG_NS0_5tupleIJSF_S6_EEENSH_IJSG_SG_EEES6_PlJNSB_9not_fun_tI7is_evenIyEEEEEE10hipError_tPvRmT3_T4_T5_T6_T7_T9_mT8_P12ihipStream_tbDpT10_ENKUlT_T0_E_clISt17integral_constantIbLb0EES18_EEDaS13_S14_EUlS13_E_NS1_11comp_targetILNS1_3genE5ELNS1_11target_archE942ELNS1_3gpuE9ELNS1_3repE0EEENS1_30default_config_static_selectorELNS0_4arch9wavefront6targetE0EEEvT1_
		.amdhsa_group_segment_fixed_size 0
		.amdhsa_private_segment_fixed_size 0
		.amdhsa_kernarg_size 112
		.amdhsa_user_sgpr_count 2
		.amdhsa_user_sgpr_dispatch_ptr 0
		.amdhsa_user_sgpr_queue_ptr 0
		.amdhsa_user_sgpr_kernarg_segment_ptr 1
		.amdhsa_user_sgpr_dispatch_id 0
		.amdhsa_user_sgpr_private_segment_size 0
		.amdhsa_wavefront_size32 1
		.amdhsa_uses_dynamic_stack 0
		.amdhsa_enable_private_segment 0
		.amdhsa_system_sgpr_workgroup_id_x 1
		.amdhsa_system_sgpr_workgroup_id_y 0
		.amdhsa_system_sgpr_workgroup_id_z 0
		.amdhsa_system_sgpr_workgroup_info 0
		.amdhsa_system_vgpr_workitem_id 0
		.amdhsa_next_free_vgpr 1
		.amdhsa_next_free_sgpr 1
		.amdhsa_reserve_vcc 0
		.amdhsa_float_round_mode_32 0
		.amdhsa_float_round_mode_16_64 0
		.amdhsa_float_denorm_mode_32 3
		.amdhsa_float_denorm_mode_16_64 3
		.amdhsa_fp16_overflow 0
		.amdhsa_workgroup_processor_mode 1
		.amdhsa_memory_ordered 1
		.amdhsa_forward_progress 1
		.amdhsa_inst_pref_size 0
		.amdhsa_round_robin_scheduling 0
		.amdhsa_exception_fp_ieee_invalid_op 0
		.amdhsa_exception_fp_denorm_src 0
		.amdhsa_exception_fp_ieee_div_zero 0
		.amdhsa_exception_fp_ieee_overflow 0
		.amdhsa_exception_fp_ieee_underflow 0
		.amdhsa_exception_fp_ieee_inexact 0
		.amdhsa_exception_int_div_zero 0
	.end_amdhsa_kernel
	.section	.text._ZN7rocprim17ROCPRIM_400000_NS6detail17trampoline_kernelINS0_14default_configENS1_25partition_config_selectorILNS1_17partition_subalgoE6EyNS0_10empty_typeEbEEZZNS1_14partition_implILS5_6ELb0ES3_mN6thrust23THRUST_200600_302600_NS6detail15normal_iteratorINSA_10device_ptrIyEEEEPS6_SG_NS0_5tupleIJSF_S6_EEENSH_IJSG_SG_EEES6_PlJNSB_9not_fun_tI7is_evenIyEEEEEE10hipError_tPvRmT3_T4_T5_T6_T7_T9_mT8_P12ihipStream_tbDpT10_ENKUlT_T0_E_clISt17integral_constantIbLb0EES18_EEDaS13_S14_EUlS13_E_NS1_11comp_targetILNS1_3genE5ELNS1_11target_archE942ELNS1_3gpuE9ELNS1_3repE0EEENS1_30default_config_static_selectorELNS0_4arch9wavefront6targetE0EEEvT1_,"axG",@progbits,_ZN7rocprim17ROCPRIM_400000_NS6detail17trampoline_kernelINS0_14default_configENS1_25partition_config_selectorILNS1_17partition_subalgoE6EyNS0_10empty_typeEbEEZZNS1_14partition_implILS5_6ELb0ES3_mN6thrust23THRUST_200600_302600_NS6detail15normal_iteratorINSA_10device_ptrIyEEEEPS6_SG_NS0_5tupleIJSF_S6_EEENSH_IJSG_SG_EEES6_PlJNSB_9not_fun_tI7is_evenIyEEEEEE10hipError_tPvRmT3_T4_T5_T6_T7_T9_mT8_P12ihipStream_tbDpT10_ENKUlT_T0_E_clISt17integral_constantIbLb0EES18_EEDaS13_S14_EUlS13_E_NS1_11comp_targetILNS1_3genE5ELNS1_11target_archE942ELNS1_3gpuE9ELNS1_3repE0EEENS1_30default_config_static_selectorELNS0_4arch9wavefront6targetE0EEEvT1_,comdat
.Lfunc_end598:
	.size	_ZN7rocprim17ROCPRIM_400000_NS6detail17trampoline_kernelINS0_14default_configENS1_25partition_config_selectorILNS1_17partition_subalgoE6EyNS0_10empty_typeEbEEZZNS1_14partition_implILS5_6ELb0ES3_mN6thrust23THRUST_200600_302600_NS6detail15normal_iteratorINSA_10device_ptrIyEEEEPS6_SG_NS0_5tupleIJSF_S6_EEENSH_IJSG_SG_EEES6_PlJNSB_9not_fun_tI7is_evenIyEEEEEE10hipError_tPvRmT3_T4_T5_T6_T7_T9_mT8_P12ihipStream_tbDpT10_ENKUlT_T0_E_clISt17integral_constantIbLb0EES18_EEDaS13_S14_EUlS13_E_NS1_11comp_targetILNS1_3genE5ELNS1_11target_archE942ELNS1_3gpuE9ELNS1_3repE0EEENS1_30default_config_static_selectorELNS0_4arch9wavefront6targetE0EEEvT1_, .Lfunc_end598-_ZN7rocprim17ROCPRIM_400000_NS6detail17trampoline_kernelINS0_14default_configENS1_25partition_config_selectorILNS1_17partition_subalgoE6EyNS0_10empty_typeEbEEZZNS1_14partition_implILS5_6ELb0ES3_mN6thrust23THRUST_200600_302600_NS6detail15normal_iteratorINSA_10device_ptrIyEEEEPS6_SG_NS0_5tupleIJSF_S6_EEENSH_IJSG_SG_EEES6_PlJNSB_9not_fun_tI7is_evenIyEEEEEE10hipError_tPvRmT3_T4_T5_T6_T7_T9_mT8_P12ihipStream_tbDpT10_ENKUlT_T0_E_clISt17integral_constantIbLb0EES18_EEDaS13_S14_EUlS13_E_NS1_11comp_targetILNS1_3genE5ELNS1_11target_archE942ELNS1_3gpuE9ELNS1_3repE0EEENS1_30default_config_static_selectorELNS0_4arch9wavefront6targetE0EEEvT1_
                                        ; -- End function
	.set _ZN7rocprim17ROCPRIM_400000_NS6detail17trampoline_kernelINS0_14default_configENS1_25partition_config_selectorILNS1_17partition_subalgoE6EyNS0_10empty_typeEbEEZZNS1_14partition_implILS5_6ELb0ES3_mN6thrust23THRUST_200600_302600_NS6detail15normal_iteratorINSA_10device_ptrIyEEEEPS6_SG_NS0_5tupleIJSF_S6_EEENSH_IJSG_SG_EEES6_PlJNSB_9not_fun_tI7is_evenIyEEEEEE10hipError_tPvRmT3_T4_T5_T6_T7_T9_mT8_P12ihipStream_tbDpT10_ENKUlT_T0_E_clISt17integral_constantIbLb0EES18_EEDaS13_S14_EUlS13_E_NS1_11comp_targetILNS1_3genE5ELNS1_11target_archE942ELNS1_3gpuE9ELNS1_3repE0EEENS1_30default_config_static_selectorELNS0_4arch9wavefront6targetE0EEEvT1_.num_vgpr, 0
	.set _ZN7rocprim17ROCPRIM_400000_NS6detail17trampoline_kernelINS0_14default_configENS1_25partition_config_selectorILNS1_17partition_subalgoE6EyNS0_10empty_typeEbEEZZNS1_14partition_implILS5_6ELb0ES3_mN6thrust23THRUST_200600_302600_NS6detail15normal_iteratorINSA_10device_ptrIyEEEEPS6_SG_NS0_5tupleIJSF_S6_EEENSH_IJSG_SG_EEES6_PlJNSB_9not_fun_tI7is_evenIyEEEEEE10hipError_tPvRmT3_T4_T5_T6_T7_T9_mT8_P12ihipStream_tbDpT10_ENKUlT_T0_E_clISt17integral_constantIbLb0EES18_EEDaS13_S14_EUlS13_E_NS1_11comp_targetILNS1_3genE5ELNS1_11target_archE942ELNS1_3gpuE9ELNS1_3repE0EEENS1_30default_config_static_selectorELNS0_4arch9wavefront6targetE0EEEvT1_.num_agpr, 0
	.set _ZN7rocprim17ROCPRIM_400000_NS6detail17trampoline_kernelINS0_14default_configENS1_25partition_config_selectorILNS1_17partition_subalgoE6EyNS0_10empty_typeEbEEZZNS1_14partition_implILS5_6ELb0ES3_mN6thrust23THRUST_200600_302600_NS6detail15normal_iteratorINSA_10device_ptrIyEEEEPS6_SG_NS0_5tupleIJSF_S6_EEENSH_IJSG_SG_EEES6_PlJNSB_9not_fun_tI7is_evenIyEEEEEE10hipError_tPvRmT3_T4_T5_T6_T7_T9_mT8_P12ihipStream_tbDpT10_ENKUlT_T0_E_clISt17integral_constantIbLb0EES18_EEDaS13_S14_EUlS13_E_NS1_11comp_targetILNS1_3genE5ELNS1_11target_archE942ELNS1_3gpuE9ELNS1_3repE0EEENS1_30default_config_static_selectorELNS0_4arch9wavefront6targetE0EEEvT1_.numbered_sgpr, 0
	.set _ZN7rocprim17ROCPRIM_400000_NS6detail17trampoline_kernelINS0_14default_configENS1_25partition_config_selectorILNS1_17partition_subalgoE6EyNS0_10empty_typeEbEEZZNS1_14partition_implILS5_6ELb0ES3_mN6thrust23THRUST_200600_302600_NS6detail15normal_iteratorINSA_10device_ptrIyEEEEPS6_SG_NS0_5tupleIJSF_S6_EEENSH_IJSG_SG_EEES6_PlJNSB_9not_fun_tI7is_evenIyEEEEEE10hipError_tPvRmT3_T4_T5_T6_T7_T9_mT8_P12ihipStream_tbDpT10_ENKUlT_T0_E_clISt17integral_constantIbLb0EES18_EEDaS13_S14_EUlS13_E_NS1_11comp_targetILNS1_3genE5ELNS1_11target_archE942ELNS1_3gpuE9ELNS1_3repE0EEENS1_30default_config_static_selectorELNS0_4arch9wavefront6targetE0EEEvT1_.num_named_barrier, 0
	.set _ZN7rocprim17ROCPRIM_400000_NS6detail17trampoline_kernelINS0_14default_configENS1_25partition_config_selectorILNS1_17partition_subalgoE6EyNS0_10empty_typeEbEEZZNS1_14partition_implILS5_6ELb0ES3_mN6thrust23THRUST_200600_302600_NS6detail15normal_iteratorINSA_10device_ptrIyEEEEPS6_SG_NS0_5tupleIJSF_S6_EEENSH_IJSG_SG_EEES6_PlJNSB_9not_fun_tI7is_evenIyEEEEEE10hipError_tPvRmT3_T4_T5_T6_T7_T9_mT8_P12ihipStream_tbDpT10_ENKUlT_T0_E_clISt17integral_constantIbLb0EES18_EEDaS13_S14_EUlS13_E_NS1_11comp_targetILNS1_3genE5ELNS1_11target_archE942ELNS1_3gpuE9ELNS1_3repE0EEENS1_30default_config_static_selectorELNS0_4arch9wavefront6targetE0EEEvT1_.private_seg_size, 0
	.set _ZN7rocprim17ROCPRIM_400000_NS6detail17trampoline_kernelINS0_14default_configENS1_25partition_config_selectorILNS1_17partition_subalgoE6EyNS0_10empty_typeEbEEZZNS1_14partition_implILS5_6ELb0ES3_mN6thrust23THRUST_200600_302600_NS6detail15normal_iteratorINSA_10device_ptrIyEEEEPS6_SG_NS0_5tupleIJSF_S6_EEENSH_IJSG_SG_EEES6_PlJNSB_9not_fun_tI7is_evenIyEEEEEE10hipError_tPvRmT3_T4_T5_T6_T7_T9_mT8_P12ihipStream_tbDpT10_ENKUlT_T0_E_clISt17integral_constantIbLb0EES18_EEDaS13_S14_EUlS13_E_NS1_11comp_targetILNS1_3genE5ELNS1_11target_archE942ELNS1_3gpuE9ELNS1_3repE0EEENS1_30default_config_static_selectorELNS0_4arch9wavefront6targetE0EEEvT1_.uses_vcc, 0
	.set _ZN7rocprim17ROCPRIM_400000_NS6detail17trampoline_kernelINS0_14default_configENS1_25partition_config_selectorILNS1_17partition_subalgoE6EyNS0_10empty_typeEbEEZZNS1_14partition_implILS5_6ELb0ES3_mN6thrust23THRUST_200600_302600_NS6detail15normal_iteratorINSA_10device_ptrIyEEEEPS6_SG_NS0_5tupleIJSF_S6_EEENSH_IJSG_SG_EEES6_PlJNSB_9not_fun_tI7is_evenIyEEEEEE10hipError_tPvRmT3_T4_T5_T6_T7_T9_mT8_P12ihipStream_tbDpT10_ENKUlT_T0_E_clISt17integral_constantIbLb0EES18_EEDaS13_S14_EUlS13_E_NS1_11comp_targetILNS1_3genE5ELNS1_11target_archE942ELNS1_3gpuE9ELNS1_3repE0EEENS1_30default_config_static_selectorELNS0_4arch9wavefront6targetE0EEEvT1_.uses_flat_scratch, 0
	.set _ZN7rocprim17ROCPRIM_400000_NS6detail17trampoline_kernelINS0_14default_configENS1_25partition_config_selectorILNS1_17partition_subalgoE6EyNS0_10empty_typeEbEEZZNS1_14partition_implILS5_6ELb0ES3_mN6thrust23THRUST_200600_302600_NS6detail15normal_iteratorINSA_10device_ptrIyEEEEPS6_SG_NS0_5tupleIJSF_S6_EEENSH_IJSG_SG_EEES6_PlJNSB_9not_fun_tI7is_evenIyEEEEEE10hipError_tPvRmT3_T4_T5_T6_T7_T9_mT8_P12ihipStream_tbDpT10_ENKUlT_T0_E_clISt17integral_constantIbLb0EES18_EEDaS13_S14_EUlS13_E_NS1_11comp_targetILNS1_3genE5ELNS1_11target_archE942ELNS1_3gpuE9ELNS1_3repE0EEENS1_30default_config_static_selectorELNS0_4arch9wavefront6targetE0EEEvT1_.has_dyn_sized_stack, 0
	.set _ZN7rocprim17ROCPRIM_400000_NS6detail17trampoline_kernelINS0_14default_configENS1_25partition_config_selectorILNS1_17partition_subalgoE6EyNS0_10empty_typeEbEEZZNS1_14partition_implILS5_6ELb0ES3_mN6thrust23THRUST_200600_302600_NS6detail15normal_iteratorINSA_10device_ptrIyEEEEPS6_SG_NS0_5tupleIJSF_S6_EEENSH_IJSG_SG_EEES6_PlJNSB_9not_fun_tI7is_evenIyEEEEEE10hipError_tPvRmT3_T4_T5_T6_T7_T9_mT8_P12ihipStream_tbDpT10_ENKUlT_T0_E_clISt17integral_constantIbLb0EES18_EEDaS13_S14_EUlS13_E_NS1_11comp_targetILNS1_3genE5ELNS1_11target_archE942ELNS1_3gpuE9ELNS1_3repE0EEENS1_30default_config_static_selectorELNS0_4arch9wavefront6targetE0EEEvT1_.has_recursion, 0
	.set _ZN7rocprim17ROCPRIM_400000_NS6detail17trampoline_kernelINS0_14default_configENS1_25partition_config_selectorILNS1_17partition_subalgoE6EyNS0_10empty_typeEbEEZZNS1_14partition_implILS5_6ELb0ES3_mN6thrust23THRUST_200600_302600_NS6detail15normal_iteratorINSA_10device_ptrIyEEEEPS6_SG_NS0_5tupleIJSF_S6_EEENSH_IJSG_SG_EEES6_PlJNSB_9not_fun_tI7is_evenIyEEEEEE10hipError_tPvRmT3_T4_T5_T6_T7_T9_mT8_P12ihipStream_tbDpT10_ENKUlT_T0_E_clISt17integral_constantIbLb0EES18_EEDaS13_S14_EUlS13_E_NS1_11comp_targetILNS1_3genE5ELNS1_11target_archE942ELNS1_3gpuE9ELNS1_3repE0EEENS1_30default_config_static_selectorELNS0_4arch9wavefront6targetE0EEEvT1_.has_indirect_call, 0
	.section	.AMDGPU.csdata,"",@progbits
; Kernel info:
; codeLenInByte = 0
; TotalNumSgprs: 0
; NumVgprs: 0
; ScratchSize: 0
; MemoryBound: 0
; FloatMode: 240
; IeeeMode: 1
; LDSByteSize: 0 bytes/workgroup (compile time only)
; SGPRBlocks: 0
; VGPRBlocks: 0
; NumSGPRsForWavesPerEU: 1
; NumVGPRsForWavesPerEU: 1
; Occupancy: 16
; WaveLimiterHint : 0
; COMPUTE_PGM_RSRC2:SCRATCH_EN: 0
; COMPUTE_PGM_RSRC2:USER_SGPR: 2
; COMPUTE_PGM_RSRC2:TRAP_HANDLER: 0
; COMPUTE_PGM_RSRC2:TGID_X_EN: 1
; COMPUTE_PGM_RSRC2:TGID_Y_EN: 0
; COMPUTE_PGM_RSRC2:TGID_Z_EN: 0
; COMPUTE_PGM_RSRC2:TIDIG_COMP_CNT: 0
	.section	.text._ZN7rocprim17ROCPRIM_400000_NS6detail17trampoline_kernelINS0_14default_configENS1_25partition_config_selectorILNS1_17partition_subalgoE6EyNS0_10empty_typeEbEEZZNS1_14partition_implILS5_6ELb0ES3_mN6thrust23THRUST_200600_302600_NS6detail15normal_iteratorINSA_10device_ptrIyEEEEPS6_SG_NS0_5tupleIJSF_S6_EEENSH_IJSG_SG_EEES6_PlJNSB_9not_fun_tI7is_evenIyEEEEEE10hipError_tPvRmT3_T4_T5_T6_T7_T9_mT8_P12ihipStream_tbDpT10_ENKUlT_T0_E_clISt17integral_constantIbLb0EES18_EEDaS13_S14_EUlS13_E_NS1_11comp_targetILNS1_3genE4ELNS1_11target_archE910ELNS1_3gpuE8ELNS1_3repE0EEENS1_30default_config_static_selectorELNS0_4arch9wavefront6targetE0EEEvT1_,"axG",@progbits,_ZN7rocprim17ROCPRIM_400000_NS6detail17trampoline_kernelINS0_14default_configENS1_25partition_config_selectorILNS1_17partition_subalgoE6EyNS0_10empty_typeEbEEZZNS1_14partition_implILS5_6ELb0ES3_mN6thrust23THRUST_200600_302600_NS6detail15normal_iteratorINSA_10device_ptrIyEEEEPS6_SG_NS0_5tupleIJSF_S6_EEENSH_IJSG_SG_EEES6_PlJNSB_9not_fun_tI7is_evenIyEEEEEE10hipError_tPvRmT3_T4_T5_T6_T7_T9_mT8_P12ihipStream_tbDpT10_ENKUlT_T0_E_clISt17integral_constantIbLb0EES18_EEDaS13_S14_EUlS13_E_NS1_11comp_targetILNS1_3genE4ELNS1_11target_archE910ELNS1_3gpuE8ELNS1_3repE0EEENS1_30default_config_static_selectorELNS0_4arch9wavefront6targetE0EEEvT1_,comdat
	.protected	_ZN7rocprim17ROCPRIM_400000_NS6detail17trampoline_kernelINS0_14default_configENS1_25partition_config_selectorILNS1_17partition_subalgoE6EyNS0_10empty_typeEbEEZZNS1_14partition_implILS5_6ELb0ES3_mN6thrust23THRUST_200600_302600_NS6detail15normal_iteratorINSA_10device_ptrIyEEEEPS6_SG_NS0_5tupleIJSF_S6_EEENSH_IJSG_SG_EEES6_PlJNSB_9not_fun_tI7is_evenIyEEEEEE10hipError_tPvRmT3_T4_T5_T6_T7_T9_mT8_P12ihipStream_tbDpT10_ENKUlT_T0_E_clISt17integral_constantIbLb0EES18_EEDaS13_S14_EUlS13_E_NS1_11comp_targetILNS1_3genE4ELNS1_11target_archE910ELNS1_3gpuE8ELNS1_3repE0EEENS1_30default_config_static_selectorELNS0_4arch9wavefront6targetE0EEEvT1_ ; -- Begin function _ZN7rocprim17ROCPRIM_400000_NS6detail17trampoline_kernelINS0_14default_configENS1_25partition_config_selectorILNS1_17partition_subalgoE6EyNS0_10empty_typeEbEEZZNS1_14partition_implILS5_6ELb0ES3_mN6thrust23THRUST_200600_302600_NS6detail15normal_iteratorINSA_10device_ptrIyEEEEPS6_SG_NS0_5tupleIJSF_S6_EEENSH_IJSG_SG_EEES6_PlJNSB_9not_fun_tI7is_evenIyEEEEEE10hipError_tPvRmT3_T4_T5_T6_T7_T9_mT8_P12ihipStream_tbDpT10_ENKUlT_T0_E_clISt17integral_constantIbLb0EES18_EEDaS13_S14_EUlS13_E_NS1_11comp_targetILNS1_3genE4ELNS1_11target_archE910ELNS1_3gpuE8ELNS1_3repE0EEENS1_30default_config_static_selectorELNS0_4arch9wavefront6targetE0EEEvT1_
	.globl	_ZN7rocprim17ROCPRIM_400000_NS6detail17trampoline_kernelINS0_14default_configENS1_25partition_config_selectorILNS1_17partition_subalgoE6EyNS0_10empty_typeEbEEZZNS1_14partition_implILS5_6ELb0ES3_mN6thrust23THRUST_200600_302600_NS6detail15normal_iteratorINSA_10device_ptrIyEEEEPS6_SG_NS0_5tupleIJSF_S6_EEENSH_IJSG_SG_EEES6_PlJNSB_9not_fun_tI7is_evenIyEEEEEE10hipError_tPvRmT3_T4_T5_T6_T7_T9_mT8_P12ihipStream_tbDpT10_ENKUlT_T0_E_clISt17integral_constantIbLb0EES18_EEDaS13_S14_EUlS13_E_NS1_11comp_targetILNS1_3genE4ELNS1_11target_archE910ELNS1_3gpuE8ELNS1_3repE0EEENS1_30default_config_static_selectorELNS0_4arch9wavefront6targetE0EEEvT1_
	.p2align	8
	.type	_ZN7rocprim17ROCPRIM_400000_NS6detail17trampoline_kernelINS0_14default_configENS1_25partition_config_selectorILNS1_17partition_subalgoE6EyNS0_10empty_typeEbEEZZNS1_14partition_implILS5_6ELb0ES3_mN6thrust23THRUST_200600_302600_NS6detail15normal_iteratorINSA_10device_ptrIyEEEEPS6_SG_NS0_5tupleIJSF_S6_EEENSH_IJSG_SG_EEES6_PlJNSB_9not_fun_tI7is_evenIyEEEEEE10hipError_tPvRmT3_T4_T5_T6_T7_T9_mT8_P12ihipStream_tbDpT10_ENKUlT_T0_E_clISt17integral_constantIbLb0EES18_EEDaS13_S14_EUlS13_E_NS1_11comp_targetILNS1_3genE4ELNS1_11target_archE910ELNS1_3gpuE8ELNS1_3repE0EEENS1_30default_config_static_selectorELNS0_4arch9wavefront6targetE0EEEvT1_,@function
_ZN7rocprim17ROCPRIM_400000_NS6detail17trampoline_kernelINS0_14default_configENS1_25partition_config_selectorILNS1_17partition_subalgoE6EyNS0_10empty_typeEbEEZZNS1_14partition_implILS5_6ELb0ES3_mN6thrust23THRUST_200600_302600_NS6detail15normal_iteratorINSA_10device_ptrIyEEEEPS6_SG_NS0_5tupleIJSF_S6_EEENSH_IJSG_SG_EEES6_PlJNSB_9not_fun_tI7is_evenIyEEEEEE10hipError_tPvRmT3_T4_T5_T6_T7_T9_mT8_P12ihipStream_tbDpT10_ENKUlT_T0_E_clISt17integral_constantIbLb0EES18_EEDaS13_S14_EUlS13_E_NS1_11comp_targetILNS1_3genE4ELNS1_11target_archE910ELNS1_3gpuE8ELNS1_3repE0EEENS1_30default_config_static_selectorELNS0_4arch9wavefront6targetE0EEEvT1_: ; @_ZN7rocprim17ROCPRIM_400000_NS6detail17trampoline_kernelINS0_14default_configENS1_25partition_config_selectorILNS1_17partition_subalgoE6EyNS0_10empty_typeEbEEZZNS1_14partition_implILS5_6ELb0ES3_mN6thrust23THRUST_200600_302600_NS6detail15normal_iteratorINSA_10device_ptrIyEEEEPS6_SG_NS0_5tupleIJSF_S6_EEENSH_IJSG_SG_EEES6_PlJNSB_9not_fun_tI7is_evenIyEEEEEE10hipError_tPvRmT3_T4_T5_T6_T7_T9_mT8_P12ihipStream_tbDpT10_ENKUlT_T0_E_clISt17integral_constantIbLb0EES18_EEDaS13_S14_EUlS13_E_NS1_11comp_targetILNS1_3genE4ELNS1_11target_archE910ELNS1_3gpuE8ELNS1_3repE0EEENS1_30default_config_static_selectorELNS0_4arch9wavefront6targetE0EEEvT1_
; %bb.0:
	.section	.rodata,"a",@progbits
	.p2align	6, 0x0
	.amdhsa_kernel _ZN7rocprim17ROCPRIM_400000_NS6detail17trampoline_kernelINS0_14default_configENS1_25partition_config_selectorILNS1_17partition_subalgoE6EyNS0_10empty_typeEbEEZZNS1_14partition_implILS5_6ELb0ES3_mN6thrust23THRUST_200600_302600_NS6detail15normal_iteratorINSA_10device_ptrIyEEEEPS6_SG_NS0_5tupleIJSF_S6_EEENSH_IJSG_SG_EEES6_PlJNSB_9not_fun_tI7is_evenIyEEEEEE10hipError_tPvRmT3_T4_T5_T6_T7_T9_mT8_P12ihipStream_tbDpT10_ENKUlT_T0_E_clISt17integral_constantIbLb0EES18_EEDaS13_S14_EUlS13_E_NS1_11comp_targetILNS1_3genE4ELNS1_11target_archE910ELNS1_3gpuE8ELNS1_3repE0EEENS1_30default_config_static_selectorELNS0_4arch9wavefront6targetE0EEEvT1_
		.amdhsa_group_segment_fixed_size 0
		.amdhsa_private_segment_fixed_size 0
		.amdhsa_kernarg_size 112
		.amdhsa_user_sgpr_count 2
		.amdhsa_user_sgpr_dispatch_ptr 0
		.amdhsa_user_sgpr_queue_ptr 0
		.amdhsa_user_sgpr_kernarg_segment_ptr 1
		.amdhsa_user_sgpr_dispatch_id 0
		.amdhsa_user_sgpr_private_segment_size 0
		.amdhsa_wavefront_size32 1
		.amdhsa_uses_dynamic_stack 0
		.amdhsa_enable_private_segment 0
		.amdhsa_system_sgpr_workgroup_id_x 1
		.amdhsa_system_sgpr_workgroup_id_y 0
		.amdhsa_system_sgpr_workgroup_id_z 0
		.amdhsa_system_sgpr_workgroup_info 0
		.amdhsa_system_vgpr_workitem_id 0
		.amdhsa_next_free_vgpr 1
		.amdhsa_next_free_sgpr 1
		.amdhsa_reserve_vcc 0
		.amdhsa_float_round_mode_32 0
		.amdhsa_float_round_mode_16_64 0
		.amdhsa_float_denorm_mode_32 3
		.amdhsa_float_denorm_mode_16_64 3
		.amdhsa_fp16_overflow 0
		.amdhsa_workgroup_processor_mode 1
		.amdhsa_memory_ordered 1
		.amdhsa_forward_progress 1
		.amdhsa_inst_pref_size 0
		.amdhsa_round_robin_scheduling 0
		.amdhsa_exception_fp_ieee_invalid_op 0
		.amdhsa_exception_fp_denorm_src 0
		.amdhsa_exception_fp_ieee_div_zero 0
		.amdhsa_exception_fp_ieee_overflow 0
		.amdhsa_exception_fp_ieee_underflow 0
		.amdhsa_exception_fp_ieee_inexact 0
		.amdhsa_exception_int_div_zero 0
	.end_amdhsa_kernel
	.section	.text._ZN7rocprim17ROCPRIM_400000_NS6detail17trampoline_kernelINS0_14default_configENS1_25partition_config_selectorILNS1_17partition_subalgoE6EyNS0_10empty_typeEbEEZZNS1_14partition_implILS5_6ELb0ES3_mN6thrust23THRUST_200600_302600_NS6detail15normal_iteratorINSA_10device_ptrIyEEEEPS6_SG_NS0_5tupleIJSF_S6_EEENSH_IJSG_SG_EEES6_PlJNSB_9not_fun_tI7is_evenIyEEEEEE10hipError_tPvRmT3_T4_T5_T6_T7_T9_mT8_P12ihipStream_tbDpT10_ENKUlT_T0_E_clISt17integral_constantIbLb0EES18_EEDaS13_S14_EUlS13_E_NS1_11comp_targetILNS1_3genE4ELNS1_11target_archE910ELNS1_3gpuE8ELNS1_3repE0EEENS1_30default_config_static_selectorELNS0_4arch9wavefront6targetE0EEEvT1_,"axG",@progbits,_ZN7rocprim17ROCPRIM_400000_NS6detail17trampoline_kernelINS0_14default_configENS1_25partition_config_selectorILNS1_17partition_subalgoE6EyNS0_10empty_typeEbEEZZNS1_14partition_implILS5_6ELb0ES3_mN6thrust23THRUST_200600_302600_NS6detail15normal_iteratorINSA_10device_ptrIyEEEEPS6_SG_NS0_5tupleIJSF_S6_EEENSH_IJSG_SG_EEES6_PlJNSB_9not_fun_tI7is_evenIyEEEEEE10hipError_tPvRmT3_T4_T5_T6_T7_T9_mT8_P12ihipStream_tbDpT10_ENKUlT_T0_E_clISt17integral_constantIbLb0EES18_EEDaS13_S14_EUlS13_E_NS1_11comp_targetILNS1_3genE4ELNS1_11target_archE910ELNS1_3gpuE8ELNS1_3repE0EEENS1_30default_config_static_selectorELNS0_4arch9wavefront6targetE0EEEvT1_,comdat
.Lfunc_end599:
	.size	_ZN7rocprim17ROCPRIM_400000_NS6detail17trampoline_kernelINS0_14default_configENS1_25partition_config_selectorILNS1_17partition_subalgoE6EyNS0_10empty_typeEbEEZZNS1_14partition_implILS5_6ELb0ES3_mN6thrust23THRUST_200600_302600_NS6detail15normal_iteratorINSA_10device_ptrIyEEEEPS6_SG_NS0_5tupleIJSF_S6_EEENSH_IJSG_SG_EEES6_PlJNSB_9not_fun_tI7is_evenIyEEEEEE10hipError_tPvRmT3_T4_T5_T6_T7_T9_mT8_P12ihipStream_tbDpT10_ENKUlT_T0_E_clISt17integral_constantIbLb0EES18_EEDaS13_S14_EUlS13_E_NS1_11comp_targetILNS1_3genE4ELNS1_11target_archE910ELNS1_3gpuE8ELNS1_3repE0EEENS1_30default_config_static_selectorELNS0_4arch9wavefront6targetE0EEEvT1_, .Lfunc_end599-_ZN7rocprim17ROCPRIM_400000_NS6detail17trampoline_kernelINS0_14default_configENS1_25partition_config_selectorILNS1_17partition_subalgoE6EyNS0_10empty_typeEbEEZZNS1_14partition_implILS5_6ELb0ES3_mN6thrust23THRUST_200600_302600_NS6detail15normal_iteratorINSA_10device_ptrIyEEEEPS6_SG_NS0_5tupleIJSF_S6_EEENSH_IJSG_SG_EEES6_PlJNSB_9not_fun_tI7is_evenIyEEEEEE10hipError_tPvRmT3_T4_T5_T6_T7_T9_mT8_P12ihipStream_tbDpT10_ENKUlT_T0_E_clISt17integral_constantIbLb0EES18_EEDaS13_S14_EUlS13_E_NS1_11comp_targetILNS1_3genE4ELNS1_11target_archE910ELNS1_3gpuE8ELNS1_3repE0EEENS1_30default_config_static_selectorELNS0_4arch9wavefront6targetE0EEEvT1_
                                        ; -- End function
	.set _ZN7rocprim17ROCPRIM_400000_NS6detail17trampoline_kernelINS0_14default_configENS1_25partition_config_selectorILNS1_17partition_subalgoE6EyNS0_10empty_typeEbEEZZNS1_14partition_implILS5_6ELb0ES3_mN6thrust23THRUST_200600_302600_NS6detail15normal_iteratorINSA_10device_ptrIyEEEEPS6_SG_NS0_5tupleIJSF_S6_EEENSH_IJSG_SG_EEES6_PlJNSB_9not_fun_tI7is_evenIyEEEEEE10hipError_tPvRmT3_T4_T5_T6_T7_T9_mT8_P12ihipStream_tbDpT10_ENKUlT_T0_E_clISt17integral_constantIbLb0EES18_EEDaS13_S14_EUlS13_E_NS1_11comp_targetILNS1_3genE4ELNS1_11target_archE910ELNS1_3gpuE8ELNS1_3repE0EEENS1_30default_config_static_selectorELNS0_4arch9wavefront6targetE0EEEvT1_.num_vgpr, 0
	.set _ZN7rocprim17ROCPRIM_400000_NS6detail17trampoline_kernelINS0_14default_configENS1_25partition_config_selectorILNS1_17partition_subalgoE6EyNS0_10empty_typeEbEEZZNS1_14partition_implILS5_6ELb0ES3_mN6thrust23THRUST_200600_302600_NS6detail15normal_iteratorINSA_10device_ptrIyEEEEPS6_SG_NS0_5tupleIJSF_S6_EEENSH_IJSG_SG_EEES6_PlJNSB_9not_fun_tI7is_evenIyEEEEEE10hipError_tPvRmT3_T4_T5_T6_T7_T9_mT8_P12ihipStream_tbDpT10_ENKUlT_T0_E_clISt17integral_constantIbLb0EES18_EEDaS13_S14_EUlS13_E_NS1_11comp_targetILNS1_3genE4ELNS1_11target_archE910ELNS1_3gpuE8ELNS1_3repE0EEENS1_30default_config_static_selectorELNS0_4arch9wavefront6targetE0EEEvT1_.num_agpr, 0
	.set _ZN7rocprim17ROCPRIM_400000_NS6detail17trampoline_kernelINS0_14default_configENS1_25partition_config_selectorILNS1_17partition_subalgoE6EyNS0_10empty_typeEbEEZZNS1_14partition_implILS5_6ELb0ES3_mN6thrust23THRUST_200600_302600_NS6detail15normal_iteratorINSA_10device_ptrIyEEEEPS6_SG_NS0_5tupleIJSF_S6_EEENSH_IJSG_SG_EEES6_PlJNSB_9not_fun_tI7is_evenIyEEEEEE10hipError_tPvRmT3_T4_T5_T6_T7_T9_mT8_P12ihipStream_tbDpT10_ENKUlT_T0_E_clISt17integral_constantIbLb0EES18_EEDaS13_S14_EUlS13_E_NS1_11comp_targetILNS1_3genE4ELNS1_11target_archE910ELNS1_3gpuE8ELNS1_3repE0EEENS1_30default_config_static_selectorELNS0_4arch9wavefront6targetE0EEEvT1_.numbered_sgpr, 0
	.set _ZN7rocprim17ROCPRIM_400000_NS6detail17trampoline_kernelINS0_14default_configENS1_25partition_config_selectorILNS1_17partition_subalgoE6EyNS0_10empty_typeEbEEZZNS1_14partition_implILS5_6ELb0ES3_mN6thrust23THRUST_200600_302600_NS6detail15normal_iteratorINSA_10device_ptrIyEEEEPS6_SG_NS0_5tupleIJSF_S6_EEENSH_IJSG_SG_EEES6_PlJNSB_9not_fun_tI7is_evenIyEEEEEE10hipError_tPvRmT3_T4_T5_T6_T7_T9_mT8_P12ihipStream_tbDpT10_ENKUlT_T0_E_clISt17integral_constantIbLb0EES18_EEDaS13_S14_EUlS13_E_NS1_11comp_targetILNS1_3genE4ELNS1_11target_archE910ELNS1_3gpuE8ELNS1_3repE0EEENS1_30default_config_static_selectorELNS0_4arch9wavefront6targetE0EEEvT1_.num_named_barrier, 0
	.set _ZN7rocprim17ROCPRIM_400000_NS6detail17trampoline_kernelINS0_14default_configENS1_25partition_config_selectorILNS1_17partition_subalgoE6EyNS0_10empty_typeEbEEZZNS1_14partition_implILS5_6ELb0ES3_mN6thrust23THRUST_200600_302600_NS6detail15normal_iteratorINSA_10device_ptrIyEEEEPS6_SG_NS0_5tupleIJSF_S6_EEENSH_IJSG_SG_EEES6_PlJNSB_9not_fun_tI7is_evenIyEEEEEE10hipError_tPvRmT3_T4_T5_T6_T7_T9_mT8_P12ihipStream_tbDpT10_ENKUlT_T0_E_clISt17integral_constantIbLb0EES18_EEDaS13_S14_EUlS13_E_NS1_11comp_targetILNS1_3genE4ELNS1_11target_archE910ELNS1_3gpuE8ELNS1_3repE0EEENS1_30default_config_static_selectorELNS0_4arch9wavefront6targetE0EEEvT1_.private_seg_size, 0
	.set _ZN7rocprim17ROCPRIM_400000_NS6detail17trampoline_kernelINS0_14default_configENS1_25partition_config_selectorILNS1_17partition_subalgoE6EyNS0_10empty_typeEbEEZZNS1_14partition_implILS5_6ELb0ES3_mN6thrust23THRUST_200600_302600_NS6detail15normal_iteratorINSA_10device_ptrIyEEEEPS6_SG_NS0_5tupleIJSF_S6_EEENSH_IJSG_SG_EEES6_PlJNSB_9not_fun_tI7is_evenIyEEEEEE10hipError_tPvRmT3_T4_T5_T6_T7_T9_mT8_P12ihipStream_tbDpT10_ENKUlT_T0_E_clISt17integral_constantIbLb0EES18_EEDaS13_S14_EUlS13_E_NS1_11comp_targetILNS1_3genE4ELNS1_11target_archE910ELNS1_3gpuE8ELNS1_3repE0EEENS1_30default_config_static_selectorELNS0_4arch9wavefront6targetE0EEEvT1_.uses_vcc, 0
	.set _ZN7rocprim17ROCPRIM_400000_NS6detail17trampoline_kernelINS0_14default_configENS1_25partition_config_selectorILNS1_17partition_subalgoE6EyNS0_10empty_typeEbEEZZNS1_14partition_implILS5_6ELb0ES3_mN6thrust23THRUST_200600_302600_NS6detail15normal_iteratorINSA_10device_ptrIyEEEEPS6_SG_NS0_5tupleIJSF_S6_EEENSH_IJSG_SG_EEES6_PlJNSB_9not_fun_tI7is_evenIyEEEEEE10hipError_tPvRmT3_T4_T5_T6_T7_T9_mT8_P12ihipStream_tbDpT10_ENKUlT_T0_E_clISt17integral_constantIbLb0EES18_EEDaS13_S14_EUlS13_E_NS1_11comp_targetILNS1_3genE4ELNS1_11target_archE910ELNS1_3gpuE8ELNS1_3repE0EEENS1_30default_config_static_selectorELNS0_4arch9wavefront6targetE0EEEvT1_.uses_flat_scratch, 0
	.set _ZN7rocprim17ROCPRIM_400000_NS6detail17trampoline_kernelINS0_14default_configENS1_25partition_config_selectorILNS1_17partition_subalgoE6EyNS0_10empty_typeEbEEZZNS1_14partition_implILS5_6ELb0ES3_mN6thrust23THRUST_200600_302600_NS6detail15normal_iteratorINSA_10device_ptrIyEEEEPS6_SG_NS0_5tupleIJSF_S6_EEENSH_IJSG_SG_EEES6_PlJNSB_9not_fun_tI7is_evenIyEEEEEE10hipError_tPvRmT3_T4_T5_T6_T7_T9_mT8_P12ihipStream_tbDpT10_ENKUlT_T0_E_clISt17integral_constantIbLb0EES18_EEDaS13_S14_EUlS13_E_NS1_11comp_targetILNS1_3genE4ELNS1_11target_archE910ELNS1_3gpuE8ELNS1_3repE0EEENS1_30default_config_static_selectorELNS0_4arch9wavefront6targetE0EEEvT1_.has_dyn_sized_stack, 0
	.set _ZN7rocprim17ROCPRIM_400000_NS6detail17trampoline_kernelINS0_14default_configENS1_25partition_config_selectorILNS1_17partition_subalgoE6EyNS0_10empty_typeEbEEZZNS1_14partition_implILS5_6ELb0ES3_mN6thrust23THRUST_200600_302600_NS6detail15normal_iteratorINSA_10device_ptrIyEEEEPS6_SG_NS0_5tupleIJSF_S6_EEENSH_IJSG_SG_EEES6_PlJNSB_9not_fun_tI7is_evenIyEEEEEE10hipError_tPvRmT3_T4_T5_T6_T7_T9_mT8_P12ihipStream_tbDpT10_ENKUlT_T0_E_clISt17integral_constantIbLb0EES18_EEDaS13_S14_EUlS13_E_NS1_11comp_targetILNS1_3genE4ELNS1_11target_archE910ELNS1_3gpuE8ELNS1_3repE0EEENS1_30default_config_static_selectorELNS0_4arch9wavefront6targetE0EEEvT1_.has_recursion, 0
	.set _ZN7rocprim17ROCPRIM_400000_NS6detail17trampoline_kernelINS0_14default_configENS1_25partition_config_selectorILNS1_17partition_subalgoE6EyNS0_10empty_typeEbEEZZNS1_14partition_implILS5_6ELb0ES3_mN6thrust23THRUST_200600_302600_NS6detail15normal_iteratorINSA_10device_ptrIyEEEEPS6_SG_NS0_5tupleIJSF_S6_EEENSH_IJSG_SG_EEES6_PlJNSB_9not_fun_tI7is_evenIyEEEEEE10hipError_tPvRmT3_T4_T5_T6_T7_T9_mT8_P12ihipStream_tbDpT10_ENKUlT_T0_E_clISt17integral_constantIbLb0EES18_EEDaS13_S14_EUlS13_E_NS1_11comp_targetILNS1_3genE4ELNS1_11target_archE910ELNS1_3gpuE8ELNS1_3repE0EEENS1_30default_config_static_selectorELNS0_4arch9wavefront6targetE0EEEvT1_.has_indirect_call, 0
	.section	.AMDGPU.csdata,"",@progbits
; Kernel info:
; codeLenInByte = 0
; TotalNumSgprs: 0
; NumVgprs: 0
; ScratchSize: 0
; MemoryBound: 0
; FloatMode: 240
; IeeeMode: 1
; LDSByteSize: 0 bytes/workgroup (compile time only)
; SGPRBlocks: 0
; VGPRBlocks: 0
; NumSGPRsForWavesPerEU: 1
; NumVGPRsForWavesPerEU: 1
; Occupancy: 16
; WaveLimiterHint : 0
; COMPUTE_PGM_RSRC2:SCRATCH_EN: 0
; COMPUTE_PGM_RSRC2:USER_SGPR: 2
; COMPUTE_PGM_RSRC2:TRAP_HANDLER: 0
; COMPUTE_PGM_RSRC2:TGID_X_EN: 1
; COMPUTE_PGM_RSRC2:TGID_Y_EN: 0
; COMPUTE_PGM_RSRC2:TGID_Z_EN: 0
; COMPUTE_PGM_RSRC2:TIDIG_COMP_CNT: 0
	.section	.text._ZN7rocprim17ROCPRIM_400000_NS6detail17trampoline_kernelINS0_14default_configENS1_25partition_config_selectorILNS1_17partition_subalgoE6EyNS0_10empty_typeEbEEZZNS1_14partition_implILS5_6ELb0ES3_mN6thrust23THRUST_200600_302600_NS6detail15normal_iteratorINSA_10device_ptrIyEEEEPS6_SG_NS0_5tupleIJSF_S6_EEENSH_IJSG_SG_EEES6_PlJNSB_9not_fun_tI7is_evenIyEEEEEE10hipError_tPvRmT3_T4_T5_T6_T7_T9_mT8_P12ihipStream_tbDpT10_ENKUlT_T0_E_clISt17integral_constantIbLb0EES18_EEDaS13_S14_EUlS13_E_NS1_11comp_targetILNS1_3genE3ELNS1_11target_archE908ELNS1_3gpuE7ELNS1_3repE0EEENS1_30default_config_static_selectorELNS0_4arch9wavefront6targetE0EEEvT1_,"axG",@progbits,_ZN7rocprim17ROCPRIM_400000_NS6detail17trampoline_kernelINS0_14default_configENS1_25partition_config_selectorILNS1_17partition_subalgoE6EyNS0_10empty_typeEbEEZZNS1_14partition_implILS5_6ELb0ES3_mN6thrust23THRUST_200600_302600_NS6detail15normal_iteratorINSA_10device_ptrIyEEEEPS6_SG_NS0_5tupleIJSF_S6_EEENSH_IJSG_SG_EEES6_PlJNSB_9not_fun_tI7is_evenIyEEEEEE10hipError_tPvRmT3_T4_T5_T6_T7_T9_mT8_P12ihipStream_tbDpT10_ENKUlT_T0_E_clISt17integral_constantIbLb0EES18_EEDaS13_S14_EUlS13_E_NS1_11comp_targetILNS1_3genE3ELNS1_11target_archE908ELNS1_3gpuE7ELNS1_3repE0EEENS1_30default_config_static_selectorELNS0_4arch9wavefront6targetE0EEEvT1_,comdat
	.protected	_ZN7rocprim17ROCPRIM_400000_NS6detail17trampoline_kernelINS0_14default_configENS1_25partition_config_selectorILNS1_17partition_subalgoE6EyNS0_10empty_typeEbEEZZNS1_14partition_implILS5_6ELb0ES3_mN6thrust23THRUST_200600_302600_NS6detail15normal_iteratorINSA_10device_ptrIyEEEEPS6_SG_NS0_5tupleIJSF_S6_EEENSH_IJSG_SG_EEES6_PlJNSB_9not_fun_tI7is_evenIyEEEEEE10hipError_tPvRmT3_T4_T5_T6_T7_T9_mT8_P12ihipStream_tbDpT10_ENKUlT_T0_E_clISt17integral_constantIbLb0EES18_EEDaS13_S14_EUlS13_E_NS1_11comp_targetILNS1_3genE3ELNS1_11target_archE908ELNS1_3gpuE7ELNS1_3repE0EEENS1_30default_config_static_selectorELNS0_4arch9wavefront6targetE0EEEvT1_ ; -- Begin function _ZN7rocprim17ROCPRIM_400000_NS6detail17trampoline_kernelINS0_14default_configENS1_25partition_config_selectorILNS1_17partition_subalgoE6EyNS0_10empty_typeEbEEZZNS1_14partition_implILS5_6ELb0ES3_mN6thrust23THRUST_200600_302600_NS6detail15normal_iteratorINSA_10device_ptrIyEEEEPS6_SG_NS0_5tupleIJSF_S6_EEENSH_IJSG_SG_EEES6_PlJNSB_9not_fun_tI7is_evenIyEEEEEE10hipError_tPvRmT3_T4_T5_T6_T7_T9_mT8_P12ihipStream_tbDpT10_ENKUlT_T0_E_clISt17integral_constantIbLb0EES18_EEDaS13_S14_EUlS13_E_NS1_11comp_targetILNS1_3genE3ELNS1_11target_archE908ELNS1_3gpuE7ELNS1_3repE0EEENS1_30default_config_static_selectorELNS0_4arch9wavefront6targetE0EEEvT1_
	.globl	_ZN7rocprim17ROCPRIM_400000_NS6detail17trampoline_kernelINS0_14default_configENS1_25partition_config_selectorILNS1_17partition_subalgoE6EyNS0_10empty_typeEbEEZZNS1_14partition_implILS5_6ELb0ES3_mN6thrust23THRUST_200600_302600_NS6detail15normal_iteratorINSA_10device_ptrIyEEEEPS6_SG_NS0_5tupleIJSF_S6_EEENSH_IJSG_SG_EEES6_PlJNSB_9not_fun_tI7is_evenIyEEEEEE10hipError_tPvRmT3_T4_T5_T6_T7_T9_mT8_P12ihipStream_tbDpT10_ENKUlT_T0_E_clISt17integral_constantIbLb0EES18_EEDaS13_S14_EUlS13_E_NS1_11comp_targetILNS1_3genE3ELNS1_11target_archE908ELNS1_3gpuE7ELNS1_3repE0EEENS1_30default_config_static_selectorELNS0_4arch9wavefront6targetE0EEEvT1_
	.p2align	8
	.type	_ZN7rocprim17ROCPRIM_400000_NS6detail17trampoline_kernelINS0_14default_configENS1_25partition_config_selectorILNS1_17partition_subalgoE6EyNS0_10empty_typeEbEEZZNS1_14partition_implILS5_6ELb0ES3_mN6thrust23THRUST_200600_302600_NS6detail15normal_iteratorINSA_10device_ptrIyEEEEPS6_SG_NS0_5tupleIJSF_S6_EEENSH_IJSG_SG_EEES6_PlJNSB_9not_fun_tI7is_evenIyEEEEEE10hipError_tPvRmT3_T4_T5_T6_T7_T9_mT8_P12ihipStream_tbDpT10_ENKUlT_T0_E_clISt17integral_constantIbLb0EES18_EEDaS13_S14_EUlS13_E_NS1_11comp_targetILNS1_3genE3ELNS1_11target_archE908ELNS1_3gpuE7ELNS1_3repE0EEENS1_30default_config_static_selectorELNS0_4arch9wavefront6targetE0EEEvT1_,@function
_ZN7rocprim17ROCPRIM_400000_NS6detail17trampoline_kernelINS0_14default_configENS1_25partition_config_selectorILNS1_17partition_subalgoE6EyNS0_10empty_typeEbEEZZNS1_14partition_implILS5_6ELb0ES3_mN6thrust23THRUST_200600_302600_NS6detail15normal_iteratorINSA_10device_ptrIyEEEEPS6_SG_NS0_5tupleIJSF_S6_EEENSH_IJSG_SG_EEES6_PlJNSB_9not_fun_tI7is_evenIyEEEEEE10hipError_tPvRmT3_T4_T5_T6_T7_T9_mT8_P12ihipStream_tbDpT10_ENKUlT_T0_E_clISt17integral_constantIbLb0EES18_EEDaS13_S14_EUlS13_E_NS1_11comp_targetILNS1_3genE3ELNS1_11target_archE908ELNS1_3gpuE7ELNS1_3repE0EEENS1_30default_config_static_selectorELNS0_4arch9wavefront6targetE0EEEvT1_: ; @_ZN7rocprim17ROCPRIM_400000_NS6detail17trampoline_kernelINS0_14default_configENS1_25partition_config_selectorILNS1_17partition_subalgoE6EyNS0_10empty_typeEbEEZZNS1_14partition_implILS5_6ELb0ES3_mN6thrust23THRUST_200600_302600_NS6detail15normal_iteratorINSA_10device_ptrIyEEEEPS6_SG_NS0_5tupleIJSF_S6_EEENSH_IJSG_SG_EEES6_PlJNSB_9not_fun_tI7is_evenIyEEEEEE10hipError_tPvRmT3_T4_T5_T6_T7_T9_mT8_P12ihipStream_tbDpT10_ENKUlT_T0_E_clISt17integral_constantIbLb0EES18_EEDaS13_S14_EUlS13_E_NS1_11comp_targetILNS1_3genE3ELNS1_11target_archE908ELNS1_3gpuE7ELNS1_3repE0EEENS1_30default_config_static_selectorELNS0_4arch9wavefront6targetE0EEEvT1_
; %bb.0:
	.section	.rodata,"a",@progbits
	.p2align	6, 0x0
	.amdhsa_kernel _ZN7rocprim17ROCPRIM_400000_NS6detail17trampoline_kernelINS0_14default_configENS1_25partition_config_selectorILNS1_17partition_subalgoE6EyNS0_10empty_typeEbEEZZNS1_14partition_implILS5_6ELb0ES3_mN6thrust23THRUST_200600_302600_NS6detail15normal_iteratorINSA_10device_ptrIyEEEEPS6_SG_NS0_5tupleIJSF_S6_EEENSH_IJSG_SG_EEES6_PlJNSB_9not_fun_tI7is_evenIyEEEEEE10hipError_tPvRmT3_T4_T5_T6_T7_T9_mT8_P12ihipStream_tbDpT10_ENKUlT_T0_E_clISt17integral_constantIbLb0EES18_EEDaS13_S14_EUlS13_E_NS1_11comp_targetILNS1_3genE3ELNS1_11target_archE908ELNS1_3gpuE7ELNS1_3repE0EEENS1_30default_config_static_selectorELNS0_4arch9wavefront6targetE0EEEvT1_
		.amdhsa_group_segment_fixed_size 0
		.amdhsa_private_segment_fixed_size 0
		.amdhsa_kernarg_size 112
		.amdhsa_user_sgpr_count 2
		.amdhsa_user_sgpr_dispatch_ptr 0
		.amdhsa_user_sgpr_queue_ptr 0
		.amdhsa_user_sgpr_kernarg_segment_ptr 1
		.amdhsa_user_sgpr_dispatch_id 0
		.amdhsa_user_sgpr_private_segment_size 0
		.amdhsa_wavefront_size32 1
		.amdhsa_uses_dynamic_stack 0
		.amdhsa_enable_private_segment 0
		.amdhsa_system_sgpr_workgroup_id_x 1
		.amdhsa_system_sgpr_workgroup_id_y 0
		.amdhsa_system_sgpr_workgroup_id_z 0
		.amdhsa_system_sgpr_workgroup_info 0
		.amdhsa_system_vgpr_workitem_id 0
		.amdhsa_next_free_vgpr 1
		.amdhsa_next_free_sgpr 1
		.amdhsa_reserve_vcc 0
		.amdhsa_float_round_mode_32 0
		.amdhsa_float_round_mode_16_64 0
		.amdhsa_float_denorm_mode_32 3
		.amdhsa_float_denorm_mode_16_64 3
		.amdhsa_fp16_overflow 0
		.amdhsa_workgroup_processor_mode 1
		.amdhsa_memory_ordered 1
		.amdhsa_forward_progress 1
		.amdhsa_inst_pref_size 0
		.amdhsa_round_robin_scheduling 0
		.amdhsa_exception_fp_ieee_invalid_op 0
		.amdhsa_exception_fp_denorm_src 0
		.amdhsa_exception_fp_ieee_div_zero 0
		.amdhsa_exception_fp_ieee_overflow 0
		.amdhsa_exception_fp_ieee_underflow 0
		.amdhsa_exception_fp_ieee_inexact 0
		.amdhsa_exception_int_div_zero 0
	.end_amdhsa_kernel
	.section	.text._ZN7rocprim17ROCPRIM_400000_NS6detail17trampoline_kernelINS0_14default_configENS1_25partition_config_selectorILNS1_17partition_subalgoE6EyNS0_10empty_typeEbEEZZNS1_14partition_implILS5_6ELb0ES3_mN6thrust23THRUST_200600_302600_NS6detail15normal_iteratorINSA_10device_ptrIyEEEEPS6_SG_NS0_5tupleIJSF_S6_EEENSH_IJSG_SG_EEES6_PlJNSB_9not_fun_tI7is_evenIyEEEEEE10hipError_tPvRmT3_T4_T5_T6_T7_T9_mT8_P12ihipStream_tbDpT10_ENKUlT_T0_E_clISt17integral_constantIbLb0EES18_EEDaS13_S14_EUlS13_E_NS1_11comp_targetILNS1_3genE3ELNS1_11target_archE908ELNS1_3gpuE7ELNS1_3repE0EEENS1_30default_config_static_selectorELNS0_4arch9wavefront6targetE0EEEvT1_,"axG",@progbits,_ZN7rocprim17ROCPRIM_400000_NS6detail17trampoline_kernelINS0_14default_configENS1_25partition_config_selectorILNS1_17partition_subalgoE6EyNS0_10empty_typeEbEEZZNS1_14partition_implILS5_6ELb0ES3_mN6thrust23THRUST_200600_302600_NS6detail15normal_iteratorINSA_10device_ptrIyEEEEPS6_SG_NS0_5tupleIJSF_S6_EEENSH_IJSG_SG_EEES6_PlJNSB_9not_fun_tI7is_evenIyEEEEEE10hipError_tPvRmT3_T4_T5_T6_T7_T9_mT8_P12ihipStream_tbDpT10_ENKUlT_T0_E_clISt17integral_constantIbLb0EES18_EEDaS13_S14_EUlS13_E_NS1_11comp_targetILNS1_3genE3ELNS1_11target_archE908ELNS1_3gpuE7ELNS1_3repE0EEENS1_30default_config_static_selectorELNS0_4arch9wavefront6targetE0EEEvT1_,comdat
.Lfunc_end600:
	.size	_ZN7rocprim17ROCPRIM_400000_NS6detail17trampoline_kernelINS0_14default_configENS1_25partition_config_selectorILNS1_17partition_subalgoE6EyNS0_10empty_typeEbEEZZNS1_14partition_implILS5_6ELb0ES3_mN6thrust23THRUST_200600_302600_NS6detail15normal_iteratorINSA_10device_ptrIyEEEEPS6_SG_NS0_5tupleIJSF_S6_EEENSH_IJSG_SG_EEES6_PlJNSB_9not_fun_tI7is_evenIyEEEEEE10hipError_tPvRmT3_T4_T5_T6_T7_T9_mT8_P12ihipStream_tbDpT10_ENKUlT_T0_E_clISt17integral_constantIbLb0EES18_EEDaS13_S14_EUlS13_E_NS1_11comp_targetILNS1_3genE3ELNS1_11target_archE908ELNS1_3gpuE7ELNS1_3repE0EEENS1_30default_config_static_selectorELNS0_4arch9wavefront6targetE0EEEvT1_, .Lfunc_end600-_ZN7rocprim17ROCPRIM_400000_NS6detail17trampoline_kernelINS0_14default_configENS1_25partition_config_selectorILNS1_17partition_subalgoE6EyNS0_10empty_typeEbEEZZNS1_14partition_implILS5_6ELb0ES3_mN6thrust23THRUST_200600_302600_NS6detail15normal_iteratorINSA_10device_ptrIyEEEEPS6_SG_NS0_5tupleIJSF_S6_EEENSH_IJSG_SG_EEES6_PlJNSB_9not_fun_tI7is_evenIyEEEEEE10hipError_tPvRmT3_T4_T5_T6_T7_T9_mT8_P12ihipStream_tbDpT10_ENKUlT_T0_E_clISt17integral_constantIbLb0EES18_EEDaS13_S14_EUlS13_E_NS1_11comp_targetILNS1_3genE3ELNS1_11target_archE908ELNS1_3gpuE7ELNS1_3repE0EEENS1_30default_config_static_selectorELNS0_4arch9wavefront6targetE0EEEvT1_
                                        ; -- End function
	.set _ZN7rocprim17ROCPRIM_400000_NS6detail17trampoline_kernelINS0_14default_configENS1_25partition_config_selectorILNS1_17partition_subalgoE6EyNS0_10empty_typeEbEEZZNS1_14partition_implILS5_6ELb0ES3_mN6thrust23THRUST_200600_302600_NS6detail15normal_iteratorINSA_10device_ptrIyEEEEPS6_SG_NS0_5tupleIJSF_S6_EEENSH_IJSG_SG_EEES6_PlJNSB_9not_fun_tI7is_evenIyEEEEEE10hipError_tPvRmT3_T4_T5_T6_T7_T9_mT8_P12ihipStream_tbDpT10_ENKUlT_T0_E_clISt17integral_constantIbLb0EES18_EEDaS13_S14_EUlS13_E_NS1_11comp_targetILNS1_3genE3ELNS1_11target_archE908ELNS1_3gpuE7ELNS1_3repE0EEENS1_30default_config_static_selectorELNS0_4arch9wavefront6targetE0EEEvT1_.num_vgpr, 0
	.set _ZN7rocprim17ROCPRIM_400000_NS6detail17trampoline_kernelINS0_14default_configENS1_25partition_config_selectorILNS1_17partition_subalgoE6EyNS0_10empty_typeEbEEZZNS1_14partition_implILS5_6ELb0ES3_mN6thrust23THRUST_200600_302600_NS6detail15normal_iteratorINSA_10device_ptrIyEEEEPS6_SG_NS0_5tupleIJSF_S6_EEENSH_IJSG_SG_EEES6_PlJNSB_9not_fun_tI7is_evenIyEEEEEE10hipError_tPvRmT3_T4_T5_T6_T7_T9_mT8_P12ihipStream_tbDpT10_ENKUlT_T0_E_clISt17integral_constantIbLb0EES18_EEDaS13_S14_EUlS13_E_NS1_11comp_targetILNS1_3genE3ELNS1_11target_archE908ELNS1_3gpuE7ELNS1_3repE0EEENS1_30default_config_static_selectorELNS0_4arch9wavefront6targetE0EEEvT1_.num_agpr, 0
	.set _ZN7rocprim17ROCPRIM_400000_NS6detail17trampoline_kernelINS0_14default_configENS1_25partition_config_selectorILNS1_17partition_subalgoE6EyNS0_10empty_typeEbEEZZNS1_14partition_implILS5_6ELb0ES3_mN6thrust23THRUST_200600_302600_NS6detail15normal_iteratorINSA_10device_ptrIyEEEEPS6_SG_NS0_5tupleIJSF_S6_EEENSH_IJSG_SG_EEES6_PlJNSB_9not_fun_tI7is_evenIyEEEEEE10hipError_tPvRmT3_T4_T5_T6_T7_T9_mT8_P12ihipStream_tbDpT10_ENKUlT_T0_E_clISt17integral_constantIbLb0EES18_EEDaS13_S14_EUlS13_E_NS1_11comp_targetILNS1_3genE3ELNS1_11target_archE908ELNS1_3gpuE7ELNS1_3repE0EEENS1_30default_config_static_selectorELNS0_4arch9wavefront6targetE0EEEvT1_.numbered_sgpr, 0
	.set _ZN7rocprim17ROCPRIM_400000_NS6detail17trampoline_kernelINS0_14default_configENS1_25partition_config_selectorILNS1_17partition_subalgoE6EyNS0_10empty_typeEbEEZZNS1_14partition_implILS5_6ELb0ES3_mN6thrust23THRUST_200600_302600_NS6detail15normal_iteratorINSA_10device_ptrIyEEEEPS6_SG_NS0_5tupleIJSF_S6_EEENSH_IJSG_SG_EEES6_PlJNSB_9not_fun_tI7is_evenIyEEEEEE10hipError_tPvRmT3_T4_T5_T6_T7_T9_mT8_P12ihipStream_tbDpT10_ENKUlT_T0_E_clISt17integral_constantIbLb0EES18_EEDaS13_S14_EUlS13_E_NS1_11comp_targetILNS1_3genE3ELNS1_11target_archE908ELNS1_3gpuE7ELNS1_3repE0EEENS1_30default_config_static_selectorELNS0_4arch9wavefront6targetE0EEEvT1_.num_named_barrier, 0
	.set _ZN7rocprim17ROCPRIM_400000_NS6detail17trampoline_kernelINS0_14default_configENS1_25partition_config_selectorILNS1_17partition_subalgoE6EyNS0_10empty_typeEbEEZZNS1_14partition_implILS5_6ELb0ES3_mN6thrust23THRUST_200600_302600_NS6detail15normal_iteratorINSA_10device_ptrIyEEEEPS6_SG_NS0_5tupleIJSF_S6_EEENSH_IJSG_SG_EEES6_PlJNSB_9not_fun_tI7is_evenIyEEEEEE10hipError_tPvRmT3_T4_T5_T6_T7_T9_mT8_P12ihipStream_tbDpT10_ENKUlT_T0_E_clISt17integral_constantIbLb0EES18_EEDaS13_S14_EUlS13_E_NS1_11comp_targetILNS1_3genE3ELNS1_11target_archE908ELNS1_3gpuE7ELNS1_3repE0EEENS1_30default_config_static_selectorELNS0_4arch9wavefront6targetE0EEEvT1_.private_seg_size, 0
	.set _ZN7rocprim17ROCPRIM_400000_NS6detail17trampoline_kernelINS0_14default_configENS1_25partition_config_selectorILNS1_17partition_subalgoE6EyNS0_10empty_typeEbEEZZNS1_14partition_implILS5_6ELb0ES3_mN6thrust23THRUST_200600_302600_NS6detail15normal_iteratorINSA_10device_ptrIyEEEEPS6_SG_NS0_5tupleIJSF_S6_EEENSH_IJSG_SG_EEES6_PlJNSB_9not_fun_tI7is_evenIyEEEEEE10hipError_tPvRmT3_T4_T5_T6_T7_T9_mT8_P12ihipStream_tbDpT10_ENKUlT_T0_E_clISt17integral_constantIbLb0EES18_EEDaS13_S14_EUlS13_E_NS1_11comp_targetILNS1_3genE3ELNS1_11target_archE908ELNS1_3gpuE7ELNS1_3repE0EEENS1_30default_config_static_selectorELNS0_4arch9wavefront6targetE0EEEvT1_.uses_vcc, 0
	.set _ZN7rocprim17ROCPRIM_400000_NS6detail17trampoline_kernelINS0_14default_configENS1_25partition_config_selectorILNS1_17partition_subalgoE6EyNS0_10empty_typeEbEEZZNS1_14partition_implILS5_6ELb0ES3_mN6thrust23THRUST_200600_302600_NS6detail15normal_iteratorINSA_10device_ptrIyEEEEPS6_SG_NS0_5tupleIJSF_S6_EEENSH_IJSG_SG_EEES6_PlJNSB_9not_fun_tI7is_evenIyEEEEEE10hipError_tPvRmT3_T4_T5_T6_T7_T9_mT8_P12ihipStream_tbDpT10_ENKUlT_T0_E_clISt17integral_constantIbLb0EES18_EEDaS13_S14_EUlS13_E_NS1_11comp_targetILNS1_3genE3ELNS1_11target_archE908ELNS1_3gpuE7ELNS1_3repE0EEENS1_30default_config_static_selectorELNS0_4arch9wavefront6targetE0EEEvT1_.uses_flat_scratch, 0
	.set _ZN7rocprim17ROCPRIM_400000_NS6detail17trampoline_kernelINS0_14default_configENS1_25partition_config_selectorILNS1_17partition_subalgoE6EyNS0_10empty_typeEbEEZZNS1_14partition_implILS5_6ELb0ES3_mN6thrust23THRUST_200600_302600_NS6detail15normal_iteratorINSA_10device_ptrIyEEEEPS6_SG_NS0_5tupleIJSF_S6_EEENSH_IJSG_SG_EEES6_PlJNSB_9not_fun_tI7is_evenIyEEEEEE10hipError_tPvRmT3_T4_T5_T6_T7_T9_mT8_P12ihipStream_tbDpT10_ENKUlT_T0_E_clISt17integral_constantIbLb0EES18_EEDaS13_S14_EUlS13_E_NS1_11comp_targetILNS1_3genE3ELNS1_11target_archE908ELNS1_3gpuE7ELNS1_3repE0EEENS1_30default_config_static_selectorELNS0_4arch9wavefront6targetE0EEEvT1_.has_dyn_sized_stack, 0
	.set _ZN7rocprim17ROCPRIM_400000_NS6detail17trampoline_kernelINS0_14default_configENS1_25partition_config_selectorILNS1_17partition_subalgoE6EyNS0_10empty_typeEbEEZZNS1_14partition_implILS5_6ELb0ES3_mN6thrust23THRUST_200600_302600_NS6detail15normal_iteratorINSA_10device_ptrIyEEEEPS6_SG_NS0_5tupleIJSF_S6_EEENSH_IJSG_SG_EEES6_PlJNSB_9not_fun_tI7is_evenIyEEEEEE10hipError_tPvRmT3_T4_T5_T6_T7_T9_mT8_P12ihipStream_tbDpT10_ENKUlT_T0_E_clISt17integral_constantIbLb0EES18_EEDaS13_S14_EUlS13_E_NS1_11comp_targetILNS1_3genE3ELNS1_11target_archE908ELNS1_3gpuE7ELNS1_3repE0EEENS1_30default_config_static_selectorELNS0_4arch9wavefront6targetE0EEEvT1_.has_recursion, 0
	.set _ZN7rocprim17ROCPRIM_400000_NS6detail17trampoline_kernelINS0_14default_configENS1_25partition_config_selectorILNS1_17partition_subalgoE6EyNS0_10empty_typeEbEEZZNS1_14partition_implILS5_6ELb0ES3_mN6thrust23THRUST_200600_302600_NS6detail15normal_iteratorINSA_10device_ptrIyEEEEPS6_SG_NS0_5tupleIJSF_S6_EEENSH_IJSG_SG_EEES6_PlJNSB_9not_fun_tI7is_evenIyEEEEEE10hipError_tPvRmT3_T4_T5_T6_T7_T9_mT8_P12ihipStream_tbDpT10_ENKUlT_T0_E_clISt17integral_constantIbLb0EES18_EEDaS13_S14_EUlS13_E_NS1_11comp_targetILNS1_3genE3ELNS1_11target_archE908ELNS1_3gpuE7ELNS1_3repE0EEENS1_30default_config_static_selectorELNS0_4arch9wavefront6targetE0EEEvT1_.has_indirect_call, 0
	.section	.AMDGPU.csdata,"",@progbits
; Kernel info:
; codeLenInByte = 0
; TotalNumSgprs: 0
; NumVgprs: 0
; ScratchSize: 0
; MemoryBound: 0
; FloatMode: 240
; IeeeMode: 1
; LDSByteSize: 0 bytes/workgroup (compile time only)
; SGPRBlocks: 0
; VGPRBlocks: 0
; NumSGPRsForWavesPerEU: 1
; NumVGPRsForWavesPerEU: 1
; Occupancy: 16
; WaveLimiterHint : 0
; COMPUTE_PGM_RSRC2:SCRATCH_EN: 0
; COMPUTE_PGM_RSRC2:USER_SGPR: 2
; COMPUTE_PGM_RSRC2:TRAP_HANDLER: 0
; COMPUTE_PGM_RSRC2:TGID_X_EN: 1
; COMPUTE_PGM_RSRC2:TGID_Y_EN: 0
; COMPUTE_PGM_RSRC2:TGID_Z_EN: 0
; COMPUTE_PGM_RSRC2:TIDIG_COMP_CNT: 0
	.section	.text._ZN7rocprim17ROCPRIM_400000_NS6detail17trampoline_kernelINS0_14default_configENS1_25partition_config_selectorILNS1_17partition_subalgoE6EyNS0_10empty_typeEbEEZZNS1_14partition_implILS5_6ELb0ES3_mN6thrust23THRUST_200600_302600_NS6detail15normal_iteratorINSA_10device_ptrIyEEEEPS6_SG_NS0_5tupleIJSF_S6_EEENSH_IJSG_SG_EEES6_PlJNSB_9not_fun_tI7is_evenIyEEEEEE10hipError_tPvRmT3_T4_T5_T6_T7_T9_mT8_P12ihipStream_tbDpT10_ENKUlT_T0_E_clISt17integral_constantIbLb0EES18_EEDaS13_S14_EUlS13_E_NS1_11comp_targetILNS1_3genE2ELNS1_11target_archE906ELNS1_3gpuE6ELNS1_3repE0EEENS1_30default_config_static_selectorELNS0_4arch9wavefront6targetE0EEEvT1_,"axG",@progbits,_ZN7rocprim17ROCPRIM_400000_NS6detail17trampoline_kernelINS0_14default_configENS1_25partition_config_selectorILNS1_17partition_subalgoE6EyNS0_10empty_typeEbEEZZNS1_14partition_implILS5_6ELb0ES3_mN6thrust23THRUST_200600_302600_NS6detail15normal_iteratorINSA_10device_ptrIyEEEEPS6_SG_NS0_5tupleIJSF_S6_EEENSH_IJSG_SG_EEES6_PlJNSB_9not_fun_tI7is_evenIyEEEEEE10hipError_tPvRmT3_T4_T5_T6_T7_T9_mT8_P12ihipStream_tbDpT10_ENKUlT_T0_E_clISt17integral_constantIbLb0EES18_EEDaS13_S14_EUlS13_E_NS1_11comp_targetILNS1_3genE2ELNS1_11target_archE906ELNS1_3gpuE6ELNS1_3repE0EEENS1_30default_config_static_selectorELNS0_4arch9wavefront6targetE0EEEvT1_,comdat
	.protected	_ZN7rocprim17ROCPRIM_400000_NS6detail17trampoline_kernelINS0_14default_configENS1_25partition_config_selectorILNS1_17partition_subalgoE6EyNS0_10empty_typeEbEEZZNS1_14partition_implILS5_6ELb0ES3_mN6thrust23THRUST_200600_302600_NS6detail15normal_iteratorINSA_10device_ptrIyEEEEPS6_SG_NS0_5tupleIJSF_S6_EEENSH_IJSG_SG_EEES6_PlJNSB_9not_fun_tI7is_evenIyEEEEEE10hipError_tPvRmT3_T4_T5_T6_T7_T9_mT8_P12ihipStream_tbDpT10_ENKUlT_T0_E_clISt17integral_constantIbLb0EES18_EEDaS13_S14_EUlS13_E_NS1_11comp_targetILNS1_3genE2ELNS1_11target_archE906ELNS1_3gpuE6ELNS1_3repE0EEENS1_30default_config_static_selectorELNS0_4arch9wavefront6targetE0EEEvT1_ ; -- Begin function _ZN7rocprim17ROCPRIM_400000_NS6detail17trampoline_kernelINS0_14default_configENS1_25partition_config_selectorILNS1_17partition_subalgoE6EyNS0_10empty_typeEbEEZZNS1_14partition_implILS5_6ELb0ES3_mN6thrust23THRUST_200600_302600_NS6detail15normal_iteratorINSA_10device_ptrIyEEEEPS6_SG_NS0_5tupleIJSF_S6_EEENSH_IJSG_SG_EEES6_PlJNSB_9not_fun_tI7is_evenIyEEEEEE10hipError_tPvRmT3_T4_T5_T6_T7_T9_mT8_P12ihipStream_tbDpT10_ENKUlT_T0_E_clISt17integral_constantIbLb0EES18_EEDaS13_S14_EUlS13_E_NS1_11comp_targetILNS1_3genE2ELNS1_11target_archE906ELNS1_3gpuE6ELNS1_3repE0EEENS1_30default_config_static_selectorELNS0_4arch9wavefront6targetE0EEEvT1_
	.globl	_ZN7rocprim17ROCPRIM_400000_NS6detail17trampoline_kernelINS0_14default_configENS1_25partition_config_selectorILNS1_17partition_subalgoE6EyNS0_10empty_typeEbEEZZNS1_14partition_implILS5_6ELb0ES3_mN6thrust23THRUST_200600_302600_NS6detail15normal_iteratorINSA_10device_ptrIyEEEEPS6_SG_NS0_5tupleIJSF_S6_EEENSH_IJSG_SG_EEES6_PlJNSB_9not_fun_tI7is_evenIyEEEEEE10hipError_tPvRmT3_T4_T5_T6_T7_T9_mT8_P12ihipStream_tbDpT10_ENKUlT_T0_E_clISt17integral_constantIbLb0EES18_EEDaS13_S14_EUlS13_E_NS1_11comp_targetILNS1_3genE2ELNS1_11target_archE906ELNS1_3gpuE6ELNS1_3repE0EEENS1_30default_config_static_selectorELNS0_4arch9wavefront6targetE0EEEvT1_
	.p2align	8
	.type	_ZN7rocprim17ROCPRIM_400000_NS6detail17trampoline_kernelINS0_14default_configENS1_25partition_config_selectorILNS1_17partition_subalgoE6EyNS0_10empty_typeEbEEZZNS1_14partition_implILS5_6ELb0ES3_mN6thrust23THRUST_200600_302600_NS6detail15normal_iteratorINSA_10device_ptrIyEEEEPS6_SG_NS0_5tupleIJSF_S6_EEENSH_IJSG_SG_EEES6_PlJNSB_9not_fun_tI7is_evenIyEEEEEE10hipError_tPvRmT3_T4_T5_T6_T7_T9_mT8_P12ihipStream_tbDpT10_ENKUlT_T0_E_clISt17integral_constantIbLb0EES18_EEDaS13_S14_EUlS13_E_NS1_11comp_targetILNS1_3genE2ELNS1_11target_archE906ELNS1_3gpuE6ELNS1_3repE0EEENS1_30default_config_static_selectorELNS0_4arch9wavefront6targetE0EEEvT1_,@function
_ZN7rocprim17ROCPRIM_400000_NS6detail17trampoline_kernelINS0_14default_configENS1_25partition_config_selectorILNS1_17partition_subalgoE6EyNS0_10empty_typeEbEEZZNS1_14partition_implILS5_6ELb0ES3_mN6thrust23THRUST_200600_302600_NS6detail15normal_iteratorINSA_10device_ptrIyEEEEPS6_SG_NS0_5tupleIJSF_S6_EEENSH_IJSG_SG_EEES6_PlJNSB_9not_fun_tI7is_evenIyEEEEEE10hipError_tPvRmT3_T4_T5_T6_T7_T9_mT8_P12ihipStream_tbDpT10_ENKUlT_T0_E_clISt17integral_constantIbLb0EES18_EEDaS13_S14_EUlS13_E_NS1_11comp_targetILNS1_3genE2ELNS1_11target_archE906ELNS1_3gpuE6ELNS1_3repE0EEENS1_30default_config_static_selectorELNS0_4arch9wavefront6targetE0EEEvT1_: ; @_ZN7rocprim17ROCPRIM_400000_NS6detail17trampoline_kernelINS0_14default_configENS1_25partition_config_selectorILNS1_17partition_subalgoE6EyNS0_10empty_typeEbEEZZNS1_14partition_implILS5_6ELb0ES3_mN6thrust23THRUST_200600_302600_NS6detail15normal_iteratorINSA_10device_ptrIyEEEEPS6_SG_NS0_5tupleIJSF_S6_EEENSH_IJSG_SG_EEES6_PlJNSB_9not_fun_tI7is_evenIyEEEEEE10hipError_tPvRmT3_T4_T5_T6_T7_T9_mT8_P12ihipStream_tbDpT10_ENKUlT_T0_E_clISt17integral_constantIbLb0EES18_EEDaS13_S14_EUlS13_E_NS1_11comp_targetILNS1_3genE2ELNS1_11target_archE906ELNS1_3gpuE6ELNS1_3repE0EEENS1_30default_config_static_selectorELNS0_4arch9wavefront6targetE0EEEvT1_
; %bb.0:
	.section	.rodata,"a",@progbits
	.p2align	6, 0x0
	.amdhsa_kernel _ZN7rocprim17ROCPRIM_400000_NS6detail17trampoline_kernelINS0_14default_configENS1_25partition_config_selectorILNS1_17partition_subalgoE6EyNS0_10empty_typeEbEEZZNS1_14partition_implILS5_6ELb0ES3_mN6thrust23THRUST_200600_302600_NS6detail15normal_iteratorINSA_10device_ptrIyEEEEPS6_SG_NS0_5tupleIJSF_S6_EEENSH_IJSG_SG_EEES6_PlJNSB_9not_fun_tI7is_evenIyEEEEEE10hipError_tPvRmT3_T4_T5_T6_T7_T9_mT8_P12ihipStream_tbDpT10_ENKUlT_T0_E_clISt17integral_constantIbLb0EES18_EEDaS13_S14_EUlS13_E_NS1_11comp_targetILNS1_3genE2ELNS1_11target_archE906ELNS1_3gpuE6ELNS1_3repE0EEENS1_30default_config_static_selectorELNS0_4arch9wavefront6targetE0EEEvT1_
		.amdhsa_group_segment_fixed_size 0
		.amdhsa_private_segment_fixed_size 0
		.amdhsa_kernarg_size 112
		.amdhsa_user_sgpr_count 2
		.amdhsa_user_sgpr_dispatch_ptr 0
		.amdhsa_user_sgpr_queue_ptr 0
		.amdhsa_user_sgpr_kernarg_segment_ptr 1
		.amdhsa_user_sgpr_dispatch_id 0
		.amdhsa_user_sgpr_private_segment_size 0
		.amdhsa_wavefront_size32 1
		.amdhsa_uses_dynamic_stack 0
		.amdhsa_enable_private_segment 0
		.amdhsa_system_sgpr_workgroup_id_x 1
		.amdhsa_system_sgpr_workgroup_id_y 0
		.amdhsa_system_sgpr_workgroup_id_z 0
		.amdhsa_system_sgpr_workgroup_info 0
		.amdhsa_system_vgpr_workitem_id 0
		.amdhsa_next_free_vgpr 1
		.amdhsa_next_free_sgpr 1
		.amdhsa_reserve_vcc 0
		.amdhsa_float_round_mode_32 0
		.amdhsa_float_round_mode_16_64 0
		.amdhsa_float_denorm_mode_32 3
		.amdhsa_float_denorm_mode_16_64 3
		.amdhsa_fp16_overflow 0
		.amdhsa_workgroup_processor_mode 1
		.amdhsa_memory_ordered 1
		.amdhsa_forward_progress 1
		.amdhsa_inst_pref_size 0
		.amdhsa_round_robin_scheduling 0
		.amdhsa_exception_fp_ieee_invalid_op 0
		.amdhsa_exception_fp_denorm_src 0
		.amdhsa_exception_fp_ieee_div_zero 0
		.amdhsa_exception_fp_ieee_overflow 0
		.amdhsa_exception_fp_ieee_underflow 0
		.amdhsa_exception_fp_ieee_inexact 0
		.amdhsa_exception_int_div_zero 0
	.end_amdhsa_kernel
	.section	.text._ZN7rocprim17ROCPRIM_400000_NS6detail17trampoline_kernelINS0_14default_configENS1_25partition_config_selectorILNS1_17partition_subalgoE6EyNS0_10empty_typeEbEEZZNS1_14partition_implILS5_6ELb0ES3_mN6thrust23THRUST_200600_302600_NS6detail15normal_iteratorINSA_10device_ptrIyEEEEPS6_SG_NS0_5tupleIJSF_S6_EEENSH_IJSG_SG_EEES6_PlJNSB_9not_fun_tI7is_evenIyEEEEEE10hipError_tPvRmT3_T4_T5_T6_T7_T9_mT8_P12ihipStream_tbDpT10_ENKUlT_T0_E_clISt17integral_constantIbLb0EES18_EEDaS13_S14_EUlS13_E_NS1_11comp_targetILNS1_3genE2ELNS1_11target_archE906ELNS1_3gpuE6ELNS1_3repE0EEENS1_30default_config_static_selectorELNS0_4arch9wavefront6targetE0EEEvT1_,"axG",@progbits,_ZN7rocprim17ROCPRIM_400000_NS6detail17trampoline_kernelINS0_14default_configENS1_25partition_config_selectorILNS1_17partition_subalgoE6EyNS0_10empty_typeEbEEZZNS1_14partition_implILS5_6ELb0ES3_mN6thrust23THRUST_200600_302600_NS6detail15normal_iteratorINSA_10device_ptrIyEEEEPS6_SG_NS0_5tupleIJSF_S6_EEENSH_IJSG_SG_EEES6_PlJNSB_9not_fun_tI7is_evenIyEEEEEE10hipError_tPvRmT3_T4_T5_T6_T7_T9_mT8_P12ihipStream_tbDpT10_ENKUlT_T0_E_clISt17integral_constantIbLb0EES18_EEDaS13_S14_EUlS13_E_NS1_11comp_targetILNS1_3genE2ELNS1_11target_archE906ELNS1_3gpuE6ELNS1_3repE0EEENS1_30default_config_static_selectorELNS0_4arch9wavefront6targetE0EEEvT1_,comdat
.Lfunc_end601:
	.size	_ZN7rocprim17ROCPRIM_400000_NS6detail17trampoline_kernelINS0_14default_configENS1_25partition_config_selectorILNS1_17partition_subalgoE6EyNS0_10empty_typeEbEEZZNS1_14partition_implILS5_6ELb0ES3_mN6thrust23THRUST_200600_302600_NS6detail15normal_iteratorINSA_10device_ptrIyEEEEPS6_SG_NS0_5tupleIJSF_S6_EEENSH_IJSG_SG_EEES6_PlJNSB_9not_fun_tI7is_evenIyEEEEEE10hipError_tPvRmT3_T4_T5_T6_T7_T9_mT8_P12ihipStream_tbDpT10_ENKUlT_T0_E_clISt17integral_constantIbLb0EES18_EEDaS13_S14_EUlS13_E_NS1_11comp_targetILNS1_3genE2ELNS1_11target_archE906ELNS1_3gpuE6ELNS1_3repE0EEENS1_30default_config_static_selectorELNS0_4arch9wavefront6targetE0EEEvT1_, .Lfunc_end601-_ZN7rocprim17ROCPRIM_400000_NS6detail17trampoline_kernelINS0_14default_configENS1_25partition_config_selectorILNS1_17partition_subalgoE6EyNS0_10empty_typeEbEEZZNS1_14partition_implILS5_6ELb0ES3_mN6thrust23THRUST_200600_302600_NS6detail15normal_iteratorINSA_10device_ptrIyEEEEPS6_SG_NS0_5tupleIJSF_S6_EEENSH_IJSG_SG_EEES6_PlJNSB_9not_fun_tI7is_evenIyEEEEEE10hipError_tPvRmT3_T4_T5_T6_T7_T9_mT8_P12ihipStream_tbDpT10_ENKUlT_T0_E_clISt17integral_constantIbLb0EES18_EEDaS13_S14_EUlS13_E_NS1_11comp_targetILNS1_3genE2ELNS1_11target_archE906ELNS1_3gpuE6ELNS1_3repE0EEENS1_30default_config_static_selectorELNS0_4arch9wavefront6targetE0EEEvT1_
                                        ; -- End function
	.set _ZN7rocprim17ROCPRIM_400000_NS6detail17trampoline_kernelINS0_14default_configENS1_25partition_config_selectorILNS1_17partition_subalgoE6EyNS0_10empty_typeEbEEZZNS1_14partition_implILS5_6ELb0ES3_mN6thrust23THRUST_200600_302600_NS6detail15normal_iteratorINSA_10device_ptrIyEEEEPS6_SG_NS0_5tupleIJSF_S6_EEENSH_IJSG_SG_EEES6_PlJNSB_9not_fun_tI7is_evenIyEEEEEE10hipError_tPvRmT3_T4_T5_T6_T7_T9_mT8_P12ihipStream_tbDpT10_ENKUlT_T0_E_clISt17integral_constantIbLb0EES18_EEDaS13_S14_EUlS13_E_NS1_11comp_targetILNS1_3genE2ELNS1_11target_archE906ELNS1_3gpuE6ELNS1_3repE0EEENS1_30default_config_static_selectorELNS0_4arch9wavefront6targetE0EEEvT1_.num_vgpr, 0
	.set _ZN7rocprim17ROCPRIM_400000_NS6detail17trampoline_kernelINS0_14default_configENS1_25partition_config_selectorILNS1_17partition_subalgoE6EyNS0_10empty_typeEbEEZZNS1_14partition_implILS5_6ELb0ES3_mN6thrust23THRUST_200600_302600_NS6detail15normal_iteratorINSA_10device_ptrIyEEEEPS6_SG_NS0_5tupleIJSF_S6_EEENSH_IJSG_SG_EEES6_PlJNSB_9not_fun_tI7is_evenIyEEEEEE10hipError_tPvRmT3_T4_T5_T6_T7_T9_mT8_P12ihipStream_tbDpT10_ENKUlT_T0_E_clISt17integral_constantIbLb0EES18_EEDaS13_S14_EUlS13_E_NS1_11comp_targetILNS1_3genE2ELNS1_11target_archE906ELNS1_3gpuE6ELNS1_3repE0EEENS1_30default_config_static_selectorELNS0_4arch9wavefront6targetE0EEEvT1_.num_agpr, 0
	.set _ZN7rocprim17ROCPRIM_400000_NS6detail17trampoline_kernelINS0_14default_configENS1_25partition_config_selectorILNS1_17partition_subalgoE6EyNS0_10empty_typeEbEEZZNS1_14partition_implILS5_6ELb0ES3_mN6thrust23THRUST_200600_302600_NS6detail15normal_iteratorINSA_10device_ptrIyEEEEPS6_SG_NS0_5tupleIJSF_S6_EEENSH_IJSG_SG_EEES6_PlJNSB_9not_fun_tI7is_evenIyEEEEEE10hipError_tPvRmT3_T4_T5_T6_T7_T9_mT8_P12ihipStream_tbDpT10_ENKUlT_T0_E_clISt17integral_constantIbLb0EES18_EEDaS13_S14_EUlS13_E_NS1_11comp_targetILNS1_3genE2ELNS1_11target_archE906ELNS1_3gpuE6ELNS1_3repE0EEENS1_30default_config_static_selectorELNS0_4arch9wavefront6targetE0EEEvT1_.numbered_sgpr, 0
	.set _ZN7rocprim17ROCPRIM_400000_NS6detail17trampoline_kernelINS0_14default_configENS1_25partition_config_selectorILNS1_17partition_subalgoE6EyNS0_10empty_typeEbEEZZNS1_14partition_implILS5_6ELb0ES3_mN6thrust23THRUST_200600_302600_NS6detail15normal_iteratorINSA_10device_ptrIyEEEEPS6_SG_NS0_5tupleIJSF_S6_EEENSH_IJSG_SG_EEES6_PlJNSB_9not_fun_tI7is_evenIyEEEEEE10hipError_tPvRmT3_T4_T5_T6_T7_T9_mT8_P12ihipStream_tbDpT10_ENKUlT_T0_E_clISt17integral_constantIbLb0EES18_EEDaS13_S14_EUlS13_E_NS1_11comp_targetILNS1_3genE2ELNS1_11target_archE906ELNS1_3gpuE6ELNS1_3repE0EEENS1_30default_config_static_selectorELNS0_4arch9wavefront6targetE0EEEvT1_.num_named_barrier, 0
	.set _ZN7rocprim17ROCPRIM_400000_NS6detail17trampoline_kernelINS0_14default_configENS1_25partition_config_selectorILNS1_17partition_subalgoE6EyNS0_10empty_typeEbEEZZNS1_14partition_implILS5_6ELb0ES3_mN6thrust23THRUST_200600_302600_NS6detail15normal_iteratorINSA_10device_ptrIyEEEEPS6_SG_NS0_5tupleIJSF_S6_EEENSH_IJSG_SG_EEES6_PlJNSB_9not_fun_tI7is_evenIyEEEEEE10hipError_tPvRmT3_T4_T5_T6_T7_T9_mT8_P12ihipStream_tbDpT10_ENKUlT_T0_E_clISt17integral_constantIbLb0EES18_EEDaS13_S14_EUlS13_E_NS1_11comp_targetILNS1_3genE2ELNS1_11target_archE906ELNS1_3gpuE6ELNS1_3repE0EEENS1_30default_config_static_selectorELNS0_4arch9wavefront6targetE0EEEvT1_.private_seg_size, 0
	.set _ZN7rocprim17ROCPRIM_400000_NS6detail17trampoline_kernelINS0_14default_configENS1_25partition_config_selectorILNS1_17partition_subalgoE6EyNS0_10empty_typeEbEEZZNS1_14partition_implILS5_6ELb0ES3_mN6thrust23THRUST_200600_302600_NS6detail15normal_iteratorINSA_10device_ptrIyEEEEPS6_SG_NS0_5tupleIJSF_S6_EEENSH_IJSG_SG_EEES6_PlJNSB_9not_fun_tI7is_evenIyEEEEEE10hipError_tPvRmT3_T4_T5_T6_T7_T9_mT8_P12ihipStream_tbDpT10_ENKUlT_T0_E_clISt17integral_constantIbLb0EES18_EEDaS13_S14_EUlS13_E_NS1_11comp_targetILNS1_3genE2ELNS1_11target_archE906ELNS1_3gpuE6ELNS1_3repE0EEENS1_30default_config_static_selectorELNS0_4arch9wavefront6targetE0EEEvT1_.uses_vcc, 0
	.set _ZN7rocprim17ROCPRIM_400000_NS6detail17trampoline_kernelINS0_14default_configENS1_25partition_config_selectorILNS1_17partition_subalgoE6EyNS0_10empty_typeEbEEZZNS1_14partition_implILS5_6ELb0ES3_mN6thrust23THRUST_200600_302600_NS6detail15normal_iteratorINSA_10device_ptrIyEEEEPS6_SG_NS0_5tupleIJSF_S6_EEENSH_IJSG_SG_EEES6_PlJNSB_9not_fun_tI7is_evenIyEEEEEE10hipError_tPvRmT3_T4_T5_T6_T7_T9_mT8_P12ihipStream_tbDpT10_ENKUlT_T0_E_clISt17integral_constantIbLb0EES18_EEDaS13_S14_EUlS13_E_NS1_11comp_targetILNS1_3genE2ELNS1_11target_archE906ELNS1_3gpuE6ELNS1_3repE0EEENS1_30default_config_static_selectorELNS0_4arch9wavefront6targetE0EEEvT1_.uses_flat_scratch, 0
	.set _ZN7rocprim17ROCPRIM_400000_NS6detail17trampoline_kernelINS0_14default_configENS1_25partition_config_selectorILNS1_17partition_subalgoE6EyNS0_10empty_typeEbEEZZNS1_14partition_implILS5_6ELb0ES3_mN6thrust23THRUST_200600_302600_NS6detail15normal_iteratorINSA_10device_ptrIyEEEEPS6_SG_NS0_5tupleIJSF_S6_EEENSH_IJSG_SG_EEES6_PlJNSB_9not_fun_tI7is_evenIyEEEEEE10hipError_tPvRmT3_T4_T5_T6_T7_T9_mT8_P12ihipStream_tbDpT10_ENKUlT_T0_E_clISt17integral_constantIbLb0EES18_EEDaS13_S14_EUlS13_E_NS1_11comp_targetILNS1_3genE2ELNS1_11target_archE906ELNS1_3gpuE6ELNS1_3repE0EEENS1_30default_config_static_selectorELNS0_4arch9wavefront6targetE0EEEvT1_.has_dyn_sized_stack, 0
	.set _ZN7rocprim17ROCPRIM_400000_NS6detail17trampoline_kernelINS0_14default_configENS1_25partition_config_selectorILNS1_17partition_subalgoE6EyNS0_10empty_typeEbEEZZNS1_14partition_implILS5_6ELb0ES3_mN6thrust23THRUST_200600_302600_NS6detail15normal_iteratorINSA_10device_ptrIyEEEEPS6_SG_NS0_5tupleIJSF_S6_EEENSH_IJSG_SG_EEES6_PlJNSB_9not_fun_tI7is_evenIyEEEEEE10hipError_tPvRmT3_T4_T5_T6_T7_T9_mT8_P12ihipStream_tbDpT10_ENKUlT_T0_E_clISt17integral_constantIbLb0EES18_EEDaS13_S14_EUlS13_E_NS1_11comp_targetILNS1_3genE2ELNS1_11target_archE906ELNS1_3gpuE6ELNS1_3repE0EEENS1_30default_config_static_selectorELNS0_4arch9wavefront6targetE0EEEvT1_.has_recursion, 0
	.set _ZN7rocprim17ROCPRIM_400000_NS6detail17trampoline_kernelINS0_14default_configENS1_25partition_config_selectorILNS1_17partition_subalgoE6EyNS0_10empty_typeEbEEZZNS1_14partition_implILS5_6ELb0ES3_mN6thrust23THRUST_200600_302600_NS6detail15normal_iteratorINSA_10device_ptrIyEEEEPS6_SG_NS0_5tupleIJSF_S6_EEENSH_IJSG_SG_EEES6_PlJNSB_9not_fun_tI7is_evenIyEEEEEE10hipError_tPvRmT3_T4_T5_T6_T7_T9_mT8_P12ihipStream_tbDpT10_ENKUlT_T0_E_clISt17integral_constantIbLb0EES18_EEDaS13_S14_EUlS13_E_NS1_11comp_targetILNS1_3genE2ELNS1_11target_archE906ELNS1_3gpuE6ELNS1_3repE0EEENS1_30default_config_static_selectorELNS0_4arch9wavefront6targetE0EEEvT1_.has_indirect_call, 0
	.section	.AMDGPU.csdata,"",@progbits
; Kernel info:
; codeLenInByte = 0
; TotalNumSgprs: 0
; NumVgprs: 0
; ScratchSize: 0
; MemoryBound: 0
; FloatMode: 240
; IeeeMode: 1
; LDSByteSize: 0 bytes/workgroup (compile time only)
; SGPRBlocks: 0
; VGPRBlocks: 0
; NumSGPRsForWavesPerEU: 1
; NumVGPRsForWavesPerEU: 1
; Occupancy: 16
; WaveLimiterHint : 0
; COMPUTE_PGM_RSRC2:SCRATCH_EN: 0
; COMPUTE_PGM_RSRC2:USER_SGPR: 2
; COMPUTE_PGM_RSRC2:TRAP_HANDLER: 0
; COMPUTE_PGM_RSRC2:TGID_X_EN: 1
; COMPUTE_PGM_RSRC2:TGID_Y_EN: 0
; COMPUTE_PGM_RSRC2:TGID_Z_EN: 0
; COMPUTE_PGM_RSRC2:TIDIG_COMP_CNT: 0
	.section	.text._ZN7rocprim17ROCPRIM_400000_NS6detail17trampoline_kernelINS0_14default_configENS1_25partition_config_selectorILNS1_17partition_subalgoE6EyNS0_10empty_typeEbEEZZNS1_14partition_implILS5_6ELb0ES3_mN6thrust23THRUST_200600_302600_NS6detail15normal_iteratorINSA_10device_ptrIyEEEEPS6_SG_NS0_5tupleIJSF_S6_EEENSH_IJSG_SG_EEES6_PlJNSB_9not_fun_tI7is_evenIyEEEEEE10hipError_tPvRmT3_T4_T5_T6_T7_T9_mT8_P12ihipStream_tbDpT10_ENKUlT_T0_E_clISt17integral_constantIbLb0EES18_EEDaS13_S14_EUlS13_E_NS1_11comp_targetILNS1_3genE10ELNS1_11target_archE1200ELNS1_3gpuE4ELNS1_3repE0EEENS1_30default_config_static_selectorELNS0_4arch9wavefront6targetE0EEEvT1_,"axG",@progbits,_ZN7rocprim17ROCPRIM_400000_NS6detail17trampoline_kernelINS0_14default_configENS1_25partition_config_selectorILNS1_17partition_subalgoE6EyNS0_10empty_typeEbEEZZNS1_14partition_implILS5_6ELb0ES3_mN6thrust23THRUST_200600_302600_NS6detail15normal_iteratorINSA_10device_ptrIyEEEEPS6_SG_NS0_5tupleIJSF_S6_EEENSH_IJSG_SG_EEES6_PlJNSB_9not_fun_tI7is_evenIyEEEEEE10hipError_tPvRmT3_T4_T5_T6_T7_T9_mT8_P12ihipStream_tbDpT10_ENKUlT_T0_E_clISt17integral_constantIbLb0EES18_EEDaS13_S14_EUlS13_E_NS1_11comp_targetILNS1_3genE10ELNS1_11target_archE1200ELNS1_3gpuE4ELNS1_3repE0EEENS1_30default_config_static_selectorELNS0_4arch9wavefront6targetE0EEEvT1_,comdat
	.protected	_ZN7rocprim17ROCPRIM_400000_NS6detail17trampoline_kernelINS0_14default_configENS1_25partition_config_selectorILNS1_17partition_subalgoE6EyNS0_10empty_typeEbEEZZNS1_14partition_implILS5_6ELb0ES3_mN6thrust23THRUST_200600_302600_NS6detail15normal_iteratorINSA_10device_ptrIyEEEEPS6_SG_NS0_5tupleIJSF_S6_EEENSH_IJSG_SG_EEES6_PlJNSB_9not_fun_tI7is_evenIyEEEEEE10hipError_tPvRmT3_T4_T5_T6_T7_T9_mT8_P12ihipStream_tbDpT10_ENKUlT_T0_E_clISt17integral_constantIbLb0EES18_EEDaS13_S14_EUlS13_E_NS1_11comp_targetILNS1_3genE10ELNS1_11target_archE1200ELNS1_3gpuE4ELNS1_3repE0EEENS1_30default_config_static_selectorELNS0_4arch9wavefront6targetE0EEEvT1_ ; -- Begin function _ZN7rocprim17ROCPRIM_400000_NS6detail17trampoline_kernelINS0_14default_configENS1_25partition_config_selectorILNS1_17partition_subalgoE6EyNS0_10empty_typeEbEEZZNS1_14partition_implILS5_6ELb0ES3_mN6thrust23THRUST_200600_302600_NS6detail15normal_iteratorINSA_10device_ptrIyEEEEPS6_SG_NS0_5tupleIJSF_S6_EEENSH_IJSG_SG_EEES6_PlJNSB_9not_fun_tI7is_evenIyEEEEEE10hipError_tPvRmT3_T4_T5_T6_T7_T9_mT8_P12ihipStream_tbDpT10_ENKUlT_T0_E_clISt17integral_constantIbLb0EES18_EEDaS13_S14_EUlS13_E_NS1_11comp_targetILNS1_3genE10ELNS1_11target_archE1200ELNS1_3gpuE4ELNS1_3repE0EEENS1_30default_config_static_selectorELNS0_4arch9wavefront6targetE0EEEvT1_
	.globl	_ZN7rocprim17ROCPRIM_400000_NS6detail17trampoline_kernelINS0_14default_configENS1_25partition_config_selectorILNS1_17partition_subalgoE6EyNS0_10empty_typeEbEEZZNS1_14partition_implILS5_6ELb0ES3_mN6thrust23THRUST_200600_302600_NS6detail15normal_iteratorINSA_10device_ptrIyEEEEPS6_SG_NS0_5tupleIJSF_S6_EEENSH_IJSG_SG_EEES6_PlJNSB_9not_fun_tI7is_evenIyEEEEEE10hipError_tPvRmT3_T4_T5_T6_T7_T9_mT8_P12ihipStream_tbDpT10_ENKUlT_T0_E_clISt17integral_constantIbLb0EES18_EEDaS13_S14_EUlS13_E_NS1_11comp_targetILNS1_3genE10ELNS1_11target_archE1200ELNS1_3gpuE4ELNS1_3repE0EEENS1_30default_config_static_selectorELNS0_4arch9wavefront6targetE0EEEvT1_
	.p2align	8
	.type	_ZN7rocprim17ROCPRIM_400000_NS6detail17trampoline_kernelINS0_14default_configENS1_25partition_config_selectorILNS1_17partition_subalgoE6EyNS0_10empty_typeEbEEZZNS1_14partition_implILS5_6ELb0ES3_mN6thrust23THRUST_200600_302600_NS6detail15normal_iteratorINSA_10device_ptrIyEEEEPS6_SG_NS0_5tupleIJSF_S6_EEENSH_IJSG_SG_EEES6_PlJNSB_9not_fun_tI7is_evenIyEEEEEE10hipError_tPvRmT3_T4_T5_T6_T7_T9_mT8_P12ihipStream_tbDpT10_ENKUlT_T0_E_clISt17integral_constantIbLb0EES18_EEDaS13_S14_EUlS13_E_NS1_11comp_targetILNS1_3genE10ELNS1_11target_archE1200ELNS1_3gpuE4ELNS1_3repE0EEENS1_30default_config_static_selectorELNS0_4arch9wavefront6targetE0EEEvT1_,@function
_ZN7rocprim17ROCPRIM_400000_NS6detail17trampoline_kernelINS0_14default_configENS1_25partition_config_selectorILNS1_17partition_subalgoE6EyNS0_10empty_typeEbEEZZNS1_14partition_implILS5_6ELb0ES3_mN6thrust23THRUST_200600_302600_NS6detail15normal_iteratorINSA_10device_ptrIyEEEEPS6_SG_NS0_5tupleIJSF_S6_EEENSH_IJSG_SG_EEES6_PlJNSB_9not_fun_tI7is_evenIyEEEEEE10hipError_tPvRmT3_T4_T5_T6_T7_T9_mT8_P12ihipStream_tbDpT10_ENKUlT_T0_E_clISt17integral_constantIbLb0EES18_EEDaS13_S14_EUlS13_E_NS1_11comp_targetILNS1_3genE10ELNS1_11target_archE1200ELNS1_3gpuE4ELNS1_3repE0EEENS1_30default_config_static_selectorELNS0_4arch9wavefront6targetE0EEEvT1_: ; @_ZN7rocprim17ROCPRIM_400000_NS6detail17trampoline_kernelINS0_14default_configENS1_25partition_config_selectorILNS1_17partition_subalgoE6EyNS0_10empty_typeEbEEZZNS1_14partition_implILS5_6ELb0ES3_mN6thrust23THRUST_200600_302600_NS6detail15normal_iteratorINSA_10device_ptrIyEEEEPS6_SG_NS0_5tupleIJSF_S6_EEENSH_IJSG_SG_EEES6_PlJNSB_9not_fun_tI7is_evenIyEEEEEE10hipError_tPvRmT3_T4_T5_T6_T7_T9_mT8_P12ihipStream_tbDpT10_ENKUlT_T0_E_clISt17integral_constantIbLb0EES18_EEDaS13_S14_EUlS13_E_NS1_11comp_targetILNS1_3genE10ELNS1_11target_archE1200ELNS1_3gpuE4ELNS1_3repE0EEENS1_30default_config_static_selectorELNS0_4arch9wavefront6targetE0EEEvT1_
; %bb.0:
	s_clause 0x3
	s_load_b128 s[16:19], s[0:1], 0x8
	s_load_b128 s[8:11], s[0:1], 0x40
	s_load_b32 s3, s[0:1], 0x68
	s_load_b64 s[4:5], s[0:1], 0x50
	s_mov_b32 s13, 0
	s_lshl_b32 s2, ttmp9, 10
	v_lshrrev_b32_e32 v9, 2, v0
	v_or_b32_e32 v11, 0x200, v0
	v_or_b32_e32 v10, 0x300, v0
	s_mov_b32 s14, -1
	s_wait_kmcnt 0x0
	s_lshl_b64 s[20:21], s[18:19], 3
	s_load_b64 s[6:7], s[10:11], 0x0
	s_lshl_b32 s12, s3, 10
	s_add_co_i32 s3, s3, -1
	s_add_nc_u64 s[10:11], s[18:19], s[12:13]
	s_lshl_b32 s12, s3, 10
	v_cmp_le_u64_e64 s10, s[4:5], s[10:11]
	s_add_co_i32 s5, s18, s12
	s_cmp_eq_u32 ttmp9, s3
	s_mov_b32 s3, s13
	s_cselect_b32 s12, -1, 0
	s_lshl_b64 s[2:3], s[2:3], 3
	s_and_b32 s13, s12, s10
	s_add_nc_u64 s[10:11], s[16:17], s[20:21]
	s_xor_b32 s13, s13, -1
	s_wait_alu 0xfffe
	s_add_nc_u64 s[2:3], s[10:11], s[2:3]
	s_and_b32 vcc_lo, exec_lo, s13
	s_cbranch_vccz .LBB602_2
; %bb.1:
	v_lshlrev_b32_e32 v12, 3, v0
	v_or_b32_e32 v13, 0x100, v0
	v_lshrrev_b32_e32 v14, 2, v11
	v_lshrrev_b32_e32 v15, 2, v10
	v_and_b32_e32 v16, 56, v9
	v_add_co_u32 v1, s10, s2, v12
	s_wait_alu 0xf1ff
	v_add_co_ci_u32_e64 v2, null, s3, 0, s10
	v_lshrrev_b32_e32 v13, 2, v13
	v_and_b32_e32 v14, 0xb8, v14
	v_and_b32_e32 v15, 0xf8, v15
	s_clause 0x3
	flat_load_b64 v[3:4], v[1:2]
	flat_load_b64 v[5:6], v[1:2] offset:2048
	flat_load_b64 v[7:8], v[1:2] offset:4096
	;; [unrolled: 1-line block ×3, first 2 shown]
	v_add_nc_u32_e32 v16, v16, v12
	v_and_b32_e32 v13, 0x78, v13
	v_add_nc_u32_e32 v14, v14, v12
	s_mov_b32 s14, 0
	s_delay_alu instid0(VALU_DEP_2)
	v_add_nc_u32_e32 v13, v13, v12
	v_add_nc_u32_e32 v12, v15, v12
	s_wait_loadcnt_dscnt 0x303
	ds_store_b64 v16, v[3:4]
	s_wait_loadcnt_dscnt 0x203
	ds_store_b64 v13, v[5:6] offset:2048
	s_wait_loadcnt_dscnt 0x103
	ds_store_b64 v14, v[7:8] offset:4096
	;; [unrolled: 2-line block ×3, first 2 shown]
	s_wait_dscnt 0x0
	s_barrier_signal -1
	s_barrier_wait -1
.LBB602_2:
	s_and_not1_b32 vcc_lo, exec_lo, s14
	s_sub_co_i32 s4, s4, s5
	s_cbranch_vccnz .LBB602_10
; %bb.3:
	v_mov_b32_e32 v1, 0
	s_mov_b32 s5, exec_lo
	s_delay_alu instid0(VALU_DEP_1)
	v_dual_mov_b32 v2, v1 :: v_dual_mov_b32 v3, v1
	v_dual_mov_b32 v4, v1 :: v_dual_mov_b32 v5, v1
	v_dual_mov_b32 v6, v1 :: v_dual_mov_b32 v7, v1
	v_mov_b32_e32 v8, v1
	s_wait_alu 0xfffe
	v_cmpx_gt_u32_e64 s4, v0
	s_cbranch_execz .LBB602_5
; %bb.4:
	v_dual_mov_b32 v15, v1 :: v_dual_lshlrev_b32 v2, 3, v0
	v_dual_mov_b32 v14, v1 :: v_dual_mov_b32 v17, v1
	v_dual_mov_b32 v16, v1 :: v_dual_mov_b32 v19, v1
	s_delay_alu instid0(VALU_DEP_3)
	v_add_co_u32 v2, s10, s2, v2
	s_wait_alu 0xf1ff
	v_add_co_ci_u32_e64 v3, null, s3, 0, s10
	v_mov_b32_e32 v18, v1
	flat_load_b64 v[12:13], v[2:3]
	s_wait_loadcnt_dscnt 0x0
	v_dual_mov_b32 v1, v12 :: v_dual_mov_b32 v2, v13
	v_dual_mov_b32 v3, v14 :: v_dual_mov_b32 v4, v15
	;; [unrolled: 1-line block ×4, first 2 shown]
.LBB602_5:
	s_or_b32 exec_lo, exec_lo, s5
	v_or_b32_e32 v12, 0x100, v0
	s_mov_b32 s5, exec_lo
	s_delay_alu instid0(VALU_DEP_1)
	v_cmpx_gt_u32_e64 s4, v12
	s_cbranch_execnz .LBB602_128
; %bb.6:
	s_wait_alu 0xfffe
	s_or_b32 exec_lo, exec_lo, s5
	s_delay_alu instid0(SALU_CYCLE_1)
	s_mov_b32 s5, exec_lo
	v_cmpx_gt_u32_e64 s4, v11
	s_cbranch_execnz .LBB602_129
.LBB602_7:
	s_wait_alu 0xfffe
	s_or_b32 exec_lo, exec_lo, s5
	s_delay_alu instid0(SALU_CYCLE_1)
	s_mov_b32 s5, exec_lo
	v_cmpx_gt_u32_e64 s4, v10
	s_cbranch_execz .LBB602_9
.LBB602_8:
	v_lshlrev_b32_e32 v7, 3, v0
	s_delay_alu instid0(VALU_DEP_1)
	v_add_co_u32 v7, s2, s2, v7
	s_wait_alu 0xf1ff
	v_add_co_ci_u32_e64 v8, null, s3, 0, s2
	flat_load_b64 v[7:8], v[7:8] offset:6144
.LBB602_9:
	s_wait_alu 0xfffe
	s_or_b32 exec_lo, exec_lo, s5
	v_lshrrev_b32_e32 v12, 2, v12
	v_lshrrev_b32_e32 v11, 2, v11
	;; [unrolled: 1-line block ×3, first 2 shown]
	v_and_b32_e32 v9, 56, v9
	v_lshlrev_b32_e32 v13, 3, v0
	v_and_b32_e32 v12, 0x78, v12
	v_and_b32_e32 v11, 0xf8, v11
	v_and_b32_e32 v10, 0xf8, v10
	s_delay_alu instid0(VALU_DEP_4) | instskip(NEXT) | instid1(VALU_DEP_4)
	v_add_nc_u32_e32 v9, v9, v13
	v_add_nc_u32_e32 v12, v12, v13
	s_delay_alu instid0(VALU_DEP_4) | instskip(NEXT) | instid1(VALU_DEP_4)
	v_add_nc_u32_e32 v11, v11, v13
	v_add_nc_u32_e32 v10, v10, v13
	ds_store_b64 v9, v[1:2]
	s_wait_loadcnt_dscnt 0x1
	ds_store_b64 v12, v[3:4] offset:2048
	ds_store_b64 v11, v[5:6] offset:4096
	;; [unrolled: 1-line block ×3, first 2 shown]
	s_wait_dscnt 0x0
	s_barrier_signal -1
	s_barrier_wait -1
.LBB602_10:
	v_and_b32_e32 v1, 0xf8, v0
	global_inv scope:SCOPE_SE
	s_and_not1_b32 vcc_lo, exec_lo, s13
	v_lshl_add_u32 v1, v0, 5, v1
	ds_load_2addr_b64 v[5:8], v1 offset1:1
	ds_load_2addr_b64 v[1:4], v1 offset0:2 offset1:3
	s_wait_loadcnt_dscnt 0x0
	s_barrier_signal -1
	s_barrier_wait -1
	global_inv scope:SCOPE_SE
	s_cbranch_vccnz .LBB602_12
; %bb.11:
	v_and_b32_e32 v9, 1, v3
	v_and_b32_e32 v10, 1, v1
	;; [unrolled: 1-line block ×4, first 2 shown]
	s_delay_alu instid0(VALU_DEP_4) | instskip(NEXT) | instid1(VALU_DEP_1)
	v_lshlrev_b16 v9, 8, v9
	v_or_b32_e32 v26, v10, v9
	s_delay_alu instid0(VALU_DEP_4) | instskip(NEXT) | instid1(VALU_DEP_2)
	v_lshlrev_b16 v9, 8, v11
	v_lshlrev_b32_e32 v10, 16, v26
	s_delay_alu instid0(VALU_DEP_2) | instskip(SKIP_1) | instid1(VALU_DEP_3)
	v_and_b32_e32 v11, 0xffff, v9
	v_or_b32_e32 v28, v12, v9
	v_lshrrev_b32_e32 v25, 24, v10
	s_delay_alu instid0(VALU_DEP_3) | instskip(NEXT) | instid1(VALU_DEP_1)
	v_or_b32_e32 v11, v11, v10
	v_lshrrev_b32_e32 v27, 8, v11
	s_cbranch_execz .LBB602_13
	s_branch .LBB602_14
.LBB602_12:
                                        ; implicit-def: $vgpr28
                                        ; implicit-def: $vgpr27
                                        ; implicit-def: $vgpr26
                                        ; implicit-def: $vgpr25
.LBB602_13:
	v_lshlrev_b32_e32 v9, 2, v0
	s_delay_alu instid0(VALU_DEP_1)
	v_or_b32_e32 v10, 1, v9
	s_wait_alu 0xfffe
	v_cmp_gt_u32_e32 vcc_lo, s4, v9
	v_or_b32_e32 v11, 2, v9
	v_or_b32_e32 v9, 3, v9
	v_cndmask_b32_e64 v12, 0, 1, vcc_lo
	v_cmp_gt_u32_e32 vcc_lo, s4, v10
	s_delay_alu instid0(VALU_DEP_2) | instskip(SKIP_3) | instid1(VALU_DEP_2)
	v_and_b32_e32 v28, v12, v5
	s_wait_alu 0xfffd
	v_cndmask_b32_e64 v10, 0, 1, vcc_lo
	v_cmp_gt_u32_e32 vcc_lo, s4, v11
	v_and_b32_e32 v27, v10, v7
	s_wait_alu 0xfffd
	v_cndmask_b32_e64 v11, 0, 1, vcc_lo
	v_cmp_gt_u32_e32 vcc_lo, s4, v9
	s_delay_alu instid0(VALU_DEP_2) | instskip(SKIP_2) | instid1(VALU_DEP_1)
	v_and_b32_e32 v26, v11, v1
	s_wait_alu 0xfffd
	v_cndmask_b32_e64 v9, 0, 1, vcc_lo
	v_and_b32_e32 v25, v9, v3
.LBB602_14:
	s_load_b64 s[10:11], s[0:1], 0x60
	v_dual_mov_b32 v10, 0 :: v_dual_and_b32 v31, 0xff, v28
	v_and_b32_e32 v30, 0xff, v27
	v_and_b32_e32 v29, 0xff, v26
	v_mbcnt_lo_u32_b32 v32, -1, 0
	v_and_b32_e32 v9, 0xff, v25
	s_cmp_lg_u32 ttmp9, 0
	s_mov_b32 s3, -1
	v_add3_u32 v11, v30, v31, v29
	v_and_b32_e32 v33, 15, v32
	s_delay_alu instid0(VALU_DEP_2) | instskip(SKIP_2) | instid1(VALU_DEP_3)
	v_add_co_u32 v17, s2, v11, v9
	s_wait_alu 0xf1ff
	v_add_co_ci_u32_e64 v18, null, 0, 0, s2
	v_cmp_ne_u32_e64 s2, 0, v33
	s_cbranch_scc0 .LBB602_71
; %bb.15:
	v_mov_b32_e32 v11, v17
	v_mov_b32_dpp v9, v17 row_shr:1 row_mask:0xf bank_mask:0xf
	v_mov_b32_dpp v14, v10 row_shr:1 row_mask:0xf bank_mask:0xf
	v_dual_mov_b32 v13, v17 :: v_dual_mov_b32 v12, v18
	s_and_saveexec_b32 s3, s2
; %bb.16:
	s_delay_alu instid0(VALU_DEP_3) | instskip(SKIP_2) | instid1(VALU_DEP_2)
	v_add_co_u32 v13, vcc_lo, v17, v9
	s_wait_alu 0xfffd
	v_add_co_ci_u32_e64 v10, null, 0, v18, vcc_lo
	v_add_co_u32 v9, vcc_lo, 0, v13
	s_wait_alu 0xfffd
	s_delay_alu instid0(VALU_DEP_2) | instskip(NEXT) | instid1(VALU_DEP_1)
	v_add_co_ci_u32_e64 v10, null, v14, v10, vcc_lo
	v_dual_mov_b32 v12, v10 :: v_dual_mov_b32 v11, v9
; %bb.17:
	s_wait_alu 0xfffe
	s_or_b32 exec_lo, exec_lo, s3
	v_mov_b32_dpp v9, v13 row_shr:2 row_mask:0xf bank_mask:0xf
	v_mov_b32_dpp v14, v10 row_shr:2 row_mask:0xf bank_mask:0xf
	s_mov_b32 s3, exec_lo
	v_cmpx_lt_u32_e32 1, v33
; %bb.18:
	s_delay_alu instid0(VALU_DEP_3) | instskip(SKIP_2) | instid1(VALU_DEP_2)
	v_add_co_u32 v13, vcc_lo, v11, v9
	s_wait_alu 0xfffd
	v_add_co_ci_u32_e64 v10, null, 0, v12, vcc_lo
	v_add_co_u32 v9, vcc_lo, 0, v13
	s_wait_alu 0xfffd
	s_delay_alu instid0(VALU_DEP_2) | instskip(NEXT) | instid1(VALU_DEP_1)
	v_add_co_ci_u32_e64 v10, null, v14, v10, vcc_lo
	v_dual_mov_b32 v12, v10 :: v_dual_mov_b32 v11, v9
; %bb.19:
	s_wait_alu 0xfffe
	s_or_b32 exec_lo, exec_lo, s3
	v_mov_b32_dpp v9, v13 row_shr:4 row_mask:0xf bank_mask:0xf
	v_mov_b32_dpp v14, v10 row_shr:4 row_mask:0xf bank_mask:0xf
	s_mov_b32 s3, exec_lo
	v_cmpx_lt_u32_e32 3, v33
	;; [unrolled: 17-line block ×3, first 2 shown]
; %bb.22:
	s_delay_alu instid0(VALU_DEP_3) | instskip(SKIP_2) | instid1(VALU_DEP_2)
	v_add_co_u32 v13, vcc_lo, v11, v14
	s_wait_alu 0xfffd
	v_add_co_ci_u32_e64 v10, null, 0, v12, vcc_lo
	v_add_co_u32 v11, vcc_lo, 0, v13
	s_wait_alu 0xfffd
	s_delay_alu instid0(VALU_DEP_2) | instskip(NEXT) | instid1(VALU_DEP_1)
	v_add_co_ci_u32_e64 v12, null, v9, v10, vcc_lo
	v_mov_b32_e32 v10, v12
; %bb.23:
	s_wait_alu 0xfffe
	s_or_b32 exec_lo, exec_lo, s3
	ds_swizzle_b32 v9, v13 offset:swizzle(BROADCAST,32,15)
	ds_swizzle_b32 v14, v10 offset:swizzle(BROADCAST,32,15)
	v_and_b32_e32 v15, 16, v32
	s_mov_b32 s3, exec_lo
	s_delay_alu instid0(VALU_DEP_1)
	v_cmpx_ne_u32_e32 0, v15
	s_cbranch_execz .LBB602_25
; %bb.24:
	s_wait_dscnt 0x1
	v_add_co_u32 v13, vcc_lo, v11, v9
	s_wait_alu 0xfffd
	v_add_co_ci_u32_e64 v10, null, 0, v12, vcc_lo
	s_delay_alu instid0(VALU_DEP_2) | instskip(SKIP_2) | instid1(VALU_DEP_2)
	v_add_co_u32 v9, vcc_lo, 0, v13
	s_wait_dscnt 0x0
	s_wait_alu 0xfffd
	v_add_co_ci_u32_e64 v10, null, v14, v10, vcc_lo
	s_delay_alu instid0(VALU_DEP_1)
	v_dual_mov_b32 v12, v10 :: v_dual_mov_b32 v11, v9
.LBB602_25:
	s_wait_alu 0xfffe
	s_or_b32 exec_lo, exec_lo, s3
	s_wait_dscnt 0x0
	v_or_b32_e32 v14, 31, v0
	v_lshrrev_b32_e32 v9, 5, v0
	s_mov_b32 s3, exec_lo
	s_delay_alu instid0(VALU_DEP_2)
	v_cmpx_eq_u32_e64 v0, v14
; %bb.26:
	s_delay_alu instid0(VALU_DEP_2)
	v_lshlrev_b32_e32 v14, 3, v9
	ds_store_b64 v14, v[11:12]
; %bb.27:
	s_wait_alu 0xfffe
	s_or_b32 exec_lo, exec_lo, s3
	s_delay_alu instid0(SALU_CYCLE_1)
	s_mov_b32 s3, exec_lo
	s_wait_loadcnt_dscnt 0x0
	s_barrier_signal -1
	s_barrier_wait -1
	global_inv scope:SCOPE_SE
	v_cmpx_gt_u32_e32 8, v0
	s_cbranch_execz .LBB602_35
; %bb.28:
	v_lshlrev_b32_e32 v14, 3, v0
	s_mov_b32 s4, exec_lo
	ds_load_b64 v[11:12], v14
	s_wait_dscnt 0x0
	v_dual_mov_b32 v16, v11 :: v_dual_and_b32 v15, 7, v32
	v_mov_b32_dpp v20, v11 row_shr:1 row_mask:0xf bank_mask:0xf
	v_mov_b32_dpp v19, v12 row_shr:1 row_mask:0xf bank_mask:0xf
	s_delay_alu instid0(VALU_DEP_3)
	v_cmpx_ne_u32_e32 0, v15
; %bb.29:
	s_delay_alu instid0(VALU_DEP_3) | instskip(SKIP_2) | instid1(VALU_DEP_2)
	v_add_co_u32 v16, vcc_lo, v11, v20
	s_wait_alu 0xfffd
	v_add_co_ci_u32_e64 v12, null, 0, v12, vcc_lo
	v_add_co_u32 v11, vcc_lo, 0, v16
	s_wait_alu 0xfffd
	s_delay_alu instid0(VALU_DEP_2)
	v_add_co_ci_u32_e64 v12, null, v19, v12, vcc_lo
; %bb.30:
	s_wait_alu 0xfffe
	s_or_b32 exec_lo, exec_lo, s4
	v_mov_b32_dpp v20, v16 row_shr:2 row_mask:0xf bank_mask:0xf
	s_delay_alu instid0(VALU_DEP_2)
	v_mov_b32_dpp v19, v12 row_shr:2 row_mask:0xf bank_mask:0xf
	s_mov_b32 s4, exec_lo
	v_cmpx_lt_u32_e32 1, v15
; %bb.31:
	s_delay_alu instid0(VALU_DEP_3) | instskip(SKIP_2) | instid1(VALU_DEP_2)
	v_add_co_u32 v16, vcc_lo, v11, v20
	s_wait_alu 0xfffd
	v_add_co_ci_u32_e64 v12, null, 0, v12, vcc_lo
	v_add_co_u32 v11, vcc_lo, 0, v16
	s_wait_alu 0xfffd
	s_delay_alu instid0(VALU_DEP_2)
	v_add_co_ci_u32_e64 v12, null, v19, v12, vcc_lo
; %bb.32:
	s_wait_alu 0xfffe
	s_or_b32 exec_lo, exec_lo, s4
	v_mov_b32_dpp v19, v16 row_shr:4 row_mask:0xf bank_mask:0xf
	s_delay_alu instid0(VALU_DEP_2)
	v_mov_b32_dpp v16, v12 row_shr:4 row_mask:0xf bank_mask:0xf
	s_mov_b32 s4, exec_lo
	v_cmpx_lt_u32_e32 3, v15
; %bb.33:
	s_delay_alu instid0(VALU_DEP_3) | instskip(SKIP_2) | instid1(VALU_DEP_2)
	v_add_co_u32 v11, vcc_lo, v11, v19
	s_wait_alu 0xfffd
	v_add_co_ci_u32_e64 v12, null, 0, v12, vcc_lo
	v_add_co_u32 v11, vcc_lo, v11, 0
	s_wait_alu 0xfffd
	s_delay_alu instid0(VALU_DEP_2)
	v_add_co_ci_u32_e64 v12, null, v12, v16, vcc_lo
; %bb.34:
	s_wait_alu 0xfffe
	s_or_b32 exec_lo, exec_lo, s4
	ds_store_b64 v14, v[11:12]
.LBB602_35:
	s_wait_alu 0xfffe
	s_or_b32 exec_lo, exec_lo, s3
	s_delay_alu instid0(SALU_CYCLE_1)
	s_mov_b32 s4, exec_lo
	v_cmp_gt_u32_e32 vcc_lo, 32, v0
	s_wait_loadcnt_dscnt 0x0
	s_barrier_signal -1
	s_barrier_wait -1
	global_inv scope:SCOPE_SE
                                        ; implicit-def: $vgpr19_vgpr20
	v_cmpx_lt_u32_e32 31, v0
	s_cbranch_execz .LBB602_37
; %bb.36:
	v_lshl_add_u32 v9, v9, 3, -8
	ds_load_b64 v[19:20], v9
	s_wait_dscnt 0x0
	v_add_co_u32 v13, s3, v13, v19
	s_wait_alu 0xf1ff
	v_add_co_ci_u32_e64 v10, null, v10, v20, s3
.LBB602_37:
	s_wait_alu 0xfffe
	s_or_b32 exec_lo, exec_lo, s4
	v_sub_co_u32 v9, s3, v32, 1
	s_delay_alu instid0(VALU_DEP_1) | instskip(SKIP_1) | instid1(VALU_DEP_1)
	v_cmp_gt_i32_e64 s4, 0, v9
	s_wait_alu 0xf1ff
	v_cndmask_b32_e64 v9, v9, v32, s4
	s_delay_alu instid0(VALU_DEP_1)
	v_lshlrev_b32_e32 v9, 2, v9
	ds_bpermute_b32 v34, v9, v13
	ds_bpermute_b32 v35, v9, v10
	s_and_saveexec_b32 s4, vcc_lo
	s_cbranch_execz .LBB602_76
; %bb.38:
	v_mov_b32_e32 v12, 0
	ds_load_b64 v[9:10], v12 offset:56
	s_and_saveexec_b32 s5, s3
	s_cbranch_execz .LBB602_40
; %bb.39:
	s_add_co_i32 s14, ttmp9, 32
	s_mov_b32 s15, 0
	s_delay_alu instid0(SALU_CYCLE_1)
	s_lshl_b64 s[14:15], s[14:15], 4
	s_wait_kmcnt 0x0
	s_add_nc_u64 s[14:15], s[10:11], s[14:15]
	v_mov_b32_e32 v11, 1
	v_dual_mov_b32 v13, s14 :: v_dual_mov_b32 v14, s15
	s_wait_dscnt 0x0
	;;#ASMSTART
	global_store_b128 v[13:14], v[9:12] off scope:SCOPE_DEV	
s_wait_storecnt 0x0
	;;#ASMEND
.LBB602_40:
	s_wait_alu 0xfffe
	s_or_b32 exec_lo, exec_lo, s5
	v_xad_u32 v21, v32, -1, ttmp9
	s_mov_b32 s14, 0
	s_mov_b32 s5, exec_lo
	s_delay_alu instid0(VALU_DEP_1) | instskip(NEXT) | instid1(VALU_DEP_1)
	v_add_nc_u32_e32 v11, 32, v21
	v_lshlrev_b64_e32 v[11:12], 4, v[11:12]
	s_wait_kmcnt 0x0
	s_delay_alu instid0(VALU_DEP_1) | instskip(SKIP_1) | instid1(VALU_DEP_2)
	v_add_co_u32 v11, vcc_lo, s10, v11
	s_wait_alu 0xfffd
	v_add_co_ci_u32_e64 v12, null, s11, v12, vcc_lo
	;;#ASMSTART
	global_load_b128 v[13:16], v[11:12] off scope:SCOPE_DEV	
s_wait_loadcnt 0x0
	;;#ASMEND
	v_and_b32_e32 v16, 0xff, v15
	s_delay_alu instid0(VALU_DEP_1)
	v_cmpx_eq_u16_e32 0, v16
	s_cbranch_execz .LBB602_43
.LBB602_41:                             ; =>This Inner Loop Header: Depth=1
	;;#ASMSTART
	global_load_b128 v[13:16], v[11:12] off scope:SCOPE_DEV	
s_wait_loadcnt 0x0
	;;#ASMEND
	v_and_b32_e32 v16, 0xff, v15
	s_delay_alu instid0(VALU_DEP_1)
	v_cmp_ne_u16_e32 vcc_lo, 0, v16
	s_wait_alu 0xfffe
	s_or_b32 s14, vcc_lo, s14
	s_wait_alu 0xfffe
	s_and_not1_b32 exec_lo, exec_lo, s14
	s_cbranch_execnz .LBB602_41
; %bb.42:
	s_or_b32 exec_lo, exec_lo, s14
.LBB602_43:
	s_wait_alu 0xfffe
	s_or_b32 exec_lo, exec_lo, s5
	v_cmp_ne_u32_e32 vcc_lo, 31, v32
	v_and_b32_e32 v12, 0xff, v15
	v_lshlrev_b32_e64 v37, v32, -1
	s_mov_b32 s5, exec_lo
	s_wait_alu 0xfffd
	v_add_co_ci_u32_e64 v11, null, 0, v32, vcc_lo
	v_cmp_eq_u16_e32 vcc_lo, 2, v12
	v_mov_b32_e32 v12, v13
	s_delay_alu instid0(VALU_DEP_3)
	v_lshlrev_b32_e32 v36, 2, v11
	s_wait_alu 0xfffd
	v_and_or_b32 v11, vcc_lo, v37, 0x80000000
	ds_bpermute_b32 v22, v36, v13
	ds_bpermute_b32 v16, v36, v14
	v_ctz_i32_b32_e32 v11, v11
	s_delay_alu instid0(VALU_DEP_1)
	v_cmpx_lt_u32_e64 v32, v11
	s_cbranch_execz .LBB602_45
; %bb.44:
	s_wait_dscnt 0x1
	v_add_co_u32 v12, vcc_lo, v13, v22
	s_wait_alu 0xfffd
	v_add_co_ci_u32_e64 v14, null, 0, v14, vcc_lo
	s_delay_alu instid0(VALU_DEP_2) | instskip(SKIP_2) | instid1(VALU_DEP_2)
	v_add_co_u32 v13, vcc_lo, 0, v12
	s_wait_dscnt 0x0
	s_wait_alu 0xfffd
	v_add_co_ci_u32_e64 v14, null, v16, v14, vcc_lo
.LBB602_45:
	s_wait_alu 0xfffe
	s_or_b32 exec_lo, exec_lo, s5
	v_cmp_gt_u32_e32 vcc_lo, 30, v32
	v_add_nc_u32_e32 v39, 2, v32
	s_mov_b32 s5, exec_lo
	s_wait_dscnt 0x0
	s_wait_alu 0xfffd
	v_cndmask_b32_e64 v16, 0, 2, vcc_lo
	s_delay_alu instid0(VALU_DEP_1)
	v_add_lshl_u32 v38, v16, v32, 2
	ds_bpermute_b32 v22, v38, v12
	ds_bpermute_b32 v16, v38, v14
	v_cmpx_le_u32_e64 v39, v11
	s_cbranch_execz .LBB602_47
; %bb.46:
	s_wait_dscnt 0x1
	v_add_co_u32 v12, vcc_lo, v13, v22
	s_wait_alu 0xfffd
	v_add_co_ci_u32_e64 v14, null, 0, v14, vcc_lo
	s_delay_alu instid0(VALU_DEP_2) | instskip(SKIP_2) | instid1(VALU_DEP_2)
	v_add_co_u32 v13, vcc_lo, 0, v12
	s_wait_dscnt 0x0
	s_wait_alu 0xfffd
	v_add_co_ci_u32_e64 v14, null, v16, v14, vcc_lo
.LBB602_47:
	s_wait_alu 0xfffe
	s_or_b32 exec_lo, exec_lo, s5
	v_cmp_gt_u32_e32 vcc_lo, 28, v32
	v_add_nc_u32_e32 v41, 4, v32
	s_mov_b32 s5, exec_lo
	s_wait_dscnt 0x0
	s_wait_alu 0xfffd
	v_cndmask_b32_e64 v16, 0, 4, vcc_lo
	s_delay_alu instid0(VALU_DEP_1)
	v_add_lshl_u32 v40, v16, v32, 2
	ds_bpermute_b32 v22, v40, v12
	ds_bpermute_b32 v16, v40, v14
	v_cmpx_le_u32_e64 v41, v11
	;; [unrolled: 25-line block ×3, first 2 shown]
	s_cbranch_execz .LBB602_51
; %bb.50:
	s_wait_dscnt 0x1
	v_add_co_u32 v12, vcc_lo, v13, v22
	s_wait_alu 0xfffd
	v_add_co_ci_u32_e64 v14, null, 0, v14, vcc_lo
	s_delay_alu instid0(VALU_DEP_2) | instskip(SKIP_2) | instid1(VALU_DEP_2)
	v_add_co_u32 v13, vcc_lo, 0, v12
	s_wait_dscnt 0x0
	s_wait_alu 0xfffd
	v_add_co_ci_u32_e64 v14, null, v16, v14, vcc_lo
.LBB602_51:
	s_wait_alu 0xfffe
	s_or_b32 exec_lo, exec_lo, s5
	v_lshl_or_b32 v44, v32, 2, 64
	v_add_nc_u32_e32 v45, 16, v32
	s_mov_b32 s5, exec_lo
	s_wait_dscnt 0x0
	ds_bpermute_b32 v16, v44, v12
	ds_bpermute_b32 v12, v44, v14
	v_cmpx_le_u32_e64 v45, v11
	s_cbranch_execz .LBB602_53
; %bb.52:
	s_wait_dscnt 0x1
	v_add_co_u32 v11, vcc_lo, v13, v16
	s_wait_alu 0xfffd
	v_add_co_ci_u32_e64 v14, null, 0, v14, vcc_lo
	s_delay_alu instid0(VALU_DEP_2) | instskip(SKIP_2) | instid1(VALU_DEP_2)
	v_add_co_u32 v13, vcc_lo, v11, 0
	s_wait_dscnt 0x0
	s_wait_alu 0xfffd
	v_add_co_ci_u32_e64 v14, null, v14, v12, vcc_lo
.LBB602_53:
	s_wait_alu 0xfffe
	s_or_b32 exec_lo, exec_lo, s5
	v_mov_b32_e32 v22, 0
	s_branch .LBB602_56
.LBB602_54:                             ;   in Loop: Header=BB602_56 Depth=1
	s_wait_alu 0xfffe
	s_or_b32 exec_lo, exec_lo, s5
	v_add_co_u32 v13, vcc_lo, v13, v11
	v_subrev_nc_u32_e32 v21, 32, v21
	s_wait_alu 0xfffd
	v_add_co_ci_u32_e64 v14, null, v14, v12, vcc_lo
	s_mov_b32 s5, 0
.LBB602_55:                             ;   in Loop: Header=BB602_56 Depth=1
	s_wait_alu 0xfffe
	s_and_b32 vcc_lo, exec_lo, s5
	s_wait_alu 0xfffe
	s_cbranch_vccnz .LBB602_72
.LBB602_56:                             ; =>This Loop Header: Depth=1
                                        ;     Child Loop BB602_59 Depth 2
	v_and_b32_e32 v11, 0xff, v15
	s_mov_b32 s5, -1
	s_delay_alu instid0(VALU_DEP_1)
	v_cmp_ne_u16_e32 vcc_lo, 2, v11
	s_wait_dscnt 0x0
	v_dual_mov_b32 v11, v13 :: v_dual_mov_b32 v12, v14
                                        ; implicit-def: $vgpr13_vgpr14
	s_cmp_lg_u32 vcc_lo, exec_lo
	s_cbranch_scc1 .LBB602_55
; %bb.57:                               ;   in Loop: Header=BB602_56 Depth=1
	v_lshlrev_b64_e32 v[13:14], 4, v[21:22]
	s_mov_b32 s5, exec_lo
	s_delay_alu instid0(VALU_DEP_1) | instskip(SKIP_1) | instid1(VALU_DEP_2)
	v_add_co_u32 v23, vcc_lo, s10, v13
	s_wait_alu 0xfffd
	v_add_co_ci_u32_e64 v24, null, s11, v14, vcc_lo
	;;#ASMSTART
	global_load_b128 v[13:16], v[23:24] off scope:SCOPE_DEV	
s_wait_loadcnt 0x0
	;;#ASMEND
	v_and_b32_e32 v16, 0xff, v15
	s_delay_alu instid0(VALU_DEP_1)
	v_cmpx_eq_u16_e32 0, v16
	s_cbranch_execz .LBB602_61
; %bb.58:                               ;   in Loop: Header=BB602_56 Depth=1
	s_mov_b32 s14, 0
.LBB602_59:                             ;   Parent Loop BB602_56 Depth=1
                                        ; =>  This Inner Loop Header: Depth=2
	;;#ASMSTART
	global_load_b128 v[13:16], v[23:24] off scope:SCOPE_DEV	
s_wait_loadcnt 0x0
	;;#ASMEND
	v_and_b32_e32 v16, 0xff, v15
	s_delay_alu instid0(VALU_DEP_1)
	v_cmp_ne_u16_e32 vcc_lo, 0, v16
	s_wait_alu 0xfffe
	s_or_b32 s14, vcc_lo, s14
	s_wait_alu 0xfffe
	s_and_not1_b32 exec_lo, exec_lo, s14
	s_cbranch_execnz .LBB602_59
; %bb.60:                               ;   in Loop: Header=BB602_56 Depth=1
	s_or_b32 exec_lo, exec_lo, s14
.LBB602_61:                             ;   in Loop: Header=BB602_56 Depth=1
	s_wait_alu 0xfffe
	s_or_b32 exec_lo, exec_lo, s5
	v_dual_mov_b32 v23, v13 :: v_dual_and_b32 v16, 0xff, v15
	ds_bpermute_b32 v46, v36, v13
	ds_bpermute_b32 v24, v36, v14
	s_mov_b32 s5, exec_lo
	v_cmp_eq_u16_e32 vcc_lo, 2, v16
	s_wait_alu 0xfffd
	v_and_or_b32 v16, vcc_lo, v37, 0x80000000
	s_delay_alu instid0(VALU_DEP_1) | instskip(NEXT) | instid1(VALU_DEP_1)
	v_ctz_i32_b32_e32 v16, v16
	v_cmpx_lt_u32_e64 v32, v16
	s_cbranch_execz .LBB602_63
; %bb.62:                               ;   in Loop: Header=BB602_56 Depth=1
	s_wait_dscnt 0x1
	v_add_co_u32 v23, vcc_lo, v13, v46
	s_wait_alu 0xfffd
	v_add_co_ci_u32_e64 v14, null, 0, v14, vcc_lo
	s_delay_alu instid0(VALU_DEP_2) | instskip(SKIP_2) | instid1(VALU_DEP_2)
	v_add_co_u32 v13, vcc_lo, 0, v23
	s_wait_dscnt 0x0
	s_wait_alu 0xfffd
	v_add_co_ci_u32_e64 v14, null, v24, v14, vcc_lo
.LBB602_63:                             ;   in Loop: Header=BB602_56 Depth=1
	s_wait_alu 0xfffe
	s_or_b32 exec_lo, exec_lo, s5
	s_wait_dscnt 0x1
	ds_bpermute_b32 v46, v38, v23
	s_wait_dscnt 0x1
	ds_bpermute_b32 v24, v38, v14
	s_mov_b32 s5, exec_lo
	v_cmpx_le_u32_e64 v39, v16
	s_cbranch_execz .LBB602_65
; %bb.64:                               ;   in Loop: Header=BB602_56 Depth=1
	s_wait_dscnt 0x1
	v_add_co_u32 v23, vcc_lo, v13, v46
	s_wait_alu 0xfffd
	v_add_co_ci_u32_e64 v14, null, 0, v14, vcc_lo
	s_delay_alu instid0(VALU_DEP_2) | instskip(SKIP_2) | instid1(VALU_DEP_2)
	v_add_co_u32 v13, vcc_lo, 0, v23
	s_wait_dscnt 0x0
	s_wait_alu 0xfffd
	v_add_co_ci_u32_e64 v14, null, v24, v14, vcc_lo
.LBB602_65:                             ;   in Loop: Header=BB602_56 Depth=1
	s_wait_alu 0xfffe
	s_or_b32 exec_lo, exec_lo, s5
	s_wait_dscnt 0x1
	ds_bpermute_b32 v46, v40, v23
	s_wait_dscnt 0x1
	ds_bpermute_b32 v24, v40, v14
	s_mov_b32 s5, exec_lo
	v_cmpx_le_u32_e64 v41, v16
	;; [unrolled: 20-line block ×3, first 2 shown]
	s_cbranch_execz .LBB602_69
; %bb.68:                               ;   in Loop: Header=BB602_56 Depth=1
	s_wait_dscnt 0x1
	v_add_co_u32 v23, vcc_lo, v13, v46
	s_wait_alu 0xfffd
	v_add_co_ci_u32_e64 v14, null, 0, v14, vcc_lo
	s_delay_alu instid0(VALU_DEP_2) | instskip(SKIP_2) | instid1(VALU_DEP_2)
	v_add_co_u32 v13, vcc_lo, 0, v23
	s_wait_dscnt 0x0
	s_wait_alu 0xfffd
	v_add_co_ci_u32_e64 v14, null, v24, v14, vcc_lo
.LBB602_69:                             ;   in Loop: Header=BB602_56 Depth=1
	s_wait_alu 0xfffe
	s_or_b32 exec_lo, exec_lo, s5
	s_wait_dscnt 0x0
	ds_bpermute_b32 v24, v44, v23
	ds_bpermute_b32 v23, v44, v14
	s_mov_b32 s5, exec_lo
	v_cmpx_le_u32_e64 v45, v16
	s_cbranch_execz .LBB602_54
; %bb.70:                               ;   in Loop: Header=BB602_56 Depth=1
	s_wait_dscnt 0x1
	v_add_co_u32 v13, vcc_lo, v13, v24
	s_wait_alu 0xfffd
	v_add_co_ci_u32_e64 v14, null, 0, v14, vcc_lo
	s_delay_alu instid0(VALU_DEP_2) | instskip(SKIP_2) | instid1(VALU_DEP_2)
	v_add_co_u32 v13, vcc_lo, v13, 0
	s_wait_dscnt 0x0
	s_wait_alu 0xfffd
	v_add_co_ci_u32_e64 v14, null, v14, v23, vcc_lo
	s_branch .LBB602_54
.LBB602_71:
                                        ; implicit-def: $vgpr15_vgpr16
                                        ; implicit-def: $vgpr13_vgpr14
                                        ; implicit-def: $vgpr19_vgpr20
                                        ; implicit-def: $vgpr21_vgpr22
                                        ; implicit-def: $vgpr11_vgpr12
	s_wait_alu 0xfffe
	s_and_b32 vcc_lo, exec_lo, s3
	s_wait_alu 0xfffe
	s_cbranch_vccnz .LBB602_77
	s_branch .LBB602_102
.LBB602_72:
	s_and_saveexec_b32 s5, s3
	s_cbranch_execz .LBB602_74
; %bb.73:
	s_add_co_i32 s14, ttmp9, 32
	s_mov_b32 s15, 0
	v_add_co_u32 v13, vcc_lo, v11, v9
	s_wait_alu 0xfffe
	s_lshl_b64 s[14:15], s[14:15], 4
	v_dual_mov_b32 v15, 2 :: v_dual_mov_b32 v16, 0
	s_wait_alu 0xfffe
	s_add_nc_u64 s[14:15], s[10:11], s[14:15]
	s_wait_alu 0xfffd
	v_add_co_ci_u32_e64 v14, null, v12, v10, vcc_lo
	s_wait_alu 0xfffe
	v_dual_mov_b32 v22, s15 :: v_dual_mov_b32 v21, s14
	;;#ASMSTART
	global_store_b128 v[21:22], v[13:16] off scope:SCOPE_DEV	
s_wait_storecnt 0x0
	;;#ASMEND
	ds_store_b128 v16, v[9:12] offset:8448
.LBB602_74:
	s_wait_alu 0xfffe
	s_or_b32 exec_lo, exec_lo, s5
	v_cmp_eq_u32_e32 vcc_lo, 0, v0
	s_and_b32 exec_lo, exec_lo, vcc_lo
; %bb.75:
	v_mov_b32_e32 v9, 0
	ds_store_b64 v9, v[11:12] offset:56
.LBB602_76:
	s_wait_alu 0xfffe
	s_or_b32 exec_lo, exec_lo, s4
	s_wait_dscnt 0x1
	v_cndmask_b32_e64 v10, v34, v19, s3
	v_cmp_ne_u32_e32 vcc_lo, 0, v0
	v_mov_b32_e32 v9, 0
	s_wait_loadcnt_dscnt 0x0
	s_barrier_signal -1
	s_barrier_wait -1
	global_inv scope:SCOPE_SE
	s_wait_alu 0xfffd
	v_cndmask_b32_e32 v16, 0, v10, vcc_lo
	ds_load_b64 v[13:14], v9 offset:56
	v_cndmask_b32_e64 v11, v35, v20, s3
	s_wait_loadcnt_dscnt 0x0
	s_barrier_signal -1
	s_barrier_wait -1
	global_inv scope:SCOPE_SE
	v_cndmask_b32_e32 v15, 0, v11, vcc_lo
	ds_load_b128 v[9:12], v9 offset:8448
	v_add_co_u32 v21, vcc_lo, v13, v16
	s_wait_alu 0xfffd
	v_add_co_ci_u32_e64 v22, null, v14, v15, vcc_lo
	s_delay_alu instid0(VALU_DEP_2) | instskip(SKIP_1) | instid1(VALU_DEP_2)
	v_add_co_u32 v19, vcc_lo, v21, v31
	s_wait_alu 0xfffd
	v_add_co_ci_u32_e64 v20, null, 0, v22, vcc_lo
	s_delay_alu instid0(VALU_DEP_2) | instskip(SKIP_1) | instid1(VALU_DEP_2)
	;; [unrolled: 4-line block ×3, first 2 shown]
	v_add_co_u32 v15, vcc_lo, v13, v29
	s_wait_alu 0xfffd
	v_add_co_ci_u32_e64 v16, null, 0, v14, vcc_lo
	s_branch .LBB602_102
.LBB602_77:
	s_wait_dscnt 0x0
	v_dual_mov_b32 v10, 0 :: v_dual_mov_b32 v11, v17
	v_mov_b32_dpp v12, v17 row_shr:1 row_mask:0xf bank_mask:0xf
	s_delay_alu instid0(VALU_DEP_2)
	v_mov_b32_dpp v9, v10 row_shr:1 row_mask:0xf bank_mask:0xf
	s_and_saveexec_b32 s3, s2
; %bb.78:
	s_delay_alu instid0(VALU_DEP_2) | instskip(SKIP_2) | instid1(VALU_DEP_2)
	v_add_co_u32 v11, vcc_lo, v17, v12
	s_wait_alu 0xfffd
	v_add_co_ci_u32_e64 v10, null, 0, v18, vcc_lo
	v_add_co_u32 v17, vcc_lo, 0, v11
	s_wait_alu 0xfffd
	s_delay_alu instid0(VALU_DEP_2) | instskip(NEXT) | instid1(VALU_DEP_1)
	v_add_co_ci_u32_e64 v18, null, v9, v10, vcc_lo
	v_mov_b32_e32 v10, v18
; %bb.79:
	s_wait_alu 0xfffe
	s_or_b32 exec_lo, exec_lo, s3
	v_mov_b32_dpp v9, v11 row_shr:2 row_mask:0xf bank_mask:0xf
	s_delay_alu instid0(VALU_DEP_2)
	v_mov_b32_dpp v12, v10 row_shr:2 row_mask:0xf bank_mask:0xf
	s_mov_b32 s2, exec_lo
	v_cmpx_lt_u32_e32 1, v33
; %bb.80:
	s_delay_alu instid0(VALU_DEP_3) | instskip(SKIP_2) | instid1(VALU_DEP_2)
	v_add_co_u32 v11, vcc_lo, v17, v9
	s_wait_alu 0xfffd
	v_add_co_ci_u32_e64 v10, null, 0, v18, vcc_lo
	v_add_co_u32 v9, vcc_lo, 0, v11
	s_wait_alu 0xfffd
	s_delay_alu instid0(VALU_DEP_2) | instskip(NEXT) | instid1(VALU_DEP_1)
	v_add_co_ci_u32_e64 v10, null, v12, v10, vcc_lo
	v_dual_mov_b32 v18, v10 :: v_dual_mov_b32 v17, v9
; %bb.81:
	s_wait_alu 0xfffe
	s_or_b32 exec_lo, exec_lo, s2
	v_mov_b32_dpp v9, v11 row_shr:4 row_mask:0xf bank_mask:0xf
	v_mov_b32_dpp v12, v10 row_shr:4 row_mask:0xf bank_mask:0xf
	s_mov_b32 s2, exec_lo
	v_cmpx_lt_u32_e32 3, v33
; %bb.82:
	s_delay_alu instid0(VALU_DEP_3) | instskip(SKIP_2) | instid1(VALU_DEP_2)
	v_add_co_u32 v11, vcc_lo, v17, v9
	s_wait_alu 0xfffd
	v_add_co_ci_u32_e64 v10, null, 0, v18, vcc_lo
	v_add_co_u32 v9, vcc_lo, 0, v11
	s_wait_alu 0xfffd
	s_delay_alu instid0(VALU_DEP_2) | instskip(NEXT) | instid1(VALU_DEP_1)
	v_add_co_ci_u32_e64 v10, null, v12, v10, vcc_lo
	v_dual_mov_b32 v18, v10 :: v_dual_mov_b32 v17, v9
; %bb.83:
	s_wait_alu 0xfffe
	s_or_b32 exec_lo, exec_lo, s2
	v_mov_b32_dpp v12, v11 row_shr:8 row_mask:0xf bank_mask:0xf
	v_mov_b32_dpp v9, v10 row_shr:8 row_mask:0xf bank_mask:0xf
	s_mov_b32 s2, exec_lo
	v_cmpx_lt_u32_e32 7, v33
; %bb.84:
	s_delay_alu instid0(VALU_DEP_3) | instskip(SKIP_2) | instid1(VALU_DEP_2)
	v_add_co_u32 v11, vcc_lo, v17, v12
	s_wait_alu 0xfffd
	v_add_co_ci_u32_e64 v10, null, 0, v18, vcc_lo
	v_add_co_u32 v17, vcc_lo, 0, v11
	s_wait_alu 0xfffd
	s_delay_alu instid0(VALU_DEP_2) | instskip(NEXT) | instid1(VALU_DEP_1)
	v_add_co_ci_u32_e64 v18, null, v9, v10, vcc_lo
	v_mov_b32_e32 v10, v18
; %bb.85:
	s_wait_alu 0xfffe
	s_or_b32 exec_lo, exec_lo, s2
	ds_swizzle_b32 v11, v11 offset:swizzle(BROADCAST,32,15)
	ds_swizzle_b32 v9, v10 offset:swizzle(BROADCAST,32,15)
	v_and_b32_e32 v10, 16, v32
	s_mov_b32 s2, exec_lo
	s_delay_alu instid0(VALU_DEP_1)
	v_cmpx_ne_u32_e32 0, v10
	s_cbranch_execz .LBB602_87
; %bb.86:
	s_wait_dscnt 0x1
	v_add_co_u32 v10, vcc_lo, v17, v11
	s_wait_alu 0xfffd
	v_add_co_ci_u32_e64 v11, null, 0, v18, vcc_lo
	s_delay_alu instid0(VALU_DEP_2) | instskip(SKIP_2) | instid1(VALU_DEP_2)
	v_add_co_u32 v17, vcc_lo, v10, 0
	s_wait_dscnt 0x0
	s_wait_alu 0xfffd
	v_add_co_ci_u32_e64 v18, null, v11, v9, vcc_lo
.LBB602_87:
	s_wait_alu 0xfffe
	s_or_b32 exec_lo, exec_lo, s2
	s_wait_dscnt 0x0
	v_or_b32_e32 v9, 31, v0
	v_lshrrev_b32_e32 v11, 5, v0
	s_mov_b32 s2, exec_lo
	s_delay_alu instid0(VALU_DEP_2)
	v_cmpx_eq_u32_e64 v0, v9
; %bb.88:
	s_delay_alu instid0(VALU_DEP_2)
	v_lshlrev_b32_e32 v9, 3, v11
	ds_store_b64 v9, v[17:18]
; %bb.89:
	s_wait_alu 0xfffe
	s_or_b32 exec_lo, exec_lo, s2
	s_delay_alu instid0(SALU_CYCLE_1)
	s_mov_b32 s2, exec_lo
	s_wait_loadcnt_dscnt 0x0
	s_barrier_signal -1
	s_barrier_wait -1
	global_inv scope:SCOPE_SE
	v_cmpx_gt_u32_e32 8, v0
	s_cbranch_execz .LBB602_97
; %bb.90:
	v_lshlrev_b32_e32 v12, 3, v0
	s_mov_b32 s3, exec_lo
	ds_load_b64 v[9:10], v12
	s_wait_dscnt 0x0
	v_dual_mov_b32 v14, v9 :: v_dual_and_b32 v13, 7, v32
	v_mov_b32_dpp v16, v9 row_shr:1 row_mask:0xf bank_mask:0xf
	v_mov_b32_dpp v15, v10 row_shr:1 row_mask:0xf bank_mask:0xf
	s_delay_alu instid0(VALU_DEP_3)
	v_cmpx_ne_u32_e32 0, v13
; %bb.91:
	s_delay_alu instid0(VALU_DEP_3) | instskip(SKIP_2) | instid1(VALU_DEP_2)
	v_add_co_u32 v14, vcc_lo, v9, v16
	s_wait_alu 0xfffd
	v_add_co_ci_u32_e64 v10, null, 0, v10, vcc_lo
	v_add_co_u32 v9, vcc_lo, 0, v14
	s_wait_alu 0xfffd
	s_delay_alu instid0(VALU_DEP_2)
	v_add_co_ci_u32_e64 v10, null, v15, v10, vcc_lo
; %bb.92:
	s_wait_alu 0xfffe
	s_or_b32 exec_lo, exec_lo, s3
	v_mov_b32_dpp v16, v14 row_shr:2 row_mask:0xf bank_mask:0xf
	s_delay_alu instid0(VALU_DEP_2)
	v_mov_b32_dpp v15, v10 row_shr:2 row_mask:0xf bank_mask:0xf
	s_mov_b32 s3, exec_lo
	v_cmpx_lt_u32_e32 1, v13
; %bb.93:
	s_delay_alu instid0(VALU_DEP_3) | instskip(SKIP_2) | instid1(VALU_DEP_2)
	v_add_co_u32 v14, vcc_lo, v9, v16
	s_wait_alu 0xfffd
	v_add_co_ci_u32_e64 v10, null, 0, v10, vcc_lo
	v_add_co_u32 v9, vcc_lo, 0, v14
	s_wait_alu 0xfffd
	s_delay_alu instid0(VALU_DEP_2)
	v_add_co_ci_u32_e64 v10, null, v15, v10, vcc_lo
; %bb.94:
	s_wait_alu 0xfffe
	s_or_b32 exec_lo, exec_lo, s3
	v_mov_b32_dpp v15, v14 row_shr:4 row_mask:0xf bank_mask:0xf
	s_delay_alu instid0(VALU_DEP_2)
	v_mov_b32_dpp v14, v10 row_shr:4 row_mask:0xf bank_mask:0xf
	s_mov_b32 s3, exec_lo
	v_cmpx_lt_u32_e32 3, v13
; %bb.95:
	s_delay_alu instid0(VALU_DEP_3) | instskip(SKIP_2) | instid1(VALU_DEP_2)
	v_add_co_u32 v9, vcc_lo, v9, v15
	s_wait_alu 0xfffd
	v_add_co_ci_u32_e64 v10, null, 0, v10, vcc_lo
	v_add_co_u32 v9, vcc_lo, v9, 0
	s_wait_alu 0xfffd
	s_delay_alu instid0(VALU_DEP_2)
	v_add_co_ci_u32_e64 v10, null, v10, v14, vcc_lo
; %bb.96:
	s_wait_alu 0xfffe
	s_or_b32 exec_lo, exec_lo, s3
	ds_store_b64 v12, v[9:10]
.LBB602_97:
	s_wait_alu 0xfffe
	s_or_b32 exec_lo, exec_lo, s2
	v_mov_b32_e32 v13, 0
	v_mov_b32_e32 v14, 0
	s_mov_b32 s2, exec_lo
	s_wait_loadcnt_dscnt 0x0
	s_barrier_signal -1
	s_barrier_wait -1
	global_inv scope:SCOPE_SE
	v_cmpx_lt_u32_e32 31, v0
; %bb.98:
	v_lshl_add_u32 v9, v11, 3, -8
	ds_load_b64 v[13:14], v9
; %bb.99:
	s_wait_alu 0xfffe
	s_or_b32 exec_lo, exec_lo, s2
	v_sub_co_u32 v9, vcc_lo, v32, 1
	v_mov_b32_e32 v12, 0
	s_delay_alu instid0(VALU_DEP_2) | instskip(SKIP_1) | instid1(VALU_DEP_1)
	v_cmp_gt_i32_e64 s2, 0, v9
	s_wait_alu 0xf1ff
	v_cndmask_b32_e64 v9, v9, v32, s2
	s_wait_dscnt 0x0
	v_add_co_u32 v10, s2, v13, v17
	s_wait_alu 0xf1ff
	v_add_co_ci_u32_e64 v11, null, v14, v18, s2
	v_lshlrev_b32_e32 v9, 2, v9
	v_cmp_eq_u32_e64 s2, 0, v0
	ds_bpermute_b32 v15, v9, v10
	ds_bpermute_b32 v16, v9, v11
	ds_load_b64 v[9:10], v12 offset:56
	s_and_saveexec_b32 s3, s2
	s_cbranch_execz .LBB602_101
; %bb.100:
	s_wait_kmcnt 0x0
	s_add_nc_u64 s[4:5], s[10:11], 0x200
	s_wait_alu 0xfffe
	v_dual_mov_b32 v11, 2 :: v_dual_mov_b32 v18, s5
	v_mov_b32_e32 v17, s4
	s_wait_dscnt 0x0
	;;#ASMSTART
	global_store_b128 v[17:18], v[9:12] off scope:SCOPE_DEV	
s_wait_storecnt 0x0
	;;#ASMEND
.LBB602_101:
	s_wait_alu 0xfffe
	s_or_b32 exec_lo, exec_lo, s3
	s_wait_dscnt 0x1
	s_wait_alu 0xfffd
	v_dual_cndmask_b32 v11, v15, v13 :: v_dual_cndmask_b32 v12, v16, v14
	s_wait_loadcnt_dscnt 0x0
	s_barrier_signal -1
	s_barrier_wait -1
	s_delay_alu instid0(VALU_DEP_1)
	v_cndmask_b32_e64 v21, v11, 0, s2
	v_cndmask_b32_e64 v22, v12, 0, s2
	v_mov_b32_e32 v11, 0
	v_mov_b32_e32 v12, 0
	global_inv scope:SCOPE_SE
	v_add_co_u32 v19, vcc_lo, v21, v31
	s_wait_alu 0xfffd
	v_add_co_ci_u32_e64 v20, null, 0, v22, vcc_lo
	s_delay_alu instid0(VALU_DEP_2) | instskip(SKIP_1) | instid1(VALU_DEP_2)
	v_add_co_u32 v13, vcc_lo, v19, v30
	s_wait_alu 0xfffd
	v_add_co_ci_u32_e64 v14, null, 0, v20, vcc_lo
	s_delay_alu instid0(VALU_DEP_2) | instskip(SKIP_1) | instid1(VALU_DEP_2)
	v_add_co_u32 v15, vcc_lo, v13, v29
	s_wait_alu 0xfffd
	v_add_co_ci_u32_e64 v16, null, 0, v14, vcc_lo
.LBB602_102:
	s_load_b64 s[2:3], s[0:1], 0x28
	v_and_b32_e32 v23, 1, v28
	s_wait_dscnt 0x0
	v_cmp_gt_u64_e32 vcc_lo, 0x101, v[9:10]
	s_mov_b32 s1, -1
	s_delay_alu instid0(VALU_DEP_2)
	v_cmp_eq_u32_e64 s0, 1, v23
	s_cbranch_vccnz .LBB602_106
; %bb.103:
	s_wait_alu 0xfffe
	s_and_b32 vcc_lo, exec_lo, s1
	s_wait_alu 0xfffe
	s_cbranch_vccnz .LBB602_115
.LBB602_104:
	v_cmp_eq_u32_e32 vcc_lo, 0, v0
	s_and_b32 s0, vcc_lo, s12
	s_wait_alu 0xfffe
	s_and_saveexec_b32 s1, s0
	s_cbranch_execnz .LBB602_127
.LBB602_105:
	s_endpgm
.LBB602_106:
	v_add_co_u32 v17, vcc_lo, v11, v9
	s_wait_alu 0xfffd
	v_add_co_ci_u32_e64 v18, null, v12, v10, vcc_lo
	s_wait_kmcnt 0x0
	s_lshl_b64 s[4:5], s[6:7], 3
	s_wait_alu 0xfffe
	s_add_nc_u64 s[4:5], s[2:3], s[4:5]
	v_cmp_lt_u64_e32 vcc_lo, v[21:22], v[17:18]
	s_or_b32 s1, s13, vcc_lo
	s_wait_alu 0xfffe
	s_and_b32 s1, s1, s0
	s_wait_alu 0xfffe
	s_and_saveexec_b32 s0, s1
	s_cbranch_execz .LBB602_108
; %bb.107:
	v_lshlrev_b64_e32 v[28:29], 3, v[21:22]
	s_delay_alu instid0(VALU_DEP_1) | instskip(SKIP_1) | instid1(VALU_DEP_2)
	v_add_co_u32 v28, vcc_lo, s4, v28
	s_wait_alu 0xfffd
	v_add_co_ci_u32_e64 v29, null, s5, v29, vcc_lo
	global_store_b64 v[28:29], v[5:6], off
.LBB602_108:
	s_wait_alu 0xfffe
	s_or_b32 exec_lo, exec_lo, s0
	v_and_b32_e32 v22, 1, v27
	v_cmp_lt_u64_e32 vcc_lo, v[19:20], v[17:18]
	s_delay_alu instid0(VALU_DEP_2)
	v_cmp_eq_u32_e64 s0, 1, v22
	s_or_b32 s1, s13, vcc_lo
	s_wait_alu 0xfffe
	s_and_b32 s1, s1, s0
	s_wait_alu 0xfffe
	s_and_saveexec_b32 s0, s1
	s_cbranch_execz .LBB602_110
; %bb.109:
	v_lshlrev_b64_e32 v[28:29], 3, v[19:20]
	s_delay_alu instid0(VALU_DEP_1) | instskip(SKIP_1) | instid1(VALU_DEP_2)
	v_add_co_u32 v28, vcc_lo, s4, v28
	s_wait_alu 0xfffd
	v_add_co_ci_u32_e64 v29, null, s5, v29, vcc_lo
	global_store_b64 v[28:29], v[7:8], off
.LBB602_110:
	s_wait_alu 0xfffe
	s_or_b32 exec_lo, exec_lo, s0
	v_and_b32_e32 v20, 1, v26
	v_cmp_lt_u64_e32 vcc_lo, v[13:14], v[17:18]
	s_delay_alu instid0(VALU_DEP_2)
	v_cmp_eq_u32_e64 s0, 1, v20
	;; [unrolled: 20-line block ×3, first 2 shown]
	s_or_b32 s1, s13, vcc_lo
	s_wait_alu 0xfffe
	s_and_b32 s1, s1, s0
	s_wait_alu 0xfffe
	s_and_saveexec_b32 s0, s1
	s_cbranch_execz .LBB602_114
; %bb.113:
	v_lshlrev_b64_e32 v[16:17], 3, v[15:16]
	s_delay_alu instid0(VALU_DEP_1) | instskip(SKIP_1) | instid1(VALU_DEP_2)
	v_add_co_u32 v16, vcc_lo, s4, v16
	s_wait_alu 0xfffd
	v_add_co_ci_u32_e64 v17, null, s5, v17, vcc_lo
	global_store_b64 v[16:17], v[3:4], off
.LBB602_114:
	s_wait_alu 0xfffe
	s_or_b32 exec_lo, exec_lo, s0
	s_branch .LBB602_104
.LBB602_115:
	s_mov_b32 s0, exec_lo
	v_cmpx_eq_u32_e32 1, v23
; %bb.116:
	v_sub_nc_u32_e32 v14, v21, v11
	s_delay_alu instid0(VALU_DEP_1)
	v_lshlrev_b32_e32 v14, 3, v14
	ds_store_b64 v14, v[5:6]
; %bb.117:
	s_wait_alu 0xfffe
	s_or_b32 exec_lo, exec_lo, s0
	v_and_b32_e32 v5, 1, v27
	s_mov_b32 s0, exec_lo
	s_delay_alu instid0(VALU_DEP_1)
	v_cmpx_eq_u32_e32 1, v5
; %bb.118:
	v_sub_nc_u32_e32 v5, v19, v11
	s_delay_alu instid0(VALU_DEP_1)
	v_lshlrev_b32_e32 v5, 3, v5
	ds_store_b64 v5, v[7:8]
; %bb.119:
	s_wait_alu 0xfffe
	s_or_b32 exec_lo, exec_lo, s0
	v_and_b32_e32 v5, 1, v26
	s_mov_b32 s0, exec_lo
	s_delay_alu instid0(VALU_DEP_1)
	;; [unrolled: 12-line block ×3, first 2 shown]
	v_cmpx_eq_u32_e32 1, v1
; %bb.122:
	v_sub_nc_u32_e32 v1, v15, v11
	s_delay_alu instid0(VALU_DEP_1)
	v_lshlrev_b32_e32 v1, 3, v1
	ds_store_b64 v1, v[3:4]
; %bb.123:
	s_wait_alu 0xfffe
	s_or_b32 exec_lo, exec_lo, s0
	v_mov_b32_e32 v3, 0
	s_mov_b32 s1, exec_lo
	s_wait_storecnt 0x0
	s_wait_loadcnt_dscnt 0x0
	s_barrier_signal -1
	s_barrier_wait -1
	v_mov_b32_e32 v1, v3
	global_inv scope:SCOPE_SE
	v_cmpx_gt_u64_e64 v[9:10], v[0:1]
	s_cbranch_execz .LBB602_126
; %bb.124:
	v_lshlrev_b64_e32 v[4:5], 3, v[11:12]
	s_wait_kmcnt 0x0
	s_lshl_b64 s[4:5], s[6:7], 3
	v_or_b32_e32 v2, 0x100, v0
	s_wait_alu 0xfffe
	s_add_nc_u64 s[2:3], s[2:3], s[4:5]
	s_wait_alu 0xfffe
	v_add_co_u32 v6, vcc_lo, s2, v4
	s_wait_alu 0xfffd
	v_add_co_ci_u32_e64 v7, null, s3, v5, vcc_lo
	v_dual_mov_b32 v5, v1 :: v_dual_mov_b32 v4, v0
	s_mov_b32 s2, 0
.LBB602_125:                            ; =>This Inner Loop Header: Depth=1
	s_delay_alu instid0(VALU_DEP_1) | instskip(NEXT) | instid1(VALU_DEP_2)
	v_lshlrev_b32_e32 v1, 3, v4
	v_lshlrev_b64_e32 v[15:16], 3, v[4:5]
	v_dual_mov_b32 v5, v3 :: v_dual_mov_b32 v4, v2
	v_cmp_le_u64_e32 vcc_lo, v[9:10], v[2:3]
	ds_load_b64 v[13:14], v1
	v_add_nc_u32_e32 v2, 0x100, v2
	v_add_co_u32 v15, s0, v6, v15
	s_wait_alu 0xf1ff
	v_add_co_ci_u32_e64 v16, null, v7, v16, s0
	s_wait_alu 0xfffe
	s_or_b32 s2, vcc_lo, s2
	s_wait_dscnt 0x0
	global_store_b64 v[15:16], v[13:14], off
	s_wait_alu 0xfffe
	s_and_not1_b32 exec_lo, exec_lo, s2
	s_cbranch_execnz .LBB602_125
.LBB602_126:
	s_wait_alu 0xfffe
	s_or_b32 exec_lo, exec_lo, s1
	v_cmp_eq_u32_e32 vcc_lo, 0, v0
	s_and_b32 s0, vcc_lo, s12
	s_wait_alu 0xfffe
	s_and_saveexec_b32 s1, s0
	s_cbranch_execz .LBB602_105
.LBB602_127:
	v_add_co_u32 v0, vcc_lo, v11, v9
	s_wait_alu 0xfffd
	v_add_co_ci_u32_e64 v1, null, v12, v10, vcc_lo
	v_mov_b32_e32 v2, 0
	s_wait_kmcnt 0x0
	v_add_co_u32 v0, vcc_lo, v0, s6
	s_wait_alu 0xfffd
	v_add_co_ci_u32_e64 v1, null, s7, v1, vcc_lo
	global_store_b64 v2, v[0:1], s[8:9]
	s_endpgm
.LBB602_128:
	v_lshlrev_b32_e32 v3, 3, v0
	s_delay_alu instid0(VALU_DEP_1)
	v_add_co_u32 v3, s10, s2, v3
	s_wait_alu 0xf1ff
	v_add_co_ci_u32_e64 v4, null, s3, 0, s10
	flat_load_b64 v[3:4], v[3:4] offset:2048
	s_wait_alu 0xfffe
	s_or_b32 exec_lo, exec_lo, s5
	s_delay_alu instid0(SALU_CYCLE_1)
	s_mov_b32 s5, exec_lo
	v_cmpx_gt_u32_e64 s4, v11
	s_cbranch_execz .LBB602_7
.LBB602_129:
	v_lshlrev_b32_e32 v5, 3, v0
	s_delay_alu instid0(VALU_DEP_1)
	v_add_co_u32 v5, s10, s2, v5
	s_wait_alu 0xf1ff
	v_add_co_ci_u32_e64 v6, null, s3, 0, s10
	flat_load_b64 v[5:6], v[5:6] offset:4096
	s_wait_alu 0xfffe
	s_or_b32 exec_lo, exec_lo, s5
	s_delay_alu instid0(SALU_CYCLE_1)
	s_mov_b32 s5, exec_lo
	v_cmpx_gt_u32_e64 s4, v10
	s_cbranch_execnz .LBB602_8
	s_branch .LBB602_9
	.section	.rodata,"a",@progbits
	.p2align	6, 0x0
	.amdhsa_kernel _ZN7rocprim17ROCPRIM_400000_NS6detail17trampoline_kernelINS0_14default_configENS1_25partition_config_selectorILNS1_17partition_subalgoE6EyNS0_10empty_typeEbEEZZNS1_14partition_implILS5_6ELb0ES3_mN6thrust23THRUST_200600_302600_NS6detail15normal_iteratorINSA_10device_ptrIyEEEEPS6_SG_NS0_5tupleIJSF_S6_EEENSH_IJSG_SG_EEES6_PlJNSB_9not_fun_tI7is_evenIyEEEEEE10hipError_tPvRmT3_T4_T5_T6_T7_T9_mT8_P12ihipStream_tbDpT10_ENKUlT_T0_E_clISt17integral_constantIbLb0EES18_EEDaS13_S14_EUlS13_E_NS1_11comp_targetILNS1_3genE10ELNS1_11target_archE1200ELNS1_3gpuE4ELNS1_3repE0EEENS1_30default_config_static_selectorELNS0_4arch9wavefront6targetE0EEEvT1_
		.amdhsa_group_segment_fixed_size 8464
		.amdhsa_private_segment_fixed_size 0
		.amdhsa_kernarg_size 112
		.amdhsa_user_sgpr_count 2
		.amdhsa_user_sgpr_dispatch_ptr 0
		.amdhsa_user_sgpr_queue_ptr 0
		.amdhsa_user_sgpr_kernarg_segment_ptr 1
		.amdhsa_user_sgpr_dispatch_id 0
		.amdhsa_user_sgpr_private_segment_size 0
		.amdhsa_wavefront_size32 1
		.amdhsa_uses_dynamic_stack 0
		.amdhsa_enable_private_segment 0
		.amdhsa_system_sgpr_workgroup_id_x 1
		.amdhsa_system_sgpr_workgroup_id_y 0
		.amdhsa_system_sgpr_workgroup_id_z 0
		.amdhsa_system_sgpr_workgroup_info 0
		.amdhsa_system_vgpr_workitem_id 0
		.amdhsa_next_free_vgpr 47
		.amdhsa_next_free_sgpr 22
		.amdhsa_reserve_vcc 1
		.amdhsa_float_round_mode_32 0
		.amdhsa_float_round_mode_16_64 0
		.amdhsa_float_denorm_mode_32 3
		.amdhsa_float_denorm_mode_16_64 3
		.amdhsa_fp16_overflow 0
		.amdhsa_workgroup_processor_mode 1
		.amdhsa_memory_ordered 1
		.amdhsa_forward_progress 1
		.amdhsa_inst_pref_size 50
		.amdhsa_round_robin_scheduling 0
		.amdhsa_exception_fp_ieee_invalid_op 0
		.amdhsa_exception_fp_denorm_src 0
		.amdhsa_exception_fp_ieee_div_zero 0
		.amdhsa_exception_fp_ieee_overflow 0
		.amdhsa_exception_fp_ieee_underflow 0
		.amdhsa_exception_fp_ieee_inexact 0
		.amdhsa_exception_int_div_zero 0
	.end_amdhsa_kernel
	.section	.text._ZN7rocprim17ROCPRIM_400000_NS6detail17trampoline_kernelINS0_14default_configENS1_25partition_config_selectorILNS1_17partition_subalgoE6EyNS0_10empty_typeEbEEZZNS1_14partition_implILS5_6ELb0ES3_mN6thrust23THRUST_200600_302600_NS6detail15normal_iteratorINSA_10device_ptrIyEEEEPS6_SG_NS0_5tupleIJSF_S6_EEENSH_IJSG_SG_EEES6_PlJNSB_9not_fun_tI7is_evenIyEEEEEE10hipError_tPvRmT3_T4_T5_T6_T7_T9_mT8_P12ihipStream_tbDpT10_ENKUlT_T0_E_clISt17integral_constantIbLb0EES18_EEDaS13_S14_EUlS13_E_NS1_11comp_targetILNS1_3genE10ELNS1_11target_archE1200ELNS1_3gpuE4ELNS1_3repE0EEENS1_30default_config_static_selectorELNS0_4arch9wavefront6targetE0EEEvT1_,"axG",@progbits,_ZN7rocprim17ROCPRIM_400000_NS6detail17trampoline_kernelINS0_14default_configENS1_25partition_config_selectorILNS1_17partition_subalgoE6EyNS0_10empty_typeEbEEZZNS1_14partition_implILS5_6ELb0ES3_mN6thrust23THRUST_200600_302600_NS6detail15normal_iteratorINSA_10device_ptrIyEEEEPS6_SG_NS0_5tupleIJSF_S6_EEENSH_IJSG_SG_EEES6_PlJNSB_9not_fun_tI7is_evenIyEEEEEE10hipError_tPvRmT3_T4_T5_T6_T7_T9_mT8_P12ihipStream_tbDpT10_ENKUlT_T0_E_clISt17integral_constantIbLb0EES18_EEDaS13_S14_EUlS13_E_NS1_11comp_targetILNS1_3genE10ELNS1_11target_archE1200ELNS1_3gpuE4ELNS1_3repE0EEENS1_30default_config_static_selectorELNS0_4arch9wavefront6targetE0EEEvT1_,comdat
.Lfunc_end602:
	.size	_ZN7rocprim17ROCPRIM_400000_NS6detail17trampoline_kernelINS0_14default_configENS1_25partition_config_selectorILNS1_17partition_subalgoE6EyNS0_10empty_typeEbEEZZNS1_14partition_implILS5_6ELb0ES3_mN6thrust23THRUST_200600_302600_NS6detail15normal_iteratorINSA_10device_ptrIyEEEEPS6_SG_NS0_5tupleIJSF_S6_EEENSH_IJSG_SG_EEES6_PlJNSB_9not_fun_tI7is_evenIyEEEEEE10hipError_tPvRmT3_T4_T5_T6_T7_T9_mT8_P12ihipStream_tbDpT10_ENKUlT_T0_E_clISt17integral_constantIbLb0EES18_EEDaS13_S14_EUlS13_E_NS1_11comp_targetILNS1_3genE10ELNS1_11target_archE1200ELNS1_3gpuE4ELNS1_3repE0EEENS1_30default_config_static_selectorELNS0_4arch9wavefront6targetE0EEEvT1_, .Lfunc_end602-_ZN7rocprim17ROCPRIM_400000_NS6detail17trampoline_kernelINS0_14default_configENS1_25partition_config_selectorILNS1_17partition_subalgoE6EyNS0_10empty_typeEbEEZZNS1_14partition_implILS5_6ELb0ES3_mN6thrust23THRUST_200600_302600_NS6detail15normal_iteratorINSA_10device_ptrIyEEEEPS6_SG_NS0_5tupleIJSF_S6_EEENSH_IJSG_SG_EEES6_PlJNSB_9not_fun_tI7is_evenIyEEEEEE10hipError_tPvRmT3_T4_T5_T6_T7_T9_mT8_P12ihipStream_tbDpT10_ENKUlT_T0_E_clISt17integral_constantIbLb0EES18_EEDaS13_S14_EUlS13_E_NS1_11comp_targetILNS1_3genE10ELNS1_11target_archE1200ELNS1_3gpuE4ELNS1_3repE0EEENS1_30default_config_static_selectorELNS0_4arch9wavefront6targetE0EEEvT1_
                                        ; -- End function
	.set _ZN7rocprim17ROCPRIM_400000_NS6detail17trampoline_kernelINS0_14default_configENS1_25partition_config_selectorILNS1_17partition_subalgoE6EyNS0_10empty_typeEbEEZZNS1_14partition_implILS5_6ELb0ES3_mN6thrust23THRUST_200600_302600_NS6detail15normal_iteratorINSA_10device_ptrIyEEEEPS6_SG_NS0_5tupleIJSF_S6_EEENSH_IJSG_SG_EEES6_PlJNSB_9not_fun_tI7is_evenIyEEEEEE10hipError_tPvRmT3_T4_T5_T6_T7_T9_mT8_P12ihipStream_tbDpT10_ENKUlT_T0_E_clISt17integral_constantIbLb0EES18_EEDaS13_S14_EUlS13_E_NS1_11comp_targetILNS1_3genE10ELNS1_11target_archE1200ELNS1_3gpuE4ELNS1_3repE0EEENS1_30default_config_static_selectorELNS0_4arch9wavefront6targetE0EEEvT1_.num_vgpr, 47
	.set _ZN7rocprim17ROCPRIM_400000_NS6detail17trampoline_kernelINS0_14default_configENS1_25partition_config_selectorILNS1_17partition_subalgoE6EyNS0_10empty_typeEbEEZZNS1_14partition_implILS5_6ELb0ES3_mN6thrust23THRUST_200600_302600_NS6detail15normal_iteratorINSA_10device_ptrIyEEEEPS6_SG_NS0_5tupleIJSF_S6_EEENSH_IJSG_SG_EEES6_PlJNSB_9not_fun_tI7is_evenIyEEEEEE10hipError_tPvRmT3_T4_T5_T6_T7_T9_mT8_P12ihipStream_tbDpT10_ENKUlT_T0_E_clISt17integral_constantIbLb0EES18_EEDaS13_S14_EUlS13_E_NS1_11comp_targetILNS1_3genE10ELNS1_11target_archE1200ELNS1_3gpuE4ELNS1_3repE0EEENS1_30default_config_static_selectorELNS0_4arch9wavefront6targetE0EEEvT1_.num_agpr, 0
	.set _ZN7rocprim17ROCPRIM_400000_NS6detail17trampoline_kernelINS0_14default_configENS1_25partition_config_selectorILNS1_17partition_subalgoE6EyNS0_10empty_typeEbEEZZNS1_14partition_implILS5_6ELb0ES3_mN6thrust23THRUST_200600_302600_NS6detail15normal_iteratorINSA_10device_ptrIyEEEEPS6_SG_NS0_5tupleIJSF_S6_EEENSH_IJSG_SG_EEES6_PlJNSB_9not_fun_tI7is_evenIyEEEEEE10hipError_tPvRmT3_T4_T5_T6_T7_T9_mT8_P12ihipStream_tbDpT10_ENKUlT_T0_E_clISt17integral_constantIbLb0EES18_EEDaS13_S14_EUlS13_E_NS1_11comp_targetILNS1_3genE10ELNS1_11target_archE1200ELNS1_3gpuE4ELNS1_3repE0EEENS1_30default_config_static_selectorELNS0_4arch9wavefront6targetE0EEEvT1_.numbered_sgpr, 22
	.set _ZN7rocprim17ROCPRIM_400000_NS6detail17trampoline_kernelINS0_14default_configENS1_25partition_config_selectorILNS1_17partition_subalgoE6EyNS0_10empty_typeEbEEZZNS1_14partition_implILS5_6ELb0ES3_mN6thrust23THRUST_200600_302600_NS6detail15normal_iteratorINSA_10device_ptrIyEEEEPS6_SG_NS0_5tupleIJSF_S6_EEENSH_IJSG_SG_EEES6_PlJNSB_9not_fun_tI7is_evenIyEEEEEE10hipError_tPvRmT3_T4_T5_T6_T7_T9_mT8_P12ihipStream_tbDpT10_ENKUlT_T0_E_clISt17integral_constantIbLb0EES18_EEDaS13_S14_EUlS13_E_NS1_11comp_targetILNS1_3genE10ELNS1_11target_archE1200ELNS1_3gpuE4ELNS1_3repE0EEENS1_30default_config_static_selectorELNS0_4arch9wavefront6targetE0EEEvT1_.num_named_barrier, 0
	.set _ZN7rocprim17ROCPRIM_400000_NS6detail17trampoline_kernelINS0_14default_configENS1_25partition_config_selectorILNS1_17partition_subalgoE6EyNS0_10empty_typeEbEEZZNS1_14partition_implILS5_6ELb0ES3_mN6thrust23THRUST_200600_302600_NS6detail15normal_iteratorINSA_10device_ptrIyEEEEPS6_SG_NS0_5tupleIJSF_S6_EEENSH_IJSG_SG_EEES6_PlJNSB_9not_fun_tI7is_evenIyEEEEEE10hipError_tPvRmT3_T4_T5_T6_T7_T9_mT8_P12ihipStream_tbDpT10_ENKUlT_T0_E_clISt17integral_constantIbLb0EES18_EEDaS13_S14_EUlS13_E_NS1_11comp_targetILNS1_3genE10ELNS1_11target_archE1200ELNS1_3gpuE4ELNS1_3repE0EEENS1_30default_config_static_selectorELNS0_4arch9wavefront6targetE0EEEvT1_.private_seg_size, 0
	.set _ZN7rocprim17ROCPRIM_400000_NS6detail17trampoline_kernelINS0_14default_configENS1_25partition_config_selectorILNS1_17partition_subalgoE6EyNS0_10empty_typeEbEEZZNS1_14partition_implILS5_6ELb0ES3_mN6thrust23THRUST_200600_302600_NS6detail15normal_iteratorINSA_10device_ptrIyEEEEPS6_SG_NS0_5tupleIJSF_S6_EEENSH_IJSG_SG_EEES6_PlJNSB_9not_fun_tI7is_evenIyEEEEEE10hipError_tPvRmT3_T4_T5_T6_T7_T9_mT8_P12ihipStream_tbDpT10_ENKUlT_T0_E_clISt17integral_constantIbLb0EES18_EEDaS13_S14_EUlS13_E_NS1_11comp_targetILNS1_3genE10ELNS1_11target_archE1200ELNS1_3gpuE4ELNS1_3repE0EEENS1_30default_config_static_selectorELNS0_4arch9wavefront6targetE0EEEvT1_.uses_vcc, 1
	.set _ZN7rocprim17ROCPRIM_400000_NS6detail17trampoline_kernelINS0_14default_configENS1_25partition_config_selectorILNS1_17partition_subalgoE6EyNS0_10empty_typeEbEEZZNS1_14partition_implILS5_6ELb0ES3_mN6thrust23THRUST_200600_302600_NS6detail15normal_iteratorINSA_10device_ptrIyEEEEPS6_SG_NS0_5tupleIJSF_S6_EEENSH_IJSG_SG_EEES6_PlJNSB_9not_fun_tI7is_evenIyEEEEEE10hipError_tPvRmT3_T4_T5_T6_T7_T9_mT8_P12ihipStream_tbDpT10_ENKUlT_T0_E_clISt17integral_constantIbLb0EES18_EEDaS13_S14_EUlS13_E_NS1_11comp_targetILNS1_3genE10ELNS1_11target_archE1200ELNS1_3gpuE4ELNS1_3repE0EEENS1_30default_config_static_selectorELNS0_4arch9wavefront6targetE0EEEvT1_.uses_flat_scratch, 1
	.set _ZN7rocprim17ROCPRIM_400000_NS6detail17trampoline_kernelINS0_14default_configENS1_25partition_config_selectorILNS1_17partition_subalgoE6EyNS0_10empty_typeEbEEZZNS1_14partition_implILS5_6ELb0ES3_mN6thrust23THRUST_200600_302600_NS6detail15normal_iteratorINSA_10device_ptrIyEEEEPS6_SG_NS0_5tupleIJSF_S6_EEENSH_IJSG_SG_EEES6_PlJNSB_9not_fun_tI7is_evenIyEEEEEE10hipError_tPvRmT3_T4_T5_T6_T7_T9_mT8_P12ihipStream_tbDpT10_ENKUlT_T0_E_clISt17integral_constantIbLb0EES18_EEDaS13_S14_EUlS13_E_NS1_11comp_targetILNS1_3genE10ELNS1_11target_archE1200ELNS1_3gpuE4ELNS1_3repE0EEENS1_30default_config_static_selectorELNS0_4arch9wavefront6targetE0EEEvT1_.has_dyn_sized_stack, 0
	.set _ZN7rocprim17ROCPRIM_400000_NS6detail17trampoline_kernelINS0_14default_configENS1_25partition_config_selectorILNS1_17partition_subalgoE6EyNS0_10empty_typeEbEEZZNS1_14partition_implILS5_6ELb0ES3_mN6thrust23THRUST_200600_302600_NS6detail15normal_iteratorINSA_10device_ptrIyEEEEPS6_SG_NS0_5tupleIJSF_S6_EEENSH_IJSG_SG_EEES6_PlJNSB_9not_fun_tI7is_evenIyEEEEEE10hipError_tPvRmT3_T4_T5_T6_T7_T9_mT8_P12ihipStream_tbDpT10_ENKUlT_T0_E_clISt17integral_constantIbLb0EES18_EEDaS13_S14_EUlS13_E_NS1_11comp_targetILNS1_3genE10ELNS1_11target_archE1200ELNS1_3gpuE4ELNS1_3repE0EEENS1_30default_config_static_selectorELNS0_4arch9wavefront6targetE0EEEvT1_.has_recursion, 0
	.set _ZN7rocprim17ROCPRIM_400000_NS6detail17trampoline_kernelINS0_14default_configENS1_25partition_config_selectorILNS1_17partition_subalgoE6EyNS0_10empty_typeEbEEZZNS1_14partition_implILS5_6ELb0ES3_mN6thrust23THRUST_200600_302600_NS6detail15normal_iteratorINSA_10device_ptrIyEEEEPS6_SG_NS0_5tupleIJSF_S6_EEENSH_IJSG_SG_EEES6_PlJNSB_9not_fun_tI7is_evenIyEEEEEE10hipError_tPvRmT3_T4_T5_T6_T7_T9_mT8_P12ihipStream_tbDpT10_ENKUlT_T0_E_clISt17integral_constantIbLb0EES18_EEDaS13_S14_EUlS13_E_NS1_11comp_targetILNS1_3genE10ELNS1_11target_archE1200ELNS1_3gpuE4ELNS1_3repE0EEENS1_30default_config_static_selectorELNS0_4arch9wavefront6targetE0EEEvT1_.has_indirect_call, 0
	.section	.AMDGPU.csdata,"",@progbits
; Kernel info:
; codeLenInByte = 6352
; TotalNumSgprs: 24
; NumVgprs: 47
; ScratchSize: 0
; MemoryBound: 0
; FloatMode: 240
; IeeeMode: 1
; LDSByteSize: 8464 bytes/workgroup (compile time only)
; SGPRBlocks: 0
; VGPRBlocks: 5
; NumSGPRsForWavesPerEU: 24
; NumVGPRsForWavesPerEU: 47
; Occupancy: 16
; WaveLimiterHint : 1
; COMPUTE_PGM_RSRC2:SCRATCH_EN: 0
; COMPUTE_PGM_RSRC2:USER_SGPR: 2
; COMPUTE_PGM_RSRC2:TRAP_HANDLER: 0
; COMPUTE_PGM_RSRC2:TGID_X_EN: 1
; COMPUTE_PGM_RSRC2:TGID_Y_EN: 0
; COMPUTE_PGM_RSRC2:TGID_Z_EN: 0
; COMPUTE_PGM_RSRC2:TIDIG_COMP_CNT: 0
	.section	.text._ZN7rocprim17ROCPRIM_400000_NS6detail17trampoline_kernelINS0_14default_configENS1_25partition_config_selectorILNS1_17partition_subalgoE6EyNS0_10empty_typeEbEEZZNS1_14partition_implILS5_6ELb0ES3_mN6thrust23THRUST_200600_302600_NS6detail15normal_iteratorINSA_10device_ptrIyEEEEPS6_SG_NS0_5tupleIJSF_S6_EEENSH_IJSG_SG_EEES6_PlJNSB_9not_fun_tI7is_evenIyEEEEEE10hipError_tPvRmT3_T4_T5_T6_T7_T9_mT8_P12ihipStream_tbDpT10_ENKUlT_T0_E_clISt17integral_constantIbLb0EES18_EEDaS13_S14_EUlS13_E_NS1_11comp_targetILNS1_3genE9ELNS1_11target_archE1100ELNS1_3gpuE3ELNS1_3repE0EEENS1_30default_config_static_selectorELNS0_4arch9wavefront6targetE0EEEvT1_,"axG",@progbits,_ZN7rocprim17ROCPRIM_400000_NS6detail17trampoline_kernelINS0_14default_configENS1_25partition_config_selectorILNS1_17partition_subalgoE6EyNS0_10empty_typeEbEEZZNS1_14partition_implILS5_6ELb0ES3_mN6thrust23THRUST_200600_302600_NS6detail15normal_iteratorINSA_10device_ptrIyEEEEPS6_SG_NS0_5tupleIJSF_S6_EEENSH_IJSG_SG_EEES6_PlJNSB_9not_fun_tI7is_evenIyEEEEEE10hipError_tPvRmT3_T4_T5_T6_T7_T9_mT8_P12ihipStream_tbDpT10_ENKUlT_T0_E_clISt17integral_constantIbLb0EES18_EEDaS13_S14_EUlS13_E_NS1_11comp_targetILNS1_3genE9ELNS1_11target_archE1100ELNS1_3gpuE3ELNS1_3repE0EEENS1_30default_config_static_selectorELNS0_4arch9wavefront6targetE0EEEvT1_,comdat
	.protected	_ZN7rocprim17ROCPRIM_400000_NS6detail17trampoline_kernelINS0_14default_configENS1_25partition_config_selectorILNS1_17partition_subalgoE6EyNS0_10empty_typeEbEEZZNS1_14partition_implILS5_6ELb0ES3_mN6thrust23THRUST_200600_302600_NS6detail15normal_iteratorINSA_10device_ptrIyEEEEPS6_SG_NS0_5tupleIJSF_S6_EEENSH_IJSG_SG_EEES6_PlJNSB_9not_fun_tI7is_evenIyEEEEEE10hipError_tPvRmT3_T4_T5_T6_T7_T9_mT8_P12ihipStream_tbDpT10_ENKUlT_T0_E_clISt17integral_constantIbLb0EES18_EEDaS13_S14_EUlS13_E_NS1_11comp_targetILNS1_3genE9ELNS1_11target_archE1100ELNS1_3gpuE3ELNS1_3repE0EEENS1_30default_config_static_selectorELNS0_4arch9wavefront6targetE0EEEvT1_ ; -- Begin function _ZN7rocprim17ROCPRIM_400000_NS6detail17trampoline_kernelINS0_14default_configENS1_25partition_config_selectorILNS1_17partition_subalgoE6EyNS0_10empty_typeEbEEZZNS1_14partition_implILS5_6ELb0ES3_mN6thrust23THRUST_200600_302600_NS6detail15normal_iteratorINSA_10device_ptrIyEEEEPS6_SG_NS0_5tupleIJSF_S6_EEENSH_IJSG_SG_EEES6_PlJNSB_9not_fun_tI7is_evenIyEEEEEE10hipError_tPvRmT3_T4_T5_T6_T7_T9_mT8_P12ihipStream_tbDpT10_ENKUlT_T0_E_clISt17integral_constantIbLb0EES18_EEDaS13_S14_EUlS13_E_NS1_11comp_targetILNS1_3genE9ELNS1_11target_archE1100ELNS1_3gpuE3ELNS1_3repE0EEENS1_30default_config_static_selectorELNS0_4arch9wavefront6targetE0EEEvT1_
	.globl	_ZN7rocprim17ROCPRIM_400000_NS6detail17trampoline_kernelINS0_14default_configENS1_25partition_config_selectorILNS1_17partition_subalgoE6EyNS0_10empty_typeEbEEZZNS1_14partition_implILS5_6ELb0ES3_mN6thrust23THRUST_200600_302600_NS6detail15normal_iteratorINSA_10device_ptrIyEEEEPS6_SG_NS0_5tupleIJSF_S6_EEENSH_IJSG_SG_EEES6_PlJNSB_9not_fun_tI7is_evenIyEEEEEE10hipError_tPvRmT3_T4_T5_T6_T7_T9_mT8_P12ihipStream_tbDpT10_ENKUlT_T0_E_clISt17integral_constantIbLb0EES18_EEDaS13_S14_EUlS13_E_NS1_11comp_targetILNS1_3genE9ELNS1_11target_archE1100ELNS1_3gpuE3ELNS1_3repE0EEENS1_30default_config_static_selectorELNS0_4arch9wavefront6targetE0EEEvT1_
	.p2align	8
	.type	_ZN7rocprim17ROCPRIM_400000_NS6detail17trampoline_kernelINS0_14default_configENS1_25partition_config_selectorILNS1_17partition_subalgoE6EyNS0_10empty_typeEbEEZZNS1_14partition_implILS5_6ELb0ES3_mN6thrust23THRUST_200600_302600_NS6detail15normal_iteratorINSA_10device_ptrIyEEEEPS6_SG_NS0_5tupleIJSF_S6_EEENSH_IJSG_SG_EEES6_PlJNSB_9not_fun_tI7is_evenIyEEEEEE10hipError_tPvRmT3_T4_T5_T6_T7_T9_mT8_P12ihipStream_tbDpT10_ENKUlT_T0_E_clISt17integral_constantIbLb0EES18_EEDaS13_S14_EUlS13_E_NS1_11comp_targetILNS1_3genE9ELNS1_11target_archE1100ELNS1_3gpuE3ELNS1_3repE0EEENS1_30default_config_static_selectorELNS0_4arch9wavefront6targetE0EEEvT1_,@function
_ZN7rocprim17ROCPRIM_400000_NS6detail17trampoline_kernelINS0_14default_configENS1_25partition_config_selectorILNS1_17partition_subalgoE6EyNS0_10empty_typeEbEEZZNS1_14partition_implILS5_6ELb0ES3_mN6thrust23THRUST_200600_302600_NS6detail15normal_iteratorINSA_10device_ptrIyEEEEPS6_SG_NS0_5tupleIJSF_S6_EEENSH_IJSG_SG_EEES6_PlJNSB_9not_fun_tI7is_evenIyEEEEEE10hipError_tPvRmT3_T4_T5_T6_T7_T9_mT8_P12ihipStream_tbDpT10_ENKUlT_T0_E_clISt17integral_constantIbLb0EES18_EEDaS13_S14_EUlS13_E_NS1_11comp_targetILNS1_3genE9ELNS1_11target_archE1100ELNS1_3gpuE3ELNS1_3repE0EEENS1_30default_config_static_selectorELNS0_4arch9wavefront6targetE0EEEvT1_: ; @_ZN7rocprim17ROCPRIM_400000_NS6detail17trampoline_kernelINS0_14default_configENS1_25partition_config_selectorILNS1_17partition_subalgoE6EyNS0_10empty_typeEbEEZZNS1_14partition_implILS5_6ELb0ES3_mN6thrust23THRUST_200600_302600_NS6detail15normal_iteratorINSA_10device_ptrIyEEEEPS6_SG_NS0_5tupleIJSF_S6_EEENSH_IJSG_SG_EEES6_PlJNSB_9not_fun_tI7is_evenIyEEEEEE10hipError_tPvRmT3_T4_T5_T6_T7_T9_mT8_P12ihipStream_tbDpT10_ENKUlT_T0_E_clISt17integral_constantIbLb0EES18_EEDaS13_S14_EUlS13_E_NS1_11comp_targetILNS1_3genE9ELNS1_11target_archE1100ELNS1_3gpuE3ELNS1_3repE0EEENS1_30default_config_static_selectorELNS0_4arch9wavefront6targetE0EEEvT1_
; %bb.0:
	.section	.rodata,"a",@progbits
	.p2align	6, 0x0
	.amdhsa_kernel _ZN7rocprim17ROCPRIM_400000_NS6detail17trampoline_kernelINS0_14default_configENS1_25partition_config_selectorILNS1_17partition_subalgoE6EyNS0_10empty_typeEbEEZZNS1_14partition_implILS5_6ELb0ES3_mN6thrust23THRUST_200600_302600_NS6detail15normal_iteratorINSA_10device_ptrIyEEEEPS6_SG_NS0_5tupleIJSF_S6_EEENSH_IJSG_SG_EEES6_PlJNSB_9not_fun_tI7is_evenIyEEEEEE10hipError_tPvRmT3_T4_T5_T6_T7_T9_mT8_P12ihipStream_tbDpT10_ENKUlT_T0_E_clISt17integral_constantIbLb0EES18_EEDaS13_S14_EUlS13_E_NS1_11comp_targetILNS1_3genE9ELNS1_11target_archE1100ELNS1_3gpuE3ELNS1_3repE0EEENS1_30default_config_static_selectorELNS0_4arch9wavefront6targetE0EEEvT1_
		.amdhsa_group_segment_fixed_size 0
		.amdhsa_private_segment_fixed_size 0
		.amdhsa_kernarg_size 112
		.amdhsa_user_sgpr_count 2
		.amdhsa_user_sgpr_dispatch_ptr 0
		.amdhsa_user_sgpr_queue_ptr 0
		.amdhsa_user_sgpr_kernarg_segment_ptr 1
		.amdhsa_user_sgpr_dispatch_id 0
		.amdhsa_user_sgpr_private_segment_size 0
		.amdhsa_wavefront_size32 1
		.amdhsa_uses_dynamic_stack 0
		.amdhsa_enable_private_segment 0
		.amdhsa_system_sgpr_workgroup_id_x 1
		.amdhsa_system_sgpr_workgroup_id_y 0
		.amdhsa_system_sgpr_workgroup_id_z 0
		.amdhsa_system_sgpr_workgroup_info 0
		.amdhsa_system_vgpr_workitem_id 0
		.amdhsa_next_free_vgpr 1
		.amdhsa_next_free_sgpr 1
		.amdhsa_reserve_vcc 0
		.amdhsa_float_round_mode_32 0
		.amdhsa_float_round_mode_16_64 0
		.amdhsa_float_denorm_mode_32 3
		.amdhsa_float_denorm_mode_16_64 3
		.amdhsa_fp16_overflow 0
		.amdhsa_workgroup_processor_mode 1
		.amdhsa_memory_ordered 1
		.amdhsa_forward_progress 1
		.amdhsa_inst_pref_size 0
		.amdhsa_round_robin_scheduling 0
		.amdhsa_exception_fp_ieee_invalid_op 0
		.amdhsa_exception_fp_denorm_src 0
		.amdhsa_exception_fp_ieee_div_zero 0
		.amdhsa_exception_fp_ieee_overflow 0
		.amdhsa_exception_fp_ieee_underflow 0
		.amdhsa_exception_fp_ieee_inexact 0
		.amdhsa_exception_int_div_zero 0
	.end_amdhsa_kernel
	.section	.text._ZN7rocprim17ROCPRIM_400000_NS6detail17trampoline_kernelINS0_14default_configENS1_25partition_config_selectorILNS1_17partition_subalgoE6EyNS0_10empty_typeEbEEZZNS1_14partition_implILS5_6ELb0ES3_mN6thrust23THRUST_200600_302600_NS6detail15normal_iteratorINSA_10device_ptrIyEEEEPS6_SG_NS0_5tupleIJSF_S6_EEENSH_IJSG_SG_EEES6_PlJNSB_9not_fun_tI7is_evenIyEEEEEE10hipError_tPvRmT3_T4_T5_T6_T7_T9_mT8_P12ihipStream_tbDpT10_ENKUlT_T0_E_clISt17integral_constantIbLb0EES18_EEDaS13_S14_EUlS13_E_NS1_11comp_targetILNS1_3genE9ELNS1_11target_archE1100ELNS1_3gpuE3ELNS1_3repE0EEENS1_30default_config_static_selectorELNS0_4arch9wavefront6targetE0EEEvT1_,"axG",@progbits,_ZN7rocprim17ROCPRIM_400000_NS6detail17trampoline_kernelINS0_14default_configENS1_25partition_config_selectorILNS1_17partition_subalgoE6EyNS0_10empty_typeEbEEZZNS1_14partition_implILS5_6ELb0ES3_mN6thrust23THRUST_200600_302600_NS6detail15normal_iteratorINSA_10device_ptrIyEEEEPS6_SG_NS0_5tupleIJSF_S6_EEENSH_IJSG_SG_EEES6_PlJNSB_9not_fun_tI7is_evenIyEEEEEE10hipError_tPvRmT3_T4_T5_T6_T7_T9_mT8_P12ihipStream_tbDpT10_ENKUlT_T0_E_clISt17integral_constantIbLb0EES18_EEDaS13_S14_EUlS13_E_NS1_11comp_targetILNS1_3genE9ELNS1_11target_archE1100ELNS1_3gpuE3ELNS1_3repE0EEENS1_30default_config_static_selectorELNS0_4arch9wavefront6targetE0EEEvT1_,comdat
.Lfunc_end603:
	.size	_ZN7rocprim17ROCPRIM_400000_NS6detail17trampoline_kernelINS0_14default_configENS1_25partition_config_selectorILNS1_17partition_subalgoE6EyNS0_10empty_typeEbEEZZNS1_14partition_implILS5_6ELb0ES3_mN6thrust23THRUST_200600_302600_NS6detail15normal_iteratorINSA_10device_ptrIyEEEEPS6_SG_NS0_5tupleIJSF_S6_EEENSH_IJSG_SG_EEES6_PlJNSB_9not_fun_tI7is_evenIyEEEEEE10hipError_tPvRmT3_T4_T5_T6_T7_T9_mT8_P12ihipStream_tbDpT10_ENKUlT_T0_E_clISt17integral_constantIbLb0EES18_EEDaS13_S14_EUlS13_E_NS1_11comp_targetILNS1_3genE9ELNS1_11target_archE1100ELNS1_3gpuE3ELNS1_3repE0EEENS1_30default_config_static_selectorELNS0_4arch9wavefront6targetE0EEEvT1_, .Lfunc_end603-_ZN7rocprim17ROCPRIM_400000_NS6detail17trampoline_kernelINS0_14default_configENS1_25partition_config_selectorILNS1_17partition_subalgoE6EyNS0_10empty_typeEbEEZZNS1_14partition_implILS5_6ELb0ES3_mN6thrust23THRUST_200600_302600_NS6detail15normal_iteratorINSA_10device_ptrIyEEEEPS6_SG_NS0_5tupleIJSF_S6_EEENSH_IJSG_SG_EEES6_PlJNSB_9not_fun_tI7is_evenIyEEEEEE10hipError_tPvRmT3_T4_T5_T6_T7_T9_mT8_P12ihipStream_tbDpT10_ENKUlT_T0_E_clISt17integral_constantIbLb0EES18_EEDaS13_S14_EUlS13_E_NS1_11comp_targetILNS1_3genE9ELNS1_11target_archE1100ELNS1_3gpuE3ELNS1_3repE0EEENS1_30default_config_static_selectorELNS0_4arch9wavefront6targetE0EEEvT1_
                                        ; -- End function
	.set _ZN7rocprim17ROCPRIM_400000_NS6detail17trampoline_kernelINS0_14default_configENS1_25partition_config_selectorILNS1_17partition_subalgoE6EyNS0_10empty_typeEbEEZZNS1_14partition_implILS5_6ELb0ES3_mN6thrust23THRUST_200600_302600_NS6detail15normal_iteratorINSA_10device_ptrIyEEEEPS6_SG_NS0_5tupleIJSF_S6_EEENSH_IJSG_SG_EEES6_PlJNSB_9not_fun_tI7is_evenIyEEEEEE10hipError_tPvRmT3_T4_T5_T6_T7_T9_mT8_P12ihipStream_tbDpT10_ENKUlT_T0_E_clISt17integral_constantIbLb0EES18_EEDaS13_S14_EUlS13_E_NS1_11comp_targetILNS1_3genE9ELNS1_11target_archE1100ELNS1_3gpuE3ELNS1_3repE0EEENS1_30default_config_static_selectorELNS0_4arch9wavefront6targetE0EEEvT1_.num_vgpr, 0
	.set _ZN7rocprim17ROCPRIM_400000_NS6detail17trampoline_kernelINS0_14default_configENS1_25partition_config_selectorILNS1_17partition_subalgoE6EyNS0_10empty_typeEbEEZZNS1_14partition_implILS5_6ELb0ES3_mN6thrust23THRUST_200600_302600_NS6detail15normal_iteratorINSA_10device_ptrIyEEEEPS6_SG_NS0_5tupleIJSF_S6_EEENSH_IJSG_SG_EEES6_PlJNSB_9not_fun_tI7is_evenIyEEEEEE10hipError_tPvRmT3_T4_T5_T6_T7_T9_mT8_P12ihipStream_tbDpT10_ENKUlT_T0_E_clISt17integral_constantIbLb0EES18_EEDaS13_S14_EUlS13_E_NS1_11comp_targetILNS1_3genE9ELNS1_11target_archE1100ELNS1_3gpuE3ELNS1_3repE0EEENS1_30default_config_static_selectorELNS0_4arch9wavefront6targetE0EEEvT1_.num_agpr, 0
	.set _ZN7rocprim17ROCPRIM_400000_NS6detail17trampoline_kernelINS0_14default_configENS1_25partition_config_selectorILNS1_17partition_subalgoE6EyNS0_10empty_typeEbEEZZNS1_14partition_implILS5_6ELb0ES3_mN6thrust23THRUST_200600_302600_NS6detail15normal_iteratorINSA_10device_ptrIyEEEEPS6_SG_NS0_5tupleIJSF_S6_EEENSH_IJSG_SG_EEES6_PlJNSB_9not_fun_tI7is_evenIyEEEEEE10hipError_tPvRmT3_T4_T5_T6_T7_T9_mT8_P12ihipStream_tbDpT10_ENKUlT_T0_E_clISt17integral_constantIbLb0EES18_EEDaS13_S14_EUlS13_E_NS1_11comp_targetILNS1_3genE9ELNS1_11target_archE1100ELNS1_3gpuE3ELNS1_3repE0EEENS1_30default_config_static_selectorELNS0_4arch9wavefront6targetE0EEEvT1_.numbered_sgpr, 0
	.set _ZN7rocprim17ROCPRIM_400000_NS6detail17trampoline_kernelINS0_14default_configENS1_25partition_config_selectorILNS1_17partition_subalgoE6EyNS0_10empty_typeEbEEZZNS1_14partition_implILS5_6ELb0ES3_mN6thrust23THRUST_200600_302600_NS6detail15normal_iteratorINSA_10device_ptrIyEEEEPS6_SG_NS0_5tupleIJSF_S6_EEENSH_IJSG_SG_EEES6_PlJNSB_9not_fun_tI7is_evenIyEEEEEE10hipError_tPvRmT3_T4_T5_T6_T7_T9_mT8_P12ihipStream_tbDpT10_ENKUlT_T0_E_clISt17integral_constantIbLb0EES18_EEDaS13_S14_EUlS13_E_NS1_11comp_targetILNS1_3genE9ELNS1_11target_archE1100ELNS1_3gpuE3ELNS1_3repE0EEENS1_30default_config_static_selectorELNS0_4arch9wavefront6targetE0EEEvT1_.num_named_barrier, 0
	.set _ZN7rocprim17ROCPRIM_400000_NS6detail17trampoline_kernelINS0_14default_configENS1_25partition_config_selectorILNS1_17partition_subalgoE6EyNS0_10empty_typeEbEEZZNS1_14partition_implILS5_6ELb0ES3_mN6thrust23THRUST_200600_302600_NS6detail15normal_iteratorINSA_10device_ptrIyEEEEPS6_SG_NS0_5tupleIJSF_S6_EEENSH_IJSG_SG_EEES6_PlJNSB_9not_fun_tI7is_evenIyEEEEEE10hipError_tPvRmT3_T4_T5_T6_T7_T9_mT8_P12ihipStream_tbDpT10_ENKUlT_T0_E_clISt17integral_constantIbLb0EES18_EEDaS13_S14_EUlS13_E_NS1_11comp_targetILNS1_3genE9ELNS1_11target_archE1100ELNS1_3gpuE3ELNS1_3repE0EEENS1_30default_config_static_selectorELNS0_4arch9wavefront6targetE0EEEvT1_.private_seg_size, 0
	.set _ZN7rocprim17ROCPRIM_400000_NS6detail17trampoline_kernelINS0_14default_configENS1_25partition_config_selectorILNS1_17partition_subalgoE6EyNS0_10empty_typeEbEEZZNS1_14partition_implILS5_6ELb0ES3_mN6thrust23THRUST_200600_302600_NS6detail15normal_iteratorINSA_10device_ptrIyEEEEPS6_SG_NS0_5tupleIJSF_S6_EEENSH_IJSG_SG_EEES6_PlJNSB_9not_fun_tI7is_evenIyEEEEEE10hipError_tPvRmT3_T4_T5_T6_T7_T9_mT8_P12ihipStream_tbDpT10_ENKUlT_T0_E_clISt17integral_constantIbLb0EES18_EEDaS13_S14_EUlS13_E_NS1_11comp_targetILNS1_3genE9ELNS1_11target_archE1100ELNS1_3gpuE3ELNS1_3repE0EEENS1_30default_config_static_selectorELNS0_4arch9wavefront6targetE0EEEvT1_.uses_vcc, 0
	.set _ZN7rocprim17ROCPRIM_400000_NS6detail17trampoline_kernelINS0_14default_configENS1_25partition_config_selectorILNS1_17partition_subalgoE6EyNS0_10empty_typeEbEEZZNS1_14partition_implILS5_6ELb0ES3_mN6thrust23THRUST_200600_302600_NS6detail15normal_iteratorINSA_10device_ptrIyEEEEPS6_SG_NS0_5tupleIJSF_S6_EEENSH_IJSG_SG_EEES6_PlJNSB_9not_fun_tI7is_evenIyEEEEEE10hipError_tPvRmT3_T4_T5_T6_T7_T9_mT8_P12ihipStream_tbDpT10_ENKUlT_T0_E_clISt17integral_constantIbLb0EES18_EEDaS13_S14_EUlS13_E_NS1_11comp_targetILNS1_3genE9ELNS1_11target_archE1100ELNS1_3gpuE3ELNS1_3repE0EEENS1_30default_config_static_selectorELNS0_4arch9wavefront6targetE0EEEvT1_.uses_flat_scratch, 0
	.set _ZN7rocprim17ROCPRIM_400000_NS6detail17trampoline_kernelINS0_14default_configENS1_25partition_config_selectorILNS1_17partition_subalgoE6EyNS0_10empty_typeEbEEZZNS1_14partition_implILS5_6ELb0ES3_mN6thrust23THRUST_200600_302600_NS6detail15normal_iteratorINSA_10device_ptrIyEEEEPS6_SG_NS0_5tupleIJSF_S6_EEENSH_IJSG_SG_EEES6_PlJNSB_9not_fun_tI7is_evenIyEEEEEE10hipError_tPvRmT3_T4_T5_T6_T7_T9_mT8_P12ihipStream_tbDpT10_ENKUlT_T0_E_clISt17integral_constantIbLb0EES18_EEDaS13_S14_EUlS13_E_NS1_11comp_targetILNS1_3genE9ELNS1_11target_archE1100ELNS1_3gpuE3ELNS1_3repE0EEENS1_30default_config_static_selectorELNS0_4arch9wavefront6targetE0EEEvT1_.has_dyn_sized_stack, 0
	.set _ZN7rocprim17ROCPRIM_400000_NS6detail17trampoline_kernelINS0_14default_configENS1_25partition_config_selectorILNS1_17partition_subalgoE6EyNS0_10empty_typeEbEEZZNS1_14partition_implILS5_6ELb0ES3_mN6thrust23THRUST_200600_302600_NS6detail15normal_iteratorINSA_10device_ptrIyEEEEPS6_SG_NS0_5tupleIJSF_S6_EEENSH_IJSG_SG_EEES6_PlJNSB_9not_fun_tI7is_evenIyEEEEEE10hipError_tPvRmT3_T4_T5_T6_T7_T9_mT8_P12ihipStream_tbDpT10_ENKUlT_T0_E_clISt17integral_constantIbLb0EES18_EEDaS13_S14_EUlS13_E_NS1_11comp_targetILNS1_3genE9ELNS1_11target_archE1100ELNS1_3gpuE3ELNS1_3repE0EEENS1_30default_config_static_selectorELNS0_4arch9wavefront6targetE0EEEvT1_.has_recursion, 0
	.set _ZN7rocprim17ROCPRIM_400000_NS6detail17trampoline_kernelINS0_14default_configENS1_25partition_config_selectorILNS1_17partition_subalgoE6EyNS0_10empty_typeEbEEZZNS1_14partition_implILS5_6ELb0ES3_mN6thrust23THRUST_200600_302600_NS6detail15normal_iteratorINSA_10device_ptrIyEEEEPS6_SG_NS0_5tupleIJSF_S6_EEENSH_IJSG_SG_EEES6_PlJNSB_9not_fun_tI7is_evenIyEEEEEE10hipError_tPvRmT3_T4_T5_T6_T7_T9_mT8_P12ihipStream_tbDpT10_ENKUlT_T0_E_clISt17integral_constantIbLb0EES18_EEDaS13_S14_EUlS13_E_NS1_11comp_targetILNS1_3genE9ELNS1_11target_archE1100ELNS1_3gpuE3ELNS1_3repE0EEENS1_30default_config_static_selectorELNS0_4arch9wavefront6targetE0EEEvT1_.has_indirect_call, 0
	.section	.AMDGPU.csdata,"",@progbits
; Kernel info:
; codeLenInByte = 0
; TotalNumSgprs: 0
; NumVgprs: 0
; ScratchSize: 0
; MemoryBound: 0
; FloatMode: 240
; IeeeMode: 1
; LDSByteSize: 0 bytes/workgroup (compile time only)
; SGPRBlocks: 0
; VGPRBlocks: 0
; NumSGPRsForWavesPerEU: 1
; NumVGPRsForWavesPerEU: 1
; Occupancy: 16
; WaveLimiterHint : 0
; COMPUTE_PGM_RSRC2:SCRATCH_EN: 0
; COMPUTE_PGM_RSRC2:USER_SGPR: 2
; COMPUTE_PGM_RSRC2:TRAP_HANDLER: 0
; COMPUTE_PGM_RSRC2:TGID_X_EN: 1
; COMPUTE_PGM_RSRC2:TGID_Y_EN: 0
; COMPUTE_PGM_RSRC2:TGID_Z_EN: 0
; COMPUTE_PGM_RSRC2:TIDIG_COMP_CNT: 0
	.section	.text._ZN7rocprim17ROCPRIM_400000_NS6detail17trampoline_kernelINS0_14default_configENS1_25partition_config_selectorILNS1_17partition_subalgoE6EyNS0_10empty_typeEbEEZZNS1_14partition_implILS5_6ELb0ES3_mN6thrust23THRUST_200600_302600_NS6detail15normal_iteratorINSA_10device_ptrIyEEEEPS6_SG_NS0_5tupleIJSF_S6_EEENSH_IJSG_SG_EEES6_PlJNSB_9not_fun_tI7is_evenIyEEEEEE10hipError_tPvRmT3_T4_T5_T6_T7_T9_mT8_P12ihipStream_tbDpT10_ENKUlT_T0_E_clISt17integral_constantIbLb0EES18_EEDaS13_S14_EUlS13_E_NS1_11comp_targetILNS1_3genE8ELNS1_11target_archE1030ELNS1_3gpuE2ELNS1_3repE0EEENS1_30default_config_static_selectorELNS0_4arch9wavefront6targetE0EEEvT1_,"axG",@progbits,_ZN7rocprim17ROCPRIM_400000_NS6detail17trampoline_kernelINS0_14default_configENS1_25partition_config_selectorILNS1_17partition_subalgoE6EyNS0_10empty_typeEbEEZZNS1_14partition_implILS5_6ELb0ES3_mN6thrust23THRUST_200600_302600_NS6detail15normal_iteratorINSA_10device_ptrIyEEEEPS6_SG_NS0_5tupleIJSF_S6_EEENSH_IJSG_SG_EEES6_PlJNSB_9not_fun_tI7is_evenIyEEEEEE10hipError_tPvRmT3_T4_T5_T6_T7_T9_mT8_P12ihipStream_tbDpT10_ENKUlT_T0_E_clISt17integral_constantIbLb0EES18_EEDaS13_S14_EUlS13_E_NS1_11comp_targetILNS1_3genE8ELNS1_11target_archE1030ELNS1_3gpuE2ELNS1_3repE0EEENS1_30default_config_static_selectorELNS0_4arch9wavefront6targetE0EEEvT1_,comdat
	.protected	_ZN7rocprim17ROCPRIM_400000_NS6detail17trampoline_kernelINS0_14default_configENS1_25partition_config_selectorILNS1_17partition_subalgoE6EyNS0_10empty_typeEbEEZZNS1_14partition_implILS5_6ELb0ES3_mN6thrust23THRUST_200600_302600_NS6detail15normal_iteratorINSA_10device_ptrIyEEEEPS6_SG_NS0_5tupleIJSF_S6_EEENSH_IJSG_SG_EEES6_PlJNSB_9not_fun_tI7is_evenIyEEEEEE10hipError_tPvRmT3_T4_T5_T6_T7_T9_mT8_P12ihipStream_tbDpT10_ENKUlT_T0_E_clISt17integral_constantIbLb0EES18_EEDaS13_S14_EUlS13_E_NS1_11comp_targetILNS1_3genE8ELNS1_11target_archE1030ELNS1_3gpuE2ELNS1_3repE0EEENS1_30default_config_static_selectorELNS0_4arch9wavefront6targetE0EEEvT1_ ; -- Begin function _ZN7rocprim17ROCPRIM_400000_NS6detail17trampoline_kernelINS0_14default_configENS1_25partition_config_selectorILNS1_17partition_subalgoE6EyNS0_10empty_typeEbEEZZNS1_14partition_implILS5_6ELb0ES3_mN6thrust23THRUST_200600_302600_NS6detail15normal_iteratorINSA_10device_ptrIyEEEEPS6_SG_NS0_5tupleIJSF_S6_EEENSH_IJSG_SG_EEES6_PlJNSB_9not_fun_tI7is_evenIyEEEEEE10hipError_tPvRmT3_T4_T5_T6_T7_T9_mT8_P12ihipStream_tbDpT10_ENKUlT_T0_E_clISt17integral_constantIbLb0EES18_EEDaS13_S14_EUlS13_E_NS1_11comp_targetILNS1_3genE8ELNS1_11target_archE1030ELNS1_3gpuE2ELNS1_3repE0EEENS1_30default_config_static_selectorELNS0_4arch9wavefront6targetE0EEEvT1_
	.globl	_ZN7rocprim17ROCPRIM_400000_NS6detail17trampoline_kernelINS0_14default_configENS1_25partition_config_selectorILNS1_17partition_subalgoE6EyNS0_10empty_typeEbEEZZNS1_14partition_implILS5_6ELb0ES3_mN6thrust23THRUST_200600_302600_NS6detail15normal_iteratorINSA_10device_ptrIyEEEEPS6_SG_NS0_5tupleIJSF_S6_EEENSH_IJSG_SG_EEES6_PlJNSB_9not_fun_tI7is_evenIyEEEEEE10hipError_tPvRmT3_T4_T5_T6_T7_T9_mT8_P12ihipStream_tbDpT10_ENKUlT_T0_E_clISt17integral_constantIbLb0EES18_EEDaS13_S14_EUlS13_E_NS1_11comp_targetILNS1_3genE8ELNS1_11target_archE1030ELNS1_3gpuE2ELNS1_3repE0EEENS1_30default_config_static_selectorELNS0_4arch9wavefront6targetE0EEEvT1_
	.p2align	8
	.type	_ZN7rocprim17ROCPRIM_400000_NS6detail17trampoline_kernelINS0_14default_configENS1_25partition_config_selectorILNS1_17partition_subalgoE6EyNS0_10empty_typeEbEEZZNS1_14partition_implILS5_6ELb0ES3_mN6thrust23THRUST_200600_302600_NS6detail15normal_iteratorINSA_10device_ptrIyEEEEPS6_SG_NS0_5tupleIJSF_S6_EEENSH_IJSG_SG_EEES6_PlJNSB_9not_fun_tI7is_evenIyEEEEEE10hipError_tPvRmT3_T4_T5_T6_T7_T9_mT8_P12ihipStream_tbDpT10_ENKUlT_T0_E_clISt17integral_constantIbLb0EES18_EEDaS13_S14_EUlS13_E_NS1_11comp_targetILNS1_3genE8ELNS1_11target_archE1030ELNS1_3gpuE2ELNS1_3repE0EEENS1_30default_config_static_selectorELNS0_4arch9wavefront6targetE0EEEvT1_,@function
_ZN7rocprim17ROCPRIM_400000_NS6detail17trampoline_kernelINS0_14default_configENS1_25partition_config_selectorILNS1_17partition_subalgoE6EyNS0_10empty_typeEbEEZZNS1_14partition_implILS5_6ELb0ES3_mN6thrust23THRUST_200600_302600_NS6detail15normal_iteratorINSA_10device_ptrIyEEEEPS6_SG_NS0_5tupleIJSF_S6_EEENSH_IJSG_SG_EEES6_PlJNSB_9not_fun_tI7is_evenIyEEEEEE10hipError_tPvRmT3_T4_T5_T6_T7_T9_mT8_P12ihipStream_tbDpT10_ENKUlT_T0_E_clISt17integral_constantIbLb0EES18_EEDaS13_S14_EUlS13_E_NS1_11comp_targetILNS1_3genE8ELNS1_11target_archE1030ELNS1_3gpuE2ELNS1_3repE0EEENS1_30default_config_static_selectorELNS0_4arch9wavefront6targetE0EEEvT1_: ; @_ZN7rocprim17ROCPRIM_400000_NS6detail17trampoline_kernelINS0_14default_configENS1_25partition_config_selectorILNS1_17partition_subalgoE6EyNS0_10empty_typeEbEEZZNS1_14partition_implILS5_6ELb0ES3_mN6thrust23THRUST_200600_302600_NS6detail15normal_iteratorINSA_10device_ptrIyEEEEPS6_SG_NS0_5tupleIJSF_S6_EEENSH_IJSG_SG_EEES6_PlJNSB_9not_fun_tI7is_evenIyEEEEEE10hipError_tPvRmT3_T4_T5_T6_T7_T9_mT8_P12ihipStream_tbDpT10_ENKUlT_T0_E_clISt17integral_constantIbLb0EES18_EEDaS13_S14_EUlS13_E_NS1_11comp_targetILNS1_3genE8ELNS1_11target_archE1030ELNS1_3gpuE2ELNS1_3repE0EEENS1_30default_config_static_selectorELNS0_4arch9wavefront6targetE0EEEvT1_
; %bb.0:
	.section	.rodata,"a",@progbits
	.p2align	6, 0x0
	.amdhsa_kernel _ZN7rocprim17ROCPRIM_400000_NS6detail17trampoline_kernelINS0_14default_configENS1_25partition_config_selectorILNS1_17partition_subalgoE6EyNS0_10empty_typeEbEEZZNS1_14partition_implILS5_6ELb0ES3_mN6thrust23THRUST_200600_302600_NS6detail15normal_iteratorINSA_10device_ptrIyEEEEPS6_SG_NS0_5tupleIJSF_S6_EEENSH_IJSG_SG_EEES6_PlJNSB_9not_fun_tI7is_evenIyEEEEEE10hipError_tPvRmT3_T4_T5_T6_T7_T9_mT8_P12ihipStream_tbDpT10_ENKUlT_T0_E_clISt17integral_constantIbLb0EES18_EEDaS13_S14_EUlS13_E_NS1_11comp_targetILNS1_3genE8ELNS1_11target_archE1030ELNS1_3gpuE2ELNS1_3repE0EEENS1_30default_config_static_selectorELNS0_4arch9wavefront6targetE0EEEvT1_
		.amdhsa_group_segment_fixed_size 0
		.amdhsa_private_segment_fixed_size 0
		.amdhsa_kernarg_size 112
		.amdhsa_user_sgpr_count 2
		.amdhsa_user_sgpr_dispatch_ptr 0
		.amdhsa_user_sgpr_queue_ptr 0
		.amdhsa_user_sgpr_kernarg_segment_ptr 1
		.amdhsa_user_sgpr_dispatch_id 0
		.amdhsa_user_sgpr_private_segment_size 0
		.amdhsa_wavefront_size32 1
		.amdhsa_uses_dynamic_stack 0
		.amdhsa_enable_private_segment 0
		.amdhsa_system_sgpr_workgroup_id_x 1
		.amdhsa_system_sgpr_workgroup_id_y 0
		.amdhsa_system_sgpr_workgroup_id_z 0
		.amdhsa_system_sgpr_workgroup_info 0
		.amdhsa_system_vgpr_workitem_id 0
		.amdhsa_next_free_vgpr 1
		.amdhsa_next_free_sgpr 1
		.amdhsa_reserve_vcc 0
		.amdhsa_float_round_mode_32 0
		.amdhsa_float_round_mode_16_64 0
		.amdhsa_float_denorm_mode_32 3
		.amdhsa_float_denorm_mode_16_64 3
		.amdhsa_fp16_overflow 0
		.amdhsa_workgroup_processor_mode 1
		.amdhsa_memory_ordered 1
		.amdhsa_forward_progress 1
		.amdhsa_inst_pref_size 0
		.amdhsa_round_robin_scheduling 0
		.amdhsa_exception_fp_ieee_invalid_op 0
		.amdhsa_exception_fp_denorm_src 0
		.amdhsa_exception_fp_ieee_div_zero 0
		.amdhsa_exception_fp_ieee_overflow 0
		.amdhsa_exception_fp_ieee_underflow 0
		.amdhsa_exception_fp_ieee_inexact 0
		.amdhsa_exception_int_div_zero 0
	.end_amdhsa_kernel
	.section	.text._ZN7rocprim17ROCPRIM_400000_NS6detail17trampoline_kernelINS0_14default_configENS1_25partition_config_selectorILNS1_17partition_subalgoE6EyNS0_10empty_typeEbEEZZNS1_14partition_implILS5_6ELb0ES3_mN6thrust23THRUST_200600_302600_NS6detail15normal_iteratorINSA_10device_ptrIyEEEEPS6_SG_NS0_5tupleIJSF_S6_EEENSH_IJSG_SG_EEES6_PlJNSB_9not_fun_tI7is_evenIyEEEEEE10hipError_tPvRmT3_T4_T5_T6_T7_T9_mT8_P12ihipStream_tbDpT10_ENKUlT_T0_E_clISt17integral_constantIbLb0EES18_EEDaS13_S14_EUlS13_E_NS1_11comp_targetILNS1_3genE8ELNS1_11target_archE1030ELNS1_3gpuE2ELNS1_3repE0EEENS1_30default_config_static_selectorELNS0_4arch9wavefront6targetE0EEEvT1_,"axG",@progbits,_ZN7rocprim17ROCPRIM_400000_NS6detail17trampoline_kernelINS0_14default_configENS1_25partition_config_selectorILNS1_17partition_subalgoE6EyNS0_10empty_typeEbEEZZNS1_14partition_implILS5_6ELb0ES3_mN6thrust23THRUST_200600_302600_NS6detail15normal_iteratorINSA_10device_ptrIyEEEEPS6_SG_NS0_5tupleIJSF_S6_EEENSH_IJSG_SG_EEES6_PlJNSB_9not_fun_tI7is_evenIyEEEEEE10hipError_tPvRmT3_T4_T5_T6_T7_T9_mT8_P12ihipStream_tbDpT10_ENKUlT_T0_E_clISt17integral_constantIbLb0EES18_EEDaS13_S14_EUlS13_E_NS1_11comp_targetILNS1_3genE8ELNS1_11target_archE1030ELNS1_3gpuE2ELNS1_3repE0EEENS1_30default_config_static_selectorELNS0_4arch9wavefront6targetE0EEEvT1_,comdat
.Lfunc_end604:
	.size	_ZN7rocprim17ROCPRIM_400000_NS6detail17trampoline_kernelINS0_14default_configENS1_25partition_config_selectorILNS1_17partition_subalgoE6EyNS0_10empty_typeEbEEZZNS1_14partition_implILS5_6ELb0ES3_mN6thrust23THRUST_200600_302600_NS6detail15normal_iteratorINSA_10device_ptrIyEEEEPS6_SG_NS0_5tupleIJSF_S6_EEENSH_IJSG_SG_EEES6_PlJNSB_9not_fun_tI7is_evenIyEEEEEE10hipError_tPvRmT3_T4_T5_T6_T7_T9_mT8_P12ihipStream_tbDpT10_ENKUlT_T0_E_clISt17integral_constantIbLb0EES18_EEDaS13_S14_EUlS13_E_NS1_11comp_targetILNS1_3genE8ELNS1_11target_archE1030ELNS1_3gpuE2ELNS1_3repE0EEENS1_30default_config_static_selectorELNS0_4arch9wavefront6targetE0EEEvT1_, .Lfunc_end604-_ZN7rocprim17ROCPRIM_400000_NS6detail17trampoline_kernelINS0_14default_configENS1_25partition_config_selectorILNS1_17partition_subalgoE6EyNS0_10empty_typeEbEEZZNS1_14partition_implILS5_6ELb0ES3_mN6thrust23THRUST_200600_302600_NS6detail15normal_iteratorINSA_10device_ptrIyEEEEPS6_SG_NS0_5tupleIJSF_S6_EEENSH_IJSG_SG_EEES6_PlJNSB_9not_fun_tI7is_evenIyEEEEEE10hipError_tPvRmT3_T4_T5_T6_T7_T9_mT8_P12ihipStream_tbDpT10_ENKUlT_T0_E_clISt17integral_constantIbLb0EES18_EEDaS13_S14_EUlS13_E_NS1_11comp_targetILNS1_3genE8ELNS1_11target_archE1030ELNS1_3gpuE2ELNS1_3repE0EEENS1_30default_config_static_selectorELNS0_4arch9wavefront6targetE0EEEvT1_
                                        ; -- End function
	.set _ZN7rocprim17ROCPRIM_400000_NS6detail17trampoline_kernelINS0_14default_configENS1_25partition_config_selectorILNS1_17partition_subalgoE6EyNS0_10empty_typeEbEEZZNS1_14partition_implILS5_6ELb0ES3_mN6thrust23THRUST_200600_302600_NS6detail15normal_iteratorINSA_10device_ptrIyEEEEPS6_SG_NS0_5tupleIJSF_S6_EEENSH_IJSG_SG_EEES6_PlJNSB_9not_fun_tI7is_evenIyEEEEEE10hipError_tPvRmT3_T4_T5_T6_T7_T9_mT8_P12ihipStream_tbDpT10_ENKUlT_T0_E_clISt17integral_constantIbLb0EES18_EEDaS13_S14_EUlS13_E_NS1_11comp_targetILNS1_3genE8ELNS1_11target_archE1030ELNS1_3gpuE2ELNS1_3repE0EEENS1_30default_config_static_selectorELNS0_4arch9wavefront6targetE0EEEvT1_.num_vgpr, 0
	.set _ZN7rocprim17ROCPRIM_400000_NS6detail17trampoline_kernelINS0_14default_configENS1_25partition_config_selectorILNS1_17partition_subalgoE6EyNS0_10empty_typeEbEEZZNS1_14partition_implILS5_6ELb0ES3_mN6thrust23THRUST_200600_302600_NS6detail15normal_iteratorINSA_10device_ptrIyEEEEPS6_SG_NS0_5tupleIJSF_S6_EEENSH_IJSG_SG_EEES6_PlJNSB_9not_fun_tI7is_evenIyEEEEEE10hipError_tPvRmT3_T4_T5_T6_T7_T9_mT8_P12ihipStream_tbDpT10_ENKUlT_T0_E_clISt17integral_constantIbLb0EES18_EEDaS13_S14_EUlS13_E_NS1_11comp_targetILNS1_3genE8ELNS1_11target_archE1030ELNS1_3gpuE2ELNS1_3repE0EEENS1_30default_config_static_selectorELNS0_4arch9wavefront6targetE0EEEvT1_.num_agpr, 0
	.set _ZN7rocprim17ROCPRIM_400000_NS6detail17trampoline_kernelINS0_14default_configENS1_25partition_config_selectorILNS1_17partition_subalgoE6EyNS0_10empty_typeEbEEZZNS1_14partition_implILS5_6ELb0ES3_mN6thrust23THRUST_200600_302600_NS6detail15normal_iteratorINSA_10device_ptrIyEEEEPS6_SG_NS0_5tupleIJSF_S6_EEENSH_IJSG_SG_EEES6_PlJNSB_9not_fun_tI7is_evenIyEEEEEE10hipError_tPvRmT3_T4_T5_T6_T7_T9_mT8_P12ihipStream_tbDpT10_ENKUlT_T0_E_clISt17integral_constantIbLb0EES18_EEDaS13_S14_EUlS13_E_NS1_11comp_targetILNS1_3genE8ELNS1_11target_archE1030ELNS1_3gpuE2ELNS1_3repE0EEENS1_30default_config_static_selectorELNS0_4arch9wavefront6targetE0EEEvT1_.numbered_sgpr, 0
	.set _ZN7rocprim17ROCPRIM_400000_NS6detail17trampoline_kernelINS0_14default_configENS1_25partition_config_selectorILNS1_17partition_subalgoE6EyNS0_10empty_typeEbEEZZNS1_14partition_implILS5_6ELb0ES3_mN6thrust23THRUST_200600_302600_NS6detail15normal_iteratorINSA_10device_ptrIyEEEEPS6_SG_NS0_5tupleIJSF_S6_EEENSH_IJSG_SG_EEES6_PlJNSB_9not_fun_tI7is_evenIyEEEEEE10hipError_tPvRmT3_T4_T5_T6_T7_T9_mT8_P12ihipStream_tbDpT10_ENKUlT_T0_E_clISt17integral_constantIbLb0EES18_EEDaS13_S14_EUlS13_E_NS1_11comp_targetILNS1_3genE8ELNS1_11target_archE1030ELNS1_3gpuE2ELNS1_3repE0EEENS1_30default_config_static_selectorELNS0_4arch9wavefront6targetE0EEEvT1_.num_named_barrier, 0
	.set _ZN7rocprim17ROCPRIM_400000_NS6detail17trampoline_kernelINS0_14default_configENS1_25partition_config_selectorILNS1_17partition_subalgoE6EyNS0_10empty_typeEbEEZZNS1_14partition_implILS5_6ELb0ES3_mN6thrust23THRUST_200600_302600_NS6detail15normal_iteratorINSA_10device_ptrIyEEEEPS6_SG_NS0_5tupleIJSF_S6_EEENSH_IJSG_SG_EEES6_PlJNSB_9not_fun_tI7is_evenIyEEEEEE10hipError_tPvRmT3_T4_T5_T6_T7_T9_mT8_P12ihipStream_tbDpT10_ENKUlT_T0_E_clISt17integral_constantIbLb0EES18_EEDaS13_S14_EUlS13_E_NS1_11comp_targetILNS1_3genE8ELNS1_11target_archE1030ELNS1_3gpuE2ELNS1_3repE0EEENS1_30default_config_static_selectorELNS0_4arch9wavefront6targetE0EEEvT1_.private_seg_size, 0
	.set _ZN7rocprim17ROCPRIM_400000_NS6detail17trampoline_kernelINS0_14default_configENS1_25partition_config_selectorILNS1_17partition_subalgoE6EyNS0_10empty_typeEbEEZZNS1_14partition_implILS5_6ELb0ES3_mN6thrust23THRUST_200600_302600_NS6detail15normal_iteratorINSA_10device_ptrIyEEEEPS6_SG_NS0_5tupleIJSF_S6_EEENSH_IJSG_SG_EEES6_PlJNSB_9not_fun_tI7is_evenIyEEEEEE10hipError_tPvRmT3_T4_T5_T6_T7_T9_mT8_P12ihipStream_tbDpT10_ENKUlT_T0_E_clISt17integral_constantIbLb0EES18_EEDaS13_S14_EUlS13_E_NS1_11comp_targetILNS1_3genE8ELNS1_11target_archE1030ELNS1_3gpuE2ELNS1_3repE0EEENS1_30default_config_static_selectorELNS0_4arch9wavefront6targetE0EEEvT1_.uses_vcc, 0
	.set _ZN7rocprim17ROCPRIM_400000_NS6detail17trampoline_kernelINS0_14default_configENS1_25partition_config_selectorILNS1_17partition_subalgoE6EyNS0_10empty_typeEbEEZZNS1_14partition_implILS5_6ELb0ES3_mN6thrust23THRUST_200600_302600_NS6detail15normal_iteratorINSA_10device_ptrIyEEEEPS6_SG_NS0_5tupleIJSF_S6_EEENSH_IJSG_SG_EEES6_PlJNSB_9not_fun_tI7is_evenIyEEEEEE10hipError_tPvRmT3_T4_T5_T6_T7_T9_mT8_P12ihipStream_tbDpT10_ENKUlT_T0_E_clISt17integral_constantIbLb0EES18_EEDaS13_S14_EUlS13_E_NS1_11comp_targetILNS1_3genE8ELNS1_11target_archE1030ELNS1_3gpuE2ELNS1_3repE0EEENS1_30default_config_static_selectorELNS0_4arch9wavefront6targetE0EEEvT1_.uses_flat_scratch, 0
	.set _ZN7rocprim17ROCPRIM_400000_NS6detail17trampoline_kernelINS0_14default_configENS1_25partition_config_selectorILNS1_17partition_subalgoE6EyNS0_10empty_typeEbEEZZNS1_14partition_implILS5_6ELb0ES3_mN6thrust23THRUST_200600_302600_NS6detail15normal_iteratorINSA_10device_ptrIyEEEEPS6_SG_NS0_5tupleIJSF_S6_EEENSH_IJSG_SG_EEES6_PlJNSB_9not_fun_tI7is_evenIyEEEEEE10hipError_tPvRmT3_T4_T5_T6_T7_T9_mT8_P12ihipStream_tbDpT10_ENKUlT_T0_E_clISt17integral_constantIbLb0EES18_EEDaS13_S14_EUlS13_E_NS1_11comp_targetILNS1_3genE8ELNS1_11target_archE1030ELNS1_3gpuE2ELNS1_3repE0EEENS1_30default_config_static_selectorELNS0_4arch9wavefront6targetE0EEEvT1_.has_dyn_sized_stack, 0
	.set _ZN7rocprim17ROCPRIM_400000_NS6detail17trampoline_kernelINS0_14default_configENS1_25partition_config_selectorILNS1_17partition_subalgoE6EyNS0_10empty_typeEbEEZZNS1_14partition_implILS5_6ELb0ES3_mN6thrust23THRUST_200600_302600_NS6detail15normal_iteratorINSA_10device_ptrIyEEEEPS6_SG_NS0_5tupleIJSF_S6_EEENSH_IJSG_SG_EEES6_PlJNSB_9not_fun_tI7is_evenIyEEEEEE10hipError_tPvRmT3_T4_T5_T6_T7_T9_mT8_P12ihipStream_tbDpT10_ENKUlT_T0_E_clISt17integral_constantIbLb0EES18_EEDaS13_S14_EUlS13_E_NS1_11comp_targetILNS1_3genE8ELNS1_11target_archE1030ELNS1_3gpuE2ELNS1_3repE0EEENS1_30default_config_static_selectorELNS0_4arch9wavefront6targetE0EEEvT1_.has_recursion, 0
	.set _ZN7rocprim17ROCPRIM_400000_NS6detail17trampoline_kernelINS0_14default_configENS1_25partition_config_selectorILNS1_17partition_subalgoE6EyNS0_10empty_typeEbEEZZNS1_14partition_implILS5_6ELb0ES3_mN6thrust23THRUST_200600_302600_NS6detail15normal_iteratorINSA_10device_ptrIyEEEEPS6_SG_NS0_5tupleIJSF_S6_EEENSH_IJSG_SG_EEES6_PlJNSB_9not_fun_tI7is_evenIyEEEEEE10hipError_tPvRmT3_T4_T5_T6_T7_T9_mT8_P12ihipStream_tbDpT10_ENKUlT_T0_E_clISt17integral_constantIbLb0EES18_EEDaS13_S14_EUlS13_E_NS1_11comp_targetILNS1_3genE8ELNS1_11target_archE1030ELNS1_3gpuE2ELNS1_3repE0EEENS1_30default_config_static_selectorELNS0_4arch9wavefront6targetE0EEEvT1_.has_indirect_call, 0
	.section	.AMDGPU.csdata,"",@progbits
; Kernel info:
; codeLenInByte = 0
; TotalNumSgprs: 0
; NumVgprs: 0
; ScratchSize: 0
; MemoryBound: 0
; FloatMode: 240
; IeeeMode: 1
; LDSByteSize: 0 bytes/workgroup (compile time only)
; SGPRBlocks: 0
; VGPRBlocks: 0
; NumSGPRsForWavesPerEU: 1
; NumVGPRsForWavesPerEU: 1
; Occupancy: 16
; WaveLimiterHint : 0
; COMPUTE_PGM_RSRC2:SCRATCH_EN: 0
; COMPUTE_PGM_RSRC2:USER_SGPR: 2
; COMPUTE_PGM_RSRC2:TRAP_HANDLER: 0
; COMPUTE_PGM_RSRC2:TGID_X_EN: 1
; COMPUTE_PGM_RSRC2:TGID_Y_EN: 0
; COMPUTE_PGM_RSRC2:TGID_Z_EN: 0
; COMPUTE_PGM_RSRC2:TIDIG_COMP_CNT: 0
	.section	.text._ZN7rocprim17ROCPRIM_400000_NS6detail17trampoline_kernelINS0_14default_configENS1_25partition_config_selectorILNS1_17partition_subalgoE6EyNS0_10empty_typeEbEEZZNS1_14partition_implILS5_6ELb0ES3_mN6thrust23THRUST_200600_302600_NS6detail15normal_iteratorINSA_10device_ptrIyEEEEPS6_SG_NS0_5tupleIJSF_S6_EEENSH_IJSG_SG_EEES6_PlJNSB_9not_fun_tI7is_evenIyEEEEEE10hipError_tPvRmT3_T4_T5_T6_T7_T9_mT8_P12ihipStream_tbDpT10_ENKUlT_T0_E_clISt17integral_constantIbLb1EES18_EEDaS13_S14_EUlS13_E_NS1_11comp_targetILNS1_3genE0ELNS1_11target_archE4294967295ELNS1_3gpuE0ELNS1_3repE0EEENS1_30default_config_static_selectorELNS0_4arch9wavefront6targetE0EEEvT1_,"axG",@progbits,_ZN7rocprim17ROCPRIM_400000_NS6detail17trampoline_kernelINS0_14default_configENS1_25partition_config_selectorILNS1_17partition_subalgoE6EyNS0_10empty_typeEbEEZZNS1_14partition_implILS5_6ELb0ES3_mN6thrust23THRUST_200600_302600_NS6detail15normal_iteratorINSA_10device_ptrIyEEEEPS6_SG_NS0_5tupleIJSF_S6_EEENSH_IJSG_SG_EEES6_PlJNSB_9not_fun_tI7is_evenIyEEEEEE10hipError_tPvRmT3_T4_T5_T6_T7_T9_mT8_P12ihipStream_tbDpT10_ENKUlT_T0_E_clISt17integral_constantIbLb1EES18_EEDaS13_S14_EUlS13_E_NS1_11comp_targetILNS1_3genE0ELNS1_11target_archE4294967295ELNS1_3gpuE0ELNS1_3repE0EEENS1_30default_config_static_selectorELNS0_4arch9wavefront6targetE0EEEvT1_,comdat
	.protected	_ZN7rocprim17ROCPRIM_400000_NS6detail17trampoline_kernelINS0_14default_configENS1_25partition_config_selectorILNS1_17partition_subalgoE6EyNS0_10empty_typeEbEEZZNS1_14partition_implILS5_6ELb0ES3_mN6thrust23THRUST_200600_302600_NS6detail15normal_iteratorINSA_10device_ptrIyEEEEPS6_SG_NS0_5tupleIJSF_S6_EEENSH_IJSG_SG_EEES6_PlJNSB_9not_fun_tI7is_evenIyEEEEEE10hipError_tPvRmT3_T4_T5_T6_T7_T9_mT8_P12ihipStream_tbDpT10_ENKUlT_T0_E_clISt17integral_constantIbLb1EES18_EEDaS13_S14_EUlS13_E_NS1_11comp_targetILNS1_3genE0ELNS1_11target_archE4294967295ELNS1_3gpuE0ELNS1_3repE0EEENS1_30default_config_static_selectorELNS0_4arch9wavefront6targetE0EEEvT1_ ; -- Begin function _ZN7rocprim17ROCPRIM_400000_NS6detail17trampoline_kernelINS0_14default_configENS1_25partition_config_selectorILNS1_17partition_subalgoE6EyNS0_10empty_typeEbEEZZNS1_14partition_implILS5_6ELb0ES3_mN6thrust23THRUST_200600_302600_NS6detail15normal_iteratorINSA_10device_ptrIyEEEEPS6_SG_NS0_5tupleIJSF_S6_EEENSH_IJSG_SG_EEES6_PlJNSB_9not_fun_tI7is_evenIyEEEEEE10hipError_tPvRmT3_T4_T5_T6_T7_T9_mT8_P12ihipStream_tbDpT10_ENKUlT_T0_E_clISt17integral_constantIbLb1EES18_EEDaS13_S14_EUlS13_E_NS1_11comp_targetILNS1_3genE0ELNS1_11target_archE4294967295ELNS1_3gpuE0ELNS1_3repE0EEENS1_30default_config_static_selectorELNS0_4arch9wavefront6targetE0EEEvT1_
	.globl	_ZN7rocprim17ROCPRIM_400000_NS6detail17trampoline_kernelINS0_14default_configENS1_25partition_config_selectorILNS1_17partition_subalgoE6EyNS0_10empty_typeEbEEZZNS1_14partition_implILS5_6ELb0ES3_mN6thrust23THRUST_200600_302600_NS6detail15normal_iteratorINSA_10device_ptrIyEEEEPS6_SG_NS0_5tupleIJSF_S6_EEENSH_IJSG_SG_EEES6_PlJNSB_9not_fun_tI7is_evenIyEEEEEE10hipError_tPvRmT3_T4_T5_T6_T7_T9_mT8_P12ihipStream_tbDpT10_ENKUlT_T0_E_clISt17integral_constantIbLb1EES18_EEDaS13_S14_EUlS13_E_NS1_11comp_targetILNS1_3genE0ELNS1_11target_archE4294967295ELNS1_3gpuE0ELNS1_3repE0EEENS1_30default_config_static_selectorELNS0_4arch9wavefront6targetE0EEEvT1_
	.p2align	8
	.type	_ZN7rocprim17ROCPRIM_400000_NS6detail17trampoline_kernelINS0_14default_configENS1_25partition_config_selectorILNS1_17partition_subalgoE6EyNS0_10empty_typeEbEEZZNS1_14partition_implILS5_6ELb0ES3_mN6thrust23THRUST_200600_302600_NS6detail15normal_iteratorINSA_10device_ptrIyEEEEPS6_SG_NS0_5tupleIJSF_S6_EEENSH_IJSG_SG_EEES6_PlJNSB_9not_fun_tI7is_evenIyEEEEEE10hipError_tPvRmT3_T4_T5_T6_T7_T9_mT8_P12ihipStream_tbDpT10_ENKUlT_T0_E_clISt17integral_constantIbLb1EES18_EEDaS13_S14_EUlS13_E_NS1_11comp_targetILNS1_3genE0ELNS1_11target_archE4294967295ELNS1_3gpuE0ELNS1_3repE0EEENS1_30default_config_static_selectorELNS0_4arch9wavefront6targetE0EEEvT1_,@function
_ZN7rocprim17ROCPRIM_400000_NS6detail17trampoline_kernelINS0_14default_configENS1_25partition_config_selectorILNS1_17partition_subalgoE6EyNS0_10empty_typeEbEEZZNS1_14partition_implILS5_6ELb0ES3_mN6thrust23THRUST_200600_302600_NS6detail15normal_iteratorINSA_10device_ptrIyEEEEPS6_SG_NS0_5tupleIJSF_S6_EEENSH_IJSG_SG_EEES6_PlJNSB_9not_fun_tI7is_evenIyEEEEEE10hipError_tPvRmT3_T4_T5_T6_T7_T9_mT8_P12ihipStream_tbDpT10_ENKUlT_T0_E_clISt17integral_constantIbLb1EES18_EEDaS13_S14_EUlS13_E_NS1_11comp_targetILNS1_3genE0ELNS1_11target_archE4294967295ELNS1_3gpuE0ELNS1_3repE0EEENS1_30default_config_static_selectorELNS0_4arch9wavefront6targetE0EEEvT1_: ; @_ZN7rocprim17ROCPRIM_400000_NS6detail17trampoline_kernelINS0_14default_configENS1_25partition_config_selectorILNS1_17partition_subalgoE6EyNS0_10empty_typeEbEEZZNS1_14partition_implILS5_6ELb0ES3_mN6thrust23THRUST_200600_302600_NS6detail15normal_iteratorINSA_10device_ptrIyEEEEPS6_SG_NS0_5tupleIJSF_S6_EEENSH_IJSG_SG_EEES6_PlJNSB_9not_fun_tI7is_evenIyEEEEEE10hipError_tPvRmT3_T4_T5_T6_T7_T9_mT8_P12ihipStream_tbDpT10_ENKUlT_T0_E_clISt17integral_constantIbLb1EES18_EEDaS13_S14_EUlS13_E_NS1_11comp_targetILNS1_3genE0ELNS1_11target_archE4294967295ELNS1_3gpuE0ELNS1_3repE0EEENS1_30default_config_static_selectorELNS0_4arch9wavefront6targetE0EEEvT1_
; %bb.0:
	.section	.rodata,"a",@progbits
	.p2align	6, 0x0
	.amdhsa_kernel _ZN7rocprim17ROCPRIM_400000_NS6detail17trampoline_kernelINS0_14default_configENS1_25partition_config_selectorILNS1_17partition_subalgoE6EyNS0_10empty_typeEbEEZZNS1_14partition_implILS5_6ELb0ES3_mN6thrust23THRUST_200600_302600_NS6detail15normal_iteratorINSA_10device_ptrIyEEEEPS6_SG_NS0_5tupleIJSF_S6_EEENSH_IJSG_SG_EEES6_PlJNSB_9not_fun_tI7is_evenIyEEEEEE10hipError_tPvRmT3_T4_T5_T6_T7_T9_mT8_P12ihipStream_tbDpT10_ENKUlT_T0_E_clISt17integral_constantIbLb1EES18_EEDaS13_S14_EUlS13_E_NS1_11comp_targetILNS1_3genE0ELNS1_11target_archE4294967295ELNS1_3gpuE0ELNS1_3repE0EEENS1_30default_config_static_selectorELNS0_4arch9wavefront6targetE0EEEvT1_
		.amdhsa_group_segment_fixed_size 0
		.amdhsa_private_segment_fixed_size 0
		.amdhsa_kernarg_size 128
		.amdhsa_user_sgpr_count 2
		.amdhsa_user_sgpr_dispatch_ptr 0
		.amdhsa_user_sgpr_queue_ptr 0
		.amdhsa_user_sgpr_kernarg_segment_ptr 1
		.amdhsa_user_sgpr_dispatch_id 0
		.amdhsa_user_sgpr_private_segment_size 0
		.amdhsa_wavefront_size32 1
		.amdhsa_uses_dynamic_stack 0
		.amdhsa_enable_private_segment 0
		.amdhsa_system_sgpr_workgroup_id_x 1
		.amdhsa_system_sgpr_workgroup_id_y 0
		.amdhsa_system_sgpr_workgroup_id_z 0
		.amdhsa_system_sgpr_workgroup_info 0
		.amdhsa_system_vgpr_workitem_id 0
		.amdhsa_next_free_vgpr 1
		.amdhsa_next_free_sgpr 1
		.amdhsa_reserve_vcc 0
		.amdhsa_float_round_mode_32 0
		.amdhsa_float_round_mode_16_64 0
		.amdhsa_float_denorm_mode_32 3
		.amdhsa_float_denorm_mode_16_64 3
		.amdhsa_fp16_overflow 0
		.amdhsa_workgroup_processor_mode 1
		.amdhsa_memory_ordered 1
		.amdhsa_forward_progress 1
		.amdhsa_inst_pref_size 0
		.amdhsa_round_robin_scheduling 0
		.amdhsa_exception_fp_ieee_invalid_op 0
		.amdhsa_exception_fp_denorm_src 0
		.amdhsa_exception_fp_ieee_div_zero 0
		.amdhsa_exception_fp_ieee_overflow 0
		.amdhsa_exception_fp_ieee_underflow 0
		.amdhsa_exception_fp_ieee_inexact 0
		.amdhsa_exception_int_div_zero 0
	.end_amdhsa_kernel
	.section	.text._ZN7rocprim17ROCPRIM_400000_NS6detail17trampoline_kernelINS0_14default_configENS1_25partition_config_selectorILNS1_17partition_subalgoE6EyNS0_10empty_typeEbEEZZNS1_14partition_implILS5_6ELb0ES3_mN6thrust23THRUST_200600_302600_NS6detail15normal_iteratorINSA_10device_ptrIyEEEEPS6_SG_NS0_5tupleIJSF_S6_EEENSH_IJSG_SG_EEES6_PlJNSB_9not_fun_tI7is_evenIyEEEEEE10hipError_tPvRmT3_T4_T5_T6_T7_T9_mT8_P12ihipStream_tbDpT10_ENKUlT_T0_E_clISt17integral_constantIbLb1EES18_EEDaS13_S14_EUlS13_E_NS1_11comp_targetILNS1_3genE0ELNS1_11target_archE4294967295ELNS1_3gpuE0ELNS1_3repE0EEENS1_30default_config_static_selectorELNS0_4arch9wavefront6targetE0EEEvT1_,"axG",@progbits,_ZN7rocprim17ROCPRIM_400000_NS6detail17trampoline_kernelINS0_14default_configENS1_25partition_config_selectorILNS1_17partition_subalgoE6EyNS0_10empty_typeEbEEZZNS1_14partition_implILS5_6ELb0ES3_mN6thrust23THRUST_200600_302600_NS6detail15normal_iteratorINSA_10device_ptrIyEEEEPS6_SG_NS0_5tupleIJSF_S6_EEENSH_IJSG_SG_EEES6_PlJNSB_9not_fun_tI7is_evenIyEEEEEE10hipError_tPvRmT3_T4_T5_T6_T7_T9_mT8_P12ihipStream_tbDpT10_ENKUlT_T0_E_clISt17integral_constantIbLb1EES18_EEDaS13_S14_EUlS13_E_NS1_11comp_targetILNS1_3genE0ELNS1_11target_archE4294967295ELNS1_3gpuE0ELNS1_3repE0EEENS1_30default_config_static_selectorELNS0_4arch9wavefront6targetE0EEEvT1_,comdat
.Lfunc_end605:
	.size	_ZN7rocprim17ROCPRIM_400000_NS6detail17trampoline_kernelINS0_14default_configENS1_25partition_config_selectorILNS1_17partition_subalgoE6EyNS0_10empty_typeEbEEZZNS1_14partition_implILS5_6ELb0ES3_mN6thrust23THRUST_200600_302600_NS6detail15normal_iteratorINSA_10device_ptrIyEEEEPS6_SG_NS0_5tupleIJSF_S6_EEENSH_IJSG_SG_EEES6_PlJNSB_9not_fun_tI7is_evenIyEEEEEE10hipError_tPvRmT3_T4_T5_T6_T7_T9_mT8_P12ihipStream_tbDpT10_ENKUlT_T0_E_clISt17integral_constantIbLb1EES18_EEDaS13_S14_EUlS13_E_NS1_11comp_targetILNS1_3genE0ELNS1_11target_archE4294967295ELNS1_3gpuE0ELNS1_3repE0EEENS1_30default_config_static_selectorELNS0_4arch9wavefront6targetE0EEEvT1_, .Lfunc_end605-_ZN7rocprim17ROCPRIM_400000_NS6detail17trampoline_kernelINS0_14default_configENS1_25partition_config_selectorILNS1_17partition_subalgoE6EyNS0_10empty_typeEbEEZZNS1_14partition_implILS5_6ELb0ES3_mN6thrust23THRUST_200600_302600_NS6detail15normal_iteratorINSA_10device_ptrIyEEEEPS6_SG_NS0_5tupleIJSF_S6_EEENSH_IJSG_SG_EEES6_PlJNSB_9not_fun_tI7is_evenIyEEEEEE10hipError_tPvRmT3_T4_T5_T6_T7_T9_mT8_P12ihipStream_tbDpT10_ENKUlT_T0_E_clISt17integral_constantIbLb1EES18_EEDaS13_S14_EUlS13_E_NS1_11comp_targetILNS1_3genE0ELNS1_11target_archE4294967295ELNS1_3gpuE0ELNS1_3repE0EEENS1_30default_config_static_selectorELNS0_4arch9wavefront6targetE0EEEvT1_
                                        ; -- End function
	.set _ZN7rocprim17ROCPRIM_400000_NS6detail17trampoline_kernelINS0_14default_configENS1_25partition_config_selectorILNS1_17partition_subalgoE6EyNS0_10empty_typeEbEEZZNS1_14partition_implILS5_6ELb0ES3_mN6thrust23THRUST_200600_302600_NS6detail15normal_iteratorINSA_10device_ptrIyEEEEPS6_SG_NS0_5tupleIJSF_S6_EEENSH_IJSG_SG_EEES6_PlJNSB_9not_fun_tI7is_evenIyEEEEEE10hipError_tPvRmT3_T4_T5_T6_T7_T9_mT8_P12ihipStream_tbDpT10_ENKUlT_T0_E_clISt17integral_constantIbLb1EES18_EEDaS13_S14_EUlS13_E_NS1_11comp_targetILNS1_3genE0ELNS1_11target_archE4294967295ELNS1_3gpuE0ELNS1_3repE0EEENS1_30default_config_static_selectorELNS0_4arch9wavefront6targetE0EEEvT1_.num_vgpr, 0
	.set _ZN7rocprim17ROCPRIM_400000_NS6detail17trampoline_kernelINS0_14default_configENS1_25partition_config_selectorILNS1_17partition_subalgoE6EyNS0_10empty_typeEbEEZZNS1_14partition_implILS5_6ELb0ES3_mN6thrust23THRUST_200600_302600_NS6detail15normal_iteratorINSA_10device_ptrIyEEEEPS6_SG_NS0_5tupleIJSF_S6_EEENSH_IJSG_SG_EEES6_PlJNSB_9not_fun_tI7is_evenIyEEEEEE10hipError_tPvRmT3_T4_T5_T6_T7_T9_mT8_P12ihipStream_tbDpT10_ENKUlT_T0_E_clISt17integral_constantIbLb1EES18_EEDaS13_S14_EUlS13_E_NS1_11comp_targetILNS1_3genE0ELNS1_11target_archE4294967295ELNS1_3gpuE0ELNS1_3repE0EEENS1_30default_config_static_selectorELNS0_4arch9wavefront6targetE0EEEvT1_.num_agpr, 0
	.set _ZN7rocprim17ROCPRIM_400000_NS6detail17trampoline_kernelINS0_14default_configENS1_25partition_config_selectorILNS1_17partition_subalgoE6EyNS0_10empty_typeEbEEZZNS1_14partition_implILS5_6ELb0ES3_mN6thrust23THRUST_200600_302600_NS6detail15normal_iteratorINSA_10device_ptrIyEEEEPS6_SG_NS0_5tupleIJSF_S6_EEENSH_IJSG_SG_EEES6_PlJNSB_9not_fun_tI7is_evenIyEEEEEE10hipError_tPvRmT3_T4_T5_T6_T7_T9_mT8_P12ihipStream_tbDpT10_ENKUlT_T0_E_clISt17integral_constantIbLb1EES18_EEDaS13_S14_EUlS13_E_NS1_11comp_targetILNS1_3genE0ELNS1_11target_archE4294967295ELNS1_3gpuE0ELNS1_3repE0EEENS1_30default_config_static_selectorELNS0_4arch9wavefront6targetE0EEEvT1_.numbered_sgpr, 0
	.set _ZN7rocprim17ROCPRIM_400000_NS6detail17trampoline_kernelINS0_14default_configENS1_25partition_config_selectorILNS1_17partition_subalgoE6EyNS0_10empty_typeEbEEZZNS1_14partition_implILS5_6ELb0ES3_mN6thrust23THRUST_200600_302600_NS6detail15normal_iteratorINSA_10device_ptrIyEEEEPS6_SG_NS0_5tupleIJSF_S6_EEENSH_IJSG_SG_EEES6_PlJNSB_9not_fun_tI7is_evenIyEEEEEE10hipError_tPvRmT3_T4_T5_T6_T7_T9_mT8_P12ihipStream_tbDpT10_ENKUlT_T0_E_clISt17integral_constantIbLb1EES18_EEDaS13_S14_EUlS13_E_NS1_11comp_targetILNS1_3genE0ELNS1_11target_archE4294967295ELNS1_3gpuE0ELNS1_3repE0EEENS1_30default_config_static_selectorELNS0_4arch9wavefront6targetE0EEEvT1_.num_named_barrier, 0
	.set _ZN7rocprim17ROCPRIM_400000_NS6detail17trampoline_kernelINS0_14default_configENS1_25partition_config_selectorILNS1_17partition_subalgoE6EyNS0_10empty_typeEbEEZZNS1_14partition_implILS5_6ELb0ES3_mN6thrust23THRUST_200600_302600_NS6detail15normal_iteratorINSA_10device_ptrIyEEEEPS6_SG_NS0_5tupleIJSF_S6_EEENSH_IJSG_SG_EEES6_PlJNSB_9not_fun_tI7is_evenIyEEEEEE10hipError_tPvRmT3_T4_T5_T6_T7_T9_mT8_P12ihipStream_tbDpT10_ENKUlT_T0_E_clISt17integral_constantIbLb1EES18_EEDaS13_S14_EUlS13_E_NS1_11comp_targetILNS1_3genE0ELNS1_11target_archE4294967295ELNS1_3gpuE0ELNS1_3repE0EEENS1_30default_config_static_selectorELNS0_4arch9wavefront6targetE0EEEvT1_.private_seg_size, 0
	.set _ZN7rocprim17ROCPRIM_400000_NS6detail17trampoline_kernelINS0_14default_configENS1_25partition_config_selectorILNS1_17partition_subalgoE6EyNS0_10empty_typeEbEEZZNS1_14partition_implILS5_6ELb0ES3_mN6thrust23THRUST_200600_302600_NS6detail15normal_iteratorINSA_10device_ptrIyEEEEPS6_SG_NS0_5tupleIJSF_S6_EEENSH_IJSG_SG_EEES6_PlJNSB_9not_fun_tI7is_evenIyEEEEEE10hipError_tPvRmT3_T4_T5_T6_T7_T9_mT8_P12ihipStream_tbDpT10_ENKUlT_T0_E_clISt17integral_constantIbLb1EES18_EEDaS13_S14_EUlS13_E_NS1_11comp_targetILNS1_3genE0ELNS1_11target_archE4294967295ELNS1_3gpuE0ELNS1_3repE0EEENS1_30default_config_static_selectorELNS0_4arch9wavefront6targetE0EEEvT1_.uses_vcc, 0
	.set _ZN7rocprim17ROCPRIM_400000_NS6detail17trampoline_kernelINS0_14default_configENS1_25partition_config_selectorILNS1_17partition_subalgoE6EyNS0_10empty_typeEbEEZZNS1_14partition_implILS5_6ELb0ES3_mN6thrust23THRUST_200600_302600_NS6detail15normal_iteratorINSA_10device_ptrIyEEEEPS6_SG_NS0_5tupleIJSF_S6_EEENSH_IJSG_SG_EEES6_PlJNSB_9not_fun_tI7is_evenIyEEEEEE10hipError_tPvRmT3_T4_T5_T6_T7_T9_mT8_P12ihipStream_tbDpT10_ENKUlT_T0_E_clISt17integral_constantIbLb1EES18_EEDaS13_S14_EUlS13_E_NS1_11comp_targetILNS1_3genE0ELNS1_11target_archE4294967295ELNS1_3gpuE0ELNS1_3repE0EEENS1_30default_config_static_selectorELNS0_4arch9wavefront6targetE0EEEvT1_.uses_flat_scratch, 0
	.set _ZN7rocprim17ROCPRIM_400000_NS6detail17trampoline_kernelINS0_14default_configENS1_25partition_config_selectorILNS1_17partition_subalgoE6EyNS0_10empty_typeEbEEZZNS1_14partition_implILS5_6ELb0ES3_mN6thrust23THRUST_200600_302600_NS6detail15normal_iteratorINSA_10device_ptrIyEEEEPS6_SG_NS0_5tupleIJSF_S6_EEENSH_IJSG_SG_EEES6_PlJNSB_9not_fun_tI7is_evenIyEEEEEE10hipError_tPvRmT3_T4_T5_T6_T7_T9_mT8_P12ihipStream_tbDpT10_ENKUlT_T0_E_clISt17integral_constantIbLb1EES18_EEDaS13_S14_EUlS13_E_NS1_11comp_targetILNS1_3genE0ELNS1_11target_archE4294967295ELNS1_3gpuE0ELNS1_3repE0EEENS1_30default_config_static_selectorELNS0_4arch9wavefront6targetE0EEEvT1_.has_dyn_sized_stack, 0
	.set _ZN7rocprim17ROCPRIM_400000_NS6detail17trampoline_kernelINS0_14default_configENS1_25partition_config_selectorILNS1_17partition_subalgoE6EyNS0_10empty_typeEbEEZZNS1_14partition_implILS5_6ELb0ES3_mN6thrust23THRUST_200600_302600_NS6detail15normal_iteratorINSA_10device_ptrIyEEEEPS6_SG_NS0_5tupleIJSF_S6_EEENSH_IJSG_SG_EEES6_PlJNSB_9not_fun_tI7is_evenIyEEEEEE10hipError_tPvRmT3_T4_T5_T6_T7_T9_mT8_P12ihipStream_tbDpT10_ENKUlT_T0_E_clISt17integral_constantIbLb1EES18_EEDaS13_S14_EUlS13_E_NS1_11comp_targetILNS1_3genE0ELNS1_11target_archE4294967295ELNS1_3gpuE0ELNS1_3repE0EEENS1_30default_config_static_selectorELNS0_4arch9wavefront6targetE0EEEvT1_.has_recursion, 0
	.set _ZN7rocprim17ROCPRIM_400000_NS6detail17trampoline_kernelINS0_14default_configENS1_25partition_config_selectorILNS1_17partition_subalgoE6EyNS0_10empty_typeEbEEZZNS1_14partition_implILS5_6ELb0ES3_mN6thrust23THRUST_200600_302600_NS6detail15normal_iteratorINSA_10device_ptrIyEEEEPS6_SG_NS0_5tupleIJSF_S6_EEENSH_IJSG_SG_EEES6_PlJNSB_9not_fun_tI7is_evenIyEEEEEE10hipError_tPvRmT3_T4_T5_T6_T7_T9_mT8_P12ihipStream_tbDpT10_ENKUlT_T0_E_clISt17integral_constantIbLb1EES18_EEDaS13_S14_EUlS13_E_NS1_11comp_targetILNS1_3genE0ELNS1_11target_archE4294967295ELNS1_3gpuE0ELNS1_3repE0EEENS1_30default_config_static_selectorELNS0_4arch9wavefront6targetE0EEEvT1_.has_indirect_call, 0
	.section	.AMDGPU.csdata,"",@progbits
; Kernel info:
; codeLenInByte = 0
; TotalNumSgprs: 0
; NumVgprs: 0
; ScratchSize: 0
; MemoryBound: 0
; FloatMode: 240
; IeeeMode: 1
; LDSByteSize: 0 bytes/workgroup (compile time only)
; SGPRBlocks: 0
; VGPRBlocks: 0
; NumSGPRsForWavesPerEU: 1
; NumVGPRsForWavesPerEU: 1
; Occupancy: 16
; WaveLimiterHint : 0
; COMPUTE_PGM_RSRC2:SCRATCH_EN: 0
; COMPUTE_PGM_RSRC2:USER_SGPR: 2
; COMPUTE_PGM_RSRC2:TRAP_HANDLER: 0
; COMPUTE_PGM_RSRC2:TGID_X_EN: 1
; COMPUTE_PGM_RSRC2:TGID_Y_EN: 0
; COMPUTE_PGM_RSRC2:TGID_Z_EN: 0
; COMPUTE_PGM_RSRC2:TIDIG_COMP_CNT: 0
	.section	.text._ZN7rocprim17ROCPRIM_400000_NS6detail17trampoline_kernelINS0_14default_configENS1_25partition_config_selectorILNS1_17partition_subalgoE6EyNS0_10empty_typeEbEEZZNS1_14partition_implILS5_6ELb0ES3_mN6thrust23THRUST_200600_302600_NS6detail15normal_iteratorINSA_10device_ptrIyEEEEPS6_SG_NS0_5tupleIJSF_S6_EEENSH_IJSG_SG_EEES6_PlJNSB_9not_fun_tI7is_evenIyEEEEEE10hipError_tPvRmT3_T4_T5_T6_T7_T9_mT8_P12ihipStream_tbDpT10_ENKUlT_T0_E_clISt17integral_constantIbLb1EES18_EEDaS13_S14_EUlS13_E_NS1_11comp_targetILNS1_3genE5ELNS1_11target_archE942ELNS1_3gpuE9ELNS1_3repE0EEENS1_30default_config_static_selectorELNS0_4arch9wavefront6targetE0EEEvT1_,"axG",@progbits,_ZN7rocprim17ROCPRIM_400000_NS6detail17trampoline_kernelINS0_14default_configENS1_25partition_config_selectorILNS1_17partition_subalgoE6EyNS0_10empty_typeEbEEZZNS1_14partition_implILS5_6ELb0ES3_mN6thrust23THRUST_200600_302600_NS6detail15normal_iteratorINSA_10device_ptrIyEEEEPS6_SG_NS0_5tupleIJSF_S6_EEENSH_IJSG_SG_EEES6_PlJNSB_9not_fun_tI7is_evenIyEEEEEE10hipError_tPvRmT3_T4_T5_T6_T7_T9_mT8_P12ihipStream_tbDpT10_ENKUlT_T0_E_clISt17integral_constantIbLb1EES18_EEDaS13_S14_EUlS13_E_NS1_11comp_targetILNS1_3genE5ELNS1_11target_archE942ELNS1_3gpuE9ELNS1_3repE0EEENS1_30default_config_static_selectorELNS0_4arch9wavefront6targetE0EEEvT1_,comdat
	.protected	_ZN7rocprim17ROCPRIM_400000_NS6detail17trampoline_kernelINS0_14default_configENS1_25partition_config_selectorILNS1_17partition_subalgoE6EyNS0_10empty_typeEbEEZZNS1_14partition_implILS5_6ELb0ES3_mN6thrust23THRUST_200600_302600_NS6detail15normal_iteratorINSA_10device_ptrIyEEEEPS6_SG_NS0_5tupleIJSF_S6_EEENSH_IJSG_SG_EEES6_PlJNSB_9not_fun_tI7is_evenIyEEEEEE10hipError_tPvRmT3_T4_T5_T6_T7_T9_mT8_P12ihipStream_tbDpT10_ENKUlT_T0_E_clISt17integral_constantIbLb1EES18_EEDaS13_S14_EUlS13_E_NS1_11comp_targetILNS1_3genE5ELNS1_11target_archE942ELNS1_3gpuE9ELNS1_3repE0EEENS1_30default_config_static_selectorELNS0_4arch9wavefront6targetE0EEEvT1_ ; -- Begin function _ZN7rocprim17ROCPRIM_400000_NS6detail17trampoline_kernelINS0_14default_configENS1_25partition_config_selectorILNS1_17partition_subalgoE6EyNS0_10empty_typeEbEEZZNS1_14partition_implILS5_6ELb0ES3_mN6thrust23THRUST_200600_302600_NS6detail15normal_iteratorINSA_10device_ptrIyEEEEPS6_SG_NS0_5tupleIJSF_S6_EEENSH_IJSG_SG_EEES6_PlJNSB_9not_fun_tI7is_evenIyEEEEEE10hipError_tPvRmT3_T4_T5_T6_T7_T9_mT8_P12ihipStream_tbDpT10_ENKUlT_T0_E_clISt17integral_constantIbLb1EES18_EEDaS13_S14_EUlS13_E_NS1_11comp_targetILNS1_3genE5ELNS1_11target_archE942ELNS1_3gpuE9ELNS1_3repE0EEENS1_30default_config_static_selectorELNS0_4arch9wavefront6targetE0EEEvT1_
	.globl	_ZN7rocprim17ROCPRIM_400000_NS6detail17trampoline_kernelINS0_14default_configENS1_25partition_config_selectorILNS1_17partition_subalgoE6EyNS0_10empty_typeEbEEZZNS1_14partition_implILS5_6ELb0ES3_mN6thrust23THRUST_200600_302600_NS6detail15normal_iteratorINSA_10device_ptrIyEEEEPS6_SG_NS0_5tupleIJSF_S6_EEENSH_IJSG_SG_EEES6_PlJNSB_9not_fun_tI7is_evenIyEEEEEE10hipError_tPvRmT3_T4_T5_T6_T7_T9_mT8_P12ihipStream_tbDpT10_ENKUlT_T0_E_clISt17integral_constantIbLb1EES18_EEDaS13_S14_EUlS13_E_NS1_11comp_targetILNS1_3genE5ELNS1_11target_archE942ELNS1_3gpuE9ELNS1_3repE0EEENS1_30default_config_static_selectorELNS0_4arch9wavefront6targetE0EEEvT1_
	.p2align	8
	.type	_ZN7rocprim17ROCPRIM_400000_NS6detail17trampoline_kernelINS0_14default_configENS1_25partition_config_selectorILNS1_17partition_subalgoE6EyNS0_10empty_typeEbEEZZNS1_14partition_implILS5_6ELb0ES3_mN6thrust23THRUST_200600_302600_NS6detail15normal_iteratorINSA_10device_ptrIyEEEEPS6_SG_NS0_5tupleIJSF_S6_EEENSH_IJSG_SG_EEES6_PlJNSB_9not_fun_tI7is_evenIyEEEEEE10hipError_tPvRmT3_T4_T5_T6_T7_T9_mT8_P12ihipStream_tbDpT10_ENKUlT_T0_E_clISt17integral_constantIbLb1EES18_EEDaS13_S14_EUlS13_E_NS1_11comp_targetILNS1_3genE5ELNS1_11target_archE942ELNS1_3gpuE9ELNS1_3repE0EEENS1_30default_config_static_selectorELNS0_4arch9wavefront6targetE0EEEvT1_,@function
_ZN7rocprim17ROCPRIM_400000_NS6detail17trampoline_kernelINS0_14default_configENS1_25partition_config_selectorILNS1_17partition_subalgoE6EyNS0_10empty_typeEbEEZZNS1_14partition_implILS5_6ELb0ES3_mN6thrust23THRUST_200600_302600_NS6detail15normal_iteratorINSA_10device_ptrIyEEEEPS6_SG_NS0_5tupleIJSF_S6_EEENSH_IJSG_SG_EEES6_PlJNSB_9not_fun_tI7is_evenIyEEEEEE10hipError_tPvRmT3_T4_T5_T6_T7_T9_mT8_P12ihipStream_tbDpT10_ENKUlT_T0_E_clISt17integral_constantIbLb1EES18_EEDaS13_S14_EUlS13_E_NS1_11comp_targetILNS1_3genE5ELNS1_11target_archE942ELNS1_3gpuE9ELNS1_3repE0EEENS1_30default_config_static_selectorELNS0_4arch9wavefront6targetE0EEEvT1_: ; @_ZN7rocprim17ROCPRIM_400000_NS6detail17trampoline_kernelINS0_14default_configENS1_25partition_config_selectorILNS1_17partition_subalgoE6EyNS0_10empty_typeEbEEZZNS1_14partition_implILS5_6ELb0ES3_mN6thrust23THRUST_200600_302600_NS6detail15normal_iteratorINSA_10device_ptrIyEEEEPS6_SG_NS0_5tupleIJSF_S6_EEENSH_IJSG_SG_EEES6_PlJNSB_9not_fun_tI7is_evenIyEEEEEE10hipError_tPvRmT3_T4_T5_T6_T7_T9_mT8_P12ihipStream_tbDpT10_ENKUlT_T0_E_clISt17integral_constantIbLb1EES18_EEDaS13_S14_EUlS13_E_NS1_11comp_targetILNS1_3genE5ELNS1_11target_archE942ELNS1_3gpuE9ELNS1_3repE0EEENS1_30default_config_static_selectorELNS0_4arch9wavefront6targetE0EEEvT1_
; %bb.0:
	.section	.rodata,"a",@progbits
	.p2align	6, 0x0
	.amdhsa_kernel _ZN7rocprim17ROCPRIM_400000_NS6detail17trampoline_kernelINS0_14default_configENS1_25partition_config_selectorILNS1_17partition_subalgoE6EyNS0_10empty_typeEbEEZZNS1_14partition_implILS5_6ELb0ES3_mN6thrust23THRUST_200600_302600_NS6detail15normal_iteratorINSA_10device_ptrIyEEEEPS6_SG_NS0_5tupleIJSF_S6_EEENSH_IJSG_SG_EEES6_PlJNSB_9not_fun_tI7is_evenIyEEEEEE10hipError_tPvRmT3_T4_T5_T6_T7_T9_mT8_P12ihipStream_tbDpT10_ENKUlT_T0_E_clISt17integral_constantIbLb1EES18_EEDaS13_S14_EUlS13_E_NS1_11comp_targetILNS1_3genE5ELNS1_11target_archE942ELNS1_3gpuE9ELNS1_3repE0EEENS1_30default_config_static_selectorELNS0_4arch9wavefront6targetE0EEEvT1_
		.amdhsa_group_segment_fixed_size 0
		.amdhsa_private_segment_fixed_size 0
		.amdhsa_kernarg_size 128
		.amdhsa_user_sgpr_count 2
		.amdhsa_user_sgpr_dispatch_ptr 0
		.amdhsa_user_sgpr_queue_ptr 0
		.amdhsa_user_sgpr_kernarg_segment_ptr 1
		.amdhsa_user_sgpr_dispatch_id 0
		.amdhsa_user_sgpr_private_segment_size 0
		.amdhsa_wavefront_size32 1
		.amdhsa_uses_dynamic_stack 0
		.amdhsa_enable_private_segment 0
		.amdhsa_system_sgpr_workgroup_id_x 1
		.amdhsa_system_sgpr_workgroup_id_y 0
		.amdhsa_system_sgpr_workgroup_id_z 0
		.amdhsa_system_sgpr_workgroup_info 0
		.amdhsa_system_vgpr_workitem_id 0
		.amdhsa_next_free_vgpr 1
		.amdhsa_next_free_sgpr 1
		.amdhsa_reserve_vcc 0
		.amdhsa_float_round_mode_32 0
		.amdhsa_float_round_mode_16_64 0
		.amdhsa_float_denorm_mode_32 3
		.amdhsa_float_denorm_mode_16_64 3
		.amdhsa_fp16_overflow 0
		.amdhsa_workgroup_processor_mode 1
		.amdhsa_memory_ordered 1
		.amdhsa_forward_progress 1
		.amdhsa_inst_pref_size 0
		.amdhsa_round_robin_scheduling 0
		.amdhsa_exception_fp_ieee_invalid_op 0
		.amdhsa_exception_fp_denorm_src 0
		.amdhsa_exception_fp_ieee_div_zero 0
		.amdhsa_exception_fp_ieee_overflow 0
		.amdhsa_exception_fp_ieee_underflow 0
		.amdhsa_exception_fp_ieee_inexact 0
		.amdhsa_exception_int_div_zero 0
	.end_amdhsa_kernel
	.section	.text._ZN7rocprim17ROCPRIM_400000_NS6detail17trampoline_kernelINS0_14default_configENS1_25partition_config_selectorILNS1_17partition_subalgoE6EyNS0_10empty_typeEbEEZZNS1_14partition_implILS5_6ELb0ES3_mN6thrust23THRUST_200600_302600_NS6detail15normal_iteratorINSA_10device_ptrIyEEEEPS6_SG_NS0_5tupleIJSF_S6_EEENSH_IJSG_SG_EEES6_PlJNSB_9not_fun_tI7is_evenIyEEEEEE10hipError_tPvRmT3_T4_T5_T6_T7_T9_mT8_P12ihipStream_tbDpT10_ENKUlT_T0_E_clISt17integral_constantIbLb1EES18_EEDaS13_S14_EUlS13_E_NS1_11comp_targetILNS1_3genE5ELNS1_11target_archE942ELNS1_3gpuE9ELNS1_3repE0EEENS1_30default_config_static_selectorELNS0_4arch9wavefront6targetE0EEEvT1_,"axG",@progbits,_ZN7rocprim17ROCPRIM_400000_NS6detail17trampoline_kernelINS0_14default_configENS1_25partition_config_selectorILNS1_17partition_subalgoE6EyNS0_10empty_typeEbEEZZNS1_14partition_implILS5_6ELb0ES3_mN6thrust23THRUST_200600_302600_NS6detail15normal_iteratorINSA_10device_ptrIyEEEEPS6_SG_NS0_5tupleIJSF_S6_EEENSH_IJSG_SG_EEES6_PlJNSB_9not_fun_tI7is_evenIyEEEEEE10hipError_tPvRmT3_T4_T5_T6_T7_T9_mT8_P12ihipStream_tbDpT10_ENKUlT_T0_E_clISt17integral_constantIbLb1EES18_EEDaS13_S14_EUlS13_E_NS1_11comp_targetILNS1_3genE5ELNS1_11target_archE942ELNS1_3gpuE9ELNS1_3repE0EEENS1_30default_config_static_selectorELNS0_4arch9wavefront6targetE0EEEvT1_,comdat
.Lfunc_end606:
	.size	_ZN7rocprim17ROCPRIM_400000_NS6detail17trampoline_kernelINS0_14default_configENS1_25partition_config_selectorILNS1_17partition_subalgoE6EyNS0_10empty_typeEbEEZZNS1_14partition_implILS5_6ELb0ES3_mN6thrust23THRUST_200600_302600_NS6detail15normal_iteratorINSA_10device_ptrIyEEEEPS6_SG_NS0_5tupleIJSF_S6_EEENSH_IJSG_SG_EEES6_PlJNSB_9not_fun_tI7is_evenIyEEEEEE10hipError_tPvRmT3_T4_T5_T6_T7_T9_mT8_P12ihipStream_tbDpT10_ENKUlT_T0_E_clISt17integral_constantIbLb1EES18_EEDaS13_S14_EUlS13_E_NS1_11comp_targetILNS1_3genE5ELNS1_11target_archE942ELNS1_3gpuE9ELNS1_3repE0EEENS1_30default_config_static_selectorELNS0_4arch9wavefront6targetE0EEEvT1_, .Lfunc_end606-_ZN7rocprim17ROCPRIM_400000_NS6detail17trampoline_kernelINS0_14default_configENS1_25partition_config_selectorILNS1_17partition_subalgoE6EyNS0_10empty_typeEbEEZZNS1_14partition_implILS5_6ELb0ES3_mN6thrust23THRUST_200600_302600_NS6detail15normal_iteratorINSA_10device_ptrIyEEEEPS6_SG_NS0_5tupleIJSF_S6_EEENSH_IJSG_SG_EEES6_PlJNSB_9not_fun_tI7is_evenIyEEEEEE10hipError_tPvRmT3_T4_T5_T6_T7_T9_mT8_P12ihipStream_tbDpT10_ENKUlT_T0_E_clISt17integral_constantIbLb1EES18_EEDaS13_S14_EUlS13_E_NS1_11comp_targetILNS1_3genE5ELNS1_11target_archE942ELNS1_3gpuE9ELNS1_3repE0EEENS1_30default_config_static_selectorELNS0_4arch9wavefront6targetE0EEEvT1_
                                        ; -- End function
	.set _ZN7rocprim17ROCPRIM_400000_NS6detail17trampoline_kernelINS0_14default_configENS1_25partition_config_selectorILNS1_17partition_subalgoE6EyNS0_10empty_typeEbEEZZNS1_14partition_implILS5_6ELb0ES3_mN6thrust23THRUST_200600_302600_NS6detail15normal_iteratorINSA_10device_ptrIyEEEEPS6_SG_NS0_5tupleIJSF_S6_EEENSH_IJSG_SG_EEES6_PlJNSB_9not_fun_tI7is_evenIyEEEEEE10hipError_tPvRmT3_T4_T5_T6_T7_T9_mT8_P12ihipStream_tbDpT10_ENKUlT_T0_E_clISt17integral_constantIbLb1EES18_EEDaS13_S14_EUlS13_E_NS1_11comp_targetILNS1_3genE5ELNS1_11target_archE942ELNS1_3gpuE9ELNS1_3repE0EEENS1_30default_config_static_selectorELNS0_4arch9wavefront6targetE0EEEvT1_.num_vgpr, 0
	.set _ZN7rocprim17ROCPRIM_400000_NS6detail17trampoline_kernelINS0_14default_configENS1_25partition_config_selectorILNS1_17partition_subalgoE6EyNS0_10empty_typeEbEEZZNS1_14partition_implILS5_6ELb0ES3_mN6thrust23THRUST_200600_302600_NS6detail15normal_iteratorINSA_10device_ptrIyEEEEPS6_SG_NS0_5tupleIJSF_S6_EEENSH_IJSG_SG_EEES6_PlJNSB_9not_fun_tI7is_evenIyEEEEEE10hipError_tPvRmT3_T4_T5_T6_T7_T9_mT8_P12ihipStream_tbDpT10_ENKUlT_T0_E_clISt17integral_constantIbLb1EES18_EEDaS13_S14_EUlS13_E_NS1_11comp_targetILNS1_3genE5ELNS1_11target_archE942ELNS1_3gpuE9ELNS1_3repE0EEENS1_30default_config_static_selectorELNS0_4arch9wavefront6targetE0EEEvT1_.num_agpr, 0
	.set _ZN7rocprim17ROCPRIM_400000_NS6detail17trampoline_kernelINS0_14default_configENS1_25partition_config_selectorILNS1_17partition_subalgoE6EyNS0_10empty_typeEbEEZZNS1_14partition_implILS5_6ELb0ES3_mN6thrust23THRUST_200600_302600_NS6detail15normal_iteratorINSA_10device_ptrIyEEEEPS6_SG_NS0_5tupleIJSF_S6_EEENSH_IJSG_SG_EEES6_PlJNSB_9not_fun_tI7is_evenIyEEEEEE10hipError_tPvRmT3_T4_T5_T6_T7_T9_mT8_P12ihipStream_tbDpT10_ENKUlT_T0_E_clISt17integral_constantIbLb1EES18_EEDaS13_S14_EUlS13_E_NS1_11comp_targetILNS1_3genE5ELNS1_11target_archE942ELNS1_3gpuE9ELNS1_3repE0EEENS1_30default_config_static_selectorELNS0_4arch9wavefront6targetE0EEEvT1_.numbered_sgpr, 0
	.set _ZN7rocprim17ROCPRIM_400000_NS6detail17trampoline_kernelINS0_14default_configENS1_25partition_config_selectorILNS1_17partition_subalgoE6EyNS0_10empty_typeEbEEZZNS1_14partition_implILS5_6ELb0ES3_mN6thrust23THRUST_200600_302600_NS6detail15normal_iteratorINSA_10device_ptrIyEEEEPS6_SG_NS0_5tupleIJSF_S6_EEENSH_IJSG_SG_EEES6_PlJNSB_9not_fun_tI7is_evenIyEEEEEE10hipError_tPvRmT3_T4_T5_T6_T7_T9_mT8_P12ihipStream_tbDpT10_ENKUlT_T0_E_clISt17integral_constantIbLb1EES18_EEDaS13_S14_EUlS13_E_NS1_11comp_targetILNS1_3genE5ELNS1_11target_archE942ELNS1_3gpuE9ELNS1_3repE0EEENS1_30default_config_static_selectorELNS0_4arch9wavefront6targetE0EEEvT1_.num_named_barrier, 0
	.set _ZN7rocprim17ROCPRIM_400000_NS6detail17trampoline_kernelINS0_14default_configENS1_25partition_config_selectorILNS1_17partition_subalgoE6EyNS0_10empty_typeEbEEZZNS1_14partition_implILS5_6ELb0ES3_mN6thrust23THRUST_200600_302600_NS6detail15normal_iteratorINSA_10device_ptrIyEEEEPS6_SG_NS0_5tupleIJSF_S6_EEENSH_IJSG_SG_EEES6_PlJNSB_9not_fun_tI7is_evenIyEEEEEE10hipError_tPvRmT3_T4_T5_T6_T7_T9_mT8_P12ihipStream_tbDpT10_ENKUlT_T0_E_clISt17integral_constantIbLb1EES18_EEDaS13_S14_EUlS13_E_NS1_11comp_targetILNS1_3genE5ELNS1_11target_archE942ELNS1_3gpuE9ELNS1_3repE0EEENS1_30default_config_static_selectorELNS0_4arch9wavefront6targetE0EEEvT1_.private_seg_size, 0
	.set _ZN7rocprim17ROCPRIM_400000_NS6detail17trampoline_kernelINS0_14default_configENS1_25partition_config_selectorILNS1_17partition_subalgoE6EyNS0_10empty_typeEbEEZZNS1_14partition_implILS5_6ELb0ES3_mN6thrust23THRUST_200600_302600_NS6detail15normal_iteratorINSA_10device_ptrIyEEEEPS6_SG_NS0_5tupleIJSF_S6_EEENSH_IJSG_SG_EEES6_PlJNSB_9not_fun_tI7is_evenIyEEEEEE10hipError_tPvRmT3_T4_T5_T6_T7_T9_mT8_P12ihipStream_tbDpT10_ENKUlT_T0_E_clISt17integral_constantIbLb1EES18_EEDaS13_S14_EUlS13_E_NS1_11comp_targetILNS1_3genE5ELNS1_11target_archE942ELNS1_3gpuE9ELNS1_3repE0EEENS1_30default_config_static_selectorELNS0_4arch9wavefront6targetE0EEEvT1_.uses_vcc, 0
	.set _ZN7rocprim17ROCPRIM_400000_NS6detail17trampoline_kernelINS0_14default_configENS1_25partition_config_selectorILNS1_17partition_subalgoE6EyNS0_10empty_typeEbEEZZNS1_14partition_implILS5_6ELb0ES3_mN6thrust23THRUST_200600_302600_NS6detail15normal_iteratorINSA_10device_ptrIyEEEEPS6_SG_NS0_5tupleIJSF_S6_EEENSH_IJSG_SG_EEES6_PlJNSB_9not_fun_tI7is_evenIyEEEEEE10hipError_tPvRmT3_T4_T5_T6_T7_T9_mT8_P12ihipStream_tbDpT10_ENKUlT_T0_E_clISt17integral_constantIbLb1EES18_EEDaS13_S14_EUlS13_E_NS1_11comp_targetILNS1_3genE5ELNS1_11target_archE942ELNS1_3gpuE9ELNS1_3repE0EEENS1_30default_config_static_selectorELNS0_4arch9wavefront6targetE0EEEvT1_.uses_flat_scratch, 0
	.set _ZN7rocprim17ROCPRIM_400000_NS6detail17trampoline_kernelINS0_14default_configENS1_25partition_config_selectorILNS1_17partition_subalgoE6EyNS0_10empty_typeEbEEZZNS1_14partition_implILS5_6ELb0ES3_mN6thrust23THRUST_200600_302600_NS6detail15normal_iteratorINSA_10device_ptrIyEEEEPS6_SG_NS0_5tupleIJSF_S6_EEENSH_IJSG_SG_EEES6_PlJNSB_9not_fun_tI7is_evenIyEEEEEE10hipError_tPvRmT3_T4_T5_T6_T7_T9_mT8_P12ihipStream_tbDpT10_ENKUlT_T0_E_clISt17integral_constantIbLb1EES18_EEDaS13_S14_EUlS13_E_NS1_11comp_targetILNS1_3genE5ELNS1_11target_archE942ELNS1_3gpuE9ELNS1_3repE0EEENS1_30default_config_static_selectorELNS0_4arch9wavefront6targetE0EEEvT1_.has_dyn_sized_stack, 0
	.set _ZN7rocprim17ROCPRIM_400000_NS6detail17trampoline_kernelINS0_14default_configENS1_25partition_config_selectorILNS1_17partition_subalgoE6EyNS0_10empty_typeEbEEZZNS1_14partition_implILS5_6ELb0ES3_mN6thrust23THRUST_200600_302600_NS6detail15normal_iteratorINSA_10device_ptrIyEEEEPS6_SG_NS0_5tupleIJSF_S6_EEENSH_IJSG_SG_EEES6_PlJNSB_9not_fun_tI7is_evenIyEEEEEE10hipError_tPvRmT3_T4_T5_T6_T7_T9_mT8_P12ihipStream_tbDpT10_ENKUlT_T0_E_clISt17integral_constantIbLb1EES18_EEDaS13_S14_EUlS13_E_NS1_11comp_targetILNS1_3genE5ELNS1_11target_archE942ELNS1_3gpuE9ELNS1_3repE0EEENS1_30default_config_static_selectorELNS0_4arch9wavefront6targetE0EEEvT1_.has_recursion, 0
	.set _ZN7rocprim17ROCPRIM_400000_NS6detail17trampoline_kernelINS0_14default_configENS1_25partition_config_selectorILNS1_17partition_subalgoE6EyNS0_10empty_typeEbEEZZNS1_14partition_implILS5_6ELb0ES3_mN6thrust23THRUST_200600_302600_NS6detail15normal_iteratorINSA_10device_ptrIyEEEEPS6_SG_NS0_5tupleIJSF_S6_EEENSH_IJSG_SG_EEES6_PlJNSB_9not_fun_tI7is_evenIyEEEEEE10hipError_tPvRmT3_T4_T5_T6_T7_T9_mT8_P12ihipStream_tbDpT10_ENKUlT_T0_E_clISt17integral_constantIbLb1EES18_EEDaS13_S14_EUlS13_E_NS1_11comp_targetILNS1_3genE5ELNS1_11target_archE942ELNS1_3gpuE9ELNS1_3repE0EEENS1_30default_config_static_selectorELNS0_4arch9wavefront6targetE0EEEvT1_.has_indirect_call, 0
	.section	.AMDGPU.csdata,"",@progbits
; Kernel info:
; codeLenInByte = 0
; TotalNumSgprs: 0
; NumVgprs: 0
; ScratchSize: 0
; MemoryBound: 0
; FloatMode: 240
; IeeeMode: 1
; LDSByteSize: 0 bytes/workgroup (compile time only)
; SGPRBlocks: 0
; VGPRBlocks: 0
; NumSGPRsForWavesPerEU: 1
; NumVGPRsForWavesPerEU: 1
; Occupancy: 16
; WaveLimiterHint : 0
; COMPUTE_PGM_RSRC2:SCRATCH_EN: 0
; COMPUTE_PGM_RSRC2:USER_SGPR: 2
; COMPUTE_PGM_RSRC2:TRAP_HANDLER: 0
; COMPUTE_PGM_RSRC2:TGID_X_EN: 1
; COMPUTE_PGM_RSRC2:TGID_Y_EN: 0
; COMPUTE_PGM_RSRC2:TGID_Z_EN: 0
; COMPUTE_PGM_RSRC2:TIDIG_COMP_CNT: 0
	.section	.text._ZN7rocprim17ROCPRIM_400000_NS6detail17trampoline_kernelINS0_14default_configENS1_25partition_config_selectorILNS1_17partition_subalgoE6EyNS0_10empty_typeEbEEZZNS1_14partition_implILS5_6ELb0ES3_mN6thrust23THRUST_200600_302600_NS6detail15normal_iteratorINSA_10device_ptrIyEEEEPS6_SG_NS0_5tupleIJSF_S6_EEENSH_IJSG_SG_EEES6_PlJNSB_9not_fun_tI7is_evenIyEEEEEE10hipError_tPvRmT3_T4_T5_T6_T7_T9_mT8_P12ihipStream_tbDpT10_ENKUlT_T0_E_clISt17integral_constantIbLb1EES18_EEDaS13_S14_EUlS13_E_NS1_11comp_targetILNS1_3genE4ELNS1_11target_archE910ELNS1_3gpuE8ELNS1_3repE0EEENS1_30default_config_static_selectorELNS0_4arch9wavefront6targetE0EEEvT1_,"axG",@progbits,_ZN7rocprim17ROCPRIM_400000_NS6detail17trampoline_kernelINS0_14default_configENS1_25partition_config_selectorILNS1_17partition_subalgoE6EyNS0_10empty_typeEbEEZZNS1_14partition_implILS5_6ELb0ES3_mN6thrust23THRUST_200600_302600_NS6detail15normal_iteratorINSA_10device_ptrIyEEEEPS6_SG_NS0_5tupleIJSF_S6_EEENSH_IJSG_SG_EEES6_PlJNSB_9not_fun_tI7is_evenIyEEEEEE10hipError_tPvRmT3_T4_T5_T6_T7_T9_mT8_P12ihipStream_tbDpT10_ENKUlT_T0_E_clISt17integral_constantIbLb1EES18_EEDaS13_S14_EUlS13_E_NS1_11comp_targetILNS1_3genE4ELNS1_11target_archE910ELNS1_3gpuE8ELNS1_3repE0EEENS1_30default_config_static_selectorELNS0_4arch9wavefront6targetE0EEEvT1_,comdat
	.protected	_ZN7rocprim17ROCPRIM_400000_NS6detail17trampoline_kernelINS0_14default_configENS1_25partition_config_selectorILNS1_17partition_subalgoE6EyNS0_10empty_typeEbEEZZNS1_14partition_implILS5_6ELb0ES3_mN6thrust23THRUST_200600_302600_NS6detail15normal_iteratorINSA_10device_ptrIyEEEEPS6_SG_NS0_5tupleIJSF_S6_EEENSH_IJSG_SG_EEES6_PlJNSB_9not_fun_tI7is_evenIyEEEEEE10hipError_tPvRmT3_T4_T5_T6_T7_T9_mT8_P12ihipStream_tbDpT10_ENKUlT_T0_E_clISt17integral_constantIbLb1EES18_EEDaS13_S14_EUlS13_E_NS1_11comp_targetILNS1_3genE4ELNS1_11target_archE910ELNS1_3gpuE8ELNS1_3repE0EEENS1_30default_config_static_selectorELNS0_4arch9wavefront6targetE0EEEvT1_ ; -- Begin function _ZN7rocprim17ROCPRIM_400000_NS6detail17trampoline_kernelINS0_14default_configENS1_25partition_config_selectorILNS1_17partition_subalgoE6EyNS0_10empty_typeEbEEZZNS1_14partition_implILS5_6ELb0ES3_mN6thrust23THRUST_200600_302600_NS6detail15normal_iteratorINSA_10device_ptrIyEEEEPS6_SG_NS0_5tupleIJSF_S6_EEENSH_IJSG_SG_EEES6_PlJNSB_9not_fun_tI7is_evenIyEEEEEE10hipError_tPvRmT3_T4_T5_T6_T7_T9_mT8_P12ihipStream_tbDpT10_ENKUlT_T0_E_clISt17integral_constantIbLb1EES18_EEDaS13_S14_EUlS13_E_NS1_11comp_targetILNS1_3genE4ELNS1_11target_archE910ELNS1_3gpuE8ELNS1_3repE0EEENS1_30default_config_static_selectorELNS0_4arch9wavefront6targetE0EEEvT1_
	.globl	_ZN7rocprim17ROCPRIM_400000_NS6detail17trampoline_kernelINS0_14default_configENS1_25partition_config_selectorILNS1_17partition_subalgoE6EyNS0_10empty_typeEbEEZZNS1_14partition_implILS5_6ELb0ES3_mN6thrust23THRUST_200600_302600_NS6detail15normal_iteratorINSA_10device_ptrIyEEEEPS6_SG_NS0_5tupleIJSF_S6_EEENSH_IJSG_SG_EEES6_PlJNSB_9not_fun_tI7is_evenIyEEEEEE10hipError_tPvRmT3_T4_T5_T6_T7_T9_mT8_P12ihipStream_tbDpT10_ENKUlT_T0_E_clISt17integral_constantIbLb1EES18_EEDaS13_S14_EUlS13_E_NS1_11comp_targetILNS1_3genE4ELNS1_11target_archE910ELNS1_3gpuE8ELNS1_3repE0EEENS1_30default_config_static_selectorELNS0_4arch9wavefront6targetE0EEEvT1_
	.p2align	8
	.type	_ZN7rocprim17ROCPRIM_400000_NS6detail17trampoline_kernelINS0_14default_configENS1_25partition_config_selectorILNS1_17partition_subalgoE6EyNS0_10empty_typeEbEEZZNS1_14partition_implILS5_6ELb0ES3_mN6thrust23THRUST_200600_302600_NS6detail15normal_iteratorINSA_10device_ptrIyEEEEPS6_SG_NS0_5tupleIJSF_S6_EEENSH_IJSG_SG_EEES6_PlJNSB_9not_fun_tI7is_evenIyEEEEEE10hipError_tPvRmT3_T4_T5_T6_T7_T9_mT8_P12ihipStream_tbDpT10_ENKUlT_T0_E_clISt17integral_constantIbLb1EES18_EEDaS13_S14_EUlS13_E_NS1_11comp_targetILNS1_3genE4ELNS1_11target_archE910ELNS1_3gpuE8ELNS1_3repE0EEENS1_30default_config_static_selectorELNS0_4arch9wavefront6targetE0EEEvT1_,@function
_ZN7rocprim17ROCPRIM_400000_NS6detail17trampoline_kernelINS0_14default_configENS1_25partition_config_selectorILNS1_17partition_subalgoE6EyNS0_10empty_typeEbEEZZNS1_14partition_implILS5_6ELb0ES3_mN6thrust23THRUST_200600_302600_NS6detail15normal_iteratorINSA_10device_ptrIyEEEEPS6_SG_NS0_5tupleIJSF_S6_EEENSH_IJSG_SG_EEES6_PlJNSB_9not_fun_tI7is_evenIyEEEEEE10hipError_tPvRmT3_T4_T5_T6_T7_T9_mT8_P12ihipStream_tbDpT10_ENKUlT_T0_E_clISt17integral_constantIbLb1EES18_EEDaS13_S14_EUlS13_E_NS1_11comp_targetILNS1_3genE4ELNS1_11target_archE910ELNS1_3gpuE8ELNS1_3repE0EEENS1_30default_config_static_selectorELNS0_4arch9wavefront6targetE0EEEvT1_: ; @_ZN7rocprim17ROCPRIM_400000_NS6detail17trampoline_kernelINS0_14default_configENS1_25partition_config_selectorILNS1_17partition_subalgoE6EyNS0_10empty_typeEbEEZZNS1_14partition_implILS5_6ELb0ES3_mN6thrust23THRUST_200600_302600_NS6detail15normal_iteratorINSA_10device_ptrIyEEEEPS6_SG_NS0_5tupleIJSF_S6_EEENSH_IJSG_SG_EEES6_PlJNSB_9not_fun_tI7is_evenIyEEEEEE10hipError_tPvRmT3_T4_T5_T6_T7_T9_mT8_P12ihipStream_tbDpT10_ENKUlT_T0_E_clISt17integral_constantIbLb1EES18_EEDaS13_S14_EUlS13_E_NS1_11comp_targetILNS1_3genE4ELNS1_11target_archE910ELNS1_3gpuE8ELNS1_3repE0EEENS1_30default_config_static_selectorELNS0_4arch9wavefront6targetE0EEEvT1_
; %bb.0:
	.section	.rodata,"a",@progbits
	.p2align	6, 0x0
	.amdhsa_kernel _ZN7rocprim17ROCPRIM_400000_NS6detail17trampoline_kernelINS0_14default_configENS1_25partition_config_selectorILNS1_17partition_subalgoE6EyNS0_10empty_typeEbEEZZNS1_14partition_implILS5_6ELb0ES3_mN6thrust23THRUST_200600_302600_NS6detail15normal_iteratorINSA_10device_ptrIyEEEEPS6_SG_NS0_5tupleIJSF_S6_EEENSH_IJSG_SG_EEES6_PlJNSB_9not_fun_tI7is_evenIyEEEEEE10hipError_tPvRmT3_T4_T5_T6_T7_T9_mT8_P12ihipStream_tbDpT10_ENKUlT_T0_E_clISt17integral_constantIbLb1EES18_EEDaS13_S14_EUlS13_E_NS1_11comp_targetILNS1_3genE4ELNS1_11target_archE910ELNS1_3gpuE8ELNS1_3repE0EEENS1_30default_config_static_selectorELNS0_4arch9wavefront6targetE0EEEvT1_
		.amdhsa_group_segment_fixed_size 0
		.amdhsa_private_segment_fixed_size 0
		.amdhsa_kernarg_size 128
		.amdhsa_user_sgpr_count 2
		.amdhsa_user_sgpr_dispatch_ptr 0
		.amdhsa_user_sgpr_queue_ptr 0
		.amdhsa_user_sgpr_kernarg_segment_ptr 1
		.amdhsa_user_sgpr_dispatch_id 0
		.amdhsa_user_sgpr_private_segment_size 0
		.amdhsa_wavefront_size32 1
		.amdhsa_uses_dynamic_stack 0
		.amdhsa_enable_private_segment 0
		.amdhsa_system_sgpr_workgroup_id_x 1
		.amdhsa_system_sgpr_workgroup_id_y 0
		.amdhsa_system_sgpr_workgroup_id_z 0
		.amdhsa_system_sgpr_workgroup_info 0
		.amdhsa_system_vgpr_workitem_id 0
		.amdhsa_next_free_vgpr 1
		.amdhsa_next_free_sgpr 1
		.amdhsa_reserve_vcc 0
		.amdhsa_float_round_mode_32 0
		.amdhsa_float_round_mode_16_64 0
		.amdhsa_float_denorm_mode_32 3
		.amdhsa_float_denorm_mode_16_64 3
		.amdhsa_fp16_overflow 0
		.amdhsa_workgroup_processor_mode 1
		.amdhsa_memory_ordered 1
		.amdhsa_forward_progress 1
		.amdhsa_inst_pref_size 0
		.amdhsa_round_robin_scheduling 0
		.amdhsa_exception_fp_ieee_invalid_op 0
		.amdhsa_exception_fp_denorm_src 0
		.amdhsa_exception_fp_ieee_div_zero 0
		.amdhsa_exception_fp_ieee_overflow 0
		.amdhsa_exception_fp_ieee_underflow 0
		.amdhsa_exception_fp_ieee_inexact 0
		.amdhsa_exception_int_div_zero 0
	.end_amdhsa_kernel
	.section	.text._ZN7rocprim17ROCPRIM_400000_NS6detail17trampoline_kernelINS0_14default_configENS1_25partition_config_selectorILNS1_17partition_subalgoE6EyNS0_10empty_typeEbEEZZNS1_14partition_implILS5_6ELb0ES3_mN6thrust23THRUST_200600_302600_NS6detail15normal_iteratorINSA_10device_ptrIyEEEEPS6_SG_NS0_5tupleIJSF_S6_EEENSH_IJSG_SG_EEES6_PlJNSB_9not_fun_tI7is_evenIyEEEEEE10hipError_tPvRmT3_T4_T5_T6_T7_T9_mT8_P12ihipStream_tbDpT10_ENKUlT_T0_E_clISt17integral_constantIbLb1EES18_EEDaS13_S14_EUlS13_E_NS1_11comp_targetILNS1_3genE4ELNS1_11target_archE910ELNS1_3gpuE8ELNS1_3repE0EEENS1_30default_config_static_selectorELNS0_4arch9wavefront6targetE0EEEvT1_,"axG",@progbits,_ZN7rocprim17ROCPRIM_400000_NS6detail17trampoline_kernelINS0_14default_configENS1_25partition_config_selectorILNS1_17partition_subalgoE6EyNS0_10empty_typeEbEEZZNS1_14partition_implILS5_6ELb0ES3_mN6thrust23THRUST_200600_302600_NS6detail15normal_iteratorINSA_10device_ptrIyEEEEPS6_SG_NS0_5tupleIJSF_S6_EEENSH_IJSG_SG_EEES6_PlJNSB_9not_fun_tI7is_evenIyEEEEEE10hipError_tPvRmT3_T4_T5_T6_T7_T9_mT8_P12ihipStream_tbDpT10_ENKUlT_T0_E_clISt17integral_constantIbLb1EES18_EEDaS13_S14_EUlS13_E_NS1_11comp_targetILNS1_3genE4ELNS1_11target_archE910ELNS1_3gpuE8ELNS1_3repE0EEENS1_30default_config_static_selectorELNS0_4arch9wavefront6targetE0EEEvT1_,comdat
.Lfunc_end607:
	.size	_ZN7rocprim17ROCPRIM_400000_NS6detail17trampoline_kernelINS0_14default_configENS1_25partition_config_selectorILNS1_17partition_subalgoE6EyNS0_10empty_typeEbEEZZNS1_14partition_implILS5_6ELb0ES3_mN6thrust23THRUST_200600_302600_NS6detail15normal_iteratorINSA_10device_ptrIyEEEEPS6_SG_NS0_5tupleIJSF_S6_EEENSH_IJSG_SG_EEES6_PlJNSB_9not_fun_tI7is_evenIyEEEEEE10hipError_tPvRmT3_T4_T5_T6_T7_T9_mT8_P12ihipStream_tbDpT10_ENKUlT_T0_E_clISt17integral_constantIbLb1EES18_EEDaS13_S14_EUlS13_E_NS1_11comp_targetILNS1_3genE4ELNS1_11target_archE910ELNS1_3gpuE8ELNS1_3repE0EEENS1_30default_config_static_selectorELNS0_4arch9wavefront6targetE0EEEvT1_, .Lfunc_end607-_ZN7rocprim17ROCPRIM_400000_NS6detail17trampoline_kernelINS0_14default_configENS1_25partition_config_selectorILNS1_17partition_subalgoE6EyNS0_10empty_typeEbEEZZNS1_14partition_implILS5_6ELb0ES3_mN6thrust23THRUST_200600_302600_NS6detail15normal_iteratorINSA_10device_ptrIyEEEEPS6_SG_NS0_5tupleIJSF_S6_EEENSH_IJSG_SG_EEES6_PlJNSB_9not_fun_tI7is_evenIyEEEEEE10hipError_tPvRmT3_T4_T5_T6_T7_T9_mT8_P12ihipStream_tbDpT10_ENKUlT_T0_E_clISt17integral_constantIbLb1EES18_EEDaS13_S14_EUlS13_E_NS1_11comp_targetILNS1_3genE4ELNS1_11target_archE910ELNS1_3gpuE8ELNS1_3repE0EEENS1_30default_config_static_selectorELNS0_4arch9wavefront6targetE0EEEvT1_
                                        ; -- End function
	.set _ZN7rocprim17ROCPRIM_400000_NS6detail17trampoline_kernelINS0_14default_configENS1_25partition_config_selectorILNS1_17partition_subalgoE6EyNS0_10empty_typeEbEEZZNS1_14partition_implILS5_6ELb0ES3_mN6thrust23THRUST_200600_302600_NS6detail15normal_iteratorINSA_10device_ptrIyEEEEPS6_SG_NS0_5tupleIJSF_S6_EEENSH_IJSG_SG_EEES6_PlJNSB_9not_fun_tI7is_evenIyEEEEEE10hipError_tPvRmT3_T4_T5_T6_T7_T9_mT8_P12ihipStream_tbDpT10_ENKUlT_T0_E_clISt17integral_constantIbLb1EES18_EEDaS13_S14_EUlS13_E_NS1_11comp_targetILNS1_3genE4ELNS1_11target_archE910ELNS1_3gpuE8ELNS1_3repE0EEENS1_30default_config_static_selectorELNS0_4arch9wavefront6targetE0EEEvT1_.num_vgpr, 0
	.set _ZN7rocprim17ROCPRIM_400000_NS6detail17trampoline_kernelINS0_14default_configENS1_25partition_config_selectorILNS1_17partition_subalgoE6EyNS0_10empty_typeEbEEZZNS1_14partition_implILS5_6ELb0ES3_mN6thrust23THRUST_200600_302600_NS6detail15normal_iteratorINSA_10device_ptrIyEEEEPS6_SG_NS0_5tupleIJSF_S6_EEENSH_IJSG_SG_EEES6_PlJNSB_9not_fun_tI7is_evenIyEEEEEE10hipError_tPvRmT3_T4_T5_T6_T7_T9_mT8_P12ihipStream_tbDpT10_ENKUlT_T0_E_clISt17integral_constantIbLb1EES18_EEDaS13_S14_EUlS13_E_NS1_11comp_targetILNS1_3genE4ELNS1_11target_archE910ELNS1_3gpuE8ELNS1_3repE0EEENS1_30default_config_static_selectorELNS0_4arch9wavefront6targetE0EEEvT1_.num_agpr, 0
	.set _ZN7rocprim17ROCPRIM_400000_NS6detail17trampoline_kernelINS0_14default_configENS1_25partition_config_selectorILNS1_17partition_subalgoE6EyNS0_10empty_typeEbEEZZNS1_14partition_implILS5_6ELb0ES3_mN6thrust23THRUST_200600_302600_NS6detail15normal_iteratorINSA_10device_ptrIyEEEEPS6_SG_NS0_5tupleIJSF_S6_EEENSH_IJSG_SG_EEES6_PlJNSB_9not_fun_tI7is_evenIyEEEEEE10hipError_tPvRmT3_T4_T5_T6_T7_T9_mT8_P12ihipStream_tbDpT10_ENKUlT_T0_E_clISt17integral_constantIbLb1EES18_EEDaS13_S14_EUlS13_E_NS1_11comp_targetILNS1_3genE4ELNS1_11target_archE910ELNS1_3gpuE8ELNS1_3repE0EEENS1_30default_config_static_selectorELNS0_4arch9wavefront6targetE0EEEvT1_.numbered_sgpr, 0
	.set _ZN7rocprim17ROCPRIM_400000_NS6detail17trampoline_kernelINS0_14default_configENS1_25partition_config_selectorILNS1_17partition_subalgoE6EyNS0_10empty_typeEbEEZZNS1_14partition_implILS5_6ELb0ES3_mN6thrust23THRUST_200600_302600_NS6detail15normal_iteratorINSA_10device_ptrIyEEEEPS6_SG_NS0_5tupleIJSF_S6_EEENSH_IJSG_SG_EEES6_PlJNSB_9not_fun_tI7is_evenIyEEEEEE10hipError_tPvRmT3_T4_T5_T6_T7_T9_mT8_P12ihipStream_tbDpT10_ENKUlT_T0_E_clISt17integral_constantIbLb1EES18_EEDaS13_S14_EUlS13_E_NS1_11comp_targetILNS1_3genE4ELNS1_11target_archE910ELNS1_3gpuE8ELNS1_3repE0EEENS1_30default_config_static_selectorELNS0_4arch9wavefront6targetE0EEEvT1_.num_named_barrier, 0
	.set _ZN7rocprim17ROCPRIM_400000_NS6detail17trampoline_kernelINS0_14default_configENS1_25partition_config_selectorILNS1_17partition_subalgoE6EyNS0_10empty_typeEbEEZZNS1_14partition_implILS5_6ELb0ES3_mN6thrust23THRUST_200600_302600_NS6detail15normal_iteratorINSA_10device_ptrIyEEEEPS6_SG_NS0_5tupleIJSF_S6_EEENSH_IJSG_SG_EEES6_PlJNSB_9not_fun_tI7is_evenIyEEEEEE10hipError_tPvRmT3_T4_T5_T6_T7_T9_mT8_P12ihipStream_tbDpT10_ENKUlT_T0_E_clISt17integral_constantIbLb1EES18_EEDaS13_S14_EUlS13_E_NS1_11comp_targetILNS1_3genE4ELNS1_11target_archE910ELNS1_3gpuE8ELNS1_3repE0EEENS1_30default_config_static_selectorELNS0_4arch9wavefront6targetE0EEEvT1_.private_seg_size, 0
	.set _ZN7rocprim17ROCPRIM_400000_NS6detail17trampoline_kernelINS0_14default_configENS1_25partition_config_selectorILNS1_17partition_subalgoE6EyNS0_10empty_typeEbEEZZNS1_14partition_implILS5_6ELb0ES3_mN6thrust23THRUST_200600_302600_NS6detail15normal_iteratorINSA_10device_ptrIyEEEEPS6_SG_NS0_5tupleIJSF_S6_EEENSH_IJSG_SG_EEES6_PlJNSB_9not_fun_tI7is_evenIyEEEEEE10hipError_tPvRmT3_T4_T5_T6_T7_T9_mT8_P12ihipStream_tbDpT10_ENKUlT_T0_E_clISt17integral_constantIbLb1EES18_EEDaS13_S14_EUlS13_E_NS1_11comp_targetILNS1_3genE4ELNS1_11target_archE910ELNS1_3gpuE8ELNS1_3repE0EEENS1_30default_config_static_selectorELNS0_4arch9wavefront6targetE0EEEvT1_.uses_vcc, 0
	.set _ZN7rocprim17ROCPRIM_400000_NS6detail17trampoline_kernelINS0_14default_configENS1_25partition_config_selectorILNS1_17partition_subalgoE6EyNS0_10empty_typeEbEEZZNS1_14partition_implILS5_6ELb0ES3_mN6thrust23THRUST_200600_302600_NS6detail15normal_iteratorINSA_10device_ptrIyEEEEPS6_SG_NS0_5tupleIJSF_S6_EEENSH_IJSG_SG_EEES6_PlJNSB_9not_fun_tI7is_evenIyEEEEEE10hipError_tPvRmT3_T4_T5_T6_T7_T9_mT8_P12ihipStream_tbDpT10_ENKUlT_T0_E_clISt17integral_constantIbLb1EES18_EEDaS13_S14_EUlS13_E_NS1_11comp_targetILNS1_3genE4ELNS1_11target_archE910ELNS1_3gpuE8ELNS1_3repE0EEENS1_30default_config_static_selectorELNS0_4arch9wavefront6targetE0EEEvT1_.uses_flat_scratch, 0
	.set _ZN7rocprim17ROCPRIM_400000_NS6detail17trampoline_kernelINS0_14default_configENS1_25partition_config_selectorILNS1_17partition_subalgoE6EyNS0_10empty_typeEbEEZZNS1_14partition_implILS5_6ELb0ES3_mN6thrust23THRUST_200600_302600_NS6detail15normal_iteratorINSA_10device_ptrIyEEEEPS6_SG_NS0_5tupleIJSF_S6_EEENSH_IJSG_SG_EEES6_PlJNSB_9not_fun_tI7is_evenIyEEEEEE10hipError_tPvRmT3_T4_T5_T6_T7_T9_mT8_P12ihipStream_tbDpT10_ENKUlT_T0_E_clISt17integral_constantIbLb1EES18_EEDaS13_S14_EUlS13_E_NS1_11comp_targetILNS1_3genE4ELNS1_11target_archE910ELNS1_3gpuE8ELNS1_3repE0EEENS1_30default_config_static_selectorELNS0_4arch9wavefront6targetE0EEEvT1_.has_dyn_sized_stack, 0
	.set _ZN7rocprim17ROCPRIM_400000_NS6detail17trampoline_kernelINS0_14default_configENS1_25partition_config_selectorILNS1_17partition_subalgoE6EyNS0_10empty_typeEbEEZZNS1_14partition_implILS5_6ELb0ES3_mN6thrust23THRUST_200600_302600_NS6detail15normal_iteratorINSA_10device_ptrIyEEEEPS6_SG_NS0_5tupleIJSF_S6_EEENSH_IJSG_SG_EEES6_PlJNSB_9not_fun_tI7is_evenIyEEEEEE10hipError_tPvRmT3_T4_T5_T6_T7_T9_mT8_P12ihipStream_tbDpT10_ENKUlT_T0_E_clISt17integral_constantIbLb1EES18_EEDaS13_S14_EUlS13_E_NS1_11comp_targetILNS1_3genE4ELNS1_11target_archE910ELNS1_3gpuE8ELNS1_3repE0EEENS1_30default_config_static_selectorELNS0_4arch9wavefront6targetE0EEEvT1_.has_recursion, 0
	.set _ZN7rocprim17ROCPRIM_400000_NS6detail17trampoline_kernelINS0_14default_configENS1_25partition_config_selectorILNS1_17partition_subalgoE6EyNS0_10empty_typeEbEEZZNS1_14partition_implILS5_6ELb0ES3_mN6thrust23THRUST_200600_302600_NS6detail15normal_iteratorINSA_10device_ptrIyEEEEPS6_SG_NS0_5tupleIJSF_S6_EEENSH_IJSG_SG_EEES6_PlJNSB_9not_fun_tI7is_evenIyEEEEEE10hipError_tPvRmT3_T4_T5_T6_T7_T9_mT8_P12ihipStream_tbDpT10_ENKUlT_T0_E_clISt17integral_constantIbLb1EES18_EEDaS13_S14_EUlS13_E_NS1_11comp_targetILNS1_3genE4ELNS1_11target_archE910ELNS1_3gpuE8ELNS1_3repE0EEENS1_30default_config_static_selectorELNS0_4arch9wavefront6targetE0EEEvT1_.has_indirect_call, 0
	.section	.AMDGPU.csdata,"",@progbits
; Kernel info:
; codeLenInByte = 0
; TotalNumSgprs: 0
; NumVgprs: 0
; ScratchSize: 0
; MemoryBound: 0
; FloatMode: 240
; IeeeMode: 1
; LDSByteSize: 0 bytes/workgroup (compile time only)
; SGPRBlocks: 0
; VGPRBlocks: 0
; NumSGPRsForWavesPerEU: 1
; NumVGPRsForWavesPerEU: 1
; Occupancy: 16
; WaveLimiterHint : 0
; COMPUTE_PGM_RSRC2:SCRATCH_EN: 0
; COMPUTE_PGM_RSRC2:USER_SGPR: 2
; COMPUTE_PGM_RSRC2:TRAP_HANDLER: 0
; COMPUTE_PGM_RSRC2:TGID_X_EN: 1
; COMPUTE_PGM_RSRC2:TGID_Y_EN: 0
; COMPUTE_PGM_RSRC2:TGID_Z_EN: 0
; COMPUTE_PGM_RSRC2:TIDIG_COMP_CNT: 0
	.section	.text._ZN7rocprim17ROCPRIM_400000_NS6detail17trampoline_kernelINS0_14default_configENS1_25partition_config_selectorILNS1_17partition_subalgoE6EyNS0_10empty_typeEbEEZZNS1_14partition_implILS5_6ELb0ES3_mN6thrust23THRUST_200600_302600_NS6detail15normal_iteratorINSA_10device_ptrIyEEEEPS6_SG_NS0_5tupleIJSF_S6_EEENSH_IJSG_SG_EEES6_PlJNSB_9not_fun_tI7is_evenIyEEEEEE10hipError_tPvRmT3_T4_T5_T6_T7_T9_mT8_P12ihipStream_tbDpT10_ENKUlT_T0_E_clISt17integral_constantIbLb1EES18_EEDaS13_S14_EUlS13_E_NS1_11comp_targetILNS1_3genE3ELNS1_11target_archE908ELNS1_3gpuE7ELNS1_3repE0EEENS1_30default_config_static_selectorELNS0_4arch9wavefront6targetE0EEEvT1_,"axG",@progbits,_ZN7rocprim17ROCPRIM_400000_NS6detail17trampoline_kernelINS0_14default_configENS1_25partition_config_selectorILNS1_17partition_subalgoE6EyNS0_10empty_typeEbEEZZNS1_14partition_implILS5_6ELb0ES3_mN6thrust23THRUST_200600_302600_NS6detail15normal_iteratorINSA_10device_ptrIyEEEEPS6_SG_NS0_5tupleIJSF_S6_EEENSH_IJSG_SG_EEES6_PlJNSB_9not_fun_tI7is_evenIyEEEEEE10hipError_tPvRmT3_T4_T5_T6_T7_T9_mT8_P12ihipStream_tbDpT10_ENKUlT_T0_E_clISt17integral_constantIbLb1EES18_EEDaS13_S14_EUlS13_E_NS1_11comp_targetILNS1_3genE3ELNS1_11target_archE908ELNS1_3gpuE7ELNS1_3repE0EEENS1_30default_config_static_selectorELNS0_4arch9wavefront6targetE0EEEvT1_,comdat
	.protected	_ZN7rocprim17ROCPRIM_400000_NS6detail17trampoline_kernelINS0_14default_configENS1_25partition_config_selectorILNS1_17partition_subalgoE6EyNS0_10empty_typeEbEEZZNS1_14partition_implILS5_6ELb0ES3_mN6thrust23THRUST_200600_302600_NS6detail15normal_iteratorINSA_10device_ptrIyEEEEPS6_SG_NS0_5tupleIJSF_S6_EEENSH_IJSG_SG_EEES6_PlJNSB_9not_fun_tI7is_evenIyEEEEEE10hipError_tPvRmT3_T4_T5_T6_T7_T9_mT8_P12ihipStream_tbDpT10_ENKUlT_T0_E_clISt17integral_constantIbLb1EES18_EEDaS13_S14_EUlS13_E_NS1_11comp_targetILNS1_3genE3ELNS1_11target_archE908ELNS1_3gpuE7ELNS1_3repE0EEENS1_30default_config_static_selectorELNS0_4arch9wavefront6targetE0EEEvT1_ ; -- Begin function _ZN7rocprim17ROCPRIM_400000_NS6detail17trampoline_kernelINS0_14default_configENS1_25partition_config_selectorILNS1_17partition_subalgoE6EyNS0_10empty_typeEbEEZZNS1_14partition_implILS5_6ELb0ES3_mN6thrust23THRUST_200600_302600_NS6detail15normal_iteratorINSA_10device_ptrIyEEEEPS6_SG_NS0_5tupleIJSF_S6_EEENSH_IJSG_SG_EEES6_PlJNSB_9not_fun_tI7is_evenIyEEEEEE10hipError_tPvRmT3_T4_T5_T6_T7_T9_mT8_P12ihipStream_tbDpT10_ENKUlT_T0_E_clISt17integral_constantIbLb1EES18_EEDaS13_S14_EUlS13_E_NS1_11comp_targetILNS1_3genE3ELNS1_11target_archE908ELNS1_3gpuE7ELNS1_3repE0EEENS1_30default_config_static_selectorELNS0_4arch9wavefront6targetE0EEEvT1_
	.globl	_ZN7rocprim17ROCPRIM_400000_NS6detail17trampoline_kernelINS0_14default_configENS1_25partition_config_selectorILNS1_17partition_subalgoE6EyNS0_10empty_typeEbEEZZNS1_14partition_implILS5_6ELb0ES3_mN6thrust23THRUST_200600_302600_NS6detail15normal_iteratorINSA_10device_ptrIyEEEEPS6_SG_NS0_5tupleIJSF_S6_EEENSH_IJSG_SG_EEES6_PlJNSB_9not_fun_tI7is_evenIyEEEEEE10hipError_tPvRmT3_T4_T5_T6_T7_T9_mT8_P12ihipStream_tbDpT10_ENKUlT_T0_E_clISt17integral_constantIbLb1EES18_EEDaS13_S14_EUlS13_E_NS1_11comp_targetILNS1_3genE3ELNS1_11target_archE908ELNS1_3gpuE7ELNS1_3repE0EEENS1_30default_config_static_selectorELNS0_4arch9wavefront6targetE0EEEvT1_
	.p2align	8
	.type	_ZN7rocprim17ROCPRIM_400000_NS6detail17trampoline_kernelINS0_14default_configENS1_25partition_config_selectorILNS1_17partition_subalgoE6EyNS0_10empty_typeEbEEZZNS1_14partition_implILS5_6ELb0ES3_mN6thrust23THRUST_200600_302600_NS6detail15normal_iteratorINSA_10device_ptrIyEEEEPS6_SG_NS0_5tupleIJSF_S6_EEENSH_IJSG_SG_EEES6_PlJNSB_9not_fun_tI7is_evenIyEEEEEE10hipError_tPvRmT3_T4_T5_T6_T7_T9_mT8_P12ihipStream_tbDpT10_ENKUlT_T0_E_clISt17integral_constantIbLb1EES18_EEDaS13_S14_EUlS13_E_NS1_11comp_targetILNS1_3genE3ELNS1_11target_archE908ELNS1_3gpuE7ELNS1_3repE0EEENS1_30default_config_static_selectorELNS0_4arch9wavefront6targetE0EEEvT1_,@function
_ZN7rocprim17ROCPRIM_400000_NS6detail17trampoline_kernelINS0_14default_configENS1_25partition_config_selectorILNS1_17partition_subalgoE6EyNS0_10empty_typeEbEEZZNS1_14partition_implILS5_6ELb0ES3_mN6thrust23THRUST_200600_302600_NS6detail15normal_iteratorINSA_10device_ptrIyEEEEPS6_SG_NS0_5tupleIJSF_S6_EEENSH_IJSG_SG_EEES6_PlJNSB_9not_fun_tI7is_evenIyEEEEEE10hipError_tPvRmT3_T4_T5_T6_T7_T9_mT8_P12ihipStream_tbDpT10_ENKUlT_T0_E_clISt17integral_constantIbLb1EES18_EEDaS13_S14_EUlS13_E_NS1_11comp_targetILNS1_3genE3ELNS1_11target_archE908ELNS1_3gpuE7ELNS1_3repE0EEENS1_30default_config_static_selectorELNS0_4arch9wavefront6targetE0EEEvT1_: ; @_ZN7rocprim17ROCPRIM_400000_NS6detail17trampoline_kernelINS0_14default_configENS1_25partition_config_selectorILNS1_17partition_subalgoE6EyNS0_10empty_typeEbEEZZNS1_14partition_implILS5_6ELb0ES3_mN6thrust23THRUST_200600_302600_NS6detail15normal_iteratorINSA_10device_ptrIyEEEEPS6_SG_NS0_5tupleIJSF_S6_EEENSH_IJSG_SG_EEES6_PlJNSB_9not_fun_tI7is_evenIyEEEEEE10hipError_tPvRmT3_T4_T5_T6_T7_T9_mT8_P12ihipStream_tbDpT10_ENKUlT_T0_E_clISt17integral_constantIbLb1EES18_EEDaS13_S14_EUlS13_E_NS1_11comp_targetILNS1_3genE3ELNS1_11target_archE908ELNS1_3gpuE7ELNS1_3repE0EEENS1_30default_config_static_selectorELNS0_4arch9wavefront6targetE0EEEvT1_
; %bb.0:
	.section	.rodata,"a",@progbits
	.p2align	6, 0x0
	.amdhsa_kernel _ZN7rocprim17ROCPRIM_400000_NS6detail17trampoline_kernelINS0_14default_configENS1_25partition_config_selectorILNS1_17partition_subalgoE6EyNS0_10empty_typeEbEEZZNS1_14partition_implILS5_6ELb0ES3_mN6thrust23THRUST_200600_302600_NS6detail15normal_iteratorINSA_10device_ptrIyEEEEPS6_SG_NS0_5tupleIJSF_S6_EEENSH_IJSG_SG_EEES6_PlJNSB_9not_fun_tI7is_evenIyEEEEEE10hipError_tPvRmT3_T4_T5_T6_T7_T9_mT8_P12ihipStream_tbDpT10_ENKUlT_T0_E_clISt17integral_constantIbLb1EES18_EEDaS13_S14_EUlS13_E_NS1_11comp_targetILNS1_3genE3ELNS1_11target_archE908ELNS1_3gpuE7ELNS1_3repE0EEENS1_30default_config_static_selectorELNS0_4arch9wavefront6targetE0EEEvT1_
		.amdhsa_group_segment_fixed_size 0
		.amdhsa_private_segment_fixed_size 0
		.amdhsa_kernarg_size 128
		.amdhsa_user_sgpr_count 2
		.amdhsa_user_sgpr_dispatch_ptr 0
		.amdhsa_user_sgpr_queue_ptr 0
		.amdhsa_user_sgpr_kernarg_segment_ptr 1
		.amdhsa_user_sgpr_dispatch_id 0
		.amdhsa_user_sgpr_private_segment_size 0
		.amdhsa_wavefront_size32 1
		.amdhsa_uses_dynamic_stack 0
		.amdhsa_enable_private_segment 0
		.amdhsa_system_sgpr_workgroup_id_x 1
		.amdhsa_system_sgpr_workgroup_id_y 0
		.amdhsa_system_sgpr_workgroup_id_z 0
		.amdhsa_system_sgpr_workgroup_info 0
		.amdhsa_system_vgpr_workitem_id 0
		.amdhsa_next_free_vgpr 1
		.amdhsa_next_free_sgpr 1
		.amdhsa_reserve_vcc 0
		.amdhsa_float_round_mode_32 0
		.amdhsa_float_round_mode_16_64 0
		.amdhsa_float_denorm_mode_32 3
		.amdhsa_float_denorm_mode_16_64 3
		.amdhsa_fp16_overflow 0
		.amdhsa_workgroup_processor_mode 1
		.amdhsa_memory_ordered 1
		.amdhsa_forward_progress 1
		.amdhsa_inst_pref_size 0
		.amdhsa_round_robin_scheduling 0
		.amdhsa_exception_fp_ieee_invalid_op 0
		.amdhsa_exception_fp_denorm_src 0
		.amdhsa_exception_fp_ieee_div_zero 0
		.amdhsa_exception_fp_ieee_overflow 0
		.amdhsa_exception_fp_ieee_underflow 0
		.amdhsa_exception_fp_ieee_inexact 0
		.amdhsa_exception_int_div_zero 0
	.end_amdhsa_kernel
	.section	.text._ZN7rocprim17ROCPRIM_400000_NS6detail17trampoline_kernelINS0_14default_configENS1_25partition_config_selectorILNS1_17partition_subalgoE6EyNS0_10empty_typeEbEEZZNS1_14partition_implILS5_6ELb0ES3_mN6thrust23THRUST_200600_302600_NS6detail15normal_iteratorINSA_10device_ptrIyEEEEPS6_SG_NS0_5tupleIJSF_S6_EEENSH_IJSG_SG_EEES6_PlJNSB_9not_fun_tI7is_evenIyEEEEEE10hipError_tPvRmT3_T4_T5_T6_T7_T9_mT8_P12ihipStream_tbDpT10_ENKUlT_T0_E_clISt17integral_constantIbLb1EES18_EEDaS13_S14_EUlS13_E_NS1_11comp_targetILNS1_3genE3ELNS1_11target_archE908ELNS1_3gpuE7ELNS1_3repE0EEENS1_30default_config_static_selectorELNS0_4arch9wavefront6targetE0EEEvT1_,"axG",@progbits,_ZN7rocprim17ROCPRIM_400000_NS6detail17trampoline_kernelINS0_14default_configENS1_25partition_config_selectorILNS1_17partition_subalgoE6EyNS0_10empty_typeEbEEZZNS1_14partition_implILS5_6ELb0ES3_mN6thrust23THRUST_200600_302600_NS6detail15normal_iteratorINSA_10device_ptrIyEEEEPS6_SG_NS0_5tupleIJSF_S6_EEENSH_IJSG_SG_EEES6_PlJNSB_9not_fun_tI7is_evenIyEEEEEE10hipError_tPvRmT3_T4_T5_T6_T7_T9_mT8_P12ihipStream_tbDpT10_ENKUlT_T0_E_clISt17integral_constantIbLb1EES18_EEDaS13_S14_EUlS13_E_NS1_11comp_targetILNS1_3genE3ELNS1_11target_archE908ELNS1_3gpuE7ELNS1_3repE0EEENS1_30default_config_static_selectorELNS0_4arch9wavefront6targetE0EEEvT1_,comdat
.Lfunc_end608:
	.size	_ZN7rocprim17ROCPRIM_400000_NS6detail17trampoline_kernelINS0_14default_configENS1_25partition_config_selectorILNS1_17partition_subalgoE6EyNS0_10empty_typeEbEEZZNS1_14partition_implILS5_6ELb0ES3_mN6thrust23THRUST_200600_302600_NS6detail15normal_iteratorINSA_10device_ptrIyEEEEPS6_SG_NS0_5tupleIJSF_S6_EEENSH_IJSG_SG_EEES6_PlJNSB_9not_fun_tI7is_evenIyEEEEEE10hipError_tPvRmT3_T4_T5_T6_T7_T9_mT8_P12ihipStream_tbDpT10_ENKUlT_T0_E_clISt17integral_constantIbLb1EES18_EEDaS13_S14_EUlS13_E_NS1_11comp_targetILNS1_3genE3ELNS1_11target_archE908ELNS1_3gpuE7ELNS1_3repE0EEENS1_30default_config_static_selectorELNS0_4arch9wavefront6targetE0EEEvT1_, .Lfunc_end608-_ZN7rocprim17ROCPRIM_400000_NS6detail17trampoline_kernelINS0_14default_configENS1_25partition_config_selectorILNS1_17partition_subalgoE6EyNS0_10empty_typeEbEEZZNS1_14partition_implILS5_6ELb0ES3_mN6thrust23THRUST_200600_302600_NS6detail15normal_iteratorINSA_10device_ptrIyEEEEPS6_SG_NS0_5tupleIJSF_S6_EEENSH_IJSG_SG_EEES6_PlJNSB_9not_fun_tI7is_evenIyEEEEEE10hipError_tPvRmT3_T4_T5_T6_T7_T9_mT8_P12ihipStream_tbDpT10_ENKUlT_T0_E_clISt17integral_constantIbLb1EES18_EEDaS13_S14_EUlS13_E_NS1_11comp_targetILNS1_3genE3ELNS1_11target_archE908ELNS1_3gpuE7ELNS1_3repE0EEENS1_30default_config_static_selectorELNS0_4arch9wavefront6targetE0EEEvT1_
                                        ; -- End function
	.set _ZN7rocprim17ROCPRIM_400000_NS6detail17trampoline_kernelINS0_14default_configENS1_25partition_config_selectorILNS1_17partition_subalgoE6EyNS0_10empty_typeEbEEZZNS1_14partition_implILS5_6ELb0ES3_mN6thrust23THRUST_200600_302600_NS6detail15normal_iteratorINSA_10device_ptrIyEEEEPS6_SG_NS0_5tupleIJSF_S6_EEENSH_IJSG_SG_EEES6_PlJNSB_9not_fun_tI7is_evenIyEEEEEE10hipError_tPvRmT3_T4_T5_T6_T7_T9_mT8_P12ihipStream_tbDpT10_ENKUlT_T0_E_clISt17integral_constantIbLb1EES18_EEDaS13_S14_EUlS13_E_NS1_11comp_targetILNS1_3genE3ELNS1_11target_archE908ELNS1_3gpuE7ELNS1_3repE0EEENS1_30default_config_static_selectorELNS0_4arch9wavefront6targetE0EEEvT1_.num_vgpr, 0
	.set _ZN7rocprim17ROCPRIM_400000_NS6detail17trampoline_kernelINS0_14default_configENS1_25partition_config_selectorILNS1_17partition_subalgoE6EyNS0_10empty_typeEbEEZZNS1_14partition_implILS5_6ELb0ES3_mN6thrust23THRUST_200600_302600_NS6detail15normal_iteratorINSA_10device_ptrIyEEEEPS6_SG_NS0_5tupleIJSF_S6_EEENSH_IJSG_SG_EEES6_PlJNSB_9not_fun_tI7is_evenIyEEEEEE10hipError_tPvRmT3_T4_T5_T6_T7_T9_mT8_P12ihipStream_tbDpT10_ENKUlT_T0_E_clISt17integral_constantIbLb1EES18_EEDaS13_S14_EUlS13_E_NS1_11comp_targetILNS1_3genE3ELNS1_11target_archE908ELNS1_3gpuE7ELNS1_3repE0EEENS1_30default_config_static_selectorELNS0_4arch9wavefront6targetE0EEEvT1_.num_agpr, 0
	.set _ZN7rocprim17ROCPRIM_400000_NS6detail17trampoline_kernelINS0_14default_configENS1_25partition_config_selectorILNS1_17partition_subalgoE6EyNS0_10empty_typeEbEEZZNS1_14partition_implILS5_6ELb0ES3_mN6thrust23THRUST_200600_302600_NS6detail15normal_iteratorINSA_10device_ptrIyEEEEPS6_SG_NS0_5tupleIJSF_S6_EEENSH_IJSG_SG_EEES6_PlJNSB_9not_fun_tI7is_evenIyEEEEEE10hipError_tPvRmT3_T4_T5_T6_T7_T9_mT8_P12ihipStream_tbDpT10_ENKUlT_T0_E_clISt17integral_constantIbLb1EES18_EEDaS13_S14_EUlS13_E_NS1_11comp_targetILNS1_3genE3ELNS1_11target_archE908ELNS1_3gpuE7ELNS1_3repE0EEENS1_30default_config_static_selectorELNS0_4arch9wavefront6targetE0EEEvT1_.numbered_sgpr, 0
	.set _ZN7rocprim17ROCPRIM_400000_NS6detail17trampoline_kernelINS0_14default_configENS1_25partition_config_selectorILNS1_17partition_subalgoE6EyNS0_10empty_typeEbEEZZNS1_14partition_implILS5_6ELb0ES3_mN6thrust23THRUST_200600_302600_NS6detail15normal_iteratorINSA_10device_ptrIyEEEEPS6_SG_NS0_5tupleIJSF_S6_EEENSH_IJSG_SG_EEES6_PlJNSB_9not_fun_tI7is_evenIyEEEEEE10hipError_tPvRmT3_T4_T5_T6_T7_T9_mT8_P12ihipStream_tbDpT10_ENKUlT_T0_E_clISt17integral_constantIbLb1EES18_EEDaS13_S14_EUlS13_E_NS1_11comp_targetILNS1_3genE3ELNS1_11target_archE908ELNS1_3gpuE7ELNS1_3repE0EEENS1_30default_config_static_selectorELNS0_4arch9wavefront6targetE0EEEvT1_.num_named_barrier, 0
	.set _ZN7rocprim17ROCPRIM_400000_NS6detail17trampoline_kernelINS0_14default_configENS1_25partition_config_selectorILNS1_17partition_subalgoE6EyNS0_10empty_typeEbEEZZNS1_14partition_implILS5_6ELb0ES3_mN6thrust23THRUST_200600_302600_NS6detail15normal_iteratorINSA_10device_ptrIyEEEEPS6_SG_NS0_5tupleIJSF_S6_EEENSH_IJSG_SG_EEES6_PlJNSB_9not_fun_tI7is_evenIyEEEEEE10hipError_tPvRmT3_T4_T5_T6_T7_T9_mT8_P12ihipStream_tbDpT10_ENKUlT_T0_E_clISt17integral_constantIbLb1EES18_EEDaS13_S14_EUlS13_E_NS1_11comp_targetILNS1_3genE3ELNS1_11target_archE908ELNS1_3gpuE7ELNS1_3repE0EEENS1_30default_config_static_selectorELNS0_4arch9wavefront6targetE0EEEvT1_.private_seg_size, 0
	.set _ZN7rocprim17ROCPRIM_400000_NS6detail17trampoline_kernelINS0_14default_configENS1_25partition_config_selectorILNS1_17partition_subalgoE6EyNS0_10empty_typeEbEEZZNS1_14partition_implILS5_6ELb0ES3_mN6thrust23THRUST_200600_302600_NS6detail15normal_iteratorINSA_10device_ptrIyEEEEPS6_SG_NS0_5tupleIJSF_S6_EEENSH_IJSG_SG_EEES6_PlJNSB_9not_fun_tI7is_evenIyEEEEEE10hipError_tPvRmT3_T4_T5_T6_T7_T9_mT8_P12ihipStream_tbDpT10_ENKUlT_T0_E_clISt17integral_constantIbLb1EES18_EEDaS13_S14_EUlS13_E_NS1_11comp_targetILNS1_3genE3ELNS1_11target_archE908ELNS1_3gpuE7ELNS1_3repE0EEENS1_30default_config_static_selectorELNS0_4arch9wavefront6targetE0EEEvT1_.uses_vcc, 0
	.set _ZN7rocprim17ROCPRIM_400000_NS6detail17trampoline_kernelINS0_14default_configENS1_25partition_config_selectorILNS1_17partition_subalgoE6EyNS0_10empty_typeEbEEZZNS1_14partition_implILS5_6ELb0ES3_mN6thrust23THRUST_200600_302600_NS6detail15normal_iteratorINSA_10device_ptrIyEEEEPS6_SG_NS0_5tupleIJSF_S6_EEENSH_IJSG_SG_EEES6_PlJNSB_9not_fun_tI7is_evenIyEEEEEE10hipError_tPvRmT3_T4_T5_T6_T7_T9_mT8_P12ihipStream_tbDpT10_ENKUlT_T0_E_clISt17integral_constantIbLb1EES18_EEDaS13_S14_EUlS13_E_NS1_11comp_targetILNS1_3genE3ELNS1_11target_archE908ELNS1_3gpuE7ELNS1_3repE0EEENS1_30default_config_static_selectorELNS0_4arch9wavefront6targetE0EEEvT1_.uses_flat_scratch, 0
	.set _ZN7rocprim17ROCPRIM_400000_NS6detail17trampoline_kernelINS0_14default_configENS1_25partition_config_selectorILNS1_17partition_subalgoE6EyNS0_10empty_typeEbEEZZNS1_14partition_implILS5_6ELb0ES3_mN6thrust23THRUST_200600_302600_NS6detail15normal_iteratorINSA_10device_ptrIyEEEEPS6_SG_NS0_5tupleIJSF_S6_EEENSH_IJSG_SG_EEES6_PlJNSB_9not_fun_tI7is_evenIyEEEEEE10hipError_tPvRmT3_T4_T5_T6_T7_T9_mT8_P12ihipStream_tbDpT10_ENKUlT_T0_E_clISt17integral_constantIbLb1EES18_EEDaS13_S14_EUlS13_E_NS1_11comp_targetILNS1_3genE3ELNS1_11target_archE908ELNS1_3gpuE7ELNS1_3repE0EEENS1_30default_config_static_selectorELNS0_4arch9wavefront6targetE0EEEvT1_.has_dyn_sized_stack, 0
	.set _ZN7rocprim17ROCPRIM_400000_NS6detail17trampoline_kernelINS0_14default_configENS1_25partition_config_selectorILNS1_17partition_subalgoE6EyNS0_10empty_typeEbEEZZNS1_14partition_implILS5_6ELb0ES3_mN6thrust23THRUST_200600_302600_NS6detail15normal_iteratorINSA_10device_ptrIyEEEEPS6_SG_NS0_5tupleIJSF_S6_EEENSH_IJSG_SG_EEES6_PlJNSB_9not_fun_tI7is_evenIyEEEEEE10hipError_tPvRmT3_T4_T5_T6_T7_T9_mT8_P12ihipStream_tbDpT10_ENKUlT_T0_E_clISt17integral_constantIbLb1EES18_EEDaS13_S14_EUlS13_E_NS1_11comp_targetILNS1_3genE3ELNS1_11target_archE908ELNS1_3gpuE7ELNS1_3repE0EEENS1_30default_config_static_selectorELNS0_4arch9wavefront6targetE0EEEvT1_.has_recursion, 0
	.set _ZN7rocprim17ROCPRIM_400000_NS6detail17trampoline_kernelINS0_14default_configENS1_25partition_config_selectorILNS1_17partition_subalgoE6EyNS0_10empty_typeEbEEZZNS1_14partition_implILS5_6ELb0ES3_mN6thrust23THRUST_200600_302600_NS6detail15normal_iteratorINSA_10device_ptrIyEEEEPS6_SG_NS0_5tupleIJSF_S6_EEENSH_IJSG_SG_EEES6_PlJNSB_9not_fun_tI7is_evenIyEEEEEE10hipError_tPvRmT3_T4_T5_T6_T7_T9_mT8_P12ihipStream_tbDpT10_ENKUlT_T0_E_clISt17integral_constantIbLb1EES18_EEDaS13_S14_EUlS13_E_NS1_11comp_targetILNS1_3genE3ELNS1_11target_archE908ELNS1_3gpuE7ELNS1_3repE0EEENS1_30default_config_static_selectorELNS0_4arch9wavefront6targetE0EEEvT1_.has_indirect_call, 0
	.section	.AMDGPU.csdata,"",@progbits
; Kernel info:
; codeLenInByte = 0
; TotalNumSgprs: 0
; NumVgprs: 0
; ScratchSize: 0
; MemoryBound: 0
; FloatMode: 240
; IeeeMode: 1
; LDSByteSize: 0 bytes/workgroup (compile time only)
; SGPRBlocks: 0
; VGPRBlocks: 0
; NumSGPRsForWavesPerEU: 1
; NumVGPRsForWavesPerEU: 1
; Occupancy: 16
; WaveLimiterHint : 0
; COMPUTE_PGM_RSRC2:SCRATCH_EN: 0
; COMPUTE_PGM_RSRC2:USER_SGPR: 2
; COMPUTE_PGM_RSRC2:TRAP_HANDLER: 0
; COMPUTE_PGM_RSRC2:TGID_X_EN: 1
; COMPUTE_PGM_RSRC2:TGID_Y_EN: 0
; COMPUTE_PGM_RSRC2:TGID_Z_EN: 0
; COMPUTE_PGM_RSRC2:TIDIG_COMP_CNT: 0
	.section	.text._ZN7rocprim17ROCPRIM_400000_NS6detail17trampoline_kernelINS0_14default_configENS1_25partition_config_selectorILNS1_17partition_subalgoE6EyNS0_10empty_typeEbEEZZNS1_14partition_implILS5_6ELb0ES3_mN6thrust23THRUST_200600_302600_NS6detail15normal_iteratorINSA_10device_ptrIyEEEEPS6_SG_NS0_5tupleIJSF_S6_EEENSH_IJSG_SG_EEES6_PlJNSB_9not_fun_tI7is_evenIyEEEEEE10hipError_tPvRmT3_T4_T5_T6_T7_T9_mT8_P12ihipStream_tbDpT10_ENKUlT_T0_E_clISt17integral_constantIbLb1EES18_EEDaS13_S14_EUlS13_E_NS1_11comp_targetILNS1_3genE2ELNS1_11target_archE906ELNS1_3gpuE6ELNS1_3repE0EEENS1_30default_config_static_selectorELNS0_4arch9wavefront6targetE0EEEvT1_,"axG",@progbits,_ZN7rocprim17ROCPRIM_400000_NS6detail17trampoline_kernelINS0_14default_configENS1_25partition_config_selectorILNS1_17partition_subalgoE6EyNS0_10empty_typeEbEEZZNS1_14partition_implILS5_6ELb0ES3_mN6thrust23THRUST_200600_302600_NS6detail15normal_iteratorINSA_10device_ptrIyEEEEPS6_SG_NS0_5tupleIJSF_S6_EEENSH_IJSG_SG_EEES6_PlJNSB_9not_fun_tI7is_evenIyEEEEEE10hipError_tPvRmT3_T4_T5_T6_T7_T9_mT8_P12ihipStream_tbDpT10_ENKUlT_T0_E_clISt17integral_constantIbLb1EES18_EEDaS13_S14_EUlS13_E_NS1_11comp_targetILNS1_3genE2ELNS1_11target_archE906ELNS1_3gpuE6ELNS1_3repE0EEENS1_30default_config_static_selectorELNS0_4arch9wavefront6targetE0EEEvT1_,comdat
	.protected	_ZN7rocprim17ROCPRIM_400000_NS6detail17trampoline_kernelINS0_14default_configENS1_25partition_config_selectorILNS1_17partition_subalgoE6EyNS0_10empty_typeEbEEZZNS1_14partition_implILS5_6ELb0ES3_mN6thrust23THRUST_200600_302600_NS6detail15normal_iteratorINSA_10device_ptrIyEEEEPS6_SG_NS0_5tupleIJSF_S6_EEENSH_IJSG_SG_EEES6_PlJNSB_9not_fun_tI7is_evenIyEEEEEE10hipError_tPvRmT3_T4_T5_T6_T7_T9_mT8_P12ihipStream_tbDpT10_ENKUlT_T0_E_clISt17integral_constantIbLb1EES18_EEDaS13_S14_EUlS13_E_NS1_11comp_targetILNS1_3genE2ELNS1_11target_archE906ELNS1_3gpuE6ELNS1_3repE0EEENS1_30default_config_static_selectorELNS0_4arch9wavefront6targetE0EEEvT1_ ; -- Begin function _ZN7rocprim17ROCPRIM_400000_NS6detail17trampoline_kernelINS0_14default_configENS1_25partition_config_selectorILNS1_17partition_subalgoE6EyNS0_10empty_typeEbEEZZNS1_14partition_implILS5_6ELb0ES3_mN6thrust23THRUST_200600_302600_NS6detail15normal_iteratorINSA_10device_ptrIyEEEEPS6_SG_NS0_5tupleIJSF_S6_EEENSH_IJSG_SG_EEES6_PlJNSB_9not_fun_tI7is_evenIyEEEEEE10hipError_tPvRmT3_T4_T5_T6_T7_T9_mT8_P12ihipStream_tbDpT10_ENKUlT_T0_E_clISt17integral_constantIbLb1EES18_EEDaS13_S14_EUlS13_E_NS1_11comp_targetILNS1_3genE2ELNS1_11target_archE906ELNS1_3gpuE6ELNS1_3repE0EEENS1_30default_config_static_selectorELNS0_4arch9wavefront6targetE0EEEvT1_
	.globl	_ZN7rocprim17ROCPRIM_400000_NS6detail17trampoline_kernelINS0_14default_configENS1_25partition_config_selectorILNS1_17partition_subalgoE6EyNS0_10empty_typeEbEEZZNS1_14partition_implILS5_6ELb0ES3_mN6thrust23THRUST_200600_302600_NS6detail15normal_iteratorINSA_10device_ptrIyEEEEPS6_SG_NS0_5tupleIJSF_S6_EEENSH_IJSG_SG_EEES6_PlJNSB_9not_fun_tI7is_evenIyEEEEEE10hipError_tPvRmT3_T4_T5_T6_T7_T9_mT8_P12ihipStream_tbDpT10_ENKUlT_T0_E_clISt17integral_constantIbLb1EES18_EEDaS13_S14_EUlS13_E_NS1_11comp_targetILNS1_3genE2ELNS1_11target_archE906ELNS1_3gpuE6ELNS1_3repE0EEENS1_30default_config_static_selectorELNS0_4arch9wavefront6targetE0EEEvT1_
	.p2align	8
	.type	_ZN7rocprim17ROCPRIM_400000_NS6detail17trampoline_kernelINS0_14default_configENS1_25partition_config_selectorILNS1_17partition_subalgoE6EyNS0_10empty_typeEbEEZZNS1_14partition_implILS5_6ELb0ES3_mN6thrust23THRUST_200600_302600_NS6detail15normal_iteratorINSA_10device_ptrIyEEEEPS6_SG_NS0_5tupleIJSF_S6_EEENSH_IJSG_SG_EEES6_PlJNSB_9not_fun_tI7is_evenIyEEEEEE10hipError_tPvRmT3_T4_T5_T6_T7_T9_mT8_P12ihipStream_tbDpT10_ENKUlT_T0_E_clISt17integral_constantIbLb1EES18_EEDaS13_S14_EUlS13_E_NS1_11comp_targetILNS1_3genE2ELNS1_11target_archE906ELNS1_3gpuE6ELNS1_3repE0EEENS1_30default_config_static_selectorELNS0_4arch9wavefront6targetE0EEEvT1_,@function
_ZN7rocprim17ROCPRIM_400000_NS6detail17trampoline_kernelINS0_14default_configENS1_25partition_config_selectorILNS1_17partition_subalgoE6EyNS0_10empty_typeEbEEZZNS1_14partition_implILS5_6ELb0ES3_mN6thrust23THRUST_200600_302600_NS6detail15normal_iteratorINSA_10device_ptrIyEEEEPS6_SG_NS0_5tupleIJSF_S6_EEENSH_IJSG_SG_EEES6_PlJNSB_9not_fun_tI7is_evenIyEEEEEE10hipError_tPvRmT3_T4_T5_T6_T7_T9_mT8_P12ihipStream_tbDpT10_ENKUlT_T0_E_clISt17integral_constantIbLb1EES18_EEDaS13_S14_EUlS13_E_NS1_11comp_targetILNS1_3genE2ELNS1_11target_archE906ELNS1_3gpuE6ELNS1_3repE0EEENS1_30default_config_static_selectorELNS0_4arch9wavefront6targetE0EEEvT1_: ; @_ZN7rocprim17ROCPRIM_400000_NS6detail17trampoline_kernelINS0_14default_configENS1_25partition_config_selectorILNS1_17partition_subalgoE6EyNS0_10empty_typeEbEEZZNS1_14partition_implILS5_6ELb0ES3_mN6thrust23THRUST_200600_302600_NS6detail15normal_iteratorINSA_10device_ptrIyEEEEPS6_SG_NS0_5tupleIJSF_S6_EEENSH_IJSG_SG_EEES6_PlJNSB_9not_fun_tI7is_evenIyEEEEEE10hipError_tPvRmT3_T4_T5_T6_T7_T9_mT8_P12ihipStream_tbDpT10_ENKUlT_T0_E_clISt17integral_constantIbLb1EES18_EEDaS13_S14_EUlS13_E_NS1_11comp_targetILNS1_3genE2ELNS1_11target_archE906ELNS1_3gpuE6ELNS1_3repE0EEENS1_30default_config_static_selectorELNS0_4arch9wavefront6targetE0EEEvT1_
; %bb.0:
	.section	.rodata,"a",@progbits
	.p2align	6, 0x0
	.amdhsa_kernel _ZN7rocprim17ROCPRIM_400000_NS6detail17trampoline_kernelINS0_14default_configENS1_25partition_config_selectorILNS1_17partition_subalgoE6EyNS0_10empty_typeEbEEZZNS1_14partition_implILS5_6ELb0ES3_mN6thrust23THRUST_200600_302600_NS6detail15normal_iteratorINSA_10device_ptrIyEEEEPS6_SG_NS0_5tupleIJSF_S6_EEENSH_IJSG_SG_EEES6_PlJNSB_9not_fun_tI7is_evenIyEEEEEE10hipError_tPvRmT3_T4_T5_T6_T7_T9_mT8_P12ihipStream_tbDpT10_ENKUlT_T0_E_clISt17integral_constantIbLb1EES18_EEDaS13_S14_EUlS13_E_NS1_11comp_targetILNS1_3genE2ELNS1_11target_archE906ELNS1_3gpuE6ELNS1_3repE0EEENS1_30default_config_static_selectorELNS0_4arch9wavefront6targetE0EEEvT1_
		.amdhsa_group_segment_fixed_size 0
		.amdhsa_private_segment_fixed_size 0
		.amdhsa_kernarg_size 128
		.amdhsa_user_sgpr_count 2
		.amdhsa_user_sgpr_dispatch_ptr 0
		.amdhsa_user_sgpr_queue_ptr 0
		.amdhsa_user_sgpr_kernarg_segment_ptr 1
		.amdhsa_user_sgpr_dispatch_id 0
		.amdhsa_user_sgpr_private_segment_size 0
		.amdhsa_wavefront_size32 1
		.amdhsa_uses_dynamic_stack 0
		.amdhsa_enable_private_segment 0
		.amdhsa_system_sgpr_workgroup_id_x 1
		.amdhsa_system_sgpr_workgroup_id_y 0
		.amdhsa_system_sgpr_workgroup_id_z 0
		.amdhsa_system_sgpr_workgroup_info 0
		.amdhsa_system_vgpr_workitem_id 0
		.amdhsa_next_free_vgpr 1
		.amdhsa_next_free_sgpr 1
		.amdhsa_reserve_vcc 0
		.amdhsa_float_round_mode_32 0
		.amdhsa_float_round_mode_16_64 0
		.amdhsa_float_denorm_mode_32 3
		.amdhsa_float_denorm_mode_16_64 3
		.amdhsa_fp16_overflow 0
		.amdhsa_workgroup_processor_mode 1
		.amdhsa_memory_ordered 1
		.amdhsa_forward_progress 1
		.amdhsa_inst_pref_size 0
		.amdhsa_round_robin_scheduling 0
		.amdhsa_exception_fp_ieee_invalid_op 0
		.amdhsa_exception_fp_denorm_src 0
		.amdhsa_exception_fp_ieee_div_zero 0
		.amdhsa_exception_fp_ieee_overflow 0
		.amdhsa_exception_fp_ieee_underflow 0
		.amdhsa_exception_fp_ieee_inexact 0
		.amdhsa_exception_int_div_zero 0
	.end_amdhsa_kernel
	.section	.text._ZN7rocprim17ROCPRIM_400000_NS6detail17trampoline_kernelINS0_14default_configENS1_25partition_config_selectorILNS1_17partition_subalgoE6EyNS0_10empty_typeEbEEZZNS1_14partition_implILS5_6ELb0ES3_mN6thrust23THRUST_200600_302600_NS6detail15normal_iteratorINSA_10device_ptrIyEEEEPS6_SG_NS0_5tupleIJSF_S6_EEENSH_IJSG_SG_EEES6_PlJNSB_9not_fun_tI7is_evenIyEEEEEE10hipError_tPvRmT3_T4_T5_T6_T7_T9_mT8_P12ihipStream_tbDpT10_ENKUlT_T0_E_clISt17integral_constantIbLb1EES18_EEDaS13_S14_EUlS13_E_NS1_11comp_targetILNS1_3genE2ELNS1_11target_archE906ELNS1_3gpuE6ELNS1_3repE0EEENS1_30default_config_static_selectorELNS0_4arch9wavefront6targetE0EEEvT1_,"axG",@progbits,_ZN7rocprim17ROCPRIM_400000_NS6detail17trampoline_kernelINS0_14default_configENS1_25partition_config_selectorILNS1_17partition_subalgoE6EyNS0_10empty_typeEbEEZZNS1_14partition_implILS5_6ELb0ES3_mN6thrust23THRUST_200600_302600_NS6detail15normal_iteratorINSA_10device_ptrIyEEEEPS6_SG_NS0_5tupleIJSF_S6_EEENSH_IJSG_SG_EEES6_PlJNSB_9not_fun_tI7is_evenIyEEEEEE10hipError_tPvRmT3_T4_T5_T6_T7_T9_mT8_P12ihipStream_tbDpT10_ENKUlT_T0_E_clISt17integral_constantIbLb1EES18_EEDaS13_S14_EUlS13_E_NS1_11comp_targetILNS1_3genE2ELNS1_11target_archE906ELNS1_3gpuE6ELNS1_3repE0EEENS1_30default_config_static_selectorELNS0_4arch9wavefront6targetE0EEEvT1_,comdat
.Lfunc_end609:
	.size	_ZN7rocprim17ROCPRIM_400000_NS6detail17trampoline_kernelINS0_14default_configENS1_25partition_config_selectorILNS1_17partition_subalgoE6EyNS0_10empty_typeEbEEZZNS1_14partition_implILS5_6ELb0ES3_mN6thrust23THRUST_200600_302600_NS6detail15normal_iteratorINSA_10device_ptrIyEEEEPS6_SG_NS0_5tupleIJSF_S6_EEENSH_IJSG_SG_EEES6_PlJNSB_9not_fun_tI7is_evenIyEEEEEE10hipError_tPvRmT3_T4_T5_T6_T7_T9_mT8_P12ihipStream_tbDpT10_ENKUlT_T0_E_clISt17integral_constantIbLb1EES18_EEDaS13_S14_EUlS13_E_NS1_11comp_targetILNS1_3genE2ELNS1_11target_archE906ELNS1_3gpuE6ELNS1_3repE0EEENS1_30default_config_static_selectorELNS0_4arch9wavefront6targetE0EEEvT1_, .Lfunc_end609-_ZN7rocprim17ROCPRIM_400000_NS6detail17trampoline_kernelINS0_14default_configENS1_25partition_config_selectorILNS1_17partition_subalgoE6EyNS0_10empty_typeEbEEZZNS1_14partition_implILS5_6ELb0ES3_mN6thrust23THRUST_200600_302600_NS6detail15normal_iteratorINSA_10device_ptrIyEEEEPS6_SG_NS0_5tupleIJSF_S6_EEENSH_IJSG_SG_EEES6_PlJNSB_9not_fun_tI7is_evenIyEEEEEE10hipError_tPvRmT3_T4_T5_T6_T7_T9_mT8_P12ihipStream_tbDpT10_ENKUlT_T0_E_clISt17integral_constantIbLb1EES18_EEDaS13_S14_EUlS13_E_NS1_11comp_targetILNS1_3genE2ELNS1_11target_archE906ELNS1_3gpuE6ELNS1_3repE0EEENS1_30default_config_static_selectorELNS0_4arch9wavefront6targetE0EEEvT1_
                                        ; -- End function
	.set _ZN7rocprim17ROCPRIM_400000_NS6detail17trampoline_kernelINS0_14default_configENS1_25partition_config_selectorILNS1_17partition_subalgoE6EyNS0_10empty_typeEbEEZZNS1_14partition_implILS5_6ELb0ES3_mN6thrust23THRUST_200600_302600_NS6detail15normal_iteratorINSA_10device_ptrIyEEEEPS6_SG_NS0_5tupleIJSF_S6_EEENSH_IJSG_SG_EEES6_PlJNSB_9not_fun_tI7is_evenIyEEEEEE10hipError_tPvRmT3_T4_T5_T6_T7_T9_mT8_P12ihipStream_tbDpT10_ENKUlT_T0_E_clISt17integral_constantIbLb1EES18_EEDaS13_S14_EUlS13_E_NS1_11comp_targetILNS1_3genE2ELNS1_11target_archE906ELNS1_3gpuE6ELNS1_3repE0EEENS1_30default_config_static_selectorELNS0_4arch9wavefront6targetE0EEEvT1_.num_vgpr, 0
	.set _ZN7rocprim17ROCPRIM_400000_NS6detail17trampoline_kernelINS0_14default_configENS1_25partition_config_selectorILNS1_17partition_subalgoE6EyNS0_10empty_typeEbEEZZNS1_14partition_implILS5_6ELb0ES3_mN6thrust23THRUST_200600_302600_NS6detail15normal_iteratorINSA_10device_ptrIyEEEEPS6_SG_NS0_5tupleIJSF_S6_EEENSH_IJSG_SG_EEES6_PlJNSB_9not_fun_tI7is_evenIyEEEEEE10hipError_tPvRmT3_T4_T5_T6_T7_T9_mT8_P12ihipStream_tbDpT10_ENKUlT_T0_E_clISt17integral_constantIbLb1EES18_EEDaS13_S14_EUlS13_E_NS1_11comp_targetILNS1_3genE2ELNS1_11target_archE906ELNS1_3gpuE6ELNS1_3repE0EEENS1_30default_config_static_selectorELNS0_4arch9wavefront6targetE0EEEvT1_.num_agpr, 0
	.set _ZN7rocprim17ROCPRIM_400000_NS6detail17trampoline_kernelINS0_14default_configENS1_25partition_config_selectorILNS1_17partition_subalgoE6EyNS0_10empty_typeEbEEZZNS1_14partition_implILS5_6ELb0ES3_mN6thrust23THRUST_200600_302600_NS6detail15normal_iteratorINSA_10device_ptrIyEEEEPS6_SG_NS0_5tupleIJSF_S6_EEENSH_IJSG_SG_EEES6_PlJNSB_9not_fun_tI7is_evenIyEEEEEE10hipError_tPvRmT3_T4_T5_T6_T7_T9_mT8_P12ihipStream_tbDpT10_ENKUlT_T0_E_clISt17integral_constantIbLb1EES18_EEDaS13_S14_EUlS13_E_NS1_11comp_targetILNS1_3genE2ELNS1_11target_archE906ELNS1_3gpuE6ELNS1_3repE0EEENS1_30default_config_static_selectorELNS0_4arch9wavefront6targetE0EEEvT1_.numbered_sgpr, 0
	.set _ZN7rocprim17ROCPRIM_400000_NS6detail17trampoline_kernelINS0_14default_configENS1_25partition_config_selectorILNS1_17partition_subalgoE6EyNS0_10empty_typeEbEEZZNS1_14partition_implILS5_6ELb0ES3_mN6thrust23THRUST_200600_302600_NS6detail15normal_iteratorINSA_10device_ptrIyEEEEPS6_SG_NS0_5tupleIJSF_S6_EEENSH_IJSG_SG_EEES6_PlJNSB_9not_fun_tI7is_evenIyEEEEEE10hipError_tPvRmT3_T4_T5_T6_T7_T9_mT8_P12ihipStream_tbDpT10_ENKUlT_T0_E_clISt17integral_constantIbLb1EES18_EEDaS13_S14_EUlS13_E_NS1_11comp_targetILNS1_3genE2ELNS1_11target_archE906ELNS1_3gpuE6ELNS1_3repE0EEENS1_30default_config_static_selectorELNS0_4arch9wavefront6targetE0EEEvT1_.num_named_barrier, 0
	.set _ZN7rocprim17ROCPRIM_400000_NS6detail17trampoline_kernelINS0_14default_configENS1_25partition_config_selectorILNS1_17partition_subalgoE6EyNS0_10empty_typeEbEEZZNS1_14partition_implILS5_6ELb0ES3_mN6thrust23THRUST_200600_302600_NS6detail15normal_iteratorINSA_10device_ptrIyEEEEPS6_SG_NS0_5tupleIJSF_S6_EEENSH_IJSG_SG_EEES6_PlJNSB_9not_fun_tI7is_evenIyEEEEEE10hipError_tPvRmT3_T4_T5_T6_T7_T9_mT8_P12ihipStream_tbDpT10_ENKUlT_T0_E_clISt17integral_constantIbLb1EES18_EEDaS13_S14_EUlS13_E_NS1_11comp_targetILNS1_3genE2ELNS1_11target_archE906ELNS1_3gpuE6ELNS1_3repE0EEENS1_30default_config_static_selectorELNS0_4arch9wavefront6targetE0EEEvT1_.private_seg_size, 0
	.set _ZN7rocprim17ROCPRIM_400000_NS6detail17trampoline_kernelINS0_14default_configENS1_25partition_config_selectorILNS1_17partition_subalgoE6EyNS0_10empty_typeEbEEZZNS1_14partition_implILS5_6ELb0ES3_mN6thrust23THRUST_200600_302600_NS6detail15normal_iteratorINSA_10device_ptrIyEEEEPS6_SG_NS0_5tupleIJSF_S6_EEENSH_IJSG_SG_EEES6_PlJNSB_9not_fun_tI7is_evenIyEEEEEE10hipError_tPvRmT3_T4_T5_T6_T7_T9_mT8_P12ihipStream_tbDpT10_ENKUlT_T0_E_clISt17integral_constantIbLb1EES18_EEDaS13_S14_EUlS13_E_NS1_11comp_targetILNS1_3genE2ELNS1_11target_archE906ELNS1_3gpuE6ELNS1_3repE0EEENS1_30default_config_static_selectorELNS0_4arch9wavefront6targetE0EEEvT1_.uses_vcc, 0
	.set _ZN7rocprim17ROCPRIM_400000_NS6detail17trampoline_kernelINS0_14default_configENS1_25partition_config_selectorILNS1_17partition_subalgoE6EyNS0_10empty_typeEbEEZZNS1_14partition_implILS5_6ELb0ES3_mN6thrust23THRUST_200600_302600_NS6detail15normal_iteratorINSA_10device_ptrIyEEEEPS6_SG_NS0_5tupleIJSF_S6_EEENSH_IJSG_SG_EEES6_PlJNSB_9not_fun_tI7is_evenIyEEEEEE10hipError_tPvRmT3_T4_T5_T6_T7_T9_mT8_P12ihipStream_tbDpT10_ENKUlT_T0_E_clISt17integral_constantIbLb1EES18_EEDaS13_S14_EUlS13_E_NS1_11comp_targetILNS1_3genE2ELNS1_11target_archE906ELNS1_3gpuE6ELNS1_3repE0EEENS1_30default_config_static_selectorELNS0_4arch9wavefront6targetE0EEEvT1_.uses_flat_scratch, 0
	.set _ZN7rocprim17ROCPRIM_400000_NS6detail17trampoline_kernelINS0_14default_configENS1_25partition_config_selectorILNS1_17partition_subalgoE6EyNS0_10empty_typeEbEEZZNS1_14partition_implILS5_6ELb0ES3_mN6thrust23THRUST_200600_302600_NS6detail15normal_iteratorINSA_10device_ptrIyEEEEPS6_SG_NS0_5tupleIJSF_S6_EEENSH_IJSG_SG_EEES6_PlJNSB_9not_fun_tI7is_evenIyEEEEEE10hipError_tPvRmT3_T4_T5_T6_T7_T9_mT8_P12ihipStream_tbDpT10_ENKUlT_T0_E_clISt17integral_constantIbLb1EES18_EEDaS13_S14_EUlS13_E_NS1_11comp_targetILNS1_3genE2ELNS1_11target_archE906ELNS1_3gpuE6ELNS1_3repE0EEENS1_30default_config_static_selectorELNS0_4arch9wavefront6targetE0EEEvT1_.has_dyn_sized_stack, 0
	.set _ZN7rocprim17ROCPRIM_400000_NS6detail17trampoline_kernelINS0_14default_configENS1_25partition_config_selectorILNS1_17partition_subalgoE6EyNS0_10empty_typeEbEEZZNS1_14partition_implILS5_6ELb0ES3_mN6thrust23THRUST_200600_302600_NS6detail15normal_iteratorINSA_10device_ptrIyEEEEPS6_SG_NS0_5tupleIJSF_S6_EEENSH_IJSG_SG_EEES6_PlJNSB_9not_fun_tI7is_evenIyEEEEEE10hipError_tPvRmT3_T4_T5_T6_T7_T9_mT8_P12ihipStream_tbDpT10_ENKUlT_T0_E_clISt17integral_constantIbLb1EES18_EEDaS13_S14_EUlS13_E_NS1_11comp_targetILNS1_3genE2ELNS1_11target_archE906ELNS1_3gpuE6ELNS1_3repE0EEENS1_30default_config_static_selectorELNS0_4arch9wavefront6targetE0EEEvT1_.has_recursion, 0
	.set _ZN7rocprim17ROCPRIM_400000_NS6detail17trampoline_kernelINS0_14default_configENS1_25partition_config_selectorILNS1_17partition_subalgoE6EyNS0_10empty_typeEbEEZZNS1_14partition_implILS5_6ELb0ES3_mN6thrust23THRUST_200600_302600_NS6detail15normal_iteratorINSA_10device_ptrIyEEEEPS6_SG_NS0_5tupleIJSF_S6_EEENSH_IJSG_SG_EEES6_PlJNSB_9not_fun_tI7is_evenIyEEEEEE10hipError_tPvRmT3_T4_T5_T6_T7_T9_mT8_P12ihipStream_tbDpT10_ENKUlT_T0_E_clISt17integral_constantIbLb1EES18_EEDaS13_S14_EUlS13_E_NS1_11comp_targetILNS1_3genE2ELNS1_11target_archE906ELNS1_3gpuE6ELNS1_3repE0EEENS1_30default_config_static_selectorELNS0_4arch9wavefront6targetE0EEEvT1_.has_indirect_call, 0
	.section	.AMDGPU.csdata,"",@progbits
; Kernel info:
; codeLenInByte = 0
; TotalNumSgprs: 0
; NumVgprs: 0
; ScratchSize: 0
; MemoryBound: 0
; FloatMode: 240
; IeeeMode: 1
; LDSByteSize: 0 bytes/workgroup (compile time only)
; SGPRBlocks: 0
; VGPRBlocks: 0
; NumSGPRsForWavesPerEU: 1
; NumVGPRsForWavesPerEU: 1
; Occupancy: 16
; WaveLimiterHint : 0
; COMPUTE_PGM_RSRC2:SCRATCH_EN: 0
; COMPUTE_PGM_RSRC2:USER_SGPR: 2
; COMPUTE_PGM_RSRC2:TRAP_HANDLER: 0
; COMPUTE_PGM_RSRC2:TGID_X_EN: 1
; COMPUTE_PGM_RSRC2:TGID_Y_EN: 0
; COMPUTE_PGM_RSRC2:TGID_Z_EN: 0
; COMPUTE_PGM_RSRC2:TIDIG_COMP_CNT: 0
	.section	.text._ZN7rocprim17ROCPRIM_400000_NS6detail17trampoline_kernelINS0_14default_configENS1_25partition_config_selectorILNS1_17partition_subalgoE6EyNS0_10empty_typeEbEEZZNS1_14partition_implILS5_6ELb0ES3_mN6thrust23THRUST_200600_302600_NS6detail15normal_iteratorINSA_10device_ptrIyEEEEPS6_SG_NS0_5tupleIJSF_S6_EEENSH_IJSG_SG_EEES6_PlJNSB_9not_fun_tI7is_evenIyEEEEEE10hipError_tPvRmT3_T4_T5_T6_T7_T9_mT8_P12ihipStream_tbDpT10_ENKUlT_T0_E_clISt17integral_constantIbLb1EES18_EEDaS13_S14_EUlS13_E_NS1_11comp_targetILNS1_3genE10ELNS1_11target_archE1200ELNS1_3gpuE4ELNS1_3repE0EEENS1_30default_config_static_selectorELNS0_4arch9wavefront6targetE0EEEvT1_,"axG",@progbits,_ZN7rocprim17ROCPRIM_400000_NS6detail17trampoline_kernelINS0_14default_configENS1_25partition_config_selectorILNS1_17partition_subalgoE6EyNS0_10empty_typeEbEEZZNS1_14partition_implILS5_6ELb0ES3_mN6thrust23THRUST_200600_302600_NS6detail15normal_iteratorINSA_10device_ptrIyEEEEPS6_SG_NS0_5tupleIJSF_S6_EEENSH_IJSG_SG_EEES6_PlJNSB_9not_fun_tI7is_evenIyEEEEEE10hipError_tPvRmT3_T4_T5_T6_T7_T9_mT8_P12ihipStream_tbDpT10_ENKUlT_T0_E_clISt17integral_constantIbLb1EES18_EEDaS13_S14_EUlS13_E_NS1_11comp_targetILNS1_3genE10ELNS1_11target_archE1200ELNS1_3gpuE4ELNS1_3repE0EEENS1_30default_config_static_selectorELNS0_4arch9wavefront6targetE0EEEvT1_,comdat
	.protected	_ZN7rocprim17ROCPRIM_400000_NS6detail17trampoline_kernelINS0_14default_configENS1_25partition_config_selectorILNS1_17partition_subalgoE6EyNS0_10empty_typeEbEEZZNS1_14partition_implILS5_6ELb0ES3_mN6thrust23THRUST_200600_302600_NS6detail15normal_iteratorINSA_10device_ptrIyEEEEPS6_SG_NS0_5tupleIJSF_S6_EEENSH_IJSG_SG_EEES6_PlJNSB_9not_fun_tI7is_evenIyEEEEEE10hipError_tPvRmT3_T4_T5_T6_T7_T9_mT8_P12ihipStream_tbDpT10_ENKUlT_T0_E_clISt17integral_constantIbLb1EES18_EEDaS13_S14_EUlS13_E_NS1_11comp_targetILNS1_3genE10ELNS1_11target_archE1200ELNS1_3gpuE4ELNS1_3repE0EEENS1_30default_config_static_selectorELNS0_4arch9wavefront6targetE0EEEvT1_ ; -- Begin function _ZN7rocprim17ROCPRIM_400000_NS6detail17trampoline_kernelINS0_14default_configENS1_25partition_config_selectorILNS1_17partition_subalgoE6EyNS0_10empty_typeEbEEZZNS1_14partition_implILS5_6ELb0ES3_mN6thrust23THRUST_200600_302600_NS6detail15normal_iteratorINSA_10device_ptrIyEEEEPS6_SG_NS0_5tupleIJSF_S6_EEENSH_IJSG_SG_EEES6_PlJNSB_9not_fun_tI7is_evenIyEEEEEE10hipError_tPvRmT3_T4_T5_T6_T7_T9_mT8_P12ihipStream_tbDpT10_ENKUlT_T0_E_clISt17integral_constantIbLb1EES18_EEDaS13_S14_EUlS13_E_NS1_11comp_targetILNS1_3genE10ELNS1_11target_archE1200ELNS1_3gpuE4ELNS1_3repE0EEENS1_30default_config_static_selectorELNS0_4arch9wavefront6targetE0EEEvT1_
	.globl	_ZN7rocprim17ROCPRIM_400000_NS6detail17trampoline_kernelINS0_14default_configENS1_25partition_config_selectorILNS1_17partition_subalgoE6EyNS0_10empty_typeEbEEZZNS1_14partition_implILS5_6ELb0ES3_mN6thrust23THRUST_200600_302600_NS6detail15normal_iteratorINSA_10device_ptrIyEEEEPS6_SG_NS0_5tupleIJSF_S6_EEENSH_IJSG_SG_EEES6_PlJNSB_9not_fun_tI7is_evenIyEEEEEE10hipError_tPvRmT3_T4_T5_T6_T7_T9_mT8_P12ihipStream_tbDpT10_ENKUlT_T0_E_clISt17integral_constantIbLb1EES18_EEDaS13_S14_EUlS13_E_NS1_11comp_targetILNS1_3genE10ELNS1_11target_archE1200ELNS1_3gpuE4ELNS1_3repE0EEENS1_30default_config_static_selectorELNS0_4arch9wavefront6targetE0EEEvT1_
	.p2align	8
	.type	_ZN7rocprim17ROCPRIM_400000_NS6detail17trampoline_kernelINS0_14default_configENS1_25partition_config_selectorILNS1_17partition_subalgoE6EyNS0_10empty_typeEbEEZZNS1_14partition_implILS5_6ELb0ES3_mN6thrust23THRUST_200600_302600_NS6detail15normal_iteratorINSA_10device_ptrIyEEEEPS6_SG_NS0_5tupleIJSF_S6_EEENSH_IJSG_SG_EEES6_PlJNSB_9not_fun_tI7is_evenIyEEEEEE10hipError_tPvRmT3_T4_T5_T6_T7_T9_mT8_P12ihipStream_tbDpT10_ENKUlT_T0_E_clISt17integral_constantIbLb1EES18_EEDaS13_S14_EUlS13_E_NS1_11comp_targetILNS1_3genE10ELNS1_11target_archE1200ELNS1_3gpuE4ELNS1_3repE0EEENS1_30default_config_static_selectorELNS0_4arch9wavefront6targetE0EEEvT1_,@function
_ZN7rocprim17ROCPRIM_400000_NS6detail17trampoline_kernelINS0_14default_configENS1_25partition_config_selectorILNS1_17partition_subalgoE6EyNS0_10empty_typeEbEEZZNS1_14partition_implILS5_6ELb0ES3_mN6thrust23THRUST_200600_302600_NS6detail15normal_iteratorINSA_10device_ptrIyEEEEPS6_SG_NS0_5tupleIJSF_S6_EEENSH_IJSG_SG_EEES6_PlJNSB_9not_fun_tI7is_evenIyEEEEEE10hipError_tPvRmT3_T4_T5_T6_T7_T9_mT8_P12ihipStream_tbDpT10_ENKUlT_T0_E_clISt17integral_constantIbLb1EES18_EEDaS13_S14_EUlS13_E_NS1_11comp_targetILNS1_3genE10ELNS1_11target_archE1200ELNS1_3gpuE4ELNS1_3repE0EEENS1_30default_config_static_selectorELNS0_4arch9wavefront6targetE0EEEvT1_: ; @_ZN7rocprim17ROCPRIM_400000_NS6detail17trampoline_kernelINS0_14default_configENS1_25partition_config_selectorILNS1_17partition_subalgoE6EyNS0_10empty_typeEbEEZZNS1_14partition_implILS5_6ELb0ES3_mN6thrust23THRUST_200600_302600_NS6detail15normal_iteratorINSA_10device_ptrIyEEEEPS6_SG_NS0_5tupleIJSF_S6_EEENSH_IJSG_SG_EEES6_PlJNSB_9not_fun_tI7is_evenIyEEEEEE10hipError_tPvRmT3_T4_T5_T6_T7_T9_mT8_P12ihipStream_tbDpT10_ENKUlT_T0_E_clISt17integral_constantIbLb1EES18_EEDaS13_S14_EUlS13_E_NS1_11comp_targetILNS1_3genE10ELNS1_11target_archE1200ELNS1_3gpuE4ELNS1_3repE0EEENS1_30default_config_static_selectorELNS0_4arch9wavefront6targetE0EEEvT1_
; %bb.0:
	s_endpgm
	.section	.rodata,"a",@progbits
	.p2align	6, 0x0
	.amdhsa_kernel _ZN7rocprim17ROCPRIM_400000_NS6detail17trampoline_kernelINS0_14default_configENS1_25partition_config_selectorILNS1_17partition_subalgoE6EyNS0_10empty_typeEbEEZZNS1_14partition_implILS5_6ELb0ES3_mN6thrust23THRUST_200600_302600_NS6detail15normal_iteratorINSA_10device_ptrIyEEEEPS6_SG_NS0_5tupleIJSF_S6_EEENSH_IJSG_SG_EEES6_PlJNSB_9not_fun_tI7is_evenIyEEEEEE10hipError_tPvRmT3_T4_T5_T6_T7_T9_mT8_P12ihipStream_tbDpT10_ENKUlT_T0_E_clISt17integral_constantIbLb1EES18_EEDaS13_S14_EUlS13_E_NS1_11comp_targetILNS1_3genE10ELNS1_11target_archE1200ELNS1_3gpuE4ELNS1_3repE0EEENS1_30default_config_static_selectorELNS0_4arch9wavefront6targetE0EEEvT1_
		.amdhsa_group_segment_fixed_size 0
		.amdhsa_private_segment_fixed_size 0
		.amdhsa_kernarg_size 128
		.amdhsa_user_sgpr_count 2
		.amdhsa_user_sgpr_dispatch_ptr 0
		.amdhsa_user_sgpr_queue_ptr 0
		.amdhsa_user_sgpr_kernarg_segment_ptr 1
		.amdhsa_user_sgpr_dispatch_id 0
		.amdhsa_user_sgpr_private_segment_size 0
		.amdhsa_wavefront_size32 1
		.amdhsa_uses_dynamic_stack 0
		.amdhsa_enable_private_segment 0
		.amdhsa_system_sgpr_workgroup_id_x 1
		.amdhsa_system_sgpr_workgroup_id_y 0
		.amdhsa_system_sgpr_workgroup_id_z 0
		.amdhsa_system_sgpr_workgroup_info 0
		.amdhsa_system_vgpr_workitem_id 0
		.amdhsa_next_free_vgpr 1
		.amdhsa_next_free_sgpr 1
		.amdhsa_reserve_vcc 0
		.amdhsa_float_round_mode_32 0
		.amdhsa_float_round_mode_16_64 0
		.amdhsa_float_denorm_mode_32 3
		.amdhsa_float_denorm_mode_16_64 3
		.amdhsa_fp16_overflow 0
		.amdhsa_workgroup_processor_mode 1
		.amdhsa_memory_ordered 1
		.amdhsa_forward_progress 1
		.amdhsa_inst_pref_size 1
		.amdhsa_round_robin_scheduling 0
		.amdhsa_exception_fp_ieee_invalid_op 0
		.amdhsa_exception_fp_denorm_src 0
		.amdhsa_exception_fp_ieee_div_zero 0
		.amdhsa_exception_fp_ieee_overflow 0
		.amdhsa_exception_fp_ieee_underflow 0
		.amdhsa_exception_fp_ieee_inexact 0
		.amdhsa_exception_int_div_zero 0
	.end_amdhsa_kernel
	.section	.text._ZN7rocprim17ROCPRIM_400000_NS6detail17trampoline_kernelINS0_14default_configENS1_25partition_config_selectorILNS1_17partition_subalgoE6EyNS0_10empty_typeEbEEZZNS1_14partition_implILS5_6ELb0ES3_mN6thrust23THRUST_200600_302600_NS6detail15normal_iteratorINSA_10device_ptrIyEEEEPS6_SG_NS0_5tupleIJSF_S6_EEENSH_IJSG_SG_EEES6_PlJNSB_9not_fun_tI7is_evenIyEEEEEE10hipError_tPvRmT3_T4_T5_T6_T7_T9_mT8_P12ihipStream_tbDpT10_ENKUlT_T0_E_clISt17integral_constantIbLb1EES18_EEDaS13_S14_EUlS13_E_NS1_11comp_targetILNS1_3genE10ELNS1_11target_archE1200ELNS1_3gpuE4ELNS1_3repE0EEENS1_30default_config_static_selectorELNS0_4arch9wavefront6targetE0EEEvT1_,"axG",@progbits,_ZN7rocprim17ROCPRIM_400000_NS6detail17trampoline_kernelINS0_14default_configENS1_25partition_config_selectorILNS1_17partition_subalgoE6EyNS0_10empty_typeEbEEZZNS1_14partition_implILS5_6ELb0ES3_mN6thrust23THRUST_200600_302600_NS6detail15normal_iteratorINSA_10device_ptrIyEEEEPS6_SG_NS0_5tupleIJSF_S6_EEENSH_IJSG_SG_EEES6_PlJNSB_9not_fun_tI7is_evenIyEEEEEE10hipError_tPvRmT3_T4_T5_T6_T7_T9_mT8_P12ihipStream_tbDpT10_ENKUlT_T0_E_clISt17integral_constantIbLb1EES18_EEDaS13_S14_EUlS13_E_NS1_11comp_targetILNS1_3genE10ELNS1_11target_archE1200ELNS1_3gpuE4ELNS1_3repE0EEENS1_30default_config_static_selectorELNS0_4arch9wavefront6targetE0EEEvT1_,comdat
.Lfunc_end610:
	.size	_ZN7rocprim17ROCPRIM_400000_NS6detail17trampoline_kernelINS0_14default_configENS1_25partition_config_selectorILNS1_17partition_subalgoE6EyNS0_10empty_typeEbEEZZNS1_14partition_implILS5_6ELb0ES3_mN6thrust23THRUST_200600_302600_NS6detail15normal_iteratorINSA_10device_ptrIyEEEEPS6_SG_NS0_5tupleIJSF_S6_EEENSH_IJSG_SG_EEES6_PlJNSB_9not_fun_tI7is_evenIyEEEEEE10hipError_tPvRmT3_T4_T5_T6_T7_T9_mT8_P12ihipStream_tbDpT10_ENKUlT_T0_E_clISt17integral_constantIbLb1EES18_EEDaS13_S14_EUlS13_E_NS1_11comp_targetILNS1_3genE10ELNS1_11target_archE1200ELNS1_3gpuE4ELNS1_3repE0EEENS1_30default_config_static_selectorELNS0_4arch9wavefront6targetE0EEEvT1_, .Lfunc_end610-_ZN7rocprim17ROCPRIM_400000_NS6detail17trampoline_kernelINS0_14default_configENS1_25partition_config_selectorILNS1_17partition_subalgoE6EyNS0_10empty_typeEbEEZZNS1_14partition_implILS5_6ELb0ES3_mN6thrust23THRUST_200600_302600_NS6detail15normal_iteratorINSA_10device_ptrIyEEEEPS6_SG_NS0_5tupleIJSF_S6_EEENSH_IJSG_SG_EEES6_PlJNSB_9not_fun_tI7is_evenIyEEEEEE10hipError_tPvRmT3_T4_T5_T6_T7_T9_mT8_P12ihipStream_tbDpT10_ENKUlT_T0_E_clISt17integral_constantIbLb1EES18_EEDaS13_S14_EUlS13_E_NS1_11comp_targetILNS1_3genE10ELNS1_11target_archE1200ELNS1_3gpuE4ELNS1_3repE0EEENS1_30default_config_static_selectorELNS0_4arch9wavefront6targetE0EEEvT1_
                                        ; -- End function
	.set _ZN7rocprim17ROCPRIM_400000_NS6detail17trampoline_kernelINS0_14default_configENS1_25partition_config_selectorILNS1_17partition_subalgoE6EyNS0_10empty_typeEbEEZZNS1_14partition_implILS5_6ELb0ES3_mN6thrust23THRUST_200600_302600_NS6detail15normal_iteratorINSA_10device_ptrIyEEEEPS6_SG_NS0_5tupleIJSF_S6_EEENSH_IJSG_SG_EEES6_PlJNSB_9not_fun_tI7is_evenIyEEEEEE10hipError_tPvRmT3_T4_T5_T6_T7_T9_mT8_P12ihipStream_tbDpT10_ENKUlT_T0_E_clISt17integral_constantIbLb1EES18_EEDaS13_S14_EUlS13_E_NS1_11comp_targetILNS1_3genE10ELNS1_11target_archE1200ELNS1_3gpuE4ELNS1_3repE0EEENS1_30default_config_static_selectorELNS0_4arch9wavefront6targetE0EEEvT1_.num_vgpr, 0
	.set _ZN7rocprim17ROCPRIM_400000_NS6detail17trampoline_kernelINS0_14default_configENS1_25partition_config_selectorILNS1_17partition_subalgoE6EyNS0_10empty_typeEbEEZZNS1_14partition_implILS5_6ELb0ES3_mN6thrust23THRUST_200600_302600_NS6detail15normal_iteratorINSA_10device_ptrIyEEEEPS6_SG_NS0_5tupleIJSF_S6_EEENSH_IJSG_SG_EEES6_PlJNSB_9not_fun_tI7is_evenIyEEEEEE10hipError_tPvRmT3_T4_T5_T6_T7_T9_mT8_P12ihipStream_tbDpT10_ENKUlT_T0_E_clISt17integral_constantIbLb1EES18_EEDaS13_S14_EUlS13_E_NS1_11comp_targetILNS1_3genE10ELNS1_11target_archE1200ELNS1_3gpuE4ELNS1_3repE0EEENS1_30default_config_static_selectorELNS0_4arch9wavefront6targetE0EEEvT1_.num_agpr, 0
	.set _ZN7rocprim17ROCPRIM_400000_NS6detail17trampoline_kernelINS0_14default_configENS1_25partition_config_selectorILNS1_17partition_subalgoE6EyNS0_10empty_typeEbEEZZNS1_14partition_implILS5_6ELb0ES3_mN6thrust23THRUST_200600_302600_NS6detail15normal_iteratorINSA_10device_ptrIyEEEEPS6_SG_NS0_5tupleIJSF_S6_EEENSH_IJSG_SG_EEES6_PlJNSB_9not_fun_tI7is_evenIyEEEEEE10hipError_tPvRmT3_T4_T5_T6_T7_T9_mT8_P12ihipStream_tbDpT10_ENKUlT_T0_E_clISt17integral_constantIbLb1EES18_EEDaS13_S14_EUlS13_E_NS1_11comp_targetILNS1_3genE10ELNS1_11target_archE1200ELNS1_3gpuE4ELNS1_3repE0EEENS1_30default_config_static_selectorELNS0_4arch9wavefront6targetE0EEEvT1_.numbered_sgpr, 0
	.set _ZN7rocprim17ROCPRIM_400000_NS6detail17trampoline_kernelINS0_14default_configENS1_25partition_config_selectorILNS1_17partition_subalgoE6EyNS0_10empty_typeEbEEZZNS1_14partition_implILS5_6ELb0ES3_mN6thrust23THRUST_200600_302600_NS6detail15normal_iteratorINSA_10device_ptrIyEEEEPS6_SG_NS0_5tupleIJSF_S6_EEENSH_IJSG_SG_EEES6_PlJNSB_9not_fun_tI7is_evenIyEEEEEE10hipError_tPvRmT3_T4_T5_T6_T7_T9_mT8_P12ihipStream_tbDpT10_ENKUlT_T0_E_clISt17integral_constantIbLb1EES18_EEDaS13_S14_EUlS13_E_NS1_11comp_targetILNS1_3genE10ELNS1_11target_archE1200ELNS1_3gpuE4ELNS1_3repE0EEENS1_30default_config_static_selectorELNS0_4arch9wavefront6targetE0EEEvT1_.num_named_barrier, 0
	.set _ZN7rocprim17ROCPRIM_400000_NS6detail17trampoline_kernelINS0_14default_configENS1_25partition_config_selectorILNS1_17partition_subalgoE6EyNS0_10empty_typeEbEEZZNS1_14partition_implILS5_6ELb0ES3_mN6thrust23THRUST_200600_302600_NS6detail15normal_iteratorINSA_10device_ptrIyEEEEPS6_SG_NS0_5tupleIJSF_S6_EEENSH_IJSG_SG_EEES6_PlJNSB_9not_fun_tI7is_evenIyEEEEEE10hipError_tPvRmT3_T4_T5_T6_T7_T9_mT8_P12ihipStream_tbDpT10_ENKUlT_T0_E_clISt17integral_constantIbLb1EES18_EEDaS13_S14_EUlS13_E_NS1_11comp_targetILNS1_3genE10ELNS1_11target_archE1200ELNS1_3gpuE4ELNS1_3repE0EEENS1_30default_config_static_selectorELNS0_4arch9wavefront6targetE0EEEvT1_.private_seg_size, 0
	.set _ZN7rocprim17ROCPRIM_400000_NS6detail17trampoline_kernelINS0_14default_configENS1_25partition_config_selectorILNS1_17partition_subalgoE6EyNS0_10empty_typeEbEEZZNS1_14partition_implILS5_6ELb0ES3_mN6thrust23THRUST_200600_302600_NS6detail15normal_iteratorINSA_10device_ptrIyEEEEPS6_SG_NS0_5tupleIJSF_S6_EEENSH_IJSG_SG_EEES6_PlJNSB_9not_fun_tI7is_evenIyEEEEEE10hipError_tPvRmT3_T4_T5_T6_T7_T9_mT8_P12ihipStream_tbDpT10_ENKUlT_T0_E_clISt17integral_constantIbLb1EES18_EEDaS13_S14_EUlS13_E_NS1_11comp_targetILNS1_3genE10ELNS1_11target_archE1200ELNS1_3gpuE4ELNS1_3repE0EEENS1_30default_config_static_selectorELNS0_4arch9wavefront6targetE0EEEvT1_.uses_vcc, 0
	.set _ZN7rocprim17ROCPRIM_400000_NS6detail17trampoline_kernelINS0_14default_configENS1_25partition_config_selectorILNS1_17partition_subalgoE6EyNS0_10empty_typeEbEEZZNS1_14partition_implILS5_6ELb0ES3_mN6thrust23THRUST_200600_302600_NS6detail15normal_iteratorINSA_10device_ptrIyEEEEPS6_SG_NS0_5tupleIJSF_S6_EEENSH_IJSG_SG_EEES6_PlJNSB_9not_fun_tI7is_evenIyEEEEEE10hipError_tPvRmT3_T4_T5_T6_T7_T9_mT8_P12ihipStream_tbDpT10_ENKUlT_T0_E_clISt17integral_constantIbLb1EES18_EEDaS13_S14_EUlS13_E_NS1_11comp_targetILNS1_3genE10ELNS1_11target_archE1200ELNS1_3gpuE4ELNS1_3repE0EEENS1_30default_config_static_selectorELNS0_4arch9wavefront6targetE0EEEvT1_.uses_flat_scratch, 0
	.set _ZN7rocprim17ROCPRIM_400000_NS6detail17trampoline_kernelINS0_14default_configENS1_25partition_config_selectorILNS1_17partition_subalgoE6EyNS0_10empty_typeEbEEZZNS1_14partition_implILS5_6ELb0ES3_mN6thrust23THRUST_200600_302600_NS6detail15normal_iteratorINSA_10device_ptrIyEEEEPS6_SG_NS0_5tupleIJSF_S6_EEENSH_IJSG_SG_EEES6_PlJNSB_9not_fun_tI7is_evenIyEEEEEE10hipError_tPvRmT3_T4_T5_T6_T7_T9_mT8_P12ihipStream_tbDpT10_ENKUlT_T0_E_clISt17integral_constantIbLb1EES18_EEDaS13_S14_EUlS13_E_NS1_11comp_targetILNS1_3genE10ELNS1_11target_archE1200ELNS1_3gpuE4ELNS1_3repE0EEENS1_30default_config_static_selectorELNS0_4arch9wavefront6targetE0EEEvT1_.has_dyn_sized_stack, 0
	.set _ZN7rocprim17ROCPRIM_400000_NS6detail17trampoline_kernelINS0_14default_configENS1_25partition_config_selectorILNS1_17partition_subalgoE6EyNS0_10empty_typeEbEEZZNS1_14partition_implILS5_6ELb0ES3_mN6thrust23THRUST_200600_302600_NS6detail15normal_iteratorINSA_10device_ptrIyEEEEPS6_SG_NS0_5tupleIJSF_S6_EEENSH_IJSG_SG_EEES6_PlJNSB_9not_fun_tI7is_evenIyEEEEEE10hipError_tPvRmT3_T4_T5_T6_T7_T9_mT8_P12ihipStream_tbDpT10_ENKUlT_T0_E_clISt17integral_constantIbLb1EES18_EEDaS13_S14_EUlS13_E_NS1_11comp_targetILNS1_3genE10ELNS1_11target_archE1200ELNS1_3gpuE4ELNS1_3repE0EEENS1_30default_config_static_selectorELNS0_4arch9wavefront6targetE0EEEvT1_.has_recursion, 0
	.set _ZN7rocprim17ROCPRIM_400000_NS6detail17trampoline_kernelINS0_14default_configENS1_25partition_config_selectorILNS1_17partition_subalgoE6EyNS0_10empty_typeEbEEZZNS1_14partition_implILS5_6ELb0ES3_mN6thrust23THRUST_200600_302600_NS6detail15normal_iteratorINSA_10device_ptrIyEEEEPS6_SG_NS0_5tupleIJSF_S6_EEENSH_IJSG_SG_EEES6_PlJNSB_9not_fun_tI7is_evenIyEEEEEE10hipError_tPvRmT3_T4_T5_T6_T7_T9_mT8_P12ihipStream_tbDpT10_ENKUlT_T0_E_clISt17integral_constantIbLb1EES18_EEDaS13_S14_EUlS13_E_NS1_11comp_targetILNS1_3genE10ELNS1_11target_archE1200ELNS1_3gpuE4ELNS1_3repE0EEENS1_30default_config_static_selectorELNS0_4arch9wavefront6targetE0EEEvT1_.has_indirect_call, 0
	.section	.AMDGPU.csdata,"",@progbits
; Kernel info:
; codeLenInByte = 4
; TotalNumSgprs: 0
; NumVgprs: 0
; ScratchSize: 0
; MemoryBound: 0
; FloatMode: 240
; IeeeMode: 1
; LDSByteSize: 0 bytes/workgroup (compile time only)
; SGPRBlocks: 0
; VGPRBlocks: 0
; NumSGPRsForWavesPerEU: 1
; NumVGPRsForWavesPerEU: 1
; Occupancy: 16
; WaveLimiterHint : 0
; COMPUTE_PGM_RSRC2:SCRATCH_EN: 0
; COMPUTE_PGM_RSRC2:USER_SGPR: 2
; COMPUTE_PGM_RSRC2:TRAP_HANDLER: 0
; COMPUTE_PGM_RSRC2:TGID_X_EN: 1
; COMPUTE_PGM_RSRC2:TGID_Y_EN: 0
; COMPUTE_PGM_RSRC2:TGID_Z_EN: 0
; COMPUTE_PGM_RSRC2:TIDIG_COMP_CNT: 0
	.section	.text._ZN7rocprim17ROCPRIM_400000_NS6detail17trampoline_kernelINS0_14default_configENS1_25partition_config_selectorILNS1_17partition_subalgoE6EyNS0_10empty_typeEbEEZZNS1_14partition_implILS5_6ELb0ES3_mN6thrust23THRUST_200600_302600_NS6detail15normal_iteratorINSA_10device_ptrIyEEEEPS6_SG_NS0_5tupleIJSF_S6_EEENSH_IJSG_SG_EEES6_PlJNSB_9not_fun_tI7is_evenIyEEEEEE10hipError_tPvRmT3_T4_T5_T6_T7_T9_mT8_P12ihipStream_tbDpT10_ENKUlT_T0_E_clISt17integral_constantIbLb1EES18_EEDaS13_S14_EUlS13_E_NS1_11comp_targetILNS1_3genE9ELNS1_11target_archE1100ELNS1_3gpuE3ELNS1_3repE0EEENS1_30default_config_static_selectorELNS0_4arch9wavefront6targetE0EEEvT1_,"axG",@progbits,_ZN7rocprim17ROCPRIM_400000_NS6detail17trampoline_kernelINS0_14default_configENS1_25partition_config_selectorILNS1_17partition_subalgoE6EyNS0_10empty_typeEbEEZZNS1_14partition_implILS5_6ELb0ES3_mN6thrust23THRUST_200600_302600_NS6detail15normal_iteratorINSA_10device_ptrIyEEEEPS6_SG_NS0_5tupleIJSF_S6_EEENSH_IJSG_SG_EEES6_PlJNSB_9not_fun_tI7is_evenIyEEEEEE10hipError_tPvRmT3_T4_T5_T6_T7_T9_mT8_P12ihipStream_tbDpT10_ENKUlT_T0_E_clISt17integral_constantIbLb1EES18_EEDaS13_S14_EUlS13_E_NS1_11comp_targetILNS1_3genE9ELNS1_11target_archE1100ELNS1_3gpuE3ELNS1_3repE0EEENS1_30default_config_static_selectorELNS0_4arch9wavefront6targetE0EEEvT1_,comdat
	.protected	_ZN7rocprim17ROCPRIM_400000_NS6detail17trampoline_kernelINS0_14default_configENS1_25partition_config_selectorILNS1_17partition_subalgoE6EyNS0_10empty_typeEbEEZZNS1_14partition_implILS5_6ELb0ES3_mN6thrust23THRUST_200600_302600_NS6detail15normal_iteratorINSA_10device_ptrIyEEEEPS6_SG_NS0_5tupleIJSF_S6_EEENSH_IJSG_SG_EEES6_PlJNSB_9not_fun_tI7is_evenIyEEEEEE10hipError_tPvRmT3_T4_T5_T6_T7_T9_mT8_P12ihipStream_tbDpT10_ENKUlT_T0_E_clISt17integral_constantIbLb1EES18_EEDaS13_S14_EUlS13_E_NS1_11comp_targetILNS1_3genE9ELNS1_11target_archE1100ELNS1_3gpuE3ELNS1_3repE0EEENS1_30default_config_static_selectorELNS0_4arch9wavefront6targetE0EEEvT1_ ; -- Begin function _ZN7rocprim17ROCPRIM_400000_NS6detail17trampoline_kernelINS0_14default_configENS1_25partition_config_selectorILNS1_17partition_subalgoE6EyNS0_10empty_typeEbEEZZNS1_14partition_implILS5_6ELb0ES3_mN6thrust23THRUST_200600_302600_NS6detail15normal_iteratorINSA_10device_ptrIyEEEEPS6_SG_NS0_5tupleIJSF_S6_EEENSH_IJSG_SG_EEES6_PlJNSB_9not_fun_tI7is_evenIyEEEEEE10hipError_tPvRmT3_T4_T5_T6_T7_T9_mT8_P12ihipStream_tbDpT10_ENKUlT_T0_E_clISt17integral_constantIbLb1EES18_EEDaS13_S14_EUlS13_E_NS1_11comp_targetILNS1_3genE9ELNS1_11target_archE1100ELNS1_3gpuE3ELNS1_3repE0EEENS1_30default_config_static_selectorELNS0_4arch9wavefront6targetE0EEEvT1_
	.globl	_ZN7rocprim17ROCPRIM_400000_NS6detail17trampoline_kernelINS0_14default_configENS1_25partition_config_selectorILNS1_17partition_subalgoE6EyNS0_10empty_typeEbEEZZNS1_14partition_implILS5_6ELb0ES3_mN6thrust23THRUST_200600_302600_NS6detail15normal_iteratorINSA_10device_ptrIyEEEEPS6_SG_NS0_5tupleIJSF_S6_EEENSH_IJSG_SG_EEES6_PlJNSB_9not_fun_tI7is_evenIyEEEEEE10hipError_tPvRmT3_T4_T5_T6_T7_T9_mT8_P12ihipStream_tbDpT10_ENKUlT_T0_E_clISt17integral_constantIbLb1EES18_EEDaS13_S14_EUlS13_E_NS1_11comp_targetILNS1_3genE9ELNS1_11target_archE1100ELNS1_3gpuE3ELNS1_3repE0EEENS1_30default_config_static_selectorELNS0_4arch9wavefront6targetE0EEEvT1_
	.p2align	8
	.type	_ZN7rocprim17ROCPRIM_400000_NS6detail17trampoline_kernelINS0_14default_configENS1_25partition_config_selectorILNS1_17partition_subalgoE6EyNS0_10empty_typeEbEEZZNS1_14partition_implILS5_6ELb0ES3_mN6thrust23THRUST_200600_302600_NS6detail15normal_iteratorINSA_10device_ptrIyEEEEPS6_SG_NS0_5tupleIJSF_S6_EEENSH_IJSG_SG_EEES6_PlJNSB_9not_fun_tI7is_evenIyEEEEEE10hipError_tPvRmT3_T4_T5_T6_T7_T9_mT8_P12ihipStream_tbDpT10_ENKUlT_T0_E_clISt17integral_constantIbLb1EES18_EEDaS13_S14_EUlS13_E_NS1_11comp_targetILNS1_3genE9ELNS1_11target_archE1100ELNS1_3gpuE3ELNS1_3repE0EEENS1_30default_config_static_selectorELNS0_4arch9wavefront6targetE0EEEvT1_,@function
_ZN7rocprim17ROCPRIM_400000_NS6detail17trampoline_kernelINS0_14default_configENS1_25partition_config_selectorILNS1_17partition_subalgoE6EyNS0_10empty_typeEbEEZZNS1_14partition_implILS5_6ELb0ES3_mN6thrust23THRUST_200600_302600_NS6detail15normal_iteratorINSA_10device_ptrIyEEEEPS6_SG_NS0_5tupleIJSF_S6_EEENSH_IJSG_SG_EEES6_PlJNSB_9not_fun_tI7is_evenIyEEEEEE10hipError_tPvRmT3_T4_T5_T6_T7_T9_mT8_P12ihipStream_tbDpT10_ENKUlT_T0_E_clISt17integral_constantIbLb1EES18_EEDaS13_S14_EUlS13_E_NS1_11comp_targetILNS1_3genE9ELNS1_11target_archE1100ELNS1_3gpuE3ELNS1_3repE0EEENS1_30default_config_static_selectorELNS0_4arch9wavefront6targetE0EEEvT1_: ; @_ZN7rocprim17ROCPRIM_400000_NS6detail17trampoline_kernelINS0_14default_configENS1_25partition_config_selectorILNS1_17partition_subalgoE6EyNS0_10empty_typeEbEEZZNS1_14partition_implILS5_6ELb0ES3_mN6thrust23THRUST_200600_302600_NS6detail15normal_iteratorINSA_10device_ptrIyEEEEPS6_SG_NS0_5tupleIJSF_S6_EEENSH_IJSG_SG_EEES6_PlJNSB_9not_fun_tI7is_evenIyEEEEEE10hipError_tPvRmT3_T4_T5_T6_T7_T9_mT8_P12ihipStream_tbDpT10_ENKUlT_T0_E_clISt17integral_constantIbLb1EES18_EEDaS13_S14_EUlS13_E_NS1_11comp_targetILNS1_3genE9ELNS1_11target_archE1100ELNS1_3gpuE3ELNS1_3repE0EEENS1_30default_config_static_selectorELNS0_4arch9wavefront6targetE0EEEvT1_
; %bb.0:
	.section	.rodata,"a",@progbits
	.p2align	6, 0x0
	.amdhsa_kernel _ZN7rocprim17ROCPRIM_400000_NS6detail17trampoline_kernelINS0_14default_configENS1_25partition_config_selectorILNS1_17partition_subalgoE6EyNS0_10empty_typeEbEEZZNS1_14partition_implILS5_6ELb0ES3_mN6thrust23THRUST_200600_302600_NS6detail15normal_iteratorINSA_10device_ptrIyEEEEPS6_SG_NS0_5tupleIJSF_S6_EEENSH_IJSG_SG_EEES6_PlJNSB_9not_fun_tI7is_evenIyEEEEEE10hipError_tPvRmT3_T4_T5_T6_T7_T9_mT8_P12ihipStream_tbDpT10_ENKUlT_T0_E_clISt17integral_constantIbLb1EES18_EEDaS13_S14_EUlS13_E_NS1_11comp_targetILNS1_3genE9ELNS1_11target_archE1100ELNS1_3gpuE3ELNS1_3repE0EEENS1_30default_config_static_selectorELNS0_4arch9wavefront6targetE0EEEvT1_
		.amdhsa_group_segment_fixed_size 0
		.amdhsa_private_segment_fixed_size 0
		.amdhsa_kernarg_size 128
		.amdhsa_user_sgpr_count 2
		.amdhsa_user_sgpr_dispatch_ptr 0
		.amdhsa_user_sgpr_queue_ptr 0
		.amdhsa_user_sgpr_kernarg_segment_ptr 1
		.amdhsa_user_sgpr_dispatch_id 0
		.amdhsa_user_sgpr_private_segment_size 0
		.amdhsa_wavefront_size32 1
		.amdhsa_uses_dynamic_stack 0
		.amdhsa_enable_private_segment 0
		.amdhsa_system_sgpr_workgroup_id_x 1
		.amdhsa_system_sgpr_workgroup_id_y 0
		.amdhsa_system_sgpr_workgroup_id_z 0
		.amdhsa_system_sgpr_workgroup_info 0
		.amdhsa_system_vgpr_workitem_id 0
		.amdhsa_next_free_vgpr 1
		.amdhsa_next_free_sgpr 1
		.amdhsa_reserve_vcc 0
		.amdhsa_float_round_mode_32 0
		.amdhsa_float_round_mode_16_64 0
		.amdhsa_float_denorm_mode_32 3
		.amdhsa_float_denorm_mode_16_64 3
		.amdhsa_fp16_overflow 0
		.amdhsa_workgroup_processor_mode 1
		.amdhsa_memory_ordered 1
		.amdhsa_forward_progress 1
		.amdhsa_inst_pref_size 0
		.amdhsa_round_robin_scheduling 0
		.amdhsa_exception_fp_ieee_invalid_op 0
		.amdhsa_exception_fp_denorm_src 0
		.amdhsa_exception_fp_ieee_div_zero 0
		.amdhsa_exception_fp_ieee_overflow 0
		.amdhsa_exception_fp_ieee_underflow 0
		.amdhsa_exception_fp_ieee_inexact 0
		.amdhsa_exception_int_div_zero 0
	.end_amdhsa_kernel
	.section	.text._ZN7rocprim17ROCPRIM_400000_NS6detail17trampoline_kernelINS0_14default_configENS1_25partition_config_selectorILNS1_17partition_subalgoE6EyNS0_10empty_typeEbEEZZNS1_14partition_implILS5_6ELb0ES3_mN6thrust23THRUST_200600_302600_NS6detail15normal_iteratorINSA_10device_ptrIyEEEEPS6_SG_NS0_5tupleIJSF_S6_EEENSH_IJSG_SG_EEES6_PlJNSB_9not_fun_tI7is_evenIyEEEEEE10hipError_tPvRmT3_T4_T5_T6_T7_T9_mT8_P12ihipStream_tbDpT10_ENKUlT_T0_E_clISt17integral_constantIbLb1EES18_EEDaS13_S14_EUlS13_E_NS1_11comp_targetILNS1_3genE9ELNS1_11target_archE1100ELNS1_3gpuE3ELNS1_3repE0EEENS1_30default_config_static_selectorELNS0_4arch9wavefront6targetE0EEEvT1_,"axG",@progbits,_ZN7rocprim17ROCPRIM_400000_NS6detail17trampoline_kernelINS0_14default_configENS1_25partition_config_selectorILNS1_17partition_subalgoE6EyNS0_10empty_typeEbEEZZNS1_14partition_implILS5_6ELb0ES3_mN6thrust23THRUST_200600_302600_NS6detail15normal_iteratorINSA_10device_ptrIyEEEEPS6_SG_NS0_5tupleIJSF_S6_EEENSH_IJSG_SG_EEES6_PlJNSB_9not_fun_tI7is_evenIyEEEEEE10hipError_tPvRmT3_T4_T5_T6_T7_T9_mT8_P12ihipStream_tbDpT10_ENKUlT_T0_E_clISt17integral_constantIbLb1EES18_EEDaS13_S14_EUlS13_E_NS1_11comp_targetILNS1_3genE9ELNS1_11target_archE1100ELNS1_3gpuE3ELNS1_3repE0EEENS1_30default_config_static_selectorELNS0_4arch9wavefront6targetE0EEEvT1_,comdat
.Lfunc_end611:
	.size	_ZN7rocprim17ROCPRIM_400000_NS6detail17trampoline_kernelINS0_14default_configENS1_25partition_config_selectorILNS1_17partition_subalgoE6EyNS0_10empty_typeEbEEZZNS1_14partition_implILS5_6ELb0ES3_mN6thrust23THRUST_200600_302600_NS6detail15normal_iteratorINSA_10device_ptrIyEEEEPS6_SG_NS0_5tupleIJSF_S6_EEENSH_IJSG_SG_EEES6_PlJNSB_9not_fun_tI7is_evenIyEEEEEE10hipError_tPvRmT3_T4_T5_T6_T7_T9_mT8_P12ihipStream_tbDpT10_ENKUlT_T0_E_clISt17integral_constantIbLb1EES18_EEDaS13_S14_EUlS13_E_NS1_11comp_targetILNS1_3genE9ELNS1_11target_archE1100ELNS1_3gpuE3ELNS1_3repE0EEENS1_30default_config_static_selectorELNS0_4arch9wavefront6targetE0EEEvT1_, .Lfunc_end611-_ZN7rocprim17ROCPRIM_400000_NS6detail17trampoline_kernelINS0_14default_configENS1_25partition_config_selectorILNS1_17partition_subalgoE6EyNS0_10empty_typeEbEEZZNS1_14partition_implILS5_6ELb0ES3_mN6thrust23THRUST_200600_302600_NS6detail15normal_iteratorINSA_10device_ptrIyEEEEPS6_SG_NS0_5tupleIJSF_S6_EEENSH_IJSG_SG_EEES6_PlJNSB_9not_fun_tI7is_evenIyEEEEEE10hipError_tPvRmT3_T4_T5_T6_T7_T9_mT8_P12ihipStream_tbDpT10_ENKUlT_T0_E_clISt17integral_constantIbLb1EES18_EEDaS13_S14_EUlS13_E_NS1_11comp_targetILNS1_3genE9ELNS1_11target_archE1100ELNS1_3gpuE3ELNS1_3repE0EEENS1_30default_config_static_selectorELNS0_4arch9wavefront6targetE0EEEvT1_
                                        ; -- End function
	.set _ZN7rocprim17ROCPRIM_400000_NS6detail17trampoline_kernelINS0_14default_configENS1_25partition_config_selectorILNS1_17partition_subalgoE6EyNS0_10empty_typeEbEEZZNS1_14partition_implILS5_6ELb0ES3_mN6thrust23THRUST_200600_302600_NS6detail15normal_iteratorINSA_10device_ptrIyEEEEPS6_SG_NS0_5tupleIJSF_S6_EEENSH_IJSG_SG_EEES6_PlJNSB_9not_fun_tI7is_evenIyEEEEEE10hipError_tPvRmT3_T4_T5_T6_T7_T9_mT8_P12ihipStream_tbDpT10_ENKUlT_T0_E_clISt17integral_constantIbLb1EES18_EEDaS13_S14_EUlS13_E_NS1_11comp_targetILNS1_3genE9ELNS1_11target_archE1100ELNS1_3gpuE3ELNS1_3repE0EEENS1_30default_config_static_selectorELNS0_4arch9wavefront6targetE0EEEvT1_.num_vgpr, 0
	.set _ZN7rocprim17ROCPRIM_400000_NS6detail17trampoline_kernelINS0_14default_configENS1_25partition_config_selectorILNS1_17partition_subalgoE6EyNS0_10empty_typeEbEEZZNS1_14partition_implILS5_6ELb0ES3_mN6thrust23THRUST_200600_302600_NS6detail15normal_iteratorINSA_10device_ptrIyEEEEPS6_SG_NS0_5tupleIJSF_S6_EEENSH_IJSG_SG_EEES6_PlJNSB_9not_fun_tI7is_evenIyEEEEEE10hipError_tPvRmT3_T4_T5_T6_T7_T9_mT8_P12ihipStream_tbDpT10_ENKUlT_T0_E_clISt17integral_constantIbLb1EES18_EEDaS13_S14_EUlS13_E_NS1_11comp_targetILNS1_3genE9ELNS1_11target_archE1100ELNS1_3gpuE3ELNS1_3repE0EEENS1_30default_config_static_selectorELNS0_4arch9wavefront6targetE0EEEvT1_.num_agpr, 0
	.set _ZN7rocprim17ROCPRIM_400000_NS6detail17trampoline_kernelINS0_14default_configENS1_25partition_config_selectorILNS1_17partition_subalgoE6EyNS0_10empty_typeEbEEZZNS1_14partition_implILS5_6ELb0ES3_mN6thrust23THRUST_200600_302600_NS6detail15normal_iteratorINSA_10device_ptrIyEEEEPS6_SG_NS0_5tupleIJSF_S6_EEENSH_IJSG_SG_EEES6_PlJNSB_9not_fun_tI7is_evenIyEEEEEE10hipError_tPvRmT3_T4_T5_T6_T7_T9_mT8_P12ihipStream_tbDpT10_ENKUlT_T0_E_clISt17integral_constantIbLb1EES18_EEDaS13_S14_EUlS13_E_NS1_11comp_targetILNS1_3genE9ELNS1_11target_archE1100ELNS1_3gpuE3ELNS1_3repE0EEENS1_30default_config_static_selectorELNS0_4arch9wavefront6targetE0EEEvT1_.numbered_sgpr, 0
	.set _ZN7rocprim17ROCPRIM_400000_NS6detail17trampoline_kernelINS0_14default_configENS1_25partition_config_selectorILNS1_17partition_subalgoE6EyNS0_10empty_typeEbEEZZNS1_14partition_implILS5_6ELb0ES3_mN6thrust23THRUST_200600_302600_NS6detail15normal_iteratorINSA_10device_ptrIyEEEEPS6_SG_NS0_5tupleIJSF_S6_EEENSH_IJSG_SG_EEES6_PlJNSB_9not_fun_tI7is_evenIyEEEEEE10hipError_tPvRmT3_T4_T5_T6_T7_T9_mT8_P12ihipStream_tbDpT10_ENKUlT_T0_E_clISt17integral_constantIbLb1EES18_EEDaS13_S14_EUlS13_E_NS1_11comp_targetILNS1_3genE9ELNS1_11target_archE1100ELNS1_3gpuE3ELNS1_3repE0EEENS1_30default_config_static_selectorELNS0_4arch9wavefront6targetE0EEEvT1_.num_named_barrier, 0
	.set _ZN7rocprim17ROCPRIM_400000_NS6detail17trampoline_kernelINS0_14default_configENS1_25partition_config_selectorILNS1_17partition_subalgoE6EyNS0_10empty_typeEbEEZZNS1_14partition_implILS5_6ELb0ES3_mN6thrust23THRUST_200600_302600_NS6detail15normal_iteratorINSA_10device_ptrIyEEEEPS6_SG_NS0_5tupleIJSF_S6_EEENSH_IJSG_SG_EEES6_PlJNSB_9not_fun_tI7is_evenIyEEEEEE10hipError_tPvRmT3_T4_T5_T6_T7_T9_mT8_P12ihipStream_tbDpT10_ENKUlT_T0_E_clISt17integral_constantIbLb1EES18_EEDaS13_S14_EUlS13_E_NS1_11comp_targetILNS1_3genE9ELNS1_11target_archE1100ELNS1_3gpuE3ELNS1_3repE0EEENS1_30default_config_static_selectorELNS0_4arch9wavefront6targetE0EEEvT1_.private_seg_size, 0
	.set _ZN7rocprim17ROCPRIM_400000_NS6detail17trampoline_kernelINS0_14default_configENS1_25partition_config_selectorILNS1_17partition_subalgoE6EyNS0_10empty_typeEbEEZZNS1_14partition_implILS5_6ELb0ES3_mN6thrust23THRUST_200600_302600_NS6detail15normal_iteratorINSA_10device_ptrIyEEEEPS6_SG_NS0_5tupleIJSF_S6_EEENSH_IJSG_SG_EEES6_PlJNSB_9not_fun_tI7is_evenIyEEEEEE10hipError_tPvRmT3_T4_T5_T6_T7_T9_mT8_P12ihipStream_tbDpT10_ENKUlT_T0_E_clISt17integral_constantIbLb1EES18_EEDaS13_S14_EUlS13_E_NS1_11comp_targetILNS1_3genE9ELNS1_11target_archE1100ELNS1_3gpuE3ELNS1_3repE0EEENS1_30default_config_static_selectorELNS0_4arch9wavefront6targetE0EEEvT1_.uses_vcc, 0
	.set _ZN7rocprim17ROCPRIM_400000_NS6detail17trampoline_kernelINS0_14default_configENS1_25partition_config_selectorILNS1_17partition_subalgoE6EyNS0_10empty_typeEbEEZZNS1_14partition_implILS5_6ELb0ES3_mN6thrust23THRUST_200600_302600_NS6detail15normal_iteratorINSA_10device_ptrIyEEEEPS6_SG_NS0_5tupleIJSF_S6_EEENSH_IJSG_SG_EEES6_PlJNSB_9not_fun_tI7is_evenIyEEEEEE10hipError_tPvRmT3_T4_T5_T6_T7_T9_mT8_P12ihipStream_tbDpT10_ENKUlT_T0_E_clISt17integral_constantIbLb1EES18_EEDaS13_S14_EUlS13_E_NS1_11comp_targetILNS1_3genE9ELNS1_11target_archE1100ELNS1_3gpuE3ELNS1_3repE0EEENS1_30default_config_static_selectorELNS0_4arch9wavefront6targetE0EEEvT1_.uses_flat_scratch, 0
	.set _ZN7rocprim17ROCPRIM_400000_NS6detail17trampoline_kernelINS0_14default_configENS1_25partition_config_selectorILNS1_17partition_subalgoE6EyNS0_10empty_typeEbEEZZNS1_14partition_implILS5_6ELb0ES3_mN6thrust23THRUST_200600_302600_NS6detail15normal_iteratorINSA_10device_ptrIyEEEEPS6_SG_NS0_5tupleIJSF_S6_EEENSH_IJSG_SG_EEES6_PlJNSB_9not_fun_tI7is_evenIyEEEEEE10hipError_tPvRmT3_T4_T5_T6_T7_T9_mT8_P12ihipStream_tbDpT10_ENKUlT_T0_E_clISt17integral_constantIbLb1EES18_EEDaS13_S14_EUlS13_E_NS1_11comp_targetILNS1_3genE9ELNS1_11target_archE1100ELNS1_3gpuE3ELNS1_3repE0EEENS1_30default_config_static_selectorELNS0_4arch9wavefront6targetE0EEEvT1_.has_dyn_sized_stack, 0
	.set _ZN7rocprim17ROCPRIM_400000_NS6detail17trampoline_kernelINS0_14default_configENS1_25partition_config_selectorILNS1_17partition_subalgoE6EyNS0_10empty_typeEbEEZZNS1_14partition_implILS5_6ELb0ES3_mN6thrust23THRUST_200600_302600_NS6detail15normal_iteratorINSA_10device_ptrIyEEEEPS6_SG_NS0_5tupleIJSF_S6_EEENSH_IJSG_SG_EEES6_PlJNSB_9not_fun_tI7is_evenIyEEEEEE10hipError_tPvRmT3_T4_T5_T6_T7_T9_mT8_P12ihipStream_tbDpT10_ENKUlT_T0_E_clISt17integral_constantIbLb1EES18_EEDaS13_S14_EUlS13_E_NS1_11comp_targetILNS1_3genE9ELNS1_11target_archE1100ELNS1_3gpuE3ELNS1_3repE0EEENS1_30default_config_static_selectorELNS0_4arch9wavefront6targetE0EEEvT1_.has_recursion, 0
	.set _ZN7rocprim17ROCPRIM_400000_NS6detail17trampoline_kernelINS0_14default_configENS1_25partition_config_selectorILNS1_17partition_subalgoE6EyNS0_10empty_typeEbEEZZNS1_14partition_implILS5_6ELb0ES3_mN6thrust23THRUST_200600_302600_NS6detail15normal_iteratorINSA_10device_ptrIyEEEEPS6_SG_NS0_5tupleIJSF_S6_EEENSH_IJSG_SG_EEES6_PlJNSB_9not_fun_tI7is_evenIyEEEEEE10hipError_tPvRmT3_T4_T5_T6_T7_T9_mT8_P12ihipStream_tbDpT10_ENKUlT_T0_E_clISt17integral_constantIbLb1EES18_EEDaS13_S14_EUlS13_E_NS1_11comp_targetILNS1_3genE9ELNS1_11target_archE1100ELNS1_3gpuE3ELNS1_3repE0EEENS1_30default_config_static_selectorELNS0_4arch9wavefront6targetE0EEEvT1_.has_indirect_call, 0
	.section	.AMDGPU.csdata,"",@progbits
; Kernel info:
; codeLenInByte = 0
; TotalNumSgprs: 0
; NumVgprs: 0
; ScratchSize: 0
; MemoryBound: 0
; FloatMode: 240
; IeeeMode: 1
; LDSByteSize: 0 bytes/workgroup (compile time only)
; SGPRBlocks: 0
; VGPRBlocks: 0
; NumSGPRsForWavesPerEU: 1
; NumVGPRsForWavesPerEU: 1
; Occupancy: 16
; WaveLimiterHint : 0
; COMPUTE_PGM_RSRC2:SCRATCH_EN: 0
; COMPUTE_PGM_RSRC2:USER_SGPR: 2
; COMPUTE_PGM_RSRC2:TRAP_HANDLER: 0
; COMPUTE_PGM_RSRC2:TGID_X_EN: 1
; COMPUTE_PGM_RSRC2:TGID_Y_EN: 0
; COMPUTE_PGM_RSRC2:TGID_Z_EN: 0
; COMPUTE_PGM_RSRC2:TIDIG_COMP_CNT: 0
	.section	.text._ZN7rocprim17ROCPRIM_400000_NS6detail17trampoline_kernelINS0_14default_configENS1_25partition_config_selectorILNS1_17partition_subalgoE6EyNS0_10empty_typeEbEEZZNS1_14partition_implILS5_6ELb0ES3_mN6thrust23THRUST_200600_302600_NS6detail15normal_iteratorINSA_10device_ptrIyEEEEPS6_SG_NS0_5tupleIJSF_S6_EEENSH_IJSG_SG_EEES6_PlJNSB_9not_fun_tI7is_evenIyEEEEEE10hipError_tPvRmT3_T4_T5_T6_T7_T9_mT8_P12ihipStream_tbDpT10_ENKUlT_T0_E_clISt17integral_constantIbLb1EES18_EEDaS13_S14_EUlS13_E_NS1_11comp_targetILNS1_3genE8ELNS1_11target_archE1030ELNS1_3gpuE2ELNS1_3repE0EEENS1_30default_config_static_selectorELNS0_4arch9wavefront6targetE0EEEvT1_,"axG",@progbits,_ZN7rocprim17ROCPRIM_400000_NS6detail17trampoline_kernelINS0_14default_configENS1_25partition_config_selectorILNS1_17partition_subalgoE6EyNS0_10empty_typeEbEEZZNS1_14partition_implILS5_6ELb0ES3_mN6thrust23THRUST_200600_302600_NS6detail15normal_iteratorINSA_10device_ptrIyEEEEPS6_SG_NS0_5tupleIJSF_S6_EEENSH_IJSG_SG_EEES6_PlJNSB_9not_fun_tI7is_evenIyEEEEEE10hipError_tPvRmT3_T4_T5_T6_T7_T9_mT8_P12ihipStream_tbDpT10_ENKUlT_T0_E_clISt17integral_constantIbLb1EES18_EEDaS13_S14_EUlS13_E_NS1_11comp_targetILNS1_3genE8ELNS1_11target_archE1030ELNS1_3gpuE2ELNS1_3repE0EEENS1_30default_config_static_selectorELNS0_4arch9wavefront6targetE0EEEvT1_,comdat
	.protected	_ZN7rocprim17ROCPRIM_400000_NS6detail17trampoline_kernelINS0_14default_configENS1_25partition_config_selectorILNS1_17partition_subalgoE6EyNS0_10empty_typeEbEEZZNS1_14partition_implILS5_6ELb0ES3_mN6thrust23THRUST_200600_302600_NS6detail15normal_iteratorINSA_10device_ptrIyEEEEPS6_SG_NS0_5tupleIJSF_S6_EEENSH_IJSG_SG_EEES6_PlJNSB_9not_fun_tI7is_evenIyEEEEEE10hipError_tPvRmT3_T4_T5_T6_T7_T9_mT8_P12ihipStream_tbDpT10_ENKUlT_T0_E_clISt17integral_constantIbLb1EES18_EEDaS13_S14_EUlS13_E_NS1_11comp_targetILNS1_3genE8ELNS1_11target_archE1030ELNS1_3gpuE2ELNS1_3repE0EEENS1_30default_config_static_selectorELNS0_4arch9wavefront6targetE0EEEvT1_ ; -- Begin function _ZN7rocprim17ROCPRIM_400000_NS6detail17trampoline_kernelINS0_14default_configENS1_25partition_config_selectorILNS1_17partition_subalgoE6EyNS0_10empty_typeEbEEZZNS1_14partition_implILS5_6ELb0ES3_mN6thrust23THRUST_200600_302600_NS6detail15normal_iteratorINSA_10device_ptrIyEEEEPS6_SG_NS0_5tupleIJSF_S6_EEENSH_IJSG_SG_EEES6_PlJNSB_9not_fun_tI7is_evenIyEEEEEE10hipError_tPvRmT3_T4_T5_T6_T7_T9_mT8_P12ihipStream_tbDpT10_ENKUlT_T0_E_clISt17integral_constantIbLb1EES18_EEDaS13_S14_EUlS13_E_NS1_11comp_targetILNS1_3genE8ELNS1_11target_archE1030ELNS1_3gpuE2ELNS1_3repE0EEENS1_30default_config_static_selectorELNS0_4arch9wavefront6targetE0EEEvT1_
	.globl	_ZN7rocprim17ROCPRIM_400000_NS6detail17trampoline_kernelINS0_14default_configENS1_25partition_config_selectorILNS1_17partition_subalgoE6EyNS0_10empty_typeEbEEZZNS1_14partition_implILS5_6ELb0ES3_mN6thrust23THRUST_200600_302600_NS6detail15normal_iteratorINSA_10device_ptrIyEEEEPS6_SG_NS0_5tupleIJSF_S6_EEENSH_IJSG_SG_EEES6_PlJNSB_9not_fun_tI7is_evenIyEEEEEE10hipError_tPvRmT3_T4_T5_T6_T7_T9_mT8_P12ihipStream_tbDpT10_ENKUlT_T0_E_clISt17integral_constantIbLb1EES18_EEDaS13_S14_EUlS13_E_NS1_11comp_targetILNS1_3genE8ELNS1_11target_archE1030ELNS1_3gpuE2ELNS1_3repE0EEENS1_30default_config_static_selectorELNS0_4arch9wavefront6targetE0EEEvT1_
	.p2align	8
	.type	_ZN7rocprim17ROCPRIM_400000_NS6detail17trampoline_kernelINS0_14default_configENS1_25partition_config_selectorILNS1_17partition_subalgoE6EyNS0_10empty_typeEbEEZZNS1_14partition_implILS5_6ELb0ES3_mN6thrust23THRUST_200600_302600_NS6detail15normal_iteratorINSA_10device_ptrIyEEEEPS6_SG_NS0_5tupleIJSF_S6_EEENSH_IJSG_SG_EEES6_PlJNSB_9not_fun_tI7is_evenIyEEEEEE10hipError_tPvRmT3_T4_T5_T6_T7_T9_mT8_P12ihipStream_tbDpT10_ENKUlT_T0_E_clISt17integral_constantIbLb1EES18_EEDaS13_S14_EUlS13_E_NS1_11comp_targetILNS1_3genE8ELNS1_11target_archE1030ELNS1_3gpuE2ELNS1_3repE0EEENS1_30default_config_static_selectorELNS0_4arch9wavefront6targetE0EEEvT1_,@function
_ZN7rocprim17ROCPRIM_400000_NS6detail17trampoline_kernelINS0_14default_configENS1_25partition_config_selectorILNS1_17partition_subalgoE6EyNS0_10empty_typeEbEEZZNS1_14partition_implILS5_6ELb0ES3_mN6thrust23THRUST_200600_302600_NS6detail15normal_iteratorINSA_10device_ptrIyEEEEPS6_SG_NS0_5tupleIJSF_S6_EEENSH_IJSG_SG_EEES6_PlJNSB_9not_fun_tI7is_evenIyEEEEEE10hipError_tPvRmT3_T4_T5_T6_T7_T9_mT8_P12ihipStream_tbDpT10_ENKUlT_T0_E_clISt17integral_constantIbLb1EES18_EEDaS13_S14_EUlS13_E_NS1_11comp_targetILNS1_3genE8ELNS1_11target_archE1030ELNS1_3gpuE2ELNS1_3repE0EEENS1_30default_config_static_selectorELNS0_4arch9wavefront6targetE0EEEvT1_: ; @_ZN7rocprim17ROCPRIM_400000_NS6detail17trampoline_kernelINS0_14default_configENS1_25partition_config_selectorILNS1_17partition_subalgoE6EyNS0_10empty_typeEbEEZZNS1_14partition_implILS5_6ELb0ES3_mN6thrust23THRUST_200600_302600_NS6detail15normal_iteratorINSA_10device_ptrIyEEEEPS6_SG_NS0_5tupleIJSF_S6_EEENSH_IJSG_SG_EEES6_PlJNSB_9not_fun_tI7is_evenIyEEEEEE10hipError_tPvRmT3_T4_T5_T6_T7_T9_mT8_P12ihipStream_tbDpT10_ENKUlT_T0_E_clISt17integral_constantIbLb1EES18_EEDaS13_S14_EUlS13_E_NS1_11comp_targetILNS1_3genE8ELNS1_11target_archE1030ELNS1_3gpuE2ELNS1_3repE0EEENS1_30default_config_static_selectorELNS0_4arch9wavefront6targetE0EEEvT1_
; %bb.0:
	.section	.rodata,"a",@progbits
	.p2align	6, 0x0
	.amdhsa_kernel _ZN7rocprim17ROCPRIM_400000_NS6detail17trampoline_kernelINS0_14default_configENS1_25partition_config_selectorILNS1_17partition_subalgoE6EyNS0_10empty_typeEbEEZZNS1_14partition_implILS5_6ELb0ES3_mN6thrust23THRUST_200600_302600_NS6detail15normal_iteratorINSA_10device_ptrIyEEEEPS6_SG_NS0_5tupleIJSF_S6_EEENSH_IJSG_SG_EEES6_PlJNSB_9not_fun_tI7is_evenIyEEEEEE10hipError_tPvRmT3_T4_T5_T6_T7_T9_mT8_P12ihipStream_tbDpT10_ENKUlT_T0_E_clISt17integral_constantIbLb1EES18_EEDaS13_S14_EUlS13_E_NS1_11comp_targetILNS1_3genE8ELNS1_11target_archE1030ELNS1_3gpuE2ELNS1_3repE0EEENS1_30default_config_static_selectorELNS0_4arch9wavefront6targetE0EEEvT1_
		.amdhsa_group_segment_fixed_size 0
		.amdhsa_private_segment_fixed_size 0
		.amdhsa_kernarg_size 128
		.amdhsa_user_sgpr_count 2
		.amdhsa_user_sgpr_dispatch_ptr 0
		.amdhsa_user_sgpr_queue_ptr 0
		.amdhsa_user_sgpr_kernarg_segment_ptr 1
		.amdhsa_user_sgpr_dispatch_id 0
		.amdhsa_user_sgpr_private_segment_size 0
		.amdhsa_wavefront_size32 1
		.amdhsa_uses_dynamic_stack 0
		.amdhsa_enable_private_segment 0
		.amdhsa_system_sgpr_workgroup_id_x 1
		.amdhsa_system_sgpr_workgroup_id_y 0
		.amdhsa_system_sgpr_workgroup_id_z 0
		.amdhsa_system_sgpr_workgroup_info 0
		.amdhsa_system_vgpr_workitem_id 0
		.amdhsa_next_free_vgpr 1
		.amdhsa_next_free_sgpr 1
		.amdhsa_reserve_vcc 0
		.amdhsa_float_round_mode_32 0
		.amdhsa_float_round_mode_16_64 0
		.amdhsa_float_denorm_mode_32 3
		.amdhsa_float_denorm_mode_16_64 3
		.amdhsa_fp16_overflow 0
		.amdhsa_workgroup_processor_mode 1
		.amdhsa_memory_ordered 1
		.amdhsa_forward_progress 1
		.amdhsa_inst_pref_size 0
		.amdhsa_round_robin_scheduling 0
		.amdhsa_exception_fp_ieee_invalid_op 0
		.amdhsa_exception_fp_denorm_src 0
		.amdhsa_exception_fp_ieee_div_zero 0
		.amdhsa_exception_fp_ieee_overflow 0
		.amdhsa_exception_fp_ieee_underflow 0
		.amdhsa_exception_fp_ieee_inexact 0
		.amdhsa_exception_int_div_zero 0
	.end_amdhsa_kernel
	.section	.text._ZN7rocprim17ROCPRIM_400000_NS6detail17trampoline_kernelINS0_14default_configENS1_25partition_config_selectorILNS1_17partition_subalgoE6EyNS0_10empty_typeEbEEZZNS1_14partition_implILS5_6ELb0ES3_mN6thrust23THRUST_200600_302600_NS6detail15normal_iteratorINSA_10device_ptrIyEEEEPS6_SG_NS0_5tupleIJSF_S6_EEENSH_IJSG_SG_EEES6_PlJNSB_9not_fun_tI7is_evenIyEEEEEE10hipError_tPvRmT3_T4_T5_T6_T7_T9_mT8_P12ihipStream_tbDpT10_ENKUlT_T0_E_clISt17integral_constantIbLb1EES18_EEDaS13_S14_EUlS13_E_NS1_11comp_targetILNS1_3genE8ELNS1_11target_archE1030ELNS1_3gpuE2ELNS1_3repE0EEENS1_30default_config_static_selectorELNS0_4arch9wavefront6targetE0EEEvT1_,"axG",@progbits,_ZN7rocprim17ROCPRIM_400000_NS6detail17trampoline_kernelINS0_14default_configENS1_25partition_config_selectorILNS1_17partition_subalgoE6EyNS0_10empty_typeEbEEZZNS1_14partition_implILS5_6ELb0ES3_mN6thrust23THRUST_200600_302600_NS6detail15normal_iteratorINSA_10device_ptrIyEEEEPS6_SG_NS0_5tupleIJSF_S6_EEENSH_IJSG_SG_EEES6_PlJNSB_9not_fun_tI7is_evenIyEEEEEE10hipError_tPvRmT3_T4_T5_T6_T7_T9_mT8_P12ihipStream_tbDpT10_ENKUlT_T0_E_clISt17integral_constantIbLb1EES18_EEDaS13_S14_EUlS13_E_NS1_11comp_targetILNS1_3genE8ELNS1_11target_archE1030ELNS1_3gpuE2ELNS1_3repE0EEENS1_30default_config_static_selectorELNS0_4arch9wavefront6targetE0EEEvT1_,comdat
.Lfunc_end612:
	.size	_ZN7rocprim17ROCPRIM_400000_NS6detail17trampoline_kernelINS0_14default_configENS1_25partition_config_selectorILNS1_17partition_subalgoE6EyNS0_10empty_typeEbEEZZNS1_14partition_implILS5_6ELb0ES3_mN6thrust23THRUST_200600_302600_NS6detail15normal_iteratorINSA_10device_ptrIyEEEEPS6_SG_NS0_5tupleIJSF_S6_EEENSH_IJSG_SG_EEES6_PlJNSB_9not_fun_tI7is_evenIyEEEEEE10hipError_tPvRmT3_T4_T5_T6_T7_T9_mT8_P12ihipStream_tbDpT10_ENKUlT_T0_E_clISt17integral_constantIbLb1EES18_EEDaS13_S14_EUlS13_E_NS1_11comp_targetILNS1_3genE8ELNS1_11target_archE1030ELNS1_3gpuE2ELNS1_3repE0EEENS1_30default_config_static_selectorELNS0_4arch9wavefront6targetE0EEEvT1_, .Lfunc_end612-_ZN7rocprim17ROCPRIM_400000_NS6detail17trampoline_kernelINS0_14default_configENS1_25partition_config_selectorILNS1_17partition_subalgoE6EyNS0_10empty_typeEbEEZZNS1_14partition_implILS5_6ELb0ES3_mN6thrust23THRUST_200600_302600_NS6detail15normal_iteratorINSA_10device_ptrIyEEEEPS6_SG_NS0_5tupleIJSF_S6_EEENSH_IJSG_SG_EEES6_PlJNSB_9not_fun_tI7is_evenIyEEEEEE10hipError_tPvRmT3_T4_T5_T6_T7_T9_mT8_P12ihipStream_tbDpT10_ENKUlT_T0_E_clISt17integral_constantIbLb1EES18_EEDaS13_S14_EUlS13_E_NS1_11comp_targetILNS1_3genE8ELNS1_11target_archE1030ELNS1_3gpuE2ELNS1_3repE0EEENS1_30default_config_static_selectorELNS0_4arch9wavefront6targetE0EEEvT1_
                                        ; -- End function
	.set _ZN7rocprim17ROCPRIM_400000_NS6detail17trampoline_kernelINS0_14default_configENS1_25partition_config_selectorILNS1_17partition_subalgoE6EyNS0_10empty_typeEbEEZZNS1_14partition_implILS5_6ELb0ES3_mN6thrust23THRUST_200600_302600_NS6detail15normal_iteratorINSA_10device_ptrIyEEEEPS6_SG_NS0_5tupleIJSF_S6_EEENSH_IJSG_SG_EEES6_PlJNSB_9not_fun_tI7is_evenIyEEEEEE10hipError_tPvRmT3_T4_T5_T6_T7_T9_mT8_P12ihipStream_tbDpT10_ENKUlT_T0_E_clISt17integral_constantIbLb1EES18_EEDaS13_S14_EUlS13_E_NS1_11comp_targetILNS1_3genE8ELNS1_11target_archE1030ELNS1_3gpuE2ELNS1_3repE0EEENS1_30default_config_static_selectorELNS0_4arch9wavefront6targetE0EEEvT1_.num_vgpr, 0
	.set _ZN7rocprim17ROCPRIM_400000_NS6detail17trampoline_kernelINS0_14default_configENS1_25partition_config_selectorILNS1_17partition_subalgoE6EyNS0_10empty_typeEbEEZZNS1_14partition_implILS5_6ELb0ES3_mN6thrust23THRUST_200600_302600_NS6detail15normal_iteratorINSA_10device_ptrIyEEEEPS6_SG_NS0_5tupleIJSF_S6_EEENSH_IJSG_SG_EEES6_PlJNSB_9not_fun_tI7is_evenIyEEEEEE10hipError_tPvRmT3_T4_T5_T6_T7_T9_mT8_P12ihipStream_tbDpT10_ENKUlT_T0_E_clISt17integral_constantIbLb1EES18_EEDaS13_S14_EUlS13_E_NS1_11comp_targetILNS1_3genE8ELNS1_11target_archE1030ELNS1_3gpuE2ELNS1_3repE0EEENS1_30default_config_static_selectorELNS0_4arch9wavefront6targetE0EEEvT1_.num_agpr, 0
	.set _ZN7rocprim17ROCPRIM_400000_NS6detail17trampoline_kernelINS0_14default_configENS1_25partition_config_selectorILNS1_17partition_subalgoE6EyNS0_10empty_typeEbEEZZNS1_14partition_implILS5_6ELb0ES3_mN6thrust23THRUST_200600_302600_NS6detail15normal_iteratorINSA_10device_ptrIyEEEEPS6_SG_NS0_5tupleIJSF_S6_EEENSH_IJSG_SG_EEES6_PlJNSB_9not_fun_tI7is_evenIyEEEEEE10hipError_tPvRmT3_T4_T5_T6_T7_T9_mT8_P12ihipStream_tbDpT10_ENKUlT_T0_E_clISt17integral_constantIbLb1EES18_EEDaS13_S14_EUlS13_E_NS1_11comp_targetILNS1_3genE8ELNS1_11target_archE1030ELNS1_3gpuE2ELNS1_3repE0EEENS1_30default_config_static_selectorELNS0_4arch9wavefront6targetE0EEEvT1_.numbered_sgpr, 0
	.set _ZN7rocprim17ROCPRIM_400000_NS6detail17trampoline_kernelINS0_14default_configENS1_25partition_config_selectorILNS1_17partition_subalgoE6EyNS0_10empty_typeEbEEZZNS1_14partition_implILS5_6ELb0ES3_mN6thrust23THRUST_200600_302600_NS6detail15normal_iteratorINSA_10device_ptrIyEEEEPS6_SG_NS0_5tupleIJSF_S6_EEENSH_IJSG_SG_EEES6_PlJNSB_9not_fun_tI7is_evenIyEEEEEE10hipError_tPvRmT3_T4_T5_T6_T7_T9_mT8_P12ihipStream_tbDpT10_ENKUlT_T0_E_clISt17integral_constantIbLb1EES18_EEDaS13_S14_EUlS13_E_NS1_11comp_targetILNS1_3genE8ELNS1_11target_archE1030ELNS1_3gpuE2ELNS1_3repE0EEENS1_30default_config_static_selectorELNS0_4arch9wavefront6targetE0EEEvT1_.num_named_barrier, 0
	.set _ZN7rocprim17ROCPRIM_400000_NS6detail17trampoline_kernelINS0_14default_configENS1_25partition_config_selectorILNS1_17partition_subalgoE6EyNS0_10empty_typeEbEEZZNS1_14partition_implILS5_6ELb0ES3_mN6thrust23THRUST_200600_302600_NS6detail15normal_iteratorINSA_10device_ptrIyEEEEPS6_SG_NS0_5tupleIJSF_S6_EEENSH_IJSG_SG_EEES6_PlJNSB_9not_fun_tI7is_evenIyEEEEEE10hipError_tPvRmT3_T4_T5_T6_T7_T9_mT8_P12ihipStream_tbDpT10_ENKUlT_T0_E_clISt17integral_constantIbLb1EES18_EEDaS13_S14_EUlS13_E_NS1_11comp_targetILNS1_3genE8ELNS1_11target_archE1030ELNS1_3gpuE2ELNS1_3repE0EEENS1_30default_config_static_selectorELNS0_4arch9wavefront6targetE0EEEvT1_.private_seg_size, 0
	.set _ZN7rocprim17ROCPRIM_400000_NS6detail17trampoline_kernelINS0_14default_configENS1_25partition_config_selectorILNS1_17partition_subalgoE6EyNS0_10empty_typeEbEEZZNS1_14partition_implILS5_6ELb0ES3_mN6thrust23THRUST_200600_302600_NS6detail15normal_iteratorINSA_10device_ptrIyEEEEPS6_SG_NS0_5tupleIJSF_S6_EEENSH_IJSG_SG_EEES6_PlJNSB_9not_fun_tI7is_evenIyEEEEEE10hipError_tPvRmT3_T4_T5_T6_T7_T9_mT8_P12ihipStream_tbDpT10_ENKUlT_T0_E_clISt17integral_constantIbLb1EES18_EEDaS13_S14_EUlS13_E_NS1_11comp_targetILNS1_3genE8ELNS1_11target_archE1030ELNS1_3gpuE2ELNS1_3repE0EEENS1_30default_config_static_selectorELNS0_4arch9wavefront6targetE0EEEvT1_.uses_vcc, 0
	.set _ZN7rocprim17ROCPRIM_400000_NS6detail17trampoline_kernelINS0_14default_configENS1_25partition_config_selectorILNS1_17partition_subalgoE6EyNS0_10empty_typeEbEEZZNS1_14partition_implILS5_6ELb0ES3_mN6thrust23THRUST_200600_302600_NS6detail15normal_iteratorINSA_10device_ptrIyEEEEPS6_SG_NS0_5tupleIJSF_S6_EEENSH_IJSG_SG_EEES6_PlJNSB_9not_fun_tI7is_evenIyEEEEEE10hipError_tPvRmT3_T4_T5_T6_T7_T9_mT8_P12ihipStream_tbDpT10_ENKUlT_T0_E_clISt17integral_constantIbLb1EES18_EEDaS13_S14_EUlS13_E_NS1_11comp_targetILNS1_3genE8ELNS1_11target_archE1030ELNS1_3gpuE2ELNS1_3repE0EEENS1_30default_config_static_selectorELNS0_4arch9wavefront6targetE0EEEvT1_.uses_flat_scratch, 0
	.set _ZN7rocprim17ROCPRIM_400000_NS6detail17trampoline_kernelINS0_14default_configENS1_25partition_config_selectorILNS1_17partition_subalgoE6EyNS0_10empty_typeEbEEZZNS1_14partition_implILS5_6ELb0ES3_mN6thrust23THRUST_200600_302600_NS6detail15normal_iteratorINSA_10device_ptrIyEEEEPS6_SG_NS0_5tupleIJSF_S6_EEENSH_IJSG_SG_EEES6_PlJNSB_9not_fun_tI7is_evenIyEEEEEE10hipError_tPvRmT3_T4_T5_T6_T7_T9_mT8_P12ihipStream_tbDpT10_ENKUlT_T0_E_clISt17integral_constantIbLb1EES18_EEDaS13_S14_EUlS13_E_NS1_11comp_targetILNS1_3genE8ELNS1_11target_archE1030ELNS1_3gpuE2ELNS1_3repE0EEENS1_30default_config_static_selectorELNS0_4arch9wavefront6targetE0EEEvT1_.has_dyn_sized_stack, 0
	.set _ZN7rocprim17ROCPRIM_400000_NS6detail17trampoline_kernelINS0_14default_configENS1_25partition_config_selectorILNS1_17partition_subalgoE6EyNS0_10empty_typeEbEEZZNS1_14partition_implILS5_6ELb0ES3_mN6thrust23THRUST_200600_302600_NS6detail15normal_iteratorINSA_10device_ptrIyEEEEPS6_SG_NS0_5tupleIJSF_S6_EEENSH_IJSG_SG_EEES6_PlJNSB_9not_fun_tI7is_evenIyEEEEEE10hipError_tPvRmT3_T4_T5_T6_T7_T9_mT8_P12ihipStream_tbDpT10_ENKUlT_T0_E_clISt17integral_constantIbLb1EES18_EEDaS13_S14_EUlS13_E_NS1_11comp_targetILNS1_3genE8ELNS1_11target_archE1030ELNS1_3gpuE2ELNS1_3repE0EEENS1_30default_config_static_selectorELNS0_4arch9wavefront6targetE0EEEvT1_.has_recursion, 0
	.set _ZN7rocprim17ROCPRIM_400000_NS6detail17trampoline_kernelINS0_14default_configENS1_25partition_config_selectorILNS1_17partition_subalgoE6EyNS0_10empty_typeEbEEZZNS1_14partition_implILS5_6ELb0ES3_mN6thrust23THRUST_200600_302600_NS6detail15normal_iteratorINSA_10device_ptrIyEEEEPS6_SG_NS0_5tupleIJSF_S6_EEENSH_IJSG_SG_EEES6_PlJNSB_9not_fun_tI7is_evenIyEEEEEE10hipError_tPvRmT3_T4_T5_T6_T7_T9_mT8_P12ihipStream_tbDpT10_ENKUlT_T0_E_clISt17integral_constantIbLb1EES18_EEDaS13_S14_EUlS13_E_NS1_11comp_targetILNS1_3genE8ELNS1_11target_archE1030ELNS1_3gpuE2ELNS1_3repE0EEENS1_30default_config_static_selectorELNS0_4arch9wavefront6targetE0EEEvT1_.has_indirect_call, 0
	.section	.AMDGPU.csdata,"",@progbits
; Kernel info:
; codeLenInByte = 0
; TotalNumSgprs: 0
; NumVgprs: 0
; ScratchSize: 0
; MemoryBound: 0
; FloatMode: 240
; IeeeMode: 1
; LDSByteSize: 0 bytes/workgroup (compile time only)
; SGPRBlocks: 0
; VGPRBlocks: 0
; NumSGPRsForWavesPerEU: 1
; NumVGPRsForWavesPerEU: 1
; Occupancy: 16
; WaveLimiterHint : 0
; COMPUTE_PGM_RSRC2:SCRATCH_EN: 0
; COMPUTE_PGM_RSRC2:USER_SGPR: 2
; COMPUTE_PGM_RSRC2:TRAP_HANDLER: 0
; COMPUTE_PGM_RSRC2:TGID_X_EN: 1
; COMPUTE_PGM_RSRC2:TGID_Y_EN: 0
; COMPUTE_PGM_RSRC2:TGID_Z_EN: 0
; COMPUTE_PGM_RSRC2:TIDIG_COMP_CNT: 0
	.section	.text._ZN7rocprim17ROCPRIM_400000_NS6detail17trampoline_kernelINS0_14default_configENS1_25partition_config_selectorILNS1_17partition_subalgoE6EyNS0_10empty_typeEbEEZZNS1_14partition_implILS5_6ELb0ES3_mN6thrust23THRUST_200600_302600_NS6detail15normal_iteratorINSA_10device_ptrIyEEEEPS6_SG_NS0_5tupleIJSF_S6_EEENSH_IJSG_SG_EEES6_PlJNSB_9not_fun_tI7is_evenIyEEEEEE10hipError_tPvRmT3_T4_T5_T6_T7_T9_mT8_P12ihipStream_tbDpT10_ENKUlT_T0_E_clISt17integral_constantIbLb1EES17_IbLb0EEEEDaS13_S14_EUlS13_E_NS1_11comp_targetILNS1_3genE0ELNS1_11target_archE4294967295ELNS1_3gpuE0ELNS1_3repE0EEENS1_30default_config_static_selectorELNS0_4arch9wavefront6targetE0EEEvT1_,"axG",@progbits,_ZN7rocprim17ROCPRIM_400000_NS6detail17trampoline_kernelINS0_14default_configENS1_25partition_config_selectorILNS1_17partition_subalgoE6EyNS0_10empty_typeEbEEZZNS1_14partition_implILS5_6ELb0ES3_mN6thrust23THRUST_200600_302600_NS6detail15normal_iteratorINSA_10device_ptrIyEEEEPS6_SG_NS0_5tupleIJSF_S6_EEENSH_IJSG_SG_EEES6_PlJNSB_9not_fun_tI7is_evenIyEEEEEE10hipError_tPvRmT3_T4_T5_T6_T7_T9_mT8_P12ihipStream_tbDpT10_ENKUlT_T0_E_clISt17integral_constantIbLb1EES17_IbLb0EEEEDaS13_S14_EUlS13_E_NS1_11comp_targetILNS1_3genE0ELNS1_11target_archE4294967295ELNS1_3gpuE0ELNS1_3repE0EEENS1_30default_config_static_selectorELNS0_4arch9wavefront6targetE0EEEvT1_,comdat
	.protected	_ZN7rocprim17ROCPRIM_400000_NS6detail17trampoline_kernelINS0_14default_configENS1_25partition_config_selectorILNS1_17partition_subalgoE6EyNS0_10empty_typeEbEEZZNS1_14partition_implILS5_6ELb0ES3_mN6thrust23THRUST_200600_302600_NS6detail15normal_iteratorINSA_10device_ptrIyEEEEPS6_SG_NS0_5tupleIJSF_S6_EEENSH_IJSG_SG_EEES6_PlJNSB_9not_fun_tI7is_evenIyEEEEEE10hipError_tPvRmT3_T4_T5_T6_T7_T9_mT8_P12ihipStream_tbDpT10_ENKUlT_T0_E_clISt17integral_constantIbLb1EES17_IbLb0EEEEDaS13_S14_EUlS13_E_NS1_11comp_targetILNS1_3genE0ELNS1_11target_archE4294967295ELNS1_3gpuE0ELNS1_3repE0EEENS1_30default_config_static_selectorELNS0_4arch9wavefront6targetE0EEEvT1_ ; -- Begin function _ZN7rocprim17ROCPRIM_400000_NS6detail17trampoline_kernelINS0_14default_configENS1_25partition_config_selectorILNS1_17partition_subalgoE6EyNS0_10empty_typeEbEEZZNS1_14partition_implILS5_6ELb0ES3_mN6thrust23THRUST_200600_302600_NS6detail15normal_iteratorINSA_10device_ptrIyEEEEPS6_SG_NS0_5tupleIJSF_S6_EEENSH_IJSG_SG_EEES6_PlJNSB_9not_fun_tI7is_evenIyEEEEEE10hipError_tPvRmT3_T4_T5_T6_T7_T9_mT8_P12ihipStream_tbDpT10_ENKUlT_T0_E_clISt17integral_constantIbLb1EES17_IbLb0EEEEDaS13_S14_EUlS13_E_NS1_11comp_targetILNS1_3genE0ELNS1_11target_archE4294967295ELNS1_3gpuE0ELNS1_3repE0EEENS1_30default_config_static_selectorELNS0_4arch9wavefront6targetE0EEEvT1_
	.globl	_ZN7rocprim17ROCPRIM_400000_NS6detail17trampoline_kernelINS0_14default_configENS1_25partition_config_selectorILNS1_17partition_subalgoE6EyNS0_10empty_typeEbEEZZNS1_14partition_implILS5_6ELb0ES3_mN6thrust23THRUST_200600_302600_NS6detail15normal_iteratorINSA_10device_ptrIyEEEEPS6_SG_NS0_5tupleIJSF_S6_EEENSH_IJSG_SG_EEES6_PlJNSB_9not_fun_tI7is_evenIyEEEEEE10hipError_tPvRmT3_T4_T5_T6_T7_T9_mT8_P12ihipStream_tbDpT10_ENKUlT_T0_E_clISt17integral_constantIbLb1EES17_IbLb0EEEEDaS13_S14_EUlS13_E_NS1_11comp_targetILNS1_3genE0ELNS1_11target_archE4294967295ELNS1_3gpuE0ELNS1_3repE0EEENS1_30default_config_static_selectorELNS0_4arch9wavefront6targetE0EEEvT1_
	.p2align	8
	.type	_ZN7rocprim17ROCPRIM_400000_NS6detail17trampoline_kernelINS0_14default_configENS1_25partition_config_selectorILNS1_17partition_subalgoE6EyNS0_10empty_typeEbEEZZNS1_14partition_implILS5_6ELb0ES3_mN6thrust23THRUST_200600_302600_NS6detail15normal_iteratorINSA_10device_ptrIyEEEEPS6_SG_NS0_5tupleIJSF_S6_EEENSH_IJSG_SG_EEES6_PlJNSB_9not_fun_tI7is_evenIyEEEEEE10hipError_tPvRmT3_T4_T5_T6_T7_T9_mT8_P12ihipStream_tbDpT10_ENKUlT_T0_E_clISt17integral_constantIbLb1EES17_IbLb0EEEEDaS13_S14_EUlS13_E_NS1_11comp_targetILNS1_3genE0ELNS1_11target_archE4294967295ELNS1_3gpuE0ELNS1_3repE0EEENS1_30default_config_static_selectorELNS0_4arch9wavefront6targetE0EEEvT1_,@function
_ZN7rocprim17ROCPRIM_400000_NS6detail17trampoline_kernelINS0_14default_configENS1_25partition_config_selectorILNS1_17partition_subalgoE6EyNS0_10empty_typeEbEEZZNS1_14partition_implILS5_6ELb0ES3_mN6thrust23THRUST_200600_302600_NS6detail15normal_iteratorINSA_10device_ptrIyEEEEPS6_SG_NS0_5tupleIJSF_S6_EEENSH_IJSG_SG_EEES6_PlJNSB_9not_fun_tI7is_evenIyEEEEEE10hipError_tPvRmT3_T4_T5_T6_T7_T9_mT8_P12ihipStream_tbDpT10_ENKUlT_T0_E_clISt17integral_constantIbLb1EES17_IbLb0EEEEDaS13_S14_EUlS13_E_NS1_11comp_targetILNS1_3genE0ELNS1_11target_archE4294967295ELNS1_3gpuE0ELNS1_3repE0EEENS1_30default_config_static_selectorELNS0_4arch9wavefront6targetE0EEEvT1_: ; @_ZN7rocprim17ROCPRIM_400000_NS6detail17trampoline_kernelINS0_14default_configENS1_25partition_config_selectorILNS1_17partition_subalgoE6EyNS0_10empty_typeEbEEZZNS1_14partition_implILS5_6ELb0ES3_mN6thrust23THRUST_200600_302600_NS6detail15normal_iteratorINSA_10device_ptrIyEEEEPS6_SG_NS0_5tupleIJSF_S6_EEENSH_IJSG_SG_EEES6_PlJNSB_9not_fun_tI7is_evenIyEEEEEE10hipError_tPvRmT3_T4_T5_T6_T7_T9_mT8_P12ihipStream_tbDpT10_ENKUlT_T0_E_clISt17integral_constantIbLb1EES17_IbLb0EEEEDaS13_S14_EUlS13_E_NS1_11comp_targetILNS1_3genE0ELNS1_11target_archE4294967295ELNS1_3gpuE0ELNS1_3repE0EEENS1_30default_config_static_selectorELNS0_4arch9wavefront6targetE0EEEvT1_
; %bb.0:
	.section	.rodata,"a",@progbits
	.p2align	6, 0x0
	.amdhsa_kernel _ZN7rocprim17ROCPRIM_400000_NS6detail17trampoline_kernelINS0_14default_configENS1_25partition_config_selectorILNS1_17partition_subalgoE6EyNS0_10empty_typeEbEEZZNS1_14partition_implILS5_6ELb0ES3_mN6thrust23THRUST_200600_302600_NS6detail15normal_iteratorINSA_10device_ptrIyEEEEPS6_SG_NS0_5tupleIJSF_S6_EEENSH_IJSG_SG_EEES6_PlJNSB_9not_fun_tI7is_evenIyEEEEEE10hipError_tPvRmT3_T4_T5_T6_T7_T9_mT8_P12ihipStream_tbDpT10_ENKUlT_T0_E_clISt17integral_constantIbLb1EES17_IbLb0EEEEDaS13_S14_EUlS13_E_NS1_11comp_targetILNS1_3genE0ELNS1_11target_archE4294967295ELNS1_3gpuE0ELNS1_3repE0EEENS1_30default_config_static_selectorELNS0_4arch9wavefront6targetE0EEEvT1_
		.amdhsa_group_segment_fixed_size 0
		.amdhsa_private_segment_fixed_size 0
		.amdhsa_kernarg_size 112
		.amdhsa_user_sgpr_count 2
		.amdhsa_user_sgpr_dispatch_ptr 0
		.amdhsa_user_sgpr_queue_ptr 0
		.amdhsa_user_sgpr_kernarg_segment_ptr 1
		.amdhsa_user_sgpr_dispatch_id 0
		.amdhsa_user_sgpr_private_segment_size 0
		.amdhsa_wavefront_size32 1
		.amdhsa_uses_dynamic_stack 0
		.amdhsa_enable_private_segment 0
		.amdhsa_system_sgpr_workgroup_id_x 1
		.amdhsa_system_sgpr_workgroup_id_y 0
		.amdhsa_system_sgpr_workgroup_id_z 0
		.amdhsa_system_sgpr_workgroup_info 0
		.amdhsa_system_vgpr_workitem_id 0
		.amdhsa_next_free_vgpr 1
		.amdhsa_next_free_sgpr 1
		.amdhsa_reserve_vcc 0
		.amdhsa_float_round_mode_32 0
		.amdhsa_float_round_mode_16_64 0
		.amdhsa_float_denorm_mode_32 3
		.amdhsa_float_denorm_mode_16_64 3
		.amdhsa_fp16_overflow 0
		.amdhsa_workgroup_processor_mode 1
		.amdhsa_memory_ordered 1
		.amdhsa_forward_progress 1
		.amdhsa_inst_pref_size 0
		.amdhsa_round_robin_scheduling 0
		.amdhsa_exception_fp_ieee_invalid_op 0
		.amdhsa_exception_fp_denorm_src 0
		.amdhsa_exception_fp_ieee_div_zero 0
		.amdhsa_exception_fp_ieee_overflow 0
		.amdhsa_exception_fp_ieee_underflow 0
		.amdhsa_exception_fp_ieee_inexact 0
		.amdhsa_exception_int_div_zero 0
	.end_amdhsa_kernel
	.section	.text._ZN7rocprim17ROCPRIM_400000_NS6detail17trampoline_kernelINS0_14default_configENS1_25partition_config_selectorILNS1_17partition_subalgoE6EyNS0_10empty_typeEbEEZZNS1_14partition_implILS5_6ELb0ES3_mN6thrust23THRUST_200600_302600_NS6detail15normal_iteratorINSA_10device_ptrIyEEEEPS6_SG_NS0_5tupleIJSF_S6_EEENSH_IJSG_SG_EEES6_PlJNSB_9not_fun_tI7is_evenIyEEEEEE10hipError_tPvRmT3_T4_T5_T6_T7_T9_mT8_P12ihipStream_tbDpT10_ENKUlT_T0_E_clISt17integral_constantIbLb1EES17_IbLb0EEEEDaS13_S14_EUlS13_E_NS1_11comp_targetILNS1_3genE0ELNS1_11target_archE4294967295ELNS1_3gpuE0ELNS1_3repE0EEENS1_30default_config_static_selectorELNS0_4arch9wavefront6targetE0EEEvT1_,"axG",@progbits,_ZN7rocprim17ROCPRIM_400000_NS6detail17trampoline_kernelINS0_14default_configENS1_25partition_config_selectorILNS1_17partition_subalgoE6EyNS0_10empty_typeEbEEZZNS1_14partition_implILS5_6ELb0ES3_mN6thrust23THRUST_200600_302600_NS6detail15normal_iteratorINSA_10device_ptrIyEEEEPS6_SG_NS0_5tupleIJSF_S6_EEENSH_IJSG_SG_EEES6_PlJNSB_9not_fun_tI7is_evenIyEEEEEE10hipError_tPvRmT3_T4_T5_T6_T7_T9_mT8_P12ihipStream_tbDpT10_ENKUlT_T0_E_clISt17integral_constantIbLb1EES17_IbLb0EEEEDaS13_S14_EUlS13_E_NS1_11comp_targetILNS1_3genE0ELNS1_11target_archE4294967295ELNS1_3gpuE0ELNS1_3repE0EEENS1_30default_config_static_selectorELNS0_4arch9wavefront6targetE0EEEvT1_,comdat
.Lfunc_end613:
	.size	_ZN7rocprim17ROCPRIM_400000_NS6detail17trampoline_kernelINS0_14default_configENS1_25partition_config_selectorILNS1_17partition_subalgoE6EyNS0_10empty_typeEbEEZZNS1_14partition_implILS5_6ELb0ES3_mN6thrust23THRUST_200600_302600_NS6detail15normal_iteratorINSA_10device_ptrIyEEEEPS6_SG_NS0_5tupleIJSF_S6_EEENSH_IJSG_SG_EEES6_PlJNSB_9not_fun_tI7is_evenIyEEEEEE10hipError_tPvRmT3_T4_T5_T6_T7_T9_mT8_P12ihipStream_tbDpT10_ENKUlT_T0_E_clISt17integral_constantIbLb1EES17_IbLb0EEEEDaS13_S14_EUlS13_E_NS1_11comp_targetILNS1_3genE0ELNS1_11target_archE4294967295ELNS1_3gpuE0ELNS1_3repE0EEENS1_30default_config_static_selectorELNS0_4arch9wavefront6targetE0EEEvT1_, .Lfunc_end613-_ZN7rocprim17ROCPRIM_400000_NS6detail17trampoline_kernelINS0_14default_configENS1_25partition_config_selectorILNS1_17partition_subalgoE6EyNS0_10empty_typeEbEEZZNS1_14partition_implILS5_6ELb0ES3_mN6thrust23THRUST_200600_302600_NS6detail15normal_iteratorINSA_10device_ptrIyEEEEPS6_SG_NS0_5tupleIJSF_S6_EEENSH_IJSG_SG_EEES6_PlJNSB_9not_fun_tI7is_evenIyEEEEEE10hipError_tPvRmT3_T4_T5_T6_T7_T9_mT8_P12ihipStream_tbDpT10_ENKUlT_T0_E_clISt17integral_constantIbLb1EES17_IbLb0EEEEDaS13_S14_EUlS13_E_NS1_11comp_targetILNS1_3genE0ELNS1_11target_archE4294967295ELNS1_3gpuE0ELNS1_3repE0EEENS1_30default_config_static_selectorELNS0_4arch9wavefront6targetE0EEEvT1_
                                        ; -- End function
	.set _ZN7rocprim17ROCPRIM_400000_NS6detail17trampoline_kernelINS0_14default_configENS1_25partition_config_selectorILNS1_17partition_subalgoE6EyNS0_10empty_typeEbEEZZNS1_14partition_implILS5_6ELb0ES3_mN6thrust23THRUST_200600_302600_NS6detail15normal_iteratorINSA_10device_ptrIyEEEEPS6_SG_NS0_5tupleIJSF_S6_EEENSH_IJSG_SG_EEES6_PlJNSB_9not_fun_tI7is_evenIyEEEEEE10hipError_tPvRmT3_T4_T5_T6_T7_T9_mT8_P12ihipStream_tbDpT10_ENKUlT_T0_E_clISt17integral_constantIbLb1EES17_IbLb0EEEEDaS13_S14_EUlS13_E_NS1_11comp_targetILNS1_3genE0ELNS1_11target_archE4294967295ELNS1_3gpuE0ELNS1_3repE0EEENS1_30default_config_static_selectorELNS0_4arch9wavefront6targetE0EEEvT1_.num_vgpr, 0
	.set _ZN7rocprim17ROCPRIM_400000_NS6detail17trampoline_kernelINS0_14default_configENS1_25partition_config_selectorILNS1_17partition_subalgoE6EyNS0_10empty_typeEbEEZZNS1_14partition_implILS5_6ELb0ES3_mN6thrust23THRUST_200600_302600_NS6detail15normal_iteratorINSA_10device_ptrIyEEEEPS6_SG_NS0_5tupleIJSF_S6_EEENSH_IJSG_SG_EEES6_PlJNSB_9not_fun_tI7is_evenIyEEEEEE10hipError_tPvRmT3_T4_T5_T6_T7_T9_mT8_P12ihipStream_tbDpT10_ENKUlT_T0_E_clISt17integral_constantIbLb1EES17_IbLb0EEEEDaS13_S14_EUlS13_E_NS1_11comp_targetILNS1_3genE0ELNS1_11target_archE4294967295ELNS1_3gpuE0ELNS1_3repE0EEENS1_30default_config_static_selectorELNS0_4arch9wavefront6targetE0EEEvT1_.num_agpr, 0
	.set _ZN7rocprim17ROCPRIM_400000_NS6detail17trampoline_kernelINS0_14default_configENS1_25partition_config_selectorILNS1_17partition_subalgoE6EyNS0_10empty_typeEbEEZZNS1_14partition_implILS5_6ELb0ES3_mN6thrust23THRUST_200600_302600_NS6detail15normal_iteratorINSA_10device_ptrIyEEEEPS6_SG_NS0_5tupleIJSF_S6_EEENSH_IJSG_SG_EEES6_PlJNSB_9not_fun_tI7is_evenIyEEEEEE10hipError_tPvRmT3_T4_T5_T6_T7_T9_mT8_P12ihipStream_tbDpT10_ENKUlT_T0_E_clISt17integral_constantIbLb1EES17_IbLb0EEEEDaS13_S14_EUlS13_E_NS1_11comp_targetILNS1_3genE0ELNS1_11target_archE4294967295ELNS1_3gpuE0ELNS1_3repE0EEENS1_30default_config_static_selectorELNS0_4arch9wavefront6targetE0EEEvT1_.numbered_sgpr, 0
	.set _ZN7rocprim17ROCPRIM_400000_NS6detail17trampoline_kernelINS0_14default_configENS1_25partition_config_selectorILNS1_17partition_subalgoE6EyNS0_10empty_typeEbEEZZNS1_14partition_implILS5_6ELb0ES3_mN6thrust23THRUST_200600_302600_NS6detail15normal_iteratorINSA_10device_ptrIyEEEEPS6_SG_NS0_5tupleIJSF_S6_EEENSH_IJSG_SG_EEES6_PlJNSB_9not_fun_tI7is_evenIyEEEEEE10hipError_tPvRmT3_T4_T5_T6_T7_T9_mT8_P12ihipStream_tbDpT10_ENKUlT_T0_E_clISt17integral_constantIbLb1EES17_IbLb0EEEEDaS13_S14_EUlS13_E_NS1_11comp_targetILNS1_3genE0ELNS1_11target_archE4294967295ELNS1_3gpuE0ELNS1_3repE0EEENS1_30default_config_static_selectorELNS0_4arch9wavefront6targetE0EEEvT1_.num_named_barrier, 0
	.set _ZN7rocprim17ROCPRIM_400000_NS6detail17trampoline_kernelINS0_14default_configENS1_25partition_config_selectorILNS1_17partition_subalgoE6EyNS0_10empty_typeEbEEZZNS1_14partition_implILS5_6ELb0ES3_mN6thrust23THRUST_200600_302600_NS6detail15normal_iteratorINSA_10device_ptrIyEEEEPS6_SG_NS0_5tupleIJSF_S6_EEENSH_IJSG_SG_EEES6_PlJNSB_9not_fun_tI7is_evenIyEEEEEE10hipError_tPvRmT3_T4_T5_T6_T7_T9_mT8_P12ihipStream_tbDpT10_ENKUlT_T0_E_clISt17integral_constantIbLb1EES17_IbLb0EEEEDaS13_S14_EUlS13_E_NS1_11comp_targetILNS1_3genE0ELNS1_11target_archE4294967295ELNS1_3gpuE0ELNS1_3repE0EEENS1_30default_config_static_selectorELNS0_4arch9wavefront6targetE0EEEvT1_.private_seg_size, 0
	.set _ZN7rocprim17ROCPRIM_400000_NS6detail17trampoline_kernelINS0_14default_configENS1_25partition_config_selectorILNS1_17partition_subalgoE6EyNS0_10empty_typeEbEEZZNS1_14partition_implILS5_6ELb0ES3_mN6thrust23THRUST_200600_302600_NS6detail15normal_iteratorINSA_10device_ptrIyEEEEPS6_SG_NS0_5tupleIJSF_S6_EEENSH_IJSG_SG_EEES6_PlJNSB_9not_fun_tI7is_evenIyEEEEEE10hipError_tPvRmT3_T4_T5_T6_T7_T9_mT8_P12ihipStream_tbDpT10_ENKUlT_T0_E_clISt17integral_constantIbLb1EES17_IbLb0EEEEDaS13_S14_EUlS13_E_NS1_11comp_targetILNS1_3genE0ELNS1_11target_archE4294967295ELNS1_3gpuE0ELNS1_3repE0EEENS1_30default_config_static_selectorELNS0_4arch9wavefront6targetE0EEEvT1_.uses_vcc, 0
	.set _ZN7rocprim17ROCPRIM_400000_NS6detail17trampoline_kernelINS0_14default_configENS1_25partition_config_selectorILNS1_17partition_subalgoE6EyNS0_10empty_typeEbEEZZNS1_14partition_implILS5_6ELb0ES3_mN6thrust23THRUST_200600_302600_NS6detail15normal_iteratorINSA_10device_ptrIyEEEEPS6_SG_NS0_5tupleIJSF_S6_EEENSH_IJSG_SG_EEES6_PlJNSB_9not_fun_tI7is_evenIyEEEEEE10hipError_tPvRmT3_T4_T5_T6_T7_T9_mT8_P12ihipStream_tbDpT10_ENKUlT_T0_E_clISt17integral_constantIbLb1EES17_IbLb0EEEEDaS13_S14_EUlS13_E_NS1_11comp_targetILNS1_3genE0ELNS1_11target_archE4294967295ELNS1_3gpuE0ELNS1_3repE0EEENS1_30default_config_static_selectorELNS0_4arch9wavefront6targetE0EEEvT1_.uses_flat_scratch, 0
	.set _ZN7rocprim17ROCPRIM_400000_NS6detail17trampoline_kernelINS0_14default_configENS1_25partition_config_selectorILNS1_17partition_subalgoE6EyNS0_10empty_typeEbEEZZNS1_14partition_implILS5_6ELb0ES3_mN6thrust23THRUST_200600_302600_NS6detail15normal_iteratorINSA_10device_ptrIyEEEEPS6_SG_NS0_5tupleIJSF_S6_EEENSH_IJSG_SG_EEES6_PlJNSB_9not_fun_tI7is_evenIyEEEEEE10hipError_tPvRmT3_T4_T5_T6_T7_T9_mT8_P12ihipStream_tbDpT10_ENKUlT_T0_E_clISt17integral_constantIbLb1EES17_IbLb0EEEEDaS13_S14_EUlS13_E_NS1_11comp_targetILNS1_3genE0ELNS1_11target_archE4294967295ELNS1_3gpuE0ELNS1_3repE0EEENS1_30default_config_static_selectorELNS0_4arch9wavefront6targetE0EEEvT1_.has_dyn_sized_stack, 0
	.set _ZN7rocprim17ROCPRIM_400000_NS6detail17trampoline_kernelINS0_14default_configENS1_25partition_config_selectorILNS1_17partition_subalgoE6EyNS0_10empty_typeEbEEZZNS1_14partition_implILS5_6ELb0ES3_mN6thrust23THRUST_200600_302600_NS6detail15normal_iteratorINSA_10device_ptrIyEEEEPS6_SG_NS0_5tupleIJSF_S6_EEENSH_IJSG_SG_EEES6_PlJNSB_9not_fun_tI7is_evenIyEEEEEE10hipError_tPvRmT3_T4_T5_T6_T7_T9_mT8_P12ihipStream_tbDpT10_ENKUlT_T0_E_clISt17integral_constantIbLb1EES17_IbLb0EEEEDaS13_S14_EUlS13_E_NS1_11comp_targetILNS1_3genE0ELNS1_11target_archE4294967295ELNS1_3gpuE0ELNS1_3repE0EEENS1_30default_config_static_selectorELNS0_4arch9wavefront6targetE0EEEvT1_.has_recursion, 0
	.set _ZN7rocprim17ROCPRIM_400000_NS6detail17trampoline_kernelINS0_14default_configENS1_25partition_config_selectorILNS1_17partition_subalgoE6EyNS0_10empty_typeEbEEZZNS1_14partition_implILS5_6ELb0ES3_mN6thrust23THRUST_200600_302600_NS6detail15normal_iteratorINSA_10device_ptrIyEEEEPS6_SG_NS0_5tupleIJSF_S6_EEENSH_IJSG_SG_EEES6_PlJNSB_9not_fun_tI7is_evenIyEEEEEE10hipError_tPvRmT3_T4_T5_T6_T7_T9_mT8_P12ihipStream_tbDpT10_ENKUlT_T0_E_clISt17integral_constantIbLb1EES17_IbLb0EEEEDaS13_S14_EUlS13_E_NS1_11comp_targetILNS1_3genE0ELNS1_11target_archE4294967295ELNS1_3gpuE0ELNS1_3repE0EEENS1_30default_config_static_selectorELNS0_4arch9wavefront6targetE0EEEvT1_.has_indirect_call, 0
	.section	.AMDGPU.csdata,"",@progbits
; Kernel info:
; codeLenInByte = 0
; TotalNumSgprs: 0
; NumVgprs: 0
; ScratchSize: 0
; MemoryBound: 0
; FloatMode: 240
; IeeeMode: 1
; LDSByteSize: 0 bytes/workgroup (compile time only)
; SGPRBlocks: 0
; VGPRBlocks: 0
; NumSGPRsForWavesPerEU: 1
; NumVGPRsForWavesPerEU: 1
; Occupancy: 16
; WaveLimiterHint : 0
; COMPUTE_PGM_RSRC2:SCRATCH_EN: 0
; COMPUTE_PGM_RSRC2:USER_SGPR: 2
; COMPUTE_PGM_RSRC2:TRAP_HANDLER: 0
; COMPUTE_PGM_RSRC2:TGID_X_EN: 1
; COMPUTE_PGM_RSRC2:TGID_Y_EN: 0
; COMPUTE_PGM_RSRC2:TGID_Z_EN: 0
; COMPUTE_PGM_RSRC2:TIDIG_COMP_CNT: 0
	.section	.text._ZN7rocprim17ROCPRIM_400000_NS6detail17trampoline_kernelINS0_14default_configENS1_25partition_config_selectorILNS1_17partition_subalgoE6EyNS0_10empty_typeEbEEZZNS1_14partition_implILS5_6ELb0ES3_mN6thrust23THRUST_200600_302600_NS6detail15normal_iteratorINSA_10device_ptrIyEEEEPS6_SG_NS0_5tupleIJSF_S6_EEENSH_IJSG_SG_EEES6_PlJNSB_9not_fun_tI7is_evenIyEEEEEE10hipError_tPvRmT3_T4_T5_T6_T7_T9_mT8_P12ihipStream_tbDpT10_ENKUlT_T0_E_clISt17integral_constantIbLb1EES17_IbLb0EEEEDaS13_S14_EUlS13_E_NS1_11comp_targetILNS1_3genE5ELNS1_11target_archE942ELNS1_3gpuE9ELNS1_3repE0EEENS1_30default_config_static_selectorELNS0_4arch9wavefront6targetE0EEEvT1_,"axG",@progbits,_ZN7rocprim17ROCPRIM_400000_NS6detail17trampoline_kernelINS0_14default_configENS1_25partition_config_selectorILNS1_17partition_subalgoE6EyNS0_10empty_typeEbEEZZNS1_14partition_implILS5_6ELb0ES3_mN6thrust23THRUST_200600_302600_NS6detail15normal_iteratorINSA_10device_ptrIyEEEEPS6_SG_NS0_5tupleIJSF_S6_EEENSH_IJSG_SG_EEES6_PlJNSB_9not_fun_tI7is_evenIyEEEEEE10hipError_tPvRmT3_T4_T5_T6_T7_T9_mT8_P12ihipStream_tbDpT10_ENKUlT_T0_E_clISt17integral_constantIbLb1EES17_IbLb0EEEEDaS13_S14_EUlS13_E_NS1_11comp_targetILNS1_3genE5ELNS1_11target_archE942ELNS1_3gpuE9ELNS1_3repE0EEENS1_30default_config_static_selectorELNS0_4arch9wavefront6targetE0EEEvT1_,comdat
	.protected	_ZN7rocprim17ROCPRIM_400000_NS6detail17trampoline_kernelINS0_14default_configENS1_25partition_config_selectorILNS1_17partition_subalgoE6EyNS0_10empty_typeEbEEZZNS1_14partition_implILS5_6ELb0ES3_mN6thrust23THRUST_200600_302600_NS6detail15normal_iteratorINSA_10device_ptrIyEEEEPS6_SG_NS0_5tupleIJSF_S6_EEENSH_IJSG_SG_EEES6_PlJNSB_9not_fun_tI7is_evenIyEEEEEE10hipError_tPvRmT3_T4_T5_T6_T7_T9_mT8_P12ihipStream_tbDpT10_ENKUlT_T0_E_clISt17integral_constantIbLb1EES17_IbLb0EEEEDaS13_S14_EUlS13_E_NS1_11comp_targetILNS1_3genE5ELNS1_11target_archE942ELNS1_3gpuE9ELNS1_3repE0EEENS1_30default_config_static_selectorELNS0_4arch9wavefront6targetE0EEEvT1_ ; -- Begin function _ZN7rocprim17ROCPRIM_400000_NS6detail17trampoline_kernelINS0_14default_configENS1_25partition_config_selectorILNS1_17partition_subalgoE6EyNS0_10empty_typeEbEEZZNS1_14partition_implILS5_6ELb0ES3_mN6thrust23THRUST_200600_302600_NS6detail15normal_iteratorINSA_10device_ptrIyEEEEPS6_SG_NS0_5tupleIJSF_S6_EEENSH_IJSG_SG_EEES6_PlJNSB_9not_fun_tI7is_evenIyEEEEEE10hipError_tPvRmT3_T4_T5_T6_T7_T9_mT8_P12ihipStream_tbDpT10_ENKUlT_T0_E_clISt17integral_constantIbLb1EES17_IbLb0EEEEDaS13_S14_EUlS13_E_NS1_11comp_targetILNS1_3genE5ELNS1_11target_archE942ELNS1_3gpuE9ELNS1_3repE0EEENS1_30default_config_static_selectorELNS0_4arch9wavefront6targetE0EEEvT1_
	.globl	_ZN7rocprim17ROCPRIM_400000_NS6detail17trampoline_kernelINS0_14default_configENS1_25partition_config_selectorILNS1_17partition_subalgoE6EyNS0_10empty_typeEbEEZZNS1_14partition_implILS5_6ELb0ES3_mN6thrust23THRUST_200600_302600_NS6detail15normal_iteratorINSA_10device_ptrIyEEEEPS6_SG_NS0_5tupleIJSF_S6_EEENSH_IJSG_SG_EEES6_PlJNSB_9not_fun_tI7is_evenIyEEEEEE10hipError_tPvRmT3_T4_T5_T6_T7_T9_mT8_P12ihipStream_tbDpT10_ENKUlT_T0_E_clISt17integral_constantIbLb1EES17_IbLb0EEEEDaS13_S14_EUlS13_E_NS1_11comp_targetILNS1_3genE5ELNS1_11target_archE942ELNS1_3gpuE9ELNS1_3repE0EEENS1_30default_config_static_selectorELNS0_4arch9wavefront6targetE0EEEvT1_
	.p2align	8
	.type	_ZN7rocprim17ROCPRIM_400000_NS6detail17trampoline_kernelINS0_14default_configENS1_25partition_config_selectorILNS1_17partition_subalgoE6EyNS0_10empty_typeEbEEZZNS1_14partition_implILS5_6ELb0ES3_mN6thrust23THRUST_200600_302600_NS6detail15normal_iteratorINSA_10device_ptrIyEEEEPS6_SG_NS0_5tupleIJSF_S6_EEENSH_IJSG_SG_EEES6_PlJNSB_9not_fun_tI7is_evenIyEEEEEE10hipError_tPvRmT3_T4_T5_T6_T7_T9_mT8_P12ihipStream_tbDpT10_ENKUlT_T0_E_clISt17integral_constantIbLb1EES17_IbLb0EEEEDaS13_S14_EUlS13_E_NS1_11comp_targetILNS1_3genE5ELNS1_11target_archE942ELNS1_3gpuE9ELNS1_3repE0EEENS1_30default_config_static_selectorELNS0_4arch9wavefront6targetE0EEEvT1_,@function
_ZN7rocprim17ROCPRIM_400000_NS6detail17trampoline_kernelINS0_14default_configENS1_25partition_config_selectorILNS1_17partition_subalgoE6EyNS0_10empty_typeEbEEZZNS1_14partition_implILS5_6ELb0ES3_mN6thrust23THRUST_200600_302600_NS6detail15normal_iteratorINSA_10device_ptrIyEEEEPS6_SG_NS0_5tupleIJSF_S6_EEENSH_IJSG_SG_EEES6_PlJNSB_9not_fun_tI7is_evenIyEEEEEE10hipError_tPvRmT3_T4_T5_T6_T7_T9_mT8_P12ihipStream_tbDpT10_ENKUlT_T0_E_clISt17integral_constantIbLb1EES17_IbLb0EEEEDaS13_S14_EUlS13_E_NS1_11comp_targetILNS1_3genE5ELNS1_11target_archE942ELNS1_3gpuE9ELNS1_3repE0EEENS1_30default_config_static_selectorELNS0_4arch9wavefront6targetE0EEEvT1_: ; @_ZN7rocprim17ROCPRIM_400000_NS6detail17trampoline_kernelINS0_14default_configENS1_25partition_config_selectorILNS1_17partition_subalgoE6EyNS0_10empty_typeEbEEZZNS1_14partition_implILS5_6ELb0ES3_mN6thrust23THRUST_200600_302600_NS6detail15normal_iteratorINSA_10device_ptrIyEEEEPS6_SG_NS0_5tupleIJSF_S6_EEENSH_IJSG_SG_EEES6_PlJNSB_9not_fun_tI7is_evenIyEEEEEE10hipError_tPvRmT3_T4_T5_T6_T7_T9_mT8_P12ihipStream_tbDpT10_ENKUlT_T0_E_clISt17integral_constantIbLb1EES17_IbLb0EEEEDaS13_S14_EUlS13_E_NS1_11comp_targetILNS1_3genE5ELNS1_11target_archE942ELNS1_3gpuE9ELNS1_3repE0EEENS1_30default_config_static_selectorELNS0_4arch9wavefront6targetE0EEEvT1_
; %bb.0:
	.section	.rodata,"a",@progbits
	.p2align	6, 0x0
	.amdhsa_kernel _ZN7rocprim17ROCPRIM_400000_NS6detail17trampoline_kernelINS0_14default_configENS1_25partition_config_selectorILNS1_17partition_subalgoE6EyNS0_10empty_typeEbEEZZNS1_14partition_implILS5_6ELb0ES3_mN6thrust23THRUST_200600_302600_NS6detail15normal_iteratorINSA_10device_ptrIyEEEEPS6_SG_NS0_5tupleIJSF_S6_EEENSH_IJSG_SG_EEES6_PlJNSB_9not_fun_tI7is_evenIyEEEEEE10hipError_tPvRmT3_T4_T5_T6_T7_T9_mT8_P12ihipStream_tbDpT10_ENKUlT_T0_E_clISt17integral_constantIbLb1EES17_IbLb0EEEEDaS13_S14_EUlS13_E_NS1_11comp_targetILNS1_3genE5ELNS1_11target_archE942ELNS1_3gpuE9ELNS1_3repE0EEENS1_30default_config_static_selectorELNS0_4arch9wavefront6targetE0EEEvT1_
		.amdhsa_group_segment_fixed_size 0
		.amdhsa_private_segment_fixed_size 0
		.amdhsa_kernarg_size 112
		.amdhsa_user_sgpr_count 2
		.amdhsa_user_sgpr_dispatch_ptr 0
		.amdhsa_user_sgpr_queue_ptr 0
		.amdhsa_user_sgpr_kernarg_segment_ptr 1
		.amdhsa_user_sgpr_dispatch_id 0
		.amdhsa_user_sgpr_private_segment_size 0
		.amdhsa_wavefront_size32 1
		.amdhsa_uses_dynamic_stack 0
		.amdhsa_enable_private_segment 0
		.amdhsa_system_sgpr_workgroup_id_x 1
		.amdhsa_system_sgpr_workgroup_id_y 0
		.amdhsa_system_sgpr_workgroup_id_z 0
		.amdhsa_system_sgpr_workgroup_info 0
		.amdhsa_system_vgpr_workitem_id 0
		.amdhsa_next_free_vgpr 1
		.amdhsa_next_free_sgpr 1
		.amdhsa_reserve_vcc 0
		.amdhsa_float_round_mode_32 0
		.amdhsa_float_round_mode_16_64 0
		.amdhsa_float_denorm_mode_32 3
		.amdhsa_float_denorm_mode_16_64 3
		.amdhsa_fp16_overflow 0
		.amdhsa_workgroup_processor_mode 1
		.amdhsa_memory_ordered 1
		.amdhsa_forward_progress 1
		.amdhsa_inst_pref_size 0
		.amdhsa_round_robin_scheduling 0
		.amdhsa_exception_fp_ieee_invalid_op 0
		.amdhsa_exception_fp_denorm_src 0
		.amdhsa_exception_fp_ieee_div_zero 0
		.amdhsa_exception_fp_ieee_overflow 0
		.amdhsa_exception_fp_ieee_underflow 0
		.amdhsa_exception_fp_ieee_inexact 0
		.amdhsa_exception_int_div_zero 0
	.end_amdhsa_kernel
	.section	.text._ZN7rocprim17ROCPRIM_400000_NS6detail17trampoline_kernelINS0_14default_configENS1_25partition_config_selectorILNS1_17partition_subalgoE6EyNS0_10empty_typeEbEEZZNS1_14partition_implILS5_6ELb0ES3_mN6thrust23THRUST_200600_302600_NS6detail15normal_iteratorINSA_10device_ptrIyEEEEPS6_SG_NS0_5tupleIJSF_S6_EEENSH_IJSG_SG_EEES6_PlJNSB_9not_fun_tI7is_evenIyEEEEEE10hipError_tPvRmT3_T4_T5_T6_T7_T9_mT8_P12ihipStream_tbDpT10_ENKUlT_T0_E_clISt17integral_constantIbLb1EES17_IbLb0EEEEDaS13_S14_EUlS13_E_NS1_11comp_targetILNS1_3genE5ELNS1_11target_archE942ELNS1_3gpuE9ELNS1_3repE0EEENS1_30default_config_static_selectorELNS0_4arch9wavefront6targetE0EEEvT1_,"axG",@progbits,_ZN7rocprim17ROCPRIM_400000_NS6detail17trampoline_kernelINS0_14default_configENS1_25partition_config_selectorILNS1_17partition_subalgoE6EyNS0_10empty_typeEbEEZZNS1_14partition_implILS5_6ELb0ES3_mN6thrust23THRUST_200600_302600_NS6detail15normal_iteratorINSA_10device_ptrIyEEEEPS6_SG_NS0_5tupleIJSF_S6_EEENSH_IJSG_SG_EEES6_PlJNSB_9not_fun_tI7is_evenIyEEEEEE10hipError_tPvRmT3_T4_T5_T6_T7_T9_mT8_P12ihipStream_tbDpT10_ENKUlT_T0_E_clISt17integral_constantIbLb1EES17_IbLb0EEEEDaS13_S14_EUlS13_E_NS1_11comp_targetILNS1_3genE5ELNS1_11target_archE942ELNS1_3gpuE9ELNS1_3repE0EEENS1_30default_config_static_selectorELNS0_4arch9wavefront6targetE0EEEvT1_,comdat
.Lfunc_end614:
	.size	_ZN7rocprim17ROCPRIM_400000_NS6detail17trampoline_kernelINS0_14default_configENS1_25partition_config_selectorILNS1_17partition_subalgoE6EyNS0_10empty_typeEbEEZZNS1_14partition_implILS5_6ELb0ES3_mN6thrust23THRUST_200600_302600_NS6detail15normal_iteratorINSA_10device_ptrIyEEEEPS6_SG_NS0_5tupleIJSF_S6_EEENSH_IJSG_SG_EEES6_PlJNSB_9not_fun_tI7is_evenIyEEEEEE10hipError_tPvRmT3_T4_T5_T6_T7_T9_mT8_P12ihipStream_tbDpT10_ENKUlT_T0_E_clISt17integral_constantIbLb1EES17_IbLb0EEEEDaS13_S14_EUlS13_E_NS1_11comp_targetILNS1_3genE5ELNS1_11target_archE942ELNS1_3gpuE9ELNS1_3repE0EEENS1_30default_config_static_selectorELNS0_4arch9wavefront6targetE0EEEvT1_, .Lfunc_end614-_ZN7rocprim17ROCPRIM_400000_NS6detail17trampoline_kernelINS0_14default_configENS1_25partition_config_selectorILNS1_17partition_subalgoE6EyNS0_10empty_typeEbEEZZNS1_14partition_implILS5_6ELb0ES3_mN6thrust23THRUST_200600_302600_NS6detail15normal_iteratorINSA_10device_ptrIyEEEEPS6_SG_NS0_5tupleIJSF_S6_EEENSH_IJSG_SG_EEES6_PlJNSB_9not_fun_tI7is_evenIyEEEEEE10hipError_tPvRmT3_T4_T5_T6_T7_T9_mT8_P12ihipStream_tbDpT10_ENKUlT_T0_E_clISt17integral_constantIbLb1EES17_IbLb0EEEEDaS13_S14_EUlS13_E_NS1_11comp_targetILNS1_3genE5ELNS1_11target_archE942ELNS1_3gpuE9ELNS1_3repE0EEENS1_30default_config_static_selectorELNS0_4arch9wavefront6targetE0EEEvT1_
                                        ; -- End function
	.set _ZN7rocprim17ROCPRIM_400000_NS6detail17trampoline_kernelINS0_14default_configENS1_25partition_config_selectorILNS1_17partition_subalgoE6EyNS0_10empty_typeEbEEZZNS1_14partition_implILS5_6ELb0ES3_mN6thrust23THRUST_200600_302600_NS6detail15normal_iteratorINSA_10device_ptrIyEEEEPS6_SG_NS0_5tupleIJSF_S6_EEENSH_IJSG_SG_EEES6_PlJNSB_9not_fun_tI7is_evenIyEEEEEE10hipError_tPvRmT3_T4_T5_T6_T7_T9_mT8_P12ihipStream_tbDpT10_ENKUlT_T0_E_clISt17integral_constantIbLb1EES17_IbLb0EEEEDaS13_S14_EUlS13_E_NS1_11comp_targetILNS1_3genE5ELNS1_11target_archE942ELNS1_3gpuE9ELNS1_3repE0EEENS1_30default_config_static_selectorELNS0_4arch9wavefront6targetE0EEEvT1_.num_vgpr, 0
	.set _ZN7rocprim17ROCPRIM_400000_NS6detail17trampoline_kernelINS0_14default_configENS1_25partition_config_selectorILNS1_17partition_subalgoE6EyNS0_10empty_typeEbEEZZNS1_14partition_implILS5_6ELb0ES3_mN6thrust23THRUST_200600_302600_NS6detail15normal_iteratorINSA_10device_ptrIyEEEEPS6_SG_NS0_5tupleIJSF_S6_EEENSH_IJSG_SG_EEES6_PlJNSB_9not_fun_tI7is_evenIyEEEEEE10hipError_tPvRmT3_T4_T5_T6_T7_T9_mT8_P12ihipStream_tbDpT10_ENKUlT_T0_E_clISt17integral_constantIbLb1EES17_IbLb0EEEEDaS13_S14_EUlS13_E_NS1_11comp_targetILNS1_3genE5ELNS1_11target_archE942ELNS1_3gpuE9ELNS1_3repE0EEENS1_30default_config_static_selectorELNS0_4arch9wavefront6targetE0EEEvT1_.num_agpr, 0
	.set _ZN7rocprim17ROCPRIM_400000_NS6detail17trampoline_kernelINS0_14default_configENS1_25partition_config_selectorILNS1_17partition_subalgoE6EyNS0_10empty_typeEbEEZZNS1_14partition_implILS5_6ELb0ES3_mN6thrust23THRUST_200600_302600_NS6detail15normal_iteratorINSA_10device_ptrIyEEEEPS6_SG_NS0_5tupleIJSF_S6_EEENSH_IJSG_SG_EEES6_PlJNSB_9not_fun_tI7is_evenIyEEEEEE10hipError_tPvRmT3_T4_T5_T6_T7_T9_mT8_P12ihipStream_tbDpT10_ENKUlT_T0_E_clISt17integral_constantIbLb1EES17_IbLb0EEEEDaS13_S14_EUlS13_E_NS1_11comp_targetILNS1_3genE5ELNS1_11target_archE942ELNS1_3gpuE9ELNS1_3repE0EEENS1_30default_config_static_selectorELNS0_4arch9wavefront6targetE0EEEvT1_.numbered_sgpr, 0
	.set _ZN7rocprim17ROCPRIM_400000_NS6detail17trampoline_kernelINS0_14default_configENS1_25partition_config_selectorILNS1_17partition_subalgoE6EyNS0_10empty_typeEbEEZZNS1_14partition_implILS5_6ELb0ES3_mN6thrust23THRUST_200600_302600_NS6detail15normal_iteratorINSA_10device_ptrIyEEEEPS6_SG_NS0_5tupleIJSF_S6_EEENSH_IJSG_SG_EEES6_PlJNSB_9not_fun_tI7is_evenIyEEEEEE10hipError_tPvRmT3_T4_T5_T6_T7_T9_mT8_P12ihipStream_tbDpT10_ENKUlT_T0_E_clISt17integral_constantIbLb1EES17_IbLb0EEEEDaS13_S14_EUlS13_E_NS1_11comp_targetILNS1_3genE5ELNS1_11target_archE942ELNS1_3gpuE9ELNS1_3repE0EEENS1_30default_config_static_selectorELNS0_4arch9wavefront6targetE0EEEvT1_.num_named_barrier, 0
	.set _ZN7rocprim17ROCPRIM_400000_NS6detail17trampoline_kernelINS0_14default_configENS1_25partition_config_selectorILNS1_17partition_subalgoE6EyNS0_10empty_typeEbEEZZNS1_14partition_implILS5_6ELb0ES3_mN6thrust23THRUST_200600_302600_NS6detail15normal_iteratorINSA_10device_ptrIyEEEEPS6_SG_NS0_5tupleIJSF_S6_EEENSH_IJSG_SG_EEES6_PlJNSB_9not_fun_tI7is_evenIyEEEEEE10hipError_tPvRmT3_T4_T5_T6_T7_T9_mT8_P12ihipStream_tbDpT10_ENKUlT_T0_E_clISt17integral_constantIbLb1EES17_IbLb0EEEEDaS13_S14_EUlS13_E_NS1_11comp_targetILNS1_3genE5ELNS1_11target_archE942ELNS1_3gpuE9ELNS1_3repE0EEENS1_30default_config_static_selectorELNS0_4arch9wavefront6targetE0EEEvT1_.private_seg_size, 0
	.set _ZN7rocprim17ROCPRIM_400000_NS6detail17trampoline_kernelINS0_14default_configENS1_25partition_config_selectorILNS1_17partition_subalgoE6EyNS0_10empty_typeEbEEZZNS1_14partition_implILS5_6ELb0ES3_mN6thrust23THRUST_200600_302600_NS6detail15normal_iteratorINSA_10device_ptrIyEEEEPS6_SG_NS0_5tupleIJSF_S6_EEENSH_IJSG_SG_EEES6_PlJNSB_9not_fun_tI7is_evenIyEEEEEE10hipError_tPvRmT3_T4_T5_T6_T7_T9_mT8_P12ihipStream_tbDpT10_ENKUlT_T0_E_clISt17integral_constantIbLb1EES17_IbLb0EEEEDaS13_S14_EUlS13_E_NS1_11comp_targetILNS1_3genE5ELNS1_11target_archE942ELNS1_3gpuE9ELNS1_3repE0EEENS1_30default_config_static_selectorELNS0_4arch9wavefront6targetE0EEEvT1_.uses_vcc, 0
	.set _ZN7rocprim17ROCPRIM_400000_NS6detail17trampoline_kernelINS0_14default_configENS1_25partition_config_selectorILNS1_17partition_subalgoE6EyNS0_10empty_typeEbEEZZNS1_14partition_implILS5_6ELb0ES3_mN6thrust23THRUST_200600_302600_NS6detail15normal_iteratorINSA_10device_ptrIyEEEEPS6_SG_NS0_5tupleIJSF_S6_EEENSH_IJSG_SG_EEES6_PlJNSB_9not_fun_tI7is_evenIyEEEEEE10hipError_tPvRmT3_T4_T5_T6_T7_T9_mT8_P12ihipStream_tbDpT10_ENKUlT_T0_E_clISt17integral_constantIbLb1EES17_IbLb0EEEEDaS13_S14_EUlS13_E_NS1_11comp_targetILNS1_3genE5ELNS1_11target_archE942ELNS1_3gpuE9ELNS1_3repE0EEENS1_30default_config_static_selectorELNS0_4arch9wavefront6targetE0EEEvT1_.uses_flat_scratch, 0
	.set _ZN7rocprim17ROCPRIM_400000_NS6detail17trampoline_kernelINS0_14default_configENS1_25partition_config_selectorILNS1_17partition_subalgoE6EyNS0_10empty_typeEbEEZZNS1_14partition_implILS5_6ELb0ES3_mN6thrust23THRUST_200600_302600_NS6detail15normal_iteratorINSA_10device_ptrIyEEEEPS6_SG_NS0_5tupleIJSF_S6_EEENSH_IJSG_SG_EEES6_PlJNSB_9not_fun_tI7is_evenIyEEEEEE10hipError_tPvRmT3_T4_T5_T6_T7_T9_mT8_P12ihipStream_tbDpT10_ENKUlT_T0_E_clISt17integral_constantIbLb1EES17_IbLb0EEEEDaS13_S14_EUlS13_E_NS1_11comp_targetILNS1_3genE5ELNS1_11target_archE942ELNS1_3gpuE9ELNS1_3repE0EEENS1_30default_config_static_selectorELNS0_4arch9wavefront6targetE0EEEvT1_.has_dyn_sized_stack, 0
	.set _ZN7rocprim17ROCPRIM_400000_NS6detail17trampoline_kernelINS0_14default_configENS1_25partition_config_selectorILNS1_17partition_subalgoE6EyNS0_10empty_typeEbEEZZNS1_14partition_implILS5_6ELb0ES3_mN6thrust23THRUST_200600_302600_NS6detail15normal_iteratorINSA_10device_ptrIyEEEEPS6_SG_NS0_5tupleIJSF_S6_EEENSH_IJSG_SG_EEES6_PlJNSB_9not_fun_tI7is_evenIyEEEEEE10hipError_tPvRmT3_T4_T5_T6_T7_T9_mT8_P12ihipStream_tbDpT10_ENKUlT_T0_E_clISt17integral_constantIbLb1EES17_IbLb0EEEEDaS13_S14_EUlS13_E_NS1_11comp_targetILNS1_3genE5ELNS1_11target_archE942ELNS1_3gpuE9ELNS1_3repE0EEENS1_30default_config_static_selectorELNS0_4arch9wavefront6targetE0EEEvT1_.has_recursion, 0
	.set _ZN7rocprim17ROCPRIM_400000_NS6detail17trampoline_kernelINS0_14default_configENS1_25partition_config_selectorILNS1_17partition_subalgoE6EyNS0_10empty_typeEbEEZZNS1_14partition_implILS5_6ELb0ES3_mN6thrust23THRUST_200600_302600_NS6detail15normal_iteratorINSA_10device_ptrIyEEEEPS6_SG_NS0_5tupleIJSF_S6_EEENSH_IJSG_SG_EEES6_PlJNSB_9not_fun_tI7is_evenIyEEEEEE10hipError_tPvRmT3_T4_T5_T6_T7_T9_mT8_P12ihipStream_tbDpT10_ENKUlT_T0_E_clISt17integral_constantIbLb1EES17_IbLb0EEEEDaS13_S14_EUlS13_E_NS1_11comp_targetILNS1_3genE5ELNS1_11target_archE942ELNS1_3gpuE9ELNS1_3repE0EEENS1_30default_config_static_selectorELNS0_4arch9wavefront6targetE0EEEvT1_.has_indirect_call, 0
	.section	.AMDGPU.csdata,"",@progbits
; Kernel info:
; codeLenInByte = 0
; TotalNumSgprs: 0
; NumVgprs: 0
; ScratchSize: 0
; MemoryBound: 0
; FloatMode: 240
; IeeeMode: 1
; LDSByteSize: 0 bytes/workgroup (compile time only)
; SGPRBlocks: 0
; VGPRBlocks: 0
; NumSGPRsForWavesPerEU: 1
; NumVGPRsForWavesPerEU: 1
; Occupancy: 16
; WaveLimiterHint : 0
; COMPUTE_PGM_RSRC2:SCRATCH_EN: 0
; COMPUTE_PGM_RSRC2:USER_SGPR: 2
; COMPUTE_PGM_RSRC2:TRAP_HANDLER: 0
; COMPUTE_PGM_RSRC2:TGID_X_EN: 1
; COMPUTE_PGM_RSRC2:TGID_Y_EN: 0
; COMPUTE_PGM_RSRC2:TGID_Z_EN: 0
; COMPUTE_PGM_RSRC2:TIDIG_COMP_CNT: 0
	.section	.text._ZN7rocprim17ROCPRIM_400000_NS6detail17trampoline_kernelINS0_14default_configENS1_25partition_config_selectorILNS1_17partition_subalgoE6EyNS0_10empty_typeEbEEZZNS1_14partition_implILS5_6ELb0ES3_mN6thrust23THRUST_200600_302600_NS6detail15normal_iteratorINSA_10device_ptrIyEEEEPS6_SG_NS0_5tupleIJSF_S6_EEENSH_IJSG_SG_EEES6_PlJNSB_9not_fun_tI7is_evenIyEEEEEE10hipError_tPvRmT3_T4_T5_T6_T7_T9_mT8_P12ihipStream_tbDpT10_ENKUlT_T0_E_clISt17integral_constantIbLb1EES17_IbLb0EEEEDaS13_S14_EUlS13_E_NS1_11comp_targetILNS1_3genE4ELNS1_11target_archE910ELNS1_3gpuE8ELNS1_3repE0EEENS1_30default_config_static_selectorELNS0_4arch9wavefront6targetE0EEEvT1_,"axG",@progbits,_ZN7rocprim17ROCPRIM_400000_NS6detail17trampoline_kernelINS0_14default_configENS1_25partition_config_selectorILNS1_17partition_subalgoE6EyNS0_10empty_typeEbEEZZNS1_14partition_implILS5_6ELb0ES3_mN6thrust23THRUST_200600_302600_NS6detail15normal_iteratorINSA_10device_ptrIyEEEEPS6_SG_NS0_5tupleIJSF_S6_EEENSH_IJSG_SG_EEES6_PlJNSB_9not_fun_tI7is_evenIyEEEEEE10hipError_tPvRmT3_T4_T5_T6_T7_T9_mT8_P12ihipStream_tbDpT10_ENKUlT_T0_E_clISt17integral_constantIbLb1EES17_IbLb0EEEEDaS13_S14_EUlS13_E_NS1_11comp_targetILNS1_3genE4ELNS1_11target_archE910ELNS1_3gpuE8ELNS1_3repE0EEENS1_30default_config_static_selectorELNS0_4arch9wavefront6targetE0EEEvT1_,comdat
	.protected	_ZN7rocprim17ROCPRIM_400000_NS6detail17trampoline_kernelINS0_14default_configENS1_25partition_config_selectorILNS1_17partition_subalgoE6EyNS0_10empty_typeEbEEZZNS1_14partition_implILS5_6ELb0ES3_mN6thrust23THRUST_200600_302600_NS6detail15normal_iteratorINSA_10device_ptrIyEEEEPS6_SG_NS0_5tupleIJSF_S6_EEENSH_IJSG_SG_EEES6_PlJNSB_9not_fun_tI7is_evenIyEEEEEE10hipError_tPvRmT3_T4_T5_T6_T7_T9_mT8_P12ihipStream_tbDpT10_ENKUlT_T0_E_clISt17integral_constantIbLb1EES17_IbLb0EEEEDaS13_S14_EUlS13_E_NS1_11comp_targetILNS1_3genE4ELNS1_11target_archE910ELNS1_3gpuE8ELNS1_3repE0EEENS1_30default_config_static_selectorELNS0_4arch9wavefront6targetE0EEEvT1_ ; -- Begin function _ZN7rocprim17ROCPRIM_400000_NS6detail17trampoline_kernelINS0_14default_configENS1_25partition_config_selectorILNS1_17partition_subalgoE6EyNS0_10empty_typeEbEEZZNS1_14partition_implILS5_6ELb0ES3_mN6thrust23THRUST_200600_302600_NS6detail15normal_iteratorINSA_10device_ptrIyEEEEPS6_SG_NS0_5tupleIJSF_S6_EEENSH_IJSG_SG_EEES6_PlJNSB_9not_fun_tI7is_evenIyEEEEEE10hipError_tPvRmT3_T4_T5_T6_T7_T9_mT8_P12ihipStream_tbDpT10_ENKUlT_T0_E_clISt17integral_constantIbLb1EES17_IbLb0EEEEDaS13_S14_EUlS13_E_NS1_11comp_targetILNS1_3genE4ELNS1_11target_archE910ELNS1_3gpuE8ELNS1_3repE0EEENS1_30default_config_static_selectorELNS0_4arch9wavefront6targetE0EEEvT1_
	.globl	_ZN7rocprim17ROCPRIM_400000_NS6detail17trampoline_kernelINS0_14default_configENS1_25partition_config_selectorILNS1_17partition_subalgoE6EyNS0_10empty_typeEbEEZZNS1_14partition_implILS5_6ELb0ES3_mN6thrust23THRUST_200600_302600_NS6detail15normal_iteratorINSA_10device_ptrIyEEEEPS6_SG_NS0_5tupleIJSF_S6_EEENSH_IJSG_SG_EEES6_PlJNSB_9not_fun_tI7is_evenIyEEEEEE10hipError_tPvRmT3_T4_T5_T6_T7_T9_mT8_P12ihipStream_tbDpT10_ENKUlT_T0_E_clISt17integral_constantIbLb1EES17_IbLb0EEEEDaS13_S14_EUlS13_E_NS1_11comp_targetILNS1_3genE4ELNS1_11target_archE910ELNS1_3gpuE8ELNS1_3repE0EEENS1_30default_config_static_selectorELNS0_4arch9wavefront6targetE0EEEvT1_
	.p2align	8
	.type	_ZN7rocprim17ROCPRIM_400000_NS6detail17trampoline_kernelINS0_14default_configENS1_25partition_config_selectorILNS1_17partition_subalgoE6EyNS0_10empty_typeEbEEZZNS1_14partition_implILS5_6ELb0ES3_mN6thrust23THRUST_200600_302600_NS6detail15normal_iteratorINSA_10device_ptrIyEEEEPS6_SG_NS0_5tupleIJSF_S6_EEENSH_IJSG_SG_EEES6_PlJNSB_9not_fun_tI7is_evenIyEEEEEE10hipError_tPvRmT3_T4_T5_T6_T7_T9_mT8_P12ihipStream_tbDpT10_ENKUlT_T0_E_clISt17integral_constantIbLb1EES17_IbLb0EEEEDaS13_S14_EUlS13_E_NS1_11comp_targetILNS1_3genE4ELNS1_11target_archE910ELNS1_3gpuE8ELNS1_3repE0EEENS1_30default_config_static_selectorELNS0_4arch9wavefront6targetE0EEEvT1_,@function
_ZN7rocprim17ROCPRIM_400000_NS6detail17trampoline_kernelINS0_14default_configENS1_25partition_config_selectorILNS1_17partition_subalgoE6EyNS0_10empty_typeEbEEZZNS1_14partition_implILS5_6ELb0ES3_mN6thrust23THRUST_200600_302600_NS6detail15normal_iteratorINSA_10device_ptrIyEEEEPS6_SG_NS0_5tupleIJSF_S6_EEENSH_IJSG_SG_EEES6_PlJNSB_9not_fun_tI7is_evenIyEEEEEE10hipError_tPvRmT3_T4_T5_T6_T7_T9_mT8_P12ihipStream_tbDpT10_ENKUlT_T0_E_clISt17integral_constantIbLb1EES17_IbLb0EEEEDaS13_S14_EUlS13_E_NS1_11comp_targetILNS1_3genE4ELNS1_11target_archE910ELNS1_3gpuE8ELNS1_3repE0EEENS1_30default_config_static_selectorELNS0_4arch9wavefront6targetE0EEEvT1_: ; @_ZN7rocprim17ROCPRIM_400000_NS6detail17trampoline_kernelINS0_14default_configENS1_25partition_config_selectorILNS1_17partition_subalgoE6EyNS0_10empty_typeEbEEZZNS1_14partition_implILS5_6ELb0ES3_mN6thrust23THRUST_200600_302600_NS6detail15normal_iteratorINSA_10device_ptrIyEEEEPS6_SG_NS0_5tupleIJSF_S6_EEENSH_IJSG_SG_EEES6_PlJNSB_9not_fun_tI7is_evenIyEEEEEE10hipError_tPvRmT3_T4_T5_T6_T7_T9_mT8_P12ihipStream_tbDpT10_ENKUlT_T0_E_clISt17integral_constantIbLb1EES17_IbLb0EEEEDaS13_S14_EUlS13_E_NS1_11comp_targetILNS1_3genE4ELNS1_11target_archE910ELNS1_3gpuE8ELNS1_3repE0EEENS1_30default_config_static_selectorELNS0_4arch9wavefront6targetE0EEEvT1_
; %bb.0:
	.section	.rodata,"a",@progbits
	.p2align	6, 0x0
	.amdhsa_kernel _ZN7rocprim17ROCPRIM_400000_NS6detail17trampoline_kernelINS0_14default_configENS1_25partition_config_selectorILNS1_17partition_subalgoE6EyNS0_10empty_typeEbEEZZNS1_14partition_implILS5_6ELb0ES3_mN6thrust23THRUST_200600_302600_NS6detail15normal_iteratorINSA_10device_ptrIyEEEEPS6_SG_NS0_5tupleIJSF_S6_EEENSH_IJSG_SG_EEES6_PlJNSB_9not_fun_tI7is_evenIyEEEEEE10hipError_tPvRmT3_T4_T5_T6_T7_T9_mT8_P12ihipStream_tbDpT10_ENKUlT_T0_E_clISt17integral_constantIbLb1EES17_IbLb0EEEEDaS13_S14_EUlS13_E_NS1_11comp_targetILNS1_3genE4ELNS1_11target_archE910ELNS1_3gpuE8ELNS1_3repE0EEENS1_30default_config_static_selectorELNS0_4arch9wavefront6targetE0EEEvT1_
		.amdhsa_group_segment_fixed_size 0
		.amdhsa_private_segment_fixed_size 0
		.amdhsa_kernarg_size 112
		.amdhsa_user_sgpr_count 2
		.amdhsa_user_sgpr_dispatch_ptr 0
		.amdhsa_user_sgpr_queue_ptr 0
		.amdhsa_user_sgpr_kernarg_segment_ptr 1
		.amdhsa_user_sgpr_dispatch_id 0
		.amdhsa_user_sgpr_private_segment_size 0
		.amdhsa_wavefront_size32 1
		.amdhsa_uses_dynamic_stack 0
		.amdhsa_enable_private_segment 0
		.amdhsa_system_sgpr_workgroup_id_x 1
		.amdhsa_system_sgpr_workgroup_id_y 0
		.amdhsa_system_sgpr_workgroup_id_z 0
		.amdhsa_system_sgpr_workgroup_info 0
		.amdhsa_system_vgpr_workitem_id 0
		.amdhsa_next_free_vgpr 1
		.amdhsa_next_free_sgpr 1
		.amdhsa_reserve_vcc 0
		.amdhsa_float_round_mode_32 0
		.amdhsa_float_round_mode_16_64 0
		.amdhsa_float_denorm_mode_32 3
		.amdhsa_float_denorm_mode_16_64 3
		.amdhsa_fp16_overflow 0
		.amdhsa_workgroup_processor_mode 1
		.amdhsa_memory_ordered 1
		.amdhsa_forward_progress 1
		.amdhsa_inst_pref_size 0
		.amdhsa_round_robin_scheduling 0
		.amdhsa_exception_fp_ieee_invalid_op 0
		.amdhsa_exception_fp_denorm_src 0
		.amdhsa_exception_fp_ieee_div_zero 0
		.amdhsa_exception_fp_ieee_overflow 0
		.amdhsa_exception_fp_ieee_underflow 0
		.amdhsa_exception_fp_ieee_inexact 0
		.amdhsa_exception_int_div_zero 0
	.end_amdhsa_kernel
	.section	.text._ZN7rocprim17ROCPRIM_400000_NS6detail17trampoline_kernelINS0_14default_configENS1_25partition_config_selectorILNS1_17partition_subalgoE6EyNS0_10empty_typeEbEEZZNS1_14partition_implILS5_6ELb0ES3_mN6thrust23THRUST_200600_302600_NS6detail15normal_iteratorINSA_10device_ptrIyEEEEPS6_SG_NS0_5tupleIJSF_S6_EEENSH_IJSG_SG_EEES6_PlJNSB_9not_fun_tI7is_evenIyEEEEEE10hipError_tPvRmT3_T4_T5_T6_T7_T9_mT8_P12ihipStream_tbDpT10_ENKUlT_T0_E_clISt17integral_constantIbLb1EES17_IbLb0EEEEDaS13_S14_EUlS13_E_NS1_11comp_targetILNS1_3genE4ELNS1_11target_archE910ELNS1_3gpuE8ELNS1_3repE0EEENS1_30default_config_static_selectorELNS0_4arch9wavefront6targetE0EEEvT1_,"axG",@progbits,_ZN7rocprim17ROCPRIM_400000_NS6detail17trampoline_kernelINS0_14default_configENS1_25partition_config_selectorILNS1_17partition_subalgoE6EyNS0_10empty_typeEbEEZZNS1_14partition_implILS5_6ELb0ES3_mN6thrust23THRUST_200600_302600_NS6detail15normal_iteratorINSA_10device_ptrIyEEEEPS6_SG_NS0_5tupleIJSF_S6_EEENSH_IJSG_SG_EEES6_PlJNSB_9not_fun_tI7is_evenIyEEEEEE10hipError_tPvRmT3_T4_T5_T6_T7_T9_mT8_P12ihipStream_tbDpT10_ENKUlT_T0_E_clISt17integral_constantIbLb1EES17_IbLb0EEEEDaS13_S14_EUlS13_E_NS1_11comp_targetILNS1_3genE4ELNS1_11target_archE910ELNS1_3gpuE8ELNS1_3repE0EEENS1_30default_config_static_selectorELNS0_4arch9wavefront6targetE0EEEvT1_,comdat
.Lfunc_end615:
	.size	_ZN7rocprim17ROCPRIM_400000_NS6detail17trampoline_kernelINS0_14default_configENS1_25partition_config_selectorILNS1_17partition_subalgoE6EyNS0_10empty_typeEbEEZZNS1_14partition_implILS5_6ELb0ES3_mN6thrust23THRUST_200600_302600_NS6detail15normal_iteratorINSA_10device_ptrIyEEEEPS6_SG_NS0_5tupleIJSF_S6_EEENSH_IJSG_SG_EEES6_PlJNSB_9not_fun_tI7is_evenIyEEEEEE10hipError_tPvRmT3_T4_T5_T6_T7_T9_mT8_P12ihipStream_tbDpT10_ENKUlT_T0_E_clISt17integral_constantIbLb1EES17_IbLb0EEEEDaS13_S14_EUlS13_E_NS1_11comp_targetILNS1_3genE4ELNS1_11target_archE910ELNS1_3gpuE8ELNS1_3repE0EEENS1_30default_config_static_selectorELNS0_4arch9wavefront6targetE0EEEvT1_, .Lfunc_end615-_ZN7rocprim17ROCPRIM_400000_NS6detail17trampoline_kernelINS0_14default_configENS1_25partition_config_selectorILNS1_17partition_subalgoE6EyNS0_10empty_typeEbEEZZNS1_14partition_implILS5_6ELb0ES3_mN6thrust23THRUST_200600_302600_NS6detail15normal_iteratorINSA_10device_ptrIyEEEEPS6_SG_NS0_5tupleIJSF_S6_EEENSH_IJSG_SG_EEES6_PlJNSB_9not_fun_tI7is_evenIyEEEEEE10hipError_tPvRmT3_T4_T5_T6_T7_T9_mT8_P12ihipStream_tbDpT10_ENKUlT_T0_E_clISt17integral_constantIbLb1EES17_IbLb0EEEEDaS13_S14_EUlS13_E_NS1_11comp_targetILNS1_3genE4ELNS1_11target_archE910ELNS1_3gpuE8ELNS1_3repE0EEENS1_30default_config_static_selectorELNS0_4arch9wavefront6targetE0EEEvT1_
                                        ; -- End function
	.set _ZN7rocprim17ROCPRIM_400000_NS6detail17trampoline_kernelINS0_14default_configENS1_25partition_config_selectorILNS1_17partition_subalgoE6EyNS0_10empty_typeEbEEZZNS1_14partition_implILS5_6ELb0ES3_mN6thrust23THRUST_200600_302600_NS6detail15normal_iteratorINSA_10device_ptrIyEEEEPS6_SG_NS0_5tupleIJSF_S6_EEENSH_IJSG_SG_EEES6_PlJNSB_9not_fun_tI7is_evenIyEEEEEE10hipError_tPvRmT3_T4_T5_T6_T7_T9_mT8_P12ihipStream_tbDpT10_ENKUlT_T0_E_clISt17integral_constantIbLb1EES17_IbLb0EEEEDaS13_S14_EUlS13_E_NS1_11comp_targetILNS1_3genE4ELNS1_11target_archE910ELNS1_3gpuE8ELNS1_3repE0EEENS1_30default_config_static_selectorELNS0_4arch9wavefront6targetE0EEEvT1_.num_vgpr, 0
	.set _ZN7rocprim17ROCPRIM_400000_NS6detail17trampoline_kernelINS0_14default_configENS1_25partition_config_selectorILNS1_17partition_subalgoE6EyNS0_10empty_typeEbEEZZNS1_14partition_implILS5_6ELb0ES3_mN6thrust23THRUST_200600_302600_NS6detail15normal_iteratorINSA_10device_ptrIyEEEEPS6_SG_NS0_5tupleIJSF_S6_EEENSH_IJSG_SG_EEES6_PlJNSB_9not_fun_tI7is_evenIyEEEEEE10hipError_tPvRmT3_T4_T5_T6_T7_T9_mT8_P12ihipStream_tbDpT10_ENKUlT_T0_E_clISt17integral_constantIbLb1EES17_IbLb0EEEEDaS13_S14_EUlS13_E_NS1_11comp_targetILNS1_3genE4ELNS1_11target_archE910ELNS1_3gpuE8ELNS1_3repE0EEENS1_30default_config_static_selectorELNS0_4arch9wavefront6targetE0EEEvT1_.num_agpr, 0
	.set _ZN7rocprim17ROCPRIM_400000_NS6detail17trampoline_kernelINS0_14default_configENS1_25partition_config_selectorILNS1_17partition_subalgoE6EyNS0_10empty_typeEbEEZZNS1_14partition_implILS5_6ELb0ES3_mN6thrust23THRUST_200600_302600_NS6detail15normal_iteratorINSA_10device_ptrIyEEEEPS6_SG_NS0_5tupleIJSF_S6_EEENSH_IJSG_SG_EEES6_PlJNSB_9not_fun_tI7is_evenIyEEEEEE10hipError_tPvRmT3_T4_T5_T6_T7_T9_mT8_P12ihipStream_tbDpT10_ENKUlT_T0_E_clISt17integral_constantIbLb1EES17_IbLb0EEEEDaS13_S14_EUlS13_E_NS1_11comp_targetILNS1_3genE4ELNS1_11target_archE910ELNS1_3gpuE8ELNS1_3repE0EEENS1_30default_config_static_selectorELNS0_4arch9wavefront6targetE0EEEvT1_.numbered_sgpr, 0
	.set _ZN7rocprim17ROCPRIM_400000_NS6detail17trampoline_kernelINS0_14default_configENS1_25partition_config_selectorILNS1_17partition_subalgoE6EyNS0_10empty_typeEbEEZZNS1_14partition_implILS5_6ELb0ES3_mN6thrust23THRUST_200600_302600_NS6detail15normal_iteratorINSA_10device_ptrIyEEEEPS6_SG_NS0_5tupleIJSF_S6_EEENSH_IJSG_SG_EEES6_PlJNSB_9not_fun_tI7is_evenIyEEEEEE10hipError_tPvRmT3_T4_T5_T6_T7_T9_mT8_P12ihipStream_tbDpT10_ENKUlT_T0_E_clISt17integral_constantIbLb1EES17_IbLb0EEEEDaS13_S14_EUlS13_E_NS1_11comp_targetILNS1_3genE4ELNS1_11target_archE910ELNS1_3gpuE8ELNS1_3repE0EEENS1_30default_config_static_selectorELNS0_4arch9wavefront6targetE0EEEvT1_.num_named_barrier, 0
	.set _ZN7rocprim17ROCPRIM_400000_NS6detail17trampoline_kernelINS0_14default_configENS1_25partition_config_selectorILNS1_17partition_subalgoE6EyNS0_10empty_typeEbEEZZNS1_14partition_implILS5_6ELb0ES3_mN6thrust23THRUST_200600_302600_NS6detail15normal_iteratorINSA_10device_ptrIyEEEEPS6_SG_NS0_5tupleIJSF_S6_EEENSH_IJSG_SG_EEES6_PlJNSB_9not_fun_tI7is_evenIyEEEEEE10hipError_tPvRmT3_T4_T5_T6_T7_T9_mT8_P12ihipStream_tbDpT10_ENKUlT_T0_E_clISt17integral_constantIbLb1EES17_IbLb0EEEEDaS13_S14_EUlS13_E_NS1_11comp_targetILNS1_3genE4ELNS1_11target_archE910ELNS1_3gpuE8ELNS1_3repE0EEENS1_30default_config_static_selectorELNS0_4arch9wavefront6targetE0EEEvT1_.private_seg_size, 0
	.set _ZN7rocprim17ROCPRIM_400000_NS6detail17trampoline_kernelINS0_14default_configENS1_25partition_config_selectorILNS1_17partition_subalgoE6EyNS0_10empty_typeEbEEZZNS1_14partition_implILS5_6ELb0ES3_mN6thrust23THRUST_200600_302600_NS6detail15normal_iteratorINSA_10device_ptrIyEEEEPS6_SG_NS0_5tupleIJSF_S6_EEENSH_IJSG_SG_EEES6_PlJNSB_9not_fun_tI7is_evenIyEEEEEE10hipError_tPvRmT3_T4_T5_T6_T7_T9_mT8_P12ihipStream_tbDpT10_ENKUlT_T0_E_clISt17integral_constantIbLb1EES17_IbLb0EEEEDaS13_S14_EUlS13_E_NS1_11comp_targetILNS1_3genE4ELNS1_11target_archE910ELNS1_3gpuE8ELNS1_3repE0EEENS1_30default_config_static_selectorELNS0_4arch9wavefront6targetE0EEEvT1_.uses_vcc, 0
	.set _ZN7rocprim17ROCPRIM_400000_NS6detail17trampoline_kernelINS0_14default_configENS1_25partition_config_selectorILNS1_17partition_subalgoE6EyNS0_10empty_typeEbEEZZNS1_14partition_implILS5_6ELb0ES3_mN6thrust23THRUST_200600_302600_NS6detail15normal_iteratorINSA_10device_ptrIyEEEEPS6_SG_NS0_5tupleIJSF_S6_EEENSH_IJSG_SG_EEES6_PlJNSB_9not_fun_tI7is_evenIyEEEEEE10hipError_tPvRmT3_T4_T5_T6_T7_T9_mT8_P12ihipStream_tbDpT10_ENKUlT_T0_E_clISt17integral_constantIbLb1EES17_IbLb0EEEEDaS13_S14_EUlS13_E_NS1_11comp_targetILNS1_3genE4ELNS1_11target_archE910ELNS1_3gpuE8ELNS1_3repE0EEENS1_30default_config_static_selectorELNS0_4arch9wavefront6targetE0EEEvT1_.uses_flat_scratch, 0
	.set _ZN7rocprim17ROCPRIM_400000_NS6detail17trampoline_kernelINS0_14default_configENS1_25partition_config_selectorILNS1_17partition_subalgoE6EyNS0_10empty_typeEbEEZZNS1_14partition_implILS5_6ELb0ES3_mN6thrust23THRUST_200600_302600_NS6detail15normal_iteratorINSA_10device_ptrIyEEEEPS6_SG_NS0_5tupleIJSF_S6_EEENSH_IJSG_SG_EEES6_PlJNSB_9not_fun_tI7is_evenIyEEEEEE10hipError_tPvRmT3_T4_T5_T6_T7_T9_mT8_P12ihipStream_tbDpT10_ENKUlT_T0_E_clISt17integral_constantIbLb1EES17_IbLb0EEEEDaS13_S14_EUlS13_E_NS1_11comp_targetILNS1_3genE4ELNS1_11target_archE910ELNS1_3gpuE8ELNS1_3repE0EEENS1_30default_config_static_selectorELNS0_4arch9wavefront6targetE0EEEvT1_.has_dyn_sized_stack, 0
	.set _ZN7rocprim17ROCPRIM_400000_NS6detail17trampoline_kernelINS0_14default_configENS1_25partition_config_selectorILNS1_17partition_subalgoE6EyNS0_10empty_typeEbEEZZNS1_14partition_implILS5_6ELb0ES3_mN6thrust23THRUST_200600_302600_NS6detail15normal_iteratorINSA_10device_ptrIyEEEEPS6_SG_NS0_5tupleIJSF_S6_EEENSH_IJSG_SG_EEES6_PlJNSB_9not_fun_tI7is_evenIyEEEEEE10hipError_tPvRmT3_T4_T5_T6_T7_T9_mT8_P12ihipStream_tbDpT10_ENKUlT_T0_E_clISt17integral_constantIbLb1EES17_IbLb0EEEEDaS13_S14_EUlS13_E_NS1_11comp_targetILNS1_3genE4ELNS1_11target_archE910ELNS1_3gpuE8ELNS1_3repE0EEENS1_30default_config_static_selectorELNS0_4arch9wavefront6targetE0EEEvT1_.has_recursion, 0
	.set _ZN7rocprim17ROCPRIM_400000_NS6detail17trampoline_kernelINS0_14default_configENS1_25partition_config_selectorILNS1_17partition_subalgoE6EyNS0_10empty_typeEbEEZZNS1_14partition_implILS5_6ELb0ES3_mN6thrust23THRUST_200600_302600_NS6detail15normal_iteratorINSA_10device_ptrIyEEEEPS6_SG_NS0_5tupleIJSF_S6_EEENSH_IJSG_SG_EEES6_PlJNSB_9not_fun_tI7is_evenIyEEEEEE10hipError_tPvRmT3_T4_T5_T6_T7_T9_mT8_P12ihipStream_tbDpT10_ENKUlT_T0_E_clISt17integral_constantIbLb1EES17_IbLb0EEEEDaS13_S14_EUlS13_E_NS1_11comp_targetILNS1_3genE4ELNS1_11target_archE910ELNS1_3gpuE8ELNS1_3repE0EEENS1_30default_config_static_selectorELNS0_4arch9wavefront6targetE0EEEvT1_.has_indirect_call, 0
	.section	.AMDGPU.csdata,"",@progbits
; Kernel info:
; codeLenInByte = 0
; TotalNumSgprs: 0
; NumVgprs: 0
; ScratchSize: 0
; MemoryBound: 0
; FloatMode: 240
; IeeeMode: 1
; LDSByteSize: 0 bytes/workgroup (compile time only)
; SGPRBlocks: 0
; VGPRBlocks: 0
; NumSGPRsForWavesPerEU: 1
; NumVGPRsForWavesPerEU: 1
; Occupancy: 16
; WaveLimiterHint : 0
; COMPUTE_PGM_RSRC2:SCRATCH_EN: 0
; COMPUTE_PGM_RSRC2:USER_SGPR: 2
; COMPUTE_PGM_RSRC2:TRAP_HANDLER: 0
; COMPUTE_PGM_RSRC2:TGID_X_EN: 1
; COMPUTE_PGM_RSRC2:TGID_Y_EN: 0
; COMPUTE_PGM_RSRC2:TGID_Z_EN: 0
; COMPUTE_PGM_RSRC2:TIDIG_COMP_CNT: 0
	.section	.text._ZN7rocprim17ROCPRIM_400000_NS6detail17trampoline_kernelINS0_14default_configENS1_25partition_config_selectorILNS1_17partition_subalgoE6EyNS0_10empty_typeEbEEZZNS1_14partition_implILS5_6ELb0ES3_mN6thrust23THRUST_200600_302600_NS6detail15normal_iteratorINSA_10device_ptrIyEEEEPS6_SG_NS0_5tupleIJSF_S6_EEENSH_IJSG_SG_EEES6_PlJNSB_9not_fun_tI7is_evenIyEEEEEE10hipError_tPvRmT3_T4_T5_T6_T7_T9_mT8_P12ihipStream_tbDpT10_ENKUlT_T0_E_clISt17integral_constantIbLb1EES17_IbLb0EEEEDaS13_S14_EUlS13_E_NS1_11comp_targetILNS1_3genE3ELNS1_11target_archE908ELNS1_3gpuE7ELNS1_3repE0EEENS1_30default_config_static_selectorELNS0_4arch9wavefront6targetE0EEEvT1_,"axG",@progbits,_ZN7rocprim17ROCPRIM_400000_NS6detail17trampoline_kernelINS0_14default_configENS1_25partition_config_selectorILNS1_17partition_subalgoE6EyNS0_10empty_typeEbEEZZNS1_14partition_implILS5_6ELb0ES3_mN6thrust23THRUST_200600_302600_NS6detail15normal_iteratorINSA_10device_ptrIyEEEEPS6_SG_NS0_5tupleIJSF_S6_EEENSH_IJSG_SG_EEES6_PlJNSB_9not_fun_tI7is_evenIyEEEEEE10hipError_tPvRmT3_T4_T5_T6_T7_T9_mT8_P12ihipStream_tbDpT10_ENKUlT_T0_E_clISt17integral_constantIbLb1EES17_IbLb0EEEEDaS13_S14_EUlS13_E_NS1_11comp_targetILNS1_3genE3ELNS1_11target_archE908ELNS1_3gpuE7ELNS1_3repE0EEENS1_30default_config_static_selectorELNS0_4arch9wavefront6targetE0EEEvT1_,comdat
	.protected	_ZN7rocprim17ROCPRIM_400000_NS6detail17trampoline_kernelINS0_14default_configENS1_25partition_config_selectorILNS1_17partition_subalgoE6EyNS0_10empty_typeEbEEZZNS1_14partition_implILS5_6ELb0ES3_mN6thrust23THRUST_200600_302600_NS6detail15normal_iteratorINSA_10device_ptrIyEEEEPS6_SG_NS0_5tupleIJSF_S6_EEENSH_IJSG_SG_EEES6_PlJNSB_9not_fun_tI7is_evenIyEEEEEE10hipError_tPvRmT3_T4_T5_T6_T7_T9_mT8_P12ihipStream_tbDpT10_ENKUlT_T0_E_clISt17integral_constantIbLb1EES17_IbLb0EEEEDaS13_S14_EUlS13_E_NS1_11comp_targetILNS1_3genE3ELNS1_11target_archE908ELNS1_3gpuE7ELNS1_3repE0EEENS1_30default_config_static_selectorELNS0_4arch9wavefront6targetE0EEEvT1_ ; -- Begin function _ZN7rocprim17ROCPRIM_400000_NS6detail17trampoline_kernelINS0_14default_configENS1_25partition_config_selectorILNS1_17partition_subalgoE6EyNS0_10empty_typeEbEEZZNS1_14partition_implILS5_6ELb0ES3_mN6thrust23THRUST_200600_302600_NS6detail15normal_iteratorINSA_10device_ptrIyEEEEPS6_SG_NS0_5tupleIJSF_S6_EEENSH_IJSG_SG_EEES6_PlJNSB_9not_fun_tI7is_evenIyEEEEEE10hipError_tPvRmT3_T4_T5_T6_T7_T9_mT8_P12ihipStream_tbDpT10_ENKUlT_T0_E_clISt17integral_constantIbLb1EES17_IbLb0EEEEDaS13_S14_EUlS13_E_NS1_11comp_targetILNS1_3genE3ELNS1_11target_archE908ELNS1_3gpuE7ELNS1_3repE0EEENS1_30default_config_static_selectorELNS0_4arch9wavefront6targetE0EEEvT1_
	.globl	_ZN7rocprim17ROCPRIM_400000_NS6detail17trampoline_kernelINS0_14default_configENS1_25partition_config_selectorILNS1_17partition_subalgoE6EyNS0_10empty_typeEbEEZZNS1_14partition_implILS5_6ELb0ES3_mN6thrust23THRUST_200600_302600_NS6detail15normal_iteratorINSA_10device_ptrIyEEEEPS6_SG_NS0_5tupleIJSF_S6_EEENSH_IJSG_SG_EEES6_PlJNSB_9not_fun_tI7is_evenIyEEEEEE10hipError_tPvRmT3_T4_T5_T6_T7_T9_mT8_P12ihipStream_tbDpT10_ENKUlT_T0_E_clISt17integral_constantIbLb1EES17_IbLb0EEEEDaS13_S14_EUlS13_E_NS1_11comp_targetILNS1_3genE3ELNS1_11target_archE908ELNS1_3gpuE7ELNS1_3repE0EEENS1_30default_config_static_selectorELNS0_4arch9wavefront6targetE0EEEvT1_
	.p2align	8
	.type	_ZN7rocprim17ROCPRIM_400000_NS6detail17trampoline_kernelINS0_14default_configENS1_25partition_config_selectorILNS1_17partition_subalgoE6EyNS0_10empty_typeEbEEZZNS1_14partition_implILS5_6ELb0ES3_mN6thrust23THRUST_200600_302600_NS6detail15normal_iteratorINSA_10device_ptrIyEEEEPS6_SG_NS0_5tupleIJSF_S6_EEENSH_IJSG_SG_EEES6_PlJNSB_9not_fun_tI7is_evenIyEEEEEE10hipError_tPvRmT3_T4_T5_T6_T7_T9_mT8_P12ihipStream_tbDpT10_ENKUlT_T0_E_clISt17integral_constantIbLb1EES17_IbLb0EEEEDaS13_S14_EUlS13_E_NS1_11comp_targetILNS1_3genE3ELNS1_11target_archE908ELNS1_3gpuE7ELNS1_3repE0EEENS1_30default_config_static_selectorELNS0_4arch9wavefront6targetE0EEEvT1_,@function
_ZN7rocprim17ROCPRIM_400000_NS6detail17trampoline_kernelINS0_14default_configENS1_25partition_config_selectorILNS1_17partition_subalgoE6EyNS0_10empty_typeEbEEZZNS1_14partition_implILS5_6ELb0ES3_mN6thrust23THRUST_200600_302600_NS6detail15normal_iteratorINSA_10device_ptrIyEEEEPS6_SG_NS0_5tupleIJSF_S6_EEENSH_IJSG_SG_EEES6_PlJNSB_9not_fun_tI7is_evenIyEEEEEE10hipError_tPvRmT3_T4_T5_T6_T7_T9_mT8_P12ihipStream_tbDpT10_ENKUlT_T0_E_clISt17integral_constantIbLb1EES17_IbLb0EEEEDaS13_S14_EUlS13_E_NS1_11comp_targetILNS1_3genE3ELNS1_11target_archE908ELNS1_3gpuE7ELNS1_3repE0EEENS1_30default_config_static_selectorELNS0_4arch9wavefront6targetE0EEEvT1_: ; @_ZN7rocprim17ROCPRIM_400000_NS6detail17trampoline_kernelINS0_14default_configENS1_25partition_config_selectorILNS1_17partition_subalgoE6EyNS0_10empty_typeEbEEZZNS1_14partition_implILS5_6ELb0ES3_mN6thrust23THRUST_200600_302600_NS6detail15normal_iteratorINSA_10device_ptrIyEEEEPS6_SG_NS0_5tupleIJSF_S6_EEENSH_IJSG_SG_EEES6_PlJNSB_9not_fun_tI7is_evenIyEEEEEE10hipError_tPvRmT3_T4_T5_T6_T7_T9_mT8_P12ihipStream_tbDpT10_ENKUlT_T0_E_clISt17integral_constantIbLb1EES17_IbLb0EEEEDaS13_S14_EUlS13_E_NS1_11comp_targetILNS1_3genE3ELNS1_11target_archE908ELNS1_3gpuE7ELNS1_3repE0EEENS1_30default_config_static_selectorELNS0_4arch9wavefront6targetE0EEEvT1_
; %bb.0:
	.section	.rodata,"a",@progbits
	.p2align	6, 0x0
	.amdhsa_kernel _ZN7rocprim17ROCPRIM_400000_NS6detail17trampoline_kernelINS0_14default_configENS1_25partition_config_selectorILNS1_17partition_subalgoE6EyNS0_10empty_typeEbEEZZNS1_14partition_implILS5_6ELb0ES3_mN6thrust23THRUST_200600_302600_NS6detail15normal_iteratorINSA_10device_ptrIyEEEEPS6_SG_NS0_5tupleIJSF_S6_EEENSH_IJSG_SG_EEES6_PlJNSB_9not_fun_tI7is_evenIyEEEEEE10hipError_tPvRmT3_T4_T5_T6_T7_T9_mT8_P12ihipStream_tbDpT10_ENKUlT_T0_E_clISt17integral_constantIbLb1EES17_IbLb0EEEEDaS13_S14_EUlS13_E_NS1_11comp_targetILNS1_3genE3ELNS1_11target_archE908ELNS1_3gpuE7ELNS1_3repE0EEENS1_30default_config_static_selectorELNS0_4arch9wavefront6targetE0EEEvT1_
		.amdhsa_group_segment_fixed_size 0
		.amdhsa_private_segment_fixed_size 0
		.amdhsa_kernarg_size 112
		.amdhsa_user_sgpr_count 2
		.amdhsa_user_sgpr_dispatch_ptr 0
		.amdhsa_user_sgpr_queue_ptr 0
		.amdhsa_user_sgpr_kernarg_segment_ptr 1
		.amdhsa_user_sgpr_dispatch_id 0
		.amdhsa_user_sgpr_private_segment_size 0
		.amdhsa_wavefront_size32 1
		.amdhsa_uses_dynamic_stack 0
		.amdhsa_enable_private_segment 0
		.amdhsa_system_sgpr_workgroup_id_x 1
		.amdhsa_system_sgpr_workgroup_id_y 0
		.amdhsa_system_sgpr_workgroup_id_z 0
		.amdhsa_system_sgpr_workgroup_info 0
		.amdhsa_system_vgpr_workitem_id 0
		.amdhsa_next_free_vgpr 1
		.amdhsa_next_free_sgpr 1
		.amdhsa_reserve_vcc 0
		.amdhsa_float_round_mode_32 0
		.amdhsa_float_round_mode_16_64 0
		.amdhsa_float_denorm_mode_32 3
		.amdhsa_float_denorm_mode_16_64 3
		.amdhsa_fp16_overflow 0
		.amdhsa_workgroup_processor_mode 1
		.amdhsa_memory_ordered 1
		.amdhsa_forward_progress 1
		.amdhsa_inst_pref_size 0
		.amdhsa_round_robin_scheduling 0
		.amdhsa_exception_fp_ieee_invalid_op 0
		.amdhsa_exception_fp_denorm_src 0
		.amdhsa_exception_fp_ieee_div_zero 0
		.amdhsa_exception_fp_ieee_overflow 0
		.amdhsa_exception_fp_ieee_underflow 0
		.amdhsa_exception_fp_ieee_inexact 0
		.amdhsa_exception_int_div_zero 0
	.end_amdhsa_kernel
	.section	.text._ZN7rocprim17ROCPRIM_400000_NS6detail17trampoline_kernelINS0_14default_configENS1_25partition_config_selectorILNS1_17partition_subalgoE6EyNS0_10empty_typeEbEEZZNS1_14partition_implILS5_6ELb0ES3_mN6thrust23THRUST_200600_302600_NS6detail15normal_iteratorINSA_10device_ptrIyEEEEPS6_SG_NS0_5tupleIJSF_S6_EEENSH_IJSG_SG_EEES6_PlJNSB_9not_fun_tI7is_evenIyEEEEEE10hipError_tPvRmT3_T4_T5_T6_T7_T9_mT8_P12ihipStream_tbDpT10_ENKUlT_T0_E_clISt17integral_constantIbLb1EES17_IbLb0EEEEDaS13_S14_EUlS13_E_NS1_11comp_targetILNS1_3genE3ELNS1_11target_archE908ELNS1_3gpuE7ELNS1_3repE0EEENS1_30default_config_static_selectorELNS0_4arch9wavefront6targetE0EEEvT1_,"axG",@progbits,_ZN7rocprim17ROCPRIM_400000_NS6detail17trampoline_kernelINS0_14default_configENS1_25partition_config_selectorILNS1_17partition_subalgoE6EyNS0_10empty_typeEbEEZZNS1_14partition_implILS5_6ELb0ES3_mN6thrust23THRUST_200600_302600_NS6detail15normal_iteratorINSA_10device_ptrIyEEEEPS6_SG_NS0_5tupleIJSF_S6_EEENSH_IJSG_SG_EEES6_PlJNSB_9not_fun_tI7is_evenIyEEEEEE10hipError_tPvRmT3_T4_T5_T6_T7_T9_mT8_P12ihipStream_tbDpT10_ENKUlT_T0_E_clISt17integral_constantIbLb1EES17_IbLb0EEEEDaS13_S14_EUlS13_E_NS1_11comp_targetILNS1_3genE3ELNS1_11target_archE908ELNS1_3gpuE7ELNS1_3repE0EEENS1_30default_config_static_selectorELNS0_4arch9wavefront6targetE0EEEvT1_,comdat
.Lfunc_end616:
	.size	_ZN7rocprim17ROCPRIM_400000_NS6detail17trampoline_kernelINS0_14default_configENS1_25partition_config_selectorILNS1_17partition_subalgoE6EyNS0_10empty_typeEbEEZZNS1_14partition_implILS5_6ELb0ES3_mN6thrust23THRUST_200600_302600_NS6detail15normal_iteratorINSA_10device_ptrIyEEEEPS6_SG_NS0_5tupleIJSF_S6_EEENSH_IJSG_SG_EEES6_PlJNSB_9not_fun_tI7is_evenIyEEEEEE10hipError_tPvRmT3_T4_T5_T6_T7_T9_mT8_P12ihipStream_tbDpT10_ENKUlT_T0_E_clISt17integral_constantIbLb1EES17_IbLb0EEEEDaS13_S14_EUlS13_E_NS1_11comp_targetILNS1_3genE3ELNS1_11target_archE908ELNS1_3gpuE7ELNS1_3repE0EEENS1_30default_config_static_selectorELNS0_4arch9wavefront6targetE0EEEvT1_, .Lfunc_end616-_ZN7rocprim17ROCPRIM_400000_NS6detail17trampoline_kernelINS0_14default_configENS1_25partition_config_selectorILNS1_17partition_subalgoE6EyNS0_10empty_typeEbEEZZNS1_14partition_implILS5_6ELb0ES3_mN6thrust23THRUST_200600_302600_NS6detail15normal_iteratorINSA_10device_ptrIyEEEEPS6_SG_NS0_5tupleIJSF_S6_EEENSH_IJSG_SG_EEES6_PlJNSB_9not_fun_tI7is_evenIyEEEEEE10hipError_tPvRmT3_T4_T5_T6_T7_T9_mT8_P12ihipStream_tbDpT10_ENKUlT_T0_E_clISt17integral_constantIbLb1EES17_IbLb0EEEEDaS13_S14_EUlS13_E_NS1_11comp_targetILNS1_3genE3ELNS1_11target_archE908ELNS1_3gpuE7ELNS1_3repE0EEENS1_30default_config_static_selectorELNS0_4arch9wavefront6targetE0EEEvT1_
                                        ; -- End function
	.set _ZN7rocprim17ROCPRIM_400000_NS6detail17trampoline_kernelINS0_14default_configENS1_25partition_config_selectorILNS1_17partition_subalgoE6EyNS0_10empty_typeEbEEZZNS1_14partition_implILS5_6ELb0ES3_mN6thrust23THRUST_200600_302600_NS6detail15normal_iteratorINSA_10device_ptrIyEEEEPS6_SG_NS0_5tupleIJSF_S6_EEENSH_IJSG_SG_EEES6_PlJNSB_9not_fun_tI7is_evenIyEEEEEE10hipError_tPvRmT3_T4_T5_T6_T7_T9_mT8_P12ihipStream_tbDpT10_ENKUlT_T0_E_clISt17integral_constantIbLb1EES17_IbLb0EEEEDaS13_S14_EUlS13_E_NS1_11comp_targetILNS1_3genE3ELNS1_11target_archE908ELNS1_3gpuE7ELNS1_3repE0EEENS1_30default_config_static_selectorELNS0_4arch9wavefront6targetE0EEEvT1_.num_vgpr, 0
	.set _ZN7rocprim17ROCPRIM_400000_NS6detail17trampoline_kernelINS0_14default_configENS1_25partition_config_selectorILNS1_17partition_subalgoE6EyNS0_10empty_typeEbEEZZNS1_14partition_implILS5_6ELb0ES3_mN6thrust23THRUST_200600_302600_NS6detail15normal_iteratorINSA_10device_ptrIyEEEEPS6_SG_NS0_5tupleIJSF_S6_EEENSH_IJSG_SG_EEES6_PlJNSB_9not_fun_tI7is_evenIyEEEEEE10hipError_tPvRmT3_T4_T5_T6_T7_T9_mT8_P12ihipStream_tbDpT10_ENKUlT_T0_E_clISt17integral_constantIbLb1EES17_IbLb0EEEEDaS13_S14_EUlS13_E_NS1_11comp_targetILNS1_3genE3ELNS1_11target_archE908ELNS1_3gpuE7ELNS1_3repE0EEENS1_30default_config_static_selectorELNS0_4arch9wavefront6targetE0EEEvT1_.num_agpr, 0
	.set _ZN7rocprim17ROCPRIM_400000_NS6detail17trampoline_kernelINS0_14default_configENS1_25partition_config_selectorILNS1_17partition_subalgoE6EyNS0_10empty_typeEbEEZZNS1_14partition_implILS5_6ELb0ES3_mN6thrust23THRUST_200600_302600_NS6detail15normal_iteratorINSA_10device_ptrIyEEEEPS6_SG_NS0_5tupleIJSF_S6_EEENSH_IJSG_SG_EEES6_PlJNSB_9not_fun_tI7is_evenIyEEEEEE10hipError_tPvRmT3_T4_T5_T6_T7_T9_mT8_P12ihipStream_tbDpT10_ENKUlT_T0_E_clISt17integral_constantIbLb1EES17_IbLb0EEEEDaS13_S14_EUlS13_E_NS1_11comp_targetILNS1_3genE3ELNS1_11target_archE908ELNS1_3gpuE7ELNS1_3repE0EEENS1_30default_config_static_selectorELNS0_4arch9wavefront6targetE0EEEvT1_.numbered_sgpr, 0
	.set _ZN7rocprim17ROCPRIM_400000_NS6detail17trampoline_kernelINS0_14default_configENS1_25partition_config_selectorILNS1_17partition_subalgoE6EyNS0_10empty_typeEbEEZZNS1_14partition_implILS5_6ELb0ES3_mN6thrust23THRUST_200600_302600_NS6detail15normal_iteratorINSA_10device_ptrIyEEEEPS6_SG_NS0_5tupleIJSF_S6_EEENSH_IJSG_SG_EEES6_PlJNSB_9not_fun_tI7is_evenIyEEEEEE10hipError_tPvRmT3_T4_T5_T6_T7_T9_mT8_P12ihipStream_tbDpT10_ENKUlT_T0_E_clISt17integral_constantIbLb1EES17_IbLb0EEEEDaS13_S14_EUlS13_E_NS1_11comp_targetILNS1_3genE3ELNS1_11target_archE908ELNS1_3gpuE7ELNS1_3repE0EEENS1_30default_config_static_selectorELNS0_4arch9wavefront6targetE0EEEvT1_.num_named_barrier, 0
	.set _ZN7rocprim17ROCPRIM_400000_NS6detail17trampoline_kernelINS0_14default_configENS1_25partition_config_selectorILNS1_17partition_subalgoE6EyNS0_10empty_typeEbEEZZNS1_14partition_implILS5_6ELb0ES3_mN6thrust23THRUST_200600_302600_NS6detail15normal_iteratorINSA_10device_ptrIyEEEEPS6_SG_NS0_5tupleIJSF_S6_EEENSH_IJSG_SG_EEES6_PlJNSB_9not_fun_tI7is_evenIyEEEEEE10hipError_tPvRmT3_T4_T5_T6_T7_T9_mT8_P12ihipStream_tbDpT10_ENKUlT_T0_E_clISt17integral_constantIbLb1EES17_IbLb0EEEEDaS13_S14_EUlS13_E_NS1_11comp_targetILNS1_3genE3ELNS1_11target_archE908ELNS1_3gpuE7ELNS1_3repE0EEENS1_30default_config_static_selectorELNS0_4arch9wavefront6targetE0EEEvT1_.private_seg_size, 0
	.set _ZN7rocprim17ROCPRIM_400000_NS6detail17trampoline_kernelINS0_14default_configENS1_25partition_config_selectorILNS1_17partition_subalgoE6EyNS0_10empty_typeEbEEZZNS1_14partition_implILS5_6ELb0ES3_mN6thrust23THRUST_200600_302600_NS6detail15normal_iteratorINSA_10device_ptrIyEEEEPS6_SG_NS0_5tupleIJSF_S6_EEENSH_IJSG_SG_EEES6_PlJNSB_9not_fun_tI7is_evenIyEEEEEE10hipError_tPvRmT3_T4_T5_T6_T7_T9_mT8_P12ihipStream_tbDpT10_ENKUlT_T0_E_clISt17integral_constantIbLb1EES17_IbLb0EEEEDaS13_S14_EUlS13_E_NS1_11comp_targetILNS1_3genE3ELNS1_11target_archE908ELNS1_3gpuE7ELNS1_3repE0EEENS1_30default_config_static_selectorELNS0_4arch9wavefront6targetE0EEEvT1_.uses_vcc, 0
	.set _ZN7rocprim17ROCPRIM_400000_NS6detail17trampoline_kernelINS0_14default_configENS1_25partition_config_selectorILNS1_17partition_subalgoE6EyNS0_10empty_typeEbEEZZNS1_14partition_implILS5_6ELb0ES3_mN6thrust23THRUST_200600_302600_NS6detail15normal_iteratorINSA_10device_ptrIyEEEEPS6_SG_NS0_5tupleIJSF_S6_EEENSH_IJSG_SG_EEES6_PlJNSB_9not_fun_tI7is_evenIyEEEEEE10hipError_tPvRmT3_T4_T5_T6_T7_T9_mT8_P12ihipStream_tbDpT10_ENKUlT_T0_E_clISt17integral_constantIbLb1EES17_IbLb0EEEEDaS13_S14_EUlS13_E_NS1_11comp_targetILNS1_3genE3ELNS1_11target_archE908ELNS1_3gpuE7ELNS1_3repE0EEENS1_30default_config_static_selectorELNS0_4arch9wavefront6targetE0EEEvT1_.uses_flat_scratch, 0
	.set _ZN7rocprim17ROCPRIM_400000_NS6detail17trampoline_kernelINS0_14default_configENS1_25partition_config_selectorILNS1_17partition_subalgoE6EyNS0_10empty_typeEbEEZZNS1_14partition_implILS5_6ELb0ES3_mN6thrust23THRUST_200600_302600_NS6detail15normal_iteratorINSA_10device_ptrIyEEEEPS6_SG_NS0_5tupleIJSF_S6_EEENSH_IJSG_SG_EEES6_PlJNSB_9not_fun_tI7is_evenIyEEEEEE10hipError_tPvRmT3_T4_T5_T6_T7_T9_mT8_P12ihipStream_tbDpT10_ENKUlT_T0_E_clISt17integral_constantIbLb1EES17_IbLb0EEEEDaS13_S14_EUlS13_E_NS1_11comp_targetILNS1_3genE3ELNS1_11target_archE908ELNS1_3gpuE7ELNS1_3repE0EEENS1_30default_config_static_selectorELNS0_4arch9wavefront6targetE0EEEvT1_.has_dyn_sized_stack, 0
	.set _ZN7rocprim17ROCPRIM_400000_NS6detail17trampoline_kernelINS0_14default_configENS1_25partition_config_selectorILNS1_17partition_subalgoE6EyNS0_10empty_typeEbEEZZNS1_14partition_implILS5_6ELb0ES3_mN6thrust23THRUST_200600_302600_NS6detail15normal_iteratorINSA_10device_ptrIyEEEEPS6_SG_NS0_5tupleIJSF_S6_EEENSH_IJSG_SG_EEES6_PlJNSB_9not_fun_tI7is_evenIyEEEEEE10hipError_tPvRmT3_T4_T5_T6_T7_T9_mT8_P12ihipStream_tbDpT10_ENKUlT_T0_E_clISt17integral_constantIbLb1EES17_IbLb0EEEEDaS13_S14_EUlS13_E_NS1_11comp_targetILNS1_3genE3ELNS1_11target_archE908ELNS1_3gpuE7ELNS1_3repE0EEENS1_30default_config_static_selectorELNS0_4arch9wavefront6targetE0EEEvT1_.has_recursion, 0
	.set _ZN7rocprim17ROCPRIM_400000_NS6detail17trampoline_kernelINS0_14default_configENS1_25partition_config_selectorILNS1_17partition_subalgoE6EyNS0_10empty_typeEbEEZZNS1_14partition_implILS5_6ELb0ES3_mN6thrust23THRUST_200600_302600_NS6detail15normal_iteratorINSA_10device_ptrIyEEEEPS6_SG_NS0_5tupleIJSF_S6_EEENSH_IJSG_SG_EEES6_PlJNSB_9not_fun_tI7is_evenIyEEEEEE10hipError_tPvRmT3_T4_T5_T6_T7_T9_mT8_P12ihipStream_tbDpT10_ENKUlT_T0_E_clISt17integral_constantIbLb1EES17_IbLb0EEEEDaS13_S14_EUlS13_E_NS1_11comp_targetILNS1_3genE3ELNS1_11target_archE908ELNS1_3gpuE7ELNS1_3repE0EEENS1_30default_config_static_selectorELNS0_4arch9wavefront6targetE0EEEvT1_.has_indirect_call, 0
	.section	.AMDGPU.csdata,"",@progbits
; Kernel info:
; codeLenInByte = 0
; TotalNumSgprs: 0
; NumVgprs: 0
; ScratchSize: 0
; MemoryBound: 0
; FloatMode: 240
; IeeeMode: 1
; LDSByteSize: 0 bytes/workgroup (compile time only)
; SGPRBlocks: 0
; VGPRBlocks: 0
; NumSGPRsForWavesPerEU: 1
; NumVGPRsForWavesPerEU: 1
; Occupancy: 16
; WaveLimiterHint : 0
; COMPUTE_PGM_RSRC2:SCRATCH_EN: 0
; COMPUTE_PGM_RSRC2:USER_SGPR: 2
; COMPUTE_PGM_RSRC2:TRAP_HANDLER: 0
; COMPUTE_PGM_RSRC2:TGID_X_EN: 1
; COMPUTE_PGM_RSRC2:TGID_Y_EN: 0
; COMPUTE_PGM_RSRC2:TGID_Z_EN: 0
; COMPUTE_PGM_RSRC2:TIDIG_COMP_CNT: 0
	.section	.text._ZN7rocprim17ROCPRIM_400000_NS6detail17trampoline_kernelINS0_14default_configENS1_25partition_config_selectorILNS1_17partition_subalgoE6EyNS0_10empty_typeEbEEZZNS1_14partition_implILS5_6ELb0ES3_mN6thrust23THRUST_200600_302600_NS6detail15normal_iteratorINSA_10device_ptrIyEEEEPS6_SG_NS0_5tupleIJSF_S6_EEENSH_IJSG_SG_EEES6_PlJNSB_9not_fun_tI7is_evenIyEEEEEE10hipError_tPvRmT3_T4_T5_T6_T7_T9_mT8_P12ihipStream_tbDpT10_ENKUlT_T0_E_clISt17integral_constantIbLb1EES17_IbLb0EEEEDaS13_S14_EUlS13_E_NS1_11comp_targetILNS1_3genE2ELNS1_11target_archE906ELNS1_3gpuE6ELNS1_3repE0EEENS1_30default_config_static_selectorELNS0_4arch9wavefront6targetE0EEEvT1_,"axG",@progbits,_ZN7rocprim17ROCPRIM_400000_NS6detail17trampoline_kernelINS0_14default_configENS1_25partition_config_selectorILNS1_17partition_subalgoE6EyNS0_10empty_typeEbEEZZNS1_14partition_implILS5_6ELb0ES3_mN6thrust23THRUST_200600_302600_NS6detail15normal_iteratorINSA_10device_ptrIyEEEEPS6_SG_NS0_5tupleIJSF_S6_EEENSH_IJSG_SG_EEES6_PlJNSB_9not_fun_tI7is_evenIyEEEEEE10hipError_tPvRmT3_T4_T5_T6_T7_T9_mT8_P12ihipStream_tbDpT10_ENKUlT_T0_E_clISt17integral_constantIbLb1EES17_IbLb0EEEEDaS13_S14_EUlS13_E_NS1_11comp_targetILNS1_3genE2ELNS1_11target_archE906ELNS1_3gpuE6ELNS1_3repE0EEENS1_30default_config_static_selectorELNS0_4arch9wavefront6targetE0EEEvT1_,comdat
	.protected	_ZN7rocprim17ROCPRIM_400000_NS6detail17trampoline_kernelINS0_14default_configENS1_25partition_config_selectorILNS1_17partition_subalgoE6EyNS0_10empty_typeEbEEZZNS1_14partition_implILS5_6ELb0ES3_mN6thrust23THRUST_200600_302600_NS6detail15normal_iteratorINSA_10device_ptrIyEEEEPS6_SG_NS0_5tupleIJSF_S6_EEENSH_IJSG_SG_EEES6_PlJNSB_9not_fun_tI7is_evenIyEEEEEE10hipError_tPvRmT3_T4_T5_T6_T7_T9_mT8_P12ihipStream_tbDpT10_ENKUlT_T0_E_clISt17integral_constantIbLb1EES17_IbLb0EEEEDaS13_S14_EUlS13_E_NS1_11comp_targetILNS1_3genE2ELNS1_11target_archE906ELNS1_3gpuE6ELNS1_3repE0EEENS1_30default_config_static_selectorELNS0_4arch9wavefront6targetE0EEEvT1_ ; -- Begin function _ZN7rocprim17ROCPRIM_400000_NS6detail17trampoline_kernelINS0_14default_configENS1_25partition_config_selectorILNS1_17partition_subalgoE6EyNS0_10empty_typeEbEEZZNS1_14partition_implILS5_6ELb0ES3_mN6thrust23THRUST_200600_302600_NS6detail15normal_iteratorINSA_10device_ptrIyEEEEPS6_SG_NS0_5tupleIJSF_S6_EEENSH_IJSG_SG_EEES6_PlJNSB_9not_fun_tI7is_evenIyEEEEEE10hipError_tPvRmT3_T4_T5_T6_T7_T9_mT8_P12ihipStream_tbDpT10_ENKUlT_T0_E_clISt17integral_constantIbLb1EES17_IbLb0EEEEDaS13_S14_EUlS13_E_NS1_11comp_targetILNS1_3genE2ELNS1_11target_archE906ELNS1_3gpuE6ELNS1_3repE0EEENS1_30default_config_static_selectorELNS0_4arch9wavefront6targetE0EEEvT1_
	.globl	_ZN7rocprim17ROCPRIM_400000_NS6detail17trampoline_kernelINS0_14default_configENS1_25partition_config_selectorILNS1_17partition_subalgoE6EyNS0_10empty_typeEbEEZZNS1_14partition_implILS5_6ELb0ES3_mN6thrust23THRUST_200600_302600_NS6detail15normal_iteratorINSA_10device_ptrIyEEEEPS6_SG_NS0_5tupleIJSF_S6_EEENSH_IJSG_SG_EEES6_PlJNSB_9not_fun_tI7is_evenIyEEEEEE10hipError_tPvRmT3_T4_T5_T6_T7_T9_mT8_P12ihipStream_tbDpT10_ENKUlT_T0_E_clISt17integral_constantIbLb1EES17_IbLb0EEEEDaS13_S14_EUlS13_E_NS1_11comp_targetILNS1_3genE2ELNS1_11target_archE906ELNS1_3gpuE6ELNS1_3repE0EEENS1_30default_config_static_selectorELNS0_4arch9wavefront6targetE0EEEvT1_
	.p2align	8
	.type	_ZN7rocprim17ROCPRIM_400000_NS6detail17trampoline_kernelINS0_14default_configENS1_25partition_config_selectorILNS1_17partition_subalgoE6EyNS0_10empty_typeEbEEZZNS1_14partition_implILS5_6ELb0ES3_mN6thrust23THRUST_200600_302600_NS6detail15normal_iteratorINSA_10device_ptrIyEEEEPS6_SG_NS0_5tupleIJSF_S6_EEENSH_IJSG_SG_EEES6_PlJNSB_9not_fun_tI7is_evenIyEEEEEE10hipError_tPvRmT3_T4_T5_T6_T7_T9_mT8_P12ihipStream_tbDpT10_ENKUlT_T0_E_clISt17integral_constantIbLb1EES17_IbLb0EEEEDaS13_S14_EUlS13_E_NS1_11comp_targetILNS1_3genE2ELNS1_11target_archE906ELNS1_3gpuE6ELNS1_3repE0EEENS1_30default_config_static_selectorELNS0_4arch9wavefront6targetE0EEEvT1_,@function
_ZN7rocprim17ROCPRIM_400000_NS6detail17trampoline_kernelINS0_14default_configENS1_25partition_config_selectorILNS1_17partition_subalgoE6EyNS0_10empty_typeEbEEZZNS1_14partition_implILS5_6ELb0ES3_mN6thrust23THRUST_200600_302600_NS6detail15normal_iteratorINSA_10device_ptrIyEEEEPS6_SG_NS0_5tupleIJSF_S6_EEENSH_IJSG_SG_EEES6_PlJNSB_9not_fun_tI7is_evenIyEEEEEE10hipError_tPvRmT3_T4_T5_T6_T7_T9_mT8_P12ihipStream_tbDpT10_ENKUlT_T0_E_clISt17integral_constantIbLb1EES17_IbLb0EEEEDaS13_S14_EUlS13_E_NS1_11comp_targetILNS1_3genE2ELNS1_11target_archE906ELNS1_3gpuE6ELNS1_3repE0EEENS1_30default_config_static_selectorELNS0_4arch9wavefront6targetE0EEEvT1_: ; @_ZN7rocprim17ROCPRIM_400000_NS6detail17trampoline_kernelINS0_14default_configENS1_25partition_config_selectorILNS1_17partition_subalgoE6EyNS0_10empty_typeEbEEZZNS1_14partition_implILS5_6ELb0ES3_mN6thrust23THRUST_200600_302600_NS6detail15normal_iteratorINSA_10device_ptrIyEEEEPS6_SG_NS0_5tupleIJSF_S6_EEENSH_IJSG_SG_EEES6_PlJNSB_9not_fun_tI7is_evenIyEEEEEE10hipError_tPvRmT3_T4_T5_T6_T7_T9_mT8_P12ihipStream_tbDpT10_ENKUlT_T0_E_clISt17integral_constantIbLb1EES17_IbLb0EEEEDaS13_S14_EUlS13_E_NS1_11comp_targetILNS1_3genE2ELNS1_11target_archE906ELNS1_3gpuE6ELNS1_3repE0EEENS1_30default_config_static_selectorELNS0_4arch9wavefront6targetE0EEEvT1_
; %bb.0:
	.section	.rodata,"a",@progbits
	.p2align	6, 0x0
	.amdhsa_kernel _ZN7rocprim17ROCPRIM_400000_NS6detail17trampoline_kernelINS0_14default_configENS1_25partition_config_selectorILNS1_17partition_subalgoE6EyNS0_10empty_typeEbEEZZNS1_14partition_implILS5_6ELb0ES3_mN6thrust23THRUST_200600_302600_NS6detail15normal_iteratorINSA_10device_ptrIyEEEEPS6_SG_NS0_5tupleIJSF_S6_EEENSH_IJSG_SG_EEES6_PlJNSB_9not_fun_tI7is_evenIyEEEEEE10hipError_tPvRmT3_T4_T5_T6_T7_T9_mT8_P12ihipStream_tbDpT10_ENKUlT_T0_E_clISt17integral_constantIbLb1EES17_IbLb0EEEEDaS13_S14_EUlS13_E_NS1_11comp_targetILNS1_3genE2ELNS1_11target_archE906ELNS1_3gpuE6ELNS1_3repE0EEENS1_30default_config_static_selectorELNS0_4arch9wavefront6targetE0EEEvT1_
		.amdhsa_group_segment_fixed_size 0
		.amdhsa_private_segment_fixed_size 0
		.amdhsa_kernarg_size 112
		.amdhsa_user_sgpr_count 2
		.amdhsa_user_sgpr_dispatch_ptr 0
		.amdhsa_user_sgpr_queue_ptr 0
		.amdhsa_user_sgpr_kernarg_segment_ptr 1
		.amdhsa_user_sgpr_dispatch_id 0
		.amdhsa_user_sgpr_private_segment_size 0
		.amdhsa_wavefront_size32 1
		.amdhsa_uses_dynamic_stack 0
		.amdhsa_enable_private_segment 0
		.amdhsa_system_sgpr_workgroup_id_x 1
		.amdhsa_system_sgpr_workgroup_id_y 0
		.amdhsa_system_sgpr_workgroup_id_z 0
		.amdhsa_system_sgpr_workgroup_info 0
		.amdhsa_system_vgpr_workitem_id 0
		.amdhsa_next_free_vgpr 1
		.amdhsa_next_free_sgpr 1
		.amdhsa_reserve_vcc 0
		.amdhsa_float_round_mode_32 0
		.amdhsa_float_round_mode_16_64 0
		.amdhsa_float_denorm_mode_32 3
		.amdhsa_float_denorm_mode_16_64 3
		.amdhsa_fp16_overflow 0
		.amdhsa_workgroup_processor_mode 1
		.amdhsa_memory_ordered 1
		.amdhsa_forward_progress 1
		.amdhsa_inst_pref_size 0
		.amdhsa_round_robin_scheduling 0
		.amdhsa_exception_fp_ieee_invalid_op 0
		.amdhsa_exception_fp_denorm_src 0
		.amdhsa_exception_fp_ieee_div_zero 0
		.amdhsa_exception_fp_ieee_overflow 0
		.amdhsa_exception_fp_ieee_underflow 0
		.amdhsa_exception_fp_ieee_inexact 0
		.amdhsa_exception_int_div_zero 0
	.end_amdhsa_kernel
	.section	.text._ZN7rocprim17ROCPRIM_400000_NS6detail17trampoline_kernelINS0_14default_configENS1_25partition_config_selectorILNS1_17partition_subalgoE6EyNS0_10empty_typeEbEEZZNS1_14partition_implILS5_6ELb0ES3_mN6thrust23THRUST_200600_302600_NS6detail15normal_iteratorINSA_10device_ptrIyEEEEPS6_SG_NS0_5tupleIJSF_S6_EEENSH_IJSG_SG_EEES6_PlJNSB_9not_fun_tI7is_evenIyEEEEEE10hipError_tPvRmT3_T4_T5_T6_T7_T9_mT8_P12ihipStream_tbDpT10_ENKUlT_T0_E_clISt17integral_constantIbLb1EES17_IbLb0EEEEDaS13_S14_EUlS13_E_NS1_11comp_targetILNS1_3genE2ELNS1_11target_archE906ELNS1_3gpuE6ELNS1_3repE0EEENS1_30default_config_static_selectorELNS0_4arch9wavefront6targetE0EEEvT1_,"axG",@progbits,_ZN7rocprim17ROCPRIM_400000_NS6detail17trampoline_kernelINS0_14default_configENS1_25partition_config_selectorILNS1_17partition_subalgoE6EyNS0_10empty_typeEbEEZZNS1_14partition_implILS5_6ELb0ES3_mN6thrust23THRUST_200600_302600_NS6detail15normal_iteratorINSA_10device_ptrIyEEEEPS6_SG_NS0_5tupleIJSF_S6_EEENSH_IJSG_SG_EEES6_PlJNSB_9not_fun_tI7is_evenIyEEEEEE10hipError_tPvRmT3_T4_T5_T6_T7_T9_mT8_P12ihipStream_tbDpT10_ENKUlT_T0_E_clISt17integral_constantIbLb1EES17_IbLb0EEEEDaS13_S14_EUlS13_E_NS1_11comp_targetILNS1_3genE2ELNS1_11target_archE906ELNS1_3gpuE6ELNS1_3repE0EEENS1_30default_config_static_selectorELNS0_4arch9wavefront6targetE0EEEvT1_,comdat
.Lfunc_end617:
	.size	_ZN7rocprim17ROCPRIM_400000_NS6detail17trampoline_kernelINS0_14default_configENS1_25partition_config_selectorILNS1_17partition_subalgoE6EyNS0_10empty_typeEbEEZZNS1_14partition_implILS5_6ELb0ES3_mN6thrust23THRUST_200600_302600_NS6detail15normal_iteratorINSA_10device_ptrIyEEEEPS6_SG_NS0_5tupleIJSF_S6_EEENSH_IJSG_SG_EEES6_PlJNSB_9not_fun_tI7is_evenIyEEEEEE10hipError_tPvRmT3_T4_T5_T6_T7_T9_mT8_P12ihipStream_tbDpT10_ENKUlT_T0_E_clISt17integral_constantIbLb1EES17_IbLb0EEEEDaS13_S14_EUlS13_E_NS1_11comp_targetILNS1_3genE2ELNS1_11target_archE906ELNS1_3gpuE6ELNS1_3repE0EEENS1_30default_config_static_selectorELNS0_4arch9wavefront6targetE0EEEvT1_, .Lfunc_end617-_ZN7rocprim17ROCPRIM_400000_NS6detail17trampoline_kernelINS0_14default_configENS1_25partition_config_selectorILNS1_17partition_subalgoE6EyNS0_10empty_typeEbEEZZNS1_14partition_implILS5_6ELb0ES3_mN6thrust23THRUST_200600_302600_NS6detail15normal_iteratorINSA_10device_ptrIyEEEEPS6_SG_NS0_5tupleIJSF_S6_EEENSH_IJSG_SG_EEES6_PlJNSB_9not_fun_tI7is_evenIyEEEEEE10hipError_tPvRmT3_T4_T5_T6_T7_T9_mT8_P12ihipStream_tbDpT10_ENKUlT_T0_E_clISt17integral_constantIbLb1EES17_IbLb0EEEEDaS13_S14_EUlS13_E_NS1_11comp_targetILNS1_3genE2ELNS1_11target_archE906ELNS1_3gpuE6ELNS1_3repE0EEENS1_30default_config_static_selectorELNS0_4arch9wavefront6targetE0EEEvT1_
                                        ; -- End function
	.set _ZN7rocprim17ROCPRIM_400000_NS6detail17trampoline_kernelINS0_14default_configENS1_25partition_config_selectorILNS1_17partition_subalgoE6EyNS0_10empty_typeEbEEZZNS1_14partition_implILS5_6ELb0ES3_mN6thrust23THRUST_200600_302600_NS6detail15normal_iteratorINSA_10device_ptrIyEEEEPS6_SG_NS0_5tupleIJSF_S6_EEENSH_IJSG_SG_EEES6_PlJNSB_9not_fun_tI7is_evenIyEEEEEE10hipError_tPvRmT3_T4_T5_T6_T7_T9_mT8_P12ihipStream_tbDpT10_ENKUlT_T0_E_clISt17integral_constantIbLb1EES17_IbLb0EEEEDaS13_S14_EUlS13_E_NS1_11comp_targetILNS1_3genE2ELNS1_11target_archE906ELNS1_3gpuE6ELNS1_3repE0EEENS1_30default_config_static_selectorELNS0_4arch9wavefront6targetE0EEEvT1_.num_vgpr, 0
	.set _ZN7rocprim17ROCPRIM_400000_NS6detail17trampoline_kernelINS0_14default_configENS1_25partition_config_selectorILNS1_17partition_subalgoE6EyNS0_10empty_typeEbEEZZNS1_14partition_implILS5_6ELb0ES3_mN6thrust23THRUST_200600_302600_NS6detail15normal_iteratorINSA_10device_ptrIyEEEEPS6_SG_NS0_5tupleIJSF_S6_EEENSH_IJSG_SG_EEES6_PlJNSB_9not_fun_tI7is_evenIyEEEEEE10hipError_tPvRmT3_T4_T5_T6_T7_T9_mT8_P12ihipStream_tbDpT10_ENKUlT_T0_E_clISt17integral_constantIbLb1EES17_IbLb0EEEEDaS13_S14_EUlS13_E_NS1_11comp_targetILNS1_3genE2ELNS1_11target_archE906ELNS1_3gpuE6ELNS1_3repE0EEENS1_30default_config_static_selectorELNS0_4arch9wavefront6targetE0EEEvT1_.num_agpr, 0
	.set _ZN7rocprim17ROCPRIM_400000_NS6detail17trampoline_kernelINS0_14default_configENS1_25partition_config_selectorILNS1_17partition_subalgoE6EyNS0_10empty_typeEbEEZZNS1_14partition_implILS5_6ELb0ES3_mN6thrust23THRUST_200600_302600_NS6detail15normal_iteratorINSA_10device_ptrIyEEEEPS6_SG_NS0_5tupleIJSF_S6_EEENSH_IJSG_SG_EEES6_PlJNSB_9not_fun_tI7is_evenIyEEEEEE10hipError_tPvRmT3_T4_T5_T6_T7_T9_mT8_P12ihipStream_tbDpT10_ENKUlT_T0_E_clISt17integral_constantIbLb1EES17_IbLb0EEEEDaS13_S14_EUlS13_E_NS1_11comp_targetILNS1_3genE2ELNS1_11target_archE906ELNS1_3gpuE6ELNS1_3repE0EEENS1_30default_config_static_selectorELNS0_4arch9wavefront6targetE0EEEvT1_.numbered_sgpr, 0
	.set _ZN7rocprim17ROCPRIM_400000_NS6detail17trampoline_kernelINS0_14default_configENS1_25partition_config_selectorILNS1_17partition_subalgoE6EyNS0_10empty_typeEbEEZZNS1_14partition_implILS5_6ELb0ES3_mN6thrust23THRUST_200600_302600_NS6detail15normal_iteratorINSA_10device_ptrIyEEEEPS6_SG_NS0_5tupleIJSF_S6_EEENSH_IJSG_SG_EEES6_PlJNSB_9not_fun_tI7is_evenIyEEEEEE10hipError_tPvRmT3_T4_T5_T6_T7_T9_mT8_P12ihipStream_tbDpT10_ENKUlT_T0_E_clISt17integral_constantIbLb1EES17_IbLb0EEEEDaS13_S14_EUlS13_E_NS1_11comp_targetILNS1_3genE2ELNS1_11target_archE906ELNS1_3gpuE6ELNS1_3repE0EEENS1_30default_config_static_selectorELNS0_4arch9wavefront6targetE0EEEvT1_.num_named_barrier, 0
	.set _ZN7rocprim17ROCPRIM_400000_NS6detail17trampoline_kernelINS0_14default_configENS1_25partition_config_selectorILNS1_17partition_subalgoE6EyNS0_10empty_typeEbEEZZNS1_14partition_implILS5_6ELb0ES3_mN6thrust23THRUST_200600_302600_NS6detail15normal_iteratorINSA_10device_ptrIyEEEEPS6_SG_NS0_5tupleIJSF_S6_EEENSH_IJSG_SG_EEES6_PlJNSB_9not_fun_tI7is_evenIyEEEEEE10hipError_tPvRmT3_T4_T5_T6_T7_T9_mT8_P12ihipStream_tbDpT10_ENKUlT_T0_E_clISt17integral_constantIbLb1EES17_IbLb0EEEEDaS13_S14_EUlS13_E_NS1_11comp_targetILNS1_3genE2ELNS1_11target_archE906ELNS1_3gpuE6ELNS1_3repE0EEENS1_30default_config_static_selectorELNS0_4arch9wavefront6targetE0EEEvT1_.private_seg_size, 0
	.set _ZN7rocprim17ROCPRIM_400000_NS6detail17trampoline_kernelINS0_14default_configENS1_25partition_config_selectorILNS1_17partition_subalgoE6EyNS0_10empty_typeEbEEZZNS1_14partition_implILS5_6ELb0ES3_mN6thrust23THRUST_200600_302600_NS6detail15normal_iteratorINSA_10device_ptrIyEEEEPS6_SG_NS0_5tupleIJSF_S6_EEENSH_IJSG_SG_EEES6_PlJNSB_9not_fun_tI7is_evenIyEEEEEE10hipError_tPvRmT3_T4_T5_T6_T7_T9_mT8_P12ihipStream_tbDpT10_ENKUlT_T0_E_clISt17integral_constantIbLb1EES17_IbLb0EEEEDaS13_S14_EUlS13_E_NS1_11comp_targetILNS1_3genE2ELNS1_11target_archE906ELNS1_3gpuE6ELNS1_3repE0EEENS1_30default_config_static_selectorELNS0_4arch9wavefront6targetE0EEEvT1_.uses_vcc, 0
	.set _ZN7rocprim17ROCPRIM_400000_NS6detail17trampoline_kernelINS0_14default_configENS1_25partition_config_selectorILNS1_17partition_subalgoE6EyNS0_10empty_typeEbEEZZNS1_14partition_implILS5_6ELb0ES3_mN6thrust23THRUST_200600_302600_NS6detail15normal_iteratorINSA_10device_ptrIyEEEEPS6_SG_NS0_5tupleIJSF_S6_EEENSH_IJSG_SG_EEES6_PlJNSB_9not_fun_tI7is_evenIyEEEEEE10hipError_tPvRmT3_T4_T5_T6_T7_T9_mT8_P12ihipStream_tbDpT10_ENKUlT_T0_E_clISt17integral_constantIbLb1EES17_IbLb0EEEEDaS13_S14_EUlS13_E_NS1_11comp_targetILNS1_3genE2ELNS1_11target_archE906ELNS1_3gpuE6ELNS1_3repE0EEENS1_30default_config_static_selectorELNS0_4arch9wavefront6targetE0EEEvT1_.uses_flat_scratch, 0
	.set _ZN7rocprim17ROCPRIM_400000_NS6detail17trampoline_kernelINS0_14default_configENS1_25partition_config_selectorILNS1_17partition_subalgoE6EyNS0_10empty_typeEbEEZZNS1_14partition_implILS5_6ELb0ES3_mN6thrust23THRUST_200600_302600_NS6detail15normal_iteratorINSA_10device_ptrIyEEEEPS6_SG_NS0_5tupleIJSF_S6_EEENSH_IJSG_SG_EEES6_PlJNSB_9not_fun_tI7is_evenIyEEEEEE10hipError_tPvRmT3_T4_T5_T6_T7_T9_mT8_P12ihipStream_tbDpT10_ENKUlT_T0_E_clISt17integral_constantIbLb1EES17_IbLb0EEEEDaS13_S14_EUlS13_E_NS1_11comp_targetILNS1_3genE2ELNS1_11target_archE906ELNS1_3gpuE6ELNS1_3repE0EEENS1_30default_config_static_selectorELNS0_4arch9wavefront6targetE0EEEvT1_.has_dyn_sized_stack, 0
	.set _ZN7rocprim17ROCPRIM_400000_NS6detail17trampoline_kernelINS0_14default_configENS1_25partition_config_selectorILNS1_17partition_subalgoE6EyNS0_10empty_typeEbEEZZNS1_14partition_implILS5_6ELb0ES3_mN6thrust23THRUST_200600_302600_NS6detail15normal_iteratorINSA_10device_ptrIyEEEEPS6_SG_NS0_5tupleIJSF_S6_EEENSH_IJSG_SG_EEES6_PlJNSB_9not_fun_tI7is_evenIyEEEEEE10hipError_tPvRmT3_T4_T5_T6_T7_T9_mT8_P12ihipStream_tbDpT10_ENKUlT_T0_E_clISt17integral_constantIbLb1EES17_IbLb0EEEEDaS13_S14_EUlS13_E_NS1_11comp_targetILNS1_3genE2ELNS1_11target_archE906ELNS1_3gpuE6ELNS1_3repE0EEENS1_30default_config_static_selectorELNS0_4arch9wavefront6targetE0EEEvT1_.has_recursion, 0
	.set _ZN7rocprim17ROCPRIM_400000_NS6detail17trampoline_kernelINS0_14default_configENS1_25partition_config_selectorILNS1_17partition_subalgoE6EyNS0_10empty_typeEbEEZZNS1_14partition_implILS5_6ELb0ES3_mN6thrust23THRUST_200600_302600_NS6detail15normal_iteratorINSA_10device_ptrIyEEEEPS6_SG_NS0_5tupleIJSF_S6_EEENSH_IJSG_SG_EEES6_PlJNSB_9not_fun_tI7is_evenIyEEEEEE10hipError_tPvRmT3_T4_T5_T6_T7_T9_mT8_P12ihipStream_tbDpT10_ENKUlT_T0_E_clISt17integral_constantIbLb1EES17_IbLb0EEEEDaS13_S14_EUlS13_E_NS1_11comp_targetILNS1_3genE2ELNS1_11target_archE906ELNS1_3gpuE6ELNS1_3repE0EEENS1_30default_config_static_selectorELNS0_4arch9wavefront6targetE0EEEvT1_.has_indirect_call, 0
	.section	.AMDGPU.csdata,"",@progbits
; Kernel info:
; codeLenInByte = 0
; TotalNumSgprs: 0
; NumVgprs: 0
; ScratchSize: 0
; MemoryBound: 0
; FloatMode: 240
; IeeeMode: 1
; LDSByteSize: 0 bytes/workgroup (compile time only)
; SGPRBlocks: 0
; VGPRBlocks: 0
; NumSGPRsForWavesPerEU: 1
; NumVGPRsForWavesPerEU: 1
; Occupancy: 16
; WaveLimiterHint : 0
; COMPUTE_PGM_RSRC2:SCRATCH_EN: 0
; COMPUTE_PGM_RSRC2:USER_SGPR: 2
; COMPUTE_PGM_RSRC2:TRAP_HANDLER: 0
; COMPUTE_PGM_RSRC2:TGID_X_EN: 1
; COMPUTE_PGM_RSRC2:TGID_Y_EN: 0
; COMPUTE_PGM_RSRC2:TGID_Z_EN: 0
; COMPUTE_PGM_RSRC2:TIDIG_COMP_CNT: 0
	.section	.text._ZN7rocprim17ROCPRIM_400000_NS6detail17trampoline_kernelINS0_14default_configENS1_25partition_config_selectorILNS1_17partition_subalgoE6EyNS0_10empty_typeEbEEZZNS1_14partition_implILS5_6ELb0ES3_mN6thrust23THRUST_200600_302600_NS6detail15normal_iteratorINSA_10device_ptrIyEEEEPS6_SG_NS0_5tupleIJSF_S6_EEENSH_IJSG_SG_EEES6_PlJNSB_9not_fun_tI7is_evenIyEEEEEE10hipError_tPvRmT3_T4_T5_T6_T7_T9_mT8_P12ihipStream_tbDpT10_ENKUlT_T0_E_clISt17integral_constantIbLb1EES17_IbLb0EEEEDaS13_S14_EUlS13_E_NS1_11comp_targetILNS1_3genE10ELNS1_11target_archE1200ELNS1_3gpuE4ELNS1_3repE0EEENS1_30default_config_static_selectorELNS0_4arch9wavefront6targetE0EEEvT1_,"axG",@progbits,_ZN7rocprim17ROCPRIM_400000_NS6detail17trampoline_kernelINS0_14default_configENS1_25partition_config_selectorILNS1_17partition_subalgoE6EyNS0_10empty_typeEbEEZZNS1_14partition_implILS5_6ELb0ES3_mN6thrust23THRUST_200600_302600_NS6detail15normal_iteratorINSA_10device_ptrIyEEEEPS6_SG_NS0_5tupleIJSF_S6_EEENSH_IJSG_SG_EEES6_PlJNSB_9not_fun_tI7is_evenIyEEEEEE10hipError_tPvRmT3_T4_T5_T6_T7_T9_mT8_P12ihipStream_tbDpT10_ENKUlT_T0_E_clISt17integral_constantIbLb1EES17_IbLb0EEEEDaS13_S14_EUlS13_E_NS1_11comp_targetILNS1_3genE10ELNS1_11target_archE1200ELNS1_3gpuE4ELNS1_3repE0EEENS1_30default_config_static_selectorELNS0_4arch9wavefront6targetE0EEEvT1_,comdat
	.protected	_ZN7rocprim17ROCPRIM_400000_NS6detail17trampoline_kernelINS0_14default_configENS1_25partition_config_selectorILNS1_17partition_subalgoE6EyNS0_10empty_typeEbEEZZNS1_14partition_implILS5_6ELb0ES3_mN6thrust23THRUST_200600_302600_NS6detail15normal_iteratorINSA_10device_ptrIyEEEEPS6_SG_NS0_5tupleIJSF_S6_EEENSH_IJSG_SG_EEES6_PlJNSB_9not_fun_tI7is_evenIyEEEEEE10hipError_tPvRmT3_T4_T5_T6_T7_T9_mT8_P12ihipStream_tbDpT10_ENKUlT_T0_E_clISt17integral_constantIbLb1EES17_IbLb0EEEEDaS13_S14_EUlS13_E_NS1_11comp_targetILNS1_3genE10ELNS1_11target_archE1200ELNS1_3gpuE4ELNS1_3repE0EEENS1_30default_config_static_selectorELNS0_4arch9wavefront6targetE0EEEvT1_ ; -- Begin function _ZN7rocprim17ROCPRIM_400000_NS6detail17trampoline_kernelINS0_14default_configENS1_25partition_config_selectorILNS1_17partition_subalgoE6EyNS0_10empty_typeEbEEZZNS1_14partition_implILS5_6ELb0ES3_mN6thrust23THRUST_200600_302600_NS6detail15normal_iteratorINSA_10device_ptrIyEEEEPS6_SG_NS0_5tupleIJSF_S6_EEENSH_IJSG_SG_EEES6_PlJNSB_9not_fun_tI7is_evenIyEEEEEE10hipError_tPvRmT3_T4_T5_T6_T7_T9_mT8_P12ihipStream_tbDpT10_ENKUlT_T0_E_clISt17integral_constantIbLb1EES17_IbLb0EEEEDaS13_S14_EUlS13_E_NS1_11comp_targetILNS1_3genE10ELNS1_11target_archE1200ELNS1_3gpuE4ELNS1_3repE0EEENS1_30default_config_static_selectorELNS0_4arch9wavefront6targetE0EEEvT1_
	.globl	_ZN7rocprim17ROCPRIM_400000_NS6detail17trampoline_kernelINS0_14default_configENS1_25partition_config_selectorILNS1_17partition_subalgoE6EyNS0_10empty_typeEbEEZZNS1_14partition_implILS5_6ELb0ES3_mN6thrust23THRUST_200600_302600_NS6detail15normal_iteratorINSA_10device_ptrIyEEEEPS6_SG_NS0_5tupleIJSF_S6_EEENSH_IJSG_SG_EEES6_PlJNSB_9not_fun_tI7is_evenIyEEEEEE10hipError_tPvRmT3_T4_T5_T6_T7_T9_mT8_P12ihipStream_tbDpT10_ENKUlT_T0_E_clISt17integral_constantIbLb1EES17_IbLb0EEEEDaS13_S14_EUlS13_E_NS1_11comp_targetILNS1_3genE10ELNS1_11target_archE1200ELNS1_3gpuE4ELNS1_3repE0EEENS1_30default_config_static_selectorELNS0_4arch9wavefront6targetE0EEEvT1_
	.p2align	8
	.type	_ZN7rocprim17ROCPRIM_400000_NS6detail17trampoline_kernelINS0_14default_configENS1_25partition_config_selectorILNS1_17partition_subalgoE6EyNS0_10empty_typeEbEEZZNS1_14partition_implILS5_6ELb0ES3_mN6thrust23THRUST_200600_302600_NS6detail15normal_iteratorINSA_10device_ptrIyEEEEPS6_SG_NS0_5tupleIJSF_S6_EEENSH_IJSG_SG_EEES6_PlJNSB_9not_fun_tI7is_evenIyEEEEEE10hipError_tPvRmT3_T4_T5_T6_T7_T9_mT8_P12ihipStream_tbDpT10_ENKUlT_T0_E_clISt17integral_constantIbLb1EES17_IbLb0EEEEDaS13_S14_EUlS13_E_NS1_11comp_targetILNS1_3genE10ELNS1_11target_archE1200ELNS1_3gpuE4ELNS1_3repE0EEENS1_30default_config_static_selectorELNS0_4arch9wavefront6targetE0EEEvT1_,@function
_ZN7rocprim17ROCPRIM_400000_NS6detail17trampoline_kernelINS0_14default_configENS1_25partition_config_selectorILNS1_17partition_subalgoE6EyNS0_10empty_typeEbEEZZNS1_14partition_implILS5_6ELb0ES3_mN6thrust23THRUST_200600_302600_NS6detail15normal_iteratorINSA_10device_ptrIyEEEEPS6_SG_NS0_5tupleIJSF_S6_EEENSH_IJSG_SG_EEES6_PlJNSB_9not_fun_tI7is_evenIyEEEEEE10hipError_tPvRmT3_T4_T5_T6_T7_T9_mT8_P12ihipStream_tbDpT10_ENKUlT_T0_E_clISt17integral_constantIbLb1EES17_IbLb0EEEEDaS13_S14_EUlS13_E_NS1_11comp_targetILNS1_3genE10ELNS1_11target_archE1200ELNS1_3gpuE4ELNS1_3repE0EEENS1_30default_config_static_selectorELNS0_4arch9wavefront6targetE0EEEvT1_: ; @_ZN7rocprim17ROCPRIM_400000_NS6detail17trampoline_kernelINS0_14default_configENS1_25partition_config_selectorILNS1_17partition_subalgoE6EyNS0_10empty_typeEbEEZZNS1_14partition_implILS5_6ELb0ES3_mN6thrust23THRUST_200600_302600_NS6detail15normal_iteratorINSA_10device_ptrIyEEEEPS6_SG_NS0_5tupleIJSF_S6_EEENSH_IJSG_SG_EEES6_PlJNSB_9not_fun_tI7is_evenIyEEEEEE10hipError_tPvRmT3_T4_T5_T6_T7_T9_mT8_P12ihipStream_tbDpT10_ENKUlT_T0_E_clISt17integral_constantIbLb1EES17_IbLb0EEEEDaS13_S14_EUlS13_E_NS1_11comp_targetILNS1_3genE10ELNS1_11target_archE1200ELNS1_3gpuE4ELNS1_3repE0EEENS1_30default_config_static_selectorELNS0_4arch9wavefront6targetE0EEEvT1_
; %bb.0:
	s_endpgm
	.section	.rodata,"a",@progbits
	.p2align	6, 0x0
	.amdhsa_kernel _ZN7rocprim17ROCPRIM_400000_NS6detail17trampoline_kernelINS0_14default_configENS1_25partition_config_selectorILNS1_17partition_subalgoE6EyNS0_10empty_typeEbEEZZNS1_14partition_implILS5_6ELb0ES3_mN6thrust23THRUST_200600_302600_NS6detail15normal_iteratorINSA_10device_ptrIyEEEEPS6_SG_NS0_5tupleIJSF_S6_EEENSH_IJSG_SG_EEES6_PlJNSB_9not_fun_tI7is_evenIyEEEEEE10hipError_tPvRmT3_T4_T5_T6_T7_T9_mT8_P12ihipStream_tbDpT10_ENKUlT_T0_E_clISt17integral_constantIbLb1EES17_IbLb0EEEEDaS13_S14_EUlS13_E_NS1_11comp_targetILNS1_3genE10ELNS1_11target_archE1200ELNS1_3gpuE4ELNS1_3repE0EEENS1_30default_config_static_selectorELNS0_4arch9wavefront6targetE0EEEvT1_
		.amdhsa_group_segment_fixed_size 0
		.amdhsa_private_segment_fixed_size 0
		.amdhsa_kernarg_size 112
		.amdhsa_user_sgpr_count 2
		.amdhsa_user_sgpr_dispatch_ptr 0
		.amdhsa_user_sgpr_queue_ptr 0
		.amdhsa_user_sgpr_kernarg_segment_ptr 1
		.amdhsa_user_sgpr_dispatch_id 0
		.amdhsa_user_sgpr_private_segment_size 0
		.amdhsa_wavefront_size32 1
		.amdhsa_uses_dynamic_stack 0
		.amdhsa_enable_private_segment 0
		.amdhsa_system_sgpr_workgroup_id_x 1
		.amdhsa_system_sgpr_workgroup_id_y 0
		.amdhsa_system_sgpr_workgroup_id_z 0
		.amdhsa_system_sgpr_workgroup_info 0
		.amdhsa_system_vgpr_workitem_id 0
		.amdhsa_next_free_vgpr 1
		.amdhsa_next_free_sgpr 1
		.amdhsa_reserve_vcc 0
		.amdhsa_float_round_mode_32 0
		.amdhsa_float_round_mode_16_64 0
		.amdhsa_float_denorm_mode_32 3
		.amdhsa_float_denorm_mode_16_64 3
		.amdhsa_fp16_overflow 0
		.amdhsa_workgroup_processor_mode 1
		.amdhsa_memory_ordered 1
		.amdhsa_forward_progress 1
		.amdhsa_inst_pref_size 1
		.amdhsa_round_robin_scheduling 0
		.amdhsa_exception_fp_ieee_invalid_op 0
		.amdhsa_exception_fp_denorm_src 0
		.amdhsa_exception_fp_ieee_div_zero 0
		.amdhsa_exception_fp_ieee_overflow 0
		.amdhsa_exception_fp_ieee_underflow 0
		.amdhsa_exception_fp_ieee_inexact 0
		.amdhsa_exception_int_div_zero 0
	.end_amdhsa_kernel
	.section	.text._ZN7rocprim17ROCPRIM_400000_NS6detail17trampoline_kernelINS0_14default_configENS1_25partition_config_selectorILNS1_17partition_subalgoE6EyNS0_10empty_typeEbEEZZNS1_14partition_implILS5_6ELb0ES3_mN6thrust23THRUST_200600_302600_NS6detail15normal_iteratorINSA_10device_ptrIyEEEEPS6_SG_NS0_5tupleIJSF_S6_EEENSH_IJSG_SG_EEES6_PlJNSB_9not_fun_tI7is_evenIyEEEEEE10hipError_tPvRmT3_T4_T5_T6_T7_T9_mT8_P12ihipStream_tbDpT10_ENKUlT_T0_E_clISt17integral_constantIbLb1EES17_IbLb0EEEEDaS13_S14_EUlS13_E_NS1_11comp_targetILNS1_3genE10ELNS1_11target_archE1200ELNS1_3gpuE4ELNS1_3repE0EEENS1_30default_config_static_selectorELNS0_4arch9wavefront6targetE0EEEvT1_,"axG",@progbits,_ZN7rocprim17ROCPRIM_400000_NS6detail17trampoline_kernelINS0_14default_configENS1_25partition_config_selectorILNS1_17partition_subalgoE6EyNS0_10empty_typeEbEEZZNS1_14partition_implILS5_6ELb0ES3_mN6thrust23THRUST_200600_302600_NS6detail15normal_iteratorINSA_10device_ptrIyEEEEPS6_SG_NS0_5tupleIJSF_S6_EEENSH_IJSG_SG_EEES6_PlJNSB_9not_fun_tI7is_evenIyEEEEEE10hipError_tPvRmT3_T4_T5_T6_T7_T9_mT8_P12ihipStream_tbDpT10_ENKUlT_T0_E_clISt17integral_constantIbLb1EES17_IbLb0EEEEDaS13_S14_EUlS13_E_NS1_11comp_targetILNS1_3genE10ELNS1_11target_archE1200ELNS1_3gpuE4ELNS1_3repE0EEENS1_30default_config_static_selectorELNS0_4arch9wavefront6targetE0EEEvT1_,comdat
.Lfunc_end618:
	.size	_ZN7rocprim17ROCPRIM_400000_NS6detail17trampoline_kernelINS0_14default_configENS1_25partition_config_selectorILNS1_17partition_subalgoE6EyNS0_10empty_typeEbEEZZNS1_14partition_implILS5_6ELb0ES3_mN6thrust23THRUST_200600_302600_NS6detail15normal_iteratorINSA_10device_ptrIyEEEEPS6_SG_NS0_5tupleIJSF_S6_EEENSH_IJSG_SG_EEES6_PlJNSB_9not_fun_tI7is_evenIyEEEEEE10hipError_tPvRmT3_T4_T5_T6_T7_T9_mT8_P12ihipStream_tbDpT10_ENKUlT_T0_E_clISt17integral_constantIbLb1EES17_IbLb0EEEEDaS13_S14_EUlS13_E_NS1_11comp_targetILNS1_3genE10ELNS1_11target_archE1200ELNS1_3gpuE4ELNS1_3repE0EEENS1_30default_config_static_selectorELNS0_4arch9wavefront6targetE0EEEvT1_, .Lfunc_end618-_ZN7rocprim17ROCPRIM_400000_NS6detail17trampoline_kernelINS0_14default_configENS1_25partition_config_selectorILNS1_17partition_subalgoE6EyNS0_10empty_typeEbEEZZNS1_14partition_implILS5_6ELb0ES3_mN6thrust23THRUST_200600_302600_NS6detail15normal_iteratorINSA_10device_ptrIyEEEEPS6_SG_NS0_5tupleIJSF_S6_EEENSH_IJSG_SG_EEES6_PlJNSB_9not_fun_tI7is_evenIyEEEEEE10hipError_tPvRmT3_T4_T5_T6_T7_T9_mT8_P12ihipStream_tbDpT10_ENKUlT_T0_E_clISt17integral_constantIbLb1EES17_IbLb0EEEEDaS13_S14_EUlS13_E_NS1_11comp_targetILNS1_3genE10ELNS1_11target_archE1200ELNS1_3gpuE4ELNS1_3repE0EEENS1_30default_config_static_selectorELNS0_4arch9wavefront6targetE0EEEvT1_
                                        ; -- End function
	.set _ZN7rocprim17ROCPRIM_400000_NS6detail17trampoline_kernelINS0_14default_configENS1_25partition_config_selectorILNS1_17partition_subalgoE6EyNS0_10empty_typeEbEEZZNS1_14partition_implILS5_6ELb0ES3_mN6thrust23THRUST_200600_302600_NS6detail15normal_iteratorINSA_10device_ptrIyEEEEPS6_SG_NS0_5tupleIJSF_S6_EEENSH_IJSG_SG_EEES6_PlJNSB_9not_fun_tI7is_evenIyEEEEEE10hipError_tPvRmT3_T4_T5_T6_T7_T9_mT8_P12ihipStream_tbDpT10_ENKUlT_T0_E_clISt17integral_constantIbLb1EES17_IbLb0EEEEDaS13_S14_EUlS13_E_NS1_11comp_targetILNS1_3genE10ELNS1_11target_archE1200ELNS1_3gpuE4ELNS1_3repE0EEENS1_30default_config_static_selectorELNS0_4arch9wavefront6targetE0EEEvT1_.num_vgpr, 0
	.set _ZN7rocprim17ROCPRIM_400000_NS6detail17trampoline_kernelINS0_14default_configENS1_25partition_config_selectorILNS1_17partition_subalgoE6EyNS0_10empty_typeEbEEZZNS1_14partition_implILS5_6ELb0ES3_mN6thrust23THRUST_200600_302600_NS6detail15normal_iteratorINSA_10device_ptrIyEEEEPS6_SG_NS0_5tupleIJSF_S6_EEENSH_IJSG_SG_EEES6_PlJNSB_9not_fun_tI7is_evenIyEEEEEE10hipError_tPvRmT3_T4_T5_T6_T7_T9_mT8_P12ihipStream_tbDpT10_ENKUlT_T0_E_clISt17integral_constantIbLb1EES17_IbLb0EEEEDaS13_S14_EUlS13_E_NS1_11comp_targetILNS1_3genE10ELNS1_11target_archE1200ELNS1_3gpuE4ELNS1_3repE0EEENS1_30default_config_static_selectorELNS0_4arch9wavefront6targetE0EEEvT1_.num_agpr, 0
	.set _ZN7rocprim17ROCPRIM_400000_NS6detail17trampoline_kernelINS0_14default_configENS1_25partition_config_selectorILNS1_17partition_subalgoE6EyNS0_10empty_typeEbEEZZNS1_14partition_implILS5_6ELb0ES3_mN6thrust23THRUST_200600_302600_NS6detail15normal_iteratorINSA_10device_ptrIyEEEEPS6_SG_NS0_5tupleIJSF_S6_EEENSH_IJSG_SG_EEES6_PlJNSB_9not_fun_tI7is_evenIyEEEEEE10hipError_tPvRmT3_T4_T5_T6_T7_T9_mT8_P12ihipStream_tbDpT10_ENKUlT_T0_E_clISt17integral_constantIbLb1EES17_IbLb0EEEEDaS13_S14_EUlS13_E_NS1_11comp_targetILNS1_3genE10ELNS1_11target_archE1200ELNS1_3gpuE4ELNS1_3repE0EEENS1_30default_config_static_selectorELNS0_4arch9wavefront6targetE0EEEvT1_.numbered_sgpr, 0
	.set _ZN7rocprim17ROCPRIM_400000_NS6detail17trampoline_kernelINS0_14default_configENS1_25partition_config_selectorILNS1_17partition_subalgoE6EyNS0_10empty_typeEbEEZZNS1_14partition_implILS5_6ELb0ES3_mN6thrust23THRUST_200600_302600_NS6detail15normal_iteratorINSA_10device_ptrIyEEEEPS6_SG_NS0_5tupleIJSF_S6_EEENSH_IJSG_SG_EEES6_PlJNSB_9not_fun_tI7is_evenIyEEEEEE10hipError_tPvRmT3_T4_T5_T6_T7_T9_mT8_P12ihipStream_tbDpT10_ENKUlT_T0_E_clISt17integral_constantIbLb1EES17_IbLb0EEEEDaS13_S14_EUlS13_E_NS1_11comp_targetILNS1_3genE10ELNS1_11target_archE1200ELNS1_3gpuE4ELNS1_3repE0EEENS1_30default_config_static_selectorELNS0_4arch9wavefront6targetE0EEEvT1_.num_named_barrier, 0
	.set _ZN7rocprim17ROCPRIM_400000_NS6detail17trampoline_kernelINS0_14default_configENS1_25partition_config_selectorILNS1_17partition_subalgoE6EyNS0_10empty_typeEbEEZZNS1_14partition_implILS5_6ELb0ES3_mN6thrust23THRUST_200600_302600_NS6detail15normal_iteratorINSA_10device_ptrIyEEEEPS6_SG_NS0_5tupleIJSF_S6_EEENSH_IJSG_SG_EEES6_PlJNSB_9not_fun_tI7is_evenIyEEEEEE10hipError_tPvRmT3_T4_T5_T6_T7_T9_mT8_P12ihipStream_tbDpT10_ENKUlT_T0_E_clISt17integral_constantIbLb1EES17_IbLb0EEEEDaS13_S14_EUlS13_E_NS1_11comp_targetILNS1_3genE10ELNS1_11target_archE1200ELNS1_3gpuE4ELNS1_3repE0EEENS1_30default_config_static_selectorELNS0_4arch9wavefront6targetE0EEEvT1_.private_seg_size, 0
	.set _ZN7rocprim17ROCPRIM_400000_NS6detail17trampoline_kernelINS0_14default_configENS1_25partition_config_selectorILNS1_17partition_subalgoE6EyNS0_10empty_typeEbEEZZNS1_14partition_implILS5_6ELb0ES3_mN6thrust23THRUST_200600_302600_NS6detail15normal_iteratorINSA_10device_ptrIyEEEEPS6_SG_NS0_5tupleIJSF_S6_EEENSH_IJSG_SG_EEES6_PlJNSB_9not_fun_tI7is_evenIyEEEEEE10hipError_tPvRmT3_T4_T5_T6_T7_T9_mT8_P12ihipStream_tbDpT10_ENKUlT_T0_E_clISt17integral_constantIbLb1EES17_IbLb0EEEEDaS13_S14_EUlS13_E_NS1_11comp_targetILNS1_3genE10ELNS1_11target_archE1200ELNS1_3gpuE4ELNS1_3repE0EEENS1_30default_config_static_selectorELNS0_4arch9wavefront6targetE0EEEvT1_.uses_vcc, 0
	.set _ZN7rocprim17ROCPRIM_400000_NS6detail17trampoline_kernelINS0_14default_configENS1_25partition_config_selectorILNS1_17partition_subalgoE6EyNS0_10empty_typeEbEEZZNS1_14partition_implILS5_6ELb0ES3_mN6thrust23THRUST_200600_302600_NS6detail15normal_iteratorINSA_10device_ptrIyEEEEPS6_SG_NS0_5tupleIJSF_S6_EEENSH_IJSG_SG_EEES6_PlJNSB_9not_fun_tI7is_evenIyEEEEEE10hipError_tPvRmT3_T4_T5_T6_T7_T9_mT8_P12ihipStream_tbDpT10_ENKUlT_T0_E_clISt17integral_constantIbLb1EES17_IbLb0EEEEDaS13_S14_EUlS13_E_NS1_11comp_targetILNS1_3genE10ELNS1_11target_archE1200ELNS1_3gpuE4ELNS1_3repE0EEENS1_30default_config_static_selectorELNS0_4arch9wavefront6targetE0EEEvT1_.uses_flat_scratch, 0
	.set _ZN7rocprim17ROCPRIM_400000_NS6detail17trampoline_kernelINS0_14default_configENS1_25partition_config_selectorILNS1_17partition_subalgoE6EyNS0_10empty_typeEbEEZZNS1_14partition_implILS5_6ELb0ES3_mN6thrust23THRUST_200600_302600_NS6detail15normal_iteratorINSA_10device_ptrIyEEEEPS6_SG_NS0_5tupleIJSF_S6_EEENSH_IJSG_SG_EEES6_PlJNSB_9not_fun_tI7is_evenIyEEEEEE10hipError_tPvRmT3_T4_T5_T6_T7_T9_mT8_P12ihipStream_tbDpT10_ENKUlT_T0_E_clISt17integral_constantIbLb1EES17_IbLb0EEEEDaS13_S14_EUlS13_E_NS1_11comp_targetILNS1_3genE10ELNS1_11target_archE1200ELNS1_3gpuE4ELNS1_3repE0EEENS1_30default_config_static_selectorELNS0_4arch9wavefront6targetE0EEEvT1_.has_dyn_sized_stack, 0
	.set _ZN7rocprim17ROCPRIM_400000_NS6detail17trampoline_kernelINS0_14default_configENS1_25partition_config_selectorILNS1_17partition_subalgoE6EyNS0_10empty_typeEbEEZZNS1_14partition_implILS5_6ELb0ES3_mN6thrust23THRUST_200600_302600_NS6detail15normal_iteratorINSA_10device_ptrIyEEEEPS6_SG_NS0_5tupleIJSF_S6_EEENSH_IJSG_SG_EEES6_PlJNSB_9not_fun_tI7is_evenIyEEEEEE10hipError_tPvRmT3_T4_T5_T6_T7_T9_mT8_P12ihipStream_tbDpT10_ENKUlT_T0_E_clISt17integral_constantIbLb1EES17_IbLb0EEEEDaS13_S14_EUlS13_E_NS1_11comp_targetILNS1_3genE10ELNS1_11target_archE1200ELNS1_3gpuE4ELNS1_3repE0EEENS1_30default_config_static_selectorELNS0_4arch9wavefront6targetE0EEEvT1_.has_recursion, 0
	.set _ZN7rocprim17ROCPRIM_400000_NS6detail17trampoline_kernelINS0_14default_configENS1_25partition_config_selectorILNS1_17partition_subalgoE6EyNS0_10empty_typeEbEEZZNS1_14partition_implILS5_6ELb0ES3_mN6thrust23THRUST_200600_302600_NS6detail15normal_iteratorINSA_10device_ptrIyEEEEPS6_SG_NS0_5tupleIJSF_S6_EEENSH_IJSG_SG_EEES6_PlJNSB_9not_fun_tI7is_evenIyEEEEEE10hipError_tPvRmT3_T4_T5_T6_T7_T9_mT8_P12ihipStream_tbDpT10_ENKUlT_T0_E_clISt17integral_constantIbLb1EES17_IbLb0EEEEDaS13_S14_EUlS13_E_NS1_11comp_targetILNS1_3genE10ELNS1_11target_archE1200ELNS1_3gpuE4ELNS1_3repE0EEENS1_30default_config_static_selectorELNS0_4arch9wavefront6targetE0EEEvT1_.has_indirect_call, 0
	.section	.AMDGPU.csdata,"",@progbits
; Kernel info:
; codeLenInByte = 4
; TotalNumSgprs: 0
; NumVgprs: 0
; ScratchSize: 0
; MemoryBound: 0
; FloatMode: 240
; IeeeMode: 1
; LDSByteSize: 0 bytes/workgroup (compile time only)
; SGPRBlocks: 0
; VGPRBlocks: 0
; NumSGPRsForWavesPerEU: 1
; NumVGPRsForWavesPerEU: 1
; Occupancy: 16
; WaveLimiterHint : 0
; COMPUTE_PGM_RSRC2:SCRATCH_EN: 0
; COMPUTE_PGM_RSRC2:USER_SGPR: 2
; COMPUTE_PGM_RSRC2:TRAP_HANDLER: 0
; COMPUTE_PGM_RSRC2:TGID_X_EN: 1
; COMPUTE_PGM_RSRC2:TGID_Y_EN: 0
; COMPUTE_PGM_RSRC2:TGID_Z_EN: 0
; COMPUTE_PGM_RSRC2:TIDIG_COMP_CNT: 0
	.section	.text._ZN7rocprim17ROCPRIM_400000_NS6detail17trampoline_kernelINS0_14default_configENS1_25partition_config_selectorILNS1_17partition_subalgoE6EyNS0_10empty_typeEbEEZZNS1_14partition_implILS5_6ELb0ES3_mN6thrust23THRUST_200600_302600_NS6detail15normal_iteratorINSA_10device_ptrIyEEEEPS6_SG_NS0_5tupleIJSF_S6_EEENSH_IJSG_SG_EEES6_PlJNSB_9not_fun_tI7is_evenIyEEEEEE10hipError_tPvRmT3_T4_T5_T6_T7_T9_mT8_P12ihipStream_tbDpT10_ENKUlT_T0_E_clISt17integral_constantIbLb1EES17_IbLb0EEEEDaS13_S14_EUlS13_E_NS1_11comp_targetILNS1_3genE9ELNS1_11target_archE1100ELNS1_3gpuE3ELNS1_3repE0EEENS1_30default_config_static_selectorELNS0_4arch9wavefront6targetE0EEEvT1_,"axG",@progbits,_ZN7rocprim17ROCPRIM_400000_NS6detail17trampoline_kernelINS0_14default_configENS1_25partition_config_selectorILNS1_17partition_subalgoE6EyNS0_10empty_typeEbEEZZNS1_14partition_implILS5_6ELb0ES3_mN6thrust23THRUST_200600_302600_NS6detail15normal_iteratorINSA_10device_ptrIyEEEEPS6_SG_NS0_5tupleIJSF_S6_EEENSH_IJSG_SG_EEES6_PlJNSB_9not_fun_tI7is_evenIyEEEEEE10hipError_tPvRmT3_T4_T5_T6_T7_T9_mT8_P12ihipStream_tbDpT10_ENKUlT_T0_E_clISt17integral_constantIbLb1EES17_IbLb0EEEEDaS13_S14_EUlS13_E_NS1_11comp_targetILNS1_3genE9ELNS1_11target_archE1100ELNS1_3gpuE3ELNS1_3repE0EEENS1_30default_config_static_selectorELNS0_4arch9wavefront6targetE0EEEvT1_,comdat
	.protected	_ZN7rocprim17ROCPRIM_400000_NS6detail17trampoline_kernelINS0_14default_configENS1_25partition_config_selectorILNS1_17partition_subalgoE6EyNS0_10empty_typeEbEEZZNS1_14partition_implILS5_6ELb0ES3_mN6thrust23THRUST_200600_302600_NS6detail15normal_iteratorINSA_10device_ptrIyEEEEPS6_SG_NS0_5tupleIJSF_S6_EEENSH_IJSG_SG_EEES6_PlJNSB_9not_fun_tI7is_evenIyEEEEEE10hipError_tPvRmT3_T4_T5_T6_T7_T9_mT8_P12ihipStream_tbDpT10_ENKUlT_T0_E_clISt17integral_constantIbLb1EES17_IbLb0EEEEDaS13_S14_EUlS13_E_NS1_11comp_targetILNS1_3genE9ELNS1_11target_archE1100ELNS1_3gpuE3ELNS1_3repE0EEENS1_30default_config_static_selectorELNS0_4arch9wavefront6targetE0EEEvT1_ ; -- Begin function _ZN7rocprim17ROCPRIM_400000_NS6detail17trampoline_kernelINS0_14default_configENS1_25partition_config_selectorILNS1_17partition_subalgoE6EyNS0_10empty_typeEbEEZZNS1_14partition_implILS5_6ELb0ES3_mN6thrust23THRUST_200600_302600_NS6detail15normal_iteratorINSA_10device_ptrIyEEEEPS6_SG_NS0_5tupleIJSF_S6_EEENSH_IJSG_SG_EEES6_PlJNSB_9not_fun_tI7is_evenIyEEEEEE10hipError_tPvRmT3_T4_T5_T6_T7_T9_mT8_P12ihipStream_tbDpT10_ENKUlT_T0_E_clISt17integral_constantIbLb1EES17_IbLb0EEEEDaS13_S14_EUlS13_E_NS1_11comp_targetILNS1_3genE9ELNS1_11target_archE1100ELNS1_3gpuE3ELNS1_3repE0EEENS1_30default_config_static_selectorELNS0_4arch9wavefront6targetE0EEEvT1_
	.globl	_ZN7rocprim17ROCPRIM_400000_NS6detail17trampoline_kernelINS0_14default_configENS1_25partition_config_selectorILNS1_17partition_subalgoE6EyNS0_10empty_typeEbEEZZNS1_14partition_implILS5_6ELb0ES3_mN6thrust23THRUST_200600_302600_NS6detail15normal_iteratorINSA_10device_ptrIyEEEEPS6_SG_NS0_5tupleIJSF_S6_EEENSH_IJSG_SG_EEES6_PlJNSB_9not_fun_tI7is_evenIyEEEEEE10hipError_tPvRmT3_T4_T5_T6_T7_T9_mT8_P12ihipStream_tbDpT10_ENKUlT_T0_E_clISt17integral_constantIbLb1EES17_IbLb0EEEEDaS13_S14_EUlS13_E_NS1_11comp_targetILNS1_3genE9ELNS1_11target_archE1100ELNS1_3gpuE3ELNS1_3repE0EEENS1_30default_config_static_selectorELNS0_4arch9wavefront6targetE0EEEvT1_
	.p2align	8
	.type	_ZN7rocprim17ROCPRIM_400000_NS6detail17trampoline_kernelINS0_14default_configENS1_25partition_config_selectorILNS1_17partition_subalgoE6EyNS0_10empty_typeEbEEZZNS1_14partition_implILS5_6ELb0ES3_mN6thrust23THRUST_200600_302600_NS6detail15normal_iteratorINSA_10device_ptrIyEEEEPS6_SG_NS0_5tupleIJSF_S6_EEENSH_IJSG_SG_EEES6_PlJNSB_9not_fun_tI7is_evenIyEEEEEE10hipError_tPvRmT3_T4_T5_T6_T7_T9_mT8_P12ihipStream_tbDpT10_ENKUlT_T0_E_clISt17integral_constantIbLb1EES17_IbLb0EEEEDaS13_S14_EUlS13_E_NS1_11comp_targetILNS1_3genE9ELNS1_11target_archE1100ELNS1_3gpuE3ELNS1_3repE0EEENS1_30default_config_static_selectorELNS0_4arch9wavefront6targetE0EEEvT1_,@function
_ZN7rocprim17ROCPRIM_400000_NS6detail17trampoline_kernelINS0_14default_configENS1_25partition_config_selectorILNS1_17partition_subalgoE6EyNS0_10empty_typeEbEEZZNS1_14partition_implILS5_6ELb0ES3_mN6thrust23THRUST_200600_302600_NS6detail15normal_iteratorINSA_10device_ptrIyEEEEPS6_SG_NS0_5tupleIJSF_S6_EEENSH_IJSG_SG_EEES6_PlJNSB_9not_fun_tI7is_evenIyEEEEEE10hipError_tPvRmT3_T4_T5_T6_T7_T9_mT8_P12ihipStream_tbDpT10_ENKUlT_T0_E_clISt17integral_constantIbLb1EES17_IbLb0EEEEDaS13_S14_EUlS13_E_NS1_11comp_targetILNS1_3genE9ELNS1_11target_archE1100ELNS1_3gpuE3ELNS1_3repE0EEENS1_30default_config_static_selectorELNS0_4arch9wavefront6targetE0EEEvT1_: ; @_ZN7rocprim17ROCPRIM_400000_NS6detail17trampoline_kernelINS0_14default_configENS1_25partition_config_selectorILNS1_17partition_subalgoE6EyNS0_10empty_typeEbEEZZNS1_14partition_implILS5_6ELb0ES3_mN6thrust23THRUST_200600_302600_NS6detail15normal_iteratorINSA_10device_ptrIyEEEEPS6_SG_NS0_5tupleIJSF_S6_EEENSH_IJSG_SG_EEES6_PlJNSB_9not_fun_tI7is_evenIyEEEEEE10hipError_tPvRmT3_T4_T5_T6_T7_T9_mT8_P12ihipStream_tbDpT10_ENKUlT_T0_E_clISt17integral_constantIbLb1EES17_IbLb0EEEEDaS13_S14_EUlS13_E_NS1_11comp_targetILNS1_3genE9ELNS1_11target_archE1100ELNS1_3gpuE3ELNS1_3repE0EEENS1_30default_config_static_selectorELNS0_4arch9wavefront6targetE0EEEvT1_
; %bb.0:
	.section	.rodata,"a",@progbits
	.p2align	6, 0x0
	.amdhsa_kernel _ZN7rocprim17ROCPRIM_400000_NS6detail17trampoline_kernelINS0_14default_configENS1_25partition_config_selectorILNS1_17partition_subalgoE6EyNS0_10empty_typeEbEEZZNS1_14partition_implILS5_6ELb0ES3_mN6thrust23THRUST_200600_302600_NS6detail15normal_iteratorINSA_10device_ptrIyEEEEPS6_SG_NS0_5tupleIJSF_S6_EEENSH_IJSG_SG_EEES6_PlJNSB_9not_fun_tI7is_evenIyEEEEEE10hipError_tPvRmT3_T4_T5_T6_T7_T9_mT8_P12ihipStream_tbDpT10_ENKUlT_T0_E_clISt17integral_constantIbLb1EES17_IbLb0EEEEDaS13_S14_EUlS13_E_NS1_11comp_targetILNS1_3genE9ELNS1_11target_archE1100ELNS1_3gpuE3ELNS1_3repE0EEENS1_30default_config_static_selectorELNS0_4arch9wavefront6targetE0EEEvT1_
		.amdhsa_group_segment_fixed_size 0
		.amdhsa_private_segment_fixed_size 0
		.amdhsa_kernarg_size 112
		.amdhsa_user_sgpr_count 2
		.amdhsa_user_sgpr_dispatch_ptr 0
		.amdhsa_user_sgpr_queue_ptr 0
		.amdhsa_user_sgpr_kernarg_segment_ptr 1
		.amdhsa_user_sgpr_dispatch_id 0
		.amdhsa_user_sgpr_private_segment_size 0
		.amdhsa_wavefront_size32 1
		.amdhsa_uses_dynamic_stack 0
		.amdhsa_enable_private_segment 0
		.amdhsa_system_sgpr_workgroup_id_x 1
		.amdhsa_system_sgpr_workgroup_id_y 0
		.amdhsa_system_sgpr_workgroup_id_z 0
		.amdhsa_system_sgpr_workgroup_info 0
		.amdhsa_system_vgpr_workitem_id 0
		.amdhsa_next_free_vgpr 1
		.amdhsa_next_free_sgpr 1
		.amdhsa_reserve_vcc 0
		.amdhsa_float_round_mode_32 0
		.amdhsa_float_round_mode_16_64 0
		.amdhsa_float_denorm_mode_32 3
		.amdhsa_float_denorm_mode_16_64 3
		.amdhsa_fp16_overflow 0
		.amdhsa_workgroup_processor_mode 1
		.amdhsa_memory_ordered 1
		.amdhsa_forward_progress 1
		.amdhsa_inst_pref_size 0
		.amdhsa_round_robin_scheduling 0
		.amdhsa_exception_fp_ieee_invalid_op 0
		.amdhsa_exception_fp_denorm_src 0
		.amdhsa_exception_fp_ieee_div_zero 0
		.amdhsa_exception_fp_ieee_overflow 0
		.amdhsa_exception_fp_ieee_underflow 0
		.amdhsa_exception_fp_ieee_inexact 0
		.amdhsa_exception_int_div_zero 0
	.end_amdhsa_kernel
	.section	.text._ZN7rocprim17ROCPRIM_400000_NS6detail17trampoline_kernelINS0_14default_configENS1_25partition_config_selectorILNS1_17partition_subalgoE6EyNS0_10empty_typeEbEEZZNS1_14partition_implILS5_6ELb0ES3_mN6thrust23THRUST_200600_302600_NS6detail15normal_iteratorINSA_10device_ptrIyEEEEPS6_SG_NS0_5tupleIJSF_S6_EEENSH_IJSG_SG_EEES6_PlJNSB_9not_fun_tI7is_evenIyEEEEEE10hipError_tPvRmT3_T4_T5_T6_T7_T9_mT8_P12ihipStream_tbDpT10_ENKUlT_T0_E_clISt17integral_constantIbLb1EES17_IbLb0EEEEDaS13_S14_EUlS13_E_NS1_11comp_targetILNS1_3genE9ELNS1_11target_archE1100ELNS1_3gpuE3ELNS1_3repE0EEENS1_30default_config_static_selectorELNS0_4arch9wavefront6targetE0EEEvT1_,"axG",@progbits,_ZN7rocprim17ROCPRIM_400000_NS6detail17trampoline_kernelINS0_14default_configENS1_25partition_config_selectorILNS1_17partition_subalgoE6EyNS0_10empty_typeEbEEZZNS1_14partition_implILS5_6ELb0ES3_mN6thrust23THRUST_200600_302600_NS6detail15normal_iteratorINSA_10device_ptrIyEEEEPS6_SG_NS0_5tupleIJSF_S6_EEENSH_IJSG_SG_EEES6_PlJNSB_9not_fun_tI7is_evenIyEEEEEE10hipError_tPvRmT3_T4_T5_T6_T7_T9_mT8_P12ihipStream_tbDpT10_ENKUlT_T0_E_clISt17integral_constantIbLb1EES17_IbLb0EEEEDaS13_S14_EUlS13_E_NS1_11comp_targetILNS1_3genE9ELNS1_11target_archE1100ELNS1_3gpuE3ELNS1_3repE0EEENS1_30default_config_static_selectorELNS0_4arch9wavefront6targetE0EEEvT1_,comdat
.Lfunc_end619:
	.size	_ZN7rocprim17ROCPRIM_400000_NS6detail17trampoline_kernelINS0_14default_configENS1_25partition_config_selectorILNS1_17partition_subalgoE6EyNS0_10empty_typeEbEEZZNS1_14partition_implILS5_6ELb0ES3_mN6thrust23THRUST_200600_302600_NS6detail15normal_iteratorINSA_10device_ptrIyEEEEPS6_SG_NS0_5tupleIJSF_S6_EEENSH_IJSG_SG_EEES6_PlJNSB_9not_fun_tI7is_evenIyEEEEEE10hipError_tPvRmT3_T4_T5_T6_T7_T9_mT8_P12ihipStream_tbDpT10_ENKUlT_T0_E_clISt17integral_constantIbLb1EES17_IbLb0EEEEDaS13_S14_EUlS13_E_NS1_11comp_targetILNS1_3genE9ELNS1_11target_archE1100ELNS1_3gpuE3ELNS1_3repE0EEENS1_30default_config_static_selectorELNS0_4arch9wavefront6targetE0EEEvT1_, .Lfunc_end619-_ZN7rocprim17ROCPRIM_400000_NS6detail17trampoline_kernelINS0_14default_configENS1_25partition_config_selectorILNS1_17partition_subalgoE6EyNS0_10empty_typeEbEEZZNS1_14partition_implILS5_6ELb0ES3_mN6thrust23THRUST_200600_302600_NS6detail15normal_iteratorINSA_10device_ptrIyEEEEPS6_SG_NS0_5tupleIJSF_S6_EEENSH_IJSG_SG_EEES6_PlJNSB_9not_fun_tI7is_evenIyEEEEEE10hipError_tPvRmT3_T4_T5_T6_T7_T9_mT8_P12ihipStream_tbDpT10_ENKUlT_T0_E_clISt17integral_constantIbLb1EES17_IbLb0EEEEDaS13_S14_EUlS13_E_NS1_11comp_targetILNS1_3genE9ELNS1_11target_archE1100ELNS1_3gpuE3ELNS1_3repE0EEENS1_30default_config_static_selectorELNS0_4arch9wavefront6targetE0EEEvT1_
                                        ; -- End function
	.set _ZN7rocprim17ROCPRIM_400000_NS6detail17trampoline_kernelINS0_14default_configENS1_25partition_config_selectorILNS1_17partition_subalgoE6EyNS0_10empty_typeEbEEZZNS1_14partition_implILS5_6ELb0ES3_mN6thrust23THRUST_200600_302600_NS6detail15normal_iteratorINSA_10device_ptrIyEEEEPS6_SG_NS0_5tupleIJSF_S6_EEENSH_IJSG_SG_EEES6_PlJNSB_9not_fun_tI7is_evenIyEEEEEE10hipError_tPvRmT3_T4_T5_T6_T7_T9_mT8_P12ihipStream_tbDpT10_ENKUlT_T0_E_clISt17integral_constantIbLb1EES17_IbLb0EEEEDaS13_S14_EUlS13_E_NS1_11comp_targetILNS1_3genE9ELNS1_11target_archE1100ELNS1_3gpuE3ELNS1_3repE0EEENS1_30default_config_static_selectorELNS0_4arch9wavefront6targetE0EEEvT1_.num_vgpr, 0
	.set _ZN7rocprim17ROCPRIM_400000_NS6detail17trampoline_kernelINS0_14default_configENS1_25partition_config_selectorILNS1_17partition_subalgoE6EyNS0_10empty_typeEbEEZZNS1_14partition_implILS5_6ELb0ES3_mN6thrust23THRUST_200600_302600_NS6detail15normal_iteratorINSA_10device_ptrIyEEEEPS6_SG_NS0_5tupleIJSF_S6_EEENSH_IJSG_SG_EEES6_PlJNSB_9not_fun_tI7is_evenIyEEEEEE10hipError_tPvRmT3_T4_T5_T6_T7_T9_mT8_P12ihipStream_tbDpT10_ENKUlT_T0_E_clISt17integral_constantIbLb1EES17_IbLb0EEEEDaS13_S14_EUlS13_E_NS1_11comp_targetILNS1_3genE9ELNS1_11target_archE1100ELNS1_3gpuE3ELNS1_3repE0EEENS1_30default_config_static_selectorELNS0_4arch9wavefront6targetE0EEEvT1_.num_agpr, 0
	.set _ZN7rocprim17ROCPRIM_400000_NS6detail17trampoline_kernelINS0_14default_configENS1_25partition_config_selectorILNS1_17partition_subalgoE6EyNS0_10empty_typeEbEEZZNS1_14partition_implILS5_6ELb0ES3_mN6thrust23THRUST_200600_302600_NS6detail15normal_iteratorINSA_10device_ptrIyEEEEPS6_SG_NS0_5tupleIJSF_S6_EEENSH_IJSG_SG_EEES6_PlJNSB_9not_fun_tI7is_evenIyEEEEEE10hipError_tPvRmT3_T4_T5_T6_T7_T9_mT8_P12ihipStream_tbDpT10_ENKUlT_T0_E_clISt17integral_constantIbLb1EES17_IbLb0EEEEDaS13_S14_EUlS13_E_NS1_11comp_targetILNS1_3genE9ELNS1_11target_archE1100ELNS1_3gpuE3ELNS1_3repE0EEENS1_30default_config_static_selectorELNS0_4arch9wavefront6targetE0EEEvT1_.numbered_sgpr, 0
	.set _ZN7rocprim17ROCPRIM_400000_NS6detail17trampoline_kernelINS0_14default_configENS1_25partition_config_selectorILNS1_17partition_subalgoE6EyNS0_10empty_typeEbEEZZNS1_14partition_implILS5_6ELb0ES3_mN6thrust23THRUST_200600_302600_NS6detail15normal_iteratorINSA_10device_ptrIyEEEEPS6_SG_NS0_5tupleIJSF_S6_EEENSH_IJSG_SG_EEES6_PlJNSB_9not_fun_tI7is_evenIyEEEEEE10hipError_tPvRmT3_T4_T5_T6_T7_T9_mT8_P12ihipStream_tbDpT10_ENKUlT_T0_E_clISt17integral_constantIbLb1EES17_IbLb0EEEEDaS13_S14_EUlS13_E_NS1_11comp_targetILNS1_3genE9ELNS1_11target_archE1100ELNS1_3gpuE3ELNS1_3repE0EEENS1_30default_config_static_selectorELNS0_4arch9wavefront6targetE0EEEvT1_.num_named_barrier, 0
	.set _ZN7rocprim17ROCPRIM_400000_NS6detail17trampoline_kernelINS0_14default_configENS1_25partition_config_selectorILNS1_17partition_subalgoE6EyNS0_10empty_typeEbEEZZNS1_14partition_implILS5_6ELb0ES3_mN6thrust23THRUST_200600_302600_NS6detail15normal_iteratorINSA_10device_ptrIyEEEEPS6_SG_NS0_5tupleIJSF_S6_EEENSH_IJSG_SG_EEES6_PlJNSB_9not_fun_tI7is_evenIyEEEEEE10hipError_tPvRmT3_T4_T5_T6_T7_T9_mT8_P12ihipStream_tbDpT10_ENKUlT_T0_E_clISt17integral_constantIbLb1EES17_IbLb0EEEEDaS13_S14_EUlS13_E_NS1_11comp_targetILNS1_3genE9ELNS1_11target_archE1100ELNS1_3gpuE3ELNS1_3repE0EEENS1_30default_config_static_selectorELNS0_4arch9wavefront6targetE0EEEvT1_.private_seg_size, 0
	.set _ZN7rocprim17ROCPRIM_400000_NS6detail17trampoline_kernelINS0_14default_configENS1_25partition_config_selectorILNS1_17partition_subalgoE6EyNS0_10empty_typeEbEEZZNS1_14partition_implILS5_6ELb0ES3_mN6thrust23THRUST_200600_302600_NS6detail15normal_iteratorINSA_10device_ptrIyEEEEPS6_SG_NS0_5tupleIJSF_S6_EEENSH_IJSG_SG_EEES6_PlJNSB_9not_fun_tI7is_evenIyEEEEEE10hipError_tPvRmT3_T4_T5_T6_T7_T9_mT8_P12ihipStream_tbDpT10_ENKUlT_T0_E_clISt17integral_constantIbLb1EES17_IbLb0EEEEDaS13_S14_EUlS13_E_NS1_11comp_targetILNS1_3genE9ELNS1_11target_archE1100ELNS1_3gpuE3ELNS1_3repE0EEENS1_30default_config_static_selectorELNS0_4arch9wavefront6targetE0EEEvT1_.uses_vcc, 0
	.set _ZN7rocprim17ROCPRIM_400000_NS6detail17trampoline_kernelINS0_14default_configENS1_25partition_config_selectorILNS1_17partition_subalgoE6EyNS0_10empty_typeEbEEZZNS1_14partition_implILS5_6ELb0ES3_mN6thrust23THRUST_200600_302600_NS6detail15normal_iteratorINSA_10device_ptrIyEEEEPS6_SG_NS0_5tupleIJSF_S6_EEENSH_IJSG_SG_EEES6_PlJNSB_9not_fun_tI7is_evenIyEEEEEE10hipError_tPvRmT3_T4_T5_T6_T7_T9_mT8_P12ihipStream_tbDpT10_ENKUlT_T0_E_clISt17integral_constantIbLb1EES17_IbLb0EEEEDaS13_S14_EUlS13_E_NS1_11comp_targetILNS1_3genE9ELNS1_11target_archE1100ELNS1_3gpuE3ELNS1_3repE0EEENS1_30default_config_static_selectorELNS0_4arch9wavefront6targetE0EEEvT1_.uses_flat_scratch, 0
	.set _ZN7rocprim17ROCPRIM_400000_NS6detail17trampoline_kernelINS0_14default_configENS1_25partition_config_selectorILNS1_17partition_subalgoE6EyNS0_10empty_typeEbEEZZNS1_14partition_implILS5_6ELb0ES3_mN6thrust23THRUST_200600_302600_NS6detail15normal_iteratorINSA_10device_ptrIyEEEEPS6_SG_NS0_5tupleIJSF_S6_EEENSH_IJSG_SG_EEES6_PlJNSB_9not_fun_tI7is_evenIyEEEEEE10hipError_tPvRmT3_T4_T5_T6_T7_T9_mT8_P12ihipStream_tbDpT10_ENKUlT_T0_E_clISt17integral_constantIbLb1EES17_IbLb0EEEEDaS13_S14_EUlS13_E_NS1_11comp_targetILNS1_3genE9ELNS1_11target_archE1100ELNS1_3gpuE3ELNS1_3repE0EEENS1_30default_config_static_selectorELNS0_4arch9wavefront6targetE0EEEvT1_.has_dyn_sized_stack, 0
	.set _ZN7rocprim17ROCPRIM_400000_NS6detail17trampoline_kernelINS0_14default_configENS1_25partition_config_selectorILNS1_17partition_subalgoE6EyNS0_10empty_typeEbEEZZNS1_14partition_implILS5_6ELb0ES3_mN6thrust23THRUST_200600_302600_NS6detail15normal_iteratorINSA_10device_ptrIyEEEEPS6_SG_NS0_5tupleIJSF_S6_EEENSH_IJSG_SG_EEES6_PlJNSB_9not_fun_tI7is_evenIyEEEEEE10hipError_tPvRmT3_T4_T5_T6_T7_T9_mT8_P12ihipStream_tbDpT10_ENKUlT_T0_E_clISt17integral_constantIbLb1EES17_IbLb0EEEEDaS13_S14_EUlS13_E_NS1_11comp_targetILNS1_3genE9ELNS1_11target_archE1100ELNS1_3gpuE3ELNS1_3repE0EEENS1_30default_config_static_selectorELNS0_4arch9wavefront6targetE0EEEvT1_.has_recursion, 0
	.set _ZN7rocprim17ROCPRIM_400000_NS6detail17trampoline_kernelINS0_14default_configENS1_25partition_config_selectorILNS1_17partition_subalgoE6EyNS0_10empty_typeEbEEZZNS1_14partition_implILS5_6ELb0ES3_mN6thrust23THRUST_200600_302600_NS6detail15normal_iteratorINSA_10device_ptrIyEEEEPS6_SG_NS0_5tupleIJSF_S6_EEENSH_IJSG_SG_EEES6_PlJNSB_9not_fun_tI7is_evenIyEEEEEE10hipError_tPvRmT3_T4_T5_T6_T7_T9_mT8_P12ihipStream_tbDpT10_ENKUlT_T0_E_clISt17integral_constantIbLb1EES17_IbLb0EEEEDaS13_S14_EUlS13_E_NS1_11comp_targetILNS1_3genE9ELNS1_11target_archE1100ELNS1_3gpuE3ELNS1_3repE0EEENS1_30default_config_static_selectorELNS0_4arch9wavefront6targetE0EEEvT1_.has_indirect_call, 0
	.section	.AMDGPU.csdata,"",@progbits
; Kernel info:
; codeLenInByte = 0
; TotalNumSgprs: 0
; NumVgprs: 0
; ScratchSize: 0
; MemoryBound: 0
; FloatMode: 240
; IeeeMode: 1
; LDSByteSize: 0 bytes/workgroup (compile time only)
; SGPRBlocks: 0
; VGPRBlocks: 0
; NumSGPRsForWavesPerEU: 1
; NumVGPRsForWavesPerEU: 1
; Occupancy: 16
; WaveLimiterHint : 0
; COMPUTE_PGM_RSRC2:SCRATCH_EN: 0
; COMPUTE_PGM_RSRC2:USER_SGPR: 2
; COMPUTE_PGM_RSRC2:TRAP_HANDLER: 0
; COMPUTE_PGM_RSRC2:TGID_X_EN: 1
; COMPUTE_PGM_RSRC2:TGID_Y_EN: 0
; COMPUTE_PGM_RSRC2:TGID_Z_EN: 0
; COMPUTE_PGM_RSRC2:TIDIG_COMP_CNT: 0
	.section	.text._ZN7rocprim17ROCPRIM_400000_NS6detail17trampoline_kernelINS0_14default_configENS1_25partition_config_selectorILNS1_17partition_subalgoE6EyNS0_10empty_typeEbEEZZNS1_14partition_implILS5_6ELb0ES3_mN6thrust23THRUST_200600_302600_NS6detail15normal_iteratorINSA_10device_ptrIyEEEEPS6_SG_NS0_5tupleIJSF_S6_EEENSH_IJSG_SG_EEES6_PlJNSB_9not_fun_tI7is_evenIyEEEEEE10hipError_tPvRmT3_T4_T5_T6_T7_T9_mT8_P12ihipStream_tbDpT10_ENKUlT_T0_E_clISt17integral_constantIbLb1EES17_IbLb0EEEEDaS13_S14_EUlS13_E_NS1_11comp_targetILNS1_3genE8ELNS1_11target_archE1030ELNS1_3gpuE2ELNS1_3repE0EEENS1_30default_config_static_selectorELNS0_4arch9wavefront6targetE0EEEvT1_,"axG",@progbits,_ZN7rocprim17ROCPRIM_400000_NS6detail17trampoline_kernelINS0_14default_configENS1_25partition_config_selectorILNS1_17partition_subalgoE6EyNS0_10empty_typeEbEEZZNS1_14partition_implILS5_6ELb0ES3_mN6thrust23THRUST_200600_302600_NS6detail15normal_iteratorINSA_10device_ptrIyEEEEPS6_SG_NS0_5tupleIJSF_S6_EEENSH_IJSG_SG_EEES6_PlJNSB_9not_fun_tI7is_evenIyEEEEEE10hipError_tPvRmT3_T4_T5_T6_T7_T9_mT8_P12ihipStream_tbDpT10_ENKUlT_T0_E_clISt17integral_constantIbLb1EES17_IbLb0EEEEDaS13_S14_EUlS13_E_NS1_11comp_targetILNS1_3genE8ELNS1_11target_archE1030ELNS1_3gpuE2ELNS1_3repE0EEENS1_30default_config_static_selectorELNS0_4arch9wavefront6targetE0EEEvT1_,comdat
	.protected	_ZN7rocprim17ROCPRIM_400000_NS6detail17trampoline_kernelINS0_14default_configENS1_25partition_config_selectorILNS1_17partition_subalgoE6EyNS0_10empty_typeEbEEZZNS1_14partition_implILS5_6ELb0ES3_mN6thrust23THRUST_200600_302600_NS6detail15normal_iteratorINSA_10device_ptrIyEEEEPS6_SG_NS0_5tupleIJSF_S6_EEENSH_IJSG_SG_EEES6_PlJNSB_9not_fun_tI7is_evenIyEEEEEE10hipError_tPvRmT3_T4_T5_T6_T7_T9_mT8_P12ihipStream_tbDpT10_ENKUlT_T0_E_clISt17integral_constantIbLb1EES17_IbLb0EEEEDaS13_S14_EUlS13_E_NS1_11comp_targetILNS1_3genE8ELNS1_11target_archE1030ELNS1_3gpuE2ELNS1_3repE0EEENS1_30default_config_static_selectorELNS0_4arch9wavefront6targetE0EEEvT1_ ; -- Begin function _ZN7rocprim17ROCPRIM_400000_NS6detail17trampoline_kernelINS0_14default_configENS1_25partition_config_selectorILNS1_17partition_subalgoE6EyNS0_10empty_typeEbEEZZNS1_14partition_implILS5_6ELb0ES3_mN6thrust23THRUST_200600_302600_NS6detail15normal_iteratorINSA_10device_ptrIyEEEEPS6_SG_NS0_5tupleIJSF_S6_EEENSH_IJSG_SG_EEES6_PlJNSB_9not_fun_tI7is_evenIyEEEEEE10hipError_tPvRmT3_T4_T5_T6_T7_T9_mT8_P12ihipStream_tbDpT10_ENKUlT_T0_E_clISt17integral_constantIbLb1EES17_IbLb0EEEEDaS13_S14_EUlS13_E_NS1_11comp_targetILNS1_3genE8ELNS1_11target_archE1030ELNS1_3gpuE2ELNS1_3repE0EEENS1_30default_config_static_selectorELNS0_4arch9wavefront6targetE0EEEvT1_
	.globl	_ZN7rocprim17ROCPRIM_400000_NS6detail17trampoline_kernelINS0_14default_configENS1_25partition_config_selectorILNS1_17partition_subalgoE6EyNS0_10empty_typeEbEEZZNS1_14partition_implILS5_6ELb0ES3_mN6thrust23THRUST_200600_302600_NS6detail15normal_iteratorINSA_10device_ptrIyEEEEPS6_SG_NS0_5tupleIJSF_S6_EEENSH_IJSG_SG_EEES6_PlJNSB_9not_fun_tI7is_evenIyEEEEEE10hipError_tPvRmT3_T4_T5_T6_T7_T9_mT8_P12ihipStream_tbDpT10_ENKUlT_T0_E_clISt17integral_constantIbLb1EES17_IbLb0EEEEDaS13_S14_EUlS13_E_NS1_11comp_targetILNS1_3genE8ELNS1_11target_archE1030ELNS1_3gpuE2ELNS1_3repE0EEENS1_30default_config_static_selectorELNS0_4arch9wavefront6targetE0EEEvT1_
	.p2align	8
	.type	_ZN7rocprim17ROCPRIM_400000_NS6detail17trampoline_kernelINS0_14default_configENS1_25partition_config_selectorILNS1_17partition_subalgoE6EyNS0_10empty_typeEbEEZZNS1_14partition_implILS5_6ELb0ES3_mN6thrust23THRUST_200600_302600_NS6detail15normal_iteratorINSA_10device_ptrIyEEEEPS6_SG_NS0_5tupleIJSF_S6_EEENSH_IJSG_SG_EEES6_PlJNSB_9not_fun_tI7is_evenIyEEEEEE10hipError_tPvRmT3_T4_T5_T6_T7_T9_mT8_P12ihipStream_tbDpT10_ENKUlT_T0_E_clISt17integral_constantIbLb1EES17_IbLb0EEEEDaS13_S14_EUlS13_E_NS1_11comp_targetILNS1_3genE8ELNS1_11target_archE1030ELNS1_3gpuE2ELNS1_3repE0EEENS1_30default_config_static_selectorELNS0_4arch9wavefront6targetE0EEEvT1_,@function
_ZN7rocprim17ROCPRIM_400000_NS6detail17trampoline_kernelINS0_14default_configENS1_25partition_config_selectorILNS1_17partition_subalgoE6EyNS0_10empty_typeEbEEZZNS1_14partition_implILS5_6ELb0ES3_mN6thrust23THRUST_200600_302600_NS6detail15normal_iteratorINSA_10device_ptrIyEEEEPS6_SG_NS0_5tupleIJSF_S6_EEENSH_IJSG_SG_EEES6_PlJNSB_9not_fun_tI7is_evenIyEEEEEE10hipError_tPvRmT3_T4_T5_T6_T7_T9_mT8_P12ihipStream_tbDpT10_ENKUlT_T0_E_clISt17integral_constantIbLb1EES17_IbLb0EEEEDaS13_S14_EUlS13_E_NS1_11comp_targetILNS1_3genE8ELNS1_11target_archE1030ELNS1_3gpuE2ELNS1_3repE0EEENS1_30default_config_static_selectorELNS0_4arch9wavefront6targetE0EEEvT1_: ; @_ZN7rocprim17ROCPRIM_400000_NS6detail17trampoline_kernelINS0_14default_configENS1_25partition_config_selectorILNS1_17partition_subalgoE6EyNS0_10empty_typeEbEEZZNS1_14partition_implILS5_6ELb0ES3_mN6thrust23THRUST_200600_302600_NS6detail15normal_iteratorINSA_10device_ptrIyEEEEPS6_SG_NS0_5tupleIJSF_S6_EEENSH_IJSG_SG_EEES6_PlJNSB_9not_fun_tI7is_evenIyEEEEEE10hipError_tPvRmT3_T4_T5_T6_T7_T9_mT8_P12ihipStream_tbDpT10_ENKUlT_T0_E_clISt17integral_constantIbLb1EES17_IbLb0EEEEDaS13_S14_EUlS13_E_NS1_11comp_targetILNS1_3genE8ELNS1_11target_archE1030ELNS1_3gpuE2ELNS1_3repE0EEENS1_30default_config_static_selectorELNS0_4arch9wavefront6targetE0EEEvT1_
; %bb.0:
	.section	.rodata,"a",@progbits
	.p2align	6, 0x0
	.amdhsa_kernel _ZN7rocprim17ROCPRIM_400000_NS6detail17trampoline_kernelINS0_14default_configENS1_25partition_config_selectorILNS1_17partition_subalgoE6EyNS0_10empty_typeEbEEZZNS1_14partition_implILS5_6ELb0ES3_mN6thrust23THRUST_200600_302600_NS6detail15normal_iteratorINSA_10device_ptrIyEEEEPS6_SG_NS0_5tupleIJSF_S6_EEENSH_IJSG_SG_EEES6_PlJNSB_9not_fun_tI7is_evenIyEEEEEE10hipError_tPvRmT3_T4_T5_T6_T7_T9_mT8_P12ihipStream_tbDpT10_ENKUlT_T0_E_clISt17integral_constantIbLb1EES17_IbLb0EEEEDaS13_S14_EUlS13_E_NS1_11comp_targetILNS1_3genE8ELNS1_11target_archE1030ELNS1_3gpuE2ELNS1_3repE0EEENS1_30default_config_static_selectorELNS0_4arch9wavefront6targetE0EEEvT1_
		.amdhsa_group_segment_fixed_size 0
		.amdhsa_private_segment_fixed_size 0
		.amdhsa_kernarg_size 112
		.amdhsa_user_sgpr_count 2
		.amdhsa_user_sgpr_dispatch_ptr 0
		.amdhsa_user_sgpr_queue_ptr 0
		.amdhsa_user_sgpr_kernarg_segment_ptr 1
		.amdhsa_user_sgpr_dispatch_id 0
		.amdhsa_user_sgpr_private_segment_size 0
		.amdhsa_wavefront_size32 1
		.amdhsa_uses_dynamic_stack 0
		.amdhsa_enable_private_segment 0
		.amdhsa_system_sgpr_workgroup_id_x 1
		.amdhsa_system_sgpr_workgroup_id_y 0
		.amdhsa_system_sgpr_workgroup_id_z 0
		.amdhsa_system_sgpr_workgroup_info 0
		.amdhsa_system_vgpr_workitem_id 0
		.amdhsa_next_free_vgpr 1
		.amdhsa_next_free_sgpr 1
		.amdhsa_reserve_vcc 0
		.amdhsa_float_round_mode_32 0
		.amdhsa_float_round_mode_16_64 0
		.amdhsa_float_denorm_mode_32 3
		.amdhsa_float_denorm_mode_16_64 3
		.amdhsa_fp16_overflow 0
		.amdhsa_workgroup_processor_mode 1
		.amdhsa_memory_ordered 1
		.amdhsa_forward_progress 1
		.amdhsa_inst_pref_size 0
		.amdhsa_round_robin_scheduling 0
		.amdhsa_exception_fp_ieee_invalid_op 0
		.amdhsa_exception_fp_denorm_src 0
		.amdhsa_exception_fp_ieee_div_zero 0
		.amdhsa_exception_fp_ieee_overflow 0
		.amdhsa_exception_fp_ieee_underflow 0
		.amdhsa_exception_fp_ieee_inexact 0
		.amdhsa_exception_int_div_zero 0
	.end_amdhsa_kernel
	.section	.text._ZN7rocprim17ROCPRIM_400000_NS6detail17trampoline_kernelINS0_14default_configENS1_25partition_config_selectorILNS1_17partition_subalgoE6EyNS0_10empty_typeEbEEZZNS1_14partition_implILS5_6ELb0ES3_mN6thrust23THRUST_200600_302600_NS6detail15normal_iteratorINSA_10device_ptrIyEEEEPS6_SG_NS0_5tupleIJSF_S6_EEENSH_IJSG_SG_EEES6_PlJNSB_9not_fun_tI7is_evenIyEEEEEE10hipError_tPvRmT3_T4_T5_T6_T7_T9_mT8_P12ihipStream_tbDpT10_ENKUlT_T0_E_clISt17integral_constantIbLb1EES17_IbLb0EEEEDaS13_S14_EUlS13_E_NS1_11comp_targetILNS1_3genE8ELNS1_11target_archE1030ELNS1_3gpuE2ELNS1_3repE0EEENS1_30default_config_static_selectorELNS0_4arch9wavefront6targetE0EEEvT1_,"axG",@progbits,_ZN7rocprim17ROCPRIM_400000_NS6detail17trampoline_kernelINS0_14default_configENS1_25partition_config_selectorILNS1_17partition_subalgoE6EyNS0_10empty_typeEbEEZZNS1_14partition_implILS5_6ELb0ES3_mN6thrust23THRUST_200600_302600_NS6detail15normal_iteratorINSA_10device_ptrIyEEEEPS6_SG_NS0_5tupleIJSF_S6_EEENSH_IJSG_SG_EEES6_PlJNSB_9not_fun_tI7is_evenIyEEEEEE10hipError_tPvRmT3_T4_T5_T6_T7_T9_mT8_P12ihipStream_tbDpT10_ENKUlT_T0_E_clISt17integral_constantIbLb1EES17_IbLb0EEEEDaS13_S14_EUlS13_E_NS1_11comp_targetILNS1_3genE8ELNS1_11target_archE1030ELNS1_3gpuE2ELNS1_3repE0EEENS1_30default_config_static_selectorELNS0_4arch9wavefront6targetE0EEEvT1_,comdat
.Lfunc_end620:
	.size	_ZN7rocprim17ROCPRIM_400000_NS6detail17trampoline_kernelINS0_14default_configENS1_25partition_config_selectorILNS1_17partition_subalgoE6EyNS0_10empty_typeEbEEZZNS1_14partition_implILS5_6ELb0ES3_mN6thrust23THRUST_200600_302600_NS6detail15normal_iteratorINSA_10device_ptrIyEEEEPS6_SG_NS0_5tupleIJSF_S6_EEENSH_IJSG_SG_EEES6_PlJNSB_9not_fun_tI7is_evenIyEEEEEE10hipError_tPvRmT3_T4_T5_T6_T7_T9_mT8_P12ihipStream_tbDpT10_ENKUlT_T0_E_clISt17integral_constantIbLb1EES17_IbLb0EEEEDaS13_S14_EUlS13_E_NS1_11comp_targetILNS1_3genE8ELNS1_11target_archE1030ELNS1_3gpuE2ELNS1_3repE0EEENS1_30default_config_static_selectorELNS0_4arch9wavefront6targetE0EEEvT1_, .Lfunc_end620-_ZN7rocprim17ROCPRIM_400000_NS6detail17trampoline_kernelINS0_14default_configENS1_25partition_config_selectorILNS1_17partition_subalgoE6EyNS0_10empty_typeEbEEZZNS1_14partition_implILS5_6ELb0ES3_mN6thrust23THRUST_200600_302600_NS6detail15normal_iteratorINSA_10device_ptrIyEEEEPS6_SG_NS0_5tupleIJSF_S6_EEENSH_IJSG_SG_EEES6_PlJNSB_9not_fun_tI7is_evenIyEEEEEE10hipError_tPvRmT3_T4_T5_T6_T7_T9_mT8_P12ihipStream_tbDpT10_ENKUlT_T0_E_clISt17integral_constantIbLb1EES17_IbLb0EEEEDaS13_S14_EUlS13_E_NS1_11comp_targetILNS1_3genE8ELNS1_11target_archE1030ELNS1_3gpuE2ELNS1_3repE0EEENS1_30default_config_static_selectorELNS0_4arch9wavefront6targetE0EEEvT1_
                                        ; -- End function
	.set _ZN7rocprim17ROCPRIM_400000_NS6detail17trampoline_kernelINS0_14default_configENS1_25partition_config_selectorILNS1_17partition_subalgoE6EyNS0_10empty_typeEbEEZZNS1_14partition_implILS5_6ELb0ES3_mN6thrust23THRUST_200600_302600_NS6detail15normal_iteratorINSA_10device_ptrIyEEEEPS6_SG_NS0_5tupleIJSF_S6_EEENSH_IJSG_SG_EEES6_PlJNSB_9not_fun_tI7is_evenIyEEEEEE10hipError_tPvRmT3_T4_T5_T6_T7_T9_mT8_P12ihipStream_tbDpT10_ENKUlT_T0_E_clISt17integral_constantIbLb1EES17_IbLb0EEEEDaS13_S14_EUlS13_E_NS1_11comp_targetILNS1_3genE8ELNS1_11target_archE1030ELNS1_3gpuE2ELNS1_3repE0EEENS1_30default_config_static_selectorELNS0_4arch9wavefront6targetE0EEEvT1_.num_vgpr, 0
	.set _ZN7rocprim17ROCPRIM_400000_NS6detail17trampoline_kernelINS0_14default_configENS1_25partition_config_selectorILNS1_17partition_subalgoE6EyNS0_10empty_typeEbEEZZNS1_14partition_implILS5_6ELb0ES3_mN6thrust23THRUST_200600_302600_NS6detail15normal_iteratorINSA_10device_ptrIyEEEEPS6_SG_NS0_5tupleIJSF_S6_EEENSH_IJSG_SG_EEES6_PlJNSB_9not_fun_tI7is_evenIyEEEEEE10hipError_tPvRmT3_T4_T5_T6_T7_T9_mT8_P12ihipStream_tbDpT10_ENKUlT_T0_E_clISt17integral_constantIbLb1EES17_IbLb0EEEEDaS13_S14_EUlS13_E_NS1_11comp_targetILNS1_3genE8ELNS1_11target_archE1030ELNS1_3gpuE2ELNS1_3repE0EEENS1_30default_config_static_selectorELNS0_4arch9wavefront6targetE0EEEvT1_.num_agpr, 0
	.set _ZN7rocprim17ROCPRIM_400000_NS6detail17trampoline_kernelINS0_14default_configENS1_25partition_config_selectorILNS1_17partition_subalgoE6EyNS0_10empty_typeEbEEZZNS1_14partition_implILS5_6ELb0ES3_mN6thrust23THRUST_200600_302600_NS6detail15normal_iteratorINSA_10device_ptrIyEEEEPS6_SG_NS0_5tupleIJSF_S6_EEENSH_IJSG_SG_EEES6_PlJNSB_9not_fun_tI7is_evenIyEEEEEE10hipError_tPvRmT3_T4_T5_T6_T7_T9_mT8_P12ihipStream_tbDpT10_ENKUlT_T0_E_clISt17integral_constantIbLb1EES17_IbLb0EEEEDaS13_S14_EUlS13_E_NS1_11comp_targetILNS1_3genE8ELNS1_11target_archE1030ELNS1_3gpuE2ELNS1_3repE0EEENS1_30default_config_static_selectorELNS0_4arch9wavefront6targetE0EEEvT1_.numbered_sgpr, 0
	.set _ZN7rocprim17ROCPRIM_400000_NS6detail17trampoline_kernelINS0_14default_configENS1_25partition_config_selectorILNS1_17partition_subalgoE6EyNS0_10empty_typeEbEEZZNS1_14partition_implILS5_6ELb0ES3_mN6thrust23THRUST_200600_302600_NS6detail15normal_iteratorINSA_10device_ptrIyEEEEPS6_SG_NS0_5tupleIJSF_S6_EEENSH_IJSG_SG_EEES6_PlJNSB_9not_fun_tI7is_evenIyEEEEEE10hipError_tPvRmT3_T4_T5_T6_T7_T9_mT8_P12ihipStream_tbDpT10_ENKUlT_T0_E_clISt17integral_constantIbLb1EES17_IbLb0EEEEDaS13_S14_EUlS13_E_NS1_11comp_targetILNS1_3genE8ELNS1_11target_archE1030ELNS1_3gpuE2ELNS1_3repE0EEENS1_30default_config_static_selectorELNS0_4arch9wavefront6targetE0EEEvT1_.num_named_barrier, 0
	.set _ZN7rocprim17ROCPRIM_400000_NS6detail17trampoline_kernelINS0_14default_configENS1_25partition_config_selectorILNS1_17partition_subalgoE6EyNS0_10empty_typeEbEEZZNS1_14partition_implILS5_6ELb0ES3_mN6thrust23THRUST_200600_302600_NS6detail15normal_iteratorINSA_10device_ptrIyEEEEPS6_SG_NS0_5tupleIJSF_S6_EEENSH_IJSG_SG_EEES6_PlJNSB_9not_fun_tI7is_evenIyEEEEEE10hipError_tPvRmT3_T4_T5_T6_T7_T9_mT8_P12ihipStream_tbDpT10_ENKUlT_T0_E_clISt17integral_constantIbLb1EES17_IbLb0EEEEDaS13_S14_EUlS13_E_NS1_11comp_targetILNS1_3genE8ELNS1_11target_archE1030ELNS1_3gpuE2ELNS1_3repE0EEENS1_30default_config_static_selectorELNS0_4arch9wavefront6targetE0EEEvT1_.private_seg_size, 0
	.set _ZN7rocprim17ROCPRIM_400000_NS6detail17trampoline_kernelINS0_14default_configENS1_25partition_config_selectorILNS1_17partition_subalgoE6EyNS0_10empty_typeEbEEZZNS1_14partition_implILS5_6ELb0ES3_mN6thrust23THRUST_200600_302600_NS6detail15normal_iteratorINSA_10device_ptrIyEEEEPS6_SG_NS0_5tupleIJSF_S6_EEENSH_IJSG_SG_EEES6_PlJNSB_9not_fun_tI7is_evenIyEEEEEE10hipError_tPvRmT3_T4_T5_T6_T7_T9_mT8_P12ihipStream_tbDpT10_ENKUlT_T0_E_clISt17integral_constantIbLb1EES17_IbLb0EEEEDaS13_S14_EUlS13_E_NS1_11comp_targetILNS1_3genE8ELNS1_11target_archE1030ELNS1_3gpuE2ELNS1_3repE0EEENS1_30default_config_static_selectorELNS0_4arch9wavefront6targetE0EEEvT1_.uses_vcc, 0
	.set _ZN7rocprim17ROCPRIM_400000_NS6detail17trampoline_kernelINS0_14default_configENS1_25partition_config_selectorILNS1_17partition_subalgoE6EyNS0_10empty_typeEbEEZZNS1_14partition_implILS5_6ELb0ES3_mN6thrust23THRUST_200600_302600_NS6detail15normal_iteratorINSA_10device_ptrIyEEEEPS6_SG_NS0_5tupleIJSF_S6_EEENSH_IJSG_SG_EEES6_PlJNSB_9not_fun_tI7is_evenIyEEEEEE10hipError_tPvRmT3_T4_T5_T6_T7_T9_mT8_P12ihipStream_tbDpT10_ENKUlT_T0_E_clISt17integral_constantIbLb1EES17_IbLb0EEEEDaS13_S14_EUlS13_E_NS1_11comp_targetILNS1_3genE8ELNS1_11target_archE1030ELNS1_3gpuE2ELNS1_3repE0EEENS1_30default_config_static_selectorELNS0_4arch9wavefront6targetE0EEEvT1_.uses_flat_scratch, 0
	.set _ZN7rocprim17ROCPRIM_400000_NS6detail17trampoline_kernelINS0_14default_configENS1_25partition_config_selectorILNS1_17partition_subalgoE6EyNS0_10empty_typeEbEEZZNS1_14partition_implILS5_6ELb0ES3_mN6thrust23THRUST_200600_302600_NS6detail15normal_iteratorINSA_10device_ptrIyEEEEPS6_SG_NS0_5tupleIJSF_S6_EEENSH_IJSG_SG_EEES6_PlJNSB_9not_fun_tI7is_evenIyEEEEEE10hipError_tPvRmT3_T4_T5_T6_T7_T9_mT8_P12ihipStream_tbDpT10_ENKUlT_T0_E_clISt17integral_constantIbLb1EES17_IbLb0EEEEDaS13_S14_EUlS13_E_NS1_11comp_targetILNS1_3genE8ELNS1_11target_archE1030ELNS1_3gpuE2ELNS1_3repE0EEENS1_30default_config_static_selectorELNS0_4arch9wavefront6targetE0EEEvT1_.has_dyn_sized_stack, 0
	.set _ZN7rocprim17ROCPRIM_400000_NS6detail17trampoline_kernelINS0_14default_configENS1_25partition_config_selectorILNS1_17partition_subalgoE6EyNS0_10empty_typeEbEEZZNS1_14partition_implILS5_6ELb0ES3_mN6thrust23THRUST_200600_302600_NS6detail15normal_iteratorINSA_10device_ptrIyEEEEPS6_SG_NS0_5tupleIJSF_S6_EEENSH_IJSG_SG_EEES6_PlJNSB_9not_fun_tI7is_evenIyEEEEEE10hipError_tPvRmT3_T4_T5_T6_T7_T9_mT8_P12ihipStream_tbDpT10_ENKUlT_T0_E_clISt17integral_constantIbLb1EES17_IbLb0EEEEDaS13_S14_EUlS13_E_NS1_11comp_targetILNS1_3genE8ELNS1_11target_archE1030ELNS1_3gpuE2ELNS1_3repE0EEENS1_30default_config_static_selectorELNS0_4arch9wavefront6targetE0EEEvT1_.has_recursion, 0
	.set _ZN7rocprim17ROCPRIM_400000_NS6detail17trampoline_kernelINS0_14default_configENS1_25partition_config_selectorILNS1_17partition_subalgoE6EyNS0_10empty_typeEbEEZZNS1_14partition_implILS5_6ELb0ES3_mN6thrust23THRUST_200600_302600_NS6detail15normal_iteratorINSA_10device_ptrIyEEEEPS6_SG_NS0_5tupleIJSF_S6_EEENSH_IJSG_SG_EEES6_PlJNSB_9not_fun_tI7is_evenIyEEEEEE10hipError_tPvRmT3_T4_T5_T6_T7_T9_mT8_P12ihipStream_tbDpT10_ENKUlT_T0_E_clISt17integral_constantIbLb1EES17_IbLb0EEEEDaS13_S14_EUlS13_E_NS1_11comp_targetILNS1_3genE8ELNS1_11target_archE1030ELNS1_3gpuE2ELNS1_3repE0EEENS1_30default_config_static_selectorELNS0_4arch9wavefront6targetE0EEEvT1_.has_indirect_call, 0
	.section	.AMDGPU.csdata,"",@progbits
; Kernel info:
; codeLenInByte = 0
; TotalNumSgprs: 0
; NumVgprs: 0
; ScratchSize: 0
; MemoryBound: 0
; FloatMode: 240
; IeeeMode: 1
; LDSByteSize: 0 bytes/workgroup (compile time only)
; SGPRBlocks: 0
; VGPRBlocks: 0
; NumSGPRsForWavesPerEU: 1
; NumVGPRsForWavesPerEU: 1
; Occupancy: 16
; WaveLimiterHint : 0
; COMPUTE_PGM_RSRC2:SCRATCH_EN: 0
; COMPUTE_PGM_RSRC2:USER_SGPR: 2
; COMPUTE_PGM_RSRC2:TRAP_HANDLER: 0
; COMPUTE_PGM_RSRC2:TGID_X_EN: 1
; COMPUTE_PGM_RSRC2:TGID_Y_EN: 0
; COMPUTE_PGM_RSRC2:TGID_Z_EN: 0
; COMPUTE_PGM_RSRC2:TIDIG_COMP_CNT: 0
	.section	.text._ZN7rocprim17ROCPRIM_400000_NS6detail17trampoline_kernelINS0_14default_configENS1_25partition_config_selectorILNS1_17partition_subalgoE6EyNS0_10empty_typeEbEEZZNS1_14partition_implILS5_6ELb0ES3_mN6thrust23THRUST_200600_302600_NS6detail15normal_iteratorINSA_10device_ptrIyEEEEPS6_SG_NS0_5tupleIJSF_S6_EEENSH_IJSG_SG_EEES6_PlJNSB_9not_fun_tI7is_evenIyEEEEEE10hipError_tPvRmT3_T4_T5_T6_T7_T9_mT8_P12ihipStream_tbDpT10_ENKUlT_T0_E_clISt17integral_constantIbLb0EES17_IbLb1EEEEDaS13_S14_EUlS13_E_NS1_11comp_targetILNS1_3genE0ELNS1_11target_archE4294967295ELNS1_3gpuE0ELNS1_3repE0EEENS1_30default_config_static_selectorELNS0_4arch9wavefront6targetE0EEEvT1_,"axG",@progbits,_ZN7rocprim17ROCPRIM_400000_NS6detail17trampoline_kernelINS0_14default_configENS1_25partition_config_selectorILNS1_17partition_subalgoE6EyNS0_10empty_typeEbEEZZNS1_14partition_implILS5_6ELb0ES3_mN6thrust23THRUST_200600_302600_NS6detail15normal_iteratorINSA_10device_ptrIyEEEEPS6_SG_NS0_5tupleIJSF_S6_EEENSH_IJSG_SG_EEES6_PlJNSB_9not_fun_tI7is_evenIyEEEEEE10hipError_tPvRmT3_T4_T5_T6_T7_T9_mT8_P12ihipStream_tbDpT10_ENKUlT_T0_E_clISt17integral_constantIbLb0EES17_IbLb1EEEEDaS13_S14_EUlS13_E_NS1_11comp_targetILNS1_3genE0ELNS1_11target_archE4294967295ELNS1_3gpuE0ELNS1_3repE0EEENS1_30default_config_static_selectorELNS0_4arch9wavefront6targetE0EEEvT1_,comdat
	.protected	_ZN7rocprim17ROCPRIM_400000_NS6detail17trampoline_kernelINS0_14default_configENS1_25partition_config_selectorILNS1_17partition_subalgoE6EyNS0_10empty_typeEbEEZZNS1_14partition_implILS5_6ELb0ES3_mN6thrust23THRUST_200600_302600_NS6detail15normal_iteratorINSA_10device_ptrIyEEEEPS6_SG_NS0_5tupleIJSF_S6_EEENSH_IJSG_SG_EEES6_PlJNSB_9not_fun_tI7is_evenIyEEEEEE10hipError_tPvRmT3_T4_T5_T6_T7_T9_mT8_P12ihipStream_tbDpT10_ENKUlT_T0_E_clISt17integral_constantIbLb0EES17_IbLb1EEEEDaS13_S14_EUlS13_E_NS1_11comp_targetILNS1_3genE0ELNS1_11target_archE4294967295ELNS1_3gpuE0ELNS1_3repE0EEENS1_30default_config_static_selectorELNS0_4arch9wavefront6targetE0EEEvT1_ ; -- Begin function _ZN7rocprim17ROCPRIM_400000_NS6detail17trampoline_kernelINS0_14default_configENS1_25partition_config_selectorILNS1_17partition_subalgoE6EyNS0_10empty_typeEbEEZZNS1_14partition_implILS5_6ELb0ES3_mN6thrust23THRUST_200600_302600_NS6detail15normal_iteratorINSA_10device_ptrIyEEEEPS6_SG_NS0_5tupleIJSF_S6_EEENSH_IJSG_SG_EEES6_PlJNSB_9not_fun_tI7is_evenIyEEEEEE10hipError_tPvRmT3_T4_T5_T6_T7_T9_mT8_P12ihipStream_tbDpT10_ENKUlT_T0_E_clISt17integral_constantIbLb0EES17_IbLb1EEEEDaS13_S14_EUlS13_E_NS1_11comp_targetILNS1_3genE0ELNS1_11target_archE4294967295ELNS1_3gpuE0ELNS1_3repE0EEENS1_30default_config_static_selectorELNS0_4arch9wavefront6targetE0EEEvT1_
	.globl	_ZN7rocprim17ROCPRIM_400000_NS6detail17trampoline_kernelINS0_14default_configENS1_25partition_config_selectorILNS1_17partition_subalgoE6EyNS0_10empty_typeEbEEZZNS1_14partition_implILS5_6ELb0ES3_mN6thrust23THRUST_200600_302600_NS6detail15normal_iteratorINSA_10device_ptrIyEEEEPS6_SG_NS0_5tupleIJSF_S6_EEENSH_IJSG_SG_EEES6_PlJNSB_9not_fun_tI7is_evenIyEEEEEE10hipError_tPvRmT3_T4_T5_T6_T7_T9_mT8_P12ihipStream_tbDpT10_ENKUlT_T0_E_clISt17integral_constantIbLb0EES17_IbLb1EEEEDaS13_S14_EUlS13_E_NS1_11comp_targetILNS1_3genE0ELNS1_11target_archE4294967295ELNS1_3gpuE0ELNS1_3repE0EEENS1_30default_config_static_selectorELNS0_4arch9wavefront6targetE0EEEvT1_
	.p2align	8
	.type	_ZN7rocprim17ROCPRIM_400000_NS6detail17trampoline_kernelINS0_14default_configENS1_25partition_config_selectorILNS1_17partition_subalgoE6EyNS0_10empty_typeEbEEZZNS1_14partition_implILS5_6ELb0ES3_mN6thrust23THRUST_200600_302600_NS6detail15normal_iteratorINSA_10device_ptrIyEEEEPS6_SG_NS0_5tupleIJSF_S6_EEENSH_IJSG_SG_EEES6_PlJNSB_9not_fun_tI7is_evenIyEEEEEE10hipError_tPvRmT3_T4_T5_T6_T7_T9_mT8_P12ihipStream_tbDpT10_ENKUlT_T0_E_clISt17integral_constantIbLb0EES17_IbLb1EEEEDaS13_S14_EUlS13_E_NS1_11comp_targetILNS1_3genE0ELNS1_11target_archE4294967295ELNS1_3gpuE0ELNS1_3repE0EEENS1_30default_config_static_selectorELNS0_4arch9wavefront6targetE0EEEvT1_,@function
_ZN7rocprim17ROCPRIM_400000_NS6detail17trampoline_kernelINS0_14default_configENS1_25partition_config_selectorILNS1_17partition_subalgoE6EyNS0_10empty_typeEbEEZZNS1_14partition_implILS5_6ELb0ES3_mN6thrust23THRUST_200600_302600_NS6detail15normal_iteratorINSA_10device_ptrIyEEEEPS6_SG_NS0_5tupleIJSF_S6_EEENSH_IJSG_SG_EEES6_PlJNSB_9not_fun_tI7is_evenIyEEEEEE10hipError_tPvRmT3_T4_T5_T6_T7_T9_mT8_P12ihipStream_tbDpT10_ENKUlT_T0_E_clISt17integral_constantIbLb0EES17_IbLb1EEEEDaS13_S14_EUlS13_E_NS1_11comp_targetILNS1_3genE0ELNS1_11target_archE4294967295ELNS1_3gpuE0ELNS1_3repE0EEENS1_30default_config_static_selectorELNS0_4arch9wavefront6targetE0EEEvT1_: ; @_ZN7rocprim17ROCPRIM_400000_NS6detail17trampoline_kernelINS0_14default_configENS1_25partition_config_selectorILNS1_17partition_subalgoE6EyNS0_10empty_typeEbEEZZNS1_14partition_implILS5_6ELb0ES3_mN6thrust23THRUST_200600_302600_NS6detail15normal_iteratorINSA_10device_ptrIyEEEEPS6_SG_NS0_5tupleIJSF_S6_EEENSH_IJSG_SG_EEES6_PlJNSB_9not_fun_tI7is_evenIyEEEEEE10hipError_tPvRmT3_T4_T5_T6_T7_T9_mT8_P12ihipStream_tbDpT10_ENKUlT_T0_E_clISt17integral_constantIbLb0EES17_IbLb1EEEEDaS13_S14_EUlS13_E_NS1_11comp_targetILNS1_3genE0ELNS1_11target_archE4294967295ELNS1_3gpuE0ELNS1_3repE0EEENS1_30default_config_static_selectorELNS0_4arch9wavefront6targetE0EEEvT1_
; %bb.0:
	.section	.rodata,"a",@progbits
	.p2align	6, 0x0
	.amdhsa_kernel _ZN7rocprim17ROCPRIM_400000_NS6detail17trampoline_kernelINS0_14default_configENS1_25partition_config_selectorILNS1_17partition_subalgoE6EyNS0_10empty_typeEbEEZZNS1_14partition_implILS5_6ELb0ES3_mN6thrust23THRUST_200600_302600_NS6detail15normal_iteratorINSA_10device_ptrIyEEEEPS6_SG_NS0_5tupleIJSF_S6_EEENSH_IJSG_SG_EEES6_PlJNSB_9not_fun_tI7is_evenIyEEEEEE10hipError_tPvRmT3_T4_T5_T6_T7_T9_mT8_P12ihipStream_tbDpT10_ENKUlT_T0_E_clISt17integral_constantIbLb0EES17_IbLb1EEEEDaS13_S14_EUlS13_E_NS1_11comp_targetILNS1_3genE0ELNS1_11target_archE4294967295ELNS1_3gpuE0ELNS1_3repE0EEENS1_30default_config_static_selectorELNS0_4arch9wavefront6targetE0EEEvT1_
		.amdhsa_group_segment_fixed_size 0
		.amdhsa_private_segment_fixed_size 0
		.amdhsa_kernarg_size 128
		.amdhsa_user_sgpr_count 2
		.amdhsa_user_sgpr_dispatch_ptr 0
		.amdhsa_user_sgpr_queue_ptr 0
		.amdhsa_user_sgpr_kernarg_segment_ptr 1
		.amdhsa_user_sgpr_dispatch_id 0
		.amdhsa_user_sgpr_private_segment_size 0
		.amdhsa_wavefront_size32 1
		.amdhsa_uses_dynamic_stack 0
		.amdhsa_enable_private_segment 0
		.amdhsa_system_sgpr_workgroup_id_x 1
		.amdhsa_system_sgpr_workgroup_id_y 0
		.amdhsa_system_sgpr_workgroup_id_z 0
		.amdhsa_system_sgpr_workgroup_info 0
		.amdhsa_system_vgpr_workitem_id 0
		.amdhsa_next_free_vgpr 1
		.amdhsa_next_free_sgpr 1
		.amdhsa_reserve_vcc 0
		.amdhsa_float_round_mode_32 0
		.amdhsa_float_round_mode_16_64 0
		.amdhsa_float_denorm_mode_32 3
		.amdhsa_float_denorm_mode_16_64 3
		.amdhsa_fp16_overflow 0
		.amdhsa_workgroup_processor_mode 1
		.amdhsa_memory_ordered 1
		.amdhsa_forward_progress 1
		.amdhsa_inst_pref_size 0
		.amdhsa_round_robin_scheduling 0
		.amdhsa_exception_fp_ieee_invalid_op 0
		.amdhsa_exception_fp_denorm_src 0
		.amdhsa_exception_fp_ieee_div_zero 0
		.amdhsa_exception_fp_ieee_overflow 0
		.amdhsa_exception_fp_ieee_underflow 0
		.amdhsa_exception_fp_ieee_inexact 0
		.amdhsa_exception_int_div_zero 0
	.end_amdhsa_kernel
	.section	.text._ZN7rocprim17ROCPRIM_400000_NS6detail17trampoline_kernelINS0_14default_configENS1_25partition_config_selectorILNS1_17partition_subalgoE6EyNS0_10empty_typeEbEEZZNS1_14partition_implILS5_6ELb0ES3_mN6thrust23THRUST_200600_302600_NS6detail15normal_iteratorINSA_10device_ptrIyEEEEPS6_SG_NS0_5tupleIJSF_S6_EEENSH_IJSG_SG_EEES6_PlJNSB_9not_fun_tI7is_evenIyEEEEEE10hipError_tPvRmT3_T4_T5_T6_T7_T9_mT8_P12ihipStream_tbDpT10_ENKUlT_T0_E_clISt17integral_constantIbLb0EES17_IbLb1EEEEDaS13_S14_EUlS13_E_NS1_11comp_targetILNS1_3genE0ELNS1_11target_archE4294967295ELNS1_3gpuE0ELNS1_3repE0EEENS1_30default_config_static_selectorELNS0_4arch9wavefront6targetE0EEEvT1_,"axG",@progbits,_ZN7rocprim17ROCPRIM_400000_NS6detail17trampoline_kernelINS0_14default_configENS1_25partition_config_selectorILNS1_17partition_subalgoE6EyNS0_10empty_typeEbEEZZNS1_14partition_implILS5_6ELb0ES3_mN6thrust23THRUST_200600_302600_NS6detail15normal_iteratorINSA_10device_ptrIyEEEEPS6_SG_NS0_5tupleIJSF_S6_EEENSH_IJSG_SG_EEES6_PlJNSB_9not_fun_tI7is_evenIyEEEEEE10hipError_tPvRmT3_T4_T5_T6_T7_T9_mT8_P12ihipStream_tbDpT10_ENKUlT_T0_E_clISt17integral_constantIbLb0EES17_IbLb1EEEEDaS13_S14_EUlS13_E_NS1_11comp_targetILNS1_3genE0ELNS1_11target_archE4294967295ELNS1_3gpuE0ELNS1_3repE0EEENS1_30default_config_static_selectorELNS0_4arch9wavefront6targetE0EEEvT1_,comdat
.Lfunc_end621:
	.size	_ZN7rocprim17ROCPRIM_400000_NS6detail17trampoline_kernelINS0_14default_configENS1_25partition_config_selectorILNS1_17partition_subalgoE6EyNS0_10empty_typeEbEEZZNS1_14partition_implILS5_6ELb0ES3_mN6thrust23THRUST_200600_302600_NS6detail15normal_iteratorINSA_10device_ptrIyEEEEPS6_SG_NS0_5tupleIJSF_S6_EEENSH_IJSG_SG_EEES6_PlJNSB_9not_fun_tI7is_evenIyEEEEEE10hipError_tPvRmT3_T4_T5_T6_T7_T9_mT8_P12ihipStream_tbDpT10_ENKUlT_T0_E_clISt17integral_constantIbLb0EES17_IbLb1EEEEDaS13_S14_EUlS13_E_NS1_11comp_targetILNS1_3genE0ELNS1_11target_archE4294967295ELNS1_3gpuE0ELNS1_3repE0EEENS1_30default_config_static_selectorELNS0_4arch9wavefront6targetE0EEEvT1_, .Lfunc_end621-_ZN7rocprim17ROCPRIM_400000_NS6detail17trampoline_kernelINS0_14default_configENS1_25partition_config_selectorILNS1_17partition_subalgoE6EyNS0_10empty_typeEbEEZZNS1_14partition_implILS5_6ELb0ES3_mN6thrust23THRUST_200600_302600_NS6detail15normal_iteratorINSA_10device_ptrIyEEEEPS6_SG_NS0_5tupleIJSF_S6_EEENSH_IJSG_SG_EEES6_PlJNSB_9not_fun_tI7is_evenIyEEEEEE10hipError_tPvRmT3_T4_T5_T6_T7_T9_mT8_P12ihipStream_tbDpT10_ENKUlT_T0_E_clISt17integral_constantIbLb0EES17_IbLb1EEEEDaS13_S14_EUlS13_E_NS1_11comp_targetILNS1_3genE0ELNS1_11target_archE4294967295ELNS1_3gpuE0ELNS1_3repE0EEENS1_30default_config_static_selectorELNS0_4arch9wavefront6targetE0EEEvT1_
                                        ; -- End function
	.set _ZN7rocprim17ROCPRIM_400000_NS6detail17trampoline_kernelINS0_14default_configENS1_25partition_config_selectorILNS1_17partition_subalgoE6EyNS0_10empty_typeEbEEZZNS1_14partition_implILS5_6ELb0ES3_mN6thrust23THRUST_200600_302600_NS6detail15normal_iteratorINSA_10device_ptrIyEEEEPS6_SG_NS0_5tupleIJSF_S6_EEENSH_IJSG_SG_EEES6_PlJNSB_9not_fun_tI7is_evenIyEEEEEE10hipError_tPvRmT3_T4_T5_T6_T7_T9_mT8_P12ihipStream_tbDpT10_ENKUlT_T0_E_clISt17integral_constantIbLb0EES17_IbLb1EEEEDaS13_S14_EUlS13_E_NS1_11comp_targetILNS1_3genE0ELNS1_11target_archE4294967295ELNS1_3gpuE0ELNS1_3repE0EEENS1_30default_config_static_selectorELNS0_4arch9wavefront6targetE0EEEvT1_.num_vgpr, 0
	.set _ZN7rocprim17ROCPRIM_400000_NS6detail17trampoline_kernelINS0_14default_configENS1_25partition_config_selectorILNS1_17partition_subalgoE6EyNS0_10empty_typeEbEEZZNS1_14partition_implILS5_6ELb0ES3_mN6thrust23THRUST_200600_302600_NS6detail15normal_iteratorINSA_10device_ptrIyEEEEPS6_SG_NS0_5tupleIJSF_S6_EEENSH_IJSG_SG_EEES6_PlJNSB_9not_fun_tI7is_evenIyEEEEEE10hipError_tPvRmT3_T4_T5_T6_T7_T9_mT8_P12ihipStream_tbDpT10_ENKUlT_T0_E_clISt17integral_constantIbLb0EES17_IbLb1EEEEDaS13_S14_EUlS13_E_NS1_11comp_targetILNS1_3genE0ELNS1_11target_archE4294967295ELNS1_3gpuE0ELNS1_3repE0EEENS1_30default_config_static_selectorELNS0_4arch9wavefront6targetE0EEEvT1_.num_agpr, 0
	.set _ZN7rocprim17ROCPRIM_400000_NS6detail17trampoline_kernelINS0_14default_configENS1_25partition_config_selectorILNS1_17partition_subalgoE6EyNS0_10empty_typeEbEEZZNS1_14partition_implILS5_6ELb0ES3_mN6thrust23THRUST_200600_302600_NS6detail15normal_iteratorINSA_10device_ptrIyEEEEPS6_SG_NS0_5tupleIJSF_S6_EEENSH_IJSG_SG_EEES6_PlJNSB_9not_fun_tI7is_evenIyEEEEEE10hipError_tPvRmT3_T4_T5_T6_T7_T9_mT8_P12ihipStream_tbDpT10_ENKUlT_T0_E_clISt17integral_constantIbLb0EES17_IbLb1EEEEDaS13_S14_EUlS13_E_NS1_11comp_targetILNS1_3genE0ELNS1_11target_archE4294967295ELNS1_3gpuE0ELNS1_3repE0EEENS1_30default_config_static_selectorELNS0_4arch9wavefront6targetE0EEEvT1_.numbered_sgpr, 0
	.set _ZN7rocprim17ROCPRIM_400000_NS6detail17trampoline_kernelINS0_14default_configENS1_25partition_config_selectorILNS1_17partition_subalgoE6EyNS0_10empty_typeEbEEZZNS1_14partition_implILS5_6ELb0ES3_mN6thrust23THRUST_200600_302600_NS6detail15normal_iteratorINSA_10device_ptrIyEEEEPS6_SG_NS0_5tupleIJSF_S6_EEENSH_IJSG_SG_EEES6_PlJNSB_9not_fun_tI7is_evenIyEEEEEE10hipError_tPvRmT3_T4_T5_T6_T7_T9_mT8_P12ihipStream_tbDpT10_ENKUlT_T0_E_clISt17integral_constantIbLb0EES17_IbLb1EEEEDaS13_S14_EUlS13_E_NS1_11comp_targetILNS1_3genE0ELNS1_11target_archE4294967295ELNS1_3gpuE0ELNS1_3repE0EEENS1_30default_config_static_selectorELNS0_4arch9wavefront6targetE0EEEvT1_.num_named_barrier, 0
	.set _ZN7rocprim17ROCPRIM_400000_NS6detail17trampoline_kernelINS0_14default_configENS1_25partition_config_selectorILNS1_17partition_subalgoE6EyNS0_10empty_typeEbEEZZNS1_14partition_implILS5_6ELb0ES3_mN6thrust23THRUST_200600_302600_NS6detail15normal_iteratorINSA_10device_ptrIyEEEEPS6_SG_NS0_5tupleIJSF_S6_EEENSH_IJSG_SG_EEES6_PlJNSB_9not_fun_tI7is_evenIyEEEEEE10hipError_tPvRmT3_T4_T5_T6_T7_T9_mT8_P12ihipStream_tbDpT10_ENKUlT_T0_E_clISt17integral_constantIbLb0EES17_IbLb1EEEEDaS13_S14_EUlS13_E_NS1_11comp_targetILNS1_3genE0ELNS1_11target_archE4294967295ELNS1_3gpuE0ELNS1_3repE0EEENS1_30default_config_static_selectorELNS0_4arch9wavefront6targetE0EEEvT1_.private_seg_size, 0
	.set _ZN7rocprim17ROCPRIM_400000_NS6detail17trampoline_kernelINS0_14default_configENS1_25partition_config_selectorILNS1_17partition_subalgoE6EyNS0_10empty_typeEbEEZZNS1_14partition_implILS5_6ELb0ES3_mN6thrust23THRUST_200600_302600_NS6detail15normal_iteratorINSA_10device_ptrIyEEEEPS6_SG_NS0_5tupleIJSF_S6_EEENSH_IJSG_SG_EEES6_PlJNSB_9not_fun_tI7is_evenIyEEEEEE10hipError_tPvRmT3_T4_T5_T6_T7_T9_mT8_P12ihipStream_tbDpT10_ENKUlT_T0_E_clISt17integral_constantIbLb0EES17_IbLb1EEEEDaS13_S14_EUlS13_E_NS1_11comp_targetILNS1_3genE0ELNS1_11target_archE4294967295ELNS1_3gpuE0ELNS1_3repE0EEENS1_30default_config_static_selectorELNS0_4arch9wavefront6targetE0EEEvT1_.uses_vcc, 0
	.set _ZN7rocprim17ROCPRIM_400000_NS6detail17trampoline_kernelINS0_14default_configENS1_25partition_config_selectorILNS1_17partition_subalgoE6EyNS0_10empty_typeEbEEZZNS1_14partition_implILS5_6ELb0ES3_mN6thrust23THRUST_200600_302600_NS6detail15normal_iteratorINSA_10device_ptrIyEEEEPS6_SG_NS0_5tupleIJSF_S6_EEENSH_IJSG_SG_EEES6_PlJNSB_9not_fun_tI7is_evenIyEEEEEE10hipError_tPvRmT3_T4_T5_T6_T7_T9_mT8_P12ihipStream_tbDpT10_ENKUlT_T0_E_clISt17integral_constantIbLb0EES17_IbLb1EEEEDaS13_S14_EUlS13_E_NS1_11comp_targetILNS1_3genE0ELNS1_11target_archE4294967295ELNS1_3gpuE0ELNS1_3repE0EEENS1_30default_config_static_selectorELNS0_4arch9wavefront6targetE0EEEvT1_.uses_flat_scratch, 0
	.set _ZN7rocprim17ROCPRIM_400000_NS6detail17trampoline_kernelINS0_14default_configENS1_25partition_config_selectorILNS1_17partition_subalgoE6EyNS0_10empty_typeEbEEZZNS1_14partition_implILS5_6ELb0ES3_mN6thrust23THRUST_200600_302600_NS6detail15normal_iteratorINSA_10device_ptrIyEEEEPS6_SG_NS0_5tupleIJSF_S6_EEENSH_IJSG_SG_EEES6_PlJNSB_9not_fun_tI7is_evenIyEEEEEE10hipError_tPvRmT3_T4_T5_T6_T7_T9_mT8_P12ihipStream_tbDpT10_ENKUlT_T0_E_clISt17integral_constantIbLb0EES17_IbLb1EEEEDaS13_S14_EUlS13_E_NS1_11comp_targetILNS1_3genE0ELNS1_11target_archE4294967295ELNS1_3gpuE0ELNS1_3repE0EEENS1_30default_config_static_selectorELNS0_4arch9wavefront6targetE0EEEvT1_.has_dyn_sized_stack, 0
	.set _ZN7rocprim17ROCPRIM_400000_NS6detail17trampoline_kernelINS0_14default_configENS1_25partition_config_selectorILNS1_17partition_subalgoE6EyNS0_10empty_typeEbEEZZNS1_14partition_implILS5_6ELb0ES3_mN6thrust23THRUST_200600_302600_NS6detail15normal_iteratorINSA_10device_ptrIyEEEEPS6_SG_NS0_5tupleIJSF_S6_EEENSH_IJSG_SG_EEES6_PlJNSB_9not_fun_tI7is_evenIyEEEEEE10hipError_tPvRmT3_T4_T5_T6_T7_T9_mT8_P12ihipStream_tbDpT10_ENKUlT_T0_E_clISt17integral_constantIbLb0EES17_IbLb1EEEEDaS13_S14_EUlS13_E_NS1_11comp_targetILNS1_3genE0ELNS1_11target_archE4294967295ELNS1_3gpuE0ELNS1_3repE0EEENS1_30default_config_static_selectorELNS0_4arch9wavefront6targetE0EEEvT1_.has_recursion, 0
	.set _ZN7rocprim17ROCPRIM_400000_NS6detail17trampoline_kernelINS0_14default_configENS1_25partition_config_selectorILNS1_17partition_subalgoE6EyNS0_10empty_typeEbEEZZNS1_14partition_implILS5_6ELb0ES3_mN6thrust23THRUST_200600_302600_NS6detail15normal_iteratorINSA_10device_ptrIyEEEEPS6_SG_NS0_5tupleIJSF_S6_EEENSH_IJSG_SG_EEES6_PlJNSB_9not_fun_tI7is_evenIyEEEEEE10hipError_tPvRmT3_T4_T5_T6_T7_T9_mT8_P12ihipStream_tbDpT10_ENKUlT_T0_E_clISt17integral_constantIbLb0EES17_IbLb1EEEEDaS13_S14_EUlS13_E_NS1_11comp_targetILNS1_3genE0ELNS1_11target_archE4294967295ELNS1_3gpuE0ELNS1_3repE0EEENS1_30default_config_static_selectorELNS0_4arch9wavefront6targetE0EEEvT1_.has_indirect_call, 0
	.section	.AMDGPU.csdata,"",@progbits
; Kernel info:
; codeLenInByte = 0
; TotalNumSgprs: 0
; NumVgprs: 0
; ScratchSize: 0
; MemoryBound: 0
; FloatMode: 240
; IeeeMode: 1
; LDSByteSize: 0 bytes/workgroup (compile time only)
; SGPRBlocks: 0
; VGPRBlocks: 0
; NumSGPRsForWavesPerEU: 1
; NumVGPRsForWavesPerEU: 1
; Occupancy: 16
; WaveLimiterHint : 0
; COMPUTE_PGM_RSRC2:SCRATCH_EN: 0
; COMPUTE_PGM_RSRC2:USER_SGPR: 2
; COMPUTE_PGM_RSRC2:TRAP_HANDLER: 0
; COMPUTE_PGM_RSRC2:TGID_X_EN: 1
; COMPUTE_PGM_RSRC2:TGID_Y_EN: 0
; COMPUTE_PGM_RSRC2:TGID_Z_EN: 0
; COMPUTE_PGM_RSRC2:TIDIG_COMP_CNT: 0
	.section	.text._ZN7rocprim17ROCPRIM_400000_NS6detail17trampoline_kernelINS0_14default_configENS1_25partition_config_selectorILNS1_17partition_subalgoE6EyNS0_10empty_typeEbEEZZNS1_14partition_implILS5_6ELb0ES3_mN6thrust23THRUST_200600_302600_NS6detail15normal_iteratorINSA_10device_ptrIyEEEEPS6_SG_NS0_5tupleIJSF_S6_EEENSH_IJSG_SG_EEES6_PlJNSB_9not_fun_tI7is_evenIyEEEEEE10hipError_tPvRmT3_T4_T5_T6_T7_T9_mT8_P12ihipStream_tbDpT10_ENKUlT_T0_E_clISt17integral_constantIbLb0EES17_IbLb1EEEEDaS13_S14_EUlS13_E_NS1_11comp_targetILNS1_3genE5ELNS1_11target_archE942ELNS1_3gpuE9ELNS1_3repE0EEENS1_30default_config_static_selectorELNS0_4arch9wavefront6targetE0EEEvT1_,"axG",@progbits,_ZN7rocprim17ROCPRIM_400000_NS6detail17trampoline_kernelINS0_14default_configENS1_25partition_config_selectorILNS1_17partition_subalgoE6EyNS0_10empty_typeEbEEZZNS1_14partition_implILS5_6ELb0ES3_mN6thrust23THRUST_200600_302600_NS6detail15normal_iteratorINSA_10device_ptrIyEEEEPS6_SG_NS0_5tupleIJSF_S6_EEENSH_IJSG_SG_EEES6_PlJNSB_9not_fun_tI7is_evenIyEEEEEE10hipError_tPvRmT3_T4_T5_T6_T7_T9_mT8_P12ihipStream_tbDpT10_ENKUlT_T0_E_clISt17integral_constantIbLb0EES17_IbLb1EEEEDaS13_S14_EUlS13_E_NS1_11comp_targetILNS1_3genE5ELNS1_11target_archE942ELNS1_3gpuE9ELNS1_3repE0EEENS1_30default_config_static_selectorELNS0_4arch9wavefront6targetE0EEEvT1_,comdat
	.protected	_ZN7rocprim17ROCPRIM_400000_NS6detail17trampoline_kernelINS0_14default_configENS1_25partition_config_selectorILNS1_17partition_subalgoE6EyNS0_10empty_typeEbEEZZNS1_14partition_implILS5_6ELb0ES3_mN6thrust23THRUST_200600_302600_NS6detail15normal_iteratorINSA_10device_ptrIyEEEEPS6_SG_NS0_5tupleIJSF_S6_EEENSH_IJSG_SG_EEES6_PlJNSB_9not_fun_tI7is_evenIyEEEEEE10hipError_tPvRmT3_T4_T5_T6_T7_T9_mT8_P12ihipStream_tbDpT10_ENKUlT_T0_E_clISt17integral_constantIbLb0EES17_IbLb1EEEEDaS13_S14_EUlS13_E_NS1_11comp_targetILNS1_3genE5ELNS1_11target_archE942ELNS1_3gpuE9ELNS1_3repE0EEENS1_30default_config_static_selectorELNS0_4arch9wavefront6targetE0EEEvT1_ ; -- Begin function _ZN7rocprim17ROCPRIM_400000_NS6detail17trampoline_kernelINS0_14default_configENS1_25partition_config_selectorILNS1_17partition_subalgoE6EyNS0_10empty_typeEbEEZZNS1_14partition_implILS5_6ELb0ES3_mN6thrust23THRUST_200600_302600_NS6detail15normal_iteratorINSA_10device_ptrIyEEEEPS6_SG_NS0_5tupleIJSF_S6_EEENSH_IJSG_SG_EEES6_PlJNSB_9not_fun_tI7is_evenIyEEEEEE10hipError_tPvRmT3_T4_T5_T6_T7_T9_mT8_P12ihipStream_tbDpT10_ENKUlT_T0_E_clISt17integral_constantIbLb0EES17_IbLb1EEEEDaS13_S14_EUlS13_E_NS1_11comp_targetILNS1_3genE5ELNS1_11target_archE942ELNS1_3gpuE9ELNS1_3repE0EEENS1_30default_config_static_selectorELNS0_4arch9wavefront6targetE0EEEvT1_
	.globl	_ZN7rocprim17ROCPRIM_400000_NS6detail17trampoline_kernelINS0_14default_configENS1_25partition_config_selectorILNS1_17partition_subalgoE6EyNS0_10empty_typeEbEEZZNS1_14partition_implILS5_6ELb0ES3_mN6thrust23THRUST_200600_302600_NS6detail15normal_iteratorINSA_10device_ptrIyEEEEPS6_SG_NS0_5tupleIJSF_S6_EEENSH_IJSG_SG_EEES6_PlJNSB_9not_fun_tI7is_evenIyEEEEEE10hipError_tPvRmT3_T4_T5_T6_T7_T9_mT8_P12ihipStream_tbDpT10_ENKUlT_T0_E_clISt17integral_constantIbLb0EES17_IbLb1EEEEDaS13_S14_EUlS13_E_NS1_11comp_targetILNS1_3genE5ELNS1_11target_archE942ELNS1_3gpuE9ELNS1_3repE0EEENS1_30default_config_static_selectorELNS0_4arch9wavefront6targetE0EEEvT1_
	.p2align	8
	.type	_ZN7rocprim17ROCPRIM_400000_NS6detail17trampoline_kernelINS0_14default_configENS1_25partition_config_selectorILNS1_17partition_subalgoE6EyNS0_10empty_typeEbEEZZNS1_14partition_implILS5_6ELb0ES3_mN6thrust23THRUST_200600_302600_NS6detail15normal_iteratorINSA_10device_ptrIyEEEEPS6_SG_NS0_5tupleIJSF_S6_EEENSH_IJSG_SG_EEES6_PlJNSB_9not_fun_tI7is_evenIyEEEEEE10hipError_tPvRmT3_T4_T5_T6_T7_T9_mT8_P12ihipStream_tbDpT10_ENKUlT_T0_E_clISt17integral_constantIbLb0EES17_IbLb1EEEEDaS13_S14_EUlS13_E_NS1_11comp_targetILNS1_3genE5ELNS1_11target_archE942ELNS1_3gpuE9ELNS1_3repE0EEENS1_30default_config_static_selectorELNS0_4arch9wavefront6targetE0EEEvT1_,@function
_ZN7rocprim17ROCPRIM_400000_NS6detail17trampoline_kernelINS0_14default_configENS1_25partition_config_selectorILNS1_17partition_subalgoE6EyNS0_10empty_typeEbEEZZNS1_14partition_implILS5_6ELb0ES3_mN6thrust23THRUST_200600_302600_NS6detail15normal_iteratorINSA_10device_ptrIyEEEEPS6_SG_NS0_5tupleIJSF_S6_EEENSH_IJSG_SG_EEES6_PlJNSB_9not_fun_tI7is_evenIyEEEEEE10hipError_tPvRmT3_T4_T5_T6_T7_T9_mT8_P12ihipStream_tbDpT10_ENKUlT_T0_E_clISt17integral_constantIbLb0EES17_IbLb1EEEEDaS13_S14_EUlS13_E_NS1_11comp_targetILNS1_3genE5ELNS1_11target_archE942ELNS1_3gpuE9ELNS1_3repE0EEENS1_30default_config_static_selectorELNS0_4arch9wavefront6targetE0EEEvT1_: ; @_ZN7rocprim17ROCPRIM_400000_NS6detail17trampoline_kernelINS0_14default_configENS1_25partition_config_selectorILNS1_17partition_subalgoE6EyNS0_10empty_typeEbEEZZNS1_14partition_implILS5_6ELb0ES3_mN6thrust23THRUST_200600_302600_NS6detail15normal_iteratorINSA_10device_ptrIyEEEEPS6_SG_NS0_5tupleIJSF_S6_EEENSH_IJSG_SG_EEES6_PlJNSB_9not_fun_tI7is_evenIyEEEEEE10hipError_tPvRmT3_T4_T5_T6_T7_T9_mT8_P12ihipStream_tbDpT10_ENKUlT_T0_E_clISt17integral_constantIbLb0EES17_IbLb1EEEEDaS13_S14_EUlS13_E_NS1_11comp_targetILNS1_3genE5ELNS1_11target_archE942ELNS1_3gpuE9ELNS1_3repE0EEENS1_30default_config_static_selectorELNS0_4arch9wavefront6targetE0EEEvT1_
; %bb.0:
	.section	.rodata,"a",@progbits
	.p2align	6, 0x0
	.amdhsa_kernel _ZN7rocprim17ROCPRIM_400000_NS6detail17trampoline_kernelINS0_14default_configENS1_25partition_config_selectorILNS1_17partition_subalgoE6EyNS0_10empty_typeEbEEZZNS1_14partition_implILS5_6ELb0ES3_mN6thrust23THRUST_200600_302600_NS6detail15normal_iteratorINSA_10device_ptrIyEEEEPS6_SG_NS0_5tupleIJSF_S6_EEENSH_IJSG_SG_EEES6_PlJNSB_9not_fun_tI7is_evenIyEEEEEE10hipError_tPvRmT3_T4_T5_T6_T7_T9_mT8_P12ihipStream_tbDpT10_ENKUlT_T0_E_clISt17integral_constantIbLb0EES17_IbLb1EEEEDaS13_S14_EUlS13_E_NS1_11comp_targetILNS1_3genE5ELNS1_11target_archE942ELNS1_3gpuE9ELNS1_3repE0EEENS1_30default_config_static_selectorELNS0_4arch9wavefront6targetE0EEEvT1_
		.amdhsa_group_segment_fixed_size 0
		.amdhsa_private_segment_fixed_size 0
		.amdhsa_kernarg_size 128
		.amdhsa_user_sgpr_count 2
		.amdhsa_user_sgpr_dispatch_ptr 0
		.amdhsa_user_sgpr_queue_ptr 0
		.amdhsa_user_sgpr_kernarg_segment_ptr 1
		.amdhsa_user_sgpr_dispatch_id 0
		.amdhsa_user_sgpr_private_segment_size 0
		.amdhsa_wavefront_size32 1
		.amdhsa_uses_dynamic_stack 0
		.amdhsa_enable_private_segment 0
		.amdhsa_system_sgpr_workgroup_id_x 1
		.amdhsa_system_sgpr_workgroup_id_y 0
		.amdhsa_system_sgpr_workgroup_id_z 0
		.amdhsa_system_sgpr_workgroup_info 0
		.amdhsa_system_vgpr_workitem_id 0
		.amdhsa_next_free_vgpr 1
		.amdhsa_next_free_sgpr 1
		.amdhsa_reserve_vcc 0
		.amdhsa_float_round_mode_32 0
		.amdhsa_float_round_mode_16_64 0
		.amdhsa_float_denorm_mode_32 3
		.amdhsa_float_denorm_mode_16_64 3
		.amdhsa_fp16_overflow 0
		.amdhsa_workgroup_processor_mode 1
		.amdhsa_memory_ordered 1
		.amdhsa_forward_progress 1
		.amdhsa_inst_pref_size 0
		.amdhsa_round_robin_scheduling 0
		.amdhsa_exception_fp_ieee_invalid_op 0
		.amdhsa_exception_fp_denorm_src 0
		.amdhsa_exception_fp_ieee_div_zero 0
		.amdhsa_exception_fp_ieee_overflow 0
		.amdhsa_exception_fp_ieee_underflow 0
		.amdhsa_exception_fp_ieee_inexact 0
		.amdhsa_exception_int_div_zero 0
	.end_amdhsa_kernel
	.section	.text._ZN7rocprim17ROCPRIM_400000_NS6detail17trampoline_kernelINS0_14default_configENS1_25partition_config_selectorILNS1_17partition_subalgoE6EyNS0_10empty_typeEbEEZZNS1_14partition_implILS5_6ELb0ES3_mN6thrust23THRUST_200600_302600_NS6detail15normal_iteratorINSA_10device_ptrIyEEEEPS6_SG_NS0_5tupleIJSF_S6_EEENSH_IJSG_SG_EEES6_PlJNSB_9not_fun_tI7is_evenIyEEEEEE10hipError_tPvRmT3_T4_T5_T6_T7_T9_mT8_P12ihipStream_tbDpT10_ENKUlT_T0_E_clISt17integral_constantIbLb0EES17_IbLb1EEEEDaS13_S14_EUlS13_E_NS1_11comp_targetILNS1_3genE5ELNS1_11target_archE942ELNS1_3gpuE9ELNS1_3repE0EEENS1_30default_config_static_selectorELNS0_4arch9wavefront6targetE0EEEvT1_,"axG",@progbits,_ZN7rocprim17ROCPRIM_400000_NS6detail17trampoline_kernelINS0_14default_configENS1_25partition_config_selectorILNS1_17partition_subalgoE6EyNS0_10empty_typeEbEEZZNS1_14partition_implILS5_6ELb0ES3_mN6thrust23THRUST_200600_302600_NS6detail15normal_iteratorINSA_10device_ptrIyEEEEPS6_SG_NS0_5tupleIJSF_S6_EEENSH_IJSG_SG_EEES6_PlJNSB_9not_fun_tI7is_evenIyEEEEEE10hipError_tPvRmT3_T4_T5_T6_T7_T9_mT8_P12ihipStream_tbDpT10_ENKUlT_T0_E_clISt17integral_constantIbLb0EES17_IbLb1EEEEDaS13_S14_EUlS13_E_NS1_11comp_targetILNS1_3genE5ELNS1_11target_archE942ELNS1_3gpuE9ELNS1_3repE0EEENS1_30default_config_static_selectorELNS0_4arch9wavefront6targetE0EEEvT1_,comdat
.Lfunc_end622:
	.size	_ZN7rocprim17ROCPRIM_400000_NS6detail17trampoline_kernelINS0_14default_configENS1_25partition_config_selectorILNS1_17partition_subalgoE6EyNS0_10empty_typeEbEEZZNS1_14partition_implILS5_6ELb0ES3_mN6thrust23THRUST_200600_302600_NS6detail15normal_iteratorINSA_10device_ptrIyEEEEPS6_SG_NS0_5tupleIJSF_S6_EEENSH_IJSG_SG_EEES6_PlJNSB_9not_fun_tI7is_evenIyEEEEEE10hipError_tPvRmT3_T4_T5_T6_T7_T9_mT8_P12ihipStream_tbDpT10_ENKUlT_T0_E_clISt17integral_constantIbLb0EES17_IbLb1EEEEDaS13_S14_EUlS13_E_NS1_11comp_targetILNS1_3genE5ELNS1_11target_archE942ELNS1_3gpuE9ELNS1_3repE0EEENS1_30default_config_static_selectorELNS0_4arch9wavefront6targetE0EEEvT1_, .Lfunc_end622-_ZN7rocprim17ROCPRIM_400000_NS6detail17trampoline_kernelINS0_14default_configENS1_25partition_config_selectorILNS1_17partition_subalgoE6EyNS0_10empty_typeEbEEZZNS1_14partition_implILS5_6ELb0ES3_mN6thrust23THRUST_200600_302600_NS6detail15normal_iteratorINSA_10device_ptrIyEEEEPS6_SG_NS0_5tupleIJSF_S6_EEENSH_IJSG_SG_EEES6_PlJNSB_9not_fun_tI7is_evenIyEEEEEE10hipError_tPvRmT3_T4_T5_T6_T7_T9_mT8_P12ihipStream_tbDpT10_ENKUlT_T0_E_clISt17integral_constantIbLb0EES17_IbLb1EEEEDaS13_S14_EUlS13_E_NS1_11comp_targetILNS1_3genE5ELNS1_11target_archE942ELNS1_3gpuE9ELNS1_3repE0EEENS1_30default_config_static_selectorELNS0_4arch9wavefront6targetE0EEEvT1_
                                        ; -- End function
	.set _ZN7rocprim17ROCPRIM_400000_NS6detail17trampoline_kernelINS0_14default_configENS1_25partition_config_selectorILNS1_17partition_subalgoE6EyNS0_10empty_typeEbEEZZNS1_14partition_implILS5_6ELb0ES3_mN6thrust23THRUST_200600_302600_NS6detail15normal_iteratorINSA_10device_ptrIyEEEEPS6_SG_NS0_5tupleIJSF_S6_EEENSH_IJSG_SG_EEES6_PlJNSB_9not_fun_tI7is_evenIyEEEEEE10hipError_tPvRmT3_T4_T5_T6_T7_T9_mT8_P12ihipStream_tbDpT10_ENKUlT_T0_E_clISt17integral_constantIbLb0EES17_IbLb1EEEEDaS13_S14_EUlS13_E_NS1_11comp_targetILNS1_3genE5ELNS1_11target_archE942ELNS1_3gpuE9ELNS1_3repE0EEENS1_30default_config_static_selectorELNS0_4arch9wavefront6targetE0EEEvT1_.num_vgpr, 0
	.set _ZN7rocprim17ROCPRIM_400000_NS6detail17trampoline_kernelINS0_14default_configENS1_25partition_config_selectorILNS1_17partition_subalgoE6EyNS0_10empty_typeEbEEZZNS1_14partition_implILS5_6ELb0ES3_mN6thrust23THRUST_200600_302600_NS6detail15normal_iteratorINSA_10device_ptrIyEEEEPS6_SG_NS0_5tupleIJSF_S6_EEENSH_IJSG_SG_EEES6_PlJNSB_9not_fun_tI7is_evenIyEEEEEE10hipError_tPvRmT3_T4_T5_T6_T7_T9_mT8_P12ihipStream_tbDpT10_ENKUlT_T0_E_clISt17integral_constantIbLb0EES17_IbLb1EEEEDaS13_S14_EUlS13_E_NS1_11comp_targetILNS1_3genE5ELNS1_11target_archE942ELNS1_3gpuE9ELNS1_3repE0EEENS1_30default_config_static_selectorELNS0_4arch9wavefront6targetE0EEEvT1_.num_agpr, 0
	.set _ZN7rocprim17ROCPRIM_400000_NS6detail17trampoline_kernelINS0_14default_configENS1_25partition_config_selectorILNS1_17partition_subalgoE6EyNS0_10empty_typeEbEEZZNS1_14partition_implILS5_6ELb0ES3_mN6thrust23THRUST_200600_302600_NS6detail15normal_iteratorINSA_10device_ptrIyEEEEPS6_SG_NS0_5tupleIJSF_S6_EEENSH_IJSG_SG_EEES6_PlJNSB_9not_fun_tI7is_evenIyEEEEEE10hipError_tPvRmT3_T4_T5_T6_T7_T9_mT8_P12ihipStream_tbDpT10_ENKUlT_T0_E_clISt17integral_constantIbLb0EES17_IbLb1EEEEDaS13_S14_EUlS13_E_NS1_11comp_targetILNS1_3genE5ELNS1_11target_archE942ELNS1_3gpuE9ELNS1_3repE0EEENS1_30default_config_static_selectorELNS0_4arch9wavefront6targetE0EEEvT1_.numbered_sgpr, 0
	.set _ZN7rocprim17ROCPRIM_400000_NS6detail17trampoline_kernelINS0_14default_configENS1_25partition_config_selectorILNS1_17partition_subalgoE6EyNS0_10empty_typeEbEEZZNS1_14partition_implILS5_6ELb0ES3_mN6thrust23THRUST_200600_302600_NS6detail15normal_iteratorINSA_10device_ptrIyEEEEPS6_SG_NS0_5tupleIJSF_S6_EEENSH_IJSG_SG_EEES6_PlJNSB_9not_fun_tI7is_evenIyEEEEEE10hipError_tPvRmT3_T4_T5_T6_T7_T9_mT8_P12ihipStream_tbDpT10_ENKUlT_T0_E_clISt17integral_constantIbLb0EES17_IbLb1EEEEDaS13_S14_EUlS13_E_NS1_11comp_targetILNS1_3genE5ELNS1_11target_archE942ELNS1_3gpuE9ELNS1_3repE0EEENS1_30default_config_static_selectorELNS0_4arch9wavefront6targetE0EEEvT1_.num_named_barrier, 0
	.set _ZN7rocprim17ROCPRIM_400000_NS6detail17trampoline_kernelINS0_14default_configENS1_25partition_config_selectorILNS1_17partition_subalgoE6EyNS0_10empty_typeEbEEZZNS1_14partition_implILS5_6ELb0ES3_mN6thrust23THRUST_200600_302600_NS6detail15normal_iteratorINSA_10device_ptrIyEEEEPS6_SG_NS0_5tupleIJSF_S6_EEENSH_IJSG_SG_EEES6_PlJNSB_9not_fun_tI7is_evenIyEEEEEE10hipError_tPvRmT3_T4_T5_T6_T7_T9_mT8_P12ihipStream_tbDpT10_ENKUlT_T0_E_clISt17integral_constantIbLb0EES17_IbLb1EEEEDaS13_S14_EUlS13_E_NS1_11comp_targetILNS1_3genE5ELNS1_11target_archE942ELNS1_3gpuE9ELNS1_3repE0EEENS1_30default_config_static_selectorELNS0_4arch9wavefront6targetE0EEEvT1_.private_seg_size, 0
	.set _ZN7rocprim17ROCPRIM_400000_NS6detail17trampoline_kernelINS0_14default_configENS1_25partition_config_selectorILNS1_17partition_subalgoE6EyNS0_10empty_typeEbEEZZNS1_14partition_implILS5_6ELb0ES3_mN6thrust23THRUST_200600_302600_NS6detail15normal_iteratorINSA_10device_ptrIyEEEEPS6_SG_NS0_5tupleIJSF_S6_EEENSH_IJSG_SG_EEES6_PlJNSB_9not_fun_tI7is_evenIyEEEEEE10hipError_tPvRmT3_T4_T5_T6_T7_T9_mT8_P12ihipStream_tbDpT10_ENKUlT_T0_E_clISt17integral_constantIbLb0EES17_IbLb1EEEEDaS13_S14_EUlS13_E_NS1_11comp_targetILNS1_3genE5ELNS1_11target_archE942ELNS1_3gpuE9ELNS1_3repE0EEENS1_30default_config_static_selectorELNS0_4arch9wavefront6targetE0EEEvT1_.uses_vcc, 0
	.set _ZN7rocprim17ROCPRIM_400000_NS6detail17trampoline_kernelINS0_14default_configENS1_25partition_config_selectorILNS1_17partition_subalgoE6EyNS0_10empty_typeEbEEZZNS1_14partition_implILS5_6ELb0ES3_mN6thrust23THRUST_200600_302600_NS6detail15normal_iteratorINSA_10device_ptrIyEEEEPS6_SG_NS0_5tupleIJSF_S6_EEENSH_IJSG_SG_EEES6_PlJNSB_9not_fun_tI7is_evenIyEEEEEE10hipError_tPvRmT3_T4_T5_T6_T7_T9_mT8_P12ihipStream_tbDpT10_ENKUlT_T0_E_clISt17integral_constantIbLb0EES17_IbLb1EEEEDaS13_S14_EUlS13_E_NS1_11comp_targetILNS1_3genE5ELNS1_11target_archE942ELNS1_3gpuE9ELNS1_3repE0EEENS1_30default_config_static_selectorELNS0_4arch9wavefront6targetE0EEEvT1_.uses_flat_scratch, 0
	.set _ZN7rocprim17ROCPRIM_400000_NS6detail17trampoline_kernelINS0_14default_configENS1_25partition_config_selectorILNS1_17partition_subalgoE6EyNS0_10empty_typeEbEEZZNS1_14partition_implILS5_6ELb0ES3_mN6thrust23THRUST_200600_302600_NS6detail15normal_iteratorINSA_10device_ptrIyEEEEPS6_SG_NS0_5tupleIJSF_S6_EEENSH_IJSG_SG_EEES6_PlJNSB_9not_fun_tI7is_evenIyEEEEEE10hipError_tPvRmT3_T4_T5_T6_T7_T9_mT8_P12ihipStream_tbDpT10_ENKUlT_T0_E_clISt17integral_constantIbLb0EES17_IbLb1EEEEDaS13_S14_EUlS13_E_NS1_11comp_targetILNS1_3genE5ELNS1_11target_archE942ELNS1_3gpuE9ELNS1_3repE0EEENS1_30default_config_static_selectorELNS0_4arch9wavefront6targetE0EEEvT1_.has_dyn_sized_stack, 0
	.set _ZN7rocprim17ROCPRIM_400000_NS6detail17trampoline_kernelINS0_14default_configENS1_25partition_config_selectorILNS1_17partition_subalgoE6EyNS0_10empty_typeEbEEZZNS1_14partition_implILS5_6ELb0ES3_mN6thrust23THRUST_200600_302600_NS6detail15normal_iteratorINSA_10device_ptrIyEEEEPS6_SG_NS0_5tupleIJSF_S6_EEENSH_IJSG_SG_EEES6_PlJNSB_9not_fun_tI7is_evenIyEEEEEE10hipError_tPvRmT3_T4_T5_T6_T7_T9_mT8_P12ihipStream_tbDpT10_ENKUlT_T0_E_clISt17integral_constantIbLb0EES17_IbLb1EEEEDaS13_S14_EUlS13_E_NS1_11comp_targetILNS1_3genE5ELNS1_11target_archE942ELNS1_3gpuE9ELNS1_3repE0EEENS1_30default_config_static_selectorELNS0_4arch9wavefront6targetE0EEEvT1_.has_recursion, 0
	.set _ZN7rocprim17ROCPRIM_400000_NS6detail17trampoline_kernelINS0_14default_configENS1_25partition_config_selectorILNS1_17partition_subalgoE6EyNS0_10empty_typeEbEEZZNS1_14partition_implILS5_6ELb0ES3_mN6thrust23THRUST_200600_302600_NS6detail15normal_iteratorINSA_10device_ptrIyEEEEPS6_SG_NS0_5tupleIJSF_S6_EEENSH_IJSG_SG_EEES6_PlJNSB_9not_fun_tI7is_evenIyEEEEEE10hipError_tPvRmT3_T4_T5_T6_T7_T9_mT8_P12ihipStream_tbDpT10_ENKUlT_T0_E_clISt17integral_constantIbLb0EES17_IbLb1EEEEDaS13_S14_EUlS13_E_NS1_11comp_targetILNS1_3genE5ELNS1_11target_archE942ELNS1_3gpuE9ELNS1_3repE0EEENS1_30default_config_static_selectorELNS0_4arch9wavefront6targetE0EEEvT1_.has_indirect_call, 0
	.section	.AMDGPU.csdata,"",@progbits
; Kernel info:
; codeLenInByte = 0
; TotalNumSgprs: 0
; NumVgprs: 0
; ScratchSize: 0
; MemoryBound: 0
; FloatMode: 240
; IeeeMode: 1
; LDSByteSize: 0 bytes/workgroup (compile time only)
; SGPRBlocks: 0
; VGPRBlocks: 0
; NumSGPRsForWavesPerEU: 1
; NumVGPRsForWavesPerEU: 1
; Occupancy: 16
; WaveLimiterHint : 0
; COMPUTE_PGM_RSRC2:SCRATCH_EN: 0
; COMPUTE_PGM_RSRC2:USER_SGPR: 2
; COMPUTE_PGM_RSRC2:TRAP_HANDLER: 0
; COMPUTE_PGM_RSRC2:TGID_X_EN: 1
; COMPUTE_PGM_RSRC2:TGID_Y_EN: 0
; COMPUTE_PGM_RSRC2:TGID_Z_EN: 0
; COMPUTE_PGM_RSRC2:TIDIG_COMP_CNT: 0
	.section	.text._ZN7rocprim17ROCPRIM_400000_NS6detail17trampoline_kernelINS0_14default_configENS1_25partition_config_selectorILNS1_17partition_subalgoE6EyNS0_10empty_typeEbEEZZNS1_14partition_implILS5_6ELb0ES3_mN6thrust23THRUST_200600_302600_NS6detail15normal_iteratorINSA_10device_ptrIyEEEEPS6_SG_NS0_5tupleIJSF_S6_EEENSH_IJSG_SG_EEES6_PlJNSB_9not_fun_tI7is_evenIyEEEEEE10hipError_tPvRmT3_T4_T5_T6_T7_T9_mT8_P12ihipStream_tbDpT10_ENKUlT_T0_E_clISt17integral_constantIbLb0EES17_IbLb1EEEEDaS13_S14_EUlS13_E_NS1_11comp_targetILNS1_3genE4ELNS1_11target_archE910ELNS1_3gpuE8ELNS1_3repE0EEENS1_30default_config_static_selectorELNS0_4arch9wavefront6targetE0EEEvT1_,"axG",@progbits,_ZN7rocprim17ROCPRIM_400000_NS6detail17trampoline_kernelINS0_14default_configENS1_25partition_config_selectorILNS1_17partition_subalgoE6EyNS0_10empty_typeEbEEZZNS1_14partition_implILS5_6ELb0ES3_mN6thrust23THRUST_200600_302600_NS6detail15normal_iteratorINSA_10device_ptrIyEEEEPS6_SG_NS0_5tupleIJSF_S6_EEENSH_IJSG_SG_EEES6_PlJNSB_9not_fun_tI7is_evenIyEEEEEE10hipError_tPvRmT3_T4_T5_T6_T7_T9_mT8_P12ihipStream_tbDpT10_ENKUlT_T0_E_clISt17integral_constantIbLb0EES17_IbLb1EEEEDaS13_S14_EUlS13_E_NS1_11comp_targetILNS1_3genE4ELNS1_11target_archE910ELNS1_3gpuE8ELNS1_3repE0EEENS1_30default_config_static_selectorELNS0_4arch9wavefront6targetE0EEEvT1_,comdat
	.protected	_ZN7rocprim17ROCPRIM_400000_NS6detail17trampoline_kernelINS0_14default_configENS1_25partition_config_selectorILNS1_17partition_subalgoE6EyNS0_10empty_typeEbEEZZNS1_14partition_implILS5_6ELb0ES3_mN6thrust23THRUST_200600_302600_NS6detail15normal_iteratorINSA_10device_ptrIyEEEEPS6_SG_NS0_5tupleIJSF_S6_EEENSH_IJSG_SG_EEES6_PlJNSB_9not_fun_tI7is_evenIyEEEEEE10hipError_tPvRmT3_T4_T5_T6_T7_T9_mT8_P12ihipStream_tbDpT10_ENKUlT_T0_E_clISt17integral_constantIbLb0EES17_IbLb1EEEEDaS13_S14_EUlS13_E_NS1_11comp_targetILNS1_3genE4ELNS1_11target_archE910ELNS1_3gpuE8ELNS1_3repE0EEENS1_30default_config_static_selectorELNS0_4arch9wavefront6targetE0EEEvT1_ ; -- Begin function _ZN7rocprim17ROCPRIM_400000_NS6detail17trampoline_kernelINS0_14default_configENS1_25partition_config_selectorILNS1_17partition_subalgoE6EyNS0_10empty_typeEbEEZZNS1_14partition_implILS5_6ELb0ES3_mN6thrust23THRUST_200600_302600_NS6detail15normal_iteratorINSA_10device_ptrIyEEEEPS6_SG_NS0_5tupleIJSF_S6_EEENSH_IJSG_SG_EEES6_PlJNSB_9not_fun_tI7is_evenIyEEEEEE10hipError_tPvRmT3_T4_T5_T6_T7_T9_mT8_P12ihipStream_tbDpT10_ENKUlT_T0_E_clISt17integral_constantIbLb0EES17_IbLb1EEEEDaS13_S14_EUlS13_E_NS1_11comp_targetILNS1_3genE4ELNS1_11target_archE910ELNS1_3gpuE8ELNS1_3repE0EEENS1_30default_config_static_selectorELNS0_4arch9wavefront6targetE0EEEvT1_
	.globl	_ZN7rocprim17ROCPRIM_400000_NS6detail17trampoline_kernelINS0_14default_configENS1_25partition_config_selectorILNS1_17partition_subalgoE6EyNS0_10empty_typeEbEEZZNS1_14partition_implILS5_6ELb0ES3_mN6thrust23THRUST_200600_302600_NS6detail15normal_iteratorINSA_10device_ptrIyEEEEPS6_SG_NS0_5tupleIJSF_S6_EEENSH_IJSG_SG_EEES6_PlJNSB_9not_fun_tI7is_evenIyEEEEEE10hipError_tPvRmT3_T4_T5_T6_T7_T9_mT8_P12ihipStream_tbDpT10_ENKUlT_T0_E_clISt17integral_constantIbLb0EES17_IbLb1EEEEDaS13_S14_EUlS13_E_NS1_11comp_targetILNS1_3genE4ELNS1_11target_archE910ELNS1_3gpuE8ELNS1_3repE0EEENS1_30default_config_static_selectorELNS0_4arch9wavefront6targetE0EEEvT1_
	.p2align	8
	.type	_ZN7rocprim17ROCPRIM_400000_NS6detail17trampoline_kernelINS0_14default_configENS1_25partition_config_selectorILNS1_17partition_subalgoE6EyNS0_10empty_typeEbEEZZNS1_14partition_implILS5_6ELb0ES3_mN6thrust23THRUST_200600_302600_NS6detail15normal_iteratorINSA_10device_ptrIyEEEEPS6_SG_NS0_5tupleIJSF_S6_EEENSH_IJSG_SG_EEES6_PlJNSB_9not_fun_tI7is_evenIyEEEEEE10hipError_tPvRmT3_T4_T5_T6_T7_T9_mT8_P12ihipStream_tbDpT10_ENKUlT_T0_E_clISt17integral_constantIbLb0EES17_IbLb1EEEEDaS13_S14_EUlS13_E_NS1_11comp_targetILNS1_3genE4ELNS1_11target_archE910ELNS1_3gpuE8ELNS1_3repE0EEENS1_30default_config_static_selectorELNS0_4arch9wavefront6targetE0EEEvT1_,@function
_ZN7rocprim17ROCPRIM_400000_NS6detail17trampoline_kernelINS0_14default_configENS1_25partition_config_selectorILNS1_17partition_subalgoE6EyNS0_10empty_typeEbEEZZNS1_14partition_implILS5_6ELb0ES3_mN6thrust23THRUST_200600_302600_NS6detail15normal_iteratorINSA_10device_ptrIyEEEEPS6_SG_NS0_5tupleIJSF_S6_EEENSH_IJSG_SG_EEES6_PlJNSB_9not_fun_tI7is_evenIyEEEEEE10hipError_tPvRmT3_T4_T5_T6_T7_T9_mT8_P12ihipStream_tbDpT10_ENKUlT_T0_E_clISt17integral_constantIbLb0EES17_IbLb1EEEEDaS13_S14_EUlS13_E_NS1_11comp_targetILNS1_3genE4ELNS1_11target_archE910ELNS1_3gpuE8ELNS1_3repE0EEENS1_30default_config_static_selectorELNS0_4arch9wavefront6targetE0EEEvT1_: ; @_ZN7rocprim17ROCPRIM_400000_NS6detail17trampoline_kernelINS0_14default_configENS1_25partition_config_selectorILNS1_17partition_subalgoE6EyNS0_10empty_typeEbEEZZNS1_14partition_implILS5_6ELb0ES3_mN6thrust23THRUST_200600_302600_NS6detail15normal_iteratorINSA_10device_ptrIyEEEEPS6_SG_NS0_5tupleIJSF_S6_EEENSH_IJSG_SG_EEES6_PlJNSB_9not_fun_tI7is_evenIyEEEEEE10hipError_tPvRmT3_T4_T5_T6_T7_T9_mT8_P12ihipStream_tbDpT10_ENKUlT_T0_E_clISt17integral_constantIbLb0EES17_IbLb1EEEEDaS13_S14_EUlS13_E_NS1_11comp_targetILNS1_3genE4ELNS1_11target_archE910ELNS1_3gpuE8ELNS1_3repE0EEENS1_30default_config_static_selectorELNS0_4arch9wavefront6targetE0EEEvT1_
; %bb.0:
	.section	.rodata,"a",@progbits
	.p2align	6, 0x0
	.amdhsa_kernel _ZN7rocprim17ROCPRIM_400000_NS6detail17trampoline_kernelINS0_14default_configENS1_25partition_config_selectorILNS1_17partition_subalgoE6EyNS0_10empty_typeEbEEZZNS1_14partition_implILS5_6ELb0ES3_mN6thrust23THRUST_200600_302600_NS6detail15normal_iteratorINSA_10device_ptrIyEEEEPS6_SG_NS0_5tupleIJSF_S6_EEENSH_IJSG_SG_EEES6_PlJNSB_9not_fun_tI7is_evenIyEEEEEE10hipError_tPvRmT3_T4_T5_T6_T7_T9_mT8_P12ihipStream_tbDpT10_ENKUlT_T0_E_clISt17integral_constantIbLb0EES17_IbLb1EEEEDaS13_S14_EUlS13_E_NS1_11comp_targetILNS1_3genE4ELNS1_11target_archE910ELNS1_3gpuE8ELNS1_3repE0EEENS1_30default_config_static_selectorELNS0_4arch9wavefront6targetE0EEEvT1_
		.amdhsa_group_segment_fixed_size 0
		.amdhsa_private_segment_fixed_size 0
		.amdhsa_kernarg_size 128
		.amdhsa_user_sgpr_count 2
		.amdhsa_user_sgpr_dispatch_ptr 0
		.amdhsa_user_sgpr_queue_ptr 0
		.amdhsa_user_sgpr_kernarg_segment_ptr 1
		.amdhsa_user_sgpr_dispatch_id 0
		.amdhsa_user_sgpr_private_segment_size 0
		.amdhsa_wavefront_size32 1
		.amdhsa_uses_dynamic_stack 0
		.amdhsa_enable_private_segment 0
		.amdhsa_system_sgpr_workgroup_id_x 1
		.amdhsa_system_sgpr_workgroup_id_y 0
		.amdhsa_system_sgpr_workgroup_id_z 0
		.amdhsa_system_sgpr_workgroup_info 0
		.amdhsa_system_vgpr_workitem_id 0
		.amdhsa_next_free_vgpr 1
		.amdhsa_next_free_sgpr 1
		.amdhsa_reserve_vcc 0
		.amdhsa_float_round_mode_32 0
		.amdhsa_float_round_mode_16_64 0
		.amdhsa_float_denorm_mode_32 3
		.amdhsa_float_denorm_mode_16_64 3
		.amdhsa_fp16_overflow 0
		.amdhsa_workgroup_processor_mode 1
		.amdhsa_memory_ordered 1
		.amdhsa_forward_progress 1
		.amdhsa_inst_pref_size 0
		.amdhsa_round_robin_scheduling 0
		.amdhsa_exception_fp_ieee_invalid_op 0
		.amdhsa_exception_fp_denorm_src 0
		.amdhsa_exception_fp_ieee_div_zero 0
		.amdhsa_exception_fp_ieee_overflow 0
		.amdhsa_exception_fp_ieee_underflow 0
		.amdhsa_exception_fp_ieee_inexact 0
		.amdhsa_exception_int_div_zero 0
	.end_amdhsa_kernel
	.section	.text._ZN7rocprim17ROCPRIM_400000_NS6detail17trampoline_kernelINS0_14default_configENS1_25partition_config_selectorILNS1_17partition_subalgoE6EyNS0_10empty_typeEbEEZZNS1_14partition_implILS5_6ELb0ES3_mN6thrust23THRUST_200600_302600_NS6detail15normal_iteratorINSA_10device_ptrIyEEEEPS6_SG_NS0_5tupleIJSF_S6_EEENSH_IJSG_SG_EEES6_PlJNSB_9not_fun_tI7is_evenIyEEEEEE10hipError_tPvRmT3_T4_T5_T6_T7_T9_mT8_P12ihipStream_tbDpT10_ENKUlT_T0_E_clISt17integral_constantIbLb0EES17_IbLb1EEEEDaS13_S14_EUlS13_E_NS1_11comp_targetILNS1_3genE4ELNS1_11target_archE910ELNS1_3gpuE8ELNS1_3repE0EEENS1_30default_config_static_selectorELNS0_4arch9wavefront6targetE0EEEvT1_,"axG",@progbits,_ZN7rocprim17ROCPRIM_400000_NS6detail17trampoline_kernelINS0_14default_configENS1_25partition_config_selectorILNS1_17partition_subalgoE6EyNS0_10empty_typeEbEEZZNS1_14partition_implILS5_6ELb0ES3_mN6thrust23THRUST_200600_302600_NS6detail15normal_iteratorINSA_10device_ptrIyEEEEPS6_SG_NS0_5tupleIJSF_S6_EEENSH_IJSG_SG_EEES6_PlJNSB_9not_fun_tI7is_evenIyEEEEEE10hipError_tPvRmT3_T4_T5_T6_T7_T9_mT8_P12ihipStream_tbDpT10_ENKUlT_T0_E_clISt17integral_constantIbLb0EES17_IbLb1EEEEDaS13_S14_EUlS13_E_NS1_11comp_targetILNS1_3genE4ELNS1_11target_archE910ELNS1_3gpuE8ELNS1_3repE0EEENS1_30default_config_static_selectorELNS0_4arch9wavefront6targetE0EEEvT1_,comdat
.Lfunc_end623:
	.size	_ZN7rocprim17ROCPRIM_400000_NS6detail17trampoline_kernelINS0_14default_configENS1_25partition_config_selectorILNS1_17partition_subalgoE6EyNS0_10empty_typeEbEEZZNS1_14partition_implILS5_6ELb0ES3_mN6thrust23THRUST_200600_302600_NS6detail15normal_iteratorINSA_10device_ptrIyEEEEPS6_SG_NS0_5tupleIJSF_S6_EEENSH_IJSG_SG_EEES6_PlJNSB_9not_fun_tI7is_evenIyEEEEEE10hipError_tPvRmT3_T4_T5_T6_T7_T9_mT8_P12ihipStream_tbDpT10_ENKUlT_T0_E_clISt17integral_constantIbLb0EES17_IbLb1EEEEDaS13_S14_EUlS13_E_NS1_11comp_targetILNS1_3genE4ELNS1_11target_archE910ELNS1_3gpuE8ELNS1_3repE0EEENS1_30default_config_static_selectorELNS0_4arch9wavefront6targetE0EEEvT1_, .Lfunc_end623-_ZN7rocprim17ROCPRIM_400000_NS6detail17trampoline_kernelINS0_14default_configENS1_25partition_config_selectorILNS1_17partition_subalgoE6EyNS0_10empty_typeEbEEZZNS1_14partition_implILS5_6ELb0ES3_mN6thrust23THRUST_200600_302600_NS6detail15normal_iteratorINSA_10device_ptrIyEEEEPS6_SG_NS0_5tupleIJSF_S6_EEENSH_IJSG_SG_EEES6_PlJNSB_9not_fun_tI7is_evenIyEEEEEE10hipError_tPvRmT3_T4_T5_T6_T7_T9_mT8_P12ihipStream_tbDpT10_ENKUlT_T0_E_clISt17integral_constantIbLb0EES17_IbLb1EEEEDaS13_S14_EUlS13_E_NS1_11comp_targetILNS1_3genE4ELNS1_11target_archE910ELNS1_3gpuE8ELNS1_3repE0EEENS1_30default_config_static_selectorELNS0_4arch9wavefront6targetE0EEEvT1_
                                        ; -- End function
	.set _ZN7rocprim17ROCPRIM_400000_NS6detail17trampoline_kernelINS0_14default_configENS1_25partition_config_selectorILNS1_17partition_subalgoE6EyNS0_10empty_typeEbEEZZNS1_14partition_implILS5_6ELb0ES3_mN6thrust23THRUST_200600_302600_NS6detail15normal_iteratorINSA_10device_ptrIyEEEEPS6_SG_NS0_5tupleIJSF_S6_EEENSH_IJSG_SG_EEES6_PlJNSB_9not_fun_tI7is_evenIyEEEEEE10hipError_tPvRmT3_T4_T5_T6_T7_T9_mT8_P12ihipStream_tbDpT10_ENKUlT_T0_E_clISt17integral_constantIbLb0EES17_IbLb1EEEEDaS13_S14_EUlS13_E_NS1_11comp_targetILNS1_3genE4ELNS1_11target_archE910ELNS1_3gpuE8ELNS1_3repE0EEENS1_30default_config_static_selectorELNS0_4arch9wavefront6targetE0EEEvT1_.num_vgpr, 0
	.set _ZN7rocprim17ROCPRIM_400000_NS6detail17trampoline_kernelINS0_14default_configENS1_25partition_config_selectorILNS1_17partition_subalgoE6EyNS0_10empty_typeEbEEZZNS1_14partition_implILS5_6ELb0ES3_mN6thrust23THRUST_200600_302600_NS6detail15normal_iteratorINSA_10device_ptrIyEEEEPS6_SG_NS0_5tupleIJSF_S6_EEENSH_IJSG_SG_EEES6_PlJNSB_9not_fun_tI7is_evenIyEEEEEE10hipError_tPvRmT3_T4_T5_T6_T7_T9_mT8_P12ihipStream_tbDpT10_ENKUlT_T0_E_clISt17integral_constantIbLb0EES17_IbLb1EEEEDaS13_S14_EUlS13_E_NS1_11comp_targetILNS1_3genE4ELNS1_11target_archE910ELNS1_3gpuE8ELNS1_3repE0EEENS1_30default_config_static_selectorELNS0_4arch9wavefront6targetE0EEEvT1_.num_agpr, 0
	.set _ZN7rocprim17ROCPRIM_400000_NS6detail17trampoline_kernelINS0_14default_configENS1_25partition_config_selectorILNS1_17partition_subalgoE6EyNS0_10empty_typeEbEEZZNS1_14partition_implILS5_6ELb0ES3_mN6thrust23THRUST_200600_302600_NS6detail15normal_iteratorINSA_10device_ptrIyEEEEPS6_SG_NS0_5tupleIJSF_S6_EEENSH_IJSG_SG_EEES6_PlJNSB_9not_fun_tI7is_evenIyEEEEEE10hipError_tPvRmT3_T4_T5_T6_T7_T9_mT8_P12ihipStream_tbDpT10_ENKUlT_T0_E_clISt17integral_constantIbLb0EES17_IbLb1EEEEDaS13_S14_EUlS13_E_NS1_11comp_targetILNS1_3genE4ELNS1_11target_archE910ELNS1_3gpuE8ELNS1_3repE0EEENS1_30default_config_static_selectorELNS0_4arch9wavefront6targetE0EEEvT1_.numbered_sgpr, 0
	.set _ZN7rocprim17ROCPRIM_400000_NS6detail17trampoline_kernelINS0_14default_configENS1_25partition_config_selectorILNS1_17partition_subalgoE6EyNS0_10empty_typeEbEEZZNS1_14partition_implILS5_6ELb0ES3_mN6thrust23THRUST_200600_302600_NS6detail15normal_iteratorINSA_10device_ptrIyEEEEPS6_SG_NS0_5tupleIJSF_S6_EEENSH_IJSG_SG_EEES6_PlJNSB_9not_fun_tI7is_evenIyEEEEEE10hipError_tPvRmT3_T4_T5_T6_T7_T9_mT8_P12ihipStream_tbDpT10_ENKUlT_T0_E_clISt17integral_constantIbLb0EES17_IbLb1EEEEDaS13_S14_EUlS13_E_NS1_11comp_targetILNS1_3genE4ELNS1_11target_archE910ELNS1_3gpuE8ELNS1_3repE0EEENS1_30default_config_static_selectorELNS0_4arch9wavefront6targetE0EEEvT1_.num_named_barrier, 0
	.set _ZN7rocprim17ROCPRIM_400000_NS6detail17trampoline_kernelINS0_14default_configENS1_25partition_config_selectorILNS1_17partition_subalgoE6EyNS0_10empty_typeEbEEZZNS1_14partition_implILS5_6ELb0ES3_mN6thrust23THRUST_200600_302600_NS6detail15normal_iteratorINSA_10device_ptrIyEEEEPS6_SG_NS0_5tupleIJSF_S6_EEENSH_IJSG_SG_EEES6_PlJNSB_9not_fun_tI7is_evenIyEEEEEE10hipError_tPvRmT3_T4_T5_T6_T7_T9_mT8_P12ihipStream_tbDpT10_ENKUlT_T0_E_clISt17integral_constantIbLb0EES17_IbLb1EEEEDaS13_S14_EUlS13_E_NS1_11comp_targetILNS1_3genE4ELNS1_11target_archE910ELNS1_3gpuE8ELNS1_3repE0EEENS1_30default_config_static_selectorELNS0_4arch9wavefront6targetE0EEEvT1_.private_seg_size, 0
	.set _ZN7rocprim17ROCPRIM_400000_NS6detail17trampoline_kernelINS0_14default_configENS1_25partition_config_selectorILNS1_17partition_subalgoE6EyNS0_10empty_typeEbEEZZNS1_14partition_implILS5_6ELb0ES3_mN6thrust23THRUST_200600_302600_NS6detail15normal_iteratorINSA_10device_ptrIyEEEEPS6_SG_NS0_5tupleIJSF_S6_EEENSH_IJSG_SG_EEES6_PlJNSB_9not_fun_tI7is_evenIyEEEEEE10hipError_tPvRmT3_T4_T5_T6_T7_T9_mT8_P12ihipStream_tbDpT10_ENKUlT_T0_E_clISt17integral_constantIbLb0EES17_IbLb1EEEEDaS13_S14_EUlS13_E_NS1_11comp_targetILNS1_3genE4ELNS1_11target_archE910ELNS1_3gpuE8ELNS1_3repE0EEENS1_30default_config_static_selectorELNS0_4arch9wavefront6targetE0EEEvT1_.uses_vcc, 0
	.set _ZN7rocprim17ROCPRIM_400000_NS6detail17trampoline_kernelINS0_14default_configENS1_25partition_config_selectorILNS1_17partition_subalgoE6EyNS0_10empty_typeEbEEZZNS1_14partition_implILS5_6ELb0ES3_mN6thrust23THRUST_200600_302600_NS6detail15normal_iteratorINSA_10device_ptrIyEEEEPS6_SG_NS0_5tupleIJSF_S6_EEENSH_IJSG_SG_EEES6_PlJNSB_9not_fun_tI7is_evenIyEEEEEE10hipError_tPvRmT3_T4_T5_T6_T7_T9_mT8_P12ihipStream_tbDpT10_ENKUlT_T0_E_clISt17integral_constantIbLb0EES17_IbLb1EEEEDaS13_S14_EUlS13_E_NS1_11comp_targetILNS1_3genE4ELNS1_11target_archE910ELNS1_3gpuE8ELNS1_3repE0EEENS1_30default_config_static_selectorELNS0_4arch9wavefront6targetE0EEEvT1_.uses_flat_scratch, 0
	.set _ZN7rocprim17ROCPRIM_400000_NS6detail17trampoline_kernelINS0_14default_configENS1_25partition_config_selectorILNS1_17partition_subalgoE6EyNS0_10empty_typeEbEEZZNS1_14partition_implILS5_6ELb0ES3_mN6thrust23THRUST_200600_302600_NS6detail15normal_iteratorINSA_10device_ptrIyEEEEPS6_SG_NS0_5tupleIJSF_S6_EEENSH_IJSG_SG_EEES6_PlJNSB_9not_fun_tI7is_evenIyEEEEEE10hipError_tPvRmT3_T4_T5_T6_T7_T9_mT8_P12ihipStream_tbDpT10_ENKUlT_T0_E_clISt17integral_constantIbLb0EES17_IbLb1EEEEDaS13_S14_EUlS13_E_NS1_11comp_targetILNS1_3genE4ELNS1_11target_archE910ELNS1_3gpuE8ELNS1_3repE0EEENS1_30default_config_static_selectorELNS0_4arch9wavefront6targetE0EEEvT1_.has_dyn_sized_stack, 0
	.set _ZN7rocprim17ROCPRIM_400000_NS6detail17trampoline_kernelINS0_14default_configENS1_25partition_config_selectorILNS1_17partition_subalgoE6EyNS0_10empty_typeEbEEZZNS1_14partition_implILS5_6ELb0ES3_mN6thrust23THRUST_200600_302600_NS6detail15normal_iteratorINSA_10device_ptrIyEEEEPS6_SG_NS0_5tupleIJSF_S6_EEENSH_IJSG_SG_EEES6_PlJNSB_9not_fun_tI7is_evenIyEEEEEE10hipError_tPvRmT3_T4_T5_T6_T7_T9_mT8_P12ihipStream_tbDpT10_ENKUlT_T0_E_clISt17integral_constantIbLb0EES17_IbLb1EEEEDaS13_S14_EUlS13_E_NS1_11comp_targetILNS1_3genE4ELNS1_11target_archE910ELNS1_3gpuE8ELNS1_3repE0EEENS1_30default_config_static_selectorELNS0_4arch9wavefront6targetE0EEEvT1_.has_recursion, 0
	.set _ZN7rocprim17ROCPRIM_400000_NS6detail17trampoline_kernelINS0_14default_configENS1_25partition_config_selectorILNS1_17partition_subalgoE6EyNS0_10empty_typeEbEEZZNS1_14partition_implILS5_6ELb0ES3_mN6thrust23THRUST_200600_302600_NS6detail15normal_iteratorINSA_10device_ptrIyEEEEPS6_SG_NS0_5tupleIJSF_S6_EEENSH_IJSG_SG_EEES6_PlJNSB_9not_fun_tI7is_evenIyEEEEEE10hipError_tPvRmT3_T4_T5_T6_T7_T9_mT8_P12ihipStream_tbDpT10_ENKUlT_T0_E_clISt17integral_constantIbLb0EES17_IbLb1EEEEDaS13_S14_EUlS13_E_NS1_11comp_targetILNS1_3genE4ELNS1_11target_archE910ELNS1_3gpuE8ELNS1_3repE0EEENS1_30default_config_static_selectorELNS0_4arch9wavefront6targetE0EEEvT1_.has_indirect_call, 0
	.section	.AMDGPU.csdata,"",@progbits
; Kernel info:
; codeLenInByte = 0
; TotalNumSgprs: 0
; NumVgprs: 0
; ScratchSize: 0
; MemoryBound: 0
; FloatMode: 240
; IeeeMode: 1
; LDSByteSize: 0 bytes/workgroup (compile time only)
; SGPRBlocks: 0
; VGPRBlocks: 0
; NumSGPRsForWavesPerEU: 1
; NumVGPRsForWavesPerEU: 1
; Occupancy: 16
; WaveLimiterHint : 0
; COMPUTE_PGM_RSRC2:SCRATCH_EN: 0
; COMPUTE_PGM_RSRC2:USER_SGPR: 2
; COMPUTE_PGM_RSRC2:TRAP_HANDLER: 0
; COMPUTE_PGM_RSRC2:TGID_X_EN: 1
; COMPUTE_PGM_RSRC2:TGID_Y_EN: 0
; COMPUTE_PGM_RSRC2:TGID_Z_EN: 0
; COMPUTE_PGM_RSRC2:TIDIG_COMP_CNT: 0
	.section	.text._ZN7rocprim17ROCPRIM_400000_NS6detail17trampoline_kernelINS0_14default_configENS1_25partition_config_selectorILNS1_17partition_subalgoE6EyNS0_10empty_typeEbEEZZNS1_14partition_implILS5_6ELb0ES3_mN6thrust23THRUST_200600_302600_NS6detail15normal_iteratorINSA_10device_ptrIyEEEEPS6_SG_NS0_5tupleIJSF_S6_EEENSH_IJSG_SG_EEES6_PlJNSB_9not_fun_tI7is_evenIyEEEEEE10hipError_tPvRmT3_T4_T5_T6_T7_T9_mT8_P12ihipStream_tbDpT10_ENKUlT_T0_E_clISt17integral_constantIbLb0EES17_IbLb1EEEEDaS13_S14_EUlS13_E_NS1_11comp_targetILNS1_3genE3ELNS1_11target_archE908ELNS1_3gpuE7ELNS1_3repE0EEENS1_30default_config_static_selectorELNS0_4arch9wavefront6targetE0EEEvT1_,"axG",@progbits,_ZN7rocprim17ROCPRIM_400000_NS6detail17trampoline_kernelINS0_14default_configENS1_25partition_config_selectorILNS1_17partition_subalgoE6EyNS0_10empty_typeEbEEZZNS1_14partition_implILS5_6ELb0ES3_mN6thrust23THRUST_200600_302600_NS6detail15normal_iteratorINSA_10device_ptrIyEEEEPS6_SG_NS0_5tupleIJSF_S6_EEENSH_IJSG_SG_EEES6_PlJNSB_9not_fun_tI7is_evenIyEEEEEE10hipError_tPvRmT3_T4_T5_T6_T7_T9_mT8_P12ihipStream_tbDpT10_ENKUlT_T0_E_clISt17integral_constantIbLb0EES17_IbLb1EEEEDaS13_S14_EUlS13_E_NS1_11comp_targetILNS1_3genE3ELNS1_11target_archE908ELNS1_3gpuE7ELNS1_3repE0EEENS1_30default_config_static_selectorELNS0_4arch9wavefront6targetE0EEEvT1_,comdat
	.protected	_ZN7rocprim17ROCPRIM_400000_NS6detail17trampoline_kernelINS0_14default_configENS1_25partition_config_selectorILNS1_17partition_subalgoE6EyNS0_10empty_typeEbEEZZNS1_14partition_implILS5_6ELb0ES3_mN6thrust23THRUST_200600_302600_NS6detail15normal_iteratorINSA_10device_ptrIyEEEEPS6_SG_NS0_5tupleIJSF_S6_EEENSH_IJSG_SG_EEES6_PlJNSB_9not_fun_tI7is_evenIyEEEEEE10hipError_tPvRmT3_T4_T5_T6_T7_T9_mT8_P12ihipStream_tbDpT10_ENKUlT_T0_E_clISt17integral_constantIbLb0EES17_IbLb1EEEEDaS13_S14_EUlS13_E_NS1_11comp_targetILNS1_3genE3ELNS1_11target_archE908ELNS1_3gpuE7ELNS1_3repE0EEENS1_30default_config_static_selectorELNS0_4arch9wavefront6targetE0EEEvT1_ ; -- Begin function _ZN7rocprim17ROCPRIM_400000_NS6detail17trampoline_kernelINS0_14default_configENS1_25partition_config_selectorILNS1_17partition_subalgoE6EyNS0_10empty_typeEbEEZZNS1_14partition_implILS5_6ELb0ES3_mN6thrust23THRUST_200600_302600_NS6detail15normal_iteratorINSA_10device_ptrIyEEEEPS6_SG_NS0_5tupleIJSF_S6_EEENSH_IJSG_SG_EEES6_PlJNSB_9not_fun_tI7is_evenIyEEEEEE10hipError_tPvRmT3_T4_T5_T6_T7_T9_mT8_P12ihipStream_tbDpT10_ENKUlT_T0_E_clISt17integral_constantIbLb0EES17_IbLb1EEEEDaS13_S14_EUlS13_E_NS1_11comp_targetILNS1_3genE3ELNS1_11target_archE908ELNS1_3gpuE7ELNS1_3repE0EEENS1_30default_config_static_selectorELNS0_4arch9wavefront6targetE0EEEvT1_
	.globl	_ZN7rocprim17ROCPRIM_400000_NS6detail17trampoline_kernelINS0_14default_configENS1_25partition_config_selectorILNS1_17partition_subalgoE6EyNS0_10empty_typeEbEEZZNS1_14partition_implILS5_6ELb0ES3_mN6thrust23THRUST_200600_302600_NS6detail15normal_iteratorINSA_10device_ptrIyEEEEPS6_SG_NS0_5tupleIJSF_S6_EEENSH_IJSG_SG_EEES6_PlJNSB_9not_fun_tI7is_evenIyEEEEEE10hipError_tPvRmT3_T4_T5_T6_T7_T9_mT8_P12ihipStream_tbDpT10_ENKUlT_T0_E_clISt17integral_constantIbLb0EES17_IbLb1EEEEDaS13_S14_EUlS13_E_NS1_11comp_targetILNS1_3genE3ELNS1_11target_archE908ELNS1_3gpuE7ELNS1_3repE0EEENS1_30default_config_static_selectorELNS0_4arch9wavefront6targetE0EEEvT1_
	.p2align	8
	.type	_ZN7rocprim17ROCPRIM_400000_NS6detail17trampoline_kernelINS0_14default_configENS1_25partition_config_selectorILNS1_17partition_subalgoE6EyNS0_10empty_typeEbEEZZNS1_14partition_implILS5_6ELb0ES3_mN6thrust23THRUST_200600_302600_NS6detail15normal_iteratorINSA_10device_ptrIyEEEEPS6_SG_NS0_5tupleIJSF_S6_EEENSH_IJSG_SG_EEES6_PlJNSB_9not_fun_tI7is_evenIyEEEEEE10hipError_tPvRmT3_T4_T5_T6_T7_T9_mT8_P12ihipStream_tbDpT10_ENKUlT_T0_E_clISt17integral_constantIbLb0EES17_IbLb1EEEEDaS13_S14_EUlS13_E_NS1_11comp_targetILNS1_3genE3ELNS1_11target_archE908ELNS1_3gpuE7ELNS1_3repE0EEENS1_30default_config_static_selectorELNS0_4arch9wavefront6targetE0EEEvT1_,@function
_ZN7rocprim17ROCPRIM_400000_NS6detail17trampoline_kernelINS0_14default_configENS1_25partition_config_selectorILNS1_17partition_subalgoE6EyNS0_10empty_typeEbEEZZNS1_14partition_implILS5_6ELb0ES3_mN6thrust23THRUST_200600_302600_NS6detail15normal_iteratorINSA_10device_ptrIyEEEEPS6_SG_NS0_5tupleIJSF_S6_EEENSH_IJSG_SG_EEES6_PlJNSB_9not_fun_tI7is_evenIyEEEEEE10hipError_tPvRmT3_T4_T5_T6_T7_T9_mT8_P12ihipStream_tbDpT10_ENKUlT_T0_E_clISt17integral_constantIbLb0EES17_IbLb1EEEEDaS13_S14_EUlS13_E_NS1_11comp_targetILNS1_3genE3ELNS1_11target_archE908ELNS1_3gpuE7ELNS1_3repE0EEENS1_30default_config_static_selectorELNS0_4arch9wavefront6targetE0EEEvT1_: ; @_ZN7rocprim17ROCPRIM_400000_NS6detail17trampoline_kernelINS0_14default_configENS1_25partition_config_selectorILNS1_17partition_subalgoE6EyNS0_10empty_typeEbEEZZNS1_14partition_implILS5_6ELb0ES3_mN6thrust23THRUST_200600_302600_NS6detail15normal_iteratorINSA_10device_ptrIyEEEEPS6_SG_NS0_5tupleIJSF_S6_EEENSH_IJSG_SG_EEES6_PlJNSB_9not_fun_tI7is_evenIyEEEEEE10hipError_tPvRmT3_T4_T5_T6_T7_T9_mT8_P12ihipStream_tbDpT10_ENKUlT_T0_E_clISt17integral_constantIbLb0EES17_IbLb1EEEEDaS13_S14_EUlS13_E_NS1_11comp_targetILNS1_3genE3ELNS1_11target_archE908ELNS1_3gpuE7ELNS1_3repE0EEENS1_30default_config_static_selectorELNS0_4arch9wavefront6targetE0EEEvT1_
; %bb.0:
	.section	.rodata,"a",@progbits
	.p2align	6, 0x0
	.amdhsa_kernel _ZN7rocprim17ROCPRIM_400000_NS6detail17trampoline_kernelINS0_14default_configENS1_25partition_config_selectorILNS1_17partition_subalgoE6EyNS0_10empty_typeEbEEZZNS1_14partition_implILS5_6ELb0ES3_mN6thrust23THRUST_200600_302600_NS6detail15normal_iteratorINSA_10device_ptrIyEEEEPS6_SG_NS0_5tupleIJSF_S6_EEENSH_IJSG_SG_EEES6_PlJNSB_9not_fun_tI7is_evenIyEEEEEE10hipError_tPvRmT3_T4_T5_T6_T7_T9_mT8_P12ihipStream_tbDpT10_ENKUlT_T0_E_clISt17integral_constantIbLb0EES17_IbLb1EEEEDaS13_S14_EUlS13_E_NS1_11comp_targetILNS1_3genE3ELNS1_11target_archE908ELNS1_3gpuE7ELNS1_3repE0EEENS1_30default_config_static_selectorELNS0_4arch9wavefront6targetE0EEEvT1_
		.amdhsa_group_segment_fixed_size 0
		.amdhsa_private_segment_fixed_size 0
		.amdhsa_kernarg_size 128
		.amdhsa_user_sgpr_count 2
		.amdhsa_user_sgpr_dispatch_ptr 0
		.amdhsa_user_sgpr_queue_ptr 0
		.amdhsa_user_sgpr_kernarg_segment_ptr 1
		.amdhsa_user_sgpr_dispatch_id 0
		.amdhsa_user_sgpr_private_segment_size 0
		.amdhsa_wavefront_size32 1
		.amdhsa_uses_dynamic_stack 0
		.amdhsa_enable_private_segment 0
		.amdhsa_system_sgpr_workgroup_id_x 1
		.amdhsa_system_sgpr_workgroup_id_y 0
		.amdhsa_system_sgpr_workgroup_id_z 0
		.amdhsa_system_sgpr_workgroup_info 0
		.amdhsa_system_vgpr_workitem_id 0
		.amdhsa_next_free_vgpr 1
		.amdhsa_next_free_sgpr 1
		.amdhsa_reserve_vcc 0
		.amdhsa_float_round_mode_32 0
		.amdhsa_float_round_mode_16_64 0
		.amdhsa_float_denorm_mode_32 3
		.amdhsa_float_denorm_mode_16_64 3
		.amdhsa_fp16_overflow 0
		.amdhsa_workgroup_processor_mode 1
		.amdhsa_memory_ordered 1
		.amdhsa_forward_progress 1
		.amdhsa_inst_pref_size 0
		.amdhsa_round_robin_scheduling 0
		.amdhsa_exception_fp_ieee_invalid_op 0
		.amdhsa_exception_fp_denorm_src 0
		.amdhsa_exception_fp_ieee_div_zero 0
		.amdhsa_exception_fp_ieee_overflow 0
		.amdhsa_exception_fp_ieee_underflow 0
		.amdhsa_exception_fp_ieee_inexact 0
		.amdhsa_exception_int_div_zero 0
	.end_amdhsa_kernel
	.section	.text._ZN7rocprim17ROCPRIM_400000_NS6detail17trampoline_kernelINS0_14default_configENS1_25partition_config_selectorILNS1_17partition_subalgoE6EyNS0_10empty_typeEbEEZZNS1_14partition_implILS5_6ELb0ES3_mN6thrust23THRUST_200600_302600_NS6detail15normal_iteratorINSA_10device_ptrIyEEEEPS6_SG_NS0_5tupleIJSF_S6_EEENSH_IJSG_SG_EEES6_PlJNSB_9not_fun_tI7is_evenIyEEEEEE10hipError_tPvRmT3_T4_T5_T6_T7_T9_mT8_P12ihipStream_tbDpT10_ENKUlT_T0_E_clISt17integral_constantIbLb0EES17_IbLb1EEEEDaS13_S14_EUlS13_E_NS1_11comp_targetILNS1_3genE3ELNS1_11target_archE908ELNS1_3gpuE7ELNS1_3repE0EEENS1_30default_config_static_selectorELNS0_4arch9wavefront6targetE0EEEvT1_,"axG",@progbits,_ZN7rocprim17ROCPRIM_400000_NS6detail17trampoline_kernelINS0_14default_configENS1_25partition_config_selectorILNS1_17partition_subalgoE6EyNS0_10empty_typeEbEEZZNS1_14partition_implILS5_6ELb0ES3_mN6thrust23THRUST_200600_302600_NS6detail15normal_iteratorINSA_10device_ptrIyEEEEPS6_SG_NS0_5tupleIJSF_S6_EEENSH_IJSG_SG_EEES6_PlJNSB_9not_fun_tI7is_evenIyEEEEEE10hipError_tPvRmT3_T4_T5_T6_T7_T9_mT8_P12ihipStream_tbDpT10_ENKUlT_T0_E_clISt17integral_constantIbLb0EES17_IbLb1EEEEDaS13_S14_EUlS13_E_NS1_11comp_targetILNS1_3genE3ELNS1_11target_archE908ELNS1_3gpuE7ELNS1_3repE0EEENS1_30default_config_static_selectorELNS0_4arch9wavefront6targetE0EEEvT1_,comdat
.Lfunc_end624:
	.size	_ZN7rocprim17ROCPRIM_400000_NS6detail17trampoline_kernelINS0_14default_configENS1_25partition_config_selectorILNS1_17partition_subalgoE6EyNS0_10empty_typeEbEEZZNS1_14partition_implILS5_6ELb0ES3_mN6thrust23THRUST_200600_302600_NS6detail15normal_iteratorINSA_10device_ptrIyEEEEPS6_SG_NS0_5tupleIJSF_S6_EEENSH_IJSG_SG_EEES6_PlJNSB_9not_fun_tI7is_evenIyEEEEEE10hipError_tPvRmT3_T4_T5_T6_T7_T9_mT8_P12ihipStream_tbDpT10_ENKUlT_T0_E_clISt17integral_constantIbLb0EES17_IbLb1EEEEDaS13_S14_EUlS13_E_NS1_11comp_targetILNS1_3genE3ELNS1_11target_archE908ELNS1_3gpuE7ELNS1_3repE0EEENS1_30default_config_static_selectorELNS0_4arch9wavefront6targetE0EEEvT1_, .Lfunc_end624-_ZN7rocprim17ROCPRIM_400000_NS6detail17trampoline_kernelINS0_14default_configENS1_25partition_config_selectorILNS1_17partition_subalgoE6EyNS0_10empty_typeEbEEZZNS1_14partition_implILS5_6ELb0ES3_mN6thrust23THRUST_200600_302600_NS6detail15normal_iteratorINSA_10device_ptrIyEEEEPS6_SG_NS0_5tupleIJSF_S6_EEENSH_IJSG_SG_EEES6_PlJNSB_9not_fun_tI7is_evenIyEEEEEE10hipError_tPvRmT3_T4_T5_T6_T7_T9_mT8_P12ihipStream_tbDpT10_ENKUlT_T0_E_clISt17integral_constantIbLb0EES17_IbLb1EEEEDaS13_S14_EUlS13_E_NS1_11comp_targetILNS1_3genE3ELNS1_11target_archE908ELNS1_3gpuE7ELNS1_3repE0EEENS1_30default_config_static_selectorELNS0_4arch9wavefront6targetE0EEEvT1_
                                        ; -- End function
	.set _ZN7rocprim17ROCPRIM_400000_NS6detail17trampoline_kernelINS0_14default_configENS1_25partition_config_selectorILNS1_17partition_subalgoE6EyNS0_10empty_typeEbEEZZNS1_14partition_implILS5_6ELb0ES3_mN6thrust23THRUST_200600_302600_NS6detail15normal_iteratorINSA_10device_ptrIyEEEEPS6_SG_NS0_5tupleIJSF_S6_EEENSH_IJSG_SG_EEES6_PlJNSB_9not_fun_tI7is_evenIyEEEEEE10hipError_tPvRmT3_T4_T5_T6_T7_T9_mT8_P12ihipStream_tbDpT10_ENKUlT_T0_E_clISt17integral_constantIbLb0EES17_IbLb1EEEEDaS13_S14_EUlS13_E_NS1_11comp_targetILNS1_3genE3ELNS1_11target_archE908ELNS1_3gpuE7ELNS1_3repE0EEENS1_30default_config_static_selectorELNS0_4arch9wavefront6targetE0EEEvT1_.num_vgpr, 0
	.set _ZN7rocprim17ROCPRIM_400000_NS6detail17trampoline_kernelINS0_14default_configENS1_25partition_config_selectorILNS1_17partition_subalgoE6EyNS0_10empty_typeEbEEZZNS1_14partition_implILS5_6ELb0ES3_mN6thrust23THRUST_200600_302600_NS6detail15normal_iteratorINSA_10device_ptrIyEEEEPS6_SG_NS0_5tupleIJSF_S6_EEENSH_IJSG_SG_EEES6_PlJNSB_9not_fun_tI7is_evenIyEEEEEE10hipError_tPvRmT3_T4_T5_T6_T7_T9_mT8_P12ihipStream_tbDpT10_ENKUlT_T0_E_clISt17integral_constantIbLb0EES17_IbLb1EEEEDaS13_S14_EUlS13_E_NS1_11comp_targetILNS1_3genE3ELNS1_11target_archE908ELNS1_3gpuE7ELNS1_3repE0EEENS1_30default_config_static_selectorELNS0_4arch9wavefront6targetE0EEEvT1_.num_agpr, 0
	.set _ZN7rocprim17ROCPRIM_400000_NS6detail17trampoline_kernelINS0_14default_configENS1_25partition_config_selectorILNS1_17partition_subalgoE6EyNS0_10empty_typeEbEEZZNS1_14partition_implILS5_6ELb0ES3_mN6thrust23THRUST_200600_302600_NS6detail15normal_iteratorINSA_10device_ptrIyEEEEPS6_SG_NS0_5tupleIJSF_S6_EEENSH_IJSG_SG_EEES6_PlJNSB_9not_fun_tI7is_evenIyEEEEEE10hipError_tPvRmT3_T4_T5_T6_T7_T9_mT8_P12ihipStream_tbDpT10_ENKUlT_T0_E_clISt17integral_constantIbLb0EES17_IbLb1EEEEDaS13_S14_EUlS13_E_NS1_11comp_targetILNS1_3genE3ELNS1_11target_archE908ELNS1_3gpuE7ELNS1_3repE0EEENS1_30default_config_static_selectorELNS0_4arch9wavefront6targetE0EEEvT1_.numbered_sgpr, 0
	.set _ZN7rocprim17ROCPRIM_400000_NS6detail17trampoline_kernelINS0_14default_configENS1_25partition_config_selectorILNS1_17partition_subalgoE6EyNS0_10empty_typeEbEEZZNS1_14partition_implILS5_6ELb0ES3_mN6thrust23THRUST_200600_302600_NS6detail15normal_iteratorINSA_10device_ptrIyEEEEPS6_SG_NS0_5tupleIJSF_S6_EEENSH_IJSG_SG_EEES6_PlJNSB_9not_fun_tI7is_evenIyEEEEEE10hipError_tPvRmT3_T4_T5_T6_T7_T9_mT8_P12ihipStream_tbDpT10_ENKUlT_T0_E_clISt17integral_constantIbLb0EES17_IbLb1EEEEDaS13_S14_EUlS13_E_NS1_11comp_targetILNS1_3genE3ELNS1_11target_archE908ELNS1_3gpuE7ELNS1_3repE0EEENS1_30default_config_static_selectorELNS0_4arch9wavefront6targetE0EEEvT1_.num_named_barrier, 0
	.set _ZN7rocprim17ROCPRIM_400000_NS6detail17trampoline_kernelINS0_14default_configENS1_25partition_config_selectorILNS1_17partition_subalgoE6EyNS0_10empty_typeEbEEZZNS1_14partition_implILS5_6ELb0ES3_mN6thrust23THRUST_200600_302600_NS6detail15normal_iteratorINSA_10device_ptrIyEEEEPS6_SG_NS0_5tupleIJSF_S6_EEENSH_IJSG_SG_EEES6_PlJNSB_9not_fun_tI7is_evenIyEEEEEE10hipError_tPvRmT3_T4_T5_T6_T7_T9_mT8_P12ihipStream_tbDpT10_ENKUlT_T0_E_clISt17integral_constantIbLb0EES17_IbLb1EEEEDaS13_S14_EUlS13_E_NS1_11comp_targetILNS1_3genE3ELNS1_11target_archE908ELNS1_3gpuE7ELNS1_3repE0EEENS1_30default_config_static_selectorELNS0_4arch9wavefront6targetE0EEEvT1_.private_seg_size, 0
	.set _ZN7rocprim17ROCPRIM_400000_NS6detail17trampoline_kernelINS0_14default_configENS1_25partition_config_selectorILNS1_17partition_subalgoE6EyNS0_10empty_typeEbEEZZNS1_14partition_implILS5_6ELb0ES3_mN6thrust23THRUST_200600_302600_NS6detail15normal_iteratorINSA_10device_ptrIyEEEEPS6_SG_NS0_5tupleIJSF_S6_EEENSH_IJSG_SG_EEES6_PlJNSB_9not_fun_tI7is_evenIyEEEEEE10hipError_tPvRmT3_T4_T5_T6_T7_T9_mT8_P12ihipStream_tbDpT10_ENKUlT_T0_E_clISt17integral_constantIbLb0EES17_IbLb1EEEEDaS13_S14_EUlS13_E_NS1_11comp_targetILNS1_3genE3ELNS1_11target_archE908ELNS1_3gpuE7ELNS1_3repE0EEENS1_30default_config_static_selectorELNS0_4arch9wavefront6targetE0EEEvT1_.uses_vcc, 0
	.set _ZN7rocprim17ROCPRIM_400000_NS6detail17trampoline_kernelINS0_14default_configENS1_25partition_config_selectorILNS1_17partition_subalgoE6EyNS0_10empty_typeEbEEZZNS1_14partition_implILS5_6ELb0ES3_mN6thrust23THRUST_200600_302600_NS6detail15normal_iteratorINSA_10device_ptrIyEEEEPS6_SG_NS0_5tupleIJSF_S6_EEENSH_IJSG_SG_EEES6_PlJNSB_9not_fun_tI7is_evenIyEEEEEE10hipError_tPvRmT3_T4_T5_T6_T7_T9_mT8_P12ihipStream_tbDpT10_ENKUlT_T0_E_clISt17integral_constantIbLb0EES17_IbLb1EEEEDaS13_S14_EUlS13_E_NS1_11comp_targetILNS1_3genE3ELNS1_11target_archE908ELNS1_3gpuE7ELNS1_3repE0EEENS1_30default_config_static_selectorELNS0_4arch9wavefront6targetE0EEEvT1_.uses_flat_scratch, 0
	.set _ZN7rocprim17ROCPRIM_400000_NS6detail17trampoline_kernelINS0_14default_configENS1_25partition_config_selectorILNS1_17partition_subalgoE6EyNS0_10empty_typeEbEEZZNS1_14partition_implILS5_6ELb0ES3_mN6thrust23THRUST_200600_302600_NS6detail15normal_iteratorINSA_10device_ptrIyEEEEPS6_SG_NS0_5tupleIJSF_S6_EEENSH_IJSG_SG_EEES6_PlJNSB_9not_fun_tI7is_evenIyEEEEEE10hipError_tPvRmT3_T4_T5_T6_T7_T9_mT8_P12ihipStream_tbDpT10_ENKUlT_T0_E_clISt17integral_constantIbLb0EES17_IbLb1EEEEDaS13_S14_EUlS13_E_NS1_11comp_targetILNS1_3genE3ELNS1_11target_archE908ELNS1_3gpuE7ELNS1_3repE0EEENS1_30default_config_static_selectorELNS0_4arch9wavefront6targetE0EEEvT1_.has_dyn_sized_stack, 0
	.set _ZN7rocprim17ROCPRIM_400000_NS6detail17trampoline_kernelINS0_14default_configENS1_25partition_config_selectorILNS1_17partition_subalgoE6EyNS0_10empty_typeEbEEZZNS1_14partition_implILS5_6ELb0ES3_mN6thrust23THRUST_200600_302600_NS6detail15normal_iteratorINSA_10device_ptrIyEEEEPS6_SG_NS0_5tupleIJSF_S6_EEENSH_IJSG_SG_EEES6_PlJNSB_9not_fun_tI7is_evenIyEEEEEE10hipError_tPvRmT3_T4_T5_T6_T7_T9_mT8_P12ihipStream_tbDpT10_ENKUlT_T0_E_clISt17integral_constantIbLb0EES17_IbLb1EEEEDaS13_S14_EUlS13_E_NS1_11comp_targetILNS1_3genE3ELNS1_11target_archE908ELNS1_3gpuE7ELNS1_3repE0EEENS1_30default_config_static_selectorELNS0_4arch9wavefront6targetE0EEEvT1_.has_recursion, 0
	.set _ZN7rocprim17ROCPRIM_400000_NS6detail17trampoline_kernelINS0_14default_configENS1_25partition_config_selectorILNS1_17partition_subalgoE6EyNS0_10empty_typeEbEEZZNS1_14partition_implILS5_6ELb0ES3_mN6thrust23THRUST_200600_302600_NS6detail15normal_iteratorINSA_10device_ptrIyEEEEPS6_SG_NS0_5tupleIJSF_S6_EEENSH_IJSG_SG_EEES6_PlJNSB_9not_fun_tI7is_evenIyEEEEEE10hipError_tPvRmT3_T4_T5_T6_T7_T9_mT8_P12ihipStream_tbDpT10_ENKUlT_T0_E_clISt17integral_constantIbLb0EES17_IbLb1EEEEDaS13_S14_EUlS13_E_NS1_11comp_targetILNS1_3genE3ELNS1_11target_archE908ELNS1_3gpuE7ELNS1_3repE0EEENS1_30default_config_static_selectorELNS0_4arch9wavefront6targetE0EEEvT1_.has_indirect_call, 0
	.section	.AMDGPU.csdata,"",@progbits
; Kernel info:
; codeLenInByte = 0
; TotalNumSgprs: 0
; NumVgprs: 0
; ScratchSize: 0
; MemoryBound: 0
; FloatMode: 240
; IeeeMode: 1
; LDSByteSize: 0 bytes/workgroup (compile time only)
; SGPRBlocks: 0
; VGPRBlocks: 0
; NumSGPRsForWavesPerEU: 1
; NumVGPRsForWavesPerEU: 1
; Occupancy: 16
; WaveLimiterHint : 0
; COMPUTE_PGM_RSRC2:SCRATCH_EN: 0
; COMPUTE_PGM_RSRC2:USER_SGPR: 2
; COMPUTE_PGM_RSRC2:TRAP_HANDLER: 0
; COMPUTE_PGM_RSRC2:TGID_X_EN: 1
; COMPUTE_PGM_RSRC2:TGID_Y_EN: 0
; COMPUTE_PGM_RSRC2:TGID_Z_EN: 0
; COMPUTE_PGM_RSRC2:TIDIG_COMP_CNT: 0
	.section	.text._ZN7rocprim17ROCPRIM_400000_NS6detail17trampoline_kernelINS0_14default_configENS1_25partition_config_selectorILNS1_17partition_subalgoE6EyNS0_10empty_typeEbEEZZNS1_14partition_implILS5_6ELb0ES3_mN6thrust23THRUST_200600_302600_NS6detail15normal_iteratorINSA_10device_ptrIyEEEEPS6_SG_NS0_5tupleIJSF_S6_EEENSH_IJSG_SG_EEES6_PlJNSB_9not_fun_tI7is_evenIyEEEEEE10hipError_tPvRmT3_T4_T5_T6_T7_T9_mT8_P12ihipStream_tbDpT10_ENKUlT_T0_E_clISt17integral_constantIbLb0EES17_IbLb1EEEEDaS13_S14_EUlS13_E_NS1_11comp_targetILNS1_3genE2ELNS1_11target_archE906ELNS1_3gpuE6ELNS1_3repE0EEENS1_30default_config_static_selectorELNS0_4arch9wavefront6targetE0EEEvT1_,"axG",@progbits,_ZN7rocprim17ROCPRIM_400000_NS6detail17trampoline_kernelINS0_14default_configENS1_25partition_config_selectorILNS1_17partition_subalgoE6EyNS0_10empty_typeEbEEZZNS1_14partition_implILS5_6ELb0ES3_mN6thrust23THRUST_200600_302600_NS6detail15normal_iteratorINSA_10device_ptrIyEEEEPS6_SG_NS0_5tupleIJSF_S6_EEENSH_IJSG_SG_EEES6_PlJNSB_9not_fun_tI7is_evenIyEEEEEE10hipError_tPvRmT3_T4_T5_T6_T7_T9_mT8_P12ihipStream_tbDpT10_ENKUlT_T0_E_clISt17integral_constantIbLb0EES17_IbLb1EEEEDaS13_S14_EUlS13_E_NS1_11comp_targetILNS1_3genE2ELNS1_11target_archE906ELNS1_3gpuE6ELNS1_3repE0EEENS1_30default_config_static_selectorELNS0_4arch9wavefront6targetE0EEEvT1_,comdat
	.protected	_ZN7rocprim17ROCPRIM_400000_NS6detail17trampoline_kernelINS0_14default_configENS1_25partition_config_selectorILNS1_17partition_subalgoE6EyNS0_10empty_typeEbEEZZNS1_14partition_implILS5_6ELb0ES3_mN6thrust23THRUST_200600_302600_NS6detail15normal_iteratorINSA_10device_ptrIyEEEEPS6_SG_NS0_5tupleIJSF_S6_EEENSH_IJSG_SG_EEES6_PlJNSB_9not_fun_tI7is_evenIyEEEEEE10hipError_tPvRmT3_T4_T5_T6_T7_T9_mT8_P12ihipStream_tbDpT10_ENKUlT_T0_E_clISt17integral_constantIbLb0EES17_IbLb1EEEEDaS13_S14_EUlS13_E_NS1_11comp_targetILNS1_3genE2ELNS1_11target_archE906ELNS1_3gpuE6ELNS1_3repE0EEENS1_30default_config_static_selectorELNS0_4arch9wavefront6targetE0EEEvT1_ ; -- Begin function _ZN7rocprim17ROCPRIM_400000_NS6detail17trampoline_kernelINS0_14default_configENS1_25partition_config_selectorILNS1_17partition_subalgoE6EyNS0_10empty_typeEbEEZZNS1_14partition_implILS5_6ELb0ES3_mN6thrust23THRUST_200600_302600_NS6detail15normal_iteratorINSA_10device_ptrIyEEEEPS6_SG_NS0_5tupleIJSF_S6_EEENSH_IJSG_SG_EEES6_PlJNSB_9not_fun_tI7is_evenIyEEEEEE10hipError_tPvRmT3_T4_T5_T6_T7_T9_mT8_P12ihipStream_tbDpT10_ENKUlT_T0_E_clISt17integral_constantIbLb0EES17_IbLb1EEEEDaS13_S14_EUlS13_E_NS1_11comp_targetILNS1_3genE2ELNS1_11target_archE906ELNS1_3gpuE6ELNS1_3repE0EEENS1_30default_config_static_selectorELNS0_4arch9wavefront6targetE0EEEvT1_
	.globl	_ZN7rocprim17ROCPRIM_400000_NS6detail17trampoline_kernelINS0_14default_configENS1_25partition_config_selectorILNS1_17partition_subalgoE6EyNS0_10empty_typeEbEEZZNS1_14partition_implILS5_6ELb0ES3_mN6thrust23THRUST_200600_302600_NS6detail15normal_iteratorINSA_10device_ptrIyEEEEPS6_SG_NS0_5tupleIJSF_S6_EEENSH_IJSG_SG_EEES6_PlJNSB_9not_fun_tI7is_evenIyEEEEEE10hipError_tPvRmT3_T4_T5_T6_T7_T9_mT8_P12ihipStream_tbDpT10_ENKUlT_T0_E_clISt17integral_constantIbLb0EES17_IbLb1EEEEDaS13_S14_EUlS13_E_NS1_11comp_targetILNS1_3genE2ELNS1_11target_archE906ELNS1_3gpuE6ELNS1_3repE0EEENS1_30default_config_static_selectorELNS0_4arch9wavefront6targetE0EEEvT1_
	.p2align	8
	.type	_ZN7rocprim17ROCPRIM_400000_NS6detail17trampoline_kernelINS0_14default_configENS1_25partition_config_selectorILNS1_17partition_subalgoE6EyNS0_10empty_typeEbEEZZNS1_14partition_implILS5_6ELb0ES3_mN6thrust23THRUST_200600_302600_NS6detail15normal_iteratorINSA_10device_ptrIyEEEEPS6_SG_NS0_5tupleIJSF_S6_EEENSH_IJSG_SG_EEES6_PlJNSB_9not_fun_tI7is_evenIyEEEEEE10hipError_tPvRmT3_T4_T5_T6_T7_T9_mT8_P12ihipStream_tbDpT10_ENKUlT_T0_E_clISt17integral_constantIbLb0EES17_IbLb1EEEEDaS13_S14_EUlS13_E_NS1_11comp_targetILNS1_3genE2ELNS1_11target_archE906ELNS1_3gpuE6ELNS1_3repE0EEENS1_30default_config_static_selectorELNS0_4arch9wavefront6targetE0EEEvT1_,@function
_ZN7rocprim17ROCPRIM_400000_NS6detail17trampoline_kernelINS0_14default_configENS1_25partition_config_selectorILNS1_17partition_subalgoE6EyNS0_10empty_typeEbEEZZNS1_14partition_implILS5_6ELb0ES3_mN6thrust23THRUST_200600_302600_NS6detail15normal_iteratorINSA_10device_ptrIyEEEEPS6_SG_NS0_5tupleIJSF_S6_EEENSH_IJSG_SG_EEES6_PlJNSB_9not_fun_tI7is_evenIyEEEEEE10hipError_tPvRmT3_T4_T5_T6_T7_T9_mT8_P12ihipStream_tbDpT10_ENKUlT_T0_E_clISt17integral_constantIbLb0EES17_IbLb1EEEEDaS13_S14_EUlS13_E_NS1_11comp_targetILNS1_3genE2ELNS1_11target_archE906ELNS1_3gpuE6ELNS1_3repE0EEENS1_30default_config_static_selectorELNS0_4arch9wavefront6targetE0EEEvT1_: ; @_ZN7rocprim17ROCPRIM_400000_NS6detail17trampoline_kernelINS0_14default_configENS1_25partition_config_selectorILNS1_17partition_subalgoE6EyNS0_10empty_typeEbEEZZNS1_14partition_implILS5_6ELb0ES3_mN6thrust23THRUST_200600_302600_NS6detail15normal_iteratorINSA_10device_ptrIyEEEEPS6_SG_NS0_5tupleIJSF_S6_EEENSH_IJSG_SG_EEES6_PlJNSB_9not_fun_tI7is_evenIyEEEEEE10hipError_tPvRmT3_T4_T5_T6_T7_T9_mT8_P12ihipStream_tbDpT10_ENKUlT_T0_E_clISt17integral_constantIbLb0EES17_IbLb1EEEEDaS13_S14_EUlS13_E_NS1_11comp_targetILNS1_3genE2ELNS1_11target_archE906ELNS1_3gpuE6ELNS1_3repE0EEENS1_30default_config_static_selectorELNS0_4arch9wavefront6targetE0EEEvT1_
; %bb.0:
	.section	.rodata,"a",@progbits
	.p2align	6, 0x0
	.amdhsa_kernel _ZN7rocprim17ROCPRIM_400000_NS6detail17trampoline_kernelINS0_14default_configENS1_25partition_config_selectorILNS1_17partition_subalgoE6EyNS0_10empty_typeEbEEZZNS1_14partition_implILS5_6ELb0ES3_mN6thrust23THRUST_200600_302600_NS6detail15normal_iteratorINSA_10device_ptrIyEEEEPS6_SG_NS0_5tupleIJSF_S6_EEENSH_IJSG_SG_EEES6_PlJNSB_9not_fun_tI7is_evenIyEEEEEE10hipError_tPvRmT3_T4_T5_T6_T7_T9_mT8_P12ihipStream_tbDpT10_ENKUlT_T0_E_clISt17integral_constantIbLb0EES17_IbLb1EEEEDaS13_S14_EUlS13_E_NS1_11comp_targetILNS1_3genE2ELNS1_11target_archE906ELNS1_3gpuE6ELNS1_3repE0EEENS1_30default_config_static_selectorELNS0_4arch9wavefront6targetE0EEEvT1_
		.amdhsa_group_segment_fixed_size 0
		.amdhsa_private_segment_fixed_size 0
		.amdhsa_kernarg_size 128
		.amdhsa_user_sgpr_count 2
		.amdhsa_user_sgpr_dispatch_ptr 0
		.amdhsa_user_sgpr_queue_ptr 0
		.amdhsa_user_sgpr_kernarg_segment_ptr 1
		.amdhsa_user_sgpr_dispatch_id 0
		.amdhsa_user_sgpr_private_segment_size 0
		.amdhsa_wavefront_size32 1
		.amdhsa_uses_dynamic_stack 0
		.amdhsa_enable_private_segment 0
		.amdhsa_system_sgpr_workgroup_id_x 1
		.amdhsa_system_sgpr_workgroup_id_y 0
		.amdhsa_system_sgpr_workgroup_id_z 0
		.amdhsa_system_sgpr_workgroup_info 0
		.amdhsa_system_vgpr_workitem_id 0
		.amdhsa_next_free_vgpr 1
		.amdhsa_next_free_sgpr 1
		.amdhsa_reserve_vcc 0
		.amdhsa_float_round_mode_32 0
		.amdhsa_float_round_mode_16_64 0
		.amdhsa_float_denorm_mode_32 3
		.amdhsa_float_denorm_mode_16_64 3
		.amdhsa_fp16_overflow 0
		.amdhsa_workgroup_processor_mode 1
		.amdhsa_memory_ordered 1
		.amdhsa_forward_progress 1
		.amdhsa_inst_pref_size 0
		.amdhsa_round_robin_scheduling 0
		.amdhsa_exception_fp_ieee_invalid_op 0
		.amdhsa_exception_fp_denorm_src 0
		.amdhsa_exception_fp_ieee_div_zero 0
		.amdhsa_exception_fp_ieee_overflow 0
		.amdhsa_exception_fp_ieee_underflow 0
		.amdhsa_exception_fp_ieee_inexact 0
		.amdhsa_exception_int_div_zero 0
	.end_amdhsa_kernel
	.section	.text._ZN7rocprim17ROCPRIM_400000_NS6detail17trampoline_kernelINS0_14default_configENS1_25partition_config_selectorILNS1_17partition_subalgoE6EyNS0_10empty_typeEbEEZZNS1_14partition_implILS5_6ELb0ES3_mN6thrust23THRUST_200600_302600_NS6detail15normal_iteratorINSA_10device_ptrIyEEEEPS6_SG_NS0_5tupleIJSF_S6_EEENSH_IJSG_SG_EEES6_PlJNSB_9not_fun_tI7is_evenIyEEEEEE10hipError_tPvRmT3_T4_T5_T6_T7_T9_mT8_P12ihipStream_tbDpT10_ENKUlT_T0_E_clISt17integral_constantIbLb0EES17_IbLb1EEEEDaS13_S14_EUlS13_E_NS1_11comp_targetILNS1_3genE2ELNS1_11target_archE906ELNS1_3gpuE6ELNS1_3repE0EEENS1_30default_config_static_selectorELNS0_4arch9wavefront6targetE0EEEvT1_,"axG",@progbits,_ZN7rocprim17ROCPRIM_400000_NS6detail17trampoline_kernelINS0_14default_configENS1_25partition_config_selectorILNS1_17partition_subalgoE6EyNS0_10empty_typeEbEEZZNS1_14partition_implILS5_6ELb0ES3_mN6thrust23THRUST_200600_302600_NS6detail15normal_iteratorINSA_10device_ptrIyEEEEPS6_SG_NS0_5tupleIJSF_S6_EEENSH_IJSG_SG_EEES6_PlJNSB_9not_fun_tI7is_evenIyEEEEEE10hipError_tPvRmT3_T4_T5_T6_T7_T9_mT8_P12ihipStream_tbDpT10_ENKUlT_T0_E_clISt17integral_constantIbLb0EES17_IbLb1EEEEDaS13_S14_EUlS13_E_NS1_11comp_targetILNS1_3genE2ELNS1_11target_archE906ELNS1_3gpuE6ELNS1_3repE0EEENS1_30default_config_static_selectorELNS0_4arch9wavefront6targetE0EEEvT1_,comdat
.Lfunc_end625:
	.size	_ZN7rocprim17ROCPRIM_400000_NS6detail17trampoline_kernelINS0_14default_configENS1_25partition_config_selectorILNS1_17partition_subalgoE6EyNS0_10empty_typeEbEEZZNS1_14partition_implILS5_6ELb0ES3_mN6thrust23THRUST_200600_302600_NS6detail15normal_iteratorINSA_10device_ptrIyEEEEPS6_SG_NS0_5tupleIJSF_S6_EEENSH_IJSG_SG_EEES6_PlJNSB_9not_fun_tI7is_evenIyEEEEEE10hipError_tPvRmT3_T4_T5_T6_T7_T9_mT8_P12ihipStream_tbDpT10_ENKUlT_T0_E_clISt17integral_constantIbLb0EES17_IbLb1EEEEDaS13_S14_EUlS13_E_NS1_11comp_targetILNS1_3genE2ELNS1_11target_archE906ELNS1_3gpuE6ELNS1_3repE0EEENS1_30default_config_static_selectorELNS0_4arch9wavefront6targetE0EEEvT1_, .Lfunc_end625-_ZN7rocprim17ROCPRIM_400000_NS6detail17trampoline_kernelINS0_14default_configENS1_25partition_config_selectorILNS1_17partition_subalgoE6EyNS0_10empty_typeEbEEZZNS1_14partition_implILS5_6ELb0ES3_mN6thrust23THRUST_200600_302600_NS6detail15normal_iteratorINSA_10device_ptrIyEEEEPS6_SG_NS0_5tupleIJSF_S6_EEENSH_IJSG_SG_EEES6_PlJNSB_9not_fun_tI7is_evenIyEEEEEE10hipError_tPvRmT3_T4_T5_T6_T7_T9_mT8_P12ihipStream_tbDpT10_ENKUlT_T0_E_clISt17integral_constantIbLb0EES17_IbLb1EEEEDaS13_S14_EUlS13_E_NS1_11comp_targetILNS1_3genE2ELNS1_11target_archE906ELNS1_3gpuE6ELNS1_3repE0EEENS1_30default_config_static_selectorELNS0_4arch9wavefront6targetE0EEEvT1_
                                        ; -- End function
	.set _ZN7rocprim17ROCPRIM_400000_NS6detail17trampoline_kernelINS0_14default_configENS1_25partition_config_selectorILNS1_17partition_subalgoE6EyNS0_10empty_typeEbEEZZNS1_14partition_implILS5_6ELb0ES3_mN6thrust23THRUST_200600_302600_NS6detail15normal_iteratorINSA_10device_ptrIyEEEEPS6_SG_NS0_5tupleIJSF_S6_EEENSH_IJSG_SG_EEES6_PlJNSB_9not_fun_tI7is_evenIyEEEEEE10hipError_tPvRmT3_T4_T5_T6_T7_T9_mT8_P12ihipStream_tbDpT10_ENKUlT_T0_E_clISt17integral_constantIbLb0EES17_IbLb1EEEEDaS13_S14_EUlS13_E_NS1_11comp_targetILNS1_3genE2ELNS1_11target_archE906ELNS1_3gpuE6ELNS1_3repE0EEENS1_30default_config_static_selectorELNS0_4arch9wavefront6targetE0EEEvT1_.num_vgpr, 0
	.set _ZN7rocprim17ROCPRIM_400000_NS6detail17trampoline_kernelINS0_14default_configENS1_25partition_config_selectorILNS1_17partition_subalgoE6EyNS0_10empty_typeEbEEZZNS1_14partition_implILS5_6ELb0ES3_mN6thrust23THRUST_200600_302600_NS6detail15normal_iteratorINSA_10device_ptrIyEEEEPS6_SG_NS0_5tupleIJSF_S6_EEENSH_IJSG_SG_EEES6_PlJNSB_9not_fun_tI7is_evenIyEEEEEE10hipError_tPvRmT3_T4_T5_T6_T7_T9_mT8_P12ihipStream_tbDpT10_ENKUlT_T0_E_clISt17integral_constantIbLb0EES17_IbLb1EEEEDaS13_S14_EUlS13_E_NS1_11comp_targetILNS1_3genE2ELNS1_11target_archE906ELNS1_3gpuE6ELNS1_3repE0EEENS1_30default_config_static_selectorELNS0_4arch9wavefront6targetE0EEEvT1_.num_agpr, 0
	.set _ZN7rocprim17ROCPRIM_400000_NS6detail17trampoline_kernelINS0_14default_configENS1_25partition_config_selectorILNS1_17partition_subalgoE6EyNS0_10empty_typeEbEEZZNS1_14partition_implILS5_6ELb0ES3_mN6thrust23THRUST_200600_302600_NS6detail15normal_iteratorINSA_10device_ptrIyEEEEPS6_SG_NS0_5tupleIJSF_S6_EEENSH_IJSG_SG_EEES6_PlJNSB_9not_fun_tI7is_evenIyEEEEEE10hipError_tPvRmT3_T4_T5_T6_T7_T9_mT8_P12ihipStream_tbDpT10_ENKUlT_T0_E_clISt17integral_constantIbLb0EES17_IbLb1EEEEDaS13_S14_EUlS13_E_NS1_11comp_targetILNS1_3genE2ELNS1_11target_archE906ELNS1_3gpuE6ELNS1_3repE0EEENS1_30default_config_static_selectorELNS0_4arch9wavefront6targetE0EEEvT1_.numbered_sgpr, 0
	.set _ZN7rocprim17ROCPRIM_400000_NS6detail17trampoline_kernelINS0_14default_configENS1_25partition_config_selectorILNS1_17partition_subalgoE6EyNS0_10empty_typeEbEEZZNS1_14partition_implILS5_6ELb0ES3_mN6thrust23THRUST_200600_302600_NS6detail15normal_iteratorINSA_10device_ptrIyEEEEPS6_SG_NS0_5tupleIJSF_S6_EEENSH_IJSG_SG_EEES6_PlJNSB_9not_fun_tI7is_evenIyEEEEEE10hipError_tPvRmT3_T4_T5_T6_T7_T9_mT8_P12ihipStream_tbDpT10_ENKUlT_T0_E_clISt17integral_constantIbLb0EES17_IbLb1EEEEDaS13_S14_EUlS13_E_NS1_11comp_targetILNS1_3genE2ELNS1_11target_archE906ELNS1_3gpuE6ELNS1_3repE0EEENS1_30default_config_static_selectorELNS0_4arch9wavefront6targetE0EEEvT1_.num_named_barrier, 0
	.set _ZN7rocprim17ROCPRIM_400000_NS6detail17trampoline_kernelINS0_14default_configENS1_25partition_config_selectorILNS1_17partition_subalgoE6EyNS0_10empty_typeEbEEZZNS1_14partition_implILS5_6ELb0ES3_mN6thrust23THRUST_200600_302600_NS6detail15normal_iteratorINSA_10device_ptrIyEEEEPS6_SG_NS0_5tupleIJSF_S6_EEENSH_IJSG_SG_EEES6_PlJNSB_9not_fun_tI7is_evenIyEEEEEE10hipError_tPvRmT3_T4_T5_T6_T7_T9_mT8_P12ihipStream_tbDpT10_ENKUlT_T0_E_clISt17integral_constantIbLb0EES17_IbLb1EEEEDaS13_S14_EUlS13_E_NS1_11comp_targetILNS1_3genE2ELNS1_11target_archE906ELNS1_3gpuE6ELNS1_3repE0EEENS1_30default_config_static_selectorELNS0_4arch9wavefront6targetE0EEEvT1_.private_seg_size, 0
	.set _ZN7rocprim17ROCPRIM_400000_NS6detail17trampoline_kernelINS0_14default_configENS1_25partition_config_selectorILNS1_17partition_subalgoE6EyNS0_10empty_typeEbEEZZNS1_14partition_implILS5_6ELb0ES3_mN6thrust23THRUST_200600_302600_NS6detail15normal_iteratorINSA_10device_ptrIyEEEEPS6_SG_NS0_5tupleIJSF_S6_EEENSH_IJSG_SG_EEES6_PlJNSB_9not_fun_tI7is_evenIyEEEEEE10hipError_tPvRmT3_T4_T5_T6_T7_T9_mT8_P12ihipStream_tbDpT10_ENKUlT_T0_E_clISt17integral_constantIbLb0EES17_IbLb1EEEEDaS13_S14_EUlS13_E_NS1_11comp_targetILNS1_3genE2ELNS1_11target_archE906ELNS1_3gpuE6ELNS1_3repE0EEENS1_30default_config_static_selectorELNS0_4arch9wavefront6targetE0EEEvT1_.uses_vcc, 0
	.set _ZN7rocprim17ROCPRIM_400000_NS6detail17trampoline_kernelINS0_14default_configENS1_25partition_config_selectorILNS1_17partition_subalgoE6EyNS0_10empty_typeEbEEZZNS1_14partition_implILS5_6ELb0ES3_mN6thrust23THRUST_200600_302600_NS6detail15normal_iteratorINSA_10device_ptrIyEEEEPS6_SG_NS0_5tupleIJSF_S6_EEENSH_IJSG_SG_EEES6_PlJNSB_9not_fun_tI7is_evenIyEEEEEE10hipError_tPvRmT3_T4_T5_T6_T7_T9_mT8_P12ihipStream_tbDpT10_ENKUlT_T0_E_clISt17integral_constantIbLb0EES17_IbLb1EEEEDaS13_S14_EUlS13_E_NS1_11comp_targetILNS1_3genE2ELNS1_11target_archE906ELNS1_3gpuE6ELNS1_3repE0EEENS1_30default_config_static_selectorELNS0_4arch9wavefront6targetE0EEEvT1_.uses_flat_scratch, 0
	.set _ZN7rocprim17ROCPRIM_400000_NS6detail17trampoline_kernelINS0_14default_configENS1_25partition_config_selectorILNS1_17partition_subalgoE6EyNS0_10empty_typeEbEEZZNS1_14partition_implILS5_6ELb0ES3_mN6thrust23THRUST_200600_302600_NS6detail15normal_iteratorINSA_10device_ptrIyEEEEPS6_SG_NS0_5tupleIJSF_S6_EEENSH_IJSG_SG_EEES6_PlJNSB_9not_fun_tI7is_evenIyEEEEEE10hipError_tPvRmT3_T4_T5_T6_T7_T9_mT8_P12ihipStream_tbDpT10_ENKUlT_T0_E_clISt17integral_constantIbLb0EES17_IbLb1EEEEDaS13_S14_EUlS13_E_NS1_11comp_targetILNS1_3genE2ELNS1_11target_archE906ELNS1_3gpuE6ELNS1_3repE0EEENS1_30default_config_static_selectorELNS0_4arch9wavefront6targetE0EEEvT1_.has_dyn_sized_stack, 0
	.set _ZN7rocprim17ROCPRIM_400000_NS6detail17trampoline_kernelINS0_14default_configENS1_25partition_config_selectorILNS1_17partition_subalgoE6EyNS0_10empty_typeEbEEZZNS1_14partition_implILS5_6ELb0ES3_mN6thrust23THRUST_200600_302600_NS6detail15normal_iteratorINSA_10device_ptrIyEEEEPS6_SG_NS0_5tupleIJSF_S6_EEENSH_IJSG_SG_EEES6_PlJNSB_9not_fun_tI7is_evenIyEEEEEE10hipError_tPvRmT3_T4_T5_T6_T7_T9_mT8_P12ihipStream_tbDpT10_ENKUlT_T0_E_clISt17integral_constantIbLb0EES17_IbLb1EEEEDaS13_S14_EUlS13_E_NS1_11comp_targetILNS1_3genE2ELNS1_11target_archE906ELNS1_3gpuE6ELNS1_3repE0EEENS1_30default_config_static_selectorELNS0_4arch9wavefront6targetE0EEEvT1_.has_recursion, 0
	.set _ZN7rocprim17ROCPRIM_400000_NS6detail17trampoline_kernelINS0_14default_configENS1_25partition_config_selectorILNS1_17partition_subalgoE6EyNS0_10empty_typeEbEEZZNS1_14partition_implILS5_6ELb0ES3_mN6thrust23THRUST_200600_302600_NS6detail15normal_iteratorINSA_10device_ptrIyEEEEPS6_SG_NS0_5tupleIJSF_S6_EEENSH_IJSG_SG_EEES6_PlJNSB_9not_fun_tI7is_evenIyEEEEEE10hipError_tPvRmT3_T4_T5_T6_T7_T9_mT8_P12ihipStream_tbDpT10_ENKUlT_T0_E_clISt17integral_constantIbLb0EES17_IbLb1EEEEDaS13_S14_EUlS13_E_NS1_11comp_targetILNS1_3genE2ELNS1_11target_archE906ELNS1_3gpuE6ELNS1_3repE0EEENS1_30default_config_static_selectorELNS0_4arch9wavefront6targetE0EEEvT1_.has_indirect_call, 0
	.section	.AMDGPU.csdata,"",@progbits
; Kernel info:
; codeLenInByte = 0
; TotalNumSgprs: 0
; NumVgprs: 0
; ScratchSize: 0
; MemoryBound: 0
; FloatMode: 240
; IeeeMode: 1
; LDSByteSize: 0 bytes/workgroup (compile time only)
; SGPRBlocks: 0
; VGPRBlocks: 0
; NumSGPRsForWavesPerEU: 1
; NumVGPRsForWavesPerEU: 1
; Occupancy: 16
; WaveLimiterHint : 0
; COMPUTE_PGM_RSRC2:SCRATCH_EN: 0
; COMPUTE_PGM_RSRC2:USER_SGPR: 2
; COMPUTE_PGM_RSRC2:TRAP_HANDLER: 0
; COMPUTE_PGM_RSRC2:TGID_X_EN: 1
; COMPUTE_PGM_RSRC2:TGID_Y_EN: 0
; COMPUTE_PGM_RSRC2:TGID_Z_EN: 0
; COMPUTE_PGM_RSRC2:TIDIG_COMP_CNT: 0
	.section	.text._ZN7rocprim17ROCPRIM_400000_NS6detail17trampoline_kernelINS0_14default_configENS1_25partition_config_selectorILNS1_17partition_subalgoE6EyNS0_10empty_typeEbEEZZNS1_14partition_implILS5_6ELb0ES3_mN6thrust23THRUST_200600_302600_NS6detail15normal_iteratorINSA_10device_ptrIyEEEEPS6_SG_NS0_5tupleIJSF_S6_EEENSH_IJSG_SG_EEES6_PlJNSB_9not_fun_tI7is_evenIyEEEEEE10hipError_tPvRmT3_T4_T5_T6_T7_T9_mT8_P12ihipStream_tbDpT10_ENKUlT_T0_E_clISt17integral_constantIbLb0EES17_IbLb1EEEEDaS13_S14_EUlS13_E_NS1_11comp_targetILNS1_3genE10ELNS1_11target_archE1200ELNS1_3gpuE4ELNS1_3repE0EEENS1_30default_config_static_selectorELNS0_4arch9wavefront6targetE0EEEvT1_,"axG",@progbits,_ZN7rocprim17ROCPRIM_400000_NS6detail17trampoline_kernelINS0_14default_configENS1_25partition_config_selectorILNS1_17partition_subalgoE6EyNS0_10empty_typeEbEEZZNS1_14partition_implILS5_6ELb0ES3_mN6thrust23THRUST_200600_302600_NS6detail15normal_iteratorINSA_10device_ptrIyEEEEPS6_SG_NS0_5tupleIJSF_S6_EEENSH_IJSG_SG_EEES6_PlJNSB_9not_fun_tI7is_evenIyEEEEEE10hipError_tPvRmT3_T4_T5_T6_T7_T9_mT8_P12ihipStream_tbDpT10_ENKUlT_T0_E_clISt17integral_constantIbLb0EES17_IbLb1EEEEDaS13_S14_EUlS13_E_NS1_11comp_targetILNS1_3genE10ELNS1_11target_archE1200ELNS1_3gpuE4ELNS1_3repE0EEENS1_30default_config_static_selectorELNS0_4arch9wavefront6targetE0EEEvT1_,comdat
	.protected	_ZN7rocprim17ROCPRIM_400000_NS6detail17trampoline_kernelINS0_14default_configENS1_25partition_config_selectorILNS1_17partition_subalgoE6EyNS0_10empty_typeEbEEZZNS1_14partition_implILS5_6ELb0ES3_mN6thrust23THRUST_200600_302600_NS6detail15normal_iteratorINSA_10device_ptrIyEEEEPS6_SG_NS0_5tupleIJSF_S6_EEENSH_IJSG_SG_EEES6_PlJNSB_9not_fun_tI7is_evenIyEEEEEE10hipError_tPvRmT3_T4_T5_T6_T7_T9_mT8_P12ihipStream_tbDpT10_ENKUlT_T0_E_clISt17integral_constantIbLb0EES17_IbLb1EEEEDaS13_S14_EUlS13_E_NS1_11comp_targetILNS1_3genE10ELNS1_11target_archE1200ELNS1_3gpuE4ELNS1_3repE0EEENS1_30default_config_static_selectorELNS0_4arch9wavefront6targetE0EEEvT1_ ; -- Begin function _ZN7rocprim17ROCPRIM_400000_NS6detail17trampoline_kernelINS0_14default_configENS1_25partition_config_selectorILNS1_17partition_subalgoE6EyNS0_10empty_typeEbEEZZNS1_14partition_implILS5_6ELb0ES3_mN6thrust23THRUST_200600_302600_NS6detail15normal_iteratorINSA_10device_ptrIyEEEEPS6_SG_NS0_5tupleIJSF_S6_EEENSH_IJSG_SG_EEES6_PlJNSB_9not_fun_tI7is_evenIyEEEEEE10hipError_tPvRmT3_T4_T5_T6_T7_T9_mT8_P12ihipStream_tbDpT10_ENKUlT_T0_E_clISt17integral_constantIbLb0EES17_IbLb1EEEEDaS13_S14_EUlS13_E_NS1_11comp_targetILNS1_3genE10ELNS1_11target_archE1200ELNS1_3gpuE4ELNS1_3repE0EEENS1_30default_config_static_selectorELNS0_4arch9wavefront6targetE0EEEvT1_
	.globl	_ZN7rocprim17ROCPRIM_400000_NS6detail17trampoline_kernelINS0_14default_configENS1_25partition_config_selectorILNS1_17partition_subalgoE6EyNS0_10empty_typeEbEEZZNS1_14partition_implILS5_6ELb0ES3_mN6thrust23THRUST_200600_302600_NS6detail15normal_iteratorINSA_10device_ptrIyEEEEPS6_SG_NS0_5tupleIJSF_S6_EEENSH_IJSG_SG_EEES6_PlJNSB_9not_fun_tI7is_evenIyEEEEEE10hipError_tPvRmT3_T4_T5_T6_T7_T9_mT8_P12ihipStream_tbDpT10_ENKUlT_T0_E_clISt17integral_constantIbLb0EES17_IbLb1EEEEDaS13_S14_EUlS13_E_NS1_11comp_targetILNS1_3genE10ELNS1_11target_archE1200ELNS1_3gpuE4ELNS1_3repE0EEENS1_30default_config_static_selectorELNS0_4arch9wavefront6targetE0EEEvT1_
	.p2align	8
	.type	_ZN7rocprim17ROCPRIM_400000_NS6detail17trampoline_kernelINS0_14default_configENS1_25partition_config_selectorILNS1_17partition_subalgoE6EyNS0_10empty_typeEbEEZZNS1_14partition_implILS5_6ELb0ES3_mN6thrust23THRUST_200600_302600_NS6detail15normal_iteratorINSA_10device_ptrIyEEEEPS6_SG_NS0_5tupleIJSF_S6_EEENSH_IJSG_SG_EEES6_PlJNSB_9not_fun_tI7is_evenIyEEEEEE10hipError_tPvRmT3_T4_T5_T6_T7_T9_mT8_P12ihipStream_tbDpT10_ENKUlT_T0_E_clISt17integral_constantIbLb0EES17_IbLb1EEEEDaS13_S14_EUlS13_E_NS1_11comp_targetILNS1_3genE10ELNS1_11target_archE1200ELNS1_3gpuE4ELNS1_3repE0EEENS1_30default_config_static_selectorELNS0_4arch9wavefront6targetE0EEEvT1_,@function
_ZN7rocprim17ROCPRIM_400000_NS6detail17trampoline_kernelINS0_14default_configENS1_25partition_config_selectorILNS1_17partition_subalgoE6EyNS0_10empty_typeEbEEZZNS1_14partition_implILS5_6ELb0ES3_mN6thrust23THRUST_200600_302600_NS6detail15normal_iteratorINSA_10device_ptrIyEEEEPS6_SG_NS0_5tupleIJSF_S6_EEENSH_IJSG_SG_EEES6_PlJNSB_9not_fun_tI7is_evenIyEEEEEE10hipError_tPvRmT3_T4_T5_T6_T7_T9_mT8_P12ihipStream_tbDpT10_ENKUlT_T0_E_clISt17integral_constantIbLb0EES17_IbLb1EEEEDaS13_S14_EUlS13_E_NS1_11comp_targetILNS1_3genE10ELNS1_11target_archE1200ELNS1_3gpuE4ELNS1_3repE0EEENS1_30default_config_static_selectorELNS0_4arch9wavefront6targetE0EEEvT1_: ; @_ZN7rocprim17ROCPRIM_400000_NS6detail17trampoline_kernelINS0_14default_configENS1_25partition_config_selectorILNS1_17partition_subalgoE6EyNS0_10empty_typeEbEEZZNS1_14partition_implILS5_6ELb0ES3_mN6thrust23THRUST_200600_302600_NS6detail15normal_iteratorINSA_10device_ptrIyEEEEPS6_SG_NS0_5tupleIJSF_S6_EEENSH_IJSG_SG_EEES6_PlJNSB_9not_fun_tI7is_evenIyEEEEEE10hipError_tPvRmT3_T4_T5_T6_T7_T9_mT8_P12ihipStream_tbDpT10_ENKUlT_T0_E_clISt17integral_constantIbLb0EES17_IbLb1EEEEDaS13_S14_EUlS13_E_NS1_11comp_targetILNS1_3genE10ELNS1_11target_archE1200ELNS1_3gpuE4ELNS1_3repE0EEENS1_30default_config_static_selectorELNS0_4arch9wavefront6targetE0EEEvT1_
; %bb.0:
	s_clause 0x3
	s_load_b64 s[12:13], s[0:1], 0x28
	s_load_b128 s[4:7], s[0:1], 0x40
	s_load_b64 s[16:17], s[0:1], 0x50
	s_load_b64 s[14:15], s[0:1], 0x60
	v_cmp_eq_u32_e64 s2, 0, v0
	s_and_saveexec_b32 s3, s2
	s_cbranch_execz .LBB626_4
; %bb.1:
	s_mov_b32 s9, exec_lo
	s_mov_b32 s8, exec_lo
	v_mbcnt_lo_u32_b32 v1, s9, 0
                                        ; implicit-def: $vgpr2
	s_delay_alu instid0(VALU_DEP_1)
	v_cmpx_eq_u32_e32 0, v1
	s_cbranch_execz .LBB626_3
; %bb.2:
	s_load_b64 s[10:11], s[0:1], 0x70
	s_bcnt1_i32_b32 s9, s9
	s_wait_alu 0xfffe
	v_dual_mov_b32 v2, 0 :: v_dual_mov_b32 v3, s9
	s_wait_kmcnt 0x0
	global_atomic_add_u32 v2, v2, v3, s[10:11] th:TH_ATOMIC_RETURN scope:SCOPE_DEV
.LBB626_3:
	s_or_b32 exec_lo, exec_lo, s8
	s_wait_loadcnt 0x0
	v_readfirstlane_b32 s8, v2
	s_wait_alu 0xf1ff
	s_delay_alu instid0(VALU_DEP_1)
	v_dual_mov_b32 v2, 0 :: v_dual_add_nc_u32 v1, s8, v1
	ds_store_b32 v2, v1
.LBB626_4:
	s_or_b32 exec_lo, exec_lo, s3
	v_mov_b32_e32 v2, 0
	s_clause 0x1
	s_load_b128 s[8:11], s[0:1], 0x8
	s_load_b32 s0, s[0:1], 0x68
	s_wait_dscnt 0x0
	s_barrier_signal -1
	s_barrier_wait -1
	global_inv scope:SCOPE_SE
	ds_load_b32 v1, v2
	s_wait_loadcnt_dscnt 0x0
	s_barrier_signal -1
	s_barrier_wait -1
	global_inv scope:SCOPE_SE
	s_mov_b32 s1, 0
	v_lshrrev_b32_e32 v9, 2, v0
	v_or_b32_e32 v11, 0x200, v0
	v_or_b32_e32 v10, 0x300, v0
	s_wait_kmcnt 0x0
	s_lshl_b64 s[20:21], s[10:11], 3
	s_add_co_i32 s3, s0, -1
	s_lshl_b32 s0, s0, 10
	s_lshl_b32 s19, s3, 10
	s_add_nc_u64 s[8:9], s[8:9], s[20:21]
	v_readfirstlane_b32 s18, v1
	v_lshlrev_b32_e32 v1, 10, v1
	global_load_b64 v[17:18], v2, s[6:7]
	s_add_nc_u64 s[6:7], s[10:11], s[0:1]
	s_add_co_i32 s0, s10, s19
	v_cmp_le_u64_e64 s1, s[16:17], s[6:7]
	v_lshlrev_b64_e32 v[1:2], 3, v[1:2]
	s_cmp_eq_u32 s18, s3
	s_cselect_b32 s6, -1, 0
	s_wait_alu 0xfffe
	s_and_b32 s1, s1, s6
	s_delay_alu instid0(VALU_DEP_1) | instskip(NEXT) | instid1(VALU_DEP_1)
	v_add_co_u32 v12, vcc_lo, s8, v1
	v_add_co_ci_u32_e64 v13, null, s9, v2, vcc_lo
	s_xor_b32 s7, s1, -1
	s_mov_b32 s1, -1
	s_wait_alu 0xfffe
	s_and_b32 vcc_lo, exec_lo, s7
	s_wait_alu 0xfffe
	s_cbranch_vccz .LBB626_6
; %bb.5:
	v_lshlrev_b32_e32 v14, 3, v0
	v_or_b32_e32 v15, 0x100, v0
	v_lshrrev_b32_e32 v16, 2, v11
	v_lshrrev_b32_e32 v19, 2, v10
	v_and_b32_e32 v20, 56, v9
	v_add_co_u32 v1, vcc_lo, v12, v14
	s_wait_alu 0xfffd
	v_add_co_ci_u32_e64 v2, null, 0, v13, vcc_lo
	v_lshrrev_b32_e32 v15, 2, v15
	v_and_b32_e32 v16, 0xb8, v16
	v_and_b32_e32 v19, 0xf8, v19
	s_clause 0x3
	flat_load_b64 v[3:4], v[1:2]
	flat_load_b64 v[5:6], v[1:2] offset:2048
	flat_load_b64 v[7:8], v[1:2] offset:4096
	;; [unrolled: 1-line block ×3, first 2 shown]
	v_add_nc_u32_e32 v20, v20, v14
	v_and_b32_e32 v15, 0x78, v15
	v_add_nc_u32_e32 v16, v16, v14
	s_mov_b32 s1, 0
	s_delay_alu instid0(VALU_DEP_2)
	v_add_nc_u32_e32 v15, v15, v14
	v_add_nc_u32_e32 v14, v19, v14
	s_wait_loadcnt_dscnt 0x303
	ds_store_b64 v20, v[3:4]
	s_wait_loadcnt_dscnt 0x203
	ds_store_b64 v15, v[5:6] offset:2048
	s_wait_loadcnt_dscnt 0x103
	ds_store_b64 v16, v[7:8] offset:4096
	;; [unrolled: 2-line block ×3, first 2 shown]
	s_wait_dscnt 0x0
	s_barrier_signal -1
	s_barrier_wait -1
.LBB626_6:
	s_and_not1_b32 vcc_lo, exec_lo, s1
	s_sub_co_i32 s0, s16, s0
	s_wait_alu 0xfffe
	s_cbranch_vccnz .LBB626_14
; %bb.7:
	v_mov_b32_e32 v1, 0
	s_mov_b32 s1, exec_lo
	s_delay_alu instid0(VALU_DEP_1)
	v_dual_mov_b32 v2, v1 :: v_dual_mov_b32 v3, v1
	v_dual_mov_b32 v4, v1 :: v_dual_mov_b32 v5, v1
	;; [unrolled: 1-line block ×3, first 2 shown]
	v_mov_b32_e32 v8, v1
	v_cmpx_gt_u32_e64 s0, v0
	s_cbranch_execz .LBB626_9
; %bb.8:
	v_dual_mov_b32 v21, v1 :: v_dual_lshlrev_b32 v2, 3, v0
	v_dual_mov_b32 v22, v1 :: v_dual_mov_b32 v23, v1
	v_dual_mov_b32 v24, v1 :: v_dual_mov_b32 v25, v1
	s_delay_alu instid0(VALU_DEP_3)
	v_add_co_u32 v2, vcc_lo, v12, v2
	s_wait_alu 0xfffd
	v_add_co_ci_u32_e64 v3, null, 0, v13, vcc_lo
	v_mov_b32_e32 v26, v1
	flat_load_b64 v[19:20], v[2:3]
	s_wait_loadcnt_dscnt 0x0
	v_dual_mov_b32 v1, v19 :: v_dual_mov_b32 v2, v20
	v_dual_mov_b32 v3, v21 :: v_dual_mov_b32 v4, v22
	;; [unrolled: 1-line block ×4, first 2 shown]
.LBB626_9:
	s_or_b32 exec_lo, exec_lo, s1
	v_or_b32_e32 v14, 0x100, v0
	s_mov_b32 s1, exec_lo
	s_delay_alu instid0(VALU_DEP_1)
	v_cmpx_gt_u32_e64 s0, v14
	s_cbranch_execnz .LBB626_132
; %bb.10:
	s_wait_alu 0xfffe
	s_or_b32 exec_lo, exec_lo, s1
	s_delay_alu instid0(SALU_CYCLE_1)
	s_mov_b32 s1, exec_lo
	v_cmpx_gt_u32_e64 s0, v11
	s_cbranch_execnz .LBB626_133
.LBB626_11:
	s_wait_alu 0xfffe
	s_or_b32 exec_lo, exec_lo, s1
	s_delay_alu instid0(SALU_CYCLE_1)
	s_mov_b32 s1, exec_lo
	v_cmpx_gt_u32_e64 s0, v10
	s_cbranch_execz .LBB626_13
.LBB626_12:
	v_lshlrev_b32_e32 v7, 3, v0
	s_delay_alu instid0(VALU_DEP_1)
	v_add_co_u32 v7, vcc_lo, v12, v7
	s_wait_alu 0xfffd
	v_add_co_ci_u32_e64 v8, null, 0, v13, vcc_lo
	flat_load_b64 v[7:8], v[7:8] offset:6144
.LBB626_13:
	s_wait_alu 0xfffe
	s_or_b32 exec_lo, exec_lo, s1
	v_lshrrev_b32_e32 v12, 2, v14
	v_lshrrev_b32_e32 v11, 2, v11
	;; [unrolled: 1-line block ×3, first 2 shown]
	v_and_b32_e32 v9, 56, v9
	v_lshlrev_b32_e32 v13, 3, v0
	v_and_b32_e32 v12, 0x78, v12
	v_and_b32_e32 v11, 0xf8, v11
	;; [unrolled: 1-line block ×3, first 2 shown]
	s_delay_alu instid0(VALU_DEP_4) | instskip(NEXT) | instid1(VALU_DEP_4)
	v_add_nc_u32_e32 v9, v9, v13
	v_add_nc_u32_e32 v12, v12, v13
	s_delay_alu instid0(VALU_DEP_4) | instskip(NEXT) | instid1(VALU_DEP_4)
	v_add_nc_u32_e32 v11, v11, v13
	v_add_nc_u32_e32 v10, v10, v13
	ds_store_b64 v9, v[1:2]
	s_wait_loadcnt_dscnt 0x1
	ds_store_b64 v12, v[3:4] offset:2048
	ds_store_b64 v11, v[5:6] offset:4096
	ds_store_b64 v10, v[7:8] offset:6144
	s_wait_dscnt 0x0
	s_barrier_signal -1
	s_barrier_wait -1
.LBB626_14:
	v_and_b32_e32 v1, 0xf8, v0
	s_wait_loadcnt 0x0
	global_inv scope:SCOPE_SE
	s_and_not1_b32 vcc_lo, exec_lo, s7
	v_lshl_add_u32 v1, v0, 5, v1
	ds_load_2addr_b64 v[5:8], v1 offset1:1
	ds_load_2addr_b64 v[1:4], v1 offset0:2 offset1:3
	s_wait_loadcnt_dscnt 0x0
	s_barrier_signal -1
	s_barrier_wait -1
	global_inv scope:SCOPE_SE
	s_wait_alu 0xfffe
	s_cbranch_vccnz .LBB626_16
; %bb.15:
	v_and_b32_e32 v9, 1, v3
	v_and_b32_e32 v10, 1, v1
	;; [unrolled: 1-line block ×4, first 2 shown]
	s_delay_alu instid0(VALU_DEP_4) | instskip(NEXT) | instid1(VALU_DEP_1)
	v_lshlrev_b16 v9, 8, v9
	v_or_b32_e32 v28, v10, v9
	s_delay_alu instid0(VALU_DEP_4) | instskip(NEXT) | instid1(VALU_DEP_2)
	v_lshlrev_b16 v9, 8, v11
	v_lshlrev_b32_e32 v10, 16, v28
	s_delay_alu instid0(VALU_DEP_2) | instskip(SKIP_1) | instid1(VALU_DEP_3)
	v_and_b32_e32 v11, 0xffff, v9
	v_or_b32_e32 v30, v12, v9
	v_lshrrev_b32_e32 v27, 24, v10
	s_delay_alu instid0(VALU_DEP_3) | instskip(NEXT) | instid1(VALU_DEP_1)
	v_or_b32_e32 v11, v11, v10
	v_lshrrev_b32_e32 v29, 8, v11
	s_cbranch_execz .LBB626_17
	s_branch .LBB626_18
.LBB626_16:
                                        ; implicit-def: $vgpr30
                                        ; implicit-def: $vgpr29
                                        ; implicit-def: $vgpr28
                                        ; implicit-def: $vgpr27
.LBB626_17:
	v_lshlrev_b32_e32 v9, 2, v0
	s_delay_alu instid0(VALU_DEP_1)
	v_or_b32_e32 v10, 1, v9
	v_cmp_gt_u32_e32 vcc_lo, s0, v9
	v_or_b32_e32 v11, 2, v9
	v_or_b32_e32 v9, 3, v9
	s_wait_alu 0xfffd
	v_cndmask_b32_e64 v12, 0, 1, vcc_lo
	v_cmp_gt_u32_e32 vcc_lo, s0, v10
	s_delay_alu instid0(VALU_DEP_2) | instskip(SKIP_3) | instid1(VALU_DEP_2)
	v_and_b32_e32 v30, v12, v5
	s_wait_alu 0xfffd
	v_cndmask_b32_e64 v10, 0, 1, vcc_lo
	v_cmp_gt_u32_e32 vcc_lo, s0, v11
	v_and_b32_e32 v29, v10, v7
	s_wait_alu 0xfffd
	v_cndmask_b32_e64 v11, 0, 1, vcc_lo
	v_cmp_gt_u32_e32 vcc_lo, s0, v9
	s_delay_alu instid0(VALU_DEP_2) | instskip(SKIP_2) | instid1(VALU_DEP_1)
	v_and_b32_e32 v28, v11, v1
	s_wait_alu 0xfffd
	v_cndmask_b32_e64 v9, 0, 1, vcc_lo
	v_and_b32_e32 v27, v9, v3
.LBB626_18:
	v_dual_mov_b32 v10, 0 :: v_dual_and_b32 v33, 0xff, v30
	s_delay_alu instid0(VALU_DEP_2)
	v_and_b32_e32 v32, 0xff, v29
	v_and_b32_e32 v31, 0xff, v28
	v_mbcnt_lo_u32_b32 v34, -1, 0
	v_and_b32_e32 v9, 0xff, v27
	s_cmp_lg_u32 s18, 0
	s_mov_b32 s1, -1
	v_add3_u32 v11, v32, v33, v31
	v_and_b32_e32 v35, 15, v34
	s_delay_alu instid0(VALU_DEP_2) | instskip(SKIP_2) | instid1(VALU_DEP_3)
	v_add_co_u32 v19, s0, v11, v9
	s_wait_alu 0xf1ff
	v_add_co_ci_u32_e64 v20, null, 0, 0, s0
	v_cmp_ne_u32_e64 s0, 0, v35
	s_cbranch_scc0 .LBB626_75
; %bb.19:
	v_mov_b32_e32 v11, v19
	v_mov_b32_dpp v9, v19 row_shr:1 row_mask:0xf bank_mask:0xf
	v_mov_b32_dpp v14, v10 row_shr:1 row_mask:0xf bank_mask:0xf
	v_dual_mov_b32 v13, v19 :: v_dual_mov_b32 v12, v20
	s_and_saveexec_b32 s1, s0
; %bb.20:
	s_delay_alu instid0(VALU_DEP_3) | instskip(SKIP_2) | instid1(VALU_DEP_2)
	v_add_co_u32 v13, vcc_lo, v19, v9
	s_wait_alu 0xfffd
	v_add_co_ci_u32_e64 v10, null, 0, v20, vcc_lo
	v_add_co_u32 v9, vcc_lo, 0, v13
	s_wait_alu 0xfffd
	s_delay_alu instid0(VALU_DEP_2) | instskip(NEXT) | instid1(VALU_DEP_1)
	v_add_co_ci_u32_e64 v10, null, v14, v10, vcc_lo
	v_dual_mov_b32 v12, v10 :: v_dual_mov_b32 v11, v9
; %bb.21:
	s_wait_alu 0xfffe
	s_or_b32 exec_lo, exec_lo, s1
	v_mov_b32_dpp v9, v13 row_shr:2 row_mask:0xf bank_mask:0xf
	v_mov_b32_dpp v14, v10 row_shr:2 row_mask:0xf bank_mask:0xf
	s_mov_b32 s1, exec_lo
	v_cmpx_lt_u32_e32 1, v35
; %bb.22:
	s_delay_alu instid0(VALU_DEP_3) | instskip(SKIP_2) | instid1(VALU_DEP_2)
	v_add_co_u32 v13, vcc_lo, v11, v9
	s_wait_alu 0xfffd
	v_add_co_ci_u32_e64 v10, null, 0, v12, vcc_lo
	v_add_co_u32 v9, vcc_lo, 0, v13
	s_wait_alu 0xfffd
	s_delay_alu instid0(VALU_DEP_2) | instskip(NEXT) | instid1(VALU_DEP_1)
	v_add_co_ci_u32_e64 v10, null, v14, v10, vcc_lo
	v_dual_mov_b32 v12, v10 :: v_dual_mov_b32 v11, v9
; %bb.23:
	s_wait_alu 0xfffe
	s_or_b32 exec_lo, exec_lo, s1
	v_mov_b32_dpp v9, v13 row_shr:4 row_mask:0xf bank_mask:0xf
	v_mov_b32_dpp v14, v10 row_shr:4 row_mask:0xf bank_mask:0xf
	s_mov_b32 s1, exec_lo
	v_cmpx_lt_u32_e32 3, v35
	;; [unrolled: 17-line block ×3, first 2 shown]
; %bb.26:
	s_delay_alu instid0(VALU_DEP_3) | instskip(SKIP_2) | instid1(VALU_DEP_2)
	v_add_co_u32 v13, vcc_lo, v11, v14
	s_wait_alu 0xfffd
	v_add_co_ci_u32_e64 v10, null, 0, v12, vcc_lo
	v_add_co_u32 v11, vcc_lo, 0, v13
	s_wait_alu 0xfffd
	s_delay_alu instid0(VALU_DEP_2) | instskip(NEXT) | instid1(VALU_DEP_1)
	v_add_co_ci_u32_e64 v12, null, v9, v10, vcc_lo
	v_mov_b32_e32 v10, v12
; %bb.27:
	s_wait_alu 0xfffe
	s_or_b32 exec_lo, exec_lo, s1
	ds_swizzle_b32 v9, v13 offset:swizzle(BROADCAST,32,15)
	ds_swizzle_b32 v14, v10 offset:swizzle(BROADCAST,32,15)
	v_and_b32_e32 v15, 16, v34
	s_mov_b32 s1, exec_lo
	s_delay_alu instid0(VALU_DEP_1)
	v_cmpx_ne_u32_e32 0, v15
	s_cbranch_execz .LBB626_29
; %bb.28:
	s_wait_dscnt 0x1
	v_add_co_u32 v13, vcc_lo, v11, v9
	s_wait_alu 0xfffd
	v_add_co_ci_u32_e64 v10, null, 0, v12, vcc_lo
	s_delay_alu instid0(VALU_DEP_2) | instskip(SKIP_2) | instid1(VALU_DEP_2)
	v_add_co_u32 v9, vcc_lo, 0, v13
	s_wait_dscnt 0x0
	s_wait_alu 0xfffd
	v_add_co_ci_u32_e64 v10, null, v14, v10, vcc_lo
	s_delay_alu instid0(VALU_DEP_1)
	v_dual_mov_b32 v12, v10 :: v_dual_mov_b32 v11, v9
.LBB626_29:
	s_wait_alu 0xfffe
	s_or_b32 exec_lo, exec_lo, s1
	s_wait_dscnt 0x0
	v_or_b32_e32 v14, 31, v0
	v_lshrrev_b32_e32 v9, 5, v0
	s_mov_b32 s1, exec_lo
	s_delay_alu instid0(VALU_DEP_2)
	v_cmpx_eq_u32_e64 v0, v14
; %bb.30:
	s_delay_alu instid0(VALU_DEP_2)
	v_lshlrev_b32_e32 v14, 3, v9
	ds_store_b64 v14, v[11:12]
; %bb.31:
	s_wait_alu 0xfffe
	s_or_b32 exec_lo, exec_lo, s1
	s_delay_alu instid0(SALU_CYCLE_1)
	s_mov_b32 s1, exec_lo
	s_wait_loadcnt_dscnt 0x0
	s_barrier_signal -1
	s_barrier_wait -1
	global_inv scope:SCOPE_SE
	v_cmpx_gt_u32_e32 8, v0
	s_cbranch_execz .LBB626_39
; %bb.32:
	v_lshlrev_b32_e32 v14, 3, v0
	s_mov_b32 s3, exec_lo
	ds_load_b64 v[11:12], v14
	s_wait_dscnt 0x0
	v_dual_mov_b32 v16, v11 :: v_dual_and_b32 v15, 7, v34
	v_mov_b32_dpp v22, v11 row_shr:1 row_mask:0xf bank_mask:0xf
	v_mov_b32_dpp v21, v12 row_shr:1 row_mask:0xf bank_mask:0xf
	s_delay_alu instid0(VALU_DEP_3)
	v_cmpx_ne_u32_e32 0, v15
; %bb.33:
	s_delay_alu instid0(VALU_DEP_3) | instskip(SKIP_2) | instid1(VALU_DEP_2)
	v_add_co_u32 v16, vcc_lo, v11, v22
	s_wait_alu 0xfffd
	v_add_co_ci_u32_e64 v12, null, 0, v12, vcc_lo
	v_add_co_u32 v11, vcc_lo, 0, v16
	s_wait_alu 0xfffd
	s_delay_alu instid0(VALU_DEP_2)
	v_add_co_ci_u32_e64 v12, null, v21, v12, vcc_lo
; %bb.34:
	s_or_b32 exec_lo, exec_lo, s3
	v_mov_b32_dpp v22, v16 row_shr:2 row_mask:0xf bank_mask:0xf
	s_delay_alu instid0(VALU_DEP_2)
	v_mov_b32_dpp v21, v12 row_shr:2 row_mask:0xf bank_mask:0xf
	s_mov_b32 s3, exec_lo
	v_cmpx_lt_u32_e32 1, v15
; %bb.35:
	s_delay_alu instid0(VALU_DEP_3) | instskip(SKIP_2) | instid1(VALU_DEP_2)
	v_add_co_u32 v16, vcc_lo, v11, v22
	s_wait_alu 0xfffd
	v_add_co_ci_u32_e64 v12, null, 0, v12, vcc_lo
	v_add_co_u32 v11, vcc_lo, 0, v16
	s_wait_alu 0xfffd
	s_delay_alu instid0(VALU_DEP_2)
	v_add_co_ci_u32_e64 v12, null, v21, v12, vcc_lo
; %bb.36:
	s_or_b32 exec_lo, exec_lo, s3
	v_mov_b32_dpp v21, v16 row_shr:4 row_mask:0xf bank_mask:0xf
	s_delay_alu instid0(VALU_DEP_2)
	v_mov_b32_dpp v16, v12 row_shr:4 row_mask:0xf bank_mask:0xf
	s_mov_b32 s3, exec_lo
	v_cmpx_lt_u32_e32 3, v15
; %bb.37:
	s_delay_alu instid0(VALU_DEP_3) | instskip(SKIP_2) | instid1(VALU_DEP_2)
	v_add_co_u32 v11, vcc_lo, v11, v21
	s_wait_alu 0xfffd
	v_add_co_ci_u32_e64 v12, null, 0, v12, vcc_lo
	v_add_co_u32 v11, vcc_lo, v11, 0
	s_wait_alu 0xfffd
	s_delay_alu instid0(VALU_DEP_2)
	v_add_co_ci_u32_e64 v12, null, v12, v16, vcc_lo
; %bb.38:
	s_or_b32 exec_lo, exec_lo, s3
	ds_store_b64 v14, v[11:12]
.LBB626_39:
	s_wait_alu 0xfffe
	s_or_b32 exec_lo, exec_lo, s1
	s_delay_alu instid0(SALU_CYCLE_1)
	s_mov_b32 s3, exec_lo
	v_cmp_gt_u32_e32 vcc_lo, 32, v0
	s_wait_loadcnt_dscnt 0x0
	s_barrier_signal -1
	s_barrier_wait -1
	global_inv scope:SCOPE_SE
                                        ; implicit-def: $vgpr21_vgpr22
	v_cmpx_lt_u32_e32 31, v0
	s_cbranch_execz .LBB626_41
; %bb.40:
	v_lshl_add_u32 v9, v9, 3, -8
	ds_load_b64 v[21:22], v9
	s_wait_dscnt 0x0
	v_add_co_u32 v13, s1, v13, v21
	s_wait_alu 0xf1ff
	v_add_co_ci_u32_e64 v10, null, v10, v22, s1
.LBB626_41:
	s_or_b32 exec_lo, exec_lo, s3
	v_sub_co_u32 v9, s1, v34, 1
	s_delay_alu instid0(VALU_DEP_1) | instskip(NEXT) | instid1(VALU_DEP_1)
	v_cmp_gt_i32_e64 s3, 0, v9
	v_cndmask_b32_e64 v9, v9, v34, s3
	s_delay_alu instid0(VALU_DEP_1)
	v_lshlrev_b32_e32 v9, 2, v9
	ds_bpermute_b32 v36, v9, v13
	ds_bpermute_b32 v37, v9, v10
	s_and_saveexec_b32 s3, vcc_lo
	s_cbranch_execz .LBB626_80
; %bb.42:
	v_mov_b32_e32 v12, 0
	ds_load_b64 v[9:10], v12 offset:56
	s_and_saveexec_b32 s8, s1
	s_cbranch_execz .LBB626_44
; %bb.43:
	s_add_co_i32 s10, s18, 32
	s_mov_b32 s11, 0
	s_delay_alu instid0(SALU_CYCLE_1) | instskip(NEXT) | instid1(SALU_CYCLE_1)
	s_lshl_b64 s[10:11], s[10:11], 4
	s_add_nc_u64 s[10:11], s[14:15], s[10:11]
	s_delay_alu instid0(SALU_CYCLE_1)
	v_dual_mov_b32 v11, 1 :: v_dual_mov_b32 v14, s11
	v_mov_b32_e32 v13, s10
	s_wait_dscnt 0x0
	;;#ASMSTART
	global_store_b128 v[13:14], v[9:12] off scope:SCOPE_DEV	
s_wait_storecnt 0x0
	;;#ASMEND
.LBB626_44:
	s_wait_alu 0xfffe
	s_or_b32 exec_lo, exec_lo, s8
	v_xad_u32 v23, v34, -1, s18
	s_mov_b32 s9, 0
	s_mov_b32 s8, exec_lo
	s_delay_alu instid0(VALU_DEP_1) | instskip(NEXT) | instid1(VALU_DEP_1)
	v_add_nc_u32_e32 v11, 32, v23
	v_lshlrev_b64_e32 v[11:12], 4, v[11:12]
	s_delay_alu instid0(VALU_DEP_1) | instskip(SKIP_1) | instid1(VALU_DEP_2)
	v_add_co_u32 v11, vcc_lo, s14, v11
	s_wait_alu 0xfffd
	v_add_co_ci_u32_e64 v12, null, s15, v12, vcc_lo
	;;#ASMSTART
	global_load_b128 v[13:16], v[11:12] off scope:SCOPE_DEV	
s_wait_loadcnt 0x0
	;;#ASMEND
	v_and_b32_e32 v16, 0xff, v15
	s_delay_alu instid0(VALU_DEP_1)
	v_cmpx_eq_u16_e32 0, v16
	s_cbranch_execz .LBB626_47
.LBB626_45:                             ; =>This Inner Loop Header: Depth=1
	;;#ASMSTART
	global_load_b128 v[13:16], v[11:12] off scope:SCOPE_DEV	
s_wait_loadcnt 0x0
	;;#ASMEND
	v_and_b32_e32 v16, 0xff, v15
	s_delay_alu instid0(VALU_DEP_1)
	v_cmp_ne_u16_e32 vcc_lo, 0, v16
	s_wait_alu 0xfffe
	s_or_b32 s9, vcc_lo, s9
	s_wait_alu 0xfffe
	s_and_not1_b32 exec_lo, exec_lo, s9
	s_cbranch_execnz .LBB626_45
; %bb.46:
	s_or_b32 exec_lo, exec_lo, s9
.LBB626_47:
	s_wait_alu 0xfffe
	s_or_b32 exec_lo, exec_lo, s8
	v_cmp_ne_u32_e32 vcc_lo, 31, v34
	v_and_b32_e32 v12, 0xff, v15
	v_lshlrev_b32_e64 v39, v34, -1
	s_mov_b32 s8, exec_lo
	s_wait_alu 0xfffd
	v_add_co_ci_u32_e64 v11, null, 0, v34, vcc_lo
	v_cmp_eq_u16_e32 vcc_lo, 2, v12
	v_mov_b32_e32 v12, v13
	s_delay_alu instid0(VALU_DEP_3)
	v_lshlrev_b32_e32 v38, 2, v11
	s_wait_alu 0xfffd
	v_and_or_b32 v11, vcc_lo, v39, 0x80000000
	ds_bpermute_b32 v24, v38, v13
	ds_bpermute_b32 v16, v38, v14
	v_ctz_i32_b32_e32 v11, v11
	s_delay_alu instid0(VALU_DEP_1)
	v_cmpx_lt_u32_e64 v34, v11
	s_cbranch_execz .LBB626_49
; %bb.48:
	s_wait_dscnt 0x1
	v_add_co_u32 v12, vcc_lo, v13, v24
	s_wait_alu 0xfffd
	v_add_co_ci_u32_e64 v14, null, 0, v14, vcc_lo
	s_delay_alu instid0(VALU_DEP_2) | instskip(SKIP_2) | instid1(VALU_DEP_2)
	v_add_co_u32 v13, vcc_lo, 0, v12
	s_wait_dscnt 0x0
	s_wait_alu 0xfffd
	v_add_co_ci_u32_e64 v14, null, v16, v14, vcc_lo
.LBB626_49:
	s_wait_alu 0xfffe
	s_or_b32 exec_lo, exec_lo, s8
	v_cmp_gt_u32_e32 vcc_lo, 30, v34
	v_add_nc_u32_e32 v41, 2, v34
	s_mov_b32 s8, exec_lo
	s_wait_dscnt 0x0
	s_wait_alu 0xfffd
	v_cndmask_b32_e64 v16, 0, 2, vcc_lo
	s_delay_alu instid0(VALU_DEP_1)
	v_add_lshl_u32 v40, v16, v34, 2
	ds_bpermute_b32 v24, v40, v12
	ds_bpermute_b32 v16, v40, v14
	v_cmpx_le_u32_e64 v41, v11
	s_cbranch_execz .LBB626_51
; %bb.50:
	s_wait_dscnt 0x1
	v_add_co_u32 v12, vcc_lo, v13, v24
	s_wait_alu 0xfffd
	v_add_co_ci_u32_e64 v14, null, 0, v14, vcc_lo
	s_delay_alu instid0(VALU_DEP_2) | instskip(SKIP_2) | instid1(VALU_DEP_2)
	v_add_co_u32 v13, vcc_lo, 0, v12
	s_wait_dscnt 0x0
	s_wait_alu 0xfffd
	v_add_co_ci_u32_e64 v14, null, v16, v14, vcc_lo
.LBB626_51:
	s_wait_alu 0xfffe
	s_or_b32 exec_lo, exec_lo, s8
	v_cmp_gt_u32_e32 vcc_lo, 28, v34
	v_add_nc_u32_e32 v43, 4, v34
	s_mov_b32 s8, exec_lo
	s_wait_dscnt 0x0
	s_wait_alu 0xfffd
	v_cndmask_b32_e64 v16, 0, 4, vcc_lo
	s_delay_alu instid0(VALU_DEP_1)
	v_add_lshl_u32 v42, v16, v34, 2
	ds_bpermute_b32 v24, v42, v12
	ds_bpermute_b32 v16, v42, v14
	v_cmpx_le_u32_e64 v43, v11
	;; [unrolled: 25-line block ×3, first 2 shown]
	s_cbranch_execz .LBB626_55
; %bb.54:
	s_wait_dscnt 0x1
	v_add_co_u32 v12, vcc_lo, v13, v24
	s_wait_alu 0xfffd
	v_add_co_ci_u32_e64 v14, null, 0, v14, vcc_lo
	s_delay_alu instid0(VALU_DEP_2) | instskip(SKIP_2) | instid1(VALU_DEP_2)
	v_add_co_u32 v13, vcc_lo, 0, v12
	s_wait_dscnt 0x0
	s_wait_alu 0xfffd
	v_add_co_ci_u32_e64 v14, null, v16, v14, vcc_lo
.LBB626_55:
	s_wait_alu 0xfffe
	s_or_b32 exec_lo, exec_lo, s8
	v_lshl_or_b32 v46, v34, 2, 64
	v_add_nc_u32_e32 v47, 16, v34
	s_mov_b32 s8, exec_lo
	s_wait_dscnt 0x0
	ds_bpermute_b32 v16, v46, v12
	ds_bpermute_b32 v12, v46, v14
	v_cmpx_le_u32_e64 v47, v11
	s_cbranch_execz .LBB626_57
; %bb.56:
	s_wait_dscnt 0x1
	v_add_co_u32 v11, vcc_lo, v13, v16
	s_wait_alu 0xfffd
	v_add_co_ci_u32_e64 v14, null, 0, v14, vcc_lo
	s_delay_alu instid0(VALU_DEP_2) | instskip(SKIP_2) | instid1(VALU_DEP_2)
	v_add_co_u32 v13, vcc_lo, v11, 0
	s_wait_dscnt 0x0
	s_wait_alu 0xfffd
	v_add_co_ci_u32_e64 v14, null, v14, v12, vcc_lo
.LBB626_57:
	s_wait_alu 0xfffe
	s_or_b32 exec_lo, exec_lo, s8
	v_mov_b32_e32 v24, 0
	s_branch .LBB626_60
.LBB626_58:                             ;   in Loop: Header=BB626_60 Depth=1
	s_wait_alu 0xfffe
	s_or_b32 exec_lo, exec_lo, s8
	v_add_co_u32 v13, vcc_lo, v13, v11
	v_subrev_nc_u32_e32 v23, 32, v23
	s_wait_alu 0xfffd
	v_add_co_ci_u32_e64 v14, null, v14, v12, vcc_lo
	s_mov_b32 s8, 0
.LBB626_59:                             ;   in Loop: Header=BB626_60 Depth=1
	s_wait_alu 0xfffe
	s_and_b32 vcc_lo, exec_lo, s8
	s_wait_alu 0xfffe
	s_cbranch_vccnz .LBB626_76
.LBB626_60:                             ; =>This Loop Header: Depth=1
                                        ;     Child Loop BB626_63 Depth 2
	v_and_b32_e32 v11, 0xff, v15
	s_mov_b32 s8, -1
	s_delay_alu instid0(VALU_DEP_1)
	v_cmp_ne_u16_e32 vcc_lo, 2, v11
	s_wait_dscnt 0x0
	v_dual_mov_b32 v11, v13 :: v_dual_mov_b32 v12, v14
                                        ; implicit-def: $vgpr13_vgpr14
	s_cmp_lg_u32 vcc_lo, exec_lo
	s_cbranch_scc1 .LBB626_59
; %bb.61:                               ;   in Loop: Header=BB626_60 Depth=1
	v_lshlrev_b64_e32 v[13:14], 4, v[23:24]
	s_mov_b32 s8, exec_lo
	s_delay_alu instid0(VALU_DEP_1) | instskip(SKIP_1) | instid1(VALU_DEP_2)
	v_add_co_u32 v25, vcc_lo, s14, v13
	s_wait_alu 0xfffd
	v_add_co_ci_u32_e64 v26, null, s15, v14, vcc_lo
	;;#ASMSTART
	global_load_b128 v[13:16], v[25:26] off scope:SCOPE_DEV	
s_wait_loadcnt 0x0
	;;#ASMEND
	v_and_b32_e32 v16, 0xff, v15
	s_delay_alu instid0(VALU_DEP_1)
	v_cmpx_eq_u16_e32 0, v16
	s_cbranch_execz .LBB626_65
; %bb.62:                               ;   in Loop: Header=BB626_60 Depth=1
	s_mov_b32 s9, 0
.LBB626_63:                             ;   Parent Loop BB626_60 Depth=1
                                        ; =>  This Inner Loop Header: Depth=2
	;;#ASMSTART
	global_load_b128 v[13:16], v[25:26] off scope:SCOPE_DEV	
s_wait_loadcnt 0x0
	;;#ASMEND
	v_and_b32_e32 v16, 0xff, v15
	s_delay_alu instid0(VALU_DEP_1)
	v_cmp_ne_u16_e32 vcc_lo, 0, v16
	s_wait_alu 0xfffe
	s_or_b32 s9, vcc_lo, s9
	s_wait_alu 0xfffe
	s_and_not1_b32 exec_lo, exec_lo, s9
	s_cbranch_execnz .LBB626_63
; %bb.64:                               ;   in Loop: Header=BB626_60 Depth=1
	s_or_b32 exec_lo, exec_lo, s9
.LBB626_65:                             ;   in Loop: Header=BB626_60 Depth=1
	s_wait_alu 0xfffe
	s_or_b32 exec_lo, exec_lo, s8
	v_dual_mov_b32 v25, v13 :: v_dual_and_b32 v16, 0xff, v15
	ds_bpermute_b32 v48, v38, v13
	ds_bpermute_b32 v26, v38, v14
	s_mov_b32 s8, exec_lo
	v_cmp_eq_u16_e32 vcc_lo, 2, v16
	s_wait_alu 0xfffd
	v_and_or_b32 v16, vcc_lo, v39, 0x80000000
	s_delay_alu instid0(VALU_DEP_1) | instskip(NEXT) | instid1(VALU_DEP_1)
	v_ctz_i32_b32_e32 v16, v16
	v_cmpx_lt_u32_e64 v34, v16
	s_cbranch_execz .LBB626_67
; %bb.66:                               ;   in Loop: Header=BB626_60 Depth=1
	s_wait_dscnt 0x1
	v_add_co_u32 v25, vcc_lo, v13, v48
	s_wait_alu 0xfffd
	v_add_co_ci_u32_e64 v14, null, 0, v14, vcc_lo
	s_delay_alu instid0(VALU_DEP_2) | instskip(SKIP_2) | instid1(VALU_DEP_2)
	v_add_co_u32 v13, vcc_lo, 0, v25
	s_wait_dscnt 0x0
	s_wait_alu 0xfffd
	v_add_co_ci_u32_e64 v14, null, v26, v14, vcc_lo
.LBB626_67:                             ;   in Loop: Header=BB626_60 Depth=1
	s_wait_alu 0xfffe
	s_or_b32 exec_lo, exec_lo, s8
	s_wait_dscnt 0x1
	ds_bpermute_b32 v48, v40, v25
	s_wait_dscnt 0x1
	ds_bpermute_b32 v26, v40, v14
	s_mov_b32 s8, exec_lo
	v_cmpx_le_u32_e64 v41, v16
	s_cbranch_execz .LBB626_69
; %bb.68:                               ;   in Loop: Header=BB626_60 Depth=1
	s_wait_dscnt 0x1
	v_add_co_u32 v25, vcc_lo, v13, v48
	s_wait_alu 0xfffd
	v_add_co_ci_u32_e64 v14, null, 0, v14, vcc_lo
	s_delay_alu instid0(VALU_DEP_2) | instskip(SKIP_2) | instid1(VALU_DEP_2)
	v_add_co_u32 v13, vcc_lo, 0, v25
	s_wait_dscnt 0x0
	s_wait_alu 0xfffd
	v_add_co_ci_u32_e64 v14, null, v26, v14, vcc_lo
.LBB626_69:                             ;   in Loop: Header=BB626_60 Depth=1
	s_wait_alu 0xfffe
	s_or_b32 exec_lo, exec_lo, s8
	s_wait_dscnt 0x1
	ds_bpermute_b32 v48, v42, v25
	s_wait_dscnt 0x1
	ds_bpermute_b32 v26, v42, v14
	s_mov_b32 s8, exec_lo
	v_cmpx_le_u32_e64 v43, v16
	;; [unrolled: 20-line block ×3, first 2 shown]
	s_cbranch_execz .LBB626_73
; %bb.72:                               ;   in Loop: Header=BB626_60 Depth=1
	s_wait_dscnt 0x1
	v_add_co_u32 v25, vcc_lo, v13, v48
	s_wait_alu 0xfffd
	v_add_co_ci_u32_e64 v14, null, 0, v14, vcc_lo
	s_delay_alu instid0(VALU_DEP_2) | instskip(SKIP_2) | instid1(VALU_DEP_2)
	v_add_co_u32 v13, vcc_lo, 0, v25
	s_wait_dscnt 0x0
	s_wait_alu 0xfffd
	v_add_co_ci_u32_e64 v14, null, v26, v14, vcc_lo
.LBB626_73:                             ;   in Loop: Header=BB626_60 Depth=1
	s_wait_alu 0xfffe
	s_or_b32 exec_lo, exec_lo, s8
	s_wait_dscnt 0x0
	ds_bpermute_b32 v26, v46, v25
	ds_bpermute_b32 v25, v46, v14
	s_mov_b32 s8, exec_lo
	v_cmpx_le_u32_e64 v47, v16
	s_cbranch_execz .LBB626_58
; %bb.74:                               ;   in Loop: Header=BB626_60 Depth=1
	s_wait_dscnt 0x1
	v_add_co_u32 v13, vcc_lo, v13, v26
	s_wait_alu 0xfffd
	v_add_co_ci_u32_e64 v14, null, 0, v14, vcc_lo
	s_delay_alu instid0(VALU_DEP_2) | instskip(SKIP_2) | instid1(VALU_DEP_2)
	v_add_co_u32 v13, vcc_lo, v13, 0
	s_wait_dscnt 0x0
	s_wait_alu 0xfffd
	v_add_co_ci_u32_e64 v14, null, v14, v25, vcc_lo
	s_branch .LBB626_58
.LBB626_75:
                                        ; implicit-def: $vgpr15_vgpr16
                                        ; implicit-def: $vgpr13_vgpr14
                                        ; implicit-def: $vgpr21_vgpr22
                                        ; implicit-def: $vgpr23_vgpr24
                                        ; implicit-def: $vgpr11_vgpr12
	s_wait_alu 0xfffe
	s_and_b32 vcc_lo, exec_lo, s1
	s_wait_alu 0xfffe
	s_cbranch_vccnz .LBB626_81
	s_branch .LBB626_106
.LBB626_76:
	s_and_saveexec_b32 s8, s1
	s_cbranch_execz .LBB626_78
; %bb.77:
	s_add_co_i32 s10, s18, 32
	s_mov_b32 s11, 0
	v_add_co_u32 v13, vcc_lo, v11, v9
	s_wait_alu 0xfffe
	s_lshl_b64 s[10:11], s[10:11], 4
	v_dual_mov_b32 v15, 2 :: v_dual_mov_b32 v16, 0
	s_wait_alu 0xfffe
	s_add_nc_u64 s[10:11], s[14:15], s[10:11]
	s_wait_alu 0xfffd
	v_add_co_ci_u32_e64 v14, null, v12, v10, vcc_lo
	s_wait_alu 0xfffe
	v_dual_mov_b32 v24, s11 :: v_dual_mov_b32 v23, s10
	;;#ASMSTART
	global_store_b128 v[23:24], v[13:16] off scope:SCOPE_DEV	
s_wait_storecnt 0x0
	;;#ASMEND
	ds_store_b128 v16, v[9:12] offset:8448
.LBB626_78:
	s_wait_alu 0xfffe
	s_or_b32 exec_lo, exec_lo, s8
	s_delay_alu instid0(SALU_CYCLE_1)
	s_and_b32 exec_lo, exec_lo, s2
; %bb.79:
	v_mov_b32_e32 v9, 0
	ds_store_b64 v9, v[11:12] offset:56
.LBB626_80:
	s_wait_alu 0xfffe
	s_or_b32 exec_lo, exec_lo, s3
	v_mov_b32_e32 v9, 0
	s_wait_loadcnt_dscnt 0x0
	s_barrier_signal -1
	s_barrier_wait -1
	global_inv scope:SCOPE_SE
	ds_load_b64 v[13:14], v9 offset:56
	v_cndmask_b32_e64 v11, v36, v21, s1
	v_cndmask_b32_e64 v10, v37, v22, s1
	s_wait_loadcnt_dscnt 0x0
	s_barrier_signal -1
	s_barrier_wait -1
	v_cndmask_b32_e64 v16, v11, 0, s2
	v_cndmask_b32_e64 v15, v10, 0, s2
	global_inv scope:SCOPE_SE
	ds_load_b128 v[9:12], v9 offset:8448
	v_add_co_u32 v23, vcc_lo, v13, v16
	s_wait_alu 0xfffd
	v_add_co_ci_u32_e64 v24, null, v14, v15, vcc_lo
	s_delay_alu instid0(VALU_DEP_2) | instskip(SKIP_1) | instid1(VALU_DEP_2)
	v_add_co_u32 v21, vcc_lo, v23, v33
	s_wait_alu 0xfffd
	v_add_co_ci_u32_e64 v22, null, 0, v24, vcc_lo
	s_delay_alu instid0(VALU_DEP_2) | instskip(SKIP_1) | instid1(VALU_DEP_2)
	;; [unrolled: 4-line block ×3, first 2 shown]
	v_add_co_u32 v15, vcc_lo, v13, v31
	s_wait_alu 0xfffd
	v_add_co_ci_u32_e64 v16, null, 0, v14, vcc_lo
	s_branch .LBB626_106
.LBB626_81:
	s_wait_dscnt 0x0
	v_dual_mov_b32 v10, 0 :: v_dual_mov_b32 v11, v19
	v_mov_b32_dpp v12, v19 row_shr:1 row_mask:0xf bank_mask:0xf
	s_delay_alu instid0(VALU_DEP_2)
	v_mov_b32_dpp v9, v10 row_shr:1 row_mask:0xf bank_mask:0xf
	s_and_saveexec_b32 s1, s0
; %bb.82:
	s_delay_alu instid0(VALU_DEP_2) | instskip(SKIP_2) | instid1(VALU_DEP_2)
	v_add_co_u32 v11, vcc_lo, v19, v12
	s_wait_alu 0xfffd
	v_add_co_ci_u32_e64 v10, null, 0, v20, vcc_lo
	v_add_co_u32 v19, vcc_lo, 0, v11
	s_wait_alu 0xfffd
	s_delay_alu instid0(VALU_DEP_2) | instskip(NEXT) | instid1(VALU_DEP_1)
	v_add_co_ci_u32_e64 v20, null, v9, v10, vcc_lo
	v_mov_b32_e32 v10, v20
; %bb.83:
	s_wait_alu 0xfffe
	s_or_b32 exec_lo, exec_lo, s1
	v_mov_b32_dpp v9, v11 row_shr:2 row_mask:0xf bank_mask:0xf
	s_delay_alu instid0(VALU_DEP_2)
	v_mov_b32_dpp v12, v10 row_shr:2 row_mask:0xf bank_mask:0xf
	s_mov_b32 s0, exec_lo
	v_cmpx_lt_u32_e32 1, v35
; %bb.84:
	s_delay_alu instid0(VALU_DEP_3) | instskip(SKIP_2) | instid1(VALU_DEP_2)
	v_add_co_u32 v11, vcc_lo, v19, v9
	s_wait_alu 0xfffd
	v_add_co_ci_u32_e64 v10, null, 0, v20, vcc_lo
	v_add_co_u32 v9, vcc_lo, 0, v11
	s_wait_alu 0xfffd
	s_delay_alu instid0(VALU_DEP_2) | instskip(NEXT) | instid1(VALU_DEP_1)
	v_add_co_ci_u32_e64 v10, null, v12, v10, vcc_lo
	v_dual_mov_b32 v20, v10 :: v_dual_mov_b32 v19, v9
; %bb.85:
	s_wait_alu 0xfffe
	s_or_b32 exec_lo, exec_lo, s0
	v_mov_b32_dpp v9, v11 row_shr:4 row_mask:0xf bank_mask:0xf
	v_mov_b32_dpp v12, v10 row_shr:4 row_mask:0xf bank_mask:0xf
	s_mov_b32 s0, exec_lo
	v_cmpx_lt_u32_e32 3, v35
; %bb.86:
	s_delay_alu instid0(VALU_DEP_3) | instskip(SKIP_2) | instid1(VALU_DEP_2)
	v_add_co_u32 v11, vcc_lo, v19, v9
	s_wait_alu 0xfffd
	v_add_co_ci_u32_e64 v10, null, 0, v20, vcc_lo
	v_add_co_u32 v9, vcc_lo, 0, v11
	s_wait_alu 0xfffd
	s_delay_alu instid0(VALU_DEP_2) | instskip(NEXT) | instid1(VALU_DEP_1)
	v_add_co_ci_u32_e64 v10, null, v12, v10, vcc_lo
	v_dual_mov_b32 v20, v10 :: v_dual_mov_b32 v19, v9
; %bb.87:
	s_wait_alu 0xfffe
	s_or_b32 exec_lo, exec_lo, s0
	v_mov_b32_dpp v12, v11 row_shr:8 row_mask:0xf bank_mask:0xf
	v_mov_b32_dpp v9, v10 row_shr:8 row_mask:0xf bank_mask:0xf
	s_mov_b32 s0, exec_lo
	v_cmpx_lt_u32_e32 7, v35
; %bb.88:
	s_delay_alu instid0(VALU_DEP_3) | instskip(SKIP_2) | instid1(VALU_DEP_2)
	v_add_co_u32 v11, vcc_lo, v19, v12
	s_wait_alu 0xfffd
	v_add_co_ci_u32_e64 v10, null, 0, v20, vcc_lo
	v_add_co_u32 v19, vcc_lo, 0, v11
	s_wait_alu 0xfffd
	s_delay_alu instid0(VALU_DEP_2) | instskip(NEXT) | instid1(VALU_DEP_1)
	v_add_co_ci_u32_e64 v20, null, v9, v10, vcc_lo
	v_mov_b32_e32 v10, v20
; %bb.89:
	s_wait_alu 0xfffe
	s_or_b32 exec_lo, exec_lo, s0
	ds_swizzle_b32 v11, v11 offset:swizzle(BROADCAST,32,15)
	ds_swizzle_b32 v9, v10 offset:swizzle(BROADCAST,32,15)
	v_and_b32_e32 v10, 16, v34
	s_mov_b32 s0, exec_lo
	s_delay_alu instid0(VALU_DEP_1)
	v_cmpx_ne_u32_e32 0, v10
	s_cbranch_execz .LBB626_91
; %bb.90:
	s_wait_dscnt 0x1
	v_add_co_u32 v10, vcc_lo, v19, v11
	s_wait_alu 0xfffd
	v_add_co_ci_u32_e64 v11, null, 0, v20, vcc_lo
	s_delay_alu instid0(VALU_DEP_2) | instskip(SKIP_2) | instid1(VALU_DEP_2)
	v_add_co_u32 v19, vcc_lo, v10, 0
	s_wait_dscnt 0x0
	s_wait_alu 0xfffd
	v_add_co_ci_u32_e64 v20, null, v11, v9, vcc_lo
.LBB626_91:
	s_wait_alu 0xfffe
	s_or_b32 exec_lo, exec_lo, s0
	s_wait_dscnt 0x0
	v_or_b32_e32 v9, 31, v0
	v_lshrrev_b32_e32 v11, 5, v0
	s_mov_b32 s0, exec_lo
	s_delay_alu instid0(VALU_DEP_2)
	v_cmpx_eq_u32_e64 v0, v9
; %bb.92:
	s_delay_alu instid0(VALU_DEP_2)
	v_lshlrev_b32_e32 v9, 3, v11
	ds_store_b64 v9, v[19:20]
; %bb.93:
	s_wait_alu 0xfffe
	s_or_b32 exec_lo, exec_lo, s0
	s_delay_alu instid0(SALU_CYCLE_1)
	s_mov_b32 s0, exec_lo
	s_wait_loadcnt_dscnt 0x0
	s_barrier_signal -1
	s_barrier_wait -1
	global_inv scope:SCOPE_SE
	v_cmpx_gt_u32_e32 8, v0
	s_cbranch_execz .LBB626_101
; %bb.94:
	v_lshlrev_b32_e32 v12, 3, v0
	s_mov_b32 s1, exec_lo
	ds_load_b64 v[9:10], v12
	s_wait_dscnt 0x0
	v_dual_mov_b32 v14, v9 :: v_dual_and_b32 v13, 7, v34
	v_mov_b32_dpp v16, v9 row_shr:1 row_mask:0xf bank_mask:0xf
	v_mov_b32_dpp v15, v10 row_shr:1 row_mask:0xf bank_mask:0xf
	s_delay_alu instid0(VALU_DEP_3)
	v_cmpx_ne_u32_e32 0, v13
; %bb.95:
	s_delay_alu instid0(VALU_DEP_3) | instskip(SKIP_2) | instid1(VALU_DEP_2)
	v_add_co_u32 v14, vcc_lo, v9, v16
	s_wait_alu 0xfffd
	v_add_co_ci_u32_e64 v10, null, 0, v10, vcc_lo
	v_add_co_u32 v9, vcc_lo, 0, v14
	s_wait_alu 0xfffd
	s_delay_alu instid0(VALU_DEP_2)
	v_add_co_ci_u32_e64 v10, null, v15, v10, vcc_lo
; %bb.96:
	s_wait_alu 0xfffe
	s_or_b32 exec_lo, exec_lo, s1
	v_mov_b32_dpp v16, v14 row_shr:2 row_mask:0xf bank_mask:0xf
	s_delay_alu instid0(VALU_DEP_2)
	v_mov_b32_dpp v15, v10 row_shr:2 row_mask:0xf bank_mask:0xf
	s_mov_b32 s1, exec_lo
	v_cmpx_lt_u32_e32 1, v13
; %bb.97:
	s_delay_alu instid0(VALU_DEP_3) | instskip(SKIP_2) | instid1(VALU_DEP_2)
	v_add_co_u32 v14, vcc_lo, v9, v16
	s_wait_alu 0xfffd
	v_add_co_ci_u32_e64 v10, null, 0, v10, vcc_lo
	v_add_co_u32 v9, vcc_lo, 0, v14
	s_wait_alu 0xfffd
	s_delay_alu instid0(VALU_DEP_2)
	v_add_co_ci_u32_e64 v10, null, v15, v10, vcc_lo
; %bb.98:
	s_wait_alu 0xfffe
	s_or_b32 exec_lo, exec_lo, s1
	v_mov_b32_dpp v15, v14 row_shr:4 row_mask:0xf bank_mask:0xf
	s_delay_alu instid0(VALU_DEP_2)
	v_mov_b32_dpp v14, v10 row_shr:4 row_mask:0xf bank_mask:0xf
	s_mov_b32 s1, exec_lo
	v_cmpx_lt_u32_e32 3, v13
; %bb.99:
	s_delay_alu instid0(VALU_DEP_3) | instskip(SKIP_2) | instid1(VALU_DEP_2)
	v_add_co_u32 v9, vcc_lo, v9, v15
	s_wait_alu 0xfffd
	v_add_co_ci_u32_e64 v10, null, 0, v10, vcc_lo
	v_add_co_u32 v9, vcc_lo, v9, 0
	s_wait_alu 0xfffd
	s_delay_alu instid0(VALU_DEP_2)
	v_add_co_ci_u32_e64 v10, null, v10, v14, vcc_lo
; %bb.100:
	s_wait_alu 0xfffe
	s_or_b32 exec_lo, exec_lo, s1
	ds_store_b64 v12, v[9:10]
.LBB626_101:
	s_wait_alu 0xfffe
	s_or_b32 exec_lo, exec_lo, s0
	v_mov_b32_e32 v13, 0
	v_mov_b32_e32 v14, 0
	s_mov_b32 s0, exec_lo
	s_wait_loadcnt_dscnt 0x0
	s_barrier_signal -1
	s_barrier_wait -1
	global_inv scope:SCOPE_SE
	v_cmpx_lt_u32_e32 31, v0
; %bb.102:
	v_lshl_add_u32 v9, v11, 3, -8
	ds_load_b64 v[13:14], v9
; %bb.103:
	s_wait_alu 0xfffe
	s_or_b32 exec_lo, exec_lo, s0
	v_sub_co_u32 v9, vcc_lo, v34, 1
	v_mov_b32_e32 v12, 0
	s_delay_alu instid0(VALU_DEP_2) | instskip(SKIP_1) | instid1(VALU_DEP_1)
	v_cmp_gt_i32_e64 s0, 0, v9
	s_wait_alu 0xf1ff
	v_cndmask_b32_e64 v9, v9, v34, s0
	s_wait_dscnt 0x0
	v_add_co_u32 v10, s0, v13, v19
	s_wait_alu 0xf1ff
	v_add_co_ci_u32_e64 v11, null, v14, v20, s0
	v_lshlrev_b32_e32 v9, 2, v9
	ds_bpermute_b32 v15, v9, v10
	ds_bpermute_b32 v16, v9, v11
	ds_load_b64 v[9:10], v12 offset:56
	s_and_saveexec_b32 s0, s2
	s_cbranch_execz .LBB626_105
; %bb.104:
	s_add_nc_u64 s[8:9], s[14:15], 0x200
	s_wait_alu 0xfffe
	v_dual_mov_b32 v11, 2 :: v_dual_mov_b32 v20, s9
	v_mov_b32_e32 v19, s8
	s_wait_dscnt 0x0
	;;#ASMSTART
	global_store_b128 v[19:20], v[9:12] off scope:SCOPE_DEV	
s_wait_storecnt 0x0
	;;#ASMEND
.LBB626_105:
	s_wait_alu 0xfffe
	s_or_b32 exec_lo, exec_lo, s0
	s_wait_dscnt 0x1
	s_wait_alu 0xfffd
	v_dual_cndmask_b32 v11, v15, v13 :: v_dual_cndmask_b32 v12, v16, v14
	s_wait_loadcnt_dscnt 0x0
	s_barrier_signal -1
	s_barrier_wait -1
	s_delay_alu instid0(VALU_DEP_1)
	v_cndmask_b32_e64 v23, v11, 0, s2
	v_cndmask_b32_e64 v24, v12, 0, s2
	v_mov_b32_e32 v11, 0
	v_mov_b32_e32 v12, 0
	global_inv scope:SCOPE_SE
	v_add_co_u32 v21, vcc_lo, v23, v33
	s_wait_alu 0xfffd
	v_add_co_ci_u32_e64 v22, null, 0, v24, vcc_lo
	s_delay_alu instid0(VALU_DEP_2) | instskip(SKIP_1) | instid1(VALU_DEP_2)
	v_add_co_u32 v13, vcc_lo, v21, v32
	s_wait_alu 0xfffd
	v_add_co_ci_u32_e64 v14, null, 0, v22, vcc_lo
	s_delay_alu instid0(VALU_DEP_2) | instskip(SKIP_1) | instid1(VALU_DEP_2)
	v_add_co_u32 v15, vcc_lo, v13, v31
	s_wait_alu 0xfffd
	v_add_co_ci_u32_e64 v16, null, 0, v14, vcc_lo
.LBB626_106:
	v_and_b32_e32 v25, 1, v30
	s_wait_dscnt 0x0
	v_cmp_gt_u64_e32 vcc_lo, 0x101, v[9:10]
	s_mov_b32 s1, -1
	s_delay_alu instid0(VALU_DEP_2)
	v_cmp_eq_u32_e64 s0, 1, v25
	s_cbranch_vccnz .LBB626_110
; %bb.107:
	s_wait_alu 0xfffe
	s_and_b32 vcc_lo, exec_lo, s1
	s_wait_alu 0xfffe
	s_cbranch_vccnz .LBB626_119
.LBB626_108:
	s_and_b32 s0, s2, s6
	s_wait_alu 0xfffe
	s_and_saveexec_b32 s1, s0
	s_cbranch_execnz .LBB626_131
.LBB626_109:
	s_endpgm
.LBB626_110:
	v_add_co_u32 v19, vcc_lo, v11, v9
	s_wait_alu 0xfffd
	v_add_co_ci_u32_e64 v20, null, v12, v10, vcc_lo
	v_lshlrev_b64_e32 v[30:31], 3, v[17:18]
	s_delay_alu instid0(VALU_DEP_2) | instskip(NEXT) | instid1(VALU_DEP_2)
	v_cmp_lt_u64_e32 vcc_lo, v[23:24], v[19:20]
	v_add_co_u32 v26, s1, s12, v30
	s_wait_alu 0xf1fe
	s_delay_alu instid0(VALU_DEP_3)
	v_add_co_ci_u32_e64 v30, null, s13, v31, s1
	s_or_b32 s1, s7, vcc_lo
	s_wait_alu 0xfffe
	s_and_b32 s1, s1, s0
	s_wait_alu 0xfffe
	s_and_saveexec_b32 s0, s1
	s_cbranch_execz .LBB626_112
; %bb.111:
	v_lshlrev_b64_e32 v[31:32], 3, v[23:24]
	s_delay_alu instid0(VALU_DEP_1) | instskip(SKIP_1) | instid1(VALU_DEP_2)
	v_add_co_u32 v31, vcc_lo, v26, v31
	s_wait_alu 0xfffd
	v_add_co_ci_u32_e64 v32, null, v30, v32, vcc_lo
	global_store_b64 v[31:32], v[5:6], off
.LBB626_112:
	s_wait_alu 0xfffe
	s_or_b32 exec_lo, exec_lo, s0
	v_and_b32_e32 v24, 1, v29
	v_cmp_lt_u64_e32 vcc_lo, v[21:22], v[19:20]
	s_delay_alu instid0(VALU_DEP_2)
	v_cmp_eq_u32_e64 s0, 1, v24
	s_or_b32 s1, s7, vcc_lo
	s_wait_alu 0xfffe
	s_and_b32 s1, s1, s0
	s_wait_alu 0xfffe
	s_and_saveexec_b32 s0, s1
	s_cbranch_execz .LBB626_114
; %bb.113:
	v_lshlrev_b64_e32 v[31:32], 3, v[21:22]
	s_delay_alu instid0(VALU_DEP_1) | instskip(SKIP_1) | instid1(VALU_DEP_2)
	v_add_co_u32 v31, vcc_lo, v26, v31
	s_wait_alu 0xfffd
	v_add_co_ci_u32_e64 v32, null, v30, v32, vcc_lo
	global_store_b64 v[31:32], v[7:8], off
.LBB626_114:
	s_wait_alu 0xfffe
	s_or_b32 exec_lo, exec_lo, s0
	v_and_b32_e32 v22, 1, v28
	v_cmp_lt_u64_e32 vcc_lo, v[13:14], v[19:20]
	s_delay_alu instid0(VALU_DEP_2)
	v_cmp_eq_u32_e64 s0, 1, v22
	;; [unrolled: 20-line block ×3, first 2 shown]
	s_or_b32 s1, s7, vcc_lo
	s_wait_alu 0xfffe
	s_and_b32 s1, s1, s0
	s_wait_alu 0xfffe
	s_and_saveexec_b32 s0, s1
	s_cbranch_execz .LBB626_118
; %bb.117:
	v_lshlrev_b64_e32 v[19:20], 3, v[15:16]
	s_delay_alu instid0(VALU_DEP_1) | instskip(SKIP_1) | instid1(VALU_DEP_2)
	v_add_co_u32 v19, vcc_lo, v26, v19
	s_wait_alu 0xfffd
	v_add_co_ci_u32_e64 v20, null, v30, v20, vcc_lo
	global_store_b64 v[19:20], v[3:4], off
.LBB626_118:
	s_wait_alu 0xfffe
	s_or_b32 exec_lo, exec_lo, s0
	s_branch .LBB626_108
.LBB626_119:
	s_mov_b32 s0, exec_lo
	v_cmpx_eq_u32_e32 1, v25
; %bb.120:
	v_sub_nc_u32_e32 v14, v23, v11
	s_delay_alu instid0(VALU_DEP_1)
	v_lshlrev_b32_e32 v14, 3, v14
	ds_store_b64 v14, v[5:6]
; %bb.121:
	s_wait_alu 0xfffe
	s_or_b32 exec_lo, exec_lo, s0
	v_and_b32_e32 v5, 1, v29
	s_mov_b32 s0, exec_lo
	s_delay_alu instid0(VALU_DEP_1)
	v_cmpx_eq_u32_e32 1, v5
; %bb.122:
	v_sub_nc_u32_e32 v5, v21, v11
	s_delay_alu instid0(VALU_DEP_1)
	v_lshlrev_b32_e32 v5, 3, v5
	ds_store_b64 v5, v[7:8]
; %bb.123:
	s_wait_alu 0xfffe
	s_or_b32 exec_lo, exec_lo, s0
	v_and_b32_e32 v5, 1, v28
	s_mov_b32 s0, exec_lo
	s_delay_alu instid0(VALU_DEP_1)
	;; [unrolled: 12-line block ×3, first 2 shown]
	v_cmpx_eq_u32_e32 1, v1
; %bb.126:
	v_sub_nc_u32_e32 v1, v15, v11
	s_delay_alu instid0(VALU_DEP_1)
	v_lshlrev_b32_e32 v1, 3, v1
	ds_store_b64 v1, v[3:4]
; %bb.127:
	s_wait_alu 0xfffe
	s_or_b32 exec_lo, exec_lo, s0
	v_mov_b32_e32 v1, 0
	s_mov_b32 s1, exec_lo
	s_wait_storecnt 0x0
	s_wait_loadcnt_dscnt 0x0
	s_barrier_signal -1
	s_barrier_wait -1
	global_inv scope:SCOPE_SE
	v_cmpx_gt_u64_e64 v[9:10], v[0:1]
	s_cbranch_execz .LBB626_130
; %bb.128:
	v_lshlrev_b64_e32 v[2:3], 3, v[17:18]
	v_lshlrev_b64_e32 v[4:5], 3, v[11:12]
	s_mov_b32 s3, 0
	s_delay_alu instid0(VALU_DEP_2) | instskip(SKIP_1) | instid1(VALU_DEP_3)
	v_add_co_u32 v6, vcc_lo, s12, v2
	s_wait_alu 0xfffd
	v_add_co_ci_u32_e64 v7, null, s13, v3, vcc_lo
	v_dual_mov_b32 v3, v1 :: v_dual_mov_b32 v2, v0
	s_delay_alu instid0(VALU_DEP_3) | instskip(SKIP_1) | instid1(VALU_DEP_3)
	v_add_co_u32 v4, vcc_lo, v6, v4
	s_wait_alu 0xfffd
	v_add_co_ci_u32_e64 v5, null, v7, v5, vcc_lo
	v_or_b32_e32 v0, 0x100, v0
.LBB626_129:                            ; =>This Inner Loop Header: Depth=1
	v_lshlrev_b32_e32 v6, 3, v2
	v_lshlrev_b64_e32 v[13:14], 3, v[2:3]
	v_mov_b32_e32 v3, v1
	s_delay_alu instid0(VALU_DEP_4)
	v_cmp_le_u64_e32 vcc_lo, v[9:10], v[0:1]
	v_mov_b32_e32 v2, v0
	ds_load_b64 v[6:7], v6
	v_add_nc_u32_e32 v0, 0x100, v0
	v_add_co_u32 v13, s0, v4, v13
	s_wait_alu 0xf1ff
	v_add_co_ci_u32_e64 v14, null, v5, v14, s0
	s_wait_alu 0xfffe
	s_or_b32 s3, vcc_lo, s3
	s_wait_dscnt 0x0
	global_store_b64 v[13:14], v[6:7], off
	s_wait_alu 0xfffe
	s_and_not1_b32 exec_lo, exec_lo, s3
	s_cbranch_execnz .LBB626_129
.LBB626_130:
	s_wait_alu 0xfffe
	s_or_b32 exec_lo, exec_lo, s1
	s_and_b32 s0, s2, s6
	s_wait_alu 0xfffe
	s_and_saveexec_b32 s1, s0
	s_cbranch_execz .LBB626_109
.LBB626_131:
	v_add_co_u32 v0, vcc_lo, v11, v9
	s_wait_alu 0xfffd
	v_add_co_ci_u32_e64 v1, null, v12, v10, vcc_lo
	v_mov_b32_e32 v2, 0
	s_delay_alu instid0(VALU_DEP_3) | instskip(SKIP_1) | instid1(VALU_DEP_3)
	v_add_co_u32 v0, vcc_lo, v0, v17
	s_wait_alu 0xfffd
	v_add_co_ci_u32_e64 v1, null, v1, v18, vcc_lo
	global_store_b64 v2, v[0:1], s[4:5]
	s_endpgm
.LBB626_132:
	v_lshlrev_b32_e32 v3, 3, v0
	s_delay_alu instid0(VALU_DEP_1)
	v_add_co_u32 v3, vcc_lo, v12, v3
	s_wait_alu 0xfffd
	v_add_co_ci_u32_e64 v4, null, 0, v13, vcc_lo
	flat_load_b64 v[3:4], v[3:4] offset:2048
	s_wait_alu 0xfffe
	s_or_b32 exec_lo, exec_lo, s1
	s_delay_alu instid0(SALU_CYCLE_1)
	s_mov_b32 s1, exec_lo
	v_cmpx_gt_u32_e64 s0, v11
	s_cbranch_execz .LBB626_11
.LBB626_133:
	v_lshlrev_b32_e32 v5, 3, v0
	s_delay_alu instid0(VALU_DEP_1)
	v_add_co_u32 v5, vcc_lo, v12, v5
	s_wait_alu 0xfffd
	v_add_co_ci_u32_e64 v6, null, 0, v13, vcc_lo
	flat_load_b64 v[5:6], v[5:6] offset:4096
	s_wait_alu 0xfffe
	s_or_b32 exec_lo, exec_lo, s1
	s_delay_alu instid0(SALU_CYCLE_1)
	s_mov_b32 s1, exec_lo
	v_cmpx_gt_u32_e64 s0, v10
	s_cbranch_execnz .LBB626_12
	s_branch .LBB626_13
	.section	.rodata,"a",@progbits
	.p2align	6, 0x0
	.amdhsa_kernel _ZN7rocprim17ROCPRIM_400000_NS6detail17trampoline_kernelINS0_14default_configENS1_25partition_config_selectorILNS1_17partition_subalgoE6EyNS0_10empty_typeEbEEZZNS1_14partition_implILS5_6ELb0ES3_mN6thrust23THRUST_200600_302600_NS6detail15normal_iteratorINSA_10device_ptrIyEEEEPS6_SG_NS0_5tupleIJSF_S6_EEENSH_IJSG_SG_EEES6_PlJNSB_9not_fun_tI7is_evenIyEEEEEE10hipError_tPvRmT3_T4_T5_T6_T7_T9_mT8_P12ihipStream_tbDpT10_ENKUlT_T0_E_clISt17integral_constantIbLb0EES17_IbLb1EEEEDaS13_S14_EUlS13_E_NS1_11comp_targetILNS1_3genE10ELNS1_11target_archE1200ELNS1_3gpuE4ELNS1_3repE0EEENS1_30default_config_static_selectorELNS0_4arch9wavefront6targetE0EEEvT1_
		.amdhsa_group_segment_fixed_size 8464
		.amdhsa_private_segment_fixed_size 0
		.amdhsa_kernarg_size 128
		.amdhsa_user_sgpr_count 2
		.amdhsa_user_sgpr_dispatch_ptr 0
		.amdhsa_user_sgpr_queue_ptr 0
		.amdhsa_user_sgpr_kernarg_segment_ptr 1
		.amdhsa_user_sgpr_dispatch_id 0
		.amdhsa_user_sgpr_private_segment_size 0
		.amdhsa_wavefront_size32 1
		.amdhsa_uses_dynamic_stack 0
		.amdhsa_enable_private_segment 0
		.amdhsa_system_sgpr_workgroup_id_x 1
		.amdhsa_system_sgpr_workgroup_id_y 0
		.amdhsa_system_sgpr_workgroup_id_z 0
		.amdhsa_system_sgpr_workgroup_info 0
		.amdhsa_system_vgpr_workitem_id 0
		.amdhsa_next_free_vgpr 49
		.amdhsa_next_free_sgpr 22
		.amdhsa_reserve_vcc 1
		.amdhsa_float_round_mode_32 0
		.amdhsa_float_round_mode_16_64 0
		.amdhsa_float_denorm_mode_32 3
		.amdhsa_float_denorm_mode_16_64 3
		.amdhsa_fp16_overflow 0
		.amdhsa_workgroup_processor_mode 1
		.amdhsa_memory_ordered 1
		.amdhsa_forward_progress 1
		.amdhsa_inst_pref_size 52
		.amdhsa_round_robin_scheduling 0
		.amdhsa_exception_fp_ieee_invalid_op 0
		.amdhsa_exception_fp_denorm_src 0
		.amdhsa_exception_fp_ieee_div_zero 0
		.amdhsa_exception_fp_ieee_overflow 0
		.amdhsa_exception_fp_ieee_underflow 0
		.amdhsa_exception_fp_ieee_inexact 0
		.amdhsa_exception_int_div_zero 0
	.end_amdhsa_kernel
	.section	.text._ZN7rocprim17ROCPRIM_400000_NS6detail17trampoline_kernelINS0_14default_configENS1_25partition_config_selectorILNS1_17partition_subalgoE6EyNS0_10empty_typeEbEEZZNS1_14partition_implILS5_6ELb0ES3_mN6thrust23THRUST_200600_302600_NS6detail15normal_iteratorINSA_10device_ptrIyEEEEPS6_SG_NS0_5tupleIJSF_S6_EEENSH_IJSG_SG_EEES6_PlJNSB_9not_fun_tI7is_evenIyEEEEEE10hipError_tPvRmT3_T4_T5_T6_T7_T9_mT8_P12ihipStream_tbDpT10_ENKUlT_T0_E_clISt17integral_constantIbLb0EES17_IbLb1EEEEDaS13_S14_EUlS13_E_NS1_11comp_targetILNS1_3genE10ELNS1_11target_archE1200ELNS1_3gpuE4ELNS1_3repE0EEENS1_30default_config_static_selectorELNS0_4arch9wavefront6targetE0EEEvT1_,"axG",@progbits,_ZN7rocprim17ROCPRIM_400000_NS6detail17trampoline_kernelINS0_14default_configENS1_25partition_config_selectorILNS1_17partition_subalgoE6EyNS0_10empty_typeEbEEZZNS1_14partition_implILS5_6ELb0ES3_mN6thrust23THRUST_200600_302600_NS6detail15normal_iteratorINSA_10device_ptrIyEEEEPS6_SG_NS0_5tupleIJSF_S6_EEENSH_IJSG_SG_EEES6_PlJNSB_9not_fun_tI7is_evenIyEEEEEE10hipError_tPvRmT3_T4_T5_T6_T7_T9_mT8_P12ihipStream_tbDpT10_ENKUlT_T0_E_clISt17integral_constantIbLb0EES17_IbLb1EEEEDaS13_S14_EUlS13_E_NS1_11comp_targetILNS1_3genE10ELNS1_11target_archE1200ELNS1_3gpuE4ELNS1_3repE0EEENS1_30default_config_static_selectorELNS0_4arch9wavefront6targetE0EEEvT1_,comdat
.Lfunc_end626:
	.size	_ZN7rocprim17ROCPRIM_400000_NS6detail17trampoline_kernelINS0_14default_configENS1_25partition_config_selectorILNS1_17partition_subalgoE6EyNS0_10empty_typeEbEEZZNS1_14partition_implILS5_6ELb0ES3_mN6thrust23THRUST_200600_302600_NS6detail15normal_iteratorINSA_10device_ptrIyEEEEPS6_SG_NS0_5tupleIJSF_S6_EEENSH_IJSG_SG_EEES6_PlJNSB_9not_fun_tI7is_evenIyEEEEEE10hipError_tPvRmT3_T4_T5_T6_T7_T9_mT8_P12ihipStream_tbDpT10_ENKUlT_T0_E_clISt17integral_constantIbLb0EES17_IbLb1EEEEDaS13_S14_EUlS13_E_NS1_11comp_targetILNS1_3genE10ELNS1_11target_archE1200ELNS1_3gpuE4ELNS1_3repE0EEENS1_30default_config_static_selectorELNS0_4arch9wavefront6targetE0EEEvT1_, .Lfunc_end626-_ZN7rocprim17ROCPRIM_400000_NS6detail17trampoline_kernelINS0_14default_configENS1_25partition_config_selectorILNS1_17partition_subalgoE6EyNS0_10empty_typeEbEEZZNS1_14partition_implILS5_6ELb0ES3_mN6thrust23THRUST_200600_302600_NS6detail15normal_iteratorINSA_10device_ptrIyEEEEPS6_SG_NS0_5tupleIJSF_S6_EEENSH_IJSG_SG_EEES6_PlJNSB_9not_fun_tI7is_evenIyEEEEEE10hipError_tPvRmT3_T4_T5_T6_T7_T9_mT8_P12ihipStream_tbDpT10_ENKUlT_T0_E_clISt17integral_constantIbLb0EES17_IbLb1EEEEDaS13_S14_EUlS13_E_NS1_11comp_targetILNS1_3genE10ELNS1_11target_archE1200ELNS1_3gpuE4ELNS1_3repE0EEENS1_30default_config_static_selectorELNS0_4arch9wavefront6targetE0EEEvT1_
                                        ; -- End function
	.set _ZN7rocprim17ROCPRIM_400000_NS6detail17trampoline_kernelINS0_14default_configENS1_25partition_config_selectorILNS1_17partition_subalgoE6EyNS0_10empty_typeEbEEZZNS1_14partition_implILS5_6ELb0ES3_mN6thrust23THRUST_200600_302600_NS6detail15normal_iteratorINSA_10device_ptrIyEEEEPS6_SG_NS0_5tupleIJSF_S6_EEENSH_IJSG_SG_EEES6_PlJNSB_9not_fun_tI7is_evenIyEEEEEE10hipError_tPvRmT3_T4_T5_T6_T7_T9_mT8_P12ihipStream_tbDpT10_ENKUlT_T0_E_clISt17integral_constantIbLb0EES17_IbLb1EEEEDaS13_S14_EUlS13_E_NS1_11comp_targetILNS1_3genE10ELNS1_11target_archE1200ELNS1_3gpuE4ELNS1_3repE0EEENS1_30default_config_static_selectorELNS0_4arch9wavefront6targetE0EEEvT1_.num_vgpr, 49
	.set _ZN7rocprim17ROCPRIM_400000_NS6detail17trampoline_kernelINS0_14default_configENS1_25partition_config_selectorILNS1_17partition_subalgoE6EyNS0_10empty_typeEbEEZZNS1_14partition_implILS5_6ELb0ES3_mN6thrust23THRUST_200600_302600_NS6detail15normal_iteratorINSA_10device_ptrIyEEEEPS6_SG_NS0_5tupleIJSF_S6_EEENSH_IJSG_SG_EEES6_PlJNSB_9not_fun_tI7is_evenIyEEEEEE10hipError_tPvRmT3_T4_T5_T6_T7_T9_mT8_P12ihipStream_tbDpT10_ENKUlT_T0_E_clISt17integral_constantIbLb0EES17_IbLb1EEEEDaS13_S14_EUlS13_E_NS1_11comp_targetILNS1_3genE10ELNS1_11target_archE1200ELNS1_3gpuE4ELNS1_3repE0EEENS1_30default_config_static_selectorELNS0_4arch9wavefront6targetE0EEEvT1_.num_agpr, 0
	.set _ZN7rocprim17ROCPRIM_400000_NS6detail17trampoline_kernelINS0_14default_configENS1_25partition_config_selectorILNS1_17partition_subalgoE6EyNS0_10empty_typeEbEEZZNS1_14partition_implILS5_6ELb0ES3_mN6thrust23THRUST_200600_302600_NS6detail15normal_iteratorINSA_10device_ptrIyEEEEPS6_SG_NS0_5tupleIJSF_S6_EEENSH_IJSG_SG_EEES6_PlJNSB_9not_fun_tI7is_evenIyEEEEEE10hipError_tPvRmT3_T4_T5_T6_T7_T9_mT8_P12ihipStream_tbDpT10_ENKUlT_T0_E_clISt17integral_constantIbLb0EES17_IbLb1EEEEDaS13_S14_EUlS13_E_NS1_11comp_targetILNS1_3genE10ELNS1_11target_archE1200ELNS1_3gpuE4ELNS1_3repE0EEENS1_30default_config_static_selectorELNS0_4arch9wavefront6targetE0EEEvT1_.numbered_sgpr, 22
	.set _ZN7rocprim17ROCPRIM_400000_NS6detail17trampoline_kernelINS0_14default_configENS1_25partition_config_selectorILNS1_17partition_subalgoE6EyNS0_10empty_typeEbEEZZNS1_14partition_implILS5_6ELb0ES3_mN6thrust23THRUST_200600_302600_NS6detail15normal_iteratorINSA_10device_ptrIyEEEEPS6_SG_NS0_5tupleIJSF_S6_EEENSH_IJSG_SG_EEES6_PlJNSB_9not_fun_tI7is_evenIyEEEEEE10hipError_tPvRmT3_T4_T5_T6_T7_T9_mT8_P12ihipStream_tbDpT10_ENKUlT_T0_E_clISt17integral_constantIbLb0EES17_IbLb1EEEEDaS13_S14_EUlS13_E_NS1_11comp_targetILNS1_3genE10ELNS1_11target_archE1200ELNS1_3gpuE4ELNS1_3repE0EEENS1_30default_config_static_selectorELNS0_4arch9wavefront6targetE0EEEvT1_.num_named_barrier, 0
	.set _ZN7rocprim17ROCPRIM_400000_NS6detail17trampoline_kernelINS0_14default_configENS1_25partition_config_selectorILNS1_17partition_subalgoE6EyNS0_10empty_typeEbEEZZNS1_14partition_implILS5_6ELb0ES3_mN6thrust23THRUST_200600_302600_NS6detail15normal_iteratorINSA_10device_ptrIyEEEEPS6_SG_NS0_5tupleIJSF_S6_EEENSH_IJSG_SG_EEES6_PlJNSB_9not_fun_tI7is_evenIyEEEEEE10hipError_tPvRmT3_T4_T5_T6_T7_T9_mT8_P12ihipStream_tbDpT10_ENKUlT_T0_E_clISt17integral_constantIbLb0EES17_IbLb1EEEEDaS13_S14_EUlS13_E_NS1_11comp_targetILNS1_3genE10ELNS1_11target_archE1200ELNS1_3gpuE4ELNS1_3repE0EEENS1_30default_config_static_selectorELNS0_4arch9wavefront6targetE0EEEvT1_.private_seg_size, 0
	.set _ZN7rocprim17ROCPRIM_400000_NS6detail17trampoline_kernelINS0_14default_configENS1_25partition_config_selectorILNS1_17partition_subalgoE6EyNS0_10empty_typeEbEEZZNS1_14partition_implILS5_6ELb0ES3_mN6thrust23THRUST_200600_302600_NS6detail15normal_iteratorINSA_10device_ptrIyEEEEPS6_SG_NS0_5tupleIJSF_S6_EEENSH_IJSG_SG_EEES6_PlJNSB_9not_fun_tI7is_evenIyEEEEEE10hipError_tPvRmT3_T4_T5_T6_T7_T9_mT8_P12ihipStream_tbDpT10_ENKUlT_T0_E_clISt17integral_constantIbLb0EES17_IbLb1EEEEDaS13_S14_EUlS13_E_NS1_11comp_targetILNS1_3genE10ELNS1_11target_archE1200ELNS1_3gpuE4ELNS1_3repE0EEENS1_30default_config_static_selectorELNS0_4arch9wavefront6targetE0EEEvT1_.uses_vcc, 1
	.set _ZN7rocprim17ROCPRIM_400000_NS6detail17trampoline_kernelINS0_14default_configENS1_25partition_config_selectorILNS1_17partition_subalgoE6EyNS0_10empty_typeEbEEZZNS1_14partition_implILS5_6ELb0ES3_mN6thrust23THRUST_200600_302600_NS6detail15normal_iteratorINSA_10device_ptrIyEEEEPS6_SG_NS0_5tupleIJSF_S6_EEENSH_IJSG_SG_EEES6_PlJNSB_9not_fun_tI7is_evenIyEEEEEE10hipError_tPvRmT3_T4_T5_T6_T7_T9_mT8_P12ihipStream_tbDpT10_ENKUlT_T0_E_clISt17integral_constantIbLb0EES17_IbLb1EEEEDaS13_S14_EUlS13_E_NS1_11comp_targetILNS1_3genE10ELNS1_11target_archE1200ELNS1_3gpuE4ELNS1_3repE0EEENS1_30default_config_static_selectorELNS0_4arch9wavefront6targetE0EEEvT1_.uses_flat_scratch, 1
	.set _ZN7rocprim17ROCPRIM_400000_NS6detail17trampoline_kernelINS0_14default_configENS1_25partition_config_selectorILNS1_17partition_subalgoE6EyNS0_10empty_typeEbEEZZNS1_14partition_implILS5_6ELb0ES3_mN6thrust23THRUST_200600_302600_NS6detail15normal_iteratorINSA_10device_ptrIyEEEEPS6_SG_NS0_5tupleIJSF_S6_EEENSH_IJSG_SG_EEES6_PlJNSB_9not_fun_tI7is_evenIyEEEEEE10hipError_tPvRmT3_T4_T5_T6_T7_T9_mT8_P12ihipStream_tbDpT10_ENKUlT_T0_E_clISt17integral_constantIbLb0EES17_IbLb1EEEEDaS13_S14_EUlS13_E_NS1_11comp_targetILNS1_3genE10ELNS1_11target_archE1200ELNS1_3gpuE4ELNS1_3repE0EEENS1_30default_config_static_selectorELNS0_4arch9wavefront6targetE0EEEvT1_.has_dyn_sized_stack, 0
	.set _ZN7rocprim17ROCPRIM_400000_NS6detail17trampoline_kernelINS0_14default_configENS1_25partition_config_selectorILNS1_17partition_subalgoE6EyNS0_10empty_typeEbEEZZNS1_14partition_implILS5_6ELb0ES3_mN6thrust23THRUST_200600_302600_NS6detail15normal_iteratorINSA_10device_ptrIyEEEEPS6_SG_NS0_5tupleIJSF_S6_EEENSH_IJSG_SG_EEES6_PlJNSB_9not_fun_tI7is_evenIyEEEEEE10hipError_tPvRmT3_T4_T5_T6_T7_T9_mT8_P12ihipStream_tbDpT10_ENKUlT_T0_E_clISt17integral_constantIbLb0EES17_IbLb1EEEEDaS13_S14_EUlS13_E_NS1_11comp_targetILNS1_3genE10ELNS1_11target_archE1200ELNS1_3gpuE4ELNS1_3repE0EEENS1_30default_config_static_selectorELNS0_4arch9wavefront6targetE0EEEvT1_.has_recursion, 0
	.set _ZN7rocprim17ROCPRIM_400000_NS6detail17trampoline_kernelINS0_14default_configENS1_25partition_config_selectorILNS1_17partition_subalgoE6EyNS0_10empty_typeEbEEZZNS1_14partition_implILS5_6ELb0ES3_mN6thrust23THRUST_200600_302600_NS6detail15normal_iteratorINSA_10device_ptrIyEEEEPS6_SG_NS0_5tupleIJSF_S6_EEENSH_IJSG_SG_EEES6_PlJNSB_9not_fun_tI7is_evenIyEEEEEE10hipError_tPvRmT3_T4_T5_T6_T7_T9_mT8_P12ihipStream_tbDpT10_ENKUlT_T0_E_clISt17integral_constantIbLb0EES17_IbLb1EEEEDaS13_S14_EUlS13_E_NS1_11comp_targetILNS1_3genE10ELNS1_11target_archE1200ELNS1_3gpuE4ELNS1_3repE0EEENS1_30default_config_static_selectorELNS0_4arch9wavefront6targetE0EEEvT1_.has_indirect_call, 0
	.section	.AMDGPU.csdata,"",@progbits
; Kernel info:
; codeLenInByte = 6556
; TotalNumSgprs: 24
; NumVgprs: 49
; ScratchSize: 0
; MemoryBound: 0
; FloatMode: 240
; IeeeMode: 1
; LDSByteSize: 8464 bytes/workgroup (compile time only)
; SGPRBlocks: 0
; VGPRBlocks: 6
; NumSGPRsForWavesPerEU: 24
; NumVGPRsForWavesPerEU: 49
; Occupancy: 16
; WaveLimiterHint : 1
; COMPUTE_PGM_RSRC2:SCRATCH_EN: 0
; COMPUTE_PGM_RSRC2:USER_SGPR: 2
; COMPUTE_PGM_RSRC2:TRAP_HANDLER: 0
; COMPUTE_PGM_RSRC2:TGID_X_EN: 1
; COMPUTE_PGM_RSRC2:TGID_Y_EN: 0
; COMPUTE_PGM_RSRC2:TGID_Z_EN: 0
; COMPUTE_PGM_RSRC2:TIDIG_COMP_CNT: 0
	.section	.text._ZN7rocprim17ROCPRIM_400000_NS6detail17trampoline_kernelINS0_14default_configENS1_25partition_config_selectorILNS1_17partition_subalgoE6EyNS0_10empty_typeEbEEZZNS1_14partition_implILS5_6ELb0ES3_mN6thrust23THRUST_200600_302600_NS6detail15normal_iteratorINSA_10device_ptrIyEEEEPS6_SG_NS0_5tupleIJSF_S6_EEENSH_IJSG_SG_EEES6_PlJNSB_9not_fun_tI7is_evenIyEEEEEE10hipError_tPvRmT3_T4_T5_T6_T7_T9_mT8_P12ihipStream_tbDpT10_ENKUlT_T0_E_clISt17integral_constantIbLb0EES17_IbLb1EEEEDaS13_S14_EUlS13_E_NS1_11comp_targetILNS1_3genE9ELNS1_11target_archE1100ELNS1_3gpuE3ELNS1_3repE0EEENS1_30default_config_static_selectorELNS0_4arch9wavefront6targetE0EEEvT1_,"axG",@progbits,_ZN7rocprim17ROCPRIM_400000_NS6detail17trampoline_kernelINS0_14default_configENS1_25partition_config_selectorILNS1_17partition_subalgoE6EyNS0_10empty_typeEbEEZZNS1_14partition_implILS5_6ELb0ES3_mN6thrust23THRUST_200600_302600_NS6detail15normal_iteratorINSA_10device_ptrIyEEEEPS6_SG_NS0_5tupleIJSF_S6_EEENSH_IJSG_SG_EEES6_PlJNSB_9not_fun_tI7is_evenIyEEEEEE10hipError_tPvRmT3_T4_T5_T6_T7_T9_mT8_P12ihipStream_tbDpT10_ENKUlT_T0_E_clISt17integral_constantIbLb0EES17_IbLb1EEEEDaS13_S14_EUlS13_E_NS1_11comp_targetILNS1_3genE9ELNS1_11target_archE1100ELNS1_3gpuE3ELNS1_3repE0EEENS1_30default_config_static_selectorELNS0_4arch9wavefront6targetE0EEEvT1_,comdat
	.protected	_ZN7rocprim17ROCPRIM_400000_NS6detail17trampoline_kernelINS0_14default_configENS1_25partition_config_selectorILNS1_17partition_subalgoE6EyNS0_10empty_typeEbEEZZNS1_14partition_implILS5_6ELb0ES3_mN6thrust23THRUST_200600_302600_NS6detail15normal_iteratorINSA_10device_ptrIyEEEEPS6_SG_NS0_5tupleIJSF_S6_EEENSH_IJSG_SG_EEES6_PlJNSB_9not_fun_tI7is_evenIyEEEEEE10hipError_tPvRmT3_T4_T5_T6_T7_T9_mT8_P12ihipStream_tbDpT10_ENKUlT_T0_E_clISt17integral_constantIbLb0EES17_IbLb1EEEEDaS13_S14_EUlS13_E_NS1_11comp_targetILNS1_3genE9ELNS1_11target_archE1100ELNS1_3gpuE3ELNS1_3repE0EEENS1_30default_config_static_selectorELNS0_4arch9wavefront6targetE0EEEvT1_ ; -- Begin function _ZN7rocprim17ROCPRIM_400000_NS6detail17trampoline_kernelINS0_14default_configENS1_25partition_config_selectorILNS1_17partition_subalgoE6EyNS0_10empty_typeEbEEZZNS1_14partition_implILS5_6ELb0ES3_mN6thrust23THRUST_200600_302600_NS6detail15normal_iteratorINSA_10device_ptrIyEEEEPS6_SG_NS0_5tupleIJSF_S6_EEENSH_IJSG_SG_EEES6_PlJNSB_9not_fun_tI7is_evenIyEEEEEE10hipError_tPvRmT3_T4_T5_T6_T7_T9_mT8_P12ihipStream_tbDpT10_ENKUlT_T0_E_clISt17integral_constantIbLb0EES17_IbLb1EEEEDaS13_S14_EUlS13_E_NS1_11comp_targetILNS1_3genE9ELNS1_11target_archE1100ELNS1_3gpuE3ELNS1_3repE0EEENS1_30default_config_static_selectorELNS0_4arch9wavefront6targetE0EEEvT1_
	.globl	_ZN7rocprim17ROCPRIM_400000_NS6detail17trampoline_kernelINS0_14default_configENS1_25partition_config_selectorILNS1_17partition_subalgoE6EyNS0_10empty_typeEbEEZZNS1_14partition_implILS5_6ELb0ES3_mN6thrust23THRUST_200600_302600_NS6detail15normal_iteratorINSA_10device_ptrIyEEEEPS6_SG_NS0_5tupleIJSF_S6_EEENSH_IJSG_SG_EEES6_PlJNSB_9not_fun_tI7is_evenIyEEEEEE10hipError_tPvRmT3_T4_T5_T6_T7_T9_mT8_P12ihipStream_tbDpT10_ENKUlT_T0_E_clISt17integral_constantIbLb0EES17_IbLb1EEEEDaS13_S14_EUlS13_E_NS1_11comp_targetILNS1_3genE9ELNS1_11target_archE1100ELNS1_3gpuE3ELNS1_3repE0EEENS1_30default_config_static_selectorELNS0_4arch9wavefront6targetE0EEEvT1_
	.p2align	8
	.type	_ZN7rocprim17ROCPRIM_400000_NS6detail17trampoline_kernelINS0_14default_configENS1_25partition_config_selectorILNS1_17partition_subalgoE6EyNS0_10empty_typeEbEEZZNS1_14partition_implILS5_6ELb0ES3_mN6thrust23THRUST_200600_302600_NS6detail15normal_iteratorINSA_10device_ptrIyEEEEPS6_SG_NS0_5tupleIJSF_S6_EEENSH_IJSG_SG_EEES6_PlJNSB_9not_fun_tI7is_evenIyEEEEEE10hipError_tPvRmT3_T4_T5_T6_T7_T9_mT8_P12ihipStream_tbDpT10_ENKUlT_T0_E_clISt17integral_constantIbLb0EES17_IbLb1EEEEDaS13_S14_EUlS13_E_NS1_11comp_targetILNS1_3genE9ELNS1_11target_archE1100ELNS1_3gpuE3ELNS1_3repE0EEENS1_30default_config_static_selectorELNS0_4arch9wavefront6targetE0EEEvT1_,@function
_ZN7rocprim17ROCPRIM_400000_NS6detail17trampoline_kernelINS0_14default_configENS1_25partition_config_selectorILNS1_17partition_subalgoE6EyNS0_10empty_typeEbEEZZNS1_14partition_implILS5_6ELb0ES3_mN6thrust23THRUST_200600_302600_NS6detail15normal_iteratorINSA_10device_ptrIyEEEEPS6_SG_NS0_5tupleIJSF_S6_EEENSH_IJSG_SG_EEES6_PlJNSB_9not_fun_tI7is_evenIyEEEEEE10hipError_tPvRmT3_T4_T5_T6_T7_T9_mT8_P12ihipStream_tbDpT10_ENKUlT_T0_E_clISt17integral_constantIbLb0EES17_IbLb1EEEEDaS13_S14_EUlS13_E_NS1_11comp_targetILNS1_3genE9ELNS1_11target_archE1100ELNS1_3gpuE3ELNS1_3repE0EEENS1_30default_config_static_selectorELNS0_4arch9wavefront6targetE0EEEvT1_: ; @_ZN7rocprim17ROCPRIM_400000_NS6detail17trampoline_kernelINS0_14default_configENS1_25partition_config_selectorILNS1_17partition_subalgoE6EyNS0_10empty_typeEbEEZZNS1_14partition_implILS5_6ELb0ES3_mN6thrust23THRUST_200600_302600_NS6detail15normal_iteratorINSA_10device_ptrIyEEEEPS6_SG_NS0_5tupleIJSF_S6_EEENSH_IJSG_SG_EEES6_PlJNSB_9not_fun_tI7is_evenIyEEEEEE10hipError_tPvRmT3_T4_T5_T6_T7_T9_mT8_P12ihipStream_tbDpT10_ENKUlT_T0_E_clISt17integral_constantIbLb0EES17_IbLb1EEEEDaS13_S14_EUlS13_E_NS1_11comp_targetILNS1_3genE9ELNS1_11target_archE1100ELNS1_3gpuE3ELNS1_3repE0EEENS1_30default_config_static_selectorELNS0_4arch9wavefront6targetE0EEEvT1_
; %bb.0:
	.section	.rodata,"a",@progbits
	.p2align	6, 0x0
	.amdhsa_kernel _ZN7rocprim17ROCPRIM_400000_NS6detail17trampoline_kernelINS0_14default_configENS1_25partition_config_selectorILNS1_17partition_subalgoE6EyNS0_10empty_typeEbEEZZNS1_14partition_implILS5_6ELb0ES3_mN6thrust23THRUST_200600_302600_NS6detail15normal_iteratorINSA_10device_ptrIyEEEEPS6_SG_NS0_5tupleIJSF_S6_EEENSH_IJSG_SG_EEES6_PlJNSB_9not_fun_tI7is_evenIyEEEEEE10hipError_tPvRmT3_T4_T5_T6_T7_T9_mT8_P12ihipStream_tbDpT10_ENKUlT_T0_E_clISt17integral_constantIbLb0EES17_IbLb1EEEEDaS13_S14_EUlS13_E_NS1_11comp_targetILNS1_3genE9ELNS1_11target_archE1100ELNS1_3gpuE3ELNS1_3repE0EEENS1_30default_config_static_selectorELNS0_4arch9wavefront6targetE0EEEvT1_
		.amdhsa_group_segment_fixed_size 0
		.amdhsa_private_segment_fixed_size 0
		.amdhsa_kernarg_size 128
		.amdhsa_user_sgpr_count 2
		.amdhsa_user_sgpr_dispatch_ptr 0
		.amdhsa_user_sgpr_queue_ptr 0
		.amdhsa_user_sgpr_kernarg_segment_ptr 1
		.amdhsa_user_sgpr_dispatch_id 0
		.amdhsa_user_sgpr_private_segment_size 0
		.amdhsa_wavefront_size32 1
		.amdhsa_uses_dynamic_stack 0
		.amdhsa_enable_private_segment 0
		.amdhsa_system_sgpr_workgroup_id_x 1
		.amdhsa_system_sgpr_workgroup_id_y 0
		.amdhsa_system_sgpr_workgroup_id_z 0
		.amdhsa_system_sgpr_workgroup_info 0
		.amdhsa_system_vgpr_workitem_id 0
		.amdhsa_next_free_vgpr 1
		.amdhsa_next_free_sgpr 1
		.amdhsa_reserve_vcc 0
		.amdhsa_float_round_mode_32 0
		.amdhsa_float_round_mode_16_64 0
		.amdhsa_float_denorm_mode_32 3
		.amdhsa_float_denorm_mode_16_64 3
		.amdhsa_fp16_overflow 0
		.amdhsa_workgroup_processor_mode 1
		.amdhsa_memory_ordered 1
		.amdhsa_forward_progress 1
		.amdhsa_inst_pref_size 0
		.amdhsa_round_robin_scheduling 0
		.amdhsa_exception_fp_ieee_invalid_op 0
		.amdhsa_exception_fp_denorm_src 0
		.amdhsa_exception_fp_ieee_div_zero 0
		.amdhsa_exception_fp_ieee_overflow 0
		.amdhsa_exception_fp_ieee_underflow 0
		.amdhsa_exception_fp_ieee_inexact 0
		.amdhsa_exception_int_div_zero 0
	.end_amdhsa_kernel
	.section	.text._ZN7rocprim17ROCPRIM_400000_NS6detail17trampoline_kernelINS0_14default_configENS1_25partition_config_selectorILNS1_17partition_subalgoE6EyNS0_10empty_typeEbEEZZNS1_14partition_implILS5_6ELb0ES3_mN6thrust23THRUST_200600_302600_NS6detail15normal_iteratorINSA_10device_ptrIyEEEEPS6_SG_NS0_5tupleIJSF_S6_EEENSH_IJSG_SG_EEES6_PlJNSB_9not_fun_tI7is_evenIyEEEEEE10hipError_tPvRmT3_T4_T5_T6_T7_T9_mT8_P12ihipStream_tbDpT10_ENKUlT_T0_E_clISt17integral_constantIbLb0EES17_IbLb1EEEEDaS13_S14_EUlS13_E_NS1_11comp_targetILNS1_3genE9ELNS1_11target_archE1100ELNS1_3gpuE3ELNS1_3repE0EEENS1_30default_config_static_selectorELNS0_4arch9wavefront6targetE0EEEvT1_,"axG",@progbits,_ZN7rocprim17ROCPRIM_400000_NS6detail17trampoline_kernelINS0_14default_configENS1_25partition_config_selectorILNS1_17partition_subalgoE6EyNS0_10empty_typeEbEEZZNS1_14partition_implILS5_6ELb0ES3_mN6thrust23THRUST_200600_302600_NS6detail15normal_iteratorINSA_10device_ptrIyEEEEPS6_SG_NS0_5tupleIJSF_S6_EEENSH_IJSG_SG_EEES6_PlJNSB_9not_fun_tI7is_evenIyEEEEEE10hipError_tPvRmT3_T4_T5_T6_T7_T9_mT8_P12ihipStream_tbDpT10_ENKUlT_T0_E_clISt17integral_constantIbLb0EES17_IbLb1EEEEDaS13_S14_EUlS13_E_NS1_11comp_targetILNS1_3genE9ELNS1_11target_archE1100ELNS1_3gpuE3ELNS1_3repE0EEENS1_30default_config_static_selectorELNS0_4arch9wavefront6targetE0EEEvT1_,comdat
.Lfunc_end627:
	.size	_ZN7rocprim17ROCPRIM_400000_NS6detail17trampoline_kernelINS0_14default_configENS1_25partition_config_selectorILNS1_17partition_subalgoE6EyNS0_10empty_typeEbEEZZNS1_14partition_implILS5_6ELb0ES3_mN6thrust23THRUST_200600_302600_NS6detail15normal_iteratorINSA_10device_ptrIyEEEEPS6_SG_NS0_5tupleIJSF_S6_EEENSH_IJSG_SG_EEES6_PlJNSB_9not_fun_tI7is_evenIyEEEEEE10hipError_tPvRmT3_T4_T5_T6_T7_T9_mT8_P12ihipStream_tbDpT10_ENKUlT_T0_E_clISt17integral_constantIbLb0EES17_IbLb1EEEEDaS13_S14_EUlS13_E_NS1_11comp_targetILNS1_3genE9ELNS1_11target_archE1100ELNS1_3gpuE3ELNS1_3repE0EEENS1_30default_config_static_selectorELNS0_4arch9wavefront6targetE0EEEvT1_, .Lfunc_end627-_ZN7rocprim17ROCPRIM_400000_NS6detail17trampoline_kernelINS0_14default_configENS1_25partition_config_selectorILNS1_17partition_subalgoE6EyNS0_10empty_typeEbEEZZNS1_14partition_implILS5_6ELb0ES3_mN6thrust23THRUST_200600_302600_NS6detail15normal_iteratorINSA_10device_ptrIyEEEEPS6_SG_NS0_5tupleIJSF_S6_EEENSH_IJSG_SG_EEES6_PlJNSB_9not_fun_tI7is_evenIyEEEEEE10hipError_tPvRmT3_T4_T5_T6_T7_T9_mT8_P12ihipStream_tbDpT10_ENKUlT_T0_E_clISt17integral_constantIbLb0EES17_IbLb1EEEEDaS13_S14_EUlS13_E_NS1_11comp_targetILNS1_3genE9ELNS1_11target_archE1100ELNS1_3gpuE3ELNS1_3repE0EEENS1_30default_config_static_selectorELNS0_4arch9wavefront6targetE0EEEvT1_
                                        ; -- End function
	.set _ZN7rocprim17ROCPRIM_400000_NS6detail17trampoline_kernelINS0_14default_configENS1_25partition_config_selectorILNS1_17partition_subalgoE6EyNS0_10empty_typeEbEEZZNS1_14partition_implILS5_6ELb0ES3_mN6thrust23THRUST_200600_302600_NS6detail15normal_iteratorINSA_10device_ptrIyEEEEPS6_SG_NS0_5tupleIJSF_S6_EEENSH_IJSG_SG_EEES6_PlJNSB_9not_fun_tI7is_evenIyEEEEEE10hipError_tPvRmT3_T4_T5_T6_T7_T9_mT8_P12ihipStream_tbDpT10_ENKUlT_T0_E_clISt17integral_constantIbLb0EES17_IbLb1EEEEDaS13_S14_EUlS13_E_NS1_11comp_targetILNS1_3genE9ELNS1_11target_archE1100ELNS1_3gpuE3ELNS1_3repE0EEENS1_30default_config_static_selectorELNS0_4arch9wavefront6targetE0EEEvT1_.num_vgpr, 0
	.set _ZN7rocprim17ROCPRIM_400000_NS6detail17trampoline_kernelINS0_14default_configENS1_25partition_config_selectorILNS1_17partition_subalgoE6EyNS0_10empty_typeEbEEZZNS1_14partition_implILS5_6ELb0ES3_mN6thrust23THRUST_200600_302600_NS6detail15normal_iteratorINSA_10device_ptrIyEEEEPS6_SG_NS0_5tupleIJSF_S6_EEENSH_IJSG_SG_EEES6_PlJNSB_9not_fun_tI7is_evenIyEEEEEE10hipError_tPvRmT3_T4_T5_T6_T7_T9_mT8_P12ihipStream_tbDpT10_ENKUlT_T0_E_clISt17integral_constantIbLb0EES17_IbLb1EEEEDaS13_S14_EUlS13_E_NS1_11comp_targetILNS1_3genE9ELNS1_11target_archE1100ELNS1_3gpuE3ELNS1_3repE0EEENS1_30default_config_static_selectorELNS0_4arch9wavefront6targetE0EEEvT1_.num_agpr, 0
	.set _ZN7rocprim17ROCPRIM_400000_NS6detail17trampoline_kernelINS0_14default_configENS1_25partition_config_selectorILNS1_17partition_subalgoE6EyNS0_10empty_typeEbEEZZNS1_14partition_implILS5_6ELb0ES3_mN6thrust23THRUST_200600_302600_NS6detail15normal_iteratorINSA_10device_ptrIyEEEEPS6_SG_NS0_5tupleIJSF_S6_EEENSH_IJSG_SG_EEES6_PlJNSB_9not_fun_tI7is_evenIyEEEEEE10hipError_tPvRmT3_T4_T5_T6_T7_T9_mT8_P12ihipStream_tbDpT10_ENKUlT_T0_E_clISt17integral_constantIbLb0EES17_IbLb1EEEEDaS13_S14_EUlS13_E_NS1_11comp_targetILNS1_3genE9ELNS1_11target_archE1100ELNS1_3gpuE3ELNS1_3repE0EEENS1_30default_config_static_selectorELNS0_4arch9wavefront6targetE0EEEvT1_.numbered_sgpr, 0
	.set _ZN7rocprim17ROCPRIM_400000_NS6detail17trampoline_kernelINS0_14default_configENS1_25partition_config_selectorILNS1_17partition_subalgoE6EyNS0_10empty_typeEbEEZZNS1_14partition_implILS5_6ELb0ES3_mN6thrust23THRUST_200600_302600_NS6detail15normal_iteratorINSA_10device_ptrIyEEEEPS6_SG_NS0_5tupleIJSF_S6_EEENSH_IJSG_SG_EEES6_PlJNSB_9not_fun_tI7is_evenIyEEEEEE10hipError_tPvRmT3_T4_T5_T6_T7_T9_mT8_P12ihipStream_tbDpT10_ENKUlT_T0_E_clISt17integral_constantIbLb0EES17_IbLb1EEEEDaS13_S14_EUlS13_E_NS1_11comp_targetILNS1_3genE9ELNS1_11target_archE1100ELNS1_3gpuE3ELNS1_3repE0EEENS1_30default_config_static_selectorELNS0_4arch9wavefront6targetE0EEEvT1_.num_named_barrier, 0
	.set _ZN7rocprim17ROCPRIM_400000_NS6detail17trampoline_kernelINS0_14default_configENS1_25partition_config_selectorILNS1_17partition_subalgoE6EyNS0_10empty_typeEbEEZZNS1_14partition_implILS5_6ELb0ES3_mN6thrust23THRUST_200600_302600_NS6detail15normal_iteratorINSA_10device_ptrIyEEEEPS6_SG_NS0_5tupleIJSF_S6_EEENSH_IJSG_SG_EEES6_PlJNSB_9not_fun_tI7is_evenIyEEEEEE10hipError_tPvRmT3_T4_T5_T6_T7_T9_mT8_P12ihipStream_tbDpT10_ENKUlT_T0_E_clISt17integral_constantIbLb0EES17_IbLb1EEEEDaS13_S14_EUlS13_E_NS1_11comp_targetILNS1_3genE9ELNS1_11target_archE1100ELNS1_3gpuE3ELNS1_3repE0EEENS1_30default_config_static_selectorELNS0_4arch9wavefront6targetE0EEEvT1_.private_seg_size, 0
	.set _ZN7rocprim17ROCPRIM_400000_NS6detail17trampoline_kernelINS0_14default_configENS1_25partition_config_selectorILNS1_17partition_subalgoE6EyNS0_10empty_typeEbEEZZNS1_14partition_implILS5_6ELb0ES3_mN6thrust23THRUST_200600_302600_NS6detail15normal_iteratorINSA_10device_ptrIyEEEEPS6_SG_NS0_5tupleIJSF_S6_EEENSH_IJSG_SG_EEES6_PlJNSB_9not_fun_tI7is_evenIyEEEEEE10hipError_tPvRmT3_T4_T5_T6_T7_T9_mT8_P12ihipStream_tbDpT10_ENKUlT_T0_E_clISt17integral_constantIbLb0EES17_IbLb1EEEEDaS13_S14_EUlS13_E_NS1_11comp_targetILNS1_3genE9ELNS1_11target_archE1100ELNS1_3gpuE3ELNS1_3repE0EEENS1_30default_config_static_selectorELNS0_4arch9wavefront6targetE0EEEvT1_.uses_vcc, 0
	.set _ZN7rocprim17ROCPRIM_400000_NS6detail17trampoline_kernelINS0_14default_configENS1_25partition_config_selectorILNS1_17partition_subalgoE6EyNS0_10empty_typeEbEEZZNS1_14partition_implILS5_6ELb0ES3_mN6thrust23THRUST_200600_302600_NS6detail15normal_iteratorINSA_10device_ptrIyEEEEPS6_SG_NS0_5tupleIJSF_S6_EEENSH_IJSG_SG_EEES6_PlJNSB_9not_fun_tI7is_evenIyEEEEEE10hipError_tPvRmT3_T4_T5_T6_T7_T9_mT8_P12ihipStream_tbDpT10_ENKUlT_T0_E_clISt17integral_constantIbLb0EES17_IbLb1EEEEDaS13_S14_EUlS13_E_NS1_11comp_targetILNS1_3genE9ELNS1_11target_archE1100ELNS1_3gpuE3ELNS1_3repE0EEENS1_30default_config_static_selectorELNS0_4arch9wavefront6targetE0EEEvT1_.uses_flat_scratch, 0
	.set _ZN7rocprim17ROCPRIM_400000_NS6detail17trampoline_kernelINS0_14default_configENS1_25partition_config_selectorILNS1_17partition_subalgoE6EyNS0_10empty_typeEbEEZZNS1_14partition_implILS5_6ELb0ES3_mN6thrust23THRUST_200600_302600_NS6detail15normal_iteratorINSA_10device_ptrIyEEEEPS6_SG_NS0_5tupleIJSF_S6_EEENSH_IJSG_SG_EEES6_PlJNSB_9not_fun_tI7is_evenIyEEEEEE10hipError_tPvRmT3_T4_T5_T6_T7_T9_mT8_P12ihipStream_tbDpT10_ENKUlT_T0_E_clISt17integral_constantIbLb0EES17_IbLb1EEEEDaS13_S14_EUlS13_E_NS1_11comp_targetILNS1_3genE9ELNS1_11target_archE1100ELNS1_3gpuE3ELNS1_3repE0EEENS1_30default_config_static_selectorELNS0_4arch9wavefront6targetE0EEEvT1_.has_dyn_sized_stack, 0
	.set _ZN7rocprim17ROCPRIM_400000_NS6detail17trampoline_kernelINS0_14default_configENS1_25partition_config_selectorILNS1_17partition_subalgoE6EyNS0_10empty_typeEbEEZZNS1_14partition_implILS5_6ELb0ES3_mN6thrust23THRUST_200600_302600_NS6detail15normal_iteratorINSA_10device_ptrIyEEEEPS6_SG_NS0_5tupleIJSF_S6_EEENSH_IJSG_SG_EEES6_PlJNSB_9not_fun_tI7is_evenIyEEEEEE10hipError_tPvRmT3_T4_T5_T6_T7_T9_mT8_P12ihipStream_tbDpT10_ENKUlT_T0_E_clISt17integral_constantIbLb0EES17_IbLb1EEEEDaS13_S14_EUlS13_E_NS1_11comp_targetILNS1_3genE9ELNS1_11target_archE1100ELNS1_3gpuE3ELNS1_3repE0EEENS1_30default_config_static_selectorELNS0_4arch9wavefront6targetE0EEEvT1_.has_recursion, 0
	.set _ZN7rocprim17ROCPRIM_400000_NS6detail17trampoline_kernelINS0_14default_configENS1_25partition_config_selectorILNS1_17partition_subalgoE6EyNS0_10empty_typeEbEEZZNS1_14partition_implILS5_6ELb0ES3_mN6thrust23THRUST_200600_302600_NS6detail15normal_iteratorINSA_10device_ptrIyEEEEPS6_SG_NS0_5tupleIJSF_S6_EEENSH_IJSG_SG_EEES6_PlJNSB_9not_fun_tI7is_evenIyEEEEEE10hipError_tPvRmT3_T4_T5_T6_T7_T9_mT8_P12ihipStream_tbDpT10_ENKUlT_T0_E_clISt17integral_constantIbLb0EES17_IbLb1EEEEDaS13_S14_EUlS13_E_NS1_11comp_targetILNS1_3genE9ELNS1_11target_archE1100ELNS1_3gpuE3ELNS1_3repE0EEENS1_30default_config_static_selectorELNS0_4arch9wavefront6targetE0EEEvT1_.has_indirect_call, 0
	.section	.AMDGPU.csdata,"",@progbits
; Kernel info:
; codeLenInByte = 0
; TotalNumSgprs: 0
; NumVgprs: 0
; ScratchSize: 0
; MemoryBound: 0
; FloatMode: 240
; IeeeMode: 1
; LDSByteSize: 0 bytes/workgroup (compile time only)
; SGPRBlocks: 0
; VGPRBlocks: 0
; NumSGPRsForWavesPerEU: 1
; NumVGPRsForWavesPerEU: 1
; Occupancy: 16
; WaveLimiterHint : 0
; COMPUTE_PGM_RSRC2:SCRATCH_EN: 0
; COMPUTE_PGM_RSRC2:USER_SGPR: 2
; COMPUTE_PGM_RSRC2:TRAP_HANDLER: 0
; COMPUTE_PGM_RSRC2:TGID_X_EN: 1
; COMPUTE_PGM_RSRC2:TGID_Y_EN: 0
; COMPUTE_PGM_RSRC2:TGID_Z_EN: 0
; COMPUTE_PGM_RSRC2:TIDIG_COMP_CNT: 0
	.section	.text._ZN7rocprim17ROCPRIM_400000_NS6detail17trampoline_kernelINS0_14default_configENS1_25partition_config_selectorILNS1_17partition_subalgoE6EyNS0_10empty_typeEbEEZZNS1_14partition_implILS5_6ELb0ES3_mN6thrust23THRUST_200600_302600_NS6detail15normal_iteratorINSA_10device_ptrIyEEEEPS6_SG_NS0_5tupleIJSF_S6_EEENSH_IJSG_SG_EEES6_PlJNSB_9not_fun_tI7is_evenIyEEEEEE10hipError_tPvRmT3_T4_T5_T6_T7_T9_mT8_P12ihipStream_tbDpT10_ENKUlT_T0_E_clISt17integral_constantIbLb0EES17_IbLb1EEEEDaS13_S14_EUlS13_E_NS1_11comp_targetILNS1_3genE8ELNS1_11target_archE1030ELNS1_3gpuE2ELNS1_3repE0EEENS1_30default_config_static_selectorELNS0_4arch9wavefront6targetE0EEEvT1_,"axG",@progbits,_ZN7rocprim17ROCPRIM_400000_NS6detail17trampoline_kernelINS0_14default_configENS1_25partition_config_selectorILNS1_17partition_subalgoE6EyNS0_10empty_typeEbEEZZNS1_14partition_implILS5_6ELb0ES3_mN6thrust23THRUST_200600_302600_NS6detail15normal_iteratorINSA_10device_ptrIyEEEEPS6_SG_NS0_5tupleIJSF_S6_EEENSH_IJSG_SG_EEES6_PlJNSB_9not_fun_tI7is_evenIyEEEEEE10hipError_tPvRmT3_T4_T5_T6_T7_T9_mT8_P12ihipStream_tbDpT10_ENKUlT_T0_E_clISt17integral_constantIbLb0EES17_IbLb1EEEEDaS13_S14_EUlS13_E_NS1_11comp_targetILNS1_3genE8ELNS1_11target_archE1030ELNS1_3gpuE2ELNS1_3repE0EEENS1_30default_config_static_selectorELNS0_4arch9wavefront6targetE0EEEvT1_,comdat
	.protected	_ZN7rocprim17ROCPRIM_400000_NS6detail17trampoline_kernelINS0_14default_configENS1_25partition_config_selectorILNS1_17partition_subalgoE6EyNS0_10empty_typeEbEEZZNS1_14partition_implILS5_6ELb0ES3_mN6thrust23THRUST_200600_302600_NS6detail15normal_iteratorINSA_10device_ptrIyEEEEPS6_SG_NS0_5tupleIJSF_S6_EEENSH_IJSG_SG_EEES6_PlJNSB_9not_fun_tI7is_evenIyEEEEEE10hipError_tPvRmT3_T4_T5_T6_T7_T9_mT8_P12ihipStream_tbDpT10_ENKUlT_T0_E_clISt17integral_constantIbLb0EES17_IbLb1EEEEDaS13_S14_EUlS13_E_NS1_11comp_targetILNS1_3genE8ELNS1_11target_archE1030ELNS1_3gpuE2ELNS1_3repE0EEENS1_30default_config_static_selectorELNS0_4arch9wavefront6targetE0EEEvT1_ ; -- Begin function _ZN7rocprim17ROCPRIM_400000_NS6detail17trampoline_kernelINS0_14default_configENS1_25partition_config_selectorILNS1_17partition_subalgoE6EyNS0_10empty_typeEbEEZZNS1_14partition_implILS5_6ELb0ES3_mN6thrust23THRUST_200600_302600_NS6detail15normal_iteratorINSA_10device_ptrIyEEEEPS6_SG_NS0_5tupleIJSF_S6_EEENSH_IJSG_SG_EEES6_PlJNSB_9not_fun_tI7is_evenIyEEEEEE10hipError_tPvRmT3_T4_T5_T6_T7_T9_mT8_P12ihipStream_tbDpT10_ENKUlT_T0_E_clISt17integral_constantIbLb0EES17_IbLb1EEEEDaS13_S14_EUlS13_E_NS1_11comp_targetILNS1_3genE8ELNS1_11target_archE1030ELNS1_3gpuE2ELNS1_3repE0EEENS1_30default_config_static_selectorELNS0_4arch9wavefront6targetE0EEEvT1_
	.globl	_ZN7rocprim17ROCPRIM_400000_NS6detail17trampoline_kernelINS0_14default_configENS1_25partition_config_selectorILNS1_17partition_subalgoE6EyNS0_10empty_typeEbEEZZNS1_14partition_implILS5_6ELb0ES3_mN6thrust23THRUST_200600_302600_NS6detail15normal_iteratorINSA_10device_ptrIyEEEEPS6_SG_NS0_5tupleIJSF_S6_EEENSH_IJSG_SG_EEES6_PlJNSB_9not_fun_tI7is_evenIyEEEEEE10hipError_tPvRmT3_T4_T5_T6_T7_T9_mT8_P12ihipStream_tbDpT10_ENKUlT_T0_E_clISt17integral_constantIbLb0EES17_IbLb1EEEEDaS13_S14_EUlS13_E_NS1_11comp_targetILNS1_3genE8ELNS1_11target_archE1030ELNS1_3gpuE2ELNS1_3repE0EEENS1_30default_config_static_selectorELNS0_4arch9wavefront6targetE0EEEvT1_
	.p2align	8
	.type	_ZN7rocprim17ROCPRIM_400000_NS6detail17trampoline_kernelINS0_14default_configENS1_25partition_config_selectorILNS1_17partition_subalgoE6EyNS0_10empty_typeEbEEZZNS1_14partition_implILS5_6ELb0ES3_mN6thrust23THRUST_200600_302600_NS6detail15normal_iteratorINSA_10device_ptrIyEEEEPS6_SG_NS0_5tupleIJSF_S6_EEENSH_IJSG_SG_EEES6_PlJNSB_9not_fun_tI7is_evenIyEEEEEE10hipError_tPvRmT3_T4_T5_T6_T7_T9_mT8_P12ihipStream_tbDpT10_ENKUlT_T0_E_clISt17integral_constantIbLb0EES17_IbLb1EEEEDaS13_S14_EUlS13_E_NS1_11comp_targetILNS1_3genE8ELNS1_11target_archE1030ELNS1_3gpuE2ELNS1_3repE0EEENS1_30default_config_static_selectorELNS0_4arch9wavefront6targetE0EEEvT1_,@function
_ZN7rocprim17ROCPRIM_400000_NS6detail17trampoline_kernelINS0_14default_configENS1_25partition_config_selectorILNS1_17partition_subalgoE6EyNS0_10empty_typeEbEEZZNS1_14partition_implILS5_6ELb0ES3_mN6thrust23THRUST_200600_302600_NS6detail15normal_iteratorINSA_10device_ptrIyEEEEPS6_SG_NS0_5tupleIJSF_S6_EEENSH_IJSG_SG_EEES6_PlJNSB_9not_fun_tI7is_evenIyEEEEEE10hipError_tPvRmT3_T4_T5_T6_T7_T9_mT8_P12ihipStream_tbDpT10_ENKUlT_T0_E_clISt17integral_constantIbLb0EES17_IbLb1EEEEDaS13_S14_EUlS13_E_NS1_11comp_targetILNS1_3genE8ELNS1_11target_archE1030ELNS1_3gpuE2ELNS1_3repE0EEENS1_30default_config_static_selectorELNS0_4arch9wavefront6targetE0EEEvT1_: ; @_ZN7rocprim17ROCPRIM_400000_NS6detail17trampoline_kernelINS0_14default_configENS1_25partition_config_selectorILNS1_17partition_subalgoE6EyNS0_10empty_typeEbEEZZNS1_14partition_implILS5_6ELb0ES3_mN6thrust23THRUST_200600_302600_NS6detail15normal_iteratorINSA_10device_ptrIyEEEEPS6_SG_NS0_5tupleIJSF_S6_EEENSH_IJSG_SG_EEES6_PlJNSB_9not_fun_tI7is_evenIyEEEEEE10hipError_tPvRmT3_T4_T5_T6_T7_T9_mT8_P12ihipStream_tbDpT10_ENKUlT_T0_E_clISt17integral_constantIbLb0EES17_IbLb1EEEEDaS13_S14_EUlS13_E_NS1_11comp_targetILNS1_3genE8ELNS1_11target_archE1030ELNS1_3gpuE2ELNS1_3repE0EEENS1_30default_config_static_selectorELNS0_4arch9wavefront6targetE0EEEvT1_
; %bb.0:
	.section	.rodata,"a",@progbits
	.p2align	6, 0x0
	.amdhsa_kernel _ZN7rocprim17ROCPRIM_400000_NS6detail17trampoline_kernelINS0_14default_configENS1_25partition_config_selectorILNS1_17partition_subalgoE6EyNS0_10empty_typeEbEEZZNS1_14partition_implILS5_6ELb0ES3_mN6thrust23THRUST_200600_302600_NS6detail15normal_iteratorINSA_10device_ptrIyEEEEPS6_SG_NS0_5tupleIJSF_S6_EEENSH_IJSG_SG_EEES6_PlJNSB_9not_fun_tI7is_evenIyEEEEEE10hipError_tPvRmT3_T4_T5_T6_T7_T9_mT8_P12ihipStream_tbDpT10_ENKUlT_T0_E_clISt17integral_constantIbLb0EES17_IbLb1EEEEDaS13_S14_EUlS13_E_NS1_11comp_targetILNS1_3genE8ELNS1_11target_archE1030ELNS1_3gpuE2ELNS1_3repE0EEENS1_30default_config_static_selectorELNS0_4arch9wavefront6targetE0EEEvT1_
		.amdhsa_group_segment_fixed_size 0
		.amdhsa_private_segment_fixed_size 0
		.amdhsa_kernarg_size 128
		.amdhsa_user_sgpr_count 2
		.amdhsa_user_sgpr_dispatch_ptr 0
		.amdhsa_user_sgpr_queue_ptr 0
		.amdhsa_user_sgpr_kernarg_segment_ptr 1
		.amdhsa_user_sgpr_dispatch_id 0
		.amdhsa_user_sgpr_private_segment_size 0
		.amdhsa_wavefront_size32 1
		.amdhsa_uses_dynamic_stack 0
		.amdhsa_enable_private_segment 0
		.amdhsa_system_sgpr_workgroup_id_x 1
		.amdhsa_system_sgpr_workgroup_id_y 0
		.amdhsa_system_sgpr_workgroup_id_z 0
		.amdhsa_system_sgpr_workgroup_info 0
		.amdhsa_system_vgpr_workitem_id 0
		.amdhsa_next_free_vgpr 1
		.amdhsa_next_free_sgpr 1
		.amdhsa_reserve_vcc 0
		.amdhsa_float_round_mode_32 0
		.amdhsa_float_round_mode_16_64 0
		.amdhsa_float_denorm_mode_32 3
		.amdhsa_float_denorm_mode_16_64 3
		.amdhsa_fp16_overflow 0
		.amdhsa_workgroup_processor_mode 1
		.amdhsa_memory_ordered 1
		.amdhsa_forward_progress 1
		.amdhsa_inst_pref_size 0
		.amdhsa_round_robin_scheduling 0
		.amdhsa_exception_fp_ieee_invalid_op 0
		.amdhsa_exception_fp_denorm_src 0
		.amdhsa_exception_fp_ieee_div_zero 0
		.amdhsa_exception_fp_ieee_overflow 0
		.amdhsa_exception_fp_ieee_underflow 0
		.amdhsa_exception_fp_ieee_inexact 0
		.amdhsa_exception_int_div_zero 0
	.end_amdhsa_kernel
	.section	.text._ZN7rocprim17ROCPRIM_400000_NS6detail17trampoline_kernelINS0_14default_configENS1_25partition_config_selectorILNS1_17partition_subalgoE6EyNS0_10empty_typeEbEEZZNS1_14partition_implILS5_6ELb0ES3_mN6thrust23THRUST_200600_302600_NS6detail15normal_iteratorINSA_10device_ptrIyEEEEPS6_SG_NS0_5tupleIJSF_S6_EEENSH_IJSG_SG_EEES6_PlJNSB_9not_fun_tI7is_evenIyEEEEEE10hipError_tPvRmT3_T4_T5_T6_T7_T9_mT8_P12ihipStream_tbDpT10_ENKUlT_T0_E_clISt17integral_constantIbLb0EES17_IbLb1EEEEDaS13_S14_EUlS13_E_NS1_11comp_targetILNS1_3genE8ELNS1_11target_archE1030ELNS1_3gpuE2ELNS1_3repE0EEENS1_30default_config_static_selectorELNS0_4arch9wavefront6targetE0EEEvT1_,"axG",@progbits,_ZN7rocprim17ROCPRIM_400000_NS6detail17trampoline_kernelINS0_14default_configENS1_25partition_config_selectorILNS1_17partition_subalgoE6EyNS0_10empty_typeEbEEZZNS1_14partition_implILS5_6ELb0ES3_mN6thrust23THRUST_200600_302600_NS6detail15normal_iteratorINSA_10device_ptrIyEEEEPS6_SG_NS0_5tupleIJSF_S6_EEENSH_IJSG_SG_EEES6_PlJNSB_9not_fun_tI7is_evenIyEEEEEE10hipError_tPvRmT3_T4_T5_T6_T7_T9_mT8_P12ihipStream_tbDpT10_ENKUlT_T0_E_clISt17integral_constantIbLb0EES17_IbLb1EEEEDaS13_S14_EUlS13_E_NS1_11comp_targetILNS1_3genE8ELNS1_11target_archE1030ELNS1_3gpuE2ELNS1_3repE0EEENS1_30default_config_static_selectorELNS0_4arch9wavefront6targetE0EEEvT1_,comdat
.Lfunc_end628:
	.size	_ZN7rocprim17ROCPRIM_400000_NS6detail17trampoline_kernelINS0_14default_configENS1_25partition_config_selectorILNS1_17partition_subalgoE6EyNS0_10empty_typeEbEEZZNS1_14partition_implILS5_6ELb0ES3_mN6thrust23THRUST_200600_302600_NS6detail15normal_iteratorINSA_10device_ptrIyEEEEPS6_SG_NS0_5tupleIJSF_S6_EEENSH_IJSG_SG_EEES6_PlJNSB_9not_fun_tI7is_evenIyEEEEEE10hipError_tPvRmT3_T4_T5_T6_T7_T9_mT8_P12ihipStream_tbDpT10_ENKUlT_T0_E_clISt17integral_constantIbLb0EES17_IbLb1EEEEDaS13_S14_EUlS13_E_NS1_11comp_targetILNS1_3genE8ELNS1_11target_archE1030ELNS1_3gpuE2ELNS1_3repE0EEENS1_30default_config_static_selectorELNS0_4arch9wavefront6targetE0EEEvT1_, .Lfunc_end628-_ZN7rocprim17ROCPRIM_400000_NS6detail17trampoline_kernelINS0_14default_configENS1_25partition_config_selectorILNS1_17partition_subalgoE6EyNS0_10empty_typeEbEEZZNS1_14partition_implILS5_6ELb0ES3_mN6thrust23THRUST_200600_302600_NS6detail15normal_iteratorINSA_10device_ptrIyEEEEPS6_SG_NS0_5tupleIJSF_S6_EEENSH_IJSG_SG_EEES6_PlJNSB_9not_fun_tI7is_evenIyEEEEEE10hipError_tPvRmT3_T4_T5_T6_T7_T9_mT8_P12ihipStream_tbDpT10_ENKUlT_T0_E_clISt17integral_constantIbLb0EES17_IbLb1EEEEDaS13_S14_EUlS13_E_NS1_11comp_targetILNS1_3genE8ELNS1_11target_archE1030ELNS1_3gpuE2ELNS1_3repE0EEENS1_30default_config_static_selectorELNS0_4arch9wavefront6targetE0EEEvT1_
                                        ; -- End function
	.set _ZN7rocprim17ROCPRIM_400000_NS6detail17trampoline_kernelINS0_14default_configENS1_25partition_config_selectorILNS1_17partition_subalgoE6EyNS0_10empty_typeEbEEZZNS1_14partition_implILS5_6ELb0ES3_mN6thrust23THRUST_200600_302600_NS6detail15normal_iteratorINSA_10device_ptrIyEEEEPS6_SG_NS0_5tupleIJSF_S6_EEENSH_IJSG_SG_EEES6_PlJNSB_9not_fun_tI7is_evenIyEEEEEE10hipError_tPvRmT3_T4_T5_T6_T7_T9_mT8_P12ihipStream_tbDpT10_ENKUlT_T0_E_clISt17integral_constantIbLb0EES17_IbLb1EEEEDaS13_S14_EUlS13_E_NS1_11comp_targetILNS1_3genE8ELNS1_11target_archE1030ELNS1_3gpuE2ELNS1_3repE0EEENS1_30default_config_static_selectorELNS0_4arch9wavefront6targetE0EEEvT1_.num_vgpr, 0
	.set _ZN7rocprim17ROCPRIM_400000_NS6detail17trampoline_kernelINS0_14default_configENS1_25partition_config_selectorILNS1_17partition_subalgoE6EyNS0_10empty_typeEbEEZZNS1_14partition_implILS5_6ELb0ES3_mN6thrust23THRUST_200600_302600_NS6detail15normal_iteratorINSA_10device_ptrIyEEEEPS6_SG_NS0_5tupleIJSF_S6_EEENSH_IJSG_SG_EEES6_PlJNSB_9not_fun_tI7is_evenIyEEEEEE10hipError_tPvRmT3_T4_T5_T6_T7_T9_mT8_P12ihipStream_tbDpT10_ENKUlT_T0_E_clISt17integral_constantIbLb0EES17_IbLb1EEEEDaS13_S14_EUlS13_E_NS1_11comp_targetILNS1_3genE8ELNS1_11target_archE1030ELNS1_3gpuE2ELNS1_3repE0EEENS1_30default_config_static_selectorELNS0_4arch9wavefront6targetE0EEEvT1_.num_agpr, 0
	.set _ZN7rocprim17ROCPRIM_400000_NS6detail17trampoline_kernelINS0_14default_configENS1_25partition_config_selectorILNS1_17partition_subalgoE6EyNS0_10empty_typeEbEEZZNS1_14partition_implILS5_6ELb0ES3_mN6thrust23THRUST_200600_302600_NS6detail15normal_iteratorINSA_10device_ptrIyEEEEPS6_SG_NS0_5tupleIJSF_S6_EEENSH_IJSG_SG_EEES6_PlJNSB_9not_fun_tI7is_evenIyEEEEEE10hipError_tPvRmT3_T4_T5_T6_T7_T9_mT8_P12ihipStream_tbDpT10_ENKUlT_T0_E_clISt17integral_constantIbLb0EES17_IbLb1EEEEDaS13_S14_EUlS13_E_NS1_11comp_targetILNS1_3genE8ELNS1_11target_archE1030ELNS1_3gpuE2ELNS1_3repE0EEENS1_30default_config_static_selectorELNS0_4arch9wavefront6targetE0EEEvT1_.numbered_sgpr, 0
	.set _ZN7rocprim17ROCPRIM_400000_NS6detail17trampoline_kernelINS0_14default_configENS1_25partition_config_selectorILNS1_17partition_subalgoE6EyNS0_10empty_typeEbEEZZNS1_14partition_implILS5_6ELb0ES3_mN6thrust23THRUST_200600_302600_NS6detail15normal_iteratorINSA_10device_ptrIyEEEEPS6_SG_NS0_5tupleIJSF_S6_EEENSH_IJSG_SG_EEES6_PlJNSB_9not_fun_tI7is_evenIyEEEEEE10hipError_tPvRmT3_T4_T5_T6_T7_T9_mT8_P12ihipStream_tbDpT10_ENKUlT_T0_E_clISt17integral_constantIbLb0EES17_IbLb1EEEEDaS13_S14_EUlS13_E_NS1_11comp_targetILNS1_3genE8ELNS1_11target_archE1030ELNS1_3gpuE2ELNS1_3repE0EEENS1_30default_config_static_selectorELNS0_4arch9wavefront6targetE0EEEvT1_.num_named_barrier, 0
	.set _ZN7rocprim17ROCPRIM_400000_NS6detail17trampoline_kernelINS0_14default_configENS1_25partition_config_selectorILNS1_17partition_subalgoE6EyNS0_10empty_typeEbEEZZNS1_14partition_implILS5_6ELb0ES3_mN6thrust23THRUST_200600_302600_NS6detail15normal_iteratorINSA_10device_ptrIyEEEEPS6_SG_NS0_5tupleIJSF_S6_EEENSH_IJSG_SG_EEES6_PlJNSB_9not_fun_tI7is_evenIyEEEEEE10hipError_tPvRmT3_T4_T5_T6_T7_T9_mT8_P12ihipStream_tbDpT10_ENKUlT_T0_E_clISt17integral_constantIbLb0EES17_IbLb1EEEEDaS13_S14_EUlS13_E_NS1_11comp_targetILNS1_3genE8ELNS1_11target_archE1030ELNS1_3gpuE2ELNS1_3repE0EEENS1_30default_config_static_selectorELNS0_4arch9wavefront6targetE0EEEvT1_.private_seg_size, 0
	.set _ZN7rocprim17ROCPRIM_400000_NS6detail17trampoline_kernelINS0_14default_configENS1_25partition_config_selectorILNS1_17partition_subalgoE6EyNS0_10empty_typeEbEEZZNS1_14partition_implILS5_6ELb0ES3_mN6thrust23THRUST_200600_302600_NS6detail15normal_iteratorINSA_10device_ptrIyEEEEPS6_SG_NS0_5tupleIJSF_S6_EEENSH_IJSG_SG_EEES6_PlJNSB_9not_fun_tI7is_evenIyEEEEEE10hipError_tPvRmT3_T4_T5_T6_T7_T9_mT8_P12ihipStream_tbDpT10_ENKUlT_T0_E_clISt17integral_constantIbLb0EES17_IbLb1EEEEDaS13_S14_EUlS13_E_NS1_11comp_targetILNS1_3genE8ELNS1_11target_archE1030ELNS1_3gpuE2ELNS1_3repE0EEENS1_30default_config_static_selectorELNS0_4arch9wavefront6targetE0EEEvT1_.uses_vcc, 0
	.set _ZN7rocprim17ROCPRIM_400000_NS6detail17trampoline_kernelINS0_14default_configENS1_25partition_config_selectorILNS1_17partition_subalgoE6EyNS0_10empty_typeEbEEZZNS1_14partition_implILS5_6ELb0ES3_mN6thrust23THRUST_200600_302600_NS6detail15normal_iteratorINSA_10device_ptrIyEEEEPS6_SG_NS0_5tupleIJSF_S6_EEENSH_IJSG_SG_EEES6_PlJNSB_9not_fun_tI7is_evenIyEEEEEE10hipError_tPvRmT3_T4_T5_T6_T7_T9_mT8_P12ihipStream_tbDpT10_ENKUlT_T0_E_clISt17integral_constantIbLb0EES17_IbLb1EEEEDaS13_S14_EUlS13_E_NS1_11comp_targetILNS1_3genE8ELNS1_11target_archE1030ELNS1_3gpuE2ELNS1_3repE0EEENS1_30default_config_static_selectorELNS0_4arch9wavefront6targetE0EEEvT1_.uses_flat_scratch, 0
	.set _ZN7rocprim17ROCPRIM_400000_NS6detail17trampoline_kernelINS0_14default_configENS1_25partition_config_selectorILNS1_17partition_subalgoE6EyNS0_10empty_typeEbEEZZNS1_14partition_implILS5_6ELb0ES3_mN6thrust23THRUST_200600_302600_NS6detail15normal_iteratorINSA_10device_ptrIyEEEEPS6_SG_NS0_5tupleIJSF_S6_EEENSH_IJSG_SG_EEES6_PlJNSB_9not_fun_tI7is_evenIyEEEEEE10hipError_tPvRmT3_T4_T5_T6_T7_T9_mT8_P12ihipStream_tbDpT10_ENKUlT_T0_E_clISt17integral_constantIbLb0EES17_IbLb1EEEEDaS13_S14_EUlS13_E_NS1_11comp_targetILNS1_3genE8ELNS1_11target_archE1030ELNS1_3gpuE2ELNS1_3repE0EEENS1_30default_config_static_selectorELNS0_4arch9wavefront6targetE0EEEvT1_.has_dyn_sized_stack, 0
	.set _ZN7rocprim17ROCPRIM_400000_NS6detail17trampoline_kernelINS0_14default_configENS1_25partition_config_selectorILNS1_17partition_subalgoE6EyNS0_10empty_typeEbEEZZNS1_14partition_implILS5_6ELb0ES3_mN6thrust23THRUST_200600_302600_NS6detail15normal_iteratorINSA_10device_ptrIyEEEEPS6_SG_NS0_5tupleIJSF_S6_EEENSH_IJSG_SG_EEES6_PlJNSB_9not_fun_tI7is_evenIyEEEEEE10hipError_tPvRmT3_T4_T5_T6_T7_T9_mT8_P12ihipStream_tbDpT10_ENKUlT_T0_E_clISt17integral_constantIbLb0EES17_IbLb1EEEEDaS13_S14_EUlS13_E_NS1_11comp_targetILNS1_3genE8ELNS1_11target_archE1030ELNS1_3gpuE2ELNS1_3repE0EEENS1_30default_config_static_selectorELNS0_4arch9wavefront6targetE0EEEvT1_.has_recursion, 0
	.set _ZN7rocprim17ROCPRIM_400000_NS6detail17trampoline_kernelINS0_14default_configENS1_25partition_config_selectorILNS1_17partition_subalgoE6EyNS0_10empty_typeEbEEZZNS1_14partition_implILS5_6ELb0ES3_mN6thrust23THRUST_200600_302600_NS6detail15normal_iteratorINSA_10device_ptrIyEEEEPS6_SG_NS0_5tupleIJSF_S6_EEENSH_IJSG_SG_EEES6_PlJNSB_9not_fun_tI7is_evenIyEEEEEE10hipError_tPvRmT3_T4_T5_T6_T7_T9_mT8_P12ihipStream_tbDpT10_ENKUlT_T0_E_clISt17integral_constantIbLb0EES17_IbLb1EEEEDaS13_S14_EUlS13_E_NS1_11comp_targetILNS1_3genE8ELNS1_11target_archE1030ELNS1_3gpuE2ELNS1_3repE0EEENS1_30default_config_static_selectorELNS0_4arch9wavefront6targetE0EEEvT1_.has_indirect_call, 0
	.section	.AMDGPU.csdata,"",@progbits
; Kernel info:
; codeLenInByte = 0
; TotalNumSgprs: 0
; NumVgprs: 0
; ScratchSize: 0
; MemoryBound: 0
; FloatMode: 240
; IeeeMode: 1
; LDSByteSize: 0 bytes/workgroup (compile time only)
; SGPRBlocks: 0
; VGPRBlocks: 0
; NumSGPRsForWavesPerEU: 1
; NumVGPRsForWavesPerEU: 1
; Occupancy: 16
; WaveLimiterHint : 0
; COMPUTE_PGM_RSRC2:SCRATCH_EN: 0
; COMPUTE_PGM_RSRC2:USER_SGPR: 2
; COMPUTE_PGM_RSRC2:TRAP_HANDLER: 0
; COMPUTE_PGM_RSRC2:TGID_X_EN: 1
; COMPUTE_PGM_RSRC2:TGID_Y_EN: 0
; COMPUTE_PGM_RSRC2:TGID_Z_EN: 0
; COMPUTE_PGM_RSRC2:TIDIG_COMP_CNT: 0
	.section	.text._ZN7rocprim17ROCPRIM_400000_NS6detail17trampoline_kernelINS0_14default_configENS1_25partition_config_selectorILNS1_17partition_subalgoE6EjNS0_10empty_typeEbEEZZNS1_14partition_implILS5_6ELb0ES3_mN6thrust23THRUST_200600_302600_NS6detail15normal_iteratorINSA_10device_ptrIjEEEEPS6_SG_NS0_5tupleIJSF_S6_EEENSH_IJSG_SG_EEES6_PlJNSB_9not_fun_tI7is_evenIjEEEEEE10hipError_tPvRmT3_T4_T5_T6_T7_T9_mT8_P12ihipStream_tbDpT10_ENKUlT_T0_E_clISt17integral_constantIbLb0EES18_EEDaS13_S14_EUlS13_E_NS1_11comp_targetILNS1_3genE0ELNS1_11target_archE4294967295ELNS1_3gpuE0ELNS1_3repE0EEENS1_30default_config_static_selectorELNS0_4arch9wavefront6targetE0EEEvT1_,"axG",@progbits,_ZN7rocprim17ROCPRIM_400000_NS6detail17trampoline_kernelINS0_14default_configENS1_25partition_config_selectorILNS1_17partition_subalgoE6EjNS0_10empty_typeEbEEZZNS1_14partition_implILS5_6ELb0ES3_mN6thrust23THRUST_200600_302600_NS6detail15normal_iteratorINSA_10device_ptrIjEEEEPS6_SG_NS0_5tupleIJSF_S6_EEENSH_IJSG_SG_EEES6_PlJNSB_9not_fun_tI7is_evenIjEEEEEE10hipError_tPvRmT3_T4_T5_T6_T7_T9_mT8_P12ihipStream_tbDpT10_ENKUlT_T0_E_clISt17integral_constantIbLb0EES18_EEDaS13_S14_EUlS13_E_NS1_11comp_targetILNS1_3genE0ELNS1_11target_archE4294967295ELNS1_3gpuE0ELNS1_3repE0EEENS1_30default_config_static_selectorELNS0_4arch9wavefront6targetE0EEEvT1_,comdat
	.protected	_ZN7rocprim17ROCPRIM_400000_NS6detail17trampoline_kernelINS0_14default_configENS1_25partition_config_selectorILNS1_17partition_subalgoE6EjNS0_10empty_typeEbEEZZNS1_14partition_implILS5_6ELb0ES3_mN6thrust23THRUST_200600_302600_NS6detail15normal_iteratorINSA_10device_ptrIjEEEEPS6_SG_NS0_5tupleIJSF_S6_EEENSH_IJSG_SG_EEES6_PlJNSB_9not_fun_tI7is_evenIjEEEEEE10hipError_tPvRmT3_T4_T5_T6_T7_T9_mT8_P12ihipStream_tbDpT10_ENKUlT_T0_E_clISt17integral_constantIbLb0EES18_EEDaS13_S14_EUlS13_E_NS1_11comp_targetILNS1_3genE0ELNS1_11target_archE4294967295ELNS1_3gpuE0ELNS1_3repE0EEENS1_30default_config_static_selectorELNS0_4arch9wavefront6targetE0EEEvT1_ ; -- Begin function _ZN7rocprim17ROCPRIM_400000_NS6detail17trampoline_kernelINS0_14default_configENS1_25partition_config_selectorILNS1_17partition_subalgoE6EjNS0_10empty_typeEbEEZZNS1_14partition_implILS5_6ELb0ES3_mN6thrust23THRUST_200600_302600_NS6detail15normal_iteratorINSA_10device_ptrIjEEEEPS6_SG_NS0_5tupleIJSF_S6_EEENSH_IJSG_SG_EEES6_PlJNSB_9not_fun_tI7is_evenIjEEEEEE10hipError_tPvRmT3_T4_T5_T6_T7_T9_mT8_P12ihipStream_tbDpT10_ENKUlT_T0_E_clISt17integral_constantIbLb0EES18_EEDaS13_S14_EUlS13_E_NS1_11comp_targetILNS1_3genE0ELNS1_11target_archE4294967295ELNS1_3gpuE0ELNS1_3repE0EEENS1_30default_config_static_selectorELNS0_4arch9wavefront6targetE0EEEvT1_
	.globl	_ZN7rocprim17ROCPRIM_400000_NS6detail17trampoline_kernelINS0_14default_configENS1_25partition_config_selectorILNS1_17partition_subalgoE6EjNS0_10empty_typeEbEEZZNS1_14partition_implILS5_6ELb0ES3_mN6thrust23THRUST_200600_302600_NS6detail15normal_iteratorINSA_10device_ptrIjEEEEPS6_SG_NS0_5tupleIJSF_S6_EEENSH_IJSG_SG_EEES6_PlJNSB_9not_fun_tI7is_evenIjEEEEEE10hipError_tPvRmT3_T4_T5_T6_T7_T9_mT8_P12ihipStream_tbDpT10_ENKUlT_T0_E_clISt17integral_constantIbLb0EES18_EEDaS13_S14_EUlS13_E_NS1_11comp_targetILNS1_3genE0ELNS1_11target_archE4294967295ELNS1_3gpuE0ELNS1_3repE0EEENS1_30default_config_static_selectorELNS0_4arch9wavefront6targetE0EEEvT1_
	.p2align	8
	.type	_ZN7rocprim17ROCPRIM_400000_NS6detail17trampoline_kernelINS0_14default_configENS1_25partition_config_selectorILNS1_17partition_subalgoE6EjNS0_10empty_typeEbEEZZNS1_14partition_implILS5_6ELb0ES3_mN6thrust23THRUST_200600_302600_NS6detail15normal_iteratorINSA_10device_ptrIjEEEEPS6_SG_NS0_5tupleIJSF_S6_EEENSH_IJSG_SG_EEES6_PlJNSB_9not_fun_tI7is_evenIjEEEEEE10hipError_tPvRmT3_T4_T5_T6_T7_T9_mT8_P12ihipStream_tbDpT10_ENKUlT_T0_E_clISt17integral_constantIbLb0EES18_EEDaS13_S14_EUlS13_E_NS1_11comp_targetILNS1_3genE0ELNS1_11target_archE4294967295ELNS1_3gpuE0ELNS1_3repE0EEENS1_30default_config_static_selectorELNS0_4arch9wavefront6targetE0EEEvT1_,@function
_ZN7rocprim17ROCPRIM_400000_NS6detail17trampoline_kernelINS0_14default_configENS1_25partition_config_selectorILNS1_17partition_subalgoE6EjNS0_10empty_typeEbEEZZNS1_14partition_implILS5_6ELb0ES3_mN6thrust23THRUST_200600_302600_NS6detail15normal_iteratorINSA_10device_ptrIjEEEEPS6_SG_NS0_5tupleIJSF_S6_EEENSH_IJSG_SG_EEES6_PlJNSB_9not_fun_tI7is_evenIjEEEEEE10hipError_tPvRmT3_T4_T5_T6_T7_T9_mT8_P12ihipStream_tbDpT10_ENKUlT_T0_E_clISt17integral_constantIbLb0EES18_EEDaS13_S14_EUlS13_E_NS1_11comp_targetILNS1_3genE0ELNS1_11target_archE4294967295ELNS1_3gpuE0ELNS1_3repE0EEENS1_30default_config_static_selectorELNS0_4arch9wavefront6targetE0EEEvT1_: ; @_ZN7rocprim17ROCPRIM_400000_NS6detail17trampoline_kernelINS0_14default_configENS1_25partition_config_selectorILNS1_17partition_subalgoE6EjNS0_10empty_typeEbEEZZNS1_14partition_implILS5_6ELb0ES3_mN6thrust23THRUST_200600_302600_NS6detail15normal_iteratorINSA_10device_ptrIjEEEEPS6_SG_NS0_5tupleIJSF_S6_EEENSH_IJSG_SG_EEES6_PlJNSB_9not_fun_tI7is_evenIjEEEEEE10hipError_tPvRmT3_T4_T5_T6_T7_T9_mT8_P12ihipStream_tbDpT10_ENKUlT_T0_E_clISt17integral_constantIbLb0EES18_EEDaS13_S14_EUlS13_E_NS1_11comp_targetILNS1_3genE0ELNS1_11target_archE4294967295ELNS1_3gpuE0ELNS1_3repE0EEENS1_30default_config_static_selectorELNS0_4arch9wavefront6targetE0EEEvT1_
; %bb.0:
	.section	.rodata,"a",@progbits
	.p2align	6, 0x0
	.amdhsa_kernel _ZN7rocprim17ROCPRIM_400000_NS6detail17trampoline_kernelINS0_14default_configENS1_25partition_config_selectorILNS1_17partition_subalgoE6EjNS0_10empty_typeEbEEZZNS1_14partition_implILS5_6ELb0ES3_mN6thrust23THRUST_200600_302600_NS6detail15normal_iteratorINSA_10device_ptrIjEEEEPS6_SG_NS0_5tupleIJSF_S6_EEENSH_IJSG_SG_EEES6_PlJNSB_9not_fun_tI7is_evenIjEEEEEE10hipError_tPvRmT3_T4_T5_T6_T7_T9_mT8_P12ihipStream_tbDpT10_ENKUlT_T0_E_clISt17integral_constantIbLb0EES18_EEDaS13_S14_EUlS13_E_NS1_11comp_targetILNS1_3genE0ELNS1_11target_archE4294967295ELNS1_3gpuE0ELNS1_3repE0EEENS1_30default_config_static_selectorELNS0_4arch9wavefront6targetE0EEEvT1_
		.amdhsa_group_segment_fixed_size 0
		.amdhsa_private_segment_fixed_size 0
		.amdhsa_kernarg_size 112
		.amdhsa_user_sgpr_count 2
		.amdhsa_user_sgpr_dispatch_ptr 0
		.amdhsa_user_sgpr_queue_ptr 0
		.amdhsa_user_sgpr_kernarg_segment_ptr 1
		.amdhsa_user_sgpr_dispatch_id 0
		.amdhsa_user_sgpr_private_segment_size 0
		.amdhsa_wavefront_size32 1
		.amdhsa_uses_dynamic_stack 0
		.amdhsa_enable_private_segment 0
		.amdhsa_system_sgpr_workgroup_id_x 1
		.amdhsa_system_sgpr_workgroup_id_y 0
		.amdhsa_system_sgpr_workgroup_id_z 0
		.amdhsa_system_sgpr_workgroup_info 0
		.amdhsa_system_vgpr_workitem_id 0
		.amdhsa_next_free_vgpr 1
		.amdhsa_next_free_sgpr 1
		.amdhsa_reserve_vcc 0
		.amdhsa_float_round_mode_32 0
		.amdhsa_float_round_mode_16_64 0
		.amdhsa_float_denorm_mode_32 3
		.amdhsa_float_denorm_mode_16_64 3
		.amdhsa_fp16_overflow 0
		.amdhsa_workgroup_processor_mode 1
		.amdhsa_memory_ordered 1
		.amdhsa_forward_progress 1
		.amdhsa_inst_pref_size 0
		.amdhsa_round_robin_scheduling 0
		.amdhsa_exception_fp_ieee_invalid_op 0
		.amdhsa_exception_fp_denorm_src 0
		.amdhsa_exception_fp_ieee_div_zero 0
		.amdhsa_exception_fp_ieee_overflow 0
		.amdhsa_exception_fp_ieee_underflow 0
		.amdhsa_exception_fp_ieee_inexact 0
		.amdhsa_exception_int_div_zero 0
	.end_amdhsa_kernel
	.section	.text._ZN7rocprim17ROCPRIM_400000_NS6detail17trampoline_kernelINS0_14default_configENS1_25partition_config_selectorILNS1_17partition_subalgoE6EjNS0_10empty_typeEbEEZZNS1_14partition_implILS5_6ELb0ES3_mN6thrust23THRUST_200600_302600_NS6detail15normal_iteratorINSA_10device_ptrIjEEEEPS6_SG_NS0_5tupleIJSF_S6_EEENSH_IJSG_SG_EEES6_PlJNSB_9not_fun_tI7is_evenIjEEEEEE10hipError_tPvRmT3_T4_T5_T6_T7_T9_mT8_P12ihipStream_tbDpT10_ENKUlT_T0_E_clISt17integral_constantIbLb0EES18_EEDaS13_S14_EUlS13_E_NS1_11comp_targetILNS1_3genE0ELNS1_11target_archE4294967295ELNS1_3gpuE0ELNS1_3repE0EEENS1_30default_config_static_selectorELNS0_4arch9wavefront6targetE0EEEvT1_,"axG",@progbits,_ZN7rocprim17ROCPRIM_400000_NS6detail17trampoline_kernelINS0_14default_configENS1_25partition_config_selectorILNS1_17partition_subalgoE6EjNS0_10empty_typeEbEEZZNS1_14partition_implILS5_6ELb0ES3_mN6thrust23THRUST_200600_302600_NS6detail15normal_iteratorINSA_10device_ptrIjEEEEPS6_SG_NS0_5tupleIJSF_S6_EEENSH_IJSG_SG_EEES6_PlJNSB_9not_fun_tI7is_evenIjEEEEEE10hipError_tPvRmT3_T4_T5_T6_T7_T9_mT8_P12ihipStream_tbDpT10_ENKUlT_T0_E_clISt17integral_constantIbLb0EES18_EEDaS13_S14_EUlS13_E_NS1_11comp_targetILNS1_3genE0ELNS1_11target_archE4294967295ELNS1_3gpuE0ELNS1_3repE0EEENS1_30default_config_static_selectorELNS0_4arch9wavefront6targetE0EEEvT1_,comdat
.Lfunc_end629:
	.size	_ZN7rocprim17ROCPRIM_400000_NS6detail17trampoline_kernelINS0_14default_configENS1_25partition_config_selectorILNS1_17partition_subalgoE6EjNS0_10empty_typeEbEEZZNS1_14partition_implILS5_6ELb0ES3_mN6thrust23THRUST_200600_302600_NS6detail15normal_iteratorINSA_10device_ptrIjEEEEPS6_SG_NS0_5tupleIJSF_S6_EEENSH_IJSG_SG_EEES6_PlJNSB_9not_fun_tI7is_evenIjEEEEEE10hipError_tPvRmT3_T4_T5_T6_T7_T9_mT8_P12ihipStream_tbDpT10_ENKUlT_T0_E_clISt17integral_constantIbLb0EES18_EEDaS13_S14_EUlS13_E_NS1_11comp_targetILNS1_3genE0ELNS1_11target_archE4294967295ELNS1_3gpuE0ELNS1_3repE0EEENS1_30default_config_static_selectorELNS0_4arch9wavefront6targetE0EEEvT1_, .Lfunc_end629-_ZN7rocprim17ROCPRIM_400000_NS6detail17trampoline_kernelINS0_14default_configENS1_25partition_config_selectorILNS1_17partition_subalgoE6EjNS0_10empty_typeEbEEZZNS1_14partition_implILS5_6ELb0ES3_mN6thrust23THRUST_200600_302600_NS6detail15normal_iteratorINSA_10device_ptrIjEEEEPS6_SG_NS0_5tupleIJSF_S6_EEENSH_IJSG_SG_EEES6_PlJNSB_9not_fun_tI7is_evenIjEEEEEE10hipError_tPvRmT3_T4_T5_T6_T7_T9_mT8_P12ihipStream_tbDpT10_ENKUlT_T0_E_clISt17integral_constantIbLb0EES18_EEDaS13_S14_EUlS13_E_NS1_11comp_targetILNS1_3genE0ELNS1_11target_archE4294967295ELNS1_3gpuE0ELNS1_3repE0EEENS1_30default_config_static_selectorELNS0_4arch9wavefront6targetE0EEEvT1_
                                        ; -- End function
	.set _ZN7rocprim17ROCPRIM_400000_NS6detail17trampoline_kernelINS0_14default_configENS1_25partition_config_selectorILNS1_17partition_subalgoE6EjNS0_10empty_typeEbEEZZNS1_14partition_implILS5_6ELb0ES3_mN6thrust23THRUST_200600_302600_NS6detail15normal_iteratorINSA_10device_ptrIjEEEEPS6_SG_NS0_5tupleIJSF_S6_EEENSH_IJSG_SG_EEES6_PlJNSB_9not_fun_tI7is_evenIjEEEEEE10hipError_tPvRmT3_T4_T5_T6_T7_T9_mT8_P12ihipStream_tbDpT10_ENKUlT_T0_E_clISt17integral_constantIbLb0EES18_EEDaS13_S14_EUlS13_E_NS1_11comp_targetILNS1_3genE0ELNS1_11target_archE4294967295ELNS1_3gpuE0ELNS1_3repE0EEENS1_30default_config_static_selectorELNS0_4arch9wavefront6targetE0EEEvT1_.num_vgpr, 0
	.set _ZN7rocprim17ROCPRIM_400000_NS6detail17trampoline_kernelINS0_14default_configENS1_25partition_config_selectorILNS1_17partition_subalgoE6EjNS0_10empty_typeEbEEZZNS1_14partition_implILS5_6ELb0ES3_mN6thrust23THRUST_200600_302600_NS6detail15normal_iteratorINSA_10device_ptrIjEEEEPS6_SG_NS0_5tupleIJSF_S6_EEENSH_IJSG_SG_EEES6_PlJNSB_9not_fun_tI7is_evenIjEEEEEE10hipError_tPvRmT3_T4_T5_T6_T7_T9_mT8_P12ihipStream_tbDpT10_ENKUlT_T0_E_clISt17integral_constantIbLb0EES18_EEDaS13_S14_EUlS13_E_NS1_11comp_targetILNS1_3genE0ELNS1_11target_archE4294967295ELNS1_3gpuE0ELNS1_3repE0EEENS1_30default_config_static_selectorELNS0_4arch9wavefront6targetE0EEEvT1_.num_agpr, 0
	.set _ZN7rocprim17ROCPRIM_400000_NS6detail17trampoline_kernelINS0_14default_configENS1_25partition_config_selectorILNS1_17partition_subalgoE6EjNS0_10empty_typeEbEEZZNS1_14partition_implILS5_6ELb0ES3_mN6thrust23THRUST_200600_302600_NS6detail15normal_iteratorINSA_10device_ptrIjEEEEPS6_SG_NS0_5tupleIJSF_S6_EEENSH_IJSG_SG_EEES6_PlJNSB_9not_fun_tI7is_evenIjEEEEEE10hipError_tPvRmT3_T4_T5_T6_T7_T9_mT8_P12ihipStream_tbDpT10_ENKUlT_T0_E_clISt17integral_constantIbLb0EES18_EEDaS13_S14_EUlS13_E_NS1_11comp_targetILNS1_3genE0ELNS1_11target_archE4294967295ELNS1_3gpuE0ELNS1_3repE0EEENS1_30default_config_static_selectorELNS0_4arch9wavefront6targetE0EEEvT1_.numbered_sgpr, 0
	.set _ZN7rocprim17ROCPRIM_400000_NS6detail17trampoline_kernelINS0_14default_configENS1_25partition_config_selectorILNS1_17partition_subalgoE6EjNS0_10empty_typeEbEEZZNS1_14partition_implILS5_6ELb0ES3_mN6thrust23THRUST_200600_302600_NS6detail15normal_iteratorINSA_10device_ptrIjEEEEPS6_SG_NS0_5tupleIJSF_S6_EEENSH_IJSG_SG_EEES6_PlJNSB_9not_fun_tI7is_evenIjEEEEEE10hipError_tPvRmT3_T4_T5_T6_T7_T9_mT8_P12ihipStream_tbDpT10_ENKUlT_T0_E_clISt17integral_constantIbLb0EES18_EEDaS13_S14_EUlS13_E_NS1_11comp_targetILNS1_3genE0ELNS1_11target_archE4294967295ELNS1_3gpuE0ELNS1_3repE0EEENS1_30default_config_static_selectorELNS0_4arch9wavefront6targetE0EEEvT1_.num_named_barrier, 0
	.set _ZN7rocprim17ROCPRIM_400000_NS6detail17trampoline_kernelINS0_14default_configENS1_25partition_config_selectorILNS1_17partition_subalgoE6EjNS0_10empty_typeEbEEZZNS1_14partition_implILS5_6ELb0ES3_mN6thrust23THRUST_200600_302600_NS6detail15normal_iteratorINSA_10device_ptrIjEEEEPS6_SG_NS0_5tupleIJSF_S6_EEENSH_IJSG_SG_EEES6_PlJNSB_9not_fun_tI7is_evenIjEEEEEE10hipError_tPvRmT3_T4_T5_T6_T7_T9_mT8_P12ihipStream_tbDpT10_ENKUlT_T0_E_clISt17integral_constantIbLb0EES18_EEDaS13_S14_EUlS13_E_NS1_11comp_targetILNS1_3genE0ELNS1_11target_archE4294967295ELNS1_3gpuE0ELNS1_3repE0EEENS1_30default_config_static_selectorELNS0_4arch9wavefront6targetE0EEEvT1_.private_seg_size, 0
	.set _ZN7rocprim17ROCPRIM_400000_NS6detail17trampoline_kernelINS0_14default_configENS1_25partition_config_selectorILNS1_17partition_subalgoE6EjNS0_10empty_typeEbEEZZNS1_14partition_implILS5_6ELb0ES3_mN6thrust23THRUST_200600_302600_NS6detail15normal_iteratorINSA_10device_ptrIjEEEEPS6_SG_NS0_5tupleIJSF_S6_EEENSH_IJSG_SG_EEES6_PlJNSB_9not_fun_tI7is_evenIjEEEEEE10hipError_tPvRmT3_T4_T5_T6_T7_T9_mT8_P12ihipStream_tbDpT10_ENKUlT_T0_E_clISt17integral_constantIbLb0EES18_EEDaS13_S14_EUlS13_E_NS1_11comp_targetILNS1_3genE0ELNS1_11target_archE4294967295ELNS1_3gpuE0ELNS1_3repE0EEENS1_30default_config_static_selectorELNS0_4arch9wavefront6targetE0EEEvT1_.uses_vcc, 0
	.set _ZN7rocprim17ROCPRIM_400000_NS6detail17trampoline_kernelINS0_14default_configENS1_25partition_config_selectorILNS1_17partition_subalgoE6EjNS0_10empty_typeEbEEZZNS1_14partition_implILS5_6ELb0ES3_mN6thrust23THRUST_200600_302600_NS6detail15normal_iteratorINSA_10device_ptrIjEEEEPS6_SG_NS0_5tupleIJSF_S6_EEENSH_IJSG_SG_EEES6_PlJNSB_9not_fun_tI7is_evenIjEEEEEE10hipError_tPvRmT3_T4_T5_T6_T7_T9_mT8_P12ihipStream_tbDpT10_ENKUlT_T0_E_clISt17integral_constantIbLb0EES18_EEDaS13_S14_EUlS13_E_NS1_11comp_targetILNS1_3genE0ELNS1_11target_archE4294967295ELNS1_3gpuE0ELNS1_3repE0EEENS1_30default_config_static_selectorELNS0_4arch9wavefront6targetE0EEEvT1_.uses_flat_scratch, 0
	.set _ZN7rocprim17ROCPRIM_400000_NS6detail17trampoline_kernelINS0_14default_configENS1_25partition_config_selectorILNS1_17partition_subalgoE6EjNS0_10empty_typeEbEEZZNS1_14partition_implILS5_6ELb0ES3_mN6thrust23THRUST_200600_302600_NS6detail15normal_iteratorINSA_10device_ptrIjEEEEPS6_SG_NS0_5tupleIJSF_S6_EEENSH_IJSG_SG_EEES6_PlJNSB_9not_fun_tI7is_evenIjEEEEEE10hipError_tPvRmT3_T4_T5_T6_T7_T9_mT8_P12ihipStream_tbDpT10_ENKUlT_T0_E_clISt17integral_constantIbLb0EES18_EEDaS13_S14_EUlS13_E_NS1_11comp_targetILNS1_3genE0ELNS1_11target_archE4294967295ELNS1_3gpuE0ELNS1_3repE0EEENS1_30default_config_static_selectorELNS0_4arch9wavefront6targetE0EEEvT1_.has_dyn_sized_stack, 0
	.set _ZN7rocprim17ROCPRIM_400000_NS6detail17trampoline_kernelINS0_14default_configENS1_25partition_config_selectorILNS1_17partition_subalgoE6EjNS0_10empty_typeEbEEZZNS1_14partition_implILS5_6ELb0ES3_mN6thrust23THRUST_200600_302600_NS6detail15normal_iteratorINSA_10device_ptrIjEEEEPS6_SG_NS0_5tupleIJSF_S6_EEENSH_IJSG_SG_EEES6_PlJNSB_9not_fun_tI7is_evenIjEEEEEE10hipError_tPvRmT3_T4_T5_T6_T7_T9_mT8_P12ihipStream_tbDpT10_ENKUlT_T0_E_clISt17integral_constantIbLb0EES18_EEDaS13_S14_EUlS13_E_NS1_11comp_targetILNS1_3genE0ELNS1_11target_archE4294967295ELNS1_3gpuE0ELNS1_3repE0EEENS1_30default_config_static_selectorELNS0_4arch9wavefront6targetE0EEEvT1_.has_recursion, 0
	.set _ZN7rocprim17ROCPRIM_400000_NS6detail17trampoline_kernelINS0_14default_configENS1_25partition_config_selectorILNS1_17partition_subalgoE6EjNS0_10empty_typeEbEEZZNS1_14partition_implILS5_6ELb0ES3_mN6thrust23THRUST_200600_302600_NS6detail15normal_iteratorINSA_10device_ptrIjEEEEPS6_SG_NS0_5tupleIJSF_S6_EEENSH_IJSG_SG_EEES6_PlJNSB_9not_fun_tI7is_evenIjEEEEEE10hipError_tPvRmT3_T4_T5_T6_T7_T9_mT8_P12ihipStream_tbDpT10_ENKUlT_T0_E_clISt17integral_constantIbLb0EES18_EEDaS13_S14_EUlS13_E_NS1_11comp_targetILNS1_3genE0ELNS1_11target_archE4294967295ELNS1_3gpuE0ELNS1_3repE0EEENS1_30default_config_static_selectorELNS0_4arch9wavefront6targetE0EEEvT1_.has_indirect_call, 0
	.section	.AMDGPU.csdata,"",@progbits
; Kernel info:
; codeLenInByte = 0
; TotalNumSgprs: 0
; NumVgprs: 0
; ScratchSize: 0
; MemoryBound: 0
; FloatMode: 240
; IeeeMode: 1
; LDSByteSize: 0 bytes/workgroup (compile time only)
; SGPRBlocks: 0
; VGPRBlocks: 0
; NumSGPRsForWavesPerEU: 1
; NumVGPRsForWavesPerEU: 1
; Occupancy: 16
; WaveLimiterHint : 0
; COMPUTE_PGM_RSRC2:SCRATCH_EN: 0
; COMPUTE_PGM_RSRC2:USER_SGPR: 2
; COMPUTE_PGM_RSRC2:TRAP_HANDLER: 0
; COMPUTE_PGM_RSRC2:TGID_X_EN: 1
; COMPUTE_PGM_RSRC2:TGID_Y_EN: 0
; COMPUTE_PGM_RSRC2:TGID_Z_EN: 0
; COMPUTE_PGM_RSRC2:TIDIG_COMP_CNT: 0
	.section	.text._ZN7rocprim17ROCPRIM_400000_NS6detail17trampoline_kernelINS0_14default_configENS1_25partition_config_selectorILNS1_17partition_subalgoE6EjNS0_10empty_typeEbEEZZNS1_14partition_implILS5_6ELb0ES3_mN6thrust23THRUST_200600_302600_NS6detail15normal_iteratorINSA_10device_ptrIjEEEEPS6_SG_NS0_5tupleIJSF_S6_EEENSH_IJSG_SG_EEES6_PlJNSB_9not_fun_tI7is_evenIjEEEEEE10hipError_tPvRmT3_T4_T5_T6_T7_T9_mT8_P12ihipStream_tbDpT10_ENKUlT_T0_E_clISt17integral_constantIbLb0EES18_EEDaS13_S14_EUlS13_E_NS1_11comp_targetILNS1_3genE5ELNS1_11target_archE942ELNS1_3gpuE9ELNS1_3repE0EEENS1_30default_config_static_selectorELNS0_4arch9wavefront6targetE0EEEvT1_,"axG",@progbits,_ZN7rocprim17ROCPRIM_400000_NS6detail17trampoline_kernelINS0_14default_configENS1_25partition_config_selectorILNS1_17partition_subalgoE6EjNS0_10empty_typeEbEEZZNS1_14partition_implILS5_6ELb0ES3_mN6thrust23THRUST_200600_302600_NS6detail15normal_iteratorINSA_10device_ptrIjEEEEPS6_SG_NS0_5tupleIJSF_S6_EEENSH_IJSG_SG_EEES6_PlJNSB_9not_fun_tI7is_evenIjEEEEEE10hipError_tPvRmT3_T4_T5_T6_T7_T9_mT8_P12ihipStream_tbDpT10_ENKUlT_T0_E_clISt17integral_constantIbLb0EES18_EEDaS13_S14_EUlS13_E_NS1_11comp_targetILNS1_3genE5ELNS1_11target_archE942ELNS1_3gpuE9ELNS1_3repE0EEENS1_30default_config_static_selectorELNS0_4arch9wavefront6targetE0EEEvT1_,comdat
	.protected	_ZN7rocprim17ROCPRIM_400000_NS6detail17trampoline_kernelINS0_14default_configENS1_25partition_config_selectorILNS1_17partition_subalgoE6EjNS0_10empty_typeEbEEZZNS1_14partition_implILS5_6ELb0ES3_mN6thrust23THRUST_200600_302600_NS6detail15normal_iteratorINSA_10device_ptrIjEEEEPS6_SG_NS0_5tupleIJSF_S6_EEENSH_IJSG_SG_EEES6_PlJNSB_9not_fun_tI7is_evenIjEEEEEE10hipError_tPvRmT3_T4_T5_T6_T7_T9_mT8_P12ihipStream_tbDpT10_ENKUlT_T0_E_clISt17integral_constantIbLb0EES18_EEDaS13_S14_EUlS13_E_NS1_11comp_targetILNS1_3genE5ELNS1_11target_archE942ELNS1_3gpuE9ELNS1_3repE0EEENS1_30default_config_static_selectorELNS0_4arch9wavefront6targetE0EEEvT1_ ; -- Begin function _ZN7rocprim17ROCPRIM_400000_NS6detail17trampoline_kernelINS0_14default_configENS1_25partition_config_selectorILNS1_17partition_subalgoE6EjNS0_10empty_typeEbEEZZNS1_14partition_implILS5_6ELb0ES3_mN6thrust23THRUST_200600_302600_NS6detail15normal_iteratorINSA_10device_ptrIjEEEEPS6_SG_NS0_5tupleIJSF_S6_EEENSH_IJSG_SG_EEES6_PlJNSB_9not_fun_tI7is_evenIjEEEEEE10hipError_tPvRmT3_T4_T5_T6_T7_T9_mT8_P12ihipStream_tbDpT10_ENKUlT_T0_E_clISt17integral_constantIbLb0EES18_EEDaS13_S14_EUlS13_E_NS1_11comp_targetILNS1_3genE5ELNS1_11target_archE942ELNS1_3gpuE9ELNS1_3repE0EEENS1_30default_config_static_selectorELNS0_4arch9wavefront6targetE0EEEvT1_
	.globl	_ZN7rocprim17ROCPRIM_400000_NS6detail17trampoline_kernelINS0_14default_configENS1_25partition_config_selectorILNS1_17partition_subalgoE6EjNS0_10empty_typeEbEEZZNS1_14partition_implILS5_6ELb0ES3_mN6thrust23THRUST_200600_302600_NS6detail15normal_iteratorINSA_10device_ptrIjEEEEPS6_SG_NS0_5tupleIJSF_S6_EEENSH_IJSG_SG_EEES6_PlJNSB_9not_fun_tI7is_evenIjEEEEEE10hipError_tPvRmT3_T4_T5_T6_T7_T9_mT8_P12ihipStream_tbDpT10_ENKUlT_T0_E_clISt17integral_constantIbLb0EES18_EEDaS13_S14_EUlS13_E_NS1_11comp_targetILNS1_3genE5ELNS1_11target_archE942ELNS1_3gpuE9ELNS1_3repE0EEENS1_30default_config_static_selectorELNS0_4arch9wavefront6targetE0EEEvT1_
	.p2align	8
	.type	_ZN7rocprim17ROCPRIM_400000_NS6detail17trampoline_kernelINS0_14default_configENS1_25partition_config_selectorILNS1_17partition_subalgoE6EjNS0_10empty_typeEbEEZZNS1_14partition_implILS5_6ELb0ES3_mN6thrust23THRUST_200600_302600_NS6detail15normal_iteratorINSA_10device_ptrIjEEEEPS6_SG_NS0_5tupleIJSF_S6_EEENSH_IJSG_SG_EEES6_PlJNSB_9not_fun_tI7is_evenIjEEEEEE10hipError_tPvRmT3_T4_T5_T6_T7_T9_mT8_P12ihipStream_tbDpT10_ENKUlT_T0_E_clISt17integral_constantIbLb0EES18_EEDaS13_S14_EUlS13_E_NS1_11comp_targetILNS1_3genE5ELNS1_11target_archE942ELNS1_3gpuE9ELNS1_3repE0EEENS1_30default_config_static_selectorELNS0_4arch9wavefront6targetE0EEEvT1_,@function
_ZN7rocprim17ROCPRIM_400000_NS6detail17trampoline_kernelINS0_14default_configENS1_25partition_config_selectorILNS1_17partition_subalgoE6EjNS0_10empty_typeEbEEZZNS1_14partition_implILS5_6ELb0ES3_mN6thrust23THRUST_200600_302600_NS6detail15normal_iteratorINSA_10device_ptrIjEEEEPS6_SG_NS0_5tupleIJSF_S6_EEENSH_IJSG_SG_EEES6_PlJNSB_9not_fun_tI7is_evenIjEEEEEE10hipError_tPvRmT3_T4_T5_T6_T7_T9_mT8_P12ihipStream_tbDpT10_ENKUlT_T0_E_clISt17integral_constantIbLb0EES18_EEDaS13_S14_EUlS13_E_NS1_11comp_targetILNS1_3genE5ELNS1_11target_archE942ELNS1_3gpuE9ELNS1_3repE0EEENS1_30default_config_static_selectorELNS0_4arch9wavefront6targetE0EEEvT1_: ; @_ZN7rocprim17ROCPRIM_400000_NS6detail17trampoline_kernelINS0_14default_configENS1_25partition_config_selectorILNS1_17partition_subalgoE6EjNS0_10empty_typeEbEEZZNS1_14partition_implILS5_6ELb0ES3_mN6thrust23THRUST_200600_302600_NS6detail15normal_iteratorINSA_10device_ptrIjEEEEPS6_SG_NS0_5tupleIJSF_S6_EEENSH_IJSG_SG_EEES6_PlJNSB_9not_fun_tI7is_evenIjEEEEEE10hipError_tPvRmT3_T4_T5_T6_T7_T9_mT8_P12ihipStream_tbDpT10_ENKUlT_T0_E_clISt17integral_constantIbLb0EES18_EEDaS13_S14_EUlS13_E_NS1_11comp_targetILNS1_3genE5ELNS1_11target_archE942ELNS1_3gpuE9ELNS1_3repE0EEENS1_30default_config_static_selectorELNS0_4arch9wavefront6targetE0EEEvT1_
; %bb.0:
	.section	.rodata,"a",@progbits
	.p2align	6, 0x0
	.amdhsa_kernel _ZN7rocprim17ROCPRIM_400000_NS6detail17trampoline_kernelINS0_14default_configENS1_25partition_config_selectorILNS1_17partition_subalgoE6EjNS0_10empty_typeEbEEZZNS1_14partition_implILS5_6ELb0ES3_mN6thrust23THRUST_200600_302600_NS6detail15normal_iteratorINSA_10device_ptrIjEEEEPS6_SG_NS0_5tupleIJSF_S6_EEENSH_IJSG_SG_EEES6_PlJNSB_9not_fun_tI7is_evenIjEEEEEE10hipError_tPvRmT3_T4_T5_T6_T7_T9_mT8_P12ihipStream_tbDpT10_ENKUlT_T0_E_clISt17integral_constantIbLb0EES18_EEDaS13_S14_EUlS13_E_NS1_11comp_targetILNS1_3genE5ELNS1_11target_archE942ELNS1_3gpuE9ELNS1_3repE0EEENS1_30default_config_static_selectorELNS0_4arch9wavefront6targetE0EEEvT1_
		.amdhsa_group_segment_fixed_size 0
		.amdhsa_private_segment_fixed_size 0
		.amdhsa_kernarg_size 112
		.amdhsa_user_sgpr_count 2
		.amdhsa_user_sgpr_dispatch_ptr 0
		.amdhsa_user_sgpr_queue_ptr 0
		.amdhsa_user_sgpr_kernarg_segment_ptr 1
		.amdhsa_user_sgpr_dispatch_id 0
		.amdhsa_user_sgpr_private_segment_size 0
		.amdhsa_wavefront_size32 1
		.amdhsa_uses_dynamic_stack 0
		.amdhsa_enable_private_segment 0
		.amdhsa_system_sgpr_workgroup_id_x 1
		.amdhsa_system_sgpr_workgroup_id_y 0
		.amdhsa_system_sgpr_workgroup_id_z 0
		.amdhsa_system_sgpr_workgroup_info 0
		.amdhsa_system_vgpr_workitem_id 0
		.amdhsa_next_free_vgpr 1
		.amdhsa_next_free_sgpr 1
		.amdhsa_reserve_vcc 0
		.amdhsa_float_round_mode_32 0
		.amdhsa_float_round_mode_16_64 0
		.amdhsa_float_denorm_mode_32 3
		.amdhsa_float_denorm_mode_16_64 3
		.amdhsa_fp16_overflow 0
		.amdhsa_workgroup_processor_mode 1
		.amdhsa_memory_ordered 1
		.amdhsa_forward_progress 1
		.amdhsa_inst_pref_size 0
		.amdhsa_round_robin_scheduling 0
		.amdhsa_exception_fp_ieee_invalid_op 0
		.amdhsa_exception_fp_denorm_src 0
		.amdhsa_exception_fp_ieee_div_zero 0
		.amdhsa_exception_fp_ieee_overflow 0
		.amdhsa_exception_fp_ieee_underflow 0
		.amdhsa_exception_fp_ieee_inexact 0
		.amdhsa_exception_int_div_zero 0
	.end_amdhsa_kernel
	.section	.text._ZN7rocprim17ROCPRIM_400000_NS6detail17trampoline_kernelINS0_14default_configENS1_25partition_config_selectorILNS1_17partition_subalgoE6EjNS0_10empty_typeEbEEZZNS1_14partition_implILS5_6ELb0ES3_mN6thrust23THRUST_200600_302600_NS6detail15normal_iteratorINSA_10device_ptrIjEEEEPS6_SG_NS0_5tupleIJSF_S6_EEENSH_IJSG_SG_EEES6_PlJNSB_9not_fun_tI7is_evenIjEEEEEE10hipError_tPvRmT3_T4_T5_T6_T7_T9_mT8_P12ihipStream_tbDpT10_ENKUlT_T0_E_clISt17integral_constantIbLb0EES18_EEDaS13_S14_EUlS13_E_NS1_11comp_targetILNS1_3genE5ELNS1_11target_archE942ELNS1_3gpuE9ELNS1_3repE0EEENS1_30default_config_static_selectorELNS0_4arch9wavefront6targetE0EEEvT1_,"axG",@progbits,_ZN7rocprim17ROCPRIM_400000_NS6detail17trampoline_kernelINS0_14default_configENS1_25partition_config_selectorILNS1_17partition_subalgoE6EjNS0_10empty_typeEbEEZZNS1_14partition_implILS5_6ELb0ES3_mN6thrust23THRUST_200600_302600_NS6detail15normal_iteratorINSA_10device_ptrIjEEEEPS6_SG_NS0_5tupleIJSF_S6_EEENSH_IJSG_SG_EEES6_PlJNSB_9not_fun_tI7is_evenIjEEEEEE10hipError_tPvRmT3_T4_T5_T6_T7_T9_mT8_P12ihipStream_tbDpT10_ENKUlT_T0_E_clISt17integral_constantIbLb0EES18_EEDaS13_S14_EUlS13_E_NS1_11comp_targetILNS1_3genE5ELNS1_11target_archE942ELNS1_3gpuE9ELNS1_3repE0EEENS1_30default_config_static_selectorELNS0_4arch9wavefront6targetE0EEEvT1_,comdat
.Lfunc_end630:
	.size	_ZN7rocprim17ROCPRIM_400000_NS6detail17trampoline_kernelINS0_14default_configENS1_25partition_config_selectorILNS1_17partition_subalgoE6EjNS0_10empty_typeEbEEZZNS1_14partition_implILS5_6ELb0ES3_mN6thrust23THRUST_200600_302600_NS6detail15normal_iteratorINSA_10device_ptrIjEEEEPS6_SG_NS0_5tupleIJSF_S6_EEENSH_IJSG_SG_EEES6_PlJNSB_9not_fun_tI7is_evenIjEEEEEE10hipError_tPvRmT3_T4_T5_T6_T7_T9_mT8_P12ihipStream_tbDpT10_ENKUlT_T0_E_clISt17integral_constantIbLb0EES18_EEDaS13_S14_EUlS13_E_NS1_11comp_targetILNS1_3genE5ELNS1_11target_archE942ELNS1_3gpuE9ELNS1_3repE0EEENS1_30default_config_static_selectorELNS0_4arch9wavefront6targetE0EEEvT1_, .Lfunc_end630-_ZN7rocprim17ROCPRIM_400000_NS6detail17trampoline_kernelINS0_14default_configENS1_25partition_config_selectorILNS1_17partition_subalgoE6EjNS0_10empty_typeEbEEZZNS1_14partition_implILS5_6ELb0ES3_mN6thrust23THRUST_200600_302600_NS6detail15normal_iteratorINSA_10device_ptrIjEEEEPS6_SG_NS0_5tupleIJSF_S6_EEENSH_IJSG_SG_EEES6_PlJNSB_9not_fun_tI7is_evenIjEEEEEE10hipError_tPvRmT3_T4_T5_T6_T7_T9_mT8_P12ihipStream_tbDpT10_ENKUlT_T0_E_clISt17integral_constantIbLb0EES18_EEDaS13_S14_EUlS13_E_NS1_11comp_targetILNS1_3genE5ELNS1_11target_archE942ELNS1_3gpuE9ELNS1_3repE0EEENS1_30default_config_static_selectorELNS0_4arch9wavefront6targetE0EEEvT1_
                                        ; -- End function
	.set _ZN7rocprim17ROCPRIM_400000_NS6detail17trampoline_kernelINS0_14default_configENS1_25partition_config_selectorILNS1_17partition_subalgoE6EjNS0_10empty_typeEbEEZZNS1_14partition_implILS5_6ELb0ES3_mN6thrust23THRUST_200600_302600_NS6detail15normal_iteratorINSA_10device_ptrIjEEEEPS6_SG_NS0_5tupleIJSF_S6_EEENSH_IJSG_SG_EEES6_PlJNSB_9not_fun_tI7is_evenIjEEEEEE10hipError_tPvRmT3_T4_T5_T6_T7_T9_mT8_P12ihipStream_tbDpT10_ENKUlT_T0_E_clISt17integral_constantIbLb0EES18_EEDaS13_S14_EUlS13_E_NS1_11comp_targetILNS1_3genE5ELNS1_11target_archE942ELNS1_3gpuE9ELNS1_3repE0EEENS1_30default_config_static_selectorELNS0_4arch9wavefront6targetE0EEEvT1_.num_vgpr, 0
	.set _ZN7rocprim17ROCPRIM_400000_NS6detail17trampoline_kernelINS0_14default_configENS1_25partition_config_selectorILNS1_17partition_subalgoE6EjNS0_10empty_typeEbEEZZNS1_14partition_implILS5_6ELb0ES3_mN6thrust23THRUST_200600_302600_NS6detail15normal_iteratorINSA_10device_ptrIjEEEEPS6_SG_NS0_5tupleIJSF_S6_EEENSH_IJSG_SG_EEES6_PlJNSB_9not_fun_tI7is_evenIjEEEEEE10hipError_tPvRmT3_T4_T5_T6_T7_T9_mT8_P12ihipStream_tbDpT10_ENKUlT_T0_E_clISt17integral_constantIbLb0EES18_EEDaS13_S14_EUlS13_E_NS1_11comp_targetILNS1_3genE5ELNS1_11target_archE942ELNS1_3gpuE9ELNS1_3repE0EEENS1_30default_config_static_selectorELNS0_4arch9wavefront6targetE0EEEvT1_.num_agpr, 0
	.set _ZN7rocprim17ROCPRIM_400000_NS6detail17trampoline_kernelINS0_14default_configENS1_25partition_config_selectorILNS1_17partition_subalgoE6EjNS0_10empty_typeEbEEZZNS1_14partition_implILS5_6ELb0ES3_mN6thrust23THRUST_200600_302600_NS6detail15normal_iteratorINSA_10device_ptrIjEEEEPS6_SG_NS0_5tupleIJSF_S6_EEENSH_IJSG_SG_EEES6_PlJNSB_9not_fun_tI7is_evenIjEEEEEE10hipError_tPvRmT3_T4_T5_T6_T7_T9_mT8_P12ihipStream_tbDpT10_ENKUlT_T0_E_clISt17integral_constantIbLb0EES18_EEDaS13_S14_EUlS13_E_NS1_11comp_targetILNS1_3genE5ELNS1_11target_archE942ELNS1_3gpuE9ELNS1_3repE0EEENS1_30default_config_static_selectorELNS0_4arch9wavefront6targetE0EEEvT1_.numbered_sgpr, 0
	.set _ZN7rocprim17ROCPRIM_400000_NS6detail17trampoline_kernelINS0_14default_configENS1_25partition_config_selectorILNS1_17partition_subalgoE6EjNS0_10empty_typeEbEEZZNS1_14partition_implILS5_6ELb0ES3_mN6thrust23THRUST_200600_302600_NS6detail15normal_iteratorINSA_10device_ptrIjEEEEPS6_SG_NS0_5tupleIJSF_S6_EEENSH_IJSG_SG_EEES6_PlJNSB_9not_fun_tI7is_evenIjEEEEEE10hipError_tPvRmT3_T4_T5_T6_T7_T9_mT8_P12ihipStream_tbDpT10_ENKUlT_T0_E_clISt17integral_constantIbLb0EES18_EEDaS13_S14_EUlS13_E_NS1_11comp_targetILNS1_3genE5ELNS1_11target_archE942ELNS1_3gpuE9ELNS1_3repE0EEENS1_30default_config_static_selectorELNS0_4arch9wavefront6targetE0EEEvT1_.num_named_barrier, 0
	.set _ZN7rocprim17ROCPRIM_400000_NS6detail17trampoline_kernelINS0_14default_configENS1_25partition_config_selectorILNS1_17partition_subalgoE6EjNS0_10empty_typeEbEEZZNS1_14partition_implILS5_6ELb0ES3_mN6thrust23THRUST_200600_302600_NS6detail15normal_iteratorINSA_10device_ptrIjEEEEPS6_SG_NS0_5tupleIJSF_S6_EEENSH_IJSG_SG_EEES6_PlJNSB_9not_fun_tI7is_evenIjEEEEEE10hipError_tPvRmT3_T4_T5_T6_T7_T9_mT8_P12ihipStream_tbDpT10_ENKUlT_T0_E_clISt17integral_constantIbLb0EES18_EEDaS13_S14_EUlS13_E_NS1_11comp_targetILNS1_3genE5ELNS1_11target_archE942ELNS1_3gpuE9ELNS1_3repE0EEENS1_30default_config_static_selectorELNS0_4arch9wavefront6targetE0EEEvT1_.private_seg_size, 0
	.set _ZN7rocprim17ROCPRIM_400000_NS6detail17trampoline_kernelINS0_14default_configENS1_25partition_config_selectorILNS1_17partition_subalgoE6EjNS0_10empty_typeEbEEZZNS1_14partition_implILS5_6ELb0ES3_mN6thrust23THRUST_200600_302600_NS6detail15normal_iteratorINSA_10device_ptrIjEEEEPS6_SG_NS0_5tupleIJSF_S6_EEENSH_IJSG_SG_EEES6_PlJNSB_9not_fun_tI7is_evenIjEEEEEE10hipError_tPvRmT3_T4_T5_T6_T7_T9_mT8_P12ihipStream_tbDpT10_ENKUlT_T0_E_clISt17integral_constantIbLb0EES18_EEDaS13_S14_EUlS13_E_NS1_11comp_targetILNS1_3genE5ELNS1_11target_archE942ELNS1_3gpuE9ELNS1_3repE0EEENS1_30default_config_static_selectorELNS0_4arch9wavefront6targetE0EEEvT1_.uses_vcc, 0
	.set _ZN7rocprim17ROCPRIM_400000_NS6detail17trampoline_kernelINS0_14default_configENS1_25partition_config_selectorILNS1_17partition_subalgoE6EjNS0_10empty_typeEbEEZZNS1_14partition_implILS5_6ELb0ES3_mN6thrust23THRUST_200600_302600_NS6detail15normal_iteratorINSA_10device_ptrIjEEEEPS6_SG_NS0_5tupleIJSF_S6_EEENSH_IJSG_SG_EEES6_PlJNSB_9not_fun_tI7is_evenIjEEEEEE10hipError_tPvRmT3_T4_T5_T6_T7_T9_mT8_P12ihipStream_tbDpT10_ENKUlT_T0_E_clISt17integral_constantIbLb0EES18_EEDaS13_S14_EUlS13_E_NS1_11comp_targetILNS1_3genE5ELNS1_11target_archE942ELNS1_3gpuE9ELNS1_3repE0EEENS1_30default_config_static_selectorELNS0_4arch9wavefront6targetE0EEEvT1_.uses_flat_scratch, 0
	.set _ZN7rocprim17ROCPRIM_400000_NS6detail17trampoline_kernelINS0_14default_configENS1_25partition_config_selectorILNS1_17partition_subalgoE6EjNS0_10empty_typeEbEEZZNS1_14partition_implILS5_6ELb0ES3_mN6thrust23THRUST_200600_302600_NS6detail15normal_iteratorINSA_10device_ptrIjEEEEPS6_SG_NS0_5tupleIJSF_S6_EEENSH_IJSG_SG_EEES6_PlJNSB_9not_fun_tI7is_evenIjEEEEEE10hipError_tPvRmT3_T4_T5_T6_T7_T9_mT8_P12ihipStream_tbDpT10_ENKUlT_T0_E_clISt17integral_constantIbLb0EES18_EEDaS13_S14_EUlS13_E_NS1_11comp_targetILNS1_3genE5ELNS1_11target_archE942ELNS1_3gpuE9ELNS1_3repE0EEENS1_30default_config_static_selectorELNS0_4arch9wavefront6targetE0EEEvT1_.has_dyn_sized_stack, 0
	.set _ZN7rocprim17ROCPRIM_400000_NS6detail17trampoline_kernelINS0_14default_configENS1_25partition_config_selectorILNS1_17partition_subalgoE6EjNS0_10empty_typeEbEEZZNS1_14partition_implILS5_6ELb0ES3_mN6thrust23THRUST_200600_302600_NS6detail15normal_iteratorINSA_10device_ptrIjEEEEPS6_SG_NS0_5tupleIJSF_S6_EEENSH_IJSG_SG_EEES6_PlJNSB_9not_fun_tI7is_evenIjEEEEEE10hipError_tPvRmT3_T4_T5_T6_T7_T9_mT8_P12ihipStream_tbDpT10_ENKUlT_T0_E_clISt17integral_constantIbLb0EES18_EEDaS13_S14_EUlS13_E_NS1_11comp_targetILNS1_3genE5ELNS1_11target_archE942ELNS1_3gpuE9ELNS1_3repE0EEENS1_30default_config_static_selectorELNS0_4arch9wavefront6targetE0EEEvT1_.has_recursion, 0
	.set _ZN7rocprim17ROCPRIM_400000_NS6detail17trampoline_kernelINS0_14default_configENS1_25partition_config_selectorILNS1_17partition_subalgoE6EjNS0_10empty_typeEbEEZZNS1_14partition_implILS5_6ELb0ES3_mN6thrust23THRUST_200600_302600_NS6detail15normal_iteratorINSA_10device_ptrIjEEEEPS6_SG_NS0_5tupleIJSF_S6_EEENSH_IJSG_SG_EEES6_PlJNSB_9not_fun_tI7is_evenIjEEEEEE10hipError_tPvRmT3_T4_T5_T6_T7_T9_mT8_P12ihipStream_tbDpT10_ENKUlT_T0_E_clISt17integral_constantIbLb0EES18_EEDaS13_S14_EUlS13_E_NS1_11comp_targetILNS1_3genE5ELNS1_11target_archE942ELNS1_3gpuE9ELNS1_3repE0EEENS1_30default_config_static_selectorELNS0_4arch9wavefront6targetE0EEEvT1_.has_indirect_call, 0
	.section	.AMDGPU.csdata,"",@progbits
; Kernel info:
; codeLenInByte = 0
; TotalNumSgprs: 0
; NumVgprs: 0
; ScratchSize: 0
; MemoryBound: 0
; FloatMode: 240
; IeeeMode: 1
; LDSByteSize: 0 bytes/workgroup (compile time only)
; SGPRBlocks: 0
; VGPRBlocks: 0
; NumSGPRsForWavesPerEU: 1
; NumVGPRsForWavesPerEU: 1
; Occupancy: 16
; WaveLimiterHint : 0
; COMPUTE_PGM_RSRC2:SCRATCH_EN: 0
; COMPUTE_PGM_RSRC2:USER_SGPR: 2
; COMPUTE_PGM_RSRC2:TRAP_HANDLER: 0
; COMPUTE_PGM_RSRC2:TGID_X_EN: 1
; COMPUTE_PGM_RSRC2:TGID_Y_EN: 0
; COMPUTE_PGM_RSRC2:TGID_Z_EN: 0
; COMPUTE_PGM_RSRC2:TIDIG_COMP_CNT: 0
	.section	.text._ZN7rocprim17ROCPRIM_400000_NS6detail17trampoline_kernelINS0_14default_configENS1_25partition_config_selectorILNS1_17partition_subalgoE6EjNS0_10empty_typeEbEEZZNS1_14partition_implILS5_6ELb0ES3_mN6thrust23THRUST_200600_302600_NS6detail15normal_iteratorINSA_10device_ptrIjEEEEPS6_SG_NS0_5tupleIJSF_S6_EEENSH_IJSG_SG_EEES6_PlJNSB_9not_fun_tI7is_evenIjEEEEEE10hipError_tPvRmT3_T4_T5_T6_T7_T9_mT8_P12ihipStream_tbDpT10_ENKUlT_T0_E_clISt17integral_constantIbLb0EES18_EEDaS13_S14_EUlS13_E_NS1_11comp_targetILNS1_3genE4ELNS1_11target_archE910ELNS1_3gpuE8ELNS1_3repE0EEENS1_30default_config_static_selectorELNS0_4arch9wavefront6targetE0EEEvT1_,"axG",@progbits,_ZN7rocprim17ROCPRIM_400000_NS6detail17trampoline_kernelINS0_14default_configENS1_25partition_config_selectorILNS1_17partition_subalgoE6EjNS0_10empty_typeEbEEZZNS1_14partition_implILS5_6ELb0ES3_mN6thrust23THRUST_200600_302600_NS6detail15normal_iteratorINSA_10device_ptrIjEEEEPS6_SG_NS0_5tupleIJSF_S6_EEENSH_IJSG_SG_EEES6_PlJNSB_9not_fun_tI7is_evenIjEEEEEE10hipError_tPvRmT3_T4_T5_T6_T7_T9_mT8_P12ihipStream_tbDpT10_ENKUlT_T0_E_clISt17integral_constantIbLb0EES18_EEDaS13_S14_EUlS13_E_NS1_11comp_targetILNS1_3genE4ELNS1_11target_archE910ELNS1_3gpuE8ELNS1_3repE0EEENS1_30default_config_static_selectorELNS0_4arch9wavefront6targetE0EEEvT1_,comdat
	.protected	_ZN7rocprim17ROCPRIM_400000_NS6detail17trampoline_kernelINS0_14default_configENS1_25partition_config_selectorILNS1_17partition_subalgoE6EjNS0_10empty_typeEbEEZZNS1_14partition_implILS5_6ELb0ES3_mN6thrust23THRUST_200600_302600_NS6detail15normal_iteratorINSA_10device_ptrIjEEEEPS6_SG_NS0_5tupleIJSF_S6_EEENSH_IJSG_SG_EEES6_PlJNSB_9not_fun_tI7is_evenIjEEEEEE10hipError_tPvRmT3_T4_T5_T6_T7_T9_mT8_P12ihipStream_tbDpT10_ENKUlT_T0_E_clISt17integral_constantIbLb0EES18_EEDaS13_S14_EUlS13_E_NS1_11comp_targetILNS1_3genE4ELNS1_11target_archE910ELNS1_3gpuE8ELNS1_3repE0EEENS1_30default_config_static_selectorELNS0_4arch9wavefront6targetE0EEEvT1_ ; -- Begin function _ZN7rocprim17ROCPRIM_400000_NS6detail17trampoline_kernelINS0_14default_configENS1_25partition_config_selectorILNS1_17partition_subalgoE6EjNS0_10empty_typeEbEEZZNS1_14partition_implILS5_6ELb0ES3_mN6thrust23THRUST_200600_302600_NS6detail15normal_iteratorINSA_10device_ptrIjEEEEPS6_SG_NS0_5tupleIJSF_S6_EEENSH_IJSG_SG_EEES6_PlJNSB_9not_fun_tI7is_evenIjEEEEEE10hipError_tPvRmT3_T4_T5_T6_T7_T9_mT8_P12ihipStream_tbDpT10_ENKUlT_T0_E_clISt17integral_constantIbLb0EES18_EEDaS13_S14_EUlS13_E_NS1_11comp_targetILNS1_3genE4ELNS1_11target_archE910ELNS1_3gpuE8ELNS1_3repE0EEENS1_30default_config_static_selectorELNS0_4arch9wavefront6targetE0EEEvT1_
	.globl	_ZN7rocprim17ROCPRIM_400000_NS6detail17trampoline_kernelINS0_14default_configENS1_25partition_config_selectorILNS1_17partition_subalgoE6EjNS0_10empty_typeEbEEZZNS1_14partition_implILS5_6ELb0ES3_mN6thrust23THRUST_200600_302600_NS6detail15normal_iteratorINSA_10device_ptrIjEEEEPS6_SG_NS0_5tupleIJSF_S6_EEENSH_IJSG_SG_EEES6_PlJNSB_9not_fun_tI7is_evenIjEEEEEE10hipError_tPvRmT3_T4_T5_T6_T7_T9_mT8_P12ihipStream_tbDpT10_ENKUlT_T0_E_clISt17integral_constantIbLb0EES18_EEDaS13_S14_EUlS13_E_NS1_11comp_targetILNS1_3genE4ELNS1_11target_archE910ELNS1_3gpuE8ELNS1_3repE0EEENS1_30default_config_static_selectorELNS0_4arch9wavefront6targetE0EEEvT1_
	.p2align	8
	.type	_ZN7rocprim17ROCPRIM_400000_NS6detail17trampoline_kernelINS0_14default_configENS1_25partition_config_selectorILNS1_17partition_subalgoE6EjNS0_10empty_typeEbEEZZNS1_14partition_implILS5_6ELb0ES3_mN6thrust23THRUST_200600_302600_NS6detail15normal_iteratorINSA_10device_ptrIjEEEEPS6_SG_NS0_5tupleIJSF_S6_EEENSH_IJSG_SG_EEES6_PlJNSB_9not_fun_tI7is_evenIjEEEEEE10hipError_tPvRmT3_T4_T5_T6_T7_T9_mT8_P12ihipStream_tbDpT10_ENKUlT_T0_E_clISt17integral_constantIbLb0EES18_EEDaS13_S14_EUlS13_E_NS1_11comp_targetILNS1_3genE4ELNS1_11target_archE910ELNS1_3gpuE8ELNS1_3repE0EEENS1_30default_config_static_selectorELNS0_4arch9wavefront6targetE0EEEvT1_,@function
_ZN7rocprim17ROCPRIM_400000_NS6detail17trampoline_kernelINS0_14default_configENS1_25partition_config_selectorILNS1_17partition_subalgoE6EjNS0_10empty_typeEbEEZZNS1_14partition_implILS5_6ELb0ES3_mN6thrust23THRUST_200600_302600_NS6detail15normal_iteratorINSA_10device_ptrIjEEEEPS6_SG_NS0_5tupleIJSF_S6_EEENSH_IJSG_SG_EEES6_PlJNSB_9not_fun_tI7is_evenIjEEEEEE10hipError_tPvRmT3_T4_T5_T6_T7_T9_mT8_P12ihipStream_tbDpT10_ENKUlT_T0_E_clISt17integral_constantIbLb0EES18_EEDaS13_S14_EUlS13_E_NS1_11comp_targetILNS1_3genE4ELNS1_11target_archE910ELNS1_3gpuE8ELNS1_3repE0EEENS1_30default_config_static_selectorELNS0_4arch9wavefront6targetE0EEEvT1_: ; @_ZN7rocprim17ROCPRIM_400000_NS6detail17trampoline_kernelINS0_14default_configENS1_25partition_config_selectorILNS1_17partition_subalgoE6EjNS0_10empty_typeEbEEZZNS1_14partition_implILS5_6ELb0ES3_mN6thrust23THRUST_200600_302600_NS6detail15normal_iteratorINSA_10device_ptrIjEEEEPS6_SG_NS0_5tupleIJSF_S6_EEENSH_IJSG_SG_EEES6_PlJNSB_9not_fun_tI7is_evenIjEEEEEE10hipError_tPvRmT3_T4_T5_T6_T7_T9_mT8_P12ihipStream_tbDpT10_ENKUlT_T0_E_clISt17integral_constantIbLb0EES18_EEDaS13_S14_EUlS13_E_NS1_11comp_targetILNS1_3genE4ELNS1_11target_archE910ELNS1_3gpuE8ELNS1_3repE0EEENS1_30default_config_static_selectorELNS0_4arch9wavefront6targetE0EEEvT1_
; %bb.0:
	.section	.rodata,"a",@progbits
	.p2align	6, 0x0
	.amdhsa_kernel _ZN7rocprim17ROCPRIM_400000_NS6detail17trampoline_kernelINS0_14default_configENS1_25partition_config_selectorILNS1_17partition_subalgoE6EjNS0_10empty_typeEbEEZZNS1_14partition_implILS5_6ELb0ES3_mN6thrust23THRUST_200600_302600_NS6detail15normal_iteratorINSA_10device_ptrIjEEEEPS6_SG_NS0_5tupleIJSF_S6_EEENSH_IJSG_SG_EEES6_PlJNSB_9not_fun_tI7is_evenIjEEEEEE10hipError_tPvRmT3_T4_T5_T6_T7_T9_mT8_P12ihipStream_tbDpT10_ENKUlT_T0_E_clISt17integral_constantIbLb0EES18_EEDaS13_S14_EUlS13_E_NS1_11comp_targetILNS1_3genE4ELNS1_11target_archE910ELNS1_3gpuE8ELNS1_3repE0EEENS1_30default_config_static_selectorELNS0_4arch9wavefront6targetE0EEEvT1_
		.amdhsa_group_segment_fixed_size 0
		.amdhsa_private_segment_fixed_size 0
		.amdhsa_kernarg_size 112
		.amdhsa_user_sgpr_count 2
		.amdhsa_user_sgpr_dispatch_ptr 0
		.amdhsa_user_sgpr_queue_ptr 0
		.amdhsa_user_sgpr_kernarg_segment_ptr 1
		.amdhsa_user_sgpr_dispatch_id 0
		.amdhsa_user_sgpr_private_segment_size 0
		.amdhsa_wavefront_size32 1
		.amdhsa_uses_dynamic_stack 0
		.amdhsa_enable_private_segment 0
		.amdhsa_system_sgpr_workgroup_id_x 1
		.amdhsa_system_sgpr_workgroup_id_y 0
		.amdhsa_system_sgpr_workgroup_id_z 0
		.amdhsa_system_sgpr_workgroup_info 0
		.amdhsa_system_vgpr_workitem_id 0
		.amdhsa_next_free_vgpr 1
		.amdhsa_next_free_sgpr 1
		.amdhsa_reserve_vcc 0
		.amdhsa_float_round_mode_32 0
		.amdhsa_float_round_mode_16_64 0
		.amdhsa_float_denorm_mode_32 3
		.amdhsa_float_denorm_mode_16_64 3
		.amdhsa_fp16_overflow 0
		.amdhsa_workgroup_processor_mode 1
		.amdhsa_memory_ordered 1
		.amdhsa_forward_progress 1
		.amdhsa_inst_pref_size 0
		.amdhsa_round_robin_scheduling 0
		.amdhsa_exception_fp_ieee_invalid_op 0
		.amdhsa_exception_fp_denorm_src 0
		.amdhsa_exception_fp_ieee_div_zero 0
		.amdhsa_exception_fp_ieee_overflow 0
		.amdhsa_exception_fp_ieee_underflow 0
		.amdhsa_exception_fp_ieee_inexact 0
		.amdhsa_exception_int_div_zero 0
	.end_amdhsa_kernel
	.section	.text._ZN7rocprim17ROCPRIM_400000_NS6detail17trampoline_kernelINS0_14default_configENS1_25partition_config_selectorILNS1_17partition_subalgoE6EjNS0_10empty_typeEbEEZZNS1_14partition_implILS5_6ELb0ES3_mN6thrust23THRUST_200600_302600_NS6detail15normal_iteratorINSA_10device_ptrIjEEEEPS6_SG_NS0_5tupleIJSF_S6_EEENSH_IJSG_SG_EEES6_PlJNSB_9not_fun_tI7is_evenIjEEEEEE10hipError_tPvRmT3_T4_T5_T6_T7_T9_mT8_P12ihipStream_tbDpT10_ENKUlT_T0_E_clISt17integral_constantIbLb0EES18_EEDaS13_S14_EUlS13_E_NS1_11comp_targetILNS1_3genE4ELNS1_11target_archE910ELNS1_3gpuE8ELNS1_3repE0EEENS1_30default_config_static_selectorELNS0_4arch9wavefront6targetE0EEEvT1_,"axG",@progbits,_ZN7rocprim17ROCPRIM_400000_NS6detail17trampoline_kernelINS0_14default_configENS1_25partition_config_selectorILNS1_17partition_subalgoE6EjNS0_10empty_typeEbEEZZNS1_14partition_implILS5_6ELb0ES3_mN6thrust23THRUST_200600_302600_NS6detail15normal_iteratorINSA_10device_ptrIjEEEEPS6_SG_NS0_5tupleIJSF_S6_EEENSH_IJSG_SG_EEES6_PlJNSB_9not_fun_tI7is_evenIjEEEEEE10hipError_tPvRmT3_T4_T5_T6_T7_T9_mT8_P12ihipStream_tbDpT10_ENKUlT_T0_E_clISt17integral_constantIbLb0EES18_EEDaS13_S14_EUlS13_E_NS1_11comp_targetILNS1_3genE4ELNS1_11target_archE910ELNS1_3gpuE8ELNS1_3repE0EEENS1_30default_config_static_selectorELNS0_4arch9wavefront6targetE0EEEvT1_,comdat
.Lfunc_end631:
	.size	_ZN7rocprim17ROCPRIM_400000_NS6detail17trampoline_kernelINS0_14default_configENS1_25partition_config_selectorILNS1_17partition_subalgoE6EjNS0_10empty_typeEbEEZZNS1_14partition_implILS5_6ELb0ES3_mN6thrust23THRUST_200600_302600_NS6detail15normal_iteratorINSA_10device_ptrIjEEEEPS6_SG_NS0_5tupleIJSF_S6_EEENSH_IJSG_SG_EEES6_PlJNSB_9not_fun_tI7is_evenIjEEEEEE10hipError_tPvRmT3_T4_T5_T6_T7_T9_mT8_P12ihipStream_tbDpT10_ENKUlT_T0_E_clISt17integral_constantIbLb0EES18_EEDaS13_S14_EUlS13_E_NS1_11comp_targetILNS1_3genE4ELNS1_11target_archE910ELNS1_3gpuE8ELNS1_3repE0EEENS1_30default_config_static_selectorELNS0_4arch9wavefront6targetE0EEEvT1_, .Lfunc_end631-_ZN7rocprim17ROCPRIM_400000_NS6detail17trampoline_kernelINS0_14default_configENS1_25partition_config_selectorILNS1_17partition_subalgoE6EjNS0_10empty_typeEbEEZZNS1_14partition_implILS5_6ELb0ES3_mN6thrust23THRUST_200600_302600_NS6detail15normal_iteratorINSA_10device_ptrIjEEEEPS6_SG_NS0_5tupleIJSF_S6_EEENSH_IJSG_SG_EEES6_PlJNSB_9not_fun_tI7is_evenIjEEEEEE10hipError_tPvRmT3_T4_T5_T6_T7_T9_mT8_P12ihipStream_tbDpT10_ENKUlT_T0_E_clISt17integral_constantIbLb0EES18_EEDaS13_S14_EUlS13_E_NS1_11comp_targetILNS1_3genE4ELNS1_11target_archE910ELNS1_3gpuE8ELNS1_3repE0EEENS1_30default_config_static_selectorELNS0_4arch9wavefront6targetE0EEEvT1_
                                        ; -- End function
	.set _ZN7rocprim17ROCPRIM_400000_NS6detail17trampoline_kernelINS0_14default_configENS1_25partition_config_selectorILNS1_17partition_subalgoE6EjNS0_10empty_typeEbEEZZNS1_14partition_implILS5_6ELb0ES3_mN6thrust23THRUST_200600_302600_NS6detail15normal_iteratorINSA_10device_ptrIjEEEEPS6_SG_NS0_5tupleIJSF_S6_EEENSH_IJSG_SG_EEES6_PlJNSB_9not_fun_tI7is_evenIjEEEEEE10hipError_tPvRmT3_T4_T5_T6_T7_T9_mT8_P12ihipStream_tbDpT10_ENKUlT_T0_E_clISt17integral_constantIbLb0EES18_EEDaS13_S14_EUlS13_E_NS1_11comp_targetILNS1_3genE4ELNS1_11target_archE910ELNS1_3gpuE8ELNS1_3repE0EEENS1_30default_config_static_selectorELNS0_4arch9wavefront6targetE0EEEvT1_.num_vgpr, 0
	.set _ZN7rocprim17ROCPRIM_400000_NS6detail17trampoline_kernelINS0_14default_configENS1_25partition_config_selectorILNS1_17partition_subalgoE6EjNS0_10empty_typeEbEEZZNS1_14partition_implILS5_6ELb0ES3_mN6thrust23THRUST_200600_302600_NS6detail15normal_iteratorINSA_10device_ptrIjEEEEPS6_SG_NS0_5tupleIJSF_S6_EEENSH_IJSG_SG_EEES6_PlJNSB_9not_fun_tI7is_evenIjEEEEEE10hipError_tPvRmT3_T4_T5_T6_T7_T9_mT8_P12ihipStream_tbDpT10_ENKUlT_T0_E_clISt17integral_constantIbLb0EES18_EEDaS13_S14_EUlS13_E_NS1_11comp_targetILNS1_3genE4ELNS1_11target_archE910ELNS1_3gpuE8ELNS1_3repE0EEENS1_30default_config_static_selectorELNS0_4arch9wavefront6targetE0EEEvT1_.num_agpr, 0
	.set _ZN7rocprim17ROCPRIM_400000_NS6detail17trampoline_kernelINS0_14default_configENS1_25partition_config_selectorILNS1_17partition_subalgoE6EjNS0_10empty_typeEbEEZZNS1_14partition_implILS5_6ELb0ES3_mN6thrust23THRUST_200600_302600_NS6detail15normal_iteratorINSA_10device_ptrIjEEEEPS6_SG_NS0_5tupleIJSF_S6_EEENSH_IJSG_SG_EEES6_PlJNSB_9not_fun_tI7is_evenIjEEEEEE10hipError_tPvRmT3_T4_T5_T6_T7_T9_mT8_P12ihipStream_tbDpT10_ENKUlT_T0_E_clISt17integral_constantIbLb0EES18_EEDaS13_S14_EUlS13_E_NS1_11comp_targetILNS1_3genE4ELNS1_11target_archE910ELNS1_3gpuE8ELNS1_3repE0EEENS1_30default_config_static_selectorELNS0_4arch9wavefront6targetE0EEEvT1_.numbered_sgpr, 0
	.set _ZN7rocprim17ROCPRIM_400000_NS6detail17trampoline_kernelINS0_14default_configENS1_25partition_config_selectorILNS1_17partition_subalgoE6EjNS0_10empty_typeEbEEZZNS1_14partition_implILS5_6ELb0ES3_mN6thrust23THRUST_200600_302600_NS6detail15normal_iteratorINSA_10device_ptrIjEEEEPS6_SG_NS0_5tupleIJSF_S6_EEENSH_IJSG_SG_EEES6_PlJNSB_9not_fun_tI7is_evenIjEEEEEE10hipError_tPvRmT3_T4_T5_T6_T7_T9_mT8_P12ihipStream_tbDpT10_ENKUlT_T0_E_clISt17integral_constantIbLb0EES18_EEDaS13_S14_EUlS13_E_NS1_11comp_targetILNS1_3genE4ELNS1_11target_archE910ELNS1_3gpuE8ELNS1_3repE0EEENS1_30default_config_static_selectorELNS0_4arch9wavefront6targetE0EEEvT1_.num_named_barrier, 0
	.set _ZN7rocprim17ROCPRIM_400000_NS6detail17trampoline_kernelINS0_14default_configENS1_25partition_config_selectorILNS1_17partition_subalgoE6EjNS0_10empty_typeEbEEZZNS1_14partition_implILS5_6ELb0ES3_mN6thrust23THRUST_200600_302600_NS6detail15normal_iteratorINSA_10device_ptrIjEEEEPS6_SG_NS0_5tupleIJSF_S6_EEENSH_IJSG_SG_EEES6_PlJNSB_9not_fun_tI7is_evenIjEEEEEE10hipError_tPvRmT3_T4_T5_T6_T7_T9_mT8_P12ihipStream_tbDpT10_ENKUlT_T0_E_clISt17integral_constantIbLb0EES18_EEDaS13_S14_EUlS13_E_NS1_11comp_targetILNS1_3genE4ELNS1_11target_archE910ELNS1_3gpuE8ELNS1_3repE0EEENS1_30default_config_static_selectorELNS0_4arch9wavefront6targetE0EEEvT1_.private_seg_size, 0
	.set _ZN7rocprim17ROCPRIM_400000_NS6detail17trampoline_kernelINS0_14default_configENS1_25partition_config_selectorILNS1_17partition_subalgoE6EjNS0_10empty_typeEbEEZZNS1_14partition_implILS5_6ELb0ES3_mN6thrust23THRUST_200600_302600_NS6detail15normal_iteratorINSA_10device_ptrIjEEEEPS6_SG_NS0_5tupleIJSF_S6_EEENSH_IJSG_SG_EEES6_PlJNSB_9not_fun_tI7is_evenIjEEEEEE10hipError_tPvRmT3_T4_T5_T6_T7_T9_mT8_P12ihipStream_tbDpT10_ENKUlT_T0_E_clISt17integral_constantIbLb0EES18_EEDaS13_S14_EUlS13_E_NS1_11comp_targetILNS1_3genE4ELNS1_11target_archE910ELNS1_3gpuE8ELNS1_3repE0EEENS1_30default_config_static_selectorELNS0_4arch9wavefront6targetE0EEEvT1_.uses_vcc, 0
	.set _ZN7rocprim17ROCPRIM_400000_NS6detail17trampoline_kernelINS0_14default_configENS1_25partition_config_selectorILNS1_17partition_subalgoE6EjNS0_10empty_typeEbEEZZNS1_14partition_implILS5_6ELb0ES3_mN6thrust23THRUST_200600_302600_NS6detail15normal_iteratorINSA_10device_ptrIjEEEEPS6_SG_NS0_5tupleIJSF_S6_EEENSH_IJSG_SG_EEES6_PlJNSB_9not_fun_tI7is_evenIjEEEEEE10hipError_tPvRmT3_T4_T5_T6_T7_T9_mT8_P12ihipStream_tbDpT10_ENKUlT_T0_E_clISt17integral_constantIbLb0EES18_EEDaS13_S14_EUlS13_E_NS1_11comp_targetILNS1_3genE4ELNS1_11target_archE910ELNS1_3gpuE8ELNS1_3repE0EEENS1_30default_config_static_selectorELNS0_4arch9wavefront6targetE0EEEvT1_.uses_flat_scratch, 0
	.set _ZN7rocprim17ROCPRIM_400000_NS6detail17trampoline_kernelINS0_14default_configENS1_25partition_config_selectorILNS1_17partition_subalgoE6EjNS0_10empty_typeEbEEZZNS1_14partition_implILS5_6ELb0ES3_mN6thrust23THRUST_200600_302600_NS6detail15normal_iteratorINSA_10device_ptrIjEEEEPS6_SG_NS0_5tupleIJSF_S6_EEENSH_IJSG_SG_EEES6_PlJNSB_9not_fun_tI7is_evenIjEEEEEE10hipError_tPvRmT3_T4_T5_T6_T7_T9_mT8_P12ihipStream_tbDpT10_ENKUlT_T0_E_clISt17integral_constantIbLb0EES18_EEDaS13_S14_EUlS13_E_NS1_11comp_targetILNS1_3genE4ELNS1_11target_archE910ELNS1_3gpuE8ELNS1_3repE0EEENS1_30default_config_static_selectorELNS0_4arch9wavefront6targetE0EEEvT1_.has_dyn_sized_stack, 0
	.set _ZN7rocprim17ROCPRIM_400000_NS6detail17trampoline_kernelINS0_14default_configENS1_25partition_config_selectorILNS1_17partition_subalgoE6EjNS0_10empty_typeEbEEZZNS1_14partition_implILS5_6ELb0ES3_mN6thrust23THRUST_200600_302600_NS6detail15normal_iteratorINSA_10device_ptrIjEEEEPS6_SG_NS0_5tupleIJSF_S6_EEENSH_IJSG_SG_EEES6_PlJNSB_9not_fun_tI7is_evenIjEEEEEE10hipError_tPvRmT3_T4_T5_T6_T7_T9_mT8_P12ihipStream_tbDpT10_ENKUlT_T0_E_clISt17integral_constantIbLb0EES18_EEDaS13_S14_EUlS13_E_NS1_11comp_targetILNS1_3genE4ELNS1_11target_archE910ELNS1_3gpuE8ELNS1_3repE0EEENS1_30default_config_static_selectorELNS0_4arch9wavefront6targetE0EEEvT1_.has_recursion, 0
	.set _ZN7rocprim17ROCPRIM_400000_NS6detail17trampoline_kernelINS0_14default_configENS1_25partition_config_selectorILNS1_17partition_subalgoE6EjNS0_10empty_typeEbEEZZNS1_14partition_implILS5_6ELb0ES3_mN6thrust23THRUST_200600_302600_NS6detail15normal_iteratorINSA_10device_ptrIjEEEEPS6_SG_NS0_5tupleIJSF_S6_EEENSH_IJSG_SG_EEES6_PlJNSB_9not_fun_tI7is_evenIjEEEEEE10hipError_tPvRmT3_T4_T5_T6_T7_T9_mT8_P12ihipStream_tbDpT10_ENKUlT_T0_E_clISt17integral_constantIbLb0EES18_EEDaS13_S14_EUlS13_E_NS1_11comp_targetILNS1_3genE4ELNS1_11target_archE910ELNS1_3gpuE8ELNS1_3repE0EEENS1_30default_config_static_selectorELNS0_4arch9wavefront6targetE0EEEvT1_.has_indirect_call, 0
	.section	.AMDGPU.csdata,"",@progbits
; Kernel info:
; codeLenInByte = 0
; TotalNumSgprs: 0
; NumVgprs: 0
; ScratchSize: 0
; MemoryBound: 0
; FloatMode: 240
; IeeeMode: 1
; LDSByteSize: 0 bytes/workgroup (compile time only)
; SGPRBlocks: 0
; VGPRBlocks: 0
; NumSGPRsForWavesPerEU: 1
; NumVGPRsForWavesPerEU: 1
; Occupancy: 16
; WaveLimiterHint : 0
; COMPUTE_PGM_RSRC2:SCRATCH_EN: 0
; COMPUTE_PGM_RSRC2:USER_SGPR: 2
; COMPUTE_PGM_RSRC2:TRAP_HANDLER: 0
; COMPUTE_PGM_RSRC2:TGID_X_EN: 1
; COMPUTE_PGM_RSRC2:TGID_Y_EN: 0
; COMPUTE_PGM_RSRC2:TGID_Z_EN: 0
; COMPUTE_PGM_RSRC2:TIDIG_COMP_CNT: 0
	.section	.text._ZN7rocprim17ROCPRIM_400000_NS6detail17trampoline_kernelINS0_14default_configENS1_25partition_config_selectorILNS1_17partition_subalgoE6EjNS0_10empty_typeEbEEZZNS1_14partition_implILS5_6ELb0ES3_mN6thrust23THRUST_200600_302600_NS6detail15normal_iteratorINSA_10device_ptrIjEEEEPS6_SG_NS0_5tupleIJSF_S6_EEENSH_IJSG_SG_EEES6_PlJNSB_9not_fun_tI7is_evenIjEEEEEE10hipError_tPvRmT3_T4_T5_T6_T7_T9_mT8_P12ihipStream_tbDpT10_ENKUlT_T0_E_clISt17integral_constantIbLb0EES18_EEDaS13_S14_EUlS13_E_NS1_11comp_targetILNS1_3genE3ELNS1_11target_archE908ELNS1_3gpuE7ELNS1_3repE0EEENS1_30default_config_static_selectorELNS0_4arch9wavefront6targetE0EEEvT1_,"axG",@progbits,_ZN7rocprim17ROCPRIM_400000_NS6detail17trampoline_kernelINS0_14default_configENS1_25partition_config_selectorILNS1_17partition_subalgoE6EjNS0_10empty_typeEbEEZZNS1_14partition_implILS5_6ELb0ES3_mN6thrust23THRUST_200600_302600_NS6detail15normal_iteratorINSA_10device_ptrIjEEEEPS6_SG_NS0_5tupleIJSF_S6_EEENSH_IJSG_SG_EEES6_PlJNSB_9not_fun_tI7is_evenIjEEEEEE10hipError_tPvRmT3_T4_T5_T6_T7_T9_mT8_P12ihipStream_tbDpT10_ENKUlT_T0_E_clISt17integral_constantIbLb0EES18_EEDaS13_S14_EUlS13_E_NS1_11comp_targetILNS1_3genE3ELNS1_11target_archE908ELNS1_3gpuE7ELNS1_3repE0EEENS1_30default_config_static_selectorELNS0_4arch9wavefront6targetE0EEEvT1_,comdat
	.protected	_ZN7rocprim17ROCPRIM_400000_NS6detail17trampoline_kernelINS0_14default_configENS1_25partition_config_selectorILNS1_17partition_subalgoE6EjNS0_10empty_typeEbEEZZNS1_14partition_implILS5_6ELb0ES3_mN6thrust23THRUST_200600_302600_NS6detail15normal_iteratorINSA_10device_ptrIjEEEEPS6_SG_NS0_5tupleIJSF_S6_EEENSH_IJSG_SG_EEES6_PlJNSB_9not_fun_tI7is_evenIjEEEEEE10hipError_tPvRmT3_T4_T5_T6_T7_T9_mT8_P12ihipStream_tbDpT10_ENKUlT_T0_E_clISt17integral_constantIbLb0EES18_EEDaS13_S14_EUlS13_E_NS1_11comp_targetILNS1_3genE3ELNS1_11target_archE908ELNS1_3gpuE7ELNS1_3repE0EEENS1_30default_config_static_selectorELNS0_4arch9wavefront6targetE0EEEvT1_ ; -- Begin function _ZN7rocprim17ROCPRIM_400000_NS6detail17trampoline_kernelINS0_14default_configENS1_25partition_config_selectorILNS1_17partition_subalgoE6EjNS0_10empty_typeEbEEZZNS1_14partition_implILS5_6ELb0ES3_mN6thrust23THRUST_200600_302600_NS6detail15normal_iteratorINSA_10device_ptrIjEEEEPS6_SG_NS0_5tupleIJSF_S6_EEENSH_IJSG_SG_EEES6_PlJNSB_9not_fun_tI7is_evenIjEEEEEE10hipError_tPvRmT3_T4_T5_T6_T7_T9_mT8_P12ihipStream_tbDpT10_ENKUlT_T0_E_clISt17integral_constantIbLb0EES18_EEDaS13_S14_EUlS13_E_NS1_11comp_targetILNS1_3genE3ELNS1_11target_archE908ELNS1_3gpuE7ELNS1_3repE0EEENS1_30default_config_static_selectorELNS0_4arch9wavefront6targetE0EEEvT1_
	.globl	_ZN7rocprim17ROCPRIM_400000_NS6detail17trampoline_kernelINS0_14default_configENS1_25partition_config_selectorILNS1_17partition_subalgoE6EjNS0_10empty_typeEbEEZZNS1_14partition_implILS5_6ELb0ES3_mN6thrust23THRUST_200600_302600_NS6detail15normal_iteratorINSA_10device_ptrIjEEEEPS6_SG_NS0_5tupleIJSF_S6_EEENSH_IJSG_SG_EEES6_PlJNSB_9not_fun_tI7is_evenIjEEEEEE10hipError_tPvRmT3_T4_T5_T6_T7_T9_mT8_P12ihipStream_tbDpT10_ENKUlT_T0_E_clISt17integral_constantIbLb0EES18_EEDaS13_S14_EUlS13_E_NS1_11comp_targetILNS1_3genE3ELNS1_11target_archE908ELNS1_3gpuE7ELNS1_3repE0EEENS1_30default_config_static_selectorELNS0_4arch9wavefront6targetE0EEEvT1_
	.p2align	8
	.type	_ZN7rocprim17ROCPRIM_400000_NS6detail17trampoline_kernelINS0_14default_configENS1_25partition_config_selectorILNS1_17partition_subalgoE6EjNS0_10empty_typeEbEEZZNS1_14partition_implILS5_6ELb0ES3_mN6thrust23THRUST_200600_302600_NS6detail15normal_iteratorINSA_10device_ptrIjEEEEPS6_SG_NS0_5tupleIJSF_S6_EEENSH_IJSG_SG_EEES6_PlJNSB_9not_fun_tI7is_evenIjEEEEEE10hipError_tPvRmT3_T4_T5_T6_T7_T9_mT8_P12ihipStream_tbDpT10_ENKUlT_T0_E_clISt17integral_constantIbLb0EES18_EEDaS13_S14_EUlS13_E_NS1_11comp_targetILNS1_3genE3ELNS1_11target_archE908ELNS1_3gpuE7ELNS1_3repE0EEENS1_30default_config_static_selectorELNS0_4arch9wavefront6targetE0EEEvT1_,@function
_ZN7rocprim17ROCPRIM_400000_NS6detail17trampoline_kernelINS0_14default_configENS1_25partition_config_selectorILNS1_17partition_subalgoE6EjNS0_10empty_typeEbEEZZNS1_14partition_implILS5_6ELb0ES3_mN6thrust23THRUST_200600_302600_NS6detail15normal_iteratorINSA_10device_ptrIjEEEEPS6_SG_NS0_5tupleIJSF_S6_EEENSH_IJSG_SG_EEES6_PlJNSB_9not_fun_tI7is_evenIjEEEEEE10hipError_tPvRmT3_T4_T5_T6_T7_T9_mT8_P12ihipStream_tbDpT10_ENKUlT_T0_E_clISt17integral_constantIbLb0EES18_EEDaS13_S14_EUlS13_E_NS1_11comp_targetILNS1_3genE3ELNS1_11target_archE908ELNS1_3gpuE7ELNS1_3repE0EEENS1_30default_config_static_selectorELNS0_4arch9wavefront6targetE0EEEvT1_: ; @_ZN7rocprim17ROCPRIM_400000_NS6detail17trampoline_kernelINS0_14default_configENS1_25partition_config_selectorILNS1_17partition_subalgoE6EjNS0_10empty_typeEbEEZZNS1_14partition_implILS5_6ELb0ES3_mN6thrust23THRUST_200600_302600_NS6detail15normal_iteratorINSA_10device_ptrIjEEEEPS6_SG_NS0_5tupleIJSF_S6_EEENSH_IJSG_SG_EEES6_PlJNSB_9not_fun_tI7is_evenIjEEEEEE10hipError_tPvRmT3_T4_T5_T6_T7_T9_mT8_P12ihipStream_tbDpT10_ENKUlT_T0_E_clISt17integral_constantIbLb0EES18_EEDaS13_S14_EUlS13_E_NS1_11comp_targetILNS1_3genE3ELNS1_11target_archE908ELNS1_3gpuE7ELNS1_3repE0EEENS1_30default_config_static_selectorELNS0_4arch9wavefront6targetE0EEEvT1_
; %bb.0:
	.section	.rodata,"a",@progbits
	.p2align	6, 0x0
	.amdhsa_kernel _ZN7rocprim17ROCPRIM_400000_NS6detail17trampoline_kernelINS0_14default_configENS1_25partition_config_selectorILNS1_17partition_subalgoE6EjNS0_10empty_typeEbEEZZNS1_14partition_implILS5_6ELb0ES3_mN6thrust23THRUST_200600_302600_NS6detail15normal_iteratorINSA_10device_ptrIjEEEEPS6_SG_NS0_5tupleIJSF_S6_EEENSH_IJSG_SG_EEES6_PlJNSB_9not_fun_tI7is_evenIjEEEEEE10hipError_tPvRmT3_T4_T5_T6_T7_T9_mT8_P12ihipStream_tbDpT10_ENKUlT_T0_E_clISt17integral_constantIbLb0EES18_EEDaS13_S14_EUlS13_E_NS1_11comp_targetILNS1_3genE3ELNS1_11target_archE908ELNS1_3gpuE7ELNS1_3repE0EEENS1_30default_config_static_selectorELNS0_4arch9wavefront6targetE0EEEvT1_
		.amdhsa_group_segment_fixed_size 0
		.amdhsa_private_segment_fixed_size 0
		.amdhsa_kernarg_size 112
		.amdhsa_user_sgpr_count 2
		.amdhsa_user_sgpr_dispatch_ptr 0
		.amdhsa_user_sgpr_queue_ptr 0
		.amdhsa_user_sgpr_kernarg_segment_ptr 1
		.amdhsa_user_sgpr_dispatch_id 0
		.amdhsa_user_sgpr_private_segment_size 0
		.amdhsa_wavefront_size32 1
		.amdhsa_uses_dynamic_stack 0
		.amdhsa_enable_private_segment 0
		.amdhsa_system_sgpr_workgroup_id_x 1
		.amdhsa_system_sgpr_workgroup_id_y 0
		.amdhsa_system_sgpr_workgroup_id_z 0
		.amdhsa_system_sgpr_workgroup_info 0
		.amdhsa_system_vgpr_workitem_id 0
		.amdhsa_next_free_vgpr 1
		.amdhsa_next_free_sgpr 1
		.amdhsa_reserve_vcc 0
		.amdhsa_float_round_mode_32 0
		.amdhsa_float_round_mode_16_64 0
		.amdhsa_float_denorm_mode_32 3
		.amdhsa_float_denorm_mode_16_64 3
		.amdhsa_fp16_overflow 0
		.amdhsa_workgroup_processor_mode 1
		.amdhsa_memory_ordered 1
		.amdhsa_forward_progress 1
		.amdhsa_inst_pref_size 0
		.amdhsa_round_robin_scheduling 0
		.amdhsa_exception_fp_ieee_invalid_op 0
		.amdhsa_exception_fp_denorm_src 0
		.amdhsa_exception_fp_ieee_div_zero 0
		.amdhsa_exception_fp_ieee_overflow 0
		.amdhsa_exception_fp_ieee_underflow 0
		.amdhsa_exception_fp_ieee_inexact 0
		.amdhsa_exception_int_div_zero 0
	.end_amdhsa_kernel
	.section	.text._ZN7rocprim17ROCPRIM_400000_NS6detail17trampoline_kernelINS0_14default_configENS1_25partition_config_selectorILNS1_17partition_subalgoE6EjNS0_10empty_typeEbEEZZNS1_14partition_implILS5_6ELb0ES3_mN6thrust23THRUST_200600_302600_NS6detail15normal_iteratorINSA_10device_ptrIjEEEEPS6_SG_NS0_5tupleIJSF_S6_EEENSH_IJSG_SG_EEES6_PlJNSB_9not_fun_tI7is_evenIjEEEEEE10hipError_tPvRmT3_T4_T5_T6_T7_T9_mT8_P12ihipStream_tbDpT10_ENKUlT_T0_E_clISt17integral_constantIbLb0EES18_EEDaS13_S14_EUlS13_E_NS1_11comp_targetILNS1_3genE3ELNS1_11target_archE908ELNS1_3gpuE7ELNS1_3repE0EEENS1_30default_config_static_selectorELNS0_4arch9wavefront6targetE0EEEvT1_,"axG",@progbits,_ZN7rocprim17ROCPRIM_400000_NS6detail17trampoline_kernelINS0_14default_configENS1_25partition_config_selectorILNS1_17partition_subalgoE6EjNS0_10empty_typeEbEEZZNS1_14partition_implILS5_6ELb0ES3_mN6thrust23THRUST_200600_302600_NS6detail15normal_iteratorINSA_10device_ptrIjEEEEPS6_SG_NS0_5tupleIJSF_S6_EEENSH_IJSG_SG_EEES6_PlJNSB_9not_fun_tI7is_evenIjEEEEEE10hipError_tPvRmT3_T4_T5_T6_T7_T9_mT8_P12ihipStream_tbDpT10_ENKUlT_T0_E_clISt17integral_constantIbLb0EES18_EEDaS13_S14_EUlS13_E_NS1_11comp_targetILNS1_3genE3ELNS1_11target_archE908ELNS1_3gpuE7ELNS1_3repE0EEENS1_30default_config_static_selectorELNS0_4arch9wavefront6targetE0EEEvT1_,comdat
.Lfunc_end632:
	.size	_ZN7rocprim17ROCPRIM_400000_NS6detail17trampoline_kernelINS0_14default_configENS1_25partition_config_selectorILNS1_17partition_subalgoE6EjNS0_10empty_typeEbEEZZNS1_14partition_implILS5_6ELb0ES3_mN6thrust23THRUST_200600_302600_NS6detail15normal_iteratorINSA_10device_ptrIjEEEEPS6_SG_NS0_5tupleIJSF_S6_EEENSH_IJSG_SG_EEES6_PlJNSB_9not_fun_tI7is_evenIjEEEEEE10hipError_tPvRmT3_T4_T5_T6_T7_T9_mT8_P12ihipStream_tbDpT10_ENKUlT_T0_E_clISt17integral_constantIbLb0EES18_EEDaS13_S14_EUlS13_E_NS1_11comp_targetILNS1_3genE3ELNS1_11target_archE908ELNS1_3gpuE7ELNS1_3repE0EEENS1_30default_config_static_selectorELNS0_4arch9wavefront6targetE0EEEvT1_, .Lfunc_end632-_ZN7rocprim17ROCPRIM_400000_NS6detail17trampoline_kernelINS0_14default_configENS1_25partition_config_selectorILNS1_17partition_subalgoE6EjNS0_10empty_typeEbEEZZNS1_14partition_implILS5_6ELb0ES3_mN6thrust23THRUST_200600_302600_NS6detail15normal_iteratorINSA_10device_ptrIjEEEEPS6_SG_NS0_5tupleIJSF_S6_EEENSH_IJSG_SG_EEES6_PlJNSB_9not_fun_tI7is_evenIjEEEEEE10hipError_tPvRmT3_T4_T5_T6_T7_T9_mT8_P12ihipStream_tbDpT10_ENKUlT_T0_E_clISt17integral_constantIbLb0EES18_EEDaS13_S14_EUlS13_E_NS1_11comp_targetILNS1_3genE3ELNS1_11target_archE908ELNS1_3gpuE7ELNS1_3repE0EEENS1_30default_config_static_selectorELNS0_4arch9wavefront6targetE0EEEvT1_
                                        ; -- End function
	.set _ZN7rocprim17ROCPRIM_400000_NS6detail17trampoline_kernelINS0_14default_configENS1_25partition_config_selectorILNS1_17partition_subalgoE6EjNS0_10empty_typeEbEEZZNS1_14partition_implILS5_6ELb0ES3_mN6thrust23THRUST_200600_302600_NS6detail15normal_iteratorINSA_10device_ptrIjEEEEPS6_SG_NS0_5tupleIJSF_S6_EEENSH_IJSG_SG_EEES6_PlJNSB_9not_fun_tI7is_evenIjEEEEEE10hipError_tPvRmT3_T4_T5_T6_T7_T9_mT8_P12ihipStream_tbDpT10_ENKUlT_T0_E_clISt17integral_constantIbLb0EES18_EEDaS13_S14_EUlS13_E_NS1_11comp_targetILNS1_3genE3ELNS1_11target_archE908ELNS1_3gpuE7ELNS1_3repE0EEENS1_30default_config_static_selectorELNS0_4arch9wavefront6targetE0EEEvT1_.num_vgpr, 0
	.set _ZN7rocprim17ROCPRIM_400000_NS6detail17trampoline_kernelINS0_14default_configENS1_25partition_config_selectorILNS1_17partition_subalgoE6EjNS0_10empty_typeEbEEZZNS1_14partition_implILS5_6ELb0ES3_mN6thrust23THRUST_200600_302600_NS6detail15normal_iteratorINSA_10device_ptrIjEEEEPS6_SG_NS0_5tupleIJSF_S6_EEENSH_IJSG_SG_EEES6_PlJNSB_9not_fun_tI7is_evenIjEEEEEE10hipError_tPvRmT3_T4_T5_T6_T7_T9_mT8_P12ihipStream_tbDpT10_ENKUlT_T0_E_clISt17integral_constantIbLb0EES18_EEDaS13_S14_EUlS13_E_NS1_11comp_targetILNS1_3genE3ELNS1_11target_archE908ELNS1_3gpuE7ELNS1_3repE0EEENS1_30default_config_static_selectorELNS0_4arch9wavefront6targetE0EEEvT1_.num_agpr, 0
	.set _ZN7rocprim17ROCPRIM_400000_NS6detail17trampoline_kernelINS0_14default_configENS1_25partition_config_selectorILNS1_17partition_subalgoE6EjNS0_10empty_typeEbEEZZNS1_14partition_implILS5_6ELb0ES3_mN6thrust23THRUST_200600_302600_NS6detail15normal_iteratorINSA_10device_ptrIjEEEEPS6_SG_NS0_5tupleIJSF_S6_EEENSH_IJSG_SG_EEES6_PlJNSB_9not_fun_tI7is_evenIjEEEEEE10hipError_tPvRmT3_T4_T5_T6_T7_T9_mT8_P12ihipStream_tbDpT10_ENKUlT_T0_E_clISt17integral_constantIbLb0EES18_EEDaS13_S14_EUlS13_E_NS1_11comp_targetILNS1_3genE3ELNS1_11target_archE908ELNS1_3gpuE7ELNS1_3repE0EEENS1_30default_config_static_selectorELNS0_4arch9wavefront6targetE0EEEvT1_.numbered_sgpr, 0
	.set _ZN7rocprim17ROCPRIM_400000_NS6detail17trampoline_kernelINS0_14default_configENS1_25partition_config_selectorILNS1_17partition_subalgoE6EjNS0_10empty_typeEbEEZZNS1_14partition_implILS5_6ELb0ES3_mN6thrust23THRUST_200600_302600_NS6detail15normal_iteratorINSA_10device_ptrIjEEEEPS6_SG_NS0_5tupleIJSF_S6_EEENSH_IJSG_SG_EEES6_PlJNSB_9not_fun_tI7is_evenIjEEEEEE10hipError_tPvRmT3_T4_T5_T6_T7_T9_mT8_P12ihipStream_tbDpT10_ENKUlT_T0_E_clISt17integral_constantIbLb0EES18_EEDaS13_S14_EUlS13_E_NS1_11comp_targetILNS1_3genE3ELNS1_11target_archE908ELNS1_3gpuE7ELNS1_3repE0EEENS1_30default_config_static_selectorELNS0_4arch9wavefront6targetE0EEEvT1_.num_named_barrier, 0
	.set _ZN7rocprim17ROCPRIM_400000_NS6detail17trampoline_kernelINS0_14default_configENS1_25partition_config_selectorILNS1_17partition_subalgoE6EjNS0_10empty_typeEbEEZZNS1_14partition_implILS5_6ELb0ES3_mN6thrust23THRUST_200600_302600_NS6detail15normal_iteratorINSA_10device_ptrIjEEEEPS6_SG_NS0_5tupleIJSF_S6_EEENSH_IJSG_SG_EEES6_PlJNSB_9not_fun_tI7is_evenIjEEEEEE10hipError_tPvRmT3_T4_T5_T6_T7_T9_mT8_P12ihipStream_tbDpT10_ENKUlT_T0_E_clISt17integral_constantIbLb0EES18_EEDaS13_S14_EUlS13_E_NS1_11comp_targetILNS1_3genE3ELNS1_11target_archE908ELNS1_3gpuE7ELNS1_3repE0EEENS1_30default_config_static_selectorELNS0_4arch9wavefront6targetE0EEEvT1_.private_seg_size, 0
	.set _ZN7rocprim17ROCPRIM_400000_NS6detail17trampoline_kernelINS0_14default_configENS1_25partition_config_selectorILNS1_17partition_subalgoE6EjNS0_10empty_typeEbEEZZNS1_14partition_implILS5_6ELb0ES3_mN6thrust23THRUST_200600_302600_NS6detail15normal_iteratorINSA_10device_ptrIjEEEEPS6_SG_NS0_5tupleIJSF_S6_EEENSH_IJSG_SG_EEES6_PlJNSB_9not_fun_tI7is_evenIjEEEEEE10hipError_tPvRmT3_T4_T5_T6_T7_T9_mT8_P12ihipStream_tbDpT10_ENKUlT_T0_E_clISt17integral_constantIbLb0EES18_EEDaS13_S14_EUlS13_E_NS1_11comp_targetILNS1_3genE3ELNS1_11target_archE908ELNS1_3gpuE7ELNS1_3repE0EEENS1_30default_config_static_selectorELNS0_4arch9wavefront6targetE0EEEvT1_.uses_vcc, 0
	.set _ZN7rocprim17ROCPRIM_400000_NS6detail17trampoline_kernelINS0_14default_configENS1_25partition_config_selectorILNS1_17partition_subalgoE6EjNS0_10empty_typeEbEEZZNS1_14partition_implILS5_6ELb0ES3_mN6thrust23THRUST_200600_302600_NS6detail15normal_iteratorINSA_10device_ptrIjEEEEPS6_SG_NS0_5tupleIJSF_S6_EEENSH_IJSG_SG_EEES6_PlJNSB_9not_fun_tI7is_evenIjEEEEEE10hipError_tPvRmT3_T4_T5_T6_T7_T9_mT8_P12ihipStream_tbDpT10_ENKUlT_T0_E_clISt17integral_constantIbLb0EES18_EEDaS13_S14_EUlS13_E_NS1_11comp_targetILNS1_3genE3ELNS1_11target_archE908ELNS1_3gpuE7ELNS1_3repE0EEENS1_30default_config_static_selectorELNS0_4arch9wavefront6targetE0EEEvT1_.uses_flat_scratch, 0
	.set _ZN7rocprim17ROCPRIM_400000_NS6detail17trampoline_kernelINS0_14default_configENS1_25partition_config_selectorILNS1_17partition_subalgoE6EjNS0_10empty_typeEbEEZZNS1_14partition_implILS5_6ELb0ES3_mN6thrust23THRUST_200600_302600_NS6detail15normal_iteratorINSA_10device_ptrIjEEEEPS6_SG_NS0_5tupleIJSF_S6_EEENSH_IJSG_SG_EEES6_PlJNSB_9not_fun_tI7is_evenIjEEEEEE10hipError_tPvRmT3_T4_T5_T6_T7_T9_mT8_P12ihipStream_tbDpT10_ENKUlT_T0_E_clISt17integral_constantIbLb0EES18_EEDaS13_S14_EUlS13_E_NS1_11comp_targetILNS1_3genE3ELNS1_11target_archE908ELNS1_3gpuE7ELNS1_3repE0EEENS1_30default_config_static_selectorELNS0_4arch9wavefront6targetE0EEEvT1_.has_dyn_sized_stack, 0
	.set _ZN7rocprim17ROCPRIM_400000_NS6detail17trampoline_kernelINS0_14default_configENS1_25partition_config_selectorILNS1_17partition_subalgoE6EjNS0_10empty_typeEbEEZZNS1_14partition_implILS5_6ELb0ES3_mN6thrust23THRUST_200600_302600_NS6detail15normal_iteratorINSA_10device_ptrIjEEEEPS6_SG_NS0_5tupleIJSF_S6_EEENSH_IJSG_SG_EEES6_PlJNSB_9not_fun_tI7is_evenIjEEEEEE10hipError_tPvRmT3_T4_T5_T6_T7_T9_mT8_P12ihipStream_tbDpT10_ENKUlT_T0_E_clISt17integral_constantIbLb0EES18_EEDaS13_S14_EUlS13_E_NS1_11comp_targetILNS1_3genE3ELNS1_11target_archE908ELNS1_3gpuE7ELNS1_3repE0EEENS1_30default_config_static_selectorELNS0_4arch9wavefront6targetE0EEEvT1_.has_recursion, 0
	.set _ZN7rocprim17ROCPRIM_400000_NS6detail17trampoline_kernelINS0_14default_configENS1_25partition_config_selectorILNS1_17partition_subalgoE6EjNS0_10empty_typeEbEEZZNS1_14partition_implILS5_6ELb0ES3_mN6thrust23THRUST_200600_302600_NS6detail15normal_iteratorINSA_10device_ptrIjEEEEPS6_SG_NS0_5tupleIJSF_S6_EEENSH_IJSG_SG_EEES6_PlJNSB_9not_fun_tI7is_evenIjEEEEEE10hipError_tPvRmT3_T4_T5_T6_T7_T9_mT8_P12ihipStream_tbDpT10_ENKUlT_T0_E_clISt17integral_constantIbLb0EES18_EEDaS13_S14_EUlS13_E_NS1_11comp_targetILNS1_3genE3ELNS1_11target_archE908ELNS1_3gpuE7ELNS1_3repE0EEENS1_30default_config_static_selectorELNS0_4arch9wavefront6targetE0EEEvT1_.has_indirect_call, 0
	.section	.AMDGPU.csdata,"",@progbits
; Kernel info:
; codeLenInByte = 0
; TotalNumSgprs: 0
; NumVgprs: 0
; ScratchSize: 0
; MemoryBound: 0
; FloatMode: 240
; IeeeMode: 1
; LDSByteSize: 0 bytes/workgroup (compile time only)
; SGPRBlocks: 0
; VGPRBlocks: 0
; NumSGPRsForWavesPerEU: 1
; NumVGPRsForWavesPerEU: 1
; Occupancy: 16
; WaveLimiterHint : 0
; COMPUTE_PGM_RSRC2:SCRATCH_EN: 0
; COMPUTE_PGM_RSRC2:USER_SGPR: 2
; COMPUTE_PGM_RSRC2:TRAP_HANDLER: 0
; COMPUTE_PGM_RSRC2:TGID_X_EN: 1
; COMPUTE_PGM_RSRC2:TGID_Y_EN: 0
; COMPUTE_PGM_RSRC2:TGID_Z_EN: 0
; COMPUTE_PGM_RSRC2:TIDIG_COMP_CNT: 0
	.section	.text._ZN7rocprim17ROCPRIM_400000_NS6detail17trampoline_kernelINS0_14default_configENS1_25partition_config_selectorILNS1_17partition_subalgoE6EjNS0_10empty_typeEbEEZZNS1_14partition_implILS5_6ELb0ES3_mN6thrust23THRUST_200600_302600_NS6detail15normal_iteratorINSA_10device_ptrIjEEEEPS6_SG_NS0_5tupleIJSF_S6_EEENSH_IJSG_SG_EEES6_PlJNSB_9not_fun_tI7is_evenIjEEEEEE10hipError_tPvRmT3_T4_T5_T6_T7_T9_mT8_P12ihipStream_tbDpT10_ENKUlT_T0_E_clISt17integral_constantIbLb0EES18_EEDaS13_S14_EUlS13_E_NS1_11comp_targetILNS1_3genE2ELNS1_11target_archE906ELNS1_3gpuE6ELNS1_3repE0EEENS1_30default_config_static_selectorELNS0_4arch9wavefront6targetE0EEEvT1_,"axG",@progbits,_ZN7rocprim17ROCPRIM_400000_NS6detail17trampoline_kernelINS0_14default_configENS1_25partition_config_selectorILNS1_17partition_subalgoE6EjNS0_10empty_typeEbEEZZNS1_14partition_implILS5_6ELb0ES3_mN6thrust23THRUST_200600_302600_NS6detail15normal_iteratorINSA_10device_ptrIjEEEEPS6_SG_NS0_5tupleIJSF_S6_EEENSH_IJSG_SG_EEES6_PlJNSB_9not_fun_tI7is_evenIjEEEEEE10hipError_tPvRmT3_T4_T5_T6_T7_T9_mT8_P12ihipStream_tbDpT10_ENKUlT_T0_E_clISt17integral_constantIbLb0EES18_EEDaS13_S14_EUlS13_E_NS1_11comp_targetILNS1_3genE2ELNS1_11target_archE906ELNS1_3gpuE6ELNS1_3repE0EEENS1_30default_config_static_selectorELNS0_4arch9wavefront6targetE0EEEvT1_,comdat
	.protected	_ZN7rocprim17ROCPRIM_400000_NS6detail17trampoline_kernelINS0_14default_configENS1_25partition_config_selectorILNS1_17partition_subalgoE6EjNS0_10empty_typeEbEEZZNS1_14partition_implILS5_6ELb0ES3_mN6thrust23THRUST_200600_302600_NS6detail15normal_iteratorINSA_10device_ptrIjEEEEPS6_SG_NS0_5tupleIJSF_S6_EEENSH_IJSG_SG_EEES6_PlJNSB_9not_fun_tI7is_evenIjEEEEEE10hipError_tPvRmT3_T4_T5_T6_T7_T9_mT8_P12ihipStream_tbDpT10_ENKUlT_T0_E_clISt17integral_constantIbLb0EES18_EEDaS13_S14_EUlS13_E_NS1_11comp_targetILNS1_3genE2ELNS1_11target_archE906ELNS1_3gpuE6ELNS1_3repE0EEENS1_30default_config_static_selectorELNS0_4arch9wavefront6targetE0EEEvT1_ ; -- Begin function _ZN7rocprim17ROCPRIM_400000_NS6detail17trampoline_kernelINS0_14default_configENS1_25partition_config_selectorILNS1_17partition_subalgoE6EjNS0_10empty_typeEbEEZZNS1_14partition_implILS5_6ELb0ES3_mN6thrust23THRUST_200600_302600_NS6detail15normal_iteratorINSA_10device_ptrIjEEEEPS6_SG_NS0_5tupleIJSF_S6_EEENSH_IJSG_SG_EEES6_PlJNSB_9not_fun_tI7is_evenIjEEEEEE10hipError_tPvRmT3_T4_T5_T6_T7_T9_mT8_P12ihipStream_tbDpT10_ENKUlT_T0_E_clISt17integral_constantIbLb0EES18_EEDaS13_S14_EUlS13_E_NS1_11comp_targetILNS1_3genE2ELNS1_11target_archE906ELNS1_3gpuE6ELNS1_3repE0EEENS1_30default_config_static_selectorELNS0_4arch9wavefront6targetE0EEEvT1_
	.globl	_ZN7rocprim17ROCPRIM_400000_NS6detail17trampoline_kernelINS0_14default_configENS1_25partition_config_selectorILNS1_17partition_subalgoE6EjNS0_10empty_typeEbEEZZNS1_14partition_implILS5_6ELb0ES3_mN6thrust23THRUST_200600_302600_NS6detail15normal_iteratorINSA_10device_ptrIjEEEEPS6_SG_NS0_5tupleIJSF_S6_EEENSH_IJSG_SG_EEES6_PlJNSB_9not_fun_tI7is_evenIjEEEEEE10hipError_tPvRmT3_T4_T5_T6_T7_T9_mT8_P12ihipStream_tbDpT10_ENKUlT_T0_E_clISt17integral_constantIbLb0EES18_EEDaS13_S14_EUlS13_E_NS1_11comp_targetILNS1_3genE2ELNS1_11target_archE906ELNS1_3gpuE6ELNS1_3repE0EEENS1_30default_config_static_selectorELNS0_4arch9wavefront6targetE0EEEvT1_
	.p2align	8
	.type	_ZN7rocprim17ROCPRIM_400000_NS6detail17trampoline_kernelINS0_14default_configENS1_25partition_config_selectorILNS1_17partition_subalgoE6EjNS0_10empty_typeEbEEZZNS1_14partition_implILS5_6ELb0ES3_mN6thrust23THRUST_200600_302600_NS6detail15normal_iteratorINSA_10device_ptrIjEEEEPS6_SG_NS0_5tupleIJSF_S6_EEENSH_IJSG_SG_EEES6_PlJNSB_9not_fun_tI7is_evenIjEEEEEE10hipError_tPvRmT3_T4_T5_T6_T7_T9_mT8_P12ihipStream_tbDpT10_ENKUlT_T0_E_clISt17integral_constantIbLb0EES18_EEDaS13_S14_EUlS13_E_NS1_11comp_targetILNS1_3genE2ELNS1_11target_archE906ELNS1_3gpuE6ELNS1_3repE0EEENS1_30default_config_static_selectorELNS0_4arch9wavefront6targetE0EEEvT1_,@function
_ZN7rocprim17ROCPRIM_400000_NS6detail17trampoline_kernelINS0_14default_configENS1_25partition_config_selectorILNS1_17partition_subalgoE6EjNS0_10empty_typeEbEEZZNS1_14partition_implILS5_6ELb0ES3_mN6thrust23THRUST_200600_302600_NS6detail15normal_iteratorINSA_10device_ptrIjEEEEPS6_SG_NS0_5tupleIJSF_S6_EEENSH_IJSG_SG_EEES6_PlJNSB_9not_fun_tI7is_evenIjEEEEEE10hipError_tPvRmT3_T4_T5_T6_T7_T9_mT8_P12ihipStream_tbDpT10_ENKUlT_T0_E_clISt17integral_constantIbLb0EES18_EEDaS13_S14_EUlS13_E_NS1_11comp_targetILNS1_3genE2ELNS1_11target_archE906ELNS1_3gpuE6ELNS1_3repE0EEENS1_30default_config_static_selectorELNS0_4arch9wavefront6targetE0EEEvT1_: ; @_ZN7rocprim17ROCPRIM_400000_NS6detail17trampoline_kernelINS0_14default_configENS1_25partition_config_selectorILNS1_17partition_subalgoE6EjNS0_10empty_typeEbEEZZNS1_14partition_implILS5_6ELb0ES3_mN6thrust23THRUST_200600_302600_NS6detail15normal_iteratorINSA_10device_ptrIjEEEEPS6_SG_NS0_5tupleIJSF_S6_EEENSH_IJSG_SG_EEES6_PlJNSB_9not_fun_tI7is_evenIjEEEEEE10hipError_tPvRmT3_T4_T5_T6_T7_T9_mT8_P12ihipStream_tbDpT10_ENKUlT_T0_E_clISt17integral_constantIbLb0EES18_EEDaS13_S14_EUlS13_E_NS1_11comp_targetILNS1_3genE2ELNS1_11target_archE906ELNS1_3gpuE6ELNS1_3repE0EEENS1_30default_config_static_selectorELNS0_4arch9wavefront6targetE0EEEvT1_
; %bb.0:
	.section	.rodata,"a",@progbits
	.p2align	6, 0x0
	.amdhsa_kernel _ZN7rocprim17ROCPRIM_400000_NS6detail17trampoline_kernelINS0_14default_configENS1_25partition_config_selectorILNS1_17partition_subalgoE6EjNS0_10empty_typeEbEEZZNS1_14partition_implILS5_6ELb0ES3_mN6thrust23THRUST_200600_302600_NS6detail15normal_iteratorINSA_10device_ptrIjEEEEPS6_SG_NS0_5tupleIJSF_S6_EEENSH_IJSG_SG_EEES6_PlJNSB_9not_fun_tI7is_evenIjEEEEEE10hipError_tPvRmT3_T4_T5_T6_T7_T9_mT8_P12ihipStream_tbDpT10_ENKUlT_T0_E_clISt17integral_constantIbLb0EES18_EEDaS13_S14_EUlS13_E_NS1_11comp_targetILNS1_3genE2ELNS1_11target_archE906ELNS1_3gpuE6ELNS1_3repE0EEENS1_30default_config_static_selectorELNS0_4arch9wavefront6targetE0EEEvT1_
		.amdhsa_group_segment_fixed_size 0
		.amdhsa_private_segment_fixed_size 0
		.amdhsa_kernarg_size 112
		.amdhsa_user_sgpr_count 2
		.amdhsa_user_sgpr_dispatch_ptr 0
		.amdhsa_user_sgpr_queue_ptr 0
		.amdhsa_user_sgpr_kernarg_segment_ptr 1
		.amdhsa_user_sgpr_dispatch_id 0
		.amdhsa_user_sgpr_private_segment_size 0
		.amdhsa_wavefront_size32 1
		.amdhsa_uses_dynamic_stack 0
		.amdhsa_enable_private_segment 0
		.amdhsa_system_sgpr_workgroup_id_x 1
		.amdhsa_system_sgpr_workgroup_id_y 0
		.amdhsa_system_sgpr_workgroup_id_z 0
		.amdhsa_system_sgpr_workgroup_info 0
		.amdhsa_system_vgpr_workitem_id 0
		.amdhsa_next_free_vgpr 1
		.amdhsa_next_free_sgpr 1
		.amdhsa_reserve_vcc 0
		.amdhsa_float_round_mode_32 0
		.amdhsa_float_round_mode_16_64 0
		.amdhsa_float_denorm_mode_32 3
		.amdhsa_float_denorm_mode_16_64 3
		.amdhsa_fp16_overflow 0
		.amdhsa_workgroup_processor_mode 1
		.amdhsa_memory_ordered 1
		.amdhsa_forward_progress 1
		.amdhsa_inst_pref_size 0
		.amdhsa_round_robin_scheduling 0
		.amdhsa_exception_fp_ieee_invalid_op 0
		.amdhsa_exception_fp_denorm_src 0
		.amdhsa_exception_fp_ieee_div_zero 0
		.amdhsa_exception_fp_ieee_overflow 0
		.amdhsa_exception_fp_ieee_underflow 0
		.amdhsa_exception_fp_ieee_inexact 0
		.amdhsa_exception_int_div_zero 0
	.end_amdhsa_kernel
	.section	.text._ZN7rocprim17ROCPRIM_400000_NS6detail17trampoline_kernelINS0_14default_configENS1_25partition_config_selectorILNS1_17partition_subalgoE6EjNS0_10empty_typeEbEEZZNS1_14partition_implILS5_6ELb0ES3_mN6thrust23THRUST_200600_302600_NS6detail15normal_iteratorINSA_10device_ptrIjEEEEPS6_SG_NS0_5tupleIJSF_S6_EEENSH_IJSG_SG_EEES6_PlJNSB_9not_fun_tI7is_evenIjEEEEEE10hipError_tPvRmT3_T4_T5_T6_T7_T9_mT8_P12ihipStream_tbDpT10_ENKUlT_T0_E_clISt17integral_constantIbLb0EES18_EEDaS13_S14_EUlS13_E_NS1_11comp_targetILNS1_3genE2ELNS1_11target_archE906ELNS1_3gpuE6ELNS1_3repE0EEENS1_30default_config_static_selectorELNS0_4arch9wavefront6targetE0EEEvT1_,"axG",@progbits,_ZN7rocprim17ROCPRIM_400000_NS6detail17trampoline_kernelINS0_14default_configENS1_25partition_config_selectorILNS1_17partition_subalgoE6EjNS0_10empty_typeEbEEZZNS1_14partition_implILS5_6ELb0ES3_mN6thrust23THRUST_200600_302600_NS6detail15normal_iteratorINSA_10device_ptrIjEEEEPS6_SG_NS0_5tupleIJSF_S6_EEENSH_IJSG_SG_EEES6_PlJNSB_9not_fun_tI7is_evenIjEEEEEE10hipError_tPvRmT3_T4_T5_T6_T7_T9_mT8_P12ihipStream_tbDpT10_ENKUlT_T0_E_clISt17integral_constantIbLb0EES18_EEDaS13_S14_EUlS13_E_NS1_11comp_targetILNS1_3genE2ELNS1_11target_archE906ELNS1_3gpuE6ELNS1_3repE0EEENS1_30default_config_static_selectorELNS0_4arch9wavefront6targetE0EEEvT1_,comdat
.Lfunc_end633:
	.size	_ZN7rocprim17ROCPRIM_400000_NS6detail17trampoline_kernelINS0_14default_configENS1_25partition_config_selectorILNS1_17partition_subalgoE6EjNS0_10empty_typeEbEEZZNS1_14partition_implILS5_6ELb0ES3_mN6thrust23THRUST_200600_302600_NS6detail15normal_iteratorINSA_10device_ptrIjEEEEPS6_SG_NS0_5tupleIJSF_S6_EEENSH_IJSG_SG_EEES6_PlJNSB_9not_fun_tI7is_evenIjEEEEEE10hipError_tPvRmT3_T4_T5_T6_T7_T9_mT8_P12ihipStream_tbDpT10_ENKUlT_T0_E_clISt17integral_constantIbLb0EES18_EEDaS13_S14_EUlS13_E_NS1_11comp_targetILNS1_3genE2ELNS1_11target_archE906ELNS1_3gpuE6ELNS1_3repE0EEENS1_30default_config_static_selectorELNS0_4arch9wavefront6targetE0EEEvT1_, .Lfunc_end633-_ZN7rocprim17ROCPRIM_400000_NS6detail17trampoline_kernelINS0_14default_configENS1_25partition_config_selectorILNS1_17partition_subalgoE6EjNS0_10empty_typeEbEEZZNS1_14partition_implILS5_6ELb0ES3_mN6thrust23THRUST_200600_302600_NS6detail15normal_iteratorINSA_10device_ptrIjEEEEPS6_SG_NS0_5tupleIJSF_S6_EEENSH_IJSG_SG_EEES6_PlJNSB_9not_fun_tI7is_evenIjEEEEEE10hipError_tPvRmT3_T4_T5_T6_T7_T9_mT8_P12ihipStream_tbDpT10_ENKUlT_T0_E_clISt17integral_constantIbLb0EES18_EEDaS13_S14_EUlS13_E_NS1_11comp_targetILNS1_3genE2ELNS1_11target_archE906ELNS1_3gpuE6ELNS1_3repE0EEENS1_30default_config_static_selectorELNS0_4arch9wavefront6targetE0EEEvT1_
                                        ; -- End function
	.set _ZN7rocprim17ROCPRIM_400000_NS6detail17trampoline_kernelINS0_14default_configENS1_25partition_config_selectorILNS1_17partition_subalgoE6EjNS0_10empty_typeEbEEZZNS1_14partition_implILS5_6ELb0ES3_mN6thrust23THRUST_200600_302600_NS6detail15normal_iteratorINSA_10device_ptrIjEEEEPS6_SG_NS0_5tupleIJSF_S6_EEENSH_IJSG_SG_EEES6_PlJNSB_9not_fun_tI7is_evenIjEEEEEE10hipError_tPvRmT3_T4_T5_T6_T7_T9_mT8_P12ihipStream_tbDpT10_ENKUlT_T0_E_clISt17integral_constantIbLb0EES18_EEDaS13_S14_EUlS13_E_NS1_11comp_targetILNS1_3genE2ELNS1_11target_archE906ELNS1_3gpuE6ELNS1_3repE0EEENS1_30default_config_static_selectorELNS0_4arch9wavefront6targetE0EEEvT1_.num_vgpr, 0
	.set _ZN7rocprim17ROCPRIM_400000_NS6detail17trampoline_kernelINS0_14default_configENS1_25partition_config_selectorILNS1_17partition_subalgoE6EjNS0_10empty_typeEbEEZZNS1_14partition_implILS5_6ELb0ES3_mN6thrust23THRUST_200600_302600_NS6detail15normal_iteratorINSA_10device_ptrIjEEEEPS6_SG_NS0_5tupleIJSF_S6_EEENSH_IJSG_SG_EEES6_PlJNSB_9not_fun_tI7is_evenIjEEEEEE10hipError_tPvRmT3_T4_T5_T6_T7_T9_mT8_P12ihipStream_tbDpT10_ENKUlT_T0_E_clISt17integral_constantIbLb0EES18_EEDaS13_S14_EUlS13_E_NS1_11comp_targetILNS1_3genE2ELNS1_11target_archE906ELNS1_3gpuE6ELNS1_3repE0EEENS1_30default_config_static_selectorELNS0_4arch9wavefront6targetE0EEEvT1_.num_agpr, 0
	.set _ZN7rocprim17ROCPRIM_400000_NS6detail17trampoline_kernelINS0_14default_configENS1_25partition_config_selectorILNS1_17partition_subalgoE6EjNS0_10empty_typeEbEEZZNS1_14partition_implILS5_6ELb0ES3_mN6thrust23THRUST_200600_302600_NS6detail15normal_iteratorINSA_10device_ptrIjEEEEPS6_SG_NS0_5tupleIJSF_S6_EEENSH_IJSG_SG_EEES6_PlJNSB_9not_fun_tI7is_evenIjEEEEEE10hipError_tPvRmT3_T4_T5_T6_T7_T9_mT8_P12ihipStream_tbDpT10_ENKUlT_T0_E_clISt17integral_constantIbLb0EES18_EEDaS13_S14_EUlS13_E_NS1_11comp_targetILNS1_3genE2ELNS1_11target_archE906ELNS1_3gpuE6ELNS1_3repE0EEENS1_30default_config_static_selectorELNS0_4arch9wavefront6targetE0EEEvT1_.numbered_sgpr, 0
	.set _ZN7rocprim17ROCPRIM_400000_NS6detail17trampoline_kernelINS0_14default_configENS1_25partition_config_selectorILNS1_17partition_subalgoE6EjNS0_10empty_typeEbEEZZNS1_14partition_implILS5_6ELb0ES3_mN6thrust23THRUST_200600_302600_NS6detail15normal_iteratorINSA_10device_ptrIjEEEEPS6_SG_NS0_5tupleIJSF_S6_EEENSH_IJSG_SG_EEES6_PlJNSB_9not_fun_tI7is_evenIjEEEEEE10hipError_tPvRmT3_T4_T5_T6_T7_T9_mT8_P12ihipStream_tbDpT10_ENKUlT_T0_E_clISt17integral_constantIbLb0EES18_EEDaS13_S14_EUlS13_E_NS1_11comp_targetILNS1_3genE2ELNS1_11target_archE906ELNS1_3gpuE6ELNS1_3repE0EEENS1_30default_config_static_selectorELNS0_4arch9wavefront6targetE0EEEvT1_.num_named_barrier, 0
	.set _ZN7rocprim17ROCPRIM_400000_NS6detail17trampoline_kernelINS0_14default_configENS1_25partition_config_selectorILNS1_17partition_subalgoE6EjNS0_10empty_typeEbEEZZNS1_14partition_implILS5_6ELb0ES3_mN6thrust23THRUST_200600_302600_NS6detail15normal_iteratorINSA_10device_ptrIjEEEEPS6_SG_NS0_5tupleIJSF_S6_EEENSH_IJSG_SG_EEES6_PlJNSB_9not_fun_tI7is_evenIjEEEEEE10hipError_tPvRmT3_T4_T5_T6_T7_T9_mT8_P12ihipStream_tbDpT10_ENKUlT_T0_E_clISt17integral_constantIbLb0EES18_EEDaS13_S14_EUlS13_E_NS1_11comp_targetILNS1_3genE2ELNS1_11target_archE906ELNS1_3gpuE6ELNS1_3repE0EEENS1_30default_config_static_selectorELNS0_4arch9wavefront6targetE0EEEvT1_.private_seg_size, 0
	.set _ZN7rocprim17ROCPRIM_400000_NS6detail17trampoline_kernelINS0_14default_configENS1_25partition_config_selectorILNS1_17partition_subalgoE6EjNS0_10empty_typeEbEEZZNS1_14partition_implILS5_6ELb0ES3_mN6thrust23THRUST_200600_302600_NS6detail15normal_iteratorINSA_10device_ptrIjEEEEPS6_SG_NS0_5tupleIJSF_S6_EEENSH_IJSG_SG_EEES6_PlJNSB_9not_fun_tI7is_evenIjEEEEEE10hipError_tPvRmT3_T4_T5_T6_T7_T9_mT8_P12ihipStream_tbDpT10_ENKUlT_T0_E_clISt17integral_constantIbLb0EES18_EEDaS13_S14_EUlS13_E_NS1_11comp_targetILNS1_3genE2ELNS1_11target_archE906ELNS1_3gpuE6ELNS1_3repE0EEENS1_30default_config_static_selectorELNS0_4arch9wavefront6targetE0EEEvT1_.uses_vcc, 0
	.set _ZN7rocprim17ROCPRIM_400000_NS6detail17trampoline_kernelINS0_14default_configENS1_25partition_config_selectorILNS1_17partition_subalgoE6EjNS0_10empty_typeEbEEZZNS1_14partition_implILS5_6ELb0ES3_mN6thrust23THRUST_200600_302600_NS6detail15normal_iteratorINSA_10device_ptrIjEEEEPS6_SG_NS0_5tupleIJSF_S6_EEENSH_IJSG_SG_EEES6_PlJNSB_9not_fun_tI7is_evenIjEEEEEE10hipError_tPvRmT3_T4_T5_T6_T7_T9_mT8_P12ihipStream_tbDpT10_ENKUlT_T0_E_clISt17integral_constantIbLb0EES18_EEDaS13_S14_EUlS13_E_NS1_11comp_targetILNS1_3genE2ELNS1_11target_archE906ELNS1_3gpuE6ELNS1_3repE0EEENS1_30default_config_static_selectorELNS0_4arch9wavefront6targetE0EEEvT1_.uses_flat_scratch, 0
	.set _ZN7rocprim17ROCPRIM_400000_NS6detail17trampoline_kernelINS0_14default_configENS1_25partition_config_selectorILNS1_17partition_subalgoE6EjNS0_10empty_typeEbEEZZNS1_14partition_implILS5_6ELb0ES3_mN6thrust23THRUST_200600_302600_NS6detail15normal_iteratorINSA_10device_ptrIjEEEEPS6_SG_NS0_5tupleIJSF_S6_EEENSH_IJSG_SG_EEES6_PlJNSB_9not_fun_tI7is_evenIjEEEEEE10hipError_tPvRmT3_T4_T5_T6_T7_T9_mT8_P12ihipStream_tbDpT10_ENKUlT_T0_E_clISt17integral_constantIbLb0EES18_EEDaS13_S14_EUlS13_E_NS1_11comp_targetILNS1_3genE2ELNS1_11target_archE906ELNS1_3gpuE6ELNS1_3repE0EEENS1_30default_config_static_selectorELNS0_4arch9wavefront6targetE0EEEvT1_.has_dyn_sized_stack, 0
	.set _ZN7rocprim17ROCPRIM_400000_NS6detail17trampoline_kernelINS0_14default_configENS1_25partition_config_selectorILNS1_17partition_subalgoE6EjNS0_10empty_typeEbEEZZNS1_14partition_implILS5_6ELb0ES3_mN6thrust23THRUST_200600_302600_NS6detail15normal_iteratorINSA_10device_ptrIjEEEEPS6_SG_NS0_5tupleIJSF_S6_EEENSH_IJSG_SG_EEES6_PlJNSB_9not_fun_tI7is_evenIjEEEEEE10hipError_tPvRmT3_T4_T5_T6_T7_T9_mT8_P12ihipStream_tbDpT10_ENKUlT_T0_E_clISt17integral_constantIbLb0EES18_EEDaS13_S14_EUlS13_E_NS1_11comp_targetILNS1_3genE2ELNS1_11target_archE906ELNS1_3gpuE6ELNS1_3repE0EEENS1_30default_config_static_selectorELNS0_4arch9wavefront6targetE0EEEvT1_.has_recursion, 0
	.set _ZN7rocprim17ROCPRIM_400000_NS6detail17trampoline_kernelINS0_14default_configENS1_25partition_config_selectorILNS1_17partition_subalgoE6EjNS0_10empty_typeEbEEZZNS1_14partition_implILS5_6ELb0ES3_mN6thrust23THRUST_200600_302600_NS6detail15normal_iteratorINSA_10device_ptrIjEEEEPS6_SG_NS0_5tupleIJSF_S6_EEENSH_IJSG_SG_EEES6_PlJNSB_9not_fun_tI7is_evenIjEEEEEE10hipError_tPvRmT3_T4_T5_T6_T7_T9_mT8_P12ihipStream_tbDpT10_ENKUlT_T0_E_clISt17integral_constantIbLb0EES18_EEDaS13_S14_EUlS13_E_NS1_11comp_targetILNS1_3genE2ELNS1_11target_archE906ELNS1_3gpuE6ELNS1_3repE0EEENS1_30default_config_static_selectorELNS0_4arch9wavefront6targetE0EEEvT1_.has_indirect_call, 0
	.section	.AMDGPU.csdata,"",@progbits
; Kernel info:
; codeLenInByte = 0
; TotalNumSgprs: 0
; NumVgprs: 0
; ScratchSize: 0
; MemoryBound: 0
; FloatMode: 240
; IeeeMode: 1
; LDSByteSize: 0 bytes/workgroup (compile time only)
; SGPRBlocks: 0
; VGPRBlocks: 0
; NumSGPRsForWavesPerEU: 1
; NumVGPRsForWavesPerEU: 1
; Occupancy: 16
; WaveLimiterHint : 0
; COMPUTE_PGM_RSRC2:SCRATCH_EN: 0
; COMPUTE_PGM_RSRC2:USER_SGPR: 2
; COMPUTE_PGM_RSRC2:TRAP_HANDLER: 0
; COMPUTE_PGM_RSRC2:TGID_X_EN: 1
; COMPUTE_PGM_RSRC2:TGID_Y_EN: 0
; COMPUTE_PGM_RSRC2:TGID_Z_EN: 0
; COMPUTE_PGM_RSRC2:TIDIG_COMP_CNT: 0
	.section	.text._ZN7rocprim17ROCPRIM_400000_NS6detail17trampoline_kernelINS0_14default_configENS1_25partition_config_selectorILNS1_17partition_subalgoE6EjNS0_10empty_typeEbEEZZNS1_14partition_implILS5_6ELb0ES3_mN6thrust23THRUST_200600_302600_NS6detail15normal_iteratorINSA_10device_ptrIjEEEEPS6_SG_NS0_5tupleIJSF_S6_EEENSH_IJSG_SG_EEES6_PlJNSB_9not_fun_tI7is_evenIjEEEEEE10hipError_tPvRmT3_T4_T5_T6_T7_T9_mT8_P12ihipStream_tbDpT10_ENKUlT_T0_E_clISt17integral_constantIbLb0EES18_EEDaS13_S14_EUlS13_E_NS1_11comp_targetILNS1_3genE10ELNS1_11target_archE1200ELNS1_3gpuE4ELNS1_3repE0EEENS1_30default_config_static_selectorELNS0_4arch9wavefront6targetE0EEEvT1_,"axG",@progbits,_ZN7rocprim17ROCPRIM_400000_NS6detail17trampoline_kernelINS0_14default_configENS1_25partition_config_selectorILNS1_17partition_subalgoE6EjNS0_10empty_typeEbEEZZNS1_14partition_implILS5_6ELb0ES3_mN6thrust23THRUST_200600_302600_NS6detail15normal_iteratorINSA_10device_ptrIjEEEEPS6_SG_NS0_5tupleIJSF_S6_EEENSH_IJSG_SG_EEES6_PlJNSB_9not_fun_tI7is_evenIjEEEEEE10hipError_tPvRmT3_T4_T5_T6_T7_T9_mT8_P12ihipStream_tbDpT10_ENKUlT_T0_E_clISt17integral_constantIbLb0EES18_EEDaS13_S14_EUlS13_E_NS1_11comp_targetILNS1_3genE10ELNS1_11target_archE1200ELNS1_3gpuE4ELNS1_3repE0EEENS1_30default_config_static_selectorELNS0_4arch9wavefront6targetE0EEEvT1_,comdat
	.protected	_ZN7rocprim17ROCPRIM_400000_NS6detail17trampoline_kernelINS0_14default_configENS1_25partition_config_selectorILNS1_17partition_subalgoE6EjNS0_10empty_typeEbEEZZNS1_14partition_implILS5_6ELb0ES3_mN6thrust23THRUST_200600_302600_NS6detail15normal_iteratorINSA_10device_ptrIjEEEEPS6_SG_NS0_5tupleIJSF_S6_EEENSH_IJSG_SG_EEES6_PlJNSB_9not_fun_tI7is_evenIjEEEEEE10hipError_tPvRmT3_T4_T5_T6_T7_T9_mT8_P12ihipStream_tbDpT10_ENKUlT_T0_E_clISt17integral_constantIbLb0EES18_EEDaS13_S14_EUlS13_E_NS1_11comp_targetILNS1_3genE10ELNS1_11target_archE1200ELNS1_3gpuE4ELNS1_3repE0EEENS1_30default_config_static_selectorELNS0_4arch9wavefront6targetE0EEEvT1_ ; -- Begin function _ZN7rocprim17ROCPRIM_400000_NS6detail17trampoline_kernelINS0_14default_configENS1_25partition_config_selectorILNS1_17partition_subalgoE6EjNS0_10empty_typeEbEEZZNS1_14partition_implILS5_6ELb0ES3_mN6thrust23THRUST_200600_302600_NS6detail15normal_iteratorINSA_10device_ptrIjEEEEPS6_SG_NS0_5tupleIJSF_S6_EEENSH_IJSG_SG_EEES6_PlJNSB_9not_fun_tI7is_evenIjEEEEEE10hipError_tPvRmT3_T4_T5_T6_T7_T9_mT8_P12ihipStream_tbDpT10_ENKUlT_T0_E_clISt17integral_constantIbLb0EES18_EEDaS13_S14_EUlS13_E_NS1_11comp_targetILNS1_3genE10ELNS1_11target_archE1200ELNS1_3gpuE4ELNS1_3repE0EEENS1_30default_config_static_selectorELNS0_4arch9wavefront6targetE0EEEvT1_
	.globl	_ZN7rocprim17ROCPRIM_400000_NS6detail17trampoline_kernelINS0_14default_configENS1_25partition_config_selectorILNS1_17partition_subalgoE6EjNS0_10empty_typeEbEEZZNS1_14partition_implILS5_6ELb0ES3_mN6thrust23THRUST_200600_302600_NS6detail15normal_iteratorINSA_10device_ptrIjEEEEPS6_SG_NS0_5tupleIJSF_S6_EEENSH_IJSG_SG_EEES6_PlJNSB_9not_fun_tI7is_evenIjEEEEEE10hipError_tPvRmT3_T4_T5_T6_T7_T9_mT8_P12ihipStream_tbDpT10_ENKUlT_T0_E_clISt17integral_constantIbLb0EES18_EEDaS13_S14_EUlS13_E_NS1_11comp_targetILNS1_3genE10ELNS1_11target_archE1200ELNS1_3gpuE4ELNS1_3repE0EEENS1_30default_config_static_selectorELNS0_4arch9wavefront6targetE0EEEvT1_
	.p2align	8
	.type	_ZN7rocprim17ROCPRIM_400000_NS6detail17trampoline_kernelINS0_14default_configENS1_25partition_config_selectorILNS1_17partition_subalgoE6EjNS0_10empty_typeEbEEZZNS1_14partition_implILS5_6ELb0ES3_mN6thrust23THRUST_200600_302600_NS6detail15normal_iteratorINSA_10device_ptrIjEEEEPS6_SG_NS0_5tupleIJSF_S6_EEENSH_IJSG_SG_EEES6_PlJNSB_9not_fun_tI7is_evenIjEEEEEE10hipError_tPvRmT3_T4_T5_T6_T7_T9_mT8_P12ihipStream_tbDpT10_ENKUlT_T0_E_clISt17integral_constantIbLb0EES18_EEDaS13_S14_EUlS13_E_NS1_11comp_targetILNS1_3genE10ELNS1_11target_archE1200ELNS1_3gpuE4ELNS1_3repE0EEENS1_30default_config_static_selectorELNS0_4arch9wavefront6targetE0EEEvT1_,@function
_ZN7rocprim17ROCPRIM_400000_NS6detail17trampoline_kernelINS0_14default_configENS1_25partition_config_selectorILNS1_17partition_subalgoE6EjNS0_10empty_typeEbEEZZNS1_14partition_implILS5_6ELb0ES3_mN6thrust23THRUST_200600_302600_NS6detail15normal_iteratorINSA_10device_ptrIjEEEEPS6_SG_NS0_5tupleIJSF_S6_EEENSH_IJSG_SG_EEES6_PlJNSB_9not_fun_tI7is_evenIjEEEEEE10hipError_tPvRmT3_T4_T5_T6_T7_T9_mT8_P12ihipStream_tbDpT10_ENKUlT_T0_E_clISt17integral_constantIbLb0EES18_EEDaS13_S14_EUlS13_E_NS1_11comp_targetILNS1_3genE10ELNS1_11target_archE1200ELNS1_3gpuE4ELNS1_3repE0EEENS1_30default_config_static_selectorELNS0_4arch9wavefront6targetE0EEEvT1_: ; @_ZN7rocprim17ROCPRIM_400000_NS6detail17trampoline_kernelINS0_14default_configENS1_25partition_config_selectorILNS1_17partition_subalgoE6EjNS0_10empty_typeEbEEZZNS1_14partition_implILS5_6ELb0ES3_mN6thrust23THRUST_200600_302600_NS6detail15normal_iteratorINSA_10device_ptrIjEEEEPS6_SG_NS0_5tupleIJSF_S6_EEENSH_IJSG_SG_EEES6_PlJNSB_9not_fun_tI7is_evenIjEEEEEE10hipError_tPvRmT3_T4_T5_T6_T7_T9_mT8_P12ihipStream_tbDpT10_ENKUlT_T0_E_clISt17integral_constantIbLb0EES18_EEDaS13_S14_EUlS13_E_NS1_11comp_targetILNS1_3genE10ELNS1_11target_archE1200ELNS1_3gpuE4ELNS1_3repE0EEENS1_30default_config_static_selectorELNS0_4arch9wavefront6targetE0EEEvT1_
; %bb.0:
	s_clause 0x3
	s_load_b128 s[12:15], s[0:1], 0x8
	s_load_b128 s[8:11], s[0:1], 0x40
	s_load_b32 s16, s[0:1], 0x68
	s_load_b64 s[2:3], s[0:1], 0x50
	s_mov_b32 s17, 0
	v_lshlrev_b32_e32 v8, 2, v0
	s_wait_kmcnt 0x0
	s_lshl_b64 s[4:5], s[14:15], 2
	s_load_b64 s[6:7], s[10:11], 0x0
	s_add_co_i32 s18, s16, -1
	s_mulk_i32 s16, 0xa80
	s_add_nc_u64 s[10:11], s[12:13], s[4:5]
	s_add_nc_u64 s[4:5], s[14:15], s[16:17]
	s_add_co_i32 s12, s16, s14
	v_cmp_le_u64_e64 s3, s[2:3], s[4:5]
	s_sub_co_i32 s4, s2, s12
	s_cmp_eq_u32 ttmp9, s18
	s_mul_i32 s16, ttmp9, 0xa80
	s_cselect_b32 s12, -1, 0
	s_mov_b32 s5, -1
	s_and_b32 s2, s12, s3
	s_wait_alu 0xfffe
	s_xor_b32 s13, s2, -1
	s_lshl_b64 s[2:3], s[16:17], 2
	s_and_b32 vcc_lo, exec_lo, s13
	s_wait_alu 0xfffe
	s_add_nc_u64 s[2:3], s[10:11], s[2:3]
	s_cbranch_vccz .LBB634_2
; %bb.1:
	s_wait_alu 0xfffe
	v_add_co_u32 v1, s5, s2, v8
	s_wait_alu 0xf1ff
	v_add_co_ci_u32_e64 v2, null, s3, 0, s5
	s_mov_b32 s5, 0
	s_clause 0x6
	flat_load_b32 v3, v[1:2]
	flat_load_b32 v4, v[1:2] offset:1536
	flat_load_b32 v5, v[1:2] offset:3072
	;; [unrolled: 1-line block ×6, first 2 shown]
	s_wait_loadcnt_dscnt 0x505
	ds_store_2addr_stride64_b32 v8, v3, v4 offset1:6
	s_wait_loadcnt_dscnt 0x304
	ds_store_2addr_stride64_b32 v8, v5, v6 offset0:12 offset1:18
	s_wait_loadcnt_dscnt 0x103
	ds_store_2addr_stride64_b32 v8, v7, v9 offset0:24 offset1:30
	s_wait_loadcnt_dscnt 0x3
	ds_store_b32 v8, v1 offset:9216
	s_wait_dscnt 0x0
	s_barrier_signal -1
	s_barrier_wait -1
.LBB634_2:
	s_wait_alu 0xfffe
	s_and_not1_b32 vcc_lo, exec_lo, s5
	s_addk_co_i32 s4, 0xa80
	s_cbranch_vccnz .LBB634_18
; %bb.3:
	v_mov_b32_e32 v1, 0
	s_mov_b32 s5, exec_lo
	s_delay_alu instid0(VALU_DEP_1)
	v_dual_mov_b32 v2, v1 :: v_dual_mov_b32 v3, v1
	v_dual_mov_b32 v4, v1 :: v_dual_mov_b32 v5, v1
	;; [unrolled: 1-line block ×3, first 2 shown]
	s_wait_alu 0xfffe
	v_cmpx_gt_u32_e64 s4, v0
	s_cbranch_execz .LBB634_5
; %bb.4:
	v_add_co_u32 v2, s10, s2, v8
	s_delay_alu instid0(VALU_DEP_1)
	v_add_co_ci_u32_e64 v3, null, s3, 0, s10
	v_dual_mov_b32 v10, v1 :: v_dual_mov_b32 v11, v1
	v_dual_mov_b32 v12, v1 :: v_dual_mov_b32 v13, v1
	flat_load_b32 v9, v[2:3]
	v_dual_mov_b32 v14, v1 :: v_dual_mov_b32 v15, v1
	s_wait_loadcnt_dscnt 0x0
	v_dual_mov_b32 v1, v9 :: v_dual_mov_b32 v2, v10
	v_dual_mov_b32 v3, v11 :: v_dual_mov_b32 v4, v12
	s_delay_alu instid0(VALU_DEP_3)
	v_dual_mov_b32 v5, v13 :: v_dual_mov_b32 v6, v14
	v_mov_b32_e32 v7, v15
.LBB634_5:
	s_or_b32 exec_lo, exec_lo, s5
	v_add_nc_u32_e32 v9, 0x180, v0
	s_mov_b32 s5, exec_lo
	s_delay_alu instid0(VALU_DEP_1)
	v_cmpx_gt_u32_e64 s4, v9
	s_cbranch_execz .LBB634_7
; %bb.6:
	v_add_co_u32 v9, s10, s2, v8
	s_wait_alu 0xf1ff
	v_add_co_ci_u32_e64 v10, null, s3, 0, s10
	flat_load_b32 v2, v[9:10] offset:1536
.LBB634_7:
	s_wait_alu 0xfffe
	s_or_b32 exec_lo, exec_lo, s5
	v_add_nc_u32_e32 v9, 0x300, v0
	s_mov_b32 s5, exec_lo
	s_delay_alu instid0(VALU_DEP_1)
	v_cmpx_gt_u32_e64 s4, v9
	s_cbranch_execz .LBB634_9
; %bb.8:
	v_add_co_u32 v9, s10, s2, v8
	s_wait_alu 0xf1ff
	v_add_co_ci_u32_e64 v10, null, s3, 0, s10
	flat_load_b32 v3, v[9:10] offset:3072
.LBB634_9:
	s_wait_alu 0xfffe
	s_or_b32 exec_lo, exec_lo, s5
	v_add_nc_u32_e32 v9, 0x480, v0
	s_mov_b32 s5, exec_lo
	s_delay_alu instid0(VALU_DEP_1)
	v_cmpx_gt_u32_e64 s4, v9
	s_cbranch_execz .LBB634_11
; %bb.10:
	v_add_co_u32 v9, s10, s2, v8
	s_wait_alu 0xf1ff
	v_add_co_ci_u32_e64 v10, null, s3, 0, s10
	flat_load_b32 v4, v[9:10] offset:4608
.LBB634_11:
	s_wait_alu 0xfffe
	s_or_b32 exec_lo, exec_lo, s5
	v_or_b32_e32 v9, 0x600, v0
	s_mov_b32 s5, exec_lo
	s_delay_alu instid0(VALU_DEP_1)
	v_cmpx_gt_u32_e64 s4, v9
	s_cbranch_execz .LBB634_13
; %bb.12:
	v_add_co_u32 v9, s10, s2, v8
	s_wait_alu 0xf1ff
	v_add_co_ci_u32_e64 v10, null, s3, 0, s10
	flat_load_b32 v5, v[9:10] offset:6144
.LBB634_13:
	s_wait_alu 0xfffe
	s_or_b32 exec_lo, exec_lo, s5
	v_add_nc_u32_e32 v9, 0x780, v0
	s_mov_b32 s5, exec_lo
	s_delay_alu instid0(VALU_DEP_1)
	v_cmpx_gt_u32_e64 s4, v9
	s_cbranch_execz .LBB634_15
; %bb.14:
	v_add_co_u32 v9, s10, s2, v8
	s_wait_alu 0xf1ff
	v_add_co_ci_u32_e64 v10, null, s3, 0, s10
	flat_load_b32 v6, v[9:10] offset:7680
.LBB634_15:
	s_wait_alu 0xfffe
	s_or_b32 exec_lo, exec_lo, s5
	v_add_nc_u32_e32 v9, 0x900, v0
	s_mov_b32 s5, exec_lo
	s_delay_alu instid0(VALU_DEP_1)
	v_cmpx_gt_u32_e64 s4, v9
	s_cbranch_execz .LBB634_17
; %bb.16:
	v_add_co_u32 v9, s2, s2, v8
	s_wait_alu 0xf1ff
	v_add_co_ci_u32_e64 v10, null, s3, 0, s2
	flat_load_b32 v7, v[9:10] offset:9216
.LBB634_17:
	s_wait_alu 0xfffe
	s_or_b32 exec_lo, exec_lo, s5
	s_wait_loadcnt_dscnt 0x0
	ds_store_2addr_stride64_b32 v8, v1, v2 offset1:6
	ds_store_2addr_stride64_b32 v8, v3, v4 offset0:12 offset1:18
	ds_store_2addr_stride64_b32 v8, v5, v6 offset0:24 offset1:30
	ds_store_b32 v8, v7 offset:9216
	s_wait_dscnt 0x0
	s_barrier_signal -1
	s_barrier_wait -1
.LBB634_18:
	v_mul_u32_u24_e32 v1, 7, v0
	global_inv scope:SCOPE_SE
	s_and_not1_b32 vcc_lo, exec_lo, s13
	v_lshlrev_b32_e32 v35, 2, v1
	ds_load_2addr_b32 v[13:14], v35 offset1:1
	ds_load_2addr_b32 v[11:12], v35 offset0:2 offset1:3
	ds_load_2addr_b32 v[9:10], v35 offset0:4 offset1:5
	ds_load_b32 v29, v35 offset:24
	s_wait_loadcnt_dscnt 0x0
	s_barrier_signal -1
	s_barrier_wait -1
	global_inv scope:SCOPE_SE
	s_cbranch_vccnz .LBB634_20
; %bb.19:
	v_and_b32_e32 v2, 1, v14
	v_and_b32_e32 v3, 1, v12
	;; [unrolled: 1-line block ×5, first 2 shown]
	v_lshlrev_b16 v2, 8, v2
	v_lshlrev_b16 v3, 8, v3
	v_and_b32_e32 v32, 1, v9
	s_delay_alu instid0(VALU_DEP_3) | instskip(NEXT) | instid1(VALU_DEP_3)
	v_lshrrev_b32_e32 v2, 8, v2
	v_lshrrev_b32_e32 v3, 8, v3
	s_delay_alu instid0(VALU_DEP_2) | instskip(NEXT) | instid1(VALU_DEP_2)
	v_lshlrev_b16 v2, 8, v2
	v_lshlrev_b16 v3, 8, v3
	s_delay_alu instid0(VALU_DEP_2) | instskip(NEXT) | instid1(VALU_DEP_2)
	v_or_b32_e32 v2, v4, v2
	v_or_b32_e32 v3, v5, v3
	v_and_b32_e32 v4, 1, v10
	v_lshlrev_b16 v5, 8, v30
	s_delay_alu instid0(VALU_DEP_4) | instskip(NEXT) | instid1(VALU_DEP_4)
	v_and_b32_e32 v2, 0xffff, v2
	v_lshlrev_b32_e32 v3, 16, v3
	s_delay_alu instid0(VALU_DEP_3) | instskip(NEXT) | instid1(VALU_DEP_2)
	v_or_b32_e32 v31, v4, v5
	v_or_b32_e32 v34, v2, v3
	s_cbranch_execz .LBB634_21
	s_branch .LBB634_22
.LBB634_20:
                                        ; implicit-def: $vgpr30
                                        ; implicit-def: $vgpr31
                                        ; implicit-def: $vgpr32
                                        ; implicit-def: $vgpr34
.LBB634_21:
	v_add_nc_u32_e32 v2, 3, v1
	v_add_nc_u32_e32 v3, 1, v1
	;; [unrolled: 1-line block ×5, first 2 shown]
	s_wait_alu 0xfffe
	v_cmp_gt_u32_e32 vcc_lo, s4, v2
	v_cndmask_b32_e64 v2, 0, 1, vcc_lo
	v_cmp_gt_u32_e32 vcc_lo, s4, v3
	s_delay_alu instid0(VALU_DEP_2)
	v_and_b32_e32 v2, v2, v12
	s_wait_alu 0xfffd
	v_cndmask_b32_e64 v3, 0, 1, vcc_lo
	v_cmp_gt_u32_e32 vcc_lo, s4, v1
	v_add_nc_u32_e32 v1, 6, v1
	v_lshlrev_b16 v2, 8, v2
	s_delay_alu instid0(VALU_DEP_4)
	v_and_b32_e32 v3, v3, v14
	s_wait_alu 0xfffd
	v_cndmask_b32_e64 v5, 0, 1, vcc_lo
	v_cmp_gt_u32_e32 vcc_lo, s4, v4
	v_lshrrev_b32_e32 v2, 8, v2
	v_lshlrev_b16 v3, 8, v3
	s_delay_alu instid0(VALU_DEP_4)
	v_and_b32_e32 v5, v5, v13
	s_wait_alu 0xfffd
	v_cndmask_b32_e64 v4, 0, 1, vcc_lo
	v_cmp_gt_u32_e32 vcc_lo, s4, v6
	v_and_b32_e32 v2, 1, v2
	v_lshrrev_b32_e32 v3, 8, v3
	v_and_b32_e32 v5, 1, v5
	v_and_b32_e32 v4, v4, v11
	s_wait_alu 0xfffd
	v_cndmask_b32_e64 v6, 0, 1, vcc_lo
	v_lshlrev_b16 v2, 8, v2
	v_lshlrev_b16 v3, 8, v3
	v_cmp_gt_u32_e32 vcc_lo, s4, v7
	v_and_b32_e32 v4, 1, v4
	v_and_b32_e32 v32, v6, v9
	s_delay_alu instid0(VALU_DEP_4) | instskip(NEXT) | instid1(VALU_DEP_3)
	v_or_b32_e32 v3, v5, v3
	v_or_b32_e32 v2, v4, v2
	s_wait_alu 0xfffd
	v_cndmask_b32_e64 v4, 0, 1, vcc_lo
	v_cmp_gt_u32_e32 vcc_lo, s4, v1
	v_and_b32_e32 v3, 0xffff, v3
	v_lshlrev_b32_e32 v2, 16, v2
	s_delay_alu instid0(VALU_DEP_4) | instskip(SKIP_2) | instid1(VALU_DEP_3)
	v_and_b32_e32 v31, v4, v10
	s_wait_alu 0xfffd
	v_cndmask_b32_e64 v1, 0, 1, vcc_lo
	v_or_b32_e32 v34, v3, v2
	s_delay_alu instid0(VALU_DEP_2)
	v_and_b32_e32 v30, v1, v29
.LBB634_22:
	s_delay_alu instid0(VALU_DEP_1)
	v_and_b32_e32 v40, 0xff, v34
	v_bfe_u32 v38, v34, 8, 8
	v_bfe_u32 v37, v34, 16, 8
	v_lshrrev_b32_e32 v33, 24, v34
	v_dual_mov_b32 v2, 0 :: v_dual_and_b32 v39, 0xff, v32
	s_load_b64 s[10:11], s[0:1], 0x60
	s_delay_alu instid0(VALU_DEP_3)
	v_add3_u32 v1, v38, v40, v37
	v_and_b32_e32 v36, 0xff, v31
	v_mbcnt_lo_u32_b32 v41, -1, 0
	v_and_b32_e32 v4, 0xff, v30
	s_cmp_lg_u32 ttmp9, 0
	v_add_co_u32 v1, s2, v1, v33
	s_wait_alu 0xf1ff
	v_add_co_ci_u32_e64 v3, null, 0, 0, s2
	v_and_b32_e32 v42, 15, v41
	s_delay_alu instid0(VALU_DEP_3) | instskip(SKIP_1) | instid1(VALU_DEP_3)
	v_add_co_u32 v1, vcc_lo, v1, v39
	s_wait_alu 0xfffd
	v_add_co_ci_u32_e64 v3, null, 0, v3, vcc_lo
	s_delay_alu instid0(VALU_DEP_3) | instskip(NEXT) | instid1(VALU_DEP_3)
	v_cmp_ne_u32_e64 s2, 0, v42
	v_add_co_u32 v1, vcc_lo, v1, v36
	s_wait_alu 0xfffd
	s_delay_alu instid0(VALU_DEP_3)
	v_add_co_ci_u32_e64 v3, null, 0, v3, vcc_lo
	s_mov_b32 s3, -1
	v_add_co_u32 v15, vcc_lo, v1, v4
	s_wait_alu 0xfffd
	v_add_co_ci_u32_e64 v16, null, 0, v3, vcc_lo
	s_cbranch_scc0 .LBB634_81
; %bb.23:
	v_mov_b32_e32 v3, v15
	v_mov_b32_dpp v1, v15 row_shr:1 row_mask:0xf bank_mask:0xf
	v_mov_b32_dpp v6, v2 row_shr:1 row_mask:0xf bank_mask:0xf
	v_dual_mov_b32 v5, v15 :: v_dual_mov_b32 v4, v16
	s_and_saveexec_b32 s3, s2
; %bb.24:
	s_delay_alu instid0(VALU_DEP_3) | instskip(SKIP_2) | instid1(VALU_DEP_2)
	v_add_co_u32 v5, vcc_lo, v15, v1
	s_wait_alu 0xfffd
	v_add_co_ci_u32_e64 v2, null, 0, v16, vcc_lo
	v_add_co_u32 v1, vcc_lo, 0, v5
	s_wait_alu 0xfffd
	s_delay_alu instid0(VALU_DEP_2) | instskip(NEXT) | instid1(VALU_DEP_1)
	v_add_co_ci_u32_e64 v2, null, v6, v2, vcc_lo
	v_dual_mov_b32 v4, v2 :: v_dual_mov_b32 v3, v1
; %bb.25:
	s_wait_alu 0xfffe
	s_or_b32 exec_lo, exec_lo, s3
	v_mov_b32_dpp v1, v5 row_shr:2 row_mask:0xf bank_mask:0xf
	v_mov_b32_dpp v6, v2 row_shr:2 row_mask:0xf bank_mask:0xf
	v_cmp_lt_u32_e32 vcc_lo, 1, v42
	s_and_saveexec_b32 s4, vcc_lo
; %bb.26:
	s_delay_alu instid0(VALU_DEP_3) | instskip(SKIP_2) | instid1(VALU_DEP_2)
	v_add_co_u32 v5, s3, v3, v1
	s_wait_alu 0xf1ff
	v_add_co_ci_u32_e64 v2, null, 0, v4, s3
	v_add_co_u32 v1, s3, 0, v5
	s_wait_alu 0xf1ff
	s_delay_alu instid0(VALU_DEP_2) | instskip(NEXT) | instid1(VALU_DEP_1)
	v_add_co_ci_u32_e64 v2, null, v6, v2, s3
	v_dual_mov_b32 v4, v2 :: v_dual_mov_b32 v3, v1
; %bb.27:
	s_wait_alu 0xfffe
	s_or_b32 exec_lo, exec_lo, s4
	v_mov_b32_dpp v1, v5 row_shr:4 row_mask:0xf bank_mask:0xf
	v_mov_b32_dpp v6, v2 row_shr:4 row_mask:0xf bank_mask:0xf
	v_cmp_lt_u32_e64 s3, 3, v42
	s_and_saveexec_b32 s5, s3
; %bb.28:
	v_add_co_u32 v5, s4, v3, v1
	s_wait_alu 0xf1ff
	v_add_co_ci_u32_e64 v2, null, 0, v4, s4
	s_delay_alu instid0(VALU_DEP_2) | instskip(SKIP_1) | instid1(VALU_DEP_2)
	v_add_co_u32 v1, s4, 0, v5
	s_wait_alu 0xf1ff
	v_add_co_ci_u32_e64 v2, null, v6, v2, s4
	s_delay_alu instid0(VALU_DEP_1)
	v_dual_mov_b32 v4, v2 :: v_dual_mov_b32 v3, v1
; %bb.29:
	s_wait_alu 0xfffe
	s_or_b32 exec_lo, exec_lo, s5
	v_mov_b32_dpp v6, v5 row_shr:8 row_mask:0xf bank_mask:0xf
	v_mov_b32_dpp v1, v2 row_shr:8 row_mask:0xf bank_mask:0xf
	v_cmp_lt_u32_e64 s4, 7, v42
	s_and_saveexec_b32 s14, s4
; %bb.30:
	v_add_co_u32 v5, s5, v3, v6
	s_wait_alu 0xf1ff
	v_add_co_ci_u32_e64 v2, null, 0, v4, s5
	s_delay_alu instid0(VALU_DEP_2) | instskip(SKIP_1) | instid1(VALU_DEP_2)
	v_add_co_u32 v3, s5, 0, v5
	s_wait_alu 0xf1ff
	v_add_co_ci_u32_e64 v4, null, v1, v2, s5
	s_delay_alu instid0(VALU_DEP_1)
	v_mov_b32_e32 v2, v4
; %bb.31:
	s_or_b32 exec_lo, exec_lo, s14
	ds_swizzle_b32 v1, v5 offset:swizzle(BROADCAST,32,15)
	ds_swizzle_b32 v6, v2 offset:swizzle(BROADCAST,32,15)
	v_and_b32_e32 v7, 16, v41
	s_mov_b32 s14, exec_lo
	s_delay_alu instid0(VALU_DEP_1)
	v_cmpx_ne_u32_e32 0, v7
	s_cbranch_execz .LBB634_33
; %bb.32:
	s_wait_dscnt 0x1
	v_add_co_u32 v5, s5, v3, v1
	s_wait_alu 0xf1ff
	v_add_co_ci_u32_e64 v2, null, 0, v4, s5
	s_delay_alu instid0(VALU_DEP_2) | instskip(SKIP_2) | instid1(VALU_DEP_2)
	v_add_co_u32 v1, s5, 0, v5
	s_wait_dscnt 0x0
	s_wait_alu 0xf1ff
	v_add_co_ci_u32_e64 v2, null, v6, v2, s5
	s_delay_alu instid0(VALU_DEP_1)
	v_dual_mov_b32 v4, v2 :: v_dual_mov_b32 v3, v1
.LBB634_33:
	s_or_b32 exec_lo, exec_lo, s14
	s_wait_dscnt 0x1
	v_and_b32_e32 v1, 0x1e0, v0
	s_mov_b32 s14, exec_lo
	s_delay_alu instid0(VALU_DEP_1) | instskip(SKIP_1) | instid1(VALU_DEP_1)
	v_min_u32_e32 v1, 0x160, v1
	s_wait_dscnt 0x0
	v_or_b32_e32 v6, 31, v1
	v_lshrrev_b32_e32 v1, 5, v0
	s_delay_alu instid0(VALU_DEP_2)
	v_cmpx_eq_u32_e64 v0, v6
; %bb.34:
	s_delay_alu instid0(VALU_DEP_2)
	v_lshlrev_b32_e32 v6, 3, v1
	ds_store_b64 v6, v[3:4]
; %bb.35:
	s_or_b32 exec_lo, exec_lo, s14
	s_delay_alu instid0(SALU_CYCLE_1)
	s_mov_b32 s14, exec_lo
	s_wait_loadcnt_dscnt 0x0
	s_barrier_signal -1
	s_barrier_wait -1
	global_inv scope:SCOPE_SE
	v_cmpx_gt_u32_e32 12, v0
	s_cbranch_execz .LBB634_45
; %bb.36:
	v_lshlrev_b32_e32 v6, 3, v0
	ds_load_b64 v[3:4], v6
	s_wait_dscnt 0x0
	v_mov_b32_dpp v17, v3 row_shr:1 row_mask:0xf bank_mask:0xf
	v_mov_b32_dpp v8, v4 row_shr:1 row_mask:0xf bank_mask:0xf
	v_mov_b32_e32 v7, v3
	s_and_saveexec_b32 s15, s2
; %bb.37:
	s_delay_alu instid0(VALU_DEP_3) | instskip(SKIP_2) | instid1(VALU_DEP_2)
	v_add_co_u32 v7, s5, v3, v17
	s_wait_alu 0xf1ff
	v_add_co_ci_u32_e64 v4, null, 0, v4, s5
	v_add_co_u32 v3, s5, 0, v7
	s_wait_alu 0xf1ff
	s_delay_alu instid0(VALU_DEP_2)
	v_add_co_ci_u32_e64 v4, null, v8, v4, s5
; %bb.38:
	s_or_b32 exec_lo, exec_lo, s15
	v_mov_b32_dpp v17, v7 row_shr:2 row_mask:0xf bank_mask:0xf
	s_delay_alu instid0(VALU_DEP_2)
	v_mov_b32_dpp v8, v4 row_shr:2 row_mask:0xf bank_mask:0xf
	s_and_saveexec_b32 s5, vcc_lo
; %bb.39:
	s_delay_alu instid0(VALU_DEP_2) | instskip(SKIP_2) | instid1(VALU_DEP_2)
	v_add_co_u32 v7, vcc_lo, v3, v17
	s_wait_alu 0xfffd
	v_add_co_ci_u32_e64 v4, null, 0, v4, vcc_lo
	v_add_co_u32 v3, vcc_lo, 0, v7
	s_wait_alu 0xfffd
	s_delay_alu instid0(VALU_DEP_2)
	v_add_co_ci_u32_e64 v4, null, v8, v4, vcc_lo
; %bb.40:
	s_wait_alu 0xfffe
	s_or_b32 exec_lo, exec_lo, s5
	v_mov_b32_dpp v17, v7 row_shr:4 row_mask:0xf bank_mask:0xf
	s_delay_alu instid0(VALU_DEP_2)
	v_mov_b32_dpp v8, v4 row_shr:4 row_mask:0xf bank_mask:0xf
	s_and_saveexec_b32 s5, s3
; %bb.41:
	s_delay_alu instid0(VALU_DEP_2) | instskip(SKIP_2) | instid1(VALU_DEP_2)
	v_add_co_u32 v7, vcc_lo, v3, v17
	s_wait_alu 0xfffd
	v_add_co_ci_u32_e64 v4, null, 0, v4, vcc_lo
	v_add_co_u32 v3, vcc_lo, 0, v7
	s_wait_alu 0xfffd
	s_delay_alu instid0(VALU_DEP_2)
	v_add_co_ci_u32_e64 v4, null, v8, v4, vcc_lo
; %bb.42:
	s_wait_alu 0xfffe
	s_or_b32 exec_lo, exec_lo, s5
	v_mov_b32_dpp v8, v7 row_shr:8 row_mask:0xf bank_mask:0xf
	s_delay_alu instid0(VALU_DEP_2)
	v_mov_b32_dpp v7, v4 row_shr:8 row_mask:0xf bank_mask:0xf
	s_and_saveexec_b32 s3, s4
; %bb.43:
	s_delay_alu instid0(VALU_DEP_2) | instskip(SKIP_2) | instid1(VALU_DEP_2)
	v_add_co_u32 v3, vcc_lo, v3, v8
	s_wait_alu 0xfffd
	v_add_co_ci_u32_e64 v4, null, 0, v4, vcc_lo
	v_add_co_u32 v3, vcc_lo, v3, 0
	s_wait_alu 0xfffd
	s_delay_alu instid0(VALU_DEP_2)
	v_add_co_ci_u32_e64 v4, null, v4, v7, vcc_lo
; %bb.44:
	s_wait_alu 0xfffe
	s_or_b32 exec_lo, exec_lo, s3
	ds_store_b64 v6, v[3:4]
.LBB634_45:
	s_or_b32 exec_lo, exec_lo, s14
	s_delay_alu instid0(SALU_CYCLE_1)
	s_mov_b32 s4, exec_lo
	v_cmp_gt_u32_e32 vcc_lo, 32, v0
	s_wait_loadcnt_dscnt 0x0
	s_barrier_signal -1
	s_barrier_wait -1
	global_inv scope:SCOPE_SE
                                        ; implicit-def: $vgpr17_vgpr18
	v_cmpx_lt_u32_e32 31, v0
	s_cbranch_execz .LBB634_47
; %bb.46:
	v_lshl_add_u32 v1, v1, 3, -8
	ds_load_b64 v[17:18], v1
	s_wait_dscnt 0x0
	v_add_co_u32 v5, s3, v5, v17
	s_wait_alu 0xf1ff
	v_add_co_ci_u32_e64 v2, null, v2, v18, s3
.LBB634_47:
	s_wait_alu 0xfffe
	s_or_b32 exec_lo, exec_lo, s4
	v_sub_co_u32 v1, s3, v41, 1
	s_delay_alu instid0(VALU_DEP_1) | instskip(SKIP_1) | instid1(VALU_DEP_1)
	v_cmp_gt_i32_e64 s4, 0, v1
	s_wait_alu 0xf1ff
	v_cndmask_b32_e64 v1, v1, v41, s4
	s_delay_alu instid0(VALU_DEP_1)
	v_lshlrev_b32_e32 v1, 2, v1
	ds_bpermute_b32 v23, v1, v5
	ds_bpermute_b32 v24, v1, v2
	s_and_saveexec_b32 s4, vcc_lo
	s_cbranch_execz .LBB634_86
; %bb.48:
	v_mov_b32_e32 v4, 0
	ds_load_b64 v[1:2], v4 offset:88
	s_and_saveexec_b32 s5, s3
	s_cbranch_execz .LBB634_50
; %bb.49:
	s_add_co_i32 s14, ttmp9, 32
	s_mov_b32 s15, 0
	s_delay_alu instid0(SALU_CYCLE_1)
	s_lshl_b64 s[14:15], s[14:15], 4
	s_wait_kmcnt 0x0
	s_add_nc_u64 s[14:15], s[10:11], s[14:15]
	v_mov_b32_e32 v3, 1
	v_dual_mov_b32 v5, s14 :: v_dual_mov_b32 v6, s15
	s_wait_dscnt 0x0
	;;#ASMSTART
	global_store_b128 v[5:6], v[1:4] off scope:SCOPE_DEV	
s_wait_storecnt 0x0
	;;#ASMEND
.LBB634_50:
	s_wait_alu 0xfffe
	s_or_b32 exec_lo, exec_lo, s5
	v_xad_u32 v19, v41, -1, ttmp9
	s_mov_b32 s14, 0
	s_mov_b32 s5, exec_lo
	s_delay_alu instid0(VALU_DEP_1) | instskip(NEXT) | instid1(VALU_DEP_1)
	v_add_nc_u32_e32 v3, 32, v19
	v_lshlrev_b64_e32 v[3:4], 4, v[3:4]
	s_wait_kmcnt 0x0
	s_delay_alu instid0(VALU_DEP_1) | instskip(SKIP_1) | instid1(VALU_DEP_2)
	v_add_co_u32 v3, vcc_lo, s10, v3
	s_wait_alu 0xfffd
	v_add_co_ci_u32_e64 v4, null, s11, v4, vcc_lo
	;;#ASMSTART
	global_load_b128 v[5:8], v[3:4] off scope:SCOPE_DEV	
s_wait_loadcnt 0x0
	;;#ASMEND
	v_and_b32_e32 v8, 0xff, v7
	s_delay_alu instid0(VALU_DEP_1)
	v_cmpx_eq_u16_e32 0, v8
	s_cbranch_execz .LBB634_53
.LBB634_51:                             ; =>This Inner Loop Header: Depth=1
	;;#ASMSTART
	global_load_b128 v[5:8], v[3:4] off scope:SCOPE_DEV	
s_wait_loadcnt 0x0
	;;#ASMEND
	v_and_b32_e32 v8, 0xff, v7
	s_delay_alu instid0(VALU_DEP_1)
	v_cmp_ne_u16_e32 vcc_lo, 0, v8
	s_wait_alu 0xfffe
	s_or_b32 s14, vcc_lo, s14
	s_wait_alu 0xfffe
	s_and_not1_b32 exec_lo, exec_lo, s14
	s_cbranch_execnz .LBB634_51
; %bb.52:
	s_or_b32 exec_lo, exec_lo, s14
.LBB634_53:
	s_wait_alu 0xfffe
	s_or_b32 exec_lo, exec_lo, s5
	v_cmp_ne_u32_e32 vcc_lo, 31, v41
	v_and_b32_e32 v4, 0xff, v7
	v_lshlrev_b32_e64 v26, v41, -1
	s_mov_b32 s5, exec_lo
	s_wait_alu 0xfffd
	v_add_co_ci_u32_e64 v3, null, 0, v41, vcc_lo
	v_cmp_eq_u16_e32 vcc_lo, 2, v4
	s_delay_alu instid0(VALU_DEP_2)
	v_dual_mov_b32 v4, v5 :: v_dual_lshlrev_b32 v25, 2, v3
	s_wait_alu 0xfffd
	v_and_or_b32 v3, vcc_lo, v26, 0x80000000
	ds_bpermute_b32 v20, v25, v5
	ds_bpermute_b32 v8, v25, v6
	v_ctz_i32_b32_e32 v3, v3
	s_delay_alu instid0(VALU_DEP_1)
	v_cmpx_lt_u32_e64 v41, v3
	s_cbranch_execz .LBB634_55
; %bb.54:
	s_wait_dscnt 0x1
	v_add_co_u32 v4, vcc_lo, v5, v20
	s_wait_alu 0xfffd
	v_add_co_ci_u32_e64 v6, null, 0, v6, vcc_lo
	s_delay_alu instid0(VALU_DEP_2) | instskip(SKIP_2) | instid1(VALU_DEP_2)
	v_add_co_u32 v5, vcc_lo, 0, v4
	s_wait_dscnt 0x0
	s_wait_alu 0xfffd
	v_add_co_ci_u32_e64 v6, null, v8, v6, vcc_lo
.LBB634_55:
	s_wait_alu 0xfffe
	s_or_b32 exec_lo, exec_lo, s5
	v_cmp_gt_u32_e32 vcc_lo, 30, v41
	v_add_nc_u32_e32 v28, 2, v41
	s_mov_b32 s5, exec_lo
	s_wait_dscnt 0x0
	s_wait_alu 0xfffd
	v_cndmask_b32_e64 v8, 0, 2, vcc_lo
	s_delay_alu instid0(VALU_DEP_1)
	v_add_lshl_u32 v27, v8, v41, 2
	ds_bpermute_b32 v20, v27, v4
	ds_bpermute_b32 v8, v27, v6
	v_cmpx_le_u32_e64 v28, v3
	s_cbranch_execz .LBB634_57
; %bb.56:
	s_wait_dscnt 0x1
	v_add_co_u32 v4, vcc_lo, v5, v20
	s_wait_alu 0xfffd
	v_add_co_ci_u32_e64 v6, null, 0, v6, vcc_lo
	s_delay_alu instid0(VALU_DEP_2) | instskip(SKIP_2) | instid1(VALU_DEP_2)
	v_add_co_u32 v5, vcc_lo, 0, v4
	s_wait_dscnt 0x0
	s_wait_alu 0xfffd
	v_add_co_ci_u32_e64 v6, null, v8, v6, vcc_lo
.LBB634_57:
	s_wait_alu 0xfffe
	s_or_b32 exec_lo, exec_lo, s5
	v_cmp_gt_u32_e32 vcc_lo, 28, v41
	v_add_nc_u32_e32 v44, 4, v41
	s_mov_b32 s5, exec_lo
	s_wait_dscnt 0x0
	s_wait_alu 0xfffd
	v_cndmask_b32_e64 v8, 0, 4, vcc_lo
	s_delay_alu instid0(VALU_DEP_1)
	v_add_lshl_u32 v43, v8, v41, 2
	ds_bpermute_b32 v20, v43, v4
	ds_bpermute_b32 v8, v43, v6
	v_cmpx_le_u32_e64 v44, v3
	;; [unrolled: 25-line block ×3, first 2 shown]
	s_cbranch_execz .LBB634_61
; %bb.60:
	s_wait_dscnt 0x1
	v_add_co_u32 v4, vcc_lo, v5, v20
	s_wait_alu 0xfffd
	v_add_co_ci_u32_e64 v6, null, 0, v6, vcc_lo
	s_delay_alu instid0(VALU_DEP_2) | instskip(SKIP_2) | instid1(VALU_DEP_2)
	v_add_co_u32 v5, vcc_lo, 0, v4
	s_wait_dscnt 0x0
	s_wait_alu 0xfffd
	v_add_co_ci_u32_e64 v6, null, v8, v6, vcc_lo
.LBB634_61:
	s_wait_alu 0xfffe
	s_or_b32 exec_lo, exec_lo, s5
	v_lshl_or_b32 v47, v41, 2, 64
	v_add_nc_u32_e32 v48, 16, v41
	s_mov_b32 s5, exec_lo
	s_wait_dscnt 0x0
	ds_bpermute_b32 v8, v47, v4
	ds_bpermute_b32 v4, v47, v6
	v_cmpx_le_u32_e64 v48, v3
	s_cbranch_execz .LBB634_63
; %bb.62:
	s_wait_dscnt 0x1
	v_add_co_u32 v3, vcc_lo, v5, v8
	s_wait_alu 0xfffd
	v_add_co_ci_u32_e64 v6, null, 0, v6, vcc_lo
	s_delay_alu instid0(VALU_DEP_2) | instskip(SKIP_2) | instid1(VALU_DEP_2)
	v_add_co_u32 v5, vcc_lo, v3, 0
	s_wait_dscnt 0x0
	s_wait_alu 0xfffd
	v_add_co_ci_u32_e64 v6, null, v6, v4, vcc_lo
.LBB634_63:
	s_wait_alu 0xfffe
	s_or_b32 exec_lo, exec_lo, s5
	v_mov_b32_e32 v20, 0
	s_branch .LBB634_66
.LBB634_64:                             ;   in Loop: Header=BB634_66 Depth=1
	s_wait_alu 0xfffe
	s_or_b32 exec_lo, exec_lo, s5
	v_add_co_u32 v5, vcc_lo, v5, v3
	v_subrev_nc_u32_e32 v19, 32, v19
	s_wait_alu 0xfffd
	v_add_co_ci_u32_e64 v6, null, v6, v4, vcc_lo
	s_mov_b32 s5, 0
.LBB634_65:                             ;   in Loop: Header=BB634_66 Depth=1
	s_wait_alu 0xfffe
	s_and_b32 vcc_lo, exec_lo, s5
	s_wait_alu 0xfffe
	s_cbranch_vccnz .LBB634_82
.LBB634_66:                             ; =>This Loop Header: Depth=1
                                        ;     Child Loop BB634_69 Depth 2
	v_and_b32_e32 v3, 0xff, v7
	s_mov_b32 s5, -1
	s_delay_alu instid0(VALU_DEP_1)
	v_cmp_ne_u16_e32 vcc_lo, 2, v3
	s_wait_dscnt 0x0
	v_dual_mov_b32 v3, v5 :: v_dual_mov_b32 v4, v6
                                        ; implicit-def: $vgpr5_vgpr6
	s_cmp_lg_u32 vcc_lo, exec_lo
	s_cbranch_scc1 .LBB634_65
; %bb.67:                               ;   in Loop: Header=BB634_66 Depth=1
	v_lshlrev_b64_e32 v[5:6], 4, v[19:20]
	s_mov_b32 s5, exec_lo
	s_delay_alu instid0(VALU_DEP_1) | instskip(SKIP_1) | instid1(VALU_DEP_2)
	v_add_co_u32 v21, vcc_lo, s10, v5
	s_wait_alu 0xfffd
	v_add_co_ci_u32_e64 v22, null, s11, v6, vcc_lo
	;;#ASMSTART
	global_load_b128 v[5:8], v[21:22] off scope:SCOPE_DEV	
s_wait_loadcnt 0x0
	;;#ASMEND
	v_and_b32_e32 v8, 0xff, v7
	s_delay_alu instid0(VALU_DEP_1)
	v_cmpx_eq_u16_e32 0, v8
	s_cbranch_execz .LBB634_71
; %bb.68:                               ;   in Loop: Header=BB634_66 Depth=1
	s_mov_b32 s14, 0
.LBB634_69:                             ;   Parent Loop BB634_66 Depth=1
                                        ; =>  This Inner Loop Header: Depth=2
	;;#ASMSTART
	global_load_b128 v[5:8], v[21:22] off scope:SCOPE_DEV	
s_wait_loadcnt 0x0
	;;#ASMEND
	v_and_b32_e32 v8, 0xff, v7
	s_delay_alu instid0(VALU_DEP_1)
	v_cmp_ne_u16_e32 vcc_lo, 0, v8
	s_wait_alu 0xfffe
	s_or_b32 s14, vcc_lo, s14
	s_wait_alu 0xfffe
	s_and_not1_b32 exec_lo, exec_lo, s14
	s_cbranch_execnz .LBB634_69
; %bb.70:                               ;   in Loop: Header=BB634_66 Depth=1
	s_or_b32 exec_lo, exec_lo, s14
.LBB634_71:                             ;   in Loop: Header=BB634_66 Depth=1
	s_wait_alu 0xfffe
	s_or_b32 exec_lo, exec_lo, s5
	v_dual_mov_b32 v21, v5 :: v_dual_and_b32 v8, 0xff, v7
	ds_bpermute_b32 v49, v25, v5
	ds_bpermute_b32 v22, v25, v6
	s_mov_b32 s5, exec_lo
	v_cmp_eq_u16_e32 vcc_lo, 2, v8
	s_wait_alu 0xfffd
	v_and_or_b32 v8, vcc_lo, v26, 0x80000000
	s_delay_alu instid0(VALU_DEP_1) | instskip(NEXT) | instid1(VALU_DEP_1)
	v_ctz_i32_b32_e32 v8, v8
	v_cmpx_lt_u32_e64 v41, v8
	s_cbranch_execz .LBB634_73
; %bb.72:                               ;   in Loop: Header=BB634_66 Depth=1
	s_wait_dscnt 0x1
	v_add_co_u32 v21, vcc_lo, v5, v49
	s_wait_alu 0xfffd
	v_add_co_ci_u32_e64 v6, null, 0, v6, vcc_lo
	s_delay_alu instid0(VALU_DEP_2) | instskip(SKIP_2) | instid1(VALU_DEP_2)
	v_add_co_u32 v5, vcc_lo, 0, v21
	s_wait_dscnt 0x0
	s_wait_alu 0xfffd
	v_add_co_ci_u32_e64 v6, null, v22, v6, vcc_lo
.LBB634_73:                             ;   in Loop: Header=BB634_66 Depth=1
	s_wait_alu 0xfffe
	s_or_b32 exec_lo, exec_lo, s5
	s_wait_dscnt 0x1
	ds_bpermute_b32 v49, v27, v21
	s_wait_dscnt 0x1
	ds_bpermute_b32 v22, v27, v6
	s_mov_b32 s5, exec_lo
	v_cmpx_le_u32_e64 v28, v8
	s_cbranch_execz .LBB634_75
; %bb.74:                               ;   in Loop: Header=BB634_66 Depth=1
	s_wait_dscnt 0x1
	v_add_co_u32 v21, vcc_lo, v5, v49
	s_wait_alu 0xfffd
	v_add_co_ci_u32_e64 v6, null, 0, v6, vcc_lo
	s_delay_alu instid0(VALU_DEP_2) | instskip(SKIP_2) | instid1(VALU_DEP_2)
	v_add_co_u32 v5, vcc_lo, 0, v21
	s_wait_dscnt 0x0
	s_wait_alu 0xfffd
	v_add_co_ci_u32_e64 v6, null, v22, v6, vcc_lo
.LBB634_75:                             ;   in Loop: Header=BB634_66 Depth=1
	s_wait_alu 0xfffe
	s_or_b32 exec_lo, exec_lo, s5
	s_wait_dscnt 0x1
	ds_bpermute_b32 v49, v43, v21
	s_wait_dscnt 0x1
	ds_bpermute_b32 v22, v43, v6
	s_mov_b32 s5, exec_lo
	v_cmpx_le_u32_e64 v44, v8
	;; [unrolled: 20-line block ×3, first 2 shown]
	s_cbranch_execz .LBB634_79
; %bb.78:                               ;   in Loop: Header=BB634_66 Depth=1
	s_wait_dscnt 0x1
	v_add_co_u32 v21, vcc_lo, v5, v49
	s_wait_alu 0xfffd
	v_add_co_ci_u32_e64 v6, null, 0, v6, vcc_lo
	s_delay_alu instid0(VALU_DEP_2) | instskip(SKIP_2) | instid1(VALU_DEP_2)
	v_add_co_u32 v5, vcc_lo, 0, v21
	s_wait_dscnt 0x0
	s_wait_alu 0xfffd
	v_add_co_ci_u32_e64 v6, null, v22, v6, vcc_lo
.LBB634_79:                             ;   in Loop: Header=BB634_66 Depth=1
	s_wait_alu 0xfffe
	s_or_b32 exec_lo, exec_lo, s5
	s_wait_dscnt 0x0
	ds_bpermute_b32 v22, v47, v21
	ds_bpermute_b32 v21, v47, v6
	s_mov_b32 s5, exec_lo
	v_cmpx_le_u32_e64 v48, v8
	s_cbranch_execz .LBB634_64
; %bb.80:                               ;   in Loop: Header=BB634_66 Depth=1
	s_wait_dscnt 0x1
	v_add_co_u32 v5, vcc_lo, v5, v22
	s_wait_alu 0xfffd
	v_add_co_ci_u32_e64 v6, null, 0, v6, vcc_lo
	s_delay_alu instid0(VALU_DEP_2) | instskip(SKIP_2) | instid1(VALU_DEP_2)
	v_add_co_u32 v5, vcc_lo, v5, 0
	s_wait_dscnt 0x0
	s_wait_alu 0xfffd
	v_add_co_ci_u32_e64 v6, null, v6, v21, vcc_lo
	s_branch .LBB634_64
.LBB634_81:
                                        ; implicit-def: $vgpr17_vgpr18
                                        ; implicit-def: $vgpr6_vgpr7
                                        ; implicit-def: $vgpr19_vgpr20
                                        ; implicit-def: $vgpr21_vgpr22
                                        ; implicit-def: $vgpr23_vgpr24
                                        ; implicit-def: $vgpr25_vgpr26
                                        ; implicit-def: $vgpr27_vgpr28
                                        ; implicit-def: $vgpr4_vgpr5
	s_wait_alu 0xfffe
	s_and_b32 vcc_lo, exec_lo, s3
	s_wait_alu 0xfffe
	s_cbranch_vccnz .LBB634_87
	s_branch .LBB634_114
.LBB634_82:
	s_and_saveexec_b32 s5, s3
	s_cbranch_execz .LBB634_84
; %bb.83:
	s_add_co_i32 s14, ttmp9, 32
	s_mov_b32 s15, 0
	v_add_co_u32 v5, vcc_lo, v3, v1
	s_wait_alu 0xfffe
	s_lshl_b64 s[14:15], s[14:15], 4
	v_dual_mov_b32 v7, 2 :: v_dual_mov_b32 v8, 0
	s_wait_alu 0xfffe
	s_add_nc_u64 s[14:15], s[10:11], s[14:15]
	s_wait_alu 0xfffd
	v_add_co_ci_u32_e64 v6, null, v4, v2, vcc_lo
	s_wait_alu 0xfffe
	v_dual_mov_b32 v20, s15 :: v_dual_mov_b32 v19, s14
	;;#ASMSTART
	global_store_b128 v[19:20], v[5:8] off scope:SCOPE_DEV	
s_wait_storecnt 0x0
	;;#ASMEND
	ds_store_b128 v8, v[1:4] offset:10752
.LBB634_84:
	s_wait_alu 0xfffe
	s_or_b32 exec_lo, exec_lo, s5
	v_cmp_eq_u32_e32 vcc_lo, 0, v0
	s_and_b32 exec_lo, exec_lo, vcc_lo
; %bb.85:
	v_mov_b32_e32 v1, 0
	ds_store_b64 v1, v[3:4] offset:88
.LBB634_86:
	s_wait_alu 0xfffe
	s_or_b32 exec_lo, exec_lo, s4
	s_wait_dscnt 0x1
	v_cndmask_b32_e64 v4, v23, v17, s3
	v_cmp_ne_u32_e32 vcc_lo, 0, v0
	v_mov_b32_e32 v3, 0
	s_wait_loadcnt_dscnt 0x0
	s_barrier_signal -1
	s_barrier_wait -1
	global_inv scope:SCOPE_SE
	s_wait_alu 0xfffd
	v_cndmask_b32_e32 v4, 0, v4, vcc_lo
	ds_load_b64 v[1:2], v3 offset:88
	v_cndmask_b32_e64 v5, v24, v18, s3
	s_wait_loadcnt_dscnt 0x0
	s_barrier_signal -1
	s_barrier_wait -1
	global_inv scope:SCOPE_SE
	v_cndmask_b32_e32 v5, 0, v5, vcc_lo
	v_add_co_u32 v27, vcc_lo, v1, v4
	s_wait_alu 0xfffd
	s_delay_alu instid0(VALU_DEP_2) | instskip(SKIP_4) | instid1(VALU_DEP_2)
	v_add_co_ci_u32_e64 v28, null, v2, v5, vcc_lo
	ds_load_b128 v[2:5], v3 offset:10752
	v_add_co_u32 v25, vcc_lo, v27, v40
	s_wait_alu 0xfffd
	v_add_co_ci_u32_e64 v26, null, 0, v28, vcc_lo
	v_add_co_u32 v23, vcc_lo, v25, v38
	s_wait_alu 0xfffd
	s_delay_alu instid0(VALU_DEP_2) | instskip(NEXT) | instid1(VALU_DEP_2)
	v_add_co_ci_u32_e64 v24, null, 0, v26, vcc_lo
	v_add_co_u32 v21, vcc_lo, v23, v37
	s_wait_alu 0xfffd
	s_delay_alu instid0(VALU_DEP_2) | instskip(NEXT) | instid1(VALU_DEP_2)
	;; [unrolled: 4-line block ×4, first 2 shown]
	v_add_co_ci_u32_e64 v7, null, 0, v20, vcc_lo
	v_add_co_u32 v17, vcc_lo, v6, v36
	s_wait_alu 0xfffd
	s_delay_alu instid0(VALU_DEP_2)
	v_add_co_ci_u32_e64 v18, null, 0, v7, vcc_lo
	s_branch .LBB634_114
.LBB634_87:
	s_wait_dscnt 0x0
	v_dual_mov_b32 v2, 0 :: v_dual_mov_b32 v3, v15
	v_mov_b32_dpp v4, v15 row_shr:1 row_mask:0xf bank_mask:0xf
	s_delay_alu instid0(VALU_DEP_2)
	v_mov_b32_dpp v1, v2 row_shr:1 row_mask:0xf bank_mask:0xf
	s_and_saveexec_b32 s3, s2
; %bb.88:
	s_delay_alu instid0(VALU_DEP_2) | instskip(SKIP_2) | instid1(VALU_DEP_2)
	v_add_co_u32 v3, vcc_lo, v15, v4
	s_wait_alu 0xfffd
	v_add_co_ci_u32_e64 v2, null, 0, v16, vcc_lo
	v_add_co_u32 v15, vcc_lo, 0, v3
	s_wait_alu 0xfffd
	s_delay_alu instid0(VALU_DEP_2) | instskip(NEXT) | instid1(VALU_DEP_1)
	v_add_co_ci_u32_e64 v16, null, v1, v2, vcc_lo
	v_mov_b32_e32 v2, v16
; %bb.89:
	s_wait_alu 0xfffe
	s_or_b32 exec_lo, exec_lo, s3
	v_mov_b32_dpp v1, v3 row_shr:2 row_mask:0xf bank_mask:0xf
	s_delay_alu instid0(VALU_DEP_2)
	v_mov_b32_dpp v4, v2 row_shr:2 row_mask:0xf bank_mask:0xf
	v_cmp_lt_u32_e32 vcc_lo, 1, v42
	s_and_saveexec_b32 s4, vcc_lo
; %bb.90:
	s_delay_alu instid0(VALU_DEP_3) | instskip(SKIP_2) | instid1(VALU_DEP_2)
	v_add_co_u32 v3, s3, v15, v1
	s_wait_alu 0xf1ff
	v_add_co_ci_u32_e64 v2, null, 0, v16, s3
	v_add_co_u32 v1, s3, 0, v3
	s_wait_alu 0xf1ff
	s_delay_alu instid0(VALU_DEP_2) | instskip(NEXT) | instid1(VALU_DEP_1)
	v_add_co_ci_u32_e64 v2, null, v4, v2, s3
	v_dual_mov_b32 v16, v2 :: v_dual_mov_b32 v15, v1
; %bb.91:
	s_wait_alu 0xfffe
	s_or_b32 exec_lo, exec_lo, s4
	v_mov_b32_dpp v1, v3 row_shr:4 row_mask:0xf bank_mask:0xf
	v_mov_b32_dpp v4, v2 row_shr:4 row_mask:0xf bank_mask:0xf
	v_cmp_lt_u32_e64 s3, 3, v42
	s_and_saveexec_b32 s5, s3
; %bb.92:
	v_add_co_u32 v3, s4, v15, v1
	s_wait_alu 0xf1ff
	v_add_co_ci_u32_e64 v2, null, 0, v16, s4
	s_delay_alu instid0(VALU_DEP_2) | instskip(SKIP_1) | instid1(VALU_DEP_2)
	v_add_co_u32 v1, s4, 0, v3
	s_wait_alu 0xf1ff
	v_add_co_ci_u32_e64 v2, null, v4, v2, s4
	s_delay_alu instid0(VALU_DEP_1)
	v_dual_mov_b32 v16, v2 :: v_dual_mov_b32 v15, v1
; %bb.93:
	s_wait_alu 0xfffe
	s_or_b32 exec_lo, exec_lo, s5
	v_mov_b32_dpp v4, v3 row_shr:8 row_mask:0xf bank_mask:0xf
	v_mov_b32_dpp v1, v2 row_shr:8 row_mask:0xf bank_mask:0xf
	v_cmp_lt_u32_e64 s4, 7, v42
	s_and_saveexec_b32 s14, s4
; %bb.94:
	v_add_co_u32 v3, s5, v15, v4
	s_wait_alu 0xf1ff
	v_add_co_ci_u32_e64 v2, null, 0, v16, s5
	s_delay_alu instid0(VALU_DEP_2) | instskip(SKIP_1) | instid1(VALU_DEP_2)
	v_add_co_u32 v15, s5, 0, v3
	s_wait_alu 0xf1ff
	v_add_co_ci_u32_e64 v16, null, v1, v2, s5
	s_delay_alu instid0(VALU_DEP_1)
	v_mov_b32_e32 v2, v16
; %bb.95:
	s_or_b32 exec_lo, exec_lo, s14
	ds_swizzle_b32 v3, v3 offset:swizzle(BROADCAST,32,15)
	ds_swizzle_b32 v1, v2 offset:swizzle(BROADCAST,32,15)
	v_and_b32_e32 v2, 16, v41
	s_mov_b32 s14, exec_lo
	s_delay_alu instid0(VALU_DEP_1)
	v_cmpx_ne_u32_e32 0, v2
	s_cbranch_execz .LBB634_97
; %bb.96:
	s_wait_dscnt 0x1
	v_add_co_u32 v2, s5, v15, v3
	s_wait_alu 0xf1ff
	v_add_co_ci_u32_e64 v3, null, 0, v16, s5
	s_delay_alu instid0(VALU_DEP_2) | instskip(SKIP_2) | instid1(VALU_DEP_2)
	v_add_co_u32 v15, s5, v2, 0
	s_wait_dscnt 0x0
	s_wait_alu 0xf1ff
	v_add_co_ci_u32_e64 v16, null, v3, v1, s5
.LBB634_97:
	s_or_b32 exec_lo, exec_lo, s14
	s_wait_dscnt 0x0
	v_and_b32_e32 v1, 0x1e0, v0
	v_lshrrev_b32_e32 v3, 5, v0
	s_mov_b32 s14, exec_lo
	s_delay_alu instid0(VALU_DEP_2) | instskip(NEXT) | instid1(VALU_DEP_1)
	v_min_u32_e32 v1, 0x160, v1
	v_or_b32_e32 v1, 31, v1
	s_delay_alu instid0(VALU_DEP_1)
	v_cmpx_eq_u32_e64 v0, v1
; %bb.98:
	v_lshlrev_b32_e32 v1, 3, v3
	ds_store_b64 v1, v[15:16]
; %bb.99:
	s_or_b32 exec_lo, exec_lo, s14
	s_delay_alu instid0(SALU_CYCLE_1)
	s_mov_b32 s14, exec_lo
	s_wait_loadcnt_dscnt 0x0
	s_barrier_signal -1
	s_barrier_wait -1
	global_inv scope:SCOPE_SE
	v_cmpx_gt_u32_e32 12, v0
	s_cbranch_execz .LBB634_109
; %bb.100:
	v_mad_i32_i24 v1, 0xffffffec, v0, v35
	ds_load_b64 v[1:2], v1
	s_wait_dscnt 0x0
	v_mov_b32_dpp v6, v1 row_shr:1 row_mask:0xf bank_mask:0xf
	v_mov_b32_dpp v5, v2 row_shr:1 row_mask:0xf bank_mask:0xf
	v_mov_b32_e32 v4, v1
	s_and_saveexec_b32 s5, s2
; %bb.101:
	s_delay_alu instid0(VALU_DEP_3) | instskip(SKIP_2) | instid1(VALU_DEP_2)
	v_add_co_u32 v4, s2, v1, v6
	s_wait_alu 0xf1ff
	v_add_co_ci_u32_e64 v2, null, 0, v2, s2
	v_add_co_u32 v1, s2, 0, v4
	s_wait_alu 0xf1ff
	s_delay_alu instid0(VALU_DEP_2)
	v_add_co_ci_u32_e64 v2, null, v5, v2, s2
; %bb.102:
	s_wait_alu 0xfffe
	s_or_b32 exec_lo, exec_lo, s5
	v_mov_b32_dpp v6, v4 row_shr:2 row_mask:0xf bank_mask:0xf
	s_delay_alu instid0(VALU_DEP_2)
	v_mov_b32_dpp v5, v2 row_shr:2 row_mask:0xf bank_mask:0xf
	s_and_saveexec_b32 s2, vcc_lo
; %bb.103:
	s_delay_alu instid0(VALU_DEP_2) | instskip(SKIP_2) | instid1(VALU_DEP_2)
	v_add_co_u32 v4, vcc_lo, v1, v6
	s_wait_alu 0xfffd
	v_add_co_ci_u32_e64 v2, null, 0, v2, vcc_lo
	v_add_co_u32 v1, vcc_lo, 0, v4
	s_wait_alu 0xfffd
	s_delay_alu instid0(VALU_DEP_2)
	v_add_co_ci_u32_e64 v2, null, v5, v2, vcc_lo
; %bb.104:
	s_wait_alu 0xfffe
	s_or_b32 exec_lo, exec_lo, s2
	v_mov_b32_dpp v6, v4 row_shr:4 row_mask:0xf bank_mask:0xf
	s_delay_alu instid0(VALU_DEP_2)
	v_mov_b32_dpp v5, v2 row_shr:4 row_mask:0xf bank_mask:0xf
	s_and_saveexec_b32 s2, s3
; %bb.105:
	s_delay_alu instid0(VALU_DEP_2) | instskip(SKIP_2) | instid1(VALU_DEP_2)
	v_add_co_u32 v4, vcc_lo, v1, v6
	s_wait_alu 0xfffd
	v_add_co_ci_u32_e64 v2, null, 0, v2, vcc_lo
	v_add_co_u32 v1, vcc_lo, 0, v4
	s_wait_alu 0xfffd
	s_delay_alu instid0(VALU_DEP_2)
	v_add_co_ci_u32_e64 v2, null, v5, v2, vcc_lo
; %bb.106:
	s_wait_alu 0xfffe
	s_or_b32 exec_lo, exec_lo, s2
	v_mul_i32_i24_e32 v5, 0xffffffec, v0
	v_mov_b32_dpp v6, v4 row_shr:8 row_mask:0xf bank_mask:0xf
	v_mov_b32_dpp v4, v2 row_shr:8 row_mask:0xf bank_mask:0xf
	s_and_saveexec_b32 s2, s4
; %bb.107:
	s_delay_alu instid0(VALU_DEP_2) | instskip(SKIP_2) | instid1(VALU_DEP_2)
	v_add_co_u32 v1, vcc_lo, v1, v6
	s_wait_alu 0xfffd
	v_add_co_ci_u32_e64 v2, null, 0, v2, vcc_lo
	v_add_co_u32 v1, vcc_lo, v1, 0
	s_wait_alu 0xfffd
	s_delay_alu instid0(VALU_DEP_2)
	v_add_co_ci_u32_e64 v2, null, v2, v4, vcc_lo
; %bb.108:
	s_wait_alu 0xfffe
	s_or_b32 exec_lo, exec_lo, s2
	v_add_nc_u32_e32 v4, v35, v5
	ds_store_b64 v4, v[1:2]
.LBB634_109:
	s_or_b32 exec_lo, exec_lo, s14
	v_mov_b32_e32 v6, 0
	v_mov_b32_e32 v7, 0
	s_mov_b32 s2, exec_lo
	s_wait_loadcnt_dscnt 0x0
	s_barrier_signal -1
	s_barrier_wait -1
	global_inv scope:SCOPE_SE
	v_cmpx_lt_u32_e32 31, v0
; %bb.110:
	v_lshl_add_u32 v1, v3, 3, -8
	ds_load_b64 v[6:7], v1
; %bb.111:
	s_wait_alu 0xfffe
	s_or_b32 exec_lo, exec_lo, s2
	v_sub_co_u32 v1, vcc_lo, v41, 1
	v_mov_b32_e32 v5, 0
	s_delay_alu instid0(VALU_DEP_2) | instskip(SKIP_1) | instid1(VALU_DEP_1)
	v_cmp_gt_i32_e64 s2, 0, v1
	s_wait_alu 0xf1ff
	v_cndmask_b32_e64 v1, v1, v41, s2
	s_delay_alu instid0(VALU_DEP_1)
	v_lshlrev_b32_e32 v2, 2, v1
	s_wait_dscnt 0x0
	v_add_co_u32 v1, s2, v6, v15
	s_wait_alu 0xf1ff
	v_add_co_ci_u32_e64 v3, null, v7, v16, s2
	v_cmp_eq_u32_e64 s2, 0, v0
	ds_bpermute_b32 v1, v2, v1
	ds_bpermute_b32 v8, v2, v3
	ds_load_b64 v[2:3], v5 offset:88
	s_and_saveexec_b32 s3, s2
	s_cbranch_execz .LBB634_113
; %bb.112:
	s_wait_kmcnt 0x0
	s_add_nc_u64 s[4:5], s[10:11], 0x200
	v_mov_b32_e32 v4, 2
	s_wait_alu 0xfffe
	v_dual_mov_b32 v16, s5 :: v_dual_mov_b32 v15, s4
	s_wait_dscnt 0x0
	;;#ASMSTART
	global_store_b128 v[15:16], v[2:5] off scope:SCOPE_DEV	
s_wait_storecnt 0x0
	;;#ASMEND
.LBB634_113:
	s_wait_alu 0xfffe
	s_or_b32 exec_lo, exec_lo, s3
	s_wait_dscnt 0x1
	s_wait_alu 0xfffd
	v_dual_cndmask_b32 v1, v1, v6 :: v_dual_cndmask_b32 v4, v8, v7
	s_wait_loadcnt_dscnt 0x0
	s_barrier_signal -1
	s_barrier_wait -1
	s_delay_alu instid0(VALU_DEP_1)
	v_cndmask_b32_e64 v27, v1, 0, s2
	v_cndmask_b32_e64 v28, v4, 0, s2
	v_mov_b32_e32 v4, 0
	v_mov_b32_e32 v5, 0
	global_inv scope:SCOPE_SE
	v_add_co_u32 v25, vcc_lo, v27, v40
	s_wait_alu 0xfffd
	v_add_co_ci_u32_e64 v26, null, 0, v28, vcc_lo
	s_delay_alu instid0(VALU_DEP_2) | instskip(SKIP_1) | instid1(VALU_DEP_2)
	v_add_co_u32 v23, vcc_lo, v25, v38
	s_wait_alu 0xfffd
	v_add_co_ci_u32_e64 v24, null, 0, v26, vcc_lo
	s_delay_alu instid0(VALU_DEP_2) | instskip(SKIP_1) | instid1(VALU_DEP_2)
	;; [unrolled: 4-line block ×5, first 2 shown]
	v_add_co_u32 v17, vcc_lo, v6, v36
	s_wait_alu 0xfffd
	v_add_co_ci_u32_e64 v18, null, 0, v7, vcc_lo
.LBB634_114:
	s_load_b64 s[2:3], s[0:1], 0x28
	v_lshrrev_b32_e32 v8, 8, v34
	v_lshrrev_b32_e32 v1, 16, v34
	v_and_b32_e32 v34, 1, v34
	s_wait_dscnt 0x0
	v_cmp_gt_u64_e32 vcc_lo, 0x181, v[2:3]
	s_mov_b32 s1, -1
	s_delay_alu instid0(VALU_DEP_2)
	v_cmp_eq_u32_e64 s0, 1, v34
	s_cbranch_vccnz .LBB634_118
; %bb.115:
	s_wait_alu 0xfffe
	s_and_b32 vcc_lo, exec_lo, s1
	s_wait_alu 0xfffe
	s_cbranch_vccnz .LBB634_133
.LBB634_116:
	v_cmp_eq_u32_e32 vcc_lo, 0, v0
	s_and_b32 s0, vcc_lo, s12
	s_wait_alu 0xfffe
	s_and_saveexec_b32 s1, s0
	s_cbranch_execnz .LBB634_150
.LBB634_117:
	s_endpgm
.LBB634_118:
	v_add_co_u32 v15, vcc_lo, v4, v2
	s_wait_alu 0xfffd
	v_add_co_ci_u32_e64 v16, null, v5, v3, vcc_lo
	s_wait_kmcnt 0x0
	s_lshl_b64 s[4:5], s[6:7], 2
	s_wait_alu 0xfffe
	s_add_nc_u64 s[4:5], s[2:3], s[4:5]
	v_cmp_lt_u64_e32 vcc_lo, v[27:28], v[15:16]
	s_or_b32 s1, s13, vcc_lo
	s_wait_alu 0xfffe
	s_and_b32 s1, s1, s0
	s_wait_alu 0xfffe
	s_and_saveexec_b32 s0, s1
	s_cbranch_execz .LBB634_120
; %bb.119:
	v_lshlrev_b64_e32 v[35:36], 2, v[27:28]
	s_delay_alu instid0(VALU_DEP_1) | instskip(SKIP_1) | instid1(VALU_DEP_2)
	v_add_co_u32 v35, vcc_lo, s4, v35
	s_wait_alu 0xfffd
	v_add_co_ci_u32_e64 v36, null, s5, v36, vcc_lo
	global_store_b32 v[35:36], v13, off
.LBB634_120:
	s_wait_alu 0xfffe
	s_or_b32 exec_lo, exec_lo, s0
	v_and_b32_e32 v28, 1, v8
	v_cmp_lt_u64_e32 vcc_lo, v[25:26], v[15:16]
	s_delay_alu instid0(VALU_DEP_2)
	v_cmp_eq_u32_e64 s0, 1, v28
	s_or_b32 s1, s13, vcc_lo
	s_wait_alu 0xfffe
	s_and_b32 s1, s1, s0
	s_wait_alu 0xfffe
	s_and_saveexec_b32 s0, s1
	s_cbranch_execz .LBB634_122
; %bb.121:
	v_lshlrev_b64_e32 v[35:36], 2, v[25:26]
	s_delay_alu instid0(VALU_DEP_1) | instskip(SKIP_1) | instid1(VALU_DEP_2)
	v_add_co_u32 v35, vcc_lo, s4, v35
	s_wait_alu 0xfffd
	v_add_co_ci_u32_e64 v36, null, s5, v36, vcc_lo
	global_store_b32 v[35:36], v14, off
.LBB634_122:
	s_wait_alu 0xfffe
	s_or_b32 exec_lo, exec_lo, s0
	v_and_b32_e32 v26, 1, v1
	v_cmp_lt_u64_e32 vcc_lo, v[23:24], v[15:16]
	s_delay_alu instid0(VALU_DEP_2)
	v_cmp_eq_u32_e64 s0, 1, v26
	;; [unrolled: 20-line block ×6, first 2 shown]
	s_or_b32 s1, s13, vcc_lo
	s_wait_alu 0xfffe
	s_and_b32 s1, s1, s0
	s_wait_alu 0xfffe
	s_and_saveexec_b32 s0, s1
	s_cbranch_execz .LBB634_132
; %bb.131:
	v_lshlrev_b64_e32 v[15:16], 2, v[17:18]
	s_delay_alu instid0(VALU_DEP_1) | instskip(SKIP_1) | instid1(VALU_DEP_2)
	v_add_co_u32 v15, vcc_lo, s4, v15
	s_wait_alu 0xfffd
	v_add_co_ci_u32_e64 v16, null, s5, v16, vcc_lo
	global_store_b32 v[15:16], v29, off
.LBB634_132:
	s_wait_alu 0xfffe
	s_or_b32 exec_lo, exec_lo, s0
	s_branch .LBB634_116
.LBB634_133:
	s_mov_b32 s0, exec_lo
	v_cmpx_eq_u32_e32 1, v34
; %bb.134:
	v_sub_nc_u32_e32 v7, v27, v4
	s_delay_alu instid0(VALU_DEP_1)
	v_lshlrev_b32_e32 v7, 2, v7
	ds_store_b32 v7, v13
; %bb.135:
	s_wait_alu 0xfffe
	s_or_b32 exec_lo, exec_lo, s0
	v_and_b32_e32 v7, 1, v8
	s_mov_b32 s0, exec_lo
	s_delay_alu instid0(VALU_DEP_1)
	v_cmpx_eq_u32_e32 1, v7
; %bb.136:
	v_sub_nc_u32_e32 v7, v25, v4
	s_delay_alu instid0(VALU_DEP_1)
	v_lshlrev_b32_e32 v7, 2, v7
	ds_store_b32 v7, v14
; %bb.137:
	s_wait_alu 0xfffe
	s_or_b32 exec_lo, exec_lo, s0
	v_and_b32_e32 v1, 1, v1
	s_mov_b32 s0, exec_lo
	s_delay_alu instid0(VALU_DEP_1)
	;; [unrolled: 12-line block ×6, first 2 shown]
	v_cmpx_eq_u32_e32 1, v1
; %bb.146:
	v_sub_nc_u32_e32 v1, v17, v4
	s_delay_alu instid0(VALU_DEP_1)
	v_lshlrev_b32_e32 v1, 2, v1
	ds_store_b32 v1, v29
; %bb.147:
	s_wait_alu 0xfffe
	s_or_b32 exec_lo, exec_lo, s0
	v_dual_mov_b32 v7, 0 :: v_dual_add_nc_u32 v6, 0x180, v0
	v_lshlrev_b64_e32 v[8:9], 2, v[4:5]
	s_wait_kmcnt 0x0
	s_lshl_b64 s[0:1], s[6:7], 2
	s_wait_storecnt 0x0
	s_wait_loadcnt_dscnt 0x0
	v_mov_b32_e32 v1, v7
	s_wait_alu 0xfffe
	s_add_nc_u64 s[0:1], s[2:3], s[0:1]
	s_barrier_signal -1
	s_wait_alu 0xfffe
	v_add_co_u32 v10, vcc_lo, s0, v8
	s_wait_alu 0xfffd
	v_add_co_ci_u32_e64 v11, null, s1, v9, vcc_lo
	v_dual_mov_b32 v9, v1 :: v_dual_mov_b32 v8, v0
	s_mov_b32 s1, 0
	s_barrier_wait -1
	global_inv scope:SCOPE_SE
.LBB634_148:                            ; =>This Inner Loop Header: Depth=1
	v_lshlrev_b32_e32 v1, 2, v8
	v_lshlrev_b64_e32 v[12:13], 2, v[8:9]
	v_dual_mov_b32 v9, v7 :: v_dual_mov_b32 v8, v6
	v_cmp_le_u64_e32 vcc_lo, v[2:3], v[6:7]
	ds_load_b32 v1, v1
	v_add_nc_u32_e32 v6, 0x180, v6
	v_add_co_u32 v12, s0, v10, v12
	s_wait_alu 0xf1ff
	v_add_co_ci_u32_e64 v13, null, v11, v13, s0
	s_wait_alu 0xfffe
	s_or_b32 s1, vcc_lo, s1
	s_wait_dscnt 0x0
	global_store_b32 v[12:13], v1, off
	s_wait_alu 0xfffe
	s_and_not1_b32 exec_lo, exec_lo, s1
	s_cbranch_execnz .LBB634_148
; %bb.149:
	s_or_b32 exec_lo, exec_lo, s1
	v_cmp_eq_u32_e32 vcc_lo, 0, v0
	s_and_b32 s0, vcc_lo, s12
	s_wait_alu 0xfffe
	s_and_saveexec_b32 s1, s0
	s_cbranch_execz .LBB634_117
.LBB634_150:
	v_add_co_u32 v0, vcc_lo, v4, v2
	s_wait_alu 0xfffd
	v_add_co_ci_u32_e64 v1, null, v5, v3, vcc_lo
	v_mov_b32_e32 v2, 0
	s_wait_kmcnt 0x0
	v_add_co_u32 v0, vcc_lo, v0, s6
	s_wait_alu 0xfffd
	v_add_co_ci_u32_e64 v1, null, s7, v1, vcc_lo
	global_store_b64 v2, v[0:1], s[8:9]
	s_endpgm
	.section	.rodata,"a",@progbits
	.p2align	6, 0x0
	.amdhsa_kernel _ZN7rocprim17ROCPRIM_400000_NS6detail17trampoline_kernelINS0_14default_configENS1_25partition_config_selectorILNS1_17partition_subalgoE6EjNS0_10empty_typeEbEEZZNS1_14partition_implILS5_6ELb0ES3_mN6thrust23THRUST_200600_302600_NS6detail15normal_iteratorINSA_10device_ptrIjEEEEPS6_SG_NS0_5tupleIJSF_S6_EEENSH_IJSG_SG_EEES6_PlJNSB_9not_fun_tI7is_evenIjEEEEEE10hipError_tPvRmT3_T4_T5_T6_T7_T9_mT8_P12ihipStream_tbDpT10_ENKUlT_T0_E_clISt17integral_constantIbLb0EES18_EEDaS13_S14_EUlS13_E_NS1_11comp_targetILNS1_3genE10ELNS1_11target_archE1200ELNS1_3gpuE4ELNS1_3repE0EEENS1_30default_config_static_selectorELNS0_4arch9wavefront6targetE0EEEvT1_
		.amdhsa_group_segment_fixed_size 10768
		.amdhsa_private_segment_fixed_size 0
		.amdhsa_kernarg_size 112
		.amdhsa_user_sgpr_count 2
		.amdhsa_user_sgpr_dispatch_ptr 0
		.amdhsa_user_sgpr_queue_ptr 0
		.amdhsa_user_sgpr_kernarg_segment_ptr 1
		.amdhsa_user_sgpr_dispatch_id 0
		.amdhsa_user_sgpr_private_segment_size 0
		.amdhsa_wavefront_size32 1
		.amdhsa_uses_dynamic_stack 0
		.amdhsa_enable_private_segment 0
		.amdhsa_system_sgpr_workgroup_id_x 1
		.amdhsa_system_sgpr_workgroup_id_y 0
		.amdhsa_system_sgpr_workgroup_id_z 0
		.amdhsa_system_sgpr_workgroup_info 0
		.amdhsa_system_vgpr_workitem_id 0
		.amdhsa_next_free_vgpr 50
		.amdhsa_next_free_sgpr 19
		.amdhsa_reserve_vcc 1
		.amdhsa_float_round_mode_32 0
		.amdhsa_float_round_mode_16_64 0
		.amdhsa_float_denorm_mode_32 3
		.amdhsa_float_denorm_mode_16_64 3
		.amdhsa_fp16_overflow 0
		.amdhsa_workgroup_processor_mode 1
		.amdhsa_memory_ordered 1
		.amdhsa_forward_progress 1
		.amdhsa_inst_pref_size 58
		.amdhsa_round_robin_scheduling 0
		.amdhsa_exception_fp_ieee_invalid_op 0
		.amdhsa_exception_fp_denorm_src 0
		.amdhsa_exception_fp_ieee_div_zero 0
		.amdhsa_exception_fp_ieee_overflow 0
		.amdhsa_exception_fp_ieee_underflow 0
		.amdhsa_exception_fp_ieee_inexact 0
		.amdhsa_exception_int_div_zero 0
	.end_amdhsa_kernel
	.section	.text._ZN7rocprim17ROCPRIM_400000_NS6detail17trampoline_kernelINS0_14default_configENS1_25partition_config_selectorILNS1_17partition_subalgoE6EjNS0_10empty_typeEbEEZZNS1_14partition_implILS5_6ELb0ES3_mN6thrust23THRUST_200600_302600_NS6detail15normal_iteratorINSA_10device_ptrIjEEEEPS6_SG_NS0_5tupleIJSF_S6_EEENSH_IJSG_SG_EEES6_PlJNSB_9not_fun_tI7is_evenIjEEEEEE10hipError_tPvRmT3_T4_T5_T6_T7_T9_mT8_P12ihipStream_tbDpT10_ENKUlT_T0_E_clISt17integral_constantIbLb0EES18_EEDaS13_S14_EUlS13_E_NS1_11comp_targetILNS1_3genE10ELNS1_11target_archE1200ELNS1_3gpuE4ELNS1_3repE0EEENS1_30default_config_static_selectorELNS0_4arch9wavefront6targetE0EEEvT1_,"axG",@progbits,_ZN7rocprim17ROCPRIM_400000_NS6detail17trampoline_kernelINS0_14default_configENS1_25partition_config_selectorILNS1_17partition_subalgoE6EjNS0_10empty_typeEbEEZZNS1_14partition_implILS5_6ELb0ES3_mN6thrust23THRUST_200600_302600_NS6detail15normal_iteratorINSA_10device_ptrIjEEEEPS6_SG_NS0_5tupleIJSF_S6_EEENSH_IJSG_SG_EEES6_PlJNSB_9not_fun_tI7is_evenIjEEEEEE10hipError_tPvRmT3_T4_T5_T6_T7_T9_mT8_P12ihipStream_tbDpT10_ENKUlT_T0_E_clISt17integral_constantIbLb0EES18_EEDaS13_S14_EUlS13_E_NS1_11comp_targetILNS1_3genE10ELNS1_11target_archE1200ELNS1_3gpuE4ELNS1_3repE0EEENS1_30default_config_static_selectorELNS0_4arch9wavefront6targetE0EEEvT1_,comdat
.Lfunc_end634:
	.size	_ZN7rocprim17ROCPRIM_400000_NS6detail17trampoline_kernelINS0_14default_configENS1_25partition_config_selectorILNS1_17partition_subalgoE6EjNS0_10empty_typeEbEEZZNS1_14partition_implILS5_6ELb0ES3_mN6thrust23THRUST_200600_302600_NS6detail15normal_iteratorINSA_10device_ptrIjEEEEPS6_SG_NS0_5tupleIJSF_S6_EEENSH_IJSG_SG_EEES6_PlJNSB_9not_fun_tI7is_evenIjEEEEEE10hipError_tPvRmT3_T4_T5_T6_T7_T9_mT8_P12ihipStream_tbDpT10_ENKUlT_T0_E_clISt17integral_constantIbLb0EES18_EEDaS13_S14_EUlS13_E_NS1_11comp_targetILNS1_3genE10ELNS1_11target_archE1200ELNS1_3gpuE4ELNS1_3repE0EEENS1_30default_config_static_selectorELNS0_4arch9wavefront6targetE0EEEvT1_, .Lfunc_end634-_ZN7rocprim17ROCPRIM_400000_NS6detail17trampoline_kernelINS0_14default_configENS1_25partition_config_selectorILNS1_17partition_subalgoE6EjNS0_10empty_typeEbEEZZNS1_14partition_implILS5_6ELb0ES3_mN6thrust23THRUST_200600_302600_NS6detail15normal_iteratorINSA_10device_ptrIjEEEEPS6_SG_NS0_5tupleIJSF_S6_EEENSH_IJSG_SG_EEES6_PlJNSB_9not_fun_tI7is_evenIjEEEEEE10hipError_tPvRmT3_T4_T5_T6_T7_T9_mT8_P12ihipStream_tbDpT10_ENKUlT_T0_E_clISt17integral_constantIbLb0EES18_EEDaS13_S14_EUlS13_E_NS1_11comp_targetILNS1_3genE10ELNS1_11target_archE1200ELNS1_3gpuE4ELNS1_3repE0EEENS1_30default_config_static_selectorELNS0_4arch9wavefront6targetE0EEEvT1_
                                        ; -- End function
	.set _ZN7rocprim17ROCPRIM_400000_NS6detail17trampoline_kernelINS0_14default_configENS1_25partition_config_selectorILNS1_17partition_subalgoE6EjNS0_10empty_typeEbEEZZNS1_14partition_implILS5_6ELb0ES3_mN6thrust23THRUST_200600_302600_NS6detail15normal_iteratorINSA_10device_ptrIjEEEEPS6_SG_NS0_5tupleIJSF_S6_EEENSH_IJSG_SG_EEES6_PlJNSB_9not_fun_tI7is_evenIjEEEEEE10hipError_tPvRmT3_T4_T5_T6_T7_T9_mT8_P12ihipStream_tbDpT10_ENKUlT_T0_E_clISt17integral_constantIbLb0EES18_EEDaS13_S14_EUlS13_E_NS1_11comp_targetILNS1_3genE10ELNS1_11target_archE1200ELNS1_3gpuE4ELNS1_3repE0EEENS1_30default_config_static_selectorELNS0_4arch9wavefront6targetE0EEEvT1_.num_vgpr, 50
	.set _ZN7rocprim17ROCPRIM_400000_NS6detail17trampoline_kernelINS0_14default_configENS1_25partition_config_selectorILNS1_17partition_subalgoE6EjNS0_10empty_typeEbEEZZNS1_14partition_implILS5_6ELb0ES3_mN6thrust23THRUST_200600_302600_NS6detail15normal_iteratorINSA_10device_ptrIjEEEEPS6_SG_NS0_5tupleIJSF_S6_EEENSH_IJSG_SG_EEES6_PlJNSB_9not_fun_tI7is_evenIjEEEEEE10hipError_tPvRmT3_T4_T5_T6_T7_T9_mT8_P12ihipStream_tbDpT10_ENKUlT_T0_E_clISt17integral_constantIbLb0EES18_EEDaS13_S14_EUlS13_E_NS1_11comp_targetILNS1_3genE10ELNS1_11target_archE1200ELNS1_3gpuE4ELNS1_3repE0EEENS1_30default_config_static_selectorELNS0_4arch9wavefront6targetE0EEEvT1_.num_agpr, 0
	.set _ZN7rocprim17ROCPRIM_400000_NS6detail17trampoline_kernelINS0_14default_configENS1_25partition_config_selectorILNS1_17partition_subalgoE6EjNS0_10empty_typeEbEEZZNS1_14partition_implILS5_6ELb0ES3_mN6thrust23THRUST_200600_302600_NS6detail15normal_iteratorINSA_10device_ptrIjEEEEPS6_SG_NS0_5tupleIJSF_S6_EEENSH_IJSG_SG_EEES6_PlJNSB_9not_fun_tI7is_evenIjEEEEEE10hipError_tPvRmT3_T4_T5_T6_T7_T9_mT8_P12ihipStream_tbDpT10_ENKUlT_T0_E_clISt17integral_constantIbLb0EES18_EEDaS13_S14_EUlS13_E_NS1_11comp_targetILNS1_3genE10ELNS1_11target_archE1200ELNS1_3gpuE4ELNS1_3repE0EEENS1_30default_config_static_selectorELNS0_4arch9wavefront6targetE0EEEvT1_.numbered_sgpr, 19
	.set _ZN7rocprim17ROCPRIM_400000_NS6detail17trampoline_kernelINS0_14default_configENS1_25partition_config_selectorILNS1_17partition_subalgoE6EjNS0_10empty_typeEbEEZZNS1_14partition_implILS5_6ELb0ES3_mN6thrust23THRUST_200600_302600_NS6detail15normal_iteratorINSA_10device_ptrIjEEEEPS6_SG_NS0_5tupleIJSF_S6_EEENSH_IJSG_SG_EEES6_PlJNSB_9not_fun_tI7is_evenIjEEEEEE10hipError_tPvRmT3_T4_T5_T6_T7_T9_mT8_P12ihipStream_tbDpT10_ENKUlT_T0_E_clISt17integral_constantIbLb0EES18_EEDaS13_S14_EUlS13_E_NS1_11comp_targetILNS1_3genE10ELNS1_11target_archE1200ELNS1_3gpuE4ELNS1_3repE0EEENS1_30default_config_static_selectorELNS0_4arch9wavefront6targetE0EEEvT1_.num_named_barrier, 0
	.set _ZN7rocprim17ROCPRIM_400000_NS6detail17trampoline_kernelINS0_14default_configENS1_25partition_config_selectorILNS1_17partition_subalgoE6EjNS0_10empty_typeEbEEZZNS1_14partition_implILS5_6ELb0ES3_mN6thrust23THRUST_200600_302600_NS6detail15normal_iteratorINSA_10device_ptrIjEEEEPS6_SG_NS0_5tupleIJSF_S6_EEENSH_IJSG_SG_EEES6_PlJNSB_9not_fun_tI7is_evenIjEEEEEE10hipError_tPvRmT3_T4_T5_T6_T7_T9_mT8_P12ihipStream_tbDpT10_ENKUlT_T0_E_clISt17integral_constantIbLb0EES18_EEDaS13_S14_EUlS13_E_NS1_11comp_targetILNS1_3genE10ELNS1_11target_archE1200ELNS1_3gpuE4ELNS1_3repE0EEENS1_30default_config_static_selectorELNS0_4arch9wavefront6targetE0EEEvT1_.private_seg_size, 0
	.set _ZN7rocprim17ROCPRIM_400000_NS6detail17trampoline_kernelINS0_14default_configENS1_25partition_config_selectorILNS1_17partition_subalgoE6EjNS0_10empty_typeEbEEZZNS1_14partition_implILS5_6ELb0ES3_mN6thrust23THRUST_200600_302600_NS6detail15normal_iteratorINSA_10device_ptrIjEEEEPS6_SG_NS0_5tupleIJSF_S6_EEENSH_IJSG_SG_EEES6_PlJNSB_9not_fun_tI7is_evenIjEEEEEE10hipError_tPvRmT3_T4_T5_T6_T7_T9_mT8_P12ihipStream_tbDpT10_ENKUlT_T0_E_clISt17integral_constantIbLb0EES18_EEDaS13_S14_EUlS13_E_NS1_11comp_targetILNS1_3genE10ELNS1_11target_archE1200ELNS1_3gpuE4ELNS1_3repE0EEENS1_30default_config_static_selectorELNS0_4arch9wavefront6targetE0EEEvT1_.uses_vcc, 1
	.set _ZN7rocprim17ROCPRIM_400000_NS6detail17trampoline_kernelINS0_14default_configENS1_25partition_config_selectorILNS1_17partition_subalgoE6EjNS0_10empty_typeEbEEZZNS1_14partition_implILS5_6ELb0ES3_mN6thrust23THRUST_200600_302600_NS6detail15normal_iteratorINSA_10device_ptrIjEEEEPS6_SG_NS0_5tupleIJSF_S6_EEENSH_IJSG_SG_EEES6_PlJNSB_9not_fun_tI7is_evenIjEEEEEE10hipError_tPvRmT3_T4_T5_T6_T7_T9_mT8_P12ihipStream_tbDpT10_ENKUlT_T0_E_clISt17integral_constantIbLb0EES18_EEDaS13_S14_EUlS13_E_NS1_11comp_targetILNS1_3genE10ELNS1_11target_archE1200ELNS1_3gpuE4ELNS1_3repE0EEENS1_30default_config_static_selectorELNS0_4arch9wavefront6targetE0EEEvT1_.uses_flat_scratch, 1
	.set _ZN7rocprim17ROCPRIM_400000_NS6detail17trampoline_kernelINS0_14default_configENS1_25partition_config_selectorILNS1_17partition_subalgoE6EjNS0_10empty_typeEbEEZZNS1_14partition_implILS5_6ELb0ES3_mN6thrust23THRUST_200600_302600_NS6detail15normal_iteratorINSA_10device_ptrIjEEEEPS6_SG_NS0_5tupleIJSF_S6_EEENSH_IJSG_SG_EEES6_PlJNSB_9not_fun_tI7is_evenIjEEEEEE10hipError_tPvRmT3_T4_T5_T6_T7_T9_mT8_P12ihipStream_tbDpT10_ENKUlT_T0_E_clISt17integral_constantIbLb0EES18_EEDaS13_S14_EUlS13_E_NS1_11comp_targetILNS1_3genE10ELNS1_11target_archE1200ELNS1_3gpuE4ELNS1_3repE0EEENS1_30default_config_static_selectorELNS0_4arch9wavefront6targetE0EEEvT1_.has_dyn_sized_stack, 0
	.set _ZN7rocprim17ROCPRIM_400000_NS6detail17trampoline_kernelINS0_14default_configENS1_25partition_config_selectorILNS1_17partition_subalgoE6EjNS0_10empty_typeEbEEZZNS1_14partition_implILS5_6ELb0ES3_mN6thrust23THRUST_200600_302600_NS6detail15normal_iteratorINSA_10device_ptrIjEEEEPS6_SG_NS0_5tupleIJSF_S6_EEENSH_IJSG_SG_EEES6_PlJNSB_9not_fun_tI7is_evenIjEEEEEE10hipError_tPvRmT3_T4_T5_T6_T7_T9_mT8_P12ihipStream_tbDpT10_ENKUlT_T0_E_clISt17integral_constantIbLb0EES18_EEDaS13_S14_EUlS13_E_NS1_11comp_targetILNS1_3genE10ELNS1_11target_archE1200ELNS1_3gpuE4ELNS1_3repE0EEENS1_30default_config_static_selectorELNS0_4arch9wavefront6targetE0EEEvT1_.has_recursion, 0
	.set _ZN7rocprim17ROCPRIM_400000_NS6detail17trampoline_kernelINS0_14default_configENS1_25partition_config_selectorILNS1_17partition_subalgoE6EjNS0_10empty_typeEbEEZZNS1_14partition_implILS5_6ELb0ES3_mN6thrust23THRUST_200600_302600_NS6detail15normal_iteratorINSA_10device_ptrIjEEEEPS6_SG_NS0_5tupleIJSF_S6_EEENSH_IJSG_SG_EEES6_PlJNSB_9not_fun_tI7is_evenIjEEEEEE10hipError_tPvRmT3_T4_T5_T6_T7_T9_mT8_P12ihipStream_tbDpT10_ENKUlT_T0_E_clISt17integral_constantIbLb0EES18_EEDaS13_S14_EUlS13_E_NS1_11comp_targetILNS1_3genE10ELNS1_11target_archE1200ELNS1_3gpuE4ELNS1_3repE0EEENS1_30default_config_static_selectorELNS0_4arch9wavefront6targetE0EEEvT1_.has_indirect_call, 0
	.section	.AMDGPU.csdata,"",@progbits
; Kernel info:
; codeLenInByte = 7368
; TotalNumSgprs: 21
; NumVgprs: 50
; ScratchSize: 0
; MemoryBound: 0
; FloatMode: 240
; IeeeMode: 1
; LDSByteSize: 10768 bytes/workgroup (compile time only)
; SGPRBlocks: 0
; VGPRBlocks: 6
; NumSGPRsForWavesPerEU: 21
; NumVGPRsForWavesPerEU: 50
; Occupancy: 15
; WaveLimiterHint : 1
; COMPUTE_PGM_RSRC2:SCRATCH_EN: 0
; COMPUTE_PGM_RSRC2:USER_SGPR: 2
; COMPUTE_PGM_RSRC2:TRAP_HANDLER: 0
; COMPUTE_PGM_RSRC2:TGID_X_EN: 1
; COMPUTE_PGM_RSRC2:TGID_Y_EN: 0
; COMPUTE_PGM_RSRC2:TGID_Z_EN: 0
; COMPUTE_PGM_RSRC2:TIDIG_COMP_CNT: 0
	.section	.text._ZN7rocprim17ROCPRIM_400000_NS6detail17trampoline_kernelINS0_14default_configENS1_25partition_config_selectorILNS1_17partition_subalgoE6EjNS0_10empty_typeEbEEZZNS1_14partition_implILS5_6ELb0ES3_mN6thrust23THRUST_200600_302600_NS6detail15normal_iteratorINSA_10device_ptrIjEEEEPS6_SG_NS0_5tupleIJSF_S6_EEENSH_IJSG_SG_EEES6_PlJNSB_9not_fun_tI7is_evenIjEEEEEE10hipError_tPvRmT3_T4_T5_T6_T7_T9_mT8_P12ihipStream_tbDpT10_ENKUlT_T0_E_clISt17integral_constantIbLb0EES18_EEDaS13_S14_EUlS13_E_NS1_11comp_targetILNS1_3genE9ELNS1_11target_archE1100ELNS1_3gpuE3ELNS1_3repE0EEENS1_30default_config_static_selectorELNS0_4arch9wavefront6targetE0EEEvT1_,"axG",@progbits,_ZN7rocprim17ROCPRIM_400000_NS6detail17trampoline_kernelINS0_14default_configENS1_25partition_config_selectorILNS1_17partition_subalgoE6EjNS0_10empty_typeEbEEZZNS1_14partition_implILS5_6ELb0ES3_mN6thrust23THRUST_200600_302600_NS6detail15normal_iteratorINSA_10device_ptrIjEEEEPS6_SG_NS0_5tupleIJSF_S6_EEENSH_IJSG_SG_EEES6_PlJNSB_9not_fun_tI7is_evenIjEEEEEE10hipError_tPvRmT3_T4_T5_T6_T7_T9_mT8_P12ihipStream_tbDpT10_ENKUlT_T0_E_clISt17integral_constantIbLb0EES18_EEDaS13_S14_EUlS13_E_NS1_11comp_targetILNS1_3genE9ELNS1_11target_archE1100ELNS1_3gpuE3ELNS1_3repE0EEENS1_30default_config_static_selectorELNS0_4arch9wavefront6targetE0EEEvT1_,comdat
	.protected	_ZN7rocprim17ROCPRIM_400000_NS6detail17trampoline_kernelINS0_14default_configENS1_25partition_config_selectorILNS1_17partition_subalgoE6EjNS0_10empty_typeEbEEZZNS1_14partition_implILS5_6ELb0ES3_mN6thrust23THRUST_200600_302600_NS6detail15normal_iteratorINSA_10device_ptrIjEEEEPS6_SG_NS0_5tupleIJSF_S6_EEENSH_IJSG_SG_EEES6_PlJNSB_9not_fun_tI7is_evenIjEEEEEE10hipError_tPvRmT3_T4_T5_T6_T7_T9_mT8_P12ihipStream_tbDpT10_ENKUlT_T0_E_clISt17integral_constantIbLb0EES18_EEDaS13_S14_EUlS13_E_NS1_11comp_targetILNS1_3genE9ELNS1_11target_archE1100ELNS1_3gpuE3ELNS1_3repE0EEENS1_30default_config_static_selectorELNS0_4arch9wavefront6targetE0EEEvT1_ ; -- Begin function _ZN7rocprim17ROCPRIM_400000_NS6detail17trampoline_kernelINS0_14default_configENS1_25partition_config_selectorILNS1_17partition_subalgoE6EjNS0_10empty_typeEbEEZZNS1_14partition_implILS5_6ELb0ES3_mN6thrust23THRUST_200600_302600_NS6detail15normal_iteratorINSA_10device_ptrIjEEEEPS6_SG_NS0_5tupleIJSF_S6_EEENSH_IJSG_SG_EEES6_PlJNSB_9not_fun_tI7is_evenIjEEEEEE10hipError_tPvRmT3_T4_T5_T6_T7_T9_mT8_P12ihipStream_tbDpT10_ENKUlT_T0_E_clISt17integral_constantIbLb0EES18_EEDaS13_S14_EUlS13_E_NS1_11comp_targetILNS1_3genE9ELNS1_11target_archE1100ELNS1_3gpuE3ELNS1_3repE0EEENS1_30default_config_static_selectorELNS0_4arch9wavefront6targetE0EEEvT1_
	.globl	_ZN7rocprim17ROCPRIM_400000_NS6detail17trampoline_kernelINS0_14default_configENS1_25partition_config_selectorILNS1_17partition_subalgoE6EjNS0_10empty_typeEbEEZZNS1_14partition_implILS5_6ELb0ES3_mN6thrust23THRUST_200600_302600_NS6detail15normal_iteratorINSA_10device_ptrIjEEEEPS6_SG_NS0_5tupleIJSF_S6_EEENSH_IJSG_SG_EEES6_PlJNSB_9not_fun_tI7is_evenIjEEEEEE10hipError_tPvRmT3_T4_T5_T6_T7_T9_mT8_P12ihipStream_tbDpT10_ENKUlT_T0_E_clISt17integral_constantIbLb0EES18_EEDaS13_S14_EUlS13_E_NS1_11comp_targetILNS1_3genE9ELNS1_11target_archE1100ELNS1_3gpuE3ELNS1_3repE0EEENS1_30default_config_static_selectorELNS0_4arch9wavefront6targetE0EEEvT1_
	.p2align	8
	.type	_ZN7rocprim17ROCPRIM_400000_NS6detail17trampoline_kernelINS0_14default_configENS1_25partition_config_selectorILNS1_17partition_subalgoE6EjNS0_10empty_typeEbEEZZNS1_14partition_implILS5_6ELb0ES3_mN6thrust23THRUST_200600_302600_NS6detail15normal_iteratorINSA_10device_ptrIjEEEEPS6_SG_NS0_5tupleIJSF_S6_EEENSH_IJSG_SG_EEES6_PlJNSB_9not_fun_tI7is_evenIjEEEEEE10hipError_tPvRmT3_T4_T5_T6_T7_T9_mT8_P12ihipStream_tbDpT10_ENKUlT_T0_E_clISt17integral_constantIbLb0EES18_EEDaS13_S14_EUlS13_E_NS1_11comp_targetILNS1_3genE9ELNS1_11target_archE1100ELNS1_3gpuE3ELNS1_3repE0EEENS1_30default_config_static_selectorELNS0_4arch9wavefront6targetE0EEEvT1_,@function
_ZN7rocprim17ROCPRIM_400000_NS6detail17trampoline_kernelINS0_14default_configENS1_25partition_config_selectorILNS1_17partition_subalgoE6EjNS0_10empty_typeEbEEZZNS1_14partition_implILS5_6ELb0ES3_mN6thrust23THRUST_200600_302600_NS6detail15normal_iteratorINSA_10device_ptrIjEEEEPS6_SG_NS0_5tupleIJSF_S6_EEENSH_IJSG_SG_EEES6_PlJNSB_9not_fun_tI7is_evenIjEEEEEE10hipError_tPvRmT3_T4_T5_T6_T7_T9_mT8_P12ihipStream_tbDpT10_ENKUlT_T0_E_clISt17integral_constantIbLb0EES18_EEDaS13_S14_EUlS13_E_NS1_11comp_targetILNS1_3genE9ELNS1_11target_archE1100ELNS1_3gpuE3ELNS1_3repE0EEENS1_30default_config_static_selectorELNS0_4arch9wavefront6targetE0EEEvT1_: ; @_ZN7rocprim17ROCPRIM_400000_NS6detail17trampoline_kernelINS0_14default_configENS1_25partition_config_selectorILNS1_17partition_subalgoE6EjNS0_10empty_typeEbEEZZNS1_14partition_implILS5_6ELb0ES3_mN6thrust23THRUST_200600_302600_NS6detail15normal_iteratorINSA_10device_ptrIjEEEEPS6_SG_NS0_5tupleIJSF_S6_EEENSH_IJSG_SG_EEES6_PlJNSB_9not_fun_tI7is_evenIjEEEEEE10hipError_tPvRmT3_T4_T5_T6_T7_T9_mT8_P12ihipStream_tbDpT10_ENKUlT_T0_E_clISt17integral_constantIbLb0EES18_EEDaS13_S14_EUlS13_E_NS1_11comp_targetILNS1_3genE9ELNS1_11target_archE1100ELNS1_3gpuE3ELNS1_3repE0EEENS1_30default_config_static_selectorELNS0_4arch9wavefront6targetE0EEEvT1_
; %bb.0:
	.section	.rodata,"a",@progbits
	.p2align	6, 0x0
	.amdhsa_kernel _ZN7rocprim17ROCPRIM_400000_NS6detail17trampoline_kernelINS0_14default_configENS1_25partition_config_selectorILNS1_17partition_subalgoE6EjNS0_10empty_typeEbEEZZNS1_14partition_implILS5_6ELb0ES3_mN6thrust23THRUST_200600_302600_NS6detail15normal_iteratorINSA_10device_ptrIjEEEEPS6_SG_NS0_5tupleIJSF_S6_EEENSH_IJSG_SG_EEES6_PlJNSB_9not_fun_tI7is_evenIjEEEEEE10hipError_tPvRmT3_T4_T5_T6_T7_T9_mT8_P12ihipStream_tbDpT10_ENKUlT_T0_E_clISt17integral_constantIbLb0EES18_EEDaS13_S14_EUlS13_E_NS1_11comp_targetILNS1_3genE9ELNS1_11target_archE1100ELNS1_3gpuE3ELNS1_3repE0EEENS1_30default_config_static_selectorELNS0_4arch9wavefront6targetE0EEEvT1_
		.amdhsa_group_segment_fixed_size 0
		.amdhsa_private_segment_fixed_size 0
		.amdhsa_kernarg_size 112
		.amdhsa_user_sgpr_count 2
		.amdhsa_user_sgpr_dispatch_ptr 0
		.amdhsa_user_sgpr_queue_ptr 0
		.amdhsa_user_sgpr_kernarg_segment_ptr 1
		.amdhsa_user_sgpr_dispatch_id 0
		.amdhsa_user_sgpr_private_segment_size 0
		.amdhsa_wavefront_size32 1
		.amdhsa_uses_dynamic_stack 0
		.amdhsa_enable_private_segment 0
		.amdhsa_system_sgpr_workgroup_id_x 1
		.amdhsa_system_sgpr_workgroup_id_y 0
		.amdhsa_system_sgpr_workgroup_id_z 0
		.amdhsa_system_sgpr_workgroup_info 0
		.amdhsa_system_vgpr_workitem_id 0
		.amdhsa_next_free_vgpr 1
		.amdhsa_next_free_sgpr 1
		.amdhsa_reserve_vcc 0
		.amdhsa_float_round_mode_32 0
		.amdhsa_float_round_mode_16_64 0
		.amdhsa_float_denorm_mode_32 3
		.amdhsa_float_denorm_mode_16_64 3
		.amdhsa_fp16_overflow 0
		.amdhsa_workgroup_processor_mode 1
		.amdhsa_memory_ordered 1
		.amdhsa_forward_progress 1
		.amdhsa_inst_pref_size 0
		.amdhsa_round_robin_scheduling 0
		.amdhsa_exception_fp_ieee_invalid_op 0
		.amdhsa_exception_fp_denorm_src 0
		.amdhsa_exception_fp_ieee_div_zero 0
		.amdhsa_exception_fp_ieee_overflow 0
		.amdhsa_exception_fp_ieee_underflow 0
		.amdhsa_exception_fp_ieee_inexact 0
		.amdhsa_exception_int_div_zero 0
	.end_amdhsa_kernel
	.section	.text._ZN7rocprim17ROCPRIM_400000_NS6detail17trampoline_kernelINS0_14default_configENS1_25partition_config_selectorILNS1_17partition_subalgoE6EjNS0_10empty_typeEbEEZZNS1_14partition_implILS5_6ELb0ES3_mN6thrust23THRUST_200600_302600_NS6detail15normal_iteratorINSA_10device_ptrIjEEEEPS6_SG_NS0_5tupleIJSF_S6_EEENSH_IJSG_SG_EEES6_PlJNSB_9not_fun_tI7is_evenIjEEEEEE10hipError_tPvRmT3_T4_T5_T6_T7_T9_mT8_P12ihipStream_tbDpT10_ENKUlT_T0_E_clISt17integral_constantIbLb0EES18_EEDaS13_S14_EUlS13_E_NS1_11comp_targetILNS1_3genE9ELNS1_11target_archE1100ELNS1_3gpuE3ELNS1_3repE0EEENS1_30default_config_static_selectorELNS0_4arch9wavefront6targetE0EEEvT1_,"axG",@progbits,_ZN7rocprim17ROCPRIM_400000_NS6detail17trampoline_kernelINS0_14default_configENS1_25partition_config_selectorILNS1_17partition_subalgoE6EjNS0_10empty_typeEbEEZZNS1_14partition_implILS5_6ELb0ES3_mN6thrust23THRUST_200600_302600_NS6detail15normal_iteratorINSA_10device_ptrIjEEEEPS6_SG_NS0_5tupleIJSF_S6_EEENSH_IJSG_SG_EEES6_PlJNSB_9not_fun_tI7is_evenIjEEEEEE10hipError_tPvRmT3_T4_T5_T6_T7_T9_mT8_P12ihipStream_tbDpT10_ENKUlT_T0_E_clISt17integral_constantIbLb0EES18_EEDaS13_S14_EUlS13_E_NS1_11comp_targetILNS1_3genE9ELNS1_11target_archE1100ELNS1_3gpuE3ELNS1_3repE0EEENS1_30default_config_static_selectorELNS0_4arch9wavefront6targetE0EEEvT1_,comdat
.Lfunc_end635:
	.size	_ZN7rocprim17ROCPRIM_400000_NS6detail17trampoline_kernelINS0_14default_configENS1_25partition_config_selectorILNS1_17partition_subalgoE6EjNS0_10empty_typeEbEEZZNS1_14partition_implILS5_6ELb0ES3_mN6thrust23THRUST_200600_302600_NS6detail15normal_iteratorINSA_10device_ptrIjEEEEPS6_SG_NS0_5tupleIJSF_S6_EEENSH_IJSG_SG_EEES6_PlJNSB_9not_fun_tI7is_evenIjEEEEEE10hipError_tPvRmT3_T4_T5_T6_T7_T9_mT8_P12ihipStream_tbDpT10_ENKUlT_T0_E_clISt17integral_constantIbLb0EES18_EEDaS13_S14_EUlS13_E_NS1_11comp_targetILNS1_3genE9ELNS1_11target_archE1100ELNS1_3gpuE3ELNS1_3repE0EEENS1_30default_config_static_selectorELNS0_4arch9wavefront6targetE0EEEvT1_, .Lfunc_end635-_ZN7rocprim17ROCPRIM_400000_NS6detail17trampoline_kernelINS0_14default_configENS1_25partition_config_selectorILNS1_17partition_subalgoE6EjNS0_10empty_typeEbEEZZNS1_14partition_implILS5_6ELb0ES3_mN6thrust23THRUST_200600_302600_NS6detail15normal_iteratorINSA_10device_ptrIjEEEEPS6_SG_NS0_5tupleIJSF_S6_EEENSH_IJSG_SG_EEES6_PlJNSB_9not_fun_tI7is_evenIjEEEEEE10hipError_tPvRmT3_T4_T5_T6_T7_T9_mT8_P12ihipStream_tbDpT10_ENKUlT_T0_E_clISt17integral_constantIbLb0EES18_EEDaS13_S14_EUlS13_E_NS1_11comp_targetILNS1_3genE9ELNS1_11target_archE1100ELNS1_3gpuE3ELNS1_3repE0EEENS1_30default_config_static_selectorELNS0_4arch9wavefront6targetE0EEEvT1_
                                        ; -- End function
	.set _ZN7rocprim17ROCPRIM_400000_NS6detail17trampoline_kernelINS0_14default_configENS1_25partition_config_selectorILNS1_17partition_subalgoE6EjNS0_10empty_typeEbEEZZNS1_14partition_implILS5_6ELb0ES3_mN6thrust23THRUST_200600_302600_NS6detail15normal_iteratorINSA_10device_ptrIjEEEEPS6_SG_NS0_5tupleIJSF_S6_EEENSH_IJSG_SG_EEES6_PlJNSB_9not_fun_tI7is_evenIjEEEEEE10hipError_tPvRmT3_T4_T5_T6_T7_T9_mT8_P12ihipStream_tbDpT10_ENKUlT_T0_E_clISt17integral_constantIbLb0EES18_EEDaS13_S14_EUlS13_E_NS1_11comp_targetILNS1_3genE9ELNS1_11target_archE1100ELNS1_3gpuE3ELNS1_3repE0EEENS1_30default_config_static_selectorELNS0_4arch9wavefront6targetE0EEEvT1_.num_vgpr, 0
	.set _ZN7rocprim17ROCPRIM_400000_NS6detail17trampoline_kernelINS0_14default_configENS1_25partition_config_selectorILNS1_17partition_subalgoE6EjNS0_10empty_typeEbEEZZNS1_14partition_implILS5_6ELb0ES3_mN6thrust23THRUST_200600_302600_NS6detail15normal_iteratorINSA_10device_ptrIjEEEEPS6_SG_NS0_5tupleIJSF_S6_EEENSH_IJSG_SG_EEES6_PlJNSB_9not_fun_tI7is_evenIjEEEEEE10hipError_tPvRmT3_T4_T5_T6_T7_T9_mT8_P12ihipStream_tbDpT10_ENKUlT_T0_E_clISt17integral_constantIbLb0EES18_EEDaS13_S14_EUlS13_E_NS1_11comp_targetILNS1_3genE9ELNS1_11target_archE1100ELNS1_3gpuE3ELNS1_3repE0EEENS1_30default_config_static_selectorELNS0_4arch9wavefront6targetE0EEEvT1_.num_agpr, 0
	.set _ZN7rocprim17ROCPRIM_400000_NS6detail17trampoline_kernelINS0_14default_configENS1_25partition_config_selectorILNS1_17partition_subalgoE6EjNS0_10empty_typeEbEEZZNS1_14partition_implILS5_6ELb0ES3_mN6thrust23THRUST_200600_302600_NS6detail15normal_iteratorINSA_10device_ptrIjEEEEPS6_SG_NS0_5tupleIJSF_S6_EEENSH_IJSG_SG_EEES6_PlJNSB_9not_fun_tI7is_evenIjEEEEEE10hipError_tPvRmT3_T4_T5_T6_T7_T9_mT8_P12ihipStream_tbDpT10_ENKUlT_T0_E_clISt17integral_constantIbLb0EES18_EEDaS13_S14_EUlS13_E_NS1_11comp_targetILNS1_3genE9ELNS1_11target_archE1100ELNS1_3gpuE3ELNS1_3repE0EEENS1_30default_config_static_selectorELNS0_4arch9wavefront6targetE0EEEvT1_.numbered_sgpr, 0
	.set _ZN7rocprim17ROCPRIM_400000_NS6detail17trampoline_kernelINS0_14default_configENS1_25partition_config_selectorILNS1_17partition_subalgoE6EjNS0_10empty_typeEbEEZZNS1_14partition_implILS5_6ELb0ES3_mN6thrust23THRUST_200600_302600_NS6detail15normal_iteratorINSA_10device_ptrIjEEEEPS6_SG_NS0_5tupleIJSF_S6_EEENSH_IJSG_SG_EEES6_PlJNSB_9not_fun_tI7is_evenIjEEEEEE10hipError_tPvRmT3_T4_T5_T6_T7_T9_mT8_P12ihipStream_tbDpT10_ENKUlT_T0_E_clISt17integral_constantIbLb0EES18_EEDaS13_S14_EUlS13_E_NS1_11comp_targetILNS1_3genE9ELNS1_11target_archE1100ELNS1_3gpuE3ELNS1_3repE0EEENS1_30default_config_static_selectorELNS0_4arch9wavefront6targetE0EEEvT1_.num_named_barrier, 0
	.set _ZN7rocprim17ROCPRIM_400000_NS6detail17trampoline_kernelINS0_14default_configENS1_25partition_config_selectorILNS1_17partition_subalgoE6EjNS0_10empty_typeEbEEZZNS1_14partition_implILS5_6ELb0ES3_mN6thrust23THRUST_200600_302600_NS6detail15normal_iteratorINSA_10device_ptrIjEEEEPS6_SG_NS0_5tupleIJSF_S6_EEENSH_IJSG_SG_EEES6_PlJNSB_9not_fun_tI7is_evenIjEEEEEE10hipError_tPvRmT3_T4_T5_T6_T7_T9_mT8_P12ihipStream_tbDpT10_ENKUlT_T0_E_clISt17integral_constantIbLb0EES18_EEDaS13_S14_EUlS13_E_NS1_11comp_targetILNS1_3genE9ELNS1_11target_archE1100ELNS1_3gpuE3ELNS1_3repE0EEENS1_30default_config_static_selectorELNS0_4arch9wavefront6targetE0EEEvT1_.private_seg_size, 0
	.set _ZN7rocprim17ROCPRIM_400000_NS6detail17trampoline_kernelINS0_14default_configENS1_25partition_config_selectorILNS1_17partition_subalgoE6EjNS0_10empty_typeEbEEZZNS1_14partition_implILS5_6ELb0ES3_mN6thrust23THRUST_200600_302600_NS6detail15normal_iteratorINSA_10device_ptrIjEEEEPS6_SG_NS0_5tupleIJSF_S6_EEENSH_IJSG_SG_EEES6_PlJNSB_9not_fun_tI7is_evenIjEEEEEE10hipError_tPvRmT3_T4_T5_T6_T7_T9_mT8_P12ihipStream_tbDpT10_ENKUlT_T0_E_clISt17integral_constantIbLb0EES18_EEDaS13_S14_EUlS13_E_NS1_11comp_targetILNS1_3genE9ELNS1_11target_archE1100ELNS1_3gpuE3ELNS1_3repE0EEENS1_30default_config_static_selectorELNS0_4arch9wavefront6targetE0EEEvT1_.uses_vcc, 0
	.set _ZN7rocprim17ROCPRIM_400000_NS6detail17trampoline_kernelINS0_14default_configENS1_25partition_config_selectorILNS1_17partition_subalgoE6EjNS0_10empty_typeEbEEZZNS1_14partition_implILS5_6ELb0ES3_mN6thrust23THRUST_200600_302600_NS6detail15normal_iteratorINSA_10device_ptrIjEEEEPS6_SG_NS0_5tupleIJSF_S6_EEENSH_IJSG_SG_EEES6_PlJNSB_9not_fun_tI7is_evenIjEEEEEE10hipError_tPvRmT3_T4_T5_T6_T7_T9_mT8_P12ihipStream_tbDpT10_ENKUlT_T0_E_clISt17integral_constantIbLb0EES18_EEDaS13_S14_EUlS13_E_NS1_11comp_targetILNS1_3genE9ELNS1_11target_archE1100ELNS1_3gpuE3ELNS1_3repE0EEENS1_30default_config_static_selectorELNS0_4arch9wavefront6targetE0EEEvT1_.uses_flat_scratch, 0
	.set _ZN7rocprim17ROCPRIM_400000_NS6detail17trampoline_kernelINS0_14default_configENS1_25partition_config_selectorILNS1_17partition_subalgoE6EjNS0_10empty_typeEbEEZZNS1_14partition_implILS5_6ELb0ES3_mN6thrust23THRUST_200600_302600_NS6detail15normal_iteratorINSA_10device_ptrIjEEEEPS6_SG_NS0_5tupleIJSF_S6_EEENSH_IJSG_SG_EEES6_PlJNSB_9not_fun_tI7is_evenIjEEEEEE10hipError_tPvRmT3_T4_T5_T6_T7_T9_mT8_P12ihipStream_tbDpT10_ENKUlT_T0_E_clISt17integral_constantIbLb0EES18_EEDaS13_S14_EUlS13_E_NS1_11comp_targetILNS1_3genE9ELNS1_11target_archE1100ELNS1_3gpuE3ELNS1_3repE0EEENS1_30default_config_static_selectorELNS0_4arch9wavefront6targetE0EEEvT1_.has_dyn_sized_stack, 0
	.set _ZN7rocprim17ROCPRIM_400000_NS6detail17trampoline_kernelINS0_14default_configENS1_25partition_config_selectorILNS1_17partition_subalgoE6EjNS0_10empty_typeEbEEZZNS1_14partition_implILS5_6ELb0ES3_mN6thrust23THRUST_200600_302600_NS6detail15normal_iteratorINSA_10device_ptrIjEEEEPS6_SG_NS0_5tupleIJSF_S6_EEENSH_IJSG_SG_EEES6_PlJNSB_9not_fun_tI7is_evenIjEEEEEE10hipError_tPvRmT3_T4_T5_T6_T7_T9_mT8_P12ihipStream_tbDpT10_ENKUlT_T0_E_clISt17integral_constantIbLb0EES18_EEDaS13_S14_EUlS13_E_NS1_11comp_targetILNS1_3genE9ELNS1_11target_archE1100ELNS1_3gpuE3ELNS1_3repE0EEENS1_30default_config_static_selectorELNS0_4arch9wavefront6targetE0EEEvT1_.has_recursion, 0
	.set _ZN7rocprim17ROCPRIM_400000_NS6detail17trampoline_kernelINS0_14default_configENS1_25partition_config_selectorILNS1_17partition_subalgoE6EjNS0_10empty_typeEbEEZZNS1_14partition_implILS5_6ELb0ES3_mN6thrust23THRUST_200600_302600_NS6detail15normal_iteratorINSA_10device_ptrIjEEEEPS6_SG_NS0_5tupleIJSF_S6_EEENSH_IJSG_SG_EEES6_PlJNSB_9not_fun_tI7is_evenIjEEEEEE10hipError_tPvRmT3_T4_T5_T6_T7_T9_mT8_P12ihipStream_tbDpT10_ENKUlT_T0_E_clISt17integral_constantIbLb0EES18_EEDaS13_S14_EUlS13_E_NS1_11comp_targetILNS1_3genE9ELNS1_11target_archE1100ELNS1_3gpuE3ELNS1_3repE0EEENS1_30default_config_static_selectorELNS0_4arch9wavefront6targetE0EEEvT1_.has_indirect_call, 0
	.section	.AMDGPU.csdata,"",@progbits
; Kernel info:
; codeLenInByte = 0
; TotalNumSgprs: 0
; NumVgprs: 0
; ScratchSize: 0
; MemoryBound: 0
; FloatMode: 240
; IeeeMode: 1
; LDSByteSize: 0 bytes/workgroup (compile time only)
; SGPRBlocks: 0
; VGPRBlocks: 0
; NumSGPRsForWavesPerEU: 1
; NumVGPRsForWavesPerEU: 1
; Occupancy: 16
; WaveLimiterHint : 0
; COMPUTE_PGM_RSRC2:SCRATCH_EN: 0
; COMPUTE_PGM_RSRC2:USER_SGPR: 2
; COMPUTE_PGM_RSRC2:TRAP_HANDLER: 0
; COMPUTE_PGM_RSRC2:TGID_X_EN: 1
; COMPUTE_PGM_RSRC2:TGID_Y_EN: 0
; COMPUTE_PGM_RSRC2:TGID_Z_EN: 0
; COMPUTE_PGM_RSRC2:TIDIG_COMP_CNT: 0
	.section	.text._ZN7rocprim17ROCPRIM_400000_NS6detail17trampoline_kernelINS0_14default_configENS1_25partition_config_selectorILNS1_17partition_subalgoE6EjNS0_10empty_typeEbEEZZNS1_14partition_implILS5_6ELb0ES3_mN6thrust23THRUST_200600_302600_NS6detail15normal_iteratorINSA_10device_ptrIjEEEEPS6_SG_NS0_5tupleIJSF_S6_EEENSH_IJSG_SG_EEES6_PlJNSB_9not_fun_tI7is_evenIjEEEEEE10hipError_tPvRmT3_T4_T5_T6_T7_T9_mT8_P12ihipStream_tbDpT10_ENKUlT_T0_E_clISt17integral_constantIbLb0EES18_EEDaS13_S14_EUlS13_E_NS1_11comp_targetILNS1_3genE8ELNS1_11target_archE1030ELNS1_3gpuE2ELNS1_3repE0EEENS1_30default_config_static_selectorELNS0_4arch9wavefront6targetE0EEEvT1_,"axG",@progbits,_ZN7rocprim17ROCPRIM_400000_NS6detail17trampoline_kernelINS0_14default_configENS1_25partition_config_selectorILNS1_17partition_subalgoE6EjNS0_10empty_typeEbEEZZNS1_14partition_implILS5_6ELb0ES3_mN6thrust23THRUST_200600_302600_NS6detail15normal_iteratorINSA_10device_ptrIjEEEEPS6_SG_NS0_5tupleIJSF_S6_EEENSH_IJSG_SG_EEES6_PlJNSB_9not_fun_tI7is_evenIjEEEEEE10hipError_tPvRmT3_T4_T5_T6_T7_T9_mT8_P12ihipStream_tbDpT10_ENKUlT_T0_E_clISt17integral_constantIbLb0EES18_EEDaS13_S14_EUlS13_E_NS1_11comp_targetILNS1_3genE8ELNS1_11target_archE1030ELNS1_3gpuE2ELNS1_3repE0EEENS1_30default_config_static_selectorELNS0_4arch9wavefront6targetE0EEEvT1_,comdat
	.protected	_ZN7rocprim17ROCPRIM_400000_NS6detail17trampoline_kernelINS0_14default_configENS1_25partition_config_selectorILNS1_17partition_subalgoE6EjNS0_10empty_typeEbEEZZNS1_14partition_implILS5_6ELb0ES3_mN6thrust23THRUST_200600_302600_NS6detail15normal_iteratorINSA_10device_ptrIjEEEEPS6_SG_NS0_5tupleIJSF_S6_EEENSH_IJSG_SG_EEES6_PlJNSB_9not_fun_tI7is_evenIjEEEEEE10hipError_tPvRmT3_T4_T5_T6_T7_T9_mT8_P12ihipStream_tbDpT10_ENKUlT_T0_E_clISt17integral_constantIbLb0EES18_EEDaS13_S14_EUlS13_E_NS1_11comp_targetILNS1_3genE8ELNS1_11target_archE1030ELNS1_3gpuE2ELNS1_3repE0EEENS1_30default_config_static_selectorELNS0_4arch9wavefront6targetE0EEEvT1_ ; -- Begin function _ZN7rocprim17ROCPRIM_400000_NS6detail17trampoline_kernelINS0_14default_configENS1_25partition_config_selectorILNS1_17partition_subalgoE6EjNS0_10empty_typeEbEEZZNS1_14partition_implILS5_6ELb0ES3_mN6thrust23THRUST_200600_302600_NS6detail15normal_iteratorINSA_10device_ptrIjEEEEPS6_SG_NS0_5tupleIJSF_S6_EEENSH_IJSG_SG_EEES6_PlJNSB_9not_fun_tI7is_evenIjEEEEEE10hipError_tPvRmT3_T4_T5_T6_T7_T9_mT8_P12ihipStream_tbDpT10_ENKUlT_T0_E_clISt17integral_constantIbLb0EES18_EEDaS13_S14_EUlS13_E_NS1_11comp_targetILNS1_3genE8ELNS1_11target_archE1030ELNS1_3gpuE2ELNS1_3repE0EEENS1_30default_config_static_selectorELNS0_4arch9wavefront6targetE0EEEvT1_
	.globl	_ZN7rocprim17ROCPRIM_400000_NS6detail17trampoline_kernelINS0_14default_configENS1_25partition_config_selectorILNS1_17partition_subalgoE6EjNS0_10empty_typeEbEEZZNS1_14partition_implILS5_6ELb0ES3_mN6thrust23THRUST_200600_302600_NS6detail15normal_iteratorINSA_10device_ptrIjEEEEPS6_SG_NS0_5tupleIJSF_S6_EEENSH_IJSG_SG_EEES6_PlJNSB_9not_fun_tI7is_evenIjEEEEEE10hipError_tPvRmT3_T4_T5_T6_T7_T9_mT8_P12ihipStream_tbDpT10_ENKUlT_T0_E_clISt17integral_constantIbLb0EES18_EEDaS13_S14_EUlS13_E_NS1_11comp_targetILNS1_3genE8ELNS1_11target_archE1030ELNS1_3gpuE2ELNS1_3repE0EEENS1_30default_config_static_selectorELNS0_4arch9wavefront6targetE0EEEvT1_
	.p2align	8
	.type	_ZN7rocprim17ROCPRIM_400000_NS6detail17trampoline_kernelINS0_14default_configENS1_25partition_config_selectorILNS1_17partition_subalgoE6EjNS0_10empty_typeEbEEZZNS1_14partition_implILS5_6ELb0ES3_mN6thrust23THRUST_200600_302600_NS6detail15normal_iteratorINSA_10device_ptrIjEEEEPS6_SG_NS0_5tupleIJSF_S6_EEENSH_IJSG_SG_EEES6_PlJNSB_9not_fun_tI7is_evenIjEEEEEE10hipError_tPvRmT3_T4_T5_T6_T7_T9_mT8_P12ihipStream_tbDpT10_ENKUlT_T0_E_clISt17integral_constantIbLb0EES18_EEDaS13_S14_EUlS13_E_NS1_11comp_targetILNS1_3genE8ELNS1_11target_archE1030ELNS1_3gpuE2ELNS1_3repE0EEENS1_30default_config_static_selectorELNS0_4arch9wavefront6targetE0EEEvT1_,@function
_ZN7rocprim17ROCPRIM_400000_NS6detail17trampoline_kernelINS0_14default_configENS1_25partition_config_selectorILNS1_17partition_subalgoE6EjNS0_10empty_typeEbEEZZNS1_14partition_implILS5_6ELb0ES3_mN6thrust23THRUST_200600_302600_NS6detail15normal_iteratorINSA_10device_ptrIjEEEEPS6_SG_NS0_5tupleIJSF_S6_EEENSH_IJSG_SG_EEES6_PlJNSB_9not_fun_tI7is_evenIjEEEEEE10hipError_tPvRmT3_T4_T5_T6_T7_T9_mT8_P12ihipStream_tbDpT10_ENKUlT_T0_E_clISt17integral_constantIbLb0EES18_EEDaS13_S14_EUlS13_E_NS1_11comp_targetILNS1_3genE8ELNS1_11target_archE1030ELNS1_3gpuE2ELNS1_3repE0EEENS1_30default_config_static_selectorELNS0_4arch9wavefront6targetE0EEEvT1_: ; @_ZN7rocprim17ROCPRIM_400000_NS6detail17trampoline_kernelINS0_14default_configENS1_25partition_config_selectorILNS1_17partition_subalgoE6EjNS0_10empty_typeEbEEZZNS1_14partition_implILS5_6ELb0ES3_mN6thrust23THRUST_200600_302600_NS6detail15normal_iteratorINSA_10device_ptrIjEEEEPS6_SG_NS0_5tupleIJSF_S6_EEENSH_IJSG_SG_EEES6_PlJNSB_9not_fun_tI7is_evenIjEEEEEE10hipError_tPvRmT3_T4_T5_T6_T7_T9_mT8_P12ihipStream_tbDpT10_ENKUlT_T0_E_clISt17integral_constantIbLb0EES18_EEDaS13_S14_EUlS13_E_NS1_11comp_targetILNS1_3genE8ELNS1_11target_archE1030ELNS1_3gpuE2ELNS1_3repE0EEENS1_30default_config_static_selectorELNS0_4arch9wavefront6targetE0EEEvT1_
; %bb.0:
	.section	.rodata,"a",@progbits
	.p2align	6, 0x0
	.amdhsa_kernel _ZN7rocprim17ROCPRIM_400000_NS6detail17trampoline_kernelINS0_14default_configENS1_25partition_config_selectorILNS1_17partition_subalgoE6EjNS0_10empty_typeEbEEZZNS1_14partition_implILS5_6ELb0ES3_mN6thrust23THRUST_200600_302600_NS6detail15normal_iteratorINSA_10device_ptrIjEEEEPS6_SG_NS0_5tupleIJSF_S6_EEENSH_IJSG_SG_EEES6_PlJNSB_9not_fun_tI7is_evenIjEEEEEE10hipError_tPvRmT3_T4_T5_T6_T7_T9_mT8_P12ihipStream_tbDpT10_ENKUlT_T0_E_clISt17integral_constantIbLb0EES18_EEDaS13_S14_EUlS13_E_NS1_11comp_targetILNS1_3genE8ELNS1_11target_archE1030ELNS1_3gpuE2ELNS1_3repE0EEENS1_30default_config_static_selectorELNS0_4arch9wavefront6targetE0EEEvT1_
		.amdhsa_group_segment_fixed_size 0
		.amdhsa_private_segment_fixed_size 0
		.amdhsa_kernarg_size 112
		.amdhsa_user_sgpr_count 2
		.amdhsa_user_sgpr_dispatch_ptr 0
		.amdhsa_user_sgpr_queue_ptr 0
		.amdhsa_user_sgpr_kernarg_segment_ptr 1
		.amdhsa_user_sgpr_dispatch_id 0
		.amdhsa_user_sgpr_private_segment_size 0
		.amdhsa_wavefront_size32 1
		.amdhsa_uses_dynamic_stack 0
		.amdhsa_enable_private_segment 0
		.amdhsa_system_sgpr_workgroup_id_x 1
		.amdhsa_system_sgpr_workgroup_id_y 0
		.amdhsa_system_sgpr_workgroup_id_z 0
		.amdhsa_system_sgpr_workgroup_info 0
		.amdhsa_system_vgpr_workitem_id 0
		.amdhsa_next_free_vgpr 1
		.amdhsa_next_free_sgpr 1
		.amdhsa_reserve_vcc 0
		.amdhsa_float_round_mode_32 0
		.amdhsa_float_round_mode_16_64 0
		.amdhsa_float_denorm_mode_32 3
		.amdhsa_float_denorm_mode_16_64 3
		.amdhsa_fp16_overflow 0
		.amdhsa_workgroup_processor_mode 1
		.amdhsa_memory_ordered 1
		.amdhsa_forward_progress 1
		.amdhsa_inst_pref_size 0
		.amdhsa_round_robin_scheduling 0
		.amdhsa_exception_fp_ieee_invalid_op 0
		.amdhsa_exception_fp_denorm_src 0
		.amdhsa_exception_fp_ieee_div_zero 0
		.amdhsa_exception_fp_ieee_overflow 0
		.amdhsa_exception_fp_ieee_underflow 0
		.amdhsa_exception_fp_ieee_inexact 0
		.amdhsa_exception_int_div_zero 0
	.end_amdhsa_kernel
	.section	.text._ZN7rocprim17ROCPRIM_400000_NS6detail17trampoline_kernelINS0_14default_configENS1_25partition_config_selectorILNS1_17partition_subalgoE6EjNS0_10empty_typeEbEEZZNS1_14partition_implILS5_6ELb0ES3_mN6thrust23THRUST_200600_302600_NS6detail15normal_iteratorINSA_10device_ptrIjEEEEPS6_SG_NS0_5tupleIJSF_S6_EEENSH_IJSG_SG_EEES6_PlJNSB_9not_fun_tI7is_evenIjEEEEEE10hipError_tPvRmT3_T4_T5_T6_T7_T9_mT8_P12ihipStream_tbDpT10_ENKUlT_T0_E_clISt17integral_constantIbLb0EES18_EEDaS13_S14_EUlS13_E_NS1_11comp_targetILNS1_3genE8ELNS1_11target_archE1030ELNS1_3gpuE2ELNS1_3repE0EEENS1_30default_config_static_selectorELNS0_4arch9wavefront6targetE0EEEvT1_,"axG",@progbits,_ZN7rocprim17ROCPRIM_400000_NS6detail17trampoline_kernelINS0_14default_configENS1_25partition_config_selectorILNS1_17partition_subalgoE6EjNS0_10empty_typeEbEEZZNS1_14partition_implILS5_6ELb0ES3_mN6thrust23THRUST_200600_302600_NS6detail15normal_iteratorINSA_10device_ptrIjEEEEPS6_SG_NS0_5tupleIJSF_S6_EEENSH_IJSG_SG_EEES6_PlJNSB_9not_fun_tI7is_evenIjEEEEEE10hipError_tPvRmT3_T4_T5_T6_T7_T9_mT8_P12ihipStream_tbDpT10_ENKUlT_T0_E_clISt17integral_constantIbLb0EES18_EEDaS13_S14_EUlS13_E_NS1_11comp_targetILNS1_3genE8ELNS1_11target_archE1030ELNS1_3gpuE2ELNS1_3repE0EEENS1_30default_config_static_selectorELNS0_4arch9wavefront6targetE0EEEvT1_,comdat
.Lfunc_end636:
	.size	_ZN7rocprim17ROCPRIM_400000_NS6detail17trampoline_kernelINS0_14default_configENS1_25partition_config_selectorILNS1_17partition_subalgoE6EjNS0_10empty_typeEbEEZZNS1_14partition_implILS5_6ELb0ES3_mN6thrust23THRUST_200600_302600_NS6detail15normal_iteratorINSA_10device_ptrIjEEEEPS6_SG_NS0_5tupleIJSF_S6_EEENSH_IJSG_SG_EEES6_PlJNSB_9not_fun_tI7is_evenIjEEEEEE10hipError_tPvRmT3_T4_T5_T6_T7_T9_mT8_P12ihipStream_tbDpT10_ENKUlT_T0_E_clISt17integral_constantIbLb0EES18_EEDaS13_S14_EUlS13_E_NS1_11comp_targetILNS1_3genE8ELNS1_11target_archE1030ELNS1_3gpuE2ELNS1_3repE0EEENS1_30default_config_static_selectorELNS0_4arch9wavefront6targetE0EEEvT1_, .Lfunc_end636-_ZN7rocprim17ROCPRIM_400000_NS6detail17trampoline_kernelINS0_14default_configENS1_25partition_config_selectorILNS1_17partition_subalgoE6EjNS0_10empty_typeEbEEZZNS1_14partition_implILS5_6ELb0ES3_mN6thrust23THRUST_200600_302600_NS6detail15normal_iteratorINSA_10device_ptrIjEEEEPS6_SG_NS0_5tupleIJSF_S6_EEENSH_IJSG_SG_EEES6_PlJNSB_9not_fun_tI7is_evenIjEEEEEE10hipError_tPvRmT3_T4_T5_T6_T7_T9_mT8_P12ihipStream_tbDpT10_ENKUlT_T0_E_clISt17integral_constantIbLb0EES18_EEDaS13_S14_EUlS13_E_NS1_11comp_targetILNS1_3genE8ELNS1_11target_archE1030ELNS1_3gpuE2ELNS1_3repE0EEENS1_30default_config_static_selectorELNS0_4arch9wavefront6targetE0EEEvT1_
                                        ; -- End function
	.set _ZN7rocprim17ROCPRIM_400000_NS6detail17trampoline_kernelINS0_14default_configENS1_25partition_config_selectorILNS1_17partition_subalgoE6EjNS0_10empty_typeEbEEZZNS1_14partition_implILS5_6ELb0ES3_mN6thrust23THRUST_200600_302600_NS6detail15normal_iteratorINSA_10device_ptrIjEEEEPS6_SG_NS0_5tupleIJSF_S6_EEENSH_IJSG_SG_EEES6_PlJNSB_9not_fun_tI7is_evenIjEEEEEE10hipError_tPvRmT3_T4_T5_T6_T7_T9_mT8_P12ihipStream_tbDpT10_ENKUlT_T0_E_clISt17integral_constantIbLb0EES18_EEDaS13_S14_EUlS13_E_NS1_11comp_targetILNS1_3genE8ELNS1_11target_archE1030ELNS1_3gpuE2ELNS1_3repE0EEENS1_30default_config_static_selectorELNS0_4arch9wavefront6targetE0EEEvT1_.num_vgpr, 0
	.set _ZN7rocprim17ROCPRIM_400000_NS6detail17trampoline_kernelINS0_14default_configENS1_25partition_config_selectorILNS1_17partition_subalgoE6EjNS0_10empty_typeEbEEZZNS1_14partition_implILS5_6ELb0ES3_mN6thrust23THRUST_200600_302600_NS6detail15normal_iteratorINSA_10device_ptrIjEEEEPS6_SG_NS0_5tupleIJSF_S6_EEENSH_IJSG_SG_EEES6_PlJNSB_9not_fun_tI7is_evenIjEEEEEE10hipError_tPvRmT3_T4_T5_T6_T7_T9_mT8_P12ihipStream_tbDpT10_ENKUlT_T0_E_clISt17integral_constantIbLb0EES18_EEDaS13_S14_EUlS13_E_NS1_11comp_targetILNS1_3genE8ELNS1_11target_archE1030ELNS1_3gpuE2ELNS1_3repE0EEENS1_30default_config_static_selectorELNS0_4arch9wavefront6targetE0EEEvT1_.num_agpr, 0
	.set _ZN7rocprim17ROCPRIM_400000_NS6detail17trampoline_kernelINS0_14default_configENS1_25partition_config_selectorILNS1_17partition_subalgoE6EjNS0_10empty_typeEbEEZZNS1_14partition_implILS5_6ELb0ES3_mN6thrust23THRUST_200600_302600_NS6detail15normal_iteratorINSA_10device_ptrIjEEEEPS6_SG_NS0_5tupleIJSF_S6_EEENSH_IJSG_SG_EEES6_PlJNSB_9not_fun_tI7is_evenIjEEEEEE10hipError_tPvRmT3_T4_T5_T6_T7_T9_mT8_P12ihipStream_tbDpT10_ENKUlT_T0_E_clISt17integral_constantIbLb0EES18_EEDaS13_S14_EUlS13_E_NS1_11comp_targetILNS1_3genE8ELNS1_11target_archE1030ELNS1_3gpuE2ELNS1_3repE0EEENS1_30default_config_static_selectorELNS0_4arch9wavefront6targetE0EEEvT1_.numbered_sgpr, 0
	.set _ZN7rocprim17ROCPRIM_400000_NS6detail17trampoline_kernelINS0_14default_configENS1_25partition_config_selectorILNS1_17partition_subalgoE6EjNS0_10empty_typeEbEEZZNS1_14partition_implILS5_6ELb0ES3_mN6thrust23THRUST_200600_302600_NS6detail15normal_iteratorINSA_10device_ptrIjEEEEPS6_SG_NS0_5tupleIJSF_S6_EEENSH_IJSG_SG_EEES6_PlJNSB_9not_fun_tI7is_evenIjEEEEEE10hipError_tPvRmT3_T4_T5_T6_T7_T9_mT8_P12ihipStream_tbDpT10_ENKUlT_T0_E_clISt17integral_constantIbLb0EES18_EEDaS13_S14_EUlS13_E_NS1_11comp_targetILNS1_3genE8ELNS1_11target_archE1030ELNS1_3gpuE2ELNS1_3repE0EEENS1_30default_config_static_selectorELNS0_4arch9wavefront6targetE0EEEvT1_.num_named_barrier, 0
	.set _ZN7rocprim17ROCPRIM_400000_NS6detail17trampoline_kernelINS0_14default_configENS1_25partition_config_selectorILNS1_17partition_subalgoE6EjNS0_10empty_typeEbEEZZNS1_14partition_implILS5_6ELb0ES3_mN6thrust23THRUST_200600_302600_NS6detail15normal_iteratorINSA_10device_ptrIjEEEEPS6_SG_NS0_5tupleIJSF_S6_EEENSH_IJSG_SG_EEES6_PlJNSB_9not_fun_tI7is_evenIjEEEEEE10hipError_tPvRmT3_T4_T5_T6_T7_T9_mT8_P12ihipStream_tbDpT10_ENKUlT_T0_E_clISt17integral_constantIbLb0EES18_EEDaS13_S14_EUlS13_E_NS1_11comp_targetILNS1_3genE8ELNS1_11target_archE1030ELNS1_3gpuE2ELNS1_3repE0EEENS1_30default_config_static_selectorELNS0_4arch9wavefront6targetE0EEEvT1_.private_seg_size, 0
	.set _ZN7rocprim17ROCPRIM_400000_NS6detail17trampoline_kernelINS0_14default_configENS1_25partition_config_selectorILNS1_17partition_subalgoE6EjNS0_10empty_typeEbEEZZNS1_14partition_implILS5_6ELb0ES3_mN6thrust23THRUST_200600_302600_NS6detail15normal_iteratorINSA_10device_ptrIjEEEEPS6_SG_NS0_5tupleIJSF_S6_EEENSH_IJSG_SG_EEES6_PlJNSB_9not_fun_tI7is_evenIjEEEEEE10hipError_tPvRmT3_T4_T5_T6_T7_T9_mT8_P12ihipStream_tbDpT10_ENKUlT_T0_E_clISt17integral_constantIbLb0EES18_EEDaS13_S14_EUlS13_E_NS1_11comp_targetILNS1_3genE8ELNS1_11target_archE1030ELNS1_3gpuE2ELNS1_3repE0EEENS1_30default_config_static_selectorELNS0_4arch9wavefront6targetE0EEEvT1_.uses_vcc, 0
	.set _ZN7rocprim17ROCPRIM_400000_NS6detail17trampoline_kernelINS0_14default_configENS1_25partition_config_selectorILNS1_17partition_subalgoE6EjNS0_10empty_typeEbEEZZNS1_14partition_implILS5_6ELb0ES3_mN6thrust23THRUST_200600_302600_NS6detail15normal_iteratorINSA_10device_ptrIjEEEEPS6_SG_NS0_5tupleIJSF_S6_EEENSH_IJSG_SG_EEES6_PlJNSB_9not_fun_tI7is_evenIjEEEEEE10hipError_tPvRmT3_T4_T5_T6_T7_T9_mT8_P12ihipStream_tbDpT10_ENKUlT_T0_E_clISt17integral_constantIbLb0EES18_EEDaS13_S14_EUlS13_E_NS1_11comp_targetILNS1_3genE8ELNS1_11target_archE1030ELNS1_3gpuE2ELNS1_3repE0EEENS1_30default_config_static_selectorELNS0_4arch9wavefront6targetE0EEEvT1_.uses_flat_scratch, 0
	.set _ZN7rocprim17ROCPRIM_400000_NS6detail17trampoline_kernelINS0_14default_configENS1_25partition_config_selectorILNS1_17partition_subalgoE6EjNS0_10empty_typeEbEEZZNS1_14partition_implILS5_6ELb0ES3_mN6thrust23THRUST_200600_302600_NS6detail15normal_iteratorINSA_10device_ptrIjEEEEPS6_SG_NS0_5tupleIJSF_S6_EEENSH_IJSG_SG_EEES6_PlJNSB_9not_fun_tI7is_evenIjEEEEEE10hipError_tPvRmT3_T4_T5_T6_T7_T9_mT8_P12ihipStream_tbDpT10_ENKUlT_T0_E_clISt17integral_constantIbLb0EES18_EEDaS13_S14_EUlS13_E_NS1_11comp_targetILNS1_3genE8ELNS1_11target_archE1030ELNS1_3gpuE2ELNS1_3repE0EEENS1_30default_config_static_selectorELNS0_4arch9wavefront6targetE0EEEvT1_.has_dyn_sized_stack, 0
	.set _ZN7rocprim17ROCPRIM_400000_NS6detail17trampoline_kernelINS0_14default_configENS1_25partition_config_selectorILNS1_17partition_subalgoE6EjNS0_10empty_typeEbEEZZNS1_14partition_implILS5_6ELb0ES3_mN6thrust23THRUST_200600_302600_NS6detail15normal_iteratorINSA_10device_ptrIjEEEEPS6_SG_NS0_5tupleIJSF_S6_EEENSH_IJSG_SG_EEES6_PlJNSB_9not_fun_tI7is_evenIjEEEEEE10hipError_tPvRmT3_T4_T5_T6_T7_T9_mT8_P12ihipStream_tbDpT10_ENKUlT_T0_E_clISt17integral_constantIbLb0EES18_EEDaS13_S14_EUlS13_E_NS1_11comp_targetILNS1_3genE8ELNS1_11target_archE1030ELNS1_3gpuE2ELNS1_3repE0EEENS1_30default_config_static_selectorELNS0_4arch9wavefront6targetE0EEEvT1_.has_recursion, 0
	.set _ZN7rocprim17ROCPRIM_400000_NS6detail17trampoline_kernelINS0_14default_configENS1_25partition_config_selectorILNS1_17partition_subalgoE6EjNS0_10empty_typeEbEEZZNS1_14partition_implILS5_6ELb0ES3_mN6thrust23THRUST_200600_302600_NS6detail15normal_iteratorINSA_10device_ptrIjEEEEPS6_SG_NS0_5tupleIJSF_S6_EEENSH_IJSG_SG_EEES6_PlJNSB_9not_fun_tI7is_evenIjEEEEEE10hipError_tPvRmT3_T4_T5_T6_T7_T9_mT8_P12ihipStream_tbDpT10_ENKUlT_T0_E_clISt17integral_constantIbLb0EES18_EEDaS13_S14_EUlS13_E_NS1_11comp_targetILNS1_3genE8ELNS1_11target_archE1030ELNS1_3gpuE2ELNS1_3repE0EEENS1_30default_config_static_selectorELNS0_4arch9wavefront6targetE0EEEvT1_.has_indirect_call, 0
	.section	.AMDGPU.csdata,"",@progbits
; Kernel info:
; codeLenInByte = 0
; TotalNumSgprs: 0
; NumVgprs: 0
; ScratchSize: 0
; MemoryBound: 0
; FloatMode: 240
; IeeeMode: 1
; LDSByteSize: 0 bytes/workgroup (compile time only)
; SGPRBlocks: 0
; VGPRBlocks: 0
; NumSGPRsForWavesPerEU: 1
; NumVGPRsForWavesPerEU: 1
; Occupancy: 16
; WaveLimiterHint : 0
; COMPUTE_PGM_RSRC2:SCRATCH_EN: 0
; COMPUTE_PGM_RSRC2:USER_SGPR: 2
; COMPUTE_PGM_RSRC2:TRAP_HANDLER: 0
; COMPUTE_PGM_RSRC2:TGID_X_EN: 1
; COMPUTE_PGM_RSRC2:TGID_Y_EN: 0
; COMPUTE_PGM_RSRC2:TGID_Z_EN: 0
; COMPUTE_PGM_RSRC2:TIDIG_COMP_CNT: 0
	.section	.text._ZN7rocprim17ROCPRIM_400000_NS6detail17trampoline_kernelINS0_14default_configENS1_25partition_config_selectorILNS1_17partition_subalgoE6EjNS0_10empty_typeEbEEZZNS1_14partition_implILS5_6ELb0ES3_mN6thrust23THRUST_200600_302600_NS6detail15normal_iteratorINSA_10device_ptrIjEEEEPS6_SG_NS0_5tupleIJSF_S6_EEENSH_IJSG_SG_EEES6_PlJNSB_9not_fun_tI7is_evenIjEEEEEE10hipError_tPvRmT3_T4_T5_T6_T7_T9_mT8_P12ihipStream_tbDpT10_ENKUlT_T0_E_clISt17integral_constantIbLb1EES18_EEDaS13_S14_EUlS13_E_NS1_11comp_targetILNS1_3genE0ELNS1_11target_archE4294967295ELNS1_3gpuE0ELNS1_3repE0EEENS1_30default_config_static_selectorELNS0_4arch9wavefront6targetE0EEEvT1_,"axG",@progbits,_ZN7rocprim17ROCPRIM_400000_NS6detail17trampoline_kernelINS0_14default_configENS1_25partition_config_selectorILNS1_17partition_subalgoE6EjNS0_10empty_typeEbEEZZNS1_14partition_implILS5_6ELb0ES3_mN6thrust23THRUST_200600_302600_NS6detail15normal_iteratorINSA_10device_ptrIjEEEEPS6_SG_NS0_5tupleIJSF_S6_EEENSH_IJSG_SG_EEES6_PlJNSB_9not_fun_tI7is_evenIjEEEEEE10hipError_tPvRmT3_T4_T5_T6_T7_T9_mT8_P12ihipStream_tbDpT10_ENKUlT_T0_E_clISt17integral_constantIbLb1EES18_EEDaS13_S14_EUlS13_E_NS1_11comp_targetILNS1_3genE0ELNS1_11target_archE4294967295ELNS1_3gpuE0ELNS1_3repE0EEENS1_30default_config_static_selectorELNS0_4arch9wavefront6targetE0EEEvT1_,comdat
	.protected	_ZN7rocprim17ROCPRIM_400000_NS6detail17trampoline_kernelINS0_14default_configENS1_25partition_config_selectorILNS1_17partition_subalgoE6EjNS0_10empty_typeEbEEZZNS1_14partition_implILS5_6ELb0ES3_mN6thrust23THRUST_200600_302600_NS6detail15normal_iteratorINSA_10device_ptrIjEEEEPS6_SG_NS0_5tupleIJSF_S6_EEENSH_IJSG_SG_EEES6_PlJNSB_9not_fun_tI7is_evenIjEEEEEE10hipError_tPvRmT3_T4_T5_T6_T7_T9_mT8_P12ihipStream_tbDpT10_ENKUlT_T0_E_clISt17integral_constantIbLb1EES18_EEDaS13_S14_EUlS13_E_NS1_11comp_targetILNS1_3genE0ELNS1_11target_archE4294967295ELNS1_3gpuE0ELNS1_3repE0EEENS1_30default_config_static_selectorELNS0_4arch9wavefront6targetE0EEEvT1_ ; -- Begin function _ZN7rocprim17ROCPRIM_400000_NS6detail17trampoline_kernelINS0_14default_configENS1_25partition_config_selectorILNS1_17partition_subalgoE6EjNS0_10empty_typeEbEEZZNS1_14partition_implILS5_6ELb0ES3_mN6thrust23THRUST_200600_302600_NS6detail15normal_iteratorINSA_10device_ptrIjEEEEPS6_SG_NS0_5tupleIJSF_S6_EEENSH_IJSG_SG_EEES6_PlJNSB_9not_fun_tI7is_evenIjEEEEEE10hipError_tPvRmT3_T4_T5_T6_T7_T9_mT8_P12ihipStream_tbDpT10_ENKUlT_T0_E_clISt17integral_constantIbLb1EES18_EEDaS13_S14_EUlS13_E_NS1_11comp_targetILNS1_3genE0ELNS1_11target_archE4294967295ELNS1_3gpuE0ELNS1_3repE0EEENS1_30default_config_static_selectorELNS0_4arch9wavefront6targetE0EEEvT1_
	.globl	_ZN7rocprim17ROCPRIM_400000_NS6detail17trampoline_kernelINS0_14default_configENS1_25partition_config_selectorILNS1_17partition_subalgoE6EjNS0_10empty_typeEbEEZZNS1_14partition_implILS5_6ELb0ES3_mN6thrust23THRUST_200600_302600_NS6detail15normal_iteratorINSA_10device_ptrIjEEEEPS6_SG_NS0_5tupleIJSF_S6_EEENSH_IJSG_SG_EEES6_PlJNSB_9not_fun_tI7is_evenIjEEEEEE10hipError_tPvRmT3_T4_T5_T6_T7_T9_mT8_P12ihipStream_tbDpT10_ENKUlT_T0_E_clISt17integral_constantIbLb1EES18_EEDaS13_S14_EUlS13_E_NS1_11comp_targetILNS1_3genE0ELNS1_11target_archE4294967295ELNS1_3gpuE0ELNS1_3repE0EEENS1_30default_config_static_selectorELNS0_4arch9wavefront6targetE0EEEvT1_
	.p2align	8
	.type	_ZN7rocprim17ROCPRIM_400000_NS6detail17trampoline_kernelINS0_14default_configENS1_25partition_config_selectorILNS1_17partition_subalgoE6EjNS0_10empty_typeEbEEZZNS1_14partition_implILS5_6ELb0ES3_mN6thrust23THRUST_200600_302600_NS6detail15normal_iteratorINSA_10device_ptrIjEEEEPS6_SG_NS0_5tupleIJSF_S6_EEENSH_IJSG_SG_EEES6_PlJNSB_9not_fun_tI7is_evenIjEEEEEE10hipError_tPvRmT3_T4_T5_T6_T7_T9_mT8_P12ihipStream_tbDpT10_ENKUlT_T0_E_clISt17integral_constantIbLb1EES18_EEDaS13_S14_EUlS13_E_NS1_11comp_targetILNS1_3genE0ELNS1_11target_archE4294967295ELNS1_3gpuE0ELNS1_3repE0EEENS1_30default_config_static_selectorELNS0_4arch9wavefront6targetE0EEEvT1_,@function
_ZN7rocprim17ROCPRIM_400000_NS6detail17trampoline_kernelINS0_14default_configENS1_25partition_config_selectorILNS1_17partition_subalgoE6EjNS0_10empty_typeEbEEZZNS1_14partition_implILS5_6ELb0ES3_mN6thrust23THRUST_200600_302600_NS6detail15normal_iteratorINSA_10device_ptrIjEEEEPS6_SG_NS0_5tupleIJSF_S6_EEENSH_IJSG_SG_EEES6_PlJNSB_9not_fun_tI7is_evenIjEEEEEE10hipError_tPvRmT3_T4_T5_T6_T7_T9_mT8_P12ihipStream_tbDpT10_ENKUlT_T0_E_clISt17integral_constantIbLb1EES18_EEDaS13_S14_EUlS13_E_NS1_11comp_targetILNS1_3genE0ELNS1_11target_archE4294967295ELNS1_3gpuE0ELNS1_3repE0EEENS1_30default_config_static_selectorELNS0_4arch9wavefront6targetE0EEEvT1_: ; @_ZN7rocprim17ROCPRIM_400000_NS6detail17trampoline_kernelINS0_14default_configENS1_25partition_config_selectorILNS1_17partition_subalgoE6EjNS0_10empty_typeEbEEZZNS1_14partition_implILS5_6ELb0ES3_mN6thrust23THRUST_200600_302600_NS6detail15normal_iteratorINSA_10device_ptrIjEEEEPS6_SG_NS0_5tupleIJSF_S6_EEENSH_IJSG_SG_EEES6_PlJNSB_9not_fun_tI7is_evenIjEEEEEE10hipError_tPvRmT3_T4_T5_T6_T7_T9_mT8_P12ihipStream_tbDpT10_ENKUlT_T0_E_clISt17integral_constantIbLb1EES18_EEDaS13_S14_EUlS13_E_NS1_11comp_targetILNS1_3genE0ELNS1_11target_archE4294967295ELNS1_3gpuE0ELNS1_3repE0EEENS1_30default_config_static_selectorELNS0_4arch9wavefront6targetE0EEEvT1_
; %bb.0:
	.section	.rodata,"a",@progbits
	.p2align	6, 0x0
	.amdhsa_kernel _ZN7rocprim17ROCPRIM_400000_NS6detail17trampoline_kernelINS0_14default_configENS1_25partition_config_selectorILNS1_17partition_subalgoE6EjNS0_10empty_typeEbEEZZNS1_14partition_implILS5_6ELb0ES3_mN6thrust23THRUST_200600_302600_NS6detail15normal_iteratorINSA_10device_ptrIjEEEEPS6_SG_NS0_5tupleIJSF_S6_EEENSH_IJSG_SG_EEES6_PlJNSB_9not_fun_tI7is_evenIjEEEEEE10hipError_tPvRmT3_T4_T5_T6_T7_T9_mT8_P12ihipStream_tbDpT10_ENKUlT_T0_E_clISt17integral_constantIbLb1EES18_EEDaS13_S14_EUlS13_E_NS1_11comp_targetILNS1_3genE0ELNS1_11target_archE4294967295ELNS1_3gpuE0ELNS1_3repE0EEENS1_30default_config_static_selectorELNS0_4arch9wavefront6targetE0EEEvT1_
		.amdhsa_group_segment_fixed_size 0
		.amdhsa_private_segment_fixed_size 0
		.amdhsa_kernarg_size 128
		.amdhsa_user_sgpr_count 2
		.amdhsa_user_sgpr_dispatch_ptr 0
		.amdhsa_user_sgpr_queue_ptr 0
		.amdhsa_user_sgpr_kernarg_segment_ptr 1
		.amdhsa_user_sgpr_dispatch_id 0
		.amdhsa_user_sgpr_private_segment_size 0
		.amdhsa_wavefront_size32 1
		.amdhsa_uses_dynamic_stack 0
		.amdhsa_enable_private_segment 0
		.amdhsa_system_sgpr_workgroup_id_x 1
		.amdhsa_system_sgpr_workgroup_id_y 0
		.amdhsa_system_sgpr_workgroup_id_z 0
		.amdhsa_system_sgpr_workgroup_info 0
		.amdhsa_system_vgpr_workitem_id 0
		.amdhsa_next_free_vgpr 1
		.amdhsa_next_free_sgpr 1
		.amdhsa_reserve_vcc 0
		.amdhsa_float_round_mode_32 0
		.amdhsa_float_round_mode_16_64 0
		.amdhsa_float_denorm_mode_32 3
		.amdhsa_float_denorm_mode_16_64 3
		.amdhsa_fp16_overflow 0
		.amdhsa_workgroup_processor_mode 1
		.amdhsa_memory_ordered 1
		.amdhsa_forward_progress 1
		.amdhsa_inst_pref_size 0
		.amdhsa_round_robin_scheduling 0
		.amdhsa_exception_fp_ieee_invalid_op 0
		.amdhsa_exception_fp_denorm_src 0
		.amdhsa_exception_fp_ieee_div_zero 0
		.amdhsa_exception_fp_ieee_overflow 0
		.amdhsa_exception_fp_ieee_underflow 0
		.amdhsa_exception_fp_ieee_inexact 0
		.amdhsa_exception_int_div_zero 0
	.end_amdhsa_kernel
	.section	.text._ZN7rocprim17ROCPRIM_400000_NS6detail17trampoline_kernelINS0_14default_configENS1_25partition_config_selectorILNS1_17partition_subalgoE6EjNS0_10empty_typeEbEEZZNS1_14partition_implILS5_6ELb0ES3_mN6thrust23THRUST_200600_302600_NS6detail15normal_iteratorINSA_10device_ptrIjEEEEPS6_SG_NS0_5tupleIJSF_S6_EEENSH_IJSG_SG_EEES6_PlJNSB_9not_fun_tI7is_evenIjEEEEEE10hipError_tPvRmT3_T4_T5_T6_T7_T9_mT8_P12ihipStream_tbDpT10_ENKUlT_T0_E_clISt17integral_constantIbLb1EES18_EEDaS13_S14_EUlS13_E_NS1_11comp_targetILNS1_3genE0ELNS1_11target_archE4294967295ELNS1_3gpuE0ELNS1_3repE0EEENS1_30default_config_static_selectorELNS0_4arch9wavefront6targetE0EEEvT1_,"axG",@progbits,_ZN7rocprim17ROCPRIM_400000_NS6detail17trampoline_kernelINS0_14default_configENS1_25partition_config_selectorILNS1_17partition_subalgoE6EjNS0_10empty_typeEbEEZZNS1_14partition_implILS5_6ELb0ES3_mN6thrust23THRUST_200600_302600_NS6detail15normal_iteratorINSA_10device_ptrIjEEEEPS6_SG_NS0_5tupleIJSF_S6_EEENSH_IJSG_SG_EEES6_PlJNSB_9not_fun_tI7is_evenIjEEEEEE10hipError_tPvRmT3_T4_T5_T6_T7_T9_mT8_P12ihipStream_tbDpT10_ENKUlT_T0_E_clISt17integral_constantIbLb1EES18_EEDaS13_S14_EUlS13_E_NS1_11comp_targetILNS1_3genE0ELNS1_11target_archE4294967295ELNS1_3gpuE0ELNS1_3repE0EEENS1_30default_config_static_selectorELNS0_4arch9wavefront6targetE0EEEvT1_,comdat
.Lfunc_end637:
	.size	_ZN7rocprim17ROCPRIM_400000_NS6detail17trampoline_kernelINS0_14default_configENS1_25partition_config_selectorILNS1_17partition_subalgoE6EjNS0_10empty_typeEbEEZZNS1_14partition_implILS5_6ELb0ES3_mN6thrust23THRUST_200600_302600_NS6detail15normal_iteratorINSA_10device_ptrIjEEEEPS6_SG_NS0_5tupleIJSF_S6_EEENSH_IJSG_SG_EEES6_PlJNSB_9not_fun_tI7is_evenIjEEEEEE10hipError_tPvRmT3_T4_T5_T6_T7_T9_mT8_P12ihipStream_tbDpT10_ENKUlT_T0_E_clISt17integral_constantIbLb1EES18_EEDaS13_S14_EUlS13_E_NS1_11comp_targetILNS1_3genE0ELNS1_11target_archE4294967295ELNS1_3gpuE0ELNS1_3repE0EEENS1_30default_config_static_selectorELNS0_4arch9wavefront6targetE0EEEvT1_, .Lfunc_end637-_ZN7rocprim17ROCPRIM_400000_NS6detail17trampoline_kernelINS0_14default_configENS1_25partition_config_selectorILNS1_17partition_subalgoE6EjNS0_10empty_typeEbEEZZNS1_14partition_implILS5_6ELb0ES3_mN6thrust23THRUST_200600_302600_NS6detail15normal_iteratorINSA_10device_ptrIjEEEEPS6_SG_NS0_5tupleIJSF_S6_EEENSH_IJSG_SG_EEES6_PlJNSB_9not_fun_tI7is_evenIjEEEEEE10hipError_tPvRmT3_T4_T5_T6_T7_T9_mT8_P12ihipStream_tbDpT10_ENKUlT_T0_E_clISt17integral_constantIbLb1EES18_EEDaS13_S14_EUlS13_E_NS1_11comp_targetILNS1_3genE0ELNS1_11target_archE4294967295ELNS1_3gpuE0ELNS1_3repE0EEENS1_30default_config_static_selectorELNS0_4arch9wavefront6targetE0EEEvT1_
                                        ; -- End function
	.set _ZN7rocprim17ROCPRIM_400000_NS6detail17trampoline_kernelINS0_14default_configENS1_25partition_config_selectorILNS1_17partition_subalgoE6EjNS0_10empty_typeEbEEZZNS1_14partition_implILS5_6ELb0ES3_mN6thrust23THRUST_200600_302600_NS6detail15normal_iteratorINSA_10device_ptrIjEEEEPS6_SG_NS0_5tupleIJSF_S6_EEENSH_IJSG_SG_EEES6_PlJNSB_9not_fun_tI7is_evenIjEEEEEE10hipError_tPvRmT3_T4_T5_T6_T7_T9_mT8_P12ihipStream_tbDpT10_ENKUlT_T0_E_clISt17integral_constantIbLb1EES18_EEDaS13_S14_EUlS13_E_NS1_11comp_targetILNS1_3genE0ELNS1_11target_archE4294967295ELNS1_3gpuE0ELNS1_3repE0EEENS1_30default_config_static_selectorELNS0_4arch9wavefront6targetE0EEEvT1_.num_vgpr, 0
	.set _ZN7rocprim17ROCPRIM_400000_NS6detail17trampoline_kernelINS0_14default_configENS1_25partition_config_selectorILNS1_17partition_subalgoE6EjNS0_10empty_typeEbEEZZNS1_14partition_implILS5_6ELb0ES3_mN6thrust23THRUST_200600_302600_NS6detail15normal_iteratorINSA_10device_ptrIjEEEEPS6_SG_NS0_5tupleIJSF_S6_EEENSH_IJSG_SG_EEES6_PlJNSB_9not_fun_tI7is_evenIjEEEEEE10hipError_tPvRmT3_T4_T5_T6_T7_T9_mT8_P12ihipStream_tbDpT10_ENKUlT_T0_E_clISt17integral_constantIbLb1EES18_EEDaS13_S14_EUlS13_E_NS1_11comp_targetILNS1_3genE0ELNS1_11target_archE4294967295ELNS1_3gpuE0ELNS1_3repE0EEENS1_30default_config_static_selectorELNS0_4arch9wavefront6targetE0EEEvT1_.num_agpr, 0
	.set _ZN7rocprim17ROCPRIM_400000_NS6detail17trampoline_kernelINS0_14default_configENS1_25partition_config_selectorILNS1_17partition_subalgoE6EjNS0_10empty_typeEbEEZZNS1_14partition_implILS5_6ELb0ES3_mN6thrust23THRUST_200600_302600_NS6detail15normal_iteratorINSA_10device_ptrIjEEEEPS6_SG_NS0_5tupleIJSF_S6_EEENSH_IJSG_SG_EEES6_PlJNSB_9not_fun_tI7is_evenIjEEEEEE10hipError_tPvRmT3_T4_T5_T6_T7_T9_mT8_P12ihipStream_tbDpT10_ENKUlT_T0_E_clISt17integral_constantIbLb1EES18_EEDaS13_S14_EUlS13_E_NS1_11comp_targetILNS1_3genE0ELNS1_11target_archE4294967295ELNS1_3gpuE0ELNS1_3repE0EEENS1_30default_config_static_selectorELNS0_4arch9wavefront6targetE0EEEvT1_.numbered_sgpr, 0
	.set _ZN7rocprim17ROCPRIM_400000_NS6detail17trampoline_kernelINS0_14default_configENS1_25partition_config_selectorILNS1_17partition_subalgoE6EjNS0_10empty_typeEbEEZZNS1_14partition_implILS5_6ELb0ES3_mN6thrust23THRUST_200600_302600_NS6detail15normal_iteratorINSA_10device_ptrIjEEEEPS6_SG_NS0_5tupleIJSF_S6_EEENSH_IJSG_SG_EEES6_PlJNSB_9not_fun_tI7is_evenIjEEEEEE10hipError_tPvRmT3_T4_T5_T6_T7_T9_mT8_P12ihipStream_tbDpT10_ENKUlT_T0_E_clISt17integral_constantIbLb1EES18_EEDaS13_S14_EUlS13_E_NS1_11comp_targetILNS1_3genE0ELNS1_11target_archE4294967295ELNS1_3gpuE0ELNS1_3repE0EEENS1_30default_config_static_selectorELNS0_4arch9wavefront6targetE0EEEvT1_.num_named_barrier, 0
	.set _ZN7rocprim17ROCPRIM_400000_NS6detail17trampoline_kernelINS0_14default_configENS1_25partition_config_selectorILNS1_17partition_subalgoE6EjNS0_10empty_typeEbEEZZNS1_14partition_implILS5_6ELb0ES3_mN6thrust23THRUST_200600_302600_NS6detail15normal_iteratorINSA_10device_ptrIjEEEEPS6_SG_NS0_5tupleIJSF_S6_EEENSH_IJSG_SG_EEES6_PlJNSB_9not_fun_tI7is_evenIjEEEEEE10hipError_tPvRmT3_T4_T5_T6_T7_T9_mT8_P12ihipStream_tbDpT10_ENKUlT_T0_E_clISt17integral_constantIbLb1EES18_EEDaS13_S14_EUlS13_E_NS1_11comp_targetILNS1_3genE0ELNS1_11target_archE4294967295ELNS1_3gpuE0ELNS1_3repE0EEENS1_30default_config_static_selectorELNS0_4arch9wavefront6targetE0EEEvT1_.private_seg_size, 0
	.set _ZN7rocprim17ROCPRIM_400000_NS6detail17trampoline_kernelINS0_14default_configENS1_25partition_config_selectorILNS1_17partition_subalgoE6EjNS0_10empty_typeEbEEZZNS1_14partition_implILS5_6ELb0ES3_mN6thrust23THRUST_200600_302600_NS6detail15normal_iteratorINSA_10device_ptrIjEEEEPS6_SG_NS0_5tupleIJSF_S6_EEENSH_IJSG_SG_EEES6_PlJNSB_9not_fun_tI7is_evenIjEEEEEE10hipError_tPvRmT3_T4_T5_T6_T7_T9_mT8_P12ihipStream_tbDpT10_ENKUlT_T0_E_clISt17integral_constantIbLb1EES18_EEDaS13_S14_EUlS13_E_NS1_11comp_targetILNS1_3genE0ELNS1_11target_archE4294967295ELNS1_3gpuE0ELNS1_3repE0EEENS1_30default_config_static_selectorELNS0_4arch9wavefront6targetE0EEEvT1_.uses_vcc, 0
	.set _ZN7rocprim17ROCPRIM_400000_NS6detail17trampoline_kernelINS0_14default_configENS1_25partition_config_selectorILNS1_17partition_subalgoE6EjNS0_10empty_typeEbEEZZNS1_14partition_implILS5_6ELb0ES3_mN6thrust23THRUST_200600_302600_NS6detail15normal_iteratorINSA_10device_ptrIjEEEEPS6_SG_NS0_5tupleIJSF_S6_EEENSH_IJSG_SG_EEES6_PlJNSB_9not_fun_tI7is_evenIjEEEEEE10hipError_tPvRmT3_T4_T5_T6_T7_T9_mT8_P12ihipStream_tbDpT10_ENKUlT_T0_E_clISt17integral_constantIbLb1EES18_EEDaS13_S14_EUlS13_E_NS1_11comp_targetILNS1_3genE0ELNS1_11target_archE4294967295ELNS1_3gpuE0ELNS1_3repE0EEENS1_30default_config_static_selectorELNS0_4arch9wavefront6targetE0EEEvT1_.uses_flat_scratch, 0
	.set _ZN7rocprim17ROCPRIM_400000_NS6detail17trampoline_kernelINS0_14default_configENS1_25partition_config_selectorILNS1_17partition_subalgoE6EjNS0_10empty_typeEbEEZZNS1_14partition_implILS5_6ELb0ES3_mN6thrust23THRUST_200600_302600_NS6detail15normal_iteratorINSA_10device_ptrIjEEEEPS6_SG_NS0_5tupleIJSF_S6_EEENSH_IJSG_SG_EEES6_PlJNSB_9not_fun_tI7is_evenIjEEEEEE10hipError_tPvRmT3_T4_T5_T6_T7_T9_mT8_P12ihipStream_tbDpT10_ENKUlT_T0_E_clISt17integral_constantIbLb1EES18_EEDaS13_S14_EUlS13_E_NS1_11comp_targetILNS1_3genE0ELNS1_11target_archE4294967295ELNS1_3gpuE0ELNS1_3repE0EEENS1_30default_config_static_selectorELNS0_4arch9wavefront6targetE0EEEvT1_.has_dyn_sized_stack, 0
	.set _ZN7rocprim17ROCPRIM_400000_NS6detail17trampoline_kernelINS0_14default_configENS1_25partition_config_selectorILNS1_17partition_subalgoE6EjNS0_10empty_typeEbEEZZNS1_14partition_implILS5_6ELb0ES3_mN6thrust23THRUST_200600_302600_NS6detail15normal_iteratorINSA_10device_ptrIjEEEEPS6_SG_NS0_5tupleIJSF_S6_EEENSH_IJSG_SG_EEES6_PlJNSB_9not_fun_tI7is_evenIjEEEEEE10hipError_tPvRmT3_T4_T5_T6_T7_T9_mT8_P12ihipStream_tbDpT10_ENKUlT_T0_E_clISt17integral_constantIbLb1EES18_EEDaS13_S14_EUlS13_E_NS1_11comp_targetILNS1_3genE0ELNS1_11target_archE4294967295ELNS1_3gpuE0ELNS1_3repE0EEENS1_30default_config_static_selectorELNS0_4arch9wavefront6targetE0EEEvT1_.has_recursion, 0
	.set _ZN7rocprim17ROCPRIM_400000_NS6detail17trampoline_kernelINS0_14default_configENS1_25partition_config_selectorILNS1_17partition_subalgoE6EjNS0_10empty_typeEbEEZZNS1_14partition_implILS5_6ELb0ES3_mN6thrust23THRUST_200600_302600_NS6detail15normal_iteratorINSA_10device_ptrIjEEEEPS6_SG_NS0_5tupleIJSF_S6_EEENSH_IJSG_SG_EEES6_PlJNSB_9not_fun_tI7is_evenIjEEEEEE10hipError_tPvRmT3_T4_T5_T6_T7_T9_mT8_P12ihipStream_tbDpT10_ENKUlT_T0_E_clISt17integral_constantIbLb1EES18_EEDaS13_S14_EUlS13_E_NS1_11comp_targetILNS1_3genE0ELNS1_11target_archE4294967295ELNS1_3gpuE0ELNS1_3repE0EEENS1_30default_config_static_selectorELNS0_4arch9wavefront6targetE0EEEvT1_.has_indirect_call, 0
	.section	.AMDGPU.csdata,"",@progbits
; Kernel info:
; codeLenInByte = 0
; TotalNumSgprs: 0
; NumVgprs: 0
; ScratchSize: 0
; MemoryBound: 0
; FloatMode: 240
; IeeeMode: 1
; LDSByteSize: 0 bytes/workgroup (compile time only)
; SGPRBlocks: 0
; VGPRBlocks: 0
; NumSGPRsForWavesPerEU: 1
; NumVGPRsForWavesPerEU: 1
; Occupancy: 16
; WaveLimiterHint : 0
; COMPUTE_PGM_RSRC2:SCRATCH_EN: 0
; COMPUTE_PGM_RSRC2:USER_SGPR: 2
; COMPUTE_PGM_RSRC2:TRAP_HANDLER: 0
; COMPUTE_PGM_RSRC2:TGID_X_EN: 1
; COMPUTE_PGM_RSRC2:TGID_Y_EN: 0
; COMPUTE_PGM_RSRC2:TGID_Z_EN: 0
; COMPUTE_PGM_RSRC2:TIDIG_COMP_CNT: 0
	.section	.text._ZN7rocprim17ROCPRIM_400000_NS6detail17trampoline_kernelINS0_14default_configENS1_25partition_config_selectorILNS1_17partition_subalgoE6EjNS0_10empty_typeEbEEZZNS1_14partition_implILS5_6ELb0ES3_mN6thrust23THRUST_200600_302600_NS6detail15normal_iteratorINSA_10device_ptrIjEEEEPS6_SG_NS0_5tupleIJSF_S6_EEENSH_IJSG_SG_EEES6_PlJNSB_9not_fun_tI7is_evenIjEEEEEE10hipError_tPvRmT3_T4_T5_T6_T7_T9_mT8_P12ihipStream_tbDpT10_ENKUlT_T0_E_clISt17integral_constantIbLb1EES18_EEDaS13_S14_EUlS13_E_NS1_11comp_targetILNS1_3genE5ELNS1_11target_archE942ELNS1_3gpuE9ELNS1_3repE0EEENS1_30default_config_static_selectorELNS0_4arch9wavefront6targetE0EEEvT1_,"axG",@progbits,_ZN7rocprim17ROCPRIM_400000_NS6detail17trampoline_kernelINS0_14default_configENS1_25partition_config_selectorILNS1_17partition_subalgoE6EjNS0_10empty_typeEbEEZZNS1_14partition_implILS5_6ELb0ES3_mN6thrust23THRUST_200600_302600_NS6detail15normal_iteratorINSA_10device_ptrIjEEEEPS6_SG_NS0_5tupleIJSF_S6_EEENSH_IJSG_SG_EEES6_PlJNSB_9not_fun_tI7is_evenIjEEEEEE10hipError_tPvRmT3_T4_T5_T6_T7_T9_mT8_P12ihipStream_tbDpT10_ENKUlT_T0_E_clISt17integral_constantIbLb1EES18_EEDaS13_S14_EUlS13_E_NS1_11comp_targetILNS1_3genE5ELNS1_11target_archE942ELNS1_3gpuE9ELNS1_3repE0EEENS1_30default_config_static_selectorELNS0_4arch9wavefront6targetE0EEEvT1_,comdat
	.protected	_ZN7rocprim17ROCPRIM_400000_NS6detail17trampoline_kernelINS0_14default_configENS1_25partition_config_selectorILNS1_17partition_subalgoE6EjNS0_10empty_typeEbEEZZNS1_14partition_implILS5_6ELb0ES3_mN6thrust23THRUST_200600_302600_NS6detail15normal_iteratorINSA_10device_ptrIjEEEEPS6_SG_NS0_5tupleIJSF_S6_EEENSH_IJSG_SG_EEES6_PlJNSB_9not_fun_tI7is_evenIjEEEEEE10hipError_tPvRmT3_T4_T5_T6_T7_T9_mT8_P12ihipStream_tbDpT10_ENKUlT_T0_E_clISt17integral_constantIbLb1EES18_EEDaS13_S14_EUlS13_E_NS1_11comp_targetILNS1_3genE5ELNS1_11target_archE942ELNS1_3gpuE9ELNS1_3repE0EEENS1_30default_config_static_selectorELNS0_4arch9wavefront6targetE0EEEvT1_ ; -- Begin function _ZN7rocprim17ROCPRIM_400000_NS6detail17trampoline_kernelINS0_14default_configENS1_25partition_config_selectorILNS1_17partition_subalgoE6EjNS0_10empty_typeEbEEZZNS1_14partition_implILS5_6ELb0ES3_mN6thrust23THRUST_200600_302600_NS6detail15normal_iteratorINSA_10device_ptrIjEEEEPS6_SG_NS0_5tupleIJSF_S6_EEENSH_IJSG_SG_EEES6_PlJNSB_9not_fun_tI7is_evenIjEEEEEE10hipError_tPvRmT3_T4_T5_T6_T7_T9_mT8_P12ihipStream_tbDpT10_ENKUlT_T0_E_clISt17integral_constantIbLb1EES18_EEDaS13_S14_EUlS13_E_NS1_11comp_targetILNS1_3genE5ELNS1_11target_archE942ELNS1_3gpuE9ELNS1_3repE0EEENS1_30default_config_static_selectorELNS0_4arch9wavefront6targetE0EEEvT1_
	.globl	_ZN7rocprim17ROCPRIM_400000_NS6detail17trampoline_kernelINS0_14default_configENS1_25partition_config_selectorILNS1_17partition_subalgoE6EjNS0_10empty_typeEbEEZZNS1_14partition_implILS5_6ELb0ES3_mN6thrust23THRUST_200600_302600_NS6detail15normal_iteratorINSA_10device_ptrIjEEEEPS6_SG_NS0_5tupleIJSF_S6_EEENSH_IJSG_SG_EEES6_PlJNSB_9not_fun_tI7is_evenIjEEEEEE10hipError_tPvRmT3_T4_T5_T6_T7_T9_mT8_P12ihipStream_tbDpT10_ENKUlT_T0_E_clISt17integral_constantIbLb1EES18_EEDaS13_S14_EUlS13_E_NS1_11comp_targetILNS1_3genE5ELNS1_11target_archE942ELNS1_3gpuE9ELNS1_3repE0EEENS1_30default_config_static_selectorELNS0_4arch9wavefront6targetE0EEEvT1_
	.p2align	8
	.type	_ZN7rocprim17ROCPRIM_400000_NS6detail17trampoline_kernelINS0_14default_configENS1_25partition_config_selectorILNS1_17partition_subalgoE6EjNS0_10empty_typeEbEEZZNS1_14partition_implILS5_6ELb0ES3_mN6thrust23THRUST_200600_302600_NS6detail15normal_iteratorINSA_10device_ptrIjEEEEPS6_SG_NS0_5tupleIJSF_S6_EEENSH_IJSG_SG_EEES6_PlJNSB_9not_fun_tI7is_evenIjEEEEEE10hipError_tPvRmT3_T4_T5_T6_T7_T9_mT8_P12ihipStream_tbDpT10_ENKUlT_T0_E_clISt17integral_constantIbLb1EES18_EEDaS13_S14_EUlS13_E_NS1_11comp_targetILNS1_3genE5ELNS1_11target_archE942ELNS1_3gpuE9ELNS1_3repE0EEENS1_30default_config_static_selectorELNS0_4arch9wavefront6targetE0EEEvT1_,@function
_ZN7rocprim17ROCPRIM_400000_NS6detail17trampoline_kernelINS0_14default_configENS1_25partition_config_selectorILNS1_17partition_subalgoE6EjNS0_10empty_typeEbEEZZNS1_14partition_implILS5_6ELb0ES3_mN6thrust23THRUST_200600_302600_NS6detail15normal_iteratorINSA_10device_ptrIjEEEEPS6_SG_NS0_5tupleIJSF_S6_EEENSH_IJSG_SG_EEES6_PlJNSB_9not_fun_tI7is_evenIjEEEEEE10hipError_tPvRmT3_T4_T5_T6_T7_T9_mT8_P12ihipStream_tbDpT10_ENKUlT_T0_E_clISt17integral_constantIbLb1EES18_EEDaS13_S14_EUlS13_E_NS1_11comp_targetILNS1_3genE5ELNS1_11target_archE942ELNS1_3gpuE9ELNS1_3repE0EEENS1_30default_config_static_selectorELNS0_4arch9wavefront6targetE0EEEvT1_: ; @_ZN7rocprim17ROCPRIM_400000_NS6detail17trampoline_kernelINS0_14default_configENS1_25partition_config_selectorILNS1_17partition_subalgoE6EjNS0_10empty_typeEbEEZZNS1_14partition_implILS5_6ELb0ES3_mN6thrust23THRUST_200600_302600_NS6detail15normal_iteratorINSA_10device_ptrIjEEEEPS6_SG_NS0_5tupleIJSF_S6_EEENSH_IJSG_SG_EEES6_PlJNSB_9not_fun_tI7is_evenIjEEEEEE10hipError_tPvRmT3_T4_T5_T6_T7_T9_mT8_P12ihipStream_tbDpT10_ENKUlT_T0_E_clISt17integral_constantIbLb1EES18_EEDaS13_S14_EUlS13_E_NS1_11comp_targetILNS1_3genE5ELNS1_11target_archE942ELNS1_3gpuE9ELNS1_3repE0EEENS1_30default_config_static_selectorELNS0_4arch9wavefront6targetE0EEEvT1_
; %bb.0:
	.section	.rodata,"a",@progbits
	.p2align	6, 0x0
	.amdhsa_kernel _ZN7rocprim17ROCPRIM_400000_NS6detail17trampoline_kernelINS0_14default_configENS1_25partition_config_selectorILNS1_17partition_subalgoE6EjNS0_10empty_typeEbEEZZNS1_14partition_implILS5_6ELb0ES3_mN6thrust23THRUST_200600_302600_NS6detail15normal_iteratorINSA_10device_ptrIjEEEEPS6_SG_NS0_5tupleIJSF_S6_EEENSH_IJSG_SG_EEES6_PlJNSB_9not_fun_tI7is_evenIjEEEEEE10hipError_tPvRmT3_T4_T5_T6_T7_T9_mT8_P12ihipStream_tbDpT10_ENKUlT_T0_E_clISt17integral_constantIbLb1EES18_EEDaS13_S14_EUlS13_E_NS1_11comp_targetILNS1_3genE5ELNS1_11target_archE942ELNS1_3gpuE9ELNS1_3repE0EEENS1_30default_config_static_selectorELNS0_4arch9wavefront6targetE0EEEvT1_
		.amdhsa_group_segment_fixed_size 0
		.amdhsa_private_segment_fixed_size 0
		.amdhsa_kernarg_size 128
		.amdhsa_user_sgpr_count 2
		.amdhsa_user_sgpr_dispatch_ptr 0
		.amdhsa_user_sgpr_queue_ptr 0
		.amdhsa_user_sgpr_kernarg_segment_ptr 1
		.amdhsa_user_sgpr_dispatch_id 0
		.amdhsa_user_sgpr_private_segment_size 0
		.amdhsa_wavefront_size32 1
		.amdhsa_uses_dynamic_stack 0
		.amdhsa_enable_private_segment 0
		.amdhsa_system_sgpr_workgroup_id_x 1
		.amdhsa_system_sgpr_workgroup_id_y 0
		.amdhsa_system_sgpr_workgroup_id_z 0
		.amdhsa_system_sgpr_workgroup_info 0
		.amdhsa_system_vgpr_workitem_id 0
		.amdhsa_next_free_vgpr 1
		.amdhsa_next_free_sgpr 1
		.amdhsa_reserve_vcc 0
		.amdhsa_float_round_mode_32 0
		.amdhsa_float_round_mode_16_64 0
		.amdhsa_float_denorm_mode_32 3
		.amdhsa_float_denorm_mode_16_64 3
		.amdhsa_fp16_overflow 0
		.amdhsa_workgroup_processor_mode 1
		.amdhsa_memory_ordered 1
		.amdhsa_forward_progress 1
		.amdhsa_inst_pref_size 0
		.amdhsa_round_robin_scheduling 0
		.amdhsa_exception_fp_ieee_invalid_op 0
		.amdhsa_exception_fp_denorm_src 0
		.amdhsa_exception_fp_ieee_div_zero 0
		.amdhsa_exception_fp_ieee_overflow 0
		.amdhsa_exception_fp_ieee_underflow 0
		.amdhsa_exception_fp_ieee_inexact 0
		.amdhsa_exception_int_div_zero 0
	.end_amdhsa_kernel
	.section	.text._ZN7rocprim17ROCPRIM_400000_NS6detail17trampoline_kernelINS0_14default_configENS1_25partition_config_selectorILNS1_17partition_subalgoE6EjNS0_10empty_typeEbEEZZNS1_14partition_implILS5_6ELb0ES3_mN6thrust23THRUST_200600_302600_NS6detail15normal_iteratorINSA_10device_ptrIjEEEEPS6_SG_NS0_5tupleIJSF_S6_EEENSH_IJSG_SG_EEES6_PlJNSB_9not_fun_tI7is_evenIjEEEEEE10hipError_tPvRmT3_T4_T5_T6_T7_T9_mT8_P12ihipStream_tbDpT10_ENKUlT_T0_E_clISt17integral_constantIbLb1EES18_EEDaS13_S14_EUlS13_E_NS1_11comp_targetILNS1_3genE5ELNS1_11target_archE942ELNS1_3gpuE9ELNS1_3repE0EEENS1_30default_config_static_selectorELNS0_4arch9wavefront6targetE0EEEvT1_,"axG",@progbits,_ZN7rocprim17ROCPRIM_400000_NS6detail17trampoline_kernelINS0_14default_configENS1_25partition_config_selectorILNS1_17partition_subalgoE6EjNS0_10empty_typeEbEEZZNS1_14partition_implILS5_6ELb0ES3_mN6thrust23THRUST_200600_302600_NS6detail15normal_iteratorINSA_10device_ptrIjEEEEPS6_SG_NS0_5tupleIJSF_S6_EEENSH_IJSG_SG_EEES6_PlJNSB_9not_fun_tI7is_evenIjEEEEEE10hipError_tPvRmT3_T4_T5_T6_T7_T9_mT8_P12ihipStream_tbDpT10_ENKUlT_T0_E_clISt17integral_constantIbLb1EES18_EEDaS13_S14_EUlS13_E_NS1_11comp_targetILNS1_3genE5ELNS1_11target_archE942ELNS1_3gpuE9ELNS1_3repE0EEENS1_30default_config_static_selectorELNS0_4arch9wavefront6targetE0EEEvT1_,comdat
.Lfunc_end638:
	.size	_ZN7rocprim17ROCPRIM_400000_NS6detail17trampoline_kernelINS0_14default_configENS1_25partition_config_selectorILNS1_17partition_subalgoE6EjNS0_10empty_typeEbEEZZNS1_14partition_implILS5_6ELb0ES3_mN6thrust23THRUST_200600_302600_NS6detail15normal_iteratorINSA_10device_ptrIjEEEEPS6_SG_NS0_5tupleIJSF_S6_EEENSH_IJSG_SG_EEES6_PlJNSB_9not_fun_tI7is_evenIjEEEEEE10hipError_tPvRmT3_T4_T5_T6_T7_T9_mT8_P12ihipStream_tbDpT10_ENKUlT_T0_E_clISt17integral_constantIbLb1EES18_EEDaS13_S14_EUlS13_E_NS1_11comp_targetILNS1_3genE5ELNS1_11target_archE942ELNS1_3gpuE9ELNS1_3repE0EEENS1_30default_config_static_selectorELNS0_4arch9wavefront6targetE0EEEvT1_, .Lfunc_end638-_ZN7rocprim17ROCPRIM_400000_NS6detail17trampoline_kernelINS0_14default_configENS1_25partition_config_selectorILNS1_17partition_subalgoE6EjNS0_10empty_typeEbEEZZNS1_14partition_implILS5_6ELb0ES3_mN6thrust23THRUST_200600_302600_NS6detail15normal_iteratorINSA_10device_ptrIjEEEEPS6_SG_NS0_5tupleIJSF_S6_EEENSH_IJSG_SG_EEES6_PlJNSB_9not_fun_tI7is_evenIjEEEEEE10hipError_tPvRmT3_T4_T5_T6_T7_T9_mT8_P12ihipStream_tbDpT10_ENKUlT_T0_E_clISt17integral_constantIbLb1EES18_EEDaS13_S14_EUlS13_E_NS1_11comp_targetILNS1_3genE5ELNS1_11target_archE942ELNS1_3gpuE9ELNS1_3repE0EEENS1_30default_config_static_selectorELNS0_4arch9wavefront6targetE0EEEvT1_
                                        ; -- End function
	.set _ZN7rocprim17ROCPRIM_400000_NS6detail17trampoline_kernelINS0_14default_configENS1_25partition_config_selectorILNS1_17partition_subalgoE6EjNS0_10empty_typeEbEEZZNS1_14partition_implILS5_6ELb0ES3_mN6thrust23THRUST_200600_302600_NS6detail15normal_iteratorINSA_10device_ptrIjEEEEPS6_SG_NS0_5tupleIJSF_S6_EEENSH_IJSG_SG_EEES6_PlJNSB_9not_fun_tI7is_evenIjEEEEEE10hipError_tPvRmT3_T4_T5_T6_T7_T9_mT8_P12ihipStream_tbDpT10_ENKUlT_T0_E_clISt17integral_constantIbLb1EES18_EEDaS13_S14_EUlS13_E_NS1_11comp_targetILNS1_3genE5ELNS1_11target_archE942ELNS1_3gpuE9ELNS1_3repE0EEENS1_30default_config_static_selectorELNS0_4arch9wavefront6targetE0EEEvT1_.num_vgpr, 0
	.set _ZN7rocprim17ROCPRIM_400000_NS6detail17trampoline_kernelINS0_14default_configENS1_25partition_config_selectorILNS1_17partition_subalgoE6EjNS0_10empty_typeEbEEZZNS1_14partition_implILS5_6ELb0ES3_mN6thrust23THRUST_200600_302600_NS6detail15normal_iteratorINSA_10device_ptrIjEEEEPS6_SG_NS0_5tupleIJSF_S6_EEENSH_IJSG_SG_EEES6_PlJNSB_9not_fun_tI7is_evenIjEEEEEE10hipError_tPvRmT3_T4_T5_T6_T7_T9_mT8_P12ihipStream_tbDpT10_ENKUlT_T0_E_clISt17integral_constantIbLb1EES18_EEDaS13_S14_EUlS13_E_NS1_11comp_targetILNS1_3genE5ELNS1_11target_archE942ELNS1_3gpuE9ELNS1_3repE0EEENS1_30default_config_static_selectorELNS0_4arch9wavefront6targetE0EEEvT1_.num_agpr, 0
	.set _ZN7rocprim17ROCPRIM_400000_NS6detail17trampoline_kernelINS0_14default_configENS1_25partition_config_selectorILNS1_17partition_subalgoE6EjNS0_10empty_typeEbEEZZNS1_14partition_implILS5_6ELb0ES3_mN6thrust23THRUST_200600_302600_NS6detail15normal_iteratorINSA_10device_ptrIjEEEEPS6_SG_NS0_5tupleIJSF_S6_EEENSH_IJSG_SG_EEES6_PlJNSB_9not_fun_tI7is_evenIjEEEEEE10hipError_tPvRmT3_T4_T5_T6_T7_T9_mT8_P12ihipStream_tbDpT10_ENKUlT_T0_E_clISt17integral_constantIbLb1EES18_EEDaS13_S14_EUlS13_E_NS1_11comp_targetILNS1_3genE5ELNS1_11target_archE942ELNS1_3gpuE9ELNS1_3repE0EEENS1_30default_config_static_selectorELNS0_4arch9wavefront6targetE0EEEvT1_.numbered_sgpr, 0
	.set _ZN7rocprim17ROCPRIM_400000_NS6detail17trampoline_kernelINS0_14default_configENS1_25partition_config_selectorILNS1_17partition_subalgoE6EjNS0_10empty_typeEbEEZZNS1_14partition_implILS5_6ELb0ES3_mN6thrust23THRUST_200600_302600_NS6detail15normal_iteratorINSA_10device_ptrIjEEEEPS6_SG_NS0_5tupleIJSF_S6_EEENSH_IJSG_SG_EEES6_PlJNSB_9not_fun_tI7is_evenIjEEEEEE10hipError_tPvRmT3_T4_T5_T6_T7_T9_mT8_P12ihipStream_tbDpT10_ENKUlT_T0_E_clISt17integral_constantIbLb1EES18_EEDaS13_S14_EUlS13_E_NS1_11comp_targetILNS1_3genE5ELNS1_11target_archE942ELNS1_3gpuE9ELNS1_3repE0EEENS1_30default_config_static_selectorELNS0_4arch9wavefront6targetE0EEEvT1_.num_named_barrier, 0
	.set _ZN7rocprim17ROCPRIM_400000_NS6detail17trampoline_kernelINS0_14default_configENS1_25partition_config_selectorILNS1_17partition_subalgoE6EjNS0_10empty_typeEbEEZZNS1_14partition_implILS5_6ELb0ES3_mN6thrust23THRUST_200600_302600_NS6detail15normal_iteratorINSA_10device_ptrIjEEEEPS6_SG_NS0_5tupleIJSF_S6_EEENSH_IJSG_SG_EEES6_PlJNSB_9not_fun_tI7is_evenIjEEEEEE10hipError_tPvRmT3_T4_T5_T6_T7_T9_mT8_P12ihipStream_tbDpT10_ENKUlT_T0_E_clISt17integral_constantIbLb1EES18_EEDaS13_S14_EUlS13_E_NS1_11comp_targetILNS1_3genE5ELNS1_11target_archE942ELNS1_3gpuE9ELNS1_3repE0EEENS1_30default_config_static_selectorELNS0_4arch9wavefront6targetE0EEEvT1_.private_seg_size, 0
	.set _ZN7rocprim17ROCPRIM_400000_NS6detail17trampoline_kernelINS0_14default_configENS1_25partition_config_selectorILNS1_17partition_subalgoE6EjNS0_10empty_typeEbEEZZNS1_14partition_implILS5_6ELb0ES3_mN6thrust23THRUST_200600_302600_NS6detail15normal_iteratorINSA_10device_ptrIjEEEEPS6_SG_NS0_5tupleIJSF_S6_EEENSH_IJSG_SG_EEES6_PlJNSB_9not_fun_tI7is_evenIjEEEEEE10hipError_tPvRmT3_T4_T5_T6_T7_T9_mT8_P12ihipStream_tbDpT10_ENKUlT_T0_E_clISt17integral_constantIbLb1EES18_EEDaS13_S14_EUlS13_E_NS1_11comp_targetILNS1_3genE5ELNS1_11target_archE942ELNS1_3gpuE9ELNS1_3repE0EEENS1_30default_config_static_selectorELNS0_4arch9wavefront6targetE0EEEvT1_.uses_vcc, 0
	.set _ZN7rocprim17ROCPRIM_400000_NS6detail17trampoline_kernelINS0_14default_configENS1_25partition_config_selectorILNS1_17partition_subalgoE6EjNS0_10empty_typeEbEEZZNS1_14partition_implILS5_6ELb0ES3_mN6thrust23THRUST_200600_302600_NS6detail15normal_iteratorINSA_10device_ptrIjEEEEPS6_SG_NS0_5tupleIJSF_S6_EEENSH_IJSG_SG_EEES6_PlJNSB_9not_fun_tI7is_evenIjEEEEEE10hipError_tPvRmT3_T4_T5_T6_T7_T9_mT8_P12ihipStream_tbDpT10_ENKUlT_T0_E_clISt17integral_constantIbLb1EES18_EEDaS13_S14_EUlS13_E_NS1_11comp_targetILNS1_3genE5ELNS1_11target_archE942ELNS1_3gpuE9ELNS1_3repE0EEENS1_30default_config_static_selectorELNS0_4arch9wavefront6targetE0EEEvT1_.uses_flat_scratch, 0
	.set _ZN7rocprim17ROCPRIM_400000_NS6detail17trampoline_kernelINS0_14default_configENS1_25partition_config_selectorILNS1_17partition_subalgoE6EjNS0_10empty_typeEbEEZZNS1_14partition_implILS5_6ELb0ES3_mN6thrust23THRUST_200600_302600_NS6detail15normal_iteratorINSA_10device_ptrIjEEEEPS6_SG_NS0_5tupleIJSF_S6_EEENSH_IJSG_SG_EEES6_PlJNSB_9not_fun_tI7is_evenIjEEEEEE10hipError_tPvRmT3_T4_T5_T6_T7_T9_mT8_P12ihipStream_tbDpT10_ENKUlT_T0_E_clISt17integral_constantIbLb1EES18_EEDaS13_S14_EUlS13_E_NS1_11comp_targetILNS1_3genE5ELNS1_11target_archE942ELNS1_3gpuE9ELNS1_3repE0EEENS1_30default_config_static_selectorELNS0_4arch9wavefront6targetE0EEEvT1_.has_dyn_sized_stack, 0
	.set _ZN7rocprim17ROCPRIM_400000_NS6detail17trampoline_kernelINS0_14default_configENS1_25partition_config_selectorILNS1_17partition_subalgoE6EjNS0_10empty_typeEbEEZZNS1_14partition_implILS5_6ELb0ES3_mN6thrust23THRUST_200600_302600_NS6detail15normal_iteratorINSA_10device_ptrIjEEEEPS6_SG_NS0_5tupleIJSF_S6_EEENSH_IJSG_SG_EEES6_PlJNSB_9not_fun_tI7is_evenIjEEEEEE10hipError_tPvRmT3_T4_T5_T6_T7_T9_mT8_P12ihipStream_tbDpT10_ENKUlT_T0_E_clISt17integral_constantIbLb1EES18_EEDaS13_S14_EUlS13_E_NS1_11comp_targetILNS1_3genE5ELNS1_11target_archE942ELNS1_3gpuE9ELNS1_3repE0EEENS1_30default_config_static_selectorELNS0_4arch9wavefront6targetE0EEEvT1_.has_recursion, 0
	.set _ZN7rocprim17ROCPRIM_400000_NS6detail17trampoline_kernelINS0_14default_configENS1_25partition_config_selectorILNS1_17partition_subalgoE6EjNS0_10empty_typeEbEEZZNS1_14partition_implILS5_6ELb0ES3_mN6thrust23THRUST_200600_302600_NS6detail15normal_iteratorINSA_10device_ptrIjEEEEPS6_SG_NS0_5tupleIJSF_S6_EEENSH_IJSG_SG_EEES6_PlJNSB_9not_fun_tI7is_evenIjEEEEEE10hipError_tPvRmT3_T4_T5_T6_T7_T9_mT8_P12ihipStream_tbDpT10_ENKUlT_T0_E_clISt17integral_constantIbLb1EES18_EEDaS13_S14_EUlS13_E_NS1_11comp_targetILNS1_3genE5ELNS1_11target_archE942ELNS1_3gpuE9ELNS1_3repE0EEENS1_30default_config_static_selectorELNS0_4arch9wavefront6targetE0EEEvT1_.has_indirect_call, 0
	.section	.AMDGPU.csdata,"",@progbits
; Kernel info:
; codeLenInByte = 0
; TotalNumSgprs: 0
; NumVgprs: 0
; ScratchSize: 0
; MemoryBound: 0
; FloatMode: 240
; IeeeMode: 1
; LDSByteSize: 0 bytes/workgroup (compile time only)
; SGPRBlocks: 0
; VGPRBlocks: 0
; NumSGPRsForWavesPerEU: 1
; NumVGPRsForWavesPerEU: 1
; Occupancy: 16
; WaveLimiterHint : 0
; COMPUTE_PGM_RSRC2:SCRATCH_EN: 0
; COMPUTE_PGM_RSRC2:USER_SGPR: 2
; COMPUTE_PGM_RSRC2:TRAP_HANDLER: 0
; COMPUTE_PGM_RSRC2:TGID_X_EN: 1
; COMPUTE_PGM_RSRC2:TGID_Y_EN: 0
; COMPUTE_PGM_RSRC2:TGID_Z_EN: 0
; COMPUTE_PGM_RSRC2:TIDIG_COMP_CNT: 0
	.section	.text._ZN7rocprim17ROCPRIM_400000_NS6detail17trampoline_kernelINS0_14default_configENS1_25partition_config_selectorILNS1_17partition_subalgoE6EjNS0_10empty_typeEbEEZZNS1_14partition_implILS5_6ELb0ES3_mN6thrust23THRUST_200600_302600_NS6detail15normal_iteratorINSA_10device_ptrIjEEEEPS6_SG_NS0_5tupleIJSF_S6_EEENSH_IJSG_SG_EEES6_PlJNSB_9not_fun_tI7is_evenIjEEEEEE10hipError_tPvRmT3_T4_T5_T6_T7_T9_mT8_P12ihipStream_tbDpT10_ENKUlT_T0_E_clISt17integral_constantIbLb1EES18_EEDaS13_S14_EUlS13_E_NS1_11comp_targetILNS1_3genE4ELNS1_11target_archE910ELNS1_3gpuE8ELNS1_3repE0EEENS1_30default_config_static_selectorELNS0_4arch9wavefront6targetE0EEEvT1_,"axG",@progbits,_ZN7rocprim17ROCPRIM_400000_NS6detail17trampoline_kernelINS0_14default_configENS1_25partition_config_selectorILNS1_17partition_subalgoE6EjNS0_10empty_typeEbEEZZNS1_14partition_implILS5_6ELb0ES3_mN6thrust23THRUST_200600_302600_NS6detail15normal_iteratorINSA_10device_ptrIjEEEEPS6_SG_NS0_5tupleIJSF_S6_EEENSH_IJSG_SG_EEES6_PlJNSB_9not_fun_tI7is_evenIjEEEEEE10hipError_tPvRmT3_T4_T5_T6_T7_T9_mT8_P12ihipStream_tbDpT10_ENKUlT_T0_E_clISt17integral_constantIbLb1EES18_EEDaS13_S14_EUlS13_E_NS1_11comp_targetILNS1_3genE4ELNS1_11target_archE910ELNS1_3gpuE8ELNS1_3repE0EEENS1_30default_config_static_selectorELNS0_4arch9wavefront6targetE0EEEvT1_,comdat
	.protected	_ZN7rocprim17ROCPRIM_400000_NS6detail17trampoline_kernelINS0_14default_configENS1_25partition_config_selectorILNS1_17partition_subalgoE6EjNS0_10empty_typeEbEEZZNS1_14partition_implILS5_6ELb0ES3_mN6thrust23THRUST_200600_302600_NS6detail15normal_iteratorINSA_10device_ptrIjEEEEPS6_SG_NS0_5tupleIJSF_S6_EEENSH_IJSG_SG_EEES6_PlJNSB_9not_fun_tI7is_evenIjEEEEEE10hipError_tPvRmT3_T4_T5_T6_T7_T9_mT8_P12ihipStream_tbDpT10_ENKUlT_T0_E_clISt17integral_constantIbLb1EES18_EEDaS13_S14_EUlS13_E_NS1_11comp_targetILNS1_3genE4ELNS1_11target_archE910ELNS1_3gpuE8ELNS1_3repE0EEENS1_30default_config_static_selectorELNS0_4arch9wavefront6targetE0EEEvT1_ ; -- Begin function _ZN7rocprim17ROCPRIM_400000_NS6detail17trampoline_kernelINS0_14default_configENS1_25partition_config_selectorILNS1_17partition_subalgoE6EjNS0_10empty_typeEbEEZZNS1_14partition_implILS5_6ELb0ES3_mN6thrust23THRUST_200600_302600_NS6detail15normal_iteratorINSA_10device_ptrIjEEEEPS6_SG_NS0_5tupleIJSF_S6_EEENSH_IJSG_SG_EEES6_PlJNSB_9not_fun_tI7is_evenIjEEEEEE10hipError_tPvRmT3_T4_T5_T6_T7_T9_mT8_P12ihipStream_tbDpT10_ENKUlT_T0_E_clISt17integral_constantIbLb1EES18_EEDaS13_S14_EUlS13_E_NS1_11comp_targetILNS1_3genE4ELNS1_11target_archE910ELNS1_3gpuE8ELNS1_3repE0EEENS1_30default_config_static_selectorELNS0_4arch9wavefront6targetE0EEEvT1_
	.globl	_ZN7rocprim17ROCPRIM_400000_NS6detail17trampoline_kernelINS0_14default_configENS1_25partition_config_selectorILNS1_17partition_subalgoE6EjNS0_10empty_typeEbEEZZNS1_14partition_implILS5_6ELb0ES3_mN6thrust23THRUST_200600_302600_NS6detail15normal_iteratorINSA_10device_ptrIjEEEEPS6_SG_NS0_5tupleIJSF_S6_EEENSH_IJSG_SG_EEES6_PlJNSB_9not_fun_tI7is_evenIjEEEEEE10hipError_tPvRmT3_T4_T5_T6_T7_T9_mT8_P12ihipStream_tbDpT10_ENKUlT_T0_E_clISt17integral_constantIbLb1EES18_EEDaS13_S14_EUlS13_E_NS1_11comp_targetILNS1_3genE4ELNS1_11target_archE910ELNS1_3gpuE8ELNS1_3repE0EEENS1_30default_config_static_selectorELNS0_4arch9wavefront6targetE0EEEvT1_
	.p2align	8
	.type	_ZN7rocprim17ROCPRIM_400000_NS6detail17trampoline_kernelINS0_14default_configENS1_25partition_config_selectorILNS1_17partition_subalgoE6EjNS0_10empty_typeEbEEZZNS1_14partition_implILS5_6ELb0ES3_mN6thrust23THRUST_200600_302600_NS6detail15normal_iteratorINSA_10device_ptrIjEEEEPS6_SG_NS0_5tupleIJSF_S6_EEENSH_IJSG_SG_EEES6_PlJNSB_9not_fun_tI7is_evenIjEEEEEE10hipError_tPvRmT3_T4_T5_T6_T7_T9_mT8_P12ihipStream_tbDpT10_ENKUlT_T0_E_clISt17integral_constantIbLb1EES18_EEDaS13_S14_EUlS13_E_NS1_11comp_targetILNS1_3genE4ELNS1_11target_archE910ELNS1_3gpuE8ELNS1_3repE0EEENS1_30default_config_static_selectorELNS0_4arch9wavefront6targetE0EEEvT1_,@function
_ZN7rocprim17ROCPRIM_400000_NS6detail17trampoline_kernelINS0_14default_configENS1_25partition_config_selectorILNS1_17partition_subalgoE6EjNS0_10empty_typeEbEEZZNS1_14partition_implILS5_6ELb0ES3_mN6thrust23THRUST_200600_302600_NS6detail15normal_iteratorINSA_10device_ptrIjEEEEPS6_SG_NS0_5tupleIJSF_S6_EEENSH_IJSG_SG_EEES6_PlJNSB_9not_fun_tI7is_evenIjEEEEEE10hipError_tPvRmT3_T4_T5_T6_T7_T9_mT8_P12ihipStream_tbDpT10_ENKUlT_T0_E_clISt17integral_constantIbLb1EES18_EEDaS13_S14_EUlS13_E_NS1_11comp_targetILNS1_3genE4ELNS1_11target_archE910ELNS1_3gpuE8ELNS1_3repE0EEENS1_30default_config_static_selectorELNS0_4arch9wavefront6targetE0EEEvT1_: ; @_ZN7rocprim17ROCPRIM_400000_NS6detail17trampoline_kernelINS0_14default_configENS1_25partition_config_selectorILNS1_17partition_subalgoE6EjNS0_10empty_typeEbEEZZNS1_14partition_implILS5_6ELb0ES3_mN6thrust23THRUST_200600_302600_NS6detail15normal_iteratorINSA_10device_ptrIjEEEEPS6_SG_NS0_5tupleIJSF_S6_EEENSH_IJSG_SG_EEES6_PlJNSB_9not_fun_tI7is_evenIjEEEEEE10hipError_tPvRmT3_T4_T5_T6_T7_T9_mT8_P12ihipStream_tbDpT10_ENKUlT_T0_E_clISt17integral_constantIbLb1EES18_EEDaS13_S14_EUlS13_E_NS1_11comp_targetILNS1_3genE4ELNS1_11target_archE910ELNS1_3gpuE8ELNS1_3repE0EEENS1_30default_config_static_selectorELNS0_4arch9wavefront6targetE0EEEvT1_
; %bb.0:
	.section	.rodata,"a",@progbits
	.p2align	6, 0x0
	.amdhsa_kernel _ZN7rocprim17ROCPRIM_400000_NS6detail17trampoline_kernelINS0_14default_configENS1_25partition_config_selectorILNS1_17partition_subalgoE6EjNS0_10empty_typeEbEEZZNS1_14partition_implILS5_6ELb0ES3_mN6thrust23THRUST_200600_302600_NS6detail15normal_iteratorINSA_10device_ptrIjEEEEPS6_SG_NS0_5tupleIJSF_S6_EEENSH_IJSG_SG_EEES6_PlJNSB_9not_fun_tI7is_evenIjEEEEEE10hipError_tPvRmT3_T4_T5_T6_T7_T9_mT8_P12ihipStream_tbDpT10_ENKUlT_T0_E_clISt17integral_constantIbLb1EES18_EEDaS13_S14_EUlS13_E_NS1_11comp_targetILNS1_3genE4ELNS1_11target_archE910ELNS1_3gpuE8ELNS1_3repE0EEENS1_30default_config_static_selectorELNS0_4arch9wavefront6targetE0EEEvT1_
		.amdhsa_group_segment_fixed_size 0
		.amdhsa_private_segment_fixed_size 0
		.amdhsa_kernarg_size 128
		.amdhsa_user_sgpr_count 2
		.amdhsa_user_sgpr_dispatch_ptr 0
		.amdhsa_user_sgpr_queue_ptr 0
		.amdhsa_user_sgpr_kernarg_segment_ptr 1
		.amdhsa_user_sgpr_dispatch_id 0
		.amdhsa_user_sgpr_private_segment_size 0
		.amdhsa_wavefront_size32 1
		.amdhsa_uses_dynamic_stack 0
		.amdhsa_enable_private_segment 0
		.amdhsa_system_sgpr_workgroup_id_x 1
		.amdhsa_system_sgpr_workgroup_id_y 0
		.amdhsa_system_sgpr_workgroup_id_z 0
		.amdhsa_system_sgpr_workgroup_info 0
		.amdhsa_system_vgpr_workitem_id 0
		.amdhsa_next_free_vgpr 1
		.amdhsa_next_free_sgpr 1
		.amdhsa_reserve_vcc 0
		.amdhsa_float_round_mode_32 0
		.amdhsa_float_round_mode_16_64 0
		.amdhsa_float_denorm_mode_32 3
		.amdhsa_float_denorm_mode_16_64 3
		.amdhsa_fp16_overflow 0
		.amdhsa_workgroup_processor_mode 1
		.amdhsa_memory_ordered 1
		.amdhsa_forward_progress 1
		.amdhsa_inst_pref_size 0
		.amdhsa_round_robin_scheduling 0
		.amdhsa_exception_fp_ieee_invalid_op 0
		.amdhsa_exception_fp_denorm_src 0
		.amdhsa_exception_fp_ieee_div_zero 0
		.amdhsa_exception_fp_ieee_overflow 0
		.amdhsa_exception_fp_ieee_underflow 0
		.amdhsa_exception_fp_ieee_inexact 0
		.amdhsa_exception_int_div_zero 0
	.end_amdhsa_kernel
	.section	.text._ZN7rocprim17ROCPRIM_400000_NS6detail17trampoline_kernelINS0_14default_configENS1_25partition_config_selectorILNS1_17partition_subalgoE6EjNS0_10empty_typeEbEEZZNS1_14partition_implILS5_6ELb0ES3_mN6thrust23THRUST_200600_302600_NS6detail15normal_iteratorINSA_10device_ptrIjEEEEPS6_SG_NS0_5tupleIJSF_S6_EEENSH_IJSG_SG_EEES6_PlJNSB_9not_fun_tI7is_evenIjEEEEEE10hipError_tPvRmT3_T4_T5_T6_T7_T9_mT8_P12ihipStream_tbDpT10_ENKUlT_T0_E_clISt17integral_constantIbLb1EES18_EEDaS13_S14_EUlS13_E_NS1_11comp_targetILNS1_3genE4ELNS1_11target_archE910ELNS1_3gpuE8ELNS1_3repE0EEENS1_30default_config_static_selectorELNS0_4arch9wavefront6targetE0EEEvT1_,"axG",@progbits,_ZN7rocprim17ROCPRIM_400000_NS6detail17trampoline_kernelINS0_14default_configENS1_25partition_config_selectorILNS1_17partition_subalgoE6EjNS0_10empty_typeEbEEZZNS1_14partition_implILS5_6ELb0ES3_mN6thrust23THRUST_200600_302600_NS6detail15normal_iteratorINSA_10device_ptrIjEEEEPS6_SG_NS0_5tupleIJSF_S6_EEENSH_IJSG_SG_EEES6_PlJNSB_9not_fun_tI7is_evenIjEEEEEE10hipError_tPvRmT3_T4_T5_T6_T7_T9_mT8_P12ihipStream_tbDpT10_ENKUlT_T0_E_clISt17integral_constantIbLb1EES18_EEDaS13_S14_EUlS13_E_NS1_11comp_targetILNS1_3genE4ELNS1_11target_archE910ELNS1_3gpuE8ELNS1_3repE0EEENS1_30default_config_static_selectorELNS0_4arch9wavefront6targetE0EEEvT1_,comdat
.Lfunc_end639:
	.size	_ZN7rocprim17ROCPRIM_400000_NS6detail17trampoline_kernelINS0_14default_configENS1_25partition_config_selectorILNS1_17partition_subalgoE6EjNS0_10empty_typeEbEEZZNS1_14partition_implILS5_6ELb0ES3_mN6thrust23THRUST_200600_302600_NS6detail15normal_iteratorINSA_10device_ptrIjEEEEPS6_SG_NS0_5tupleIJSF_S6_EEENSH_IJSG_SG_EEES6_PlJNSB_9not_fun_tI7is_evenIjEEEEEE10hipError_tPvRmT3_T4_T5_T6_T7_T9_mT8_P12ihipStream_tbDpT10_ENKUlT_T0_E_clISt17integral_constantIbLb1EES18_EEDaS13_S14_EUlS13_E_NS1_11comp_targetILNS1_3genE4ELNS1_11target_archE910ELNS1_3gpuE8ELNS1_3repE0EEENS1_30default_config_static_selectorELNS0_4arch9wavefront6targetE0EEEvT1_, .Lfunc_end639-_ZN7rocprim17ROCPRIM_400000_NS6detail17trampoline_kernelINS0_14default_configENS1_25partition_config_selectorILNS1_17partition_subalgoE6EjNS0_10empty_typeEbEEZZNS1_14partition_implILS5_6ELb0ES3_mN6thrust23THRUST_200600_302600_NS6detail15normal_iteratorINSA_10device_ptrIjEEEEPS6_SG_NS0_5tupleIJSF_S6_EEENSH_IJSG_SG_EEES6_PlJNSB_9not_fun_tI7is_evenIjEEEEEE10hipError_tPvRmT3_T4_T5_T6_T7_T9_mT8_P12ihipStream_tbDpT10_ENKUlT_T0_E_clISt17integral_constantIbLb1EES18_EEDaS13_S14_EUlS13_E_NS1_11comp_targetILNS1_3genE4ELNS1_11target_archE910ELNS1_3gpuE8ELNS1_3repE0EEENS1_30default_config_static_selectorELNS0_4arch9wavefront6targetE0EEEvT1_
                                        ; -- End function
	.set _ZN7rocprim17ROCPRIM_400000_NS6detail17trampoline_kernelINS0_14default_configENS1_25partition_config_selectorILNS1_17partition_subalgoE6EjNS0_10empty_typeEbEEZZNS1_14partition_implILS5_6ELb0ES3_mN6thrust23THRUST_200600_302600_NS6detail15normal_iteratorINSA_10device_ptrIjEEEEPS6_SG_NS0_5tupleIJSF_S6_EEENSH_IJSG_SG_EEES6_PlJNSB_9not_fun_tI7is_evenIjEEEEEE10hipError_tPvRmT3_T4_T5_T6_T7_T9_mT8_P12ihipStream_tbDpT10_ENKUlT_T0_E_clISt17integral_constantIbLb1EES18_EEDaS13_S14_EUlS13_E_NS1_11comp_targetILNS1_3genE4ELNS1_11target_archE910ELNS1_3gpuE8ELNS1_3repE0EEENS1_30default_config_static_selectorELNS0_4arch9wavefront6targetE0EEEvT1_.num_vgpr, 0
	.set _ZN7rocprim17ROCPRIM_400000_NS6detail17trampoline_kernelINS0_14default_configENS1_25partition_config_selectorILNS1_17partition_subalgoE6EjNS0_10empty_typeEbEEZZNS1_14partition_implILS5_6ELb0ES3_mN6thrust23THRUST_200600_302600_NS6detail15normal_iteratorINSA_10device_ptrIjEEEEPS6_SG_NS0_5tupleIJSF_S6_EEENSH_IJSG_SG_EEES6_PlJNSB_9not_fun_tI7is_evenIjEEEEEE10hipError_tPvRmT3_T4_T5_T6_T7_T9_mT8_P12ihipStream_tbDpT10_ENKUlT_T0_E_clISt17integral_constantIbLb1EES18_EEDaS13_S14_EUlS13_E_NS1_11comp_targetILNS1_3genE4ELNS1_11target_archE910ELNS1_3gpuE8ELNS1_3repE0EEENS1_30default_config_static_selectorELNS0_4arch9wavefront6targetE0EEEvT1_.num_agpr, 0
	.set _ZN7rocprim17ROCPRIM_400000_NS6detail17trampoline_kernelINS0_14default_configENS1_25partition_config_selectorILNS1_17partition_subalgoE6EjNS0_10empty_typeEbEEZZNS1_14partition_implILS5_6ELb0ES3_mN6thrust23THRUST_200600_302600_NS6detail15normal_iteratorINSA_10device_ptrIjEEEEPS6_SG_NS0_5tupleIJSF_S6_EEENSH_IJSG_SG_EEES6_PlJNSB_9not_fun_tI7is_evenIjEEEEEE10hipError_tPvRmT3_T4_T5_T6_T7_T9_mT8_P12ihipStream_tbDpT10_ENKUlT_T0_E_clISt17integral_constantIbLb1EES18_EEDaS13_S14_EUlS13_E_NS1_11comp_targetILNS1_3genE4ELNS1_11target_archE910ELNS1_3gpuE8ELNS1_3repE0EEENS1_30default_config_static_selectorELNS0_4arch9wavefront6targetE0EEEvT1_.numbered_sgpr, 0
	.set _ZN7rocprim17ROCPRIM_400000_NS6detail17trampoline_kernelINS0_14default_configENS1_25partition_config_selectorILNS1_17partition_subalgoE6EjNS0_10empty_typeEbEEZZNS1_14partition_implILS5_6ELb0ES3_mN6thrust23THRUST_200600_302600_NS6detail15normal_iteratorINSA_10device_ptrIjEEEEPS6_SG_NS0_5tupleIJSF_S6_EEENSH_IJSG_SG_EEES6_PlJNSB_9not_fun_tI7is_evenIjEEEEEE10hipError_tPvRmT3_T4_T5_T6_T7_T9_mT8_P12ihipStream_tbDpT10_ENKUlT_T0_E_clISt17integral_constantIbLb1EES18_EEDaS13_S14_EUlS13_E_NS1_11comp_targetILNS1_3genE4ELNS1_11target_archE910ELNS1_3gpuE8ELNS1_3repE0EEENS1_30default_config_static_selectorELNS0_4arch9wavefront6targetE0EEEvT1_.num_named_barrier, 0
	.set _ZN7rocprim17ROCPRIM_400000_NS6detail17trampoline_kernelINS0_14default_configENS1_25partition_config_selectorILNS1_17partition_subalgoE6EjNS0_10empty_typeEbEEZZNS1_14partition_implILS5_6ELb0ES3_mN6thrust23THRUST_200600_302600_NS6detail15normal_iteratorINSA_10device_ptrIjEEEEPS6_SG_NS0_5tupleIJSF_S6_EEENSH_IJSG_SG_EEES6_PlJNSB_9not_fun_tI7is_evenIjEEEEEE10hipError_tPvRmT3_T4_T5_T6_T7_T9_mT8_P12ihipStream_tbDpT10_ENKUlT_T0_E_clISt17integral_constantIbLb1EES18_EEDaS13_S14_EUlS13_E_NS1_11comp_targetILNS1_3genE4ELNS1_11target_archE910ELNS1_3gpuE8ELNS1_3repE0EEENS1_30default_config_static_selectorELNS0_4arch9wavefront6targetE0EEEvT1_.private_seg_size, 0
	.set _ZN7rocprim17ROCPRIM_400000_NS6detail17trampoline_kernelINS0_14default_configENS1_25partition_config_selectorILNS1_17partition_subalgoE6EjNS0_10empty_typeEbEEZZNS1_14partition_implILS5_6ELb0ES3_mN6thrust23THRUST_200600_302600_NS6detail15normal_iteratorINSA_10device_ptrIjEEEEPS6_SG_NS0_5tupleIJSF_S6_EEENSH_IJSG_SG_EEES6_PlJNSB_9not_fun_tI7is_evenIjEEEEEE10hipError_tPvRmT3_T4_T5_T6_T7_T9_mT8_P12ihipStream_tbDpT10_ENKUlT_T0_E_clISt17integral_constantIbLb1EES18_EEDaS13_S14_EUlS13_E_NS1_11comp_targetILNS1_3genE4ELNS1_11target_archE910ELNS1_3gpuE8ELNS1_3repE0EEENS1_30default_config_static_selectorELNS0_4arch9wavefront6targetE0EEEvT1_.uses_vcc, 0
	.set _ZN7rocprim17ROCPRIM_400000_NS6detail17trampoline_kernelINS0_14default_configENS1_25partition_config_selectorILNS1_17partition_subalgoE6EjNS0_10empty_typeEbEEZZNS1_14partition_implILS5_6ELb0ES3_mN6thrust23THRUST_200600_302600_NS6detail15normal_iteratorINSA_10device_ptrIjEEEEPS6_SG_NS0_5tupleIJSF_S6_EEENSH_IJSG_SG_EEES6_PlJNSB_9not_fun_tI7is_evenIjEEEEEE10hipError_tPvRmT3_T4_T5_T6_T7_T9_mT8_P12ihipStream_tbDpT10_ENKUlT_T0_E_clISt17integral_constantIbLb1EES18_EEDaS13_S14_EUlS13_E_NS1_11comp_targetILNS1_3genE4ELNS1_11target_archE910ELNS1_3gpuE8ELNS1_3repE0EEENS1_30default_config_static_selectorELNS0_4arch9wavefront6targetE0EEEvT1_.uses_flat_scratch, 0
	.set _ZN7rocprim17ROCPRIM_400000_NS6detail17trampoline_kernelINS0_14default_configENS1_25partition_config_selectorILNS1_17partition_subalgoE6EjNS0_10empty_typeEbEEZZNS1_14partition_implILS5_6ELb0ES3_mN6thrust23THRUST_200600_302600_NS6detail15normal_iteratorINSA_10device_ptrIjEEEEPS6_SG_NS0_5tupleIJSF_S6_EEENSH_IJSG_SG_EEES6_PlJNSB_9not_fun_tI7is_evenIjEEEEEE10hipError_tPvRmT3_T4_T5_T6_T7_T9_mT8_P12ihipStream_tbDpT10_ENKUlT_T0_E_clISt17integral_constantIbLb1EES18_EEDaS13_S14_EUlS13_E_NS1_11comp_targetILNS1_3genE4ELNS1_11target_archE910ELNS1_3gpuE8ELNS1_3repE0EEENS1_30default_config_static_selectorELNS0_4arch9wavefront6targetE0EEEvT1_.has_dyn_sized_stack, 0
	.set _ZN7rocprim17ROCPRIM_400000_NS6detail17trampoline_kernelINS0_14default_configENS1_25partition_config_selectorILNS1_17partition_subalgoE6EjNS0_10empty_typeEbEEZZNS1_14partition_implILS5_6ELb0ES3_mN6thrust23THRUST_200600_302600_NS6detail15normal_iteratorINSA_10device_ptrIjEEEEPS6_SG_NS0_5tupleIJSF_S6_EEENSH_IJSG_SG_EEES6_PlJNSB_9not_fun_tI7is_evenIjEEEEEE10hipError_tPvRmT3_T4_T5_T6_T7_T9_mT8_P12ihipStream_tbDpT10_ENKUlT_T0_E_clISt17integral_constantIbLb1EES18_EEDaS13_S14_EUlS13_E_NS1_11comp_targetILNS1_3genE4ELNS1_11target_archE910ELNS1_3gpuE8ELNS1_3repE0EEENS1_30default_config_static_selectorELNS0_4arch9wavefront6targetE0EEEvT1_.has_recursion, 0
	.set _ZN7rocprim17ROCPRIM_400000_NS6detail17trampoline_kernelINS0_14default_configENS1_25partition_config_selectorILNS1_17partition_subalgoE6EjNS0_10empty_typeEbEEZZNS1_14partition_implILS5_6ELb0ES3_mN6thrust23THRUST_200600_302600_NS6detail15normal_iteratorINSA_10device_ptrIjEEEEPS6_SG_NS0_5tupleIJSF_S6_EEENSH_IJSG_SG_EEES6_PlJNSB_9not_fun_tI7is_evenIjEEEEEE10hipError_tPvRmT3_T4_T5_T6_T7_T9_mT8_P12ihipStream_tbDpT10_ENKUlT_T0_E_clISt17integral_constantIbLb1EES18_EEDaS13_S14_EUlS13_E_NS1_11comp_targetILNS1_3genE4ELNS1_11target_archE910ELNS1_3gpuE8ELNS1_3repE0EEENS1_30default_config_static_selectorELNS0_4arch9wavefront6targetE0EEEvT1_.has_indirect_call, 0
	.section	.AMDGPU.csdata,"",@progbits
; Kernel info:
; codeLenInByte = 0
; TotalNumSgprs: 0
; NumVgprs: 0
; ScratchSize: 0
; MemoryBound: 0
; FloatMode: 240
; IeeeMode: 1
; LDSByteSize: 0 bytes/workgroup (compile time only)
; SGPRBlocks: 0
; VGPRBlocks: 0
; NumSGPRsForWavesPerEU: 1
; NumVGPRsForWavesPerEU: 1
; Occupancy: 16
; WaveLimiterHint : 0
; COMPUTE_PGM_RSRC2:SCRATCH_EN: 0
; COMPUTE_PGM_RSRC2:USER_SGPR: 2
; COMPUTE_PGM_RSRC2:TRAP_HANDLER: 0
; COMPUTE_PGM_RSRC2:TGID_X_EN: 1
; COMPUTE_PGM_RSRC2:TGID_Y_EN: 0
; COMPUTE_PGM_RSRC2:TGID_Z_EN: 0
; COMPUTE_PGM_RSRC2:TIDIG_COMP_CNT: 0
	.section	.text._ZN7rocprim17ROCPRIM_400000_NS6detail17trampoline_kernelINS0_14default_configENS1_25partition_config_selectorILNS1_17partition_subalgoE6EjNS0_10empty_typeEbEEZZNS1_14partition_implILS5_6ELb0ES3_mN6thrust23THRUST_200600_302600_NS6detail15normal_iteratorINSA_10device_ptrIjEEEEPS6_SG_NS0_5tupleIJSF_S6_EEENSH_IJSG_SG_EEES6_PlJNSB_9not_fun_tI7is_evenIjEEEEEE10hipError_tPvRmT3_T4_T5_T6_T7_T9_mT8_P12ihipStream_tbDpT10_ENKUlT_T0_E_clISt17integral_constantIbLb1EES18_EEDaS13_S14_EUlS13_E_NS1_11comp_targetILNS1_3genE3ELNS1_11target_archE908ELNS1_3gpuE7ELNS1_3repE0EEENS1_30default_config_static_selectorELNS0_4arch9wavefront6targetE0EEEvT1_,"axG",@progbits,_ZN7rocprim17ROCPRIM_400000_NS6detail17trampoline_kernelINS0_14default_configENS1_25partition_config_selectorILNS1_17partition_subalgoE6EjNS0_10empty_typeEbEEZZNS1_14partition_implILS5_6ELb0ES3_mN6thrust23THRUST_200600_302600_NS6detail15normal_iteratorINSA_10device_ptrIjEEEEPS6_SG_NS0_5tupleIJSF_S6_EEENSH_IJSG_SG_EEES6_PlJNSB_9not_fun_tI7is_evenIjEEEEEE10hipError_tPvRmT3_T4_T5_T6_T7_T9_mT8_P12ihipStream_tbDpT10_ENKUlT_T0_E_clISt17integral_constantIbLb1EES18_EEDaS13_S14_EUlS13_E_NS1_11comp_targetILNS1_3genE3ELNS1_11target_archE908ELNS1_3gpuE7ELNS1_3repE0EEENS1_30default_config_static_selectorELNS0_4arch9wavefront6targetE0EEEvT1_,comdat
	.protected	_ZN7rocprim17ROCPRIM_400000_NS6detail17trampoline_kernelINS0_14default_configENS1_25partition_config_selectorILNS1_17partition_subalgoE6EjNS0_10empty_typeEbEEZZNS1_14partition_implILS5_6ELb0ES3_mN6thrust23THRUST_200600_302600_NS6detail15normal_iteratorINSA_10device_ptrIjEEEEPS6_SG_NS0_5tupleIJSF_S6_EEENSH_IJSG_SG_EEES6_PlJNSB_9not_fun_tI7is_evenIjEEEEEE10hipError_tPvRmT3_T4_T5_T6_T7_T9_mT8_P12ihipStream_tbDpT10_ENKUlT_T0_E_clISt17integral_constantIbLb1EES18_EEDaS13_S14_EUlS13_E_NS1_11comp_targetILNS1_3genE3ELNS1_11target_archE908ELNS1_3gpuE7ELNS1_3repE0EEENS1_30default_config_static_selectorELNS0_4arch9wavefront6targetE0EEEvT1_ ; -- Begin function _ZN7rocprim17ROCPRIM_400000_NS6detail17trampoline_kernelINS0_14default_configENS1_25partition_config_selectorILNS1_17partition_subalgoE6EjNS0_10empty_typeEbEEZZNS1_14partition_implILS5_6ELb0ES3_mN6thrust23THRUST_200600_302600_NS6detail15normal_iteratorINSA_10device_ptrIjEEEEPS6_SG_NS0_5tupleIJSF_S6_EEENSH_IJSG_SG_EEES6_PlJNSB_9not_fun_tI7is_evenIjEEEEEE10hipError_tPvRmT3_T4_T5_T6_T7_T9_mT8_P12ihipStream_tbDpT10_ENKUlT_T0_E_clISt17integral_constantIbLb1EES18_EEDaS13_S14_EUlS13_E_NS1_11comp_targetILNS1_3genE3ELNS1_11target_archE908ELNS1_3gpuE7ELNS1_3repE0EEENS1_30default_config_static_selectorELNS0_4arch9wavefront6targetE0EEEvT1_
	.globl	_ZN7rocprim17ROCPRIM_400000_NS6detail17trampoline_kernelINS0_14default_configENS1_25partition_config_selectorILNS1_17partition_subalgoE6EjNS0_10empty_typeEbEEZZNS1_14partition_implILS5_6ELb0ES3_mN6thrust23THRUST_200600_302600_NS6detail15normal_iteratorINSA_10device_ptrIjEEEEPS6_SG_NS0_5tupleIJSF_S6_EEENSH_IJSG_SG_EEES6_PlJNSB_9not_fun_tI7is_evenIjEEEEEE10hipError_tPvRmT3_T4_T5_T6_T7_T9_mT8_P12ihipStream_tbDpT10_ENKUlT_T0_E_clISt17integral_constantIbLb1EES18_EEDaS13_S14_EUlS13_E_NS1_11comp_targetILNS1_3genE3ELNS1_11target_archE908ELNS1_3gpuE7ELNS1_3repE0EEENS1_30default_config_static_selectorELNS0_4arch9wavefront6targetE0EEEvT1_
	.p2align	8
	.type	_ZN7rocprim17ROCPRIM_400000_NS6detail17trampoline_kernelINS0_14default_configENS1_25partition_config_selectorILNS1_17partition_subalgoE6EjNS0_10empty_typeEbEEZZNS1_14partition_implILS5_6ELb0ES3_mN6thrust23THRUST_200600_302600_NS6detail15normal_iteratorINSA_10device_ptrIjEEEEPS6_SG_NS0_5tupleIJSF_S6_EEENSH_IJSG_SG_EEES6_PlJNSB_9not_fun_tI7is_evenIjEEEEEE10hipError_tPvRmT3_T4_T5_T6_T7_T9_mT8_P12ihipStream_tbDpT10_ENKUlT_T0_E_clISt17integral_constantIbLb1EES18_EEDaS13_S14_EUlS13_E_NS1_11comp_targetILNS1_3genE3ELNS1_11target_archE908ELNS1_3gpuE7ELNS1_3repE0EEENS1_30default_config_static_selectorELNS0_4arch9wavefront6targetE0EEEvT1_,@function
_ZN7rocprim17ROCPRIM_400000_NS6detail17trampoline_kernelINS0_14default_configENS1_25partition_config_selectorILNS1_17partition_subalgoE6EjNS0_10empty_typeEbEEZZNS1_14partition_implILS5_6ELb0ES3_mN6thrust23THRUST_200600_302600_NS6detail15normal_iteratorINSA_10device_ptrIjEEEEPS6_SG_NS0_5tupleIJSF_S6_EEENSH_IJSG_SG_EEES6_PlJNSB_9not_fun_tI7is_evenIjEEEEEE10hipError_tPvRmT3_T4_T5_T6_T7_T9_mT8_P12ihipStream_tbDpT10_ENKUlT_T0_E_clISt17integral_constantIbLb1EES18_EEDaS13_S14_EUlS13_E_NS1_11comp_targetILNS1_3genE3ELNS1_11target_archE908ELNS1_3gpuE7ELNS1_3repE0EEENS1_30default_config_static_selectorELNS0_4arch9wavefront6targetE0EEEvT1_: ; @_ZN7rocprim17ROCPRIM_400000_NS6detail17trampoline_kernelINS0_14default_configENS1_25partition_config_selectorILNS1_17partition_subalgoE6EjNS0_10empty_typeEbEEZZNS1_14partition_implILS5_6ELb0ES3_mN6thrust23THRUST_200600_302600_NS6detail15normal_iteratorINSA_10device_ptrIjEEEEPS6_SG_NS0_5tupleIJSF_S6_EEENSH_IJSG_SG_EEES6_PlJNSB_9not_fun_tI7is_evenIjEEEEEE10hipError_tPvRmT3_T4_T5_T6_T7_T9_mT8_P12ihipStream_tbDpT10_ENKUlT_T0_E_clISt17integral_constantIbLb1EES18_EEDaS13_S14_EUlS13_E_NS1_11comp_targetILNS1_3genE3ELNS1_11target_archE908ELNS1_3gpuE7ELNS1_3repE0EEENS1_30default_config_static_selectorELNS0_4arch9wavefront6targetE0EEEvT1_
; %bb.0:
	.section	.rodata,"a",@progbits
	.p2align	6, 0x0
	.amdhsa_kernel _ZN7rocprim17ROCPRIM_400000_NS6detail17trampoline_kernelINS0_14default_configENS1_25partition_config_selectorILNS1_17partition_subalgoE6EjNS0_10empty_typeEbEEZZNS1_14partition_implILS5_6ELb0ES3_mN6thrust23THRUST_200600_302600_NS6detail15normal_iteratorINSA_10device_ptrIjEEEEPS6_SG_NS0_5tupleIJSF_S6_EEENSH_IJSG_SG_EEES6_PlJNSB_9not_fun_tI7is_evenIjEEEEEE10hipError_tPvRmT3_T4_T5_T6_T7_T9_mT8_P12ihipStream_tbDpT10_ENKUlT_T0_E_clISt17integral_constantIbLb1EES18_EEDaS13_S14_EUlS13_E_NS1_11comp_targetILNS1_3genE3ELNS1_11target_archE908ELNS1_3gpuE7ELNS1_3repE0EEENS1_30default_config_static_selectorELNS0_4arch9wavefront6targetE0EEEvT1_
		.amdhsa_group_segment_fixed_size 0
		.amdhsa_private_segment_fixed_size 0
		.amdhsa_kernarg_size 128
		.amdhsa_user_sgpr_count 2
		.amdhsa_user_sgpr_dispatch_ptr 0
		.amdhsa_user_sgpr_queue_ptr 0
		.amdhsa_user_sgpr_kernarg_segment_ptr 1
		.amdhsa_user_sgpr_dispatch_id 0
		.amdhsa_user_sgpr_private_segment_size 0
		.amdhsa_wavefront_size32 1
		.amdhsa_uses_dynamic_stack 0
		.amdhsa_enable_private_segment 0
		.amdhsa_system_sgpr_workgroup_id_x 1
		.amdhsa_system_sgpr_workgroup_id_y 0
		.amdhsa_system_sgpr_workgroup_id_z 0
		.amdhsa_system_sgpr_workgroup_info 0
		.amdhsa_system_vgpr_workitem_id 0
		.amdhsa_next_free_vgpr 1
		.amdhsa_next_free_sgpr 1
		.amdhsa_reserve_vcc 0
		.amdhsa_float_round_mode_32 0
		.amdhsa_float_round_mode_16_64 0
		.amdhsa_float_denorm_mode_32 3
		.amdhsa_float_denorm_mode_16_64 3
		.amdhsa_fp16_overflow 0
		.amdhsa_workgroup_processor_mode 1
		.amdhsa_memory_ordered 1
		.amdhsa_forward_progress 1
		.amdhsa_inst_pref_size 0
		.amdhsa_round_robin_scheduling 0
		.amdhsa_exception_fp_ieee_invalid_op 0
		.amdhsa_exception_fp_denorm_src 0
		.amdhsa_exception_fp_ieee_div_zero 0
		.amdhsa_exception_fp_ieee_overflow 0
		.amdhsa_exception_fp_ieee_underflow 0
		.amdhsa_exception_fp_ieee_inexact 0
		.amdhsa_exception_int_div_zero 0
	.end_amdhsa_kernel
	.section	.text._ZN7rocprim17ROCPRIM_400000_NS6detail17trampoline_kernelINS0_14default_configENS1_25partition_config_selectorILNS1_17partition_subalgoE6EjNS0_10empty_typeEbEEZZNS1_14partition_implILS5_6ELb0ES3_mN6thrust23THRUST_200600_302600_NS6detail15normal_iteratorINSA_10device_ptrIjEEEEPS6_SG_NS0_5tupleIJSF_S6_EEENSH_IJSG_SG_EEES6_PlJNSB_9not_fun_tI7is_evenIjEEEEEE10hipError_tPvRmT3_T4_T5_T6_T7_T9_mT8_P12ihipStream_tbDpT10_ENKUlT_T0_E_clISt17integral_constantIbLb1EES18_EEDaS13_S14_EUlS13_E_NS1_11comp_targetILNS1_3genE3ELNS1_11target_archE908ELNS1_3gpuE7ELNS1_3repE0EEENS1_30default_config_static_selectorELNS0_4arch9wavefront6targetE0EEEvT1_,"axG",@progbits,_ZN7rocprim17ROCPRIM_400000_NS6detail17trampoline_kernelINS0_14default_configENS1_25partition_config_selectorILNS1_17partition_subalgoE6EjNS0_10empty_typeEbEEZZNS1_14partition_implILS5_6ELb0ES3_mN6thrust23THRUST_200600_302600_NS6detail15normal_iteratorINSA_10device_ptrIjEEEEPS6_SG_NS0_5tupleIJSF_S6_EEENSH_IJSG_SG_EEES6_PlJNSB_9not_fun_tI7is_evenIjEEEEEE10hipError_tPvRmT3_T4_T5_T6_T7_T9_mT8_P12ihipStream_tbDpT10_ENKUlT_T0_E_clISt17integral_constantIbLb1EES18_EEDaS13_S14_EUlS13_E_NS1_11comp_targetILNS1_3genE3ELNS1_11target_archE908ELNS1_3gpuE7ELNS1_3repE0EEENS1_30default_config_static_selectorELNS0_4arch9wavefront6targetE0EEEvT1_,comdat
.Lfunc_end640:
	.size	_ZN7rocprim17ROCPRIM_400000_NS6detail17trampoline_kernelINS0_14default_configENS1_25partition_config_selectorILNS1_17partition_subalgoE6EjNS0_10empty_typeEbEEZZNS1_14partition_implILS5_6ELb0ES3_mN6thrust23THRUST_200600_302600_NS6detail15normal_iteratorINSA_10device_ptrIjEEEEPS6_SG_NS0_5tupleIJSF_S6_EEENSH_IJSG_SG_EEES6_PlJNSB_9not_fun_tI7is_evenIjEEEEEE10hipError_tPvRmT3_T4_T5_T6_T7_T9_mT8_P12ihipStream_tbDpT10_ENKUlT_T0_E_clISt17integral_constantIbLb1EES18_EEDaS13_S14_EUlS13_E_NS1_11comp_targetILNS1_3genE3ELNS1_11target_archE908ELNS1_3gpuE7ELNS1_3repE0EEENS1_30default_config_static_selectorELNS0_4arch9wavefront6targetE0EEEvT1_, .Lfunc_end640-_ZN7rocprim17ROCPRIM_400000_NS6detail17trampoline_kernelINS0_14default_configENS1_25partition_config_selectorILNS1_17partition_subalgoE6EjNS0_10empty_typeEbEEZZNS1_14partition_implILS5_6ELb0ES3_mN6thrust23THRUST_200600_302600_NS6detail15normal_iteratorINSA_10device_ptrIjEEEEPS6_SG_NS0_5tupleIJSF_S6_EEENSH_IJSG_SG_EEES6_PlJNSB_9not_fun_tI7is_evenIjEEEEEE10hipError_tPvRmT3_T4_T5_T6_T7_T9_mT8_P12ihipStream_tbDpT10_ENKUlT_T0_E_clISt17integral_constantIbLb1EES18_EEDaS13_S14_EUlS13_E_NS1_11comp_targetILNS1_3genE3ELNS1_11target_archE908ELNS1_3gpuE7ELNS1_3repE0EEENS1_30default_config_static_selectorELNS0_4arch9wavefront6targetE0EEEvT1_
                                        ; -- End function
	.set _ZN7rocprim17ROCPRIM_400000_NS6detail17trampoline_kernelINS0_14default_configENS1_25partition_config_selectorILNS1_17partition_subalgoE6EjNS0_10empty_typeEbEEZZNS1_14partition_implILS5_6ELb0ES3_mN6thrust23THRUST_200600_302600_NS6detail15normal_iteratorINSA_10device_ptrIjEEEEPS6_SG_NS0_5tupleIJSF_S6_EEENSH_IJSG_SG_EEES6_PlJNSB_9not_fun_tI7is_evenIjEEEEEE10hipError_tPvRmT3_T4_T5_T6_T7_T9_mT8_P12ihipStream_tbDpT10_ENKUlT_T0_E_clISt17integral_constantIbLb1EES18_EEDaS13_S14_EUlS13_E_NS1_11comp_targetILNS1_3genE3ELNS1_11target_archE908ELNS1_3gpuE7ELNS1_3repE0EEENS1_30default_config_static_selectorELNS0_4arch9wavefront6targetE0EEEvT1_.num_vgpr, 0
	.set _ZN7rocprim17ROCPRIM_400000_NS6detail17trampoline_kernelINS0_14default_configENS1_25partition_config_selectorILNS1_17partition_subalgoE6EjNS0_10empty_typeEbEEZZNS1_14partition_implILS5_6ELb0ES3_mN6thrust23THRUST_200600_302600_NS6detail15normal_iteratorINSA_10device_ptrIjEEEEPS6_SG_NS0_5tupleIJSF_S6_EEENSH_IJSG_SG_EEES6_PlJNSB_9not_fun_tI7is_evenIjEEEEEE10hipError_tPvRmT3_T4_T5_T6_T7_T9_mT8_P12ihipStream_tbDpT10_ENKUlT_T0_E_clISt17integral_constantIbLb1EES18_EEDaS13_S14_EUlS13_E_NS1_11comp_targetILNS1_3genE3ELNS1_11target_archE908ELNS1_3gpuE7ELNS1_3repE0EEENS1_30default_config_static_selectorELNS0_4arch9wavefront6targetE0EEEvT1_.num_agpr, 0
	.set _ZN7rocprim17ROCPRIM_400000_NS6detail17trampoline_kernelINS0_14default_configENS1_25partition_config_selectorILNS1_17partition_subalgoE6EjNS0_10empty_typeEbEEZZNS1_14partition_implILS5_6ELb0ES3_mN6thrust23THRUST_200600_302600_NS6detail15normal_iteratorINSA_10device_ptrIjEEEEPS6_SG_NS0_5tupleIJSF_S6_EEENSH_IJSG_SG_EEES6_PlJNSB_9not_fun_tI7is_evenIjEEEEEE10hipError_tPvRmT3_T4_T5_T6_T7_T9_mT8_P12ihipStream_tbDpT10_ENKUlT_T0_E_clISt17integral_constantIbLb1EES18_EEDaS13_S14_EUlS13_E_NS1_11comp_targetILNS1_3genE3ELNS1_11target_archE908ELNS1_3gpuE7ELNS1_3repE0EEENS1_30default_config_static_selectorELNS0_4arch9wavefront6targetE0EEEvT1_.numbered_sgpr, 0
	.set _ZN7rocprim17ROCPRIM_400000_NS6detail17trampoline_kernelINS0_14default_configENS1_25partition_config_selectorILNS1_17partition_subalgoE6EjNS0_10empty_typeEbEEZZNS1_14partition_implILS5_6ELb0ES3_mN6thrust23THRUST_200600_302600_NS6detail15normal_iteratorINSA_10device_ptrIjEEEEPS6_SG_NS0_5tupleIJSF_S6_EEENSH_IJSG_SG_EEES6_PlJNSB_9not_fun_tI7is_evenIjEEEEEE10hipError_tPvRmT3_T4_T5_T6_T7_T9_mT8_P12ihipStream_tbDpT10_ENKUlT_T0_E_clISt17integral_constantIbLb1EES18_EEDaS13_S14_EUlS13_E_NS1_11comp_targetILNS1_3genE3ELNS1_11target_archE908ELNS1_3gpuE7ELNS1_3repE0EEENS1_30default_config_static_selectorELNS0_4arch9wavefront6targetE0EEEvT1_.num_named_barrier, 0
	.set _ZN7rocprim17ROCPRIM_400000_NS6detail17trampoline_kernelINS0_14default_configENS1_25partition_config_selectorILNS1_17partition_subalgoE6EjNS0_10empty_typeEbEEZZNS1_14partition_implILS5_6ELb0ES3_mN6thrust23THRUST_200600_302600_NS6detail15normal_iteratorINSA_10device_ptrIjEEEEPS6_SG_NS0_5tupleIJSF_S6_EEENSH_IJSG_SG_EEES6_PlJNSB_9not_fun_tI7is_evenIjEEEEEE10hipError_tPvRmT3_T4_T5_T6_T7_T9_mT8_P12ihipStream_tbDpT10_ENKUlT_T0_E_clISt17integral_constantIbLb1EES18_EEDaS13_S14_EUlS13_E_NS1_11comp_targetILNS1_3genE3ELNS1_11target_archE908ELNS1_3gpuE7ELNS1_3repE0EEENS1_30default_config_static_selectorELNS0_4arch9wavefront6targetE0EEEvT1_.private_seg_size, 0
	.set _ZN7rocprim17ROCPRIM_400000_NS6detail17trampoline_kernelINS0_14default_configENS1_25partition_config_selectorILNS1_17partition_subalgoE6EjNS0_10empty_typeEbEEZZNS1_14partition_implILS5_6ELb0ES3_mN6thrust23THRUST_200600_302600_NS6detail15normal_iteratorINSA_10device_ptrIjEEEEPS6_SG_NS0_5tupleIJSF_S6_EEENSH_IJSG_SG_EEES6_PlJNSB_9not_fun_tI7is_evenIjEEEEEE10hipError_tPvRmT3_T4_T5_T6_T7_T9_mT8_P12ihipStream_tbDpT10_ENKUlT_T0_E_clISt17integral_constantIbLb1EES18_EEDaS13_S14_EUlS13_E_NS1_11comp_targetILNS1_3genE3ELNS1_11target_archE908ELNS1_3gpuE7ELNS1_3repE0EEENS1_30default_config_static_selectorELNS0_4arch9wavefront6targetE0EEEvT1_.uses_vcc, 0
	.set _ZN7rocprim17ROCPRIM_400000_NS6detail17trampoline_kernelINS0_14default_configENS1_25partition_config_selectorILNS1_17partition_subalgoE6EjNS0_10empty_typeEbEEZZNS1_14partition_implILS5_6ELb0ES3_mN6thrust23THRUST_200600_302600_NS6detail15normal_iteratorINSA_10device_ptrIjEEEEPS6_SG_NS0_5tupleIJSF_S6_EEENSH_IJSG_SG_EEES6_PlJNSB_9not_fun_tI7is_evenIjEEEEEE10hipError_tPvRmT3_T4_T5_T6_T7_T9_mT8_P12ihipStream_tbDpT10_ENKUlT_T0_E_clISt17integral_constantIbLb1EES18_EEDaS13_S14_EUlS13_E_NS1_11comp_targetILNS1_3genE3ELNS1_11target_archE908ELNS1_3gpuE7ELNS1_3repE0EEENS1_30default_config_static_selectorELNS0_4arch9wavefront6targetE0EEEvT1_.uses_flat_scratch, 0
	.set _ZN7rocprim17ROCPRIM_400000_NS6detail17trampoline_kernelINS0_14default_configENS1_25partition_config_selectorILNS1_17partition_subalgoE6EjNS0_10empty_typeEbEEZZNS1_14partition_implILS5_6ELb0ES3_mN6thrust23THRUST_200600_302600_NS6detail15normal_iteratorINSA_10device_ptrIjEEEEPS6_SG_NS0_5tupleIJSF_S6_EEENSH_IJSG_SG_EEES6_PlJNSB_9not_fun_tI7is_evenIjEEEEEE10hipError_tPvRmT3_T4_T5_T6_T7_T9_mT8_P12ihipStream_tbDpT10_ENKUlT_T0_E_clISt17integral_constantIbLb1EES18_EEDaS13_S14_EUlS13_E_NS1_11comp_targetILNS1_3genE3ELNS1_11target_archE908ELNS1_3gpuE7ELNS1_3repE0EEENS1_30default_config_static_selectorELNS0_4arch9wavefront6targetE0EEEvT1_.has_dyn_sized_stack, 0
	.set _ZN7rocprim17ROCPRIM_400000_NS6detail17trampoline_kernelINS0_14default_configENS1_25partition_config_selectorILNS1_17partition_subalgoE6EjNS0_10empty_typeEbEEZZNS1_14partition_implILS5_6ELb0ES3_mN6thrust23THRUST_200600_302600_NS6detail15normal_iteratorINSA_10device_ptrIjEEEEPS6_SG_NS0_5tupleIJSF_S6_EEENSH_IJSG_SG_EEES6_PlJNSB_9not_fun_tI7is_evenIjEEEEEE10hipError_tPvRmT3_T4_T5_T6_T7_T9_mT8_P12ihipStream_tbDpT10_ENKUlT_T0_E_clISt17integral_constantIbLb1EES18_EEDaS13_S14_EUlS13_E_NS1_11comp_targetILNS1_3genE3ELNS1_11target_archE908ELNS1_3gpuE7ELNS1_3repE0EEENS1_30default_config_static_selectorELNS0_4arch9wavefront6targetE0EEEvT1_.has_recursion, 0
	.set _ZN7rocprim17ROCPRIM_400000_NS6detail17trampoline_kernelINS0_14default_configENS1_25partition_config_selectorILNS1_17partition_subalgoE6EjNS0_10empty_typeEbEEZZNS1_14partition_implILS5_6ELb0ES3_mN6thrust23THRUST_200600_302600_NS6detail15normal_iteratorINSA_10device_ptrIjEEEEPS6_SG_NS0_5tupleIJSF_S6_EEENSH_IJSG_SG_EEES6_PlJNSB_9not_fun_tI7is_evenIjEEEEEE10hipError_tPvRmT3_T4_T5_T6_T7_T9_mT8_P12ihipStream_tbDpT10_ENKUlT_T0_E_clISt17integral_constantIbLb1EES18_EEDaS13_S14_EUlS13_E_NS1_11comp_targetILNS1_3genE3ELNS1_11target_archE908ELNS1_3gpuE7ELNS1_3repE0EEENS1_30default_config_static_selectorELNS0_4arch9wavefront6targetE0EEEvT1_.has_indirect_call, 0
	.section	.AMDGPU.csdata,"",@progbits
; Kernel info:
; codeLenInByte = 0
; TotalNumSgprs: 0
; NumVgprs: 0
; ScratchSize: 0
; MemoryBound: 0
; FloatMode: 240
; IeeeMode: 1
; LDSByteSize: 0 bytes/workgroup (compile time only)
; SGPRBlocks: 0
; VGPRBlocks: 0
; NumSGPRsForWavesPerEU: 1
; NumVGPRsForWavesPerEU: 1
; Occupancy: 16
; WaveLimiterHint : 0
; COMPUTE_PGM_RSRC2:SCRATCH_EN: 0
; COMPUTE_PGM_RSRC2:USER_SGPR: 2
; COMPUTE_PGM_RSRC2:TRAP_HANDLER: 0
; COMPUTE_PGM_RSRC2:TGID_X_EN: 1
; COMPUTE_PGM_RSRC2:TGID_Y_EN: 0
; COMPUTE_PGM_RSRC2:TGID_Z_EN: 0
; COMPUTE_PGM_RSRC2:TIDIG_COMP_CNT: 0
	.section	.text._ZN7rocprim17ROCPRIM_400000_NS6detail17trampoline_kernelINS0_14default_configENS1_25partition_config_selectorILNS1_17partition_subalgoE6EjNS0_10empty_typeEbEEZZNS1_14partition_implILS5_6ELb0ES3_mN6thrust23THRUST_200600_302600_NS6detail15normal_iteratorINSA_10device_ptrIjEEEEPS6_SG_NS0_5tupleIJSF_S6_EEENSH_IJSG_SG_EEES6_PlJNSB_9not_fun_tI7is_evenIjEEEEEE10hipError_tPvRmT3_T4_T5_T6_T7_T9_mT8_P12ihipStream_tbDpT10_ENKUlT_T0_E_clISt17integral_constantIbLb1EES18_EEDaS13_S14_EUlS13_E_NS1_11comp_targetILNS1_3genE2ELNS1_11target_archE906ELNS1_3gpuE6ELNS1_3repE0EEENS1_30default_config_static_selectorELNS0_4arch9wavefront6targetE0EEEvT1_,"axG",@progbits,_ZN7rocprim17ROCPRIM_400000_NS6detail17trampoline_kernelINS0_14default_configENS1_25partition_config_selectorILNS1_17partition_subalgoE6EjNS0_10empty_typeEbEEZZNS1_14partition_implILS5_6ELb0ES3_mN6thrust23THRUST_200600_302600_NS6detail15normal_iteratorINSA_10device_ptrIjEEEEPS6_SG_NS0_5tupleIJSF_S6_EEENSH_IJSG_SG_EEES6_PlJNSB_9not_fun_tI7is_evenIjEEEEEE10hipError_tPvRmT3_T4_T5_T6_T7_T9_mT8_P12ihipStream_tbDpT10_ENKUlT_T0_E_clISt17integral_constantIbLb1EES18_EEDaS13_S14_EUlS13_E_NS1_11comp_targetILNS1_3genE2ELNS1_11target_archE906ELNS1_3gpuE6ELNS1_3repE0EEENS1_30default_config_static_selectorELNS0_4arch9wavefront6targetE0EEEvT1_,comdat
	.protected	_ZN7rocprim17ROCPRIM_400000_NS6detail17trampoline_kernelINS0_14default_configENS1_25partition_config_selectorILNS1_17partition_subalgoE6EjNS0_10empty_typeEbEEZZNS1_14partition_implILS5_6ELb0ES3_mN6thrust23THRUST_200600_302600_NS6detail15normal_iteratorINSA_10device_ptrIjEEEEPS6_SG_NS0_5tupleIJSF_S6_EEENSH_IJSG_SG_EEES6_PlJNSB_9not_fun_tI7is_evenIjEEEEEE10hipError_tPvRmT3_T4_T5_T6_T7_T9_mT8_P12ihipStream_tbDpT10_ENKUlT_T0_E_clISt17integral_constantIbLb1EES18_EEDaS13_S14_EUlS13_E_NS1_11comp_targetILNS1_3genE2ELNS1_11target_archE906ELNS1_3gpuE6ELNS1_3repE0EEENS1_30default_config_static_selectorELNS0_4arch9wavefront6targetE0EEEvT1_ ; -- Begin function _ZN7rocprim17ROCPRIM_400000_NS6detail17trampoline_kernelINS0_14default_configENS1_25partition_config_selectorILNS1_17partition_subalgoE6EjNS0_10empty_typeEbEEZZNS1_14partition_implILS5_6ELb0ES3_mN6thrust23THRUST_200600_302600_NS6detail15normal_iteratorINSA_10device_ptrIjEEEEPS6_SG_NS0_5tupleIJSF_S6_EEENSH_IJSG_SG_EEES6_PlJNSB_9not_fun_tI7is_evenIjEEEEEE10hipError_tPvRmT3_T4_T5_T6_T7_T9_mT8_P12ihipStream_tbDpT10_ENKUlT_T0_E_clISt17integral_constantIbLb1EES18_EEDaS13_S14_EUlS13_E_NS1_11comp_targetILNS1_3genE2ELNS1_11target_archE906ELNS1_3gpuE6ELNS1_3repE0EEENS1_30default_config_static_selectorELNS0_4arch9wavefront6targetE0EEEvT1_
	.globl	_ZN7rocprim17ROCPRIM_400000_NS6detail17trampoline_kernelINS0_14default_configENS1_25partition_config_selectorILNS1_17partition_subalgoE6EjNS0_10empty_typeEbEEZZNS1_14partition_implILS5_6ELb0ES3_mN6thrust23THRUST_200600_302600_NS6detail15normal_iteratorINSA_10device_ptrIjEEEEPS6_SG_NS0_5tupleIJSF_S6_EEENSH_IJSG_SG_EEES6_PlJNSB_9not_fun_tI7is_evenIjEEEEEE10hipError_tPvRmT3_T4_T5_T6_T7_T9_mT8_P12ihipStream_tbDpT10_ENKUlT_T0_E_clISt17integral_constantIbLb1EES18_EEDaS13_S14_EUlS13_E_NS1_11comp_targetILNS1_3genE2ELNS1_11target_archE906ELNS1_3gpuE6ELNS1_3repE0EEENS1_30default_config_static_selectorELNS0_4arch9wavefront6targetE0EEEvT1_
	.p2align	8
	.type	_ZN7rocprim17ROCPRIM_400000_NS6detail17trampoline_kernelINS0_14default_configENS1_25partition_config_selectorILNS1_17partition_subalgoE6EjNS0_10empty_typeEbEEZZNS1_14partition_implILS5_6ELb0ES3_mN6thrust23THRUST_200600_302600_NS6detail15normal_iteratorINSA_10device_ptrIjEEEEPS6_SG_NS0_5tupleIJSF_S6_EEENSH_IJSG_SG_EEES6_PlJNSB_9not_fun_tI7is_evenIjEEEEEE10hipError_tPvRmT3_T4_T5_T6_T7_T9_mT8_P12ihipStream_tbDpT10_ENKUlT_T0_E_clISt17integral_constantIbLb1EES18_EEDaS13_S14_EUlS13_E_NS1_11comp_targetILNS1_3genE2ELNS1_11target_archE906ELNS1_3gpuE6ELNS1_3repE0EEENS1_30default_config_static_selectorELNS0_4arch9wavefront6targetE0EEEvT1_,@function
_ZN7rocprim17ROCPRIM_400000_NS6detail17trampoline_kernelINS0_14default_configENS1_25partition_config_selectorILNS1_17partition_subalgoE6EjNS0_10empty_typeEbEEZZNS1_14partition_implILS5_6ELb0ES3_mN6thrust23THRUST_200600_302600_NS6detail15normal_iteratorINSA_10device_ptrIjEEEEPS6_SG_NS0_5tupleIJSF_S6_EEENSH_IJSG_SG_EEES6_PlJNSB_9not_fun_tI7is_evenIjEEEEEE10hipError_tPvRmT3_T4_T5_T6_T7_T9_mT8_P12ihipStream_tbDpT10_ENKUlT_T0_E_clISt17integral_constantIbLb1EES18_EEDaS13_S14_EUlS13_E_NS1_11comp_targetILNS1_3genE2ELNS1_11target_archE906ELNS1_3gpuE6ELNS1_3repE0EEENS1_30default_config_static_selectorELNS0_4arch9wavefront6targetE0EEEvT1_: ; @_ZN7rocprim17ROCPRIM_400000_NS6detail17trampoline_kernelINS0_14default_configENS1_25partition_config_selectorILNS1_17partition_subalgoE6EjNS0_10empty_typeEbEEZZNS1_14partition_implILS5_6ELb0ES3_mN6thrust23THRUST_200600_302600_NS6detail15normal_iteratorINSA_10device_ptrIjEEEEPS6_SG_NS0_5tupleIJSF_S6_EEENSH_IJSG_SG_EEES6_PlJNSB_9not_fun_tI7is_evenIjEEEEEE10hipError_tPvRmT3_T4_T5_T6_T7_T9_mT8_P12ihipStream_tbDpT10_ENKUlT_T0_E_clISt17integral_constantIbLb1EES18_EEDaS13_S14_EUlS13_E_NS1_11comp_targetILNS1_3genE2ELNS1_11target_archE906ELNS1_3gpuE6ELNS1_3repE0EEENS1_30default_config_static_selectorELNS0_4arch9wavefront6targetE0EEEvT1_
; %bb.0:
	.section	.rodata,"a",@progbits
	.p2align	6, 0x0
	.amdhsa_kernel _ZN7rocprim17ROCPRIM_400000_NS6detail17trampoline_kernelINS0_14default_configENS1_25partition_config_selectorILNS1_17partition_subalgoE6EjNS0_10empty_typeEbEEZZNS1_14partition_implILS5_6ELb0ES3_mN6thrust23THRUST_200600_302600_NS6detail15normal_iteratorINSA_10device_ptrIjEEEEPS6_SG_NS0_5tupleIJSF_S6_EEENSH_IJSG_SG_EEES6_PlJNSB_9not_fun_tI7is_evenIjEEEEEE10hipError_tPvRmT3_T4_T5_T6_T7_T9_mT8_P12ihipStream_tbDpT10_ENKUlT_T0_E_clISt17integral_constantIbLb1EES18_EEDaS13_S14_EUlS13_E_NS1_11comp_targetILNS1_3genE2ELNS1_11target_archE906ELNS1_3gpuE6ELNS1_3repE0EEENS1_30default_config_static_selectorELNS0_4arch9wavefront6targetE0EEEvT1_
		.amdhsa_group_segment_fixed_size 0
		.amdhsa_private_segment_fixed_size 0
		.amdhsa_kernarg_size 128
		.amdhsa_user_sgpr_count 2
		.amdhsa_user_sgpr_dispatch_ptr 0
		.amdhsa_user_sgpr_queue_ptr 0
		.amdhsa_user_sgpr_kernarg_segment_ptr 1
		.amdhsa_user_sgpr_dispatch_id 0
		.amdhsa_user_sgpr_private_segment_size 0
		.amdhsa_wavefront_size32 1
		.amdhsa_uses_dynamic_stack 0
		.amdhsa_enable_private_segment 0
		.amdhsa_system_sgpr_workgroup_id_x 1
		.amdhsa_system_sgpr_workgroup_id_y 0
		.amdhsa_system_sgpr_workgroup_id_z 0
		.amdhsa_system_sgpr_workgroup_info 0
		.amdhsa_system_vgpr_workitem_id 0
		.amdhsa_next_free_vgpr 1
		.amdhsa_next_free_sgpr 1
		.amdhsa_reserve_vcc 0
		.amdhsa_float_round_mode_32 0
		.amdhsa_float_round_mode_16_64 0
		.amdhsa_float_denorm_mode_32 3
		.amdhsa_float_denorm_mode_16_64 3
		.amdhsa_fp16_overflow 0
		.amdhsa_workgroup_processor_mode 1
		.amdhsa_memory_ordered 1
		.amdhsa_forward_progress 1
		.amdhsa_inst_pref_size 0
		.amdhsa_round_robin_scheduling 0
		.amdhsa_exception_fp_ieee_invalid_op 0
		.amdhsa_exception_fp_denorm_src 0
		.amdhsa_exception_fp_ieee_div_zero 0
		.amdhsa_exception_fp_ieee_overflow 0
		.amdhsa_exception_fp_ieee_underflow 0
		.amdhsa_exception_fp_ieee_inexact 0
		.amdhsa_exception_int_div_zero 0
	.end_amdhsa_kernel
	.section	.text._ZN7rocprim17ROCPRIM_400000_NS6detail17trampoline_kernelINS0_14default_configENS1_25partition_config_selectorILNS1_17partition_subalgoE6EjNS0_10empty_typeEbEEZZNS1_14partition_implILS5_6ELb0ES3_mN6thrust23THRUST_200600_302600_NS6detail15normal_iteratorINSA_10device_ptrIjEEEEPS6_SG_NS0_5tupleIJSF_S6_EEENSH_IJSG_SG_EEES6_PlJNSB_9not_fun_tI7is_evenIjEEEEEE10hipError_tPvRmT3_T4_T5_T6_T7_T9_mT8_P12ihipStream_tbDpT10_ENKUlT_T0_E_clISt17integral_constantIbLb1EES18_EEDaS13_S14_EUlS13_E_NS1_11comp_targetILNS1_3genE2ELNS1_11target_archE906ELNS1_3gpuE6ELNS1_3repE0EEENS1_30default_config_static_selectorELNS0_4arch9wavefront6targetE0EEEvT1_,"axG",@progbits,_ZN7rocprim17ROCPRIM_400000_NS6detail17trampoline_kernelINS0_14default_configENS1_25partition_config_selectorILNS1_17partition_subalgoE6EjNS0_10empty_typeEbEEZZNS1_14partition_implILS5_6ELb0ES3_mN6thrust23THRUST_200600_302600_NS6detail15normal_iteratorINSA_10device_ptrIjEEEEPS6_SG_NS0_5tupleIJSF_S6_EEENSH_IJSG_SG_EEES6_PlJNSB_9not_fun_tI7is_evenIjEEEEEE10hipError_tPvRmT3_T4_T5_T6_T7_T9_mT8_P12ihipStream_tbDpT10_ENKUlT_T0_E_clISt17integral_constantIbLb1EES18_EEDaS13_S14_EUlS13_E_NS1_11comp_targetILNS1_3genE2ELNS1_11target_archE906ELNS1_3gpuE6ELNS1_3repE0EEENS1_30default_config_static_selectorELNS0_4arch9wavefront6targetE0EEEvT1_,comdat
.Lfunc_end641:
	.size	_ZN7rocprim17ROCPRIM_400000_NS6detail17trampoline_kernelINS0_14default_configENS1_25partition_config_selectorILNS1_17partition_subalgoE6EjNS0_10empty_typeEbEEZZNS1_14partition_implILS5_6ELb0ES3_mN6thrust23THRUST_200600_302600_NS6detail15normal_iteratorINSA_10device_ptrIjEEEEPS6_SG_NS0_5tupleIJSF_S6_EEENSH_IJSG_SG_EEES6_PlJNSB_9not_fun_tI7is_evenIjEEEEEE10hipError_tPvRmT3_T4_T5_T6_T7_T9_mT8_P12ihipStream_tbDpT10_ENKUlT_T0_E_clISt17integral_constantIbLb1EES18_EEDaS13_S14_EUlS13_E_NS1_11comp_targetILNS1_3genE2ELNS1_11target_archE906ELNS1_3gpuE6ELNS1_3repE0EEENS1_30default_config_static_selectorELNS0_4arch9wavefront6targetE0EEEvT1_, .Lfunc_end641-_ZN7rocprim17ROCPRIM_400000_NS6detail17trampoline_kernelINS0_14default_configENS1_25partition_config_selectorILNS1_17partition_subalgoE6EjNS0_10empty_typeEbEEZZNS1_14partition_implILS5_6ELb0ES3_mN6thrust23THRUST_200600_302600_NS6detail15normal_iteratorINSA_10device_ptrIjEEEEPS6_SG_NS0_5tupleIJSF_S6_EEENSH_IJSG_SG_EEES6_PlJNSB_9not_fun_tI7is_evenIjEEEEEE10hipError_tPvRmT3_T4_T5_T6_T7_T9_mT8_P12ihipStream_tbDpT10_ENKUlT_T0_E_clISt17integral_constantIbLb1EES18_EEDaS13_S14_EUlS13_E_NS1_11comp_targetILNS1_3genE2ELNS1_11target_archE906ELNS1_3gpuE6ELNS1_3repE0EEENS1_30default_config_static_selectorELNS0_4arch9wavefront6targetE0EEEvT1_
                                        ; -- End function
	.set _ZN7rocprim17ROCPRIM_400000_NS6detail17trampoline_kernelINS0_14default_configENS1_25partition_config_selectorILNS1_17partition_subalgoE6EjNS0_10empty_typeEbEEZZNS1_14partition_implILS5_6ELb0ES3_mN6thrust23THRUST_200600_302600_NS6detail15normal_iteratorINSA_10device_ptrIjEEEEPS6_SG_NS0_5tupleIJSF_S6_EEENSH_IJSG_SG_EEES6_PlJNSB_9not_fun_tI7is_evenIjEEEEEE10hipError_tPvRmT3_T4_T5_T6_T7_T9_mT8_P12ihipStream_tbDpT10_ENKUlT_T0_E_clISt17integral_constantIbLb1EES18_EEDaS13_S14_EUlS13_E_NS1_11comp_targetILNS1_3genE2ELNS1_11target_archE906ELNS1_3gpuE6ELNS1_3repE0EEENS1_30default_config_static_selectorELNS0_4arch9wavefront6targetE0EEEvT1_.num_vgpr, 0
	.set _ZN7rocprim17ROCPRIM_400000_NS6detail17trampoline_kernelINS0_14default_configENS1_25partition_config_selectorILNS1_17partition_subalgoE6EjNS0_10empty_typeEbEEZZNS1_14partition_implILS5_6ELb0ES3_mN6thrust23THRUST_200600_302600_NS6detail15normal_iteratorINSA_10device_ptrIjEEEEPS6_SG_NS0_5tupleIJSF_S6_EEENSH_IJSG_SG_EEES6_PlJNSB_9not_fun_tI7is_evenIjEEEEEE10hipError_tPvRmT3_T4_T5_T6_T7_T9_mT8_P12ihipStream_tbDpT10_ENKUlT_T0_E_clISt17integral_constantIbLb1EES18_EEDaS13_S14_EUlS13_E_NS1_11comp_targetILNS1_3genE2ELNS1_11target_archE906ELNS1_3gpuE6ELNS1_3repE0EEENS1_30default_config_static_selectorELNS0_4arch9wavefront6targetE0EEEvT1_.num_agpr, 0
	.set _ZN7rocprim17ROCPRIM_400000_NS6detail17trampoline_kernelINS0_14default_configENS1_25partition_config_selectorILNS1_17partition_subalgoE6EjNS0_10empty_typeEbEEZZNS1_14partition_implILS5_6ELb0ES3_mN6thrust23THRUST_200600_302600_NS6detail15normal_iteratorINSA_10device_ptrIjEEEEPS6_SG_NS0_5tupleIJSF_S6_EEENSH_IJSG_SG_EEES6_PlJNSB_9not_fun_tI7is_evenIjEEEEEE10hipError_tPvRmT3_T4_T5_T6_T7_T9_mT8_P12ihipStream_tbDpT10_ENKUlT_T0_E_clISt17integral_constantIbLb1EES18_EEDaS13_S14_EUlS13_E_NS1_11comp_targetILNS1_3genE2ELNS1_11target_archE906ELNS1_3gpuE6ELNS1_3repE0EEENS1_30default_config_static_selectorELNS0_4arch9wavefront6targetE0EEEvT1_.numbered_sgpr, 0
	.set _ZN7rocprim17ROCPRIM_400000_NS6detail17trampoline_kernelINS0_14default_configENS1_25partition_config_selectorILNS1_17partition_subalgoE6EjNS0_10empty_typeEbEEZZNS1_14partition_implILS5_6ELb0ES3_mN6thrust23THRUST_200600_302600_NS6detail15normal_iteratorINSA_10device_ptrIjEEEEPS6_SG_NS0_5tupleIJSF_S6_EEENSH_IJSG_SG_EEES6_PlJNSB_9not_fun_tI7is_evenIjEEEEEE10hipError_tPvRmT3_T4_T5_T6_T7_T9_mT8_P12ihipStream_tbDpT10_ENKUlT_T0_E_clISt17integral_constantIbLb1EES18_EEDaS13_S14_EUlS13_E_NS1_11comp_targetILNS1_3genE2ELNS1_11target_archE906ELNS1_3gpuE6ELNS1_3repE0EEENS1_30default_config_static_selectorELNS0_4arch9wavefront6targetE0EEEvT1_.num_named_barrier, 0
	.set _ZN7rocprim17ROCPRIM_400000_NS6detail17trampoline_kernelINS0_14default_configENS1_25partition_config_selectorILNS1_17partition_subalgoE6EjNS0_10empty_typeEbEEZZNS1_14partition_implILS5_6ELb0ES3_mN6thrust23THRUST_200600_302600_NS6detail15normal_iteratorINSA_10device_ptrIjEEEEPS6_SG_NS0_5tupleIJSF_S6_EEENSH_IJSG_SG_EEES6_PlJNSB_9not_fun_tI7is_evenIjEEEEEE10hipError_tPvRmT3_T4_T5_T6_T7_T9_mT8_P12ihipStream_tbDpT10_ENKUlT_T0_E_clISt17integral_constantIbLb1EES18_EEDaS13_S14_EUlS13_E_NS1_11comp_targetILNS1_3genE2ELNS1_11target_archE906ELNS1_3gpuE6ELNS1_3repE0EEENS1_30default_config_static_selectorELNS0_4arch9wavefront6targetE0EEEvT1_.private_seg_size, 0
	.set _ZN7rocprim17ROCPRIM_400000_NS6detail17trampoline_kernelINS0_14default_configENS1_25partition_config_selectorILNS1_17partition_subalgoE6EjNS0_10empty_typeEbEEZZNS1_14partition_implILS5_6ELb0ES3_mN6thrust23THRUST_200600_302600_NS6detail15normal_iteratorINSA_10device_ptrIjEEEEPS6_SG_NS0_5tupleIJSF_S6_EEENSH_IJSG_SG_EEES6_PlJNSB_9not_fun_tI7is_evenIjEEEEEE10hipError_tPvRmT3_T4_T5_T6_T7_T9_mT8_P12ihipStream_tbDpT10_ENKUlT_T0_E_clISt17integral_constantIbLb1EES18_EEDaS13_S14_EUlS13_E_NS1_11comp_targetILNS1_3genE2ELNS1_11target_archE906ELNS1_3gpuE6ELNS1_3repE0EEENS1_30default_config_static_selectorELNS0_4arch9wavefront6targetE0EEEvT1_.uses_vcc, 0
	.set _ZN7rocprim17ROCPRIM_400000_NS6detail17trampoline_kernelINS0_14default_configENS1_25partition_config_selectorILNS1_17partition_subalgoE6EjNS0_10empty_typeEbEEZZNS1_14partition_implILS5_6ELb0ES3_mN6thrust23THRUST_200600_302600_NS6detail15normal_iteratorINSA_10device_ptrIjEEEEPS6_SG_NS0_5tupleIJSF_S6_EEENSH_IJSG_SG_EEES6_PlJNSB_9not_fun_tI7is_evenIjEEEEEE10hipError_tPvRmT3_T4_T5_T6_T7_T9_mT8_P12ihipStream_tbDpT10_ENKUlT_T0_E_clISt17integral_constantIbLb1EES18_EEDaS13_S14_EUlS13_E_NS1_11comp_targetILNS1_3genE2ELNS1_11target_archE906ELNS1_3gpuE6ELNS1_3repE0EEENS1_30default_config_static_selectorELNS0_4arch9wavefront6targetE0EEEvT1_.uses_flat_scratch, 0
	.set _ZN7rocprim17ROCPRIM_400000_NS6detail17trampoline_kernelINS0_14default_configENS1_25partition_config_selectorILNS1_17partition_subalgoE6EjNS0_10empty_typeEbEEZZNS1_14partition_implILS5_6ELb0ES3_mN6thrust23THRUST_200600_302600_NS6detail15normal_iteratorINSA_10device_ptrIjEEEEPS6_SG_NS0_5tupleIJSF_S6_EEENSH_IJSG_SG_EEES6_PlJNSB_9not_fun_tI7is_evenIjEEEEEE10hipError_tPvRmT3_T4_T5_T6_T7_T9_mT8_P12ihipStream_tbDpT10_ENKUlT_T0_E_clISt17integral_constantIbLb1EES18_EEDaS13_S14_EUlS13_E_NS1_11comp_targetILNS1_3genE2ELNS1_11target_archE906ELNS1_3gpuE6ELNS1_3repE0EEENS1_30default_config_static_selectorELNS0_4arch9wavefront6targetE0EEEvT1_.has_dyn_sized_stack, 0
	.set _ZN7rocprim17ROCPRIM_400000_NS6detail17trampoline_kernelINS0_14default_configENS1_25partition_config_selectorILNS1_17partition_subalgoE6EjNS0_10empty_typeEbEEZZNS1_14partition_implILS5_6ELb0ES3_mN6thrust23THRUST_200600_302600_NS6detail15normal_iteratorINSA_10device_ptrIjEEEEPS6_SG_NS0_5tupleIJSF_S6_EEENSH_IJSG_SG_EEES6_PlJNSB_9not_fun_tI7is_evenIjEEEEEE10hipError_tPvRmT3_T4_T5_T6_T7_T9_mT8_P12ihipStream_tbDpT10_ENKUlT_T0_E_clISt17integral_constantIbLb1EES18_EEDaS13_S14_EUlS13_E_NS1_11comp_targetILNS1_3genE2ELNS1_11target_archE906ELNS1_3gpuE6ELNS1_3repE0EEENS1_30default_config_static_selectorELNS0_4arch9wavefront6targetE0EEEvT1_.has_recursion, 0
	.set _ZN7rocprim17ROCPRIM_400000_NS6detail17trampoline_kernelINS0_14default_configENS1_25partition_config_selectorILNS1_17partition_subalgoE6EjNS0_10empty_typeEbEEZZNS1_14partition_implILS5_6ELb0ES3_mN6thrust23THRUST_200600_302600_NS6detail15normal_iteratorINSA_10device_ptrIjEEEEPS6_SG_NS0_5tupleIJSF_S6_EEENSH_IJSG_SG_EEES6_PlJNSB_9not_fun_tI7is_evenIjEEEEEE10hipError_tPvRmT3_T4_T5_T6_T7_T9_mT8_P12ihipStream_tbDpT10_ENKUlT_T0_E_clISt17integral_constantIbLb1EES18_EEDaS13_S14_EUlS13_E_NS1_11comp_targetILNS1_3genE2ELNS1_11target_archE906ELNS1_3gpuE6ELNS1_3repE0EEENS1_30default_config_static_selectorELNS0_4arch9wavefront6targetE0EEEvT1_.has_indirect_call, 0
	.section	.AMDGPU.csdata,"",@progbits
; Kernel info:
; codeLenInByte = 0
; TotalNumSgprs: 0
; NumVgprs: 0
; ScratchSize: 0
; MemoryBound: 0
; FloatMode: 240
; IeeeMode: 1
; LDSByteSize: 0 bytes/workgroup (compile time only)
; SGPRBlocks: 0
; VGPRBlocks: 0
; NumSGPRsForWavesPerEU: 1
; NumVGPRsForWavesPerEU: 1
; Occupancy: 16
; WaveLimiterHint : 0
; COMPUTE_PGM_RSRC2:SCRATCH_EN: 0
; COMPUTE_PGM_RSRC2:USER_SGPR: 2
; COMPUTE_PGM_RSRC2:TRAP_HANDLER: 0
; COMPUTE_PGM_RSRC2:TGID_X_EN: 1
; COMPUTE_PGM_RSRC2:TGID_Y_EN: 0
; COMPUTE_PGM_RSRC2:TGID_Z_EN: 0
; COMPUTE_PGM_RSRC2:TIDIG_COMP_CNT: 0
	.section	.text._ZN7rocprim17ROCPRIM_400000_NS6detail17trampoline_kernelINS0_14default_configENS1_25partition_config_selectorILNS1_17partition_subalgoE6EjNS0_10empty_typeEbEEZZNS1_14partition_implILS5_6ELb0ES3_mN6thrust23THRUST_200600_302600_NS6detail15normal_iteratorINSA_10device_ptrIjEEEEPS6_SG_NS0_5tupleIJSF_S6_EEENSH_IJSG_SG_EEES6_PlJNSB_9not_fun_tI7is_evenIjEEEEEE10hipError_tPvRmT3_T4_T5_T6_T7_T9_mT8_P12ihipStream_tbDpT10_ENKUlT_T0_E_clISt17integral_constantIbLb1EES18_EEDaS13_S14_EUlS13_E_NS1_11comp_targetILNS1_3genE10ELNS1_11target_archE1200ELNS1_3gpuE4ELNS1_3repE0EEENS1_30default_config_static_selectorELNS0_4arch9wavefront6targetE0EEEvT1_,"axG",@progbits,_ZN7rocprim17ROCPRIM_400000_NS6detail17trampoline_kernelINS0_14default_configENS1_25partition_config_selectorILNS1_17partition_subalgoE6EjNS0_10empty_typeEbEEZZNS1_14partition_implILS5_6ELb0ES3_mN6thrust23THRUST_200600_302600_NS6detail15normal_iteratorINSA_10device_ptrIjEEEEPS6_SG_NS0_5tupleIJSF_S6_EEENSH_IJSG_SG_EEES6_PlJNSB_9not_fun_tI7is_evenIjEEEEEE10hipError_tPvRmT3_T4_T5_T6_T7_T9_mT8_P12ihipStream_tbDpT10_ENKUlT_T0_E_clISt17integral_constantIbLb1EES18_EEDaS13_S14_EUlS13_E_NS1_11comp_targetILNS1_3genE10ELNS1_11target_archE1200ELNS1_3gpuE4ELNS1_3repE0EEENS1_30default_config_static_selectorELNS0_4arch9wavefront6targetE0EEEvT1_,comdat
	.protected	_ZN7rocprim17ROCPRIM_400000_NS6detail17trampoline_kernelINS0_14default_configENS1_25partition_config_selectorILNS1_17partition_subalgoE6EjNS0_10empty_typeEbEEZZNS1_14partition_implILS5_6ELb0ES3_mN6thrust23THRUST_200600_302600_NS6detail15normal_iteratorINSA_10device_ptrIjEEEEPS6_SG_NS0_5tupleIJSF_S6_EEENSH_IJSG_SG_EEES6_PlJNSB_9not_fun_tI7is_evenIjEEEEEE10hipError_tPvRmT3_T4_T5_T6_T7_T9_mT8_P12ihipStream_tbDpT10_ENKUlT_T0_E_clISt17integral_constantIbLb1EES18_EEDaS13_S14_EUlS13_E_NS1_11comp_targetILNS1_3genE10ELNS1_11target_archE1200ELNS1_3gpuE4ELNS1_3repE0EEENS1_30default_config_static_selectorELNS0_4arch9wavefront6targetE0EEEvT1_ ; -- Begin function _ZN7rocprim17ROCPRIM_400000_NS6detail17trampoline_kernelINS0_14default_configENS1_25partition_config_selectorILNS1_17partition_subalgoE6EjNS0_10empty_typeEbEEZZNS1_14partition_implILS5_6ELb0ES3_mN6thrust23THRUST_200600_302600_NS6detail15normal_iteratorINSA_10device_ptrIjEEEEPS6_SG_NS0_5tupleIJSF_S6_EEENSH_IJSG_SG_EEES6_PlJNSB_9not_fun_tI7is_evenIjEEEEEE10hipError_tPvRmT3_T4_T5_T6_T7_T9_mT8_P12ihipStream_tbDpT10_ENKUlT_T0_E_clISt17integral_constantIbLb1EES18_EEDaS13_S14_EUlS13_E_NS1_11comp_targetILNS1_3genE10ELNS1_11target_archE1200ELNS1_3gpuE4ELNS1_3repE0EEENS1_30default_config_static_selectorELNS0_4arch9wavefront6targetE0EEEvT1_
	.globl	_ZN7rocprim17ROCPRIM_400000_NS6detail17trampoline_kernelINS0_14default_configENS1_25partition_config_selectorILNS1_17partition_subalgoE6EjNS0_10empty_typeEbEEZZNS1_14partition_implILS5_6ELb0ES3_mN6thrust23THRUST_200600_302600_NS6detail15normal_iteratorINSA_10device_ptrIjEEEEPS6_SG_NS0_5tupleIJSF_S6_EEENSH_IJSG_SG_EEES6_PlJNSB_9not_fun_tI7is_evenIjEEEEEE10hipError_tPvRmT3_T4_T5_T6_T7_T9_mT8_P12ihipStream_tbDpT10_ENKUlT_T0_E_clISt17integral_constantIbLb1EES18_EEDaS13_S14_EUlS13_E_NS1_11comp_targetILNS1_3genE10ELNS1_11target_archE1200ELNS1_3gpuE4ELNS1_3repE0EEENS1_30default_config_static_selectorELNS0_4arch9wavefront6targetE0EEEvT1_
	.p2align	8
	.type	_ZN7rocprim17ROCPRIM_400000_NS6detail17trampoline_kernelINS0_14default_configENS1_25partition_config_selectorILNS1_17partition_subalgoE6EjNS0_10empty_typeEbEEZZNS1_14partition_implILS5_6ELb0ES3_mN6thrust23THRUST_200600_302600_NS6detail15normal_iteratorINSA_10device_ptrIjEEEEPS6_SG_NS0_5tupleIJSF_S6_EEENSH_IJSG_SG_EEES6_PlJNSB_9not_fun_tI7is_evenIjEEEEEE10hipError_tPvRmT3_T4_T5_T6_T7_T9_mT8_P12ihipStream_tbDpT10_ENKUlT_T0_E_clISt17integral_constantIbLb1EES18_EEDaS13_S14_EUlS13_E_NS1_11comp_targetILNS1_3genE10ELNS1_11target_archE1200ELNS1_3gpuE4ELNS1_3repE0EEENS1_30default_config_static_selectorELNS0_4arch9wavefront6targetE0EEEvT1_,@function
_ZN7rocprim17ROCPRIM_400000_NS6detail17trampoline_kernelINS0_14default_configENS1_25partition_config_selectorILNS1_17partition_subalgoE6EjNS0_10empty_typeEbEEZZNS1_14partition_implILS5_6ELb0ES3_mN6thrust23THRUST_200600_302600_NS6detail15normal_iteratorINSA_10device_ptrIjEEEEPS6_SG_NS0_5tupleIJSF_S6_EEENSH_IJSG_SG_EEES6_PlJNSB_9not_fun_tI7is_evenIjEEEEEE10hipError_tPvRmT3_T4_T5_T6_T7_T9_mT8_P12ihipStream_tbDpT10_ENKUlT_T0_E_clISt17integral_constantIbLb1EES18_EEDaS13_S14_EUlS13_E_NS1_11comp_targetILNS1_3genE10ELNS1_11target_archE1200ELNS1_3gpuE4ELNS1_3repE0EEENS1_30default_config_static_selectorELNS0_4arch9wavefront6targetE0EEEvT1_: ; @_ZN7rocprim17ROCPRIM_400000_NS6detail17trampoline_kernelINS0_14default_configENS1_25partition_config_selectorILNS1_17partition_subalgoE6EjNS0_10empty_typeEbEEZZNS1_14partition_implILS5_6ELb0ES3_mN6thrust23THRUST_200600_302600_NS6detail15normal_iteratorINSA_10device_ptrIjEEEEPS6_SG_NS0_5tupleIJSF_S6_EEENSH_IJSG_SG_EEES6_PlJNSB_9not_fun_tI7is_evenIjEEEEEE10hipError_tPvRmT3_T4_T5_T6_T7_T9_mT8_P12ihipStream_tbDpT10_ENKUlT_T0_E_clISt17integral_constantIbLb1EES18_EEDaS13_S14_EUlS13_E_NS1_11comp_targetILNS1_3genE10ELNS1_11target_archE1200ELNS1_3gpuE4ELNS1_3repE0EEENS1_30default_config_static_selectorELNS0_4arch9wavefront6targetE0EEEvT1_
; %bb.0:
	s_endpgm
	.section	.rodata,"a",@progbits
	.p2align	6, 0x0
	.amdhsa_kernel _ZN7rocprim17ROCPRIM_400000_NS6detail17trampoline_kernelINS0_14default_configENS1_25partition_config_selectorILNS1_17partition_subalgoE6EjNS0_10empty_typeEbEEZZNS1_14partition_implILS5_6ELb0ES3_mN6thrust23THRUST_200600_302600_NS6detail15normal_iteratorINSA_10device_ptrIjEEEEPS6_SG_NS0_5tupleIJSF_S6_EEENSH_IJSG_SG_EEES6_PlJNSB_9not_fun_tI7is_evenIjEEEEEE10hipError_tPvRmT3_T4_T5_T6_T7_T9_mT8_P12ihipStream_tbDpT10_ENKUlT_T0_E_clISt17integral_constantIbLb1EES18_EEDaS13_S14_EUlS13_E_NS1_11comp_targetILNS1_3genE10ELNS1_11target_archE1200ELNS1_3gpuE4ELNS1_3repE0EEENS1_30default_config_static_selectorELNS0_4arch9wavefront6targetE0EEEvT1_
		.amdhsa_group_segment_fixed_size 0
		.amdhsa_private_segment_fixed_size 0
		.amdhsa_kernarg_size 128
		.amdhsa_user_sgpr_count 2
		.amdhsa_user_sgpr_dispatch_ptr 0
		.amdhsa_user_sgpr_queue_ptr 0
		.amdhsa_user_sgpr_kernarg_segment_ptr 1
		.amdhsa_user_sgpr_dispatch_id 0
		.amdhsa_user_sgpr_private_segment_size 0
		.amdhsa_wavefront_size32 1
		.amdhsa_uses_dynamic_stack 0
		.amdhsa_enable_private_segment 0
		.amdhsa_system_sgpr_workgroup_id_x 1
		.amdhsa_system_sgpr_workgroup_id_y 0
		.amdhsa_system_sgpr_workgroup_id_z 0
		.amdhsa_system_sgpr_workgroup_info 0
		.amdhsa_system_vgpr_workitem_id 0
		.amdhsa_next_free_vgpr 1
		.amdhsa_next_free_sgpr 1
		.amdhsa_reserve_vcc 0
		.amdhsa_float_round_mode_32 0
		.amdhsa_float_round_mode_16_64 0
		.amdhsa_float_denorm_mode_32 3
		.amdhsa_float_denorm_mode_16_64 3
		.amdhsa_fp16_overflow 0
		.amdhsa_workgroup_processor_mode 1
		.amdhsa_memory_ordered 1
		.amdhsa_forward_progress 1
		.amdhsa_inst_pref_size 1
		.amdhsa_round_robin_scheduling 0
		.amdhsa_exception_fp_ieee_invalid_op 0
		.amdhsa_exception_fp_denorm_src 0
		.amdhsa_exception_fp_ieee_div_zero 0
		.amdhsa_exception_fp_ieee_overflow 0
		.amdhsa_exception_fp_ieee_underflow 0
		.amdhsa_exception_fp_ieee_inexact 0
		.amdhsa_exception_int_div_zero 0
	.end_amdhsa_kernel
	.section	.text._ZN7rocprim17ROCPRIM_400000_NS6detail17trampoline_kernelINS0_14default_configENS1_25partition_config_selectorILNS1_17partition_subalgoE6EjNS0_10empty_typeEbEEZZNS1_14partition_implILS5_6ELb0ES3_mN6thrust23THRUST_200600_302600_NS6detail15normal_iteratorINSA_10device_ptrIjEEEEPS6_SG_NS0_5tupleIJSF_S6_EEENSH_IJSG_SG_EEES6_PlJNSB_9not_fun_tI7is_evenIjEEEEEE10hipError_tPvRmT3_T4_T5_T6_T7_T9_mT8_P12ihipStream_tbDpT10_ENKUlT_T0_E_clISt17integral_constantIbLb1EES18_EEDaS13_S14_EUlS13_E_NS1_11comp_targetILNS1_3genE10ELNS1_11target_archE1200ELNS1_3gpuE4ELNS1_3repE0EEENS1_30default_config_static_selectorELNS0_4arch9wavefront6targetE0EEEvT1_,"axG",@progbits,_ZN7rocprim17ROCPRIM_400000_NS6detail17trampoline_kernelINS0_14default_configENS1_25partition_config_selectorILNS1_17partition_subalgoE6EjNS0_10empty_typeEbEEZZNS1_14partition_implILS5_6ELb0ES3_mN6thrust23THRUST_200600_302600_NS6detail15normal_iteratorINSA_10device_ptrIjEEEEPS6_SG_NS0_5tupleIJSF_S6_EEENSH_IJSG_SG_EEES6_PlJNSB_9not_fun_tI7is_evenIjEEEEEE10hipError_tPvRmT3_T4_T5_T6_T7_T9_mT8_P12ihipStream_tbDpT10_ENKUlT_T0_E_clISt17integral_constantIbLb1EES18_EEDaS13_S14_EUlS13_E_NS1_11comp_targetILNS1_3genE10ELNS1_11target_archE1200ELNS1_3gpuE4ELNS1_3repE0EEENS1_30default_config_static_selectorELNS0_4arch9wavefront6targetE0EEEvT1_,comdat
.Lfunc_end642:
	.size	_ZN7rocprim17ROCPRIM_400000_NS6detail17trampoline_kernelINS0_14default_configENS1_25partition_config_selectorILNS1_17partition_subalgoE6EjNS0_10empty_typeEbEEZZNS1_14partition_implILS5_6ELb0ES3_mN6thrust23THRUST_200600_302600_NS6detail15normal_iteratorINSA_10device_ptrIjEEEEPS6_SG_NS0_5tupleIJSF_S6_EEENSH_IJSG_SG_EEES6_PlJNSB_9not_fun_tI7is_evenIjEEEEEE10hipError_tPvRmT3_T4_T5_T6_T7_T9_mT8_P12ihipStream_tbDpT10_ENKUlT_T0_E_clISt17integral_constantIbLb1EES18_EEDaS13_S14_EUlS13_E_NS1_11comp_targetILNS1_3genE10ELNS1_11target_archE1200ELNS1_3gpuE4ELNS1_3repE0EEENS1_30default_config_static_selectorELNS0_4arch9wavefront6targetE0EEEvT1_, .Lfunc_end642-_ZN7rocprim17ROCPRIM_400000_NS6detail17trampoline_kernelINS0_14default_configENS1_25partition_config_selectorILNS1_17partition_subalgoE6EjNS0_10empty_typeEbEEZZNS1_14partition_implILS5_6ELb0ES3_mN6thrust23THRUST_200600_302600_NS6detail15normal_iteratorINSA_10device_ptrIjEEEEPS6_SG_NS0_5tupleIJSF_S6_EEENSH_IJSG_SG_EEES6_PlJNSB_9not_fun_tI7is_evenIjEEEEEE10hipError_tPvRmT3_T4_T5_T6_T7_T9_mT8_P12ihipStream_tbDpT10_ENKUlT_T0_E_clISt17integral_constantIbLb1EES18_EEDaS13_S14_EUlS13_E_NS1_11comp_targetILNS1_3genE10ELNS1_11target_archE1200ELNS1_3gpuE4ELNS1_3repE0EEENS1_30default_config_static_selectorELNS0_4arch9wavefront6targetE0EEEvT1_
                                        ; -- End function
	.set _ZN7rocprim17ROCPRIM_400000_NS6detail17trampoline_kernelINS0_14default_configENS1_25partition_config_selectorILNS1_17partition_subalgoE6EjNS0_10empty_typeEbEEZZNS1_14partition_implILS5_6ELb0ES3_mN6thrust23THRUST_200600_302600_NS6detail15normal_iteratorINSA_10device_ptrIjEEEEPS6_SG_NS0_5tupleIJSF_S6_EEENSH_IJSG_SG_EEES6_PlJNSB_9not_fun_tI7is_evenIjEEEEEE10hipError_tPvRmT3_T4_T5_T6_T7_T9_mT8_P12ihipStream_tbDpT10_ENKUlT_T0_E_clISt17integral_constantIbLb1EES18_EEDaS13_S14_EUlS13_E_NS1_11comp_targetILNS1_3genE10ELNS1_11target_archE1200ELNS1_3gpuE4ELNS1_3repE0EEENS1_30default_config_static_selectorELNS0_4arch9wavefront6targetE0EEEvT1_.num_vgpr, 0
	.set _ZN7rocprim17ROCPRIM_400000_NS6detail17trampoline_kernelINS0_14default_configENS1_25partition_config_selectorILNS1_17partition_subalgoE6EjNS0_10empty_typeEbEEZZNS1_14partition_implILS5_6ELb0ES3_mN6thrust23THRUST_200600_302600_NS6detail15normal_iteratorINSA_10device_ptrIjEEEEPS6_SG_NS0_5tupleIJSF_S6_EEENSH_IJSG_SG_EEES6_PlJNSB_9not_fun_tI7is_evenIjEEEEEE10hipError_tPvRmT3_T4_T5_T6_T7_T9_mT8_P12ihipStream_tbDpT10_ENKUlT_T0_E_clISt17integral_constantIbLb1EES18_EEDaS13_S14_EUlS13_E_NS1_11comp_targetILNS1_3genE10ELNS1_11target_archE1200ELNS1_3gpuE4ELNS1_3repE0EEENS1_30default_config_static_selectorELNS0_4arch9wavefront6targetE0EEEvT1_.num_agpr, 0
	.set _ZN7rocprim17ROCPRIM_400000_NS6detail17trampoline_kernelINS0_14default_configENS1_25partition_config_selectorILNS1_17partition_subalgoE6EjNS0_10empty_typeEbEEZZNS1_14partition_implILS5_6ELb0ES3_mN6thrust23THRUST_200600_302600_NS6detail15normal_iteratorINSA_10device_ptrIjEEEEPS6_SG_NS0_5tupleIJSF_S6_EEENSH_IJSG_SG_EEES6_PlJNSB_9not_fun_tI7is_evenIjEEEEEE10hipError_tPvRmT3_T4_T5_T6_T7_T9_mT8_P12ihipStream_tbDpT10_ENKUlT_T0_E_clISt17integral_constantIbLb1EES18_EEDaS13_S14_EUlS13_E_NS1_11comp_targetILNS1_3genE10ELNS1_11target_archE1200ELNS1_3gpuE4ELNS1_3repE0EEENS1_30default_config_static_selectorELNS0_4arch9wavefront6targetE0EEEvT1_.numbered_sgpr, 0
	.set _ZN7rocprim17ROCPRIM_400000_NS6detail17trampoline_kernelINS0_14default_configENS1_25partition_config_selectorILNS1_17partition_subalgoE6EjNS0_10empty_typeEbEEZZNS1_14partition_implILS5_6ELb0ES3_mN6thrust23THRUST_200600_302600_NS6detail15normal_iteratorINSA_10device_ptrIjEEEEPS6_SG_NS0_5tupleIJSF_S6_EEENSH_IJSG_SG_EEES6_PlJNSB_9not_fun_tI7is_evenIjEEEEEE10hipError_tPvRmT3_T4_T5_T6_T7_T9_mT8_P12ihipStream_tbDpT10_ENKUlT_T0_E_clISt17integral_constantIbLb1EES18_EEDaS13_S14_EUlS13_E_NS1_11comp_targetILNS1_3genE10ELNS1_11target_archE1200ELNS1_3gpuE4ELNS1_3repE0EEENS1_30default_config_static_selectorELNS0_4arch9wavefront6targetE0EEEvT1_.num_named_barrier, 0
	.set _ZN7rocprim17ROCPRIM_400000_NS6detail17trampoline_kernelINS0_14default_configENS1_25partition_config_selectorILNS1_17partition_subalgoE6EjNS0_10empty_typeEbEEZZNS1_14partition_implILS5_6ELb0ES3_mN6thrust23THRUST_200600_302600_NS6detail15normal_iteratorINSA_10device_ptrIjEEEEPS6_SG_NS0_5tupleIJSF_S6_EEENSH_IJSG_SG_EEES6_PlJNSB_9not_fun_tI7is_evenIjEEEEEE10hipError_tPvRmT3_T4_T5_T6_T7_T9_mT8_P12ihipStream_tbDpT10_ENKUlT_T0_E_clISt17integral_constantIbLb1EES18_EEDaS13_S14_EUlS13_E_NS1_11comp_targetILNS1_3genE10ELNS1_11target_archE1200ELNS1_3gpuE4ELNS1_3repE0EEENS1_30default_config_static_selectorELNS0_4arch9wavefront6targetE0EEEvT1_.private_seg_size, 0
	.set _ZN7rocprim17ROCPRIM_400000_NS6detail17trampoline_kernelINS0_14default_configENS1_25partition_config_selectorILNS1_17partition_subalgoE6EjNS0_10empty_typeEbEEZZNS1_14partition_implILS5_6ELb0ES3_mN6thrust23THRUST_200600_302600_NS6detail15normal_iteratorINSA_10device_ptrIjEEEEPS6_SG_NS0_5tupleIJSF_S6_EEENSH_IJSG_SG_EEES6_PlJNSB_9not_fun_tI7is_evenIjEEEEEE10hipError_tPvRmT3_T4_T5_T6_T7_T9_mT8_P12ihipStream_tbDpT10_ENKUlT_T0_E_clISt17integral_constantIbLb1EES18_EEDaS13_S14_EUlS13_E_NS1_11comp_targetILNS1_3genE10ELNS1_11target_archE1200ELNS1_3gpuE4ELNS1_3repE0EEENS1_30default_config_static_selectorELNS0_4arch9wavefront6targetE0EEEvT1_.uses_vcc, 0
	.set _ZN7rocprim17ROCPRIM_400000_NS6detail17trampoline_kernelINS0_14default_configENS1_25partition_config_selectorILNS1_17partition_subalgoE6EjNS0_10empty_typeEbEEZZNS1_14partition_implILS5_6ELb0ES3_mN6thrust23THRUST_200600_302600_NS6detail15normal_iteratorINSA_10device_ptrIjEEEEPS6_SG_NS0_5tupleIJSF_S6_EEENSH_IJSG_SG_EEES6_PlJNSB_9not_fun_tI7is_evenIjEEEEEE10hipError_tPvRmT3_T4_T5_T6_T7_T9_mT8_P12ihipStream_tbDpT10_ENKUlT_T0_E_clISt17integral_constantIbLb1EES18_EEDaS13_S14_EUlS13_E_NS1_11comp_targetILNS1_3genE10ELNS1_11target_archE1200ELNS1_3gpuE4ELNS1_3repE0EEENS1_30default_config_static_selectorELNS0_4arch9wavefront6targetE0EEEvT1_.uses_flat_scratch, 0
	.set _ZN7rocprim17ROCPRIM_400000_NS6detail17trampoline_kernelINS0_14default_configENS1_25partition_config_selectorILNS1_17partition_subalgoE6EjNS0_10empty_typeEbEEZZNS1_14partition_implILS5_6ELb0ES3_mN6thrust23THRUST_200600_302600_NS6detail15normal_iteratorINSA_10device_ptrIjEEEEPS6_SG_NS0_5tupleIJSF_S6_EEENSH_IJSG_SG_EEES6_PlJNSB_9not_fun_tI7is_evenIjEEEEEE10hipError_tPvRmT3_T4_T5_T6_T7_T9_mT8_P12ihipStream_tbDpT10_ENKUlT_T0_E_clISt17integral_constantIbLb1EES18_EEDaS13_S14_EUlS13_E_NS1_11comp_targetILNS1_3genE10ELNS1_11target_archE1200ELNS1_3gpuE4ELNS1_3repE0EEENS1_30default_config_static_selectorELNS0_4arch9wavefront6targetE0EEEvT1_.has_dyn_sized_stack, 0
	.set _ZN7rocprim17ROCPRIM_400000_NS6detail17trampoline_kernelINS0_14default_configENS1_25partition_config_selectorILNS1_17partition_subalgoE6EjNS0_10empty_typeEbEEZZNS1_14partition_implILS5_6ELb0ES3_mN6thrust23THRUST_200600_302600_NS6detail15normal_iteratorINSA_10device_ptrIjEEEEPS6_SG_NS0_5tupleIJSF_S6_EEENSH_IJSG_SG_EEES6_PlJNSB_9not_fun_tI7is_evenIjEEEEEE10hipError_tPvRmT3_T4_T5_T6_T7_T9_mT8_P12ihipStream_tbDpT10_ENKUlT_T0_E_clISt17integral_constantIbLb1EES18_EEDaS13_S14_EUlS13_E_NS1_11comp_targetILNS1_3genE10ELNS1_11target_archE1200ELNS1_3gpuE4ELNS1_3repE0EEENS1_30default_config_static_selectorELNS0_4arch9wavefront6targetE0EEEvT1_.has_recursion, 0
	.set _ZN7rocprim17ROCPRIM_400000_NS6detail17trampoline_kernelINS0_14default_configENS1_25partition_config_selectorILNS1_17partition_subalgoE6EjNS0_10empty_typeEbEEZZNS1_14partition_implILS5_6ELb0ES3_mN6thrust23THRUST_200600_302600_NS6detail15normal_iteratorINSA_10device_ptrIjEEEEPS6_SG_NS0_5tupleIJSF_S6_EEENSH_IJSG_SG_EEES6_PlJNSB_9not_fun_tI7is_evenIjEEEEEE10hipError_tPvRmT3_T4_T5_T6_T7_T9_mT8_P12ihipStream_tbDpT10_ENKUlT_T0_E_clISt17integral_constantIbLb1EES18_EEDaS13_S14_EUlS13_E_NS1_11comp_targetILNS1_3genE10ELNS1_11target_archE1200ELNS1_3gpuE4ELNS1_3repE0EEENS1_30default_config_static_selectorELNS0_4arch9wavefront6targetE0EEEvT1_.has_indirect_call, 0
	.section	.AMDGPU.csdata,"",@progbits
; Kernel info:
; codeLenInByte = 4
; TotalNumSgprs: 0
; NumVgprs: 0
; ScratchSize: 0
; MemoryBound: 0
; FloatMode: 240
; IeeeMode: 1
; LDSByteSize: 0 bytes/workgroup (compile time only)
; SGPRBlocks: 0
; VGPRBlocks: 0
; NumSGPRsForWavesPerEU: 1
; NumVGPRsForWavesPerEU: 1
; Occupancy: 16
; WaveLimiterHint : 0
; COMPUTE_PGM_RSRC2:SCRATCH_EN: 0
; COMPUTE_PGM_RSRC2:USER_SGPR: 2
; COMPUTE_PGM_RSRC2:TRAP_HANDLER: 0
; COMPUTE_PGM_RSRC2:TGID_X_EN: 1
; COMPUTE_PGM_RSRC2:TGID_Y_EN: 0
; COMPUTE_PGM_RSRC2:TGID_Z_EN: 0
; COMPUTE_PGM_RSRC2:TIDIG_COMP_CNT: 0
	.section	.text._ZN7rocprim17ROCPRIM_400000_NS6detail17trampoline_kernelINS0_14default_configENS1_25partition_config_selectorILNS1_17partition_subalgoE6EjNS0_10empty_typeEbEEZZNS1_14partition_implILS5_6ELb0ES3_mN6thrust23THRUST_200600_302600_NS6detail15normal_iteratorINSA_10device_ptrIjEEEEPS6_SG_NS0_5tupleIJSF_S6_EEENSH_IJSG_SG_EEES6_PlJNSB_9not_fun_tI7is_evenIjEEEEEE10hipError_tPvRmT3_T4_T5_T6_T7_T9_mT8_P12ihipStream_tbDpT10_ENKUlT_T0_E_clISt17integral_constantIbLb1EES18_EEDaS13_S14_EUlS13_E_NS1_11comp_targetILNS1_3genE9ELNS1_11target_archE1100ELNS1_3gpuE3ELNS1_3repE0EEENS1_30default_config_static_selectorELNS0_4arch9wavefront6targetE0EEEvT1_,"axG",@progbits,_ZN7rocprim17ROCPRIM_400000_NS6detail17trampoline_kernelINS0_14default_configENS1_25partition_config_selectorILNS1_17partition_subalgoE6EjNS0_10empty_typeEbEEZZNS1_14partition_implILS5_6ELb0ES3_mN6thrust23THRUST_200600_302600_NS6detail15normal_iteratorINSA_10device_ptrIjEEEEPS6_SG_NS0_5tupleIJSF_S6_EEENSH_IJSG_SG_EEES6_PlJNSB_9not_fun_tI7is_evenIjEEEEEE10hipError_tPvRmT3_T4_T5_T6_T7_T9_mT8_P12ihipStream_tbDpT10_ENKUlT_T0_E_clISt17integral_constantIbLb1EES18_EEDaS13_S14_EUlS13_E_NS1_11comp_targetILNS1_3genE9ELNS1_11target_archE1100ELNS1_3gpuE3ELNS1_3repE0EEENS1_30default_config_static_selectorELNS0_4arch9wavefront6targetE0EEEvT1_,comdat
	.protected	_ZN7rocprim17ROCPRIM_400000_NS6detail17trampoline_kernelINS0_14default_configENS1_25partition_config_selectorILNS1_17partition_subalgoE6EjNS0_10empty_typeEbEEZZNS1_14partition_implILS5_6ELb0ES3_mN6thrust23THRUST_200600_302600_NS6detail15normal_iteratorINSA_10device_ptrIjEEEEPS6_SG_NS0_5tupleIJSF_S6_EEENSH_IJSG_SG_EEES6_PlJNSB_9not_fun_tI7is_evenIjEEEEEE10hipError_tPvRmT3_T4_T5_T6_T7_T9_mT8_P12ihipStream_tbDpT10_ENKUlT_T0_E_clISt17integral_constantIbLb1EES18_EEDaS13_S14_EUlS13_E_NS1_11comp_targetILNS1_3genE9ELNS1_11target_archE1100ELNS1_3gpuE3ELNS1_3repE0EEENS1_30default_config_static_selectorELNS0_4arch9wavefront6targetE0EEEvT1_ ; -- Begin function _ZN7rocprim17ROCPRIM_400000_NS6detail17trampoline_kernelINS0_14default_configENS1_25partition_config_selectorILNS1_17partition_subalgoE6EjNS0_10empty_typeEbEEZZNS1_14partition_implILS5_6ELb0ES3_mN6thrust23THRUST_200600_302600_NS6detail15normal_iteratorINSA_10device_ptrIjEEEEPS6_SG_NS0_5tupleIJSF_S6_EEENSH_IJSG_SG_EEES6_PlJNSB_9not_fun_tI7is_evenIjEEEEEE10hipError_tPvRmT3_T4_T5_T6_T7_T9_mT8_P12ihipStream_tbDpT10_ENKUlT_T0_E_clISt17integral_constantIbLb1EES18_EEDaS13_S14_EUlS13_E_NS1_11comp_targetILNS1_3genE9ELNS1_11target_archE1100ELNS1_3gpuE3ELNS1_3repE0EEENS1_30default_config_static_selectorELNS0_4arch9wavefront6targetE0EEEvT1_
	.globl	_ZN7rocprim17ROCPRIM_400000_NS6detail17trampoline_kernelINS0_14default_configENS1_25partition_config_selectorILNS1_17partition_subalgoE6EjNS0_10empty_typeEbEEZZNS1_14partition_implILS5_6ELb0ES3_mN6thrust23THRUST_200600_302600_NS6detail15normal_iteratorINSA_10device_ptrIjEEEEPS6_SG_NS0_5tupleIJSF_S6_EEENSH_IJSG_SG_EEES6_PlJNSB_9not_fun_tI7is_evenIjEEEEEE10hipError_tPvRmT3_T4_T5_T6_T7_T9_mT8_P12ihipStream_tbDpT10_ENKUlT_T0_E_clISt17integral_constantIbLb1EES18_EEDaS13_S14_EUlS13_E_NS1_11comp_targetILNS1_3genE9ELNS1_11target_archE1100ELNS1_3gpuE3ELNS1_3repE0EEENS1_30default_config_static_selectorELNS0_4arch9wavefront6targetE0EEEvT1_
	.p2align	8
	.type	_ZN7rocprim17ROCPRIM_400000_NS6detail17trampoline_kernelINS0_14default_configENS1_25partition_config_selectorILNS1_17partition_subalgoE6EjNS0_10empty_typeEbEEZZNS1_14partition_implILS5_6ELb0ES3_mN6thrust23THRUST_200600_302600_NS6detail15normal_iteratorINSA_10device_ptrIjEEEEPS6_SG_NS0_5tupleIJSF_S6_EEENSH_IJSG_SG_EEES6_PlJNSB_9not_fun_tI7is_evenIjEEEEEE10hipError_tPvRmT3_T4_T5_T6_T7_T9_mT8_P12ihipStream_tbDpT10_ENKUlT_T0_E_clISt17integral_constantIbLb1EES18_EEDaS13_S14_EUlS13_E_NS1_11comp_targetILNS1_3genE9ELNS1_11target_archE1100ELNS1_3gpuE3ELNS1_3repE0EEENS1_30default_config_static_selectorELNS0_4arch9wavefront6targetE0EEEvT1_,@function
_ZN7rocprim17ROCPRIM_400000_NS6detail17trampoline_kernelINS0_14default_configENS1_25partition_config_selectorILNS1_17partition_subalgoE6EjNS0_10empty_typeEbEEZZNS1_14partition_implILS5_6ELb0ES3_mN6thrust23THRUST_200600_302600_NS6detail15normal_iteratorINSA_10device_ptrIjEEEEPS6_SG_NS0_5tupleIJSF_S6_EEENSH_IJSG_SG_EEES6_PlJNSB_9not_fun_tI7is_evenIjEEEEEE10hipError_tPvRmT3_T4_T5_T6_T7_T9_mT8_P12ihipStream_tbDpT10_ENKUlT_T0_E_clISt17integral_constantIbLb1EES18_EEDaS13_S14_EUlS13_E_NS1_11comp_targetILNS1_3genE9ELNS1_11target_archE1100ELNS1_3gpuE3ELNS1_3repE0EEENS1_30default_config_static_selectorELNS0_4arch9wavefront6targetE0EEEvT1_: ; @_ZN7rocprim17ROCPRIM_400000_NS6detail17trampoline_kernelINS0_14default_configENS1_25partition_config_selectorILNS1_17partition_subalgoE6EjNS0_10empty_typeEbEEZZNS1_14partition_implILS5_6ELb0ES3_mN6thrust23THRUST_200600_302600_NS6detail15normal_iteratorINSA_10device_ptrIjEEEEPS6_SG_NS0_5tupleIJSF_S6_EEENSH_IJSG_SG_EEES6_PlJNSB_9not_fun_tI7is_evenIjEEEEEE10hipError_tPvRmT3_T4_T5_T6_T7_T9_mT8_P12ihipStream_tbDpT10_ENKUlT_T0_E_clISt17integral_constantIbLb1EES18_EEDaS13_S14_EUlS13_E_NS1_11comp_targetILNS1_3genE9ELNS1_11target_archE1100ELNS1_3gpuE3ELNS1_3repE0EEENS1_30default_config_static_selectorELNS0_4arch9wavefront6targetE0EEEvT1_
; %bb.0:
	.section	.rodata,"a",@progbits
	.p2align	6, 0x0
	.amdhsa_kernel _ZN7rocprim17ROCPRIM_400000_NS6detail17trampoline_kernelINS0_14default_configENS1_25partition_config_selectorILNS1_17partition_subalgoE6EjNS0_10empty_typeEbEEZZNS1_14partition_implILS5_6ELb0ES3_mN6thrust23THRUST_200600_302600_NS6detail15normal_iteratorINSA_10device_ptrIjEEEEPS6_SG_NS0_5tupleIJSF_S6_EEENSH_IJSG_SG_EEES6_PlJNSB_9not_fun_tI7is_evenIjEEEEEE10hipError_tPvRmT3_T4_T5_T6_T7_T9_mT8_P12ihipStream_tbDpT10_ENKUlT_T0_E_clISt17integral_constantIbLb1EES18_EEDaS13_S14_EUlS13_E_NS1_11comp_targetILNS1_3genE9ELNS1_11target_archE1100ELNS1_3gpuE3ELNS1_3repE0EEENS1_30default_config_static_selectorELNS0_4arch9wavefront6targetE0EEEvT1_
		.amdhsa_group_segment_fixed_size 0
		.amdhsa_private_segment_fixed_size 0
		.amdhsa_kernarg_size 128
		.amdhsa_user_sgpr_count 2
		.amdhsa_user_sgpr_dispatch_ptr 0
		.amdhsa_user_sgpr_queue_ptr 0
		.amdhsa_user_sgpr_kernarg_segment_ptr 1
		.amdhsa_user_sgpr_dispatch_id 0
		.amdhsa_user_sgpr_private_segment_size 0
		.amdhsa_wavefront_size32 1
		.amdhsa_uses_dynamic_stack 0
		.amdhsa_enable_private_segment 0
		.amdhsa_system_sgpr_workgroup_id_x 1
		.amdhsa_system_sgpr_workgroup_id_y 0
		.amdhsa_system_sgpr_workgroup_id_z 0
		.amdhsa_system_sgpr_workgroup_info 0
		.amdhsa_system_vgpr_workitem_id 0
		.amdhsa_next_free_vgpr 1
		.amdhsa_next_free_sgpr 1
		.amdhsa_reserve_vcc 0
		.amdhsa_float_round_mode_32 0
		.amdhsa_float_round_mode_16_64 0
		.amdhsa_float_denorm_mode_32 3
		.amdhsa_float_denorm_mode_16_64 3
		.amdhsa_fp16_overflow 0
		.amdhsa_workgroup_processor_mode 1
		.amdhsa_memory_ordered 1
		.amdhsa_forward_progress 1
		.amdhsa_inst_pref_size 0
		.amdhsa_round_robin_scheduling 0
		.amdhsa_exception_fp_ieee_invalid_op 0
		.amdhsa_exception_fp_denorm_src 0
		.amdhsa_exception_fp_ieee_div_zero 0
		.amdhsa_exception_fp_ieee_overflow 0
		.amdhsa_exception_fp_ieee_underflow 0
		.amdhsa_exception_fp_ieee_inexact 0
		.amdhsa_exception_int_div_zero 0
	.end_amdhsa_kernel
	.section	.text._ZN7rocprim17ROCPRIM_400000_NS6detail17trampoline_kernelINS0_14default_configENS1_25partition_config_selectorILNS1_17partition_subalgoE6EjNS0_10empty_typeEbEEZZNS1_14partition_implILS5_6ELb0ES3_mN6thrust23THRUST_200600_302600_NS6detail15normal_iteratorINSA_10device_ptrIjEEEEPS6_SG_NS0_5tupleIJSF_S6_EEENSH_IJSG_SG_EEES6_PlJNSB_9not_fun_tI7is_evenIjEEEEEE10hipError_tPvRmT3_T4_T5_T6_T7_T9_mT8_P12ihipStream_tbDpT10_ENKUlT_T0_E_clISt17integral_constantIbLb1EES18_EEDaS13_S14_EUlS13_E_NS1_11comp_targetILNS1_3genE9ELNS1_11target_archE1100ELNS1_3gpuE3ELNS1_3repE0EEENS1_30default_config_static_selectorELNS0_4arch9wavefront6targetE0EEEvT1_,"axG",@progbits,_ZN7rocprim17ROCPRIM_400000_NS6detail17trampoline_kernelINS0_14default_configENS1_25partition_config_selectorILNS1_17partition_subalgoE6EjNS0_10empty_typeEbEEZZNS1_14partition_implILS5_6ELb0ES3_mN6thrust23THRUST_200600_302600_NS6detail15normal_iteratorINSA_10device_ptrIjEEEEPS6_SG_NS0_5tupleIJSF_S6_EEENSH_IJSG_SG_EEES6_PlJNSB_9not_fun_tI7is_evenIjEEEEEE10hipError_tPvRmT3_T4_T5_T6_T7_T9_mT8_P12ihipStream_tbDpT10_ENKUlT_T0_E_clISt17integral_constantIbLb1EES18_EEDaS13_S14_EUlS13_E_NS1_11comp_targetILNS1_3genE9ELNS1_11target_archE1100ELNS1_3gpuE3ELNS1_3repE0EEENS1_30default_config_static_selectorELNS0_4arch9wavefront6targetE0EEEvT1_,comdat
.Lfunc_end643:
	.size	_ZN7rocprim17ROCPRIM_400000_NS6detail17trampoline_kernelINS0_14default_configENS1_25partition_config_selectorILNS1_17partition_subalgoE6EjNS0_10empty_typeEbEEZZNS1_14partition_implILS5_6ELb0ES3_mN6thrust23THRUST_200600_302600_NS6detail15normal_iteratorINSA_10device_ptrIjEEEEPS6_SG_NS0_5tupleIJSF_S6_EEENSH_IJSG_SG_EEES6_PlJNSB_9not_fun_tI7is_evenIjEEEEEE10hipError_tPvRmT3_T4_T5_T6_T7_T9_mT8_P12ihipStream_tbDpT10_ENKUlT_T0_E_clISt17integral_constantIbLb1EES18_EEDaS13_S14_EUlS13_E_NS1_11comp_targetILNS1_3genE9ELNS1_11target_archE1100ELNS1_3gpuE3ELNS1_3repE0EEENS1_30default_config_static_selectorELNS0_4arch9wavefront6targetE0EEEvT1_, .Lfunc_end643-_ZN7rocprim17ROCPRIM_400000_NS6detail17trampoline_kernelINS0_14default_configENS1_25partition_config_selectorILNS1_17partition_subalgoE6EjNS0_10empty_typeEbEEZZNS1_14partition_implILS5_6ELb0ES3_mN6thrust23THRUST_200600_302600_NS6detail15normal_iteratorINSA_10device_ptrIjEEEEPS6_SG_NS0_5tupleIJSF_S6_EEENSH_IJSG_SG_EEES6_PlJNSB_9not_fun_tI7is_evenIjEEEEEE10hipError_tPvRmT3_T4_T5_T6_T7_T9_mT8_P12ihipStream_tbDpT10_ENKUlT_T0_E_clISt17integral_constantIbLb1EES18_EEDaS13_S14_EUlS13_E_NS1_11comp_targetILNS1_3genE9ELNS1_11target_archE1100ELNS1_3gpuE3ELNS1_3repE0EEENS1_30default_config_static_selectorELNS0_4arch9wavefront6targetE0EEEvT1_
                                        ; -- End function
	.set _ZN7rocprim17ROCPRIM_400000_NS6detail17trampoline_kernelINS0_14default_configENS1_25partition_config_selectorILNS1_17partition_subalgoE6EjNS0_10empty_typeEbEEZZNS1_14partition_implILS5_6ELb0ES3_mN6thrust23THRUST_200600_302600_NS6detail15normal_iteratorINSA_10device_ptrIjEEEEPS6_SG_NS0_5tupleIJSF_S6_EEENSH_IJSG_SG_EEES6_PlJNSB_9not_fun_tI7is_evenIjEEEEEE10hipError_tPvRmT3_T4_T5_T6_T7_T9_mT8_P12ihipStream_tbDpT10_ENKUlT_T0_E_clISt17integral_constantIbLb1EES18_EEDaS13_S14_EUlS13_E_NS1_11comp_targetILNS1_3genE9ELNS1_11target_archE1100ELNS1_3gpuE3ELNS1_3repE0EEENS1_30default_config_static_selectorELNS0_4arch9wavefront6targetE0EEEvT1_.num_vgpr, 0
	.set _ZN7rocprim17ROCPRIM_400000_NS6detail17trampoline_kernelINS0_14default_configENS1_25partition_config_selectorILNS1_17partition_subalgoE6EjNS0_10empty_typeEbEEZZNS1_14partition_implILS5_6ELb0ES3_mN6thrust23THRUST_200600_302600_NS6detail15normal_iteratorINSA_10device_ptrIjEEEEPS6_SG_NS0_5tupleIJSF_S6_EEENSH_IJSG_SG_EEES6_PlJNSB_9not_fun_tI7is_evenIjEEEEEE10hipError_tPvRmT3_T4_T5_T6_T7_T9_mT8_P12ihipStream_tbDpT10_ENKUlT_T0_E_clISt17integral_constantIbLb1EES18_EEDaS13_S14_EUlS13_E_NS1_11comp_targetILNS1_3genE9ELNS1_11target_archE1100ELNS1_3gpuE3ELNS1_3repE0EEENS1_30default_config_static_selectorELNS0_4arch9wavefront6targetE0EEEvT1_.num_agpr, 0
	.set _ZN7rocprim17ROCPRIM_400000_NS6detail17trampoline_kernelINS0_14default_configENS1_25partition_config_selectorILNS1_17partition_subalgoE6EjNS0_10empty_typeEbEEZZNS1_14partition_implILS5_6ELb0ES3_mN6thrust23THRUST_200600_302600_NS6detail15normal_iteratorINSA_10device_ptrIjEEEEPS6_SG_NS0_5tupleIJSF_S6_EEENSH_IJSG_SG_EEES6_PlJNSB_9not_fun_tI7is_evenIjEEEEEE10hipError_tPvRmT3_T4_T5_T6_T7_T9_mT8_P12ihipStream_tbDpT10_ENKUlT_T0_E_clISt17integral_constantIbLb1EES18_EEDaS13_S14_EUlS13_E_NS1_11comp_targetILNS1_3genE9ELNS1_11target_archE1100ELNS1_3gpuE3ELNS1_3repE0EEENS1_30default_config_static_selectorELNS0_4arch9wavefront6targetE0EEEvT1_.numbered_sgpr, 0
	.set _ZN7rocprim17ROCPRIM_400000_NS6detail17trampoline_kernelINS0_14default_configENS1_25partition_config_selectorILNS1_17partition_subalgoE6EjNS0_10empty_typeEbEEZZNS1_14partition_implILS5_6ELb0ES3_mN6thrust23THRUST_200600_302600_NS6detail15normal_iteratorINSA_10device_ptrIjEEEEPS6_SG_NS0_5tupleIJSF_S6_EEENSH_IJSG_SG_EEES6_PlJNSB_9not_fun_tI7is_evenIjEEEEEE10hipError_tPvRmT3_T4_T5_T6_T7_T9_mT8_P12ihipStream_tbDpT10_ENKUlT_T0_E_clISt17integral_constantIbLb1EES18_EEDaS13_S14_EUlS13_E_NS1_11comp_targetILNS1_3genE9ELNS1_11target_archE1100ELNS1_3gpuE3ELNS1_3repE0EEENS1_30default_config_static_selectorELNS0_4arch9wavefront6targetE0EEEvT1_.num_named_barrier, 0
	.set _ZN7rocprim17ROCPRIM_400000_NS6detail17trampoline_kernelINS0_14default_configENS1_25partition_config_selectorILNS1_17partition_subalgoE6EjNS0_10empty_typeEbEEZZNS1_14partition_implILS5_6ELb0ES3_mN6thrust23THRUST_200600_302600_NS6detail15normal_iteratorINSA_10device_ptrIjEEEEPS6_SG_NS0_5tupleIJSF_S6_EEENSH_IJSG_SG_EEES6_PlJNSB_9not_fun_tI7is_evenIjEEEEEE10hipError_tPvRmT3_T4_T5_T6_T7_T9_mT8_P12ihipStream_tbDpT10_ENKUlT_T0_E_clISt17integral_constantIbLb1EES18_EEDaS13_S14_EUlS13_E_NS1_11comp_targetILNS1_3genE9ELNS1_11target_archE1100ELNS1_3gpuE3ELNS1_3repE0EEENS1_30default_config_static_selectorELNS0_4arch9wavefront6targetE0EEEvT1_.private_seg_size, 0
	.set _ZN7rocprim17ROCPRIM_400000_NS6detail17trampoline_kernelINS0_14default_configENS1_25partition_config_selectorILNS1_17partition_subalgoE6EjNS0_10empty_typeEbEEZZNS1_14partition_implILS5_6ELb0ES3_mN6thrust23THRUST_200600_302600_NS6detail15normal_iteratorINSA_10device_ptrIjEEEEPS6_SG_NS0_5tupleIJSF_S6_EEENSH_IJSG_SG_EEES6_PlJNSB_9not_fun_tI7is_evenIjEEEEEE10hipError_tPvRmT3_T4_T5_T6_T7_T9_mT8_P12ihipStream_tbDpT10_ENKUlT_T0_E_clISt17integral_constantIbLb1EES18_EEDaS13_S14_EUlS13_E_NS1_11comp_targetILNS1_3genE9ELNS1_11target_archE1100ELNS1_3gpuE3ELNS1_3repE0EEENS1_30default_config_static_selectorELNS0_4arch9wavefront6targetE0EEEvT1_.uses_vcc, 0
	.set _ZN7rocprim17ROCPRIM_400000_NS6detail17trampoline_kernelINS0_14default_configENS1_25partition_config_selectorILNS1_17partition_subalgoE6EjNS0_10empty_typeEbEEZZNS1_14partition_implILS5_6ELb0ES3_mN6thrust23THRUST_200600_302600_NS6detail15normal_iteratorINSA_10device_ptrIjEEEEPS6_SG_NS0_5tupleIJSF_S6_EEENSH_IJSG_SG_EEES6_PlJNSB_9not_fun_tI7is_evenIjEEEEEE10hipError_tPvRmT3_T4_T5_T6_T7_T9_mT8_P12ihipStream_tbDpT10_ENKUlT_T0_E_clISt17integral_constantIbLb1EES18_EEDaS13_S14_EUlS13_E_NS1_11comp_targetILNS1_3genE9ELNS1_11target_archE1100ELNS1_3gpuE3ELNS1_3repE0EEENS1_30default_config_static_selectorELNS0_4arch9wavefront6targetE0EEEvT1_.uses_flat_scratch, 0
	.set _ZN7rocprim17ROCPRIM_400000_NS6detail17trampoline_kernelINS0_14default_configENS1_25partition_config_selectorILNS1_17partition_subalgoE6EjNS0_10empty_typeEbEEZZNS1_14partition_implILS5_6ELb0ES3_mN6thrust23THRUST_200600_302600_NS6detail15normal_iteratorINSA_10device_ptrIjEEEEPS6_SG_NS0_5tupleIJSF_S6_EEENSH_IJSG_SG_EEES6_PlJNSB_9not_fun_tI7is_evenIjEEEEEE10hipError_tPvRmT3_T4_T5_T6_T7_T9_mT8_P12ihipStream_tbDpT10_ENKUlT_T0_E_clISt17integral_constantIbLb1EES18_EEDaS13_S14_EUlS13_E_NS1_11comp_targetILNS1_3genE9ELNS1_11target_archE1100ELNS1_3gpuE3ELNS1_3repE0EEENS1_30default_config_static_selectorELNS0_4arch9wavefront6targetE0EEEvT1_.has_dyn_sized_stack, 0
	.set _ZN7rocprim17ROCPRIM_400000_NS6detail17trampoline_kernelINS0_14default_configENS1_25partition_config_selectorILNS1_17partition_subalgoE6EjNS0_10empty_typeEbEEZZNS1_14partition_implILS5_6ELb0ES3_mN6thrust23THRUST_200600_302600_NS6detail15normal_iteratorINSA_10device_ptrIjEEEEPS6_SG_NS0_5tupleIJSF_S6_EEENSH_IJSG_SG_EEES6_PlJNSB_9not_fun_tI7is_evenIjEEEEEE10hipError_tPvRmT3_T4_T5_T6_T7_T9_mT8_P12ihipStream_tbDpT10_ENKUlT_T0_E_clISt17integral_constantIbLb1EES18_EEDaS13_S14_EUlS13_E_NS1_11comp_targetILNS1_3genE9ELNS1_11target_archE1100ELNS1_3gpuE3ELNS1_3repE0EEENS1_30default_config_static_selectorELNS0_4arch9wavefront6targetE0EEEvT1_.has_recursion, 0
	.set _ZN7rocprim17ROCPRIM_400000_NS6detail17trampoline_kernelINS0_14default_configENS1_25partition_config_selectorILNS1_17partition_subalgoE6EjNS0_10empty_typeEbEEZZNS1_14partition_implILS5_6ELb0ES3_mN6thrust23THRUST_200600_302600_NS6detail15normal_iteratorINSA_10device_ptrIjEEEEPS6_SG_NS0_5tupleIJSF_S6_EEENSH_IJSG_SG_EEES6_PlJNSB_9not_fun_tI7is_evenIjEEEEEE10hipError_tPvRmT3_T4_T5_T6_T7_T9_mT8_P12ihipStream_tbDpT10_ENKUlT_T0_E_clISt17integral_constantIbLb1EES18_EEDaS13_S14_EUlS13_E_NS1_11comp_targetILNS1_3genE9ELNS1_11target_archE1100ELNS1_3gpuE3ELNS1_3repE0EEENS1_30default_config_static_selectorELNS0_4arch9wavefront6targetE0EEEvT1_.has_indirect_call, 0
	.section	.AMDGPU.csdata,"",@progbits
; Kernel info:
; codeLenInByte = 0
; TotalNumSgprs: 0
; NumVgprs: 0
; ScratchSize: 0
; MemoryBound: 0
; FloatMode: 240
; IeeeMode: 1
; LDSByteSize: 0 bytes/workgroup (compile time only)
; SGPRBlocks: 0
; VGPRBlocks: 0
; NumSGPRsForWavesPerEU: 1
; NumVGPRsForWavesPerEU: 1
; Occupancy: 16
; WaveLimiterHint : 0
; COMPUTE_PGM_RSRC2:SCRATCH_EN: 0
; COMPUTE_PGM_RSRC2:USER_SGPR: 2
; COMPUTE_PGM_RSRC2:TRAP_HANDLER: 0
; COMPUTE_PGM_RSRC2:TGID_X_EN: 1
; COMPUTE_PGM_RSRC2:TGID_Y_EN: 0
; COMPUTE_PGM_RSRC2:TGID_Z_EN: 0
; COMPUTE_PGM_RSRC2:TIDIG_COMP_CNT: 0
	.section	.text._ZN7rocprim17ROCPRIM_400000_NS6detail17trampoline_kernelINS0_14default_configENS1_25partition_config_selectorILNS1_17partition_subalgoE6EjNS0_10empty_typeEbEEZZNS1_14partition_implILS5_6ELb0ES3_mN6thrust23THRUST_200600_302600_NS6detail15normal_iteratorINSA_10device_ptrIjEEEEPS6_SG_NS0_5tupleIJSF_S6_EEENSH_IJSG_SG_EEES6_PlJNSB_9not_fun_tI7is_evenIjEEEEEE10hipError_tPvRmT3_T4_T5_T6_T7_T9_mT8_P12ihipStream_tbDpT10_ENKUlT_T0_E_clISt17integral_constantIbLb1EES18_EEDaS13_S14_EUlS13_E_NS1_11comp_targetILNS1_3genE8ELNS1_11target_archE1030ELNS1_3gpuE2ELNS1_3repE0EEENS1_30default_config_static_selectorELNS0_4arch9wavefront6targetE0EEEvT1_,"axG",@progbits,_ZN7rocprim17ROCPRIM_400000_NS6detail17trampoline_kernelINS0_14default_configENS1_25partition_config_selectorILNS1_17partition_subalgoE6EjNS0_10empty_typeEbEEZZNS1_14partition_implILS5_6ELb0ES3_mN6thrust23THRUST_200600_302600_NS6detail15normal_iteratorINSA_10device_ptrIjEEEEPS6_SG_NS0_5tupleIJSF_S6_EEENSH_IJSG_SG_EEES6_PlJNSB_9not_fun_tI7is_evenIjEEEEEE10hipError_tPvRmT3_T4_T5_T6_T7_T9_mT8_P12ihipStream_tbDpT10_ENKUlT_T0_E_clISt17integral_constantIbLb1EES18_EEDaS13_S14_EUlS13_E_NS1_11comp_targetILNS1_3genE8ELNS1_11target_archE1030ELNS1_3gpuE2ELNS1_3repE0EEENS1_30default_config_static_selectorELNS0_4arch9wavefront6targetE0EEEvT1_,comdat
	.protected	_ZN7rocprim17ROCPRIM_400000_NS6detail17trampoline_kernelINS0_14default_configENS1_25partition_config_selectorILNS1_17partition_subalgoE6EjNS0_10empty_typeEbEEZZNS1_14partition_implILS5_6ELb0ES3_mN6thrust23THRUST_200600_302600_NS6detail15normal_iteratorINSA_10device_ptrIjEEEEPS6_SG_NS0_5tupleIJSF_S6_EEENSH_IJSG_SG_EEES6_PlJNSB_9not_fun_tI7is_evenIjEEEEEE10hipError_tPvRmT3_T4_T5_T6_T7_T9_mT8_P12ihipStream_tbDpT10_ENKUlT_T0_E_clISt17integral_constantIbLb1EES18_EEDaS13_S14_EUlS13_E_NS1_11comp_targetILNS1_3genE8ELNS1_11target_archE1030ELNS1_3gpuE2ELNS1_3repE0EEENS1_30default_config_static_selectorELNS0_4arch9wavefront6targetE0EEEvT1_ ; -- Begin function _ZN7rocprim17ROCPRIM_400000_NS6detail17trampoline_kernelINS0_14default_configENS1_25partition_config_selectorILNS1_17partition_subalgoE6EjNS0_10empty_typeEbEEZZNS1_14partition_implILS5_6ELb0ES3_mN6thrust23THRUST_200600_302600_NS6detail15normal_iteratorINSA_10device_ptrIjEEEEPS6_SG_NS0_5tupleIJSF_S6_EEENSH_IJSG_SG_EEES6_PlJNSB_9not_fun_tI7is_evenIjEEEEEE10hipError_tPvRmT3_T4_T5_T6_T7_T9_mT8_P12ihipStream_tbDpT10_ENKUlT_T0_E_clISt17integral_constantIbLb1EES18_EEDaS13_S14_EUlS13_E_NS1_11comp_targetILNS1_3genE8ELNS1_11target_archE1030ELNS1_3gpuE2ELNS1_3repE0EEENS1_30default_config_static_selectorELNS0_4arch9wavefront6targetE0EEEvT1_
	.globl	_ZN7rocprim17ROCPRIM_400000_NS6detail17trampoline_kernelINS0_14default_configENS1_25partition_config_selectorILNS1_17partition_subalgoE6EjNS0_10empty_typeEbEEZZNS1_14partition_implILS5_6ELb0ES3_mN6thrust23THRUST_200600_302600_NS6detail15normal_iteratorINSA_10device_ptrIjEEEEPS6_SG_NS0_5tupleIJSF_S6_EEENSH_IJSG_SG_EEES6_PlJNSB_9not_fun_tI7is_evenIjEEEEEE10hipError_tPvRmT3_T4_T5_T6_T7_T9_mT8_P12ihipStream_tbDpT10_ENKUlT_T0_E_clISt17integral_constantIbLb1EES18_EEDaS13_S14_EUlS13_E_NS1_11comp_targetILNS1_3genE8ELNS1_11target_archE1030ELNS1_3gpuE2ELNS1_3repE0EEENS1_30default_config_static_selectorELNS0_4arch9wavefront6targetE0EEEvT1_
	.p2align	8
	.type	_ZN7rocprim17ROCPRIM_400000_NS6detail17trampoline_kernelINS0_14default_configENS1_25partition_config_selectorILNS1_17partition_subalgoE6EjNS0_10empty_typeEbEEZZNS1_14partition_implILS5_6ELb0ES3_mN6thrust23THRUST_200600_302600_NS6detail15normal_iteratorINSA_10device_ptrIjEEEEPS6_SG_NS0_5tupleIJSF_S6_EEENSH_IJSG_SG_EEES6_PlJNSB_9not_fun_tI7is_evenIjEEEEEE10hipError_tPvRmT3_T4_T5_T6_T7_T9_mT8_P12ihipStream_tbDpT10_ENKUlT_T0_E_clISt17integral_constantIbLb1EES18_EEDaS13_S14_EUlS13_E_NS1_11comp_targetILNS1_3genE8ELNS1_11target_archE1030ELNS1_3gpuE2ELNS1_3repE0EEENS1_30default_config_static_selectorELNS0_4arch9wavefront6targetE0EEEvT1_,@function
_ZN7rocprim17ROCPRIM_400000_NS6detail17trampoline_kernelINS0_14default_configENS1_25partition_config_selectorILNS1_17partition_subalgoE6EjNS0_10empty_typeEbEEZZNS1_14partition_implILS5_6ELb0ES3_mN6thrust23THRUST_200600_302600_NS6detail15normal_iteratorINSA_10device_ptrIjEEEEPS6_SG_NS0_5tupleIJSF_S6_EEENSH_IJSG_SG_EEES6_PlJNSB_9not_fun_tI7is_evenIjEEEEEE10hipError_tPvRmT3_T4_T5_T6_T7_T9_mT8_P12ihipStream_tbDpT10_ENKUlT_T0_E_clISt17integral_constantIbLb1EES18_EEDaS13_S14_EUlS13_E_NS1_11comp_targetILNS1_3genE8ELNS1_11target_archE1030ELNS1_3gpuE2ELNS1_3repE0EEENS1_30default_config_static_selectorELNS0_4arch9wavefront6targetE0EEEvT1_: ; @_ZN7rocprim17ROCPRIM_400000_NS6detail17trampoline_kernelINS0_14default_configENS1_25partition_config_selectorILNS1_17partition_subalgoE6EjNS0_10empty_typeEbEEZZNS1_14partition_implILS5_6ELb0ES3_mN6thrust23THRUST_200600_302600_NS6detail15normal_iteratorINSA_10device_ptrIjEEEEPS6_SG_NS0_5tupleIJSF_S6_EEENSH_IJSG_SG_EEES6_PlJNSB_9not_fun_tI7is_evenIjEEEEEE10hipError_tPvRmT3_T4_T5_T6_T7_T9_mT8_P12ihipStream_tbDpT10_ENKUlT_T0_E_clISt17integral_constantIbLb1EES18_EEDaS13_S14_EUlS13_E_NS1_11comp_targetILNS1_3genE8ELNS1_11target_archE1030ELNS1_3gpuE2ELNS1_3repE0EEENS1_30default_config_static_selectorELNS0_4arch9wavefront6targetE0EEEvT1_
; %bb.0:
	.section	.rodata,"a",@progbits
	.p2align	6, 0x0
	.amdhsa_kernel _ZN7rocprim17ROCPRIM_400000_NS6detail17trampoline_kernelINS0_14default_configENS1_25partition_config_selectorILNS1_17partition_subalgoE6EjNS0_10empty_typeEbEEZZNS1_14partition_implILS5_6ELb0ES3_mN6thrust23THRUST_200600_302600_NS6detail15normal_iteratorINSA_10device_ptrIjEEEEPS6_SG_NS0_5tupleIJSF_S6_EEENSH_IJSG_SG_EEES6_PlJNSB_9not_fun_tI7is_evenIjEEEEEE10hipError_tPvRmT3_T4_T5_T6_T7_T9_mT8_P12ihipStream_tbDpT10_ENKUlT_T0_E_clISt17integral_constantIbLb1EES18_EEDaS13_S14_EUlS13_E_NS1_11comp_targetILNS1_3genE8ELNS1_11target_archE1030ELNS1_3gpuE2ELNS1_3repE0EEENS1_30default_config_static_selectorELNS0_4arch9wavefront6targetE0EEEvT1_
		.amdhsa_group_segment_fixed_size 0
		.amdhsa_private_segment_fixed_size 0
		.amdhsa_kernarg_size 128
		.amdhsa_user_sgpr_count 2
		.amdhsa_user_sgpr_dispatch_ptr 0
		.amdhsa_user_sgpr_queue_ptr 0
		.amdhsa_user_sgpr_kernarg_segment_ptr 1
		.amdhsa_user_sgpr_dispatch_id 0
		.amdhsa_user_sgpr_private_segment_size 0
		.amdhsa_wavefront_size32 1
		.amdhsa_uses_dynamic_stack 0
		.amdhsa_enable_private_segment 0
		.amdhsa_system_sgpr_workgroup_id_x 1
		.amdhsa_system_sgpr_workgroup_id_y 0
		.amdhsa_system_sgpr_workgroup_id_z 0
		.amdhsa_system_sgpr_workgroup_info 0
		.amdhsa_system_vgpr_workitem_id 0
		.amdhsa_next_free_vgpr 1
		.amdhsa_next_free_sgpr 1
		.amdhsa_reserve_vcc 0
		.amdhsa_float_round_mode_32 0
		.amdhsa_float_round_mode_16_64 0
		.amdhsa_float_denorm_mode_32 3
		.amdhsa_float_denorm_mode_16_64 3
		.amdhsa_fp16_overflow 0
		.amdhsa_workgroup_processor_mode 1
		.amdhsa_memory_ordered 1
		.amdhsa_forward_progress 1
		.amdhsa_inst_pref_size 0
		.amdhsa_round_robin_scheduling 0
		.amdhsa_exception_fp_ieee_invalid_op 0
		.amdhsa_exception_fp_denorm_src 0
		.amdhsa_exception_fp_ieee_div_zero 0
		.amdhsa_exception_fp_ieee_overflow 0
		.amdhsa_exception_fp_ieee_underflow 0
		.amdhsa_exception_fp_ieee_inexact 0
		.amdhsa_exception_int_div_zero 0
	.end_amdhsa_kernel
	.section	.text._ZN7rocprim17ROCPRIM_400000_NS6detail17trampoline_kernelINS0_14default_configENS1_25partition_config_selectorILNS1_17partition_subalgoE6EjNS0_10empty_typeEbEEZZNS1_14partition_implILS5_6ELb0ES3_mN6thrust23THRUST_200600_302600_NS6detail15normal_iteratorINSA_10device_ptrIjEEEEPS6_SG_NS0_5tupleIJSF_S6_EEENSH_IJSG_SG_EEES6_PlJNSB_9not_fun_tI7is_evenIjEEEEEE10hipError_tPvRmT3_T4_T5_T6_T7_T9_mT8_P12ihipStream_tbDpT10_ENKUlT_T0_E_clISt17integral_constantIbLb1EES18_EEDaS13_S14_EUlS13_E_NS1_11comp_targetILNS1_3genE8ELNS1_11target_archE1030ELNS1_3gpuE2ELNS1_3repE0EEENS1_30default_config_static_selectorELNS0_4arch9wavefront6targetE0EEEvT1_,"axG",@progbits,_ZN7rocprim17ROCPRIM_400000_NS6detail17trampoline_kernelINS0_14default_configENS1_25partition_config_selectorILNS1_17partition_subalgoE6EjNS0_10empty_typeEbEEZZNS1_14partition_implILS5_6ELb0ES3_mN6thrust23THRUST_200600_302600_NS6detail15normal_iteratorINSA_10device_ptrIjEEEEPS6_SG_NS0_5tupleIJSF_S6_EEENSH_IJSG_SG_EEES6_PlJNSB_9not_fun_tI7is_evenIjEEEEEE10hipError_tPvRmT3_T4_T5_T6_T7_T9_mT8_P12ihipStream_tbDpT10_ENKUlT_T0_E_clISt17integral_constantIbLb1EES18_EEDaS13_S14_EUlS13_E_NS1_11comp_targetILNS1_3genE8ELNS1_11target_archE1030ELNS1_3gpuE2ELNS1_3repE0EEENS1_30default_config_static_selectorELNS0_4arch9wavefront6targetE0EEEvT1_,comdat
.Lfunc_end644:
	.size	_ZN7rocprim17ROCPRIM_400000_NS6detail17trampoline_kernelINS0_14default_configENS1_25partition_config_selectorILNS1_17partition_subalgoE6EjNS0_10empty_typeEbEEZZNS1_14partition_implILS5_6ELb0ES3_mN6thrust23THRUST_200600_302600_NS6detail15normal_iteratorINSA_10device_ptrIjEEEEPS6_SG_NS0_5tupleIJSF_S6_EEENSH_IJSG_SG_EEES6_PlJNSB_9not_fun_tI7is_evenIjEEEEEE10hipError_tPvRmT3_T4_T5_T6_T7_T9_mT8_P12ihipStream_tbDpT10_ENKUlT_T0_E_clISt17integral_constantIbLb1EES18_EEDaS13_S14_EUlS13_E_NS1_11comp_targetILNS1_3genE8ELNS1_11target_archE1030ELNS1_3gpuE2ELNS1_3repE0EEENS1_30default_config_static_selectorELNS0_4arch9wavefront6targetE0EEEvT1_, .Lfunc_end644-_ZN7rocprim17ROCPRIM_400000_NS6detail17trampoline_kernelINS0_14default_configENS1_25partition_config_selectorILNS1_17partition_subalgoE6EjNS0_10empty_typeEbEEZZNS1_14partition_implILS5_6ELb0ES3_mN6thrust23THRUST_200600_302600_NS6detail15normal_iteratorINSA_10device_ptrIjEEEEPS6_SG_NS0_5tupleIJSF_S6_EEENSH_IJSG_SG_EEES6_PlJNSB_9not_fun_tI7is_evenIjEEEEEE10hipError_tPvRmT3_T4_T5_T6_T7_T9_mT8_P12ihipStream_tbDpT10_ENKUlT_T0_E_clISt17integral_constantIbLb1EES18_EEDaS13_S14_EUlS13_E_NS1_11comp_targetILNS1_3genE8ELNS1_11target_archE1030ELNS1_3gpuE2ELNS1_3repE0EEENS1_30default_config_static_selectorELNS0_4arch9wavefront6targetE0EEEvT1_
                                        ; -- End function
	.set _ZN7rocprim17ROCPRIM_400000_NS6detail17trampoline_kernelINS0_14default_configENS1_25partition_config_selectorILNS1_17partition_subalgoE6EjNS0_10empty_typeEbEEZZNS1_14partition_implILS5_6ELb0ES3_mN6thrust23THRUST_200600_302600_NS6detail15normal_iteratorINSA_10device_ptrIjEEEEPS6_SG_NS0_5tupleIJSF_S6_EEENSH_IJSG_SG_EEES6_PlJNSB_9not_fun_tI7is_evenIjEEEEEE10hipError_tPvRmT3_T4_T5_T6_T7_T9_mT8_P12ihipStream_tbDpT10_ENKUlT_T0_E_clISt17integral_constantIbLb1EES18_EEDaS13_S14_EUlS13_E_NS1_11comp_targetILNS1_3genE8ELNS1_11target_archE1030ELNS1_3gpuE2ELNS1_3repE0EEENS1_30default_config_static_selectorELNS0_4arch9wavefront6targetE0EEEvT1_.num_vgpr, 0
	.set _ZN7rocprim17ROCPRIM_400000_NS6detail17trampoline_kernelINS0_14default_configENS1_25partition_config_selectorILNS1_17partition_subalgoE6EjNS0_10empty_typeEbEEZZNS1_14partition_implILS5_6ELb0ES3_mN6thrust23THRUST_200600_302600_NS6detail15normal_iteratorINSA_10device_ptrIjEEEEPS6_SG_NS0_5tupleIJSF_S6_EEENSH_IJSG_SG_EEES6_PlJNSB_9not_fun_tI7is_evenIjEEEEEE10hipError_tPvRmT3_T4_T5_T6_T7_T9_mT8_P12ihipStream_tbDpT10_ENKUlT_T0_E_clISt17integral_constantIbLb1EES18_EEDaS13_S14_EUlS13_E_NS1_11comp_targetILNS1_3genE8ELNS1_11target_archE1030ELNS1_3gpuE2ELNS1_3repE0EEENS1_30default_config_static_selectorELNS0_4arch9wavefront6targetE0EEEvT1_.num_agpr, 0
	.set _ZN7rocprim17ROCPRIM_400000_NS6detail17trampoline_kernelINS0_14default_configENS1_25partition_config_selectorILNS1_17partition_subalgoE6EjNS0_10empty_typeEbEEZZNS1_14partition_implILS5_6ELb0ES3_mN6thrust23THRUST_200600_302600_NS6detail15normal_iteratorINSA_10device_ptrIjEEEEPS6_SG_NS0_5tupleIJSF_S6_EEENSH_IJSG_SG_EEES6_PlJNSB_9not_fun_tI7is_evenIjEEEEEE10hipError_tPvRmT3_T4_T5_T6_T7_T9_mT8_P12ihipStream_tbDpT10_ENKUlT_T0_E_clISt17integral_constantIbLb1EES18_EEDaS13_S14_EUlS13_E_NS1_11comp_targetILNS1_3genE8ELNS1_11target_archE1030ELNS1_3gpuE2ELNS1_3repE0EEENS1_30default_config_static_selectorELNS0_4arch9wavefront6targetE0EEEvT1_.numbered_sgpr, 0
	.set _ZN7rocprim17ROCPRIM_400000_NS6detail17trampoline_kernelINS0_14default_configENS1_25partition_config_selectorILNS1_17partition_subalgoE6EjNS0_10empty_typeEbEEZZNS1_14partition_implILS5_6ELb0ES3_mN6thrust23THRUST_200600_302600_NS6detail15normal_iteratorINSA_10device_ptrIjEEEEPS6_SG_NS0_5tupleIJSF_S6_EEENSH_IJSG_SG_EEES6_PlJNSB_9not_fun_tI7is_evenIjEEEEEE10hipError_tPvRmT3_T4_T5_T6_T7_T9_mT8_P12ihipStream_tbDpT10_ENKUlT_T0_E_clISt17integral_constantIbLb1EES18_EEDaS13_S14_EUlS13_E_NS1_11comp_targetILNS1_3genE8ELNS1_11target_archE1030ELNS1_3gpuE2ELNS1_3repE0EEENS1_30default_config_static_selectorELNS0_4arch9wavefront6targetE0EEEvT1_.num_named_barrier, 0
	.set _ZN7rocprim17ROCPRIM_400000_NS6detail17trampoline_kernelINS0_14default_configENS1_25partition_config_selectorILNS1_17partition_subalgoE6EjNS0_10empty_typeEbEEZZNS1_14partition_implILS5_6ELb0ES3_mN6thrust23THRUST_200600_302600_NS6detail15normal_iteratorINSA_10device_ptrIjEEEEPS6_SG_NS0_5tupleIJSF_S6_EEENSH_IJSG_SG_EEES6_PlJNSB_9not_fun_tI7is_evenIjEEEEEE10hipError_tPvRmT3_T4_T5_T6_T7_T9_mT8_P12ihipStream_tbDpT10_ENKUlT_T0_E_clISt17integral_constantIbLb1EES18_EEDaS13_S14_EUlS13_E_NS1_11comp_targetILNS1_3genE8ELNS1_11target_archE1030ELNS1_3gpuE2ELNS1_3repE0EEENS1_30default_config_static_selectorELNS0_4arch9wavefront6targetE0EEEvT1_.private_seg_size, 0
	.set _ZN7rocprim17ROCPRIM_400000_NS6detail17trampoline_kernelINS0_14default_configENS1_25partition_config_selectorILNS1_17partition_subalgoE6EjNS0_10empty_typeEbEEZZNS1_14partition_implILS5_6ELb0ES3_mN6thrust23THRUST_200600_302600_NS6detail15normal_iteratorINSA_10device_ptrIjEEEEPS6_SG_NS0_5tupleIJSF_S6_EEENSH_IJSG_SG_EEES6_PlJNSB_9not_fun_tI7is_evenIjEEEEEE10hipError_tPvRmT3_T4_T5_T6_T7_T9_mT8_P12ihipStream_tbDpT10_ENKUlT_T0_E_clISt17integral_constantIbLb1EES18_EEDaS13_S14_EUlS13_E_NS1_11comp_targetILNS1_3genE8ELNS1_11target_archE1030ELNS1_3gpuE2ELNS1_3repE0EEENS1_30default_config_static_selectorELNS0_4arch9wavefront6targetE0EEEvT1_.uses_vcc, 0
	.set _ZN7rocprim17ROCPRIM_400000_NS6detail17trampoline_kernelINS0_14default_configENS1_25partition_config_selectorILNS1_17partition_subalgoE6EjNS0_10empty_typeEbEEZZNS1_14partition_implILS5_6ELb0ES3_mN6thrust23THRUST_200600_302600_NS6detail15normal_iteratorINSA_10device_ptrIjEEEEPS6_SG_NS0_5tupleIJSF_S6_EEENSH_IJSG_SG_EEES6_PlJNSB_9not_fun_tI7is_evenIjEEEEEE10hipError_tPvRmT3_T4_T5_T6_T7_T9_mT8_P12ihipStream_tbDpT10_ENKUlT_T0_E_clISt17integral_constantIbLb1EES18_EEDaS13_S14_EUlS13_E_NS1_11comp_targetILNS1_3genE8ELNS1_11target_archE1030ELNS1_3gpuE2ELNS1_3repE0EEENS1_30default_config_static_selectorELNS0_4arch9wavefront6targetE0EEEvT1_.uses_flat_scratch, 0
	.set _ZN7rocprim17ROCPRIM_400000_NS6detail17trampoline_kernelINS0_14default_configENS1_25partition_config_selectorILNS1_17partition_subalgoE6EjNS0_10empty_typeEbEEZZNS1_14partition_implILS5_6ELb0ES3_mN6thrust23THRUST_200600_302600_NS6detail15normal_iteratorINSA_10device_ptrIjEEEEPS6_SG_NS0_5tupleIJSF_S6_EEENSH_IJSG_SG_EEES6_PlJNSB_9not_fun_tI7is_evenIjEEEEEE10hipError_tPvRmT3_T4_T5_T6_T7_T9_mT8_P12ihipStream_tbDpT10_ENKUlT_T0_E_clISt17integral_constantIbLb1EES18_EEDaS13_S14_EUlS13_E_NS1_11comp_targetILNS1_3genE8ELNS1_11target_archE1030ELNS1_3gpuE2ELNS1_3repE0EEENS1_30default_config_static_selectorELNS0_4arch9wavefront6targetE0EEEvT1_.has_dyn_sized_stack, 0
	.set _ZN7rocprim17ROCPRIM_400000_NS6detail17trampoline_kernelINS0_14default_configENS1_25partition_config_selectorILNS1_17partition_subalgoE6EjNS0_10empty_typeEbEEZZNS1_14partition_implILS5_6ELb0ES3_mN6thrust23THRUST_200600_302600_NS6detail15normal_iteratorINSA_10device_ptrIjEEEEPS6_SG_NS0_5tupleIJSF_S6_EEENSH_IJSG_SG_EEES6_PlJNSB_9not_fun_tI7is_evenIjEEEEEE10hipError_tPvRmT3_T4_T5_T6_T7_T9_mT8_P12ihipStream_tbDpT10_ENKUlT_T0_E_clISt17integral_constantIbLb1EES18_EEDaS13_S14_EUlS13_E_NS1_11comp_targetILNS1_3genE8ELNS1_11target_archE1030ELNS1_3gpuE2ELNS1_3repE0EEENS1_30default_config_static_selectorELNS0_4arch9wavefront6targetE0EEEvT1_.has_recursion, 0
	.set _ZN7rocprim17ROCPRIM_400000_NS6detail17trampoline_kernelINS0_14default_configENS1_25partition_config_selectorILNS1_17partition_subalgoE6EjNS0_10empty_typeEbEEZZNS1_14partition_implILS5_6ELb0ES3_mN6thrust23THRUST_200600_302600_NS6detail15normal_iteratorINSA_10device_ptrIjEEEEPS6_SG_NS0_5tupleIJSF_S6_EEENSH_IJSG_SG_EEES6_PlJNSB_9not_fun_tI7is_evenIjEEEEEE10hipError_tPvRmT3_T4_T5_T6_T7_T9_mT8_P12ihipStream_tbDpT10_ENKUlT_T0_E_clISt17integral_constantIbLb1EES18_EEDaS13_S14_EUlS13_E_NS1_11comp_targetILNS1_3genE8ELNS1_11target_archE1030ELNS1_3gpuE2ELNS1_3repE0EEENS1_30default_config_static_selectorELNS0_4arch9wavefront6targetE0EEEvT1_.has_indirect_call, 0
	.section	.AMDGPU.csdata,"",@progbits
; Kernel info:
; codeLenInByte = 0
; TotalNumSgprs: 0
; NumVgprs: 0
; ScratchSize: 0
; MemoryBound: 0
; FloatMode: 240
; IeeeMode: 1
; LDSByteSize: 0 bytes/workgroup (compile time only)
; SGPRBlocks: 0
; VGPRBlocks: 0
; NumSGPRsForWavesPerEU: 1
; NumVGPRsForWavesPerEU: 1
; Occupancy: 16
; WaveLimiterHint : 0
; COMPUTE_PGM_RSRC2:SCRATCH_EN: 0
; COMPUTE_PGM_RSRC2:USER_SGPR: 2
; COMPUTE_PGM_RSRC2:TRAP_HANDLER: 0
; COMPUTE_PGM_RSRC2:TGID_X_EN: 1
; COMPUTE_PGM_RSRC2:TGID_Y_EN: 0
; COMPUTE_PGM_RSRC2:TGID_Z_EN: 0
; COMPUTE_PGM_RSRC2:TIDIG_COMP_CNT: 0
	.section	.text._ZN7rocprim17ROCPRIM_400000_NS6detail17trampoline_kernelINS0_14default_configENS1_25partition_config_selectorILNS1_17partition_subalgoE6EjNS0_10empty_typeEbEEZZNS1_14partition_implILS5_6ELb0ES3_mN6thrust23THRUST_200600_302600_NS6detail15normal_iteratorINSA_10device_ptrIjEEEEPS6_SG_NS0_5tupleIJSF_S6_EEENSH_IJSG_SG_EEES6_PlJNSB_9not_fun_tI7is_evenIjEEEEEE10hipError_tPvRmT3_T4_T5_T6_T7_T9_mT8_P12ihipStream_tbDpT10_ENKUlT_T0_E_clISt17integral_constantIbLb1EES17_IbLb0EEEEDaS13_S14_EUlS13_E_NS1_11comp_targetILNS1_3genE0ELNS1_11target_archE4294967295ELNS1_3gpuE0ELNS1_3repE0EEENS1_30default_config_static_selectorELNS0_4arch9wavefront6targetE0EEEvT1_,"axG",@progbits,_ZN7rocprim17ROCPRIM_400000_NS6detail17trampoline_kernelINS0_14default_configENS1_25partition_config_selectorILNS1_17partition_subalgoE6EjNS0_10empty_typeEbEEZZNS1_14partition_implILS5_6ELb0ES3_mN6thrust23THRUST_200600_302600_NS6detail15normal_iteratorINSA_10device_ptrIjEEEEPS6_SG_NS0_5tupleIJSF_S6_EEENSH_IJSG_SG_EEES6_PlJNSB_9not_fun_tI7is_evenIjEEEEEE10hipError_tPvRmT3_T4_T5_T6_T7_T9_mT8_P12ihipStream_tbDpT10_ENKUlT_T0_E_clISt17integral_constantIbLb1EES17_IbLb0EEEEDaS13_S14_EUlS13_E_NS1_11comp_targetILNS1_3genE0ELNS1_11target_archE4294967295ELNS1_3gpuE0ELNS1_3repE0EEENS1_30default_config_static_selectorELNS0_4arch9wavefront6targetE0EEEvT1_,comdat
	.protected	_ZN7rocprim17ROCPRIM_400000_NS6detail17trampoline_kernelINS0_14default_configENS1_25partition_config_selectorILNS1_17partition_subalgoE6EjNS0_10empty_typeEbEEZZNS1_14partition_implILS5_6ELb0ES3_mN6thrust23THRUST_200600_302600_NS6detail15normal_iteratorINSA_10device_ptrIjEEEEPS6_SG_NS0_5tupleIJSF_S6_EEENSH_IJSG_SG_EEES6_PlJNSB_9not_fun_tI7is_evenIjEEEEEE10hipError_tPvRmT3_T4_T5_T6_T7_T9_mT8_P12ihipStream_tbDpT10_ENKUlT_T0_E_clISt17integral_constantIbLb1EES17_IbLb0EEEEDaS13_S14_EUlS13_E_NS1_11comp_targetILNS1_3genE0ELNS1_11target_archE4294967295ELNS1_3gpuE0ELNS1_3repE0EEENS1_30default_config_static_selectorELNS0_4arch9wavefront6targetE0EEEvT1_ ; -- Begin function _ZN7rocprim17ROCPRIM_400000_NS6detail17trampoline_kernelINS0_14default_configENS1_25partition_config_selectorILNS1_17partition_subalgoE6EjNS0_10empty_typeEbEEZZNS1_14partition_implILS5_6ELb0ES3_mN6thrust23THRUST_200600_302600_NS6detail15normal_iteratorINSA_10device_ptrIjEEEEPS6_SG_NS0_5tupleIJSF_S6_EEENSH_IJSG_SG_EEES6_PlJNSB_9not_fun_tI7is_evenIjEEEEEE10hipError_tPvRmT3_T4_T5_T6_T7_T9_mT8_P12ihipStream_tbDpT10_ENKUlT_T0_E_clISt17integral_constantIbLb1EES17_IbLb0EEEEDaS13_S14_EUlS13_E_NS1_11comp_targetILNS1_3genE0ELNS1_11target_archE4294967295ELNS1_3gpuE0ELNS1_3repE0EEENS1_30default_config_static_selectorELNS0_4arch9wavefront6targetE0EEEvT1_
	.globl	_ZN7rocprim17ROCPRIM_400000_NS6detail17trampoline_kernelINS0_14default_configENS1_25partition_config_selectorILNS1_17partition_subalgoE6EjNS0_10empty_typeEbEEZZNS1_14partition_implILS5_6ELb0ES3_mN6thrust23THRUST_200600_302600_NS6detail15normal_iteratorINSA_10device_ptrIjEEEEPS6_SG_NS0_5tupleIJSF_S6_EEENSH_IJSG_SG_EEES6_PlJNSB_9not_fun_tI7is_evenIjEEEEEE10hipError_tPvRmT3_T4_T5_T6_T7_T9_mT8_P12ihipStream_tbDpT10_ENKUlT_T0_E_clISt17integral_constantIbLb1EES17_IbLb0EEEEDaS13_S14_EUlS13_E_NS1_11comp_targetILNS1_3genE0ELNS1_11target_archE4294967295ELNS1_3gpuE0ELNS1_3repE0EEENS1_30default_config_static_selectorELNS0_4arch9wavefront6targetE0EEEvT1_
	.p2align	8
	.type	_ZN7rocprim17ROCPRIM_400000_NS6detail17trampoline_kernelINS0_14default_configENS1_25partition_config_selectorILNS1_17partition_subalgoE6EjNS0_10empty_typeEbEEZZNS1_14partition_implILS5_6ELb0ES3_mN6thrust23THRUST_200600_302600_NS6detail15normal_iteratorINSA_10device_ptrIjEEEEPS6_SG_NS0_5tupleIJSF_S6_EEENSH_IJSG_SG_EEES6_PlJNSB_9not_fun_tI7is_evenIjEEEEEE10hipError_tPvRmT3_T4_T5_T6_T7_T9_mT8_P12ihipStream_tbDpT10_ENKUlT_T0_E_clISt17integral_constantIbLb1EES17_IbLb0EEEEDaS13_S14_EUlS13_E_NS1_11comp_targetILNS1_3genE0ELNS1_11target_archE4294967295ELNS1_3gpuE0ELNS1_3repE0EEENS1_30default_config_static_selectorELNS0_4arch9wavefront6targetE0EEEvT1_,@function
_ZN7rocprim17ROCPRIM_400000_NS6detail17trampoline_kernelINS0_14default_configENS1_25partition_config_selectorILNS1_17partition_subalgoE6EjNS0_10empty_typeEbEEZZNS1_14partition_implILS5_6ELb0ES3_mN6thrust23THRUST_200600_302600_NS6detail15normal_iteratorINSA_10device_ptrIjEEEEPS6_SG_NS0_5tupleIJSF_S6_EEENSH_IJSG_SG_EEES6_PlJNSB_9not_fun_tI7is_evenIjEEEEEE10hipError_tPvRmT3_T4_T5_T6_T7_T9_mT8_P12ihipStream_tbDpT10_ENKUlT_T0_E_clISt17integral_constantIbLb1EES17_IbLb0EEEEDaS13_S14_EUlS13_E_NS1_11comp_targetILNS1_3genE0ELNS1_11target_archE4294967295ELNS1_3gpuE0ELNS1_3repE0EEENS1_30default_config_static_selectorELNS0_4arch9wavefront6targetE0EEEvT1_: ; @_ZN7rocprim17ROCPRIM_400000_NS6detail17trampoline_kernelINS0_14default_configENS1_25partition_config_selectorILNS1_17partition_subalgoE6EjNS0_10empty_typeEbEEZZNS1_14partition_implILS5_6ELb0ES3_mN6thrust23THRUST_200600_302600_NS6detail15normal_iteratorINSA_10device_ptrIjEEEEPS6_SG_NS0_5tupleIJSF_S6_EEENSH_IJSG_SG_EEES6_PlJNSB_9not_fun_tI7is_evenIjEEEEEE10hipError_tPvRmT3_T4_T5_T6_T7_T9_mT8_P12ihipStream_tbDpT10_ENKUlT_T0_E_clISt17integral_constantIbLb1EES17_IbLb0EEEEDaS13_S14_EUlS13_E_NS1_11comp_targetILNS1_3genE0ELNS1_11target_archE4294967295ELNS1_3gpuE0ELNS1_3repE0EEENS1_30default_config_static_selectorELNS0_4arch9wavefront6targetE0EEEvT1_
; %bb.0:
	.section	.rodata,"a",@progbits
	.p2align	6, 0x0
	.amdhsa_kernel _ZN7rocprim17ROCPRIM_400000_NS6detail17trampoline_kernelINS0_14default_configENS1_25partition_config_selectorILNS1_17partition_subalgoE6EjNS0_10empty_typeEbEEZZNS1_14partition_implILS5_6ELb0ES3_mN6thrust23THRUST_200600_302600_NS6detail15normal_iteratorINSA_10device_ptrIjEEEEPS6_SG_NS0_5tupleIJSF_S6_EEENSH_IJSG_SG_EEES6_PlJNSB_9not_fun_tI7is_evenIjEEEEEE10hipError_tPvRmT3_T4_T5_T6_T7_T9_mT8_P12ihipStream_tbDpT10_ENKUlT_T0_E_clISt17integral_constantIbLb1EES17_IbLb0EEEEDaS13_S14_EUlS13_E_NS1_11comp_targetILNS1_3genE0ELNS1_11target_archE4294967295ELNS1_3gpuE0ELNS1_3repE0EEENS1_30default_config_static_selectorELNS0_4arch9wavefront6targetE0EEEvT1_
		.amdhsa_group_segment_fixed_size 0
		.amdhsa_private_segment_fixed_size 0
		.amdhsa_kernarg_size 112
		.amdhsa_user_sgpr_count 2
		.amdhsa_user_sgpr_dispatch_ptr 0
		.amdhsa_user_sgpr_queue_ptr 0
		.amdhsa_user_sgpr_kernarg_segment_ptr 1
		.amdhsa_user_sgpr_dispatch_id 0
		.amdhsa_user_sgpr_private_segment_size 0
		.amdhsa_wavefront_size32 1
		.amdhsa_uses_dynamic_stack 0
		.amdhsa_enable_private_segment 0
		.amdhsa_system_sgpr_workgroup_id_x 1
		.amdhsa_system_sgpr_workgroup_id_y 0
		.amdhsa_system_sgpr_workgroup_id_z 0
		.amdhsa_system_sgpr_workgroup_info 0
		.amdhsa_system_vgpr_workitem_id 0
		.amdhsa_next_free_vgpr 1
		.amdhsa_next_free_sgpr 1
		.amdhsa_reserve_vcc 0
		.amdhsa_float_round_mode_32 0
		.amdhsa_float_round_mode_16_64 0
		.amdhsa_float_denorm_mode_32 3
		.amdhsa_float_denorm_mode_16_64 3
		.amdhsa_fp16_overflow 0
		.amdhsa_workgroup_processor_mode 1
		.amdhsa_memory_ordered 1
		.amdhsa_forward_progress 1
		.amdhsa_inst_pref_size 0
		.amdhsa_round_robin_scheduling 0
		.amdhsa_exception_fp_ieee_invalid_op 0
		.amdhsa_exception_fp_denorm_src 0
		.amdhsa_exception_fp_ieee_div_zero 0
		.amdhsa_exception_fp_ieee_overflow 0
		.amdhsa_exception_fp_ieee_underflow 0
		.amdhsa_exception_fp_ieee_inexact 0
		.amdhsa_exception_int_div_zero 0
	.end_amdhsa_kernel
	.section	.text._ZN7rocprim17ROCPRIM_400000_NS6detail17trampoline_kernelINS0_14default_configENS1_25partition_config_selectorILNS1_17partition_subalgoE6EjNS0_10empty_typeEbEEZZNS1_14partition_implILS5_6ELb0ES3_mN6thrust23THRUST_200600_302600_NS6detail15normal_iteratorINSA_10device_ptrIjEEEEPS6_SG_NS0_5tupleIJSF_S6_EEENSH_IJSG_SG_EEES6_PlJNSB_9not_fun_tI7is_evenIjEEEEEE10hipError_tPvRmT3_T4_T5_T6_T7_T9_mT8_P12ihipStream_tbDpT10_ENKUlT_T0_E_clISt17integral_constantIbLb1EES17_IbLb0EEEEDaS13_S14_EUlS13_E_NS1_11comp_targetILNS1_3genE0ELNS1_11target_archE4294967295ELNS1_3gpuE0ELNS1_3repE0EEENS1_30default_config_static_selectorELNS0_4arch9wavefront6targetE0EEEvT1_,"axG",@progbits,_ZN7rocprim17ROCPRIM_400000_NS6detail17trampoline_kernelINS0_14default_configENS1_25partition_config_selectorILNS1_17partition_subalgoE6EjNS0_10empty_typeEbEEZZNS1_14partition_implILS5_6ELb0ES3_mN6thrust23THRUST_200600_302600_NS6detail15normal_iteratorINSA_10device_ptrIjEEEEPS6_SG_NS0_5tupleIJSF_S6_EEENSH_IJSG_SG_EEES6_PlJNSB_9not_fun_tI7is_evenIjEEEEEE10hipError_tPvRmT3_T4_T5_T6_T7_T9_mT8_P12ihipStream_tbDpT10_ENKUlT_T0_E_clISt17integral_constantIbLb1EES17_IbLb0EEEEDaS13_S14_EUlS13_E_NS1_11comp_targetILNS1_3genE0ELNS1_11target_archE4294967295ELNS1_3gpuE0ELNS1_3repE0EEENS1_30default_config_static_selectorELNS0_4arch9wavefront6targetE0EEEvT1_,comdat
.Lfunc_end645:
	.size	_ZN7rocprim17ROCPRIM_400000_NS6detail17trampoline_kernelINS0_14default_configENS1_25partition_config_selectorILNS1_17partition_subalgoE6EjNS0_10empty_typeEbEEZZNS1_14partition_implILS5_6ELb0ES3_mN6thrust23THRUST_200600_302600_NS6detail15normal_iteratorINSA_10device_ptrIjEEEEPS6_SG_NS0_5tupleIJSF_S6_EEENSH_IJSG_SG_EEES6_PlJNSB_9not_fun_tI7is_evenIjEEEEEE10hipError_tPvRmT3_T4_T5_T6_T7_T9_mT8_P12ihipStream_tbDpT10_ENKUlT_T0_E_clISt17integral_constantIbLb1EES17_IbLb0EEEEDaS13_S14_EUlS13_E_NS1_11comp_targetILNS1_3genE0ELNS1_11target_archE4294967295ELNS1_3gpuE0ELNS1_3repE0EEENS1_30default_config_static_selectorELNS0_4arch9wavefront6targetE0EEEvT1_, .Lfunc_end645-_ZN7rocprim17ROCPRIM_400000_NS6detail17trampoline_kernelINS0_14default_configENS1_25partition_config_selectorILNS1_17partition_subalgoE6EjNS0_10empty_typeEbEEZZNS1_14partition_implILS5_6ELb0ES3_mN6thrust23THRUST_200600_302600_NS6detail15normal_iteratorINSA_10device_ptrIjEEEEPS6_SG_NS0_5tupleIJSF_S6_EEENSH_IJSG_SG_EEES6_PlJNSB_9not_fun_tI7is_evenIjEEEEEE10hipError_tPvRmT3_T4_T5_T6_T7_T9_mT8_P12ihipStream_tbDpT10_ENKUlT_T0_E_clISt17integral_constantIbLb1EES17_IbLb0EEEEDaS13_S14_EUlS13_E_NS1_11comp_targetILNS1_3genE0ELNS1_11target_archE4294967295ELNS1_3gpuE0ELNS1_3repE0EEENS1_30default_config_static_selectorELNS0_4arch9wavefront6targetE0EEEvT1_
                                        ; -- End function
	.set _ZN7rocprim17ROCPRIM_400000_NS6detail17trampoline_kernelINS0_14default_configENS1_25partition_config_selectorILNS1_17partition_subalgoE6EjNS0_10empty_typeEbEEZZNS1_14partition_implILS5_6ELb0ES3_mN6thrust23THRUST_200600_302600_NS6detail15normal_iteratorINSA_10device_ptrIjEEEEPS6_SG_NS0_5tupleIJSF_S6_EEENSH_IJSG_SG_EEES6_PlJNSB_9not_fun_tI7is_evenIjEEEEEE10hipError_tPvRmT3_T4_T5_T6_T7_T9_mT8_P12ihipStream_tbDpT10_ENKUlT_T0_E_clISt17integral_constantIbLb1EES17_IbLb0EEEEDaS13_S14_EUlS13_E_NS1_11comp_targetILNS1_3genE0ELNS1_11target_archE4294967295ELNS1_3gpuE0ELNS1_3repE0EEENS1_30default_config_static_selectorELNS0_4arch9wavefront6targetE0EEEvT1_.num_vgpr, 0
	.set _ZN7rocprim17ROCPRIM_400000_NS6detail17trampoline_kernelINS0_14default_configENS1_25partition_config_selectorILNS1_17partition_subalgoE6EjNS0_10empty_typeEbEEZZNS1_14partition_implILS5_6ELb0ES3_mN6thrust23THRUST_200600_302600_NS6detail15normal_iteratorINSA_10device_ptrIjEEEEPS6_SG_NS0_5tupleIJSF_S6_EEENSH_IJSG_SG_EEES6_PlJNSB_9not_fun_tI7is_evenIjEEEEEE10hipError_tPvRmT3_T4_T5_T6_T7_T9_mT8_P12ihipStream_tbDpT10_ENKUlT_T0_E_clISt17integral_constantIbLb1EES17_IbLb0EEEEDaS13_S14_EUlS13_E_NS1_11comp_targetILNS1_3genE0ELNS1_11target_archE4294967295ELNS1_3gpuE0ELNS1_3repE0EEENS1_30default_config_static_selectorELNS0_4arch9wavefront6targetE0EEEvT1_.num_agpr, 0
	.set _ZN7rocprim17ROCPRIM_400000_NS6detail17trampoline_kernelINS0_14default_configENS1_25partition_config_selectorILNS1_17partition_subalgoE6EjNS0_10empty_typeEbEEZZNS1_14partition_implILS5_6ELb0ES3_mN6thrust23THRUST_200600_302600_NS6detail15normal_iteratorINSA_10device_ptrIjEEEEPS6_SG_NS0_5tupleIJSF_S6_EEENSH_IJSG_SG_EEES6_PlJNSB_9not_fun_tI7is_evenIjEEEEEE10hipError_tPvRmT3_T4_T5_T6_T7_T9_mT8_P12ihipStream_tbDpT10_ENKUlT_T0_E_clISt17integral_constantIbLb1EES17_IbLb0EEEEDaS13_S14_EUlS13_E_NS1_11comp_targetILNS1_3genE0ELNS1_11target_archE4294967295ELNS1_3gpuE0ELNS1_3repE0EEENS1_30default_config_static_selectorELNS0_4arch9wavefront6targetE0EEEvT1_.numbered_sgpr, 0
	.set _ZN7rocprim17ROCPRIM_400000_NS6detail17trampoline_kernelINS0_14default_configENS1_25partition_config_selectorILNS1_17partition_subalgoE6EjNS0_10empty_typeEbEEZZNS1_14partition_implILS5_6ELb0ES3_mN6thrust23THRUST_200600_302600_NS6detail15normal_iteratorINSA_10device_ptrIjEEEEPS6_SG_NS0_5tupleIJSF_S6_EEENSH_IJSG_SG_EEES6_PlJNSB_9not_fun_tI7is_evenIjEEEEEE10hipError_tPvRmT3_T4_T5_T6_T7_T9_mT8_P12ihipStream_tbDpT10_ENKUlT_T0_E_clISt17integral_constantIbLb1EES17_IbLb0EEEEDaS13_S14_EUlS13_E_NS1_11comp_targetILNS1_3genE0ELNS1_11target_archE4294967295ELNS1_3gpuE0ELNS1_3repE0EEENS1_30default_config_static_selectorELNS0_4arch9wavefront6targetE0EEEvT1_.num_named_barrier, 0
	.set _ZN7rocprim17ROCPRIM_400000_NS6detail17trampoline_kernelINS0_14default_configENS1_25partition_config_selectorILNS1_17partition_subalgoE6EjNS0_10empty_typeEbEEZZNS1_14partition_implILS5_6ELb0ES3_mN6thrust23THRUST_200600_302600_NS6detail15normal_iteratorINSA_10device_ptrIjEEEEPS6_SG_NS0_5tupleIJSF_S6_EEENSH_IJSG_SG_EEES6_PlJNSB_9not_fun_tI7is_evenIjEEEEEE10hipError_tPvRmT3_T4_T5_T6_T7_T9_mT8_P12ihipStream_tbDpT10_ENKUlT_T0_E_clISt17integral_constantIbLb1EES17_IbLb0EEEEDaS13_S14_EUlS13_E_NS1_11comp_targetILNS1_3genE0ELNS1_11target_archE4294967295ELNS1_3gpuE0ELNS1_3repE0EEENS1_30default_config_static_selectorELNS0_4arch9wavefront6targetE0EEEvT1_.private_seg_size, 0
	.set _ZN7rocprim17ROCPRIM_400000_NS6detail17trampoline_kernelINS0_14default_configENS1_25partition_config_selectorILNS1_17partition_subalgoE6EjNS0_10empty_typeEbEEZZNS1_14partition_implILS5_6ELb0ES3_mN6thrust23THRUST_200600_302600_NS6detail15normal_iteratorINSA_10device_ptrIjEEEEPS6_SG_NS0_5tupleIJSF_S6_EEENSH_IJSG_SG_EEES6_PlJNSB_9not_fun_tI7is_evenIjEEEEEE10hipError_tPvRmT3_T4_T5_T6_T7_T9_mT8_P12ihipStream_tbDpT10_ENKUlT_T0_E_clISt17integral_constantIbLb1EES17_IbLb0EEEEDaS13_S14_EUlS13_E_NS1_11comp_targetILNS1_3genE0ELNS1_11target_archE4294967295ELNS1_3gpuE0ELNS1_3repE0EEENS1_30default_config_static_selectorELNS0_4arch9wavefront6targetE0EEEvT1_.uses_vcc, 0
	.set _ZN7rocprim17ROCPRIM_400000_NS6detail17trampoline_kernelINS0_14default_configENS1_25partition_config_selectorILNS1_17partition_subalgoE6EjNS0_10empty_typeEbEEZZNS1_14partition_implILS5_6ELb0ES3_mN6thrust23THRUST_200600_302600_NS6detail15normal_iteratorINSA_10device_ptrIjEEEEPS6_SG_NS0_5tupleIJSF_S6_EEENSH_IJSG_SG_EEES6_PlJNSB_9not_fun_tI7is_evenIjEEEEEE10hipError_tPvRmT3_T4_T5_T6_T7_T9_mT8_P12ihipStream_tbDpT10_ENKUlT_T0_E_clISt17integral_constantIbLb1EES17_IbLb0EEEEDaS13_S14_EUlS13_E_NS1_11comp_targetILNS1_3genE0ELNS1_11target_archE4294967295ELNS1_3gpuE0ELNS1_3repE0EEENS1_30default_config_static_selectorELNS0_4arch9wavefront6targetE0EEEvT1_.uses_flat_scratch, 0
	.set _ZN7rocprim17ROCPRIM_400000_NS6detail17trampoline_kernelINS0_14default_configENS1_25partition_config_selectorILNS1_17partition_subalgoE6EjNS0_10empty_typeEbEEZZNS1_14partition_implILS5_6ELb0ES3_mN6thrust23THRUST_200600_302600_NS6detail15normal_iteratorINSA_10device_ptrIjEEEEPS6_SG_NS0_5tupleIJSF_S6_EEENSH_IJSG_SG_EEES6_PlJNSB_9not_fun_tI7is_evenIjEEEEEE10hipError_tPvRmT3_T4_T5_T6_T7_T9_mT8_P12ihipStream_tbDpT10_ENKUlT_T0_E_clISt17integral_constantIbLb1EES17_IbLb0EEEEDaS13_S14_EUlS13_E_NS1_11comp_targetILNS1_3genE0ELNS1_11target_archE4294967295ELNS1_3gpuE0ELNS1_3repE0EEENS1_30default_config_static_selectorELNS0_4arch9wavefront6targetE0EEEvT1_.has_dyn_sized_stack, 0
	.set _ZN7rocprim17ROCPRIM_400000_NS6detail17trampoline_kernelINS0_14default_configENS1_25partition_config_selectorILNS1_17partition_subalgoE6EjNS0_10empty_typeEbEEZZNS1_14partition_implILS5_6ELb0ES3_mN6thrust23THRUST_200600_302600_NS6detail15normal_iteratorINSA_10device_ptrIjEEEEPS6_SG_NS0_5tupleIJSF_S6_EEENSH_IJSG_SG_EEES6_PlJNSB_9not_fun_tI7is_evenIjEEEEEE10hipError_tPvRmT3_T4_T5_T6_T7_T9_mT8_P12ihipStream_tbDpT10_ENKUlT_T0_E_clISt17integral_constantIbLb1EES17_IbLb0EEEEDaS13_S14_EUlS13_E_NS1_11comp_targetILNS1_3genE0ELNS1_11target_archE4294967295ELNS1_3gpuE0ELNS1_3repE0EEENS1_30default_config_static_selectorELNS0_4arch9wavefront6targetE0EEEvT1_.has_recursion, 0
	.set _ZN7rocprim17ROCPRIM_400000_NS6detail17trampoline_kernelINS0_14default_configENS1_25partition_config_selectorILNS1_17partition_subalgoE6EjNS0_10empty_typeEbEEZZNS1_14partition_implILS5_6ELb0ES3_mN6thrust23THRUST_200600_302600_NS6detail15normal_iteratorINSA_10device_ptrIjEEEEPS6_SG_NS0_5tupleIJSF_S6_EEENSH_IJSG_SG_EEES6_PlJNSB_9not_fun_tI7is_evenIjEEEEEE10hipError_tPvRmT3_T4_T5_T6_T7_T9_mT8_P12ihipStream_tbDpT10_ENKUlT_T0_E_clISt17integral_constantIbLb1EES17_IbLb0EEEEDaS13_S14_EUlS13_E_NS1_11comp_targetILNS1_3genE0ELNS1_11target_archE4294967295ELNS1_3gpuE0ELNS1_3repE0EEENS1_30default_config_static_selectorELNS0_4arch9wavefront6targetE0EEEvT1_.has_indirect_call, 0
	.section	.AMDGPU.csdata,"",@progbits
; Kernel info:
; codeLenInByte = 0
; TotalNumSgprs: 0
; NumVgprs: 0
; ScratchSize: 0
; MemoryBound: 0
; FloatMode: 240
; IeeeMode: 1
; LDSByteSize: 0 bytes/workgroup (compile time only)
; SGPRBlocks: 0
; VGPRBlocks: 0
; NumSGPRsForWavesPerEU: 1
; NumVGPRsForWavesPerEU: 1
; Occupancy: 16
; WaveLimiterHint : 0
; COMPUTE_PGM_RSRC2:SCRATCH_EN: 0
; COMPUTE_PGM_RSRC2:USER_SGPR: 2
; COMPUTE_PGM_RSRC2:TRAP_HANDLER: 0
; COMPUTE_PGM_RSRC2:TGID_X_EN: 1
; COMPUTE_PGM_RSRC2:TGID_Y_EN: 0
; COMPUTE_PGM_RSRC2:TGID_Z_EN: 0
; COMPUTE_PGM_RSRC2:TIDIG_COMP_CNT: 0
	.section	.text._ZN7rocprim17ROCPRIM_400000_NS6detail17trampoline_kernelINS0_14default_configENS1_25partition_config_selectorILNS1_17partition_subalgoE6EjNS0_10empty_typeEbEEZZNS1_14partition_implILS5_6ELb0ES3_mN6thrust23THRUST_200600_302600_NS6detail15normal_iteratorINSA_10device_ptrIjEEEEPS6_SG_NS0_5tupleIJSF_S6_EEENSH_IJSG_SG_EEES6_PlJNSB_9not_fun_tI7is_evenIjEEEEEE10hipError_tPvRmT3_T4_T5_T6_T7_T9_mT8_P12ihipStream_tbDpT10_ENKUlT_T0_E_clISt17integral_constantIbLb1EES17_IbLb0EEEEDaS13_S14_EUlS13_E_NS1_11comp_targetILNS1_3genE5ELNS1_11target_archE942ELNS1_3gpuE9ELNS1_3repE0EEENS1_30default_config_static_selectorELNS0_4arch9wavefront6targetE0EEEvT1_,"axG",@progbits,_ZN7rocprim17ROCPRIM_400000_NS6detail17trampoline_kernelINS0_14default_configENS1_25partition_config_selectorILNS1_17partition_subalgoE6EjNS0_10empty_typeEbEEZZNS1_14partition_implILS5_6ELb0ES3_mN6thrust23THRUST_200600_302600_NS6detail15normal_iteratorINSA_10device_ptrIjEEEEPS6_SG_NS0_5tupleIJSF_S6_EEENSH_IJSG_SG_EEES6_PlJNSB_9not_fun_tI7is_evenIjEEEEEE10hipError_tPvRmT3_T4_T5_T6_T7_T9_mT8_P12ihipStream_tbDpT10_ENKUlT_T0_E_clISt17integral_constantIbLb1EES17_IbLb0EEEEDaS13_S14_EUlS13_E_NS1_11comp_targetILNS1_3genE5ELNS1_11target_archE942ELNS1_3gpuE9ELNS1_3repE0EEENS1_30default_config_static_selectorELNS0_4arch9wavefront6targetE0EEEvT1_,comdat
	.protected	_ZN7rocprim17ROCPRIM_400000_NS6detail17trampoline_kernelINS0_14default_configENS1_25partition_config_selectorILNS1_17partition_subalgoE6EjNS0_10empty_typeEbEEZZNS1_14partition_implILS5_6ELb0ES3_mN6thrust23THRUST_200600_302600_NS6detail15normal_iteratorINSA_10device_ptrIjEEEEPS6_SG_NS0_5tupleIJSF_S6_EEENSH_IJSG_SG_EEES6_PlJNSB_9not_fun_tI7is_evenIjEEEEEE10hipError_tPvRmT3_T4_T5_T6_T7_T9_mT8_P12ihipStream_tbDpT10_ENKUlT_T0_E_clISt17integral_constantIbLb1EES17_IbLb0EEEEDaS13_S14_EUlS13_E_NS1_11comp_targetILNS1_3genE5ELNS1_11target_archE942ELNS1_3gpuE9ELNS1_3repE0EEENS1_30default_config_static_selectorELNS0_4arch9wavefront6targetE0EEEvT1_ ; -- Begin function _ZN7rocprim17ROCPRIM_400000_NS6detail17trampoline_kernelINS0_14default_configENS1_25partition_config_selectorILNS1_17partition_subalgoE6EjNS0_10empty_typeEbEEZZNS1_14partition_implILS5_6ELb0ES3_mN6thrust23THRUST_200600_302600_NS6detail15normal_iteratorINSA_10device_ptrIjEEEEPS6_SG_NS0_5tupleIJSF_S6_EEENSH_IJSG_SG_EEES6_PlJNSB_9not_fun_tI7is_evenIjEEEEEE10hipError_tPvRmT3_T4_T5_T6_T7_T9_mT8_P12ihipStream_tbDpT10_ENKUlT_T0_E_clISt17integral_constantIbLb1EES17_IbLb0EEEEDaS13_S14_EUlS13_E_NS1_11comp_targetILNS1_3genE5ELNS1_11target_archE942ELNS1_3gpuE9ELNS1_3repE0EEENS1_30default_config_static_selectorELNS0_4arch9wavefront6targetE0EEEvT1_
	.globl	_ZN7rocprim17ROCPRIM_400000_NS6detail17trampoline_kernelINS0_14default_configENS1_25partition_config_selectorILNS1_17partition_subalgoE6EjNS0_10empty_typeEbEEZZNS1_14partition_implILS5_6ELb0ES3_mN6thrust23THRUST_200600_302600_NS6detail15normal_iteratorINSA_10device_ptrIjEEEEPS6_SG_NS0_5tupleIJSF_S6_EEENSH_IJSG_SG_EEES6_PlJNSB_9not_fun_tI7is_evenIjEEEEEE10hipError_tPvRmT3_T4_T5_T6_T7_T9_mT8_P12ihipStream_tbDpT10_ENKUlT_T0_E_clISt17integral_constantIbLb1EES17_IbLb0EEEEDaS13_S14_EUlS13_E_NS1_11comp_targetILNS1_3genE5ELNS1_11target_archE942ELNS1_3gpuE9ELNS1_3repE0EEENS1_30default_config_static_selectorELNS0_4arch9wavefront6targetE0EEEvT1_
	.p2align	8
	.type	_ZN7rocprim17ROCPRIM_400000_NS6detail17trampoline_kernelINS0_14default_configENS1_25partition_config_selectorILNS1_17partition_subalgoE6EjNS0_10empty_typeEbEEZZNS1_14partition_implILS5_6ELb0ES3_mN6thrust23THRUST_200600_302600_NS6detail15normal_iteratorINSA_10device_ptrIjEEEEPS6_SG_NS0_5tupleIJSF_S6_EEENSH_IJSG_SG_EEES6_PlJNSB_9not_fun_tI7is_evenIjEEEEEE10hipError_tPvRmT3_T4_T5_T6_T7_T9_mT8_P12ihipStream_tbDpT10_ENKUlT_T0_E_clISt17integral_constantIbLb1EES17_IbLb0EEEEDaS13_S14_EUlS13_E_NS1_11comp_targetILNS1_3genE5ELNS1_11target_archE942ELNS1_3gpuE9ELNS1_3repE0EEENS1_30default_config_static_selectorELNS0_4arch9wavefront6targetE0EEEvT1_,@function
_ZN7rocprim17ROCPRIM_400000_NS6detail17trampoline_kernelINS0_14default_configENS1_25partition_config_selectorILNS1_17partition_subalgoE6EjNS0_10empty_typeEbEEZZNS1_14partition_implILS5_6ELb0ES3_mN6thrust23THRUST_200600_302600_NS6detail15normal_iteratorINSA_10device_ptrIjEEEEPS6_SG_NS0_5tupleIJSF_S6_EEENSH_IJSG_SG_EEES6_PlJNSB_9not_fun_tI7is_evenIjEEEEEE10hipError_tPvRmT3_T4_T5_T6_T7_T9_mT8_P12ihipStream_tbDpT10_ENKUlT_T0_E_clISt17integral_constantIbLb1EES17_IbLb0EEEEDaS13_S14_EUlS13_E_NS1_11comp_targetILNS1_3genE5ELNS1_11target_archE942ELNS1_3gpuE9ELNS1_3repE0EEENS1_30default_config_static_selectorELNS0_4arch9wavefront6targetE0EEEvT1_: ; @_ZN7rocprim17ROCPRIM_400000_NS6detail17trampoline_kernelINS0_14default_configENS1_25partition_config_selectorILNS1_17partition_subalgoE6EjNS0_10empty_typeEbEEZZNS1_14partition_implILS5_6ELb0ES3_mN6thrust23THRUST_200600_302600_NS6detail15normal_iteratorINSA_10device_ptrIjEEEEPS6_SG_NS0_5tupleIJSF_S6_EEENSH_IJSG_SG_EEES6_PlJNSB_9not_fun_tI7is_evenIjEEEEEE10hipError_tPvRmT3_T4_T5_T6_T7_T9_mT8_P12ihipStream_tbDpT10_ENKUlT_T0_E_clISt17integral_constantIbLb1EES17_IbLb0EEEEDaS13_S14_EUlS13_E_NS1_11comp_targetILNS1_3genE5ELNS1_11target_archE942ELNS1_3gpuE9ELNS1_3repE0EEENS1_30default_config_static_selectorELNS0_4arch9wavefront6targetE0EEEvT1_
; %bb.0:
	.section	.rodata,"a",@progbits
	.p2align	6, 0x0
	.amdhsa_kernel _ZN7rocprim17ROCPRIM_400000_NS6detail17trampoline_kernelINS0_14default_configENS1_25partition_config_selectorILNS1_17partition_subalgoE6EjNS0_10empty_typeEbEEZZNS1_14partition_implILS5_6ELb0ES3_mN6thrust23THRUST_200600_302600_NS6detail15normal_iteratorINSA_10device_ptrIjEEEEPS6_SG_NS0_5tupleIJSF_S6_EEENSH_IJSG_SG_EEES6_PlJNSB_9not_fun_tI7is_evenIjEEEEEE10hipError_tPvRmT3_T4_T5_T6_T7_T9_mT8_P12ihipStream_tbDpT10_ENKUlT_T0_E_clISt17integral_constantIbLb1EES17_IbLb0EEEEDaS13_S14_EUlS13_E_NS1_11comp_targetILNS1_3genE5ELNS1_11target_archE942ELNS1_3gpuE9ELNS1_3repE0EEENS1_30default_config_static_selectorELNS0_4arch9wavefront6targetE0EEEvT1_
		.amdhsa_group_segment_fixed_size 0
		.amdhsa_private_segment_fixed_size 0
		.amdhsa_kernarg_size 112
		.amdhsa_user_sgpr_count 2
		.amdhsa_user_sgpr_dispatch_ptr 0
		.amdhsa_user_sgpr_queue_ptr 0
		.amdhsa_user_sgpr_kernarg_segment_ptr 1
		.amdhsa_user_sgpr_dispatch_id 0
		.amdhsa_user_sgpr_private_segment_size 0
		.amdhsa_wavefront_size32 1
		.amdhsa_uses_dynamic_stack 0
		.amdhsa_enable_private_segment 0
		.amdhsa_system_sgpr_workgroup_id_x 1
		.amdhsa_system_sgpr_workgroup_id_y 0
		.amdhsa_system_sgpr_workgroup_id_z 0
		.amdhsa_system_sgpr_workgroup_info 0
		.amdhsa_system_vgpr_workitem_id 0
		.amdhsa_next_free_vgpr 1
		.amdhsa_next_free_sgpr 1
		.amdhsa_reserve_vcc 0
		.amdhsa_float_round_mode_32 0
		.amdhsa_float_round_mode_16_64 0
		.amdhsa_float_denorm_mode_32 3
		.amdhsa_float_denorm_mode_16_64 3
		.amdhsa_fp16_overflow 0
		.amdhsa_workgroup_processor_mode 1
		.amdhsa_memory_ordered 1
		.amdhsa_forward_progress 1
		.amdhsa_inst_pref_size 0
		.amdhsa_round_robin_scheduling 0
		.amdhsa_exception_fp_ieee_invalid_op 0
		.amdhsa_exception_fp_denorm_src 0
		.amdhsa_exception_fp_ieee_div_zero 0
		.amdhsa_exception_fp_ieee_overflow 0
		.amdhsa_exception_fp_ieee_underflow 0
		.amdhsa_exception_fp_ieee_inexact 0
		.amdhsa_exception_int_div_zero 0
	.end_amdhsa_kernel
	.section	.text._ZN7rocprim17ROCPRIM_400000_NS6detail17trampoline_kernelINS0_14default_configENS1_25partition_config_selectorILNS1_17partition_subalgoE6EjNS0_10empty_typeEbEEZZNS1_14partition_implILS5_6ELb0ES3_mN6thrust23THRUST_200600_302600_NS6detail15normal_iteratorINSA_10device_ptrIjEEEEPS6_SG_NS0_5tupleIJSF_S6_EEENSH_IJSG_SG_EEES6_PlJNSB_9not_fun_tI7is_evenIjEEEEEE10hipError_tPvRmT3_T4_T5_T6_T7_T9_mT8_P12ihipStream_tbDpT10_ENKUlT_T0_E_clISt17integral_constantIbLb1EES17_IbLb0EEEEDaS13_S14_EUlS13_E_NS1_11comp_targetILNS1_3genE5ELNS1_11target_archE942ELNS1_3gpuE9ELNS1_3repE0EEENS1_30default_config_static_selectorELNS0_4arch9wavefront6targetE0EEEvT1_,"axG",@progbits,_ZN7rocprim17ROCPRIM_400000_NS6detail17trampoline_kernelINS0_14default_configENS1_25partition_config_selectorILNS1_17partition_subalgoE6EjNS0_10empty_typeEbEEZZNS1_14partition_implILS5_6ELb0ES3_mN6thrust23THRUST_200600_302600_NS6detail15normal_iteratorINSA_10device_ptrIjEEEEPS6_SG_NS0_5tupleIJSF_S6_EEENSH_IJSG_SG_EEES6_PlJNSB_9not_fun_tI7is_evenIjEEEEEE10hipError_tPvRmT3_T4_T5_T6_T7_T9_mT8_P12ihipStream_tbDpT10_ENKUlT_T0_E_clISt17integral_constantIbLb1EES17_IbLb0EEEEDaS13_S14_EUlS13_E_NS1_11comp_targetILNS1_3genE5ELNS1_11target_archE942ELNS1_3gpuE9ELNS1_3repE0EEENS1_30default_config_static_selectorELNS0_4arch9wavefront6targetE0EEEvT1_,comdat
.Lfunc_end646:
	.size	_ZN7rocprim17ROCPRIM_400000_NS6detail17trampoline_kernelINS0_14default_configENS1_25partition_config_selectorILNS1_17partition_subalgoE6EjNS0_10empty_typeEbEEZZNS1_14partition_implILS5_6ELb0ES3_mN6thrust23THRUST_200600_302600_NS6detail15normal_iteratorINSA_10device_ptrIjEEEEPS6_SG_NS0_5tupleIJSF_S6_EEENSH_IJSG_SG_EEES6_PlJNSB_9not_fun_tI7is_evenIjEEEEEE10hipError_tPvRmT3_T4_T5_T6_T7_T9_mT8_P12ihipStream_tbDpT10_ENKUlT_T0_E_clISt17integral_constantIbLb1EES17_IbLb0EEEEDaS13_S14_EUlS13_E_NS1_11comp_targetILNS1_3genE5ELNS1_11target_archE942ELNS1_3gpuE9ELNS1_3repE0EEENS1_30default_config_static_selectorELNS0_4arch9wavefront6targetE0EEEvT1_, .Lfunc_end646-_ZN7rocprim17ROCPRIM_400000_NS6detail17trampoline_kernelINS0_14default_configENS1_25partition_config_selectorILNS1_17partition_subalgoE6EjNS0_10empty_typeEbEEZZNS1_14partition_implILS5_6ELb0ES3_mN6thrust23THRUST_200600_302600_NS6detail15normal_iteratorINSA_10device_ptrIjEEEEPS6_SG_NS0_5tupleIJSF_S6_EEENSH_IJSG_SG_EEES6_PlJNSB_9not_fun_tI7is_evenIjEEEEEE10hipError_tPvRmT3_T4_T5_T6_T7_T9_mT8_P12ihipStream_tbDpT10_ENKUlT_T0_E_clISt17integral_constantIbLb1EES17_IbLb0EEEEDaS13_S14_EUlS13_E_NS1_11comp_targetILNS1_3genE5ELNS1_11target_archE942ELNS1_3gpuE9ELNS1_3repE0EEENS1_30default_config_static_selectorELNS0_4arch9wavefront6targetE0EEEvT1_
                                        ; -- End function
	.set _ZN7rocprim17ROCPRIM_400000_NS6detail17trampoline_kernelINS0_14default_configENS1_25partition_config_selectorILNS1_17partition_subalgoE6EjNS0_10empty_typeEbEEZZNS1_14partition_implILS5_6ELb0ES3_mN6thrust23THRUST_200600_302600_NS6detail15normal_iteratorINSA_10device_ptrIjEEEEPS6_SG_NS0_5tupleIJSF_S6_EEENSH_IJSG_SG_EEES6_PlJNSB_9not_fun_tI7is_evenIjEEEEEE10hipError_tPvRmT3_T4_T5_T6_T7_T9_mT8_P12ihipStream_tbDpT10_ENKUlT_T0_E_clISt17integral_constantIbLb1EES17_IbLb0EEEEDaS13_S14_EUlS13_E_NS1_11comp_targetILNS1_3genE5ELNS1_11target_archE942ELNS1_3gpuE9ELNS1_3repE0EEENS1_30default_config_static_selectorELNS0_4arch9wavefront6targetE0EEEvT1_.num_vgpr, 0
	.set _ZN7rocprim17ROCPRIM_400000_NS6detail17trampoline_kernelINS0_14default_configENS1_25partition_config_selectorILNS1_17partition_subalgoE6EjNS0_10empty_typeEbEEZZNS1_14partition_implILS5_6ELb0ES3_mN6thrust23THRUST_200600_302600_NS6detail15normal_iteratorINSA_10device_ptrIjEEEEPS6_SG_NS0_5tupleIJSF_S6_EEENSH_IJSG_SG_EEES6_PlJNSB_9not_fun_tI7is_evenIjEEEEEE10hipError_tPvRmT3_T4_T5_T6_T7_T9_mT8_P12ihipStream_tbDpT10_ENKUlT_T0_E_clISt17integral_constantIbLb1EES17_IbLb0EEEEDaS13_S14_EUlS13_E_NS1_11comp_targetILNS1_3genE5ELNS1_11target_archE942ELNS1_3gpuE9ELNS1_3repE0EEENS1_30default_config_static_selectorELNS0_4arch9wavefront6targetE0EEEvT1_.num_agpr, 0
	.set _ZN7rocprim17ROCPRIM_400000_NS6detail17trampoline_kernelINS0_14default_configENS1_25partition_config_selectorILNS1_17partition_subalgoE6EjNS0_10empty_typeEbEEZZNS1_14partition_implILS5_6ELb0ES3_mN6thrust23THRUST_200600_302600_NS6detail15normal_iteratorINSA_10device_ptrIjEEEEPS6_SG_NS0_5tupleIJSF_S6_EEENSH_IJSG_SG_EEES6_PlJNSB_9not_fun_tI7is_evenIjEEEEEE10hipError_tPvRmT3_T4_T5_T6_T7_T9_mT8_P12ihipStream_tbDpT10_ENKUlT_T0_E_clISt17integral_constantIbLb1EES17_IbLb0EEEEDaS13_S14_EUlS13_E_NS1_11comp_targetILNS1_3genE5ELNS1_11target_archE942ELNS1_3gpuE9ELNS1_3repE0EEENS1_30default_config_static_selectorELNS0_4arch9wavefront6targetE0EEEvT1_.numbered_sgpr, 0
	.set _ZN7rocprim17ROCPRIM_400000_NS6detail17trampoline_kernelINS0_14default_configENS1_25partition_config_selectorILNS1_17partition_subalgoE6EjNS0_10empty_typeEbEEZZNS1_14partition_implILS5_6ELb0ES3_mN6thrust23THRUST_200600_302600_NS6detail15normal_iteratorINSA_10device_ptrIjEEEEPS6_SG_NS0_5tupleIJSF_S6_EEENSH_IJSG_SG_EEES6_PlJNSB_9not_fun_tI7is_evenIjEEEEEE10hipError_tPvRmT3_T4_T5_T6_T7_T9_mT8_P12ihipStream_tbDpT10_ENKUlT_T0_E_clISt17integral_constantIbLb1EES17_IbLb0EEEEDaS13_S14_EUlS13_E_NS1_11comp_targetILNS1_3genE5ELNS1_11target_archE942ELNS1_3gpuE9ELNS1_3repE0EEENS1_30default_config_static_selectorELNS0_4arch9wavefront6targetE0EEEvT1_.num_named_barrier, 0
	.set _ZN7rocprim17ROCPRIM_400000_NS6detail17trampoline_kernelINS0_14default_configENS1_25partition_config_selectorILNS1_17partition_subalgoE6EjNS0_10empty_typeEbEEZZNS1_14partition_implILS5_6ELb0ES3_mN6thrust23THRUST_200600_302600_NS6detail15normal_iteratorINSA_10device_ptrIjEEEEPS6_SG_NS0_5tupleIJSF_S6_EEENSH_IJSG_SG_EEES6_PlJNSB_9not_fun_tI7is_evenIjEEEEEE10hipError_tPvRmT3_T4_T5_T6_T7_T9_mT8_P12ihipStream_tbDpT10_ENKUlT_T0_E_clISt17integral_constantIbLb1EES17_IbLb0EEEEDaS13_S14_EUlS13_E_NS1_11comp_targetILNS1_3genE5ELNS1_11target_archE942ELNS1_3gpuE9ELNS1_3repE0EEENS1_30default_config_static_selectorELNS0_4arch9wavefront6targetE0EEEvT1_.private_seg_size, 0
	.set _ZN7rocprim17ROCPRIM_400000_NS6detail17trampoline_kernelINS0_14default_configENS1_25partition_config_selectorILNS1_17partition_subalgoE6EjNS0_10empty_typeEbEEZZNS1_14partition_implILS5_6ELb0ES3_mN6thrust23THRUST_200600_302600_NS6detail15normal_iteratorINSA_10device_ptrIjEEEEPS6_SG_NS0_5tupleIJSF_S6_EEENSH_IJSG_SG_EEES6_PlJNSB_9not_fun_tI7is_evenIjEEEEEE10hipError_tPvRmT3_T4_T5_T6_T7_T9_mT8_P12ihipStream_tbDpT10_ENKUlT_T0_E_clISt17integral_constantIbLb1EES17_IbLb0EEEEDaS13_S14_EUlS13_E_NS1_11comp_targetILNS1_3genE5ELNS1_11target_archE942ELNS1_3gpuE9ELNS1_3repE0EEENS1_30default_config_static_selectorELNS0_4arch9wavefront6targetE0EEEvT1_.uses_vcc, 0
	.set _ZN7rocprim17ROCPRIM_400000_NS6detail17trampoline_kernelINS0_14default_configENS1_25partition_config_selectorILNS1_17partition_subalgoE6EjNS0_10empty_typeEbEEZZNS1_14partition_implILS5_6ELb0ES3_mN6thrust23THRUST_200600_302600_NS6detail15normal_iteratorINSA_10device_ptrIjEEEEPS6_SG_NS0_5tupleIJSF_S6_EEENSH_IJSG_SG_EEES6_PlJNSB_9not_fun_tI7is_evenIjEEEEEE10hipError_tPvRmT3_T4_T5_T6_T7_T9_mT8_P12ihipStream_tbDpT10_ENKUlT_T0_E_clISt17integral_constantIbLb1EES17_IbLb0EEEEDaS13_S14_EUlS13_E_NS1_11comp_targetILNS1_3genE5ELNS1_11target_archE942ELNS1_3gpuE9ELNS1_3repE0EEENS1_30default_config_static_selectorELNS0_4arch9wavefront6targetE0EEEvT1_.uses_flat_scratch, 0
	.set _ZN7rocprim17ROCPRIM_400000_NS6detail17trampoline_kernelINS0_14default_configENS1_25partition_config_selectorILNS1_17partition_subalgoE6EjNS0_10empty_typeEbEEZZNS1_14partition_implILS5_6ELb0ES3_mN6thrust23THRUST_200600_302600_NS6detail15normal_iteratorINSA_10device_ptrIjEEEEPS6_SG_NS0_5tupleIJSF_S6_EEENSH_IJSG_SG_EEES6_PlJNSB_9not_fun_tI7is_evenIjEEEEEE10hipError_tPvRmT3_T4_T5_T6_T7_T9_mT8_P12ihipStream_tbDpT10_ENKUlT_T0_E_clISt17integral_constantIbLb1EES17_IbLb0EEEEDaS13_S14_EUlS13_E_NS1_11comp_targetILNS1_3genE5ELNS1_11target_archE942ELNS1_3gpuE9ELNS1_3repE0EEENS1_30default_config_static_selectorELNS0_4arch9wavefront6targetE0EEEvT1_.has_dyn_sized_stack, 0
	.set _ZN7rocprim17ROCPRIM_400000_NS6detail17trampoline_kernelINS0_14default_configENS1_25partition_config_selectorILNS1_17partition_subalgoE6EjNS0_10empty_typeEbEEZZNS1_14partition_implILS5_6ELb0ES3_mN6thrust23THRUST_200600_302600_NS6detail15normal_iteratorINSA_10device_ptrIjEEEEPS6_SG_NS0_5tupleIJSF_S6_EEENSH_IJSG_SG_EEES6_PlJNSB_9not_fun_tI7is_evenIjEEEEEE10hipError_tPvRmT3_T4_T5_T6_T7_T9_mT8_P12ihipStream_tbDpT10_ENKUlT_T0_E_clISt17integral_constantIbLb1EES17_IbLb0EEEEDaS13_S14_EUlS13_E_NS1_11comp_targetILNS1_3genE5ELNS1_11target_archE942ELNS1_3gpuE9ELNS1_3repE0EEENS1_30default_config_static_selectorELNS0_4arch9wavefront6targetE0EEEvT1_.has_recursion, 0
	.set _ZN7rocprim17ROCPRIM_400000_NS6detail17trampoline_kernelINS0_14default_configENS1_25partition_config_selectorILNS1_17partition_subalgoE6EjNS0_10empty_typeEbEEZZNS1_14partition_implILS5_6ELb0ES3_mN6thrust23THRUST_200600_302600_NS6detail15normal_iteratorINSA_10device_ptrIjEEEEPS6_SG_NS0_5tupleIJSF_S6_EEENSH_IJSG_SG_EEES6_PlJNSB_9not_fun_tI7is_evenIjEEEEEE10hipError_tPvRmT3_T4_T5_T6_T7_T9_mT8_P12ihipStream_tbDpT10_ENKUlT_T0_E_clISt17integral_constantIbLb1EES17_IbLb0EEEEDaS13_S14_EUlS13_E_NS1_11comp_targetILNS1_3genE5ELNS1_11target_archE942ELNS1_3gpuE9ELNS1_3repE0EEENS1_30default_config_static_selectorELNS0_4arch9wavefront6targetE0EEEvT1_.has_indirect_call, 0
	.section	.AMDGPU.csdata,"",@progbits
; Kernel info:
; codeLenInByte = 0
; TotalNumSgprs: 0
; NumVgprs: 0
; ScratchSize: 0
; MemoryBound: 0
; FloatMode: 240
; IeeeMode: 1
; LDSByteSize: 0 bytes/workgroup (compile time only)
; SGPRBlocks: 0
; VGPRBlocks: 0
; NumSGPRsForWavesPerEU: 1
; NumVGPRsForWavesPerEU: 1
; Occupancy: 16
; WaveLimiterHint : 0
; COMPUTE_PGM_RSRC2:SCRATCH_EN: 0
; COMPUTE_PGM_RSRC2:USER_SGPR: 2
; COMPUTE_PGM_RSRC2:TRAP_HANDLER: 0
; COMPUTE_PGM_RSRC2:TGID_X_EN: 1
; COMPUTE_PGM_RSRC2:TGID_Y_EN: 0
; COMPUTE_PGM_RSRC2:TGID_Z_EN: 0
; COMPUTE_PGM_RSRC2:TIDIG_COMP_CNT: 0
	.section	.text._ZN7rocprim17ROCPRIM_400000_NS6detail17trampoline_kernelINS0_14default_configENS1_25partition_config_selectorILNS1_17partition_subalgoE6EjNS0_10empty_typeEbEEZZNS1_14partition_implILS5_6ELb0ES3_mN6thrust23THRUST_200600_302600_NS6detail15normal_iteratorINSA_10device_ptrIjEEEEPS6_SG_NS0_5tupleIJSF_S6_EEENSH_IJSG_SG_EEES6_PlJNSB_9not_fun_tI7is_evenIjEEEEEE10hipError_tPvRmT3_T4_T5_T6_T7_T9_mT8_P12ihipStream_tbDpT10_ENKUlT_T0_E_clISt17integral_constantIbLb1EES17_IbLb0EEEEDaS13_S14_EUlS13_E_NS1_11comp_targetILNS1_3genE4ELNS1_11target_archE910ELNS1_3gpuE8ELNS1_3repE0EEENS1_30default_config_static_selectorELNS0_4arch9wavefront6targetE0EEEvT1_,"axG",@progbits,_ZN7rocprim17ROCPRIM_400000_NS6detail17trampoline_kernelINS0_14default_configENS1_25partition_config_selectorILNS1_17partition_subalgoE6EjNS0_10empty_typeEbEEZZNS1_14partition_implILS5_6ELb0ES3_mN6thrust23THRUST_200600_302600_NS6detail15normal_iteratorINSA_10device_ptrIjEEEEPS6_SG_NS0_5tupleIJSF_S6_EEENSH_IJSG_SG_EEES6_PlJNSB_9not_fun_tI7is_evenIjEEEEEE10hipError_tPvRmT3_T4_T5_T6_T7_T9_mT8_P12ihipStream_tbDpT10_ENKUlT_T0_E_clISt17integral_constantIbLb1EES17_IbLb0EEEEDaS13_S14_EUlS13_E_NS1_11comp_targetILNS1_3genE4ELNS1_11target_archE910ELNS1_3gpuE8ELNS1_3repE0EEENS1_30default_config_static_selectorELNS0_4arch9wavefront6targetE0EEEvT1_,comdat
	.protected	_ZN7rocprim17ROCPRIM_400000_NS6detail17trampoline_kernelINS0_14default_configENS1_25partition_config_selectorILNS1_17partition_subalgoE6EjNS0_10empty_typeEbEEZZNS1_14partition_implILS5_6ELb0ES3_mN6thrust23THRUST_200600_302600_NS6detail15normal_iteratorINSA_10device_ptrIjEEEEPS6_SG_NS0_5tupleIJSF_S6_EEENSH_IJSG_SG_EEES6_PlJNSB_9not_fun_tI7is_evenIjEEEEEE10hipError_tPvRmT3_T4_T5_T6_T7_T9_mT8_P12ihipStream_tbDpT10_ENKUlT_T0_E_clISt17integral_constantIbLb1EES17_IbLb0EEEEDaS13_S14_EUlS13_E_NS1_11comp_targetILNS1_3genE4ELNS1_11target_archE910ELNS1_3gpuE8ELNS1_3repE0EEENS1_30default_config_static_selectorELNS0_4arch9wavefront6targetE0EEEvT1_ ; -- Begin function _ZN7rocprim17ROCPRIM_400000_NS6detail17trampoline_kernelINS0_14default_configENS1_25partition_config_selectorILNS1_17partition_subalgoE6EjNS0_10empty_typeEbEEZZNS1_14partition_implILS5_6ELb0ES3_mN6thrust23THRUST_200600_302600_NS6detail15normal_iteratorINSA_10device_ptrIjEEEEPS6_SG_NS0_5tupleIJSF_S6_EEENSH_IJSG_SG_EEES6_PlJNSB_9not_fun_tI7is_evenIjEEEEEE10hipError_tPvRmT3_T4_T5_T6_T7_T9_mT8_P12ihipStream_tbDpT10_ENKUlT_T0_E_clISt17integral_constantIbLb1EES17_IbLb0EEEEDaS13_S14_EUlS13_E_NS1_11comp_targetILNS1_3genE4ELNS1_11target_archE910ELNS1_3gpuE8ELNS1_3repE0EEENS1_30default_config_static_selectorELNS0_4arch9wavefront6targetE0EEEvT1_
	.globl	_ZN7rocprim17ROCPRIM_400000_NS6detail17trampoline_kernelINS0_14default_configENS1_25partition_config_selectorILNS1_17partition_subalgoE6EjNS0_10empty_typeEbEEZZNS1_14partition_implILS5_6ELb0ES3_mN6thrust23THRUST_200600_302600_NS6detail15normal_iteratorINSA_10device_ptrIjEEEEPS6_SG_NS0_5tupleIJSF_S6_EEENSH_IJSG_SG_EEES6_PlJNSB_9not_fun_tI7is_evenIjEEEEEE10hipError_tPvRmT3_T4_T5_T6_T7_T9_mT8_P12ihipStream_tbDpT10_ENKUlT_T0_E_clISt17integral_constantIbLb1EES17_IbLb0EEEEDaS13_S14_EUlS13_E_NS1_11comp_targetILNS1_3genE4ELNS1_11target_archE910ELNS1_3gpuE8ELNS1_3repE0EEENS1_30default_config_static_selectorELNS0_4arch9wavefront6targetE0EEEvT1_
	.p2align	8
	.type	_ZN7rocprim17ROCPRIM_400000_NS6detail17trampoline_kernelINS0_14default_configENS1_25partition_config_selectorILNS1_17partition_subalgoE6EjNS0_10empty_typeEbEEZZNS1_14partition_implILS5_6ELb0ES3_mN6thrust23THRUST_200600_302600_NS6detail15normal_iteratorINSA_10device_ptrIjEEEEPS6_SG_NS0_5tupleIJSF_S6_EEENSH_IJSG_SG_EEES6_PlJNSB_9not_fun_tI7is_evenIjEEEEEE10hipError_tPvRmT3_T4_T5_T6_T7_T9_mT8_P12ihipStream_tbDpT10_ENKUlT_T0_E_clISt17integral_constantIbLb1EES17_IbLb0EEEEDaS13_S14_EUlS13_E_NS1_11comp_targetILNS1_3genE4ELNS1_11target_archE910ELNS1_3gpuE8ELNS1_3repE0EEENS1_30default_config_static_selectorELNS0_4arch9wavefront6targetE0EEEvT1_,@function
_ZN7rocprim17ROCPRIM_400000_NS6detail17trampoline_kernelINS0_14default_configENS1_25partition_config_selectorILNS1_17partition_subalgoE6EjNS0_10empty_typeEbEEZZNS1_14partition_implILS5_6ELb0ES3_mN6thrust23THRUST_200600_302600_NS6detail15normal_iteratorINSA_10device_ptrIjEEEEPS6_SG_NS0_5tupleIJSF_S6_EEENSH_IJSG_SG_EEES6_PlJNSB_9not_fun_tI7is_evenIjEEEEEE10hipError_tPvRmT3_T4_T5_T6_T7_T9_mT8_P12ihipStream_tbDpT10_ENKUlT_T0_E_clISt17integral_constantIbLb1EES17_IbLb0EEEEDaS13_S14_EUlS13_E_NS1_11comp_targetILNS1_3genE4ELNS1_11target_archE910ELNS1_3gpuE8ELNS1_3repE0EEENS1_30default_config_static_selectorELNS0_4arch9wavefront6targetE0EEEvT1_: ; @_ZN7rocprim17ROCPRIM_400000_NS6detail17trampoline_kernelINS0_14default_configENS1_25partition_config_selectorILNS1_17partition_subalgoE6EjNS0_10empty_typeEbEEZZNS1_14partition_implILS5_6ELb0ES3_mN6thrust23THRUST_200600_302600_NS6detail15normal_iteratorINSA_10device_ptrIjEEEEPS6_SG_NS0_5tupleIJSF_S6_EEENSH_IJSG_SG_EEES6_PlJNSB_9not_fun_tI7is_evenIjEEEEEE10hipError_tPvRmT3_T4_T5_T6_T7_T9_mT8_P12ihipStream_tbDpT10_ENKUlT_T0_E_clISt17integral_constantIbLb1EES17_IbLb0EEEEDaS13_S14_EUlS13_E_NS1_11comp_targetILNS1_3genE4ELNS1_11target_archE910ELNS1_3gpuE8ELNS1_3repE0EEENS1_30default_config_static_selectorELNS0_4arch9wavefront6targetE0EEEvT1_
; %bb.0:
	.section	.rodata,"a",@progbits
	.p2align	6, 0x0
	.amdhsa_kernel _ZN7rocprim17ROCPRIM_400000_NS6detail17trampoline_kernelINS0_14default_configENS1_25partition_config_selectorILNS1_17partition_subalgoE6EjNS0_10empty_typeEbEEZZNS1_14partition_implILS5_6ELb0ES3_mN6thrust23THRUST_200600_302600_NS6detail15normal_iteratorINSA_10device_ptrIjEEEEPS6_SG_NS0_5tupleIJSF_S6_EEENSH_IJSG_SG_EEES6_PlJNSB_9not_fun_tI7is_evenIjEEEEEE10hipError_tPvRmT3_T4_T5_T6_T7_T9_mT8_P12ihipStream_tbDpT10_ENKUlT_T0_E_clISt17integral_constantIbLb1EES17_IbLb0EEEEDaS13_S14_EUlS13_E_NS1_11comp_targetILNS1_3genE4ELNS1_11target_archE910ELNS1_3gpuE8ELNS1_3repE0EEENS1_30default_config_static_selectorELNS0_4arch9wavefront6targetE0EEEvT1_
		.amdhsa_group_segment_fixed_size 0
		.amdhsa_private_segment_fixed_size 0
		.amdhsa_kernarg_size 112
		.amdhsa_user_sgpr_count 2
		.amdhsa_user_sgpr_dispatch_ptr 0
		.amdhsa_user_sgpr_queue_ptr 0
		.amdhsa_user_sgpr_kernarg_segment_ptr 1
		.amdhsa_user_sgpr_dispatch_id 0
		.amdhsa_user_sgpr_private_segment_size 0
		.amdhsa_wavefront_size32 1
		.amdhsa_uses_dynamic_stack 0
		.amdhsa_enable_private_segment 0
		.amdhsa_system_sgpr_workgroup_id_x 1
		.amdhsa_system_sgpr_workgroup_id_y 0
		.amdhsa_system_sgpr_workgroup_id_z 0
		.amdhsa_system_sgpr_workgroup_info 0
		.amdhsa_system_vgpr_workitem_id 0
		.amdhsa_next_free_vgpr 1
		.amdhsa_next_free_sgpr 1
		.amdhsa_reserve_vcc 0
		.amdhsa_float_round_mode_32 0
		.amdhsa_float_round_mode_16_64 0
		.amdhsa_float_denorm_mode_32 3
		.amdhsa_float_denorm_mode_16_64 3
		.amdhsa_fp16_overflow 0
		.amdhsa_workgroup_processor_mode 1
		.amdhsa_memory_ordered 1
		.amdhsa_forward_progress 1
		.amdhsa_inst_pref_size 0
		.amdhsa_round_robin_scheduling 0
		.amdhsa_exception_fp_ieee_invalid_op 0
		.amdhsa_exception_fp_denorm_src 0
		.amdhsa_exception_fp_ieee_div_zero 0
		.amdhsa_exception_fp_ieee_overflow 0
		.amdhsa_exception_fp_ieee_underflow 0
		.amdhsa_exception_fp_ieee_inexact 0
		.amdhsa_exception_int_div_zero 0
	.end_amdhsa_kernel
	.section	.text._ZN7rocprim17ROCPRIM_400000_NS6detail17trampoline_kernelINS0_14default_configENS1_25partition_config_selectorILNS1_17partition_subalgoE6EjNS0_10empty_typeEbEEZZNS1_14partition_implILS5_6ELb0ES3_mN6thrust23THRUST_200600_302600_NS6detail15normal_iteratorINSA_10device_ptrIjEEEEPS6_SG_NS0_5tupleIJSF_S6_EEENSH_IJSG_SG_EEES6_PlJNSB_9not_fun_tI7is_evenIjEEEEEE10hipError_tPvRmT3_T4_T5_T6_T7_T9_mT8_P12ihipStream_tbDpT10_ENKUlT_T0_E_clISt17integral_constantIbLb1EES17_IbLb0EEEEDaS13_S14_EUlS13_E_NS1_11comp_targetILNS1_3genE4ELNS1_11target_archE910ELNS1_3gpuE8ELNS1_3repE0EEENS1_30default_config_static_selectorELNS0_4arch9wavefront6targetE0EEEvT1_,"axG",@progbits,_ZN7rocprim17ROCPRIM_400000_NS6detail17trampoline_kernelINS0_14default_configENS1_25partition_config_selectorILNS1_17partition_subalgoE6EjNS0_10empty_typeEbEEZZNS1_14partition_implILS5_6ELb0ES3_mN6thrust23THRUST_200600_302600_NS6detail15normal_iteratorINSA_10device_ptrIjEEEEPS6_SG_NS0_5tupleIJSF_S6_EEENSH_IJSG_SG_EEES6_PlJNSB_9not_fun_tI7is_evenIjEEEEEE10hipError_tPvRmT3_T4_T5_T6_T7_T9_mT8_P12ihipStream_tbDpT10_ENKUlT_T0_E_clISt17integral_constantIbLb1EES17_IbLb0EEEEDaS13_S14_EUlS13_E_NS1_11comp_targetILNS1_3genE4ELNS1_11target_archE910ELNS1_3gpuE8ELNS1_3repE0EEENS1_30default_config_static_selectorELNS0_4arch9wavefront6targetE0EEEvT1_,comdat
.Lfunc_end647:
	.size	_ZN7rocprim17ROCPRIM_400000_NS6detail17trampoline_kernelINS0_14default_configENS1_25partition_config_selectorILNS1_17partition_subalgoE6EjNS0_10empty_typeEbEEZZNS1_14partition_implILS5_6ELb0ES3_mN6thrust23THRUST_200600_302600_NS6detail15normal_iteratorINSA_10device_ptrIjEEEEPS6_SG_NS0_5tupleIJSF_S6_EEENSH_IJSG_SG_EEES6_PlJNSB_9not_fun_tI7is_evenIjEEEEEE10hipError_tPvRmT3_T4_T5_T6_T7_T9_mT8_P12ihipStream_tbDpT10_ENKUlT_T0_E_clISt17integral_constantIbLb1EES17_IbLb0EEEEDaS13_S14_EUlS13_E_NS1_11comp_targetILNS1_3genE4ELNS1_11target_archE910ELNS1_3gpuE8ELNS1_3repE0EEENS1_30default_config_static_selectorELNS0_4arch9wavefront6targetE0EEEvT1_, .Lfunc_end647-_ZN7rocprim17ROCPRIM_400000_NS6detail17trampoline_kernelINS0_14default_configENS1_25partition_config_selectorILNS1_17partition_subalgoE6EjNS0_10empty_typeEbEEZZNS1_14partition_implILS5_6ELb0ES3_mN6thrust23THRUST_200600_302600_NS6detail15normal_iteratorINSA_10device_ptrIjEEEEPS6_SG_NS0_5tupleIJSF_S6_EEENSH_IJSG_SG_EEES6_PlJNSB_9not_fun_tI7is_evenIjEEEEEE10hipError_tPvRmT3_T4_T5_T6_T7_T9_mT8_P12ihipStream_tbDpT10_ENKUlT_T0_E_clISt17integral_constantIbLb1EES17_IbLb0EEEEDaS13_S14_EUlS13_E_NS1_11comp_targetILNS1_3genE4ELNS1_11target_archE910ELNS1_3gpuE8ELNS1_3repE0EEENS1_30default_config_static_selectorELNS0_4arch9wavefront6targetE0EEEvT1_
                                        ; -- End function
	.set _ZN7rocprim17ROCPRIM_400000_NS6detail17trampoline_kernelINS0_14default_configENS1_25partition_config_selectorILNS1_17partition_subalgoE6EjNS0_10empty_typeEbEEZZNS1_14partition_implILS5_6ELb0ES3_mN6thrust23THRUST_200600_302600_NS6detail15normal_iteratorINSA_10device_ptrIjEEEEPS6_SG_NS0_5tupleIJSF_S6_EEENSH_IJSG_SG_EEES6_PlJNSB_9not_fun_tI7is_evenIjEEEEEE10hipError_tPvRmT3_T4_T5_T6_T7_T9_mT8_P12ihipStream_tbDpT10_ENKUlT_T0_E_clISt17integral_constantIbLb1EES17_IbLb0EEEEDaS13_S14_EUlS13_E_NS1_11comp_targetILNS1_3genE4ELNS1_11target_archE910ELNS1_3gpuE8ELNS1_3repE0EEENS1_30default_config_static_selectorELNS0_4arch9wavefront6targetE0EEEvT1_.num_vgpr, 0
	.set _ZN7rocprim17ROCPRIM_400000_NS6detail17trampoline_kernelINS0_14default_configENS1_25partition_config_selectorILNS1_17partition_subalgoE6EjNS0_10empty_typeEbEEZZNS1_14partition_implILS5_6ELb0ES3_mN6thrust23THRUST_200600_302600_NS6detail15normal_iteratorINSA_10device_ptrIjEEEEPS6_SG_NS0_5tupleIJSF_S6_EEENSH_IJSG_SG_EEES6_PlJNSB_9not_fun_tI7is_evenIjEEEEEE10hipError_tPvRmT3_T4_T5_T6_T7_T9_mT8_P12ihipStream_tbDpT10_ENKUlT_T0_E_clISt17integral_constantIbLb1EES17_IbLb0EEEEDaS13_S14_EUlS13_E_NS1_11comp_targetILNS1_3genE4ELNS1_11target_archE910ELNS1_3gpuE8ELNS1_3repE0EEENS1_30default_config_static_selectorELNS0_4arch9wavefront6targetE0EEEvT1_.num_agpr, 0
	.set _ZN7rocprim17ROCPRIM_400000_NS6detail17trampoline_kernelINS0_14default_configENS1_25partition_config_selectorILNS1_17partition_subalgoE6EjNS0_10empty_typeEbEEZZNS1_14partition_implILS5_6ELb0ES3_mN6thrust23THRUST_200600_302600_NS6detail15normal_iteratorINSA_10device_ptrIjEEEEPS6_SG_NS0_5tupleIJSF_S6_EEENSH_IJSG_SG_EEES6_PlJNSB_9not_fun_tI7is_evenIjEEEEEE10hipError_tPvRmT3_T4_T5_T6_T7_T9_mT8_P12ihipStream_tbDpT10_ENKUlT_T0_E_clISt17integral_constantIbLb1EES17_IbLb0EEEEDaS13_S14_EUlS13_E_NS1_11comp_targetILNS1_3genE4ELNS1_11target_archE910ELNS1_3gpuE8ELNS1_3repE0EEENS1_30default_config_static_selectorELNS0_4arch9wavefront6targetE0EEEvT1_.numbered_sgpr, 0
	.set _ZN7rocprim17ROCPRIM_400000_NS6detail17trampoline_kernelINS0_14default_configENS1_25partition_config_selectorILNS1_17partition_subalgoE6EjNS0_10empty_typeEbEEZZNS1_14partition_implILS5_6ELb0ES3_mN6thrust23THRUST_200600_302600_NS6detail15normal_iteratorINSA_10device_ptrIjEEEEPS6_SG_NS0_5tupleIJSF_S6_EEENSH_IJSG_SG_EEES6_PlJNSB_9not_fun_tI7is_evenIjEEEEEE10hipError_tPvRmT3_T4_T5_T6_T7_T9_mT8_P12ihipStream_tbDpT10_ENKUlT_T0_E_clISt17integral_constantIbLb1EES17_IbLb0EEEEDaS13_S14_EUlS13_E_NS1_11comp_targetILNS1_3genE4ELNS1_11target_archE910ELNS1_3gpuE8ELNS1_3repE0EEENS1_30default_config_static_selectorELNS0_4arch9wavefront6targetE0EEEvT1_.num_named_barrier, 0
	.set _ZN7rocprim17ROCPRIM_400000_NS6detail17trampoline_kernelINS0_14default_configENS1_25partition_config_selectorILNS1_17partition_subalgoE6EjNS0_10empty_typeEbEEZZNS1_14partition_implILS5_6ELb0ES3_mN6thrust23THRUST_200600_302600_NS6detail15normal_iteratorINSA_10device_ptrIjEEEEPS6_SG_NS0_5tupleIJSF_S6_EEENSH_IJSG_SG_EEES6_PlJNSB_9not_fun_tI7is_evenIjEEEEEE10hipError_tPvRmT3_T4_T5_T6_T7_T9_mT8_P12ihipStream_tbDpT10_ENKUlT_T0_E_clISt17integral_constantIbLb1EES17_IbLb0EEEEDaS13_S14_EUlS13_E_NS1_11comp_targetILNS1_3genE4ELNS1_11target_archE910ELNS1_3gpuE8ELNS1_3repE0EEENS1_30default_config_static_selectorELNS0_4arch9wavefront6targetE0EEEvT1_.private_seg_size, 0
	.set _ZN7rocprim17ROCPRIM_400000_NS6detail17trampoline_kernelINS0_14default_configENS1_25partition_config_selectorILNS1_17partition_subalgoE6EjNS0_10empty_typeEbEEZZNS1_14partition_implILS5_6ELb0ES3_mN6thrust23THRUST_200600_302600_NS6detail15normal_iteratorINSA_10device_ptrIjEEEEPS6_SG_NS0_5tupleIJSF_S6_EEENSH_IJSG_SG_EEES6_PlJNSB_9not_fun_tI7is_evenIjEEEEEE10hipError_tPvRmT3_T4_T5_T6_T7_T9_mT8_P12ihipStream_tbDpT10_ENKUlT_T0_E_clISt17integral_constantIbLb1EES17_IbLb0EEEEDaS13_S14_EUlS13_E_NS1_11comp_targetILNS1_3genE4ELNS1_11target_archE910ELNS1_3gpuE8ELNS1_3repE0EEENS1_30default_config_static_selectorELNS0_4arch9wavefront6targetE0EEEvT1_.uses_vcc, 0
	.set _ZN7rocprim17ROCPRIM_400000_NS6detail17trampoline_kernelINS0_14default_configENS1_25partition_config_selectorILNS1_17partition_subalgoE6EjNS0_10empty_typeEbEEZZNS1_14partition_implILS5_6ELb0ES3_mN6thrust23THRUST_200600_302600_NS6detail15normal_iteratorINSA_10device_ptrIjEEEEPS6_SG_NS0_5tupleIJSF_S6_EEENSH_IJSG_SG_EEES6_PlJNSB_9not_fun_tI7is_evenIjEEEEEE10hipError_tPvRmT3_T4_T5_T6_T7_T9_mT8_P12ihipStream_tbDpT10_ENKUlT_T0_E_clISt17integral_constantIbLb1EES17_IbLb0EEEEDaS13_S14_EUlS13_E_NS1_11comp_targetILNS1_3genE4ELNS1_11target_archE910ELNS1_3gpuE8ELNS1_3repE0EEENS1_30default_config_static_selectorELNS0_4arch9wavefront6targetE0EEEvT1_.uses_flat_scratch, 0
	.set _ZN7rocprim17ROCPRIM_400000_NS6detail17trampoline_kernelINS0_14default_configENS1_25partition_config_selectorILNS1_17partition_subalgoE6EjNS0_10empty_typeEbEEZZNS1_14partition_implILS5_6ELb0ES3_mN6thrust23THRUST_200600_302600_NS6detail15normal_iteratorINSA_10device_ptrIjEEEEPS6_SG_NS0_5tupleIJSF_S6_EEENSH_IJSG_SG_EEES6_PlJNSB_9not_fun_tI7is_evenIjEEEEEE10hipError_tPvRmT3_T4_T5_T6_T7_T9_mT8_P12ihipStream_tbDpT10_ENKUlT_T0_E_clISt17integral_constantIbLb1EES17_IbLb0EEEEDaS13_S14_EUlS13_E_NS1_11comp_targetILNS1_3genE4ELNS1_11target_archE910ELNS1_3gpuE8ELNS1_3repE0EEENS1_30default_config_static_selectorELNS0_4arch9wavefront6targetE0EEEvT1_.has_dyn_sized_stack, 0
	.set _ZN7rocprim17ROCPRIM_400000_NS6detail17trampoline_kernelINS0_14default_configENS1_25partition_config_selectorILNS1_17partition_subalgoE6EjNS0_10empty_typeEbEEZZNS1_14partition_implILS5_6ELb0ES3_mN6thrust23THRUST_200600_302600_NS6detail15normal_iteratorINSA_10device_ptrIjEEEEPS6_SG_NS0_5tupleIJSF_S6_EEENSH_IJSG_SG_EEES6_PlJNSB_9not_fun_tI7is_evenIjEEEEEE10hipError_tPvRmT3_T4_T5_T6_T7_T9_mT8_P12ihipStream_tbDpT10_ENKUlT_T0_E_clISt17integral_constantIbLb1EES17_IbLb0EEEEDaS13_S14_EUlS13_E_NS1_11comp_targetILNS1_3genE4ELNS1_11target_archE910ELNS1_3gpuE8ELNS1_3repE0EEENS1_30default_config_static_selectorELNS0_4arch9wavefront6targetE0EEEvT1_.has_recursion, 0
	.set _ZN7rocprim17ROCPRIM_400000_NS6detail17trampoline_kernelINS0_14default_configENS1_25partition_config_selectorILNS1_17partition_subalgoE6EjNS0_10empty_typeEbEEZZNS1_14partition_implILS5_6ELb0ES3_mN6thrust23THRUST_200600_302600_NS6detail15normal_iteratorINSA_10device_ptrIjEEEEPS6_SG_NS0_5tupleIJSF_S6_EEENSH_IJSG_SG_EEES6_PlJNSB_9not_fun_tI7is_evenIjEEEEEE10hipError_tPvRmT3_T4_T5_T6_T7_T9_mT8_P12ihipStream_tbDpT10_ENKUlT_T0_E_clISt17integral_constantIbLb1EES17_IbLb0EEEEDaS13_S14_EUlS13_E_NS1_11comp_targetILNS1_3genE4ELNS1_11target_archE910ELNS1_3gpuE8ELNS1_3repE0EEENS1_30default_config_static_selectorELNS0_4arch9wavefront6targetE0EEEvT1_.has_indirect_call, 0
	.section	.AMDGPU.csdata,"",@progbits
; Kernel info:
; codeLenInByte = 0
; TotalNumSgprs: 0
; NumVgprs: 0
; ScratchSize: 0
; MemoryBound: 0
; FloatMode: 240
; IeeeMode: 1
; LDSByteSize: 0 bytes/workgroup (compile time only)
; SGPRBlocks: 0
; VGPRBlocks: 0
; NumSGPRsForWavesPerEU: 1
; NumVGPRsForWavesPerEU: 1
; Occupancy: 16
; WaveLimiterHint : 0
; COMPUTE_PGM_RSRC2:SCRATCH_EN: 0
; COMPUTE_PGM_RSRC2:USER_SGPR: 2
; COMPUTE_PGM_RSRC2:TRAP_HANDLER: 0
; COMPUTE_PGM_RSRC2:TGID_X_EN: 1
; COMPUTE_PGM_RSRC2:TGID_Y_EN: 0
; COMPUTE_PGM_RSRC2:TGID_Z_EN: 0
; COMPUTE_PGM_RSRC2:TIDIG_COMP_CNT: 0
	.section	.text._ZN7rocprim17ROCPRIM_400000_NS6detail17trampoline_kernelINS0_14default_configENS1_25partition_config_selectorILNS1_17partition_subalgoE6EjNS0_10empty_typeEbEEZZNS1_14partition_implILS5_6ELb0ES3_mN6thrust23THRUST_200600_302600_NS6detail15normal_iteratorINSA_10device_ptrIjEEEEPS6_SG_NS0_5tupleIJSF_S6_EEENSH_IJSG_SG_EEES6_PlJNSB_9not_fun_tI7is_evenIjEEEEEE10hipError_tPvRmT3_T4_T5_T6_T7_T9_mT8_P12ihipStream_tbDpT10_ENKUlT_T0_E_clISt17integral_constantIbLb1EES17_IbLb0EEEEDaS13_S14_EUlS13_E_NS1_11comp_targetILNS1_3genE3ELNS1_11target_archE908ELNS1_3gpuE7ELNS1_3repE0EEENS1_30default_config_static_selectorELNS0_4arch9wavefront6targetE0EEEvT1_,"axG",@progbits,_ZN7rocprim17ROCPRIM_400000_NS6detail17trampoline_kernelINS0_14default_configENS1_25partition_config_selectorILNS1_17partition_subalgoE6EjNS0_10empty_typeEbEEZZNS1_14partition_implILS5_6ELb0ES3_mN6thrust23THRUST_200600_302600_NS6detail15normal_iteratorINSA_10device_ptrIjEEEEPS6_SG_NS0_5tupleIJSF_S6_EEENSH_IJSG_SG_EEES6_PlJNSB_9not_fun_tI7is_evenIjEEEEEE10hipError_tPvRmT3_T4_T5_T6_T7_T9_mT8_P12ihipStream_tbDpT10_ENKUlT_T0_E_clISt17integral_constantIbLb1EES17_IbLb0EEEEDaS13_S14_EUlS13_E_NS1_11comp_targetILNS1_3genE3ELNS1_11target_archE908ELNS1_3gpuE7ELNS1_3repE0EEENS1_30default_config_static_selectorELNS0_4arch9wavefront6targetE0EEEvT1_,comdat
	.protected	_ZN7rocprim17ROCPRIM_400000_NS6detail17trampoline_kernelINS0_14default_configENS1_25partition_config_selectorILNS1_17partition_subalgoE6EjNS0_10empty_typeEbEEZZNS1_14partition_implILS5_6ELb0ES3_mN6thrust23THRUST_200600_302600_NS6detail15normal_iteratorINSA_10device_ptrIjEEEEPS6_SG_NS0_5tupleIJSF_S6_EEENSH_IJSG_SG_EEES6_PlJNSB_9not_fun_tI7is_evenIjEEEEEE10hipError_tPvRmT3_T4_T5_T6_T7_T9_mT8_P12ihipStream_tbDpT10_ENKUlT_T0_E_clISt17integral_constantIbLb1EES17_IbLb0EEEEDaS13_S14_EUlS13_E_NS1_11comp_targetILNS1_3genE3ELNS1_11target_archE908ELNS1_3gpuE7ELNS1_3repE0EEENS1_30default_config_static_selectorELNS0_4arch9wavefront6targetE0EEEvT1_ ; -- Begin function _ZN7rocprim17ROCPRIM_400000_NS6detail17trampoline_kernelINS0_14default_configENS1_25partition_config_selectorILNS1_17partition_subalgoE6EjNS0_10empty_typeEbEEZZNS1_14partition_implILS5_6ELb0ES3_mN6thrust23THRUST_200600_302600_NS6detail15normal_iteratorINSA_10device_ptrIjEEEEPS6_SG_NS0_5tupleIJSF_S6_EEENSH_IJSG_SG_EEES6_PlJNSB_9not_fun_tI7is_evenIjEEEEEE10hipError_tPvRmT3_T4_T5_T6_T7_T9_mT8_P12ihipStream_tbDpT10_ENKUlT_T0_E_clISt17integral_constantIbLb1EES17_IbLb0EEEEDaS13_S14_EUlS13_E_NS1_11comp_targetILNS1_3genE3ELNS1_11target_archE908ELNS1_3gpuE7ELNS1_3repE0EEENS1_30default_config_static_selectorELNS0_4arch9wavefront6targetE0EEEvT1_
	.globl	_ZN7rocprim17ROCPRIM_400000_NS6detail17trampoline_kernelINS0_14default_configENS1_25partition_config_selectorILNS1_17partition_subalgoE6EjNS0_10empty_typeEbEEZZNS1_14partition_implILS5_6ELb0ES3_mN6thrust23THRUST_200600_302600_NS6detail15normal_iteratorINSA_10device_ptrIjEEEEPS6_SG_NS0_5tupleIJSF_S6_EEENSH_IJSG_SG_EEES6_PlJNSB_9not_fun_tI7is_evenIjEEEEEE10hipError_tPvRmT3_T4_T5_T6_T7_T9_mT8_P12ihipStream_tbDpT10_ENKUlT_T0_E_clISt17integral_constantIbLb1EES17_IbLb0EEEEDaS13_S14_EUlS13_E_NS1_11comp_targetILNS1_3genE3ELNS1_11target_archE908ELNS1_3gpuE7ELNS1_3repE0EEENS1_30default_config_static_selectorELNS0_4arch9wavefront6targetE0EEEvT1_
	.p2align	8
	.type	_ZN7rocprim17ROCPRIM_400000_NS6detail17trampoline_kernelINS0_14default_configENS1_25partition_config_selectorILNS1_17partition_subalgoE6EjNS0_10empty_typeEbEEZZNS1_14partition_implILS5_6ELb0ES3_mN6thrust23THRUST_200600_302600_NS6detail15normal_iteratorINSA_10device_ptrIjEEEEPS6_SG_NS0_5tupleIJSF_S6_EEENSH_IJSG_SG_EEES6_PlJNSB_9not_fun_tI7is_evenIjEEEEEE10hipError_tPvRmT3_T4_T5_T6_T7_T9_mT8_P12ihipStream_tbDpT10_ENKUlT_T0_E_clISt17integral_constantIbLb1EES17_IbLb0EEEEDaS13_S14_EUlS13_E_NS1_11comp_targetILNS1_3genE3ELNS1_11target_archE908ELNS1_3gpuE7ELNS1_3repE0EEENS1_30default_config_static_selectorELNS0_4arch9wavefront6targetE0EEEvT1_,@function
_ZN7rocprim17ROCPRIM_400000_NS6detail17trampoline_kernelINS0_14default_configENS1_25partition_config_selectorILNS1_17partition_subalgoE6EjNS0_10empty_typeEbEEZZNS1_14partition_implILS5_6ELb0ES3_mN6thrust23THRUST_200600_302600_NS6detail15normal_iteratorINSA_10device_ptrIjEEEEPS6_SG_NS0_5tupleIJSF_S6_EEENSH_IJSG_SG_EEES6_PlJNSB_9not_fun_tI7is_evenIjEEEEEE10hipError_tPvRmT3_T4_T5_T6_T7_T9_mT8_P12ihipStream_tbDpT10_ENKUlT_T0_E_clISt17integral_constantIbLb1EES17_IbLb0EEEEDaS13_S14_EUlS13_E_NS1_11comp_targetILNS1_3genE3ELNS1_11target_archE908ELNS1_3gpuE7ELNS1_3repE0EEENS1_30default_config_static_selectorELNS0_4arch9wavefront6targetE0EEEvT1_: ; @_ZN7rocprim17ROCPRIM_400000_NS6detail17trampoline_kernelINS0_14default_configENS1_25partition_config_selectorILNS1_17partition_subalgoE6EjNS0_10empty_typeEbEEZZNS1_14partition_implILS5_6ELb0ES3_mN6thrust23THRUST_200600_302600_NS6detail15normal_iteratorINSA_10device_ptrIjEEEEPS6_SG_NS0_5tupleIJSF_S6_EEENSH_IJSG_SG_EEES6_PlJNSB_9not_fun_tI7is_evenIjEEEEEE10hipError_tPvRmT3_T4_T5_T6_T7_T9_mT8_P12ihipStream_tbDpT10_ENKUlT_T0_E_clISt17integral_constantIbLb1EES17_IbLb0EEEEDaS13_S14_EUlS13_E_NS1_11comp_targetILNS1_3genE3ELNS1_11target_archE908ELNS1_3gpuE7ELNS1_3repE0EEENS1_30default_config_static_selectorELNS0_4arch9wavefront6targetE0EEEvT1_
; %bb.0:
	.section	.rodata,"a",@progbits
	.p2align	6, 0x0
	.amdhsa_kernel _ZN7rocprim17ROCPRIM_400000_NS6detail17trampoline_kernelINS0_14default_configENS1_25partition_config_selectorILNS1_17partition_subalgoE6EjNS0_10empty_typeEbEEZZNS1_14partition_implILS5_6ELb0ES3_mN6thrust23THRUST_200600_302600_NS6detail15normal_iteratorINSA_10device_ptrIjEEEEPS6_SG_NS0_5tupleIJSF_S6_EEENSH_IJSG_SG_EEES6_PlJNSB_9not_fun_tI7is_evenIjEEEEEE10hipError_tPvRmT3_T4_T5_T6_T7_T9_mT8_P12ihipStream_tbDpT10_ENKUlT_T0_E_clISt17integral_constantIbLb1EES17_IbLb0EEEEDaS13_S14_EUlS13_E_NS1_11comp_targetILNS1_3genE3ELNS1_11target_archE908ELNS1_3gpuE7ELNS1_3repE0EEENS1_30default_config_static_selectorELNS0_4arch9wavefront6targetE0EEEvT1_
		.amdhsa_group_segment_fixed_size 0
		.amdhsa_private_segment_fixed_size 0
		.amdhsa_kernarg_size 112
		.amdhsa_user_sgpr_count 2
		.amdhsa_user_sgpr_dispatch_ptr 0
		.amdhsa_user_sgpr_queue_ptr 0
		.amdhsa_user_sgpr_kernarg_segment_ptr 1
		.amdhsa_user_sgpr_dispatch_id 0
		.amdhsa_user_sgpr_private_segment_size 0
		.amdhsa_wavefront_size32 1
		.amdhsa_uses_dynamic_stack 0
		.amdhsa_enable_private_segment 0
		.amdhsa_system_sgpr_workgroup_id_x 1
		.amdhsa_system_sgpr_workgroup_id_y 0
		.amdhsa_system_sgpr_workgroup_id_z 0
		.amdhsa_system_sgpr_workgroup_info 0
		.amdhsa_system_vgpr_workitem_id 0
		.amdhsa_next_free_vgpr 1
		.amdhsa_next_free_sgpr 1
		.amdhsa_reserve_vcc 0
		.amdhsa_float_round_mode_32 0
		.amdhsa_float_round_mode_16_64 0
		.amdhsa_float_denorm_mode_32 3
		.amdhsa_float_denorm_mode_16_64 3
		.amdhsa_fp16_overflow 0
		.amdhsa_workgroup_processor_mode 1
		.amdhsa_memory_ordered 1
		.amdhsa_forward_progress 1
		.amdhsa_inst_pref_size 0
		.amdhsa_round_robin_scheduling 0
		.amdhsa_exception_fp_ieee_invalid_op 0
		.amdhsa_exception_fp_denorm_src 0
		.amdhsa_exception_fp_ieee_div_zero 0
		.amdhsa_exception_fp_ieee_overflow 0
		.amdhsa_exception_fp_ieee_underflow 0
		.amdhsa_exception_fp_ieee_inexact 0
		.amdhsa_exception_int_div_zero 0
	.end_amdhsa_kernel
	.section	.text._ZN7rocprim17ROCPRIM_400000_NS6detail17trampoline_kernelINS0_14default_configENS1_25partition_config_selectorILNS1_17partition_subalgoE6EjNS0_10empty_typeEbEEZZNS1_14partition_implILS5_6ELb0ES3_mN6thrust23THRUST_200600_302600_NS6detail15normal_iteratorINSA_10device_ptrIjEEEEPS6_SG_NS0_5tupleIJSF_S6_EEENSH_IJSG_SG_EEES6_PlJNSB_9not_fun_tI7is_evenIjEEEEEE10hipError_tPvRmT3_T4_T5_T6_T7_T9_mT8_P12ihipStream_tbDpT10_ENKUlT_T0_E_clISt17integral_constantIbLb1EES17_IbLb0EEEEDaS13_S14_EUlS13_E_NS1_11comp_targetILNS1_3genE3ELNS1_11target_archE908ELNS1_3gpuE7ELNS1_3repE0EEENS1_30default_config_static_selectorELNS0_4arch9wavefront6targetE0EEEvT1_,"axG",@progbits,_ZN7rocprim17ROCPRIM_400000_NS6detail17trampoline_kernelINS0_14default_configENS1_25partition_config_selectorILNS1_17partition_subalgoE6EjNS0_10empty_typeEbEEZZNS1_14partition_implILS5_6ELb0ES3_mN6thrust23THRUST_200600_302600_NS6detail15normal_iteratorINSA_10device_ptrIjEEEEPS6_SG_NS0_5tupleIJSF_S6_EEENSH_IJSG_SG_EEES6_PlJNSB_9not_fun_tI7is_evenIjEEEEEE10hipError_tPvRmT3_T4_T5_T6_T7_T9_mT8_P12ihipStream_tbDpT10_ENKUlT_T0_E_clISt17integral_constantIbLb1EES17_IbLb0EEEEDaS13_S14_EUlS13_E_NS1_11comp_targetILNS1_3genE3ELNS1_11target_archE908ELNS1_3gpuE7ELNS1_3repE0EEENS1_30default_config_static_selectorELNS0_4arch9wavefront6targetE0EEEvT1_,comdat
.Lfunc_end648:
	.size	_ZN7rocprim17ROCPRIM_400000_NS6detail17trampoline_kernelINS0_14default_configENS1_25partition_config_selectorILNS1_17partition_subalgoE6EjNS0_10empty_typeEbEEZZNS1_14partition_implILS5_6ELb0ES3_mN6thrust23THRUST_200600_302600_NS6detail15normal_iteratorINSA_10device_ptrIjEEEEPS6_SG_NS0_5tupleIJSF_S6_EEENSH_IJSG_SG_EEES6_PlJNSB_9not_fun_tI7is_evenIjEEEEEE10hipError_tPvRmT3_T4_T5_T6_T7_T9_mT8_P12ihipStream_tbDpT10_ENKUlT_T0_E_clISt17integral_constantIbLb1EES17_IbLb0EEEEDaS13_S14_EUlS13_E_NS1_11comp_targetILNS1_3genE3ELNS1_11target_archE908ELNS1_3gpuE7ELNS1_3repE0EEENS1_30default_config_static_selectorELNS0_4arch9wavefront6targetE0EEEvT1_, .Lfunc_end648-_ZN7rocprim17ROCPRIM_400000_NS6detail17trampoline_kernelINS0_14default_configENS1_25partition_config_selectorILNS1_17partition_subalgoE6EjNS0_10empty_typeEbEEZZNS1_14partition_implILS5_6ELb0ES3_mN6thrust23THRUST_200600_302600_NS6detail15normal_iteratorINSA_10device_ptrIjEEEEPS6_SG_NS0_5tupleIJSF_S6_EEENSH_IJSG_SG_EEES6_PlJNSB_9not_fun_tI7is_evenIjEEEEEE10hipError_tPvRmT3_T4_T5_T6_T7_T9_mT8_P12ihipStream_tbDpT10_ENKUlT_T0_E_clISt17integral_constantIbLb1EES17_IbLb0EEEEDaS13_S14_EUlS13_E_NS1_11comp_targetILNS1_3genE3ELNS1_11target_archE908ELNS1_3gpuE7ELNS1_3repE0EEENS1_30default_config_static_selectorELNS0_4arch9wavefront6targetE0EEEvT1_
                                        ; -- End function
	.set _ZN7rocprim17ROCPRIM_400000_NS6detail17trampoline_kernelINS0_14default_configENS1_25partition_config_selectorILNS1_17partition_subalgoE6EjNS0_10empty_typeEbEEZZNS1_14partition_implILS5_6ELb0ES3_mN6thrust23THRUST_200600_302600_NS6detail15normal_iteratorINSA_10device_ptrIjEEEEPS6_SG_NS0_5tupleIJSF_S6_EEENSH_IJSG_SG_EEES6_PlJNSB_9not_fun_tI7is_evenIjEEEEEE10hipError_tPvRmT3_T4_T5_T6_T7_T9_mT8_P12ihipStream_tbDpT10_ENKUlT_T0_E_clISt17integral_constantIbLb1EES17_IbLb0EEEEDaS13_S14_EUlS13_E_NS1_11comp_targetILNS1_3genE3ELNS1_11target_archE908ELNS1_3gpuE7ELNS1_3repE0EEENS1_30default_config_static_selectorELNS0_4arch9wavefront6targetE0EEEvT1_.num_vgpr, 0
	.set _ZN7rocprim17ROCPRIM_400000_NS6detail17trampoline_kernelINS0_14default_configENS1_25partition_config_selectorILNS1_17partition_subalgoE6EjNS0_10empty_typeEbEEZZNS1_14partition_implILS5_6ELb0ES3_mN6thrust23THRUST_200600_302600_NS6detail15normal_iteratorINSA_10device_ptrIjEEEEPS6_SG_NS0_5tupleIJSF_S6_EEENSH_IJSG_SG_EEES6_PlJNSB_9not_fun_tI7is_evenIjEEEEEE10hipError_tPvRmT3_T4_T5_T6_T7_T9_mT8_P12ihipStream_tbDpT10_ENKUlT_T0_E_clISt17integral_constantIbLb1EES17_IbLb0EEEEDaS13_S14_EUlS13_E_NS1_11comp_targetILNS1_3genE3ELNS1_11target_archE908ELNS1_3gpuE7ELNS1_3repE0EEENS1_30default_config_static_selectorELNS0_4arch9wavefront6targetE0EEEvT1_.num_agpr, 0
	.set _ZN7rocprim17ROCPRIM_400000_NS6detail17trampoline_kernelINS0_14default_configENS1_25partition_config_selectorILNS1_17partition_subalgoE6EjNS0_10empty_typeEbEEZZNS1_14partition_implILS5_6ELb0ES3_mN6thrust23THRUST_200600_302600_NS6detail15normal_iteratorINSA_10device_ptrIjEEEEPS6_SG_NS0_5tupleIJSF_S6_EEENSH_IJSG_SG_EEES6_PlJNSB_9not_fun_tI7is_evenIjEEEEEE10hipError_tPvRmT3_T4_T5_T6_T7_T9_mT8_P12ihipStream_tbDpT10_ENKUlT_T0_E_clISt17integral_constantIbLb1EES17_IbLb0EEEEDaS13_S14_EUlS13_E_NS1_11comp_targetILNS1_3genE3ELNS1_11target_archE908ELNS1_3gpuE7ELNS1_3repE0EEENS1_30default_config_static_selectorELNS0_4arch9wavefront6targetE0EEEvT1_.numbered_sgpr, 0
	.set _ZN7rocprim17ROCPRIM_400000_NS6detail17trampoline_kernelINS0_14default_configENS1_25partition_config_selectorILNS1_17partition_subalgoE6EjNS0_10empty_typeEbEEZZNS1_14partition_implILS5_6ELb0ES3_mN6thrust23THRUST_200600_302600_NS6detail15normal_iteratorINSA_10device_ptrIjEEEEPS6_SG_NS0_5tupleIJSF_S6_EEENSH_IJSG_SG_EEES6_PlJNSB_9not_fun_tI7is_evenIjEEEEEE10hipError_tPvRmT3_T4_T5_T6_T7_T9_mT8_P12ihipStream_tbDpT10_ENKUlT_T0_E_clISt17integral_constantIbLb1EES17_IbLb0EEEEDaS13_S14_EUlS13_E_NS1_11comp_targetILNS1_3genE3ELNS1_11target_archE908ELNS1_3gpuE7ELNS1_3repE0EEENS1_30default_config_static_selectorELNS0_4arch9wavefront6targetE0EEEvT1_.num_named_barrier, 0
	.set _ZN7rocprim17ROCPRIM_400000_NS6detail17trampoline_kernelINS0_14default_configENS1_25partition_config_selectorILNS1_17partition_subalgoE6EjNS0_10empty_typeEbEEZZNS1_14partition_implILS5_6ELb0ES3_mN6thrust23THRUST_200600_302600_NS6detail15normal_iteratorINSA_10device_ptrIjEEEEPS6_SG_NS0_5tupleIJSF_S6_EEENSH_IJSG_SG_EEES6_PlJNSB_9not_fun_tI7is_evenIjEEEEEE10hipError_tPvRmT3_T4_T5_T6_T7_T9_mT8_P12ihipStream_tbDpT10_ENKUlT_T0_E_clISt17integral_constantIbLb1EES17_IbLb0EEEEDaS13_S14_EUlS13_E_NS1_11comp_targetILNS1_3genE3ELNS1_11target_archE908ELNS1_3gpuE7ELNS1_3repE0EEENS1_30default_config_static_selectorELNS0_4arch9wavefront6targetE0EEEvT1_.private_seg_size, 0
	.set _ZN7rocprim17ROCPRIM_400000_NS6detail17trampoline_kernelINS0_14default_configENS1_25partition_config_selectorILNS1_17partition_subalgoE6EjNS0_10empty_typeEbEEZZNS1_14partition_implILS5_6ELb0ES3_mN6thrust23THRUST_200600_302600_NS6detail15normal_iteratorINSA_10device_ptrIjEEEEPS6_SG_NS0_5tupleIJSF_S6_EEENSH_IJSG_SG_EEES6_PlJNSB_9not_fun_tI7is_evenIjEEEEEE10hipError_tPvRmT3_T4_T5_T6_T7_T9_mT8_P12ihipStream_tbDpT10_ENKUlT_T0_E_clISt17integral_constantIbLb1EES17_IbLb0EEEEDaS13_S14_EUlS13_E_NS1_11comp_targetILNS1_3genE3ELNS1_11target_archE908ELNS1_3gpuE7ELNS1_3repE0EEENS1_30default_config_static_selectorELNS0_4arch9wavefront6targetE0EEEvT1_.uses_vcc, 0
	.set _ZN7rocprim17ROCPRIM_400000_NS6detail17trampoline_kernelINS0_14default_configENS1_25partition_config_selectorILNS1_17partition_subalgoE6EjNS0_10empty_typeEbEEZZNS1_14partition_implILS5_6ELb0ES3_mN6thrust23THRUST_200600_302600_NS6detail15normal_iteratorINSA_10device_ptrIjEEEEPS6_SG_NS0_5tupleIJSF_S6_EEENSH_IJSG_SG_EEES6_PlJNSB_9not_fun_tI7is_evenIjEEEEEE10hipError_tPvRmT3_T4_T5_T6_T7_T9_mT8_P12ihipStream_tbDpT10_ENKUlT_T0_E_clISt17integral_constantIbLb1EES17_IbLb0EEEEDaS13_S14_EUlS13_E_NS1_11comp_targetILNS1_3genE3ELNS1_11target_archE908ELNS1_3gpuE7ELNS1_3repE0EEENS1_30default_config_static_selectorELNS0_4arch9wavefront6targetE0EEEvT1_.uses_flat_scratch, 0
	.set _ZN7rocprim17ROCPRIM_400000_NS6detail17trampoline_kernelINS0_14default_configENS1_25partition_config_selectorILNS1_17partition_subalgoE6EjNS0_10empty_typeEbEEZZNS1_14partition_implILS5_6ELb0ES3_mN6thrust23THRUST_200600_302600_NS6detail15normal_iteratorINSA_10device_ptrIjEEEEPS6_SG_NS0_5tupleIJSF_S6_EEENSH_IJSG_SG_EEES6_PlJNSB_9not_fun_tI7is_evenIjEEEEEE10hipError_tPvRmT3_T4_T5_T6_T7_T9_mT8_P12ihipStream_tbDpT10_ENKUlT_T0_E_clISt17integral_constantIbLb1EES17_IbLb0EEEEDaS13_S14_EUlS13_E_NS1_11comp_targetILNS1_3genE3ELNS1_11target_archE908ELNS1_3gpuE7ELNS1_3repE0EEENS1_30default_config_static_selectorELNS0_4arch9wavefront6targetE0EEEvT1_.has_dyn_sized_stack, 0
	.set _ZN7rocprim17ROCPRIM_400000_NS6detail17trampoline_kernelINS0_14default_configENS1_25partition_config_selectorILNS1_17partition_subalgoE6EjNS0_10empty_typeEbEEZZNS1_14partition_implILS5_6ELb0ES3_mN6thrust23THRUST_200600_302600_NS6detail15normal_iteratorINSA_10device_ptrIjEEEEPS6_SG_NS0_5tupleIJSF_S6_EEENSH_IJSG_SG_EEES6_PlJNSB_9not_fun_tI7is_evenIjEEEEEE10hipError_tPvRmT3_T4_T5_T6_T7_T9_mT8_P12ihipStream_tbDpT10_ENKUlT_T0_E_clISt17integral_constantIbLb1EES17_IbLb0EEEEDaS13_S14_EUlS13_E_NS1_11comp_targetILNS1_3genE3ELNS1_11target_archE908ELNS1_3gpuE7ELNS1_3repE0EEENS1_30default_config_static_selectorELNS0_4arch9wavefront6targetE0EEEvT1_.has_recursion, 0
	.set _ZN7rocprim17ROCPRIM_400000_NS6detail17trampoline_kernelINS0_14default_configENS1_25partition_config_selectorILNS1_17partition_subalgoE6EjNS0_10empty_typeEbEEZZNS1_14partition_implILS5_6ELb0ES3_mN6thrust23THRUST_200600_302600_NS6detail15normal_iteratorINSA_10device_ptrIjEEEEPS6_SG_NS0_5tupleIJSF_S6_EEENSH_IJSG_SG_EEES6_PlJNSB_9not_fun_tI7is_evenIjEEEEEE10hipError_tPvRmT3_T4_T5_T6_T7_T9_mT8_P12ihipStream_tbDpT10_ENKUlT_T0_E_clISt17integral_constantIbLb1EES17_IbLb0EEEEDaS13_S14_EUlS13_E_NS1_11comp_targetILNS1_3genE3ELNS1_11target_archE908ELNS1_3gpuE7ELNS1_3repE0EEENS1_30default_config_static_selectorELNS0_4arch9wavefront6targetE0EEEvT1_.has_indirect_call, 0
	.section	.AMDGPU.csdata,"",@progbits
; Kernel info:
; codeLenInByte = 0
; TotalNumSgprs: 0
; NumVgprs: 0
; ScratchSize: 0
; MemoryBound: 0
; FloatMode: 240
; IeeeMode: 1
; LDSByteSize: 0 bytes/workgroup (compile time only)
; SGPRBlocks: 0
; VGPRBlocks: 0
; NumSGPRsForWavesPerEU: 1
; NumVGPRsForWavesPerEU: 1
; Occupancy: 16
; WaveLimiterHint : 0
; COMPUTE_PGM_RSRC2:SCRATCH_EN: 0
; COMPUTE_PGM_RSRC2:USER_SGPR: 2
; COMPUTE_PGM_RSRC2:TRAP_HANDLER: 0
; COMPUTE_PGM_RSRC2:TGID_X_EN: 1
; COMPUTE_PGM_RSRC2:TGID_Y_EN: 0
; COMPUTE_PGM_RSRC2:TGID_Z_EN: 0
; COMPUTE_PGM_RSRC2:TIDIG_COMP_CNT: 0
	.section	.text._ZN7rocprim17ROCPRIM_400000_NS6detail17trampoline_kernelINS0_14default_configENS1_25partition_config_selectorILNS1_17partition_subalgoE6EjNS0_10empty_typeEbEEZZNS1_14partition_implILS5_6ELb0ES3_mN6thrust23THRUST_200600_302600_NS6detail15normal_iteratorINSA_10device_ptrIjEEEEPS6_SG_NS0_5tupleIJSF_S6_EEENSH_IJSG_SG_EEES6_PlJNSB_9not_fun_tI7is_evenIjEEEEEE10hipError_tPvRmT3_T4_T5_T6_T7_T9_mT8_P12ihipStream_tbDpT10_ENKUlT_T0_E_clISt17integral_constantIbLb1EES17_IbLb0EEEEDaS13_S14_EUlS13_E_NS1_11comp_targetILNS1_3genE2ELNS1_11target_archE906ELNS1_3gpuE6ELNS1_3repE0EEENS1_30default_config_static_selectorELNS0_4arch9wavefront6targetE0EEEvT1_,"axG",@progbits,_ZN7rocprim17ROCPRIM_400000_NS6detail17trampoline_kernelINS0_14default_configENS1_25partition_config_selectorILNS1_17partition_subalgoE6EjNS0_10empty_typeEbEEZZNS1_14partition_implILS5_6ELb0ES3_mN6thrust23THRUST_200600_302600_NS6detail15normal_iteratorINSA_10device_ptrIjEEEEPS6_SG_NS0_5tupleIJSF_S6_EEENSH_IJSG_SG_EEES6_PlJNSB_9not_fun_tI7is_evenIjEEEEEE10hipError_tPvRmT3_T4_T5_T6_T7_T9_mT8_P12ihipStream_tbDpT10_ENKUlT_T0_E_clISt17integral_constantIbLb1EES17_IbLb0EEEEDaS13_S14_EUlS13_E_NS1_11comp_targetILNS1_3genE2ELNS1_11target_archE906ELNS1_3gpuE6ELNS1_3repE0EEENS1_30default_config_static_selectorELNS0_4arch9wavefront6targetE0EEEvT1_,comdat
	.protected	_ZN7rocprim17ROCPRIM_400000_NS6detail17trampoline_kernelINS0_14default_configENS1_25partition_config_selectorILNS1_17partition_subalgoE6EjNS0_10empty_typeEbEEZZNS1_14partition_implILS5_6ELb0ES3_mN6thrust23THRUST_200600_302600_NS6detail15normal_iteratorINSA_10device_ptrIjEEEEPS6_SG_NS0_5tupleIJSF_S6_EEENSH_IJSG_SG_EEES6_PlJNSB_9not_fun_tI7is_evenIjEEEEEE10hipError_tPvRmT3_T4_T5_T6_T7_T9_mT8_P12ihipStream_tbDpT10_ENKUlT_T0_E_clISt17integral_constantIbLb1EES17_IbLb0EEEEDaS13_S14_EUlS13_E_NS1_11comp_targetILNS1_3genE2ELNS1_11target_archE906ELNS1_3gpuE6ELNS1_3repE0EEENS1_30default_config_static_selectorELNS0_4arch9wavefront6targetE0EEEvT1_ ; -- Begin function _ZN7rocprim17ROCPRIM_400000_NS6detail17trampoline_kernelINS0_14default_configENS1_25partition_config_selectorILNS1_17partition_subalgoE6EjNS0_10empty_typeEbEEZZNS1_14partition_implILS5_6ELb0ES3_mN6thrust23THRUST_200600_302600_NS6detail15normal_iteratorINSA_10device_ptrIjEEEEPS6_SG_NS0_5tupleIJSF_S6_EEENSH_IJSG_SG_EEES6_PlJNSB_9not_fun_tI7is_evenIjEEEEEE10hipError_tPvRmT3_T4_T5_T6_T7_T9_mT8_P12ihipStream_tbDpT10_ENKUlT_T0_E_clISt17integral_constantIbLb1EES17_IbLb0EEEEDaS13_S14_EUlS13_E_NS1_11comp_targetILNS1_3genE2ELNS1_11target_archE906ELNS1_3gpuE6ELNS1_3repE0EEENS1_30default_config_static_selectorELNS0_4arch9wavefront6targetE0EEEvT1_
	.globl	_ZN7rocprim17ROCPRIM_400000_NS6detail17trampoline_kernelINS0_14default_configENS1_25partition_config_selectorILNS1_17partition_subalgoE6EjNS0_10empty_typeEbEEZZNS1_14partition_implILS5_6ELb0ES3_mN6thrust23THRUST_200600_302600_NS6detail15normal_iteratorINSA_10device_ptrIjEEEEPS6_SG_NS0_5tupleIJSF_S6_EEENSH_IJSG_SG_EEES6_PlJNSB_9not_fun_tI7is_evenIjEEEEEE10hipError_tPvRmT3_T4_T5_T6_T7_T9_mT8_P12ihipStream_tbDpT10_ENKUlT_T0_E_clISt17integral_constantIbLb1EES17_IbLb0EEEEDaS13_S14_EUlS13_E_NS1_11comp_targetILNS1_3genE2ELNS1_11target_archE906ELNS1_3gpuE6ELNS1_3repE0EEENS1_30default_config_static_selectorELNS0_4arch9wavefront6targetE0EEEvT1_
	.p2align	8
	.type	_ZN7rocprim17ROCPRIM_400000_NS6detail17trampoline_kernelINS0_14default_configENS1_25partition_config_selectorILNS1_17partition_subalgoE6EjNS0_10empty_typeEbEEZZNS1_14partition_implILS5_6ELb0ES3_mN6thrust23THRUST_200600_302600_NS6detail15normal_iteratorINSA_10device_ptrIjEEEEPS6_SG_NS0_5tupleIJSF_S6_EEENSH_IJSG_SG_EEES6_PlJNSB_9not_fun_tI7is_evenIjEEEEEE10hipError_tPvRmT3_T4_T5_T6_T7_T9_mT8_P12ihipStream_tbDpT10_ENKUlT_T0_E_clISt17integral_constantIbLb1EES17_IbLb0EEEEDaS13_S14_EUlS13_E_NS1_11comp_targetILNS1_3genE2ELNS1_11target_archE906ELNS1_3gpuE6ELNS1_3repE0EEENS1_30default_config_static_selectorELNS0_4arch9wavefront6targetE0EEEvT1_,@function
_ZN7rocprim17ROCPRIM_400000_NS6detail17trampoline_kernelINS0_14default_configENS1_25partition_config_selectorILNS1_17partition_subalgoE6EjNS0_10empty_typeEbEEZZNS1_14partition_implILS5_6ELb0ES3_mN6thrust23THRUST_200600_302600_NS6detail15normal_iteratorINSA_10device_ptrIjEEEEPS6_SG_NS0_5tupleIJSF_S6_EEENSH_IJSG_SG_EEES6_PlJNSB_9not_fun_tI7is_evenIjEEEEEE10hipError_tPvRmT3_T4_T5_T6_T7_T9_mT8_P12ihipStream_tbDpT10_ENKUlT_T0_E_clISt17integral_constantIbLb1EES17_IbLb0EEEEDaS13_S14_EUlS13_E_NS1_11comp_targetILNS1_3genE2ELNS1_11target_archE906ELNS1_3gpuE6ELNS1_3repE0EEENS1_30default_config_static_selectorELNS0_4arch9wavefront6targetE0EEEvT1_: ; @_ZN7rocprim17ROCPRIM_400000_NS6detail17trampoline_kernelINS0_14default_configENS1_25partition_config_selectorILNS1_17partition_subalgoE6EjNS0_10empty_typeEbEEZZNS1_14partition_implILS5_6ELb0ES3_mN6thrust23THRUST_200600_302600_NS6detail15normal_iteratorINSA_10device_ptrIjEEEEPS6_SG_NS0_5tupleIJSF_S6_EEENSH_IJSG_SG_EEES6_PlJNSB_9not_fun_tI7is_evenIjEEEEEE10hipError_tPvRmT3_T4_T5_T6_T7_T9_mT8_P12ihipStream_tbDpT10_ENKUlT_T0_E_clISt17integral_constantIbLb1EES17_IbLb0EEEEDaS13_S14_EUlS13_E_NS1_11comp_targetILNS1_3genE2ELNS1_11target_archE906ELNS1_3gpuE6ELNS1_3repE0EEENS1_30default_config_static_selectorELNS0_4arch9wavefront6targetE0EEEvT1_
; %bb.0:
	.section	.rodata,"a",@progbits
	.p2align	6, 0x0
	.amdhsa_kernel _ZN7rocprim17ROCPRIM_400000_NS6detail17trampoline_kernelINS0_14default_configENS1_25partition_config_selectorILNS1_17partition_subalgoE6EjNS0_10empty_typeEbEEZZNS1_14partition_implILS5_6ELb0ES3_mN6thrust23THRUST_200600_302600_NS6detail15normal_iteratorINSA_10device_ptrIjEEEEPS6_SG_NS0_5tupleIJSF_S6_EEENSH_IJSG_SG_EEES6_PlJNSB_9not_fun_tI7is_evenIjEEEEEE10hipError_tPvRmT3_T4_T5_T6_T7_T9_mT8_P12ihipStream_tbDpT10_ENKUlT_T0_E_clISt17integral_constantIbLb1EES17_IbLb0EEEEDaS13_S14_EUlS13_E_NS1_11comp_targetILNS1_3genE2ELNS1_11target_archE906ELNS1_3gpuE6ELNS1_3repE0EEENS1_30default_config_static_selectorELNS0_4arch9wavefront6targetE0EEEvT1_
		.amdhsa_group_segment_fixed_size 0
		.amdhsa_private_segment_fixed_size 0
		.amdhsa_kernarg_size 112
		.amdhsa_user_sgpr_count 2
		.amdhsa_user_sgpr_dispatch_ptr 0
		.amdhsa_user_sgpr_queue_ptr 0
		.amdhsa_user_sgpr_kernarg_segment_ptr 1
		.amdhsa_user_sgpr_dispatch_id 0
		.amdhsa_user_sgpr_private_segment_size 0
		.amdhsa_wavefront_size32 1
		.amdhsa_uses_dynamic_stack 0
		.amdhsa_enable_private_segment 0
		.amdhsa_system_sgpr_workgroup_id_x 1
		.amdhsa_system_sgpr_workgroup_id_y 0
		.amdhsa_system_sgpr_workgroup_id_z 0
		.amdhsa_system_sgpr_workgroup_info 0
		.amdhsa_system_vgpr_workitem_id 0
		.amdhsa_next_free_vgpr 1
		.amdhsa_next_free_sgpr 1
		.amdhsa_reserve_vcc 0
		.amdhsa_float_round_mode_32 0
		.amdhsa_float_round_mode_16_64 0
		.amdhsa_float_denorm_mode_32 3
		.amdhsa_float_denorm_mode_16_64 3
		.amdhsa_fp16_overflow 0
		.amdhsa_workgroup_processor_mode 1
		.amdhsa_memory_ordered 1
		.amdhsa_forward_progress 1
		.amdhsa_inst_pref_size 0
		.amdhsa_round_robin_scheduling 0
		.amdhsa_exception_fp_ieee_invalid_op 0
		.amdhsa_exception_fp_denorm_src 0
		.amdhsa_exception_fp_ieee_div_zero 0
		.amdhsa_exception_fp_ieee_overflow 0
		.amdhsa_exception_fp_ieee_underflow 0
		.amdhsa_exception_fp_ieee_inexact 0
		.amdhsa_exception_int_div_zero 0
	.end_amdhsa_kernel
	.section	.text._ZN7rocprim17ROCPRIM_400000_NS6detail17trampoline_kernelINS0_14default_configENS1_25partition_config_selectorILNS1_17partition_subalgoE6EjNS0_10empty_typeEbEEZZNS1_14partition_implILS5_6ELb0ES3_mN6thrust23THRUST_200600_302600_NS6detail15normal_iteratorINSA_10device_ptrIjEEEEPS6_SG_NS0_5tupleIJSF_S6_EEENSH_IJSG_SG_EEES6_PlJNSB_9not_fun_tI7is_evenIjEEEEEE10hipError_tPvRmT3_T4_T5_T6_T7_T9_mT8_P12ihipStream_tbDpT10_ENKUlT_T0_E_clISt17integral_constantIbLb1EES17_IbLb0EEEEDaS13_S14_EUlS13_E_NS1_11comp_targetILNS1_3genE2ELNS1_11target_archE906ELNS1_3gpuE6ELNS1_3repE0EEENS1_30default_config_static_selectorELNS0_4arch9wavefront6targetE0EEEvT1_,"axG",@progbits,_ZN7rocprim17ROCPRIM_400000_NS6detail17trampoline_kernelINS0_14default_configENS1_25partition_config_selectorILNS1_17partition_subalgoE6EjNS0_10empty_typeEbEEZZNS1_14partition_implILS5_6ELb0ES3_mN6thrust23THRUST_200600_302600_NS6detail15normal_iteratorINSA_10device_ptrIjEEEEPS6_SG_NS0_5tupleIJSF_S6_EEENSH_IJSG_SG_EEES6_PlJNSB_9not_fun_tI7is_evenIjEEEEEE10hipError_tPvRmT3_T4_T5_T6_T7_T9_mT8_P12ihipStream_tbDpT10_ENKUlT_T0_E_clISt17integral_constantIbLb1EES17_IbLb0EEEEDaS13_S14_EUlS13_E_NS1_11comp_targetILNS1_3genE2ELNS1_11target_archE906ELNS1_3gpuE6ELNS1_3repE0EEENS1_30default_config_static_selectorELNS0_4arch9wavefront6targetE0EEEvT1_,comdat
.Lfunc_end649:
	.size	_ZN7rocprim17ROCPRIM_400000_NS6detail17trampoline_kernelINS0_14default_configENS1_25partition_config_selectorILNS1_17partition_subalgoE6EjNS0_10empty_typeEbEEZZNS1_14partition_implILS5_6ELb0ES3_mN6thrust23THRUST_200600_302600_NS6detail15normal_iteratorINSA_10device_ptrIjEEEEPS6_SG_NS0_5tupleIJSF_S6_EEENSH_IJSG_SG_EEES6_PlJNSB_9not_fun_tI7is_evenIjEEEEEE10hipError_tPvRmT3_T4_T5_T6_T7_T9_mT8_P12ihipStream_tbDpT10_ENKUlT_T0_E_clISt17integral_constantIbLb1EES17_IbLb0EEEEDaS13_S14_EUlS13_E_NS1_11comp_targetILNS1_3genE2ELNS1_11target_archE906ELNS1_3gpuE6ELNS1_3repE0EEENS1_30default_config_static_selectorELNS0_4arch9wavefront6targetE0EEEvT1_, .Lfunc_end649-_ZN7rocprim17ROCPRIM_400000_NS6detail17trampoline_kernelINS0_14default_configENS1_25partition_config_selectorILNS1_17partition_subalgoE6EjNS0_10empty_typeEbEEZZNS1_14partition_implILS5_6ELb0ES3_mN6thrust23THRUST_200600_302600_NS6detail15normal_iteratorINSA_10device_ptrIjEEEEPS6_SG_NS0_5tupleIJSF_S6_EEENSH_IJSG_SG_EEES6_PlJNSB_9not_fun_tI7is_evenIjEEEEEE10hipError_tPvRmT3_T4_T5_T6_T7_T9_mT8_P12ihipStream_tbDpT10_ENKUlT_T0_E_clISt17integral_constantIbLb1EES17_IbLb0EEEEDaS13_S14_EUlS13_E_NS1_11comp_targetILNS1_3genE2ELNS1_11target_archE906ELNS1_3gpuE6ELNS1_3repE0EEENS1_30default_config_static_selectorELNS0_4arch9wavefront6targetE0EEEvT1_
                                        ; -- End function
	.set _ZN7rocprim17ROCPRIM_400000_NS6detail17trampoline_kernelINS0_14default_configENS1_25partition_config_selectorILNS1_17partition_subalgoE6EjNS0_10empty_typeEbEEZZNS1_14partition_implILS5_6ELb0ES3_mN6thrust23THRUST_200600_302600_NS6detail15normal_iteratorINSA_10device_ptrIjEEEEPS6_SG_NS0_5tupleIJSF_S6_EEENSH_IJSG_SG_EEES6_PlJNSB_9not_fun_tI7is_evenIjEEEEEE10hipError_tPvRmT3_T4_T5_T6_T7_T9_mT8_P12ihipStream_tbDpT10_ENKUlT_T0_E_clISt17integral_constantIbLb1EES17_IbLb0EEEEDaS13_S14_EUlS13_E_NS1_11comp_targetILNS1_3genE2ELNS1_11target_archE906ELNS1_3gpuE6ELNS1_3repE0EEENS1_30default_config_static_selectorELNS0_4arch9wavefront6targetE0EEEvT1_.num_vgpr, 0
	.set _ZN7rocprim17ROCPRIM_400000_NS6detail17trampoline_kernelINS0_14default_configENS1_25partition_config_selectorILNS1_17partition_subalgoE6EjNS0_10empty_typeEbEEZZNS1_14partition_implILS5_6ELb0ES3_mN6thrust23THRUST_200600_302600_NS6detail15normal_iteratorINSA_10device_ptrIjEEEEPS6_SG_NS0_5tupleIJSF_S6_EEENSH_IJSG_SG_EEES6_PlJNSB_9not_fun_tI7is_evenIjEEEEEE10hipError_tPvRmT3_T4_T5_T6_T7_T9_mT8_P12ihipStream_tbDpT10_ENKUlT_T0_E_clISt17integral_constantIbLb1EES17_IbLb0EEEEDaS13_S14_EUlS13_E_NS1_11comp_targetILNS1_3genE2ELNS1_11target_archE906ELNS1_3gpuE6ELNS1_3repE0EEENS1_30default_config_static_selectorELNS0_4arch9wavefront6targetE0EEEvT1_.num_agpr, 0
	.set _ZN7rocprim17ROCPRIM_400000_NS6detail17trampoline_kernelINS0_14default_configENS1_25partition_config_selectorILNS1_17partition_subalgoE6EjNS0_10empty_typeEbEEZZNS1_14partition_implILS5_6ELb0ES3_mN6thrust23THRUST_200600_302600_NS6detail15normal_iteratorINSA_10device_ptrIjEEEEPS6_SG_NS0_5tupleIJSF_S6_EEENSH_IJSG_SG_EEES6_PlJNSB_9not_fun_tI7is_evenIjEEEEEE10hipError_tPvRmT3_T4_T5_T6_T7_T9_mT8_P12ihipStream_tbDpT10_ENKUlT_T0_E_clISt17integral_constantIbLb1EES17_IbLb0EEEEDaS13_S14_EUlS13_E_NS1_11comp_targetILNS1_3genE2ELNS1_11target_archE906ELNS1_3gpuE6ELNS1_3repE0EEENS1_30default_config_static_selectorELNS0_4arch9wavefront6targetE0EEEvT1_.numbered_sgpr, 0
	.set _ZN7rocprim17ROCPRIM_400000_NS6detail17trampoline_kernelINS0_14default_configENS1_25partition_config_selectorILNS1_17partition_subalgoE6EjNS0_10empty_typeEbEEZZNS1_14partition_implILS5_6ELb0ES3_mN6thrust23THRUST_200600_302600_NS6detail15normal_iteratorINSA_10device_ptrIjEEEEPS6_SG_NS0_5tupleIJSF_S6_EEENSH_IJSG_SG_EEES6_PlJNSB_9not_fun_tI7is_evenIjEEEEEE10hipError_tPvRmT3_T4_T5_T6_T7_T9_mT8_P12ihipStream_tbDpT10_ENKUlT_T0_E_clISt17integral_constantIbLb1EES17_IbLb0EEEEDaS13_S14_EUlS13_E_NS1_11comp_targetILNS1_3genE2ELNS1_11target_archE906ELNS1_3gpuE6ELNS1_3repE0EEENS1_30default_config_static_selectorELNS0_4arch9wavefront6targetE0EEEvT1_.num_named_barrier, 0
	.set _ZN7rocprim17ROCPRIM_400000_NS6detail17trampoline_kernelINS0_14default_configENS1_25partition_config_selectorILNS1_17partition_subalgoE6EjNS0_10empty_typeEbEEZZNS1_14partition_implILS5_6ELb0ES3_mN6thrust23THRUST_200600_302600_NS6detail15normal_iteratorINSA_10device_ptrIjEEEEPS6_SG_NS0_5tupleIJSF_S6_EEENSH_IJSG_SG_EEES6_PlJNSB_9not_fun_tI7is_evenIjEEEEEE10hipError_tPvRmT3_T4_T5_T6_T7_T9_mT8_P12ihipStream_tbDpT10_ENKUlT_T0_E_clISt17integral_constantIbLb1EES17_IbLb0EEEEDaS13_S14_EUlS13_E_NS1_11comp_targetILNS1_3genE2ELNS1_11target_archE906ELNS1_3gpuE6ELNS1_3repE0EEENS1_30default_config_static_selectorELNS0_4arch9wavefront6targetE0EEEvT1_.private_seg_size, 0
	.set _ZN7rocprim17ROCPRIM_400000_NS6detail17trampoline_kernelINS0_14default_configENS1_25partition_config_selectorILNS1_17partition_subalgoE6EjNS0_10empty_typeEbEEZZNS1_14partition_implILS5_6ELb0ES3_mN6thrust23THRUST_200600_302600_NS6detail15normal_iteratorINSA_10device_ptrIjEEEEPS6_SG_NS0_5tupleIJSF_S6_EEENSH_IJSG_SG_EEES6_PlJNSB_9not_fun_tI7is_evenIjEEEEEE10hipError_tPvRmT3_T4_T5_T6_T7_T9_mT8_P12ihipStream_tbDpT10_ENKUlT_T0_E_clISt17integral_constantIbLb1EES17_IbLb0EEEEDaS13_S14_EUlS13_E_NS1_11comp_targetILNS1_3genE2ELNS1_11target_archE906ELNS1_3gpuE6ELNS1_3repE0EEENS1_30default_config_static_selectorELNS0_4arch9wavefront6targetE0EEEvT1_.uses_vcc, 0
	.set _ZN7rocprim17ROCPRIM_400000_NS6detail17trampoline_kernelINS0_14default_configENS1_25partition_config_selectorILNS1_17partition_subalgoE6EjNS0_10empty_typeEbEEZZNS1_14partition_implILS5_6ELb0ES3_mN6thrust23THRUST_200600_302600_NS6detail15normal_iteratorINSA_10device_ptrIjEEEEPS6_SG_NS0_5tupleIJSF_S6_EEENSH_IJSG_SG_EEES6_PlJNSB_9not_fun_tI7is_evenIjEEEEEE10hipError_tPvRmT3_T4_T5_T6_T7_T9_mT8_P12ihipStream_tbDpT10_ENKUlT_T0_E_clISt17integral_constantIbLb1EES17_IbLb0EEEEDaS13_S14_EUlS13_E_NS1_11comp_targetILNS1_3genE2ELNS1_11target_archE906ELNS1_3gpuE6ELNS1_3repE0EEENS1_30default_config_static_selectorELNS0_4arch9wavefront6targetE0EEEvT1_.uses_flat_scratch, 0
	.set _ZN7rocprim17ROCPRIM_400000_NS6detail17trampoline_kernelINS0_14default_configENS1_25partition_config_selectorILNS1_17partition_subalgoE6EjNS0_10empty_typeEbEEZZNS1_14partition_implILS5_6ELb0ES3_mN6thrust23THRUST_200600_302600_NS6detail15normal_iteratorINSA_10device_ptrIjEEEEPS6_SG_NS0_5tupleIJSF_S6_EEENSH_IJSG_SG_EEES6_PlJNSB_9not_fun_tI7is_evenIjEEEEEE10hipError_tPvRmT3_T4_T5_T6_T7_T9_mT8_P12ihipStream_tbDpT10_ENKUlT_T0_E_clISt17integral_constantIbLb1EES17_IbLb0EEEEDaS13_S14_EUlS13_E_NS1_11comp_targetILNS1_3genE2ELNS1_11target_archE906ELNS1_3gpuE6ELNS1_3repE0EEENS1_30default_config_static_selectorELNS0_4arch9wavefront6targetE0EEEvT1_.has_dyn_sized_stack, 0
	.set _ZN7rocprim17ROCPRIM_400000_NS6detail17trampoline_kernelINS0_14default_configENS1_25partition_config_selectorILNS1_17partition_subalgoE6EjNS0_10empty_typeEbEEZZNS1_14partition_implILS5_6ELb0ES3_mN6thrust23THRUST_200600_302600_NS6detail15normal_iteratorINSA_10device_ptrIjEEEEPS6_SG_NS0_5tupleIJSF_S6_EEENSH_IJSG_SG_EEES6_PlJNSB_9not_fun_tI7is_evenIjEEEEEE10hipError_tPvRmT3_T4_T5_T6_T7_T9_mT8_P12ihipStream_tbDpT10_ENKUlT_T0_E_clISt17integral_constantIbLb1EES17_IbLb0EEEEDaS13_S14_EUlS13_E_NS1_11comp_targetILNS1_3genE2ELNS1_11target_archE906ELNS1_3gpuE6ELNS1_3repE0EEENS1_30default_config_static_selectorELNS0_4arch9wavefront6targetE0EEEvT1_.has_recursion, 0
	.set _ZN7rocprim17ROCPRIM_400000_NS6detail17trampoline_kernelINS0_14default_configENS1_25partition_config_selectorILNS1_17partition_subalgoE6EjNS0_10empty_typeEbEEZZNS1_14partition_implILS5_6ELb0ES3_mN6thrust23THRUST_200600_302600_NS6detail15normal_iteratorINSA_10device_ptrIjEEEEPS6_SG_NS0_5tupleIJSF_S6_EEENSH_IJSG_SG_EEES6_PlJNSB_9not_fun_tI7is_evenIjEEEEEE10hipError_tPvRmT3_T4_T5_T6_T7_T9_mT8_P12ihipStream_tbDpT10_ENKUlT_T0_E_clISt17integral_constantIbLb1EES17_IbLb0EEEEDaS13_S14_EUlS13_E_NS1_11comp_targetILNS1_3genE2ELNS1_11target_archE906ELNS1_3gpuE6ELNS1_3repE0EEENS1_30default_config_static_selectorELNS0_4arch9wavefront6targetE0EEEvT1_.has_indirect_call, 0
	.section	.AMDGPU.csdata,"",@progbits
; Kernel info:
; codeLenInByte = 0
; TotalNumSgprs: 0
; NumVgprs: 0
; ScratchSize: 0
; MemoryBound: 0
; FloatMode: 240
; IeeeMode: 1
; LDSByteSize: 0 bytes/workgroup (compile time only)
; SGPRBlocks: 0
; VGPRBlocks: 0
; NumSGPRsForWavesPerEU: 1
; NumVGPRsForWavesPerEU: 1
; Occupancy: 16
; WaveLimiterHint : 0
; COMPUTE_PGM_RSRC2:SCRATCH_EN: 0
; COMPUTE_PGM_RSRC2:USER_SGPR: 2
; COMPUTE_PGM_RSRC2:TRAP_HANDLER: 0
; COMPUTE_PGM_RSRC2:TGID_X_EN: 1
; COMPUTE_PGM_RSRC2:TGID_Y_EN: 0
; COMPUTE_PGM_RSRC2:TGID_Z_EN: 0
; COMPUTE_PGM_RSRC2:TIDIG_COMP_CNT: 0
	.section	.text._ZN7rocprim17ROCPRIM_400000_NS6detail17trampoline_kernelINS0_14default_configENS1_25partition_config_selectorILNS1_17partition_subalgoE6EjNS0_10empty_typeEbEEZZNS1_14partition_implILS5_6ELb0ES3_mN6thrust23THRUST_200600_302600_NS6detail15normal_iteratorINSA_10device_ptrIjEEEEPS6_SG_NS0_5tupleIJSF_S6_EEENSH_IJSG_SG_EEES6_PlJNSB_9not_fun_tI7is_evenIjEEEEEE10hipError_tPvRmT3_T4_T5_T6_T7_T9_mT8_P12ihipStream_tbDpT10_ENKUlT_T0_E_clISt17integral_constantIbLb1EES17_IbLb0EEEEDaS13_S14_EUlS13_E_NS1_11comp_targetILNS1_3genE10ELNS1_11target_archE1200ELNS1_3gpuE4ELNS1_3repE0EEENS1_30default_config_static_selectorELNS0_4arch9wavefront6targetE0EEEvT1_,"axG",@progbits,_ZN7rocprim17ROCPRIM_400000_NS6detail17trampoline_kernelINS0_14default_configENS1_25partition_config_selectorILNS1_17partition_subalgoE6EjNS0_10empty_typeEbEEZZNS1_14partition_implILS5_6ELb0ES3_mN6thrust23THRUST_200600_302600_NS6detail15normal_iteratorINSA_10device_ptrIjEEEEPS6_SG_NS0_5tupleIJSF_S6_EEENSH_IJSG_SG_EEES6_PlJNSB_9not_fun_tI7is_evenIjEEEEEE10hipError_tPvRmT3_T4_T5_T6_T7_T9_mT8_P12ihipStream_tbDpT10_ENKUlT_T0_E_clISt17integral_constantIbLb1EES17_IbLb0EEEEDaS13_S14_EUlS13_E_NS1_11comp_targetILNS1_3genE10ELNS1_11target_archE1200ELNS1_3gpuE4ELNS1_3repE0EEENS1_30default_config_static_selectorELNS0_4arch9wavefront6targetE0EEEvT1_,comdat
	.protected	_ZN7rocprim17ROCPRIM_400000_NS6detail17trampoline_kernelINS0_14default_configENS1_25partition_config_selectorILNS1_17partition_subalgoE6EjNS0_10empty_typeEbEEZZNS1_14partition_implILS5_6ELb0ES3_mN6thrust23THRUST_200600_302600_NS6detail15normal_iteratorINSA_10device_ptrIjEEEEPS6_SG_NS0_5tupleIJSF_S6_EEENSH_IJSG_SG_EEES6_PlJNSB_9not_fun_tI7is_evenIjEEEEEE10hipError_tPvRmT3_T4_T5_T6_T7_T9_mT8_P12ihipStream_tbDpT10_ENKUlT_T0_E_clISt17integral_constantIbLb1EES17_IbLb0EEEEDaS13_S14_EUlS13_E_NS1_11comp_targetILNS1_3genE10ELNS1_11target_archE1200ELNS1_3gpuE4ELNS1_3repE0EEENS1_30default_config_static_selectorELNS0_4arch9wavefront6targetE0EEEvT1_ ; -- Begin function _ZN7rocprim17ROCPRIM_400000_NS6detail17trampoline_kernelINS0_14default_configENS1_25partition_config_selectorILNS1_17partition_subalgoE6EjNS0_10empty_typeEbEEZZNS1_14partition_implILS5_6ELb0ES3_mN6thrust23THRUST_200600_302600_NS6detail15normal_iteratorINSA_10device_ptrIjEEEEPS6_SG_NS0_5tupleIJSF_S6_EEENSH_IJSG_SG_EEES6_PlJNSB_9not_fun_tI7is_evenIjEEEEEE10hipError_tPvRmT3_T4_T5_T6_T7_T9_mT8_P12ihipStream_tbDpT10_ENKUlT_T0_E_clISt17integral_constantIbLb1EES17_IbLb0EEEEDaS13_S14_EUlS13_E_NS1_11comp_targetILNS1_3genE10ELNS1_11target_archE1200ELNS1_3gpuE4ELNS1_3repE0EEENS1_30default_config_static_selectorELNS0_4arch9wavefront6targetE0EEEvT1_
	.globl	_ZN7rocprim17ROCPRIM_400000_NS6detail17trampoline_kernelINS0_14default_configENS1_25partition_config_selectorILNS1_17partition_subalgoE6EjNS0_10empty_typeEbEEZZNS1_14partition_implILS5_6ELb0ES3_mN6thrust23THRUST_200600_302600_NS6detail15normal_iteratorINSA_10device_ptrIjEEEEPS6_SG_NS0_5tupleIJSF_S6_EEENSH_IJSG_SG_EEES6_PlJNSB_9not_fun_tI7is_evenIjEEEEEE10hipError_tPvRmT3_T4_T5_T6_T7_T9_mT8_P12ihipStream_tbDpT10_ENKUlT_T0_E_clISt17integral_constantIbLb1EES17_IbLb0EEEEDaS13_S14_EUlS13_E_NS1_11comp_targetILNS1_3genE10ELNS1_11target_archE1200ELNS1_3gpuE4ELNS1_3repE0EEENS1_30default_config_static_selectorELNS0_4arch9wavefront6targetE0EEEvT1_
	.p2align	8
	.type	_ZN7rocprim17ROCPRIM_400000_NS6detail17trampoline_kernelINS0_14default_configENS1_25partition_config_selectorILNS1_17partition_subalgoE6EjNS0_10empty_typeEbEEZZNS1_14partition_implILS5_6ELb0ES3_mN6thrust23THRUST_200600_302600_NS6detail15normal_iteratorINSA_10device_ptrIjEEEEPS6_SG_NS0_5tupleIJSF_S6_EEENSH_IJSG_SG_EEES6_PlJNSB_9not_fun_tI7is_evenIjEEEEEE10hipError_tPvRmT3_T4_T5_T6_T7_T9_mT8_P12ihipStream_tbDpT10_ENKUlT_T0_E_clISt17integral_constantIbLb1EES17_IbLb0EEEEDaS13_S14_EUlS13_E_NS1_11comp_targetILNS1_3genE10ELNS1_11target_archE1200ELNS1_3gpuE4ELNS1_3repE0EEENS1_30default_config_static_selectorELNS0_4arch9wavefront6targetE0EEEvT1_,@function
_ZN7rocprim17ROCPRIM_400000_NS6detail17trampoline_kernelINS0_14default_configENS1_25partition_config_selectorILNS1_17partition_subalgoE6EjNS0_10empty_typeEbEEZZNS1_14partition_implILS5_6ELb0ES3_mN6thrust23THRUST_200600_302600_NS6detail15normal_iteratorINSA_10device_ptrIjEEEEPS6_SG_NS0_5tupleIJSF_S6_EEENSH_IJSG_SG_EEES6_PlJNSB_9not_fun_tI7is_evenIjEEEEEE10hipError_tPvRmT3_T4_T5_T6_T7_T9_mT8_P12ihipStream_tbDpT10_ENKUlT_T0_E_clISt17integral_constantIbLb1EES17_IbLb0EEEEDaS13_S14_EUlS13_E_NS1_11comp_targetILNS1_3genE10ELNS1_11target_archE1200ELNS1_3gpuE4ELNS1_3repE0EEENS1_30default_config_static_selectorELNS0_4arch9wavefront6targetE0EEEvT1_: ; @_ZN7rocprim17ROCPRIM_400000_NS6detail17trampoline_kernelINS0_14default_configENS1_25partition_config_selectorILNS1_17partition_subalgoE6EjNS0_10empty_typeEbEEZZNS1_14partition_implILS5_6ELb0ES3_mN6thrust23THRUST_200600_302600_NS6detail15normal_iteratorINSA_10device_ptrIjEEEEPS6_SG_NS0_5tupleIJSF_S6_EEENSH_IJSG_SG_EEES6_PlJNSB_9not_fun_tI7is_evenIjEEEEEE10hipError_tPvRmT3_T4_T5_T6_T7_T9_mT8_P12ihipStream_tbDpT10_ENKUlT_T0_E_clISt17integral_constantIbLb1EES17_IbLb0EEEEDaS13_S14_EUlS13_E_NS1_11comp_targetILNS1_3genE10ELNS1_11target_archE1200ELNS1_3gpuE4ELNS1_3repE0EEENS1_30default_config_static_selectorELNS0_4arch9wavefront6targetE0EEEvT1_
; %bb.0:
	s_endpgm
	.section	.rodata,"a",@progbits
	.p2align	6, 0x0
	.amdhsa_kernel _ZN7rocprim17ROCPRIM_400000_NS6detail17trampoline_kernelINS0_14default_configENS1_25partition_config_selectorILNS1_17partition_subalgoE6EjNS0_10empty_typeEbEEZZNS1_14partition_implILS5_6ELb0ES3_mN6thrust23THRUST_200600_302600_NS6detail15normal_iteratorINSA_10device_ptrIjEEEEPS6_SG_NS0_5tupleIJSF_S6_EEENSH_IJSG_SG_EEES6_PlJNSB_9not_fun_tI7is_evenIjEEEEEE10hipError_tPvRmT3_T4_T5_T6_T7_T9_mT8_P12ihipStream_tbDpT10_ENKUlT_T0_E_clISt17integral_constantIbLb1EES17_IbLb0EEEEDaS13_S14_EUlS13_E_NS1_11comp_targetILNS1_3genE10ELNS1_11target_archE1200ELNS1_3gpuE4ELNS1_3repE0EEENS1_30default_config_static_selectorELNS0_4arch9wavefront6targetE0EEEvT1_
		.amdhsa_group_segment_fixed_size 0
		.amdhsa_private_segment_fixed_size 0
		.amdhsa_kernarg_size 112
		.amdhsa_user_sgpr_count 2
		.amdhsa_user_sgpr_dispatch_ptr 0
		.amdhsa_user_sgpr_queue_ptr 0
		.amdhsa_user_sgpr_kernarg_segment_ptr 1
		.amdhsa_user_sgpr_dispatch_id 0
		.amdhsa_user_sgpr_private_segment_size 0
		.amdhsa_wavefront_size32 1
		.amdhsa_uses_dynamic_stack 0
		.amdhsa_enable_private_segment 0
		.amdhsa_system_sgpr_workgroup_id_x 1
		.amdhsa_system_sgpr_workgroup_id_y 0
		.amdhsa_system_sgpr_workgroup_id_z 0
		.amdhsa_system_sgpr_workgroup_info 0
		.amdhsa_system_vgpr_workitem_id 0
		.amdhsa_next_free_vgpr 1
		.amdhsa_next_free_sgpr 1
		.amdhsa_reserve_vcc 0
		.amdhsa_float_round_mode_32 0
		.amdhsa_float_round_mode_16_64 0
		.amdhsa_float_denorm_mode_32 3
		.amdhsa_float_denorm_mode_16_64 3
		.amdhsa_fp16_overflow 0
		.amdhsa_workgroup_processor_mode 1
		.amdhsa_memory_ordered 1
		.amdhsa_forward_progress 1
		.amdhsa_inst_pref_size 1
		.amdhsa_round_robin_scheduling 0
		.amdhsa_exception_fp_ieee_invalid_op 0
		.amdhsa_exception_fp_denorm_src 0
		.amdhsa_exception_fp_ieee_div_zero 0
		.amdhsa_exception_fp_ieee_overflow 0
		.amdhsa_exception_fp_ieee_underflow 0
		.amdhsa_exception_fp_ieee_inexact 0
		.amdhsa_exception_int_div_zero 0
	.end_amdhsa_kernel
	.section	.text._ZN7rocprim17ROCPRIM_400000_NS6detail17trampoline_kernelINS0_14default_configENS1_25partition_config_selectorILNS1_17partition_subalgoE6EjNS0_10empty_typeEbEEZZNS1_14partition_implILS5_6ELb0ES3_mN6thrust23THRUST_200600_302600_NS6detail15normal_iteratorINSA_10device_ptrIjEEEEPS6_SG_NS0_5tupleIJSF_S6_EEENSH_IJSG_SG_EEES6_PlJNSB_9not_fun_tI7is_evenIjEEEEEE10hipError_tPvRmT3_T4_T5_T6_T7_T9_mT8_P12ihipStream_tbDpT10_ENKUlT_T0_E_clISt17integral_constantIbLb1EES17_IbLb0EEEEDaS13_S14_EUlS13_E_NS1_11comp_targetILNS1_3genE10ELNS1_11target_archE1200ELNS1_3gpuE4ELNS1_3repE0EEENS1_30default_config_static_selectorELNS0_4arch9wavefront6targetE0EEEvT1_,"axG",@progbits,_ZN7rocprim17ROCPRIM_400000_NS6detail17trampoline_kernelINS0_14default_configENS1_25partition_config_selectorILNS1_17partition_subalgoE6EjNS0_10empty_typeEbEEZZNS1_14partition_implILS5_6ELb0ES3_mN6thrust23THRUST_200600_302600_NS6detail15normal_iteratorINSA_10device_ptrIjEEEEPS6_SG_NS0_5tupleIJSF_S6_EEENSH_IJSG_SG_EEES6_PlJNSB_9not_fun_tI7is_evenIjEEEEEE10hipError_tPvRmT3_T4_T5_T6_T7_T9_mT8_P12ihipStream_tbDpT10_ENKUlT_T0_E_clISt17integral_constantIbLb1EES17_IbLb0EEEEDaS13_S14_EUlS13_E_NS1_11comp_targetILNS1_3genE10ELNS1_11target_archE1200ELNS1_3gpuE4ELNS1_3repE0EEENS1_30default_config_static_selectorELNS0_4arch9wavefront6targetE0EEEvT1_,comdat
.Lfunc_end650:
	.size	_ZN7rocprim17ROCPRIM_400000_NS6detail17trampoline_kernelINS0_14default_configENS1_25partition_config_selectorILNS1_17partition_subalgoE6EjNS0_10empty_typeEbEEZZNS1_14partition_implILS5_6ELb0ES3_mN6thrust23THRUST_200600_302600_NS6detail15normal_iteratorINSA_10device_ptrIjEEEEPS6_SG_NS0_5tupleIJSF_S6_EEENSH_IJSG_SG_EEES6_PlJNSB_9not_fun_tI7is_evenIjEEEEEE10hipError_tPvRmT3_T4_T5_T6_T7_T9_mT8_P12ihipStream_tbDpT10_ENKUlT_T0_E_clISt17integral_constantIbLb1EES17_IbLb0EEEEDaS13_S14_EUlS13_E_NS1_11comp_targetILNS1_3genE10ELNS1_11target_archE1200ELNS1_3gpuE4ELNS1_3repE0EEENS1_30default_config_static_selectorELNS0_4arch9wavefront6targetE0EEEvT1_, .Lfunc_end650-_ZN7rocprim17ROCPRIM_400000_NS6detail17trampoline_kernelINS0_14default_configENS1_25partition_config_selectorILNS1_17partition_subalgoE6EjNS0_10empty_typeEbEEZZNS1_14partition_implILS5_6ELb0ES3_mN6thrust23THRUST_200600_302600_NS6detail15normal_iteratorINSA_10device_ptrIjEEEEPS6_SG_NS0_5tupleIJSF_S6_EEENSH_IJSG_SG_EEES6_PlJNSB_9not_fun_tI7is_evenIjEEEEEE10hipError_tPvRmT3_T4_T5_T6_T7_T9_mT8_P12ihipStream_tbDpT10_ENKUlT_T0_E_clISt17integral_constantIbLb1EES17_IbLb0EEEEDaS13_S14_EUlS13_E_NS1_11comp_targetILNS1_3genE10ELNS1_11target_archE1200ELNS1_3gpuE4ELNS1_3repE0EEENS1_30default_config_static_selectorELNS0_4arch9wavefront6targetE0EEEvT1_
                                        ; -- End function
	.set _ZN7rocprim17ROCPRIM_400000_NS6detail17trampoline_kernelINS0_14default_configENS1_25partition_config_selectorILNS1_17partition_subalgoE6EjNS0_10empty_typeEbEEZZNS1_14partition_implILS5_6ELb0ES3_mN6thrust23THRUST_200600_302600_NS6detail15normal_iteratorINSA_10device_ptrIjEEEEPS6_SG_NS0_5tupleIJSF_S6_EEENSH_IJSG_SG_EEES6_PlJNSB_9not_fun_tI7is_evenIjEEEEEE10hipError_tPvRmT3_T4_T5_T6_T7_T9_mT8_P12ihipStream_tbDpT10_ENKUlT_T0_E_clISt17integral_constantIbLb1EES17_IbLb0EEEEDaS13_S14_EUlS13_E_NS1_11comp_targetILNS1_3genE10ELNS1_11target_archE1200ELNS1_3gpuE4ELNS1_3repE0EEENS1_30default_config_static_selectorELNS0_4arch9wavefront6targetE0EEEvT1_.num_vgpr, 0
	.set _ZN7rocprim17ROCPRIM_400000_NS6detail17trampoline_kernelINS0_14default_configENS1_25partition_config_selectorILNS1_17partition_subalgoE6EjNS0_10empty_typeEbEEZZNS1_14partition_implILS5_6ELb0ES3_mN6thrust23THRUST_200600_302600_NS6detail15normal_iteratorINSA_10device_ptrIjEEEEPS6_SG_NS0_5tupleIJSF_S6_EEENSH_IJSG_SG_EEES6_PlJNSB_9not_fun_tI7is_evenIjEEEEEE10hipError_tPvRmT3_T4_T5_T6_T7_T9_mT8_P12ihipStream_tbDpT10_ENKUlT_T0_E_clISt17integral_constantIbLb1EES17_IbLb0EEEEDaS13_S14_EUlS13_E_NS1_11comp_targetILNS1_3genE10ELNS1_11target_archE1200ELNS1_3gpuE4ELNS1_3repE0EEENS1_30default_config_static_selectorELNS0_4arch9wavefront6targetE0EEEvT1_.num_agpr, 0
	.set _ZN7rocprim17ROCPRIM_400000_NS6detail17trampoline_kernelINS0_14default_configENS1_25partition_config_selectorILNS1_17partition_subalgoE6EjNS0_10empty_typeEbEEZZNS1_14partition_implILS5_6ELb0ES3_mN6thrust23THRUST_200600_302600_NS6detail15normal_iteratorINSA_10device_ptrIjEEEEPS6_SG_NS0_5tupleIJSF_S6_EEENSH_IJSG_SG_EEES6_PlJNSB_9not_fun_tI7is_evenIjEEEEEE10hipError_tPvRmT3_T4_T5_T6_T7_T9_mT8_P12ihipStream_tbDpT10_ENKUlT_T0_E_clISt17integral_constantIbLb1EES17_IbLb0EEEEDaS13_S14_EUlS13_E_NS1_11comp_targetILNS1_3genE10ELNS1_11target_archE1200ELNS1_3gpuE4ELNS1_3repE0EEENS1_30default_config_static_selectorELNS0_4arch9wavefront6targetE0EEEvT1_.numbered_sgpr, 0
	.set _ZN7rocprim17ROCPRIM_400000_NS6detail17trampoline_kernelINS0_14default_configENS1_25partition_config_selectorILNS1_17partition_subalgoE6EjNS0_10empty_typeEbEEZZNS1_14partition_implILS5_6ELb0ES3_mN6thrust23THRUST_200600_302600_NS6detail15normal_iteratorINSA_10device_ptrIjEEEEPS6_SG_NS0_5tupleIJSF_S6_EEENSH_IJSG_SG_EEES6_PlJNSB_9not_fun_tI7is_evenIjEEEEEE10hipError_tPvRmT3_T4_T5_T6_T7_T9_mT8_P12ihipStream_tbDpT10_ENKUlT_T0_E_clISt17integral_constantIbLb1EES17_IbLb0EEEEDaS13_S14_EUlS13_E_NS1_11comp_targetILNS1_3genE10ELNS1_11target_archE1200ELNS1_3gpuE4ELNS1_3repE0EEENS1_30default_config_static_selectorELNS0_4arch9wavefront6targetE0EEEvT1_.num_named_barrier, 0
	.set _ZN7rocprim17ROCPRIM_400000_NS6detail17trampoline_kernelINS0_14default_configENS1_25partition_config_selectorILNS1_17partition_subalgoE6EjNS0_10empty_typeEbEEZZNS1_14partition_implILS5_6ELb0ES3_mN6thrust23THRUST_200600_302600_NS6detail15normal_iteratorINSA_10device_ptrIjEEEEPS6_SG_NS0_5tupleIJSF_S6_EEENSH_IJSG_SG_EEES6_PlJNSB_9not_fun_tI7is_evenIjEEEEEE10hipError_tPvRmT3_T4_T5_T6_T7_T9_mT8_P12ihipStream_tbDpT10_ENKUlT_T0_E_clISt17integral_constantIbLb1EES17_IbLb0EEEEDaS13_S14_EUlS13_E_NS1_11comp_targetILNS1_3genE10ELNS1_11target_archE1200ELNS1_3gpuE4ELNS1_3repE0EEENS1_30default_config_static_selectorELNS0_4arch9wavefront6targetE0EEEvT1_.private_seg_size, 0
	.set _ZN7rocprim17ROCPRIM_400000_NS6detail17trampoline_kernelINS0_14default_configENS1_25partition_config_selectorILNS1_17partition_subalgoE6EjNS0_10empty_typeEbEEZZNS1_14partition_implILS5_6ELb0ES3_mN6thrust23THRUST_200600_302600_NS6detail15normal_iteratorINSA_10device_ptrIjEEEEPS6_SG_NS0_5tupleIJSF_S6_EEENSH_IJSG_SG_EEES6_PlJNSB_9not_fun_tI7is_evenIjEEEEEE10hipError_tPvRmT3_T4_T5_T6_T7_T9_mT8_P12ihipStream_tbDpT10_ENKUlT_T0_E_clISt17integral_constantIbLb1EES17_IbLb0EEEEDaS13_S14_EUlS13_E_NS1_11comp_targetILNS1_3genE10ELNS1_11target_archE1200ELNS1_3gpuE4ELNS1_3repE0EEENS1_30default_config_static_selectorELNS0_4arch9wavefront6targetE0EEEvT1_.uses_vcc, 0
	.set _ZN7rocprim17ROCPRIM_400000_NS6detail17trampoline_kernelINS0_14default_configENS1_25partition_config_selectorILNS1_17partition_subalgoE6EjNS0_10empty_typeEbEEZZNS1_14partition_implILS5_6ELb0ES3_mN6thrust23THRUST_200600_302600_NS6detail15normal_iteratorINSA_10device_ptrIjEEEEPS6_SG_NS0_5tupleIJSF_S6_EEENSH_IJSG_SG_EEES6_PlJNSB_9not_fun_tI7is_evenIjEEEEEE10hipError_tPvRmT3_T4_T5_T6_T7_T9_mT8_P12ihipStream_tbDpT10_ENKUlT_T0_E_clISt17integral_constantIbLb1EES17_IbLb0EEEEDaS13_S14_EUlS13_E_NS1_11comp_targetILNS1_3genE10ELNS1_11target_archE1200ELNS1_3gpuE4ELNS1_3repE0EEENS1_30default_config_static_selectorELNS0_4arch9wavefront6targetE0EEEvT1_.uses_flat_scratch, 0
	.set _ZN7rocprim17ROCPRIM_400000_NS6detail17trampoline_kernelINS0_14default_configENS1_25partition_config_selectorILNS1_17partition_subalgoE6EjNS0_10empty_typeEbEEZZNS1_14partition_implILS5_6ELb0ES3_mN6thrust23THRUST_200600_302600_NS6detail15normal_iteratorINSA_10device_ptrIjEEEEPS6_SG_NS0_5tupleIJSF_S6_EEENSH_IJSG_SG_EEES6_PlJNSB_9not_fun_tI7is_evenIjEEEEEE10hipError_tPvRmT3_T4_T5_T6_T7_T9_mT8_P12ihipStream_tbDpT10_ENKUlT_T0_E_clISt17integral_constantIbLb1EES17_IbLb0EEEEDaS13_S14_EUlS13_E_NS1_11comp_targetILNS1_3genE10ELNS1_11target_archE1200ELNS1_3gpuE4ELNS1_3repE0EEENS1_30default_config_static_selectorELNS0_4arch9wavefront6targetE0EEEvT1_.has_dyn_sized_stack, 0
	.set _ZN7rocprim17ROCPRIM_400000_NS6detail17trampoline_kernelINS0_14default_configENS1_25partition_config_selectorILNS1_17partition_subalgoE6EjNS0_10empty_typeEbEEZZNS1_14partition_implILS5_6ELb0ES3_mN6thrust23THRUST_200600_302600_NS6detail15normal_iteratorINSA_10device_ptrIjEEEEPS6_SG_NS0_5tupleIJSF_S6_EEENSH_IJSG_SG_EEES6_PlJNSB_9not_fun_tI7is_evenIjEEEEEE10hipError_tPvRmT3_T4_T5_T6_T7_T9_mT8_P12ihipStream_tbDpT10_ENKUlT_T0_E_clISt17integral_constantIbLb1EES17_IbLb0EEEEDaS13_S14_EUlS13_E_NS1_11comp_targetILNS1_3genE10ELNS1_11target_archE1200ELNS1_3gpuE4ELNS1_3repE0EEENS1_30default_config_static_selectorELNS0_4arch9wavefront6targetE0EEEvT1_.has_recursion, 0
	.set _ZN7rocprim17ROCPRIM_400000_NS6detail17trampoline_kernelINS0_14default_configENS1_25partition_config_selectorILNS1_17partition_subalgoE6EjNS0_10empty_typeEbEEZZNS1_14partition_implILS5_6ELb0ES3_mN6thrust23THRUST_200600_302600_NS6detail15normal_iteratorINSA_10device_ptrIjEEEEPS6_SG_NS0_5tupleIJSF_S6_EEENSH_IJSG_SG_EEES6_PlJNSB_9not_fun_tI7is_evenIjEEEEEE10hipError_tPvRmT3_T4_T5_T6_T7_T9_mT8_P12ihipStream_tbDpT10_ENKUlT_T0_E_clISt17integral_constantIbLb1EES17_IbLb0EEEEDaS13_S14_EUlS13_E_NS1_11comp_targetILNS1_3genE10ELNS1_11target_archE1200ELNS1_3gpuE4ELNS1_3repE0EEENS1_30default_config_static_selectorELNS0_4arch9wavefront6targetE0EEEvT1_.has_indirect_call, 0
	.section	.AMDGPU.csdata,"",@progbits
; Kernel info:
; codeLenInByte = 4
; TotalNumSgprs: 0
; NumVgprs: 0
; ScratchSize: 0
; MemoryBound: 0
; FloatMode: 240
; IeeeMode: 1
; LDSByteSize: 0 bytes/workgroup (compile time only)
; SGPRBlocks: 0
; VGPRBlocks: 0
; NumSGPRsForWavesPerEU: 1
; NumVGPRsForWavesPerEU: 1
; Occupancy: 16
; WaveLimiterHint : 0
; COMPUTE_PGM_RSRC2:SCRATCH_EN: 0
; COMPUTE_PGM_RSRC2:USER_SGPR: 2
; COMPUTE_PGM_RSRC2:TRAP_HANDLER: 0
; COMPUTE_PGM_RSRC2:TGID_X_EN: 1
; COMPUTE_PGM_RSRC2:TGID_Y_EN: 0
; COMPUTE_PGM_RSRC2:TGID_Z_EN: 0
; COMPUTE_PGM_RSRC2:TIDIG_COMP_CNT: 0
	.section	.text._ZN7rocprim17ROCPRIM_400000_NS6detail17trampoline_kernelINS0_14default_configENS1_25partition_config_selectorILNS1_17partition_subalgoE6EjNS0_10empty_typeEbEEZZNS1_14partition_implILS5_6ELb0ES3_mN6thrust23THRUST_200600_302600_NS6detail15normal_iteratorINSA_10device_ptrIjEEEEPS6_SG_NS0_5tupleIJSF_S6_EEENSH_IJSG_SG_EEES6_PlJNSB_9not_fun_tI7is_evenIjEEEEEE10hipError_tPvRmT3_T4_T5_T6_T7_T9_mT8_P12ihipStream_tbDpT10_ENKUlT_T0_E_clISt17integral_constantIbLb1EES17_IbLb0EEEEDaS13_S14_EUlS13_E_NS1_11comp_targetILNS1_3genE9ELNS1_11target_archE1100ELNS1_3gpuE3ELNS1_3repE0EEENS1_30default_config_static_selectorELNS0_4arch9wavefront6targetE0EEEvT1_,"axG",@progbits,_ZN7rocprim17ROCPRIM_400000_NS6detail17trampoline_kernelINS0_14default_configENS1_25partition_config_selectorILNS1_17partition_subalgoE6EjNS0_10empty_typeEbEEZZNS1_14partition_implILS5_6ELb0ES3_mN6thrust23THRUST_200600_302600_NS6detail15normal_iteratorINSA_10device_ptrIjEEEEPS6_SG_NS0_5tupleIJSF_S6_EEENSH_IJSG_SG_EEES6_PlJNSB_9not_fun_tI7is_evenIjEEEEEE10hipError_tPvRmT3_T4_T5_T6_T7_T9_mT8_P12ihipStream_tbDpT10_ENKUlT_T0_E_clISt17integral_constantIbLb1EES17_IbLb0EEEEDaS13_S14_EUlS13_E_NS1_11comp_targetILNS1_3genE9ELNS1_11target_archE1100ELNS1_3gpuE3ELNS1_3repE0EEENS1_30default_config_static_selectorELNS0_4arch9wavefront6targetE0EEEvT1_,comdat
	.protected	_ZN7rocprim17ROCPRIM_400000_NS6detail17trampoline_kernelINS0_14default_configENS1_25partition_config_selectorILNS1_17partition_subalgoE6EjNS0_10empty_typeEbEEZZNS1_14partition_implILS5_6ELb0ES3_mN6thrust23THRUST_200600_302600_NS6detail15normal_iteratorINSA_10device_ptrIjEEEEPS6_SG_NS0_5tupleIJSF_S6_EEENSH_IJSG_SG_EEES6_PlJNSB_9not_fun_tI7is_evenIjEEEEEE10hipError_tPvRmT3_T4_T5_T6_T7_T9_mT8_P12ihipStream_tbDpT10_ENKUlT_T0_E_clISt17integral_constantIbLb1EES17_IbLb0EEEEDaS13_S14_EUlS13_E_NS1_11comp_targetILNS1_3genE9ELNS1_11target_archE1100ELNS1_3gpuE3ELNS1_3repE0EEENS1_30default_config_static_selectorELNS0_4arch9wavefront6targetE0EEEvT1_ ; -- Begin function _ZN7rocprim17ROCPRIM_400000_NS6detail17trampoline_kernelINS0_14default_configENS1_25partition_config_selectorILNS1_17partition_subalgoE6EjNS0_10empty_typeEbEEZZNS1_14partition_implILS5_6ELb0ES3_mN6thrust23THRUST_200600_302600_NS6detail15normal_iteratorINSA_10device_ptrIjEEEEPS6_SG_NS0_5tupleIJSF_S6_EEENSH_IJSG_SG_EEES6_PlJNSB_9not_fun_tI7is_evenIjEEEEEE10hipError_tPvRmT3_T4_T5_T6_T7_T9_mT8_P12ihipStream_tbDpT10_ENKUlT_T0_E_clISt17integral_constantIbLb1EES17_IbLb0EEEEDaS13_S14_EUlS13_E_NS1_11comp_targetILNS1_3genE9ELNS1_11target_archE1100ELNS1_3gpuE3ELNS1_3repE0EEENS1_30default_config_static_selectorELNS0_4arch9wavefront6targetE0EEEvT1_
	.globl	_ZN7rocprim17ROCPRIM_400000_NS6detail17trampoline_kernelINS0_14default_configENS1_25partition_config_selectorILNS1_17partition_subalgoE6EjNS0_10empty_typeEbEEZZNS1_14partition_implILS5_6ELb0ES3_mN6thrust23THRUST_200600_302600_NS6detail15normal_iteratorINSA_10device_ptrIjEEEEPS6_SG_NS0_5tupleIJSF_S6_EEENSH_IJSG_SG_EEES6_PlJNSB_9not_fun_tI7is_evenIjEEEEEE10hipError_tPvRmT3_T4_T5_T6_T7_T9_mT8_P12ihipStream_tbDpT10_ENKUlT_T0_E_clISt17integral_constantIbLb1EES17_IbLb0EEEEDaS13_S14_EUlS13_E_NS1_11comp_targetILNS1_3genE9ELNS1_11target_archE1100ELNS1_3gpuE3ELNS1_3repE0EEENS1_30default_config_static_selectorELNS0_4arch9wavefront6targetE0EEEvT1_
	.p2align	8
	.type	_ZN7rocprim17ROCPRIM_400000_NS6detail17trampoline_kernelINS0_14default_configENS1_25partition_config_selectorILNS1_17partition_subalgoE6EjNS0_10empty_typeEbEEZZNS1_14partition_implILS5_6ELb0ES3_mN6thrust23THRUST_200600_302600_NS6detail15normal_iteratorINSA_10device_ptrIjEEEEPS6_SG_NS0_5tupleIJSF_S6_EEENSH_IJSG_SG_EEES6_PlJNSB_9not_fun_tI7is_evenIjEEEEEE10hipError_tPvRmT3_T4_T5_T6_T7_T9_mT8_P12ihipStream_tbDpT10_ENKUlT_T0_E_clISt17integral_constantIbLb1EES17_IbLb0EEEEDaS13_S14_EUlS13_E_NS1_11comp_targetILNS1_3genE9ELNS1_11target_archE1100ELNS1_3gpuE3ELNS1_3repE0EEENS1_30default_config_static_selectorELNS0_4arch9wavefront6targetE0EEEvT1_,@function
_ZN7rocprim17ROCPRIM_400000_NS6detail17trampoline_kernelINS0_14default_configENS1_25partition_config_selectorILNS1_17partition_subalgoE6EjNS0_10empty_typeEbEEZZNS1_14partition_implILS5_6ELb0ES3_mN6thrust23THRUST_200600_302600_NS6detail15normal_iteratorINSA_10device_ptrIjEEEEPS6_SG_NS0_5tupleIJSF_S6_EEENSH_IJSG_SG_EEES6_PlJNSB_9not_fun_tI7is_evenIjEEEEEE10hipError_tPvRmT3_T4_T5_T6_T7_T9_mT8_P12ihipStream_tbDpT10_ENKUlT_T0_E_clISt17integral_constantIbLb1EES17_IbLb0EEEEDaS13_S14_EUlS13_E_NS1_11comp_targetILNS1_3genE9ELNS1_11target_archE1100ELNS1_3gpuE3ELNS1_3repE0EEENS1_30default_config_static_selectorELNS0_4arch9wavefront6targetE0EEEvT1_: ; @_ZN7rocprim17ROCPRIM_400000_NS6detail17trampoline_kernelINS0_14default_configENS1_25partition_config_selectorILNS1_17partition_subalgoE6EjNS0_10empty_typeEbEEZZNS1_14partition_implILS5_6ELb0ES3_mN6thrust23THRUST_200600_302600_NS6detail15normal_iteratorINSA_10device_ptrIjEEEEPS6_SG_NS0_5tupleIJSF_S6_EEENSH_IJSG_SG_EEES6_PlJNSB_9not_fun_tI7is_evenIjEEEEEE10hipError_tPvRmT3_T4_T5_T6_T7_T9_mT8_P12ihipStream_tbDpT10_ENKUlT_T0_E_clISt17integral_constantIbLb1EES17_IbLb0EEEEDaS13_S14_EUlS13_E_NS1_11comp_targetILNS1_3genE9ELNS1_11target_archE1100ELNS1_3gpuE3ELNS1_3repE0EEENS1_30default_config_static_selectorELNS0_4arch9wavefront6targetE0EEEvT1_
; %bb.0:
	.section	.rodata,"a",@progbits
	.p2align	6, 0x0
	.amdhsa_kernel _ZN7rocprim17ROCPRIM_400000_NS6detail17trampoline_kernelINS0_14default_configENS1_25partition_config_selectorILNS1_17partition_subalgoE6EjNS0_10empty_typeEbEEZZNS1_14partition_implILS5_6ELb0ES3_mN6thrust23THRUST_200600_302600_NS6detail15normal_iteratorINSA_10device_ptrIjEEEEPS6_SG_NS0_5tupleIJSF_S6_EEENSH_IJSG_SG_EEES6_PlJNSB_9not_fun_tI7is_evenIjEEEEEE10hipError_tPvRmT3_T4_T5_T6_T7_T9_mT8_P12ihipStream_tbDpT10_ENKUlT_T0_E_clISt17integral_constantIbLb1EES17_IbLb0EEEEDaS13_S14_EUlS13_E_NS1_11comp_targetILNS1_3genE9ELNS1_11target_archE1100ELNS1_3gpuE3ELNS1_3repE0EEENS1_30default_config_static_selectorELNS0_4arch9wavefront6targetE0EEEvT1_
		.amdhsa_group_segment_fixed_size 0
		.amdhsa_private_segment_fixed_size 0
		.amdhsa_kernarg_size 112
		.amdhsa_user_sgpr_count 2
		.amdhsa_user_sgpr_dispatch_ptr 0
		.amdhsa_user_sgpr_queue_ptr 0
		.amdhsa_user_sgpr_kernarg_segment_ptr 1
		.amdhsa_user_sgpr_dispatch_id 0
		.amdhsa_user_sgpr_private_segment_size 0
		.amdhsa_wavefront_size32 1
		.amdhsa_uses_dynamic_stack 0
		.amdhsa_enable_private_segment 0
		.amdhsa_system_sgpr_workgroup_id_x 1
		.amdhsa_system_sgpr_workgroup_id_y 0
		.amdhsa_system_sgpr_workgroup_id_z 0
		.amdhsa_system_sgpr_workgroup_info 0
		.amdhsa_system_vgpr_workitem_id 0
		.amdhsa_next_free_vgpr 1
		.amdhsa_next_free_sgpr 1
		.amdhsa_reserve_vcc 0
		.amdhsa_float_round_mode_32 0
		.amdhsa_float_round_mode_16_64 0
		.amdhsa_float_denorm_mode_32 3
		.amdhsa_float_denorm_mode_16_64 3
		.amdhsa_fp16_overflow 0
		.amdhsa_workgroup_processor_mode 1
		.amdhsa_memory_ordered 1
		.amdhsa_forward_progress 1
		.amdhsa_inst_pref_size 0
		.amdhsa_round_robin_scheduling 0
		.amdhsa_exception_fp_ieee_invalid_op 0
		.amdhsa_exception_fp_denorm_src 0
		.amdhsa_exception_fp_ieee_div_zero 0
		.amdhsa_exception_fp_ieee_overflow 0
		.amdhsa_exception_fp_ieee_underflow 0
		.amdhsa_exception_fp_ieee_inexact 0
		.amdhsa_exception_int_div_zero 0
	.end_amdhsa_kernel
	.section	.text._ZN7rocprim17ROCPRIM_400000_NS6detail17trampoline_kernelINS0_14default_configENS1_25partition_config_selectorILNS1_17partition_subalgoE6EjNS0_10empty_typeEbEEZZNS1_14partition_implILS5_6ELb0ES3_mN6thrust23THRUST_200600_302600_NS6detail15normal_iteratorINSA_10device_ptrIjEEEEPS6_SG_NS0_5tupleIJSF_S6_EEENSH_IJSG_SG_EEES6_PlJNSB_9not_fun_tI7is_evenIjEEEEEE10hipError_tPvRmT3_T4_T5_T6_T7_T9_mT8_P12ihipStream_tbDpT10_ENKUlT_T0_E_clISt17integral_constantIbLb1EES17_IbLb0EEEEDaS13_S14_EUlS13_E_NS1_11comp_targetILNS1_3genE9ELNS1_11target_archE1100ELNS1_3gpuE3ELNS1_3repE0EEENS1_30default_config_static_selectorELNS0_4arch9wavefront6targetE0EEEvT1_,"axG",@progbits,_ZN7rocprim17ROCPRIM_400000_NS6detail17trampoline_kernelINS0_14default_configENS1_25partition_config_selectorILNS1_17partition_subalgoE6EjNS0_10empty_typeEbEEZZNS1_14partition_implILS5_6ELb0ES3_mN6thrust23THRUST_200600_302600_NS6detail15normal_iteratorINSA_10device_ptrIjEEEEPS6_SG_NS0_5tupleIJSF_S6_EEENSH_IJSG_SG_EEES6_PlJNSB_9not_fun_tI7is_evenIjEEEEEE10hipError_tPvRmT3_T4_T5_T6_T7_T9_mT8_P12ihipStream_tbDpT10_ENKUlT_T0_E_clISt17integral_constantIbLb1EES17_IbLb0EEEEDaS13_S14_EUlS13_E_NS1_11comp_targetILNS1_3genE9ELNS1_11target_archE1100ELNS1_3gpuE3ELNS1_3repE0EEENS1_30default_config_static_selectorELNS0_4arch9wavefront6targetE0EEEvT1_,comdat
.Lfunc_end651:
	.size	_ZN7rocprim17ROCPRIM_400000_NS6detail17trampoline_kernelINS0_14default_configENS1_25partition_config_selectorILNS1_17partition_subalgoE6EjNS0_10empty_typeEbEEZZNS1_14partition_implILS5_6ELb0ES3_mN6thrust23THRUST_200600_302600_NS6detail15normal_iteratorINSA_10device_ptrIjEEEEPS6_SG_NS0_5tupleIJSF_S6_EEENSH_IJSG_SG_EEES6_PlJNSB_9not_fun_tI7is_evenIjEEEEEE10hipError_tPvRmT3_T4_T5_T6_T7_T9_mT8_P12ihipStream_tbDpT10_ENKUlT_T0_E_clISt17integral_constantIbLb1EES17_IbLb0EEEEDaS13_S14_EUlS13_E_NS1_11comp_targetILNS1_3genE9ELNS1_11target_archE1100ELNS1_3gpuE3ELNS1_3repE0EEENS1_30default_config_static_selectorELNS0_4arch9wavefront6targetE0EEEvT1_, .Lfunc_end651-_ZN7rocprim17ROCPRIM_400000_NS6detail17trampoline_kernelINS0_14default_configENS1_25partition_config_selectorILNS1_17partition_subalgoE6EjNS0_10empty_typeEbEEZZNS1_14partition_implILS5_6ELb0ES3_mN6thrust23THRUST_200600_302600_NS6detail15normal_iteratorINSA_10device_ptrIjEEEEPS6_SG_NS0_5tupleIJSF_S6_EEENSH_IJSG_SG_EEES6_PlJNSB_9not_fun_tI7is_evenIjEEEEEE10hipError_tPvRmT3_T4_T5_T6_T7_T9_mT8_P12ihipStream_tbDpT10_ENKUlT_T0_E_clISt17integral_constantIbLb1EES17_IbLb0EEEEDaS13_S14_EUlS13_E_NS1_11comp_targetILNS1_3genE9ELNS1_11target_archE1100ELNS1_3gpuE3ELNS1_3repE0EEENS1_30default_config_static_selectorELNS0_4arch9wavefront6targetE0EEEvT1_
                                        ; -- End function
	.set _ZN7rocprim17ROCPRIM_400000_NS6detail17trampoline_kernelINS0_14default_configENS1_25partition_config_selectorILNS1_17partition_subalgoE6EjNS0_10empty_typeEbEEZZNS1_14partition_implILS5_6ELb0ES3_mN6thrust23THRUST_200600_302600_NS6detail15normal_iteratorINSA_10device_ptrIjEEEEPS6_SG_NS0_5tupleIJSF_S6_EEENSH_IJSG_SG_EEES6_PlJNSB_9not_fun_tI7is_evenIjEEEEEE10hipError_tPvRmT3_T4_T5_T6_T7_T9_mT8_P12ihipStream_tbDpT10_ENKUlT_T0_E_clISt17integral_constantIbLb1EES17_IbLb0EEEEDaS13_S14_EUlS13_E_NS1_11comp_targetILNS1_3genE9ELNS1_11target_archE1100ELNS1_3gpuE3ELNS1_3repE0EEENS1_30default_config_static_selectorELNS0_4arch9wavefront6targetE0EEEvT1_.num_vgpr, 0
	.set _ZN7rocprim17ROCPRIM_400000_NS6detail17trampoline_kernelINS0_14default_configENS1_25partition_config_selectorILNS1_17partition_subalgoE6EjNS0_10empty_typeEbEEZZNS1_14partition_implILS5_6ELb0ES3_mN6thrust23THRUST_200600_302600_NS6detail15normal_iteratorINSA_10device_ptrIjEEEEPS6_SG_NS0_5tupleIJSF_S6_EEENSH_IJSG_SG_EEES6_PlJNSB_9not_fun_tI7is_evenIjEEEEEE10hipError_tPvRmT3_T4_T5_T6_T7_T9_mT8_P12ihipStream_tbDpT10_ENKUlT_T0_E_clISt17integral_constantIbLb1EES17_IbLb0EEEEDaS13_S14_EUlS13_E_NS1_11comp_targetILNS1_3genE9ELNS1_11target_archE1100ELNS1_3gpuE3ELNS1_3repE0EEENS1_30default_config_static_selectorELNS0_4arch9wavefront6targetE0EEEvT1_.num_agpr, 0
	.set _ZN7rocprim17ROCPRIM_400000_NS6detail17trampoline_kernelINS0_14default_configENS1_25partition_config_selectorILNS1_17partition_subalgoE6EjNS0_10empty_typeEbEEZZNS1_14partition_implILS5_6ELb0ES3_mN6thrust23THRUST_200600_302600_NS6detail15normal_iteratorINSA_10device_ptrIjEEEEPS6_SG_NS0_5tupleIJSF_S6_EEENSH_IJSG_SG_EEES6_PlJNSB_9not_fun_tI7is_evenIjEEEEEE10hipError_tPvRmT3_T4_T5_T6_T7_T9_mT8_P12ihipStream_tbDpT10_ENKUlT_T0_E_clISt17integral_constantIbLb1EES17_IbLb0EEEEDaS13_S14_EUlS13_E_NS1_11comp_targetILNS1_3genE9ELNS1_11target_archE1100ELNS1_3gpuE3ELNS1_3repE0EEENS1_30default_config_static_selectorELNS0_4arch9wavefront6targetE0EEEvT1_.numbered_sgpr, 0
	.set _ZN7rocprim17ROCPRIM_400000_NS6detail17trampoline_kernelINS0_14default_configENS1_25partition_config_selectorILNS1_17partition_subalgoE6EjNS0_10empty_typeEbEEZZNS1_14partition_implILS5_6ELb0ES3_mN6thrust23THRUST_200600_302600_NS6detail15normal_iteratorINSA_10device_ptrIjEEEEPS6_SG_NS0_5tupleIJSF_S6_EEENSH_IJSG_SG_EEES6_PlJNSB_9not_fun_tI7is_evenIjEEEEEE10hipError_tPvRmT3_T4_T5_T6_T7_T9_mT8_P12ihipStream_tbDpT10_ENKUlT_T0_E_clISt17integral_constantIbLb1EES17_IbLb0EEEEDaS13_S14_EUlS13_E_NS1_11comp_targetILNS1_3genE9ELNS1_11target_archE1100ELNS1_3gpuE3ELNS1_3repE0EEENS1_30default_config_static_selectorELNS0_4arch9wavefront6targetE0EEEvT1_.num_named_barrier, 0
	.set _ZN7rocprim17ROCPRIM_400000_NS6detail17trampoline_kernelINS0_14default_configENS1_25partition_config_selectorILNS1_17partition_subalgoE6EjNS0_10empty_typeEbEEZZNS1_14partition_implILS5_6ELb0ES3_mN6thrust23THRUST_200600_302600_NS6detail15normal_iteratorINSA_10device_ptrIjEEEEPS6_SG_NS0_5tupleIJSF_S6_EEENSH_IJSG_SG_EEES6_PlJNSB_9not_fun_tI7is_evenIjEEEEEE10hipError_tPvRmT3_T4_T5_T6_T7_T9_mT8_P12ihipStream_tbDpT10_ENKUlT_T0_E_clISt17integral_constantIbLb1EES17_IbLb0EEEEDaS13_S14_EUlS13_E_NS1_11comp_targetILNS1_3genE9ELNS1_11target_archE1100ELNS1_3gpuE3ELNS1_3repE0EEENS1_30default_config_static_selectorELNS0_4arch9wavefront6targetE0EEEvT1_.private_seg_size, 0
	.set _ZN7rocprim17ROCPRIM_400000_NS6detail17trampoline_kernelINS0_14default_configENS1_25partition_config_selectorILNS1_17partition_subalgoE6EjNS0_10empty_typeEbEEZZNS1_14partition_implILS5_6ELb0ES3_mN6thrust23THRUST_200600_302600_NS6detail15normal_iteratorINSA_10device_ptrIjEEEEPS6_SG_NS0_5tupleIJSF_S6_EEENSH_IJSG_SG_EEES6_PlJNSB_9not_fun_tI7is_evenIjEEEEEE10hipError_tPvRmT3_T4_T5_T6_T7_T9_mT8_P12ihipStream_tbDpT10_ENKUlT_T0_E_clISt17integral_constantIbLb1EES17_IbLb0EEEEDaS13_S14_EUlS13_E_NS1_11comp_targetILNS1_3genE9ELNS1_11target_archE1100ELNS1_3gpuE3ELNS1_3repE0EEENS1_30default_config_static_selectorELNS0_4arch9wavefront6targetE0EEEvT1_.uses_vcc, 0
	.set _ZN7rocprim17ROCPRIM_400000_NS6detail17trampoline_kernelINS0_14default_configENS1_25partition_config_selectorILNS1_17partition_subalgoE6EjNS0_10empty_typeEbEEZZNS1_14partition_implILS5_6ELb0ES3_mN6thrust23THRUST_200600_302600_NS6detail15normal_iteratorINSA_10device_ptrIjEEEEPS6_SG_NS0_5tupleIJSF_S6_EEENSH_IJSG_SG_EEES6_PlJNSB_9not_fun_tI7is_evenIjEEEEEE10hipError_tPvRmT3_T4_T5_T6_T7_T9_mT8_P12ihipStream_tbDpT10_ENKUlT_T0_E_clISt17integral_constantIbLb1EES17_IbLb0EEEEDaS13_S14_EUlS13_E_NS1_11comp_targetILNS1_3genE9ELNS1_11target_archE1100ELNS1_3gpuE3ELNS1_3repE0EEENS1_30default_config_static_selectorELNS0_4arch9wavefront6targetE0EEEvT1_.uses_flat_scratch, 0
	.set _ZN7rocprim17ROCPRIM_400000_NS6detail17trampoline_kernelINS0_14default_configENS1_25partition_config_selectorILNS1_17partition_subalgoE6EjNS0_10empty_typeEbEEZZNS1_14partition_implILS5_6ELb0ES3_mN6thrust23THRUST_200600_302600_NS6detail15normal_iteratorINSA_10device_ptrIjEEEEPS6_SG_NS0_5tupleIJSF_S6_EEENSH_IJSG_SG_EEES6_PlJNSB_9not_fun_tI7is_evenIjEEEEEE10hipError_tPvRmT3_T4_T5_T6_T7_T9_mT8_P12ihipStream_tbDpT10_ENKUlT_T0_E_clISt17integral_constantIbLb1EES17_IbLb0EEEEDaS13_S14_EUlS13_E_NS1_11comp_targetILNS1_3genE9ELNS1_11target_archE1100ELNS1_3gpuE3ELNS1_3repE0EEENS1_30default_config_static_selectorELNS0_4arch9wavefront6targetE0EEEvT1_.has_dyn_sized_stack, 0
	.set _ZN7rocprim17ROCPRIM_400000_NS6detail17trampoline_kernelINS0_14default_configENS1_25partition_config_selectorILNS1_17partition_subalgoE6EjNS0_10empty_typeEbEEZZNS1_14partition_implILS5_6ELb0ES3_mN6thrust23THRUST_200600_302600_NS6detail15normal_iteratorINSA_10device_ptrIjEEEEPS6_SG_NS0_5tupleIJSF_S6_EEENSH_IJSG_SG_EEES6_PlJNSB_9not_fun_tI7is_evenIjEEEEEE10hipError_tPvRmT3_T4_T5_T6_T7_T9_mT8_P12ihipStream_tbDpT10_ENKUlT_T0_E_clISt17integral_constantIbLb1EES17_IbLb0EEEEDaS13_S14_EUlS13_E_NS1_11comp_targetILNS1_3genE9ELNS1_11target_archE1100ELNS1_3gpuE3ELNS1_3repE0EEENS1_30default_config_static_selectorELNS0_4arch9wavefront6targetE0EEEvT1_.has_recursion, 0
	.set _ZN7rocprim17ROCPRIM_400000_NS6detail17trampoline_kernelINS0_14default_configENS1_25partition_config_selectorILNS1_17partition_subalgoE6EjNS0_10empty_typeEbEEZZNS1_14partition_implILS5_6ELb0ES3_mN6thrust23THRUST_200600_302600_NS6detail15normal_iteratorINSA_10device_ptrIjEEEEPS6_SG_NS0_5tupleIJSF_S6_EEENSH_IJSG_SG_EEES6_PlJNSB_9not_fun_tI7is_evenIjEEEEEE10hipError_tPvRmT3_T4_T5_T6_T7_T9_mT8_P12ihipStream_tbDpT10_ENKUlT_T0_E_clISt17integral_constantIbLb1EES17_IbLb0EEEEDaS13_S14_EUlS13_E_NS1_11comp_targetILNS1_3genE9ELNS1_11target_archE1100ELNS1_3gpuE3ELNS1_3repE0EEENS1_30default_config_static_selectorELNS0_4arch9wavefront6targetE0EEEvT1_.has_indirect_call, 0
	.section	.AMDGPU.csdata,"",@progbits
; Kernel info:
; codeLenInByte = 0
; TotalNumSgprs: 0
; NumVgprs: 0
; ScratchSize: 0
; MemoryBound: 0
; FloatMode: 240
; IeeeMode: 1
; LDSByteSize: 0 bytes/workgroup (compile time only)
; SGPRBlocks: 0
; VGPRBlocks: 0
; NumSGPRsForWavesPerEU: 1
; NumVGPRsForWavesPerEU: 1
; Occupancy: 16
; WaveLimiterHint : 0
; COMPUTE_PGM_RSRC2:SCRATCH_EN: 0
; COMPUTE_PGM_RSRC2:USER_SGPR: 2
; COMPUTE_PGM_RSRC2:TRAP_HANDLER: 0
; COMPUTE_PGM_RSRC2:TGID_X_EN: 1
; COMPUTE_PGM_RSRC2:TGID_Y_EN: 0
; COMPUTE_PGM_RSRC2:TGID_Z_EN: 0
; COMPUTE_PGM_RSRC2:TIDIG_COMP_CNT: 0
	.section	.text._ZN7rocprim17ROCPRIM_400000_NS6detail17trampoline_kernelINS0_14default_configENS1_25partition_config_selectorILNS1_17partition_subalgoE6EjNS0_10empty_typeEbEEZZNS1_14partition_implILS5_6ELb0ES3_mN6thrust23THRUST_200600_302600_NS6detail15normal_iteratorINSA_10device_ptrIjEEEEPS6_SG_NS0_5tupleIJSF_S6_EEENSH_IJSG_SG_EEES6_PlJNSB_9not_fun_tI7is_evenIjEEEEEE10hipError_tPvRmT3_T4_T5_T6_T7_T9_mT8_P12ihipStream_tbDpT10_ENKUlT_T0_E_clISt17integral_constantIbLb1EES17_IbLb0EEEEDaS13_S14_EUlS13_E_NS1_11comp_targetILNS1_3genE8ELNS1_11target_archE1030ELNS1_3gpuE2ELNS1_3repE0EEENS1_30default_config_static_selectorELNS0_4arch9wavefront6targetE0EEEvT1_,"axG",@progbits,_ZN7rocprim17ROCPRIM_400000_NS6detail17trampoline_kernelINS0_14default_configENS1_25partition_config_selectorILNS1_17partition_subalgoE6EjNS0_10empty_typeEbEEZZNS1_14partition_implILS5_6ELb0ES3_mN6thrust23THRUST_200600_302600_NS6detail15normal_iteratorINSA_10device_ptrIjEEEEPS6_SG_NS0_5tupleIJSF_S6_EEENSH_IJSG_SG_EEES6_PlJNSB_9not_fun_tI7is_evenIjEEEEEE10hipError_tPvRmT3_T4_T5_T6_T7_T9_mT8_P12ihipStream_tbDpT10_ENKUlT_T0_E_clISt17integral_constantIbLb1EES17_IbLb0EEEEDaS13_S14_EUlS13_E_NS1_11comp_targetILNS1_3genE8ELNS1_11target_archE1030ELNS1_3gpuE2ELNS1_3repE0EEENS1_30default_config_static_selectorELNS0_4arch9wavefront6targetE0EEEvT1_,comdat
	.protected	_ZN7rocprim17ROCPRIM_400000_NS6detail17trampoline_kernelINS0_14default_configENS1_25partition_config_selectorILNS1_17partition_subalgoE6EjNS0_10empty_typeEbEEZZNS1_14partition_implILS5_6ELb0ES3_mN6thrust23THRUST_200600_302600_NS6detail15normal_iteratorINSA_10device_ptrIjEEEEPS6_SG_NS0_5tupleIJSF_S6_EEENSH_IJSG_SG_EEES6_PlJNSB_9not_fun_tI7is_evenIjEEEEEE10hipError_tPvRmT3_T4_T5_T6_T7_T9_mT8_P12ihipStream_tbDpT10_ENKUlT_T0_E_clISt17integral_constantIbLb1EES17_IbLb0EEEEDaS13_S14_EUlS13_E_NS1_11comp_targetILNS1_3genE8ELNS1_11target_archE1030ELNS1_3gpuE2ELNS1_3repE0EEENS1_30default_config_static_selectorELNS0_4arch9wavefront6targetE0EEEvT1_ ; -- Begin function _ZN7rocprim17ROCPRIM_400000_NS6detail17trampoline_kernelINS0_14default_configENS1_25partition_config_selectorILNS1_17partition_subalgoE6EjNS0_10empty_typeEbEEZZNS1_14partition_implILS5_6ELb0ES3_mN6thrust23THRUST_200600_302600_NS6detail15normal_iteratorINSA_10device_ptrIjEEEEPS6_SG_NS0_5tupleIJSF_S6_EEENSH_IJSG_SG_EEES6_PlJNSB_9not_fun_tI7is_evenIjEEEEEE10hipError_tPvRmT3_T4_T5_T6_T7_T9_mT8_P12ihipStream_tbDpT10_ENKUlT_T0_E_clISt17integral_constantIbLb1EES17_IbLb0EEEEDaS13_S14_EUlS13_E_NS1_11comp_targetILNS1_3genE8ELNS1_11target_archE1030ELNS1_3gpuE2ELNS1_3repE0EEENS1_30default_config_static_selectorELNS0_4arch9wavefront6targetE0EEEvT1_
	.globl	_ZN7rocprim17ROCPRIM_400000_NS6detail17trampoline_kernelINS0_14default_configENS1_25partition_config_selectorILNS1_17partition_subalgoE6EjNS0_10empty_typeEbEEZZNS1_14partition_implILS5_6ELb0ES3_mN6thrust23THRUST_200600_302600_NS6detail15normal_iteratorINSA_10device_ptrIjEEEEPS6_SG_NS0_5tupleIJSF_S6_EEENSH_IJSG_SG_EEES6_PlJNSB_9not_fun_tI7is_evenIjEEEEEE10hipError_tPvRmT3_T4_T5_T6_T7_T9_mT8_P12ihipStream_tbDpT10_ENKUlT_T0_E_clISt17integral_constantIbLb1EES17_IbLb0EEEEDaS13_S14_EUlS13_E_NS1_11comp_targetILNS1_3genE8ELNS1_11target_archE1030ELNS1_3gpuE2ELNS1_3repE0EEENS1_30default_config_static_selectorELNS0_4arch9wavefront6targetE0EEEvT1_
	.p2align	8
	.type	_ZN7rocprim17ROCPRIM_400000_NS6detail17trampoline_kernelINS0_14default_configENS1_25partition_config_selectorILNS1_17partition_subalgoE6EjNS0_10empty_typeEbEEZZNS1_14partition_implILS5_6ELb0ES3_mN6thrust23THRUST_200600_302600_NS6detail15normal_iteratorINSA_10device_ptrIjEEEEPS6_SG_NS0_5tupleIJSF_S6_EEENSH_IJSG_SG_EEES6_PlJNSB_9not_fun_tI7is_evenIjEEEEEE10hipError_tPvRmT3_T4_T5_T6_T7_T9_mT8_P12ihipStream_tbDpT10_ENKUlT_T0_E_clISt17integral_constantIbLb1EES17_IbLb0EEEEDaS13_S14_EUlS13_E_NS1_11comp_targetILNS1_3genE8ELNS1_11target_archE1030ELNS1_3gpuE2ELNS1_3repE0EEENS1_30default_config_static_selectorELNS0_4arch9wavefront6targetE0EEEvT1_,@function
_ZN7rocprim17ROCPRIM_400000_NS6detail17trampoline_kernelINS0_14default_configENS1_25partition_config_selectorILNS1_17partition_subalgoE6EjNS0_10empty_typeEbEEZZNS1_14partition_implILS5_6ELb0ES3_mN6thrust23THRUST_200600_302600_NS6detail15normal_iteratorINSA_10device_ptrIjEEEEPS6_SG_NS0_5tupleIJSF_S6_EEENSH_IJSG_SG_EEES6_PlJNSB_9not_fun_tI7is_evenIjEEEEEE10hipError_tPvRmT3_T4_T5_T6_T7_T9_mT8_P12ihipStream_tbDpT10_ENKUlT_T0_E_clISt17integral_constantIbLb1EES17_IbLb0EEEEDaS13_S14_EUlS13_E_NS1_11comp_targetILNS1_3genE8ELNS1_11target_archE1030ELNS1_3gpuE2ELNS1_3repE0EEENS1_30default_config_static_selectorELNS0_4arch9wavefront6targetE0EEEvT1_: ; @_ZN7rocprim17ROCPRIM_400000_NS6detail17trampoline_kernelINS0_14default_configENS1_25partition_config_selectorILNS1_17partition_subalgoE6EjNS0_10empty_typeEbEEZZNS1_14partition_implILS5_6ELb0ES3_mN6thrust23THRUST_200600_302600_NS6detail15normal_iteratorINSA_10device_ptrIjEEEEPS6_SG_NS0_5tupleIJSF_S6_EEENSH_IJSG_SG_EEES6_PlJNSB_9not_fun_tI7is_evenIjEEEEEE10hipError_tPvRmT3_T4_T5_T6_T7_T9_mT8_P12ihipStream_tbDpT10_ENKUlT_T0_E_clISt17integral_constantIbLb1EES17_IbLb0EEEEDaS13_S14_EUlS13_E_NS1_11comp_targetILNS1_3genE8ELNS1_11target_archE1030ELNS1_3gpuE2ELNS1_3repE0EEENS1_30default_config_static_selectorELNS0_4arch9wavefront6targetE0EEEvT1_
; %bb.0:
	.section	.rodata,"a",@progbits
	.p2align	6, 0x0
	.amdhsa_kernel _ZN7rocprim17ROCPRIM_400000_NS6detail17trampoline_kernelINS0_14default_configENS1_25partition_config_selectorILNS1_17partition_subalgoE6EjNS0_10empty_typeEbEEZZNS1_14partition_implILS5_6ELb0ES3_mN6thrust23THRUST_200600_302600_NS6detail15normal_iteratorINSA_10device_ptrIjEEEEPS6_SG_NS0_5tupleIJSF_S6_EEENSH_IJSG_SG_EEES6_PlJNSB_9not_fun_tI7is_evenIjEEEEEE10hipError_tPvRmT3_T4_T5_T6_T7_T9_mT8_P12ihipStream_tbDpT10_ENKUlT_T0_E_clISt17integral_constantIbLb1EES17_IbLb0EEEEDaS13_S14_EUlS13_E_NS1_11comp_targetILNS1_3genE8ELNS1_11target_archE1030ELNS1_3gpuE2ELNS1_3repE0EEENS1_30default_config_static_selectorELNS0_4arch9wavefront6targetE0EEEvT1_
		.amdhsa_group_segment_fixed_size 0
		.amdhsa_private_segment_fixed_size 0
		.amdhsa_kernarg_size 112
		.amdhsa_user_sgpr_count 2
		.amdhsa_user_sgpr_dispatch_ptr 0
		.amdhsa_user_sgpr_queue_ptr 0
		.amdhsa_user_sgpr_kernarg_segment_ptr 1
		.amdhsa_user_sgpr_dispatch_id 0
		.amdhsa_user_sgpr_private_segment_size 0
		.amdhsa_wavefront_size32 1
		.amdhsa_uses_dynamic_stack 0
		.amdhsa_enable_private_segment 0
		.amdhsa_system_sgpr_workgroup_id_x 1
		.amdhsa_system_sgpr_workgroup_id_y 0
		.amdhsa_system_sgpr_workgroup_id_z 0
		.amdhsa_system_sgpr_workgroup_info 0
		.amdhsa_system_vgpr_workitem_id 0
		.amdhsa_next_free_vgpr 1
		.amdhsa_next_free_sgpr 1
		.amdhsa_reserve_vcc 0
		.amdhsa_float_round_mode_32 0
		.amdhsa_float_round_mode_16_64 0
		.amdhsa_float_denorm_mode_32 3
		.amdhsa_float_denorm_mode_16_64 3
		.amdhsa_fp16_overflow 0
		.amdhsa_workgroup_processor_mode 1
		.amdhsa_memory_ordered 1
		.amdhsa_forward_progress 1
		.amdhsa_inst_pref_size 0
		.amdhsa_round_robin_scheduling 0
		.amdhsa_exception_fp_ieee_invalid_op 0
		.amdhsa_exception_fp_denorm_src 0
		.amdhsa_exception_fp_ieee_div_zero 0
		.amdhsa_exception_fp_ieee_overflow 0
		.amdhsa_exception_fp_ieee_underflow 0
		.amdhsa_exception_fp_ieee_inexact 0
		.amdhsa_exception_int_div_zero 0
	.end_amdhsa_kernel
	.section	.text._ZN7rocprim17ROCPRIM_400000_NS6detail17trampoline_kernelINS0_14default_configENS1_25partition_config_selectorILNS1_17partition_subalgoE6EjNS0_10empty_typeEbEEZZNS1_14partition_implILS5_6ELb0ES3_mN6thrust23THRUST_200600_302600_NS6detail15normal_iteratorINSA_10device_ptrIjEEEEPS6_SG_NS0_5tupleIJSF_S6_EEENSH_IJSG_SG_EEES6_PlJNSB_9not_fun_tI7is_evenIjEEEEEE10hipError_tPvRmT3_T4_T5_T6_T7_T9_mT8_P12ihipStream_tbDpT10_ENKUlT_T0_E_clISt17integral_constantIbLb1EES17_IbLb0EEEEDaS13_S14_EUlS13_E_NS1_11comp_targetILNS1_3genE8ELNS1_11target_archE1030ELNS1_3gpuE2ELNS1_3repE0EEENS1_30default_config_static_selectorELNS0_4arch9wavefront6targetE0EEEvT1_,"axG",@progbits,_ZN7rocprim17ROCPRIM_400000_NS6detail17trampoline_kernelINS0_14default_configENS1_25partition_config_selectorILNS1_17partition_subalgoE6EjNS0_10empty_typeEbEEZZNS1_14partition_implILS5_6ELb0ES3_mN6thrust23THRUST_200600_302600_NS6detail15normal_iteratorINSA_10device_ptrIjEEEEPS6_SG_NS0_5tupleIJSF_S6_EEENSH_IJSG_SG_EEES6_PlJNSB_9not_fun_tI7is_evenIjEEEEEE10hipError_tPvRmT3_T4_T5_T6_T7_T9_mT8_P12ihipStream_tbDpT10_ENKUlT_T0_E_clISt17integral_constantIbLb1EES17_IbLb0EEEEDaS13_S14_EUlS13_E_NS1_11comp_targetILNS1_3genE8ELNS1_11target_archE1030ELNS1_3gpuE2ELNS1_3repE0EEENS1_30default_config_static_selectorELNS0_4arch9wavefront6targetE0EEEvT1_,comdat
.Lfunc_end652:
	.size	_ZN7rocprim17ROCPRIM_400000_NS6detail17trampoline_kernelINS0_14default_configENS1_25partition_config_selectorILNS1_17partition_subalgoE6EjNS0_10empty_typeEbEEZZNS1_14partition_implILS5_6ELb0ES3_mN6thrust23THRUST_200600_302600_NS6detail15normal_iteratorINSA_10device_ptrIjEEEEPS6_SG_NS0_5tupleIJSF_S6_EEENSH_IJSG_SG_EEES6_PlJNSB_9not_fun_tI7is_evenIjEEEEEE10hipError_tPvRmT3_T4_T5_T6_T7_T9_mT8_P12ihipStream_tbDpT10_ENKUlT_T0_E_clISt17integral_constantIbLb1EES17_IbLb0EEEEDaS13_S14_EUlS13_E_NS1_11comp_targetILNS1_3genE8ELNS1_11target_archE1030ELNS1_3gpuE2ELNS1_3repE0EEENS1_30default_config_static_selectorELNS0_4arch9wavefront6targetE0EEEvT1_, .Lfunc_end652-_ZN7rocprim17ROCPRIM_400000_NS6detail17trampoline_kernelINS0_14default_configENS1_25partition_config_selectorILNS1_17partition_subalgoE6EjNS0_10empty_typeEbEEZZNS1_14partition_implILS5_6ELb0ES3_mN6thrust23THRUST_200600_302600_NS6detail15normal_iteratorINSA_10device_ptrIjEEEEPS6_SG_NS0_5tupleIJSF_S6_EEENSH_IJSG_SG_EEES6_PlJNSB_9not_fun_tI7is_evenIjEEEEEE10hipError_tPvRmT3_T4_T5_T6_T7_T9_mT8_P12ihipStream_tbDpT10_ENKUlT_T0_E_clISt17integral_constantIbLb1EES17_IbLb0EEEEDaS13_S14_EUlS13_E_NS1_11comp_targetILNS1_3genE8ELNS1_11target_archE1030ELNS1_3gpuE2ELNS1_3repE0EEENS1_30default_config_static_selectorELNS0_4arch9wavefront6targetE0EEEvT1_
                                        ; -- End function
	.set _ZN7rocprim17ROCPRIM_400000_NS6detail17trampoline_kernelINS0_14default_configENS1_25partition_config_selectorILNS1_17partition_subalgoE6EjNS0_10empty_typeEbEEZZNS1_14partition_implILS5_6ELb0ES3_mN6thrust23THRUST_200600_302600_NS6detail15normal_iteratorINSA_10device_ptrIjEEEEPS6_SG_NS0_5tupleIJSF_S6_EEENSH_IJSG_SG_EEES6_PlJNSB_9not_fun_tI7is_evenIjEEEEEE10hipError_tPvRmT3_T4_T5_T6_T7_T9_mT8_P12ihipStream_tbDpT10_ENKUlT_T0_E_clISt17integral_constantIbLb1EES17_IbLb0EEEEDaS13_S14_EUlS13_E_NS1_11comp_targetILNS1_3genE8ELNS1_11target_archE1030ELNS1_3gpuE2ELNS1_3repE0EEENS1_30default_config_static_selectorELNS0_4arch9wavefront6targetE0EEEvT1_.num_vgpr, 0
	.set _ZN7rocprim17ROCPRIM_400000_NS6detail17trampoline_kernelINS0_14default_configENS1_25partition_config_selectorILNS1_17partition_subalgoE6EjNS0_10empty_typeEbEEZZNS1_14partition_implILS5_6ELb0ES3_mN6thrust23THRUST_200600_302600_NS6detail15normal_iteratorINSA_10device_ptrIjEEEEPS6_SG_NS0_5tupleIJSF_S6_EEENSH_IJSG_SG_EEES6_PlJNSB_9not_fun_tI7is_evenIjEEEEEE10hipError_tPvRmT3_T4_T5_T6_T7_T9_mT8_P12ihipStream_tbDpT10_ENKUlT_T0_E_clISt17integral_constantIbLb1EES17_IbLb0EEEEDaS13_S14_EUlS13_E_NS1_11comp_targetILNS1_3genE8ELNS1_11target_archE1030ELNS1_3gpuE2ELNS1_3repE0EEENS1_30default_config_static_selectorELNS0_4arch9wavefront6targetE0EEEvT1_.num_agpr, 0
	.set _ZN7rocprim17ROCPRIM_400000_NS6detail17trampoline_kernelINS0_14default_configENS1_25partition_config_selectorILNS1_17partition_subalgoE6EjNS0_10empty_typeEbEEZZNS1_14partition_implILS5_6ELb0ES3_mN6thrust23THRUST_200600_302600_NS6detail15normal_iteratorINSA_10device_ptrIjEEEEPS6_SG_NS0_5tupleIJSF_S6_EEENSH_IJSG_SG_EEES6_PlJNSB_9not_fun_tI7is_evenIjEEEEEE10hipError_tPvRmT3_T4_T5_T6_T7_T9_mT8_P12ihipStream_tbDpT10_ENKUlT_T0_E_clISt17integral_constantIbLb1EES17_IbLb0EEEEDaS13_S14_EUlS13_E_NS1_11comp_targetILNS1_3genE8ELNS1_11target_archE1030ELNS1_3gpuE2ELNS1_3repE0EEENS1_30default_config_static_selectorELNS0_4arch9wavefront6targetE0EEEvT1_.numbered_sgpr, 0
	.set _ZN7rocprim17ROCPRIM_400000_NS6detail17trampoline_kernelINS0_14default_configENS1_25partition_config_selectorILNS1_17partition_subalgoE6EjNS0_10empty_typeEbEEZZNS1_14partition_implILS5_6ELb0ES3_mN6thrust23THRUST_200600_302600_NS6detail15normal_iteratorINSA_10device_ptrIjEEEEPS6_SG_NS0_5tupleIJSF_S6_EEENSH_IJSG_SG_EEES6_PlJNSB_9not_fun_tI7is_evenIjEEEEEE10hipError_tPvRmT3_T4_T5_T6_T7_T9_mT8_P12ihipStream_tbDpT10_ENKUlT_T0_E_clISt17integral_constantIbLb1EES17_IbLb0EEEEDaS13_S14_EUlS13_E_NS1_11comp_targetILNS1_3genE8ELNS1_11target_archE1030ELNS1_3gpuE2ELNS1_3repE0EEENS1_30default_config_static_selectorELNS0_4arch9wavefront6targetE0EEEvT1_.num_named_barrier, 0
	.set _ZN7rocprim17ROCPRIM_400000_NS6detail17trampoline_kernelINS0_14default_configENS1_25partition_config_selectorILNS1_17partition_subalgoE6EjNS0_10empty_typeEbEEZZNS1_14partition_implILS5_6ELb0ES3_mN6thrust23THRUST_200600_302600_NS6detail15normal_iteratorINSA_10device_ptrIjEEEEPS6_SG_NS0_5tupleIJSF_S6_EEENSH_IJSG_SG_EEES6_PlJNSB_9not_fun_tI7is_evenIjEEEEEE10hipError_tPvRmT3_T4_T5_T6_T7_T9_mT8_P12ihipStream_tbDpT10_ENKUlT_T0_E_clISt17integral_constantIbLb1EES17_IbLb0EEEEDaS13_S14_EUlS13_E_NS1_11comp_targetILNS1_3genE8ELNS1_11target_archE1030ELNS1_3gpuE2ELNS1_3repE0EEENS1_30default_config_static_selectorELNS0_4arch9wavefront6targetE0EEEvT1_.private_seg_size, 0
	.set _ZN7rocprim17ROCPRIM_400000_NS6detail17trampoline_kernelINS0_14default_configENS1_25partition_config_selectorILNS1_17partition_subalgoE6EjNS0_10empty_typeEbEEZZNS1_14partition_implILS5_6ELb0ES3_mN6thrust23THRUST_200600_302600_NS6detail15normal_iteratorINSA_10device_ptrIjEEEEPS6_SG_NS0_5tupleIJSF_S6_EEENSH_IJSG_SG_EEES6_PlJNSB_9not_fun_tI7is_evenIjEEEEEE10hipError_tPvRmT3_T4_T5_T6_T7_T9_mT8_P12ihipStream_tbDpT10_ENKUlT_T0_E_clISt17integral_constantIbLb1EES17_IbLb0EEEEDaS13_S14_EUlS13_E_NS1_11comp_targetILNS1_3genE8ELNS1_11target_archE1030ELNS1_3gpuE2ELNS1_3repE0EEENS1_30default_config_static_selectorELNS0_4arch9wavefront6targetE0EEEvT1_.uses_vcc, 0
	.set _ZN7rocprim17ROCPRIM_400000_NS6detail17trampoline_kernelINS0_14default_configENS1_25partition_config_selectorILNS1_17partition_subalgoE6EjNS0_10empty_typeEbEEZZNS1_14partition_implILS5_6ELb0ES3_mN6thrust23THRUST_200600_302600_NS6detail15normal_iteratorINSA_10device_ptrIjEEEEPS6_SG_NS0_5tupleIJSF_S6_EEENSH_IJSG_SG_EEES6_PlJNSB_9not_fun_tI7is_evenIjEEEEEE10hipError_tPvRmT3_T4_T5_T6_T7_T9_mT8_P12ihipStream_tbDpT10_ENKUlT_T0_E_clISt17integral_constantIbLb1EES17_IbLb0EEEEDaS13_S14_EUlS13_E_NS1_11comp_targetILNS1_3genE8ELNS1_11target_archE1030ELNS1_3gpuE2ELNS1_3repE0EEENS1_30default_config_static_selectorELNS0_4arch9wavefront6targetE0EEEvT1_.uses_flat_scratch, 0
	.set _ZN7rocprim17ROCPRIM_400000_NS6detail17trampoline_kernelINS0_14default_configENS1_25partition_config_selectorILNS1_17partition_subalgoE6EjNS0_10empty_typeEbEEZZNS1_14partition_implILS5_6ELb0ES3_mN6thrust23THRUST_200600_302600_NS6detail15normal_iteratorINSA_10device_ptrIjEEEEPS6_SG_NS0_5tupleIJSF_S6_EEENSH_IJSG_SG_EEES6_PlJNSB_9not_fun_tI7is_evenIjEEEEEE10hipError_tPvRmT3_T4_T5_T6_T7_T9_mT8_P12ihipStream_tbDpT10_ENKUlT_T0_E_clISt17integral_constantIbLb1EES17_IbLb0EEEEDaS13_S14_EUlS13_E_NS1_11comp_targetILNS1_3genE8ELNS1_11target_archE1030ELNS1_3gpuE2ELNS1_3repE0EEENS1_30default_config_static_selectorELNS0_4arch9wavefront6targetE0EEEvT1_.has_dyn_sized_stack, 0
	.set _ZN7rocprim17ROCPRIM_400000_NS6detail17trampoline_kernelINS0_14default_configENS1_25partition_config_selectorILNS1_17partition_subalgoE6EjNS0_10empty_typeEbEEZZNS1_14partition_implILS5_6ELb0ES3_mN6thrust23THRUST_200600_302600_NS6detail15normal_iteratorINSA_10device_ptrIjEEEEPS6_SG_NS0_5tupleIJSF_S6_EEENSH_IJSG_SG_EEES6_PlJNSB_9not_fun_tI7is_evenIjEEEEEE10hipError_tPvRmT3_T4_T5_T6_T7_T9_mT8_P12ihipStream_tbDpT10_ENKUlT_T0_E_clISt17integral_constantIbLb1EES17_IbLb0EEEEDaS13_S14_EUlS13_E_NS1_11comp_targetILNS1_3genE8ELNS1_11target_archE1030ELNS1_3gpuE2ELNS1_3repE0EEENS1_30default_config_static_selectorELNS0_4arch9wavefront6targetE0EEEvT1_.has_recursion, 0
	.set _ZN7rocprim17ROCPRIM_400000_NS6detail17trampoline_kernelINS0_14default_configENS1_25partition_config_selectorILNS1_17partition_subalgoE6EjNS0_10empty_typeEbEEZZNS1_14partition_implILS5_6ELb0ES3_mN6thrust23THRUST_200600_302600_NS6detail15normal_iteratorINSA_10device_ptrIjEEEEPS6_SG_NS0_5tupleIJSF_S6_EEENSH_IJSG_SG_EEES6_PlJNSB_9not_fun_tI7is_evenIjEEEEEE10hipError_tPvRmT3_T4_T5_T6_T7_T9_mT8_P12ihipStream_tbDpT10_ENKUlT_T0_E_clISt17integral_constantIbLb1EES17_IbLb0EEEEDaS13_S14_EUlS13_E_NS1_11comp_targetILNS1_3genE8ELNS1_11target_archE1030ELNS1_3gpuE2ELNS1_3repE0EEENS1_30default_config_static_selectorELNS0_4arch9wavefront6targetE0EEEvT1_.has_indirect_call, 0
	.section	.AMDGPU.csdata,"",@progbits
; Kernel info:
; codeLenInByte = 0
; TotalNumSgprs: 0
; NumVgprs: 0
; ScratchSize: 0
; MemoryBound: 0
; FloatMode: 240
; IeeeMode: 1
; LDSByteSize: 0 bytes/workgroup (compile time only)
; SGPRBlocks: 0
; VGPRBlocks: 0
; NumSGPRsForWavesPerEU: 1
; NumVGPRsForWavesPerEU: 1
; Occupancy: 16
; WaveLimiterHint : 0
; COMPUTE_PGM_RSRC2:SCRATCH_EN: 0
; COMPUTE_PGM_RSRC2:USER_SGPR: 2
; COMPUTE_PGM_RSRC2:TRAP_HANDLER: 0
; COMPUTE_PGM_RSRC2:TGID_X_EN: 1
; COMPUTE_PGM_RSRC2:TGID_Y_EN: 0
; COMPUTE_PGM_RSRC2:TGID_Z_EN: 0
; COMPUTE_PGM_RSRC2:TIDIG_COMP_CNT: 0
	.section	.text._ZN7rocprim17ROCPRIM_400000_NS6detail17trampoline_kernelINS0_14default_configENS1_25partition_config_selectorILNS1_17partition_subalgoE6EjNS0_10empty_typeEbEEZZNS1_14partition_implILS5_6ELb0ES3_mN6thrust23THRUST_200600_302600_NS6detail15normal_iteratorINSA_10device_ptrIjEEEEPS6_SG_NS0_5tupleIJSF_S6_EEENSH_IJSG_SG_EEES6_PlJNSB_9not_fun_tI7is_evenIjEEEEEE10hipError_tPvRmT3_T4_T5_T6_T7_T9_mT8_P12ihipStream_tbDpT10_ENKUlT_T0_E_clISt17integral_constantIbLb0EES17_IbLb1EEEEDaS13_S14_EUlS13_E_NS1_11comp_targetILNS1_3genE0ELNS1_11target_archE4294967295ELNS1_3gpuE0ELNS1_3repE0EEENS1_30default_config_static_selectorELNS0_4arch9wavefront6targetE0EEEvT1_,"axG",@progbits,_ZN7rocprim17ROCPRIM_400000_NS6detail17trampoline_kernelINS0_14default_configENS1_25partition_config_selectorILNS1_17partition_subalgoE6EjNS0_10empty_typeEbEEZZNS1_14partition_implILS5_6ELb0ES3_mN6thrust23THRUST_200600_302600_NS6detail15normal_iteratorINSA_10device_ptrIjEEEEPS6_SG_NS0_5tupleIJSF_S6_EEENSH_IJSG_SG_EEES6_PlJNSB_9not_fun_tI7is_evenIjEEEEEE10hipError_tPvRmT3_T4_T5_T6_T7_T9_mT8_P12ihipStream_tbDpT10_ENKUlT_T0_E_clISt17integral_constantIbLb0EES17_IbLb1EEEEDaS13_S14_EUlS13_E_NS1_11comp_targetILNS1_3genE0ELNS1_11target_archE4294967295ELNS1_3gpuE0ELNS1_3repE0EEENS1_30default_config_static_selectorELNS0_4arch9wavefront6targetE0EEEvT1_,comdat
	.protected	_ZN7rocprim17ROCPRIM_400000_NS6detail17trampoline_kernelINS0_14default_configENS1_25partition_config_selectorILNS1_17partition_subalgoE6EjNS0_10empty_typeEbEEZZNS1_14partition_implILS5_6ELb0ES3_mN6thrust23THRUST_200600_302600_NS6detail15normal_iteratorINSA_10device_ptrIjEEEEPS6_SG_NS0_5tupleIJSF_S6_EEENSH_IJSG_SG_EEES6_PlJNSB_9not_fun_tI7is_evenIjEEEEEE10hipError_tPvRmT3_T4_T5_T6_T7_T9_mT8_P12ihipStream_tbDpT10_ENKUlT_T0_E_clISt17integral_constantIbLb0EES17_IbLb1EEEEDaS13_S14_EUlS13_E_NS1_11comp_targetILNS1_3genE0ELNS1_11target_archE4294967295ELNS1_3gpuE0ELNS1_3repE0EEENS1_30default_config_static_selectorELNS0_4arch9wavefront6targetE0EEEvT1_ ; -- Begin function _ZN7rocprim17ROCPRIM_400000_NS6detail17trampoline_kernelINS0_14default_configENS1_25partition_config_selectorILNS1_17partition_subalgoE6EjNS0_10empty_typeEbEEZZNS1_14partition_implILS5_6ELb0ES3_mN6thrust23THRUST_200600_302600_NS6detail15normal_iteratorINSA_10device_ptrIjEEEEPS6_SG_NS0_5tupleIJSF_S6_EEENSH_IJSG_SG_EEES6_PlJNSB_9not_fun_tI7is_evenIjEEEEEE10hipError_tPvRmT3_T4_T5_T6_T7_T9_mT8_P12ihipStream_tbDpT10_ENKUlT_T0_E_clISt17integral_constantIbLb0EES17_IbLb1EEEEDaS13_S14_EUlS13_E_NS1_11comp_targetILNS1_3genE0ELNS1_11target_archE4294967295ELNS1_3gpuE0ELNS1_3repE0EEENS1_30default_config_static_selectorELNS0_4arch9wavefront6targetE0EEEvT1_
	.globl	_ZN7rocprim17ROCPRIM_400000_NS6detail17trampoline_kernelINS0_14default_configENS1_25partition_config_selectorILNS1_17partition_subalgoE6EjNS0_10empty_typeEbEEZZNS1_14partition_implILS5_6ELb0ES3_mN6thrust23THRUST_200600_302600_NS6detail15normal_iteratorINSA_10device_ptrIjEEEEPS6_SG_NS0_5tupleIJSF_S6_EEENSH_IJSG_SG_EEES6_PlJNSB_9not_fun_tI7is_evenIjEEEEEE10hipError_tPvRmT3_T4_T5_T6_T7_T9_mT8_P12ihipStream_tbDpT10_ENKUlT_T0_E_clISt17integral_constantIbLb0EES17_IbLb1EEEEDaS13_S14_EUlS13_E_NS1_11comp_targetILNS1_3genE0ELNS1_11target_archE4294967295ELNS1_3gpuE0ELNS1_3repE0EEENS1_30default_config_static_selectorELNS0_4arch9wavefront6targetE0EEEvT1_
	.p2align	8
	.type	_ZN7rocprim17ROCPRIM_400000_NS6detail17trampoline_kernelINS0_14default_configENS1_25partition_config_selectorILNS1_17partition_subalgoE6EjNS0_10empty_typeEbEEZZNS1_14partition_implILS5_6ELb0ES3_mN6thrust23THRUST_200600_302600_NS6detail15normal_iteratorINSA_10device_ptrIjEEEEPS6_SG_NS0_5tupleIJSF_S6_EEENSH_IJSG_SG_EEES6_PlJNSB_9not_fun_tI7is_evenIjEEEEEE10hipError_tPvRmT3_T4_T5_T6_T7_T9_mT8_P12ihipStream_tbDpT10_ENKUlT_T0_E_clISt17integral_constantIbLb0EES17_IbLb1EEEEDaS13_S14_EUlS13_E_NS1_11comp_targetILNS1_3genE0ELNS1_11target_archE4294967295ELNS1_3gpuE0ELNS1_3repE0EEENS1_30default_config_static_selectorELNS0_4arch9wavefront6targetE0EEEvT1_,@function
_ZN7rocprim17ROCPRIM_400000_NS6detail17trampoline_kernelINS0_14default_configENS1_25partition_config_selectorILNS1_17partition_subalgoE6EjNS0_10empty_typeEbEEZZNS1_14partition_implILS5_6ELb0ES3_mN6thrust23THRUST_200600_302600_NS6detail15normal_iteratorINSA_10device_ptrIjEEEEPS6_SG_NS0_5tupleIJSF_S6_EEENSH_IJSG_SG_EEES6_PlJNSB_9not_fun_tI7is_evenIjEEEEEE10hipError_tPvRmT3_T4_T5_T6_T7_T9_mT8_P12ihipStream_tbDpT10_ENKUlT_T0_E_clISt17integral_constantIbLb0EES17_IbLb1EEEEDaS13_S14_EUlS13_E_NS1_11comp_targetILNS1_3genE0ELNS1_11target_archE4294967295ELNS1_3gpuE0ELNS1_3repE0EEENS1_30default_config_static_selectorELNS0_4arch9wavefront6targetE0EEEvT1_: ; @_ZN7rocprim17ROCPRIM_400000_NS6detail17trampoline_kernelINS0_14default_configENS1_25partition_config_selectorILNS1_17partition_subalgoE6EjNS0_10empty_typeEbEEZZNS1_14partition_implILS5_6ELb0ES3_mN6thrust23THRUST_200600_302600_NS6detail15normal_iteratorINSA_10device_ptrIjEEEEPS6_SG_NS0_5tupleIJSF_S6_EEENSH_IJSG_SG_EEES6_PlJNSB_9not_fun_tI7is_evenIjEEEEEE10hipError_tPvRmT3_T4_T5_T6_T7_T9_mT8_P12ihipStream_tbDpT10_ENKUlT_T0_E_clISt17integral_constantIbLb0EES17_IbLb1EEEEDaS13_S14_EUlS13_E_NS1_11comp_targetILNS1_3genE0ELNS1_11target_archE4294967295ELNS1_3gpuE0ELNS1_3repE0EEENS1_30default_config_static_selectorELNS0_4arch9wavefront6targetE0EEEvT1_
; %bb.0:
	.section	.rodata,"a",@progbits
	.p2align	6, 0x0
	.amdhsa_kernel _ZN7rocprim17ROCPRIM_400000_NS6detail17trampoline_kernelINS0_14default_configENS1_25partition_config_selectorILNS1_17partition_subalgoE6EjNS0_10empty_typeEbEEZZNS1_14partition_implILS5_6ELb0ES3_mN6thrust23THRUST_200600_302600_NS6detail15normal_iteratorINSA_10device_ptrIjEEEEPS6_SG_NS0_5tupleIJSF_S6_EEENSH_IJSG_SG_EEES6_PlJNSB_9not_fun_tI7is_evenIjEEEEEE10hipError_tPvRmT3_T4_T5_T6_T7_T9_mT8_P12ihipStream_tbDpT10_ENKUlT_T0_E_clISt17integral_constantIbLb0EES17_IbLb1EEEEDaS13_S14_EUlS13_E_NS1_11comp_targetILNS1_3genE0ELNS1_11target_archE4294967295ELNS1_3gpuE0ELNS1_3repE0EEENS1_30default_config_static_selectorELNS0_4arch9wavefront6targetE0EEEvT1_
		.amdhsa_group_segment_fixed_size 0
		.amdhsa_private_segment_fixed_size 0
		.amdhsa_kernarg_size 128
		.amdhsa_user_sgpr_count 2
		.amdhsa_user_sgpr_dispatch_ptr 0
		.amdhsa_user_sgpr_queue_ptr 0
		.amdhsa_user_sgpr_kernarg_segment_ptr 1
		.amdhsa_user_sgpr_dispatch_id 0
		.amdhsa_user_sgpr_private_segment_size 0
		.amdhsa_wavefront_size32 1
		.amdhsa_uses_dynamic_stack 0
		.amdhsa_enable_private_segment 0
		.amdhsa_system_sgpr_workgroup_id_x 1
		.amdhsa_system_sgpr_workgroup_id_y 0
		.amdhsa_system_sgpr_workgroup_id_z 0
		.amdhsa_system_sgpr_workgroup_info 0
		.amdhsa_system_vgpr_workitem_id 0
		.amdhsa_next_free_vgpr 1
		.amdhsa_next_free_sgpr 1
		.amdhsa_reserve_vcc 0
		.amdhsa_float_round_mode_32 0
		.amdhsa_float_round_mode_16_64 0
		.amdhsa_float_denorm_mode_32 3
		.amdhsa_float_denorm_mode_16_64 3
		.amdhsa_fp16_overflow 0
		.amdhsa_workgroup_processor_mode 1
		.amdhsa_memory_ordered 1
		.amdhsa_forward_progress 1
		.amdhsa_inst_pref_size 0
		.amdhsa_round_robin_scheduling 0
		.amdhsa_exception_fp_ieee_invalid_op 0
		.amdhsa_exception_fp_denorm_src 0
		.amdhsa_exception_fp_ieee_div_zero 0
		.amdhsa_exception_fp_ieee_overflow 0
		.amdhsa_exception_fp_ieee_underflow 0
		.amdhsa_exception_fp_ieee_inexact 0
		.amdhsa_exception_int_div_zero 0
	.end_amdhsa_kernel
	.section	.text._ZN7rocprim17ROCPRIM_400000_NS6detail17trampoline_kernelINS0_14default_configENS1_25partition_config_selectorILNS1_17partition_subalgoE6EjNS0_10empty_typeEbEEZZNS1_14partition_implILS5_6ELb0ES3_mN6thrust23THRUST_200600_302600_NS6detail15normal_iteratorINSA_10device_ptrIjEEEEPS6_SG_NS0_5tupleIJSF_S6_EEENSH_IJSG_SG_EEES6_PlJNSB_9not_fun_tI7is_evenIjEEEEEE10hipError_tPvRmT3_T4_T5_T6_T7_T9_mT8_P12ihipStream_tbDpT10_ENKUlT_T0_E_clISt17integral_constantIbLb0EES17_IbLb1EEEEDaS13_S14_EUlS13_E_NS1_11comp_targetILNS1_3genE0ELNS1_11target_archE4294967295ELNS1_3gpuE0ELNS1_3repE0EEENS1_30default_config_static_selectorELNS0_4arch9wavefront6targetE0EEEvT1_,"axG",@progbits,_ZN7rocprim17ROCPRIM_400000_NS6detail17trampoline_kernelINS0_14default_configENS1_25partition_config_selectorILNS1_17partition_subalgoE6EjNS0_10empty_typeEbEEZZNS1_14partition_implILS5_6ELb0ES3_mN6thrust23THRUST_200600_302600_NS6detail15normal_iteratorINSA_10device_ptrIjEEEEPS6_SG_NS0_5tupleIJSF_S6_EEENSH_IJSG_SG_EEES6_PlJNSB_9not_fun_tI7is_evenIjEEEEEE10hipError_tPvRmT3_T4_T5_T6_T7_T9_mT8_P12ihipStream_tbDpT10_ENKUlT_T0_E_clISt17integral_constantIbLb0EES17_IbLb1EEEEDaS13_S14_EUlS13_E_NS1_11comp_targetILNS1_3genE0ELNS1_11target_archE4294967295ELNS1_3gpuE0ELNS1_3repE0EEENS1_30default_config_static_selectorELNS0_4arch9wavefront6targetE0EEEvT1_,comdat
.Lfunc_end653:
	.size	_ZN7rocprim17ROCPRIM_400000_NS6detail17trampoline_kernelINS0_14default_configENS1_25partition_config_selectorILNS1_17partition_subalgoE6EjNS0_10empty_typeEbEEZZNS1_14partition_implILS5_6ELb0ES3_mN6thrust23THRUST_200600_302600_NS6detail15normal_iteratorINSA_10device_ptrIjEEEEPS6_SG_NS0_5tupleIJSF_S6_EEENSH_IJSG_SG_EEES6_PlJNSB_9not_fun_tI7is_evenIjEEEEEE10hipError_tPvRmT3_T4_T5_T6_T7_T9_mT8_P12ihipStream_tbDpT10_ENKUlT_T0_E_clISt17integral_constantIbLb0EES17_IbLb1EEEEDaS13_S14_EUlS13_E_NS1_11comp_targetILNS1_3genE0ELNS1_11target_archE4294967295ELNS1_3gpuE0ELNS1_3repE0EEENS1_30default_config_static_selectorELNS0_4arch9wavefront6targetE0EEEvT1_, .Lfunc_end653-_ZN7rocprim17ROCPRIM_400000_NS6detail17trampoline_kernelINS0_14default_configENS1_25partition_config_selectorILNS1_17partition_subalgoE6EjNS0_10empty_typeEbEEZZNS1_14partition_implILS5_6ELb0ES3_mN6thrust23THRUST_200600_302600_NS6detail15normal_iteratorINSA_10device_ptrIjEEEEPS6_SG_NS0_5tupleIJSF_S6_EEENSH_IJSG_SG_EEES6_PlJNSB_9not_fun_tI7is_evenIjEEEEEE10hipError_tPvRmT3_T4_T5_T6_T7_T9_mT8_P12ihipStream_tbDpT10_ENKUlT_T0_E_clISt17integral_constantIbLb0EES17_IbLb1EEEEDaS13_S14_EUlS13_E_NS1_11comp_targetILNS1_3genE0ELNS1_11target_archE4294967295ELNS1_3gpuE0ELNS1_3repE0EEENS1_30default_config_static_selectorELNS0_4arch9wavefront6targetE0EEEvT1_
                                        ; -- End function
	.set _ZN7rocprim17ROCPRIM_400000_NS6detail17trampoline_kernelINS0_14default_configENS1_25partition_config_selectorILNS1_17partition_subalgoE6EjNS0_10empty_typeEbEEZZNS1_14partition_implILS5_6ELb0ES3_mN6thrust23THRUST_200600_302600_NS6detail15normal_iteratorINSA_10device_ptrIjEEEEPS6_SG_NS0_5tupleIJSF_S6_EEENSH_IJSG_SG_EEES6_PlJNSB_9not_fun_tI7is_evenIjEEEEEE10hipError_tPvRmT3_T4_T5_T6_T7_T9_mT8_P12ihipStream_tbDpT10_ENKUlT_T0_E_clISt17integral_constantIbLb0EES17_IbLb1EEEEDaS13_S14_EUlS13_E_NS1_11comp_targetILNS1_3genE0ELNS1_11target_archE4294967295ELNS1_3gpuE0ELNS1_3repE0EEENS1_30default_config_static_selectorELNS0_4arch9wavefront6targetE0EEEvT1_.num_vgpr, 0
	.set _ZN7rocprim17ROCPRIM_400000_NS6detail17trampoline_kernelINS0_14default_configENS1_25partition_config_selectorILNS1_17partition_subalgoE6EjNS0_10empty_typeEbEEZZNS1_14partition_implILS5_6ELb0ES3_mN6thrust23THRUST_200600_302600_NS6detail15normal_iteratorINSA_10device_ptrIjEEEEPS6_SG_NS0_5tupleIJSF_S6_EEENSH_IJSG_SG_EEES6_PlJNSB_9not_fun_tI7is_evenIjEEEEEE10hipError_tPvRmT3_T4_T5_T6_T7_T9_mT8_P12ihipStream_tbDpT10_ENKUlT_T0_E_clISt17integral_constantIbLb0EES17_IbLb1EEEEDaS13_S14_EUlS13_E_NS1_11comp_targetILNS1_3genE0ELNS1_11target_archE4294967295ELNS1_3gpuE0ELNS1_3repE0EEENS1_30default_config_static_selectorELNS0_4arch9wavefront6targetE0EEEvT1_.num_agpr, 0
	.set _ZN7rocprim17ROCPRIM_400000_NS6detail17trampoline_kernelINS0_14default_configENS1_25partition_config_selectorILNS1_17partition_subalgoE6EjNS0_10empty_typeEbEEZZNS1_14partition_implILS5_6ELb0ES3_mN6thrust23THRUST_200600_302600_NS6detail15normal_iteratorINSA_10device_ptrIjEEEEPS6_SG_NS0_5tupleIJSF_S6_EEENSH_IJSG_SG_EEES6_PlJNSB_9not_fun_tI7is_evenIjEEEEEE10hipError_tPvRmT3_T4_T5_T6_T7_T9_mT8_P12ihipStream_tbDpT10_ENKUlT_T0_E_clISt17integral_constantIbLb0EES17_IbLb1EEEEDaS13_S14_EUlS13_E_NS1_11comp_targetILNS1_3genE0ELNS1_11target_archE4294967295ELNS1_3gpuE0ELNS1_3repE0EEENS1_30default_config_static_selectorELNS0_4arch9wavefront6targetE0EEEvT1_.numbered_sgpr, 0
	.set _ZN7rocprim17ROCPRIM_400000_NS6detail17trampoline_kernelINS0_14default_configENS1_25partition_config_selectorILNS1_17partition_subalgoE6EjNS0_10empty_typeEbEEZZNS1_14partition_implILS5_6ELb0ES3_mN6thrust23THRUST_200600_302600_NS6detail15normal_iteratorINSA_10device_ptrIjEEEEPS6_SG_NS0_5tupleIJSF_S6_EEENSH_IJSG_SG_EEES6_PlJNSB_9not_fun_tI7is_evenIjEEEEEE10hipError_tPvRmT3_T4_T5_T6_T7_T9_mT8_P12ihipStream_tbDpT10_ENKUlT_T0_E_clISt17integral_constantIbLb0EES17_IbLb1EEEEDaS13_S14_EUlS13_E_NS1_11comp_targetILNS1_3genE0ELNS1_11target_archE4294967295ELNS1_3gpuE0ELNS1_3repE0EEENS1_30default_config_static_selectorELNS0_4arch9wavefront6targetE0EEEvT1_.num_named_barrier, 0
	.set _ZN7rocprim17ROCPRIM_400000_NS6detail17trampoline_kernelINS0_14default_configENS1_25partition_config_selectorILNS1_17partition_subalgoE6EjNS0_10empty_typeEbEEZZNS1_14partition_implILS5_6ELb0ES3_mN6thrust23THRUST_200600_302600_NS6detail15normal_iteratorINSA_10device_ptrIjEEEEPS6_SG_NS0_5tupleIJSF_S6_EEENSH_IJSG_SG_EEES6_PlJNSB_9not_fun_tI7is_evenIjEEEEEE10hipError_tPvRmT3_T4_T5_T6_T7_T9_mT8_P12ihipStream_tbDpT10_ENKUlT_T0_E_clISt17integral_constantIbLb0EES17_IbLb1EEEEDaS13_S14_EUlS13_E_NS1_11comp_targetILNS1_3genE0ELNS1_11target_archE4294967295ELNS1_3gpuE0ELNS1_3repE0EEENS1_30default_config_static_selectorELNS0_4arch9wavefront6targetE0EEEvT1_.private_seg_size, 0
	.set _ZN7rocprim17ROCPRIM_400000_NS6detail17trampoline_kernelINS0_14default_configENS1_25partition_config_selectorILNS1_17partition_subalgoE6EjNS0_10empty_typeEbEEZZNS1_14partition_implILS5_6ELb0ES3_mN6thrust23THRUST_200600_302600_NS6detail15normal_iteratorINSA_10device_ptrIjEEEEPS6_SG_NS0_5tupleIJSF_S6_EEENSH_IJSG_SG_EEES6_PlJNSB_9not_fun_tI7is_evenIjEEEEEE10hipError_tPvRmT3_T4_T5_T6_T7_T9_mT8_P12ihipStream_tbDpT10_ENKUlT_T0_E_clISt17integral_constantIbLb0EES17_IbLb1EEEEDaS13_S14_EUlS13_E_NS1_11comp_targetILNS1_3genE0ELNS1_11target_archE4294967295ELNS1_3gpuE0ELNS1_3repE0EEENS1_30default_config_static_selectorELNS0_4arch9wavefront6targetE0EEEvT1_.uses_vcc, 0
	.set _ZN7rocprim17ROCPRIM_400000_NS6detail17trampoline_kernelINS0_14default_configENS1_25partition_config_selectorILNS1_17partition_subalgoE6EjNS0_10empty_typeEbEEZZNS1_14partition_implILS5_6ELb0ES3_mN6thrust23THRUST_200600_302600_NS6detail15normal_iteratorINSA_10device_ptrIjEEEEPS6_SG_NS0_5tupleIJSF_S6_EEENSH_IJSG_SG_EEES6_PlJNSB_9not_fun_tI7is_evenIjEEEEEE10hipError_tPvRmT3_T4_T5_T6_T7_T9_mT8_P12ihipStream_tbDpT10_ENKUlT_T0_E_clISt17integral_constantIbLb0EES17_IbLb1EEEEDaS13_S14_EUlS13_E_NS1_11comp_targetILNS1_3genE0ELNS1_11target_archE4294967295ELNS1_3gpuE0ELNS1_3repE0EEENS1_30default_config_static_selectorELNS0_4arch9wavefront6targetE0EEEvT1_.uses_flat_scratch, 0
	.set _ZN7rocprim17ROCPRIM_400000_NS6detail17trampoline_kernelINS0_14default_configENS1_25partition_config_selectorILNS1_17partition_subalgoE6EjNS0_10empty_typeEbEEZZNS1_14partition_implILS5_6ELb0ES3_mN6thrust23THRUST_200600_302600_NS6detail15normal_iteratorINSA_10device_ptrIjEEEEPS6_SG_NS0_5tupleIJSF_S6_EEENSH_IJSG_SG_EEES6_PlJNSB_9not_fun_tI7is_evenIjEEEEEE10hipError_tPvRmT3_T4_T5_T6_T7_T9_mT8_P12ihipStream_tbDpT10_ENKUlT_T0_E_clISt17integral_constantIbLb0EES17_IbLb1EEEEDaS13_S14_EUlS13_E_NS1_11comp_targetILNS1_3genE0ELNS1_11target_archE4294967295ELNS1_3gpuE0ELNS1_3repE0EEENS1_30default_config_static_selectorELNS0_4arch9wavefront6targetE0EEEvT1_.has_dyn_sized_stack, 0
	.set _ZN7rocprim17ROCPRIM_400000_NS6detail17trampoline_kernelINS0_14default_configENS1_25partition_config_selectorILNS1_17partition_subalgoE6EjNS0_10empty_typeEbEEZZNS1_14partition_implILS5_6ELb0ES3_mN6thrust23THRUST_200600_302600_NS6detail15normal_iteratorINSA_10device_ptrIjEEEEPS6_SG_NS0_5tupleIJSF_S6_EEENSH_IJSG_SG_EEES6_PlJNSB_9not_fun_tI7is_evenIjEEEEEE10hipError_tPvRmT3_T4_T5_T6_T7_T9_mT8_P12ihipStream_tbDpT10_ENKUlT_T0_E_clISt17integral_constantIbLb0EES17_IbLb1EEEEDaS13_S14_EUlS13_E_NS1_11comp_targetILNS1_3genE0ELNS1_11target_archE4294967295ELNS1_3gpuE0ELNS1_3repE0EEENS1_30default_config_static_selectorELNS0_4arch9wavefront6targetE0EEEvT1_.has_recursion, 0
	.set _ZN7rocprim17ROCPRIM_400000_NS6detail17trampoline_kernelINS0_14default_configENS1_25partition_config_selectorILNS1_17partition_subalgoE6EjNS0_10empty_typeEbEEZZNS1_14partition_implILS5_6ELb0ES3_mN6thrust23THRUST_200600_302600_NS6detail15normal_iteratorINSA_10device_ptrIjEEEEPS6_SG_NS0_5tupleIJSF_S6_EEENSH_IJSG_SG_EEES6_PlJNSB_9not_fun_tI7is_evenIjEEEEEE10hipError_tPvRmT3_T4_T5_T6_T7_T9_mT8_P12ihipStream_tbDpT10_ENKUlT_T0_E_clISt17integral_constantIbLb0EES17_IbLb1EEEEDaS13_S14_EUlS13_E_NS1_11comp_targetILNS1_3genE0ELNS1_11target_archE4294967295ELNS1_3gpuE0ELNS1_3repE0EEENS1_30default_config_static_selectorELNS0_4arch9wavefront6targetE0EEEvT1_.has_indirect_call, 0
	.section	.AMDGPU.csdata,"",@progbits
; Kernel info:
; codeLenInByte = 0
; TotalNumSgprs: 0
; NumVgprs: 0
; ScratchSize: 0
; MemoryBound: 0
; FloatMode: 240
; IeeeMode: 1
; LDSByteSize: 0 bytes/workgroup (compile time only)
; SGPRBlocks: 0
; VGPRBlocks: 0
; NumSGPRsForWavesPerEU: 1
; NumVGPRsForWavesPerEU: 1
; Occupancy: 16
; WaveLimiterHint : 0
; COMPUTE_PGM_RSRC2:SCRATCH_EN: 0
; COMPUTE_PGM_RSRC2:USER_SGPR: 2
; COMPUTE_PGM_RSRC2:TRAP_HANDLER: 0
; COMPUTE_PGM_RSRC2:TGID_X_EN: 1
; COMPUTE_PGM_RSRC2:TGID_Y_EN: 0
; COMPUTE_PGM_RSRC2:TGID_Z_EN: 0
; COMPUTE_PGM_RSRC2:TIDIG_COMP_CNT: 0
	.section	.text._ZN7rocprim17ROCPRIM_400000_NS6detail17trampoline_kernelINS0_14default_configENS1_25partition_config_selectorILNS1_17partition_subalgoE6EjNS0_10empty_typeEbEEZZNS1_14partition_implILS5_6ELb0ES3_mN6thrust23THRUST_200600_302600_NS6detail15normal_iteratorINSA_10device_ptrIjEEEEPS6_SG_NS0_5tupleIJSF_S6_EEENSH_IJSG_SG_EEES6_PlJNSB_9not_fun_tI7is_evenIjEEEEEE10hipError_tPvRmT3_T4_T5_T6_T7_T9_mT8_P12ihipStream_tbDpT10_ENKUlT_T0_E_clISt17integral_constantIbLb0EES17_IbLb1EEEEDaS13_S14_EUlS13_E_NS1_11comp_targetILNS1_3genE5ELNS1_11target_archE942ELNS1_3gpuE9ELNS1_3repE0EEENS1_30default_config_static_selectorELNS0_4arch9wavefront6targetE0EEEvT1_,"axG",@progbits,_ZN7rocprim17ROCPRIM_400000_NS6detail17trampoline_kernelINS0_14default_configENS1_25partition_config_selectorILNS1_17partition_subalgoE6EjNS0_10empty_typeEbEEZZNS1_14partition_implILS5_6ELb0ES3_mN6thrust23THRUST_200600_302600_NS6detail15normal_iteratorINSA_10device_ptrIjEEEEPS6_SG_NS0_5tupleIJSF_S6_EEENSH_IJSG_SG_EEES6_PlJNSB_9not_fun_tI7is_evenIjEEEEEE10hipError_tPvRmT3_T4_T5_T6_T7_T9_mT8_P12ihipStream_tbDpT10_ENKUlT_T0_E_clISt17integral_constantIbLb0EES17_IbLb1EEEEDaS13_S14_EUlS13_E_NS1_11comp_targetILNS1_3genE5ELNS1_11target_archE942ELNS1_3gpuE9ELNS1_3repE0EEENS1_30default_config_static_selectorELNS0_4arch9wavefront6targetE0EEEvT1_,comdat
	.protected	_ZN7rocprim17ROCPRIM_400000_NS6detail17trampoline_kernelINS0_14default_configENS1_25partition_config_selectorILNS1_17partition_subalgoE6EjNS0_10empty_typeEbEEZZNS1_14partition_implILS5_6ELb0ES3_mN6thrust23THRUST_200600_302600_NS6detail15normal_iteratorINSA_10device_ptrIjEEEEPS6_SG_NS0_5tupleIJSF_S6_EEENSH_IJSG_SG_EEES6_PlJNSB_9not_fun_tI7is_evenIjEEEEEE10hipError_tPvRmT3_T4_T5_T6_T7_T9_mT8_P12ihipStream_tbDpT10_ENKUlT_T0_E_clISt17integral_constantIbLb0EES17_IbLb1EEEEDaS13_S14_EUlS13_E_NS1_11comp_targetILNS1_3genE5ELNS1_11target_archE942ELNS1_3gpuE9ELNS1_3repE0EEENS1_30default_config_static_selectorELNS0_4arch9wavefront6targetE0EEEvT1_ ; -- Begin function _ZN7rocprim17ROCPRIM_400000_NS6detail17trampoline_kernelINS0_14default_configENS1_25partition_config_selectorILNS1_17partition_subalgoE6EjNS0_10empty_typeEbEEZZNS1_14partition_implILS5_6ELb0ES3_mN6thrust23THRUST_200600_302600_NS6detail15normal_iteratorINSA_10device_ptrIjEEEEPS6_SG_NS0_5tupleIJSF_S6_EEENSH_IJSG_SG_EEES6_PlJNSB_9not_fun_tI7is_evenIjEEEEEE10hipError_tPvRmT3_T4_T5_T6_T7_T9_mT8_P12ihipStream_tbDpT10_ENKUlT_T0_E_clISt17integral_constantIbLb0EES17_IbLb1EEEEDaS13_S14_EUlS13_E_NS1_11comp_targetILNS1_3genE5ELNS1_11target_archE942ELNS1_3gpuE9ELNS1_3repE0EEENS1_30default_config_static_selectorELNS0_4arch9wavefront6targetE0EEEvT1_
	.globl	_ZN7rocprim17ROCPRIM_400000_NS6detail17trampoline_kernelINS0_14default_configENS1_25partition_config_selectorILNS1_17partition_subalgoE6EjNS0_10empty_typeEbEEZZNS1_14partition_implILS5_6ELb0ES3_mN6thrust23THRUST_200600_302600_NS6detail15normal_iteratorINSA_10device_ptrIjEEEEPS6_SG_NS0_5tupleIJSF_S6_EEENSH_IJSG_SG_EEES6_PlJNSB_9not_fun_tI7is_evenIjEEEEEE10hipError_tPvRmT3_T4_T5_T6_T7_T9_mT8_P12ihipStream_tbDpT10_ENKUlT_T0_E_clISt17integral_constantIbLb0EES17_IbLb1EEEEDaS13_S14_EUlS13_E_NS1_11comp_targetILNS1_3genE5ELNS1_11target_archE942ELNS1_3gpuE9ELNS1_3repE0EEENS1_30default_config_static_selectorELNS0_4arch9wavefront6targetE0EEEvT1_
	.p2align	8
	.type	_ZN7rocprim17ROCPRIM_400000_NS6detail17trampoline_kernelINS0_14default_configENS1_25partition_config_selectorILNS1_17partition_subalgoE6EjNS0_10empty_typeEbEEZZNS1_14partition_implILS5_6ELb0ES3_mN6thrust23THRUST_200600_302600_NS6detail15normal_iteratorINSA_10device_ptrIjEEEEPS6_SG_NS0_5tupleIJSF_S6_EEENSH_IJSG_SG_EEES6_PlJNSB_9not_fun_tI7is_evenIjEEEEEE10hipError_tPvRmT3_T4_T5_T6_T7_T9_mT8_P12ihipStream_tbDpT10_ENKUlT_T0_E_clISt17integral_constantIbLb0EES17_IbLb1EEEEDaS13_S14_EUlS13_E_NS1_11comp_targetILNS1_3genE5ELNS1_11target_archE942ELNS1_3gpuE9ELNS1_3repE0EEENS1_30default_config_static_selectorELNS0_4arch9wavefront6targetE0EEEvT1_,@function
_ZN7rocprim17ROCPRIM_400000_NS6detail17trampoline_kernelINS0_14default_configENS1_25partition_config_selectorILNS1_17partition_subalgoE6EjNS0_10empty_typeEbEEZZNS1_14partition_implILS5_6ELb0ES3_mN6thrust23THRUST_200600_302600_NS6detail15normal_iteratorINSA_10device_ptrIjEEEEPS6_SG_NS0_5tupleIJSF_S6_EEENSH_IJSG_SG_EEES6_PlJNSB_9not_fun_tI7is_evenIjEEEEEE10hipError_tPvRmT3_T4_T5_T6_T7_T9_mT8_P12ihipStream_tbDpT10_ENKUlT_T0_E_clISt17integral_constantIbLb0EES17_IbLb1EEEEDaS13_S14_EUlS13_E_NS1_11comp_targetILNS1_3genE5ELNS1_11target_archE942ELNS1_3gpuE9ELNS1_3repE0EEENS1_30default_config_static_selectorELNS0_4arch9wavefront6targetE0EEEvT1_: ; @_ZN7rocprim17ROCPRIM_400000_NS6detail17trampoline_kernelINS0_14default_configENS1_25partition_config_selectorILNS1_17partition_subalgoE6EjNS0_10empty_typeEbEEZZNS1_14partition_implILS5_6ELb0ES3_mN6thrust23THRUST_200600_302600_NS6detail15normal_iteratorINSA_10device_ptrIjEEEEPS6_SG_NS0_5tupleIJSF_S6_EEENSH_IJSG_SG_EEES6_PlJNSB_9not_fun_tI7is_evenIjEEEEEE10hipError_tPvRmT3_T4_T5_T6_T7_T9_mT8_P12ihipStream_tbDpT10_ENKUlT_T0_E_clISt17integral_constantIbLb0EES17_IbLb1EEEEDaS13_S14_EUlS13_E_NS1_11comp_targetILNS1_3genE5ELNS1_11target_archE942ELNS1_3gpuE9ELNS1_3repE0EEENS1_30default_config_static_selectorELNS0_4arch9wavefront6targetE0EEEvT1_
; %bb.0:
	.section	.rodata,"a",@progbits
	.p2align	6, 0x0
	.amdhsa_kernel _ZN7rocprim17ROCPRIM_400000_NS6detail17trampoline_kernelINS0_14default_configENS1_25partition_config_selectorILNS1_17partition_subalgoE6EjNS0_10empty_typeEbEEZZNS1_14partition_implILS5_6ELb0ES3_mN6thrust23THRUST_200600_302600_NS6detail15normal_iteratorINSA_10device_ptrIjEEEEPS6_SG_NS0_5tupleIJSF_S6_EEENSH_IJSG_SG_EEES6_PlJNSB_9not_fun_tI7is_evenIjEEEEEE10hipError_tPvRmT3_T4_T5_T6_T7_T9_mT8_P12ihipStream_tbDpT10_ENKUlT_T0_E_clISt17integral_constantIbLb0EES17_IbLb1EEEEDaS13_S14_EUlS13_E_NS1_11comp_targetILNS1_3genE5ELNS1_11target_archE942ELNS1_3gpuE9ELNS1_3repE0EEENS1_30default_config_static_selectorELNS0_4arch9wavefront6targetE0EEEvT1_
		.amdhsa_group_segment_fixed_size 0
		.amdhsa_private_segment_fixed_size 0
		.amdhsa_kernarg_size 128
		.amdhsa_user_sgpr_count 2
		.amdhsa_user_sgpr_dispatch_ptr 0
		.amdhsa_user_sgpr_queue_ptr 0
		.amdhsa_user_sgpr_kernarg_segment_ptr 1
		.amdhsa_user_sgpr_dispatch_id 0
		.amdhsa_user_sgpr_private_segment_size 0
		.amdhsa_wavefront_size32 1
		.amdhsa_uses_dynamic_stack 0
		.amdhsa_enable_private_segment 0
		.amdhsa_system_sgpr_workgroup_id_x 1
		.amdhsa_system_sgpr_workgroup_id_y 0
		.amdhsa_system_sgpr_workgroup_id_z 0
		.amdhsa_system_sgpr_workgroup_info 0
		.amdhsa_system_vgpr_workitem_id 0
		.amdhsa_next_free_vgpr 1
		.amdhsa_next_free_sgpr 1
		.amdhsa_reserve_vcc 0
		.amdhsa_float_round_mode_32 0
		.amdhsa_float_round_mode_16_64 0
		.amdhsa_float_denorm_mode_32 3
		.amdhsa_float_denorm_mode_16_64 3
		.amdhsa_fp16_overflow 0
		.amdhsa_workgroup_processor_mode 1
		.amdhsa_memory_ordered 1
		.amdhsa_forward_progress 1
		.amdhsa_inst_pref_size 0
		.amdhsa_round_robin_scheduling 0
		.amdhsa_exception_fp_ieee_invalid_op 0
		.amdhsa_exception_fp_denorm_src 0
		.amdhsa_exception_fp_ieee_div_zero 0
		.amdhsa_exception_fp_ieee_overflow 0
		.amdhsa_exception_fp_ieee_underflow 0
		.amdhsa_exception_fp_ieee_inexact 0
		.amdhsa_exception_int_div_zero 0
	.end_amdhsa_kernel
	.section	.text._ZN7rocprim17ROCPRIM_400000_NS6detail17trampoline_kernelINS0_14default_configENS1_25partition_config_selectorILNS1_17partition_subalgoE6EjNS0_10empty_typeEbEEZZNS1_14partition_implILS5_6ELb0ES3_mN6thrust23THRUST_200600_302600_NS6detail15normal_iteratorINSA_10device_ptrIjEEEEPS6_SG_NS0_5tupleIJSF_S6_EEENSH_IJSG_SG_EEES6_PlJNSB_9not_fun_tI7is_evenIjEEEEEE10hipError_tPvRmT3_T4_T5_T6_T7_T9_mT8_P12ihipStream_tbDpT10_ENKUlT_T0_E_clISt17integral_constantIbLb0EES17_IbLb1EEEEDaS13_S14_EUlS13_E_NS1_11comp_targetILNS1_3genE5ELNS1_11target_archE942ELNS1_3gpuE9ELNS1_3repE0EEENS1_30default_config_static_selectorELNS0_4arch9wavefront6targetE0EEEvT1_,"axG",@progbits,_ZN7rocprim17ROCPRIM_400000_NS6detail17trampoline_kernelINS0_14default_configENS1_25partition_config_selectorILNS1_17partition_subalgoE6EjNS0_10empty_typeEbEEZZNS1_14partition_implILS5_6ELb0ES3_mN6thrust23THRUST_200600_302600_NS6detail15normal_iteratorINSA_10device_ptrIjEEEEPS6_SG_NS0_5tupleIJSF_S6_EEENSH_IJSG_SG_EEES6_PlJNSB_9not_fun_tI7is_evenIjEEEEEE10hipError_tPvRmT3_T4_T5_T6_T7_T9_mT8_P12ihipStream_tbDpT10_ENKUlT_T0_E_clISt17integral_constantIbLb0EES17_IbLb1EEEEDaS13_S14_EUlS13_E_NS1_11comp_targetILNS1_3genE5ELNS1_11target_archE942ELNS1_3gpuE9ELNS1_3repE0EEENS1_30default_config_static_selectorELNS0_4arch9wavefront6targetE0EEEvT1_,comdat
.Lfunc_end654:
	.size	_ZN7rocprim17ROCPRIM_400000_NS6detail17trampoline_kernelINS0_14default_configENS1_25partition_config_selectorILNS1_17partition_subalgoE6EjNS0_10empty_typeEbEEZZNS1_14partition_implILS5_6ELb0ES3_mN6thrust23THRUST_200600_302600_NS6detail15normal_iteratorINSA_10device_ptrIjEEEEPS6_SG_NS0_5tupleIJSF_S6_EEENSH_IJSG_SG_EEES6_PlJNSB_9not_fun_tI7is_evenIjEEEEEE10hipError_tPvRmT3_T4_T5_T6_T7_T9_mT8_P12ihipStream_tbDpT10_ENKUlT_T0_E_clISt17integral_constantIbLb0EES17_IbLb1EEEEDaS13_S14_EUlS13_E_NS1_11comp_targetILNS1_3genE5ELNS1_11target_archE942ELNS1_3gpuE9ELNS1_3repE0EEENS1_30default_config_static_selectorELNS0_4arch9wavefront6targetE0EEEvT1_, .Lfunc_end654-_ZN7rocprim17ROCPRIM_400000_NS6detail17trampoline_kernelINS0_14default_configENS1_25partition_config_selectorILNS1_17partition_subalgoE6EjNS0_10empty_typeEbEEZZNS1_14partition_implILS5_6ELb0ES3_mN6thrust23THRUST_200600_302600_NS6detail15normal_iteratorINSA_10device_ptrIjEEEEPS6_SG_NS0_5tupleIJSF_S6_EEENSH_IJSG_SG_EEES6_PlJNSB_9not_fun_tI7is_evenIjEEEEEE10hipError_tPvRmT3_T4_T5_T6_T7_T9_mT8_P12ihipStream_tbDpT10_ENKUlT_T0_E_clISt17integral_constantIbLb0EES17_IbLb1EEEEDaS13_S14_EUlS13_E_NS1_11comp_targetILNS1_3genE5ELNS1_11target_archE942ELNS1_3gpuE9ELNS1_3repE0EEENS1_30default_config_static_selectorELNS0_4arch9wavefront6targetE0EEEvT1_
                                        ; -- End function
	.set _ZN7rocprim17ROCPRIM_400000_NS6detail17trampoline_kernelINS0_14default_configENS1_25partition_config_selectorILNS1_17partition_subalgoE6EjNS0_10empty_typeEbEEZZNS1_14partition_implILS5_6ELb0ES3_mN6thrust23THRUST_200600_302600_NS6detail15normal_iteratorINSA_10device_ptrIjEEEEPS6_SG_NS0_5tupleIJSF_S6_EEENSH_IJSG_SG_EEES6_PlJNSB_9not_fun_tI7is_evenIjEEEEEE10hipError_tPvRmT3_T4_T5_T6_T7_T9_mT8_P12ihipStream_tbDpT10_ENKUlT_T0_E_clISt17integral_constantIbLb0EES17_IbLb1EEEEDaS13_S14_EUlS13_E_NS1_11comp_targetILNS1_3genE5ELNS1_11target_archE942ELNS1_3gpuE9ELNS1_3repE0EEENS1_30default_config_static_selectorELNS0_4arch9wavefront6targetE0EEEvT1_.num_vgpr, 0
	.set _ZN7rocprim17ROCPRIM_400000_NS6detail17trampoline_kernelINS0_14default_configENS1_25partition_config_selectorILNS1_17partition_subalgoE6EjNS0_10empty_typeEbEEZZNS1_14partition_implILS5_6ELb0ES3_mN6thrust23THRUST_200600_302600_NS6detail15normal_iteratorINSA_10device_ptrIjEEEEPS6_SG_NS0_5tupleIJSF_S6_EEENSH_IJSG_SG_EEES6_PlJNSB_9not_fun_tI7is_evenIjEEEEEE10hipError_tPvRmT3_T4_T5_T6_T7_T9_mT8_P12ihipStream_tbDpT10_ENKUlT_T0_E_clISt17integral_constantIbLb0EES17_IbLb1EEEEDaS13_S14_EUlS13_E_NS1_11comp_targetILNS1_3genE5ELNS1_11target_archE942ELNS1_3gpuE9ELNS1_3repE0EEENS1_30default_config_static_selectorELNS0_4arch9wavefront6targetE0EEEvT1_.num_agpr, 0
	.set _ZN7rocprim17ROCPRIM_400000_NS6detail17trampoline_kernelINS0_14default_configENS1_25partition_config_selectorILNS1_17partition_subalgoE6EjNS0_10empty_typeEbEEZZNS1_14partition_implILS5_6ELb0ES3_mN6thrust23THRUST_200600_302600_NS6detail15normal_iteratorINSA_10device_ptrIjEEEEPS6_SG_NS0_5tupleIJSF_S6_EEENSH_IJSG_SG_EEES6_PlJNSB_9not_fun_tI7is_evenIjEEEEEE10hipError_tPvRmT3_T4_T5_T6_T7_T9_mT8_P12ihipStream_tbDpT10_ENKUlT_T0_E_clISt17integral_constantIbLb0EES17_IbLb1EEEEDaS13_S14_EUlS13_E_NS1_11comp_targetILNS1_3genE5ELNS1_11target_archE942ELNS1_3gpuE9ELNS1_3repE0EEENS1_30default_config_static_selectorELNS0_4arch9wavefront6targetE0EEEvT1_.numbered_sgpr, 0
	.set _ZN7rocprim17ROCPRIM_400000_NS6detail17trampoline_kernelINS0_14default_configENS1_25partition_config_selectorILNS1_17partition_subalgoE6EjNS0_10empty_typeEbEEZZNS1_14partition_implILS5_6ELb0ES3_mN6thrust23THRUST_200600_302600_NS6detail15normal_iteratorINSA_10device_ptrIjEEEEPS6_SG_NS0_5tupleIJSF_S6_EEENSH_IJSG_SG_EEES6_PlJNSB_9not_fun_tI7is_evenIjEEEEEE10hipError_tPvRmT3_T4_T5_T6_T7_T9_mT8_P12ihipStream_tbDpT10_ENKUlT_T0_E_clISt17integral_constantIbLb0EES17_IbLb1EEEEDaS13_S14_EUlS13_E_NS1_11comp_targetILNS1_3genE5ELNS1_11target_archE942ELNS1_3gpuE9ELNS1_3repE0EEENS1_30default_config_static_selectorELNS0_4arch9wavefront6targetE0EEEvT1_.num_named_barrier, 0
	.set _ZN7rocprim17ROCPRIM_400000_NS6detail17trampoline_kernelINS0_14default_configENS1_25partition_config_selectorILNS1_17partition_subalgoE6EjNS0_10empty_typeEbEEZZNS1_14partition_implILS5_6ELb0ES3_mN6thrust23THRUST_200600_302600_NS6detail15normal_iteratorINSA_10device_ptrIjEEEEPS6_SG_NS0_5tupleIJSF_S6_EEENSH_IJSG_SG_EEES6_PlJNSB_9not_fun_tI7is_evenIjEEEEEE10hipError_tPvRmT3_T4_T5_T6_T7_T9_mT8_P12ihipStream_tbDpT10_ENKUlT_T0_E_clISt17integral_constantIbLb0EES17_IbLb1EEEEDaS13_S14_EUlS13_E_NS1_11comp_targetILNS1_3genE5ELNS1_11target_archE942ELNS1_3gpuE9ELNS1_3repE0EEENS1_30default_config_static_selectorELNS0_4arch9wavefront6targetE0EEEvT1_.private_seg_size, 0
	.set _ZN7rocprim17ROCPRIM_400000_NS6detail17trampoline_kernelINS0_14default_configENS1_25partition_config_selectorILNS1_17partition_subalgoE6EjNS0_10empty_typeEbEEZZNS1_14partition_implILS5_6ELb0ES3_mN6thrust23THRUST_200600_302600_NS6detail15normal_iteratorINSA_10device_ptrIjEEEEPS6_SG_NS0_5tupleIJSF_S6_EEENSH_IJSG_SG_EEES6_PlJNSB_9not_fun_tI7is_evenIjEEEEEE10hipError_tPvRmT3_T4_T5_T6_T7_T9_mT8_P12ihipStream_tbDpT10_ENKUlT_T0_E_clISt17integral_constantIbLb0EES17_IbLb1EEEEDaS13_S14_EUlS13_E_NS1_11comp_targetILNS1_3genE5ELNS1_11target_archE942ELNS1_3gpuE9ELNS1_3repE0EEENS1_30default_config_static_selectorELNS0_4arch9wavefront6targetE0EEEvT1_.uses_vcc, 0
	.set _ZN7rocprim17ROCPRIM_400000_NS6detail17trampoline_kernelINS0_14default_configENS1_25partition_config_selectorILNS1_17partition_subalgoE6EjNS0_10empty_typeEbEEZZNS1_14partition_implILS5_6ELb0ES3_mN6thrust23THRUST_200600_302600_NS6detail15normal_iteratorINSA_10device_ptrIjEEEEPS6_SG_NS0_5tupleIJSF_S6_EEENSH_IJSG_SG_EEES6_PlJNSB_9not_fun_tI7is_evenIjEEEEEE10hipError_tPvRmT3_T4_T5_T6_T7_T9_mT8_P12ihipStream_tbDpT10_ENKUlT_T0_E_clISt17integral_constantIbLb0EES17_IbLb1EEEEDaS13_S14_EUlS13_E_NS1_11comp_targetILNS1_3genE5ELNS1_11target_archE942ELNS1_3gpuE9ELNS1_3repE0EEENS1_30default_config_static_selectorELNS0_4arch9wavefront6targetE0EEEvT1_.uses_flat_scratch, 0
	.set _ZN7rocprim17ROCPRIM_400000_NS6detail17trampoline_kernelINS0_14default_configENS1_25partition_config_selectorILNS1_17partition_subalgoE6EjNS0_10empty_typeEbEEZZNS1_14partition_implILS5_6ELb0ES3_mN6thrust23THRUST_200600_302600_NS6detail15normal_iteratorINSA_10device_ptrIjEEEEPS6_SG_NS0_5tupleIJSF_S6_EEENSH_IJSG_SG_EEES6_PlJNSB_9not_fun_tI7is_evenIjEEEEEE10hipError_tPvRmT3_T4_T5_T6_T7_T9_mT8_P12ihipStream_tbDpT10_ENKUlT_T0_E_clISt17integral_constantIbLb0EES17_IbLb1EEEEDaS13_S14_EUlS13_E_NS1_11comp_targetILNS1_3genE5ELNS1_11target_archE942ELNS1_3gpuE9ELNS1_3repE0EEENS1_30default_config_static_selectorELNS0_4arch9wavefront6targetE0EEEvT1_.has_dyn_sized_stack, 0
	.set _ZN7rocprim17ROCPRIM_400000_NS6detail17trampoline_kernelINS0_14default_configENS1_25partition_config_selectorILNS1_17partition_subalgoE6EjNS0_10empty_typeEbEEZZNS1_14partition_implILS5_6ELb0ES3_mN6thrust23THRUST_200600_302600_NS6detail15normal_iteratorINSA_10device_ptrIjEEEEPS6_SG_NS0_5tupleIJSF_S6_EEENSH_IJSG_SG_EEES6_PlJNSB_9not_fun_tI7is_evenIjEEEEEE10hipError_tPvRmT3_T4_T5_T6_T7_T9_mT8_P12ihipStream_tbDpT10_ENKUlT_T0_E_clISt17integral_constantIbLb0EES17_IbLb1EEEEDaS13_S14_EUlS13_E_NS1_11comp_targetILNS1_3genE5ELNS1_11target_archE942ELNS1_3gpuE9ELNS1_3repE0EEENS1_30default_config_static_selectorELNS0_4arch9wavefront6targetE0EEEvT1_.has_recursion, 0
	.set _ZN7rocprim17ROCPRIM_400000_NS6detail17trampoline_kernelINS0_14default_configENS1_25partition_config_selectorILNS1_17partition_subalgoE6EjNS0_10empty_typeEbEEZZNS1_14partition_implILS5_6ELb0ES3_mN6thrust23THRUST_200600_302600_NS6detail15normal_iteratorINSA_10device_ptrIjEEEEPS6_SG_NS0_5tupleIJSF_S6_EEENSH_IJSG_SG_EEES6_PlJNSB_9not_fun_tI7is_evenIjEEEEEE10hipError_tPvRmT3_T4_T5_T6_T7_T9_mT8_P12ihipStream_tbDpT10_ENKUlT_T0_E_clISt17integral_constantIbLb0EES17_IbLb1EEEEDaS13_S14_EUlS13_E_NS1_11comp_targetILNS1_3genE5ELNS1_11target_archE942ELNS1_3gpuE9ELNS1_3repE0EEENS1_30default_config_static_selectorELNS0_4arch9wavefront6targetE0EEEvT1_.has_indirect_call, 0
	.section	.AMDGPU.csdata,"",@progbits
; Kernel info:
; codeLenInByte = 0
; TotalNumSgprs: 0
; NumVgprs: 0
; ScratchSize: 0
; MemoryBound: 0
; FloatMode: 240
; IeeeMode: 1
; LDSByteSize: 0 bytes/workgroup (compile time only)
; SGPRBlocks: 0
; VGPRBlocks: 0
; NumSGPRsForWavesPerEU: 1
; NumVGPRsForWavesPerEU: 1
; Occupancy: 16
; WaveLimiterHint : 0
; COMPUTE_PGM_RSRC2:SCRATCH_EN: 0
; COMPUTE_PGM_RSRC2:USER_SGPR: 2
; COMPUTE_PGM_RSRC2:TRAP_HANDLER: 0
; COMPUTE_PGM_RSRC2:TGID_X_EN: 1
; COMPUTE_PGM_RSRC2:TGID_Y_EN: 0
; COMPUTE_PGM_RSRC2:TGID_Z_EN: 0
; COMPUTE_PGM_RSRC2:TIDIG_COMP_CNT: 0
	.section	.text._ZN7rocprim17ROCPRIM_400000_NS6detail17trampoline_kernelINS0_14default_configENS1_25partition_config_selectorILNS1_17partition_subalgoE6EjNS0_10empty_typeEbEEZZNS1_14partition_implILS5_6ELb0ES3_mN6thrust23THRUST_200600_302600_NS6detail15normal_iteratorINSA_10device_ptrIjEEEEPS6_SG_NS0_5tupleIJSF_S6_EEENSH_IJSG_SG_EEES6_PlJNSB_9not_fun_tI7is_evenIjEEEEEE10hipError_tPvRmT3_T4_T5_T6_T7_T9_mT8_P12ihipStream_tbDpT10_ENKUlT_T0_E_clISt17integral_constantIbLb0EES17_IbLb1EEEEDaS13_S14_EUlS13_E_NS1_11comp_targetILNS1_3genE4ELNS1_11target_archE910ELNS1_3gpuE8ELNS1_3repE0EEENS1_30default_config_static_selectorELNS0_4arch9wavefront6targetE0EEEvT1_,"axG",@progbits,_ZN7rocprim17ROCPRIM_400000_NS6detail17trampoline_kernelINS0_14default_configENS1_25partition_config_selectorILNS1_17partition_subalgoE6EjNS0_10empty_typeEbEEZZNS1_14partition_implILS5_6ELb0ES3_mN6thrust23THRUST_200600_302600_NS6detail15normal_iteratorINSA_10device_ptrIjEEEEPS6_SG_NS0_5tupleIJSF_S6_EEENSH_IJSG_SG_EEES6_PlJNSB_9not_fun_tI7is_evenIjEEEEEE10hipError_tPvRmT3_T4_T5_T6_T7_T9_mT8_P12ihipStream_tbDpT10_ENKUlT_T0_E_clISt17integral_constantIbLb0EES17_IbLb1EEEEDaS13_S14_EUlS13_E_NS1_11comp_targetILNS1_3genE4ELNS1_11target_archE910ELNS1_3gpuE8ELNS1_3repE0EEENS1_30default_config_static_selectorELNS0_4arch9wavefront6targetE0EEEvT1_,comdat
	.protected	_ZN7rocprim17ROCPRIM_400000_NS6detail17trampoline_kernelINS0_14default_configENS1_25partition_config_selectorILNS1_17partition_subalgoE6EjNS0_10empty_typeEbEEZZNS1_14partition_implILS5_6ELb0ES3_mN6thrust23THRUST_200600_302600_NS6detail15normal_iteratorINSA_10device_ptrIjEEEEPS6_SG_NS0_5tupleIJSF_S6_EEENSH_IJSG_SG_EEES6_PlJNSB_9not_fun_tI7is_evenIjEEEEEE10hipError_tPvRmT3_T4_T5_T6_T7_T9_mT8_P12ihipStream_tbDpT10_ENKUlT_T0_E_clISt17integral_constantIbLb0EES17_IbLb1EEEEDaS13_S14_EUlS13_E_NS1_11comp_targetILNS1_3genE4ELNS1_11target_archE910ELNS1_3gpuE8ELNS1_3repE0EEENS1_30default_config_static_selectorELNS0_4arch9wavefront6targetE0EEEvT1_ ; -- Begin function _ZN7rocprim17ROCPRIM_400000_NS6detail17trampoline_kernelINS0_14default_configENS1_25partition_config_selectorILNS1_17partition_subalgoE6EjNS0_10empty_typeEbEEZZNS1_14partition_implILS5_6ELb0ES3_mN6thrust23THRUST_200600_302600_NS6detail15normal_iteratorINSA_10device_ptrIjEEEEPS6_SG_NS0_5tupleIJSF_S6_EEENSH_IJSG_SG_EEES6_PlJNSB_9not_fun_tI7is_evenIjEEEEEE10hipError_tPvRmT3_T4_T5_T6_T7_T9_mT8_P12ihipStream_tbDpT10_ENKUlT_T0_E_clISt17integral_constantIbLb0EES17_IbLb1EEEEDaS13_S14_EUlS13_E_NS1_11comp_targetILNS1_3genE4ELNS1_11target_archE910ELNS1_3gpuE8ELNS1_3repE0EEENS1_30default_config_static_selectorELNS0_4arch9wavefront6targetE0EEEvT1_
	.globl	_ZN7rocprim17ROCPRIM_400000_NS6detail17trampoline_kernelINS0_14default_configENS1_25partition_config_selectorILNS1_17partition_subalgoE6EjNS0_10empty_typeEbEEZZNS1_14partition_implILS5_6ELb0ES3_mN6thrust23THRUST_200600_302600_NS6detail15normal_iteratorINSA_10device_ptrIjEEEEPS6_SG_NS0_5tupleIJSF_S6_EEENSH_IJSG_SG_EEES6_PlJNSB_9not_fun_tI7is_evenIjEEEEEE10hipError_tPvRmT3_T4_T5_T6_T7_T9_mT8_P12ihipStream_tbDpT10_ENKUlT_T0_E_clISt17integral_constantIbLb0EES17_IbLb1EEEEDaS13_S14_EUlS13_E_NS1_11comp_targetILNS1_3genE4ELNS1_11target_archE910ELNS1_3gpuE8ELNS1_3repE0EEENS1_30default_config_static_selectorELNS0_4arch9wavefront6targetE0EEEvT1_
	.p2align	8
	.type	_ZN7rocprim17ROCPRIM_400000_NS6detail17trampoline_kernelINS0_14default_configENS1_25partition_config_selectorILNS1_17partition_subalgoE6EjNS0_10empty_typeEbEEZZNS1_14partition_implILS5_6ELb0ES3_mN6thrust23THRUST_200600_302600_NS6detail15normal_iteratorINSA_10device_ptrIjEEEEPS6_SG_NS0_5tupleIJSF_S6_EEENSH_IJSG_SG_EEES6_PlJNSB_9not_fun_tI7is_evenIjEEEEEE10hipError_tPvRmT3_T4_T5_T6_T7_T9_mT8_P12ihipStream_tbDpT10_ENKUlT_T0_E_clISt17integral_constantIbLb0EES17_IbLb1EEEEDaS13_S14_EUlS13_E_NS1_11comp_targetILNS1_3genE4ELNS1_11target_archE910ELNS1_3gpuE8ELNS1_3repE0EEENS1_30default_config_static_selectorELNS0_4arch9wavefront6targetE0EEEvT1_,@function
_ZN7rocprim17ROCPRIM_400000_NS6detail17trampoline_kernelINS0_14default_configENS1_25partition_config_selectorILNS1_17partition_subalgoE6EjNS0_10empty_typeEbEEZZNS1_14partition_implILS5_6ELb0ES3_mN6thrust23THRUST_200600_302600_NS6detail15normal_iteratorINSA_10device_ptrIjEEEEPS6_SG_NS0_5tupleIJSF_S6_EEENSH_IJSG_SG_EEES6_PlJNSB_9not_fun_tI7is_evenIjEEEEEE10hipError_tPvRmT3_T4_T5_T6_T7_T9_mT8_P12ihipStream_tbDpT10_ENKUlT_T0_E_clISt17integral_constantIbLb0EES17_IbLb1EEEEDaS13_S14_EUlS13_E_NS1_11comp_targetILNS1_3genE4ELNS1_11target_archE910ELNS1_3gpuE8ELNS1_3repE0EEENS1_30default_config_static_selectorELNS0_4arch9wavefront6targetE0EEEvT1_: ; @_ZN7rocprim17ROCPRIM_400000_NS6detail17trampoline_kernelINS0_14default_configENS1_25partition_config_selectorILNS1_17partition_subalgoE6EjNS0_10empty_typeEbEEZZNS1_14partition_implILS5_6ELb0ES3_mN6thrust23THRUST_200600_302600_NS6detail15normal_iteratorINSA_10device_ptrIjEEEEPS6_SG_NS0_5tupleIJSF_S6_EEENSH_IJSG_SG_EEES6_PlJNSB_9not_fun_tI7is_evenIjEEEEEE10hipError_tPvRmT3_T4_T5_T6_T7_T9_mT8_P12ihipStream_tbDpT10_ENKUlT_T0_E_clISt17integral_constantIbLb0EES17_IbLb1EEEEDaS13_S14_EUlS13_E_NS1_11comp_targetILNS1_3genE4ELNS1_11target_archE910ELNS1_3gpuE8ELNS1_3repE0EEENS1_30default_config_static_selectorELNS0_4arch9wavefront6targetE0EEEvT1_
; %bb.0:
	.section	.rodata,"a",@progbits
	.p2align	6, 0x0
	.amdhsa_kernel _ZN7rocprim17ROCPRIM_400000_NS6detail17trampoline_kernelINS0_14default_configENS1_25partition_config_selectorILNS1_17partition_subalgoE6EjNS0_10empty_typeEbEEZZNS1_14partition_implILS5_6ELb0ES3_mN6thrust23THRUST_200600_302600_NS6detail15normal_iteratorINSA_10device_ptrIjEEEEPS6_SG_NS0_5tupleIJSF_S6_EEENSH_IJSG_SG_EEES6_PlJNSB_9not_fun_tI7is_evenIjEEEEEE10hipError_tPvRmT3_T4_T5_T6_T7_T9_mT8_P12ihipStream_tbDpT10_ENKUlT_T0_E_clISt17integral_constantIbLb0EES17_IbLb1EEEEDaS13_S14_EUlS13_E_NS1_11comp_targetILNS1_3genE4ELNS1_11target_archE910ELNS1_3gpuE8ELNS1_3repE0EEENS1_30default_config_static_selectorELNS0_4arch9wavefront6targetE0EEEvT1_
		.amdhsa_group_segment_fixed_size 0
		.amdhsa_private_segment_fixed_size 0
		.amdhsa_kernarg_size 128
		.amdhsa_user_sgpr_count 2
		.amdhsa_user_sgpr_dispatch_ptr 0
		.amdhsa_user_sgpr_queue_ptr 0
		.amdhsa_user_sgpr_kernarg_segment_ptr 1
		.amdhsa_user_sgpr_dispatch_id 0
		.amdhsa_user_sgpr_private_segment_size 0
		.amdhsa_wavefront_size32 1
		.amdhsa_uses_dynamic_stack 0
		.amdhsa_enable_private_segment 0
		.amdhsa_system_sgpr_workgroup_id_x 1
		.amdhsa_system_sgpr_workgroup_id_y 0
		.amdhsa_system_sgpr_workgroup_id_z 0
		.amdhsa_system_sgpr_workgroup_info 0
		.amdhsa_system_vgpr_workitem_id 0
		.amdhsa_next_free_vgpr 1
		.amdhsa_next_free_sgpr 1
		.amdhsa_reserve_vcc 0
		.amdhsa_float_round_mode_32 0
		.amdhsa_float_round_mode_16_64 0
		.amdhsa_float_denorm_mode_32 3
		.amdhsa_float_denorm_mode_16_64 3
		.amdhsa_fp16_overflow 0
		.amdhsa_workgroup_processor_mode 1
		.amdhsa_memory_ordered 1
		.amdhsa_forward_progress 1
		.amdhsa_inst_pref_size 0
		.amdhsa_round_robin_scheduling 0
		.amdhsa_exception_fp_ieee_invalid_op 0
		.amdhsa_exception_fp_denorm_src 0
		.amdhsa_exception_fp_ieee_div_zero 0
		.amdhsa_exception_fp_ieee_overflow 0
		.amdhsa_exception_fp_ieee_underflow 0
		.amdhsa_exception_fp_ieee_inexact 0
		.amdhsa_exception_int_div_zero 0
	.end_amdhsa_kernel
	.section	.text._ZN7rocprim17ROCPRIM_400000_NS6detail17trampoline_kernelINS0_14default_configENS1_25partition_config_selectorILNS1_17partition_subalgoE6EjNS0_10empty_typeEbEEZZNS1_14partition_implILS5_6ELb0ES3_mN6thrust23THRUST_200600_302600_NS6detail15normal_iteratorINSA_10device_ptrIjEEEEPS6_SG_NS0_5tupleIJSF_S6_EEENSH_IJSG_SG_EEES6_PlJNSB_9not_fun_tI7is_evenIjEEEEEE10hipError_tPvRmT3_T4_T5_T6_T7_T9_mT8_P12ihipStream_tbDpT10_ENKUlT_T0_E_clISt17integral_constantIbLb0EES17_IbLb1EEEEDaS13_S14_EUlS13_E_NS1_11comp_targetILNS1_3genE4ELNS1_11target_archE910ELNS1_3gpuE8ELNS1_3repE0EEENS1_30default_config_static_selectorELNS0_4arch9wavefront6targetE0EEEvT1_,"axG",@progbits,_ZN7rocprim17ROCPRIM_400000_NS6detail17trampoline_kernelINS0_14default_configENS1_25partition_config_selectorILNS1_17partition_subalgoE6EjNS0_10empty_typeEbEEZZNS1_14partition_implILS5_6ELb0ES3_mN6thrust23THRUST_200600_302600_NS6detail15normal_iteratorINSA_10device_ptrIjEEEEPS6_SG_NS0_5tupleIJSF_S6_EEENSH_IJSG_SG_EEES6_PlJNSB_9not_fun_tI7is_evenIjEEEEEE10hipError_tPvRmT3_T4_T5_T6_T7_T9_mT8_P12ihipStream_tbDpT10_ENKUlT_T0_E_clISt17integral_constantIbLb0EES17_IbLb1EEEEDaS13_S14_EUlS13_E_NS1_11comp_targetILNS1_3genE4ELNS1_11target_archE910ELNS1_3gpuE8ELNS1_3repE0EEENS1_30default_config_static_selectorELNS0_4arch9wavefront6targetE0EEEvT1_,comdat
.Lfunc_end655:
	.size	_ZN7rocprim17ROCPRIM_400000_NS6detail17trampoline_kernelINS0_14default_configENS1_25partition_config_selectorILNS1_17partition_subalgoE6EjNS0_10empty_typeEbEEZZNS1_14partition_implILS5_6ELb0ES3_mN6thrust23THRUST_200600_302600_NS6detail15normal_iteratorINSA_10device_ptrIjEEEEPS6_SG_NS0_5tupleIJSF_S6_EEENSH_IJSG_SG_EEES6_PlJNSB_9not_fun_tI7is_evenIjEEEEEE10hipError_tPvRmT3_T4_T5_T6_T7_T9_mT8_P12ihipStream_tbDpT10_ENKUlT_T0_E_clISt17integral_constantIbLb0EES17_IbLb1EEEEDaS13_S14_EUlS13_E_NS1_11comp_targetILNS1_3genE4ELNS1_11target_archE910ELNS1_3gpuE8ELNS1_3repE0EEENS1_30default_config_static_selectorELNS0_4arch9wavefront6targetE0EEEvT1_, .Lfunc_end655-_ZN7rocprim17ROCPRIM_400000_NS6detail17trampoline_kernelINS0_14default_configENS1_25partition_config_selectorILNS1_17partition_subalgoE6EjNS0_10empty_typeEbEEZZNS1_14partition_implILS5_6ELb0ES3_mN6thrust23THRUST_200600_302600_NS6detail15normal_iteratorINSA_10device_ptrIjEEEEPS6_SG_NS0_5tupleIJSF_S6_EEENSH_IJSG_SG_EEES6_PlJNSB_9not_fun_tI7is_evenIjEEEEEE10hipError_tPvRmT3_T4_T5_T6_T7_T9_mT8_P12ihipStream_tbDpT10_ENKUlT_T0_E_clISt17integral_constantIbLb0EES17_IbLb1EEEEDaS13_S14_EUlS13_E_NS1_11comp_targetILNS1_3genE4ELNS1_11target_archE910ELNS1_3gpuE8ELNS1_3repE0EEENS1_30default_config_static_selectorELNS0_4arch9wavefront6targetE0EEEvT1_
                                        ; -- End function
	.set _ZN7rocprim17ROCPRIM_400000_NS6detail17trampoline_kernelINS0_14default_configENS1_25partition_config_selectorILNS1_17partition_subalgoE6EjNS0_10empty_typeEbEEZZNS1_14partition_implILS5_6ELb0ES3_mN6thrust23THRUST_200600_302600_NS6detail15normal_iteratorINSA_10device_ptrIjEEEEPS6_SG_NS0_5tupleIJSF_S6_EEENSH_IJSG_SG_EEES6_PlJNSB_9not_fun_tI7is_evenIjEEEEEE10hipError_tPvRmT3_T4_T5_T6_T7_T9_mT8_P12ihipStream_tbDpT10_ENKUlT_T0_E_clISt17integral_constantIbLb0EES17_IbLb1EEEEDaS13_S14_EUlS13_E_NS1_11comp_targetILNS1_3genE4ELNS1_11target_archE910ELNS1_3gpuE8ELNS1_3repE0EEENS1_30default_config_static_selectorELNS0_4arch9wavefront6targetE0EEEvT1_.num_vgpr, 0
	.set _ZN7rocprim17ROCPRIM_400000_NS6detail17trampoline_kernelINS0_14default_configENS1_25partition_config_selectorILNS1_17partition_subalgoE6EjNS0_10empty_typeEbEEZZNS1_14partition_implILS5_6ELb0ES3_mN6thrust23THRUST_200600_302600_NS6detail15normal_iteratorINSA_10device_ptrIjEEEEPS6_SG_NS0_5tupleIJSF_S6_EEENSH_IJSG_SG_EEES6_PlJNSB_9not_fun_tI7is_evenIjEEEEEE10hipError_tPvRmT3_T4_T5_T6_T7_T9_mT8_P12ihipStream_tbDpT10_ENKUlT_T0_E_clISt17integral_constantIbLb0EES17_IbLb1EEEEDaS13_S14_EUlS13_E_NS1_11comp_targetILNS1_3genE4ELNS1_11target_archE910ELNS1_3gpuE8ELNS1_3repE0EEENS1_30default_config_static_selectorELNS0_4arch9wavefront6targetE0EEEvT1_.num_agpr, 0
	.set _ZN7rocprim17ROCPRIM_400000_NS6detail17trampoline_kernelINS0_14default_configENS1_25partition_config_selectorILNS1_17partition_subalgoE6EjNS0_10empty_typeEbEEZZNS1_14partition_implILS5_6ELb0ES3_mN6thrust23THRUST_200600_302600_NS6detail15normal_iteratorINSA_10device_ptrIjEEEEPS6_SG_NS0_5tupleIJSF_S6_EEENSH_IJSG_SG_EEES6_PlJNSB_9not_fun_tI7is_evenIjEEEEEE10hipError_tPvRmT3_T4_T5_T6_T7_T9_mT8_P12ihipStream_tbDpT10_ENKUlT_T0_E_clISt17integral_constantIbLb0EES17_IbLb1EEEEDaS13_S14_EUlS13_E_NS1_11comp_targetILNS1_3genE4ELNS1_11target_archE910ELNS1_3gpuE8ELNS1_3repE0EEENS1_30default_config_static_selectorELNS0_4arch9wavefront6targetE0EEEvT1_.numbered_sgpr, 0
	.set _ZN7rocprim17ROCPRIM_400000_NS6detail17trampoline_kernelINS0_14default_configENS1_25partition_config_selectorILNS1_17partition_subalgoE6EjNS0_10empty_typeEbEEZZNS1_14partition_implILS5_6ELb0ES3_mN6thrust23THRUST_200600_302600_NS6detail15normal_iteratorINSA_10device_ptrIjEEEEPS6_SG_NS0_5tupleIJSF_S6_EEENSH_IJSG_SG_EEES6_PlJNSB_9not_fun_tI7is_evenIjEEEEEE10hipError_tPvRmT3_T4_T5_T6_T7_T9_mT8_P12ihipStream_tbDpT10_ENKUlT_T0_E_clISt17integral_constantIbLb0EES17_IbLb1EEEEDaS13_S14_EUlS13_E_NS1_11comp_targetILNS1_3genE4ELNS1_11target_archE910ELNS1_3gpuE8ELNS1_3repE0EEENS1_30default_config_static_selectorELNS0_4arch9wavefront6targetE0EEEvT1_.num_named_barrier, 0
	.set _ZN7rocprim17ROCPRIM_400000_NS6detail17trampoline_kernelINS0_14default_configENS1_25partition_config_selectorILNS1_17partition_subalgoE6EjNS0_10empty_typeEbEEZZNS1_14partition_implILS5_6ELb0ES3_mN6thrust23THRUST_200600_302600_NS6detail15normal_iteratorINSA_10device_ptrIjEEEEPS6_SG_NS0_5tupleIJSF_S6_EEENSH_IJSG_SG_EEES6_PlJNSB_9not_fun_tI7is_evenIjEEEEEE10hipError_tPvRmT3_T4_T5_T6_T7_T9_mT8_P12ihipStream_tbDpT10_ENKUlT_T0_E_clISt17integral_constantIbLb0EES17_IbLb1EEEEDaS13_S14_EUlS13_E_NS1_11comp_targetILNS1_3genE4ELNS1_11target_archE910ELNS1_3gpuE8ELNS1_3repE0EEENS1_30default_config_static_selectorELNS0_4arch9wavefront6targetE0EEEvT1_.private_seg_size, 0
	.set _ZN7rocprim17ROCPRIM_400000_NS6detail17trampoline_kernelINS0_14default_configENS1_25partition_config_selectorILNS1_17partition_subalgoE6EjNS0_10empty_typeEbEEZZNS1_14partition_implILS5_6ELb0ES3_mN6thrust23THRUST_200600_302600_NS6detail15normal_iteratorINSA_10device_ptrIjEEEEPS6_SG_NS0_5tupleIJSF_S6_EEENSH_IJSG_SG_EEES6_PlJNSB_9not_fun_tI7is_evenIjEEEEEE10hipError_tPvRmT3_T4_T5_T6_T7_T9_mT8_P12ihipStream_tbDpT10_ENKUlT_T0_E_clISt17integral_constantIbLb0EES17_IbLb1EEEEDaS13_S14_EUlS13_E_NS1_11comp_targetILNS1_3genE4ELNS1_11target_archE910ELNS1_3gpuE8ELNS1_3repE0EEENS1_30default_config_static_selectorELNS0_4arch9wavefront6targetE0EEEvT1_.uses_vcc, 0
	.set _ZN7rocprim17ROCPRIM_400000_NS6detail17trampoline_kernelINS0_14default_configENS1_25partition_config_selectorILNS1_17partition_subalgoE6EjNS0_10empty_typeEbEEZZNS1_14partition_implILS5_6ELb0ES3_mN6thrust23THRUST_200600_302600_NS6detail15normal_iteratorINSA_10device_ptrIjEEEEPS6_SG_NS0_5tupleIJSF_S6_EEENSH_IJSG_SG_EEES6_PlJNSB_9not_fun_tI7is_evenIjEEEEEE10hipError_tPvRmT3_T4_T5_T6_T7_T9_mT8_P12ihipStream_tbDpT10_ENKUlT_T0_E_clISt17integral_constantIbLb0EES17_IbLb1EEEEDaS13_S14_EUlS13_E_NS1_11comp_targetILNS1_3genE4ELNS1_11target_archE910ELNS1_3gpuE8ELNS1_3repE0EEENS1_30default_config_static_selectorELNS0_4arch9wavefront6targetE0EEEvT1_.uses_flat_scratch, 0
	.set _ZN7rocprim17ROCPRIM_400000_NS6detail17trampoline_kernelINS0_14default_configENS1_25partition_config_selectorILNS1_17partition_subalgoE6EjNS0_10empty_typeEbEEZZNS1_14partition_implILS5_6ELb0ES3_mN6thrust23THRUST_200600_302600_NS6detail15normal_iteratorINSA_10device_ptrIjEEEEPS6_SG_NS0_5tupleIJSF_S6_EEENSH_IJSG_SG_EEES6_PlJNSB_9not_fun_tI7is_evenIjEEEEEE10hipError_tPvRmT3_T4_T5_T6_T7_T9_mT8_P12ihipStream_tbDpT10_ENKUlT_T0_E_clISt17integral_constantIbLb0EES17_IbLb1EEEEDaS13_S14_EUlS13_E_NS1_11comp_targetILNS1_3genE4ELNS1_11target_archE910ELNS1_3gpuE8ELNS1_3repE0EEENS1_30default_config_static_selectorELNS0_4arch9wavefront6targetE0EEEvT1_.has_dyn_sized_stack, 0
	.set _ZN7rocprim17ROCPRIM_400000_NS6detail17trampoline_kernelINS0_14default_configENS1_25partition_config_selectorILNS1_17partition_subalgoE6EjNS0_10empty_typeEbEEZZNS1_14partition_implILS5_6ELb0ES3_mN6thrust23THRUST_200600_302600_NS6detail15normal_iteratorINSA_10device_ptrIjEEEEPS6_SG_NS0_5tupleIJSF_S6_EEENSH_IJSG_SG_EEES6_PlJNSB_9not_fun_tI7is_evenIjEEEEEE10hipError_tPvRmT3_T4_T5_T6_T7_T9_mT8_P12ihipStream_tbDpT10_ENKUlT_T0_E_clISt17integral_constantIbLb0EES17_IbLb1EEEEDaS13_S14_EUlS13_E_NS1_11comp_targetILNS1_3genE4ELNS1_11target_archE910ELNS1_3gpuE8ELNS1_3repE0EEENS1_30default_config_static_selectorELNS0_4arch9wavefront6targetE0EEEvT1_.has_recursion, 0
	.set _ZN7rocprim17ROCPRIM_400000_NS6detail17trampoline_kernelINS0_14default_configENS1_25partition_config_selectorILNS1_17partition_subalgoE6EjNS0_10empty_typeEbEEZZNS1_14partition_implILS5_6ELb0ES3_mN6thrust23THRUST_200600_302600_NS6detail15normal_iteratorINSA_10device_ptrIjEEEEPS6_SG_NS0_5tupleIJSF_S6_EEENSH_IJSG_SG_EEES6_PlJNSB_9not_fun_tI7is_evenIjEEEEEE10hipError_tPvRmT3_T4_T5_T6_T7_T9_mT8_P12ihipStream_tbDpT10_ENKUlT_T0_E_clISt17integral_constantIbLb0EES17_IbLb1EEEEDaS13_S14_EUlS13_E_NS1_11comp_targetILNS1_3genE4ELNS1_11target_archE910ELNS1_3gpuE8ELNS1_3repE0EEENS1_30default_config_static_selectorELNS0_4arch9wavefront6targetE0EEEvT1_.has_indirect_call, 0
	.section	.AMDGPU.csdata,"",@progbits
; Kernel info:
; codeLenInByte = 0
; TotalNumSgprs: 0
; NumVgprs: 0
; ScratchSize: 0
; MemoryBound: 0
; FloatMode: 240
; IeeeMode: 1
; LDSByteSize: 0 bytes/workgroup (compile time only)
; SGPRBlocks: 0
; VGPRBlocks: 0
; NumSGPRsForWavesPerEU: 1
; NumVGPRsForWavesPerEU: 1
; Occupancy: 16
; WaveLimiterHint : 0
; COMPUTE_PGM_RSRC2:SCRATCH_EN: 0
; COMPUTE_PGM_RSRC2:USER_SGPR: 2
; COMPUTE_PGM_RSRC2:TRAP_HANDLER: 0
; COMPUTE_PGM_RSRC2:TGID_X_EN: 1
; COMPUTE_PGM_RSRC2:TGID_Y_EN: 0
; COMPUTE_PGM_RSRC2:TGID_Z_EN: 0
; COMPUTE_PGM_RSRC2:TIDIG_COMP_CNT: 0
	.section	.text._ZN7rocprim17ROCPRIM_400000_NS6detail17trampoline_kernelINS0_14default_configENS1_25partition_config_selectorILNS1_17partition_subalgoE6EjNS0_10empty_typeEbEEZZNS1_14partition_implILS5_6ELb0ES3_mN6thrust23THRUST_200600_302600_NS6detail15normal_iteratorINSA_10device_ptrIjEEEEPS6_SG_NS0_5tupleIJSF_S6_EEENSH_IJSG_SG_EEES6_PlJNSB_9not_fun_tI7is_evenIjEEEEEE10hipError_tPvRmT3_T4_T5_T6_T7_T9_mT8_P12ihipStream_tbDpT10_ENKUlT_T0_E_clISt17integral_constantIbLb0EES17_IbLb1EEEEDaS13_S14_EUlS13_E_NS1_11comp_targetILNS1_3genE3ELNS1_11target_archE908ELNS1_3gpuE7ELNS1_3repE0EEENS1_30default_config_static_selectorELNS0_4arch9wavefront6targetE0EEEvT1_,"axG",@progbits,_ZN7rocprim17ROCPRIM_400000_NS6detail17trampoline_kernelINS0_14default_configENS1_25partition_config_selectorILNS1_17partition_subalgoE6EjNS0_10empty_typeEbEEZZNS1_14partition_implILS5_6ELb0ES3_mN6thrust23THRUST_200600_302600_NS6detail15normal_iteratorINSA_10device_ptrIjEEEEPS6_SG_NS0_5tupleIJSF_S6_EEENSH_IJSG_SG_EEES6_PlJNSB_9not_fun_tI7is_evenIjEEEEEE10hipError_tPvRmT3_T4_T5_T6_T7_T9_mT8_P12ihipStream_tbDpT10_ENKUlT_T0_E_clISt17integral_constantIbLb0EES17_IbLb1EEEEDaS13_S14_EUlS13_E_NS1_11comp_targetILNS1_3genE3ELNS1_11target_archE908ELNS1_3gpuE7ELNS1_3repE0EEENS1_30default_config_static_selectorELNS0_4arch9wavefront6targetE0EEEvT1_,comdat
	.protected	_ZN7rocprim17ROCPRIM_400000_NS6detail17trampoline_kernelINS0_14default_configENS1_25partition_config_selectorILNS1_17partition_subalgoE6EjNS0_10empty_typeEbEEZZNS1_14partition_implILS5_6ELb0ES3_mN6thrust23THRUST_200600_302600_NS6detail15normal_iteratorINSA_10device_ptrIjEEEEPS6_SG_NS0_5tupleIJSF_S6_EEENSH_IJSG_SG_EEES6_PlJNSB_9not_fun_tI7is_evenIjEEEEEE10hipError_tPvRmT3_T4_T5_T6_T7_T9_mT8_P12ihipStream_tbDpT10_ENKUlT_T0_E_clISt17integral_constantIbLb0EES17_IbLb1EEEEDaS13_S14_EUlS13_E_NS1_11comp_targetILNS1_3genE3ELNS1_11target_archE908ELNS1_3gpuE7ELNS1_3repE0EEENS1_30default_config_static_selectorELNS0_4arch9wavefront6targetE0EEEvT1_ ; -- Begin function _ZN7rocprim17ROCPRIM_400000_NS6detail17trampoline_kernelINS0_14default_configENS1_25partition_config_selectorILNS1_17partition_subalgoE6EjNS0_10empty_typeEbEEZZNS1_14partition_implILS5_6ELb0ES3_mN6thrust23THRUST_200600_302600_NS6detail15normal_iteratorINSA_10device_ptrIjEEEEPS6_SG_NS0_5tupleIJSF_S6_EEENSH_IJSG_SG_EEES6_PlJNSB_9not_fun_tI7is_evenIjEEEEEE10hipError_tPvRmT3_T4_T5_T6_T7_T9_mT8_P12ihipStream_tbDpT10_ENKUlT_T0_E_clISt17integral_constantIbLb0EES17_IbLb1EEEEDaS13_S14_EUlS13_E_NS1_11comp_targetILNS1_3genE3ELNS1_11target_archE908ELNS1_3gpuE7ELNS1_3repE0EEENS1_30default_config_static_selectorELNS0_4arch9wavefront6targetE0EEEvT1_
	.globl	_ZN7rocprim17ROCPRIM_400000_NS6detail17trampoline_kernelINS0_14default_configENS1_25partition_config_selectorILNS1_17partition_subalgoE6EjNS0_10empty_typeEbEEZZNS1_14partition_implILS5_6ELb0ES3_mN6thrust23THRUST_200600_302600_NS6detail15normal_iteratorINSA_10device_ptrIjEEEEPS6_SG_NS0_5tupleIJSF_S6_EEENSH_IJSG_SG_EEES6_PlJNSB_9not_fun_tI7is_evenIjEEEEEE10hipError_tPvRmT3_T4_T5_T6_T7_T9_mT8_P12ihipStream_tbDpT10_ENKUlT_T0_E_clISt17integral_constantIbLb0EES17_IbLb1EEEEDaS13_S14_EUlS13_E_NS1_11comp_targetILNS1_3genE3ELNS1_11target_archE908ELNS1_3gpuE7ELNS1_3repE0EEENS1_30default_config_static_selectorELNS0_4arch9wavefront6targetE0EEEvT1_
	.p2align	8
	.type	_ZN7rocprim17ROCPRIM_400000_NS6detail17trampoline_kernelINS0_14default_configENS1_25partition_config_selectorILNS1_17partition_subalgoE6EjNS0_10empty_typeEbEEZZNS1_14partition_implILS5_6ELb0ES3_mN6thrust23THRUST_200600_302600_NS6detail15normal_iteratorINSA_10device_ptrIjEEEEPS6_SG_NS0_5tupleIJSF_S6_EEENSH_IJSG_SG_EEES6_PlJNSB_9not_fun_tI7is_evenIjEEEEEE10hipError_tPvRmT3_T4_T5_T6_T7_T9_mT8_P12ihipStream_tbDpT10_ENKUlT_T0_E_clISt17integral_constantIbLb0EES17_IbLb1EEEEDaS13_S14_EUlS13_E_NS1_11comp_targetILNS1_3genE3ELNS1_11target_archE908ELNS1_3gpuE7ELNS1_3repE0EEENS1_30default_config_static_selectorELNS0_4arch9wavefront6targetE0EEEvT1_,@function
_ZN7rocprim17ROCPRIM_400000_NS6detail17trampoline_kernelINS0_14default_configENS1_25partition_config_selectorILNS1_17partition_subalgoE6EjNS0_10empty_typeEbEEZZNS1_14partition_implILS5_6ELb0ES3_mN6thrust23THRUST_200600_302600_NS6detail15normal_iteratorINSA_10device_ptrIjEEEEPS6_SG_NS0_5tupleIJSF_S6_EEENSH_IJSG_SG_EEES6_PlJNSB_9not_fun_tI7is_evenIjEEEEEE10hipError_tPvRmT3_T4_T5_T6_T7_T9_mT8_P12ihipStream_tbDpT10_ENKUlT_T0_E_clISt17integral_constantIbLb0EES17_IbLb1EEEEDaS13_S14_EUlS13_E_NS1_11comp_targetILNS1_3genE3ELNS1_11target_archE908ELNS1_3gpuE7ELNS1_3repE0EEENS1_30default_config_static_selectorELNS0_4arch9wavefront6targetE0EEEvT1_: ; @_ZN7rocprim17ROCPRIM_400000_NS6detail17trampoline_kernelINS0_14default_configENS1_25partition_config_selectorILNS1_17partition_subalgoE6EjNS0_10empty_typeEbEEZZNS1_14partition_implILS5_6ELb0ES3_mN6thrust23THRUST_200600_302600_NS6detail15normal_iteratorINSA_10device_ptrIjEEEEPS6_SG_NS0_5tupleIJSF_S6_EEENSH_IJSG_SG_EEES6_PlJNSB_9not_fun_tI7is_evenIjEEEEEE10hipError_tPvRmT3_T4_T5_T6_T7_T9_mT8_P12ihipStream_tbDpT10_ENKUlT_T0_E_clISt17integral_constantIbLb0EES17_IbLb1EEEEDaS13_S14_EUlS13_E_NS1_11comp_targetILNS1_3genE3ELNS1_11target_archE908ELNS1_3gpuE7ELNS1_3repE0EEENS1_30default_config_static_selectorELNS0_4arch9wavefront6targetE0EEEvT1_
; %bb.0:
	.section	.rodata,"a",@progbits
	.p2align	6, 0x0
	.amdhsa_kernel _ZN7rocprim17ROCPRIM_400000_NS6detail17trampoline_kernelINS0_14default_configENS1_25partition_config_selectorILNS1_17partition_subalgoE6EjNS0_10empty_typeEbEEZZNS1_14partition_implILS5_6ELb0ES3_mN6thrust23THRUST_200600_302600_NS6detail15normal_iteratorINSA_10device_ptrIjEEEEPS6_SG_NS0_5tupleIJSF_S6_EEENSH_IJSG_SG_EEES6_PlJNSB_9not_fun_tI7is_evenIjEEEEEE10hipError_tPvRmT3_T4_T5_T6_T7_T9_mT8_P12ihipStream_tbDpT10_ENKUlT_T0_E_clISt17integral_constantIbLb0EES17_IbLb1EEEEDaS13_S14_EUlS13_E_NS1_11comp_targetILNS1_3genE3ELNS1_11target_archE908ELNS1_3gpuE7ELNS1_3repE0EEENS1_30default_config_static_selectorELNS0_4arch9wavefront6targetE0EEEvT1_
		.amdhsa_group_segment_fixed_size 0
		.amdhsa_private_segment_fixed_size 0
		.amdhsa_kernarg_size 128
		.amdhsa_user_sgpr_count 2
		.amdhsa_user_sgpr_dispatch_ptr 0
		.amdhsa_user_sgpr_queue_ptr 0
		.amdhsa_user_sgpr_kernarg_segment_ptr 1
		.amdhsa_user_sgpr_dispatch_id 0
		.amdhsa_user_sgpr_private_segment_size 0
		.amdhsa_wavefront_size32 1
		.amdhsa_uses_dynamic_stack 0
		.amdhsa_enable_private_segment 0
		.amdhsa_system_sgpr_workgroup_id_x 1
		.amdhsa_system_sgpr_workgroup_id_y 0
		.amdhsa_system_sgpr_workgroup_id_z 0
		.amdhsa_system_sgpr_workgroup_info 0
		.amdhsa_system_vgpr_workitem_id 0
		.amdhsa_next_free_vgpr 1
		.amdhsa_next_free_sgpr 1
		.amdhsa_reserve_vcc 0
		.amdhsa_float_round_mode_32 0
		.amdhsa_float_round_mode_16_64 0
		.amdhsa_float_denorm_mode_32 3
		.amdhsa_float_denorm_mode_16_64 3
		.amdhsa_fp16_overflow 0
		.amdhsa_workgroup_processor_mode 1
		.amdhsa_memory_ordered 1
		.amdhsa_forward_progress 1
		.amdhsa_inst_pref_size 0
		.amdhsa_round_robin_scheduling 0
		.amdhsa_exception_fp_ieee_invalid_op 0
		.amdhsa_exception_fp_denorm_src 0
		.amdhsa_exception_fp_ieee_div_zero 0
		.amdhsa_exception_fp_ieee_overflow 0
		.amdhsa_exception_fp_ieee_underflow 0
		.amdhsa_exception_fp_ieee_inexact 0
		.amdhsa_exception_int_div_zero 0
	.end_amdhsa_kernel
	.section	.text._ZN7rocprim17ROCPRIM_400000_NS6detail17trampoline_kernelINS0_14default_configENS1_25partition_config_selectorILNS1_17partition_subalgoE6EjNS0_10empty_typeEbEEZZNS1_14partition_implILS5_6ELb0ES3_mN6thrust23THRUST_200600_302600_NS6detail15normal_iteratorINSA_10device_ptrIjEEEEPS6_SG_NS0_5tupleIJSF_S6_EEENSH_IJSG_SG_EEES6_PlJNSB_9not_fun_tI7is_evenIjEEEEEE10hipError_tPvRmT3_T4_T5_T6_T7_T9_mT8_P12ihipStream_tbDpT10_ENKUlT_T0_E_clISt17integral_constantIbLb0EES17_IbLb1EEEEDaS13_S14_EUlS13_E_NS1_11comp_targetILNS1_3genE3ELNS1_11target_archE908ELNS1_3gpuE7ELNS1_3repE0EEENS1_30default_config_static_selectorELNS0_4arch9wavefront6targetE0EEEvT1_,"axG",@progbits,_ZN7rocprim17ROCPRIM_400000_NS6detail17trampoline_kernelINS0_14default_configENS1_25partition_config_selectorILNS1_17partition_subalgoE6EjNS0_10empty_typeEbEEZZNS1_14partition_implILS5_6ELb0ES3_mN6thrust23THRUST_200600_302600_NS6detail15normal_iteratorINSA_10device_ptrIjEEEEPS6_SG_NS0_5tupleIJSF_S6_EEENSH_IJSG_SG_EEES6_PlJNSB_9not_fun_tI7is_evenIjEEEEEE10hipError_tPvRmT3_T4_T5_T6_T7_T9_mT8_P12ihipStream_tbDpT10_ENKUlT_T0_E_clISt17integral_constantIbLb0EES17_IbLb1EEEEDaS13_S14_EUlS13_E_NS1_11comp_targetILNS1_3genE3ELNS1_11target_archE908ELNS1_3gpuE7ELNS1_3repE0EEENS1_30default_config_static_selectorELNS0_4arch9wavefront6targetE0EEEvT1_,comdat
.Lfunc_end656:
	.size	_ZN7rocprim17ROCPRIM_400000_NS6detail17trampoline_kernelINS0_14default_configENS1_25partition_config_selectorILNS1_17partition_subalgoE6EjNS0_10empty_typeEbEEZZNS1_14partition_implILS5_6ELb0ES3_mN6thrust23THRUST_200600_302600_NS6detail15normal_iteratorINSA_10device_ptrIjEEEEPS6_SG_NS0_5tupleIJSF_S6_EEENSH_IJSG_SG_EEES6_PlJNSB_9not_fun_tI7is_evenIjEEEEEE10hipError_tPvRmT3_T4_T5_T6_T7_T9_mT8_P12ihipStream_tbDpT10_ENKUlT_T0_E_clISt17integral_constantIbLb0EES17_IbLb1EEEEDaS13_S14_EUlS13_E_NS1_11comp_targetILNS1_3genE3ELNS1_11target_archE908ELNS1_3gpuE7ELNS1_3repE0EEENS1_30default_config_static_selectorELNS0_4arch9wavefront6targetE0EEEvT1_, .Lfunc_end656-_ZN7rocprim17ROCPRIM_400000_NS6detail17trampoline_kernelINS0_14default_configENS1_25partition_config_selectorILNS1_17partition_subalgoE6EjNS0_10empty_typeEbEEZZNS1_14partition_implILS5_6ELb0ES3_mN6thrust23THRUST_200600_302600_NS6detail15normal_iteratorINSA_10device_ptrIjEEEEPS6_SG_NS0_5tupleIJSF_S6_EEENSH_IJSG_SG_EEES6_PlJNSB_9not_fun_tI7is_evenIjEEEEEE10hipError_tPvRmT3_T4_T5_T6_T7_T9_mT8_P12ihipStream_tbDpT10_ENKUlT_T0_E_clISt17integral_constantIbLb0EES17_IbLb1EEEEDaS13_S14_EUlS13_E_NS1_11comp_targetILNS1_3genE3ELNS1_11target_archE908ELNS1_3gpuE7ELNS1_3repE0EEENS1_30default_config_static_selectorELNS0_4arch9wavefront6targetE0EEEvT1_
                                        ; -- End function
	.set _ZN7rocprim17ROCPRIM_400000_NS6detail17trampoline_kernelINS0_14default_configENS1_25partition_config_selectorILNS1_17partition_subalgoE6EjNS0_10empty_typeEbEEZZNS1_14partition_implILS5_6ELb0ES3_mN6thrust23THRUST_200600_302600_NS6detail15normal_iteratorINSA_10device_ptrIjEEEEPS6_SG_NS0_5tupleIJSF_S6_EEENSH_IJSG_SG_EEES6_PlJNSB_9not_fun_tI7is_evenIjEEEEEE10hipError_tPvRmT3_T4_T5_T6_T7_T9_mT8_P12ihipStream_tbDpT10_ENKUlT_T0_E_clISt17integral_constantIbLb0EES17_IbLb1EEEEDaS13_S14_EUlS13_E_NS1_11comp_targetILNS1_3genE3ELNS1_11target_archE908ELNS1_3gpuE7ELNS1_3repE0EEENS1_30default_config_static_selectorELNS0_4arch9wavefront6targetE0EEEvT1_.num_vgpr, 0
	.set _ZN7rocprim17ROCPRIM_400000_NS6detail17trampoline_kernelINS0_14default_configENS1_25partition_config_selectorILNS1_17partition_subalgoE6EjNS0_10empty_typeEbEEZZNS1_14partition_implILS5_6ELb0ES3_mN6thrust23THRUST_200600_302600_NS6detail15normal_iteratorINSA_10device_ptrIjEEEEPS6_SG_NS0_5tupleIJSF_S6_EEENSH_IJSG_SG_EEES6_PlJNSB_9not_fun_tI7is_evenIjEEEEEE10hipError_tPvRmT3_T4_T5_T6_T7_T9_mT8_P12ihipStream_tbDpT10_ENKUlT_T0_E_clISt17integral_constantIbLb0EES17_IbLb1EEEEDaS13_S14_EUlS13_E_NS1_11comp_targetILNS1_3genE3ELNS1_11target_archE908ELNS1_3gpuE7ELNS1_3repE0EEENS1_30default_config_static_selectorELNS0_4arch9wavefront6targetE0EEEvT1_.num_agpr, 0
	.set _ZN7rocprim17ROCPRIM_400000_NS6detail17trampoline_kernelINS0_14default_configENS1_25partition_config_selectorILNS1_17partition_subalgoE6EjNS0_10empty_typeEbEEZZNS1_14partition_implILS5_6ELb0ES3_mN6thrust23THRUST_200600_302600_NS6detail15normal_iteratorINSA_10device_ptrIjEEEEPS6_SG_NS0_5tupleIJSF_S6_EEENSH_IJSG_SG_EEES6_PlJNSB_9not_fun_tI7is_evenIjEEEEEE10hipError_tPvRmT3_T4_T5_T6_T7_T9_mT8_P12ihipStream_tbDpT10_ENKUlT_T0_E_clISt17integral_constantIbLb0EES17_IbLb1EEEEDaS13_S14_EUlS13_E_NS1_11comp_targetILNS1_3genE3ELNS1_11target_archE908ELNS1_3gpuE7ELNS1_3repE0EEENS1_30default_config_static_selectorELNS0_4arch9wavefront6targetE0EEEvT1_.numbered_sgpr, 0
	.set _ZN7rocprim17ROCPRIM_400000_NS6detail17trampoline_kernelINS0_14default_configENS1_25partition_config_selectorILNS1_17partition_subalgoE6EjNS0_10empty_typeEbEEZZNS1_14partition_implILS5_6ELb0ES3_mN6thrust23THRUST_200600_302600_NS6detail15normal_iteratorINSA_10device_ptrIjEEEEPS6_SG_NS0_5tupleIJSF_S6_EEENSH_IJSG_SG_EEES6_PlJNSB_9not_fun_tI7is_evenIjEEEEEE10hipError_tPvRmT3_T4_T5_T6_T7_T9_mT8_P12ihipStream_tbDpT10_ENKUlT_T0_E_clISt17integral_constantIbLb0EES17_IbLb1EEEEDaS13_S14_EUlS13_E_NS1_11comp_targetILNS1_3genE3ELNS1_11target_archE908ELNS1_3gpuE7ELNS1_3repE0EEENS1_30default_config_static_selectorELNS0_4arch9wavefront6targetE0EEEvT1_.num_named_barrier, 0
	.set _ZN7rocprim17ROCPRIM_400000_NS6detail17trampoline_kernelINS0_14default_configENS1_25partition_config_selectorILNS1_17partition_subalgoE6EjNS0_10empty_typeEbEEZZNS1_14partition_implILS5_6ELb0ES3_mN6thrust23THRUST_200600_302600_NS6detail15normal_iteratorINSA_10device_ptrIjEEEEPS6_SG_NS0_5tupleIJSF_S6_EEENSH_IJSG_SG_EEES6_PlJNSB_9not_fun_tI7is_evenIjEEEEEE10hipError_tPvRmT3_T4_T5_T6_T7_T9_mT8_P12ihipStream_tbDpT10_ENKUlT_T0_E_clISt17integral_constantIbLb0EES17_IbLb1EEEEDaS13_S14_EUlS13_E_NS1_11comp_targetILNS1_3genE3ELNS1_11target_archE908ELNS1_3gpuE7ELNS1_3repE0EEENS1_30default_config_static_selectorELNS0_4arch9wavefront6targetE0EEEvT1_.private_seg_size, 0
	.set _ZN7rocprim17ROCPRIM_400000_NS6detail17trampoline_kernelINS0_14default_configENS1_25partition_config_selectorILNS1_17partition_subalgoE6EjNS0_10empty_typeEbEEZZNS1_14partition_implILS5_6ELb0ES3_mN6thrust23THRUST_200600_302600_NS6detail15normal_iteratorINSA_10device_ptrIjEEEEPS6_SG_NS0_5tupleIJSF_S6_EEENSH_IJSG_SG_EEES6_PlJNSB_9not_fun_tI7is_evenIjEEEEEE10hipError_tPvRmT3_T4_T5_T6_T7_T9_mT8_P12ihipStream_tbDpT10_ENKUlT_T0_E_clISt17integral_constantIbLb0EES17_IbLb1EEEEDaS13_S14_EUlS13_E_NS1_11comp_targetILNS1_3genE3ELNS1_11target_archE908ELNS1_3gpuE7ELNS1_3repE0EEENS1_30default_config_static_selectorELNS0_4arch9wavefront6targetE0EEEvT1_.uses_vcc, 0
	.set _ZN7rocprim17ROCPRIM_400000_NS6detail17trampoline_kernelINS0_14default_configENS1_25partition_config_selectorILNS1_17partition_subalgoE6EjNS0_10empty_typeEbEEZZNS1_14partition_implILS5_6ELb0ES3_mN6thrust23THRUST_200600_302600_NS6detail15normal_iteratorINSA_10device_ptrIjEEEEPS6_SG_NS0_5tupleIJSF_S6_EEENSH_IJSG_SG_EEES6_PlJNSB_9not_fun_tI7is_evenIjEEEEEE10hipError_tPvRmT3_T4_T5_T6_T7_T9_mT8_P12ihipStream_tbDpT10_ENKUlT_T0_E_clISt17integral_constantIbLb0EES17_IbLb1EEEEDaS13_S14_EUlS13_E_NS1_11comp_targetILNS1_3genE3ELNS1_11target_archE908ELNS1_3gpuE7ELNS1_3repE0EEENS1_30default_config_static_selectorELNS0_4arch9wavefront6targetE0EEEvT1_.uses_flat_scratch, 0
	.set _ZN7rocprim17ROCPRIM_400000_NS6detail17trampoline_kernelINS0_14default_configENS1_25partition_config_selectorILNS1_17partition_subalgoE6EjNS0_10empty_typeEbEEZZNS1_14partition_implILS5_6ELb0ES3_mN6thrust23THRUST_200600_302600_NS6detail15normal_iteratorINSA_10device_ptrIjEEEEPS6_SG_NS0_5tupleIJSF_S6_EEENSH_IJSG_SG_EEES6_PlJNSB_9not_fun_tI7is_evenIjEEEEEE10hipError_tPvRmT3_T4_T5_T6_T7_T9_mT8_P12ihipStream_tbDpT10_ENKUlT_T0_E_clISt17integral_constantIbLb0EES17_IbLb1EEEEDaS13_S14_EUlS13_E_NS1_11comp_targetILNS1_3genE3ELNS1_11target_archE908ELNS1_3gpuE7ELNS1_3repE0EEENS1_30default_config_static_selectorELNS0_4arch9wavefront6targetE0EEEvT1_.has_dyn_sized_stack, 0
	.set _ZN7rocprim17ROCPRIM_400000_NS6detail17trampoline_kernelINS0_14default_configENS1_25partition_config_selectorILNS1_17partition_subalgoE6EjNS0_10empty_typeEbEEZZNS1_14partition_implILS5_6ELb0ES3_mN6thrust23THRUST_200600_302600_NS6detail15normal_iteratorINSA_10device_ptrIjEEEEPS6_SG_NS0_5tupleIJSF_S6_EEENSH_IJSG_SG_EEES6_PlJNSB_9not_fun_tI7is_evenIjEEEEEE10hipError_tPvRmT3_T4_T5_T6_T7_T9_mT8_P12ihipStream_tbDpT10_ENKUlT_T0_E_clISt17integral_constantIbLb0EES17_IbLb1EEEEDaS13_S14_EUlS13_E_NS1_11comp_targetILNS1_3genE3ELNS1_11target_archE908ELNS1_3gpuE7ELNS1_3repE0EEENS1_30default_config_static_selectorELNS0_4arch9wavefront6targetE0EEEvT1_.has_recursion, 0
	.set _ZN7rocprim17ROCPRIM_400000_NS6detail17trampoline_kernelINS0_14default_configENS1_25partition_config_selectorILNS1_17partition_subalgoE6EjNS0_10empty_typeEbEEZZNS1_14partition_implILS5_6ELb0ES3_mN6thrust23THRUST_200600_302600_NS6detail15normal_iteratorINSA_10device_ptrIjEEEEPS6_SG_NS0_5tupleIJSF_S6_EEENSH_IJSG_SG_EEES6_PlJNSB_9not_fun_tI7is_evenIjEEEEEE10hipError_tPvRmT3_T4_T5_T6_T7_T9_mT8_P12ihipStream_tbDpT10_ENKUlT_T0_E_clISt17integral_constantIbLb0EES17_IbLb1EEEEDaS13_S14_EUlS13_E_NS1_11comp_targetILNS1_3genE3ELNS1_11target_archE908ELNS1_3gpuE7ELNS1_3repE0EEENS1_30default_config_static_selectorELNS0_4arch9wavefront6targetE0EEEvT1_.has_indirect_call, 0
	.section	.AMDGPU.csdata,"",@progbits
; Kernel info:
; codeLenInByte = 0
; TotalNumSgprs: 0
; NumVgprs: 0
; ScratchSize: 0
; MemoryBound: 0
; FloatMode: 240
; IeeeMode: 1
; LDSByteSize: 0 bytes/workgroup (compile time only)
; SGPRBlocks: 0
; VGPRBlocks: 0
; NumSGPRsForWavesPerEU: 1
; NumVGPRsForWavesPerEU: 1
; Occupancy: 16
; WaveLimiterHint : 0
; COMPUTE_PGM_RSRC2:SCRATCH_EN: 0
; COMPUTE_PGM_RSRC2:USER_SGPR: 2
; COMPUTE_PGM_RSRC2:TRAP_HANDLER: 0
; COMPUTE_PGM_RSRC2:TGID_X_EN: 1
; COMPUTE_PGM_RSRC2:TGID_Y_EN: 0
; COMPUTE_PGM_RSRC2:TGID_Z_EN: 0
; COMPUTE_PGM_RSRC2:TIDIG_COMP_CNT: 0
	.section	.text._ZN7rocprim17ROCPRIM_400000_NS6detail17trampoline_kernelINS0_14default_configENS1_25partition_config_selectorILNS1_17partition_subalgoE6EjNS0_10empty_typeEbEEZZNS1_14partition_implILS5_6ELb0ES3_mN6thrust23THRUST_200600_302600_NS6detail15normal_iteratorINSA_10device_ptrIjEEEEPS6_SG_NS0_5tupleIJSF_S6_EEENSH_IJSG_SG_EEES6_PlJNSB_9not_fun_tI7is_evenIjEEEEEE10hipError_tPvRmT3_T4_T5_T6_T7_T9_mT8_P12ihipStream_tbDpT10_ENKUlT_T0_E_clISt17integral_constantIbLb0EES17_IbLb1EEEEDaS13_S14_EUlS13_E_NS1_11comp_targetILNS1_3genE2ELNS1_11target_archE906ELNS1_3gpuE6ELNS1_3repE0EEENS1_30default_config_static_selectorELNS0_4arch9wavefront6targetE0EEEvT1_,"axG",@progbits,_ZN7rocprim17ROCPRIM_400000_NS6detail17trampoline_kernelINS0_14default_configENS1_25partition_config_selectorILNS1_17partition_subalgoE6EjNS0_10empty_typeEbEEZZNS1_14partition_implILS5_6ELb0ES3_mN6thrust23THRUST_200600_302600_NS6detail15normal_iteratorINSA_10device_ptrIjEEEEPS6_SG_NS0_5tupleIJSF_S6_EEENSH_IJSG_SG_EEES6_PlJNSB_9not_fun_tI7is_evenIjEEEEEE10hipError_tPvRmT3_T4_T5_T6_T7_T9_mT8_P12ihipStream_tbDpT10_ENKUlT_T0_E_clISt17integral_constantIbLb0EES17_IbLb1EEEEDaS13_S14_EUlS13_E_NS1_11comp_targetILNS1_3genE2ELNS1_11target_archE906ELNS1_3gpuE6ELNS1_3repE0EEENS1_30default_config_static_selectorELNS0_4arch9wavefront6targetE0EEEvT1_,comdat
	.protected	_ZN7rocprim17ROCPRIM_400000_NS6detail17trampoline_kernelINS0_14default_configENS1_25partition_config_selectorILNS1_17partition_subalgoE6EjNS0_10empty_typeEbEEZZNS1_14partition_implILS5_6ELb0ES3_mN6thrust23THRUST_200600_302600_NS6detail15normal_iteratorINSA_10device_ptrIjEEEEPS6_SG_NS0_5tupleIJSF_S6_EEENSH_IJSG_SG_EEES6_PlJNSB_9not_fun_tI7is_evenIjEEEEEE10hipError_tPvRmT3_T4_T5_T6_T7_T9_mT8_P12ihipStream_tbDpT10_ENKUlT_T0_E_clISt17integral_constantIbLb0EES17_IbLb1EEEEDaS13_S14_EUlS13_E_NS1_11comp_targetILNS1_3genE2ELNS1_11target_archE906ELNS1_3gpuE6ELNS1_3repE0EEENS1_30default_config_static_selectorELNS0_4arch9wavefront6targetE0EEEvT1_ ; -- Begin function _ZN7rocprim17ROCPRIM_400000_NS6detail17trampoline_kernelINS0_14default_configENS1_25partition_config_selectorILNS1_17partition_subalgoE6EjNS0_10empty_typeEbEEZZNS1_14partition_implILS5_6ELb0ES3_mN6thrust23THRUST_200600_302600_NS6detail15normal_iteratorINSA_10device_ptrIjEEEEPS6_SG_NS0_5tupleIJSF_S6_EEENSH_IJSG_SG_EEES6_PlJNSB_9not_fun_tI7is_evenIjEEEEEE10hipError_tPvRmT3_T4_T5_T6_T7_T9_mT8_P12ihipStream_tbDpT10_ENKUlT_T0_E_clISt17integral_constantIbLb0EES17_IbLb1EEEEDaS13_S14_EUlS13_E_NS1_11comp_targetILNS1_3genE2ELNS1_11target_archE906ELNS1_3gpuE6ELNS1_3repE0EEENS1_30default_config_static_selectorELNS0_4arch9wavefront6targetE0EEEvT1_
	.globl	_ZN7rocprim17ROCPRIM_400000_NS6detail17trampoline_kernelINS0_14default_configENS1_25partition_config_selectorILNS1_17partition_subalgoE6EjNS0_10empty_typeEbEEZZNS1_14partition_implILS5_6ELb0ES3_mN6thrust23THRUST_200600_302600_NS6detail15normal_iteratorINSA_10device_ptrIjEEEEPS6_SG_NS0_5tupleIJSF_S6_EEENSH_IJSG_SG_EEES6_PlJNSB_9not_fun_tI7is_evenIjEEEEEE10hipError_tPvRmT3_T4_T5_T6_T7_T9_mT8_P12ihipStream_tbDpT10_ENKUlT_T0_E_clISt17integral_constantIbLb0EES17_IbLb1EEEEDaS13_S14_EUlS13_E_NS1_11comp_targetILNS1_3genE2ELNS1_11target_archE906ELNS1_3gpuE6ELNS1_3repE0EEENS1_30default_config_static_selectorELNS0_4arch9wavefront6targetE0EEEvT1_
	.p2align	8
	.type	_ZN7rocprim17ROCPRIM_400000_NS6detail17trampoline_kernelINS0_14default_configENS1_25partition_config_selectorILNS1_17partition_subalgoE6EjNS0_10empty_typeEbEEZZNS1_14partition_implILS5_6ELb0ES3_mN6thrust23THRUST_200600_302600_NS6detail15normal_iteratorINSA_10device_ptrIjEEEEPS6_SG_NS0_5tupleIJSF_S6_EEENSH_IJSG_SG_EEES6_PlJNSB_9not_fun_tI7is_evenIjEEEEEE10hipError_tPvRmT3_T4_T5_T6_T7_T9_mT8_P12ihipStream_tbDpT10_ENKUlT_T0_E_clISt17integral_constantIbLb0EES17_IbLb1EEEEDaS13_S14_EUlS13_E_NS1_11comp_targetILNS1_3genE2ELNS1_11target_archE906ELNS1_3gpuE6ELNS1_3repE0EEENS1_30default_config_static_selectorELNS0_4arch9wavefront6targetE0EEEvT1_,@function
_ZN7rocprim17ROCPRIM_400000_NS6detail17trampoline_kernelINS0_14default_configENS1_25partition_config_selectorILNS1_17partition_subalgoE6EjNS0_10empty_typeEbEEZZNS1_14partition_implILS5_6ELb0ES3_mN6thrust23THRUST_200600_302600_NS6detail15normal_iteratorINSA_10device_ptrIjEEEEPS6_SG_NS0_5tupleIJSF_S6_EEENSH_IJSG_SG_EEES6_PlJNSB_9not_fun_tI7is_evenIjEEEEEE10hipError_tPvRmT3_T4_T5_T6_T7_T9_mT8_P12ihipStream_tbDpT10_ENKUlT_T0_E_clISt17integral_constantIbLb0EES17_IbLb1EEEEDaS13_S14_EUlS13_E_NS1_11comp_targetILNS1_3genE2ELNS1_11target_archE906ELNS1_3gpuE6ELNS1_3repE0EEENS1_30default_config_static_selectorELNS0_4arch9wavefront6targetE0EEEvT1_: ; @_ZN7rocprim17ROCPRIM_400000_NS6detail17trampoline_kernelINS0_14default_configENS1_25partition_config_selectorILNS1_17partition_subalgoE6EjNS0_10empty_typeEbEEZZNS1_14partition_implILS5_6ELb0ES3_mN6thrust23THRUST_200600_302600_NS6detail15normal_iteratorINSA_10device_ptrIjEEEEPS6_SG_NS0_5tupleIJSF_S6_EEENSH_IJSG_SG_EEES6_PlJNSB_9not_fun_tI7is_evenIjEEEEEE10hipError_tPvRmT3_T4_T5_T6_T7_T9_mT8_P12ihipStream_tbDpT10_ENKUlT_T0_E_clISt17integral_constantIbLb0EES17_IbLb1EEEEDaS13_S14_EUlS13_E_NS1_11comp_targetILNS1_3genE2ELNS1_11target_archE906ELNS1_3gpuE6ELNS1_3repE0EEENS1_30default_config_static_selectorELNS0_4arch9wavefront6targetE0EEEvT1_
; %bb.0:
	.section	.rodata,"a",@progbits
	.p2align	6, 0x0
	.amdhsa_kernel _ZN7rocprim17ROCPRIM_400000_NS6detail17trampoline_kernelINS0_14default_configENS1_25partition_config_selectorILNS1_17partition_subalgoE6EjNS0_10empty_typeEbEEZZNS1_14partition_implILS5_6ELb0ES3_mN6thrust23THRUST_200600_302600_NS6detail15normal_iteratorINSA_10device_ptrIjEEEEPS6_SG_NS0_5tupleIJSF_S6_EEENSH_IJSG_SG_EEES6_PlJNSB_9not_fun_tI7is_evenIjEEEEEE10hipError_tPvRmT3_T4_T5_T6_T7_T9_mT8_P12ihipStream_tbDpT10_ENKUlT_T0_E_clISt17integral_constantIbLb0EES17_IbLb1EEEEDaS13_S14_EUlS13_E_NS1_11comp_targetILNS1_3genE2ELNS1_11target_archE906ELNS1_3gpuE6ELNS1_3repE0EEENS1_30default_config_static_selectorELNS0_4arch9wavefront6targetE0EEEvT1_
		.amdhsa_group_segment_fixed_size 0
		.amdhsa_private_segment_fixed_size 0
		.amdhsa_kernarg_size 128
		.amdhsa_user_sgpr_count 2
		.amdhsa_user_sgpr_dispatch_ptr 0
		.amdhsa_user_sgpr_queue_ptr 0
		.amdhsa_user_sgpr_kernarg_segment_ptr 1
		.amdhsa_user_sgpr_dispatch_id 0
		.amdhsa_user_sgpr_private_segment_size 0
		.amdhsa_wavefront_size32 1
		.amdhsa_uses_dynamic_stack 0
		.amdhsa_enable_private_segment 0
		.amdhsa_system_sgpr_workgroup_id_x 1
		.amdhsa_system_sgpr_workgroup_id_y 0
		.amdhsa_system_sgpr_workgroup_id_z 0
		.amdhsa_system_sgpr_workgroup_info 0
		.amdhsa_system_vgpr_workitem_id 0
		.amdhsa_next_free_vgpr 1
		.amdhsa_next_free_sgpr 1
		.amdhsa_reserve_vcc 0
		.amdhsa_float_round_mode_32 0
		.amdhsa_float_round_mode_16_64 0
		.amdhsa_float_denorm_mode_32 3
		.amdhsa_float_denorm_mode_16_64 3
		.amdhsa_fp16_overflow 0
		.amdhsa_workgroup_processor_mode 1
		.amdhsa_memory_ordered 1
		.amdhsa_forward_progress 1
		.amdhsa_inst_pref_size 0
		.amdhsa_round_robin_scheduling 0
		.amdhsa_exception_fp_ieee_invalid_op 0
		.amdhsa_exception_fp_denorm_src 0
		.amdhsa_exception_fp_ieee_div_zero 0
		.amdhsa_exception_fp_ieee_overflow 0
		.amdhsa_exception_fp_ieee_underflow 0
		.amdhsa_exception_fp_ieee_inexact 0
		.amdhsa_exception_int_div_zero 0
	.end_amdhsa_kernel
	.section	.text._ZN7rocprim17ROCPRIM_400000_NS6detail17trampoline_kernelINS0_14default_configENS1_25partition_config_selectorILNS1_17partition_subalgoE6EjNS0_10empty_typeEbEEZZNS1_14partition_implILS5_6ELb0ES3_mN6thrust23THRUST_200600_302600_NS6detail15normal_iteratorINSA_10device_ptrIjEEEEPS6_SG_NS0_5tupleIJSF_S6_EEENSH_IJSG_SG_EEES6_PlJNSB_9not_fun_tI7is_evenIjEEEEEE10hipError_tPvRmT3_T4_T5_T6_T7_T9_mT8_P12ihipStream_tbDpT10_ENKUlT_T0_E_clISt17integral_constantIbLb0EES17_IbLb1EEEEDaS13_S14_EUlS13_E_NS1_11comp_targetILNS1_3genE2ELNS1_11target_archE906ELNS1_3gpuE6ELNS1_3repE0EEENS1_30default_config_static_selectorELNS0_4arch9wavefront6targetE0EEEvT1_,"axG",@progbits,_ZN7rocprim17ROCPRIM_400000_NS6detail17trampoline_kernelINS0_14default_configENS1_25partition_config_selectorILNS1_17partition_subalgoE6EjNS0_10empty_typeEbEEZZNS1_14partition_implILS5_6ELb0ES3_mN6thrust23THRUST_200600_302600_NS6detail15normal_iteratorINSA_10device_ptrIjEEEEPS6_SG_NS0_5tupleIJSF_S6_EEENSH_IJSG_SG_EEES6_PlJNSB_9not_fun_tI7is_evenIjEEEEEE10hipError_tPvRmT3_T4_T5_T6_T7_T9_mT8_P12ihipStream_tbDpT10_ENKUlT_T0_E_clISt17integral_constantIbLb0EES17_IbLb1EEEEDaS13_S14_EUlS13_E_NS1_11comp_targetILNS1_3genE2ELNS1_11target_archE906ELNS1_3gpuE6ELNS1_3repE0EEENS1_30default_config_static_selectorELNS0_4arch9wavefront6targetE0EEEvT1_,comdat
.Lfunc_end657:
	.size	_ZN7rocprim17ROCPRIM_400000_NS6detail17trampoline_kernelINS0_14default_configENS1_25partition_config_selectorILNS1_17partition_subalgoE6EjNS0_10empty_typeEbEEZZNS1_14partition_implILS5_6ELb0ES3_mN6thrust23THRUST_200600_302600_NS6detail15normal_iteratorINSA_10device_ptrIjEEEEPS6_SG_NS0_5tupleIJSF_S6_EEENSH_IJSG_SG_EEES6_PlJNSB_9not_fun_tI7is_evenIjEEEEEE10hipError_tPvRmT3_T4_T5_T6_T7_T9_mT8_P12ihipStream_tbDpT10_ENKUlT_T0_E_clISt17integral_constantIbLb0EES17_IbLb1EEEEDaS13_S14_EUlS13_E_NS1_11comp_targetILNS1_3genE2ELNS1_11target_archE906ELNS1_3gpuE6ELNS1_3repE0EEENS1_30default_config_static_selectorELNS0_4arch9wavefront6targetE0EEEvT1_, .Lfunc_end657-_ZN7rocprim17ROCPRIM_400000_NS6detail17trampoline_kernelINS0_14default_configENS1_25partition_config_selectorILNS1_17partition_subalgoE6EjNS0_10empty_typeEbEEZZNS1_14partition_implILS5_6ELb0ES3_mN6thrust23THRUST_200600_302600_NS6detail15normal_iteratorINSA_10device_ptrIjEEEEPS6_SG_NS0_5tupleIJSF_S6_EEENSH_IJSG_SG_EEES6_PlJNSB_9not_fun_tI7is_evenIjEEEEEE10hipError_tPvRmT3_T4_T5_T6_T7_T9_mT8_P12ihipStream_tbDpT10_ENKUlT_T0_E_clISt17integral_constantIbLb0EES17_IbLb1EEEEDaS13_S14_EUlS13_E_NS1_11comp_targetILNS1_3genE2ELNS1_11target_archE906ELNS1_3gpuE6ELNS1_3repE0EEENS1_30default_config_static_selectorELNS0_4arch9wavefront6targetE0EEEvT1_
                                        ; -- End function
	.set _ZN7rocprim17ROCPRIM_400000_NS6detail17trampoline_kernelINS0_14default_configENS1_25partition_config_selectorILNS1_17partition_subalgoE6EjNS0_10empty_typeEbEEZZNS1_14partition_implILS5_6ELb0ES3_mN6thrust23THRUST_200600_302600_NS6detail15normal_iteratorINSA_10device_ptrIjEEEEPS6_SG_NS0_5tupleIJSF_S6_EEENSH_IJSG_SG_EEES6_PlJNSB_9not_fun_tI7is_evenIjEEEEEE10hipError_tPvRmT3_T4_T5_T6_T7_T9_mT8_P12ihipStream_tbDpT10_ENKUlT_T0_E_clISt17integral_constantIbLb0EES17_IbLb1EEEEDaS13_S14_EUlS13_E_NS1_11comp_targetILNS1_3genE2ELNS1_11target_archE906ELNS1_3gpuE6ELNS1_3repE0EEENS1_30default_config_static_selectorELNS0_4arch9wavefront6targetE0EEEvT1_.num_vgpr, 0
	.set _ZN7rocprim17ROCPRIM_400000_NS6detail17trampoline_kernelINS0_14default_configENS1_25partition_config_selectorILNS1_17partition_subalgoE6EjNS0_10empty_typeEbEEZZNS1_14partition_implILS5_6ELb0ES3_mN6thrust23THRUST_200600_302600_NS6detail15normal_iteratorINSA_10device_ptrIjEEEEPS6_SG_NS0_5tupleIJSF_S6_EEENSH_IJSG_SG_EEES6_PlJNSB_9not_fun_tI7is_evenIjEEEEEE10hipError_tPvRmT3_T4_T5_T6_T7_T9_mT8_P12ihipStream_tbDpT10_ENKUlT_T0_E_clISt17integral_constantIbLb0EES17_IbLb1EEEEDaS13_S14_EUlS13_E_NS1_11comp_targetILNS1_3genE2ELNS1_11target_archE906ELNS1_3gpuE6ELNS1_3repE0EEENS1_30default_config_static_selectorELNS0_4arch9wavefront6targetE0EEEvT1_.num_agpr, 0
	.set _ZN7rocprim17ROCPRIM_400000_NS6detail17trampoline_kernelINS0_14default_configENS1_25partition_config_selectorILNS1_17partition_subalgoE6EjNS0_10empty_typeEbEEZZNS1_14partition_implILS5_6ELb0ES3_mN6thrust23THRUST_200600_302600_NS6detail15normal_iteratorINSA_10device_ptrIjEEEEPS6_SG_NS0_5tupleIJSF_S6_EEENSH_IJSG_SG_EEES6_PlJNSB_9not_fun_tI7is_evenIjEEEEEE10hipError_tPvRmT3_T4_T5_T6_T7_T9_mT8_P12ihipStream_tbDpT10_ENKUlT_T0_E_clISt17integral_constantIbLb0EES17_IbLb1EEEEDaS13_S14_EUlS13_E_NS1_11comp_targetILNS1_3genE2ELNS1_11target_archE906ELNS1_3gpuE6ELNS1_3repE0EEENS1_30default_config_static_selectorELNS0_4arch9wavefront6targetE0EEEvT1_.numbered_sgpr, 0
	.set _ZN7rocprim17ROCPRIM_400000_NS6detail17trampoline_kernelINS0_14default_configENS1_25partition_config_selectorILNS1_17partition_subalgoE6EjNS0_10empty_typeEbEEZZNS1_14partition_implILS5_6ELb0ES3_mN6thrust23THRUST_200600_302600_NS6detail15normal_iteratorINSA_10device_ptrIjEEEEPS6_SG_NS0_5tupleIJSF_S6_EEENSH_IJSG_SG_EEES6_PlJNSB_9not_fun_tI7is_evenIjEEEEEE10hipError_tPvRmT3_T4_T5_T6_T7_T9_mT8_P12ihipStream_tbDpT10_ENKUlT_T0_E_clISt17integral_constantIbLb0EES17_IbLb1EEEEDaS13_S14_EUlS13_E_NS1_11comp_targetILNS1_3genE2ELNS1_11target_archE906ELNS1_3gpuE6ELNS1_3repE0EEENS1_30default_config_static_selectorELNS0_4arch9wavefront6targetE0EEEvT1_.num_named_barrier, 0
	.set _ZN7rocprim17ROCPRIM_400000_NS6detail17trampoline_kernelINS0_14default_configENS1_25partition_config_selectorILNS1_17partition_subalgoE6EjNS0_10empty_typeEbEEZZNS1_14partition_implILS5_6ELb0ES3_mN6thrust23THRUST_200600_302600_NS6detail15normal_iteratorINSA_10device_ptrIjEEEEPS6_SG_NS0_5tupleIJSF_S6_EEENSH_IJSG_SG_EEES6_PlJNSB_9not_fun_tI7is_evenIjEEEEEE10hipError_tPvRmT3_T4_T5_T6_T7_T9_mT8_P12ihipStream_tbDpT10_ENKUlT_T0_E_clISt17integral_constantIbLb0EES17_IbLb1EEEEDaS13_S14_EUlS13_E_NS1_11comp_targetILNS1_3genE2ELNS1_11target_archE906ELNS1_3gpuE6ELNS1_3repE0EEENS1_30default_config_static_selectorELNS0_4arch9wavefront6targetE0EEEvT1_.private_seg_size, 0
	.set _ZN7rocprim17ROCPRIM_400000_NS6detail17trampoline_kernelINS0_14default_configENS1_25partition_config_selectorILNS1_17partition_subalgoE6EjNS0_10empty_typeEbEEZZNS1_14partition_implILS5_6ELb0ES3_mN6thrust23THRUST_200600_302600_NS6detail15normal_iteratorINSA_10device_ptrIjEEEEPS6_SG_NS0_5tupleIJSF_S6_EEENSH_IJSG_SG_EEES6_PlJNSB_9not_fun_tI7is_evenIjEEEEEE10hipError_tPvRmT3_T4_T5_T6_T7_T9_mT8_P12ihipStream_tbDpT10_ENKUlT_T0_E_clISt17integral_constantIbLb0EES17_IbLb1EEEEDaS13_S14_EUlS13_E_NS1_11comp_targetILNS1_3genE2ELNS1_11target_archE906ELNS1_3gpuE6ELNS1_3repE0EEENS1_30default_config_static_selectorELNS0_4arch9wavefront6targetE0EEEvT1_.uses_vcc, 0
	.set _ZN7rocprim17ROCPRIM_400000_NS6detail17trampoline_kernelINS0_14default_configENS1_25partition_config_selectorILNS1_17partition_subalgoE6EjNS0_10empty_typeEbEEZZNS1_14partition_implILS5_6ELb0ES3_mN6thrust23THRUST_200600_302600_NS6detail15normal_iteratorINSA_10device_ptrIjEEEEPS6_SG_NS0_5tupleIJSF_S6_EEENSH_IJSG_SG_EEES6_PlJNSB_9not_fun_tI7is_evenIjEEEEEE10hipError_tPvRmT3_T4_T5_T6_T7_T9_mT8_P12ihipStream_tbDpT10_ENKUlT_T0_E_clISt17integral_constantIbLb0EES17_IbLb1EEEEDaS13_S14_EUlS13_E_NS1_11comp_targetILNS1_3genE2ELNS1_11target_archE906ELNS1_3gpuE6ELNS1_3repE0EEENS1_30default_config_static_selectorELNS0_4arch9wavefront6targetE0EEEvT1_.uses_flat_scratch, 0
	.set _ZN7rocprim17ROCPRIM_400000_NS6detail17trampoline_kernelINS0_14default_configENS1_25partition_config_selectorILNS1_17partition_subalgoE6EjNS0_10empty_typeEbEEZZNS1_14partition_implILS5_6ELb0ES3_mN6thrust23THRUST_200600_302600_NS6detail15normal_iteratorINSA_10device_ptrIjEEEEPS6_SG_NS0_5tupleIJSF_S6_EEENSH_IJSG_SG_EEES6_PlJNSB_9not_fun_tI7is_evenIjEEEEEE10hipError_tPvRmT3_T4_T5_T6_T7_T9_mT8_P12ihipStream_tbDpT10_ENKUlT_T0_E_clISt17integral_constantIbLb0EES17_IbLb1EEEEDaS13_S14_EUlS13_E_NS1_11comp_targetILNS1_3genE2ELNS1_11target_archE906ELNS1_3gpuE6ELNS1_3repE0EEENS1_30default_config_static_selectorELNS0_4arch9wavefront6targetE0EEEvT1_.has_dyn_sized_stack, 0
	.set _ZN7rocprim17ROCPRIM_400000_NS6detail17trampoline_kernelINS0_14default_configENS1_25partition_config_selectorILNS1_17partition_subalgoE6EjNS0_10empty_typeEbEEZZNS1_14partition_implILS5_6ELb0ES3_mN6thrust23THRUST_200600_302600_NS6detail15normal_iteratorINSA_10device_ptrIjEEEEPS6_SG_NS0_5tupleIJSF_S6_EEENSH_IJSG_SG_EEES6_PlJNSB_9not_fun_tI7is_evenIjEEEEEE10hipError_tPvRmT3_T4_T5_T6_T7_T9_mT8_P12ihipStream_tbDpT10_ENKUlT_T0_E_clISt17integral_constantIbLb0EES17_IbLb1EEEEDaS13_S14_EUlS13_E_NS1_11comp_targetILNS1_3genE2ELNS1_11target_archE906ELNS1_3gpuE6ELNS1_3repE0EEENS1_30default_config_static_selectorELNS0_4arch9wavefront6targetE0EEEvT1_.has_recursion, 0
	.set _ZN7rocprim17ROCPRIM_400000_NS6detail17trampoline_kernelINS0_14default_configENS1_25partition_config_selectorILNS1_17partition_subalgoE6EjNS0_10empty_typeEbEEZZNS1_14partition_implILS5_6ELb0ES3_mN6thrust23THRUST_200600_302600_NS6detail15normal_iteratorINSA_10device_ptrIjEEEEPS6_SG_NS0_5tupleIJSF_S6_EEENSH_IJSG_SG_EEES6_PlJNSB_9not_fun_tI7is_evenIjEEEEEE10hipError_tPvRmT3_T4_T5_T6_T7_T9_mT8_P12ihipStream_tbDpT10_ENKUlT_T0_E_clISt17integral_constantIbLb0EES17_IbLb1EEEEDaS13_S14_EUlS13_E_NS1_11comp_targetILNS1_3genE2ELNS1_11target_archE906ELNS1_3gpuE6ELNS1_3repE0EEENS1_30default_config_static_selectorELNS0_4arch9wavefront6targetE0EEEvT1_.has_indirect_call, 0
	.section	.AMDGPU.csdata,"",@progbits
; Kernel info:
; codeLenInByte = 0
; TotalNumSgprs: 0
; NumVgprs: 0
; ScratchSize: 0
; MemoryBound: 0
; FloatMode: 240
; IeeeMode: 1
; LDSByteSize: 0 bytes/workgroup (compile time only)
; SGPRBlocks: 0
; VGPRBlocks: 0
; NumSGPRsForWavesPerEU: 1
; NumVGPRsForWavesPerEU: 1
; Occupancy: 16
; WaveLimiterHint : 0
; COMPUTE_PGM_RSRC2:SCRATCH_EN: 0
; COMPUTE_PGM_RSRC2:USER_SGPR: 2
; COMPUTE_PGM_RSRC2:TRAP_HANDLER: 0
; COMPUTE_PGM_RSRC2:TGID_X_EN: 1
; COMPUTE_PGM_RSRC2:TGID_Y_EN: 0
; COMPUTE_PGM_RSRC2:TGID_Z_EN: 0
; COMPUTE_PGM_RSRC2:TIDIG_COMP_CNT: 0
	.section	.text._ZN7rocprim17ROCPRIM_400000_NS6detail17trampoline_kernelINS0_14default_configENS1_25partition_config_selectorILNS1_17partition_subalgoE6EjNS0_10empty_typeEbEEZZNS1_14partition_implILS5_6ELb0ES3_mN6thrust23THRUST_200600_302600_NS6detail15normal_iteratorINSA_10device_ptrIjEEEEPS6_SG_NS0_5tupleIJSF_S6_EEENSH_IJSG_SG_EEES6_PlJNSB_9not_fun_tI7is_evenIjEEEEEE10hipError_tPvRmT3_T4_T5_T6_T7_T9_mT8_P12ihipStream_tbDpT10_ENKUlT_T0_E_clISt17integral_constantIbLb0EES17_IbLb1EEEEDaS13_S14_EUlS13_E_NS1_11comp_targetILNS1_3genE10ELNS1_11target_archE1200ELNS1_3gpuE4ELNS1_3repE0EEENS1_30default_config_static_selectorELNS0_4arch9wavefront6targetE0EEEvT1_,"axG",@progbits,_ZN7rocprim17ROCPRIM_400000_NS6detail17trampoline_kernelINS0_14default_configENS1_25partition_config_selectorILNS1_17partition_subalgoE6EjNS0_10empty_typeEbEEZZNS1_14partition_implILS5_6ELb0ES3_mN6thrust23THRUST_200600_302600_NS6detail15normal_iteratorINSA_10device_ptrIjEEEEPS6_SG_NS0_5tupleIJSF_S6_EEENSH_IJSG_SG_EEES6_PlJNSB_9not_fun_tI7is_evenIjEEEEEE10hipError_tPvRmT3_T4_T5_T6_T7_T9_mT8_P12ihipStream_tbDpT10_ENKUlT_T0_E_clISt17integral_constantIbLb0EES17_IbLb1EEEEDaS13_S14_EUlS13_E_NS1_11comp_targetILNS1_3genE10ELNS1_11target_archE1200ELNS1_3gpuE4ELNS1_3repE0EEENS1_30default_config_static_selectorELNS0_4arch9wavefront6targetE0EEEvT1_,comdat
	.protected	_ZN7rocprim17ROCPRIM_400000_NS6detail17trampoline_kernelINS0_14default_configENS1_25partition_config_selectorILNS1_17partition_subalgoE6EjNS0_10empty_typeEbEEZZNS1_14partition_implILS5_6ELb0ES3_mN6thrust23THRUST_200600_302600_NS6detail15normal_iteratorINSA_10device_ptrIjEEEEPS6_SG_NS0_5tupleIJSF_S6_EEENSH_IJSG_SG_EEES6_PlJNSB_9not_fun_tI7is_evenIjEEEEEE10hipError_tPvRmT3_T4_T5_T6_T7_T9_mT8_P12ihipStream_tbDpT10_ENKUlT_T0_E_clISt17integral_constantIbLb0EES17_IbLb1EEEEDaS13_S14_EUlS13_E_NS1_11comp_targetILNS1_3genE10ELNS1_11target_archE1200ELNS1_3gpuE4ELNS1_3repE0EEENS1_30default_config_static_selectorELNS0_4arch9wavefront6targetE0EEEvT1_ ; -- Begin function _ZN7rocprim17ROCPRIM_400000_NS6detail17trampoline_kernelINS0_14default_configENS1_25partition_config_selectorILNS1_17partition_subalgoE6EjNS0_10empty_typeEbEEZZNS1_14partition_implILS5_6ELb0ES3_mN6thrust23THRUST_200600_302600_NS6detail15normal_iteratorINSA_10device_ptrIjEEEEPS6_SG_NS0_5tupleIJSF_S6_EEENSH_IJSG_SG_EEES6_PlJNSB_9not_fun_tI7is_evenIjEEEEEE10hipError_tPvRmT3_T4_T5_T6_T7_T9_mT8_P12ihipStream_tbDpT10_ENKUlT_T0_E_clISt17integral_constantIbLb0EES17_IbLb1EEEEDaS13_S14_EUlS13_E_NS1_11comp_targetILNS1_3genE10ELNS1_11target_archE1200ELNS1_3gpuE4ELNS1_3repE0EEENS1_30default_config_static_selectorELNS0_4arch9wavefront6targetE0EEEvT1_
	.globl	_ZN7rocprim17ROCPRIM_400000_NS6detail17trampoline_kernelINS0_14default_configENS1_25partition_config_selectorILNS1_17partition_subalgoE6EjNS0_10empty_typeEbEEZZNS1_14partition_implILS5_6ELb0ES3_mN6thrust23THRUST_200600_302600_NS6detail15normal_iteratorINSA_10device_ptrIjEEEEPS6_SG_NS0_5tupleIJSF_S6_EEENSH_IJSG_SG_EEES6_PlJNSB_9not_fun_tI7is_evenIjEEEEEE10hipError_tPvRmT3_T4_T5_T6_T7_T9_mT8_P12ihipStream_tbDpT10_ENKUlT_T0_E_clISt17integral_constantIbLb0EES17_IbLb1EEEEDaS13_S14_EUlS13_E_NS1_11comp_targetILNS1_3genE10ELNS1_11target_archE1200ELNS1_3gpuE4ELNS1_3repE0EEENS1_30default_config_static_selectorELNS0_4arch9wavefront6targetE0EEEvT1_
	.p2align	8
	.type	_ZN7rocprim17ROCPRIM_400000_NS6detail17trampoline_kernelINS0_14default_configENS1_25partition_config_selectorILNS1_17partition_subalgoE6EjNS0_10empty_typeEbEEZZNS1_14partition_implILS5_6ELb0ES3_mN6thrust23THRUST_200600_302600_NS6detail15normal_iteratorINSA_10device_ptrIjEEEEPS6_SG_NS0_5tupleIJSF_S6_EEENSH_IJSG_SG_EEES6_PlJNSB_9not_fun_tI7is_evenIjEEEEEE10hipError_tPvRmT3_T4_T5_T6_T7_T9_mT8_P12ihipStream_tbDpT10_ENKUlT_T0_E_clISt17integral_constantIbLb0EES17_IbLb1EEEEDaS13_S14_EUlS13_E_NS1_11comp_targetILNS1_3genE10ELNS1_11target_archE1200ELNS1_3gpuE4ELNS1_3repE0EEENS1_30default_config_static_selectorELNS0_4arch9wavefront6targetE0EEEvT1_,@function
_ZN7rocprim17ROCPRIM_400000_NS6detail17trampoline_kernelINS0_14default_configENS1_25partition_config_selectorILNS1_17partition_subalgoE6EjNS0_10empty_typeEbEEZZNS1_14partition_implILS5_6ELb0ES3_mN6thrust23THRUST_200600_302600_NS6detail15normal_iteratorINSA_10device_ptrIjEEEEPS6_SG_NS0_5tupleIJSF_S6_EEENSH_IJSG_SG_EEES6_PlJNSB_9not_fun_tI7is_evenIjEEEEEE10hipError_tPvRmT3_T4_T5_T6_T7_T9_mT8_P12ihipStream_tbDpT10_ENKUlT_T0_E_clISt17integral_constantIbLb0EES17_IbLb1EEEEDaS13_S14_EUlS13_E_NS1_11comp_targetILNS1_3genE10ELNS1_11target_archE1200ELNS1_3gpuE4ELNS1_3repE0EEENS1_30default_config_static_selectorELNS0_4arch9wavefront6targetE0EEEvT1_: ; @_ZN7rocprim17ROCPRIM_400000_NS6detail17trampoline_kernelINS0_14default_configENS1_25partition_config_selectorILNS1_17partition_subalgoE6EjNS0_10empty_typeEbEEZZNS1_14partition_implILS5_6ELb0ES3_mN6thrust23THRUST_200600_302600_NS6detail15normal_iteratorINSA_10device_ptrIjEEEEPS6_SG_NS0_5tupleIJSF_S6_EEENSH_IJSG_SG_EEES6_PlJNSB_9not_fun_tI7is_evenIjEEEEEE10hipError_tPvRmT3_T4_T5_T6_T7_T9_mT8_P12ihipStream_tbDpT10_ENKUlT_T0_E_clISt17integral_constantIbLb0EES17_IbLb1EEEEDaS13_S14_EUlS13_E_NS1_11comp_targetILNS1_3genE10ELNS1_11target_archE1200ELNS1_3gpuE4ELNS1_3repE0EEENS1_30default_config_static_selectorELNS0_4arch9wavefront6targetE0EEEvT1_
; %bb.0:
	s_clause 0x3
	s_load_b64 s[12:13], s[0:1], 0x28
	s_load_b128 s[8:11], s[0:1], 0x40
	s_load_b64 s[16:17], s[0:1], 0x50
	s_load_b64 s[14:15], s[0:1], 0x60
	v_cmp_eq_u32_e64 s2, 0, v0
	s_and_saveexec_b32 s3, s2
	s_cbranch_execz .LBB658_4
; %bb.1:
	s_mov_b32 s5, exec_lo
	s_mov_b32 s4, exec_lo
	v_mbcnt_lo_u32_b32 v1, s5, 0
                                        ; implicit-def: $vgpr2
	s_delay_alu instid0(VALU_DEP_1)
	v_cmpx_eq_u32_e32 0, v1
	s_cbranch_execz .LBB658_3
; %bb.2:
	s_load_b64 s[6:7], s[0:1], 0x70
	s_bcnt1_i32_b32 s5, s5
	s_wait_alu 0xfffe
	v_dual_mov_b32 v2, 0 :: v_dual_mov_b32 v3, s5
	s_wait_kmcnt 0x0
	global_atomic_add_u32 v2, v2, v3, s[6:7] th:TH_ATOMIC_RETURN scope:SCOPE_DEV
.LBB658_3:
	s_or_b32 exec_lo, exec_lo, s4
	s_wait_loadcnt 0x0
	v_readfirstlane_b32 s4, v2
	s_wait_alu 0xf1ff
	s_delay_alu instid0(VALU_DEP_1)
	v_dual_mov_b32 v2, 0 :: v_dual_add_nc_u32 v1, s4, v1
	ds_store_b32 v2, v1
.LBB658_4:
	s_or_b32 exec_lo, exec_lo, s3
	v_mov_b32_e32 v2, 0
	s_clause 0x1
	s_load_b128 s[4:7], s[0:1], 0x8
	s_load_b32 s0, s[0:1], 0x68
	s_wait_dscnt 0x0
	s_barrier_signal -1
	s_barrier_wait -1
	global_inv scope:SCOPE_SE
	ds_load_b32 v1, v2
	s_wait_loadcnt_dscnt 0x0
	s_barrier_signal -1
	s_barrier_wait -1
	global_inv scope:SCOPE_SE
	s_wait_kmcnt 0x0
	global_load_b64 v[9:10], v2, s[10:11]
	s_mov_b32 s1, 0
	v_lshlrev_b32_e32 v8, 2, v0
	s_lshl_b64 s[18:19], s[6:7], 2
	s_add_co_i32 s3, s0, -1
	s_mulk_i32 s0, 0xa80
	s_delay_alu instid0(SALU_CYCLE_1)
	s_add_co_i32 s11, s0, s6
	s_add_nc_u64 s[6:7], s[6:7], s[0:1]
	v_readfirstlane_b32 s10, v1
	v_mul_lo_u32 v1, 0xa80, v1
	v_cmp_le_u64_e64 s1, s[16:17], s[6:7]
	s_sub_co_i32 s0, s16, s11
	s_add_nc_u64 s[16:17], s[4:5], s[18:19]
	s_cmp_eq_u32 s10, s3
	s_cselect_b32 s6, -1, 0
	v_lshlrev_b64_e32 v[1:2], 2, v[1:2]
	s_wait_alu 0xfffe
	s_and_b32 s1, s1, s6
	s_delay_alu instid0(SALU_CYCLE_1) | instskip(SKIP_1) | instid1(VALU_DEP_1)
	s_xor_b32 s5, s1, -1
	s_mov_b32 s1, -1
	v_add_co_u32 v11, vcc_lo, s16, v1
	s_delay_alu instid0(VALU_DEP_1)
	v_add_co_ci_u32_e64 v12, null, s17, v2, vcc_lo
	s_wait_alu 0xfffe
	s_and_b32 vcc_lo, exec_lo, s5
	s_wait_alu 0xfffe
	s_cbranch_vccz .LBB658_6
; %bb.5:
	v_add_co_u32 v1, vcc_lo, v11, v8
	s_wait_alu 0xfffd
	v_add_co_ci_u32_e64 v2, null, 0, v12, vcc_lo
	s_mov_b32 s1, 0
	s_clause 0x6
	flat_load_b32 v3, v[1:2]
	flat_load_b32 v4, v[1:2] offset:1536
	flat_load_b32 v5, v[1:2] offset:3072
	;; [unrolled: 1-line block ×6, first 2 shown]
	s_wait_loadcnt_dscnt 0x505
	ds_store_2addr_stride64_b32 v8, v3, v4 offset1:6
	s_wait_loadcnt_dscnt 0x304
	ds_store_2addr_stride64_b32 v8, v5, v6 offset0:12 offset1:18
	s_wait_loadcnt_dscnt 0x103
	ds_store_2addr_stride64_b32 v8, v7, v13 offset0:24 offset1:30
	s_wait_loadcnt_dscnt 0x3
	ds_store_b32 v8, v1 offset:9216
	s_wait_dscnt 0x0
	s_barrier_signal -1
	s_barrier_wait -1
.LBB658_6:
	s_and_not1_b32 vcc_lo, exec_lo, s1
	s_addk_co_i32 s0, 0xa80
	s_wait_alu 0xfffe
	s_cbranch_vccnz .LBB658_22
; %bb.7:
	v_mov_b32_e32 v1, 0
	s_mov_b32 s1, exec_lo
	s_delay_alu instid0(VALU_DEP_1)
	v_dual_mov_b32 v2, v1 :: v_dual_mov_b32 v3, v1
	v_dual_mov_b32 v4, v1 :: v_dual_mov_b32 v5, v1
	;; [unrolled: 1-line block ×3, first 2 shown]
	v_cmpx_gt_u32_e64 s0, v0
	s_cbranch_execz .LBB658_9
; %bb.8:
	v_add_co_u32 v2, vcc_lo, v11, v8
	s_wait_alu 0xfffd
	v_add_co_ci_u32_e64 v3, null, 0, v12, vcc_lo
	v_dual_mov_b32 v14, v1 :: v_dual_mov_b32 v15, v1
	v_dual_mov_b32 v16, v1 :: v_dual_mov_b32 v17, v1
	flat_load_b32 v13, v[2:3]
	v_dual_mov_b32 v18, v1 :: v_dual_mov_b32 v19, v1
	s_wait_loadcnt_dscnt 0x0
	v_dual_mov_b32 v1, v13 :: v_dual_mov_b32 v2, v14
	v_dual_mov_b32 v3, v15 :: v_dual_mov_b32 v4, v16
	s_delay_alu instid0(VALU_DEP_3)
	v_dual_mov_b32 v5, v17 :: v_dual_mov_b32 v6, v18
	v_mov_b32_e32 v7, v19
.LBB658_9:
	s_or_b32 exec_lo, exec_lo, s1
	v_add_nc_u32_e32 v13, 0x180, v0
	s_mov_b32 s1, exec_lo
	s_delay_alu instid0(VALU_DEP_1)
	v_cmpx_gt_u32_e64 s0, v13
	s_cbranch_execz .LBB658_11
; %bb.10:
	v_add_co_u32 v13, vcc_lo, v11, v8
	s_wait_alu 0xfffd
	v_add_co_ci_u32_e64 v14, null, 0, v12, vcc_lo
	flat_load_b32 v2, v[13:14] offset:1536
.LBB658_11:
	s_wait_alu 0xfffe
	s_or_b32 exec_lo, exec_lo, s1
	v_add_nc_u32_e32 v13, 0x300, v0
	s_mov_b32 s1, exec_lo
	s_delay_alu instid0(VALU_DEP_1)
	v_cmpx_gt_u32_e64 s0, v13
	s_cbranch_execz .LBB658_13
; %bb.12:
	v_add_co_u32 v13, vcc_lo, v11, v8
	s_wait_alu 0xfffd
	v_add_co_ci_u32_e64 v14, null, 0, v12, vcc_lo
	flat_load_b32 v3, v[13:14] offset:3072
.LBB658_13:
	s_wait_alu 0xfffe
	;; [unrolled: 13-line block ×3, first 2 shown]
	s_or_b32 exec_lo, exec_lo, s1
	v_or_b32_e32 v13, 0x600, v0
	s_mov_b32 s1, exec_lo
	s_delay_alu instid0(VALU_DEP_1)
	v_cmpx_gt_u32_e64 s0, v13
	s_cbranch_execz .LBB658_17
; %bb.16:
	v_add_co_u32 v13, vcc_lo, v11, v8
	s_wait_alu 0xfffd
	v_add_co_ci_u32_e64 v14, null, 0, v12, vcc_lo
	flat_load_b32 v5, v[13:14] offset:6144
.LBB658_17:
	s_wait_alu 0xfffe
	s_or_b32 exec_lo, exec_lo, s1
	v_add_nc_u32_e32 v13, 0x780, v0
	s_mov_b32 s1, exec_lo
	s_delay_alu instid0(VALU_DEP_1)
	v_cmpx_gt_u32_e64 s0, v13
	s_cbranch_execz .LBB658_19
; %bb.18:
	v_add_co_u32 v13, vcc_lo, v11, v8
	s_wait_alu 0xfffd
	v_add_co_ci_u32_e64 v14, null, 0, v12, vcc_lo
	flat_load_b32 v6, v[13:14] offset:7680
.LBB658_19:
	s_wait_alu 0xfffe
	s_or_b32 exec_lo, exec_lo, s1
	v_add_nc_u32_e32 v13, 0x900, v0
	s_mov_b32 s1, exec_lo
	s_delay_alu instid0(VALU_DEP_1)
	v_cmpx_gt_u32_e64 s0, v13
	s_cbranch_execz .LBB658_21
; %bb.20:
	v_add_co_u32 v11, vcc_lo, v11, v8
	s_wait_alu 0xfffd
	v_add_co_ci_u32_e64 v12, null, 0, v12, vcc_lo
	flat_load_b32 v7, v[11:12] offset:9216
.LBB658_21:
	s_wait_alu 0xfffe
	s_or_b32 exec_lo, exec_lo, s1
	s_wait_loadcnt_dscnt 0x0
	ds_store_2addr_stride64_b32 v8, v1, v2 offset1:6
	ds_store_2addr_stride64_b32 v8, v3, v4 offset0:12 offset1:18
	ds_store_2addr_stride64_b32 v8, v5, v6 offset0:24 offset1:30
	ds_store_b32 v8, v7 offset:9216
	s_wait_dscnt 0x0
	s_barrier_signal -1
	s_barrier_wait -1
.LBB658_22:
	v_mul_u32_u24_e32 v1, 7, v0
	s_wait_loadcnt 0x0
	global_inv scope:SCOPE_SE
	s_and_not1_b32 vcc_lo, exec_lo, s5
	v_lshlrev_b32_e32 v32, 2, v1
	ds_load_2addr_b32 v[15:16], v32 offset1:1
	ds_load_2addr_b32 v[13:14], v32 offset0:2 offset1:3
	ds_load_2addr_b32 v[11:12], v32 offset0:4 offset1:5
	ds_load_b32 v33, v32 offset:24
	s_wait_loadcnt_dscnt 0x0
	s_barrier_signal -1
	s_barrier_wait -1
	global_inv scope:SCOPE_SE
	s_wait_alu 0xfffe
	s_cbranch_vccnz .LBB658_24
; %bb.23:
	v_and_b32_e32 v2, 1, v16
	v_and_b32_e32 v3, 1, v14
	;; [unrolled: 1-line block ×5, first 2 shown]
	v_lshlrev_b16 v2, 8, v2
	v_lshlrev_b16 v3, 8, v3
	v_and_b32_e32 v36, 1, v11
	s_delay_alu instid0(VALU_DEP_3) | instskip(NEXT) | instid1(VALU_DEP_3)
	v_lshrrev_b32_e32 v2, 8, v2
	v_lshrrev_b32_e32 v3, 8, v3
	s_delay_alu instid0(VALU_DEP_2) | instskip(NEXT) | instid1(VALU_DEP_2)
	v_lshlrev_b16 v2, 8, v2
	v_lshlrev_b16 v3, 8, v3
	s_delay_alu instid0(VALU_DEP_2) | instskip(NEXT) | instid1(VALU_DEP_2)
	v_or_b32_e32 v2, v4, v2
	v_or_b32_e32 v3, v5, v3
	v_and_b32_e32 v4, 1, v12
	v_lshlrev_b16 v5, 8, v34
	s_delay_alu instid0(VALU_DEP_4) | instskip(NEXT) | instid1(VALU_DEP_4)
	v_and_b32_e32 v2, 0xffff, v2
	v_lshlrev_b32_e32 v3, 16, v3
	s_delay_alu instid0(VALU_DEP_3) | instskip(NEXT) | instid1(VALU_DEP_2)
	v_or_b32_e32 v35, v4, v5
	v_or_b32_e32 v31, v2, v3
	s_cbranch_execz .LBB658_25
	s_branch .LBB658_26
.LBB658_24:
                                        ; implicit-def: $vgpr34
                                        ; implicit-def: $vgpr35
                                        ; implicit-def: $vgpr36
                                        ; implicit-def: $vgpr31
.LBB658_25:
	v_add_nc_u32_e32 v2, 3, v1
	v_add_nc_u32_e32 v3, 1, v1
	;; [unrolled: 1-line block ×5, first 2 shown]
	v_cmp_gt_u32_e32 vcc_lo, s0, v2
	s_wait_alu 0xfffd
	v_cndmask_b32_e64 v2, 0, 1, vcc_lo
	v_cmp_gt_u32_e32 vcc_lo, s0, v3
	s_delay_alu instid0(VALU_DEP_2)
	v_and_b32_e32 v2, v2, v14
	s_wait_alu 0xfffd
	v_cndmask_b32_e64 v3, 0, 1, vcc_lo
	v_cmp_gt_u32_e32 vcc_lo, s0, v1
	v_add_nc_u32_e32 v1, 6, v1
	v_lshlrev_b16 v2, 8, v2
	s_delay_alu instid0(VALU_DEP_4)
	v_and_b32_e32 v3, v3, v16
	s_wait_alu 0xfffd
	v_cndmask_b32_e64 v5, 0, 1, vcc_lo
	v_cmp_gt_u32_e32 vcc_lo, s0, v4
	v_lshrrev_b32_e32 v2, 8, v2
	v_lshlrev_b16 v3, 8, v3
	s_delay_alu instid0(VALU_DEP_4)
	v_and_b32_e32 v5, v5, v15
	s_wait_alu 0xfffd
	v_cndmask_b32_e64 v4, 0, 1, vcc_lo
	v_cmp_gt_u32_e32 vcc_lo, s0, v6
	v_and_b32_e32 v2, 1, v2
	v_lshrrev_b32_e32 v3, 8, v3
	v_and_b32_e32 v5, 1, v5
	v_and_b32_e32 v4, v4, v13
	s_wait_alu 0xfffd
	v_cndmask_b32_e64 v6, 0, 1, vcc_lo
	v_lshlrev_b16 v2, 8, v2
	v_lshlrev_b16 v3, 8, v3
	v_cmp_gt_u32_e32 vcc_lo, s0, v7
	v_and_b32_e32 v4, 1, v4
	v_and_b32_e32 v36, v6, v11
	s_delay_alu instid0(VALU_DEP_4) | instskip(NEXT) | instid1(VALU_DEP_3)
	v_or_b32_e32 v3, v5, v3
	v_or_b32_e32 v2, v4, v2
	s_wait_alu 0xfffd
	v_cndmask_b32_e64 v4, 0, 1, vcc_lo
	v_cmp_gt_u32_e32 vcc_lo, s0, v1
	v_and_b32_e32 v3, 0xffff, v3
	v_lshlrev_b32_e32 v2, 16, v2
	s_delay_alu instid0(VALU_DEP_4) | instskip(SKIP_2) | instid1(VALU_DEP_3)
	v_and_b32_e32 v35, v4, v12
	s_wait_alu 0xfffd
	v_cndmask_b32_e64 v1, 0, 1, vcc_lo
	v_or_b32_e32 v31, v3, v2
	s_delay_alu instid0(VALU_DEP_2)
	v_and_b32_e32 v34, v1, v33
.LBB658_26:
	s_delay_alu instid0(VALU_DEP_1)
	v_and_b32_e32 v42, 0xff, v31
	v_bfe_u32 v40, v31, 8, 8
	v_bfe_u32 v39, v31, 16, 8
	v_lshrrev_b32_e32 v37, 24, v31
	v_dual_mov_b32 v2, 0 :: v_dual_and_b32 v41, 0xff, v36
	v_and_b32_e32 v38, 0xff, v35
	s_delay_alu instid0(VALU_DEP_4)
	v_add3_u32 v1, v40, v42, v39
	v_mbcnt_lo_u32_b32 v43, -1, 0
	v_and_b32_e32 v4, 0xff, v34
	s_cmp_lg_u32 s10, 0
	s_mov_b32 s1, -1
	v_add_co_u32 v1, s0, v1, v37
	s_wait_alu 0xf1ff
	v_add_co_ci_u32_e64 v3, null, 0, 0, s0
	v_and_b32_e32 v44, 15, v43
	s_delay_alu instid0(VALU_DEP_3) | instskip(SKIP_1) | instid1(VALU_DEP_3)
	v_add_co_u32 v1, vcc_lo, v1, v41
	s_wait_alu 0xfffd
	v_add_co_ci_u32_e64 v3, null, 0, v3, vcc_lo
	s_delay_alu instid0(VALU_DEP_3) | instskip(NEXT) | instid1(VALU_DEP_3)
	v_cmp_ne_u32_e64 s0, 0, v44
	v_add_co_u32 v1, vcc_lo, v1, v38
	s_wait_alu 0xfffd
	s_delay_alu instid0(VALU_DEP_3) | instskip(NEXT) | instid1(VALU_DEP_2)
	v_add_co_ci_u32_e64 v3, null, 0, v3, vcc_lo
	v_add_co_u32 v17, vcc_lo, v1, v4
	s_wait_alu 0xfffd
	s_delay_alu instid0(VALU_DEP_2)
	v_add_co_ci_u32_e64 v18, null, 0, v3, vcc_lo
	s_cbranch_scc0 .LBB658_85
; %bb.27:
	v_mov_b32_e32 v3, v17
	v_mov_b32_dpp v1, v17 row_shr:1 row_mask:0xf bank_mask:0xf
	v_mov_b32_dpp v6, v2 row_shr:1 row_mask:0xf bank_mask:0xf
	v_dual_mov_b32 v5, v17 :: v_dual_mov_b32 v4, v18
	s_and_saveexec_b32 s1, s0
; %bb.28:
	s_delay_alu instid0(VALU_DEP_3) | instskip(SKIP_2) | instid1(VALU_DEP_2)
	v_add_co_u32 v5, vcc_lo, v17, v1
	s_wait_alu 0xfffd
	v_add_co_ci_u32_e64 v2, null, 0, v18, vcc_lo
	v_add_co_u32 v1, vcc_lo, 0, v5
	s_wait_alu 0xfffd
	s_delay_alu instid0(VALU_DEP_2) | instskip(NEXT) | instid1(VALU_DEP_1)
	v_add_co_ci_u32_e64 v2, null, v6, v2, vcc_lo
	v_dual_mov_b32 v4, v2 :: v_dual_mov_b32 v3, v1
; %bb.29:
	s_wait_alu 0xfffe
	s_or_b32 exec_lo, exec_lo, s1
	v_mov_b32_dpp v1, v5 row_shr:2 row_mask:0xf bank_mask:0xf
	v_mov_b32_dpp v6, v2 row_shr:2 row_mask:0xf bank_mask:0xf
	v_cmp_lt_u32_e32 vcc_lo, 1, v44
	s_and_saveexec_b32 s3, vcc_lo
; %bb.30:
	s_delay_alu instid0(VALU_DEP_3) | instskip(SKIP_2) | instid1(VALU_DEP_2)
	v_add_co_u32 v5, s1, v3, v1
	s_wait_alu 0xf1ff
	v_add_co_ci_u32_e64 v2, null, 0, v4, s1
	v_add_co_u32 v1, s1, 0, v5
	s_wait_alu 0xf1ff
	s_delay_alu instid0(VALU_DEP_2) | instskip(NEXT) | instid1(VALU_DEP_1)
	v_add_co_ci_u32_e64 v2, null, v6, v2, s1
	v_dual_mov_b32 v4, v2 :: v_dual_mov_b32 v3, v1
; %bb.31:
	s_or_b32 exec_lo, exec_lo, s3
	v_mov_b32_dpp v1, v5 row_shr:4 row_mask:0xf bank_mask:0xf
	v_mov_b32_dpp v6, v2 row_shr:4 row_mask:0xf bank_mask:0xf
	v_cmp_lt_u32_e64 s1, 3, v44
	s_and_saveexec_b32 s4, s1
; %bb.32:
	v_add_co_u32 v5, s3, v3, v1
	s_delay_alu instid0(VALU_DEP_1) | instskip(NEXT) | instid1(VALU_DEP_2)
	v_add_co_ci_u32_e64 v2, null, 0, v4, s3
	v_add_co_u32 v1, s3, 0, v5
	s_wait_alu 0xf1ff
	s_delay_alu instid0(VALU_DEP_2) | instskip(NEXT) | instid1(VALU_DEP_1)
	v_add_co_ci_u32_e64 v2, null, v6, v2, s3
	v_dual_mov_b32 v4, v2 :: v_dual_mov_b32 v3, v1
; %bb.33:
	s_wait_alu 0xfffe
	s_or_b32 exec_lo, exec_lo, s4
	v_mov_b32_dpp v6, v5 row_shr:8 row_mask:0xf bank_mask:0xf
	v_mov_b32_dpp v1, v2 row_shr:8 row_mask:0xf bank_mask:0xf
	v_cmp_lt_u32_e64 s3, 7, v44
	s_and_saveexec_b32 s7, s3
; %bb.34:
	v_add_co_u32 v5, s4, v3, v6
	s_wait_alu 0xf1ff
	v_add_co_ci_u32_e64 v2, null, 0, v4, s4
	s_delay_alu instid0(VALU_DEP_2) | instskip(SKIP_1) | instid1(VALU_DEP_2)
	v_add_co_u32 v3, s4, 0, v5
	s_wait_alu 0xf1ff
	v_add_co_ci_u32_e64 v4, null, v1, v2, s4
	s_delay_alu instid0(VALU_DEP_1)
	v_mov_b32_e32 v2, v4
; %bb.35:
	s_wait_alu 0xfffe
	s_or_b32 exec_lo, exec_lo, s7
	ds_swizzle_b32 v1, v5 offset:swizzle(BROADCAST,32,15)
	ds_swizzle_b32 v6, v2 offset:swizzle(BROADCAST,32,15)
	v_and_b32_e32 v7, 16, v43
	s_mov_b32 s7, exec_lo
	s_delay_alu instid0(VALU_DEP_1)
	v_cmpx_ne_u32_e32 0, v7
	s_cbranch_execz .LBB658_37
; %bb.36:
	s_wait_dscnt 0x1
	v_add_co_u32 v5, s4, v3, v1
	s_wait_alu 0xf1ff
	v_add_co_ci_u32_e64 v2, null, 0, v4, s4
	s_delay_alu instid0(VALU_DEP_2) | instskip(SKIP_2) | instid1(VALU_DEP_2)
	v_add_co_u32 v1, s4, 0, v5
	s_wait_dscnt 0x0
	s_wait_alu 0xf1ff
	v_add_co_ci_u32_e64 v2, null, v6, v2, s4
	s_delay_alu instid0(VALU_DEP_1)
	v_dual_mov_b32 v4, v2 :: v_dual_mov_b32 v3, v1
.LBB658_37:
	s_wait_alu 0xfffe
	s_or_b32 exec_lo, exec_lo, s7
	s_wait_dscnt 0x1
	v_and_b32_e32 v1, 0x1e0, v0
	s_mov_b32 s7, exec_lo
	s_delay_alu instid0(VALU_DEP_1) | instskip(SKIP_1) | instid1(VALU_DEP_1)
	v_min_u32_e32 v1, 0x160, v1
	s_wait_dscnt 0x0
	v_or_b32_e32 v6, 31, v1
	v_lshrrev_b32_e32 v1, 5, v0
	s_delay_alu instid0(VALU_DEP_2)
	v_cmpx_eq_u32_e64 v0, v6
; %bb.38:
	s_delay_alu instid0(VALU_DEP_2)
	v_lshlrev_b32_e32 v6, 3, v1
	ds_store_b64 v6, v[3:4]
; %bb.39:
	s_wait_alu 0xfffe
	s_or_b32 exec_lo, exec_lo, s7
	s_delay_alu instid0(SALU_CYCLE_1)
	s_mov_b32 s7, exec_lo
	s_wait_loadcnt_dscnt 0x0
	s_barrier_signal -1
	s_barrier_wait -1
	global_inv scope:SCOPE_SE
	v_cmpx_gt_u32_e32 12, v0
	s_cbranch_execz .LBB658_49
; %bb.40:
	v_lshlrev_b32_e32 v6, 3, v0
	ds_load_b64 v[3:4], v6
	s_wait_dscnt 0x0
	v_mov_b32_dpp v19, v3 row_shr:1 row_mask:0xf bank_mask:0xf
	v_mov_b32_dpp v8, v4 row_shr:1 row_mask:0xf bank_mask:0xf
	v_mov_b32_e32 v7, v3
	s_and_saveexec_b32 s11, s0
; %bb.41:
	s_delay_alu instid0(VALU_DEP_3) | instskip(SKIP_2) | instid1(VALU_DEP_2)
	v_add_co_u32 v7, s4, v3, v19
	s_wait_alu 0xf1ff
	v_add_co_ci_u32_e64 v4, null, 0, v4, s4
	v_add_co_u32 v3, s4, 0, v7
	s_wait_alu 0xf1ff
	s_delay_alu instid0(VALU_DEP_2)
	v_add_co_ci_u32_e64 v4, null, v8, v4, s4
; %bb.42:
	s_or_b32 exec_lo, exec_lo, s11
	v_mov_b32_dpp v19, v7 row_shr:2 row_mask:0xf bank_mask:0xf
	s_delay_alu instid0(VALU_DEP_2)
	v_mov_b32_dpp v8, v4 row_shr:2 row_mask:0xf bank_mask:0xf
	s_and_saveexec_b32 s4, vcc_lo
; %bb.43:
	s_delay_alu instid0(VALU_DEP_2) | instskip(SKIP_2) | instid1(VALU_DEP_2)
	v_add_co_u32 v7, vcc_lo, v3, v19
	s_wait_alu 0xfffd
	v_add_co_ci_u32_e64 v4, null, 0, v4, vcc_lo
	v_add_co_u32 v3, vcc_lo, 0, v7
	s_wait_alu 0xfffd
	s_delay_alu instid0(VALU_DEP_2)
	v_add_co_ci_u32_e64 v4, null, v8, v4, vcc_lo
; %bb.44:
	s_wait_alu 0xfffe
	s_or_b32 exec_lo, exec_lo, s4
	v_mov_b32_dpp v19, v7 row_shr:4 row_mask:0xf bank_mask:0xf
	s_delay_alu instid0(VALU_DEP_2)
	v_mov_b32_dpp v8, v4 row_shr:4 row_mask:0xf bank_mask:0xf
	s_and_saveexec_b32 s4, s1
; %bb.45:
	s_delay_alu instid0(VALU_DEP_2) | instskip(SKIP_2) | instid1(VALU_DEP_2)
	v_add_co_u32 v7, vcc_lo, v3, v19
	s_wait_alu 0xfffd
	v_add_co_ci_u32_e64 v4, null, 0, v4, vcc_lo
	v_add_co_u32 v3, vcc_lo, 0, v7
	s_wait_alu 0xfffd
	s_delay_alu instid0(VALU_DEP_2)
	v_add_co_ci_u32_e64 v4, null, v8, v4, vcc_lo
; %bb.46:
	s_wait_alu 0xfffe
	s_or_b32 exec_lo, exec_lo, s4
	v_mov_b32_dpp v8, v7 row_shr:8 row_mask:0xf bank_mask:0xf
	s_delay_alu instid0(VALU_DEP_2)
	v_mov_b32_dpp v7, v4 row_shr:8 row_mask:0xf bank_mask:0xf
	s_and_saveexec_b32 s1, s3
; %bb.47:
	s_delay_alu instid0(VALU_DEP_2) | instskip(SKIP_2) | instid1(VALU_DEP_2)
	v_add_co_u32 v3, vcc_lo, v3, v8
	s_wait_alu 0xfffd
	v_add_co_ci_u32_e64 v4, null, 0, v4, vcc_lo
	v_add_co_u32 v3, vcc_lo, v3, 0
	s_wait_alu 0xfffd
	s_delay_alu instid0(VALU_DEP_2)
	v_add_co_ci_u32_e64 v4, null, v4, v7, vcc_lo
; %bb.48:
	s_wait_alu 0xfffe
	s_or_b32 exec_lo, exec_lo, s1
	ds_store_b64 v6, v[3:4]
.LBB658_49:
	s_wait_alu 0xfffe
	s_or_b32 exec_lo, exec_lo, s7
	s_delay_alu instid0(SALU_CYCLE_1)
	s_mov_b32 s3, exec_lo
	v_cmp_gt_u32_e32 vcc_lo, 32, v0
	s_wait_loadcnt_dscnt 0x0
	s_barrier_signal -1
	s_barrier_wait -1
	global_inv scope:SCOPE_SE
                                        ; implicit-def: $vgpr19_vgpr20
	v_cmpx_lt_u32_e32 31, v0
	s_cbranch_execz .LBB658_51
; %bb.50:
	v_lshl_add_u32 v1, v1, 3, -8
	ds_load_b64 v[19:20], v1
	s_wait_dscnt 0x0
	v_add_co_u32 v5, s1, v5, v19
	s_wait_alu 0xf1ff
	v_add_co_ci_u32_e64 v2, null, v2, v20, s1
.LBB658_51:
	s_wait_alu 0xfffe
	s_or_b32 exec_lo, exec_lo, s3
	v_sub_co_u32 v1, s1, v43, 1
	s_delay_alu instid0(VALU_DEP_1) | instskip(SKIP_1) | instid1(VALU_DEP_1)
	v_cmp_gt_i32_e64 s3, 0, v1
	s_wait_alu 0xf1ff
	v_cndmask_b32_e64 v1, v1, v43, s3
	s_delay_alu instid0(VALU_DEP_1)
	v_lshlrev_b32_e32 v1, 2, v1
	ds_bpermute_b32 v25, v1, v5
	ds_bpermute_b32 v26, v1, v2
	s_and_saveexec_b32 s3, vcc_lo
	s_cbranch_execz .LBB658_90
; %bb.52:
	v_mov_b32_e32 v4, 0
	ds_load_b64 v[1:2], v4 offset:88
	s_and_saveexec_b32 s4, s1
	s_cbranch_execz .LBB658_54
; %bb.53:
	s_add_co_i32 s16, s10, 32
	s_mov_b32 s17, 0
	s_wait_alu 0xfffe
	s_lshl_b64 s[16:17], s[16:17], 4
	s_wait_alu 0xfffe
	s_add_nc_u64 s[16:17], s[14:15], s[16:17]
	v_mov_b32_e32 v3, 1
	s_wait_alu 0xfffe
	v_dual_mov_b32 v5, s16 :: v_dual_mov_b32 v6, s17
	s_wait_dscnt 0x0
	;;#ASMSTART
	global_store_b128 v[5:6], v[1:4] off scope:SCOPE_DEV	
s_wait_storecnt 0x0
	;;#ASMEND
.LBB658_54:
	s_wait_alu 0xfffe
	s_or_b32 exec_lo, exec_lo, s4
	v_xad_u32 v21, v43, -1, s10
	s_mov_b32 s7, 0
	s_mov_b32 s4, exec_lo
	s_delay_alu instid0(VALU_DEP_1) | instskip(NEXT) | instid1(VALU_DEP_1)
	v_add_nc_u32_e32 v3, 32, v21
	v_lshlrev_b64_e32 v[3:4], 4, v[3:4]
	s_delay_alu instid0(VALU_DEP_1) | instskip(SKIP_1) | instid1(VALU_DEP_2)
	v_add_co_u32 v3, vcc_lo, s14, v3
	s_wait_alu 0xfffd
	v_add_co_ci_u32_e64 v4, null, s15, v4, vcc_lo
	;;#ASMSTART
	global_load_b128 v[5:8], v[3:4] off scope:SCOPE_DEV	
s_wait_loadcnt 0x0
	;;#ASMEND
	v_and_b32_e32 v8, 0xff, v7
	s_delay_alu instid0(VALU_DEP_1)
	v_cmpx_eq_u16_e32 0, v8
	s_cbranch_execz .LBB658_57
.LBB658_55:                             ; =>This Inner Loop Header: Depth=1
	;;#ASMSTART
	global_load_b128 v[5:8], v[3:4] off scope:SCOPE_DEV	
s_wait_loadcnt 0x0
	;;#ASMEND
	v_and_b32_e32 v8, 0xff, v7
	s_delay_alu instid0(VALU_DEP_1)
	v_cmp_ne_u16_e32 vcc_lo, 0, v8
	s_wait_alu 0xfffe
	s_or_b32 s7, vcc_lo, s7
	s_wait_alu 0xfffe
	s_and_not1_b32 exec_lo, exec_lo, s7
	s_cbranch_execnz .LBB658_55
; %bb.56:
	s_or_b32 exec_lo, exec_lo, s7
.LBB658_57:
	s_wait_alu 0xfffe
	s_or_b32 exec_lo, exec_lo, s4
	v_cmp_ne_u32_e32 vcc_lo, 31, v43
	v_and_b32_e32 v4, 0xff, v7
	v_lshlrev_b32_e64 v28, v43, -1
	s_mov_b32 s4, exec_lo
	s_wait_alu 0xfffd
	v_add_co_ci_u32_e64 v3, null, 0, v43, vcc_lo
	v_cmp_eq_u16_e32 vcc_lo, 2, v4
	s_delay_alu instid0(VALU_DEP_2)
	v_dual_mov_b32 v4, v5 :: v_dual_lshlrev_b32 v27, 2, v3
	s_wait_alu 0xfffd
	v_and_or_b32 v3, vcc_lo, v28, 0x80000000
	ds_bpermute_b32 v22, v27, v5
	ds_bpermute_b32 v8, v27, v6
	v_ctz_i32_b32_e32 v3, v3
	s_delay_alu instid0(VALU_DEP_1)
	v_cmpx_lt_u32_e64 v43, v3
	s_cbranch_execz .LBB658_59
; %bb.58:
	s_wait_dscnt 0x1
	v_add_co_u32 v4, vcc_lo, v5, v22
	s_wait_alu 0xfffd
	v_add_co_ci_u32_e64 v6, null, 0, v6, vcc_lo
	s_delay_alu instid0(VALU_DEP_2) | instskip(SKIP_2) | instid1(VALU_DEP_2)
	v_add_co_u32 v5, vcc_lo, 0, v4
	s_wait_dscnt 0x0
	s_wait_alu 0xfffd
	v_add_co_ci_u32_e64 v6, null, v8, v6, vcc_lo
.LBB658_59:
	s_wait_alu 0xfffe
	s_or_b32 exec_lo, exec_lo, s4
	v_cmp_gt_u32_e32 vcc_lo, 30, v43
	v_add_nc_u32_e32 v30, 2, v43
	s_mov_b32 s4, exec_lo
	s_wait_dscnt 0x0
	s_wait_alu 0xfffd
	v_cndmask_b32_e64 v8, 0, 2, vcc_lo
	s_delay_alu instid0(VALU_DEP_1)
	v_add_lshl_u32 v29, v8, v43, 2
	ds_bpermute_b32 v22, v29, v4
	ds_bpermute_b32 v8, v29, v6
	v_cmpx_le_u32_e64 v30, v3
	s_cbranch_execz .LBB658_61
; %bb.60:
	s_wait_dscnt 0x1
	v_add_co_u32 v4, vcc_lo, v5, v22
	s_wait_alu 0xfffd
	v_add_co_ci_u32_e64 v6, null, 0, v6, vcc_lo
	s_delay_alu instid0(VALU_DEP_2) | instskip(SKIP_2) | instid1(VALU_DEP_2)
	v_add_co_u32 v5, vcc_lo, 0, v4
	s_wait_dscnt 0x0
	s_wait_alu 0xfffd
	v_add_co_ci_u32_e64 v6, null, v8, v6, vcc_lo
.LBB658_61:
	s_wait_alu 0xfffe
	s_or_b32 exec_lo, exec_lo, s4
	v_cmp_gt_u32_e32 vcc_lo, 28, v43
	v_add_nc_u32_e32 v46, 4, v43
	s_mov_b32 s4, exec_lo
	s_wait_dscnt 0x0
	s_wait_alu 0xfffd
	v_cndmask_b32_e64 v8, 0, 4, vcc_lo
	s_delay_alu instid0(VALU_DEP_1)
	v_add_lshl_u32 v45, v8, v43, 2
	ds_bpermute_b32 v22, v45, v4
	ds_bpermute_b32 v8, v45, v6
	v_cmpx_le_u32_e64 v46, v3
	;; [unrolled: 25-line block ×3, first 2 shown]
	s_cbranch_execz .LBB658_65
; %bb.64:
	s_wait_dscnt 0x1
	v_add_co_u32 v4, vcc_lo, v5, v22
	s_wait_alu 0xfffd
	v_add_co_ci_u32_e64 v6, null, 0, v6, vcc_lo
	s_delay_alu instid0(VALU_DEP_2) | instskip(SKIP_2) | instid1(VALU_DEP_2)
	v_add_co_u32 v5, vcc_lo, 0, v4
	s_wait_dscnt 0x0
	s_wait_alu 0xfffd
	v_add_co_ci_u32_e64 v6, null, v8, v6, vcc_lo
.LBB658_65:
	s_wait_alu 0xfffe
	s_or_b32 exec_lo, exec_lo, s4
	v_lshl_or_b32 v49, v43, 2, 64
	v_add_nc_u32_e32 v50, 16, v43
	s_mov_b32 s4, exec_lo
	s_wait_dscnt 0x0
	ds_bpermute_b32 v8, v49, v4
	ds_bpermute_b32 v4, v49, v6
	v_cmpx_le_u32_e64 v50, v3
	s_cbranch_execz .LBB658_67
; %bb.66:
	s_wait_dscnt 0x1
	v_add_co_u32 v3, vcc_lo, v5, v8
	s_wait_alu 0xfffd
	v_add_co_ci_u32_e64 v6, null, 0, v6, vcc_lo
	s_delay_alu instid0(VALU_DEP_2) | instskip(SKIP_2) | instid1(VALU_DEP_2)
	v_add_co_u32 v5, vcc_lo, v3, 0
	s_wait_dscnt 0x0
	s_wait_alu 0xfffd
	v_add_co_ci_u32_e64 v6, null, v6, v4, vcc_lo
.LBB658_67:
	s_wait_alu 0xfffe
	s_or_b32 exec_lo, exec_lo, s4
	v_mov_b32_e32 v22, 0
	s_branch .LBB658_70
.LBB658_68:                             ;   in Loop: Header=BB658_70 Depth=1
	s_wait_alu 0xfffe
	s_or_b32 exec_lo, exec_lo, s4
	v_add_co_u32 v5, vcc_lo, v5, v3
	v_subrev_nc_u32_e32 v21, 32, v21
	s_wait_alu 0xfffd
	v_add_co_ci_u32_e64 v6, null, v6, v4, vcc_lo
	s_mov_b32 s4, 0
.LBB658_69:                             ;   in Loop: Header=BB658_70 Depth=1
	s_wait_alu 0xfffe
	s_and_b32 vcc_lo, exec_lo, s4
	s_wait_alu 0xfffe
	s_cbranch_vccnz .LBB658_86
.LBB658_70:                             ; =>This Loop Header: Depth=1
                                        ;     Child Loop BB658_73 Depth 2
	v_and_b32_e32 v3, 0xff, v7
	s_mov_b32 s4, -1
	s_delay_alu instid0(VALU_DEP_1)
	v_cmp_ne_u16_e32 vcc_lo, 2, v3
	s_wait_dscnt 0x0
	v_dual_mov_b32 v3, v5 :: v_dual_mov_b32 v4, v6
                                        ; implicit-def: $vgpr5_vgpr6
	s_cmp_lg_u32 vcc_lo, exec_lo
	s_cbranch_scc1 .LBB658_69
; %bb.71:                               ;   in Loop: Header=BB658_70 Depth=1
	v_lshlrev_b64_e32 v[5:6], 4, v[21:22]
	s_mov_b32 s4, exec_lo
	s_delay_alu instid0(VALU_DEP_1) | instskip(SKIP_1) | instid1(VALU_DEP_2)
	v_add_co_u32 v23, vcc_lo, s14, v5
	s_wait_alu 0xfffd
	v_add_co_ci_u32_e64 v24, null, s15, v6, vcc_lo
	;;#ASMSTART
	global_load_b128 v[5:8], v[23:24] off scope:SCOPE_DEV	
s_wait_loadcnt 0x0
	;;#ASMEND
	v_and_b32_e32 v8, 0xff, v7
	s_delay_alu instid0(VALU_DEP_1)
	v_cmpx_eq_u16_e32 0, v8
	s_cbranch_execz .LBB658_75
; %bb.72:                               ;   in Loop: Header=BB658_70 Depth=1
	s_mov_b32 s7, 0
.LBB658_73:                             ;   Parent Loop BB658_70 Depth=1
                                        ; =>  This Inner Loop Header: Depth=2
	;;#ASMSTART
	global_load_b128 v[5:8], v[23:24] off scope:SCOPE_DEV	
s_wait_loadcnt 0x0
	;;#ASMEND
	v_and_b32_e32 v8, 0xff, v7
	s_delay_alu instid0(VALU_DEP_1)
	v_cmp_ne_u16_e32 vcc_lo, 0, v8
	s_wait_alu 0xfffe
	s_or_b32 s7, vcc_lo, s7
	s_wait_alu 0xfffe
	s_and_not1_b32 exec_lo, exec_lo, s7
	s_cbranch_execnz .LBB658_73
; %bb.74:                               ;   in Loop: Header=BB658_70 Depth=1
	s_or_b32 exec_lo, exec_lo, s7
.LBB658_75:                             ;   in Loop: Header=BB658_70 Depth=1
	s_wait_alu 0xfffe
	s_or_b32 exec_lo, exec_lo, s4
	v_dual_mov_b32 v23, v5 :: v_dual_and_b32 v8, 0xff, v7
	ds_bpermute_b32 v51, v27, v5
	ds_bpermute_b32 v24, v27, v6
	s_mov_b32 s4, exec_lo
	v_cmp_eq_u16_e32 vcc_lo, 2, v8
	s_wait_alu 0xfffd
	v_and_or_b32 v8, vcc_lo, v28, 0x80000000
	s_delay_alu instid0(VALU_DEP_1) | instskip(NEXT) | instid1(VALU_DEP_1)
	v_ctz_i32_b32_e32 v8, v8
	v_cmpx_lt_u32_e64 v43, v8
	s_cbranch_execz .LBB658_77
; %bb.76:                               ;   in Loop: Header=BB658_70 Depth=1
	s_wait_dscnt 0x1
	v_add_co_u32 v23, vcc_lo, v5, v51
	s_wait_alu 0xfffd
	v_add_co_ci_u32_e64 v6, null, 0, v6, vcc_lo
	s_delay_alu instid0(VALU_DEP_2) | instskip(SKIP_2) | instid1(VALU_DEP_2)
	v_add_co_u32 v5, vcc_lo, 0, v23
	s_wait_dscnt 0x0
	s_wait_alu 0xfffd
	v_add_co_ci_u32_e64 v6, null, v24, v6, vcc_lo
.LBB658_77:                             ;   in Loop: Header=BB658_70 Depth=1
	s_wait_alu 0xfffe
	s_or_b32 exec_lo, exec_lo, s4
	s_wait_dscnt 0x1
	ds_bpermute_b32 v51, v29, v23
	s_wait_dscnt 0x1
	ds_bpermute_b32 v24, v29, v6
	s_mov_b32 s4, exec_lo
	v_cmpx_le_u32_e64 v30, v8
	s_cbranch_execz .LBB658_79
; %bb.78:                               ;   in Loop: Header=BB658_70 Depth=1
	s_wait_dscnt 0x1
	v_add_co_u32 v23, vcc_lo, v5, v51
	s_wait_alu 0xfffd
	v_add_co_ci_u32_e64 v6, null, 0, v6, vcc_lo
	s_delay_alu instid0(VALU_DEP_2) | instskip(SKIP_2) | instid1(VALU_DEP_2)
	v_add_co_u32 v5, vcc_lo, 0, v23
	s_wait_dscnt 0x0
	s_wait_alu 0xfffd
	v_add_co_ci_u32_e64 v6, null, v24, v6, vcc_lo
.LBB658_79:                             ;   in Loop: Header=BB658_70 Depth=1
	s_wait_alu 0xfffe
	s_or_b32 exec_lo, exec_lo, s4
	s_wait_dscnt 0x1
	ds_bpermute_b32 v51, v45, v23
	s_wait_dscnt 0x1
	ds_bpermute_b32 v24, v45, v6
	s_mov_b32 s4, exec_lo
	v_cmpx_le_u32_e64 v46, v8
	;; [unrolled: 20-line block ×3, first 2 shown]
	s_cbranch_execz .LBB658_83
; %bb.82:                               ;   in Loop: Header=BB658_70 Depth=1
	s_wait_dscnt 0x1
	v_add_co_u32 v23, vcc_lo, v5, v51
	s_wait_alu 0xfffd
	v_add_co_ci_u32_e64 v6, null, 0, v6, vcc_lo
	s_delay_alu instid0(VALU_DEP_2) | instskip(SKIP_2) | instid1(VALU_DEP_2)
	v_add_co_u32 v5, vcc_lo, 0, v23
	s_wait_dscnt 0x0
	s_wait_alu 0xfffd
	v_add_co_ci_u32_e64 v6, null, v24, v6, vcc_lo
.LBB658_83:                             ;   in Loop: Header=BB658_70 Depth=1
	s_wait_alu 0xfffe
	s_or_b32 exec_lo, exec_lo, s4
	s_wait_dscnt 0x0
	ds_bpermute_b32 v24, v49, v23
	ds_bpermute_b32 v23, v49, v6
	s_mov_b32 s4, exec_lo
	v_cmpx_le_u32_e64 v50, v8
	s_cbranch_execz .LBB658_68
; %bb.84:                               ;   in Loop: Header=BB658_70 Depth=1
	s_wait_dscnt 0x1
	v_add_co_u32 v5, vcc_lo, v5, v24
	s_wait_alu 0xfffd
	v_add_co_ci_u32_e64 v6, null, 0, v6, vcc_lo
	s_delay_alu instid0(VALU_DEP_2) | instskip(SKIP_2) | instid1(VALU_DEP_2)
	v_add_co_u32 v5, vcc_lo, v5, 0
	s_wait_dscnt 0x0
	s_wait_alu 0xfffd
	v_add_co_ci_u32_e64 v6, null, v6, v23, vcc_lo
	s_branch .LBB658_68
.LBB658_85:
                                        ; implicit-def: $vgpr19_vgpr20
                                        ; implicit-def: $vgpr6_vgpr7
                                        ; implicit-def: $vgpr21_vgpr22
                                        ; implicit-def: $vgpr23_vgpr24
                                        ; implicit-def: $vgpr25_vgpr26
                                        ; implicit-def: $vgpr27_vgpr28
                                        ; implicit-def: $vgpr29_vgpr30
                                        ; implicit-def: $vgpr4_vgpr5
	s_wait_alu 0xfffe
	s_and_b32 vcc_lo, exec_lo, s1
	s_wait_alu 0xfffe
	s_cbranch_vccnz .LBB658_91
	s_branch .LBB658_118
.LBB658_86:
	s_and_saveexec_b32 s4, s1
	s_cbranch_execz .LBB658_88
; %bb.87:
	s_add_co_i32 s10, s10, 32
	s_mov_b32 s11, 0
	v_add_co_u32 v5, vcc_lo, v3, v1
	s_wait_alu 0xfffe
	s_lshl_b64 s[10:11], s[10:11], 4
	v_dual_mov_b32 v7, 2 :: v_dual_mov_b32 v8, 0
	s_wait_alu 0xfffe
	s_add_nc_u64 s[10:11], s[14:15], s[10:11]
	s_wait_alu 0xfffd
	v_add_co_ci_u32_e64 v6, null, v4, v2, vcc_lo
	s_wait_alu 0xfffe
	v_dual_mov_b32 v22, s11 :: v_dual_mov_b32 v21, s10
	;;#ASMSTART
	global_store_b128 v[21:22], v[5:8] off scope:SCOPE_DEV	
s_wait_storecnt 0x0
	;;#ASMEND
	ds_store_b128 v8, v[1:4] offset:10752
.LBB658_88:
	s_wait_alu 0xfffe
	s_or_b32 exec_lo, exec_lo, s4
	s_delay_alu instid0(SALU_CYCLE_1)
	s_and_b32 exec_lo, exec_lo, s2
; %bb.89:
	v_mov_b32_e32 v1, 0
	ds_store_b64 v1, v[3:4] offset:88
.LBB658_90:
	s_wait_alu 0xfffe
	s_or_b32 exec_lo, exec_lo, s3
	v_mov_b32_e32 v3, 0
	s_wait_loadcnt_dscnt 0x0
	s_barrier_signal -1
	s_barrier_wait -1
	global_inv scope:SCOPE_SE
	ds_load_b64 v[1:2], v3 offset:88
	v_cndmask_b32_e64 v4, v25, v19, s1
	v_cndmask_b32_e64 v5, v26, v20, s1
	s_wait_loadcnt_dscnt 0x0
	s_barrier_signal -1
	s_barrier_wait -1
	v_cndmask_b32_e64 v4, v4, 0, s2
	v_cndmask_b32_e64 v5, v5, 0, s2
	global_inv scope:SCOPE_SE
	v_add_co_u32 v29, vcc_lo, v1, v4
	s_wait_alu 0xfffd
	v_add_co_ci_u32_e64 v30, null, v2, v5, vcc_lo
	ds_load_b128 v[2:5], v3 offset:10752
	v_add_co_u32 v27, vcc_lo, v29, v42
	s_wait_alu 0xfffd
	v_add_co_ci_u32_e64 v28, null, 0, v30, vcc_lo
	s_delay_alu instid0(VALU_DEP_2) | instskip(SKIP_1) | instid1(VALU_DEP_2)
	v_add_co_u32 v25, vcc_lo, v27, v40
	s_wait_alu 0xfffd
	v_add_co_ci_u32_e64 v26, null, 0, v28, vcc_lo
	s_delay_alu instid0(VALU_DEP_2) | instskip(SKIP_1) | instid1(VALU_DEP_2)
	;; [unrolled: 4-line block ×5, first 2 shown]
	v_add_co_u32 v19, vcc_lo, v6, v38
	s_wait_alu 0xfffd
	v_add_co_ci_u32_e64 v20, null, 0, v7, vcc_lo
	s_branch .LBB658_118
.LBB658_91:
	s_wait_dscnt 0x0
	v_dual_mov_b32 v2, 0 :: v_dual_mov_b32 v3, v17
	v_mov_b32_dpp v4, v17 row_shr:1 row_mask:0xf bank_mask:0xf
	s_delay_alu instid0(VALU_DEP_2)
	v_mov_b32_dpp v1, v2 row_shr:1 row_mask:0xf bank_mask:0xf
	s_and_saveexec_b32 s1, s0
; %bb.92:
	s_delay_alu instid0(VALU_DEP_2) | instskip(SKIP_2) | instid1(VALU_DEP_2)
	v_add_co_u32 v3, vcc_lo, v17, v4
	s_wait_alu 0xfffd
	v_add_co_ci_u32_e64 v2, null, 0, v18, vcc_lo
	v_add_co_u32 v17, vcc_lo, 0, v3
	s_wait_alu 0xfffd
	s_delay_alu instid0(VALU_DEP_2) | instskip(NEXT) | instid1(VALU_DEP_1)
	v_add_co_ci_u32_e64 v18, null, v1, v2, vcc_lo
	v_mov_b32_e32 v2, v18
; %bb.93:
	s_wait_alu 0xfffe
	s_or_b32 exec_lo, exec_lo, s1
	v_mov_b32_dpp v1, v3 row_shr:2 row_mask:0xf bank_mask:0xf
	s_delay_alu instid0(VALU_DEP_2)
	v_mov_b32_dpp v4, v2 row_shr:2 row_mask:0xf bank_mask:0xf
	v_cmp_lt_u32_e32 vcc_lo, 1, v44
	s_and_saveexec_b32 s3, vcc_lo
; %bb.94:
	s_delay_alu instid0(VALU_DEP_3) | instskip(SKIP_2) | instid1(VALU_DEP_2)
	v_add_co_u32 v3, s1, v17, v1
	s_wait_alu 0xf1ff
	v_add_co_ci_u32_e64 v2, null, 0, v18, s1
	v_add_co_u32 v1, s1, 0, v3
	s_wait_alu 0xf1ff
	s_delay_alu instid0(VALU_DEP_2) | instskip(NEXT) | instid1(VALU_DEP_1)
	v_add_co_ci_u32_e64 v2, null, v4, v2, s1
	v_dual_mov_b32 v18, v2 :: v_dual_mov_b32 v17, v1
; %bb.95:
	s_or_b32 exec_lo, exec_lo, s3
	v_mov_b32_dpp v1, v3 row_shr:4 row_mask:0xf bank_mask:0xf
	v_mov_b32_dpp v4, v2 row_shr:4 row_mask:0xf bank_mask:0xf
	v_cmp_lt_u32_e64 s1, 3, v44
	s_and_saveexec_b32 s4, s1
; %bb.96:
	v_add_co_u32 v3, s3, v17, v1
	s_delay_alu instid0(VALU_DEP_1) | instskip(NEXT) | instid1(VALU_DEP_2)
	v_add_co_ci_u32_e64 v2, null, 0, v18, s3
	v_add_co_u32 v1, s3, 0, v3
	s_wait_alu 0xf1ff
	s_delay_alu instid0(VALU_DEP_2) | instskip(NEXT) | instid1(VALU_DEP_1)
	v_add_co_ci_u32_e64 v2, null, v4, v2, s3
	v_dual_mov_b32 v18, v2 :: v_dual_mov_b32 v17, v1
; %bb.97:
	s_wait_alu 0xfffe
	s_or_b32 exec_lo, exec_lo, s4
	v_mov_b32_dpp v4, v3 row_shr:8 row_mask:0xf bank_mask:0xf
	v_mov_b32_dpp v1, v2 row_shr:8 row_mask:0xf bank_mask:0xf
	v_cmp_lt_u32_e64 s3, 7, v44
	s_and_saveexec_b32 s7, s3
; %bb.98:
	v_add_co_u32 v3, s4, v17, v4
	s_wait_alu 0xf1ff
	v_add_co_ci_u32_e64 v2, null, 0, v18, s4
	s_delay_alu instid0(VALU_DEP_2) | instskip(SKIP_1) | instid1(VALU_DEP_2)
	v_add_co_u32 v17, s4, 0, v3
	s_wait_alu 0xf1ff
	v_add_co_ci_u32_e64 v18, null, v1, v2, s4
	s_delay_alu instid0(VALU_DEP_1)
	v_mov_b32_e32 v2, v18
; %bb.99:
	s_wait_alu 0xfffe
	s_or_b32 exec_lo, exec_lo, s7
	ds_swizzle_b32 v3, v3 offset:swizzle(BROADCAST,32,15)
	ds_swizzle_b32 v1, v2 offset:swizzle(BROADCAST,32,15)
	v_and_b32_e32 v2, 16, v43
	s_mov_b32 s7, exec_lo
	s_delay_alu instid0(VALU_DEP_1)
	v_cmpx_ne_u32_e32 0, v2
	s_cbranch_execz .LBB658_101
; %bb.100:
	s_wait_dscnt 0x1
	v_add_co_u32 v2, s4, v17, v3
	s_wait_alu 0xf1ff
	v_add_co_ci_u32_e64 v3, null, 0, v18, s4
	s_delay_alu instid0(VALU_DEP_2) | instskip(SKIP_2) | instid1(VALU_DEP_2)
	v_add_co_u32 v17, s4, v2, 0
	s_wait_dscnt 0x0
	s_wait_alu 0xf1ff
	v_add_co_ci_u32_e64 v18, null, v3, v1, s4
.LBB658_101:
	s_wait_alu 0xfffe
	s_or_b32 exec_lo, exec_lo, s7
	s_wait_dscnt 0x0
	v_and_b32_e32 v1, 0x1e0, v0
	v_lshrrev_b32_e32 v3, 5, v0
	s_mov_b32 s7, exec_lo
	s_delay_alu instid0(VALU_DEP_2) | instskip(NEXT) | instid1(VALU_DEP_1)
	v_min_u32_e32 v1, 0x160, v1
	v_or_b32_e32 v1, 31, v1
	s_delay_alu instid0(VALU_DEP_1)
	v_cmpx_eq_u32_e64 v0, v1
; %bb.102:
	v_lshlrev_b32_e32 v1, 3, v3
	ds_store_b64 v1, v[17:18]
; %bb.103:
	s_wait_alu 0xfffe
	s_or_b32 exec_lo, exec_lo, s7
	s_delay_alu instid0(SALU_CYCLE_1)
	s_mov_b32 s7, exec_lo
	s_wait_loadcnt_dscnt 0x0
	s_barrier_signal -1
	s_barrier_wait -1
	global_inv scope:SCOPE_SE
	v_cmpx_gt_u32_e32 12, v0
	s_cbranch_execz .LBB658_113
; %bb.104:
	v_mad_i32_i24 v1, 0xffffffec, v0, v32
	ds_load_b64 v[1:2], v1
	s_wait_dscnt 0x0
	v_mov_b32_dpp v6, v1 row_shr:1 row_mask:0xf bank_mask:0xf
	v_mov_b32_dpp v5, v2 row_shr:1 row_mask:0xf bank_mask:0xf
	v_mov_b32_e32 v4, v1
	s_and_saveexec_b32 s4, s0
; %bb.105:
	s_delay_alu instid0(VALU_DEP_3) | instskip(SKIP_2) | instid1(VALU_DEP_2)
	v_add_co_u32 v4, s0, v1, v6
	s_wait_alu 0xf1ff
	v_add_co_ci_u32_e64 v2, null, 0, v2, s0
	v_add_co_u32 v1, s0, 0, v4
	s_wait_alu 0xf1ff
	s_delay_alu instid0(VALU_DEP_2)
	v_add_co_ci_u32_e64 v2, null, v5, v2, s0
; %bb.106:
	s_wait_alu 0xfffe
	s_or_b32 exec_lo, exec_lo, s4
	v_mov_b32_dpp v6, v4 row_shr:2 row_mask:0xf bank_mask:0xf
	s_delay_alu instid0(VALU_DEP_2)
	v_mov_b32_dpp v5, v2 row_shr:2 row_mask:0xf bank_mask:0xf
	s_and_saveexec_b32 s0, vcc_lo
; %bb.107:
	s_delay_alu instid0(VALU_DEP_2) | instskip(SKIP_2) | instid1(VALU_DEP_2)
	v_add_co_u32 v4, vcc_lo, v1, v6
	s_wait_alu 0xfffd
	v_add_co_ci_u32_e64 v2, null, 0, v2, vcc_lo
	v_add_co_u32 v1, vcc_lo, 0, v4
	s_wait_alu 0xfffd
	s_delay_alu instid0(VALU_DEP_2)
	v_add_co_ci_u32_e64 v2, null, v5, v2, vcc_lo
; %bb.108:
	s_wait_alu 0xfffe
	s_or_b32 exec_lo, exec_lo, s0
	v_mov_b32_dpp v6, v4 row_shr:4 row_mask:0xf bank_mask:0xf
	s_delay_alu instid0(VALU_DEP_2)
	v_mov_b32_dpp v5, v2 row_shr:4 row_mask:0xf bank_mask:0xf
	s_and_saveexec_b32 s0, s1
; %bb.109:
	s_delay_alu instid0(VALU_DEP_2) | instskip(SKIP_2) | instid1(VALU_DEP_2)
	v_add_co_u32 v4, vcc_lo, v1, v6
	s_wait_alu 0xfffd
	v_add_co_ci_u32_e64 v2, null, 0, v2, vcc_lo
	v_add_co_u32 v1, vcc_lo, 0, v4
	s_wait_alu 0xfffd
	s_delay_alu instid0(VALU_DEP_2)
	v_add_co_ci_u32_e64 v2, null, v5, v2, vcc_lo
; %bb.110:
	s_wait_alu 0xfffe
	s_or_b32 exec_lo, exec_lo, s0
	v_mul_i32_i24_e32 v5, 0xffffffec, v0
	v_mov_b32_dpp v6, v4 row_shr:8 row_mask:0xf bank_mask:0xf
	v_mov_b32_dpp v4, v2 row_shr:8 row_mask:0xf bank_mask:0xf
	s_and_saveexec_b32 s0, s3
; %bb.111:
	s_delay_alu instid0(VALU_DEP_2) | instskip(SKIP_2) | instid1(VALU_DEP_2)
	v_add_co_u32 v1, vcc_lo, v1, v6
	s_wait_alu 0xfffd
	v_add_co_ci_u32_e64 v2, null, 0, v2, vcc_lo
	v_add_co_u32 v1, vcc_lo, v1, 0
	s_wait_alu 0xfffd
	s_delay_alu instid0(VALU_DEP_2)
	v_add_co_ci_u32_e64 v2, null, v2, v4, vcc_lo
; %bb.112:
	s_wait_alu 0xfffe
	s_or_b32 exec_lo, exec_lo, s0
	v_add_nc_u32_e32 v4, v32, v5
	ds_store_b64 v4, v[1:2]
.LBB658_113:
	s_wait_alu 0xfffe
	s_or_b32 exec_lo, exec_lo, s7
	v_mov_b32_e32 v6, 0
	v_mov_b32_e32 v7, 0
	s_mov_b32 s0, exec_lo
	s_wait_loadcnt_dscnt 0x0
	s_barrier_signal -1
	s_barrier_wait -1
	global_inv scope:SCOPE_SE
	v_cmpx_lt_u32_e32 31, v0
; %bb.114:
	v_lshl_add_u32 v1, v3, 3, -8
	ds_load_b64 v[6:7], v1
; %bb.115:
	s_wait_alu 0xfffe
	s_or_b32 exec_lo, exec_lo, s0
	v_sub_co_u32 v1, vcc_lo, v43, 1
	v_mov_b32_e32 v5, 0
	s_delay_alu instid0(VALU_DEP_2) | instskip(SKIP_1) | instid1(VALU_DEP_1)
	v_cmp_gt_i32_e64 s0, 0, v1
	s_wait_alu 0xf1ff
	v_cndmask_b32_e64 v1, v1, v43, s0
	s_delay_alu instid0(VALU_DEP_1)
	v_lshlrev_b32_e32 v2, 2, v1
	s_wait_dscnt 0x0
	v_add_co_u32 v1, s0, v6, v17
	s_wait_alu 0xf1ff
	v_add_co_ci_u32_e64 v3, null, v7, v18, s0
	ds_bpermute_b32 v1, v2, v1
	ds_bpermute_b32 v8, v2, v3
	ds_load_b64 v[2:3], v5 offset:88
	s_and_saveexec_b32 s0, s2
	s_cbranch_execz .LBB658_117
; %bb.116:
	s_add_nc_u64 s[10:11], s[14:15], 0x200
	v_mov_b32_e32 v4, 2
	v_dual_mov_b32 v18, s11 :: v_dual_mov_b32 v17, s10
	s_wait_dscnt 0x0
	;;#ASMSTART
	global_store_b128 v[17:18], v[2:5] off scope:SCOPE_DEV	
s_wait_storecnt 0x0
	;;#ASMEND
.LBB658_117:
	s_wait_alu 0xfffe
	s_or_b32 exec_lo, exec_lo, s0
	s_wait_dscnt 0x1
	s_wait_alu 0xfffd
	v_dual_cndmask_b32 v1, v1, v6 :: v_dual_cndmask_b32 v4, v8, v7
	s_wait_loadcnt_dscnt 0x0
	s_barrier_signal -1
	s_barrier_wait -1
	s_delay_alu instid0(VALU_DEP_1)
	v_cndmask_b32_e64 v29, v1, 0, s2
	v_cndmask_b32_e64 v30, v4, 0, s2
	v_mov_b32_e32 v4, 0
	v_mov_b32_e32 v5, 0
	global_inv scope:SCOPE_SE
	v_add_co_u32 v27, vcc_lo, v29, v42
	s_wait_alu 0xfffd
	v_add_co_ci_u32_e64 v28, null, 0, v30, vcc_lo
	s_delay_alu instid0(VALU_DEP_2) | instskip(SKIP_1) | instid1(VALU_DEP_2)
	v_add_co_u32 v25, vcc_lo, v27, v40
	s_wait_alu 0xfffd
	v_add_co_ci_u32_e64 v26, null, 0, v28, vcc_lo
	s_delay_alu instid0(VALU_DEP_2) | instskip(SKIP_1) | instid1(VALU_DEP_2)
	;; [unrolled: 4-line block ×5, first 2 shown]
	v_add_co_u32 v19, vcc_lo, v6, v38
	s_wait_alu 0xfffd
	v_add_co_ci_u32_e64 v20, null, 0, v7, vcc_lo
.LBB658_118:
	v_and_b32_e32 v38, 1, v31
	s_wait_dscnt 0x0
	v_cmp_gt_u64_e32 vcc_lo, 0x181, v[2:3]
	v_lshlrev_b64_e32 v[17:18], 2, v[9:10]
	v_lshrrev_b32_e32 v8, 8, v31
	v_lshrrev_b32_e32 v1, 16, v31
	v_cmp_eq_u32_e64 s0, 1, v38
	s_mov_b32 s1, -1
	s_cbranch_vccnz .LBB658_122
; %bb.119:
	s_wait_alu 0xfffe
	s_and_b32 vcc_lo, exec_lo, s1
	s_wait_alu 0xfffe
	s_cbranch_vccnz .LBB658_137
.LBB658_120:
	s_and_b32 s0, s2, s6
	s_wait_alu 0xfffe
	s_and_saveexec_b32 s1, s0
	s_cbranch_execnz .LBB658_154
.LBB658_121:
	s_endpgm
.LBB658_122:
	v_add_co_u32 v31, vcc_lo, v4, v2
	s_wait_alu 0xfffd
	v_add_co_ci_u32_e64 v32, null, v5, v3, vcc_lo
	v_add_co_u32 v39, s1, s12, v17
	s_wait_alu 0xf1fe
	v_add_co_ci_u32_e64 v40, null, s13, v18, s1
	s_delay_alu instid0(VALU_DEP_3)
	v_cmp_lt_u64_e32 vcc_lo, v[29:30], v[31:32]
	s_or_b32 s1, s5, vcc_lo
	s_wait_alu 0xfffe
	s_and_b32 s1, s1, s0
	s_wait_alu 0xfffe
	s_and_saveexec_b32 s0, s1
	s_cbranch_execz .LBB658_124
; %bb.123:
	v_lshlrev_b64_e32 v[41:42], 2, v[29:30]
	s_delay_alu instid0(VALU_DEP_1) | instskip(SKIP_1) | instid1(VALU_DEP_2)
	v_add_co_u32 v41, vcc_lo, v39, v41
	s_wait_alu 0xfffd
	v_add_co_ci_u32_e64 v42, null, v40, v42, vcc_lo
	global_store_b32 v[41:42], v15, off
.LBB658_124:
	s_wait_alu 0xfffe
	s_or_b32 exec_lo, exec_lo, s0
	v_and_b32_e32 v30, 1, v8
	v_cmp_lt_u64_e32 vcc_lo, v[27:28], v[31:32]
	s_delay_alu instid0(VALU_DEP_2)
	v_cmp_eq_u32_e64 s0, 1, v30
	s_or_b32 s1, s5, vcc_lo
	s_wait_alu 0xfffe
	s_and_b32 s1, s1, s0
	s_wait_alu 0xfffe
	s_and_saveexec_b32 s0, s1
	s_cbranch_execz .LBB658_126
; %bb.125:
	v_lshlrev_b64_e32 v[41:42], 2, v[27:28]
	s_delay_alu instid0(VALU_DEP_1) | instskip(SKIP_1) | instid1(VALU_DEP_2)
	v_add_co_u32 v41, vcc_lo, v39, v41
	s_wait_alu 0xfffd
	v_add_co_ci_u32_e64 v42, null, v40, v42, vcc_lo
	global_store_b32 v[41:42], v16, off
.LBB658_126:
	s_wait_alu 0xfffe
	s_or_b32 exec_lo, exec_lo, s0
	v_and_b32_e32 v28, 1, v1
	v_cmp_lt_u64_e32 vcc_lo, v[25:26], v[31:32]
	s_delay_alu instid0(VALU_DEP_2)
	v_cmp_eq_u32_e64 s0, 1, v28
	;; [unrolled: 20-line block ×6, first 2 shown]
	s_or_b32 s1, s5, vcc_lo
	s_wait_alu 0xfffe
	s_and_b32 s1, s1, s0
	s_wait_alu 0xfffe
	s_and_saveexec_b32 s0, s1
	s_cbranch_execz .LBB658_136
; %bb.135:
	v_lshlrev_b64_e32 v[30:31], 2, v[19:20]
	s_delay_alu instid0(VALU_DEP_1) | instskip(SKIP_1) | instid1(VALU_DEP_2)
	v_add_co_u32 v30, vcc_lo, v39, v30
	s_wait_alu 0xfffd
	v_add_co_ci_u32_e64 v31, null, v40, v31, vcc_lo
	global_store_b32 v[30:31], v33, off
.LBB658_136:
	s_wait_alu 0xfffe
	s_or_b32 exec_lo, exec_lo, s0
	s_branch .LBB658_120
.LBB658_137:
	s_mov_b32 s0, exec_lo
	v_cmpx_eq_u32_e32 1, v38
; %bb.138:
	v_sub_nc_u32_e32 v7, v29, v4
	s_delay_alu instid0(VALU_DEP_1)
	v_lshlrev_b32_e32 v7, 2, v7
	ds_store_b32 v7, v15
; %bb.139:
	s_wait_alu 0xfffe
	s_or_b32 exec_lo, exec_lo, s0
	v_and_b32_e32 v7, 1, v8
	s_mov_b32 s0, exec_lo
	s_delay_alu instid0(VALU_DEP_1)
	v_cmpx_eq_u32_e32 1, v7
; %bb.140:
	v_sub_nc_u32_e32 v7, v27, v4
	s_delay_alu instid0(VALU_DEP_1)
	v_lshlrev_b32_e32 v7, 2, v7
	ds_store_b32 v7, v16
; %bb.141:
	s_wait_alu 0xfffe
	s_or_b32 exec_lo, exec_lo, s0
	v_and_b32_e32 v1, 1, v1
	s_mov_b32 s0, exec_lo
	s_delay_alu instid0(VALU_DEP_1)
	;; [unrolled: 12-line block ×6, first 2 shown]
	v_cmpx_eq_u32_e32 1, v1
; %bb.150:
	v_sub_nc_u32_e32 v1, v19, v4
	s_delay_alu instid0(VALU_DEP_1)
	v_lshlrev_b32_e32 v1, 2, v1
	ds_store_b32 v1, v33
; %bb.151:
	s_wait_alu 0xfffe
	s_or_b32 exec_lo, exec_lo, s0
	v_lshlrev_b64_e32 v[11:12], 2, v[4:5]
	v_add_co_u32 v8, vcc_lo, s12, v17
	v_mov_b32_e32 v1, 0
	s_wait_alu 0xfffd
	v_add_co_ci_u32_e64 v13, null, s13, v18, vcc_lo
	s_delay_alu instid0(VALU_DEP_3) | instskip(NEXT) | instid1(VALU_DEP_3)
	v_add_co_u32 v8, vcc_lo, v8, v11
	v_dual_mov_b32 v7, v1 :: v_dual_mov_b32 v6, v0
	s_wait_alu 0xfffd
	s_delay_alu instid0(VALU_DEP_3)
	v_add_co_ci_u32_e64 v11, null, v13, v12, vcc_lo
	v_add_nc_u32_e32 v0, 0x180, v0
	s_mov_b32 s1, 0
	s_wait_storecnt 0x0
	s_wait_loadcnt_dscnt 0x0
	s_barrier_signal -1
	s_barrier_wait -1
	global_inv scope:SCOPE_SE
.LBB658_152:                            ; =>This Inner Loop Header: Depth=1
	v_lshlrev_b32_e32 v12, 2, v6
	v_cmp_le_u64_e32 vcc_lo, v[2:3], v[0:1]
	ds_load_b32 v14, v12
	v_lshlrev_b64_e32 v[12:13], 2, v[6:7]
	v_dual_mov_b32 v7, v1 :: v_dual_mov_b32 v6, v0
	v_add_nc_u32_e32 v0, 0x180, v0
	s_wait_alu 0xfffe
	s_or_b32 s1, vcc_lo, s1
	s_delay_alu instid0(VALU_DEP_3)
	v_add_co_u32 v12, s0, v8, v12
	s_wait_alu 0xf1ff
	v_add_co_ci_u32_e64 v13, null, v11, v13, s0
	s_wait_dscnt 0x0
	global_store_b32 v[12:13], v14, off
	s_wait_alu 0xfffe
	s_and_not1_b32 exec_lo, exec_lo, s1
	s_cbranch_execnz .LBB658_152
; %bb.153:
	s_or_b32 exec_lo, exec_lo, s1
	s_and_b32 s0, s2, s6
	s_wait_alu 0xfffe
	s_and_saveexec_b32 s1, s0
	s_cbranch_execz .LBB658_121
.LBB658_154:
	v_add_co_u32 v0, vcc_lo, v4, v2
	s_wait_alu 0xfffd
	v_add_co_ci_u32_e64 v1, null, v5, v3, vcc_lo
	v_mov_b32_e32 v2, 0
	s_delay_alu instid0(VALU_DEP_3) | instskip(SKIP_1) | instid1(VALU_DEP_3)
	v_add_co_u32 v0, vcc_lo, v0, v9
	s_wait_alu 0xfffd
	v_add_co_ci_u32_e64 v1, null, v1, v10, vcc_lo
	global_store_b64 v2, v[0:1], s[8:9]
	s_endpgm
	.section	.rodata,"a",@progbits
	.p2align	6, 0x0
	.amdhsa_kernel _ZN7rocprim17ROCPRIM_400000_NS6detail17trampoline_kernelINS0_14default_configENS1_25partition_config_selectorILNS1_17partition_subalgoE6EjNS0_10empty_typeEbEEZZNS1_14partition_implILS5_6ELb0ES3_mN6thrust23THRUST_200600_302600_NS6detail15normal_iteratorINSA_10device_ptrIjEEEEPS6_SG_NS0_5tupleIJSF_S6_EEENSH_IJSG_SG_EEES6_PlJNSB_9not_fun_tI7is_evenIjEEEEEE10hipError_tPvRmT3_T4_T5_T6_T7_T9_mT8_P12ihipStream_tbDpT10_ENKUlT_T0_E_clISt17integral_constantIbLb0EES17_IbLb1EEEEDaS13_S14_EUlS13_E_NS1_11comp_targetILNS1_3genE10ELNS1_11target_archE1200ELNS1_3gpuE4ELNS1_3repE0EEENS1_30default_config_static_selectorELNS0_4arch9wavefront6targetE0EEEvT1_
		.amdhsa_group_segment_fixed_size 10768
		.amdhsa_private_segment_fixed_size 0
		.amdhsa_kernarg_size 128
		.amdhsa_user_sgpr_count 2
		.amdhsa_user_sgpr_dispatch_ptr 0
		.amdhsa_user_sgpr_queue_ptr 0
		.amdhsa_user_sgpr_kernarg_segment_ptr 1
		.amdhsa_user_sgpr_dispatch_id 0
		.amdhsa_user_sgpr_private_segment_size 0
		.amdhsa_wavefront_size32 1
		.amdhsa_uses_dynamic_stack 0
		.amdhsa_enable_private_segment 0
		.amdhsa_system_sgpr_workgroup_id_x 1
		.amdhsa_system_sgpr_workgroup_id_y 0
		.amdhsa_system_sgpr_workgroup_id_z 0
		.amdhsa_system_sgpr_workgroup_info 0
		.amdhsa_system_vgpr_workitem_id 0
		.amdhsa_next_free_vgpr 52
		.amdhsa_next_free_sgpr 20
		.amdhsa_reserve_vcc 1
		.amdhsa_float_round_mode_32 0
		.amdhsa_float_round_mode_16_64 0
		.amdhsa_float_denorm_mode_32 3
		.amdhsa_float_denorm_mode_16_64 3
		.amdhsa_fp16_overflow 0
		.amdhsa_workgroup_processor_mode 1
		.amdhsa_memory_ordered 1
		.amdhsa_forward_progress 1
		.amdhsa_inst_pref_size 60
		.amdhsa_round_robin_scheduling 0
		.amdhsa_exception_fp_ieee_invalid_op 0
		.amdhsa_exception_fp_denorm_src 0
		.amdhsa_exception_fp_ieee_div_zero 0
		.amdhsa_exception_fp_ieee_overflow 0
		.amdhsa_exception_fp_ieee_underflow 0
		.amdhsa_exception_fp_ieee_inexact 0
		.amdhsa_exception_int_div_zero 0
	.end_amdhsa_kernel
	.section	.text._ZN7rocprim17ROCPRIM_400000_NS6detail17trampoline_kernelINS0_14default_configENS1_25partition_config_selectorILNS1_17partition_subalgoE6EjNS0_10empty_typeEbEEZZNS1_14partition_implILS5_6ELb0ES3_mN6thrust23THRUST_200600_302600_NS6detail15normal_iteratorINSA_10device_ptrIjEEEEPS6_SG_NS0_5tupleIJSF_S6_EEENSH_IJSG_SG_EEES6_PlJNSB_9not_fun_tI7is_evenIjEEEEEE10hipError_tPvRmT3_T4_T5_T6_T7_T9_mT8_P12ihipStream_tbDpT10_ENKUlT_T0_E_clISt17integral_constantIbLb0EES17_IbLb1EEEEDaS13_S14_EUlS13_E_NS1_11comp_targetILNS1_3genE10ELNS1_11target_archE1200ELNS1_3gpuE4ELNS1_3repE0EEENS1_30default_config_static_selectorELNS0_4arch9wavefront6targetE0EEEvT1_,"axG",@progbits,_ZN7rocprim17ROCPRIM_400000_NS6detail17trampoline_kernelINS0_14default_configENS1_25partition_config_selectorILNS1_17partition_subalgoE6EjNS0_10empty_typeEbEEZZNS1_14partition_implILS5_6ELb0ES3_mN6thrust23THRUST_200600_302600_NS6detail15normal_iteratorINSA_10device_ptrIjEEEEPS6_SG_NS0_5tupleIJSF_S6_EEENSH_IJSG_SG_EEES6_PlJNSB_9not_fun_tI7is_evenIjEEEEEE10hipError_tPvRmT3_T4_T5_T6_T7_T9_mT8_P12ihipStream_tbDpT10_ENKUlT_T0_E_clISt17integral_constantIbLb0EES17_IbLb1EEEEDaS13_S14_EUlS13_E_NS1_11comp_targetILNS1_3genE10ELNS1_11target_archE1200ELNS1_3gpuE4ELNS1_3repE0EEENS1_30default_config_static_selectorELNS0_4arch9wavefront6targetE0EEEvT1_,comdat
.Lfunc_end658:
	.size	_ZN7rocprim17ROCPRIM_400000_NS6detail17trampoline_kernelINS0_14default_configENS1_25partition_config_selectorILNS1_17partition_subalgoE6EjNS0_10empty_typeEbEEZZNS1_14partition_implILS5_6ELb0ES3_mN6thrust23THRUST_200600_302600_NS6detail15normal_iteratorINSA_10device_ptrIjEEEEPS6_SG_NS0_5tupleIJSF_S6_EEENSH_IJSG_SG_EEES6_PlJNSB_9not_fun_tI7is_evenIjEEEEEE10hipError_tPvRmT3_T4_T5_T6_T7_T9_mT8_P12ihipStream_tbDpT10_ENKUlT_T0_E_clISt17integral_constantIbLb0EES17_IbLb1EEEEDaS13_S14_EUlS13_E_NS1_11comp_targetILNS1_3genE10ELNS1_11target_archE1200ELNS1_3gpuE4ELNS1_3repE0EEENS1_30default_config_static_selectorELNS0_4arch9wavefront6targetE0EEEvT1_, .Lfunc_end658-_ZN7rocprim17ROCPRIM_400000_NS6detail17trampoline_kernelINS0_14default_configENS1_25partition_config_selectorILNS1_17partition_subalgoE6EjNS0_10empty_typeEbEEZZNS1_14partition_implILS5_6ELb0ES3_mN6thrust23THRUST_200600_302600_NS6detail15normal_iteratorINSA_10device_ptrIjEEEEPS6_SG_NS0_5tupleIJSF_S6_EEENSH_IJSG_SG_EEES6_PlJNSB_9not_fun_tI7is_evenIjEEEEEE10hipError_tPvRmT3_T4_T5_T6_T7_T9_mT8_P12ihipStream_tbDpT10_ENKUlT_T0_E_clISt17integral_constantIbLb0EES17_IbLb1EEEEDaS13_S14_EUlS13_E_NS1_11comp_targetILNS1_3genE10ELNS1_11target_archE1200ELNS1_3gpuE4ELNS1_3repE0EEENS1_30default_config_static_selectorELNS0_4arch9wavefront6targetE0EEEvT1_
                                        ; -- End function
	.set _ZN7rocprim17ROCPRIM_400000_NS6detail17trampoline_kernelINS0_14default_configENS1_25partition_config_selectorILNS1_17partition_subalgoE6EjNS0_10empty_typeEbEEZZNS1_14partition_implILS5_6ELb0ES3_mN6thrust23THRUST_200600_302600_NS6detail15normal_iteratorINSA_10device_ptrIjEEEEPS6_SG_NS0_5tupleIJSF_S6_EEENSH_IJSG_SG_EEES6_PlJNSB_9not_fun_tI7is_evenIjEEEEEE10hipError_tPvRmT3_T4_T5_T6_T7_T9_mT8_P12ihipStream_tbDpT10_ENKUlT_T0_E_clISt17integral_constantIbLb0EES17_IbLb1EEEEDaS13_S14_EUlS13_E_NS1_11comp_targetILNS1_3genE10ELNS1_11target_archE1200ELNS1_3gpuE4ELNS1_3repE0EEENS1_30default_config_static_selectorELNS0_4arch9wavefront6targetE0EEEvT1_.num_vgpr, 52
	.set _ZN7rocprim17ROCPRIM_400000_NS6detail17trampoline_kernelINS0_14default_configENS1_25partition_config_selectorILNS1_17partition_subalgoE6EjNS0_10empty_typeEbEEZZNS1_14partition_implILS5_6ELb0ES3_mN6thrust23THRUST_200600_302600_NS6detail15normal_iteratorINSA_10device_ptrIjEEEEPS6_SG_NS0_5tupleIJSF_S6_EEENSH_IJSG_SG_EEES6_PlJNSB_9not_fun_tI7is_evenIjEEEEEE10hipError_tPvRmT3_T4_T5_T6_T7_T9_mT8_P12ihipStream_tbDpT10_ENKUlT_T0_E_clISt17integral_constantIbLb0EES17_IbLb1EEEEDaS13_S14_EUlS13_E_NS1_11comp_targetILNS1_3genE10ELNS1_11target_archE1200ELNS1_3gpuE4ELNS1_3repE0EEENS1_30default_config_static_selectorELNS0_4arch9wavefront6targetE0EEEvT1_.num_agpr, 0
	.set _ZN7rocprim17ROCPRIM_400000_NS6detail17trampoline_kernelINS0_14default_configENS1_25partition_config_selectorILNS1_17partition_subalgoE6EjNS0_10empty_typeEbEEZZNS1_14partition_implILS5_6ELb0ES3_mN6thrust23THRUST_200600_302600_NS6detail15normal_iteratorINSA_10device_ptrIjEEEEPS6_SG_NS0_5tupleIJSF_S6_EEENSH_IJSG_SG_EEES6_PlJNSB_9not_fun_tI7is_evenIjEEEEEE10hipError_tPvRmT3_T4_T5_T6_T7_T9_mT8_P12ihipStream_tbDpT10_ENKUlT_T0_E_clISt17integral_constantIbLb0EES17_IbLb1EEEEDaS13_S14_EUlS13_E_NS1_11comp_targetILNS1_3genE10ELNS1_11target_archE1200ELNS1_3gpuE4ELNS1_3repE0EEENS1_30default_config_static_selectorELNS0_4arch9wavefront6targetE0EEEvT1_.numbered_sgpr, 20
	.set _ZN7rocprim17ROCPRIM_400000_NS6detail17trampoline_kernelINS0_14default_configENS1_25partition_config_selectorILNS1_17partition_subalgoE6EjNS0_10empty_typeEbEEZZNS1_14partition_implILS5_6ELb0ES3_mN6thrust23THRUST_200600_302600_NS6detail15normal_iteratorINSA_10device_ptrIjEEEEPS6_SG_NS0_5tupleIJSF_S6_EEENSH_IJSG_SG_EEES6_PlJNSB_9not_fun_tI7is_evenIjEEEEEE10hipError_tPvRmT3_T4_T5_T6_T7_T9_mT8_P12ihipStream_tbDpT10_ENKUlT_T0_E_clISt17integral_constantIbLb0EES17_IbLb1EEEEDaS13_S14_EUlS13_E_NS1_11comp_targetILNS1_3genE10ELNS1_11target_archE1200ELNS1_3gpuE4ELNS1_3repE0EEENS1_30default_config_static_selectorELNS0_4arch9wavefront6targetE0EEEvT1_.num_named_barrier, 0
	.set _ZN7rocprim17ROCPRIM_400000_NS6detail17trampoline_kernelINS0_14default_configENS1_25partition_config_selectorILNS1_17partition_subalgoE6EjNS0_10empty_typeEbEEZZNS1_14partition_implILS5_6ELb0ES3_mN6thrust23THRUST_200600_302600_NS6detail15normal_iteratorINSA_10device_ptrIjEEEEPS6_SG_NS0_5tupleIJSF_S6_EEENSH_IJSG_SG_EEES6_PlJNSB_9not_fun_tI7is_evenIjEEEEEE10hipError_tPvRmT3_T4_T5_T6_T7_T9_mT8_P12ihipStream_tbDpT10_ENKUlT_T0_E_clISt17integral_constantIbLb0EES17_IbLb1EEEEDaS13_S14_EUlS13_E_NS1_11comp_targetILNS1_3genE10ELNS1_11target_archE1200ELNS1_3gpuE4ELNS1_3repE0EEENS1_30default_config_static_selectorELNS0_4arch9wavefront6targetE0EEEvT1_.private_seg_size, 0
	.set _ZN7rocprim17ROCPRIM_400000_NS6detail17trampoline_kernelINS0_14default_configENS1_25partition_config_selectorILNS1_17partition_subalgoE6EjNS0_10empty_typeEbEEZZNS1_14partition_implILS5_6ELb0ES3_mN6thrust23THRUST_200600_302600_NS6detail15normal_iteratorINSA_10device_ptrIjEEEEPS6_SG_NS0_5tupleIJSF_S6_EEENSH_IJSG_SG_EEES6_PlJNSB_9not_fun_tI7is_evenIjEEEEEE10hipError_tPvRmT3_T4_T5_T6_T7_T9_mT8_P12ihipStream_tbDpT10_ENKUlT_T0_E_clISt17integral_constantIbLb0EES17_IbLb1EEEEDaS13_S14_EUlS13_E_NS1_11comp_targetILNS1_3genE10ELNS1_11target_archE1200ELNS1_3gpuE4ELNS1_3repE0EEENS1_30default_config_static_selectorELNS0_4arch9wavefront6targetE0EEEvT1_.uses_vcc, 1
	.set _ZN7rocprim17ROCPRIM_400000_NS6detail17trampoline_kernelINS0_14default_configENS1_25partition_config_selectorILNS1_17partition_subalgoE6EjNS0_10empty_typeEbEEZZNS1_14partition_implILS5_6ELb0ES3_mN6thrust23THRUST_200600_302600_NS6detail15normal_iteratorINSA_10device_ptrIjEEEEPS6_SG_NS0_5tupleIJSF_S6_EEENSH_IJSG_SG_EEES6_PlJNSB_9not_fun_tI7is_evenIjEEEEEE10hipError_tPvRmT3_T4_T5_T6_T7_T9_mT8_P12ihipStream_tbDpT10_ENKUlT_T0_E_clISt17integral_constantIbLb0EES17_IbLb1EEEEDaS13_S14_EUlS13_E_NS1_11comp_targetILNS1_3genE10ELNS1_11target_archE1200ELNS1_3gpuE4ELNS1_3repE0EEENS1_30default_config_static_selectorELNS0_4arch9wavefront6targetE0EEEvT1_.uses_flat_scratch, 1
	.set _ZN7rocprim17ROCPRIM_400000_NS6detail17trampoline_kernelINS0_14default_configENS1_25partition_config_selectorILNS1_17partition_subalgoE6EjNS0_10empty_typeEbEEZZNS1_14partition_implILS5_6ELb0ES3_mN6thrust23THRUST_200600_302600_NS6detail15normal_iteratorINSA_10device_ptrIjEEEEPS6_SG_NS0_5tupleIJSF_S6_EEENSH_IJSG_SG_EEES6_PlJNSB_9not_fun_tI7is_evenIjEEEEEE10hipError_tPvRmT3_T4_T5_T6_T7_T9_mT8_P12ihipStream_tbDpT10_ENKUlT_T0_E_clISt17integral_constantIbLb0EES17_IbLb1EEEEDaS13_S14_EUlS13_E_NS1_11comp_targetILNS1_3genE10ELNS1_11target_archE1200ELNS1_3gpuE4ELNS1_3repE0EEENS1_30default_config_static_selectorELNS0_4arch9wavefront6targetE0EEEvT1_.has_dyn_sized_stack, 0
	.set _ZN7rocprim17ROCPRIM_400000_NS6detail17trampoline_kernelINS0_14default_configENS1_25partition_config_selectorILNS1_17partition_subalgoE6EjNS0_10empty_typeEbEEZZNS1_14partition_implILS5_6ELb0ES3_mN6thrust23THRUST_200600_302600_NS6detail15normal_iteratorINSA_10device_ptrIjEEEEPS6_SG_NS0_5tupleIJSF_S6_EEENSH_IJSG_SG_EEES6_PlJNSB_9not_fun_tI7is_evenIjEEEEEE10hipError_tPvRmT3_T4_T5_T6_T7_T9_mT8_P12ihipStream_tbDpT10_ENKUlT_T0_E_clISt17integral_constantIbLb0EES17_IbLb1EEEEDaS13_S14_EUlS13_E_NS1_11comp_targetILNS1_3genE10ELNS1_11target_archE1200ELNS1_3gpuE4ELNS1_3repE0EEENS1_30default_config_static_selectorELNS0_4arch9wavefront6targetE0EEEvT1_.has_recursion, 0
	.set _ZN7rocprim17ROCPRIM_400000_NS6detail17trampoline_kernelINS0_14default_configENS1_25partition_config_selectorILNS1_17partition_subalgoE6EjNS0_10empty_typeEbEEZZNS1_14partition_implILS5_6ELb0ES3_mN6thrust23THRUST_200600_302600_NS6detail15normal_iteratorINSA_10device_ptrIjEEEEPS6_SG_NS0_5tupleIJSF_S6_EEENSH_IJSG_SG_EEES6_PlJNSB_9not_fun_tI7is_evenIjEEEEEE10hipError_tPvRmT3_T4_T5_T6_T7_T9_mT8_P12ihipStream_tbDpT10_ENKUlT_T0_E_clISt17integral_constantIbLb0EES17_IbLb1EEEEDaS13_S14_EUlS13_E_NS1_11comp_targetILNS1_3genE10ELNS1_11target_archE1200ELNS1_3gpuE4ELNS1_3repE0EEENS1_30default_config_static_selectorELNS0_4arch9wavefront6targetE0EEEvT1_.has_indirect_call, 0
	.section	.AMDGPU.csdata,"",@progbits
; Kernel info:
; codeLenInByte = 7600
; TotalNumSgprs: 22
; NumVgprs: 52
; ScratchSize: 0
; MemoryBound: 0
; FloatMode: 240
; IeeeMode: 1
; LDSByteSize: 10768 bytes/workgroup (compile time only)
; SGPRBlocks: 0
; VGPRBlocks: 6
; NumSGPRsForWavesPerEU: 22
; NumVGPRsForWavesPerEU: 52
; Occupancy: 15
; WaveLimiterHint : 1
; COMPUTE_PGM_RSRC2:SCRATCH_EN: 0
; COMPUTE_PGM_RSRC2:USER_SGPR: 2
; COMPUTE_PGM_RSRC2:TRAP_HANDLER: 0
; COMPUTE_PGM_RSRC2:TGID_X_EN: 1
; COMPUTE_PGM_RSRC2:TGID_Y_EN: 0
; COMPUTE_PGM_RSRC2:TGID_Z_EN: 0
; COMPUTE_PGM_RSRC2:TIDIG_COMP_CNT: 0
	.section	.text._ZN7rocprim17ROCPRIM_400000_NS6detail17trampoline_kernelINS0_14default_configENS1_25partition_config_selectorILNS1_17partition_subalgoE6EjNS0_10empty_typeEbEEZZNS1_14partition_implILS5_6ELb0ES3_mN6thrust23THRUST_200600_302600_NS6detail15normal_iteratorINSA_10device_ptrIjEEEEPS6_SG_NS0_5tupleIJSF_S6_EEENSH_IJSG_SG_EEES6_PlJNSB_9not_fun_tI7is_evenIjEEEEEE10hipError_tPvRmT3_T4_T5_T6_T7_T9_mT8_P12ihipStream_tbDpT10_ENKUlT_T0_E_clISt17integral_constantIbLb0EES17_IbLb1EEEEDaS13_S14_EUlS13_E_NS1_11comp_targetILNS1_3genE9ELNS1_11target_archE1100ELNS1_3gpuE3ELNS1_3repE0EEENS1_30default_config_static_selectorELNS0_4arch9wavefront6targetE0EEEvT1_,"axG",@progbits,_ZN7rocprim17ROCPRIM_400000_NS6detail17trampoline_kernelINS0_14default_configENS1_25partition_config_selectorILNS1_17partition_subalgoE6EjNS0_10empty_typeEbEEZZNS1_14partition_implILS5_6ELb0ES3_mN6thrust23THRUST_200600_302600_NS6detail15normal_iteratorINSA_10device_ptrIjEEEEPS6_SG_NS0_5tupleIJSF_S6_EEENSH_IJSG_SG_EEES6_PlJNSB_9not_fun_tI7is_evenIjEEEEEE10hipError_tPvRmT3_T4_T5_T6_T7_T9_mT8_P12ihipStream_tbDpT10_ENKUlT_T0_E_clISt17integral_constantIbLb0EES17_IbLb1EEEEDaS13_S14_EUlS13_E_NS1_11comp_targetILNS1_3genE9ELNS1_11target_archE1100ELNS1_3gpuE3ELNS1_3repE0EEENS1_30default_config_static_selectorELNS0_4arch9wavefront6targetE0EEEvT1_,comdat
	.protected	_ZN7rocprim17ROCPRIM_400000_NS6detail17trampoline_kernelINS0_14default_configENS1_25partition_config_selectorILNS1_17partition_subalgoE6EjNS0_10empty_typeEbEEZZNS1_14partition_implILS5_6ELb0ES3_mN6thrust23THRUST_200600_302600_NS6detail15normal_iteratorINSA_10device_ptrIjEEEEPS6_SG_NS0_5tupleIJSF_S6_EEENSH_IJSG_SG_EEES6_PlJNSB_9not_fun_tI7is_evenIjEEEEEE10hipError_tPvRmT3_T4_T5_T6_T7_T9_mT8_P12ihipStream_tbDpT10_ENKUlT_T0_E_clISt17integral_constantIbLb0EES17_IbLb1EEEEDaS13_S14_EUlS13_E_NS1_11comp_targetILNS1_3genE9ELNS1_11target_archE1100ELNS1_3gpuE3ELNS1_3repE0EEENS1_30default_config_static_selectorELNS0_4arch9wavefront6targetE0EEEvT1_ ; -- Begin function _ZN7rocprim17ROCPRIM_400000_NS6detail17trampoline_kernelINS0_14default_configENS1_25partition_config_selectorILNS1_17partition_subalgoE6EjNS0_10empty_typeEbEEZZNS1_14partition_implILS5_6ELb0ES3_mN6thrust23THRUST_200600_302600_NS6detail15normal_iteratorINSA_10device_ptrIjEEEEPS6_SG_NS0_5tupleIJSF_S6_EEENSH_IJSG_SG_EEES6_PlJNSB_9not_fun_tI7is_evenIjEEEEEE10hipError_tPvRmT3_T4_T5_T6_T7_T9_mT8_P12ihipStream_tbDpT10_ENKUlT_T0_E_clISt17integral_constantIbLb0EES17_IbLb1EEEEDaS13_S14_EUlS13_E_NS1_11comp_targetILNS1_3genE9ELNS1_11target_archE1100ELNS1_3gpuE3ELNS1_3repE0EEENS1_30default_config_static_selectorELNS0_4arch9wavefront6targetE0EEEvT1_
	.globl	_ZN7rocprim17ROCPRIM_400000_NS6detail17trampoline_kernelINS0_14default_configENS1_25partition_config_selectorILNS1_17partition_subalgoE6EjNS0_10empty_typeEbEEZZNS1_14partition_implILS5_6ELb0ES3_mN6thrust23THRUST_200600_302600_NS6detail15normal_iteratorINSA_10device_ptrIjEEEEPS6_SG_NS0_5tupleIJSF_S6_EEENSH_IJSG_SG_EEES6_PlJNSB_9not_fun_tI7is_evenIjEEEEEE10hipError_tPvRmT3_T4_T5_T6_T7_T9_mT8_P12ihipStream_tbDpT10_ENKUlT_T0_E_clISt17integral_constantIbLb0EES17_IbLb1EEEEDaS13_S14_EUlS13_E_NS1_11comp_targetILNS1_3genE9ELNS1_11target_archE1100ELNS1_3gpuE3ELNS1_3repE0EEENS1_30default_config_static_selectorELNS0_4arch9wavefront6targetE0EEEvT1_
	.p2align	8
	.type	_ZN7rocprim17ROCPRIM_400000_NS6detail17trampoline_kernelINS0_14default_configENS1_25partition_config_selectorILNS1_17partition_subalgoE6EjNS0_10empty_typeEbEEZZNS1_14partition_implILS5_6ELb0ES3_mN6thrust23THRUST_200600_302600_NS6detail15normal_iteratorINSA_10device_ptrIjEEEEPS6_SG_NS0_5tupleIJSF_S6_EEENSH_IJSG_SG_EEES6_PlJNSB_9not_fun_tI7is_evenIjEEEEEE10hipError_tPvRmT3_T4_T5_T6_T7_T9_mT8_P12ihipStream_tbDpT10_ENKUlT_T0_E_clISt17integral_constantIbLb0EES17_IbLb1EEEEDaS13_S14_EUlS13_E_NS1_11comp_targetILNS1_3genE9ELNS1_11target_archE1100ELNS1_3gpuE3ELNS1_3repE0EEENS1_30default_config_static_selectorELNS0_4arch9wavefront6targetE0EEEvT1_,@function
_ZN7rocprim17ROCPRIM_400000_NS6detail17trampoline_kernelINS0_14default_configENS1_25partition_config_selectorILNS1_17partition_subalgoE6EjNS0_10empty_typeEbEEZZNS1_14partition_implILS5_6ELb0ES3_mN6thrust23THRUST_200600_302600_NS6detail15normal_iteratorINSA_10device_ptrIjEEEEPS6_SG_NS0_5tupleIJSF_S6_EEENSH_IJSG_SG_EEES6_PlJNSB_9not_fun_tI7is_evenIjEEEEEE10hipError_tPvRmT3_T4_T5_T6_T7_T9_mT8_P12ihipStream_tbDpT10_ENKUlT_T0_E_clISt17integral_constantIbLb0EES17_IbLb1EEEEDaS13_S14_EUlS13_E_NS1_11comp_targetILNS1_3genE9ELNS1_11target_archE1100ELNS1_3gpuE3ELNS1_3repE0EEENS1_30default_config_static_selectorELNS0_4arch9wavefront6targetE0EEEvT1_: ; @_ZN7rocprim17ROCPRIM_400000_NS6detail17trampoline_kernelINS0_14default_configENS1_25partition_config_selectorILNS1_17partition_subalgoE6EjNS0_10empty_typeEbEEZZNS1_14partition_implILS5_6ELb0ES3_mN6thrust23THRUST_200600_302600_NS6detail15normal_iteratorINSA_10device_ptrIjEEEEPS6_SG_NS0_5tupleIJSF_S6_EEENSH_IJSG_SG_EEES6_PlJNSB_9not_fun_tI7is_evenIjEEEEEE10hipError_tPvRmT3_T4_T5_T6_T7_T9_mT8_P12ihipStream_tbDpT10_ENKUlT_T0_E_clISt17integral_constantIbLb0EES17_IbLb1EEEEDaS13_S14_EUlS13_E_NS1_11comp_targetILNS1_3genE9ELNS1_11target_archE1100ELNS1_3gpuE3ELNS1_3repE0EEENS1_30default_config_static_selectorELNS0_4arch9wavefront6targetE0EEEvT1_
; %bb.0:
	.section	.rodata,"a",@progbits
	.p2align	6, 0x0
	.amdhsa_kernel _ZN7rocprim17ROCPRIM_400000_NS6detail17trampoline_kernelINS0_14default_configENS1_25partition_config_selectorILNS1_17partition_subalgoE6EjNS0_10empty_typeEbEEZZNS1_14partition_implILS5_6ELb0ES3_mN6thrust23THRUST_200600_302600_NS6detail15normal_iteratorINSA_10device_ptrIjEEEEPS6_SG_NS0_5tupleIJSF_S6_EEENSH_IJSG_SG_EEES6_PlJNSB_9not_fun_tI7is_evenIjEEEEEE10hipError_tPvRmT3_T4_T5_T6_T7_T9_mT8_P12ihipStream_tbDpT10_ENKUlT_T0_E_clISt17integral_constantIbLb0EES17_IbLb1EEEEDaS13_S14_EUlS13_E_NS1_11comp_targetILNS1_3genE9ELNS1_11target_archE1100ELNS1_3gpuE3ELNS1_3repE0EEENS1_30default_config_static_selectorELNS0_4arch9wavefront6targetE0EEEvT1_
		.amdhsa_group_segment_fixed_size 0
		.amdhsa_private_segment_fixed_size 0
		.amdhsa_kernarg_size 128
		.amdhsa_user_sgpr_count 2
		.amdhsa_user_sgpr_dispatch_ptr 0
		.amdhsa_user_sgpr_queue_ptr 0
		.amdhsa_user_sgpr_kernarg_segment_ptr 1
		.amdhsa_user_sgpr_dispatch_id 0
		.amdhsa_user_sgpr_private_segment_size 0
		.amdhsa_wavefront_size32 1
		.amdhsa_uses_dynamic_stack 0
		.amdhsa_enable_private_segment 0
		.amdhsa_system_sgpr_workgroup_id_x 1
		.amdhsa_system_sgpr_workgroup_id_y 0
		.amdhsa_system_sgpr_workgroup_id_z 0
		.amdhsa_system_sgpr_workgroup_info 0
		.amdhsa_system_vgpr_workitem_id 0
		.amdhsa_next_free_vgpr 1
		.amdhsa_next_free_sgpr 1
		.amdhsa_reserve_vcc 0
		.amdhsa_float_round_mode_32 0
		.amdhsa_float_round_mode_16_64 0
		.amdhsa_float_denorm_mode_32 3
		.amdhsa_float_denorm_mode_16_64 3
		.amdhsa_fp16_overflow 0
		.amdhsa_workgroup_processor_mode 1
		.amdhsa_memory_ordered 1
		.amdhsa_forward_progress 1
		.amdhsa_inst_pref_size 0
		.amdhsa_round_robin_scheduling 0
		.amdhsa_exception_fp_ieee_invalid_op 0
		.amdhsa_exception_fp_denorm_src 0
		.amdhsa_exception_fp_ieee_div_zero 0
		.amdhsa_exception_fp_ieee_overflow 0
		.amdhsa_exception_fp_ieee_underflow 0
		.amdhsa_exception_fp_ieee_inexact 0
		.amdhsa_exception_int_div_zero 0
	.end_amdhsa_kernel
	.section	.text._ZN7rocprim17ROCPRIM_400000_NS6detail17trampoline_kernelINS0_14default_configENS1_25partition_config_selectorILNS1_17partition_subalgoE6EjNS0_10empty_typeEbEEZZNS1_14partition_implILS5_6ELb0ES3_mN6thrust23THRUST_200600_302600_NS6detail15normal_iteratorINSA_10device_ptrIjEEEEPS6_SG_NS0_5tupleIJSF_S6_EEENSH_IJSG_SG_EEES6_PlJNSB_9not_fun_tI7is_evenIjEEEEEE10hipError_tPvRmT3_T4_T5_T6_T7_T9_mT8_P12ihipStream_tbDpT10_ENKUlT_T0_E_clISt17integral_constantIbLb0EES17_IbLb1EEEEDaS13_S14_EUlS13_E_NS1_11comp_targetILNS1_3genE9ELNS1_11target_archE1100ELNS1_3gpuE3ELNS1_3repE0EEENS1_30default_config_static_selectorELNS0_4arch9wavefront6targetE0EEEvT1_,"axG",@progbits,_ZN7rocprim17ROCPRIM_400000_NS6detail17trampoline_kernelINS0_14default_configENS1_25partition_config_selectorILNS1_17partition_subalgoE6EjNS0_10empty_typeEbEEZZNS1_14partition_implILS5_6ELb0ES3_mN6thrust23THRUST_200600_302600_NS6detail15normal_iteratorINSA_10device_ptrIjEEEEPS6_SG_NS0_5tupleIJSF_S6_EEENSH_IJSG_SG_EEES6_PlJNSB_9not_fun_tI7is_evenIjEEEEEE10hipError_tPvRmT3_T4_T5_T6_T7_T9_mT8_P12ihipStream_tbDpT10_ENKUlT_T0_E_clISt17integral_constantIbLb0EES17_IbLb1EEEEDaS13_S14_EUlS13_E_NS1_11comp_targetILNS1_3genE9ELNS1_11target_archE1100ELNS1_3gpuE3ELNS1_3repE0EEENS1_30default_config_static_selectorELNS0_4arch9wavefront6targetE0EEEvT1_,comdat
.Lfunc_end659:
	.size	_ZN7rocprim17ROCPRIM_400000_NS6detail17trampoline_kernelINS0_14default_configENS1_25partition_config_selectorILNS1_17partition_subalgoE6EjNS0_10empty_typeEbEEZZNS1_14partition_implILS5_6ELb0ES3_mN6thrust23THRUST_200600_302600_NS6detail15normal_iteratorINSA_10device_ptrIjEEEEPS6_SG_NS0_5tupleIJSF_S6_EEENSH_IJSG_SG_EEES6_PlJNSB_9not_fun_tI7is_evenIjEEEEEE10hipError_tPvRmT3_T4_T5_T6_T7_T9_mT8_P12ihipStream_tbDpT10_ENKUlT_T0_E_clISt17integral_constantIbLb0EES17_IbLb1EEEEDaS13_S14_EUlS13_E_NS1_11comp_targetILNS1_3genE9ELNS1_11target_archE1100ELNS1_3gpuE3ELNS1_3repE0EEENS1_30default_config_static_selectorELNS0_4arch9wavefront6targetE0EEEvT1_, .Lfunc_end659-_ZN7rocprim17ROCPRIM_400000_NS6detail17trampoline_kernelINS0_14default_configENS1_25partition_config_selectorILNS1_17partition_subalgoE6EjNS0_10empty_typeEbEEZZNS1_14partition_implILS5_6ELb0ES3_mN6thrust23THRUST_200600_302600_NS6detail15normal_iteratorINSA_10device_ptrIjEEEEPS6_SG_NS0_5tupleIJSF_S6_EEENSH_IJSG_SG_EEES6_PlJNSB_9not_fun_tI7is_evenIjEEEEEE10hipError_tPvRmT3_T4_T5_T6_T7_T9_mT8_P12ihipStream_tbDpT10_ENKUlT_T0_E_clISt17integral_constantIbLb0EES17_IbLb1EEEEDaS13_S14_EUlS13_E_NS1_11comp_targetILNS1_3genE9ELNS1_11target_archE1100ELNS1_3gpuE3ELNS1_3repE0EEENS1_30default_config_static_selectorELNS0_4arch9wavefront6targetE0EEEvT1_
                                        ; -- End function
	.set _ZN7rocprim17ROCPRIM_400000_NS6detail17trampoline_kernelINS0_14default_configENS1_25partition_config_selectorILNS1_17partition_subalgoE6EjNS0_10empty_typeEbEEZZNS1_14partition_implILS5_6ELb0ES3_mN6thrust23THRUST_200600_302600_NS6detail15normal_iteratorINSA_10device_ptrIjEEEEPS6_SG_NS0_5tupleIJSF_S6_EEENSH_IJSG_SG_EEES6_PlJNSB_9not_fun_tI7is_evenIjEEEEEE10hipError_tPvRmT3_T4_T5_T6_T7_T9_mT8_P12ihipStream_tbDpT10_ENKUlT_T0_E_clISt17integral_constantIbLb0EES17_IbLb1EEEEDaS13_S14_EUlS13_E_NS1_11comp_targetILNS1_3genE9ELNS1_11target_archE1100ELNS1_3gpuE3ELNS1_3repE0EEENS1_30default_config_static_selectorELNS0_4arch9wavefront6targetE0EEEvT1_.num_vgpr, 0
	.set _ZN7rocprim17ROCPRIM_400000_NS6detail17trampoline_kernelINS0_14default_configENS1_25partition_config_selectorILNS1_17partition_subalgoE6EjNS0_10empty_typeEbEEZZNS1_14partition_implILS5_6ELb0ES3_mN6thrust23THRUST_200600_302600_NS6detail15normal_iteratorINSA_10device_ptrIjEEEEPS6_SG_NS0_5tupleIJSF_S6_EEENSH_IJSG_SG_EEES6_PlJNSB_9not_fun_tI7is_evenIjEEEEEE10hipError_tPvRmT3_T4_T5_T6_T7_T9_mT8_P12ihipStream_tbDpT10_ENKUlT_T0_E_clISt17integral_constantIbLb0EES17_IbLb1EEEEDaS13_S14_EUlS13_E_NS1_11comp_targetILNS1_3genE9ELNS1_11target_archE1100ELNS1_3gpuE3ELNS1_3repE0EEENS1_30default_config_static_selectorELNS0_4arch9wavefront6targetE0EEEvT1_.num_agpr, 0
	.set _ZN7rocprim17ROCPRIM_400000_NS6detail17trampoline_kernelINS0_14default_configENS1_25partition_config_selectorILNS1_17partition_subalgoE6EjNS0_10empty_typeEbEEZZNS1_14partition_implILS5_6ELb0ES3_mN6thrust23THRUST_200600_302600_NS6detail15normal_iteratorINSA_10device_ptrIjEEEEPS6_SG_NS0_5tupleIJSF_S6_EEENSH_IJSG_SG_EEES6_PlJNSB_9not_fun_tI7is_evenIjEEEEEE10hipError_tPvRmT3_T4_T5_T6_T7_T9_mT8_P12ihipStream_tbDpT10_ENKUlT_T0_E_clISt17integral_constantIbLb0EES17_IbLb1EEEEDaS13_S14_EUlS13_E_NS1_11comp_targetILNS1_3genE9ELNS1_11target_archE1100ELNS1_3gpuE3ELNS1_3repE0EEENS1_30default_config_static_selectorELNS0_4arch9wavefront6targetE0EEEvT1_.numbered_sgpr, 0
	.set _ZN7rocprim17ROCPRIM_400000_NS6detail17trampoline_kernelINS0_14default_configENS1_25partition_config_selectorILNS1_17partition_subalgoE6EjNS0_10empty_typeEbEEZZNS1_14partition_implILS5_6ELb0ES3_mN6thrust23THRUST_200600_302600_NS6detail15normal_iteratorINSA_10device_ptrIjEEEEPS6_SG_NS0_5tupleIJSF_S6_EEENSH_IJSG_SG_EEES6_PlJNSB_9not_fun_tI7is_evenIjEEEEEE10hipError_tPvRmT3_T4_T5_T6_T7_T9_mT8_P12ihipStream_tbDpT10_ENKUlT_T0_E_clISt17integral_constantIbLb0EES17_IbLb1EEEEDaS13_S14_EUlS13_E_NS1_11comp_targetILNS1_3genE9ELNS1_11target_archE1100ELNS1_3gpuE3ELNS1_3repE0EEENS1_30default_config_static_selectorELNS0_4arch9wavefront6targetE0EEEvT1_.num_named_barrier, 0
	.set _ZN7rocprim17ROCPRIM_400000_NS6detail17trampoline_kernelINS0_14default_configENS1_25partition_config_selectorILNS1_17partition_subalgoE6EjNS0_10empty_typeEbEEZZNS1_14partition_implILS5_6ELb0ES3_mN6thrust23THRUST_200600_302600_NS6detail15normal_iteratorINSA_10device_ptrIjEEEEPS6_SG_NS0_5tupleIJSF_S6_EEENSH_IJSG_SG_EEES6_PlJNSB_9not_fun_tI7is_evenIjEEEEEE10hipError_tPvRmT3_T4_T5_T6_T7_T9_mT8_P12ihipStream_tbDpT10_ENKUlT_T0_E_clISt17integral_constantIbLb0EES17_IbLb1EEEEDaS13_S14_EUlS13_E_NS1_11comp_targetILNS1_3genE9ELNS1_11target_archE1100ELNS1_3gpuE3ELNS1_3repE0EEENS1_30default_config_static_selectorELNS0_4arch9wavefront6targetE0EEEvT1_.private_seg_size, 0
	.set _ZN7rocprim17ROCPRIM_400000_NS6detail17trampoline_kernelINS0_14default_configENS1_25partition_config_selectorILNS1_17partition_subalgoE6EjNS0_10empty_typeEbEEZZNS1_14partition_implILS5_6ELb0ES3_mN6thrust23THRUST_200600_302600_NS6detail15normal_iteratorINSA_10device_ptrIjEEEEPS6_SG_NS0_5tupleIJSF_S6_EEENSH_IJSG_SG_EEES6_PlJNSB_9not_fun_tI7is_evenIjEEEEEE10hipError_tPvRmT3_T4_T5_T6_T7_T9_mT8_P12ihipStream_tbDpT10_ENKUlT_T0_E_clISt17integral_constantIbLb0EES17_IbLb1EEEEDaS13_S14_EUlS13_E_NS1_11comp_targetILNS1_3genE9ELNS1_11target_archE1100ELNS1_3gpuE3ELNS1_3repE0EEENS1_30default_config_static_selectorELNS0_4arch9wavefront6targetE0EEEvT1_.uses_vcc, 0
	.set _ZN7rocprim17ROCPRIM_400000_NS6detail17trampoline_kernelINS0_14default_configENS1_25partition_config_selectorILNS1_17partition_subalgoE6EjNS0_10empty_typeEbEEZZNS1_14partition_implILS5_6ELb0ES3_mN6thrust23THRUST_200600_302600_NS6detail15normal_iteratorINSA_10device_ptrIjEEEEPS6_SG_NS0_5tupleIJSF_S6_EEENSH_IJSG_SG_EEES6_PlJNSB_9not_fun_tI7is_evenIjEEEEEE10hipError_tPvRmT3_T4_T5_T6_T7_T9_mT8_P12ihipStream_tbDpT10_ENKUlT_T0_E_clISt17integral_constantIbLb0EES17_IbLb1EEEEDaS13_S14_EUlS13_E_NS1_11comp_targetILNS1_3genE9ELNS1_11target_archE1100ELNS1_3gpuE3ELNS1_3repE0EEENS1_30default_config_static_selectorELNS0_4arch9wavefront6targetE0EEEvT1_.uses_flat_scratch, 0
	.set _ZN7rocprim17ROCPRIM_400000_NS6detail17trampoline_kernelINS0_14default_configENS1_25partition_config_selectorILNS1_17partition_subalgoE6EjNS0_10empty_typeEbEEZZNS1_14partition_implILS5_6ELb0ES3_mN6thrust23THRUST_200600_302600_NS6detail15normal_iteratorINSA_10device_ptrIjEEEEPS6_SG_NS0_5tupleIJSF_S6_EEENSH_IJSG_SG_EEES6_PlJNSB_9not_fun_tI7is_evenIjEEEEEE10hipError_tPvRmT3_T4_T5_T6_T7_T9_mT8_P12ihipStream_tbDpT10_ENKUlT_T0_E_clISt17integral_constantIbLb0EES17_IbLb1EEEEDaS13_S14_EUlS13_E_NS1_11comp_targetILNS1_3genE9ELNS1_11target_archE1100ELNS1_3gpuE3ELNS1_3repE0EEENS1_30default_config_static_selectorELNS0_4arch9wavefront6targetE0EEEvT1_.has_dyn_sized_stack, 0
	.set _ZN7rocprim17ROCPRIM_400000_NS6detail17trampoline_kernelINS0_14default_configENS1_25partition_config_selectorILNS1_17partition_subalgoE6EjNS0_10empty_typeEbEEZZNS1_14partition_implILS5_6ELb0ES3_mN6thrust23THRUST_200600_302600_NS6detail15normal_iteratorINSA_10device_ptrIjEEEEPS6_SG_NS0_5tupleIJSF_S6_EEENSH_IJSG_SG_EEES6_PlJNSB_9not_fun_tI7is_evenIjEEEEEE10hipError_tPvRmT3_T4_T5_T6_T7_T9_mT8_P12ihipStream_tbDpT10_ENKUlT_T0_E_clISt17integral_constantIbLb0EES17_IbLb1EEEEDaS13_S14_EUlS13_E_NS1_11comp_targetILNS1_3genE9ELNS1_11target_archE1100ELNS1_3gpuE3ELNS1_3repE0EEENS1_30default_config_static_selectorELNS0_4arch9wavefront6targetE0EEEvT1_.has_recursion, 0
	.set _ZN7rocprim17ROCPRIM_400000_NS6detail17trampoline_kernelINS0_14default_configENS1_25partition_config_selectorILNS1_17partition_subalgoE6EjNS0_10empty_typeEbEEZZNS1_14partition_implILS5_6ELb0ES3_mN6thrust23THRUST_200600_302600_NS6detail15normal_iteratorINSA_10device_ptrIjEEEEPS6_SG_NS0_5tupleIJSF_S6_EEENSH_IJSG_SG_EEES6_PlJNSB_9not_fun_tI7is_evenIjEEEEEE10hipError_tPvRmT3_T4_T5_T6_T7_T9_mT8_P12ihipStream_tbDpT10_ENKUlT_T0_E_clISt17integral_constantIbLb0EES17_IbLb1EEEEDaS13_S14_EUlS13_E_NS1_11comp_targetILNS1_3genE9ELNS1_11target_archE1100ELNS1_3gpuE3ELNS1_3repE0EEENS1_30default_config_static_selectorELNS0_4arch9wavefront6targetE0EEEvT1_.has_indirect_call, 0
	.section	.AMDGPU.csdata,"",@progbits
; Kernel info:
; codeLenInByte = 0
; TotalNumSgprs: 0
; NumVgprs: 0
; ScratchSize: 0
; MemoryBound: 0
; FloatMode: 240
; IeeeMode: 1
; LDSByteSize: 0 bytes/workgroup (compile time only)
; SGPRBlocks: 0
; VGPRBlocks: 0
; NumSGPRsForWavesPerEU: 1
; NumVGPRsForWavesPerEU: 1
; Occupancy: 16
; WaveLimiterHint : 0
; COMPUTE_PGM_RSRC2:SCRATCH_EN: 0
; COMPUTE_PGM_RSRC2:USER_SGPR: 2
; COMPUTE_PGM_RSRC2:TRAP_HANDLER: 0
; COMPUTE_PGM_RSRC2:TGID_X_EN: 1
; COMPUTE_PGM_RSRC2:TGID_Y_EN: 0
; COMPUTE_PGM_RSRC2:TGID_Z_EN: 0
; COMPUTE_PGM_RSRC2:TIDIG_COMP_CNT: 0
	.section	.text._ZN7rocprim17ROCPRIM_400000_NS6detail17trampoline_kernelINS0_14default_configENS1_25partition_config_selectorILNS1_17partition_subalgoE6EjNS0_10empty_typeEbEEZZNS1_14partition_implILS5_6ELb0ES3_mN6thrust23THRUST_200600_302600_NS6detail15normal_iteratorINSA_10device_ptrIjEEEEPS6_SG_NS0_5tupleIJSF_S6_EEENSH_IJSG_SG_EEES6_PlJNSB_9not_fun_tI7is_evenIjEEEEEE10hipError_tPvRmT3_T4_T5_T6_T7_T9_mT8_P12ihipStream_tbDpT10_ENKUlT_T0_E_clISt17integral_constantIbLb0EES17_IbLb1EEEEDaS13_S14_EUlS13_E_NS1_11comp_targetILNS1_3genE8ELNS1_11target_archE1030ELNS1_3gpuE2ELNS1_3repE0EEENS1_30default_config_static_selectorELNS0_4arch9wavefront6targetE0EEEvT1_,"axG",@progbits,_ZN7rocprim17ROCPRIM_400000_NS6detail17trampoline_kernelINS0_14default_configENS1_25partition_config_selectorILNS1_17partition_subalgoE6EjNS0_10empty_typeEbEEZZNS1_14partition_implILS5_6ELb0ES3_mN6thrust23THRUST_200600_302600_NS6detail15normal_iteratorINSA_10device_ptrIjEEEEPS6_SG_NS0_5tupleIJSF_S6_EEENSH_IJSG_SG_EEES6_PlJNSB_9not_fun_tI7is_evenIjEEEEEE10hipError_tPvRmT3_T4_T5_T6_T7_T9_mT8_P12ihipStream_tbDpT10_ENKUlT_T0_E_clISt17integral_constantIbLb0EES17_IbLb1EEEEDaS13_S14_EUlS13_E_NS1_11comp_targetILNS1_3genE8ELNS1_11target_archE1030ELNS1_3gpuE2ELNS1_3repE0EEENS1_30default_config_static_selectorELNS0_4arch9wavefront6targetE0EEEvT1_,comdat
	.protected	_ZN7rocprim17ROCPRIM_400000_NS6detail17trampoline_kernelINS0_14default_configENS1_25partition_config_selectorILNS1_17partition_subalgoE6EjNS0_10empty_typeEbEEZZNS1_14partition_implILS5_6ELb0ES3_mN6thrust23THRUST_200600_302600_NS6detail15normal_iteratorINSA_10device_ptrIjEEEEPS6_SG_NS0_5tupleIJSF_S6_EEENSH_IJSG_SG_EEES6_PlJNSB_9not_fun_tI7is_evenIjEEEEEE10hipError_tPvRmT3_T4_T5_T6_T7_T9_mT8_P12ihipStream_tbDpT10_ENKUlT_T0_E_clISt17integral_constantIbLb0EES17_IbLb1EEEEDaS13_S14_EUlS13_E_NS1_11comp_targetILNS1_3genE8ELNS1_11target_archE1030ELNS1_3gpuE2ELNS1_3repE0EEENS1_30default_config_static_selectorELNS0_4arch9wavefront6targetE0EEEvT1_ ; -- Begin function _ZN7rocprim17ROCPRIM_400000_NS6detail17trampoline_kernelINS0_14default_configENS1_25partition_config_selectorILNS1_17partition_subalgoE6EjNS0_10empty_typeEbEEZZNS1_14partition_implILS5_6ELb0ES3_mN6thrust23THRUST_200600_302600_NS6detail15normal_iteratorINSA_10device_ptrIjEEEEPS6_SG_NS0_5tupleIJSF_S6_EEENSH_IJSG_SG_EEES6_PlJNSB_9not_fun_tI7is_evenIjEEEEEE10hipError_tPvRmT3_T4_T5_T6_T7_T9_mT8_P12ihipStream_tbDpT10_ENKUlT_T0_E_clISt17integral_constantIbLb0EES17_IbLb1EEEEDaS13_S14_EUlS13_E_NS1_11comp_targetILNS1_3genE8ELNS1_11target_archE1030ELNS1_3gpuE2ELNS1_3repE0EEENS1_30default_config_static_selectorELNS0_4arch9wavefront6targetE0EEEvT1_
	.globl	_ZN7rocprim17ROCPRIM_400000_NS6detail17trampoline_kernelINS0_14default_configENS1_25partition_config_selectorILNS1_17partition_subalgoE6EjNS0_10empty_typeEbEEZZNS1_14partition_implILS5_6ELb0ES3_mN6thrust23THRUST_200600_302600_NS6detail15normal_iteratorINSA_10device_ptrIjEEEEPS6_SG_NS0_5tupleIJSF_S6_EEENSH_IJSG_SG_EEES6_PlJNSB_9not_fun_tI7is_evenIjEEEEEE10hipError_tPvRmT3_T4_T5_T6_T7_T9_mT8_P12ihipStream_tbDpT10_ENKUlT_T0_E_clISt17integral_constantIbLb0EES17_IbLb1EEEEDaS13_S14_EUlS13_E_NS1_11comp_targetILNS1_3genE8ELNS1_11target_archE1030ELNS1_3gpuE2ELNS1_3repE0EEENS1_30default_config_static_selectorELNS0_4arch9wavefront6targetE0EEEvT1_
	.p2align	8
	.type	_ZN7rocprim17ROCPRIM_400000_NS6detail17trampoline_kernelINS0_14default_configENS1_25partition_config_selectorILNS1_17partition_subalgoE6EjNS0_10empty_typeEbEEZZNS1_14partition_implILS5_6ELb0ES3_mN6thrust23THRUST_200600_302600_NS6detail15normal_iteratorINSA_10device_ptrIjEEEEPS6_SG_NS0_5tupleIJSF_S6_EEENSH_IJSG_SG_EEES6_PlJNSB_9not_fun_tI7is_evenIjEEEEEE10hipError_tPvRmT3_T4_T5_T6_T7_T9_mT8_P12ihipStream_tbDpT10_ENKUlT_T0_E_clISt17integral_constantIbLb0EES17_IbLb1EEEEDaS13_S14_EUlS13_E_NS1_11comp_targetILNS1_3genE8ELNS1_11target_archE1030ELNS1_3gpuE2ELNS1_3repE0EEENS1_30default_config_static_selectorELNS0_4arch9wavefront6targetE0EEEvT1_,@function
_ZN7rocprim17ROCPRIM_400000_NS6detail17trampoline_kernelINS0_14default_configENS1_25partition_config_selectorILNS1_17partition_subalgoE6EjNS0_10empty_typeEbEEZZNS1_14partition_implILS5_6ELb0ES3_mN6thrust23THRUST_200600_302600_NS6detail15normal_iteratorINSA_10device_ptrIjEEEEPS6_SG_NS0_5tupleIJSF_S6_EEENSH_IJSG_SG_EEES6_PlJNSB_9not_fun_tI7is_evenIjEEEEEE10hipError_tPvRmT3_T4_T5_T6_T7_T9_mT8_P12ihipStream_tbDpT10_ENKUlT_T0_E_clISt17integral_constantIbLb0EES17_IbLb1EEEEDaS13_S14_EUlS13_E_NS1_11comp_targetILNS1_3genE8ELNS1_11target_archE1030ELNS1_3gpuE2ELNS1_3repE0EEENS1_30default_config_static_selectorELNS0_4arch9wavefront6targetE0EEEvT1_: ; @_ZN7rocprim17ROCPRIM_400000_NS6detail17trampoline_kernelINS0_14default_configENS1_25partition_config_selectorILNS1_17partition_subalgoE6EjNS0_10empty_typeEbEEZZNS1_14partition_implILS5_6ELb0ES3_mN6thrust23THRUST_200600_302600_NS6detail15normal_iteratorINSA_10device_ptrIjEEEEPS6_SG_NS0_5tupleIJSF_S6_EEENSH_IJSG_SG_EEES6_PlJNSB_9not_fun_tI7is_evenIjEEEEEE10hipError_tPvRmT3_T4_T5_T6_T7_T9_mT8_P12ihipStream_tbDpT10_ENKUlT_T0_E_clISt17integral_constantIbLb0EES17_IbLb1EEEEDaS13_S14_EUlS13_E_NS1_11comp_targetILNS1_3genE8ELNS1_11target_archE1030ELNS1_3gpuE2ELNS1_3repE0EEENS1_30default_config_static_selectorELNS0_4arch9wavefront6targetE0EEEvT1_
; %bb.0:
	.section	.rodata,"a",@progbits
	.p2align	6, 0x0
	.amdhsa_kernel _ZN7rocprim17ROCPRIM_400000_NS6detail17trampoline_kernelINS0_14default_configENS1_25partition_config_selectorILNS1_17partition_subalgoE6EjNS0_10empty_typeEbEEZZNS1_14partition_implILS5_6ELb0ES3_mN6thrust23THRUST_200600_302600_NS6detail15normal_iteratorINSA_10device_ptrIjEEEEPS6_SG_NS0_5tupleIJSF_S6_EEENSH_IJSG_SG_EEES6_PlJNSB_9not_fun_tI7is_evenIjEEEEEE10hipError_tPvRmT3_T4_T5_T6_T7_T9_mT8_P12ihipStream_tbDpT10_ENKUlT_T0_E_clISt17integral_constantIbLb0EES17_IbLb1EEEEDaS13_S14_EUlS13_E_NS1_11comp_targetILNS1_3genE8ELNS1_11target_archE1030ELNS1_3gpuE2ELNS1_3repE0EEENS1_30default_config_static_selectorELNS0_4arch9wavefront6targetE0EEEvT1_
		.amdhsa_group_segment_fixed_size 0
		.amdhsa_private_segment_fixed_size 0
		.amdhsa_kernarg_size 128
		.amdhsa_user_sgpr_count 2
		.amdhsa_user_sgpr_dispatch_ptr 0
		.amdhsa_user_sgpr_queue_ptr 0
		.amdhsa_user_sgpr_kernarg_segment_ptr 1
		.amdhsa_user_sgpr_dispatch_id 0
		.amdhsa_user_sgpr_private_segment_size 0
		.amdhsa_wavefront_size32 1
		.amdhsa_uses_dynamic_stack 0
		.amdhsa_enable_private_segment 0
		.amdhsa_system_sgpr_workgroup_id_x 1
		.amdhsa_system_sgpr_workgroup_id_y 0
		.amdhsa_system_sgpr_workgroup_id_z 0
		.amdhsa_system_sgpr_workgroup_info 0
		.amdhsa_system_vgpr_workitem_id 0
		.amdhsa_next_free_vgpr 1
		.amdhsa_next_free_sgpr 1
		.amdhsa_reserve_vcc 0
		.amdhsa_float_round_mode_32 0
		.amdhsa_float_round_mode_16_64 0
		.amdhsa_float_denorm_mode_32 3
		.amdhsa_float_denorm_mode_16_64 3
		.amdhsa_fp16_overflow 0
		.amdhsa_workgroup_processor_mode 1
		.amdhsa_memory_ordered 1
		.amdhsa_forward_progress 1
		.amdhsa_inst_pref_size 0
		.amdhsa_round_robin_scheduling 0
		.amdhsa_exception_fp_ieee_invalid_op 0
		.amdhsa_exception_fp_denorm_src 0
		.amdhsa_exception_fp_ieee_div_zero 0
		.amdhsa_exception_fp_ieee_overflow 0
		.amdhsa_exception_fp_ieee_underflow 0
		.amdhsa_exception_fp_ieee_inexact 0
		.amdhsa_exception_int_div_zero 0
	.end_amdhsa_kernel
	.section	.text._ZN7rocprim17ROCPRIM_400000_NS6detail17trampoline_kernelINS0_14default_configENS1_25partition_config_selectorILNS1_17partition_subalgoE6EjNS0_10empty_typeEbEEZZNS1_14partition_implILS5_6ELb0ES3_mN6thrust23THRUST_200600_302600_NS6detail15normal_iteratorINSA_10device_ptrIjEEEEPS6_SG_NS0_5tupleIJSF_S6_EEENSH_IJSG_SG_EEES6_PlJNSB_9not_fun_tI7is_evenIjEEEEEE10hipError_tPvRmT3_T4_T5_T6_T7_T9_mT8_P12ihipStream_tbDpT10_ENKUlT_T0_E_clISt17integral_constantIbLb0EES17_IbLb1EEEEDaS13_S14_EUlS13_E_NS1_11comp_targetILNS1_3genE8ELNS1_11target_archE1030ELNS1_3gpuE2ELNS1_3repE0EEENS1_30default_config_static_selectorELNS0_4arch9wavefront6targetE0EEEvT1_,"axG",@progbits,_ZN7rocprim17ROCPRIM_400000_NS6detail17trampoline_kernelINS0_14default_configENS1_25partition_config_selectorILNS1_17partition_subalgoE6EjNS0_10empty_typeEbEEZZNS1_14partition_implILS5_6ELb0ES3_mN6thrust23THRUST_200600_302600_NS6detail15normal_iteratorINSA_10device_ptrIjEEEEPS6_SG_NS0_5tupleIJSF_S6_EEENSH_IJSG_SG_EEES6_PlJNSB_9not_fun_tI7is_evenIjEEEEEE10hipError_tPvRmT3_T4_T5_T6_T7_T9_mT8_P12ihipStream_tbDpT10_ENKUlT_T0_E_clISt17integral_constantIbLb0EES17_IbLb1EEEEDaS13_S14_EUlS13_E_NS1_11comp_targetILNS1_3genE8ELNS1_11target_archE1030ELNS1_3gpuE2ELNS1_3repE0EEENS1_30default_config_static_selectorELNS0_4arch9wavefront6targetE0EEEvT1_,comdat
.Lfunc_end660:
	.size	_ZN7rocprim17ROCPRIM_400000_NS6detail17trampoline_kernelINS0_14default_configENS1_25partition_config_selectorILNS1_17partition_subalgoE6EjNS0_10empty_typeEbEEZZNS1_14partition_implILS5_6ELb0ES3_mN6thrust23THRUST_200600_302600_NS6detail15normal_iteratorINSA_10device_ptrIjEEEEPS6_SG_NS0_5tupleIJSF_S6_EEENSH_IJSG_SG_EEES6_PlJNSB_9not_fun_tI7is_evenIjEEEEEE10hipError_tPvRmT3_T4_T5_T6_T7_T9_mT8_P12ihipStream_tbDpT10_ENKUlT_T0_E_clISt17integral_constantIbLb0EES17_IbLb1EEEEDaS13_S14_EUlS13_E_NS1_11comp_targetILNS1_3genE8ELNS1_11target_archE1030ELNS1_3gpuE2ELNS1_3repE0EEENS1_30default_config_static_selectorELNS0_4arch9wavefront6targetE0EEEvT1_, .Lfunc_end660-_ZN7rocprim17ROCPRIM_400000_NS6detail17trampoline_kernelINS0_14default_configENS1_25partition_config_selectorILNS1_17partition_subalgoE6EjNS0_10empty_typeEbEEZZNS1_14partition_implILS5_6ELb0ES3_mN6thrust23THRUST_200600_302600_NS6detail15normal_iteratorINSA_10device_ptrIjEEEEPS6_SG_NS0_5tupleIJSF_S6_EEENSH_IJSG_SG_EEES6_PlJNSB_9not_fun_tI7is_evenIjEEEEEE10hipError_tPvRmT3_T4_T5_T6_T7_T9_mT8_P12ihipStream_tbDpT10_ENKUlT_T0_E_clISt17integral_constantIbLb0EES17_IbLb1EEEEDaS13_S14_EUlS13_E_NS1_11comp_targetILNS1_3genE8ELNS1_11target_archE1030ELNS1_3gpuE2ELNS1_3repE0EEENS1_30default_config_static_selectorELNS0_4arch9wavefront6targetE0EEEvT1_
                                        ; -- End function
	.set _ZN7rocprim17ROCPRIM_400000_NS6detail17trampoline_kernelINS0_14default_configENS1_25partition_config_selectorILNS1_17partition_subalgoE6EjNS0_10empty_typeEbEEZZNS1_14partition_implILS5_6ELb0ES3_mN6thrust23THRUST_200600_302600_NS6detail15normal_iteratorINSA_10device_ptrIjEEEEPS6_SG_NS0_5tupleIJSF_S6_EEENSH_IJSG_SG_EEES6_PlJNSB_9not_fun_tI7is_evenIjEEEEEE10hipError_tPvRmT3_T4_T5_T6_T7_T9_mT8_P12ihipStream_tbDpT10_ENKUlT_T0_E_clISt17integral_constantIbLb0EES17_IbLb1EEEEDaS13_S14_EUlS13_E_NS1_11comp_targetILNS1_3genE8ELNS1_11target_archE1030ELNS1_3gpuE2ELNS1_3repE0EEENS1_30default_config_static_selectorELNS0_4arch9wavefront6targetE0EEEvT1_.num_vgpr, 0
	.set _ZN7rocprim17ROCPRIM_400000_NS6detail17trampoline_kernelINS0_14default_configENS1_25partition_config_selectorILNS1_17partition_subalgoE6EjNS0_10empty_typeEbEEZZNS1_14partition_implILS5_6ELb0ES3_mN6thrust23THRUST_200600_302600_NS6detail15normal_iteratorINSA_10device_ptrIjEEEEPS6_SG_NS0_5tupleIJSF_S6_EEENSH_IJSG_SG_EEES6_PlJNSB_9not_fun_tI7is_evenIjEEEEEE10hipError_tPvRmT3_T4_T5_T6_T7_T9_mT8_P12ihipStream_tbDpT10_ENKUlT_T0_E_clISt17integral_constantIbLb0EES17_IbLb1EEEEDaS13_S14_EUlS13_E_NS1_11comp_targetILNS1_3genE8ELNS1_11target_archE1030ELNS1_3gpuE2ELNS1_3repE0EEENS1_30default_config_static_selectorELNS0_4arch9wavefront6targetE0EEEvT1_.num_agpr, 0
	.set _ZN7rocprim17ROCPRIM_400000_NS6detail17trampoline_kernelINS0_14default_configENS1_25partition_config_selectorILNS1_17partition_subalgoE6EjNS0_10empty_typeEbEEZZNS1_14partition_implILS5_6ELb0ES3_mN6thrust23THRUST_200600_302600_NS6detail15normal_iteratorINSA_10device_ptrIjEEEEPS6_SG_NS0_5tupleIJSF_S6_EEENSH_IJSG_SG_EEES6_PlJNSB_9not_fun_tI7is_evenIjEEEEEE10hipError_tPvRmT3_T4_T5_T6_T7_T9_mT8_P12ihipStream_tbDpT10_ENKUlT_T0_E_clISt17integral_constantIbLb0EES17_IbLb1EEEEDaS13_S14_EUlS13_E_NS1_11comp_targetILNS1_3genE8ELNS1_11target_archE1030ELNS1_3gpuE2ELNS1_3repE0EEENS1_30default_config_static_selectorELNS0_4arch9wavefront6targetE0EEEvT1_.numbered_sgpr, 0
	.set _ZN7rocprim17ROCPRIM_400000_NS6detail17trampoline_kernelINS0_14default_configENS1_25partition_config_selectorILNS1_17partition_subalgoE6EjNS0_10empty_typeEbEEZZNS1_14partition_implILS5_6ELb0ES3_mN6thrust23THRUST_200600_302600_NS6detail15normal_iteratorINSA_10device_ptrIjEEEEPS6_SG_NS0_5tupleIJSF_S6_EEENSH_IJSG_SG_EEES6_PlJNSB_9not_fun_tI7is_evenIjEEEEEE10hipError_tPvRmT3_T4_T5_T6_T7_T9_mT8_P12ihipStream_tbDpT10_ENKUlT_T0_E_clISt17integral_constantIbLb0EES17_IbLb1EEEEDaS13_S14_EUlS13_E_NS1_11comp_targetILNS1_3genE8ELNS1_11target_archE1030ELNS1_3gpuE2ELNS1_3repE0EEENS1_30default_config_static_selectorELNS0_4arch9wavefront6targetE0EEEvT1_.num_named_barrier, 0
	.set _ZN7rocprim17ROCPRIM_400000_NS6detail17trampoline_kernelINS0_14default_configENS1_25partition_config_selectorILNS1_17partition_subalgoE6EjNS0_10empty_typeEbEEZZNS1_14partition_implILS5_6ELb0ES3_mN6thrust23THRUST_200600_302600_NS6detail15normal_iteratorINSA_10device_ptrIjEEEEPS6_SG_NS0_5tupleIJSF_S6_EEENSH_IJSG_SG_EEES6_PlJNSB_9not_fun_tI7is_evenIjEEEEEE10hipError_tPvRmT3_T4_T5_T6_T7_T9_mT8_P12ihipStream_tbDpT10_ENKUlT_T0_E_clISt17integral_constantIbLb0EES17_IbLb1EEEEDaS13_S14_EUlS13_E_NS1_11comp_targetILNS1_3genE8ELNS1_11target_archE1030ELNS1_3gpuE2ELNS1_3repE0EEENS1_30default_config_static_selectorELNS0_4arch9wavefront6targetE0EEEvT1_.private_seg_size, 0
	.set _ZN7rocprim17ROCPRIM_400000_NS6detail17trampoline_kernelINS0_14default_configENS1_25partition_config_selectorILNS1_17partition_subalgoE6EjNS0_10empty_typeEbEEZZNS1_14partition_implILS5_6ELb0ES3_mN6thrust23THRUST_200600_302600_NS6detail15normal_iteratorINSA_10device_ptrIjEEEEPS6_SG_NS0_5tupleIJSF_S6_EEENSH_IJSG_SG_EEES6_PlJNSB_9not_fun_tI7is_evenIjEEEEEE10hipError_tPvRmT3_T4_T5_T6_T7_T9_mT8_P12ihipStream_tbDpT10_ENKUlT_T0_E_clISt17integral_constantIbLb0EES17_IbLb1EEEEDaS13_S14_EUlS13_E_NS1_11comp_targetILNS1_3genE8ELNS1_11target_archE1030ELNS1_3gpuE2ELNS1_3repE0EEENS1_30default_config_static_selectorELNS0_4arch9wavefront6targetE0EEEvT1_.uses_vcc, 0
	.set _ZN7rocprim17ROCPRIM_400000_NS6detail17trampoline_kernelINS0_14default_configENS1_25partition_config_selectorILNS1_17partition_subalgoE6EjNS0_10empty_typeEbEEZZNS1_14partition_implILS5_6ELb0ES3_mN6thrust23THRUST_200600_302600_NS6detail15normal_iteratorINSA_10device_ptrIjEEEEPS6_SG_NS0_5tupleIJSF_S6_EEENSH_IJSG_SG_EEES6_PlJNSB_9not_fun_tI7is_evenIjEEEEEE10hipError_tPvRmT3_T4_T5_T6_T7_T9_mT8_P12ihipStream_tbDpT10_ENKUlT_T0_E_clISt17integral_constantIbLb0EES17_IbLb1EEEEDaS13_S14_EUlS13_E_NS1_11comp_targetILNS1_3genE8ELNS1_11target_archE1030ELNS1_3gpuE2ELNS1_3repE0EEENS1_30default_config_static_selectorELNS0_4arch9wavefront6targetE0EEEvT1_.uses_flat_scratch, 0
	.set _ZN7rocprim17ROCPRIM_400000_NS6detail17trampoline_kernelINS0_14default_configENS1_25partition_config_selectorILNS1_17partition_subalgoE6EjNS0_10empty_typeEbEEZZNS1_14partition_implILS5_6ELb0ES3_mN6thrust23THRUST_200600_302600_NS6detail15normal_iteratorINSA_10device_ptrIjEEEEPS6_SG_NS0_5tupleIJSF_S6_EEENSH_IJSG_SG_EEES6_PlJNSB_9not_fun_tI7is_evenIjEEEEEE10hipError_tPvRmT3_T4_T5_T6_T7_T9_mT8_P12ihipStream_tbDpT10_ENKUlT_T0_E_clISt17integral_constantIbLb0EES17_IbLb1EEEEDaS13_S14_EUlS13_E_NS1_11comp_targetILNS1_3genE8ELNS1_11target_archE1030ELNS1_3gpuE2ELNS1_3repE0EEENS1_30default_config_static_selectorELNS0_4arch9wavefront6targetE0EEEvT1_.has_dyn_sized_stack, 0
	.set _ZN7rocprim17ROCPRIM_400000_NS6detail17trampoline_kernelINS0_14default_configENS1_25partition_config_selectorILNS1_17partition_subalgoE6EjNS0_10empty_typeEbEEZZNS1_14partition_implILS5_6ELb0ES3_mN6thrust23THRUST_200600_302600_NS6detail15normal_iteratorINSA_10device_ptrIjEEEEPS6_SG_NS0_5tupleIJSF_S6_EEENSH_IJSG_SG_EEES6_PlJNSB_9not_fun_tI7is_evenIjEEEEEE10hipError_tPvRmT3_T4_T5_T6_T7_T9_mT8_P12ihipStream_tbDpT10_ENKUlT_T0_E_clISt17integral_constantIbLb0EES17_IbLb1EEEEDaS13_S14_EUlS13_E_NS1_11comp_targetILNS1_3genE8ELNS1_11target_archE1030ELNS1_3gpuE2ELNS1_3repE0EEENS1_30default_config_static_selectorELNS0_4arch9wavefront6targetE0EEEvT1_.has_recursion, 0
	.set _ZN7rocprim17ROCPRIM_400000_NS6detail17trampoline_kernelINS0_14default_configENS1_25partition_config_selectorILNS1_17partition_subalgoE6EjNS0_10empty_typeEbEEZZNS1_14partition_implILS5_6ELb0ES3_mN6thrust23THRUST_200600_302600_NS6detail15normal_iteratorINSA_10device_ptrIjEEEEPS6_SG_NS0_5tupleIJSF_S6_EEENSH_IJSG_SG_EEES6_PlJNSB_9not_fun_tI7is_evenIjEEEEEE10hipError_tPvRmT3_T4_T5_T6_T7_T9_mT8_P12ihipStream_tbDpT10_ENKUlT_T0_E_clISt17integral_constantIbLb0EES17_IbLb1EEEEDaS13_S14_EUlS13_E_NS1_11comp_targetILNS1_3genE8ELNS1_11target_archE1030ELNS1_3gpuE2ELNS1_3repE0EEENS1_30default_config_static_selectorELNS0_4arch9wavefront6targetE0EEEvT1_.has_indirect_call, 0
	.section	.AMDGPU.csdata,"",@progbits
; Kernel info:
; codeLenInByte = 0
; TotalNumSgprs: 0
; NumVgprs: 0
; ScratchSize: 0
; MemoryBound: 0
; FloatMode: 240
; IeeeMode: 1
; LDSByteSize: 0 bytes/workgroup (compile time only)
; SGPRBlocks: 0
; VGPRBlocks: 0
; NumSGPRsForWavesPerEU: 1
; NumVGPRsForWavesPerEU: 1
; Occupancy: 16
; WaveLimiterHint : 0
; COMPUTE_PGM_RSRC2:SCRATCH_EN: 0
; COMPUTE_PGM_RSRC2:USER_SGPR: 2
; COMPUTE_PGM_RSRC2:TRAP_HANDLER: 0
; COMPUTE_PGM_RSRC2:TGID_X_EN: 1
; COMPUTE_PGM_RSRC2:TGID_Y_EN: 0
; COMPUTE_PGM_RSRC2:TGID_Z_EN: 0
; COMPUTE_PGM_RSRC2:TIDIG_COMP_CNT: 0
	.section	.text._ZN7rocprim17ROCPRIM_400000_NS6detail17trampoline_kernelINS0_14default_configENS1_25partition_config_selectorILNS1_17partition_subalgoE6EtNS0_10empty_typeEbEEZZNS1_14partition_implILS5_6ELb0ES3_mN6thrust23THRUST_200600_302600_NS6detail15normal_iteratorINSA_10device_ptrItEEEEPS6_SG_NS0_5tupleIJSF_S6_EEENSH_IJSG_SG_EEES6_PlJNSB_9not_fun_tI7is_evenItEEEEEE10hipError_tPvRmT3_T4_T5_T6_T7_T9_mT8_P12ihipStream_tbDpT10_ENKUlT_T0_E_clISt17integral_constantIbLb0EES18_EEDaS13_S14_EUlS13_E_NS1_11comp_targetILNS1_3genE0ELNS1_11target_archE4294967295ELNS1_3gpuE0ELNS1_3repE0EEENS1_30default_config_static_selectorELNS0_4arch9wavefront6targetE0EEEvT1_,"axG",@progbits,_ZN7rocprim17ROCPRIM_400000_NS6detail17trampoline_kernelINS0_14default_configENS1_25partition_config_selectorILNS1_17partition_subalgoE6EtNS0_10empty_typeEbEEZZNS1_14partition_implILS5_6ELb0ES3_mN6thrust23THRUST_200600_302600_NS6detail15normal_iteratorINSA_10device_ptrItEEEEPS6_SG_NS0_5tupleIJSF_S6_EEENSH_IJSG_SG_EEES6_PlJNSB_9not_fun_tI7is_evenItEEEEEE10hipError_tPvRmT3_T4_T5_T6_T7_T9_mT8_P12ihipStream_tbDpT10_ENKUlT_T0_E_clISt17integral_constantIbLb0EES18_EEDaS13_S14_EUlS13_E_NS1_11comp_targetILNS1_3genE0ELNS1_11target_archE4294967295ELNS1_3gpuE0ELNS1_3repE0EEENS1_30default_config_static_selectorELNS0_4arch9wavefront6targetE0EEEvT1_,comdat
	.protected	_ZN7rocprim17ROCPRIM_400000_NS6detail17trampoline_kernelINS0_14default_configENS1_25partition_config_selectorILNS1_17partition_subalgoE6EtNS0_10empty_typeEbEEZZNS1_14partition_implILS5_6ELb0ES3_mN6thrust23THRUST_200600_302600_NS6detail15normal_iteratorINSA_10device_ptrItEEEEPS6_SG_NS0_5tupleIJSF_S6_EEENSH_IJSG_SG_EEES6_PlJNSB_9not_fun_tI7is_evenItEEEEEE10hipError_tPvRmT3_T4_T5_T6_T7_T9_mT8_P12ihipStream_tbDpT10_ENKUlT_T0_E_clISt17integral_constantIbLb0EES18_EEDaS13_S14_EUlS13_E_NS1_11comp_targetILNS1_3genE0ELNS1_11target_archE4294967295ELNS1_3gpuE0ELNS1_3repE0EEENS1_30default_config_static_selectorELNS0_4arch9wavefront6targetE0EEEvT1_ ; -- Begin function _ZN7rocprim17ROCPRIM_400000_NS6detail17trampoline_kernelINS0_14default_configENS1_25partition_config_selectorILNS1_17partition_subalgoE6EtNS0_10empty_typeEbEEZZNS1_14partition_implILS5_6ELb0ES3_mN6thrust23THRUST_200600_302600_NS6detail15normal_iteratorINSA_10device_ptrItEEEEPS6_SG_NS0_5tupleIJSF_S6_EEENSH_IJSG_SG_EEES6_PlJNSB_9not_fun_tI7is_evenItEEEEEE10hipError_tPvRmT3_T4_T5_T6_T7_T9_mT8_P12ihipStream_tbDpT10_ENKUlT_T0_E_clISt17integral_constantIbLb0EES18_EEDaS13_S14_EUlS13_E_NS1_11comp_targetILNS1_3genE0ELNS1_11target_archE4294967295ELNS1_3gpuE0ELNS1_3repE0EEENS1_30default_config_static_selectorELNS0_4arch9wavefront6targetE0EEEvT1_
	.globl	_ZN7rocprim17ROCPRIM_400000_NS6detail17trampoline_kernelINS0_14default_configENS1_25partition_config_selectorILNS1_17partition_subalgoE6EtNS0_10empty_typeEbEEZZNS1_14partition_implILS5_6ELb0ES3_mN6thrust23THRUST_200600_302600_NS6detail15normal_iteratorINSA_10device_ptrItEEEEPS6_SG_NS0_5tupleIJSF_S6_EEENSH_IJSG_SG_EEES6_PlJNSB_9not_fun_tI7is_evenItEEEEEE10hipError_tPvRmT3_T4_T5_T6_T7_T9_mT8_P12ihipStream_tbDpT10_ENKUlT_T0_E_clISt17integral_constantIbLb0EES18_EEDaS13_S14_EUlS13_E_NS1_11comp_targetILNS1_3genE0ELNS1_11target_archE4294967295ELNS1_3gpuE0ELNS1_3repE0EEENS1_30default_config_static_selectorELNS0_4arch9wavefront6targetE0EEEvT1_
	.p2align	8
	.type	_ZN7rocprim17ROCPRIM_400000_NS6detail17trampoline_kernelINS0_14default_configENS1_25partition_config_selectorILNS1_17partition_subalgoE6EtNS0_10empty_typeEbEEZZNS1_14partition_implILS5_6ELb0ES3_mN6thrust23THRUST_200600_302600_NS6detail15normal_iteratorINSA_10device_ptrItEEEEPS6_SG_NS0_5tupleIJSF_S6_EEENSH_IJSG_SG_EEES6_PlJNSB_9not_fun_tI7is_evenItEEEEEE10hipError_tPvRmT3_T4_T5_T6_T7_T9_mT8_P12ihipStream_tbDpT10_ENKUlT_T0_E_clISt17integral_constantIbLb0EES18_EEDaS13_S14_EUlS13_E_NS1_11comp_targetILNS1_3genE0ELNS1_11target_archE4294967295ELNS1_3gpuE0ELNS1_3repE0EEENS1_30default_config_static_selectorELNS0_4arch9wavefront6targetE0EEEvT1_,@function
_ZN7rocprim17ROCPRIM_400000_NS6detail17trampoline_kernelINS0_14default_configENS1_25partition_config_selectorILNS1_17partition_subalgoE6EtNS0_10empty_typeEbEEZZNS1_14partition_implILS5_6ELb0ES3_mN6thrust23THRUST_200600_302600_NS6detail15normal_iteratorINSA_10device_ptrItEEEEPS6_SG_NS0_5tupleIJSF_S6_EEENSH_IJSG_SG_EEES6_PlJNSB_9not_fun_tI7is_evenItEEEEEE10hipError_tPvRmT3_T4_T5_T6_T7_T9_mT8_P12ihipStream_tbDpT10_ENKUlT_T0_E_clISt17integral_constantIbLb0EES18_EEDaS13_S14_EUlS13_E_NS1_11comp_targetILNS1_3genE0ELNS1_11target_archE4294967295ELNS1_3gpuE0ELNS1_3repE0EEENS1_30default_config_static_selectorELNS0_4arch9wavefront6targetE0EEEvT1_: ; @_ZN7rocprim17ROCPRIM_400000_NS6detail17trampoline_kernelINS0_14default_configENS1_25partition_config_selectorILNS1_17partition_subalgoE6EtNS0_10empty_typeEbEEZZNS1_14partition_implILS5_6ELb0ES3_mN6thrust23THRUST_200600_302600_NS6detail15normal_iteratorINSA_10device_ptrItEEEEPS6_SG_NS0_5tupleIJSF_S6_EEENSH_IJSG_SG_EEES6_PlJNSB_9not_fun_tI7is_evenItEEEEEE10hipError_tPvRmT3_T4_T5_T6_T7_T9_mT8_P12ihipStream_tbDpT10_ENKUlT_T0_E_clISt17integral_constantIbLb0EES18_EEDaS13_S14_EUlS13_E_NS1_11comp_targetILNS1_3genE0ELNS1_11target_archE4294967295ELNS1_3gpuE0ELNS1_3repE0EEENS1_30default_config_static_selectorELNS0_4arch9wavefront6targetE0EEEvT1_
; %bb.0:
	.section	.rodata,"a",@progbits
	.p2align	6, 0x0
	.amdhsa_kernel _ZN7rocprim17ROCPRIM_400000_NS6detail17trampoline_kernelINS0_14default_configENS1_25partition_config_selectorILNS1_17partition_subalgoE6EtNS0_10empty_typeEbEEZZNS1_14partition_implILS5_6ELb0ES3_mN6thrust23THRUST_200600_302600_NS6detail15normal_iteratorINSA_10device_ptrItEEEEPS6_SG_NS0_5tupleIJSF_S6_EEENSH_IJSG_SG_EEES6_PlJNSB_9not_fun_tI7is_evenItEEEEEE10hipError_tPvRmT3_T4_T5_T6_T7_T9_mT8_P12ihipStream_tbDpT10_ENKUlT_T0_E_clISt17integral_constantIbLb0EES18_EEDaS13_S14_EUlS13_E_NS1_11comp_targetILNS1_3genE0ELNS1_11target_archE4294967295ELNS1_3gpuE0ELNS1_3repE0EEENS1_30default_config_static_selectorELNS0_4arch9wavefront6targetE0EEEvT1_
		.amdhsa_group_segment_fixed_size 0
		.amdhsa_private_segment_fixed_size 0
		.amdhsa_kernarg_size 112
		.amdhsa_user_sgpr_count 2
		.amdhsa_user_sgpr_dispatch_ptr 0
		.amdhsa_user_sgpr_queue_ptr 0
		.amdhsa_user_sgpr_kernarg_segment_ptr 1
		.amdhsa_user_sgpr_dispatch_id 0
		.amdhsa_user_sgpr_private_segment_size 0
		.amdhsa_wavefront_size32 1
		.amdhsa_uses_dynamic_stack 0
		.amdhsa_enable_private_segment 0
		.amdhsa_system_sgpr_workgroup_id_x 1
		.amdhsa_system_sgpr_workgroup_id_y 0
		.amdhsa_system_sgpr_workgroup_id_z 0
		.amdhsa_system_sgpr_workgroup_info 0
		.amdhsa_system_vgpr_workitem_id 0
		.amdhsa_next_free_vgpr 1
		.amdhsa_next_free_sgpr 1
		.amdhsa_reserve_vcc 0
		.amdhsa_float_round_mode_32 0
		.amdhsa_float_round_mode_16_64 0
		.amdhsa_float_denorm_mode_32 3
		.amdhsa_float_denorm_mode_16_64 3
		.amdhsa_fp16_overflow 0
		.amdhsa_workgroup_processor_mode 1
		.amdhsa_memory_ordered 1
		.amdhsa_forward_progress 1
		.amdhsa_inst_pref_size 0
		.amdhsa_round_robin_scheduling 0
		.amdhsa_exception_fp_ieee_invalid_op 0
		.amdhsa_exception_fp_denorm_src 0
		.amdhsa_exception_fp_ieee_div_zero 0
		.amdhsa_exception_fp_ieee_overflow 0
		.amdhsa_exception_fp_ieee_underflow 0
		.amdhsa_exception_fp_ieee_inexact 0
		.amdhsa_exception_int_div_zero 0
	.end_amdhsa_kernel
	.section	.text._ZN7rocprim17ROCPRIM_400000_NS6detail17trampoline_kernelINS0_14default_configENS1_25partition_config_selectorILNS1_17partition_subalgoE6EtNS0_10empty_typeEbEEZZNS1_14partition_implILS5_6ELb0ES3_mN6thrust23THRUST_200600_302600_NS6detail15normal_iteratorINSA_10device_ptrItEEEEPS6_SG_NS0_5tupleIJSF_S6_EEENSH_IJSG_SG_EEES6_PlJNSB_9not_fun_tI7is_evenItEEEEEE10hipError_tPvRmT3_T4_T5_T6_T7_T9_mT8_P12ihipStream_tbDpT10_ENKUlT_T0_E_clISt17integral_constantIbLb0EES18_EEDaS13_S14_EUlS13_E_NS1_11comp_targetILNS1_3genE0ELNS1_11target_archE4294967295ELNS1_3gpuE0ELNS1_3repE0EEENS1_30default_config_static_selectorELNS0_4arch9wavefront6targetE0EEEvT1_,"axG",@progbits,_ZN7rocprim17ROCPRIM_400000_NS6detail17trampoline_kernelINS0_14default_configENS1_25partition_config_selectorILNS1_17partition_subalgoE6EtNS0_10empty_typeEbEEZZNS1_14partition_implILS5_6ELb0ES3_mN6thrust23THRUST_200600_302600_NS6detail15normal_iteratorINSA_10device_ptrItEEEEPS6_SG_NS0_5tupleIJSF_S6_EEENSH_IJSG_SG_EEES6_PlJNSB_9not_fun_tI7is_evenItEEEEEE10hipError_tPvRmT3_T4_T5_T6_T7_T9_mT8_P12ihipStream_tbDpT10_ENKUlT_T0_E_clISt17integral_constantIbLb0EES18_EEDaS13_S14_EUlS13_E_NS1_11comp_targetILNS1_3genE0ELNS1_11target_archE4294967295ELNS1_3gpuE0ELNS1_3repE0EEENS1_30default_config_static_selectorELNS0_4arch9wavefront6targetE0EEEvT1_,comdat
.Lfunc_end661:
	.size	_ZN7rocprim17ROCPRIM_400000_NS6detail17trampoline_kernelINS0_14default_configENS1_25partition_config_selectorILNS1_17partition_subalgoE6EtNS0_10empty_typeEbEEZZNS1_14partition_implILS5_6ELb0ES3_mN6thrust23THRUST_200600_302600_NS6detail15normal_iteratorINSA_10device_ptrItEEEEPS6_SG_NS0_5tupleIJSF_S6_EEENSH_IJSG_SG_EEES6_PlJNSB_9not_fun_tI7is_evenItEEEEEE10hipError_tPvRmT3_T4_T5_T6_T7_T9_mT8_P12ihipStream_tbDpT10_ENKUlT_T0_E_clISt17integral_constantIbLb0EES18_EEDaS13_S14_EUlS13_E_NS1_11comp_targetILNS1_3genE0ELNS1_11target_archE4294967295ELNS1_3gpuE0ELNS1_3repE0EEENS1_30default_config_static_selectorELNS0_4arch9wavefront6targetE0EEEvT1_, .Lfunc_end661-_ZN7rocprim17ROCPRIM_400000_NS6detail17trampoline_kernelINS0_14default_configENS1_25partition_config_selectorILNS1_17partition_subalgoE6EtNS0_10empty_typeEbEEZZNS1_14partition_implILS5_6ELb0ES3_mN6thrust23THRUST_200600_302600_NS6detail15normal_iteratorINSA_10device_ptrItEEEEPS6_SG_NS0_5tupleIJSF_S6_EEENSH_IJSG_SG_EEES6_PlJNSB_9not_fun_tI7is_evenItEEEEEE10hipError_tPvRmT3_T4_T5_T6_T7_T9_mT8_P12ihipStream_tbDpT10_ENKUlT_T0_E_clISt17integral_constantIbLb0EES18_EEDaS13_S14_EUlS13_E_NS1_11comp_targetILNS1_3genE0ELNS1_11target_archE4294967295ELNS1_3gpuE0ELNS1_3repE0EEENS1_30default_config_static_selectorELNS0_4arch9wavefront6targetE0EEEvT1_
                                        ; -- End function
	.set _ZN7rocprim17ROCPRIM_400000_NS6detail17trampoline_kernelINS0_14default_configENS1_25partition_config_selectorILNS1_17partition_subalgoE6EtNS0_10empty_typeEbEEZZNS1_14partition_implILS5_6ELb0ES3_mN6thrust23THRUST_200600_302600_NS6detail15normal_iteratorINSA_10device_ptrItEEEEPS6_SG_NS0_5tupleIJSF_S6_EEENSH_IJSG_SG_EEES6_PlJNSB_9not_fun_tI7is_evenItEEEEEE10hipError_tPvRmT3_T4_T5_T6_T7_T9_mT8_P12ihipStream_tbDpT10_ENKUlT_T0_E_clISt17integral_constantIbLb0EES18_EEDaS13_S14_EUlS13_E_NS1_11comp_targetILNS1_3genE0ELNS1_11target_archE4294967295ELNS1_3gpuE0ELNS1_3repE0EEENS1_30default_config_static_selectorELNS0_4arch9wavefront6targetE0EEEvT1_.num_vgpr, 0
	.set _ZN7rocprim17ROCPRIM_400000_NS6detail17trampoline_kernelINS0_14default_configENS1_25partition_config_selectorILNS1_17partition_subalgoE6EtNS0_10empty_typeEbEEZZNS1_14partition_implILS5_6ELb0ES3_mN6thrust23THRUST_200600_302600_NS6detail15normal_iteratorINSA_10device_ptrItEEEEPS6_SG_NS0_5tupleIJSF_S6_EEENSH_IJSG_SG_EEES6_PlJNSB_9not_fun_tI7is_evenItEEEEEE10hipError_tPvRmT3_T4_T5_T6_T7_T9_mT8_P12ihipStream_tbDpT10_ENKUlT_T0_E_clISt17integral_constantIbLb0EES18_EEDaS13_S14_EUlS13_E_NS1_11comp_targetILNS1_3genE0ELNS1_11target_archE4294967295ELNS1_3gpuE0ELNS1_3repE0EEENS1_30default_config_static_selectorELNS0_4arch9wavefront6targetE0EEEvT1_.num_agpr, 0
	.set _ZN7rocprim17ROCPRIM_400000_NS6detail17trampoline_kernelINS0_14default_configENS1_25partition_config_selectorILNS1_17partition_subalgoE6EtNS0_10empty_typeEbEEZZNS1_14partition_implILS5_6ELb0ES3_mN6thrust23THRUST_200600_302600_NS6detail15normal_iteratorINSA_10device_ptrItEEEEPS6_SG_NS0_5tupleIJSF_S6_EEENSH_IJSG_SG_EEES6_PlJNSB_9not_fun_tI7is_evenItEEEEEE10hipError_tPvRmT3_T4_T5_T6_T7_T9_mT8_P12ihipStream_tbDpT10_ENKUlT_T0_E_clISt17integral_constantIbLb0EES18_EEDaS13_S14_EUlS13_E_NS1_11comp_targetILNS1_3genE0ELNS1_11target_archE4294967295ELNS1_3gpuE0ELNS1_3repE0EEENS1_30default_config_static_selectorELNS0_4arch9wavefront6targetE0EEEvT1_.numbered_sgpr, 0
	.set _ZN7rocprim17ROCPRIM_400000_NS6detail17trampoline_kernelINS0_14default_configENS1_25partition_config_selectorILNS1_17partition_subalgoE6EtNS0_10empty_typeEbEEZZNS1_14partition_implILS5_6ELb0ES3_mN6thrust23THRUST_200600_302600_NS6detail15normal_iteratorINSA_10device_ptrItEEEEPS6_SG_NS0_5tupleIJSF_S6_EEENSH_IJSG_SG_EEES6_PlJNSB_9not_fun_tI7is_evenItEEEEEE10hipError_tPvRmT3_T4_T5_T6_T7_T9_mT8_P12ihipStream_tbDpT10_ENKUlT_T0_E_clISt17integral_constantIbLb0EES18_EEDaS13_S14_EUlS13_E_NS1_11comp_targetILNS1_3genE0ELNS1_11target_archE4294967295ELNS1_3gpuE0ELNS1_3repE0EEENS1_30default_config_static_selectorELNS0_4arch9wavefront6targetE0EEEvT1_.num_named_barrier, 0
	.set _ZN7rocprim17ROCPRIM_400000_NS6detail17trampoline_kernelINS0_14default_configENS1_25partition_config_selectorILNS1_17partition_subalgoE6EtNS0_10empty_typeEbEEZZNS1_14partition_implILS5_6ELb0ES3_mN6thrust23THRUST_200600_302600_NS6detail15normal_iteratorINSA_10device_ptrItEEEEPS6_SG_NS0_5tupleIJSF_S6_EEENSH_IJSG_SG_EEES6_PlJNSB_9not_fun_tI7is_evenItEEEEEE10hipError_tPvRmT3_T4_T5_T6_T7_T9_mT8_P12ihipStream_tbDpT10_ENKUlT_T0_E_clISt17integral_constantIbLb0EES18_EEDaS13_S14_EUlS13_E_NS1_11comp_targetILNS1_3genE0ELNS1_11target_archE4294967295ELNS1_3gpuE0ELNS1_3repE0EEENS1_30default_config_static_selectorELNS0_4arch9wavefront6targetE0EEEvT1_.private_seg_size, 0
	.set _ZN7rocprim17ROCPRIM_400000_NS6detail17trampoline_kernelINS0_14default_configENS1_25partition_config_selectorILNS1_17partition_subalgoE6EtNS0_10empty_typeEbEEZZNS1_14partition_implILS5_6ELb0ES3_mN6thrust23THRUST_200600_302600_NS6detail15normal_iteratorINSA_10device_ptrItEEEEPS6_SG_NS0_5tupleIJSF_S6_EEENSH_IJSG_SG_EEES6_PlJNSB_9not_fun_tI7is_evenItEEEEEE10hipError_tPvRmT3_T4_T5_T6_T7_T9_mT8_P12ihipStream_tbDpT10_ENKUlT_T0_E_clISt17integral_constantIbLb0EES18_EEDaS13_S14_EUlS13_E_NS1_11comp_targetILNS1_3genE0ELNS1_11target_archE4294967295ELNS1_3gpuE0ELNS1_3repE0EEENS1_30default_config_static_selectorELNS0_4arch9wavefront6targetE0EEEvT1_.uses_vcc, 0
	.set _ZN7rocprim17ROCPRIM_400000_NS6detail17trampoline_kernelINS0_14default_configENS1_25partition_config_selectorILNS1_17partition_subalgoE6EtNS0_10empty_typeEbEEZZNS1_14partition_implILS5_6ELb0ES3_mN6thrust23THRUST_200600_302600_NS6detail15normal_iteratorINSA_10device_ptrItEEEEPS6_SG_NS0_5tupleIJSF_S6_EEENSH_IJSG_SG_EEES6_PlJNSB_9not_fun_tI7is_evenItEEEEEE10hipError_tPvRmT3_T4_T5_T6_T7_T9_mT8_P12ihipStream_tbDpT10_ENKUlT_T0_E_clISt17integral_constantIbLb0EES18_EEDaS13_S14_EUlS13_E_NS1_11comp_targetILNS1_3genE0ELNS1_11target_archE4294967295ELNS1_3gpuE0ELNS1_3repE0EEENS1_30default_config_static_selectorELNS0_4arch9wavefront6targetE0EEEvT1_.uses_flat_scratch, 0
	.set _ZN7rocprim17ROCPRIM_400000_NS6detail17trampoline_kernelINS0_14default_configENS1_25partition_config_selectorILNS1_17partition_subalgoE6EtNS0_10empty_typeEbEEZZNS1_14partition_implILS5_6ELb0ES3_mN6thrust23THRUST_200600_302600_NS6detail15normal_iteratorINSA_10device_ptrItEEEEPS6_SG_NS0_5tupleIJSF_S6_EEENSH_IJSG_SG_EEES6_PlJNSB_9not_fun_tI7is_evenItEEEEEE10hipError_tPvRmT3_T4_T5_T6_T7_T9_mT8_P12ihipStream_tbDpT10_ENKUlT_T0_E_clISt17integral_constantIbLb0EES18_EEDaS13_S14_EUlS13_E_NS1_11comp_targetILNS1_3genE0ELNS1_11target_archE4294967295ELNS1_3gpuE0ELNS1_3repE0EEENS1_30default_config_static_selectorELNS0_4arch9wavefront6targetE0EEEvT1_.has_dyn_sized_stack, 0
	.set _ZN7rocprim17ROCPRIM_400000_NS6detail17trampoline_kernelINS0_14default_configENS1_25partition_config_selectorILNS1_17partition_subalgoE6EtNS0_10empty_typeEbEEZZNS1_14partition_implILS5_6ELb0ES3_mN6thrust23THRUST_200600_302600_NS6detail15normal_iteratorINSA_10device_ptrItEEEEPS6_SG_NS0_5tupleIJSF_S6_EEENSH_IJSG_SG_EEES6_PlJNSB_9not_fun_tI7is_evenItEEEEEE10hipError_tPvRmT3_T4_T5_T6_T7_T9_mT8_P12ihipStream_tbDpT10_ENKUlT_T0_E_clISt17integral_constantIbLb0EES18_EEDaS13_S14_EUlS13_E_NS1_11comp_targetILNS1_3genE0ELNS1_11target_archE4294967295ELNS1_3gpuE0ELNS1_3repE0EEENS1_30default_config_static_selectorELNS0_4arch9wavefront6targetE0EEEvT1_.has_recursion, 0
	.set _ZN7rocprim17ROCPRIM_400000_NS6detail17trampoline_kernelINS0_14default_configENS1_25partition_config_selectorILNS1_17partition_subalgoE6EtNS0_10empty_typeEbEEZZNS1_14partition_implILS5_6ELb0ES3_mN6thrust23THRUST_200600_302600_NS6detail15normal_iteratorINSA_10device_ptrItEEEEPS6_SG_NS0_5tupleIJSF_S6_EEENSH_IJSG_SG_EEES6_PlJNSB_9not_fun_tI7is_evenItEEEEEE10hipError_tPvRmT3_T4_T5_T6_T7_T9_mT8_P12ihipStream_tbDpT10_ENKUlT_T0_E_clISt17integral_constantIbLb0EES18_EEDaS13_S14_EUlS13_E_NS1_11comp_targetILNS1_3genE0ELNS1_11target_archE4294967295ELNS1_3gpuE0ELNS1_3repE0EEENS1_30default_config_static_selectorELNS0_4arch9wavefront6targetE0EEEvT1_.has_indirect_call, 0
	.section	.AMDGPU.csdata,"",@progbits
; Kernel info:
; codeLenInByte = 0
; TotalNumSgprs: 0
; NumVgprs: 0
; ScratchSize: 0
; MemoryBound: 0
; FloatMode: 240
; IeeeMode: 1
; LDSByteSize: 0 bytes/workgroup (compile time only)
; SGPRBlocks: 0
; VGPRBlocks: 0
; NumSGPRsForWavesPerEU: 1
; NumVGPRsForWavesPerEU: 1
; Occupancy: 16
; WaveLimiterHint : 0
; COMPUTE_PGM_RSRC2:SCRATCH_EN: 0
; COMPUTE_PGM_RSRC2:USER_SGPR: 2
; COMPUTE_PGM_RSRC2:TRAP_HANDLER: 0
; COMPUTE_PGM_RSRC2:TGID_X_EN: 1
; COMPUTE_PGM_RSRC2:TGID_Y_EN: 0
; COMPUTE_PGM_RSRC2:TGID_Z_EN: 0
; COMPUTE_PGM_RSRC2:TIDIG_COMP_CNT: 0
	.section	.text._ZN7rocprim17ROCPRIM_400000_NS6detail17trampoline_kernelINS0_14default_configENS1_25partition_config_selectorILNS1_17partition_subalgoE6EtNS0_10empty_typeEbEEZZNS1_14partition_implILS5_6ELb0ES3_mN6thrust23THRUST_200600_302600_NS6detail15normal_iteratorINSA_10device_ptrItEEEEPS6_SG_NS0_5tupleIJSF_S6_EEENSH_IJSG_SG_EEES6_PlJNSB_9not_fun_tI7is_evenItEEEEEE10hipError_tPvRmT3_T4_T5_T6_T7_T9_mT8_P12ihipStream_tbDpT10_ENKUlT_T0_E_clISt17integral_constantIbLb0EES18_EEDaS13_S14_EUlS13_E_NS1_11comp_targetILNS1_3genE5ELNS1_11target_archE942ELNS1_3gpuE9ELNS1_3repE0EEENS1_30default_config_static_selectorELNS0_4arch9wavefront6targetE0EEEvT1_,"axG",@progbits,_ZN7rocprim17ROCPRIM_400000_NS6detail17trampoline_kernelINS0_14default_configENS1_25partition_config_selectorILNS1_17partition_subalgoE6EtNS0_10empty_typeEbEEZZNS1_14partition_implILS5_6ELb0ES3_mN6thrust23THRUST_200600_302600_NS6detail15normal_iteratorINSA_10device_ptrItEEEEPS6_SG_NS0_5tupleIJSF_S6_EEENSH_IJSG_SG_EEES6_PlJNSB_9not_fun_tI7is_evenItEEEEEE10hipError_tPvRmT3_T4_T5_T6_T7_T9_mT8_P12ihipStream_tbDpT10_ENKUlT_T0_E_clISt17integral_constantIbLb0EES18_EEDaS13_S14_EUlS13_E_NS1_11comp_targetILNS1_3genE5ELNS1_11target_archE942ELNS1_3gpuE9ELNS1_3repE0EEENS1_30default_config_static_selectorELNS0_4arch9wavefront6targetE0EEEvT1_,comdat
	.protected	_ZN7rocprim17ROCPRIM_400000_NS6detail17trampoline_kernelINS0_14default_configENS1_25partition_config_selectorILNS1_17partition_subalgoE6EtNS0_10empty_typeEbEEZZNS1_14partition_implILS5_6ELb0ES3_mN6thrust23THRUST_200600_302600_NS6detail15normal_iteratorINSA_10device_ptrItEEEEPS6_SG_NS0_5tupleIJSF_S6_EEENSH_IJSG_SG_EEES6_PlJNSB_9not_fun_tI7is_evenItEEEEEE10hipError_tPvRmT3_T4_T5_T6_T7_T9_mT8_P12ihipStream_tbDpT10_ENKUlT_T0_E_clISt17integral_constantIbLb0EES18_EEDaS13_S14_EUlS13_E_NS1_11comp_targetILNS1_3genE5ELNS1_11target_archE942ELNS1_3gpuE9ELNS1_3repE0EEENS1_30default_config_static_selectorELNS0_4arch9wavefront6targetE0EEEvT1_ ; -- Begin function _ZN7rocprim17ROCPRIM_400000_NS6detail17trampoline_kernelINS0_14default_configENS1_25partition_config_selectorILNS1_17partition_subalgoE6EtNS0_10empty_typeEbEEZZNS1_14partition_implILS5_6ELb0ES3_mN6thrust23THRUST_200600_302600_NS6detail15normal_iteratorINSA_10device_ptrItEEEEPS6_SG_NS0_5tupleIJSF_S6_EEENSH_IJSG_SG_EEES6_PlJNSB_9not_fun_tI7is_evenItEEEEEE10hipError_tPvRmT3_T4_T5_T6_T7_T9_mT8_P12ihipStream_tbDpT10_ENKUlT_T0_E_clISt17integral_constantIbLb0EES18_EEDaS13_S14_EUlS13_E_NS1_11comp_targetILNS1_3genE5ELNS1_11target_archE942ELNS1_3gpuE9ELNS1_3repE0EEENS1_30default_config_static_selectorELNS0_4arch9wavefront6targetE0EEEvT1_
	.globl	_ZN7rocprim17ROCPRIM_400000_NS6detail17trampoline_kernelINS0_14default_configENS1_25partition_config_selectorILNS1_17partition_subalgoE6EtNS0_10empty_typeEbEEZZNS1_14partition_implILS5_6ELb0ES3_mN6thrust23THRUST_200600_302600_NS6detail15normal_iteratorINSA_10device_ptrItEEEEPS6_SG_NS0_5tupleIJSF_S6_EEENSH_IJSG_SG_EEES6_PlJNSB_9not_fun_tI7is_evenItEEEEEE10hipError_tPvRmT3_T4_T5_T6_T7_T9_mT8_P12ihipStream_tbDpT10_ENKUlT_T0_E_clISt17integral_constantIbLb0EES18_EEDaS13_S14_EUlS13_E_NS1_11comp_targetILNS1_3genE5ELNS1_11target_archE942ELNS1_3gpuE9ELNS1_3repE0EEENS1_30default_config_static_selectorELNS0_4arch9wavefront6targetE0EEEvT1_
	.p2align	8
	.type	_ZN7rocprim17ROCPRIM_400000_NS6detail17trampoline_kernelINS0_14default_configENS1_25partition_config_selectorILNS1_17partition_subalgoE6EtNS0_10empty_typeEbEEZZNS1_14partition_implILS5_6ELb0ES3_mN6thrust23THRUST_200600_302600_NS6detail15normal_iteratorINSA_10device_ptrItEEEEPS6_SG_NS0_5tupleIJSF_S6_EEENSH_IJSG_SG_EEES6_PlJNSB_9not_fun_tI7is_evenItEEEEEE10hipError_tPvRmT3_T4_T5_T6_T7_T9_mT8_P12ihipStream_tbDpT10_ENKUlT_T0_E_clISt17integral_constantIbLb0EES18_EEDaS13_S14_EUlS13_E_NS1_11comp_targetILNS1_3genE5ELNS1_11target_archE942ELNS1_3gpuE9ELNS1_3repE0EEENS1_30default_config_static_selectorELNS0_4arch9wavefront6targetE0EEEvT1_,@function
_ZN7rocprim17ROCPRIM_400000_NS6detail17trampoline_kernelINS0_14default_configENS1_25partition_config_selectorILNS1_17partition_subalgoE6EtNS0_10empty_typeEbEEZZNS1_14partition_implILS5_6ELb0ES3_mN6thrust23THRUST_200600_302600_NS6detail15normal_iteratorINSA_10device_ptrItEEEEPS6_SG_NS0_5tupleIJSF_S6_EEENSH_IJSG_SG_EEES6_PlJNSB_9not_fun_tI7is_evenItEEEEEE10hipError_tPvRmT3_T4_T5_T6_T7_T9_mT8_P12ihipStream_tbDpT10_ENKUlT_T0_E_clISt17integral_constantIbLb0EES18_EEDaS13_S14_EUlS13_E_NS1_11comp_targetILNS1_3genE5ELNS1_11target_archE942ELNS1_3gpuE9ELNS1_3repE0EEENS1_30default_config_static_selectorELNS0_4arch9wavefront6targetE0EEEvT1_: ; @_ZN7rocprim17ROCPRIM_400000_NS6detail17trampoline_kernelINS0_14default_configENS1_25partition_config_selectorILNS1_17partition_subalgoE6EtNS0_10empty_typeEbEEZZNS1_14partition_implILS5_6ELb0ES3_mN6thrust23THRUST_200600_302600_NS6detail15normal_iteratorINSA_10device_ptrItEEEEPS6_SG_NS0_5tupleIJSF_S6_EEENSH_IJSG_SG_EEES6_PlJNSB_9not_fun_tI7is_evenItEEEEEE10hipError_tPvRmT3_T4_T5_T6_T7_T9_mT8_P12ihipStream_tbDpT10_ENKUlT_T0_E_clISt17integral_constantIbLb0EES18_EEDaS13_S14_EUlS13_E_NS1_11comp_targetILNS1_3genE5ELNS1_11target_archE942ELNS1_3gpuE9ELNS1_3repE0EEENS1_30default_config_static_selectorELNS0_4arch9wavefront6targetE0EEEvT1_
; %bb.0:
	.section	.rodata,"a",@progbits
	.p2align	6, 0x0
	.amdhsa_kernel _ZN7rocprim17ROCPRIM_400000_NS6detail17trampoline_kernelINS0_14default_configENS1_25partition_config_selectorILNS1_17partition_subalgoE6EtNS0_10empty_typeEbEEZZNS1_14partition_implILS5_6ELb0ES3_mN6thrust23THRUST_200600_302600_NS6detail15normal_iteratorINSA_10device_ptrItEEEEPS6_SG_NS0_5tupleIJSF_S6_EEENSH_IJSG_SG_EEES6_PlJNSB_9not_fun_tI7is_evenItEEEEEE10hipError_tPvRmT3_T4_T5_T6_T7_T9_mT8_P12ihipStream_tbDpT10_ENKUlT_T0_E_clISt17integral_constantIbLb0EES18_EEDaS13_S14_EUlS13_E_NS1_11comp_targetILNS1_3genE5ELNS1_11target_archE942ELNS1_3gpuE9ELNS1_3repE0EEENS1_30default_config_static_selectorELNS0_4arch9wavefront6targetE0EEEvT1_
		.amdhsa_group_segment_fixed_size 0
		.amdhsa_private_segment_fixed_size 0
		.amdhsa_kernarg_size 112
		.amdhsa_user_sgpr_count 2
		.amdhsa_user_sgpr_dispatch_ptr 0
		.amdhsa_user_sgpr_queue_ptr 0
		.amdhsa_user_sgpr_kernarg_segment_ptr 1
		.amdhsa_user_sgpr_dispatch_id 0
		.amdhsa_user_sgpr_private_segment_size 0
		.amdhsa_wavefront_size32 1
		.amdhsa_uses_dynamic_stack 0
		.amdhsa_enable_private_segment 0
		.amdhsa_system_sgpr_workgroup_id_x 1
		.amdhsa_system_sgpr_workgroup_id_y 0
		.amdhsa_system_sgpr_workgroup_id_z 0
		.amdhsa_system_sgpr_workgroup_info 0
		.amdhsa_system_vgpr_workitem_id 0
		.amdhsa_next_free_vgpr 1
		.amdhsa_next_free_sgpr 1
		.amdhsa_reserve_vcc 0
		.amdhsa_float_round_mode_32 0
		.amdhsa_float_round_mode_16_64 0
		.amdhsa_float_denorm_mode_32 3
		.amdhsa_float_denorm_mode_16_64 3
		.amdhsa_fp16_overflow 0
		.amdhsa_workgroup_processor_mode 1
		.amdhsa_memory_ordered 1
		.amdhsa_forward_progress 1
		.amdhsa_inst_pref_size 0
		.amdhsa_round_robin_scheduling 0
		.amdhsa_exception_fp_ieee_invalid_op 0
		.amdhsa_exception_fp_denorm_src 0
		.amdhsa_exception_fp_ieee_div_zero 0
		.amdhsa_exception_fp_ieee_overflow 0
		.amdhsa_exception_fp_ieee_underflow 0
		.amdhsa_exception_fp_ieee_inexact 0
		.amdhsa_exception_int_div_zero 0
	.end_amdhsa_kernel
	.section	.text._ZN7rocprim17ROCPRIM_400000_NS6detail17trampoline_kernelINS0_14default_configENS1_25partition_config_selectorILNS1_17partition_subalgoE6EtNS0_10empty_typeEbEEZZNS1_14partition_implILS5_6ELb0ES3_mN6thrust23THRUST_200600_302600_NS6detail15normal_iteratorINSA_10device_ptrItEEEEPS6_SG_NS0_5tupleIJSF_S6_EEENSH_IJSG_SG_EEES6_PlJNSB_9not_fun_tI7is_evenItEEEEEE10hipError_tPvRmT3_T4_T5_T6_T7_T9_mT8_P12ihipStream_tbDpT10_ENKUlT_T0_E_clISt17integral_constantIbLb0EES18_EEDaS13_S14_EUlS13_E_NS1_11comp_targetILNS1_3genE5ELNS1_11target_archE942ELNS1_3gpuE9ELNS1_3repE0EEENS1_30default_config_static_selectorELNS0_4arch9wavefront6targetE0EEEvT1_,"axG",@progbits,_ZN7rocprim17ROCPRIM_400000_NS6detail17trampoline_kernelINS0_14default_configENS1_25partition_config_selectorILNS1_17partition_subalgoE6EtNS0_10empty_typeEbEEZZNS1_14partition_implILS5_6ELb0ES3_mN6thrust23THRUST_200600_302600_NS6detail15normal_iteratorINSA_10device_ptrItEEEEPS6_SG_NS0_5tupleIJSF_S6_EEENSH_IJSG_SG_EEES6_PlJNSB_9not_fun_tI7is_evenItEEEEEE10hipError_tPvRmT3_T4_T5_T6_T7_T9_mT8_P12ihipStream_tbDpT10_ENKUlT_T0_E_clISt17integral_constantIbLb0EES18_EEDaS13_S14_EUlS13_E_NS1_11comp_targetILNS1_3genE5ELNS1_11target_archE942ELNS1_3gpuE9ELNS1_3repE0EEENS1_30default_config_static_selectorELNS0_4arch9wavefront6targetE0EEEvT1_,comdat
.Lfunc_end662:
	.size	_ZN7rocprim17ROCPRIM_400000_NS6detail17trampoline_kernelINS0_14default_configENS1_25partition_config_selectorILNS1_17partition_subalgoE6EtNS0_10empty_typeEbEEZZNS1_14partition_implILS5_6ELb0ES3_mN6thrust23THRUST_200600_302600_NS6detail15normal_iteratorINSA_10device_ptrItEEEEPS6_SG_NS0_5tupleIJSF_S6_EEENSH_IJSG_SG_EEES6_PlJNSB_9not_fun_tI7is_evenItEEEEEE10hipError_tPvRmT3_T4_T5_T6_T7_T9_mT8_P12ihipStream_tbDpT10_ENKUlT_T0_E_clISt17integral_constantIbLb0EES18_EEDaS13_S14_EUlS13_E_NS1_11comp_targetILNS1_3genE5ELNS1_11target_archE942ELNS1_3gpuE9ELNS1_3repE0EEENS1_30default_config_static_selectorELNS0_4arch9wavefront6targetE0EEEvT1_, .Lfunc_end662-_ZN7rocprim17ROCPRIM_400000_NS6detail17trampoline_kernelINS0_14default_configENS1_25partition_config_selectorILNS1_17partition_subalgoE6EtNS0_10empty_typeEbEEZZNS1_14partition_implILS5_6ELb0ES3_mN6thrust23THRUST_200600_302600_NS6detail15normal_iteratorINSA_10device_ptrItEEEEPS6_SG_NS0_5tupleIJSF_S6_EEENSH_IJSG_SG_EEES6_PlJNSB_9not_fun_tI7is_evenItEEEEEE10hipError_tPvRmT3_T4_T5_T6_T7_T9_mT8_P12ihipStream_tbDpT10_ENKUlT_T0_E_clISt17integral_constantIbLb0EES18_EEDaS13_S14_EUlS13_E_NS1_11comp_targetILNS1_3genE5ELNS1_11target_archE942ELNS1_3gpuE9ELNS1_3repE0EEENS1_30default_config_static_selectorELNS0_4arch9wavefront6targetE0EEEvT1_
                                        ; -- End function
	.set _ZN7rocprim17ROCPRIM_400000_NS6detail17trampoline_kernelINS0_14default_configENS1_25partition_config_selectorILNS1_17partition_subalgoE6EtNS0_10empty_typeEbEEZZNS1_14partition_implILS5_6ELb0ES3_mN6thrust23THRUST_200600_302600_NS6detail15normal_iteratorINSA_10device_ptrItEEEEPS6_SG_NS0_5tupleIJSF_S6_EEENSH_IJSG_SG_EEES6_PlJNSB_9not_fun_tI7is_evenItEEEEEE10hipError_tPvRmT3_T4_T5_T6_T7_T9_mT8_P12ihipStream_tbDpT10_ENKUlT_T0_E_clISt17integral_constantIbLb0EES18_EEDaS13_S14_EUlS13_E_NS1_11comp_targetILNS1_3genE5ELNS1_11target_archE942ELNS1_3gpuE9ELNS1_3repE0EEENS1_30default_config_static_selectorELNS0_4arch9wavefront6targetE0EEEvT1_.num_vgpr, 0
	.set _ZN7rocprim17ROCPRIM_400000_NS6detail17trampoline_kernelINS0_14default_configENS1_25partition_config_selectorILNS1_17partition_subalgoE6EtNS0_10empty_typeEbEEZZNS1_14partition_implILS5_6ELb0ES3_mN6thrust23THRUST_200600_302600_NS6detail15normal_iteratorINSA_10device_ptrItEEEEPS6_SG_NS0_5tupleIJSF_S6_EEENSH_IJSG_SG_EEES6_PlJNSB_9not_fun_tI7is_evenItEEEEEE10hipError_tPvRmT3_T4_T5_T6_T7_T9_mT8_P12ihipStream_tbDpT10_ENKUlT_T0_E_clISt17integral_constantIbLb0EES18_EEDaS13_S14_EUlS13_E_NS1_11comp_targetILNS1_3genE5ELNS1_11target_archE942ELNS1_3gpuE9ELNS1_3repE0EEENS1_30default_config_static_selectorELNS0_4arch9wavefront6targetE0EEEvT1_.num_agpr, 0
	.set _ZN7rocprim17ROCPRIM_400000_NS6detail17trampoline_kernelINS0_14default_configENS1_25partition_config_selectorILNS1_17partition_subalgoE6EtNS0_10empty_typeEbEEZZNS1_14partition_implILS5_6ELb0ES3_mN6thrust23THRUST_200600_302600_NS6detail15normal_iteratorINSA_10device_ptrItEEEEPS6_SG_NS0_5tupleIJSF_S6_EEENSH_IJSG_SG_EEES6_PlJNSB_9not_fun_tI7is_evenItEEEEEE10hipError_tPvRmT3_T4_T5_T6_T7_T9_mT8_P12ihipStream_tbDpT10_ENKUlT_T0_E_clISt17integral_constantIbLb0EES18_EEDaS13_S14_EUlS13_E_NS1_11comp_targetILNS1_3genE5ELNS1_11target_archE942ELNS1_3gpuE9ELNS1_3repE0EEENS1_30default_config_static_selectorELNS0_4arch9wavefront6targetE0EEEvT1_.numbered_sgpr, 0
	.set _ZN7rocprim17ROCPRIM_400000_NS6detail17trampoline_kernelINS0_14default_configENS1_25partition_config_selectorILNS1_17partition_subalgoE6EtNS0_10empty_typeEbEEZZNS1_14partition_implILS5_6ELb0ES3_mN6thrust23THRUST_200600_302600_NS6detail15normal_iteratorINSA_10device_ptrItEEEEPS6_SG_NS0_5tupleIJSF_S6_EEENSH_IJSG_SG_EEES6_PlJNSB_9not_fun_tI7is_evenItEEEEEE10hipError_tPvRmT3_T4_T5_T6_T7_T9_mT8_P12ihipStream_tbDpT10_ENKUlT_T0_E_clISt17integral_constantIbLb0EES18_EEDaS13_S14_EUlS13_E_NS1_11comp_targetILNS1_3genE5ELNS1_11target_archE942ELNS1_3gpuE9ELNS1_3repE0EEENS1_30default_config_static_selectorELNS0_4arch9wavefront6targetE0EEEvT1_.num_named_barrier, 0
	.set _ZN7rocprim17ROCPRIM_400000_NS6detail17trampoline_kernelINS0_14default_configENS1_25partition_config_selectorILNS1_17partition_subalgoE6EtNS0_10empty_typeEbEEZZNS1_14partition_implILS5_6ELb0ES3_mN6thrust23THRUST_200600_302600_NS6detail15normal_iteratorINSA_10device_ptrItEEEEPS6_SG_NS0_5tupleIJSF_S6_EEENSH_IJSG_SG_EEES6_PlJNSB_9not_fun_tI7is_evenItEEEEEE10hipError_tPvRmT3_T4_T5_T6_T7_T9_mT8_P12ihipStream_tbDpT10_ENKUlT_T0_E_clISt17integral_constantIbLb0EES18_EEDaS13_S14_EUlS13_E_NS1_11comp_targetILNS1_3genE5ELNS1_11target_archE942ELNS1_3gpuE9ELNS1_3repE0EEENS1_30default_config_static_selectorELNS0_4arch9wavefront6targetE0EEEvT1_.private_seg_size, 0
	.set _ZN7rocprim17ROCPRIM_400000_NS6detail17trampoline_kernelINS0_14default_configENS1_25partition_config_selectorILNS1_17partition_subalgoE6EtNS0_10empty_typeEbEEZZNS1_14partition_implILS5_6ELb0ES3_mN6thrust23THRUST_200600_302600_NS6detail15normal_iteratorINSA_10device_ptrItEEEEPS6_SG_NS0_5tupleIJSF_S6_EEENSH_IJSG_SG_EEES6_PlJNSB_9not_fun_tI7is_evenItEEEEEE10hipError_tPvRmT3_T4_T5_T6_T7_T9_mT8_P12ihipStream_tbDpT10_ENKUlT_T0_E_clISt17integral_constantIbLb0EES18_EEDaS13_S14_EUlS13_E_NS1_11comp_targetILNS1_3genE5ELNS1_11target_archE942ELNS1_3gpuE9ELNS1_3repE0EEENS1_30default_config_static_selectorELNS0_4arch9wavefront6targetE0EEEvT1_.uses_vcc, 0
	.set _ZN7rocprim17ROCPRIM_400000_NS6detail17trampoline_kernelINS0_14default_configENS1_25partition_config_selectorILNS1_17partition_subalgoE6EtNS0_10empty_typeEbEEZZNS1_14partition_implILS5_6ELb0ES3_mN6thrust23THRUST_200600_302600_NS6detail15normal_iteratorINSA_10device_ptrItEEEEPS6_SG_NS0_5tupleIJSF_S6_EEENSH_IJSG_SG_EEES6_PlJNSB_9not_fun_tI7is_evenItEEEEEE10hipError_tPvRmT3_T4_T5_T6_T7_T9_mT8_P12ihipStream_tbDpT10_ENKUlT_T0_E_clISt17integral_constantIbLb0EES18_EEDaS13_S14_EUlS13_E_NS1_11comp_targetILNS1_3genE5ELNS1_11target_archE942ELNS1_3gpuE9ELNS1_3repE0EEENS1_30default_config_static_selectorELNS0_4arch9wavefront6targetE0EEEvT1_.uses_flat_scratch, 0
	.set _ZN7rocprim17ROCPRIM_400000_NS6detail17trampoline_kernelINS0_14default_configENS1_25partition_config_selectorILNS1_17partition_subalgoE6EtNS0_10empty_typeEbEEZZNS1_14partition_implILS5_6ELb0ES3_mN6thrust23THRUST_200600_302600_NS6detail15normal_iteratorINSA_10device_ptrItEEEEPS6_SG_NS0_5tupleIJSF_S6_EEENSH_IJSG_SG_EEES6_PlJNSB_9not_fun_tI7is_evenItEEEEEE10hipError_tPvRmT3_T4_T5_T6_T7_T9_mT8_P12ihipStream_tbDpT10_ENKUlT_T0_E_clISt17integral_constantIbLb0EES18_EEDaS13_S14_EUlS13_E_NS1_11comp_targetILNS1_3genE5ELNS1_11target_archE942ELNS1_3gpuE9ELNS1_3repE0EEENS1_30default_config_static_selectorELNS0_4arch9wavefront6targetE0EEEvT1_.has_dyn_sized_stack, 0
	.set _ZN7rocprim17ROCPRIM_400000_NS6detail17trampoline_kernelINS0_14default_configENS1_25partition_config_selectorILNS1_17partition_subalgoE6EtNS0_10empty_typeEbEEZZNS1_14partition_implILS5_6ELb0ES3_mN6thrust23THRUST_200600_302600_NS6detail15normal_iteratorINSA_10device_ptrItEEEEPS6_SG_NS0_5tupleIJSF_S6_EEENSH_IJSG_SG_EEES6_PlJNSB_9not_fun_tI7is_evenItEEEEEE10hipError_tPvRmT3_T4_T5_T6_T7_T9_mT8_P12ihipStream_tbDpT10_ENKUlT_T0_E_clISt17integral_constantIbLb0EES18_EEDaS13_S14_EUlS13_E_NS1_11comp_targetILNS1_3genE5ELNS1_11target_archE942ELNS1_3gpuE9ELNS1_3repE0EEENS1_30default_config_static_selectorELNS0_4arch9wavefront6targetE0EEEvT1_.has_recursion, 0
	.set _ZN7rocprim17ROCPRIM_400000_NS6detail17trampoline_kernelINS0_14default_configENS1_25partition_config_selectorILNS1_17partition_subalgoE6EtNS0_10empty_typeEbEEZZNS1_14partition_implILS5_6ELb0ES3_mN6thrust23THRUST_200600_302600_NS6detail15normal_iteratorINSA_10device_ptrItEEEEPS6_SG_NS0_5tupleIJSF_S6_EEENSH_IJSG_SG_EEES6_PlJNSB_9not_fun_tI7is_evenItEEEEEE10hipError_tPvRmT3_T4_T5_T6_T7_T9_mT8_P12ihipStream_tbDpT10_ENKUlT_T0_E_clISt17integral_constantIbLb0EES18_EEDaS13_S14_EUlS13_E_NS1_11comp_targetILNS1_3genE5ELNS1_11target_archE942ELNS1_3gpuE9ELNS1_3repE0EEENS1_30default_config_static_selectorELNS0_4arch9wavefront6targetE0EEEvT1_.has_indirect_call, 0
	.section	.AMDGPU.csdata,"",@progbits
; Kernel info:
; codeLenInByte = 0
; TotalNumSgprs: 0
; NumVgprs: 0
; ScratchSize: 0
; MemoryBound: 0
; FloatMode: 240
; IeeeMode: 1
; LDSByteSize: 0 bytes/workgroup (compile time only)
; SGPRBlocks: 0
; VGPRBlocks: 0
; NumSGPRsForWavesPerEU: 1
; NumVGPRsForWavesPerEU: 1
; Occupancy: 16
; WaveLimiterHint : 0
; COMPUTE_PGM_RSRC2:SCRATCH_EN: 0
; COMPUTE_PGM_RSRC2:USER_SGPR: 2
; COMPUTE_PGM_RSRC2:TRAP_HANDLER: 0
; COMPUTE_PGM_RSRC2:TGID_X_EN: 1
; COMPUTE_PGM_RSRC2:TGID_Y_EN: 0
; COMPUTE_PGM_RSRC2:TGID_Z_EN: 0
; COMPUTE_PGM_RSRC2:TIDIG_COMP_CNT: 0
	.section	.text._ZN7rocprim17ROCPRIM_400000_NS6detail17trampoline_kernelINS0_14default_configENS1_25partition_config_selectorILNS1_17partition_subalgoE6EtNS0_10empty_typeEbEEZZNS1_14partition_implILS5_6ELb0ES3_mN6thrust23THRUST_200600_302600_NS6detail15normal_iteratorINSA_10device_ptrItEEEEPS6_SG_NS0_5tupleIJSF_S6_EEENSH_IJSG_SG_EEES6_PlJNSB_9not_fun_tI7is_evenItEEEEEE10hipError_tPvRmT3_T4_T5_T6_T7_T9_mT8_P12ihipStream_tbDpT10_ENKUlT_T0_E_clISt17integral_constantIbLb0EES18_EEDaS13_S14_EUlS13_E_NS1_11comp_targetILNS1_3genE4ELNS1_11target_archE910ELNS1_3gpuE8ELNS1_3repE0EEENS1_30default_config_static_selectorELNS0_4arch9wavefront6targetE0EEEvT1_,"axG",@progbits,_ZN7rocprim17ROCPRIM_400000_NS6detail17trampoline_kernelINS0_14default_configENS1_25partition_config_selectorILNS1_17partition_subalgoE6EtNS0_10empty_typeEbEEZZNS1_14partition_implILS5_6ELb0ES3_mN6thrust23THRUST_200600_302600_NS6detail15normal_iteratorINSA_10device_ptrItEEEEPS6_SG_NS0_5tupleIJSF_S6_EEENSH_IJSG_SG_EEES6_PlJNSB_9not_fun_tI7is_evenItEEEEEE10hipError_tPvRmT3_T4_T5_T6_T7_T9_mT8_P12ihipStream_tbDpT10_ENKUlT_T0_E_clISt17integral_constantIbLb0EES18_EEDaS13_S14_EUlS13_E_NS1_11comp_targetILNS1_3genE4ELNS1_11target_archE910ELNS1_3gpuE8ELNS1_3repE0EEENS1_30default_config_static_selectorELNS0_4arch9wavefront6targetE0EEEvT1_,comdat
	.protected	_ZN7rocprim17ROCPRIM_400000_NS6detail17trampoline_kernelINS0_14default_configENS1_25partition_config_selectorILNS1_17partition_subalgoE6EtNS0_10empty_typeEbEEZZNS1_14partition_implILS5_6ELb0ES3_mN6thrust23THRUST_200600_302600_NS6detail15normal_iteratorINSA_10device_ptrItEEEEPS6_SG_NS0_5tupleIJSF_S6_EEENSH_IJSG_SG_EEES6_PlJNSB_9not_fun_tI7is_evenItEEEEEE10hipError_tPvRmT3_T4_T5_T6_T7_T9_mT8_P12ihipStream_tbDpT10_ENKUlT_T0_E_clISt17integral_constantIbLb0EES18_EEDaS13_S14_EUlS13_E_NS1_11comp_targetILNS1_3genE4ELNS1_11target_archE910ELNS1_3gpuE8ELNS1_3repE0EEENS1_30default_config_static_selectorELNS0_4arch9wavefront6targetE0EEEvT1_ ; -- Begin function _ZN7rocprim17ROCPRIM_400000_NS6detail17trampoline_kernelINS0_14default_configENS1_25partition_config_selectorILNS1_17partition_subalgoE6EtNS0_10empty_typeEbEEZZNS1_14partition_implILS5_6ELb0ES3_mN6thrust23THRUST_200600_302600_NS6detail15normal_iteratorINSA_10device_ptrItEEEEPS6_SG_NS0_5tupleIJSF_S6_EEENSH_IJSG_SG_EEES6_PlJNSB_9not_fun_tI7is_evenItEEEEEE10hipError_tPvRmT3_T4_T5_T6_T7_T9_mT8_P12ihipStream_tbDpT10_ENKUlT_T0_E_clISt17integral_constantIbLb0EES18_EEDaS13_S14_EUlS13_E_NS1_11comp_targetILNS1_3genE4ELNS1_11target_archE910ELNS1_3gpuE8ELNS1_3repE0EEENS1_30default_config_static_selectorELNS0_4arch9wavefront6targetE0EEEvT1_
	.globl	_ZN7rocprim17ROCPRIM_400000_NS6detail17trampoline_kernelINS0_14default_configENS1_25partition_config_selectorILNS1_17partition_subalgoE6EtNS0_10empty_typeEbEEZZNS1_14partition_implILS5_6ELb0ES3_mN6thrust23THRUST_200600_302600_NS6detail15normal_iteratorINSA_10device_ptrItEEEEPS6_SG_NS0_5tupleIJSF_S6_EEENSH_IJSG_SG_EEES6_PlJNSB_9not_fun_tI7is_evenItEEEEEE10hipError_tPvRmT3_T4_T5_T6_T7_T9_mT8_P12ihipStream_tbDpT10_ENKUlT_T0_E_clISt17integral_constantIbLb0EES18_EEDaS13_S14_EUlS13_E_NS1_11comp_targetILNS1_3genE4ELNS1_11target_archE910ELNS1_3gpuE8ELNS1_3repE0EEENS1_30default_config_static_selectorELNS0_4arch9wavefront6targetE0EEEvT1_
	.p2align	8
	.type	_ZN7rocprim17ROCPRIM_400000_NS6detail17trampoline_kernelINS0_14default_configENS1_25partition_config_selectorILNS1_17partition_subalgoE6EtNS0_10empty_typeEbEEZZNS1_14partition_implILS5_6ELb0ES3_mN6thrust23THRUST_200600_302600_NS6detail15normal_iteratorINSA_10device_ptrItEEEEPS6_SG_NS0_5tupleIJSF_S6_EEENSH_IJSG_SG_EEES6_PlJNSB_9not_fun_tI7is_evenItEEEEEE10hipError_tPvRmT3_T4_T5_T6_T7_T9_mT8_P12ihipStream_tbDpT10_ENKUlT_T0_E_clISt17integral_constantIbLb0EES18_EEDaS13_S14_EUlS13_E_NS1_11comp_targetILNS1_3genE4ELNS1_11target_archE910ELNS1_3gpuE8ELNS1_3repE0EEENS1_30default_config_static_selectorELNS0_4arch9wavefront6targetE0EEEvT1_,@function
_ZN7rocprim17ROCPRIM_400000_NS6detail17trampoline_kernelINS0_14default_configENS1_25partition_config_selectorILNS1_17partition_subalgoE6EtNS0_10empty_typeEbEEZZNS1_14partition_implILS5_6ELb0ES3_mN6thrust23THRUST_200600_302600_NS6detail15normal_iteratorINSA_10device_ptrItEEEEPS6_SG_NS0_5tupleIJSF_S6_EEENSH_IJSG_SG_EEES6_PlJNSB_9not_fun_tI7is_evenItEEEEEE10hipError_tPvRmT3_T4_T5_T6_T7_T9_mT8_P12ihipStream_tbDpT10_ENKUlT_T0_E_clISt17integral_constantIbLb0EES18_EEDaS13_S14_EUlS13_E_NS1_11comp_targetILNS1_3genE4ELNS1_11target_archE910ELNS1_3gpuE8ELNS1_3repE0EEENS1_30default_config_static_selectorELNS0_4arch9wavefront6targetE0EEEvT1_: ; @_ZN7rocprim17ROCPRIM_400000_NS6detail17trampoline_kernelINS0_14default_configENS1_25partition_config_selectorILNS1_17partition_subalgoE6EtNS0_10empty_typeEbEEZZNS1_14partition_implILS5_6ELb0ES3_mN6thrust23THRUST_200600_302600_NS6detail15normal_iteratorINSA_10device_ptrItEEEEPS6_SG_NS0_5tupleIJSF_S6_EEENSH_IJSG_SG_EEES6_PlJNSB_9not_fun_tI7is_evenItEEEEEE10hipError_tPvRmT3_T4_T5_T6_T7_T9_mT8_P12ihipStream_tbDpT10_ENKUlT_T0_E_clISt17integral_constantIbLb0EES18_EEDaS13_S14_EUlS13_E_NS1_11comp_targetILNS1_3genE4ELNS1_11target_archE910ELNS1_3gpuE8ELNS1_3repE0EEENS1_30default_config_static_selectorELNS0_4arch9wavefront6targetE0EEEvT1_
; %bb.0:
	.section	.rodata,"a",@progbits
	.p2align	6, 0x0
	.amdhsa_kernel _ZN7rocprim17ROCPRIM_400000_NS6detail17trampoline_kernelINS0_14default_configENS1_25partition_config_selectorILNS1_17partition_subalgoE6EtNS0_10empty_typeEbEEZZNS1_14partition_implILS5_6ELb0ES3_mN6thrust23THRUST_200600_302600_NS6detail15normal_iteratorINSA_10device_ptrItEEEEPS6_SG_NS0_5tupleIJSF_S6_EEENSH_IJSG_SG_EEES6_PlJNSB_9not_fun_tI7is_evenItEEEEEE10hipError_tPvRmT3_T4_T5_T6_T7_T9_mT8_P12ihipStream_tbDpT10_ENKUlT_T0_E_clISt17integral_constantIbLb0EES18_EEDaS13_S14_EUlS13_E_NS1_11comp_targetILNS1_3genE4ELNS1_11target_archE910ELNS1_3gpuE8ELNS1_3repE0EEENS1_30default_config_static_selectorELNS0_4arch9wavefront6targetE0EEEvT1_
		.amdhsa_group_segment_fixed_size 0
		.amdhsa_private_segment_fixed_size 0
		.amdhsa_kernarg_size 112
		.amdhsa_user_sgpr_count 2
		.amdhsa_user_sgpr_dispatch_ptr 0
		.amdhsa_user_sgpr_queue_ptr 0
		.amdhsa_user_sgpr_kernarg_segment_ptr 1
		.amdhsa_user_sgpr_dispatch_id 0
		.amdhsa_user_sgpr_private_segment_size 0
		.amdhsa_wavefront_size32 1
		.amdhsa_uses_dynamic_stack 0
		.amdhsa_enable_private_segment 0
		.amdhsa_system_sgpr_workgroup_id_x 1
		.amdhsa_system_sgpr_workgroup_id_y 0
		.amdhsa_system_sgpr_workgroup_id_z 0
		.amdhsa_system_sgpr_workgroup_info 0
		.amdhsa_system_vgpr_workitem_id 0
		.amdhsa_next_free_vgpr 1
		.amdhsa_next_free_sgpr 1
		.amdhsa_reserve_vcc 0
		.amdhsa_float_round_mode_32 0
		.amdhsa_float_round_mode_16_64 0
		.amdhsa_float_denorm_mode_32 3
		.amdhsa_float_denorm_mode_16_64 3
		.amdhsa_fp16_overflow 0
		.amdhsa_workgroup_processor_mode 1
		.amdhsa_memory_ordered 1
		.amdhsa_forward_progress 1
		.amdhsa_inst_pref_size 0
		.amdhsa_round_robin_scheduling 0
		.amdhsa_exception_fp_ieee_invalid_op 0
		.amdhsa_exception_fp_denorm_src 0
		.amdhsa_exception_fp_ieee_div_zero 0
		.amdhsa_exception_fp_ieee_overflow 0
		.amdhsa_exception_fp_ieee_underflow 0
		.amdhsa_exception_fp_ieee_inexact 0
		.amdhsa_exception_int_div_zero 0
	.end_amdhsa_kernel
	.section	.text._ZN7rocprim17ROCPRIM_400000_NS6detail17trampoline_kernelINS0_14default_configENS1_25partition_config_selectorILNS1_17partition_subalgoE6EtNS0_10empty_typeEbEEZZNS1_14partition_implILS5_6ELb0ES3_mN6thrust23THRUST_200600_302600_NS6detail15normal_iteratorINSA_10device_ptrItEEEEPS6_SG_NS0_5tupleIJSF_S6_EEENSH_IJSG_SG_EEES6_PlJNSB_9not_fun_tI7is_evenItEEEEEE10hipError_tPvRmT3_T4_T5_T6_T7_T9_mT8_P12ihipStream_tbDpT10_ENKUlT_T0_E_clISt17integral_constantIbLb0EES18_EEDaS13_S14_EUlS13_E_NS1_11comp_targetILNS1_3genE4ELNS1_11target_archE910ELNS1_3gpuE8ELNS1_3repE0EEENS1_30default_config_static_selectorELNS0_4arch9wavefront6targetE0EEEvT1_,"axG",@progbits,_ZN7rocprim17ROCPRIM_400000_NS6detail17trampoline_kernelINS0_14default_configENS1_25partition_config_selectorILNS1_17partition_subalgoE6EtNS0_10empty_typeEbEEZZNS1_14partition_implILS5_6ELb0ES3_mN6thrust23THRUST_200600_302600_NS6detail15normal_iteratorINSA_10device_ptrItEEEEPS6_SG_NS0_5tupleIJSF_S6_EEENSH_IJSG_SG_EEES6_PlJNSB_9not_fun_tI7is_evenItEEEEEE10hipError_tPvRmT3_T4_T5_T6_T7_T9_mT8_P12ihipStream_tbDpT10_ENKUlT_T0_E_clISt17integral_constantIbLb0EES18_EEDaS13_S14_EUlS13_E_NS1_11comp_targetILNS1_3genE4ELNS1_11target_archE910ELNS1_3gpuE8ELNS1_3repE0EEENS1_30default_config_static_selectorELNS0_4arch9wavefront6targetE0EEEvT1_,comdat
.Lfunc_end663:
	.size	_ZN7rocprim17ROCPRIM_400000_NS6detail17trampoline_kernelINS0_14default_configENS1_25partition_config_selectorILNS1_17partition_subalgoE6EtNS0_10empty_typeEbEEZZNS1_14partition_implILS5_6ELb0ES3_mN6thrust23THRUST_200600_302600_NS6detail15normal_iteratorINSA_10device_ptrItEEEEPS6_SG_NS0_5tupleIJSF_S6_EEENSH_IJSG_SG_EEES6_PlJNSB_9not_fun_tI7is_evenItEEEEEE10hipError_tPvRmT3_T4_T5_T6_T7_T9_mT8_P12ihipStream_tbDpT10_ENKUlT_T0_E_clISt17integral_constantIbLb0EES18_EEDaS13_S14_EUlS13_E_NS1_11comp_targetILNS1_3genE4ELNS1_11target_archE910ELNS1_3gpuE8ELNS1_3repE0EEENS1_30default_config_static_selectorELNS0_4arch9wavefront6targetE0EEEvT1_, .Lfunc_end663-_ZN7rocprim17ROCPRIM_400000_NS6detail17trampoline_kernelINS0_14default_configENS1_25partition_config_selectorILNS1_17partition_subalgoE6EtNS0_10empty_typeEbEEZZNS1_14partition_implILS5_6ELb0ES3_mN6thrust23THRUST_200600_302600_NS6detail15normal_iteratorINSA_10device_ptrItEEEEPS6_SG_NS0_5tupleIJSF_S6_EEENSH_IJSG_SG_EEES6_PlJNSB_9not_fun_tI7is_evenItEEEEEE10hipError_tPvRmT3_T4_T5_T6_T7_T9_mT8_P12ihipStream_tbDpT10_ENKUlT_T0_E_clISt17integral_constantIbLb0EES18_EEDaS13_S14_EUlS13_E_NS1_11comp_targetILNS1_3genE4ELNS1_11target_archE910ELNS1_3gpuE8ELNS1_3repE0EEENS1_30default_config_static_selectorELNS0_4arch9wavefront6targetE0EEEvT1_
                                        ; -- End function
	.set _ZN7rocprim17ROCPRIM_400000_NS6detail17trampoline_kernelINS0_14default_configENS1_25partition_config_selectorILNS1_17partition_subalgoE6EtNS0_10empty_typeEbEEZZNS1_14partition_implILS5_6ELb0ES3_mN6thrust23THRUST_200600_302600_NS6detail15normal_iteratorINSA_10device_ptrItEEEEPS6_SG_NS0_5tupleIJSF_S6_EEENSH_IJSG_SG_EEES6_PlJNSB_9not_fun_tI7is_evenItEEEEEE10hipError_tPvRmT3_T4_T5_T6_T7_T9_mT8_P12ihipStream_tbDpT10_ENKUlT_T0_E_clISt17integral_constantIbLb0EES18_EEDaS13_S14_EUlS13_E_NS1_11comp_targetILNS1_3genE4ELNS1_11target_archE910ELNS1_3gpuE8ELNS1_3repE0EEENS1_30default_config_static_selectorELNS0_4arch9wavefront6targetE0EEEvT1_.num_vgpr, 0
	.set _ZN7rocprim17ROCPRIM_400000_NS6detail17trampoline_kernelINS0_14default_configENS1_25partition_config_selectorILNS1_17partition_subalgoE6EtNS0_10empty_typeEbEEZZNS1_14partition_implILS5_6ELb0ES3_mN6thrust23THRUST_200600_302600_NS6detail15normal_iteratorINSA_10device_ptrItEEEEPS6_SG_NS0_5tupleIJSF_S6_EEENSH_IJSG_SG_EEES6_PlJNSB_9not_fun_tI7is_evenItEEEEEE10hipError_tPvRmT3_T4_T5_T6_T7_T9_mT8_P12ihipStream_tbDpT10_ENKUlT_T0_E_clISt17integral_constantIbLb0EES18_EEDaS13_S14_EUlS13_E_NS1_11comp_targetILNS1_3genE4ELNS1_11target_archE910ELNS1_3gpuE8ELNS1_3repE0EEENS1_30default_config_static_selectorELNS0_4arch9wavefront6targetE0EEEvT1_.num_agpr, 0
	.set _ZN7rocprim17ROCPRIM_400000_NS6detail17trampoline_kernelINS0_14default_configENS1_25partition_config_selectorILNS1_17partition_subalgoE6EtNS0_10empty_typeEbEEZZNS1_14partition_implILS5_6ELb0ES3_mN6thrust23THRUST_200600_302600_NS6detail15normal_iteratorINSA_10device_ptrItEEEEPS6_SG_NS0_5tupleIJSF_S6_EEENSH_IJSG_SG_EEES6_PlJNSB_9not_fun_tI7is_evenItEEEEEE10hipError_tPvRmT3_T4_T5_T6_T7_T9_mT8_P12ihipStream_tbDpT10_ENKUlT_T0_E_clISt17integral_constantIbLb0EES18_EEDaS13_S14_EUlS13_E_NS1_11comp_targetILNS1_3genE4ELNS1_11target_archE910ELNS1_3gpuE8ELNS1_3repE0EEENS1_30default_config_static_selectorELNS0_4arch9wavefront6targetE0EEEvT1_.numbered_sgpr, 0
	.set _ZN7rocprim17ROCPRIM_400000_NS6detail17trampoline_kernelINS0_14default_configENS1_25partition_config_selectorILNS1_17partition_subalgoE6EtNS0_10empty_typeEbEEZZNS1_14partition_implILS5_6ELb0ES3_mN6thrust23THRUST_200600_302600_NS6detail15normal_iteratorINSA_10device_ptrItEEEEPS6_SG_NS0_5tupleIJSF_S6_EEENSH_IJSG_SG_EEES6_PlJNSB_9not_fun_tI7is_evenItEEEEEE10hipError_tPvRmT3_T4_T5_T6_T7_T9_mT8_P12ihipStream_tbDpT10_ENKUlT_T0_E_clISt17integral_constantIbLb0EES18_EEDaS13_S14_EUlS13_E_NS1_11comp_targetILNS1_3genE4ELNS1_11target_archE910ELNS1_3gpuE8ELNS1_3repE0EEENS1_30default_config_static_selectorELNS0_4arch9wavefront6targetE0EEEvT1_.num_named_barrier, 0
	.set _ZN7rocprim17ROCPRIM_400000_NS6detail17trampoline_kernelINS0_14default_configENS1_25partition_config_selectorILNS1_17partition_subalgoE6EtNS0_10empty_typeEbEEZZNS1_14partition_implILS5_6ELb0ES3_mN6thrust23THRUST_200600_302600_NS6detail15normal_iteratorINSA_10device_ptrItEEEEPS6_SG_NS0_5tupleIJSF_S6_EEENSH_IJSG_SG_EEES6_PlJNSB_9not_fun_tI7is_evenItEEEEEE10hipError_tPvRmT3_T4_T5_T6_T7_T9_mT8_P12ihipStream_tbDpT10_ENKUlT_T0_E_clISt17integral_constantIbLb0EES18_EEDaS13_S14_EUlS13_E_NS1_11comp_targetILNS1_3genE4ELNS1_11target_archE910ELNS1_3gpuE8ELNS1_3repE0EEENS1_30default_config_static_selectorELNS0_4arch9wavefront6targetE0EEEvT1_.private_seg_size, 0
	.set _ZN7rocprim17ROCPRIM_400000_NS6detail17trampoline_kernelINS0_14default_configENS1_25partition_config_selectorILNS1_17partition_subalgoE6EtNS0_10empty_typeEbEEZZNS1_14partition_implILS5_6ELb0ES3_mN6thrust23THRUST_200600_302600_NS6detail15normal_iteratorINSA_10device_ptrItEEEEPS6_SG_NS0_5tupleIJSF_S6_EEENSH_IJSG_SG_EEES6_PlJNSB_9not_fun_tI7is_evenItEEEEEE10hipError_tPvRmT3_T4_T5_T6_T7_T9_mT8_P12ihipStream_tbDpT10_ENKUlT_T0_E_clISt17integral_constantIbLb0EES18_EEDaS13_S14_EUlS13_E_NS1_11comp_targetILNS1_3genE4ELNS1_11target_archE910ELNS1_3gpuE8ELNS1_3repE0EEENS1_30default_config_static_selectorELNS0_4arch9wavefront6targetE0EEEvT1_.uses_vcc, 0
	.set _ZN7rocprim17ROCPRIM_400000_NS6detail17trampoline_kernelINS0_14default_configENS1_25partition_config_selectorILNS1_17partition_subalgoE6EtNS0_10empty_typeEbEEZZNS1_14partition_implILS5_6ELb0ES3_mN6thrust23THRUST_200600_302600_NS6detail15normal_iteratorINSA_10device_ptrItEEEEPS6_SG_NS0_5tupleIJSF_S6_EEENSH_IJSG_SG_EEES6_PlJNSB_9not_fun_tI7is_evenItEEEEEE10hipError_tPvRmT3_T4_T5_T6_T7_T9_mT8_P12ihipStream_tbDpT10_ENKUlT_T0_E_clISt17integral_constantIbLb0EES18_EEDaS13_S14_EUlS13_E_NS1_11comp_targetILNS1_3genE4ELNS1_11target_archE910ELNS1_3gpuE8ELNS1_3repE0EEENS1_30default_config_static_selectorELNS0_4arch9wavefront6targetE0EEEvT1_.uses_flat_scratch, 0
	.set _ZN7rocprim17ROCPRIM_400000_NS6detail17trampoline_kernelINS0_14default_configENS1_25partition_config_selectorILNS1_17partition_subalgoE6EtNS0_10empty_typeEbEEZZNS1_14partition_implILS5_6ELb0ES3_mN6thrust23THRUST_200600_302600_NS6detail15normal_iteratorINSA_10device_ptrItEEEEPS6_SG_NS0_5tupleIJSF_S6_EEENSH_IJSG_SG_EEES6_PlJNSB_9not_fun_tI7is_evenItEEEEEE10hipError_tPvRmT3_T4_T5_T6_T7_T9_mT8_P12ihipStream_tbDpT10_ENKUlT_T0_E_clISt17integral_constantIbLb0EES18_EEDaS13_S14_EUlS13_E_NS1_11comp_targetILNS1_3genE4ELNS1_11target_archE910ELNS1_3gpuE8ELNS1_3repE0EEENS1_30default_config_static_selectorELNS0_4arch9wavefront6targetE0EEEvT1_.has_dyn_sized_stack, 0
	.set _ZN7rocprim17ROCPRIM_400000_NS6detail17trampoline_kernelINS0_14default_configENS1_25partition_config_selectorILNS1_17partition_subalgoE6EtNS0_10empty_typeEbEEZZNS1_14partition_implILS5_6ELb0ES3_mN6thrust23THRUST_200600_302600_NS6detail15normal_iteratorINSA_10device_ptrItEEEEPS6_SG_NS0_5tupleIJSF_S6_EEENSH_IJSG_SG_EEES6_PlJNSB_9not_fun_tI7is_evenItEEEEEE10hipError_tPvRmT3_T4_T5_T6_T7_T9_mT8_P12ihipStream_tbDpT10_ENKUlT_T0_E_clISt17integral_constantIbLb0EES18_EEDaS13_S14_EUlS13_E_NS1_11comp_targetILNS1_3genE4ELNS1_11target_archE910ELNS1_3gpuE8ELNS1_3repE0EEENS1_30default_config_static_selectorELNS0_4arch9wavefront6targetE0EEEvT1_.has_recursion, 0
	.set _ZN7rocprim17ROCPRIM_400000_NS6detail17trampoline_kernelINS0_14default_configENS1_25partition_config_selectorILNS1_17partition_subalgoE6EtNS0_10empty_typeEbEEZZNS1_14partition_implILS5_6ELb0ES3_mN6thrust23THRUST_200600_302600_NS6detail15normal_iteratorINSA_10device_ptrItEEEEPS6_SG_NS0_5tupleIJSF_S6_EEENSH_IJSG_SG_EEES6_PlJNSB_9not_fun_tI7is_evenItEEEEEE10hipError_tPvRmT3_T4_T5_T6_T7_T9_mT8_P12ihipStream_tbDpT10_ENKUlT_T0_E_clISt17integral_constantIbLb0EES18_EEDaS13_S14_EUlS13_E_NS1_11comp_targetILNS1_3genE4ELNS1_11target_archE910ELNS1_3gpuE8ELNS1_3repE0EEENS1_30default_config_static_selectorELNS0_4arch9wavefront6targetE0EEEvT1_.has_indirect_call, 0
	.section	.AMDGPU.csdata,"",@progbits
; Kernel info:
; codeLenInByte = 0
; TotalNumSgprs: 0
; NumVgprs: 0
; ScratchSize: 0
; MemoryBound: 0
; FloatMode: 240
; IeeeMode: 1
; LDSByteSize: 0 bytes/workgroup (compile time only)
; SGPRBlocks: 0
; VGPRBlocks: 0
; NumSGPRsForWavesPerEU: 1
; NumVGPRsForWavesPerEU: 1
; Occupancy: 16
; WaveLimiterHint : 0
; COMPUTE_PGM_RSRC2:SCRATCH_EN: 0
; COMPUTE_PGM_RSRC2:USER_SGPR: 2
; COMPUTE_PGM_RSRC2:TRAP_HANDLER: 0
; COMPUTE_PGM_RSRC2:TGID_X_EN: 1
; COMPUTE_PGM_RSRC2:TGID_Y_EN: 0
; COMPUTE_PGM_RSRC2:TGID_Z_EN: 0
; COMPUTE_PGM_RSRC2:TIDIG_COMP_CNT: 0
	.section	.text._ZN7rocprim17ROCPRIM_400000_NS6detail17trampoline_kernelINS0_14default_configENS1_25partition_config_selectorILNS1_17partition_subalgoE6EtNS0_10empty_typeEbEEZZNS1_14partition_implILS5_6ELb0ES3_mN6thrust23THRUST_200600_302600_NS6detail15normal_iteratorINSA_10device_ptrItEEEEPS6_SG_NS0_5tupleIJSF_S6_EEENSH_IJSG_SG_EEES6_PlJNSB_9not_fun_tI7is_evenItEEEEEE10hipError_tPvRmT3_T4_T5_T6_T7_T9_mT8_P12ihipStream_tbDpT10_ENKUlT_T0_E_clISt17integral_constantIbLb0EES18_EEDaS13_S14_EUlS13_E_NS1_11comp_targetILNS1_3genE3ELNS1_11target_archE908ELNS1_3gpuE7ELNS1_3repE0EEENS1_30default_config_static_selectorELNS0_4arch9wavefront6targetE0EEEvT1_,"axG",@progbits,_ZN7rocprim17ROCPRIM_400000_NS6detail17trampoline_kernelINS0_14default_configENS1_25partition_config_selectorILNS1_17partition_subalgoE6EtNS0_10empty_typeEbEEZZNS1_14partition_implILS5_6ELb0ES3_mN6thrust23THRUST_200600_302600_NS6detail15normal_iteratorINSA_10device_ptrItEEEEPS6_SG_NS0_5tupleIJSF_S6_EEENSH_IJSG_SG_EEES6_PlJNSB_9not_fun_tI7is_evenItEEEEEE10hipError_tPvRmT3_T4_T5_T6_T7_T9_mT8_P12ihipStream_tbDpT10_ENKUlT_T0_E_clISt17integral_constantIbLb0EES18_EEDaS13_S14_EUlS13_E_NS1_11comp_targetILNS1_3genE3ELNS1_11target_archE908ELNS1_3gpuE7ELNS1_3repE0EEENS1_30default_config_static_selectorELNS0_4arch9wavefront6targetE0EEEvT1_,comdat
	.protected	_ZN7rocprim17ROCPRIM_400000_NS6detail17trampoline_kernelINS0_14default_configENS1_25partition_config_selectorILNS1_17partition_subalgoE6EtNS0_10empty_typeEbEEZZNS1_14partition_implILS5_6ELb0ES3_mN6thrust23THRUST_200600_302600_NS6detail15normal_iteratorINSA_10device_ptrItEEEEPS6_SG_NS0_5tupleIJSF_S6_EEENSH_IJSG_SG_EEES6_PlJNSB_9not_fun_tI7is_evenItEEEEEE10hipError_tPvRmT3_T4_T5_T6_T7_T9_mT8_P12ihipStream_tbDpT10_ENKUlT_T0_E_clISt17integral_constantIbLb0EES18_EEDaS13_S14_EUlS13_E_NS1_11comp_targetILNS1_3genE3ELNS1_11target_archE908ELNS1_3gpuE7ELNS1_3repE0EEENS1_30default_config_static_selectorELNS0_4arch9wavefront6targetE0EEEvT1_ ; -- Begin function _ZN7rocprim17ROCPRIM_400000_NS6detail17trampoline_kernelINS0_14default_configENS1_25partition_config_selectorILNS1_17partition_subalgoE6EtNS0_10empty_typeEbEEZZNS1_14partition_implILS5_6ELb0ES3_mN6thrust23THRUST_200600_302600_NS6detail15normal_iteratorINSA_10device_ptrItEEEEPS6_SG_NS0_5tupleIJSF_S6_EEENSH_IJSG_SG_EEES6_PlJNSB_9not_fun_tI7is_evenItEEEEEE10hipError_tPvRmT3_T4_T5_T6_T7_T9_mT8_P12ihipStream_tbDpT10_ENKUlT_T0_E_clISt17integral_constantIbLb0EES18_EEDaS13_S14_EUlS13_E_NS1_11comp_targetILNS1_3genE3ELNS1_11target_archE908ELNS1_3gpuE7ELNS1_3repE0EEENS1_30default_config_static_selectorELNS0_4arch9wavefront6targetE0EEEvT1_
	.globl	_ZN7rocprim17ROCPRIM_400000_NS6detail17trampoline_kernelINS0_14default_configENS1_25partition_config_selectorILNS1_17partition_subalgoE6EtNS0_10empty_typeEbEEZZNS1_14partition_implILS5_6ELb0ES3_mN6thrust23THRUST_200600_302600_NS6detail15normal_iteratorINSA_10device_ptrItEEEEPS6_SG_NS0_5tupleIJSF_S6_EEENSH_IJSG_SG_EEES6_PlJNSB_9not_fun_tI7is_evenItEEEEEE10hipError_tPvRmT3_T4_T5_T6_T7_T9_mT8_P12ihipStream_tbDpT10_ENKUlT_T0_E_clISt17integral_constantIbLb0EES18_EEDaS13_S14_EUlS13_E_NS1_11comp_targetILNS1_3genE3ELNS1_11target_archE908ELNS1_3gpuE7ELNS1_3repE0EEENS1_30default_config_static_selectorELNS0_4arch9wavefront6targetE0EEEvT1_
	.p2align	8
	.type	_ZN7rocprim17ROCPRIM_400000_NS6detail17trampoline_kernelINS0_14default_configENS1_25partition_config_selectorILNS1_17partition_subalgoE6EtNS0_10empty_typeEbEEZZNS1_14partition_implILS5_6ELb0ES3_mN6thrust23THRUST_200600_302600_NS6detail15normal_iteratorINSA_10device_ptrItEEEEPS6_SG_NS0_5tupleIJSF_S6_EEENSH_IJSG_SG_EEES6_PlJNSB_9not_fun_tI7is_evenItEEEEEE10hipError_tPvRmT3_T4_T5_T6_T7_T9_mT8_P12ihipStream_tbDpT10_ENKUlT_T0_E_clISt17integral_constantIbLb0EES18_EEDaS13_S14_EUlS13_E_NS1_11comp_targetILNS1_3genE3ELNS1_11target_archE908ELNS1_3gpuE7ELNS1_3repE0EEENS1_30default_config_static_selectorELNS0_4arch9wavefront6targetE0EEEvT1_,@function
_ZN7rocprim17ROCPRIM_400000_NS6detail17trampoline_kernelINS0_14default_configENS1_25partition_config_selectorILNS1_17partition_subalgoE6EtNS0_10empty_typeEbEEZZNS1_14partition_implILS5_6ELb0ES3_mN6thrust23THRUST_200600_302600_NS6detail15normal_iteratorINSA_10device_ptrItEEEEPS6_SG_NS0_5tupleIJSF_S6_EEENSH_IJSG_SG_EEES6_PlJNSB_9not_fun_tI7is_evenItEEEEEE10hipError_tPvRmT3_T4_T5_T6_T7_T9_mT8_P12ihipStream_tbDpT10_ENKUlT_T0_E_clISt17integral_constantIbLb0EES18_EEDaS13_S14_EUlS13_E_NS1_11comp_targetILNS1_3genE3ELNS1_11target_archE908ELNS1_3gpuE7ELNS1_3repE0EEENS1_30default_config_static_selectorELNS0_4arch9wavefront6targetE0EEEvT1_: ; @_ZN7rocprim17ROCPRIM_400000_NS6detail17trampoline_kernelINS0_14default_configENS1_25partition_config_selectorILNS1_17partition_subalgoE6EtNS0_10empty_typeEbEEZZNS1_14partition_implILS5_6ELb0ES3_mN6thrust23THRUST_200600_302600_NS6detail15normal_iteratorINSA_10device_ptrItEEEEPS6_SG_NS0_5tupleIJSF_S6_EEENSH_IJSG_SG_EEES6_PlJNSB_9not_fun_tI7is_evenItEEEEEE10hipError_tPvRmT3_T4_T5_T6_T7_T9_mT8_P12ihipStream_tbDpT10_ENKUlT_T0_E_clISt17integral_constantIbLb0EES18_EEDaS13_S14_EUlS13_E_NS1_11comp_targetILNS1_3genE3ELNS1_11target_archE908ELNS1_3gpuE7ELNS1_3repE0EEENS1_30default_config_static_selectorELNS0_4arch9wavefront6targetE0EEEvT1_
; %bb.0:
	.section	.rodata,"a",@progbits
	.p2align	6, 0x0
	.amdhsa_kernel _ZN7rocprim17ROCPRIM_400000_NS6detail17trampoline_kernelINS0_14default_configENS1_25partition_config_selectorILNS1_17partition_subalgoE6EtNS0_10empty_typeEbEEZZNS1_14partition_implILS5_6ELb0ES3_mN6thrust23THRUST_200600_302600_NS6detail15normal_iteratorINSA_10device_ptrItEEEEPS6_SG_NS0_5tupleIJSF_S6_EEENSH_IJSG_SG_EEES6_PlJNSB_9not_fun_tI7is_evenItEEEEEE10hipError_tPvRmT3_T4_T5_T6_T7_T9_mT8_P12ihipStream_tbDpT10_ENKUlT_T0_E_clISt17integral_constantIbLb0EES18_EEDaS13_S14_EUlS13_E_NS1_11comp_targetILNS1_3genE3ELNS1_11target_archE908ELNS1_3gpuE7ELNS1_3repE0EEENS1_30default_config_static_selectorELNS0_4arch9wavefront6targetE0EEEvT1_
		.amdhsa_group_segment_fixed_size 0
		.amdhsa_private_segment_fixed_size 0
		.amdhsa_kernarg_size 112
		.amdhsa_user_sgpr_count 2
		.amdhsa_user_sgpr_dispatch_ptr 0
		.amdhsa_user_sgpr_queue_ptr 0
		.amdhsa_user_sgpr_kernarg_segment_ptr 1
		.amdhsa_user_sgpr_dispatch_id 0
		.amdhsa_user_sgpr_private_segment_size 0
		.amdhsa_wavefront_size32 1
		.amdhsa_uses_dynamic_stack 0
		.amdhsa_enable_private_segment 0
		.amdhsa_system_sgpr_workgroup_id_x 1
		.amdhsa_system_sgpr_workgroup_id_y 0
		.amdhsa_system_sgpr_workgroup_id_z 0
		.amdhsa_system_sgpr_workgroup_info 0
		.amdhsa_system_vgpr_workitem_id 0
		.amdhsa_next_free_vgpr 1
		.amdhsa_next_free_sgpr 1
		.amdhsa_reserve_vcc 0
		.amdhsa_float_round_mode_32 0
		.amdhsa_float_round_mode_16_64 0
		.amdhsa_float_denorm_mode_32 3
		.amdhsa_float_denorm_mode_16_64 3
		.amdhsa_fp16_overflow 0
		.amdhsa_workgroup_processor_mode 1
		.amdhsa_memory_ordered 1
		.amdhsa_forward_progress 1
		.amdhsa_inst_pref_size 0
		.amdhsa_round_robin_scheduling 0
		.amdhsa_exception_fp_ieee_invalid_op 0
		.amdhsa_exception_fp_denorm_src 0
		.amdhsa_exception_fp_ieee_div_zero 0
		.amdhsa_exception_fp_ieee_overflow 0
		.amdhsa_exception_fp_ieee_underflow 0
		.amdhsa_exception_fp_ieee_inexact 0
		.amdhsa_exception_int_div_zero 0
	.end_amdhsa_kernel
	.section	.text._ZN7rocprim17ROCPRIM_400000_NS6detail17trampoline_kernelINS0_14default_configENS1_25partition_config_selectorILNS1_17partition_subalgoE6EtNS0_10empty_typeEbEEZZNS1_14partition_implILS5_6ELb0ES3_mN6thrust23THRUST_200600_302600_NS6detail15normal_iteratorINSA_10device_ptrItEEEEPS6_SG_NS0_5tupleIJSF_S6_EEENSH_IJSG_SG_EEES6_PlJNSB_9not_fun_tI7is_evenItEEEEEE10hipError_tPvRmT3_T4_T5_T6_T7_T9_mT8_P12ihipStream_tbDpT10_ENKUlT_T0_E_clISt17integral_constantIbLb0EES18_EEDaS13_S14_EUlS13_E_NS1_11comp_targetILNS1_3genE3ELNS1_11target_archE908ELNS1_3gpuE7ELNS1_3repE0EEENS1_30default_config_static_selectorELNS0_4arch9wavefront6targetE0EEEvT1_,"axG",@progbits,_ZN7rocprim17ROCPRIM_400000_NS6detail17trampoline_kernelINS0_14default_configENS1_25partition_config_selectorILNS1_17partition_subalgoE6EtNS0_10empty_typeEbEEZZNS1_14partition_implILS5_6ELb0ES3_mN6thrust23THRUST_200600_302600_NS6detail15normal_iteratorINSA_10device_ptrItEEEEPS6_SG_NS0_5tupleIJSF_S6_EEENSH_IJSG_SG_EEES6_PlJNSB_9not_fun_tI7is_evenItEEEEEE10hipError_tPvRmT3_T4_T5_T6_T7_T9_mT8_P12ihipStream_tbDpT10_ENKUlT_T0_E_clISt17integral_constantIbLb0EES18_EEDaS13_S14_EUlS13_E_NS1_11comp_targetILNS1_3genE3ELNS1_11target_archE908ELNS1_3gpuE7ELNS1_3repE0EEENS1_30default_config_static_selectorELNS0_4arch9wavefront6targetE0EEEvT1_,comdat
.Lfunc_end664:
	.size	_ZN7rocprim17ROCPRIM_400000_NS6detail17trampoline_kernelINS0_14default_configENS1_25partition_config_selectorILNS1_17partition_subalgoE6EtNS0_10empty_typeEbEEZZNS1_14partition_implILS5_6ELb0ES3_mN6thrust23THRUST_200600_302600_NS6detail15normal_iteratorINSA_10device_ptrItEEEEPS6_SG_NS0_5tupleIJSF_S6_EEENSH_IJSG_SG_EEES6_PlJNSB_9not_fun_tI7is_evenItEEEEEE10hipError_tPvRmT3_T4_T5_T6_T7_T9_mT8_P12ihipStream_tbDpT10_ENKUlT_T0_E_clISt17integral_constantIbLb0EES18_EEDaS13_S14_EUlS13_E_NS1_11comp_targetILNS1_3genE3ELNS1_11target_archE908ELNS1_3gpuE7ELNS1_3repE0EEENS1_30default_config_static_selectorELNS0_4arch9wavefront6targetE0EEEvT1_, .Lfunc_end664-_ZN7rocprim17ROCPRIM_400000_NS6detail17trampoline_kernelINS0_14default_configENS1_25partition_config_selectorILNS1_17partition_subalgoE6EtNS0_10empty_typeEbEEZZNS1_14partition_implILS5_6ELb0ES3_mN6thrust23THRUST_200600_302600_NS6detail15normal_iteratorINSA_10device_ptrItEEEEPS6_SG_NS0_5tupleIJSF_S6_EEENSH_IJSG_SG_EEES6_PlJNSB_9not_fun_tI7is_evenItEEEEEE10hipError_tPvRmT3_T4_T5_T6_T7_T9_mT8_P12ihipStream_tbDpT10_ENKUlT_T0_E_clISt17integral_constantIbLb0EES18_EEDaS13_S14_EUlS13_E_NS1_11comp_targetILNS1_3genE3ELNS1_11target_archE908ELNS1_3gpuE7ELNS1_3repE0EEENS1_30default_config_static_selectorELNS0_4arch9wavefront6targetE0EEEvT1_
                                        ; -- End function
	.set _ZN7rocprim17ROCPRIM_400000_NS6detail17trampoline_kernelINS0_14default_configENS1_25partition_config_selectorILNS1_17partition_subalgoE6EtNS0_10empty_typeEbEEZZNS1_14partition_implILS5_6ELb0ES3_mN6thrust23THRUST_200600_302600_NS6detail15normal_iteratorINSA_10device_ptrItEEEEPS6_SG_NS0_5tupleIJSF_S6_EEENSH_IJSG_SG_EEES6_PlJNSB_9not_fun_tI7is_evenItEEEEEE10hipError_tPvRmT3_T4_T5_T6_T7_T9_mT8_P12ihipStream_tbDpT10_ENKUlT_T0_E_clISt17integral_constantIbLb0EES18_EEDaS13_S14_EUlS13_E_NS1_11comp_targetILNS1_3genE3ELNS1_11target_archE908ELNS1_3gpuE7ELNS1_3repE0EEENS1_30default_config_static_selectorELNS0_4arch9wavefront6targetE0EEEvT1_.num_vgpr, 0
	.set _ZN7rocprim17ROCPRIM_400000_NS6detail17trampoline_kernelINS0_14default_configENS1_25partition_config_selectorILNS1_17partition_subalgoE6EtNS0_10empty_typeEbEEZZNS1_14partition_implILS5_6ELb0ES3_mN6thrust23THRUST_200600_302600_NS6detail15normal_iteratorINSA_10device_ptrItEEEEPS6_SG_NS0_5tupleIJSF_S6_EEENSH_IJSG_SG_EEES6_PlJNSB_9not_fun_tI7is_evenItEEEEEE10hipError_tPvRmT3_T4_T5_T6_T7_T9_mT8_P12ihipStream_tbDpT10_ENKUlT_T0_E_clISt17integral_constantIbLb0EES18_EEDaS13_S14_EUlS13_E_NS1_11comp_targetILNS1_3genE3ELNS1_11target_archE908ELNS1_3gpuE7ELNS1_3repE0EEENS1_30default_config_static_selectorELNS0_4arch9wavefront6targetE0EEEvT1_.num_agpr, 0
	.set _ZN7rocprim17ROCPRIM_400000_NS6detail17trampoline_kernelINS0_14default_configENS1_25partition_config_selectorILNS1_17partition_subalgoE6EtNS0_10empty_typeEbEEZZNS1_14partition_implILS5_6ELb0ES3_mN6thrust23THRUST_200600_302600_NS6detail15normal_iteratorINSA_10device_ptrItEEEEPS6_SG_NS0_5tupleIJSF_S6_EEENSH_IJSG_SG_EEES6_PlJNSB_9not_fun_tI7is_evenItEEEEEE10hipError_tPvRmT3_T4_T5_T6_T7_T9_mT8_P12ihipStream_tbDpT10_ENKUlT_T0_E_clISt17integral_constantIbLb0EES18_EEDaS13_S14_EUlS13_E_NS1_11comp_targetILNS1_3genE3ELNS1_11target_archE908ELNS1_3gpuE7ELNS1_3repE0EEENS1_30default_config_static_selectorELNS0_4arch9wavefront6targetE0EEEvT1_.numbered_sgpr, 0
	.set _ZN7rocprim17ROCPRIM_400000_NS6detail17trampoline_kernelINS0_14default_configENS1_25partition_config_selectorILNS1_17partition_subalgoE6EtNS0_10empty_typeEbEEZZNS1_14partition_implILS5_6ELb0ES3_mN6thrust23THRUST_200600_302600_NS6detail15normal_iteratorINSA_10device_ptrItEEEEPS6_SG_NS0_5tupleIJSF_S6_EEENSH_IJSG_SG_EEES6_PlJNSB_9not_fun_tI7is_evenItEEEEEE10hipError_tPvRmT3_T4_T5_T6_T7_T9_mT8_P12ihipStream_tbDpT10_ENKUlT_T0_E_clISt17integral_constantIbLb0EES18_EEDaS13_S14_EUlS13_E_NS1_11comp_targetILNS1_3genE3ELNS1_11target_archE908ELNS1_3gpuE7ELNS1_3repE0EEENS1_30default_config_static_selectorELNS0_4arch9wavefront6targetE0EEEvT1_.num_named_barrier, 0
	.set _ZN7rocprim17ROCPRIM_400000_NS6detail17trampoline_kernelINS0_14default_configENS1_25partition_config_selectorILNS1_17partition_subalgoE6EtNS0_10empty_typeEbEEZZNS1_14partition_implILS5_6ELb0ES3_mN6thrust23THRUST_200600_302600_NS6detail15normal_iteratorINSA_10device_ptrItEEEEPS6_SG_NS0_5tupleIJSF_S6_EEENSH_IJSG_SG_EEES6_PlJNSB_9not_fun_tI7is_evenItEEEEEE10hipError_tPvRmT3_T4_T5_T6_T7_T9_mT8_P12ihipStream_tbDpT10_ENKUlT_T0_E_clISt17integral_constantIbLb0EES18_EEDaS13_S14_EUlS13_E_NS1_11comp_targetILNS1_3genE3ELNS1_11target_archE908ELNS1_3gpuE7ELNS1_3repE0EEENS1_30default_config_static_selectorELNS0_4arch9wavefront6targetE0EEEvT1_.private_seg_size, 0
	.set _ZN7rocprim17ROCPRIM_400000_NS6detail17trampoline_kernelINS0_14default_configENS1_25partition_config_selectorILNS1_17partition_subalgoE6EtNS0_10empty_typeEbEEZZNS1_14partition_implILS5_6ELb0ES3_mN6thrust23THRUST_200600_302600_NS6detail15normal_iteratorINSA_10device_ptrItEEEEPS6_SG_NS0_5tupleIJSF_S6_EEENSH_IJSG_SG_EEES6_PlJNSB_9not_fun_tI7is_evenItEEEEEE10hipError_tPvRmT3_T4_T5_T6_T7_T9_mT8_P12ihipStream_tbDpT10_ENKUlT_T0_E_clISt17integral_constantIbLb0EES18_EEDaS13_S14_EUlS13_E_NS1_11comp_targetILNS1_3genE3ELNS1_11target_archE908ELNS1_3gpuE7ELNS1_3repE0EEENS1_30default_config_static_selectorELNS0_4arch9wavefront6targetE0EEEvT1_.uses_vcc, 0
	.set _ZN7rocprim17ROCPRIM_400000_NS6detail17trampoline_kernelINS0_14default_configENS1_25partition_config_selectorILNS1_17partition_subalgoE6EtNS0_10empty_typeEbEEZZNS1_14partition_implILS5_6ELb0ES3_mN6thrust23THRUST_200600_302600_NS6detail15normal_iteratorINSA_10device_ptrItEEEEPS6_SG_NS0_5tupleIJSF_S6_EEENSH_IJSG_SG_EEES6_PlJNSB_9not_fun_tI7is_evenItEEEEEE10hipError_tPvRmT3_T4_T5_T6_T7_T9_mT8_P12ihipStream_tbDpT10_ENKUlT_T0_E_clISt17integral_constantIbLb0EES18_EEDaS13_S14_EUlS13_E_NS1_11comp_targetILNS1_3genE3ELNS1_11target_archE908ELNS1_3gpuE7ELNS1_3repE0EEENS1_30default_config_static_selectorELNS0_4arch9wavefront6targetE0EEEvT1_.uses_flat_scratch, 0
	.set _ZN7rocprim17ROCPRIM_400000_NS6detail17trampoline_kernelINS0_14default_configENS1_25partition_config_selectorILNS1_17partition_subalgoE6EtNS0_10empty_typeEbEEZZNS1_14partition_implILS5_6ELb0ES3_mN6thrust23THRUST_200600_302600_NS6detail15normal_iteratorINSA_10device_ptrItEEEEPS6_SG_NS0_5tupleIJSF_S6_EEENSH_IJSG_SG_EEES6_PlJNSB_9not_fun_tI7is_evenItEEEEEE10hipError_tPvRmT3_T4_T5_T6_T7_T9_mT8_P12ihipStream_tbDpT10_ENKUlT_T0_E_clISt17integral_constantIbLb0EES18_EEDaS13_S14_EUlS13_E_NS1_11comp_targetILNS1_3genE3ELNS1_11target_archE908ELNS1_3gpuE7ELNS1_3repE0EEENS1_30default_config_static_selectorELNS0_4arch9wavefront6targetE0EEEvT1_.has_dyn_sized_stack, 0
	.set _ZN7rocprim17ROCPRIM_400000_NS6detail17trampoline_kernelINS0_14default_configENS1_25partition_config_selectorILNS1_17partition_subalgoE6EtNS0_10empty_typeEbEEZZNS1_14partition_implILS5_6ELb0ES3_mN6thrust23THRUST_200600_302600_NS6detail15normal_iteratorINSA_10device_ptrItEEEEPS6_SG_NS0_5tupleIJSF_S6_EEENSH_IJSG_SG_EEES6_PlJNSB_9not_fun_tI7is_evenItEEEEEE10hipError_tPvRmT3_T4_T5_T6_T7_T9_mT8_P12ihipStream_tbDpT10_ENKUlT_T0_E_clISt17integral_constantIbLb0EES18_EEDaS13_S14_EUlS13_E_NS1_11comp_targetILNS1_3genE3ELNS1_11target_archE908ELNS1_3gpuE7ELNS1_3repE0EEENS1_30default_config_static_selectorELNS0_4arch9wavefront6targetE0EEEvT1_.has_recursion, 0
	.set _ZN7rocprim17ROCPRIM_400000_NS6detail17trampoline_kernelINS0_14default_configENS1_25partition_config_selectorILNS1_17partition_subalgoE6EtNS0_10empty_typeEbEEZZNS1_14partition_implILS5_6ELb0ES3_mN6thrust23THRUST_200600_302600_NS6detail15normal_iteratorINSA_10device_ptrItEEEEPS6_SG_NS0_5tupleIJSF_S6_EEENSH_IJSG_SG_EEES6_PlJNSB_9not_fun_tI7is_evenItEEEEEE10hipError_tPvRmT3_T4_T5_T6_T7_T9_mT8_P12ihipStream_tbDpT10_ENKUlT_T0_E_clISt17integral_constantIbLb0EES18_EEDaS13_S14_EUlS13_E_NS1_11comp_targetILNS1_3genE3ELNS1_11target_archE908ELNS1_3gpuE7ELNS1_3repE0EEENS1_30default_config_static_selectorELNS0_4arch9wavefront6targetE0EEEvT1_.has_indirect_call, 0
	.section	.AMDGPU.csdata,"",@progbits
; Kernel info:
; codeLenInByte = 0
; TotalNumSgprs: 0
; NumVgprs: 0
; ScratchSize: 0
; MemoryBound: 0
; FloatMode: 240
; IeeeMode: 1
; LDSByteSize: 0 bytes/workgroup (compile time only)
; SGPRBlocks: 0
; VGPRBlocks: 0
; NumSGPRsForWavesPerEU: 1
; NumVGPRsForWavesPerEU: 1
; Occupancy: 16
; WaveLimiterHint : 0
; COMPUTE_PGM_RSRC2:SCRATCH_EN: 0
; COMPUTE_PGM_RSRC2:USER_SGPR: 2
; COMPUTE_PGM_RSRC2:TRAP_HANDLER: 0
; COMPUTE_PGM_RSRC2:TGID_X_EN: 1
; COMPUTE_PGM_RSRC2:TGID_Y_EN: 0
; COMPUTE_PGM_RSRC2:TGID_Z_EN: 0
; COMPUTE_PGM_RSRC2:TIDIG_COMP_CNT: 0
	.section	.text._ZN7rocprim17ROCPRIM_400000_NS6detail17trampoline_kernelINS0_14default_configENS1_25partition_config_selectorILNS1_17partition_subalgoE6EtNS0_10empty_typeEbEEZZNS1_14partition_implILS5_6ELb0ES3_mN6thrust23THRUST_200600_302600_NS6detail15normal_iteratorINSA_10device_ptrItEEEEPS6_SG_NS0_5tupleIJSF_S6_EEENSH_IJSG_SG_EEES6_PlJNSB_9not_fun_tI7is_evenItEEEEEE10hipError_tPvRmT3_T4_T5_T6_T7_T9_mT8_P12ihipStream_tbDpT10_ENKUlT_T0_E_clISt17integral_constantIbLb0EES18_EEDaS13_S14_EUlS13_E_NS1_11comp_targetILNS1_3genE2ELNS1_11target_archE906ELNS1_3gpuE6ELNS1_3repE0EEENS1_30default_config_static_selectorELNS0_4arch9wavefront6targetE0EEEvT1_,"axG",@progbits,_ZN7rocprim17ROCPRIM_400000_NS6detail17trampoline_kernelINS0_14default_configENS1_25partition_config_selectorILNS1_17partition_subalgoE6EtNS0_10empty_typeEbEEZZNS1_14partition_implILS5_6ELb0ES3_mN6thrust23THRUST_200600_302600_NS6detail15normal_iteratorINSA_10device_ptrItEEEEPS6_SG_NS0_5tupleIJSF_S6_EEENSH_IJSG_SG_EEES6_PlJNSB_9not_fun_tI7is_evenItEEEEEE10hipError_tPvRmT3_T4_T5_T6_T7_T9_mT8_P12ihipStream_tbDpT10_ENKUlT_T0_E_clISt17integral_constantIbLb0EES18_EEDaS13_S14_EUlS13_E_NS1_11comp_targetILNS1_3genE2ELNS1_11target_archE906ELNS1_3gpuE6ELNS1_3repE0EEENS1_30default_config_static_selectorELNS0_4arch9wavefront6targetE0EEEvT1_,comdat
	.protected	_ZN7rocprim17ROCPRIM_400000_NS6detail17trampoline_kernelINS0_14default_configENS1_25partition_config_selectorILNS1_17partition_subalgoE6EtNS0_10empty_typeEbEEZZNS1_14partition_implILS5_6ELb0ES3_mN6thrust23THRUST_200600_302600_NS6detail15normal_iteratorINSA_10device_ptrItEEEEPS6_SG_NS0_5tupleIJSF_S6_EEENSH_IJSG_SG_EEES6_PlJNSB_9not_fun_tI7is_evenItEEEEEE10hipError_tPvRmT3_T4_T5_T6_T7_T9_mT8_P12ihipStream_tbDpT10_ENKUlT_T0_E_clISt17integral_constantIbLb0EES18_EEDaS13_S14_EUlS13_E_NS1_11comp_targetILNS1_3genE2ELNS1_11target_archE906ELNS1_3gpuE6ELNS1_3repE0EEENS1_30default_config_static_selectorELNS0_4arch9wavefront6targetE0EEEvT1_ ; -- Begin function _ZN7rocprim17ROCPRIM_400000_NS6detail17trampoline_kernelINS0_14default_configENS1_25partition_config_selectorILNS1_17partition_subalgoE6EtNS0_10empty_typeEbEEZZNS1_14partition_implILS5_6ELb0ES3_mN6thrust23THRUST_200600_302600_NS6detail15normal_iteratorINSA_10device_ptrItEEEEPS6_SG_NS0_5tupleIJSF_S6_EEENSH_IJSG_SG_EEES6_PlJNSB_9not_fun_tI7is_evenItEEEEEE10hipError_tPvRmT3_T4_T5_T6_T7_T9_mT8_P12ihipStream_tbDpT10_ENKUlT_T0_E_clISt17integral_constantIbLb0EES18_EEDaS13_S14_EUlS13_E_NS1_11comp_targetILNS1_3genE2ELNS1_11target_archE906ELNS1_3gpuE6ELNS1_3repE0EEENS1_30default_config_static_selectorELNS0_4arch9wavefront6targetE0EEEvT1_
	.globl	_ZN7rocprim17ROCPRIM_400000_NS6detail17trampoline_kernelINS0_14default_configENS1_25partition_config_selectorILNS1_17partition_subalgoE6EtNS0_10empty_typeEbEEZZNS1_14partition_implILS5_6ELb0ES3_mN6thrust23THRUST_200600_302600_NS6detail15normal_iteratorINSA_10device_ptrItEEEEPS6_SG_NS0_5tupleIJSF_S6_EEENSH_IJSG_SG_EEES6_PlJNSB_9not_fun_tI7is_evenItEEEEEE10hipError_tPvRmT3_T4_T5_T6_T7_T9_mT8_P12ihipStream_tbDpT10_ENKUlT_T0_E_clISt17integral_constantIbLb0EES18_EEDaS13_S14_EUlS13_E_NS1_11comp_targetILNS1_3genE2ELNS1_11target_archE906ELNS1_3gpuE6ELNS1_3repE0EEENS1_30default_config_static_selectorELNS0_4arch9wavefront6targetE0EEEvT1_
	.p2align	8
	.type	_ZN7rocprim17ROCPRIM_400000_NS6detail17trampoline_kernelINS0_14default_configENS1_25partition_config_selectorILNS1_17partition_subalgoE6EtNS0_10empty_typeEbEEZZNS1_14partition_implILS5_6ELb0ES3_mN6thrust23THRUST_200600_302600_NS6detail15normal_iteratorINSA_10device_ptrItEEEEPS6_SG_NS0_5tupleIJSF_S6_EEENSH_IJSG_SG_EEES6_PlJNSB_9not_fun_tI7is_evenItEEEEEE10hipError_tPvRmT3_T4_T5_T6_T7_T9_mT8_P12ihipStream_tbDpT10_ENKUlT_T0_E_clISt17integral_constantIbLb0EES18_EEDaS13_S14_EUlS13_E_NS1_11comp_targetILNS1_3genE2ELNS1_11target_archE906ELNS1_3gpuE6ELNS1_3repE0EEENS1_30default_config_static_selectorELNS0_4arch9wavefront6targetE0EEEvT1_,@function
_ZN7rocprim17ROCPRIM_400000_NS6detail17trampoline_kernelINS0_14default_configENS1_25partition_config_selectorILNS1_17partition_subalgoE6EtNS0_10empty_typeEbEEZZNS1_14partition_implILS5_6ELb0ES3_mN6thrust23THRUST_200600_302600_NS6detail15normal_iteratorINSA_10device_ptrItEEEEPS6_SG_NS0_5tupleIJSF_S6_EEENSH_IJSG_SG_EEES6_PlJNSB_9not_fun_tI7is_evenItEEEEEE10hipError_tPvRmT3_T4_T5_T6_T7_T9_mT8_P12ihipStream_tbDpT10_ENKUlT_T0_E_clISt17integral_constantIbLb0EES18_EEDaS13_S14_EUlS13_E_NS1_11comp_targetILNS1_3genE2ELNS1_11target_archE906ELNS1_3gpuE6ELNS1_3repE0EEENS1_30default_config_static_selectorELNS0_4arch9wavefront6targetE0EEEvT1_: ; @_ZN7rocprim17ROCPRIM_400000_NS6detail17trampoline_kernelINS0_14default_configENS1_25partition_config_selectorILNS1_17partition_subalgoE6EtNS0_10empty_typeEbEEZZNS1_14partition_implILS5_6ELb0ES3_mN6thrust23THRUST_200600_302600_NS6detail15normal_iteratorINSA_10device_ptrItEEEEPS6_SG_NS0_5tupleIJSF_S6_EEENSH_IJSG_SG_EEES6_PlJNSB_9not_fun_tI7is_evenItEEEEEE10hipError_tPvRmT3_T4_T5_T6_T7_T9_mT8_P12ihipStream_tbDpT10_ENKUlT_T0_E_clISt17integral_constantIbLb0EES18_EEDaS13_S14_EUlS13_E_NS1_11comp_targetILNS1_3genE2ELNS1_11target_archE906ELNS1_3gpuE6ELNS1_3repE0EEENS1_30default_config_static_selectorELNS0_4arch9wavefront6targetE0EEEvT1_
; %bb.0:
	.section	.rodata,"a",@progbits
	.p2align	6, 0x0
	.amdhsa_kernel _ZN7rocprim17ROCPRIM_400000_NS6detail17trampoline_kernelINS0_14default_configENS1_25partition_config_selectorILNS1_17partition_subalgoE6EtNS0_10empty_typeEbEEZZNS1_14partition_implILS5_6ELb0ES3_mN6thrust23THRUST_200600_302600_NS6detail15normal_iteratorINSA_10device_ptrItEEEEPS6_SG_NS0_5tupleIJSF_S6_EEENSH_IJSG_SG_EEES6_PlJNSB_9not_fun_tI7is_evenItEEEEEE10hipError_tPvRmT3_T4_T5_T6_T7_T9_mT8_P12ihipStream_tbDpT10_ENKUlT_T0_E_clISt17integral_constantIbLb0EES18_EEDaS13_S14_EUlS13_E_NS1_11comp_targetILNS1_3genE2ELNS1_11target_archE906ELNS1_3gpuE6ELNS1_3repE0EEENS1_30default_config_static_selectorELNS0_4arch9wavefront6targetE0EEEvT1_
		.amdhsa_group_segment_fixed_size 0
		.amdhsa_private_segment_fixed_size 0
		.amdhsa_kernarg_size 112
		.amdhsa_user_sgpr_count 2
		.amdhsa_user_sgpr_dispatch_ptr 0
		.amdhsa_user_sgpr_queue_ptr 0
		.amdhsa_user_sgpr_kernarg_segment_ptr 1
		.amdhsa_user_sgpr_dispatch_id 0
		.amdhsa_user_sgpr_private_segment_size 0
		.amdhsa_wavefront_size32 1
		.amdhsa_uses_dynamic_stack 0
		.amdhsa_enable_private_segment 0
		.amdhsa_system_sgpr_workgroup_id_x 1
		.amdhsa_system_sgpr_workgroup_id_y 0
		.amdhsa_system_sgpr_workgroup_id_z 0
		.amdhsa_system_sgpr_workgroup_info 0
		.amdhsa_system_vgpr_workitem_id 0
		.amdhsa_next_free_vgpr 1
		.amdhsa_next_free_sgpr 1
		.amdhsa_reserve_vcc 0
		.amdhsa_float_round_mode_32 0
		.amdhsa_float_round_mode_16_64 0
		.amdhsa_float_denorm_mode_32 3
		.amdhsa_float_denorm_mode_16_64 3
		.amdhsa_fp16_overflow 0
		.amdhsa_workgroup_processor_mode 1
		.amdhsa_memory_ordered 1
		.amdhsa_forward_progress 1
		.amdhsa_inst_pref_size 0
		.amdhsa_round_robin_scheduling 0
		.amdhsa_exception_fp_ieee_invalid_op 0
		.amdhsa_exception_fp_denorm_src 0
		.amdhsa_exception_fp_ieee_div_zero 0
		.amdhsa_exception_fp_ieee_overflow 0
		.amdhsa_exception_fp_ieee_underflow 0
		.amdhsa_exception_fp_ieee_inexact 0
		.amdhsa_exception_int_div_zero 0
	.end_amdhsa_kernel
	.section	.text._ZN7rocprim17ROCPRIM_400000_NS6detail17trampoline_kernelINS0_14default_configENS1_25partition_config_selectorILNS1_17partition_subalgoE6EtNS0_10empty_typeEbEEZZNS1_14partition_implILS5_6ELb0ES3_mN6thrust23THRUST_200600_302600_NS6detail15normal_iteratorINSA_10device_ptrItEEEEPS6_SG_NS0_5tupleIJSF_S6_EEENSH_IJSG_SG_EEES6_PlJNSB_9not_fun_tI7is_evenItEEEEEE10hipError_tPvRmT3_T4_T5_T6_T7_T9_mT8_P12ihipStream_tbDpT10_ENKUlT_T0_E_clISt17integral_constantIbLb0EES18_EEDaS13_S14_EUlS13_E_NS1_11comp_targetILNS1_3genE2ELNS1_11target_archE906ELNS1_3gpuE6ELNS1_3repE0EEENS1_30default_config_static_selectorELNS0_4arch9wavefront6targetE0EEEvT1_,"axG",@progbits,_ZN7rocprim17ROCPRIM_400000_NS6detail17trampoline_kernelINS0_14default_configENS1_25partition_config_selectorILNS1_17partition_subalgoE6EtNS0_10empty_typeEbEEZZNS1_14partition_implILS5_6ELb0ES3_mN6thrust23THRUST_200600_302600_NS6detail15normal_iteratorINSA_10device_ptrItEEEEPS6_SG_NS0_5tupleIJSF_S6_EEENSH_IJSG_SG_EEES6_PlJNSB_9not_fun_tI7is_evenItEEEEEE10hipError_tPvRmT3_T4_T5_T6_T7_T9_mT8_P12ihipStream_tbDpT10_ENKUlT_T0_E_clISt17integral_constantIbLb0EES18_EEDaS13_S14_EUlS13_E_NS1_11comp_targetILNS1_3genE2ELNS1_11target_archE906ELNS1_3gpuE6ELNS1_3repE0EEENS1_30default_config_static_selectorELNS0_4arch9wavefront6targetE0EEEvT1_,comdat
.Lfunc_end665:
	.size	_ZN7rocprim17ROCPRIM_400000_NS6detail17trampoline_kernelINS0_14default_configENS1_25partition_config_selectorILNS1_17partition_subalgoE6EtNS0_10empty_typeEbEEZZNS1_14partition_implILS5_6ELb0ES3_mN6thrust23THRUST_200600_302600_NS6detail15normal_iteratorINSA_10device_ptrItEEEEPS6_SG_NS0_5tupleIJSF_S6_EEENSH_IJSG_SG_EEES6_PlJNSB_9not_fun_tI7is_evenItEEEEEE10hipError_tPvRmT3_T4_T5_T6_T7_T9_mT8_P12ihipStream_tbDpT10_ENKUlT_T0_E_clISt17integral_constantIbLb0EES18_EEDaS13_S14_EUlS13_E_NS1_11comp_targetILNS1_3genE2ELNS1_11target_archE906ELNS1_3gpuE6ELNS1_3repE0EEENS1_30default_config_static_selectorELNS0_4arch9wavefront6targetE0EEEvT1_, .Lfunc_end665-_ZN7rocprim17ROCPRIM_400000_NS6detail17trampoline_kernelINS0_14default_configENS1_25partition_config_selectorILNS1_17partition_subalgoE6EtNS0_10empty_typeEbEEZZNS1_14partition_implILS5_6ELb0ES3_mN6thrust23THRUST_200600_302600_NS6detail15normal_iteratorINSA_10device_ptrItEEEEPS6_SG_NS0_5tupleIJSF_S6_EEENSH_IJSG_SG_EEES6_PlJNSB_9not_fun_tI7is_evenItEEEEEE10hipError_tPvRmT3_T4_T5_T6_T7_T9_mT8_P12ihipStream_tbDpT10_ENKUlT_T0_E_clISt17integral_constantIbLb0EES18_EEDaS13_S14_EUlS13_E_NS1_11comp_targetILNS1_3genE2ELNS1_11target_archE906ELNS1_3gpuE6ELNS1_3repE0EEENS1_30default_config_static_selectorELNS0_4arch9wavefront6targetE0EEEvT1_
                                        ; -- End function
	.set _ZN7rocprim17ROCPRIM_400000_NS6detail17trampoline_kernelINS0_14default_configENS1_25partition_config_selectorILNS1_17partition_subalgoE6EtNS0_10empty_typeEbEEZZNS1_14partition_implILS5_6ELb0ES3_mN6thrust23THRUST_200600_302600_NS6detail15normal_iteratorINSA_10device_ptrItEEEEPS6_SG_NS0_5tupleIJSF_S6_EEENSH_IJSG_SG_EEES6_PlJNSB_9not_fun_tI7is_evenItEEEEEE10hipError_tPvRmT3_T4_T5_T6_T7_T9_mT8_P12ihipStream_tbDpT10_ENKUlT_T0_E_clISt17integral_constantIbLb0EES18_EEDaS13_S14_EUlS13_E_NS1_11comp_targetILNS1_3genE2ELNS1_11target_archE906ELNS1_3gpuE6ELNS1_3repE0EEENS1_30default_config_static_selectorELNS0_4arch9wavefront6targetE0EEEvT1_.num_vgpr, 0
	.set _ZN7rocprim17ROCPRIM_400000_NS6detail17trampoline_kernelINS0_14default_configENS1_25partition_config_selectorILNS1_17partition_subalgoE6EtNS0_10empty_typeEbEEZZNS1_14partition_implILS5_6ELb0ES3_mN6thrust23THRUST_200600_302600_NS6detail15normal_iteratorINSA_10device_ptrItEEEEPS6_SG_NS0_5tupleIJSF_S6_EEENSH_IJSG_SG_EEES6_PlJNSB_9not_fun_tI7is_evenItEEEEEE10hipError_tPvRmT3_T4_T5_T6_T7_T9_mT8_P12ihipStream_tbDpT10_ENKUlT_T0_E_clISt17integral_constantIbLb0EES18_EEDaS13_S14_EUlS13_E_NS1_11comp_targetILNS1_3genE2ELNS1_11target_archE906ELNS1_3gpuE6ELNS1_3repE0EEENS1_30default_config_static_selectorELNS0_4arch9wavefront6targetE0EEEvT1_.num_agpr, 0
	.set _ZN7rocprim17ROCPRIM_400000_NS6detail17trampoline_kernelINS0_14default_configENS1_25partition_config_selectorILNS1_17partition_subalgoE6EtNS0_10empty_typeEbEEZZNS1_14partition_implILS5_6ELb0ES3_mN6thrust23THRUST_200600_302600_NS6detail15normal_iteratorINSA_10device_ptrItEEEEPS6_SG_NS0_5tupleIJSF_S6_EEENSH_IJSG_SG_EEES6_PlJNSB_9not_fun_tI7is_evenItEEEEEE10hipError_tPvRmT3_T4_T5_T6_T7_T9_mT8_P12ihipStream_tbDpT10_ENKUlT_T0_E_clISt17integral_constantIbLb0EES18_EEDaS13_S14_EUlS13_E_NS1_11comp_targetILNS1_3genE2ELNS1_11target_archE906ELNS1_3gpuE6ELNS1_3repE0EEENS1_30default_config_static_selectorELNS0_4arch9wavefront6targetE0EEEvT1_.numbered_sgpr, 0
	.set _ZN7rocprim17ROCPRIM_400000_NS6detail17trampoline_kernelINS0_14default_configENS1_25partition_config_selectorILNS1_17partition_subalgoE6EtNS0_10empty_typeEbEEZZNS1_14partition_implILS5_6ELb0ES3_mN6thrust23THRUST_200600_302600_NS6detail15normal_iteratorINSA_10device_ptrItEEEEPS6_SG_NS0_5tupleIJSF_S6_EEENSH_IJSG_SG_EEES6_PlJNSB_9not_fun_tI7is_evenItEEEEEE10hipError_tPvRmT3_T4_T5_T6_T7_T9_mT8_P12ihipStream_tbDpT10_ENKUlT_T0_E_clISt17integral_constantIbLb0EES18_EEDaS13_S14_EUlS13_E_NS1_11comp_targetILNS1_3genE2ELNS1_11target_archE906ELNS1_3gpuE6ELNS1_3repE0EEENS1_30default_config_static_selectorELNS0_4arch9wavefront6targetE0EEEvT1_.num_named_barrier, 0
	.set _ZN7rocprim17ROCPRIM_400000_NS6detail17trampoline_kernelINS0_14default_configENS1_25partition_config_selectorILNS1_17partition_subalgoE6EtNS0_10empty_typeEbEEZZNS1_14partition_implILS5_6ELb0ES3_mN6thrust23THRUST_200600_302600_NS6detail15normal_iteratorINSA_10device_ptrItEEEEPS6_SG_NS0_5tupleIJSF_S6_EEENSH_IJSG_SG_EEES6_PlJNSB_9not_fun_tI7is_evenItEEEEEE10hipError_tPvRmT3_T4_T5_T6_T7_T9_mT8_P12ihipStream_tbDpT10_ENKUlT_T0_E_clISt17integral_constantIbLb0EES18_EEDaS13_S14_EUlS13_E_NS1_11comp_targetILNS1_3genE2ELNS1_11target_archE906ELNS1_3gpuE6ELNS1_3repE0EEENS1_30default_config_static_selectorELNS0_4arch9wavefront6targetE0EEEvT1_.private_seg_size, 0
	.set _ZN7rocprim17ROCPRIM_400000_NS6detail17trampoline_kernelINS0_14default_configENS1_25partition_config_selectorILNS1_17partition_subalgoE6EtNS0_10empty_typeEbEEZZNS1_14partition_implILS5_6ELb0ES3_mN6thrust23THRUST_200600_302600_NS6detail15normal_iteratorINSA_10device_ptrItEEEEPS6_SG_NS0_5tupleIJSF_S6_EEENSH_IJSG_SG_EEES6_PlJNSB_9not_fun_tI7is_evenItEEEEEE10hipError_tPvRmT3_T4_T5_T6_T7_T9_mT8_P12ihipStream_tbDpT10_ENKUlT_T0_E_clISt17integral_constantIbLb0EES18_EEDaS13_S14_EUlS13_E_NS1_11comp_targetILNS1_3genE2ELNS1_11target_archE906ELNS1_3gpuE6ELNS1_3repE0EEENS1_30default_config_static_selectorELNS0_4arch9wavefront6targetE0EEEvT1_.uses_vcc, 0
	.set _ZN7rocprim17ROCPRIM_400000_NS6detail17trampoline_kernelINS0_14default_configENS1_25partition_config_selectorILNS1_17partition_subalgoE6EtNS0_10empty_typeEbEEZZNS1_14partition_implILS5_6ELb0ES3_mN6thrust23THRUST_200600_302600_NS6detail15normal_iteratorINSA_10device_ptrItEEEEPS6_SG_NS0_5tupleIJSF_S6_EEENSH_IJSG_SG_EEES6_PlJNSB_9not_fun_tI7is_evenItEEEEEE10hipError_tPvRmT3_T4_T5_T6_T7_T9_mT8_P12ihipStream_tbDpT10_ENKUlT_T0_E_clISt17integral_constantIbLb0EES18_EEDaS13_S14_EUlS13_E_NS1_11comp_targetILNS1_3genE2ELNS1_11target_archE906ELNS1_3gpuE6ELNS1_3repE0EEENS1_30default_config_static_selectorELNS0_4arch9wavefront6targetE0EEEvT1_.uses_flat_scratch, 0
	.set _ZN7rocprim17ROCPRIM_400000_NS6detail17trampoline_kernelINS0_14default_configENS1_25partition_config_selectorILNS1_17partition_subalgoE6EtNS0_10empty_typeEbEEZZNS1_14partition_implILS5_6ELb0ES3_mN6thrust23THRUST_200600_302600_NS6detail15normal_iteratorINSA_10device_ptrItEEEEPS6_SG_NS0_5tupleIJSF_S6_EEENSH_IJSG_SG_EEES6_PlJNSB_9not_fun_tI7is_evenItEEEEEE10hipError_tPvRmT3_T4_T5_T6_T7_T9_mT8_P12ihipStream_tbDpT10_ENKUlT_T0_E_clISt17integral_constantIbLb0EES18_EEDaS13_S14_EUlS13_E_NS1_11comp_targetILNS1_3genE2ELNS1_11target_archE906ELNS1_3gpuE6ELNS1_3repE0EEENS1_30default_config_static_selectorELNS0_4arch9wavefront6targetE0EEEvT1_.has_dyn_sized_stack, 0
	.set _ZN7rocprim17ROCPRIM_400000_NS6detail17trampoline_kernelINS0_14default_configENS1_25partition_config_selectorILNS1_17partition_subalgoE6EtNS0_10empty_typeEbEEZZNS1_14partition_implILS5_6ELb0ES3_mN6thrust23THRUST_200600_302600_NS6detail15normal_iteratorINSA_10device_ptrItEEEEPS6_SG_NS0_5tupleIJSF_S6_EEENSH_IJSG_SG_EEES6_PlJNSB_9not_fun_tI7is_evenItEEEEEE10hipError_tPvRmT3_T4_T5_T6_T7_T9_mT8_P12ihipStream_tbDpT10_ENKUlT_T0_E_clISt17integral_constantIbLb0EES18_EEDaS13_S14_EUlS13_E_NS1_11comp_targetILNS1_3genE2ELNS1_11target_archE906ELNS1_3gpuE6ELNS1_3repE0EEENS1_30default_config_static_selectorELNS0_4arch9wavefront6targetE0EEEvT1_.has_recursion, 0
	.set _ZN7rocprim17ROCPRIM_400000_NS6detail17trampoline_kernelINS0_14default_configENS1_25partition_config_selectorILNS1_17partition_subalgoE6EtNS0_10empty_typeEbEEZZNS1_14partition_implILS5_6ELb0ES3_mN6thrust23THRUST_200600_302600_NS6detail15normal_iteratorINSA_10device_ptrItEEEEPS6_SG_NS0_5tupleIJSF_S6_EEENSH_IJSG_SG_EEES6_PlJNSB_9not_fun_tI7is_evenItEEEEEE10hipError_tPvRmT3_T4_T5_T6_T7_T9_mT8_P12ihipStream_tbDpT10_ENKUlT_T0_E_clISt17integral_constantIbLb0EES18_EEDaS13_S14_EUlS13_E_NS1_11comp_targetILNS1_3genE2ELNS1_11target_archE906ELNS1_3gpuE6ELNS1_3repE0EEENS1_30default_config_static_selectorELNS0_4arch9wavefront6targetE0EEEvT1_.has_indirect_call, 0
	.section	.AMDGPU.csdata,"",@progbits
; Kernel info:
; codeLenInByte = 0
; TotalNumSgprs: 0
; NumVgprs: 0
; ScratchSize: 0
; MemoryBound: 0
; FloatMode: 240
; IeeeMode: 1
; LDSByteSize: 0 bytes/workgroup (compile time only)
; SGPRBlocks: 0
; VGPRBlocks: 0
; NumSGPRsForWavesPerEU: 1
; NumVGPRsForWavesPerEU: 1
; Occupancy: 16
; WaveLimiterHint : 0
; COMPUTE_PGM_RSRC2:SCRATCH_EN: 0
; COMPUTE_PGM_RSRC2:USER_SGPR: 2
; COMPUTE_PGM_RSRC2:TRAP_HANDLER: 0
; COMPUTE_PGM_RSRC2:TGID_X_EN: 1
; COMPUTE_PGM_RSRC2:TGID_Y_EN: 0
; COMPUTE_PGM_RSRC2:TGID_Z_EN: 0
; COMPUTE_PGM_RSRC2:TIDIG_COMP_CNT: 0
	.section	.text._ZN7rocprim17ROCPRIM_400000_NS6detail17trampoline_kernelINS0_14default_configENS1_25partition_config_selectorILNS1_17partition_subalgoE6EtNS0_10empty_typeEbEEZZNS1_14partition_implILS5_6ELb0ES3_mN6thrust23THRUST_200600_302600_NS6detail15normal_iteratorINSA_10device_ptrItEEEEPS6_SG_NS0_5tupleIJSF_S6_EEENSH_IJSG_SG_EEES6_PlJNSB_9not_fun_tI7is_evenItEEEEEE10hipError_tPvRmT3_T4_T5_T6_T7_T9_mT8_P12ihipStream_tbDpT10_ENKUlT_T0_E_clISt17integral_constantIbLb0EES18_EEDaS13_S14_EUlS13_E_NS1_11comp_targetILNS1_3genE10ELNS1_11target_archE1200ELNS1_3gpuE4ELNS1_3repE0EEENS1_30default_config_static_selectorELNS0_4arch9wavefront6targetE0EEEvT1_,"axG",@progbits,_ZN7rocprim17ROCPRIM_400000_NS6detail17trampoline_kernelINS0_14default_configENS1_25partition_config_selectorILNS1_17partition_subalgoE6EtNS0_10empty_typeEbEEZZNS1_14partition_implILS5_6ELb0ES3_mN6thrust23THRUST_200600_302600_NS6detail15normal_iteratorINSA_10device_ptrItEEEEPS6_SG_NS0_5tupleIJSF_S6_EEENSH_IJSG_SG_EEES6_PlJNSB_9not_fun_tI7is_evenItEEEEEE10hipError_tPvRmT3_T4_T5_T6_T7_T9_mT8_P12ihipStream_tbDpT10_ENKUlT_T0_E_clISt17integral_constantIbLb0EES18_EEDaS13_S14_EUlS13_E_NS1_11comp_targetILNS1_3genE10ELNS1_11target_archE1200ELNS1_3gpuE4ELNS1_3repE0EEENS1_30default_config_static_selectorELNS0_4arch9wavefront6targetE0EEEvT1_,comdat
	.protected	_ZN7rocprim17ROCPRIM_400000_NS6detail17trampoline_kernelINS0_14default_configENS1_25partition_config_selectorILNS1_17partition_subalgoE6EtNS0_10empty_typeEbEEZZNS1_14partition_implILS5_6ELb0ES3_mN6thrust23THRUST_200600_302600_NS6detail15normal_iteratorINSA_10device_ptrItEEEEPS6_SG_NS0_5tupleIJSF_S6_EEENSH_IJSG_SG_EEES6_PlJNSB_9not_fun_tI7is_evenItEEEEEE10hipError_tPvRmT3_T4_T5_T6_T7_T9_mT8_P12ihipStream_tbDpT10_ENKUlT_T0_E_clISt17integral_constantIbLb0EES18_EEDaS13_S14_EUlS13_E_NS1_11comp_targetILNS1_3genE10ELNS1_11target_archE1200ELNS1_3gpuE4ELNS1_3repE0EEENS1_30default_config_static_selectorELNS0_4arch9wavefront6targetE0EEEvT1_ ; -- Begin function _ZN7rocprim17ROCPRIM_400000_NS6detail17trampoline_kernelINS0_14default_configENS1_25partition_config_selectorILNS1_17partition_subalgoE6EtNS0_10empty_typeEbEEZZNS1_14partition_implILS5_6ELb0ES3_mN6thrust23THRUST_200600_302600_NS6detail15normal_iteratorINSA_10device_ptrItEEEEPS6_SG_NS0_5tupleIJSF_S6_EEENSH_IJSG_SG_EEES6_PlJNSB_9not_fun_tI7is_evenItEEEEEE10hipError_tPvRmT3_T4_T5_T6_T7_T9_mT8_P12ihipStream_tbDpT10_ENKUlT_T0_E_clISt17integral_constantIbLb0EES18_EEDaS13_S14_EUlS13_E_NS1_11comp_targetILNS1_3genE10ELNS1_11target_archE1200ELNS1_3gpuE4ELNS1_3repE0EEENS1_30default_config_static_selectorELNS0_4arch9wavefront6targetE0EEEvT1_
	.globl	_ZN7rocprim17ROCPRIM_400000_NS6detail17trampoline_kernelINS0_14default_configENS1_25partition_config_selectorILNS1_17partition_subalgoE6EtNS0_10empty_typeEbEEZZNS1_14partition_implILS5_6ELb0ES3_mN6thrust23THRUST_200600_302600_NS6detail15normal_iteratorINSA_10device_ptrItEEEEPS6_SG_NS0_5tupleIJSF_S6_EEENSH_IJSG_SG_EEES6_PlJNSB_9not_fun_tI7is_evenItEEEEEE10hipError_tPvRmT3_T4_T5_T6_T7_T9_mT8_P12ihipStream_tbDpT10_ENKUlT_T0_E_clISt17integral_constantIbLb0EES18_EEDaS13_S14_EUlS13_E_NS1_11comp_targetILNS1_3genE10ELNS1_11target_archE1200ELNS1_3gpuE4ELNS1_3repE0EEENS1_30default_config_static_selectorELNS0_4arch9wavefront6targetE0EEEvT1_
	.p2align	8
	.type	_ZN7rocprim17ROCPRIM_400000_NS6detail17trampoline_kernelINS0_14default_configENS1_25partition_config_selectorILNS1_17partition_subalgoE6EtNS0_10empty_typeEbEEZZNS1_14partition_implILS5_6ELb0ES3_mN6thrust23THRUST_200600_302600_NS6detail15normal_iteratorINSA_10device_ptrItEEEEPS6_SG_NS0_5tupleIJSF_S6_EEENSH_IJSG_SG_EEES6_PlJNSB_9not_fun_tI7is_evenItEEEEEE10hipError_tPvRmT3_T4_T5_T6_T7_T9_mT8_P12ihipStream_tbDpT10_ENKUlT_T0_E_clISt17integral_constantIbLb0EES18_EEDaS13_S14_EUlS13_E_NS1_11comp_targetILNS1_3genE10ELNS1_11target_archE1200ELNS1_3gpuE4ELNS1_3repE0EEENS1_30default_config_static_selectorELNS0_4arch9wavefront6targetE0EEEvT1_,@function
_ZN7rocprim17ROCPRIM_400000_NS6detail17trampoline_kernelINS0_14default_configENS1_25partition_config_selectorILNS1_17partition_subalgoE6EtNS0_10empty_typeEbEEZZNS1_14partition_implILS5_6ELb0ES3_mN6thrust23THRUST_200600_302600_NS6detail15normal_iteratorINSA_10device_ptrItEEEEPS6_SG_NS0_5tupleIJSF_S6_EEENSH_IJSG_SG_EEES6_PlJNSB_9not_fun_tI7is_evenItEEEEEE10hipError_tPvRmT3_T4_T5_T6_T7_T9_mT8_P12ihipStream_tbDpT10_ENKUlT_T0_E_clISt17integral_constantIbLb0EES18_EEDaS13_S14_EUlS13_E_NS1_11comp_targetILNS1_3genE10ELNS1_11target_archE1200ELNS1_3gpuE4ELNS1_3repE0EEENS1_30default_config_static_selectorELNS0_4arch9wavefront6targetE0EEEvT1_: ; @_ZN7rocprim17ROCPRIM_400000_NS6detail17trampoline_kernelINS0_14default_configENS1_25partition_config_selectorILNS1_17partition_subalgoE6EtNS0_10empty_typeEbEEZZNS1_14partition_implILS5_6ELb0ES3_mN6thrust23THRUST_200600_302600_NS6detail15normal_iteratorINSA_10device_ptrItEEEEPS6_SG_NS0_5tupleIJSF_S6_EEENSH_IJSG_SG_EEES6_PlJNSB_9not_fun_tI7is_evenItEEEEEE10hipError_tPvRmT3_T4_T5_T6_T7_T9_mT8_P12ihipStream_tbDpT10_ENKUlT_T0_E_clISt17integral_constantIbLb0EES18_EEDaS13_S14_EUlS13_E_NS1_11comp_targetILNS1_3genE10ELNS1_11target_archE1200ELNS1_3gpuE4ELNS1_3repE0EEENS1_30default_config_static_selectorELNS0_4arch9wavefront6targetE0EEEvT1_
; %bb.0:
	s_clause 0x3
	s_load_b128 s[12:15], s[0:1], 0x8
	s_load_b128 s[8:11], s[0:1], 0x40
	s_load_b32 s16, s[0:1], 0x68
	s_load_b64 s[2:3], s[0:1], 0x50
	s_mov_b32 s17, 0
	v_lshlrev_b32_e32 v17, 1, v0
	s_wait_kmcnt 0x0
	s_lshl_b64 s[4:5], s[14:15], 1
	s_load_b64 s[6:7], s[10:11], 0x0
	s_add_co_i32 s18, s16, -1
	s_mulk_i32 s16, 0x1b00
	s_add_nc_u64 s[10:11], s[12:13], s[4:5]
	s_add_nc_u64 s[4:5], s[14:15], s[16:17]
	s_add_co_i32 s12, s16, s14
	v_cmp_le_u64_e64 s3, s[2:3], s[4:5]
	s_sub_co_i32 s4, s2, s12
	s_cmp_eq_u32 ttmp9, s18
	s_mul_i32 s16, ttmp9, 0x1b00
	s_cselect_b32 s12, -1, 0
	s_mov_b32 s5, -1
	s_and_b32 s2, s12, s3
	s_wait_alu 0xfffe
	s_xor_b32 s13, s2, -1
	s_lshl_b64 s[2:3], s[16:17], 1
	s_and_b32 vcc_lo, exec_lo, s13
	s_wait_alu 0xfffe
	s_add_nc_u64 s[2:3], s[10:11], s[2:3]
	s_cbranch_vccz .LBB666_2
; %bb.1:
	s_wait_alu 0xfffe
	v_add_co_u32 v1, s5, s2, v17
	s_wait_alu 0xf1ff
	v_add_co_ci_u32_e64 v2, null, s3, 0, s5
	s_mov_b32 s5, 0
	s_clause 0x11
	flat_load_u16 v3, v[1:2]
	flat_load_u16 v4, v[1:2] offset:768
	flat_load_u16 v5, v[1:2] offset:1536
	;; [unrolled: 1-line block ×17, first 2 shown]
	s_wait_loadcnt_dscnt 0x1111
	ds_store_b16 v17, v3
	s_wait_loadcnt_dscnt 0x1011
	ds_store_b16 v17, v4 offset:768
	s_wait_loadcnt_dscnt 0xf11
	ds_store_b16 v17, v5 offset:1536
	;; [unrolled: 2-line block ×17, first 2 shown]
	s_wait_dscnt 0x0
	s_barrier_signal -1
	s_barrier_wait -1
.LBB666_2:
	s_wait_alu 0xfffe
	s_and_not1_b32 vcc_lo, exec_lo, s5
	s_addk_co_i32 s4, 0x1b00
	s_cbranch_vccnz .LBB666_40
; %bb.3:
	v_mov_b32_e32 v1, 0
	s_mov_b32 s5, exec_lo
	s_delay_alu instid0(VALU_DEP_1)
	v_dual_mov_b32 v2, v1 :: v_dual_mov_b32 v3, v1
	v_dual_mov_b32 v4, v1 :: v_dual_mov_b32 v5, v1
	;; [unrolled: 1-line block ×4, first 2 shown]
	s_wait_alu 0xfffe
	v_cmpx_gt_u32_e64 s4, v0
	s_cbranch_execz .LBB666_5
; %bb.4:
	v_add_co_u32 v3, s10, s2, v17
	s_delay_alu instid0(VALU_DEP_1)
	v_add_co_ci_u32_e64 v4, null, s3, 0, s10
	v_mov_b32_e32 v2, v1
	v_dual_mov_b32 v6, v1 :: v_dual_mov_b32 v7, v1
	v_dual_mov_b32 v5, v1 :: v_dual_mov_b32 v8, v1
	v_mov_b32_e32 v9, v1
	flat_load_d16_b16 v2, v[3:4]
	v_dual_mov_b32 v3, v1 :: v_dual_mov_b32 v4, v1
	v_mov_b32_e32 v10, v1
	s_wait_loadcnt_dscnt 0x0
	v_mov_b32_e32 v1, v2
	s_delay_alu instid0(VALU_DEP_3)
	v_mov_b32_e32 v2, v3
	v_mov_b32_e32 v3, v4
	;; [unrolled: 1-line block ×15, first 2 shown]
.LBB666_5:
	s_or_b32 exec_lo, exec_lo, s5
	v_add_nc_u32_e32 v10, 0x180, v0
	s_mov_b32 s5, exec_lo
	s_delay_alu instid0(VALU_DEP_1)
	v_cmpx_gt_u32_e64 s4, v10
	s_cbranch_execz .LBB666_7
; %bb.6:
	v_add_co_u32 v10, s10, s2, v17
	s_wait_alu 0xf1ff
	v_add_co_ci_u32_e64 v11, null, s3, 0, s10
	flat_load_d16_hi_b16 v1, v[10:11] offset:768
.LBB666_7:
	s_wait_alu 0xfffe
	s_or_b32 exec_lo, exec_lo, s5
	v_add_nc_u32_e32 v10, 0x300, v0
	s_mov_b32 s5, exec_lo
	s_delay_alu instid0(VALU_DEP_1)
	v_cmpx_gt_u32_e64 s4, v10
	s_cbranch_execz .LBB666_9
; %bb.8:
	v_add_co_u32 v10, s10, s2, v17
	s_wait_alu 0xf1ff
	v_add_co_ci_u32_e64 v11, null, s3, 0, s10
	flat_load_d16_b16 v2, v[10:11] offset:1536
.LBB666_9:
	s_wait_alu 0xfffe
	s_or_b32 exec_lo, exec_lo, s5
	v_add_nc_u32_e32 v10, 0x480, v0
	s_mov_b32 s5, exec_lo
	s_delay_alu instid0(VALU_DEP_1)
	v_cmpx_gt_u32_e64 s4, v10
	s_cbranch_execz .LBB666_11
; %bb.10:
	v_add_co_u32 v10, s10, s2, v17
	s_wait_alu 0xf1ff
	v_add_co_ci_u32_e64 v11, null, s3, 0, s10
	s_wait_loadcnt_dscnt 0x0
	flat_load_d16_hi_b16 v2, v[10:11] offset:2304
.LBB666_11:
	s_wait_alu 0xfffe
	s_or_b32 exec_lo, exec_lo, s5
	v_or_b32_e32 v10, 0x600, v0
	s_mov_b32 s5, exec_lo
	s_delay_alu instid0(VALU_DEP_1)
	v_cmpx_gt_u32_e64 s4, v10
	s_cbranch_execz .LBB666_13
; %bb.12:
	v_add_co_u32 v10, s10, s2, v17
	s_wait_alu 0xf1ff
	v_add_co_ci_u32_e64 v11, null, s3, 0, s10
	flat_load_d16_b16 v3, v[10:11] offset:3072
.LBB666_13:
	s_wait_alu 0xfffe
	s_or_b32 exec_lo, exec_lo, s5
	v_add_nc_u32_e32 v10, 0x780, v0
	s_mov_b32 s5, exec_lo
	s_delay_alu instid0(VALU_DEP_1)
	v_cmpx_gt_u32_e64 s4, v10
	s_cbranch_execz .LBB666_15
; %bb.14:
	v_add_co_u32 v10, s10, s2, v17
	s_wait_alu 0xf1ff
	v_add_co_ci_u32_e64 v11, null, s3, 0, s10
	s_wait_loadcnt_dscnt 0x0
	flat_load_d16_hi_b16 v3, v[10:11] offset:3840
.LBB666_15:
	s_wait_alu 0xfffe
	s_or_b32 exec_lo, exec_lo, s5
	v_add_nc_u32_e32 v10, 0x900, v0
	s_mov_b32 s5, exec_lo
	s_delay_alu instid0(VALU_DEP_1)
	v_cmpx_gt_u32_e64 s4, v10
	s_cbranch_execz .LBB666_17
; %bb.16:
	v_add_co_u32 v10, s10, s2, v17
	s_wait_alu 0xf1ff
	v_add_co_ci_u32_e64 v11, null, s3, 0, s10
	flat_load_d16_b16 v4, v[10:11] offset:4608
.LBB666_17:
	s_wait_alu 0xfffe
	s_or_b32 exec_lo, exec_lo, s5
	v_add_nc_u32_e32 v10, 0xa80, v0
	s_mov_b32 s5, exec_lo
	s_delay_alu instid0(VALU_DEP_1)
	v_cmpx_gt_u32_e64 s4, v10
	s_cbranch_execz .LBB666_19
; %bb.18:
	v_add_co_u32 v10, s10, s2, v17
	s_wait_alu 0xf1ff
	v_add_co_ci_u32_e64 v11, null, s3, 0, s10
	s_wait_loadcnt_dscnt 0x0
	flat_load_d16_hi_b16 v4, v[10:11] offset:5376
.LBB666_19:
	s_wait_alu 0xfffe
	s_or_b32 exec_lo, exec_lo, s5
	v_or_b32_e32 v10, 0xc00, v0
	s_mov_b32 s5, exec_lo
	s_delay_alu instid0(VALU_DEP_1)
	v_cmpx_gt_u32_e64 s4, v10
	s_cbranch_execz .LBB666_21
; %bb.20:
	v_add_co_u32 v10, s10, s2, v17
	s_wait_alu 0xf1ff
	v_add_co_ci_u32_e64 v11, null, s3, 0, s10
	flat_load_d16_b16 v5, v[10:11] offset:6144
.LBB666_21:
	s_wait_alu 0xfffe
	s_or_b32 exec_lo, exec_lo, s5
	v_add_nc_u32_e32 v10, 0xd80, v0
	s_mov_b32 s5, exec_lo
	s_delay_alu instid0(VALU_DEP_1)
	v_cmpx_gt_u32_e64 s4, v10
	s_cbranch_execz .LBB666_23
; %bb.22:
	v_add_co_u32 v10, s10, s2, v17
	s_wait_alu 0xf1ff
	v_add_co_ci_u32_e64 v11, null, s3, 0, s10
	s_wait_loadcnt_dscnt 0x0
	flat_load_d16_hi_b16 v5, v[10:11] offset:6912
.LBB666_23:
	;; [unrolled: 54-line block ×4, first 2 shown]
	s_wait_alu 0xfffe
	s_or_b32 exec_lo, exec_lo, s5
	s_wait_loadcnt_dscnt 0x0
	ds_store_b16 v17, v1
	ds_store_b16_d16_hi v17, v1 offset:768
	ds_store_b16 v17, v2 offset:1536
	ds_store_b16_d16_hi v17, v2 offset:2304
	ds_store_b16 v17, v3 offset:3072
	;; [unrolled: 2-line block ×8, first 2 shown]
	ds_store_b16_d16_hi v17, v9 offset:13056
	s_wait_dscnt 0x0
	s_barrier_signal -1
	s_barrier_wait -1
.LBB666_40:
	v_mul_u32_u24_e32 v1, 18, v0
	global_inv scope:SCOPE_SE
	s_and_not1_b32 vcc_lo, exec_lo, s13
	v_lshlrev_b32_e32 v2, 1, v1
	ds_load_b32 v53, v2 offset:32
	ds_load_2addr_b32 v[15:16], v2 offset1:1
	ds_load_2addr_b32 v[13:14], v2 offset0:2 offset1:3
	ds_load_2addr_b32 v[11:12], v2 offset0:4 offset1:5
	ds_load_2addr_b32 v[9:10], v2 offset0:6 offset1:7
	s_wait_loadcnt_dscnt 0x0
	s_barrier_signal -1
	s_barrier_wait -1
	global_inv scope:SCOPE_SE
	v_lshrrev_b32_e32 v54, 16, v53
	v_lshrrev_b32_e32 v17, 16, v15
	;; [unrolled: 1-line block ×9, first 2 shown]
	s_cbranch_vccnz .LBB666_42
; %bb.41:
	v_and_b32_e32 v20, 1, v8
	v_and_b32_e32 v18, 1, v7
	;; [unrolled: 1-line block ×5, first 2 shown]
	v_lshlrev_b16 v20, 8, v20
	v_and_b32_e32 v25, 1, v4
	v_lshlrev_b16 v18, 8, v18
	v_lshlrev_b16 v19, 8, v19
	;; [unrolled: 1-line block ×3, first 2 shown]
	v_lshrrev_b32_e32 v20, 8, v20
	v_lshlrev_b16 v23, 8, v23
	v_lshlrev_b16 v25, 8, v25
	v_and_b32_e32 v21, 1, v5
	v_and_b32_e32 v24, 1, v2
	v_lshrrev_b32_e32 v19, 8, v19
	v_lshrrev_b32_e32 v18, 8, v18
	v_and_b32_e32 v28, 1, v13
	v_lshlrev_b16 v20, 8, v20
	v_lshrrev_b32_e32 v25, 8, v25
	v_lshrrev_b32_e32 v23, 8, v23
	;; [unrolled: 1-line block ×3, first 2 shown]
	v_lshlrev_b16 v21, 8, v21
	v_lshlrev_b16 v24, 8, v24
	v_and_b32_e32 v26, 1, v15
	v_lshlrev_b16 v19, 8, v19
	v_and_b32_e32 v27, 1, v16
	v_lshlrev_b16 v18, 8, v18
	v_or_b32_e32 v20, v28, v20
	v_and_b32_e32 v28, 1, v14
	v_and_b32_e32 v29, 1, v11
	v_lshlrev_b16 v23, 8, v23
	v_and_b32_e32 v30, 1, v12
	v_lshlrev_b16 v22, 8, v22
	;; [unrolled: 2-line block ×3, first 2 shown]
	v_and_b32_e32 v32, 1, v10
	v_and_b32_e32 v55, 1, v54
	v_or_b32_e32 v19, v26, v19
	v_or_b32_e32 v18, v27, v18
	;; [unrolled: 1-line block ×7, first 2 shown]
	v_lshlrev_b16 v26, 8, v55
	v_and_b32_e32 v27, 1, v53
	v_and_b32_e32 v19, 0xffff, v19
	v_lshlrev_b32_e32 v18, 16, v18
	v_and_b32_e32 v20, 0xffff, v20
	v_lshlrev_b32_e32 v21, 16, v21
	;; [unrolled: 2-line block ×4, first 2 shown]
	v_or_b32_e32 v56, v27, v26
	v_or_b32_e32 v51, v19, v18
	;; [unrolled: 1-line block ×5, first 2 shown]
	s_cbranch_execz .LBB666_43
	s_branch .LBB666_44
.LBB666_42:
                                        ; implicit-def: $vgpr55
                                        ; implicit-def: $vgpr56
                                        ; implicit-def: $vgpr57
                                        ; implicit-def: $vgpr58
                                        ; implicit-def: $vgpr60
                                        ; implicit-def: $vgpr51
.LBB666_43:
	v_or_b32_e32 v18, 1, v1
	s_wait_alu 0xfffe
	v_cmp_gt_u32_e32 vcc_lo, s4, v1
	v_add_nc_u32_e32 v20, 3, v1
	v_add_nc_u32_e32 v21, 5, v1
	;; [unrolled: 1-line block ×4, first 2 shown]
	v_cndmask_b32_e64 v19, 0, 1, vcc_lo
	v_cmp_gt_u32_e32 vcc_lo, s4, v18
	v_add_nc_u32_e32 v24, 13, v1
	v_add_nc_u32_e32 v25, 12, v1
	;; [unrolled: 1-line block ×3, first 2 shown]
	v_and_b32_e32 v19, v19, v15
	s_wait_alu 0xfffd
	v_cndmask_b32_e64 v18, 0, 1, vcc_lo
	v_cmp_gt_u32_e32 vcc_lo, s4, v20
	v_add_nc_u32_e32 v27, 16, v1
	v_and_b32_e32 v19, 1, v19
	s_delay_alu instid0(VALU_DEP_4)
	v_and_b32_e32 v17, v18, v17
	s_wait_alu 0xfffd
	v_cndmask_b32_e64 v20, 0, 1, vcc_lo
	v_cmp_gt_u32_e32 vcc_lo, s4, v21
	v_add_nc_u32_e32 v21, 2, v1
	v_lshlrev_b16 v17, 8, v17
	s_delay_alu instid0(VALU_DEP_4)
	v_and_b32_e32 v7, v20, v7
	s_wait_alu 0xfffd
	v_cndmask_b32_e64 v18, 0, 1, vcc_lo
	v_cmp_gt_u32_e32 vcc_lo, s4, v22
	v_add_nc_u32_e32 v20, 9, v1
	v_add_nc_u32_e32 v22, 7, v1
	v_lshlrev_b16 v7, 8, v7
	v_and_b32_e32 v8, v18, v8
	s_wait_alu 0xfffd
	v_cndmask_b32_e64 v18, 0, 1, vcc_lo
	v_cmp_gt_u32_e32 vcc_lo, s4, v20
	v_lshrrev_b32_e32 v17, 8, v17
	v_lshrrev_b32_e32 v7, 8, v7
	v_lshlrev_b16 v8, 8, v8
	v_and_b32_e32 v18, v18, v13
	s_wait_alu 0xfffd
	v_cndmask_b32_e64 v20, 0, 1, vcc_lo
	v_cmp_gt_u32_e32 vcc_lo, s4, v22
	v_and_b32_e32 v7, 1, v7
	v_lshrrev_b32_e32 v8, 8, v8
	v_lshlrev_b16 v17, 8, v17
	v_and_b32_e32 v6, v20, v6
	s_wait_alu 0xfffd
	v_cndmask_b32_e64 v22, 0, 1, vcc_lo
	v_cmp_gt_u32_e32 vcc_lo, s4, v21
	v_lshlrev_b16 v7, 8, v7
	v_lshlrev_b16 v8, 8, v8
	;; [unrolled: 1-line block ×3, first 2 shown]
	v_and_b32_e32 v5, v22, v5
	s_wait_alu 0xfffd
	v_cndmask_b32_e32 v21, 0, v16, vcc_lo
	v_cmp_gt_u32_e32 vcc_lo, s4, v23
	v_add_nc_u32_e32 v22, 6, v1
	v_add_nc_u32_e32 v23, 11, v1
	v_lshlrev_b16 v5, 8, v5
	v_and_b32_e32 v21, 1, v21
	s_wait_alu 0xfffd
	v_cndmask_b32_e64 v20, 0, 1, vcc_lo
	v_cmp_gt_u32_e32 vcc_lo, s4, v22
	v_and_b32_e32 v18, 1, v18
	v_lshrrev_b32_e32 v5, 8, v5
	v_lshrrev_b32_e32 v6, 8, v6
	v_and_b32_e32 v20, v20, v11
	s_wait_alu 0xfffd
	v_cndmask_b32_e64 v22, 0, 1, vcc_lo
	v_cmp_gt_u32_e32 vcc_lo, s4, v23
	v_or_b32_e32 v17, v19, v17
	v_or_b32_e32 v7, v21, v7
	v_or_b32_e32 v8, v18, v8
	v_and_b32_e32 v22, v22, v14
	s_wait_alu 0xfffd
	v_cndmask_b32_e64 v23, 0, 1, vcc_lo
	v_cmp_gt_u32_e32 vcc_lo, s4, v24
	v_lshlrev_b16 v5, 8, v5
	v_lshlrev_b16 v6, 8, v6
	v_and_b32_e32 v18, 1, v22
	v_and_b32_e32 v3, v23, v3
	s_wait_alu 0xfffd
	v_cndmask_b32_e64 v24, 0, 1, vcc_lo
	v_cmp_gt_u32_e32 vcc_lo, s4, v25
	v_add_nc_u32_e32 v25, 14, v1
	v_and_b32_e32 v19, 1, v20
	v_lshlrev_b16 v3, 8, v3
	v_and_b32_e32 v4, v24, v4
	v_add_nc_u32_e32 v24, 10, v1
	s_wait_alu 0xfffd
	v_cndmask_b32_e64 v23, 0, 1, vcc_lo
	v_add_nc_u32_e32 v1, 17, v1
	v_lshrrev_b32_e32 v3, 8, v3
	v_lshlrev_b16 v4, 8, v4
	v_cmp_gt_u32_e32 vcc_lo, s4, v24
	v_and_b32_e32 v23, v23, v9
	v_or_b32_e32 v5, v18, v5
	v_and_b32_e32 v3, 1, v3
	v_lshrrev_b32_e32 v4, 8, v4
	s_wait_alu 0xfffd
	v_cndmask_b32_e32 v24, 0, v12, vcc_lo
	v_cmp_gt_u32_e32 vcc_lo, s4, v25
	v_and_b32_e32 v21, 1, v23
	v_lshlrev_b16 v3, 8, v3
	v_lshlrev_b16 v4, 8, v4
	v_and_b32_e32 v20, 1, v24
	s_wait_alu 0xfffd
	v_cndmask_b32_e64 v25, 0, 1, vcc_lo
	v_cmp_gt_u32_e32 vcc_lo, s4, v26
	v_or_b32_e32 v6, v19, v6
	v_or_b32_e32 v4, v21, v4
	v_or_b32_e32 v3, v20, v3
	v_and_b32_e32 v25, v25, v10
	s_wait_alu 0xfffd
	v_cndmask_b32_e64 v26, 0, 1, vcc_lo
	v_cmp_gt_u32_e32 vcc_lo, s4, v27
	v_and_b32_e32 v17, 0xffff, v17
	v_lshlrev_b32_e32 v7, 16, v7
	v_and_b32_e32 v8, 0xffff, v8
	v_and_b32_e32 v2, v26, v2
	s_wait_alu 0xfffd
	v_cndmask_b32_e64 v27, 0, 1, vcc_lo
	v_cmp_gt_u32_e32 vcc_lo, s4, v1
	v_lshlrev_b32_e32 v5, 16, v5
	v_and_b32_e32 v6, 0xffff, v6
	v_lshlrev_b16 v2, 8, v2
	v_lshlrev_b32_e32 v3, 16, v3
	s_wait_alu 0xfffd
	v_cndmask_b32_e64 v1, 0, 1, vcc_lo
	v_and_b32_e32 v4, 0xffff, v4
	v_and_b32_e32 v56, v27, v53
	v_or_b32_e32 v2, v25, v2
	v_or_b32_e32 v51, v17, v7
	v_and_b32_e32 v55, v1, v54
	v_or_b32_e32 v60, v8, v5
	v_or_b32_e32 v58, v6, v3
	v_lshlrev_b32_e32 v2, 16, v2
	s_delay_alu instid0(VALU_DEP_1)
	v_or_b32_e32 v57, v4, v2
.LBB666_44:
	v_dual_mov_b32 v2, 0 :: v_dual_and_b32 v27, 0xff, v51
	v_bfe_u32 v26, v51, 8, 8
	v_bfe_u32 v25, v51, 16, 8
	v_lshrrev_b32_e32 v63, 24, v51
	v_and_b32_e32 v33, 0xff, v60
	v_bfe_u32 v32, v60, 8, 8
	v_bfe_u32 v31, v60, 16, 8
	v_add3_u32 v1, v26, v27, v25
	v_lshrrev_b32_e32 v62, 24, v60
	v_and_b32_e32 v30, 0xff, v58
	v_bfe_u32 v29, v58, 8, 8
	v_bfe_u32 v28, v58, 16, 8
	v_add_co_u32 v1, s2, v1, v63
	s_wait_alu 0xf1ff
	v_add_co_ci_u32_e64 v3, null, 0, 0, s2
	v_lshrrev_b32_e32 v61, 24, v58
	s_delay_alu instid0(VALU_DEP_3) | instskip(SKIP_1) | instid1(VALU_DEP_3)
	v_add_co_u32 v1, vcc_lo, v1, v33
	s_wait_alu 0xfffd
	v_add_co_ci_u32_e64 v3, null, 0, v3, vcc_lo
	v_and_b32_e32 v66, 0xff, v57
	s_delay_alu instid0(VALU_DEP_3) | instskip(SKIP_1) | instid1(VALU_DEP_3)
	v_add_co_u32 v1, vcc_lo, v1, v32
	s_wait_alu 0xfffd
	v_add_co_ci_u32_e64 v3, null, 0, v3, vcc_lo
	v_bfe_u32 v65, v57, 8, 8
	s_delay_alu instid0(VALU_DEP_3) | instskip(SKIP_1) | instid1(VALU_DEP_3)
	v_add_co_u32 v1, vcc_lo, v1, v31
	s_wait_alu 0xfffd
	v_add_co_ci_u32_e64 v3, null, 0, v3, vcc_lo
	v_bfe_u32 v64, v57, 16, 8
	s_delay_alu instid0(VALU_DEP_3) | instskip(SKIP_1) | instid1(VALU_DEP_3)
	v_add_co_u32 v1, vcc_lo, v1, v62
	s_wait_alu 0xfffd
	v_add_co_ci_u32_e64 v3, null, 0, v3, vcc_lo
	v_lshrrev_b32_e32 v59, 24, v57
	s_delay_alu instid0(VALU_DEP_3) | instskip(SKIP_1) | instid1(VALU_DEP_3)
	v_add_co_u32 v1, vcc_lo, v1, v30
	s_wait_alu 0xfffd
	v_add_co_ci_u32_e64 v3, null, 0, v3, vcc_lo
	s_load_b64 s[10:11], s[0:1], 0x60
	v_add_co_u32 v1, vcc_lo, v1, v29
	s_wait_alu 0xfffd
	v_add_co_ci_u32_e64 v3, null, 0, v3, vcc_lo
	v_and_b32_e32 v52, 0xff, v56
	s_delay_alu instid0(VALU_DEP_3) | instskip(SKIP_1) | instid1(VALU_DEP_3)
	v_add_co_u32 v1, vcc_lo, v1, v28
	s_wait_alu 0xfffd
	v_add_co_ci_u32_e64 v3, null, 0, v3, vcc_lo
	v_mbcnt_lo_u32_b32 v34, -1, 0
	s_delay_alu instid0(VALU_DEP_3) | instskip(SKIP_1) | instid1(VALU_DEP_3)
	v_add_co_u32 v1, vcc_lo, v1, v61
	s_wait_alu 0xfffd
	v_add_co_ci_u32_e64 v3, null, 0, v3, vcc_lo
	v_and_b32_e32 v4, 0xff, v55
	s_delay_alu instid0(VALU_DEP_3) | instskip(SKIP_1) | instid1(VALU_DEP_3)
	v_add_co_u32 v1, vcc_lo, v1, v66
	s_wait_alu 0xfffd
	v_add_co_ci_u32_e64 v3, null, 0, v3, vcc_lo
	v_and_b32_e32 v35, 15, v34
	s_delay_alu instid0(VALU_DEP_3) | instskip(SKIP_1) | instid1(VALU_DEP_3)
	v_add_co_u32 v1, vcc_lo, v1, v65
	s_wait_alu 0xfffd
	v_add_co_ci_u32_e64 v3, null, 0, v3, vcc_lo
	s_delay_alu instid0(VALU_DEP_3) | instskip(NEXT) | instid1(VALU_DEP_3)
	v_cmp_ne_u32_e64 s2, 0, v35
	v_add_co_u32 v1, vcc_lo, v1, v64
	s_wait_alu 0xfffd
	s_delay_alu instid0(VALU_DEP_3)
	v_add_co_ci_u32_e64 v3, null, 0, v3, vcc_lo
	s_cmp_lg_u32 ttmp9, 0
	v_add_co_u32 v1, vcc_lo, v1, v59
	s_wait_alu 0xfffd
	v_add_co_ci_u32_e64 v3, null, 0, v3, vcc_lo
	s_mov_b32 s3, -1
	v_add_co_u32 v1, vcc_lo, v1, v52
	s_wait_alu 0xfffd
	v_add_co_ci_u32_e64 v3, null, 0, v3, vcc_lo
	s_delay_alu instid0(VALU_DEP_2) | instskip(SKIP_1) | instid1(VALU_DEP_2)
	v_add_co_u32 v17, vcc_lo, v1, v4
	s_wait_alu 0xfffd
	v_add_co_ci_u32_e64 v18, null, 0, v3, vcc_lo
	s_cbranch_scc0 .LBB666_103
; %bb.45:
	v_mov_b32_e32 v3, v17
	v_mov_b32_dpp v1, v17 row_shr:1 row_mask:0xf bank_mask:0xf
	v_mov_b32_dpp v6, v2 row_shr:1 row_mask:0xf bank_mask:0xf
	v_dual_mov_b32 v5, v17 :: v_dual_mov_b32 v4, v18
	s_and_saveexec_b32 s3, s2
; %bb.46:
	s_delay_alu instid0(VALU_DEP_3) | instskip(SKIP_2) | instid1(VALU_DEP_2)
	v_add_co_u32 v5, vcc_lo, v17, v1
	s_wait_alu 0xfffd
	v_add_co_ci_u32_e64 v2, null, 0, v18, vcc_lo
	v_add_co_u32 v1, vcc_lo, 0, v5
	s_wait_alu 0xfffd
	s_delay_alu instid0(VALU_DEP_2) | instskip(NEXT) | instid1(VALU_DEP_1)
	v_add_co_ci_u32_e64 v2, null, v6, v2, vcc_lo
	v_dual_mov_b32 v4, v2 :: v_dual_mov_b32 v3, v1
; %bb.47:
	s_wait_alu 0xfffe
	s_or_b32 exec_lo, exec_lo, s3
	v_mov_b32_dpp v1, v5 row_shr:2 row_mask:0xf bank_mask:0xf
	v_mov_b32_dpp v6, v2 row_shr:2 row_mask:0xf bank_mask:0xf
	v_cmp_lt_u32_e32 vcc_lo, 1, v35
	s_and_saveexec_b32 s4, vcc_lo
; %bb.48:
	s_delay_alu instid0(VALU_DEP_3) | instskip(SKIP_2) | instid1(VALU_DEP_2)
	v_add_co_u32 v5, s3, v3, v1
	s_wait_alu 0xf1ff
	v_add_co_ci_u32_e64 v2, null, 0, v4, s3
	v_add_co_u32 v1, s3, 0, v5
	s_wait_alu 0xf1ff
	s_delay_alu instid0(VALU_DEP_2) | instskip(NEXT) | instid1(VALU_DEP_1)
	v_add_co_ci_u32_e64 v2, null, v6, v2, s3
	v_dual_mov_b32 v4, v2 :: v_dual_mov_b32 v3, v1
; %bb.49:
	s_wait_alu 0xfffe
	s_or_b32 exec_lo, exec_lo, s4
	v_mov_b32_dpp v1, v5 row_shr:4 row_mask:0xf bank_mask:0xf
	v_mov_b32_dpp v6, v2 row_shr:4 row_mask:0xf bank_mask:0xf
	v_cmp_lt_u32_e64 s3, 3, v35
	s_and_saveexec_b32 s5, s3
; %bb.50:
	v_add_co_u32 v5, s4, v3, v1
	s_wait_alu 0xf1ff
	v_add_co_ci_u32_e64 v2, null, 0, v4, s4
	s_delay_alu instid0(VALU_DEP_2) | instskip(SKIP_1) | instid1(VALU_DEP_2)
	v_add_co_u32 v1, s4, 0, v5
	s_wait_alu 0xf1ff
	v_add_co_ci_u32_e64 v2, null, v6, v2, s4
	s_delay_alu instid0(VALU_DEP_1)
	v_dual_mov_b32 v4, v2 :: v_dual_mov_b32 v3, v1
; %bb.51:
	s_wait_alu 0xfffe
	s_or_b32 exec_lo, exec_lo, s5
	v_mov_b32_dpp v6, v5 row_shr:8 row_mask:0xf bank_mask:0xf
	v_mov_b32_dpp v1, v2 row_shr:8 row_mask:0xf bank_mask:0xf
	v_cmp_lt_u32_e64 s4, 7, v35
	s_and_saveexec_b32 s14, s4
; %bb.52:
	v_add_co_u32 v5, s5, v3, v6
	s_wait_alu 0xf1ff
	v_add_co_ci_u32_e64 v2, null, 0, v4, s5
	s_delay_alu instid0(VALU_DEP_2) | instskip(SKIP_1) | instid1(VALU_DEP_2)
	v_add_co_u32 v3, s5, 0, v5
	s_wait_alu 0xf1ff
	v_add_co_ci_u32_e64 v4, null, v1, v2, s5
	s_delay_alu instid0(VALU_DEP_1)
	v_mov_b32_e32 v2, v4
; %bb.53:
	s_or_b32 exec_lo, exec_lo, s14
	ds_swizzle_b32 v1, v5 offset:swizzle(BROADCAST,32,15)
	ds_swizzle_b32 v6, v2 offset:swizzle(BROADCAST,32,15)
	v_and_b32_e32 v7, 16, v34
	s_mov_b32 s14, exec_lo
	s_delay_alu instid0(VALU_DEP_1)
	v_cmpx_ne_u32_e32 0, v7
	s_cbranch_execz .LBB666_55
; %bb.54:
	s_wait_dscnt 0x1
	v_add_co_u32 v5, s5, v3, v1
	s_wait_alu 0xf1ff
	v_add_co_ci_u32_e64 v2, null, 0, v4, s5
	s_delay_alu instid0(VALU_DEP_2) | instskip(SKIP_2) | instid1(VALU_DEP_2)
	v_add_co_u32 v1, s5, 0, v5
	s_wait_dscnt 0x0
	s_wait_alu 0xf1ff
	v_add_co_ci_u32_e64 v2, null, v6, v2, s5
	s_delay_alu instid0(VALU_DEP_1)
	v_dual_mov_b32 v4, v2 :: v_dual_mov_b32 v3, v1
.LBB666_55:
	s_or_b32 exec_lo, exec_lo, s14
	s_wait_dscnt 0x1
	v_and_b32_e32 v1, 0x1e0, v0
	s_mov_b32 s14, exec_lo
	s_delay_alu instid0(VALU_DEP_1) | instskip(SKIP_1) | instid1(VALU_DEP_1)
	v_min_u32_e32 v1, 0x160, v1
	s_wait_dscnt 0x0
	v_or_b32_e32 v6, 31, v1
	v_lshrrev_b32_e32 v1, 5, v0
	s_delay_alu instid0(VALU_DEP_2)
	v_cmpx_eq_u32_e64 v0, v6
; %bb.56:
	s_delay_alu instid0(VALU_DEP_2)
	v_lshlrev_b32_e32 v6, 3, v1
	ds_store_b64 v6, v[3:4]
; %bb.57:
	s_or_b32 exec_lo, exec_lo, s14
	s_delay_alu instid0(SALU_CYCLE_1)
	s_mov_b32 s14, exec_lo
	s_wait_loadcnt_dscnt 0x0
	s_barrier_signal -1
	s_barrier_wait -1
	global_inv scope:SCOPE_SE
	v_cmpx_gt_u32_e32 12, v0
	s_cbranch_execz .LBB666_67
; %bb.58:
	v_lshlrev_b32_e32 v6, 3, v0
	ds_load_b64 v[3:4], v6
	s_wait_dscnt 0x0
	v_mov_b32_dpp v19, v3 row_shr:1 row_mask:0xf bank_mask:0xf
	v_mov_b32_dpp v8, v4 row_shr:1 row_mask:0xf bank_mask:0xf
	v_mov_b32_e32 v7, v3
	s_and_saveexec_b32 s15, s2
; %bb.59:
	s_delay_alu instid0(VALU_DEP_3) | instskip(SKIP_2) | instid1(VALU_DEP_2)
	v_add_co_u32 v7, s5, v3, v19
	s_wait_alu 0xf1ff
	v_add_co_ci_u32_e64 v4, null, 0, v4, s5
	v_add_co_u32 v3, s5, 0, v7
	s_wait_alu 0xf1ff
	s_delay_alu instid0(VALU_DEP_2)
	v_add_co_ci_u32_e64 v4, null, v8, v4, s5
; %bb.60:
	s_or_b32 exec_lo, exec_lo, s15
	v_mov_b32_dpp v19, v7 row_shr:2 row_mask:0xf bank_mask:0xf
	s_delay_alu instid0(VALU_DEP_2)
	v_mov_b32_dpp v8, v4 row_shr:2 row_mask:0xf bank_mask:0xf
	s_and_saveexec_b32 s5, vcc_lo
; %bb.61:
	s_delay_alu instid0(VALU_DEP_2) | instskip(SKIP_2) | instid1(VALU_DEP_2)
	v_add_co_u32 v7, vcc_lo, v3, v19
	s_wait_alu 0xfffd
	v_add_co_ci_u32_e64 v4, null, 0, v4, vcc_lo
	v_add_co_u32 v3, vcc_lo, 0, v7
	s_wait_alu 0xfffd
	s_delay_alu instid0(VALU_DEP_2)
	v_add_co_ci_u32_e64 v4, null, v8, v4, vcc_lo
; %bb.62:
	s_wait_alu 0xfffe
	s_or_b32 exec_lo, exec_lo, s5
	v_mov_b32_dpp v19, v7 row_shr:4 row_mask:0xf bank_mask:0xf
	s_delay_alu instid0(VALU_DEP_2)
	v_mov_b32_dpp v8, v4 row_shr:4 row_mask:0xf bank_mask:0xf
	s_and_saveexec_b32 s5, s3
; %bb.63:
	s_delay_alu instid0(VALU_DEP_2) | instskip(SKIP_2) | instid1(VALU_DEP_2)
	v_add_co_u32 v7, vcc_lo, v3, v19
	s_wait_alu 0xfffd
	v_add_co_ci_u32_e64 v4, null, 0, v4, vcc_lo
	v_add_co_u32 v3, vcc_lo, 0, v7
	s_wait_alu 0xfffd
	s_delay_alu instid0(VALU_DEP_2)
	v_add_co_ci_u32_e64 v4, null, v8, v4, vcc_lo
; %bb.64:
	s_wait_alu 0xfffe
	s_or_b32 exec_lo, exec_lo, s5
	v_mov_b32_dpp v8, v7 row_shr:8 row_mask:0xf bank_mask:0xf
	s_delay_alu instid0(VALU_DEP_2)
	v_mov_b32_dpp v7, v4 row_shr:8 row_mask:0xf bank_mask:0xf
	s_and_saveexec_b32 s3, s4
; %bb.65:
	s_delay_alu instid0(VALU_DEP_2) | instskip(SKIP_2) | instid1(VALU_DEP_2)
	v_add_co_u32 v3, vcc_lo, v3, v8
	s_wait_alu 0xfffd
	v_add_co_ci_u32_e64 v4, null, 0, v4, vcc_lo
	v_add_co_u32 v3, vcc_lo, v3, 0
	s_wait_alu 0xfffd
	s_delay_alu instid0(VALU_DEP_2)
	v_add_co_ci_u32_e64 v4, null, v4, v7, vcc_lo
; %bb.66:
	s_wait_alu 0xfffe
	s_or_b32 exec_lo, exec_lo, s3
	ds_store_b64 v6, v[3:4]
.LBB666_67:
	s_or_b32 exec_lo, exec_lo, s14
	s_delay_alu instid0(SALU_CYCLE_1)
	s_mov_b32 s4, exec_lo
	v_cmp_gt_u32_e32 vcc_lo, 32, v0
	s_wait_loadcnt_dscnt 0x0
	s_barrier_signal -1
	s_barrier_wait -1
	global_inv scope:SCOPE_SE
                                        ; implicit-def: $vgpr19_vgpr20
	v_cmpx_lt_u32_e32 31, v0
	s_cbranch_execz .LBB666_69
; %bb.68:
	v_lshl_add_u32 v1, v1, 3, -8
	ds_load_b64 v[19:20], v1
	s_wait_dscnt 0x0
	v_add_co_u32 v5, s3, v5, v19
	s_wait_alu 0xf1ff
	v_add_co_ci_u32_e64 v2, null, v2, v20, s3
.LBB666_69:
	s_wait_alu 0xfffe
	s_or_b32 exec_lo, exec_lo, s4
	v_sub_co_u32 v1, s3, v34, 1
	s_delay_alu instid0(VALU_DEP_1) | instskip(SKIP_1) | instid1(VALU_DEP_1)
	v_cmp_gt_i32_e64 s4, 0, v1
	s_wait_alu 0xf1ff
	v_cndmask_b32_e64 v1, v1, v34, s4
	s_delay_alu instid0(VALU_DEP_1)
	v_lshlrev_b32_e32 v1, 2, v1
	ds_bpermute_b32 v36, v1, v5
	ds_bpermute_b32 v37, v1, v2
	s_and_saveexec_b32 s4, vcc_lo
	s_cbranch_execz .LBB666_108
; %bb.70:
	v_mov_b32_e32 v4, 0
	ds_load_b64 v[1:2], v4 offset:88
	s_and_saveexec_b32 s5, s3
	s_cbranch_execz .LBB666_72
; %bb.71:
	s_add_co_i32 s14, ttmp9, 32
	s_mov_b32 s15, 0
	s_delay_alu instid0(SALU_CYCLE_1)
	s_lshl_b64 s[14:15], s[14:15], 4
	s_wait_kmcnt 0x0
	s_add_nc_u64 s[14:15], s[10:11], s[14:15]
	v_mov_b32_e32 v3, 1
	v_dual_mov_b32 v5, s14 :: v_dual_mov_b32 v6, s15
	s_wait_dscnt 0x0
	;;#ASMSTART
	global_store_b128 v[5:6], v[1:4] off scope:SCOPE_DEV	
s_wait_storecnt 0x0
	;;#ASMEND
.LBB666_72:
	s_wait_alu 0xfffe
	s_or_b32 exec_lo, exec_lo, s5
	v_xad_u32 v21, v34, -1, ttmp9
	s_mov_b32 s14, 0
	s_mov_b32 s5, exec_lo
	s_delay_alu instid0(VALU_DEP_1) | instskip(NEXT) | instid1(VALU_DEP_1)
	v_add_nc_u32_e32 v3, 32, v21
	v_lshlrev_b64_e32 v[3:4], 4, v[3:4]
	s_wait_kmcnt 0x0
	s_delay_alu instid0(VALU_DEP_1) | instskip(SKIP_1) | instid1(VALU_DEP_2)
	v_add_co_u32 v3, vcc_lo, s10, v3
	s_wait_alu 0xfffd
	v_add_co_ci_u32_e64 v4, null, s11, v4, vcc_lo
	;;#ASMSTART
	global_load_b128 v[5:8], v[3:4] off scope:SCOPE_DEV	
s_wait_loadcnt 0x0
	;;#ASMEND
	v_and_b32_e32 v8, 0xff, v7
	s_delay_alu instid0(VALU_DEP_1)
	v_cmpx_eq_u16_e32 0, v8
	s_cbranch_execz .LBB666_75
.LBB666_73:                             ; =>This Inner Loop Header: Depth=1
	;;#ASMSTART
	global_load_b128 v[5:8], v[3:4] off scope:SCOPE_DEV	
s_wait_loadcnt 0x0
	;;#ASMEND
	v_and_b32_e32 v8, 0xff, v7
	s_delay_alu instid0(VALU_DEP_1)
	v_cmp_ne_u16_e32 vcc_lo, 0, v8
	s_wait_alu 0xfffe
	s_or_b32 s14, vcc_lo, s14
	s_wait_alu 0xfffe
	s_and_not1_b32 exec_lo, exec_lo, s14
	s_cbranch_execnz .LBB666_73
; %bb.74:
	s_or_b32 exec_lo, exec_lo, s14
.LBB666_75:
	s_wait_alu 0xfffe
	s_or_b32 exec_lo, exec_lo, s5
	v_cmp_ne_u32_e32 vcc_lo, 31, v34
	v_and_b32_e32 v4, 0xff, v7
	v_lshlrev_b32_e64 v39, v34, -1
	s_mov_b32 s5, exec_lo
	s_wait_alu 0xfffd
	v_add_co_ci_u32_e64 v3, null, 0, v34, vcc_lo
	v_cmp_eq_u16_e32 vcc_lo, 2, v4
	v_mov_b32_e32 v4, v5
	s_delay_alu instid0(VALU_DEP_3)
	v_lshlrev_b32_e32 v38, 2, v3
	s_wait_alu 0xfffd
	v_and_or_b32 v3, vcc_lo, v39, 0x80000000
	ds_bpermute_b32 v22, v38, v5
	ds_bpermute_b32 v8, v38, v6
	v_ctz_i32_b32_e32 v3, v3
	s_delay_alu instid0(VALU_DEP_1)
	v_cmpx_lt_u32_e64 v34, v3
	s_cbranch_execz .LBB666_77
; %bb.76:
	s_wait_dscnt 0x1
	v_add_co_u32 v4, vcc_lo, v5, v22
	s_wait_alu 0xfffd
	v_add_co_ci_u32_e64 v6, null, 0, v6, vcc_lo
	s_delay_alu instid0(VALU_DEP_2) | instskip(SKIP_2) | instid1(VALU_DEP_2)
	v_add_co_u32 v5, vcc_lo, 0, v4
	s_wait_dscnt 0x0
	s_wait_alu 0xfffd
	v_add_co_ci_u32_e64 v6, null, v8, v6, vcc_lo
.LBB666_77:
	s_wait_alu 0xfffe
	s_or_b32 exec_lo, exec_lo, s5
	v_cmp_gt_u32_e32 vcc_lo, 30, v34
	v_add_nc_u32_e32 v41, 2, v34
	s_mov_b32 s5, exec_lo
	s_wait_dscnt 0x0
	s_wait_alu 0xfffd
	v_cndmask_b32_e64 v8, 0, 2, vcc_lo
	s_delay_alu instid0(VALU_DEP_1)
	v_add_lshl_u32 v40, v8, v34, 2
	ds_bpermute_b32 v22, v40, v4
	ds_bpermute_b32 v8, v40, v6
	v_cmpx_le_u32_e64 v41, v3
	s_cbranch_execz .LBB666_79
; %bb.78:
	s_wait_dscnt 0x1
	v_add_co_u32 v4, vcc_lo, v5, v22
	s_wait_alu 0xfffd
	v_add_co_ci_u32_e64 v6, null, 0, v6, vcc_lo
	s_delay_alu instid0(VALU_DEP_2) | instskip(SKIP_2) | instid1(VALU_DEP_2)
	v_add_co_u32 v5, vcc_lo, 0, v4
	s_wait_dscnt 0x0
	s_wait_alu 0xfffd
	v_add_co_ci_u32_e64 v6, null, v8, v6, vcc_lo
.LBB666_79:
	s_wait_alu 0xfffe
	s_or_b32 exec_lo, exec_lo, s5
	v_cmp_gt_u32_e32 vcc_lo, 28, v34
	v_add_nc_u32_e32 v43, 4, v34
	s_mov_b32 s5, exec_lo
	s_wait_dscnt 0x0
	s_wait_alu 0xfffd
	v_cndmask_b32_e64 v8, 0, 4, vcc_lo
	s_delay_alu instid0(VALU_DEP_1)
	v_add_lshl_u32 v42, v8, v34, 2
	ds_bpermute_b32 v22, v42, v4
	ds_bpermute_b32 v8, v42, v6
	v_cmpx_le_u32_e64 v43, v3
	;; [unrolled: 25-line block ×3, first 2 shown]
	s_cbranch_execz .LBB666_83
; %bb.82:
	s_wait_dscnt 0x1
	v_add_co_u32 v4, vcc_lo, v5, v22
	s_wait_alu 0xfffd
	v_add_co_ci_u32_e64 v6, null, 0, v6, vcc_lo
	s_delay_alu instid0(VALU_DEP_2) | instskip(SKIP_2) | instid1(VALU_DEP_2)
	v_add_co_u32 v5, vcc_lo, 0, v4
	s_wait_dscnt 0x0
	s_wait_alu 0xfffd
	v_add_co_ci_u32_e64 v6, null, v8, v6, vcc_lo
.LBB666_83:
	s_wait_alu 0xfffe
	s_or_b32 exec_lo, exec_lo, s5
	v_lshl_or_b32 v46, v34, 2, 64
	v_add_nc_u32_e32 v47, 16, v34
	s_mov_b32 s5, exec_lo
	s_wait_dscnt 0x0
	ds_bpermute_b32 v8, v46, v4
	ds_bpermute_b32 v4, v46, v6
	v_cmpx_le_u32_e64 v47, v3
	s_cbranch_execz .LBB666_85
; %bb.84:
	s_wait_dscnt 0x1
	v_add_co_u32 v3, vcc_lo, v5, v8
	s_wait_alu 0xfffd
	v_add_co_ci_u32_e64 v6, null, 0, v6, vcc_lo
	s_delay_alu instid0(VALU_DEP_2) | instskip(SKIP_2) | instid1(VALU_DEP_2)
	v_add_co_u32 v5, vcc_lo, v3, 0
	s_wait_dscnt 0x0
	s_wait_alu 0xfffd
	v_add_co_ci_u32_e64 v6, null, v6, v4, vcc_lo
.LBB666_85:
	s_wait_alu 0xfffe
	s_or_b32 exec_lo, exec_lo, s5
	v_mov_b32_e32 v22, 0
	s_branch .LBB666_88
.LBB666_86:                             ;   in Loop: Header=BB666_88 Depth=1
	s_wait_alu 0xfffe
	s_or_b32 exec_lo, exec_lo, s5
	v_add_co_u32 v5, vcc_lo, v5, v3
	v_subrev_nc_u32_e32 v21, 32, v21
	s_wait_alu 0xfffd
	v_add_co_ci_u32_e64 v6, null, v6, v4, vcc_lo
	s_mov_b32 s5, 0
.LBB666_87:                             ;   in Loop: Header=BB666_88 Depth=1
	s_wait_alu 0xfffe
	s_and_b32 vcc_lo, exec_lo, s5
	s_wait_alu 0xfffe
	s_cbranch_vccnz .LBB666_104
.LBB666_88:                             ; =>This Loop Header: Depth=1
                                        ;     Child Loop BB666_91 Depth 2
	v_and_b32_e32 v3, 0xff, v7
	s_mov_b32 s5, -1
	s_delay_alu instid0(VALU_DEP_1)
	v_cmp_ne_u16_e32 vcc_lo, 2, v3
	s_wait_dscnt 0x0
	v_dual_mov_b32 v3, v5 :: v_dual_mov_b32 v4, v6
                                        ; implicit-def: $vgpr5_vgpr6
	s_cmp_lg_u32 vcc_lo, exec_lo
	s_cbranch_scc1 .LBB666_87
; %bb.89:                               ;   in Loop: Header=BB666_88 Depth=1
	v_lshlrev_b64_e32 v[5:6], 4, v[21:22]
	s_mov_b32 s5, exec_lo
	s_delay_alu instid0(VALU_DEP_1) | instskip(SKIP_1) | instid1(VALU_DEP_2)
	v_add_co_u32 v23, vcc_lo, s10, v5
	s_wait_alu 0xfffd
	v_add_co_ci_u32_e64 v24, null, s11, v6, vcc_lo
	;;#ASMSTART
	global_load_b128 v[5:8], v[23:24] off scope:SCOPE_DEV	
s_wait_loadcnt 0x0
	;;#ASMEND
	v_and_b32_e32 v8, 0xff, v7
	s_delay_alu instid0(VALU_DEP_1)
	v_cmpx_eq_u16_e32 0, v8
	s_cbranch_execz .LBB666_93
; %bb.90:                               ;   in Loop: Header=BB666_88 Depth=1
	s_mov_b32 s14, 0
.LBB666_91:                             ;   Parent Loop BB666_88 Depth=1
                                        ; =>  This Inner Loop Header: Depth=2
	;;#ASMSTART
	global_load_b128 v[5:8], v[23:24] off scope:SCOPE_DEV	
s_wait_loadcnt 0x0
	;;#ASMEND
	v_and_b32_e32 v8, 0xff, v7
	s_delay_alu instid0(VALU_DEP_1)
	v_cmp_ne_u16_e32 vcc_lo, 0, v8
	s_wait_alu 0xfffe
	s_or_b32 s14, vcc_lo, s14
	s_wait_alu 0xfffe
	s_and_not1_b32 exec_lo, exec_lo, s14
	s_cbranch_execnz .LBB666_91
; %bb.92:                               ;   in Loop: Header=BB666_88 Depth=1
	s_or_b32 exec_lo, exec_lo, s14
.LBB666_93:                             ;   in Loop: Header=BB666_88 Depth=1
	s_wait_alu 0xfffe
	s_or_b32 exec_lo, exec_lo, s5
	v_dual_mov_b32 v23, v5 :: v_dual_and_b32 v8, 0xff, v7
	ds_bpermute_b32 v48, v38, v5
	ds_bpermute_b32 v24, v38, v6
	s_mov_b32 s5, exec_lo
	v_cmp_eq_u16_e32 vcc_lo, 2, v8
	s_wait_alu 0xfffd
	v_and_or_b32 v8, vcc_lo, v39, 0x80000000
	s_delay_alu instid0(VALU_DEP_1) | instskip(NEXT) | instid1(VALU_DEP_1)
	v_ctz_i32_b32_e32 v8, v8
	v_cmpx_lt_u32_e64 v34, v8
	s_cbranch_execz .LBB666_95
; %bb.94:                               ;   in Loop: Header=BB666_88 Depth=1
	s_wait_dscnt 0x1
	v_add_co_u32 v23, vcc_lo, v5, v48
	s_wait_alu 0xfffd
	v_add_co_ci_u32_e64 v6, null, 0, v6, vcc_lo
	s_delay_alu instid0(VALU_DEP_2) | instskip(SKIP_2) | instid1(VALU_DEP_2)
	v_add_co_u32 v5, vcc_lo, 0, v23
	s_wait_dscnt 0x0
	s_wait_alu 0xfffd
	v_add_co_ci_u32_e64 v6, null, v24, v6, vcc_lo
.LBB666_95:                             ;   in Loop: Header=BB666_88 Depth=1
	s_wait_alu 0xfffe
	s_or_b32 exec_lo, exec_lo, s5
	s_wait_dscnt 0x1
	ds_bpermute_b32 v48, v40, v23
	s_wait_dscnt 0x1
	ds_bpermute_b32 v24, v40, v6
	s_mov_b32 s5, exec_lo
	v_cmpx_le_u32_e64 v41, v8
	s_cbranch_execz .LBB666_97
; %bb.96:                               ;   in Loop: Header=BB666_88 Depth=1
	s_wait_dscnt 0x1
	v_add_co_u32 v23, vcc_lo, v5, v48
	s_wait_alu 0xfffd
	v_add_co_ci_u32_e64 v6, null, 0, v6, vcc_lo
	s_delay_alu instid0(VALU_DEP_2) | instskip(SKIP_2) | instid1(VALU_DEP_2)
	v_add_co_u32 v5, vcc_lo, 0, v23
	s_wait_dscnt 0x0
	s_wait_alu 0xfffd
	v_add_co_ci_u32_e64 v6, null, v24, v6, vcc_lo
.LBB666_97:                             ;   in Loop: Header=BB666_88 Depth=1
	s_wait_alu 0xfffe
	s_or_b32 exec_lo, exec_lo, s5
	s_wait_dscnt 0x1
	ds_bpermute_b32 v48, v42, v23
	s_wait_dscnt 0x1
	ds_bpermute_b32 v24, v42, v6
	s_mov_b32 s5, exec_lo
	v_cmpx_le_u32_e64 v43, v8
	;; [unrolled: 20-line block ×3, first 2 shown]
	s_cbranch_execz .LBB666_101
; %bb.100:                              ;   in Loop: Header=BB666_88 Depth=1
	s_wait_dscnt 0x1
	v_add_co_u32 v23, vcc_lo, v5, v48
	s_wait_alu 0xfffd
	v_add_co_ci_u32_e64 v6, null, 0, v6, vcc_lo
	s_delay_alu instid0(VALU_DEP_2) | instskip(SKIP_2) | instid1(VALU_DEP_2)
	v_add_co_u32 v5, vcc_lo, 0, v23
	s_wait_dscnt 0x0
	s_wait_alu 0xfffd
	v_add_co_ci_u32_e64 v6, null, v24, v6, vcc_lo
.LBB666_101:                            ;   in Loop: Header=BB666_88 Depth=1
	s_wait_alu 0xfffe
	s_or_b32 exec_lo, exec_lo, s5
	s_wait_dscnt 0x0
	ds_bpermute_b32 v24, v46, v23
	ds_bpermute_b32 v23, v46, v6
	s_mov_b32 s5, exec_lo
	v_cmpx_le_u32_e64 v47, v8
	s_cbranch_execz .LBB666_86
; %bb.102:                              ;   in Loop: Header=BB666_88 Depth=1
	s_wait_dscnt 0x1
	v_add_co_u32 v5, vcc_lo, v5, v24
	s_wait_alu 0xfffd
	v_add_co_ci_u32_e64 v6, null, 0, v6, vcc_lo
	s_delay_alu instid0(VALU_DEP_2) | instskip(SKIP_2) | instid1(VALU_DEP_2)
	v_add_co_u32 v5, vcc_lo, v5, 0
	s_wait_dscnt 0x0
	s_wait_alu 0xfffd
	v_add_co_ci_u32_e64 v6, null, v6, v23, vcc_lo
	s_branch .LBB666_86
.LBB666_103:
                                        ; implicit-def: $vgpr4_vgpr5
                                        ; implicit-def: $vgpr39_vgpr40
	s_load_b64 s[4:5], s[0:1], 0x28
	s_and_b32 vcc_lo, exec_lo, s3
	s_wait_alu 0xfffe
	s_cbranch_vccnz .LBB666_109
	s_branch .LBB666_136
.LBB666_104:
	s_and_saveexec_b32 s5, s3
	s_cbranch_execz .LBB666_106
; %bb.105:
	s_add_co_i32 s14, ttmp9, 32
	s_mov_b32 s15, 0
	v_add_co_u32 v5, vcc_lo, v3, v1
	s_wait_alu 0xfffe
	s_lshl_b64 s[14:15], s[14:15], 4
	v_dual_mov_b32 v7, 2 :: v_dual_mov_b32 v8, 0
	s_wait_alu 0xfffe
	s_add_nc_u64 s[14:15], s[10:11], s[14:15]
	s_wait_alu 0xfffd
	v_add_co_ci_u32_e64 v6, null, v4, v2, vcc_lo
	s_wait_alu 0xfffe
	v_dual_mov_b32 v22, s15 :: v_dual_mov_b32 v21, s14
	;;#ASMSTART
	global_store_b128 v[21:22], v[5:8] off scope:SCOPE_DEV	
s_wait_storecnt 0x0
	;;#ASMEND
	ds_store_b128 v8, v[1:4] offset:13824
.LBB666_106:
	s_wait_alu 0xfffe
	s_or_b32 exec_lo, exec_lo, s5
	v_cmp_eq_u32_e32 vcc_lo, 0, v0
	s_and_b32 exec_lo, exec_lo, vcc_lo
; %bb.107:
	v_mov_b32_e32 v1, 0
	ds_store_b64 v1, v[3:4] offset:88
.LBB666_108:
	s_wait_alu 0xfffe
	s_or_b32 exec_lo, exec_lo, s4
	s_wait_dscnt 0x0
	v_cndmask_b32_e64 v8, v37, v20, s3
	v_cmp_ne_u32_e32 vcc_lo, 0, v0
	v_mov_b32_e32 v1, 0
	s_wait_loadcnt 0x0
	s_barrier_signal -1
	s_barrier_wait -1
	global_inv scope:SCOPE_SE
	s_wait_alu 0xfffd
	v_cndmask_b32_e32 v8, 0, v8, vcc_lo
	ds_load_b64 v[6:7], v1 offset:88
	s_wait_loadcnt_dscnt 0x0
	s_barrier_signal -1
	s_barrier_wait -1
	global_inv scope:SCOPE_SE
	ds_load_b128 v[2:5], v1 offset:13824
	v_cndmask_b32_e64 v1, v36, v19, s3
	s_delay_alu instid0(VALU_DEP_1) | instskip(NEXT) | instid1(VALU_DEP_1)
	v_cndmask_b32_e32 v1, 0, v1, vcc_lo
	v_add_co_u32 v39, vcc_lo, v6, v1
	s_wait_alu 0xfffd
	v_add_co_ci_u32_e64 v40, null, v7, v8, vcc_lo
	s_load_b64 s[4:5], s[0:1], 0x28
	s_branch .LBB666_136
.LBB666_109:
	s_wait_dscnt 0x0
	v_dual_mov_b32 v2, 0 :: v_dual_mov_b32 v3, v17
	v_mov_b32_dpp v4, v17 row_shr:1 row_mask:0xf bank_mask:0xf
	s_delay_alu instid0(VALU_DEP_2)
	v_mov_b32_dpp v1, v2 row_shr:1 row_mask:0xf bank_mask:0xf
	s_and_saveexec_b32 s0, s2
; %bb.110:
	s_delay_alu instid0(VALU_DEP_2) | instskip(SKIP_2) | instid1(VALU_DEP_2)
	v_add_co_u32 v3, vcc_lo, v17, v4
	s_wait_alu 0xfffd
	v_add_co_ci_u32_e64 v2, null, 0, v18, vcc_lo
	v_add_co_u32 v17, vcc_lo, 0, v3
	s_wait_alu 0xfffd
	s_delay_alu instid0(VALU_DEP_2) | instskip(NEXT) | instid1(VALU_DEP_1)
	v_add_co_ci_u32_e64 v18, null, v1, v2, vcc_lo
	v_mov_b32_e32 v2, v18
; %bb.111:
	s_or_b32 exec_lo, exec_lo, s0
	v_mov_b32_dpp v1, v3 row_shr:2 row_mask:0xf bank_mask:0xf
	s_delay_alu instid0(VALU_DEP_2)
	v_mov_b32_dpp v4, v2 row_shr:2 row_mask:0xf bank_mask:0xf
	v_cmp_lt_u32_e32 vcc_lo, 1, v35
	s_and_saveexec_b32 s1, vcc_lo
; %bb.112:
	s_delay_alu instid0(VALU_DEP_3) | instskip(NEXT) | instid1(VALU_DEP_1)
	v_add_co_u32 v3, s0, v17, v1
	v_add_co_ci_u32_e64 v2, null, 0, v18, s0
	s_delay_alu instid0(VALU_DEP_2) | instskip(SKIP_1) | instid1(VALU_DEP_2)
	v_add_co_u32 v1, s0, 0, v3
	s_wait_alu 0xf1ff
	v_add_co_ci_u32_e64 v2, null, v4, v2, s0
	s_delay_alu instid0(VALU_DEP_1)
	v_dual_mov_b32 v18, v2 :: v_dual_mov_b32 v17, v1
; %bb.113:
	s_or_b32 exec_lo, exec_lo, s1
	v_mov_b32_dpp v1, v3 row_shr:4 row_mask:0xf bank_mask:0xf
	v_mov_b32_dpp v4, v2 row_shr:4 row_mask:0xf bank_mask:0xf
	v_cmp_lt_u32_e64 s0, 3, v35
	s_and_saveexec_b32 s3, s0
; %bb.114:
	v_add_co_u32 v3, s1, v17, v1
	s_wait_alu 0xf1ff
	v_add_co_ci_u32_e64 v2, null, 0, v18, s1
	s_delay_alu instid0(VALU_DEP_2) | instskip(SKIP_1) | instid1(VALU_DEP_2)
	v_add_co_u32 v1, s1, 0, v3
	s_wait_alu 0xf1ff
	v_add_co_ci_u32_e64 v2, null, v4, v2, s1
	s_delay_alu instid0(VALU_DEP_1)
	v_dual_mov_b32 v18, v2 :: v_dual_mov_b32 v17, v1
; %bb.115:
	s_wait_alu 0xfffe
	s_or_b32 exec_lo, exec_lo, s3
	v_mov_b32_dpp v4, v3 row_shr:8 row_mask:0xf bank_mask:0xf
	v_mov_b32_dpp v1, v2 row_shr:8 row_mask:0xf bank_mask:0xf
	v_cmp_lt_u32_e64 s1, 7, v35
	s_and_saveexec_b32 s14, s1
; %bb.116:
	v_add_co_u32 v3, s3, v17, v4
	s_wait_alu 0xf1ff
	v_add_co_ci_u32_e64 v2, null, 0, v18, s3
	s_delay_alu instid0(VALU_DEP_2) | instskip(SKIP_1) | instid1(VALU_DEP_2)
	v_add_co_u32 v17, s3, 0, v3
	s_wait_alu 0xf1ff
	v_add_co_ci_u32_e64 v18, null, v1, v2, s3
	s_delay_alu instid0(VALU_DEP_1)
	v_mov_b32_e32 v2, v18
; %bb.117:
	s_or_b32 exec_lo, exec_lo, s14
	ds_swizzle_b32 v3, v3 offset:swizzle(BROADCAST,32,15)
	ds_swizzle_b32 v1, v2 offset:swizzle(BROADCAST,32,15)
	v_and_b32_e32 v2, 16, v34
	s_mov_b32 s14, exec_lo
	s_delay_alu instid0(VALU_DEP_1)
	v_cmpx_ne_u32_e32 0, v2
	s_cbranch_execz .LBB666_119
; %bb.118:
	s_wait_dscnt 0x1
	v_add_co_u32 v2, s3, v17, v3
	s_wait_alu 0xf1ff
	v_add_co_ci_u32_e64 v3, null, 0, v18, s3
	s_delay_alu instid0(VALU_DEP_2) | instskip(SKIP_2) | instid1(VALU_DEP_2)
	v_add_co_u32 v17, s3, v2, 0
	s_wait_dscnt 0x0
	s_wait_alu 0xf1ff
	v_add_co_ci_u32_e64 v18, null, v3, v1, s3
.LBB666_119:
	s_or_b32 exec_lo, exec_lo, s14
	s_wait_dscnt 0x0
	v_and_b32_e32 v1, 0x1e0, v0
	v_lshrrev_b32_e32 v3, 5, v0
	s_mov_b32 s14, exec_lo
	s_delay_alu instid0(VALU_DEP_2) | instskip(NEXT) | instid1(VALU_DEP_1)
	v_min_u32_e32 v1, 0x160, v1
	v_or_b32_e32 v1, 31, v1
	s_delay_alu instid0(VALU_DEP_1)
	v_cmpx_eq_u32_e64 v0, v1
; %bb.120:
	v_lshlrev_b32_e32 v1, 3, v3
	ds_store_b64 v1, v[17:18]
; %bb.121:
	s_or_b32 exec_lo, exec_lo, s14
	s_delay_alu instid0(SALU_CYCLE_1)
	s_mov_b32 s14, exec_lo
	s_wait_loadcnt_dscnt 0x0
	s_barrier_signal -1
	s_barrier_wait -1
	global_inv scope:SCOPE_SE
	v_cmpx_gt_u32_e32 12, v0
	s_cbranch_execz .LBB666_131
; %bb.122:
	v_lshlrev_b32_e32 v4, 3, v0
	ds_load_b64 v[1:2], v4
	s_wait_dscnt 0x0
	v_mov_b32_dpp v7, v1 row_shr:1 row_mask:0xf bank_mask:0xf
	v_mov_b32_dpp v6, v2 row_shr:1 row_mask:0xf bank_mask:0xf
	v_mov_b32_e32 v5, v1
	s_and_saveexec_b32 s3, s2
; %bb.123:
	s_delay_alu instid0(VALU_DEP_3) | instskip(SKIP_2) | instid1(VALU_DEP_2)
	v_add_co_u32 v5, s2, v1, v7
	s_wait_alu 0xf1ff
	v_add_co_ci_u32_e64 v2, null, 0, v2, s2
	v_add_co_u32 v1, s2, 0, v5
	s_wait_alu 0xf1ff
	s_delay_alu instid0(VALU_DEP_2)
	v_add_co_ci_u32_e64 v2, null, v6, v2, s2
; %bb.124:
	s_wait_alu 0xfffe
	s_or_b32 exec_lo, exec_lo, s3
	v_mov_b32_dpp v7, v5 row_shr:2 row_mask:0xf bank_mask:0xf
	s_delay_alu instid0(VALU_DEP_2)
	v_mov_b32_dpp v6, v2 row_shr:2 row_mask:0xf bank_mask:0xf
	s_and_saveexec_b32 s2, vcc_lo
; %bb.125:
	s_delay_alu instid0(VALU_DEP_2) | instskip(SKIP_2) | instid1(VALU_DEP_2)
	v_add_co_u32 v5, vcc_lo, v1, v7
	s_wait_alu 0xfffd
	v_add_co_ci_u32_e64 v2, null, 0, v2, vcc_lo
	v_add_co_u32 v1, vcc_lo, 0, v5
	s_wait_alu 0xfffd
	s_delay_alu instid0(VALU_DEP_2)
	v_add_co_ci_u32_e64 v2, null, v6, v2, vcc_lo
; %bb.126:
	s_wait_alu 0xfffe
	s_or_b32 exec_lo, exec_lo, s2
	v_mov_b32_dpp v7, v5 row_shr:4 row_mask:0xf bank_mask:0xf
	s_delay_alu instid0(VALU_DEP_2)
	v_mov_b32_dpp v6, v2 row_shr:4 row_mask:0xf bank_mask:0xf
	s_and_saveexec_b32 s2, s0
; %bb.127:
	s_delay_alu instid0(VALU_DEP_2) | instskip(SKIP_2) | instid1(VALU_DEP_2)
	v_add_co_u32 v5, vcc_lo, v1, v7
	s_wait_alu 0xfffd
	v_add_co_ci_u32_e64 v2, null, 0, v2, vcc_lo
	v_add_co_u32 v1, vcc_lo, 0, v5
	s_wait_alu 0xfffd
	s_delay_alu instid0(VALU_DEP_2)
	v_add_co_ci_u32_e64 v2, null, v6, v2, vcc_lo
; %bb.128:
	s_wait_alu 0xfffe
	s_or_b32 exec_lo, exec_lo, s2
	v_mov_b32_dpp v6, v5 row_shr:8 row_mask:0xf bank_mask:0xf
	s_delay_alu instid0(VALU_DEP_2)
	v_mov_b32_dpp v5, v2 row_shr:8 row_mask:0xf bank_mask:0xf
	s_and_saveexec_b32 s0, s1
; %bb.129:
	s_delay_alu instid0(VALU_DEP_2) | instskip(SKIP_2) | instid1(VALU_DEP_2)
	v_add_co_u32 v1, vcc_lo, v1, v6
	s_wait_alu 0xfffd
	v_add_co_ci_u32_e64 v2, null, 0, v2, vcc_lo
	v_add_co_u32 v1, vcc_lo, v1, 0
	s_wait_alu 0xfffd
	s_delay_alu instid0(VALU_DEP_2)
	v_add_co_ci_u32_e64 v2, null, v2, v5, vcc_lo
; %bb.130:
	s_wait_alu 0xfffe
	s_or_b32 exec_lo, exec_lo, s0
	ds_store_b64 v4, v[1:2]
.LBB666_131:
	s_or_b32 exec_lo, exec_lo, s14
	v_mov_b32_e32 v6, 0
	v_mov_b32_e32 v7, 0
	s_mov_b32 s0, exec_lo
	s_wait_loadcnt_dscnt 0x0
	s_barrier_signal -1
	s_barrier_wait -1
	global_inv scope:SCOPE_SE
	v_cmpx_lt_u32_e32 31, v0
; %bb.132:
	v_lshl_add_u32 v1, v3, 3, -8
	ds_load_b64 v[6:7], v1
; %bb.133:
	s_wait_alu 0xfffe
	s_or_b32 exec_lo, exec_lo, s0
	v_sub_co_u32 v1, vcc_lo, v34, 1
	v_mov_b32_e32 v5, 0
	s_delay_alu instid0(VALU_DEP_2) | instskip(SKIP_1) | instid1(VALU_DEP_1)
	v_cmp_gt_i32_e64 s0, 0, v1
	s_wait_alu 0xf1ff
	v_cndmask_b32_e64 v1, v1, v34, s0
	s_delay_alu instid0(VALU_DEP_1)
	v_lshlrev_b32_e32 v2, 2, v1
	s_wait_dscnt 0x0
	v_add_co_u32 v1, s0, v6, v17
	s_wait_alu 0xf1ff
	v_add_co_ci_u32_e64 v3, null, v7, v18, s0
	v_cmp_eq_u32_e64 s0, 0, v0
	ds_bpermute_b32 v1, v2, v1
	ds_bpermute_b32 v8, v2, v3
	ds_load_b64 v[2:3], v5 offset:88
	s_and_saveexec_b32 s1, s0
	s_cbranch_execz .LBB666_135
; %bb.134:
	s_wait_kmcnt 0x0
	s_add_nc_u64 s[2:3], s[10:11], 0x200
	v_mov_b32_e32 v4, 2
	s_wait_alu 0xfffe
	v_dual_mov_b32 v18, s3 :: v_dual_mov_b32 v17, s2
	s_wait_dscnt 0x0
	;;#ASMSTART
	global_store_b128 v[17:18], v[2:5] off scope:SCOPE_DEV	
s_wait_storecnt 0x0
	;;#ASMEND
.LBB666_135:
	s_wait_alu 0xfffe
	s_or_b32 exec_lo, exec_lo, s1
	s_wait_dscnt 0x1
	s_wait_alu 0xfffd
	v_dual_cndmask_b32 v7, v8, v7 :: v_dual_mov_b32 v4, 0
	v_cndmask_b32_e32 v1, v1, v6, vcc_lo
	v_mov_b32_e32 v5, 0
	s_wait_loadcnt_dscnt 0x0
	s_delay_alu instid0(VALU_DEP_3)
	v_cndmask_b32_e64 v40, v7, 0, s0
	s_barrier_signal -1
	v_cndmask_b32_e64 v39, v1, 0, s0
	s_barrier_wait -1
	global_inv scope:SCOPE_SE
.LBB666_136:
	v_add_co_u32 v49, vcc_lo, v39, v27
	s_wait_alu 0xfffd
	v_add_co_ci_u32_e64 v50, null, 0, v40, vcc_lo
	v_lshrrev_b32_e32 v69, 16, v60
	s_delay_alu instid0(VALU_DEP_3) | instskip(SKIP_1) | instid1(VALU_DEP_3)
	v_add_co_u32 v47, vcc_lo, v49, v26
	s_wait_alu 0xfffd
	v_add_co_ci_u32_e64 v48, null, 0, v50, vcc_lo
	v_lshrrev_b32_e32 v70, 8, v60
	s_delay_alu instid0(VALU_DEP_3) | instskip(SKIP_1) | instid1(VALU_DEP_3)
	;; [unrolled: 5-line block ×8, first 2 shown]
	v_add_co_u32 v31, vcc_lo, v33, v30
	s_wait_alu 0xfffd
	v_add_co_ci_u32_e64 v32, null, 0, v34, vcc_lo
	s_mov_b32 s1, -1
	v_add_co_u32 v29, vcc_lo, v31, v29
	s_wait_alu 0xfffd
	v_add_co_ci_u32_e64 v30, null, 0, v32, vcc_lo
	s_delay_alu instid0(VALU_DEP_2) | instskip(SKIP_1) | instid1(VALU_DEP_2)
	v_add_co_u32 v27, vcc_lo, v29, v28
	s_wait_alu 0xfffd
	v_add_co_ci_u32_e64 v28, null, 0, v30, vcc_lo
	s_delay_alu instid0(VALU_DEP_2) | instskip(SKIP_1) | instid1(VALU_DEP_2)
	v_add_co_u32 v25, vcc_lo, v27, v61
	s_wait_alu 0xfffd
	v_add_co_ci_u32_e64 v26, null, 0, v28, vcc_lo
	s_delay_alu instid0(VALU_DEP_2) | instskip(SKIP_1) | instid1(VALU_DEP_2)
	v_add_co_u32 v23, vcc_lo, v25, v66
	s_wait_alu 0xfffd
	v_add_co_ci_u32_e64 v24, null, 0, v26, vcc_lo
	s_delay_alu instid0(VALU_DEP_2) | instskip(SKIP_1) | instid1(VALU_DEP_2)
	v_add_co_u32 v19, vcc_lo, v23, v65
	s_wait_alu 0xfffd
	v_add_co_ci_u32_e64 v20, null, 0, v24, vcc_lo
	s_wait_dscnt 0x0
	v_cmp_gt_u64_e32 vcc_lo, 0x181, v[2:3]
	v_add_co_u32 v21, s0, v19, v64
	s_wait_alu 0xf1ff
	v_add_co_ci_u32_e64 v22, null, 0, v20, s0
	v_and_b32_e32 v64, 1, v51
	s_delay_alu instid0(VALU_DEP_3) | instskip(SKIP_1) | instid1(VALU_DEP_3)
	v_add_co_u32 v17, s0, v21, v59
	s_wait_alu 0xf1ff
	v_add_co_ci_u32_e64 v18, null, 0, v22, s0
	s_delay_alu instid0(VALU_DEP_2) | instskip(SKIP_1) | instid1(VALU_DEP_2)
	v_add_co_u32 v6, s0, v17, v52
	s_wait_alu 0xf1ff
	v_add_co_ci_u32_e64 v7, null, 0, v18, s0
	v_cmp_eq_u32_e64 s0, 1, v64
	s_cbranch_vccnz .LBB666_140
; %bb.137:
	s_wait_alu 0xfffe
	s_and_b32 vcc_lo, exec_lo, s1
	s_wait_alu 0xfffe
	s_cbranch_vccnz .LBB666_177
.LBB666_138:
	v_cmp_eq_u32_e32 vcc_lo, 0, v0
	s_and_b32 s0, vcc_lo, s12
	s_wait_alu 0xfffe
	s_and_saveexec_b32 s1, s0
	s_cbranch_execnz .LBB666_216
.LBB666_139:
	s_endpgm
.LBB666_140:
	v_add_co_u32 v51, vcc_lo, v4, v2
	s_wait_alu 0xfffd
	v_add_co_ci_u32_e64 v52, null, v5, v3, vcc_lo
	s_wait_kmcnt 0x0
	s_lshl_b64 s[2:3], s[6:7], 1
	s_wait_alu 0xfffe
	s_add_nc_u64 s[2:3], s[4:5], s[2:3]
	v_cmp_lt_u64_e32 vcc_lo, v[39:40], v[51:52]
	s_or_b32 s1, s13, vcc_lo
	s_wait_alu 0xfffe
	s_and_b32 s1, s1, s0
	s_wait_alu 0xfffe
	s_and_saveexec_b32 s0, s1
	s_cbranch_execz .LBB666_142
; %bb.141:
	v_lshlrev_b64_e32 v[65:66], 1, v[39:40]
	s_delay_alu instid0(VALU_DEP_1) | instskip(SKIP_1) | instid1(VALU_DEP_2)
	v_add_co_u32 v65, vcc_lo, s2, v65
	s_wait_alu 0xfffd
	v_add_co_ci_u32_e64 v66, null, s3, v66, vcc_lo
	global_store_b16 v[65:66], v15, off
.LBB666_142:
	s_wait_alu 0xfffe
	s_or_b32 exec_lo, exec_lo, s0
	v_and_b32_e32 v40, 1, v72
	v_cmp_lt_u64_e32 vcc_lo, v[49:50], v[51:52]
	s_delay_alu instid0(VALU_DEP_2)
	v_cmp_eq_u32_e64 s0, 1, v40
	s_or_b32 s1, s13, vcc_lo
	s_wait_alu 0xfffe
	s_and_b32 s1, s1, s0
	s_wait_alu 0xfffe
	s_and_saveexec_b32 s0, s1
	s_cbranch_execz .LBB666_144
; %bb.143:
	v_lshlrev_b64_e32 v[65:66], 1, v[49:50]
	s_delay_alu instid0(VALU_DEP_1) | instskip(SKIP_1) | instid1(VALU_DEP_2)
	v_add_co_u32 v65, vcc_lo, s2, v65
	s_wait_alu 0xfffd
	v_add_co_ci_u32_e64 v66, null, s3, v66, vcc_lo
	global_store_d16_hi_b16 v[65:66], v15, off
.LBB666_144:
	s_wait_alu 0xfffe
	s_or_b32 exec_lo, exec_lo, s0
	v_and_b32_e32 v40, 1, v71
	v_cmp_lt_u64_e32 vcc_lo, v[47:48], v[51:52]
	s_delay_alu instid0(VALU_DEP_2)
	v_cmp_eq_u32_e64 s0, 1, v40
	s_or_b32 s1, s13, vcc_lo
	s_wait_alu 0xfffe
	s_and_b32 s1, s1, s0
	s_wait_alu 0xfffe
	s_and_saveexec_b32 s0, s1
	s_cbranch_execz .LBB666_146
; %bb.145:
	v_lshlrev_b64_e32 v[65:66], 1, v[47:48]
	s_delay_alu instid0(VALU_DEP_1) | instskip(SKIP_1) | instid1(VALU_DEP_2)
	v_add_co_u32 v65, vcc_lo, s2, v65
	s_wait_alu 0xfffd
	v_add_co_ci_u32_e64 v66, null, s3, v66, vcc_lo
	global_store_b16 v[65:66], v16, off
.LBB666_146:
	s_wait_alu 0xfffe
	s_or_b32 exec_lo, exec_lo, s0
	v_and_b32_e32 v40, 1, v63
	v_cmp_lt_u64_e32 vcc_lo, v[45:46], v[51:52]
	s_delay_alu instid0(VALU_DEP_2)
	v_cmp_eq_u32_e64 s0, 1, v40
	s_or_b32 s1, s13, vcc_lo
	s_wait_alu 0xfffe
	s_and_b32 s1, s1, s0
	s_wait_alu 0xfffe
	s_and_saveexec_b32 s0, s1
	s_cbranch_execz .LBB666_148
; %bb.147:
	v_lshlrev_b64_e32 v[65:66], 1, v[45:46]
	s_delay_alu instid0(VALU_DEP_1) | instskip(SKIP_1) | instid1(VALU_DEP_2)
	v_add_co_u32 v65, vcc_lo, s2, v65
	s_wait_alu 0xfffd
	v_add_co_ci_u32_e64 v66, null, s3, v66, vcc_lo
	global_store_d16_hi_b16 v[65:66], v16, off
.LBB666_148:
	s_wait_alu 0xfffe
	s_or_b32 exec_lo, exec_lo, s0
	v_and_b32_e32 v40, 1, v60
	v_cmp_lt_u64_e32 vcc_lo, v[43:44], v[51:52]
	s_delay_alu instid0(VALU_DEP_2)
	v_cmp_eq_u32_e64 s0, 1, v40
	;; [unrolled: 40-line block ×8, first 2 shown]
	s_or_b32 s1, s13, vcc_lo
	s_wait_alu 0xfffe
	s_and_b32 s1, s1, s0
	s_wait_alu 0xfffe
	s_and_saveexec_b32 s0, s1
	s_cbranch_execz .LBB666_174
; %bb.173:
	v_lshlrev_b64_e32 v[65:66], 1, v[17:18]
	s_delay_alu instid0(VALU_DEP_1) | instskip(SKIP_1) | instid1(VALU_DEP_2)
	v_add_co_u32 v65, vcc_lo, s2, v65
	s_wait_alu 0xfffd
	v_add_co_ci_u32_e64 v66, null, s3, v66, vcc_lo
	global_store_b16 v[65:66], v53, off
.LBB666_174:
	s_wait_alu 0xfffe
	s_or_b32 exec_lo, exec_lo, s0
	v_and_b32_e32 v18, 1, v55
	v_cmp_lt_u64_e32 vcc_lo, v[6:7], v[51:52]
	s_delay_alu instid0(VALU_DEP_2)
	v_cmp_eq_u32_e64 s0, 1, v18
	s_or_b32 s1, s13, vcc_lo
	s_wait_alu 0xfffe
	s_and_b32 s1, s1, s0
	s_wait_alu 0xfffe
	s_and_saveexec_b32 s0, s1
	s_cbranch_execz .LBB666_176
; %bb.175:
	v_lshlrev_b64_e32 v[50:51], 1, v[6:7]
	s_delay_alu instid0(VALU_DEP_1) | instskip(SKIP_1) | instid1(VALU_DEP_2)
	v_add_co_u32 v50, vcc_lo, s2, v50
	s_wait_alu 0xfffd
	v_add_co_ci_u32_e64 v51, null, s3, v51, vcc_lo
	global_store_b16 v[50:51], v54, off
.LBB666_176:
	s_wait_alu 0xfffe
	s_or_b32 exec_lo, exec_lo, s0
	s_branch .LBB666_138
.LBB666_177:
	s_mov_b32 s0, exec_lo
	v_cmpx_eq_u32_e32 1, v64
; %bb.178:
	v_sub_nc_u32_e32 v7, v39, v4
	s_delay_alu instid0(VALU_DEP_1)
	v_lshlrev_b32_e32 v7, 1, v7
	ds_store_b16 v7, v15
; %bb.179:
	s_wait_alu 0xfffe
	s_or_b32 exec_lo, exec_lo, s0
	v_and_b32_e32 v7, 1, v72
	s_mov_b32 s0, exec_lo
	s_delay_alu instid0(VALU_DEP_1)
	v_cmpx_eq_u32_e32 1, v7
; %bb.180:
	v_sub_nc_u32_e32 v7, v49, v4
	s_delay_alu instid0(VALU_DEP_1)
	v_lshlrev_b32_e32 v7, 1, v7
	ds_store_b16_d16_hi v7, v15
; %bb.181:
	s_wait_alu 0xfffe
	s_or_b32 exec_lo, exec_lo, s0
	v_and_b32_e32 v7, 1, v71
	s_mov_b32 s0, exec_lo
	s_delay_alu instid0(VALU_DEP_1)
	v_cmpx_eq_u32_e32 1, v7
; %bb.182:
	v_sub_nc_u32_e32 v7, v47, v4
	s_delay_alu instid0(VALU_DEP_1)
	v_lshlrev_b32_e32 v7, 1, v7
	ds_store_b16 v7, v16
; %bb.183:
	s_wait_alu 0xfffe
	s_or_b32 exec_lo, exec_lo, s0
	v_and_b32_e32 v7, 1, v63
	s_mov_b32 s0, exec_lo
	s_delay_alu instid0(VALU_DEP_1)
	v_cmpx_eq_u32_e32 1, v7
; %bb.184:
	v_sub_nc_u32_e32 v7, v45, v4
	s_delay_alu instid0(VALU_DEP_1)
	v_lshlrev_b32_e32 v7, 1, v7
	ds_store_b16_d16_hi v7, v16
; %bb.185:
	s_wait_alu 0xfffe
	s_or_b32 exec_lo, exec_lo, s0
	v_and_b32_e32 v7, 1, v60
	s_mov_b32 s0, exec_lo
	s_delay_alu instid0(VALU_DEP_1)
	;; [unrolled: 24-line block ×8, first 2 shown]
	v_cmpx_eq_u32_e32 1, v1
; %bb.210:
	v_sub_nc_u32_e32 v1, v17, v4
	s_delay_alu instid0(VALU_DEP_1)
	v_lshlrev_b32_e32 v1, 1, v1
	ds_store_b16 v1, v53
; %bb.211:
	s_wait_alu 0xfffe
	s_or_b32 exec_lo, exec_lo, s0
	v_and_b32_e32 v1, 1, v55
	s_mov_b32 s0, exec_lo
	s_delay_alu instid0(VALU_DEP_1)
	v_cmpx_eq_u32_e32 1, v1
; %bb.212:
	v_sub_nc_u32_e32 v1, v6, v4
	s_delay_alu instid0(VALU_DEP_1)
	v_lshlrev_b32_e32 v1, 1, v1
	ds_store_b16 v1, v54
; %bb.213:
	s_wait_alu 0xfffe
	s_or_b32 exec_lo, exec_lo, s0
	v_lshlrev_b64_e32 v[8:9], 1, v[4:5]
	v_mov_b32_e32 v7, 0
	s_wait_kmcnt 0x0
	s_lshl_b64 s[0:1], s[6:7], 1
	s_wait_storecnt 0x0
	s_wait_loadcnt_dscnt 0x0
	s_barrier_signal -1
	s_barrier_wait -1
	v_add_co_u32 v6, vcc_lo, s4, v8
	s_wait_alu 0xfffd
	v_add_co_ci_u32_e64 v8, null, s5, v9, vcc_lo
	global_inv scope:SCOPE_SE
	s_wait_alu 0xfffe
	v_add_co_u32 v10, vcc_lo, v6, s0
	v_dual_mov_b32 v1, v7 :: v_dual_add_nc_u32 v6, 0x180, v0
	s_wait_alu 0xfffd
	v_add_co_ci_u32_e64 v11, null, s1, v8, vcc_lo
	s_mov_b32 s1, 0
	v_dual_mov_b32 v9, v1 :: v_dual_mov_b32 v8, v0
.LBB666_214:                            ; =>This Inner Loop Header: Depth=1
	s_delay_alu instid0(VALU_DEP_1) | instskip(NEXT) | instid1(VALU_DEP_2)
	v_lshlrev_b32_e32 v1, 1, v8
	v_lshlrev_b64_e32 v[12:13], 1, v[8:9]
	v_dual_mov_b32 v9, v7 :: v_dual_mov_b32 v8, v6
	v_cmp_le_u64_e32 vcc_lo, v[2:3], v[6:7]
	ds_load_u16 v1, v1
	v_add_nc_u32_e32 v6, 0x180, v6
	v_add_co_u32 v12, s0, v10, v12
	s_wait_alu 0xf1ff
	v_add_co_ci_u32_e64 v13, null, v11, v13, s0
	s_wait_alu 0xfffe
	s_or_b32 s1, vcc_lo, s1
	s_wait_dscnt 0x0
	global_store_b16 v[12:13], v1, off
	s_wait_alu 0xfffe
	s_and_not1_b32 exec_lo, exec_lo, s1
	s_cbranch_execnz .LBB666_214
; %bb.215:
	s_or_b32 exec_lo, exec_lo, s1
	v_cmp_eq_u32_e32 vcc_lo, 0, v0
	s_and_b32 s0, vcc_lo, s12
	s_wait_alu 0xfffe
	s_and_saveexec_b32 s1, s0
	s_cbranch_execz .LBB666_139
.LBB666_216:
	v_add_co_u32 v0, vcc_lo, v4, v2
	s_wait_alu 0xfffd
	v_add_co_ci_u32_e64 v1, null, v5, v3, vcc_lo
	v_mov_b32_e32 v2, 0
	s_wait_kmcnt 0x0
	v_add_co_u32 v0, vcc_lo, v0, s6
	s_wait_alu 0xfffd
	v_add_co_ci_u32_e64 v1, null, s7, v1, vcc_lo
	global_store_b64 v2, v[0:1], s[8:9]
	s_endpgm
	.section	.rodata,"a",@progbits
	.p2align	6, 0x0
	.amdhsa_kernel _ZN7rocprim17ROCPRIM_400000_NS6detail17trampoline_kernelINS0_14default_configENS1_25partition_config_selectorILNS1_17partition_subalgoE6EtNS0_10empty_typeEbEEZZNS1_14partition_implILS5_6ELb0ES3_mN6thrust23THRUST_200600_302600_NS6detail15normal_iteratorINSA_10device_ptrItEEEEPS6_SG_NS0_5tupleIJSF_S6_EEENSH_IJSG_SG_EEES6_PlJNSB_9not_fun_tI7is_evenItEEEEEE10hipError_tPvRmT3_T4_T5_T6_T7_T9_mT8_P12ihipStream_tbDpT10_ENKUlT_T0_E_clISt17integral_constantIbLb0EES18_EEDaS13_S14_EUlS13_E_NS1_11comp_targetILNS1_3genE10ELNS1_11target_archE1200ELNS1_3gpuE4ELNS1_3repE0EEENS1_30default_config_static_selectorELNS0_4arch9wavefront6targetE0EEEvT1_
		.amdhsa_group_segment_fixed_size 13840
		.amdhsa_private_segment_fixed_size 0
		.amdhsa_kernarg_size 112
		.amdhsa_user_sgpr_count 2
		.amdhsa_user_sgpr_dispatch_ptr 0
		.amdhsa_user_sgpr_queue_ptr 0
		.amdhsa_user_sgpr_kernarg_segment_ptr 1
		.amdhsa_user_sgpr_dispatch_id 0
		.amdhsa_user_sgpr_private_segment_size 0
		.amdhsa_wavefront_size32 1
		.amdhsa_uses_dynamic_stack 0
		.amdhsa_enable_private_segment 0
		.amdhsa_system_sgpr_workgroup_id_x 1
		.amdhsa_system_sgpr_workgroup_id_y 0
		.amdhsa_system_sgpr_workgroup_id_z 0
		.amdhsa_system_sgpr_workgroup_info 0
		.amdhsa_system_vgpr_workitem_id 0
		.amdhsa_next_free_vgpr 73
		.amdhsa_next_free_sgpr 19
		.amdhsa_reserve_vcc 1
		.amdhsa_float_round_mode_32 0
		.amdhsa_float_round_mode_16_64 0
		.amdhsa_float_denorm_mode_32 3
		.amdhsa_float_denorm_mode_16_64 3
		.amdhsa_fp16_overflow 0
		.amdhsa_workgroup_processor_mode 1
		.amdhsa_memory_ordered 1
		.amdhsa_forward_progress 1
		.amdhsa_inst_pref_size 88
		.amdhsa_round_robin_scheduling 0
		.amdhsa_exception_fp_ieee_invalid_op 0
		.amdhsa_exception_fp_denorm_src 0
		.amdhsa_exception_fp_ieee_div_zero 0
		.amdhsa_exception_fp_ieee_overflow 0
		.amdhsa_exception_fp_ieee_underflow 0
		.amdhsa_exception_fp_ieee_inexact 0
		.amdhsa_exception_int_div_zero 0
	.end_amdhsa_kernel
	.section	.text._ZN7rocprim17ROCPRIM_400000_NS6detail17trampoline_kernelINS0_14default_configENS1_25partition_config_selectorILNS1_17partition_subalgoE6EtNS0_10empty_typeEbEEZZNS1_14partition_implILS5_6ELb0ES3_mN6thrust23THRUST_200600_302600_NS6detail15normal_iteratorINSA_10device_ptrItEEEEPS6_SG_NS0_5tupleIJSF_S6_EEENSH_IJSG_SG_EEES6_PlJNSB_9not_fun_tI7is_evenItEEEEEE10hipError_tPvRmT3_T4_T5_T6_T7_T9_mT8_P12ihipStream_tbDpT10_ENKUlT_T0_E_clISt17integral_constantIbLb0EES18_EEDaS13_S14_EUlS13_E_NS1_11comp_targetILNS1_3genE10ELNS1_11target_archE1200ELNS1_3gpuE4ELNS1_3repE0EEENS1_30default_config_static_selectorELNS0_4arch9wavefront6targetE0EEEvT1_,"axG",@progbits,_ZN7rocprim17ROCPRIM_400000_NS6detail17trampoline_kernelINS0_14default_configENS1_25partition_config_selectorILNS1_17partition_subalgoE6EtNS0_10empty_typeEbEEZZNS1_14partition_implILS5_6ELb0ES3_mN6thrust23THRUST_200600_302600_NS6detail15normal_iteratorINSA_10device_ptrItEEEEPS6_SG_NS0_5tupleIJSF_S6_EEENSH_IJSG_SG_EEES6_PlJNSB_9not_fun_tI7is_evenItEEEEEE10hipError_tPvRmT3_T4_T5_T6_T7_T9_mT8_P12ihipStream_tbDpT10_ENKUlT_T0_E_clISt17integral_constantIbLb0EES18_EEDaS13_S14_EUlS13_E_NS1_11comp_targetILNS1_3genE10ELNS1_11target_archE1200ELNS1_3gpuE4ELNS1_3repE0EEENS1_30default_config_static_selectorELNS0_4arch9wavefront6targetE0EEEvT1_,comdat
.Lfunc_end666:
	.size	_ZN7rocprim17ROCPRIM_400000_NS6detail17trampoline_kernelINS0_14default_configENS1_25partition_config_selectorILNS1_17partition_subalgoE6EtNS0_10empty_typeEbEEZZNS1_14partition_implILS5_6ELb0ES3_mN6thrust23THRUST_200600_302600_NS6detail15normal_iteratorINSA_10device_ptrItEEEEPS6_SG_NS0_5tupleIJSF_S6_EEENSH_IJSG_SG_EEES6_PlJNSB_9not_fun_tI7is_evenItEEEEEE10hipError_tPvRmT3_T4_T5_T6_T7_T9_mT8_P12ihipStream_tbDpT10_ENKUlT_T0_E_clISt17integral_constantIbLb0EES18_EEDaS13_S14_EUlS13_E_NS1_11comp_targetILNS1_3genE10ELNS1_11target_archE1200ELNS1_3gpuE4ELNS1_3repE0EEENS1_30default_config_static_selectorELNS0_4arch9wavefront6targetE0EEEvT1_, .Lfunc_end666-_ZN7rocprim17ROCPRIM_400000_NS6detail17trampoline_kernelINS0_14default_configENS1_25partition_config_selectorILNS1_17partition_subalgoE6EtNS0_10empty_typeEbEEZZNS1_14partition_implILS5_6ELb0ES3_mN6thrust23THRUST_200600_302600_NS6detail15normal_iteratorINSA_10device_ptrItEEEEPS6_SG_NS0_5tupleIJSF_S6_EEENSH_IJSG_SG_EEES6_PlJNSB_9not_fun_tI7is_evenItEEEEEE10hipError_tPvRmT3_T4_T5_T6_T7_T9_mT8_P12ihipStream_tbDpT10_ENKUlT_T0_E_clISt17integral_constantIbLb0EES18_EEDaS13_S14_EUlS13_E_NS1_11comp_targetILNS1_3genE10ELNS1_11target_archE1200ELNS1_3gpuE4ELNS1_3repE0EEENS1_30default_config_static_selectorELNS0_4arch9wavefront6targetE0EEEvT1_
                                        ; -- End function
	.set _ZN7rocprim17ROCPRIM_400000_NS6detail17trampoline_kernelINS0_14default_configENS1_25partition_config_selectorILNS1_17partition_subalgoE6EtNS0_10empty_typeEbEEZZNS1_14partition_implILS5_6ELb0ES3_mN6thrust23THRUST_200600_302600_NS6detail15normal_iteratorINSA_10device_ptrItEEEEPS6_SG_NS0_5tupleIJSF_S6_EEENSH_IJSG_SG_EEES6_PlJNSB_9not_fun_tI7is_evenItEEEEEE10hipError_tPvRmT3_T4_T5_T6_T7_T9_mT8_P12ihipStream_tbDpT10_ENKUlT_T0_E_clISt17integral_constantIbLb0EES18_EEDaS13_S14_EUlS13_E_NS1_11comp_targetILNS1_3genE10ELNS1_11target_archE1200ELNS1_3gpuE4ELNS1_3repE0EEENS1_30default_config_static_selectorELNS0_4arch9wavefront6targetE0EEEvT1_.num_vgpr, 73
	.set _ZN7rocprim17ROCPRIM_400000_NS6detail17trampoline_kernelINS0_14default_configENS1_25partition_config_selectorILNS1_17partition_subalgoE6EtNS0_10empty_typeEbEEZZNS1_14partition_implILS5_6ELb0ES3_mN6thrust23THRUST_200600_302600_NS6detail15normal_iteratorINSA_10device_ptrItEEEEPS6_SG_NS0_5tupleIJSF_S6_EEENSH_IJSG_SG_EEES6_PlJNSB_9not_fun_tI7is_evenItEEEEEE10hipError_tPvRmT3_T4_T5_T6_T7_T9_mT8_P12ihipStream_tbDpT10_ENKUlT_T0_E_clISt17integral_constantIbLb0EES18_EEDaS13_S14_EUlS13_E_NS1_11comp_targetILNS1_3genE10ELNS1_11target_archE1200ELNS1_3gpuE4ELNS1_3repE0EEENS1_30default_config_static_selectorELNS0_4arch9wavefront6targetE0EEEvT1_.num_agpr, 0
	.set _ZN7rocprim17ROCPRIM_400000_NS6detail17trampoline_kernelINS0_14default_configENS1_25partition_config_selectorILNS1_17partition_subalgoE6EtNS0_10empty_typeEbEEZZNS1_14partition_implILS5_6ELb0ES3_mN6thrust23THRUST_200600_302600_NS6detail15normal_iteratorINSA_10device_ptrItEEEEPS6_SG_NS0_5tupleIJSF_S6_EEENSH_IJSG_SG_EEES6_PlJNSB_9not_fun_tI7is_evenItEEEEEE10hipError_tPvRmT3_T4_T5_T6_T7_T9_mT8_P12ihipStream_tbDpT10_ENKUlT_T0_E_clISt17integral_constantIbLb0EES18_EEDaS13_S14_EUlS13_E_NS1_11comp_targetILNS1_3genE10ELNS1_11target_archE1200ELNS1_3gpuE4ELNS1_3repE0EEENS1_30default_config_static_selectorELNS0_4arch9wavefront6targetE0EEEvT1_.numbered_sgpr, 19
	.set _ZN7rocprim17ROCPRIM_400000_NS6detail17trampoline_kernelINS0_14default_configENS1_25partition_config_selectorILNS1_17partition_subalgoE6EtNS0_10empty_typeEbEEZZNS1_14partition_implILS5_6ELb0ES3_mN6thrust23THRUST_200600_302600_NS6detail15normal_iteratorINSA_10device_ptrItEEEEPS6_SG_NS0_5tupleIJSF_S6_EEENSH_IJSG_SG_EEES6_PlJNSB_9not_fun_tI7is_evenItEEEEEE10hipError_tPvRmT3_T4_T5_T6_T7_T9_mT8_P12ihipStream_tbDpT10_ENKUlT_T0_E_clISt17integral_constantIbLb0EES18_EEDaS13_S14_EUlS13_E_NS1_11comp_targetILNS1_3genE10ELNS1_11target_archE1200ELNS1_3gpuE4ELNS1_3repE0EEENS1_30default_config_static_selectorELNS0_4arch9wavefront6targetE0EEEvT1_.num_named_barrier, 0
	.set _ZN7rocprim17ROCPRIM_400000_NS6detail17trampoline_kernelINS0_14default_configENS1_25partition_config_selectorILNS1_17partition_subalgoE6EtNS0_10empty_typeEbEEZZNS1_14partition_implILS5_6ELb0ES3_mN6thrust23THRUST_200600_302600_NS6detail15normal_iteratorINSA_10device_ptrItEEEEPS6_SG_NS0_5tupleIJSF_S6_EEENSH_IJSG_SG_EEES6_PlJNSB_9not_fun_tI7is_evenItEEEEEE10hipError_tPvRmT3_T4_T5_T6_T7_T9_mT8_P12ihipStream_tbDpT10_ENKUlT_T0_E_clISt17integral_constantIbLb0EES18_EEDaS13_S14_EUlS13_E_NS1_11comp_targetILNS1_3genE10ELNS1_11target_archE1200ELNS1_3gpuE4ELNS1_3repE0EEENS1_30default_config_static_selectorELNS0_4arch9wavefront6targetE0EEEvT1_.private_seg_size, 0
	.set _ZN7rocprim17ROCPRIM_400000_NS6detail17trampoline_kernelINS0_14default_configENS1_25partition_config_selectorILNS1_17partition_subalgoE6EtNS0_10empty_typeEbEEZZNS1_14partition_implILS5_6ELb0ES3_mN6thrust23THRUST_200600_302600_NS6detail15normal_iteratorINSA_10device_ptrItEEEEPS6_SG_NS0_5tupleIJSF_S6_EEENSH_IJSG_SG_EEES6_PlJNSB_9not_fun_tI7is_evenItEEEEEE10hipError_tPvRmT3_T4_T5_T6_T7_T9_mT8_P12ihipStream_tbDpT10_ENKUlT_T0_E_clISt17integral_constantIbLb0EES18_EEDaS13_S14_EUlS13_E_NS1_11comp_targetILNS1_3genE10ELNS1_11target_archE1200ELNS1_3gpuE4ELNS1_3repE0EEENS1_30default_config_static_selectorELNS0_4arch9wavefront6targetE0EEEvT1_.uses_vcc, 1
	.set _ZN7rocprim17ROCPRIM_400000_NS6detail17trampoline_kernelINS0_14default_configENS1_25partition_config_selectorILNS1_17partition_subalgoE6EtNS0_10empty_typeEbEEZZNS1_14partition_implILS5_6ELb0ES3_mN6thrust23THRUST_200600_302600_NS6detail15normal_iteratorINSA_10device_ptrItEEEEPS6_SG_NS0_5tupleIJSF_S6_EEENSH_IJSG_SG_EEES6_PlJNSB_9not_fun_tI7is_evenItEEEEEE10hipError_tPvRmT3_T4_T5_T6_T7_T9_mT8_P12ihipStream_tbDpT10_ENKUlT_T0_E_clISt17integral_constantIbLb0EES18_EEDaS13_S14_EUlS13_E_NS1_11comp_targetILNS1_3genE10ELNS1_11target_archE1200ELNS1_3gpuE4ELNS1_3repE0EEENS1_30default_config_static_selectorELNS0_4arch9wavefront6targetE0EEEvT1_.uses_flat_scratch, 1
	.set _ZN7rocprim17ROCPRIM_400000_NS6detail17trampoline_kernelINS0_14default_configENS1_25partition_config_selectorILNS1_17partition_subalgoE6EtNS0_10empty_typeEbEEZZNS1_14partition_implILS5_6ELb0ES3_mN6thrust23THRUST_200600_302600_NS6detail15normal_iteratorINSA_10device_ptrItEEEEPS6_SG_NS0_5tupleIJSF_S6_EEENSH_IJSG_SG_EEES6_PlJNSB_9not_fun_tI7is_evenItEEEEEE10hipError_tPvRmT3_T4_T5_T6_T7_T9_mT8_P12ihipStream_tbDpT10_ENKUlT_T0_E_clISt17integral_constantIbLb0EES18_EEDaS13_S14_EUlS13_E_NS1_11comp_targetILNS1_3genE10ELNS1_11target_archE1200ELNS1_3gpuE4ELNS1_3repE0EEENS1_30default_config_static_selectorELNS0_4arch9wavefront6targetE0EEEvT1_.has_dyn_sized_stack, 0
	.set _ZN7rocprim17ROCPRIM_400000_NS6detail17trampoline_kernelINS0_14default_configENS1_25partition_config_selectorILNS1_17partition_subalgoE6EtNS0_10empty_typeEbEEZZNS1_14partition_implILS5_6ELb0ES3_mN6thrust23THRUST_200600_302600_NS6detail15normal_iteratorINSA_10device_ptrItEEEEPS6_SG_NS0_5tupleIJSF_S6_EEENSH_IJSG_SG_EEES6_PlJNSB_9not_fun_tI7is_evenItEEEEEE10hipError_tPvRmT3_T4_T5_T6_T7_T9_mT8_P12ihipStream_tbDpT10_ENKUlT_T0_E_clISt17integral_constantIbLb0EES18_EEDaS13_S14_EUlS13_E_NS1_11comp_targetILNS1_3genE10ELNS1_11target_archE1200ELNS1_3gpuE4ELNS1_3repE0EEENS1_30default_config_static_selectorELNS0_4arch9wavefront6targetE0EEEvT1_.has_recursion, 0
	.set _ZN7rocprim17ROCPRIM_400000_NS6detail17trampoline_kernelINS0_14default_configENS1_25partition_config_selectorILNS1_17partition_subalgoE6EtNS0_10empty_typeEbEEZZNS1_14partition_implILS5_6ELb0ES3_mN6thrust23THRUST_200600_302600_NS6detail15normal_iteratorINSA_10device_ptrItEEEEPS6_SG_NS0_5tupleIJSF_S6_EEENSH_IJSG_SG_EEES6_PlJNSB_9not_fun_tI7is_evenItEEEEEE10hipError_tPvRmT3_T4_T5_T6_T7_T9_mT8_P12ihipStream_tbDpT10_ENKUlT_T0_E_clISt17integral_constantIbLb0EES18_EEDaS13_S14_EUlS13_E_NS1_11comp_targetILNS1_3genE10ELNS1_11target_archE1200ELNS1_3gpuE4ELNS1_3repE0EEENS1_30default_config_static_selectorELNS0_4arch9wavefront6targetE0EEEvT1_.has_indirect_call, 0
	.section	.AMDGPU.csdata,"",@progbits
; Kernel info:
; codeLenInByte = 11244
; TotalNumSgprs: 21
; NumVgprs: 73
; ScratchSize: 0
; MemoryBound: 0
; FloatMode: 240
; IeeeMode: 1
; LDSByteSize: 13840 bytes/workgroup (compile time only)
; SGPRBlocks: 0
; VGPRBlocks: 9
; NumSGPRsForWavesPerEU: 21
; NumVGPRsForWavesPerEU: 73
; Occupancy: 15
; WaveLimiterHint : 1
; COMPUTE_PGM_RSRC2:SCRATCH_EN: 0
; COMPUTE_PGM_RSRC2:USER_SGPR: 2
; COMPUTE_PGM_RSRC2:TRAP_HANDLER: 0
; COMPUTE_PGM_RSRC2:TGID_X_EN: 1
; COMPUTE_PGM_RSRC2:TGID_Y_EN: 0
; COMPUTE_PGM_RSRC2:TGID_Z_EN: 0
; COMPUTE_PGM_RSRC2:TIDIG_COMP_CNT: 0
	.section	.text._ZN7rocprim17ROCPRIM_400000_NS6detail17trampoline_kernelINS0_14default_configENS1_25partition_config_selectorILNS1_17partition_subalgoE6EtNS0_10empty_typeEbEEZZNS1_14partition_implILS5_6ELb0ES3_mN6thrust23THRUST_200600_302600_NS6detail15normal_iteratorINSA_10device_ptrItEEEEPS6_SG_NS0_5tupleIJSF_S6_EEENSH_IJSG_SG_EEES6_PlJNSB_9not_fun_tI7is_evenItEEEEEE10hipError_tPvRmT3_T4_T5_T6_T7_T9_mT8_P12ihipStream_tbDpT10_ENKUlT_T0_E_clISt17integral_constantIbLb0EES18_EEDaS13_S14_EUlS13_E_NS1_11comp_targetILNS1_3genE9ELNS1_11target_archE1100ELNS1_3gpuE3ELNS1_3repE0EEENS1_30default_config_static_selectorELNS0_4arch9wavefront6targetE0EEEvT1_,"axG",@progbits,_ZN7rocprim17ROCPRIM_400000_NS6detail17trampoline_kernelINS0_14default_configENS1_25partition_config_selectorILNS1_17partition_subalgoE6EtNS0_10empty_typeEbEEZZNS1_14partition_implILS5_6ELb0ES3_mN6thrust23THRUST_200600_302600_NS6detail15normal_iteratorINSA_10device_ptrItEEEEPS6_SG_NS0_5tupleIJSF_S6_EEENSH_IJSG_SG_EEES6_PlJNSB_9not_fun_tI7is_evenItEEEEEE10hipError_tPvRmT3_T4_T5_T6_T7_T9_mT8_P12ihipStream_tbDpT10_ENKUlT_T0_E_clISt17integral_constantIbLb0EES18_EEDaS13_S14_EUlS13_E_NS1_11comp_targetILNS1_3genE9ELNS1_11target_archE1100ELNS1_3gpuE3ELNS1_3repE0EEENS1_30default_config_static_selectorELNS0_4arch9wavefront6targetE0EEEvT1_,comdat
	.protected	_ZN7rocprim17ROCPRIM_400000_NS6detail17trampoline_kernelINS0_14default_configENS1_25partition_config_selectorILNS1_17partition_subalgoE6EtNS0_10empty_typeEbEEZZNS1_14partition_implILS5_6ELb0ES3_mN6thrust23THRUST_200600_302600_NS6detail15normal_iteratorINSA_10device_ptrItEEEEPS6_SG_NS0_5tupleIJSF_S6_EEENSH_IJSG_SG_EEES6_PlJNSB_9not_fun_tI7is_evenItEEEEEE10hipError_tPvRmT3_T4_T5_T6_T7_T9_mT8_P12ihipStream_tbDpT10_ENKUlT_T0_E_clISt17integral_constantIbLb0EES18_EEDaS13_S14_EUlS13_E_NS1_11comp_targetILNS1_3genE9ELNS1_11target_archE1100ELNS1_3gpuE3ELNS1_3repE0EEENS1_30default_config_static_selectorELNS0_4arch9wavefront6targetE0EEEvT1_ ; -- Begin function _ZN7rocprim17ROCPRIM_400000_NS6detail17trampoline_kernelINS0_14default_configENS1_25partition_config_selectorILNS1_17partition_subalgoE6EtNS0_10empty_typeEbEEZZNS1_14partition_implILS5_6ELb0ES3_mN6thrust23THRUST_200600_302600_NS6detail15normal_iteratorINSA_10device_ptrItEEEEPS6_SG_NS0_5tupleIJSF_S6_EEENSH_IJSG_SG_EEES6_PlJNSB_9not_fun_tI7is_evenItEEEEEE10hipError_tPvRmT3_T4_T5_T6_T7_T9_mT8_P12ihipStream_tbDpT10_ENKUlT_T0_E_clISt17integral_constantIbLb0EES18_EEDaS13_S14_EUlS13_E_NS1_11comp_targetILNS1_3genE9ELNS1_11target_archE1100ELNS1_3gpuE3ELNS1_3repE0EEENS1_30default_config_static_selectorELNS0_4arch9wavefront6targetE0EEEvT1_
	.globl	_ZN7rocprim17ROCPRIM_400000_NS6detail17trampoline_kernelINS0_14default_configENS1_25partition_config_selectorILNS1_17partition_subalgoE6EtNS0_10empty_typeEbEEZZNS1_14partition_implILS5_6ELb0ES3_mN6thrust23THRUST_200600_302600_NS6detail15normal_iteratorINSA_10device_ptrItEEEEPS6_SG_NS0_5tupleIJSF_S6_EEENSH_IJSG_SG_EEES6_PlJNSB_9not_fun_tI7is_evenItEEEEEE10hipError_tPvRmT3_T4_T5_T6_T7_T9_mT8_P12ihipStream_tbDpT10_ENKUlT_T0_E_clISt17integral_constantIbLb0EES18_EEDaS13_S14_EUlS13_E_NS1_11comp_targetILNS1_3genE9ELNS1_11target_archE1100ELNS1_3gpuE3ELNS1_3repE0EEENS1_30default_config_static_selectorELNS0_4arch9wavefront6targetE0EEEvT1_
	.p2align	8
	.type	_ZN7rocprim17ROCPRIM_400000_NS6detail17trampoline_kernelINS0_14default_configENS1_25partition_config_selectorILNS1_17partition_subalgoE6EtNS0_10empty_typeEbEEZZNS1_14partition_implILS5_6ELb0ES3_mN6thrust23THRUST_200600_302600_NS6detail15normal_iteratorINSA_10device_ptrItEEEEPS6_SG_NS0_5tupleIJSF_S6_EEENSH_IJSG_SG_EEES6_PlJNSB_9not_fun_tI7is_evenItEEEEEE10hipError_tPvRmT3_T4_T5_T6_T7_T9_mT8_P12ihipStream_tbDpT10_ENKUlT_T0_E_clISt17integral_constantIbLb0EES18_EEDaS13_S14_EUlS13_E_NS1_11comp_targetILNS1_3genE9ELNS1_11target_archE1100ELNS1_3gpuE3ELNS1_3repE0EEENS1_30default_config_static_selectorELNS0_4arch9wavefront6targetE0EEEvT1_,@function
_ZN7rocprim17ROCPRIM_400000_NS6detail17trampoline_kernelINS0_14default_configENS1_25partition_config_selectorILNS1_17partition_subalgoE6EtNS0_10empty_typeEbEEZZNS1_14partition_implILS5_6ELb0ES3_mN6thrust23THRUST_200600_302600_NS6detail15normal_iteratorINSA_10device_ptrItEEEEPS6_SG_NS0_5tupleIJSF_S6_EEENSH_IJSG_SG_EEES6_PlJNSB_9not_fun_tI7is_evenItEEEEEE10hipError_tPvRmT3_T4_T5_T6_T7_T9_mT8_P12ihipStream_tbDpT10_ENKUlT_T0_E_clISt17integral_constantIbLb0EES18_EEDaS13_S14_EUlS13_E_NS1_11comp_targetILNS1_3genE9ELNS1_11target_archE1100ELNS1_3gpuE3ELNS1_3repE0EEENS1_30default_config_static_selectorELNS0_4arch9wavefront6targetE0EEEvT1_: ; @_ZN7rocprim17ROCPRIM_400000_NS6detail17trampoline_kernelINS0_14default_configENS1_25partition_config_selectorILNS1_17partition_subalgoE6EtNS0_10empty_typeEbEEZZNS1_14partition_implILS5_6ELb0ES3_mN6thrust23THRUST_200600_302600_NS6detail15normal_iteratorINSA_10device_ptrItEEEEPS6_SG_NS0_5tupleIJSF_S6_EEENSH_IJSG_SG_EEES6_PlJNSB_9not_fun_tI7is_evenItEEEEEE10hipError_tPvRmT3_T4_T5_T6_T7_T9_mT8_P12ihipStream_tbDpT10_ENKUlT_T0_E_clISt17integral_constantIbLb0EES18_EEDaS13_S14_EUlS13_E_NS1_11comp_targetILNS1_3genE9ELNS1_11target_archE1100ELNS1_3gpuE3ELNS1_3repE0EEENS1_30default_config_static_selectorELNS0_4arch9wavefront6targetE0EEEvT1_
; %bb.0:
	.section	.rodata,"a",@progbits
	.p2align	6, 0x0
	.amdhsa_kernel _ZN7rocprim17ROCPRIM_400000_NS6detail17trampoline_kernelINS0_14default_configENS1_25partition_config_selectorILNS1_17partition_subalgoE6EtNS0_10empty_typeEbEEZZNS1_14partition_implILS5_6ELb0ES3_mN6thrust23THRUST_200600_302600_NS6detail15normal_iteratorINSA_10device_ptrItEEEEPS6_SG_NS0_5tupleIJSF_S6_EEENSH_IJSG_SG_EEES6_PlJNSB_9not_fun_tI7is_evenItEEEEEE10hipError_tPvRmT3_T4_T5_T6_T7_T9_mT8_P12ihipStream_tbDpT10_ENKUlT_T0_E_clISt17integral_constantIbLb0EES18_EEDaS13_S14_EUlS13_E_NS1_11comp_targetILNS1_3genE9ELNS1_11target_archE1100ELNS1_3gpuE3ELNS1_3repE0EEENS1_30default_config_static_selectorELNS0_4arch9wavefront6targetE0EEEvT1_
		.amdhsa_group_segment_fixed_size 0
		.amdhsa_private_segment_fixed_size 0
		.amdhsa_kernarg_size 112
		.amdhsa_user_sgpr_count 2
		.amdhsa_user_sgpr_dispatch_ptr 0
		.amdhsa_user_sgpr_queue_ptr 0
		.amdhsa_user_sgpr_kernarg_segment_ptr 1
		.amdhsa_user_sgpr_dispatch_id 0
		.amdhsa_user_sgpr_private_segment_size 0
		.amdhsa_wavefront_size32 1
		.amdhsa_uses_dynamic_stack 0
		.amdhsa_enable_private_segment 0
		.amdhsa_system_sgpr_workgroup_id_x 1
		.amdhsa_system_sgpr_workgroup_id_y 0
		.amdhsa_system_sgpr_workgroup_id_z 0
		.amdhsa_system_sgpr_workgroup_info 0
		.amdhsa_system_vgpr_workitem_id 0
		.amdhsa_next_free_vgpr 1
		.amdhsa_next_free_sgpr 1
		.amdhsa_reserve_vcc 0
		.amdhsa_float_round_mode_32 0
		.amdhsa_float_round_mode_16_64 0
		.amdhsa_float_denorm_mode_32 3
		.amdhsa_float_denorm_mode_16_64 3
		.amdhsa_fp16_overflow 0
		.amdhsa_workgroup_processor_mode 1
		.amdhsa_memory_ordered 1
		.amdhsa_forward_progress 1
		.amdhsa_inst_pref_size 0
		.amdhsa_round_robin_scheduling 0
		.amdhsa_exception_fp_ieee_invalid_op 0
		.amdhsa_exception_fp_denorm_src 0
		.amdhsa_exception_fp_ieee_div_zero 0
		.amdhsa_exception_fp_ieee_overflow 0
		.amdhsa_exception_fp_ieee_underflow 0
		.amdhsa_exception_fp_ieee_inexact 0
		.amdhsa_exception_int_div_zero 0
	.end_amdhsa_kernel
	.section	.text._ZN7rocprim17ROCPRIM_400000_NS6detail17trampoline_kernelINS0_14default_configENS1_25partition_config_selectorILNS1_17partition_subalgoE6EtNS0_10empty_typeEbEEZZNS1_14partition_implILS5_6ELb0ES3_mN6thrust23THRUST_200600_302600_NS6detail15normal_iteratorINSA_10device_ptrItEEEEPS6_SG_NS0_5tupleIJSF_S6_EEENSH_IJSG_SG_EEES6_PlJNSB_9not_fun_tI7is_evenItEEEEEE10hipError_tPvRmT3_T4_T5_T6_T7_T9_mT8_P12ihipStream_tbDpT10_ENKUlT_T0_E_clISt17integral_constantIbLb0EES18_EEDaS13_S14_EUlS13_E_NS1_11comp_targetILNS1_3genE9ELNS1_11target_archE1100ELNS1_3gpuE3ELNS1_3repE0EEENS1_30default_config_static_selectorELNS0_4arch9wavefront6targetE0EEEvT1_,"axG",@progbits,_ZN7rocprim17ROCPRIM_400000_NS6detail17trampoline_kernelINS0_14default_configENS1_25partition_config_selectorILNS1_17partition_subalgoE6EtNS0_10empty_typeEbEEZZNS1_14partition_implILS5_6ELb0ES3_mN6thrust23THRUST_200600_302600_NS6detail15normal_iteratorINSA_10device_ptrItEEEEPS6_SG_NS0_5tupleIJSF_S6_EEENSH_IJSG_SG_EEES6_PlJNSB_9not_fun_tI7is_evenItEEEEEE10hipError_tPvRmT3_T4_T5_T6_T7_T9_mT8_P12ihipStream_tbDpT10_ENKUlT_T0_E_clISt17integral_constantIbLb0EES18_EEDaS13_S14_EUlS13_E_NS1_11comp_targetILNS1_3genE9ELNS1_11target_archE1100ELNS1_3gpuE3ELNS1_3repE0EEENS1_30default_config_static_selectorELNS0_4arch9wavefront6targetE0EEEvT1_,comdat
.Lfunc_end667:
	.size	_ZN7rocprim17ROCPRIM_400000_NS6detail17trampoline_kernelINS0_14default_configENS1_25partition_config_selectorILNS1_17partition_subalgoE6EtNS0_10empty_typeEbEEZZNS1_14partition_implILS5_6ELb0ES3_mN6thrust23THRUST_200600_302600_NS6detail15normal_iteratorINSA_10device_ptrItEEEEPS6_SG_NS0_5tupleIJSF_S6_EEENSH_IJSG_SG_EEES6_PlJNSB_9not_fun_tI7is_evenItEEEEEE10hipError_tPvRmT3_T4_T5_T6_T7_T9_mT8_P12ihipStream_tbDpT10_ENKUlT_T0_E_clISt17integral_constantIbLb0EES18_EEDaS13_S14_EUlS13_E_NS1_11comp_targetILNS1_3genE9ELNS1_11target_archE1100ELNS1_3gpuE3ELNS1_3repE0EEENS1_30default_config_static_selectorELNS0_4arch9wavefront6targetE0EEEvT1_, .Lfunc_end667-_ZN7rocprim17ROCPRIM_400000_NS6detail17trampoline_kernelINS0_14default_configENS1_25partition_config_selectorILNS1_17partition_subalgoE6EtNS0_10empty_typeEbEEZZNS1_14partition_implILS5_6ELb0ES3_mN6thrust23THRUST_200600_302600_NS6detail15normal_iteratorINSA_10device_ptrItEEEEPS6_SG_NS0_5tupleIJSF_S6_EEENSH_IJSG_SG_EEES6_PlJNSB_9not_fun_tI7is_evenItEEEEEE10hipError_tPvRmT3_T4_T5_T6_T7_T9_mT8_P12ihipStream_tbDpT10_ENKUlT_T0_E_clISt17integral_constantIbLb0EES18_EEDaS13_S14_EUlS13_E_NS1_11comp_targetILNS1_3genE9ELNS1_11target_archE1100ELNS1_3gpuE3ELNS1_3repE0EEENS1_30default_config_static_selectorELNS0_4arch9wavefront6targetE0EEEvT1_
                                        ; -- End function
	.set _ZN7rocprim17ROCPRIM_400000_NS6detail17trampoline_kernelINS0_14default_configENS1_25partition_config_selectorILNS1_17partition_subalgoE6EtNS0_10empty_typeEbEEZZNS1_14partition_implILS5_6ELb0ES3_mN6thrust23THRUST_200600_302600_NS6detail15normal_iteratorINSA_10device_ptrItEEEEPS6_SG_NS0_5tupleIJSF_S6_EEENSH_IJSG_SG_EEES6_PlJNSB_9not_fun_tI7is_evenItEEEEEE10hipError_tPvRmT3_T4_T5_T6_T7_T9_mT8_P12ihipStream_tbDpT10_ENKUlT_T0_E_clISt17integral_constantIbLb0EES18_EEDaS13_S14_EUlS13_E_NS1_11comp_targetILNS1_3genE9ELNS1_11target_archE1100ELNS1_3gpuE3ELNS1_3repE0EEENS1_30default_config_static_selectorELNS0_4arch9wavefront6targetE0EEEvT1_.num_vgpr, 0
	.set _ZN7rocprim17ROCPRIM_400000_NS6detail17trampoline_kernelINS0_14default_configENS1_25partition_config_selectorILNS1_17partition_subalgoE6EtNS0_10empty_typeEbEEZZNS1_14partition_implILS5_6ELb0ES3_mN6thrust23THRUST_200600_302600_NS6detail15normal_iteratorINSA_10device_ptrItEEEEPS6_SG_NS0_5tupleIJSF_S6_EEENSH_IJSG_SG_EEES6_PlJNSB_9not_fun_tI7is_evenItEEEEEE10hipError_tPvRmT3_T4_T5_T6_T7_T9_mT8_P12ihipStream_tbDpT10_ENKUlT_T0_E_clISt17integral_constantIbLb0EES18_EEDaS13_S14_EUlS13_E_NS1_11comp_targetILNS1_3genE9ELNS1_11target_archE1100ELNS1_3gpuE3ELNS1_3repE0EEENS1_30default_config_static_selectorELNS0_4arch9wavefront6targetE0EEEvT1_.num_agpr, 0
	.set _ZN7rocprim17ROCPRIM_400000_NS6detail17trampoline_kernelINS0_14default_configENS1_25partition_config_selectorILNS1_17partition_subalgoE6EtNS0_10empty_typeEbEEZZNS1_14partition_implILS5_6ELb0ES3_mN6thrust23THRUST_200600_302600_NS6detail15normal_iteratorINSA_10device_ptrItEEEEPS6_SG_NS0_5tupleIJSF_S6_EEENSH_IJSG_SG_EEES6_PlJNSB_9not_fun_tI7is_evenItEEEEEE10hipError_tPvRmT3_T4_T5_T6_T7_T9_mT8_P12ihipStream_tbDpT10_ENKUlT_T0_E_clISt17integral_constantIbLb0EES18_EEDaS13_S14_EUlS13_E_NS1_11comp_targetILNS1_3genE9ELNS1_11target_archE1100ELNS1_3gpuE3ELNS1_3repE0EEENS1_30default_config_static_selectorELNS0_4arch9wavefront6targetE0EEEvT1_.numbered_sgpr, 0
	.set _ZN7rocprim17ROCPRIM_400000_NS6detail17trampoline_kernelINS0_14default_configENS1_25partition_config_selectorILNS1_17partition_subalgoE6EtNS0_10empty_typeEbEEZZNS1_14partition_implILS5_6ELb0ES3_mN6thrust23THRUST_200600_302600_NS6detail15normal_iteratorINSA_10device_ptrItEEEEPS6_SG_NS0_5tupleIJSF_S6_EEENSH_IJSG_SG_EEES6_PlJNSB_9not_fun_tI7is_evenItEEEEEE10hipError_tPvRmT3_T4_T5_T6_T7_T9_mT8_P12ihipStream_tbDpT10_ENKUlT_T0_E_clISt17integral_constantIbLb0EES18_EEDaS13_S14_EUlS13_E_NS1_11comp_targetILNS1_3genE9ELNS1_11target_archE1100ELNS1_3gpuE3ELNS1_3repE0EEENS1_30default_config_static_selectorELNS0_4arch9wavefront6targetE0EEEvT1_.num_named_barrier, 0
	.set _ZN7rocprim17ROCPRIM_400000_NS6detail17trampoline_kernelINS0_14default_configENS1_25partition_config_selectorILNS1_17partition_subalgoE6EtNS0_10empty_typeEbEEZZNS1_14partition_implILS5_6ELb0ES3_mN6thrust23THRUST_200600_302600_NS6detail15normal_iteratorINSA_10device_ptrItEEEEPS6_SG_NS0_5tupleIJSF_S6_EEENSH_IJSG_SG_EEES6_PlJNSB_9not_fun_tI7is_evenItEEEEEE10hipError_tPvRmT3_T4_T5_T6_T7_T9_mT8_P12ihipStream_tbDpT10_ENKUlT_T0_E_clISt17integral_constantIbLb0EES18_EEDaS13_S14_EUlS13_E_NS1_11comp_targetILNS1_3genE9ELNS1_11target_archE1100ELNS1_3gpuE3ELNS1_3repE0EEENS1_30default_config_static_selectorELNS0_4arch9wavefront6targetE0EEEvT1_.private_seg_size, 0
	.set _ZN7rocprim17ROCPRIM_400000_NS6detail17trampoline_kernelINS0_14default_configENS1_25partition_config_selectorILNS1_17partition_subalgoE6EtNS0_10empty_typeEbEEZZNS1_14partition_implILS5_6ELb0ES3_mN6thrust23THRUST_200600_302600_NS6detail15normal_iteratorINSA_10device_ptrItEEEEPS6_SG_NS0_5tupleIJSF_S6_EEENSH_IJSG_SG_EEES6_PlJNSB_9not_fun_tI7is_evenItEEEEEE10hipError_tPvRmT3_T4_T5_T6_T7_T9_mT8_P12ihipStream_tbDpT10_ENKUlT_T0_E_clISt17integral_constantIbLb0EES18_EEDaS13_S14_EUlS13_E_NS1_11comp_targetILNS1_3genE9ELNS1_11target_archE1100ELNS1_3gpuE3ELNS1_3repE0EEENS1_30default_config_static_selectorELNS0_4arch9wavefront6targetE0EEEvT1_.uses_vcc, 0
	.set _ZN7rocprim17ROCPRIM_400000_NS6detail17trampoline_kernelINS0_14default_configENS1_25partition_config_selectorILNS1_17partition_subalgoE6EtNS0_10empty_typeEbEEZZNS1_14partition_implILS5_6ELb0ES3_mN6thrust23THRUST_200600_302600_NS6detail15normal_iteratorINSA_10device_ptrItEEEEPS6_SG_NS0_5tupleIJSF_S6_EEENSH_IJSG_SG_EEES6_PlJNSB_9not_fun_tI7is_evenItEEEEEE10hipError_tPvRmT3_T4_T5_T6_T7_T9_mT8_P12ihipStream_tbDpT10_ENKUlT_T0_E_clISt17integral_constantIbLb0EES18_EEDaS13_S14_EUlS13_E_NS1_11comp_targetILNS1_3genE9ELNS1_11target_archE1100ELNS1_3gpuE3ELNS1_3repE0EEENS1_30default_config_static_selectorELNS0_4arch9wavefront6targetE0EEEvT1_.uses_flat_scratch, 0
	.set _ZN7rocprim17ROCPRIM_400000_NS6detail17trampoline_kernelINS0_14default_configENS1_25partition_config_selectorILNS1_17partition_subalgoE6EtNS0_10empty_typeEbEEZZNS1_14partition_implILS5_6ELb0ES3_mN6thrust23THRUST_200600_302600_NS6detail15normal_iteratorINSA_10device_ptrItEEEEPS6_SG_NS0_5tupleIJSF_S6_EEENSH_IJSG_SG_EEES6_PlJNSB_9not_fun_tI7is_evenItEEEEEE10hipError_tPvRmT3_T4_T5_T6_T7_T9_mT8_P12ihipStream_tbDpT10_ENKUlT_T0_E_clISt17integral_constantIbLb0EES18_EEDaS13_S14_EUlS13_E_NS1_11comp_targetILNS1_3genE9ELNS1_11target_archE1100ELNS1_3gpuE3ELNS1_3repE0EEENS1_30default_config_static_selectorELNS0_4arch9wavefront6targetE0EEEvT1_.has_dyn_sized_stack, 0
	.set _ZN7rocprim17ROCPRIM_400000_NS6detail17trampoline_kernelINS0_14default_configENS1_25partition_config_selectorILNS1_17partition_subalgoE6EtNS0_10empty_typeEbEEZZNS1_14partition_implILS5_6ELb0ES3_mN6thrust23THRUST_200600_302600_NS6detail15normal_iteratorINSA_10device_ptrItEEEEPS6_SG_NS0_5tupleIJSF_S6_EEENSH_IJSG_SG_EEES6_PlJNSB_9not_fun_tI7is_evenItEEEEEE10hipError_tPvRmT3_T4_T5_T6_T7_T9_mT8_P12ihipStream_tbDpT10_ENKUlT_T0_E_clISt17integral_constantIbLb0EES18_EEDaS13_S14_EUlS13_E_NS1_11comp_targetILNS1_3genE9ELNS1_11target_archE1100ELNS1_3gpuE3ELNS1_3repE0EEENS1_30default_config_static_selectorELNS0_4arch9wavefront6targetE0EEEvT1_.has_recursion, 0
	.set _ZN7rocprim17ROCPRIM_400000_NS6detail17trampoline_kernelINS0_14default_configENS1_25partition_config_selectorILNS1_17partition_subalgoE6EtNS0_10empty_typeEbEEZZNS1_14partition_implILS5_6ELb0ES3_mN6thrust23THRUST_200600_302600_NS6detail15normal_iteratorINSA_10device_ptrItEEEEPS6_SG_NS0_5tupleIJSF_S6_EEENSH_IJSG_SG_EEES6_PlJNSB_9not_fun_tI7is_evenItEEEEEE10hipError_tPvRmT3_T4_T5_T6_T7_T9_mT8_P12ihipStream_tbDpT10_ENKUlT_T0_E_clISt17integral_constantIbLb0EES18_EEDaS13_S14_EUlS13_E_NS1_11comp_targetILNS1_3genE9ELNS1_11target_archE1100ELNS1_3gpuE3ELNS1_3repE0EEENS1_30default_config_static_selectorELNS0_4arch9wavefront6targetE0EEEvT1_.has_indirect_call, 0
	.section	.AMDGPU.csdata,"",@progbits
; Kernel info:
; codeLenInByte = 0
; TotalNumSgprs: 0
; NumVgprs: 0
; ScratchSize: 0
; MemoryBound: 0
; FloatMode: 240
; IeeeMode: 1
; LDSByteSize: 0 bytes/workgroup (compile time only)
; SGPRBlocks: 0
; VGPRBlocks: 0
; NumSGPRsForWavesPerEU: 1
; NumVGPRsForWavesPerEU: 1
; Occupancy: 16
; WaveLimiterHint : 0
; COMPUTE_PGM_RSRC2:SCRATCH_EN: 0
; COMPUTE_PGM_RSRC2:USER_SGPR: 2
; COMPUTE_PGM_RSRC2:TRAP_HANDLER: 0
; COMPUTE_PGM_RSRC2:TGID_X_EN: 1
; COMPUTE_PGM_RSRC2:TGID_Y_EN: 0
; COMPUTE_PGM_RSRC2:TGID_Z_EN: 0
; COMPUTE_PGM_RSRC2:TIDIG_COMP_CNT: 0
	.section	.text._ZN7rocprim17ROCPRIM_400000_NS6detail17trampoline_kernelINS0_14default_configENS1_25partition_config_selectorILNS1_17partition_subalgoE6EtNS0_10empty_typeEbEEZZNS1_14partition_implILS5_6ELb0ES3_mN6thrust23THRUST_200600_302600_NS6detail15normal_iteratorINSA_10device_ptrItEEEEPS6_SG_NS0_5tupleIJSF_S6_EEENSH_IJSG_SG_EEES6_PlJNSB_9not_fun_tI7is_evenItEEEEEE10hipError_tPvRmT3_T4_T5_T6_T7_T9_mT8_P12ihipStream_tbDpT10_ENKUlT_T0_E_clISt17integral_constantIbLb0EES18_EEDaS13_S14_EUlS13_E_NS1_11comp_targetILNS1_3genE8ELNS1_11target_archE1030ELNS1_3gpuE2ELNS1_3repE0EEENS1_30default_config_static_selectorELNS0_4arch9wavefront6targetE0EEEvT1_,"axG",@progbits,_ZN7rocprim17ROCPRIM_400000_NS6detail17trampoline_kernelINS0_14default_configENS1_25partition_config_selectorILNS1_17partition_subalgoE6EtNS0_10empty_typeEbEEZZNS1_14partition_implILS5_6ELb0ES3_mN6thrust23THRUST_200600_302600_NS6detail15normal_iteratorINSA_10device_ptrItEEEEPS6_SG_NS0_5tupleIJSF_S6_EEENSH_IJSG_SG_EEES6_PlJNSB_9not_fun_tI7is_evenItEEEEEE10hipError_tPvRmT3_T4_T5_T6_T7_T9_mT8_P12ihipStream_tbDpT10_ENKUlT_T0_E_clISt17integral_constantIbLb0EES18_EEDaS13_S14_EUlS13_E_NS1_11comp_targetILNS1_3genE8ELNS1_11target_archE1030ELNS1_3gpuE2ELNS1_3repE0EEENS1_30default_config_static_selectorELNS0_4arch9wavefront6targetE0EEEvT1_,comdat
	.protected	_ZN7rocprim17ROCPRIM_400000_NS6detail17trampoline_kernelINS0_14default_configENS1_25partition_config_selectorILNS1_17partition_subalgoE6EtNS0_10empty_typeEbEEZZNS1_14partition_implILS5_6ELb0ES3_mN6thrust23THRUST_200600_302600_NS6detail15normal_iteratorINSA_10device_ptrItEEEEPS6_SG_NS0_5tupleIJSF_S6_EEENSH_IJSG_SG_EEES6_PlJNSB_9not_fun_tI7is_evenItEEEEEE10hipError_tPvRmT3_T4_T5_T6_T7_T9_mT8_P12ihipStream_tbDpT10_ENKUlT_T0_E_clISt17integral_constantIbLb0EES18_EEDaS13_S14_EUlS13_E_NS1_11comp_targetILNS1_3genE8ELNS1_11target_archE1030ELNS1_3gpuE2ELNS1_3repE0EEENS1_30default_config_static_selectorELNS0_4arch9wavefront6targetE0EEEvT1_ ; -- Begin function _ZN7rocprim17ROCPRIM_400000_NS6detail17trampoline_kernelINS0_14default_configENS1_25partition_config_selectorILNS1_17partition_subalgoE6EtNS0_10empty_typeEbEEZZNS1_14partition_implILS5_6ELb0ES3_mN6thrust23THRUST_200600_302600_NS6detail15normal_iteratorINSA_10device_ptrItEEEEPS6_SG_NS0_5tupleIJSF_S6_EEENSH_IJSG_SG_EEES6_PlJNSB_9not_fun_tI7is_evenItEEEEEE10hipError_tPvRmT3_T4_T5_T6_T7_T9_mT8_P12ihipStream_tbDpT10_ENKUlT_T0_E_clISt17integral_constantIbLb0EES18_EEDaS13_S14_EUlS13_E_NS1_11comp_targetILNS1_3genE8ELNS1_11target_archE1030ELNS1_3gpuE2ELNS1_3repE0EEENS1_30default_config_static_selectorELNS0_4arch9wavefront6targetE0EEEvT1_
	.globl	_ZN7rocprim17ROCPRIM_400000_NS6detail17trampoline_kernelINS0_14default_configENS1_25partition_config_selectorILNS1_17partition_subalgoE6EtNS0_10empty_typeEbEEZZNS1_14partition_implILS5_6ELb0ES3_mN6thrust23THRUST_200600_302600_NS6detail15normal_iteratorINSA_10device_ptrItEEEEPS6_SG_NS0_5tupleIJSF_S6_EEENSH_IJSG_SG_EEES6_PlJNSB_9not_fun_tI7is_evenItEEEEEE10hipError_tPvRmT3_T4_T5_T6_T7_T9_mT8_P12ihipStream_tbDpT10_ENKUlT_T0_E_clISt17integral_constantIbLb0EES18_EEDaS13_S14_EUlS13_E_NS1_11comp_targetILNS1_3genE8ELNS1_11target_archE1030ELNS1_3gpuE2ELNS1_3repE0EEENS1_30default_config_static_selectorELNS0_4arch9wavefront6targetE0EEEvT1_
	.p2align	8
	.type	_ZN7rocprim17ROCPRIM_400000_NS6detail17trampoline_kernelINS0_14default_configENS1_25partition_config_selectorILNS1_17partition_subalgoE6EtNS0_10empty_typeEbEEZZNS1_14partition_implILS5_6ELb0ES3_mN6thrust23THRUST_200600_302600_NS6detail15normal_iteratorINSA_10device_ptrItEEEEPS6_SG_NS0_5tupleIJSF_S6_EEENSH_IJSG_SG_EEES6_PlJNSB_9not_fun_tI7is_evenItEEEEEE10hipError_tPvRmT3_T4_T5_T6_T7_T9_mT8_P12ihipStream_tbDpT10_ENKUlT_T0_E_clISt17integral_constantIbLb0EES18_EEDaS13_S14_EUlS13_E_NS1_11comp_targetILNS1_3genE8ELNS1_11target_archE1030ELNS1_3gpuE2ELNS1_3repE0EEENS1_30default_config_static_selectorELNS0_4arch9wavefront6targetE0EEEvT1_,@function
_ZN7rocprim17ROCPRIM_400000_NS6detail17trampoline_kernelINS0_14default_configENS1_25partition_config_selectorILNS1_17partition_subalgoE6EtNS0_10empty_typeEbEEZZNS1_14partition_implILS5_6ELb0ES3_mN6thrust23THRUST_200600_302600_NS6detail15normal_iteratorINSA_10device_ptrItEEEEPS6_SG_NS0_5tupleIJSF_S6_EEENSH_IJSG_SG_EEES6_PlJNSB_9not_fun_tI7is_evenItEEEEEE10hipError_tPvRmT3_T4_T5_T6_T7_T9_mT8_P12ihipStream_tbDpT10_ENKUlT_T0_E_clISt17integral_constantIbLb0EES18_EEDaS13_S14_EUlS13_E_NS1_11comp_targetILNS1_3genE8ELNS1_11target_archE1030ELNS1_3gpuE2ELNS1_3repE0EEENS1_30default_config_static_selectorELNS0_4arch9wavefront6targetE0EEEvT1_: ; @_ZN7rocprim17ROCPRIM_400000_NS6detail17trampoline_kernelINS0_14default_configENS1_25partition_config_selectorILNS1_17partition_subalgoE6EtNS0_10empty_typeEbEEZZNS1_14partition_implILS5_6ELb0ES3_mN6thrust23THRUST_200600_302600_NS6detail15normal_iteratorINSA_10device_ptrItEEEEPS6_SG_NS0_5tupleIJSF_S6_EEENSH_IJSG_SG_EEES6_PlJNSB_9not_fun_tI7is_evenItEEEEEE10hipError_tPvRmT3_T4_T5_T6_T7_T9_mT8_P12ihipStream_tbDpT10_ENKUlT_T0_E_clISt17integral_constantIbLb0EES18_EEDaS13_S14_EUlS13_E_NS1_11comp_targetILNS1_3genE8ELNS1_11target_archE1030ELNS1_3gpuE2ELNS1_3repE0EEENS1_30default_config_static_selectorELNS0_4arch9wavefront6targetE0EEEvT1_
; %bb.0:
	.section	.rodata,"a",@progbits
	.p2align	6, 0x0
	.amdhsa_kernel _ZN7rocprim17ROCPRIM_400000_NS6detail17trampoline_kernelINS0_14default_configENS1_25partition_config_selectorILNS1_17partition_subalgoE6EtNS0_10empty_typeEbEEZZNS1_14partition_implILS5_6ELb0ES3_mN6thrust23THRUST_200600_302600_NS6detail15normal_iteratorINSA_10device_ptrItEEEEPS6_SG_NS0_5tupleIJSF_S6_EEENSH_IJSG_SG_EEES6_PlJNSB_9not_fun_tI7is_evenItEEEEEE10hipError_tPvRmT3_T4_T5_T6_T7_T9_mT8_P12ihipStream_tbDpT10_ENKUlT_T0_E_clISt17integral_constantIbLb0EES18_EEDaS13_S14_EUlS13_E_NS1_11comp_targetILNS1_3genE8ELNS1_11target_archE1030ELNS1_3gpuE2ELNS1_3repE0EEENS1_30default_config_static_selectorELNS0_4arch9wavefront6targetE0EEEvT1_
		.amdhsa_group_segment_fixed_size 0
		.amdhsa_private_segment_fixed_size 0
		.amdhsa_kernarg_size 112
		.amdhsa_user_sgpr_count 2
		.amdhsa_user_sgpr_dispatch_ptr 0
		.amdhsa_user_sgpr_queue_ptr 0
		.amdhsa_user_sgpr_kernarg_segment_ptr 1
		.amdhsa_user_sgpr_dispatch_id 0
		.amdhsa_user_sgpr_private_segment_size 0
		.amdhsa_wavefront_size32 1
		.amdhsa_uses_dynamic_stack 0
		.amdhsa_enable_private_segment 0
		.amdhsa_system_sgpr_workgroup_id_x 1
		.amdhsa_system_sgpr_workgroup_id_y 0
		.amdhsa_system_sgpr_workgroup_id_z 0
		.amdhsa_system_sgpr_workgroup_info 0
		.amdhsa_system_vgpr_workitem_id 0
		.amdhsa_next_free_vgpr 1
		.amdhsa_next_free_sgpr 1
		.amdhsa_reserve_vcc 0
		.amdhsa_float_round_mode_32 0
		.amdhsa_float_round_mode_16_64 0
		.amdhsa_float_denorm_mode_32 3
		.amdhsa_float_denorm_mode_16_64 3
		.amdhsa_fp16_overflow 0
		.amdhsa_workgroup_processor_mode 1
		.amdhsa_memory_ordered 1
		.amdhsa_forward_progress 1
		.amdhsa_inst_pref_size 0
		.amdhsa_round_robin_scheduling 0
		.amdhsa_exception_fp_ieee_invalid_op 0
		.amdhsa_exception_fp_denorm_src 0
		.amdhsa_exception_fp_ieee_div_zero 0
		.amdhsa_exception_fp_ieee_overflow 0
		.amdhsa_exception_fp_ieee_underflow 0
		.amdhsa_exception_fp_ieee_inexact 0
		.amdhsa_exception_int_div_zero 0
	.end_amdhsa_kernel
	.section	.text._ZN7rocprim17ROCPRIM_400000_NS6detail17trampoline_kernelINS0_14default_configENS1_25partition_config_selectorILNS1_17partition_subalgoE6EtNS0_10empty_typeEbEEZZNS1_14partition_implILS5_6ELb0ES3_mN6thrust23THRUST_200600_302600_NS6detail15normal_iteratorINSA_10device_ptrItEEEEPS6_SG_NS0_5tupleIJSF_S6_EEENSH_IJSG_SG_EEES6_PlJNSB_9not_fun_tI7is_evenItEEEEEE10hipError_tPvRmT3_T4_T5_T6_T7_T9_mT8_P12ihipStream_tbDpT10_ENKUlT_T0_E_clISt17integral_constantIbLb0EES18_EEDaS13_S14_EUlS13_E_NS1_11comp_targetILNS1_3genE8ELNS1_11target_archE1030ELNS1_3gpuE2ELNS1_3repE0EEENS1_30default_config_static_selectorELNS0_4arch9wavefront6targetE0EEEvT1_,"axG",@progbits,_ZN7rocprim17ROCPRIM_400000_NS6detail17trampoline_kernelINS0_14default_configENS1_25partition_config_selectorILNS1_17partition_subalgoE6EtNS0_10empty_typeEbEEZZNS1_14partition_implILS5_6ELb0ES3_mN6thrust23THRUST_200600_302600_NS6detail15normal_iteratorINSA_10device_ptrItEEEEPS6_SG_NS0_5tupleIJSF_S6_EEENSH_IJSG_SG_EEES6_PlJNSB_9not_fun_tI7is_evenItEEEEEE10hipError_tPvRmT3_T4_T5_T6_T7_T9_mT8_P12ihipStream_tbDpT10_ENKUlT_T0_E_clISt17integral_constantIbLb0EES18_EEDaS13_S14_EUlS13_E_NS1_11comp_targetILNS1_3genE8ELNS1_11target_archE1030ELNS1_3gpuE2ELNS1_3repE0EEENS1_30default_config_static_selectorELNS0_4arch9wavefront6targetE0EEEvT1_,comdat
.Lfunc_end668:
	.size	_ZN7rocprim17ROCPRIM_400000_NS6detail17trampoline_kernelINS0_14default_configENS1_25partition_config_selectorILNS1_17partition_subalgoE6EtNS0_10empty_typeEbEEZZNS1_14partition_implILS5_6ELb0ES3_mN6thrust23THRUST_200600_302600_NS6detail15normal_iteratorINSA_10device_ptrItEEEEPS6_SG_NS0_5tupleIJSF_S6_EEENSH_IJSG_SG_EEES6_PlJNSB_9not_fun_tI7is_evenItEEEEEE10hipError_tPvRmT3_T4_T5_T6_T7_T9_mT8_P12ihipStream_tbDpT10_ENKUlT_T0_E_clISt17integral_constantIbLb0EES18_EEDaS13_S14_EUlS13_E_NS1_11comp_targetILNS1_3genE8ELNS1_11target_archE1030ELNS1_3gpuE2ELNS1_3repE0EEENS1_30default_config_static_selectorELNS0_4arch9wavefront6targetE0EEEvT1_, .Lfunc_end668-_ZN7rocprim17ROCPRIM_400000_NS6detail17trampoline_kernelINS0_14default_configENS1_25partition_config_selectorILNS1_17partition_subalgoE6EtNS0_10empty_typeEbEEZZNS1_14partition_implILS5_6ELb0ES3_mN6thrust23THRUST_200600_302600_NS6detail15normal_iteratorINSA_10device_ptrItEEEEPS6_SG_NS0_5tupleIJSF_S6_EEENSH_IJSG_SG_EEES6_PlJNSB_9not_fun_tI7is_evenItEEEEEE10hipError_tPvRmT3_T4_T5_T6_T7_T9_mT8_P12ihipStream_tbDpT10_ENKUlT_T0_E_clISt17integral_constantIbLb0EES18_EEDaS13_S14_EUlS13_E_NS1_11comp_targetILNS1_3genE8ELNS1_11target_archE1030ELNS1_3gpuE2ELNS1_3repE0EEENS1_30default_config_static_selectorELNS0_4arch9wavefront6targetE0EEEvT1_
                                        ; -- End function
	.set _ZN7rocprim17ROCPRIM_400000_NS6detail17trampoline_kernelINS0_14default_configENS1_25partition_config_selectorILNS1_17partition_subalgoE6EtNS0_10empty_typeEbEEZZNS1_14partition_implILS5_6ELb0ES3_mN6thrust23THRUST_200600_302600_NS6detail15normal_iteratorINSA_10device_ptrItEEEEPS6_SG_NS0_5tupleIJSF_S6_EEENSH_IJSG_SG_EEES6_PlJNSB_9not_fun_tI7is_evenItEEEEEE10hipError_tPvRmT3_T4_T5_T6_T7_T9_mT8_P12ihipStream_tbDpT10_ENKUlT_T0_E_clISt17integral_constantIbLb0EES18_EEDaS13_S14_EUlS13_E_NS1_11comp_targetILNS1_3genE8ELNS1_11target_archE1030ELNS1_3gpuE2ELNS1_3repE0EEENS1_30default_config_static_selectorELNS0_4arch9wavefront6targetE0EEEvT1_.num_vgpr, 0
	.set _ZN7rocprim17ROCPRIM_400000_NS6detail17trampoline_kernelINS0_14default_configENS1_25partition_config_selectorILNS1_17partition_subalgoE6EtNS0_10empty_typeEbEEZZNS1_14partition_implILS5_6ELb0ES3_mN6thrust23THRUST_200600_302600_NS6detail15normal_iteratorINSA_10device_ptrItEEEEPS6_SG_NS0_5tupleIJSF_S6_EEENSH_IJSG_SG_EEES6_PlJNSB_9not_fun_tI7is_evenItEEEEEE10hipError_tPvRmT3_T4_T5_T6_T7_T9_mT8_P12ihipStream_tbDpT10_ENKUlT_T0_E_clISt17integral_constantIbLb0EES18_EEDaS13_S14_EUlS13_E_NS1_11comp_targetILNS1_3genE8ELNS1_11target_archE1030ELNS1_3gpuE2ELNS1_3repE0EEENS1_30default_config_static_selectorELNS0_4arch9wavefront6targetE0EEEvT1_.num_agpr, 0
	.set _ZN7rocprim17ROCPRIM_400000_NS6detail17trampoline_kernelINS0_14default_configENS1_25partition_config_selectorILNS1_17partition_subalgoE6EtNS0_10empty_typeEbEEZZNS1_14partition_implILS5_6ELb0ES3_mN6thrust23THRUST_200600_302600_NS6detail15normal_iteratorINSA_10device_ptrItEEEEPS6_SG_NS0_5tupleIJSF_S6_EEENSH_IJSG_SG_EEES6_PlJNSB_9not_fun_tI7is_evenItEEEEEE10hipError_tPvRmT3_T4_T5_T6_T7_T9_mT8_P12ihipStream_tbDpT10_ENKUlT_T0_E_clISt17integral_constantIbLb0EES18_EEDaS13_S14_EUlS13_E_NS1_11comp_targetILNS1_3genE8ELNS1_11target_archE1030ELNS1_3gpuE2ELNS1_3repE0EEENS1_30default_config_static_selectorELNS0_4arch9wavefront6targetE0EEEvT1_.numbered_sgpr, 0
	.set _ZN7rocprim17ROCPRIM_400000_NS6detail17trampoline_kernelINS0_14default_configENS1_25partition_config_selectorILNS1_17partition_subalgoE6EtNS0_10empty_typeEbEEZZNS1_14partition_implILS5_6ELb0ES3_mN6thrust23THRUST_200600_302600_NS6detail15normal_iteratorINSA_10device_ptrItEEEEPS6_SG_NS0_5tupleIJSF_S6_EEENSH_IJSG_SG_EEES6_PlJNSB_9not_fun_tI7is_evenItEEEEEE10hipError_tPvRmT3_T4_T5_T6_T7_T9_mT8_P12ihipStream_tbDpT10_ENKUlT_T0_E_clISt17integral_constantIbLb0EES18_EEDaS13_S14_EUlS13_E_NS1_11comp_targetILNS1_3genE8ELNS1_11target_archE1030ELNS1_3gpuE2ELNS1_3repE0EEENS1_30default_config_static_selectorELNS0_4arch9wavefront6targetE0EEEvT1_.num_named_barrier, 0
	.set _ZN7rocprim17ROCPRIM_400000_NS6detail17trampoline_kernelINS0_14default_configENS1_25partition_config_selectorILNS1_17partition_subalgoE6EtNS0_10empty_typeEbEEZZNS1_14partition_implILS5_6ELb0ES3_mN6thrust23THRUST_200600_302600_NS6detail15normal_iteratorINSA_10device_ptrItEEEEPS6_SG_NS0_5tupleIJSF_S6_EEENSH_IJSG_SG_EEES6_PlJNSB_9not_fun_tI7is_evenItEEEEEE10hipError_tPvRmT3_T4_T5_T6_T7_T9_mT8_P12ihipStream_tbDpT10_ENKUlT_T0_E_clISt17integral_constantIbLb0EES18_EEDaS13_S14_EUlS13_E_NS1_11comp_targetILNS1_3genE8ELNS1_11target_archE1030ELNS1_3gpuE2ELNS1_3repE0EEENS1_30default_config_static_selectorELNS0_4arch9wavefront6targetE0EEEvT1_.private_seg_size, 0
	.set _ZN7rocprim17ROCPRIM_400000_NS6detail17trampoline_kernelINS0_14default_configENS1_25partition_config_selectorILNS1_17partition_subalgoE6EtNS0_10empty_typeEbEEZZNS1_14partition_implILS5_6ELb0ES3_mN6thrust23THRUST_200600_302600_NS6detail15normal_iteratorINSA_10device_ptrItEEEEPS6_SG_NS0_5tupleIJSF_S6_EEENSH_IJSG_SG_EEES6_PlJNSB_9not_fun_tI7is_evenItEEEEEE10hipError_tPvRmT3_T4_T5_T6_T7_T9_mT8_P12ihipStream_tbDpT10_ENKUlT_T0_E_clISt17integral_constantIbLb0EES18_EEDaS13_S14_EUlS13_E_NS1_11comp_targetILNS1_3genE8ELNS1_11target_archE1030ELNS1_3gpuE2ELNS1_3repE0EEENS1_30default_config_static_selectorELNS0_4arch9wavefront6targetE0EEEvT1_.uses_vcc, 0
	.set _ZN7rocprim17ROCPRIM_400000_NS6detail17trampoline_kernelINS0_14default_configENS1_25partition_config_selectorILNS1_17partition_subalgoE6EtNS0_10empty_typeEbEEZZNS1_14partition_implILS5_6ELb0ES3_mN6thrust23THRUST_200600_302600_NS6detail15normal_iteratorINSA_10device_ptrItEEEEPS6_SG_NS0_5tupleIJSF_S6_EEENSH_IJSG_SG_EEES6_PlJNSB_9not_fun_tI7is_evenItEEEEEE10hipError_tPvRmT3_T4_T5_T6_T7_T9_mT8_P12ihipStream_tbDpT10_ENKUlT_T0_E_clISt17integral_constantIbLb0EES18_EEDaS13_S14_EUlS13_E_NS1_11comp_targetILNS1_3genE8ELNS1_11target_archE1030ELNS1_3gpuE2ELNS1_3repE0EEENS1_30default_config_static_selectorELNS0_4arch9wavefront6targetE0EEEvT1_.uses_flat_scratch, 0
	.set _ZN7rocprim17ROCPRIM_400000_NS6detail17trampoline_kernelINS0_14default_configENS1_25partition_config_selectorILNS1_17partition_subalgoE6EtNS0_10empty_typeEbEEZZNS1_14partition_implILS5_6ELb0ES3_mN6thrust23THRUST_200600_302600_NS6detail15normal_iteratorINSA_10device_ptrItEEEEPS6_SG_NS0_5tupleIJSF_S6_EEENSH_IJSG_SG_EEES6_PlJNSB_9not_fun_tI7is_evenItEEEEEE10hipError_tPvRmT3_T4_T5_T6_T7_T9_mT8_P12ihipStream_tbDpT10_ENKUlT_T0_E_clISt17integral_constantIbLb0EES18_EEDaS13_S14_EUlS13_E_NS1_11comp_targetILNS1_3genE8ELNS1_11target_archE1030ELNS1_3gpuE2ELNS1_3repE0EEENS1_30default_config_static_selectorELNS0_4arch9wavefront6targetE0EEEvT1_.has_dyn_sized_stack, 0
	.set _ZN7rocprim17ROCPRIM_400000_NS6detail17trampoline_kernelINS0_14default_configENS1_25partition_config_selectorILNS1_17partition_subalgoE6EtNS0_10empty_typeEbEEZZNS1_14partition_implILS5_6ELb0ES3_mN6thrust23THRUST_200600_302600_NS6detail15normal_iteratorINSA_10device_ptrItEEEEPS6_SG_NS0_5tupleIJSF_S6_EEENSH_IJSG_SG_EEES6_PlJNSB_9not_fun_tI7is_evenItEEEEEE10hipError_tPvRmT3_T4_T5_T6_T7_T9_mT8_P12ihipStream_tbDpT10_ENKUlT_T0_E_clISt17integral_constantIbLb0EES18_EEDaS13_S14_EUlS13_E_NS1_11comp_targetILNS1_3genE8ELNS1_11target_archE1030ELNS1_3gpuE2ELNS1_3repE0EEENS1_30default_config_static_selectorELNS0_4arch9wavefront6targetE0EEEvT1_.has_recursion, 0
	.set _ZN7rocprim17ROCPRIM_400000_NS6detail17trampoline_kernelINS0_14default_configENS1_25partition_config_selectorILNS1_17partition_subalgoE6EtNS0_10empty_typeEbEEZZNS1_14partition_implILS5_6ELb0ES3_mN6thrust23THRUST_200600_302600_NS6detail15normal_iteratorINSA_10device_ptrItEEEEPS6_SG_NS0_5tupleIJSF_S6_EEENSH_IJSG_SG_EEES6_PlJNSB_9not_fun_tI7is_evenItEEEEEE10hipError_tPvRmT3_T4_T5_T6_T7_T9_mT8_P12ihipStream_tbDpT10_ENKUlT_T0_E_clISt17integral_constantIbLb0EES18_EEDaS13_S14_EUlS13_E_NS1_11comp_targetILNS1_3genE8ELNS1_11target_archE1030ELNS1_3gpuE2ELNS1_3repE0EEENS1_30default_config_static_selectorELNS0_4arch9wavefront6targetE0EEEvT1_.has_indirect_call, 0
	.section	.AMDGPU.csdata,"",@progbits
; Kernel info:
; codeLenInByte = 0
; TotalNumSgprs: 0
; NumVgprs: 0
; ScratchSize: 0
; MemoryBound: 0
; FloatMode: 240
; IeeeMode: 1
; LDSByteSize: 0 bytes/workgroup (compile time only)
; SGPRBlocks: 0
; VGPRBlocks: 0
; NumSGPRsForWavesPerEU: 1
; NumVGPRsForWavesPerEU: 1
; Occupancy: 16
; WaveLimiterHint : 0
; COMPUTE_PGM_RSRC2:SCRATCH_EN: 0
; COMPUTE_PGM_RSRC2:USER_SGPR: 2
; COMPUTE_PGM_RSRC2:TRAP_HANDLER: 0
; COMPUTE_PGM_RSRC2:TGID_X_EN: 1
; COMPUTE_PGM_RSRC2:TGID_Y_EN: 0
; COMPUTE_PGM_RSRC2:TGID_Z_EN: 0
; COMPUTE_PGM_RSRC2:TIDIG_COMP_CNT: 0
	.section	.text._ZN7rocprim17ROCPRIM_400000_NS6detail17trampoline_kernelINS0_14default_configENS1_25partition_config_selectorILNS1_17partition_subalgoE6EtNS0_10empty_typeEbEEZZNS1_14partition_implILS5_6ELb0ES3_mN6thrust23THRUST_200600_302600_NS6detail15normal_iteratorINSA_10device_ptrItEEEEPS6_SG_NS0_5tupleIJSF_S6_EEENSH_IJSG_SG_EEES6_PlJNSB_9not_fun_tI7is_evenItEEEEEE10hipError_tPvRmT3_T4_T5_T6_T7_T9_mT8_P12ihipStream_tbDpT10_ENKUlT_T0_E_clISt17integral_constantIbLb1EES18_EEDaS13_S14_EUlS13_E_NS1_11comp_targetILNS1_3genE0ELNS1_11target_archE4294967295ELNS1_3gpuE0ELNS1_3repE0EEENS1_30default_config_static_selectorELNS0_4arch9wavefront6targetE0EEEvT1_,"axG",@progbits,_ZN7rocprim17ROCPRIM_400000_NS6detail17trampoline_kernelINS0_14default_configENS1_25partition_config_selectorILNS1_17partition_subalgoE6EtNS0_10empty_typeEbEEZZNS1_14partition_implILS5_6ELb0ES3_mN6thrust23THRUST_200600_302600_NS6detail15normal_iteratorINSA_10device_ptrItEEEEPS6_SG_NS0_5tupleIJSF_S6_EEENSH_IJSG_SG_EEES6_PlJNSB_9not_fun_tI7is_evenItEEEEEE10hipError_tPvRmT3_T4_T5_T6_T7_T9_mT8_P12ihipStream_tbDpT10_ENKUlT_T0_E_clISt17integral_constantIbLb1EES18_EEDaS13_S14_EUlS13_E_NS1_11comp_targetILNS1_3genE0ELNS1_11target_archE4294967295ELNS1_3gpuE0ELNS1_3repE0EEENS1_30default_config_static_selectorELNS0_4arch9wavefront6targetE0EEEvT1_,comdat
	.protected	_ZN7rocprim17ROCPRIM_400000_NS6detail17trampoline_kernelINS0_14default_configENS1_25partition_config_selectorILNS1_17partition_subalgoE6EtNS0_10empty_typeEbEEZZNS1_14partition_implILS5_6ELb0ES3_mN6thrust23THRUST_200600_302600_NS6detail15normal_iteratorINSA_10device_ptrItEEEEPS6_SG_NS0_5tupleIJSF_S6_EEENSH_IJSG_SG_EEES6_PlJNSB_9not_fun_tI7is_evenItEEEEEE10hipError_tPvRmT3_T4_T5_T6_T7_T9_mT8_P12ihipStream_tbDpT10_ENKUlT_T0_E_clISt17integral_constantIbLb1EES18_EEDaS13_S14_EUlS13_E_NS1_11comp_targetILNS1_3genE0ELNS1_11target_archE4294967295ELNS1_3gpuE0ELNS1_3repE0EEENS1_30default_config_static_selectorELNS0_4arch9wavefront6targetE0EEEvT1_ ; -- Begin function _ZN7rocprim17ROCPRIM_400000_NS6detail17trampoline_kernelINS0_14default_configENS1_25partition_config_selectorILNS1_17partition_subalgoE6EtNS0_10empty_typeEbEEZZNS1_14partition_implILS5_6ELb0ES3_mN6thrust23THRUST_200600_302600_NS6detail15normal_iteratorINSA_10device_ptrItEEEEPS6_SG_NS0_5tupleIJSF_S6_EEENSH_IJSG_SG_EEES6_PlJNSB_9not_fun_tI7is_evenItEEEEEE10hipError_tPvRmT3_T4_T5_T6_T7_T9_mT8_P12ihipStream_tbDpT10_ENKUlT_T0_E_clISt17integral_constantIbLb1EES18_EEDaS13_S14_EUlS13_E_NS1_11comp_targetILNS1_3genE0ELNS1_11target_archE4294967295ELNS1_3gpuE0ELNS1_3repE0EEENS1_30default_config_static_selectorELNS0_4arch9wavefront6targetE0EEEvT1_
	.globl	_ZN7rocprim17ROCPRIM_400000_NS6detail17trampoline_kernelINS0_14default_configENS1_25partition_config_selectorILNS1_17partition_subalgoE6EtNS0_10empty_typeEbEEZZNS1_14partition_implILS5_6ELb0ES3_mN6thrust23THRUST_200600_302600_NS6detail15normal_iteratorINSA_10device_ptrItEEEEPS6_SG_NS0_5tupleIJSF_S6_EEENSH_IJSG_SG_EEES6_PlJNSB_9not_fun_tI7is_evenItEEEEEE10hipError_tPvRmT3_T4_T5_T6_T7_T9_mT8_P12ihipStream_tbDpT10_ENKUlT_T0_E_clISt17integral_constantIbLb1EES18_EEDaS13_S14_EUlS13_E_NS1_11comp_targetILNS1_3genE0ELNS1_11target_archE4294967295ELNS1_3gpuE0ELNS1_3repE0EEENS1_30default_config_static_selectorELNS0_4arch9wavefront6targetE0EEEvT1_
	.p2align	8
	.type	_ZN7rocprim17ROCPRIM_400000_NS6detail17trampoline_kernelINS0_14default_configENS1_25partition_config_selectorILNS1_17partition_subalgoE6EtNS0_10empty_typeEbEEZZNS1_14partition_implILS5_6ELb0ES3_mN6thrust23THRUST_200600_302600_NS6detail15normal_iteratorINSA_10device_ptrItEEEEPS6_SG_NS0_5tupleIJSF_S6_EEENSH_IJSG_SG_EEES6_PlJNSB_9not_fun_tI7is_evenItEEEEEE10hipError_tPvRmT3_T4_T5_T6_T7_T9_mT8_P12ihipStream_tbDpT10_ENKUlT_T0_E_clISt17integral_constantIbLb1EES18_EEDaS13_S14_EUlS13_E_NS1_11comp_targetILNS1_3genE0ELNS1_11target_archE4294967295ELNS1_3gpuE0ELNS1_3repE0EEENS1_30default_config_static_selectorELNS0_4arch9wavefront6targetE0EEEvT1_,@function
_ZN7rocprim17ROCPRIM_400000_NS6detail17trampoline_kernelINS0_14default_configENS1_25partition_config_selectorILNS1_17partition_subalgoE6EtNS0_10empty_typeEbEEZZNS1_14partition_implILS5_6ELb0ES3_mN6thrust23THRUST_200600_302600_NS6detail15normal_iteratorINSA_10device_ptrItEEEEPS6_SG_NS0_5tupleIJSF_S6_EEENSH_IJSG_SG_EEES6_PlJNSB_9not_fun_tI7is_evenItEEEEEE10hipError_tPvRmT3_T4_T5_T6_T7_T9_mT8_P12ihipStream_tbDpT10_ENKUlT_T0_E_clISt17integral_constantIbLb1EES18_EEDaS13_S14_EUlS13_E_NS1_11comp_targetILNS1_3genE0ELNS1_11target_archE4294967295ELNS1_3gpuE0ELNS1_3repE0EEENS1_30default_config_static_selectorELNS0_4arch9wavefront6targetE0EEEvT1_: ; @_ZN7rocprim17ROCPRIM_400000_NS6detail17trampoline_kernelINS0_14default_configENS1_25partition_config_selectorILNS1_17partition_subalgoE6EtNS0_10empty_typeEbEEZZNS1_14partition_implILS5_6ELb0ES3_mN6thrust23THRUST_200600_302600_NS6detail15normal_iteratorINSA_10device_ptrItEEEEPS6_SG_NS0_5tupleIJSF_S6_EEENSH_IJSG_SG_EEES6_PlJNSB_9not_fun_tI7is_evenItEEEEEE10hipError_tPvRmT3_T4_T5_T6_T7_T9_mT8_P12ihipStream_tbDpT10_ENKUlT_T0_E_clISt17integral_constantIbLb1EES18_EEDaS13_S14_EUlS13_E_NS1_11comp_targetILNS1_3genE0ELNS1_11target_archE4294967295ELNS1_3gpuE0ELNS1_3repE0EEENS1_30default_config_static_selectorELNS0_4arch9wavefront6targetE0EEEvT1_
; %bb.0:
	.section	.rodata,"a",@progbits
	.p2align	6, 0x0
	.amdhsa_kernel _ZN7rocprim17ROCPRIM_400000_NS6detail17trampoline_kernelINS0_14default_configENS1_25partition_config_selectorILNS1_17partition_subalgoE6EtNS0_10empty_typeEbEEZZNS1_14partition_implILS5_6ELb0ES3_mN6thrust23THRUST_200600_302600_NS6detail15normal_iteratorINSA_10device_ptrItEEEEPS6_SG_NS0_5tupleIJSF_S6_EEENSH_IJSG_SG_EEES6_PlJNSB_9not_fun_tI7is_evenItEEEEEE10hipError_tPvRmT3_T4_T5_T6_T7_T9_mT8_P12ihipStream_tbDpT10_ENKUlT_T0_E_clISt17integral_constantIbLb1EES18_EEDaS13_S14_EUlS13_E_NS1_11comp_targetILNS1_3genE0ELNS1_11target_archE4294967295ELNS1_3gpuE0ELNS1_3repE0EEENS1_30default_config_static_selectorELNS0_4arch9wavefront6targetE0EEEvT1_
		.amdhsa_group_segment_fixed_size 0
		.amdhsa_private_segment_fixed_size 0
		.amdhsa_kernarg_size 128
		.amdhsa_user_sgpr_count 2
		.amdhsa_user_sgpr_dispatch_ptr 0
		.amdhsa_user_sgpr_queue_ptr 0
		.amdhsa_user_sgpr_kernarg_segment_ptr 1
		.amdhsa_user_sgpr_dispatch_id 0
		.amdhsa_user_sgpr_private_segment_size 0
		.amdhsa_wavefront_size32 1
		.amdhsa_uses_dynamic_stack 0
		.amdhsa_enable_private_segment 0
		.amdhsa_system_sgpr_workgroup_id_x 1
		.amdhsa_system_sgpr_workgroup_id_y 0
		.amdhsa_system_sgpr_workgroup_id_z 0
		.amdhsa_system_sgpr_workgroup_info 0
		.amdhsa_system_vgpr_workitem_id 0
		.amdhsa_next_free_vgpr 1
		.amdhsa_next_free_sgpr 1
		.amdhsa_reserve_vcc 0
		.amdhsa_float_round_mode_32 0
		.amdhsa_float_round_mode_16_64 0
		.amdhsa_float_denorm_mode_32 3
		.amdhsa_float_denorm_mode_16_64 3
		.amdhsa_fp16_overflow 0
		.amdhsa_workgroup_processor_mode 1
		.amdhsa_memory_ordered 1
		.amdhsa_forward_progress 1
		.amdhsa_inst_pref_size 0
		.amdhsa_round_robin_scheduling 0
		.amdhsa_exception_fp_ieee_invalid_op 0
		.amdhsa_exception_fp_denorm_src 0
		.amdhsa_exception_fp_ieee_div_zero 0
		.amdhsa_exception_fp_ieee_overflow 0
		.amdhsa_exception_fp_ieee_underflow 0
		.amdhsa_exception_fp_ieee_inexact 0
		.amdhsa_exception_int_div_zero 0
	.end_amdhsa_kernel
	.section	.text._ZN7rocprim17ROCPRIM_400000_NS6detail17trampoline_kernelINS0_14default_configENS1_25partition_config_selectorILNS1_17partition_subalgoE6EtNS0_10empty_typeEbEEZZNS1_14partition_implILS5_6ELb0ES3_mN6thrust23THRUST_200600_302600_NS6detail15normal_iteratorINSA_10device_ptrItEEEEPS6_SG_NS0_5tupleIJSF_S6_EEENSH_IJSG_SG_EEES6_PlJNSB_9not_fun_tI7is_evenItEEEEEE10hipError_tPvRmT3_T4_T5_T6_T7_T9_mT8_P12ihipStream_tbDpT10_ENKUlT_T0_E_clISt17integral_constantIbLb1EES18_EEDaS13_S14_EUlS13_E_NS1_11comp_targetILNS1_3genE0ELNS1_11target_archE4294967295ELNS1_3gpuE0ELNS1_3repE0EEENS1_30default_config_static_selectorELNS0_4arch9wavefront6targetE0EEEvT1_,"axG",@progbits,_ZN7rocprim17ROCPRIM_400000_NS6detail17trampoline_kernelINS0_14default_configENS1_25partition_config_selectorILNS1_17partition_subalgoE6EtNS0_10empty_typeEbEEZZNS1_14partition_implILS5_6ELb0ES3_mN6thrust23THRUST_200600_302600_NS6detail15normal_iteratorINSA_10device_ptrItEEEEPS6_SG_NS0_5tupleIJSF_S6_EEENSH_IJSG_SG_EEES6_PlJNSB_9not_fun_tI7is_evenItEEEEEE10hipError_tPvRmT3_T4_T5_T6_T7_T9_mT8_P12ihipStream_tbDpT10_ENKUlT_T0_E_clISt17integral_constantIbLb1EES18_EEDaS13_S14_EUlS13_E_NS1_11comp_targetILNS1_3genE0ELNS1_11target_archE4294967295ELNS1_3gpuE0ELNS1_3repE0EEENS1_30default_config_static_selectorELNS0_4arch9wavefront6targetE0EEEvT1_,comdat
.Lfunc_end669:
	.size	_ZN7rocprim17ROCPRIM_400000_NS6detail17trampoline_kernelINS0_14default_configENS1_25partition_config_selectorILNS1_17partition_subalgoE6EtNS0_10empty_typeEbEEZZNS1_14partition_implILS5_6ELb0ES3_mN6thrust23THRUST_200600_302600_NS6detail15normal_iteratorINSA_10device_ptrItEEEEPS6_SG_NS0_5tupleIJSF_S6_EEENSH_IJSG_SG_EEES6_PlJNSB_9not_fun_tI7is_evenItEEEEEE10hipError_tPvRmT3_T4_T5_T6_T7_T9_mT8_P12ihipStream_tbDpT10_ENKUlT_T0_E_clISt17integral_constantIbLb1EES18_EEDaS13_S14_EUlS13_E_NS1_11comp_targetILNS1_3genE0ELNS1_11target_archE4294967295ELNS1_3gpuE0ELNS1_3repE0EEENS1_30default_config_static_selectorELNS0_4arch9wavefront6targetE0EEEvT1_, .Lfunc_end669-_ZN7rocprim17ROCPRIM_400000_NS6detail17trampoline_kernelINS0_14default_configENS1_25partition_config_selectorILNS1_17partition_subalgoE6EtNS0_10empty_typeEbEEZZNS1_14partition_implILS5_6ELb0ES3_mN6thrust23THRUST_200600_302600_NS6detail15normal_iteratorINSA_10device_ptrItEEEEPS6_SG_NS0_5tupleIJSF_S6_EEENSH_IJSG_SG_EEES6_PlJNSB_9not_fun_tI7is_evenItEEEEEE10hipError_tPvRmT3_T4_T5_T6_T7_T9_mT8_P12ihipStream_tbDpT10_ENKUlT_T0_E_clISt17integral_constantIbLb1EES18_EEDaS13_S14_EUlS13_E_NS1_11comp_targetILNS1_3genE0ELNS1_11target_archE4294967295ELNS1_3gpuE0ELNS1_3repE0EEENS1_30default_config_static_selectorELNS0_4arch9wavefront6targetE0EEEvT1_
                                        ; -- End function
	.set _ZN7rocprim17ROCPRIM_400000_NS6detail17trampoline_kernelINS0_14default_configENS1_25partition_config_selectorILNS1_17partition_subalgoE6EtNS0_10empty_typeEbEEZZNS1_14partition_implILS5_6ELb0ES3_mN6thrust23THRUST_200600_302600_NS6detail15normal_iteratorINSA_10device_ptrItEEEEPS6_SG_NS0_5tupleIJSF_S6_EEENSH_IJSG_SG_EEES6_PlJNSB_9not_fun_tI7is_evenItEEEEEE10hipError_tPvRmT3_T4_T5_T6_T7_T9_mT8_P12ihipStream_tbDpT10_ENKUlT_T0_E_clISt17integral_constantIbLb1EES18_EEDaS13_S14_EUlS13_E_NS1_11comp_targetILNS1_3genE0ELNS1_11target_archE4294967295ELNS1_3gpuE0ELNS1_3repE0EEENS1_30default_config_static_selectorELNS0_4arch9wavefront6targetE0EEEvT1_.num_vgpr, 0
	.set _ZN7rocprim17ROCPRIM_400000_NS6detail17trampoline_kernelINS0_14default_configENS1_25partition_config_selectorILNS1_17partition_subalgoE6EtNS0_10empty_typeEbEEZZNS1_14partition_implILS5_6ELb0ES3_mN6thrust23THRUST_200600_302600_NS6detail15normal_iteratorINSA_10device_ptrItEEEEPS6_SG_NS0_5tupleIJSF_S6_EEENSH_IJSG_SG_EEES6_PlJNSB_9not_fun_tI7is_evenItEEEEEE10hipError_tPvRmT3_T4_T5_T6_T7_T9_mT8_P12ihipStream_tbDpT10_ENKUlT_T0_E_clISt17integral_constantIbLb1EES18_EEDaS13_S14_EUlS13_E_NS1_11comp_targetILNS1_3genE0ELNS1_11target_archE4294967295ELNS1_3gpuE0ELNS1_3repE0EEENS1_30default_config_static_selectorELNS0_4arch9wavefront6targetE0EEEvT1_.num_agpr, 0
	.set _ZN7rocprim17ROCPRIM_400000_NS6detail17trampoline_kernelINS0_14default_configENS1_25partition_config_selectorILNS1_17partition_subalgoE6EtNS0_10empty_typeEbEEZZNS1_14partition_implILS5_6ELb0ES3_mN6thrust23THRUST_200600_302600_NS6detail15normal_iteratorINSA_10device_ptrItEEEEPS6_SG_NS0_5tupleIJSF_S6_EEENSH_IJSG_SG_EEES6_PlJNSB_9not_fun_tI7is_evenItEEEEEE10hipError_tPvRmT3_T4_T5_T6_T7_T9_mT8_P12ihipStream_tbDpT10_ENKUlT_T0_E_clISt17integral_constantIbLb1EES18_EEDaS13_S14_EUlS13_E_NS1_11comp_targetILNS1_3genE0ELNS1_11target_archE4294967295ELNS1_3gpuE0ELNS1_3repE0EEENS1_30default_config_static_selectorELNS0_4arch9wavefront6targetE0EEEvT1_.numbered_sgpr, 0
	.set _ZN7rocprim17ROCPRIM_400000_NS6detail17trampoline_kernelINS0_14default_configENS1_25partition_config_selectorILNS1_17partition_subalgoE6EtNS0_10empty_typeEbEEZZNS1_14partition_implILS5_6ELb0ES3_mN6thrust23THRUST_200600_302600_NS6detail15normal_iteratorINSA_10device_ptrItEEEEPS6_SG_NS0_5tupleIJSF_S6_EEENSH_IJSG_SG_EEES6_PlJNSB_9not_fun_tI7is_evenItEEEEEE10hipError_tPvRmT3_T4_T5_T6_T7_T9_mT8_P12ihipStream_tbDpT10_ENKUlT_T0_E_clISt17integral_constantIbLb1EES18_EEDaS13_S14_EUlS13_E_NS1_11comp_targetILNS1_3genE0ELNS1_11target_archE4294967295ELNS1_3gpuE0ELNS1_3repE0EEENS1_30default_config_static_selectorELNS0_4arch9wavefront6targetE0EEEvT1_.num_named_barrier, 0
	.set _ZN7rocprim17ROCPRIM_400000_NS6detail17trampoline_kernelINS0_14default_configENS1_25partition_config_selectorILNS1_17partition_subalgoE6EtNS0_10empty_typeEbEEZZNS1_14partition_implILS5_6ELb0ES3_mN6thrust23THRUST_200600_302600_NS6detail15normal_iteratorINSA_10device_ptrItEEEEPS6_SG_NS0_5tupleIJSF_S6_EEENSH_IJSG_SG_EEES6_PlJNSB_9not_fun_tI7is_evenItEEEEEE10hipError_tPvRmT3_T4_T5_T6_T7_T9_mT8_P12ihipStream_tbDpT10_ENKUlT_T0_E_clISt17integral_constantIbLb1EES18_EEDaS13_S14_EUlS13_E_NS1_11comp_targetILNS1_3genE0ELNS1_11target_archE4294967295ELNS1_3gpuE0ELNS1_3repE0EEENS1_30default_config_static_selectorELNS0_4arch9wavefront6targetE0EEEvT1_.private_seg_size, 0
	.set _ZN7rocprim17ROCPRIM_400000_NS6detail17trampoline_kernelINS0_14default_configENS1_25partition_config_selectorILNS1_17partition_subalgoE6EtNS0_10empty_typeEbEEZZNS1_14partition_implILS5_6ELb0ES3_mN6thrust23THRUST_200600_302600_NS6detail15normal_iteratorINSA_10device_ptrItEEEEPS6_SG_NS0_5tupleIJSF_S6_EEENSH_IJSG_SG_EEES6_PlJNSB_9not_fun_tI7is_evenItEEEEEE10hipError_tPvRmT3_T4_T5_T6_T7_T9_mT8_P12ihipStream_tbDpT10_ENKUlT_T0_E_clISt17integral_constantIbLb1EES18_EEDaS13_S14_EUlS13_E_NS1_11comp_targetILNS1_3genE0ELNS1_11target_archE4294967295ELNS1_3gpuE0ELNS1_3repE0EEENS1_30default_config_static_selectorELNS0_4arch9wavefront6targetE0EEEvT1_.uses_vcc, 0
	.set _ZN7rocprim17ROCPRIM_400000_NS6detail17trampoline_kernelINS0_14default_configENS1_25partition_config_selectorILNS1_17partition_subalgoE6EtNS0_10empty_typeEbEEZZNS1_14partition_implILS5_6ELb0ES3_mN6thrust23THRUST_200600_302600_NS6detail15normal_iteratorINSA_10device_ptrItEEEEPS6_SG_NS0_5tupleIJSF_S6_EEENSH_IJSG_SG_EEES6_PlJNSB_9not_fun_tI7is_evenItEEEEEE10hipError_tPvRmT3_T4_T5_T6_T7_T9_mT8_P12ihipStream_tbDpT10_ENKUlT_T0_E_clISt17integral_constantIbLb1EES18_EEDaS13_S14_EUlS13_E_NS1_11comp_targetILNS1_3genE0ELNS1_11target_archE4294967295ELNS1_3gpuE0ELNS1_3repE0EEENS1_30default_config_static_selectorELNS0_4arch9wavefront6targetE0EEEvT1_.uses_flat_scratch, 0
	.set _ZN7rocprim17ROCPRIM_400000_NS6detail17trampoline_kernelINS0_14default_configENS1_25partition_config_selectorILNS1_17partition_subalgoE6EtNS0_10empty_typeEbEEZZNS1_14partition_implILS5_6ELb0ES3_mN6thrust23THRUST_200600_302600_NS6detail15normal_iteratorINSA_10device_ptrItEEEEPS6_SG_NS0_5tupleIJSF_S6_EEENSH_IJSG_SG_EEES6_PlJNSB_9not_fun_tI7is_evenItEEEEEE10hipError_tPvRmT3_T4_T5_T6_T7_T9_mT8_P12ihipStream_tbDpT10_ENKUlT_T0_E_clISt17integral_constantIbLb1EES18_EEDaS13_S14_EUlS13_E_NS1_11comp_targetILNS1_3genE0ELNS1_11target_archE4294967295ELNS1_3gpuE0ELNS1_3repE0EEENS1_30default_config_static_selectorELNS0_4arch9wavefront6targetE0EEEvT1_.has_dyn_sized_stack, 0
	.set _ZN7rocprim17ROCPRIM_400000_NS6detail17trampoline_kernelINS0_14default_configENS1_25partition_config_selectorILNS1_17partition_subalgoE6EtNS0_10empty_typeEbEEZZNS1_14partition_implILS5_6ELb0ES3_mN6thrust23THRUST_200600_302600_NS6detail15normal_iteratorINSA_10device_ptrItEEEEPS6_SG_NS0_5tupleIJSF_S6_EEENSH_IJSG_SG_EEES6_PlJNSB_9not_fun_tI7is_evenItEEEEEE10hipError_tPvRmT3_T4_T5_T6_T7_T9_mT8_P12ihipStream_tbDpT10_ENKUlT_T0_E_clISt17integral_constantIbLb1EES18_EEDaS13_S14_EUlS13_E_NS1_11comp_targetILNS1_3genE0ELNS1_11target_archE4294967295ELNS1_3gpuE0ELNS1_3repE0EEENS1_30default_config_static_selectorELNS0_4arch9wavefront6targetE0EEEvT1_.has_recursion, 0
	.set _ZN7rocprim17ROCPRIM_400000_NS6detail17trampoline_kernelINS0_14default_configENS1_25partition_config_selectorILNS1_17partition_subalgoE6EtNS0_10empty_typeEbEEZZNS1_14partition_implILS5_6ELb0ES3_mN6thrust23THRUST_200600_302600_NS6detail15normal_iteratorINSA_10device_ptrItEEEEPS6_SG_NS0_5tupleIJSF_S6_EEENSH_IJSG_SG_EEES6_PlJNSB_9not_fun_tI7is_evenItEEEEEE10hipError_tPvRmT3_T4_T5_T6_T7_T9_mT8_P12ihipStream_tbDpT10_ENKUlT_T0_E_clISt17integral_constantIbLb1EES18_EEDaS13_S14_EUlS13_E_NS1_11comp_targetILNS1_3genE0ELNS1_11target_archE4294967295ELNS1_3gpuE0ELNS1_3repE0EEENS1_30default_config_static_selectorELNS0_4arch9wavefront6targetE0EEEvT1_.has_indirect_call, 0
	.section	.AMDGPU.csdata,"",@progbits
; Kernel info:
; codeLenInByte = 0
; TotalNumSgprs: 0
; NumVgprs: 0
; ScratchSize: 0
; MemoryBound: 0
; FloatMode: 240
; IeeeMode: 1
; LDSByteSize: 0 bytes/workgroup (compile time only)
; SGPRBlocks: 0
; VGPRBlocks: 0
; NumSGPRsForWavesPerEU: 1
; NumVGPRsForWavesPerEU: 1
; Occupancy: 16
; WaveLimiterHint : 0
; COMPUTE_PGM_RSRC2:SCRATCH_EN: 0
; COMPUTE_PGM_RSRC2:USER_SGPR: 2
; COMPUTE_PGM_RSRC2:TRAP_HANDLER: 0
; COMPUTE_PGM_RSRC2:TGID_X_EN: 1
; COMPUTE_PGM_RSRC2:TGID_Y_EN: 0
; COMPUTE_PGM_RSRC2:TGID_Z_EN: 0
; COMPUTE_PGM_RSRC2:TIDIG_COMP_CNT: 0
	.section	.text._ZN7rocprim17ROCPRIM_400000_NS6detail17trampoline_kernelINS0_14default_configENS1_25partition_config_selectorILNS1_17partition_subalgoE6EtNS0_10empty_typeEbEEZZNS1_14partition_implILS5_6ELb0ES3_mN6thrust23THRUST_200600_302600_NS6detail15normal_iteratorINSA_10device_ptrItEEEEPS6_SG_NS0_5tupleIJSF_S6_EEENSH_IJSG_SG_EEES6_PlJNSB_9not_fun_tI7is_evenItEEEEEE10hipError_tPvRmT3_T4_T5_T6_T7_T9_mT8_P12ihipStream_tbDpT10_ENKUlT_T0_E_clISt17integral_constantIbLb1EES18_EEDaS13_S14_EUlS13_E_NS1_11comp_targetILNS1_3genE5ELNS1_11target_archE942ELNS1_3gpuE9ELNS1_3repE0EEENS1_30default_config_static_selectorELNS0_4arch9wavefront6targetE0EEEvT1_,"axG",@progbits,_ZN7rocprim17ROCPRIM_400000_NS6detail17trampoline_kernelINS0_14default_configENS1_25partition_config_selectorILNS1_17partition_subalgoE6EtNS0_10empty_typeEbEEZZNS1_14partition_implILS5_6ELb0ES3_mN6thrust23THRUST_200600_302600_NS6detail15normal_iteratorINSA_10device_ptrItEEEEPS6_SG_NS0_5tupleIJSF_S6_EEENSH_IJSG_SG_EEES6_PlJNSB_9not_fun_tI7is_evenItEEEEEE10hipError_tPvRmT3_T4_T5_T6_T7_T9_mT8_P12ihipStream_tbDpT10_ENKUlT_T0_E_clISt17integral_constantIbLb1EES18_EEDaS13_S14_EUlS13_E_NS1_11comp_targetILNS1_3genE5ELNS1_11target_archE942ELNS1_3gpuE9ELNS1_3repE0EEENS1_30default_config_static_selectorELNS0_4arch9wavefront6targetE0EEEvT1_,comdat
	.protected	_ZN7rocprim17ROCPRIM_400000_NS6detail17trampoline_kernelINS0_14default_configENS1_25partition_config_selectorILNS1_17partition_subalgoE6EtNS0_10empty_typeEbEEZZNS1_14partition_implILS5_6ELb0ES3_mN6thrust23THRUST_200600_302600_NS6detail15normal_iteratorINSA_10device_ptrItEEEEPS6_SG_NS0_5tupleIJSF_S6_EEENSH_IJSG_SG_EEES6_PlJNSB_9not_fun_tI7is_evenItEEEEEE10hipError_tPvRmT3_T4_T5_T6_T7_T9_mT8_P12ihipStream_tbDpT10_ENKUlT_T0_E_clISt17integral_constantIbLb1EES18_EEDaS13_S14_EUlS13_E_NS1_11comp_targetILNS1_3genE5ELNS1_11target_archE942ELNS1_3gpuE9ELNS1_3repE0EEENS1_30default_config_static_selectorELNS0_4arch9wavefront6targetE0EEEvT1_ ; -- Begin function _ZN7rocprim17ROCPRIM_400000_NS6detail17trampoline_kernelINS0_14default_configENS1_25partition_config_selectorILNS1_17partition_subalgoE6EtNS0_10empty_typeEbEEZZNS1_14partition_implILS5_6ELb0ES3_mN6thrust23THRUST_200600_302600_NS6detail15normal_iteratorINSA_10device_ptrItEEEEPS6_SG_NS0_5tupleIJSF_S6_EEENSH_IJSG_SG_EEES6_PlJNSB_9not_fun_tI7is_evenItEEEEEE10hipError_tPvRmT3_T4_T5_T6_T7_T9_mT8_P12ihipStream_tbDpT10_ENKUlT_T0_E_clISt17integral_constantIbLb1EES18_EEDaS13_S14_EUlS13_E_NS1_11comp_targetILNS1_3genE5ELNS1_11target_archE942ELNS1_3gpuE9ELNS1_3repE0EEENS1_30default_config_static_selectorELNS0_4arch9wavefront6targetE0EEEvT1_
	.globl	_ZN7rocprim17ROCPRIM_400000_NS6detail17trampoline_kernelINS0_14default_configENS1_25partition_config_selectorILNS1_17partition_subalgoE6EtNS0_10empty_typeEbEEZZNS1_14partition_implILS5_6ELb0ES3_mN6thrust23THRUST_200600_302600_NS6detail15normal_iteratorINSA_10device_ptrItEEEEPS6_SG_NS0_5tupleIJSF_S6_EEENSH_IJSG_SG_EEES6_PlJNSB_9not_fun_tI7is_evenItEEEEEE10hipError_tPvRmT3_T4_T5_T6_T7_T9_mT8_P12ihipStream_tbDpT10_ENKUlT_T0_E_clISt17integral_constantIbLb1EES18_EEDaS13_S14_EUlS13_E_NS1_11comp_targetILNS1_3genE5ELNS1_11target_archE942ELNS1_3gpuE9ELNS1_3repE0EEENS1_30default_config_static_selectorELNS0_4arch9wavefront6targetE0EEEvT1_
	.p2align	8
	.type	_ZN7rocprim17ROCPRIM_400000_NS6detail17trampoline_kernelINS0_14default_configENS1_25partition_config_selectorILNS1_17partition_subalgoE6EtNS0_10empty_typeEbEEZZNS1_14partition_implILS5_6ELb0ES3_mN6thrust23THRUST_200600_302600_NS6detail15normal_iteratorINSA_10device_ptrItEEEEPS6_SG_NS0_5tupleIJSF_S6_EEENSH_IJSG_SG_EEES6_PlJNSB_9not_fun_tI7is_evenItEEEEEE10hipError_tPvRmT3_T4_T5_T6_T7_T9_mT8_P12ihipStream_tbDpT10_ENKUlT_T0_E_clISt17integral_constantIbLb1EES18_EEDaS13_S14_EUlS13_E_NS1_11comp_targetILNS1_3genE5ELNS1_11target_archE942ELNS1_3gpuE9ELNS1_3repE0EEENS1_30default_config_static_selectorELNS0_4arch9wavefront6targetE0EEEvT1_,@function
_ZN7rocprim17ROCPRIM_400000_NS6detail17trampoline_kernelINS0_14default_configENS1_25partition_config_selectorILNS1_17partition_subalgoE6EtNS0_10empty_typeEbEEZZNS1_14partition_implILS5_6ELb0ES3_mN6thrust23THRUST_200600_302600_NS6detail15normal_iteratorINSA_10device_ptrItEEEEPS6_SG_NS0_5tupleIJSF_S6_EEENSH_IJSG_SG_EEES6_PlJNSB_9not_fun_tI7is_evenItEEEEEE10hipError_tPvRmT3_T4_T5_T6_T7_T9_mT8_P12ihipStream_tbDpT10_ENKUlT_T0_E_clISt17integral_constantIbLb1EES18_EEDaS13_S14_EUlS13_E_NS1_11comp_targetILNS1_3genE5ELNS1_11target_archE942ELNS1_3gpuE9ELNS1_3repE0EEENS1_30default_config_static_selectorELNS0_4arch9wavefront6targetE0EEEvT1_: ; @_ZN7rocprim17ROCPRIM_400000_NS6detail17trampoline_kernelINS0_14default_configENS1_25partition_config_selectorILNS1_17partition_subalgoE6EtNS0_10empty_typeEbEEZZNS1_14partition_implILS5_6ELb0ES3_mN6thrust23THRUST_200600_302600_NS6detail15normal_iteratorINSA_10device_ptrItEEEEPS6_SG_NS0_5tupleIJSF_S6_EEENSH_IJSG_SG_EEES6_PlJNSB_9not_fun_tI7is_evenItEEEEEE10hipError_tPvRmT3_T4_T5_T6_T7_T9_mT8_P12ihipStream_tbDpT10_ENKUlT_T0_E_clISt17integral_constantIbLb1EES18_EEDaS13_S14_EUlS13_E_NS1_11comp_targetILNS1_3genE5ELNS1_11target_archE942ELNS1_3gpuE9ELNS1_3repE0EEENS1_30default_config_static_selectorELNS0_4arch9wavefront6targetE0EEEvT1_
; %bb.0:
	.section	.rodata,"a",@progbits
	.p2align	6, 0x0
	.amdhsa_kernel _ZN7rocprim17ROCPRIM_400000_NS6detail17trampoline_kernelINS0_14default_configENS1_25partition_config_selectorILNS1_17partition_subalgoE6EtNS0_10empty_typeEbEEZZNS1_14partition_implILS5_6ELb0ES3_mN6thrust23THRUST_200600_302600_NS6detail15normal_iteratorINSA_10device_ptrItEEEEPS6_SG_NS0_5tupleIJSF_S6_EEENSH_IJSG_SG_EEES6_PlJNSB_9not_fun_tI7is_evenItEEEEEE10hipError_tPvRmT3_T4_T5_T6_T7_T9_mT8_P12ihipStream_tbDpT10_ENKUlT_T0_E_clISt17integral_constantIbLb1EES18_EEDaS13_S14_EUlS13_E_NS1_11comp_targetILNS1_3genE5ELNS1_11target_archE942ELNS1_3gpuE9ELNS1_3repE0EEENS1_30default_config_static_selectorELNS0_4arch9wavefront6targetE0EEEvT1_
		.amdhsa_group_segment_fixed_size 0
		.amdhsa_private_segment_fixed_size 0
		.amdhsa_kernarg_size 128
		.amdhsa_user_sgpr_count 2
		.amdhsa_user_sgpr_dispatch_ptr 0
		.amdhsa_user_sgpr_queue_ptr 0
		.amdhsa_user_sgpr_kernarg_segment_ptr 1
		.amdhsa_user_sgpr_dispatch_id 0
		.amdhsa_user_sgpr_private_segment_size 0
		.amdhsa_wavefront_size32 1
		.amdhsa_uses_dynamic_stack 0
		.amdhsa_enable_private_segment 0
		.amdhsa_system_sgpr_workgroup_id_x 1
		.amdhsa_system_sgpr_workgroup_id_y 0
		.amdhsa_system_sgpr_workgroup_id_z 0
		.amdhsa_system_sgpr_workgroup_info 0
		.amdhsa_system_vgpr_workitem_id 0
		.amdhsa_next_free_vgpr 1
		.amdhsa_next_free_sgpr 1
		.amdhsa_reserve_vcc 0
		.amdhsa_float_round_mode_32 0
		.amdhsa_float_round_mode_16_64 0
		.amdhsa_float_denorm_mode_32 3
		.amdhsa_float_denorm_mode_16_64 3
		.amdhsa_fp16_overflow 0
		.amdhsa_workgroup_processor_mode 1
		.amdhsa_memory_ordered 1
		.amdhsa_forward_progress 1
		.amdhsa_inst_pref_size 0
		.amdhsa_round_robin_scheduling 0
		.amdhsa_exception_fp_ieee_invalid_op 0
		.amdhsa_exception_fp_denorm_src 0
		.amdhsa_exception_fp_ieee_div_zero 0
		.amdhsa_exception_fp_ieee_overflow 0
		.amdhsa_exception_fp_ieee_underflow 0
		.amdhsa_exception_fp_ieee_inexact 0
		.amdhsa_exception_int_div_zero 0
	.end_amdhsa_kernel
	.section	.text._ZN7rocprim17ROCPRIM_400000_NS6detail17trampoline_kernelINS0_14default_configENS1_25partition_config_selectorILNS1_17partition_subalgoE6EtNS0_10empty_typeEbEEZZNS1_14partition_implILS5_6ELb0ES3_mN6thrust23THRUST_200600_302600_NS6detail15normal_iteratorINSA_10device_ptrItEEEEPS6_SG_NS0_5tupleIJSF_S6_EEENSH_IJSG_SG_EEES6_PlJNSB_9not_fun_tI7is_evenItEEEEEE10hipError_tPvRmT3_T4_T5_T6_T7_T9_mT8_P12ihipStream_tbDpT10_ENKUlT_T0_E_clISt17integral_constantIbLb1EES18_EEDaS13_S14_EUlS13_E_NS1_11comp_targetILNS1_3genE5ELNS1_11target_archE942ELNS1_3gpuE9ELNS1_3repE0EEENS1_30default_config_static_selectorELNS0_4arch9wavefront6targetE0EEEvT1_,"axG",@progbits,_ZN7rocprim17ROCPRIM_400000_NS6detail17trampoline_kernelINS0_14default_configENS1_25partition_config_selectorILNS1_17partition_subalgoE6EtNS0_10empty_typeEbEEZZNS1_14partition_implILS5_6ELb0ES3_mN6thrust23THRUST_200600_302600_NS6detail15normal_iteratorINSA_10device_ptrItEEEEPS6_SG_NS0_5tupleIJSF_S6_EEENSH_IJSG_SG_EEES6_PlJNSB_9not_fun_tI7is_evenItEEEEEE10hipError_tPvRmT3_T4_T5_T6_T7_T9_mT8_P12ihipStream_tbDpT10_ENKUlT_T0_E_clISt17integral_constantIbLb1EES18_EEDaS13_S14_EUlS13_E_NS1_11comp_targetILNS1_3genE5ELNS1_11target_archE942ELNS1_3gpuE9ELNS1_3repE0EEENS1_30default_config_static_selectorELNS0_4arch9wavefront6targetE0EEEvT1_,comdat
.Lfunc_end670:
	.size	_ZN7rocprim17ROCPRIM_400000_NS6detail17trampoline_kernelINS0_14default_configENS1_25partition_config_selectorILNS1_17partition_subalgoE6EtNS0_10empty_typeEbEEZZNS1_14partition_implILS5_6ELb0ES3_mN6thrust23THRUST_200600_302600_NS6detail15normal_iteratorINSA_10device_ptrItEEEEPS6_SG_NS0_5tupleIJSF_S6_EEENSH_IJSG_SG_EEES6_PlJNSB_9not_fun_tI7is_evenItEEEEEE10hipError_tPvRmT3_T4_T5_T6_T7_T9_mT8_P12ihipStream_tbDpT10_ENKUlT_T0_E_clISt17integral_constantIbLb1EES18_EEDaS13_S14_EUlS13_E_NS1_11comp_targetILNS1_3genE5ELNS1_11target_archE942ELNS1_3gpuE9ELNS1_3repE0EEENS1_30default_config_static_selectorELNS0_4arch9wavefront6targetE0EEEvT1_, .Lfunc_end670-_ZN7rocprim17ROCPRIM_400000_NS6detail17trampoline_kernelINS0_14default_configENS1_25partition_config_selectorILNS1_17partition_subalgoE6EtNS0_10empty_typeEbEEZZNS1_14partition_implILS5_6ELb0ES3_mN6thrust23THRUST_200600_302600_NS6detail15normal_iteratorINSA_10device_ptrItEEEEPS6_SG_NS0_5tupleIJSF_S6_EEENSH_IJSG_SG_EEES6_PlJNSB_9not_fun_tI7is_evenItEEEEEE10hipError_tPvRmT3_T4_T5_T6_T7_T9_mT8_P12ihipStream_tbDpT10_ENKUlT_T0_E_clISt17integral_constantIbLb1EES18_EEDaS13_S14_EUlS13_E_NS1_11comp_targetILNS1_3genE5ELNS1_11target_archE942ELNS1_3gpuE9ELNS1_3repE0EEENS1_30default_config_static_selectorELNS0_4arch9wavefront6targetE0EEEvT1_
                                        ; -- End function
	.set _ZN7rocprim17ROCPRIM_400000_NS6detail17trampoline_kernelINS0_14default_configENS1_25partition_config_selectorILNS1_17partition_subalgoE6EtNS0_10empty_typeEbEEZZNS1_14partition_implILS5_6ELb0ES3_mN6thrust23THRUST_200600_302600_NS6detail15normal_iteratorINSA_10device_ptrItEEEEPS6_SG_NS0_5tupleIJSF_S6_EEENSH_IJSG_SG_EEES6_PlJNSB_9not_fun_tI7is_evenItEEEEEE10hipError_tPvRmT3_T4_T5_T6_T7_T9_mT8_P12ihipStream_tbDpT10_ENKUlT_T0_E_clISt17integral_constantIbLb1EES18_EEDaS13_S14_EUlS13_E_NS1_11comp_targetILNS1_3genE5ELNS1_11target_archE942ELNS1_3gpuE9ELNS1_3repE0EEENS1_30default_config_static_selectorELNS0_4arch9wavefront6targetE0EEEvT1_.num_vgpr, 0
	.set _ZN7rocprim17ROCPRIM_400000_NS6detail17trampoline_kernelINS0_14default_configENS1_25partition_config_selectorILNS1_17partition_subalgoE6EtNS0_10empty_typeEbEEZZNS1_14partition_implILS5_6ELb0ES3_mN6thrust23THRUST_200600_302600_NS6detail15normal_iteratorINSA_10device_ptrItEEEEPS6_SG_NS0_5tupleIJSF_S6_EEENSH_IJSG_SG_EEES6_PlJNSB_9not_fun_tI7is_evenItEEEEEE10hipError_tPvRmT3_T4_T5_T6_T7_T9_mT8_P12ihipStream_tbDpT10_ENKUlT_T0_E_clISt17integral_constantIbLb1EES18_EEDaS13_S14_EUlS13_E_NS1_11comp_targetILNS1_3genE5ELNS1_11target_archE942ELNS1_3gpuE9ELNS1_3repE0EEENS1_30default_config_static_selectorELNS0_4arch9wavefront6targetE0EEEvT1_.num_agpr, 0
	.set _ZN7rocprim17ROCPRIM_400000_NS6detail17trampoline_kernelINS0_14default_configENS1_25partition_config_selectorILNS1_17partition_subalgoE6EtNS0_10empty_typeEbEEZZNS1_14partition_implILS5_6ELb0ES3_mN6thrust23THRUST_200600_302600_NS6detail15normal_iteratorINSA_10device_ptrItEEEEPS6_SG_NS0_5tupleIJSF_S6_EEENSH_IJSG_SG_EEES6_PlJNSB_9not_fun_tI7is_evenItEEEEEE10hipError_tPvRmT3_T4_T5_T6_T7_T9_mT8_P12ihipStream_tbDpT10_ENKUlT_T0_E_clISt17integral_constantIbLb1EES18_EEDaS13_S14_EUlS13_E_NS1_11comp_targetILNS1_3genE5ELNS1_11target_archE942ELNS1_3gpuE9ELNS1_3repE0EEENS1_30default_config_static_selectorELNS0_4arch9wavefront6targetE0EEEvT1_.numbered_sgpr, 0
	.set _ZN7rocprim17ROCPRIM_400000_NS6detail17trampoline_kernelINS0_14default_configENS1_25partition_config_selectorILNS1_17partition_subalgoE6EtNS0_10empty_typeEbEEZZNS1_14partition_implILS5_6ELb0ES3_mN6thrust23THRUST_200600_302600_NS6detail15normal_iteratorINSA_10device_ptrItEEEEPS6_SG_NS0_5tupleIJSF_S6_EEENSH_IJSG_SG_EEES6_PlJNSB_9not_fun_tI7is_evenItEEEEEE10hipError_tPvRmT3_T4_T5_T6_T7_T9_mT8_P12ihipStream_tbDpT10_ENKUlT_T0_E_clISt17integral_constantIbLb1EES18_EEDaS13_S14_EUlS13_E_NS1_11comp_targetILNS1_3genE5ELNS1_11target_archE942ELNS1_3gpuE9ELNS1_3repE0EEENS1_30default_config_static_selectorELNS0_4arch9wavefront6targetE0EEEvT1_.num_named_barrier, 0
	.set _ZN7rocprim17ROCPRIM_400000_NS6detail17trampoline_kernelINS0_14default_configENS1_25partition_config_selectorILNS1_17partition_subalgoE6EtNS0_10empty_typeEbEEZZNS1_14partition_implILS5_6ELb0ES3_mN6thrust23THRUST_200600_302600_NS6detail15normal_iteratorINSA_10device_ptrItEEEEPS6_SG_NS0_5tupleIJSF_S6_EEENSH_IJSG_SG_EEES6_PlJNSB_9not_fun_tI7is_evenItEEEEEE10hipError_tPvRmT3_T4_T5_T6_T7_T9_mT8_P12ihipStream_tbDpT10_ENKUlT_T0_E_clISt17integral_constantIbLb1EES18_EEDaS13_S14_EUlS13_E_NS1_11comp_targetILNS1_3genE5ELNS1_11target_archE942ELNS1_3gpuE9ELNS1_3repE0EEENS1_30default_config_static_selectorELNS0_4arch9wavefront6targetE0EEEvT1_.private_seg_size, 0
	.set _ZN7rocprim17ROCPRIM_400000_NS6detail17trampoline_kernelINS0_14default_configENS1_25partition_config_selectorILNS1_17partition_subalgoE6EtNS0_10empty_typeEbEEZZNS1_14partition_implILS5_6ELb0ES3_mN6thrust23THRUST_200600_302600_NS6detail15normal_iteratorINSA_10device_ptrItEEEEPS6_SG_NS0_5tupleIJSF_S6_EEENSH_IJSG_SG_EEES6_PlJNSB_9not_fun_tI7is_evenItEEEEEE10hipError_tPvRmT3_T4_T5_T6_T7_T9_mT8_P12ihipStream_tbDpT10_ENKUlT_T0_E_clISt17integral_constantIbLb1EES18_EEDaS13_S14_EUlS13_E_NS1_11comp_targetILNS1_3genE5ELNS1_11target_archE942ELNS1_3gpuE9ELNS1_3repE0EEENS1_30default_config_static_selectorELNS0_4arch9wavefront6targetE0EEEvT1_.uses_vcc, 0
	.set _ZN7rocprim17ROCPRIM_400000_NS6detail17trampoline_kernelINS0_14default_configENS1_25partition_config_selectorILNS1_17partition_subalgoE6EtNS0_10empty_typeEbEEZZNS1_14partition_implILS5_6ELb0ES3_mN6thrust23THRUST_200600_302600_NS6detail15normal_iteratorINSA_10device_ptrItEEEEPS6_SG_NS0_5tupleIJSF_S6_EEENSH_IJSG_SG_EEES6_PlJNSB_9not_fun_tI7is_evenItEEEEEE10hipError_tPvRmT3_T4_T5_T6_T7_T9_mT8_P12ihipStream_tbDpT10_ENKUlT_T0_E_clISt17integral_constantIbLb1EES18_EEDaS13_S14_EUlS13_E_NS1_11comp_targetILNS1_3genE5ELNS1_11target_archE942ELNS1_3gpuE9ELNS1_3repE0EEENS1_30default_config_static_selectorELNS0_4arch9wavefront6targetE0EEEvT1_.uses_flat_scratch, 0
	.set _ZN7rocprim17ROCPRIM_400000_NS6detail17trampoline_kernelINS0_14default_configENS1_25partition_config_selectorILNS1_17partition_subalgoE6EtNS0_10empty_typeEbEEZZNS1_14partition_implILS5_6ELb0ES3_mN6thrust23THRUST_200600_302600_NS6detail15normal_iteratorINSA_10device_ptrItEEEEPS6_SG_NS0_5tupleIJSF_S6_EEENSH_IJSG_SG_EEES6_PlJNSB_9not_fun_tI7is_evenItEEEEEE10hipError_tPvRmT3_T4_T5_T6_T7_T9_mT8_P12ihipStream_tbDpT10_ENKUlT_T0_E_clISt17integral_constantIbLb1EES18_EEDaS13_S14_EUlS13_E_NS1_11comp_targetILNS1_3genE5ELNS1_11target_archE942ELNS1_3gpuE9ELNS1_3repE0EEENS1_30default_config_static_selectorELNS0_4arch9wavefront6targetE0EEEvT1_.has_dyn_sized_stack, 0
	.set _ZN7rocprim17ROCPRIM_400000_NS6detail17trampoline_kernelINS0_14default_configENS1_25partition_config_selectorILNS1_17partition_subalgoE6EtNS0_10empty_typeEbEEZZNS1_14partition_implILS5_6ELb0ES3_mN6thrust23THRUST_200600_302600_NS6detail15normal_iteratorINSA_10device_ptrItEEEEPS6_SG_NS0_5tupleIJSF_S6_EEENSH_IJSG_SG_EEES6_PlJNSB_9not_fun_tI7is_evenItEEEEEE10hipError_tPvRmT3_T4_T5_T6_T7_T9_mT8_P12ihipStream_tbDpT10_ENKUlT_T0_E_clISt17integral_constantIbLb1EES18_EEDaS13_S14_EUlS13_E_NS1_11comp_targetILNS1_3genE5ELNS1_11target_archE942ELNS1_3gpuE9ELNS1_3repE0EEENS1_30default_config_static_selectorELNS0_4arch9wavefront6targetE0EEEvT1_.has_recursion, 0
	.set _ZN7rocprim17ROCPRIM_400000_NS6detail17trampoline_kernelINS0_14default_configENS1_25partition_config_selectorILNS1_17partition_subalgoE6EtNS0_10empty_typeEbEEZZNS1_14partition_implILS5_6ELb0ES3_mN6thrust23THRUST_200600_302600_NS6detail15normal_iteratorINSA_10device_ptrItEEEEPS6_SG_NS0_5tupleIJSF_S6_EEENSH_IJSG_SG_EEES6_PlJNSB_9not_fun_tI7is_evenItEEEEEE10hipError_tPvRmT3_T4_T5_T6_T7_T9_mT8_P12ihipStream_tbDpT10_ENKUlT_T0_E_clISt17integral_constantIbLb1EES18_EEDaS13_S14_EUlS13_E_NS1_11comp_targetILNS1_3genE5ELNS1_11target_archE942ELNS1_3gpuE9ELNS1_3repE0EEENS1_30default_config_static_selectorELNS0_4arch9wavefront6targetE0EEEvT1_.has_indirect_call, 0
	.section	.AMDGPU.csdata,"",@progbits
; Kernel info:
; codeLenInByte = 0
; TotalNumSgprs: 0
; NumVgprs: 0
; ScratchSize: 0
; MemoryBound: 0
; FloatMode: 240
; IeeeMode: 1
; LDSByteSize: 0 bytes/workgroup (compile time only)
; SGPRBlocks: 0
; VGPRBlocks: 0
; NumSGPRsForWavesPerEU: 1
; NumVGPRsForWavesPerEU: 1
; Occupancy: 16
; WaveLimiterHint : 0
; COMPUTE_PGM_RSRC2:SCRATCH_EN: 0
; COMPUTE_PGM_RSRC2:USER_SGPR: 2
; COMPUTE_PGM_RSRC2:TRAP_HANDLER: 0
; COMPUTE_PGM_RSRC2:TGID_X_EN: 1
; COMPUTE_PGM_RSRC2:TGID_Y_EN: 0
; COMPUTE_PGM_RSRC2:TGID_Z_EN: 0
; COMPUTE_PGM_RSRC2:TIDIG_COMP_CNT: 0
	.section	.text._ZN7rocprim17ROCPRIM_400000_NS6detail17trampoline_kernelINS0_14default_configENS1_25partition_config_selectorILNS1_17partition_subalgoE6EtNS0_10empty_typeEbEEZZNS1_14partition_implILS5_6ELb0ES3_mN6thrust23THRUST_200600_302600_NS6detail15normal_iteratorINSA_10device_ptrItEEEEPS6_SG_NS0_5tupleIJSF_S6_EEENSH_IJSG_SG_EEES6_PlJNSB_9not_fun_tI7is_evenItEEEEEE10hipError_tPvRmT3_T4_T5_T6_T7_T9_mT8_P12ihipStream_tbDpT10_ENKUlT_T0_E_clISt17integral_constantIbLb1EES18_EEDaS13_S14_EUlS13_E_NS1_11comp_targetILNS1_3genE4ELNS1_11target_archE910ELNS1_3gpuE8ELNS1_3repE0EEENS1_30default_config_static_selectorELNS0_4arch9wavefront6targetE0EEEvT1_,"axG",@progbits,_ZN7rocprim17ROCPRIM_400000_NS6detail17trampoline_kernelINS0_14default_configENS1_25partition_config_selectorILNS1_17partition_subalgoE6EtNS0_10empty_typeEbEEZZNS1_14partition_implILS5_6ELb0ES3_mN6thrust23THRUST_200600_302600_NS6detail15normal_iteratorINSA_10device_ptrItEEEEPS6_SG_NS0_5tupleIJSF_S6_EEENSH_IJSG_SG_EEES6_PlJNSB_9not_fun_tI7is_evenItEEEEEE10hipError_tPvRmT3_T4_T5_T6_T7_T9_mT8_P12ihipStream_tbDpT10_ENKUlT_T0_E_clISt17integral_constantIbLb1EES18_EEDaS13_S14_EUlS13_E_NS1_11comp_targetILNS1_3genE4ELNS1_11target_archE910ELNS1_3gpuE8ELNS1_3repE0EEENS1_30default_config_static_selectorELNS0_4arch9wavefront6targetE0EEEvT1_,comdat
	.protected	_ZN7rocprim17ROCPRIM_400000_NS6detail17trampoline_kernelINS0_14default_configENS1_25partition_config_selectorILNS1_17partition_subalgoE6EtNS0_10empty_typeEbEEZZNS1_14partition_implILS5_6ELb0ES3_mN6thrust23THRUST_200600_302600_NS6detail15normal_iteratorINSA_10device_ptrItEEEEPS6_SG_NS0_5tupleIJSF_S6_EEENSH_IJSG_SG_EEES6_PlJNSB_9not_fun_tI7is_evenItEEEEEE10hipError_tPvRmT3_T4_T5_T6_T7_T9_mT8_P12ihipStream_tbDpT10_ENKUlT_T0_E_clISt17integral_constantIbLb1EES18_EEDaS13_S14_EUlS13_E_NS1_11comp_targetILNS1_3genE4ELNS1_11target_archE910ELNS1_3gpuE8ELNS1_3repE0EEENS1_30default_config_static_selectorELNS0_4arch9wavefront6targetE0EEEvT1_ ; -- Begin function _ZN7rocprim17ROCPRIM_400000_NS6detail17trampoline_kernelINS0_14default_configENS1_25partition_config_selectorILNS1_17partition_subalgoE6EtNS0_10empty_typeEbEEZZNS1_14partition_implILS5_6ELb0ES3_mN6thrust23THRUST_200600_302600_NS6detail15normal_iteratorINSA_10device_ptrItEEEEPS6_SG_NS0_5tupleIJSF_S6_EEENSH_IJSG_SG_EEES6_PlJNSB_9not_fun_tI7is_evenItEEEEEE10hipError_tPvRmT3_T4_T5_T6_T7_T9_mT8_P12ihipStream_tbDpT10_ENKUlT_T0_E_clISt17integral_constantIbLb1EES18_EEDaS13_S14_EUlS13_E_NS1_11comp_targetILNS1_3genE4ELNS1_11target_archE910ELNS1_3gpuE8ELNS1_3repE0EEENS1_30default_config_static_selectorELNS0_4arch9wavefront6targetE0EEEvT1_
	.globl	_ZN7rocprim17ROCPRIM_400000_NS6detail17trampoline_kernelINS0_14default_configENS1_25partition_config_selectorILNS1_17partition_subalgoE6EtNS0_10empty_typeEbEEZZNS1_14partition_implILS5_6ELb0ES3_mN6thrust23THRUST_200600_302600_NS6detail15normal_iteratorINSA_10device_ptrItEEEEPS6_SG_NS0_5tupleIJSF_S6_EEENSH_IJSG_SG_EEES6_PlJNSB_9not_fun_tI7is_evenItEEEEEE10hipError_tPvRmT3_T4_T5_T6_T7_T9_mT8_P12ihipStream_tbDpT10_ENKUlT_T0_E_clISt17integral_constantIbLb1EES18_EEDaS13_S14_EUlS13_E_NS1_11comp_targetILNS1_3genE4ELNS1_11target_archE910ELNS1_3gpuE8ELNS1_3repE0EEENS1_30default_config_static_selectorELNS0_4arch9wavefront6targetE0EEEvT1_
	.p2align	8
	.type	_ZN7rocprim17ROCPRIM_400000_NS6detail17trampoline_kernelINS0_14default_configENS1_25partition_config_selectorILNS1_17partition_subalgoE6EtNS0_10empty_typeEbEEZZNS1_14partition_implILS5_6ELb0ES3_mN6thrust23THRUST_200600_302600_NS6detail15normal_iteratorINSA_10device_ptrItEEEEPS6_SG_NS0_5tupleIJSF_S6_EEENSH_IJSG_SG_EEES6_PlJNSB_9not_fun_tI7is_evenItEEEEEE10hipError_tPvRmT3_T4_T5_T6_T7_T9_mT8_P12ihipStream_tbDpT10_ENKUlT_T0_E_clISt17integral_constantIbLb1EES18_EEDaS13_S14_EUlS13_E_NS1_11comp_targetILNS1_3genE4ELNS1_11target_archE910ELNS1_3gpuE8ELNS1_3repE0EEENS1_30default_config_static_selectorELNS0_4arch9wavefront6targetE0EEEvT1_,@function
_ZN7rocprim17ROCPRIM_400000_NS6detail17trampoline_kernelINS0_14default_configENS1_25partition_config_selectorILNS1_17partition_subalgoE6EtNS0_10empty_typeEbEEZZNS1_14partition_implILS5_6ELb0ES3_mN6thrust23THRUST_200600_302600_NS6detail15normal_iteratorINSA_10device_ptrItEEEEPS6_SG_NS0_5tupleIJSF_S6_EEENSH_IJSG_SG_EEES6_PlJNSB_9not_fun_tI7is_evenItEEEEEE10hipError_tPvRmT3_T4_T5_T6_T7_T9_mT8_P12ihipStream_tbDpT10_ENKUlT_T0_E_clISt17integral_constantIbLb1EES18_EEDaS13_S14_EUlS13_E_NS1_11comp_targetILNS1_3genE4ELNS1_11target_archE910ELNS1_3gpuE8ELNS1_3repE0EEENS1_30default_config_static_selectorELNS0_4arch9wavefront6targetE0EEEvT1_: ; @_ZN7rocprim17ROCPRIM_400000_NS6detail17trampoline_kernelINS0_14default_configENS1_25partition_config_selectorILNS1_17partition_subalgoE6EtNS0_10empty_typeEbEEZZNS1_14partition_implILS5_6ELb0ES3_mN6thrust23THRUST_200600_302600_NS6detail15normal_iteratorINSA_10device_ptrItEEEEPS6_SG_NS0_5tupleIJSF_S6_EEENSH_IJSG_SG_EEES6_PlJNSB_9not_fun_tI7is_evenItEEEEEE10hipError_tPvRmT3_T4_T5_T6_T7_T9_mT8_P12ihipStream_tbDpT10_ENKUlT_T0_E_clISt17integral_constantIbLb1EES18_EEDaS13_S14_EUlS13_E_NS1_11comp_targetILNS1_3genE4ELNS1_11target_archE910ELNS1_3gpuE8ELNS1_3repE0EEENS1_30default_config_static_selectorELNS0_4arch9wavefront6targetE0EEEvT1_
; %bb.0:
	.section	.rodata,"a",@progbits
	.p2align	6, 0x0
	.amdhsa_kernel _ZN7rocprim17ROCPRIM_400000_NS6detail17trampoline_kernelINS0_14default_configENS1_25partition_config_selectorILNS1_17partition_subalgoE6EtNS0_10empty_typeEbEEZZNS1_14partition_implILS5_6ELb0ES3_mN6thrust23THRUST_200600_302600_NS6detail15normal_iteratorINSA_10device_ptrItEEEEPS6_SG_NS0_5tupleIJSF_S6_EEENSH_IJSG_SG_EEES6_PlJNSB_9not_fun_tI7is_evenItEEEEEE10hipError_tPvRmT3_T4_T5_T6_T7_T9_mT8_P12ihipStream_tbDpT10_ENKUlT_T0_E_clISt17integral_constantIbLb1EES18_EEDaS13_S14_EUlS13_E_NS1_11comp_targetILNS1_3genE4ELNS1_11target_archE910ELNS1_3gpuE8ELNS1_3repE0EEENS1_30default_config_static_selectorELNS0_4arch9wavefront6targetE0EEEvT1_
		.amdhsa_group_segment_fixed_size 0
		.amdhsa_private_segment_fixed_size 0
		.amdhsa_kernarg_size 128
		.amdhsa_user_sgpr_count 2
		.amdhsa_user_sgpr_dispatch_ptr 0
		.amdhsa_user_sgpr_queue_ptr 0
		.amdhsa_user_sgpr_kernarg_segment_ptr 1
		.amdhsa_user_sgpr_dispatch_id 0
		.amdhsa_user_sgpr_private_segment_size 0
		.amdhsa_wavefront_size32 1
		.amdhsa_uses_dynamic_stack 0
		.amdhsa_enable_private_segment 0
		.amdhsa_system_sgpr_workgroup_id_x 1
		.amdhsa_system_sgpr_workgroup_id_y 0
		.amdhsa_system_sgpr_workgroup_id_z 0
		.amdhsa_system_sgpr_workgroup_info 0
		.amdhsa_system_vgpr_workitem_id 0
		.amdhsa_next_free_vgpr 1
		.amdhsa_next_free_sgpr 1
		.amdhsa_reserve_vcc 0
		.amdhsa_float_round_mode_32 0
		.amdhsa_float_round_mode_16_64 0
		.amdhsa_float_denorm_mode_32 3
		.amdhsa_float_denorm_mode_16_64 3
		.amdhsa_fp16_overflow 0
		.amdhsa_workgroup_processor_mode 1
		.amdhsa_memory_ordered 1
		.amdhsa_forward_progress 1
		.amdhsa_inst_pref_size 0
		.amdhsa_round_robin_scheduling 0
		.amdhsa_exception_fp_ieee_invalid_op 0
		.amdhsa_exception_fp_denorm_src 0
		.amdhsa_exception_fp_ieee_div_zero 0
		.amdhsa_exception_fp_ieee_overflow 0
		.amdhsa_exception_fp_ieee_underflow 0
		.amdhsa_exception_fp_ieee_inexact 0
		.amdhsa_exception_int_div_zero 0
	.end_amdhsa_kernel
	.section	.text._ZN7rocprim17ROCPRIM_400000_NS6detail17trampoline_kernelINS0_14default_configENS1_25partition_config_selectorILNS1_17partition_subalgoE6EtNS0_10empty_typeEbEEZZNS1_14partition_implILS5_6ELb0ES3_mN6thrust23THRUST_200600_302600_NS6detail15normal_iteratorINSA_10device_ptrItEEEEPS6_SG_NS0_5tupleIJSF_S6_EEENSH_IJSG_SG_EEES6_PlJNSB_9not_fun_tI7is_evenItEEEEEE10hipError_tPvRmT3_T4_T5_T6_T7_T9_mT8_P12ihipStream_tbDpT10_ENKUlT_T0_E_clISt17integral_constantIbLb1EES18_EEDaS13_S14_EUlS13_E_NS1_11comp_targetILNS1_3genE4ELNS1_11target_archE910ELNS1_3gpuE8ELNS1_3repE0EEENS1_30default_config_static_selectorELNS0_4arch9wavefront6targetE0EEEvT1_,"axG",@progbits,_ZN7rocprim17ROCPRIM_400000_NS6detail17trampoline_kernelINS0_14default_configENS1_25partition_config_selectorILNS1_17partition_subalgoE6EtNS0_10empty_typeEbEEZZNS1_14partition_implILS5_6ELb0ES3_mN6thrust23THRUST_200600_302600_NS6detail15normal_iteratorINSA_10device_ptrItEEEEPS6_SG_NS0_5tupleIJSF_S6_EEENSH_IJSG_SG_EEES6_PlJNSB_9not_fun_tI7is_evenItEEEEEE10hipError_tPvRmT3_T4_T5_T6_T7_T9_mT8_P12ihipStream_tbDpT10_ENKUlT_T0_E_clISt17integral_constantIbLb1EES18_EEDaS13_S14_EUlS13_E_NS1_11comp_targetILNS1_3genE4ELNS1_11target_archE910ELNS1_3gpuE8ELNS1_3repE0EEENS1_30default_config_static_selectorELNS0_4arch9wavefront6targetE0EEEvT1_,comdat
.Lfunc_end671:
	.size	_ZN7rocprim17ROCPRIM_400000_NS6detail17trampoline_kernelINS0_14default_configENS1_25partition_config_selectorILNS1_17partition_subalgoE6EtNS0_10empty_typeEbEEZZNS1_14partition_implILS5_6ELb0ES3_mN6thrust23THRUST_200600_302600_NS6detail15normal_iteratorINSA_10device_ptrItEEEEPS6_SG_NS0_5tupleIJSF_S6_EEENSH_IJSG_SG_EEES6_PlJNSB_9not_fun_tI7is_evenItEEEEEE10hipError_tPvRmT3_T4_T5_T6_T7_T9_mT8_P12ihipStream_tbDpT10_ENKUlT_T0_E_clISt17integral_constantIbLb1EES18_EEDaS13_S14_EUlS13_E_NS1_11comp_targetILNS1_3genE4ELNS1_11target_archE910ELNS1_3gpuE8ELNS1_3repE0EEENS1_30default_config_static_selectorELNS0_4arch9wavefront6targetE0EEEvT1_, .Lfunc_end671-_ZN7rocprim17ROCPRIM_400000_NS6detail17trampoline_kernelINS0_14default_configENS1_25partition_config_selectorILNS1_17partition_subalgoE6EtNS0_10empty_typeEbEEZZNS1_14partition_implILS5_6ELb0ES3_mN6thrust23THRUST_200600_302600_NS6detail15normal_iteratorINSA_10device_ptrItEEEEPS6_SG_NS0_5tupleIJSF_S6_EEENSH_IJSG_SG_EEES6_PlJNSB_9not_fun_tI7is_evenItEEEEEE10hipError_tPvRmT3_T4_T5_T6_T7_T9_mT8_P12ihipStream_tbDpT10_ENKUlT_T0_E_clISt17integral_constantIbLb1EES18_EEDaS13_S14_EUlS13_E_NS1_11comp_targetILNS1_3genE4ELNS1_11target_archE910ELNS1_3gpuE8ELNS1_3repE0EEENS1_30default_config_static_selectorELNS0_4arch9wavefront6targetE0EEEvT1_
                                        ; -- End function
	.set _ZN7rocprim17ROCPRIM_400000_NS6detail17trampoline_kernelINS0_14default_configENS1_25partition_config_selectorILNS1_17partition_subalgoE6EtNS0_10empty_typeEbEEZZNS1_14partition_implILS5_6ELb0ES3_mN6thrust23THRUST_200600_302600_NS6detail15normal_iteratorINSA_10device_ptrItEEEEPS6_SG_NS0_5tupleIJSF_S6_EEENSH_IJSG_SG_EEES6_PlJNSB_9not_fun_tI7is_evenItEEEEEE10hipError_tPvRmT3_T4_T5_T6_T7_T9_mT8_P12ihipStream_tbDpT10_ENKUlT_T0_E_clISt17integral_constantIbLb1EES18_EEDaS13_S14_EUlS13_E_NS1_11comp_targetILNS1_3genE4ELNS1_11target_archE910ELNS1_3gpuE8ELNS1_3repE0EEENS1_30default_config_static_selectorELNS0_4arch9wavefront6targetE0EEEvT1_.num_vgpr, 0
	.set _ZN7rocprim17ROCPRIM_400000_NS6detail17trampoline_kernelINS0_14default_configENS1_25partition_config_selectorILNS1_17partition_subalgoE6EtNS0_10empty_typeEbEEZZNS1_14partition_implILS5_6ELb0ES3_mN6thrust23THRUST_200600_302600_NS6detail15normal_iteratorINSA_10device_ptrItEEEEPS6_SG_NS0_5tupleIJSF_S6_EEENSH_IJSG_SG_EEES6_PlJNSB_9not_fun_tI7is_evenItEEEEEE10hipError_tPvRmT3_T4_T5_T6_T7_T9_mT8_P12ihipStream_tbDpT10_ENKUlT_T0_E_clISt17integral_constantIbLb1EES18_EEDaS13_S14_EUlS13_E_NS1_11comp_targetILNS1_3genE4ELNS1_11target_archE910ELNS1_3gpuE8ELNS1_3repE0EEENS1_30default_config_static_selectorELNS0_4arch9wavefront6targetE0EEEvT1_.num_agpr, 0
	.set _ZN7rocprim17ROCPRIM_400000_NS6detail17trampoline_kernelINS0_14default_configENS1_25partition_config_selectorILNS1_17partition_subalgoE6EtNS0_10empty_typeEbEEZZNS1_14partition_implILS5_6ELb0ES3_mN6thrust23THRUST_200600_302600_NS6detail15normal_iteratorINSA_10device_ptrItEEEEPS6_SG_NS0_5tupleIJSF_S6_EEENSH_IJSG_SG_EEES6_PlJNSB_9not_fun_tI7is_evenItEEEEEE10hipError_tPvRmT3_T4_T5_T6_T7_T9_mT8_P12ihipStream_tbDpT10_ENKUlT_T0_E_clISt17integral_constantIbLb1EES18_EEDaS13_S14_EUlS13_E_NS1_11comp_targetILNS1_3genE4ELNS1_11target_archE910ELNS1_3gpuE8ELNS1_3repE0EEENS1_30default_config_static_selectorELNS0_4arch9wavefront6targetE0EEEvT1_.numbered_sgpr, 0
	.set _ZN7rocprim17ROCPRIM_400000_NS6detail17trampoline_kernelINS0_14default_configENS1_25partition_config_selectorILNS1_17partition_subalgoE6EtNS0_10empty_typeEbEEZZNS1_14partition_implILS5_6ELb0ES3_mN6thrust23THRUST_200600_302600_NS6detail15normal_iteratorINSA_10device_ptrItEEEEPS6_SG_NS0_5tupleIJSF_S6_EEENSH_IJSG_SG_EEES6_PlJNSB_9not_fun_tI7is_evenItEEEEEE10hipError_tPvRmT3_T4_T5_T6_T7_T9_mT8_P12ihipStream_tbDpT10_ENKUlT_T0_E_clISt17integral_constantIbLb1EES18_EEDaS13_S14_EUlS13_E_NS1_11comp_targetILNS1_3genE4ELNS1_11target_archE910ELNS1_3gpuE8ELNS1_3repE0EEENS1_30default_config_static_selectorELNS0_4arch9wavefront6targetE0EEEvT1_.num_named_barrier, 0
	.set _ZN7rocprim17ROCPRIM_400000_NS6detail17trampoline_kernelINS0_14default_configENS1_25partition_config_selectorILNS1_17partition_subalgoE6EtNS0_10empty_typeEbEEZZNS1_14partition_implILS5_6ELb0ES3_mN6thrust23THRUST_200600_302600_NS6detail15normal_iteratorINSA_10device_ptrItEEEEPS6_SG_NS0_5tupleIJSF_S6_EEENSH_IJSG_SG_EEES6_PlJNSB_9not_fun_tI7is_evenItEEEEEE10hipError_tPvRmT3_T4_T5_T6_T7_T9_mT8_P12ihipStream_tbDpT10_ENKUlT_T0_E_clISt17integral_constantIbLb1EES18_EEDaS13_S14_EUlS13_E_NS1_11comp_targetILNS1_3genE4ELNS1_11target_archE910ELNS1_3gpuE8ELNS1_3repE0EEENS1_30default_config_static_selectorELNS0_4arch9wavefront6targetE0EEEvT1_.private_seg_size, 0
	.set _ZN7rocprim17ROCPRIM_400000_NS6detail17trampoline_kernelINS0_14default_configENS1_25partition_config_selectorILNS1_17partition_subalgoE6EtNS0_10empty_typeEbEEZZNS1_14partition_implILS5_6ELb0ES3_mN6thrust23THRUST_200600_302600_NS6detail15normal_iteratorINSA_10device_ptrItEEEEPS6_SG_NS0_5tupleIJSF_S6_EEENSH_IJSG_SG_EEES6_PlJNSB_9not_fun_tI7is_evenItEEEEEE10hipError_tPvRmT3_T4_T5_T6_T7_T9_mT8_P12ihipStream_tbDpT10_ENKUlT_T0_E_clISt17integral_constantIbLb1EES18_EEDaS13_S14_EUlS13_E_NS1_11comp_targetILNS1_3genE4ELNS1_11target_archE910ELNS1_3gpuE8ELNS1_3repE0EEENS1_30default_config_static_selectorELNS0_4arch9wavefront6targetE0EEEvT1_.uses_vcc, 0
	.set _ZN7rocprim17ROCPRIM_400000_NS6detail17trampoline_kernelINS0_14default_configENS1_25partition_config_selectorILNS1_17partition_subalgoE6EtNS0_10empty_typeEbEEZZNS1_14partition_implILS5_6ELb0ES3_mN6thrust23THRUST_200600_302600_NS6detail15normal_iteratorINSA_10device_ptrItEEEEPS6_SG_NS0_5tupleIJSF_S6_EEENSH_IJSG_SG_EEES6_PlJNSB_9not_fun_tI7is_evenItEEEEEE10hipError_tPvRmT3_T4_T5_T6_T7_T9_mT8_P12ihipStream_tbDpT10_ENKUlT_T0_E_clISt17integral_constantIbLb1EES18_EEDaS13_S14_EUlS13_E_NS1_11comp_targetILNS1_3genE4ELNS1_11target_archE910ELNS1_3gpuE8ELNS1_3repE0EEENS1_30default_config_static_selectorELNS0_4arch9wavefront6targetE0EEEvT1_.uses_flat_scratch, 0
	.set _ZN7rocprim17ROCPRIM_400000_NS6detail17trampoline_kernelINS0_14default_configENS1_25partition_config_selectorILNS1_17partition_subalgoE6EtNS0_10empty_typeEbEEZZNS1_14partition_implILS5_6ELb0ES3_mN6thrust23THRUST_200600_302600_NS6detail15normal_iteratorINSA_10device_ptrItEEEEPS6_SG_NS0_5tupleIJSF_S6_EEENSH_IJSG_SG_EEES6_PlJNSB_9not_fun_tI7is_evenItEEEEEE10hipError_tPvRmT3_T4_T5_T6_T7_T9_mT8_P12ihipStream_tbDpT10_ENKUlT_T0_E_clISt17integral_constantIbLb1EES18_EEDaS13_S14_EUlS13_E_NS1_11comp_targetILNS1_3genE4ELNS1_11target_archE910ELNS1_3gpuE8ELNS1_3repE0EEENS1_30default_config_static_selectorELNS0_4arch9wavefront6targetE0EEEvT1_.has_dyn_sized_stack, 0
	.set _ZN7rocprim17ROCPRIM_400000_NS6detail17trampoline_kernelINS0_14default_configENS1_25partition_config_selectorILNS1_17partition_subalgoE6EtNS0_10empty_typeEbEEZZNS1_14partition_implILS5_6ELb0ES3_mN6thrust23THRUST_200600_302600_NS6detail15normal_iteratorINSA_10device_ptrItEEEEPS6_SG_NS0_5tupleIJSF_S6_EEENSH_IJSG_SG_EEES6_PlJNSB_9not_fun_tI7is_evenItEEEEEE10hipError_tPvRmT3_T4_T5_T6_T7_T9_mT8_P12ihipStream_tbDpT10_ENKUlT_T0_E_clISt17integral_constantIbLb1EES18_EEDaS13_S14_EUlS13_E_NS1_11comp_targetILNS1_3genE4ELNS1_11target_archE910ELNS1_3gpuE8ELNS1_3repE0EEENS1_30default_config_static_selectorELNS0_4arch9wavefront6targetE0EEEvT1_.has_recursion, 0
	.set _ZN7rocprim17ROCPRIM_400000_NS6detail17trampoline_kernelINS0_14default_configENS1_25partition_config_selectorILNS1_17partition_subalgoE6EtNS0_10empty_typeEbEEZZNS1_14partition_implILS5_6ELb0ES3_mN6thrust23THRUST_200600_302600_NS6detail15normal_iteratorINSA_10device_ptrItEEEEPS6_SG_NS0_5tupleIJSF_S6_EEENSH_IJSG_SG_EEES6_PlJNSB_9not_fun_tI7is_evenItEEEEEE10hipError_tPvRmT3_T4_T5_T6_T7_T9_mT8_P12ihipStream_tbDpT10_ENKUlT_T0_E_clISt17integral_constantIbLb1EES18_EEDaS13_S14_EUlS13_E_NS1_11comp_targetILNS1_3genE4ELNS1_11target_archE910ELNS1_3gpuE8ELNS1_3repE0EEENS1_30default_config_static_selectorELNS0_4arch9wavefront6targetE0EEEvT1_.has_indirect_call, 0
	.section	.AMDGPU.csdata,"",@progbits
; Kernel info:
; codeLenInByte = 0
; TotalNumSgprs: 0
; NumVgprs: 0
; ScratchSize: 0
; MemoryBound: 0
; FloatMode: 240
; IeeeMode: 1
; LDSByteSize: 0 bytes/workgroup (compile time only)
; SGPRBlocks: 0
; VGPRBlocks: 0
; NumSGPRsForWavesPerEU: 1
; NumVGPRsForWavesPerEU: 1
; Occupancy: 16
; WaveLimiterHint : 0
; COMPUTE_PGM_RSRC2:SCRATCH_EN: 0
; COMPUTE_PGM_RSRC2:USER_SGPR: 2
; COMPUTE_PGM_RSRC2:TRAP_HANDLER: 0
; COMPUTE_PGM_RSRC2:TGID_X_EN: 1
; COMPUTE_PGM_RSRC2:TGID_Y_EN: 0
; COMPUTE_PGM_RSRC2:TGID_Z_EN: 0
; COMPUTE_PGM_RSRC2:TIDIG_COMP_CNT: 0
	.section	.text._ZN7rocprim17ROCPRIM_400000_NS6detail17trampoline_kernelINS0_14default_configENS1_25partition_config_selectorILNS1_17partition_subalgoE6EtNS0_10empty_typeEbEEZZNS1_14partition_implILS5_6ELb0ES3_mN6thrust23THRUST_200600_302600_NS6detail15normal_iteratorINSA_10device_ptrItEEEEPS6_SG_NS0_5tupleIJSF_S6_EEENSH_IJSG_SG_EEES6_PlJNSB_9not_fun_tI7is_evenItEEEEEE10hipError_tPvRmT3_T4_T5_T6_T7_T9_mT8_P12ihipStream_tbDpT10_ENKUlT_T0_E_clISt17integral_constantIbLb1EES18_EEDaS13_S14_EUlS13_E_NS1_11comp_targetILNS1_3genE3ELNS1_11target_archE908ELNS1_3gpuE7ELNS1_3repE0EEENS1_30default_config_static_selectorELNS0_4arch9wavefront6targetE0EEEvT1_,"axG",@progbits,_ZN7rocprim17ROCPRIM_400000_NS6detail17trampoline_kernelINS0_14default_configENS1_25partition_config_selectorILNS1_17partition_subalgoE6EtNS0_10empty_typeEbEEZZNS1_14partition_implILS5_6ELb0ES3_mN6thrust23THRUST_200600_302600_NS6detail15normal_iteratorINSA_10device_ptrItEEEEPS6_SG_NS0_5tupleIJSF_S6_EEENSH_IJSG_SG_EEES6_PlJNSB_9not_fun_tI7is_evenItEEEEEE10hipError_tPvRmT3_T4_T5_T6_T7_T9_mT8_P12ihipStream_tbDpT10_ENKUlT_T0_E_clISt17integral_constantIbLb1EES18_EEDaS13_S14_EUlS13_E_NS1_11comp_targetILNS1_3genE3ELNS1_11target_archE908ELNS1_3gpuE7ELNS1_3repE0EEENS1_30default_config_static_selectorELNS0_4arch9wavefront6targetE0EEEvT1_,comdat
	.protected	_ZN7rocprim17ROCPRIM_400000_NS6detail17trampoline_kernelINS0_14default_configENS1_25partition_config_selectorILNS1_17partition_subalgoE6EtNS0_10empty_typeEbEEZZNS1_14partition_implILS5_6ELb0ES3_mN6thrust23THRUST_200600_302600_NS6detail15normal_iteratorINSA_10device_ptrItEEEEPS6_SG_NS0_5tupleIJSF_S6_EEENSH_IJSG_SG_EEES6_PlJNSB_9not_fun_tI7is_evenItEEEEEE10hipError_tPvRmT3_T4_T5_T6_T7_T9_mT8_P12ihipStream_tbDpT10_ENKUlT_T0_E_clISt17integral_constantIbLb1EES18_EEDaS13_S14_EUlS13_E_NS1_11comp_targetILNS1_3genE3ELNS1_11target_archE908ELNS1_3gpuE7ELNS1_3repE0EEENS1_30default_config_static_selectorELNS0_4arch9wavefront6targetE0EEEvT1_ ; -- Begin function _ZN7rocprim17ROCPRIM_400000_NS6detail17trampoline_kernelINS0_14default_configENS1_25partition_config_selectorILNS1_17partition_subalgoE6EtNS0_10empty_typeEbEEZZNS1_14partition_implILS5_6ELb0ES3_mN6thrust23THRUST_200600_302600_NS6detail15normal_iteratorINSA_10device_ptrItEEEEPS6_SG_NS0_5tupleIJSF_S6_EEENSH_IJSG_SG_EEES6_PlJNSB_9not_fun_tI7is_evenItEEEEEE10hipError_tPvRmT3_T4_T5_T6_T7_T9_mT8_P12ihipStream_tbDpT10_ENKUlT_T0_E_clISt17integral_constantIbLb1EES18_EEDaS13_S14_EUlS13_E_NS1_11comp_targetILNS1_3genE3ELNS1_11target_archE908ELNS1_3gpuE7ELNS1_3repE0EEENS1_30default_config_static_selectorELNS0_4arch9wavefront6targetE0EEEvT1_
	.globl	_ZN7rocprim17ROCPRIM_400000_NS6detail17trampoline_kernelINS0_14default_configENS1_25partition_config_selectorILNS1_17partition_subalgoE6EtNS0_10empty_typeEbEEZZNS1_14partition_implILS5_6ELb0ES3_mN6thrust23THRUST_200600_302600_NS6detail15normal_iteratorINSA_10device_ptrItEEEEPS6_SG_NS0_5tupleIJSF_S6_EEENSH_IJSG_SG_EEES6_PlJNSB_9not_fun_tI7is_evenItEEEEEE10hipError_tPvRmT3_T4_T5_T6_T7_T9_mT8_P12ihipStream_tbDpT10_ENKUlT_T0_E_clISt17integral_constantIbLb1EES18_EEDaS13_S14_EUlS13_E_NS1_11comp_targetILNS1_3genE3ELNS1_11target_archE908ELNS1_3gpuE7ELNS1_3repE0EEENS1_30default_config_static_selectorELNS0_4arch9wavefront6targetE0EEEvT1_
	.p2align	8
	.type	_ZN7rocprim17ROCPRIM_400000_NS6detail17trampoline_kernelINS0_14default_configENS1_25partition_config_selectorILNS1_17partition_subalgoE6EtNS0_10empty_typeEbEEZZNS1_14partition_implILS5_6ELb0ES3_mN6thrust23THRUST_200600_302600_NS6detail15normal_iteratorINSA_10device_ptrItEEEEPS6_SG_NS0_5tupleIJSF_S6_EEENSH_IJSG_SG_EEES6_PlJNSB_9not_fun_tI7is_evenItEEEEEE10hipError_tPvRmT3_T4_T5_T6_T7_T9_mT8_P12ihipStream_tbDpT10_ENKUlT_T0_E_clISt17integral_constantIbLb1EES18_EEDaS13_S14_EUlS13_E_NS1_11comp_targetILNS1_3genE3ELNS1_11target_archE908ELNS1_3gpuE7ELNS1_3repE0EEENS1_30default_config_static_selectorELNS0_4arch9wavefront6targetE0EEEvT1_,@function
_ZN7rocprim17ROCPRIM_400000_NS6detail17trampoline_kernelINS0_14default_configENS1_25partition_config_selectorILNS1_17partition_subalgoE6EtNS0_10empty_typeEbEEZZNS1_14partition_implILS5_6ELb0ES3_mN6thrust23THRUST_200600_302600_NS6detail15normal_iteratorINSA_10device_ptrItEEEEPS6_SG_NS0_5tupleIJSF_S6_EEENSH_IJSG_SG_EEES6_PlJNSB_9not_fun_tI7is_evenItEEEEEE10hipError_tPvRmT3_T4_T5_T6_T7_T9_mT8_P12ihipStream_tbDpT10_ENKUlT_T0_E_clISt17integral_constantIbLb1EES18_EEDaS13_S14_EUlS13_E_NS1_11comp_targetILNS1_3genE3ELNS1_11target_archE908ELNS1_3gpuE7ELNS1_3repE0EEENS1_30default_config_static_selectorELNS0_4arch9wavefront6targetE0EEEvT1_: ; @_ZN7rocprim17ROCPRIM_400000_NS6detail17trampoline_kernelINS0_14default_configENS1_25partition_config_selectorILNS1_17partition_subalgoE6EtNS0_10empty_typeEbEEZZNS1_14partition_implILS5_6ELb0ES3_mN6thrust23THRUST_200600_302600_NS6detail15normal_iteratorINSA_10device_ptrItEEEEPS6_SG_NS0_5tupleIJSF_S6_EEENSH_IJSG_SG_EEES6_PlJNSB_9not_fun_tI7is_evenItEEEEEE10hipError_tPvRmT3_T4_T5_T6_T7_T9_mT8_P12ihipStream_tbDpT10_ENKUlT_T0_E_clISt17integral_constantIbLb1EES18_EEDaS13_S14_EUlS13_E_NS1_11comp_targetILNS1_3genE3ELNS1_11target_archE908ELNS1_3gpuE7ELNS1_3repE0EEENS1_30default_config_static_selectorELNS0_4arch9wavefront6targetE0EEEvT1_
; %bb.0:
	.section	.rodata,"a",@progbits
	.p2align	6, 0x0
	.amdhsa_kernel _ZN7rocprim17ROCPRIM_400000_NS6detail17trampoline_kernelINS0_14default_configENS1_25partition_config_selectorILNS1_17partition_subalgoE6EtNS0_10empty_typeEbEEZZNS1_14partition_implILS5_6ELb0ES3_mN6thrust23THRUST_200600_302600_NS6detail15normal_iteratorINSA_10device_ptrItEEEEPS6_SG_NS0_5tupleIJSF_S6_EEENSH_IJSG_SG_EEES6_PlJNSB_9not_fun_tI7is_evenItEEEEEE10hipError_tPvRmT3_T4_T5_T6_T7_T9_mT8_P12ihipStream_tbDpT10_ENKUlT_T0_E_clISt17integral_constantIbLb1EES18_EEDaS13_S14_EUlS13_E_NS1_11comp_targetILNS1_3genE3ELNS1_11target_archE908ELNS1_3gpuE7ELNS1_3repE0EEENS1_30default_config_static_selectorELNS0_4arch9wavefront6targetE0EEEvT1_
		.amdhsa_group_segment_fixed_size 0
		.amdhsa_private_segment_fixed_size 0
		.amdhsa_kernarg_size 128
		.amdhsa_user_sgpr_count 2
		.amdhsa_user_sgpr_dispatch_ptr 0
		.amdhsa_user_sgpr_queue_ptr 0
		.amdhsa_user_sgpr_kernarg_segment_ptr 1
		.amdhsa_user_sgpr_dispatch_id 0
		.amdhsa_user_sgpr_private_segment_size 0
		.amdhsa_wavefront_size32 1
		.amdhsa_uses_dynamic_stack 0
		.amdhsa_enable_private_segment 0
		.amdhsa_system_sgpr_workgroup_id_x 1
		.amdhsa_system_sgpr_workgroup_id_y 0
		.amdhsa_system_sgpr_workgroup_id_z 0
		.amdhsa_system_sgpr_workgroup_info 0
		.amdhsa_system_vgpr_workitem_id 0
		.amdhsa_next_free_vgpr 1
		.amdhsa_next_free_sgpr 1
		.amdhsa_reserve_vcc 0
		.amdhsa_float_round_mode_32 0
		.amdhsa_float_round_mode_16_64 0
		.amdhsa_float_denorm_mode_32 3
		.amdhsa_float_denorm_mode_16_64 3
		.amdhsa_fp16_overflow 0
		.amdhsa_workgroup_processor_mode 1
		.amdhsa_memory_ordered 1
		.amdhsa_forward_progress 1
		.amdhsa_inst_pref_size 0
		.amdhsa_round_robin_scheduling 0
		.amdhsa_exception_fp_ieee_invalid_op 0
		.amdhsa_exception_fp_denorm_src 0
		.amdhsa_exception_fp_ieee_div_zero 0
		.amdhsa_exception_fp_ieee_overflow 0
		.amdhsa_exception_fp_ieee_underflow 0
		.amdhsa_exception_fp_ieee_inexact 0
		.amdhsa_exception_int_div_zero 0
	.end_amdhsa_kernel
	.section	.text._ZN7rocprim17ROCPRIM_400000_NS6detail17trampoline_kernelINS0_14default_configENS1_25partition_config_selectorILNS1_17partition_subalgoE6EtNS0_10empty_typeEbEEZZNS1_14partition_implILS5_6ELb0ES3_mN6thrust23THRUST_200600_302600_NS6detail15normal_iteratorINSA_10device_ptrItEEEEPS6_SG_NS0_5tupleIJSF_S6_EEENSH_IJSG_SG_EEES6_PlJNSB_9not_fun_tI7is_evenItEEEEEE10hipError_tPvRmT3_T4_T5_T6_T7_T9_mT8_P12ihipStream_tbDpT10_ENKUlT_T0_E_clISt17integral_constantIbLb1EES18_EEDaS13_S14_EUlS13_E_NS1_11comp_targetILNS1_3genE3ELNS1_11target_archE908ELNS1_3gpuE7ELNS1_3repE0EEENS1_30default_config_static_selectorELNS0_4arch9wavefront6targetE0EEEvT1_,"axG",@progbits,_ZN7rocprim17ROCPRIM_400000_NS6detail17trampoline_kernelINS0_14default_configENS1_25partition_config_selectorILNS1_17partition_subalgoE6EtNS0_10empty_typeEbEEZZNS1_14partition_implILS5_6ELb0ES3_mN6thrust23THRUST_200600_302600_NS6detail15normal_iteratorINSA_10device_ptrItEEEEPS6_SG_NS0_5tupleIJSF_S6_EEENSH_IJSG_SG_EEES6_PlJNSB_9not_fun_tI7is_evenItEEEEEE10hipError_tPvRmT3_T4_T5_T6_T7_T9_mT8_P12ihipStream_tbDpT10_ENKUlT_T0_E_clISt17integral_constantIbLb1EES18_EEDaS13_S14_EUlS13_E_NS1_11comp_targetILNS1_3genE3ELNS1_11target_archE908ELNS1_3gpuE7ELNS1_3repE0EEENS1_30default_config_static_selectorELNS0_4arch9wavefront6targetE0EEEvT1_,comdat
.Lfunc_end672:
	.size	_ZN7rocprim17ROCPRIM_400000_NS6detail17trampoline_kernelINS0_14default_configENS1_25partition_config_selectorILNS1_17partition_subalgoE6EtNS0_10empty_typeEbEEZZNS1_14partition_implILS5_6ELb0ES3_mN6thrust23THRUST_200600_302600_NS6detail15normal_iteratorINSA_10device_ptrItEEEEPS6_SG_NS0_5tupleIJSF_S6_EEENSH_IJSG_SG_EEES6_PlJNSB_9not_fun_tI7is_evenItEEEEEE10hipError_tPvRmT3_T4_T5_T6_T7_T9_mT8_P12ihipStream_tbDpT10_ENKUlT_T0_E_clISt17integral_constantIbLb1EES18_EEDaS13_S14_EUlS13_E_NS1_11comp_targetILNS1_3genE3ELNS1_11target_archE908ELNS1_3gpuE7ELNS1_3repE0EEENS1_30default_config_static_selectorELNS0_4arch9wavefront6targetE0EEEvT1_, .Lfunc_end672-_ZN7rocprim17ROCPRIM_400000_NS6detail17trampoline_kernelINS0_14default_configENS1_25partition_config_selectorILNS1_17partition_subalgoE6EtNS0_10empty_typeEbEEZZNS1_14partition_implILS5_6ELb0ES3_mN6thrust23THRUST_200600_302600_NS6detail15normal_iteratorINSA_10device_ptrItEEEEPS6_SG_NS0_5tupleIJSF_S6_EEENSH_IJSG_SG_EEES6_PlJNSB_9not_fun_tI7is_evenItEEEEEE10hipError_tPvRmT3_T4_T5_T6_T7_T9_mT8_P12ihipStream_tbDpT10_ENKUlT_T0_E_clISt17integral_constantIbLb1EES18_EEDaS13_S14_EUlS13_E_NS1_11comp_targetILNS1_3genE3ELNS1_11target_archE908ELNS1_3gpuE7ELNS1_3repE0EEENS1_30default_config_static_selectorELNS0_4arch9wavefront6targetE0EEEvT1_
                                        ; -- End function
	.set _ZN7rocprim17ROCPRIM_400000_NS6detail17trampoline_kernelINS0_14default_configENS1_25partition_config_selectorILNS1_17partition_subalgoE6EtNS0_10empty_typeEbEEZZNS1_14partition_implILS5_6ELb0ES3_mN6thrust23THRUST_200600_302600_NS6detail15normal_iteratorINSA_10device_ptrItEEEEPS6_SG_NS0_5tupleIJSF_S6_EEENSH_IJSG_SG_EEES6_PlJNSB_9not_fun_tI7is_evenItEEEEEE10hipError_tPvRmT3_T4_T5_T6_T7_T9_mT8_P12ihipStream_tbDpT10_ENKUlT_T0_E_clISt17integral_constantIbLb1EES18_EEDaS13_S14_EUlS13_E_NS1_11comp_targetILNS1_3genE3ELNS1_11target_archE908ELNS1_3gpuE7ELNS1_3repE0EEENS1_30default_config_static_selectorELNS0_4arch9wavefront6targetE0EEEvT1_.num_vgpr, 0
	.set _ZN7rocprim17ROCPRIM_400000_NS6detail17trampoline_kernelINS0_14default_configENS1_25partition_config_selectorILNS1_17partition_subalgoE6EtNS0_10empty_typeEbEEZZNS1_14partition_implILS5_6ELb0ES3_mN6thrust23THRUST_200600_302600_NS6detail15normal_iteratorINSA_10device_ptrItEEEEPS6_SG_NS0_5tupleIJSF_S6_EEENSH_IJSG_SG_EEES6_PlJNSB_9not_fun_tI7is_evenItEEEEEE10hipError_tPvRmT3_T4_T5_T6_T7_T9_mT8_P12ihipStream_tbDpT10_ENKUlT_T0_E_clISt17integral_constantIbLb1EES18_EEDaS13_S14_EUlS13_E_NS1_11comp_targetILNS1_3genE3ELNS1_11target_archE908ELNS1_3gpuE7ELNS1_3repE0EEENS1_30default_config_static_selectorELNS0_4arch9wavefront6targetE0EEEvT1_.num_agpr, 0
	.set _ZN7rocprim17ROCPRIM_400000_NS6detail17trampoline_kernelINS0_14default_configENS1_25partition_config_selectorILNS1_17partition_subalgoE6EtNS0_10empty_typeEbEEZZNS1_14partition_implILS5_6ELb0ES3_mN6thrust23THRUST_200600_302600_NS6detail15normal_iteratorINSA_10device_ptrItEEEEPS6_SG_NS0_5tupleIJSF_S6_EEENSH_IJSG_SG_EEES6_PlJNSB_9not_fun_tI7is_evenItEEEEEE10hipError_tPvRmT3_T4_T5_T6_T7_T9_mT8_P12ihipStream_tbDpT10_ENKUlT_T0_E_clISt17integral_constantIbLb1EES18_EEDaS13_S14_EUlS13_E_NS1_11comp_targetILNS1_3genE3ELNS1_11target_archE908ELNS1_3gpuE7ELNS1_3repE0EEENS1_30default_config_static_selectorELNS0_4arch9wavefront6targetE0EEEvT1_.numbered_sgpr, 0
	.set _ZN7rocprim17ROCPRIM_400000_NS6detail17trampoline_kernelINS0_14default_configENS1_25partition_config_selectorILNS1_17partition_subalgoE6EtNS0_10empty_typeEbEEZZNS1_14partition_implILS5_6ELb0ES3_mN6thrust23THRUST_200600_302600_NS6detail15normal_iteratorINSA_10device_ptrItEEEEPS6_SG_NS0_5tupleIJSF_S6_EEENSH_IJSG_SG_EEES6_PlJNSB_9not_fun_tI7is_evenItEEEEEE10hipError_tPvRmT3_T4_T5_T6_T7_T9_mT8_P12ihipStream_tbDpT10_ENKUlT_T0_E_clISt17integral_constantIbLb1EES18_EEDaS13_S14_EUlS13_E_NS1_11comp_targetILNS1_3genE3ELNS1_11target_archE908ELNS1_3gpuE7ELNS1_3repE0EEENS1_30default_config_static_selectorELNS0_4arch9wavefront6targetE0EEEvT1_.num_named_barrier, 0
	.set _ZN7rocprim17ROCPRIM_400000_NS6detail17trampoline_kernelINS0_14default_configENS1_25partition_config_selectorILNS1_17partition_subalgoE6EtNS0_10empty_typeEbEEZZNS1_14partition_implILS5_6ELb0ES3_mN6thrust23THRUST_200600_302600_NS6detail15normal_iteratorINSA_10device_ptrItEEEEPS6_SG_NS0_5tupleIJSF_S6_EEENSH_IJSG_SG_EEES6_PlJNSB_9not_fun_tI7is_evenItEEEEEE10hipError_tPvRmT3_T4_T5_T6_T7_T9_mT8_P12ihipStream_tbDpT10_ENKUlT_T0_E_clISt17integral_constantIbLb1EES18_EEDaS13_S14_EUlS13_E_NS1_11comp_targetILNS1_3genE3ELNS1_11target_archE908ELNS1_3gpuE7ELNS1_3repE0EEENS1_30default_config_static_selectorELNS0_4arch9wavefront6targetE0EEEvT1_.private_seg_size, 0
	.set _ZN7rocprim17ROCPRIM_400000_NS6detail17trampoline_kernelINS0_14default_configENS1_25partition_config_selectorILNS1_17partition_subalgoE6EtNS0_10empty_typeEbEEZZNS1_14partition_implILS5_6ELb0ES3_mN6thrust23THRUST_200600_302600_NS6detail15normal_iteratorINSA_10device_ptrItEEEEPS6_SG_NS0_5tupleIJSF_S6_EEENSH_IJSG_SG_EEES6_PlJNSB_9not_fun_tI7is_evenItEEEEEE10hipError_tPvRmT3_T4_T5_T6_T7_T9_mT8_P12ihipStream_tbDpT10_ENKUlT_T0_E_clISt17integral_constantIbLb1EES18_EEDaS13_S14_EUlS13_E_NS1_11comp_targetILNS1_3genE3ELNS1_11target_archE908ELNS1_3gpuE7ELNS1_3repE0EEENS1_30default_config_static_selectorELNS0_4arch9wavefront6targetE0EEEvT1_.uses_vcc, 0
	.set _ZN7rocprim17ROCPRIM_400000_NS6detail17trampoline_kernelINS0_14default_configENS1_25partition_config_selectorILNS1_17partition_subalgoE6EtNS0_10empty_typeEbEEZZNS1_14partition_implILS5_6ELb0ES3_mN6thrust23THRUST_200600_302600_NS6detail15normal_iteratorINSA_10device_ptrItEEEEPS6_SG_NS0_5tupleIJSF_S6_EEENSH_IJSG_SG_EEES6_PlJNSB_9not_fun_tI7is_evenItEEEEEE10hipError_tPvRmT3_T4_T5_T6_T7_T9_mT8_P12ihipStream_tbDpT10_ENKUlT_T0_E_clISt17integral_constantIbLb1EES18_EEDaS13_S14_EUlS13_E_NS1_11comp_targetILNS1_3genE3ELNS1_11target_archE908ELNS1_3gpuE7ELNS1_3repE0EEENS1_30default_config_static_selectorELNS0_4arch9wavefront6targetE0EEEvT1_.uses_flat_scratch, 0
	.set _ZN7rocprim17ROCPRIM_400000_NS6detail17trampoline_kernelINS0_14default_configENS1_25partition_config_selectorILNS1_17partition_subalgoE6EtNS0_10empty_typeEbEEZZNS1_14partition_implILS5_6ELb0ES3_mN6thrust23THRUST_200600_302600_NS6detail15normal_iteratorINSA_10device_ptrItEEEEPS6_SG_NS0_5tupleIJSF_S6_EEENSH_IJSG_SG_EEES6_PlJNSB_9not_fun_tI7is_evenItEEEEEE10hipError_tPvRmT3_T4_T5_T6_T7_T9_mT8_P12ihipStream_tbDpT10_ENKUlT_T0_E_clISt17integral_constantIbLb1EES18_EEDaS13_S14_EUlS13_E_NS1_11comp_targetILNS1_3genE3ELNS1_11target_archE908ELNS1_3gpuE7ELNS1_3repE0EEENS1_30default_config_static_selectorELNS0_4arch9wavefront6targetE0EEEvT1_.has_dyn_sized_stack, 0
	.set _ZN7rocprim17ROCPRIM_400000_NS6detail17trampoline_kernelINS0_14default_configENS1_25partition_config_selectorILNS1_17partition_subalgoE6EtNS0_10empty_typeEbEEZZNS1_14partition_implILS5_6ELb0ES3_mN6thrust23THRUST_200600_302600_NS6detail15normal_iteratorINSA_10device_ptrItEEEEPS6_SG_NS0_5tupleIJSF_S6_EEENSH_IJSG_SG_EEES6_PlJNSB_9not_fun_tI7is_evenItEEEEEE10hipError_tPvRmT3_T4_T5_T6_T7_T9_mT8_P12ihipStream_tbDpT10_ENKUlT_T0_E_clISt17integral_constantIbLb1EES18_EEDaS13_S14_EUlS13_E_NS1_11comp_targetILNS1_3genE3ELNS1_11target_archE908ELNS1_3gpuE7ELNS1_3repE0EEENS1_30default_config_static_selectorELNS0_4arch9wavefront6targetE0EEEvT1_.has_recursion, 0
	.set _ZN7rocprim17ROCPRIM_400000_NS6detail17trampoline_kernelINS0_14default_configENS1_25partition_config_selectorILNS1_17partition_subalgoE6EtNS0_10empty_typeEbEEZZNS1_14partition_implILS5_6ELb0ES3_mN6thrust23THRUST_200600_302600_NS6detail15normal_iteratorINSA_10device_ptrItEEEEPS6_SG_NS0_5tupleIJSF_S6_EEENSH_IJSG_SG_EEES6_PlJNSB_9not_fun_tI7is_evenItEEEEEE10hipError_tPvRmT3_T4_T5_T6_T7_T9_mT8_P12ihipStream_tbDpT10_ENKUlT_T0_E_clISt17integral_constantIbLb1EES18_EEDaS13_S14_EUlS13_E_NS1_11comp_targetILNS1_3genE3ELNS1_11target_archE908ELNS1_3gpuE7ELNS1_3repE0EEENS1_30default_config_static_selectorELNS0_4arch9wavefront6targetE0EEEvT1_.has_indirect_call, 0
	.section	.AMDGPU.csdata,"",@progbits
; Kernel info:
; codeLenInByte = 0
; TotalNumSgprs: 0
; NumVgprs: 0
; ScratchSize: 0
; MemoryBound: 0
; FloatMode: 240
; IeeeMode: 1
; LDSByteSize: 0 bytes/workgroup (compile time only)
; SGPRBlocks: 0
; VGPRBlocks: 0
; NumSGPRsForWavesPerEU: 1
; NumVGPRsForWavesPerEU: 1
; Occupancy: 16
; WaveLimiterHint : 0
; COMPUTE_PGM_RSRC2:SCRATCH_EN: 0
; COMPUTE_PGM_RSRC2:USER_SGPR: 2
; COMPUTE_PGM_RSRC2:TRAP_HANDLER: 0
; COMPUTE_PGM_RSRC2:TGID_X_EN: 1
; COMPUTE_PGM_RSRC2:TGID_Y_EN: 0
; COMPUTE_PGM_RSRC2:TGID_Z_EN: 0
; COMPUTE_PGM_RSRC2:TIDIG_COMP_CNT: 0
	.section	.text._ZN7rocprim17ROCPRIM_400000_NS6detail17trampoline_kernelINS0_14default_configENS1_25partition_config_selectorILNS1_17partition_subalgoE6EtNS0_10empty_typeEbEEZZNS1_14partition_implILS5_6ELb0ES3_mN6thrust23THRUST_200600_302600_NS6detail15normal_iteratorINSA_10device_ptrItEEEEPS6_SG_NS0_5tupleIJSF_S6_EEENSH_IJSG_SG_EEES6_PlJNSB_9not_fun_tI7is_evenItEEEEEE10hipError_tPvRmT3_T4_T5_T6_T7_T9_mT8_P12ihipStream_tbDpT10_ENKUlT_T0_E_clISt17integral_constantIbLb1EES18_EEDaS13_S14_EUlS13_E_NS1_11comp_targetILNS1_3genE2ELNS1_11target_archE906ELNS1_3gpuE6ELNS1_3repE0EEENS1_30default_config_static_selectorELNS0_4arch9wavefront6targetE0EEEvT1_,"axG",@progbits,_ZN7rocprim17ROCPRIM_400000_NS6detail17trampoline_kernelINS0_14default_configENS1_25partition_config_selectorILNS1_17partition_subalgoE6EtNS0_10empty_typeEbEEZZNS1_14partition_implILS5_6ELb0ES3_mN6thrust23THRUST_200600_302600_NS6detail15normal_iteratorINSA_10device_ptrItEEEEPS6_SG_NS0_5tupleIJSF_S6_EEENSH_IJSG_SG_EEES6_PlJNSB_9not_fun_tI7is_evenItEEEEEE10hipError_tPvRmT3_T4_T5_T6_T7_T9_mT8_P12ihipStream_tbDpT10_ENKUlT_T0_E_clISt17integral_constantIbLb1EES18_EEDaS13_S14_EUlS13_E_NS1_11comp_targetILNS1_3genE2ELNS1_11target_archE906ELNS1_3gpuE6ELNS1_3repE0EEENS1_30default_config_static_selectorELNS0_4arch9wavefront6targetE0EEEvT1_,comdat
	.protected	_ZN7rocprim17ROCPRIM_400000_NS6detail17trampoline_kernelINS0_14default_configENS1_25partition_config_selectorILNS1_17partition_subalgoE6EtNS0_10empty_typeEbEEZZNS1_14partition_implILS5_6ELb0ES3_mN6thrust23THRUST_200600_302600_NS6detail15normal_iteratorINSA_10device_ptrItEEEEPS6_SG_NS0_5tupleIJSF_S6_EEENSH_IJSG_SG_EEES6_PlJNSB_9not_fun_tI7is_evenItEEEEEE10hipError_tPvRmT3_T4_T5_T6_T7_T9_mT8_P12ihipStream_tbDpT10_ENKUlT_T0_E_clISt17integral_constantIbLb1EES18_EEDaS13_S14_EUlS13_E_NS1_11comp_targetILNS1_3genE2ELNS1_11target_archE906ELNS1_3gpuE6ELNS1_3repE0EEENS1_30default_config_static_selectorELNS0_4arch9wavefront6targetE0EEEvT1_ ; -- Begin function _ZN7rocprim17ROCPRIM_400000_NS6detail17trampoline_kernelINS0_14default_configENS1_25partition_config_selectorILNS1_17partition_subalgoE6EtNS0_10empty_typeEbEEZZNS1_14partition_implILS5_6ELb0ES3_mN6thrust23THRUST_200600_302600_NS6detail15normal_iteratorINSA_10device_ptrItEEEEPS6_SG_NS0_5tupleIJSF_S6_EEENSH_IJSG_SG_EEES6_PlJNSB_9not_fun_tI7is_evenItEEEEEE10hipError_tPvRmT3_T4_T5_T6_T7_T9_mT8_P12ihipStream_tbDpT10_ENKUlT_T0_E_clISt17integral_constantIbLb1EES18_EEDaS13_S14_EUlS13_E_NS1_11comp_targetILNS1_3genE2ELNS1_11target_archE906ELNS1_3gpuE6ELNS1_3repE0EEENS1_30default_config_static_selectorELNS0_4arch9wavefront6targetE0EEEvT1_
	.globl	_ZN7rocprim17ROCPRIM_400000_NS6detail17trampoline_kernelINS0_14default_configENS1_25partition_config_selectorILNS1_17partition_subalgoE6EtNS0_10empty_typeEbEEZZNS1_14partition_implILS5_6ELb0ES3_mN6thrust23THRUST_200600_302600_NS6detail15normal_iteratorINSA_10device_ptrItEEEEPS6_SG_NS0_5tupleIJSF_S6_EEENSH_IJSG_SG_EEES6_PlJNSB_9not_fun_tI7is_evenItEEEEEE10hipError_tPvRmT3_T4_T5_T6_T7_T9_mT8_P12ihipStream_tbDpT10_ENKUlT_T0_E_clISt17integral_constantIbLb1EES18_EEDaS13_S14_EUlS13_E_NS1_11comp_targetILNS1_3genE2ELNS1_11target_archE906ELNS1_3gpuE6ELNS1_3repE0EEENS1_30default_config_static_selectorELNS0_4arch9wavefront6targetE0EEEvT1_
	.p2align	8
	.type	_ZN7rocprim17ROCPRIM_400000_NS6detail17trampoline_kernelINS0_14default_configENS1_25partition_config_selectorILNS1_17partition_subalgoE6EtNS0_10empty_typeEbEEZZNS1_14partition_implILS5_6ELb0ES3_mN6thrust23THRUST_200600_302600_NS6detail15normal_iteratorINSA_10device_ptrItEEEEPS6_SG_NS0_5tupleIJSF_S6_EEENSH_IJSG_SG_EEES6_PlJNSB_9not_fun_tI7is_evenItEEEEEE10hipError_tPvRmT3_T4_T5_T6_T7_T9_mT8_P12ihipStream_tbDpT10_ENKUlT_T0_E_clISt17integral_constantIbLb1EES18_EEDaS13_S14_EUlS13_E_NS1_11comp_targetILNS1_3genE2ELNS1_11target_archE906ELNS1_3gpuE6ELNS1_3repE0EEENS1_30default_config_static_selectorELNS0_4arch9wavefront6targetE0EEEvT1_,@function
_ZN7rocprim17ROCPRIM_400000_NS6detail17trampoline_kernelINS0_14default_configENS1_25partition_config_selectorILNS1_17partition_subalgoE6EtNS0_10empty_typeEbEEZZNS1_14partition_implILS5_6ELb0ES3_mN6thrust23THRUST_200600_302600_NS6detail15normal_iteratorINSA_10device_ptrItEEEEPS6_SG_NS0_5tupleIJSF_S6_EEENSH_IJSG_SG_EEES6_PlJNSB_9not_fun_tI7is_evenItEEEEEE10hipError_tPvRmT3_T4_T5_T6_T7_T9_mT8_P12ihipStream_tbDpT10_ENKUlT_T0_E_clISt17integral_constantIbLb1EES18_EEDaS13_S14_EUlS13_E_NS1_11comp_targetILNS1_3genE2ELNS1_11target_archE906ELNS1_3gpuE6ELNS1_3repE0EEENS1_30default_config_static_selectorELNS0_4arch9wavefront6targetE0EEEvT1_: ; @_ZN7rocprim17ROCPRIM_400000_NS6detail17trampoline_kernelINS0_14default_configENS1_25partition_config_selectorILNS1_17partition_subalgoE6EtNS0_10empty_typeEbEEZZNS1_14partition_implILS5_6ELb0ES3_mN6thrust23THRUST_200600_302600_NS6detail15normal_iteratorINSA_10device_ptrItEEEEPS6_SG_NS0_5tupleIJSF_S6_EEENSH_IJSG_SG_EEES6_PlJNSB_9not_fun_tI7is_evenItEEEEEE10hipError_tPvRmT3_T4_T5_T6_T7_T9_mT8_P12ihipStream_tbDpT10_ENKUlT_T0_E_clISt17integral_constantIbLb1EES18_EEDaS13_S14_EUlS13_E_NS1_11comp_targetILNS1_3genE2ELNS1_11target_archE906ELNS1_3gpuE6ELNS1_3repE0EEENS1_30default_config_static_selectorELNS0_4arch9wavefront6targetE0EEEvT1_
; %bb.0:
	.section	.rodata,"a",@progbits
	.p2align	6, 0x0
	.amdhsa_kernel _ZN7rocprim17ROCPRIM_400000_NS6detail17trampoline_kernelINS0_14default_configENS1_25partition_config_selectorILNS1_17partition_subalgoE6EtNS0_10empty_typeEbEEZZNS1_14partition_implILS5_6ELb0ES3_mN6thrust23THRUST_200600_302600_NS6detail15normal_iteratorINSA_10device_ptrItEEEEPS6_SG_NS0_5tupleIJSF_S6_EEENSH_IJSG_SG_EEES6_PlJNSB_9not_fun_tI7is_evenItEEEEEE10hipError_tPvRmT3_T4_T5_T6_T7_T9_mT8_P12ihipStream_tbDpT10_ENKUlT_T0_E_clISt17integral_constantIbLb1EES18_EEDaS13_S14_EUlS13_E_NS1_11comp_targetILNS1_3genE2ELNS1_11target_archE906ELNS1_3gpuE6ELNS1_3repE0EEENS1_30default_config_static_selectorELNS0_4arch9wavefront6targetE0EEEvT1_
		.amdhsa_group_segment_fixed_size 0
		.amdhsa_private_segment_fixed_size 0
		.amdhsa_kernarg_size 128
		.amdhsa_user_sgpr_count 2
		.amdhsa_user_sgpr_dispatch_ptr 0
		.amdhsa_user_sgpr_queue_ptr 0
		.amdhsa_user_sgpr_kernarg_segment_ptr 1
		.amdhsa_user_sgpr_dispatch_id 0
		.amdhsa_user_sgpr_private_segment_size 0
		.amdhsa_wavefront_size32 1
		.amdhsa_uses_dynamic_stack 0
		.amdhsa_enable_private_segment 0
		.amdhsa_system_sgpr_workgroup_id_x 1
		.amdhsa_system_sgpr_workgroup_id_y 0
		.amdhsa_system_sgpr_workgroup_id_z 0
		.amdhsa_system_sgpr_workgroup_info 0
		.amdhsa_system_vgpr_workitem_id 0
		.amdhsa_next_free_vgpr 1
		.amdhsa_next_free_sgpr 1
		.amdhsa_reserve_vcc 0
		.amdhsa_float_round_mode_32 0
		.amdhsa_float_round_mode_16_64 0
		.amdhsa_float_denorm_mode_32 3
		.amdhsa_float_denorm_mode_16_64 3
		.amdhsa_fp16_overflow 0
		.amdhsa_workgroup_processor_mode 1
		.amdhsa_memory_ordered 1
		.amdhsa_forward_progress 1
		.amdhsa_inst_pref_size 0
		.amdhsa_round_robin_scheduling 0
		.amdhsa_exception_fp_ieee_invalid_op 0
		.amdhsa_exception_fp_denorm_src 0
		.amdhsa_exception_fp_ieee_div_zero 0
		.amdhsa_exception_fp_ieee_overflow 0
		.amdhsa_exception_fp_ieee_underflow 0
		.amdhsa_exception_fp_ieee_inexact 0
		.amdhsa_exception_int_div_zero 0
	.end_amdhsa_kernel
	.section	.text._ZN7rocprim17ROCPRIM_400000_NS6detail17trampoline_kernelINS0_14default_configENS1_25partition_config_selectorILNS1_17partition_subalgoE6EtNS0_10empty_typeEbEEZZNS1_14partition_implILS5_6ELb0ES3_mN6thrust23THRUST_200600_302600_NS6detail15normal_iteratorINSA_10device_ptrItEEEEPS6_SG_NS0_5tupleIJSF_S6_EEENSH_IJSG_SG_EEES6_PlJNSB_9not_fun_tI7is_evenItEEEEEE10hipError_tPvRmT3_T4_T5_T6_T7_T9_mT8_P12ihipStream_tbDpT10_ENKUlT_T0_E_clISt17integral_constantIbLb1EES18_EEDaS13_S14_EUlS13_E_NS1_11comp_targetILNS1_3genE2ELNS1_11target_archE906ELNS1_3gpuE6ELNS1_3repE0EEENS1_30default_config_static_selectorELNS0_4arch9wavefront6targetE0EEEvT1_,"axG",@progbits,_ZN7rocprim17ROCPRIM_400000_NS6detail17trampoline_kernelINS0_14default_configENS1_25partition_config_selectorILNS1_17partition_subalgoE6EtNS0_10empty_typeEbEEZZNS1_14partition_implILS5_6ELb0ES3_mN6thrust23THRUST_200600_302600_NS6detail15normal_iteratorINSA_10device_ptrItEEEEPS6_SG_NS0_5tupleIJSF_S6_EEENSH_IJSG_SG_EEES6_PlJNSB_9not_fun_tI7is_evenItEEEEEE10hipError_tPvRmT3_T4_T5_T6_T7_T9_mT8_P12ihipStream_tbDpT10_ENKUlT_T0_E_clISt17integral_constantIbLb1EES18_EEDaS13_S14_EUlS13_E_NS1_11comp_targetILNS1_3genE2ELNS1_11target_archE906ELNS1_3gpuE6ELNS1_3repE0EEENS1_30default_config_static_selectorELNS0_4arch9wavefront6targetE0EEEvT1_,comdat
.Lfunc_end673:
	.size	_ZN7rocprim17ROCPRIM_400000_NS6detail17trampoline_kernelINS0_14default_configENS1_25partition_config_selectorILNS1_17partition_subalgoE6EtNS0_10empty_typeEbEEZZNS1_14partition_implILS5_6ELb0ES3_mN6thrust23THRUST_200600_302600_NS6detail15normal_iteratorINSA_10device_ptrItEEEEPS6_SG_NS0_5tupleIJSF_S6_EEENSH_IJSG_SG_EEES6_PlJNSB_9not_fun_tI7is_evenItEEEEEE10hipError_tPvRmT3_T4_T5_T6_T7_T9_mT8_P12ihipStream_tbDpT10_ENKUlT_T0_E_clISt17integral_constantIbLb1EES18_EEDaS13_S14_EUlS13_E_NS1_11comp_targetILNS1_3genE2ELNS1_11target_archE906ELNS1_3gpuE6ELNS1_3repE0EEENS1_30default_config_static_selectorELNS0_4arch9wavefront6targetE0EEEvT1_, .Lfunc_end673-_ZN7rocprim17ROCPRIM_400000_NS6detail17trampoline_kernelINS0_14default_configENS1_25partition_config_selectorILNS1_17partition_subalgoE6EtNS0_10empty_typeEbEEZZNS1_14partition_implILS5_6ELb0ES3_mN6thrust23THRUST_200600_302600_NS6detail15normal_iteratorINSA_10device_ptrItEEEEPS6_SG_NS0_5tupleIJSF_S6_EEENSH_IJSG_SG_EEES6_PlJNSB_9not_fun_tI7is_evenItEEEEEE10hipError_tPvRmT3_T4_T5_T6_T7_T9_mT8_P12ihipStream_tbDpT10_ENKUlT_T0_E_clISt17integral_constantIbLb1EES18_EEDaS13_S14_EUlS13_E_NS1_11comp_targetILNS1_3genE2ELNS1_11target_archE906ELNS1_3gpuE6ELNS1_3repE0EEENS1_30default_config_static_selectorELNS0_4arch9wavefront6targetE0EEEvT1_
                                        ; -- End function
	.set _ZN7rocprim17ROCPRIM_400000_NS6detail17trampoline_kernelINS0_14default_configENS1_25partition_config_selectorILNS1_17partition_subalgoE6EtNS0_10empty_typeEbEEZZNS1_14partition_implILS5_6ELb0ES3_mN6thrust23THRUST_200600_302600_NS6detail15normal_iteratorINSA_10device_ptrItEEEEPS6_SG_NS0_5tupleIJSF_S6_EEENSH_IJSG_SG_EEES6_PlJNSB_9not_fun_tI7is_evenItEEEEEE10hipError_tPvRmT3_T4_T5_T6_T7_T9_mT8_P12ihipStream_tbDpT10_ENKUlT_T0_E_clISt17integral_constantIbLb1EES18_EEDaS13_S14_EUlS13_E_NS1_11comp_targetILNS1_3genE2ELNS1_11target_archE906ELNS1_3gpuE6ELNS1_3repE0EEENS1_30default_config_static_selectorELNS0_4arch9wavefront6targetE0EEEvT1_.num_vgpr, 0
	.set _ZN7rocprim17ROCPRIM_400000_NS6detail17trampoline_kernelINS0_14default_configENS1_25partition_config_selectorILNS1_17partition_subalgoE6EtNS0_10empty_typeEbEEZZNS1_14partition_implILS5_6ELb0ES3_mN6thrust23THRUST_200600_302600_NS6detail15normal_iteratorINSA_10device_ptrItEEEEPS6_SG_NS0_5tupleIJSF_S6_EEENSH_IJSG_SG_EEES6_PlJNSB_9not_fun_tI7is_evenItEEEEEE10hipError_tPvRmT3_T4_T5_T6_T7_T9_mT8_P12ihipStream_tbDpT10_ENKUlT_T0_E_clISt17integral_constantIbLb1EES18_EEDaS13_S14_EUlS13_E_NS1_11comp_targetILNS1_3genE2ELNS1_11target_archE906ELNS1_3gpuE6ELNS1_3repE0EEENS1_30default_config_static_selectorELNS0_4arch9wavefront6targetE0EEEvT1_.num_agpr, 0
	.set _ZN7rocprim17ROCPRIM_400000_NS6detail17trampoline_kernelINS0_14default_configENS1_25partition_config_selectorILNS1_17partition_subalgoE6EtNS0_10empty_typeEbEEZZNS1_14partition_implILS5_6ELb0ES3_mN6thrust23THRUST_200600_302600_NS6detail15normal_iteratorINSA_10device_ptrItEEEEPS6_SG_NS0_5tupleIJSF_S6_EEENSH_IJSG_SG_EEES6_PlJNSB_9not_fun_tI7is_evenItEEEEEE10hipError_tPvRmT3_T4_T5_T6_T7_T9_mT8_P12ihipStream_tbDpT10_ENKUlT_T0_E_clISt17integral_constantIbLb1EES18_EEDaS13_S14_EUlS13_E_NS1_11comp_targetILNS1_3genE2ELNS1_11target_archE906ELNS1_3gpuE6ELNS1_3repE0EEENS1_30default_config_static_selectorELNS0_4arch9wavefront6targetE0EEEvT1_.numbered_sgpr, 0
	.set _ZN7rocprim17ROCPRIM_400000_NS6detail17trampoline_kernelINS0_14default_configENS1_25partition_config_selectorILNS1_17partition_subalgoE6EtNS0_10empty_typeEbEEZZNS1_14partition_implILS5_6ELb0ES3_mN6thrust23THRUST_200600_302600_NS6detail15normal_iteratorINSA_10device_ptrItEEEEPS6_SG_NS0_5tupleIJSF_S6_EEENSH_IJSG_SG_EEES6_PlJNSB_9not_fun_tI7is_evenItEEEEEE10hipError_tPvRmT3_T4_T5_T6_T7_T9_mT8_P12ihipStream_tbDpT10_ENKUlT_T0_E_clISt17integral_constantIbLb1EES18_EEDaS13_S14_EUlS13_E_NS1_11comp_targetILNS1_3genE2ELNS1_11target_archE906ELNS1_3gpuE6ELNS1_3repE0EEENS1_30default_config_static_selectorELNS0_4arch9wavefront6targetE0EEEvT1_.num_named_barrier, 0
	.set _ZN7rocprim17ROCPRIM_400000_NS6detail17trampoline_kernelINS0_14default_configENS1_25partition_config_selectorILNS1_17partition_subalgoE6EtNS0_10empty_typeEbEEZZNS1_14partition_implILS5_6ELb0ES3_mN6thrust23THRUST_200600_302600_NS6detail15normal_iteratorINSA_10device_ptrItEEEEPS6_SG_NS0_5tupleIJSF_S6_EEENSH_IJSG_SG_EEES6_PlJNSB_9not_fun_tI7is_evenItEEEEEE10hipError_tPvRmT3_T4_T5_T6_T7_T9_mT8_P12ihipStream_tbDpT10_ENKUlT_T0_E_clISt17integral_constantIbLb1EES18_EEDaS13_S14_EUlS13_E_NS1_11comp_targetILNS1_3genE2ELNS1_11target_archE906ELNS1_3gpuE6ELNS1_3repE0EEENS1_30default_config_static_selectorELNS0_4arch9wavefront6targetE0EEEvT1_.private_seg_size, 0
	.set _ZN7rocprim17ROCPRIM_400000_NS6detail17trampoline_kernelINS0_14default_configENS1_25partition_config_selectorILNS1_17partition_subalgoE6EtNS0_10empty_typeEbEEZZNS1_14partition_implILS5_6ELb0ES3_mN6thrust23THRUST_200600_302600_NS6detail15normal_iteratorINSA_10device_ptrItEEEEPS6_SG_NS0_5tupleIJSF_S6_EEENSH_IJSG_SG_EEES6_PlJNSB_9not_fun_tI7is_evenItEEEEEE10hipError_tPvRmT3_T4_T5_T6_T7_T9_mT8_P12ihipStream_tbDpT10_ENKUlT_T0_E_clISt17integral_constantIbLb1EES18_EEDaS13_S14_EUlS13_E_NS1_11comp_targetILNS1_3genE2ELNS1_11target_archE906ELNS1_3gpuE6ELNS1_3repE0EEENS1_30default_config_static_selectorELNS0_4arch9wavefront6targetE0EEEvT1_.uses_vcc, 0
	.set _ZN7rocprim17ROCPRIM_400000_NS6detail17trampoline_kernelINS0_14default_configENS1_25partition_config_selectorILNS1_17partition_subalgoE6EtNS0_10empty_typeEbEEZZNS1_14partition_implILS5_6ELb0ES3_mN6thrust23THRUST_200600_302600_NS6detail15normal_iteratorINSA_10device_ptrItEEEEPS6_SG_NS0_5tupleIJSF_S6_EEENSH_IJSG_SG_EEES6_PlJNSB_9not_fun_tI7is_evenItEEEEEE10hipError_tPvRmT3_T4_T5_T6_T7_T9_mT8_P12ihipStream_tbDpT10_ENKUlT_T0_E_clISt17integral_constantIbLb1EES18_EEDaS13_S14_EUlS13_E_NS1_11comp_targetILNS1_3genE2ELNS1_11target_archE906ELNS1_3gpuE6ELNS1_3repE0EEENS1_30default_config_static_selectorELNS0_4arch9wavefront6targetE0EEEvT1_.uses_flat_scratch, 0
	.set _ZN7rocprim17ROCPRIM_400000_NS6detail17trampoline_kernelINS0_14default_configENS1_25partition_config_selectorILNS1_17partition_subalgoE6EtNS0_10empty_typeEbEEZZNS1_14partition_implILS5_6ELb0ES3_mN6thrust23THRUST_200600_302600_NS6detail15normal_iteratorINSA_10device_ptrItEEEEPS6_SG_NS0_5tupleIJSF_S6_EEENSH_IJSG_SG_EEES6_PlJNSB_9not_fun_tI7is_evenItEEEEEE10hipError_tPvRmT3_T4_T5_T6_T7_T9_mT8_P12ihipStream_tbDpT10_ENKUlT_T0_E_clISt17integral_constantIbLb1EES18_EEDaS13_S14_EUlS13_E_NS1_11comp_targetILNS1_3genE2ELNS1_11target_archE906ELNS1_3gpuE6ELNS1_3repE0EEENS1_30default_config_static_selectorELNS0_4arch9wavefront6targetE0EEEvT1_.has_dyn_sized_stack, 0
	.set _ZN7rocprim17ROCPRIM_400000_NS6detail17trampoline_kernelINS0_14default_configENS1_25partition_config_selectorILNS1_17partition_subalgoE6EtNS0_10empty_typeEbEEZZNS1_14partition_implILS5_6ELb0ES3_mN6thrust23THRUST_200600_302600_NS6detail15normal_iteratorINSA_10device_ptrItEEEEPS6_SG_NS0_5tupleIJSF_S6_EEENSH_IJSG_SG_EEES6_PlJNSB_9not_fun_tI7is_evenItEEEEEE10hipError_tPvRmT3_T4_T5_T6_T7_T9_mT8_P12ihipStream_tbDpT10_ENKUlT_T0_E_clISt17integral_constantIbLb1EES18_EEDaS13_S14_EUlS13_E_NS1_11comp_targetILNS1_3genE2ELNS1_11target_archE906ELNS1_3gpuE6ELNS1_3repE0EEENS1_30default_config_static_selectorELNS0_4arch9wavefront6targetE0EEEvT1_.has_recursion, 0
	.set _ZN7rocprim17ROCPRIM_400000_NS6detail17trampoline_kernelINS0_14default_configENS1_25partition_config_selectorILNS1_17partition_subalgoE6EtNS0_10empty_typeEbEEZZNS1_14partition_implILS5_6ELb0ES3_mN6thrust23THRUST_200600_302600_NS6detail15normal_iteratorINSA_10device_ptrItEEEEPS6_SG_NS0_5tupleIJSF_S6_EEENSH_IJSG_SG_EEES6_PlJNSB_9not_fun_tI7is_evenItEEEEEE10hipError_tPvRmT3_T4_T5_T6_T7_T9_mT8_P12ihipStream_tbDpT10_ENKUlT_T0_E_clISt17integral_constantIbLb1EES18_EEDaS13_S14_EUlS13_E_NS1_11comp_targetILNS1_3genE2ELNS1_11target_archE906ELNS1_3gpuE6ELNS1_3repE0EEENS1_30default_config_static_selectorELNS0_4arch9wavefront6targetE0EEEvT1_.has_indirect_call, 0
	.section	.AMDGPU.csdata,"",@progbits
; Kernel info:
; codeLenInByte = 0
; TotalNumSgprs: 0
; NumVgprs: 0
; ScratchSize: 0
; MemoryBound: 0
; FloatMode: 240
; IeeeMode: 1
; LDSByteSize: 0 bytes/workgroup (compile time only)
; SGPRBlocks: 0
; VGPRBlocks: 0
; NumSGPRsForWavesPerEU: 1
; NumVGPRsForWavesPerEU: 1
; Occupancy: 16
; WaveLimiterHint : 0
; COMPUTE_PGM_RSRC2:SCRATCH_EN: 0
; COMPUTE_PGM_RSRC2:USER_SGPR: 2
; COMPUTE_PGM_RSRC2:TRAP_HANDLER: 0
; COMPUTE_PGM_RSRC2:TGID_X_EN: 1
; COMPUTE_PGM_RSRC2:TGID_Y_EN: 0
; COMPUTE_PGM_RSRC2:TGID_Z_EN: 0
; COMPUTE_PGM_RSRC2:TIDIG_COMP_CNT: 0
	.section	.text._ZN7rocprim17ROCPRIM_400000_NS6detail17trampoline_kernelINS0_14default_configENS1_25partition_config_selectorILNS1_17partition_subalgoE6EtNS0_10empty_typeEbEEZZNS1_14partition_implILS5_6ELb0ES3_mN6thrust23THRUST_200600_302600_NS6detail15normal_iteratorINSA_10device_ptrItEEEEPS6_SG_NS0_5tupleIJSF_S6_EEENSH_IJSG_SG_EEES6_PlJNSB_9not_fun_tI7is_evenItEEEEEE10hipError_tPvRmT3_T4_T5_T6_T7_T9_mT8_P12ihipStream_tbDpT10_ENKUlT_T0_E_clISt17integral_constantIbLb1EES18_EEDaS13_S14_EUlS13_E_NS1_11comp_targetILNS1_3genE10ELNS1_11target_archE1200ELNS1_3gpuE4ELNS1_3repE0EEENS1_30default_config_static_selectorELNS0_4arch9wavefront6targetE0EEEvT1_,"axG",@progbits,_ZN7rocprim17ROCPRIM_400000_NS6detail17trampoline_kernelINS0_14default_configENS1_25partition_config_selectorILNS1_17partition_subalgoE6EtNS0_10empty_typeEbEEZZNS1_14partition_implILS5_6ELb0ES3_mN6thrust23THRUST_200600_302600_NS6detail15normal_iteratorINSA_10device_ptrItEEEEPS6_SG_NS0_5tupleIJSF_S6_EEENSH_IJSG_SG_EEES6_PlJNSB_9not_fun_tI7is_evenItEEEEEE10hipError_tPvRmT3_T4_T5_T6_T7_T9_mT8_P12ihipStream_tbDpT10_ENKUlT_T0_E_clISt17integral_constantIbLb1EES18_EEDaS13_S14_EUlS13_E_NS1_11comp_targetILNS1_3genE10ELNS1_11target_archE1200ELNS1_3gpuE4ELNS1_3repE0EEENS1_30default_config_static_selectorELNS0_4arch9wavefront6targetE0EEEvT1_,comdat
	.protected	_ZN7rocprim17ROCPRIM_400000_NS6detail17trampoline_kernelINS0_14default_configENS1_25partition_config_selectorILNS1_17partition_subalgoE6EtNS0_10empty_typeEbEEZZNS1_14partition_implILS5_6ELb0ES3_mN6thrust23THRUST_200600_302600_NS6detail15normal_iteratorINSA_10device_ptrItEEEEPS6_SG_NS0_5tupleIJSF_S6_EEENSH_IJSG_SG_EEES6_PlJNSB_9not_fun_tI7is_evenItEEEEEE10hipError_tPvRmT3_T4_T5_T6_T7_T9_mT8_P12ihipStream_tbDpT10_ENKUlT_T0_E_clISt17integral_constantIbLb1EES18_EEDaS13_S14_EUlS13_E_NS1_11comp_targetILNS1_3genE10ELNS1_11target_archE1200ELNS1_3gpuE4ELNS1_3repE0EEENS1_30default_config_static_selectorELNS0_4arch9wavefront6targetE0EEEvT1_ ; -- Begin function _ZN7rocprim17ROCPRIM_400000_NS6detail17trampoline_kernelINS0_14default_configENS1_25partition_config_selectorILNS1_17partition_subalgoE6EtNS0_10empty_typeEbEEZZNS1_14partition_implILS5_6ELb0ES3_mN6thrust23THRUST_200600_302600_NS6detail15normal_iteratorINSA_10device_ptrItEEEEPS6_SG_NS0_5tupleIJSF_S6_EEENSH_IJSG_SG_EEES6_PlJNSB_9not_fun_tI7is_evenItEEEEEE10hipError_tPvRmT3_T4_T5_T6_T7_T9_mT8_P12ihipStream_tbDpT10_ENKUlT_T0_E_clISt17integral_constantIbLb1EES18_EEDaS13_S14_EUlS13_E_NS1_11comp_targetILNS1_3genE10ELNS1_11target_archE1200ELNS1_3gpuE4ELNS1_3repE0EEENS1_30default_config_static_selectorELNS0_4arch9wavefront6targetE0EEEvT1_
	.globl	_ZN7rocprim17ROCPRIM_400000_NS6detail17trampoline_kernelINS0_14default_configENS1_25partition_config_selectorILNS1_17partition_subalgoE6EtNS0_10empty_typeEbEEZZNS1_14partition_implILS5_6ELb0ES3_mN6thrust23THRUST_200600_302600_NS6detail15normal_iteratorINSA_10device_ptrItEEEEPS6_SG_NS0_5tupleIJSF_S6_EEENSH_IJSG_SG_EEES6_PlJNSB_9not_fun_tI7is_evenItEEEEEE10hipError_tPvRmT3_T4_T5_T6_T7_T9_mT8_P12ihipStream_tbDpT10_ENKUlT_T0_E_clISt17integral_constantIbLb1EES18_EEDaS13_S14_EUlS13_E_NS1_11comp_targetILNS1_3genE10ELNS1_11target_archE1200ELNS1_3gpuE4ELNS1_3repE0EEENS1_30default_config_static_selectorELNS0_4arch9wavefront6targetE0EEEvT1_
	.p2align	8
	.type	_ZN7rocprim17ROCPRIM_400000_NS6detail17trampoline_kernelINS0_14default_configENS1_25partition_config_selectorILNS1_17partition_subalgoE6EtNS0_10empty_typeEbEEZZNS1_14partition_implILS5_6ELb0ES3_mN6thrust23THRUST_200600_302600_NS6detail15normal_iteratorINSA_10device_ptrItEEEEPS6_SG_NS0_5tupleIJSF_S6_EEENSH_IJSG_SG_EEES6_PlJNSB_9not_fun_tI7is_evenItEEEEEE10hipError_tPvRmT3_T4_T5_T6_T7_T9_mT8_P12ihipStream_tbDpT10_ENKUlT_T0_E_clISt17integral_constantIbLb1EES18_EEDaS13_S14_EUlS13_E_NS1_11comp_targetILNS1_3genE10ELNS1_11target_archE1200ELNS1_3gpuE4ELNS1_3repE0EEENS1_30default_config_static_selectorELNS0_4arch9wavefront6targetE0EEEvT1_,@function
_ZN7rocprim17ROCPRIM_400000_NS6detail17trampoline_kernelINS0_14default_configENS1_25partition_config_selectorILNS1_17partition_subalgoE6EtNS0_10empty_typeEbEEZZNS1_14partition_implILS5_6ELb0ES3_mN6thrust23THRUST_200600_302600_NS6detail15normal_iteratorINSA_10device_ptrItEEEEPS6_SG_NS0_5tupleIJSF_S6_EEENSH_IJSG_SG_EEES6_PlJNSB_9not_fun_tI7is_evenItEEEEEE10hipError_tPvRmT3_T4_T5_T6_T7_T9_mT8_P12ihipStream_tbDpT10_ENKUlT_T0_E_clISt17integral_constantIbLb1EES18_EEDaS13_S14_EUlS13_E_NS1_11comp_targetILNS1_3genE10ELNS1_11target_archE1200ELNS1_3gpuE4ELNS1_3repE0EEENS1_30default_config_static_selectorELNS0_4arch9wavefront6targetE0EEEvT1_: ; @_ZN7rocprim17ROCPRIM_400000_NS6detail17trampoline_kernelINS0_14default_configENS1_25partition_config_selectorILNS1_17partition_subalgoE6EtNS0_10empty_typeEbEEZZNS1_14partition_implILS5_6ELb0ES3_mN6thrust23THRUST_200600_302600_NS6detail15normal_iteratorINSA_10device_ptrItEEEEPS6_SG_NS0_5tupleIJSF_S6_EEENSH_IJSG_SG_EEES6_PlJNSB_9not_fun_tI7is_evenItEEEEEE10hipError_tPvRmT3_T4_T5_T6_T7_T9_mT8_P12ihipStream_tbDpT10_ENKUlT_T0_E_clISt17integral_constantIbLb1EES18_EEDaS13_S14_EUlS13_E_NS1_11comp_targetILNS1_3genE10ELNS1_11target_archE1200ELNS1_3gpuE4ELNS1_3repE0EEENS1_30default_config_static_selectorELNS0_4arch9wavefront6targetE0EEEvT1_
; %bb.0:
	s_endpgm
	.section	.rodata,"a",@progbits
	.p2align	6, 0x0
	.amdhsa_kernel _ZN7rocprim17ROCPRIM_400000_NS6detail17trampoline_kernelINS0_14default_configENS1_25partition_config_selectorILNS1_17partition_subalgoE6EtNS0_10empty_typeEbEEZZNS1_14partition_implILS5_6ELb0ES3_mN6thrust23THRUST_200600_302600_NS6detail15normal_iteratorINSA_10device_ptrItEEEEPS6_SG_NS0_5tupleIJSF_S6_EEENSH_IJSG_SG_EEES6_PlJNSB_9not_fun_tI7is_evenItEEEEEE10hipError_tPvRmT3_T4_T5_T6_T7_T9_mT8_P12ihipStream_tbDpT10_ENKUlT_T0_E_clISt17integral_constantIbLb1EES18_EEDaS13_S14_EUlS13_E_NS1_11comp_targetILNS1_3genE10ELNS1_11target_archE1200ELNS1_3gpuE4ELNS1_3repE0EEENS1_30default_config_static_selectorELNS0_4arch9wavefront6targetE0EEEvT1_
		.amdhsa_group_segment_fixed_size 0
		.amdhsa_private_segment_fixed_size 0
		.amdhsa_kernarg_size 128
		.amdhsa_user_sgpr_count 2
		.amdhsa_user_sgpr_dispatch_ptr 0
		.amdhsa_user_sgpr_queue_ptr 0
		.amdhsa_user_sgpr_kernarg_segment_ptr 1
		.amdhsa_user_sgpr_dispatch_id 0
		.amdhsa_user_sgpr_private_segment_size 0
		.amdhsa_wavefront_size32 1
		.amdhsa_uses_dynamic_stack 0
		.amdhsa_enable_private_segment 0
		.amdhsa_system_sgpr_workgroup_id_x 1
		.amdhsa_system_sgpr_workgroup_id_y 0
		.amdhsa_system_sgpr_workgroup_id_z 0
		.amdhsa_system_sgpr_workgroup_info 0
		.amdhsa_system_vgpr_workitem_id 0
		.amdhsa_next_free_vgpr 1
		.amdhsa_next_free_sgpr 1
		.amdhsa_reserve_vcc 0
		.amdhsa_float_round_mode_32 0
		.amdhsa_float_round_mode_16_64 0
		.amdhsa_float_denorm_mode_32 3
		.amdhsa_float_denorm_mode_16_64 3
		.amdhsa_fp16_overflow 0
		.amdhsa_workgroup_processor_mode 1
		.amdhsa_memory_ordered 1
		.amdhsa_forward_progress 1
		.amdhsa_inst_pref_size 1
		.amdhsa_round_robin_scheduling 0
		.amdhsa_exception_fp_ieee_invalid_op 0
		.amdhsa_exception_fp_denorm_src 0
		.amdhsa_exception_fp_ieee_div_zero 0
		.amdhsa_exception_fp_ieee_overflow 0
		.amdhsa_exception_fp_ieee_underflow 0
		.amdhsa_exception_fp_ieee_inexact 0
		.amdhsa_exception_int_div_zero 0
	.end_amdhsa_kernel
	.section	.text._ZN7rocprim17ROCPRIM_400000_NS6detail17trampoline_kernelINS0_14default_configENS1_25partition_config_selectorILNS1_17partition_subalgoE6EtNS0_10empty_typeEbEEZZNS1_14partition_implILS5_6ELb0ES3_mN6thrust23THRUST_200600_302600_NS6detail15normal_iteratorINSA_10device_ptrItEEEEPS6_SG_NS0_5tupleIJSF_S6_EEENSH_IJSG_SG_EEES6_PlJNSB_9not_fun_tI7is_evenItEEEEEE10hipError_tPvRmT3_T4_T5_T6_T7_T9_mT8_P12ihipStream_tbDpT10_ENKUlT_T0_E_clISt17integral_constantIbLb1EES18_EEDaS13_S14_EUlS13_E_NS1_11comp_targetILNS1_3genE10ELNS1_11target_archE1200ELNS1_3gpuE4ELNS1_3repE0EEENS1_30default_config_static_selectorELNS0_4arch9wavefront6targetE0EEEvT1_,"axG",@progbits,_ZN7rocprim17ROCPRIM_400000_NS6detail17trampoline_kernelINS0_14default_configENS1_25partition_config_selectorILNS1_17partition_subalgoE6EtNS0_10empty_typeEbEEZZNS1_14partition_implILS5_6ELb0ES3_mN6thrust23THRUST_200600_302600_NS6detail15normal_iteratorINSA_10device_ptrItEEEEPS6_SG_NS0_5tupleIJSF_S6_EEENSH_IJSG_SG_EEES6_PlJNSB_9not_fun_tI7is_evenItEEEEEE10hipError_tPvRmT3_T4_T5_T6_T7_T9_mT8_P12ihipStream_tbDpT10_ENKUlT_T0_E_clISt17integral_constantIbLb1EES18_EEDaS13_S14_EUlS13_E_NS1_11comp_targetILNS1_3genE10ELNS1_11target_archE1200ELNS1_3gpuE4ELNS1_3repE0EEENS1_30default_config_static_selectorELNS0_4arch9wavefront6targetE0EEEvT1_,comdat
.Lfunc_end674:
	.size	_ZN7rocprim17ROCPRIM_400000_NS6detail17trampoline_kernelINS0_14default_configENS1_25partition_config_selectorILNS1_17partition_subalgoE6EtNS0_10empty_typeEbEEZZNS1_14partition_implILS5_6ELb0ES3_mN6thrust23THRUST_200600_302600_NS6detail15normal_iteratorINSA_10device_ptrItEEEEPS6_SG_NS0_5tupleIJSF_S6_EEENSH_IJSG_SG_EEES6_PlJNSB_9not_fun_tI7is_evenItEEEEEE10hipError_tPvRmT3_T4_T5_T6_T7_T9_mT8_P12ihipStream_tbDpT10_ENKUlT_T0_E_clISt17integral_constantIbLb1EES18_EEDaS13_S14_EUlS13_E_NS1_11comp_targetILNS1_3genE10ELNS1_11target_archE1200ELNS1_3gpuE4ELNS1_3repE0EEENS1_30default_config_static_selectorELNS0_4arch9wavefront6targetE0EEEvT1_, .Lfunc_end674-_ZN7rocprim17ROCPRIM_400000_NS6detail17trampoline_kernelINS0_14default_configENS1_25partition_config_selectorILNS1_17partition_subalgoE6EtNS0_10empty_typeEbEEZZNS1_14partition_implILS5_6ELb0ES3_mN6thrust23THRUST_200600_302600_NS6detail15normal_iteratorINSA_10device_ptrItEEEEPS6_SG_NS0_5tupleIJSF_S6_EEENSH_IJSG_SG_EEES6_PlJNSB_9not_fun_tI7is_evenItEEEEEE10hipError_tPvRmT3_T4_T5_T6_T7_T9_mT8_P12ihipStream_tbDpT10_ENKUlT_T0_E_clISt17integral_constantIbLb1EES18_EEDaS13_S14_EUlS13_E_NS1_11comp_targetILNS1_3genE10ELNS1_11target_archE1200ELNS1_3gpuE4ELNS1_3repE0EEENS1_30default_config_static_selectorELNS0_4arch9wavefront6targetE0EEEvT1_
                                        ; -- End function
	.set _ZN7rocprim17ROCPRIM_400000_NS6detail17trampoline_kernelINS0_14default_configENS1_25partition_config_selectorILNS1_17partition_subalgoE6EtNS0_10empty_typeEbEEZZNS1_14partition_implILS5_6ELb0ES3_mN6thrust23THRUST_200600_302600_NS6detail15normal_iteratorINSA_10device_ptrItEEEEPS6_SG_NS0_5tupleIJSF_S6_EEENSH_IJSG_SG_EEES6_PlJNSB_9not_fun_tI7is_evenItEEEEEE10hipError_tPvRmT3_T4_T5_T6_T7_T9_mT8_P12ihipStream_tbDpT10_ENKUlT_T0_E_clISt17integral_constantIbLb1EES18_EEDaS13_S14_EUlS13_E_NS1_11comp_targetILNS1_3genE10ELNS1_11target_archE1200ELNS1_3gpuE4ELNS1_3repE0EEENS1_30default_config_static_selectorELNS0_4arch9wavefront6targetE0EEEvT1_.num_vgpr, 0
	.set _ZN7rocprim17ROCPRIM_400000_NS6detail17trampoline_kernelINS0_14default_configENS1_25partition_config_selectorILNS1_17partition_subalgoE6EtNS0_10empty_typeEbEEZZNS1_14partition_implILS5_6ELb0ES3_mN6thrust23THRUST_200600_302600_NS6detail15normal_iteratorINSA_10device_ptrItEEEEPS6_SG_NS0_5tupleIJSF_S6_EEENSH_IJSG_SG_EEES6_PlJNSB_9not_fun_tI7is_evenItEEEEEE10hipError_tPvRmT3_T4_T5_T6_T7_T9_mT8_P12ihipStream_tbDpT10_ENKUlT_T0_E_clISt17integral_constantIbLb1EES18_EEDaS13_S14_EUlS13_E_NS1_11comp_targetILNS1_3genE10ELNS1_11target_archE1200ELNS1_3gpuE4ELNS1_3repE0EEENS1_30default_config_static_selectorELNS0_4arch9wavefront6targetE0EEEvT1_.num_agpr, 0
	.set _ZN7rocprim17ROCPRIM_400000_NS6detail17trampoline_kernelINS0_14default_configENS1_25partition_config_selectorILNS1_17partition_subalgoE6EtNS0_10empty_typeEbEEZZNS1_14partition_implILS5_6ELb0ES3_mN6thrust23THRUST_200600_302600_NS6detail15normal_iteratorINSA_10device_ptrItEEEEPS6_SG_NS0_5tupleIJSF_S6_EEENSH_IJSG_SG_EEES6_PlJNSB_9not_fun_tI7is_evenItEEEEEE10hipError_tPvRmT3_T4_T5_T6_T7_T9_mT8_P12ihipStream_tbDpT10_ENKUlT_T0_E_clISt17integral_constantIbLb1EES18_EEDaS13_S14_EUlS13_E_NS1_11comp_targetILNS1_3genE10ELNS1_11target_archE1200ELNS1_3gpuE4ELNS1_3repE0EEENS1_30default_config_static_selectorELNS0_4arch9wavefront6targetE0EEEvT1_.numbered_sgpr, 0
	.set _ZN7rocprim17ROCPRIM_400000_NS6detail17trampoline_kernelINS0_14default_configENS1_25partition_config_selectorILNS1_17partition_subalgoE6EtNS0_10empty_typeEbEEZZNS1_14partition_implILS5_6ELb0ES3_mN6thrust23THRUST_200600_302600_NS6detail15normal_iteratorINSA_10device_ptrItEEEEPS6_SG_NS0_5tupleIJSF_S6_EEENSH_IJSG_SG_EEES6_PlJNSB_9not_fun_tI7is_evenItEEEEEE10hipError_tPvRmT3_T4_T5_T6_T7_T9_mT8_P12ihipStream_tbDpT10_ENKUlT_T0_E_clISt17integral_constantIbLb1EES18_EEDaS13_S14_EUlS13_E_NS1_11comp_targetILNS1_3genE10ELNS1_11target_archE1200ELNS1_3gpuE4ELNS1_3repE0EEENS1_30default_config_static_selectorELNS0_4arch9wavefront6targetE0EEEvT1_.num_named_barrier, 0
	.set _ZN7rocprim17ROCPRIM_400000_NS6detail17trampoline_kernelINS0_14default_configENS1_25partition_config_selectorILNS1_17partition_subalgoE6EtNS0_10empty_typeEbEEZZNS1_14partition_implILS5_6ELb0ES3_mN6thrust23THRUST_200600_302600_NS6detail15normal_iteratorINSA_10device_ptrItEEEEPS6_SG_NS0_5tupleIJSF_S6_EEENSH_IJSG_SG_EEES6_PlJNSB_9not_fun_tI7is_evenItEEEEEE10hipError_tPvRmT3_T4_T5_T6_T7_T9_mT8_P12ihipStream_tbDpT10_ENKUlT_T0_E_clISt17integral_constantIbLb1EES18_EEDaS13_S14_EUlS13_E_NS1_11comp_targetILNS1_3genE10ELNS1_11target_archE1200ELNS1_3gpuE4ELNS1_3repE0EEENS1_30default_config_static_selectorELNS0_4arch9wavefront6targetE0EEEvT1_.private_seg_size, 0
	.set _ZN7rocprim17ROCPRIM_400000_NS6detail17trampoline_kernelINS0_14default_configENS1_25partition_config_selectorILNS1_17partition_subalgoE6EtNS0_10empty_typeEbEEZZNS1_14partition_implILS5_6ELb0ES3_mN6thrust23THRUST_200600_302600_NS6detail15normal_iteratorINSA_10device_ptrItEEEEPS6_SG_NS0_5tupleIJSF_S6_EEENSH_IJSG_SG_EEES6_PlJNSB_9not_fun_tI7is_evenItEEEEEE10hipError_tPvRmT3_T4_T5_T6_T7_T9_mT8_P12ihipStream_tbDpT10_ENKUlT_T0_E_clISt17integral_constantIbLb1EES18_EEDaS13_S14_EUlS13_E_NS1_11comp_targetILNS1_3genE10ELNS1_11target_archE1200ELNS1_3gpuE4ELNS1_3repE0EEENS1_30default_config_static_selectorELNS0_4arch9wavefront6targetE0EEEvT1_.uses_vcc, 0
	.set _ZN7rocprim17ROCPRIM_400000_NS6detail17trampoline_kernelINS0_14default_configENS1_25partition_config_selectorILNS1_17partition_subalgoE6EtNS0_10empty_typeEbEEZZNS1_14partition_implILS5_6ELb0ES3_mN6thrust23THRUST_200600_302600_NS6detail15normal_iteratorINSA_10device_ptrItEEEEPS6_SG_NS0_5tupleIJSF_S6_EEENSH_IJSG_SG_EEES6_PlJNSB_9not_fun_tI7is_evenItEEEEEE10hipError_tPvRmT3_T4_T5_T6_T7_T9_mT8_P12ihipStream_tbDpT10_ENKUlT_T0_E_clISt17integral_constantIbLb1EES18_EEDaS13_S14_EUlS13_E_NS1_11comp_targetILNS1_3genE10ELNS1_11target_archE1200ELNS1_3gpuE4ELNS1_3repE0EEENS1_30default_config_static_selectorELNS0_4arch9wavefront6targetE0EEEvT1_.uses_flat_scratch, 0
	.set _ZN7rocprim17ROCPRIM_400000_NS6detail17trampoline_kernelINS0_14default_configENS1_25partition_config_selectorILNS1_17partition_subalgoE6EtNS0_10empty_typeEbEEZZNS1_14partition_implILS5_6ELb0ES3_mN6thrust23THRUST_200600_302600_NS6detail15normal_iteratorINSA_10device_ptrItEEEEPS6_SG_NS0_5tupleIJSF_S6_EEENSH_IJSG_SG_EEES6_PlJNSB_9not_fun_tI7is_evenItEEEEEE10hipError_tPvRmT3_T4_T5_T6_T7_T9_mT8_P12ihipStream_tbDpT10_ENKUlT_T0_E_clISt17integral_constantIbLb1EES18_EEDaS13_S14_EUlS13_E_NS1_11comp_targetILNS1_3genE10ELNS1_11target_archE1200ELNS1_3gpuE4ELNS1_3repE0EEENS1_30default_config_static_selectorELNS0_4arch9wavefront6targetE0EEEvT1_.has_dyn_sized_stack, 0
	.set _ZN7rocprim17ROCPRIM_400000_NS6detail17trampoline_kernelINS0_14default_configENS1_25partition_config_selectorILNS1_17partition_subalgoE6EtNS0_10empty_typeEbEEZZNS1_14partition_implILS5_6ELb0ES3_mN6thrust23THRUST_200600_302600_NS6detail15normal_iteratorINSA_10device_ptrItEEEEPS6_SG_NS0_5tupleIJSF_S6_EEENSH_IJSG_SG_EEES6_PlJNSB_9not_fun_tI7is_evenItEEEEEE10hipError_tPvRmT3_T4_T5_T6_T7_T9_mT8_P12ihipStream_tbDpT10_ENKUlT_T0_E_clISt17integral_constantIbLb1EES18_EEDaS13_S14_EUlS13_E_NS1_11comp_targetILNS1_3genE10ELNS1_11target_archE1200ELNS1_3gpuE4ELNS1_3repE0EEENS1_30default_config_static_selectorELNS0_4arch9wavefront6targetE0EEEvT1_.has_recursion, 0
	.set _ZN7rocprim17ROCPRIM_400000_NS6detail17trampoline_kernelINS0_14default_configENS1_25partition_config_selectorILNS1_17partition_subalgoE6EtNS0_10empty_typeEbEEZZNS1_14partition_implILS5_6ELb0ES3_mN6thrust23THRUST_200600_302600_NS6detail15normal_iteratorINSA_10device_ptrItEEEEPS6_SG_NS0_5tupleIJSF_S6_EEENSH_IJSG_SG_EEES6_PlJNSB_9not_fun_tI7is_evenItEEEEEE10hipError_tPvRmT3_T4_T5_T6_T7_T9_mT8_P12ihipStream_tbDpT10_ENKUlT_T0_E_clISt17integral_constantIbLb1EES18_EEDaS13_S14_EUlS13_E_NS1_11comp_targetILNS1_3genE10ELNS1_11target_archE1200ELNS1_3gpuE4ELNS1_3repE0EEENS1_30default_config_static_selectorELNS0_4arch9wavefront6targetE0EEEvT1_.has_indirect_call, 0
	.section	.AMDGPU.csdata,"",@progbits
; Kernel info:
; codeLenInByte = 4
; TotalNumSgprs: 0
; NumVgprs: 0
; ScratchSize: 0
; MemoryBound: 0
; FloatMode: 240
; IeeeMode: 1
; LDSByteSize: 0 bytes/workgroup (compile time only)
; SGPRBlocks: 0
; VGPRBlocks: 0
; NumSGPRsForWavesPerEU: 1
; NumVGPRsForWavesPerEU: 1
; Occupancy: 16
; WaveLimiterHint : 0
; COMPUTE_PGM_RSRC2:SCRATCH_EN: 0
; COMPUTE_PGM_RSRC2:USER_SGPR: 2
; COMPUTE_PGM_RSRC2:TRAP_HANDLER: 0
; COMPUTE_PGM_RSRC2:TGID_X_EN: 1
; COMPUTE_PGM_RSRC2:TGID_Y_EN: 0
; COMPUTE_PGM_RSRC2:TGID_Z_EN: 0
; COMPUTE_PGM_RSRC2:TIDIG_COMP_CNT: 0
	.section	.text._ZN7rocprim17ROCPRIM_400000_NS6detail17trampoline_kernelINS0_14default_configENS1_25partition_config_selectorILNS1_17partition_subalgoE6EtNS0_10empty_typeEbEEZZNS1_14partition_implILS5_6ELb0ES3_mN6thrust23THRUST_200600_302600_NS6detail15normal_iteratorINSA_10device_ptrItEEEEPS6_SG_NS0_5tupleIJSF_S6_EEENSH_IJSG_SG_EEES6_PlJNSB_9not_fun_tI7is_evenItEEEEEE10hipError_tPvRmT3_T4_T5_T6_T7_T9_mT8_P12ihipStream_tbDpT10_ENKUlT_T0_E_clISt17integral_constantIbLb1EES18_EEDaS13_S14_EUlS13_E_NS1_11comp_targetILNS1_3genE9ELNS1_11target_archE1100ELNS1_3gpuE3ELNS1_3repE0EEENS1_30default_config_static_selectorELNS0_4arch9wavefront6targetE0EEEvT1_,"axG",@progbits,_ZN7rocprim17ROCPRIM_400000_NS6detail17trampoline_kernelINS0_14default_configENS1_25partition_config_selectorILNS1_17partition_subalgoE6EtNS0_10empty_typeEbEEZZNS1_14partition_implILS5_6ELb0ES3_mN6thrust23THRUST_200600_302600_NS6detail15normal_iteratorINSA_10device_ptrItEEEEPS6_SG_NS0_5tupleIJSF_S6_EEENSH_IJSG_SG_EEES6_PlJNSB_9not_fun_tI7is_evenItEEEEEE10hipError_tPvRmT3_T4_T5_T6_T7_T9_mT8_P12ihipStream_tbDpT10_ENKUlT_T0_E_clISt17integral_constantIbLb1EES18_EEDaS13_S14_EUlS13_E_NS1_11comp_targetILNS1_3genE9ELNS1_11target_archE1100ELNS1_3gpuE3ELNS1_3repE0EEENS1_30default_config_static_selectorELNS0_4arch9wavefront6targetE0EEEvT1_,comdat
	.protected	_ZN7rocprim17ROCPRIM_400000_NS6detail17trampoline_kernelINS0_14default_configENS1_25partition_config_selectorILNS1_17partition_subalgoE6EtNS0_10empty_typeEbEEZZNS1_14partition_implILS5_6ELb0ES3_mN6thrust23THRUST_200600_302600_NS6detail15normal_iteratorINSA_10device_ptrItEEEEPS6_SG_NS0_5tupleIJSF_S6_EEENSH_IJSG_SG_EEES6_PlJNSB_9not_fun_tI7is_evenItEEEEEE10hipError_tPvRmT3_T4_T5_T6_T7_T9_mT8_P12ihipStream_tbDpT10_ENKUlT_T0_E_clISt17integral_constantIbLb1EES18_EEDaS13_S14_EUlS13_E_NS1_11comp_targetILNS1_3genE9ELNS1_11target_archE1100ELNS1_3gpuE3ELNS1_3repE0EEENS1_30default_config_static_selectorELNS0_4arch9wavefront6targetE0EEEvT1_ ; -- Begin function _ZN7rocprim17ROCPRIM_400000_NS6detail17trampoline_kernelINS0_14default_configENS1_25partition_config_selectorILNS1_17partition_subalgoE6EtNS0_10empty_typeEbEEZZNS1_14partition_implILS5_6ELb0ES3_mN6thrust23THRUST_200600_302600_NS6detail15normal_iteratorINSA_10device_ptrItEEEEPS6_SG_NS0_5tupleIJSF_S6_EEENSH_IJSG_SG_EEES6_PlJNSB_9not_fun_tI7is_evenItEEEEEE10hipError_tPvRmT3_T4_T5_T6_T7_T9_mT8_P12ihipStream_tbDpT10_ENKUlT_T0_E_clISt17integral_constantIbLb1EES18_EEDaS13_S14_EUlS13_E_NS1_11comp_targetILNS1_3genE9ELNS1_11target_archE1100ELNS1_3gpuE3ELNS1_3repE0EEENS1_30default_config_static_selectorELNS0_4arch9wavefront6targetE0EEEvT1_
	.globl	_ZN7rocprim17ROCPRIM_400000_NS6detail17trampoline_kernelINS0_14default_configENS1_25partition_config_selectorILNS1_17partition_subalgoE6EtNS0_10empty_typeEbEEZZNS1_14partition_implILS5_6ELb0ES3_mN6thrust23THRUST_200600_302600_NS6detail15normal_iteratorINSA_10device_ptrItEEEEPS6_SG_NS0_5tupleIJSF_S6_EEENSH_IJSG_SG_EEES6_PlJNSB_9not_fun_tI7is_evenItEEEEEE10hipError_tPvRmT3_T4_T5_T6_T7_T9_mT8_P12ihipStream_tbDpT10_ENKUlT_T0_E_clISt17integral_constantIbLb1EES18_EEDaS13_S14_EUlS13_E_NS1_11comp_targetILNS1_3genE9ELNS1_11target_archE1100ELNS1_3gpuE3ELNS1_3repE0EEENS1_30default_config_static_selectorELNS0_4arch9wavefront6targetE0EEEvT1_
	.p2align	8
	.type	_ZN7rocprim17ROCPRIM_400000_NS6detail17trampoline_kernelINS0_14default_configENS1_25partition_config_selectorILNS1_17partition_subalgoE6EtNS0_10empty_typeEbEEZZNS1_14partition_implILS5_6ELb0ES3_mN6thrust23THRUST_200600_302600_NS6detail15normal_iteratorINSA_10device_ptrItEEEEPS6_SG_NS0_5tupleIJSF_S6_EEENSH_IJSG_SG_EEES6_PlJNSB_9not_fun_tI7is_evenItEEEEEE10hipError_tPvRmT3_T4_T5_T6_T7_T9_mT8_P12ihipStream_tbDpT10_ENKUlT_T0_E_clISt17integral_constantIbLb1EES18_EEDaS13_S14_EUlS13_E_NS1_11comp_targetILNS1_3genE9ELNS1_11target_archE1100ELNS1_3gpuE3ELNS1_3repE0EEENS1_30default_config_static_selectorELNS0_4arch9wavefront6targetE0EEEvT1_,@function
_ZN7rocprim17ROCPRIM_400000_NS6detail17trampoline_kernelINS0_14default_configENS1_25partition_config_selectorILNS1_17partition_subalgoE6EtNS0_10empty_typeEbEEZZNS1_14partition_implILS5_6ELb0ES3_mN6thrust23THRUST_200600_302600_NS6detail15normal_iteratorINSA_10device_ptrItEEEEPS6_SG_NS0_5tupleIJSF_S6_EEENSH_IJSG_SG_EEES6_PlJNSB_9not_fun_tI7is_evenItEEEEEE10hipError_tPvRmT3_T4_T5_T6_T7_T9_mT8_P12ihipStream_tbDpT10_ENKUlT_T0_E_clISt17integral_constantIbLb1EES18_EEDaS13_S14_EUlS13_E_NS1_11comp_targetILNS1_3genE9ELNS1_11target_archE1100ELNS1_3gpuE3ELNS1_3repE0EEENS1_30default_config_static_selectorELNS0_4arch9wavefront6targetE0EEEvT1_: ; @_ZN7rocprim17ROCPRIM_400000_NS6detail17trampoline_kernelINS0_14default_configENS1_25partition_config_selectorILNS1_17partition_subalgoE6EtNS0_10empty_typeEbEEZZNS1_14partition_implILS5_6ELb0ES3_mN6thrust23THRUST_200600_302600_NS6detail15normal_iteratorINSA_10device_ptrItEEEEPS6_SG_NS0_5tupleIJSF_S6_EEENSH_IJSG_SG_EEES6_PlJNSB_9not_fun_tI7is_evenItEEEEEE10hipError_tPvRmT3_T4_T5_T6_T7_T9_mT8_P12ihipStream_tbDpT10_ENKUlT_T0_E_clISt17integral_constantIbLb1EES18_EEDaS13_S14_EUlS13_E_NS1_11comp_targetILNS1_3genE9ELNS1_11target_archE1100ELNS1_3gpuE3ELNS1_3repE0EEENS1_30default_config_static_selectorELNS0_4arch9wavefront6targetE0EEEvT1_
; %bb.0:
	.section	.rodata,"a",@progbits
	.p2align	6, 0x0
	.amdhsa_kernel _ZN7rocprim17ROCPRIM_400000_NS6detail17trampoline_kernelINS0_14default_configENS1_25partition_config_selectorILNS1_17partition_subalgoE6EtNS0_10empty_typeEbEEZZNS1_14partition_implILS5_6ELb0ES3_mN6thrust23THRUST_200600_302600_NS6detail15normal_iteratorINSA_10device_ptrItEEEEPS6_SG_NS0_5tupleIJSF_S6_EEENSH_IJSG_SG_EEES6_PlJNSB_9not_fun_tI7is_evenItEEEEEE10hipError_tPvRmT3_T4_T5_T6_T7_T9_mT8_P12ihipStream_tbDpT10_ENKUlT_T0_E_clISt17integral_constantIbLb1EES18_EEDaS13_S14_EUlS13_E_NS1_11comp_targetILNS1_3genE9ELNS1_11target_archE1100ELNS1_3gpuE3ELNS1_3repE0EEENS1_30default_config_static_selectorELNS0_4arch9wavefront6targetE0EEEvT1_
		.amdhsa_group_segment_fixed_size 0
		.amdhsa_private_segment_fixed_size 0
		.amdhsa_kernarg_size 128
		.amdhsa_user_sgpr_count 2
		.amdhsa_user_sgpr_dispatch_ptr 0
		.amdhsa_user_sgpr_queue_ptr 0
		.amdhsa_user_sgpr_kernarg_segment_ptr 1
		.amdhsa_user_sgpr_dispatch_id 0
		.amdhsa_user_sgpr_private_segment_size 0
		.amdhsa_wavefront_size32 1
		.amdhsa_uses_dynamic_stack 0
		.amdhsa_enable_private_segment 0
		.amdhsa_system_sgpr_workgroup_id_x 1
		.amdhsa_system_sgpr_workgroup_id_y 0
		.amdhsa_system_sgpr_workgroup_id_z 0
		.amdhsa_system_sgpr_workgroup_info 0
		.amdhsa_system_vgpr_workitem_id 0
		.amdhsa_next_free_vgpr 1
		.amdhsa_next_free_sgpr 1
		.amdhsa_reserve_vcc 0
		.amdhsa_float_round_mode_32 0
		.amdhsa_float_round_mode_16_64 0
		.amdhsa_float_denorm_mode_32 3
		.amdhsa_float_denorm_mode_16_64 3
		.amdhsa_fp16_overflow 0
		.amdhsa_workgroup_processor_mode 1
		.amdhsa_memory_ordered 1
		.amdhsa_forward_progress 1
		.amdhsa_inst_pref_size 0
		.amdhsa_round_robin_scheduling 0
		.amdhsa_exception_fp_ieee_invalid_op 0
		.amdhsa_exception_fp_denorm_src 0
		.amdhsa_exception_fp_ieee_div_zero 0
		.amdhsa_exception_fp_ieee_overflow 0
		.amdhsa_exception_fp_ieee_underflow 0
		.amdhsa_exception_fp_ieee_inexact 0
		.amdhsa_exception_int_div_zero 0
	.end_amdhsa_kernel
	.section	.text._ZN7rocprim17ROCPRIM_400000_NS6detail17trampoline_kernelINS0_14default_configENS1_25partition_config_selectorILNS1_17partition_subalgoE6EtNS0_10empty_typeEbEEZZNS1_14partition_implILS5_6ELb0ES3_mN6thrust23THRUST_200600_302600_NS6detail15normal_iteratorINSA_10device_ptrItEEEEPS6_SG_NS0_5tupleIJSF_S6_EEENSH_IJSG_SG_EEES6_PlJNSB_9not_fun_tI7is_evenItEEEEEE10hipError_tPvRmT3_T4_T5_T6_T7_T9_mT8_P12ihipStream_tbDpT10_ENKUlT_T0_E_clISt17integral_constantIbLb1EES18_EEDaS13_S14_EUlS13_E_NS1_11comp_targetILNS1_3genE9ELNS1_11target_archE1100ELNS1_3gpuE3ELNS1_3repE0EEENS1_30default_config_static_selectorELNS0_4arch9wavefront6targetE0EEEvT1_,"axG",@progbits,_ZN7rocprim17ROCPRIM_400000_NS6detail17trampoline_kernelINS0_14default_configENS1_25partition_config_selectorILNS1_17partition_subalgoE6EtNS0_10empty_typeEbEEZZNS1_14partition_implILS5_6ELb0ES3_mN6thrust23THRUST_200600_302600_NS6detail15normal_iteratorINSA_10device_ptrItEEEEPS6_SG_NS0_5tupleIJSF_S6_EEENSH_IJSG_SG_EEES6_PlJNSB_9not_fun_tI7is_evenItEEEEEE10hipError_tPvRmT3_T4_T5_T6_T7_T9_mT8_P12ihipStream_tbDpT10_ENKUlT_T0_E_clISt17integral_constantIbLb1EES18_EEDaS13_S14_EUlS13_E_NS1_11comp_targetILNS1_3genE9ELNS1_11target_archE1100ELNS1_3gpuE3ELNS1_3repE0EEENS1_30default_config_static_selectorELNS0_4arch9wavefront6targetE0EEEvT1_,comdat
.Lfunc_end675:
	.size	_ZN7rocprim17ROCPRIM_400000_NS6detail17trampoline_kernelINS0_14default_configENS1_25partition_config_selectorILNS1_17partition_subalgoE6EtNS0_10empty_typeEbEEZZNS1_14partition_implILS5_6ELb0ES3_mN6thrust23THRUST_200600_302600_NS6detail15normal_iteratorINSA_10device_ptrItEEEEPS6_SG_NS0_5tupleIJSF_S6_EEENSH_IJSG_SG_EEES6_PlJNSB_9not_fun_tI7is_evenItEEEEEE10hipError_tPvRmT3_T4_T5_T6_T7_T9_mT8_P12ihipStream_tbDpT10_ENKUlT_T0_E_clISt17integral_constantIbLb1EES18_EEDaS13_S14_EUlS13_E_NS1_11comp_targetILNS1_3genE9ELNS1_11target_archE1100ELNS1_3gpuE3ELNS1_3repE0EEENS1_30default_config_static_selectorELNS0_4arch9wavefront6targetE0EEEvT1_, .Lfunc_end675-_ZN7rocprim17ROCPRIM_400000_NS6detail17trampoline_kernelINS0_14default_configENS1_25partition_config_selectorILNS1_17partition_subalgoE6EtNS0_10empty_typeEbEEZZNS1_14partition_implILS5_6ELb0ES3_mN6thrust23THRUST_200600_302600_NS6detail15normal_iteratorINSA_10device_ptrItEEEEPS6_SG_NS0_5tupleIJSF_S6_EEENSH_IJSG_SG_EEES6_PlJNSB_9not_fun_tI7is_evenItEEEEEE10hipError_tPvRmT3_T4_T5_T6_T7_T9_mT8_P12ihipStream_tbDpT10_ENKUlT_T0_E_clISt17integral_constantIbLb1EES18_EEDaS13_S14_EUlS13_E_NS1_11comp_targetILNS1_3genE9ELNS1_11target_archE1100ELNS1_3gpuE3ELNS1_3repE0EEENS1_30default_config_static_selectorELNS0_4arch9wavefront6targetE0EEEvT1_
                                        ; -- End function
	.set _ZN7rocprim17ROCPRIM_400000_NS6detail17trampoline_kernelINS0_14default_configENS1_25partition_config_selectorILNS1_17partition_subalgoE6EtNS0_10empty_typeEbEEZZNS1_14partition_implILS5_6ELb0ES3_mN6thrust23THRUST_200600_302600_NS6detail15normal_iteratorINSA_10device_ptrItEEEEPS6_SG_NS0_5tupleIJSF_S6_EEENSH_IJSG_SG_EEES6_PlJNSB_9not_fun_tI7is_evenItEEEEEE10hipError_tPvRmT3_T4_T5_T6_T7_T9_mT8_P12ihipStream_tbDpT10_ENKUlT_T0_E_clISt17integral_constantIbLb1EES18_EEDaS13_S14_EUlS13_E_NS1_11comp_targetILNS1_3genE9ELNS1_11target_archE1100ELNS1_3gpuE3ELNS1_3repE0EEENS1_30default_config_static_selectorELNS0_4arch9wavefront6targetE0EEEvT1_.num_vgpr, 0
	.set _ZN7rocprim17ROCPRIM_400000_NS6detail17trampoline_kernelINS0_14default_configENS1_25partition_config_selectorILNS1_17partition_subalgoE6EtNS0_10empty_typeEbEEZZNS1_14partition_implILS5_6ELb0ES3_mN6thrust23THRUST_200600_302600_NS6detail15normal_iteratorINSA_10device_ptrItEEEEPS6_SG_NS0_5tupleIJSF_S6_EEENSH_IJSG_SG_EEES6_PlJNSB_9not_fun_tI7is_evenItEEEEEE10hipError_tPvRmT3_T4_T5_T6_T7_T9_mT8_P12ihipStream_tbDpT10_ENKUlT_T0_E_clISt17integral_constantIbLb1EES18_EEDaS13_S14_EUlS13_E_NS1_11comp_targetILNS1_3genE9ELNS1_11target_archE1100ELNS1_3gpuE3ELNS1_3repE0EEENS1_30default_config_static_selectorELNS0_4arch9wavefront6targetE0EEEvT1_.num_agpr, 0
	.set _ZN7rocprim17ROCPRIM_400000_NS6detail17trampoline_kernelINS0_14default_configENS1_25partition_config_selectorILNS1_17partition_subalgoE6EtNS0_10empty_typeEbEEZZNS1_14partition_implILS5_6ELb0ES3_mN6thrust23THRUST_200600_302600_NS6detail15normal_iteratorINSA_10device_ptrItEEEEPS6_SG_NS0_5tupleIJSF_S6_EEENSH_IJSG_SG_EEES6_PlJNSB_9not_fun_tI7is_evenItEEEEEE10hipError_tPvRmT3_T4_T5_T6_T7_T9_mT8_P12ihipStream_tbDpT10_ENKUlT_T0_E_clISt17integral_constantIbLb1EES18_EEDaS13_S14_EUlS13_E_NS1_11comp_targetILNS1_3genE9ELNS1_11target_archE1100ELNS1_3gpuE3ELNS1_3repE0EEENS1_30default_config_static_selectorELNS0_4arch9wavefront6targetE0EEEvT1_.numbered_sgpr, 0
	.set _ZN7rocprim17ROCPRIM_400000_NS6detail17trampoline_kernelINS0_14default_configENS1_25partition_config_selectorILNS1_17partition_subalgoE6EtNS0_10empty_typeEbEEZZNS1_14partition_implILS5_6ELb0ES3_mN6thrust23THRUST_200600_302600_NS6detail15normal_iteratorINSA_10device_ptrItEEEEPS6_SG_NS0_5tupleIJSF_S6_EEENSH_IJSG_SG_EEES6_PlJNSB_9not_fun_tI7is_evenItEEEEEE10hipError_tPvRmT3_T4_T5_T6_T7_T9_mT8_P12ihipStream_tbDpT10_ENKUlT_T0_E_clISt17integral_constantIbLb1EES18_EEDaS13_S14_EUlS13_E_NS1_11comp_targetILNS1_3genE9ELNS1_11target_archE1100ELNS1_3gpuE3ELNS1_3repE0EEENS1_30default_config_static_selectorELNS0_4arch9wavefront6targetE0EEEvT1_.num_named_barrier, 0
	.set _ZN7rocprim17ROCPRIM_400000_NS6detail17trampoline_kernelINS0_14default_configENS1_25partition_config_selectorILNS1_17partition_subalgoE6EtNS0_10empty_typeEbEEZZNS1_14partition_implILS5_6ELb0ES3_mN6thrust23THRUST_200600_302600_NS6detail15normal_iteratorINSA_10device_ptrItEEEEPS6_SG_NS0_5tupleIJSF_S6_EEENSH_IJSG_SG_EEES6_PlJNSB_9not_fun_tI7is_evenItEEEEEE10hipError_tPvRmT3_T4_T5_T6_T7_T9_mT8_P12ihipStream_tbDpT10_ENKUlT_T0_E_clISt17integral_constantIbLb1EES18_EEDaS13_S14_EUlS13_E_NS1_11comp_targetILNS1_3genE9ELNS1_11target_archE1100ELNS1_3gpuE3ELNS1_3repE0EEENS1_30default_config_static_selectorELNS0_4arch9wavefront6targetE0EEEvT1_.private_seg_size, 0
	.set _ZN7rocprim17ROCPRIM_400000_NS6detail17trampoline_kernelINS0_14default_configENS1_25partition_config_selectorILNS1_17partition_subalgoE6EtNS0_10empty_typeEbEEZZNS1_14partition_implILS5_6ELb0ES3_mN6thrust23THRUST_200600_302600_NS6detail15normal_iteratorINSA_10device_ptrItEEEEPS6_SG_NS0_5tupleIJSF_S6_EEENSH_IJSG_SG_EEES6_PlJNSB_9not_fun_tI7is_evenItEEEEEE10hipError_tPvRmT3_T4_T5_T6_T7_T9_mT8_P12ihipStream_tbDpT10_ENKUlT_T0_E_clISt17integral_constantIbLb1EES18_EEDaS13_S14_EUlS13_E_NS1_11comp_targetILNS1_3genE9ELNS1_11target_archE1100ELNS1_3gpuE3ELNS1_3repE0EEENS1_30default_config_static_selectorELNS0_4arch9wavefront6targetE0EEEvT1_.uses_vcc, 0
	.set _ZN7rocprim17ROCPRIM_400000_NS6detail17trampoline_kernelINS0_14default_configENS1_25partition_config_selectorILNS1_17partition_subalgoE6EtNS0_10empty_typeEbEEZZNS1_14partition_implILS5_6ELb0ES3_mN6thrust23THRUST_200600_302600_NS6detail15normal_iteratorINSA_10device_ptrItEEEEPS6_SG_NS0_5tupleIJSF_S6_EEENSH_IJSG_SG_EEES6_PlJNSB_9not_fun_tI7is_evenItEEEEEE10hipError_tPvRmT3_T4_T5_T6_T7_T9_mT8_P12ihipStream_tbDpT10_ENKUlT_T0_E_clISt17integral_constantIbLb1EES18_EEDaS13_S14_EUlS13_E_NS1_11comp_targetILNS1_3genE9ELNS1_11target_archE1100ELNS1_3gpuE3ELNS1_3repE0EEENS1_30default_config_static_selectorELNS0_4arch9wavefront6targetE0EEEvT1_.uses_flat_scratch, 0
	.set _ZN7rocprim17ROCPRIM_400000_NS6detail17trampoline_kernelINS0_14default_configENS1_25partition_config_selectorILNS1_17partition_subalgoE6EtNS0_10empty_typeEbEEZZNS1_14partition_implILS5_6ELb0ES3_mN6thrust23THRUST_200600_302600_NS6detail15normal_iteratorINSA_10device_ptrItEEEEPS6_SG_NS0_5tupleIJSF_S6_EEENSH_IJSG_SG_EEES6_PlJNSB_9not_fun_tI7is_evenItEEEEEE10hipError_tPvRmT3_T4_T5_T6_T7_T9_mT8_P12ihipStream_tbDpT10_ENKUlT_T0_E_clISt17integral_constantIbLb1EES18_EEDaS13_S14_EUlS13_E_NS1_11comp_targetILNS1_3genE9ELNS1_11target_archE1100ELNS1_3gpuE3ELNS1_3repE0EEENS1_30default_config_static_selectorELNS0_4arch9wavefront6targetE0EEEvT1_.has_dyn_sized_stack, 0
	.set _ZN7rocprim17ROCPRIM_400000_NS6detail17trampoline_kernelINS0_14default_configENS1_25partition_config_selectorILNS1_17partition_subalgoE6EtNS0_10empty_typeEbEEZZNS1_14partition_implILS5_6ELb0ES3_mN6thrust23THRUST_200600_302600_NS6detail15normal_iteratorINSA_10device_ptrItEEEEPS6_SG_NS0_5tupleIJSF_S6_EEENSH_IJSG_SG_EEES6_PlJNSB_9not_fun_tI7is_evenItEEEEEE10hipError_tPvRmT3_T4_T5_T6_T7_T9_mT8_P12ihipStream_tbDpT10_ENKUlT_T0_E_clISt17integral_constantIbLb1EES18_EEDaS13_S14_EUlS13_E_NS1_11comp_targetILNS1_3genE9ELNS1_11target_archE1100ELNS1_3gpuE3ELNS1_3repE0EEENS1_30default_config_static_selectorELNS0_4arch9wavefront6targetE0EEEvT1_.has_recursion, 0
	.set _ZN7rocprim17ROCPRIM_400000_NS6detail17trampoline_kernelINS0_14default_configENS1_25partition_config_selectorILNS1_17partition_subalgoE6EtNS0_10empty_typeEbEEZZNS1_14partition_implILS5_6ELb0ES3_mN6thrust23THRUST_200600_302600_NS6detail15normal_iteratorINSA_10device_ptrItEEEEPS6_SG_NS0_5tupleIJSF_S6_EEENSH_IJSG_SG_EEES6_PlJNSB_9not_fun_tI7is_evenItEEEEEE10hipError_tPvRmT3_T4_T5_T6_T7_T9_mT8_P12ihipStream_tbDpT10_ENKUlT_T0_E_clISt17integral_constantIbLb1EES18_EEDaS13_S14_EUlS13_E_NS1_11comp_targetILNS1_3genE9ELNS1_11target_archE1100ELNS1_3gpuE3ELNS1_3repE0EEENS1_30default_config_static_selectorELNS0_4arch9wavefront6targetE0EEEvT1_.has_indirect_call, 0
	.section	.AMDGPU.csdata,"",@progbits
; Kernel info:
; codeLenInByte = 0
; TotalNumSgprs: 0
; NumVgprs: 0
; ScratchSize: 0
; MemoryBound: 0
; FloatMode: 240
; IeeeMode: 1
; LDSByteSize: 0 bytes/workgroup (compile time only)
; SGPRBlocks: 0
; VGPRBlocks: 0
; NumSGPRsForWavesPerEU: 1
; NumVGPRsForWavesPerEU: 1
; Occupancy: 16
; WaveLimiterHint : 0
; COMPUTE_PGM_RSRC2:SCRATCH_EN: 0
; COMPUTE_PGM_RSRC2:USER_SGPR: 2
; COMPUTE_PGM_RSRC2:TRAP_HANDLER: 0
; COMPUTE_PGM_RSRC2:TGID_X_EN: 1
; COMPUTE_PGM_RSRC2:TGID_Y_EN: 0
; COMPUTE_PGM_RSRC2:TGID_Z_EN: 0
; COMPUTE_PGM_RSRC2:TIDIG_COMP_CNT: 0
	.section	.text._ZN7rocprim17ROCPRIM_400000_NS6detail17trampoline_kernelINS0_14default_configENS1_25partition_config_selectorILNS1_17partition_subalgoE6EtNS0_10empty_typeEbEEZZNS1_14partition_implILS5_6ELb0ES3_mN6thrust23THRUST_200600_302600_NS6detail15normal_iteratorINSA_10device_ptrItEEEEPS6_SG_NS0_5tupleIJSF_S6_EEENSH_IJSG_SG_EEES6_PlJNSB_9not_fun_tI7is_evenItEEEEEE10hipError_tPvRmT3_T4_T5_T6_T7_T9_mT8_P12ihipStream_tbDpT10_ENKUlT_T0_E_clISt17integral_constantIbLb1EES18_EEDaS13_S14_EUlS13_E_NS1_11comp_targetILNS1_3genE8ELNS1_11target_archE1030ELNS1_3gpuE2ELNS1_3repE0EEENS1_30default_config_static_selectorELNS0_4arch9wavefront6targetE0EEEvT1_,"axG",@progbits,_ZN7rocprim17ROCPRIM_400000_NS6detail17trampoline_kernelINS0_14default_configENS1_25partition_config_selectorILNS1_17partition_subalgoE6EtNS0_10empty_typeEbEEZZNS1_14partition_implILS5_6ELb0ES3_mN6thrust23THRUST_200600_302600_NS6detail15normal_iteratorINSA_10device_ptrItEEEEPS6_SG_NS0_5tupleIJSF_S6_EEENSH_IJSG_SG_EEES6_PlJNSB_9not_fun_tI7is_evenItEEEEEE10hipError_tPvRmT3_T4_T5_T6_T7_T9_mT8_P12ihipStream_tbDpT10_ENKUlT_T0_E_clISt17integral_constantIbLb1EES18_EEDaS13_S14_EUlS13_E_NS1_11comp_targetILNS1_3genE8ELNS1_11target_archE1030ELNS1_3gpuE2ELNS1_3repE0EEENS1_30default_config_static_selectorELNS0_4arch9wavefront6targetE0EEEvT1_,comdat
	.protected	_ZN7rocprim17ROCPRIM_400000_NS6detail17trampoline_kernelINS0_14default_configENS1_25partition_config_selectorILNS1_17partition_subalgoE6EtNS0_10empty_typeEbEEZZNS1_14partition_implILS5_6ELb0ES3_mN6thrust23THRUST_200600_302600_NS6detail15normal_iteratorINSA_10device_ptrItEEEEPS6_SG_NS0_5tupleIJSF_S6_EEENSH_IJSG_SG_EEES6_PlJNSB_9not_fun_tI7is_evenItEEEEEE10hipError_tPvRmT3_T4_T5_T6_T7_T9_mT8_P12ihipStream_tbDpT10_ENKUlT_T0_E_clISt17integral_constantIbLb1EES18_EEDaS13_S14_EUlS13_E_NS1_11comp_targetILNS1_3genE8ELNS1_11target_archE1030ELNS1_3gpuE2ELNS1_3repE0EEENS1_30default_config_static_selectorELNS0_4arch9wavefront6targetE0EEEvT1_ ; -- Begin function _ZN7rocprim17ROCPRIM_400000_NS6detail17trampoline_kernelINS0_14default_configENS1_25partition_config_selectorILNS1_17partition_subalgoE6EtNS0_10empty_typeEbEEZZNS1_14partition_implILS5_6ELb0ES3_mN6thrust23THRUST_200600_302600_NS6detail15normal_iteratorINSA_10device_ptrItEEEEPS6_SG_NS0_5tupleIJSF_S6_EEENSH_IJSG_SG_EEES6_PlJNSB_9not_fun_tI7is_evenItEEEEEE10hipError_tPvRmT3_T4_T5_T6_T7_T9_mT8_P12ihipStream_tbDpT10_ENKUlT_T0_E_clISt17integral_constantIbLb1EES18_EEDaS13_S14_EUlS13_E_NS1_11comp_targetILNS1_3genE8ELNS1_11target_archE1030ELNS1_3gpuE2ELNS1_3repE0EEENS1_30default_config_static_selectorELNS0_4arch9wavefront6targetE0EEEvT1_
	.globl	_ZN7rocprim17ROCPRIM_400000_NS6detail17trampoline_kernelINS0_14default_configENS1_25partition_config_selectorILNS1_17partition_subalgoE6EtNS0_10empty_typeEbEEZZNS1_14partition_implILS5_6ELb0ES3_mN6thrust23THRUST_200600_302600_NS6detail15normal_iteratorINSA_10device_ptrItEEEEPS6_SG_NS0_5tupleIJSF_S6_EEENSH_IJSG_SG_EEES6_PlJNSB_9not_fun_tI7is_evenItEEEEEE10hipError_tPvRmT3_T4_T5_T6_T7_T9_mT8_P12ihipStream_tbDpT10_ENKUlT_T0_E_clISt17integral_constantIbLb1EES18_EEDaS13_S14_EUlS13_E_NS1_11comp_targetILNS1_3genE8ELNS1_11target_archE1030ELNS1_3gpuE2ELNS1_3repE0EEENS1_30default_config_static_selectorELNS0_4arch9wavefront6targetE0EEEvT1_
	.p2align	8
	.type	_ZN7rocprim17ROCPRIM_400000_NS6detail17trampoline_kernelINS0_14default_configENS1_25partition_config_selectorILNS1_17partition_subalgoE6EtNS0_10empty_typeEbEEZZNS1_14partition_implILS5_6ELb0ES3_mN6thrust23THRUST_200600_302600_NS6detail15normal_iteratorINSA_10device_ptrItEEEEPS6_SG_NS0_5tupleIJSF_S6_EEENSH_IJSG_SG_EEES6_PlJNSB_9not_fun_tI7is_evenItEEEEEE10hipError_tPvRmT3_T4_T5_T6_T7_T9_mT8_P12ihipStream_tbDpT10_ENKUlT_T0_E_clISt17integral_constantIbLb1EES18_EEDaS13_S14_EUlS13_E_NS1_11comp_targetILNS1_3genE8ELNS1_11target_archE1030ELNS1_3gpuE2ELNS1_3repE0EEENS1_30default_config_static_selectorELNS0_4arch9wavefront6targetE0EEEvT1_,@function
_ZN7rocprim17ROCPRIM_400000_NS6detail17trampoline_kernelINS0_14default_configENS1_25partition_config_selectorILNS1_17partition_subalgoE6EtNS0_10empty_typeEbEEZZNS1_14partition_implILS5_6ELb0ES3_mN6thrust23THRUST_200600_302600_NS6detail15normal_iteratorINSA_10device_ptrItEEEEPS6_SG_NS0_5tupleIJSF_S6_EEENSH_IJSG_SG_EEES6_PlJNSB_9not_fun_tI7is_evenItEEEEEE10hipError_tPvRmT3_T4_T5_T6_T7_T9_mT8_P12ihipStream_tbDpT10_ENKUlT_T0_E_clISt17integral_constantIbLb1EES18_EEDaS13_S14_EUlS13_E_NS1_11comp_targetILNS1_3genE8ELNS1_11target_archE1030ELNS1_3gpuE2ELNS1_3repE0EEENS1_30default_config_static_selectorELNS0_4arch9wavefront6targetE0EEEvT1_: ; @_ZN7rocprim17ROCPRIM_400000_NS6detail17trampoline_kernelINS0_14default_configENS1_25partition_config_selectorILNS1_17partition_subalgoE6EtNS0_10empty_typeEbEEZZNS1_14partition_implILS5_6ELb0ES3_mN6thrust23THRUST_200600_302600_NS6detail15normal_iteratorINSA_10device_ptrItEEEEPS6_SG_NS0_5tupleIJSF_S6_EEENSH_IJSG_SG_EEES6_PlJNSB_9not_fun_tI7is_evenItEEEEEE10hipError_tPvRmT3_T4_T5_T6_T7_T9_mT8_P12ihipStream_tbDpT10_ENKUlT_T0_E_clISt17integral_constantIbLb1EES18_EEDaS13_S14_EUlS13_E_NS1_11comp_targetILNS1_3genE8ELNS1_11target_archE1030ELNS1_3gpuE2ELNS1_3repE0EEENS1_30default_config_static_selectorELNS0_4arch9wavefront6targetE0EEEvT1_
; %bb.0:
	.section	.rodata,"a",@progbits
	.p2align	6, 0x0
	.amdhsa_kernel _ZN7rocprim17ROCPRIM_400000_NS6detail17trampoline_kernelINS0_14default_configENS1_25partition_config_selectorILNS1_17partition_subalgoE6EtNS0_10empty_typeEbEEZZNS1_14partition_implILS5_6ELb0ES3_mN6thrust23THRUST_200600_302600_NS6detail15normal_iteratorINSA_10device_ptrItEEEEPS6_SG_NS0_5tupleIJSF_S6_EEENSH_IJSG_SG_EEES6_PlJNSB_9not_fun_tI7is_evenItEEEEEE10hipError_tPvRmT3_T4_T5_T6_T7_T9_mT8_P12ihipStream_tbDpT10_ENKUlT_T0_E_clISt17integral_constantIbLb1EES18_EEDaS13_S14_EUlS13_E_NS1_11comp_targetILNS1_3genE8ELNS1_11target_archE1030ELNS1_3gpuE2ELNS1_3repE0EEENS1_30default_config_static_selectorELNS0_4arch9wavefront6targetE0EEEvT1_
		.amdhsa_group_segment_fixed_size 0
		.amdhsa_private_segment_fixed_size 0
		.amdhsa_kernarg_size 128
		.amdhsa_user_sgpr_count 2
		.amdhsa_user_sgpr_dispatch_ptr 0
		.amdhsa_user_sgpr_queue_ptr 0
		.amdhsa_user_sgpr_kernarg_segment_ptr 1
		.amdhsa_user_sgpr_dispatch_id 0
		.amdhsa_user_sgpr_private_segment_size 0
		.amdhsa_wavefront_size32 1
		.amdhsa_uses_dynamic_stack 0
		.amdhsa_enable_private_segment 0
		.amdhsa_system_sgpr_workgroup_id_x 1
		.amdhsa_system_sgpr_workgroup_id_y 0
		.amdhsa_system_sgpr_workgroup_id_z 0
		.amdhsa_system_sgpr_workgroup_info 0
		.amdhsa_system_vgpr_workitem_id 0
		.amdhsa_next_free_vgpr 1
		.amdhsa_next_free_sgpr 1
		.amdhsa_reserve_vcc 0
		.amdhsa_float_round_mode_32 0
		.amdhsa_float_round_mode_16_64 0
		.amdhsa_float_denorm_mode_32 3
		.amdhsa_float_denorm_mode_16_64 3
		.amdhsa_fp16_overflow 0
		.amdhsa_workgroup_processor_mode 1
		.amdhsa_memory_ordered 1
		.amdhsa_forward_progress 1
		.amdhsa_inst_pref_size 0
		.amdhsa_round_robin_scheduling 0
		.amdhsa_exception_fp_ieee_invalid_op 0
		.amdhsa_exception_fp_denorm_src 0
		.amdhsa_exception_fp_ieee_div_zero 0
		.amdhsa_exception_fp_ieee_overflow 0
		.amdhsa_exception_fp_ieee_underflow 0
		.amdhsa_exception_fp_ieee_inexact 0
		.amdhsa_exception_int_div_zero 0
	.end_amdhsa_kernel
	.section	.text._ZN7rocprim17ROCPRIM_400000_NS6detail17trampoline_kernelINS0_14default_configENS1_25partition_config_selectorILNS1_17partition_subalgoE6EtNS0_10empty_typeEbEEZZNS1_14partition_implILS5_6ELb0ES3_mN6thrust23THRUST_200600_302600_NS6detail15normal_iteratorINSA_10device_ptrItEEEEPS6_SG_NS0_5tupleIJSF_S6_EEENSH_IJSG_SG_EEES6_PlJNSB_9not_fun_tI7is_evenItEEEEEE10hipError_tPvRmT3_T4_T5_T6_T7_T9_mT8_P12ihipStream_tbDpT10_ENKUlT_T0_E_clISt17integral_constantIbLb1EES18_EEDaS13_S14_EUlS13_E_NS1_11comp_targetILNS1_3genE8ELNS1_11target_archE1030ELNS1_3gpuE2ELNS1_3repE0EEENS1_30default_config_static_selectorELNS0_4arch9wavefront6targetE0EEEvT1_,"axG",@progbits,_ZN7rocprim17ROCPRIM_400000_NS6detail17trampoline_kernelINS0_14default_configENS1_25partition_config_selectorILNS1_17partition_subalgoE6EtNS0_10empty_typeEbEEZZNS1_14partition_implILS5_6ELb0ES3_mN6thrust23THRUST_200600_302600_NS6detail15normal_iteratorINSA_10device_ptrItEEEEPS6_SG_NS0_5tupleIJSF_S6_EEENSH_IJSG_SG_EEES6_PlJNSB_9not_fun_tI7is_evenItEEEEEE10hipError_tPvRmT3_T4_T5_T6_T7_T9_mT8_P12ihipStream_tbDpT10_ENKUlT_T0_E_clISt17integral_constantIbLb1EES18_EEDaS13_S14_EUlS13_E_NS1_11comp_targetILNS1_3genE8ELNS1_11target_archE1030ELNS1_3gpuE2ELNS1_3repE0EEENS1_30default_config_static_selectorELNS0_4arch9wavefront6targetE0EEEvT1_,comdat
.Lfunc_end676:
	.size	_ZN7rocprim17ROCPRIM_400000_NS6detail17trampoline_kernelINS0_14default_configENS1_25partition_config_selectorILNS1_17partition_subalgoE6EtNS0_10empty_typeEbEEZZNS1_14partition_implILS5_6ELb0ES3_mN6thrust23THRUST_200600_302600_NS6detail15normal_iteratorINSA_10device_ptrItEEEEPS6_SG_NS0_5tupleIJSF_S6_EEENSH_IJSG_SG_EEES6_PlJNSB_9not_fun_tI7is_evenItEEEEEE10hipError_tPvRmT3_T4_T5_T6_T7_T9_mT8_P12ihipStream_tbDpT10_ENKUlT_T0_E_clISt17integral_constantIbLb1EES18_EEDaS13_S14_EUlS13_E_NS1_11comp_targetILNS1_3genE8ELNS1_11target_archE1030ELNS1_3gpuE2ELNS1_3repE0EEENS1_30default_config_static_selectorELNS0_4arch9wavefront6targetE0EEEvT1_, .Lfunc_end676-_ZN7rocprim17ROCPRIM_400000_NS6detail17trampoline_kernelINS0_14default_configENS1_25partition_config_selectorILNS1_17partition_subalgoE6EtNS0_10empty_typeEbEEZZNS1_14partition_implILS5_6ELb0ES3_mN6thrust23THRUST_200600_302600_NS6detail15normal_iteratorINSA_10device_ptrItEEEEPS6_SG_NS0_5tupleIJSF_S6_EEENSH_IJSG_SG_EEES6_PlJNSB_9not_fun_tI7is_evenItEEEEEE10hipError_tPvRmT3_T4_T5_T6_T7_T9_mT8_P12ihipStream_tbDpT10_ENKUlT_T0_E_clISt17integral_constantIbLb1EES18_EEDaS13_S14_EUlS13_E_NS1_11comp_targetILNS1_3genE8ELNS1_11target_archE1030ELNS1_3gpuE2ELNS1_3repE0EEENS1_30default_config_static_selectorELNS0_4arch9wavefront6targetE0EEEvT1_
                                        ; -- End function
	.set _ZN7rocprim17ROCPRIM_400000_NS6detail17trampoline_kernelINS0_14default_configENS1_25partition_config_selectorILNS1_17partition_subalgoE6EtNS0_10empty_typeEbEEZZNS1_14partition_implILS5_6ELb0ES3_mN6thrust23THRUST_200600_302600_NS6detail15normal_iteratorINSA_10device_ptrItEEEEPS6_SG_NS0_5tupleIJSF_S6_EEENSH_IJSG_SG_EEES6_PlJNSB_9not_fun_tI7is_evenItEEEEEE10hipError_tPvRmT3_T4_T5_T6_T7_T9_mT8_P12ihipStream_tbDpT10_ENKUlT_T0_E_clISt17integral_constantIbLb1EES18_EEDaS13_S14_EUlS13_E_NS1_11comp_targetILNS1_3genE8ELNS1_11target_archE1030ELNS1_3gpuE2ELNS1_3repE0EEENS1_30default_config_static_selectorELNS0_4arch9wavefront6targetE0EEEvT1_.num_vgpr, 0
	.set _ZN7rocprim17ROCPRIM_400000_NS6detail17trampoline_kernelINS0_14default_configENS1_25partition_config_selectorILNS1_17partition_subalgoE6EtNS0_10empty_typeEbEEZZNS1_14partition_implILS5_6ELb0ES3_mN6thrust23THRUST_200600_302600_NS6detail15normal_iteratorINSA_10device_ptrItEEEEPS6_SG_NS0_5tupleIJSF_S6_EEENSH_IJSG_SG_EEES6_PlJNSB_9not_fun_tI7is_evenItEEEEEE10hipError_tPvRmT3_T4_T5_T6_T7_T9_mT8_P12ihipStream_tbDpT10_ENKUlT_T0_E_clISt17integral_constantIbLb1EES18_EEDaS13_S14_EUlS13_E_NS1_11comp_targetILNS1_3genE8ELNS1_11target_archE1030ELNS1_3gpuE2ELNS1_3repE0EEENS1_30default_config_static_selectorELNS0_4arch9wavefront6targetE0EEEvT1_.num_agpr, 0
	.set _ZN7rocprim17ROCPRIM_400000_NS6detail17trampoline_kernelINS0_14default_configENS1_25partition_config_selectorILNS1_17partition_subalgoE6EtNS0_10empty_typeEbEEZZNS1_14partition_implILS5_6ELb0ES3_mN6thrust23THRUST_200600_302600_NS6detail15normal_iteratorINSA_10device_ptrItEEEEPS6_SG_NS0_5tupleIJSF_S6_EEENSH_IJSG_SG_EEES6_PlJNSB_9not_fun_tI7is_evenItEEEEEE10hipError_tPvRmT3_T4_T5_T6_T7_T9_mT8_P12ihipStream_tbDpT10_ENKUlT_T0_E_clISt17integral_constantIbLb1EES18_EEDaS13_S14_EUlS13_E_NS1_11comp_targetILNS1_3genE8ELNS1_11target_archE1030ELNS1_3gpuE2ELNS1_3repE0EEENS1_30default_config_static_selectorELNS0_4arch9wavefront6targetE0EEEvT1_.numbered_sgpr, 0
	.set _ZN7rocprim17ROCPRIM_400000_NS6detail17trampoline_kernelINS0_14default_configENS1_25partition_config_selectorILNS1_17partition_subalgoE6EtNS0_10empty_typeEbEEZZNS1_14partition_implILS5_6ELb0ES3_mN6thrust23THRUST_200600_302600_NS6detail15normal_iteratorINSA_10device_ptrItEEEEPS6_SG_NS0_5tupleIJSF_S6_EEENSH_IJSG_SG_EEES6_PlJNSB_9not_fun_tI7is_evenItEEEEEE10hipError_tPvRmT3_T4_T5_T6_T7_T9_mT8_P12ihipStream_tbDpT10_ENKUlT_T0_E_clISt17integral_constantIbLb1EES18_EEDaS13_S14_EUlS13_E_NS1_11comp_targetILNS1_3genE8ELNS1_11target_archE1030ELNS1_3gpuE2ELNS1_3repE0EEENS1_30default_config_static_selectorELNS0_4arch9wavefront6targetE0EEEvT1_.num_named_barrier, 0
	.set _ZN7rocprim17ROCPRIM_400000_NS6detail17trampoline_kernelINS0_14default_configENS1_25partition_config_selectorILNS1_17partition_subalgoE6EtNS0_10empty_typeEbEEZZNS1_14partition_implILS5_6ELb0ES3_mN6thrust23THRUST_200600_302600_NS6detail15normal_iteratorINSA_10device_ptrItEEEEPS6_SG_NS0_5tupleIJSF_S6_EEENSH_IJSG_SG_EEES6_PlJNSB_9not_fun_tI7is_evenItEEEEEE10hipError_tPvRmT3_T4_T5_T6_T7_T9_mT8_P12ihipStream_tbDpT10_ENKUlT_T0_E_clISt17integral_constantIbLb1EES18_EEDaS13_S14_EUlS13_E_NS1_11comp_targetILNS1_3genE8ELNS1_11target_archE1030ELNS1_3gpuE2ELNS1_3repE0EEENS1_30default_config_static_selectorELNS0_4arch9wavefront6targetE0EEEvT1_.private_seg_size, 0
	.set _ZN7rocprim17ROCPRIM_400000_NS6detail17trampoline_kernelINS0_14default_configENS1_25partition_config_selectorILNS1_17partition_subalgoE6EtNS0_10empty_typeEbEEZZNS1_14partition_implILS5_6ELb0ES3_mN6thrust23THRUST_200600_302600_NS6detail15normal_iteratorINSA_10device_ptrItEEEEPS6_SG_NS0_5tupleIJSF_S6_EEENSH_IJSG_SG_EEES6_PlJNSB_9not_fun_tI7is_evenItEEEEEE10hipError_tPvRmT3_T4_T5_T6_T7_T9_mT8_P12ihipStream_tbDpT10_ENKUlT_T0_E_clISt17integral_constantIbLb1EES18_EEDaS13_S14_EUlS13_E_NS1_11comp_targetILNS1_3genE8ELNS1_11target_archE1030ELNS1_3gpuE2ELNS1_3repE0EEENS1_30default_config_static_selectorELNS0_4arch9wavefront6targetE0EEEvT1_.uses_vcc, 0
	.set _ZN7rocprim17ROCPRIM_400000_NS6detail17trampoline_kernelINS0_14default_configENS1_25partition_config_selectorILNS1_17partition_subalgoE6EtNS0_10empty_typeEbEEZZNS1_14partition_implILS5_6ELb0ES3_mN6thrust23THRUST_200600_302600_NS6detail15normal_iteratorINSA_10device_ptrItEEEEPS6_SG_NS0_5tupleIJSF_S6_EEENSH_IJSG_SG_EEES6_PlJNSB_9not_fun_tI7is_evenItEEEEEE10hipError_tPvRmT3_T4_T5_T6_T7_T9_mT8_P12ihipStream_tbDpT10_ENKUlT_T0_E_clISt17integral_constantIbLb1EES18_EEDaS13_S14_EUlS13_E_NS1_11comp_targetILNS1_3genE8ELNS1_11target_archE1030ELNS1_3gpuE2ELNS1_3repE0EEENS1_30default_config_static_selectorELNS0_4arch9wavefront6targetE0EEEvT1_.uses_flat_scratch, 0
	.set _ZN7rocprim17ROCPRIM_400000_NS6detail17trampoline_kernelINS0_14default_configENS1_25partition_config_selectorILNS1_17partition_subalgoE6EtNS0_10empty_typeEbEEZZNS1_14partition_implILS5_6ELb0ES3_mN6thrust23THRUST_200600_302600_NS6detail15normal_iteratorINSA_10device_ptrItEEEEPS6_SG_NS0_5tupleIJSF_S6_EEENSH_IJSG_SG_EEES6_PlJNSB_9not_fun_tI7is_evenItEEEEEE10hipError_tPvRmT3_T4_T5_T6_T7_T9_mT8_P12ihipStream_tbDpT10_ENKUlT_T0_E_clISt17integral_constantIbLb1EES18_EEDaS13_S14_EUlS13_E_NS1_11comp_targetILNS1_3genE8ELNS1_11target_archE1030ELNS1_3gpuE2ELNS1_3repE0EEENS1_30default_config_static_selectorELNS0_4arch9wavefront6targetE0EEEvT1_.has_dyn_sized_stack, 0
	.set _ZN7rocprim17ROCPRIM_400000_NS6detail17trampoline_kernelINS0_14default_configENS1_25partition_config_selectorILNS1_17partition_subalgoE6EtNS0_10empty_typeEbEEZZNS1_14partition_implILS5_6ELb0ES3_mN6thrust23THRUST_200600_302600_NS6detail15normal_iteratorINSA_10device_ptrItEEEEPS6_SG_NS0_5tupleIJSF_S6_EEENSH_IJSG_SG_EEES6_PlJNSB_9not_fun_tI7is_evenItEEEEEE10hipError_tPvRmT3_T4_T5_T6_T7_T9_mT8_P12ihipStream_tbDpT10_ENKUlT_T0_E_clISt17integral_constantIbLb1EES18_EEDaS13_S14_EUlS13_E_NS1_11comp_targetILNS1_3genE8ELNS1_11target_archE1030ELNS1_3gpuE2ELNS1_3repE0EEENS1_30default_config_static_selectorELNS0_4arch9wavefront6targetE0EEEvT1_.has_recursion, 0
	.set _ZN7rocprim17ROCPRIM_400000_NS6detail17trampoline_kernelINS0_14default_configENS1_25partition_config_selectorILNS1_17partition_subalgoE6EtNS0_10empty_typeEbEEZZNS1_14partition_implILS5_6ELb0ES3_mN6thrust23THRUST_200600_302600_NS6detail15normal_iteratorINSA_10device_ptrItEEEEPS6_SG_NS0_5tupleIJSF_S6_EEENSH_IJSG_SG_EEES6_PlJNSB_9not_fun_tI7is_evenItEEEEEE10hipError_tPvRmT3_T4_T5_T6_T7_T9_mT8_P12ihipStream_tbDpT10_ENKUlT_T0_E_clISt17integral_constantIbLb1EES18_EEDaS13_S14_EUlS13_E_NS1_11comp_targetILNS1_3genE8ELNS1_11target_archE1030ELNS1_3gpuE2ELNS1_3repE0EEENS1_30default_config_static_selectorELNS0_4arch9wavefront6targetE0EEEvT1_.has_indirect_call, 0
	.section	.AMDGPU.csdata,"",@progbits
; Kernel info:
; codeLenInByte = 0
; TotalNumSgprs: 0
; NumVgprs: 0
; ScratchSize: 0
; MemoryBound: 0
; FloatMode: 240
; IeeeMode: 1
; LDSByteSize: 0 bytes/workgroup (compile time only)
; SGPRBlocks: 0
; VGPRBlocks: 0
; NumSGPRsForWavesPerEU: 1
; NumVGPRsForWavesPerEU: 1
; Occupancy: 16
; WaveLimiterHint : 0
; COMPUTE_PGM_RSRC2:SCRATCH_EN: 0
; COMPUTE_PGM_RSRC2:USER_SGPR: 2
; COMPUTE_PGM_RSRC2:TRAP_HANDLER: 0
; COMPUTE_PGM_RSRC2:TGID_X_EN: 1
; COMPUTE_PGM_RSRC2:TGID_Y_EN: 0
; COMPUTE_PGM_RSRC2:TGID_Z_EN: 0
; COMPUTE_PGM_RSRC2:TIDIG_COMP_CNT: 0
	.section	.text._ZN7rocprim17ROCPRIM_400000_NS6detail17trampoline_kernelINS0_14default_configENS1_25partition_config_selectorILNS1_17partition_subalgoE6EtNS0_10empty_typeEbEEZZNS1_14partition_implILS5_6ELb0ES3_mN6thrust23THRUST_200600_302600_NS6detail15normal_iteratorINSA_10device_ptrItEEEEPS6_SG_NS0_5tupleIJSF_S6_EEENSH_IJSG_SG_EEES6_PlJNSB_9not_fun_tI7is_evenItEEEEEE10hipError_tPvRmT3_T4_T5_T6_T7_T9_mT8_P12ihipStream_tbDpT10_ENKUlT_T0_E_clISt17integral_constantIbLb1EES17_IbLb0EEEEDaS13_S14_EUlS13_E_NS1_11comp_targetILNS1_3genE0ELNS1_11target_archE4294967295ELNS1_3gpuE0ELNS1_3repE0EEENS1_30default_config_static_selectorELNS0_4arch9wavefront6targetE0EEEvT1_,"axG",@progbits,_ZN7rocprim17ROCPRIM_400000_NS6detail17trampoline_kernelINS0_14default_configENS1_25partition_config_selectorILNS1_17partition_subalgoE6EtNS0_10empty_typeEbEEZZNS1_14partition_implILS5_6ELb0ES3_mN6thrust23THRUST_200600_302600_NS6detail15normal_iteratorINSA_10device_ptrItEEEEPS6_SG_NS0_5tupleIJSF_S6_EEENSH_IJSG_SG_EEES6_PlJNSB_9not_fun_tI7is_evenItEEEEEE10hipError_tPvRmT3_T4_T5_T6_T7_T9_mT8_P12ihipStream_tbDpT10_ENKUlT_T0_E_clISt17integral_constantIbLb1EES17_IbLb0EEEEDaS13_S14_EUlS13_E_NS1_11comp_targetILNS1_3genE0ELNS1_11target_archE4294967295ELNS1_3gpuE0ELNS1_3repE0EEENS1_30default_config_static_selectorELNS0_4arch9wavefront6targetE0EEEvT1_,comdat
	.protected	_ZN7rocprim17ROCPRIM_400000_NS6detail17trampoline_kernelINS0_14default_configENS1_25partition_config_selectorILNS1_17partition_subalgoE6EtNS0_10empty_typeEbEEZZNS1_14partition_implILS5_6ELb0ES3_mN6thrust23THRUST_200600_302600_NS6detail15normal_iteratorINSA_10device_ptrItEEEEPS6_SG_NS0_5tupleIJSF_S6_EEENSH_IJSG_SG_EEES6_PlJNSB_9not_fun_tI7is_evenItEEEEEE10hipError_tPvRmT3_T4_T5_T6_T7_T9_mT8_P12ihipStream_tbDpT10_ENKUlT_T0_E_clISt17integral_constantIbLb1EES17_IbLb0EEEEDaS13_S14_EUlS13_E_NS1_11comp_targetILNS1_3genE0ELNS1_11target_archE4294967295ELNS1_3gpuE0ELNS1_3repE0EEENS1_30default_config_static_selectorELNS0_4arch9wavefront6targetE0EEEvT1_ ; -- Begin function _ZN7rocprim17ROCPRIM_400000_NS6detail17trampoline_kernelINS0_14default_configENS1_25partition_config_selectorILNS1_17partition_subalgoE6EtNS0_10empty_typeEbEEZZNS1_14partition_implILS5_6ELb0ES3_mN6thrust23THRUST_200600_302600_NS6detail15normal_iteratorINSA_10device_ptrItEEEEPS6_SG_NS0_5tupleIJSF_S6_EEENSH_IJSG_SG_EEES6_PlJNSB_9not_fun_tI7is_evenItEEEEEE10hipError_tPvRmT3_T4_T5_T6_T7_T9_mT8_P12ihipStream_tbDpT10_ENKUlT_T0_E_clISt17integral_constantIbLb1EES17_IbLb0EEEEDaS13_S14_EUlS13_E_NS1_11comp_targetILNS1_3genE0ELNS1_11target_archE4294967295ELNS1_3gpuE0ELNS1_3repE0EEENS1_30default_config_static_selectorELNS0_4arch9wavefront6targetE0EEEvT1_
	.globl	_ZN7rocprim17ROCPRIM_400000_NS6detail17trampoline_kernelINS0_14default_configENS1_25partition_config_selectorILNS1_17partition_subalgoE6EtNS0_10empty_typeEbEEZZNS1_14partition_implILS5_6ELb0ES3_mN6thrust23THRUST_200600_302600_NS6detail15normal_iteratorINSA_10device_ptrItEEEEPS6_SG_NS0_5tupleIJSF_S6_EEENSH_IJSG_SG_EEES6_PlJNSB_9not_fun_tI7is_evenItEEEEEE10hipError_tPvRmT3_T4_T5_T6_T7_T9_mT8_P12ihipStream_tbDpT10_ENKUlT_T0_E_clISt17integral_constantIbLb1EES17_IbLb0EEEEDaS13_S14_EUlS13_E_NS1_11comp_targetILNS1_3genE0ELNS1_11target_archE4294967295ELNS1_3gpuE0ELNS1_3repE0EEENS1_30default_config_static_selectorELNS0_4arch9wavefront6targetE0EEEvT1_
	.p2align	8
	.type	_ZN7rocprim17ROCPRIM_400000_NS6detail17trampoline_kernelINS0_14default_configENS1_25partition_config_selectorILNS1_17partition_subalgoE6EtNS0_10empty_typeEbEEZZNS1_14partition_implILS5_6ELb0ES3_mN6thrust23THRUST_200600_302600_NS6detail15normal_iteratorINSA_10device_ptrItEEEEPS6_SG_NS0_5tupleIJSF_S6_EEENSH_IJSG_SG_EEES6_PlJNSB_9not_fun_tI7is_evenItEEEEEE10hipError_tPvRmT3_T4_T5_T6_T7_T9_mT8_P12ihipStream_tbDpT10_ENKUlT_T0_E_clISt17integral_constantIbLb1EES17_IbLb0EEEEDaS13_S14_EUlS13_E_NS1_11comp_targetILNS1_3genE0ELNS1_11target_archE4294967295ELNS1_3gpuE0ELNS1_3repE0EEENS1_30default_config_static_selectorELNS0_4arch9wavefront6targetE0EEEvT1_,@function
_ZN7rocprim17ROCPRIM_400000_NS6detail17trampoline_kernelINS0_14default_configENS1_25partition_config_selectorILNS1_17partition_subalgoE6EtNS0_10empty_typeEbEEZZNS1_14partition_implILS5_6ELb0ES3_mN6thrust23THRUST_200600_302600_NS6detail15normal_iteratorINSA_10device_ptrItEEEEPS6_SG_NS0_5tupleIJSF_S6_EEENSH_IJSG_SG_EEES6_PlJNSB_9not_fun_tI7is_evenItEEEEEE10hipError_tPvRmT3_T4_T5_T6_T7_T9_mT8_P12ihipStream_tbDpT10_ENKUlT_T0_E_clISt17integral_constantIbLb1EES17_IbLb0EEEEDaS13_S14_EUlS13_E_NS1_11comp_targetILNS1_3genE0ELNS1_11target_archE4294967295ELNS1_3gpuE0ELNS1_3repE0EEENS1_30default_config_static_selectorELNS0_4arch9wavefront6targetE0EEEvT1_: ; @_ZN7rocprim17ROCPRIM_400000_NS6detail17trampoline_kernelINS0_14default_configENS1_25partition_config_selectorILNS1_17partition_subalgoE6EtNS0_10empty_typeEbEEZZNS1_14partition_implILS5_6ELb0ES3_mN6thrust23THRUST_200600_302600_NS6detail15normal_iteratorINSA_10device_ptrItEEEEPS6_SG_NS0_5tupleIJSF_S6_EEENSH_IJSG_SG_EEES6_PlJNSB_9not_fun_tI7is_evenItEEEEEE10hipError_tPvRmT3_T4_T5_T6_T7_T9_mT8_P12ihipStream_tbDpT10_ENKUlT_T0_E_clISt17integral_constantIbLb1EES17_IbLb0EEEEDaS13_S14_EUlS13_E_NS1_11comp_targetILNS1_3genE0ELNS1_11target_archE4294967295ELNS1_3gpuE0ELNS1_3repE0EEENS1_30default_config_static_selectorELNS0_4arch9wavefront6targetE0EEEvT1_
; %bb.0:
	.section	.rodata,"a",@progbits
	.p2align	6, 0x0
	.amdhsa_kernel _ZN7rocprim17ROCPRIM_400000_NS6detail17trampoline_kernelINS0_14default_configENS1_25partition_config_selectorILNS1_17partition_subalgoE6EtNS0_10empty_typeEbEEZZNS1_14partition_implILS5_6ELb0ES3_mN6thrust23THRUST_200600_302600_NS6detail15normal_iteratorINSA_10device_ptrItEEEEPS6_SG_NS0_5tupleIJSF_S6_EEENSH_IJSG_SG_EEES6_PlJNSB_9not_fun_tI7is_evenItEEEEEE10hipError_tPvRmT3_T4_T5_T6_T7_T9_mT8_P12ihipStream_tbDpT10_ENKUlT_T0_E_clISt17integral_constantIbLb1EES17_IbLb0EEEEDaS13_S14_EUlS13_E_NS1_11comp_targetILNS1_3genE0ELNS1_11target_archE4294967295ELNS1_3gpuE0ELNS1_3repE0EEENS1_30default_config_static_selectorELNS0_4arch9wavefront6targetE0EEEvT1_
		.amdhsa_group_segment_fixed_size 0
		.amdhsa_private_segment_fixed_size 0
		.amdhsa_kernarg_size 112
		.amdhsa_user_sgpr_count 2
		.amdhsa_user_sgpr_dispatch_ptr 0
		.amdhsa_user_sgpr_queue_ptr 0
		.amdhsa_user_sgpr_kernarg_segment_ptr 1
		.amdhsa_user_sgpr_dispatch_id 0
		.amdhsa_user_sgpr_private_segment_size 0
		.amdhsa_wavefront_size32 1
		.amdhsa_uses_dynamic_stack 0
		.amdhsa_enable_private_segment 0
		.amdhsa_system_sgpr_workgroup_id_x 1
		.amdhsa_system_sgpr_workgroup_id_y 0
		.amdhsa_system_sgpr_workgroup_id_z 0
		.amdhsa_system_sgpr_workgroup_info 0
		.amdhsa_system_vgpr_workitem_id 0
		.amdhsa_next_free_vgpr 1
		.amdhsa_next_free_sgpr 1
		.amdhsa_reserve_vcc 0
		.amdhsa_float_round_mode_32 0
		.amdhsa_float_round_mode_16_64 0
		.amdhsa_float_denorm_mode_32 3
		.amdhsa_float_denorm_mode_16_64 3
		.amdhsa_fp16_overflow 0
		.amdhsa_workgroup_processor_mode 1
		.amdhsa_memory_ordered 1
		.amdhsa_forward_progress 1
		.amdhsa_inst_pref_size 0
		.amdhsa_round_robin_scheduling 0
		.amdhsa_exception_fp_ieee_invalid_op 0
		.amdhsa_exception_fp_denorm_src 0
		.amdhsa_exception_fp_ieee_div_zero 0
		.amdhsa_exception_fp_ieee_overflow 0
		.amdhsa_exception_fp_ieee_underflow 0
		.amdhsa_exception_fp_ieee_inexact 0
		.amdhsa_exception_int_div_zero 0
	.end_amdhsa_kernel
	.section	.text._ZN7rocprim17ROCPRIM_400000_NS6detail17trampoline_kernelINS0_14default_configENS1_25partition_config_selectorILNS1_17partition_subalgoE6EtNS0_10empty_typeEbEEZZNS1_14partition_implILS5_6ELb0ES3_mN6thrust23THRUST_200600_302600_NS6detail15normal_iteratorINSA_10device_ptrItEEEEPS6_SG_NS0_5tupleIJSF_S6_EEENSH_IJSG_SG_EEES6_PlJNSB_9not_fun_tI7is_evenItEEEEEE10hipError_tPvRmT3_T4_T5_T6_T7_T9_mT8_P12ihipStream_tbDpT10_ENKUlT_T0_E_clISt17integral_constantIbLb1EES17_IbLb0EEEEDaS13_S14_EUlS13_E_NS1_11comp_targetILNS1_3genE0ELNS1_11target_archE4294967295ELNS1_3gpuE0ELNS1_3repE0EEENS1_30default_config_static_selectorELNS0_4arch9wavefront6targetE0EEEvT1_,"axG",@progbits,_ZN7rocprim17ROCPRIM_400000_NS6detail17trampoline_kernelINS0_14default_configENS1_25partition_config_selectorILNS1_17partition_subalgoE6EtNS0_10empty_typeEbEEZZNS1_14partition_implILS5_6ELb0ES3_mN6thrust23THRUST_200600_302600_NS6detail15normal_iteratorINSA_10device_ptrItEEEEPS6_SG_NS0_5tupleIJSF_S6_EEENSH_IJSG_SG_EEES6_PlJNSB_9not_fun_tI7is_evenItEEEEEE10hipError_tPvRmT3_T4_T5_T6_T7_T9_mT8_P12ihipStream_tbDpT10_ENKUlT_T0_E_clISt17integral_constantIbLb1EES17_IbLb0EEEEDaS13_S14_EUlS13_E_NS1_11comp_targetILNS1_3genE0ELNS1_11target_archE4294967295ELNS1_3gpuE0ELNS1_3repE0EEENS1_30default_config_static_selectorELNS0_4arch9wavefront6targetE0EEEvT1_,comdat
.Lfunc_end677:
	.size	_ZN7rocprim17ROCPRIM_400000_NS6detail17trampoline_kernelINS0_14default_configENS1_25partition_config_selectorILNS1_17partition_subalgoE6EtNS0_10empty_typeEbEEZZNS1_14partition_implILS5_6ELb0ES3_mN6thrust23THRUST_200600_302600_NS6detail15normal_iteratorINSA_10device_ptrItEEEEPS6_SG_NS0_5tupleIJSF_S6_EEENSH_IJSG_SG_EEES6_PlJNSB_9not_fun_tI7is_evenItEEEEEE10hipError_tPvRmT3_T4_T5_T6_T7_T9_mT8_P12ihipStream_tbDpT10_ENKUlT_T0_E_clISt17integral_constantIbLb1EES17_IbLb0EEEEDaS13_S14_EUlS13_E_NS1_11comp_targetILNS1_3genE0ELNS1_11target_archE4294967295ELNS1_3gpuE0ELNS1_3repE0EEENS1_30default_config_static_selectorELNS0_4arch9wavefront6targetE0EEEvT1_, .Lfunc_end677-_ZN7rocprim17ROCPRIM_400000_NS6detail17trampoline_kernelINS0_14default_configENS1_25partition_config_selectorILNS1_17partition_subalgoE6EtNS0_10empty_typeEbEEZZNS1_14partition_implILS5_6ELb0ES3_mN6thrust23THRUST_200600_302600_NS6detail15normal_iteratorINSA_10device_ptrItEEEEPS6_SG_NS0_5tupleIJSF_S6_EEENSH_IJSG_SG_EEES6_PlJNSB_9not_fun_tI7is_evenItEEEEEE10hipError_tPvRmT3_T4_T5_T6_T7_T9_mT8_P12ihipStream_tbDpT10_ENKUlT_T0_E_clISt17integral_constantIbLb1EES17_IbLb0EEEEDaS13_S14_EUlS13_E_NS1_11comp_targetILNS1_3genE0ELNS1_11target_archE4294967295ELNS1_3gpuE0ELNS1_3repE0EEENS1_30default_config_static_selectorELNS0_4arch9wavefront6targetE0EEEvT1_
                                        ; -- End function
	.set _ZN7rocprim17ROCPRIM_400000_NS6detail17trampoline_kernelINS0_14default_configENS1_25partition_config_selectorILNS1_17partition_subalgoE6EtNS0_10empty_typeEbEEZZNS1_14partition_implILS5_6ELb0ES3_mN6thrust23THRUST_200600_302600_NS6detail15normal_iteratorINSA_10device_ptrItEEEEPS6_SG_NS0_5tupleIJSF_S6_EEENSH_IJSG_SG_EEES6_PlJNSB_9not_fun_tI7is_evenItEEEEEE10hipError_tPvRmT3_T4_T5_T6_T7_T9_mT8_P12ihipStream_tbDpT10_ENKUlT_T0_E_clISt17integral_constantIbLb1EES17_IbLb0EEEEDaS13_S14_EUlS13_E_NS1_11comp_targetILNS1_3genE0ELNS1_11target_archE4294967295ELNS1_3gpuE0ELNS1_3repE0EEENS1_30default_config_static_selectorELNS0_4arch9wavefront6targetE0EEEvT1_.num_vgpr, 0
	.set _ZN7rocprim17ROCPRIM_400000_NS6detail17trampoline_kernelINS0_14default_configENS1_25partition_config_selectorILNS1_17partition_subalgoE6EtNS0_10empty_typeEbEEZZNS1_14partition_implILS5_6ELb0ES3_mN6thrust23THRUST_200600_302600_NS6detail15normal_iteratorINSA_10device_ptrItEEEEPS6_SG_NS0_5tupleIJSF_S6_EEENSH_IJSG_SG_EEES6_PlJNSB_9not_fun_tI7is_evenItEEEEEE10hipError_tPvRmT3_T4_T5_T6_T7_T9_mT8_P12ihipStream_tbDpT10_ENKUlT_T0_E_clISt17integral_constantIbLb1EES17_IbLb0EEEEDaS13_S14_EUlS13_E_NS1_11comp_targetILNS1_3genE0ELNS1_11target_archE4294967295ELNS1_3gpuE0ELNS1_3repE0EEENS1_30default_config_static_selectorELNS0_4arch9wavefront6targetE0EEEvT1_.num_agpr, 0
	.set _ZN7rocprim17ROCPRIM_400000_NS6detail17trampoline_kernelINS0_14default_configENS1_25partition_config_selectorILNS1_17partition_subalgoE6EtNS0_10empty_typeEbEEZZNS1_14partition_implILS5_6ELb0ES3_mN6thrust23THRUST_200600_302600_NS6detail15normal_iteratorINSA_10device_ptrItEEEEPS6_SG_NS0_5tupleIJSF_S6_EEENSH_IJSG_SG_EEES6_PlJNSB_9not_fun_tI7is_evenItEEEEEE10hipError_tPvRmT3_T4_T5_T6_T7_T9_mT8_P12ihipStream_tbDpT10_ENKUlT_T0_E_clISt17integral_constantIbLb1EES17_IbLb0EEEEDaS13_S14_EUlS13_E_NS1_11comp_targetILNS1_3genE0ELNS1_11target_archE4294967295ELNS1_3gpuE0ELNS1_3repE0EEENS1_30default_config_static_selectorELNS0_4arch9wavefront6targetE0EEEvT1_.numbered_sgpr, 0
	.set _ZN7rocprim17ROCPRIM_400000_NS6detail17trampoline_kernelINS0_14default_configENS1_25partition_config_selectorILNS1_17partition_subalgoE6EtNS0_10empty_typeEbEEZZNS1_14partition_implILS5_6ELb0ES3_mN6thrust23THRUST_200600_302600_NS6detail15normal_iteratorINSA_10device_ptrItEEEEPS6_SG_NS0_5tupleIJSF_S6_EEENSH_IJSG_SG_EEES6_PlJNSB_9not_fun_tI7is_evenItEEEEEE10hipError_tPvRmT3_T4_T5_T6_T7_T9_mT8_P12ihipStream_tbDpT10_ENKUlT_T0_E_clISt17integral_constantIbLb1EES17_IbLb0EEEEDaS13_S14_EUlS13_E_NS1_11comp_targetILNS1_3genE0ELNS1_11target_archE4294967295ELNS1_3gpuE0ELNS1_3repE0EEENS1_30default_config_static_selectorELNS0_4arch9wavefront6targetE0EEEvT1_.num_named_barrier, 0
	.set _ZN7rocprim17ROCPRIM_400000_NS6detail17trampoline_kernelINS0_14default_configENS1_25partition_config_selectorILNS1_17partition_subalgoE6EtNS0_10empty_typeEbEEZZNS1_14partition_implILS5_6ELb0ES3_mN6thrust23THRUST_200600_302600_NS6detail15normal_iteratorINSA_10device_ptrItEEEEPS6_SG_NS0_5tupleIJSF_S6_EEENSH_IJSG_SG_EEES6_PlJNSB_9not_fun_tI7is_evenItEEEEEE10hipError_tPvRmT3_T4_T5_T6_T7_T9_mT8_P12ihipStream_tbDpT10_ENKUlT_T0_E_clISt17integral_constantIbLb1EES17_IbLb0EEEEDaS13_S14_EUlS13_E_NS1_11comp_targetILNS1_3genE0ELNS1_11target_archE4294967295ELNS1_3gpuE0ELNS1_3repE0EEENS1_30default_config_static_selectorELNS0_4arch9wavefront6targetE0EEEvT1_.private_seg_size, 0
	.set _ZN7rocprim17ROCPRIM_400000_NS6detail17trampoline_kernelINS0_14default_configENS1_25partition_config_selectorILNS1_17partition_subalgoE6EtNS0_10empty_typeEbEEZZNS1_14partition_implILS5_6ELb0ES3_mN6thrust23THRUST_200600_302600_NS6detail15normal_iteratorINSA_10device_ptrItEEEEPS6_SG_NS0_5tupleIJSF_S6_EEENSH_IJSG_SG_EEES6_PlJNSB_9not_fun_tI7is_evenItEEEEEE10hipError_tPvRmT3_T4_T5_T6_T7_T9_mT8_P12ihipStream_tbDpT10_ENKUlT_T0_E_clISt17integral_constantIbLb1EES17_IbLb0EEEEDaS13_S14_EUlS13_E_NS1_11comp_targetILNS1_3genE0ELNS1_11target_archE4294967295ELNS1_3gpuE0ELNS1_3repE0EEENS1_30default_config_static_selectorELNS0_4arch9wavefront6targetE0EEEvT1_.uses_vcc, 0
	.set _ZN7rocprim17ROCPRIM_400000_NS6detail17trampoline_kernelINS0_14default_configENS1_25partition_config_selectorILNS1_17partition_subalgoE6EtNS0_10empty_typeEbEEZZNS1_14partition_implILS5_6ELb0ES3_mN6thrust23THRUST_200600_302600_NS6detail15normal_iteratorINSA_10device_ptrItEEEEPS6_SG_NS0_5tupleIJSF_S6_EEENSH_IJSG_SG_EEES6_PlJNSB_9not_fun_tI7is_evenItEEEEEE10hipError_tPvRmT3_T4_T5_T6_T7_T9_mT8_P12ihipStream_tbDpT10_ENKUlT_T0_E_clISt17integral_constantIbLb1EES17_IbLb0EEEEDaS13_S14_EUlS13_E_NS1_11comp_targetILNS1_3genE0ELNS1_11target_archE4294967295ELNS1_3gpuE0ELNS1_3repE0EEENS1_30default_config_static_selectorELNS0_4arch9wavefront6targetE0EEEvT1_.uses_flat_scratch, 0
	.set _ZN7rocprim17ROCPRIM_400000_NS6detail17trampoline_kernelINS0_14default_configENS1_25partition_config_selectorILNS1_17partition_subalgoE6EtNS0_10empty_typeEbEEZZNS1_14partition_implILS5_6ELb0ES3_mN6thrust23THRUST_200600_302600_NS6detail15normal_iteratorINSA_10device_ptrItEEEEPS6_SG_NS0_5tupleIJSF_S6_EEENSH_IJSG_SG_EEES6_PlJNSB_9not_fun_tI7is_evenItEEEEEE10hipError_tPvRmT3_T4_T5_T6_T7_T9_mT8_P12ihipStream_tbDpT10_ENKUlT_T0_E_clISt17integral_constantIbLb1EES17_IbLb0EEEEDaS13_S14_EUlS13_E_NS1_11comp_targetILNS1_3genE0ELNS1_11target_archE4294967295ELNS1_3gpuE0ELNS1_3repE0EEENS1_30default_config_static_selectorELNS0_4arch9wavefront6targetE0EEEvT1_.has_dyn_sized_stack, 0
	.set _ZN7rocprim17ROCPRIM_400000_NS6detail17trampoline_kernelINS0_14default_configENS1_25partition_config_selectorILNS1_17partition_subalgoE6EtNS0_10empty_typeEbEEZZNS1_14partition_implILS5_6ELb0ES3_mN6thrust23THRUST_200600_302600_NS6detail15normal_iteratorINSA_10device_ptrItEEEEPS6_SG_NS0_5tupleIJSF_S6_EEENSH_IJSG_SG_EEES6_PlJNSB_9not_fun_tI7is_evenItEEEEEE10hipError_tPvRmT3_T4_T5_T6_T7_T9_mT8_P12ihipStream_tbDpT10_ENKUlT_T0_E_clISt17integral_constantIbLb1EES17_IbLb0EEEEDaS13_S14_EUlS13_E_NS1_11comp_targetILNS1_3genE0ELNS1_11target_archE4294967295ELNS1_3gpuE0ELNS1_3repE0EEENS1_30default_config_static_selectorELNS0_4arch9wavefront6targetE0EEEvT1_.has_recursion, 0
	.set _ZN7rocprim17ROCPRIM_400000_NS6detail17trampoline_kernelINS0_14default_configENS1_25partition_config_selectorILNS1_17partition_subalgoE6EtNS0_10empty_typeEbEEZZNS1_14partition_implILS5_6ELb0ES3_mN6thrust23THRUST_200600_302600_NS6detail15normal_iteratorINSA_10device_ptrItEEEEPS6_SG_NS0_5tupleIJSF_S6_EEENSH_IJSG_SG_EEES6_PlJNSB_9not_fun_tI7is_evenItEEEEEE10hipError_tPvRmT3_T4_T5_T6_T7_T9_mT8_P12ihipStream_tbDpT10_ENKUlT_T0_E_clISt17integral_constantIbLb1EES17_IbLb0EEEEDaS13_S14_EUlS13_E_NS1_11comp_targetILNS1_3genE0ELNS1_11target_archE4294967295ELNS1_3gpuE0ELNS1_3repE0EEENS1_30default_config_static_selectorELNS0_4arch9wavefront6targetE0EEEvT1_.has_indirect_call, 0
	.section	.AMDGPU.csdata,"",@progbits
; Kernel info:
; codeLenInByte = 0
; TotalNumSgprs: 0
; NumVgprs: 0
; ScratchSize: 0
; MemoryBound: 0
; FloatMode: 240
; IeeeMode: 1
; LDSByteSize: 0 bytes/workgroup (compile time only)
; SGPRBlocks: 0
; VGPRBlocks: 0
; NumSGPRsForWavesPerEU: 1
; NumVGPRsForWavesPerEU: 1
; Occupancy: 16
; WaveLimiterHint : 0
; COMPUTE_PGM_RSRC2:SCRATCH_EN: 0
; COMPUTE_PGM_RSRC2:USER_SGPR: 2
; COMPUTE_PGM_RSRC2:TRAP_HANDLER: 0
; COMPUTE_PGM_RSRC2:TGID_X_EN: 1
; COMPUTE_PGM_RSRC2:TGID_Y_EN: 0
; COMPUTE_PGM_RSRC2:TGID_Z_EN: 0
; COMPUTE_PGM_RSRC2:TIDIG_COMP_CNT: 0
	.section	.text._ZN7rocprim17ROCPRIM_400000_NS6detail17trampoline_kernelINS0_14default_configENS1_25partition_config_selectorILNS1_17partition_subalgoE6EtNS0_10empty_typeEbEEZZNS1_14partition_implILS5_6ELb0ES3_mN6thrust23THRUST_200600_302600_NS6detail15normal_iteratorINSA_10device_ptrItEEEEPS6_SG_NS0_5tupleIJSF_S6_EEENSH_IJSG_SG_EEES6_PlJNSB_9not_fun_tI7is_evenItEEEEEE10hipError_tPvRmT3_T4_T5_T6_T7_T9_mT8_P12ihipStream_tbDpT10_ENKUlT_T0_E_clISt17integral_constantIbLb1EES17_IbLb0EEEEDaS13_S14_EUlS13_E_NS1_11comp_targetILNS1_3genE5ELNS1_11target_archE942ELNS1_3gpuE9ELNS1_3repE0EEENS1_30default_config_static_selectorELNS0_4arch9wavefront6targetE0EEEvT1_,"axG",@progbits,_ZN7rocprim17ROCPRIM_400000_NS6detail17trampoline_kernelINS0_14default_configENS1_25partition_config_selectorILNS1_17partition_subalgoE6EtNS0_10empty_typeEbEEZZNS1_14partition_implILS5_6ELb0ES3_mN6thrust23THRUST_200600_302600_NS6detail15normal_iteratorINSA_10device_ptrItEEEEPS6_SG_NS0_5tupleIJSF_S6_EEENSH_IJSG_SG_EEES6_PlJNSB_9not_fun_tI7is_evenItEEEEEE10hipError_tPvRmT3_T4_T5_T6_T7_T9_mT8_P12ihipStream_tbDpT10_ENKUlT_T0_E_clISt17integral_constantIbLb1EES17_IbLb0EEEEDaS13_S14_EUlS13_E_NS1_11comp_targetILNS1_3genE5ELNS1_11target_archE942ELNS1_3gpuE9ELNS1_3repE0EEENS1_30default_config_static_selectorELNS0_4arch9wavefront6targetE0EEEvT1_,comdat
	.protected	_ZN7rocprim17ROCPRIM_400000_NS6detail17trampoline_kernelINS0_14default_configENS1_25partition_config_selectorILNS1_17partition_subalgoE6EtNS0_10empty_typeEbEEZZNS1_14partition_implILS5_6ELb0ES3_mN6thrust23THRUST_200600_302600_NS6detail15normal_iteratorINSA_10device_ptrItEEEEPS6_SG_NS0_5tupleIJSF_S6_EEENSH_IJSG_SG_EEES6_PlJNSB_9not_fun_tI7is_evenItEEEEEE10hipError_tPvRmT3_T4_T5_T6_T7_T9_mT8_P12ihipStream_tbDpT10_ENKUlT_T0_E_clISt17integral_constantIbLb1EES17_IbLb0EEEEDaS13_S14_EUlS13_E_NS1_11comp_targetILNS1_3genE5ELNS1_11target_archE942ELNS1_3gpuE9ELNS1_3repE0EEENS1_30default_config_static_selectorELNS0_4arch9wavefront6targetE0EEEvT1_ ; -- Begin function _ZN7rocprim17ROCPRIM_400000_NS6detail17trampoline_kernelINS0_14default_configENS1_25partition_config_selectorILNS1_17partition_subalgoE6EtNS0_10empty_typeEbEEZZNS1_14partition_implILS5_6ELb0ES3_mN6thrust23THRUST_200600_302600_NS6detail15normal_iteratorINSA_10device_ptrItEEEEPS6_SG_NS0_5tupleIJSF_S6_EEENSH_IJSG_SG_EEES6_PlJNSB_9not_fun_tI7is_evenItEEEEEE10hipError_tPvRmT3_T4_T5_T6_T7_T9_mT8_P12ihipStream_tbDpT10_ENKUlT_T0_E_clISt17integral_constantIbLb1EES17_IbLb0EEEEDaS13_S14_EUlS13_E_NS1_11comp_targetILNS1_3genE5ELNS1_11target_archE942ELNS1_3gpuE9ELNS1_3repE0EEENS1_30default_config_static_selectorELNS0_4arch9wavefront6targetE0EEEvT1_
	.globl	_ZN7rocprim17ROCPRIM_400000_NS6detail17trampoline_kernelINS0_14default_configENS1_25partition_config_selectorILNS1_17partition_subalgoE6EtNS0_10empty_typeEbEEZZNS1_14partition_implILS5_6ELb0ES3_mN6thrust23THRUST_200600_302600_NS6detail15normal_iteratorINSA_10device_ptrItEEEEPS6_SG_NS0_5tupleIJSF_S6_EEENSH_IJSG_SG_EEES6_PlJNSB_9not_fun_tI7is_evenItEEEEEE10hipError_tPvRmT3_T4_T5_T6_T7_T9_mT8_P12ihipStream_tbDpT10_ENKUlT_T0_E_clISt17integral_constantIbLb1EES17_IbLb0EEEEDaS13_S14_EUlS13_E_NS1_11comp_targetILNS1_3genE5ELNS1_11target_archE942ELNS1_3gpuE9ELNS1_3repE0EEENS1_30default_config_static_selectorELNS0_4arch9wavefront6targetE0EEEvT1_
	.p2align	8
	.type	_ZN7rocprim17ROCPRIM_400000_NS6detail17trampoline_kernelINS0_14default_configENS1_25partition_config_selectorILNS1_17partition_subalgoE6EtNS0_10empty_typeEbEEZZNS1_14partition_implILS5_6ELb0ES3_mN6thrust23THRUST_200600_302600_NS6detail15normal_iteratorINSA_10device_ptrItEEEEPS6_SG_NS0_5tupleIJSF_S6_EEENSH_IJSG_SG_EEES6_PlJNSB_9not_fun_tI7is_evenItEEEEEE10hipError_tPvRmT3_T4_T5_T6_T7_T9_mT8_P12ihipStream_tbDpT10_ENKUlT_T0_E_clISt17integral_constantIbLb1EES17_IbLb0EEEEDaS13_S14_EUlS13_E_NS1_11comp_targetILNS1_3genE5ELNS1_11target_archE942ELNS1_3gpuE9ELNS1_3repE0EEENS1_30default_config_static_selectorELNS0_4arch9wavefront6targetE0EEEvT1_,@function
_ZN7rocprim17ROCPRIM_400000_NS6detail17trampoline_kernelINS0_14default_configENS1_25partition_config_selectorILNS1_17partition_subalgoE6EtNS0_10empty_typeEbEEZZNS1_14partition_implILS5_6ELb0ES3_mN6thrust23THRUST_200600_302600_NS6detail15normal_iteratorINSA_10device_ptrItEEEEPS6_SG_NS0_5tupleIJSF_S6_EEENSH_IJSG_SG_EEES6_PlJNSB_9not_fun_tI7is_evenItEEEEEE10hipError_tPvRmT3_T4_T5_T6_T7_T9_mT8_P12ihipStream_tbDpT10_ENKUlT_T0_E_clISt17integral_constantIbLb1EES17_IbLb0EEEEDaS13_S14_EUlS13_E_NS1_11comp_targetILNS1_3genE5ELNS1_11target_archE942ELNS1_3gpuE9ELNS1_3repE0EEENS1_30default_config_static_selectorELNS0_4arch9wavefront6targetE0EEEvT1_: ; @_ZN7rocprim17ROCPRIM_400000_NS6detail17trampoline_kernelINS0_14default_configENS1_25partition_config_selectorILNS1_17partition_subalgoE6EtNS0_10empty_typeEbEEZZNS1_14partition_implILS5_6ELb0ES3_mN6thrust23THRUST_200600_302600_NS6detail15normal_iteratorINSA_10device_ptrItEEEEPS6_SG_NS0_5tupleIJSF_S6_EEENSH_IJSG_SG_EEES6_PlJNSB_9not_fun_tI7is_evenItEEEEEE10hipError_tPvRmT3_T4_T5_T6_T7_T9_mT8_P12ihipStream_tbDpT10_ENKUlT_T0_E_clISt17integral_constantIbLb1EES17_IbLb0EEEEDaS13_S14_EUlS13_E_NS1_11comp_targetILNS1_3genE5ELNS1_11target_archE942ELNS1_3gpuE9ELNS1_3repE0EEENS1_30default_config_static_selectorELNS0_4arch9wavefront6targetE0EEEvT1_
; %bb.0:
	.section	.rodata,"a",@progbits
	.p2align	6, 0x0
	.amdhsa_kernel _ZN7rocprim17ROCPRIM_400000_NS6detail17trampoline_kernelINS0_14default_configENS1_25partition_config_selectorILNS1_17partition_subalgoE6EtNS0_10empty_typeEbEEZZNS1_14partition_implILS5_6ELb0ES3_mN6thrust23THRUST_200600_302600_NS6detail15normal_iteratorINSA_10device_ptrItEEEEPS6_SG_NS0_5tupleIJSF_S6_EEENSH_IJSG_SG_EEES6_PlJNSB_9not_fun_tI7is_evenItEEEEEE10hipError_tPvRmT3_T4_T5_T6_T7_T9_mT8_P12ihipStream_tbDpT10_ENKUlT_T0_E_clISt17integral_constantIbLb1EES17_IbLb0EEEEDaS13_S14_EUlS13_E_NS1_11comp_targetILNS1_3genE5ELNS1_11target_archE942ELNS1_3gpuE9ELNS1_3repE0EEENS1_30default_config_static_selectorELNS0_4arch9wavefront6targetE0EEEvT1_
		.amdhsa_group_segment_fixed_size 0
		.amdhsa_private_segment_fixed_size 0
		.amdhsa_kernarg_size 112
		.amdhsa_user_sgpr_count 2
		.amdhsa_user_sgpr_dispatch_ptr 0
		.amdhsa_user_sgpr_queue_ptr 0
		.amdhsa_user_sgpr_kernarg_segment_ptr 1
		.amdhsa_user_sgpr_dispatch_id 0
		.amdhsa_user_sgpr_private_segment_size 0
		.amdhsa_wavefront_size32 1
		.amdhsa_uses_dynamic_stack 0
		.amdhsa_enable_private_segment 0
		.amdhsa_system_sgpr_workgroup_id_x 1
		.amdhsa_system_sgpr_workgroup_id_y 0
		.amdhsa_system_sgpr_workgroup_id_z 0
		.amdhsa_system_sgpr_workgroup_info 0
		.amdhsa_system_vgpr_workitem_id 0
		.amdhsa_next_free_vgpr 1
		.amdhsa_next_free_sgpr 1
		.amdhsa_reserve_vcc 0
		.amdhsa_float_round_mode_32 0
		.amdhsa_float_round_mode_16_64 0
		.amdhsa_float_denorm_mode_32 3
		.amdhsa_float_denorm_mode_16_64 3
		.amdhsa_fp16_overflow 0
		.amdhsa_workgroup_processor_mode 1
		.amdhsa_memory_ordered 1
		.amdhsa_forward_progress 1
		.amdhsa_inst_pref_size 0
		.amdhsa_round_robin_scheduling 0
		.amdhsa_exception_fp_ieee_invalid_op 0
		.amdhsa_exception_fp_denorm_src 0
		.amdhsa_exception_fp_ieee_div_zero 0
		.amdhsa_exception_fp_ieee_overflow 0
		.amdhsa_exception_fp_ieee_underflow 0
		.amdhsa_exception_fp_ieee_inexact 0
		.amdhsa_exception_int_div_zero 0
	.end_amdhsa_kernel
	.section	.text._ZN7rocprim17ROCPRIM_400000_NS6detail17trampoline_kernelINS0_14default_configENS1_25partition_config_selectorILNS1_17partition_subalgoE6EtNS0_10empty_typeEbEEZZNS1_14partition_implILS5_6ELb0ES3_mN6thrust23THRUST_200600_302600_NS6detail15normal_iteratorINSA_10device_ptrItEEEEPS6_SG_NS0_5tupleIJSF_S6_EEENSH_IJSG_SG_EEES6_PlJNSB_9not_fun_tI7is_evenItEEEEEE10hipError_tPvRmT3_T4_T5_T6_T7_T9_mT8_P12ihipStream_tbDpT10_ENKUlT_T0_E_clISt17integral_constantIbLb1EES17_IbLb0EEEEDaS13_S14_EUlS13_E_NS1_11comp_targetILNS1_3genE5ELNS1_11target_archE942ELNS1_3gpuE9ELNS1_3repE0EEENS1_30default_config_static_selectorELNS0_4arch9wavefront6targetE0EEEvT1_,"axG",@progbits,_ZN7rocprim17ROCPRIM_400000_NS6detail17trampoline_kernelINS0_14default_configENS1_25partition_config_selectorILNS1_17partition_subalgoE6EtNS0_10empty_typeEbEEZZNS1_14partition_implILS5_6ELb0ES3_mN6thrust23THRUST_200600_302600_NS6detail15normal_iteratorINSA_10device_ptrItEEEEPS6_SG_NS0_5tupleIJSF_S6_EEENSH_IJSG_SG_EEES6_PlJNSB_9not_fun_tI7is_evenItEEEEEE10hipError_tPvRmT3_T4_T5_T6_T7_T9_mT8_P12ihipStream_tbDpT10_ENKUlT_T0_E_clISt17integral_constantIbLb1EES17_IbLb0EEEEDaS13_S14_EUlS13_E_NS1_11comp_targetILNS1_3genE5ELNS1_11target_archE942ELNS1_3gpuE9ELNS1_3repE0EEENS1_30default_config_static_selectorELNS0_4arch9wavefront6targetE0EEEvT1_,comdat
.Lfunc_end678:
	.size	_ZN7rocprim17ROCPRIM_400000_NS6detail17trampoline_kernelINS0_14default_configENS1_25partition_config_selectorILNS1_17partition_subalgoE6EtNS0_10empty_typeEbEEZZNS1_14partition_implILS5_6ELb0ES3_mN6thrust23THRUST_200600_302600_NS6detail15normal_iteratorINSA_10device_ptrItEEEEPS6_SG_NS0_5tupleIJSF_S6_EEENSH_IJSG_SG_EEES6_PlJNSB_9not_fun_tI7is_evenItEEEEEE10hipError_tPvRmT3_T4_T5_T6_T7_T9_mT8_P12ihipStream_tbDpT10_ENKUlT_T0_E_clISt17integral_constantIbLb1EES17_IbLb0EEEEDaS13_S14_EUlS13_E_NS1_11comp_targetILNS1_3genE5ELNS1_11target_archE942ELNS1_3gpuE9ELNS1_3repE0EEENS1_30default_config_static_selectorELNS0_4arch9wavefront6targetE0EEEvT1_, .Lfunc_end678-_ZN7rocprim17ROCPRIM_400000_NS6detail17trampoline_kernelINS0_14default_configENS1_25partition_config_selectorILNS1_17partition_subalgoE6EtNS0_10empty_typeEbEEZZNS1_14partition_implILS5_6ELb0ES3_mN6thrust23THRUST_200600_302600_NS6detail15normal_iteratorINSA_10device_ptrItEEEEPS6_SG_NS0_5tupleIJSF_S6_EEENSH_IJSG_SG_EEES6_PlJNSB_9not_fun_tI7is_evenItEEEEEE10hipError_tPvRmT3_T4_T5_T6_T7_T9_mT8_P12ihipStream_tbDpT10_ENKUlT_T0_E_clISt17integral_constantIbLb1EES17_IbLb0EEEEDaS13_S14_EUlS13_E_NS1_11comp_targetILNS1_3genE5ELNS1_11target_archE942ELNS1_3gpuE9ELNS1_3repE0EEENS1_30default_config_static_selectorELNS0_4arch9wavefront6targetE0EEEvT1_
                                        ; -- End function
	.set _ZN7rocprim17ROCPRIM_400000_NS6detail17trampoline_kernelINS0_14default_configENS1_25partition_config_selectorILNS1_17partition_subalgoE6EtNS0_10empty_typeEbEEZZNS1_14partition_implILS5_6ELb0ES3_mN6thrust23THRUST_200600_302600_NS6detail15normal_iteratorINSA_10device_ptrItEEEEPS6_SG_NS0_5tupleIJSF_S6_EEENSH_IJSG_SG_EEES6_PlJNSB_9not_fun_tI7is_evenItEEEEEE10hipError_tPvRmT3_T4_T5_T6_T7_T9_mT8_P12ihipStream_tbDpT10_ENKUlT_T0_E_clISt17integral_constantIbLb1EES17_IbLb0EEEEDaS13_S14_EUlS13_E_NS1_11comp_targetILNS1_3genE5ELNS1_11target_archE942ELNS1_3gpuE9ELNS1_3repE0EEENS1_30default_config_static_selectorELNS0_4arch9wavefront6targetE0EEEvT1_.num_vgpr, 0
	.set _ZN7rocprim17ROCPRIM_400000_NS6detail17trampoline_kernelINS0_14default_configENS1_25partition_config_selectorILNS1_17partition_subalgoE6EtNS0_10empty_typeEbEEZZNS1_14partition_implILS5_6ELb0ES3_mN6thrust23THRUST_200600_302600_NS6detail15normal_iteratorINSA_10device_ptrItEEEEPS6_SG_NS0_5tupleIJSF_S6_EEENSH_IJSG_SG_EEES6_PlJNSB_9not_fun_tI7is_evenItEEEEEE10hipError_tPvRmT3_T4_T5_T6_T7_T9_mT8_P12ihipStream_tbDpT10_ENKUlT_T0_E_clISt17integral_constantIbLb1EES17_IbLb0EEEEDaS13_S14_EUlS13_E_NS1_11comp_targetILNS1_3genE5ELNS1_11target_archE942ELNS1_3gpuE9ELNS1_3repE0EEENS1_30default_config_static_selectorELNS0_4arch9wavefront6targetE0EEEvT1_.num_agpr, 0
	.set _ZN7rocprim17ROCPRIM_400000_NS6detail17trampoline_kernelINS0_14default_configENS1_25partition_config_selectorILNS1_17partition_subalgoE6EtNS0_10empty_typeEbEEZZNS1_14partition_implILS5_6ELb0ES3_mN6thrust23THRUST_200600_302600_NS6detail15normal_iteratorINSA_10device_ptrItEEEEPS6_SG_NS0_5tupleIJSF_S6_EEENSH_IJSG_SG_EEES6_PlJNSB_9not_fun_tI7is_evenItEEEEEE10hipError_tPvRmT3_T4_T5_T6_T7_T9_mT8_P12ihipStream_tbDpT10_ENKUlT_T0_E_clISt17integral_constantIbLb1EES17_IbLb0EEEEDaS13_S14_EUlS13_E_NS1_11comp_targetILNS1_3genE5ELNS1_11target_archE942ELNS1_3gpuE9ELNS1_3repE0EEENS1_30default_config_static_selectorELNS0_4arch9wavefront6targetE0EEEvT1_.numbered_sgpr, 0
	.set _ZN7rocprim17ROCPRIM_400000_NS6detail17trampoline_kernelINS0_14default_configENS1_25partition_config_selectorILNS1_17partition_subalgoE6EtNS0_10empty_typeEbEEZZNS1_14partition_implILS5_6ELb0ES3_mN6thrust23THRUST_200600_302600_NS6detail15normal_iteratorINSA_10device_ptrItEEEEPS6_SG_NS0_5tupleIJSF_S6_EEENSH_IJSG_SG_EEES6_PlJNSB_9not_fun_tI7is_evenItEEEEEE10hipError_tPvRmT3_T4_T5_T6_T7_T9_mT8_P12ihipStream_tbDpT10_ENKUlT_T0_E_clISt17integral_constantIbLb1EES17_IbLb0EEEEDaS13_S14_EUlS13_E_NS1_11comp_targetILNS1_3genE5ELNS1_11target_archE942ELNS1_3gpuE9ELNS1_3repE0EEENS1_30default_config_static_selectorELNS0_4arch9wavefront6targetE0EEEvT1_.num_named_barrier, 0
	.set _ZN7rocprim17ROCPRIM_400000_NS6detail17trampoline_kernelINS0_14default_configENS1_25partition_config_selectorILNS1_17partition_subalgoE6EtNS0_10empty_typeEbEEZZNS1_14partition_implILS5_6ELb0ES3_mN6thrust23THRUST_200600_302600_NS6detail15normal_iteratorINSA_10device_ptrItEEEEPS6_SG_NS0_5tupleIJSF_S6_EEENSH_IJSG_SG_EEES6_PlJNSB_9not_fun_tI7is_evenItEEEEEE10hipError_tPvRmT3_T4_T5_T6_T7_T9_mT8_P12ihipStream_tbDpT10_ENKUlT_T0_E_clISt17integral_constantIbLb1EES17_IbLb0EEEEDaS13_S14_EUlS13_E_NS1_11comp_targetILNS1_3genE5ELNS1_11target_archE942ELNS1_3gpuE9ELNS1_3repE0EEENS1_30default_config_static_selectorELNS0_4arch9wavefront6targetE0EEEvT1_.private_seg_size, 0
	.set _ZN7rocprim17ROCPRIM_400000_NS6detail17trampoline_kernelINS0_14default_configENS1_25partition_config_selectorILNS1_17partition_subalgoE6EtNS0_10empty_typeEbEEZZNS1_14partition_implILS5_6ELb0ES3_mN6thrust23THRUST_200600_302600_NS6detail15normal_iteratorINSA_10device_ptrItEEEEPS6_SG_NS0_5tupleIJSF_S6_EEENSH_IJSG_SG_EEES6_PlJNSB_9not_fun_tI7is_evenItEEEEEE10hipError_tPvRmT3_T4_T5_T6_T7_T9_mT8_P12ihipStream_tbDpT10_ENKUlT_T0_E_clISt17integral_constantIbLb1EES17_IbLb0EEEEDaS13_S14_EUlS13_E_NS1_11comp_targetILNS1_3genE5ELNS1_11target_archE942ELNS1_3gpuE9ELNS1_3repE0EEENS1_30default_config_static_selectorELNS0_4arch9wavefront6targetE0EEEvT1_.uses_vcc, 0
	.set _ZN7rocprim17ROCPRIM_400000_NS6detail17trampoline_kernelINS0_14default_configENS1_25partition_config_selectorILNS1_17partition_subalgoE6EtNS0_10empty_typeEbEEZZNS1_14partition_implILS5_6ELb0ES3_mN6thrust23THRUST_200600_302600_NS6detail15normal_iteratorINSA_10device_ptrItEEEEPS6_SG_NS0_5tupleIJSF_S6_EEENSH_IJSG_SG_EEES6_PlJNSB_9not_fun_tI7is_evenItEEEEEE10hipError_tPvRmT3_T4_T5_T6_T7_T9_mT8_P12ihipStream_tbDpT10_ENKUlT_T0_E_clISt17integral_constantIbLb1EES17_IbLb0EEEEDaS13_S14_EUlS13_E_NS1_11comp_targetILNS1_3genE5ELNS1_11target_archE942ELNS1_3gpuE9ELNS1_3repE0EEENS1_30default_config_static_selectorELNS0_4arch9wavefront6targetE0EEEvT1_.uses_flat_scratch, 0
	.set _ZN7rocprim17ROCPRIM_400000_NS6detail17trampoline_kernelINS0_14default_configENS1_25partition_config_selectorILNS1_17partition_subalgoE6EtNS0_10empty_typeEbEEZZNS1_14partition_implILS5_6ELb0ES3_mN6thrust23THRUST_200600_302600_NS6detail15normal_iteratorINSA_10device_ptrItEEEEPS6_SG_NS0_5tupleIJSF_S6_EEENSH_IJSG_SG_EEES6_PlJNSB_9not_fun_tI7is_evenItEEEEEE10hipError_tPvRmT3_T4_T5_T6_T7_T9_mT8_P12ihipStream_tbDpT10_ENKUlT_T0_E_clISt17integral_constantIbLb1EES17_IbLb0EEEEDaS13_S14_EUlS13_E_NS1_11comp_targetILNS1_3genE5ELNS1_11target_archE942ELNS1_3gpuE9ELNS1_3repE0EEENS1_30default_config_static_selectorELNS0_4arch9wavefront6targetE0EEEvT1_.has_dyn_sized_stack, 0
	.set _ZN7rocprim17ROCPRIM_400000_NS6detail17trampoline_kernelINS0_14default_configENS1_25partition_config_selectorILNS1_17partition_subalgoE6EtNS0_10empty_typeEbEEZZNS1_14partition_implILS5_6ELb0ES3_mN6thrust23THRUST_200600_302600_NS6detail15normal_iteratorINSA_10device_ptrItEEEEPS6_SG_NS0_5tupleIJSF_S6_EEENSH_IJSG_SG_EEES6_PlJNSB_9not_fun_tI7is_evenItEEEEEE10hipError_tPvRmT3_T4_T5_T6_T7_T9_mT8_P12ihipStream_tbDpT10_ENKUlT_T0_E_clISt17integral_constantIbLb1EES17_IbLb0EEEEDaS13_S14_EUlS13_E_NS1_11comp_targetILNS1_3genE5ELNS1_11target_archE942ELNS1_3gpuE9ELNS1_3repE0EEENS1_30default_config_static_selectorELNS0_4arch9wavefront6targetE0EEEvT1_.has_recursion, 0
	.set _ZN7rocprim17ROCPRIM_400000_NS6detail17trampoline_kernelINS0_14default_configENS1_25partition_config_selectorILNS1_17partition_subalgoE6EtNS0_10empty_typeEbEEZZNS1_14partition_implILS5_6ELb0ES3_mN6thrust23THRUST_200600_302600_NS6detail15normal_iteratorINSA_10device_ptrItEEEEPS6_SG_NS0_5tupleIJSF_S6_EEENSH_IJSG_SG_EEES6_PlJNSB_9not_fun_tI7is_evenItEEEEEE10hipError_tPvRmT3_T4_T5_T6_T7_T9_mT8_P12ihipStream_tbDpT10_ENKUlT_T0_E_clISt17integral_constantIbLb1EES17_IbLb0EEEEDaS13_S14_EUlS13_E_NS1_11comp_targetILNS1_3genE5ELNS1_11target_archE942ELNS1_3gpuE9ELNS1_3repE0EEENS1_30default_config_static_selectorELNS0_4arch9wavefront6targetE0EEEvT1_.has_indirect_call, 0
	.section	.AMDGPU.csdata,"",@progbits
; Kernel info:
; codeLenInByte = 0
; TotalNumSgprs: 0
; NumVgprs: 0
; ScratchSize: 0
; MemoryBound: 0
; FloatMode: 240
; IeeeMode: 1
; LDSByteSize: 0 bytes/workgroup (compile time only)
; SGPRBlocks: 0
; VGPRBlocks: 0
; NumSGPRsForWavesPerEU: 1
; NumVGPRsForWavesPerEU: 1
; Occupancy: 16
; WaveLimiterHint : 0
; COMPUTE_PGM_RSRC2:SCRATCH_EN: 0
; COMPUTE_PGM_RSRC2:USER_SGPR: 2
; COMPUTE_PGM_RSRC2:TRAP_HANDLER: 0
; COMPUTE_PGM_RSRC2:TGID_X_EN: 1
; COMPUTE_PGM_RSRC2:TGID_Y_EN: 0
; COMPUTE_PGM_RSRC2:TGID_Z_EN: 0
; COMPUTE_PGM_RSRC2:TIDIG_COMP_CNT: 0
	.section	.text._ZN7rocprim17ROCPRIM_400000_NS6detail17trampoline_kernelINS0_14default_configENS1_25partition_config_selectorILNS1_17partition_subalgoE6EtNS0_10empty_typeEbEEZZNS1_14partition_implILS5_6ELb0ES3_mN6thrust23THRUST_200600_302600_NS6detail15normal_iteratorINSA_10device_ptrItEEEEPS6_SG_NS0_5tupleIJSF_S6_EEENSH_IJSG_SG_EEES6_PlJNSB_9not_fun_tI7is_evenItEEEEEE10hipError_tPvRmT3_T4_T5_T6_T7_T9_mT8_P12ihipStream_tbDpT10_ENKUlT_T0_E_clISt17integral_constantIbLb1EES17_IbLb0EEEEDaS13_S14_EUlS13_E_NS1_11comp_targetILNS1_3genE4ELNS1_11target_archE910ELNS1_3gpuE8ELNS1_3repE0EEENS1_30default_config_static_selectorELNS0_4arch9wavefront6targetE0EEEvT1_,"axG",@progbits,_ZN7rocprim17ROCPRIM_400000_NS6detail17trampoline_kernelINS0_14default_configENS1_25partition_config_selectorILNS1_17partition_subalgoE6EtNS0_10empty_typeEbEEZZNS1_14partition_implILS5_6ELb0ES3_mN6thrust23THRUST_200600_302600_NS6detail15normal_iteratorINSA_10device_ptrItEEEEPS6_SG_NS0_5tupleIJSF_S6_EEENSH_IJSG_SG_EEES6_PlJNSB_9not_fun_tI7is_evenItEEEEEE10hipError_tPvRmT3_T4_T5_T6_T7_T9_mT8_P12ihipStream_tbDpT10_ENKUlT_T0_E_clISt17integral_constantIbLb1EES17_IbLb0EEEEDaS13_S14_EUlS13_E_NS1_11comp_targetILNS1_3genE4ELNS1_11target_archE910ELNS1_3gpuE8ELNS1_3repE0EEENS1_30default_config_static_selectorELNS0_4arch9wavefront6targetE0EEEvT1_,comdat
	.protected	_ZN7rocprim17ROCPRIM_400000_NS6detail17trampoline_kernelINS0_14default_configENS1_25partition_config_selectorILNS1_17partition_subalgoE6EtNS0_10empty_typeEbEEZZNS1_14partition_implILS5_6ELb0ES3_mN6thrust23THRUST_200600_302600_NS6detail15normal_iteratorINSA_10device_ptrItEEEEPS6_SG_NS0_5tupleIJSF_S6_EEENSH_IJSG_SG_EEES6_PlJNSB_9not_fun_tI7is_evenItEEEEEE10hipError_tPvRmT3_T4_T5_T6_T7_T9_mT8_P12ihipStream_tbDpT10_ENKUlT_T0_E_clISt17integral_constantIbLb1EES17_IbLb0EEEEDaS13_S14_EUlS13_E_NS1_11comp_targetILNS1_3genE4ELNS1_11target_archE910ELNS1_3gpuE8ELNS1_3repE0EEENS1_30default_config_static_selectorELNS0_4arch9wavefront6targetE0EEEvT1_ ; -- Begin function _ZN7rocprim17ROCPRIM_400000_NS6detail17trampoline_kernelINS0_14default_configENS1_25partition_config_selectorILNS1_17partition_subalgoE6EtNS0_10empty_typeEbEEZZNS1_14partition_implILS5_6ELb0ES3_mN6thrust23THRUST_200600_302600_NS6detail15normal_iteratorINSA_10device_ptrItEEEEPS6_SG_NS0_5tupleIJSF_S6_EEENSH_IJSG_SG_EEES6_PlJNSB_9not_fun_tI7is_evenItEEEEEE10hipError_tPvRmT3_T4_T5_T6_T7_T9_mT8_P12ihipStream_tbDpT10_ENKUlT_T0_E_clISt17integral_constantIbLb1EES17_IbLb0EEEEDaS13_S14_EUlS13_E_NS1_11comp_targetILNS1_3genE4ELNS1_11target_archE910ELNS1_3gpuE8ELNS1_3repE0EEENS1_30default_config_static_selectorELNS0_4arch9wavefront6targetE0EEEvT1_
	.globl	_ZN7rocprim17ROCPRIM_400000_NS6detail17trampoline_kernelINS0_14default_configENS1_25partition_config_selectorILNS1_17partition_subalgoE6EtNS0_10empty_typeEbEEZZNS1_14partition_implILS5_6ELb0ES3_mN6thrust23THRUST_200600_302600_NS6detail15normal_iteratorINSA_10device_ptrItEEEEPS6_SG_NS0_5tupleIJSF_S6_EEENSH_IJSG_SG_EEES6_PlJNSB_9not_fun_tI7is_evenItEEEEEE10hipError_tPvRmT3_T4_T5_T6_T7_T9_mT8_P12ihipStream_tbDpT10_ENKUlT_T0_E_clISt17integral_constantIbLb1EES17_IbLb0EEEEDaS13_S14_EUlS13_E_NS1_11comp_targetILNS1_3genE4ELNS1_11target_archE910ELNS1_3gpuE8ELNS1_3repE0EEENS1_30default_config_static_selectorELNS0_4arch9wavefront6targetE0EEEvT1_
	.p2align	8
	.type	_ZN7rocprim17ROCPRIM_400000_NS6detail17trampoline_kernelINS0_14default_configENS1_25partition_config_selectorILNS1_17partition_subalgoE6EtNS0_10empty_typeEbEEZZNS1_14partition_implILS5_6ELb0ES3_mN6thrust23THRUST_200600_302600_NS6detail15normal_iteratorINSA_10device_ptrItEEEEPS6_SG_NS0_5tupleIJSF_S6_EEENSH_IJSG_SG_EEES6_PlJNSB_9not_fun_tI7is_evenItEEEEEE10hipError_tPvRmT3_T4_T5_T6_T7_T9_mT8_P12ihipStream_tbDpT10_ENKUlT_T0_E_clISt17integral_constantIbLb1EES17_IbLb0EEEEDaS13_S14_EUlS13_E_NS1_11comp_targetILNS1_3genE4ELNS1_11target_archE910ELNS1_3gpuE8ELNS1_3repE0EEENS1_30default_config_static_selectorELNS0_4arch9wavefront6targetE0EEEvT1_,@function
_ZN7rocprim17ROCPRIM_400000_NS6detail17trampoline_kernelINS0_14default_configENS1_25partition_config_selectorILNS1_17partition_subalgoE6EtNS0_10empty_typeEbEEZZNS1_14partition_implILS5_6ELb0ES3_mN6thrust23THRUST_200600_302600_NS6detail15normal_iteratorINSA_10device_ptrItEEEEPS6_SG_NS0_5tupleIJSF_S6_EEENSH_IJSG_SG_EEES6_PlJNSB_9not_fun_tI7is_evenItEEEEEE10hipError_tPvRmT3_T4_T5_T6_T7_T9_mT8_P12ihipStream_tbDpT10_ENKUlT_T0_E_clISt17integral_constantIbLb1EES17_IbLb0EEEEDaS13_S14_EUlS13_E_NS1_11comp_targetILNS1_3genE4ELNS1_11target_archE910ELNS1_3gpuE8ELNS1_3repE0EEENS1_30default_config_static_selectorELNS0_4arch9wavefront6targetE0EEEvT1_: ; @_ZN7rocprim17ROCPRIM_400000_NS6detail17trampoline_kernelINS0_14default_configENS1_25partition_config_selectorILNS1_17partition_subalgoE6EtNS0_10empty_typeEbEEZZNS1_14partition_implILS5_6ELb0ES3_mN6thrust23THRUST_200600_302600_NS6detail15normal_iteratorINSA_10device_ptrItEEEEPS6_SG_NS0_5tupleIJSF_S6_EEENSH_IJSG_SG_EEES6_PlJNSB_9not_fun_tI7is_evenItEEEEEE10hipError_tPvRmT3_T4_T5_T6_T7_T9_mT8_P12ihipStream_tbDpT10_ENKUlT_T0_E_clISt17integral_constantIbLb1EES17_IbLb0EEEEDaS13_S14_EUlS13_E_NS1_11comp_targetILNS1_3genE4ELNS1_11target_archE910ELNS1_3gpuE8ELNS1_3repE0EEENS1_30default_config_static_selectorELNS0_4arch9wavefront6targetE0EEEvT1_
; %bb.0:
	.section	.rodata,"a",@progbits
	.p2align	6, 0x0
	.amdhsa_kernel _ZN7rocprim17ROCPRIM_400000_NS6detail17trampoline_kernelINS0_14default_configENS1_25partition_config_selectorILNS1_17partition_subalgoE6EtNS0_10empty_typeEbEEZZNS1_14partition_implILS5_6ELb0ES3_mN6thrust23THRUST_200600_302600_NS6detail15normal_iteratorINSA_10device_ptrItEEEEPS6_SG_NS0_5tupleIJSF_S6_EEENSH_IJSG_SG_EEES6_PlJNSB_9not_fun_tI7is_evenItEEEEEE10hipError_tPvRmT3_T4_T5_T6_T7_T9_mT8_P12ihipStream_tbDpT10_ENKUlT_T0_E_clISt17integral_constantIbLb1EES17_IbLb0EEEEDaS13_S14_EUlS13_E_NS1_11comp_targetILNS1_3genE4ELNS1_11target_archE910ELNS1_3gpuE8ELNS1_3repE0EEENS1_30default_config_static_selectorELNS0_4arch9wavefront6targetE0EEEvT1_
		.amdhsa_group_segment_fixed_size 0
		.amdhsa_private_segment_fixed_size 0
		.amdhsa_kernarg_size 112
		.amdhsa_user_sgpr_count 2
		.amdhsa_user_sgpr_dispatch_ptr 0
		.amdhsa_user_sgpr_queue_ptr 0
		.amdhsa_user_sgpr_kernarg_segment_ptr 1
		.amdhsa_user_sgpr_dispatch_id 0
		.amdhsa_user_sgpr_private_segment_size 0
		.amdhsa_wavefront_size32 1
		.amdhsa_uses_dynamic_stack 0
		.amdhsa_enable_private_segment 0
		.amdhsa_system_sgpr_workgroup_id_x 1
		.amdhsa_system_sgpr_workgroup_id_y 0
		.amdhsa_system_sgpr_workgroup_id_z 0
		.amdhsa_system_sgpr_workgroup_info 0
		.amdhsa_system_vgpr_workitem_id 0
		.amdhsa_next_free_vgpr 1
		.amdhsa_next_free_sgpr 1
		.amdhsa_reserve_vcc 0
		.amdhsa_float_round_mode_32 0
		.amdhsa_float_round_mode_16_64 0
		.amdhsa_float_denorm_mode_32 3
		.amdhsa_float_denorm_mode_16_64 3
		.amdhsa_fp16_overflow 0
		.amdhsa_workgroup_processor_mode 1
		.amdhsa_memory_ordered 1
		.amdhsa_forward_progress 1
		.amdhsa_inst_pref_size 0
		.amdhsa_round_robin_scheduling 0
		.amdhsa_exception_fp_ieee_invalid_op 0
		.amdhsa_exception_fp_denorm_src 0
		.amdhsa_exception_fp_ieee_div_zero 0
		.amdhsa_exception_fp_ieee_overflow 0
		.amdhsa_exception_fp_ieee_underflow 0
		.amdhsa_exception_fp_ieee_inexact 0
		.amdhsa_exception_int_div_zero 0
	.end_amdhsa_kernel
	.section	.text._ZN7rocprim17ROCPRIM_400000_NS6detail17trampoline_kernelINS0_14default_configENS1_25partition_config_selectorILNS1_17partition_subalgoE6EtNS0_10empty_typeEbEEZZNS1_14partition_implILS5_6ELb0ES3_mN6thrust23THRUST_200600_302600_NS6detail15normal_iteratorINSA_10device_ptrItEEEEPS6_SG_NS0_5tupleIJSF_S6_EEENSH_IJSG_SG_EEES6_PlJNSB_9not_fun_tI7is_evenItEEEEEE10hipError_tPvRmT3_T4_T5_T6_T7_T9_mT8_P12ihipStream_tbDpT10_ENKUlT_T0_E_clISt17integral_constantIbLb1EES17_IbLb0EEEEDaS13_S14_EUlS13_E_NS1_11comp_targetILNS1_3genE4ELNS1_11target_archE910ELNS1_3gpuE8ELNS1_3repE0EEENS1_30default_config_static_selectorELNS0_4arch9wavefront6targetE0EEEvT1_,"axG",@progbits,_ZN7rocprim17ROCPRIM_400000_NS6detail17trampoline_kernelINS0_14default_configENS1_25partition_config_selectorILNS1_17partition_subalgoE6EtNS0_10empty_typeEbEEZZNS1_14partition_implILS5_6ELb0ES3_mN6thrust23THRUST_200600_302600_NS6detail15normal_iteratorINSA_10device_ptrItEEEEPS6_SG_NS0_5tupleIJSF_S6_EEENSH_IJSG_SG_EEES6_PlJNSB_9not_fun_tI7is_evenItEEEEEE10hipError_tPvRmT3_T4_T5_T6_T7_T9_mT8_P12ihipStream_tbDpT10_ENKUlT_T0_E_clISt17integral_constantIbLb1EES17_IbLb0EEEEDaS13_S14_EUlS13_E_NS1_11comp_targetILNS1_3genE4ELNS1_11target_archE910ELNS1_3gpuE8ELNS1_3repE0EEENS1_30default_config_static_selectorELNS0_4arch9wavefront6targetE0EEEvT1_,comdat
.Lfunc_end679:
	.size	_ZN7rocprim17ROCPRIM_400000_NS6detail17trampoline_kernelINS0_14default_configENS1_25partition_config_selectorILNS1_17partition_subalgoE6EtNS0_10empty_typeEbEEZZNS1_14partition_implILS5_6ELb0ES3_mN6thrust23THRUST_200600_302600_NS6detail15normal_iteratorINSA_10device_ptrItEEEEPS6_SG_NS0_5tupleIJSF_S6_EEENSH_IJSG_SG_EEES6_PlJNSB_9not_fun_tI7is_evenItEEEEEE10hipError_tPvRmT3_T4_T5_T6_T7_T9_mT8_P12ihipStream_tbDpT10_ENKUlT_T0_E_clISt17integral_constantIbLb1EES17_IbLb0EEEEDaS13_S14_EUlS13_E_NS1_11comp_targetILNS1_3genE4ELNS1_11target_archE910ELNS1_3gpuE8ELNS1_3repE0EEENS1_30default_config_static_selectorELNS0_4arch9wavefront6targetE0EEEvT1_, .Lfunc_end679-_ZN7rocprim17ROCPRIM_400000_NS6detail17trampoline_kernelINS0_14default_configENS1_25partition_config_selectorILNS1_17partition_subalgoE6EtNS0_10empty_typeEbEEZZNS1_14partition_implILS5_6ELb0ES3_mN6thrust23THRUST_200600_302600_NS6detail15normal_iteratorINSA_10device_ptrItEEEEPS6_SG_NS0_5tupleIJSF_S6_EEENSH_IJSG_SG_EEES6_PlJNSB_9not_fun_tI7is_evenItEEEEEE10hipError_tPvRmT3_T4_T5_T6_T7_T9_mT8_P12ihipStream_tbDpT10_ENKUlT_T0_E_clISt17integral_constantIbLb1EES17_IbLb0EEEEDaS13_S14_EUlS13_E_NS1_11comp_targetILNS1_3genE4ELNS1_11target_archE910ELNS1_3gpuE8ELNS1_3repE0EEENS1_30default_config_static_selectorELNS0_4arch9wavefront6targetE0EEEvT1_
                                        ; -- End function
	.set _ZN7rocprim17ROCPRIM_400000_NS6detail17trampoline_kernelINS0_14default_configENS1_25partition_config_selectorILNS1_17partition_subalgoE6EtNS0_10empty_typeEbEEZZNS1_14partition_implILS5_6ELb0ES3_mN6thrust23THRUST_200600_302600_NS6detail15normal_iteratorINSA_10device_ptrItEEEEPS6_SG_NS0_5tupleIJSF_S6_EEENSH_IJSG_SG_EEES6_PlJNSB_9not_fun_tI7is_evenItEEEEEE10hipError_tPvRmT3_T4_T5_T6_T7_T9_mT8_P12ihipStream_tbDpT10_ENKUlT_T0_E_clISt17integral_constantIbLb1EES17_IbLb0EEEEDaS13_S14_EUlS13_E_NS1_11comp_targetILNS1_3genE4ELNS1_11target_archE910ELNS1_3gpuE8ELNS1_3repE0EEENS1_30default_config_static_selectorELNS0_4arch9wavefront6targetE0EEEvT1_.num_vgpr, 0
	.set _ZN7rocprim17ROCPRIM_400000_NS6detail17trampoline_kernelINS0_14default_configENS1_25partition_config_selectorILNS1_17partition_subalgoE6EtNS0_10empty_typeEbEEZZNS1_14partition_implILS5_6ELb0ES3_mN6thrust23THRUST_200600_302600_NS6detail15normal_iteratorINSA_10device_ptrItEEEEPS6_SG_NS0_5tupleIJSF_S6_EEENSH_IJSG_SG_EEES6_PlJNSB_9not_fun_tI7is_evenItEEEEEE10hipError_tPvRmT3_T4_T5_T6_T7_T9_mT8_P12ihipStream_tbDpT10_ENKUlT_T0_E_clISt17integral_constantIbLb1EES17_IbLb0EEEEDaS13_S14_EUlS13_E_NS1_11comp_targetILNS1_3genE4ELNS1_11target_archE910ELNS1_3gpuE8ELNS1_3repE0EEENS1_30default_config_static_selectorELNS0_4arch9wavefront6targetE0EEEvT1_.num_agpr, 0
	.set _ZN7rocprim17ROCPRIM_400000_NS6detail17trampoline_kernelINS0_14default_configENS1_25partition_config_selectorILNS1_17partition_subalgoE6EtNS0_10empty_typeEbEEZZNS1_14partition_implILS5_6ELb0ES3_mN6thrust23THRUST_200600_302600_NS6detail15normal_iteratorINSA_10device_ptrItEEEEPS6_SG_NS0_5tupleIJSF_S6_EEENSH_IJSG_SG_EEES6_PlJNSB_9not_fun_tI7is_evenItEEEEEE10hipError_tPvRmT3_T4_T5_T6_T7_T9_mT8_P12ihipStream_tbDpT10_ENKUlT_T0_E_clISt17integral_constantIbLb1EES17_IbLb0EEEEDaS13_S14_EUlS13_E_NS1_11comp_targetILNS1_3genE4ELNS1_11target_archE910ELNS1_3gpuE8ELNS1_3repE0EEENS1_30default_config_static_selectorELNS0_4arch9wavefront6targetE0EEEvT1_.numbered_sgpr, 0
	.set _ZN7rocprim17ROCPRIM_400000_NS6detail17trampoline_kernelINS0_14default_configENS1_25partition_config_selectorILNS1_17partition_subalgoE6EtNS0_10empty_typeEbEEZZNS1_14partition_implILS5_6ELb0ES3_mN6thrust23THRUST_200600_302600_NS6detail15normal_iteratorINSA_10device_ptrItEEEEPS6_SG_NS0_5tupleIJSF_S6_EEENSH_IJSG_SG_EEES6_PlJNSB_9not_fun_tI7is_evenItEEEEEE10hipError_tPvRmT3_T4_T5_T6_T7_T9_mT8_P12ihipStream_tbDpT10_ENKUlT_T0_E_clISt17integral_constantIbLb1EES17_IbLb0EEEEDaS13_S14_EUlS13_E_NS1_11comp_targetILNS1_3genE4ELNS1_11target_archE910ELNS1_3gpuE8ELNS1_3repE0EEENS1_30default_config_static_selectorELNS0_4arch9wavefront6targetE0EEEvT1_.num_named_barrier, 0
	.set _ZN7rocprim17ROCPRIM_400000_NS6detail17trampoline_kernelINS0_14default_configENS1_25partition_config_selectorILNS1_17partition_subalgoE6EtNS0_10empty_typeEbEEZZNS1_14partition_implILS5_6ELb0ES3_mN6thrust23THRUST_200600_302600_NS6detail15normal_iteratorINSA_10device_ptrItEEEEPS6_SG_NS0_5tupleIJSF_S6_EEENSH_IJSG_SG_EEES6_PlJNSB_9not_fun_tI7is_evenItEEEEEE10hipError_tPvRmT3_T4_T5_T6_T7_T9_mT8_P12ihipStream_tbDpT10_ENKUlT_T0_E_clISt17integral_constantIbLb1EES17_IbLb0EEEEDaS13_S14_EUlS13_E_NS1_11comp_targetILNS1_3genE4ELNS1_11target_archE910ELNS1_3gpuE8ELNS1_3repE0EEENS1_30default_config_static_selectorELNS0_4arch9wavefront6targetE0EEEvT1_.private_seg_size, 0
	.set _ZN7rocprim17ROCPRIM_400000_NS6detail17trampoline_kernelINS0_14default_configENS1_25partition_config_selectorILNS1_17partition_subalgoE6EtNS0_10empty_typeEbEEZZNS1_14partition_implILS5_6ELb0ES3_mN6thrust23THRUST_200600_302600_NS6detail15normal_iteratorINSA_10device_ptrItEEEEPS6_SG_NS0_5tupleIJSF_S6_EEENSH_IJSG_SG_EEES6_PlJNSB_9not_fun_tI7is_evenItEEEEEE10hipError_tPvRmT3_T4_T5_T6_T7_T9_mT8_P12ihipStream_tbDpT10_ENKUlT_T0_E_clISt17integral_constantIbLb1EES17_IbLb0EEEEDaS13_S14_EUlS13_E_NS1_11comp_targetILNS1_3genE4ELNS1_11target_archE910ELNS1_3gpuE8ELNS1_3repE0EEENS1_30default_config_static_selectorELNS0_4arch9wavefront6targetE0EEEvT1_.uses_vcc, 0
	.set _ZN7rocprim17ROCPRIM_400000_NS6detail17trampoline_kernelINS0_14default_configENS1_25partition_config_selectorILNS1_17partition_subalgoE6EtNS0_10empty_typeEbEEZZNS1_14partition_implILS5_6ELb0ES3_mN6thrust23THRUST_200600_302600_NS6detail15normal_iteratorINSA_10device_ptrItEEEEPS6_SG_NS0_5tupleIJSF_S6_EEENSH_IJSG_SG_EEES6_PlJNSB_9not_fun_tI7is_evenItEEEEEE10hipError_tPvRmT3_T4_T5_T6_T7_T9_mT8_P12ihipStream_tbDpT10_ENKUlT_T0_E_clISt17integral_constantIbLb1EES17_IbLb0EEEEDaS13_S14_EUlS13_E_NS1_11comp_targetILNS1_3genE4ELNS1_11target_archE910ELNS1_3gpuE8ELNS1_3repE0EEENS1_30default_config_static_selectorELNS0_4arch9wavefront6targetE0EEEvT1_.uses_flat_scratch, 0
	.set _ZN7rocprim17ROCPRIM_400000_NS6detail17trampoline_kernelINS0_14default_configENS1_25partition_config_selectorILNS1_17partition_subalgoE6EtNS0_10empty_typeEbEEZZNS1_14partition_implILS5_6ELb0ES3_mN6thrust23THRUST_200600_302600_NS6detail15normal_iteratorINSA_10device_ptrItEEEEPS6_SG_NS0_5tupleIJSF_S6_EEENSH_IJSG_SG_EEES6_PlJNSB_9not_fun_tI7is_evenItEEEEEE10hipError_tPvRmT3_T4_T5_T6_T7_T9_mT8_P12ihipStream_tbDpT10_ENKUlT_T0_E_clISt17integral_constantIbLb1EES17_IbLb0EEEEDaS13_S14_EUlS13_E_NS1_11comp_targetILNS1_3genE4ELNS1_11target_archE910ELNS1_3gpuE8ELNS1_3repE0EEENS1_30default_config_static_selectorELNS0_4arch9wavefront6targetE0EEEvT1_.has_dyn_sized_stack, 0
	.set _ZN7rocprim17ROCPRIM_400000_NS6detail17trampoline_kernelINS0_14default_configENS1_25partition_config_selectorILNS1_17partition_subalgoE6EtNS0_10empty_typeEbEEZZNS1_14partition_implILS5_6ELb0ES3_mN6thrust23THRUST_200600_302600_NS6detail15normal_iteratorINSA_10device_ptrItEEEEPS6_SG_NS0_5tupleIJSF_S6_EEENSH_IJSG_SG_EEES6_PlJNSB_9not_fun_tI7is_evenItEEEEEE10hipError_tPvRmT3_T4_T5_T6_T7_T9_mT8_P12ihipStream_tbDpT10_ENKUlT_T0_E_clISt17integral_constantIbLb1EES17_IbLb0EEEEDaS13_S14_EUlS13_E_NS1_11comp_targetILNS1_3genE4ELNS1_11target_archE910ELNS1_3gpuE8ELNS1_3repE0EEENS1_30default_config_static_selectorELNS0_4arch9wavefront6targetE0EEEvT1_.has_recursion, 0
	.set _ZN7rocprim17ROCPRIM_400000_NS6detail17trampoline_kernelINS0_14default_configENS1_25partition_config_selectorILNS1_17partition_subalgoE6EtNS0_10empty_typeEbEEZZNS1_14partition_implILS5_6ELb0ES3_mN6thrust23THRUST_200600_302600_NS6detail15normal_iteratorINSA_10device_ptrItEEEEPS6_SG_NS0_5tupleIJSF_S6_EEENSH_IJSG_SG_EEES6_PlJNSB_9not_fun_tI7is_evenItEEEEEE10hipError_tPvRmT3_T4_T5_T6_T7_T9_mT8_P12ihipStream_tbDpT10_ENKUlT_T0_E_clISt17integral_constantIbLb1EES17_IbLb0EEEEDaS13_S14_EUlS13_E_NS1_11comp_targetILNS1_3genE4ELNS1_11target_archE910ELNS1_3gpuE8ELNS1_3repE0EEENS1_30default_config_static_selectorELNS0_4arch9wavefront6targetE0EEEvT1_.has_indirect_call, 0
	.section	.AMDGPU.csdata,"",@progbits
; Kernel info:
; codeLenInByte = 0
; TotalNumSgprs: 0
; NumVgprs: 0
; ScratchSize: 0
; MemoryBound: 0
; FloatMode: 240
; IeeeMode: 1
; LDSByteSize: 0 bytes/workgroup (compile time only)
; SGPRBlocks: 0
; VGPRBlocks: 0
; NumSGPRsForWavesPerEU: 1
; NumVGPRsForWavesPerEU: 1
; Occupancy: 16
; WaveLimiterHint : 0
; COMPUTE_PGM_RSRC2:SCRATCH_EN: 0
; COMPUTE_PGM_RSRC2:USER_SGPR: 2
; COMPUTE_PGM_RSRC2:TRAP_HANDLER: 0
; COMPUTE_PGM_RSRC2:TGID_X_EN: 1
; COMPUTE_PGM_RSRC2:TGID_Y_EN: 0
; COMPUTE_PGM_RSRC2:TGID_Z_EN: 0
; COMPUTE_PGM_RSRC2:TIDIG_COMP_CNT: 0
	.section	.text._ZN7rocprim17ROCPRIM_400000_NS6detail17trampoline_kernelINS0_14default_configENS1_25partition_config_selectorILNS1_17partition_subalgoE6EtNS0_10empty_typeEbEEZZNS1_14partition_implILS5_6ELb0ES3_mN6thrust23THRUST_200600_302600_NS6detail15normal_iteratorINSA_10device_ptrItEEEEPS6_SG_NS0_5tupleIJSF_S6_EEENSH_IJSG_SG_EEES6_PlJNSB_9not_fun_tI7is_evenItEEEEEE10hipError_tPvRmT3_T4_T5_T6_T7_T9_mT8_P12ihipStream_tbDpT10_ENKUlT_T0_E_clISt17integral_constantIbLb1EES17_IbLb0EEEEDaS13_S14_EUlS13_E_NS1_11comp_targetILNS1_3genE3ELNS1_11target_archE908ELNS1_3gpuE7ELNS1_3repE0EEENS1_30default_config_static_selectorELNS0_4arch9wavefront6targetE0EEEvT1_,"axG",@progbits,_ZN7rocprim17ROCPRIM_400000_NS6detail17trampoline_kernelINS0_14default_configENS1_25partition_config_selectorILNS1_17partition_subalgoE6EtNS0_10empty_typeEbEEZZNS1_14partition_implILS5_6ELb0ES3_mN6thrust23THRUST_200600_302600_NS6detail15normal_iteratorINSA_10device_ptrItEEEEPS6_SG_NS0_5tupleIJSF_S6_EEENSH_IJSG_SG_EEES6_PlJNSB_9not_fun_tI7is_evenItEEEEEE10hipError_tPvRmT3_T4_T5_T6_T7_T9_mT8_P12ihipStream_tbDpT10_ENKUlT_T0_E_clISt17integral_constantIbLb1EES17_IbLb0EEEEDaS13_S14_EUlS13_E_NS1_11comp_targetILNS1_3genE3ELNS1_11target_archE908ELNS1_3gpuE7ELNS1_3repE0EEENS1_30default_config_static_selectorELNS0_4arch9wavefront6targetE0EEEvT1_,comdat
	.protected	_ZN7rocprim17ROCPRIM_400000_NS6detail17trampoline_kernelINS0_14default_configENS1_25partition_config_selectorILNS1_17partition_subalgoE6EtNS0_10empty_typeEbEEZZNS1_14partition_implILS5_6ELb0ES3_mN6thrust23THRUST_200600_302600_NS6detail15normal_iteratorINSA_10device_ptrItEEEEPS6_SG_NS0_5tupleIJSF_S6_EEENSH_IJSG_SG_EEES6_PlJNSB_9not_fun_tI7is_evenItEEEEEE10hipError_tPvRmT3_T4_T5_T6_T7_T9_mT8_P12ihipStream_tbDpT10_ENKUlT_T0_E_clISt17integral_constantIbLb1EES17_IbLb0EEEEDaS13_S14_EUlS13_E_NS1_11comp_targetILNS1_3genE3ELNS1_11target_archE908ELNS1_3gpuE7ELNS1_3repE0EEENS1_30default_config_static_selectorELNS0_4arch9wavefront6targetE0EEEvT1_ ; -- Begin function _ZN7rocprim17ROCPRIM_400000_NS6detail17trampoline_kernelINS0_14default_configENS1_25partition_config_selectorILNS1_17partition_subalgoE6EtNS0_10empty_typeEbEEZZNS1_14partition_implILS5_6ELb0ES3_mN6thrust23THRUST_200600_302600_NS6detail15normal_iteratorINSA_10device_ptrItEEEEPS6_SG_NS0_5tupleIJSF_S6_EEENSH_IJSG_SG_EEES6_PlJNSB_9not_fun_tI7is_evenItEEEEEE10hipError_tPvRmT3_T4_T5_T6_T7_T9_mT8_P12ihipStream_tbDpT10_ENKUlT_T0_E_clISt17integral_constantIbLb1EES17_IbLb0EEEEDaS13_S14_EUlS13_E_NS1_11comp_targetILNS1_3genE3ELNS1_11target_archE908ELNS1_3gpuE7ELNS1_3repE0EEENS1_30default_config_static_selectorELNS0_4arch9wavefront6targetE0EEEvT1_
	.globl	_ZN7rocprim17ROCPRIM_400000_NS6detail17trampoline_kernelINS0_14default_configENS1_25partition_config_selectorILNS1_17partition_subalgoE6EtNS0_10empty_typeEbEEZZNS1_14partition_implILS5_6ELb0ES3_mN6thrust23THRUST_200600_302600_NS6detail15normal_iteratorINSA_10device_ptrItEEEEPS6_SG_NS0_5tupleIJSF_S6_EEENSH_IJSG_SG_EEES6_PlJNSB_9not_fun_tI7is_evenItEEEEEE10hipError_tPvRmT3_T4_T5_T6_T7_T9_mT8_P12ihipStream_tbDpT10_ENKUlT_T0_E_clISt17integral_constantIbLb1EES17_IbLb0EEEEDaS13_S14_EUlS13_E_NS1_11comp_targetILNS1_3genE3ELNS1_11target_archE908ELNS1_3gpuE7ELNS1_3repE0EEENS1_30default_config_static_selectorELNS0_4arch9wavefront6targetE0EEEvT1_
	.p2align	8
	.type	_ZN7rocprim17ROCPRIM_400000_NS6detail17trampoline_kernelINS0_14default_configENS1_25partition_config_selectorILNS1_17partition_subalgoE6EtNS0_10empty_typeEbEEZZNS1_14partition_implILS5_6ELb0ES3_mN6thrust23THRUST_200600_302600_NS6detail15normal_iteratorINSA_10device_ptrItEEEEPS6_SG_NS0_5tupleIJSF_S6_EEENSH_IJSG_SG_EEES6_PlJNSB_9not_fun_tI7is_evenItEEEEEE10hipError_tPvRmT3_T4_T5_T6_T7_T9_mT8_P12ihipStream_tbDpT10_ENKUlT_T0_E_clISt17integral_constantIbLb1EES17_IbLb0EEEEDaS13_S14_EUlS13_E_NS1_11comp_targetILNS1_3genE3ELNS1_11target_archE908ELNS1_3gpuE7ELNS1_3repE0EEENS1_30default_config_static_selectorELNS0_4arch9wavefront6targetE0EEEvT1_,@function
_ZN7rocprim17ROCPRIM_400000_NS6detail17trampoline_kernelINS0_14default_configENS1_25partition_config_selectorILNS1_17partition_subalgoE6EtNS0_10empty_typeEbEEZZNS1_14partition_implILS5_6ELb0ES3_mN6thrust23THRUST_200600_302600_NS6detail15normal_iteratorINSA_10device_ptrItEEEEPS6_SG_NS0_5tupleIJSF_S6_EEENSH_IJSG_SG_EEES6_PlJNSB_9not_fun_tI7is_evenItEEEEEE10hipError_tPvRmT3_T4_T5_T6_T7_T9_mT8_P12ihipStream_tbDpT10_ENKUlT_T0_E_clISt17integral_constantIbLb1EES17_IbLb0EEEEDaS13_S14_EUlS13_E_NS1_11comp_targetILNS1_3genE3ELNS1_11target_archE908ELNS1_3gpuE7ELNS1_3repE0EEENS1_30default_config_static_selectorELNS0_4arch9wavefront6targetE0EEEvT1_: ; @_ZN7rocprim17ROCPRIM_400000_NS6detail17trampoline_kernelINS0_14default_configENS1_25partition_config_selectorILNS1_17partition_subalgoE6EtNS0_10empty_typeEbEEZZNS1_14partition_implILS5_6ELb0ES3_mN6thrust23THRUST_200600_302600_NS6detail15normal_iteratorINSA_10device_ptrItEEEEPS6_SG_NS0_5tupleIJSF_S6_EEENSH_IJSG_SG_EEES6_PlJNSB_9not_fun_tI7is_evenItEEEEEE10hipError_tPvRmT3_T4_T5_T6_T7_T9_mT8_P12ihipStream_tbDpT10_ENKUlT_T0_E_clISt17integral_constantIbLb1EES17_IbLb0EEEEDaS13_S14_EUlS13_E_NS1_11comp_targetILNS1_3genE3ELNS1_11target_archE908ELNS1_3gpuE7ELNS1_3repE0EEENS1_30default_config_static_selectorELNS0_4arch9wavefront6targetE0EEEvT1_
; %bb.0:
	.section	.rodata,"a",@progbits
	.p2align	6, 0x0
	.amdhsa_kernel _ZN7rocprim17ROCPRIM_400000_NS6detail17trampoline_kernelINS0_14default_configENS1_25partition_config_selectorILNS1_17partition_subalgoE6EtNS0_10empty_typeEbEEZZNS1_14partition_implILS5_6ELb0ES3_mN6thrust23THRUST_200600_302600_NS6detail15normal_iteratorINSA_10device_ptrItEEEEPS6_SG_NS0_5tupleIJSF_S6_EEENSH_IJSG_SG_EEES6_PlJNSB_9not_fun_tI7is_evenItEEEEEE10hipError_tPvRmT3_T4_T5_T6_T7_T9_mT8_P12ihipStream_tbDpT10_ENKUlT_T0_E_clISt17integral_constantIbLb1EES17_IbLb0EEEEDaS13_S14_EUlS13_E_NS1_11comp_targetILNS1_3genE3ELNS1_11target_archE908ELNS1_3gpuE7ELNS1_3repE0EEENS1_30default_config_static_selectorELNS0_4arch9wavefront6targetE0EEEvT1_
		.amdhsa_group_segment_fixed_size 0
		.amdhsa_private_segment_fixed_size 0
		.amdhsa_kernarg_size 112
		.amdhsa_user_sgpr_count 2
		.amdhsa_user_sgpr_dispatch_ptr 0
		.amdhsa_user_sgpr_queue_ptr 0
		.amdhsa_user_sgpr_kernarg_segment_ptr 1
		.amdhsa_user_sgpr_dispatch_id 0
		.amdhsa_user_sgpr_private_segment_size 0
		.amdhsa_wavefront_size32 1
		.amdhsa_uses_dynamic_stack 0
		.amdhsa_enable_private_segment 0
		.amdhsa_system_sgpr_workgroup_id_x 1
		.amdhsa_system_sgpr_workgroup_id_y 0
		.amdhsa_system_sgpr_workgroup_id_z 0
		.amdhsa_system_sgpr_workgroup_info 0
		.amdhsa_system_vgpr_workitem_id 0
		.amdhsa_next_free_vgpr 1
		.amdhsa_next_free_sgpr 1
		.amdhsa_reserve_vcc 0
		.amdhsa_float_round_mode_32 0
		.amdhsa_float_round_mode_16_64 0
		.amdhsa_float_denorm_mode_32 3
		.amdhsa_float_denorm_mode_16_64 3
		.amdhsa_fp16_overflow 0
		.amdhsa_workgroup_processor_mode 1
		.amdhsa_memory_ordered 1
		.amdhsa_forward_progress 1
		.amdhsa_inst_pref_size 0
		.amdhsa_round_robin_scheduling 0
		.amdhsa_exception_fp_ieee_invalid_op 0
		.amdhsa_exception_fp_denorm_src 0
		.amdhsa_exception_fp_ieee_div_zero 0
		.amdhsa_exception_fp_ieee_overflow 0
		.amdhsa_exception_fp_ieee_underflow 0
		.amdhsa_exception_fp_ieee_inexact 0
		.amdhsa_exception_int_div_zero 0
	.end_amdhsa_kernel
	.section	.text._ZN7rocprim17ROCPRIM_400000_NS6detail17trampoline_kernelINS0_14default_configENS1_25partition_config_selectorILNS1_17partition_subalgoE6EtNS0_10empty_typeEbEEZZNS1_14partition_implILS5_6ELb0ES3_mN6thrust23THRUST_200600_302600_NS6detail15normal_iteratorINSA_10device_ptrItEEEEPS6_SG_NS0_5tupleIJSF_S6_EEENSH_IJSG_SG_EEES6_PlJNSB_9not_fun_tI7is_evenItEEEEEE10hipError_tPvRmT3_T4_T5_T6_T7_T9_mT8_P12ihipStream_tbDpT10_ENKUlT_T0_E_clISt17integral_constantIbLb1EES17_IbLb0EEEEDaS13_S14_EUlS13_E_NS1_11comp_targetILNS1_3genE3ELNS1_11target_archE908ELNS1_3gpuE7ELNS1_3repE0EEENS1_30default_config_static_selectorELNS0_4arch9wavefront6targetE0EEEvT1_,"axG",@progbits,_ZN7rocprim17ROCPRIM_400000_NS6detail17trampoline_kernelINS0_14default_configENS1_25partition_config_selectorILNS1_17partition_subalgoE6EtNS0_10empty_typeEbEEZZNS1_14partition_implILS5_6ELb0ES3_mN6thrust23THRUST_200600_302600_NS6detail15normal_iteratorINSA_10device_ptrItEEEEPS6_SG_NS0_5tupleIJSF_S6_EEENSH_IJSG_SG_EEES6_PlJNSB_9not_fun_tI7is_evenItEEEEEE10hipError_tPvRmT3_T4_T5_T6_T7_T9_mT8_P12ihipStream_tbDpT10_ENKUlT_T0_E_clISt17integral_constantIbLb1EES17_IbLb0EEEEDaS13_S14_EUlS13_E_NS1_11comp_targetILNS1_3genE3ELNS1_11target_archE908ELNS1_3gpuE7ELNS1_3repE0EEENS1_30default_config_static_selectorELNS0_4arch9wavefront6targetE0EEEvT1_,comdat
.Lfunc_end680:
	.size	_ZN7rocprim17ROCPRIM_400000_NS6detail17trampoline_kernelINS0_14default_configENS1_25partition_config_selectorILNS1_17partition_subalgoE6EtNS0_10empty_typeEbEEZZNS1_14partition_implILS5_6ELb0ES3_mN6thrust23THRUST_200600_302600_NS6detail15normal_iteratorINSA_10device_ptrItEEEEPS6_SG_NS0_5tupleIJSF_S6_EEENSH_IJSG_SG_EEES6_PlJNSB_9not_fun_tI7is_evenItEEEEEE10hipError_tPvRmT3_T4_T5_T6_T7_T9_mT8_P12ihipStream_tbDpT10_ENKUlT_T0_E_clISt17integral_constantIbLb1EES17_IbLb0EEEEDaS13_S14_EUlS13_E_NS1_11comp_targetILNS1_3genE3ELNS1_11target_archE908ELNS1_3gpuE7ELNS1_3repE0EEENS1_30default_config_static_selectorELNS0_4arch9wavefront6targetE0EEEvT1_, .Lfunc_end680-_ZN7rocprim17ROCPRIM_400000_NS6detail17trampoline_kernelINS0_14default_configENS1_25partition_config_selectorILNS1_17partition_subalgoE6EtNS0_10empty_typeEbEEZZNS1_14partition_implILS5_6ELb0ES3_mN6thrust23THRUST_200600_302600_NS6detail15normal_iteratorINSA_10device_ptrItEEEEPS6_SG_NS0_5tupleIJSF_S6_EEENSH_IJSG_SG_EEES6_PlJNSB_9not_fun_tI7is_evenItEEEEEE10hipError_tPvRmT3_T4_T5_T6_T7_T9_mT8_P12ihipStream_tbDpT10_ENKUlT_T0_E_clISt17integral_constantIbLb1EES17_IbLb0EEEEDaS13_S14_EUlS13_E_NS1_11comp_targetILNS1_3genE3ELNS1_11target_archE908ELNS1_3gpuE7ELNS1_3repE0EEENS1_30default_config_static_selectorELNS0_4arch9wavefront6targetE0EEEvT1_
                                        ; -- End function
	.set _ZN7rocprim17ROCPRIM_400000_NS6detail17trampoline_kernelINS0_14default_configENS1_25partition_config_selectorILNS1_17partition_subalgoE6EtNS0_10empty_typeEbEEZZNS1_14partition_implILS5_6ELb0ES3_mN6thrust23THRUST_200600_302600_NS6detail15normal_iteratorINSA_10device_ptrItEEEEPS6_SG_NS0_5tupleIJSF_S6_EEENSH_IJSG_SG_EEES6_PlJNSB_9not_fun_tI7is_evenItEEEEEE10hipError_tPvRmT3_T4_T5_T6_T7_T9_mT8_P12ihipStream_tbDpT10_ENKUlT_T0_E_clISt17integral_constantIbLb1EES17_IbLb0EEEEDaS13_S14_EUlS13_E_NS1_11comp_targetILNS1_3genE3ELNS1_11target_archE908ELNS1_3gpuE7ELNS1_3repE0EEENS1_30default_config_static_selectorELNS0_4arch9wavefront6targetE0EEEvT1_.num_vgpr, 0
	.set _ZN7rocprim17ROCPRIM_400000_NS6detail17trampoline_kernelINS0_14default_configENS1_25partition_config_selectorILNS1_17partition_subalgoE6EtNS0_10empty_typeEbEEZZNS1_14partition_implILS5_6ELb0ES3_mN6thrust23THRUST_200600_302600_NS6detail15normal_iteratorINSA_10device_ptrItEEEEPS6_SG_NS0_5tupleIJSF_S6_EEENSH_IJSG_SG_EEES6_PlJNSB_9not_fun_tI7is_evenItEEEEEE10hipError_tPvRmT3_T4_T5_T6_T7_T9_mT8_P12ihipStream_tbDpT10_ENKUlT_T0_E_clISt17integral_constantIbLb1EES17_IbLb0EEEEDaS13_S14_EUlS13_E_NS1_11comp_targetILNS1_3genE3ELNS1_11target_archE908ELNS1_3gpuE7ELNS1_3repE0EEENS1_30default_config_static_selectorELNS0_4arch9wavefront6targetE0EEEvT1_.num_agpr, 0
	.set _ZN7rocprim17ROCPRIM_400000_NS6detail17trampoline_kernelINS0_14default_configENS1_25partition_config_selectorILNS1_17partition_subalgoE6EtNS0_10empty_typeEbEEZZNS1_14partition_implILS5_6ELb0ES3_mN6thrust23THRUST_200600_302600_NS6detail15normal_iteratorINSA_10device_ptrItEEEEPS6_SG_NS0_5tupleIJSF_S6_EEENSH_IJSG_SG_EEES6_PlJNSB_9not_fun_tI7is_evenItEEEEEE10hipError_tPvRmT3_T4_T5_T6_T7_T9_mT8_P12ihipStream_tbDpT10_ENKUlT_T0_E_clISt17integral_constantIbLb1EES17_IbLb0EEEEDaS13_S14_EUlS13_E_NS1_11comp_targetILNS1_3genE3ELNS1_11target_archE908ELNS1_3gpuE7ELNS1_3repE0EEENS1_30default_config_static_selectorELNS0_4arch9wavefront6targetE0EEEvT1_.numbered_sgpr, 0
	.set _ZN7rocprim17ROCPRIM_400000_NS6detail17trampoline_kernelINS0_14default_configENS1_25partition_config_selectorILNS1_17partition_subalgoE6EtNS0_10empty_typeEbEEZZNS1_14partition_implILS5_6ELb0ES3_mN6thrust23THRUST_200600_302600_NS6detail15normal_iteratorINSA_10device_ptrItEEEEPS6_SG_NS0_5tupleIJSF_S6_EEENSH_IJSG_SG_EEES6_PlJNSB_9not_fun_tI7is_evenItEEEEEE10hipError_tPvRmT3_T4_T5_T6_T7_T9_mT8_P12ihipStream_tbDpT10_ENKUlT_T0_E_clISt17integral_constantIbLb1EES17_IbLb0EEEEDaS13_S14_EUlS13_E_NS1_11comp_targetILNS1_3genE3ELNS1_11target_archE908ELNS1_3gpuE7ELNS1_3repE0EEENS1_30default_config_static_selectorELNS0_4arch9wavefront6targetE0EEEvT1_.num_named_barrier, 0
	.set _ZN7rocprim17ROCPRIM_400000_NS6detail17trampoline_kernelINS0_14default_configENS1_25partition_config_selectorILNS1_17partition_subalgoE6EtNS0_10empty_typeEbEEZZNS1_14partition_implILS5_6ELb0ES3_mN6thrust23THRUST_200600_302600_NS6detail15normal_iteratorINSA_10device_ptrItEEEEPS6_SG_NS0_5tupleIJSF_S6_EEENSH_IJSG_SG_EEES6_PlJNSB_9not_fun_tI7is_evenItEEEEEE10hipError_tPvRmT3_T4_T5_T6_T7_T9_mT8_P12ihipStream_tbDpT10_ENKUlT_T0_E_clISt17integral_constantIbLb1EES17_IbLb0EEEEDaS13_S14_EUlS13_E_NS1_11comp_targetILNS1_3genE3ELNS1_11target_archE908ELNS1_3gpuE7ELNS1_3repE0EEENS1_30default_config_static_selectorELNS0_4arch9wavefront6targetE0EEEvT1_.private_seg_size, 0
	.set _ZN7rocprim17ROCPRIM_400000_NS6detail17trampoline_kernelINS0_14default_configENS1_25partition_config_selectorILNS1_17partition_subalgoE6EtNS0_10empty_typeEbEEZZNS1_14partition_implILS5_6ELb0ES3_mN6thrust23THRUST_200600_302600_NS6detail15normal_iteratorINSA_10device_ptrItEEEEPS6_SG_NS0_5tupleIJSF_S6_EEENSH_IJSG_SG_EEES6_PlJNSB_9not_fun_tI7is_evenItEEEEEE10hipError_tPvRmT3_T4_T5_T6_T7_T9_mT8_P12ihipStream_tbDpT10_ENKUlT_T0_E_clISt17integral_constantIbLb1EES17_IbLb0EEEEDaS13_S14_EUlS13_E_NS1_11comp_targetILNS1_3genE3ELNS1_11target_archE908ELNS1_3gpuE7ELNS1_3repE0EEENS1_30default_config_static_selectorELNS0_4arch9wavefront6targetE0EEEvT1_.uses_vcc, 0
	.set _ZN7rocprim17ROCPRIM_400000_NS6detail17trampoline_kernelINS0_14default_configENS1_25partition_config_selectorILNS1_17partition_subalgoE6EtNS0_10empty_typeEbEEZZNS1_14partition_implILS5_6ELb0ES3_mN6thrust23THRUST_200600_302600_NS6detail15normal_iteratorINSA_10device_ptrItEEEEPS6_SG_NS0_5tupleIJSF_S6_EEENSH_IJSG_SG_EEES6_PlJNSB_9not_fun_tI7is_evenItEEEEEE10hipError_tPvRmT3_T4_T5_T6_T7_T9_mT8_P12ihipStream_tbDpT10_ENKUlT_T0_E_clISt17integral_constantIbLb1EES17_IbLb0EEEEDaS13_S14_EUlS13_E_NS1_11comp_targetILNS1_3genE3ELNS1_11target_archE908ELNS1_3gpuE7ELNS1_3repE0EEENS1_30default_config_static_selectorELNS0_4arch9wavefront6targetE0EEEvT1_.uses_flat_scratch, 0
	.set _ZN7rocprim17ROCPRIM_400000_NS6detail17trampoline_kernelINS0_14default_configENS1_25partition_config_selectorILNS1_17partition_subalgoE6EtNS0_10empty_typeEbEEZZNS1_14partition_implILS5_6ELb0ES3_mN6thrust23THRUST_200600_302600_NS6detail15normal_iteratorINSA_10device_ptrItEEEEPS6_SG_NS0_5tupleIJSF_S6_EEENSH_IJSG_SG_EEES6_PlJNSB_9not_fun_tI7is_evenItEEEEEE10hipError_tPvRmT3_T4_T5_T6_T7_T9_mT8_P12ihipStream_tbDpT10_ENKUlT_T0_E_clISt17integral_constantIbLb1EES17_IbLb0EEEEDaS13_S14_EUlS13_E_NS1_11comp_targetILNS1_3genE3ELNS1_11target_archE908ELNS1_3gpuE7ELNS1_3repE0EEENS1_30default_config_static_selectorELNS0_4arch9wavefront6targetE0EEEvT1_.has_dyn_sized_stack, 0
	.set _ZN7rocprim17ROCPRIM_400000_NS6detail17trampoline_kernelINS0_14default_configENS1_25partition_config_selectorILNS1_17partition_subalgoE6EtNS0_10empty_typeEbEEZZNS1_14partition_implILS5_6ELb0ES3_mN6thrust23THRUST_200600_302600_NS6detail15normal_iteratorINSA_10device_ptrItEEEEPS6_SG_NS0_5tupleIJSF_S6_EEENSH_IJSG_SG_EEES6_PlJNSB_9not_fun_tI7is_evenItEEEEEE10hipError_tPvRmT3_T4_T5_T6_T7_T9_mT8_P12ihipStream_tbDpT10_ENKUlT_T0_E_clISt17integral_constantIbLb1EES17_IbLb0EEEEDaS13_S14_EUlS13_E_NS1_11comp_targetILNS1_3genE3ELNS1_11target_archE908ELNS1_3gpuE7ELNS1_3repE0EEENS1_30default_config_static_selectorELNS0_4arch9wavefront6targetE0EEEvT1_.has_recursion, 0
	.set _ZN7rocprim17ROCPRIM_400000_NS6detail17trampoline_kernelINS0_14default_configENS1_25partition_config_selectorILNS1_17partition_subalgoE6EtNS0_10empty_typeEbEEZZNS1_14partition_implILS5_6ELb0ES3_mN6thrust23THRUST_200600_302600_NS6detail15normal_iteratorINSA_10device_ptrItEEEEPS6_SG_NS0_5tupleIJSF_S6_EEENSH_IJSG_SG_EEES6_PlJNSB_9not_fun_tI7is_evenItEEEEEE10hipError_tPvRmT3_T4_T5_T6_T7_T9_mT8_P12ihipStream_tbDpT10_ENKUlT_T0_E_clISt17integral_constantIbLb1EES17_IbLb0EEEEDaS13_S14_EUlS13_E_NS1_11comp_targetILNS1_3genE3ELNS1_11target_archE908ELNS1_3gpuE7ELNS1_3repE0EEENS1_30default_config_static_selectorELNS0_4arch9wavefront6targetE0EEEvT1_.has_indirect_call, 0
	.section	.AMDGPU.csdata,"",@progbits
; Kernel info:
; codeLenInByte = 0
; TotalNumSgprs: 0
; NumVgprs: 0
; ScratchSize: 0
; MemoryBound: 0
; FloatMode: 240
; IeeeMode: 1
; LDSByteSize: 0 bytes/workgroup (compile time only)
; SGPRBlocks: 0
; VGPRBlocks: 0
; NumSGPRsForWavesPerEU: 1
; NumVGPRsForWavesPerEU: 1
; Occupancy: 16
; WaveLimiterHint : 0
; COMPUTE_PGM_RSRC2:SCRATCH_EN: 0
; COMPUTE_PGM_RSRC2:USER_SGPR: 2
; COMPUTE_PGM_RSRC2:TRAP_HANDLER: 0
; COMPUTE_PGM_RSRC2:TGID_X_EN: 1
; COMPUTE_PGM_RSRC2:TGID_Y_EN: 0
; COMPUTE_PGM_RSRC2:TGID_Z_EN: 0
; COMPUTE_PGM_RSRC2:TIDIG_COMP_CNT: 0
	.section	.text._ZN7rocprim17ROCPRIM_400000_NS6detail17trampoline_kernelINS0_14default_configENS1_25partition_config_selectorILNS1_17partition_subalgoE6EtNS0_10empty_typeEbEEZZNS1_14partition_implILS5_6ELb0ES3_mN6thrust23THRUST_200600_302600_NS6detail15normal_iteratorINSA_10device_ptrItEEEEPS6_SG_NS0_5tupleIJSF_S6_EEENSH_IJSG_SG_EEES6_PlJNSB_9not_fun_tI7is_evenItEEEEEE10hipError_tPvRmT3_T4_T5_T6_T7_T9_mT8_P12ihipStream_tbDpT10_ENKUlT_T0_E_clISt17integral_constantIbLb1EES17_IbLb0EEEEDaS13_S14_EUlS13_E_NS1_11comp_targetILNS1_3genE2ELNS1_11target_archE906ELNS1_3gpuE6ELNS1_3repE0EEENS1_30default_config_static_selectorELNS0_4arch9wavefront6targetE0EEEvT1_,"axG",@progbits,_ZN7rocprim17ROCPRIM_400000_NS6detail17trampoline_kernelINS0_14default_configENS1_25partition_config_selectorILNS1_17partition_subalgoE6EtNS0_10empty_typeEbEEZZNS1_14partition_implILS5_6ELb0ES3_mN6thrust23THRUST_200600_302600_NS6detail15normal_iteratorINSA_10device_ptrItEEEEPS6_SG_NS0_5tupleIJSF_S6_EEENSH_IJSG_SG_EEES6_PlJNSB_9not_fun_tI7is_evenItEEEEEE10hipError_tPvRmT3_T4_T5_T6_T7_T9_mT8_P12ihipStream_tbDpT10_ENKUlT_T0_E_clISt17integral_constantIbLb1EES17_IbLb0EEEEDaS13_S14_EUlS13_E_NS1_11comp_targetILNS1_3genE2ELNS1_11target_archE906ELNS1_3gpuE6ELNS1_3repE0EEENS1_30default_config_static_selectorELNS0_4arch9wavefront6targetE0EEEvT1_,comdat
	.protected	_ZN7rocprim17ROCPRIM_400000_NS6detail17trampoline_kernelINS0_14default_configENS1_25partition_config_selectorILNS1_17partition_subalgoE6EtNS0_10empty_typeEbEEZZNS1_14partition_implILS5_6ELb0ES3_mN6thrust23THRUST_200600_302600_NS6detail15normal_iteratorINSA_10device_ptrItEEEEPS6_SG_NS0_5tupleIJSF_S6_EEENSH_IJSG_SG_EEES6_PlJNSB_9not_fun_tI7is_evenItEEEEEE10hipError_tPvRmT3_T4_T5_T6_T7_T9_mT8_P12ihipStream_tbDpT10_ENKUlT_T0_E_clISt17integral_constantIbLb1EES17_IbLb0EEEEDaS13_S14_EUlS13_E_NS1_11comp_targetILNS1_3genE2ELNS1_11target_archE906ELNS1_3gpuE6ELNS1_3repE0EEENS1_30default_config_static_selectorELNS0_4arch9wavefront6targetE0EEEvT1_ ; -- Begin function _ZN7rocprim17ROCPRIM_400000_NS6detail17trampoline_kernelINS0_14default_configENS1_25partition_config_selectorILNS1_17partition_subalgoE6EtNS0_10empty_typeEbEEZZNS1_14partition_implILS5_6ELb0ES3_mN6thrust23THRUST_200600_302600_NS6detail15normal_iteratorINSA_10device_ptrItEEEEPS6_SG_NS0_5tupleIJSF_S6_EEENSH_IJSG_SG_EEES6_PlJNSB_9not_fun_tI7is_evenItEEEEEE10hipError_tPvRmT3_T4_T5_T6_T7_T9_mT8_P12ihipStream_tbDpT10_ENKUlT_T0_E_clISt17integral_constantIbLb1EES17_IbLb0EEEEDaS13_S14_EUlS13_E_NS1_11comp_targetILNS1_3genE2ELNS1_11target_archE906ELNS1_3gpuE6ELNS1_3repE0EEENS1_30default_config_static_selectorELNS0_4arch9wavefront6targetE0EEEvT1_
	.globl	_ZN7rocprim17ROCPRIM_400000_NS6detail17trampoline_kernelINS0_14default_configENS1_25partition_config_selectorILNS1_17partition_subalgoE6EtNS0_10empty_typeEbEEZZNS1_14partition_implILS5_6ELb0ES3_mN6thrust23THRUST_200600_302600_NS6detail15normal_iteratorINSA_10device_ptrItEEEEPS6_SG_NS0_5tupleIJSF_S6_EEENSH_IJSG_SG_EEES6_PlJNSB_9not_fun_tI7is_evenItEEEEEE10hipError_tPvRmT3_T4_T5_T6_T7_T9_mT8_P12ihipStream_tbDpT10_ENKUlT_T0_E_clISt17integral_constantIbLb1EES17_IbLb0EEEEDaS13_S14_EUlS13_E_NS1_11comp_targetILNS1_3genE2ELNS1_11target_archE906ELNS1_3gpuE6ELNS1_3repE0EEENS1_30default_config_static_selectorELNS0_4arch9wavefront6targetE0EEEvT1_
	.p2align	8
	.type	_ZN7rocprim17ROCPRIM_400000_NS6detail17trampoline_kernelINS0_14default_configENS1_25partition_config_selectorILNS1_17partition_subalgoE6EtNS0_10empty_typeEbEEZZNS1_14partition_implILS5_6ELb0ES3_mN6thrust23THRUST_200600_302600_NS6detail15normal_iteratorINSA_10device_ptrItEEEEPS6_SG_NS0_5tupleIJSF_S6_EEENSH_IJSG_SG_EEES6_PlJNSB_9not_fun_tI7is_evenItEEEEEE10hipError_tPvRmT3_T4_T5_T6_T7_T9_mT8_P12ihipStream_tbDpT10_ENKUlT_T0_E_clISt17integral_constantIbLb1EES17_IbLb0EEEEDaS13_S14_EUlS13_E_NS1_11comp_targetILNS1_3genE2ELNS1_11target_archE906ELNS1_3gpuE6ELNS1_3repE0EEENS1_30default_config_static_selectorELNS0_4arch9wavefront6targetE0EEEvT1_,@function
_ZN7rocprim17ROCPRIM_400000_NS6detail17trampoline_kernelINS0_14default_configENS1_25partition_config_selectorILNS1_17partition_subalgoE6EtNS0_10empty_typeEbEEZZNS1_14partition_implILS5_6ELb0ES3_mN6thrust23THRUST_200600_302600_NS6detail15normal_iteratorINSA_10device_ptrItEEEEPS6_SG_NS0_5tupleIJSF_S6_EEENSH_IJSG_SG_EEES6_PlJNSB_9not_fun_tI7is_evenItEEEEEE10hipError_tPvRmT3_T4_T5_T6_T7_T9_mT8_P12ihipStream_tbDpT10_ENKUlT_T0_E_clISt17integral_constantIbLb1EES17_IbLb0EEEEDaS13_S14_EUlS13_E_NS1_11comp_targetILNS1_3genE2ELNS1_11target_archE906ELNS1_3gpuE6ELNS1_3repE0EEENS1_30default_config_static_selectorELNS0_4arch9wavefront6targetE0EEEvT1_: ; @_ZN7rocprim17ROCPRIM_400000_NS6detail17trampoline_kernelINS0_14default_configENS1_25partition_config_selectorILNS1_17partition_subalgoE6EtNS0_10empty_typeEbEEZZNS1_14partition_implILS5_6ELb0ES3_mN6thrust23THRUST_200600_302600_NS6detail15normal_iteratorINSA_10device_ptrItEEEEPS6_SG_NS0_5tupleIJSF_S6_EEENSH_IJSG_SG_EEES6_PlJNSB_9not_fun_tI7is_evenItEEEEEE10hipError_tPvRmT3_T4_T5_T6_T7_T9_mT8_P12ihipStream_tbDpT10_ENKUlT_T0_E_clISt17integral_constantIbLb1EES17_IbLb0EEEEDaS13_S14_EUlS13_E_NS1_11comp_targetILNS1_3genE2ELNS1_11target_archE906ELNS1_3gpuE6ELNS1_3repE0EEENS1_30default_config_static_selectorELNS0_4arch9wavefront6targetE0EEEvT1_
; %bb.0:
	.section	.rodata,"a",@progbits
	.p2align	6, 0x0
	.amdhsa_kernel _ZN7rocprim17ROCPRIM_400000_NS6detail17trampoline_kernelINS0_14default_configENS1_25partition_config_selectorILNS1_17partition_subalgoE6EtNS0_10empty_typeEbEEZZNS1_14partition_implILS5_6ELb0ES3_mN6thrust23THRUST_200600_302600_NS6detail15normal_iteratorINSA_10device_ptrItEEEEPS6_SG_NS0_5tupleIJSF_S6_EEENSH_IJSG_SG_EEES6_PlJNSB_9not_fun_tI7is_evenItEEEEEE10hipError_tPvRmT3_T4_T5_T6_T7_T9_mT8_P12ihipStream_tbDpT10_ENKUlT_T0_E_clISt17integral_constantIbLb1EES17_IbLb0EEEEDaS13_S14_EUlS13_E_NS1_11comp_targetILNS1_3genE2ELNS1_11target_archE906ELNS1_3gpuE6ELNS1_3repE0EEENS1_30default_config_static_selectorELNS0_4arch9wavefront6targetE0EEEvT1_
		.amdhsa_group_segment_fixed_size 0
		.amdhsa_private_segment_fixed_size 0
		.amdhsa_kernarg_size 112
		.amdhsa_user_sgpr_count 2
		.amdhsa_user_sgpr_dispatch_ptr 0
		.amdhsa_user_sgpr_queue_ptr 0
		.amdhsa_user_sgpr_kernarg_segment_ptr 1
		.amdhsa_user_sgpr_dispatch_id 0
		.amdhsa_user_sgpr_private_segment_size 0
		.amdhsa_wavefront_size32 1
		.amdhsa_uses_dynamic_stack 0
		.amdhsa_enable_private_segment 0
		.amdhsa_system_sgpr_workgroup_id_x 1
		.amdhsa_system_sgpr_workgroup_id_y 0
		.amdhsa_system_sgpr_workgroup_id_z 0
		.amdhsa_system_sgpr_workgroup_info 0
		.amdhsa_system_vgpr_workitem_id 0
		.amdhsa_next_free_vgpr 1
		.amdhsa_next_free_sgpr 1
		.amdhsa_reserve_vcc 0
		.amdhsa_float_round_mode_32 0
		.amdhsa_float_round_mode_16_64 0
		.amdhsa_float_denorm_mode_32 3
		.amdhsa_float_denorm_mode_16_64 3
		.amdhsa_fp16_overflow 0
		.amdhsa_workgroup_processor_mode 1
		.amdhsa_memory_ordered 1
		.amdhsa_forward_progress 1
		.amdhsa_inst_pref_size 0
		.amdhsa_round_robin_scheduling 0
		.amdhsa_exception_fp_ieee_invalid_op 0
		.amdhsa_exception_fp_denorm_src 0
		.amdhsa_exception_fp_ieee_div_zero 0
		.amdhsa_exception_fp_ieee_overflow 0
		.amdhsa_exception_fp_ieee_underflow 0
		.amdhsa_exception_fp_ieee_inexact 0
		.amdhsa_exception_int_div_zero 0
	.end_amdhsa_kernel
	.section	.text._ZN7rocprim17ROCPRIM_400000_NS6detail17trampoline_kernelINS0_14default_configENS1_25partition_config_selectorILNS1_17partition_subalgoE6EtNS0_10empty_typeEbEEZZNS1_14partition_implILS5_6ELb0ES3_mN6thrust23THRUST_200600_302600_NS6detail15normal_iteratorINSA_10device_ptrItEEEEPS6_SG_NS0_5tupleIJSF_S6_EEENSH_IJSG_SG_EEES6_PlJNSB_9not_fun_tI7is_evenItEEEEEE10hipError_tPvRmT3_T4_T5_T6_T7_T9_mT8_P12ihipStream_tbDpT10_ENKUlT_T0_E_clISt17integral_constantIbLb1EES17_IbLb0EEEEDaS13_S14_EUlS13_E_NS1_11comp_targetILNS1_3genE2ELNS1_11target_archE906ELNS1_3gpuE6ELNS1_3repE0EEENS1_30default_config_static_selectorELNS0_4arch9wavefront6targetE0EEEvT1_,"axG",@progbits,_ZN7rocprim17ROCPRIM_400000_NS6detail17trampoline_kernelINS0_14default_configENS1_25partition_config_selectorILNS1_17partition_subalgoE6EtNS0_10empty_typeEbEEZZNS1_14partition_implILS5_6ELb0ES3_mN6thrust23THRUST_200600_302600_NS6detail15normal_iteratorINSA_10device_ptrItEEEEPS6_SG_NS0_5tupleIJSF_S6_EEENSH_IJSG_SG_EEES6_PlJNSB_9not_fun_tI7is_evenItEEEEEE10hipError_tPvRmT3_T4_T5_T6_T7_T9_mT8_P12ihipStream_tbDpT10_ENKUlT_T0_E_clISt17integral_constantIbLb1EES17_IbLb0EEEEDaS13_S14_EUlS13_E_NS1_11comp_targetILNS1_3genE2ELNS1_11target_archE906ELNS1_3gpuE6ELNS1_3repE0EEENS1_30default_config_static_selectorELNS0_4arch9wavefront6targetE0EEEvT1_,comdat
.Lfunc_end681:
	.size	_ZN7rocprim17ROCPRIM_400000_NS6detail17trampoline_kernelINS0_14default_configENS1_25partition_config_selectorILNS1_17partition_subalgoE6EtNS0_10empty_typeEbEEZZNS1_14partition_implILS5_6ELb0ES3_mN6thrust23THRUST_200600_302600_NS6detail15normal_iteratorINSA_10device_ptrItEEEEPS6_SG_NS0_5tupleIJSF_S6_EEENSH_IJSG_SG_EEES6_PlJNSB_9not_fun_tI7is_evenItEEEEEE10hipError_tPvRmT3_T4_T5_T6_T7_T9_mT8_P12ihipStream_tbDpT10_ENKUlT_T0_E_clISt17integral_constantIbLb1EES17_IbLb0EEEEDaS13_S14_EUlS13_E_NS1_11comp_targetILNS1_3genE2ELNS1_11target_archE906ELNS1_3gpuE6ELNS1_3repE0EEENS1_30default_config_static_selectorELNS0_4arch9wavefront6targetE0EEEvT1_, .Lfunc_end681-_ZN7rocprim17ROCPRIM_400000_NS6detail17trampoline_kernelINS0_14default_configENS1_25partition_config_selectorILNS1_17partition_subalgoE6EtNS0_10empty_typeEbEEZZNS1_14partition_implILS5_6ELb0ES3_mN6thrust23THRUST_200600_302600_NS6detail15normal_iteratorINSA_10device_ptrItEEEEPS6_SG_NS0_5tupleIJSF_S6_EEENSH_IJSG_SG_EEES6_PlJNSB_9not_fun_tI7is_evenItEEEEEE10hipError_tPvRmT3_T4_T5_T6_T7_T9_mT8_P12ihipStream_tbDpT10_ENKUlT_T0_E_clISt17integral_constantIbLb1EES17_IbLb0EEEEDaS13_S14_EUlS13_E_NS1_11comp_targetILNS1_3genE2ELNS1_11target_archE906ELNS1_3gpuE6ELNS1_3repE0EEENS1_30default_config_static_selectorELNS0_4arch9wavefront6targetE0EEEvT1_
                                        ; -- End function
	.set _ZN7rocprim17ROCPRIM_400000_NS6detail17trampoline_kernelINS0_14default_configENS1_25partition_config_selectorILNS1_17partition_subalgoE6EtNS0_10empty_typeEbEEZZNS1_14partition_implILS5_6ELb0ES3_mN6thrust23THRUST_200600_302600_NS6detail15normal_iteratorINSA_10device_ptrItEEEEPS6_SG_NS0_5tupleIJSF_S6_EEENSH_IJSG_SG_EEES6_PlJNSB_9not_fun_tI7is_evenItEEEEEE10hipError_tPvRmT3_T4_T5_T6_T7_T9_mT8_P12ihipStream_tbDpT10_ENKUlT_T0_E_clISt17integral_constantIbLb1EES17_IbLb0EEEEDaS13_S14_EUlS13_E_NS1_11comp_targetILNS1_3genE2ELNS1_11target_archE906ELNS1_3gpuE6ELNS1_3repE0EEENS1_30default_config_static_selectorELNS0_4arch9wavefront6targetE0EEEvT1_.num_vgpr, 0
	.set _ZN7rocprim17ROCPRIM_400000_NS6detail17trampoline_kernelINS0_14default_configENS1_25partition_config_selectorILNS1_17partition_subalgoE6EtNS0_10empty_typeEbEEZZNS1_14partition_implILS5_6ELb0ES3_mN6thrust23THRUST_200600_302600_NS6detail15normal_iteratorINSA_10device_ptrItEEEEPS6_SG_NS0_5tupleIJSF_S6_EEENSH_IJSG_SG_EEES6_PlJNSB_9not_fun_tI7is_evenItEEEEEE10hipError_tPvRmT3_T4_T5_T6_T7_T9_mT8_P12ihipStream_tbDpT10_ENKUlT_T0_E_clISt17integral_constantIbLb1EES17_IbLb0EEEEDaS13_S14_EUlS13_E_NS1_11comp_targetILNS1_3genE2ELNS1_11target_archE906ELNS1_3gpuE6ELNS1_3repE0EEENS1_30default_config_static_selectorELNS0_4arch9wavefront6targetE0EEEvT1_.num_agpr, 0
	.set _ZN7rocprim17ROCPRIM_400000_NS6detail17trampoline_kernelINS0_14default_configENS1_25partition_config_selectorILNS1_17partition_subalgoE6EtNS0_10empty_typeEbEEZZNS1_14partition_implILS5_6ELb0ES3_mN6thrust23THRUST_200600_302600_NS6detail15normal_iteratorINSA_10device_ptrItEEEEPS6_SG_NS0_5tupleIJSF_S6_EEENSH_IJSG_SG_EEES6_PlJNSB_9not_fun_tI7is_evenItEEEEEE10hipError_tPvRmT3_T4_T5_T6_T7_T9_mT8_P12ihipStream_tbDpT10_ENKUlT_T0_E_clISt17integral_constantIbLb1EES17_IbLb0EEEEDaS13_S14_EUlS13_E_NS1_11comp_targetILNS1_3genE2ELNS1_11target_archE906ELNS1_3gpuE6ELNS1_3repE0EEENS1_30default_config_static_selectorELNS0_4arch9wavefront6targetE0EEEvT1_.numbered_sgpr, 0
	.set _ZN7rocprim17ROCPRIM_400000_NS6detail17trampoline_kernelINS0_14default_configENS1_25partition_config_selectorILNS1_17partition_subalgoE6EtNS0_10empty_typeEbEEZZNS1_14partition_implILS5_6ELb0ES3_mN6thrust23THRUST_200600_302600_NS6detail15normal_iteratorINSA_10device_ptrItEEEEPS6_SG_NS0_5tupleIJSF_S6_EEENSH_IJSG_SG_EEES6_PlJNSB_9not_fun_tI7is_evenItEEEEEE10hipError_tPvRmT3_T4_T5_T6_T7_T9_mT8_P12ihipStream_tbDpT10_ENKUlT_T0_E_clISt17integral_constantIbLb1EES17_IbLb0EEEEDaS13_S14_EUlS13_E_NS1_11comp_targetILNS1_3genE2ELNS1_11target_archE906ELNS1_3gpuE6ELNS1_3repE0EEENS1_30default_config_static_selectorELNS0_4arch9wavefront6targetE0EEEvT1_.num_named_barrier, 0
	.set _ZN7rocprim17ROCPRIM_400000_NS6detail17trampoline_kernelINS0_14default_configENS1_25partition_config_selectorILNS1_17partition_subalgoE6EtNS0_10empty_typeEbEEZZNS1_14partition_implILS5_6ELb0ES3_mN6thrust23THRUST_200600_302600_NS6detail15normal_iteratorINSA_10device_ptrItEEEEPS6_SG_NS0_5tupleIJSF_S6_EEENSH_IJSG_SG_EEES6_PlJNSB_9not_fun_tI7is_evenItEEEEEE10hipError_tPvRmT3_T4_T5_T6_T7_T9_mT8_P12ihipStream_tbDpT10_ENKUlT_T0_E_clISt17integral_constantIbLb1EES17_IbLb0EEEEDaS13_S14_EUlS13_E_NS1_11comp_targetILNS1_3genE2ELNS1_11target_archE906ELNS1_3gpuE6ELNS1_3repE0EEENS1_30default_config_static_selectorELNS0_4arch9wavefront6targetE0EEEvT1_.private_seg_size, 0
	.set _ZN7rocprim17ROCPRIM_400000_NS6detail17trampoline_kernelINS0_14default_configENS1_25partition_config_selectorILNS1_17partition_subalgoE6EtNS0_10empty_typeEbEEZZNS1_14partition_implILS5_6ELb0ES3_mN6thrust23THRUST_200600_302600_NS6detail15normal_iteratorINSA_10device_ptrItEEEEPS6_SG_NS0_5tupleIJSF_S6_EEENSH_IJSG_SG_EEES6_PlJNSB_9not_fun_tI7is_evenItEEEEEE10hipError_tPvRmT3_T4_T5_T6_T7_T9_mT8_P12ihipStream_tbDpT10_ENKUlT_T0_E_clISt17integral_constantIbLb1EES17_IbLb0EEEEDaS13_S14_EUlS13_E_NS1_11comp_targetILNS1_3genE2ELNS1_11target_archE906ELNS1_3gpuE6ELNS1_3repE0EEENS1_30default_config_static_selectorELNS0_4arch9wavefront6targetE0EEEvT1_.uses_vcc, 0
	.set _ZN7rocprim17ROCPRIM_400000_NS6detail17trampoline_kernelINS0_14default_configENS1_25partition_config_selectorILNS1_17partition_subalgoE6EtNS0_10empty_typeEbEEZZNS1_14partition_implILS5_6ELb0ES3_mN6thrust23THRUST_200600_302600_NS6detail15normal_iteratorINSA_10device_ptrItEEEEPS6_SG_NS0_5tupleIJSF_S6_EEENSH_IJSG_SG_EEES6_PlJNSB_9not_fun_tI7is_evenItEEEEEE10hipError_tPvRmT3_T4_T5_T6_T7_T9_mT8_P12ihipStream_tbDpT10_ENKUlT_T0_E_clISt17integral_constantIbLb1EES17_IbLb0EEEEDaS13_S14_EUlS13_E_NS1_11comp_targetILNS1_3genE2ELNS1_11target_archE906ELNS1_3gpuE6ELNS1_3repE0EEENS1_30default_config_static_selectorELNS0_4arch9wavefront6targetE0EEEvT1_.uses_flat_scratch, 0
	.set _ZN7rocprim17ROCPRIM_400000_NS6detail17trampoline_kernelINS0_14default_configENS1_25partition_config_selectorILNS1_17partition_subalgoE6EtNS0_10empty_typeEbEEZZNS1_14partition_implILS5_6ELb0ES3_mN6thrust23THRUST_200600_302600_NS6detail15normal_iteratorINSA_10device_ptrItEEEEPS6_SG_NS0_5tupleIJSF_S6_EEENSH_IJSG_SG_EEES6_PlJNSB_9not_fun_tI7is_evenItEEEEEE10hipError_tPvRmT3_T4_T5_T6_T7_T9_mT8_P12ihipStream_tbDpT10_ENKUlT_T0_E_clISt17integral_constantIbLb1EES17_IbLb0EEEEDaS13_S14_EUlS13_E_NS1_11comp_targetILNS1_3genE2ELNS1_11target_archE906ELNS1_3gpuE6ELNS1_3repE0EEENS1_30default_config_static_selectorELNS0_4arch9wavefront6targetE0EEEvT1_.has_dyn_sized_stack, 0
	.set _ZN7rocprim17ROCPRIM_400000_NS6detail17trampoline_kernelINS0_14default_configENS1_25partition_config_selectorILNS1_17partition_subalgoE6EtNS0_10empty_typeEbEEZZNS1_14partition_implILS5_6ELb0ES3_mN6thrust23THRUST_200600_302600_NS6detail15normal_iteratorINSA_10device_ptrItEEEEPS6_SG_NS0_5tupleIJSF_S6_EEENSH_IJSG_SG_EEES6_PlJNSB_9not_fun_tI7is_evenItEEEEEE10hipError_tPvRmT3_T4_T5_T6_T7_T9_mT8_P12ihipStream_tbDpT10_ENKUlT_T0_E_clISt17integral_constantIbLb1EES17_IbLb0EEEEDaS13_S14_EUlS13_E_NS1_11comp_targetILNS1_3genE2ELNS1_11target_archE906ELNS1_3gpuE6ELNS1_3repE0EEENS1_30default_config_static_selectorELNS0_4arch9wavefront6targetE0EEEvT1_.has_recursion, 0
	.set _ZN7rocprim17ROCPRIM_400000_NS6detail17trampoline_kernelINS0_14default_configENS1_25partition_config_selectorILNS1_17partition_subalgoE6EtNS0_10empty_typeEbEEZZNS1_14partition_implILS5_6ELb0ES3_mN6thrust23THRUST_200600_302600_NS6detail15normal_iteratorINSA_10device_ptrItEEEEPS6_SG_NS0_5tupleIJSF_S6_EEENSH_IJSG_SG_EEES6_PlJNSB_9not_fun_tI7is_evenItEEEEEE10hipError_tPvRmT3_T4_T5_T6_T7_T9_mT8_P12ihipStream_tbDpT10_ENKUlT_T0_E_clISt17integral_constantIbLb1EES17_IbLb0EEEEDaS13_S14_EUlS13_E_NS1_11comp_targetILNS1_3genE2ELNS1_11target_archE906ELNS1_3gpuE6ELNS1_3repE0EEENS1_30default_config_static_selectorELNS0_4arch9wavefront6targetE0EEEvT1_.has_indirect_call, 0
	.section	.AMDGPU.csdata,"",@progbits
; Kernel info:
; codeLenInByte = 0
; TotalNumSgprs: 0
; NumVgprs: 0
; ScratchSize: 0
; MemoryBound: 0
; FloatMode: 240
; IeeeMode: 1
; LDSByteSize: 0 bytes/workgroup (compile time only)
; SGPRBlocks: 0
; VGPRBlocks: 0
; NumSGPRsForWavesPerEU: 1
; NumVGPRsForWavesPerEU: 1
; Occupancy: 16
; WaveLimiterHint : 0
; COMPUTE_PGM_RSRC2:SCRATCH_EN: 0
; COMPUTE_PGM_RSRC2:USER_SGPR: 2
; COMPUTE_PGM_RSRC2:TRAP_HANDLER: 0
; COMPUTE_PGM_RSRC2:TGID_X_EN: 1
; COMPUTE_PGM_RSRC2:TGID_Y_EN: 0
; COMPUTE_PGM_RSRC2:TGID_Z_EN: 0
; COMPUTE_PGM_RSRC2:TIDIG_COMP_CNT: 0
	.section	.text._ZN7rocprim17ROCPRIM_400000_NS6detail17trampoline_kernelINS0_14default_configENS1_25partition_config_selectorILNS1_17partition_subalgoE6EtNS0_10empty_typeEbEEZZNS1_14partition_implILS5_6ELb0ES3_mN6thrust23THRUST_200600_302600_NS6detail15normal_iteratorINSA_10device_ptrItEEEEPS6_SG_NS0_5tupleIJSF_S6_EEENSH_IJSG_SG_EEES6_PlJNSB_9not_fun_tI7is_evenItEEEEEE10hipError_tPvRmT3_T4_T5_T6_T7_T9_mT8_P12ihipStream_tbDpT10_ENKUlT_T0_E_clISt17integral_constantIbLb1EES17_IbLb0EEEEDaS13_S14_EUlS13_E_NS1_11comp_targetILNS1_3genE10ELNS1_11target_archE1200ELNS1_3gpuE4ELNS1_3repE0EEENS1_30default_config_static_selectorELNS0_4arch9wavefront6targetE0EEEvT1_,"axG",@progbits,_ZN7rocprim17ROCPRIM_400000_NS6detail17trampoline_kernelINS0_14default_configENS1_25partition_config_selectorILNS1_17partition_subalgoE6EtNS0_10empty_typeEbEEZZNS1_14partition_implILS5_6ELb0ES3_mN6thrust23THRUST_200600_302600_NS6detail15normal_iteratorINSA_10device_ptrItEEEEPS6_SG_NS0_5tupleIJSF_S6_EEENSH_IJSG_SG_EEES6_PlJNSB_9not_fun_tI7is_evenItEEEEEE10hipError_tPvRmT3_T4_T5_T6_T7_T9_mT8_P12ihipStream_tbDpT10_ENKUlT_T0_E_clISt17integral_constantIbLb1EES17_IbLb0EEEEDaS13_S14_EUlS13_E_NS1_11comp_targetILNS1_3genE10ELNS1_11target_archE1200ELNS1_3gpuE4ELNS1_3repE0EEENS1_30default_config_static_selectorELNS0_4arch9wavefront6targetE0EEEvT1_,comdat
	.protected	_ZN7rocprim17ROCPRIM_400000_NS6detail17trampoline_kernelINS0_14default_configENS1_25partition_config_selectorILNS1_17partition_subalgoE6EtNS0_10empty_typeEbEEZZNS1_14partition_implILS5_6ELb0ES3_mN6thrust23THRUST_200600_302600_NS6detail15normal_iteratorINSA_10device_ptrItEEEEPS6_SG_NS0_5tupleIJSF_S6_EEENSH_IJSG_SG_EEES6_PlJNSB_9not_fun_tI7is_evenItEEEEEE10hipError_tPvRmT3_T4_T5_T6_T7_T9_mT8_P12ihipStream_tbDpT10_ENKUlT_T0_E_clISt17integral_constantIbLb1EES17_IbLb0EEEEDaS13_S14_EUlS13_E_NS1_11comp_targetILNS1_3genE10ELNS1_11target_archE1200ELNS1_3gpuE4ELNS1_3repE0EEENS1_30default_config_static_selectorELNS0_4arch9wavefront6targetE0EEEvT1_ ; -- Begin function _ZN7rocprim17ROCPRIM_400000_NS6detail17trampoline_kernelINS0_14default_configENS1_25partition_config_selectorILNS1_17partition_subalgoE6EtNS0_10empty_typeEbEEZZNS1_14partition_implILS5_6ELb0ES3_mN6thrust23THRUST_200600_302600_NS6detail15normal_iteratorINSA_10device_ptrItEEEEPS6_SG_NS0_5tupleIJSF_S6_EEENSH_IJSG_SG_EEES6_PlJNSB_9not_fun_tI7is_evenItEEEEEE10hipError_tPvRmT3_T4_T5_T6_T7_T9_mT8_P12ihipStream_tbDpT10_ENKUlT_T0_E_clISt17integral_constantIbLb1EES17_IbLb0EEEEDaS13_S14_EUlS13_E_NS1_11comp_targetILNS1_3genE10ELNS1_11target_archE1200ELNS1_3gpuE4ELNS1_3repE0EEENS1_30default_config_static_selectorELNS0_4arch9wavefront6targetE0EEEvT1_
	.globl	_ZN7rocprim17ROCPRIM_400000_NS6detail17trampoline_kernelINS0_14default_configENS1_25partition_config_selectorILNS1_17partition_subalgoE6EtNS0_10empty_typeEbEEZZNS1_14partition_implILS5_6ELb0ES3_mN6thrust23THRUST_200600_302600_NS6detail15normal_iteratorINSA_10device_ptrItEEEEPS6_SG_NS0_5tupleIJSF_S6_EEENSH_IJSG_SG_EEES6_PlJNSB_9not_fun_tI7is_evenItEEEEEE10hipError_tPvRmT3_T4_T5_T6_T7_T9_mT8_P12ihipStream_tbDpT10_ENKUlT_T0_E_clISt17integral_constantIbLb1EES17_IbLb0EEEEDaS13_S14_EUlS13_E_NS1_11comp_targetILNS1_3genE10ELNS1_11target_archE1200ELNS1_3gpuE4ELNS1_3repE0EEENS1_30default_config_static_selectorELNS0_4arch9wavefront6targetE0EEEvT1_
	.p2align	8
	.type	_ZN7rocprim17ROCPRIM_400000_NS6detail17trampoline_kernelINS0_14default_configENS1_25partition_config_selectorILNS1_17partition_subalgoE6EtNS0_10empty_typeEbEEZZNS1_14partition_implILS5_6ELb0ES3_mN6thrust23THRUST_200600_302600_NS6detail15normal_iteratorINSA_10device_ptrItEEEEPS6_SG_NS0_5tupleIJSF_S6_EEENSH_IJSG_SG_EEES6_PlJNSB_9not_fun_tI7is_evenItEEEEEE10hipError_tPvRmT3_T4_T5_T6_T7_T9_mT8_P12ihipStream_tbDpT10_ENKUlT_T0_E_clISt17integral_constantIbLb1EES17_IbLb0EEEEDaS13_S14_EUlS13_E_NS1_11comp_targetILNS1_3genE10ELNS1_11target_archE1200ELNS1_3gpuE4ELNS1_3repE0EEENS1_30default_config_static_selectorELNS0_4arch9wavefront6targetE0EEEvT1_,@function
_ZN7rocprim17ROCPRIM_400000_NS6detail17trampoline_kernelINS0_14default_configENS1_25partition_config_selectorILNS1_17partition_subalgoE6EtNS0_10empty_typeEbEEZZNS1_14partition_implILS5_6ELb0ES3_mN6thrust23THRUST_200600_302600_NS6detail15normal_iteratorINSA_10device_ptrItEEEEPS6_SG_NS0_5tupleIJSF_S6_EEENSH_IJSG_SG_EEES6_PlJNSB_9not_fun_tI7is_evenItEEEEEE10hipError_tPvRmT3_T4_T5_T6_T7_T9_mT8_P12ihipStream_tbDpT10_ENKUlT_T0_E_clISt17integral_constantIbLb1EES17_IbLb0EEEEDaS13_S14_EUlS13_E_NS1_11comp_targetILNS1_3genE10ELNS1_11target_archE1200ELNS1_3gpuE4ELNS1_3repE0EEENS1_30default_config_static_selectorELNS0_4arch9wavefront6targetE0EEEvT1_: ; @_ZN7rocprim17ROCPRIM_400000_NS6detail17trampoline_kernelINS0_14default_configENS1_25partition_config_selectorILNS1_17partition_subalgoE6EtNS0_10empty_typeEbEEZZNS1_14partition_implILS5_6ELb0ES3_mN6thrust23THRUST_200600_302600_NS6detail15normal_iteratorINSA_10device_ptrItEEEEPS6_SG_NS0_5tupleIJSF_S6_EEENSH_IJSG_SG_EEES6_PlJNSB_9not_fun_tI7is_evenItEEEEEE10hipError_tPvRmT3_T4_T5_T6_T7_T9_mT8_P12ihipStream_tbDpT10_ENKUlT_T0_E_clISt17integral_constantIbLb1EES17_IbLb0EEEEDaS13_S14_EUlS13_E_NS1_11comp_targetILNS1_3genE10ELNS1_11target_archE1200ELNS1_3gpuE4ELNS1_3repE0EEENS1_30default_config_static_selectorELNS0_4arch9wavefront6targetE0EEEvT1_
; %bb.0:
	s_endpgm
	.section	.rodata,"a",@progbits
	.p2align	6, 0x0
	.amdhsa_kernel _ZN7rocprim17ROCPRIM_400000_NS6detail17trampoline_kernelINS0_14default_configENS1_25partition_config_selectorILNS1_17partition_subalgoE6EtNS0_10empty_typeEbEEZZNS1_14partition_implILS5_6ELb0ES3_mN6thrust23THRUST_200600_302600_NS6detail15normal_iteratorINSA_10device_ptrItEEEEPS6_SG_NS0_5tupleIJSF_S6_EEENSH_IJSG_SG_EEES6_PlJNSB_9not_fun_tI7is_evenItEEEEEE10hipError_tPvRmT3_T4_T5_T6_T7_T9_mT8_P12ihipStream_tbDpT10_ENKUlT_T0_E_clISt17integral_constantIbLb1EES17_IbLb0EEEEDaS13_S14_EUlS13_E_NS1_11comp_targetILNS1_3genE10ELNS1_11target_archE1200ELNS1_3gpuE4ELNS1_3repE0EEENS1_30default_config_static_selectorELNS0_4arch9wavefront6targetE0EEEvT1_
		.amdhsa_group_segment_fixed_size 0
		.amdhsa_private_segment_fixed_size 0
		.amdhsa_kernarg_size 112
		.amdhsa_user_sgpr_count 2
		.amdhsa_user_sgpr_dispatch_ptr 0
		.amdhsa_user_sgpr_queue_ptr 0
		.amdhsa_user_sgpr_kernarg_segment_ptr 1
		.amdhsa_user_sgpr_dispatch_id 0
		.amdhsa_user_sgpr_private_segment_size 0
		.amdhsa_wavefront_size32 1
		.amdhsa_uses_dynamic_stack 0
		.amdhsa_enable_private_segment 0
		.amdhsa_system_sgpr_workgroup_id_x 1
		.amdhsa_system_sgpr_workgroup_id_y 0
		.amdhsa_system_sgpr_workgroup_id_z 0
		.amdhsa_system_sgpr_workgroup_info 0
		.amdhsa_system_vgpr_workitem_id 0
		.amdhsa_next_free_vgpr 1
		.amdhsa_next_free_sgpr 1
		.amdhsa_reserve_vcc 0
		.amdhsa_float_round_mode_32 0
		.amdhsa_float_round_mode_16_64 0
		.amdhsa_float_denorm_mode_32 3
		.amdhsa_float_denorm_mode_16_64 3
		.amdhsa_fp16_overflow 0
		.amdhsa_workgroup_processor_mode 1
		.amdhsa_memory_ordered 1
		.amdhsa_forward_progress 1
		.amdhsa_inst_pref_size 1
		.amdhsa_round_robin_scheduling 0
		.amdhsa_exception_fp_ieee_invalid_op 0
		.amdhsa_exception_fp_denorm_src 0
		.amdhsa_exception_fp_ieee_div_zero 0
		.amdhsa_exception_fp_ieee_overflow 0
		.amdhsa_exception_fp_ieee_underflow 0
		.amdhsa_exception_fp_ieee_inexact 0
		.amdhsa_exception_int_div_zero 0
	.end_amdhsa_kernel
	.section	.text._ZN7rocprim17ROCPRIM_400000_NS6detail17trampoline_kernelINS0_14default_configENS1_25partition_config_selectorILNS1_17partition_subalgoE6EtNS0_10empty_typeEbEEZZNS1_14partition_implILS5_6ELb0ES3_mN6thrust23THRUST_200600_302600_NS6detail15normal_iteratorINSA_10device_ptrItEEEEPS6_SG_NS0_5tupleIJSF_S6_EEENSH_IJSG_SG_EEES6_PlJNSB_9not_fun_tI7is_evenItEEEEEE10hipError_tPvRmT3_T4_T5_T6_T7_T9_mT8_P12ihipStream_tbDpT10_ENKUlT_T0_E_clISt17integral_constantIbLb1EES17_IbLb0EEEEDaS13_S14_EUlS13_E_NS1_11comp_targetILNS1_3genE10ELNS1_11target_archE1200ELNS1_3gpuE4ELNS1_3repE0EEENS1_30default_config_static_selectorELNS0_4arch9wavefront6targetE0EEEvT1_,"axG",@progbits,_ZN7rocprim17ROCPRIM_400000_NS6detail17trampoline_kernelINS0_14default_configENS1_25partition_config_selectorILNS1_17partition_subalgoE6EtNS0_10empty_typeEbEEZZNS1_14partition_implILS5_6ELb0ES3_mN6thrust23THRUST_200600_302600_NS6detail15normal_iteratorINSA_10device_ptrItEEEEPS6_SG_NS0_5tupleIJSF_S6_EEENSH_IJSG_SG_EEES6_PlJNSB_9not_fun_tI7is_evenItEEEEEE10hipError_tPvRmT3_T4_T5_T6_T7_T9_mT8_P12ihipStream_tbDpT10_ENKUlT_T0_E_clISt17integral_constantIbLb1EES17_IbLb0EEEEDaS13_S14_EUlS13_E_NS1_11comp_targetILNS1_3genE10ELNS1_11target_archE1200ELNS1_3gpuE4ELNS1_3repE0EEENS1_30default_config_static_selectorELNS0_4arch9wavefront6targetE0EEEvT1_,comdat
.Lfunc_end682:
	.size	_ZN7rocprim17ROCPRIM_400000_NS6detail17trampoline_kernelINS0_14default_configENS1_25partition_config_selectorILNS1_17partition_subalgoE6EtNS0_10empty_typeEbEEZZNS1_14partition_implILS5_6ELb0ES3_mN6thrust23THRUST_200600_302600_NS6detail15normal_iteratorINSA_10device_ptrItEEEEPS6_SG_NS0_5tupleIJSF_S6_EEENSH_IJSG_SG_EEES6_PlJNSB_9not_fun_tI7is_evenItEEEEEE10hipError_tPvRmT3_T4_T5_T6_T7_T9_mT8_P12ihipStream_tbDpT10_ENKUlT_T0_E_clISt17integral_constantIbLb1EES17_IbLb0EEEEDaS13_S14_EUlS13_E_NS1_11comp_targetILNS1_3genE10ELNS1_11target_archE1200ELNS1_3gpuE4ELNS1_3repE0EEENS1_30default_config_static_selectorELNS0_4arch9wavefront6targetE0EEEvT1_, .Lfunc_end682-_ZN7rocprim17ROCPRIM_400000_NS6detail17trampoline_kernelINS0_14default_configENS1_25partition_config_selectorILNS1_17partition_subalgoE6EtNS0_10empty_typeEbEEZZNS1_14partition_implILS5_6ELb0ES3_mN6thrust23THRUST_200600_302600_NS6detail15normal_iteratorINSA_10device_ptrItEEEEPS6_SG_NS0_5tupleIJSF_S6_EEENSH_IJSG_SG_EEES6_PlJNSB_9not_fun_tI7is_evenItEEEEEE10hipError_tPvRmT3_T4_T5_T6_T7_T9_mT8_P12ihipStream_tbDpT10_ENKUlT_T0_E_clISt17integral_constantIbLb1EES17_IbLb0EEEEDaS13_S14_EUlS13_E_NS1_11comp_targetILNS1_3genE10ELNS1_11target_archE1200ELNS1_3gpuE4ELNS1_3repE0EEENS1_30default_config_static_selectorELNS0_4arch9wavefront6targetE0EEEvT1_
                                        ; -- End function
	.set _ZN7rocprim17ROCPRIM_400000_NS6detail17trampoline_kernelINS0_14default_configENS1_25partition_config_selectorILNS1_17partition_subalgoE6EtNS0_10empty_typeEbEEZZNS1_14partition_implILS5_6ELb0ES3_mN6thrust23THRUST_200600_302600_NS6detail15normal_iteratorINSA_10device_ptrItEEEEPS6_SG_NS0_5tupleIJSF_S6_EEENSH_IJSG_SG_EEES6_PlJNSB_9not_fun_tI7is_evenItEEEEEE10hipError_tPvRmT3_T4_T5_T6_T7_T9_mT8_P12ihipStream_tbDpT10_ENKUlT_T0_E_clISt17integral_constantIbLb1EES17_IbLb0EEEEDaS13_S14_EUlS13_E_NS1_11comp_targetILNS1_3genE10ELNS1_11target_archE1200ELNS1_3gpuE4ELNS1_3repE0EEENS1_30default_config_static_selectorELNS0_4arch9wavefront6targetE0EEEvT1_.num_vgpr, 0
	.set _ZN7rocprim17ROCPRIM_400000_NS6detail17trampoline_kernelINS0_14default_configENS1_25partition_config_selectorILNS1_17partition_subalgoE6EtNS0_10empty_typeEbEEZZNS1_14partition_implILS5_6ELb0ES3_mN6thrust23THRUST_200600_302600_NS6detail15normal_iteratorINSA_10device_ptrItEEEEPS6_SG_NS0_5tupleIJSF_S6_EEENSH_IJSG_SG_EEES6_PlJNSB_9not_fun_tI7is_evenItEEEEEE10hipError_tPvRmT3_T4_T5_T6_T7_T9_mT8_P12ihipStream_tbDpT10_ENKUlT_T0_E_clISt17integral_constantIbLb1EES17_IbLb0EEEEDaS13_S14_EUlS13_E_NS1_11comp_targetILNS1_3genE10ELNS1_11target_archE1200ELNS1_3gpuE4ELNS1_3repE0EEENS1_30default_config_static_selectorELNS0_4arch9wavefront6targetE0EEEvT1_.num_agpr, 0
	.set _ZN7rocprim17ROCPRIM_400000_NS6detail17trampoline_kernelINS0_14default_configENS1_25partition_config_selectorILNS1_17partition_subalgoE6EtNS0_10empty_typeEbEEZZNS1_14partition_implILS5_6ELb0ES3_mN6thrust23THRUST_200600_302600_NS6detail15normal_iteratorINSA_10device_ptrItEEEEPS6_SG_NS0_5tupleIJSF_S6_EEENSH_IJSG_SG_EEES6_PlJNSB_9not_fun_tI7is_evenItEEEEEE10hipError_tPvRmT3_T4_T5_T6_T7_T9_mT8_P12ihipStream_tbDpT10_ENKUlT_T0_E_clISt17integral_constantIbLb1EES17_IbLb0EEEEDaS13_S14_EUlS13_E_NS1_11comp_targetILNS1_3genE10ELNS1_11target_archE1200ELNS1_3gpuE4ELNS1_3repE0EEENS1_30default_config_static_selectorELNS0_4arch9wavefront6targetE0EEEvT1_.numbered_sgpr, 0
	.set _ZN7rocprim17ROCPRIM_400000_NS6detail17trampoline_kernelINS0_14default_configENS1_25partition_config_selectorILNS1_17partition_subalgoE6EtNS0_10empty_typeEbEEZZNS1_14partition_implILS5_6ELb0ES3_mN6thrust23THRUST_200600_302600_NS6detail15normal_iteratorINSA_10device_ptrItEEEEPS6_SG_NS0_5tupleIJSF_S6_EEENSH_IJSG_SG_EEES6_PlJNSB_9not_fun_tI7is_evenItEEEEEE10hipError_tPvRmT3_T4_T5_T6_T7_T9_mT8_P12ihipStream_tbDpT10_ENKUlT_T0_E_clISt17integral_constantIbLb1EES17_IbLb0EEEEDaS13_S14_EUlS13_E_NS1_11comp_targetILNS1_3genE10ELNS1_11target_archE1200ELNS1_3gpuE4ELNS1_3repE0EEENS1_30default_config_static_selectorELNS0_4arch9wavefront6targetE0EEEvT1_.num_named_barrier, 0
	.set _ZN7rocprim17ROCPRIM_400000_NS6detail17trampoline_kernelINS0_14default_configENS1_25partition_config_selectorILNS1_17partition_subalgoE6EtNS0_10empty_typeEbEEZZNS1_14partition_implILS5_6ELb0ES3_mN6thrust23THRUST_200600_302600_NS6detail15normal_iteratorINSA_10device_ptrItEEEEPS6_SG_NS0_5tupleIJSF_S6_EEENSH_IJSG_SG_EEES6_PlJNSB_9not_fun_tI7is_evenItEEEEEE10hipError_tPvRmT3_T4_T5_T6_T7_T9_mT8_P12ihipStream_tbDpT10_ENKUlT_T0_E_clISt17integral_constantIbLb1EES17_IbLb0EEEEDaS13_S14_EUlS13_E_NS1_11comp_targetILNS1_3genE10ELNS1_11target_archE1200ELNS1_3gpuE4ELNS1_3repE0EEENS1_30default_config_static_selectorELNS0_4arch9wavefront6targetE0EEEvT1_.private_seg_size, 0
	.set _ZN7rocprim17ROCPRIM_400000_NS6detail17trampoline_kernelINS0_14default_configENS1_25partition_config_selectorILNS1_17partition_subalgoE6EtNS0_10empty_typeEbEEZZNS1_14partition_implILS5_6ELb0ES3_mN6thrust23THRUST_200600_302600_NS6detail15normal_iteratorINSA_10device_ptrItEEEEPS6_SG_NS0_5tupleIJSF_S6_EEENSH_IJSG_SG_EEES6_PlJNSB_9not_fun_tI7is_evenItEEEEEE10hipError_tPvRmT3_T4_T5_T6_T7_T9_mT8_P12ihipStream_tbDpT10_ENKUlT_T0_E_clISt17integral_constantIbLb1EES17_IbLb0EEEEDaS13_S14_EUlS13_E_NS1_11comp_targetILNS1_3genE10ELNS1_11target_archE1200ELNS1_3gpuE4ELNS1_3repE0EEENS1_30default_config_static_selectorELNS0_4arch9wavefront6targetE0EEEvT1_.uses_vcc, 0
	.set _ZN7rocprim17ROCPRIM_400000_NS6detail17trampoline_kernelINS0_14default_configENS1_25partition_config_selectorILNS1_17partition_subalgoE6EtNS0_10empty_typeEbEEZZNS1_14partition_implILS5_6ELb0ES3_mN6thrust23THRUST_200600_302600_NS6detail15normal_iteratorINSA_10device_ptrItEEEEPS6_SG_NS0_5tupleIJSF_S6_EEENSH_IJSG_SG_EEES6_PlJNSB_9not_fun_tI7is_evenItEEEEEE10hipError_tPvRmT3_T4_T5_T6_T7_T9_mT8_P12ihipStream_tbDpT10_ENKUlT_T0_E_clISt17integral_constantIbLb1EES17_IbLb0EEEEDaS13_S14_EUlS13_E_NS1_11comp_targetILNS1_3genE10ELNS1_11target_archE1200ELNS1_3gpuE4ELNS1_3repE0EEENS1_30default_config_static_selectorELNS0_4arch9wavefront6targetE0EEEvT1_.uses_flat_scratch, 0
	.set _ZN7rocprim17ROCPRIM_400000_NS6detail17trampoline_kernelINS0_14default_configENS1_25partition_config_selectorILNS1_17partition_subalgoE6EtNS0_10empty_typeEbEEZZNS1_14partition_implILS5_6ELb0ES3_mN6thrust23THRUST_200600_302600_NS6detail15normal_iteratorINSA_10device_ptrItEEEEPS6_SG_NS0_5tupleIJSF_S6_EEENSH_IJSG_SG_EEES6_PlJNSB_9not_fun_tI7is_evenItEEEEEE10hipError_tPvRmT3_T4_T5_T6_T7_T9_mT8_P12ihipStream_tbDpT10_ENKUlT_T0_E_clISt17integral_constantIbLb1EES17_IbLb0EEEEDaS13_S14_EUlS13_E_NS1_11comp_targetILNS1_3genE10ELNS1_11target_archE1200ELNS1_3gpuE4ELNS1_3repE0EEENS1_30default_config_static_selectorELNS0_4arch9wavefront6targetE0EEEvT1_.has_dyn_sized_stack, 0
	.set _ZN7rocprim17ROCPRIM_400000_NS6detail17trampoline_kernelINS0_14default_configENS1_25partition_config_selectorILNS1_17partition_subalgoE6EtNS0_10empty_typeEbEEZZNS1_14partition_implILS5_6ELb0ES3_mN6thrust23THRUST_200600_302600_NS6detail15normal_iteratorINSA_10device_ptrItEEEEPS6_SG_NS0_5tupleIJSF_S6_EEENSH_IJSG_SG_EEES6_PlJNSB_9not_fun_tI7is_evenItEEEEEE10hipError_tPvRmT3_T4_T5_T6_T7_T9_mT8_P12ihipStream_tbDpT10_ENKUlT_T0_E_clISt17integral_constantIbLb1EES17_IbLb0EEEEDaS13_S14_EUlS13_E_NS1_11comp_targetILNS1_3genE10ELNS1_11target_archE1200ELNS1_3gpuE4ELNS1_3repE0EEENS1_30default_config_static_selectorELNS0_4arch9wavefront6targetE0EEEvT1_.has_recursion, 0
	.set _ZN7rocprim17ROCPRIM_400000_NS6detail17trampoline_kernelINS0_14default_configENS1_25partition_config_selectorILNS1_17partition_subalgoE6EtNS0_10empty_typeEbEEZZNS1_14partition_implILS5_6ELb0ES3_mN6thrust23THRUST_200600_302600_NS6detail15normal_iteratorINSA_10device_ptrItEEEEPS6_SG_NS0_5tupleIJSF_S6_EEENSH_IJSG_SG_EEES6_PlJNSB_9not_fun_tI7is_evenItEEEEEE10hipError_tPvRmT3_T4_T5_T6_T7_T9_mT8_P12ihipStream_tbDpT10_ENKUlT_T0_E_clISt17integral_constantIbLb1EES17_IbLb0EEEEDaS13_S14_EUlS13_E_NS1_11comp_targetILNS1_3genE10ELNS1_11target_archE1200ELNS1_3gpuE4ELNS1_3repE0EEENS1_30default_config_static_selectorELNS0_4arch9wavefront6targetE0EEEvT1_.has_indirect_call, 0
	.section	.AMDGPU.csdata,"",@progbits
; Kernel info:
; codeLenInByte = 4
; TotalNumSgprs: 0
; NumVgprs: 0
; ScratchSize: 0
; MemoryBound: 0
; FloatMode: 240
; IeeeMode: 1
; LDSByteSize: 0 bytes/workgroup (compile time only)
; SGPRBlocks: 0
; VGPRBlocks: 0
; NumSGPRsForWavesPerEU: 1
; NumVGPRsForWavesPerEU: 1
; Occupancy: 16
; WaveLimiterHint : 0
; COMPUTE_PGM_RSRC2:SCRATCH_EN: 0
; COMPUTE_PGM_RSRC2:USER_SGPR: 2
; COMPUTE_PGM_RSRC2:TRAP_HANDLER: 0
; COMPUTE_PGM_RSRC2:TGID_X_EN: 1
; COMPUTE_PGM_RSRC2:TGID_Y_EN: 0
; COMPUTE_PGM_RSRC2:TGID_Z_EN: 0
; COMPUTE_PGM_RSRC2:TIDIG_COMP_CNT: 0
	.section	.text._ZN7rocprim17ROCPRIM_400000_NS6detail17trampoline_kernelINS0_14default_configENS1_25partition_config_selectorILNS1_17partition_subalgoE6EtNS0_10empty_typeEbEEZZNS1_14partition_implILS5_6ELb0ES3_mN6thrust23THRUST_200600_302600_NS6detail15normal_iteratorINSA_10device_ptrItEEEEPS6_SG_NS0_5tupleIJSF_S6_EEENSH_IJSG_SG_EEES6_PlJNSB_9not_fun_tI7is_evenItEEEEEE10hipError_tPvRmT3_T4_T5_T6_T7_T9_mT8_P12ihipStream_tbDpT10_ENKUlT_T0_E_clISt17integral_constantIbLb1EES17_IbLb0EEEEDaS13_S14_EUlS13_E_NS1_11comp_targetILNS1_3genE9ELNS1_11target_archE1100ELNS1_3gpuE3ELNS1_3repE0EEENS1_30default_config_static_selectorELNS0_4arch9wavefront6targetE0EEEvT1_,"axG",@progbits,_ZN7rocprim17ROCPRIM_400000_NS6detail17trampoline_kernelINS0_14default_configENS1_25partition_config_selectorILNS1_17partition_subalgoE6EtNS0_10empty_typeEbEEZZNS1_14partition_implILS5_6ELb0ES3_mN6thrust23THRUST_200600_302600_NS6detail15normal_iteratorINSA_10device_ptrItEEEEPS6_SG_NS0_5tupleIJSF_S6_EEENSH_IJSG_SG_EEES6_PlJNSB_9not_fun_tI7is_evenItEEEEEE10hipError_tPvRmT3_T4_T5_T6_T7_T9_mT8_P12ihipStream_tbDpT10_ENKUlT_T0_E_clISt17integral_constantIbLb1EES17_IbLb0EEEEDaS13_S14_EUlS13_E_NS1_11comp_targetILNS1_3genE9ELNS1_11target_archE1100ELNS1_3gpuE3ELNS1_3repE0EEENS1_30default_config_static_selectorELNS0_4arch9wavefront6targetE0EEEvT1_,comdat
	.protected	_ZN7rocprim17ROCPRIM_400000_NS6detail17trampoline_kernelINS0_14default_configENS1_25partition_config_selectorILNS1_17partition_subalgoE6EtNS0_10empty_typeEbEEZZNS1_14partition_implILS5_6ELb0ES3_mN6thrust23THRUST_200600_302600_NS6detail15normal_iteratorINSA_10device_ptrItEEEEPS6_SG_NS0_5tupleIJSF_S6_EEENSH_IJSG_SG_EEES6_PlJNSB_9not_fun_tI7is_evenItEEEEEE10hipError_tPvRmT3_T4_T5_T6_T7_T9_mT8_P12ihipStream_tbDpT10_ENKUlT_T0_E_clISt17integral_constantIbLb1EES17_IbLb0EEEEDaS13_S14_EUlS13_E_NS1_11comp_targetILNS1_3genE9ELNS1_11target_archE1100ELNS1_3gpuE3ELNS1_3repE0EEENS1_30default_config_static_selectorELNS0_4arch9wavefront6targetE0EEEvT1_ ; -- Begin function _ZN7rocprim17ROCPRIM_400000_NS6detail17trampoline_kernelINS0_14default_configENS1_25partition_config_selectorILNS1_17partition_subalgoE6EtNS0_10empty_typeEbEEZZNS1_14partition_implILS5_6ELb0ES3_mN6thrust23THRUST_200600_302600_NS6detail15normal_iteratorINSA_10device_ptrItEEEEPS6_SG_NS0_5tupleIJSF_S6_EEENSH_IJSG_SG_EEES6_PlJNSB_9not_fun_tI7is_evenItEEEEEE10hipError_tPvRmT3_T4_T5_T6_T7_T9_mT8_P12ihipStream_tbDpT10_ENKUlT_T0_E_clISt17integral_constantIbLb1EES17_IbLb0EEEEDaS13_S14_EUlS13_E_NS1_11comp_targetILNS1_3genE9ELNS1_11target_archE1100ELNS1_3gpuE3ELNS1_3repE0EEENS1_30default_config_static_selectorELNS0_4arch9wavefront6targetE0EEEvT1_
	.globl	_ZN7rocprim17ROCPRIM_400000_NS6detail17trampoline_kernelINS0_14default_configENS1_25partition_config_selectorILNS1_17partition_subalgoE6EtNS0_10empty_typeEbEEZZNS1_14partition_implILS5_6ELb0ES3_mN6thrust23THRUST_200600_302600_NS6detail15normal_iteratorINSA_10device_ptrItEEEEPS6_SG_NS0_5tupleIJSF_S6_EEENSH_IJSG_SG_EEES6_PlJNSB_9not_fun_tI7is_evenItEEEEEE10hipError_tPvRmT3_T4_T5_T6_T7_T9_mT8_P12ihipStream_tbDpT10_ENKUlT_T0_E_clISt17integral_constantIbLb1EES17_IbLb0EEEEDaS13_S14_EUlS13_E_NS1_11comp_targetILNS1_3genE9ELNS1_11target_archE1100ELNS1_3gpuE3ELNS1_3repE0EEENS1_30default_config_static_selectorELNS0_4arch9wavefront6targetE0EEEvT1_
	.p2align	8
	.type	_ZN7rocprim17ROCPRIM_400000_NS6detail17trampoline_kernelINS0_14default_configENS1_25partition_config_selectorILNS1_17partition_subalgoE6EtNS0_10empty_typeEbEEZZNS1_14partition_implILS5_6ELb0ES3_mN6thrust23THRUST_200600_302600_NS6detail15normal_iteratorINSA_10device_ptrItEEEEPS6_SG_NS0_5tupleIJSF_S6_EEENSH_IJSG_SG_EEES6_PlJNSB_9not_fun_tI7is_evenItEEEEEE10hipError_tPvRmT3_T4_T5_T6_T7_T9_mT8_P12ihipStream_tbDpT10_ENKUlT_T0_E_clISt17integral_constantIbLb1EES17_IbLb0EEEEDaS13_S14_EUlS13_E_NS1_11comp_targetILNS1_3genE9ELNS1_11target_archE1100ELNS1_3gpuE3ELNS1_3repE0EEENS1_30default_config_static_selectorELNS0_4arch9wavefront6targetE0EEEvT1_,@function
_ZN7rocprim17ROCPRIM_400000_NS6detail17trampoline_kernelINS0_14default_configENS1_25partition_config_selectorILNS1_17partition_subalgoE6EtNS0_10empty_typeEbEEZZNS1_14partition_implILS5_6ELb0ES3_mN6thrust23THRUST_200600_302600_NS6detail15normal_iteratorINSA_10device_ptrItEEEEPS6_SG_NS0_5tupleIJSF_S6_EEENSH_IJSG_SG_EEES6_PlJNSB_9not_fun_tI7is_evenItEEEEEE10hipError_tPvRmT3_T4_T5_T6_T7_T9_mT8_P12ihipStream_tbDpT10_ENKUlT_T0_E_clISt17integral_constantIbLb1EES17_IbLb0EEEEDaS13_S14_EUlS13_E_NS1_11comp_targetILNS1_3genE9ELNS1_11target_archE1100ELNS1_3gpuE3ELNS1_3repE0EEENS1_30default_config_static_selectorELNS0_4arch9wavefront6targetE0EEEvT1_: ; @_ZN7rocprim17ROCPRIM_400000_NS6detail17trampoline_kernelINS0_14default_configENS1_25partition_config_selectorILNS1_17partition_subalgoE6EtNS0_10empty_typeEbEEZZNS1_14partition_implILS5_6ELb0ES3_mN6thrust23THRUST_200600_302600_NS6detail15normal_iteratorINSA_10device_ptrItEEEEPS6_SG_NS0_5tupleIJSF_S6_EEENSH_IJSG_SG_EEES6_PlJNSB_9not_fun_tI7is_evenItEEEEEE10hipError_tPvRmT3_T4_T5_T6_T7_T9_mT8_P12ihipStream_tbDpT10_ENKUlT_T0_E_clISt17integral_constantIbLb1EES17_IbLb0EEEEDaS13_S14_EUlS13_E_NS1_11comp_targetILNS1_3genE9ELNS1_11target_archE1100ELNS1_3gpuE3ELNS1_3repE0EEENS1_30default_config_static_selectorELNS0_4arch9wavefront6targetE0EEEvT1_
; %bb.0:
	.section	.rodata,"a",@progbits
	.p2align	6, 0x0
	.amdhsa_kernel _ZN7rocprim17ROCPRIM_400000_NS6detail17trampoline_kernelINS0_14default_configENS1_25partition_config_selectorILNS1_17partition_subalgoE6EtNS0_10empty_typeEbEEZZNS1_14partition_implILS5_6ELb0ES3_mN6thrust23THRUST_200600_302600_NS6detail15normal_iteratorINSA_10device_ptrItEEEEPS6_SG_NS0_5tupleIJSF_S6_EEENSH_IJSG_SG_EEES6_PlJNSB_9not_fun_tI7is_evenItEEEEEE10hipError_tPvRmT3_T4_T5_T6_T7_T9_mT8_P12ihipStream_tbDpT10_ENKUlT_T0_E_clISt17integral_constantIbLb1EES17_IbLb0EEEEDaS13_S14_EUlS13_E_NS1_11comp_targetILNS1_3genE9ELNS1_11target_archE1100ELNS1_3gpuE3ELNS1_3repE0EEENS1_30default_config_static_selectorELNS0_4arch9wavefront6targetE0EEEvT1_
		.amdhsa_group_segment_fixed_size 0
		.amdhsa_private_segment_fixed_size 0
		.amdhsa_kernarg_size 112
		.amdhsa_user_sgpr_count 2
		.amdhsa_user_sgpr_dispatch_ptr 0
		.amdhsa_user_sgpr_queue_ptr 0
		.amdhsa_user_sgpr_kernarg_segment_ptr 1
		.amdhsa_user_sgpr_dispatch_id 0
		.amdhsa_user_sgpr_private_segment_size 0
		.amdhsa_wavefront_size32 1
		.amdhsa_uses_dynamic_stack 0
		.amdhsa_enable_private_segment 0
		.amdhsa_system_sgpr_workgroup_id_x 1
		.amdhsa_system_sgpr_workgroup_id_y 0
		.amdhsa_system_sgpr_workgroup_id_z 0
		.amdhsa_system_sgpr_workgroup_info 0
		.amdhsa_system_vgpr_workitem_id 0
		.amdhsa_next_free_vgpr 1
		.amdhsa_next_free_sgpr 1
		.amdhsa_reserve_vcc 0
		.amdhsa_float_round_mode_32 0
		.amdhsa_float_round_mode_16_64 0
		.amdhsa_float_denorm_mode_32 3
		.amdhsa_float_denorm_mode_16_64 3
		.amdhsa_fp16_overflow 0
		.amdhsa_workgroup_processor_mode 1
		.amdhsa_memory_ordered 1
		.amdhsa_forward_progress 1
		.amdhsa_inst_pref_size 0
		.amdhsa_round_robin_scheduling 0
		.amdhsa_exception_fp_ieee_invalid_op 0
		.amdhsa_exception_fp_denorm_src 0
		.amdhsa_exception_fp_ieee_div_zero 0
		.amdhsa_exception_fp_ieee_overflow 0
		.amdhsa_exception_fp_ieee_underflow 0
		.amdhsa_exception_fp_ieee_inexact 0
		.amdhsa_exception_int_div_zero 0
	.end_amdhsa_kernel
	.section	.text._ZN7rocprim17ROCPRIM_400000_NS6detail17trampoline_kernelINS0_14default_configENS1_25partition_config_selectorILNS1_17partition_subalgoE6EtNS0_10empty_typeEbEEZZNS1_14partition_implILS5_6ELb0ES3_mN6thrust23THRUST_200600_302600_NS6detail15normal_iteratorINSA_10device_ptrItEEEEPS6_SG_NS0_5tupleIJSF_S6_EEENSH_IJSG_SG_EEES6_PlJNSB_9not_fun_tI7is_evenItEEEEEE10hipError_tPvRmT3_T4_T5_T6_T7_T9_mT8_P12ihipStream_tbDpT10_ENKUlT_T0_E_clISt17integral_constantIbLb1EES17_IbLb0EEEEDaS13_S14_EUlS13_E_NS1_11comp_targetILNS1_3genE9ELNS1_11target_archE1100ELNS1_3gpuE3ELNS1_3repE0EEENS1_30default_config_static_selectorELNS0_4arch9wavefront6targetE0EEEvT1_,"axG",@progbits,_ZN7rocprim17ROCPRIM_400000_NS6detail17trampoline_kernelINS0_14default_configENS1_25partition_config_selectorILNS1_17partition_subalgoE6EtNS0_10empty_typeEbEEZZNS1_14partition_implILS5_6ELb0ES3_mN6thrust23THRUST_200600_302600_NS6detail15normal_iteratorINSA_10device_ptrItEEEEPS6_SG_NS0_5tupleIJSF_S6_EEENSH_IJSG_SG_EEES6_PlJNSB_9not_fun_tI7is_evenItEEEEEE10hipError_tPvRmT3_T4_T5_T6_T7_T9_mT8_P12ihipStream_tbDpT10_ENKUlT_T0_E_clISt17integral_constantIbLb1EES17_IbLb0EEEEDaS13_S14_EUlS13_E_NS1_11comp_targetILNS1_3genE9ELNS1_11target_archE1100ELNS1_3gpuE3ELNS1_3repE0EEENS1_30default_config_static_selectorELNS0_4arch9wavefront6targetE0EEEvT1_,comdat
.Lfunc_end683:
	.size	_ZN7rocprim17ROCPRIM_400000_NS6detail17trampoline_kernelINS0_14default_configENS1_25partition_config_selectorILNS1_17partition_subalgoE6EtNS0_10empty_typeEbEEZZNS1_14partition_implILS5_6ELb0ES3_mN6thrust23THRUST_200600_302600_NS6detail15normal_iteratorINSA_10device_ptrItEEEEPS6_SG_NS0_5tupleIJSF_S6_EEENSH_IJSG_SG_EEES6_PlJNSB_9not_fun_tI7is_evenItEEEEEE10hipError_tPvRmT3_T4_T5_T6_T7_T9_mT8_P12ihipStream_tbDpT10_ENKUlT_T0_E_clISt17integral_constantIbLb1EES17_IbLb0EEEEDaS13_S14_EUlS13_E_NS1_11comp_targetILNS1_3genE9ELNS1_11target_archE1100ELNS1_3gpuE3ELNS1_3repE0EEENS1_30default_config_static_selectorELNS0_4arch9wavefront6targetE0EEEvT1_, .Lfunc_end683-_ZN7rocprim17ROCPRIM_400000_NS6detail17trampoline_kernelINS0_14default_configENS1_25partition_config_selectorILNS1_17partition_subalgoE6EtNS0_10empty_typeEbEEZZNS1_14partition_implILS5_6ELb0ES3_mN6thrust23THRUST_200600_302600_NS6detail15normal_iteratorINSA_10device_ptrItEEEEPS6_SG_NS0_5tupleIJSF_S6_EEENSH_IJSG_SG_EEES6_PlJNSB_9not_fun_tI7is_evenItEEEEEE10hipError_tPvRmT3_T4_T5_T6_T7_T9_mT8_P12ihipStream_tbDpT10_ENKUlT_T0_E_clISt17integral_constantIbLb1EES17_IbLb0EEEEDaS13_S14_EUlS13_E_NS1_11comp_targetILNS1_3genE9ELNS1_11target_archE1100ELNS1_3gpuE3ELNS1_3repE0EEENS1_30default_config_static_selectorELNS0_4arch9wavefront6targetE0EEEvT1_
                                        ; -- End function
	.set _ZN7rocprim17ROCPRIM_400000_NS6detail17trampoline_kernelINS0_14default_configENS1_25partition_config_selectorILNS1_17partition_subalgoE6EtNS0_10empty_typeEbEEZZNS1_14partition_implILS5_6ELb0ES3_mN6thrust23THRUST_200600_302600_NS6detail15normal_iteratorINSA_10device_ptrItEEEEPS6_SG_NS0_5tupleIJSF_S6_EEENSH_IJSG_SG_EEES6_PlJNSB_9not_fun_tI7is_evenItEEEEEE10hipError_tPvRmT3_T4_T5_T6_T7_T9_mT8_P12ihipStream_tbDpT10_ENKUlT_T0_E_clISt17integral_constantIbLb1EES17_IbLb0EEEEDaS13_S14_EUlS13_E_NS1_11comp_targetILNS1_3genE9ELNS1_11target_archE1100ELNS1_3gpuE3ELNS1_3repE0EEENS1_30default_config_static_selectorELNS0_4arch9wavefront6targetE0EEEvT1_.num_vgpr, 0
	.set _ZN7rocprim17ROCPRIM_400000_NS6detail17trampoline_kernelINS0_14default_configENS1_25partition_config_selectorILNS1_17partition_subalgoE6EtNS0_10empty_typeEbEEZZNS1_14partition_implILS5_6ELb0ES3_mN6thrust23THRUST_200600_302600_NS6detail15normal_iteratorINSA_10device_ptrItEEEEPS6_SG_NS0_5tupleIJSF_S6_EEENSH_IJSG_SG_EEES6_PlJNSB_9not_fun_tI7is_evenItEEEEEE10hipError_tPvRmT3_T4_T5_T6_T7_T9_mT8_P12ihipStream_tbDpT10_ENKUlT_T0_E_clISt17integral_constantIbLb1EES17_IbLb0EEEEDaS13_S14_EUlS13_E_NS1_11comp_targetILNS1_3genE9ELNS1_11target_archE1100ELNS1_3gpuE3ELNS1_3repE0EEENS1_30default_config_static_selectorELNS0_4arch9wavefront6targetE0EEEvT1_.num_agpr, 0
	.set _ZN7rocprim17ROCPRIM_400000_NS6detail17trampoline_kernelINS0_14default_configENS1_25partition_config_selectorILNS1_17partition_subalgoE6EtNS0_10empty_typeEbEEZZNS1_14partition_implILS5_6ELb0ES3_mN6thrust23THRUST_200600_302600_NS6detail15normal_iteratorINSA_10device_ptrItEEEEPS6_SG_NS0_5tupleIJSF_S6_EEENSH_IJSG_SG_EEES6_PlJNSB_9not_fun_tI7is_evenItEEEEEE10hipError_tPvRmT3_T4_T5_T6_T7_T9_mT8_P12ihipStream_tbDpT10_ENKUlT_T0_E_clISt17integral_constantIbLb1EES17_IbLb0EEEEDaS13_S14_EUlS13_E_NS1_11comp_targetILNS1_3genE9ELNS1_11target_archE1100ELNS1_3gpuE3ELNS1_3repE0EEENS1_30default_config_static_selectorELNS0_4arch9wavefront6targetE0EEEvT1_.numbered_sgpr, 0
	.set _ZN7rocprim17ROCPRIM_400000_NS6detail17trampoline_kernelINS0_14default_configENS1_25partition_config_selectorILNS1_17partition_subalgoE6EtNS0_10empty_typeEbEEZZNS1_14partition_implILS5_6ELb0ES3_mN6thrust23THRUST_200600_302600_NS6detail15normal_iteratorINSA_10device_ptrItEEEEPS6_SG_NS0_5tupleIJSF_S6_EEENSH_IJSG_SG_EEES6_PlJNSB_9not_fun_tI7is_evenItEEEEEE10hipError_tPvRmT3_T4_T5_T6_T7_T9_mT8_P12ihipStream_tbDpT10_ENKUlT_T0_E_clISt17integral_constantIbLb1EES17_IbLb0EEEEDaS13_S14_EUlS13_E_NS1_11comp_targetILNS1_3genE9ELNS1_11target_archE1100ELNS1_3gpuE3ELNS1_3repE0EEENS1_30default_config_static_selectorELNS0_4arch9wavefront6targetE0EEEvT1_.num_named_barrier, 0
	.set _ZN7rocprim17ROCPRIM_400000_NS6detail17trampoline_kernelINS0_14default_configENS1_25partition_config_selectorILNS1_17partition_subalgoE6EtNS0_10empty_typeEbEEZZNS1_14partition_implILS5_6ELb0ES3_mN6thrust23THRUST_200600_302600_NS6detail15normal_iteratorINSA_10device_ptrItEEEEPS6_SG_NS0_5tupleIJSF_S6_EEENSH_IJSG_SG_EEES6_PlJNSB_9not_fun_tI7is_evenItEEEEEE10hipError_tPvRmT3_T4_T5_T6_T7_T9_mT8_P12ihipStream_tbDpT10_ENKUlT_T0_E_clISt17integral_constantIbLb1EES17_IbLb0EEEEDaS13_S14_EUlS13_E_NS1_11comp_targetILNS1_3genE9ELNS1_11target_archE1100ELNS1_3gpuE3ELNS1_3repE0EEENS1_30default_config_static_selectorELNS0_4arch9wavefront6targetE0EEEvT1_.private_seg_size, 0
	.set _ZN7rocprim17ROCPRIM_400000_NS6detail17trampoline_kernelINS0_14default_configENS1_25partition_config_selectorILNS1_17partition_subalgoE6EtNS0_10empty_typeEbEEZZNS1_14partition_implILS5_6ELb0ES3_mN6thrust23THRUST_200600_302600_NS6detail15normal_iteratorINSA_10device_ptrItEEEEPS6_SG_NS0_5tupleIJSF_S6_EEENSH_IJSG_SG_EEES6_PlJNSB_9not_fun_tI7is_evenItEEEEEE10hipError_tPvRmT3_T4_T5_T6_T7_T9_mT8_P12ihipStream_tbDpT10_ENKUlT_T0_E_clISt17integral_constantIbLb1EES17_IbLb0EEEEDaS13_S14_EUlS13_E_NS1_11comp_targetILNS1_3genE9ELNS1_11target_archE1100ELNS1_3gpuE3ELNS1_3repE0EEENS1_30default_config_static_selectorELNS0_4arch9wavefront6targetE0EEEvT1_.uses_vcc, 0
	.set _ZN7rocprim17ROCPRIM_400000_NS6detail17trampoline_kernelINS0_14default_configENS1_25partition_config_selectorILNS1_17partition_subalgoE6EtNS0_10empty_typeEbEEZZNS1_14partition_implILS5_6ELb0ES3_mN6thrust23THRUST_200600_302600_NS6detail15normal_iteratorINSA_10device_ptrItEEEEPS6_SG_NS0_5tupleIJSF_S6_EEENSH_IJSG_SG_EEES6_PlJNSB_9not_fun_tI7is_evenItEEEEEE10hipError_tPvRmT3_T4_T5_T6_T7_T9_mT8_P12ihipStream_tbDpT10_ENKUlT_T0_E_clISt17integral_constantIbLb1EES17_IbLb0EEEEDaS13_S14_EUlS13_E_NS1_11comp_targetILNS1_3genE9ELNS1_11target_archE1100ELNS1_3gpuE3ELNS1_3repE0EEENS1_30default_config_static_selectorELNS0_4arch9wavefront6targetE0EEEvT1_.uses_flat_scratch, 0
	.set _ZN7rocprim17ROCPRIM_400000_NS6detail17trampoline_kernelINS0_14default_configENS1_25partition_config_selectorILNS1_17partition_subalgoE6EtNS0_10empty_typeEbEEZZNS1_14partition_implILS5_6ELb0ES3_mN6thrust23THRUST_200600_302600_NS6detail15normal_iteratorINSA_10device_ptrItEEEEPS6_SG_NS0_5tupleIJSF_S6_EEENSH_IJSG_SG_EEES6_PlJNSB_9not_fun_tI7is_evenItEEEEEE10hipError_tPvRmT3_T4_T5_T6_T7_T9_mT8_P12ihipStream_tbDpT10_ENKUlT_T0_E_clISt17integral_constantIbLb1EES17_IbLb0EEEEDaS13_S14_EUlS13_E_NS1_11comp_targetILNS1_3genE9ELNS1_11target_archE1100ELNS1_3gpuE3ELNS1_3repE0EEENS1_30default_config_static_selectorELNS0_4arch9wavefront6targetE0EEEvT1_.has_dyn_sized_stack, 0
	.set _ZN7rocprim17ROCPRIM_400000_NS6detail17trampoline_kernelINS0_14default_configENS1_25partition_config_selectorILNS1_17partition_subalgoE6EtNS0_10empty_typeEbEEZZNS1_14partition_implILS5_6ELb0ES3_mN6thrust23THRUST_200600_302600_NS6detail15normal_iteratorINSA_10device_ptrItEEEEPS6_SG_NS0_5tupleIJSF_S6_EEENSH_IJSG_SG_EEES6_PlJNSB_9not_fun_tI7is_evenItEEEEEE10hipError_tPvRmT3_T4_T5_T6_T7_T9_mT8_P12ihipStream_tbDpT10_ENKUlT_T0_E_clISt17integral_constantIbLb1EES17_IbLb0EEEEDaS13_S14_EUlS13_E_NS1_11comp_targetILNS1_3genE9ELNS1_11target_archE1100ELNS1_3gpuE3ELNS1_3repE0EEENS1_30default_config_static_selectorELNS0_4arch9wavefront6targetE0EEEvT1_.has_recursion, 0
	.set _ZN7rocprim17ROCPRIM_400000_NS6detail17trampoline_kernelINS0_14default_configENS1_25partition_config_selectorILNS1_17partition_subalgoE6EtNS0_10empty_typeEbEEZZNS1_14partition_implILS5_6ELb0ES3_mN6thrust23THRUST_200600_302600_NS6detail15normal_iteratorINSA_10device_ptrItEEEEPS6_SG_NS0_5tupleIJSF_S6_EEENSH_IJSG_SG_EEES6_PlJNSB_9not_fun_tI7is_evenItEEEEEE10hipError_tPvRmT3_T4_T5_T6_T7_T9_mT8_P12ihipStream_tbDpT10_ENKUlT_T0_E_clISt17integral_constantIbLb1EES17_IbLb0EEEEDaS13_S14_EUlS13_E_NS1_11comp_targetILNS1_3genE9ELNS1_11target_archE1100ELNS1_3gpuE3ELNS1_3repE0EEENS1_30default_config_static_selectorELNS0_4arch9wavefront6targetE0EEEvT1_.has_indirect_call, 0
	.section	.AMDGPU.csdata,"",@progbits
; Kernel info:
; codeLenInByte = 0
; TotalNumSgprs: 0
; NumVgprs: 0
; ScratchSize: 0
; MemoryBound: 0
; FloatMode: 240
; IeeeMode: 1
; LDSByteSize: 0 bytes/workgroup (compile time only)
; SGPRBlocks: 0
; VGPRBlocks: 0
; NumSGPRsForWavesPerEU: 1
; NumVGPRsForWavesPerEU: 1
; Occupancy: 16
; WaveLimiterHint : 0
; COMPUTE_PGM_RSRC2:SCRATCH_EN: 0
; COMPUTE_PGM_RSRC2:USER_SGPR: 2
; COMPUTE_PGM_RSRC2:TRAP_HANDLER: 0
; COMPUTE_PGM_RSRC2:TGID_X_EN: 1
; COMPUTE_PGM_RSRC2:TGID_Y_EN: 0
; COMPUTE_PGM_RSRC2:TGID_Z_EN: 0
; COMPUTE_PGM_RSRC2:TIDIG_COMP_CNT: 0
	.section	.text._ZN7rocprim17ROCPRIM_400000_NS6detail17trampoline_kernelINS0_14default_configENS1_25partition_config_selectorILNS1_17partition_subalgoE6EtNS0_10empty_typeEbEEZZNS1_14partition_implILS5_6ELb0ES3_mN6thrust23THRUST_200600_302600_NS6detail15normal_iteratorINSA_10device_ptrItEEEEPS6_SG_NS0_5tupleIJSF_S6_EEENSH_IJSG_SG_EEES6_PlJNSB_9not_fun_tI7is_evenItEEEEEE10hipError_tPvRmT3_T4_T5_T6_T7_T9_mT8_P12ihipStream_tbDpT10_ENKUlT_T0_E_clISt17integral_constantIbLb1EES17_IbLb0EEEEDaS13_S14_EUlS13_E_NS1_11comp_targetILNS1_3genE8ELNS1_11target_archE1030ELNS1_3gpuE2ELNS1_3repE0EEENS1_30default_config_static_selectorELNS0_4arch9wavefront6targetE0EEEvT1_,"axG",@progbits,_ZN7rocprim17ROCPRIM_400000_NS6detail17trampoline_kernelINS0_14default_configENS1_25partition_config_selectorILNS1_17partition_subalgoE6EtNS0_10empty_typeEbEEZZNS1_14partition_implILS5_6ELb0ES3_mN6thrust23THRUST_200600_302600_NS6detail15normal_iteratorINSA_10device_ptrItEEEEPS6_SG_NS0_5tupleIJSF_S6_EEENSH_IJSG_SG_EEES6_PlJNSB_9not_fun_tI7is_evenItEEEEEE10hipError_tPvRmT3_T4_T5_T6_T7_T9_mT8_P12ihipStream_tbDpT10_ENKUlT_T0_E_clISt17integral_constantIbLb1EES17_IbLb0EEEEDaS13_S14_EUlS13_E_NS1_11comp_targetILNS1_3genE8ELNS1_11target_archE1030ELNS1_3gpuE2ELNS1_3repE0EEENS1_30default_config_static_selectorELNS0_4arch9wavefront6targetE0EEEvT1_,comdat
	.protected	_ZN7rocprim17ROCPRIM_400000_NS6detail17trampoline_kernelINS0_14default_configENS1_25partition_config_selectorILNS1_17partition_subalgoE6EtNS0_10empty_typeEbEEZZNS1_14partition_implILS5_6ELb0ES3_mN6thrust23THRUST_200600_302600_NS6detail15normal_iteratorINSA_10device_ptrItEEEEPS6_SG_NS0_5tupleIJSF_S6_EEENSH_IJSG_SG_EEES6_PlJNSB_9not_fun_tI7is_evenItEEEEEE10hipError_tPvRmT3_T4_T5_T6_T7_T9_mT8_P12ihipStream_tbDpT10_ENKUlT_T0_E_clISt17integral_constantIbLb1EES17_IbLb0EEEEDaS13_S14_EUlS13_E_NS1_11comp_targetILNS1_3genE8ELNS1_11target_archE1030ELNS1_3gpuE2ELNS1_3repE0EEENS1_30default_config_static_selectorELNS0_4arch9wavefront6targetE0EEEvT1_ ; -- Begin function _ZN7rocprim17ROCPRIM_400000_NS6detail17trampoline_kernelINS0_14default_configENS1_25partition_config_selectorILNS1_17partition_subalgoE6EtNS0_10empty_typeEbEEZZNS1_14partition_implILS5_6ELb0ES3_mN6thrust23THRUST_200600_302600_NS6detail15normal_iteratorINSA_10device_ptrItEEEEPS6_SG_NS0_5tupleIJSF_S6_EEENSH_IJSG_SG_EEES6_PlJNSB_9not_fun_tI7is_evenItEEEEEE10hipError_tPvRmT3_T4_T5_T6_T7_T9_mT8_P12ihipStream_tbDpT10_ENKUlT_T0_E_clISt17integral_constantIbLb1EES17_IbLb0EEEEDaS13_S14_EUlS13_E_NS1_11comp_targetILNS1_3genE8ELNS1_11target_archE1030ELNS1_3gpuE2ELNS1_3repE0EEENS1_30default_config_static_selectorELNS0_4arch9wavefront6targetE0EEEvT1_
	.globl	_ZN7rocprim17ROCPRIM_400000_NS6detail17trampoline_kernelINS0_14default_configENS1_25partition_config_selectorILNS1_17partition_subalgoE6EtNS0_10empty_typeEbEEZZNS1_14partition_implILS5_6ELb0ES3_mN6thrust23THRUST_200600_302600_NS6detail15normal_iteratorINSA_10device_ptrItEEEEPS6_SG_NS0_5tupleIJSF_S6_EEENSH_IJSG_SG_EEES6_PlJNSB_9not_fun_tI7is_evenItEEEEEE10hipError_tPvRmT3_T4_T5_T6_T7_T9_mT8_P12ihipStream_tbDpT10_ENKUlT_T0_E_clISt17integral_constantIbLb1EES17_IbLb0EEEEDaS13_S14_EUlS13_E_NS1_11comp_targetILNS1_3genE8ELNS1_11target_archE1030ELNS1_3gpuE2ELNS1_3repE0EEENS1_30default_config_static_selectorELNS0_4arch9wavefront6targetE0EEEvT1_
	.p2align	8
	.type	_ZN7rocprim17ROCPRIM_400000_NS6detail17trampoline_kernelINS0_14default_configENS1_25partition_config_selectorILNS1_17partition_subalgoE6EtNS0_10empty_typeEbEEZZNS1_14partition_implILS5_6ELb0ES3_mN6thrust23THRUST_200600_302600_NS6detail15normal_iteratorINSA_10device_ptrItEEEEPS6_SG_NS0_5tupleIJSF_S6_EEENSH_IJSG_SG_EEES6_PlJNSB_9not_fun_tI7is_evenItEEEEEE10hipError_tPvRmT3_T4_T5_T6_T7_T9_mT8_P12ihipStream_tbDpT10_ENKUlT_T0_E_clISt17integral_constantIbLb1EES17_IbLb0EEEEDaS13_S14_EUlS13_E_NS1_11comp_targetILNS1_3genE8ELNS1_11target_archE1030ELNS1_3gpuE2ELNS1_3repE0EEENS1_30default_config_static_selectorELNS0_4arch9wavefront6targetE0EEEvT1_,@function
_ZN7rocprim17ROCPRIM_400000_NS6detail17trampoline_kernelINS0_14default_configENS1_25partition_config_selectorILNS1_17partition_subalgoE6EtNS0_10empty_typeEbEEZZNS1_14partition_implILS5_6ELb0ES3_mN6thrust23THRUST_200600_302600_NS6detail15normal_iteratorINSA_10device_ptrItEEEEPS6_SG_NS0_5tupleIJSF_S6_EEENSH_IJSG_SG_EEES6_PlJNSB_9not_fun_tI7is_evenItEEEEEE10hipError_tPvRmT3_T4_T5_T6_T7_T9_mT8_P12ihipStream_tbDpT10_ENKUlT_T0_E_clISt17integral_constantIbLb1EES17_IbLb0EEEEDaS13_S14_EUlS13_E_NS1_11comp_targetILNS1_3genE8ELNS1_11target_archE1030ELNS1_3gpuE2ELNS1_3repE0EEENS1_30default_config_static_selectorELNS0_4arch9wavefront6targetE0EEEvT1_: ; @_ZN7rocprim17ROCPRIM_400000_NS6detail17trampoline_kernelINS0_14default_configENS1_25partition_config_selectorILNS1_17partition_subalgoE6EtNS0_10empty_typeEbEEZZNS1_14partition_implILS5_6ELb0ES3_mN6thrust23THRUST_200600_302600_NS6detail15normal_iteratorINSA_10device_ptrItEEEEPS6_SG_NS0_5tupleIJSF_S6_EEENSH_IJSG_SG_EEES6_PlJNSB_9not_fun_tI7is_evenItEEEEEE10hipError_tPvRmT3_T4_T5_T6_T7_T9_mT8_P12ihipStream_tbDpT10_ENKUlT_T0_E_clISt17integral_constantIbLb1EES17_IbLb0EEEEDaS13_S14_EUlS13_E_NS1_11comp_targetILNS1_3genE8ELNS1_11target_archE1030ELNS1_3gpuE2ELNS1_3repE0EEENS1_30default_config_static_selectorELNS0_4arch9wavefront6targetE0EEEvT1_
; %bb.0:
	.section	.rodata,"a",@progbits
	.p2align	6, 0x0
	.amdhsa_kernel _ZN7rocprim17ROCPRIM_400000_NS6detail17trampoline_kernelINS0_14default_configENS1_25partition_config_selectorILNS1_17partition_subalgoE6EtNS0_10empty_typeEbEEZZNS1_14partition_implILS5_6ELb0ES3_mN6thrust23THRUST_200600_302600_NS6detail15normal_iteratorINSA_10device_ptrItEEEEPS6_SG_NS0_5tupleIJSF_S6_EEENSH_IJSG_SG_EEES6_PlJNSB_9not_fun_tI7is_evenItEEEEEE10hipError_tPvRmT3_T4_T5_T6_T7_T9_mT8_P12ihipStream_tbDpT10_ENKUlT_T0_E_clISt17integral_constantIbLb1EES17_IbLb0EEEEDaS13_S14_EUlS13_E_NS1_11comp_targetILNS1_3genE8ELNS1_11target_archE1030ELNS1_3gpuE2ELNS1_3repE0EEENS1_30default_config_static_selectorELNS0_4arch9wavefront6targetE0EEEvT1_
		.amdhsa_group_segment_fixed_size 0
		.amdhsa_private_segment_fixed_size 0
		.amdhsa_kernarg_size 112
		.amdhsa_user_sgpr_count 2
		.amdhsa_user_sgpr_dispatch_ptr 0
		.amdhsa_user_sgpr_queue_ptr 0
		.amdhsa_user_sgpr_kernarg_segment_ptr 1
		.amdhsa_user_sgpr_dispatch_id 0
		.amdhsa_user_sgpr_private_segment_size 0
		.amdhsa_wavefront_size32 1
		.amdhsa_uses_dynamic_stack 0
		.amdhsa_enable_private_segment 0
		.amdhsa_system_sgpr_workgroup_id_x 1
		.amdhsa_system_sgpr_workgroup_id_y 0
		.amdhsa_system_sgpr_workgroup_id_z 0
		.amdhsa_system_sgpr_workgroup_info 0
		.amdhsa_system_vgpr_workitem_id 0
		.amdhsa_next_free_vgpr 1
		.amdhsa_next_free_sgpr 1
		.amdhsa_reserve_vcc 0
		.amdhsa_float_round_mode_32 0
		.amdhsa_float_round_mode_16_64 0
		.amdhsa_float_denorm_mode_32 3
		.amdhsa_float_denorm_mode_16_64 3
		.amdhsa_fp16_overflow 0
		.amdhsa_workgroup_processor_mode 1
		.amdhsa_memory_ordered 1
		.amdhsa_forward_progress 1
		.amdhsa_inst_pref_size 0
		.amdhsa_round_robin_scheduling 0
		.amdhsa_exception_fp_ieee_invalid_op 0
		.amdhsa_exception_fp_denorm_src 0
		.amdhsa_exception_fp_ieee_div_zero 0
		.amdhsa_exception_fp_ieee_overflow 0
		.amdhsa_exception_fp_ieee_underflow 0
		.amdhsa_exception_fp_ieee_inexact 0
		.amdhsa_exception_int_div_zero 0
	.end_amdhsa_kernel
	.section	.text._ZN7rocprim17ROCPRIM_400000_NS6detail17trampoline_kernelINS0_14default_configENS1_25partition_config_selectorILNS1_17partition_subalgoE6EtNS0_10empty_typeEbEEZZNS1_14partition_implILS5_6ELb0ES3_mN6thrust23THRUST_200600_302600_NS6detail15normal_iteratorINSA_10device_ptrItEEEEPS6_SG_NS0_5tupleIJSF_S6_EEENSH_IJSG_SG_EEES6_PlJNSB_9not_fun_tI7is_evenItEEEEEE10hipError_tPvRmT3_T4_T5_T6_T7_T9_mT8_P12ihipStream_tbDpT10_ENKUlT_T0_E_clISt17integral_constantIbLb1EES17_IbLb0EEEEDaS13_S14_EUlS13_E_NS1_11comp_targetILNS1_3genE8ELNS1_11target_archE1030ELNS1_3gpuE2ELNS1_3repE0EEENS1_30default_config_static_selectorELNS0_4arch9wavefront6targetE0EEEvT1_,"axG",@progbits,_ZN7rocprim17ROCPRIM_400000_NS6detail17trampoline_kernelINS0_14default_configENS1_25partition_config_selectorILNS1_17partition_subalgoE6EtNS0_10empty_typeEbEEZZNS1_14partition_implILS5_6ELb0ES3_mN6thrust23THRUST_200600_302600_NS6detail15normal_iteratorINSA_10device_ptrItEEEEPS6_SG_NS0_5tupleIJSF_S6_EEENSH_IJSG_SG_EEES6_PlJNSB_9not_fun_tI7is_evenItEEEEEE10hipError_tPvRmT3_T4_T5_T6_T7_T9_mT8_P12ihipStream_tbDpT10_ENKUlT_T0_E_clISt17integral_constantIbLb1EES17_IbLb0EEEEDaS13_S14_EUlS13_E_NS1_11comp_targetILNS1_3genE8ELNS1_11target_archE1030ELNS1_3gpuE2ELNS1_3repE0EEENS1_30default_config_static_selectorELNS0_4arch9wavefront6targetE0EEEvT1_,comdat
.Lfunc_end684:
	.size	_ZN7rocprim17ROCPRIM_400000_NS6detail17trampoline_kernelINS0_14default_configENS1_25partition_config_selectorILNS1_17partition_subalgoE6EtNS0_10empty_typeEbEEZZNS1_14partition_implILS5_6ELb0ES3_mN6thrust23THRUST_200600_302600_NS6detail15normal_iteratorINSA_10device_ptrItEEEEPS6_SG_NS0_5tupleIJSF_S6_EEENSH_IJSG_SG_EEES6_PlJNSB_9not_fun_tI7is_evenItEEEEEE10hipError_tPvRmT3_T4_T5_T6_T7_T9_mT8_P12ihipStream_tbDpT10_ENKUlT_T0_E_clISt17integral_constantIbLb1EES17_IbLb0EEEEDaS13_S14_EUlS13_E_NS1_11comp_targetILNS1_3genE8ELNS1_11target_archE1030ELNS1_3gpuE2ELNS1_3repE0EEENS1_30default_config_static_selectorELNS0_4arch9wavefront6targetE0EEEvT1_, .Lfunc_end684-_ZN7rocprim17ROCPRIM_400000_NS6detail17trampoline_kernelINS0_14default_configENS1_25partition_config_selectorILNS1_17partition_subalgoE6EtNS0_10empty_typeEbEEZZNS1_14partition_implILS5_6ELb0ES3_mN6thrust23THRUST_200600_302600_NS6detail15normal_iteratorINSA_10device_ptrItEEEEPS6_SG_NS0_5tupleIJSF_S6_EEENSH_IJSG_SG_EEES6_PlJNSB_9not_fun_tI7is_evenItEEEEEE10hipError_tPvRmT3_T4_T5_T6_T7_T9_mT8_P12ihipStream_tbDpT10_ENKUlT_T0_E_clISt17integral_constantIbLb1EES17_IbLb0EEEEDaS13_S14_EUlS13_E_NS1_11comp_targetILNS1_3genE8ELNS1_11target_archE1030ELNS1_3gpuE2ELNS1_3repE0EEENS1_30default_config_static_selectorELNS0_4arch9wavefront6targetE0EEEvT1_
                                        ; -- End function
	.set _ZN7rocprim17ROCPRIM_400000_NS6detail17trampoline_kernelINS0_14default_configENS1_25partition_config_selectorILNS1_17partition_subalgoE6EtNS0_10empty_typeEbEEZZNS1_14partition_implILS5_6ELb0ES3_mN6thrust23THRUST_200600_302600_NS6detail15normal_iteratorINSA_10device_ptrItEEEEPS6_SG_NS0_5tupleIJSF_S6_EEENSH_IJSG_SG_EEES6_PlJNSB_9not_fun_tI7is_evenItEEEEEE10hipError_tPvRmT3_T4_T5_T6_T7_T9_mT8_P12ihipStream_tbDpT10_ENKUlT_T0_E_clISt17integral_constantIbLb1EES17_IbLb0EEEEDaS13_S14_EUlS13_E_NS1_11comp_targetILNS1_3genE8ELNS1_11target_archE1030ELNS1_3gpuE2ELNS1_3repE0EEENS1_30default_config_static_selectorELNS0_4arch9wavefront6targetE0EEEvT1_.num_vgpr, 0
	.set _ZN7rocprim17ROCPRIM_400000_NS6detail17trampoline_kernelINS0_14default_configENS1_25partition_config_selectorILNS1_17partition_subalgoE6EtNS0_10empty_typeEbEEZZNS1_14partition_implILS5_6ELb0ES3_mN6thrust23THRUST_200600_302600_NS6detail15normal_iteratorINSA_10device_ptrItEEEEPS6_SG_NS0_5tupleIJSF_S6_EEENSH_IJSG_SG_EEES6_PlJNSB_9not_fun_tI7is_evenItEEEEEE10hipError_tPvRmT3_T4_T5_T6_T7_T9_mT8_P12ihipStream_tbDpT10_ENKUlT_T0_E_clISt17integral_constantIbLb1EES17_IbLb0EEEEDaS13_S14_EUlS13_E_NS1_11comp_targetILNS1_3genE8ELNS1_11target_archE1030ELNS1_3gpuE2ELNS1_3repE0EEENS1_30default_config_static_selectorELNS0_4arch9wavefront6targetE0EEEvT1_.num_agpr, 0
	.set _ZN7rocprim17ROCPRIM_400000_NS6detail17trampoline_kernelINS0_14default_configENS1_25partition_config_selectorILNS1_17partition_subalgoE6EtNS0_10empty_typeEbEEZZNS1_14partition_implILS5_6ELb0ES3_mN6thrust23THRUST_200600_302600_NS6detail15normal_iteratorINSA_10device_ptrItEEEEPS6_SG_NS0_5tupleIJSF_S6_EEENSH_IJSG_SG_EEES6_PlJNSB_9not_fun_tI7is_evenItEEEEEE10hipError_tPvRmT3_T4_T5_T6_T7_T9_mT8_P12ihipStream_tbDpT10_ENKUlT_T0_E_clISt17integral_constantIbLb1EES17_IbLb0EEEEDaS13_S14_EUlS13_E_NS1_11comp_targetILNS1_3genE8ELNS1_11target_archE1030ELNS1_3gpuE2ELNS1_3repE0EEENS1_30default_config_static_selectorELNS0_4arch9wavefront6targetE0EEEvT1_.numbered_sgpr, 0
	.set _ZN7rocprim17ROCPRIM_400000_NS6detail17trampoline_kernelINS0_14default_configENS1_25partition_config_selectorILNS1_17partition_subalgoE6EtNS0_10empty_typeEbEEZZNS1_14partition_implILS5_6ELb0ES3_mN6thrust23THRUST_200600_302600_NS6detail15normal_iteratorINSA_10device_ptrItEEEEPS6_SG_NS0_5tupleIJSF_S6_EEENSH_IJSG_SG_EEES6_PlJNSB_9not_fun_tI7is_evenItEEEEEE10hipError_tPvRmT3_T4_T5_T6_T7_T9_mT8_P12ihipStream_tbDpT10_ENKUlT_T0_E_clISt17integral_constantIbLb1EES17_IbLb0EEEEDaS13_S14_EUlS13_E_NS1_11comp_targetILNS1_3genE8ELNS1_11target_archE1030ELNS1_3gpuE2ELNS1_3repE0EEENS1_30default_config_static_selectorELNS0_4arch9wavefront6targetE0EEEvT1_.num_named_barrier, 0
	.set _ZN7rocprim17ROCPRIM_400000_NS6detail17trampoline_kernelINS0_14default_configENS1_25partition_config_selectorILNS1_17partition_subalgoE6EtNS0_10empty_typeEbEEZZNS1_14partition_implILS5_6ELb0ES3_mN6thrust23THRUST_200600_302600_NS6detail15normal_iteratorINSA_10device_ptrItEEEEPS6_SG_NS0_5tupleIJSF_S6_EEENSH_IJSG_SG_EEES6_PlJNSB_9not_fun_tI7is_evenItEEEEEE10hipError_tPvRmT3_T4_T5_T6_T7_T9_mT8_P12ihipStream_tbDpT10_ENKUlT_T0_E_clISt17integral_constantIbLb1EES17_IbLb0EEEEDaS13_S14_EUlS13_E_NS1_11comp_targetILNS1_3genE8ELNS1_11target_archE1030ELNS1_3gpuE2ELNS1_3repE0EEENS1_30default_config_static_selectorELNS0_4arch9wavefront6targetE0EEEvT1_.private_seg_size, 0
	.set _ZN7rocprim17ROCPRIM_400000_NS6detail17trampoline_kernelINS0_14default_configENS1_25partition_config_selectorILNS1_17partition_subalgoE6EtNS0_10empty_typeEbEEZZNS1_14partition_implILS5_6ELb0ES3_mN6thrust23THRUST_200600_302600_NS6detail15normal_iteratorINSA_10device_ptrItEEEEPS6_SG_NS0_5tupleIJSF_S6_EEENSH_IJSG_SG_EEES6_PlJNSB_9not_fun_tI7is_evenItEEEEEE10hipError_tPvRmT3_T4_T5_T6_T7_T9_mT8_P12ihipStream_tbDpT10_ENKUlT_T0_E_clISt17integral_constantIbLb1EES17_IbLb0EEEEDaS13_S14_EUlS13_E_NS1_11comp_targetILNS1_3genE8ELNS1_11target_archE1030ELNS1_3gpuE2ELNS1_3repE0EEENS1_30default_config_static_selectorELNS0_4arch9wavefront6targetE0EEEvT1_.uses_vcc, 0
	.set _ZN7rocprim17ROCPRIM_400000_NS6detail17trampoline_kernelINS0_14default_configENS1_25partition_config_selectorILNS1_17partition_subalgoE6EtNS0_10empty_typeEbEEZZNS1_14partition_implILS5_6ELb0ES3_mN6thrust23THRUST_200600_302600_NS6detail15normal_iteratorINSA_10device_ptrItEEEEPS6_SG_NS0_5tupleIJSF_S6_EEENSH_IJSG_SG_EEES6_PlJNSB_9not_fun_tI7is_evenItEEEEEE10hipError_tPvRmT3_T4_T5_T6_T7_T9_mT8_P12ihipStream_tbDpT10_ENKUlT_T0_E_clISt17integral_constantIbLb1EES17_IbLb0EEEEDaS13_S14_EUlS13_E_NS1_11comp_targetILNS1_3genE8ELNS1_11target_archE1030ELNS1_3gpuE2ELNS1_3repE0EEENS1_30default_config_static_selectorELNS0_4arch9wavefront6targetE0EEEvT1_.uses_flat_scratch, 0
	.set _ZN7rocprim17ROCPRIM_400000_NS6detail17trampoline_kernelINS0_14default_configENS1_25partition_config_selectorILNS1_17partition_subalgoE6EtNS0_10empty_typeEbEEZZNS1_14partition_implILS5_6ELb0ES3_mN6thrust23THRUST_200600_302600_NS6detail15normal_iteratorINSA_10device_ptrItEEEEPS6_SG_NS0_5tupleIJSF_S6_EEENSH_IJSG_SG_EEES6_PlJNSB_9not_fun_tI7is_evenItEEEEEE10hipError_tPvRmT3_T4_T5_T6_T7_T9_mT8_P12ihipStream_tbDpT10_ENKUlT_T0_E_clISt17integral_constantIbLb1EES17_IbLb0EEEEDaS13_S14_EUlS13_E_NS1_11comp_targetILNS1_3genE8ELNS1_11target_archE1030ELNS1_3gpuE2ELNS1_3repE0EEENS1_30default_config_static_selectorELNS0_4arch9wavefront6targetE0EEEvT1_.has_dyn_sized_stack, 0
	.set _ZN7rocprim17ROCPRIM_400000_NS6detail17trampoline_kernelINS0_14default_configENS1_25partition_config_selectorILNS1_17partition_subalgoE6EtNS0_10empty_typeEbEEZZNS1_14partition_implILS5_6ELb0ES3_mN6thrust23THRUST_200600_302600_NS6detail15normal_iteratorINSA_10device_ptrItEEEEPS6_SG_NS0_5tupleIJSF_S6_EEENSH_IJSG_SG_EEES6_PlJNSB_9not_fun_tI7is_evenItEEEEEE10hipError_tPvRmT3_T4_T5_T6_T7_T9_mT8_P12ihipStream_tbDpT10_ENKUlT_T0_E_clISt17integral_constantIbLb1EES17_IbLb0EEEEDaS13_S14_EUlS13_E_NS1_11comp_targetILNS1_3genE8ELNS1_11target_archE1030ELNS1_3gpuE2ELNS1_3repE0EEENS1_30default_config_static_selectorELNS0_4arch9wavefront6targetE0EEEvT1_.has_recursion, 0
	.set _ZN7rocprim17ROCPRIM_400000_NS6detail17trampoline_kernelINS0_14default_configENS1_25partition_config_selectorILNS1_17partition_subalgoE6EtNS0_10empty_typeEbEEZZNS1_14partition_implILS5_6ELb0ES3_mN6thrust23THRUST_200600_302600_NS6detail15normal_iteratorINSA_10device_ptrItEEEEPS6_SG_NS0_5tupleIJSF_S6_EEENSH_IJSG_SG_EEES6_PlJNSB_9not_fun_tI7is_evenItEEEEEE10hipError_tPvRmT3_T4_T5_T6_T7_T9_mT8_P12ihipStream_tbDpT10_ENKUlT_T0_E_clISt17integral_constantIbLb1EES17_IbLb0EEEEDaS13_S14_EUlS13_E_NS1_11comp_targetILNS1_3genE8ELNS1_11target_archE1030ELNS1_3gpuE2ELNS1_3repE0EEENS1_30default_config_static_selectorELNS0_4arch9wavefront6targetE0EEEvT1_.has_indirect_call, 0
	.section	.AMDGPU.csdata,"",@progbits
; Kernel info:
; codeLenInByte = 0
; TotalNumSgprs: 0
; NumVgprs: 0
; ScratchSize: 0
; MemoryBound: 0
; FloatMode: 240
; IeeeMode: 1
; LDSByteSize: 0 bytes/workgroup (compile time only)
; SGPRBlocks: 0
; VGPRBlocks: 0
; NumSGPRsForWavesPerEU: 1
; NumVGPRsForWavesPerEU: 1
; Occupancy: 16
; WaveLimiterHint : 0
; COMPUTE_PGM_RSRC2:SCRATCH_EN: 0
; COMPUTE_PGM_RSRC2:USER_SGPR: 2
; COMPUTE_PGM_RSRC2:TRAP_HANDLER: 0
; COMPUTE_PGM_RSRC2:TGID_X_EN: 1
; COMPUTE_PGM_RSRC2:TGID_Y_EN: 0
; COMPUTE_PGM_RSRC2:TGID_Z_EN: 0
; COMPUTE_PGM_RSRC2:TIDIG_COMP_CNT: 0
	.section	.text._ZN7rocprim17ROCPRIM_400000_NS6detail17trampoline_kernelINS0_14default_configENS1_25partition_config_selectorILNS1_17partition_subalgoE6EtNS0_10empty_typeEbEEZZNS1_14partition_implILS5_6ELb0ES3_mN6thrust23THRUST_200600_302600_NS6detail15normal_iteratorINSA_10device_ptrItEEEEPS6_SG_NS0_5tupleIJSF_S6_EEENSH_IJSG_SG_EEES6_PlJNSB_9not_fun_tI7is_evenItEEEEEE10hipError_tPvRmT3_T4_T5_T6_T7_T9_mT8_P12ihipStream_tbDpT10_ENKUlT_T0_E_clISt17integral_constantIbLb0EES17_IbLb1EEEEDaS13_S14_EUlS13_E_NS1_11comp_targetILNS1_3genE0ELNS1_11target_archE4294967295ELNS1_3gpuE0ELNS1_3repE0EEENS1_30default_config_static_selectorELNS0_4arch9wavefront6targetE0EEEvT1_,"axG",@progbits,_ZN7rocprim17ROCPRIM_400000_NS6detail17trampoline_kernelINS0_14default_configENS1_25partition_config_selectorILNS1_17partition_subalgoE6EtNS0_10empty_typeEbEEZZNS1_14partition_implILS5_6ELb0ES3_mN6thrust23THRUST_200600_302600_NS6detail15normal_iteratorINSA_10device_ptrItEEEEPS6_SG_NS0_5tupleIJSF_S6_EEENSH_IJSG_SG_EEES6_PlJNSB_9not_fun_tI7is_evenItEEEEEE10hipError_tPvRmT3_T4_T5_T6_T7_T9_mT8_P12ihipStream_tbDpT10_ENKUlT_T0_E_clISt17integral_constantIbLb0EES17_IbLb1EEEEDaS13_S14_EUlS13_E_NS1_11comp_targetILNS1_3genE0ELNS1_11target_archE4294967295ELNS1_3gpuE0ELNS1_3repE0EEENS1_30default_config_static_selectorELNS0_4arch9wavefront6targetE0EEEvT1_,comdat
	.protected	_ZN7rocprim17ROCPRIM_400000_NS6detail17trampoline_kernelINS0_14default_configENS1_25partition_config_selectorILNS1_17partition_subalgoE6EtNS0_10empty_typeEbEEZZNS1_14partition_implILS5_6ELb0ES3_mN6thrust23THRUST_200600_302600_NS6detail15normal_iteratorINSA_10device_ptrItEEEEPS6_SG_NS0_5tupleIJSF_S6_EEENSH_IJSG_SG_EEES6_PlJNSB_9not_fun_tI7is_evenItEEEEEE10hipError_tPvRmT3_T4_T5_T6_T7_T9_mT8_P12ihipStream_tbDpT10_ENKUlT_T0_E_clISt17integral_constantIbLb0EES17_IbLb1EEEEDaS13_S14_EUlS13_E_NS1_11comp_targetILNS1_3genE0ELNS1_11target_archE4294967295ELNS1_3gpuE0ELNS1_3repE0EEENS1_30default_config_static_selectorELNS0_4arch9wavefront6targetE0EEEvT1_ ; -- Begin function _ZN7rocprim17ROCPRIM_400000_NS6detail17trampoline_kernelINS0_14default_configENS1_25partition_config_selectorILNS1_17partition_subalgoE6EtNS0_10empty_typeEbEEZZNS1_14partition_implILS5_6ELb0ES3_mN6thrust23THRUST_200600_302600_NS6detail15normal_iteratorINSA_10device_ptrItEEEEPS6_SG_NS0_5tupleIJSF_S6_EEENSH_IJSG_SG_EEES6_PlJNSB_9not_fun_tI7is_evenItEEEEEE10hipError_tPvRmT3_T4_T5_T6_T7_T9_mT8_P12ihipStream_tbDpT10_ENKUlT_T0_E_clISt17integral_constantIbLb0EES17_IbLb1EEEEDaS13_S14_EUlS13_E_NS1_11comp_targetILNS1_3genE0ELNS1_11target_archE4294967295ELNS1_3gpuE0ELNS1_3repE0EEENS1_30default_config_static_selectorELNS0_4arch9wavefront6targetE0EEEvT1_
	.globl	_ZN7rocprim17ROCPRIM_400000_NS6detail17trampoline_kernelINS0_14default_configENS1_25partition_config_selectorILNS1_17partition_subalgoE6EtNS0_10empty_typeEbEEZZNS1_14partition_implILS5_6ELb0ES3_mN6thrust23THRUST_200600_302600_NS6detail15normal_iteratorINSA_10device_ptrItEEEEPS6_SG_NS0_5tupleIJSF_S6_EEENSH_IJSG_SG_EEES6_PlJNSB_9not_fun_tI7is_evenItEEEEEE10hipError_tPvRmT3_T4_T5_T6_T7_T9_mT8_P12ihipStream_tbDpT10_ENKUlT_T0_E_clISt17integral_constantIbLb0EES17_IbLb1EEEEDaS13_S14_EUlS13_E_NS1_11comp_targetILNS1_3genE0ELNS1_11target_archE4294967295ELNS1_3gpuE0ELNS1_3repE0EEENS1_30default_config_static_selectorELNS0_4arch9wavefront6targetE0EEEvT1_
	.p2align	8
	.type	_ZN7rocprim17ROCPRIM_400000_NS6detail17trampoline_kernelINS0_14default_configENS1_25partition_config_selectorILNS1_17partition_subalgoE6EtNS0_10empty_typeEbEEZZNS1_14partition_implILS5_6ELb0ES3_mN6thrust23THRUST_200600_302600_NS6detail15normal_iteratorINSA_10device_ptrItEEEEPS6_SG_NS0_5tupleIJSF_S6_EEENSH_IJSG_SG_EEES6_PlJNSB_9not_fun_tI7is_evenItEEEEEE10hipError_tPvRmT3_T4_T5_T6_T7_T9_mT8_P12ihipStream_tbDpT10_ENKUlT_T0_E_clISt17integral_constantIbLb0EES17_IbLb1EEEEDaS13_S14_EUlS13_E_NS1_11comp_targetILNS1_3genE0ELNS1_11target_archE4294967295ELNS1_3gpuE0ELNS1_3repE0EEENS1_30default_config_static_selectorELNS0_4arch9wavefront6targetE0EEEvT1_,@function
_ZN7rocprim17ROCPRIM_400000_NS6detail17trampoline_kernelINS0_14default_configENS1_25partition_config_selectorILNS1_17partition_subalgoE6EtNS0_10empty_typeEbEEZZNS1_14partition_implILS5_6ELb0ES3_mN6thrust23THRUST_200600_302600_NS6detail15normal_iteratorINSA_10device_ptrItEEEEPS6_SG_NS0_5tupleIJSF_S6_EEENSH_IJSG_SG_EEES6_PlJNSB_9not_fun_tI7is_evenItEEEEEE10hipError_tPvRmT3_T4_T5_T6_T7_T9_mT8_P12ihipStream_tbDpT10_ENKUlT_T0_E_clISt17integral_constantIbLb0EES17_IbLb1EEEEDaS13_S14_EUlS13_E_NS1_11comp_targetILNS1_3genE0ELNS1_11target_archE4294967295ELNS1_3gpuE0ELNS1_3repE0EEENS1_30default_config_static_selectorELNS0_4arch9wavefront6targetE0EEEvT1_: ; @_ZN7rocprim17ROCPRIM_400000_NS6detail17trampoline_kernelINS0_14default_configENS1_25partition_config_selectorILNS1_17partition_subalgoE6EtNS0_10empty_typeEbEEZZNS1_14partition_implILS5_6ELb0ES3_mN6thrust23THRUST_200600_302600_NS6detail15normal_iteratorINSA_10device_ptrItEEEEPS6_SG_NS0_5tupleIJSF_S6_EEENSH_IJSG_SG_EEES6_PlJNSB_9not_fun_tI7is_evenItEEEEEE10hipError_tPvRmT3_T4_T5_T6_T7_T9_mT8_P12ihipStream_tbDpT10_ENKUlT_T0_E_clISt17integral_constantIbLb0EES17_IbLb1EEEEDaS13_S14_EUlS13_E_NS1_11comp_targetILNS1_3genE0ELNS1_11target_archE4294967295ELNS1_3gpuE0ELNS1_3repE0EEENS1_30default_config_static_selectorELNS0_4arch9wavefront6targetE0EEEvT1_
; %bb.0:
	.section	.rodata,"a",@progbits
	.p2align	6, 0x0
	.amdhsa_kernel _ZN7rocprim17ROCPRIM_400000_NS6detail17trampoline_kernelINS0_14default_configENS1_25partition_config_selectorILNS1_17partition_subalgoE6EtNS0_10empty_typeEbEEZZNS1_14partition_implILS5_6ELb0ES3_mN6thrust23THRUST_200600_302600_NS6detail15normal_iteratorINSA_10device_ptrItEEEEPS6_SG_NS0_5tupleIJSF_S6_EEENSH_IJSG_SG_EEES6_PlJNSB_9not_fun_tI7is_evenItEEEEEE10hipError_tPvRmT3_T4_T5_T6_T7_T9_mT8_P12ihipStream_tbDpT10_ENKUlT_T0_E_clISt17integral_constantIbLb0EES17_IbLb1EEEEDaS13_S14_EUlS13_E_NS1_11comp_targetILNS1_3genE0ELNS1_11target_archE4294967295ELNS1_3gpuE0ELNS1_3repE0EEENS1_30default_config_static_selectorELNS0_4arch9wavefront6targetE0EEEvT1_
		.amdhsa_group_segment_fixed_size 0
		.amdhsa_private_segment_fixed_size 0
		.amdhsa_kernarg_size 128
		.amdhsa_user_sgpr_count 2
		.amdhsa_user_sgpr_dispatch_ptr 0
		.amdhsa_user_sgpr_queue_ptr 0
		.amdhsa_user_sgpr_kernarg_segment_ptr 1
		.amdhsa_user_sgpr_dispatch_id 0
		.amdhsa_user_sgpr_private_segment_size 0
		.amdhsa_wavefront_size32 1
		.amdhsa_uses_dynamic_stack 0
		.amdhsa_enable_private_segment 0
		.amdhsa_system_sgpr_workgroup_id_x 1
		.amdhsa_system_sgpr_workgroup_id_y 0
		.amdhsa_system_sgpr_workgroup_id_z 0
		.amdhsa_system_sgpr_workgroup_info 0
		.amdhsa_system_vgpr_workitem_id 0
		.amdhsa_next_free_vgpr 1
		.amdhsa_next_free_sgpr 1
		.amdhsa_reserve_vcc 0
		.amdhsa_float_round_mode_32 0
		.amdhsa_float_round_mode_16_64 0
		.amdhsa_float_denorm_mode_32 3
		.amdhsa_float_denorm_mode_16_64 3
		.amdhsa_fp16_overflow 0
		.amdhsa_workgroup_processor_mode 1
		.amdhsa_memory_ordered 1
		.amdhsa_forward_progress 1
		.amdhsa_inst_pref_size 0
		.amdhsa_round_robin_scheduling 0
		.amdhsa_exception_fp_ieee_invalid_op 0
		.amdhsa_exception_fp_denorm_src 0
		.amdhsa_exception_fp_ieee_div_zero 0
		.amdhsa_exception_fp_ieee_overflow 0
		.amdhsa_exception_fp_ieee_underflow 0
		.amdhsa_exception_fp_ieee_inexact 0
		.amdhsa_exception_int_div_zero 0
	.end_amdhsa_kernel
	.section	.text._ZN7rocprim17ROCPRIM_400000_NS6detail17trampoline_kernelINS0_14default_configENS1_25partition_config_selectorILNS1_17partition_subalgoE6EtNS0_10empty_typeEbEEZZNS1_14partition_implILS5_6ELb0ES3_mN6thrust23THRUST_200600_302600_NS6detail15normal_iteratorINSA_10device_ptrItEEEEPS6_SG_NS0_5tupleIJSF_S6_EEENSH_IJSG_SG_EEES6_PlJNSB_9not_fun_tI7is_evenItEEEEEE10hipError_tPvRmT3_T4_T5_T6_T7_T9_mT8_P12ihipStream_tbDpT10_ENKUlT_T0_E_clISt17integral_constantIbLb0EES17_IbLb1EEEEDaS13_S14_EUlS13_E_NS1_11comp_targetILNS1_3genE0ELNS1_11target_archE4294967295ELNS1_3gpuE0ELNS1_3repE0EEENS1_30default_config_static_selectorELNS0_4arch9wavefront6targetE0EEEvT1_,"axG",@progbits,_ZN7rocprim17ROCPRIM_400000_NS6detail17trampoline_kernelINS0_14default_configENS1_25partition_config_selectorILNS1_17partition_subalgoE6EtNS0_10empty_typeEbEEZZNS1_14partition_implILS5_6ELb0ES3_mN6thrust23THRUST_200600_302600_NS6detail15normal_iteratorINSA_10device_ptrItEEEEPS6_SG_NS0_5tupleIJSF_S6_EEENSH_IJSG_SG_EEES6_PlJNSB_9not_fun_tI7is_evenItEEEEEE10hipError_tPvRmT3_T4_T5_T6_T7_T9_mT8_P12ihipStream_tbDpT10_ENKUlT_T0_E_clISt17integral_constantIbLb0EES17_IbLb1EEEEDaS13_S14_EUlS13_E_NS1_11comp_targetILNS1_3genE0ELNS1_11target_archE4294967295ELNS1_3gpuE0ELNS1_3repE0EEENS1_30default_config_static_selectorELNS0_4arch9wavefront6targetE0EEEvT1_,comdat
.Lfunc_end685:
	.size	_ZN7rocprim17ROCPRIM_400000_NS6detail17trampoline_kernelINS0_14default_configENS1_25partition_config_selectorILNS1_17partition_subalgoE6EtNS0_10empty_typeEbEEZZNS1_14partition_implILS5_6ELb0ES3_mN6thrust23THRUST_200600_302600_NS6detail15normal_iteratorINSA_10device_ptrItEEEEPS6_SG_NS0_5tupleIJSF_S6_EEENSH_IJSG_SG_EEES6_PlJNSB_9not_fun_tI7is_evenItEEEEEE10hipError_tPvRmT3_T4_T5_T6_T7_T9_mT8_P12ihipStream_tbDpT10_ENKUlT_T0_E_clISt17integral_constantIbLb0EES17_IbLb1EEEEDaS13_S14_EUlS13_E_NS1_11comp_targetILNS1_3genE0ELNS1_11target_archE4294967295ELNS1_3gpuE0ELNS1_3repE0EEENS1_30default_config_static_selectorELNS0_4arch9wavefront6targetE0EEEvT1_, .Lfunc_end685-_ZN7rocprim17ROCPRIM_400000_NS6detail17trampoline_kernelINS0_14default_configENS1_25partition_config_selectorILNS1_17partition_subalgoE6EtNS0_10empty_typeEbEEZZNS1_14partition_implILS5_6ELb0ES3_mN6thrust23THRUST_200600_302600_NS6detail15normal_iteratorINSA_10device_ptrItEEEEPS6_SG_NS0_5tupleIJSF_S6_EEENSH_IJSG_SG_EEES6_PlJNSB_9not_fun_tI7is_evenItEEEEEE10hipError_tPvRmT3_T4_T5_T6_T7_T9_mT8_P12ihipStream_tbDpT10_ENKUlT_T0_E_clISt17integral_constantIbLb0EES17_IbLb1EEEEDaS13_S14_EUlS13_E_NS1_11comp_targetILNS1_3genE0ELNS1_11target_archE4294967295ELNS1_3gpuE0ELNS1_3repE0EEENS1_30default_config_static_selectorELNS0_4arch9wavefront6targetE0EEEvT1_
                                        ; -- End function
	.set _ZN7rocprim17ROCPRIM_400000_NS6detail17trampoline_kernelINS0_14default_configENS1_25partition_config_selectorILNS1_17partition_subalgoE6EtNS0_10empty_typeEbEEZZNS1_14partition_implILS5_6ELb0ES3_mN6thrust23THRUST_200600_302600_NS6detail15normal_iteratorINSA_10device_ptrItEEEEPS6_SG_NS0_5tupleIJSF_S6_EEENSH_IJSG_SG_EEES6_PlJNSB_9not_fun_tI7is_evenItEEEEEE10hipError_tPvRmT3_T4_T5_T6_T7_T9_mT8_P12ihipStream_tbDpT10_ENKUlT_T0_E_clISt17integral_constantIbLb0EES17_IbLb1EEEEDaS13_S14_EUlS13_E_NS1_11comp_targetILNS1_3genE0ELNS1_11target_archE4294967295ELNS1_3gpuE0ELNS1_3repE0EEENS1_30default_config_static_selectorELNS0_4arch9wavefront6targetE0EEEvT1_.num_vgpr, 0
	.set _ZN7rocprim17ROCPRIM_400000_NS6detail17trampoline_kernelINS0_14default_configENS1_25partition_config_selectorILNS1_17partition_subalgoE6EtNS0_10empty_typeEbEEZZNS1_14partition_implILS5_6ELb0ES3_mN6thrust23THRUST_200600_302600_NS6detail15normal_iteratorINSA_10device_ptrItEEEEPS6_SG_NS0_5tupleIJSF_S6_EEENSH_IJSG_SG_EEES6_PlJNSB_9not_fun_tI7is_evenItEEEEEE10hipError_tPvRmT3_T4_T5_T6_T7_T9_mT8_P12ihipStream_tbDpT10_ENKUlT_T0_E_clISt17integral_constantIbLb0EES17_IbLb1EEEEDaS13_S14_EUlS13_E_NS1_11comp_targetILNS1_3genE0ELNS1_11target_archE4294967295ELNS1_3gpuE0ELNS1_3repE0EEENS1_30default_config_static_selectorELNS0_4arch9wavefront6targetE0EEEvT1_.num_agpr, 0
	.set _ZN7rocprim17ROCPRIM_400000_NS6detail17trampoline_kernelINS0_14default_configENS1_25partition_config_selectorILNS1_17partition_subalgoE6EtNS0_10empty_typeEbEEZZNS1_14partition_implILS5_6ELb0ES3_mN6thrust23THRUST_200600_302600_NS6detail15normal_iteratorINSA_10device_ptrItEEEEPS6_SG_NS0_5tupleIJSF_S6_EEENSH_IJSG_SG_EEES6_PlJNSB_9not_fun_tI7is_evenItEEEEEE10hipError_tPvRmT3_T4_T5_T6_T7_T9_mT8_P12ihipStream_tbDpT10_ENKUlT_T0_E_clISt17integral_constantIbLb0EES17_IbLb1EEEEDaS13_S14_EUlS13_E_NS1_11comp_targetILNS1_3genE0ELNS1_11target_archE4294967295ELNS1_3gpuE0ELNS1_3repE0EEENS1_30default_config_static_selectorELNS0_4arch9wavefront6targetE0EEEvT1_.numbered_sgpr, 0
	.set _ZN7rocprim17ROCPRIM_400000_NS6detail17trampoline_kernelINS0_14default_configENS1_25partition_config_selectorILNS1_17partition_subalgoE6EtNS0_10empty_typeEbEEZZNS1_14partition_implILS5_6ELb0ES3_mN6thrust23THRUST_200600_302600_NS6detail15normal_iteratorINSA_10device_ptrItEEEEPS6_SG_NS0_5tupleIJSF_S6_EEENSH_IJSG_SG_EEES6_PlJNSB_9not_fun_tI7is_evenItEEEEEE10hipError_tPvRmT3_T4_T5_T6_T7_T9_mT8_P12ihipStream_tbDpT10_ENKUlT_T0_E_clISt17integral_constantIbLb0EES17_IbLb1EEEEDaS13_S14_EUlS13_E_NS1_11comp_targetILNS1_3genE0ELNS1_11target_archE4294967295ELNS1_3gpuE0ELNS1_3repE0EEENS1_30default_config_static_selectorELNS0_4arch9wavefront6targetE0EEEvT1_.num_named_barrier, 0
	.set _ZN7rocprim17ROCPRIM_400000_NS6detail17trampoline_kernelINS0_14default_configENS1_25partition_config_selectorILNS1_17partition_subalgoE6EtNS0_10empty_typeEbEEZZNS1_14partition_implILS5_6ELb0ES3_mN6thrust23THRUST_200600_302600_NS6detail15normal_iteratorINSA_10device_ptrItEEEEPS6_SG_NS0_5tupleIJSF_S6_EEENSH_IJSG_SG_EEES6_PlJNSB_9not_fun_tI7is_evenItEEEEEE10hipError_tPvRmT3_T4_T5_T6_T7_T9_mT8_P12ihipStream_tbDpT10_ENKUlT_T0_E_clISt17integral_constantIbLb0EES17_IbLb1EEEEDaS13_S14_EUlS13_E_NS1_11comp_targetILNS1_3genE0ELNS1_11target_archE4294967295ELNS1_3gpuE0ELNS1_3repE0EEENS1_30default_config_static_selectorELNS0_4arch9wavefront6targetE0EEEvT1_.private_seg_size, 0
	.set _ZN7rocprim17ROCPRIM_400000_NS6detail17trampoline_kernelINS0_14default_configENS1_25partition_config_selectorILNS1_17partition_subalgoE6EtNS0_10empty_typeEbEEZZNS1_14partition_implILS5_6ELb0ES3_mN6thrust23THRUST_200600_302600_NS6detail15normal_iteratorINSA_10device_ptrItEEEEPS6_SG_NS0_5tupleIJSF_S6_EEENSH_IJSG_SG_EEES6_PlJNSB_9not_fun_tI7is_evenItEEEEEE10hipError_tPvRmT3_T4_T5_T6_T7_T9_mT8_P12ihipStream_tbDpT10_ENKUlT_T0_E_clISt17integral_constantIbLb0EES17_IbLb1EEEEDaS13_S14_EUlS13_E_NS1_11comp_targetILNS1_3genE0ELNS1_11target_archE4294967295ELNS1_3gpuE0ELNS1_3repE0EEENS1_30default_config_static_selectorELNS0_4arch9wavefront6targetE0EEEvT1_.uses_vcc, 0
	.set _ZN7rocprim17ROCPRIM_400000_NS6detail17trampoline_kernelINS0_14default_configENS1_25partition_config_selectorILNS1_17partition_subalgoE6EtNS0_10empty_typeEbEEZZNS1_14partition_implILS5_6ELb0ES3_mN6thrust23THRUST_200600_302600_NS6detail15normal_iteratorINSA_10device_ptrItEEEEPS6_SG_NS0_5tupleIJSF_S6_EEENSH_IJSG_SG_EEES6_PlJNSB_9not_fun_tI7is_evenItEEEEEE10hipError_tPvRmT3_T4_T5_T6_T7_T9_mT8_P12ihipStream_tbDpT10_ENKUlT_T0_E_clISt17integral_constantIbLb0EES17_IbLb1EEEEDaS13_S14_EUlS13_E_NS1_11comp_targetILNS1_3genE0ELNS1_11target_archE4294967295ELNS1_3gpuE0ELNS1_3repE0EEENS1_30default_config_static_selectorELNS0_4arch9wavefront6targetE0EEEvT1_.uses_flat_scratch, 0
	.set _ZN7rocprim17ROCPRIM_400000_NS6detail17trampoline_kernelINS0_14default_configENS1_25partition_config_selectorILNS1_17partition_subalgoE6EtNS0_10empty_typeEbEEZZNS1_14partition_implILS5_6ELb0ES3_mN6thrust23THRUST_200600_302600_NS6detail15normal_iteratorINSA_10device_ptrItEEEEPS6_SG_NS0_5tupleIJSF_S6_EEENSH_IJSG_SG_EEES6_PlJNSB_9not_fun_tI7is_evenItEEEEEE10hipError_tPvRmT3_T4_T5_T6_T7_T9_mT8_P12ihipStream_tbDpT10_ENKUlT_T0_E_clISt17integral_constantIbLb0EES17_IbLb1EEEEDaS13_S14_EUlS13_E_NS1_11comp_targetILNS1_3genE0ELNS1_11target_archE4294967295ELNS1_3gpuE0ELNS1_3repE0EEENS1_30default_config_static_selectorELNS0_4arch9wavefront6targetE0EEEvT1_.has_dyn_sized_stack, 0
	.set _ZN7rocprim17ROCPRIM_400000_NS6detail17trampoline_kernelINS0_14default_configENS1_25partition_config_selectorILNS1_17partition_subalgoE6EtNS0_10empty_typeEbEEZZNS1_14partition_implILS5_6ELb0ES3_mN6thrust23THRUST_200600_302600_NS6detail15normal_iteratorINSA_10device_ptrItEEEEPS6_SG_NS0_5tupleIJSF_S6_EEENSH_IJSG_SG_EEES6_PlJNSB_9not_fun_tI7is_evenItEEEEEE10hipError_tPvRmT3_T4_T5_T6_T7_T9_mT8_P12ihipStream_tbDpT10_ENKUlT_T0_E_clISt17integral_constantIbLb0EES17_IbLb1EEEEDaS13_S14_EUlS13_E_NS1_11comp_targetILNS1_3genE0ELNS1_11target_archE4294967295ELNS1_3gpuE0ELNS1_3repE0EEENS1_30default_config_static_selectorELNS0_4arch9wavefront6targetE0EEEvT1_.has_recursion, 0
	.set _ZN7rocprim17ROCPRIM_400000_NS6detail17trampoline_kernelINS0_14default_configENS1_25partition_config_selectorILNS1_17partition_subalgoE6EtNS0_10empty_typeEbEEZZNS1_14partition_implILS5_6ELb0ES3_mN6thrust23THRUST_200600_302600_NS6detail15normal_iteratorINSA_10device_ptrItEEEEPS6_SG_NS0_5tupleIJSF_S6_EEENSH_IJSG_SG_EEES6_PlJNSB_9not_fun_tI7is_evenItEEEEEE10hipError_tPvRmT3_T4_T5_T6_T7_T9_mT8_P12ihipStream_tbDpT10_ENKUlT_T0_E_clISt17integral_constantIbLb0EES17_IbLb1EEEEDaS13_S14_EUlS13_E_NS1_11comp_targetILNS1_3genE0ELNS1_11target_archE4294967295ELNS1_3gpuE0ELNS1_3repE0EEENS1_30default_config_static_selectorELNS0_4arch9wavefront6targetE0EEEvT1_.has_indirect_call, 0
	.section	.AMDGPU.csdata,"",@progbits
; Kernel info:
; codeLenInByte = 0
; TotalNumSgprs: 0
; NumVgprs: 0
; ScratchSize: 0
; MemoryBound: 0
; FloatMode: 240
; IeeeMode: 1
; LDSByteSize: 0 bytes/workgroup (compile time only)
; SGPRBlocks: 0
; VGPRBlocks: 0
; NumSGPRsForWavesPerEU: 1
; NumVGPRsForWavesPerEU: 1
; Occupancy: 16
; WaveLimiterHint : 0
; COMPUTE_PGM_RSRC2:SCRATCH_EN: 0
; COMPUTE_PGM_RSRC2:USER_SGPR: 2
; COMPUTE_PGM_RSRC2:TRAP_HANDLER: 0
; COMPUTE_PGM_RSRC2:TGID_X_EN: 1
; COMPUTE_PGM_RSRC2:TGID_Y_EN: 0
; COMPUTE_PGM_RSRC2:TGID_Z_EN: 0
; COMPUTE_PGM_RSRC2:TIDIG_COMP_CNT: 0
	.section	.text._ZN7rocprim17ROCPRIM_400000_NS6detail17trampoline_kernelINS0_14default_configENS1_25partition_config_selectorILNS1_17partition_subalgoE6EtNS0_10empty_typeEbEEZZNS1_14partition_implILS5_6ELb0ES3_mN6thrust23THRUST_200600_302600_NS6detail15normal_iteratorINSA_10device_ptrItEEEEPS6_SG_NS0_5tupleIJSF_S6_EEENSH_IJSG_SG_EEES6_PlJNSB_9not_fun_tI7is_evenItEEEEEE10hipError_tPvRmT3_T4_T5_T6_T7_T9_mT8_P12ihipStream_tbDpT10_ENKUlT_T0_E_clISt17integral_constantIbLb0EES17_IbLb1EEEEDaS13_S14_EUlS13_E_NS1_11comp_targetILNS1_3genE5ELNS1_11target_archE942ELNS1_3gpuE9ELNS1_3repE0EEENS1_30default_config_static_selectorELNS0_4arch9wavefront6targetE0EEEvT1_,"axG",@progbits,_ZN7rocprim17ROCPRIM_400000_NS6detail17trampoline_kernelINS0_14default_configENS1_25partition_config_selectorILNS1_17partition_subalgoE6EtNS0_10empty_typeEbEEZZNS1_14partition_implILS5_6ELb0ES3_mN6thrust23THRUST_200600_302600_NS6detail15normal_iteratorINSA_10device_ptrItEEEEPS6_SG_NS0_5tupleIJSF_S6_EEENSH_IJSG_SG_EEES6_PlJNSB_9not_fun_tI7is_evenItEEEEEE10hipError_tPvRmT3_T4_T5_T6_T7_T9_mT8_P12ihipStream_tbDpT10_ENKUlT_T0_E_clISt17integral_constantIbLb0EES17_IbLb1EEEEDaS13_S14_EUlS13_E_NS1_11comp_targetILNS1_3genE5ELNS1_11target_archE942ELNS1_3gpuE9ELNS1_3repE0EEENS1_30default_config_static_selectorELNS0_4arch9wavefront6targetE0EEEvT1_,comdat
	.protected	_ZN7rocprim17ROCPRIM_400000_NS6detail17trampoline_kernelINS0_14default_configENS1_25partition_config_selectorILNS1_17partition_subalgoE6EtNS0_10empty_typeEbEEZZNS1_14partition_implILS5_6ELb0ES3_mN6thrust23THRUST_200600_302600_NS6detail15normal_iteratorINSA_10device_ptrItEEEEPS6_SG_NS0_5tupleIJSF_S6_EEENSH_IJSG_SG_EEES6_PlJNSB_9not_fun_tI7is_evenItEEEEEE10hipError_tPvRmT3_T4_T5_T6_T7_T9_mT8_P12ihipStream_tbDpT10_ENKUlT_T0_E_clISt17integral_constantIbLb0EES17_IbLb1EEEEDaS13_S14_EUlS13_E_NS1_11comp_targetILNS1_3genE5ELNS1_11target_archE942ELNS1_3gpuE9ELNS1_3repE0EEENS1_30default_config_static_selectorELNS0_4arch9wavefront6targetE0EEEvT1_ ; -- Begin function _ZN7rocprim17ROCPRIM_400000_NS6detail17trampoline_kernelINS0_14default_configENS1_25partition_config_selectorILNS1_17partition_subalgoE6EtNS0_10empty_typeEbEEZZNS1_14partition_implILS5_6ELb0ES3_mN6thrust23THRUST_200600_302600_NS6detail15normal_iteratorINSA_10device_ptrItEEEEPS6_SG_NS0_5tupleIJSF_S6_EEENSH_IJSG_SG_EEES6_PlJNSB_9not_fun_tI7is_evenItEEEEEE10hipError_tPvRmT3_T4_T5_T6_T7_T9_mT8_P12ihipStream_tbDpT10_ENKUlT_T0_E_clISt17integral_constantIbLb0EES17_IbLb1EEEEDaS13_S14_EUlS13_E_NS1_11comp_targetILNS1_3genE5ELNS1_11target_archE942ELNS1_3gpuE9ELNS1_3repE0EEENS1_30default_config_static_selectorELNS0_4arch9wavefront6targetE0EEEvT1_
	.globl	_ZN7rocprim17ROCPRIM_400000_NS6detail17trampoline_kernelINS0_14default_configENS1_25partition_config_selectorILNS1_17partition_subalgoE6EtNS0_10empty_typeEbEEZZNS1_14partition_implILS5_6ELb0ES3_mN6thrust23THRUST_200600_302600_NS6detail15normal_iteratorINSA_10device_ptrItEEEEPS6_SG_NS0_5tupleIJSF_S6_EEENSH_IJSG_SG_EEES6_PlJNSB_9not_fun_tI7is_evenItEEEEEE10hipError_tPvRmT3_T4_T5_T6_T7_T9_mT8_P12ihipStream_tbDpT10_ENKUlT_T0_E_clISt17integral_constantIbLb0EES17_IbLb1EEEEDaS13_S14_EUlS13_E_NS1_11comp_targetILNS1_3genE5ELNS1_11target_archE942ELNS1_3gpuE9ELNS1_3repE0EEENS1_30default_config_static_selectorELNS0_4arch9wavefront6targetE0EEEvT1_
	.p2align	8
	.type	_ZN7rocprim17ROCPRIM_400000_NS6detail17trampoline_kernelINS0_14default_configENS1_25partition_config_selectorILNS1_17partition_subalgoE6EtNS0_10empty_typeEbEEZZNS1_14partition_implILS5_6ELb0ES3_mN6thrust23THRUST_200600_302600_NS6detail15normal_iteratorINSA_10device_ptrItEEEEPS6_SG_NS0_5tupleIJSF_S6_EEENSH_IJSG_SG_EEES6_PlJNSB_9not_fun_tI7is_evenItEEEEEE10hipError_tPvRmT3_T4_T5_T6_T7_T9_mT8_P12ihipStream_tbDpT10_ENKUlT_T0_E_clISt17integral_constantIbLb0EES17_IbLb1EEEEDaS13_S14_EUlS13_E_NS1_11comp_targetILNS1_3genE5ELNS1_11target_archE942ELNS1_3gpuE9ELNS1_3repE0EEENS1_30default_config_static_selectorELNS0_4arch9wavefront6targetE0EEEvT1_,@function
_ZN7rocprim17ROCPRIM_400000_NS6detail17trampoline_kernelINS0_14default_configENS1_25partition_config_selectorILNS1_17partition_subalgoE6EtNS0_10empty_typeEbEEZZNS1_14partition_implILS5_6ELb0ES3_mN6thrust23THRUST_200600_302600_NS6detail15normal_iteratorINSA_10device_ptrItEEEEPS6_SG_NS0_5tupleIJSF_S6_EEENSH_IJSG_SG_EEES6_PlJNSB_9not_fun_tI7is_evenItEEEEEE10hipError_tPvRmT3_T4_T5_T6_T7_T9_mT8_P12ihipStream_tbDpT10_ENKUlT_T0_E_clISt17integral_constantIbLb0EES17_IbLb1EEEEDaS13_S14_EUlS13_E_NS1_11comp_targetILNS1_3genE5ELNS1_11target_archE942ELNS1_3gpuE9ELNS1_3repE0EEENS1_30default_config_static_selectorELNS0_4arch9wavefront6targetE0EEEvT1_: ; @_ZN7rocprim17ROCPRIM_400000_NS6detail17trampoline_kernelINS0_14default_configENS1_25partition_config_selectorILNS1_17partition_subalgoE6EtNS0_10empty_typeEbEEZZNS1_14partition_implILS5_6ELb0ES3_mN6thrust23THRUST_200600_302600_NS6detail15normal_iteratorINSA_10device_ptrItEEEEPS6_SG_NS0_5tupleIJSF_S6_EEENSH_IJSG_SG_EEES6_PlJNSB_9not_fun_tI7is_evenItEEEEEE10hipError_tPvRmT3_T4_T5_T6_T7_T9_mT8_P12ihipStream_tbDpT10_ENKUlT_T0_E_clISt17integral_constantIbLb0EES17_IbLb1EEEEDaS13_S14_EUlS13_E_NS1_11comp_targetILNS1_3genE5ELNS1_11target_archE942ELNS1_3gpuE9ELNS1_3repE0EEENS1_30default_config_static_selectorELNS0_4arch9wavefront6targetE0EEEvT1_
; %bb.0:
	.section	.rodata,"a",@progbits
	.p2align	6, 0x0
	.amdhsa_kernel _ZN7rocprim17ROCPRIM_400000_NS6detail17trampoline_kernelINS0_14default_configENS1_25partition_config_selectorILNS1_17partition_subalgoE6EtNS0_10empty_typeEbEEZZNS1_14partition_implILS5_6ELb0ES3_mN6thrust23THRUST_200600_302600_NS6detail15normal_iteratorINSA_10device_ptrItEEEEPS6_SG_NS0_5tupleIJSF_S6_EEENSH_IJSG_SG_EEES6_PlJNSB_9not_fun_tI7is_evenItEEEEEE10hipError_tPvRmT3_T4_T5_T6_T7_T9_mT8_P12ihipStream_tbDpT10_ENKUlT_T0_E_clISt17integral_constantIbLb0EES17_IbLb1EEEEDaS13_S14_EUlS13_E_NS1_11comp_targetILNS1_3genE5ELNS1_11target_archE942ELNS1_3gpuE9ELNS1_3repE0EEENS1_30default_config_static_selectorELNS0_4arch9wavefront6targetE0EEEvT1_
		.amdhsa_group_segment_fixed_size 0
		.amdhsa_private_segment_fixed_size 0
		.amdhsa_kernarg_size 128
		.amdhsa_user_sgpr_count 2
		.amdhsa_user_sgpr_dispatch_ptr 0
		.amdhsa_user_sgpr_queue_ptr 0
		.amdhsa_user_sgpr_kernarg_segment_ptr 1
		.amdhsa_user_sgpr_dispatch_id 0
		.amdhsa_user_sgpr_private_segment_size 0
		.amdhsa_wavefront_size32 1
		.amdhsa_uses_dynamic_stack 0
		.amdhsa_enable_private_segment 0
		.amdhsa_system_sgpr_workgroup_id_x 1
		.amdhsa_system_sgpr_workgroup_id_y 0
		.amdhsa_system_sgpr_workgroup_id_z 0
		.amdhsa_system_sgpr_workgroup_info 0
		.amdhsa_system_vgpr_workitem_id 0
		.amdhsa_next_free_vgpr 1
		.amdhsa_next_free_sgpr 1
		.amdhsa_reserve_vcc 0
		.amdhsa_float_round_mode_32 0
		.amdhsa_float_round_mode_16_64 0
		.amdhsa_float_denorm_mode_32 3
		.amdhsa_float_denorm_mode_16_64 3
		.amdhsa_fp16_overflow 0
		.amdhsa_workgroup_processor_mode 1
		.amdhsa_memory_ordered 1
		.amdhsa_forward_progress 1
		.amdhsa_inst_pref_size 0
		.amdhsa_round_robin_scheduling 0
		.amdhsa_exception_fp_ieee_invalid_op 0
		.amdhsa_exception_fp_denorm_src 0
		.amdhsa_exception_fp_ieee_div_zero 0
		.amdhsa_exception_fp_ieee_overflow 0
		.amdhsa_exception_fp_ieee_underflow 0
		.amdhsa_exception_fp_ieee_inexact 0
		.amdhsa_exception_int_div_zero 0
	.end_amdhsa_kernel
	.section	.text._ZN7rocprim17ROCPRIM_400000_NS6detail17trampoline_kernelINS0_14default_configENS1_25partition_config_selectorILNS1_17partition_subalgoE6EtNS0_10empty_typeEbEEZZNS1_14partition_implILS5_6ELb0ES3_mN6thrust23THRUST_200600_302600_NS6detail15normal_iteratorINSA_10device_ptrItEEEEPS6_SG_NS0_5tupleIJSF_S6_EEENSH_IJSG_SG_EEES6_PlJNSB_9not_fun_tI7is_evenItEEEEEE10hipError_tPvRmT3_T4_T5_T6_T7_T9_mT8_P12ihipStream_tbDpT10_ENKUlT_T0_E_clISt17integral_constantIbLb0EES17_IbLb1EEEEDaS13_S14_EUlS13_E_NS1_11comp_targetILNS1_3genE5ELNS1_11target_archE942ELNS1_3gpuE9ELNS1_3repE0EEENS1_30default_config_static_selectorELNS0_4arch9wavefront6targetE0EEEvT1_,"axG",@progbits,_ZN7rocprim17ROCPRIM_400000_NS6detail17trampoline_kernelINS0_14default_configENS1_25partition_config_selectorILNS1_17partition_subalgoE6EtNS0_10empty_typeEbEEZZNS1_14partition_implILS5_6ELb0ES3_mN6thrust23THRUST_200600_302600_NS6detail15normal_iteratorINSA_10device_ptrItEEEEPS6_SG_NS0_5tupleIJSF_S6_EEENSH_IJSG_SG_EEES6_PlJNSB_9not_fun_tI7is_evenItEEEEEE10hipError_tPvRmT3_T4_T5_T6_T7_T9_mT8_P12ihipStream_tbDpT10_ENKUlT_T0_E_clISt17integral_constantIbLb0EES17_IbLb1EEEEDaS13_S14_EUlS13_E_NS1_11comp_targetILNS1_3genE5ELNS1_11target_archE942ELNS1_3gpuE9ELNS1_3repE0EEENS1_30default_config_static_selectorELNS0_4arch9wavefront6targetE0EEEvT1_,comdat
.Lfunc_end686:
	.size	_ZN7rocprim17ROCPRIM_400000_NS6detail17trampoline_kernelINS0_14default_configENS1_25partition_config_selectorILNS1_17partition_subalgoE6EtNS0_10empty_typeEbEEZZNS1_14partition_implILS5_6ELb0ES3_mN6thrust23THRUST_200600_302600_NS6detail15normal_iteratorINSA_10device_ptrItEEEEPS6_SG_NS0_5tupleIJSF_S6_EEENSH_IJSG_SG_EEES6_PlJNSB_9not_fun_tI7is_evenItEEEEEE10hipError_tPvRmT3_T4_T5_T6_T7_T9_mT8_P12ihipStream_tbDpT10_ENKUlT_T0_E_clISt17integral_constantIbLb0EES17_IbLb1EEEEDaS13_S14_EUlS13_E_NS1_11comp_targetILNS1_3genE5ELNS1_11target_archE942ELNS1_3gpuE9ELNS1_3repE0EEENS1_30default_config_static_selectorELNS0_4arch9wavefront6targetE0EEEvT1_, .Lfunc_end686-_ZN7rocprim17ROCPRIM_400000_NS6detail17trampoline_kernelINS0_14default_configENS1_25partition_config_selectorILNS1_17partition_subalgoE6EtNS0_10empty_typeEbEEZZNS1_14partition_implILS5_6ELb0ES3_mN6thrust23THRUST_200600_302600_NS6detail15normal_iteratorINSA_10device_ptrItEEEEPS6_SG_NS0_5tupleIJSF_S6_EEENSH_IJSG_SG_EEES6_PlJNSB_9not_fun_tI7is_evenItEEEEEE10hipError_tPvRmT3_T4_T5_T6_T7_T9_mT8_P12ihipStream_tbDpT10_ENKUlT_T0_E_clISt17integral_constantIbLb0EES17_IbLb1EEEEDaS13_S14_EUlS13_E_NS1_11comp_targetILNS1_3genE5ELNS1_11target_archE942ELNS1_3gpuE9ELNS1_3repE0EEENS1_30default_config_static_selectorELNS0_4arch9wavefront6targetE0EEEvT1_
                                        ; -- End function
	.set _ZN7rocprim17ROCPRIM_400000_NS6detail17trampoline_kernelINS0_14default_configENS1_25partition_config_selectorILNS1_17partition_subalgoE6EtNS0_10empty_typeEbEEZZNS1_14partition_implILS5_6ELb0ES3_mN6thrust23THRUST_200600_302600_NS6detail15normal_iteratorINSA_10device_ptrItEEEEPS6_SG_NS0_5tupleIJSF_S6_EEENSH_IJSG_SG_EEES6_PlJNSB_9not_fun_tI7is_evenItEEEEEE10hipError_tPvRmT3_T4_T5_T6_T7_T9_mT8_P12ihipStream_tbDpT10_ENKUlT_T0_E_clISt17integral_constantIbLb0EES17_IbLb1EEEEDaS13_S14_EUlS13_E_NS1_11comp_targetILNS1_3genE5ELNS1_11target_archE942ELNS1_3gpuE9ELNS1_3repE0EEENS1_30default_config_static_selectorELNS0_4arch9wavefront6targetE0EEEvT1_.num_vgpr, 0
	.set _ZN7rocprim17ROCPRIM_400000_NS6detail17trampoline_kernelINS0_14default_configENS1_25partition_config_selectorILNS1_17partition_subalgoE6EtNS0_10empty_typeEbEEZZNS1_14partition_implILS5_6ELb0ES3_mN6thrust23THRUST_200600_302600_NS6detail15normal_iteratorINSA_10device_ptrItEEEEPS6_SG_NS0_5tupleIJSF_S6_EEENSH_IJSG_SG_EEES6_PlJNSB_9not_fun_tI7is_evenItEEEEEE10hipError_tPvRmT3_T4_T5_T6_T7_T9_mT8_P12ihipStream_tbDpT10_ENKUlT_T0_E_clISt17integral_constantIbLb0EES17_IbLb1EEEEDaS13_S14_EUlS13_E_NS1_11comp_targetILNS1_3genE5ELNS1_11target_archE942ELNS1_3gpuE9ELNS1_3repE0EEENS1_30default_config_static_selectorELNS0_4arch9wavefront6targetE0EEEvT1_.num_agpr, 0
	.set _ZN7rocprim17ROCPRIM_400000_NS6detail17trampoline_kernelINS0_14default_configENS1_25partition_config_selectorILNS1_17partition_subalgoE6EtNS0_10empty_typeEbEEZZNS1_14partition_implILS5_6ELb0ES3_mN6thrust23THRUST_200600_302600_NS6detail15normal_iteratorINSA_10device_ptrItEEEEPS6_SG_NS0_5tupleIJSF_S6_EEENSH_IJSG_SG_EEES6_PlJNSB_9not_fun_tI7is_evenItEEEEEE10hipError_tPvRmT3_T4_T5_T6_T7_T9_mT8_P12ihipStream_tbDpT10_ENKUlT_T0_E_clISt17integral_constantIbLb0EES17_IbLb1EEEEDaS13_S14_EUlS13_E_NS1_11comp_targetILNS1_3genE5ELNS1_11target_archE942ELNS1_3gpuE9ELNS1_3repE0EEENS1_30default_config_static_selectorELNS0_4arch9wavefront6targetE0EEEvT1_.numbered_sgpr, 0
	.set _ZN7rocprim17ROCPRIM_400000_NS6detail17trampoline_kernelINS0_14default_configENS1_25partition_config_selectorILNS1_17partition_subalgoE6EtNS0_10empty_typeEbEEZZNS1_14partition_implILS5_6ELb0ES3_mN6thrust23THRUST_200600_302600_NS6detail15normal_iteratorINSA_10device_ptrItEEEEPS6_SG_NS0_5tupleIJSF_S6_EEENSH_IJSG_SG_EEES6_PlJNSB_9not_fun_tI7is_evenItEEEEEE10hipError_tPvRmT3_T4_T5_T6_T7_T9_mT8_P12ihipStream_tbDpT10_ENKUlT_T0_E_clISt17integral_constantIbLb0EES17_IbLb1EEEEDaS13_S14_EUlS13_E_NS1_11comp_targetILNS1_3genE5ELNS1_11target_archE942ELNS1_3gpuE9ELNS1_3repE0EEENS1_30default_config_static_selectorELNS0_4arch9wavefront6targetE0EEEvT1_.num_named_barrier, 0
	.set _ZN7rocprim17ROCPRIM_400000_NS6detail17trampoline_kernelINS0_14default_configENS1_25partition_config_selectorILNS1_17partition_subalgoE6EtNS0_10empty_typeEbEEZZNS1_14partition_implILS5_6ELb0ES3_mN6thrust23THRUST_200600_302600_NS6detail15normal_iteratorINSA_10device_ptrItEEEEPS6_SG_NS0_5tupleIJSF_S6_EEENSH_IJSG_SG_EEES6_PlJNSB_9not_fun_tI7is_evenItEEEEEE10hipError_tPvRmT3_T4_T5_T6_T7_T9_mT8_P12ihipStream_tbDpT10_ENKUlT_T0_E_clISt17integral_constantIbLb0EES17_IbLb1EEEEDaS13_S14_EUlS13_E_NS1_11comp_targetILNS1_3genE5ELNS1_11target_archE942ELNS1_3gpuE9ELNS1_3repE0EEENS1_30default_config_static_selectorELNS0_4arch9wavefront6targetE0EEEvT1_.private_seg_size, 0
	.set _ZN7rocprim17ROCPRIM_400000_NS6detail17trampoline_kernelINS0_14default_configENS1_25partition_config_selectorILNS1_17partition_subalgoE6EtNS0_10empty_typeEbEEZZNS1_14partition_implILS5_6ELb0ES3_mN6thrust23THRUST_200600_302600_NS6detail15normal_iteratorINSA_10device_ptrItEEEEPS6_SG_NS0_5tupleIJSF_S6_EEENSH_IJSG_SG_EEES6_PlJNSB_9not_fun_tI7is_evenItEEEEEE10hipError_tPvRmT3_T4_T5_T6_T7_T9_mT8_P12ihipStream_tbDpT10_ENKUlT_T0_E_clISt17integral_constantIbLb0EES17_IbLb1EEEEDaS13_S14_EUlS13_E_NS1_11comp_targetILNS1_3genE5ELNS1_11target_archE942ELNS1_3gpuE9ELNS1_3repE0EEENS1_30default_config_static_selectorELNS0_4arch9wavefront6targetE0EEEvT1_.uses_vcc, 0
	.set _ZN7rocprim17ROCPRIM_400000_NS6detail17trampoline_kernelINS0_14default_configENS1_25partition_config_selectorILNS1_17partition_subalgoE6EtNS0_10empty_typeEbEEZZNS1_14partition_implILS5_6ELb0ES3_mN6thrust23THRUST_200600_302600_NS6detail15normal_iteratorINSA_10device_ptrItEEEEPS6_SG_NS0_5tupleIJSF_S6_EEENSH_IJSG_SG_EEES6_PlJNSB_9not_fun_tI7is_evenItEEEEEE10hipError_tPvRmT3_T4_T5_T6_T7_T9_mT8_P12ihipStream_tbDpT10_ENKUlT_T0_E_clISt17integral_constantIbLb0EES17_IbLb1EEEEDaS13_S14_EUlS13_E_NS1_11comp_targetILNS1_3genE5ELNS1_11target_archE942ELNS1_3gpuE9ELNS1_3repE0EEENS1_30default_config_static_selectorELNS0_4arch9wavefront6targetE0EEEvT1_.uses_flat_scratch, 0
	.set _ZN7rocprim17ROCPRIM_400000_NS6detail17trampoline_kernelINS0_14default_configENS1_25partition_config_selectorILNS1_17partition_subalgoE6EtNS0_10empty_typeEbEEZZNS1_14partition_implILS5_6ELb0ES3_mN6thrust23THRUST_200600_302600_NS6detail15normal_iteratorINSA_10device_ptrItEEEEPS6_SG_NS0_5tupleIJSF_S6_EEENSH_IJSG_SG_EEES6_PlJNSB_9not_fun_tI7is_evenItEEEEEE10hipError_tPvRmT3_T4_T5_T6_T7_T9_mT8_P12ihipStream_tbDpT10_ENKUlT_T0_E_clISt17integral_constantIbLb0EES17_IbLb1EEEEDaS13_S14_EUlS13_E_NS1_11comp_targetILNS1_3genE5ELNS1_11target_archE942ELNS1_3gpuE9ELNS1_3repE0EEENS1_30default_config_static_selectorELNS0_4arch9wavefront6targetE0EEEvT1_.has_dyn_sized_stack, 0
	.set _ZN7rocprim17ROCPRIM_400000_NS6detail17trampoline_kernelINS0_14default_configENS1_25partition_config_selectorILNS1_17partition_subalgoE6EtNS0_10empty_typeEbEEZZNS1_14partition_implILS5_6ELb0ES3_mN6thrust23THRUST_200600_302600_NS6detail15normal_iteratorINSA_10device_ptrItEEEEPS6_SG_NS0_5tupleIJSF_S6_EEENSH_IJSG_SG_EEES6_PlJNSB_9not_fun_tI7is_evenItEEEEEE10hipError_tPvRmT3_T4_T5_T6_T7_T9_mT8_P12ihipStream_tbDpT10_ENKUlT_T0_E_clISt17integral_constantIbLb0EES17_IbLb1EEEEDaS13_S14_EUlS13_E_NS1_11comp_targetILNS1_3genE5ELNS1_11target_archE942ELNS1_3gpuE9ELNS1_3repE0EEENS1_30default_config_static_selectorELNS0_4arch9wavefront6targetE0EEEvT1_.has_recursion, 0
	.set _ZN7rocprim17ROCPRIM_400000_NS6detail17trampoline_kernelINS0_14default_configENS1_25partition_config_selectorILNS1_17partition_subalgoE6EtNS0_10empty_typeEbEEZZNS1_14partition_implILS5_6ELb0ES3_mN6thrust23THRUST_200600_302600_NS6detail15normal_iteratorINSA_10device_ptrItEEEEPS6_SG_NS0_5tupleIJSF_S6_EEENSH_IJSG_SG_EEES6_PlJNSB_9not_fun_tI7is_evenItEEEEEE10hipError_tPvRmT3_T4_T5_T6_T7_T9_mT8_P12ihipStream_tbDpT10_ENKUlT_T0_E_clISt17integral_constantIbLb0EES17_IbLb1EEEEDaS13_S14_EUlS13_E_NS1_11comp_targetILNS1_3genE5ELNS1_11target_archE942ELNS1_3gpuE9ELNS1_3repE0EEENS1_30default_config_static_selectorELNS0_4arch9wavefront6targetE0EEEvT1_.has_indirect_call, 0
	.section	.AMDGPU.csdata,"",@progbits
; Kernel info:
; codeLenInByte = 0
; TotalNumSgprs: 0
; NumVgprs: 0
; ScratchSize: 0
; MemoryBound: 0
; FloatMode: 240
; IeeeMode: 1
; LDSByteSize: 0 bytes/workgroup (compile time only)
; SGPRBlocks: 0
; VGPRBlocks: 0
; NumSGPRsForWavesPerEU: 1
; NumVGPRsForWavesPerEU: 1
; Occupancy: 16
; WaveLimiterHint : 0
; COMPUTE_PGM_RSRC2:SCRATCH_EN: 0
; COMPUTE_PGM_RSRC2:USER_SGPR: 2
; COMPUTE_PGM_RSRC2:TRAP_HANDLER: 0
; COMPUTE_PGM_RSRC2:TGID_X_EN: 1
; COMPUTE_PGM_RSRC2:TGID_Y_EN: 0
; COMPUTE_PGM_RSRC2:TGID_Z_EN: 0
; COMPUTE_PGM_RSRC2:TIDIG_COMP_CNT: 0
	.section	.text._ZN7rocprim17ROCPRIM_400000_NS6detail17trampoline_kernelINS0_14default_configENS1_25partition_config_selectorILNS1_17partition_subalgoE6EtNS0_10empty_typeEbEEZZNS1_14partition_implILS5_6ELb0ES3_mN6thrust23THRUST_200600_302600_NS6detail15normal_iteratorINSA_10device_ptrItEEEEPS6_SG_NS0_5tupleIJSF_S6_EEENSH_IJSG_SG_EEES6_PlJNSB_9not_fun_tI7is_evenItEEEEEE10hipError_tPvRmT3_T4_T5_T6_T7_T9_mT8_P12ihipStream_tbDpT10_ENKUlT_T0_E_clISt17integral_constantIbLb0EES17_IbLb1EEEEDaS13_S14_EUlS13_E_NS1_11comp_targetILNS1_3genE4ELNS1_11target_archE910ELNS1_3gpuE8ELNS1_3repE0EEENS1_30default_config_static_selectorELNS0_4arch9wavefront6targetE0EEEvT1_,"axG",@progbits,_ZN7rocprim17ROCPRIM_400000_NS6detail17trampoline_kernelINS0_14default_configENS1_25partition_config_selectorILNS1_17partition_subalgoE6EtNS0_10empty_typeEbEEZZNS1_14partition_implILS5_6ELb0ES3_mN6thrust23THRUST_200600_302600_NS6detail15normal_iteratorINSA_10device_ptrItEEEEPS6_SG_NS0_5tupleIJSF_S6_EEENSH_IJSG_SG_EEES6_PlJNSB_9not_fun_tI7is_evenItEEEEEE10hipError_tPvRmT3_T4_T5_T6_T7_T9_mT8_P12ihipStream_tbDpT10_ENKUlT_T0_E_clISt17integral_constantIbLb0EES17_IbLb1EEEEDaS13_S14_EUlS13_E_NS1_11comp_targetILNS1_3genE4ELNS1_11target_archE910ELNS1_3gpuE8ELNS1_3repE0EEENS1_30default_config_static_selectorELNS0_4arch9wavefront6targetE0EEEvT1_,comdat
	.protected	_ZN7rocprim17ROCPRIM_400000_NS6detail17trampoline_kernelINS0_14default_configENS1_25partition_config_selectorILNS1_17partition_subalgoE6EtNS0_10empty_typeEbEEZZNS1_14partition_implILS5_6ELb0ES3_mN6thrust23THRUST_200600_302600_NS6detail15normal_iteratorINSA_10device_ptrItEEEEPS6_SG_NS0_5tupleIJSF_S6_EEENSH_IJSG_SG_EEES6_PlJNSB_9not_fun_tI7is_evenItEEEEEE10hipError_tPvRmT3_T4_T5_T6_T7_T9_mT8_P12ihipStream_tbDpT10_ENKUlT_T0_E_clISt17integral_constantIbLb0EES17_IbLb1EEEEDaS13_S14_EUlS13_E_NS1_11comp_targetILNS1_3genE4ELNS1_11target_archE910ELNS1_3gpuE8ELNS1_3repE0EEENS1_30default_config_static_selectorELNS0_4arch9wavefront6targetE0EEEvT1_ ; -- Begin function _ZN7rocprim17ROCPRIM_400000_NS6detail17trampoline_kernelINS0_14default_configENS1_25partition_config_selectorILNS1_17partition_subalgoE6EtNS0_10empty_typeEbEEZZNS1_14partition_implILS5_6ELb0ES3_mN6thrust23THRUST_200600_302600_NS6detail15normal_iteratorINSA_10device_ptrItEEEEPS6_SG_NS0_5tupleIJSF_S6_EEENSH_IJSG_SG_EEES6_PlJNSB_9not_fun_tI7is_evenItEEEEEE10hipError_tPvRmT3_T4_T5_T6_T7_T9_mT8_P12ihipStream_tbDpT10_ENKUlT_T0_E_clISt17integral_constantIbLb0EES17_IbLb1EEEEDaS13_S14_EUlS13_E_NS1_11comp_targetILNS1_3genE4ELNS1_11target_archE910ELNS1_3gpuE8ELNS1_3repE0EEENS1_30default_config_static_selectorELNS0_4arch9wavefront6targetE0EEEvT1_
	.globl	_ZN7rocprim17ROCPRIM_400000_NS6detail17trampoline_kernelINS0_14default_configENS1_25partition_config_selectorILNS1_17partition_subalgoE6EtNS0_10empty_typeEbEEZZNS1_14partition_implILS5_6ELb0ES3_mN6thrust23THRUST_200600_302600_NS6detail15normal_iteratorINSA_10device_ptrItEEEEPS6_SG_NS0_5tupleIJSF_S6_EEENSH_IJSG_SG_EEES6_PlJNSB_9not_fun_tI7is_evenItEEEEEE10hipError_tPvRmT3_T4_T5_T6_T7_T9_mT8_P12ihipStream_tbDpT10_ENKUlT_T0_E_clISt17integral_constantIbLb0EES17_IbLb1EEEEDaS13_S14_EUlS13_E_NS1_11comp_targetILNS1_3genE4ELNS1_11target_archE910ELNS1_3gpuE8ELNS1_3repE0EEENS1_30default_config_static_selectorELNS0_4arch9wavefront6targetE0EEEvT1_
	.p2align	8
	.type	_ZN7rocprim17ROCPRIM_400000_NS6detail17trampoline_kernelINS0_14default_configENS1_25partition_config_selectorILNS1_17partition_subalgoE6EtNS0_10empty_typeEbEEZZNS1_14partition_implILS5_6ELb0ES3_mN6thrust23THRUST_200600_302600_NS6detail15normal_iteratorINSA_10device_ptrItEEEEPS6_SG_NS0_5tupleIJSF_S6_EEENSH_IJSG_SG_EEES6_PlJNSB_9not_fun_tI7is_evenItEEEEEE10hipError_tPvRmT3_T4_T5_T6_T7_T9_mT8_P12ihipStream_tbDpT10_ENKUlT_T0_E_clISt17integral_constantIbLb0EES17_IbLb1EEEEDaS13_S14_EUlS13_E_NS1_11comp_targetILNS1_3genE4ELNS1_11target_archE910ELNS1_3gpuE8ELNS1_3repE0EEENS1_30default_config_static_selectorELNS0_4arch9wavefront6targetE0EEEvT1_,@function
_ZN7rocprim17ROCPRIM_400000_NS6detail17trampoline_kernelINS0_14default_configENS1_25partition_config_selectorILNS1_17partition_subalgoE6EtNS0_10empty_typeEbEEZZNS1_14partition_implILS5_6ELb0ES3_mN6thrust23THRUST_200600_302600_NS6detail15normal_iteratorINSA_10device_ptrItEEEEPS6_SG_NS0_5tupleIJSF_S6_EEENSH_IJSG_SG_EEES6_PlJNSB_9not_fun_tI7is_evenItEEEEEE10hipError_tPvRmT3_T4_T5_T6_T7_T9_mT8_P12ihipStream_tbDpT10_ENKUlT_T0_E_clISt17integral_constantIbLb0EES17_IbLb1EEEEDaS13_S14_EUlS13_E_NS1_11comp_targetILNS1_3genE4ELNS1_11target_archE910ELNS1_3gpuE8ELNS1_3repE0EEENS1_30default_config_static_selectorELNS0_4arch9wavefront6targetE0EEEvT1_: ; @_ZN7rocprim17ROCPRIM_400000_NS6detail17trampoline_kernelINS0_14default_configENS1_25partition_config_selectorILNS1_17partition_subalgoE6EtNS0_10empty_typeEbEEZZNS1_14partition_implILS5_6ELb0ES3_mN6thrust23THRUST_200600_302600_NS6detail15normal_iteratorINSA_10device_ptrItEEEEPS6_SG_NS0_5tupleIJSF_S6_EEENSH_IJSG_SG_EEES6_PlJNSB_9not_fun_tI7is_evenItEEEEEE10hipError_tPvRmT3_T4_T5_T6_T7_T9_mT8_P12ihipStream_tbDpT10_ENKUlT_T0_E_clISt17integral_constantIbLb0EES17_IbLb1EEEEDaS13_S14_EUlS13_E_NS1_11comp_targetILNS1_3genE4ELNS1_11target_archE910ELNS1_3gpuE8ELNS1_3repE0EEENS1_30default_config_static_selectorELNS0_4arch9wavefront6targetE0EEEvT1_
; %bb.0:
	.section	.rodata,"a",@progbits
	.p2align	6, 0x0
	.amdhsa_kernel _ZN7rocprim17ROCPRIM_400000_NS6detail17trampoline_kernelINS0_14default_configENS1_25partition_config_selectorILNS1_17partition_subalgoE6EtNS0_10empty_typeEbEEZZNS1_14partition_implILS5_6ELb0ES3_mN6thrust23THRUST_200600_302600_NS6detail15normal_iteratorINSA_10device_ptrItEEEEPS6_SG_NS0_5tupleIJSF_S6_EEENSH_IJSG_SG_EEES6_PlJNSB_9not_fun_tI7is_evenItEEEEEE10hipError_tPvRmT3_T4_T5_T6_T7_T9_mT8_P12ihipStream_tbDpT10_ENKUlT_T0_E_clISt17integral_constantIbLb0EES17_IbLb1EEEEDaS13_S14_EUlS13_E_NS1_11comp_targetILNS1_3genE4ELNS1_11target_archE910ELNS1_3gpuE8ELNS1_3repE0EEENS1_30default_config_static_selectorELNS0_4arch9wavefront6targetE0EEEvT1_
		.amdhsa_group_segment_fixed_size 0
		.amdhsa_private_segment_fixed_size 0
		.amdhsa_kernarg_size 128
		.amdhsa_user_sgpr_count 2
		.amdhsa_user_sgpr_dispatch_ptr 0
		.amdhsa_user_sgpr_queue_ptr 0
		.amdhsa_user_sgpr_kernarg_segment_ptr 1
		.amdhsa_user_sgpr_dispatch_id 0
		.amdhsa_user_sgpr_private_segment_size 0
		.amdhsa_wavefront_size32 1
		.amdhsa_uses_dynamic_stack 0
		.amdhsa_enable_private_segment 0
		.amdhsa_system_sgpr_workgroup_id_x 1
		.amdhsa_system_sgpr_workgroup_id_y 0
		.amdhsa_system_sgpr_workgroup_id_z 0
		.amdhsa_system_sgpr_workgroup_info 0
		.amdhsa_system_vgpr_workitem_id 0
		.amdhsa_next_free_vgpr 1
		.amdhsa_next_free_sgpr 1
		.amdhsa_reserve_vcc 0
		.amdhsa_float_round_mode_32 0
		.amdhsa_float_round_mode_16_64 0
		.amdhsa_float_denorm_mode_32 3
		.amdhsa_float_denorm_mode_16_64 3
		.amdhsa_fp16_overflow 0
		.amdhsa_workgroup_processor_mode 1
		.amdhsa_memory_ordered 1
		.amdhsa_forward_progress 1
		.amdhsa_inst_pref_size 0
		.amdhsa_round_robin_scheduling 0
		.amdhsa_exception_fp_ieee_invalid_op 0
		.amdhsa_exception_fp_denorm_src 0
		.amdhsa_exception_fp_ieee_div_zero 0
		.amdhsa_exception_fp_ieee_overflow 0
		.amdhsa_exception_fp_ieee_underflow 0
		.amdhsa_exception_fp_ieee_inexact 0
		.amdhsa_exception_int_div_zero 0
	.end_amdhsa_kernel
	.section	.text._ZN7rocprim17ROCPRIM_400000_NS6detail17trampoline_kernelINS0_14default_configENS1_25partition_config_selectorILNS1_17partition_subalgoE6EtNS0_10empty_typeEbEEZZNS1_14partition_implILS5_6ELb0ES3_mN6thrust23THRUST_200600_302600_NS6detail15normal_iteratorINSA_10device_ptrItEEEEPS6_SG_NS0_5tupleIJSF_S6_EEENSH_IJSG_SG_EEES6_PlJNSB_9not_fun_tI7is_evenItEEEEEE10hipError_tPvRmT3_T4_T5_T6_T7_T9_mT8_P12ihipStream_tbDpT10_ENKUlT_T0_E_clISt17integral_constantIbLb0EES17_IbLb1EEEEDaS13_S14_EUlS13_E_NS1_11comp_targetILNS1_3genE4ELNS1_11target_archE910ELNS1_3gpuE8ELNS1_3repE0EEENS1_30default_config_static_selectorELNS0_4arch9wavefront6targetE0EEEvT1_,"axG",@progbits,_ZN7rocprim17ROCPRIM_400000_NS6detail17trampoline_kernelINS0_14default_configENS1_25partition_config_selectorILNS1_17partition_subalgoE6EtNS0_10empty_typeEbEEZZNS1_14partition_implILS5_6ELb0ES3_mN6thrust23THRUST_200600_302600_NS6detail15normal_iteratorINSA_10device_ptrItEEEEPS6_SG_NS0_5tupleIJSF_S6_EEENSH_IJSG_SG_EEES6_PlJNSB_9not_fun_tI7is_evenItEEEEEE10hipError_tPvRmT3_T4_T5_T6_T7_T9_mT8_P12ihipStream_tbDpT10_ENKUlT_T0_E_clISt17integral_constantIbLb0EES17_IbLb1EEEEDaS13_S14_EUlS13_E_NS1_11comp_targetILNS1_3genE4ELNS1_11target_archE910ELNS1_3gpuE8ELNS1_3repE0EEENS1_30default_config_static_selectorELNS0_4arch9wavefront6targetE0EEEvT1_,comdat
.Lfunc_end687:
	.size	_ZN7rocprim17ROCPRIM_400000_NS6detail17trampoline_kernelINS0_14default_configENS1_25partition_config_selectorILNS1_17partition_subalgoE6EtNS0_10empty_typeEbEEZZNS1_14partition_implILS5_6ELb0ES3_mN6thrust23THRUST_200600_302600_NS6detail15normal_iteratorINSA_10device_ptrItEEEEPS6_SG_NS0_5tupleIJSF_S6_EEENSH_IJSG_SG_EEES6_PlJNSB_9not_fun_tI7is_evenItEEEEEE10hipError_tPvRmT3_T4_T5_T6_T7_T9_mT8_P12ihipStream_tbDpT10_ENKUlT_T0_E_clISt17integral_constantIbLb0EES17_IbLb1EEEEDaS13_S14_EUlS13_E_NS1_11comp_targetILNS1_3genE4ELNS1_11target_archE910ELNS1_3gpuE8ELNS1_3repE0EEENS1_30default_config_static_selectorELNS0_4arch9wavefront6targetE0EEEvT1_, .Lfunc_end687-_ZN7rocprim17ROCPRIM_400000_NS6detail17trampoline_kernelINS0_14default_configENS1_25partition_config_selectorILNS1_17partition_subalgoE6EtNS0_10empty_typeEbEEZZNS1_14partition_implILS5_6ELb0ES3_mN6thrust23THRUST_200600_302600_NS6detail15normal_iteratorINSA_10device_ptrItEEEEPS6_SG_NS0_5tupleIJSF_S6_EEENSH_IJSG_SG_EEES6_PlJNSB_9not_fun_tI7is_evenItEEEEEE10hipError_tPvRmT3_T4_T5_T6_T7_T9_mT8_P12ihipStream_tbDpT10_ENKUlT_T0_E_clISt17integral_constantIbLb0EES17_IbLb1EEEEDaS13_S14_EUlS13_E_NS1_11comp_targetILNS1_3genE4ELNS1_11target_archE910ELNS1_3gpuE8ELNS1_3repE0EEENS1_30default_config_static_selectorELNS0_4arch9wavefront6targetE0EEEvT1_
                                        ; -- End function
	.set _ZN7rocprim17ROCPRIM_400000_NS6detail17trampoline_kernelINS0_14default_configENS1_25partition_config_selectorILNS1_17partition_subalgoE6EtNS0_10empty_typeEbEEZZNS1_14partition_implILS5_6ELb0ES3_mN6thrust23THRUST_200600_302600_NS6detail15normal_iteratorINSA_10device_ptrItEEEEPS6_SG_NS0_5tupleIJSF_S6_EEENSH_IJSG_SG_EEES6_PlJNSB_9not_fun_tI7is_evenItEEEEEE10hipError_tPvRmT3_T4_T5_T6_T7_T9_mT8_P12ihipStream_tbDpT10_ENKUlT_T0_E_clISt17integral_constantIbLb0EES17_IbLb1EEEEDaS13_S14_EUlS13_E_NS1_11comp_targetILNS1_3genE4ELNS1_11target_archE910ELNS1_3gpuE8ELNS1_3repE0EEENS1_30default_config_static_selectorELNS0_4arch9wavefront6targetE0EEEvT1_.num_vgpr, 0
	.set _ZN7rocprim17ROCPRIM_400000_NS6detail17trampoline_kernelINS0_14default_configENS1_25partition_config_selectorILNS1_17partition_subalgoE6EtNS0_10empty_typeEbEEZZNS1_14partition_implILS5_6ELb0ES3_mN6thrust23THRUST_200600_302600_NS6detail15normal_iteratorINSA_10device_ptrItEEEEPS6_SG_NS0_5tupleIJSF_S6_EEENSH_IJSG_SG_EEES6_PlJNSB_9not_fun_tI7is_evenItEEEEEE10hipError_tPvRmT3_T4_T5_T6_T7_T9_mT8_P12ihipStream_tbDpT10_ENKUlT_T0_E_clISt17integral_constantIbLb0EES17_IbLb1EEEEDaS13_S14_EUlS13_E_NS1_11comp_targetILNS1_3genE4ELNS1_11target_archE910ELNS1_3gpuE8ELNS1_3repE0EEENS1_30default_config_static_selectorELNS0_4arch9wavefront6targetE0EEEvT1_.num_agpr, 0
	.set _ZN7rocprim17ROCPRIM_400000_NS6detail17trampoline_kernelINS0_14default_configENS1_25partition_config_selectorILNS1_17partition_subalgoE6EtNS0_10empty_typeEbEEZZNS1_14partition_implILS5_6ELb0ES3_mN6thrust23THRUST_200600_302600_NS6detail15normal_iteratorINSA_10device_ptrItEEEEPS6_SG_NS0_5tupleIJSF_S6_EEENSH_IJSG_SG_EEES6_PlJNSB_9not_fun_tI7is_evenItEEEEEE10hipError_tPvRmT3_T4_T5_T6_T7_T9_mT8_P12ihipStream_tbDpT10_ENKUlT_T0_E_clISt17integral_constantIbLb0EES17_IbLb1EEEEDaS13_S14_EUlS13_E_NS1_11comp_targetILNS1_3genE4ELNS1_11target_archE910ELNS1_3gpuE8ELNS1_3repE0EEENS1_30default_config_static_selectorELNS0_4arch9wavefront6targetE0EEEvT1_.numbered_sgpr, 0
	.set _ZN7rocprim17ROCPRIM_400000_NS6detail17trampoline_kernelINS0_14default_configENS1_25partition_config_selectorILNS1_17partition_subalgoE6EtNS0_10empty_typeEbEEZZNS1_14partition_implILS5_6ELb0ES3_mN6thrust23THRUST_200600_302600_NS6detail15normal_iteratorINSA_10device_ptrItEEEEPS6_SG_NS0_5tupleIJSF_S6_EEENSH_IJSG_SG_EEES6_PlJNSB_9not_fun_tI7is_evenItEEEEEE10hipError_tPvRmT3_T4_T5_T6_T7_T9_mT8_P12ihipStream_tbDpT10_ENKUlT_T0_E_clISt17integral_constantIbLb0EES17_IbLb1EEEEDaS13_S14_EUlS13_E_NS1_11comp_targetILNS1_3genE4ELNS1_11target_archE910ELNS1_3gpuE8ELNS1_3repE0EEENS1_30default_config_static_selectorELNS0_4arch9wavefront6targetE0EEEvT1_.num_named_barrier, 0
	.set _ZN7rocprim17ROCPRIM_400000_NS6detail17trampoline_kernelINS0_14default_configENS1_25partition_config_selectorILNS1_17partition_subalgoE6EtNS0_10empty_typeEbEEZZNS1_14partition_implILS5_6ELb0ES3_mN6thrust23THRUST_200600_302600_NS6detail15normal_iteratorINSA_10device_ptrItEEEEPS6_SG_NS0_5tupleIJSF_S6_EEENSH_IJSG_SG_EEES6_PlJNSB_9not_fun_tI7is_evenItEEEEEE10hipError_tPvRmT3_T4_T5_T6_T7_T9_mT8_P12ihipStream_tbDpT10_ENKUlT_T0_E_clISt17integral_constantIbLb0EES17_IbLb1EEEEDaS13_S14_EUlS13_E_NS1_11comp_targetILNS1_3genE4ELNS1_11target_archE910ELNS1_3gpuE8ELNS1_3repE0EEENS1_30default_config_static_selectorELNS0_4arch9wavefront6targetE0EEEvT1_.private_seg_size, 0
	.set _ZN7rocprim17ROCPRIM_400000_NS6detail17trampoline_kernelINS0_14default_configENS1_25partition_config_selectorILNS1_17partition_subalgoE6EtNS0_10empty_typeEbEEZZNS1_14partition_implILS5_6ELb0ES3_mN6thrust23THRUST_200600_302600_NS6detail15normal_iteratorINSA_10device_ptrItEEEEPS6_SG_NS0_5tupleIJSF_S6_EEENSH_IJSG_SG_EEES6_PlJNSB_9not_fun_tI7is_evenItEEEEEE10hipError_tPvRmT3_T4_T5_T6_T7_T9_mT8_P12ihipStream_tbDpT10_ENKUlT_T0_E_clISt17integral_constantIbLb0EES17_IbLb1EEEEDaS13_S14_EUlS13_E_NS1_11comp_targetILNS1_3genE4ELNS1_11target_archE910ELNS1_3gpuE8ELNS1_3repE0EEENS1_30default_config_static_selectorELNS0_4arch9wavefront6targetE0EEEvT1_.uses_vcc, 0
	.set _ZN7rocprim17ROCPRIM_400000_NS6detail17trampoline_kernelINS0_14default_configENS1_25partition_config_selectorILNS1_17partition_subalgoE6EtNS0_10empty_typeEbEEZZNS1_14partition_implILS5_6ELb0ES3_mN6thrust23THRUST_200600_302600_NS6detail15normal_iteratorINSA_10device_ptrItEEEEPS6_SG_NS0_5tupleIJSF_S6_EEENSH_IJSG_SG_EEES6_PlJNSB_9not_fun_tI7is_evenItEEEEEE10hipError_tPvRmT3_T4_T5_T6_T7_T9_mT8_P12ihipStream_tbDpT10_ENKUlT_T0_E_clISt17integral_constantIbLb0EES17_IbLb1EEEEDaS13_S14_EUlS13_E_NS1_11comp_targetILNS1_3genE4ELNS1_11target_archE910ELNS1_3gpuE8ELNS1_3repE0EEENS1_30default_config_static_selectorELNS0_4arch9wavefront6targetE0EEEvT1_.uses_flat_scratch, 0
	.set _ZN7rocprim17ROCPRIM_400000_NS6detail17trampoline_kernelINS0_14default_configENS1_25partition_config_selectorILNS1_17partition_subalgoE6EtNS0_10empty_typeEbEEZZNS1_14partition_implILS5_6ELb0ES3_mN6thrust23THRUST_200600_302600_NS6detail15normal_iteratorINSA_10device_ptrItEEEEPS6_SG_NS0_5tupleIJSF_S6_EEENSH_IJSG_SG_EEES6_PlJNSB_9not_fun_tI7is_evenItEEEEEE10hipError_tPvRmT3_T4_T5_T6_T7_T9_mT8_P12ihipStream_tbDpT10_ENKUlT_T0_E_clISt17integral_constantIbLb0EES17_IbLb1EEEEDaS13_S14_EUlS13_E_NS1_11comp_targetILNS1_3genE4ELNS1_11target_archE910ELNS1_3gpuE8ELNS1_3repE0EEENS1_30default_config_static_selectorELNS0_4arch9wavefront6targetE0EEEvT1_.has_dyn_sized_stack, 0
	.set _ZN7rocprim17ROCPRIM_400000_NS6detail17trampoline_kernelINS0_14default_configENS1_25partition_config_selectorILNS1_17partition_subalgoE6EtNS0_10empty_typeEbEEZZNS1_14partition_implILS5_6ELb0ES3_mN6thrust23THRUST_200600_302600_NS6detail15normal_iteratorINSA_10device_ptrItEEEEPS6_SG_NS0_5tupleIJSF_S6_EEENSH_IJSG_SG_EEES6_PlJNSB_9not_fun_tI7is_evenItEEEEEE10hipError_tPvRmT3_T4_T5_T6_T7_T9_mT8_P12ihipStream_tbDpT10_ENKUlT_T0_E_clISt17integral_constantIbLb0EES17_IbLb1EEEEDaS13_S14_EUlS13_E_NS1_11comp_targetILNS1_3genE4ELNS1_11target_archE910ELNS1_3gpuE8ELNS1_3repE0EEENS1_30default_config_static_selectorELNS0_4arch9wavefront6targetE0EEEvT1_.has_recursion, 0
	.set _ZN7rocprim17ROCPRIM_400000_NS6detail17trampoline_kernelINS0_14default_configENS1_25partition_config_selectorILNS1_17partition_subalgoE6EtNS0_10empty_typeEbEEZZNS1_14partition_implILS5_6ELb0ES3_mN6thrust23THRUST_200600_302600_NS6detail15normal_iteratorINSA_10device_ptrItEEEEPS6_SG_NS0_5tupleIJSF_S6_EEENSH_IJSG_SG_EEES6_PlJNSB_9not_fun_tI7is_evenItEEEEEE10hipError_tPvRmT3_T4_T5_T6_T7_T9_mT8_P12ihipStream_tbDpT10_ENKUlT_T0_E_clISt17integral_constantIbLb0EES17_IbLb1EEEEDaS13_S14_EUlS13_E_NS1_11comp_targetILNS1_3genE4ELNS1_11target_archE910ELNS1_3gpuE8ELNS1_3repE0EEENS1_30default_config_static_selectorELNS0_4arch9wavefront6targetE0EEEvT1_.has_indirect_call, 0
	.section	.AMDGPU.csdata,"",@progbits
; Kernel info:
; codeLenInByte = 0
; TotalNumSgprs: 0
; NumVgprs: 0
; ScratchSize: 0
; MemoryBound: 0
; FloatMode: 240
; IeeeMode: 1
; LDSByteSize: 0 bytes/workgroup (compile time only)
; SGPRBlocks: 0
; VGPRBlocks: 0
; NumSGPRsForWavesPerEU: 1
; NumVGPRsForWavesPerEU: 1
; Occupancy: 16
; WaveLimiterHint : 0
; COMPUTE_PGM_RSRC2:SCRATCH_EN: 0
; COMPUTE_PGM_RSRC2:USER_SGPR: 2
; COMPUTE_PGM_RSRC2:TRAP_HANDLER: 0
; COMPUTE_PGM_RSRC2:TGID_X_EN: 1
; COMPUTE_PGM_RSRC2:TGID_Y_EN: 0
; COMPUTE_PGM_RSRC2:TGID_Z_EN: 0
; COMPUTE_PGM_RSRC2:TIDIG_COMP_CNT: 0
	.section	.text._ZN7rocprim17ROCPRIM_400000_NS6detail17trampoline_kernelINS0_14default_configENS1_25partition_config_selectorILNS1_17partition_subalgoE6EtNS0_10empty_typeEbEEZZNS1_14partition_implILS5_6ELb0ES3_mN6thrust23THRUST_200600_302600_NS6detail15normal_iteratorINSA_10device_ptrItEEEEPS6_SG_NS0_5tupleIJSF_S6_EEENSH_IJSG_SG_EEES6_PlJNSB_9not_fun_tI7is_evenItEEEEEE10hipError_tPvRmT3_T4_T5_T6_T7_T9_mT8_P12ihipStream_tbDpT10_ENKUlT_T0_E_clISt17integral_constantIbLb0EES17_IbLb1EEEEDaS13_S14_EUlS13_E_NS1_11comp_targetILNS1_3genE3ELNS1_11target_archE908ELNS1_3gpuE7ELNS1_3repE0EEENS1_30default_config_static_selectorELNS0_4arch9wavefront6targetE0EEEvT1_,"axG",@progbits,_ZN7rocprim17ROCPRIM_400000_NS6detail17trampoline_kernelINS0_14default_configENS1_25partition_config_selectorILNS1_17partition_subalgoE6EtNS0_10empty_typeEbEEZZNS1_14partition_implILS5_6ELb0ES3_mN6thrust23THRUST_200600_302600_NS6detail15normal_iteratorINSA_10device_ptrItEEEEPS6_SG_NS0_5tupleIJSF_S6_EEENSH_IJSG_SG_EEES6_PlJNSB_9not_fun_tI7is_evenItEEEEEE10hipError_tPvRmT3_T4_T5_T6_T7_T9_mT8_P12ihipStream_tbDpT10_ENKUlT_T0_E_clISt17integral_constantIbLb0EES17_IbLb1EEEEDaS13_S14_EUlS13_E_NS1_11comp_targetILNS1_3genE3ELNS1_11target_archE908ELNS1_3gpuE7ELNS1_3repE0EEENS1_30default_config_static_selectorELNS0_4arch9wavefront6targetE0EEEvT1_,comdat
	.protected	_ZN7rocprim17ROCPRIM_400000_NS6detail17trampoline_kernelINS0_14default_configENS1_25partition_config_selectorILNS1_17partition_subalgoE6EtNS0_10empty_typeEbEEZZNS1_14partition_implILS5_6ELb0ES3_mN6thrust23THRUST_200600_302600_NS6detail15normal_iteratorINSA_10device_ptrItEEEEPS6_SG_NS0_5tupleIJSF_S6_EEENSH_IJSG_SG_EEES6_PlJNSB_9not_fun_tI7is_evenItEEEEEE10hipError_tPvRmT3_T4_T5_T6_T7_T9_mT8_P12ihipStream_tbDpT10_ENKUlT_T0_E_clISt17integral_constantIbLb0EES17_IbLb1EEEEDaS13_S14_EUlS13_E_NS1_11comp_targetILNS1_3genE3ELNS1_11target_archE908ELNS1_3gpuE7ELNS1_3repE0EEENS1_30default_config_static_selectorELNS0_4arch9wavefront6targetE0EEEvT1_ ; -- Begin function _ZN7rocprim17ROCPRIM_400000_NS6detail17trampoline_kernelINS0_14default_configENS1_25partition_config_selectorILNS1_17partition_subalgoE6EtNS0_10empty_typeEbEEZZNS1_14partition_implILS5_6ELb0ES3_mN6thrust23THRUST_200600_302600_NS6detail15normal_iteratorINSA_10device_ptrItEEEEPS6_SG_NS0_5tupleIJSF_S6_EEENSH_IJSG_SG_EEES6_PlJNSB_9not_fun_tI7is_evenItEEEEEE10hipError_tPvRmT3_T4_T5_T6_T7_T9_mT8_P12ihipStream_tbDpT10_ENKUlT_T0_E_clISt17integral_constantIbLb0EES17_IbLb1EEEEDaS13_S14_EUlS13_E_NS1_11comp_targetILNS1_3genE3ELNS1_11target_archE908ELNS1_3gpuE7ELNS1_3repE0EEENS1_30default_config_static_selectorELNS0_4arch9wavefront6targetE0EEEvT1_
	.globl	_ZN7rocprim17ROCPRIM_400000_NS6detail17trampoline_kernelINS0_14default_configENS1_25partition_config_selectorILNS1_17partition_subalgoE6EtNS0_10empty_typeEbEEZZNS1_14partition_implILS5_6ELb0ES3_mN6thrust23THRUST_200600_302600_NS6detail15normal_iteratorINSA_10device_ptrItEEEEPS6_SG_NS0_5tupleIJSF_S6_EEENSH_IJSG_SG_EEES6_PlJNSB_9not_fun_tI7is_evenItEEEEEE10hipError_tPvRmT3_T4_T5_T6_T7_T9_mT8_P12ihipStream_tbDpT10_ENKUlT_T0_E_clISt17integral_constantIbLb0EES17_IbLb1EEEEDaS13_S14_EUlS13_E_NS1_11comp_targetILNS1_3genE3ELNS1_11target_archE908ELNS1_3gpuE7ELNS1_3repE0EEENS1_30default_config_static_selectorELNS0_4arch9wavefront6targetE0EEEvT1_
	.p2align	8
	.type	_ZN7rocprim17ROCPRIM_400000_NS6detail17trampoline_kernelINS0_14default_configENS1_25partition_config_selectorILNS1_17partition_subalgoE6EtNS0_10empty_typeEbEEZZNS1_14partition_implILS5_6ELb0ES3_mN6thrust23THRUST_200600_302600_NS6detail15normal_iteratorINSA_10device_ptrItEEEEPS6_SG_NS0_5tupleIJSF_S6_EEENSH_IJSG_SG_EEES6_PlJNSB_9not_fun_tI7is_evenItEEEEEE10hipError_tPvRmT3_T4_T5_T6_T7_T9_mT8_P12ihipStream_tbDpT10_ENKUlT_T0_E_clISt17integral_constantIbLb0EES17_IbLb1EEEEDaS13_S14_EUlS13_E_NS1_11comp_targetILNS1_3genE3ELNS1_11target_archE908ELNS1_3gpuE7ELNS1_3repE0EEENS1_30default_config_static_selectorELNS0_4arch9wavefront6targetE0EEEvT1_,@function
_ZN7rocprim17ROCPRIM_400000_NS6detail17trampoline_kernelINS0_14default_configENS1_25partition_config_selectorILNS1_17partition_subalgoE6EtNS0_10empty_typeEbEEZZNS1_14partition_implILS5_6ELb0ES3_mN6thrust23THRUST_200600_302600_NS6detail15normal_iteratorINSA_10device_ptrItEEEEPS6_SG_NS0_5tupleIJSF_S6_EEENSH_IJSG_SG_EEES6_PlJNSB_9not_fun_tI7is_evenItEEEEEE10hipError_tPvRmT3_T4_T5_T6_T7_T9_mT8_P12ihipStream_tbDpT10_ENKUlT_T0_E_clISt17integral_constantIbLb0EES17_IbLb1EEEEDaS13_S14_EUlS13_E_NS1_11comp_targetILNS1_3genE3ELNS1_11target_archE908ELNS1_3gpuE7ELNS1_3repE0EEENS1_30default_config_static_selectorELNS0_4arch9wavefront6targetE0EEEvT1_: ; @_ZN7rocprim17ROCPRIM_400000_NS6detail17trampoline_kernelINS0_14default_configENS1_25partition_config_selectorILNS1_17partition_subalgoE6EtNS0_10empty_typeEbEEZZNS1_14partition_implILS5_6ELb0ES3_mN6thrust23THRUST_200600_302600_NS6detail15normal_iteratorINSA_10device_ptrItEEEEPS6_SG_NS0_5tupleIJSF_S6_EEENSH_IJSG_SG_EEES6_PlJNSB_9not_fun_tI7is_evenItEEEEEE10hipError_tPvRmT3_T4_T5_T6_T7_T9_mT8_P12ihipStream_tbDpT10_ENKUlT_T0_E_clISt17integral_constantIbLb0EES17_IbLb1EEEEDaS13_S14_EUlS13_E_NS1_11comp_targetILNS1_3genE3ELNS1_11target_archE908ELNS1_3gpuE7ELNS1_3repE0EEENS1_30default_config_static_selectorELNS0_4arch9wavefront6targetE0EEEvT1_
; %bb.0:
	.section	.rodata,"a",@progbits
	.p2align	6, 0x0
	.amdhsa_kernel _ZN7rocprim17ROCPRIM_400000_NS6detail17trampoline_kernelINS0_14default_configENS1_25partition_config_selectorILNS1_17partition_subalgoE6EtNS0_10empty_typeEbEEZZNS1_14partition_implILS5_6ELb0ES3_mN6thrust23THRUST_200600_302600_NS6detail15normal_iteratorINSA_10device_ptrItEEEEPS6_SG_NS0_5tupleIJSF_S6_EEENSH_IJSG_SG_EEES6_PlJNSB_9not_fun_tI7is_evenItEEEEEE10hipError_tPvRmT3_T4_T5_T6_T7_T9_mT8_P12ihipStream_tbDpT10_ENKUlT_T0_E_clISt17integral_constantIbLb0EES17_IbLb1EEEEDaS13_S14_EUlS13_E_NS1_11comp_targetILNS1_3genE3ELNS1_11target_archE908ELNS1_3gpuE7ELNS1_3repE0EEENS1_30default_config_static_selectorELNS0_4arch9wavefront6targetE0EEEvT1_
		.amdhsa_group_segment_fixed_size 0
		.amdhsa_private_segment_fixed_size 0
		.amdhsa_kernarg_size 128
		.amdhsa_user_sgpr_count 2
		.amdhsa_user_sgpr_dispatch_ptr 0
		.amdhsa_user_sgpr_queue_ptr 0
		.amdhsa_user_sgpr_kernarg_segment_ptr 1
		.amdhsa_user_sgpr_dispatch_id 0
		.amdhsa_user_sgpr_private_segment_size 0
		.amdhsa_wavefront_size32 1
		.amdhsa_uses_dynamic_stack 0
		.amdhsa_enable_private_segment 0
		.amdhsa_system_sgpr_workgroup_id_x 1
		.amdhsa_system_sgpr_workgroup_id_y 0
		.amdhsa_system_sgpr_workgroup_id_z 0
		.amdhsa_system_sgpr_workgroup_info 0
		.amdhsa_system_vgpr_workitem_id 0
		.amdhsa_next_free_vgpr 1
		.amdhsa_next_free_sgpr 1
		.amdhsa_reserve_vcc 0
		.amdhsa_float_round_mode_32 0
		.amdhsa_float_round_mode_16_64 0
		.amdhsa_float_denorm_mode_32 3
		.amdhsa_float_denorm_mode_16_64 3
		.amdhsa_fp16_overflow 0
		.amdhsa_workgroup_processor_mode 1
		.amdhsa_memory_ordered 1
		.amdhsa_forward_progress 1
		.amdhsa_inst_pref_size 0
		.amdhsa_round_robin_scheduling 0
		.amdhsa_exception_fp_ieee_invalid_op 0
		.amdhsa_exception_fp_denorm_src 0
		.amdhsa_exception_fp_ieee_div_zero 0
		.amdhsa_exception_fp_ieee_overflow 0
		.amdhsa_exception_fp_ieee_underflow 0
		.amdhsa_exception_fp_ieee_inexact 0
		.amdhsa_exception_int_div_zero 0
	.end_amdhsa_kernel
	.section	.text._ZN7rocprim17ROCPRIM_400000_NS6detail17trampoline_kernelINS0_14default_configENS1_25partition_config_selectorILNS1_17partition_subalgoE6EtNS0_10empty_typeEbEEZZNS1_14partition_implILS5_6ELb0ES3_mN6thrust23THRUST_200600_302600_NS6detail15normal_iteratorINSA_10device_ptrItEEEEPS6_SG_NS0_5tupleIJSF_S6_EEENSH_IJSG_SG_EEES6_PlJNSB_9not_fun_tI7is_evenItEEEEEE10hipError_tPvRmT3_T4_T5_T6_T7_T9_mT8_P12ihipStream_tbDpT10_ENKUlT_T0_E_clISt17integral_constantIbLb0EES17_IbLb1EEEEDaS13_S14_EUlS13_E_NS1_11comp_targetILNS1_3genE3ELNS1_11target_archE908ELNS1_3gpuE7ELNS1_3repE0EEENS1_30default_config_static_selectorELNS0_4arch9wavefront6targetE0EEEvT1_,"axG",@progbits,_ZN7rocprim17ROCPRIM_400000_NS6detail17trampoline_kernelINS0_14default_configENS1_25partition_config_selectorILNS1_17partition_subalgoE6EtNS0_10empty_typeEbEEZZNS1_14partition_implILS5_6ELb0ES3_mN6thrust23THRUST_200600_302600_NS6detail15normal_iteratorINSA_10device_ptrItEEEEPS6_SG_NS0_5tupleIJSF_S6_EEENSH_IJSG_SG_EEES6_PlJNSB_9not_fun_tI7is_evenItEEEEEE10hipError_tPvRmT3_T4_T5_T6_T7_T9_mT8_P12ihipStream_tbDpT10_ENKUlT_T0_E_clISt17integral_constantIbLb0EES17_IbLb1EEEEDaS13_S14_EUlS13_E_NS1_11comp_targetILNS1_3genE3ELNS1_11target_archE908ELNS1_3gpuE7ELNS1_3repE0EEENS1_30default_config_static_selectorELNS0_4arch9wavefront6targetE0EEEvT1_,comdat
.Lfunc_end688:
	.size	_ZN7rocprim17ROCPRIM_400000_NS6detail17trampoline_kernelINS0_14default_configENS1_25partition_config_selectorILNS1_17partition_subalgoE6EtNS0_10empty_typeEbEEZZNS1_14partition_implILS5_6ELb0ES3_mN6thrust23THRUST_200600_302600_NS6detail15normal_iteratorINSA_10device_ptrItEEEEPS6_SG_NS0_5tupleIJSF_S6_EEENSH_IJSG_SG_EEES6_PlJNSB_9not_fun_tI7is_evenItEEEEEE10hipError_tPvRmT3_T4_T5_T6_T7_T9_mT8_P12ihipStream_tbDpT10_ENKUlT_T0_E_clISt17integral_constantIbLb0EES17_IbLb1EEEEDaS13_S14_EUlS13_E_NS1_11comp_targetILNS1_3genE3ELNS1_11target_archE908ELNS1_3gpuE7ELNS1_3repE0EEENS1_30default_config_static_selectorELNS0_4arch9wavefront6targetE0EEEvT1_, .Lfunc_end688-_ZN7rocprim17ROCPRIM_400000_NS6detail17trampoline_kernelINS0_14default_configENS1_25partition_config_selectorILNS1_17partition_subalgoE6EtNS0_10empty_typeEbEEZZNS1_14partition_implILS5_6ELb0ES3_mN6thrust23THRUST_200600_302600_NS6detail15normal_iteratorINSA_10device_ptrItEEEEPS6_SG_NS0_5tupleIJSF_S6_EEENSH_IJSG_SG_EEES6_PlJNSB_9not_fun_tI7is_evenItEEEEEE10hipError_tPvRmT3_T4_T5_T6_T7_T9_mT8_P12ihipStream_tbDpT10_ENKUlT_T0_E_clISt17integral_constantIbLb0EES17_IbLb1EEEEDaS13_S14_EUlS13_E_NS1_11comp_targetILNS1_3genE3ELNS1_11target_archE908ELNS1_3gpuE7ELNS1_3repE0EEENS1_30default_config_static_selectorELNS0_4arch9wavefront6targetE0EEEvT1_
                                        ; -- End function
	.set _ZN7rocprim17ROCPRIM_400000_NS6detail17trampoline_kernelINS0_14default_configENS1_25partition_config_selectorILNS1_17partition_subalgoE6EtNS0_10empty_typeEbEEZZNS1_14partition_implILS5_6ELb0ES3_mN6thrust23THRUST_200600_302600_NS6detail15normal_iteratorINSA_10device_ptrItEEEEPS6_SG_NS0_5tupleIJSF_S6_EEENSH_IJSG_SG_EEES6_PlJNSB_9not_fun_tI7is_evenItEEEEEE10hipError_tPvRmT3_T4_T5_T6_T7_T9_mT8_P12ihipStream_tbDpT10_ENKUlT_T0_E_clISt17integral_constantIbLb0EES17_IbLb1EEEEDaS13_S14_EUlS13_E_NS1_11comp_targetILNS1_3genE3ELNS1_11target_archE908ELNS1_3gpuE7ELNS1_3repE0EEENS1_30default_config_static_selectorELNS0_4arch9wavefront6targetE0EEEvT1_.num_vgpr, 0
	.set _ZN7rocprim17ROCPRIM_400000_NS6detail17trampoline_kernelINS0_14default_configENS1_25partition_config_selectorILNS1_17partition_subalgoE6EtNS0_10empty_typeEbEEZZNS1_14partition_implILS5_6ELb0ES3_mN6thrust23THRUST_200600_302600_NS6detail15normal_iteratorINSA_10device_ptrItEEEEPS6_SG_NS0_5tupleIJSF_S6_EEENSH_IJSG_SG_EEES6_PlJNSB_9not_fun_tI7is_evenItEEEEEE10hipError_tPvRmT3_T4_T5_T6_T7_T9_mT8_P12ihipStream_tbDpT10_ENKUlT_T0_E_clISt17integral_constantIbLb0EES17_IbLb1EEEEDaS13_S14_EUlS13_E_NS1_11comp_targetILNS1_3genE3ELNS1_11target_archE908ELNS1_3gpuE7ELNS1_3repE0EEENS1_30default_config_static_selectorELNS0_4arch9wavefront6targetE0EEEvT1_.num_agpr, 0
	.set _ZN7rocprim17ROCPRIM_400000_NS6detail17trampoline_kernelINS0_14default_configENS1_25partition_config_selectorILNS1_17partition_subalgoE6EtNS0_10empty_typeEbEEZZNS1_14partition_implILS5_6ELb0ES3_mN6thrust23THRUST_200600_302600_NS6detail15normal_iteratorINSA_10device_ptrItEEEEPS6_SG_NS0_5tupleIJSF_S6_EEENSH_IJSG_SG_EEES6_PlJNSB_9not_fun_tI7is_evenItEEEEEE10hipError_tPvRmT3_T4_T5_T6_T7_T9_mT8_P12ihipStream_tbDpT10_ENKUlT_T0_E_clISt17integral_constantIbLb0EES17_IbLb1EEEEDaS13_S14_EUlS13_E_NS1_11comp_targetILNS1_3genE3ELNS1_11target_archE908ELNS1_3gpuE7ELNS1_3repE0EEENS1_30default_config_static_selectorELNS0_4arch9wavefront6targetE0EEEvT1_.numbered_sgpr, 0
	.set _ZN7rocprim17ROCPRIM_400000_NS6detail17trampoline_kernelINS0_14default_configENS1_25partition_config_selectorILNS1_17partition_subalgoE6EtNS0_10empty_typeEbEEZZNS1_14partition_implILS5_6ELb0ES3_mN6thrust23THRUST_200600_302600_NS6detail15normal_iteratorINSA_10device_ptrItEEEEPS6_SG_NS0_5tupleIJSF_S6_EEENSH_IJSG_SG_EEES6_PlJNSB_9not_fun_tI7is_evenItEEEEEE10hipError_tPvRmT3_T4_T5_T6_T7_T9_mT8_P12ihipStream_tbDpT10_ENKUlT_T0_E_clISt17integral_constantIbLb0EES17_IbLb1EEEEDaS13_S14_EUlS13_E_NS1_11comp_targetILNS1_3genE3ELNS1_11target_archE908ELNS1_3gpuE7ELNS1_3repE0EEENS1_30default_config_static_selectorELNS0_4arch9wavefront6targetE0EEEvT1_.num_named_barrier, 0
	.set _ZN7rocprim17ROCPRIM_400000_NS6detail17trampoline_kernelINS0_14default_configENS1_25partition_config_selectorILNS1_17partition_subalgoE6EtNS0_10empty_typeEbEEZZNS1_14partition_implILS5_6ELb0ES3_mN6thrust23THRUST_200600_302600_NS6detail15normal_iteratorINSA_10device_ptrItEEEEPS6_SG_NS0_5tupleIJSF_S6_EEENSH_IJSG_SG_EEES6_PlJNSB_9not_fun_tI7is_evenItEEEEEE10hipError_tPvRmT3_T4_T5_T6_T7_T9_mT8_P12ihipStream_tbDpT10_ENKUlT_T0_E_clISt17integral_constantIbLb0EES17_IbLb1EEEEDaS13_S14_EUlS13_E_NS1_11comp_targetILNS1_3genE3ELNS1_11target_archE908ELNS1_3gpuE7ELNS1_3repE0EEENS1_30default_config_static_selectorELNS0_4arch9wavefront6targetE0EEEvT1_.private_seg_size, 0
	.set _ZN7rocprim17ROCPRIM_400000_NS6detail17trampoline_kernelINS0_14default_configENS1_25partition_config_selectorILNS1_17partition_subalgoE6EtNS0_10empty_typeEbEEZZNS1_14partition_implILS5_6ELb0ES3_mN6thrust23THRUST_200600_302600_NS6detail15normal_iteratorINSA_10device_ptrItEEEEPS6_SG_NS0_5tupleIJSF_S6_EEENSH_IJSG_SG_EEES6_PlJNSB_9not_fun_tI7is_evenItEEEEEE10hipError_tPvRmT3_T4_T5_T6_T7_T9_mT8_P12ihipStream_tbDpT10_ENKUlT_T0_E_clISt17integral_constantIbLb0EES17_IbLb1EEEEDaS13_S14_EUlS13_E_NS1_11comp_targetILNS1_3genE3ELNS1_11target_archE908ELNS1_3gpuE7ELNS1_3repE0EEENS1_30default_config_static_selectorELNS0_4arch9wavefront6targetE0EEEvT1_.uses_vcc, 0
	.set _ZN7rocprim17ROCPRIM_400000_NS6detail17trampoline_kernelINS0_14default_configENS1_25partition_config_selectorILNS1_17partition_subalgoE6EtNS0_10empty_typeEbEEZZNS1_14partition_implILS5_6ELb0ES3_mN6thrust23THRUST_200600_302600_NS6detail15normal_iteratorINSA_10device_ptrItEEEEPS6_SG_NS0_5tupleIJSF_S6_EEENSH_IJSG_SG_EEES6_PlJNSB_9not_fun_tI7is_evenItEEEEEE10hipError_tPvRmT3_T4_T5_T6_T7_T9_mT8_P12ihipStream_tbDpT10_ENKUlT_T0_E_clISt17integral_constantIbLb0EES17_IbLb1EEEEDaS13_S14_EUlS13_E_NS1_11comp_targetILNS1_3genE3ELNS1_11target_archE908ELNS1_3gpuE7ELNS1_3repE0EEENS1_30default_config_static_selectorELNS0_4arch9wavefront6targetE0EEEvT1_.uses_flat_scratch, 0
	.set _ZN7rocprim17ROCPRIM_400000_NS6detail17trampoline_kernelINS0_14default_configENS1_25partition_config_selectorILNS1_17partition_subalgoE6EtNS0_10empty_typeEbEEZZNS1_14partition_implILS5_6ELb0ES3_mN6thrust23THRUST_200600_302600_NS6detail15normal_iteratorINSA_10device_ptrItEEEEPS6_SG_NS0_5tupleIJSF_S6_EEENSH_IJSG_SG_EEES6_PlJNSB_9not_fun_tI7is_evenItEEEEEE10hipError_tPvRmT3_T4_T5_T6_T7_T9_mT8_P12ihipStream_tbDpT10_ENKUlT_T0_E_clISt17integral_constantIbLb0EES17_IbLb1EEEEDaS13_S14_EUlS13_E_NS1_11comp_targetILNS1_3genE3ELNS1_11target_archE908ELNS1_3gpuE7ELNS1_3repE0EEENS1_30default_config_static_selectorELNS0_4arch9wavefront6targetE0EEEvT1_.has_dyn_sized_stack, 0
	.set _ZN7rocprim17ROCPRIM_400000_NS6detail17trampoline_kernelINS0_14default_configENS1_25partition_config_selectorILNS1_17partition_subalgoE6EtNS0_10empty_typeEbEEZZNS1_14partition_implILS5_6ELb0ES3_mN6thrust23THRUST_200600_302600_NS6detail15normal_iteratorINSA_10device_ptrItEEEEPS6_SG_NS0_5tupleIJSF_S6_EEENSH_IJSG_SG_EEES6_PlJNSB_9not_fun_tI7is_evenItEEEEEE10hipError_tPvRmT3_T4_T5_T6_T7_T9_mT8_P12ihipStream_tbDpT10_ENKUlT_T0_E_clISt17integral_constantIbLb0EES17_IbLb1EEEEDaS13_S14_EUlS13_E_NS1_11comp_targetILNS1_3genE3ELNS1_11target_archE908ELNS1_3gpuE7ELNS1_3repE0EEENS1_30default_config_static_selectorELNS0_4arch9wavefront6targetE0EEEvT1_.has_recursion, 0
	.set _ZN7rocprim17ROCPRIM_400000_NS6detail17trampoline_kernelINS0_14default_configENS1_25partition_config_selectorILNS1_17partition_subalgoE6EtNS0_10empty_typeEbEEZZNS1_14partition_implILS5_6ELb0ES3_mN6thrust23THRUST_200600_302600_NS6detail15normal_iteratorINSA_10device_ptrItEEEEPS6_SG_NS0_5tupleIJSF_S6_EEENSH_IJSG_SG_EEES6_PlJNSB_9not_fun_tI7is_evenItEEEEEE10hipError_tPvRmT3_T4_T5_T6_T7_T9_mT8_P12ihipStream_tbDpT10_ENKUlT_T0_E_clISt17integral_constantIbLb0EES17_IbLb1EEEEDaS13_S14_EUlS13_E_NS1_11comp_targetILNS1_3genE3ELNS1_11target_archE908ELNS1_3gpuE7ELNS1_3repE0EEENS1_30default_config_static_selectorELNS0_4arch9wavefront6targetE0EEEvT1_.has_indirect_call, 0
	.section	.AMDGPU.csdata,"",@progbits
; Kernel info:
; codeLenInByte = 0
; TotalNumSgprs: 0
; NumVgprs: 0
; ScratchSize: 0
; MemoryBound: 0
; FloatMode: 240
; IeeeMode: 1
; LDSByteSize: 0 bytes/workgroup (compile time only)
; SGPRBlocks: 0
; VGPRBlocks: 0
; NumSGPRsForWavesPerEU: 1
; NumVGPRsForWavesPerEU: 1
; Occupancy: 16
; WaveLimiterHint : 0
; COMPUTE_PGM_RSRC2:SCRATCH_EN: 0
; COMPUTE_PGM_RSRC2:USER_SGPR: 2
; COMPUTE_PGM_RSRC2:TRAP_HANDLER: 0
; COMPUTE_PGM_RSRC2:TGID_X_EN: 1
; COMPUTE_PGM_RSRC2:TGID_Y_EN: 0
; COMPUTE_PGM_RSRC2:TGID_Z_EN: 0
; COMPUTE_PGM_RSRC2:TIDIG_COMP_CNT: 0
	.section	.text._ZN7rocprim17ROCPRIM_400000_NS6detail17trampoline_kernelINS0_14default_configENS1_25partition_config_selectorILNS1_17partition_subalgoE6EtNS0_10empty_typeEbEEZZNS1_14partition_implILS5_6ELb0ES3_mN6thrust23THRUST_200600_302600_NS6detail15normal_iteratorINSA_10device_ptrItEEEEPS6_SG_NS0_5tupleIJSF_S6_EEENSH_IJSG_SG_EEES6_PlJNSB_9not_fun_tI7is_evenItEEEEEE10hipError_tPvRmT3_T4_T5_T6_T7_T9_mT8_P12ihipStream_tbDpT10_ENKUlT_T0_E_clISt17integral_constantIbLb0EES17_IbLb1EEEEDaS13_S14_EUlS13_E_NS1_11comp_targetILNS1_3genE2ELNS1_11target_archE906ELNS1_3gpuE6ELNS1_3repE0EEENS1_30default_config_static_selectorELNS0_4arch9wavefront6targetE0EEEvT1_,"axG",@progbits,_ZN7rocprim17ROCPRIM_400000_NS6detail17trampoline_kernelINS0_14default_configENS1_25partition_config_selectorILNS1_17partition_subalgoE6EtNS0_10empty_typeEbEEZZNS1_14partition_implILS5_6ELb0ES3_mN6thrust23THRUST_200600_302600_NS6detail15normal_iteratorINSA_10device_ptrItEEEEPS6_SG_NS0_5tupleIJSF_S6_EEENSH_IJSG_SG_EEES6_PlJNSB_9not_fun_tI7is_evenItEEEEEE10hipError_tPvRmT3_T4_T5_T6_T7_T9_mT8_P12ihipStream_tbDpT10_ENKUlT_T0_E_clISt17integral_constantIbLb0EES17_IbLb1EEEEDaS13_S14_EUlS13_E_NS1_11comp_targetILNS1_3genE2ELNS1_11target_archE906ELNS1_3gpuE6ELNS1_3repE0EEENS1_30default_config_static_selectorELNS0_4arch9wavefront6targetE0EEEvT1_,comdat
	.protected	_ZN7rocprim17ROCPRIM_400000_NS6detail17trampoline_kernelINS0_14default_configENS1_25partition_config_selectorILNS1_17partition_subalgoE6EtNS0_10empty_typeEbEEZZNS1_14partition_implILS5_6ELb0ES3_mN6thrust23THRUST_200600_302600_NS6detail15normal_iteratorINSA_10device_ptrItEEEEPS6_SG_NS0_5tupleIJSF_S6_EEENSH_IJSG_SG_EEES6_PlJNSB_9not_fun_tI7is_evenItEEEEEE10hipError_tPvRmT3_T4_T5_T6_T7_T9_mT8_P12ihipStream_tbDpT10_ENKUlT_T0_E_clISt17integral_constantIbLb0EES17_IbLb1EEEEDaS13_S14_EUlS13_E_NS1_11comp_targetILNS1_3genE2ELNS1_11target_archE906ELNS1_3gpuE6ELNS1_3repE0EEENS1_30default_config_static_selectorELNS0_4arch9wavefront6targetE0EEEvT1_ ; -- Begin function _ZN7rocprim17ROCPRIM_400000_NS6detail17trampoline_kernelINS0_14default_configENS1_25partition_config_selectorILNS1_17partition_subalgoE6EtNS0_10empty_typeEbEEZZNS1_14partition_implILS5_6ELb0ES3_mN6thrust23THRUST_200600_302600_NS6detail15normal_iteratorINSA_10device_ptrItEEEEPS6_SG_NS0_5tupleIJSF_S6_EEENSH_IJSG_SG_EEES6_PlJNSB_9not_fun_tI7is_evenItEEEEEE10hipError_tPvRmT3_T4_T5_T6_T7_T9_mT8_P12ihipStream_tbDpT10_ENKUlT_T0_E_clISt17integral_constantIbLb0EES17_IbLb1EEEEDaS13_S14_EUlS13_E_NS1_11comp_targetILNS1_3genE2ELNS1_11target_archE906ELNS1_3gpuE6ELNS1_3repE0EEENS1_30default_config_static_selectorELNS0_4arch9wavefront6targetE0EEEvT1_
	.globl	_ZN7rocprim17ROCPRIM_400000_NS6detail17trampoline_kernelINS0_14default_configENS1_25partition_config_selectorILNS1_17partition_subalgoE6EtNS0_10empty_typeEbEEZZNS1_14partition_implILS5_6ELb0ES3_mN6thrust23THRUST_200600_302600_NS6detail15normal_iteratorINSA_10device_ptrItEEEEPS6_SG_NS0_5tupleIJSF_S6_EEENSH_IJSG_SG_EEES6_PlJNSB_9not_fun_tI7is_evenItEEEEEE10hipError_tPvRmT3_T4_T5_T6_T7_T9_mT8_P12ihipStream_tbDpT10_ENKUlT_T0_E_clISt17integral_constantIbLb0EES17_IbLb1EEEEDaS13_S14_EUlS13_E_NS1_11comp_targetILNS1_3genE2ELNS1_11target_archE906ELNS1_3gpuE6ELNS1_3repE0EEENS1_30default_config_static_selectorELNS0_4arch9wavefront6targetE0EEEvT1_
	.p2align	8
	.type	_ZN7rocprim17ROCPRIM_400000_NS6detail17trampoline_kernelINS0_14default_configENS1_25partition_config_selectorILNS1_17partition_subalgoE6EtNS0_10empty_typeEbEEZZNS1_14partition_implILS5_6ELb0ES3_mN6thrust23THRUST_200600_302600_NS6detail15normal_iteratorINSA_10device_ptrItEEEEPS6_SG_NS0_5tupleIJSF_S6_EEENSH_IJSG_SG_EEES6_PlJNSB_9not_fun_tI7is_evenItEEEEEE10hipError_tPvRmT3_T4_T5_T6_T7_T9_mT8_P12ihipStream_tbDpT10_ENKUlT_T0_E_clISt17integral_constantIbLb0EES17_IbLb1EEEEDaS13_S14_EUlS13_E_NS1_11comp_targetILNS1_3genE2ELNS1_11target_archE906ELNS1_3gpuE6ELNS1_3repE0EEENS1_30default_config_static_selectorELNS0_4arch9wavefront6targetE0EEEvT1_,@function
_ZN7rocprim17ROCPRIM_400000_NS6detail17trampoline_kernelINS0_14default_configENS1_25partition_config_selectorILNS1_17partition_subalgoE6EtNS0_10empty_typeEbEEZZNS1_14partition_implILS5_6ELb0ES3_mN6thrust23THRUST_200600_302600_NS6detail15normal_iteratorINSA_10device_ptrItEEEEPS6_SG_NS0_5tupleIJSF_S6_EEENSH_IJSG_SG_EEES6_PlJNSB_9not_fun_tI7is_evenItEEEEEE10hipError_tPvRmT3_T4_T5_T6_T7_T9_mT8_P12ihipStream_tbDpT10_ENKUlT_T0_E_clISt17integral_constantIbLb0EES17_IbLb1EEEEDaS13_S14_EUlS13_E_NS1_11comp_targetILNS1_3genE2ELNS1_11target_archE906ELNS1_3gpuE6ELNS1_3repE0EEENS1_30default_config_static_selectorELNS0_4arch9wavefront6targetE0EEEvT1_: ; @_ZN7rocprim17ROCPRIM_400000_NS6detail17trampoline_kernelINS0_14default_configENS1_25partition_config_selectorILNS1_17partition_subalgoE6EtNS0_10empty_typeEbEEZZNS1_14partition_implILS5_6ELb0ES3_mN6thrust23THRUST_200600_302600_NS6detail15normal_iteratorINSA_10device_ptrItEEEEPS6_SG_NS0_5tupleIJSF_S6_EEENSH_IJSG_SG_EEES6_PlJNSB_9not_fun_tI7is_evenItEEEEEE10hipError_tPvRmT3_T4_T5_T6_T7_T9_mT8_P12ihipStream_tbDpT10_ENKUlT_T0_E_clISt17integral_constantIbLb0EES17_IbLb1EEEEDaS13_S14_EUlS13_E_NS1_11comp_targetILNS1_3genE2ELNS1_11target_archE906ELNS1_3gpuE6ELNS1_3repE0EEENS1_30default_config_static_selectorELNS0_4arch9wavefront6targetE0EEEvT1_
; %bb.0:
	.section	.rodata,"a",@progbits
	.p2align	6, 0x0
	.amdhsa_kernel _ZN7rocprim17ROCPRIM_400000_NS6detail17trampoline_kernelINS0_14default_configENS1_25partition_config_selectorILNS1_17partition_subalgoE6EtNS0_10empty_typeEbEEZZNS1_14partition_implILS5_6ELb0ES3_mN6thrust23THRUST_200600_302600_NS6detail15normal_iteratorINSA_10device_ptrItEEEEPS6_SG_NS0_5tupleIJSF_S6_EEENSH_IJSG_SG_EEES6_PlJNSB_9not_fun_tI7is_evenItEEEEEE10hipError_tPvRmT3_T4_T5_T6_T7_T9_mT8_P12ihipStream_tbDpT10_ENKUlT_T0_E_clISt17integral_constantIbLb0EES17_IbLb1EEEEDaS13_S14_EUlS13_E_NS1_11comp_targetILNS1_3genE2ELNS1_11target_archE906ELNS1_3gpuE6ELNS1_3repE0EEENS1_30default_config_static_selectorELNS0_4arch9wavefront6targetE0EEEvT1_
		.amdhsa_group_segment_fixed_size 0
		.amdhsa_private_segment_fixed_size 0
		.amdhsa_kernarg_size 128
		.amdhsa_user_sgpr_count 2
		.amdhsa_user_sgpr_dispatch_ptr 0
		.amdhsa_user_sgpr_queue_ptr 0
		.amdhsa_user_sgpr_kernarg_segment_ptr 1
		.amdhsa_user_sgpr_dispatch_id 0
		.amdhsa_user_sgpr_private_segment_size 0
		.amdhsa_wavefront_size32 1
		.amdhsa_uses_dynamic_stack 0
		.amdhsa_enable_private_segment 0
		.amdhsa_system_sgpr_workgroup_id_x 1
		.amdhsa_system_sgpr_workgroup_id_y 0
		.amdhsa_system_sgpr_workgroup_id_z 0
		.amdhsa_system_sgpr_workgroup_info 0
		.amdhsa_system_vgpr_workitem_id 0
		.amdhsa_next_free_vgpr 1
		.amdhsa_next_free_sgpr 1
		.amdhsa_reserve_vcc 0
		.amdhsa_float_round_mode_32 0
		.amdhsa_float_round_mode_16_64 0
		.amdhsa_float_denorm_mode_32 3
		.amdhsa_float_denorm_mode_16_64 3
		.amdhsa_fp16_overflow 0
		.amdhsa_workgroup_processor_mode 1
		.amdhsa_memory_ordered 1
		.amdhsa_forward_progress 1
		.amdhsa_inst_pref_size 0
		.amdhsa_round_robin_scheduling 0
		.amdhsa_exception_fp_ieee_invalid_op 0
		.amdhsa_exception_fp_denorm_src 0
		.amdhsa_exception_fp_ieee_div_zero 0
		.amdhsa_exception_fp_ieee_overflow 0
		.amdhsa_exception_fp_ieee_underflow 0
		.amdhsa_exception_fp_ieee_inexact 0
		.amdhsa_exception_int_div_zero 0
	.end_amdhsa_kernel
	.section	.text._ZN7rocprim17ROCPRIM_400000_NS6detail17trampoline_kernelINS0_14default_configENS1_25partition_config_selectorILNS1_17partition_subalgoE6EtNS0_10empty_typeEbEEZZNS1_14partition_implILS5_6ELb0ES3_mN6thrust23THRUST_200600_302600_NS6detail15normal_iteratorINSA_10device_ptrItEEEEPS6_SG_NS0_5tupleIJSF_S6_EEENSH_IJSG_SG_EEES6_PlJNSB_9not_fun_tI7is_evenItEEEEEE10hipError_tPvRmT3_T4_T5_T6_T7_T9_mT8_P12ihipStream_tbDpT10_ENKUlT_T0_E_clISt17integral_constantIbLb0EES17_IbLb1EEEEDaS13_S14_EUlS13_E_NS1_11comp_targetILNS1_3genE2ELNS1_11target_archE906ELNS1_3gpuE6ELNS1_3repE0EEENS1_30default_config_static_selectorELNS0_4arch9wavefront6targetE0EEEvT1_,"axG",@progbits,_ZN7rocprim17ROCPRIM_400000_NS6detail17trampoline_kernelINS0_14default_configENS1_25partition_config_selectorILNS1_17partition_subalgoE6EtNS0_10empty_typeEbEEZZNS1_14partition_implILS5_6ELb0ES3_mN6thrust23THRUST_200600_302600_NS6detail15normal_iteratorINSA_10device_ptrItEEEEPS6_SG_NS0_5tupleIJSF_S6_EEENSH_IJSG_SG_EEES6_PlJNSB_9not_fun_tI7is_evenItEEEEEE10hipError_tPvRmT3_T4_T5_T6_T7_T9_mT8_P12ihipStream_tbDpT10_ENKUlT_T0_E_clISt17integral_constantIbLb0EES17_IbLb1EEEEDaS13_S14_EUlS13_E_NS1_11comp_targetILNS1_3genE2ELNS1_11target_archE906ELNS1_3gpuE6ELNS1_3repE0EEENS1_30default_config_static_selectorELNS0_4arch9wavefront6targetE0EEEvT1_,comdat
.Lfunc_end689:
	.size	_ZN7rocprim17ROCPRIM_400000_NS6detail17trampoline_kernelINS0_14default_configENS1_25partition_config_selectorILNS1_17partition_subalgoE6EtNS0_10empty_typeEbEEZZNS1_14partition_implILS5_6ELb0ES3_mN6thrust23THRUST_200600_302600_NS6detail15normal_iteratorINSA_10device_ptrItEEEEPS6_SG_NS0_5tupleIJSF_S6_EEENSH_IJSG_SG_EEES6_PlJNSB_9not_fun_tI7is_evenItEEEEEE10hipError_tPvRmT3_T4_T5_T6_T7_T9_mT8_P12ihipStream_tbDpT10_ENKUlT_T0_E_clISt17integral_constantIbLb0EES17_IbLb1EEEEDaS13_S14_EUlS13_E_NS1_11comp_targetILNS1_3genE2ELNS1_11target_archE906ELNS1_3gpuE6ELNS1_3repE0EEENS1_30default_config_static_selectorELNS0_4arch9wavefront6targetE0EEEvT1_, .Lfunc_end689-_ZN7rocprim17ROCPRIM_400000_NS6detail17trampoline_kernelINS0_14default_configENS1_25partition_config_selectorILNS1_17partition_subalgoE6EtNS0_10empty_typeEbEEZZNS1_14partition_implILS5_6ELb0ES3_mN6thrust23THRUST_200600_302600_NS6detail15normal_iteratorINSA_10device_ptrItEEEEPS6_SG_NS0_5tupleIJSF_S6_EEENSH_IJSG_SG_EEES6_PlJNSB_9not_fun_tI7is_evenItEEEEEE10hipError_tPvRmT3_T4_T5_T6_T7_T9_mT8_P12ihipStream_tbDpT10_ENKUlT_T0_E_clISt17integral_constantIbLb0EES17_IbLb1EEEEDaS13_S14_EUlS13_E_NS1_11comp_targetILNS1_3genE2ELNS1_11target_archE906ELNS1_3gpuE6ELNS1_3repE0EEENS1_30default_config_static_selectorELNS0_4arch9wavefront6targetE0EEEvT1_
                                        ; -- End function
	.set _ZN7rocprim17ROCPRIM_400000_NS6detail17trampoline_kernelINS0_14default_configENS1_25partition_config_selectorILNS1_17partition_subalgoE6EtNS0_10empty_typeEbEEZZNS1_14partition_implILS5_6ELb0ES3_mN6thrust23THRUST_200600_302600_NS6detail15normal_iteratorINSA_10device_ptrItEEEEPS6_SG_NS0_5tupleIJSF_S6_EEENSH_IJSG_SG_EEES6_PlJNSB_9not_fun_tI7is_evenItEEEEEE10hipError_tPvRmT3_T4_T5_T6_T7_T9_mT8_P12ihipStream_tbDpT10_ENKUlT_T0_E_clISt17integral_constantIbLb0EES17_IbLb1EEEEDaS13_S14_EUlS13_E_NS1_11comp_targetILNS1_3genE2ELNS1_11target_archE906ELNS1_3gpuE6ELNS1_3repE0EEENS1_30default_config_static_selectorELNS0_4arch9wavefront6targetE0EEEvT1_.num_vgpr, 0
	.set _ZN7rocprim17ROCPRIM_400000_NS6detail17trampoline_kernelINS0_14default_configENS1_25partition_config_selectorILNS1_17partition_subalgoE6EtNS0_10empty_typeEbEEZZNS1_14partition_implILS5_6ELb0ES3_mN6thrust23THRUST_200600_302600_NS6detail15normal_iteratorINSA_10device_ptrItEEEEPS6_SG_NS0_5tupleIJSF_S6_EEENSH_IJSG_SG_EEES6_PlJNSB_9not_fun_tI7is_evenItEEEEEE10hipError_tPvRmT3_T4_T5_T6_T7_T9_mT8_P12ihipStream_tbDpT10_ENKUlT_T0_E_clISt17integral_constantIbLb0EES17_IbLb1EEEEDaS13_S14_EUlS13_E_NS1_11comp_targetILNS1_3genE2ELNS1_11target_archE906ELNS1_3gpuE6ELNS1_3repE0EEENS1_30default_config_static_selectorELNS0_4arch9wavefront6targetE0EEEvT1_.num_agpr, 0
	.set _ZN7rocprim17ROCPRIM_400000_NS6detail17trampoline_kernelINS0_14default_configENS1_25partition_config_selectorILNS1_17partition_subalgoE6EtNS0_10empty_typeEbEEZZNS1_14partition_implILS5_6ELb0ES3_mN6thrust23THRUST_200600_302600_NS6detail15normal_iteratorINSA_10device_ptrItEEEEPS6_SG_NS0_5tupleIJSF_S6_EEENSH_IJSG_SG_EEES6_PlJNSB_9not_fun_tI7is_evenItEEEEEE10hipError_tPvRmT3_T4_T5_T6_T7_T9_mT8_P12ihipStream_tbDpT10_ENKUlT_T0_E_clISt17integral_constantIbLb0EES17_IbLb1EEEEDaS13_S14_EUlS13_E_NS1_11comp_targetILNS1_3genE2ELNS1_11target_archE906ELNS1_3gpuE6ELNS1_3repE0EEENS1_30default_config_static_selectorELNS0_4arch9wavefront6targetE0EEEvT1_.numbered_sgpr, 0
	.set _ZN7rocprim17ROCPRIM_400000_NS6detail17trampoline_kernelINS0_14default_configENS1_25partition_config_selectorILNS1_17partition_subalgoE6EtNS0_10empty_typeEbEEZZNS1_14partition_implILS5_6ELb0ES3_mN6thrust23THRUST_200600_302600_NS6detail15normal_iteratorINSA_10device_ptrItEEEEPS6_SG_NS0_5tupleIJSF_S6_EEENSH_IJSG_SG_EEES6_PlJNSB_9not_fun_tI7is_evenItEEEEEE10hipError_tPvRmT3_T4_T5_T6_T7_T9_mT8_P12ihipStream_tbDpT10_ENKUlT_T0_E_clISt17integral_constantIbLb0EES17_IbLb1EEEEDaS13_S14_EUlS13_E_NS1_11comp_targetILNS1_3genE2ELNS1_11target_archE906ELNS1_3gpuE6ELNS1_3repE0EEENS1_30default_config_static_selectorELNS0_4arch9wavefront6targetE0EEEvT1_.num_named_barrier, 0
	.set _ZN7rocprim17ROCPRIM_400000_NS6detail17trampoline_kernelINS0_14default_configENS1_25partition_config_selectorILNS1_17partition_subalgoE6EtNS0_10empty_typeEbEEZZNS1_14partition_implILS5_6ELb0ES3_mN6thrust23THRUST_200600_302600_NS6detail15normal_iteratorINSA_10device_ptrItEEEEPS6_SG_NS0_5tupleIJSF_S6_EEENSH_IJSG_SG_EEES6_PlJNSB_9not_fun_tI7is_evenItEEEEEE10hipError_tPvRmT3_T4_T5_T6_T7_T9_mT8_P12ihipStream_tbDpT10_ENKUlT_T0_E_clISt17integral_constantIbLb0EES17_IbLb1EEEEDaS13_S14_EUlS13_E_NS1_11comp_targetILNS1_3genE2ELNS1_11target_archE906ELNS1_3gpuE6ELNS1_3repE0EEENS1_30default_config_static_selectorELNS0_4arch9wavefront6targetE0EEEvT1_.private_seg_size, 0
	.set _ZN7rocprim17ROCPRIM_400000_NS6detail17trampoline_kernelINS0_14default_configENS1_25partition_config_selectorILNS1_17partition_subalgoE6EtNS0_10empty_typeEbEEZZNS1_14partition_implILS5_6ELb0ES3_mN6thrust23THRUST_200600_302600_NS6detail15normal_iteratorINSA_10device_ptrItEEEEPS6_SG_NS0_5tupleIJSF_S6_EEENSH_IJSG_SG_EEES6_PlJNSB_9not_fun_tI7is_evenItEEEEEE10hipError_tPvRmT3_T4_T5_T6_T7_T9_mT8_P12ihipStream_tbDpT10_ENKUlT_T0_E_clISt17integral_constantIbLb0EES17_IbLb1EEEEDaS13_S14_EUlS13_E_NS1_11comp_targetILNS1_3genE2ELNS1_11target_archE906ELNS1_3gpuE6ELNS1_3repE0EEENS1_30default_config_static_selectorELNS0_4arch9wavefront6targetE0EEEvT1_.uses_vcc, 0
	.set _ZN7rocprim17ROCPRIM_400000_NS6detail17trampoline_kernelINS0_14default_configENS1_25partition_config_selectorILNS1_17partition_subalgoE6EtNS0_10empty_typeEbEEZZNS1_14partition_implILS5_6ELb0ES3_mN6thrust23THRUST_200600_302600_NS6detail15normal_iteratorINSA_10device_ptrItEEEEPS6_SG_NS0_5tupleIJSF_S6_EEENSH_IJSG_SG_EEES6_PlJNSB_9not_fun_tI7is_evenItEEEEEE10hipError_tPvRmT3_T4_T5_T6_T7_T9_mT8_P12ihipStream_tbDpT10_ENKUlT_T0_E_clISt17integral_constantIbLb0EES17_IbLb1EEEEDaS13_S14_EUlS13_E_NS1_11comp_targetILNS1_3genE2ELNS1_11target_archE906ELNS1_3gpuE6ELNS1_3repE0EEENS1_30default_config_static_selectorELNS0_4arch9wavefront6targetE0EEEvT1_.uses_flat_scratch, 0
	.set _ZN7rocprim17ROCPRIM_400000_NS6detail17trampoline_kernelINS0_14default_configENS1_25partition_config_selectorILNS1_17partition_subalgoE6EtNS0_10empty_typeEbEEZZNS1_14partition_implILS5_6ELb0ES3_mN6thrust23THRUST_200600_302600_NS6detail15normal_iteratorINSA_10device_ptrItEEEEPS6_SG_NS0_5tupleIJSF_S6_EEENSH_IJSG_SG_EEES6_PlJNSB_9not_fun_tI7is_evenItEEEEEE10hipError_tPvRmT3_T4_T5_T6_T7_T9_mT8_P12ihipStream_tbDpT10_ENKUlT_T0_E_clISt17integral_constantIbLb0EES17_IbLb1EEEEDaS13_S14_EUlS13_E_NS1_11comp_targetILNS1_3genE2ELNS1_11target_archE906ELNS1_3gpuE6ELNS1_3repE0EEENS1_30default_config_static_selectorELNS0_4arch9wavefront6targetE0EEEvT1_.has_dyn_sized_stack, 0
	.set _ZN7rocprim17ROCPRIM_400000_NS6detail17trampoline_kernelINS0_14default_configENS1_25partition_config_selectorILNS1_17partition_subalgoE6EtNS0_10empty_typeEbEEZZNS1_14partition_implILS5_6ELb0ES3_mN6thrust23THRUST_200600_302600_NS6detail15normal_iteratorINSA_10device_ptrItEEEEPS6_SG_NS0_5tupleIJSF_S6_EEENSH_IJSG_SG_EEES6_PlJNSB_9not_fun_tI7is_evenItEEEEEE10hipError_tPvRmT3_T4_T5_T6_T7_T9_mT8_P12ihipStream_tbDpT10_ENKUlT_T0_E_clISt17integral_constantIbLb0EES17_IbLb1EEEEDaS13_S14_EUlS13_E_NS1_11comp_targetILNS1_3genE2ELNS1_11target_archE906ELNS1_3gpuE6ELNS1_3repE0EEENS1_30default_config_static_selectorELNS0_4arch9wavefront6targetE0EEEvT1_.has_recursion, 0
	.set _ZN7rocprim17ROCPRIM_400000_NS6detail17trampoline_kernelINS0_14default_configENS1_25partition_config_selectorILNS1_17partition_subalgoE6EtNS0_10empty_typeEbEEZZNS1_14partition_implILS5_6ELb0ES3_mN6thrust23THRUST_200600_302600_NS6detail15normal_iteratorINSA_10device_ptrItEEEEPS6_SG_NS0_5tupleIJSF_S6_EEENSH_IJSG_SG_EEES6_PlJNSB_9not_fun_tI7is_evenItEEEEEE10hipError_tPvRmT3_T4_T5_T6_T7_T9_mT8_P12ihipStream_tbDpT10_ENKUlT_T0_E_clISt17integral_constantIbLb0EES17_IbLb1EEEEDaS13_S14_EUlS13_E_NS1_11comp_targetILNS1_3genE2ELNS1_11target_archE906ELNS1_3gpuE6ELNS1_3repE0EEENS1_30default_config_static_selectorELNS0_4arch9wavefront6targetE0EEEvT1_.has_indirect_call, 0
	.section	.AMDGPU.csdata,"",@progbits
; Kernel info:
; codeLenInByte = 0
; TotalNumSgprs: 0
; NumVgprs: 0
; ScratchSize: 0
; MemoryBound: 0
; FloatMode: 240
; IeeeMode: 1
; LDSByteSize: 0 bytes/workgroup (compile time only)
; SGPRBlocks: 0
; VGPRBlocks: 0
; NumSGPRsForWavesPerEU: 1
; NumVGPRsForWavesPerEU: 1
; Occupancy: 16
; WaveLimiterHint : 0
; COMPUTE_PGM_RSRC2:SCRATCH_EN: 0
; COMPUTE_PGM_RSRC2:USER_SGPR: 2
; COMPUTE_PGM_RSRC2:TRAP_HANDLER: 0
; COMPUTE_PGM_RSRC2:TGID_X_EN: 1
; COMPUTE_PGM_RSRC2:TGID_Y_EN: 0
; COMPUTE_PGM_RSRC2:TGID_Z_EN: 0
; COMPUTE_PGM_RSRC2:TIDIG_COMP_CNT: 0
	.section	.text._ZN7rocprim17ROCPRIM_400000_NS6detail17trampoline_kernelINS0_14default_configENS1_25partition_config_selectorILNS1_17partition_subalgoE6EtNS0_10empty_typeEbEEZZNS1_14partition_implILS5_6ELb0ES3_mN6thrust23THRUST_200600_302600_NS6detail15normal_iteratorINSA_10device_ptrItEEEEPS6_SG_NS0_5tupleIJSF_S6_EEENSH_IJSG_SG_EEES6_PlJNSB_9not_fun_tI7is_evenItEEEEEE10hipError_tPvRmT3_T4_T5_T6_T7_T9_mT8_P12ihipStream_tbDpT10_ENKUlT_T0_E_clISt17integral_constantIbLb0EES17_IbLb1EEEEDaS13_S14_EUlS13_E_NS1_11comp_targetILNS1_3genE10ELNS1_11target_archE1200ELNS1_3gpuE4ELNS1_3repE0EEENS1_30default_config_static_selectorELNS0_4arch9wavefront6targetE0EEEvT1_,"axG",@progbits,_ZN7rocprim17ROCPRIM_400000_NS6detail17trampoline_kernelINS0_14default_configENS1_25partition_config_selectorILNS1_17partition_subalgoE6EtNS0_10empty_typeEbEEZZNS1_14partition_implILS5_6ELb0ES3_mN6thrust23THRUST_200600_302600_NS6detail15normal_iteratorINSA_10device_ptrItEEEEPS6_SG_NS0_5tupleIJSF_S6_EEENSH_IJSG_SG_EEES6_PlJNSB_9not_fun_tI7is_evenItEEEEEE10hipError_tPvRmT3_T4_T5_T6_T7_T9_mT8_P12ihipStream_tbDpT10_ENKUlT_T0_E_clISt17integral_constantIbLb0EES17_IbLb1EEEEDaS13_S14_EUlS13_E_NS1_11comp_targetILNS1_3genE10ELNS1_11target_archE1200ELNS1_3gpuE4ELNS1_3repE0EEENS1_30default_config_static_selectorELNS0_4arch9wavefront6targetE0EEEvT1_,comdat
	.protected	_ZN7rocprim17ROCPRIM_400000_NS6detail17trampoline_kernelINS0_14default_configENS1_25partition_config_selectorILNS1_17partition_subalgoE6EtNS0_10empty_typeEbEEZZNS1_14partition_implILS5_6ELb0ES3_mN6thrust23THRUST_200600_302600_NS6detail15normal_iteratorINSA_10device_ptrItEEEEPS6_SG_NS0_5tupleIJSF_S6_EEENSH_IJSG_SG_EEES6_PlJNSB_9not_fun_tI7is_evenItEEEEEE10hipError_tPvRmT3_T4_T5_T6_T7_T9_mT8_P12ihipStream_tbDpT10_ENKUlT_T0_E_clISt17integral_constantIbLb0EES17_IbLb1EEEEDaS13_S14_EUlS13_E_NS1_11comp_targetILNS1_3genE10ELNS1_11target_archE1200ELNS1_3gpuE4ELNS1_3repE0EEENS1_30default_config_static_selectorELNS0_4arch9wavefront6targetE0EEEvT1_ ; -- Begin function _ZN7rocprim17ROCPRIM_400000_NS6detail17trampoline_kernelINS0_14default_configENS1_25partition_config_selectorILNS1_17partition_subalgoE6EtNS0_10empty_typeEbEEZZNS1_14partition_implILS5_6ELb0ES3_mN6thrust23THRUST_200600_302600_NS6detail15normal_iteratorINSA_10device_ptrItEEEEPS6_SG_NS0_5tupleIJSF_S6_EEENSH_IJSG_SG_EEES6_PlJNSB_9not_fun_tI7is_evenItEEEEEE10hipError_tPvRmT3_T4_T5_T6_T7_T9_mT8_P12ihipStream_tbDpT10_ENKUlT_T0_E_clISt17integral_constantIbLb0EES17_IbLb1EEEEDaS13_S14_EUlS13_E_NS1_11comp_targetILNS1_3genE10ELNS1_11target_archE1200ELNS1_3gpuE4ELNS1_3repE0EEENS1_30default_config_static_selectorELNS0_4arch9wavefront6targetE0EEEvT1_
	.globl	_ZN7rocprim17ROCPRIM_400000_NS6detail17trampoline_kernelINS0_14default_configENS1_25partition_config_selectorILNS1_17partition_subalgoE6EtNS0_10empty_typeEbEEZZNS1_14partition_implILS5_6ELb0ES3_mN6thrust23THRUST_200600_302600_NS6detail15normal_iteratorINSA_10device_ptrItEEEEPS6_SG_NS0_5tupleIJSF_S6_EEENSH_IJSG_SG_EEES6_PlJNSB_9not_fun_tI7is_evenItEEEEEE10hipError_tPvRmT3_T4_T5_T6_T7_T9_mT8_P12ihipStream_tbDpT10_ENKUlT_T0_E_clISt17integral_constantIbLb0EES17_IbLb1EEEEDaS13_S14_EUlS13_E_NS1_11comp_targetILNS1_3genE10ELNS1_11target_archE1200ELNS1_3gpuE4ELNS1_3repE0EEENS1_30default_config_static_selectorELNS0_4arch9wavefront6targetE0EEEvT1_
	.p2align	8
	.type	_ZN7rocprim17ROCPRIM_400000_NS6detail17trampoline_kernelINS0_14default_configENS1_25partition_config_selectorILNS1_17partition_subalgoE6EtNS0_10empty_typeEbEEZZNS1_14partition_implILS5_6ELb0ES3_mN6thrust23THRUST_200600_302600_NS6detail15normal_iteratorINSA_10device_ptrItEEEEPS6_SG_NS0_5tupleIJSF_S6_EEENSH_IJSG_SG_EEES6_PlJNSB_9not_fun_tI7is_evenItEEEEEE10hipError_tPvRmT3_T4_T5_T6_T7_T9_mT8_P12ihipStream_tbDpT10_ENKUlT_T0_E_clISt17integral_constantIbLb0EES17_IbLb1EEEEDaS13_S14_EUlS13_E_NS1_11comp_targetILNS1_3genE10ELNS1_11target_archE1200ELNS1_3gpuE4ELNS1_3repE0EEENS1_30default_config_static_selectorELNS0_4arch9wavefront6targetE0EEEvT1_,@function
_ZN7rocprim17ROCPRIM_400000_NS6detail17trampoline_kernelINS0_14default_configENS1_25partition_config_selectorILNS1_17partition_subalgoE6EtNS0_10empty_typeEbEEZZNS1_14partition_implILS5_6ELb0ES3_mN6thrust23THRUST_200600_302600_NS6detail15normal_iteratorINSA_10device_ptrItEEEEPS6_SG_NS0_5tupleIJSF_S6_EEENSH_IJSG_SG_EEES6_PlJNSB_9not_fun_tI7is_evenItEEEEEE10hipError_tPvRmT3_T4_T5_T6_T7_T9_mT8_P12ihipStream_tbDpT10_ENKUlT_T0_E_clISt17integral_constantIbLb0EES17_IbLb1EEEEDaS13_S14_EUlS13_E_NS1_11comp_targetILNS1_3genE10ELNS1_11target_archE1200ELNS1_3gpuE4ELNS1_3repE0EEENS1_30default_config_static_selectorELNS0_4arch9wavefront6targetE0EEEvT1_: ; @_ZN7rocprim17ROCPRIM_400000_NS6detail17trampoline_kernelINS0_14default_configENS1_25partition_config_selectorILNS1_17partition_subalgoE6EtNS0_10empty_typeEbEEZZNS1_14partition_implILS5_6ELb0ES3_mN6thrust23THRUST_200600_302600_NS6detail15normal_iteratorINSA_10device_ptrItEEEEPS6_SG_NS0_5tupleIJSF_S6_EEENSH_IJSG_SG_EEES6_PlJNSB_9not_fun_tI7is_evenItEEEEEE10hipError_tPvRmT3_T4_T5_T6_T7_T9_mT8_P12ihipStream_tbDpT10_ENKUlT_T0_E_clISt17integral_constantIbLb0EES17_IbLb1EEEEDaS13_S14_EUlS13_E_NS1_11comp_targetILNS1_3genE10ELNS1_11target_archE1200ELNS1_3gpuE4ELNS1_3repE0EEENS1_30default_config_static_selectorELNS0_4arch9wavefront6targetE0EEEvT1_
; %bb.0:
	s_clause 0x3
	s_load_b64 s[12:13], s[0:1], 0x28
	s_load_b128 s[8:11], s[0:1], 0x40
	s_load_b64 s[16:17], s[0:1], 0x50
	s_load_b64 s[14:15], s[0:1], 0x60
	v_cmp_eq_u32_e64 s2, 0, v0
	s_and_saveexec_b32 s3, s2
	s_cbranch_execz .LBB690_4
; %bb.1:
	s_mov_b32 s5, exec_lo
	s_mov_b32 s4, exec_lo
	v_mbcnt_lo_u32_b32 v1, s5, 0
                                        ; implicit-def: $vgpr2
	s_delay_alu instid0(VALU_DEP_1)
	v_cmpx_eq_u32_e32 0, v1
	s_cbranch_execz .LBB690_3
; %bb.2:
	s_load_b64 s[6:7], s[0:1], 0x70
	s_bcnt1_i32_b32 s5, s5
	s_wait_alu 0xfffe
	v_dual_mov_b32 v2, 0 :: v_dual_mov_b32 v3, s5
	s_wait_kmcnt 0x0
	global_atomic_add_u32 v2, v2, v3, s[6:7] th:TH_ATOMIC_RETURN scope:SCOPE_DEV
.LBB690_3:
	s_or_b32 exec_lo, exec_lo, s4
	s_wait_loadcnt 0x0
	v_readfirstlane_b32 s4, v2
	s_wait_alu 0xf1ff
	s_delay_alu instid0(VALU_DEP_1)
	v_dual_mov_b32 v2, 0 :: v_dual_add_nc_u32 v1, s4, v1
	ds_store_b32 v2, v1
.LBB690_4:
	s_or_b32 exec_lo, exec_lo, s3
	v_dual_mov_b32 v2, 0 :: v_dual_lshlrev_b32 v19, 1, v0
	s_clause 0x1
	s_load_b128 s[4:7], s[0:1], 0x8
	s_load_b32 s0, s[0:1], 0x68
	s_wait_dscnt 0x0
	s_barrier_signal -1
	s_barrier_wait -1
	global_inv scope:SCOPE_SE
	ds_load_b32 v1, v2
	s_wait_loadcnt_dscnt 0x0
	s_barrier_signal -1
	s_barrier_wait -1
	global_inv scope:SCOPE_SE
	s_wait_kmcnt 0x0
	global_load_b64 v[17:18], v2, s[10:11]
	s_mov_b32 s1, 0
	s_lshl_b64 s[18:19], s[6:7], 1
	s_add_co_i32 s3, s0, -1
	s_mulk_i32 s0, 0x1b00
	s_delay_alu instid0(SALU_CYCLE_1)
	s_add_co_i32 s11, s0, s6
	s_add_nc_u64 s[6:7], s[6:7], s[0:1]
	v_readfirstlane_b32 s10, v1
	v_mul_lo_u32 v1, 0x1b00, v1
	v_cmp_le_u64_e64 s1, s[16:17], s[6:7]
	s_sub_co_i32 s0, s16, s11
	s_add_nc_u64 s[16:17], s[4:5], s[18:19]
	s_cmp_eq_u32 s10, s3
	s_cselect_b32 s6, -1, 0
	v_lshlrev_b64_e32 v[1:2], 1, v[1:2]
	s_wait_alu 0xfffe
	s_and_b32 s1, s1, s6
	s_delay_alu instid0(SALU_CYCLE_1) | instskip(SKIP_1) | instid1(VALU_DEP_1)
	s_xor_b32 s5, s1, -1
	s_mov_b32 s1, -1
	v_add_co_u32 v20, vcc_lo, s16, v1
	s_delay_alu instid0(VALU_DEP_1)
	v_add_co_ci_u32_e64 v21, null, s17, v2, vcc_lo
	s_wait_alu 0xfffe
	s_and_b32 vcc_lo, exec_lo, s5
	s_wait_alu 0xfffe
	s_cbranch_vccz .LBB690_6
; %bb.5:
	v_add_co_u32 v1, vcc_lo, v20, v19
	s_wait_alu 0xfffd
	v_add_co_ci_u32_e64 v2, null, 0, v21, vcc_lo
	s_mov_b32 s1, 0
	s_clause 0x11
	flat_load_u16 v3, v[1:2]
	flat_load_u16 v4, v[1:2] offset:768
	flat_load_u16 v5, v[1:2] offset:1536
	;; [unrolled: 1-line block ×17, first 2 shown]
	s_wait_loadcnt_dscnt 0x1111
	ds_store_b16 v19, v3
	s_wait_loadcnt_dscnt 0x1011
	ds_store_b16 v19, v4 offset:768
	s_wait_loadcnt_dscnt 0xf11
	ds_store_b16 v19, v5 offset:1536
	;; [unrolled: 2-line block ×17, first 2 shown]
	s_wait_dscnt 0x0
	s_barrier_signal -1
	s_barrier_wait -1
.LBB690_6:
	s_and_not1_b32 vcc_lo, exec_lo, s1
	s_addk_co_i32 s0, 0x1b00
	s_wait_alu 0xfffe
	s_cbranch_vccnz .LBB690_44
; %bb.7:
	v_mov_b32_e32 v1, 0
	s_mov_b32 s1, exec_lo
	s_delay_alu instid0(VALU_DEP_1)
	v_dual_mov_b32 v2, v1 :: v_dual_mov_b32 v3, v1
	v_dual_mov_b32 v4, v1 :: v_dual_mov_b32 v5, v1
	;; [unrolled: 1-line block ×4, first 2 shown]
	v_cmpx_gt_u32_e64 s0, v0
	s_cbranch_execz .LBB690_9
; %bb.8:
	v_add_co_u32 v3, vcc_lo, v20, v19
	s_wait_alu 0xfffd
	v_add_co_ci_u32_e64 v4, null, 0, v21, vcc_lo
	v_mov_b32_e32 v2, v1
	v_dual_mov_b32 v6, v1 :: v_dual_mov_b32 v7, v1
	v_dual_mov_b32 v5, v1 :: v_dual_mov_b32 v8, v1
	v_mov_b32_e32 v9, v1
	flat_load_d16_b16 v2, v[3:4]
	v_dual_mov_b32 v3, v1 :: v_dual_mov_b32 v4, v1
	v_mov_b32_e32 v10, v1
	s_wait_loadcnt_dscnt 0x0
	v_mov_b32_e32 v1, v2
	s_delay_alu instid0(VALU_DEP_3)
	v_mov_b32_e32 v2, v3
	v_mov_b32_e32 v3, v4
	;; [unrolled: 1-line block ×15, first 2 shown]
.LBB690_9:
	s_or_b32 exec_lo, exec_lo, s1
	v_add_nc_u32_e32 v10, 0x180, v0
	s_mov_b32 s1, exec_lo
	s_delay_alu instid0(VALU_DEP_1)
	v_cmpx_gt_u32_e64 s0, v10
	s_cbranch_execz .LBB690_11
; %bb.10:
	v_add_co_u32 v10, vcc_lo, v20, v19
	s_wait_alu 0xfffd
	v_add_co_ci_u32_e64 v11, null, 0, v21, vcc_lo
	flat_load_d16_hi_b16 v1, v[10:11] offset:768
.LBB690_11:
	s_wait_alu 0xfffe
	s_or_b32 exec_lo, exec_lo, s1
	v_add_nc_u32_e32 v10, 0x300, v0
	s_mov_b32 s1, exec_lo
	s_delay_alu instid0(VALU_DEP_1)
	v_cmpx_gt_u32_e64 s0, v10
	s_cbranch_execz .LBB690_13
; %bb.12:
	v_add_co_u32 v10, vcc_lo, v20, v19
	s_wait_alu 0xfffd
	v_add_co_ci_u32_e64 v11, null, 0, v21, vcc_lo
	flat_load_d16_b16 v2, v[10:11] offset:1536
.LBB690_13:
	s_wait_alu 0xfffe
	s_or_b32 exec_lo, exec_lo, s1
	v_add_nc_u32_e32 v10, 0x480, v0
	s_mov_b32 s1, exec_lo
	s_delay_alu instid0(VALU_DEP_1)
	v_cmpx_gt_u32_e64 s0, v10
	s_cbranch_execz .LBB690_15
; %bb.14:
	v_add_co_u32 v10, vcc_lo, v20, v19
	s_wait_alu 0xfffd
	v_add_co_ci_u32_e64 v11, null, 0, v21, vcc_lo
	s_wait_loadcnt_dscnt 0x0
	flat_load_d16_hi_b16 v2, v[10:11] offset:2304
.LBB690_15:
	s_wait_alu 0xfffe
	s_or_b32 exec_lo, exec_lo, s1
	v_or_b32_e32 v10, 0x600, v0
	s_mov_b32 s1, exec_lo
	s_delay_alu instid0(VALU_DEP_1)
	v_cmpx_gt_u32_e64 s0, v10
	s_cbranch_execz .LBB690_17
; %bb.16:
	v_add_co_u32 v10, vcc_lo, v20, v19
	s_wait_alu 0xfffd
	v_add_co_ci_u32_e64 v11, null, 0, v21, vcc_lo
	flat_load_d16_b16 v3, v[10:11] offset:3072
.LBB690_17:
	s_wait_alu 0xfffe
	s_or_b32 exec_lo, exec_lo, s1
	v_add_nc_u32_e32 v10, 0x780, v0
	s_mov_b32 s1, exec_lo
	s_delay_alu instid0(VALU_DEP_1)
	v_cmpx_gt_u32_e64 s0, v10
	s_cbranch_execz .LBB690_19
; %bb.18:
	v_add_co_u32 v10, vcc_lo, v20, v19
	s_wait_alu 0xfffd
	v_add_co_ci_u32_e64 v11, null, 0, v21, vcc_lo
	s_wait_loadcnt_dscnt 0x0
	flat_load_d16_hi_b16 v3, v[10:11] offset:3840
.LBB690_19:
	s_wait_alu 0xfffe
	s_or_b32 exec_lo, exec_lo, s1
	v_add_nc_u32_e32 v10, 0x900, v0
	s_mov_b32 s1, exec_lo
	s_delay_alu instid0(VALU_DEP_1)
	v_cmpx_gt_u32_e64 s0, v10
	s_cbranch_execz .LBB690_21
; %bb.20:
	v_add_co_u32 v10, vcc_lo, v20, v19
	s_wait_alu 0xfffd
	v_add_co_ci_u32_e64 v11, null, 0, v21, vcc_lo
	flat_load_d16_b16 v4, v[10:11] offset:4608
.LBB690_21:
	s_wait_alu 0xfffe
	s_or_b32 exec_lo, exec_lo, s1
	v_add_nc_u32_e32 v10, 0xa80, v0
	s_mov_b32 s1, exec_lo
	s_delay_alu instid0(VALU_DEP_1)
	v_cmpx_gt_u32_e64 s0, v10
	s_cbranch_execz .LBB690_23
; %bb.22:
	v_add_co_u32 v10, vcc_lo, v20, v19
	s_wait_alu 0xfffd
	v_add_co_ci_u32_e64 v11, null, 0, v21, vcc_lo
	s_wait_loadcnt_dscnt 0x0
	flat_load_d16_hi_b16 v4, v[10:11] offset:5376
.LBB690_23:
	s_wait_alu 0xfffe
	s_or_b32 exec_lo, exec_lo, s1
	v_or_b32_e32 v10, 0xc00, v0
	s_mov_b32 s1, exec_lo
	s_delay_alu instid0(VALU_DEP_1)
	v_cmpx_gt_u32_e64 s0, v10
	s_cbranch_execz .LBB690_25
; %bb.24:
	v_add_co_u32 v10, vcc_lo, v20, v19
	s_wait_alu 0xfffd
	v_add_co_ci_u32_e64 v11, null, 0, v21, vcc_lo
	flat_load_d16_b16 v5, v[10:11] offset:6144
.LBB690_25:
	s_wait_alu 0xfffe
	s_or_b32 exec_lo, exec_lo, s1
	v_add_nc_u32_e32 v10, 0xd80, v0
	s_mov_b32 s1, exec_lo
	s_delay_alu instid0(VALU_DEP_1)
	v_cmpx_gt_u32_e64 s0, v10
	s_cbranch_execz .LBB690_27
; %bb.26:
	v_add_co_u32 v10, vcc_lo, v20, v19
	s_wait_alu 0xfffd
	v_add_co_ci_u32_e64 v11, null, 0, v21, vcc_lo
	s_wait_loadcnt_dscnt 0x0
	flat_load_d16_hi_b16 v5, v[10:11] offset:6912
.LBB690_27:
	;; [unrolled: 54-line block ×4, first 2 shown]
	s_wait_alu 0xfffe
	s_or_b32 exec_lo, exec_lo, s1
	s_wait_loadcnt_dscnt 0x0
	ds_store_b16 v19, v1
	ds_store_b16_d16_hi v19, v1 offset:768
	ds_store_b16 v19, v2 offset:1536
	ds_store_b16_d16_hi v19, v2 offset:2304
	ds_store_b16 v19, v3 offset:3072
	;; [unrolled: 2-line block ×8, first 2 shown]
	ds_store_b16_d16_hi v19, v9 offset:13056
	s_wait_dscnt 0x0
	s_barrier_signal -1
	s_barrier_wait -1
.LBB690_44:
	v_mul_u32_u24_e32 v1, 18, v0
	s_wait_loadcnt 0x0
	global_inv scope:SCOPE_SE
	s_and_not1_b32 vcc_lo, exec_lo, s5
	v_lshlrev_b32_e32 v2, 1, v1
	ds_load_b32 v57, v2 offset:32
	ds_load_2addr_b32 v[15:16], v2 offset1:1
	ds_load_2addr_b32 v[13:14], v2 offset0:2 offset1:3
	ds_load_2addr_b32 v[11:12], v2 offset0:4 offset1:5
	;; [unrolled: 1-line block ×3, first 2 shown]
	s_wait_loadcnt_dscnt 0x0
	s_barrier_signal -1
	s_barrier_wait -1
	global_inv scope:SCOPE_SE
	v_lshrrev_b32_e32 v58, 16, v57
	v_lshrrev_b32_e32 v19, 16, v15
	;; [unrolled: 1-line block ×9, first 2 shown]
	s_wait_alu 0xfffe
	s_cbranch_vccnz .LBB690_46
; %bb.45:
	v_and_b32_e32 v22, 1, v8
	v_and_b32_e32 v20, 1, v7
	;; [unrolled: 1-line block ×5, first 2 shown]
	v_lshlrev_b16 v22, 8, v22
	v_and_b32_e32 v27, 1, v4
	v_lshlrev_b16 v20, 8, v20
	v_lshlrev_b16 v21, 8, v21
	;; [unrolled: 1-line block ×3, first 2 shown]
	v_lshrrev_b32_e32 v22, 8, v22
	v_lshlrev_b16 v25, 8, v25
	v_lshlrev_b16 v27, 8, v27
	v_and_b32_e32 v23, 1, v5
	v_and_b32_e32 v26, 1, v2
	v_lshrrev_b32_e32 v21, 8, v21
	v_lshrrev_b32_e32 v20, 8, v20
	v_and_b32_e32 v30, 1, v13
	v_lshlrev_b16 v22, 8, v22
	v_lshrrev_b32_e32 v27, 8, v27
	v_lshrrev_b32_e32 v25, 8, v25
	;; [unrolled: 1-line block ×3, first 2 shown]
	v_lshlrev_b16 v23, 8, v23
	v_lshlrev_b16 v26, 8, v26
	v_and_b32_e32 v28, 1, v15
	v_lshlrev_b16 v21, 8, v21
	v_and_b32_e32 v29, 1, v16
	v_lshlrev_b16 v20, 8, v20
	v_or_b32_e32 v22, v30, v22
	v_and_b32_e32 v30, 1, v14
	v_and_b32_e32 v31, 1, v11
	v_lshlrev_b16 v25, 8, v25
	v_and_b32_e32 v32, 1, v12
	v_lshlrev_b16 v24, 8, v24
	;; [unrolled: 2-line block ×3, first 2 shown]
	v_and_b32_e32 v34, 1, v10
	v_and_b32_e32 v59, 1, v58
	v_or_b32_e32 v21, v28, v21
	v_or_b32_e32 v20, v29, v20
	;; [unrolled: 1-line block ×7, first 2 shown]
	v_lshlrev_b16 v28, 8, v59
	v_and_b32_e32 v29, 1, v57
	v_and_b32_e32 v21, 0xffff, v21
	v_lshlrev_b32_e32 v20, 16, v20
	v_and_b32_e32 v22, 0xffff, v22
	v_lshlrev_b32_e32 v23, 16, v23
	;; [unrolled: 2-line block ×4, first 2 shown]
	v_or_b32_e32 v60, v29, v28
	v_or_b32_e32 v55, v21, v20
	;; [unrolled: 1-line block ×5, first 2 shown]
	s_cbranch_execz .LBB690_47
	s_branch .LBB690_48
.LBB690_46:
                                        ; implicit-def: $vgpr59
                                        ; implicit-def: $vgpr60
                                        ; implicit-def: $vgpr61
                                        ; implicit-def: $vgpr62
                                        ; implicit-def: $vgpr64
                                        ; implicit-def: $vgpr55
.LBB690_47:
	v_or_b32_e32 v20, 1, v1
	v_cmp_gt_u32_e32 vcc_lo, s0, v1
	v_add_nc_u32_e32 v22, 3, v1
	v_add_nc_u32_e32 v23, 5, v1
	;; [unrolled: 1-line block ×4, first 2 shown]
	s_wait_alu 0xfffd
	v_cndmask_b32_e64 v21, 0, 1, vcc_lo
	v_cmp_gt_u32_e32 vcc_lo, s0, v20
	v_add_nc_u32_e32 v26, 13, v1
	v_add_nc_u32_e32 v27, 12, v1
	;; [unrolled: 1-line block ×3, first 2 shown]
	v_and_b32_e32 v21, v21, v15
	s_wait_alu 0xfffd
	v_cndmask_b32_e64 v20, 0, 1, vcc_lo
	v_cmp_gt_u32_e32 vcc_lo, s0, v22
	v_add_nc_u32_e32 v29, 16, v1
	v_and_b32_e32 v21, 1, v21
	s_delay_alu instid0(VALU_DEP_4)
	v_and_b32_e32 v19, v20, v19
	s_wait_alu 0xfffd
	v_cndmask_b32_e64 v22, 0, 1, vcc_lo
	v_cmp_gt_u32_e32 vcc_lo, s0, v23
	v_add_nc_u32_e32 v23, 2, v1
	v_lshlrev_b16 v19, 8, v19
	s_delay_alu instid0(VALU_DEP_4)
	v_and_b32_e32 v7, v22, v7
	s_wait_alu 0xfffd
	v_cndmask_b32_e64 v20, 0, 1, vcc_lo
	v_cmp_gt_u32_e32 vcc_lo, s0, v24
	v_add_nc_u32_e32 v22, 9, v1
	v_add_nc_u32_e32 v24, 7, v1
	v_lshlrev_b16 v7, 8, v7
	v_and_b32_e32 v8, v20, v8
	s_wait_alu 0xfffd
	v_cndmask_b32_e64 v20, 0, 1, vcc_lo
	v_cmp_gt_u32_e32 vcc_lo, s0, v22
	v_lshrrev_b32_e32 v19, 8, v19
	v_lshrrev_b32_e32 v7, 8, v7
	v_lshlrev_b16 v8, 8, v8
	v_and_b32_e32 v20, v20, v13
	s_wait_alu 0xfffd
	v_cndmask_b32_e64 v22, 0, 1, vcc_lo
	v_cmp_gt_u32_e32 vcc_lo, s0, v24
	v_and_b32_e32 v7, 1, v7
	v_lshrrev_b32_e32 v8, 8, v8
	v_lshlrev_b16 v19, 8, v19
	v_and_b32_e32 v6, v22, v6
	s_wait_alu 0xfffd
	v_cndmask_b32_e64 v24, 0, 1, vcc_lo
	v_cmp_gt_u32_e32 vcc_lo, s0, v23
	v_lshlrev_b16 v7, 8, v7
	v_lshlrev_b16 v8, 8, v8
	;; [unrolled: 1-line block ×3, first 2 shown]
	v_and_b32_e32 v5, v24, v5
	s_wait_alu 0xfffd
	v_cndmask_b32_e32 v23, 0, v16, vcc_lo
	v_cmp_gt_u32_e32 vcc_lo, s0, v25
	v_add_nc_u32_e32 v24, 6, v1
	v_add_nc_u32_e32 v25, 11, v1
	v_lshlrev_b16 v5, 8, v5
	v_and_b32_e32 v23, 1, v23
	s_wait_alu 0xfffd
	v_cndmask_b32_e64 v22, 0, 1, vcc_lo
	v_cmp_gt_u32_e32 vcc_lo, s0, v24
	v_and_b32_e32 v20, 1, v20
	v_lshrrev_b32_e32 v5, 8, v5
	v_lshrrev_b32_e32 v6, 8, v6
	v_and_b32_e32 v22, v22, v11
	s_wait_alu 0xfffd
	v_cndmask_b32_e64 v24, 0, 1, vcc_lo
	v_cmp_gt_u32_e32 vcc_lo, s0, v25
	v_or_b32_e32 v19, v21, v19
	v_or_b32_e32 v7, v23, v7
	;; [unrolled: 1-line block ×3, first 2 shown]
	v_and_b32_e32 v24, v24, v14
	s_wait_alu 0xfffd
	v_cndmask_b32_e64 v25, 0, 1, vcc_lo
	v_cmp_gt_u32_e32 vcc_lo, s0, v26
	v_lshlrev_b16 v5, 8, v5
	v_lshlrev_b16 v6, 8, v6
	v_and_b32_e32 v20, 1, v24
	v_and_b32_e32 v3, v25, v3
	s_wait_alu 0xfffd
	v_cndmask_b32_e64 v26, 0, 1, vcc_lo
	v_cmp_gt_u32_e32 vcc_lo, s0, v27
	v_add_nc_u32_e32 v27, 14, v1
	v_and_b32_e32 v21, 1, v22
	v_lshlrev_b16 v3, 8, v3
	v_and_b32_e32 v4, v26, v4
	v_add_nc_u32_e32 v26, 10, v1
	s_wait_alu 0xfffd
	v_cndmask_b32_e64 v25, 0, 1, vcc_lo
	v_add_nc_u32_e32 v1, 17, v1
	v_lshrrev_b32_e32 v3, 8, v3
	v_lshlrev_b16 v4, 8, v4
	v_cmp_gt_u32_e32 vcc_lo, s0, v26
	v_and_b32_e32 v25, v25, v9
	v_or_b32_e32 v5, v20, v5
	v_and_b32_e32 v3, 1, v3
	v_lshrrev_b32_e32 v4, 8, v4
	s_wait_alu 0xfffd
	v_cndmask_b32_e32 v26, 0, v12, vcc_lo
	v_cmp_gt_u32_e32 vcc_lo, s0, v27
	v_and_b32_e32 v23, 1, v25
	v_lshlrev_b16 v3, 8, v3
	v_lshlrev_b16 v4, 8, v4
	v_and_b32_e32 v22, 1, v26
	s_wait_alu 0xfffd
	v_cndmask_b32_e64 v27, 0, 1, vcc_lo
	v_cmp_gt_u32_e32 vcc_lo, s0, v28
	v_or_b32_e32 v6, v21, v6
	v_or_b32_e32 v4, v23, v4
	;; [unrolled: 1-line block ×3, first 2 shown]
	v_and_b32_e32 v27, v27, v10
	s_wait_alu 0xfffd
	v_cndmask_b32_e64 v28, 0, 1, vcc_lo
	v_cmp_gt_u32_e32 vcc_lo, s0, v29
	v_and_b32_e32 v19, 0xffff, v19
	v_lshlrev_b32_e32 v7, 16, v7
	v_and_b32_e32 v8, 0xffff, v8
	v_and_b32_e32 v2, v28, v2
	s_wait_alu 0xfffd
	v_cndmask_b32_e64 v29, 0, 1, vcc_lo
	v_cmp_gt_u32_e32 vcc_lo, s0, v1
	v_lshlrev_b32_e32 v5, 16, v5
	v_and_b32_e32 v6, 0xffff, v6
	v_lshlrev_b16 v2, 8, v2
	v_lshlrev_b32_e32 v3, 16, v3
	s_wait_alu 0xfffd
	v_cndmask_b32_e64 v1, 0, 1, vcc_lo
	v_and_b32_e32 v4, 0xffff, v4
	v_and_b32_e32 v60, v29, v57
	v_or_b32_e32 v2, v27, v2
	v_or_b32_e32 v55, v19, v7
	v_and_b32_e32 v59, v1, v58
	v_or_b32_e32 v64, v8, v5
	v_or_b32_e32 v62, v6, v3
	v_lshlrev_b32_e32 v2, 16, v2
	s_delay_alu instid0(VALU_DEP_1)
	v_or_b32_e32 v61, v4, v2
.LBB690_48:
	v_and_b32_e32 v30, 0xff, v55
	v_bfe_u32 v29, v55, 8, 8
	v_bfe_u32 v28, v55, 16, 8
	v_lshrrev_b32_e32 v67, 24, v55
	v_and_b32_e32 v36, 0xff, v64
	v_bfe_u32 v35, v64, 8, 8
	v_bfe_u32 v34, v64, 16, 8
	v_add3_u32 v1, v29, v30, v28
	v_lshrrev_b32_e32 v66, 24, v64
	v_dual_mov_b32 v2, 0 :: v_dual_and_b32 v33, 0xff, v62
	v_bfe_u32 v32, v62, 8, 8
	s_delay_alu instid0(VALU_DEP_4) | instskip(SKIP_3) | instid1(VALU_DEP_3)
	v_add_co_u32 v1, s0, v1, v67
	s_wait_alu 0xf1ff
	v_add_co_ci_u32_e64 v3, null, 0, 0, s0
	v_bfe_u32 v31, v62, 16, 8
	v_add_co_u32 v1, vcc_lo, v1, v36
	s_wait_alu 0xfffd
	s_delay_alu instid0(VALU_DEP_3) | instskip(SKIP_1) | instid1(VALU_DEP_3)
	v_add_co_ci_u32_e64 v3, null, 0, v3, vcc_lo
	v_lshrrev_b32_e32 v65, 24, v62
	v_add_co_u32 v1, vcc_lo, v1, v35
	s_wait_alu 0xfffd
	s_delay_alu instid0(VALU_DEP_3) | instskip(SKIP_1) | instid1(VALU_DEP_3)
	v_add_co_ci_u32_e64 v3, null, 0, v3, vcc_lo
	v_and_b32_e32 v69, 0xff, v61
	v_add_co_u32 v1, vcc_lo, v1, v34
	s_wait_alu 0xfffd
	s_delay_alu instid0(VALU_DEP_3) | instskip(SKIP_1) | instid1(VALU_DEP_3)
	v_add_co_ci_u32_e64 v3, null, 0, v3, vcc_lo
	v_bfe_u32 v27, v61, 8, 8
	v_add_co_u32 v1, vcc_lo, v1, v66
	s_wait_alu 0xfffd
	s_delay_alu instid0(VALU_DEP_3) | instskip(SKIP_1) | instid1(VALU_DEP_3)
	v_add_co_ci_u32_e64 v3, null, 0, v3, vcc_lo
	v_bfe_u32 v68, v61, 16, 8
	v_add_co_u32 v1, vcc_lo, v1, v33
	s_wait_alu 0xfffd
	s_delay_alu instid0(VALU_DEP_3) | instskip(SKIP_1) | instid1(VALU_DEP_3)
	v_add_co_ci_u32_e64 v3, null, 0, v3, vcc_lo
	v_lshrrev_b32_e32 v63, 24, v61
	v_add_co_u32 v1, vcc_lo, v1, v32
	s_wait_alu 0xfffd
	s_delay_alu instid0(VALU_DEP_3) | instskip(SKIP_1) | instid1(VALU_DEP_3)
	v_add_co_ci_u32_e64 v3, null, 0, v3, vcc_lo
	v_and_b32_e32 v56, 0xff, v60
	v_add_co_u32 v1, vcc_lo, v1, v31
	s_wait_alu 0xfffd
	s_delay_alu instid0(VALU_DEP_3) | instskip(SKIP_1) | instid1(VALU_DEP_3)
	v_add_co_ci_u32_e64 v3, null, 0, v3, vcc_lo
	v_mbcnt_lo_u32_b32 v37, -1, 0
	v_add_co_u32 v1, vcc_lo, v1, v65
	s_wait_alu 0xfffd
	s_delay_alu instid0(VALU_DEP_3) | instskip(SKIP_1) | instid1(VALU_DEP_3)
	v_add_co_ci_u32_e64 v3, null, 0, v3, vcc_lo
	v_and_b32_e32 v4, 0xff, v59
	v_add_co_u32 v1, vcc_lo, v1, v69
	s_wait_alu 0xfffd
	s_delay_alu instid0(VALU_DEP_3) | instskip(SKIP_1) | instid1(VALU_DEP_3)
	v_add_co_ci_u32_e64 v3, null, 0, v3, vcc_lo
	v_and_b32_e32 v38, 15, v37
	v_add_co_u32 v1, vcc_lo, v1, v27
	s_wait_alu 0xfffd
	s_delay_alu instid0(VALU_DEP_3) | instskip(NEXT) | instid1(VALU_DEP_3)
	v_add_co_ci_u32_e64 v3, null, 0, v3, vcc_lo
	v_cmp_ne_u32_e64 s0, 0, v38
	s_delay_alu instid0(VALU_DEP_3) | instskip(SKIP_1) | instid1(VALU_DEP_3)
	v_add_co_u32 v1, vcc_lo, v1, v68
	s_wait_alu 0xfffd
	v_add_co_ci_u32_e64 v3, null, 0, v3, vcc_lo
	s_cmp_lg_u32 s10, 0
	v_add_co_u32 v1, vcc_lo, v1, v63
	s_wait_alu 0xfffd
	v_add_co_ci_u32_e64 v3, null, 0, v3, vcc_lo
	s_mov_b32 s1, -1
	v_add_co_u32 v1, vcc_lo, v1, v56
	s_wait_alu 0xfffd
	v_add_co_ci_u32_e64 v3, null, 0, v3, vcc_lo
	s_delay_alu instid0(VALU_DEP_2) | instskip(SKIP_1) | instid1(VALU_DEP_2)
	v_add_co_u32 v19, vcc_lo, v1, v4
	s_wait_alu 0xfffd
	v_add_co_ci_u32_e64 v20, null, 0, v3, vcc_lo
	s_cbranch_scc0 .LBB690_107
; %bb.49:
	v_mov_b32_e32 v3, v19
	v_mov_b32_dpp v1, v19 row_shr:1 row_mask:0xf bank_mask:0xf
	v_mov_b32_dpp v6, v2 row_shr:1 row_mask:0xf bank_mask:0xf
	v_dual_mov_b32 v5, v19 :: v_dual_mov_b32 v4, v20
	s_and_saveexec_b32 s1, s0
; %bb.50:
	s_delay_alu instid0(VALU_DEP_3) | instskip(SKIP_2) | instid1(VALU_DEP_2)
	v_add_co_u32 v5, vcc_lo, v19, v1
	s_wait_alu 0xfffd
	v_add_co_ci_u32_e64 v2, null, 0, v20, vcc_lo
	v_add_co_u32 v1, vcc_lo, 0, v5
	s_wait_alu 0xfffd
	s_delay_alu instid0(VALU_DEP_2) | instskip(NEXT) | instid1(VALU_DEP_1)
	v_add_co_ci_u32_e64 v2, null, v6, v2, vcc_lo
	v_dual_mov_b32 v4, v2 :: v_dual_mov_b32 v3, v1
; %bb.51:
	s_wait_alu 0xfffe
	s_or_b32 exec_lo, exec_lo, s1
	v_mov_b32_dpp v1, v5 row_shr:2 row_mask:0xf bank_mask:0xf
	v_mov_b32_dpp v6, v2 row_shr:2 row_mask:0xf bank_mask:0xf
	v_cmp_lt_u32_e32 vcc_lo, 1, v38
	s_and_saveexec_b32 s3, vcc_lo
; %bb.52:
	s_delay_alu instid0(VALU_DEP_3) | instskip(SKIP_2) | instid1(VALU_DEP_2)
	v_add_co_u32 v5, s1, v3, v1
	s_wait_alu 0xf1ff
	v_add_co_ci_u32_e64 v2, null, 0, v4, s1
	v_add_co_u32 v1, s1, 0, v5
	s_wait_alu 0xf1ff
	s_delay_alu instid0(VALU_DEP_2) | instskip(NEXT) | instid1(VALU_DEP_1)
	v_add_co_ci_u32_e64 v2, null, v6, v2, s1
	v_dual_mov_b32 v4, v2 :: v_dual_mov_b32 v3, v1
; %bb.53:
	s_or_b32 exec_lo, exec_lo, s3
	v_mov_b32_dpp v1, v5 row_shr:4 row_mask:0xf bank_mask:0xf
	v_mov_b32_dpp v6, v2 row_shr:4 row_mask:0xf bank_mask:0xf
	v_cmp_lt_u32_e64 s1, 3, v38
	s_and_saveexec_b32 s4, s1
; %bb.54:
	v_add_co_u32 v5, s3, v3, v1
	s_delay_alu instid0(VALU_DEP_1) | instskip(NEXT) | instid1(VALU_DEP_2)
	v_add_co_ci_u32_e64 v2, null, 0, v4, s3
	v_add_co_u32 v1, s3, 0, v5
	s_wait_alu 0xf1ff
	s_delay_alu instid0(VALU_DEP_2) | instskip(NEXT) | instid1(VALU_DEP_1)
	v_add_co_ci_u32_e64 v2, null, v6, v2, s3
	v_dual_mov_b32 v4, v2 :: v_dual_mov_b32 v3, v1
; %bb.55:
	s_wait_alu 0xfffe
	s_or_b32 exec_lo, exec_lo, s4
	v_mov_b32_dpp v6, v5 row_shr:8 row_mask:0xf bank_mask:0xf
	v_mov_b32_dpp v1, v2 row_shr:8 row_mask:0xf bank_mask:0xf
	v_cmp_lt_u32_e64 s3, 7, v38
	s_and_saveexec_b32 s7, s3
; %bb.56:
	v_add_co_u32 v5, s4, v3, v6
	s_wait_alu 0xf1ff
	v_add_co_ci_u32_e64 v2, null, 0, v4, s4
	s_delay_alu instid0(VALU_DEP_2) | instskip(SKIP_1) | instid1(VALU_DEP_2)
	v_add_co_u32 v3, s4, 0, v5
	s_wait_alu 0xf1ff
	v_add_co_ci_u32_e64 v4, null, v1, v2, s4
	s_delay_alu instid0(VALU_DEP_1)
	v_mov_b32_e32 v2, v4
; %bb.57:
	s_wait_alu 0xfffe
	s_or_b32 exec_lo, exec_lo, s7
	ds_swizzle_b32 v1, v5 offset:swizzle(BROADCAST,32,15)
	ds_swizzle_b32 v6, v2 offset:swizzle(BROADCAST,32,15)
	v_and_b32_e32 v7, 16, v37
	s_mov_b32 s7, exec_lo
	s_delay_alu instid0(VALU_DEP_1)
	v_cmpx_ne_u32_e32 0, v7
	s_cbranch_execz .LBB690_59
; %bb.58:
	s_wait_dscnt 0x1
	v_add_co_u32 v5, s4, v3, v1
	s_wait_alu 0xf1ff
	v_add_co_ci_u32_e64 v2, null, 0, v4, s4
	s_delay_alu instid0(VALU_DEP_2) | instskip(SKIP_2) | instid1(VALU_DEP_2)
	v_add_co_u32 v1, s4, 0, v5
	s_wait_dscnt 0x0
	s_wait_alu 0xf1ff
	v_add_co_ci_u32_e64 v2, null, v6, v2, s4
	s_delay_alu instid0(VALU_DEP_1)
	v_dual_mov_b32 v4, v2 :: v_dual_mov_b32 v3, v1
.LBB690_59:
	s_wait_alu 0xfffe
	s_or_b32 exec_lo, exec_lo, s7
	s_wait_dscnt 0x1
	v_and_b32_e32 v1, 0x1e0, v0
	s_mov_b32 s7, exec_lo
	s_delay_alu instid0(VALU_DEP_1) | instskip(SKIP_1) | instid1(VALU_DEP_1)
	v_min_u32_e32 v1, 0x160, v1
	s_wait_dscnt 0x0
	v_or_b32_e32 v6, 31, v1
	v_lshrrev_b32_e32 v1, 5, v0
	s_delay_alu instid0(VALU_DEP_2)
	v_cmpx_eq_u32_e64 v0, v6
; %bb.60:
	s_delay_alu instid0(VALU_DEP_2)
	v_lshlrev_b32_e32 v6, 3, v1
	ds_store_b64 v6, v[3:4]
; %bb.61:
	s_wait_alu 0xfffe
	s_or_b32 exec_lo, exec_lo, s7
	s_delay_alu instid0(SALU_CYCLE_1)
	s_mov_b32 s7, exec_lo
	s_wait_loadcnt_dscnt 0x0
	s_barrier_signal -1
	s_barrier_wait -1
	global_inv scope:SCOPE_SE
	v_cmpx_gt_u32_e32 12, v0
	s_cbranch_execz .LBB690_71
; %bb.62:
	v_lshlrev_b32_e32 v6, 3, v0
	ds_load_b64 v[3:4], v6
	s_wait_dscnt 0x0
	v_mov_b32_dpp v21, v3 row_shr:1 row_mask:0xf bank_mask:0xf
	v_mov_b32_dpp v8, v4 row_shr:1 row_mask:0xf bank_mask:0xf
	v_mov_b32_e32 v7, v3
	s_and_saveexec_b32 s11, s0
; %bb.63:
	s_delay_alu instid0(VALU_DEP_3) | instskip(SKIP_2) | instid1(VALU_DEP_2)
	v_add_co_u32 v7, s4, v3, v21
	s_wait_alu 0xf1ff
	v_add_co_ci_u32_e64 v4, null, 0, v4, s4
	v_add_co_u32 v3, s4, 0, v7
	s_wait_alu 0xf1ff
	s_delay_alu instid0(VALU_DEP_2)
	v_add_co_ci_u32_e64 v4, null, v8, v4, s4
; %bb.64:
	s_or_b32 exec_lo, exec_lo, s11
	v_mov_b32_dpp v21, v7 row_shr:2 row_mask:0xf bank_mask:0xf
	s_delay_alu instid0(VALU_DEP_2)
	v_mov_b32_dpp v8, v4 row_shr:2 row_mask:0xf bank_mask:0xf
	s_and_saveexec_b32 s4, vcc_lo
; %bb.65:
	s_delay_alu instid0(VALU_DEP_2) | instskip(SKIP_2) | instid1(VALU_DEP_2)
	v_add_co_u32 v7, vcc_lo, v3, v21
	s_wait_alu 0xfffd
	v_add_co_ci_u32_e64 v4, null, 0, v4, vcc_lo
	v_add_co_u32 v3, vcc_lo, 0, v7
	s_wait_alu 0xfffd
	s_delay_alu instid0(VALU_DEP_2)
	v_add_co_ci_u32_e64 v4, null, v8, v4, vcc_lo
; %bb.66:
	s_wait_alu 0xfffe
	s_or_b32 exec_lo, exec_lo, s4
	v_mov_b32_dpp v21, v7 row_shr:4 row_mask:0xf bank_mask:0xf
	s_delay_alu instid0(VALU_DEP_2)
	v_mov_b32_dpp v8, v4 row_shr:4 row_mask:0xf bank_mask:0xf
	s_and_saveexec_b32 s4, s1
; %bb.67:
	s_delay_alu instid0(VALU_DEP_2) | instskip(SKIP_2) | instid1(VALU_DEP_2)
	v_add_co_u32 v7, vcc_lo, v3, v21
	s_wait_alu 0xfffd
	v_add_co_ci_u32_e64 v4, null, 0, v4, vcc_lo
	v_add_co_u32 v3, vcc_lo, 0, v7
	s_wait_alu 0xfffd
	s_delay_alu instid0(VALU_DEP_2)
	v_add_co_ci_u32_e64 v4, null, v8, v4, vcc_lo
; %bb.68:
	s_wait_alu 0xfffe
	s_or_b32 exec_lo, exec_lo, s4
	v_mov_b32_dpp v8, v7 row_shr:8 row_mask:0xf bank_mask:0xf
	s_delay_alu instid0(VALU_DEP_2)
	v_mov_b32_dpp v7, v4 row_shr:8 row_mask:0xf bank_mask:0xf
	s_and_saveexec_b32 s1, s3
; %bb.69:
	s_delay_alu instid0(VALU_DEP_2) | instskip(SKIP_2) | instid1(VALU_DEP_2)
	v_add_co_u32 v3, vcc_lo, v3, v8
	s_wait_alu 0xfffd
	v_add_co_ci_u32_e64 v4, null, 0, v4, vcc_lo
	v_add_co_u32 v3, vcc_lo, v3, 0
	s_wait_alu 0xfffd
	s_delay_alu instid0(VALU_DEP_2)
	v_add_co_ci_u32_e64 v4, null, v4, v7, vcc_lo
; %bb.70:
	s_wait_alu 0xfffe
	s_or_b32 exec_lo, exec_lo, s1
	ds_store_b64 v6, v[3:4]
.LBB690_71:
	s_wait_alu 0xfffe
	s_or_b32 exec_lo, exec_lo, s7
	s_delay_alu instid0(SALU_CYCLE_1)
	s_mov_b32 s3, exec_lo
	v_cmp_gt_u32_e32 vcc_lo, 32, v0
	s_wait_loadcnt_dscnt 0x0
	s_barrier_signal -1
	s_barrier_wait -1
	global_inv scope:SCOPE_SE
                                        ; implicit-def: $vgpr21_vgpr22
	v_cmpx_lt_u32_e32 31, v0
	s_cbranch_execz .LBB690_73
; %bb.72:
	v_lshl_add_u32 v1, v1, 3, -8
	ds_load_b64 v[21:22], v1
	s_wait_dscnt 0x0
	v_add_co_u32 v5, s1, v5, v21
	s_wait_alu 0xf1ff
	v_add_co_ci_u32_e64 v2, null, v2, v22, s1
.LBB690_73:
	s_wait_alu 0xfffe
	s_or_b32 exec_lo, exec_lo, s3
	v_sub_co_u32 v1, s1, v37, 1
	s_delay_alu instid0(VALU_DEP_1) | instskip(SKIP_1) | instid1(VALU_DEP_1)
	v_cmp_gt_i32_e64 s3, 0, v1
	s_wait_alu 0xf1ff
	v_cndmask_b32_e64 v1, v1, v37, s3
	s_delay_alu instid0(VALU_DEP_1)
	v_lshlrev_b32_e32 v1, 2, v1
	ds_bpermute_b32 v39, v1, v5
	ds_bpermute_b32 v40, v1, v2
	s_and_saveexec_b32 s3, vcc_lo
	s_cbranch_execz .LBB690_112
; %bb.74:
	v_mov_b32_e32 v4, 0
	ds_load_b64 v[1:2], v4 offset:88
	s_and_saveexec_b32 s4, s1
	s_cbranch_execz .LBB690_76
; %bb.75:
	s_add_co_i32 s16, s10, 32
	s_mov_b32 s17, 0
	s_wait_alu 0xfffe
	s_lshl_b64 s[16:17], s[16:17], 4
	s_wait_alu 0xfffe
	s_add_nc_u64 s[16:17], s[14:15], s[16:17]
	v_mov_b32_e32 v3, 1
	s_wait_alu 0xfffe
	v_dual_mov_b32 v5, s16 :: v_dual_mov_b32 v6, s17
	s_wait_dscnt 0x0
	;;#ASMSTART
	global_store_b128 v[5:6], v[1:4] off scope:SCOPE_DEV	
s_wait_storecnt 0x0
	;;#ASMEND
.LBB690_76:
	s_wait_alu 0xfffe
	s_or_b32 exec_lo, exec_lo, s4
	v_xad_u32 v23, v37, -1, s10
	s_mov_b32 s7, 0
	s_mov_b32 s4, exec_lo
	s_delay_alu instid0(VALU_DEP_1) | instskip(NEXT) | instid1(VALU_DEP_1)
	v_add_nc_u32_e32 v3, 32, v23
	v_lshlrev_b64_e32 v[3:4], 4, v[3:4]
	s_delay_alu instid0(VALU_DEP_1) | instskip(SKIP_1) | instid1(VALU_DEP_2)
	v_add_co_u32 v3, vcc_lo, s14, v3
	s_wait_alu 0xfffd
	v_add_co_ci_u32_e64 v4, null, s15, v4, vcc_lo
	;;#ASMSTART
	global_load_b128 v[5:8], v[3:4] off scope:SCOPE_DEV	
s_wait_loadcnt 0x0
	;;#ASMEND
	v_and_b32_e32 v8, 0xff, v7
	s_delay_alu instid0(VALU_DEP_1)
	v_cmpx_eq_u16_e32 0, v8
	s_cbranch_execz .LBB690_79
.LBB690_77:                             ; =>This Inner Loop Header: Depth=1
	;;#ASMSTART
	global_load_b128 v[5:8], v[3:4] off scope:SCOPE_DEV	
s_wait_loadcnt 0x0
	;;#ASMEND
	v_and_b32_e32 v8, 0xff, v7
	s_delay_alu instid0(VALU_DEP_1)
	v_cmp_ne_u16_e32 vcc_lo, 0, v8
	s_wait_alu 0xfffe
	s_or_b32 s7, vcc_lo, s7
	s_wait_alu 0xfffe
	s_and_not1_b32 exec_lo, exec_lo, s7
	s_cbranch_execnz .LBB690_77
; %bb.78:
	s_or_b32 exec_lo, exec_lo, s7
.LBB690_79:
	s_wait_alu 0xfffe
	s_or_b32 exec_lo, exec_lo, s4
	v_cmp_ne_u32_e32 vcc_lo, 31, v37
	v_and_b32_e32 v4, 0xff, v7
	v_lshlrev_b32_e64 v42, v37, -1
	s_mov_b32 s4, exec_lo
	s_wait_alu 0xfffd
	v_add_co_ci_u32_e64 v3, null, 0, v37, vcc_lo
	v_cmp_eq_u16_e32 vcc_lo, 2, v4
	s_delay_alu instid0(VALU_DEP_2)
	v_dual_mov_b32 v4, v5 :: v_dual_lshlrev_b32 v41, 2, v3
	s_wait_alu 0xfffd
	v_and_or_b32 v3, vcc_lo, v42, 0x80000000
	ds_bpermute_b32 v24, v41, v5
	ds_bpermute_b32 v8, v41, v6
	v_ctz_i32_b32_e32 v3, v3
	s_delay_alu instid0(VALU_DEP_1)
	v_cmpx_lt_u32_e64 v37, v3
	s_cbranch_execz .LBB690_81
; %bb.80:
	s_wait_dscnt 0x1
	v_add_co_u32 v4, vcc_lo, v5, v24
	s_wait_alu 0xfffd
	v_add_co_ci_u32_e64 v6, null, 0, v6, vcc_lo
	s_delay_alu instid0(VALU_DEP_2) | instskip(SKIP_2) | instid1(VALU_DEP_2)
	v_add_co_u32 v5, vcc_lo, 0, v4
	s_wait_dscnt 0x0
	s_wait_alu 0xfffd
	v_add_co_ci_u32_e64 v6, null, v8, v6, vcc_lo
.LBB690_81:
	s_wait_alu 0xfffe
	s_or_b32 exec_lo, exec_lo, s4
	v_cmp_gt_u32_e32 vcc_lo, 30, v37
	v_add_nc_u32_e32 v44, 2, v37
	s_mov_b32 s4, exec_lo
	s_wait_dscnt 0x0
	s_wait_alu 0xfffd
	v_cndmask_b32_e64 v8, 0, 2, vcc_lo
	s_delay_alu instid0(VALU_DEP_1)
	v_add_lshl_u32 v43, v8, v37, 2
	ds_bpermute_b32 v24, v43, v4
	ds_bpermute_b32 v8, v43, v6
	v_cmpx_le_u32_e64 v44, v3
	s_cbranch_execz .LBB690_83
; %bb.82:
	s_wait_dscnt 0x1
	v_add_co_u32 v4, vcc_lo, v5, v24
	s_wait_alu 0xfffd
	v_add_co_ci_u32_e64 v6, null, 0, v6, vcc_lo
	s_delay_alu instid0(VALU_DEP_2) | instskip(SKIP_2) | instid1(VALU_DEP_2)
	v_add_co_u32 v5, vcc_lo, 0, v4
	s_wait_dscnt 0x0
	s_wait_alu 0xfffd
	v_add_co_ci_u32_e64 v6, null, v8, v6, vcc_lo
.LBB690_83:
	s_wait_alu 0xfffe
	s_or_b32 exec_lo, exec_lo, s4
	v_cmp_gt_u32_e32 vcc_lo, 28, v37
	v_add_nc_u32_e32 v46, 4, v37
	s_mov_b32 s4, exec_lo
	s_wait_dscnt 0x0
	s_wait_alu 0xfffd
	v_cndmask_b32_e64 v8, 0, 4, vcc_lo
	s_delay_alu instid0(VALU_DEP_1)
	v_add_lshl_u32 v45, v8, v37, 2
	ds_bpermute_b32 v24, v45, v4
	ds_bpermute_b32 v8, v45, v6
	v_cmpx_le_u32_e64 v46, v3
	s_cbranch_execz .LBB690_85
; %bb.84:
	s_wait_dscnt 0x1
	v_add_co_u32 v4, vcc_lo, v5, v24
	s_wait_alu 0xfffd
	v_add_co_ci_u32_e64 v6, null, 0, v6, vcc_lo
	s_delay_alu instid0(VALU_DEP_2) | instskip(SKIP_2) | instid1(VALU_DEP_2)
	v_add_co_u32 v5, vcc_lo, 0, v4
	s_wait_dscnt 0x0
	s_wait_alu 0xfffd
	v_add_co_ci_u32_e64 v6, null, v8, v6, vcc_lo
.LBB690_85:
	s_wait_alu 0xfffe
	s_or_b32 exec_lo, exec_lo, s4
	v_cmp_gt_u32_e32 vcc_lo, 24, v37
	v_add_nc_u32_e32 v48, 8, v37
	s_mov_b32 s4, exec_lo
	s_wait_dscnt 0x0
	s_wait_alu 0xfffd
	v_cndmask_b32_e64 v8, 0, 8, vcc_lo
	s_delay_alu instid0(VALU_DEP_1)
	v_add_lshl_u32 v47, v8, v37, 2
	ds_bpermute_b32 v24, v47, v4
	ds_bpermute_b32 v8, v47, v6
	v_cmpx_le_u32_e64 v48, v3
	s_cbranch_execz .LBB690_87
; %bb.86:
	s_wait_dscnt 0x1
	v_add_co_u32 v4, vcc_lo, v5, v24
	s_wait_alu 0xfffd
	v_add_co_ci_u32_e64 v6, null, 0, v6, vcc_lo
	s_delay_alu instid0(VALU_DEP_2) | instskip(SKIP_2) | instid1(VALU_DEP_2)
	v_add_co_u32 v5, vcc_lo, 0, v4
	s_wait_dscnt 0x0
	s_wait_alu 0xfffd
	v_add_co_ci_u32_e64 v6, null, v8, v6, vcc_lo
.LBB690_87:
	s_wait_alu 0xfffe
	s_or_b32 exec_lo, exec_lo, s4
	v_lshl_or_b32 v49, v37, 2, 64
	v_add_nc_u32_e32 v50, 16, v37
	s_mov_b32 s4, exec_lo
	s_wait_dscnt 0x0
	ds_bpermute_b32 v8, v49, v4
	ds_bpermute_b32 v4, v49, v6
	v_cmpx_le_u32_e64 v50, v3
	s_cbranch_execz .LBB690_89
; %bb.88:
	s_wait_dscnt 0x1
	v_add_co_u32 v3, vcc_lo, v5, v8
	s_wait_alu 0xfffd
	v_add_co_ci_u32_e64 v6, null, 0, v6, vcc_lo
	s_delay_alu instid0(VALU_DEP_2) | instskip(SKIP_2) | instid1(VALU_DEP_2)
	v_add_co_u32 v5, vcc_lo, v3, 0
	s_wait_dscnt 0x0
	s_wait_alu 0xfffd
	v_add_co_ci_u32_e64 v6, null, v6, v4, vcc_lo
.LBB690_89:
	s_wait_alu 0xfffe
	s_or_b32 exec_lo, exec_lo, s4
	v_mov_b32_e32 v24, 0
	s_branch .LBB690_92
.LBB690_90:                             ;   in Loop: Header=BB690_92 Depth=1
	s_wait_alu 0xfffe
	s_or_b32 exec_lo, exec_lo, s4
	v_add_co_u32 v5, vcc_lo, v5, v3
	v_subrev_nc_u32_e32 v23, 32, v23
	s_wait_alu 0xfffd
	v_add_co_ci_u32_e64 v6, null, v6, v4, vcc_lo
	s_mov_b32 s4, 0
.LBB690_91:                             ;   in Loop: Header=BB690_92 Depth=1
	s_wait_alu 0xfffe
	s_and_b32 vcc_lo, exec_lo, s4
	s_wait_alu 0xfffe
	s_cbranch_vccnz .LBB690_108
.LBB690_92:                             ; =>This Loop Header: Depth=1
                                        ;     Child Loop BB690_95 Depth 2
	v_and_b32_e32 v3, 0xff, v7
	s_mov_b32 s4, -1
	s_delay_alu instid0(VALU_DEP_1)
	v_cmp_ne_u16_e32 vcc_lo, 2, v3
	s_wait_dscnt 0x0
	v_dual_mov_b32 v3, v5 :: v_dual_mov_b32 v4, v6
                                        ; implicit-def: $vgpr5_vgpr6
	s_cmp_lg_u32 vcc_lo, exec_lo
	s_cbranch_scc1 .LBB690_91
; %bb.93:                               ;   in Loop: Header=BB690_92 Depth=1
	v_lshlrev_b64_e32 v[5:6], 4, v[23:24]
	s_mov_b32 s4, exec_lo
	s_delay_alu instid0(VALU_DEP_1) | instskip(SKIP_1) | instid1(VALU_DEP_2)
	v_add_co_u32 v25, vcc_lo, s14, v5
	s_wait_alu 0xfffd
	v_add_co_ci_u32_e64 v26, null, s15, v6, vcc_lo
	;;#ASMSTART
	global_load_b128 v[5:8], v[25:26] off scope:SCOPE_DEV	
s_wait_loadcnt 0x0
	;;#ASMEND
	v_and_b32_e32 v8, 0xff, v7
	s_delay_alu instid0(VALU_DEP_1)
	v_cmpx_eq_u16_e32 0, v8
	s_cbranch_execz .LBB690_97
; %bb.94:                               ;   in Loop: Header=BB690_92 Depth=1
	s_mov_b32 s7, 0
.LBB690_95:                             ;   Parent Loop BB690_92 Depth=1
                                        ; =>  This Inner Loop Header: Depth=2
	;;#ASMSTART
	global_load_b128 v[5:8], v[25:26] off scope:SCOPE_DEV	
s_wait_loadcnt 0x0
	;;#ASMEND
	v_and_b32_e32 v8, 0xff, v7
	s_delay_alu instid0(VALU_DEP_1)
	v_cmp_ne_u16_e32 vcc_lo, 0, v8
	s_wait_alu 0xfffe
	s_or_b32 s7, vcc_lo, s7
	s_wait_alu 0xfffe
	s_and_not1_b32 exec_lo, exec_lo, s7
	s_cbranch_execnz .LBB690_95
; %bb.96:                               ;   in Loop: Header=BB690_92 Depth=1
	s_or_b32 exec_lo, exec_lo, s7
.LBB690_97:                             ;   in Loop: Header=BB690_92 Depth=1
	s_wait_alu 0xfffe
	s_or_b32 exec_lo, exec_lo, s4
	v_dual_mov_b32 v25, v5 :: v_dual_and_b32 v8, 0xff, v7
	ds_bpermute_b32 v51, v41, v5
	ds_bpermute_b32 v26, v41, v6
	s_mov_b32 s4, exec_lo
	v_cmp_eq_u16_e32 vcc_lo, 2, v8
	s_wait_alu 0xfffd
	v_and_or_b32 v8, vcc_lo, v42, 0x80000000
	s_delay_alu instid0(VALU_DEP_1) | instskip(NEXT) | instid1(VALU_DEP_1)
	v_ctz_i32_b32_e32 v8, v8
	v_cmpx_lt_u32_e64 v37, v8
	s_cbranch_execz .LBB690_99
; %bb.98:                               ;   in Loop: Header=BB690_92 Depth=1
	s_wait_dscnt 0x1
	v_add_co_u32 v25, vcc_lo, v5, v51
	s_wait_alu 0xfffd
	v_add_co_ci_u32_e64 v6, null, 0, v6, vcc_lo
	s_delay_alu instid0(VALU_DEP_2) | instskip(SKIP_2) | instid1(VALU_DEP_2)
	v_add_co_u32 v5, vcc_lo, 0, v25
	s_wait_dscnt 0x0
	s_wait_alu 0xfffd
	v_add_co_ci_u32_e64 v6, null, v26, v6, vcc_lo
.LBB690_99:                             ;   in Loop: Header=BB690_92 Depth=1
	s_wait_alu 0xfffe
	s_or_b32 exec_lo, exec_lo, s4
	s_wait_dscnt 0x1
	ds_bpermute_b32 v51, v43, v25
	s_wait_dscnt 0x1
	ds_bpermute_b32 v26, v43, v6
	s_mov_b32 s4, exec_lo
	v_cmpx_le_u32_e64 v44, v8
	s_cbranch_execz .LBB690_101
; %bb.100:                              ;   in Loop: Header=BB690_92 Depth=1
	s_wait_dscnt 0x1
	v_add_co_u32 v25, vcc_lo, v5, v51
	s_wait_alu 0xfffd
	v_add_co_ci_u32_e64 v6, null, 0, v6, vcc_lo
	s_delay_alu instid0(VALU_DEP_2) | instskip(SKIP_2) | instid1(VALU_DEP_2)
	v_add_co_u32 v5, vcc_lo, 0, v25
	s_wait_dscnt 0x0
	s_wait_alu 0xfffd
	v_add_co_ci_u32_e64 v6, null, v26, v6, vcc_lo
.LBB690_101:                            ;   in Loop: Header=BB690_92 Depth=1
	s_wait_alu 0xfffe
	s_or_b32 exec_lo, exec_lo, s4
	s_wait_dscnt 0x1
	ds_bpermute_b32 v51, v45, v25
	s_wait_dscnt 0x1
	ds_bpermute_b32 v26, v45, v6
	s_mov_b32 s4, exec_lo
	v_cmpx_le_u32_e64 v46, v8
	s_cbranch_execz .LBB690_103
; %bb.102:                              ;   in Loop: Header=BB690_92 Depth=1
	s_wait_dscnt 0x1
	v_add_co_u32 v25, vcc_lo, v5, v51
	s_wait_alu 0xfffd
	v_add_co_ci_u32_e64 v6, null, 0, v6, vcc_lo
	s_delay_alu instid0(VALU_DEP_2) | instskip(SKIP_2) | instid1(VALU_DEP_2)
	v_add_co_u32 v5, vcc_lo, 0, v25
	s_wait_dscnt 0x0
	s_wait_alu 0xfffd
	v_add_co_ci_u32_e64 v6, null, v26, v6, vcc_lo
.LBB690_103:                            ;   in Loop: Header=BB690_92 Depth=1
	;; [unrolled: 20-line block ×3, first 2 shown]
	s_wait_alu 0xfffe
	s_or_b32 exec_lo, exec_lo, s4
	s_wait_dscnt 0x0
	ds_bpermute_b32 v26, v49, v25
	ds_bpermute_b32 v25, v49, v6
	s_mov_b32 s4, exec_lo
	v_cmpx_le_u32_e64 v50, v8
	s_cbranch_execz .LBB690_90
; %bb.106:                              ;   in Loop: Header=BB690_92 Depth=1
	s_wait_dscnt 0x1
	v_add_co_u32 v5, vcc_lo, v5, v26
	s_wait_alu 0xfffd
	v_add_co_ci_u32_e64 v6, null, 0, v6, vcc_lo
	s_delay_alu instid0(VALU_DEP_2) | instskip(SKIP_2) | instid1(VALU_DEP_2)
	v_add_co_u32 v5, vcc_lo, v5, 0
	s_wait_dscnt 0x0
	s_wait_alu 0xfffd
	v_add_co_ci_u32_e64 v6, null, v6, v25, vcc_lo
	s_branch .LBB690_90
.LBB690_107:
                                        ; implicit-def: $vgpr4_vgpr5
                                        ; implicit-def: $vgpr43_vgpr44
	s_wait_alu 0xfffe
	s_and_b32 vcc_lo, exec_lo, s1
	s_wait_alu 0xfffe
	s_cbranch_vccnz .LBB690_113
	s_branch .LBB690_140
.LBB690_108:
	s_and_saveexec_b32 s4, s1
	s_cbranch_execz .LBB690_110
; %bb.109:
	s_add_co_i32 s10, s10, 32
	s_mov_b32 s11, 0
	v_add_co_u32 v5, vcc_lo, v3, v1
	s_wait_alu 0xfffe
	s_lshl_b64 s[10:11], s[10:11], 4
	v_dual_mov_b32 v7, 2 :: v_dual_mov_b32 v8, 0
	s_wait_alu 0xfffe
	s_add_nc_u64 s[10:11], s[14:15], s[10:11]
	s_wait_alu 0xfffd
	v_add_co_ci_u32_e64 v6, null, v4, v2, vcc_lo
	s_wait_alu 0xfffe
	v_dual_mov_b32 v24, s11 :: v_dual_mov_b32 v23, s10
	;;#ASMSTART
	global_store_b128 v[23:24], v[5:8] off scope:SCOPE_DEV	
s_wait_storecnt 0x0
	;;#ASMEND
	ds_store_b128 v8, v[1:4] offset:13824
.LBB690_110:
	s_wait_alu 0xfffe
	s_or_b32 exec_lo, exec_lo, s4
	s_delay_alu instid0(SALU_CYCLE_1)
	s_and_b32 exec_lo, exec_lo, s2
; %bb.111:
	v_mov_b32_e32 v1, 0
	ds_store_b64 v1, v[3:4] offset:88
.LBB690_112:
	s_wait_alu 0xfffe
	s_or_b32 exec_lo, exec_lo, s3
	v_mov_b32_e32 v1, 0
	s_wait_loadcnt_dscnt 0x0
	s_barrier_signal -1
	s_barrier_wait -1
	global_inv scope:SCOPE_SE
	ds_load_b64 v[6:7], v1 offset:88
	s_wait_loadcnt_dscnt 0x0
	s_barrier_signal -1
	s_barrier_wait -1
	global_inv scope:SCOPE_SE
	ds_load_b128 v[2:5], v1 offset:13824
	v_cndmask_b32_e64 v1, v39, v21, s1
	v_cndmask_b32_e64 v8, v40, v22, s1
	s_delay_alu instid0(VALU_DEP_2) | instskip(NEXT) | instid1(VALU_DEP_2)
	v_cndmask_b32_e64 v1, v1, 0, s2
	v_cndmask_b32_e64 v8, v8, 0, s2
	s_delay_alu instid0(VALU_DEP_2) | instskip(SKIP_1) | instid1(VALU_DEP_2)
	v_add_co_u32 v43, vcc_lo, v6, v1
	s_wait_alu 0xfffd
	v_add_co_ci_u32_e64 v44, null, v7, v8, vcc_lo
	s_branch .LBB690_140
.LBB690_113:
	s_wait_dscnt 0x0
	v_dual_mov_b32 v2, 0 :: v_dual_mov_b32 v3, v19
	v_mov_b32_dpp v4, v19 row_shr:1 row_mask:0xf bank_mask:0xf
	s_delay_alu instid0(VALU_DEP_2)
	v_mov_b32_dpp v1, v2 row_shr:1 row_mask:0xf bank_mask:0xf
	s_and_saveexec_b32 s1, s0
; %bb.114:
	s_delay_alu instid0(VALU_DEP_2) | instskip(SKIP_2) | instid1(VALU_DEP_2)
	v_add_co_u32 v3, vcc_lo, v19, v4
	s_wait_alu 0xfffd
	v_add_co_ci_u32_e64 v2, null, 0, v20, vcc_lo
	v_add_co_u32 v19, vcc_lo, 0, v3
	s_wait_alu 0xfffd
	s_delay_alu instid0(VALU_DEP_2) | instskip(NEXT) | instid1(VALU_DEP_1)
	v_add_co_ci_u32_e64 v20, null, v1, v2, vcc_lo
	v_mov_b32_e32 v2, v20
; %bb.115:
	s_wait_alu 0xfffe
	s_or_b32 exec_lo, exec_lo, s1
	v_mov_b32_dpp v1, v3 row_shr:2 row_mask:0xf bank_mask:0xf
	s_delay_alu instid0(VALU_DEP_2)
	v_mov_b32_dpp v4, v2 row_shr:2 row_mask:0xf bank_mask:0xf
	v_cmp_lt_u32_e32 vcc_lo, 1, v38
	s_and_saveexec_b32 s3, vcc_lo
; %bb.116:
	s_delay_alu instid0(VALU_DEP_3) | instskip(SKIP_2) | instid1(VALU_DEP_2)
	v_add_co_u32 v3, s1, v19, v1
	s_wait_alu 0xf1ff
	v_add_co_ci_u32_e64 v2, null, 0, v20, s1
	v_add_co_u32 v1, s1, 0, v3
	s_wait_alu 0xf1ff
	s_delay_alu instid0(VALU_DEP_2) | instskip(NEXT) | instid1(VALU_DEP_1)
	v_add_co_ci_u32_e64 v2, null, v4, v2, s1
	v_dual_mov_b32 v20, v2 :: v_dual_mov_b32 v19, v1
; %bb.117:
	s_or_b32 exec_lo, exec_lo, s3
	v_mov_b32_dpp v1, v3 row_shr:4 row_mask:0xf bank_mask:0xf
	v_mov_b32_dpp v4, v2 row_shr:4 row_mask:0xf bank_mask:0xf
	v_cmp_lt_u32_e64 s1, 3, v38
	s_and_saveexec_b32 s4, s1
; %bb.118:
	v_add_co_u32 v3, s3, v19, v1
	s_delay_alu instid0(VALU_DEP_1) | instskip(NEXT) | instid1(VALU_DEP_2)
	v_add_co_ci_u32_e64 v2, null, 0, v20, s3
	v_add_co_u32 v1, s3, 0, v3
	s_wait_alu 0xf1ff
	s_delay_alu instid0(VALU_DEP_2) | instskip(NEXT) | instid1(VALU_DEP_1)
	v_add_co_ci_u32_e64 v2, null, v4, v2, s3
	v_dual_mov_b32 v20, v2 :: v_dual_mov_b32 v19, v1
; %bb.119:
	s_wait_alu 0xfffe
	s_or_b32 exec_lo, exec_lo, s4
	v_mov_b32_dpp v4, v3 row_shr:8 row_mask:0xf bank_mask:0xf
	v_mov_b32_dpp v1, v2 row_shr:8 row_mask:0xf bank_mask:0xf
	v_cmp_lt_u32_e64 s3, 7, v38
	s_and_saveexec_b32 s7, s3
; %bb.120:
	v_add_co_u32 v3, s4, v19, v4
	s_wait_alu 0xf1ff
	v_add_co_ci_u32_e64 v2, null, 0, v20, s4
	s_delay_alu instid0(VALU_DEP_2) | instskip(SKIP_1) | instid1(VALU_DEP_2)
	v_add_co_u32 v19, s4, 0, v3
	s_wait_alu 0xf1ff
	v_add_co_ci_u32_e64 v20, null, v1, v2, s4
	s_delay_alu instid0(VALU_DEP_1)
	v_mov_b32_e32 v2, v20
; %bb.121:
	s_wait_alu 0xfffe
	s_or_b32 exec_lo, exec_lo, s7
	ds_swizzle_b32 v3, v3 offset:swizzle(BROADCAST,32,15)
	ds_swizzle_b32 v1, v2 offset:swizzle(BROADCAST,32,15)
	v_and_b32_e32 v2, 16, v37
	s_mov_b32 s7, exec_lo
	s_delay_alu instid0(VALU_DEP_1)
	v_cmpx_ne_u32_e32 0, v2
	s_cbranch_execz .LBB690_123
; %bb.122:
	s_wait_dscnt 0x1
	v_add_co_u32 v2, s4, v19, v3
	s_wait_alu 0xf1ff
	v_add_co_ci_u32_e64 v3, null, 0, v20, s4
	s_delay_alu instid0(VALU_DEP_2) | instskip(SKIP_2) | instid1(VALU_DEP_2)
	v_add_co_u32 v19, s4, v2, 0
	s_wait_dscnt 0x0
	s_wait_alu 0xf1ff
	v_add_co_ci_u32_e64 v20, null, v3, v1, s4
.LBB690_123:
	s_wait_alu 0xfffe
	s_or_b32 exec_lo, exec_lo, s7
	s_wait_dscnt 0x0
	v_and_b32_e32 v1, 0x1e0, v0
	v_lshrrev_b32_e32 v3, 5, v0
	s_mov_b32 s7, exec_lo
	s_delay_alu instid0(VALU_DEP_2) | instskip(NEXT) | instid1(VALU_DEP_1)
	v_min_u32_e32 v1, 0x160, v1
	v_or_b32_e32 v1, 31, v1
	s_delay_alu instid0(VALU_DEP_1)
	v_cmpx_eq_u32_e64 v0, v1
; %bb.124:
	v_lshlrev_b32_e32 v1, 3, v3
	ds_store_b64 v1, v[19:20]
; %bb.125:
	s_wait_alu 0xfffe
	s_or_b32 exec_lo, exec_lo, s7
	s_delay_alu instid0(SALU_CYCLE_1)
	s_mov_b32 s7, exec_lo
	s_wait_loadcnt_dscnt 0x0
	s_barrier_signal -1
	s_barrier_wait -1
	global_inv scope:SCOPE_SE
	v_cmpx_gt_u32_e32 12, v0
	s_cbranch_execz .LBB690_135
; %bb.126:
	v_lshlrev_b32_e32 v4, 3, v0
	ds_load_b64 v[1:2], v4
	s_wait_dscnt 0x0
	v_mov_b32_dpp v7, v1 row_shr:1 row_mask:0xf bank_mask:0xf
	v_mov_b32_dpp v6, v2 row_shr:1 row_mask:0xf bank_mask:0xf
	v_mov_b32_e32 v5, v1
	s_and_saveexec_b32 s4, s0
; %bb.127:
	s_delay_alu instid0(VALU_DEP_3) | instskip(SKIP_2) | instid1(VALU_DEP_2)
	v_add_co_u32 v5, s0, v1, v7
	s_wait_alu 0xf1ff
	v_add_co_ci_u32_e64 v2, null, 0, v2, s0
	v_add_co_u32 v1, s0, 0, v5
	s_wait_alu 0xf1ff
	s_delay_alu instid0(VALU_DEP_2)
	v_add_co_ci_u32_e64 v2, null, v6, v2, s0
; %bb.128:
	s_wait_alu 0xfffe
	s_or_b32 exec_lo, exec_lo, s4
	v_mov_b32_dpp v7, v5 row_shr:2 row_mask:0xf bank_mask:0xf
	s_delay_alu instid0(VALU_DEP_2)
	v_mov_b32_dpp v6, v2 row_shr:2 row_mask:0xf bank_mask:0xf
	s_and_saveexec_b32 s0, vcc_lo
; %bb.129:
	s_delay_alu instid0(VALU_DEP_2) | instskip(SKIP_2) | instid1(VALU_DEP_2)
	v_add_co_u32 v5, vcc_lo, v1, v7
	s_wait_alu 0xfffd
	v_add_co_ci_u32_e64 v2, null, 0, v2, vcc_lo
	v_add_co_u32 v1, vcc_lo, 0, v5
	s_wait_alu 0xfffd
	s_delay_alu instid0(VALU_DEP_2)
	v_add_co_ci_u32_e64 v2, null, v6, v2, vcc_lo
; %bb.130:
	s_wait_alu 0xfffe
	s_or_b32 exec_lo, exec_lo, s0
	v_mov_b32_dpp v7, v5 row_shr:4 row_mask:0xf bank_mask:0xf
	s_delay_alu instid0(VALU_DEP_2)
	v_mov_b32_dpp v6, v2 row_shr:4 row_mask:0xf bank_mask:0xf
	s_and_saveexec_b32 s0, s1
; %bb.131:
	s_delay_alu instid0(VALU_DEP_2) | instskip(SKIP_2) | instid1(VALU_DEP_2)
	v_add_co_u32 v5, vcc_lo, v1, v7
	s_wait_alu 0xfffd
	v_add_co_ci_u32_e64 v2, null, 0, v2, vcc_lo
	v_add_co_u32 v1, vcc_lo, 0, v5
	s_wait_alu 0xfffd
	s_delay_alu instid0(VALU_DEP_2)
	v_add_co_ci_u32_e64 v2, null, v6, v2, vcc_lo
; %bb.132:
	s_wait_alu 0xfffe
	s_or_b32 exec_lo, exec_lo, s0
	v_mov_b32_dpp v6, v5 row_shr:8 row_mask:0xf bank_mask:0xf
	s_delay_alu instid0(VALU_DEP_2)
	v_mov_b32_dpp v5, v2 row_shr:8 row_mask:0xf bank_mask:0xf
	s_and_saveexec_b32 s0, s3
; %bb.133:
	s_delay_alu instid0(VALU_DEP_2) | instskip(SKIP_2) | instid1(VALU_DEP_2)
	v_add_co_u32 v1, vcc_lo, v1, v6
	s_wait_alu 0xfffd
	v_add_co_ci_u32_e64 v2, null, 0, v2, vcc_lo
	v_add_co_u32 v1, vcc_lo, v1, 0
	s_wait_alu 0xfffd
	s_delay_alu instid0(VALU_DEP_2)
	v_add_co_ci_u32_e64 v2, null, v2, v5, vcc_lo
; %bb.134:
	s_wait_alu 0xfffe
	s_or_b32 exec_lo, exec_lo, s0
	ds_store_b64 v4, v[1:2]
.LBB690_135:
	s_wait_alu 0xfffe
	s_or_b32 exec_lo, exec_lo, s7
	v_mov_b32_e32 v6, 0
	v_mov_b32_e32 v7, 0
	s_mov_b32 s0, exec_lo
	s_wait_loadcnt_dscnt 0x0
	s_barrier_signal -1
	s_barrier_wait -1
	global_inv scope:SCOPE_SE
	v_cmpx_lt_u32_e32 31, v0
; %bb.136:
	v_lshl_add_u32 v1, v3, 3, -8
	ds_load_b64 v[6:7], v1
; %bb.137:
	s_wait_alu 0xfffe
	s_or_b32 exec_lo, exec_lo, s0
	v_sub_co_u32 v1, vcc_lo, v37, 1
	v_mov_b32_e32 v5, 0
	s_delay_alu instid0(VALU_DEP_2) | instskip(SKIP_1) | instid1(VALU_DEP_1)
	v_cmp_gt_i32_e64 s0, 0, v1
	s_wait_alu 0xf1ff
	v_cndmask_b32_e64 v1, v1, v37, s0
	s_delay_alu instid0(VALU_DEP_1)
	v_lshlrev_b32_e32 v2, 2, v1
	s_wait_dscnt 0x0
	v_add_co_u32 v1, s0, v6, v19
	s_wait_alu 0xf1ff
	v_add_co_ci_u32_e64 v3, null, v7, v20, s0
	ds_bpermute_b32 v1, v2, v1
	ds_bpermute_b32 v8, v2, v3
	ds_load_b64 v[2:3], v5 offset:88
	s_and_saveexec_b32 s0, s2
	s_cbranch_execz .LBB690_139
; %bb.138:
	s_add_nc_u64 s[10:11], s[14:15], 0x200
	v_mov_b32_e32 v4, 2
	v_dual_mov_b32 v20, s11 :: v_dual_mov_b32 v19, s10
	s_wait_dscnt 0x0
	;;#ASMSTART
	global_store_b128 v[19:20], v[2:5] off scope:SCOPE_DEV	
s_wait_storecnt 0x0
	;;#ASMEND
.LBB690_139:
	s_wait_alu 0xfffe
	s_or_b32 exec_lo, exec_lo, s0
	s_wait_dscnt 0x1
	s_wait_alu 0xfffd
	v_dual_cndmask_b32 v7, v8, v7 :: v_dual_mov_b32 v4, 0
	v_cndmask_b32_e32 v1, v1, v6, vcc_lo
	v_mov_b32_e32 v5, 0
	s_wait_loadcnt_dscnt 0x0
	s_delay_alu instid0(VALU_DEP_3)
	v_cndmask_b32_e64 v44, v7, 0, s2
	s_barrier_signal -1
	v_cndmask_b32_e64 v43, v1, 0, s2
	s_barrier_wait -1
	global_inv scope:SCOPE_SE
.LBB690_140:
	s_delay_alu instid0(VALU_DEP_2) | instskip(SKIP_1) | instid1(VALU_DEP_2)
	v_add_co_u32 v53, vcc_lo, v43, v30
	s_wait_alu 0xfffd
	v_add_co_ci_u32_e64 v54, null, 0, v44, vcc_lo
	v_lshlrev_b64_e32 v[6:7], 1, v[17:18]
	s_delay_alu instid0(VALU_DEP_3) | instskip(SKIP_1) | instid1(VALU_DEP_3)
	v_add_co_u32 v51, vcc_lo, v53, v29
	s_wait_alu 0xfffd
	v_add_co_ci_u32_e64 v52, null, 0, v54, vcc_lo
	v_lshrrev_b32_e32 v72, 16, v64
	s_delay_alu instid0(VALU_DEP_3) | instskip(SKIP_1) | instid1(VALU_DEP_3)
	v_add_co_u32 v49, vcc_lo, v51, v28
	s_wait_alu 0xfffd
	v_add_co_ci_u32_e64 v50, null, 0, v52, vcc_lo
	v_lshrrev_b32_e32 v73, 8, v64
	;; [unrolled: 5-line block ×8, first 2 shown]
	s_delay_alu instid0(VALU_DEP_3) | instskip(SKIP_1) | instid1(VALU_DEP_3)
	v_add_co_u32 v33, vcc_lo, v35, v32
	s_wait_alu 0xfffd
	v_add_co_ci_u32_e64 v34, null, 0, v36, vcc_lo
	s_mov_b32 s1, -1
	v_add_co_u32 v31, vcc_lo, v33, v31
	s_wait_alu 0xfffd
	v_add_co_ci_u32_e64 v32, null, 0, v34, vcc_lo
	s_delay_alu instid0(VALU_DEP_2) | instskip(SKIP_1) | instid1(VALU_DEP_2)
	v_add_co_u32 v29, vcc_lo, v31, v65
	s_wait_alu 0xfffd
	v_add_co_ci_u32_e64 v30, null, 0, v32, vcc_lo
	s_delay_alu instid0(VALU_DEP_2) | instskip(SKIP_1) | instid1(VALU_DEP_2)
	v_add_co_u32 v23, vcc_lo, v29, v69
	s_wait_alu 0xfffd
	v_add_co_ci_u32_e64 v24, null, 0, v30, vcc_lo
	v_and_b32_e32 v69, 1, v55
	s_delay_alu instid0(VALU_DEP_3) | instskip(SKIP_1) | instid1(VALU_DEP_3)
	v_add_co_u32 v27, s0, v23, v27
	s_wait_alu 0xf1ff
	v_add_co_ci_u32_e64 v28, null, 0, v24, s0
	s_wait_dscnt 0x0
	v_cmp_gt_u64_e32 vcc_lo, 0x181, v[2:3]
	v_add_co_u32 v25, s0, v27, v68
	s_wait_alu 0xf1ff
	v_add_co_ci_u32_e64 v26, null, 0, v28, s0
	s_and_b32 vcc_lo, exec_lo, vcc_lo
	v_add_co_u32 v21, s0, v25, v63
	s_wait_alu 0xf1ff
	v_add_co_ci_u32_e64 v22, null, 0, v26, s0
	s_delay_alu instid0(VALU_DEP_2) | instskip(SKIP_1) | instid1(VALU_DEP_2)
	v_add_co_u32 v19, s0, v21, v56
	s_wait_alu 0xf1ff
	v_add_co_ci_u32_e64 v20, null, 0, v22, s0
	v_cmp_eq_u32_e64 s0, 1, v69
	s_wait_alu 0xfffe
	s_cbranch_vccnz .LBB690_144
; %bb.141:
	s_and_b32 vcc_lo, exec_lo, s1
	s_wait_alu 0xfffe
	s_cbranch_vccnz .LBB690_181
.LBB690_142:
	s_and_b32 s0, s2, s6
	s_wait_alu 0xfffe
	s_and_saveexec_b32 s1, s0
	s_cbranch_execnz .LBB690_220
.LBB690_143:
	s_endpgm
.LBB690_144:
	v_add_co_u32 v55, vcc_lo, v4, v2
	s_wait_alu 0xfffd
	v_add_co_ci_u32_e64 v56, null, v5, v3, vcc_lo
	v_add_co_u32 v68, s1, s12, v6
	s_wait_alu 0xf1ff
	v_add_co_ci_u32_e64 v76, null, s13, v7, s1
	s_delay_alu instid0(VALU_DEP_3)
	v_cmp_lt_u64_e32 vcc_lo, v[43:44], v[55:56]
	s_or_b32 s1, s5, vcc_lo
	s_wait_alu 0xfffe
	s_and_b32 s1, s1, s0
	s_wait_alu 0xfffe
	s_and_saveexec_b32 s0, s1
	s_cbranch_execz .LBB690_146
; %bb.145:
	v_lshlrev_b64_e32 v[77:78], 1, v[43:44]
	s_delay_alu instid0(VALU_DEP_1) | instskip(SKIP_1) | instid1(VALU_DEP_2)
	v_add_co_u32 v77, vcc_lo, v68, v77
	s_wait_alu 0xfffd
	v_add_co_ci_u32_e64 v78, null, v76, v78, vcc_lo
	global_store_b16 v[77:78], v15, off
.LBB690_146:
	s_wait_alu 0xfffe
	s_or_b32 exec_lo, exec_lo, s0
	v_and_b32_e32 v44, 1, v75
	v_cmp_lt_u64_e32 vcc_lo, v[53:54], v[55:56]
	s_delay_alu instid0(VALU_DEP_2)
	v_cmp_eq_u32_e64 s0, 1, v44
	s_or_b32 s1, s5, vcc_lo
	s_wait_alu 0xfffe
	s_and_b32 s1, s1, s0
	s_wait_alu 0xfffe
	s_and_saveexec_b32 s0, s1
	s_cbranch_execz .LBB690_148
; %bb.147:
	v_lshlrev_b64_e32 v[77:78], 1, v[53:54]
	s_delay_alu instid0(VALU_DEP_1) | instskip(SKIP_1) | instid1(VALU_DEP_2)
	v_add_co_u32 v77, vcc_lo, v68, v77
	s_wait_alu 0xfffd
	v_add_co_ci_u32_e64 v78, null, v76, v78, vcc_lo
	global_store_d16_hi_b16 v[77:78], v15, off
.LBB690_148:
	s_wait_alu 0xfffe
	s_or_b32 exec_lo, exec_lo, s0
	v_and_b32_e32 v44, 1, v74
	v_cmp_lt_u64_e32 vcc_lo, v[51:52], v[55:56]
	s_delay_alu instid0(VALU_DEP_2)
	v_cmp_eq_u32_e64 s0, 1, v44
	s_or_b32 s1, s5, vcc_lo
	s_wait_alu 0xfffe
	s_and_b32 s1, s1, s0
	s_wait_alu 0xfffe
	s_and_saveexec_b32 s0, s1
	s_cbranch_execz .LBB690_150
; %bb.149:
	v_lshlrev_b64_e32 v[77:78], 1, v[51:52]
	s_delay_alu instid0(VALU_DEP_1) | instskip(SKIP_1) | instid1(VALU_DEP_2)
	v_add_co_u32 v77, vcc_lo, v68, v77
	s_wait_alu 0xfffd
	v_add_co_ci_u32_e64 v78, null, v76, v78, vcc_lo
	global_store_b16 v[77:78], v16, off
.LBB690_150:
	s_wait_alu 0xfffe
	s_or_b32 exec_lo, exec_lo, s0
	v_and_b32_e32 v44, 1, v67
	v_cmp_lt_u64_e32 vcc_lo, v[49:50], v[55:56]
	s_delay_alu instid0(VALU_DEP_2)
	v_cmp_eq_u32_e64 s0, 1, v44
	s_or_b32 s1, s5, vcc_lo
	s_wait_alu 0xfffe
	s_and_b32 s1, s1, s0
	s_wait_alu 0xfffe
	s_and_saveexec_b32 s0, s1
	s_cbranch_execz .LBB690_152
; %bb.151:
	v_lshlrev_b64_e32 v[77:78], 1, v[49:50]
	s_delay_alu instid0(VALU_DEP_1) | instskip(SKIP_1) | instid1(VALU_DEP_2)
	v_add_co_u32 v77, vcc_lo, v68, v77
	s_wait_alu 0xfffd
	v_add_co_ci_u32_e64 v78, null, v76, v78, vcc_lo
	global_store_d16_hi_b16 v[77:78], v16, off
.LBB690_152:
	s_wait_alu 0xfffe
	s_or_b32 exec_lo, exec_lo, s0
	v_and_b32_e32 v44, 1, v64
	v_cmp_lt_u64_e32 vcc_lo, v[47:48], v[55:56]
	s_delay_alu instid0(VALU_DEP_2)
	v_cmp_eq_u32_e64 s0, 1, v44
	;; [unrolled: 40-line block ×8, first 2 shown]
	s_or_b32 s1, s5, vcc_lo
	s_wait_alu 0xfffe
	s_and_b32 s1, s1, s0
	s_wait_alu 0xfffe
	s_and_saveexec_b32 s0, s1
	s_cbranch_execz .LBB690_178
; %bb.177:
	v_lshlrev_b64_e32 v[77:78], 1, v[21:22]
	s_delay_alu instid0(VALU_DEP_1) | instskip(SKIP_1) | instid1(VALU_DEP_2)
	v_add_co_u32 v77, vcc_lo, v68, v77
	s_wait_alu 0xfffd
	v_add_co_ci_u32_e64 v78, null, v76, v78, vcc_lo
	global_store_b16 v[77:78], v57, off
.LBB690_178:
	s_wait_alu 0xfffe
	s_or_b32 exec_lo, exec_lo, s0
	v_and_b32_e32 v22, 1, v59
	v_cmp_lt_u64_e32 vcc_lo, v[19:20], v[55:56]
	s_delay_alu instid0(VALU_DEP_2)
	v_cmp_eq_u32_e64 s0, 1, v22
	s_or_b32 s1, s5, vcc_lo
	s_wait_alu 0xfffe
	s_and_b32 s1, s1, s0
	s_wait_alu 0xfffe
	s_and_saveexec_b32 s0, s1
	s_cbranch_execz .LBB690_180
; %bb.179:
	v_lshlrev_b64_e32 v[54:55], 1, v[19:20]
	s_delay_alu instid0(VALU_DEP_1) | instskip(SKIP_1) | instid1(VALU_DEP_2)
	v_add_co_u32 v54, vcc_lo, v68, v54
	s_wait_alu 0xfffd
	v_add_co_ci_u32_e64 v55, null, v76, v55, vcc_lo
	global_store_b16 v[54:55], v58, off
.LBB690_180:
	s_wait_alu 0xfffe
	s_or_b32 exec_lo, exec_lo, s0
	s_branch .LBB690_142
.LBB690_181:
	s_mov_b32 s0, exec_lo
	v_cmpx_eq_u32_e32 1, v69
; %bb.182:
	v_sub_nc_u32_e32 v20, v43, v4
	s_delay_alu instid0(VALU_DEP_1)
	v_lshlrev_b32_e32 v20, 1, v20
	ds_store_b16 v20, v15
; %bb.183:
	s_wait_alu 0xfffe
	s_or_b32 exec_lo, exec_lo, s0
	v_and_b32_e32 v20, 1, v75
	s_mov_b32 s0, exec_lo
	s_delay_alu instid0(VALU_DEP_1)
	v_cmpx_eq_u32_e32 1, v20
; %bb.184:
	v_sub_nc_u32_e32 v20, v53, v4
	s_delay_alu instid0(VALU_DEP_1)
	v_lshlrev_b32_e32 v20, 1, v20
	ds_store_b16_d16_hi v20, v15
; %bb.185:
	s_wait_alu 0xfffe
	s_or_b32 exec_lo, exec_lo, s0
	v_and_b32_e32 v15, 1, v74
	s_mov_b32 s0, exec_lo
	s_delay_alu instid0(VALU_DEP_1)
	v_cmpx_eq_u32_e32 1, v15
; %bb.186:
	v_sub_nc_u32_e32 v15, v51, v4
	s_delay_alu instid0(VALU_DEP_1)
	v_lshlrev_b32_e32 v15, 1, v15
	ds_store_b16 v15, v16
; %bb.187:
	s_wait_alu 0xfffe
	s_or_b32 exec_lo, exec_lo, s0
	v_and_b32_e32 v15, 1, v67
	s_mov_b32 s0, exec_lo
	s_delay_alu instid0(VALU_DEP_1)
	v_cmpx_eq_u32_e32 1, v15
; %bb.188:
	v_sub_nc_u32_e32 v15, v49, v4
	s_delay_alu instid0(VALU_DEP_1)
	v_lshlrev_b32_e32 v15, 1, v15
	ds_store_b16_d16_hi v15, v16
; %bb.189:
	s_wait_alu 0xfffe
	s_or_b32 exec_lo, exec_lo, s0
	v_and_b32_e32 v15, 1, v64
	s_mov_b32 s0, exec_lo
	s_delay_alu instid0(VALU_DEP_1)
	;; [unrolled: 24-line block ×8, first 2 shown]
	v_cmpx_eq_u32_e32 1, v1
; %bb.214:
	v_sub_nc_u32_e32 v1, v21, v4
	s_delay_alu instid0(VALU_DEP_1)
	v_lshlrev_b32_e32 v1, 1, v1
	ds_store_b16 v1, v57
; %bb.215:
	s_wait_alu 0xfffe
	s_or_b32 exec_lo, exec_lo, s0
	v_and_b32_e32 v1, 1, v59
	s_mov_b32 s0, exec_lo
	s_delay_alu instid0(VALU_DEP_1)
	v_cmpx_eq_u32_e32 1, v1
; %bb.216:
	v_sub_nc_u32_e32 v1, v19, v4
	s_delay_alu instid0(VALU_DEP_1)
	v_lshlrev_b32_e32 v1, 1, v1
	ds_store_b16 v1, v58
; %bb.217:
	s_wait_alu 0xfffe
	s_or_b32 exec_lo, exec_lo, s0
	v_lshlrev_b64_e32 v[8:9], 1, v[4:5]
	v_mov_b32_e32 v1, 0
	s_mov_b32 s1, 0
	s_wait_storecnt 0x0
	s_wait_loadcnt_dscnt 0x0
	s_barrier_signal -1
	s_barrier_wait -1
	v_add_co_u32 v10, vcc_lo, s12, v8
	s_wait_alu 0xfffd
	v_add_co_ci_u32_e64 v11, null, s13, v9, vcc_lo
	v_dual_mov_b32 v9, v1 :: v_dual_mov_b32 v8, v0
	s_delay_alu instid0(VALU_DEP_3) | instskip(SKIP_1) | instid1(VALU_DEP_3)
	v_add_co_u32 v6, vcc_lo, v10, v6
	s_wait_alu 0xfffd
	v_add_co_ci_u32_e64 v7, null, v11, v7, vcc_lo
	v_add_nc_u32_e32 v0, 0x180, v0
	global_inv scope:SCOPE_SE
.LBB690_218:                            ; =>This Inner Loop Header: Depth=1
	v_lshlrev_b32_e32 v10, 1, v8
	v_cmp_le_u64_e32 vcc_lo, v[2:3], v[0:1]
	ds_load_u16 v12, v10
	v_lshlrev_b64_e32 v[10:11], 1, v[8:9]
	v_dual_mov_b32 v9, v1 :: v_dual_mov_b32 v8, v0
	v_add_nc_u32_e32 v0, 0x180, v0
	s_wait_alu 0xfffe
	s_or_b32 s1, vcc_lo, s1
	s_delay_alu instid0(VALU_DEP_3)
	v_add_co_u32 v10, s0, v6, v10
	s_wait_alu 0xf1ff
	v_add_co_ci_u32_e64 v11, null, v7, v11, s0
	s_wait_dscnt 0x0
	global_store_b16 v[10:11], v12, off
	s_wait_alu 0xfffe
	s_and_not1_b32 exec_lo, exec_lo, s1
	s_cbranch_execnz .LBB690_218
; %bb.219:
	s_or_b32 exec_lo, exec_lo, s1
	s_and_b32 s0, s2, s6
	s_wait_alu 0xfffe
	s_and_saveexec_b32 s1, s0
	s_cbranch_execz .LBB690_143
.LBB690_220:
	v_add_co_u32 v0, vcc_lo, v4, v2
	s_wait_alu 0xfffd
	v_add_co_ci_u32_e64 v1, null, v5, v3, vcc_lo
	v_mov_b32_e32 v2, 0
	s_delay_alu instid0(VALU_DEP_3) | instskip(SKIP_1) | instid1(VALU_DEP_3)
	v_add_co_u32 v0, vcc_lo, v0, v17
	s_wait_alu 0xfffd
	v_add_co_ci_u32_e64 v1, null, v1, v18, vcc_lo
	global_store_b64 v2, v[0:1], s[8:9]
	s_endpgm
	.section	.rodata,"a",@progbits
	.p2align	6, 0x0
	.amdhsa_kernel _ZN7rocprim17ROCPRIM_400000_NS6detail17trampoline_kernelINS0_14default_configENS1_25partition_config_selectorILNS1_17partition_subalgoE6EtNS0_10empty_typeEbEEZZNS1_14partition_implILS5_6ELb0ES3_mN6thrust23THRUST_200600_302600_NS6detail15normal_iteratorINSA_10device_ptrItEEEEPS6_SG_NS0_5tupleIJSF_S6_EEENSH_IJSG_SG_EEES6_PlJNSB_9not_fun_tI7is_evenItEEEEEE10hipError_tPvRmT3_T4_T5_T6_T7_T9_mT8_P12ihipStream_tbDpT10_ENKUlT_T0_E_clISt17integral_constantIbLb0EES17_IbLb1EEEEDaS13_S14_EUlS13_E_NS1_11comp_targetILNS1_3genE10ELNS1_11target_archE1200ELNS1_3gpuE4ELNS1_3repE0EEENS1_30default_config_static_selectorELNS0_4arch9wavefront6targetE0EEEvT1_
		.amdhsa_group_segment_fixed_size 13840
		.amdhsa_private_segment_fixed_size 0
		.amdhsa_kernarg_size 128
		.amdhsa_user_sgpr_count 2
		.amdhsa_user_sgpr_dispatch_ptr 0
		.amdhsa_user_sgpr_queue_ptr 0
		.amdhsa_user_sgpr_kernarg_segment_ptr 1
		.amdhsa_user_sgpr_dispatch_id 0
		.amdhsa_user_sgpr_private_segment_size 0
		.amdhsa_wavefront_size32 1
		.amdhsa_uses_dynamic_stack 0
		.amdhsa_enable_private_segment 0
		.amdhsa_system_sgpr_workgroup_id_x 1
		.amdhsa_system_sgpr_workgroup_id_y 0
		.amdhsa_system_sgpr_workgroup_id_z 0
		.amdhsa_system_sgpr_workgroup_info 0
		.amdhsa_system_vgpr_workitem_id 0
		.amdhsa_next_free_vgpr 79
		.amdhsa_next_free_sgpr 20
		.amdhsa_reserve_vcc 1
		.amdhsa_float_round_mode_32 0
		.amdhsa_float_round_mode_16_64 0
		.amdhsa_float_denorm_mode_32 3
		.amdhsa_float_denorm_mode_16_64 3
		.amdhsa_fp16_overflow 0
		.amdhsa_workgroup_processor_mode 1
		.amdhsa_memory_ordered 1
		.amdhsa_forward_progress 1
		.amdhsa_inst_pref_size 90
		.amdhsa_round_robin_scheduling 0
		.amdhsa_exception_fp_ieee_invalid_op 0
		.amdhsa_exception_fp_denorm_src 0
		.amdhsa_exception_fp_ieee_div_zero 0
		.amdhsa_exception_fp_ieee_overflow 0
		.amdhsa_exception_fp_ieee_underflow 0
		.amdhsa_exception_fp_ieee_inexact 0
		.amdhsa_exception_int_div_zero 0
	.end_amdhsa_kernel
	.section	.text._ZN7rocprim17ROCPRIM_400000_NS6detail17trampoline_kernelINS0_14default_configENS1_25partition_config_selectorILNS1_17partition_subalgoE6EtNS0_10empty_typeEbEEZZNS1_14partition_implILS5_6ELb0ES3_mN6thrust23THRUST_200600_302600_NS6detail15normal_iteratorINSA_10device_ptrItEEEEPS6_SG_NS0_5tupleIJSF_S6_EEENSH_IJSG_SG_EEES6_PlJNSB_9not_fun_tI7is_evenItEEEEEE10hipError_tPvRmT3_T4_T5_T6_T7_T9_mT8_P12ihipStream_tbDpT10_ENKUlT_T0_E_clISt17integral_constantIbLb0EES17_IbLb1EEEEDaS13_S14_EUlS13_E_NS1_11comp_targetILNS1_3genE10ELNS1_11target_archE1200ELNS1_3gpuE4ELNS1_3repE0EEENS1_30default_config_static_selectorELNS0_4arch9wavefront6targetE0EEEvT1_,"axG",@progbits,_ZN7rocprim17ROCPRIM_400000_NS6detail17trampoline_kernelINS0_14default_configENS1_25partition_config_selectorILNS1_17partition_subalgoE6EtNS0_10empty_typeEbEEZZNS1_14partition_implILS5_6ELb0ES3_mN6thrust23THRUST_200600_302600_NS6detail15normal_iteratorINSA_10device_ptrItEEEEPS6_SG_NS0_5tupleIJSF_S6_EEENSH_IJSG_SG_EEES6_PlJNSB_9not_fun_tI7is_evenItEEEEEE10hipError_tPvRmT3_T4_T5_T6_T7_T9_mT8_P12ihipStream_tbDpT10_ENKUlT_T0_E_clISt17integral_constantIbLb0EES17_IbLb1EEEEDaS13_S14_EUlS13_E_NS1_11comp_targetILNS1_3genE10ELNS1_11target_archE1200ELNS1_3gpuE4ELNS1_3repE0EEENS1_30default_config_static_selectorELNS0_4arch9wavefront6targetE0EEEvT1_,comdat
.Lfunc_end690:
	.size	_ZN7rocprim17ROCPRIM_400000_NS6detail17trampoline_kernelINS0_14default_configENS1_25partition_config_selectorILNS1_17partition_subalgoE6EtNS0_10empty_typeEbEEZZNS1_14partition_implILS5_6ELb0ES3_mN6thrust23THRUST_200600_302600_NS6detail15normal_iteratorINSA_10device_ptrItEEEEPS6_SG_NS0_5tupleIJSF_S6_EEENSH_IJSG_SG_EEES6_PlJNSB_9not_fun_tI7is_evenItEEEEEE10hipError_tPvRmT3_T4_T5_T6_T7_T9_mT8_P12ihipStream_tbDpT10_ENKUlT_T0_E_clISt17integral_constantIbLb0EES17_IbLb1EEEEDaS13_S14_EUlS13_E_NS1_11comp_targetILNS1_3genE10ELNS1_11target_archE1200ELNS1_3gpuE4ELNS1_3repE0EEENS1_30default_config_static_selectorELNS0_4arch9wavefront6targetE0EEEvT1_, .Lfunc_end690-_ZN7rocprim17ROCPRIM_400000_NS6detail17trampoline_kernelINS0_14default_configENS1_25partition_config_selectorILNS1_17partition_subalgoE6EtNS0_10empty_typeEbEEZZNS1_14partition_implILS5_6ELb0ES3_mN6thrust23THRUST_200600_302600_NS6detail15normal_iteratorINSA_10device_ptrItEEEEPS6_SG_NS0_5tupleIJSF_S6_EEENSH_IJSG_SG_EEES6_PlJNSB_9not_fun_tI7is_evenItEEEEEE10hipError_tPvRmT3_T4_T5_T6_T7_T9_mT8_P12ihipStream_tbDpT10_ENKUlT_T0_E_clISt17integral_constantIbLb0EES17_IbLb1EEEEDaS13_S14_EUlS13_E_NS1_11comp_targetILNS1_3genE10ELNS1_11target_archE1200ELNS1_3gpuE4ELNS1_3repE0EEENS1_30default_config_static_selectorELNS0_4arch9wavefront6targetE0EEEvT1_
                                        ; -- End function
	.set _ZN7rocprim17ROCPRIM_400000_NS6detail17trampoline_kernelINS0_14default_configENS1_25partition_config_selectorILNS1_17partition_subalgoE6EtNS0_10empty_typeEbEEZZNS1_14partition_implILS5_6ELb0ES3_mN6thrust23THRUST_200600_302600_NS6detail15normal_iteratorINSA_10device_ptrItEEEEPS6_SG_NS0_5tupleIJSF_S6_EEENSH_IJSG_SG_EEES6_PlJNSB_9not_fun_tI7is_evenItEEEEEE10hipError_tPvRmT3_T4_T5_T6_T7_T9_mT8_P12ihipStream_tbDpT10_ENKUlT_T0_E_clISt17integral_constantIbLb0EES17_IbLb1EEEEDaS13_S14_EUlS13_E_NS1_11comp_targetILNS1_3genE10ELNS1_11target_archE1200ELNS1_3gpuE4ELNS1_3repE0EEENS1_30default_config_static_selectorELNS0_4arch9wavefront6targetE0EEEvT1_.num_vgpr, 79
	.set _ZN7rocprim17ROCPRIM_400000_NS6detail17trampoline_kernelINS0_14default_configENS1_25partition_config_selectorILNS1_17partition_subalgoE6EtNS0_10empty_typeEbEEZZNS1_14partition_implILS5_6ELb0ES3_mN6thrust23THRUST_200600_302600_NS6detail15normal_iteratorINSA_10device_ptrItEEEEPS6_SG_NS0_5tupleIJSF_S6_EEENSH_IJSG_SG_EEES6_PlJNSB_9not_fun_tI7is_evenItEEEEEE10hipError_tPvRmT3_T4_T5_T6_T7_T9_mT8_P12ihipStream_tbDpT10_ENKUlT_T0_E_clISt17integral_constantIbLb0EES17_IbLb1EEEEDaS13_S14_EUlS13_E_NS1_11comp_targetILNS1_3genE10ELNS1_11target_archE1200ELNS1_3gpuE4ELNS1_3repE0EEENS1_30default_config_static_selectorELNS0_4arch9wavefront6targetE0EEEvT1_.num_agpr, 0
	.set _ZN7rocprim17ROCPRIM_400000_NS6detail17trampoline_kernelINS0_14default_configENS1_25partition_config_selectorILNS1_17partition_subalgoE6EtNS0_10empty_typeEbEEZZNS1_14partition_implILS5_6ELb0ES3_mN6thrust23THRUST_200600_302600_NS6detail15normal_iteratorINSA_10device_ptrItEEEEPS6_SG_NS0_5tupleIJSF_S6_EEENSH_IJSG_SG_EEES6_PlJNSB_9not_fun_tI7is_evenItEEEEEE10hipError_tPvRmT3_T4_T5_T6_T7_T9_mT8_P12ihipStream_tbDpT10_ENKUlT_T0_E_clISt17integral_constantIbLb0EES17_IbLb1EEEEDaS13_S14_EUlS13_E_NS1_11comp_targetILNS1_3genE10ELNS1_11target_archE1200ELNS1_3gpuE4ELNS1_3repE0EEENS1_30default_config_static_selectorELNS0_4arch9wavefront6targetE0EEEvT1_.numbered_sgpr, 20
	.set _ZN7rocprim17ROCPRIM_400000_NS6detail17trampoline_kernelINS0_14default_configENS1_25partition_config_selectorILNS1_17partition_subalgoE6EtNS0_10empty_typeEbEEZZNS1_14partition_implILS5_6ELb0ES3_mN6thrust23THRUST_200600_302600_NS6detail15normal_iteratorINSA_10device_ptrItEEEEPS6_SG_NS0_5tupleIJSF_S6_EEENSH_IJSG_SG_EEES6_PlJNSB_9not_fun_tI7is_evenItEEEEEE10hipError_tPvRmT3_T4_T5_T6_T7_T9_mT8_P12ihipStream_tbDpT10_ENKUlT_T0_E_clISt17integral_constantIbLb0EES17_IbLb1EEEEDaS13_S14_EUlS13_E_NS1_11comp_targetILNS1_3genE10ELNS1_11target_archE1200ELNS1_3gpuE4ELNS1_3repE0EEENS1_30default_config_static_selectorELNS0_4arch9wavefront6targetE0EEEvT1_.num_named_barrier, 0
	.set _ZN7rocprim17ROCPRIM_400000_NS6detail17trampoline_kernelINS0_14default_configENS1_25partition_config_selectorILNS1_17partition_subalgoE6EtNS0_10empty_typeEbEEZZNS1_14partition_implILS5_6ELb0ES3_mN6thrust23THRUST_200600_302600_NS6detail15normal_iteratorINSA_10device_ptrItEEEEPS6_SG_NS0_5tupleIJSF_S6_EEENSH_IJSG_SG_EEES6_PlJNSB_9not_fun_tI7is_evenItEEEEEE10hipError_tPvRmT3_T4_T5_T6_T7_T9_mT8_P12ihipStream_tbDpT10_ENKUlT_T0_E_clISt17integral_constantIbLb0EES17_IbLb1EEEEDaS13_S14_EUlS13_E_NS1_11comp_targetILNS1_3genE10ELNS1_11target_archE1200ELNS1_3gpuE4ELNS1_3repE0EEENS1_30default_config_static_selectorELNS0_4arch9wavefront6targetE0EEEvT1_.private_seg_size, 0
	.set _ZN7rocprim17ROCPRIM_400000_NS6detail17trampoline_kernelINS0_14default_configENS1_25partition_config_selectorILNS1_17partition_subalgoE6EtNS0_10empty_typeEbEEZZNS1_14partition_implILS5_6ELb0ES3_mN6thrust23THRUST_200600_302600_NS6detail15normal_iteratorINSA_10device_ptrItEEEEPS6_SG_NS0_5tupleIJSF_S6_EEENSH_IJSG_SG_EEES6_PlJNSB_9not_fun_tI7is_evenItEEEEEE10hipError_tPvRmT3_T4_T5_T6_T7_T9_mT8_P12ihipStream_tbDpT10_ENKUlT_T0_E_clISt17integral_constantIbLb0EES17_IbLb1EEEEDaS13_S14_EUlS13_E_NS1_11comp_targetILNS1_3genE10ELNS1_11target_archE1200ELNS1_3gpuE4ELNS1_3repE0EEENS1_30default_config_static_selectorELNS0_4arch9wavefront6targetE0EEEvT1_.uses_vcc, 1
	.set _ZN7rocprim17ROCPRIM_400000_NS6detail17trampoline_kernelINS0_14default_configENS1_25partition_config_selectorILNS1_17partition_subalgoE6EtNS0_10empty_typeEbEEZZNS1_14partition_implILS5_6ELb0ES3_mN6thrust23THRUST_200600_302600_NS6detail15normal_iteratorINSA_10device_ptrItEEEEPS6_SG_NS0_5tupleIJSF_S6_EEENSH_IJSG_SG_EEES6_PlJNSB_9not_fun_tI7is_evenItEEEEEE10hipError_tPvRmT3_T4_T5_T6_T7_T9_mT8_P12ihipStream_tbDpT10_ENKUlT_T0_E_clISt17integral_constantIbLb0EES17_IbLb1EEEEDaS13_S14_EUlS13_E_NS1_11comp_targetILNS1_3genE10ELNS1_11target_archE1200ELNS1_3gpuE4ELNS1_3repE0EEENS1_30default_config_static_selectorELNS0_4arch9wavefront6targetE0EEEvT1_.uses_flat_scratch, 1
	.set _ZN7rocprim17ROCPRIM_400000_NS6detail17trampoline_kernelINS0_14default_configENS1_25partition_config_selectorILNS1_17partition_subalgoE6EtNS0_10empty_typeEbEEZZNS1_14partition_implILS5_6ELb0ES3_mN6thrust23THRUST_200600_302600_NS6detail15normal_iteratorINSA_10device_ptrItEEEEPS6_SG_NS0_5tupleIJSF_S6_EEENSH_IJSG_SG_EEES6_PlJNSB_9not_fun_tI7is_evenItEEEEEE10hipError_tPvRmT3_T4_T5_T6_T7_T9_mT8_P12ihipStream_tbDpT10_ENKUlT_T0_E_clISt17integral_constantIbLb0EES17_IbLb1EEEEDaS13_S14_EUlS13_E_NS1_11comp_targetILNS1_3genE10ELNS1_11target_archE1200ELNS1_3gpuE4ELNS1_3repE0EEENS1_30default_config_static_selectorELNS0_4arch9wavefront6targetE0EEEvT1_.has_dyn_sized_stack, 0
	.set _ZN7rocprim17ROCPRIM_400000_NS6detail17trampoline_kernelINS0_14default_configENS1_25partition_config_selectorILNS1_17partition_subalgoE6EtNS0_10empty_typeEbEEZZNS1_14partition_implILS5_6ELb0ES3_mN6thrust23THRUST_200600_302600_NS6detail15normal_iteratorINSA_10device_ptrItEEEEPS6_SG_NS0_5tupleIJSF_S6_EEENSH_IJSG_SG_EEES6_PlJNSB_9not_fun_tI7is_evenItEEEEEE10hipError_tPvRmT3_T4_T5_T6_T7_T9_mT8_P12ihipStream_tbDpT10_ENKUlT_T0_E_clISt17integral_constantIbLb0EES17_IbLb1EEEEDaS13_S14_EUlS13_E_NS1_11comp_targetILNS1_3genE10ELNS1_11target_archE1200ELNS1_3gpuE4ELNS1_3repE0EEENS1_30default_config_static_selectorELNS0_4arch9wavefront6targetE0EEEvT1_.has_recursion, 0
	.set _ZN7rocprim17ROCPRIM_400000_NS6detail17trampoline_kernelINS0_14default_configENS1_25partition_config_selectorILNS1_17partition_subalgoE6EtNS0_10empty_typeEbEEZZNS1_14partition_implILS5_6ELb0ES3_mN6thrust23THRUST_200600_302600_NS6detail15normal_iteratorINSA_10device_ptrItEEEEPS6_SG_NS0_5tupleIJSF_S6_EEENSH_IJSG_SG_EEES6_PlJNSB_9not_fun_tI7is_evenItEEEEEE10hipError_tPvRmT3_T4_T5_T6_T7_T9_mT8_P12ihipStream_tbDpT10_ENKUlT_T0_E_clISt17integral_constantIbLb0EES17_IbLb1EEEEDaS13_S14_EUlS13_E_NS1_11comp_targetILNS1_3genE10ELNS1_11target_archE1200ELNS1_3gpuE4ELNS1_3repE0EEENS1_30default_config_static_selectorELNS0_4arch9wavefront6targetE0EEEvT1_.has_indirect_call, 0
	.section	.AMDGPU.csdata,"",@progbits
; Kernel info:
; codeLenInByte = 11476
; TotalNumSgprs: 22
; NumVgprs: 79
; ScratchSize: 0
; MemoryBound: 0
; FloatMode: 240
; IeeeMode: 1
; LDSByteSize: 13840 bytes/workgroup (compile time only)
; SGPRBlocks: 0
; VGPRBlocks: 9
; NumSGPRsForWavesPerEU: 22
; NumVGPRsForWavesPerEU: 79
; Occupancy: 15
; WaveLimiterHint : 1
; COMPUTE_PGM_RSRC2:SCRATCH_EN: 0
; COMPUTE_PGM_RSRC2:USER_SGPR: 2
; COMPUTE_PGM_RSRC2:TRAP_HANDLER: 0
; COMPUTE_PGM_RSRC2:TGID_X_EN: 1
; COMPUTE_PGM_RSRC2:TGID_Y_EN: 0
; COMPUTE_PGM_RSRC2:TGID_Z_EN: 0
; COMPUTE_PGM_RSRC2:TIDIG_COMP_CNT: 0
	.section	.text._ZN7rocprim17ROCPRIM_400000_NS6detail17trampoline_kernelINS0_14default_configENS1_25partition_config_selectorILNS1_17partition_subalgoE6EtNS0_10empty_typeEbEEZZNS1_14partition_implILS5_6ELb0ES3_mN6thrust23THRUST_200600_302600_NS6detail15normal_iteratorINSA_10device_ptrItEEEEPS6_SG_NS0_5tupleIJSF_S6_EEENSH_IJSG_SG_EEES6_PlJNSB_9not_fun_tI7is_evenItEEEEEE10hipError_tPvRmT3_T4_T5_T6_T7_T9_mT8_P12ihipStream_tbDpT10_ENKUlT_T0_E_clISt17integral_constantIbLb0EES17_IbLb1EEEEDaS13_S14_EUlS13_E_NS1_11comp_targetILNS1_3genE9ELNS1_11target_archE1100ELNS1_3gpuE3ELNS1_3repE0EEENS1_30default_config_static_selectorELNS0_4arch9wavefront6targetE0EEEvT1_,"axG",@progbits,_ZN7rocprim17ROCPRIM_400000_NS6detail17trampoline_kernelINS0_14default_configENS1_25partition_config_selectorILNS1_17partition_subalgoE6EtNS0_10empty_typeEbEEZZNS1_14partition_implILS5_6ELb0ES3_mN6thrust23THRUST_200600_302600_NS6detail15normal_iteratorINSA_10device_ptrItEEEEPS6_SG_NS0_5tupleIJSF_S6_EEENSH_IJSG_SG_EEES6_PlJNSB_9not_fun_tI7is_evenItEEEEEE10hipError_tPvRmT3_T4_T5_T6_T7_T9_mT8_P12ihipStream_tbDpT10_ENKUlT_T0_E_clISt17integral_constantIbLb0EES17_IbLb1EEEEDaS13_S14_EUlS13_E_NS1_11comp_targetILNS1_3genE9ELNS1_11target_archE1100ELNS1_3gpuE3ELNS1_3repE0EEENS1_30default_config_static_selectorELNS0_4arch9wavefront6targetE0EEEvT1_,comdat
	.protected	_ZN7rocprim17ROCPRIM_400000_NS6detail17trampoline_kernelINS0_14default_configENS1_25partition_config_selectorILNS1_17partition_subalgoE6EtNS0_10empty_typeEbEEZZNS1_14partition_implILS5_6ELb0ES3_mN6thrust23THRUST_200600_302600_NS6detail15normal_iteratorINSA_10device_ptrItEEEEPS6_SG_NS0_5tupleIJSF_S6_EEENSH_IJSG_SG_EEES6_PlJNSB_9not_fun_tI7is_evenItEEEEEE10hipError_tPvRmT3_T4_T5_T6_T7_T9_mT8_P12ihipStream_tbDpT10_ENKUlT_T0_E_clISt17integral_constantIbLb0EES17_IbLb1EEEEDaS13_S14_EUlS13_E_NS1_11comp_targetILNS1_3genE9ELNS1_11target_archE1100ELNS1_3gpuE3ELNS1_3repE0EEENS1_30default_config_static_selectorELNS0_4arch9wavefront6targetE0EEEvT1_ ; -- Begin function _ZN7rocprim17ROCPRIM_400000_NS6detail17trampoline_kernelINS0_14default_configENS1_25partition_config_selectorILNS1_17partition_subalgoE6EtNS0_10empty_typeEbEEZZNS1_14partition_implILS5_6ELb0ES3_mN6thrust23THRUST_200600_302600_NS6detail15normal_iteratorINSA_10device_ptrItEEEEPS6_SG_NS0_5tupleIJSF_S6_EEENSH_IJSG_SG_EEES6_PlJNSB_9not_fun_tI7is_evenItEEEEEE10hipError_tPvRmT3_T4_T5_T6_T7_T9_mT8_P12ihipStream_tbDpT10_ENKUlT_T0_E_clISt17integral_constantIbLb0EES17_IbLb1EEEEDaS13_S14_EUlS13_E_NS1_11comp_targetILNS1_3genE9ELNS1_11target_archE1100ELNS1_3gpuE3ELNS1_3repE0EEENS1_30default_config_static_selectorELNS0_4arch9wavefront6targetE0EEEvT1_
	.globl	_ZN7rocprim17ROCPRIM_400000_NS6detail17trampoline_kernelINS0_14default_configENS1_25partition_config_selectorILNS1_17partition_subalgoE6EtNS0_10empty_typeEbEEZZNS1_14partition_implILS5_6ELb0ES3_mN6thrust23THRUST_200600_302600_NS6detail15normal_iteratorINSA_10device_ptrItEEEEPS6_SG_NS0_5tupleIJSF_S6_EEENSH_IJSG_SG_EEES6_PlJNSB_9not_fun_tI7is_evenItEEEEEE10hipError_tPvRmT3_T4_T5_T6_T7_T9_mT8_P12ihipStream_tbDpT10_ENKUlT_T0_E_clISt17integral_constantIbLb0EES17_IbLb1EEEEDaS13_S14_EUlS13_E_NS1_11comp_targetILNS1_3genE9ELNS1_11target_archE1100ELNS1_3gpuE3ELNS1_3repE0EEENS1_30default_config_static_selectorELNS0_4arch9wavefront6targetE0EEEvT1_
	.p2align	8
	.type	_ZN7rocprim17ROCPRIM_400000_NS6detail17trampoline_kernelINS0_14default_configENS1_25partition_config_selectorILNS1_17partition_subalgoE6EtNS0_10empty_typeEbEEZZNS1_14partition_implILS5_6ELb0ES3_mN6thrust23THRUST_200600_302600_NS6detail15normal_iteratorINSA_10device_ptrItEEEEPS6_SG_NS0_5tupleIJSF_S6_EEENSH_IJSG_SG_EEES6_PlJNSB_9not_fun_tI7is_evenItEEEEEE10hipError_tPvRmT3_T4_T5_T6_T7_T9_mT8_P12ihipStream_tbDpT10_ENKUlT_T0_E_clISt17integral_constantIbLb0EES17_IbLb1EEEEDaS13_S14_EUlS13_E_NS1_11comp_targetILNS1_3genE9ELNS1_11target_archE1100ELNS1_3gpuE3ELNS1_3repE0EEENS1_30default_config_static_selectorELNS0_4arch9wavefront6targetE0EEEvT1_,@function
_ZN7rocprim17ROCPRIM_400000_NS6detail17trampoline_kernelINS0_14default_configENS1_25partition_config_selectorILNS1_17partition_subalgoE6EtNS0_10empty_typeEbEEZZNS1_14partition_implILS5_6ELb0ES3_mN6thrust23THRUST_200600_302600_NS6detail15normal_iteratorINSA_10device_ptrItEEEEPS6_SG_NS0_5tupleIJSF_S6_EEENSH_IJSG_SG_EEES6_PlJNSB_9not_fun_tI7is_evenItEEEEEE10hipError_tPvRmT3_T4_T5_T6_T7_T9_mT8_P12ihipStream_tbDpT10_ENKUlT_T0_E_clISt17integral_constantIbLb0EES17_IbLb1EEEEDaS13_S14_EUlS13_E_NS1_11comp_targetILNS1_3genE9ELNS1_11target_archE1100ELNS1_3gpuE3ELNS1_3repE0EEENS1_30default_config_static_selectorELNS0_4arch9wavefront6targetE0EEEvT1_: ; @_ZN7rocprim17ROCPRIM_400000_NS6detail17trampoline_kernelINS0_14default_configENS1_25partition_config_selectorILNS1_17partition_subalgoE6EtNS0_10empty_typeEbEEZZNS1_14partition_implILS5_6ELb0ES3_mN6thrust23THRUST_200600_302600_NS6detail15normal_iteratorINSA_10device_ptrItEEEEPS6_SG_NS0_5tupleIJSF_S6_EEENSH_IJSG_SG_EEES6_PlJNSB_9not_fun_tI7is_evenItEEEEEE10hipError_tPvRmT3_T4_T5_T6_T7_T9_mT8_P12ihipStream_tbDpT10_ENKUlT_T0_E_clISt17integral_constantIbLb0EES17_IbLb1EEEEDaS13_S14_EUlS13_E_NS1_11comp_targetILNS1_3genE9ELNS1_11target_archE1100ELNS1_3gpuE3ELNS1_3repE0EEENS1_30default_config_static_selectorELNS0_4arch9wavefront6targetE0EEEvT1_
; %bb.0:
	.section	.rodata,"a",@progbits
	.p2align	6, 0x0
	.amdhsa_kernel _ZN7rocprim17ROCPRIM_400000_NS6detail17trampoline_kernelINS0_14default_configENS1_25partition_config_selectorILNS1_17partition_subalgoE6EtNS0_10empty_typeEbEEZZNS1_14partition_implILS5_6ELb0ES3_mN6thrust23THRUST_200600_302600_NS6detail15normal_iteratorINSA_10device_ptrItEEEEPS6_SG_NS0_5tupleIJSF_S6_EEENSH_IJSG_SG_EEES6_PlJNSB_9not_fun_tI7is_evenItEEEEEE10hipError_tPvRmT3_T4_T5_T6_T7_T9_mT8_P12ihipStream_tbDpT10_ENKUlT_T0_E_clISt17integral_constantIbLb0EES17_IbLb1EEEEDaS13_S14_EUlS13_E_NS1_11comp_targetILNS1_3genE9ELNS1_11target_archE1100ELNS1_3gpuE3ELNS1_3repE0EEENS1_30default_config_static_selectorELNS0_4arch9wavefront6targetE0EEEvT1_
		.amdhsa_group_segment_fixed_size 0
		.amdhsa_private_segment_fixed_size 0
		.amdhsa_kernarg_size 128
		.amdhsa_user_sgpr_count 2
		.amdhsa_user_sgpr_dispatch_ptr 0
		.amdhsa_user_sgpr_queue_ptr 0
		.amdhsa_user_sgpr_kernarg_segment_ptr 1
		.amdhsa_user_sgpr_dispatch_id 0
		.amdhsa_user_sgpr_private_segment_size 0
		.amdhsa_wavefront_size32 1
		.amdhsa_uses_dynamic_stack 0
		.amdhsa_enable_private_segment 0
		.amdhsa_system_sgpr_workgroup_id_x 1
		.amdhsa_system_sgpr_workgroup_id_y 0
		.amdhsa_system_sgpr_workgroup_id_z 0
		.amdhsa_system_sgpr_workgroup_info 0
		.amdhsa_system_vgpr_workitem_id 0
		.amdhsa_next_free_vgpr 1
		.amdhsa_next_free_sgpr 1
		.amdhsa_reserve_vcc 0
		.amdhsa_float_round_mode_32 0
		.amdhsa_float_round_mode_16_64 0
		.amdhsa_float_denorm_mode_32 3
		.amdhsa_float_denorm_mode_16_64 3
		.amdhsa_fp16_overflow 0
		.amdhsa_workgroup_processor_mode 1
		.amdhsa_memory_ordered 1
		.amdhsa_forward_progress 1
		.amdhsa_inst_pref_size 0
		.amdhsa_round_robin_scheduling 0
		.amdhsa_exception_fp_ieee_invalid_op 0
		.amdhsa_exception_fp_denorm_src 0
		.amdhsa_exception_fp_ieee_div_zero 0
		.amdhsa_exception_fp_ieee_overflow 0
		.amdhsa_exception_fp_ieee_underflow 0
		.amdhsa_exception_fp_ieee_inexact 0
		.amdhsa_exception_int_div_zero 0
	.end_amdhsa_kernel
	.section	.text._ZN7rocprim17ROCPRIM_400000_NS6detail17trampoline_kernelINS0_14default_configENS1_25partition_config_selectorILNS1_17partition_subalgoE6EtNS0_10empty_typeEbEEZZNS1_14partition_implILS5_6ELb0ES3_mN6thrust23THRUST_200600_302600_NS6detail15normal_iteratorINSA_10device_ptrItEEEEPS6_SG_NS0_5tupleIJSF_S6_EEENSH_IJSG_SG_EEES6_PlJNSB_9not_fun_tI7is_evenItEEEEEE10hipError_tPvRmT3_T4_T5_T6_T7_T9_mT8_P12ihipStream_tbDpT10_ENKUlT_T0_E_clISt17integral_constantIbLb0EES17_IbLb1EEEEDaS13_S14_EUlS13_E_NS1_11comp_targetILNS1_3genE9ELNS1_11target_archE1100ELNS1_3gpuE3ELNS1_3repE0EEENS1_30default_config_static_selectorELNS0_4arch9wavefront6targetE0EEEvT1_,"axG",@progbits,_ZN7rocprim17ROCPRIM_400000_NS6detail17trampoline_kernelINS0_14default_configENS1_25partition_config_selectorILNS1_17partition_subalgoE6EtNS0_10empty_typeEbEEZZNS1_14partition_implILS5_6ELb0ES3_mN6thrust23THRUST_200600_302600_NS6detail15normal_iteratorINSA_10device_ptrItEEEEPS6_SG_NS0_5tupleIJSF_S6_EEENSH_IJSG_SG_EEES6_PlJNSB_9not_fun_tI7is_evenItEEEEEE10hipError_tPvRmT3_T4_T5_T6_T7_T9_mT8_P12ihipStream_tbDpT10_ENKUlT_T0_E_clISt17integral_constantIbLb0EES17_IbLb1EEEEDaS13_S14_EUlS13_E_NS1_11comp_targetILNS1_3genE9ELNS1_11target_archE1100ELNS1_3gpuE3ELNS1_3repE0EEENS1_30default_config_static_selectorELNS0_4arch9wavefront6targetE0EEEvT1_,comdat
.Lfunc_end691:
	.size	_ZN7rocprim17ROCPRIM_400000_NS6detail17trampoline_kernelINS0_14default_configENS1_25partition_config_selectorILNS1_17partition_subalgoE6EtNS0_10empty_typeEbEEZZNS1_14partition_implILS5_6ELb0ES3_mN6thrust23THRUST_200600_302600_NS6detail15normal_iteratorINSA_10device_ptrItEEEEPS6_SG_NS0_5tupleIJSF_S6_EEENSH_IJSG_SG_EEES6_PlJNSB_9not_fun_tI7is_evenItEEEEEE10hipError_tPvRmT3_T4_T5_T6_T7_T9_mT8_P12ihipStream_tbDpT10_ENKUlT_T0_E_clISt17integral_constantIbLb0EES17_IbLb1EEEEDaS13_S14_EUlS13_E_NS1_11comp_targetILNS1_3genE9ELNS1_11target_archE1100ELNS1_3gpuE3ELNS1_3repE0EEENS1_30default_config_static_selectorELNS0_4arch9wavefront6targetE0EEEvT1_, .Lfunc_end691-_ZN7rocprim17ROCPRIM_400000_NS6detail17trampoline_kernelINS0_14default_configENS1_25partition_config_selectorILNS1_17partition_subalgoE6EtNS0_10empty_typeEbEEZZNS1_14partition_implILS5_6ELb0ES3_mN6thrust23THRUST_200600_302600_NS6detail15normal_iteratorINSA_10device_ptrItEEEEPS6_SG_NS0_5tupleIJSF_S6_EEENSH_IJSG_SG_EEES6_PlJNSB_9not_fun_tI7is_evenItEEEEEE10hipError_tPvRmT3_T4_T5_T6_T7_T9_mT8_P12ihipStream_tbDpT10_ENKUlT_T0_E_clISt17integral_constantIbLb0EES17_IbLb1EEEEDaS13_S14_EUlS13_E_NS1_11comp_targetILNS1_3genE9ELNS1_11target_archE1100ELNS1_3gpuE3ELNS1_3repE0EEENS1_30default_config_static_selectorELNS0_4arch9wavefront6targetE0EEEvT1_
                                        ; -- End function
	.set _ZN7rocprim17ROCPRIM_400000_NS6detail17trampoline_kernelINS0_14default_configENS1_25partition_config_selectorILNS1_17partition_subalgoE6EtNS0_10empty_typeEbEEZZNS1_14partition_implILS5_6ELb0ES3_mN6thrust23THRUST_200600_302600_NS6detail15normal_iteratorINSA_10device_ptrItEEEEPS6_SG_NS0_5tupleIJSF_S6_EEENSH_IJSG_SG_EEES6_PlJNSB_9not_fun_tI7is_evenItEEEEEE10hipError_tPvRmT3_T4_T5_T6_T7_T9_mT8_P12ihipStream_tbDpT10_ENKUlT_T0_E_clISt17integral_constantIbLb0EES17_IbLb1EEEEDaS13_S14_EUlS13_E_NS1_11comp_targetILNS1_3genE9ELNS1_11target_archE1100ELNS1_3gpuE3ELNS1_3repE0EEENS1_30default_config_static_selectorELNS0_4arch9wavefront6targetE0EEEvT1_.num_vgpr, 0
	.set _ZN7rocprim17ROCPRIM_400000_NS6detail17trampoline_kernelINS0_14default_configENS1_25partition_config_selectorILNS1_17partition_subalgoE6EtNS0_10empty_typeEbEEZZNS1_14partition_implILS5_6ELb0ES3_mN6thrust23THRUST_200600_302600_NS6detail15normal_iteratorINSA_10device_ptrItEEEEPS6_SG_NS0_5tupleIJSF_S6_EEENSH_IJSG_SG_EEES6_PlJNSB_9not_fun_tI7is_evenItEEEEEE10hipError_tPvRmT3_T4_T5_T6_T7_T9_mT8_P12ihipStream_tbDpT10_ENKUlT_T0_E_clISt17integral_constantIbLb0EES17_IbLb1EEEEDaS13_S14_EUlS13_E_NS1_11comp_targetILNS1_3genE9ELNS1_11target_archE1100ELNS1_3gpuE3ELNS1_3repE0EEENS1_30default_config_static_selectorELNS0_4arch9wavefront6targetE0EEEvT1_.num_agpr, 0
	.set _ZN7rocprim17ROCPRIM_400000_NS6detail17trampoline_kernelINS0_14default_configENS1_25partition_config_selectorILNS1_17partition_subalgoE6EtNS0_10empty_typeEbEEZZNS1_14partition_implILS5_6ELb0ES3_mN6thrust23THRUST_200600_302600_NS6detail15normal_iteratorINSA_10device_ptrItEEEEPS6_SG_NS0_5tupleIJSF_S6_EEENSH_IJSG_SG_EEES6_PlJNSB_9not_fun_tI7is_evenItEEEEEE10hipError_tPvRmT3_T4_T5_T6_T7_T9_mT8_P12ihipStream_tbDpT10_ENKUlT_T0_E_clISt17integral_constantIbLb0EES17_IbLb1EEEEDaS13_S14_EUlS13_E_NS1_11comp_targetILNS1_3genE9ELNS1_11target_archE1100ELNS1_3gpuE3ELNS1_3repE0EEENS1_30default_config_static_selectorELNS0_4arch9wavefront6targetE0EEEvT1_.numbered_sgpr, 0
	.set _ZN7rocprim17ROCPRIM_400000_NS6detail17trampoline_kernelINS0_14default_configENS1_25partition_config_selectorILNS1_17partition_subalgoE6EtNS0_10empty_typeEbEEZZNS1_14partition_implILS5_6ELb0ES3_mN6thrust23THRUST_200600_302600_NS6detail15normal_iteratorINSA_10device_ptrItEEEEPS6_SG_NS0_5tupleIJSF_S6_EEENSH_IJSG_SG_EEES6_PlJNSB_9not_fun_tI7is_evenItEEEEEE10hipError_tPvRmT3_T4_T5_T6_T7_T9_mT8_P12ihipStream_tbDpT10_ENKUlT_T0_E_clISt17integral_constantIbLb0EES17_IbLb1EEEEDaS13_S14_EUlS13_E_NS1_11comp_targetILNS1_3genE9ELNS1_11target_archE1100ELNS1_3gpuE3ELNS1_3repE0EEENS1_30default_config_static_selectorELNS0_4arch9wavefront6targetE0EEEvT1_.num_named_barrier, 0
	.set _ZN7rocprim17ROCPRIM_400000_NS6detail17trampoline_kernelINS0_14default_configENS1_25partition_config_selectorILNS1_17partition_subalgoE6EtNS0_10empty_typeEbEEZZNS1_14partition_implILS5_6ELb0ES3_mN6thrust23THRUST_200600_302600_NS6detail15normal_iteratorINSA_10device_ptrItEEEEPS6_SG_NS0_5tupleIJSF_S6_EEENSH_IJSG_SG_EEES6_PlJNSB_9not_fun_tI7is_evenItEEEEEE10hipError_tPvRmT3_T4_T5_T6_T7_T9_mT8_P12ihipStream_tbDpT10_ENKUlT_T0_E_clISt17integral_constantIbLb0EES17_IbLb1EEEEDaS13_S14_EUlS13_E_NS1_11comp_targetILNS1_3genE9ELNS1_11target_archE1100ELNS1_3gpuE3ELNS1_3repE0EEENS1_30default_config_static_selectorELNS0_4arch9wavefront6targetE0EEEvT1_.private_seg_size, 0
	.set _ZN7rocprim17ROCPRIM_400000_NS6detail17trampoline_kernelINS0_14default_configENS1_25partition_config_selectorILNS1_17partition_subalgoE6EtNS0_10empty_typeEbEEZZNS1_14partition_implILS5_6ELb0ES3_mN6thrust23THRUST_200600_302600_NS6detail15normal_iteratorINSA_10device_ptrItEEEEPS6_SG_NS0_5tupleIJSF_S6_EEENSH_IJSG_SG_EEES6_PlJNSB_9not_fun_tI7is_evenItEEEEEE10hipError_tPvRmT3_T4_T5_T6_T7_T9_mT8_P12ihipStream_tbDpT10_ENKUlT_T0_E_clISt17integral_constantIbLb0EES17_IbLb1EEEEDaS13_S14_EUlS13_E_NS1_11comp_targetILNS1_3genE9ELNS1_11target_archE1100ELNS1_3gpuE3ELNS1_3repE0EEENS1_30default_config_static_selectorELNS0_4arch9wavefront6targetE0EEEvT1_.uses_vcc, 0
	.set _ZN7rocprim17ROCPRIM_400000_NS6detail17trampoline_kernelINS0_14default_configENS1_25partition_config_selectorILNS1_17partition_subalgoE6EtNS0_10empty_typeEbEEZZNS1_14partition_implILS5_6ELb0ES3_mN6thrust23THRUST_200600_302600_NS6detail15normal_iteratorINSA_10device_ptrItEEEEPS6_SG_NS0_5tupleIJSF_S6_EEENSH_IJSG_SG_EEES6_PlJNSB_9not_fun_tI7is_evenItEEEEEE10hipError_tPvRmT3_T4_T5_T6_T7_T9_mT8_P12ihipStream_tbDpT10_ENKUlT_T0_E_clISt17integral_constantIbLb0EES17_IbLb1EEEEDaS13_S14_EUlS13_E_NS1_11comp_targetILNS1_3genE9ELNS1_11target_archE1100ELNS1_3gpuE3ELNS1_3repE0EEENS1_30default_config_static_selectorELNS0_4arch9wavefront6targetE0EEEvT1_.uses_flat_scratch, 0
	.set _ZN7rocprim17ROCPRIM_400000_NS6detail17trampoline_kernelINS0_14default_configENS1_25partition_config_selectorILNS1_17partition_subalgoE6EtNS0_10empty_typeEbEEZZNS1_14partition_implILS5_6ELb0ES3_mN6thrust23THRUST_200600_302600_NS6detail15normal_iteratorINSA_10device_ptrItEEEEPS6_SG_NS0_5tupleIJSF_S6_EEENSH_IJSG_SG_EEES6_PlJNSB_9not_fun_tI7is_evenItEEEEEE10hipError_tPvRmT3_T4_T5_T6_T7_T9_mT8_P12ihipStream_tbDpT10_ENKUlT_T0_E_clISt17integral_constantIbLb0EES17_IbLb1EEEEDaS13_S14_EUlS13_E_NS1_11comp_targetILNS1_3genE9ELNS1_11target_archE1100ELNS1_3gpuE3ELNS1_3repE0EEENS1_30default_config_static_selectorELNS0_4arch9wavefront6targetE0EEEvT1_.has_dyn_sized_stack, 0
	.set _ZN7rocprim17ROCPRIM_400000_NS6detail17trampoline_kernelINS0_14default_configENS1_25partition_config_selectorILNS1_17partition_subalgoE6EtNS0_10empty_typeEbEEZZNS1_14partition_implILS5_6ELb0ES3_mN6thrust23THRUST_200600_302600_NS6detail15normal_iteratorINSA_10device_ptrItEEEEPS6_SG_NS0_5tupleIJSF_S6_EEENSH_IJSG_SG_EEES6_PlJNSB_9not_fun_tI7is_evenItEEEEEE10hipError_tPvRmT3_T4_T5_T6_T7_T9_mT8_P12ihipStream_tbDpT10_ENKUlT_T0_E_clISt17integral_constantIbLb0EES17_IbLb1EEEEDaS13_S14_EUlS13_E_NS1_11comp_targetILNS1_3genE9ELNS1_11target_archE1100ELNS1_3gpuE3ELNS1_3repE0EEENS1_30default_config_static_selectorELNS0_4arch9wavefront6targetE0EEEvT1_.has_recursion, 0
	.set _ZN7rocprim17ROCPRIM_400000_NS6detail17trampoline_kernelINS0_14default_configENS1_25partition_config_selectorILNS1_17partition_subalgoE6EtNS0_10empty_typeEbEEZZNS1_14partition_implILS5_6ELb0ES3_mN6thrust23THRUST_200600_302600_NS6detail15normal_iteratorINSA_10device_ptrItEEEEPS6_SG_NS0_5tupleIJSF_S6_EEENSH_IJSG_SG_EEES6_PlJNSB_9not_fun_tI7is_evenItEEEEEE10hipError_tPvRmT3_T4_T5_T6_T7_T9_mT8_P12ihipStream_tbDpT10_ENKUlT_T0_E_clISt17integral_constantIbLb0EES17_IbLb1EEEEDaS13_S14_EUlS13_E_NS1_11comp_targetILNS1_3genE9ELNS1_11target_archE1100ELNS1_3gpuE3ELNS1_3repE0EEENS1_30default_config_static_selectorELNS0_4arch9wavefront6targetE0EEEvT1_.has_indirect_call, 0
	.section	.AMDGPU.csdata,"",@progbits
; Kernel info:
; codeLenInByte = 0
; TotalNumSgprs: 0
; NumVgprs: 0
; ScratchSize: 0
; MemoryBound: 0
; FloatMode: 240
; IeeeMode: 1
; LDSByteSize: 0 bytes/workgroup (compile time only)
; SGPRBlocks: 0
; VGPRBlocks: 0
; NumSGPRsForWavesPerEU: 1
; NumVGPRsForWavesPerEU: 1
; Occupancy: 16
; WaveLimiterHint : 0
; COMPUTE_PGM_RSRC2:SCRATCH_EN: 0
; COMPUTE_PGM_RSRC2:USER_SGPR: 2
; COMPUTE_PGM_RSRC2:TRAP_HANDLER: 0
; COMPUTE_PGM_RSRC2:TGID_X_EN: 1
; COMPUTE_PGM_RSRC2:TGID_Y_EN: 0
; COMPUTE_PGM_RSRC2:TGID_Z_EN: 0
; COMPUTE_PGM_RSRC2:TIDIG_COMP_CNT: 0
	.section	.text._ZN7rocprim17ROCPRIM_400000_NS6detail17trampoline_kernelINS0_14default_configENS1_25partition_config_selectorILNS1_17partition_subalgoE6EtNS0_10empty_typeEbEEZZNS1_14partition_implILS5_6ELb0ES3_mN6thrust23THRUST_200600_302600_NS6detail15normal_iteratorINSA_10device_ptrItEEEEPS6_SG_NS0_5tupleIJSF_S6_EEENSH_IJSG_SG_EEES6_PlJNSB_9not_fun_tI7is_evenItEEEEEE10hipError_tPvRmT3_T4_T5_T6_T7_T9_mT8_P12ihipStream_tbDpT10_ENKUlT_T0_E_clISt17integral_constantIbLb0EES17_IbLb1EEEEDaS13_S14_EUlS13_E_NS1_11comp_targetILNS1_3genE8ELNS1_11target_archE1030ELNS1_3gpuE2ELNS1_3repE0EEENS1_30default_config_static_selectorELNS0_4arch9wavefront6targetE0EEEvT1_,"axG",@progbits,_ZN7rocprim17ROCPRIM_400000_NS6detail17trampoline_kernelINS0_14default_configENS1_25partition_config_selectorILNS1_17partition_subalgoE6EtNS0_10empty_typeEbEEZZNS1_14partition_implILS5_6ELb0ES3_mN6thrust23THRUST_200600_302600_NS6detail15normal_iteratorINSA_10device_ptrItEEEEPS6_SG_NS0_5tupleIJSF_S6_EEENSH_IJSG_SG_EEES6_PlJNSB_9not_fun_tI7is_evenItEEEEEE10hipError_tPvRmT3_T4_T5_T6_T7_T9_mT8_P12ihipStream_tbDpT10_ENKUlT_T0_E_clISt17integral_constantIbLb0EES17_IbLb1EEEEDaS13_S14_EUlS13_E_NS1_11comp_targetILNS1_3genE8ELNS1_11target_archE1030ELNS1_3gpuE2ELNS1_3repE0EEENS1_30default_config_static_selectorELNS0_4arch9wavefront6targetE0EEEvT1_,comdat
	.protected	_ZN7rocprim17ROCPRIM_400000_NS6detail17trampoline_kernelINS0_14default_configENS1_25partition_config_selectorILNS1_17partition_subalgoE6EtNS0_10empty_typeEbEEZZNS1_14partition_implILS5_6ELb0ES3_mN6thrust23THRUST_200600_302600_NS6detail15normal_iteratorINSA_10device_ptrItEEEEPS6_SG_NS0_5tupleIJSF_S6_EEENSH_IJSG_SG_EEES6_PlJNSB_9not_fun_tI7is_evenItEEEEEE10hipError_tPvRmT3_T4_T5_T6_T7_T9_mT8_P12ihipStream_tbDpT10_ENKUlT_T0_E_clISt17integral_constantIbLb0EES17_IbLb1EEEEDaS13_S14_EUlS13_E_NS1_11comp_targetILNS1_3genE8ELNS1_11target_archE1030ELNS1_3gpuE2ELNS1_3repE0EEENS1_30default_config_static_selectorELNS0_4arch9wavefront6targetE0EEEvT1_ ; -- Begin function _ZN7rocprim17ROCPRIM_400000_NS6detail17trampoline_kernelINS0_14default_configENS1_25partition_config_selectorILNS1_17partition_subalgoE6EtNS0_10empty_typeEbEEZZNS1_14partition_implILS5_6ELb0ES3_mN6thrust23THRUST_200600_302600_NS6detail15normal_iteratorINSA_10device_ptrItEEEEPS6_SG_NS0_5tupleIJSF_S6_EEENSH_IJSG_SG_EEES6_PlJNSB_9not_fun_tI7is_evenItEEEEEE10hipError_tPvRmT3_T4_T5_T6_T7_T9_mT8_P12ihipStream_tbDpT10_ENKUlT_T0_E_clISt17integral_constantIbLb0EES17_IbLb1EEEEDaS13_S14_EUlS13_E_NS1_11comp_targetILNS1_3genE8ELNS1_11target_archE1030ELNS1_3gpuE2ELNS1_3repE0EEENS1_30default_config_static_selectorELNS0_4arch9wavefront6targetE0EEEvT1_
	.globl	_ZN7rocprim17ROCPRIM_400000_NS6detail17trampoline_kernelINS0_14default_configENS1_25partition_config_selectorILNS1_17partition_subalgoE6EtNS0_10empty_typeEbEEZZNS1_14partition_implILS5_6ELb0ES3_mN6thrust23THRUST_200600_302600_NS6detail15normal_iteratorINSA_10device_ptrItEEEEPS6_SG_NS0_5tupleIJSF_S6_EEENSH_IJSG_SG_EEES6_PlJNSB_9not_fun_tI7is_evenItEEEEEE10hipError_tPvRmT3_T4_T5_T6_T7_T9_mT8_P12ihipStream_tbDpT10_ENKUlT_T0_E_clISt17integral_constantIbLb0EES17_IbLb1EEEEDaS13_S14_EUlS13_E_NS1_11comp_targetILNS1_3genE8ELNS1_11target_archE1030ELNS1_3gpuE2ELNS1_3repE0EEENS1_30default_config_static_selectorELNS0_4arch9wavefront6targetE0EEEvT1_
	.p2align	8
	.type	_ZN7rocprim17ROCPRIM_400000_NS6detail17trampoline_kernelINS0_14default_configENS1_25partition_config_selectorILNS1_17partition_subalgoE6EtNS0_10empty_typeEbEEZZNS1_14partition_implILS5_6ELb0ES3_mN6thrust23THRUST_200600_302600_NS6detail15normal_iteratorINSA_10device_ptrItEEEEPS6_SG_NS0_5tupleIJSF_S6_EEENSH_IJSG_SG_EEES6_PlJNSB_9not_fun_tI7is_evenItEEEEEE10hipError_tPvRmT3_T4_T5_T6_T7_T9_mT8_P12ihipStream_tbDpT10_ENKUlT_T0_E_clISt17integral_constantIbLb0EES17_IbLb1EEEEDaS13_S14_EUlS13_E_NS1_11comp_targetILNS1_3genE8ELNS1_11target_archE1030ELNS1_3gpuE2ELNS1_3repE0EEENS1_30default_config_static_selectorELNS0_4arch9wavefront6targetE0EEEvT1_,@function
_ZN7rocprim17ROCPRIM_400000_NS6detail17trampoline_kernelINS0_14default_configENS1_25partition_config_selectorILNS1_17partition_subalgoE6EtNS0_10empty_typeEbEEZZNS1_14partition_implILS5_6ELb0ES3_mN6thrust23THRUST_200600_302600_NS6detail15normal_iteratorINSA_10device_ptrItEEEEPS6_SG_NS0_5tupleIJSF_S6_EEENSH_IJSG_SG_EEES6_PlJNSB_9not_fun_tI7is_evenItEEEEEE10hipError_tPvRmT3_T4_T5_T6_T7_T9_mT8_P12ihipStream_tbDpT10_ENKUlT_T0_E_clISt17integral_constantIbLb0EES17_IbLb1EEEEDaS13_S14_EUlS13_E_NS1_11comp_targetILNS1_3genE8ELNS1_11target_archE1030ELNS1_3gpuE2ELNS1_3repE0EEENS1_30default_config_static_selectorELNS0_4arch9wavefront6targetE0EEEvT1_: ; @_ZN7rocprim17ROCPRIM_400000_NS6detail17trampoline_kernelINS0_14default_configENS1_25partition_config_selectorILNS1_17partition_subalgoE6EtNS0_10empty_typeEbEEZZNS1_14partition_implILS5_6ELb0ES3_mN6thrust23THRUST_200600_302600_NS6detail15normal_iteratorINSA_10device_ptrItEEEEPS6_SG_NS0_5tupleIJSF_S6_EEENSH_IJSG_SG_EEES6_PlJNSB_9not_fun_tI7is_evenItEEEEEE10hipError_tPvRmT3_T4_T5_T6_T7_T9_mT8_P12ihipStream_tbDpT10_ENKUlT_T0_E_clISt17integral_constantIbLb0EES17_IbLb1EEEEDaS13_S14_EUlS13_E_NS1_11comp_targetILNS1_3genE8ELNS1_11target_archE1030ELNS1_3gpuE2ELNS1_3repE0EEENS1_30default_config_static_selectorELNS0_4arch9wavefront6targetE0EEEvT1_
; %bb.0:
	.section	.rodata,"a",@progbits
	.p2align	6, 0x0
	.amdhsa_kernel _ZN7rocprim17ROCPRIM_400000_NS6detail17trampoline_kernelINS0_14default_configENS1_25partition_config_selectorILNS1_17partition_subalgoE6EtNS0_10empty_typeEbEEZZNS1_14partition_implILS5_6ELb0ES3_mN6thrust23THRUST_200600_302600_NS6detail15normal_iteratorINSA_10device_ptrItEEEEPS6_SG_NS0_5tupleIJSF_S6_EEENSH_IJSG_SG_EEES6_PlJNSB_9not_fun_tI7is_evenItEEEEEE10hipError_tPvRmT3_T4_T5_T6_T7_T9_mT8_P12ihipStream_tbDpT10_ENKUlT_T0_E_clISt17integral_constantIbLb0EES17_IbLb1EEEEDaS13_S14_EUlS13_E_NS1_11comp_targetILNS1_3genE8ELNS1_11target_archE1030ELNS1_3gpuE2ELNS1_3repE0EEENS1_30default_config_static_selectorELNS0_4arch9wavefront6targetE0EEEvT1_
		.amdhsa_group_segment_fixed_size 0
		.amdhsa_private_segment_fixed_size 0
		.amdhsa_kernarg_size 128
		.amdhsa_user_sgpr_count 2
		.amdhsa_user_sgpr_dispatch_ptr 0
		.amdhsa_user_sgpr_queue_ptr 0
		.amdhsa_user_sgpr_kernarg_segment_ptr 1
		.amdhsa_user_sgpr_dispatch_id 0
		.amdhsa_user_sgpr_private_segment_size 0
		.amdhsa_wavefront_size32 1
		.amdhsa_uses_dynamic_stack 0
		.amdhsa_enable_private_segment 0
		.amdhsa_system_sgpr_workgroup_id_x 1
		.amdhsa_system_sgpr_workgroup_id_y 0
		.amdhsa_system_sgpr_workgroup_id_z 0
		.amdhsa_system_sgpr_workgroup_info 0
		.amdhsa_system_vgpr_workitem_id 0
		.amdhsa_next_free_vgpr 1
		.amdhsa_next_free_sgpr 1
		.amdhsa_reserve_vcc 0
		.amdhsa_float_round_mode_32 0
		.amdhsa_float_round_mode_16_64 0
		.amdhsa_float_denorm_mode_32 3
		.amdhsa_float_denorm_mode_16_64 3
		.amdhsa_fp16_overflow 0
		.amdhsa_workgroup_processor_mode 1
		.amdhsa_memory_ordered 1
		.amdhsa_forward_progress 1
		.amdhsa_inst_pref_size 0
		.amdhsa_round_robin_scheduling 0
		.amdhsa_exception_fp_ieee_invalid_op 0
		.amdhsa_exception_fp_denorm_src 0
		.amdhsa_exception_fp_ieee_div_zero 0
		.amdhsa_exception_fp_ieee_overflow 0
		.amdhsa_exception_fp_ieee_underflow 0
		.amdhsa_exception_fp_ieee_inexact 0
		.amdhsa_exception_int_div_zero 0
	.end_amdhsa_kernel
	.section	.text._ZN7rocprim17ROCPRIM_400000_NS6detail17trampoline_kernelINS0_14default_configENS1_25partition_config_selectorILNS1_17partition_subalgoE6EtNS0_10empty_typeEbEEZZNS1_14partition_implILS5_6ELb0ES3_mN6thrust23THRUST_200600_302600_NS6detail15normal_iteratorINSA_10device_ptrItEEEEPS6_SG_NS0_5tupleIJSF_S6_EEENSH_IJSG_SG_EEES6_PlJNSB_9not_fun_tI7is_evenItEEEEEE10hipError_tPvRmT3_T4_T5_T6_T7_T9_mT8_P12ihipStream_tbDpT10_ENKUlT_T0_E_clISt17integral_constantIbLb0EES17_IbLb1EEEEDaS13_S14_EUlS13_E_NS1_11comp_targetILNS1_3genE8ELNS1_11target_archE1030ELNS1_3gpuE2ELNS1_3repE0EEENS1_30default_config_static_selectorELNS0_4arch9wavefront6targetE0EEEvT1_,"axG",@progbits,_ZN7rocprim17ROCPRIM_400000_NS6detail17trampoline_kernelINS0_14default_configENS1_25partition_config_selectorILNS1_17partition_subalgoE6EtNS0_10empty_typeEbEEZZNS1_14partition_implILS5_6ELb0ES3_mN6thrust23THRUST_200600_302600_NS6detail15normal_iteratorINSA_10device_ptrItEEEEPS6_SG_NS0_5tupleIJSF_S6_EEENSH_IJSG_SG_EEES6_PlJNSB_9not_fun_tI7is_evenItEEEEEE10hipError_tPvRmT3_T4_T5_T6_T7_T9_mT8_P12ihipStream_tbDpT10_ENKUlT_T0_E_clISt17integral_constantIbLb0EES17_IbLb1EEEEDaS13_S14_EUlS13_E_NS1_11comp_targetILNS1_3genE8ELNS1_11target_archE1030ELNS1_3gpuE2ELNS1_3repE0EEENS1_30default_config_static_selectorELNS0_4arch9wavefront6targetE0EEEvT1_,comdat
.Lfunc_end692:
	.size	_ZN7rocprim17ROCPRIM_400000_NS6detail17trampoline_kernelINS0_14default_configENS1_25partition_config_selectorILNS1_17partition_subalgoE6EtNS0_10empty_typeEbEEZZNS1_14partition_implILS5_6ELb0ES3_mN6thrust23THRUST_200600_302600_NS6detail15normal_iteratorINSA_10device_ptrItEEEEPS6_SG_NS0_5tupleIJSF_S6_EEENSH_IJSG_SG_EEES6_PlJNSB_9not_fun_tI7is_evenItEEEEEE10hipError_tPvRmT3_T4_T5_T6_T7_T9_mT8_P12ihipStream_tbDpT10_ENKUlT_T0_E_clISt17integral_constantIbLb0EES17_IbLb1EEEEDaS13_S14_EUlS13_E_NS1_11comp_targetILNS1_3genE8ELNS1_11target_archE1030ELNS1_3gpuE2ELNS1_3repE0EEENS1_30default_config_static_selectorELNS0_4arch9wavefront6targetE0EEEvT1_, .Lfunc_end692-_ZN7rocprim17ROCPRIM_400000_NS6detail17trampoline_kernelINS0_14default_configENS1_25partition_config_selectorILNS1_17partition_subalgoE6EtNS0_10empty_typeEbEEZZNS1_14partition_implILS5_6ELb0ES3_mN6thrust23THRUST_200600_302600_NS6detail15normal_iteratorINSA_10device_ptrItEEEEPS6_SG_NS0_5tupleIJSF_S6_EEENSH_IJSG_SG_EEES6_PlJNSB_9not_fun_tI7is_evenItEEEEEE10hipError_tPvRmT3_T4_T5_T6_T7_T9_mT8_P12ihipStream_tbDpT10_ENKUlT_T0_E_clISt17integral_constantIbLb0EES17_IbLb1EEEEDaS13_S14_EUlS13_E_NS1_11comp_targetILNS1_3genE8ELNS1_11target_archE1030ELNS1_3gpuE2ELNS1_3repE0EEENS1_30default_config_static_selectorELNS0_4arch9wavefront6targetE0EEEvT1_
                                        ; -- End function
	.set _ZN7rocprim17ROCPRIM_400000_NS6detail17trampoline_kernelINS0_14default_configENS1_25partition_config_selectorILNS1_17partition_subalgoE6EtNS0_10empty_typeEbEEZZNS1_14partition_implILS5_6ELb0ES3_mN6thrust23THRUST_200600_302600_NS6detail15normal_iteratorINSA_10device_ptrItEEEEPS6_SG_NS0_5tupleIJSF_S6_EEENSH_IJSG_SG_EEES6_PlJNSB_9not_fun_tI7is_evenItEEEEEE10hipError_tPvRmT3_T4_T5_T6_T7_T9_mT8_P12ihipStream_tbDpT10_ENKUlT_T0_E_clISt17integral_constantIbLb0EES17_IbLb1EEEEDaS13_S14_EUlS13_E_NS1_11comp_targetILNS1_3genE8ELNS1_11target_archE1030ELNS1_3gpuE2ELNS1_3repE0EEENS1_30default_config_static_selectorELNS0_4arch9wavefront6targetE0EEEvT1_.num_vgpr, 0
	.set _ZN7rocprim17ROCPRIM_400000_NS6detail17trampoline_kernelINS0_14default_configENS1_25partition_config_selectorILNS1_17partition_subalgoE6EtNS0_10empty_typeEbEEZZNS1_14partition_implILS5_6ELb0ES3_mN6thrust23THRUST_200600_302600_NS6detail15normal_iteratorINSA_10device_ptrItEEEEPS6_SG_NS0_5tupleIJSF_S6_EEENSH_IJSG_SG_EEES6_PlJNSB_9not_fun_tI7is_evenItEEEEEE10hipError_tPvRmT3_T4_T5_T6_T7_T9_mT8_P12ihipStream_tbDpT10_ENKUlT_T0_E_clISt17integral_constantIbLb0EES17_IbLb1EEEEDaS13_S14_EUlS13_E_NS1_11comp_targetILNS1_3genE8ELNS1_11target_archE1030ELNS1_3gpuE2ELNS1_3repE0EEENS1_30default_config_static_selectorELNS0_4arch9wavefront6targetE0EEEvT1_.num_agpr, 0
	.set _ZN7rocprim17ROCPRIM_400000_NS6detail17trampoline_kernelINS0_14default_configENS1_25partition_config_selectorILNS1_17partition_subalgoE6EtNS0_10empty_typeEbEEZZNS1_14partition_implILS5_6ELb0ES3_mN6thrust23THRUST_200600_302600_NS6detail15normal_iteratorINSA_10device_ptrItEEEEPS6_SG_NS0_5tupleIJSF_S6_EEENSH_IJSG_SG_EEES6_PlJNSB_9not_fun_tI7is_evenItEEEEEE10hipError_tPvRmT3_T4_T5_T6_T7_T9_mT8_P12ihipStream_tbDpT10_ENKUlT_T0_E_clISt17integral_constantIbLb0EES17_IbLb1EEEEDaS13_S14_EUlS13_E_NS1_11comp_targetILNS1_3genE8ELNS1_11target_archE1030ELNS1_3gpuE2ELNS1_3repE0EEENS1_30default_config_static_selectorELNS0_4arch9wavefront6targetE0EEEvT1_.numbered_sgpr, 0
	.set _ZN7rocprim17ROCPRIM_400000_NS6detail17trampoline_kernelINS0_14default_configENS1_25partition_config_selectorILNS1_17partition_subalgoE6EtNS0_10empty_typeEbEEZZNS1_14partition_implILS5_6ELb0ES3_mN6thrust23THRUST_200600_302600_NS6detail15normal_iteratorINSA_10device_ptrItEEEEPS6_SG_NS0_5tupleIJSF_S6_EEENSH_IJSG_SG_EEES6_PlJNSB_9not_fun_tI7is_evenItEEEEEE10hipError_tPvRmT3_T4_T5_T6_T7_T9_mT8_P12ihipStream_tbDpT10_ENKUlT_T0_E_clISt17integral_constantIbLb0EES17_IbLb1EEEEDaS13_S14_EUlS13_E_NS1_11comp_targetILNS1_3genE8ELNS1_11target_archE1030ELNS1_3gpuE2ELNS1_3repE0EEENS1_30default_config_static_selectorELNS0_4arch9wavefront6targetE0EEEvT1_.num_named_barrier, 0
	.set _ZN7rocprim17ROCPRIM_400000_NS6detail17trampoline_kernelINS0_14default_configENS1_25partition_config_selectorILNS1_17partition_subalgoE6EtNS0_10empty_typeEbEEZZNS1_14partition_implILS5_6ELb0ES3_mN6thrust23THRUST_200600_302600_NS6detail15normal_iteratorINSA_10device_ptrItEEEEPS6_SG_NS0_5tupleIJSF_S6_EEENSH_IJSG_SG_EEES6_PlJNSB_9not_fun_tI7is_evenItEEEEEE10hipError_tPvRmT3_T4_T5_T6_T7_T9_mT8_P12ihipStream_tbDpT10_ENKUlT_T0_E_clISt17integral_constantIbLb0EES17_IbLb1EEEEDaS13_S14_EUlS13_E_NS1_11comp_targetILNS1_3genE8ELNS1_11target_archE1030ELNS1_3gpuE2ELNS1_3repE0EEENS1_30default_config_static_selectorELNS0_4arch9wavefront6targetE0EEEvT1_.private_seg_size, 0
	.set _ZN7rocprim17ROCPRIM_400000_NS6detail17trampoline_kernelINS0_14default_configENS1_25partition_config_selectorILNS1_17partition_subalgoE6EtNS0_10empty_typeEbEEZZNS1_14partition_implILS5_6ELb0ES3_mN6thrust23THRUST_200600_302600_NS6detail15normal_iteratorINSA_10device_ptrItEEEEPS6_SG_NS0_5tupleIJSF_S6_EEENSH_IJSG_SG_EEES6_PlJNSB_9not_fun_tI7is_evenItEEEEEE10hipError_tPvRmT3_T4_T5_T6_T7_T9_mT8_P12ihipStream_tbDpT10_ENKUlT_T0_E_clISt17integral_constantIbLb0EES17_IbLb1EEEEDaS13_S14_EUlS13_E_NS1_11comp_targetILNS1_3genE8ELNS1_11target_archE1030ELNS1_3gpuE2ELNS1_3repE0EEENS1_30default_config_static_selectorELNS0_4arch9wavefront6targetE0EEEvT1_.uses_vcc, 0
	.set _ZN7rocprim17ROCPRIM_400000_NS6detail17trampoline_kernelINS0_14default_configENS1_25partition_config_selectorILNS1_17partition_subalgoE6EtNS0_10empty_typeEbEEZZNS1_14partition_implILS5_6ELb0ES3_mN6thrust23THRUST_200600_302600_NS6detail15normal_iteratorINSA_10device_ptrItEEEEPS6_SG_NS0_5tupleIJSF_S6_EEENSH_IJSG_SG_EEES6_PlJNSB_9not_fun_tI7is_evenItEEEEEE10hipError_tPvRmT3_T4_T5_T6_T7_T9_mT8_P12ihipStream_tbDpT10_ENKUlT_T0_E_clISt17integral_constantIbLb0EES17_IbLb1EEEEDaS13_S14_EUlS13_E_NS1_11comp_targetILNS1_3genE8ELNS1_11target_archE1030ELNS1_3gpuE2ELNS1_3repE0EEENS1_30default_config_static_selectorELNS0_4arch9wavefront6targetE0EEEvT1_.uses_flat_scratch, 0
	.set _ZN7rocprim17ROCPRIM_400000_NS6detail17trampoline_kernelINS0_14default_configENS1_25partition_config_selectorILNS1_17partition_subalgoE6EtNS0_10empty_typeEbEEZZNS1_14partition_implILS5_6ELb0ES3_mN6thrust23THRUST_200600_302600_NS6detail15normal_iteratorINSA_10device_ptrItEEEEPS6_SG_NS0_5tupleIJSF_S6_EEENSH_IJSG_SG_EEES6_PlJNSB_9not_fun_tI7is_evenItEEEEEE10hipError_tPvRmT3_T4_T5_T6_T7_T9_mT8_P12ihipStream_tbDpT10_ENKUlT_T0_E_clISt17integral_constantIbLb0EES17_IbLb1EEEEDaS13_S14_EUlS13_E_NS1_11comp_targetILNS1_3genE8ELNS1_11target_archE1030ELNS1_3gpuE2ELNS1_3repE0EEENS1_30default_config_static_selectorELNS0_4arch9wavefront6targetE0EEEvT1_.has_dyn_sized_stack, 0
	.set _ZN7rocprim17ROCPRIM_400000_NS6detail17trampoline_kernelINS0_14default_configENS1_25partition_config_selectorILNS1_17partition_subalgoE6EtNS0_10empty_typeEbEEZZNS1_14partition_implILS5_6ELb0ES3_mN6thrust23THRUST_200600_302600_NS6detail15normal_iteratorINSA_10device_ptrItEEEEPS6_SG_NS0_5tupleIJSF_S6_EEENSH_IJSG_SG_EEES6_PlJNSB_9not_fun_tI7is_evenItEEEEEE10hipError_tPvRmT3_T4_T5_T6_T7_T9_mT8_P12ihipStream_tbDpT10_ENKUlT_T0_E_clISt17integral_constantIbLb0EES17_IbLb1EEEEDaS13_S14_EUlS13_E_NS1_11comp_targetILNS1_3genE8ELNS1_11target_archE1030ELNS1_3gpuE2ELNS1_3repE0EEENS1_30default_config_static_selectorELNS0_4arch9wavefront6targetE0EEEvT1_.has_recursion, 0
	.set _ZN7rocprim17ROCPRIM_400000_NS6detail17trampoline_kernelINS0_14default_configENS1_25partition_config_selectorILNS1_17partition_subalgoE6EtNS0_10empty_typeEbEEZZNS1_14partition_implILS5_6ELb0ES3_mN6thrust23THRUST_200600_302600_NS6detail15normal_iteratorINSA_10device_ptrItEEEEPS6_SG_NS0_5tupleIJSF_S6_EEENSH_IJSG_SG_EEES6_PlJNSB_9not_fun_tI7is_evenItEEEEEE10hipError_tPvRmT3_T4_T5_T6_T7_T9_mT8_P12ihipStream_tbDpT10_ENKUlT_T0_E_clISt17integral_constantIbLb0EES17_IbLb1EEEEDaS13_S14_EUlS13_E_NS1_11comp_targetILNS1_3genE8ELNS1_11target_archE1030ELNS1_3gpuE2ELNS1_3repE0EEENS1_30default_config_static_selectorELNS0_4arch9wavefront6targetE0EEEvT1_.has_indirect_call, 0
	.section	.AMDGPU.csdata,"",@progbits
; Kernel info:
; codeLenInByte = 0
; TotalNumSgprs: 0
; NumVgprs: 0
; ScratchSize: 0
; MemoryBound: 0
; FloatMode: 240
; IeeeMode: 1
; LDSByteSize: 0 bytes/workgroup (compile time only)
; SGPRBlocks: 0
; VGPRBlocks: 0
; NumSGPRsForWavesPerEU: 1
; NumVGPRsForWavesPerEU: 1
; Occupancy: 16
; WaveLimiterHint : 0
; COMPUTE_PGM_RSRC2:SCRATCH_EN: 0
; COMPUTE_PGM_RSRC2:USER_SGPR: 2
; COMPUTE_PGM_RSRC2:TRAP_HANDLER: 0
; COMPUTE_PGM_RSRC2:TGID_X_EN: 1
; COMPUTE_PGM_RSRC2:TGID_Y_EN: 0
; COMPUTE_PGM_RSRC2:TGID_Z_EN: 0
; COMPUTE_PGM_RSRC2:TIDIG_COMP_CNT: 0
	.section	.text._ZN7rocprim17ROCPRIM_400000_NS6detail17trampoline_kernelINS0_14default_configENS1_25partition_config_selectorILNS1_17partition_subalgoE6ExNS0_10empty_typeEbEEZZNS1_14partition_implILS5_6ELb0ES3_mN6thrust23THRUST_200600_302600_NS6detail15normal_iteratorINSA_10device_ptrIxEEEEPS6_SG_NS0_5tupleIJSF_S6_EEENSH_IJSG_SG_EEES6_PlJNSB_9not_fun_tI7is_evenIxEEEEEE10hipError_tPvRmT3_T4_T5_T6_T7_T9_mT8_P12ihipStream_tbDpT10_ENKUlT_T0_E_clISt17integral_constantIbLb0EES18_EEDaS13_S14_EUlS13_E_NS1_11comp_targetILNS1_3genE0ELNS1_11target_archE4294967295ELNS1_3gpuE0ELNS1_3repE0EEENS1_30default_config_static_selectorELNS0_4arch9wavefront6targetE0EEEvT1_,"axG",@progbits,_ZN7rocprim17ROCPRIM_400000_NS6detail17trampoline_kernelINS0_14default_configENS1_25partition_config_selectorILNS1_17partition_subalgoE6ExNS0_10empty_typeEbEEZZNS1_14partition_implILS5_6ELb0ES3_mN6thrust23THRUST_200600_302600_NS6detail15normal_iteratorINSA_10device_ptrIxEEEEPS6_SG_NS0_5tupleIJSF_S6_EEENSH_IJSG_SG_EEES6_PlJNSB_9not_fun_tI7is_evenIxEEEEEE10hipError_tPvRmT3_T4_T5_T6_T7_T9_mT8_P12ihipStream_tbDpT10_ENKUlT_T0_E_clISt17integral_constantIbLb0EES18_EEDaS13_S14_EUlS13_E_NS1_11comp_targetILNS1_3genE0ELNS1_11target_archE4294967295ELNS1_3gpuE0ELNS1_3repE0EEENS1_30default_config_static_selectorELNS0_4arch9wavefront6targetE0EEEvT1_,comdat
	.protected	_ZN7rocprim17ROCPRIM_400000_NS6detail17trampoline_kernelINS0_14default_configENS1_25partition_config_selectorILNS1_17partition_subalgoE6ExNS0_10empty_typeEbEEZZNS1_14partition_implILS5_6ELb0ES3_mN6thrust23THRUST_200600_302600_NS6detail15normal_iteratorINSA_10device_ptrIxEEEEPS6_SG_NS0_5tupleIJSF_S6_EEENSH_IJSG_SG_EEES6_PlJNSB_9not_fun_tI7is_evenIxEEEEEE10hipError_tPvRmT3_T4_T5_T6_T7_T9_mT8_P12ihipStream_tbDpT10_ENKUlT_T0_E_clISt17integral_constantIbLb0EES18_EEDaS13_S14_EUlS13_E_NS1_11comp_targetILNS1_3genE0ELNS1_11target_archE4294967295ELNS1_3gpuE0ELNS1_3repE0EEENS1_30default_config_static_selectorELNS0_4arch9wavefront6targetE0EEEvT1_ ; -- Begin function _ZN7rocprim17ROCPRIM_400000_NS6detail17trampoline_kernelINS0_14default_configENS1_25partition_config_selectorILNS1_17partition_subalgoE6ExNS0_10empty_typeEbEEZZNS1_14partition_implILS5_6ELb0ES3_mN6thrust23THRUST_200600_302600_NS6detail15normal_iteratorINSA_10device_ptrIxEEEEPS6_SG_NS0_5tupleIJSF_S6_EEENSH_IJSG_SG_EEES6_PlJNSB_9not_fun_tI7is_evenIxEEEEEE10hipError_tPvRmT3_T4_T5_T6_T7_T9_mT8_P12ihipStream_tbDpT10_ENKUlT_T0_E_clISt17integral_constantIbLb0EES18_EEDaS13_S14_EUlS13_E_NS1_11comp_targetILNS1_3genE0ELNS1_11target_archE4294967295ELNS1_3gpuE0ELNS1_3repE0EEENS1_30default_config_static_selectorELNS0_4arch9wavefront6targetE0EEEvT1_
	.globl	_ZN7rocprim17ROCPRIM_400000_NS6detail17trampoline_kernelINS0_14default_configENS1_25partition_config_selectorILNS1_17partition_subalgoE6ExNS0_10empty_typeEbEEZZNS1_14partition_implILS5_6ELb0ES3_mN6thrust23THRUST_200600_302600_NS6detail15normal_iteratorINSA_10device_ptrIxEEEEPS6_SG_NS0_5tupleIJSF_S6_EEENSH_IJSG_SG_EEES6_PlJNSB_9not_fun_tI7is_evenIxEEEEEE10hipError_tPvRmT3_T4_T5_T6_T7_T9_mT8_P12ihipStream_tbDpT10_ENKUlT_T0_E_clISt17integral_constantIbLb0EES18_EEDaS13_S14_EUlS13_E_NS1_11comp_targetILNS1_3genE0ELNS1_11target_archE4294967295ELNS1_3gpuE0ELNS1_3repE0EEENS1_30default_config_static_selectorELNS0_4arch9wavefront6targetE0EEEvT1_
	.p2align	8
	.type	_ZN7rocprim17ROCPRIM_400000_NS6detail17trampoline_kernelINS0_14default_configENS1_25partition_config_selectorILNS1_17partition_subalgoE6ExNS0_10empty_typeEbEEZZNS1_14partition_implILS5_6ELb0ES3_mN6thrust23THRUST_200600_302600_NS6detail15normal_iteratorINSA_10device_ptrIxEEEEPS6_SG_NS0_5tupleIJSF_S6_EEENSH_IJSG_SG_EEES6_PlJNSB_9not_fun_tI7is_evenIxEEEEEE10hipError_tPvRmT3_T4_T5_T6_T7_T9_mT8_P12ihipStream_tbDpT10_ENKUlT_T0_E_clISt17integral_constantIbLb0EES18_EEDaS13_S14_EUlS13_E_NS1_11comp_targetILNS1_3genE0ELNS1_11target_archE4294967295ELNS1_3gpuE0ELNS1_3repE0EEENS1_30default_config_static_selectorELNS0_4arch9wavefront6targetE0EEEvT1_,@function
_ZN7rocprim17ROCPRIM_400000_NS6detail17trampoline_kernelINS0_14default_configENS1_25partition_config_selectorILNS1_17partition_subalgoE6ExNS0_10empty_typeEbEEZZNS1_14partition_implILS5_6ELb0ES3_mN6thrust23THRUST_200600_302600_NS6detail15normal_iteratorINSA_10device_ptrIxEEEEPS6_SG_NS0_5tupleIJSF_S6_EEENSH_IJSG_SG_EEES6_PlJNSB_9not_fun_tI7is_evenIxEEEEEE10hipError_tPvRmT3_T4_T5_T6_T7_T9_mT8_P12ihipStream_tbDpT10_ENKUlT_T0_E_clISt17integral_constantIbLb0EES18_EEDaS13_S14_EUlS13_E_NS1_11comp_targetILNS1_3genE0ELNS1_11target_archE4294967295ELNS1_3gpuE0ELNS1_3repE0EEENS1_30default_config_static_selectorELNS0_4arch9wavefront6targetE0EEEvT1_: ; @_ZN7rocprim17ROCPRIM_400000_NS6detail17trampoline_kernelINS0_14default_configENS1_25partition_config_selectorILNS1_17partition_subalgoE6ExNS0_10empty_typeEbEEZZNS1_14partition_implILS5_6ELb0ES3_mN6thrust23THRUST_200600_302600_NS6detail15normal_iteratorINSA_10device_ptrIxEEEEPS6_SG_NS0_5tupleIJSF_S6_EEENSH_IJSG_SG_EEES6_PlJNSB_9not_fun_tI7is_evenIxEEEEEE10hipError_tPvRmT3_T4_T5_T6_T7_T9_mT8_P12ihipStream_tbDpT10_ENKUlT_T0_E_clISt17integral_constantIbLb0EES18_EEDaS13_S14_EUlS13_E_NS1_11comp_targetILNS1_3genE0ELNS1_11target_archE4294967295ELNS1_3gpuE0ELNS1_3repE0EEENS1_30default_config_static_selectorELNS0_4arch9wavefront6targetE0EEEvT1_
; %bb.0:
	.section	.rodata,"a",@progbits
	.p2align	6, 0x0
	.amdhsa_kernel _ZN7rocprim17ROCPRIM_400000_NS6detail17trampoline_kernelINS0_14default_configENS1_25partition_config_selectorILNS1_17partition_subalgoE6ExNS0_10empty_typeEbEEZZNS1_14partition_implILS5_6ELb0ES3_mN6thrust23THRUST_200600_302600_NS6detail15normal_iteratorINSA_10device_ptrIxEEEEPS6_SG_NS0_5tupleIJSF_S6_EEENSH_IJSG_SG_EEES6_PlJNSB_9not_fun_tI7is_evenIxEEEEEE10hipError_tPvRmT3_T4_T5_T6_T7_T9_mT8_P12ihipStream_tbDpT10_ENKUlT_T0_E_clISt17integral_constantIbLb0EES18_EEDaS13_S14_EUlS13_E_NS1_11comp_targetILNS1_3genE0ELNS1_11target_archE4294967295ELNS1_3gpuE0ELNS1_3repE0EEENS1_30default_config_static_selectorELNS0_4arch9wavefront6targetE0EEEvT1_
		.amdhsa_group_segment_fixed_size 0
		.amdhsa_private_segment_fixed_size 0
		.amdhsa_kernarg_size 112
		.amdhsa_user_sgpr_count 2
		.amdhsa_user_sgpr_dispatch_ptr 0
		.amdhsa_user_sgpr_queue_ptr 0
		.amdhsa_user_sgpr_kernarg_segment_ptr 1
		.amdhsa_user_sgpr_dispatch_id 0
		.amdhsa_user_sgpr_private_segment_size 0
		.amdhsa_wavefront_size32 1
		.amdhsa_uses_dynamic_stack 0
		.amdhsa_enable_private_segment 0
		.amdhsa_system_sgpr_workgroup_id_x 1
		.amdhsa_system_sgpr_workgroup_id_y 0
		.amdhsa_system_sgpr_workgroup_id_z 0
		.amdhsa_system_sgpr_workgroup_info 0
		.amdhsa_system_vgpr_workitem_id 0
		.amdhsa_next_free_vgpr 1
		.amdhsa_next_free_sgpr 1
		.amdhsa_reserve_vcc 0
		.amdhsa_float_round_mode_32 0
		.amdhsa_float_round_mode_16_64 0
		.amdhsa_float_denorm_mode_32 3
		.amdhsa_float_denorm_mode_16_64 3
		.amdhsa_fp16_overflow 0
		.amdhsa_workgroup_processor_mode 1
		.amdhsa_memory_ordered 1
		.amdhsa_forward_progress 1
		.amdhsa_inst_pref_size 0
		.amdhsa_round_robin_scheduling 0
		.amdhsa_exception_fp_ieee_invalid_op 0
		.amdhsa_exception_fp_denorm_src 0
		.amdhsa_exception_fp_ieee_div_zero 0
		.amdhsa_exception_fp_ieee_overflow 0
		.amdhsa_exception_fp_ieee_underflow 0
		.amdhsa_exception_fp_ieee_inexact 0
		.amdhsa_exception_int_div_zero 0
	.end_amdhsa_kernel
	.section	.text._ZN7rocprim17ROCPRIM_400000_NS6detail17trampoline_kernelINS0_14default_configENS1_25partition_config_selectorILNS1_17partition_subalgoE6ExNS0_10empty_typeEbEEZZNS1_14partition_implILS5_6ELb0ES3_mN6thrust23THRUST_200600_302600_NS6detail15normal_iteratorINSA_10device_ptrIxEEEEPS6_SG_NS0_5tupleIJSF_S6_EEENSH_IJSG_SG_EEES6_PlJNSB_9not_fun_tI7is_evenIxEEEEEE10hipError_tPvRmT3_T4_T5_T6_T7_T9_mT8_P12ihipStream_tbDpT10_ENKUlT_T0_E_clISt17integral_constantIbLb0EES18_EEDaS13_S14_EUlS13_E_NS1_11comp_targetILNS1_3genE0ELNS1_11target_archE4294967295ELNS1_3gpuE0ELNS1_3repE0EEENS1_30default_config_static_selectorELNS0_4arch9wavefront6targetE0EEEvT1_,"axG",@progbits,_ZN7rocprim17ROCPRIM_400000_NS6detail17trampoline_kernelINS0_14default_configENS1_25partition_config_selectorILNS1_17partition_subalgoE6ExNS0_10empty_typeEbEEZZNS1_14partition_implILS5_6ELb0ES3_mN6thrust23THRUST_200600_302600_NS6detail15normal_iteratorINSA_10device_ptrIxEEEEPS6_SG_NS0_5tupleIJSF_S6_EEENSH_IJSG_SG_EEES6_PlJNSB_9not_fun_tI7is_evenIxEEEEEE10hipError_tPvRmT3_T4_T5_T6_T7_T9_mT8_P12ihipStream_tbDpT10_ENKUlT_T0_E_clISt17integral_constantIbLb0EES18_EEDaS13_S14_EUlS13_E_NS1_11comp_targetILNS1_3genE0ELNS1_11target_archE4294967295ELNS1_3gpuE0ELNS1_3repE0EEENS1_30default_config_static_selectorELNS0_4arch9wavefront6targetE0EEEvT1_,comdat
.Lfunc_end693:
	.size	_ZN7rocprim17ROCPRIM_400000_NS6detail17trampoline_kernelINS0_14default_configENS1_25partition_config_selectorILNS1_17partition_subalgoE6ExNS0_10empty_typeEbEEZZNS1_14partition_implILS5_6ELb0ES3_mN6thrust23THRUST_200600_302600_NS6detail15normal_iteratorINSA_10device_ptrIxEEEEPS6_SG_NS0_5tupleIJSF_S6_EEENSH_IJSG_SG_EEES6_PlJNSB_9not_fun_tI7is_evenIxEEEEEE10hipError_tPvRmT3_T4_T5_T6_T7_T9_mT8_P12ihipStream_tbDpT10_ENKUlT_T0_E_clISt17integral_constantIbLb0EES18_EEDaS13_S14_EUlS13_E_NS1_11comp_targetILNS1_3genE0ELNS1_11target_archE4294967295ELNS1_3gpuE0ELNS1_3repE0EEENS1_30default_config_static_selectorELNS0_4arch9wavefront6targetE0EEEvT1_, .Lfunc_end693-_ZN7rocprim17ROCPRIM_400000_NS6detail17trampoline_kernelINS0_14default_configENS1_25partition_config_selectorILNS1_17partition_subalgoE6ExNS0_10empty_typeEbEEZZNS1_14partition_implILS5_6ELb0ES3_mN6thrust23THRUST_200600_302600_NS6detail15normal_iteratorINSA_10device_ptrIxEEEEPS6_SG_NS0_5tupleIJSF_S6_EEENSH_IJSG_SG_EEES6_PlJNSB_9not_fun_tI7is_evenIxEEEEEE10hipError_tPvRmT3_T4_T5_T6_T7_T9_mT8_P12ihipStream_tbDpT10_ENKUlT_T0_E_clISt17integral_constantIbLb0EES18_EEDaS13_S14_EUlS13_E_NS1_11comp_targetILNS1_3genE0ELNS1_11target_archE4294967295ELNS1_3gpuE0ELNS1_3repE0EEENS1_30default_config_static_selectorELNS0_4arch9wavefront6targetE0EEEvT1_
                                        ; -- End function
	.set _ZN7rocprim17ROCPRIM_400000_NS6detail17trampoline_kernelINS0_14default_configENS1_25partition_config_selectorILNS1_17partition_subalgoE6ExNS0_10empty_typeEbEEZZNS1_14partition_implILS5_6ELb0ES3_mN6thrust23THRUST_200600_302600_NS6detail15normal_iteratorINSA_10device_ptrIxEEEEPS6_SG_NS0_5tupleIJSF_S6_EEENSH_IJSG_SG_EEES6_PlJNSB_9not_fun_tI7is_evenIxEEEEEE10hipError_tPvRmT3_T4_T5_T6_T7_T9_mT8_P12ihipStream_tbDpT10_ENKUlT_T0_E_clISt17integral_constantIbLb0EES18_EEDaS13_S14_EUlS13_E_NS1_11comp_targetILNS1_3genE0ELNS1_11target_archE4294967295ELNS1_3gpuE0ELNS1_3repE0EEENS1_30default_config_static_selectorELNS0_4arch9wavefront6targetE0EEEvT1_.num_vgpr, 0
	.set _ZN7rocprim17ROCPRIM_400000_NS6detail17trampoline_kernelINS0_14default_configENS1_25partition_config_selectorILNS1_17partition_subalgoE6ExNS0_10empty_typeEbEEZZNS1_14partition_implILS5_6ELb0ES3_mN6thrust23THRUST_200600_302600_NS6detail15normal_iteratorINSA_10device_ptrIxEEEEPS6_SG_NS0_5tupleIJSF_S6_EEENSH_IJSG_SG_EEES6_PlJNSB_9not_fun_tI7is_evenIxEEEEEE10hipError_tPvRmT3_T4_T5_T6_T7_T9_mT8_P12ihipStream_tbDpT10_ENKUlT_T0_E_clISt17integral_constantIbLb0EES18_EEDaS13_S14_EUlS13_E_NS1_11comp_targetILNS1_3genE0ELNS1_11target_archE4294967295ELNS1_3gpuE0ELNS1_3repE0EEENS1_30default_config_static_selectorELNS0_4arch9wavefront6targetE0EEEvT1_.num_agpr, 0
	.set _ZN7rocprim17ROCPRIM_400000_NS6detail17trampoline_kernelINS0_14default_configENS1_25partition_config_selectorILNS1_17partition_subalgoE6ExNS0_10empty_typeEbEEZZNS1_14partition_implILS5_6ELb0ES3_mN6thrust23THRUST_200600_302600_NS6detail15normal_iteratorINSA_10device_ptrIxEEEEPS6_SG_NS0_5tupleIJSF_S6_EEENSH_IJSG_SG_EEES6_PlJNSB_9not_fun_tI7is_evenIxEEEEEE10hipError_tPvRmT3_T4_T5_T6_T7_T9_mT8_P12ihipStream_tbDpT10_ENKUlT_T0_E_clISt17integral_constantIbLb0EES18_EEDaS13_S14_EUlS13_E_NS1_11comp_targetILNS1_3genE0ELNS1_11target_archE4294967295ELNS1_3gpuE0ELNS1_3repE0EEENS1_30default_config_static_selectorELNS0_4arch9wavefront6targetE0EEEvT1_.numbered_sgpr, 0
	.set _ZN7rocprim17ROCPRIM_400000_NS6detail17trampoline_kernelINS0_14default_configENS1_25partition_config_selectorILNS1_17partition_subalgoE6ExNS0_10empty_typeEbEEZZNS1_14partition_implILS5_6ELb0ES3_mN6thrust23THRUST_200600_302600_NS6detail15normal_iteratorINSA_10device_ptrIxEEEEPS6_SG_NS0_5tupleIJSF_S6_EEENSH_IJSG_SG_EEES6_PlJNSB_9not_fun_tI7is_evenIxEEEEEE10hipError_tPvRmT3_T4_T5_T6_T7_T9_mT8_P12ihipStream_tbDpT10_ENKUlT_T0_E_clISt17integral_constantIbLb0EES18_EEDaS13_S14_EUlS13_E_NS1_11comp_targetILNS1_3genE0ELNS1_11target_archE4294967295ELNS1_3gpuE0ELNS1_3repE0EEENS1_30default_config_static_selectorELNS0_4arch9wavefront6targetE0EEEvT1_.num_named_barrier, 0
	.set _ZN7rocprim17ROCPRIM_400000_NS6detail17trampoline_kernelINS0_14default_configENS1_25partition_config_selectorILNS1_17partition_subalgoE6ExNS0_10empty_typeEbEEZZNS1_14partition_implILS5_6ELb0ES3_mN6thrust23THRUST_200600_302600_NS6detail15normal_iteratorINSA_10device_ptrIxEEEEPS6_SG_NS0_5tupleIJSF_S6_EEENSH_IJSG_SG_EEES6_PlJNSB_9not_fun_tI7is_evenIxEEEEEE10hipError_tPvRmT3_T4_T5_T6_T7_T9_mT8_P12ihipStream_tbDpT10_ENKUlT_T0_E_clISt17integral_constantIbLb0EES18_EEDaS13_S14_EUlS13_E_NS1_11comp_targetILNS1_3genE0ELNS1_11target_archE4294967295ELNS1_3gpuE0ELNS1_3repE0EEENS1_30default_config_static_selectorELNS0_4arch9wavefront6targetE0EEEvT1_.private_seg_size, 0
	.set _ZN7rocprim17ROCPRIM_400000_NS6detail17trampoline_kernelINS0_14default_configENS1_25partition_config_selectorILNS1_17partition_subalgoE6ExNS0_10empty_typeEbEEZZNS1_14partition_implILS5_6ELb0ES3_mN6thrust23THRUST_200600_302600_NS6detail15normal_iteratorINSA_10device_ptrIxEEEEPS6_SG_NS0_5tupleIJSF_S6_EEENSH_IJSG_SG_EEES6_PlJNSB_9not_fun_tI7is_evenIxEEEEEE10hipError_tPvRmT3_T4_T5_T6_T7_T9_mT8_P12ihipStream_tbDpT10_ENKUlT_T0_E_clISt17integral_constantIbLb0EES18_EEDaS13_S14_EUlS13_E_NS1_11comp_targetILNS1_3genE0ELNS1_11target_archE4294967295ELNS1_3gpuE0ELNS1_3repE0EEENS1_30default_config_static_selectorELNS0_4arch9wavefront6targetE0EEEvT1_.uses_vcc, 0
	.set _ZN7rocprim17ROCPRIM_400000_NS6detail17trampoline_kernelINS0_14default_configENS1_25partition_config_selectorILNS1_17partition_subalgoE6ExNS0_10empty_typeEbEEZZNS1_14partition_implILS5_6ELb0ES3_mN6thrust23THRUST_200600_302600_NS6detail15normal_iteratorINSA_10device_ptrIxEEEEPS6_SG_NS0_5tupleIJSF_S6_EEENSH_IJSG_SG_EEES6_PlJNSB_9not_fun_tI7is_evenIxEEEEEE10hipError_tPvRmT3_T4_T5_T6_T7_T9_mT8_P12ihipStream_tbDpT10_ENKUlT_T0_E_clISt17integral_constantIbLb0EES18_EEDaS13_S14_EUlS13_E_NS1_11comp_targetILNS1_3genE0ELNS1_11target_archE4294967295ELNS1_3gpuE0ELNS1_3repE0EEENS1_30default_config_static_selectorELNS0_4arch9wavefront6targetE0EEEvT1_.uses_flat_scratch, 0
	.set _ZN7rocprim17ROCPRIM_400000_NS6detail17trampoline_kernelINS0_14default_configENS1_25partition_config_selectorILNS1_17partition_subalgoE6ExNS0_10empty_typeEbEEZZNS1_14partition_implILS5_6ELb0ES3_mN6thrust23THRUST_200600_302600_NS6detail15normal_iteratorINSA_10device_ptrIxEEEEPS6_SG_NS0_5tupleIJSF_S6_EEENSH_IJSG_SG_EEES6_PlJNSB_9not_fun_tI7is_evenIxEEEEEE10hipError_tPvRmT3_T4_T5_T6_T7_T9_mT8_P12ihipStream_tbDpT10_ENKUlT_T0_E_clISt17integral_constantIbLb0EES18_EEDaS13_S14_EUlS13_E_NS1_11comp_targetILNS1_3genE0ELNS1_11target_archE4294967295ELNS1_3gpuE0ELNS1_3repE0EEENS1_30default_config_static_selectorELNS0_4arch9wavefront6targetE0EEEvT1_.has_dyn_sized_stack, 0
	.set _ZN7rocprim17ROCPRIM_400000_NS6detail17trampoline_kernelINS0_14default_configENS1_25partition_config_selectorILNS1_17partition_subalgoE6ExNS0_10empty_typeEbEEZZNS1_14partition_implILS5_6ELb0ES3_mN6thrust23THRUST_200600_302600_NS6detail15normal_iteratorINSA_10device_ptrIxEEEEPS6_SG_NS0_5tupleIJSF_S6_EEENSH_IJSG_SG_EEES6_PlJNSB_9not_fun_tI7is_evenIxEEEEEE10hipError_tPvRmT3_T4_T5_T6_T7_T9_mT8_P12ihipStream_tbDpT10_ENKUlT_T0_E_clISt17integral_constantIbLb0EES18_EEDaS13_S14_EUlS13_E_NS1_11comp_targetILNS1_3genE0ELNS1_11target_archE4294967295ELNS1_3gpuE0ELNS1_3repE0EEENS1_30default_config_static_selectorELNS0_4arch9wavefront6targetE0EEEvT1_.has_recursion, 0
	.set _ZN7rocprim17ROCPRIM_400000_NS6detail17trampoline_kernelINS0_14default_configENS1_25partition_config_selectorILNS1_17partition_subalgoE6ExNS0_10empty_typeEbEEZZNS1_14partition_implILS5_6ELb0ES3_mN6thrust23THRUST_200600_302600_NS6detail15normal_iteratorINSA_10device_ptrIxEEEEPS6_SG_NS0_5tupleIJSF_S6_EEENSH_IJSG_SG_EEES6_PlJNSB_9not_fun_tI7is_evenIxEEEEEE10hipError_tPvRmT3_T4_T5_T6_T7_T9_mT8_P12ihipStream_tbDpT10_ENKUlT_T0_E_clISt17integral_constantIbLb0EES18_EEDaS13_S14_EUlS13_E_NS1_11comp_targetILNS1_3genE0ELNS1_11target_archE4294967295ELNS1_3gpuE0ELNS1_3repE0EEENS1_30default_config_static_selectorELNS0_4arch9wavefront6targetE0EEEvT1_.has_indirect_call, 0
	.section	.AMDGPU.csdata,"",@progbits
; Kernel info:
; codeLenInByte = 0
; TotalNumSgprs: 0
; NumVgprs: 0
; ScratchSize: 0
; MemoryBound: 0
; FloatMode: 240
; IeeeMode: 1
; LDSByteSize: 0 bytes/workgroup (compile time only)
; SGPRBlocks: 0
; VGPRBlocks: 0
; NumSGPRsForWavesPerEU: 1
; NumVGPRsForWavesPerEU: 1
; Occupancy: 16
; WaveLimiterHint : 0
; COMPUTE_PGM_RSRC2:SCRATCH_EN: 0
; COMPUTE_PGM_RSRC2:USER_SGPR: 2
; COMPUTE_PGM_RSRC2:TRAP_HANDLER: 0
; COMPUTE_PGM_RSRC2:TGID_X_EN: 1
; COMPUTE_PGM_RSRC2:TGID_Y_EN: 0
; COMPUTE_PGM_RSRC2:TGID_Z_EN: 0
; COMPUTE_PGM_RSRC2:TIDIG_COMP_CNT: 0
	.section	.text._ZN7rocprim17ROCPRIM_400000_NS6detail17trampoline_kernelINS0_14default_configENS1_25partition_config_selectorILNS1_17partition_subalgoE6ExNS0_10empty_typeEbEEZZNS1_14partition_implILS5_6ELb0ES3_mN6thrust23THRUST_200600_302600_NS6detail15normal_iteratorINSA_10device_ptrIxEEEEPS6_SG_NS0_5tupleIJSF_S6_EEENSH_IJSG_SG_EEES6_PlJNSB_9not_fun_tI7is_evenIxEEEEEE10hipError_tPvRmT3_T4_T5_T6_T7_T9_mT8_P12ihipStream_tbDpT10_ENKUlT_T0_E_clISt17integral_constantIbLb0EES18_EEDaS13_S14_EUlS13_E_NS1_11comp_targetILNS1_3genE5ELNS1_11target_archE942ELNS1_3gpuE9ELNS1_3repE0EEENS1_30default_config_static_selectorELNS0_4arch9wavefront6targetE0EEEvT1_,"axG",@progbits,_ZN7rocprim17ROCPRIM_400000_NS6detail17trampoline_kernelINS0_14default_configENS1_25partition_config_selectorILNS1_17partition_subalgoE6ExNS0_10empty_typeEbEEZZNS1_14partition_implILS5_6ELb0ES3_mN6thrust23THRUST_200600_302600_NS6detail15normal_iteratorINSA_10device_ptrIxEEEEPS6_SG_NS0_5tupleIJSF_S6_EEENSH_IJSG_SG_EEES6_PlJNSB_9not_fun_tI7is_evenIxEEEEEE10hipError_tPvRmT3_T4_T5_T6_T7_T9_mT8_P12ihipStream_tbDpT10_ENKUlT_T0_E_clISt17integral_constantIbLb0EES18_EEDaS13_S14_EUlS13_E_NS1_11comp_targetILNS1_3genE5ELNS1_11target_archE942ELNS1_3gpuE9ELNS1_3repE0EEENS1_30default_config_static_selectorELNS0_4arch9wavefront6targetE0EEEvT1_,comdat
	.protected	_ZN7rocprim17ROCPRIM_400000_NS6detail17trampoline_kernelINS0_14default_configENS1_25partition_config_selectorILNS1_17partition_subalgoE6ExNS0_10empty_typeEbEEZZNS1_14partition_implILS5_6ELb0ES3_mN6thrust23THRUST_200600_302600_NS6detail15normal_iteratorINSA_10device_ptrIxEEEEPS6_SG_NS0_5tupleIJSF_S6_EEENSH_IJSG_SG_EEES6_PlJNSB_9not_fun_tI7is_evenIxEEEEEE10hipError_tPvRmT3_T4_T5_T6_T7_T9_mT8_P12ihipStream_tbDpT10_ENKUlT_T0_E_clISt17integral_constantIbLb0EES18_EEDaS13_S14_EUlS13_E_NS1_11comp_targetILNS1_3genE5ELNS1_11target_archE942ELNS1_3gpuE9ELNS1_3repE0EEENS1_30default_config_static_selectorELNS0_4arch9wavefront6targetE0EEEvT1_ ; -- Begin function _ZN7rocprim17ROCPRIM_400000_NS6detail17trampoline_kernelINS0_14default_configENS1_25partition_config_selectorILNS1_17partition_subalgoE6ExNS0_10empty_typeEbEEZZNS1_14partition_implILS5_6ELb0ES3_mN6thrust23THRUST_200600_302600_NS6detail15normal_iteratorINSA_10device_ptrIxEEEEPS6_SG_NS0_5tupleIJSF_S6_EEENSH_IJSG_SG_EEES6_PlJNSB_9not_fun_tI7is_evenIxEEEEEE10hipError_tPvRmT3_T4_T5_T6_T7_T9_mT8_P12ihipStream_tbDpT10_ENKUlT_T0_E_clISt17integral_constantIbLb0EES18_EEDaS13_S14_EUlS13_E_NS1_11comp_targetILNS1_3genE5ELNS1_11target_archE942ELNS1_3gpuE9ELNS1_3repE0EEENS1_30default_config_static_selectorELNS0_4arch9wavefront6targetE0EEEvT1_
	.globl	_ZN7rocprim17ROCPRIM_400000_NS6detail17trampoline_kernelINS0_14default_configENS1_25partition_config_selectorILNS1_17partition_subalgoE6ExNS0_10empty_typeEbEEZZNS1_14partition_implILS5_6ELb0ES3_mN6thrust23THRUST_200600_302600_NS6detail15normal_iteratorINSA_10device_ptrIxEEEEPS6_SG_NS0_5tupleIJSF_S6_EEENSH_IJSG_SG_EEES6_PlJNSB_9not_fun_tI7is_evenIxEEEEEE10hipError_tPvRmT3_T4_T5_T6_T7_T9_mT8_P12ihipStream_tbDpT10_ENKUlT_T0_E_clISt17integral_constantIbLb0EES18_EEDaS13_S14_EUlS13_E_NS1_11comp_targetILNS1_3genE5ELNS1_11target_archE942ELNS1_3gpuE9ELNS1_3repE0EEENS1_30default_config_static_selectorELNS0_4arch9wavefront6targetE0EEEvT1_
	.p2align	8
	.type	_ZN7rocprim17ROCPRIM_400000_NS6detail17trampoline_kernelINS0_14default_configENS1_25partition_config_selectorILNS1_17partition_subalgoE6ExNS0_10empty_typeEbEEZZNS1_14partition_implILS5_6ELb0ES3_mN6thrust23THRUST_200600_302600_NS6detail15normal_iteratorINSA_10device_ptrIxEEEEPS6_SG_NS0_5tupleIJSF_S6_EEENSH_IJSG_SG_EEES6_PlJNSB_9not_fun_tI7is_evenIxEEEEEE10hipError_tPvRmT3_T4_T5_T6_T7_T9_mT8_P12ihipStream_tbDpT10_ENKUlT_T0_E_clISt17integral_constantIbLb0EES18_EEDaS13_S14_EUlS13_E_NS1_11comp_targetILNS1_3genE5ELNS1_11target_archE942ELNS1_3gpuE9ELNS1_3repE0EEENS1_30default_config_static_selectorELNS0_4arch9wavefront6targetE0EEEvT1_,@function
_ZN7rocprim17ROCPRIM_400000_NS6detail17trampoline_kernelINS0_14default_configENS1_25partition_config_selectorILNS1_17partition_subalgoE6ExNS0_10empty_typeEbEEZZNS1_14partition_implILS5_6ELb0ES3_mN6thrust23THRUST_200600_302600_NS6detail15normal_iteratorINSA_10device_ptrIxEEEEPS6_SG_NS0_5tupleIJSF_S6_EEENSH_IJSG_SG_EEES6_PlJNSB_9not_fun_tI7is_evenIxEEEEEE10hipError_tPvRmT3_T4_T5_T6_T7_T9_mT8_P12ihipStream_tbDpT10_ENKUlT_T0_E_clISt17integral_constantIbLb0EES18_EEDaS13_S14_EUlS13_E_NS1_11comp_targetILNS1_3genE5ELNS1_11target_archE942ELNS1_3gpuE9ELNS1_3repE0EEENS1_30default_config_static_selectorELNS0_4arch9wavefront6targetE0EEEvT1_: ; @_ZN7rocprim17ROCPRIM_400000_NS6detail17trampoline_kernelINS0_14default_configENS1_25partition_config_selectorILNS1_17partition_subalgoE6ExNS0_10empty_typeEbEEZZNS1_14partition_implILS5_6ELb0ES3_mN6thrust23THRUST_200600_302600_NS6detail15normal_iteratorINSA_10device_ptrIxEEEEPS6_SG_NS0_5tupleIJSF_S6_EEENSH_IJSG_SG_EEES6_PlJNSB_9not_fun_tI7is_evenIxEEEEEE10hipError_tPvRmT3_T4_T5_T6_T7_T9_mT8_P12ihipStream_tbDpT10_ENKUlT_T0_E_clISt17integral_constantIbLb0EES18_EEDaS13_S14_EUlS13_E_NS1_11comp_targetILNS1_3genE5ELNS1_11target_archE942ELNS1_3gpuE9ELNS1_3repE0EEENS1_30default_config_static_selectorELNS0_4arch9wavefront6targetE0EEEvT1_
; %bb.0:
	.section	.rodata,"a",@progbits
	.p2align	6, 0x0
	.amdhsa_kernel _ZN7rocprim17ROCPRIM_400000_NS6detail17trampoline_kernelINS0_14default_configENS1_25partition_config_selectorILNS1_17partition_subalgoE6ExNS0_10empty_typeEbEEZZNS1_14partition_implILS5_6ELb0ES3_mN6thrust23THRUST_200600_302600_NS6detail15normal_iteratorINSA_10device_ptrIxEEEEPS6_SG_NS0_5tupleIJSF_S6_EEENSH_IJSG_SG_EEES6_PlJNSB_9not_fun_tI7is_evenIxEEEEEE10hipError_tPvRmT3_T4_T5_T6_T7_T9_mT8_P12ihipStream_tbDpT10_ENKUlT_T0_E_clISt17integral_constantIbLb0EES18_EEDaS13_S14_EUlS13_E_NS1_11comp_targetILNS1_3genE5ELNS1_11target_archE942ELNS1_3gpuE9ELNS1_3repE0EEENS1_30default_config_static_selectorELNS0_4arch9wavefront6targetE0EEEvT1_
		.amdhsa_group_segment_fixed_size 0
		.amdhsa_private_segment_fixed_size 0
		.amdhsa_kernarg_size 112
		.amdhsa_user_sgpr_count 2
		.amdhsa_user_sgpr_dispatch_ptr 0
		.amdhsa_user_sgpr_queue_ptr 0
		.amdhsa_user_sgpr_kernarg_segment_ptr 1
		.amdhsa_user_sgpr_dispatch_id 0
		.amdhsa_user_sgpr_private_segment_size 0
		.amdhsa_wavefront_size32 1
		.amdhsa_uses_dynamic_stack 0
		.amdhsa_enable_private_segment 0
		.amdhsa_system_sgpr_workgroup_id_x 1
		.amdhsa_system_sgpr_workgroup_id_y 0
		.amdhsa_system_sgpr_workgroup_id_z 0
		.amdhsa_system_sgpr_workgroup_info 0
		.amdhsa_system_vgpr_workitem_id 0
		.amdhsa_next_free_vgpr 1
		.amdhsa_next_free_sgpr 1
		.amdhsa_reserve_vcc 0
		.amdhsa_float_round_mode_32 0
		.amdhsa_float_round_mode_16_64 0
		.amdhsa_float_denorm_mode_32 3
		.amdhsa_float_denorm_mode_16_64 3
		.amdhsa_fp16_overflow 0
		.amdhsa_workgroup_processor_mode 1
		.amdhsa_memory_ordered 1
		.amdhsa_forward_progress 1
		.amdhsa_inst_pref_size 0
		.amdhsa_round_robin_scheduling 0
		.amdhsa_exception_fp_ieee_invalid_op 0
		.amdhsa_exception_fp_denorm_src 0
		.amdhsa_exception_fp_ieee_div_zero 0
		.amdhsa_exception_fp_ieee_overflow 0
		.amdhsa_exception_fp_ieee_underflow 0
		.amdhsa_exception_fp_ieee_inexact 0
		.amdhsa_exception_int_div_zero 0
	.end_amdhsa_kernel
	.section	.text._ZN7rocprim17ROCPRIM_400000_NS6detail17trampoline_kernelINS0_14default_configENS1_25partition_config_selectorILNS1_17partition_subalgoE6ExNS0_10empty_typeEbEEZZNS1_14partition_implILS5_6ELb0ES3_mN6thrust23THRUST_200600_302600_NS6detail15normal_iteratorINSA_10device_ptrIxEEEEPS6_SG_NS0_5tupleIJSF_S6_EEENSH_IJSG_SG_EEES6_PlJNSB_9not_fun_tI7is_evenIxEEEEEE10hipError_tPvRmT3_T4_T5_T6_T7_T9_mT8_P12ihipStream_tbDpT10_ENKUlT_T0_E_clISt17integral_constantIbLb0EES18_EEDaS13_S14_EUlS13_E_NS1_11comp_targetILNS1_3genE5ELNS1_11target_archE942ELNS1_3gpuE9ELNS1_3repE0EEENS1_30default_config_static_selectorELNS0_4arch9wavefront6targetE0EEEvT1_,"axG",@progbits,_ZN7rocprim17ROCPRIM_400000_NS6detail17trampoline_kernelINS0_14default_configENS1_25partition_config_selectorILNS1_17partition_subalgoE6ExNS0_10empty_typeEbEEZZNS1_14partition_implILS5_6ELb0ES3_mN6thrust23THRUST_200600_302600_NS6detail15normal_iteratorINSA_10device_ptrIxEEEEPS6_SG_NS0_5tupleIJSF_S6_EEENSH_IJSG_SG_EEES6_PlJNSB_9not_fun_tI7is_evenIxEEEEEE10hipError_tPvRmT3_T4_T5_T6_T7_T9_mT8_P12ihipStream_tbDpT10_ENKUlT_T0_E_clISt17integral_constantIbLb0EES18_EEDaS13_S14_EUlS13_E_NS1_11comp_targetILNS1_3genE5ELNS1_11target_archE942ELNS1_3gpuE9ELNS1_3repE0EEENS1_30default_config_static_selectorELNS0_4arch9wavefront6targetE0EEEvT1_,comdat
.Lfunc_end694:
	.size	_ZN7rocprim17ROCPRIM_400000_NS6detail17trampoline_kernelINS0_14default_configENS1_25partition_config_selectorILNS1_17partition_subalgoE6ExNS0_10empty_typeEbEEZZNS1_14partition_implILS5_6ELb0ES3_mN6thrust23THRUST_200600_302600_NS6detail15normal_iteratorINSA_10device_ptrIxEEEEPS6_SG_NS0_5tupleIJSF_S6_EEENSH_IJSG_SG_EEES6_PlJNSB_9not_fun_tI7is_evenIxEEEEEE10hipError_tPvRmT3_T4_T5_T6_T7_T9_mT8_P12ihipStream_tbDpT10_ENKUlT_T0_E_clISt17integral_constantIbLb0EES18_EEDaS13_S14_EUlS13_E_NS1_11comp_targetILNS1_3genE5ELNS1_11target_archE942ELNS1_3gpuE9ELNS1_3repE0EEENS1_30default_config_static_selectorELNS0_4arch9wavefront6targetE0EEEvT1_, .Lfunc_end694-_ZN7rocprim17ROCPRIM_400000_NS6detail17trampoline_kernelINS0_14default_configENS1_25partition_config_selectorILNS1_17partition_subalgoE6ExNS0_10empty_typeEbEEZZNS1_14partition_implILS5_6ELb0ES3_mN6thrust23THRUST_200600_302600_NS6detail15normal_iteratorINSA_10device_ptrIxEEEEPS6_SG_NS0_5tupleIJSF_S6_EEENSH_IJSG_SG_EEES6_PlJNSB_9not_fun_tI7is_evenIxEEEEEE10hipError_tPvRmT3_T4_T5_T6_T7_T9_mT8_P12ihipStream_tbDpT10_ENKUlT_T0_E_clISt17integral_constantIbLb0EES18_EEDaS13_S14_EUlS13_E_NS1_11comp_targetILNS1_3genE5ELNS1_11target_archE942ELNS1_3gpuE9ELNS1_3repE0EEENS1_30default_config_static_selectorELNS0_4arch9wavefront6targetE0EEEvT1_
                                        ; -- End function
	.set _ZN7rocprim17ROCPRIM_400000_NS6detail17trampoline_kernelINS0_14default_configENS1_25partition_config_selectorILNS1_17partition_subalgoE6ExNS0_10empty_typeEbEEZZNS1_14partition_implILS5_6ELb0ES3_mN6thrust23THRUST_200600_302600_NS6detail15normal_iteratorINSA_10device_ptrIxEEEEPS6_SG_NS0_5tupleIJSF_S6_EEENSH_IJSG_SG_EEES6_PlJNSB_9not_fun_tI7is_evenIxEEEEEE10hipError_tPvRmT3_T4_T5_T6_T7_T9_mT8_P12ihipStream_tbDpT10_ENKUlT_T0_E_clISt17integral_constantIbLb0EES18_EEDaS13_S14_EUlS13_E_NS1_11comp_targetILNS1_3genE5ELNS1_11target_archE942ELNS1_3gpuE9ELNS1_3repE0EEENS1_30default_config_static_selectorELNS0_4arch9wavefront6targetE0EEEvT1_.num_vgpr, 0
	.set _ZN7rocprim17ROCPRIM_400000_NS6detail17trampoline_kernelINS0_14default_configENS1_25partition_config_selectorILNS1_17partition_subalgoE6ExNS0_10empty_typeEbEEZZNS1_14partition_implILS5_6ELb0ES3_mN6thrust23THRUST_200600_302600_NS6detail15normal_iteratorINSA_10device_ptrIxEEEEPS6_SG_NS0_5tupleIJSF_S6_EEENSH_IJSG_SG_EEES6_PlJNSB_9not_fun_tI7is_evenIxEEEEEE10hipError_tPvRmT3_T4_T5_T6_T7_T9_mT8_P12ihipStream_tbDpT10_ENKUlT_T0_E_clISt17integral_constantIbLb0EES18_EEDaS13_S14_EUlS13_E_NS1_11comp_targetILNS1_3genE5ELNS1_11target_archE942ELNS1_3gpuE9ELNS1_3repE0EEENS1_30default_config_static_selectorELNS0_4arch9wavefront6targetE0EEEvT1_.num_agpr, 0
	.set _ZN7rocprim17ROCPRIM_400000_NS6detail17trampoline_kernelINS0_14default_configENS1_25partition_config_selectorILNS1_17partition_subalgoE6ExNS0_10empty_typeEbEEZZNS1_14partition_implILS5_6ELb0ES3_mN6thrust23THRUST_200600_302600_NS6detail15normal_iteratorINSA_10device_ptrIxEEEEPS6_SG_NS0_5tupleIJSF_S6_EEENSH_IJSG_SG_EEES6_PlJNSB_9not_fun_tI7is_evenIxEEEEEE10hipError_tPvRmT3_T4_T5_T6_T7_T9_mT8_P12ihipStream_tbDpT10_ENKUlT_T0_E_clISt17integral_constantIbLb0EES18_EEDaS13_S14_EUlS13_E_NS1_11comp_targetILNS1_3genE5ELNS1_11target_archE942ELNS1_3gpuE9ELNS1_3repE0EEENS1_30default_config_static_selectorELNS0_4arch9wavefront6targetE0EEEvT1_.numbered_sgpr, 0
	.set _ZN7rocprim17ROCPRIM_400000_NS6detail17trampoline_kernelINS0_14default_configENS1_25partition_config_selectorILNS1_17partition_subalgoE6ExNS0_10empty_typeEbEEZZNS1_14partition_implILS5_6ELb0ES3_mN6thrust23THRUST_200600_302600_NS6detail15normal_iteratorINSA_10device_ptrIxEEEEPS6_SG_NS0_5tupleIJSF_S6_EEENSH_IJSG_SG_EEES6_PlJNSB_9not_fun_tI7is_evenIxEEEEEE10hipError_tPvRmT3_T4_T5_T6_T7_T9_mT8_P12ihipStream_tbDpT10_ENKUlT_T0_E_clISt17integral_constantIbLb0EES18_EEDaS13_S14_EUlS13_E_NS1_11comp_targetILNS1_3genE5ELNS1_11target_archE942ELNS1_3gpuE9ELNS1_3repE0EEENS1_30default_config_static_selectorELNS0_4arch9wavefront6targetE0EEEvT1_.num_named_barrier, 0
	.set _ZN7rocprim17ROCPRIM_400000_NS6detail17trampoline_kernelINS0_14default_configENS1_25partition_config_selectorILNS1_17partition_subalgoE6ExNS0_10empty_typeEbEEZZNS1_14partition_implILS5_6ELb0ES3_mN6thrust23THRUST_200600_302600_NS6detail15normal_iteratorINSA_10device_ptrIxEEEEPS6_SG_NS0_5tupleIJSF_S6_EEENSH_IJSG_SG_EEES6_PlJNSB_9not_fun_tI7is_evenIxEEEEEE10hipError_tPvRmT3_T4_T5_T6_T7_T9_mT8_P12ihipStream_tbDpT10_ENKUlT_T0_E_clISt17integral_constantIbLb0EES18_EEDaS13_S14_EUlS13_E_NS1_11comp_targetILNS1_3genE5ELNS1_11target_archE942ELNS1_3gpuE9ELNS1_3repE0EEENS1_30default_config_static_selectorELNS0_4arch9wavefront6targetE0EEEvT1_.private_seg_size, 0
	.set _ZN7rocprim17ROCPRIM_400000_NS6detail17trampoline_kernelINS0_14default_configENS1_25partition_config_selectorILNS1_17partition_subalgoE6ExNS0_10empty_typeEbEEZZNS1_14partition_implILS5_6ELb0ES3_mN6thrust23THRUST_200600_302600_NS6detail15normal_iteratorINSA_10device_ptrIxEEEEPS6_SG_NS0_5tupleIJSF_S6_EEENSH_IJSG_SG_EEES6_PlJNSB_9not_fun_tI7is_evenIxEEEEEE10hipError_tPvRmT3_T4_T5_T6_T7_T9_mT8_P12ihipStream_tbDpT10_ENKUlT_T0_E_clISt17integral_constantIbLb0EES18_EEDaS13_S14_EUlS13_E_NS1_11comp_targetILNS1_3genE5ELNS1_11target_archE942ELNS1_3gpuE9ELNS1_3repE0EEENS1_30default_config_static_selectorELNS0_4arch9wavefront6targetE0EEEvT1_.uses_vcc, 0
	.set _ZN7rocprim17ROCPRIM_400000_NS6detail17trampoline_kernelINS0_14default_configENS1_25partition_config_selectorILNS1_17partition_subalgoE6ExNS0_10empty_typeEbEEZZNS1_14partition_implILS5_6ELb0ES3_mN6thrust23THRUST_200600_302600_NS6detail15normal_iteratorINSA_10device_ptrIxEEEEPS6_SG_NS0_5tupleIJSF_S6_EEENSH_IJSG_SG_EEES6_PlJNSB_9not_fun_tI7is_evenIxEEEEEE10hipError_tPvRmT3_T4_T5_T6_T7_T9_mT8_P12ihipStream_tbDpT10_ENKUlT_T0_E_clISt17integral_constantIbLb0EES18_EEDaS13_S14_EUlS13_E_NS1_11comp_targetILNS1_3genE5ELNS1_11target_archE942ELNS1_3gpuE9ELNS1_3repE0EEENS1_30default_config_static_selectorELNS0_4arch9wavefront6targetE0EEEvT1_.uses_flat_scratch, 0
	.set _ZN7rocprim17ROCPRIM_400000_NS6detail17trampoline_kernelINS0_14default_configENS1_25partition_config_selectorILNS1_17partition_subalgoE6ExNS0_10empty_typeEbEEZZNS1_14partition_implILS5_6ELb0ES3_mN6thrust23THRUST_200600_302600_NS6detail15normal_iteratorINSA_10device_ptrIxEEEEPS6_SG_NS0_5tupleIJSF_S6_EEENSH_IJSG_SG_EEES6_PlJNSB_9not_fun_tI7is_evenIxEEEEEE10hipError_tPvRmT3_T4_T5_T6_T7_T9_mT8_P12ihipStream_tbDpT10_ENKUlT_T0_E_clISt17integral_constantIbLb0EES18_EEDaS13_S14_EUlS13_E_NS1_11comp_targetILNS1_3genE5ELNS1_11target_archE942ELNS1_3gpuE9ELNS1_3repE0EEENS1_30default_config_static_selectorELNS0_4arch9wavefront6targetE0EEEvT1_.has_dyn_sized_stack, 0
	.set _ZN7rocprim17ROCPRIM_400000_NS6detail17trampoline_kernelINS0_14default_configENS1_25partition_config_selectorILNS1_17partition_subalgoE6ExNS0_10empty_typeEbEEZZNS1_14partition_implILS5_6ELb0ES3_mN6thrust23THRUST_200600_302600_NS6detail15normal_iteratorINSA_10device_ptrIxEEEEPS6_SG_NS0_5tupleIJSF_S6_EEENSH_IJSG_SG_EEES6_PlJNSB_9not_fun_tI7is_evenIxEEEEEE10hipError_tPvRmT3_T4_T5_T6_T7_T9_mT8_P12ihipStream_tbDpT10_ENKUlT_T0_E_clISt17integral_constantIbLb0EES18_EEDaS13_S14_EUlS13_E_NS1_11comp_targetILNS1_3genE5ELNS1_11target_archE942ELNS1_3gpuE9ELNS1_3repE0EEENS1_30default_config_static_selectorELNS0_4arch9wavefront6targetE0EEEvT1_.has_recursion, 0
	.set _ZN7rocprim17ROCPRIM_400000_NS6detail17trampoline_kernelINS0_14default_configENS1_25partition_config_selectorILNS1_17partition_subalgoE6ExNS0_10empty_typeEbEEZZNS1_14partition_implILS5_6ELb0ES3_mN6thrust23THRUST_200600_302600_NS6detail15normal_iteratorINSA_10device_ptrIxEEEEPS6_SG_NS0_5tupleIJSF_S6_EEENSH_IJSG_SG_EEES6_PlJNSB_9not_fun_tI7is_evenIxEEEEEE10hipError_tPvRmT3_T4_T5_T6_T7_T9_mT8_P12ihipStream_tbDpT10_ENKUlT_T0_E_clISt17integral_constantIbLb0EES18_EEDaS13_S14_EUlS13_E_NS1_11comp_targetILNS1_3genE5ELNS1_11target_archE942ELNS1_3gpuE9ELNS1_3repE0EEENS1_30default_config_static_selectorELNS0_4arch9wavefront6targetE0EEEvT1_.has_indirect_call, 0
	.section	.AMDGPU.csdata,"",@progbits
; Kernel info:
; codeLenInByte = 0
; TotalNumSgprs: 0
; NumVgprs: 0
; ScratchSize: 0
; MemoryBound: 0
; FloatMode: 240
; IeeeMode: 1
; LDSByteSize: 0 bytes/workgroup (compile time only)
; SGPRBlocks: 0
; VGPRBlocks: 0
; NumSGPRsForWavesPerEU: 1
; NumVGPRsForWavesPerEU: 1
; Occupancy: 16
; WaveLimiterHint : 0
; COMPUTE_PGM_RSRC2:SCRATCH_EN: 0
; COMPUTE_PGM_RSRC2:USER_SGPR: 2
; COMPUTE_PGM_RSRC2:TRAP_HANDLER: 0
; COMPUTE_PGM_RSRC2:TGID_X_EN: 1
; COMPUTE_PGM_RSRC2:TGID_Y_EN: 0
; COMPUTE_PGM_RSRC2:TGID_Z_EN: 0
; COMPUTE_PGM_RSRC2:TIDIG_COMP_CNT: 0
	.section	.text._ZN7rocprim17ROCPRIM_400000_NS6detail17trampoline_kernelINS0_14default_configENS1_25partition_config_selectorILNS1_17partition_subalgoE6ExNS0_10empty_typeEbEEZZNS1_14partition_implILS5_6ELb0ES3_mN6thrust23THRUST_200600_302600_NS6detail15normal_iteratorINSA_10device_ptrIxEEEEPS6_SG_NS0_5tupleIJSF_S6_EEENSH_IJSG_SG_EEES6_PlJNSB_9not_fun_tI7is_evenIxEEEEEE10hipError_tPvRmT3_T4_T5_T6_T7_T9_mT8_P12ihipStream_tbDpT10_ENKUlT_T0_E_clISt17integral_constantIbLb0EES18_EEDaS13_S14_EUlS13_E_NS1_11comp_targetILNS1_3genE4ELNS1_11target_archE910ELNS1_3gpuE8ELNS1_3repE0EEENS1_30default_config_static_selectorELNS0_4arch9wavefront6targetE0EEEvT1_,"axG",@progbits,_ZN7rocprim17ROCPRIM_400000_NS6detail17trampoline_kernelINS0_14default_configENS1_25partition_config_selectorILNS1_17partition_subalgoE6ExNS0_10empty_typeEbEEZZNS1_14partition_implILS5_6ELb0ES3_mN6thrust23THRUST_200600_302600_NS6detail15normal_iteratorINSA_10device_ptrIxEEEEPS6_SG_NS0_5tupleIJSF_S6_EEENSH_IJSG_SG_EEES6_PlJNSB_9not_fun_tI7is_evenIxEEEEEE10hipError_tPvRmT3_T4_T5_T6_T7_T9_mT8_P12ihipStream_tbDpT10_ENKUlT_T0_E_clISt17integral_constantIbLb0EES18_EEDaS13_S14_EUlS13_E_NS1_11comp_targetILNS1_3genE4ELNS1_11target_archE910ELNS1_3gpuE8ELNS1_3repE0EEENS1_30default_config_static_selectorELNS0_4arch9wavefront6targetE0EEEvT1_,comdat
	.protected	_ZN7rocprim17ROCPRIM_400000_NS6detail17trampoline_kernelINS0_14default_configENS1_25partition_config_selectorILNS1_17partition_subalgoE6ExNS0_10empty_typeEbEEZZNS1_14partition_implILS5_6ELb0ES3_mN6thrust23THRUST_200600_302600_NS6detail15normal_iteratorINSA_10device_ptrIxEEEEPS6_SG_NS0_5tupleIJSF_S6_EEENSH_IJSG_SG_EEES6_PlJNSB_9not_fun_tI7is_evenIxEEEEEE10hipError_tPvRmT3_T4_T5_T6_T7_T9_mT8_P12ihipStream_tbDpT10_ENKUlT_T0_E_clISt17integral_constantIbLb0EES18_EEDaS13_S14_EUlS13_E_NS1_11comp_targetILNS1_3genE4ELNS1_11target_archE910ELNS1_3gpuE8ELNS1_3repE0EEENS1_30default_config_static_selectorELNS0_4arch9wavefront6targetE0EEEvT1_ ; -- Begin function _ZN7rocprim17ROCPRIM_400000_NS6detail17trampoline_kernelINS0_14default_configENS1_25partition_config_selectorILNS1_17partition_subalgoE6ExNS0_10empty_typeEbEEZZNS1_14partition_implILS5_6ELb0ES3_mN6thrust23THRUST_200600_302600_NS6detail15normal_iteratorINSA_10device_ptrIxEEEEPS6_SG_NS0_5tupleIJSF_S6_EEENSH_IJSG_SG_EEES6_PlJNSB_9not_fun_tI7is_evenIxEEEEEE10hipError_tPvRmT3_T4_T5_T6_T7_T9_mT8_P12ihipStream_tbDpT10_ENKUlT_T0_E_clISt17integral_constantIbLb0EES18_EEDaS13_S14_EUlS13_E_NS1_11comp_targetILNS1_3genE4ELNS1_11target_archE910ELNS1_3gpuE8ELNS1_3repE0EEENS1_30default_config_static_selectorELNS0_4arch9wavefront6targetE0EEEvT1_
	.globl	_ZN7rocprim17ROCPRIM_400000_NS6detail17trampoline_kernelINS0_14default_configENS1_25partition_config_selectorILNS1_17partition_subalgoE6ExNS0_10empty_typeEbEEZZNS1_14partition_implILS5_6ELb0ES3_mN6thrust23THRUST_200600_302600_NS6detail15normal_iteratorINSA_10device_ptrIxEEEEPS6_SG_NS0_5tupleIJSF_S6_EEENSH_IJSG_SG_EEES6_PlJNSB_9not_fun_tI7is_evenIxEEEEEE10hipError_tPvRmT3_T4_T5_T6_T7_T9_mT8_P12ihipStream_tbDpT10_ENKUlT_T0_E_clISt17integral_constantIbLb0EES18_EEDaS13_S14_EUlS13_E_NS1_11comp_targetILNS1_3genE4ELNS1_11target_archE910ELNS1_3gpuE8ELNS1_3repE0EEENS1_30default_config_static_selectorELNS0_4arch9wavefront6targetE0EEEvT1_
	.p2align	8
	.type	_ZN7rocprim17ROCPRIM_400000_NS6detail17trampoline_kernelINS0_14default_configENS1_25partition_config_selectorILNS1_17partition_subalgoE6ExNS0_10empty_typeEbEEZZNS1_14partition_implILS5_6ELb0ES3_mN6thrust23THRUST_200600_302600_NS6detail15normal_iteratorINSA_10device_ptrIxEEEEPS6_SG_NS0_5tupleIJSF_S6_EEENSH_IJSG_SG_EEES6_PlJNSB_9not_fun_tI7is_evenIxEEEEEE10hipError_tPvRmT3_T4_T5_T6_T7_T9_mT8_P12ihipStream_tbDpT10_ENKUlT_T0_E_clISt17integral_constantIbLb0EES18_EEDaS13_S14_EUlS13_E_NS1_11comp_targetILNS1_3genE4ELNS1_11target_archE910ELNS1_3gpuE8ELNS1_3repE0EEENS1_30default_config_static_selectorELNS0_4arch9wavefront6targetE0EEEvT1_,@function
_ZN7rocprim17ROCPRIM_400000_NS6detail17trampoline_kernelINS0_14default_configENS1_25partition_config_selectorILNS1_17partition_subalgoE6ExNS0_10empty_typeEbEEZZNS1_14partition_implILS5_6ELb0ES3_mN6thrust23THRUST_200600_302600_NS6detail15normal_iteratorINSA_10device_ptrIxEEEEPS6_SG_NS0_5tupleIJSF_S6_EEENSH_IJSG_SG_EEES6_PlJNSB_9not_fun_tI7is_evenIxEEEEEE10hipError_tPvRmT3_T4_T5_T6_T7_T9_mT8_P12ihipStream_tbDpT10_ENKUlT_T0_E_clISt17integral_constantIbLb0EES18_EEDaS13_S14_EUlS13_E_NS1_11comp_targetILNS1_3genE4ELNS1_11target_archE910ELNS1_3gpuE8ELNS1_3repE0EEENS1_30default_config_static_selectorELNS0_4arch9wavefront6targetE0EEEvT1_: ; @_ZN7rocprim17ROCPRIM_400000_NS6detail17trampoline_kernelINS0_14default_configENS1_25partition_config_selectorILNS1_17partition_subalgoE6ExNS0_10empty_typeEbEEZZNS1_14partition_implILS5_6ELb0ES3_mN6thrust23THRUST_200600_302600_NS6detail15normal_iteratorINSA_10device_ptrIxEEEEPS6_SG_NS0_5tupleIJSF_S6_EEENSH_IJSG_SG_EEES6_PlJNSB_9not_fun_tI7is_evenIxEEEEEE10hipError_tPvRmT3_T4_T5_T6_T7_T9_mT8_P12ihipStream_tbDpT10_ENKUlT_T0_E_clISt17integral_constantIbLb0EES18_EEDaS13_S14_EUlS13_E_NS1_11comp_targetILNS1_3genE4ELNS1_11target_archE910ELNS1_3gpuE8ELNS1_3repE0EEENS1_30default_config_static_selectorELNS0_4arch9wavefront6targetE0EEEvT1_
; %bb.0:
	.section	.rodata,"a",@progbits
	.p2align	6, 0x0
	.amdhsa_kernel _ZN7rocprim17ROCPRIM_400000_NS6detail17trampoline_kernelINS0_14default_configENS1_25partition_config_selectorILNS1_17partition_subalgoE6ExNS0_10empty_typeEbEEZZNS1_14partition_implILS5_6ELb0ES3_mN6thrust23THRUST_200600_302600_NS6detail15normal_iteratorINSA_10device_ptrIxEEEEPS6_SG_NS0_5tupleIJSF_S6_EEENSH_IJSG_SG_EEES6_PlJNSB_9not_fun_tI7is_evenIxEEEEEE10hipError_tPvRmT3_T4_T5_T6_T7_T9_mT8_P12ihipStream_tbDpT10_ENKUlT_T0_E_clISt17integral_constantIbLb0EES18_EEDaS13_S14_EUlS13_E_NS1_11comp_targetILNS1_3genE4ELNS1_11target_archE910ELNS1_3gpuE8ELNS1_3repE0EEENS1_30default_config_static_selectorELNS0_4arch9wavefront6targetE0EEEvT1_
		.amdhsa_group_segment_fixed_size 0
		.amdhsa_private_segment_fixed_size 0
		.amdhsa_kernarg_size 112
		.amdhsa_user_sgpr_count 2
		.amdhsa_user_sgpr_dispatch_ptr 0
		.amdhsa_user_sgpr_queue_ptr 0
		.amdhsa_user_sgpr_kernarg_segment_ptr 1
		.amdhsa_user_sgpr_dispatch_id 0
		.amdhsa_user_sgpr_private_segment_size 0
		.amdhsa_wavefront_size32 1
		.amdhsa_uses_dynamic_stack 0
		.amdhsa_enable_private_segment 0
		.amdhsa_system_sgpr_workgroup_id_x 1
		.amdhsa_system_sgpr_workgroup_id_y 0
		.amdhsa_system_sgpr_workgroup_id_z 0
		.amdhsa_system_sgpr_workgroup_info 0
		.amdhsa_system_vgpr_workitem_id 0
		.amdhsa_next_free_vgpr 1
		.amdhsa_next_free_sgpr 1
		.amdhsa_reserve_vcc 0
		.amdhsa_float_round_mode_32 0
		.amdhsa_float_round_mode_16_64 0
		.amdhsa_float_denorm_mode_32 3
		.amdhsa_float_denorm_mode_16_64 3
		.amdhsa_fp16_overflow 0
		.amdhsa_workgroup_processor_mode 1
		.amdhsa_memory_ordered 1
		.amdhsa_forward_progress 1
		.amdhsa_inst_pref_size 0
		.amdhsa_round_robin_scheduling 0
		.amdhsa_exception_fp_ieee_invalid_op 0
		.amdhsa_exception_fp_denorm_src 0
		.amdhsa_exception_fp_ieee_div_zero 0
		.amdhsa_exception_fp_ieee_overflow 0
		.amdhsa_exception_fp_ieee_underflow 0
		.amdhsa_exception_fp_ieee_inexact 0
		.amdhsa_exception_int_div_zero 0
	.end_amdhsa_kernel
	.section	.text._ZN7rocprim17ROCPRIM_400000_NS6detail17trampoline_kernelINS0_14default_configENS1_25partition_config_selectorILNS1_17partition_subalgoE6ExNS0_10empty_typeEbEEZZNS1_14partition_implILS5_6ELb0ES3_mN6thrust23THRUST_200600_302600_NS6detail15normal_iteratorINSA_10device_ptrIxEEEEPS6_SG_NS0_5tupleIJSF_S6_EEENSH_IJSG_SG_EEES6_PlJNSB_9not_fun_tI7is_evenIxEEEEEE10hipError_tPvRmT3_T4_T5_T6_T7_T9_mT8_P12ihipStream_tbDpT10_ENKUlT_T0_E_clISt17integral_constantIbLb0EES18_EEDaS13_S14_EUlS13_E_NS1_11comp_targetILNS1_3genE4ELNS1_11target_archE910ELNS1_3gpuE8ELNS1_3repE0EEENS1_30default_config_static_selectorELNS0_4arch9wavefront6targetE0EEEvT1_,"axG",@progbits,_ZN7rocprim17ROCPRIM_400000_NS6detail17trampoline_kernelINS0_14default_configENS1_25partition_config_selectorILNS1_17partition_subalgoE6ExNS0_10empty_typeEbEEZZNS1_14partition_implILS5_6ELb0ES3_mN6thrust23THRUST_200600_302600_NS6detail15normal_iteratorINSA_10device_ptrIxEEEEPS6_SG_NS0_5tupleIJSF_S6_EEENSH_IJSG_SG_EEES6_PlJNSB_9not_fun_tI7is_evenIxEEEEEE10hipError_tPvRmT3_T4_T5_T6_T7_T9_mT8_P12ihipStream_tbDpT10_ENKUlT_T0_E_clISt17integral_constantIbLb0EES18_EEDaS13_S14_EUlS13_E_NS1_11comp_targetILNS1_3genE4ELNS1_11target_archE910ELNS1_3gpuE8ELNS1_3repE0EEENS1_30default_config_static_selectorELNS0_4arch9wavefront6targetE0EEEvT1_,comdat
.Lfunc_end695:
	.size	_ZN7rocprim17ROCPRIM_400000_NS6detail17trampoline_kernelINS0_14default_configENS1_25partition_config_selectorILNS1_17partition_subalgoE6ExNS0_10empty_typeEbEEZZNS1_14partition_implILS5_6ELb0ES3_mN6thrust23THRUST_200600_302600_NS6detail15normal_iteratorINSA_10device_ptrIxEEEEPS6_SG_NS0_5tupleIJSF_S6_EEENSH_IJSG_SG_EEES6_PlJNSB_9not_fun_tI7is_evenIxEEEEEE10hipError_tPvRmT3_T4_T5_T6_T7_T9_mT8_P12ihipStream_tbDpT10_ENKUlT_T0_E_clISt17integral_constantIbLb0EES18_EEDaS13_S14_EUlS13_E_NS1_11comp_targetILNS1_3genE4ELNS1_11target_archE910ELNS1_3gpuE8ELNS1_3repE0EEENS1_30default_config_static_selectorELNS0_4arch9wavefront6targetE0EEEvT1_, .Lfunc_end695-_ZN7rocprim17ROCPRIM_400000_NS6detail17trampoline_kernelINS0_14default_configENS1_25partition_config_selectorILNS1_17partition_subalgoE6ExNS0_10empty_typeEbEEZZNS1_14partition_implILS5_6ELb0ES3_mN6thrust23THRUST_200600_302600_NS6detail15normal_iteratorINSA_10device_ptrIxEEEEPS6_SG_NS0_5tupleIJSF_S6_EEENSH_IJSG_SG_EEES6_PlJNSB_9not_fun_tI7is_evenIxEEEEEE10hipError_tPvRmT3_T4_T5_T6_T7_T9_mT8_P12ihipStream_tbDpT10_ENKUlT_T0_E_clISt17integral_constantIbLb0EES18_EEDaS13_S14_EUlS13_E_NS1_11comp_targetILNS1_3genE4ELNS1_11target_archE910ELNS1_3gpuE8ELNS1_3repE0EEENS1_30default_config_static_selectorELNS0_4arch9wavefront6targetE0EEEvT1_
                                        ; -- End function
	.set _ZN7rocprim17ROCPRIM_400000_NS6detail17trampoline_kernelINS0_14default_configENS1_25partition_config_selectorILNS1_17partition_subalgoE6ExNS0_10empty_typeEbEEZZNS1_14partition_implILS5_6ELb0ES3_mN6thrust23THRUST_200600_302600_NS6detail15normal_iteratorINSA_10device_ptrIxEEEEPS6_SG_NS0_5tupleIJSF_S6_EEENSH_IJSG_SG_EEES6_PlJNSB_9not_fun_tI7is_evenIxEEEEEE10hipError_tPvRmT3_T4_T5_T6_T7_T9_mT8_P12ihipStream_tbDpT10_ENKUlT_T0_E_clISt17integral_constantIbLb0EES18_EEDaS13_S14_EUlS13_E_NS1_11comp_targetILNS1_3genE4ELNS1_11target_archE910ELNS1_3gpuE8ELNS1_3repE0EEENS1_30default_config_static_selectorELNS0_4arch9wavefront6targetE0EEEvT1_.num_vgpr, 0
	.set _ZN7rocprim17ROCPRIM_400000_NS6detail17trampoline_kernelINS0_14default_configENS1_25partition_config_selectorILNS1_17partition_subalgoE6ExNS0_10empty_typeEbEEZZNS1_14partition_implILS5_6ELb0ES3_mN6thrust23THRUST_200600_302600_NS6detail15normal_iteratorINSA_10device_ptrIxEEEEPS6_SG_NS0_5tupleIJSF_S6_EEENSH_IJSG_SG_EEES6_PlJNSB_9not_fun_tI7is_evenIxEEEEEE10hipError_tPvRmT3_T4_T5_T6_T7_T9_mT8_P12ihipStream_tbDpT10_ENKUlT_T0_E_clISt17integral_constantIbLb0EES18_EEDaS13_S14_EUlS13_E_NS1_11comp_targetILNS1_3genE4ELNS1_11target_archE910ELNS1_3gpuE8ELNS1_3repE0EEENS1_30default_config_static_selectorELNS0_4arch9wavefront6targetE0EEEvT1_.num_agpr, 0
	.set _ZN7rocprim17ROCPRIM_400000_NS6detail17trampoline_kernelINS0_14default_configENS1_25partition_config_selectorILNS1_17partition_subalgoE6ExNS0_10empty_typeEbEEZZNS1_14partition_implILS5_6ELb0ES3_mN6thrust23THRUST_200600_302600_NS6detail15normal_iteratorINSA_10device_ptrIxEEEEPS6_SG_NS0_5tupleIJSF_S6_EEENSH_IJSG_SG_EEES6_PlJNSB_9not_fun_tI7is_evenIxEEEEEE10hipError_tPvRmT3_T4_T5_T6_T7_T9_mT8_P12ihipStream_tbDpT10_ENKUlT_T0_E_clISt17integral_constantIbLb0EES18_EEDaS13_S14_EUlS13_E_NS1_11comp_targetILNS1_3genE4ELNS1_11target_archE910ELNS1_3gpuE8ELNS1_3repE0EEENS1_30default_config_static_selectorELNS0_4arch9wavefront6targetE0EEEvT1_.numbered_sgpr, 0
	.set _ZN7rocprim17ROCPRIM_400000_NS6detail17trampoline_kernelINS0_14default_configENS1_25partition_config_selectorILNS1_17partition_subalgoE6ExNS0_10empty_typeEbEEZZNS1_14partition_implILS5_6ELb0ES3_mN6thrust23THRUST_200600_302600_NS6detail15normal_iteratorINSA_10device_ptrIxEEEEPS6_SG_NS0_5tupleIJSF_S6_EEENSH_IJSG_SG_EEES6_PlJNSB_9not_fun_tI7is_evenIxEEEEEE10hipError_tPvRmT3_T4_T5_T6_T7_T9_mT8_P12ihipStream_tbDpT10_ENKUlT_T0_E_clISt17integral_constantIbLb0EES18_EEDaS13_S14_EUlS13_E_NS1_11comp_targetILNS1_3genE4ELNS1_11target_archE910ELNS1_3gpuE8ELNS1_3repE0EEENS1_30default_config_static_selectorELNS0_4arch9wavefront6targetE0EEEvT1_.num_named_barrier, 0
	.set _ZN7rocprim17ROCPRIM_400000_NS6detail17trampoline_kernelINS0_14default_configENS1_25partition_config_selectorILNS1_17partition_subalgoE6ExNS0_10empty_typeEbEEZZNS1_14partition_implILS5_6ELb0ES3_mN6thrust23THRUST_200600_302600_NS6detail15normal_iteratorINSA_10device_ptrIxEEEEPS6_SG_NS0_5tupleIJSF_S6_EEENSH_IJSG_SG_EEES6_PlJNSB_9not_fun_tI7is_evenIxEEEEEE10hipError_tPvRmT3_T4_T5_T6_T7_T9_mT8_P12ihipStream_tbDpT10_ENKUlT_T0_E_clISt17integral_constantIbLb0EES18_EEDaS13_S14_EUlS13_E_NS1_11comp_targetILNS1_3genE4ELNS1_11target_archE910ELNS1_3gpuE8ELNS1_3repE0EEENS1_30default_config_static_selectorELNS0_4arch9wavefront6targetE0EEEvT1_.private_seg_size, 0
	.set _ZN7rocprim17ROCPRIM_400000_NS6detail17trampoline_kernelINS0_14default_configENS1_25partition_config_selectorILNS1_17partition_subalgoE6ExNS0_10empty_typeEbEEZZNS1_14partition_implILS5_6ELb0ES3_mN6thrust23THRUST_200600_302600_NS6detail15normal_iteratorINSA_10device_ptrIxEEEEPS6_SG_NS0_5tupleIJSF_S6_EEENSH_IJSG_SG_EEES6_PlJNSB_9not_fun_tI7is_evenIxEEEEEE10hipError_tPvRmT3_T4_T5_T6_T7_T9_mT8_P12ihipStream_tbDpT10_ENKUlT_T0_E_clISt17integral_constantIbLb0EES18_EEDaS13_S14_EUlS13_E_NS1_11comp_targetILNS1_3genE4ELNS1_11target_archE910ELNS1_3gpuE8ELNS1_3repE0EEENS1_30default_config_static_selectorELNS0_4arch9wavefront6targetE0EEEvT1_.uses_vcc, 0
	.set _ZN7rocprim17ROCPRIM_400000_NS6detail17trampoline_kernelINS0_14default_configENS1_25partition_config_selectorILNS1_17partition_subalgoE6ExNS0_10empty_typeEbEEZZNS1_14partition_implILS5_6ELb0ES3_mN6thrust23THRUST_200600_302600_NS6detail15normal_iteratorINSA_10device_ptrIxEEEEPS6_SG_NS0_5tupleIJSF_S6_EEENSH_IJSG_SG_EEES6_PlJNSB_9not_fun_tI7is_evenIxEEEEEE10hipError_tPvRmT3_T4_T5_T6_T7_T9_mT8_P12ihipStream_tbDpT10_ENKUlT_T0_E_clISt17integral_constantIbLb0EES18_EEDaS13_S14_EUlS13_E_NS1_11comp_targetILNS1_3genE4ELNS1_11target_archE910ELNS1_3gpuE8ELNS1_3repE0EEENS1_30default_config_static_selectorELNS0_4arch9wavefront6targetE0EEEvT1_.uses_flat_scratch, 0
	.set _ZN7rocprim17ROCPRIM_400000_NS6detail17trampoline_kernelINS0_14default_configENS1_25partition_config_selectorILNS1_17partition_subalgoE6ExNS0_10empty_typeEbEEZZNS1_14partition_implILS5_6ELb0ES3_mN6thrust23THRUST_200600_302600_NS6detail15normal_iteratorINSA_10device_ptrIxEEEEPS6_SG_NS0_5tupleIJSF_S6_EEENSH_IJSG_SG_EEES6_PlJNSB_9not_fun_tI7is_evenIxEEEEEE10hipError_tPvRmT3_T4_T5_T6_T7_T9_mT8_P12ihipStream_tbDpT10_ENKUlT_T0_E_clISt17integral_constantIbLb0EES18_EEDaS13_S14_EUlS13_E_NS1_11comp_targetILNS1_3genE4ELNS1_11target_archE910ELNS1_3gpuE8ELNS1_3repE0EEENS1_30default_config_static_selectorELNS0_4arch9wavefront6targetE0EEEvT1_.has_dyn_sized_stack, 0
	.set _ZN7rocprim17ROCPRIM_400000_NS6detail17trampoline_kernelINS0_14default_configENS1_25partition_config_selectorILNS1_17partition_subalgoE6ExNS0_10empty_typeEbEEZZNS1_14partition_implILS5_6ELb0ES3_mN6thrust23THRUST_200600_302600_NS6detail15normal_iteratorINSA_10device_ptrIxEEEEPS6_SG_NS0_5tupleIJSF_S6_EEENSH_IJSG_SG_EEES6_PlJNSB_9not_fun_tI7is_evenIxEEEEEE10hipError_tPvRmT3_T4_T5_T6_T7_T9_mT8_P12ihipStream_tbDpT10_ENKUlT_T0_E_clISt17integral_constantIbLb0EES18_EEDaS13_S14_EUlS13_E_NS1_11comp_targetILNS1_3genE4ELNS1_11target_archE910ELNS1_3gpuE8ELNS1_3repE0EEENS1_30default_config_static_selectorELNS0_4arch9wavefront6targetE0EEEvT1_.has_recursion, 0
	.set _ZN7rocprim17ROCPRIM_400000_NS6detail17trampoline_kernelINS0_14default_configENS1_25partition_config_selectorILNS1_17partition_subalgoE6ExNS0_10empty_typeEbEEZZNS1_14partition_implILS5_6ELb0ES3_mN6thrust23THRUST_200600_302600_NS6detail15normal_iteratorINSA_10device_ptrIxEEEEPS6_SG_NS0_5tupleIJSF_S6_EEENSH_IJSG_SG_EEES6_PlJNSB_9not_fun_tI7is_evenIxEEEEEE10hipError_tPvRmT3_T4_T5_T6_T7_T9_mT8_P12ihipStream_tbDpT10_ENKUlT_T0_E_clISt17integral_constantIbLb0EES18_EEDaS13_S14_EUlS13_E_NS1_11comp_targetILNS1_3genE4ELNS1_11target_archE910ELNS1_3gpuE8ELNS1_3repE0EEENS1_30default_config_static_selectorELNS0_4arch9wavefront6targetE0EEEvT1_.has_indirect_call, 0
	.section	.AMDGPU.csdata,"",@progbits
; Kernel info:
; codeLenInByte = 0
; TotalNumSgprs: 0
; NumVgprs: 0
; ScratchSize: 0
; MemoryBound: 0
; FloatMode: 240
; IeeeMode: 1
; LDSByteSize: 0 bytes/workgroup (compile time only)
; SGPRBlocks: 0
; VGPRBlocks: 0
; NumSGPRsForWavesPerEU: 1
; NumVGPRsForWavesPerEU: 1
; Occupancy: 16
; WaveLimiterHint : 0
; COMPUTE_PGM_RSRC2:SCRATCH_EN: 0
; COMPUTE_PGM_RSRC2:USER_SGPR: 2
; COMPUTE_PGM_RSRC2:TRAP_HANDLER: 0
; COMPUTE_PGM_RSRC2:TGID_X_EN: 1
; COMPUTE_PGM_RSRC2:TGID_Y_EN: 0
; COMPUTE_PGM_RSRC2:TGID_Z_EN: 0
; COMPUTE_PGM_RSRC2:TIDIG_COMP_CNT: 0
	.section	.text._ZN7rocprim17ROCPRIM_400000_NS6detail17trampoline_kernelINS0_14default_configENS1_25partition_config_selectorILNS1_17partition_subalgoE6ExNS0_10empty_typeEbEEZZNS1_14partition_implILS5_6ELb0ES3_mN6thrust23THRUST_200600_302600_NS6detail15normal_iteratorINSA_10device_ptrIxEEEEPS6_SG_NS0_5tupleIJSF_S6_EEENSH_IJSG_SG_EEES6_PlJNSB_9not_fun_tI7is_evenIxEEEEEE10hipError_tPvRmT3_T4_T5_T6_T7_T9_mT8_P12ihipStream_tbDpT10_ENKUlT_T0_E_clISt17integral_constantIbLb0EES18_EEDaS13_S14_EUlS13_E_NS1_11comp_targetILNS1_3genE3ELNS1_11target_archE908ELNS1_3gpuE7ELNS1_3repE0EEENS1_30default_config_static_selectorELNS0_4arch9wavefront6targetE0EEEvT1_,"axG",@progbits,_ZN7rocprim17ROCPRIM_400000_NS6detail17trampoline_kernelINS0_14default_configENS1_25partition_config_selectorILNS1_17partition_subalgoE6ExNS0_10empty_typeEbEEZZNS1_14partition_implILS5_6ELb0ES3_mN6thrust23THRUST_200600_302600_NS6detail15normal_iteratorINSA_10device_ptrIxEEEEPS6_SG_NS0_5tupleIJSF_S6_EEENSH_IJSG_SG_EEES6_PlJNSB_9not_fun_tI7is_evenIxEEEEEE10hipError_tPvRmT3_T4_T5_T6_T7_T9_mT8_P12ihipStream_tbDpT10_ENKUlT_T0_E_clISt17integral_constantIbLb0EES18_EEDaS13_S14_EUlS13_E_NS1_11comp_targetILNS1_3genE3ELNS1_11target_archE908ELNS1_3gpuE7ELNS1_3repE0EEENS1_30default_config_static_selectorELNS0_4arch9wavefront6targetE0EEEvT1_,comdat
	.protected	_ZN7rocprim17ROCPRIM_400000_NS6detail17trampoline_kernelINS0_14default_configENS1_25partition_config_selectorILNS1_17partition_subalgoE6ExNS0_10empty_typeEbEEZZNS1_14partition_implILS5_6ELb0ES3_mN6thrust23THRUST_200600_302600_NS6detail15normal_iteratorINSA_10device_ptrIxEEEEPS6_SG_NS0_5tupleIJSF_S6_EEENSH_IJSG_SG_EEES6_PlJNSB_9not_fun_tI7is_evenIxEEEEEE10hipError_tPvRmT3_T4_T5_T6_T7_T9_mT8_P12ihipStream_tbDpT10_ENKUlT_T0_E_clISt17integral_constantIbLb0EES18_EEDaS13_S14_EUlS13_E_NS1_11comp_targetILNS1_3genE3ELNS1_11target_archE908ELNS1_3gpuE7ELNS1_3repE0EEENS1_30default_config_static_selectorELNS0_4arch9wavefront6targetE0EEEvT1_ ; -- Begin function _ZN7rocprim17ROCPRIM_400000_NS6detail17trampoline_kernelINS0_14default_configENS1_25partition_config_selectorILNS1_17partition_subalgoE6ExNS0_10empty_typeEbEEZZNS1_14partition_implILS5_6ELb0ES3_mN6thrust23THRUST_200600_302600_NS6detail15normal_iteratorINSA_10device_ptrIxEEEEPS6_SG_NS0_5tupleIJSF_S6_EEENSH_IJSG_SG_EEES6_PlJNSB_9not_fun_tI7is_evenIxEEEEEE10hipError_tPvRmT3_T4_T5_T6_T7_T9_mT8_P12ihipStream_tbDpT10_ENKUlT_T0_E_clISt17integral_constantIbLb0EES18_EEDaS13_S14_EUlS13_E_NS1_11comp_targetILNS1_3genE3ELNS1_11target_archE908ELNS1_3gpuE7ELNS1_3repE0EEENS1_30default_config_static_selectorELNS0_4arch9wavefront6targetE0EEEvT1_
	.globl	_ZN7rocprim17ROCPRIM_400000_NS6detail17trampoline_kernelINS0_14default_configENS1_25partition_config_selectorILNS1_17partition_subalgoE6ExNS0_10empty_typeEbEEZZNS1_14partition_implILS5_6ELb0ES3_mN6thrust23THRUST_200600_302600_NS6detail15normal_iteratorINSA_10device_ptrIxEEEEPS6_SG_NS0_5tupleIJSF_S6_EEENSH_IJSG_SG_EEES6_PlJNSB_9not_fun_tI7is_evenIxEEEEEE10hipError_tPvRmT3_T4_T5_T6_T7_T9_mT8_P12ihipStream_tbDpT10_ENKUlT_T0_E_clISt17integral_constantIbLb0EES18_EEDaS13_S14_EUlS13_E_NS1_11comp_targetILNS1_3genE3ELNS1_11target_archE908ELNS1_3gpuE7ELNS1_3repE0EEENS1_30default_config_static_selectorELNS0_4arch9wavefront6targetE0EEEvT1_
	.p2align	8
	.type	_ZN7rocprim17ROCPRIM_400000_NS6detail17trampoline_kernelINS0_14default_configENS1_25partition_config_selectorILNS1_17partition_subalgoE6ExNS0_10empty_typeEbEEZZNS1_14partition_implILS5_6ELb0ES3_mN6thrust23THRUST_200600_302600_NS6detail15normal_iteratorINSA_10device_ptrIxEEEEPS6_SG_NS0_5tupleIJSF_S6_EEENSH_IJSG_SG_EEES6_PlJNSB_9not_fun_tI7is_evenIxEEEEEE10hipError_tPvRmT3_T4_T5_T6_T7_T9_mT8_P12ihipStream_tbDpT10_ENKUlT_T0_E_clISt17integral_constantIbLb0EES18_EEDaS13_S14_EUlS13_E_NS1_11comp_targetILNS1_3genE3ELNS1_11target_archE908ELNS1_3gpuE7ELNS1_3repE0EEENS1_30default_config_static_selectorELNS0_4arch9wavefront6targetE0EEEvT1_,@function
_ZN7rocprim17ROCPRIM_400000_NS6detail17trampoline_kernelINS0_14default_configENS1_25partition_config_selectorILNS1_17partition_subalgoE6ExNS0_10empty_typeEbEEZZNS1_14partition_implILS5_6ELb0ES3_mN6thrust23THRUST_200600_302600_NS6detail15normal_iteratorINSA_10device_ptrIxEEEEPS6_SG_NS0_5tupleIJSF_S6_EEENSH_IJSG_SG_EEES6_PlJNSB_9not_fun_tI7is_evenIxEEEEEE10hipError_tPvRmT3_T4_T5_T6_T7_T9_mT8_P12ihipStream_tbDpT10_ENKUlT_T0_E_clISt17integral_constantIbLb0EES18_EEDaS13_S14_EUlS13_E_NS1_11comp_targetILNS1_3genE3ELNS1_11target_archE908ELNS1_3gpuE7ELNS1_3repE0EEENS1_30default_config_static_selectorELNS0_4arch9wavefront6targetE0EEEvT1_: ; @_ZN7rocprim17ROCPRIM_400000_NS6detail17trampoline_kernelINS0_14default_configENS1_25partition_config_selectorILNS1_17partition_subalgoE6ExNS0_10empty_typeEbEEZZNS1_14partition_implILS5_6ELb0ES3_mN6thrust23THRUST_200600_302600_NS6detail15normal_iteratorINSA_10device_ptrIxEEEEPS6_SG_NS0_5tupleIJSF_S6_EEENSH_IJSG_SG_EEES6_PlJNSB_9not_fun_tI7is_evenIxEEEEEE10hipError_tPvRmT3_T4_T5_T6_T7_T9_mT8_P12ihipStream_tbDpT10_ENKUlT_T0_E_clISt17integral_constantIbLb0EES18_EEDaS13_S14_EUlS13_E_NS1_11comp_targetILNS1_3genE3ELNS1_11target_archE908ELNS1_3gpuE7ELNS1_3repE0EEENS1_30default_config_static_selectorELNS0_4arch9wavefront6targetE0EEEvT1_
; %bb.0:
	.section	.rodata,"a",@progbits
	.p2align	6, 0x0
	.amdhsa_kernel _ZN7rocprim17ROCPRIM_400000_NS6detail17trampoline_kernelINS0_14default_configENS1_25partition_config_selectorILNS1_17partition_subalgoE6ExNS0_10empty_typeEbEEZZNS1_14partition_implILS5_6ELb0ES3_mN6thrust23THRUST_200600_302600_NS6detail15normal_iteratorINSA_10device_ptrIxEEEEPS6_SG_NS0_5tupleIJSF_S6_EEENSH_IJSG_SG_EEES6_PlJNSB_9not_fun_tI7is_evenIxEEEEEE10hipError_tPvRmT3_T4_T5_T6_T7_T9_mT8_P12ihipStream_tbDpT10_ENKUlT_T0_E_clISt17integral_constantIbLb0EES18_EEDaS13_S14_EUlS13_E_NS1_11comp_targetILNS1_3genE3ELNS1_11target_archE908ELNS1_3gpuE7ELNS1_3repE0EEENS1_30default_config_static_selectorELNS0_4arch9wavefront6targetE0EEEvT1_
		.amdhsa_group_segment_fixed_size 0
		.amdhsa_private_segment_fixed_size 0
		.amdhsa_kernarg_size 112
		.amdhsa_user_sgpr_count 2
		.amdhsa_user_sgpr_dispatch_ptr 0
		.amdhsa_user_sgpr_queue_ptr 0
		.amdhsa_user_sgpr_kernarg_segment_ptr 1
		.amdhsa_user_sgpr_dispatch_id 0
		.amdhsa_user_sgpr_private_segment_size 0
		.amdhsa_wavefront_size32 1
		.amdhsa_uses_dynamic_stack 0
		.amdhsa_enable_private_segment 0
		.amdhsa_system_sgpr_workgroup_id_x 1
		.amdhsa_system_sgpr_workgroup_id_y 0
		.amdhsa_system_sgpr_workgroup_id_z 0
		.amdhsa_system_sgpr_workgroup_info 0
		.amdhsa_system_vgpr_workitem_id 0
		.amdhsa_next_free_vgpr 1
		.amdhsa_next_free_sgpr 1
		.amdhsa_reserve_vcc 0
		.amdhsa_float_round_mode_32 0
		.amdhsa_float_round_mode_16_64 0
		.amdhsa_float_denorm_mode_32 3
		.amdhsa_float_denorm_mode_16_64 3
		.amdhsa_fp16_overflow 0
		.amdhsa_workgroup_processor_mode 1
		.amdhsa_memory_ordered 1
		.amdhsa_forward_progress 1
		.amdhsa_inst_pref_size 0
		.amdhsa_round_robin_scheduling 0
		.amdhsa_exception_fp_ieee_invalid_op 0
		.amdhsa_exception_fp_denorm_src 0
		.amdhsa_exception_fp_ieee_div_zero 0
		.amdhsa_exception_fp_ieee_overflow 0
		.amdhsa_exception_fp_ieee_underflow 0
		.amdhsa_exception_fp_ieee_inexact 0
		.amdhsa_exception_int_div_zero 0
	.end_amdhsa_kernel
	.section	.text._ZN7rocprim17ROCPRIM_400000_NS6detail17trampoline_kernelINS0_14default_configENS1_25partition_config_selectorILNS1_17partition_subalgoE6ExNS0_10empty_typeEbEEZZNS1_14partition_implILS5_6ELb0ES3_mN6thrust23THRUST_200600_302600_NS6detail15normal_iteratorINSA_10device_ptrIxEEEEPS6_SG_NS0_5tupleIJSF_S6_EEENSH_IJSG_SG_EEES6_PlJNSB_9not_fun_tI7is_evenIxEEEEEE10hipError_tPvRmT3_T4_T5_T6_T7_T9_mT8_P12ihipStream_tbDpT10_ENKUlT_T0_E_clISt17integral_constantIbLb0EES18_EEDaS13_S14_EUlS13_E_NS1_11comp_targetILNS1_3genE3ELNS1_11target_archE908ELNS1_3gpuE7ELNS1_3repE0EEENS1_30default_config_static_selectorELNS0_4arch9wavefront6targetE0EEEvT1_,"axG",@progbits,_ZN7rocprim17ROCPRIM_400000_NS6detail17trampoline_kernelINS0_14default_configENS1_25partition_config_selectorILNS1_17partition_subalgoE6ExNS0_10empty_typeEbEEZZNS1_14partition_implILS5_6ELb0ES3_mN6thrust23THRUST_200600_302600_NS6detail15normal_iteratorINSA_10device_ptrIxEEEEPS6_SG_NS0_5tupleIJSF_S6_EEENSH_IJSG_SG_EEES6_PlJNSB_9not_fun_tI7is_evenIxEEEEEE10hipError_tPvRmT3_T4_T5_T6_T7_T9_mT8_P12ihipStream_tbDpT10_ENKUlT_T0_E_clISt17integral_constantIbLb0EES18_EEDaS13_S14_EUlS13_E_NS1_11comp_targetILNS1_3genE3ELNS1_11target_archE908ELNS1_3gpuE7ELNS1_3repE0EEENS1_30default_config_static_selectorELNS0_4arch9wavefront6targetE0EEEvT1_,comdat
.Lfunc_end696:
	.size	_ZN7rocprim17ROCPRIM_400000_NS6detail17trampoline_kernelINS0_14default_configENS1_25partition_config_selectorILNS1_17partition_subalgoE6ExNS0_10empty_typeEbEEZZNS1_14partition_implILS5_6ELb0ES3_mN6thrust23THRUST_200600_302600_NS6detail15normal_iteratorINSA_10device_ptrIxEEEEPS6_SG_NS0_5tupleIJSF_S6_EEENSH_IJSG_SG_EEES6_PlJNSB_9not_fun_tI7is_evenIxEEEEEE10hipError_tPvRmT3_T4_T5_T6_T7_T9_mT8_P12ihipStream_tbDpT10_ENKUlT_T0_E_clISt17integral_constantIbLb0EES18_EEDaS13_S14_EUlS13_E_NS1_11comp_targetILNS1_3genE3ELNS1_11target_archE908ELNS1_3gpuE7ELNS1_3repE0EEENS1_30default_config_static_selectorELNS0_4arch9wavefront6targetE0EEEvT1_, .Lfunc_end696-_ZN7rocprim17ROCPRIM_400000_NS6detail17trampoline_kernelINS0_14default_configENS1_25partition_config_selectorILNS1_17partition_subalgoE6ExNS0_10empty_typeEbEEZZNS1_14partition_implILS5_6ELb0ES3_mN6thrust23THRUST_200600_302600_NS6detail15normal_iteratorINSA_10device_ptrIxEEEEPS6_SG_NS0_5tupleIJSF_S6_EEENSH_IJSG_SG_EEES6_PlJNSB_9not_fun_tI7is_evenIxEEEEEE10hipError_tPvRmT3_T4_T5_T6_T7_T9_mT8_P12ihipStream_tbDpT10_ENKUlT_T0_E_clISt17integral_constantIbLb0EES18_EEDaS13_S14_EUlS13_E_NS1_11comp_targetILNS1_3genE3ELNS1_11target_archE908ELNS1_3gpuE7ELNS1_3repE0EEENS1_30default_config_static_selectorELNS0_4arch9wavefront6targetE0EEEvT1_
                                        ; -- End function
	.set _ZN7rocprim17ROCPRIM_400000_NS6detail17trampoline_kernelINS0_14default_configENS1_25partition_config_selectorILNS1_17partition_subalgoE6ExNS0_10empty_typeEbEEZZNS1_14partition_implILS5_6ELb0ES3_mN6thrust23THRUST_200600_302600_NS6detail15normal_iteratorINSA_10device_ptrIxEEEEPS6_SG_NS0_5tupleIJSF_S6_EEENSH_IJSG_SG_EEES6_PlJNSB_9not_fun_tI7is_evenIxEEEEEE10hipError_tPvRmT3_T4_T5_T6_T7_T9_mT8_P12ihipStream_tbDpT10_ENKUlT_T0_E_clISt17integral_constantIbLb0EES18_EEDaS13_S14_EUlS13_E_NS1_11comp_targetILNS1_3genE3ELNS1_11target_archE908ELNS1_3gpuE7ELNS1_3repE0EEENS1_30default_config_static_selectorELNS0_4arch9wavefront6targetE0EEEvT1_.num_vgpr, 0
	.set _ZN7rocprim17ROCPRIM_400000_NS6detail17trampoline_kernelINS0_14default_configENS1_25partition_config_selectorILNS1_17partition_subalgoE6ExNS0_10empty_typeEbEEZZNS1_14partition_implILS5_6ELb0ES3_mN6thrust23THRUST_200600_302600_NS6detail15normal_iteratorINSA_10device_ptrIxEEEEPS6_SG_NS0_5tupleIJSF_S6_EEENSH_IJSG_SG_EEES6_PlJNSB_9not_fun_tI7is_evenIxEEEEEE10hipError_tPvRmT3_T4_T5_T6_T7_T9_mT8_P12ihipStream_tbDpT10_ENKUlT_T0_E_clISt17integral_constantIbLb0EES18_EEDaS13_S14_EUlS13_E_NS1_11comp_targetILNS1_3genE3ELNS1_11target_archE908ELNS1_3gpuE7ELNS1_3repE0EEENS1_30default_config_static_selectorELNS0_4arch9wavefront6targetE0EEEvT1_.num_agpr, 0
	.set _ZN7rocprim17ROCPRIM_400000_NS6detail17trampoline_kernelINS0_14default_configENS1_25partition_config_selectorILNS1_17partition_subalgoE6ExNS0_10empty_typeEbEEZZNS1_14partition_implILS5_6ELb0ES3_mN6thrust23THRUST_200600_302600_NS6detail15normal_iteratorINSA_10device_ptrIxEEEEPS6_SG_NS0_5tupleIJSF_S6_EEENSH_IJSG_SG_EEES6_PlJNSB_9not_fun_tI7is_evenIxEEEEEE10hipError_tPvRmT3_T4_T5_T6_T7_T9_mT8_P12ihipStream_tbDpT10_ENKUlT_T0_E_clISt17integral_constantIbLb0EES18_EEDaS13_S14_EUlS13_E_NS1_11comp_targetILNS1_3genE3ELNS1_11target_archE908ELNS1_3gpuE7ELNS1_3repE0EEENS1_30default_config_static_selectorELNS0_4arch9wavefront6targetE0EEEvT1_.numbered_sgpr, 0
	.set _ZN7rocprim17ROCPRIM_400000_NS6detail17trampoline_kernelINS0_14default_configENS1_25partition_config_selectorILNS1_17partition_subalgoE6ExNS0_10empty_typeEbEEZZNS1_14partition_implILS5_6ELb0ES3_mN6thrust23THRUST_200600_302600_NS6detail15normal_iteratorINSA_10device_ptrIxEEEEPS6_SG_NS0_5tupleIJSF_S6_EEENSH_IJSG_SG_EEES6_PlJNSB_9not_fun_tI7is_evenIxEEEEEE10hipError_tPvRmT3_T4_T5_T6_T7_T9_mT8_P12ihipStream_tbDpT10_ENKUlT_T0_E_clISt17integral_constantIbLb0EES18_EEDaS13_S14_EUlS13_E_NS1_11comp_targetILNS1_3genE3ELNS1_11target_archE908ELNS1_3gpuE7ELNS1_3repE0EEENS1_30default_config_static_selectorELNS0_4arch9wavefront6targetE0EEEvT1_.num_named_barrier, 0
	.set _ZN7rocprim17ROCPRIM_400000_NS6detail17trampoline_kernelINS0_14default_configENS1_25partition_config_selectorILNS1_17partition_subalgoE6ExNS0_10empty_typeEbEEZZNS1_14partition_implILS5_6ELb0ES3_mN6thrust23THRUST_200600_302600_NS6detail15normal_iteratorINSA_10device_ptrIxEEEEPS6_SG_NS0_5tupleIJSF_S6_EEENSH_IJSG_SG_EEES6_PlJNSB_9not_fun_tI7is_evenIxEEEEEE10hipError_tPvRmT3_T4_T5_T6_T7_T9_mT8_P12ihipStream_tbDpT10_ENKUlT_T0_E_clISt17integral_constantIbLb0EES18_EEDaS13_S14_EUlS13_E_NS1_11comp_targetILNS1_3genE3ELNS1_11target_archE908ELNS1_3gpuE7ELNS1_3repE0EEENS1_30default_config_static_selectorELNS0_4arch9wavefront6targetE0EEEvT1_.private_seg_size, 0
	.set _ZN7rocprim17ROCPRIM_400000_NS6detail17trampoline_kernelINS0_14default_configENS1_25partition_config_selectorILNS1_17partition_subalgoE6ExNS0_10empty_typeEbEEZZNS1_14partition_implILS5_6ELb0ES3_mN6thrust23THRUST_200600_302600_NS6detail15normal_iteratorINSA_10device_ptrIxEEEEPS6_SG_NS0_5tupleIJSF_S6_EEENSH_IJSG_SG_EEES6_PlJNSB_9not_fun_tI7is_evenIxEEEEEE10hipError_tPvRmT3_T4_T5_T6_T7_T9_mT8_P12ihipStream_tbDpT10_ENKUlT_T0_E_clISt17integral_constantIbLb0EES18_EEDaS13_S14_EUlS13_E_NS1_11comp_targetILNS1_3genE3ELNS1_11target_archE908ELNS1_3gpuE7ELNS1_3repE0EEENS1_30default_config_static_selectorELNS0_4arch9wavefront6targetE0EEEvT1_.uses_vcc, 0
	.set _ZN7rocprim17ROCPRIM_400000_NS6detail17trampoline_kernelINS0_14default_configENS1_25partition_config_selectorILNS1_17partition_subalgoE6ExNS0_10empty_typeEbEEZZNS1_14partition_implILS5_6ELb0ES3_mN6thrust23THRUST_200600_302600_NS6detail15normal_iteratorINSA_10device_ptrIxEEEEPS6_SG_NS0_5tupleIJSF_S6_EEENSH_IJSG_SG_EEES6_PlJNSB_9not_fun_tI7is_evenIxEEEEEE10hipError_tPvRmT3_T4_T5_T6_T7_T9_mT8_P12ihipStream_tbDpT10_ENKUlT_T0_E_clISt17integral_constantIbLb0EES18_EEDaS13_S14_EUlS13_E_NS1_11comp_targetILNS1_3genE3ELNS1_11target_archE908ELNS1_3gpuE7ELNS1_3repE0EEENS1_30default_config_static_selectorELNS0_4arch9wavefront6targetE0EEEvT1_.uses_flat_scratch, 0
	.set _ZN7rocprim17ROCPRIM_400000_NS6detail17trampoline_kernelINS0_14default_configENS1_25partition_config_selectorILNS1_17partition_subalgoE6ExNS0_10empty_typeEbEEZZNS1_14partition_implILS5_6ELb0ES3_mN6thrust23THRUST_200600_302600_NS6detail15normal_iteratorINSA_10device_ptrIxEEEEPS6_SG_NS0_5tupleIJSF_S6_EEENSH_IJSG_SG_EEES6_PlJNSB_9not_fun_tI7is_evenIxEEEEEE10hipError_tPvRmT3_T4_T5_T6_T7_T9_mT8_P12ihipStream_tbDpT10_ENKUlT_T0_E_clISt17integral_constantIbLb0EES18_EEDaS13_S14_EUlS13_E_NS1_11comp_targetILNS1_3genE3ELNS1_11target_archE908ELNS1_3gpuE7ELNS1_3repE0EEENS1_30default_config_static_selectorELNS0_4arch9wavefront6targetE0EEEvT1_.has_dyn_sized_stack, 0
	.set _ZN7rocprim17ROCPRIM_400000_NS6detail17trampoline_kernelINS0_14default_configENS1_25partition_config_selectorILNS1_17partition_subalgoE6ExNS0_10empty_typeEbEEZZNS1_14partition_implILS5_6ELb0ES3_mN6thrust23THRUST_200600_302600_NS6detail15normal_iteratorINSA_10device_ptrIxEEEEPS6_SG_NS0_5tupleIJSF_S6_EEENSH_IJSG_SG_EEES6_PlJNSB_9not_fun_tI7is_evenIxEEEEEE10hipError_tPvRmT3_T4_T5_T6_T7_T9_mT8_P12ihipStream_tbDpT10_ENKUlT_T0_E_clISt17integral_constantIbLb0EES18_EEDaS13_S14_EUlS13_E_NS1_11comp_targetILNS1_3genE3ELNS1_11target_archE908ELNS1_3gpuE7ELNS1_3repE0EEENS1_30default_config_static_selectorELNS0_4arch9wavefront6targetE0EEEvT1_.has_recursion, 0
	.set _ZN7rocprim17ROCPRIM_400000_NS6detail17trampoline_kernelINS0_14default_configENS1_25partition_config_selectorILNS1_17partition_subalgoE6ExNS0_10empty_typeEbEEZZNS1_14partition_implILS5_6ELb0ES3_mN6thrust23THRUST_200600_302600_NS6detail15normal_iteratorINSA_10device_ptrIxEEEEPS6_SG_NS0_5tupleIJSF_S6_EEENSH_IJSG_SG_EEES6_PlJNSB_9not_fun_tI7is_evenIxEEEEEE10hipError_tPvRmT3_T4_T5_T6_T7_T9_mT8_P12ihipStream_tbDpT10_ENKUlT_T0_E_clISt17integral_constantIbLb0EES18_EEDaS13_S14_EUlS13_E_NS1_11comp_targetILNS1_3genE3ELNS1_11target_archE908ELNS1_3gpuE7ELNS1_3repE0EEENS1_30default_config_static_selectorELNS0_4arch9wavefront6targetE0EEEvT1_.has_indirect_call, 0
	.section	.AMDGPU.csdata,"",@progbits
; Kernel info:
; codeLenInByte = 0
; TotalNumSgprs: 0
; NumVgprs: 0
; ScratchSize: 0
; MemoryBound: 0
; FloatMode: 240
; IeeeMode: 1
; LDSByteSize: 0 bytes/workgroup (compile time only)
; SGPRBlocks: 0
; VGPRBlocks: 0
; NumSGPRsForWavesPerEU: 1
; NumVGPRsForWavesPerEU: 1
; Occupancy: 16
; WaveLimiterHint : 0
; COMPUTE_PGM_RSRC2:SCRATCH_EN: 0
; COMPUTE_PGM_RSRC2:USER_SGPR: 2
; COMPUTE_PGM_RSRC2:TRAP_HANDLER: 0
; COMPUTE_PGM_RSRC2:TGID_X_EN: 1
; COMPUTE_PGM_RSRC2:TGID_Y_EN: 0
; COMPUTE_PGM_RSRC2:TGID_Z_EN: 0
; COMPUTE_PGM_RSRC2:TIDIG_COMP_CNT: 0
	.section	.text._ZN7rocprim17ROCPRIM_400000_NS6detail17trampoline_kernelINS0_14default_configENS1_25partition_config_selectorILNS1_17partition_subalgoE6ExNS0_10empty_typeEbEEZZNS1_14partition_implILS5_6ELb0ES3_mN6thrust23THRUST_200600_302600_NS6detail15normal_iteratorINSA_10device_ptrIxEEEEPS6_SG_NS0_5tupleIJSF_S6_EEENSH_IJSG_SG_EEES6_PlJNSB_9not_fun_tI7is_evenIxEEEEEE10hipError_tPvRmT3_T4_T5_T6_T7_T9_mT8_P12ihipStream_tbDpT10_ENKUlT_T0_E_clISt17integral_constantIbLb0EES18_EEDaS13_S14_EUlS13_E_NS1_11comp_targetILNS1_3genE2ELNS1_11target_archE906ELNS1_3gpuE6ELNS1_3repE0EEENS1_30default_config_static_selectorELNS0_4arch9wavefront6targetE0EEEvT1_,"axG",@progbits,_ZN7rocprim17ROCPRIM_400000_NS6detail17trampoline_kernelINS0_14default_configENS1_25partition_config_selectorILNS1_17partition_subalgoE6ExNS0_10empty_typeEbEEZZNS1_14partition_implILS5_6ELb0ES3_mN6thrust23THRUST_200600_302600_NS6detail15normal_iteratorINSA_10device_ptrIxEEEEPS6_SG_NS0_5tupleIJSF_S6_EEENSH_IJSG_SG_EEES6_PlJNSB_9not_fun_tI7is_evenIxEEEEEE10hipError_tPvRmT3_T4_T5_T6_T7_T9_mT8_P12ihipStream_tbDpT10_ENKUlT_T0_E_clISt17integral_constantIbLb0EES18_EEDaS13_S14_EUlS13_E_NS1_11comp_targetILNS1_3genE2ELNS1_11target_archE906ELNS1_3gpuE6ELNS1_3repE0EEENS1_30default_config_static_selectorELNS0_4arch9wavefront6targetE0EEEvT1_,comdat
	.protected	_ZN7rocprim17ROCPRIM_400000_NS6detail17trampoline_kernelINS0_14default_configENS1_25partition_config_selectorILNS1_17partition_subalgoE6ExNS0_10empty_typeEbEEZZNS1_14partition_implILS5_6ELb0ES3_mN6thrust23THRUST_200600_302600_NS6detail15normal_iteratorINSA_10device_ptrIxEEEEPS6_SG_NS0_5tupleIJSF_S6_EEENSH_IJSG_SG_EEES6_PlJNSB_9not_fun_tI7is_evenIxEEEEEE10hipError_tPvRmT3_T4_T5_T6_T7_T9_mT8_P12ihipStream_tbDpT10_ENKUlT_T0_E_clISt17integral_constantIbLb0EES18_EEDaS13_S14_EUlS13_E_NS1_11comp_targetILNS1_3genE2ELNS1_11target_archE906ELNS1_3gpuE6ELNS1_3repE0EEENS1_30default_config_static_selectorELNS0_4arch9wavefront6targetE0EEEvT1_ ; -- Begin function _ZN7rocprim17ROCPRIM_400000_NS6detail17trampoline_kernelINS0_14default_configENS1_25partition_config_selectorILNS1_17partition_subalgoE6ExNS0_10empty_typeEbEEZZNS1_14partition_implILS5_6ELb0ES3_mN6thrust23THRUST_200600_302600_NS6detail15normal_iteratorINSA_10device_ptrIxEEEEPS6_SG_NS0_5tupleIJSF_S6_EEENSH_IJSG_SG_EEES6_PlJNSB_9not_fun_tI7is_evenIxEEEEEE10hipError_tPvRmT3_T4_T5_T6_T7_T9_mT8_P12ihipStream_tbDpT10_ENKUlT_T0_E_clISt17integral_constantIbLb0EES18_EEDaS13_S14_EUlS13_E_NS1_11comp_targetILNS1_3genE2ELNS1_11target_archE906ELNS1_3gpuE6ELNS1_3repE0EEENS1_30default_config_static_selectorELNS0_4arch9wavefront6targetE0EEEvT1_
	.globl	_ZN7rocprim17ROCPRIM_400000_NS6detail17trampoline_kernelINS0_14default_configENS1_25partition_config_selectorILNS1_17partition_subalgoE6ExNS0_10empty_typeEbEEZZNS1_14partition_implILS5_6ELb0ES3_mN6thrust23THRUST_200600_302600_NS6detail15normal_iteratorINSA_10device_ptrIxEEEEPS6_SG_NS0_5tupleIJSF_S6_EEENSH_IJSG_SG_EEES6_PlJNSB_9not_fun_tI7is_evenIxEEEEEE10hipError_tPvRmT3_T4_T5_T6_T7_T9_mT8_P12ihipStream_tbDpT10_ENKUlT_T0_E_clISt17integral_constantIbLb0EES18_EEDaS13_S14_EUlS13_E_NS1_11comp_targetILNS1_3genE2ELNS1_11target_archE906ELNS1_3gpuE6ELNS1_3repE0EEENS1_30default_config_static_selectorELNS0_4arch9wavefront6targetE0EEEvT1_
	.p2align	8
	.type	_ZN7rocprim17ROCPRIM_400000_NS6detail17trampoline_kernelINS0_14default_configENS1_25partition_config_selectorILNS1_17partition_subalgoE6ExNS0_10empty_typeEbEEZZNS1_14partition_implILS5_6ELb0ES3_mN6thrust23THRUST_200600_302600_NS6detail15normal_iteratorINSA_10device_ptrIxEEEEPS6_SG_NS0_5tupleIJSF_S6_EEENSH_IJSG_SG_EEES6_PlJNSB_9not_fun_tI7is_evenIxEEEEEE10hipError_tPvRmT3_T4_T5_T6_T7_T9_mT8_P12ihipStream_tbDpT10_ENKUlT_T0_E_clISt17integral_constantIbLb0EES18_EEDaS13_S14_EUlS13_E_NS1_11comp_targetILNS1_3genE2ELNS1_11target_archE906ELNS1_3gpuE6ELNS1_3repE0EEENS1_30default_config_static_selectorELNS0_4arch9wavefront6targetE0EEEvT1_,@function
_ZN7rocprim17ROCPRIM_400000_NS6detail17trampoline_kernelINS0_14default_configENS1_25partition_config_selectorILNS1_17partition_subalgoE6ExNS0_10empty_typeEbEEZZNS1_14partition_implILS5_6ELb0ES3_mN6thrust23THRUST_200600_302600_NS6detail15normal_iteratorINSA_10device_ptrIxEEEEPS6_SG_NS0_5tupleIJSF_S6_EEENSH_IJSG_SG_EEES6_PlJNSB_9not_fun_tI7is_evenIxEEEEEE10hipError_tPvRmT3_T4_T5_T6_T7_T9_mT8_P12ihipStream_tbDpT10_ENKUlT_T0_E_clISt17integral_constantIbLb0EES18_EEDaS13_S14_EUlS13_E_NS1_11comp_targetILNS1_3genE2ELNS1_11target_archE906ELNS1_3gpuE6ELNS1_3repE0EEENS1_30default_config_static_selectorELNS0_4arch9wavefront6targetE0EEEvT1_: ; @_ZN7rocprim17ROCPRIM_400000_NS6detail17trampoline_kernelINS0_14default_configENS1_25partition_config_selectorILNS1_17partition_subalgoE6ExNS0_10empty_typeEbEEZZNS1_14partition_implILS5_6ELb0ES3_mN6thrust23THRUST_200600_302600_NS6detail15normal_iteratorINSA_10device_ptrIxEEEEPS6_SG_NS0_5tupleIJSF_S6_EEENSH_IJSG_SG_EEES6_PlJNSB_9not_fun_tI7is_evenIxEEEEEE10hipError_tPvRmT3_T4_T5_T6_T7_T9_mT8_P12ihipStream_tbDpT10_ENKUlT_T0_E_clISt17integral_constantIbLb0EES18_EEDaS13_S14_EUlS13_E_NS1_11comp_targetILNS1_3genE2ELNS1_11target_archE906ELNS1_3gpuE6ELNS1_3repE0EEENS1_30default_config_static_selectorELNS0_4arch9wavefront6targetE0EEEvT1_
; %bb.0:
	.section	.rodata,"a",@progbits
	.p2align	6, 0x0
	.amdhsa_kernel _ZN7rocprim17ROCPRIM_400000_NS6detail17trampoline_kernelINS0_14default_configENS1_25partition_config_selectorILNS1_17partition_subalgoE6ExNS0_10empty_typeEbEEZZNS1_14partition_implILS5_6ELb0ES3_mN6thrust23THRUST_200600_302600_NS6detail15normal_iteratorINSA_10device_ptrIxEEEEPS6_SG_NS0_5tupleIJSF_S6_EEENSH_IJSG_SG_EEES6_PlJNSB_9not_fun_tI7is_evenIxEEEEEE10hipError_tPvRmT3_T4_T5_T6_T7_T9_mT8_P12ihipStream_tbDpT10_ENKUlT_T0_E_clISt17integral_constantIbLb0EES18_EEDaS13_S14_EUlS13_E_NS1_11comp_targetILNS1_3genE2ELNS1_11target_archE906ELNS1_3gpuE6ELNS1_3repE0EEENS1_30default_config_static_selectorELNS0_4arch9wavefront6targetE0EEEvT1_
		.amdhsa_group_segment_fixed_size 0
		.amdhsa_private_segment_fixed_size 0
		.amdhsa_kernarg_size 112
		.amdhsa_user_sgpr_count 2
		.amdhsa_user_sgpr_dispatch_ptr 0
		.amdhsa_user_sgpr_queue_ptr 0
		.amdhsa_user_sgpr_kernarg_segment_ptr 1
		.amdhsa_user_sgpr_dispatch_id 0
		.amdhsa_user_sgpr_private_segment_size 0
		.amdhsa_wavefront_size32 1
		.amdhsa_uses_dynamic_stack 0
		.amdhsa_enable_private_segment 0
		.amdhsa_system_sgpr_workgroup_id_x 1
		.amdhsa_system_sgpr_workgroup_id_y 0
		.amdhsa_system_sgpr_workgroup_id_z 0
		.amdhsa_system_sgpr_workgroup_info 0
		.amdhsa_system_vgpr_workitem_id 0
		.amdhsa_next_free_vgpr 1
		.amdhsa_next_free_sgpr 1
		.amdhsa_reserve_vcc 0
		.amdhsa_float_round_mode_32 0
		.amdhsa_float_round_mode_16_64 0
		.amdhsa_float_denorm_mode_32 3
		.amdhsa_float_denorm_mode_16_64 3
		.amdhsa_fp16_overflow 0
		.amdhsa_workgroup_processor_mode 1
		.amdhsa_memory_ordered 1
		.amdhsa_forward_progress 1
		.amdhsa_inst_pref_size 0
		.amdhsa_round_robin_scheduling 0
		.amdhsa_exception_fp_ieee_invalid_op 0
		.amdhsa_exception_fp_denorm_src 0
		.amdhsa_exception_fp_ieee_div_zero 0
		.amdhsa_exception_fp_ieee_overflow 0
		.amdhsa_exception_fp_ieee_underflow 0
		.amdhsa_exception_fp_ieee_inexact 0
		.amdhsa_exception_int_div_zero 0
	.end_amdhsa_kernel
	.section	.text._ZN7rocprim17ROCPRIM_400000_NS6detail17trampoline_kernelINS0_14default_configENS1_25partition_config_selectorILNS1_17partition_subalgoE6ExNS0_10empty_typeEbEEZZNS1_14partition_implILS5_6ELb0ES3_mN6thrust23THRUST_200600_302600_NS6detail15normal_iteratorINSA_10device_ptrIxEEEEPS6_SG_NS0_5tupleIJSF_S6_EEENSH_IJSG_SG_EEES6_PlJNSB_9not_fun_tI7is_evenIxEEEEEE10hipError_tPvRmT3_T4_T5_T6_T7_T9_mT8_P12ihipStream_tbDpT10_ENKUlT_T0_E_clISt17integral_constantIbLb0EES18_EEDaS13_S14_EUlS13_E_NS1_11comp_targetILNS1_3genE2ELNS1_11target_archE906ELNS1_3gpuE6ELNS1_3repE0EEENS1_30default_config_static_selectorELNS0_4arch9wavefront6targetE0EEEvT1_,"axG",@progbits,_ZN7rocprim17ROCPRIM_400000_NS6detail17trampoline_kernelINS0_14default_configENS1_25partition_config_selectorILNS1_17partition_subalgoE6ExNS0_10empty_typeEbEEZZNS1_14partition_implILS5_6ELb0ES3_mN6thrust23THRUST_200600_302600_NS6detail15normal_iteratorINSA_10device_ptrIxEEEEPS6_SG_NS0_5tupleIJSF_S6_EEENSH_IJSG_SG_EEES6_PlJNSB_9not_fun_tI7is_evenIxEEEEEE10hipError_tPvRmT3_T4_T5_T6_T7_T9_mT8_P12ihipStream_tbDpT10_ENKUlT_T0_E_clISt17integral_constantIbLb0EES18_EEDaS13_S14_EUlS13_E_NS1_11comp_targetILNS1_3genE2ELNS1_11target_archE906ELNS1_3gpuE6ELNS1_3repE0EEENS1_30default_config_static_selectorELNS0_4arch9wavefront6targetE0EEEvT1_,comdat
.Lfunc_end697:
	.size	_ZN7rocprim17ROCPRIM_400000_NS6detail17trampoline_kernelINS0_14default_configENS1_25partition_config_selectorILNS1_17partition_subalgoE6ExNS0_10empty_typeEbEEZZNS1_14partition_implILS5_6ELb0ES3_mN6thrust23THRUST_200600_302600_NS6detail15normal_iteratorINSA_10device_ptrIxEEEEPS6_SG_NS0_5tupleIJSF_S6_EEENSH_IJSG_SG_EEES6_PlJNSB_9not_fun_tI7is_evenIxEEEEEE10hipError_tPvRmT3_T4_T5_T6_T7_T9_mT8_P12ihipStream_tbDpT10_ENKUlT_T0_E_clISt17integral_constantIbLb0EES18_EEDaS13_S14_EUlS13_E_NS1_11comp_targetILNS1_3genE2ELNS1_11target_archE906ELNS1_3gpuE6ELNS1_3repE0EEENS1_30default_config_static_selectorELNS0_4arch9wavefront6targetE0EEEvT1_, .Lfunc_end697-_ZN7rocprim17ROCPRIM_400000_NS6detail17trampoline_kernelINS0_14default_configENS1_25partition_config_selectorILNS1_17partition_subalgoE6ExNS0_10empty_typeEbEEZZNS1_14partition_implILS5_6ELb0ES3_mN6thrust23THRUST_200600_302600_NS6detail15normal_iteratorINSA_10device_ptrIxEEEEPS6_SG_NS0_5tupleIJSF_S6_EEENSH_IJSG_SG_EEES6_PlJNSB_9not_fun_tI7is_evenIxEEEEEE10hipError_tPvRmT3_T4_T5_T6_T7_T9_mT8_P12ihipStream_tbDpT10_ENKUlT_T0_E_clISt17integral_constantIbLb0EES18_EEDaS13_S14_EUlS13_E_NS1_11comp_targetILNS1_3genE2ELNS1_11target_archE906ELNS1_3gpuE6ELNS1_3repE0EEENS1_30default_config_static_selectorELNS0_4arch9wavefront6targetE0EEEvT1_
                                        ; -- End function
	.set _ZN7rocprim17ROCPRIM_400000_NS6detail17trampoline_kernelINS0_14default_configENS1_25partition_config_selectorILNS1_17partition_subalgoE6ExNS0_10empty_typeEbEEZZNS1_14partition_implILS5_6ELb0ES3_mN6thrust23THRUST_200600_302600_NS6detail15normal_iteratorINSA_10device_ptrIxEEEEPS6_SG_NS0_5tupleIJSF_S6_EEENSH_IJSG_SG_EEES6_PlJNSB_9not_fun_tI7is_evenIxEEEEEE10hipError_tPvRmT3_T4_T5_T6_T7_T9_mT8_P12ihipStream_tbDpT10_ENKUlT_T0_E_clISt17integral_constantIbLb0EES18_EEDaS13_S14_EUlS13_E_NS1_11comp_targetILNS1_3genE2ELNS1_11target_archE906ELNS1_3gpuE6ELNS1_3repE0EEENS1_30default_config_static_selectorELNS0_4arch9wavefront6targetE0EEEvT1_.num_vgpr, 0
	.set _ZN7rocprim17ROCPRIM_400000_NS6detail17trampoline_kernelINS0_14default_configENS1_25partition_config_selectorILNS1_17partition_subalgoE6ExNS0_10empty_typeEbEEZZNS1_14partition_implILS5_6ELb0ES3_mN6thrust23THRUST_200600_302600_NS6detail15normal_iteratorINSA_10device_ptrIxEEEEPS6_SG_NS0_5tupleIJSF_S6_EEENSH_IJSG_SG_EEES6_PlJNSB_9not_fun_tI7is_evenIxEEEEEE10hipError_tPvRmT3_T4_T5_T6_T7_T9_mT8_P12ihipStream_tbDpT10_ENKUlT_T0_E_clISt17integral_constantIbLb0EES18_EEDaS13_S14_EUlS13_E_NS1_11comp_targetILNS1_3genE2ELNS1_11target_archE906ELNS1_3gpuE6ELNS1_3repE0EEENS1_30default_config_static_selectorELNS0_4arch9wavefront6targetE0EEEvT1_.num_agpr, 0
	.set _ZN7rocprim17ROCPRIM_400000_NS6detail17trampoline_kernelINS0_14default_configENS1_25partition_config_selectorILNS1_17partition_subalgoE6ExNS0_10empty_typeEbEEZZNS1_14partition_implILS5_6ELb0ES3_mN6thrust23THRUST_200600_302600_NS6detail15normal_iteratorINSA_10device_ptrIxEEEEPS6_SG_NS0_5tupleIJSF_S6_EEENSH_IJSG_SG_EEES6_PlJNSB_9not_fun_tI7is_evenIxEEEEEE10hipError_tPvRmT3_T4_T5_T6_T7_T9_mT8_P12ihipStream_tbDpT10_ENKUlT_T0_E_clISt17integral_constantIbLb0EES18_EEDaS13_S14_EUlS13_E_NS1_11comp_targetILNS1_3genE2ELNS1_11target_archE906ELNS1_3gpuE6ELNS1_3repE0EEENS1_30default_config_static_selectorELNS0_4arch9wavefront6targetE0EEEvT1_.numbered_sgpr, 0
	.set _ZN7rocprim17ROCPRIM_400000_NS6detail17trampoline_kernelINS0_14default_configENS1_25partition_config_selectorILNS1_17partition_subalgoE6ExNS0_10empty_typeEbEEZZNS1_14partition_implILS5_6ELb0ES3_mN6thrust23THRUST_200600_302600_NS6detail15normal_iteratorINSA_10device_ptrIxEEEEPS6_SG_NS0_5tupleIJSF_S6_EEENSH_IJSG_SG_EEES6_PlJNSB_9not_fun_tI7is_evenIxEEEEEE10hipError_tPvRmT3_T4_T5_T6_T7_T9_mT8_P12ihipStream_tbDpT10_ENKUlT_T0_E_clISt17integral_constantIbLb0EES18_EEDaS13_S14_EUlS13_E_NS1_11comp_targetILNS1_3genE2ELNS1_11target_archE906ELNS1_3gpuE6ELNS1_3repE0EEENS1_30default_config_static_selectorELNS0_4arch9wavefront6targetE0EEEvT1_.num_named_barrier, 0
	.set _ZN7rocprim17ROCPRIM_400000_NS6detail17trampoline_kernelINS0_14default_configENS1_25partition_config_selectorILNS1_17partition_subalgoE6ExNS0_10empty_typeEbEEZZNS1_14partition_implILS5_6ELb0ES3_mN6thrust23THRUST_200600_302600_NS6detail15normal_iteratorINSA_10device_ptrIxEEEEPS6_SG_NS0_5tupleIJSF_S6_EEENSH_IJSG_SG_EEES6_PlJNSB_9not_fun_tI7is_evenIxEEEEEE10hipError_tPvRmT3_T4_T5_T6_T7_T9_mT8_P12ihipStream_tbDpT10_ENKUlT_T0_E_clISt17integral_constantIbLb0EES18_EEDaS13_S14_EUlS13_E_NS1_11comp_targetILNS1_3genE2ELNS1_11target_archE906ELNS1_3gpuE6ELNS1_3repE0EEENS1_30default_config_static_selectorELNS0_4arch9wavefront6targetE0EEEvT1_.private_seg_size, 0
	.set _ZN7rocprim17ROCPRIM_400000_NS6detail17trampoline_kernelINS0_14default_configENS1_25partition_config_selectorILNS1_17partition_subalgoE6ExNS0_10empty_typeEbEEZZNS1_14partition_implILS5_6ELb0ES3_mN6thrust23THRUST_200600_302600_NS6detail15normal_iteratorINSA_10device_ptrIxEEEEPS6_SG_NS0_5tupleIJSF_S6_EEENSH_IJSG_SG_EEES6_PlJNSB_9not_fun_tI7is_evenIxEEEEEE10hipError_tPvRmT3_T4_T5_T6_T7_T9_mT8_P12ihipStream_tbDpT10_ENKUlT_T0_E_clISt17integral_constantIbLb0EES18_EEDaS13_S14_EUlS13_E_NS1_11comp_targetILNS1_3genE2ELNS1_11target_archE906ELNS1_3gpuE6ELNS1_3repE0EEENS1_30default_config_static_selectorELNS0_4arch9wavefront6targetE0EEEvT1_.uses_vcc, 0
	.set _ZN7rocprim17ROCPRIM_400000_NS6detail17trampoline_kernelINS0_14default_configENS1_25partition_config_selectorILNS1_17partition_subalgoE6ExNS0_10empty_typeEbEEZZNS1_14partition_implILS5_6ELb0ES3_mN6thrust23THRUST_200600_302600_NS6detail15normal_iteratorINSA_10device_ptrIxEEEEPS6_SG_NS0_5tupleIJSF_S6_EEENSH_IJSG_SG_EEES6_PlJNSB_9not_fun_tI7is_evenIxEEEEEE10hipError_tPvRmT3_T4_T5_T6_T7_T9_mT8_P12ihipStream_tbDpT10_ENKUlT_T0_E_clISt17integral_constantIbLb0EES18_EEDaS13_S14_EUlS13_E_NS1_11comp_targetILNS1_3genE2ELNS1_11target_archE906ELNS1_3gpuE6ELNS1_3repE0EEENS1_30default_config_static_selectorELNS0_4arch9wavefront6targetE0EEEvT1_.uses_flat_scratch, 0
	.set _ZN7rocprim17ROCPRIM_400000_NS6detail17trampoline_kernelINS0_14default_configENS1_25partition_config_selectorILNS1_17partition_subalgoE6ExNS0_10empty_typeEbEEZZNS1_14partition_implILS5_6ELb0ES3_mN6thrust23THRUST_200600_302600_NS6detail15normal_iteratorINSA_10device_ptrIxEEEEPS6_SG_NS0_5tupleIJSF_S6_EEENSH_IJSG_SG_EEES6_PlJNSB_9not_fun_tI7is_evenIxEEEEEE10hipError_tPvRmT3_T4_T5_T6_T7_T9_mT8_P12ihipStream_tbDpT10_ENKUlT_T0_E_clISt17integral_constantIbLb0EES18_EEDaS13_S14_EUlS13_E_NS1_11comp_targetILNS1_3genE2ELNS1_11target_archE906ELNS1_3gpuE6ELNS1_3repE0EEENS1_30default_config_static_selectorELNS0_4arch9wavefront6targetE0EEEvT1_.has_dyn_sized_stack, 0
	.set _ZN7rocprim17ROCPRIM_400000_NS6detail17trampoline_kernelINS0_14default_configENS1_25partition_config_selectorILNS1_17partition_subalgoE6ExNS0_10empty_typeEbEEZZNS1_14partition_implILS5_6ELb0ES3_mN6thrust23THRUST_200600_302600_NS6detail15normal_iteratorINSA_10device_ptrIxEEEEPS6_SG_NS0_5tupleIJSF_S6_EEENSH_IJSG_SG_EEES6_PlJNSB_9not_fun_tI7is_evenIxEEEEEE10hipError_tPvRmT3_T4_T5_T6_T7_T9_mT8_P12ihipStream_tbDpT10_ENKUlT_T0_E_clISt17integral_constantIbLb0EES18_EEDaS13_S14_EUlS13_E_NS1_11comp_targetILNS1_3genE2ELNS1_11target_archE906ELNS1_3gpuE6ELNS1_3repE0EEENS1_30default_config_static_selectorELNS0_4arch9wavefront6targetE0EEEvT1_.has_recursion, 0
	.set _ZN7rocprim17ROCPRIM_400000_NS6detail17trampoline_kernelINS0_14default_configENS1_25partition_config_selectorILNS1_17partition_subalgoE6ExNS0_10empty_typeEbEEZZNS1_14partition_implILS5_6ELb0ES3_mN6thrust23THRUST_200600_302600_NS6detail15normal_iteratorINSA_10device_ptrIxEEEEPS6_SG_NS0_5tupleIJSF_S6_EEENSH_IJSG_SG_EEES6_PlJNSB_9not_fun_tI7is_evenIxEEEEEE10hipError_tPvRmT3_T4_T5_T6_T7_T9_mT8_P12ihipStream_tbDpT10_ENKUlT_T0_E_clISt17integral_constantIbLb0EES18_EEDaS13_S14_EUlS13_E_NS1_11comp_targetILNS1_3genE2ELNS1_11target_archE906ELNS1_3gpuE6ELNS1_3repE0EEENS1_30default_config_static_selectorELNS0_4arch9wavefront6targetE0EEEvT1_.has_indirect_call, 0
	.section	.AMDGPU.csdata,"",@progbits
; Kernel info:
; codeLenInByte = 0
; TotalNumSgprs: 0
; NumVgprs: 0
; ScratchSize: 0
; MemoryBound: 0
; FloatMode: 240
; IeeeMode: 1
; LDSByteSize: 0 bytes/workgroup (compile time only)
; SGPRBlocks: 0
; VGPRBlocks: 0
; NumSGPRsForWavesPerEU: 1
; NumVGPRsForWavesPerEU: 1
; Occupancy: 16
; WaveLimiterHint : 0
; COMPUTE_PGM_RSRC2:SCRATCH_EN: 0
; COMPUTE_PGM_RSRC2:USER_SGPR: 2
; COMPUTE_PGM_RSRC2:TRAP_HANDLER: 0
; COMPUTE_PGM_RSRC2:TGID_X_EN: 1
; COMPUTE_PGM_RSRC2:TGID_Y_EN: 0
; COMPUTE_PGM_RSRC2:TGID_Z_EN: 0
; COMPUTE_PGM_RSRC2:TIDIG_COMP_CNT: 0
	.section	.text._ZN7rocprim17ROCPRIM_400000_NS6detail17trampoline_kernelINS0_14default_configENS1_25partition_config_selectorILNS1_17partition_subalgoE6ExNS0_10empty_typeEbEEZZNS1_14partition_implILS5_6ELb0ES3_mN6thrust23THRUST_200600_302600_NS6detail15normal_iteratorINSA_10device_ptrIxEEEEPS6_SG_NS0_5tupleIJSF_S6_EEENSH_IJSG_SG_EEES6_PlJNSB_9not_fun_tI7is_evenIxEEEEEE10hipError_tPvRmT3_T4_T5_T6_T7_T9_mT8_P12ihipStream_tbDpT10_ENKUlT_T0_E_clISt17integral_constantIbLb0EES18_EEDaS13_S14_EUlS13_E_NS1_11comp_targetILNS1_3genE10ELNS1_11target_archE1200ELNS1_3gpuE4ELNS1_3repE0EEENS1_30default_config_static_selectorELNS0_4arch9wavefront6targetE0EEEvT1_,"axG",@progbits,_ZN7rocprim17ROCPRIM_400000_NS6detail17trampoline_kernelINS0_14default_configENS1_25partition_config_selectorILNS1_17partition_subalgoE6ExNS0_10empty_typeEbEEZZNS1_14partition_implILS5_6ELb0ES3_mN6thrust23THRUST_200600_302600_NS6detail15normal_iteratorINSA_10device_ptrIxEEEEPS6_SG_NS0_5tupleIJSF_S6_EEENSH_IJSG_SG_EEES6_PlJNSB_9not_fun_tI7is_evenIxEEEEEE10hipError_tPvRmT3_T4_T5_T6_T7_T9_mT8_P12ihipStream_tbDpT10_ENKUlT_T0_E_clISt17integral_constantIbLb0EES18_EEDaS13_S14_EUlS13_E_NS1_11comp_targetILNS1_3genE10ELNS1_11target_archE1200ELNS1_3gpuE4ELNS1_3repE0EEENS1_30default_config_static_selectorELNS0_4arch9wavefront6targetE0EEEvT1_,comdat
	.protected	_ZN7rocprim17ROCPRIM_400000_NS6detail17trampoline_kernelINS0_14default_configENS1_25partition_config_selectorILNS1_17partition_subalgoE6ExNS0_10empty_typeEbEEZZNS1_14partition_implILS5_6ELb0ES3_mN6thrust23THRUST_200600_302600_NS6detail15normal_iteratorINSA_10device_ptrIxEEEEPS6_SG_NS0_5tupleIJSF_S6_EEENSH_IJSG_SG_EEES6_PlJNSB_9not_fun_tI7is_evenIxEEEEEE10hipError_tPvRmT3_T4_T5_T6_T7_T9_mT8_P12ihipStream_tbDpT10_ENKUlT_T0_E_clISt17integral_constantIbLb0EES18_EEDaS13_S14_EUlS13_E_NS1_11comp_targetILNS1_3genE10ELNS1_11target_archE1200ELNS1_3gpuE4ELNS1_3repE0EEENS1_30default_config_static_selectorELNS0_4arch9wavefront6targetE0EEEvT1_ ; -- Begin function _ZN7rocprim17ROCPRIM_400000_NS6detail17trampoline_kernelINS0_14default_configENS1_25partition_config_selectorILNS1_17partition_subalgoE6ExNS0_10empty_typeEbEEZZNS1_14partition_implILS5_6ELb0ES3_mN6thrust23THRUST_200600_302600_NS6detail15normal_iteratorINSA_10device_ptrIxEEEEPS6_SG_NS0_5tupleIJSF_S6_EEENSH_IJSG_SG_EEES6_PlJNSB_9not_fun_tI7is_evenIxEEEEEE10hipError_tPvRmT3_T4_T5_T6_T7_T9_mT8_P12ihipStream_tbDpT10_ENKUlT_T0_E_clISt17integral_constantIbLb0EES18_EEDaS13_S14_EUlS13_E_NS1_11comp_targetILNS1_3genE10ELNS1_11target_archE1200ELNS1_3gpuE4ELNS1_3repE0EEENS1_30default_config_static_selectorELNS0_4arch9wavefront6targetE0EEEvT1_
	.globl	_ZN7rocprim17ROCPRIM_400000_NS6detail17trampoline_kernelINS0_14default_configENS1_25partition_config_selectorILNS1_17partition_subalgoE6ExNS0_10empty_typeEbEEZZNS1_14partition_implILS5_6ELb0ES3_mN6thrust23THRUST_200600_302600_NS6detail15normal_iteratorINSA_10device_ptrIxEEEEPS6_SG_NS0_5tupleIJSF_S6_EEENSH_IJSG_SG_EEES6_PlJNSB_9not_fun_tI7is_evenIxEEEEEE10hipError_tPvRmT3_T4_T5_T6_T7_T9_mT8_P12ihipStream_tbDpT10_ENKUlT_T0_E_clISt17integral_constantIbLb0EES18_EEDaS13_S14_EUlS13_E_NS1_11comp_targetILNS1_3genE10ELNS1_11target_archE1200ELNS1_3gpuE4ELNS1_3repE0EEENS1_30default_config_static_selectorELNS0_4arch9wavefront6targetE0EEEvT1_
	.p2align	8
	.type	_ZN7rocprim17ROCPRIM_400000_NS6detail17trampoline_kernelINS0_14default_configENS1_25partition_config_selectorILNS1_17partition_subalgoE6ExNS0_10empty_typeEbEEZZNS1_14partition_implILS5_6ELb0ES3_mN6thrust23THRUST_200600_302600_NS6detail15normal_iteratorINSA_10device_ptrIxEEEEPS6_SG_NS0_5tupleIJSF_S6_EEENSH_IJSG_SG_EEES6_PlJNSB_9not_fun_tI7is_evenIxEEEEEE10hipError_tPvRmT3_T4_T5_T6_T7_T9_mT8_P12ihipStream_tbDpT10_ENKUlT_T0_E_clISt17integral_constantIbLb0EES18_EEDaS13_S14_EUlS13_E_NS1_11comp_targetILNS1_3genE10ELNS1_11target_archE1200ELNS1_3gpuE4ELNS1_3repE0EEENS1_30default_config_static_selectorELNS0_4arch9wavefront6targetE0EEEvT1_,@function
_ZN7rocprim17ROCPRIM_400000_NS6detail17trampoline_kernelINS0_14default_configENS1_25partition_config_selectorILNS1_17partition_subalgoE6ExNS0_10empty_typeEbEEZZNS1_14partition_implILS5_6ELb0ES3_mN6thrust23THRUST_200600_302600_NS6detail15normal_iteratorINSA_10device_ptrIxEEEEPS6_SG_NS0_5tupleIJSF_S6_EEENSH_IJSG_SG_EEES6_PlJNSB_9not_fun_tI7is_evenIxEEEEEE10hipError_tPvRmT3_T4_T5_T6_T7_T9_mT8_P12ihipStream_tbDpT10_ENKUlT_T0_E_clISt17integral_constantIbLb0EES18_EEDaS13_S14_EUlS13_E_NS1_11comp_targetILNS1_3genE10ELNS1_11target_archE1200ELNS1_3gpuE4ELNS1_3repE0EEENS1_30default_config_static_selectorELNS0_4arch9wavefront6targetE0EEEvT1_: ; @_ZN7rocprim17ROCPRIM_400000_NS6detail17trampoline_kernelINS0_14default_configENS1_25partition_config_selectorILNS1_17partition_subalgoE6ExNS0_10empty_typeEbEEZZNS1_14partition_implILS5_6ELb0ES3_mN6thrust23THRUST_200600_302600_NS6detail15normal_iteratorINSA_10device_ptrIxEEEEPS6_SG_NS0_5tupleIJSF_S6_EEENSH_IJSG_SG_EEES6_PlJNSB_9not_fun_tI7is_evenIxEEEEEE10hipError_tPvRmT3_T4_T5_T6_T7_T9_mT8_P12ihipStream_tbDpT10_ENKUlT_T0_E_clISt17integral_constantIbLb0EES18_EEDaS13_S14_EUlS13_E_NS1_11comp_targetILNS1_3genE10ELNS1_11target_archE1200ELNS1_3gpuE4ELNS1_3repE0EEENS1_30default_config_static_selectorELNS0_4arch9wavefront6targetE0EEEvT1_
; %bb.0:
	s_clause 0x3
	s_load_b128 s[16:19], s[0:1], 0x8
	s_load_b128 s[8:11], s[0:1], 0x40
	s_load_b32 s3, s[0:1], 0x68
	s_load_b64 s[4:5], s[0:1], 0x50
	s_mov_b32 s13, 0
	s_lshl_b32 s2, ttmp9, 10
	v_lshrrev_b32_e32 v9, 2, v0
	v_or_b32_e32 v11, 0x200, v0
	v_or_b32_e32 v10, 0x300, v0
	s_mov_b32 s14, -1
	s_wait_kmcnt 0x0
	s_lshl_b64 s[20:21], s[18:19], 3
	s_load_b64 s[6:7], s[10:11], 0x0
	s_lshl_b32 s12, s3, 10
	s_add_co_i32 s3, s3, -1
	s_add_nc_u64 s[10:11], s[18:19], s[12:13]
	s_lshl_b32 s12, s3, 10
	v_cmp_le_u64_e64 s10, s[4:5], s[10:11]
	s_add_co_i32 s5, s18, s12
	s_cmp_eq_u32 ttmp9, s3
	s_mov_b32 s3, s13
	s_cselect_b32 s12, -1, 0
	s_lshl_b64 s[2:3], s[2:3], 3
	s_and_b32 s13, s12, s10
	s_add_nc_u64 s[10:11], s[16:17], s[20:21]
	s_xor_b32 s13, s13, -1
	s_wait_alu 0xfffe
	s_add_nc_u64 s[2:3], s[10:11], s[2:3]
	s_and_b32 vcc_lo, exec_lo, s13
	s_cbranch_vccz .LBB698_2
; %bb.1:
	v_lshlrev_b32_e32 v12, 3, v0
	v_or_b32_e32 v13, 0x100, v0
	v_lshrrev_b32_e32 v14, 2, v11
	v_lshrrev_b32_e32 v15, 2, v10
	v_and_b32_e32 v16, 56, v9
	v_add_co_u32 v1, s10, s2, v12
	s_wait_alu 0xf1ff
	v_add_co_ci_u32_e64 v2, null, s3, 0, s10
	v_lshrrev_b32_e32 v13, 2, v13
	v_and_b32_e32 v14, 0xb8, v14
	v_and_b32_e32 v15, 0xf8, v15
	s_clause 0x3
	flat_load_b64 v[3:4], v[1:2]
	flat_load_b64 v[5:6], v[1:2] offset:2048
	flat_load_b64 v[7:8], v[1:2] offset:4096
	;; [unrolled: 1-line block ×3, first 2 shown]
	v_add_nc_u32_e32 v16, v16, v12
	v_and_b32_e32 v13, 0x78, v13
	v_add_nc_u32_e32 v14, v14, v12
	s_mov_b32 s14, 0
	s_delay_alu instid0(VALU_DEP_2)
	v_add_nc_u32_e32 v13, v13, v12
	v_add_nc_u32_e32 v12, v15, v12
	s_wait_loadcnt_dscnt 0x303
	ds_store_b64 v16, v[3:4]
	s_wait_loadcnt_dscnt 0x203
	ds_store_b64 v13, v[5:6] offset:2048
	s_wait_loadcnt_dscnt 0x103
	ds_store_b64 v14, v[7:8] offset:4096
	;; [unrolled: 2-line block ×3, first 2 shown]
	s_wait_dscnt 0x0
	s_barrier_signal -1
	s_barrier_wait -1
.LBB698_2:
	s_and_not1_b32 vcc_lo, exec_lo, s14
	s_sub_co_i32 s4, s4, s5
	s_cbranch_vccnz .LBB698_10
; %bb.3:
	v_mov_b32_e32 v1, 0
	s_mov_b32 s5, exec_lo
	s_delay_alu instid0(VALU_DEP_1)
	v_dual_mov_b32 v2, v1 :: v_dual_mov_b32 v3, v1
	v_dual_mov_b32 v4, v1 :: v_dual_mov_b32 v5, v1
	;; [unrolled: 1-line block ×3, first 2 shown]
	v_mov_b32_e32 v8, v1
	s_wait_alu 0xfffe
	v_cmpx_gt_u32_e64 s4, v0
	s_cbranch_execz .LBB698_5
; %bb.4:
	v_dual_mov_b32 v15, v1 :: v_dual_lshlrev_b32 v2, 3, v0
	v_dual_mov_b32 v14, v1 :: v_dual_mov_b32 v17, v1
	v_dual_mov_b32 v16, v1 :: v_dual_mov_b32 v19, v1
	s_delay_alu instid0(VALU_DEP_3)
	v_add_co_u32 v2, s10, s2, v2
	s_wait_alu 0xf1ff
	v_add_co_ci_u32_e64 v3, null, s3, 0, s10
	v_mov_b32_e32 v18, v1
	flat_load_b64 v[12:13], v[2:3]
	s_wait_loadcnt_dscnt 0x0
	v_dual_mov_b32 v1, v12 :: v_dual_mov_b32 v2, v13
	v_dual_mov_b32 v3, v14 :: v_dual_mov_b32 v4, v15
	;; [unrolled: 1-line block ×4, first 2 shown]
.LBB698_5:
	s_or_b32 exec_lo, exec_lo, s5
	v_or_b32_e32 v12, 0x100, v0
	s_mov_b32 s5, exec_lo
	s_delay_alu instid0(VALU_DEP_1)
	v_cmpx_gt_u32_e64 s4, v12
	s_cbranch_execnz .LBB698_128
; %bb.6:
	s_wait_alu 0xfffe
	s_or_b32 exec_lo, exec_lo, s5
	s_delay_alu instid0(SALU_CYCLE_1)
	s_mov_b32 s5, exec_lo
	v_cmpx_gt_u32_e64 s4, v11
	s_cbranch_execnz .LBB698_129
.LBB698_7:
	s_wait_alu 0xfffe
	s_or_b32 exec_lo, exec_lo, s5
	s_delay_alu instid0(SALU_CYCLE_1)
	s_mov_b32 s5, exec_lo
	v_cmpx_gt_u32_e64 s4, v10
	s_cbranch_execz .LBB698_9
.LBB698_8:
	v_lshlrev_b32_e32 v7, 3, v0
	s_delay_alu instid0(VALU_DEP_1)
	v_add_co_u32 v7, s2, s2, v7
	s_wait_alu 0xf1ff
	v_add_co_ci_u32_e64 v8, null, s3, 0, s2
	flat_load_b64 v[7:8], v[7:8] offset:6144
.LBB698_9:
	s_wait_alu 0xfffe
	s_or_b32 exec_lo, exec_lo, s5
	v_lshrrev_b32_e32 v12, 2, v12
	v_lshrrev_b32_e32 v11, 2, v11
	;; [unrolled: 1-line block ×3, first 2 shown]
	v_and_b32_e32 v9, 56, v9
	v_lshlrev_b32_e32 v13, 3, v0
	v_and_b32_e32 v12, 0x78, v12
	v_and_b32_e32 v11, 0xf8, v11
	;; [unrolled: 1-line block ×3, first 2 shown]
	s_delay_alu instid0(VALU_DEP_4) | instskip(NEXT) | instid1(VALU_DEP_4)
	v_add_nc_u32_e32 v9, v9, v13
	v_add_nc_u32_e32 v12, v12, v13
	s_delay_alu instid0(VALU_DEP_4) | instskip(NEXT) | instid1(VALU_DEP_4)
	v_add_nc_u32_e32 v11, v11, v13
	v_add_nc_u32_e32 v10, v10, v13
	ds_store_b64 v9, v[1:2]
	s_wait_loadcnt_dscnt 0x1
	ds_store_b64 v12, v[3:4] offset:2048
	ds_store_b64 v11, v[5:6] offset:4096
	;; [unrolled: 1-line block ×3, first 2 shown]
	s_wait_dscnt 0x0
	s_barrier_signal -1
	s_barrier_wait -1
.LBB698_10:
	v_and_b32_e32 v1, 0xf8, v0
	global_inv scope:SCOPE_SE
	s_and_not1_b32 vcc_lo, exec_lo, s13
	v_lshl_add_u32 v1, v0, 5, v1
	ds_load_2addr_b64 v[5:8], v1 offset1:1
	ds_load_2addr_b64 v[1:4], v1 offset0:2 offset1:3
	s_wait_loadcnt_dscnt 0x0
	s_barrier_signal -1
	s_barrier_wait -1
	global_inv scope:SCOPE_SE
	s_cbranch_vccnz .LBB698_12
; %bb.11:
	v_and_b32_e32 v9, 1, v3
	v_and_b32_e32 v10, 1, v1
	;; [unrolled: 1-line block ×4, first 2 shown]
	s_delay_alu instid0(VALU_DEP_4) | instskip(NEXT) | instid1(VALU_DEP_1)
	v_lshlrev_b16 v9, 8, v9
	v_or_b32_e32 v26, v10, v9
	s_delay_alu instid0(VALU_DEP_4) | instskip(NEXT) | instid1(VALU_DEP_2)
	v_lshlrev_b16 v9, 8, v11
	v_lshlrev_b32_e32 v10, 16, v26
	s_delay_alu instid0(VALU_DEP_2) | instskip(SKIP_1) | instid1(VALU_DEP_3)
	v_and_b32_e32 v11, 0xffff, v9
	v_or_b32_e32 v28, v12, v9
	v_lshrrev_b32_e32 v25, 24, v10
	s_delay_alu instid0(VALU_DEP_3) | instskip(NEXT) | instid1(VALU_DEP_1)
	v_or_b32_e32 v11, v11, v10
	v_lshrrev_b32_e32 v27, 8, v11
	s_cbranch_execz .LBB698_13
	s_branch .LBB698_14
.LBB698_12:
                                        ; implicit-def: $vgpr28
                                        ; implicit-def: $vgpr27
                                        ; implicit-def: $vgpr26
                                        ; implicit-def: $vgpr25
.LBB698_13:
	v_lshlrev_b32_e32 v9, 2, v0
	s_delay_alu instid0(VALU_DEP_1)
	v_or_b32_e32 v10, 1, v9
	s_wait_alu 0xfffe
	v_cmp_gt_u32_e32 vcc_lo, s4, v9
	v_or_b32_e32 v11, 2, v9
	v_or_b32_e32 v9, 3, v9
	v_cndmask_b32_e64 v12, 0, 1, vcc_lo
	v_cmp_gt_u32_e32 vcc_lo, s4, v10
	s_delay_alu instid0(VALU_DEP_2) | instskip(SKIP_3) | instid1(VALU_DEP_2)
	v_and_b32_e32 v28, v12, v5
	s_wait_alu 0xfffd
	v_cndmask_b32_e64 v10, 0, 1, vcc_lo
	v_cmp_gt_u32_e32 vcc_lo, s4, v11
	v_and_b32_e32 v27, v10, v7
	s_wait_alu 0xfffd
	v_cndmask_b32_e64 v11, 0, 1, vcc_lo
	v_cmp_gt_u32_e32 vcc_lo, s4, v9
	s_delay_alu instid0(VALU_DEP_2) | instskip(SKIP_2) | instid1(VALU_DEP_1)
	v_and_b32_e32 v26, v11, v1
	s_wait_alu 0xfffd
	v_cndmask_b32_e64 v9, 0, 1, vcc_lo
	v_and_b32_e32 v25, v9, v3
.LBB698_14:
	s_load_b64 s[10:11], s[0:1], 0x60
	v_dual_mov_b32 v10, 0 :: v_dual_and_b32 v31, 0xff, v28
	v_and_b32_e32 v30, 0xff, v27
	v_and_b32_e32 v29, 0xff, v26
	v_mbcnt_lo_u32_b32 v32, -1, 0
	v_and_b32_e32 v9, 0xff, v25
	s_cmp_lg_u32 ttmp9, 0
	s_mov_b32 s3, -1
	v_add3_u32 v11, v30, v31, v29
	v_and_b32_e32 v33, 15, v32
	s_delay_alu instid0(VALU_DEP_2) | instskip(SKIP_2) | instid1(VALU_DEP_3)
	v_add_co_u32 v17, s2, v11, v9
	s_wait_alu 0xf1ff
	v_add_co_ci_u32_e64 v18, null, 0, 0, s2
	v_cmp_ne_u32_e64 s2, 0, v33
	s_cbranch_scc0 .LBB698_71
; %bb.15:
	v_mov_b32_e32 v11, v17
	v_mov_b32_dpp v9, v17 row_shr:1 row_mask:0xf bank_mask:0xf
	v_mov_b32_dpp v14, v10 row_shr:1 row_mask:0xf bank_mask:0xf
	v_dual_mov_b32 v13, v17 :: v_dual_mov_b32 v12, v18
	s_and_saveexec_b32 s3, s2
; %bb.16:
	s_delay_alu instid0(VALU_DEP_3) | instskip(SKIP_2) | instid1(VALU_DEP_2)
	v_add_co_u32 v13, vcc_lo, v17, v9
	s_wait_alu 0xfffd
	v_add_co_ci_u32_e64 v10, null, 0, v18, vcc_lo
	v_add_co_u32 v9, vcc_lo, 0, v13
	s_wait_alu 0xfffd
	s_delay_alu instid0(VALU_DEP_2) | instskip(NEXT) | instid1(VALU_DEP_1)
	v_add_co_ci_u32_e64 v10, null, v14, v10, vcc_lo
	v_dual_mov_b32 v12, v10 :: v_dual_mov_b32 v11, v9
; %bb.17:
	s_wait_alu 0xfffe
	s_or_b32 exec_lo, exec_lo, s3
	v_mov_b32_dpp v9, v13 row_shr:2 row_mask:0xf bank_mask:0xf
	v_mov_b32_dpp v14, v10 row_shr:2 row_mask:0xf bank_mask:0xf
	s_mov_b32 s3, exec_lo
	v_cmpx_lt_u32_e32 1, v33
; %bb.18:
	s_delay_alu instid0(VALU_DEP_3) | instskip(SKIP_2) | instid1(VALU_DEP_2)
	v_add_co_u32 v13, vcc_lo, v11, v9
	s_wait_alu 0xfffd
	v_add_co_ci_u32_e64 v10, null, 0, v12, vcc_lo
	v_add_co_u32 v9, vcc_lo, 0, v13
	s_wait_alu 0xfffd
	s_delay_alu instid0(VALU_DEP_2) | instskip(NEXT) | instid1(VALU_DEP_1)
	v_add_co_ci_u32_e64 v10, null, v14, v10, vcc_lo
	v_dual_mov_b32 v12, v10 :: v_dual_mov_b32 v11, v9
; %bb.19:
	s_wait_alu 0xfffe
	s_or_b32 exec_lo, exec_lo, s3
	v_mov_b32_dpp v9, v13 row_shr:4 row_mask:0xf bank_mask:0xf
	v_mov_b32_dpp v14, v10 row_shr:4 row_mask:0xf bank_mask:0xf
	s_mov_b32 s3, exec_lo
	v_cmpx_lt_u32_e32 3, v33
	;; [unrolled: 17-line block ×3, first 2 shown]
; %bb.22:
	s_delay_alu instid0(VALU_DEP_3) | instskip(SKIP_2) | instid1(VALU_DEP_2)
	v_add_co_u32 v13, vcc_lo, v11, v14
	s_wait_alu 0xfffd
	v_add_co_ci_u32_e64 v10, null, 0, v12, vcc_lo
	v_add_co_u32 v11, vcc_lo, 0, v13
	s_wait_alu 0xfffd
	s_delay_alu instid0(VALU_DEP_2) | instskip(NEXT) | instid1(VALU_DEP_1)
	v_add_co_ci_u32_e64 v12, null, v9, v10, vcc_lo
	v_mov_b32_e32 v10, v12
; %bb.23:
	s_wait_alu 0xfffe
	s_or_b32 exec_lo, exec_lo, s3
	ds_swizzle_b32 v9, v13 offset:swizzle(BROADCAST,32,15)
	ds_swizzle_b32 v14, v10 offset:swizzle(BROADCAST,32,15)
	v_and_b32_e32 v15, 16, v32
	s_mov_b32 s3, exec_lo
	s_delay_alu instid0(VALU_DEP_1)
	v_cmpx_ne_u32_e32 0, v15
	s_cbranch_execz .LBB698_25
; %bb.24:
	s_wait_dscnt 0x1
	v_add_co_u32 v13, vcc_lo, v11, v9
	s_wait_alu 0xfffd
	v_add_co_ci_u32_e64 v10, null, 0, v12, vcc_lo
	s_delay_alu instid0(VALU_DEP_2) | instskip(SKIP_2) | instid1(VALU_DEP_2)
	v_add_co_u32 v9, vcc_lo, 0, v13
	s_wait_dscnt 0x0
	s_wait_alu 0xfffd
	v_add_co_ci_u32_e64 v10, null, v14, v10, vcc_lo
	s_delay_alu instid0(VALU_DEP_1)
	v_dual_mov_b32 v12, v10 :: v_dual_mov_b32 v11, v9
.LBB698_25:
	s_wait_alu 0xfffe
	s_or_b32 exec_lo, exec_lo, s3
	s_wait_dscnt 0x0
	v_or_b32_e32 v14, 31, v0
	v_lshrrev_b32_e32 v9, 5, v0
	s_mov_b32 s3, exec_lo
	s_delay_alu instid0(VALU_DEP_2)
	v_cmpx_eq_u32_e64 v0, v14
; %bb.26:
	s_delay_alu instid0(VALU_DEP_2)
	v_lshlrev_b32_e32 v14, 3, v9
	ds_store_b64 v14, v[11:12]
; %bb.27:
	s_wait_alu 0xfffe
	s_or_b32 exec_lo, exec_lo, s3
	s_delay_alu instid0(SALU_CYCLE_1)
	s_mov_b32 s3, exec_lo
	s_wait_loadcnt_dscnt 0x0
	s_barrier_signal -1
	s_barrier_wait -1
	global_inv scope:SCOPE_SE
	v_cmpx_gt_u32_e32 8, v0
	s_cbranch_execz .LBB698_35
; %bb.28:
	v_lshlrev_b32_e32 v14, 3, v0
	s_mov_b32 s4, exec_lo
	ds_load_b64 v[11:12], v14
	s_wait_dscnt 0x0
	v_dual_mov_b32 v16, v11 :: v_dual_and_b32 v15, 7, v32
	v_mov_b32_dpp v20, v11 row_shr:1 row_mask:0xf bank_mask:0xf
	v_mov_b32_dpp v19, v12 row_shr:1 row_mask:0xf bank_mask:0xf
	s_delay_alu instid0(VALU_DEP_3)
	v_cmpx_ne_u32_e32 0, v15
; %bb.29:
	s_delay_alu instid0(VALU_DEP_3) | instskip(SKIP_2) | instid1(VALU_DEP_2)
	v_add_co_u32 v16, vcc_lo, v11, v20
	s_wait_alu 0xfffd
	v_add_co_ci_u32_e64 v12, null, 0, v12, vcc_lo
	v_add_co_u32 v11, vcc_lo, 0, v16
	s_wait_alu 0xfffd
	s_delay_alu instid0(VALU_DEP_2)
	v_add_co_ci_u32_e64 v12, null, v19, v12, vcc_lo
; %bb.30:
	s_wait_alu 0xfffe
	s_or_b32 exec_lo, exec_lo, s4
	v_mov_b32_dpp v20, v16 row_shr:2 row_mask:0xf bank_mask:0xf
	s_delay_alu instid0(VALU_DEP_2)
	v_mov_b32_dpp v19, v12 row_shr:2 row_mask:0xf bank_mask:0xf
	s_mov_b32 s4, exec_lo
	v_cmpx_lt_u32_e32 1, v15
; %bb.31:
	s_delay_alu instid0(VALU_DEP_3) | instskip(SKIP_2) | instid1(VALU_DEP_2)
	v_add_co_u32 v16, vcc_lo, v11, v20
	s_wait_alu 0xfffd
	v_add_co_ci_u32_e64 v12, null, 0, v12, vcc_lo
	v_add_co_u32 v11, vcc_lo, 0, v16
	s_wait_alu 0xfffd
	s_delay_alu instid0(VALU_DEP_2)
	v_add_co_ci_u32_e64 v12, null, v19, v12, vcc_lo
; %bb.32:
	s_wait_alu 0xfffe
	s_or_b32 exec_lo, exec_lo, s4
	v_mov_b32_dpp v19, v16 row_shr:4 row_mask:0xf bank_mask:0xf
	s_delay_alu instid0(VALU_DEP_2)
	v_mov_b32_dpp v16, v12 row_shr:4 row_mask:0xf bank_mask:0xf
	s_mov_b32 s4, exec_lo
	v_cmpx_lt_u32_e32 3, v15
; %bb.33:
	s_delay_alu instid0(VALU_DEP_3) | instskip(SKIP_2) | instid1(VALU_DEP_2)
	v_add_co_u32 v11, vcc_lo, v11, v19
	s_wait_alu 0xfffd
	v_add_co_ci_u32_e64 v12, null, 0, v12, vcc_lo
	v_add_co_u32 v11, vcc_lo, v11, 0
	s_wait_alu 0xfffd
	s_delay_alu instid0(VALU_DEP_2)
	v_add_co_ci_u32_e64 v12, null, v12, v16, vcc_lo
; %bb.34:
	s_wait_alu 0xfffe
	s_or_b32 exec_lo, exec_lo, s4
	ds_store_b64 v14, v[11:12]
.LBB698_35:
	s_wait_alu 0xfffe
	s_or_b32 exec_lo, exec_lo, s3
	s_delay_alu instid0(SALU_CYCLE_1)
	s_mov_b32 s4, exec_lo
	v_cmp_gt_u32_e32 vcc_lo, 32, v0
	s_wait_loadcnt_dscnt 0x0
	s_barrier_signal -1
	s_barrier_wait -1
	global_inv scope:SCOPE_SE
                                        ; implicit-def: $vgpr19_vgpr20
	v_cmpx_lt_u32_e32 31, v0
	s_cbranch_execz .LBB698_37
; %bb.36:
	v_lshl_add_u32 v9, v9, 3, -8
	ds_load_b64 v[19:20], v9
	s_wait_dscnt 0x0
	v_add_co_u32 v13, s3, v13, v19
	s_wait_alu 0xf1ff
	v_add_co_ci_u32_e64 v10, null, v10, v20, s3
.LBB698_37:
	s_wait_alu 0xfffe
	s_or_b32 exec_lo, exec_lo, s4
	v_sub_co_u32 v9, s3, v32, 1
	s_delay_alu instid0(VALU_DEP_1) | instskip(SKIP_1) | instid1(VALU_DEP_1)
	v_cmp_gt_i32_e64 s4, 0, v9
	s_wait_alu 0xf1ff
	v_cndmask_b32_e64 v9, v9, v32, s4
	s_delay_alu instid0(VALU_DEP_1)
	v_lshlrev_b32_e32 v9, 2, v9
	ds_bpermute_b32 v34, v9, v13
	ds_bpermute_b32 v35, v9, v10
	s_and_saveexec_b32 s4, vcc_lo
	s_cbranch_execz .LBB698_76
; %bb.38:
	v_mov_b32_e32 v12, 0
	ds_load_b64 v[9:10], v12 offset:56
	s_and_saveexec_b32 s5, s3
	s_cbranch_execz .LBB698_40
; %bb.39:
	s_add_co_i32 s14, ttmp9, 32
	s_mov_b32 s15, 0
	s_delay_alu instid0(SALU_CYCLE_1)
	s_lshl_b64 s[14:15], s[14:15], 4
	s_wait_kmcnt 0x0
	s_add_nc_u64 s[14:15], s[10:11], s[14:15]
	v_mov_b32_e32 v11, 1
	v_dual_mov_b32 v13, s14 :: v_dual_mov_b32 v14, s15
	s_wait_dscnt 0x0
	;;#ASMSTART
	global_store_b128 v[13:14], v[9:12] off scope:SCOPE_DEV	
s_wait_storecnt 0x0
	;;#ASMEND
.LBB698_40:
	s_wait_alu 0xfffe
	s_or_b32 exec_lo, exec_lo, s5
	v_xad_u32 v21, v32, -1, ttmp9
	s_mov_b32 s14, 0
	s_mov_b32 s5, exec_lo
	s_delay_alu instid0(VALU_DEP_1) | instskip(NEXT) | instid1(VALU_DEP_1)
	v_add_nc_u32_e32 v11, 32, v21
	v_lshlrev_b64_e32 v[11:12], 4, v[11:12]
	s_wait_kmcnt 0x0
	s_delay_alu instid0(VALU_DEP_1) | instskip(SKIP_1) | instid1(VALU_DEP_2)
	v_add_co_u32 v11, vcc_lo, s10, v11
	s_wait_alu 0xfffd
	v_add_co_ci_u32_e64 v12, null, s11, v12, vcc_lo
	;;#ASMSTART
	global_load_b128 v[13:16], v[11:12] off scope:SCOPE_DEV	
s_wait_loadcnt 0x0
	;;#ASMEND
	v_and_b32_e32 v16, 0xff, v15
	s_delay_alu instid0(VALU_DEP_1)
	v_cmpx_eq_u16_e32 0, v16
	s_cbranch_execz .LBB698_43
.LBB698_41:                             ; =>This Inner Loop Header: Depth=1
	;;#ASMSTART
	global_load_b128 v[13:16], v[11:12] off scope:SCOPE_DEV	
s_wait_loadcnt 0x0
	;;#ASMEND
	v_and_b32_e32 v16, 0xff, v15
	s_delay_alu instid0(VALU_DEP_1)
	v_cmp_ne_u16_e32 vcc_lo, 0, v16
	s_wait_alu 0xfffe
	s_or_b32 s14, vcc_lo, s14
	s_wait_alu 0xfffe
	s_and_not1_b32 exec_lo, exec_lo, s14
	s_cbranch_execnz .LBB698_41
; %bb.42:
	s_or_b32 exec_lo, exec_lo, s14
.LBB698_43:
	s_wait_alu 0xfffe
	s_or_b32 exec_lo, exec_lo, s5
	v_cmp_ne_u32_e32 vcc_lo, 31, v32
	v_and_b32_e32 v12, 0xff, v15
	v_lshlrev_b32_e64 v37, v32, -1
	s_mov_b32 s5, exec_lo
	s_wait_alu 0xfffd
	v_add_co_ci_u32_e64 v11, null, 0, v32, vcc_lo
	v_cmp_eq_u16_e32 vcc_lo, 2, v12
	v_mov_b32_e32 v12, v13
	s_delay_alu instid0(VALU_DEP_3)
	v_lshlrev_b32_e32 v36, 2, v11
	s_wait_alu 0xfffd
	v_and_or_b32 v11, vcc_lo, v37, 0x80000000
	ds_bpermute_b32 v22, v36, v13
	ds_bpermute_b32 v16, v36, v14
	v_ctz_i32_b32_e32 v11, v11
	s_delay_alu instid0(VALU_DEP_1)
	v_cmpx_lt_u32_e64 v32, v11
	s_cbranch_execz .LBB698_45
; %bb.44:
	s_wait_dscnt 0x1
	v_add_co_u32 v12, vcc_lo, v13, v22
	s_wait_alu 0xfffd
	v_add_co_ci_u32_e64 v14, null, 0, v14, vcc_lo
	s_delay_alu instid0(VALU_DEP_2) | instskip(SKIP_2) | instid1(VALU_DEP_2)
	v_add_co_u32 v13, vcc_lo, 0, v12
	s_wait_dscnt 0x0
	s_wait_alu 0xfffd
	v_add_co_ci_u32_e64 v14, null, v16, v14, vcc_lo
.LBB698_45:
	s_wait_alu 0xfffe
	s_or_b32 exec_lo, exec_lo, s5
	v_cmp_gt_u32_e32 vcc_lo, 30, v32
	v_add_nc_u32_e32 v39, 2, v32
	s_mov_b32 s5, exec_lo
	s_wait_dscnt 0x0
	s_wait_alu 0xfffd
	v_cndmask_b32_e64 v16, 0, 2, vcc_lo
	s_delay_alu instid0(VALU_DEP_1)
	v_add_lshl_u32 v38, v16, v32, 2
	ds_bpermute_b32 v22, v38, v12
	ds_bpermute_b32 v16, v38, v14
	v_cmpx_le_u32_e64 v39, v11
	s_cbranch_execz .LBB698_47
; %bb.46:
	s_wait_dscnt 0x1
	v_add_co_u32 v12, vcc_lo, v13, v22
	s_wait_alu 0xfffd
	v_add_co_ci_u32_e64 v14, null, 0, v14, vcc_lo
	s_delay_alu instid0(VALU_DEP_2) | instskip(SKIP_2) | instid1(VALU_DEP_2)
	v_add_co_u32 v13, vcc_lo, 0, v12
	s_wait_dscnt 0x0
	s_wait_alu 0xfffd
	v_add_co_ci_u32_e64 v14, null, v16, v14, vcc_lo
.LBB698_47:
	s_wait_alu 0xfffe
	s_or_b32 exec_lo, exec_lo, s5
	v_cmp_gt_u32_e32 vcc_lo, 28, v32
	v_add_nc_u32_e32 v41, 4, v32
	s_mov_b32 s5, exec_lo
	s_wait_dscnt 0x0
	s_wait_alu 0xfffd
	v_cndmask_b32_e64 v16, 0, 4, vcc_lo
	s_delay_alu instid0(VALU_DEP_1)
	v_add_lshl_u32 v40, v16, v32, 2
	ds_bpermute_b32 v22, v40, v12
	ds_bpermute_b32 v16, v40, v14
	v_cmpx_le_u32_e64 v41, v11
	;; [unrolled: 25-line block ×3, first 2 shown]
	s_cbranch_execz .LBB698_51
; %bb.50:
	s_wait_dscnt 0x1
	v_add_co_u32 v12, vcc_lo, v13, v22
	s_wait_alu 0xfffd
	v_add_co_ci_u32_e64 v14, null, 0, v14, vcc_lo
	s_delay_alu instid0(VALU_DEP_2) | instskip(SKIP_2) | instid1(VALU_DEP_2)
	v_add_co_u32 v13, vcc_lo, 0, v12
	s_wait_dscnt 0x0
	s_wait_alu 0xfffd
	v_add_co_ci_u32_e64 v14, null, v16, v14, vcc_lo
.LBB698_51:
	s_wait_alu 0xfffe
	s_or_b32 exec_lo, exec_lo, s5
	v_lshl_or_b32 v44, v32, 2, 64
	v_add_nc_u32_e32 v45, 16, v32
	s_mov_b32 s5, exec_lo
	s_wait_dscnt 0x0
	ds_bpermute_b32 v16, v44, v12
	ds_bpermute_b32 v12, v44, v14
	v_cmpx_le_u32_e64 v45, v11
	s_cbranch_execz .LBB698_53
; %bb.52:
	s_wait_dscnt 0x1
	v_add_co_u32 v11, vcc_lo, v13, v16
	s_wait_alu 0xfffd
	v_add_co_ci_u32_e64 v14, null, 0, v14, vcc_lo
	s_delay_alu instid0(VALU_DEP_2) | instskip(SKIP_2) | instid1(VALU_DEP_2)
	v_add_co_u32 v13, vcc_lo, v11, 0
	s_wait_dscnt 0x0
	s_wait_alu 0xfffd
	v_add_co_ci_u32_e64 v14, null, v14, v12, vcc_lo
.LBB698_53:
	s_wait_alu 0xfffe
	s_or_b32 exec_lo, exec_lo, s5
	v_mov_b32_e32 v22, 0
	s_branch .LBB698_56
.LBB698_54:                             ;   in Loop: Header=BB698_56 Depth=1
	s_wait_alu 0xfffe
	s_or_b32 exec_lo, exec_lo, s5
	v_add_co_u32 v13, vcc_lo, v13, v11
	v_subrev_nc_u32_e32 v21, 32, v21
	s_wait_alu 0xfffd
	v_add_co_ci_u32_e64 v14, null, v14, v12, vcc_lo
	s_mov_b32 s5, 0
.LBB698_55:                             ;   in Loop: Header=BB698_56 Depth=1
	s_wait_alu 0xfffe
	s_and_b32 vcc_lo, exec_lo, s5
	s_wait_alu 0xfffe
	s_cbranch_vccnz .LBB698_72
.LBB698_56:                             ; =>This Loop Header: Depth=1
                                        ;     Child Loop BB698_59 Depth 2
	v_and_b32_e32 v11, 0xff, v15
	s_mov_b32 s5, -1
	s_delay_alu instid0(VALU_DEP_1)
	v_cmp_ne_u16_e32 vcc_lo, 2, v11
	s_wait_dscnt 0x0
	v_dual_mov_b32 v11, v13 :: v_dual_mov_b32 v12, v14
                                        ; implicit-def: $vgpr13_vgpr14
	s_cmp_lg_u32 vcc_lo, exec_lo
	s_cbranch_scc1 .LBB698_55
; %bb.57:                               ;   in Loop: Header=BB698_56 Depth=1
	v_lshlrev_b64_e32 v[13:14], 4, v[21:22]
	s_mov_b32 s5, exec_lo
	s_delay_alu instid0(VALU_DEP_1) | instskip(SKIP_1) | instid1(VALU_DEP_2)
	v_add_co_u32 v23, vcc_lo, s10, v13
	s_wait_alu 0xfffd
	v_add_co_ci_u32_e64 v24, null, s11, v14, vcc_lo
	;;#ASMSTART
	global_load_b128 v[13:16], v[23:24] off scope:SCOPE_DEV	
s_wait_loadcnt 0x0
	;;#ASMEND
	v_and_b32_e32 v16, 0xff, v15
	s_delay_alu instid0(VALU_DEP_1)
	v_cmpx_eq_u16_e32 0, v16
	s_cbranch_execz .LBB698_61
; %bb.58:                               ;   in Loop: Header=BB698_56 Depth=1
	s_mov_b32 s14, 0
.LBB698_59:                             ;   Parent Loop BB698_56 Depth=1
                                        ; =>  This Inner Loop Header: Depth=2
	;;#ASMSTART
	global_load_b128 v[13:16], v[23:24] off scope:SCOPE_DEV	
s_wait_loadcnt 0x0
	;;#ASMEND
	v_and_b32_e32 v16, 0xff, v15
	s_delay_alu instid0(VALU_DEP_1)
	v_cmp_ne_u16_e32 vcc_lo, 0, v16
	s_wait_alu 0xfffe
	s_or_b32 s14, vcc_lo, s14
	s_wait_alu 0xfffe
	s_and_not1_b32 exec_lo, exec_lo, s14
	s_cbranch_execnz .LBB698_59
; %bb.60:                               ;   in Loop: Header=BB698_56 Depth=1
	s_or_b32 exec_lo, exec_lo, s14
.LBB698_61:                             ;   in Loop: Header=BB698_56 Depth=1
	s_wait_alu 0xfffe
	s_or_b32 exec_lo, exec_lo, s5
	v_dual_mov_b32 v23, v13 :: v_dual_and_b32 v16, 0xff, v15
	ds_bpermute_b32 v46, v36, v13
	ds_bpermute_b32 v24, v36, v14
	s_mov_b32 s5, exec_lo
	v_cmp_eq_u16_e32 vcc_lo, 2, v16
	s_wait_alu 0xfffd
	v_and_or_b32 v16, vcc_lo, v37, 0x80000000
	s_delay_alu instid0(VALU_DEP_1) | instskip(NEXT) | instid1(VALU_DEP_1)
	v_ctz_i32_b32_e32 v16, v16
	v_cmpx_lt_u32_e64 v32, v16
	s_cbranch_execz .LBB698_63
; %bb.62:                               ;   in Loop: Header=BB698_56 Depth=1
	s_wait_dscnt 0x1
	v_add_co_u32 v23, vcc_lo, v13, v46
	s_wait_alu 0xfffd
	v_add_co_ci_u32_e64 v14, null, 0, v14, vcc_lo
	s_delay_alu instid0(VALU_DEP_2) | instskip(SKIP_2) | instid1(VALU_DEP_2)
	v_add_co_u32 v13, vcc_lo, 0, v23
	s_wait_dscnt 0x0
	s_wait_alu 0xfffd
	v_add_co_ci_u32_e64 v14, null, v24, v14, vcc_lo
.LBB698_63:                             ;   in Loop: Header=BB698_56 Depth=1
	s_wait_alu 0xfffe
	s_or_b32 exec_lo, exec_lo, s5
	s_wait_dscnt 0x1
	ds_bpermute_b32 v46, v38, v23
	s_wait_dscnt 0x1
	ds_bpermute_b32 v24, v38, v14
	s_mov_b32 s5, exec_lo
	v_cmpx_le_u32_e64 v39, v16
	s_cbranch_execz .LBB698_65
; %bb.64:                               ;   in Loop: Header=BB698_56 Depth=1
	s_wait_dscnt 0x1
	v_add_co_u32 v23, vcc_lo, v13, v46
	s_wait_alu 0xfffd
	v_add_co_ci_u32_e64 v14, null, 0, v14, vcc_lo
	s_delay_alu instid0(VALU_DEP_2) | instskip(SKIP_2) | instid1(VALU_DEP_2)
	v_add_co_u32 v13, vcc_lo, 0, v23
	s_wait_dscnt 0x0
	s_wait_alu 0xfffd
	v_add_co_ci_u32_e64 v14, null, v24, v14, vcc_lo
.LBB698_65:                             ;   in Loop: Header=BB698_56 Depth=1
	s_wait_alu 0xfffe
	s_or_b32 exec_lo, exec_lo, s5
	s_wait_dscnt 0x1
	ds_bpermute_b32 v46, v40, v23
	s_wait_dscnt 0x1
	ds_bpermute_b32 v24, v40, v14
	s_mov_b32 s5, exec_lo
	v_cmpx_le_u32_e64 v41, v16
	;; [unrolled: 20-line block ×3, first 2 shown]
	s_cbranch_execz .LBB698_69
; %bb.68:                               ;   in Loop: Header=BB698_56 Depth=1
	s_wait_dscnt 0x1
	v_add_co_u32 v23, vcc_lo, v13, v46
	s_wait_alu 0xfffd
	v_add_co_ci_u32_e64 v14, null, 0, v14, vcc_lo
	s_delay_alu instid0(VALU_DEP_2) | instskip(SKIP_2) | instid1(VALU_DEP_2)
	v_add_co_u32 v13, vcc_lo, 0, v23
	s_wait_dscnt 0x0
	s_wait_alu 0xfffd
	v_add_co_ci_u32_e64 v14, null, v24, v14, vcc_lo
.LBB698_69:                             ;   in Loop: Header=BB698_56 Depth=1
	s_wait_alu 0xfffe
	s_or_b32 exec_lo, exec_lo, s5
	s_wait_dscnt 0x0
	ds_bpermute_b32 v24, v44, v23
	ds_bpermute_b32 v23, v44, v14
	s_mov_b32 s5, exec_lo
	v_cmpx_le_u32_e64 v45, v16
	s_cbranch_execz .LBB698_54
; %bb.70:                               ;   in Loop: Header=BB698_56 Depth=1
	s_wait_dscnt 0x1
	v_add_co_u32 v13, vcc_lo, v13, v24
	s_wait_alu 0xfffd
	v_add_co_ci_u32_e64 v14, null, 0, v14, vcc_lo
	s_delay_alu instid0(VALU_DEP_2) | instskip(SKIP_2) | instid1(VALU_DEP_2)
	v_add_co_u32 v13, vcc_lo, v13, 0
	s_wait_dscnt 0x0
	s_wait_alu 0xfffd
	v_add_co_ci_u32_e64 v14, null, v14, v23, vcc_lo
	s_branch .LBB698_54
.LBB698_71:
                                        ; implicit-def: $vgpr15_vgpr16
                                        ; implicit-def: $vgpr13_vgpr14
                                        ; implicit-def: $vgpr19_vgpr20
                                        ; implicit-def: $vgpr21_vgpr22
                                        ; implicit-def: $vgpr11_vgpr12
	s_wait_alu 0xfffe
	s_and_b32 vcc_lo, exec_lo, s3
	s_wait_alu 0xfffe
	s_cbranch_vccnz .LBB698_77
	s_branch .LBB698_102
.LBB698_72:
	s_and_saveexec_b32 s5, s3
	s_cbranch_execz .LBB698_74
; %bb.73:
	s_add_co_i32 s14, ttmp9, 32
	s_mov_b32 s15, 0
	v_add_co_u32 v13, vcc_lo, v11, v9
	s_wait_alu 0xfffe
	s_lshl_b64 s[14:15], s[14:15], 4
	v_dual_mov_b32 v15, 2 :: v_dual_mov_b32 v16, 0
	s_wait_alu 0xfffe
	s_add_nc_u64 s[14:15], s[10:11], s[14:15]
	s_wait_alu 0xfffd
	v_add_co_ci_u32_e64 v14, null, v12, v10, vcc_lo
	s_wait_alu 0xfffe
	v_dual_mov_b32 v22, s15 :: v_dual_mov_b32 v21, s14
	;;#ASMSTART
	global_store_b128 v[21:22], v[13:16] off scope:SCOPE_DEV	
s_wait_storecnt 0x0
	;;#ASMEND
	ds_store_b128 v16, v[9:12] offset:8448
.LBB698_74:
	s_wait_alu 0xfffe
	s_or_b32 exec_lo, exec_lo, s5
	v_cmp_eq_u32_e32 vcc_lo, 0, v0
	s_and_b32 exec_lo, exec_lo, vcc_lo
; %bb.75:
	v_mov_b32_e32 v9, 0
	ds_store_b64 v9, v[11:12] offset:56
.LBB698_76:
	s_wait_alu 0xfffe
	s_or_b32 exec_lo, exec_lo, s4
	s_wait_dscnt 0x1
	v_cndmask_b32_e64 v10, v34, v19, s3
	v_cmp_ne_u32_e32 vcc_lo, 0, v0
	v_mov_b32_e32 v9, 0
	s_wait_loadcnt_dscnt 0x0
	s_barrier_signal -1
	s_barrier_wait -1
	global_inv scope:SCOPE_SE
	s_wait_alu 0xfffd
	v_cndmask_b32_e32 v16, 0, v10, vcc_lo
	ds_load_b64 v[13:14], v9 offset:56
	v_cndmask_b32_e64 v11, v35, v20, s3
	s_wait_loadcnt_dscnt 0x0
	s_barrier_signal -1
	s_barrier_wait -1
	global_inv scope:SCOPE_SE
	v_cndmask_b32_e32 v15, 0, v11, vcc_lo
	ds_load_b128 v[9:12], v9 offset:8448
	v_add_co_u32 v21, vcc_lo, v13, v16
	s_wait_alu 0xfffd
	v_add_co_ci_u32_e64 v22, null, v14, v15, vcc_lo
	s_delay_alu instid0(VALU_DEP_2) | instskip(SKIP_1) | instid1(VALU_DEP_2)
	v_add_co_u32 v19, vcc_lo, v21, v31
	s_wait_alu 0xfffd
	v_add_co_ci_u32_e64 v20, null, 0, v22, vcc_lo
	s_delay_alu instid0(VALU_DEP_2) | instskip(SKIP_1) | instid1(VALU_DEP_2)
	;; [unrolled: 4-line block ×3, first 2 shown]
	v_add_co_u32 v15, vcc_lo, v13, v29
	s_wait_alu 0xfffd
	v_add_co_ci_u32_e64 v16, null, 0, v14, vcc_lo
	s_branch .LBB698_102
.LBB698_77:
	s_wait_dscnt 0x0
	v_dual_mov_b32 v10, 0 :: v_dual_mov_b32 v11, v17
	v_mov_b32_dpp v12, v17 row_shr:1 row_mask:0xf bank_mask:0xf
	s_delay_alu instid0(VALU_DEP_2)
	v_mov_b32_dpp v9, v10 row_shr:1 row_mask:0xf bank_mask:0xf
	s_and_saveexec_b32 s3, s2
; %bb.78:
	s_delay_alu instid0(VALU_DEP_2) | instskip(SKIP_2) | instid1(VALU_DEP_2)
	v_add_co_u32 v11, vcc_lo, v17, v12
	s_wait_alu 0xfffd
	v_add_co_ci_u32_e64 v10, null, 0, v18, vcc_lo
	v_add_co_u32 v17, vcc_lo, 0, v11
	s_wait_alu 0xfffd
	s_delay_alu instid0(VALU_DEP_2) | instskip(NEXT) | instid1(VALU_DEP_1)
	v_add_co_ci_u32_e64 v18, null, v9, v10, vcc_lo
	v_mov_b32_e32 v10, v18
; %bb.79:
	s_wait_alu 0xfffe
	s_or_b32 exec_lo, exec_lo, s3
	v_mov_b32_dpp v9, v11 row_shr:2 row_mask:0xf bank_mask:0xf
	s_delay_alu instid0(VALU_DEP_2)
	v_mov_b32_dpp v12, v10 row_shr:2 row_mask:0xf bank_mask:0xf
	s_mov_b32 s2, exec_lo
	v_cmpx_lt_u32_e32 1, v33
; %bb.80:
	s_delay_alu instid0(VALU_DEP_3) | instskip(SKIP_2) | instid1(VALU_DEP_2)
	v_add_co_u32 v11, vcc_lo, v17, v9
	s_wait_alu 0xfffd
	v_add_co_ci_u32_e64 v10, null, 0, v18, vcc_lo
	v_add_co_u32 v9, vcc_lo, 0, v11
	s_wait_alu 0xfffd
	s_delay_alu instid0(VALU_DEP_2) | instskip(NEXT) | instid1(VALU_DEP_1)
	v_add_co_ci_u32_e64 v10, null, v12, v10, vcc_lo
	v_dual_mov_b32 v18, v10 :: v_dual_mov_b32 v17, v9
; %bb.81:
	s_wait_alu 0xfffe
	s_or_b32 exec_lo, exec_lo, s2
	v_mov_b32_dpp v9, v11 row_shr:4 row_mask:0xf bank_mask:0xf
	v_mov_b32_dpp v12, v10 row_shr:4 row_mask:0xf bank_mask:0xf
	s_mov_b32 s2, exec_lo
	v_cmpx_lt_u32_e32 3, v33
; %bb.82:
	s_delay_alu instid0(VALU_DEP_3) | instskip(SKIP_2) | instid1(VALU_DEP_2)
	v_add_co_u32 v11, vcc_lo, v17, v9
	s_wait_alu 0xfffd
	v_add_co_ci_u32_e64 v10, null, 0, v18, vcc_lo
	v_add_co_u32 v9, vcc_lo, 0, v11
	s_wait_alu 0xfffd
	s_delay_alu instid0(VALU_DEP_2) | instskip(NEXT) | instid1(VALU_DEP_1)
	v_add_co_ci_u32_e64 v10, null, v12, v10, vcc_lo
	v_dual_mov_b32 v18, v10 :: v_dual_mov_b32 v17, v9
; %bb.83:
	s_wait_alu 0xfffe
	s_or_b32 exec_lo, exec_lo, s2
	v_mov_b32_dpp v12, v11 row_shr:8 row_mask:0xf bank_mask:0xf
	v_mov_b32_dpp v9, v10 row_shr:8 row_mask:0xf bank_mask:0xf
	s_mov_b32 s2, exec_lo
	v_cmpx_lt_u32_e32 7, v33
; %bb.84:
	s_delay_alu instid0(VALU_DEP_3) | instskip(SKIP_2) | instid1(VALU_DEP_2)
	v_add_co_u32 v11, vcc_lo, v17, v12
	s_wait_alu 0xfffd
	v_add_co_ci_u32_e64 v10, null, 0, v18, vcc_lo
	v_add_co_u32 v17, vcc_lo, 0, v11
	s_wait_alu 0xfffd
	s_delay_alu instid0(VALU_DEP_2) | instskip(NEXT) | instid1(VALU_DEP_1)
	v_add_co_ci_u32_e64 v18, null, v9, v10, vcc_lo
	v_mov_b32_e32 v10, v18
; %bb.85:
	s_wait_alu 0xfffe
	s_or_b32 exec_lo, exec_lo, s2
	ds_swizzle_b32 v11, v11 offset:swizzle(BROADCAST,32,15)
	ds_swizzle_b32 v9, v10 offset:swizzle(BROADCAST,32,15)
	v_and_b32_e32 v10, 16, v32
	s_mov_b32 s2, exec_lo
	s_delay_alu instid0(VALU_DEP_1)
	v_cmpx_ne_u32_e32 0, v10
	s_cbranch_execz .LBB698_87
; %bb.86:
	s_wait_dscnt 0x1
	v_add_co_u32 v10, vcc_lo, v17, v11
	s_wait_alu 0xfffd
	v_add_co_ci_u32_e64 v11, null, 0, v18, vcc_lo
	s_delay_alu instid0(VALU_DEP_2) | instskip(SKIP_2) | instid1(VALU_DEP_2)
	v_add_co_u32 v17, vcc_lo, v10, 0
	s_wait_dscnt 0x0
	s_wait_alu 0xfffd
	v_add_co_ci_u32_e64 v18, null, v11, v9, vcc_lo
.LBB698_87:
	s_wait_alu 0xfffe
	s_or_b32 exec_lo, exec_lo, s2
	s_wait_dscnt 0x0
	v_or_b32_e32 v9, 31, v0
	v_lshrrev_b32_e32 v11, 5, v0
	s_mov_b32 s2, exec_lo
	s_delay_alu instid0(VALU_DEP_2)
	v_cmpx_eq_u32_e64 v0, v9
; %bb.88:
	s_delay_alu instid0(VALU_DEP_2)
	v_lshlrev_b32_e32 v9, 3, v11
	ds_store_b64 v9, v[17:18]
; %bb.89:
	s_wait_alu 0xfffe
	s_or_b32 exec_lo, exec_lo, s2
	s_delay_alu instid0(SALU_CYCLE_1)
	s_mov_b32 s2, exec_lo
	s_wait_loadcnt_dscnt 0x0
	s_barrier_signal -1
	s_barrier_wait -1
	global_inv scope:SCOPE_SE
	v_cmpx_gt_u32_e32 8, v0
	s_cbranch_execz .LBB698_97
; %bb.90:
	v_lshlrev_b32_e32 v12, 3, v0
	s_mov_b32 s3, exec_lo
	ds_load_b64 v[9:10], v12
	s_wait_dscnt 0x0
	v_dual_mov_b32 v14, v9 :: v_dual_and_b32 v13, 7, v32
	v_mov_b32_dpp v16, v9 row_shr:1 row_mask:0xf bank_mask:0xf
	v_mov_b32_dpp v15, v10 row_shr:1 row_mask:0xf bank_mask:0xf
	s_delay_alu instid0(VALU_DEP_3)
	v_cmpx_ne_u32_e32 0, v13
; %bb.91:
	s_delay_alu instid0(VALU_DEP_3) | instskip(SKIP_2) | instid1(VALU_DEP_2)
	v_add_co_u32 v14, vcc_lo, v9, v16
	s_wait_alu 0xfffd
	v_add_co_ci_u32_e64 v10, null, 0, v10, vcc_lo
	v_add_co_u32 v9, vcc_lo, 0, v14
	s_wait_alu 0xfffd
	s_delay_alu instid0(VALU_DEP_2)
	v_add_co_ci_u32_e64 v10, null, v15, v10, vcc_lo
; %bb.92:
	s_wait_alu 0xfffe
	s_or_b32 exec_lo, exec_lo, s3
	v_mov_b32_dpp v16, v14 row_shr:2 row_mask:0xf bank_mask:0xf
	s_delay_alu instid0(VALU_DEP_2)
	v_mov_b32_dpp v15, v10 row_shr:2 row_mask:0xf bank_mask:0xf
	s_mov_b32 s3, exec_lo
	v_cmpx_lt_u32_e32 1, v13
; %bb.93:
	s_delay_alu instid0(VALU_DEP_3) | instskip(SKIP_2) | instid1(VALU_DEP_2)
	v_add_co_u32 v14, vcc_lo, v9, v16
	s_wait_alu 0xfffd
	v_add_co_ci_u32_e64 v10, null, 0, v10, vcc_lo
	v_add_co_u32 v9, vcc_lo, 0, v14
	s_wait_alu 0xfffd
	s_delay_alu instid0(VALU_DEP_2)
	v_add_co_ci_u32_e64 v10, null, v15, v10, vcc_lo
; %bb.94:
	s_wait_alu 0xfffe
	s_or_b32 exec_lo, exec_lo, s3
	v_mov_b32_dpp v15, v14 row_shr:4 row_mask:0xf bank_mask:0xf
	s_delay_alu instid0(VALU_DEP_2)
	v_mov_b32_dpp v14, v10 row_shr:4 row_mask:0xf bank_mask:0xf
	s_mov_b32 s3, exec_lo
	v_cmpx_lt_u32_e32 3, v13
; %bb.95:
	s_delay_alu instid0(VALU_DEP_3) | instskip(SKIP_2) | instid1(VALU_DEP_2)
	v_add_co_u32 v9, vcc_lo, v9, v15
	s_wait_alu 0xfffd
	v_add_co_ci_u32_e64 v10, null, 0, v10, vcc_lo
	v_add_co_u32 v9, vcc_lo, v9, 0
	s_wait_alu 0xfffd
	s_delay_alu instid0(VALU_DEP_2)
	v_add_co_ci_u32_e64 v10, null, v10, v14, vcc_lo
; %bb.96:
	s_wait_alu 0xfffe
	s_or_b32 exec_lo, exec_lo, s3
	ds_store_b64 v12, v[9:10]
.LBB698_97:
	s_wait_alu 0xfffe
	s_or_b32 exec_lo, exec_lo, s2
	v_mov_b32_e32 v13, 0
	v_mov_b32_e32 v14, 0
	s_mov_b32 s2, exec_lo
	s_wait_loadcnt_dscnt 0x0
	s_barrier_signal -1
	s_barrier_wait -1
	global_inv scope:SCOPE_SE
	v_cmpx_lt_u32_e32 31, v0
; %bb.98:
	v_lshl_add_u32 v9, v11, 3, -8
	ds_load_b64 v[13:14], v9
; %bb.99:
	s_wait_alu 0xfffe
	s_or_b32 exec_lo, exec_lo, s2
	v_sub_co_u32 v9, vcc_lo, v32, 1
	v_mov_b32_e32 v12, 0
	s_delay_alu instid0(VALU_DEP_2) | instskip(SKIP_1) | instid1(VALU_DEP_1)
	v_cmp_gt_i32_e64 s2, 0, v9
	s_wait_alu 0xf1ff
	v_cndmask_b32_e64 v9, v9, v32, s2
	s_wait_dscnt 0x0
	v_add_co_u32 v10, s2, v13, v17
	s_wait_alu 0xf1ff
	v_add_co_ci_u32_e64 v11, null, v14, v18, s2
	v_lshlrev_b32_e32 v9, 2, v9
	v_cmp_eq_u32_e64 s2, 0, v0
	ds_bpermute_b32 v15, v9, v10
	ds_bpermute_b32 v16, v9, v11
	ds_load_b64 v[9:10], v12 offset:56
	s_and_saveexec_b32 s3, s2
	s_cbranch_execz .LBB698_101
; %bb.100:
	s_wait_kmcnt 0x0
	s_add_nc_u64 s[4:5], s[10:11], 0x200
	s_wait_alu 0xfffe
	v_dual_mov_b32 v11, 2 :: v_dual_mov_b32 v18, s5
	v_mov_b32_e32 v17, s4
	s_wait_dscnt 0x0
	;;#ASMSTART
	global_store_b128 v[17:18], v[9:12] off scope:SCOPE_DEV	
s_wait_storecnt 0x0
	;;#ASMEND
.LBB698_101:
	s_wait_alu 0xfffe
	s_or_b32 exec_lo, exec_lo, s3
	s_wait_dscnt 0x1
	s_wait_alu 0xfffd
	v_dual_cndmask_b32 v11, v15, v13 :: v_dual_cndmask_b32 v12, v16, v14
	s_wait_loadcnt_dscnt 0x0
	s_barrier_signal -1
	s_barrier_wait -1
	s_delay_alu instid0(VALU_DEP_1)
	v_cndmask_b32_e64 v21, v11, 0, s2
	v_cndmask_b32_e64 v22, v12, 0, s2
	v_mov_b32_e32 v11, 0
	v_mov_b32_e32 v12, 0
	global_inv scope:SCOPE_SE
	v_add_co_u32 v19, vcc_lo, v21, v31
	s_wait_alu 0xfffd
	v_add_co_ci_u32_e64 v20, null, 0, v22, vcc_lo
	s_delay_alu instid0(VALU_DEP_2) | instskip(SKIP_1) | instid1(VALU_DEP_2)
	v_add_co_u32 v13, vcc_lo, v19, v30
	s_wait_alu 0xfffd
	v_add_co_ci_u32_e64 v14, null, 0, v20, vcc_lo
	s_delay_alu instid0(VALU_DEP_2) | instskip(SKIP_1) | instid1(VALU_DEP_2)
	v_add_co_u32 v15, vcc_lo, v13, v29
	s_wait_alu 0xfffd
	v_add_co_ci_u32_e64 v16, null, 0, v14, vcc_lo
.LBB698_102:
	s_load_b64 s[2:3], s[0:1], 0x28
	v_and_b32_e32 v23, 1, v28
	s_wait_dscnt 0x0
	v_cmp_gt_u64_e32 vcc_lo, 0x101, v[9:10]
	s_mov_b32 s1, -1
	s_delay_alu instid0(VALU_DEP_2)
	v_cmp_eq_u32_e64 s0, 1, v23
	s_cbranch_vccnz .LBB698_106
; %bb.103:
	s_wait_alu 0xfffe
	s_and_b32 vcc_lo, exec_lo, s1
	s_wait_alu 0xfffe
	s_cbranch_vccnz .LBB698_115
.LBB698_104:
	v_cmp_eq_u32_e32 vcc_lo, 0, v0
	s_and_b32 s0, vcc_lo, s12
	s_wait_alu 0xfffe
	s_and_saveexec_b32 s1, s0
	s_cbranch_execnz .LBB698_127
.LBB698_105:
	s_endpgm
.LBB698_106:
	v_add_co_u32 v17, vcc_lo, v11, v9
	s_wait_alu 0xfffd
	v_add_co_ci_u32_e64 v18, null, v12, v10, vcc_lo
	s_wait_kmcnt 0x0
	s_lshl_b64 s[4:5], s[6:7], 3
	s_wait_alu 0xfffe
	s_add_nc_u64 s[4:5], s[2:3], s[4:5]
	v_cmp_lt_u64_e32 vcc_lo, v[21:22], v[17:18]
	s_or_b32 s1, s13, vcc_lo
	s_wait_alu 0xfffe
	s_and_b32 s1, s1, s0
	s_wait_alu 0xfffe
	s_and_saveexec_b32 s0, s1
	s_cbranch_execz .LBB698_108
; %bb.107:
	v_lshlrev_b64_e32 v[28:29], 3, v[21:22]
	s_delay_alu instid0(VALU_DEP_1) | instskip(SKIP_1) | instid1(VALU_DEP_2)
	v_add_co_u32 v28, vcc_lo, s4, v28
	s_wait_alu 0xfffd
	v_add_co_ci_u32_e64 v29, null, s5, v29, vcc_lo
	global_store_b64 v[28:29], v[5:6], off
.LBB698_108:
	s_wait_alu 0xfffe
	s_or_b32 exec_lo, exec_lo, s0
	v_and_b32_e32 v22, 1, v27
	v_cmp_lt_u64_e32 vcc_lo, v[19:20], v[17:18]
	s_delay_alu instid0(VALU_DEP_2)
	v_cmp_eq_u32_e64 s0, 1, v22
	s_or_b32 s1, s13, vcc_lo
	s_wait_alu 0xfffe
	s_and_b32 s1, s1, s0
	s_wait_alu 0xfffe
	s_and_saveexec_b32 s0, s1
	s_cbranch_execz .LBB698_110
; %bb.109:
	v_lshlrev_b64_e32 v[28:29], 3, v[19:20]
	s_delay_alu instid0(VALU_DEP_1) | instskip(SKIP_1) | instid1(VALU_DEP_2)
	v_add_co_u32 v28, vcc_lo, s4, v28
	s_wait_alu 0xfffd
	v_add_co_ci_u32_e64 v29, null, s5, v29, vcc_lo
	global_store_b64 v[28:29], v[7:8], off
.LBB698_110:
	s_wait_alu 0xfffe
	s_or_b32 exec_lo, exec_lo, s0
	v_and_b32_e32 v20, 1, v26
	v_cmp_lt_u64_e32 vcc_lo, v[13:14], v[17:18]
	s_delay_alu instid0(VALU_DEP_2)
	v_cmp_eq_u32_e64 s0, 1, v20
	;; [unrolled: 20-line block ×3, first 2 shown]
	s_or_b32 s1, s13, vcc_lo
	s_wait_alu 0xfffe
	s_and_b32 s1, s1, s0
	s_wait_alu 0xfffe
	s_and_saveexec_b32 s0, s1
	s_cbranch_execz .LBB698_114
; %bb.113:
	v_lshlrev_b64_e32 v[16:17], 3, v[15:16]
	s_delay_alu instid0(VALU_DEP_1) | instskip(SKIP_1) | instid1(VALU_DEP_2)
	v_add_co_u32 v16, vcc_lo, s4, v16
	s_wait_alu 0xfffd
	v_add_co_ci_u32_e64 v17, null, s5, v17, vcc_lo
	global_store_b64 v[16:17], v[3:4], off
.LBB698_114:
	s_wait_alu 0xfffe
	s_or_b32 exec_lo, exec_lo, s0
	s_branch .LBB698_104
.LBB698_115:
	s_mov_b32 s0, exec_lo
	v_cmpx_eq_u32_e32 1, v23
; %bb.116:
	v_sub_nc_u32_e32 v14, v21, v11
	s_delay_alu instid0(VALU_DEP_1)
	v_lshlrev_b32_e32 v14, 3, v14
	ds_store_b64 v14, v[5:6]
; %bb.117:
	s_wait_alu 0xfffe
	s_or_b32 exec_lo, exec_lo, s0
	v_and_b32_e32 v5, 1, v27
	s_mov_b32 s0, exec_lo
	s_delay_alu instid0(VALU_DEP_1)
	v_cmpx_eq_u32_e32 1, v5
; %bb.118:
	v_sub_nc_u32_e32 v5, v19, v11
	s_delay_alu instid0(VALU_DEP_1)
	v_lshlrev_b32_e32 v5, 3, v5
	ds_store_b64 v5, v[7:8]
; %bb.119:
	s_wait_alu 0xfffe
	s_or_b32 exec_lo, exec_lo, s0
	v_and_b32_e32 v5, 1, v26
	s_mov_b32 s0, exec_lo
	s_delay_alu instid0(VALU_DEP_1)
	;; [unrolled: 12-line block ×3, first 2 shown]
	v_cmpx_eq_u32_e32 1, v1
; %bb.122:
	v_sub_nc_u32_e32 v1, v15, v11
	s_delay_alu instid0(VALU_DEP_1)
	v_lshlrev_b32_e32 v1, 3, v1
	ds_store_b64 v1, v[3:4]
; %bb.123:
	s_wait_alu 0xfffe
	s_or_b32 exec_lo, exec_lo, s0
	v_mov_b32_e32 v3, 0
	s_mov_b32 s1, exec_lo
	s_wait_storecnt 0x0
	s_wait_loadcnt_dscnt 0x0
	s_barrier_signal -1
	s_barrier_wait -1
	v_mov_b32_e32 v1, v3
	global_inv scope:SCOPE_SE
	v_cmpx_gt_u64_e64 v[9:10], v[0:1]
	s_cbranch_execz .LBB698_126
; %bb.124:
	v_lshlrev_b64_e32 v[4:5], 3, v[11:12]
	s_wait_kmcnt 0x0
	s_lshl_b64 s[4:5], s[6:7], 3
	v_or_b32_e32 v2, 0x100, v0
	s_wait_alu 0xfffe
	s_add_nc_u64 s[2:3], s[2:3], s[4:5]
	s_wait_alu 0xfffe
	v_add_co_u32 v6, vcc_lo, s2, v4
	s_wait_alu 0xfffd
	v_add_co_ci_u32_e64 v7, null, s3, v5, vcc_lo
	v_dual_mov_b32 v5, v1 :: v_dual_mov_b32 v4, v0
	s_mov_b32 s2, 0
.LBB698_125:                            ; =>This Inner Loop Header: Depth=1
	s_delay_alu instid0(VALU_DEP_1) | instskip(NEXT) | instid1(VALU_DEP_2)
	v_lshlrev_b32_e32 v1, 3, v4
	v_lshlrev_b64_e32 v[15:16], 3, v[4:5]
	v_dual_mov_b32 v5, v3 :: v_dual_mov_b32 v4, v2
	v_cmp_le_u64_e32 vcc_lo, v[9:10], v[2:3]
	ds_load_b64 v[13:14], v1
	v_add_nc_u32_e32 v2, 0x100, v2
	v_add_co_u32 v15, s0, v6, v15
	s_wait_alu 0xf1ff
	v_add_co_ci_u32_e64 v16, null, v7, v16, s0
	s_wait_alu 0xfffe
	s_or_b32 s2, vcc_lo, s2
	s_wait_dscnt 0x0
	global_store_b64 v[15:16], v[13:14], off
	s_wait_alu 0xfffe
	s_and_not1_b32 exec_lo, exec_lo, s2
	s_cbranch_execnz .LBB698_125
.LBB698_126:
	s_wait_alu 0xfffe
	s_or_b32 exec_lo, exec_lo, s1
	v_cmp_eq_u32_e32 vcc_lo, 0, v0
	s_and_b32 s0, vcc_lo, s12
	s_wait_alu 0xfffe
	s_and_saveexec_b32 s1, s0
	s_cbranch_execz .LBB698_105
.LBB698_127:
	v_add_co_u32 v0, vcc_lo, v11, v9
	s_wait_alu 0xfffd
	v_add_co_ci_u32_e64 v1, null, v12, v10, vcc_lo
	v_mov_b32_e32 v2, 0
	s_wait_kmcnt 0x0
	v_add_co_u32 v0, vcc_lo, v0, s6
	s_wait_alu 0xfffd
	v_add_co_ci_u32_e64 v1, null, s7, v1, vcc_lo
	global_store_b64 v2, v[0:1], s[8:9]
	s_endpgm
.LBB698_128:
	v_lshlrev_b32_e32 v3, 3, v0
	s_delay_alu instid0(VALU_DEP_1)
	v_add_co_u32 v3, s10, s2, v3
	s_wait_alu 0xf1ff
	v_add_co_ci_u32_e64 v4, null, s3, 0, s10
	flat_load_b64 v[3:4], v[3:4] offset:2048
	s_wait_alu 0xfffe
	s_or_b32 exec_lo, exec_lo, s5
	s_delay_alu instid0(SALU_CYCLE_1)
	s_mov_b32 s5, exec_lo
	v_cmpx_gt_u32_e64 s4, v11
	s_cbranch_execz .LBB698_7
.LBB698_129:
	v_lshlrev_b32_e32 v5, 3, v0
	s_delay_alu instid0(VALU_DEP_1)
	v_add_co_u32 v5, s10, s2, v5
	s_wait_alu 0xf1ff
	v_add_co_ci_u32_e64 v6, null, s3, 0, s10
	flat_load_b64 v[5:6], v[5:6] offset:4096
	s_wait_alu 0xfffe
	s_or_b32 exec_lo, exec_lo, s5
	s_delay_alu instid0(SALU_CYCLE_1)
	s_mov_b32 s5, exec_lo
	v_cmpx_gt_u32_e64 s4, v10
	s_cbranch_execnz .LBB698_8
	s_branch .LBB698_9
	.section	.rodata,"a",@progbits
	.p2align	6, 0x0
	.amdhsa_kernel _ZN7rocprim17ROCPRIM_400000_NS6detail17trampoline_kernelINS0_14default_configENS1_25partition_config_selectorILNS1_17partition_subalgoE6ExNS0_10empty_typeEbEEZZNS1_14partition_implILS5_6ELb0ES3_mN6thrust23THRUST_200600_302600_NS6detail15normal_iteratorINSA_10device_ptrIxEEEEPS6_SG_NS0_5tupleIJSF_S6_EEENSH_IJSG_SG_EEES6_PlJNSB_9not_fun_tI7is_evenIxEEEEEE10hipError_tPvRmT3_T4_T5_T6_T7_T9_mT8_P12ihipStream_tbDpT10_ENKUlT_T0_E_clISt17integral_constantIbLb0EES18_EEDaS13_S14_EUlS13_E_NS1_11comp_targetILNS1_3genE10ELNS1_11target_archE1200ELNS1_3gpuE4ELNS1_3repE0EEENS1_30default_config_static_selectorELNS0_4arch9wavefront6targetE0EEEvT1_
		.amdhsa_group_segment_fixed_size 8464
		.amdhsa_private_segment_fixed_size 0
		.amdhsa_kernarg_size 112
		.amdhsa_user_sgpr_count 2
		.amdhsa_user_sgpr_dispatch_ptr 0
		.amdhsa_user_sgpr_queue_ptr 0
		.amdhsa_user_sgpr_kernarg_segment_ptr 1
		.amdhsa_user_sgpr_dispatch_id 0
		.amdhsa_user_sgpr_private_segment_size 0
		.amdhsa_wavefront_size32 1
		.amdhsa_uses_dynamic_stack 0
		.amdhsa_enable_private_segment 0
		.amdhsa_system_sgpr_workgroup_id_x 1
		.amdhsa_system_sgpr_workgroup_id_y 0
		.amdhsa_system_sgpr_workgroup_id_z 0
		.amdhsa_system_sgpr_workgroup_info 0
		.amdhsa_system_vgpr_workitem_id 0
		.amdhsa_next_free_vgpr 47
		.amdhsa_next_free_sgpr 22
		.amdhsa_reserve_vcc 1
		.amdhsa_float_round_mode_32 0
		.amdhsa_float_round_mode_16_64 0
		.amdhsa_float_denorm_mode_32 3
		.amdhsa_float_denorm_mode_16_64 3
		.amdhsa_fp16_overflow 0
		.amdhsa_workgroup_processor_mode 1
		.amdhsa_memory_ordered 1
		.amdhsa_forward_progress 1
		.amdhsa_inst_pref_size 50
		.amdhsa_round_robin_scheduling 0
		.amdhsa_exception_fp_ieee_invalid_op 0
		.amdhsa_exception_fp_denorm_src 0
		.amdhsa_exception_fp_ieee_div_zero 0
		.amdhsa_exception_fp_ieee_overflow 0
		.amdhsa_exception_fp_ieee_underflow 0
		.amdhsa_exception_fp_ieee_inexact 0
		.amdhsa_exception_int_div_zero 0
	.end_amdhsa_kernel
	.section	.text._ZN7rocprim17ROCPRIM_400000_NS6detail17trampoline_kernelINS0_14default_configENS1_25partition_config_selectorILNS1_17partition_subalgoE6ExNS0_10empty_typeEbEEZZNS1_14partition_implILS5_6ELb0ES3_mN6thrust23THRUST_200600_302600_NS6detail15normal_iteratorINSA_10device_ptrIxEEEEPS6_SG_NS0_5tupleIJSF_S6_EEENSH_IJSG_SG_EEES6_PlJNSB_9not_fun_tI7is_evenIxEEEEEE10hipError_tPvRmT3_T4_T5_T6_T7_T9_mT8_P12ihipStream_tbDpT10_ENKUlT_T0_E_clISt17integral_constantIbLb0EES18_EEDaS13_S14_EUlS13_E_NS1_11comp_targetILNS1_3genE10ELNS1_11target_archE1200ELNS1_3gpuE4ELNS1_3repE0EEENS1_30default_config_static_selectorELNS0_4arch9wavefront6targetE0EEEvT1_,"axG",@progbits,_ZN7rocprim17ROCPRIM_400000_NS6detail17trampoline_kernelINS0_14default_configENS1_25partition_config_selectorILNS1_17partition_subalgoE6ExNS0_10empty_typeEbEEZZNS1_14partition_implILS5_6ELb0ES3_mN6thrust23THRUST_200600_302600_NS6detail15normal_iteratorINSA_10device_ptrIxEEEEPS6_SG_NS0_5tupleIJSF_S6_EEENSH_IJSG_SG_EEES6_PlJNSB_9not_fun_tI7is_evenIxEEEEEE10hipError_tPvRmT3_T4_T5_T6_T7_T9_mT8_P12ihipStream_tbDpT10_ENKUlT_T0_E_clISt17integral_constantIbLb0EES18_EEDaS13_S14_EUlS13_E_NS1_11comp_targetILNS1_3genE10ELNS1_11target_archE1200ELNS1_3gpuE4ELNS1_3repE0EEENS1_30default_config_static_selectorELNS0_4arch9wavefront6targetE0EEEvT1_,comdat
.Lfunc_end698:
	.size	_ZN7rocprim17ROCPRIM_400000_NS6detail17trampoline_kernelINS0_14default_configENS1_25partition_config_selectorILNS1_17partition_subalgoE6ExNS0_10empty_typeEbEEZZNS1_14partition_implILS5_6ELb0ES3_mN6thrust23THRUST_200600_302600_NS6detail15normal_iteratorINSA_10device_ptrIxEEEEPS6_SG_NS0_5tupleIJSF_S6_EEENSH_IJSG_SG_EEES6_PlJNSB_9not_fun_tI7is_evenIxEEEEEE10hipError_tPvRmT3_T4_T5_T6_T7_T9_mT8_P12ihipStream_tbDpT10_ENKUlT_T0_E_clISt17integral_constantIbLb0EES18_EEDaS13_S14_EUlS13_E_NS1_11comp_targetILNS1_3genE10ELNS1_11target_archE1200ELNS1_3gpuE4ELNS1_3repE0EEENS1_30default_config_static_selectorELNS0_4arch9wavefront6targetE0EEEvT1_, .Lfunc_end698-_ZN7rocprim17ROCPRIM_400000_NS6detail17trampoline_kernelINS0_14default_configENS1_25partition_config_selectorILNS1_17partition_subalgoE6ExNS0_10empty_typeEbEEZZNS1_14partition_implILS5_6ELb0ES3_mN6thrust23THRUST_200600_302600_NS6detail15normal_iteratorINSA_10device_ptrIxEEEEPS6_SG_NS0_5tupleIJSF_S6_EEENSH_IJSG_SG_EEES6_PlJNSB_9not_fun_tI7is_evenIxEEEEEE10hipError_tPvRmT3_T4_T5_T6_T7_T9_mT8_P12ihipStream_tbDpT10_ENKUlT_T0_E_clISt17integral_constantIbLb0EES18_EEDaS13_S14_EUlS13_E_NS1_11comp_targetILNS1_3genE10ELNS1_11target_archE1200ELNS1_3gpuE4ELNS1_3repE0EEENS1_30default_config_static_selectorELNS0_4arch9wavefront6targetE0EEEvT1_
                                        ; -- End function
	.set _ZN7rocprim17ROCPRIM_400000_NS6detail17trampoline_kernelINS0_14default_configENS1_25partition_config_selectorILNS1_17partition_subalgoE6ExNS0_10empty_typeEbEEZZNS1_14partition_implILS5_6ELb0ES3_mN6thrust23THRUST_200600_302600_NS6detail15normal_iteratorINSA_10device_ptrIxEEEEPS6_SG_NS0_5tupleIJSF_S6_EEENSH_IJSG_SG_EEES6_PlJNSB_9not_fun_tI7is_evenIxEEEEEE10hipError_tPvRmT3_T4_T5_T6_T7_T9_mT8_P12ihipStream_tbDpT10_ENKUlT_T0_E_clISt17integral_constantIbLb0EES18_EEDaS13_S14_EUlS13_E_NS1_11comp_targetILNS1_3genE10ELNS1_11target_archE1200ELNS1_3gpuE4ELNS1_3repE0EEENS1_30default_config_static_selectorELNS0_4arch9wavefront6targetE0EEEvT1_.num_vgpr, 47
	.set _ZN7rocprim17ROCPRIM_400000_NS6detail17trampoline_kernelINS0_14default_configENS1_25partition_config_selectorILNS1_17partition_subalgoE6ExNS0_10empty_typeEbEEZZNS1_14partition_implILS5_6ELb0ES3_mN6thrust23THRUST_200600_302600_NS6detail15normal_iteratorINSA_10device_ptrIxEEEEPS6_SG_NS0_5tupleIJSF_S6_EEENSH_IJSG_SG_EEES6_PlJNSB_9not_fun_tI7is_evenIxEEEEEE10hipError_tPvRmT3_T4_T5_T6_T7_T9_mT8_P12ihipStream_tbDpT10_ENKUlT_T0_E_clISt17integral_constantIbLb0EES18_EEDaS13_S14_EUlS13_E_NS1_11comp_targetILNS1_3genE10ELNS1_11target_archE1200ELNS1_3gpuE4ELNS1_3repE0EEENS1_30default_config_static_selectorELNS0_4arch9wavefront6targetE0EEEvT1_.num_agpr, 0
	.set _ZN7rocprim17ROCPRIM_400000_NS6detail17trampoline_kernelINS0_14default_configENS1_25partition_config_selectorILNS1_17partition_subalgoE6ExNS0_10empty_typeEbEEZZNS1_14partition_implILS5_6ELb0ES3_mN6thrust23THRUST_200600_302600_NS6detail15normal_iteratorINSA_10device_ptrIxEEEEPS6_SG_NS0_5tupleIJSF_S6_EEENSH_IJSG_SG_EEES6_PlJNSB_9not_fun_tI7is_evenIxEEEEEE10hipError_tPvRmT3_T4_T5_T6_T7_T9_mT8_P12ihipStream_tbDpT10_ENKUlT_T0_E_clISt17integral_constantIbLb0EES18_EEDaS13_S14_EUlS13_E_NS1_11comp_targetILNS1_3genE10ELNS1_11target_archE1200ELNS1_3gpuE4ELNS1_3repE0EEENS1_30default_config_static_selectorELNS0_4arch9wavefront6targetE0EEEvT1_.numbered_sgpr, 22
	.set _ZN7rocprim17ROCPRIM_400000_NS6detail17trampoline_kernelINS0_14default_configENS1_25partition_config_selectorILNS1_17partition_subalgoE6ExNS0_10empty_typeEbEEZZNS1_14partition_implILS5_6ELb0ES3_mN6thrust23THRUST_200600_302600_NS6detail15normal_iteratorINSA_10device_ptrIxEEEEPS6_SG_NS0_5tupleIJSF_S6_EEENSH_IJSG_SG_EEES6_PlJNSB_9not_fun_tI7is_evenIxEEEEEE10hipError_tPvRmT3_T4_T5_T6_T7_T9_mT8_P12ihipStream_tbDpT10_ENKUlT_T0_E_clISt17integral_constantIbLb0EES18_EEDaS13_S14_EUlS13_E_NS1_11comp_targetILNS1_3genE10ELNS1_11target_archE1200ELNS1_3gpuE4ELNS1_3repE0EEENS1_30default_config_static_selectorELNS0_4arch9wavefront6targetE0EEEvT1_.num_named_barrier, 0
	.set _ZN7rocprim17ROCPRIM_400000_NS6detail17trampoline_kernelINS0_14default_configENS1_25partition_config_selectorILNS1_17partition_subalgoE6ExNS0_10empty_typeEbEEZZNS1_14partition_implILS5_6ELb0ES3_mN6thrust23THRUST_200600_302600_NS6detail15normal_iteratorINSA_10device_ptrIxEEEEPS6_SG_NS0_5tupleIJSF_S6_EEENSH_IJSG_SG_EEES6_PlJNSB_9not_fun_tI7is_evenIxEEEEEE10hipError_tPvRmT3_T4_T5_T6_T7_T9_mT8_P12ihipStream_tbDpT10_ENKUlT_T0_E_clISt17integral_constantIbLb0EES18_EEDaS13_S14_EUlS13_E_NS1_11comp_targetILNS1_3genE10ELNS1_11target_archE1200ELNS1_3gpuE4ELNS1_3repE0EEENS1_30default_config_static_selectorELNS0_4arch9wavefront6targetE0EEEvT1_.private_seg_size, 0
	.set _ZN7rocprim17ROCPRIM_400000_NS6detail17trampoline_kernelINS0_14default_configENS1_25partition_config_selectorILNS1_17partition_subalgoE6ExNS0_10empty_typeEbEEZZNS1_14partition_implILS5_6ELb0ES3_mN6thrust23THRUST_200600_302600_NS6detail15normal_iteratorINSA_10device_ptrIxEEEEPS6_SG_NS0_5tupleIJSF_S6_EEENSH_IJSG_SG_EEES6_PlJNSB_9not_fun_tI7is_evenIxEEEEEE10hipError_tPvRmT3_T4_T5_T6_T7_T9_mT8_P12ihipStream_tbDpT10_ENKUlT_T0_E_clISt17integral_constantIbLb0EES18_EEDaS13_S14_EUlS13_E_NS1_11comp_targetILNS1_3genE10ELNS1_11target_archE1200ELNS1_3gpuE4ELNS1_3repE0EEENS1_30default_config_static_selectorELNS0_4arch9wavefront6targetE0EEEvT1_.uses_vcc, 1
	.set _ZN7rocprim17ROCPRIM_400000_NS6detail17trampoline_kernelINS0_14default_configENS1_25partition_config_selectorILNS1_17partition_subalgoE6ExNS0_10empty_typeEbEEZZNS1_14partition_implILS5_6ELb0ES3_mN6thrust23THRUST_200600_302600_NS6detail15normal_iteratorINSA_10device_ptrIxEEEEPS6_SG_NS0_5tupleIJSF_S6_EEENSH_IJSG_SG_EEES6_PlJNSB_9not_fun_tI7is_evenIxEEEEEE10hipError_tPvRmT3_T4_T5_T6_T7_T9_mT8_P12ihipStream_tbDpT10_ENKUlT_T0_E_clISt17integral_constantIbLb0EES18_EEDaS13_S14_EUlS13_E_NS1_11comp_targetILNS1_3genE10ELNS1_11target_archE1200ELNS1_3gpuE4ELNS1_3repE0EEENS1_30default_config_static_selectorELNS0_4arch9wavefront6targetE0EEEvT1_.uses_flat_scratch, 1
	.set _ZN7rocprim17ROCPRIM_400000_NS6detail17trampoline_kernelINS0_14default_configENS1_25partition_config_selectorILNS1_17partition_subalgoE6ExNS0_10empty_typeEbEEZZNS1_14partition_implILS5_6ELb0ES3_mN6thrust23THRUST_200600_302600_NS6detail15normal_iteratorINSA_10device_ptrIxEEEEPS6_SG_NS0_5tupleIJSF_S6_EEENSH_IJSG_SG_EEES6_PlJNSB_9not_fun_tI7is_evenIxEEEEEE10hipError_tPvRmT3_T4_T5_T6_T7_T9_mT8_P12ihipStream_tbDpT10_ENKUlT_T0_E_clISt17integral_constantIbLb0EES18_EEDaS13_S14_EUlS13_E_NS1_11comp_targetILNS1_3genE10ELNS1_11target_archE1200ELNS1_3gpuE4ELNS1_3repE0EEENS1_30default_config_static_selectorELNS0_4arch9wavefront6targetE0EEEvT1_.has_dyn_sized_stack, 0
	.set _ZN7rocprim17ROCPRIM_400000_NS6detail17trampoline_kernelINS0_14default_configENS1_25partition_config_selectorILNS1_17partition_subalgoE6ExNS0_10empty_typeEbEEZZNS1_14partition_implILS5_6ELb0ES3_mN6thrust23THRUST_200600_302600_NS6detail15normal_iteratorINSA_10device_ptrIxEEEEPS6_SG_NS0_5tupleIJSF_S6_EEENSH_IJSG_SG_EEES6_PlJNSB_9not_fun_tI7is_evenIxEEEEEE10hipError_tPvRmT3_T4_T5_T6_T7_T9_mT8_P12ihipStream_tbDpT10_ENKUlT_T0_E_clISt17integral_constantIbLb0EES18_EEDaS13_S14_EUlS13_E_NS1_11comp_targetILNS1_3genE10ELNS1_11target_archE1200ELNS1_3gpuE4ELNS1_3repE0EEENS1_30default_config_static_selectorELNS0_4arch9wavefront6targetE0EEEvT1_.has_recursion, 0
	.set _ZN7rocprim17ROCPRIM_400000_NS6detail17trampoline_kernelINS0_14default_configENS1_25partition_config_selectorILNS1_17partition_subalgoE6ExNS0_10empty_typeEbEEZZNS1_14partition_implILS5_6ELb0ES3_mN6thrust23THRUST_200600_302600_NS6detail15normal_iteratorINSA_10device_ptrIxEEEEPS6_SG_NS0_5tupleIJSF_S6_EEENSH_IJSG_SG_EEES6_PlJNSB_9not_fun_tI7is_evenIxEEEEEE10hipError_tPvRmT3_T4_T5_T6_T7_T9_mT8_P12ihipStream_tbDpT10_ENKUlT_T0_E_clISt17integral_constantIbLb0EES18_EEDaS13_S14_EUlS13_E_NS1_11comp_targetILNS1_3genE10ELNS1_11target_archE1200ELNS1_3gpuE4ELNS1_3repE0EEENS1_30default_config_static_selectorELNS0_4arch9wavefront6targetE0EEEvT1_.has_indirect_call, 0
	.section	.AMDGPU.csdata,"",@progbits
; Kernel info:
; codeLenInByte = 6352
; TotalNumSgprs: 24
; NumVgprs: 47
; ScratchSize: 0
; MemoryBound: 0
; FloatMode: 240
; IeeeMode: 1
; LDSByteSize: 8464 bytes/workgroup (compile time only)
; SGPRBlocks: 0
; VGPRBlocks: 5
; NumSGPRsForWavesPerEU: 24
; NumVGPRsForWavesPerEU: 47
; Occupancy: 16
; WaveLimiterHint : 1
; COMPUTE_PGM_RSRC2:SCRATCH_EN: 0
; COMPUTE_PGM_RSRC2:USER_SGPR: 2
; COMPUTE_PGM_RSRC2:TRAP_HANDLER: 0
; COMPUTE_PGM_RSRC2:TGID_X_EN: 1
; COMPUTE_PGM_RSRC2:TGID_Y_EN: 0
; COMPUTE_PGM_RSRC2:TGID_Z_EN: 0
; COMPUTE_PGM_RSRC2:TIDIG_COMP_CNT: 0
	.section	.text._ZN7rocprim17ROCPRIM_400000_NS6detail17trampoline_kernelINS0_14default_configENS1_25partition_config_selectorILNS1_17partition_subalgoE6ExNS0_10empty_typeEbEEZZNS1_14partition_implILS5_6ELb0ES3_mN6thrust23THRUST_200600_302600_NS6detail15normal_iteratorINSA_10device_ptrIxEEEEPS6_SG_NS0_5tupleIJSF_S6_EEENSH_IJSG_SG_EEES6_PlJNSB_9not_fun_tI7is_evenIxEEEEEE10hipError_tPvRmT3_T4_T5_T6_T7_T9_mT8_P12ihipStream_tbDpT10_ENKUlT_T0_E_clISt17integral_constantIbLb0EES18_EEDaS13_S14_EUlS13_E_NS1_11comp_targetILNS1_3genE9ELNS1_11target_archE1100ELNS1_3gpuE3ELNS1_3repE0EEENS1_30default_config_static_selectorELNS0_4arch9wavefront6targetE0EEEvT1_,"axG",@progbits,_ZN7rocprim17ROCPRIM_400000_NS6detail17trampoline_kernelINS0_14default_configENS1_25partition_config_selectorILNS1_17partition_subalgoE6ExNS0_10empty_typeEbEEZZNS1_14partition_implILS5_6ELb0ES3_mN6thrust23THRUST_200600_302600_NS6detail15normal_iteratorINSA_10device_ptrIxEEEEPS6_SG_NS0_5tupleIJSF_S6_EEENSH_IJSG_SG_EEES6_PlJNSB_9not_fun_tI7is_evenIxEEEEEE10hipError_tPvRmT3_T4_T5_T6_T7_T9_mT8_P12ihipStream_tbDpT10_ENKUlT_T0_E_clISt17integral_constantIbLb0EES18_EEDaS13_S14_EUlS13_E_NS1_11comp_targetILNS1_3genE9ELNS1_11target_archE1100ELNS1_3gpuE3ELNS1_3repE0EEENS1_30default_config_static_selectorELNS0_4arch9wavefront6targetE0EEEvT1_,comdat
	.protected	_ZN7rocprim17ROCPRIM_400000_NS6detail17trampoline_kernelINS0_14default_configENS1_25partition_config_selectorILNS1_17partition_subalgoE6ExNS0_10empty_typeEbEEZZNS1_14partition_implILS5_6ELb0ES3_mN6thrust23THRUST_200600_302600_NS6detail15normal_iteratorINSA_10device_ptrIxEEEEPS6_SG_NS0_5tupleIJSF_S6_EEENSH_IJSG_SG_EEES6_PlJNSB_9not_fun_tI7is_evenIxEEEEEE10hipError_tPvRmT3_T4_T5_T6_T7_T9_mT8_P12ihipStream_tbDpT10_ENKUlT_T0_E_clISt17integral_constantIbLb0EES18_EEDaS13_S14_EUlS13_E_NS1_11comp_targetILNS1_3genE9ELNS1_11target_archE1100ELNS1_3gpuE3ELNS1_3repE0EEENS1_30default_config_static_selectorELNS0_4arch9wavefront6targetE0EEEvT1_ ; -- Begin function _ZN7rocprim17ROCPRIM_400000_NS6detail17trampoline_kernelINS0_14default_configENS1_25partition_config_selectorILNS1_17partition_subalgoE6ExNS0_10empty_typeEbEEZZNS1_14partition_implILS5_6ELb0ES3_mN6thrust23THRUST_200600_302600_NS6detail15normal_iteratorINSA_10device_ptrIxEEEEPS6_SG_NS0_5tupleIJSF_S6_EEENSH_IJSG_SG_EEES6_PlJNSB_9not_fun_tI7is_evenIxEEEEEE10hipError_tPvRmT3_T4_T5_T6_T7_T9_mT8_P12ihipStream_tbDpT10_ENKUlT_T0_E_clISt17integral_constantIbLb0EES18_EEDaS13_S14_EUlS13_E_NS1_11comp_targetILNS1_3genE9ELNS1_11target_archE1100ELNS1_3gpuE3ELNS1_3repE0EEENS1_30default_config_static_selectorELNS0_4arch9wavefront6targetE0EEEvT1_
	.globl	_ZN7rocprim17ROCPRIM_400000_NS6detail17trampoline_kernelINS0_14default_configENS1_25partition_config_selectorILNS1_17partition_subalgoE6ExNS0_10empty_typeEbEEZZNS1_14partition_implILS5_6ELb0ES3_mN6thrust23THRUST_200600_302600_NS6detail15normal_iteratorINSA_10device_ptrIxEEEEPS6_SG_NS0_5tupleIJSF_S6_EEENSH_IJSG_SG_EEES6_PlJNSB_9not_fun_tI7is_evenIxEEEEEE10hipError_tPvRmT3_T4_T5_T6_T7_T9_mT8_P12ihipStream_tbDpT10_ENKUlT_T0_E_clISt17integral_constantIbLb0EES18_EEDaS13_S14_EUlS13_E_NS1_11comp_targetILNS1_3genE9ELNS1_11target_archE1100ELNS1_3gpuE3ELNS1_3repE0EEENS1_30default_config_static_selectorELNS0_4arch9wavefront6targetE0EEEvT1_
	.p2align	8
	.type	_ZN7rocprim17ROCPRIM_400000_NS6detail17trampoline_kernelINS0_14default_configENS1_25partition_config_selectorILNS1_17partition_subalgoE6ExNS0_10empty_typeEbEEZZNS1_14partition_implILS5_6ELb0ES3_mN6thrust23THRUST_200600_302600_NS6detail15normal_iteratorINSA_10device_ptrIxEEEEPS6_SG_NS0_5tupleIJSF_S6_EEENSH_IJSG_SG_EEES6_PlJNSB_9not_fun_tI7is_evenIxEEEEEE10hipError_tPvRmT3_T4_T5_T6_T7_T9_mT8_P12ihipStream_tbDpT10_ENKUlT_T0_E_clISt17integral_constantIbLb0EES18_EEDaS13_S14_EUlS13_E_NS1_11comp_targetILNS1_3genE9ELNS1_11target_archE1100ELNS1_3gpuE3ELNS1_3repE0EEENS1_30default_config_static_selectorELNS0_4arch9wavefront6targetE0EEEvT1_,@function
_ZN7rocprim17ROCPRIM_400000_NS6detail17trampoline_kernelINS0_14default_configENS1_25partition_config_selectorILNS1_17partition_subalgoE6ExNS0_10empty_typeEbEEZZNS1_14partition_implILS5_6ELb0ES3_mN6thrust23THRUST_200600_302600_NS6detail15normal_iteratorINSA_10device_ptrIxEEEEPS6_SG_NS0_5tupleIJSF_S6_EEENSH_IJSG_SG_EEES6_PlJNSB_9not_fun_tI7is_evenIxEEEEEE10hipError_tPvRmT3_T4_T5_T6_T7_T9_mT8_P12ihipStream_tbDpT10_ENKUlT_T0_E_clISt17integral_constantIbLb0EES18_EEDaS13_S14_EUlS13_E_NS1_11comp_targetILNS1_3genE9ELNS1_11target_archE1100ELNS1_3gpuE3ELNS1_3repE0EEENS1_30default_config_static_selectorELNS0_4arch9wavefront6targetE0EEEvT1_: ; @_ZN7rocprim17ROCPRIM_400000_NS6detail17trampoline_kernelINS0_14default_configENS1_25partition_config_selectorILNS1_17partition_subalgoE6ExNS0_10empty_typeEbEEZZNS1_14partition_implILS5_6ELb0ES3_mN6thrust23THRUST_200600_302600_NS6detail15normal_iteratorINSA_10device_ptrIxEEEEPS6_SG_NS0_5tupleIJSF_S6_EEENSH_IJSG_SG_EEES6_PlJNSB_9not_fun_tI7is_evenIxEEEEEE10hipError_tPvRmT3_T4_T5_T6_T7_T9_mT8_P12ihipStream_tbDpT10_ENKUlT_T0_E_clISt17integral_constantIbLb0EES18_EEDaS13_S14_EUlS13_E_NS1_11comp_targetILNS1_3genE9ELNS1_11target_archE1100ELNS1_3gpuE3ELNS1_3repE0EEENS1_30default_config_static_selectorELNS0_4arch9wavefront6targetE0EEEvT1_
; %bb.0:
	.section	.rodata,"a",@progbits
	.p2align	6, 0x0
	.amdhsa_kernel _ZN7rocprim17ROCPRIM_400000_NS6detail17trampoline_kernelINS0_14default_configENS1_25partition_config_selectorILNS1_17partition_subalgoE6ExNS0_10empty_typeEbEEZZNS1_14partition_implILS5_6ELb0ES3_mN6thrust23THRUST_200600_302600_NS6detail15normal_iteratorINSA_10device_ptrIxEEEEPS6_SG_NS0_5tupleIJSF_S6_EEENSH_IJSG_SG_EEES6_PlJNSB_9not_fun_tI7is_evenIxEEEEEE10hipError_tPvRmT3_T4_T5_T6_T7_T9_mT8_P12ihipStream_tbDpT10_ENKUlT_T0_E_clISt17integral_constantIbLb0EES18_EEDaS13_S14_EUlS13_E_NS1_11comp_targetILNS1_3genE9ELNS1_11target_archE1100ELNS1_3gpuE3ELNS1_3repE0EEENS1_30default_config_static_selectorELNS0_4arch9wavefront6targetE0EEEvT1_
		.amdhsa_group_segment_fixed_size 0
		.amdhsa_private_segment_fixed_size 0
		.amdhsa_kernarg_size 112
		.amdhsa_user_sgpr_count 2
		.amdhsa_user_sgpr_dispatch_ptr 0
		.amdhsa_user_sgpr_queue_ptr 0
		.amdhsa_user_sgpr_kernarg_segment_ptr 1
		.amdhsa_user_sgpr_dispatch_id 0
		.amdhsa_user_sgpr_private_segment_size 0
		.amdhsa_wavefront_size32 1
		.amdhsa_uses_dynamic_stack 0
		.amdhsa_enable_private_segment 0
		.amdhsa_system_sgpr_workgroup_id_x 1
		.amdhsa_system_sgpr_workgroup_id_y 0
		.amdhsa_system_sgpr_workgroup_id_z 0
		.amdhsa_system_sgpr_workgroup_info 0
		.amdhsa_system_vgpr_workitem_id 0
		.amdhsa_next_free_vgpr 1
		.amdhsa_next_free_sgpr 1
		.amdhsa_reserve_vcc 0
		.amdhsa_float_round_mode_32 0
		.amdhsa_float_round_mode_16_64 0
		.amdhsa_float_denorm_mode_32 3
		.amdhsa_float_denorm_mode_16_64 3
		.amdhsa_fp16_overflow 0
		.amdhsa_workgroup_processor_mode 1
		.amdhsa_memory_ordered 1
		.amdhsa_forward_progress 1
		.amdhsa_inst_pref_size 0
		.amdhsa_round_robin_scheduling 0
		.amdhsa_exception_fp_ieee_invalid_op 0
		.amdhsa_exception_fp_denorm_src 0
		.amdhsa_exception_fp_ieee_div_zero 0
		.amdhsa_exception_fp_ieee_overflow 0
		.amdhsa_exception_fp_ieee_underflow 0
		.amdhsa_exception_fp_ieee_inexact 0
		.amdhsa_exception_int_div_zero 0
	.end_amdhsa_kernel
	.section	.text._ZN7rocprim17ROCPRIM_400000_NS6detail17trampoline_kernelINS0_14default_configENS1_25partition_config_selectorILNS1_17partition_subalgoE6ExNS0_10empty_typeEbEEZZNS1_14partition_implILS5_6ELb0ES3_mN6thrust23THRUST_200600_302600_NS6detail15normal_iteratorINSA_10device_ptrIxEEEEPS6_SG_NS0_5tupleIJSF_S6_EEENSH_IJSG_SG_EEES6_PlJNSB_9not_fun_tI7is_evenIxEEEEEE10hipError_tPvRmT3_T4_T5_T6_T7_T9_mT8_P12ihipStream_tbDpT10_ENKUlT_T0_E_clISt17integral_constantIbLb0EES18_EEDaS13_S14_EUlS13_E_NS1_11comp_targetILNS1_3genE9ELNS1_11target_archE1100ELNS1_3gpuE3ELNS1_3repE0EEENS1_30default_config_static_selectorELNS0_4arch9wavefront6targetE0EEEvT1_,"axG",@progbits,_ZN7rocprim17ROCPRIM_400000_NS6detail17trampoline_kernelINS0_14default_configENS1_25partition_config_selectorILNS1_17partition_subalgoE6ExNS0_10empty_typeEbEEZZNS1_14partition_implILS5_6ELb0ES3_mN6thrust23THRUST_200600_302600_NS6detail15normal_iteratorINSA_10device_ptrIxEEEEPS6_SG_NS0_5tupleIJSF_S6_EEENSH_IJSG_SG_EEES6_PlJNSB_9not_fun_tI7is_evenIxEEEEEE10hipError_tPvRmT3_T4_T5_T6_T7_T9_mT8_P12ihipStream_tbDpT10_ENKUlT_T0_E_clISt17integral_constantIbLb0EES18_EEDaS13_S14_EUlS13_E_NS1_11comp_targetILNS1_3genE9ELNS1_11target_archE1100ELNS1_3gpuE3ELNS1_3repE0EEENS1_30default_config_static_selectorELNS0_4arch9wavefront6targetE0EEEvT1_,comdat
.Lfunc_end699:
	.size	_ZN7rocprim17ROCPRIM_400000_NS6detail17trampoline_kernelINS0_14default_configENS1_25partition_config_selectorILNS1_17partition_subalgoE6ExNS0_10empty_typeEbEEZZNS1_14partition_implILS5_6ELb0ES3_mN6thrust23THRUST_200600_302600_NS6detail15normal_iteratorINSA_10device_ptrIxEEEEPS6_SG_NS0_5tupleIJSF_S6_EEENSH_IJSG_SG_EEES6_PlJNSB_9not_fun_tI7is_evenIxEEEEEE10hipError_tPvRmT3_T4_T5_T6_T7_T9_mT8_P12ihipStream_tbDpT10_ENKUlT_T0_E_clISt17integral_constantIbLb0EES18_EEDaS13_S14_EUlS13_E_NS1_11comp_targetILNS1_3genE9ELNS1_11target_archE1100ELNS1_3gpuE3ELNS1_3repE0EEENS1_30default_config_static_selectorELNS0_4arch9wavefront6targetE0EEEvT1_, .Lfunc_end699-_ZN7rocprim17ROCPRIM_400000_NS6detail17trampoline_kernelINS0_14default_configENS1_25partition_config_selectorILNS1_17partition_subalgoE6ExNS0_10empty_typeEbEEZZNS1_14partition_implILS5_6ELb0ES3_mN6thrust23THRUST_200600_302600_NS6detail15normal_iteratorINSA_10device_ptrIxEEEEPS6_SG_NS0_5tupleIJSF_S6_EEENSH_IJSG_SG_EEES6_PlJNSB_9not_fun_tI7is_evenIxEEEEEE10hipError_tPvRmT3_T4_T5_T6_T7_T9_mT8_P12ihipStream_tbDpT10_ENKUlT_T0_E_clISt17integral_constantIbLb0EES18_EEDaS13_S14_EUlS13_E_NS1_11comp_targetILNS1_3genE9ELNS1_11target_archE1100ELNS1_3gpuE3ELNS1_3repE0EEENS1_30default_config_static_selectorELNS0_4arch9wavefront6targetE0EEEvT1_
                                        ; -- End function
	.set _ZN7rocprim17ROCPRIM_400000_NS6detail17trampoline_kernelINS0_14default_configENS1_25partition_config_selectorILNS1_17partition_subalgoE6ExNS0_10empty_typeEbEEZZNS1_14partition_implILS5_6ELb0ES3_mN6thrust23THRUST_200600_302600_NS6detail15normal_iteratorINSA_10device_ptrIxEEEEPS6_SG_NS0_5tupleIJSF_S6_EEENSH_IJSG_SG_EEES6_PlJNSB_9not_fun_tI7is_evenIxEEEEEE10hipError_tPvRmT3_T4_T5_T6_T7_T9_mT8_P12ihipStream_tbDpT10_ENKUlT_T0_E_clISt17integral_constantIbLb0EES18_EEDaS13_S14_EUlS13_E_NS1_11comp_targetILNS1_3genE9ELNS1_11target_archE1100ELNS1_3gpuE3ELNS1_3repE0EEENS1_30default_config_static_selectorELNS0_4arch9wavefront6targetE0EEEvT1_.num_vgpr, 0
	.set _ZN7rocprim17ROCPRIM_400000_NS6detail17trampoline_kernelINS0_14default_configENS1_25partition_config_selectorILNS1_17partition_subalgoE6ExNS0_10empty_typeEbEEZZNS1_14partition_implILS5_6ELb0ES3_mN6thrust23THRUST_200600_302600_NS6detail15normal_iteratorINSA_10device_ptrIxEEEEPS6_SG_NS0_5tupleIJSF_S6_EEENSH_IJSG_SG_EEES6_PlJNSB_9not_fun_tI7is_evenIxEEEEEE10hipError_tPvRmT3_T4_T5_T6_T7_T9_mT8_P12ihipStream_tbDpT10_ENKUlT_T0_E_clISt17integral_constantIbLb0EES18_EEDaS13_S14_EUlS13_E_NS1_11comp_targetILNS1_3genE9ELNS1_11target_archE1100ELNS1_3gpuE3ELNS1_3repE0EEENS1_30default_config_static_selectorELNS0_4arch9wavefront6targetE0EEEvT1_.num_agpr, 0
	.set _ZN7rocprim17ROCPRIM_400000_NS6detail17trampoline_kernelINS0_14default_configENS1_25partition_config_selectorILNS1_17partition_subalgoE6ExNS0_10empty_typeEbEEZZNS1_14partition_implILS5_6ELb0ES3_mN6thrust23THRUST_200600_302600_NS6detail15normal_iteratorINSA_10device_ptrIxEEEEPS6_SG_NS0_5tupleIJSF_S6_EEENSH_IJSG_SG_EEES6_PlJNSB_9not_fun_tI7is_evenIxEEEEEE10hipError_tPvRmT3_T4_T5_T6_T7_T9_mT8_P12ihipStream_tbDpT10_ENKUlT_T0_E_clISt17integral_constantIbLb0EES18_EEDaS13_S14_EUlS13_E_NS1_11comp_targetILNS1_3genE9ELNS1_11target_archE1100ELNS1_3gpuE3ELNS1_3repE0EEENS1_30default_config_static_selectorELNS0_4arch9wavefront6targetE0EEEvT1_.numbered_sgpr, 0
	.set _ZN7rocprim17ROCPRIM_400000_NS6detail17trampoline_kernelINS0_14default_configENS1_25partition_config_selectorILNS1_17partition_subalgoE6ExNS0_10empty_typeEbEEZZNS1_14partition_implILS5_6ELb0ES3_mN6thrust23THRUST_200600_302600_NS6detail15normal_iteratorINSA_10device_ptrIxEEEEPS6_SG_NS0_5tupleIJSF_S6_EEENSH_IJSG_SG_EEES6_PlJNSB_9not_fun_tI7is_evenIxEEEEEE10hipError_tPvRmT3_T4_T5_T6_T7_T9_mT8_P12ihipStream_tbDpT10_ENKUlT_T0_E_clISt17integral_constantIbLb0EES18_EEDaS13_S14_EUlS13_E_NS1_11comp_targetILNS1_3genE9ELNS1_11target_archE1100ELNS1_3gpuE3ELNS1_3repE0EEENS1_30default_config_static_selectorELNS0_4arch9wavefront6targetE0EEEvT1_.num_named_barrier, 0
	.set _ZN7rocprim17ROCPRIM_400000_NS6detail17trampoline_kernelINS0_14default_configENS1_25partition_config_selectorILNS1_17partition_subalgoE6ExNS0_10empty_typeEbEEZZNS1_14partition_implILS5_6ELb0ES3_mN6thrust23THRUST_200600_302600_NS6detail15normal_iteratorINSA_10device_ptrIxEEEEPS6_SG_NS0_5tupleIJSF_S6_EEENSH_IJSG_SG_EEES6_PlJNSB_9not_fun_tI7is_evenIxEEEEEE10hipError_tPvRmT3_T4_T5_T6_T7_T9_mT8_P12ihipStream_tbDpT10_ENKUlT_T0_E_clISt17integral_constantIbLb0EES18_EEDaS13_S14_EUlS13_E_NS1_11comp_targetILNS1_3genE9ELNS1_11target_archE1100ELNS1_3gpuE3ELNS1_3repE0EEENS1_30default_config_static_selectorELNS0_4arch9wavefront6targetE0EEEvT1_.private_seg_size, 0
	.set _ZN7rocprim17ROCPRIM_400000_NS6detail17trampoline_kernelINS0_14default_configENS1_25partition_config_selectorILNS1_17partition_subalgoE6ExNS0_10empty_typeEbEEZZNS1_14partition_implILS5_6ELb0ES3_mN6thrust23THRUST_200600_302600_NS6detail15normal_iteratorINSA_10device_ptrIxEEEEPS6_SG_NS0_5tupleIJSF_S6_EEENSH_IJSG_SG_EEES6_PlJNSB_9not_fun_tI7is_evenIxEEEEEE10hipError_tPvRmT3_T4_T5_T6_T7_T9_mT8_P12ihipStream_tbDpT10_ENKUlT_T0_E_clISt17integral_constantIbLb0EES18_EEDaS13_S14_EUlS13_E_NS1_11comp_targetILNS1_3genE9ELNS1_11target_archE1100ELNS1_3gpuE3ELNS1_3repE0EEENS1_30default_config_static_selectorELNS0_4arch9wavefront6targetE0EEEvT1_.uses_vcc, 0
	.set _ZN7rocprim17ROCPRIM_400000_NS6detail17trampoline_kernelINS0_14default_configENS1_25partition_config_selectorILNS1_17partition_subalgoE6ExNS0_10empty_typeEbEEZZNS1_14partition_implILS5_6ELb0ES3_mN6thrust23THRUST_200600_302600_NS6detail15normal_iteratorINSA_10device_ptrIxEEEEPS6_SG_NS0_5tupleIJSF_S6_EEENSH_IJSG_SG_EEES6_PlJNSB_9not_fun_tI7is_evenIxEEEEEE10hipError_tPvRmT3_T4_T5_T6_T7_T9_mT8_P12ihipStream_tbDpT10_ENKUlT_T0_E_clISt17integral_constantIbLb0EES18_EEDaS13_S14_EUlS13_E_NS1_11comp_targetILNS1_3genE9ELNS1_11target_archE1100ELNS1_3gpuE3ELNS1_3repE0EEENS1_30default_config_static_selectorELNS0_4arch9wavefront6targetE0EEEvT1_.uses_flat_scratch, 0
	.set _ZN7rocprim17ROCPRIM_400000_NS6detail17trampoline_kernelINS0_14default_configENS1_25partition_config_selectorILNS1_17partition_subalgoE6ExNS0_10empty_typeEbEEZZNS1_14partition_implILS5_6ELb0ES3_mN6thrust23THRUST_200600_302600_NS6detail15normal_iteratorINSA_10device_ptrIxEEEEPS6_SG_NS0_5tupleIJSF_S6_EEENSH_IJSG_SG_EEES6_PlJNSB_9not_fun_tI7is_evenIxEEEEEE10hipError_tPvRmT3_T4_T5_T6_T7_T9_mT8_P12ihipStream_tbDpT10_ENKUlT_T0_E_clISt17integral_constantIbLb0EES18_EEDaS13_S14_EUlS13_E_NS1_11comp_targetILNS1_3genE9ELNS1_11target_archE1100ELNS1_3gpuE3ELNS1_3repE0EEENS1_30default_config_static_selectorELNS0_4arch9wavefront6targetE0EEEvT1_.has_dyn_sized_stack, 0
	.set _ZN7rocprim17ROCPRIM_400000_NS6detail17trampoline_kernelINS0_14default_configENS1_25partition_config_selectorILNS1_17partition_subalgoE6ExNS0_10empty_typeEbEEZZNS1_14partition_implILS5_6ELb0ES3_mN6thrust23THRUST_200600_302600_NS6detail15normal_iteratorINSA_10device_ptrIxEEEEPS6_SG_NS0_5tupleIJSF_S6_EEENSH_IJSG_SG_EEES6_PlJNSB_9not_fun_tI7is_evenIxEEEEEE10hipError_tPvRmT3_T4_T5_T6_T7_T9_mT8_P12ihipStream_tbDpT10_ENKUlT_T0_E_clISt17integral_constantIbLb0EES18_EEDaS13_S14_EUlS13_E_NS1_11comp_targetILNS1_3genE9ELNS1_11target_archE1100ELNS1_3gpuE3ELNS1_3repE0EEENS1_30default_config_static_selectorELNS0_4arch9wavefront6targetE0EEEvT1_.has_recursion, 0
	.set _ZN7rocprim17ROCPRIM_400000_NS6detail17trampoline_kernelINS0_14default_configENS1_25partition_config_selectorILNS1_17partition_subalgoE6ExNS0_10empty_typeEbEEZZNS1_14partition_implILS5_6ELb0ES3_mN6thrust23THRUST_200600_302600_NS6detail15normal_iteratorINSA_10device_ptrIxEEEEPS6_SG_NS0_5tupleIJSF_S6_EEENSH_IJSG_SG_EEES6_PlJNSB_9not_fun_tI7is_evenIxEEEEEE10hipError_tPvRmT3_T4_T5_T6_T7_T9_mT8_P12ihipStream_tbDpT10_ENKUlT_T0_E_clISt17integral_constantIbLb0EES18_EEDaS13_S14_EUlS13_E_NS1_11comp_targetILNS1_3genE9ELNS1_11target_archE1100ELNS1_3gpuE3ELNS1_3repE0EEENS1_30default_config_static_selectorELNS0_4arch9wavefront6targetE0EEEvT1_.has_indirect_call, 0
	.section	.AMDGPU.csdata,"",@progbits
; Kernel info:
; codeLenInByte = 0
; TotalNumSgprs: 0
; NumVgprs: 0
; ScratchSize: 0
; MemoryBound: 0
; FloatMode: 240
; IeeeMode: 1
; LDSByteSize: 0 bytes/workgroup (compile time only)
; SGPRBlocks: 0
; VGPRBlocks: 0
; NumSGPRsForWavesPerEU: 1
; NumVGPRsForWavesPerEU: 1
; Occupancy: 16
; WaveLimiterHint : 0
; COMPUTE_PGM_RSRC2:SCRATCH_EN: 0
; COMPUTE_PGM_RSRC2:USER_SGPR: 2
; COMPUTE_PGM_RSRC2:TRAP_HANDLER: 0
; COMPUTE_PGM_RSRC2:TGID_X_EN: 1
; COMPUTE_PGM_RSRC2:TGID_Y_EN: 0
; COMPUTE_PGM_RSRC2:TGID_Z_EN: 0
; COMPUTE_PGM_RSRC2:TIDIG_COMP_CNT: 0
	.section	.text._ZN7rocprim17ROCPRIM_400000_NS6detail17trampoline_kernelINS0_14default_configENS1_25partition_config_selectorILNS1_17partition_subalgoE6ExNS0_10empty_typeEbEEZZNS1_14partition_implILS5_6ELb0ES3_mN6thrust23THRUST_200600_302600_NS6detail15normal_iteratorINSA_10device_ptrIxEEEEPS6_SG_NS0_5tupleIJSF_S6_EEENSH_IJSG_SG_EEES6_PlJNSB_9not_fun_tI7is_evenIxEEEEEE10hipError_tPvRmT3_T4_T5_T6_T7_T9_mT8_P12ihipStream_tbDpT10_ENKUlT_T0_E_clISt17integral_constantIbLb0EES18_EEDaS13_S14_EUlS13_E_NS1_11comp_targetILNS1_3genE8ELNS1_11target_archE1030ELNS1_3gpuE2ELNS1_3repE0EEENS1_30default_config_static_selectorELNS0_4arch9wavefront6targetE0EEEvT1_,"axG",@progbits,_ZN7rocprim17ROCPRIM_400000_NS6detail17trampoline_kernelINS0_14default_configENS1_25partition_config_selectorILNS1_17partition_subalgoE6ExNS0_10empty_typeEbEEZZNS1_14partition_implILS5_6ELb0ES3_mN6thrust23THRUST_200600_302600_NS6detail15normal_iteratorINSA_10device_ptrIxEEEEPS6_SG_NS0_5tupleIJSF_S6_EEENSH_IJSG_SG_EEES6_PlJNSB_9not_fun_tI7is_evenIxEEEEEE10hipError_tPvRmT3_T4_T5_T6_T7_T9_mT8_P12ihipStream_tbDpT10_ENKUlT_T0_E_clISt17integral_constantIbLb0EES18_EEDaS13_S14_EUlS13_E_NS1_11comp_targetILNS1_3genE8ELNS1_11target_archE1030ELNS1_3gpuE2ELNS1_3repE0EEENS1_30default_config_static_selectorELNS0_4arch9wavefront6targetE0EEEvT1_,comdat
	.protected	_ZN7rocprim17ROCPRIM_400000_NS6detail17trampoline_kernelINS0_14default_configENS1_25partition_config_selectorILNS1_17partition_subalgoE6ExNS0_10empty_typeEbEEZZNS1_14partition_implILS5_6ELb0ES3_mN6thrust23THRUST_200600_302600_NS6detail15normal_iteratorINSA_10device_ptrIxEEEEPS6_SG_NS0_5tupleIJSF_S6_EEENSH_IJSG_SG_EEES6_PlJNSB_9not_fun_tI7is_evenIxEEEEEE10hipError_tPvRmT3_T4_T5_T6_T7_T9_mT8_P12ihipStream_tbDpT10_ENKUlT_T0_E_clISt17integral_constantIbLb0EES18_EEDaS13_S14_EUlS13_E_NS1_11comp_targetILNS1_3genE8ELNS1_11target_archE1030ELNS1_3gpuE2ELNS1_3repE0EEENS1_30default_config_static_selectorELNS0_4arch9wavefront6targetE0EEEvT1_ ; -- Begin function _ZN7rocprim17ROCPRIM_400000_NS6detail17trampoline_kernelINS0_14default_configENS1_25partition_config_selectorILNS1_17partition_subalgoE6ExNS0_10empty_typeEbEEZZNS1_14partition_implILS5_6ELb0ES3_mN6thrust23THRUST_200600_302600_NS6detail15normal_iteratorINSA_10device_ptrIxEEEEPS6_SG_NS0_5tupleIJSF_S6_EEENSH_IJSG_SG_EEES6_PlJNSB_9not_fun_tI7is_evenIxEEEEEE10hipError_tPvRmT3_T4_T5_T6_T7_T9_mT8_P12ihipStream_tbDpT10_ENKUlT_T0_E_clISt17integral_constantIbLb0EES18_EEDaS13_S14_EUlS13_E_NS1_11comp_targetILNS1_3genE8ELNS1_11target_archE1030ELNS1_3gpuE2ELNS1_3repE0EEENS1_30default_config_static_selectorELNS0_4arch9wavefront6targetE0EEEvT1_
	.globl	_ZN7rocprim17ROCPRIM_400000_NS6detail17trampoline_kernelINS0_14default_configENS1_25partition_config_selectorILNS1_17partition_subalgoE6ExNS0_10empty_typeEbEEZZNS1_14partition_implILS5_6ELb0ES3_mN6thrust23THRUST_200600_302600_NS6detail15normal_iteratorINSA_10device_ptrIxEEEEPS6_SG_NS0_5tupleIJSF_S6_EEENSH_IJSG_SG_EEES6_PlJNSB_9not_fun_tI7is_evenIxEEEEEE10hipError_tPvRmT3_T4_T5_T6_T7_T9_mT8_P12ihipStream_tbDpT10_ENKUlT_T0_E_clISt17integral_constantIbLb0EES18_EEDaS13_S14_EUlS13_E_NS1_11comp_targetILNS1_3genE8ELNS1_11target_archE1030ELNS1_3gpuE2ELNS1_3repE0EEENS1_30default_config_static_selectorELNS0_4arch9wavefront6targetE0EEEvT1_
	.p2align	8
	.type	_ZN7rocprim17ROCPRIM_400000_NS6detail17trampoline_kernelINS0_14default_configENS1_25partition_config_selectorILNS1_17partition_subalgoE6ExNS0_10empty_typeEbEEZZNS1_14partition_implILS5_6ELb0ES3_mN6thrust23THRUST_200600_302600_NS6detail15normal_iteratorINSA_10device_ptrIxEEEEPS6_SG_NS0_5tupleIJSF_S6_EEENSH_IJSG_SG_EEES6_PlJNSB_9not_fun_tI7is_evenIxEEEEEE10hipError_tPvRmT3_T4_T5_T6_T7_T9_mT8_P12ihipStream_tbDpT10_ENKUlT_T0_E_clISt17integral_constantIbLb0EES18_EEDaS13_S14_EUlS13_E_NS1_11comp_targetILNS1_3genE8ELNS1_11target_archE1030ELNS1_3gpuE2ELNS1_3repE0EEENS1_30default_config_static_selectorELNS0_4arch9wavefront6targetE0EEEvT1_,@function
_ZN7rocprim17ROCPRIM_400000_NS6detail17trampoline_kernelINS0_14default_configENS1_25partition_config_selectorILNS1_17partition_subalgoE6ExNS0_10empty_typeEbEEZZNS1_14partition_implILS5_6ELb0ES3_mN6thrust23THRUST_200600_302600_NS6detail15normal_iteratorINSA_10device_ptrIxEEEEPS6_SG_NS0_5tupleIJSF_S6_EEENSH_IJSG_SG_EEES6_PlJNSB_9not_fun_tI7is_evenIxEEEEEE10hipError_tPvRmT3_T4_T5_T6_T7_T9_mT8_P12ihipStream_tbDpT10_ENKUlT_T0_E_clISt17integral_constantIbLb0EES18_EEDaS13_S14_EUlS13_E_NS1_11comp_targetILNS1_3genE8ELNS1_11target_archE1030ELNS1_3gpuE2ELNS1_3repE0EEENS1_30default_config_static_selectorELNS0_4arch9wavefront6targetE0EEEvT1_: ; @_ZN7rocprim17ROCPRIM_400000_NS6detail17trampoline_kernelINS0_14default_configENS1_25partition_config_selectorILNS1_17partition_subalgoE6ExNS0_10empty_typeEbEEZZNS1_14partition_implILS5_6ELb0ES3_mN6thrust23THRUST_200600_302600_NS6detail15normal_iteratorINSA_10device_ptrIxEEEEPS6_SG_NS0_5tupleIJSF_S6_EEENSH_IJSG_SG_EEES6_PlJNSB_9not_fun_tI7is_evenIxEEEEEE10hipError_tPvRmT3_T4_T5_T6_T7_T9_mT8_P12ihipStream_tbDpT10_ENKUlT_T0_E_clISt17integral_constantIbLb0EES18_EEDaS13_S14_EUlS13_E_NS1_11comp_targetILNS1_3genE8ELNS1_11target_archE1030ELNS1_3gpuE2ELNS1_3repE0EEENS1_30default_config_static_selectorELNS0_4arch9wavefront6targetE0EEEvT1_
; %bb.0:
	.section	.rodata,"a",@progbits
	.p2align	6, 0x0
	.amdhsa_kernel _ZN7rocprim17ROCPRIM_400000_NS6detail17trampoline_kernelINS0_14default_configENS1_25partition_config_selectorILNS1_17partition_subalgoE6ExNS0_10empty_typeEbEEZZNS1_14partition_implILS5_6ELb0ES3_mN6thrust23THRUST_200600_302600_NS6detail15normal_iteratorINSA_10device_ptrIxEEEEPS6_SG_NS0_5tupleIJSF_S6_EEENSH_IJSG_SG_EEES6_PlJNSB_9not_fun_tI7is_evenIxEEEEEE10hipError_tPvRmT3_T4_T5_T6_T7_T9_mT8_P12ihipStream_tbDpT10_ENKUlT_T0_E_clISt17integral_constantIbLb0EES18_EEDaS13_S14_EUlS13_E_NS1_11comp_targetILNS1_3genE8ELNS1_11target_archE1030ELNS1_3gpuE2ELNS1_3repE0EEENS1_30default_config_static_selectorELNS0_4arch9wavefront6targetE0EEEvT1_
		.amdhsa_group_segment_fixed_size 0
		.amdhsa_private_segment_fixed_size 0
		.amdhsa_kernarg_size 112
		.amdhsa_user_sgpr_count 2
		.amdhsa_user_sgpr_dispatch_ptr 0
		.amdhsa_user_sgpr_queue_ptr 0
		.amdhsa_user_sgpr_kernarg_segment_ptr 1
		.amdhsa_user_sgpr_dispatch_id 0
		.amdhsa_user_sgpr_private_segment_size 0
		.amdhsa_wavefront_size32 1
		.amdhsa_uses_dynamic_stack 0
		.amdhsa_enable_private_segment 0
		.amdhsa_system_sgpr_workgroup_id_x 1
		.amdhsa_system_sgpr_workgroup_id_y 0
		.amdhsa_system_sgpr_workgroup_id_z 0
		.amdhsa_system_sgpr_workgroup_info 0
		.amdhsa_system_vgpr_workitem_id 0
		.amdhsa_next_free_vgpr 1
		.amdhsa_next_free_sgpr 1
		.amdhsa_reserve_vcc 0
		.amdhsa_float_round_mode_32 0
		.amdhsa_float_round_mode_16_64 0
		.amdhsa_float_denorm_mode_32 3
		.amdhsa_float_denorm_mode_16_64 3
		.amdhsa_fp16_overflow 0
		.amdhsa_workgroup_processor_mode 1
		.amdhsa_memory_ordered 1
		.amdhsa_forward_progress 1
		.amdhsa_inst_pref_size 0
		.amdhsa_round_robin_scheduling 0
		.amdhsa_exception_fp_ieee_invalid_op 0
		.amdhsa_exception_fp_denorm_src 0
		.amdhsa_exception_fp_ieee_div_zero 0
		.amdhsa_exception_fp_ieee_overflow 0
		.amdhsa_exception_fp_ieee_underflow 0
		.amdhsa_exception_fp_ieee_inexact 0
		.amdhsa_exception_int_div_zero 0
	.end_amdhsa_kernel
	.section	.text._ZN7rocprim17ROCPRIM_400000_NS6detail17trampoline_kernelINS0_14default_configENS1_25partition_config_selectorILNS1_17partition_subalgoE6ExNS0_10empty_typeEbEEZZNS1_14partition_implILS5_6ELb0ES3_mN6thrust23THRUST_200600_302600_NS6detail15normal_iteratorINSA_10device_ptrIxEEEEPS6_SG_NS0_5tupleIJSF_S6_EEENSH_IJSG_SG_EEES6_PlJNSB_9not_fun_tI7is_evenIxEEEEEE10hipError_tPvRmT3_T4_T5_T6_T7_T9_mT8_P12ihipStream_tbDpT10_ENKUlT_T0_E_clISt17integral_constantIbLb0EES18_EEDaS13_S14_EUlS13_E_NS1_11comp_targetILNS1_3genE8ELNS1_11target_archE1030ELNS1_3gpuE2ELNS1_3repE0EEENS1_30default_config_static_selectorELNS0_4arch9wavefront6targetE0EEEvT1_,"axG",@progbits,_ZN7rocprim17ROCPRIM_400000_NS6detail17trampoline_kernelINS0_14default_configENS1_25partition_config_selectorILNS1_17partition_subalgoE6ExNS0_10empty_typeEbEEZZNS1_14partition_implILS5_6ELb0ES3_mN6thrust23THRUST_200600_302600_NS6detail15normal_iteratorINSA_10device_ptrIxEEEEPS6_SG_NS0_5tupleIJSF_S6_EEENSH_IJSG_SG_EEES6_PlJNSB_9not_fun_tI7is_evenIxEEEEEE10hipError_tPvRmT3_T4_T5_T6_T7_T9_mT8_P12ihipStream_tbDpT10_ENKUlT_T0_E_clISt17integral_constantIbLb0EES18_EEDaS13_S14_EUlS13_E_NS1_11comp_targetILNS1_3genE8ELNS1_11target_archE1030ELNS1_3gpuE2ELNS1_3repE0EEENS1_30default_config_static_selectorELNS0_4arch9wavefront6targetE0EEEvT1_,comdat
.Lfunc_end700:
	.size	_ZN7rocprim17ROCPRIM_400000_NS6detail17trampoline_kernelINS0_14default_configENS1_25partition_config_selectorILNS1_17partition_subalgoE6ExNS0_10empty_typeEbEEZZNS1_14partition_implILS5_6ELb0ES3_mN6thrust23THRUST_200600_302600_NS6detail15normal_iteratorINSA_10device_ptrIxEEEEPS6_SG_NS0_5tupleIJSF_S6_EEENSH_IJSG_SG_EEES6_PlJNSB_9not_fun_tI7is_evenIxEEEEEE10hipError_tPvRmT3_T4_T5_T6_T7_T9_mT8_P12ihipStream_tbDpT10_ENKUlT_T0_E_clISt17integral_constantIbLb0EES18_EEDaS13_S14_EUlS13_E_NS1_11comp_targetILNS1_3genE8ELNS1_11target_archE1030ELNS1_3gpuE2ELNS1_3repE0EEENS1_30default_config_static_selectorELNS0_4arch9wavefront6targetE0EEEvT1_, .Lfunc_end700-_ZN7rocprim17ROCPRIM_400000_NS6detail17trampoline_kernelINS0_14default_configENS1_25partition_config_selectorILNS1_17partition_subalgoE6ExNS0_10empty_typeEbEEZZNS1_14partition_implILS5_6ELb0ES3_mN6thrust23THRUST_200600_302600_NS6detail15normal_iteratorINSA_10device_ptrIxEEEEPS6_SG_NS0_5tupleIJSF_S6_EEENSH_IJSG_SG_EEES6_PlJNSB_9not_fun_tI7is_evenIxEEEEEE10hipError_tPvRmT3_T4_T5_T6_T7_T9_mT8_P12ihipStream_tbDpT10_ENKUlT_T0_E_clISt17integral_constantIbLb0EES18_EEDaS13_S14_EUlS13_E_NS1_11comp_targetILNS1_3genE8ELNS1_11target_archE1030ELNS1_3gpuE2ELNS1_3repE0EEENS1_30default_config_static_selectorELNS0_4arch9wavefront6targetE0EEEvT1_
                                        ; -- End function
	.set _ZN7rocprim17ROCPRIM_400000_NS6detail17trampoline_kernelINS0_14default_configENS1_25partition_config_selectorILNS1_17partition_subalgoE6ExNS0_10empty_typeEbEEZZNS1_14partition_implILS5_6ELb0ES3_mN6thrust23THRUST_200600_302600_NS6detail15normal_iteratorINSA_10device_ptrIxEEEEPS6_SG_NS0_5tupleIJSF_S6_EEENSH_IJSG_SG_EEES6_PlJNSB_9not_fun_tI7is_evenIxEEEEEE10hipError_tPvRmT3_T4_T5_T6_T7_T9_mT8_P12ihipStream_tbDpT10_ENKUlT_T0_E_clISt17integral_constantIbLb0EES18_EEDaS13_S14_EUlS13_E_NS1_11comp_targetILNS1_3genE8ELNS1_11target_archE1030ELNS1_3gpuE2ELNS1_3repE0EEENS1_30default_config_static_selectorELNS0_4arch9wavefront6targetE0EEEvT1_.num_vgpr, 0
	.set _ZN7rocprim17ROCPRIM_400000_NS6detail17trampoline_kernelINS0_14default_configENS1_25partition_config_selectorILNS1_17partition_subalgoE6ExNS0_10empty_typeEbEEZZNS1_14partition_implILS5_6ELb0ES3_mN6thrust23THRUST_200600_302600_NS6detail15normal_iteratorINSA_10device_ptrIxEEEEPS6_SG_NS0_5tupleIJSF_S6_EEENSH_IJSG_SG_EEES6_PlJNSB_9not_fun_tI7is_evenIxEEEEEE10hipError_tPvRmT3_T4_T5_T6_T7_T9_mT8_P12ihipStream_tbDpT10_ENKUlT_T0_E_clISt17integral_constantIbLb0EES18_EEDaS13_S14_EUlS13_E_NS1_11comp_targetILNS1_3genE8ELNS1_11target_archE1030ELNS1_3gpuE2ELNS1_3repE0EEENS1_30default_config_static_selectorELNS0_4arch9wavefront6targetE0EEEvT1_.num_agpr, 0
	.set _ZN7rocprim17ROCPRIM_400000_NS6detail17trampoline_kernelINS0_14default_configENS1_25partition_config_selectorILNS1_17partition_subalgoE6ExNS0_10empty_typeEbEEZZNS1_14partition_implILS5_6ELb0ES3_mN6thrust23THRUST_200600_302600_NS6detail15normal_iteratorINSA_10device_ptrIxEEEEPS6_SG_NS0_5tupleIJSF_S6_EEENSH_IJSG_SG_EEES6_PlJNSB_9not_fun_tI7is_evenIxEEEEEE10hipError_tPvRmT3_T4_T5_T6_T7_T9_mT8_P12ihipStream_tbDpT10_ENKUlT_T0_E_clISt17integral_constantIbLb0EES18_EEDaS13_S14_EUlS13_E_NS1_11comp_targetILNS1_3genE8ELNS1_11target_archE1030ELNS1_3gpuE2ELNS1_3repE0EEENS1_30default_config_static_selectorELNS0_4arch9wavefront6targetE0EEEvT1_.numbered_sgpr, 0
	.set _ZN7rocprim17ROCPRIM_400000_NS6detail17trampoline_kernelINS0_14default_configENS1_25partition_config_selectorILNS1_17partition_subalgoE6ExNS0_10empty_typeEbEEZZNS1_14partition_implILS5_6ELb0ES3_mN6thrust23THRUST_200600_302600_NS6detail15normal_iteratorINSA_10device_ptrIxEEEEPS6_SG_NS0_5tupleIJSF_S6_EEENSH_IJSG_SG_EEES6_PlJNSB_9not_fun_tI7is_evenIxEEEEEE10hipError_tPvRmT3_T4_T5_T6_T7_T9_mT8_P12ihipStream_tbDpT10_ENKUlT_T0_E_clISt17integral_constantIbLb0EES18_EEDaS13_S14_EUlS13_E_NS1_11comp_targetILNS1_3genE8ELNS1_11target_archE1030ELNS1_3gpuE2ELNS1_3repE0EEENS1_30default_config_static_selectorELNS0_4arch9wavefront6targetE0EEEvT1_.num_named_barrier, 0
	.set _ZN7rocprim17ROCPRIM_400000_NS6detail17trampoline_kernelINS0_14default_configENS1_25partition_config_selectorILNS1_17partition_subalgoE6ExNS0_10empty_typeEbEEZZNS1_14partition_implILS5_6ELb0ES3_mN6thrust23THRUST_200600_302600_NS6detail15normal_iteratorINSA_10device_ptrIxEEEEPS6_SG_NS0_5tupleIJSF_S6_EEENSH_IJSG_SG_EEES6_PlJNSB_9not_fun_tI7is_evenIxEEEEEE10hipError_tPvRmT3_T4_T5_T6_T7_T9_mT8_P12ihipStream_tbDpT10_ENKUlT_T0_E_clISt17integral_constantIbLb0EES18_EEDaS13_S14_EUlS13_E_NS1_11comp_targetILNS1_3genE8ELNS1_11target_archE1030ELNS1_3gpuE2ELNS1_3repE0EEENS1_30default_config_static_selectorELNS0_4arch9wavefront6targetE0EEEvT1_.private_seg_size, 0
	.set _ZN7rocprim17ROCPRIM_400000_NS6detail17trampoline_kernelINS0_14default_configENS1_25partition_config_selectorILNS1_17partition_subalgoE6ExNS0_10empty_typeEbEEZZNS1_14partition_implILS5_6ELb0ES3_mN6thrust23THRUST_200600_302600_NS6detail15normal_iteratorINSA_10device_ptrIxEEEEPS6_SG_NS0_5tupleIJSF_S6_EEENSH_IJSG_SG_EEES6_PlJNSB_9not_fun_tI7is_evenIxEEEEEE10hipError_tPvRmT3_T4_T5_T6_T7_T9_mT8_P12ihipStream_tbDpT10_ENKUlT_T0_E_clISt17integral_constantIbLb0EES18_EEDaS13_S14_EUlS13_E_NS1_11comp_targetILNS1_3genE8ELNS1_11target_archE1030ELNS1_3gpuE2ELNS1_3repE0EEENS1_30default_config_static_selectorELNS0_4arch9wavefront6targetE0EEEvT1_.uses_vcc, 0
	.set _ZN7rocprim17ROCPRIM_400000_NS6detail17trampoline_kernelINS0_14default_configENS1_25partition_config_selectorILNS1_17partition_subalgoE6ExNS0_10empty_typeEbEEZZNS1_14partition_implILS5_6ELb0ES3_mN6thrust23THRUST_200600_302600_NS6detail15normal_iteratorINSA_10device_ptrIxEEEEPS6_SG_NS0_5tupleIJSF_S6_EEENSH_IJSG_SG_EEES6_PlJNSB_9not_fun_tI7is_evenIxEEEEEE10hipError_tPvRmT3_T4_T5_T6_T7_T9_mT8_P12ihipStream_tbDpT10_ENKUlT_T0_E_clISt17integral_constantIbLb0EES18_EEDaS13_S14_EUlS13_E_NS1_11comp_targetILNS1_3genE8ELNS1_11target_archE1030ELNS1_3gpuE2ELNS1_3repE0EEENS1_30default_config_static_selectorELNS0_4arch9wavefront6targetE0EEEvT1_.uses_flat_scratch, 0
	.set _ZN7rocprim17ROCPRIM_400000_NS6detail17trampoline_kernelINS0_14default_configENS1_25partition_config_selectorILNS1_17partition_subalgoE6ExNS0_10empty_typeEbEEZZNS1_14partition_implILS5_6ELb0ES3_mN6thrust23THRUST_200600_302600_NS6detail15normal_iteratorINSA_10device_ptrIxEEEEPS6_SG_NS0_5tupleIJSF_S6_EEENSH_IJSG_SG_EEES6_PlJNSB_9not_fun_tI7is_evenIxEEEEEE10hipError_tPvRmT3_T4_T5_T6_T7_T9_mT8_P12ihipStream_tbDpT10_ENKUlT_T0_E_clISt17integral_constantIbLb0EES18_EEDaS13_S14_EUlS13_E_NS1_11comp_targetILNS1_3genE8ELNS1_11target_archE1030ELNS1_3gpuE2ELNS1_3repE0EEENS1_30default_config_static_selectorELNS0_4arch9wavefront6targetE0EEEvT1_.has_dyn_sized_stack, 0
	.set _ZN7rocprim17ROCPRIM_400000_NS6detail17trampoline_kernelINS0_14default_configENS1_25partition_config_selectorILNS1_17partition_subalgoE6ExNS0_10empty_typeEbEEZZNS1_14partition_implILS5_6ELb0ES3_mN6thrust23THRUST_200600_302600_NS6detail15normal_iteratorINSA_10device_ptrIxEEEEPS6_SG_NS0_5tupleIJSF_S6_EEENSH_IJSG_SG_EEES6_PlJNSB_9not_fun_tI7is_evenIxEEEEEE10hipError_tPvRmT3_T4_T5_T6_T7_T9_mT8_P12ihipStream_tbDpT10_ENKUlT_T0_E_clISt17integral_constantIbLb0EES18_EEDaS13_S14_EUlS13_E_NS1_11comp_targetILNS1_3genE8ELNS1_11target_archE1030ELNS1_3gpuE2ELNS1_3repE0EEENS1_30default_config_static_selectorELNS0_4arch9wavefront6targetE0EEEvT1_.has_recursion, 0
	.set _ZN7rocprim17ROCPRIM_400000_NS6detail17trampoline_kernelINS0_14default_configENS1_25partition_config_selectorILNS1_17partition_subalgoE6ExNS0_10empty_typeEbEEZZNS1_14partition_implILS5_6ELb0ES3_mN6thrust23THRUST_200600_302600_NS6detail15normal_iteratorINSA_10device_ptrIxEEEEPS6_SG_NS0_5tupleIJSF_S6_EEENSH_IJSG_SG_EEES6_PlJNSB_9not_fun_tI7is_evenIxEEEEEE10hipError_tPvRmT3_T4_T5_T6_T7_T9_mT8_P12ihipStream_tbDpT10_ENKUlT_T0_E_clISt17integral_constantIbLb0EES18_EEDaS13_S14_EUlS13_E_NS1_11comp_targetILNS1_3genE8ELNS1_11target_archE1030ELNS1_3gpuE2ELNS1_3repE0EEENS1_30default_config_static_selectorELNS0_4arch9wavefront6targetE0EEEvT1_.has_indirect_call, 0
	.section	.AMDGPU.csdata,"",@progbits
; Kernel info:
; codeLenInByte = 0
; TotalNumSgprs: 0
; NumVgprs: 0
; ScratchSize: 0
; MemoryBound: 0
; FloatMode: 240
; IeeeMode: 1
; LDSByteSize: 0 bytes/workgroup (compile time only)
; SGPRBlocks: 0
; VGPRBlocks: 0
; NumSGPRsForWavesPerEU: 1
; NumVGPRsForWavesPerEU: 1
; Occupancy: 16
; WaveLimiterHint : 0
; COMPUTE_PGM_RSRC2:SCRATCH_EN: 0
; COMPUTE_PGM_RSRC2:USER_SGPR: 2
; COMPUTE_PGM_RSRC2:TRAP_HANDLER: 0
; COMPUTE_PGM_RSRC2:TGID_X_EN: 1
; COMPUTE_PGM_RSRC2:TGID_Y_EN: 0
; COMPUTE_PGM_RSRC2:TGID_Z_EN: 0
; COMPUTE_PGM_RSRC2:TIDIG_COMP_CNT: 0
	.section	.text._ZN7rocprim17ROCPRIM_400000_NS6detail17trampoline_kernelINS0_14default_configENS1_25partition_config_selectorILNS1_17partition_subalgoE6ExNS0_10empty_typeEbEEZZNS1_14partition_implILS5_6ELb0ES3_mN6thrust23THRUST_200600_302600_NS6detail15normal_iteratorINSA_10device_ptrIxEEEEPS6_SG_NS0_5tupleIJSF_S6_EEENSH_IJSG_SG_EEES6_PlJNSB_9not_fun_tI7is_evenIxEEEEEE10hipError_tPvRmT3_T4_T5_T6_T7_T9_mT8_P12ihipStream_tbDpT10_ENKUlT_T0_E_clISt17integral_constantIbLb1EES18_EEDaS13_S14_EUlS13_E_NS1_11comp_targetILNS1_3genE0ELNS1_11target_archE4294967295ELNS1_3gpuE0ELNS1_3repE0EEENS1_30default_config_static_selectorELNS0_4arch9wavefront6targetE0EEEvT1_,"axG",@progbits,_ZN7rocprim17ROCPRIM_400000_NS6detail17trampoline_kernelINS0_14default_configENS1_25partition_config_selectorILNS1_17partition_subalgoE6ExNS0_10empty_typeEbEEZZNS1_14partition_implILS5_6ELb0ES3_mN6thrust23THRUST_200600_302600_NS6detail15normal_iteratorINSA_10device_ptrIxEEEEPS6_SG_NS0_5tupleIJSF_S6_EEENSH_IJSG_SG_EEES6_PlJNSB_9not_fun_tI7is_evenIxEEEEEE10hipError_tPvRmT3_T4_T5_T6_T7_T9_mT8_P12ihipStream_tbDpT10_ENKUlT_T0_E_clISt17integral_constantIbLb1EES18_EEDaS13_S14_EUlS13_E_NS1_11comp_targetILNS1_3genE0ELNS1_11target_archE4294967295ELNS1_3gpuE0ELNS1_3repE0EEENS1_30default_config_static_selectorELNS0_4arch9wavefront6targetE0EEEvT1_,comdat
	.protected	_ZN7rocprim17ROCPRIM_400000_NS6detail17trampoline_kernelINS0_14default_configENS1_25partition_config_selectorILNS1_17partition_subalgoE6ExNS0_10empty_typeEbEEZZNS1_14partition_implILS5_6ELb0ES3_mN6thrust23THRUST_200600_302600_NS6detail15normal_iteratorINSA_10device_ptrIxEEEEPS6_SG_NS0_5tupleIJSF_S6_EEENSH_IJSG_SG_EEES6_PlJNSB_9not_fun_tI7is_evenIxEEEEEE10hipError_tPvRmT3_T4_T5_T6_T7_T9_mT8_P12ihipStream_tbDpT10_ENKUlT_T0_E_clISt17integral_constantIbLb1EES18_EEDaS13_S14_EUlS13_E_NS1_11comp_targetILNS1_3genE0ELNS1_11target_archE4294967295ELNS1_3gpuE0ELNS1_3repE0EEENS1_30default_config_static_selectorELNS0_4arch9wavefront6targetE0EEEvT1_ ; -- Begin function _ZN7rocprim17ROCPRIM_400000_NS6detail17trampoline_kernelINS0_14default_configENS1_25partition_config_selectorILNS1_17partition_subalgoE6ExNS0_10empty_typeEbEEZZNS1_14partition_implILS5_6ELb0ES3_mN6thrust23THRUST_200600_302600_NS6detail15normal_iteratorINSA_10device_ptrIxEEEEPS6_SG_NS0_5tupleIJSF_S6_EEENSH_IJSG_SG_EEES6_PlJNSB_9not_fun_tI7is_evenIxEEEEEE10hipError_tPvRmT3_T4_T5_T6_T7_T9_mT8_P12ihipStream_tbDpT10_ENKUlT_T0_E_clISt17integral_constantIbLb1EES18_EEDaS13_S14_EUlS13_E_NS1_11comp_targetILNS1_3genE0ELNS1_11target_archE4294967295ELNS1_3gpuE0ELNS1_3repE0EEENS1_30default_config_static_selectorELNS0_4arch9wavefront6targetE0EEEvT1_
	.globl	_ZN7rocprim17ROCPRIM_400000_NS6detail17trampoline_kernelINS0_14default_configENS1_25partition_config_selectorILNS1_17partition_subalgoE6ExNS0_10empty_typeEbEEZZNS1_14partition_implILS5_6ELb0ES3_mN6thrust23THRUST_200600_302600_NS6detail15normal_iteratorINSA_10device_ptrIxEEEEPS6_SG_NS0_5tupleIJSF_S6_EEENSH_IJSG_SG_EEES6_PlJNSB_9not_fun_tI7is_evenIxEEEEEE10hipError_tPvRmT3_T4_T5_T6_T7_T9_mT8_P12ihipStream_tbDpT10_ENKUlT_T0_E_clISt17integral_constantIbLb1EES18_EEDaS13_S14_EUlS13_E_NS1_11comp_targetILNS1_3genE0ELNS1_11target_archE4294967295ELNS1_3gpuE0ELNS1_3repE0EEENS1_30default_config_static_selectorELNS0_4arch9wavefront6targetE0EEEvT1_
	.p2align	8
	.type	_ZN7rocprim17ROCPRIM_400000_NS6detail17trampoline_kernelINS0_14default_configENS1_25partition_config_selectorILNS1_17partition_subalgoE6ExNS0_10empty_typeEbEEZZNS1_14partition_implILS5_6ELb0ES3_mN6thrust23THRUST_200600_302600_NS6detail15normal_iteratorINSA_10device_ptrIxEEEEPS6_SG_NS0_5tupleIJSF_S6_EEENSH_IJSG_SG_EEES6_PlJNSB_9not_fun_tI7is_evenIxEEEEEE10hipError_tPvRmT3_T4_T5_T6_T7_T9_mT8_P12ihipStream_tbDpT10_ENKUlT_T0_E_clISt17integral_constantIbLb1EES18_EEDaS13_S14_EUlS13_E_NS1_11comp_targetILNS1_3genE0ELNS1_11target_archE4294967295ELNS1_3gpuE0ELNS1_3repE0EEENS1_30default_config_static_selectorELNS0_4arch9wavefront6targetE0EEEvT1_,@function
_ZN7rocprim17ROCPRIM_400000_NS6detail17trampoline_kernelINS0_14default_configENS1_25partition_config_selectorILNS1_17partition_subalgoE6ExNS0_10empty_typeEbEEZZNS1_14partition_implILS5_6ELb0ES3_mN6thrust23THRUST_200600_302600_NS6detail15normal_iteratorINSA_10device_ptrIxEEEEPS6_SG_NS0_5tupleIJSF_S6_EEENSH_IJSG_SG_EEES6_PlJNSB_9not_fun_tI7is_evenIxEEEEEE10hipError_tPvRmT3_T4_T5_T6_T7_T9_mT8_P12ihipStream_tbDpT10_ENKUlT_T0_E_clISt17integral_constantIbLb1EES18_EEDaS13_S14_EUlS13_E_NS1_11comp_targetILNS1_3genE0ELNS1_11target_archE4294967295ELNS1_3gpuE0ELNS1_3repE0EEENS1_30default_config_static_selectorELNS0_4arch9wavefront6targetE0EEEvT1_: ; @_ZN7rocprim17ROCPRIM_400000_NS6detail17trampoline_kernelINS0_14default_configENS1_25partition_config_selectorILNS1_17partition_subalgoE6ExNS0_10empty_typeEbEEZZNS1_14partition_implILS5_6ELb0ES3_mN6thrust23THRUST_200600_302600_NS6detail15normal_iteratorINSA_10device_ptrIxEEEEPS6_SG_NS0_5tupleIJSF_S6_EEENSH_IJSG_SG_EEES6_PlJNSB_9not_fun_tI7is_evenIxEEEEEE10hipError_tPvRmT3_T4_T5_T6_T7_T9_mT8_P12ihipStream_tbDpT10_ENKUlT_T0_E_clISt17integral_constantIbLb1EES18_EEDaS13_S14_EUlS13_E_NS1_11comp_targetILNS1_3genE0ELNS1_11target_archE4294967295ELNS1_3gpuE0ELNS1_3repE0EEENS1_30default_config_static_selectorELNS0_4arch9wavefront6targetE0EEEvT1_
; %bb.0:
	.section	.rodata,"a",@progbits
	.p2align	6, 0x0
	.amdhsa_kernel _ZN7rocprim17ROCPRIM_400000_NS6detail17trampoline_kernelINS0_14default_configENS1_25partition_config_selectorILNS1_17partition_subalgoE6ExNS0_10empty_typeEbEEZZNS1_14partition_implILS5_6ELb0ES3_mN6thrust23THRUST_200600_302600_NS6detail15normal_iteratorINSA_10device_ptrIxEEEEPS6_SG_NS0_5tupleIJSF_S6_EEENSH_IJSG_SG_EEES6_PlJNSB_9not_fun_tI7is_evenIxEEEEEE10hipError_tPvRmT3_T4_T5_T6_T7_T9_mT8_P12ihipStream_tbDpT10_ENKUlT_T0_E_clISt17integral_constantIbLb1EES18_EEDaS13_S14_EUlS13_E_NS1_11comp_targetILNS1_3genE0ELNS1_11target_archE4294967295ELNS1_3gpuE0ELNS1_3repE0EEENS1_30default_config_static_selectorELNS0_4arch9wavefront6targetE0EEEvT1_
		.amdhsa_group_segment_fixed_size 0
		.amdhsa_private_segment_fixed_size 0
		.amdhsa_kernarg_size 128
		.amdhsa_user_sgpr_count 2
		.amdhsa_user_sgpr_dispatch_ptr 0
		.amdhsa_user_sgpr_queue_ptr 0
		.amdhsa_user_sgpr_kernarg_segment_ptr 1
		.amdhsa_user_sgpr_dispatch_id 0
		.amdhsa_user_sgpr_private_segment_size 0
		.amdhsa_wavefront_size32 1
		.amdhsa_uses_dynamic_stack 0
		.amdhsa_enable_private_segment 0
		.amdhsa_system_sgpr_workgroup_id_x 1
		.amdhsa_system_sgpr_workgroup_id_y 0
		.amdhsa_system_sgpr_workgroup_id_z 0
		.amdhsa_system_sgpr_workgroup_info 0
		.amdhsa_system_vgpr_workitem_id 0
		.amdhsa_next_free_vgpr 1
		.amdhsa_next_free_sgpr 1
		.amdhsa_reserve_vcc 0
		.amdhsa_float_round_mode_32 0
		.amdhsa_float_round_mode_16_64 0
		.amdhsa_float_denorm_mode_32 3
		.amdhsa_float_denorm_mode_16_64 3
		.amdhsa_fp16_overflow 0
		.amdhsa_workgroup_processor_mode 1
		.amdhsa_memory_ordered 1
		.amdhsa_forward_progress 1
		.amdhsa_inst_pref_size 0
		.amdhsa_round_robin_scheduling 0
		.amdhsa_exception_fp_ieee_invalid_op 0
		.amdhsa_exception_fp_denorm_src 0
		.amdhsa_exception_fp_ieee_div_zero 0
		.amdhsa_exception_fp_ieee_overflow 0
		.amdhsa_exception_fp_ieee_underflow 0
		.amdhsa_exception_fp_ieee_inexact 0
		.amdhsa_exception_int_div_zero 0
	.end_amdhsa_kernel
	.section	.text._ZN7rocprim17ROCPRIM_400000_NS6detail17trampoline_kernelINS0_14default_configENS1_25partition_config_selectorILNS1_17partition_subalgoE6ExNS0_10empty_typeEbEEZZNS1_14partition_implILS5_6ELb0ES3_mN6thrust23THRUST_200600_302600_NS6detail15normal_iteratorINSA_10device_ptrIxEEEEPS6_SG_NS0_5tupleIJSF_S6_EEENSH_IJSG_SG_EEES6_PlJNSB_9not_fun_tI7is_evenIxEEEEEE10hipError_tPvRmT3_T4_T5_T6_T7_T9_mT8_P12ihipStream_tbDpT10_ENKUlT_T0_E_clISt17integral_constantIbLb1EES18_EEDaS13_S14_EUlS13_E_NS1_11comp_targetILNS1_3genE0ELNS1_11target_archE4294967295ELNS1_3gpuE0ELNS1_3repE0EEENS1_30default_config_static_selectorELNS0_4arch9wavefront6targetE0EEEvT1_,"axG",@progbits,_ZN7rocprim17ROCPRIM_400000_NS6detail17trampoline_kernelINS0_14default_configENS1_25partition_config_selectorILNS1_17partition_subalgoE6ExNS0_10empty_typeEbEEZZNS1_14partition_implILS5_6ELb0ES3_mN6thrust23THRUST_200600_302600_NS6detail15normal_iteratorINSA_10device_ptrIxEEEEPS6_SG_NS0_5tupleIJSF_S6_EEENSH_IJSG_SG_EEES6_PlJNSB_9not_fun_tI7is_evenIxEEEEEE10hipError_tPvRmT3_T4_T5_T6_T7_T9_mT8_P12ihipStream_tbDpT10_ENKUlT_T0_E_clISt17integral_constantIbLb1EES18_EEDaS13_S14_EUlS13_E_NS1_11comp_targetILNS1_3genE0ELNS1_11target_archE4294967295ELNS1_3gpuE0ELNS1_3repE0EEENS1_30default_config_static_selectorELNS0_4arch9wavefront6targetE0EEEvT1_,comdat
.Lfunc_end701:
	.size	_ZN7rocprim17ROCPRIM_400000_NS6detail17trampoline_kernelINS0_14default_configENS1_25partition_config_selectorILNS1_17partition_subalgoE6ExNS0_10empty_typeEbEEZZNS1_14partition_implILS5_6ELb0ES3_mN6thrust23THRUST_200600_302600_NS6detail15normal_iteratorINSA_10device_ptrIxEEEEPS6_SG_NS0_5tupleIJSF_S6_EEENSH_IJSG_SG_EEES6_PlJNSB_9not_fun_tI7is_evenIxEEEEEE10hipError_tPvRmT3_T4_T5_T6_T7_T9_mT8_P12ihipStream_tbDpT10_ENKUlT_T0_E_clISt17integral_constantIbLb1EES18_EEDaS13_S14_EUlS13_E_NS1_11comp_targetILNS1_3genE0ELNS1_11target_archE4294967295ELNS1_3gpuE0ELNS1_3repE0EEENS1_30default_config_static_selectorELNS0_4arch9wavefront6targetE0EEEvT1_, .Lfunc_end701-_ZN7rocprim17ROCPRIM_400000_NS6detail17trampoline_kernelINS0_14default_configENS1_25partition_config_selectorILNS1_17partition_subalgoE6ExNS0_10empty_typeEbEEZZNS1_14partition_implILS5_6ELb0ES3_mN6thrust23THRUST_200600_302600_NS6detail15normal_iteratorINSA_10device_ptrIxEEEEPS6_SG_NS0_5tupleIJSF_S6_EEENSH_IJSG_SG_EEES6_PlJNSB_9not_fun_tI7is_evenIxEEEEEE10hipError_tPvRmT3_T4_T5_T6_T7_T9_mT8_P12ihipStream_tbDpT10_ENKUlT_T0_E_clISt17integral_constantIbLb1EES18_EEDaS13_S14_EUlS13_E_NS1_11comp_targetILNS1_3genE0ELNS1_11target_archE4294967295ELNS1_3gpuE0ELNS1_3repE0EEENS1_30default_config_static_selectorELNS0_4arch9wavefront6targetE0EEEvT1_
                                        ; -- End function
	.set _ZN7rocprim17ROCPRIM_400000_NS6detail17trampoline_kernelINS0_14default_configENS1_25partition_config_selectorILNS1_17partition_subalgoE6ExNS0_10empty_typeEbEEZZNS1_14partition_implILS5_6ELb0ES3_mN6thrust23THRUST_200600_302600_NS6detail15normal_iteratorINSA_10device_ptrIxEEEEPS6_SG_NS0_5tupleIJSF_S6_EEENSH_IJSG_SG_EEES6_PlJNSB_9not_fun_tI7is_evenIxEEEEEE10hipError_tPvRmT3_T4_T5_T6_T7_T9_mT8_P12ihipStream_tbDpT10_ENKUlT_T0_E_clISt17integral_constantIbLb1EES18_EEDaS13_S14_EUlS13_E_NS1_11comp_targetILNS1_3genE0ELNS1_11target_archE4294967295ELNS1_3gpuE0ELNS1_3repE0EEENS1_30default_config_static_selectorELNS0_4arch9wavefront6targetE0EEEvT1_.num_vgpr, 0
	.set _ZN7rocprim17ROCPRIM_400000_NS6detail17trampoline_kernelINS0_14default_configENS1_25partition_config_selectorILNS1_17partition_subalgoE6ExNS0_10empty_typeEbEEZZNS1_14partition_implILS5_6ELb0ES3_mN6thrust23THRUST_200600_302600_NS6detail15normal_iteratorINSA_10device_ptrIxEEEEPS6_SG_NS0_5tupleIJSF_S6_EEENSH_IJSG_SG_EEES6_PlJNSB_9not_fun_tI7is_evenIxEEEEEE10hipError_tPvRmT3_T4_T5_T6_T7_T9_mT8_P12ihipStream_tbDpT10_ENKUlT_T0_E_clISt17integral_constantIbLb1EES18_EEDaS13_S14_EUlS13_E_NS1_11comp_targetILNS1_3genE0ELNS1_11target_archE4294967295ELNS1_3gpuE0ELNS1_3repE0EEENS1_30default_config_static_selectorELNS0_4arch9wavefront6targetE0EEEvT1_.num_agpr, 0
	.set _ZN7rocprim17ROCPRIM_400000_NS6detail17trampoline_kernelINS0_14default_configENS1_25partition_config_selectorILNS1_17partition_subalgoE6ExNS0_10empty_typeEbEEZZNS1_14partition_implILS5_6ELb0ES3_mN6thrust23THRUST_200600_302600_NS6detail15normal_iteratorINSA_10device_ptrIxEEEEPS6_SG_NS0_5tupleIJSF_S6_EEENSH_IJSG_SG_EEES6_PlJNSB_9not_fun_tI7is_evenIxEEEEEE10hipError_tPvRmT3_T4_T5_T6_T7_T9_mT8_P12ihipStream_tbDpT10_ENKUlT_T0_E_clISt17integral_constantIbLb1EES18_EEDaS13_S14_EUlS13_E_NS1_11comp_targetILNS1_3genE0ELNS1_11target_archE4294967295ELNS1_3gpuE0ELNS1_3repE0EEENS1_30default_config_static_selectorELNS0_4arch9wavefront6targetE0EEEvT1_.numbered_sgpr, 0
	.set _ZN7rocprim17ROCPRIM_400000_NS6detail17trampoline_kernelINS0_14default_configENS1_25partition_config_selectorILNS1_17partition_subalgoE6ExNS0_10empty_typeEbEEZZNS1_14partition_implILS5_6ELb0ES3_mN6thrust23THRUST_200600_302600_NS6detail15normal_iteratorINSA_10device_ptrIxEEEEPS6_SG_NS0_5tupleIJSF_S6_EEENSH_IJSG_SG_EEES6_PlJNSB_9not_fun_tI7is_evenIxEEEEEE10hipError_tPvRmT3_T4_T5_T6_T7_T9_mT8_P12ihipStream_tbDpT10_ENKUlT_T0_E_clISt17integral_constantIbLb1EES18_EEDaS13_S14_EUlS13_E_NS1_11comp_targetILNS1_3genE0ELNS1_11target_archE4294967295ELNS1_3gpuE0ELNS1_3repE0EEENS1_30default_config_static_selectorELNS0_4arch9wavefront6targetE0EEEvT1_.num_named_barrier, 0
	.set _ZN7rocprim17ROCPRIM_400000_NS6detail17trampoline_kernelINS0_14default_configENS1_25partition_config_selectorILNS1_17partition_subalgoE6ExNS0_10empty_typeEbEEZZNS1_14partition_implILS5_6ELb0ES3_mN6thrust23THRUST_200600_302600_NS6detail15normal_iteratorINSA_10device_ptrIxEEEEPS6_SG_NS0_5tupleIJSF_S6_EEENSH_IJSG_SG_EEES6_PlJNSB_9not_fun_tI7is_evenIxEEEEEE10hipError_tPvRmT3_T4_T5_T6_T7_T9_mT8_P12ihipStream_tbDpT10_ENKUlT_T0_E_clISt17integral_constantIbLb1EES18_EEDaS13_S14_EUlS13_E_NS1_11comp_targetILNS1_3genE0ELNS1_11target_archE4294967295ELNS1_3gpuE0ELNS1_3repE0EEENS1_30default_config_static_selectorELNS0_4arch9wavefront6targetE0EEEvT1_.private_seg_size, 0
	.set _ZN7rocprim17ROCPRIM_400000_NS6detail17trampoline_kernelINS0_14default_configENS1_25partition_config_selectorILNS1_17partition_subalgoE6ExNS0_10empty_typeEbEEZZNS1_14partition_implILS5_6ELb0ES3_mN6thrust23THRUST_200600_302600_NS6detail15normal_iteratorINSA_10device_ptrIxEEEEPS6_SG_NS0_5tupleIJSF_S6_EEENSH_IJSG_SG_EEES6_PlJNSB_9not_fun_tI7is_evenIxEEEEEE10hipError_tPvRmT3_T4_T5_T6_T7_T9_mT8_P12ihipStream_tbDpT10_ENKUlT_T0_E_clISt17integral_constantIbLb1EES18_EEDaS13_S14_EUlS13_E_NS1_11comp_targetILNS1_3genE0ELNS1_11target_archE4294967295ELNS1_3gpuE0ELNS1_3repE0EEENS1_30default_config_static_selectorELNS0_4arch9wavefront6targetE0EEEvT1_.uses_vcc, 0
	.set _ZN7rocprim17ROCPRIM_400000_NS6detail17trampoline_kernelINS0_14default_configENS1_25partition_config_selectorILNS1_17partition_subalgoE6ExNS0_10empty_typeEbEEZZNS1_14partition_implILS5_6ELb0ES3_mN6thrust23THRUST_200600_302600_NS6detail15normal_iteratorINSA_10device_ptrIxEEEEPS6_SG_NS0_5tupleIJSF_S6_EEENSH_IJSG_SG_EEES6_PlJNSB_9not_fun_tI7is_evenIxEEEEEE10hipError_tPvRmT3_T4_T5_T6_T7_T9_mT8_P12ihipStream_tbDpT10_ENKUlT_T0_E_clISt17integral_constantIbLb1EES18_EEDaS13_S14_EUlS13_E_NS1_11comp_targetILNS1_3genE0ELNS1_11target_archE4294967295ELNS1_3gpuE0ELNS1_3repE0EEENS1_30default_config_static_selectorELNS0_4arch9wavefront6targetE0EEEvT1_.uses_flat_scratch, 0
	.set _ZN7rocprim17ROCPRIM_400000_NS6detail17trampoline_kernelINS0_14default_configENS1_25partition_config_selectorILNS1_17partition_subalgoE6ExNS0_10empty_typeEbEEZZNS1_14partition_implILS5_6ELb0ES3_mN6thrust23THRUST_200600_302600_NS6detail15normal_iteratorINSA_10device_ptrIxEEEEPS6_SG_NS0_5tupleIJSF_S6_EEENSH_IJSG_SG_EEES6_PlJNSB_9not_fun_tI7is_evenIxEEEEEE10hipError_tPvRmT3_T4_T5_T6_T7_T9_mT8_P12ihipStream_tbDpT10_ENKUlT_T0_E_clISt17integral_constantIbLb1EES18_EEDaS13_S14_EUlS13_E_NS1_11comp_targetILNS1_3genE0ELNS1_11target_archE4294967295ELNS1_3gpuE0ELNS1_3repE0EEENS1_30default_config_static_selectorELNS0_4arch9wavefront6targetE0EEEvT1_.has_dyn_sized_stack, 0
	.set _ZN7rocprim17ROCPRIM_400000_NS6detail17trampoline_kernelINS0_14default_configENS1_25partition_config_selectorILNS1_17partition_subalgoE6ExNS0_10empty_typeEbEEZZNS1_14partition_implILS5_6ELb0ES3_mN6thrust23THRUST_200600_302600_NS6detail15normal_iteratorINSA_10device_ptrIxEEEEPS6_SG_NS0_5tupleIJSF_S6_EEENSH_IJSG_SG_EEES6_PlJNSB_9not_fun_tI7is_evenIxEEEEEE10hipError_tPvRmT3_T4_T5_T6_T7_T9_mT8_P12ihipStream_tbDpT10_ENKUlT_T0_E_clISt17integral_constantIbLb1EES18_EEDaS13_S14_EUlS13_E_NS1_11comp_targetILNS1_3genE0ELNS1_11target_archE4294967295ELNS1_3gpuE0ELNS1_3repE0EEENS1_30default_config_static_selectorELNS0_4arch9wavefront6targetE0EEEvT1_.has_recursion, 0
	.set _ZN7rocprim17ROCPRIM_400000_NS6detail17trampoline_kernelINS0_14default_configENS1_25partition_config_selectorILNS1_17partition_subalgoE6ExNS0_10empty_typeEbEEZZNS1_14partition_implILS5_6ELb0ES3_mN6thrust23THRUST_200600_302600_NS6detail15normal_iteratorINSA_10device_ptrIxEEEEPS6_SG_NS0_5tupleIJSF_S6_EEENSH_IJSG_SG_EEES6_PlJNSB_9not_fun_tI7is_evenIxEEEEEE10hipError_tPvRmT3_T4_T5_T6_T7_T9_mT8_P12ihipStream_tbDpT10_ENKUlT_T0_E_clISt17integral_constantIbLb1EES18_EEDaS13_S14_EUlS13_E_NS1_11comp_targetILNS1_3genE0ELNS1_11target_archE4294967295ELNS1_3gpuE0ELNS1_3repE0EEENS1_30default_config_static_selectorELNS0_4arch9wavefront6targetE0EEEvT1_.has_indirect_call, 0
	.section	.AMDGPU.csdata,"",@progbits
; Kernel info:
; codeLenInByte = 0
; TotalNumSgprs: 0
; NumVgprs: 0
; ScratchSize: 0
; MemoryBound: 0
; FloatMode: 240
; IeeeMode: 1
; LDSByteSize: 0 bytes/workgroup (compile time only)
; SGPRBlocks: 0
; VGPRBlocks: 0
; NumSGPRsForWavesPerEU: 1
; NumVGPRsForWavesPerEU: 1
; Occupancy: 16
; WaveLimiterHint : 0
; COMPUTE_PGM_RSRC2:SCRATCH_EN: 0
; COMPUTE_PGM_RSRC2:USER_SGPR: 2
; COMPUTE_PGM_RSRC2:TRAP_HANDLER: 0
; COMPUTE_PGM_RSRC2:TGID_X_EN: 1
; COMPUTE_PGM_RSRC2:TGID_Y_EN: 0
; COMPUTE_PGM_RSRC2:TGID_Z_EN: 0
; COMPUTE_PGM_RSRC2:TIDIG_COMP_CNT: 0
	.section	.text._ZN7rocprim17ROCPRIM_400000_NS6detail17trampoline_kernelINS0_14default_configENS1_25partition_config_selectorILNS1_17partition_subalgoE6ExNS0_10empty_typeEbEEZZNS1_14partition_implILS5_6ELb0ES3_mN6thrust23THRUST_200600_302600_NS6detail15normal_iteratorINSA_10device_ptrIxEEEEPS6_SG_NS0_5tupleIJSF_S6_EEENSH_IJSG_SG_EEES6_PlJNSB_9not_fun_tI7is_evenIxEEEEEE10hipError_tPvRmT3_T4_T5_T6_T7_T9_mT8_P12ihipStream_tbDpT10_ENKUlT_T0_E_clISt17integral_constantIbLb1EES18_EEDaS13_S14_EUlS13_E_NS1_11comp_targetILNS1_3genE5ELNS1_11target_archE942ELNS1_3gpuE9ELNS1_3repE0EEENS1_30default_config_static_selectorELNS0_4arch9wavefront6targetE0EEEvT1_,"axG",@progbits,_ZN7rocprim17ROCPRIM_400000_NS6detail17trampoline_kernelINS0_14default_configENS1_25partition_config_selectorILNS1_17partition_subalgoE6ExNS0_10empty_typeEbEEZZNS1_14partition_implILS5_6ELb0ES3_mN6thrust23THRUST_200600_302600_NS6detail15normal_iteratorINSA_10device_ptrIxEEEEPS6_SG_NS0_5tupleIJSF_S6_EEENSH_IJSG_SG_EEES6_PlJNSB_9not_fun_tI7is_evenIxEEEEEE10hipError_tPvRmT3_T4_T5_T6_T7_T9_mT8_P12ihipStream_tbDpT10_ENKUlT_T0_E_clISt17integral_constantIbLb1EES18_EEDaS13_S14_EUlS13_E_NS1_11comp_targetILNS1_3genE5ELNS1_11target_archE942ELNS1_3gpuE9ELNS1_3repE0EEENS1_30default_config_static_selectorELNS0_4arch9wavefront6targetE0EEEvT1_,comdat
	.protected	_ZN7rocprim17ROCPRIM_400000_NS6detail17trampoline_kernelINS0_14default_configENS1_25partition_config_selectorILNS1_17partition_subalgoE6ExNS0_10empty_typeEbEEZZNS1_14partition_implILS5_6ELb0ES3_mN6thrust23THRUST_200600_302600_NS6detail15normal_iteratorINSA_10device_ptrIxEEEEPS6_SG_NS0_5tupleIJSF_S6_EEENSH_IJSG_SG_EEES6_PlJNSB_9not_fun_tI7is_evenIxEEEEEE10hipError_tPvRmT3_T4_T5_T6_T7_T9_mT8_P12ihipStream_tbDpT10_ENKUlT_T0_E_clISt17integral_constantIbLb1EES18_EEDaS13_S14_EUlS13_E_NS1_11comp_targetILNS1_3genE5ELNS1_11target_archE942ELNS1_3gpuE9ELNS1_3repE0EEENS1_30default_config_static_selectorELNS0_4arch9wavefront6targetE0EEEvT1_ ; -- Begin function _ZN7rocprim17ROCPRIM_400000_NS6detail17trampoline_kernelINS0_14default_configENS1_25partition_config_selectorILNS1_17partition_subalgoE6ExNS0_10empty_typeEbEEZZNS1_14partition_implILS5_6ELb0ES3_mN6thrust23THRUST_200600_302600_NS6detail15normal_iteratorINSA_10device_ptrIxEEEEPS6_SG_NS0_5tupleIJSF_S6_EEENSH_IJSG_SG_EEES6_PlJNSB_9not_fun_tI7is_evenIxEEEEEE10hipError_tPvRmT3_T4_T5_T6_T7_T9_mT8_P12ihipStream_tbDpT10_ENKUlT_T0_E_clISt17integral_constantIbLb1EES18_EEDaS13_S14_EUlS13_E_NS1_11comp_targetILNS1_3genE5ELNS1_11target_archE942ELNS1_3gpuE9ELNS1_3repE0EEENS1_30default_config_static_selectorELNS0_4arch9wavefront6targetE0EEEvT1_
	.globl	_ZN7rocprim17ROCPRIM_400000_NS6detail17trampoline_kernelINS0_14default_configENS1_25partition_config_selectorILNS1_17partition_subalgoE6ExNS0_10empty_typeEbEEZZNS1_14partition_implILS5_6ELb0ES3_mN6thrust23THRUST_200600_302600_NS6detail15normal_iteratorINSA_10device_ptrIxEEEEPS6_SG_NS0_5tupleIJSF_S6_EEENSH_IJSG_SG_EEES6_PlJNSB_9not_fun_tI7is_evenIxEEEEEE10hipError_tPvRmT3_T4_T5_T6_T7_T9_mT8_P12ihipStream_tbDpT10_ENKUlT_T0_E_clISt17integral_constantIbLb1EES18_EEDaS13_S14_EUlS13_E_NS1_11comp_targetILNS1_3genE5ELNS1_11target_archE942ELNS1_3gpuE9ELNS1_3repE0EEENS1_30default_config_static_selectorELNS0_4arch9wavefront6targetE0EEEvT1_
	.p2align	8
	.type	_ZN7rocprim17ROCPRIM_400000_NS6detail17trampoline_kernelINS0_14default_configENS1_25partition_config_selectorILNS1_17partition_subalgoE6ExNS0_10empty_typeEbEEZZNS1_14partition_implILS5_6ELb0ES3_mN6thrust23THRUST_200600_302600_NS6detail15normal_iteratorINSA_10device_ptrIxEEEEPS6_SG_NS0_5tupleIJSF_S6_EEENSH_IJSG_SG_EEES6_PlJNSB_9not_fun_tI7is_evenIxEEEEEE10hipError_tPvRmT3_T4_T5_T6_T7_T9_mT8_P12ihipStream_tbDpT10_ENKUlT_T0_E_clISt17integral_constantIbLb1EES18_EEDaS13_S14_EUlS13_E_NS1_11comp_targetILNS1_3genE5ELNS1_11target_archE942ELNS1_3gpuE9ELNS1_3repE0EEENS1_30default_config_static_selectorELNS0_4arch9wavefront6targetE0EEEvT1_,@function
_ZN7rocprim17ROCPRIM_400000_NS6detail17trampoline_kernelINS0_14default_configENS1_25partition_config_selectorILNS1_17partition_subalgoE6ExNS0_10empty_typeEbEEZZNS1_14partition_implILS5_6ELb0ES3_mN6thrust23THRUST_200600_302600_NS6detail15normal_iteratorINSA_10device_ptrIxEEEEPS6_SG_NS0_5tupleIJSF_S6_EEENSH_IJSG_SG_EEES6_PlJNSB_9not_fun_tI7is_evenIxEEEEEE10hipError_tPvRmT3_T4_T5_T6_T7_T9_mT8_P12ihipStream_tbDpT10_ENKUlT_T0_E_clISt17integral_constantIbLb1EES18_EEDaS13_S14_EUlS13_E_NS1_11comp_targetILNS1_3genE5ELNS1_11target_archE942ELNS1_3gpuE9ELNS1_3repE0EEENS1_30default_config_static_selectorELNS0_4arch9wavefront6targetE0EEEvT1_: ; @_ZN7rocprim17ROCPRIM_400000_NS6detail17trampoline_kernelINS0_14default_configENS1_25partition_config_selectorILNS1_17partition_subalgoE6ExNS0_10empty_typeEbEEZZNS1_14partition_implILS5_6ELb0ES3_mN6thrust23THRUST_200600_302600_NS6detail15normal_iteratorINSA_10device_ptrIxEEEEPS6_SG_NS0_5tupleIJSF_S6_EEENSH_IJSG_SG_EEES6_PlJNSB_9not_fun_tI7is_evenIxEEEEEE10hipError_tPvRmT3_T4_T5_T6_T7_T9_mT8_P12ihipStream_tbDpT10_ENKUlT_T0_E_clISt17integral_constantIbLb1EES18_EEDaS13_S14_EUlS13_E_NS1_11comp_targetILNS1_3genE5ELNS1_11target_archE942ELNS1_3gpuE9ELNS1_3repE0EEENS1_30default_config_static_selectorELNS0_4arch9wavefront6targetE0EEEvT1_
; %bb.0:
	.section	.rodata,"a",@progbits
	.p2align	6, 0x0
	.amdhsa_kernel _ZN7rocprim17ROCPRIM_400000_NS6detail17trampoline_kernelINS0_14default_configENS1_25partition_config_selectorILNS1_17partition_subalgoE6ExNS0_10empty_typeEbEEZZNS1_14partition_implILS5_6ELb0ES3_mN6thrust23THRUST_200600_302600_NS6detail15normal_iteratorINSA_10device_ptrIxEEEEPS6_SG_NS0_5tupleIJSF_S6_EEENSH_IJSG_SG_EEES6_PlJNSB_9not_fun_tI7is_evenIxEEEEEE10hipError_tPvRmT3_T4_T5_T6_T7_T9_mT8_P12ihipStream_tbDpT10_ENKUlT_T0_E_clISt17integral_constantIbLb1EES18_EEDaS13_S14_EUlS13_E_NS1_11comp_targetILNS1_3genE5ELNS1_11target_archE942ELNS1_3gpuE9ELNS1_3repE0EEENS1_30default_config_static_selectorELNS0_4arch9wavefront6targetE0EEEvT1_
		.amdhsa_group_segment_fixed_size 0
		.amdhsa_private_segment_fixed_size 0
		.amdhsa_kernarg_size 128
		.amdhsa_user_sgpr_count 2
		.amdhsa_user_sgpr_dispatch_ptr 0
		.amdhsa_user_sgpr_queue_ptr 0
		.amdhsa_user_sgpr_kernarg_segment_ptr 1
		.amdhsa_user_sgpr_dispatch_id 0
		.amdhsa_user_sgpr_private_segment_size 0
		.amdhsa_wavefront_size32 1
		.amdhsa_uses_dynamic_stack 0
		.amdhsa_enable_private_segment 0
		.amdhsa_system_sgpr_workgroup_id_x 1
		.amdhsa_system_sgpr_workgroup_id_y 0
		.amdhsa_system_sgpr_workgroup_id_z 0
		.amdhsa_system_sgpr_workgroup_info 0
		.amdhsa_system_vgpr_workitem_id 0
		.amdhsa_next_free_vgpr 1
		.amdhsa_next_free_sgpr 1
		.amdhsa_reserve_vcc 0
		.amdhsa_float_round_mode_32 0
		.amdhsa_float_round_mode_16_64 0
		.amdhsa_float_denorm_mode_32 3
		.amdhsa_float_denorm_mode_16_64 3
		.amdhsa_fp16_overflow 0
		.amdhsa_workgroup_processor_mode 1
		.amdhsa_memory_ordered 1
		.amdhsa_forward_progress 1
		.amdhsa_inst_pref_size 0
		.amdhsa_round_robin_scheduling 0
		.amdhsa_exception_fp_ieee_invalid_op 0
		.amdhsa_exception_fp_denorm_src 0
		.amdhsa_exception_fp_ieee_div_zero 0
		.amdhsa_exception_fp_ieee_overflow 0
		.amdhsa_exception_fp_ieee_underflow 0
		.amdhsa_exception_fp_ieee_inexact 0
		.amdhsa_exception_int_div_zero 0
	.end_amdhsa_kernel
	.section	.text._ZN7rocprim17ROCPRIM_400000_NS6detail17trampoline_kernelINS0_14default_configENS1_25partition_config_selectorILNS1_17partition_subalgoE6ExNS0_10empty_typeEbEEZZNS1_14partition_implILS5_6ELb0ES3_mN6thrust23THRUST_200600_302600_NS6detail15normal_iteratorINSA_10device_ptrIxEEEEPS6_SG_NS0_5tupleIJSF_S6_EEENSH_IJSG_SG_EEES6_PlJNSB_9not_fun_tI7is_evenIxEEEEEE10hipError_tPvRmT3_T4_T5_T6_T7_T9_mT8_P12ihipStream_tbDpT10_ENKUlT_T0_E_clISt17integral_constantIbLb1EES18_EEDaS13_S14_EUlS13_E_NS1_11comp_targetILNS1_3genE5ELNS1_11target_archE942ELNS1_3gpuE9ELNS1_3repE0EEENS1_30default_config_static_selectorELNS0_4arch9wavefront6targetE0EEEvT1_,"axG",@progbits,_ZN7rocprim17ROCPRIM_400000_NS6detail17trampoline_kernelINS0_14default_configENS1_25partition_config_selectorILNS1_17partition_subalgoE6ExNS0_10empty_typeEbEEZZNS1_14partition_implILS5_6ELb0ES3_mN6thrust23THRUST_200600_302600_NS6detail15normal_iteratorINSA_10device_ptrIxEEEEPS6_SG_NS0_5tupleIJSF_S6_EEENSH_IJSG_SG_EEES6_PlJNSB_9not_fun_tI7is_evenIxEEEEEE10hipError_tPvRmT3_T4_T5_T6_T7_T9_mT8_P12ihipStream_tbDpT10_ENKUlT_T0_E_clISt17integral_constantIbLb1EES18_EEDaS13_S14_EUlS13_E_NS1_11comp_targetILNS1_3genE5ELNS1_11target_archE942ELNS1_3gpuE9ELNS1_3repE0EEENS1_30default_config_static_selectorELNS0_4arch9wavefront6targetE0EEEvT1_,comdat
.Lfunc_end702:
	.size	_ZN7rocprim17ROCPRIM_400000_NS6detail17trampoline_kernelINS0_14default_configENS1_25partition_config_selectorILNS1_17partition_subalgoE6ExNS0_10empty_typeEbEEZZNS1_14partition_implILS5_6ELb0ES3_mN6thrust23THRUST_200600_302600_NS6detail15normal_iteratorINSA_10device_ptrIxEEEEPS6_SG_NS0_5tupleIJSF_S6_EEENSH_IJSG_SG_EEES6_PlJNSB_9not_fun_tI7is_evenIxEEEEEE10hipError_tPvRmT3_T4_T5_T6_T7_T9_mT8_P12ihipStream_tbDpT10_ENKUlT_T0_E_clISt17integral_constantIbLb1EES18_EEDaS13_S14_EUlS13_E_NS1_11comp_targetILNS1_3genE5ELNS1_11target_archE942ELNS1_3gpuE9ELNS1_3repE0EEENS1_30default_config_static_selectorELNS0_4arch9wavefront6targetE0EEEvT1_, .Lfunc_end702-_ZN7rocprim17ROCPRIM_400000_NS6detail17trampoline_kernelINS0_14default_configENS1_25partition_config_selectorILNS1_17partition_subalgoE6ExNS0_10empty_typeEbEEZZNS1_14partition_implILS5_6ELb0ES3_mN6thrust23THRUST_200600_302600_NS6detail15normal_iteratorINSA_10device_ptrIxEEEEPS6_SG_NS0_5tupleIJSF_S6_EEENSH_IJSG_SG_EEES6_PlJNSB_9not_fun_tI7is_evenIxEEEEEE10hipError_tPvRmT3_T4_T5_T6_T7_T9_mT8_P12ihipStream_tbDpT10_ENKUlT_T0_E_clISt17integral_constantIbLb1EES18_EEDaS13_S14_EUlS13_E_NS1_11comp_targetILNS1_3genE5ELNS1_11target_archE942ELNS1_3gpuE9ELNS1_3repE0EEENS1_30default_config_static_selectorELNS0_4arch9wavefront6targetE0EEEvT1_
                                        ; -- End function
	.set _ZN7rocprim17ROCPRIM_400000_NS6detail17trampoline_kernelINS0_14default_configENS1_25partition_config_selectorILNS1_17partition_subalgoE6ExNS0_10empty_typeEbEEZZNS1_14partition_implILS5_6ELb0ES3_mN6thrust23THRUST_200600_302600_NS6detail15normal_iteratorINSA_10device_ptrIxEEEEPS6_SG_NS0_5tupleIJSF_S6_EEENSH_IJSG_SG_EEES6_PlJNSB_9not_fun_tI7is_evenIxEEEEEE10hipError_tPvRmT3_T4_T5_T6_T7_T9_mT8_P12ihipStream_tbDpT10_ENKUlT_T0_E_clISt17integral_constantIbLb1EES18_EEDaS13_S14_EUlS13_E_NS1_11comp_targetILNS1_3genE5ELNS1_11target_archE942ELNS1_3gpuE9ELNS1_3repE0EEENS1_30default_config_static_selectorELNS0_4arch9wavefront6targetE0EEEvT1_.num_vgpr, 0
	.set _ZN7rocprim17ROCPRIM_400000_NS6detail17trampoline_kernelINS0_14default_configENS1_25partition_config_selectorILNS1_17partition_subalgoE6ExNS0_10empty_typeEbEEZZNS1_14partition_implILS5_6ELb0ES3_mN6thrust23THRUST_200600_302600_NS6detail15normal_iteratorINSA_10device_ptrIxEEEEPS6_SG_NS0_5tupleIJSF_S6_EEENSH_IJSG_SG_EEES6_PlJNSB_9not_fun_tI7is_evenIxEEEEEE10hipError_tPvRmT3_T4_T5_T6_T7_T9_mT8_P12ihipStream_tbDpT10_ENKUlT_T0_E_clISt17integral_constantIbLb1EES18_EEDaS13_S14_EUlS13_E_NS1_11comp_targetILNS1_3genE5ELNS1_11target_archE942ELNS1_3gpuE9ELNS1_3repE0EEENS1_30default_config_static_selectorELNS0_4arch9wavefront6targetE0EEEvT1_.num_agpr, 0
	.set _ZN7rocprim17ROCPRIM_400000_NS6detail17trampoline_kernelINS0_14default_configENS1_25partition_config_selectorILNS1_17partition_subalgoE6ExNS0_10empty_typeEbEEZZNS1_14partition_implILS5_6ELb0ES3_mN6thrust23THRUST_200600_302600_NS6detail15normal_iteratorINSA_10device_ptrIxEEEEPS6_SG_NS0_5tupleIJSF_S6_EEENSH_IJSG_SG_EEES6_PlJNSB_9not_fun_tI7is_evenIxEEEEEE10hipError_tPvRmT3_T4_T5_T6_T7_T9_mT8_P12ihipStream_tbDpT10_ENKUlT_T0_E_clISt17integral_constantIbLb1EES18_EEDaS13_S14_EUlS13_E_NS1_11comp_targetILNS1_3genE5ELNS1_11target_archE942ELNS1_3gpuE9ELNS1_3repE0EEENS1_30default_config_static_selectorELNS0_4arch9wavefront6targetE0EEEvT1_.numbered_sgpr, 0
	.set _ZN7rocprim17ROCPRIM_400000_NS6detail17trampoline_kernelINS0_14default_configENS1_25partition_config_selectorILNS1_17partition_subalgoE6ExNS0_10empty_typeEbEEZZNS1_14partition_implILS5_6ELb0ES3_mN6thrust23THRUST_200600_302600_NS6detail15normal_iteratorINSA_10device_ptrIxEEEEPS6_SG_NS0_5tupleIJSF_S6_EEENSH_IJSG_SG_EEES6_PlJNSB_9not_fun_tI7is_evenIxEEEEEE10hipError_tPvRmT3_T4_T5_T6_T7_T9_mT8_P12ihipStream_tbDpT10_ENKUlT_T0_E_clISt17integral_constantIbLb1EES18_EEDaS13_S14_EUlS13_E_NS1_11comp_targetILNS1_3genE5ELNS1_11target_archE942ELNS1_3gpuE9ELNS1_3repE0EEENS1_30default_config_static_selectorELNS0_4arch9wavefront6targetE0EEEvT1_.num_named_barrier, 0
	.set _ZN7rocprim17ROCPRIM_400000_NS6detail17trampoline_kernelINS0_14default_configENS1_25partition_config_selectorILNS1_17partition_subalgoE6ExNS0_10empty_typeEbEEZZNS1_14partition_implILS5_6ELb0ES3_mN6thrust23THRUST_200600_302600_NS6detail15normal_iteratorINSA_10device_ptrIxEEEEPS6_SG_NS0_5tupleIJSF_S6_EEENSH_IJSG_SG_EEES6_PlJNSB_9not_fun_tI7is_evenIxEEEEEE10hipError_tPvRmT3_T4_T5_T6_T7_T9_mT8_P12ihipStream_tbDpT10_ENKUlT_T0_E_clISt17integral_constantIbLb1EES18_EEDaS13_S14_EUlS13_E_NS1_11comp_targetILNS1_3genE5ELNS1_11target_archE942ELNS1_3gpuE9ELNS1_3repE0EEENS1_30default_config_static_selectorELNS0_4arch9wavefront6targetE0EEEvT1_.private_seg_size, 0
	.set _ZN7rocprim17ROCPRIM_400000_NS6detail17trampoline_kernelINS0_14default_configENS1_25partition_config_selectorILNS1_17partition_subalgoE6ExNS0_10empty_typeEbEEZZNS1_14partition_implILS5_6ELb0ES3_mN6thrust23THRUST_200600_302600_NS6detail15normal_iteratorINSA_10device_ptrIxEEEEPS6_SG_NS0_5tupleIJSF_S6_EEENSH_IJSG_SG_EEES6_PlJNSB_9not_fun_tI7is_evenIxEEEEEE10hipError_tPvRmT3_T4_T5_T6_T7_T9_mT8_P12ihipStream_tbDpT10_ENKUlT_T0_E_clISt17integral_constantIbLb1EES18_EEDaS13_S14_EUlS13_E_NS1_11comp_targetILNS1_3genE5ELNS1_11target_archE942ELNS1_3gpuE9ELNS1_3repE0EEENS1_30default_config_static_selectorELNS0_4arch9wavefront6targetE0EEEvT1_.uses_vcc, 0
	.set _ZN7rocprim17ROCPRIM_400000_NS6detail17trampoline_kernelINS0_14default_configENS1_25partition_config_selectorILNS1_17partition_subalgoE6ExNS0_10empty_typeEbEEZZNS1_14partition_implILS5_6ELb0ES3_mN6thrust23THRUST_200600_302600_NS6detail15normal_iteratorINSA_10device_ptrIxEEEEPS6_SG_NS0_5tupleIJSF_S6_EEENSH_IJSG_SG_EEES6_PlJNSB_9not_fun_tI7is_evenIxEEEEEE10hipError_tPvRmT3_T4_T5_T6_T7_T9_mT8_P12ihipStream_tbDpT10_ENKUlT_T0_E_clISt17integral_constantIbLb1EES18_EEDaS13_S14_EUlS13_E_NS1_11comp_targetILNS1_3genE5ELNS1_11target_archE942ELNS1_3gpuE9ELNS1_3repE0EEENS1_30default_config_static_selectorELNS0_4arch9wavefront6targetE0EEEvT1_.uses_flat_scratch, 0
	.set _ZN7rocprim17ROCPRIM_400000_NS6detail17trampoline_kernelINS0_14default_configENS1_25partition_config_selectorILNS1_17partition_subalgoE6ExNS0_10empty_typeEbEEZZNS1_14partition_implILS5_6ELb0ES3_mN6thrust23THRUST_200600_302600_NS6detail15normal_iteratorINSA_10device_ptrIxEEEEPS6_SG_NS0_5tupleIJSF_S6_EEENSH_IJSG_SG_EEES6_PlJNSB_9not_fun_tI7is_evenIxEEEEEE10hipError_tPvRmT3_T4_T5_T6_T7_T9_mT8_P12ihipStream_tbDpT10_ENKUlT_T0_E_clISt17integral_constantIbLb1EES18_EEDaS13_S14_EUlS13_E_NS1_11comp_targetILNS1_3genE5ELNS1_11target_archE942ELNS1_3gpuE9ELNS1_3repE0EEENS1_30default_config_static_selectorELNS0_4arch9wavefront6targetE0EEEvT1_.has_dyn_sized_stack, 0
	.set _ZN7rocprim17ROCPRIM_400000_NS6detail17trampoline_kernelINS0_14default_configENS1_25partition_config_selectorILNS1_17partition_subalgoE6ExNS0_10empty_typeEbEEZZNS1_14partition_implILS5_6ELb0ES3_mN6thrust23THRUST_200600_302600_NS6detail15normal_iteratorINSA_10device_ptrIxEEEEPS6_SG_NS0_5tupleIJSF_S6_EEENSH_IJSG_SG_EEES6_PlJNSB_9not_fun_tI7is_evenIxEEEEEE10hipError_tPvRmT3_T4_T5_T6_T7_T9_mT8_P12ihipStream_tbDpT10_ENKUlT_T0_E_clISt17integral_constantIbLb1EES18_EEDaS13_S14_EUlS13_E_NS1_11comp_targetILNS1_3genE5ELNS1_11target_archE942ELNS1_3gpuE9ELNS1_3repE0EEENS1_30default_config_static_selectorELNS0_4arch9wavefront6targetE0EEEvT1_.has_recursion, 0
	.set _ZN7rocprim17ROCPRIM_400000_NS6detail17trampoline_kernelINS0_14default_configENS1_25partition_config_selectorILNS1_17partition_subalgoE6ExNS0_10empty_typeEbEEZZNS1_14partition_implILS5_6ELb0ES3_mN6thrust23THRUST_200600_302600_NS6detail15normal_iteratorINSA_10device_ptrIxEEEEPS6_SG_NS0_5tupleIJSF_S6_EEENSH_IJSG_SG_EEES6_PlJNSB_9not_fun_tI7is_evenIxEEEEEE10hipError_tPvRmT3_T4_T5_T6_T7_T9_mT8_P12ihipStream_tbDpT10_ENKUlT_T0_E_clISt17integral_constantIbLb1EES18_EEDaS13_S14_EUlS13_E_NS1_11comp_targetILNS1_3genE5ELNS1_11target_archE942ELNS1_3gpuE9ELNS1_3repE0EEENS1_30default_config_static_selectorELNS0_4arch9wavefront6targetE0EEEvT1_.has_indirect_call, 0
	.section	.AMDGPU.csdata,"",@progbits
; Kernel info:
; codeLenInByte = 0
; TotalNumSgprs: 0
; NumVgprs: 0
; ScratchSize: 0
; MemoryBound: 0
; FloatMode: 240
; IeeeMode: 1
; LDSByteSize: 0 bytes/workgroup (compile time only)
; SGPRBlocks: 0
; VGPRBlocks: 0
; NumSGPRsForWavesPerEU: 1
; NumVGPRsForWavesPerEU: 1
; Occupancy: 16
; WaveLimiterHint : 0
; COMPUTE_PGM_RSRC2:SCRATCH_EN: 0
; COMPUTE_PGM_RSRC2:USER_SGPR: 2
; COMPUTE_PGM_RSRC2:TRAP_HANDLER: 0
; COMPUTE_PGM_RSRC2:TGID_X_EN: 1
; COMPUTE_PGM_RSRC2:TGID_Y_EN: 0
; COMPUTE_PGM_RSRC2:TGID_Z_EN: 0
; COMPUTE_PGM_RSRC2:TIDIG_COMP_CNT: 0
	.section	.text._ZN7rocprim17ROCPRIM_400000_NS6detail17trampoline_kernelINS0_14default_configENS1_25partition_config_selectorILNS1_17partition_subalgoE6ExNS0_10empty_typeEbEEZZNS1_14partition_implILS5_6ELb0ES3_mN6thrust23THRUST_200600_302600_NS6detail15normal_iteratorINSA_10device_ptrIxEEEEPS6_SG_NS0_5tupleIJSF_S6_EEENSH_IJSG_SG_EEES6_PlJNSB_9not_fun_tI7is_evenIxEEEEEE10hipError_tPvRmT3_T4_T5_T6_T7_T9_mT8_P12ihipStream_tbDpT10_ENKUlT_T0_E_clISt17integral_constantIbLb1EES18_EEDaS13_S14_EUlS13_E_NS1_11comp_targetILNS1_3genE4ELNS1_11target_archE910ELNS1_3gpuE8ELNS1_3repE0EEENS1_30default_config_static_selectorELNS0_4arch9wavefront6targetE0EEEvT1_,"axG",@progbits,_ZN7rocprim17ROCPRIM_400000_NS6detail17trampoline_kernelINS0_14default_configENS1_25partition_config_selectorILNS1_17partition_subalgoE6ExNS0_10empty_typeEbEEZZNS1_14partition_implILS5_6ELb0ES3_mN6thrust23THRUST_200600_302600_NS6detail15normal_iteratorINSA_10device_ptrIxEEEEPS6_SG_NS0_5tupleIJSF_S6_EEENSH_IJSG_SG_EEES6_PlJNSB_9not_fun_tI7is_evenIxEEEEEE10hipError_tPvRmT3_T4_T5_T6_T7_T9_mT8_P12ihipStream_tbDpT10_ENKUlT_T0_E_clISt17integral_constantIbLb1EES18_EEDaS13_S14_EUlS13_E_NS1_11comp_targetILNS1_3genE4ELNS1_11target_archE910ELNS1_3gpuE8ELNS1_3repE0EEENS1_30default_config_static_selectorELNS0_4arch9wavefront6targetE0EEEvT1_,comdat
	.protected	_ZN7rocprim17ROCPRIM_400000_NS6detail17trampoline_kernelINS0_14default_configENS1_25partition_config_selectorILNS1_17partition_subalgoE6ExNS0_10empty_typeEbEEZZNS1_14partition_implILS5_6ELb0ES3_mN6thrust23THRUST_200600_302600_NS6detail15normal_iteratorINSA_10device_ptrIxEEEEPS6_SG_NS0_5tupleIJSF_S6_EEENSH_IJSG_SG_EEES6_PlJNSB_9not_fun_tI7is_evenIxEEEEEE10hipError_tPvRmT3_T4_T5_T6_T7_T9_mT8_P12ihipStream_tbDpT10_ENKUlT_T0_E_clISt17integral_constantIbLb1EES18_EEDaS13_S14_EUlS13_E_NS1_11comp_targetILNS1_3genE4ELNS1_11target_archE910ELNS1_3gpuE8ELNS1_3repE0EEENS1_30default_config_static_selectorELNS0_4arch9wavefront6targetE0EEEvT1_ ; -- Begin function _ZN7rocprim17ROCPRIM_400000_NS6detail17trampoline_kernelINS0_14default_configENS1_25partition_config_selectorILNS1_17partition_subalgoE6ExNS0_10empty_typeEbEEZZNS1_14partition_implILS5_6ELb0ES3_mN6thrust23THRUST_200600_302600_NS6detail15normal_iteratorINSA_10device_ptrIxEEEEPS6_SG_NS0_5tupleIJSF_S6_EEENSH_IJSG_SG_EEES6_PlJNSB_9not_fun_tI7is_evenIxEEEEEE10hipError_tPvRmT3_T4_T5_T6_T7_T9_mT8_P12ihipStream_tbDpT10_ENKUlT_T0_E_clISt17integral_constantIbLb1EES18_EEDaS13_S14_EUlS13_E_NS1_11comp_targetILNS1_3genE4ELNS1_11target_archE910ELNS1_3gpuE8ELNS1_3repE0EEENS1_30default_config_static_selectorELNS0_4arch9wavefront6targetE0EEEvT1_
	.globl	_ZN7rocprim17ROCPRIM_400000_NS6detail17trampoline_kernelINS0_14default_configENS1_25partition_config_selectorILNS1_17partition_subalgoE6ExNS0_10empty_typeEbEEZZNS1_14partition_implILS5_6ELb0ES3_mN6thrust23THRUST_200600_302600_NS6detail15normal_iteratorINSA_10device_ptrIxEEEEPS6_SG_NS0_5tupleIJSF_S6_EEENSH_IJSG_SG_EEES6_PlJNSB_9not_fun_tI7is_evenIxEEEEEE10hipError_tPvRmT3_T4_T5_T6_T7_T9_mT8_P12ihipStream_tbDpT10_ENKUlT_T0_E_clISt17integral_constantIbLb1EES18_EEDaS13_S14_EUlS13_E_NS1_11comp_targetILNS1_3genE4ELNS1_11target_archE910ELNS1_3gpuE8ELNS1_3repE0EEENS1_30default_config_static_selectorELNS0_4arch9wavefront6targetE0EEEvT1_
	.p2align	8
	.type	_ZN7rocprim17ROCPRIM_400000_NS6detail17trampoline_kernelINS0_14default_configENS1_25partition_config_selectorILNS1_17partition_subalgoE6ExNS0_10empty_typeEbEEZZNS1_14partition_implILS5_6ELb0ES3_mN6thrust23THRUST_200600_302600_NS6detail15normal_iteratorINSA_10device_ptrIxEEEEPS6_SG_NS0_5tupleIJSF_S6_EEENSH_IJSG_SG_EEES6_PlJNSB_9not_fun_tI7is_evenIxEEEEEE10hipError_tPvRmT3_T4_T5_T6_T7_T9_mT8_P12ihipStream_tbDpT10_ENKUlT_T0_E_clISt17integral_constantIbLb1EES18_EEDaS13_S14_EUlS13_E_NS1_11comp_targetILNS1_3genE4ELNS1_11target_archE910ELNS1_3gpuE8ELNS1_3repE0EEENS1_30default_config_static_selectorELNS0_4arch9wavefront6targetE0EEEvT1_,@function
_ZN7rocprim17ROCPRIM_400000_NS6detail17trampoline_kernelINS0_14default_configENS1_25partition_config_selectorILNS1_17partition_subalgoE6ExNS0_10empty_typeEbEEZZNS1_14partition_implILS5_6ELb0ES3_mN6thrust23THRUST_200600_302600_NS6detail15normal_iteratorINSA_10device_ptrIxEEEEPS6_SG_NS0_5tupleIJSF_S6_EEENSH_IJSG_SG_EEES6_PlJNSB_9not_fun_tI7is_evenIxEEEEEE10hipError_tPvRmT3_T4_T5_T6_T7_T9_mT8_P12ihipStream_tbDpT10_ENKUlT_T0_E_clISt17integral_constantIbLb1EES18_EEDaS13_S14_EUlS13_E_NS1_11comp_targetILNS1_3genE4ELNS1_11target_archE910ELNS1_3gpuE8ELNS1_3repE0EEENS1_30default_config_static_selectorELNS0_4arch9wavefront6targetE0EEEvT1_: ; @_ZN7rocprim17ROCPRIM_400000_NS6detail17trampoline_kernelINS0_14default_configENS1_25partition_config_selectorILNS1_17partition_subalgoE6ExNS0_10empty_typeEbEEZZNS1_14partition_implILS5_6ELb0ES3_mN6thrust23THRUST_200600_302600_NS6detail15normal_iteratorINSA_10device_ptrIxEEEEPS6_SG_NS0_5tupleIJSF_S6_EEENSH_IJSG_SG_EEES6_PlJNSB_9not_fun_tI7is_evenIxEEEEEE10hipError_tPvRmT3_T4_T5_T6_T7_T9_mT8_P12ihipStream_tbDpT10_ENKUlT_T0_E_clISt17integral_constantIbLb1EES18_EEDaS13_S14_EUlS13_E_NS1_11comp_targetILNS1_3genE4ELNS1_11target_archE910ELNS1_3gpuE8ELNS1_3repE0EEENS1_30default_config_static_selectorELNS0_4arch9wavefront6targetE0EEEvT1_
; %bb.0:
	.section	.rodata,"a",@progbits
	.p2align	6, 0x0
	.amdhsa_kernel _ZN7rocprim17ROCPRIM_400000_NS6detail17trampoline_kernelINS0_14default_configENS1_25partition_config_selectorILNS1_17partition_subalgoE6ExNS0_10empty_typeEbEEZZNS1_14partition_implILS5_6ELb0ES3_mN6thrust23THRUST_200600_302600_NS6detail15normal_iteratorINSA_10device_ptrIxEEEEPS6_SG_NS0_5tupleIJSF_S6_EEENSH_IJSG_SG_EEES6_PlJNSB_9not_fun_tI7is_evenIxEEEEEE10hipError_tPvRmT3_T4_T5_T6_T7_T9_mT8_P12ihipStream_tbDpT10_ENKUlT_T0_E_clISt17integral_constantIbLb1EES18_EEDaS13_S14_EUlS13_E_NS1_11comp_targetILNS1_3genE4ELNS1_11target_archE910ELNS1_3gpuE8ELNS1_3repE0EEENS1_30default_config_static_selectorELNS0_4arch9wavefront6targetE0EEEvT1_
		.amdhsa_group_segment_fixed_size 0
		.amdhsa_private_segment_fixed_size 0
		.amdhsa_kernarg_size 128
		.amdhsa_user_sgpr_count 2
		.amdhsa_user_sgpr_dispatch_ptr 0
		.amdhsa_user_sgpr_queue_ptr 0
		.amdhsa_user_sgpr_kernarg_segment_ptr 1
		.amdhsa_user_sgpr_dispatch_id 0
		.amdhsa_user_sgpr_private_segment_size 0
		.amdhsa_wavefront_size32 1
		.amdhsa_uses_dynamic_stack 0
		.amdhsa_enable_private_segment 0
		.amdhsa_system_sgpr_workgroup_id_x 1
		.amdhsa_system_sgpr_workgroup_id_y 0
		.amdhsa_system_sgpr_workgroup_id_z 0
		.amdhsa_system_sgpr_workgroup_info 0
		.amdhsa_system_vgpr_workitem_id 0
		.amdhsa_next_free_vgpr 1
		.amdhsa_next_free_sgpr 1
		.amdhsa_reserve_vcc 0
		.amdhsa_float_round_mode_32 0
		.amdhsa_float_round_mode_16_64 0
		.amdhsa_float_denorm_mode_32 3
		.amdhsa_float_denorm_mode_16_64 3
		.amdhsa_fp16_overflow 0
		.amdhsa_workgroup_processor_mode 1
		.amdhsa_memory_ordered 1
		.amdhsa_forward_progress 1
		.amdhsa_inst_pref_size 0
		.amdhsa_round_robin_scheduling 0
		.amdhsa_exception_fp_ieee_invalid_op 0
		.amdhsa_exception_fp_denorm_src 0
		.amdhsa_exception_fp_ieee_div_zero 0
		.amdhsa_exception_fp_ieee_overflow 0
		.amdhsa_exception_fp_ieee_underflow 0
		.amdhsa_exception_fp_ieee_inexact 0
		.amdhsa_exception_int_div_zero 0
	.end_amdhsa_kernel
	.section	.text._ZN7rocprim17ROCPRIM_400000_NS6detail17trampoline_kernelINS0_14default_configENS1_25partition_config_selectorILNS1_17partition_subalgoE6ExNS0_10empty_typeEbEEZZNS1_14partition_implILS5_6ELb0ES3_mN6thrust23THRUST_200600_302600_NS6detail15normal_iteratorINSA_10device_ptrIxEEEEPS6_SG_NS0_5tupleIJSF_S6_EEENSH_IJSG_SG_EEES6_PlJNSB_9not_fun_tI7is_evenIxEEEEEE10hipError_tPvRmT3_T4_T5_T6_T7_T9_mT8_P12ihipStream_tbDpT10_ENKUlT_T0_E_clISt17integral_constantIbLb1EES18_EEDaS13_S14_EUlS13_E_NS1_11comp_targetILNS1_3genE4ELNS1_11target_archE910ELNS1_3gpuE8ELNS1_3repE0EEENS1_30default_config_static_selectorELNS0_4arch9wavefront6targetE0EEEvT1_,"axG",@progbits,_ZN7rocprim17ROCPRIM_400000_NS6detail17trampoline_kernelINS0_14default_configENS1_25partition_config_selectorILNS1_17partition_subalgoE6ExNS0_10empty_typeEbEEZZNS1_14partition_implILS5_6ELb0ES3_mN6thrust23THRUST_200600_302600_NS6detail15normal_iteratorINSA_10device_ptrIxEEEEPS6_SG_NS0_5tupleIJSF_S6_EEENSH_IJSG_SG_EEES6_PlJNSB_9not_fun_tI7is_evenIxEEEEEE10hipError_tPvRmT3_T4_T5_T6_T7_T9_mT8_P12ihipStream_tbDpT10_ENKUlT_T0_E_clISt17integral_constantIbLb1EES18_EEDaS13_S14_EUlS13_E_NS1_11comp_targetILNS1_3genE4ELNS1_11target_archE910ELNS1_3gpuE8ELNS1_3repE0EEENS1_30default_config_static_selectorELNS0_4arch9wavefront6targetE0EEEvT1_,comdat
.Lfunc_end703:
	.size	_ZN7rocprim17ROCPRIM_400000_NS6detail17trampoline_kernelINS0_14default_configENS1_25partition_config_selectorILNS1_17partition_subalgoE6ExNS0_10empty_typeEbEEZZNS1_14partition_implILS5_6ELb0ES3_mN6thrust23THRUST_200600_302600_NS6detail15normal_iteratorINSA_10device_ptrIxEEEEPS6_SG_NS0_5tupleIJSF_S6_EEENSH_IJSG_SG_EEES6_PlJNSB_9not_fun_tI7is_evenIxEEEEEE10hipError_tPvRmT3_T4_T5_T6_T7_T9_mT8_P12ihipStream_tbDpT10_ENKUlT_T0_E_clISt17integral_constantIbLb1EES18_EEDaS13_S14_EUlS13_E_NS1_11comp_targetILNS1_3genE4ELNS1_11target_archE910ELNS1_3gpuE8ELNS1_3repE0EEENS1_30default_config_static_selectorELNS0_4arch9wavefront6targetE0EEEvT1_, .Lfunc_end703-_ZN7rocprim17ROCPRIM_400000_NS6detail17trampoline_kernelINS0_14default_configENS1_25partition_config_selectorILNS1_17partition_subalgoE6ExNS0_10empty_typeEbEEZZNS1_14partition_implILS5_6ELb0ES3_mN6thrust23THRUST_200600_302600_NS6detail15normal_iteratorINSA_10device_ptrIxEEEEPS6_SG_NS0_5tupleIJSF_S6_EEENSH_IJSG_SG_EEES6_PlJNSB_9not_fun_tI7is_evenIxEEEEEE10hipError_tPvRmT3_T4_T5_T6_T7_T9_mT8_P12ihipStream_tbDpT10_ENKUlT_T0_E_clISt17integral_constantIbLb1EES18_EEDaS13_S14_EUlS13_E_NS1_11comp_targetILNS1_3genE4ELNS1_11target_archE910ELNS1_3gpuE8ELNS1_3repE0EEENS1_30default_config_static_selectorELNS0_4arch9wavefront6targetE0EEEvT1_
                                        ; -- End function
	.set _ZN7rocprim17ROCPRIM_400000_NS6detail17trampoline_kernelINS0_14default_configENS1_25partition_config_selectorILNS1_17partition_subalgoE6ExNS0_10empty_typeEbEEZZNS1_14partition_implILS5_6ELb0ES3_mN6thrust23THRUST_200600_302600_NS6detail15normal_iteratorINSA_10device_ptrIxEEEEPS6_SG_NS0_5tupleIJSF_S6_EEENSH_IJSG_SG_EEES6_PlJNSB_9not_fun_tI7is_evenIxEEEEEE10hipError_tPvRmT3_T4_T5_T6_T7_T9_mT8_P12ihipStream_tbDpT10_ENKUlT_T0_E_clISt17integral_constantIbLb1EES18_EEDaS13_S14_EUlS13_E_NS1_11comp_targetILNS1_3genE4ELNS1_11target_archE910ELNS1_3gpuE8ELNS1_3repE0EEENS1_30default_config_static_selectorELNS0_4arch9wavefront6targetE0EEEvT1_.num_vgpr, 0
	.set _ZN7rocprim17ROCPRIM_400000_NS6detail17trampoline_kernelINS0_14default_configENS1_25partition_config_selectorILNS1_17partition_subalgoE6ExNS0_10empty_typeEbEEZZNS1_14partition_implILS5_6ELb0ES3_mN6thrust23THRUST_200600_302600_NS6detail15normal_iteratorINSA_10device_ptrIxEEEEPS6_SG_NS0_5tupleIJSF_S6_EEENSH_IJSG_SG_EEES6_PlJNSB_9not_fun_tI7is_evenIxEEEEEE10hipError_tPvRmT3_T4_T5_T6_T7_T9_mT8_P12ihipStream_tbDpT10_ENKUlT_T0_E_clISt17integral_constantIbLb1EES18_EEDaS13_S14_EUlS13_E_NS1_11comp_targetILNS1_3genE4ELNS1_11target_archE910ELNS1_3gpuE8ELNS1_3repE0EEENS1_30default_config_static_selectorELNS0_4arch9wavefront6targetE0EEEvT1_.num_agpr, 0
	.set _ZN7rocprim17ROCPRIM_400000_NS6detail17trampoline_kernelINS0_14default_configENS1_25partition_config_selectorILNS1_17partition_subalgoE6ExNS0_10empty_typeEbEEZZNS1_14partition_implILS5_6ELb0ES3_mN6thrust23THRUST_200600_302600_NS6detail15normal_iteratorINSA_10device_ptrIxEEEEPS6_SG_NS0_5tupleIJSF_S6_EEENSH_IJSG_SG_EEES6_PlJNSB_9not_fun_tI7is_evenIxEEEEEE10hipError_tPvRmT3_T4_T5_T6_T7_T9_mT8_P12ihipStream_tbDpT10_ENKUlT_T0_E_clISt17integral_constantIbLb1EES18_EEDaS13_S14_EUlS13_E_NS1_11comp_targetILNS1_3genE4ELNS1_11target_archE910ELNS1_3gpuE8ELNS1_3repE0EEENS1_30default_config_static_selectorELNS0_4arch9wavefront6targetE0EEEvT1_.numbered_sgpr, 0
	.set _ZN7rocprim17ROCPRIM_400000_NS6detail17trampoline_kernelINS0_14default_configENS1_25partition_config_selectorILNS1_17partition_subalgoE6ExNS0_10empty_typeEbEEZZNS1_14partition_implILS5_6ELb0ES3_mN6thrust23THRUST_200600_302600_NS6detail15normal_iteratorINSA_10device_ptrIxEEEEPS6_SG_NS0_5tupleIJSF_S6_EEENSH_IJSG_SG_EEES6_PlJNSB_9not_fun_tI7is_evenIxEEEEEE10hipError_tPvRmT3_T4_T5_T6_T7_T9_mT8_P12ihipStream_tbDpT10_ENKUlT_T0_E_clISt17integral_constantIbLb1EES18_EEDaS13_S14_EUlS13_E_NS1_11comp_targetILNS1_3genE4ELNS1_11target_archE910ELNS1_3gpuE8ELNS1_3repE0EEENS1_30default_config_static_selectorELNS0_4arch9wavefront6targetE0EEEvT1_.num_named_barrier, 0
	.set _ZN7rocprim17ROCPRIM_400000_NS6detail17trampoline_kernelINS0_14default_configENS1_25partition_config_selectorILNS1_17partition_subalgoE6ExNS0_10empty_typeEbEEZZNS1_14partition_implILS5_6ELb0ES3_mN6thrust23THRUST_200600_302600_NS6detail15normal_iteratorINSA_10device_ptrIxEEEEPS6_SG_NS0_5tupleIJSF_S6_EEENSH_IJSG_SG_EEES6_PlJNSB_9not_fun_tI7is_evenIxEEEEEE10hipError_tPvRmT3_T4_T5_T6_T7_T9_mT8_P12ihipStream_tbDpT10_ENKUlT_T0_E_clISt17integral_constantIbLb1EES18_EEDaS13_S14_EUlS13_E_NS1_11comp_targetILNS1_3genE4ELNS1_11target_archE910ELNS1_3gpuE8ELNS1_3repE0EEENS1_30default_config_static_selectorELNS0_4arch9wavefront6targetE0EEEvT1_.private_seg_size, 0
	.set _ZN7rocprim17ROCPRIM_400000_NS6detail17trampoline_kernelINS0_14default_configENS1_25partition_config_selectorILNS1_17partition_subalgoE6ExNS0_10empty_typeEbEEZZNS1_14partition_implILS5_6ELb0ES3_mN6thrust23THRUST_200600_302600_NS6detail15normal_iteratorINSA_10device_ptrIxEEEEPS6_SG_NS0_5tupleIJSF_S6_EEENSH_IJSG_SG_EEES6_PlJNSB_9not_fun_tI7is_evenIxEEEEEE10hipError_tPvRmT3_T4_T5_T6_T7_T9_mT8_P12ihipStream_tbDpT10_ENKUlT_T0_E_clISt17integral_constantIbLb1EES18_EEDaS13_S14_EUlS13_E_NS1_11comp_targetILNS1_3genE4ELNS1_11target_archE910ELNS1_3gpuE8ELNS1_3repE0EEENS1_30default_config_static_selectorELNS0_4arch9wavefront6targetE0EEEvT1_.uses_vcc, 0
	.set _ZN7rocprim17ROCPRIM_400000_NS6detail17trampoline_kernelINS0_14default_configENS1_25partition_config_selectorILNS1_17partition_subalgoE6ExNS0_10empty_typeEbEEZZNS1_14partition_implILS5_6ELb0ES3_mN6thrust23THRUST_200600_302600_NS6detail15normal_iteratorINSA_10device_ptrIxEEEEPS6_SG_NS0_5tupleIJSF_S6_EEENSH_IJSG_SG_EEES6_PlJNSB_9not_fun_tI7is_evenIxEEEEEE10hipError_tPvRmT3_T4_T5_T6_T7_T9_mT8_P12ihipStream_tbDpT10_ENKUlT_T0_E_clISt17integral_constantIbLb1EES18_EEDaS13_S14_EUlS13_E_NS1_11comp_targetILNS1_3genE4ELNS1_11target_archE910ELNS1_3gpuE8ELNS1_3repE0EEENS1_30default_config_static_selectorELNS0_4arch9wavefront6targetE0EEEvT1_.uses_flat_scratch, 0
	.set _ZN7rocprim17ROCPRIM_400000_NS6detail17trampoline_kernelINS0_14default_configENS1_25partition_config_selectorILNS1_17partition_subalgoE6ExNS0_10empty_typeEbEEZZNS1_14partition_implILS5_6ELb0ES3_mN6thrust23THRUST_200600_302600_NS6detail15normal_iteratorINSA_10device_ptrIxEEEEPS6_SG_NS0_5tupleIJSF_S6_EEENSH_IJSG_SG_EEES6_PlJNSB_9not_fun_tI7is_evenIxEEEEEE10hipError_tPvRmT3_T4_T5_T6_T7_T9_mT8_P12ihipStream_tbDpT10_ENKUlT_T0_E_clISt17integral_constantIbLb1EES18_EEDaS13_S14_EUlS13_E_NS1_11comp_targetILNS1_3genE4ELNS1_11target_archE910ELNS1_3gpuE8ELNS1_3repE0EEENS1_30default_config_static_selectorELNS0_4arch9wavefront6targetE0EEEvT1_.has_dyn_sized_stack, 0
	.set _ZN7rocprim17ROCPRIM_400000_NS6detail17trampoline_kernelINS0_14default_configENS1_25partition_config_selectorILNS1_17partition_subalgoE6ExNS0_10empty_typeEbEEZZNS1_14partition_implILS5_6ELb0ES3_mN6thrust23THRUST_200600_302600_NS6detail15normal_iteratorINSA_10device_ptrIxEEEEPS6_SG_NS0_5tupleIJSF_S6_EEENSH_IJSG_SG_EEES6_PlJNSB_9not_fun_tI7is_evenIxEEEEEE10hipError_tPvRmT3_T4_T5_T6_T7_T9_mT8_P12ihipStream_tbDpT10_ENKUlT_T0_E_clISt17integral_constantIbLb1EES18_EEDaS13_S14_EUlS13_E_NS1_11comp_targetILNS1_3genE4ELNS1_11target_archE910ELNS1_3gpuE8ELNS1_3repE0EEENS1_30default_config_static_selectorELNS0_4arch9wavefront6targetE0EEEvT1_.has_recursion, 0
	.set _ZN7rocprim17ROCPRIM_400000_NS6detail17trampoline_kernelINS0_14default_configENS1_25partition_config_selectorILNS1_17partition_subalgoE6ExNS0_10empty_typeEbEEZZNS1_14partition_implILS5_6ELb0ES3_mN6thrust23THRUST_200600_302600_NS6detail15normal_iteratorINSA_10device_ptrIxEEEEPS6_SG_NS0_5tupleIJSF_S6_EEENSH_IJSG_SG_EEES6_PlJNSB_9not_fun_tI7is_evenIxEEEEEE10hipError_tPvRmT3_T4_T5_T6_T7_T9_mT8_P12ihipStream_tbDpT10_ENKUlT_T0_E_clISt17integral_constantIbLb1EES18_EEDaS13_S14_EUlS13_E_NS1_11comp_targetILNS1_3genE4ELNS1_11target_archE910ELNS1_3gpuE8ELNS1_3repE0EEENS1_30default_config_static_selectorELNS0_4arch9wavefront6targetE0EEEvT1_.has_indirect_call, 0
	.section	.AMDGPU.csdata,"",@progbits
; Kernel info:
; codeLenInByte = 0
; TotalNumSgprs: 0
; NumVgprs: 0
; ScratchSize: 0
; MemoryBound: 0
; FloatMode: 240
; IeeeMode: 1
; LDSByteSize: 0 bytes/workgroup (compile time only)
; SGPRBlocks: 0
; VGPRBlocks: 0
; NumSGPRsForWavesPerEU: 1
; NumVGPRsForWavesPerEU: 1
; Occupancy: 16
; WaveLimiterHint : 0
; COMPUTE_PGM_RSRC2:SCRATCH_EN: 0
; COMPUTE_PGM_RSRC2:USER_SGPR: 2
; COMPUTE_PGM_RSRC2:TRAP_HANDLER: 0
; COMPUTE_PGM_RSRC2:TGID_X_EN: 1
; COMPUTE_PGM_RSRC2:TGID_Y_EN: 0
; COMPUTE_PGM_RSRC2:TGID_Z_EN: 0
; COMPUTE_PGM_RSRC2:TIDIG_COMP_CNT: 0
	.section	.text._ZN7rocprim17ROCPRIM_400000_NS6detail17trampoline_kernelINS0_14default_configENS1_25partition_config_selectorILNS1_17partition_subalgoE6ExNS0_10empty_typeEbEEZZNS1_14partition_implILS5_6ELb0ES3_mN6thrust23THRUST_200600_302600_NS6detail15normal_iteratorINSA_10device_ptrIxEEEEPS6_SG_NS0_5tupleIJSF_S6_EEENSH_IJSG_SG_EEES6_PlJNSB_9not_fun_tI7is_evenIxEEEEEE10hipError_tPvRmT3_T4_T5_T6_T7_T9_mT8_P12ihipStream_tbDpT10_ENKUlT_T0_E_clISt17integral_constantIbLb1EES18_EEDaS13_S14_EUlS13_E_NS1_11comp_targetILNS1_3genE3ELNS1_11target_archE908ELNS1_3gpuE7ELNS1_3repE0EEENS1_30default_config_static_selectorELNS0_4arch9wavefront6targetE0EEEvT1_,"axG",@progbits,_ZN7rocprim17ROCPRIM_400000_NS6detail17trampoline_kernelINS0_14default_configENS1_25partition_config_selectorILNS1_17partition_subalgoE6ExNS0_10empty_typeEbEEZZNS1_14partition_implILS5_6ELb0ES3_mN6thrust23THRUST_200600_302600_NS6detail15normal_iteratorINSA_10device_ptrIxEEEEPS6_SG_NS0_5tupleIJSF_S6_EEENSH_IJSG_SG_EEES6_PlJNSB_9not_fun_tI7is_evenIxEEEEEE10hipError_tPvRmT3_T4_T5_T6_T7_T9_mT8_P12ihipStream_tbDpT10_ENKUlT_T0_E_clISt17integral_constantIbLb1EES18_EEDaS13_S14_EUlS13_E_NS1_11comp_targetILNS1_3genE3ELNS1_11target_archE908ELNS1_3gpuE7ELNS1_3repE0EEENS1_30default_config_static_selectorELNS0_4arch9wavefront6targetE0EEEvT1_,comdat
	.protected	_ZN7rocprim17ROCPRIM_400000_NS6detail17trampoline_kernelINS0_14default_configENS1_25partition_config_selectorILNS1_17partition_subalgoE6ExNS0_10empty_typeEbEEZZNS1_14partition_implILS5_6ELb0ES3_mN6thrust23THRUST_200600_302600_NS6detail15normal_iteratorINSA_10device_ptrIxEEEEPS6_SG_NS0_5tupleIJSF_S6_EEENSH_IJSG_SG_EEES6_PlJNSB_9not_fun_tI7is_evenIxEEEEEE10hipError_tPvRmT3_T4_T5_T6_T7_T9_mT8_P12ihipStream_tbDpT10_ENKUlT_T0_E_clISt17integral_constantIbLb1EES18_EEDaS13_S14_EUlS13_E_NS1_11comp_targetILNS1_3genE3ELNS1_11target_archE908ELNS1_3gpuE7ELNS1_3repE0EEENS1_30default_config_static_selectorELNS0_4arch9wavefront6targetE0EEEvT1_ ; -- Begin function _ZN7rocprim17ROCPRIM_400000_NS6detail17trampoline_kernelINS0_14default_configENS1_25partition_config_selectorILNS1_17partition_subalgoE6ExNS0_10empty_typeEbEEZZNS1_14partition_implILS5_6ELb0ES3_mN6thrust23THRUST_200600_302600_NS6detail15normal_iteratorINSA_10device_ptrIxEEEEPS6_SG_NS0_5tupleIJSF_S6_EEENSH_IJSG_SG_EEES6_PlJNSB_9not_fun_tI7is_evenIxEEEEEE10hipError_tPvRmT3_T4_T5_T6_T7_T9_mT8_P12ihipStream_tbDpT10_ENKUlT_T0_E_clISt17integral_constantIbLb1EES18_EEDaS13_S14_EUlS13_E_NS1_11comp_targetILNS1_3genE3ELNS1_11target_archE908ELNS1_3gpuE7ELNS1_3repE0EEENS1_30default_config_static_selectorELNS0_4arch9wavefront6targetE0EEEvT1_
	.globl	_ZN7rocprim17ROCPRIM_400000_NS6detail17trampoline_kernelINS0_14default_configENS1_25partition_config_selectorILNS1_17partition_subalgoE6ExNS0_10empty_typeEbEEZZNS1_14partition_implILS5_6ELb0ES3_mN6thrust23THRUST_200600_302600_NS6detail15normal_iteratorINSA_10device_ptrIxEEEEPS6_SG_NS0_5tupleIJSF_S6_EEENSH_IJSG_SG_EEES6_PlJNSB_9not_fun_tI7is_evenIxEEEEEE10hipError_tPvRmT3_T4_T5_T6_T7_T9_mT8_P12ihipStream_tbDpT10_ENKUlT_T0_E_clISt17integral_constantIbLb1EES18_EEDaS13_S14_EUlS13_E_NS1_11comp_targetILNS1_3genE3ELNS1_11target_archE908ELNS1_3gpuE7ELNS1_3repE0EEENS1_30default_config_static_selectorELNS0_4arch9wavefront6targetE0EEEvT1_
	.p2align	8
	.type	_ZN7rocprim17ROCPRIM_400000_NS6detail17trampoline_kernelINS0_14default_configENS1_25partition_config_selectorILNS1_17partition_subalgoE6ExNS0_10empty_typeEbEEZZNS1_14partition_implILS5_6ELb0ES3_mN6thrust23THRUST_200600_302600_NS6detail15normal_iteratorINSA_10device_ptrIxEEEEPS6_SG_NS0_5tupleIJSF_S6_EEENSH_IJSG_SG_EEES6_PlJNSB_9not_fun_tI7is_evenIxEEEEEE10hipError_tPvRmT3_T4_T5_T6_T7_T9_mT8_P12ihipStream_tbDpT10_ENKUlT_T0_E_clISt17integral_constantIbLb1EES18_EEDaS13_S14_EUlS13_E_NS1_11comp_targetILNS1_3genE3ELNS1_11target_archE908ELNS1_3gpuE7ELNS1_3repE0EEENS1_30default_config_static_selectorELNS0_4arch9wavefront6targetE0EEEvT1_,@function
_ZN7rocprim17ROCPRIM_400000_NS6detail17trampoline_kernelINS0_14default_configENS1_25partition_config_selectorILNS1_17partition_subalgoE6ExNS0_10empty_typeEbEEZZNS1_14partition_implILS5_6ELb0ES3_mN6thrust23THRUST_200600_302600_NS6detail15normal_iteratorINSA_10device_ptrIxEEEEPS6_SG_NS0_5tupleIJSF_S6_EEENSH_IJSG_SG_EEES6_PlJNSB_9not_fun_tI7is_evenIxEEEEEE10hipError_tPvRmT3_T4_T5_T6_T7_T9_mT8_P12ihipStream_tbDpT10_ENKUlT_T0_E_clISt17integral_constantIbLb1EES18_EEDaS13_S14_EUlS13_E_NS1_11comp_targetILNS1_3genE3ELNS1_11target_archE908ELNS1_3gpuE7ELNS1_3repE0EEENS1_30default_config_static_selectorELNS0_4arch9wavefront6targetE0EEEvT1_: ; @_ZN7rocprim17ROCPRIM_400000_NS6detail17trampoline_kernelINS0_14default_configENS1_25partition_config_selectorILNS1_17partition_subalgoE6ExNS0_10empty_typeEbEEZZNS1_14partition_implILS5_6ELb0ES3_mN6thrust23THRUST_200600_302600_NS6detail15normal_iteratorINSA_10device_ptrIxEEEEPS6_SG_NS0_5tupleIJSF_S6_EEENSH_IJSG_SG_EEES6_PlJNSB_9not_fun_tI7is_evenIxEEEEEE10hipError_tPvRmT3_T4_T5_T6_T7_T9_mT8_P12ihipStream_tbDpT10_ENKUlT_T0_E_clISt17integral_constantIbLb1EES18_EEDaS13_S14_EUlS13_E_NS1_11comp_targetILNS1_3genE3ELNS1_11target_archE908ELNS1_3gpuE7ELNS1_3repE0EEENS1_30default_config_static_selectorELNS0_4arch9wavefront6targetE0EEEvT1_
; %bb.0:
	.section	.rodata,"a",@progbits
	.p2align	6, 0x0
	.amdhsa_kernel _ZN7rocprim17ROCPRIM_400000_NS6detail17trampoline_kernelINS0_14default_configENS1_25partition_config_selectorILNS1_17partition_subalgoE6ExNS0_10empty_typeEbEEZZNS1_14partition_implILS5_6ELb0ES3_mN6thrust23THRUST_200600_302600_NS6detail15normal_iteratorINSA_10device_ptrIxEEEEPS6_SG_NS0_5tupleIJSF_S6_EEENSH_IJSG_SG_EEES6_PlJNSB_9not_fun_tI7is_evenIxEEEEEE10hipError_tPvRmT3_T4_T5_T6_T7_T9_mT8_P12ihipStream_tbDpT10_ENKUlT_T0_E_clISt17integral_constantIbLb1EES18_EEDaS13_S14_EUlS13_E_NS1_11comp_targetILNS1_3genE3ELNS1_11target_archE908ELNS1_3gpuE7ELNS1_3repE0EEENS1_30default_config_static_selectorELNS0_4arch9wavefront6targetE0EEEvT1_
		.amdhsa_group_segment_fixed_size 0
		.amdhsa_private_segment_fixed_size 0
		.amdhsa_kernarg_size 128
		.amdhsa_user_sgpr_count 2
		.amdhsa_user_sgpr_dispatch_ptr 0
		.amdhsa_user_sgpr_queue_ptr 0
		.amdhsa_user_sgpr_kernarg_segment_ptr 1
		.amdhsa_user_sgpr_dispatch_id 0
		.amdhsa_user_sgpr_private_segment_size 0
		.amdhsa_wavefront_size32 1
		.amdhsa_uses_dynamic_stack 0
		.amdhsa_enable_private_segment 0
		.amdhsa_system_sgpr_workgroup_id_x 1
		.amdhsa_system_sgpr_workgroup_id_y 0
		.amdhsa_system_sgpr_workgroup_id_z 0
		.amdhsa_system_sgpr_workgroup_info 0
		.amdhsa_system_vgpr_workitem_id 0
		.amdhsa_next_free_vgpr 1
		.amdhsa_next_free_sgpr 1
		.amdhsa_reserve_vcc 0
		.amdhsa_float_round_mode_32 0
		.amdhsa_float_round_mode_16_64 0
		.amdhsa_float_denorm_mode_32 3
		.amdhsa_float_denorm_mode_16_64 3
		.amdhsa_fp16_overflow 0
		.amdhsa_workgroup_processor_mode 1
		.amdhsa_memory_ordered 1
		.amdhsa_forward_progress 1
		.amdhsa_inst_pref_size 0
		.amdhsa_round_robin_scheduling 0
		.amdhsa_exception_fp_ieee_invalid_op 0
		.amdhsa_exception_fp_denorm_src 0
		.amdhsa_exception_fp_ieee_div_zero 0
		.amdhsa_exception_fp_ieee_overflow 0
		.amdhsa_exception_fp_ieee_underflow 0
		.amdhsa_exception_fp_ieee_inexact 0
		.amdhsa_exception_int_div_zero 0
	.end_amdhsa_kernel
	.section	.text._ZN7rocprim17ROCPRIM_400000_NS6detail17trampoline_kernelINS0_14default_configENS1_25partition_config_selectorILNS1_17partition_subalgoE6ExNS0_10empty_typeEbEEZZNS1_14partition_implILS5_6ELb0ES3_mN6thrust23THRUST_200600_302600_NS6detail15normal_iteratorINSA_10device_ptrIxEEEEPS6_SG_NS0_5tupleIJSF_S6_EEENSH_IJSG_SG_EEES6_PlJNSB_9not_fun_tI7is_evenIxEEEEEE10hipError_tPvRmT3_T4_T5_T6_T7_T9_mT8_P12ihipStream_tbDpT10_ENKUlT_T0_E_clISt17integral_constantIbLb1EES18_EEDaS13_S14_EUlS13_E_NS1_11comp_targetILNS1_3genE3ELNS1_11target_archE908ELNS1_3gpuE7ELNS1_3repE0EEENS1_30default_config_static_selectorELNS0_4arch9wavefront6targetE0EEEvT1_,"axG",@progbits,_ZN7rocprim17ROCPRIM_400000_NS6detail17trampoline_kernelINS0_14default_configENS1_25partition_config_selectorILNS1_17partition_subalgoE6ExNS0_10empty_typeEbEEZZNS1_14partition_implILS5_6ELb0ES3_mN6thrust23THRUST_200600_302600_NS6detail15normal_iteratorINSA_10device_ptrIxEEEEPS6_SG_NS0_5tupleIJSF_S6_EEENSH_IJSG_SG_EEES6_PlJNSB_9not_fun_tI7is_evenIxEEEEEE10hipError_tPvRmT3_T4_T5_T6_T7_T9_mT8_P12ihipStream_tbDpT10_ENKUlT_T0_E_clISt17integral_constantIbLb1EES18_EEDaS13_S14_EUlS13_E_NS1_11comp_targetILNS1_3genE3ELNS1_11target_archE908ELNS1_3gpuE7ELNS1_3repE0EEENS1_30default_config_static_selectorELNS0_4arch9wavefront6targetE0EEEvT1_,comdat
.Lfunc_end704:
	.size	_ZN7rocprim17ROCPRIM_400000_NS6detail17trampoline_kernelINS0_14default_configENS1_25partition_config_selectorILNS1_17partition_subalgoE6ExNS0_10empty_typeEbEEZZNS1_14partition_implILS5_6ELb0ES3_mN6thrust23THRUST_200600_302600_NS6detail15normal_iteratorINSA_10device_ptrIxEEEEPS6_SG_NS0_5tupleIJSF_S6_EEENSH_IJSG_SG_EEES6_PlJNSB_9not_fun_tI7is_evenIxEEEEEE10hipError_tPvRmT3_T4_T5_T6_T7_T9_mT8_P12ihipStream_tbDpT10_ENKUlT_T0_E_clISt17integral_constantIbLb1EES18_EEDaS13_S14_EUlS13_E_NS1_11comp_targetILNS1_3genE3ELNS1_11target_archE908ELNS1_3gpuE7ELNS1_3repE0EEENS1_30default_config_static_selectorELNS0_4arch9wavefront6targetE0EEEvT1_, .Lfunc_end704-_ZN7rocprim17ROCPRIM_400000_NS6detail17trampoline_kernelINS0_14default_configENS1_25partition_config_selectorILNS1_17partition_subalgoE6ExNS0_10empty_typeEbEEZZNS1_14partition_implILS5_6ELb0ES3_mN6thrust23THRUST_200600_302600_NS6detail15normal_iteratorINSA_10device_ptrIxEEEEPS6_SG_NS0_5tupleIJSF_S6_EEENSH_IJSG_SG_EEES6_PlJNSB_9not_fun_tI7is_evenIxEEEEEE10hipError_tPvRmT3_T4_T5_T6_T7_T9_mT8_P12ihipStream_tbDpT10_ENKUlT_T0_E_clISt17integral_constantIbLb1EES18_EEDaS13_S14_EUlS13_E_NS1_11comp_targetILNS1_3genE3ELNS1_11target_archE908ELNS1_3gpuE7ELNS1_3repE0EEENS1_30default_config_static_selectorELNS0_4arch9wavefront6targetE0EEEvT1_
                                        ; -- End function
	.set _ZN7rocprim17ROCPRIM_400000_NS6detail17trampoline_kernelINS0_14default_configENS1_25partition_config_selectorILNS1_17partition_subalgoE6ExNS0_10empty_typeEbEEZZNS1_14partition_implILS5_6ELb0ES3_mN6thrust23THRUST_200600_302600_NS6detail15normal_iteratorINSA_10device_ptrIxEEEEPS6_SG_NS0_5tupleIJSF_S6_EEENSH_IJSG_SG_EEES6_PlJNSB_9not_fun_tI7is_evenIxEEEEEE10hipError_tPvRmT3_T4_T5_T6_T7_T9_mT8_P12ihipStream_tbDpT10_ENKUlT_T0_E_clISt17integral_constantIbLb1EES18_EEDaS13_S14_EUlS13_E_NS1_11comp_targetILNS1_3genE3ELNS1_11target_archE908ELNS1_3gpuE7ELNS1_3repE0EEENS1_30default_config_static_selectorELNS0_4arch9wavefront6targetE0EEEvT1_.num_vgpr, 0
	.set _ZN7rocprim17ROCPRIM_400000_NS6detail17trampoline_kernelINS0_14default_configENS1_25partition_config_selectorILNS1_17partition_subalgoE6ExNS0_10empty_typeEbEEZZNS1_14partition_implILS5_6ELb0ES3_mN6thrust23THRUST_200600_302600_NS6detail15normal_iteratorINSA_10device_ptrIxEEEEPS6_SG_NS0_5tupleIJSF_S6_EEENSH_IJSG_SG_EEES6_PlJNSB_9not_fun_tI7is_evenIxEEEEEE10hipError_tPvRmT3_T4_T5_T6_T7_T9_mT8_P12ihipStream_tbDpT10_ENKUlT_T0_E_clISt17integral_constantIbLb1EES18_EEDaS13_S14_EUlS13_E_NS1_11comp_targetILNS1_3genE3ELNS1_11target_archE908ELNS1_3gpuE7ELNS1_3repE0EEENS1_30default_config_static_selectorELNS0_4arch9wavefront6targetE0EEEvT1_.num_agpr, 0
	.set _ZN7rocprim17ROCPRIM_400000_NS6detail17trampoline_kernelINS0_14default_configENS1_25partition_config_selectorILNS1_17partition_subalgoE6ExNS0_10empty_typeEbEEZZNS1_14partition_implILS5_6ELb0ES3_mN6thrust23THRUST_200600_302600_NS6detail15normal_iteratorINSA_10device_ptrIxEEEEPS6_SG_NS0_5tupleIJSF_S6_EEENSH_IJSG_SG_EEES6_PlJNSB_9not_fun_tI7is_evenIxEEEEEE10hipError_tPvRmT3_T4_T5_T6_T7_T9_mT8_P12ihipStream_tbDpT10_ENKUlT_T0_E_clISt17integral_constantIbLb1EES18_EEDaS13_S14_EUlS13_E_NS1_11comp_targetILNS1_3genE3ELNS1_11target_archE908ELNS1_3gpuE7ELNS1_3repE0EEENS1_30default_config_static_selectorELNS0_4arch9wavefront6targetE0EEEvT1_.numbered_sgpr, 0
	.set _ZN7rocprim17ROCPRIM_400000_NS6detail17trampoline_kernelINS0_14default_configENS1_25partition_config_selectorILNS1_17partition_subalgoE6ExNS0_10empty_typeEbEEZZNS1_14partition_implILS5_6ELb0ES3_mN6thrust23THRUST_200600_302600_NS6detail15normal_iteratorINSA_10device_ptrIxEEEEPS6_SG_NS0_5tupleIJSF_S6_EEENSH_IJSG_SG_EEES6_PlJNSB_9not_fun_tI7is_evenIxEEEEEE10hipError_tPvRmT3_T4_T5_T6_T7_T9_mT8_P12ihipStream_tbDpT10_ENKUlT_T0_E_clISt17integral_constantIbLb1EES18_EEDaS13_S14_EUlS13_E_NS1_11comp_targetILNS1_3genE3ELNS1_11target_archE908ELNS1_3gpuE7ELNS1_3repE0EEENS1_30default_config_static_selectorELNS0_4arch9wavefront6targetE0EEEvT1_.num_named_barrier, 0
	.set _ZN7rocprim17ROCPRIM_400000_NS6detail17trampoline_kernelINS0_14default_configENS1_25partition_config_selectorILNS1_17partition_subalgoE6ExNS0_10empty_typeEbEEZZNS1_14partition_implILS5_6ELb0ES3_mN6thrust23THRUST_200600_302600_NS6detail15normal_iteratorINSA_10device_ptrIxEEEEPS6_SG_NS0_5tupleIJSF_S6_EEENSH_IJSG_SG_EEES6_PlJNSB_9not_fun_tI7is_evenIxEEEEEE10hipError_tPvRmT3_T4_T5_T6_T7_T9_mT8_P12ihipStream_tbDpT10_ENKUlT_T0_E_clISt17integral_constantIbLb1EES18_EEDaS13_S14_EUlS13_E_NS1_11comp_targetILNS1_3genE3ELNS1_11target_archE908ELNS1_3gpuE7ELNS1_3repE0EEENS1_30default_config_static_selectorELNS0_4arch9wavefront6targetE0EEEvT1_.private_seg_size, 0
	.set _ZN7rocprim17ROCPRIM_400000_NS6detail17trampoline_kernelINS0_14default_configENS1_25partition_config_selectorILNS1_17partition_subalgoE6ExNS0_10empty_typeEbEEZZNS1_14partition_implILS5_6ELb0ES3_mN6thrust23THRUST_200600_302600_NS6detail15normal_iteratorINSA_10device_ptrIxEEEEPS6_SG_NS0_5tupleIJSF_S6_EEENSH_IJSG_SG_EEES6_PlJNSB_9not_fun_tI7is_evenIxEEEEEE10hipError_tPvRmT3_T4_T5_T6_T7_T9_mT8_P12ihipStream_tbDpT10_ENKUlT_T0_E_clISt17integral_constantIbLb1EES18_EEDaS13_S14_EUlS13_E_NS1_11comp_targetILNS1_3genE3ELNS1_11target_archE908ELNS1_3gpuE7ELNS1_3repE0EEENS1_30default_config_static_selectorELNS0_4arch9wavefront6targetE0EEEvT1_.uses_vcc, 0
	.set _ZN7rocprim17ROCPRIM_400000_NS6detail17trampoline_kernelINS0_14default_configENS1_25partition_config_selectorILNS1_17partition_subalgoE6ExNS0_10empty_typeEbEEZZNS1_14partition_implILS5_6ELb0ES3_mN6thrust23THRUST_200600_302600_NS6detail15normal_iteratorINSA_10device_ptrIxEEEEPS6_SG_NS0_5tupleIJSF_S6_EEENSH_IJSG_SG_EEES6_PlJNSB_9not_fun_tI7is_evenIxEEEEEE10hipError_tPvRmT3_T4_T5_T6_T7_T9_mT8_P12ihipStream_tbDpT10_ENKUlT_T0_E_clISt17integral_constantIbLb1EES18_EEDaS13_S14_EUlS13_E_NS1_11comp_targetILNS1_3genE3ELNS1_11target_archE908ELNS1_3gpuE7ELNS1_3repE0EEENS1_30default_config_static_selectorELNS0_4arch9wavefront6targetE0EEEvT1_.uses_flat_scratch, 0
	.set _ZN7rocprim17ROCPRIM_400000_NS6detail17trampoline_kernelINS0_14default_configENS1_25partition_config_selectorILNS1_17partition_subalgoE6ExNS0_10empty_typeEbEEZZNS1_14partition_implILS5_6ELb0ES3_mN6thrust23THRUST_200600_302600_NS6detail15normal_iteratorINSA_10device_ptrIxEEEEPS6_SG_NS0_5tupleIJSF_S6_EEENSH_IJSG_SG_EEES6_PlJNSB_9not_fun_tI7is_evenIxEEEEEE10hipError_tPvRmT3_T4_T5_T6_T7_T9_mT8_P12ihipStream_tbDpT10_ENKUlT_T0_E_clISt17integral_constantIbLb1EES18_EEDaS13_S14_EUlS13_E_NS1_11comp_targetILNS1_3genE3ELNS1_11target_archE908ELNS1_3gpuE7ELNS1_3repE0EEENS1_30default_config_static_selectorELNS0_4arch9wavefront6targetE0EEEvT1_.has_dyn_sized_stack, 0
	.set _ZN7rocprim17ROCPRIM_400000_NS6detail17trampoline_kernelINS0_14default_configENS1_25partition_config_selectorILNS1_17partition_subalgoE6ExNS0_10empty_typeEbEEZZNS1_14partition_implILS5_6ELb0ES3_mN6thrust23THRUST_200600_302600_NS6detail15normal_iteratorINSA_10device_ptrIxEEEEPS6_SG_NS0_5tupleIJSF_S6_EEENSH_IJSG_SG_EEES6_PlJNSB_9not_fun_tI7is_evenIxEEEEEE10hipError_tPvRmT3_T4_T5_T6_T7_T9_mT8_P12ihipStream_tbDpT10_ENKUlT_T0_E_clISt17integral_constantIbLb1EES18_EEDaS13_S14_EUlS13_E_NS1_11comp_targetILNS1_3genE3ELNS1_11target_archE908ELNS1_3gpuE7ELNS1_3repE0EEENS1_30default_config_static_selectorELNS0_4arch9wavefront6targetE0EEEvT1_.has_recursion, 0
	.set _ZN7rocprim17ROCPRIM_400000_NS6detail17trampoline_kernelINS0_14default_configENS1_25partition_config_selectorILNS1_17partition_subalgoE6ExNS0_10empty_typeEbEEZZNS1_14partition_implILS5_6ELb0ES3_mN6thrust23THRUST_200600_302600_NS6detail15normal_iteratorINSA_10device_ptrIxEEEEPS6_SG_NS0_5tupleIJSF_S6_EEENSH_IJSG_SG_EEES6_PlJNSB_9not_fun_tI7is_evenIxEEEEEE10hipError_tPvRmT3_T4_T5_T6_T7_T9_mT8_P12ihipStream_tbDpT10_ENKUlT_T0_E_clISt17integral_constantIbLb1EES18_EEDaS13_S14_EUlS13_E_NS1_11comp_targetILNS1_3genE3ELNS1_11target_archE908ELNS1_3gpuE7ELNS1_3repE0EEENS1_30default_config_static_selectorELNS0_4arch9wavefront6targetE0EEEvT1_.has_indirect_call, 0
	.section	.AMDGPU.csdata,"",@progbits
; Kernel info:
; codeLenInByte = 0
; TotalNumSgprs: 0
; NumVgprs: 0
; ScratchSize: 0
; MemoryBound: 0
; FloatMode: 240
; IeeeMode: 1
; LDSByteSize: 0 bytes/workgroup (compile time only)
; SGPRBlocks: 0
; VGPRBlocks: 0
; NumSGPRsForWavesPerEU: 1
; NumVGPRsForWavesPerEU: 1
; Occupancy: 16
; WaveLimiterHint : 0
; COMPUTE_PGM_RSRC2:SCRATCH_EN: 0
; COMPUTE_PGM_RSRC2:USER_SGPR: 2
; COMPUTE_PGM_RSRC2:TRAP_HANDLER: 0
; COMPUTE_PGM_RSRC2:TGID_X_EN: 1
; COMPUTE_PGM_RSRC2:TGID_Y_EN: 0
; COMPUTE_PGM_RSRC2:TGID_Z_EN: 0
; COMPUTE_PGM_RSRC2:TIDIG_COMP_CNT: 0
	.section	.text._ZN7rocprim17ROCPRIM_400000_NS6detail17trampoline_kernelINS0_14default_configENS1_25partition_config_selectorILNS1_17partition_subalgoE6ExNS0_10empty_typeEbEEZZNS1_14partition_implILS5_6ELb0ES3_mN6thrust23THRUST_200600_302600_NS6detail15normal_iteratorINSA_10device_ptrIxEEEEPS6_SG_NS0_5tupleIJSF_S6_EEENSH_IJSG_SG_EEES6_PlJNSB_9not_fun_tI7is_evenIxEEEEEE10hipError_tPvRmT3_T4_T5_T6_T7_T9_mT8_P12ihipStream_tbDpT10_ENKUlT_T0_E_clISt17integral_constantIbLb1EES18_EEDaS13_S14_EUlS13_E_NS1_11comp_targetILNS1_3genE2ELNS1_11target_archE906ELNS1_3gpuE6ELNS1_3repE0EEENS1_30default_config_static_selectorELNS0_4arch9wavefront6targetE0EEEvT1_,"axG",@progbits,_ZN7rocprim17ROCPRIM_400000_NS6detail17trampoline_kernelINS0_14default_configENS1_25partition_config_selectorILNS1_17partition_subalgoE6ExNS0_10empty_typeEbEEZZNS1_14partition_implILS5_6ELb0ES3_mN6thrust23THRUST_200600_302600_NS6detail15normal_iteratorINSA_10device_ptrIxEEEEPS6_SG_NS0_5tupleIJSF_S6_EEENSH_IJSG_SG_EEES6_PlJNSB_9not_fun_tI7is_evenIxEEEEEE10hipError_tPvRmT3_T4_T5_T6_T7_T9_mT8_P12ihipStream_tbDpT10_ENKUlT_T0_E_clISt17integral_constantIbLb1EES18_EEDaS13_S14_EUlS13_E_NS1_11comp_targetILNS1_3genE2ELNS1_11target_archE906ELNS1_3gpuE6ELNS1_3repE0EEENS1_30default_config_static_selectorELNS0_4arch9wavefront6targetE0EEEvT1_,comdat
	.protected	_ZN7rocprim17ROCPRIM_400000_NS6detail17trampoline_kernelINS0_14default_configENS1_25partition_config_selectorILNS1_17partition_subalgoE6ExNS0_10empty_typeEbEEZZNS1_14partition_implILS5_6ELb0ES3_mN6thrust23THRUST_200600_302600_NS6detail15normal_iteratorINSA_10device_ptrIxEEEEPS6_SG_NS0_5tupleIJSF_S6_EEENSH_IJSG_SG_EEES6_PlJNSB_9not_fun_tI7is_evenIxEEEEEE10hipError_tPvRmT3_T4_T5_T6_T7_T9_mT8_P12ihipStream_tbDpT10_ENKUlT_T0_E_clISt17integral_constantIbLb1EES18_EEDaS13_S14_EUlS13_E_NS1_11comp_targetILNS1_3genE2ELNS1_11target_archE906ELNS1_3gpuE6ELNS1_3repE0EEENS1_30default_config_static_selectorELNS0_4arch9wavefront6targetE0EEEvT1_ ; -- Begin function _ZN7rocprim17ROCPRIM_400000_NS6detail17trampoline_kernelINS0_14default_configENS1_25partition_config_selectorILNS1_17partition_subalgoE6ExNS0_10empty_typeEbEEZZNS1_14partition_implILS5_6ELb0ES3_mN6thrust23THRUST_200600_302600_NS6detail15normal_iteratorINSA_10device_ptrIxEEEEPS6_SG_NS0_5tupleIJSF_S6_EEENSH_IJSG_SG_EEES6_PlJNSB_9not_fun_tI7is_evenIxEEEEEE10hipError_tPvRmT3_T4_T5_T6_T7_T9_mT8_P12ihipStream_tbDpT10_ENKUlT_T0_E_clISt17integral_constantIbLb1EES18_EEDaS13_S14_EUlS13_E_NS1_11comp_targetILNS1_3genE2ELNS1_11target_archE906ELNS1_3gpuE6ELNS1_3repE0EEENS1_30default_config_static_selectorELNS0_4arch9wavefront6targetE0EEEvT1_
	.globl	_ZN7rocprim17ROCPRIM_400000_NS6detail17trampoline_kernelINS0_14default_configENS1_25partition_config_selectorILNS1_17partition_subalgoE6ExNS0_10empty_typeEbEEZZNS1_14partition_implILS5_6ELb0ES3_mN6thrust23THRUST_200600_302600_NS6detail15normal_iteratorINSA_10device_ptrIxEEEEPS6_SG_NS0_5tupleIJSF_S6_EEENSH_IJSG_SG_EEES6_PlJNSB_9not_fun_tI7is_evenIxEEEEEE10hipError_tPvRmT3_T4_T5_T6_T7_T9_mT8_P12ihipStream_tbDpT10_ENKUlT_T0_E_clISt17integral_constantIbLb1EES18_EEDaS13_S14_EUlS13_E_NS1_11comp_targetILNS1_3genE2ELNS1_11target_archE906ELNS1_3gpuE6ELNS1_3repE0EEENS1_30default_config_static_selectorELNS0_4arch9wavefront6targetE0EEEvT1_
	.p2align	8
	.type	_ZN7rocprim17ROCPRIM_400000_NS6detail17trampoline_kernelINS0_14default_configENS1_25partition_config_selectorILNS1_17partition_subalgoE6ExNS0_10empty_typeEbEEZZNS1_14partition_implILS5_6ELb0ES3_mN6thrust23THRUST_200600_302600_NS6detail15normal_iteratorINSA_10device_ptrIxEEEEPS6_SG_NS0_5tupleIJSF_S6_EEENSH_IJSG_SG_EEES6_PlJNSB_9not_fun_tI7is_evenIxEEEEEE10hipError_tPvRmT3_T4_T5_T6_T7_T9_mT8_P12ihipStream_tbDpT10_ENKUlT_T0_E_clISt17integral_constantIbLb1EES18_EEDaS13_S14_EUlS13_E_NS1_11comp_targetILNS1_3genE2ELNS1_11target_archE906ELNS1_3gpuE6ELNS1_3repE0EEENS1_30default_config_static_selectorELNS0_4arch9wavefront6targetE0EEEvT1_,@function
_ZN7rocprim17ROCPRIM_400000_NS6detail17trampoline_kernelINS0_14default_configENS1_25partition_config_selectorILNS1_17partition_subalgoE6ExNS0_10empty_typeEbEEZZNS1_14partition_implILS5_6ELb0ES3_mN6thrust23THRUST_200600_302600_NS6detail15normal_iteratorINSA_10device_ptrIxEEEEPS6_SG_NS0_5tupleIJSF_S6_EEENSH_IJSG_SG_EEES6_PlJNSB_9not_fun_tI7is_evenIxEEEEEE10hipError_tPvRmT3_T4_T5_T6_T7_T9_mT8_P12ihipStream_tbDpT10_ENKUlT_T0_E_clISt17integral_constantIbLb1EES18_EEDaS13_S14_EUlS13_E_NS1_11comp_targetILNS1_3genE2ELNS1_11target_archE906ELNS1_3gpuE6ELNS1_3repE0EEENS1_30default_config_static_selectorELNS0_4arch9wavefront6targetE0EEEvT1_: ; @_ZN7rocprim17ROCPRIM_400000_NS6detail17trampoline_kernelINS0_14default_configENS1_25partition_config_selectorILNS1_17partition_subalgoE6ExNS0_10empty_typeEbEEZZNS1_14partition_implILS5_6ELb0ES3_mN6thrust23THRUST_200600_302600_NS6detail15normal_iteratorINSA_10device_ptrIxEEEEPS6_SG_NS0_5tupleIJSF_S6_EEENSH_IJSG_SG_EEES6_PlJNSB_9not_fun_tI7is_evenIxEEEEEE10hipError_tPvRmT3_T4_T5_T6_T7_T9_mT8_P12ihipStream_tbDpT10_ENKUlT_T0_E_clISt17integral_constantIbLb1EES18_EEDaS13_S14_EUlS13_E_NS1_11comp_targetILNS1_3genE2ELNS1_11target_archE906ELNS1_3gpuE6ELNS1_3repE0EEENS1_30default_config_static_selectorELNS0_4arch9wavefront6targetE0EEEvT1_
; %bb.0:
	.section	.rodata,"a",@progbits
	.p2align	6, 0x0
	.amdhsa_kernel _ZN7rocprim17ROCPRIM_400000_NS6detail17trampoline_kernelINS0_14default_configENS1_25partition_config_selectorILNS1_17partition_subalgoE6ExNS0_10empty_typeEbEEZZNS1_14partition_implILS5_6ELb0ES3_mN6thrust23THRUST_200600_302600_NS6detail15normal_iteratorINSA_10device_ptrIxEEEEPS6_SG_NS0_5tupleIJSF_S6_EEENSH_IJSG_SG_EEES6_PlJNSB_9not_fun_tI7is_evenIxEEEEEE10hipError_tPvRmT3_T4_T5_T6_T7_T9_mT8_P12ihipStream_tbDpT10_ENKUlT_T0_E_clISt17integral_constantIbLb1EES18_EEDaS13_S14_EUlS13_E_NS1_11comp_targetILNS1_3genE2ELNS1_11target_archE906ELNS1_3gpuE6ELNS1_3repE0EEENS1_30default_config_static_selectorELNS0_4arch9wavefront6targetE0EEEvT1_
		.amdhsa_group_segment_fixed_size 0
		.amdhsa_private_segment_fixed_size 0
		.amdhsa_kernarg_size 128
		.amdhsa_user_sgpr_count 2
		.amdhsa_user_sgpr_dispatch_ptr 0
		.amdhsa_user_sgpr_queue_ptr 0
		.amdhsa_user_sgpr_kernarg_segment_ptr 1
		.amdhsa_user_sgpr_dispatch_id 0
		.amdhsa_user_sgpr_private_segment_size 0
		.amdhsa_wavefront_size32 1
		.amdhsa_uses_dynamic_stack 0
		.amdhsa_enable_private_segment 0
		.amdhsa_system_sgpr_workgroup_id_x 1
		.amdhsa_system_sgpr_workgroup_id_y 0
		.amdhsa_system_sgpr_workgroup_id_z 0
		.amdhsa_system_sgpr_workgroup_info 0
		.amdhsa_system_vgpr_workitem_id 0
		.amdhsa_next_free_vgpr 1
		.amdhsa_next_free_sgpr 1
		.amdhsa_reserve_vcc 0
		.amdhsa_float_round_mode_32 0
		.amdhsa_float_round_mode_16_64 0
		.amdhsa_float_denorm_mode_32 3
		.amdhsa_float_denorm_mode_16_64 3
		.amdhsa_fp16_overflow 0
		.amdhsa_workgroup_processor_mode 1
		.amdhsa_memory_ordered 1
		.amdhsa_forward_progress 1
		.amdhsa_inst_pref_size 0
		.amdhsa_round_robin_scheduling 0
		.amdhsa_exception_fp_ieee_invalid_op 0
		.amdhsa_exception_fp_denorm_src 0
		.amdhsa_exception_fp_ieee_div_zero 0
		.amdhsa_exception_fp_ieee_overflow 0
		.amdhsa_exception_fp_ieee_underflow 0
		.amdhsa_exception_fp_ieee_inexact 0
		.amdhsa_exception_int_div_zero 0
	.end_amdhsa_kernel
	.section	.text._ZN7rocprim17ROCPRIM_400000_NS6detail17trampoline_kernelINS0_14default_configENS1_25partition_config_selectorILNS1_17partition_subalgoE6ExNS0_10empty_typeEbEEZZNS1_14partition_implILS5_6ELb0ES3_mN6thrust23THRUST_200600_302600_NS6detail15normal_iteratorINSA_10device_ptrIxEEEEPS6_SG_NS0_5tupleIJSF_S6_EEENSH_IJSG_SG_EEES6_PlJNSB_9not_fun_tI7is_evenIxEEEEEE10hipError_tPvRmT3_T4_T5_T6_T7_T9_mT8_P12ihipStream_tbDpT10_ENKUlT_T0_E_clISt17integral_constantIbLb1EES18_EEDaS13_S14_EUlS13_E_NS1_11comp_targetILNS1_3genE2ELNS1_11target_archE906ELNS1_3gpuE6ELNS1_3repE0EEENS1_30default_config_static_selectorELNS0_4arch9wavefront6targetE0EEEvT1_,"axG",@progbits,_ZN7rocprim17ROCPRIM_400000_NS6detail17trampoline_kernelINS0_14default_configENS1_25partition_config_selectorILNS1_17partition_subalgoE6ExNS0_10empty_typeEbEEZZNS1_14partition_implILS5_6ELb0ES3_mN6thrust23THRUST_200600_302600_NS6detail15normal_iteratorINSA_10device_ptrIxEEEEPS6_SG_NS0_5tupleIJSF_S6_EEENSH_IJSG_SG_EEES6_PlJNSB_9not_fun_tI7is_evenIxEEEEEE10hipError_tPvRmT3_T4_T5_T6_T7_T9_mT8_P12ihipStream_tbDpT10_ENKUlT_T0_E_clISt17integral_constantIbLb1EES18_EEDaS13_S14_EUlS13_E_NS1_11comp_targetILNS1_3genE2ELNS1_11target_archE906ELNS1_3gpuE6ELNS1_3repE0EEENS1_30default_config_static_selectorELNS0_4arch9wavefront6targetE0EEEvT1_,comdat
.Lfunc_end705:
	.size	_ZN7rocprim17ROCPRIM_400000_NS6detail17trampoline_kernelINS0_14default_configENS1_25partition_config_selectorILNS1_17partition_subalgoE6ExNS0_10empty_typeEbEEZZNS1_14partition_implILS5_6ELb0ES3_mN6thrust23THRUST_200600_302600_NS6detail15normal_iteratorINSA_10device_ptrIxEEEEPS6_SG_NS0_5tupleIJSF_S6_EEENSH_IJSG_SG_EEES6_PlJNSB_9not_fun_tI7is_evenIxEEEEEE10hipError_tPvRmT3_T4_T5_T6_T7_T9_mT8_P12ihipStream_tbDpT10_ENKUlT_T0_E_clISt17integral_constantIbLb1EES18_EEDaS13_S14_EUlS13_E_NS1_11comp_targetILNS1_3genE2ELNS1_11target_archE906ELNS1_3gpuE6ELNS1_3repE0EEENS1_30default_config_static_selectorELNS0_4arch9wavefront6targetE0EEEvT1_, .Lfunc_end705-_ZN7rocprim17ROCPRIM_400000_NS6detail17trampoline_kernelINS0_14default_configENS1_25partition_config_selectorILNS1_17partition_subalgoE6ExNS0_10empty_typeEbEEZZNS1_14partition_implILS5_6ELb0ES3_mN6thrust23THRUST_200600_302600_NS6detail15normal_iteratorINSA_10device_ptrIxEEEEPS6_SG_NS0_5tupleIJSF_S6_EEENSH_IJSG_SG_EEES6_PlJNSB_9not_fun_tI7is_evenIxEEEEEE10hipError_tPvRmT3_T4_T5_T6_T7_T9_mT8_P12ihipStream_tbDpT10_ENKUlT_T0_E_clISt17integral_constantIbLb1EES18_EEDaS13_S14_EUlS13_E_NS1_11comp_targetILNS1_3genE2ELNS1_11target_archE906ELNS1_3gpuE6ELNS1_3repE0EEENS1_30default_config_static_selectorELNS0_4arch9wavefront6targetE0EEEvT1_
                                        ; -- End function
	.set _ZN7rocprim17ROCPRIM_400000_NS6detail17trampoline_kernelINS0_14default_configENS1_25partition_config_selectorILNS1_17partition_subalgoE6ExNS0_10empty_typeEbEEZZNS1_14partition_implILS5_6ELb0ES3_mN6thrust23THRUST_200600_302600_NS6detail15normal_iteratorINSA_10device_ptrIxEEEEPS6_SG_NS0_5tupleIJSF_S6_EEENSH_IJSG_SG_EEES6_PlJNSB_9not_fun_tI7is_evenIxEEEEEE10hipError_tPvRmT3_T4_T5_T6_T7_T9_mT8_P12ihipStream_tbDpT10_ENKUlT_T0_E_clISt17integral_constantIbLb1EES18_EEDaS13_S14_EUlS13_E_NS1_11comp_targetILNS1_3genE2ELNS1_11target_archE906ELNS1_3gpuE6ELNS1_3repE0EEENS1_30default_config_static_selectorELNS0_4arch9wavefront6targetE0EEEvT1_.num_vgpr, 0
	.set _ZN7rocprim17ROCPRIM_400000_NS6detail17trampoline_kernelINS0_14default_configENS1_25partition_config_selectorILNS1_17partition_subalgoE6ExNS0_10empty_typeEbEEZZNS1_14partition_implILS5_6ELb0ES3_mN6thrust23THRUST_200600_302600_NS6detail15normal_iteratorINSA_10device_ptrIxEEEEPS6_SG_NS0_5tupleIJSF_S6_EEENSH_IJSG_SG_EEES6_PlJNSB_9not_fun_tI7is_evenIxEEEEEE10hipError_tPvRmT3_T4_T5_T6_T7_T9_mT8_P12ihipStream_tbDpT10_ENKUlT_T0_E_clISt17integral_constantIbLb1EES18_EEDaS13_S14_EUlS13_E_NS1_11comp_targetILNS1_3genE2ELNS1_11target_archE906ELNS1_3gpuE6ELNS1_3repE0EEENS1_30default_config_static_selectorELNS0_4arch9wavefront6targetE0EEEvT1_.num_agpr, 0
	.set _ZN7rocprim17ROCPRIM_400000_NS6detail17trampoline_kernelINS0_14default_configENS1_25partition_config_selectorILNS1_17partition_subalgoE6ExNS0_10empty_typeEbEEZZNS1_14partition_implILS5_6ELb0ES3_mN6thrust23THRUST_200600_302600_NS6detail15normal_iteratorINSA_10device_ptrIxEEEEPS6_SG_NS0_5tupleIJSF_S6_EEENSH_IJSG_SG_EEES6_PlJNSB_9not_fun_tI7is_evenIxEEEEEE10hipError_tPvRmT3_T4_T5_T6_T7_T9_mT8_P12ihipStream_tbDpT10_ENKUlT_T0_E_clISt17integral_constantIbLb1EES18_EEDaS13_S14_EUlS13_E_NS1_11comp_targetILNS1_3genE2ELNS1_11target_archE906ELNS1_3gpuE6ELNS1_3repE0EEENS1_30default_config_static_selectorELNS0_4arch9wavefront6targetE0EEEvT1_.numbered_sgpr, 0
	.set _ZN7rocprim17ROCPRIM_400000_NS6detail17trampoline_kernelINS0_14default_configENS1_25partition_config_selectorILNS1_17partition_subalgoE6ExNS0_10empty_typeEbEEZZNS1_14partition_implILS5_6ELb0ES3_mN6thrust23THRUST_200600_302600_NS6detail15normal_iteratorINSA_10device_ptrIxEEEEPS6_SG_NS0_5tupleIJSF_S6_EEENSH_IJSG_SG_EEES6_PlJNSB_9not_fun_tI7is_evenIxEEEEEE10hipError_tPvRmT3_T4_T5_T6_T7_T9_mT8_P12ihipStream_tbDpT10_ENKUlT_T0_E_clISt17integral_constantIbLb1EES18_EEDaS13_S14_EUlS13_E_NS1_11comp_targetILNS1_3genE2ELNS1_11target_archE906ELNS1_3gpuE6ELNS1_3repE0EEENS1_30default_config_static_selectorELNS0_4arch9wavefront6targetE0EEEvT1_.num_named_barrier, 0
	.set _ZN7rocprim17ROCPRIM_400000_NS6detail17trampoline_kernelINS0_14default_configENS1_25partition_config_selectorILNS1_17partition_subalgoE6ExNS0_10empty_typeEbEEZZNS1_14partition_implILS5_6ELb0ES3_mN6thrust23THRUST_200600_302600_NS6detail15normal_iteratorINSA_10device_ptrIxEEEEPS6_SG_NS0_5tupleIJSF_S6_EEENSH_IJSG_SG_EEES6_PlJNSB_9not_fun_tI7is_evenIxEEEEEE10hipError_tPvRmT3_T4_T5_T6_T7_T9_mT8_P12ihipStream_tbDpT10_ENKUlT_T0_E_clISt17integral_constantIbLb1EES18_EEDaS13_S14_EUlS13_E_NS1_11comp_targetILNS1_3genE2ELNS1_11target_archE906ELNS1_3gpuE6ELNS1_3repE0EEENS1_30default_config_static_selectorELNS0_4arch9wavefront6targetE0EEEvT1_.private_seg_size, 0
	.set _ZN7rocprim17ROCPRIM_400000_NS6detail17trampoline_kernelINS0_14default_configENS1_25partition_config_selectorILNS1_17partition_subalgoE6ExNS0_10empty_typeEbEEZZNS1_14partition_implILS5_6ELb0ES3_mN6thrust23THRUST_200600_302600_NS6detail15normal_iteratorINSA_10device_ptrIxEEEEPS6_SG_NS0_5tupleIJSF_S6_EEENSH_IJSG_SG_EEES6_PlJNSB_9not_fun_tI7is_evenIxEEEEEE10hipError_tPvRmT3_T4_T5_T6_T7_T9_mT8_P12ihipStream_tbDpT10_ENKUlT_T0_E_clISt17integral_constantIbLb1EES18_EEDaS13_S14_EUlS13_E_NS1_11comp_targetILNS1_3genE2ELNS1_11target_archE906ELNS1_3gpuE6ELNS1_3repE0EEENS1_30default_config_static_selectorELNS0_4arch9wavefront6targetE0EEEvT1_.uses_vcc, 0
	.set _ZN7rocprim17ROCPRIM_400000_NS6detail17trampoline_kernelINS0_14default_configENS1_25partition_config_selectorILNS1_17partition_subalgoE6ExNS0_10empty_typeEbEEZZNS1_14partition_implILS5_6ELb0ES3_mN6thrust23THRUST_200600_302600_NS6detail15normal_iteratorINSA_10device_ptrIxEEEEPS6_SG_NS0_5tupleIJSF_S6_EEENSH_IJSG_SG_EEES6_PlJNSB_9not_fun_tI7is_evenIxEEEEEE10hipError_tPvRmT3_T4_T5_T6_T7_T9_mT8_P12ihipStream_tbDpT10_ENKUlT_T0_E_clISt17integral_constantIbLb1EES18_EEDaS13_S14_EUlS13_E_NS1_11comp_targetILNS1_3genE2ELNS1_11target_archE906ELNS1_3gpuE6ELNS1_3repE0EEENS1_30default_config_static_selectorELNS0_4arch9wavefront6targetE0EEEvT1_.uses_flat_scratch, 0
	.set _ZN7rocprim17ROCPRIM_400000_NS6detail17trampoline_kernelINS0_14default_configENS1_25partition_config_selectorILNS1_17partition_subalgoE6ExNS0_10empty_typeEbEEZZNS1_14partition_implILS5_6ELb0ES3_mN6thrust23THRUST_200600_302600_NS6detail15normal_iteratorINSA_10device_ptrIxEEEEPS6_SG_NS0_5tupleIJSF_S6_EEENSH_IJSG_SG_EEES6_PlJNSB_9not_fun_tI7is_evenIxEEEEEE10hipError_tPvRmT3_T4_T5_T6_T7_T9_mT8_P12ihipStream_tbDpT10_ENKUlT_T0_E_clISt17integral_constantIbLb1EES18_EEDaS13_S14_EUlS13_E_NS1_11comp_targetILNS1_3genE2ELNS1_11target_archE906ELNS1_3gpuE6ELNS1_3repE0EEENS1_30default_config_static_selectorELNS0_4arch9wavefront6targetE0EEEvT1_.has_dyn_sized_stack, 0
	.set _ZN7rocprim17ROCPRIM_400000_NS6detail17trampoline_kernelINS0_14default_configENS1_25partition_config_selectorILNS1_17partition_subalgoE6ExNS0_10empty_typeEbEEZZNS1_14partition_implILS5_6ELb0ES3_mN6thrust23THRUST_200600_302600_NS6detail15normal_iteratorINSA_10device_ptrIxEEEEPS6_SG_NS0_5tupleIJSF_S6_EEENSH_IJSG_SG_EEES6_PlJNSB_9not_fun_tI7is_evenIxEEEEEE10hipError_tPvRmT3_T4_T5_T6_T7_T9_mT8_P12ihipStream_tbDpT10_ENKUlT_T0_E_clISt17integral_constantIbLb1EES18_EEDaS13_S14_EUlS13_E_NS1_11comp_targetILNS1_3genE2ELNS1_11target_archE906ELNS1_3gpuE6ELNS1_3repE0EEENS1_30default_config_static_selectorELNS0_4arch9wavefront6targetE0EEEvT1_.has_recursion, 0
	.set _ZN7rocprim17ROCPRIM_400000_NS6detail17trampoline_kernelINS0_14default_configENS1_25partition_config_selectorILNS1_17partition_subalgoE6ExNS0_10empty_typeEbEEZZNS1_14partition_implILS5_6ELb0ES3_mN6thrust23THRUST_200600_302600_NS6detail15normal_iteratorINSA_10device_ptrIxEEEEPS6_SG_NS0_5tupleIJSF_S6_EEENSH_IJSG_SG_EEES6_PlJNSB_9not_fun_tI7is_evenIxEEEEEE10hipError_tPvRmT3_T4_T5_T6_T7_T9_mT8_P12ihipStream_tbDpT10_ENKUlT_T0_E_clISt17integral_constantIbLb1EES18_EEDaS13_S14_EUlS13_E_NS1_11comp_targetILNS1_3genE2ELNS1_11target_archE906ELNS1_3gpuE6ELNS1_3repE0EEENS1_30default_config_static_selectorELNS0_4arch9wavefront6targetE0EEEvT1_.has_indirect_call, 0
	.section	.AMDGPU.csdata,"",@progbits
; Kernel info:
; codeLenInByte = 0
; TotalNumSgprs: 0
; NumVgprs: 0
; ScratchSize: 0
; MemoryBound: 0
; FloatMode: 240
; IeeeMode: 1
; LDSByteSize: 0 bytes/workgroup (compile time only)
; SGPRBlocks: 0
; VGPRBlocks: 0
; NumSGPRsForWavesPerEU: 1
; NumVGPRsForWavesPerEU: 1
; Occupancy: 16
; WaveLimiterHint : 0
; COMPUTE_PGM_RSRC2:SCRATCH_EN: 0
; COMPUTE_PGM_RSRC2:USER_SGPR: 2
; COMPUTE_PGM_RSRC2:TRAP_HANDLER: 0
; COMPUTE_PGM_RSRC2:TGID_X_EN: 1
; COMPUTE_PGM_RSRC2:TGID_Y_EN: 0
; COMPUTE_PGM_RSRC2:TGID_Z_EN: 0
; COMPUTE_PGM_RSRC2:TIDIG_COMP_CNT: 0
	.section	.text._ZN7rocprim17ROCPRIM_400000_NS6detail17trampoline_kernelINS0_14default_configENS1_25partition_config_selectorILNS1_17partition_subalgoE6ExNS0_10empty_typeEbEEZZNS1_14partition_implILS5_6ELb0ES3_mN6thrust23THRUST_200600_302600_NS6detail15normal_iteratorINSA_10device_ptrIxEEEEPS6_SG_NS0_5tupleIJSF_S6_EEENSH_IJSG_SG_EEES6_PlJNSB_9not_fun_tI7is_evenIxEEEEEE10hipError_tPvRmT3_T4_T5_T6_T7_T9_mT8_P12ihipStream_tbDpT10_ENKUlT_T0_E_clISt17integral_constantIbLb1EES18_EEDaS13_S14_EUlS13_E_NS1_11comp_targetILNS1_3genE10ELNS1_11target_archE1200ELNS1_3gpuE4ELNS1_3repE0EEENS1_30default_config_static_selectorELNS0_4arch9wavefront6targetE0EEEvT1_,"axG",@progbits,_ZN7rocprim17ROCPRIM_400000_NS6detail17trampoline_kernelINS0_14default_configENS1_25partition_config_selectorILNS1_17partition_subalgoE6ExNS0_10empty_typeEbEEZZNS1_14partition_implILS5_6ELb0ES3_mN6thrust23THRUST_200600_302600_NS6detail15normal_iteratorINSA_10device_ptrIxEEEEPS6_SG_NS0_5tupleIJSF_S6_EEENSH_IJSG_SG_EEES6_PlJNSB_9not_fun_tI7is_evenIxEEEEEE10hipError_tPvRmT3_T4_T5_T6_T7_T9_mT8_P12ihipStream_tbDpT10_ENKUlT_T0_E_clISt17integral_constantIbLb1EES18_EEDaS13_S14_EUlS13_E_NS1_11comp_targetILNS1_3genE10ELNS1_11target_archE1200ELNS1_3gpuE4ELNS1_3repE0EEENS1_30default_config_static_selectorELNS0_4arch9wavefront6targetE0EEEvT1_,comdat
	.protected	_ZN7rocprim17ROCPRIM_400000_NS6detail17trampoline_kernelINS0_14default_configENS1_25partition_config_selectorILNS1_17partition_subalgoE6ExNS0_10empty_typeEbEEZZNS1_14partition_implILS5_6ELb0ES3_mN6thrust23THRUST_200600_302600_NS6detail15normal_iteratorINSA_10device_ptrIxEEEEPS6_SG_NS0_5tupleIJSF_S6_EEENSH_IJSG_SG_EEES6_PlJNSB_9not_fun_tI7is_evenIxEEEEEE10hipError_tPvRmT3_T4_T5_T6_T7_T9_mT8_P12ihipStream_tbDpT10_ENKUlT_T0_E_clISt17integral_constantIbLb1EES18_EEDaS13_S14_EUlS13_E_NS1_11comp_targetILNS1_3genE10ELNS1_11target_archE1200ELNS1_3gpuE4ELNS1_3repE0EEENS1_30default_config_static_selectorELNS0_4arch9wavefront6targetE0EEEvT1_ ; -- Begin function _ZN7rocprim17ROCPRIM_400000_NS6detail17trampoline_kernelINS0_14default_configENS1_25partition_config_selectorILNS1_17partition_subalgoE6ExNS0_10empty_typeEbEEZZNS1_14partition_implILS5_6ELb0ES3_mN6thrust23THRUST_200600_302600_NS6detail15normal_iteratorINSA_10device_ptrIxEEEEPS6_SG_NS0_5tupleIJSF_S6_EEENSH_IJSG_SG_EEES6_PlJNSB_9not_fun_tI7is_evenIxEEEEEE10hipError_tPvRmT3_T4_T5_T6_T7_T9_mT8_P12ihipStream_tbDpT10_ENKUlT_T0_E_clISt17integral_constantIbLb1EES18_EEDaS13_S14_EUlS13_E_NS1_11comp_targetILNS1_3genE10ELNS1_11target_archE1200ELNS1_3gpuE4ELNS1_3repE0EEENS1_30default_config_static_selectorELNS0_4arch9wavefront6targetE0EEEvT1_
	.globl	_ZN7rocprim17ROCPRIM_400000_NS6detail17trampoline_kernelINS0_14default_configENS1_25partition_config_selectorILNS1_17partition_subalgoE6ExNS0_10empty_typeEbEEZZNS1_14partition_implILS5_6ELb0ES3_mN6thrust23THRUST_200600_302600_NS6detail15normal_iteratorINSA_10device_ptrIxEEEEPS6_SG_NS0_5tupleIJSF_S6_EEENSH_IJSG_SG_EEES6_PlJNSB_9not_fun_tI7is_evenIxEEEEEE10hipError_tPvRmT3_T4_T5_T6_T7_T9_mT8_P12ihipStream_tbDpT10_ENKUlT_T0_E_clISt17integral_constantIbLb1EES18_EEDaS13_S14_EUlS13_E_NS1_11comp_targetILNS1_3genE10ELNS1_11target_archE1200ELNS1_3gpuE4ELNS1_3repE0EEENS1_30default_config_static_selectorELNS0_4arch9wavefront6targetE0EEEvT1_
	.p2align	8
	.type	_ZN7rocprim17ROCPRIM_400000_NS6detail17trampoline_kernelINS0_14default_configENS1_25partition_config_selectorILNS1_17partition_subalgoE6ExNS0_10empty_typeEbEEZZNS1_14partition_implILS5_6ELb0ES3_mN6thrust23THRUST_200600_302600_NS6detail15normal_iteratorINSA_10device_ptrIxEEEEPS6_SG_NS0_5tupleIJSF_S6_EEENSH_IJSG_SG_EEES6_PlJNSB_9not_fun_tI7is_evenIxEEEEEE10hipError_tPvRmT3_T4_T5_T6_T7_T9_mT8_P12ihipStream_tbDpT10_ENKUlT_T0_E_clISt17integral_constantIbLb1EES18_EEDaS13_S14_EUlS13_E_NS1_11comp_targetILNS1_3genE10ELNS1_11target_archE1200ELNS1_3gpuE4ELNS1_3repE0EEENS1_30default_config_static_selectorELNS0_4arch9wavefront6targetE0EEEvT1_,@function
_ZN7rocprim17ROCPRIM_400000_NS6detail17trampoline_kernelINS0_14default_configENS1_25partition_config_selectorILNS1_17partition_subalgoE6ExNS0_10empty_typeEbEEZZNS1_14partition_implILS5_6ELb0ES3_mN6thrust23THRUST_200600_302600_NS6detail15normal_iteratorINSA_10device_ptrIxEEEEPS6_SG_NS0_5tupleIJSF_S6_EEENSH_IJSG_SG_EEES6_PlJNSB_9not_fun_tI7is_evenIxEEEEEE10hipError_tPvRmT3_T4_T5_T6_T7_T9_mT8_P12ihipStream_tbDpT10_ENKUlT_T0_E_clISt17integral_constantIbLb1EES18_EEDaS13_S14_EUlS13_E_NS1_11comp_targetILNS1_3genE10ELNS1_11target_archE1200ELNS1_3gpuE4ELNS1_3repE0EEENS1_30default_config_static_selectorELNS0_4arch9wavefront6targetE0EEEvT1_: ; @_ZN7rocprim17ROCPRIM_400000_NS6detail17trampoline_kernelINS0_14default_configENS1_25partition_config_selectorILNS1_17partition_subalgoE6ExNS0_10empty_typeEbEEZZNS1_14partition_implILS5_6ELb0ES3_mN6thrust23THRUST_200600_302600_NS6detail15normal_iteratorINSA_10device_ptrIxEEEEPS6_SG_NS0_5tupleIJSF_S6_EEENSH_IJSG_SG_EEES6_PlJNSB_9not_fun_tI7is_evenIxEEEEEE10hipError_tPvRmT3_T4_T5_T6_T7_T9_mT8_P12ihipStream_tbDpT10_ENKUlT_T0_E_clISt17integral_constantIbLb1EES18_EEDaS13_S14_EUlS13_E_NS1_11comp_targetILNS1_3genE10ELNS1_11target_archE1200ELNS1_3gpuE4ELNS1_3repE0EEENS1_30default_config_static_selectorELNS0_4arch9wavefront6targetE0EEEvT1_
; %bb.0:
	s_endpgm
	.section	.rodata,"a",@progbits
	.p2align	6, 0x0
	.amdhsa_kernel _ZN7rocprim17ROCPRIM_400000_NS6detail17trampoline_kernelINS0_14default_configENS1_25partition_config_selectorILNS1_17partition_subalgoE6ExNS0_10empty_typeEbEEZZNS1_14partition_implILS5_6ELb0ES3_mN6thrust23THRUST_200600_302600_NS6detail15normal_iteratorINSA_10device_ptrIxEEEEPS6_SG_NS0_5tupleIJSF_S6_EEENSH_IJSG_SG_EEES6_PlJNSB_9not_fun_tI7is_evenIxEEEEEE10hipError_tPvRmT3_T4_T5_T6_T7_T9_mT8_P12ihipStream_tbDpT10_ENKUlT_T0_E_clISt17integral_constantIbLb1EES18_EEDaS13_S14_EUlS13_E_NS1_11comp_targetILNS1_3genE10ELNS1_11target_archE1200ELNS1_3gpuE4ELNS1_3repE0EEENS1_30default_config_static_selectorELNS0_4arch9wavefront6targetE0EEEvT1_
		.amdhsa_group_segment_fixed_size 0
		.amdhsa_private_segment_fixed_size 0
		.amdhsa_kernarg_size 128
		.amdhsa_user_sgpr_count 2
		.amdhsa_user_sgpr_dispatch_ptr 0
		.amdhsa_user_sgpr_queue_ptr 0
		.amdhsa_user_sgpr_kernarg_segment_ptr 1
		.amdhsa_user_sgpr_dispatch_id 0
		.amdhsa_user_sgpr_private_segment_size 0
		.amdhsa_wavefront_size32 1
		.amdhsa_uses_dynamic_stack 0
		.amdhsa_enable_private_segment 0
		.amdhsa_system_sgpr_workgroup_id_x 1
		.amdhsa_system_sgpr_workgroup_id_y 0
		.amdhsa_system_sgpr_workgroup_id_z 0
		.amdhsa_system_sgpr_workgroup_info 0
		.amdhsa_system_vgpr_workitem_id 0
		.amdhsa_next_free_vgpr 1
		.amdhsa_next_free_sgpr 1
		.amdhsa_reserve_vcc 0
		.amdhsa_float_round_mode_32 0
		.amdhsa_float_round_mode_16_64 0
		.amdhsa_float_denorm_mode_32 3
		.amdhsa_float_denorm_mode_16_64 3
		.amdhsa_fp16_overflow 0
		.amdhsa_workgroup_processor_mode 1
		.amdhsa_memory_ordered 1
		.amdhsa_forward_progress 1
		.amdhsa_inst_pref_size 1
		.amdhsa_round_robin_scheduling 0
		.amdhsa_exception_fp_ieee_invalid_op 0
		.amdhsa_exception_fp_denorm_src 0
		.amdhsa_exception_fp_ieee_div_zero 0
		.amdhsa_exception_fp_ieee_overflow 0
		.amdhsa_exception_fp_ieee_underflow 0
		.amdhsa_exception_fp_ieee_inexact 0
		.amdhsa_exception_int_div_zero 0
	.end_amdhsa_kernel
	.section	.text._ZN7rocprim17ROCPRIM_400000_NS6detail17trampoline_kernelINS0_14default_configENS1_25partition_config_selectorILNS1_17partition_subalgoE6ExNS0_10empty_typeEbEEZZNS1_14partition_implILS5_6ELb0ES3_mN6thrust23THRUST_200600_302600_NS6detail15normal_iteratorINSA_10device_ptrIxEEEEPS6_SG_NS0_5tupleIJSF_S6_EEENSH_IJSG_SG_EEES6_PlJNSB_9not_fun_tI7is_evenIxEEEEEE10hipError_tPvRmT3_T4_T5_T6_T7_T9_mT8_P12ihipStream_tbDpT10_ENKUlT_T0_E_clISt17integral_constantIbLb1EES18_EEDaS13_S14_EUlS13_E_NS1_11comp_targetILNS1_3genE10ELNS1_11target_archE1200ELNS1_3gpuE4ELNS1_3repE0EEENS1_30default_config_static_selectorELNS0_4arch9wavefront6targetE0EEEvT1_,"axG",@progbits,_ZN7rocprim17ROCPRIM_400000_NS6detail17trampoline_kernelINS0_14default_configENS1_25partition_config_selectorILNS1_17partition_subalgoE6ExNS0_10empty_typeEbEEZZNS1_14partition_implILS5_6ELb0ES3_mN6thrust23THRUST_200600_302600_NS6detail15normal_iteratorINSA_10device_ptrIxEEEEPS6_SG_NS0_5tupleIJSF_S6_EEENSH_IJSG_SG_EEES6_PlJNSB_9not_fun_tI7is_evenIxEEEEEE10hipError_tPvRmT3_T4_T5_T6_T7_T9_mT8_P12ihipStream_tbDpT10_ENKUlT_T0_E_clISt17integral_constantIbLb1EES18_EEDaS13_S14_EUlS13_E_NS1_11comp_targetILNS1_3genE10ELNS1_11target_archE1200ELNS1_3gpuE4ELNS1_3repE0EEENS1_30default_config_static_selectorELNS0_4arch9wavefront6targetE0EEEvT1_,comdat
.Lfunc_end706:
	.size	_ZN7rocprim17ROCPRIM_400000_NS6detail17trampoline_kernelINS0_14default_configENS1_25partition_config_selectorILNS1_17partition_subalgoE6ExNS0_10empty_typeEbEEZZNS1_14partition_implILS5_6ELb0ES3_mN6thrust23THRUST_200600_302600_NS6detail15normal_iteratorINSA_10device_ptrIxEEEEPS6_SG_NS0_5tupleIJSF_S6_EEENSH_IJSG_SG_EEES6_PlJNSB_9not_fun_tI7is_evenIxEEEEEE10hipError_tPvRmT3_T4_T5_T6_T7_T9_mT8_P12ihipStream_tbDpT10_ENKUlT_T0_E_clISt17integral_constantIbLb1EES18_EEDaS13_S14_EUlS13_E_NS1_11comp_targetILNS1_3genE10ELNS1_11target_archE1200ELNS1_3gpuE4ELNS1_3repE0EEENS1_30default_config_static_selectorELNS0_4arch9wavefront6targetE0EEEvT1_, .Lfunc_end706-_ZN7rocprim17ROCPRIM_400000_NS6detail17trampoline_kernelINS0_14default_configENS1_25partition_config_selectorILNS1_17partition_subalgoE6ExNS0_10empty_typeEbEEZZNS1_14partition_implILS5_6ELb0ES3_mN6thrust23THRUST_200600_302600_NS6detail15normal_iteratorINSA_10device_ptrIxEEEEPS6_SG_NS0_5tupleIJSF_S6_EEENSH_IJSG_SG_EEES6_PlJNSB_9not_fun_tI7is_evenIxEEEEEE10hipError_tPvRmT3_T4_T5_T6_T7_T9_mT8_P12ihipStream_tbDpT10_ENKUlT_T0_E_clISt17integral_constantIbLb1EES18_EEDaS13_S14_EUlS13_E_NS1_11comp_targetILNS1_3genE10ELNS1_11target_archE1200ELNS1_3gpuE4ELNS1_3repE0EEENS1_30default_config_static_selectorELNS0_4arch9wavefront6targetE0EEEvT1_
                                        ; -- End function
	.set _ZN7rocprim17ROCPRIM_400000_NS6detail17trampoline_kernelINS0_14default_configENS1_25partition_config_selectorILNS1_17partition_subalgoE6ExNS0_10empty_typeEbEEZZNS1_14partition_implILS5_6ELb0ES3_mN6thrust23THRUST_200600_302600_NS6detail15normal_iteratorINSA_10device_ptrIxEEEEPS6_SG_NS0_5tupleIJSF_S6_EEENSH_IJSG_SG_EEES6_PlJNSB_9not_fun_tI7is_evenIxEEEEEE10hipError_tPvRmT3_T4_T5_T6_T7_T9_mT8_P12ihipStream_tbDpT10_ENKUlT_T0_E_clISt17integral_constantIbLb1EES18_EEDaS13_S14_EUlS13_E_NS1_11comp_targetILNS1_3genE10ELNS1_11target_archE1200ELNS1_3gpuE4ELNS1_3repE0EEENS1_30default_config_static_selectorELNS0_4arch9wavefront6targetE0EEEvT1_.num_vgpr, 0
	.set _ZN7rocprim17ROCPRIM_400000_NS6detail17trampoline_kernelINS0_14default_configENS1_25partition_config_selectorILNS1_17partition_subalgoE6ExNS0_10empty_typeEbEEZZNS1_14partition_implILS5_6ELb0ES3_mN6thrust23THRUST_200600_302600_NS6detail15normal_iteratorINSA_10device_ptrIxEEEEPS6_SG_NS0_5tupleIJSF_S6_EEENSH_IJSG_SG_EEES6_PlJNSB_9not_fun_tI7is_evenIxEEEEEE10hipError_tPvRmT3_T4_T5_T6_T7_T9_mT8_P12ihipStream_tbDpT10_ENKUlT_T0_E_clISt17integral_constantIbLb1EES18_EEDaS13_S14_EUlS13_E_NS1_11comp_targetILNS1_3genE10ELNS1_11target_archE1200ELNS1_3gpuE4ELNS1_3repE0EEENS1_30default_config_static_selectorELNS0_4arch9wavefront6targetE0EEEvT1_.num_agpr, 0
	.set _ZN7rocprim17ROCPRIM_400000_NS6detail17trampoline_kernelINS0_14default_configENS1_25partition_config_selectorILNS1_17partition_subalgoE6ExNS0_10empty_typeEbEEZZNS1_14partition_implILS5_6ELb0ES3_mN6thrust23THRUST_200600_302600_NS6detail15normal_iteratorINSA_10device_ptrIxEEEEPS6_SG_NS0_5tupleIJSF_S6_EEENSH_IJSG_SG_EEES6_PlJNSB_9not_fun_tI7is_evenIxEEEEEE10hipError_tPvRmT3_T4_T5_T6_T7_T9_mT8_P12ihipStream_tbDpT10_ENKUlT_T0_E_clISt17integral_constantIbLb1EES18_EEDaS13_S14_EUlS13_E_NS1_11comp_targetILNS1_3genE10ELNS1_11target_archE1200ELNS1_3gpuE4ELNS1_3repE0EEENS1_30default_config_static_selectorELNS0_4arch9wavefront6targetE0EEEvT1_.numbered_sgpr, 0
	.set _ZN7rocprim17ROCPRIM_400000_NS6detail17trampoline_kernelINS0_14default_configENS1_25partition_config_selectorILNS1_17partition_subalgoE6ExNS0_10empty_typeEbEEZZNS1_14partition_implILS5_6ELb0ES3_mN6thrust23THRUST_200600_302600_NS6detail15normal_iteratorINSA_10device_ptrIxEEEEPS6_SG_NS0_5tupleIJSF_S6_EEENSH_IJSG_SG_EEES6_PlJNSB_9not_fun_tI7is_evenIxEEEEEE10hipError_tPvRmT3_T4_T5_T6_T7_T9_mT8_P12ihipStream_tbDpT10_ENKUlT_T0_E_clISt17integral_constantIbLb1EES18_EEDaS13_S14_EUlS13_E_NS1_11comp_targetILNS1_3genE10ELNS1_11target_archE1200ELNS1_3gpuE4ELNS1_3repE0EEENS1_30default_config_static_selectorELNS0_4arch9wavefront6targetE0EEEvT1_.num_named_barrier, 0
	.set _ZN7rocprim17ROCPRIM_400000_NS6detail17trampoline_kernelINS0_14default_configENS1_25partition_config_selectorILNS1_17partition_subalgoE6ExNS0_10empty_typeEbEEZZNS1_14partition_implILS5_6ELb0ES3_mN6thrust23THRUST_200600_302600_NS6detail15normal_iteratorINSA_10device_ptrIxEEEEPS6_SG_NS0_5tupleIJSF_S6_EEENSH_IJSG_SG_EEES6_PlJNSB_9not_fun_tI7is_evenIxEEEEEE10hipError_tPvRmT3_T4_T5_T6_T7_T9_mT8_P12ihipStream_tbDpT10_ENKUlT_T0_E_clISt17integral_constantIbLb1EES18_EEDaS13_S14_EUlS13_E_NS1_11comp_targetILNS1_3genE10ELNS1_11target_archE1200ELNS1_3gpuE4ELNS1_3repE0EEENS1_30default_config_static_selectorELNS0_4arch9wavefront6targetE0EEEvT1_.private_seg_size, 0
	.set _ZN7rocprim17ROCPRIM_400000_NS6detail17trampoline_kernelINS0_14default_configENS1_25partition_config_selectorILNS1_17partition_subalgoE6ExNS0_10empty_typeEbEEZZNS1_14partition_implILS5_6ELb0ES3_mN6thrust23THRUST_200600_302600_NS6detail15normal_iteratorINSA_10device_ptrIxEEEEPS6_SG_NS0_5tupleIJSF_S6_EEENSH_IJSG_SG_EEES6_PlJNSB_9not_fun_tI7is_evenIxEEEEEE10hipError_tPvRmT3_T4_T5_T6_T7_T9_mT8_P12ihipStream_tbDpT10_ENKUlT_T0_E_clISt17integral_constantIbLb1EES18_EEDaS13_S14_EUlS13_E_NS1_11comp_targetILNS1_3genE10ELNS1_11target_archE1200ELNS1_3gpuE4ELNS1_3repE0EEENS1_30default_config_static_selectorELNS0_4arch9wavefront6targetE0EEEvT1_.uses_vcc, 0
	.set _ZN7rocprim17ROCPRIM_400000_NS6detail17trampoline_kernelINS0_14default_configENS1_25partition_config_selectorILNS1_17partition_subalgoE6ExNS0_10empty_typeEbEEZZNS1_14partition_implILS5_6ELb0ES3_mN6thrust23THRUST_200600_302600_NS6detail15normal_iteratorINSA_10device_ptrIxEEEEPS6_SG_NS0_5tupleIJSF_S6_EEENSH_IJSG_SG_EEES6_PlJNSB_9not_fun_tI7is_evenIxEEEEEE10hipError_tPvRmT3_T4_T5_T6_T7_T9_mT8_P12ihipStream_tbDpT10_ENKUlT_T0_E_clISt17integral_constantIbLb1EES18_EEDaS13_S14_EUlS13_E_NS1_11comp_targetILNS1_3genE10ELNS1_11target_archE1200ELNS1_3gpuE4ELNS1_3repE0EEENS1_30default_config_static_selectorELNS0_4arch9wavefront6targetE0EEEvT1_.uses_flat_scratch, 0
	.set _ZN7rocprim17ROCPRIM_400000_NS6detail17trampoline_kernelINS0_14default_configENS1_25partition_config_selectorILNS1_17partition_subalgoE6ExNS0_10empty_typeEbEEZZNS1_14partition_implILS5_6ELb0ES3_mN6thrust23THRUST_200600_302600_NS6detail15normal_iteratorINSA_10device_ptrIxEEEEPS6_SG_NS0_5tupleIJSF_S6_EEENSH_IJSG_SG_EEES6_PlJNSB_9not_fun_tI7is_evenIxEEEEEE10hipError_tPvRmT3_T4_T5_T6_T7_T9_mT8_P12ihipStream_tbDpT10_ENKUlT_T0_E_clISt17integral_constantIbLb1EES18_EEDaS13_S14_EUlS13_E_NS1_11comp_targetILNS1_3genE10ELNS1_11target_archE1200ELNS1_3gpuE4ELNS1_3repE0EEENS1_30default_config_static_selectorELNS0_4arch9wavefront6targetE0EEEvT1_.has_dyn_sized_stack, 0
	.set _ZN7rocprim17ROCPRIM_400000_NS6detail17trampoline_kernelINS0_14default_configENS1_25partition_config_selectorILNS1_17partition_subalgoE6ExNS0_10empty_typeEbEEZZNS1_14partition_implILS5_6ELb0ES3_mN6thrust23THRUST_200600_302600_NS6detail15normal_iteratorINSA_10device_ptrIxEEEEPS6_SG_NS0_5tupleIJSF_S6_EEENSH_IJSG_SG_EEES6_PlJNSB_9not_fun_tI7is_evenIxEEEEEE10hipError_tPvRmT3_T4_T5_T6_T7_T9_mT8_P12ihipStream_tbDpT10_ENKUlT_T0_E_clISt17integral_constantIbLb1EES18_EEDaS13_S14_EUlS13_E_NS1_11comp_targetILNS1_3genE10ELNS1_11target_archE1200ELNS1_3gpuE4ELNS1_3repE0EEENS1_30default_config_static_selectorELNS0_4arch9wavefront6targetE0EEEvT1_.has_recursion, 0
	.set _ZN7rocprim17ROCPRIM_400000_NS6detail17trampoline_kernelINS0_14default_configENS1_25partition_config_selectorILNS1_17partition_subalgoE6ExNS0_10empty_typeEbEEZZNS1_14partition_implILS5_6ELb0ES3_mN6thrust23THRUST_200600_302600_NS6detail15normal_iteratorINSA_10device_ptrIxEEEEPS6_SG_NS0_5tupleIJSF_S6_EEENSH_IJSG_SG_EEES6_PlJNSB_9not_fun_tI7is_evenIxEEEEEE10hipError_tPvRmT3_T4_T5_T6_T7_T9_mT8_P12ihipStream_tbDpT10_ENKUlT_T0_E_clISt17integral_constantIbLb1EES18_EEDaS13_S14_EUlS13_E_NS1_11comp_targetILNS1_3genE10ELNS1_11target_archE1200ELNS1_3gpuE4ELNS1_3repE0EEENS1_30default_config_static_selectorELNS0_4arch9wavefront6targetE0EEEvT1_.has_indirect_call, 0
	.section	.AMDGPU.csdata,"",@progbits
; Kernel info:
; codeLenInByte = 4
; TotalNumSgprs: 0
; NumVgprs: 0
; ScratchSize: 0
; MemoryBound: 0
; FloatMode: 240
; IeeeMode: 1
; LDSByteSize: 0 bytes/workgroup (compile time only)
; SGPRBlocks: 0
; VGPRBlocks: 0
; NumSGPRsForWavesPerEU: 1
; NumVGPRsForWavesPerEU: 1
; Occupancy: 16
; WaveLimiterHint : 0
; COMPUTE_PGM_RSRC2:SCRATCH_EN: 0
; COMPUTE_PGM_RSRC2:USER_SGPR: 2
; COMPUTE_PGM_RSRC2:TRAP_HANDLER: 0
; COMPUTE_PGM_RSRC2:TGID_X_EN: 1
; COMPUTE_PGM_RSRC2:TGID_Y_EN: 0
; COMPUTE_PGM_RSRC2:TGID_Z_EN: 0
; COMPUTE_PGM_RSRC2:TIDIG_COMP_CNT: 0
	.section	.text._ZN7rocprim17ROCPRIM_400000_NS6detail17trampoline_kernelINS0_14default_configENS1_25partition_config_selectorILNS1_17partition_subalgoE6ExNS0_10empty_typeEbEEZZNS1_14partition_implILS5_6ELb0ES3_mN6thrust23THRUST_200600_302600_NS6detail15normal_iteratorINSA_10device_ptrIxEEEEPS6_SG_NS0_5tupleIJSF_S6_EEENSH_IJSG_SG_EEES6_PlJNSB_9not_fun_tI7is_evenIxEEEEEE10hipError_tPvRmT3_T4_T5_T6_T7_T9_mT8_P12ihipStream_tbDpT10_ENKUlT_T0_E_clISt17integral_constantIbLb1EES18_EEDaS13_S14_EUlS13_E_NS1_11comp_targetILNS1_3genE9ELNS1_11target_archE1100ELNS1_3gpuE3ELNS1_3repE0EEENS1_30default_config_static_selectorELNS0_4arch9wavefront6targetE0EEEvT1_,"axG",@progbits,_ZN7rocprim17ROCPRIM_400000_NS6detail17trampoline_kernelINS0_14default_configENS1_25partition_config_selectorILNS1_17partition_subalgoE6ExNS0_10empty_typeEbEEZZNS1_14partition_implILS5_6ELb0ES3_mN6thrust23THRUST_200600_302600_NS6detail15normal_iteratorINSA_10device_ptrIxEEEEPS6_SG_NS0_5tupleIJSF_S6_EEENSH_IJSG_SG_EEES6_PlJNSB_9not_fun_tI7is_evenIxEEEEEE10hipError_tPvRmT3_T4_T5_T6_T7_T9_mT8_P12ihipStream_tbDpT10_ENKUlT_T0_E_clISt17integral_constantIbLb1EES18_EEDaS13_S14_EUlS13_E_NS1_11comp_targetILNS1_3genE9ELNS1_11target_archE1100ELNS1_3gpuE3ELNS1_3repE0EEENS1_30default_config_static_selectorELNS0_4arch9wavefront6targetE0EEEvT1_,comdat
	.protected	_ZN7rocprim17ROCPRIM_400000_NS6detail17trampoline_kernelINS0_14default_configENS1_25partition_config_selectorILNS1_17partition_subalgoE6ExNS0_10empty_typeEbEEZZNS1_14partition_implILS5_6ELb0ES3_mN6thrust23THRUST_200600_302600_NS6detail15normal_iteratorINSA_10device_ptrIxEEEEPS6_SG_NS0_5tupleIJSF_S6_EEENSH_IJSG_SG_EEES6_PlJNSB_9not_fun_tI7is_evenIxEEEEEE10hipError_tPvRmT3_T4_T5_T6_T7_T9_mT8_P12ihipStream_tbDpT10_ENKUlT_T0_E_clISt17integral_constantIbLb1EES18_EEDaS13_S14_EUlS13_E_NS1_11comp_targetILNS1_3genE9ELNS1_11target_archE1100ELNS1_3gpuE3ELNS1_3repE0EEENS1_30default_config_static_selectorELNS0_4arch9wavefront6targetE0EEEvT1_ ; -- Begin function _ZN7rocprim17ROCPRIM_400000_NS6detail17trampoline_kernelINS0_14default_configENS1_25partition_config_selectorILNS1_17partition_subalgoE6ExNS0_10empty_typeEbEEZZNS1_14partition_implILS5_6ELb0ES3_mN6thrust23THRUST_200600_302600_NS6detail15normal_iteratorINSA_10device_ptrIxEEEEPS6_SG_NS0_5tupleIJSF_S6_EEENSH_IJSG_SG_EEES6_PlJNSB_9not_fun_tI7is_evenIxEEEEEE10hipError_tPvRmT3_T4_T5_T6_T7_T9_mT8_P12ihipStream_tbDpT10_ENKUlT_T0_E_clISt17integral_constantIbLb1EES18_EEDaS13_S14_EUlS13_E_NS1_11comp_targetILNS1_3genE9ELNS1_11target_archE1100ELNS1_3gpuE3ELNS1_3repE0EEENS1_30default_config_static_selectorELNS0_4arch9wavefront6targetE0EEEvT1_
	.globl	_ZN7rocprim17ROCPRIM_400000_NS6detail17trampoline_kernelINS0_14default_configENS1_25partition_config_selectorILNS1_17partition_subalgoE6ExNS0_10empty_typeEbEEZZNS1_14partition_implILS5_6ELb0ES3_mN6thrust23THRUST_200600_302600_NS6detail15normal_iteratorINSA_10device_ptrIxEEEEPS6_SG_NS0_5tupleIJSF_S6_EEENSH_IJSG_SG_EEES6_PlJNSB_9not_fun_tI7is_evenIxEEEEEE10hipError_tPvRmT3_T4_T5_T6_T7_T9_mT8_P12ihipStream_tbDpT10_ENKUlT_T0_E_clISt17integral_constantIbLb1EES18_EEDaS13_S14_EUlS13_E_NS1_11comp_targetILNS1_3genE9ELNS1_11target_archE1100ELNS1_3gpuE3ELNS1_3repE0EEENS1_30default_config_static_selectorELNS0_4arch9wavefront6targetE0EEEvT1_
	.p2align	8
	.type	_ZN7rocprim17ROCPRIM_400000_NS6detail17trampoline_kernelINS0_14default_configENS1_25partition_config_selectorILNS1_17partition_subalgoE6ExNS0_10empty_typeEbEEZZNS1_14partition_implILS5_6ELb0ES3_mN6thrust23THRUST_200600_302600_NS6detail15normal_iteratorINSA_10device_ptrIxEEEEPS6_SG_NS0_5tupleIJSF_S6_EEENSH_IJSG_SG_EEES6_PlJNSB_9not_fun_tI7is_evenIxEEEEEE10hipError_tPvRmT3_T4_T5_T6_T7_T9_mT8_P12ihipStream_tbDpT10_ENKUlT_T0_E_clISt17integral_constantIbLb1EES18_EEDaS13_S14_EUlS13_E_NS1_11comp_targetILNS1_3genE9ELNS1_11target_archE1100ELNS1_3gpuE3ELNS1_3repE0EEENS1_30default_config_static_selectorELNS0_4arch9wavefront6targetE0EEEvT1_,@function
_ZN7rocprim17ROCPRIM_400000_NS6detail17trampoline_kernelINS0_14default_configENS1_25partition_config_selectorILNS1_17partition_subalgoE6ExNS0_10empty_typeEbEEZZNS1_14partition_implILS5_6ELb0ES3_mN6thrust23THRUST_200600_302600_NS6detail15normal_iteratorINSA_10device_ptrIxEEEEPS6_SG_NS0_5tupleIJSF_S6_EEENSH_IJSG_SG_EEES6_PlJNSB_9not_fun_tI7is_evenIxEEEEEE10hipError_tPvRmT3_T4_T5_T6_T7_T9_mT8_P12ihipStream_tbDpT10_ENKUlT_T0_E_clISt17integral_constantIbLb1EES18_EEDaS13_S14_EUlS13_E_NS1_11comp_targetILNS1_3genE9ELNS1_11target_archE1100ELNS1_3gpuE3ELNS1_3repE0EEENS1_30default_config_static_selectorELNS0_4arch9wavefront6targetE0EEEvT1_: ; @_ZN7rocprim17ROCPRIM_400000_NS6detail17trampoline_kernelINS0_14default_configENS1_25partition_config_selectorILNS1_17partition_subalgoE6ExNS0_10empty_typeEbEEZZNS1_14partition_implILS5_6ELb0ES3_mN6thrust23THRUST_200600_302600_NS6detail15normal_iteratorINSA_10device_ptrIxEEEEPS6_SG_NS0_5tupleIJSF_S6_EEENSH_IJSG_SG_EEES6_PlJNSB_9not_fun_tI7is_evenIxEEEEEE10hipError_tPvRmT3_T4_T5_T6_T7_T9_mT8_P12ihipStream_tbDpT10_ENKUlT_T0_E_clISt17integral_constantIbLb1EES18_EEDaS13_S14_EUlS13_E_NS1_11comp_targetILNS1_3genE9ELNS1_11target_archE1100ELNS1_3gpuE3ELNS1_3repE0EEENS1_30default_config_static_selectorELNS0_4arch9wavefront6targetE0EEEvT1_
; %bb.0:
	.section	.rodata,"a",@progbits
	.p2align	6, 0x0
	.amdhsa_kernel _ZN7rocprim17ROCPRIM_400000_NS6detail17trampoline_kernelINS0_14default_configENS1_25partition_config_selectorILNS1_17partition_subalgoE6ExNS0_10empty_typeEbEEZZNS1_14partition_implILS5_6ELb0ES3_mN6thrust23THRUST_200600_302600_NS6detail15normal_iteratorINSA_10device_ptrIxEEEEPS6_SG_NS0_5tupleIJSF_S6_EEENSH_IJSG_SG_EEES6_PlJNSB_9not_fun_tI7is_evenIxEEEEEE10hipError_tPvRmT3_T4_T5_T6_T7_T9_mT8_P12ihipStream_tbDpT10_ENKUlT_T0_E_clISt17integral_constantIbLb1EES18_EEDaS13_S14_EUlS13_E_NS1_11comp_targetILNS1_3genE9ELNS1_11target_archE1100ELNS1_3gpuE3ELNS1_3repE0EEENS1_30default_config_static_selectorELNS0_4arch9wavefront6targetE0EEEvT1_
		.amdhsa_group_segment_fixed_size 0
		.amdhsa_private_segment_fixed_size 0
		.amdhsa_kernarg_size 128
		.amdhsa_user_sgpr_count 2
		.amdhsa_user_sgpr_dispatch_ptr 0
		.amdhsa_user_sgpr_queue_ptr 0
		.amdhsa_user_sgpr_kernarg_segment_ptr 1
		.amdhsa_user_sgpr_dispatch_id 0
		.amdhsa_user_sgpr_private_segment_size 0
		.amdhsa_wavefront_size32 1
		.amdhsa_uses_dynamic_stack 0
		.amdhsa_enable_private_segment 0
		.amdhsa_system_sgpr_workgroup_id_x 1
		.amdhsa_system_sgpr_workgroup_id_y 0
		.amdhsa_system_sgpr_workgroup_id_z 0
		.amdhsa_system_sgpr_workgroup_info 0
		.amdhsa_system_vgpr_workitem_id 0
		.amdhsa_next_free_vgpr 1
		.amdhsa_next_free_sgpr 1
		.amdhsa_reserve_vcc 0
		.amdhsa_float_round_mode_32 0
		.amdhsa_float_round_mode_16_64 0
		.amdhsa_float_denorm_mode_32 3
		.amdhsa_float_denorm_mode_16_64 3
		.amdhsa_fp16_overflow 0
		.amdhsa_workgroup_processor_mode 1
		.amdhsa_memory_ordered 1
		.amdhsa_forward_progress 1
		.amdhsa_inst_pref_size 0
		.amdhsa_round_robin_scheduling 0
		.amdhsa_exception_fp_ieee_invalid_op 0
		.amdhsa_exception_fp_denorm_src 0
		.amdhsa_exception_fp_ieee_div_zero 0
		.amdhsa_exception_fp_ieee_overflow 0
		.amdhsa_exception_fp_ieee_underflow 0
		.amdhsa_exception_fp_ieee_inexact 0
		.amdhsa_exception_int_div_zero 0
	.end_amdhsa_kernel
	.section	.text._ZN7rocprim17ROCPRIM_400000_NS6detail17trampoline_kernelINS0_14default_configENS1_25partition_config_selectorILNS1_17partition_subalgoE6ExNS0_10empty_typeEbEEZZNS1_14partition_implILS5_6ELb0ES3_mN6thrust23THRUST_200600_302600_NS6detail15normal_iteratorINSA_10device_ptrIxEEEEPS6_SG_NS0_5tupleIJSF_S6_EEENSH_IJSG_SG_EEES6_PlJNSB_9not_fun_tI7is_evenIxEEEEEE10hipError_tPvRmT3_T4_T5_T6_T7_T9_mT8_P12ihipStream_tbDpT10_ENKUlT_T0_E_clISt17integral_constantIbLb1EES18_EEDaS13_S14_EUlS13_E_NS1_11comp_targetILNS1_3genE9ELNS1_11target_archE1100ELNS1_3gpuE3ELNS1_3repE0EEENS1_30default_config_static_selectorELNS0_4arch9wavefront6targetE0EEEvT1_,"axG",@progbits,_ZN7rocprim17ROCPRIM_400000_NS6detail17trampoline_kernelINS0_14default_configENS1_25partition_config_selectorILNS1_17partition_subalgoE6ExNS0_10empty_typeEbEEZZNS1_14partition_implILS5_6ELb0ES3_mN6thrust23THRUST_200600_302600_NS6detail15normal_iteratorINSA_10device_ptrIxEEEEPS6_SG_NS0_5tupleIJSF_S6_EEENSH_IJSG_SG_EEES6_PlJNSB_9not_fun_tI7is_evenIxEEEEEE10hipError_tPvRmT3_T4_T5_T6_T7_T9_mT8_P12ihipStream_tbDpT10_ENKUlT_T0_E_clISt17integral_constantIbLb1EES18_EEDaS13_S14_EUlS13_E_NS1_11comp_targetILNS1_3genE9ELNS1_11target_archE1100ELNS1_3gpuE3ELNS1_3repE0EEENS1_30default_config_static_selectorELNS0_4arch9wavefront6targetE0EEEvT1_,comdat
.Lfunc_end707:
	.size	_ZN7rocprim17ROCPRIM_400000_NS6detail17trampoline_kernelINS0_14default_configENS1_25partition_config_selectorILNS1_17partition_subalgoE6ExNS0_10empty_typeEbEEZZNS1_14partition_implILS5_6ELb0ES3_mN6thrust23THRUST_200600_302600_NS6detail15normal_iteratorINSA_10device_ptrIxEEEEPS6_SG_NS0_5tupleIJSF_S6_EEENSH_IJSG_SG_EEES6_PlJNSB_9not_fun_tI7is_evenIxEEEEEE10hipError_tPvRmT3_T4_T5_T6_T7_T9_mT8_P12ihipStream_tbDpT10_ENKUlT_T0_E_clISt17integral_constantIbLb1EES18_EEDaS13_S14_EUlS13_E_NS1_11comp_targetILNS1_3genE9ELNS1_11target_archE1100ELNS1_3gpuE3ELNS1_3repE0EEENS1_30default_config_static_selectorELNS0_4arch9wavefront6targetE0EEEvT1_, .Lfunc_end707-_ZN7rocprim17ROCPRIM_400000_NS6detail17trampoline_kernelINS0_14default_configENS1_25partition_config_selectorILNS1_17partition_subalgoE6ExNS0_10empty_typeEbEEZZNS1_14partition_implILS5_6ELb0ES3_mN6thrust23THRUST_200600_302600_NS6detail15normal_iteratorINSA_10device_ptrIxEEEEPS6_SG_NS0_5tupleIJSF_S6_EEENSH_IJSG_SG_EEES6_PlJNSB_9not_fun_tI7is_evenIxEEEEEE10hipError_tPvRmT3_T4_T5_T6_T7_T9_mT8_P12ihipStream_tbDpT10_ENKUlT_T0_E_clISt17integral_constantIbLb1EES18_EEDaS13_S14_EUlS13_E_NS1_11comp_targetILNS1_3genE9ELNS1_11target_archE1100ELNS1_3gpuE3ELNS1_3repE0EEENS1_30default_config_static_selectorELNS0_4arch9wavefront6targetE0EEEvT1_
                                        ; -- End function
	.set _ZN7rocprim17ROCPRIM_400000_NS6detail17trampoline_kernelINS0_14default_configENS1_25partition_config_selectorILNS1_17partition_subalgoE6ExNS0_10empty_typeEbEEZZNS1_14partition_implILS5_6ELb0ES3_mN6thrust23THRUST_200600_302600_NS6detail15normal_iteratorINSA_10device_ptrIxEEEEPS6_SG_NS0_5tupleIJSF_S6_EEENSH_IJSG_SG_EEES6_PlJNSB_9not_fun_tI7is_evenIxEEEEEE10hipError_tPvRmT3_T4_T5_T6_T7_T9_mT8_P12ihipStream_tbDpT10_ENKUlT_T0_E_clISt17integral_constantIbLb1EES18_EEDaS13_S14_EUlS13_E_NS1_11comp_targetILNS1_3genE9ELNS1_11target_archE1100ELNS1_3gpuE3ELNS1_3repE0EEENS1_30default_config_static_selectorELNS0_4arch9wavefront6targetE0EEEvT1_.num_vgpr, 0
	.set _ZN7rocprim17ROCPRIM_400000_NS6detail17trampoline_kernelINS0_14default_configENS1_25partition_config_selectorILNS1_17partition_subalgoE6ExNS0_10empty_typeEbEEZZNS1_14partition_implILS5_6ELb0ES3_mN6thrust23THRUST_200600_302600_NS6detail15normal_iteratorINSA_10device_ptrIxEEEEPS6_SG_NS0_5tupleIJSF_S6_EEENSH_IJSG_SG_EEES6_PlJNSB_9not_fun_tI7is_evenIxEEEEEE10hipError_tPvRmT3_T4_T5_T6_T7_T9_mT8_P12ihipStream_tbDpT10_ENKUlT_T0_E_clISt17integral_constantIbLb1EES18_EEDaS13_S14_EUlS13_E_NS1_11comp_targetILNS1_3genE9ELNS1_11target_archE1100ELNS1_3gpuE3ELNS1_3repE0EEENS1_30default_config_static_selectorELNS0_4arch9wavefront6targetE0EEEvT1_.num_agpr, 0
	.set _ZN7rocprim17ROCPRIM_400000_NS6detail17trampoline_kernelINS0_14default_configENS1_25partition_config_selectorILNS1_17partition_subalgoE6ExNS0_10empty_typeEbEEZZNS1_14partition_implILS5_6ELb0ES3_mN6thrust23THRUST_200600_302600_NS6detail15normal_iteratorINSA_10device_ptrIxEEEEPS6_SG_NS0_5tupleIJSF_S6_EEENSH_IJSG_SG_EEES6_PlJNSB_9not_fun_tI7is_evenIxEEEEEE10hipError_tPvRmT3_T4_T5_T6_T7_T9_mT8_P12ihipStream_tbDpT10_ENKUlT_T0_E_clISt17integral_constantIbLb1EES18_EEDaS13_S14_EUlS13_E_NS1_11comp_targetILNS1_3genE9ELNS1_11target_archE1100ELNS1_3gpuE3ELNS1_3repE0EEENS1_30default_config_static_selectorELNS0_4arch9wavefront6targetE0EEEvT1_.numbered_sgpr, 0
	.set _ZN7rocprim17ROCPRIM_400000_NS6detail17trampoline_kernelINS0_14default_configENS1_25partition_config_selectorILNS1_17partition_subalgoE6ExNS0_10empty_typeEbEEZZNS1_14partition_implILS5_6ELb0ES3_mN6thrust23THRUST_200600_302600_NS6detail15normal_iteratorINSA_10device_ptrIxEEEEPS6_SG_NS0_5tupleIJSF_S6_EEENSH_IJSG_SG_EEES6_PlJNSB_9not_fun_tI7is_evenIxEEEEEE10hipError_tPvRmT3_T4_T5_T6_T7_T9_mT8_P12ihipStream_tbDpT10_ENKUlT_T0_E_clISt17integral_constantIbLb1EES18_EEDaS13_S14_EUlS13_E_NS1_11comp_targetILNS1_3genE9ELNS1_11target_archE1100ELNS1_3gpuE3ELNS1_3repE0EEENS1_30default_config_static_selectorELNS0_4arch9wavefront6targetE0EEEvT1_.num_named_barrier, 0
	.set _ZN7rocprim17ROCPRIM_400000_NS6detail17trampoline_kernelINS0_14default_configENS1_25partition_config_selectorILNS1_17partition_subalgoE6ExNS0_10empty_typeEbEEZZNS1_14partition_implILS5_6ELb0ES3_mN6thrust23THRUST_200600_302600_NS6detail15normal_iteratorINSA_10device_ptrIxEEEEPS6_SG_NS0_5tupleIJSF_S6_EEENSH_IJSG_SG_EEES6_PlJNSB_9not_fun_tI7is_evenIxEEEEEE10hipError_tPvRmT3_T4_T5_T6_T7_T9_mT8_P12ihipStream_tbDpT10_ENKUlT_T0_E_clISt17integral_constantIbLb1EES18_EEDaS13_S14_EUlS13_E_NS1_11comp_targetILNS1_3genE9ELNS1_11target_archE1100ELNS1_3gpuE3ELNS1_3repE0EEENS1_30default_config_static_selectorELNS0_4arch9wavefront6targetE0EEEvT1_.private_seg_size, 0
	.set _ZN7rocprim17ROCPRIM_400000_NS6detail17trampoline_kernelINS0_14default_configENS1_25partition_config_selectorILNS1_17partition_subalgoE6ExNS0_10empty_typeEbEEZZNS1_14partition_implILS5_6ELb0ES3_mN6thrust23THRUST_200600_302600_NS6detail15normal_iteratorINSA_10device_ptrIxEEEEPS6_SG_NS0_5tupleIJSF_S6_EEENSH_IJSG_SG_EEES6_PlJNSB_9not_fun_tI7is_evenIxEEEEEE10hipError_tPvRmT3_T4_T5_T6_T7_T9_mT8_P12ihipStream_tbDpT10_ENKUlT_T0_E_clISt17integral_constantIbLb1EES18_EEDaS13_S14_EUlS13_E_NS1_11comp_targetILNS1_3genE9ELNS1_11target_archE1100ELNS1_3gpuE3ELNS1_3repE0EEENS1_30default_config_static_selectorELNS0_4arch9wavefront6targetE0EEEvT1_.uses_vcc, 0
	.set _ZN7rocprim17ROCPRIM_400000_NS6detail17trampoline_kernelINS0_14default_configENS1_25partition_config_selectorILNS1_17partition_subalgoE6ExNS0_10empty_typeEbEEZZNS1_14partition_implILS5_6ELb0ES3_mN6thrust23THRUST_200600_302600_NS6detail15normal_iteratorINSA_10device_ptrIxEEEEPS6_SG_NS0_5tupleIJSF_S6_EEENSH_IJSG_SG_EEES6_PlJNSB_9not_fun_tI7is_evenIxEEEEEE10hipError_tPvRmT3_T4_T5_T6_T7_T9_mT8_P12ihipStream_tbDpT10_ENKUlT_T0_E_clISt17integral_constantIbLb1EES18_EEDaS13_S14_EUlS13_E_NS1_11comp_targetILNS1_3genE9ELNS1_11target_archE1100ELNS1_3gpuE3ELNS1_3repE0EEENS1_30default_config_static_selectorELNS0_4arch9wavefront6targetE0EEEvT1_.uses_flat_scratch, 0
	.set _ZN7rocprim17ROCPRIM_400000_NS6detail17trampoline_kernelINS0_14default_configENS1_25partition_config_selectorILNS1_17partition_subalgoE6ExNS0_10empty_typeEbEEZZNS1_14partition_implILS5_6ELb0ES3_mN6thrust23THRUST_200600_302600_NS6detail15normal_iteratorINSA_10device_ptrIxEEEEPS6_SG_NS0_5tupleIJSF_S6_EEENSH_IJSG_SG_EEES6_PlJNSB_9not_fun_tI7is_evenIxEEEEEE10hipError_tPvRmT3_T4_T5_T6_T7_T9_mT8_P12ihipStream_tbDpT10_ENKUlT_T0_E_clISt17integral_constantIbLb1EES18_EEDaS13_S14_EUlS13_E_NS1_11comp_targetILNS1_3genE9ELNS1_11target_archE1100ELNS1_3gpuE3ELNS1_3repE0EEENS1_30default_config_static_selectorELNS0_4arch9wavefront6targetE0EEEvT1_.has_dyn_sized_stack, 0
	.set _ZN7rocprim17ROCPRIM_400000_NS6detail17trampoline_kernelINS0_14default_configENS1_25partition_config_selectorILNS1_17partition_subalgoE6ExNS0_10empty_typeEbEEZZNS1_14partition_implILS5_6ELb0ES3_mN6thrust23THRUST_200600_302600_NS6detail15normal_iteratorINSA_10device_ptrIxEEEEPS6_SG_NS0_5tupleIJSF_S6_EEENSH_IJSG_SG_EEES6_PlJNSB_9not_fun_tI7is_evenIxEEEEEE10hipError_tPvRmT3_T4_T5_T6_T7_T9_mT8_P12ihipStream_tbDpT10_ENKUlT_T0_E_clISt17integral_constantIbLb1EES18_EEDaS13_S14_EUlS13_E_NS1_11comp_targetILNS1_3genE9ELNS1_11target_archE1100ELNS1_3gpuE3ELNS1_3repE0EEENS1_30default_config_static_selectorELNS0_4arch9wavefront6targetE0EEEvT1_.has_recursion, 0
	.set _ZN7rocprim17ROCPRIM_400000_NS6detail17trampoline_kernelINS0_14default_configENS1_25partition_config_selectorILNS1_17partition_subalgoE6ExNS0_10empty_typeEbEEZZNS1_14partition_implILS5_6ELb0ES3_mN6thrust23THRUST_200600_302600_NS6detail15normal_iteratorINSA_10device_ptrIxEEEEPS6_SG_NS0_5tupleIJSF_S6_EEENSH_IJSG_SG_EEES6_PlJNSB_9not_fun_tI7is_evenIxEEEEEE10hipError_tPvRmT3_T4_T5_T6_T7_T9_mT8_P12ihipStream_tbDpT10_ENKUlT_T0_E_clISt17integral_constantIbLb1EES18_EEDaS13_S14_EUlS13_E_NS1_11comp_targetILNS1_3genE9ELNS1_11target_archE1100ELNS1_3gpuE3ELNS1_3repE0EEENS1_30default_config_static_selectorELNS0_4arch9wavefront6targetE0EEEvT1_.has_indirect_call, 0
	.section	.AMDGPU.csdata,"",@progbits
; Kernel info:
; codeLenInByte = 0
; TotalNumSgprs: 0
; NumVgprs: 0
; ScratchSize: 0
; MemoryBound: 0
; FloatMode: 240
; IeeeMode: 1
; LDSByteSize: 0 bytes/workgroup (compile time only)
; SGPRBlocks: 0
; VGPRBlocks: 0
; NumSGPRsForWavesPerEU: 1
; NumVGPRsForWavesPerEU: 1
; Occupancy: 16
; WaveLimiterHint : 0
; COMPUTE_PGM_RSRC2:SCRATCH_EN: 0
; COMPUTE_PGM_RSRC2:USER_SGPR: 2
; COMPUTE_PGM_RSRC2:TRAP_HANDLER: 0
; COMPUTE_PGM_RSRC2:TGID_X_EN: 1
; COMPUTE_PGM_RSRC2:TGID_Y_EN: 0
; COMPUTE_PGM_RSRC2:TGID_Z_EN: 0
; COMPUTE_PGM_RSRC2:TIDIG_COMP_CNT: 0
	.section	.text._ZN7rocprim17ROCPRIM_400000_NS6detail17trampoline_kernelINS0_14default_configENS1_25partition_config_selectorILNS1_17partition_subalgoE6ExNS0_10empty_typeEbEEZZNS1_14partition_implILS5_6ELb0ES3_mN6thrust23THRUST_200600_302600_NS6detail15normal_iteratorINSA_10device_ptrIxEEEEPS6_SG_NS0_5tupleIJSF_S6_EEENSH_IJSG_SG_EEES6_PlJNSB_9not_fun_tI7is_evenIxEEEEEE10hipError_tPvRmT3_T4_T5_T6_T7_T9_mT8_P12ihipStream_tbDpT10_ENKUlT_T0_E_clISt17integral_constantIbLb1EES18_EEDaS13_S14_EUlS13_E_NS1_11comp_targetILNS1_3genE8ELNS1_11target_archE1030ELNS1_3gpuE2ELNS1_3repE0EEENS1_30default_config_static_selectorELNS0_4arch9wavefront6targetE0EEEvT1_,"axG",@progbits,_ZN7rocprim17ROCPRIM_400000_NS6detail17trampoline_kernelINS0_14default_configENS1_25partition_config_selectorILNS1_17partition_subalgoE6ExNS0_10empty_typeEbEEZZNS1_14partition_implILS5_6ELb0ES3_mN6thrust23THRUST_200600_302600_NS6detail15normal_iteratorINSA_10device_ptrIxEEEEPS6_SG_NS0_5tupleIJSF_S6_EEENSH_IJSG_SG_EEES6_PlJNSB_9not_fun_tI7is_evenIxEEEEEE10hipError_tPvRmT3_T4_T5_T6_T7_T9_mT8_P12ihipStream_tbDpT10_ENKUlT_T0_E_clISt17integral_constantIbLb1EES18_EEDaS13_S14_EUlS13_E_NS1_11comp_targetILNS1_3genE8ELNS1_11target_archE1030ELNS1_3gpuE2ELNS1_3repE0EEENS1_30default_config_static_selectorELNS0_4arch9wavefront6targetE0EEEvT1_,comdat
	.protected	_ZN7rocprim17ROCPRIM_400000_NS6detail17trampoline_kernelINS0_14default_configENS1_25partition_config_selectorILNS1_17partition_subalgoE6ExNS0_10empty_typeEbEEZZNS1_14partition_implILS5_6ELb0ES3_mN6thrust23THRUST_200600_302600_NS6detail15normal_iteratorINSA_10device_ptrIxEEEEPS6_SG_NS0_5tupleIJSF_S6_EEENSH_IJSG_SG_EEES6_PlJNSB_9not_fun_tI7is_evenIxEEEEEE10hipError_tPvRmT3_T4_T5_T6_T7_T9_mT8_P12ihipStream_tbDpT10_ENKUlT_T0_E_clISt17integral_constantIbLb1EES18_EEDaS13_S14_EUlS13_E_NS1_11comp_targetILNS1_3genE8ELNS1_11target_archE1030ELNS1_3gpuE2ELNS1_3repE0EEENS1_30default_config_static_selectorELNS0_4arch9wavefront6targetE0EEEvT1_ ; -- Begin function _ZN7rocprim17ROCPRIM_400000_NS6detail17trampoline_kernelINS0_14default_configENS1_25partition_config_selectorILNS1_17partition_subalgoE6ExNS0_10empty_typeEbEEZZNS1_14partition_implILS5_6ELb0ES3_mN6thrust23THRUST_200600_302600_NS6detail15normal_iteratorINSA_10device_ptrIxEEEEPS6_SG_NS0_5tupleIJSF_S6_EEENSH_IJSG_SG_EEES6_PlJNSB_9not_fun_tI7is_evenIxEEEEEE10hipError_tPvRmT3_T4_T5_T6_T7_T9_mT8_P12ihipStream_tbDpT10_ENKUlT_T0_E_clISt17integral_constantIbLb1EES18_EEDaS13_S14_EUlS13_E_NS1_11comp_targetILNS1_3genE8ELNS1_11target_archE1030ELNS1_3gpuE2ELNS1_3repE0EEENS1_30default_config_static_selectorELNS0_4arch9wavefront6targetE0EEEvT1_
	.globl	_ZN7rocprim17ROCPRIM_400000_NS6detail17trampoline_kernelINS0_14default_configENS1_25partition_config_selectorILNS1_17partition_subalgoE6ExNS0_10empty_typeEbEEZZNS1_14partition_implILS5_6ELb0ES3_mN6thrust23THRUST_200600_302600_NS6detail15normal_iteratorINSA_10device_ptrIxEEEEPS6_SG_NS0_5tupleIJSF_S6_EEENSH_IJSG_SG_EEES6_PlJNSB_9not_fun_tI7is_evenIxEEEEEE10hipError_tPvRmT3_T4_T5_T6_T7_T9_mT8_P12ihipStream_tbDpT10_ENKUlT_T0_E_clISt17integral_constantIbLb1EES18_EEDaS13_S14_EUlS13_E_NS1_11comp_targetILNS1_3genE8ELNS1_11target_archE1030ELNS1_3gpuE2ELNS1_3repE0EEENS1_30default_config_static_selectorELNS0_4arch9wavefront6targetE0EEEvT1_
	.p2align	8
	.type	_ZN7rocprim17ROCPRIM_400000_NS6detail17trampoline_kernelINS0_14default_configENS1_25partition_config_selectorILNS1_17partition_subalgoE6ExNS0_10empty_typeEbEEZZNS1_14partition_implILS5_6ELb0ES3_mN6thrust23THRUST_200600_302600_NS6detail15normal_iteratorINSA_10device_ptrIxEEEEPS6_SG_NS0_5tupleIJSF_S6_EEENSH_IJSG_SG_EEES6_PlJNSB_9not_fun_tI7is_evenIxEEEEEE10hipError_tPvRmT3_T4_T5_T6_T7_T9_mT8_P12ihipStream_tbDpT10_ENKUlT_T0_E_clISt17integral_constantIbLb1EES18_EEDaS13_S14_EUlS13_E_NS1_11comp_targetILNS1_3genE8ELNS1_11target_archE1030ELNS1_3gpuE2ELNS1_3repE0EEENS1_30default_config_static_selectorELNS0_4arch9wavefront6targetE0EEEvT1_,@function
_ZN7rocprim17ROCPRIM_400000_NS6detail17trampoline_kernelINS0_14default_configENS1_25partition_config_selectorILNS1_17partition_subalgoE6ExNS0_10empty_typeEbEEZZNS1_14partition_implILS5_6ELb0ES3_mN6thrust23THRUST_200600_302600_NS6detail15normal_iteratorINSA_10device_ptrIxEEEEPS6_SG_NS0_5tupleIJSF_S6_EEENSH_IJSG_SG_EEES6_PlJNSB_9not_fun_tI7is_evenIxEEEEEE10hipError_tPvRmT3_T4_T5_T6_T7_T9_mT8_P12ihipStream_tbDpT10_ENKUlT_T0_E_clISt17integral_constantIbLb1EES18_EEDaS13_S14_EUlS13_E_NS1_11comp_targetILNS1_3genE8ELNS1_11target_archE1030ELNS1_3gpuE2ELNS1_3repE0EEENS1_30default_config_static_selectorELNS0_4arch9wavefront6targetE0EEEvT1_: ; @_ZN7rocprim17ROCPRIM_400000_NS6detail17trampoline_kernelINS0_14default_configENS1_25partition_config_selectorILNS1_17partition_subalgoE6ExNS0_10empty_typeEbEEZZNS1_14partition_implILS5_6ELb0ES3_mN6thrust23THRUST_200600_302600_NS6detail15normal_iteratorINSA_10device_ptrIxEEEEPS6_SG_NS0_5tupleIJSF_S6_EEENSH_IJSG_SG_EEES6_PlJNSB_9not_fun_tI7is_evenIxEEEEEE10hipError_tPvRmT3_T4_T5_T6_T7_T9_mT8_P12ihipStream_tbDpT10_ENKUlT_T0_E_clISt17integral_constantIbLb1EES18_EEDaS13_S14_EUlS13_E_NS1_11comp_targetILNS1_3genE8ELNS1_11target_archE1030ELNS1_3gpuE2ELNS1_3repE0EEENS1_30default_config_static_selectorELNS0_4arch9wavefront6targetE0EEEvT1_
; %bb.0:
	.section	.rodata,"a",@progbits
	.p2align	6, 0x0
	.amdhsa_kernel _ZN7rocprim17ROCPRIM_400000_NS6detail17trampoline_kernelINS0_14default_configENS1_25partition_config_selectorILNS1_17partition_subalgoE6ExNS0_10empty_typeEbEEZZNS1_14partition_implILS5_6ELb0ES3_mN6thrust23THRUST_200600_302600_NS6detail15normal_iteratorINSA_10device_ptrIxEEEEPS6_SG_NS0_5tupleIJSF_S6_EEENSH_IJSG_SG_EEES6_PlJNSB_9not_fun_tI7is_evenIxEEEEEE10hipError_tPvRmT3_T4_T5_T6_T7_T9_mT8_P12ihipStream_tbDpT10_ENKUlT_T0_E_clISt17integral_constantIbLb1EES18_EEDaS13_S14_EUlS13_E_NS1_11comp_targetILNS1_3genE8ELNS1_11target_archE1030ELNS1_3gpuE2ELNS1_3repE0EEENS1_30default_config_static_selectorELNS0_4arch9wavefront6targetE0EEEvT1_
		.amdhsa_group_segment_fixed_size 0
		.amdhsa_private_segment_fixed_size 0
		.amdhsa_kernarg_size 128
		.amdhsa_user_sgpr_count 2
		.amdhsa_user_sgpr_dispatch_ptr 0
		.amdhsa_user_sgpr_queue_ptr 0
		.amdhsa_user_sgpr_kernarg_segment_ptr 1
		.amdhsa_user_sgpr_dispatch_id 0
		.amdhsa_user_sgpr_private_segment_size 0
		.amdhsa_wavefront_size32 1
		.amdhsa_uses_dynamic_stack 0
		.amdhsa_enable_private_segment 0
		.amdhsa_system_sgpr_workgroup_id_x 1
		.amdhsa_system_sgpr_workgroup_id_y 0
		.amdhsa_system_sgpr_workgroup_id_z 0
		.amdhsa_system_sgpr_workgroup_info 0
		.amdhsa_system_vgpr_workitem_id 0
		.amdhsa_next_free_vgpr 1
		.amdhsa_next_free_sgpr 1
		.amdhsa_reserve_vcc 0
		.amdhsa_float_round_mode_32 0
		.amdhsa_float_round_mode_16_64 0
		.amdhsa_float_denorm_mode_32 3
		.amdhsa_float_denorm_mode_16_64 3
		.amdhsa_fp16_overflow 0
		.amdhsa_workgroup_processor_mode 1
		.amdhsa_memory_ordered 1
		.amdhsa_forward_progress 1
		.amdhsa_inst_pref_size 0
		.amdhsa_round_robin_scheduling 0
		.amdhsa_exception_fp_ieee_invalid_op 0
		.amdhsa_exception_fp_denorm_src 0
		.amdhsa_exception_fp_ieee_div_zero 0
		.amdhsa_exception_fp_ieee_overflow 0
		.amdhsa_exception_fp_ieee_underflow 0
		.amdhsa_exception_fp_ieee_inexact 0
		.amdhsa_exception_int_div_zero 0
	.end_amdhsa_kernel
	.section	.text._ZN7rocprim17ROCPRIM_400000_NS6detail17trampoline_kernelINS0_14default_configENS1_25partition_config_selectorILNS1_17partition_subalgoE6ExNS0_10empty_typeEbEEZZNS1_14partition_implILS5_6ELb0ES3_mN6thrust23THRUST_200600_302600_NS6detail15normal_iteratorINSA_10device_ptrIxEEEEPS6_SG_NS0_5tupleIJSF_S6_EEENSH_IJSG_SG_EEES6_PlJNSB_9not_fun_tI7is_evenIxEEEEEE10hipError_tPvRmT3_T4_T5_T6_T7_T9_mT8_P12ihipStream_tbDpT10_ENKUlT_T0_E_clISt17integral_constantIbLb1EES18_EEDaS13_S14_EUlS13_E_NS1_11comp_targetILNS1_3genE8ELNS1_11target_archE1030ELNS1_3gpuE2ELNS1_3repE0EEENS1_30default_config_static_selectorELNS0_4arch9wavefront6targetE0EEEvT1_,"axG",@progbits,_ZN7rocprim17ROCPRIM_400000_NS6detail17trampoline_kernelINS0_14default_configENS1_25partition_config_selectorILNS1_17partition_subalgoE6ExNS0_10empty_typeEbEEZZNS1_14partition_implILS5_6ELb0ES3_mN6thrust23THRUST_200600_302600_NS6detail15normal_iteratorINSA_10device_ptrIxEEEEPS6_SG_NS0_5tupleIJSF_S6_EEENSH_IJSG_SG_EEES6_PlJNSB_9not_fun_tI7is_evenIxEEEEEE10hipError_tPvRmT3_T4_T5_T6_T7_T9_mT8_P12ihipStream_tbDpT10_ENKUlT_T0_E_clISt17integral_constantIbLb1EES18_EEDaS13_S14_EUlS13_E_NS1_11comp_targetILNS1_3genE8ELNS1_11target_archE1030ELNS1_3gpuE2ELNS1_3repE0EEENS1_30default_config_static_selectorELNS0_4arch9wavefront6targetE0EEEvT1_,comdat
.Lfunc_end708:
	.size	_ZN7rocprim17ROCPRIM_400000_NS6detail17trampoline_kernelINS0_14default_configENS1_25partition_config_selectorILNS1_17partition_subalgoE6ExNS0_10empty_typeEbEEZZNS1_14partition_implILS5_6ELb0ES3_mN6thrust23THRUST_200600_302600_NS6detail15normal_iteratorINSA_10device_ptrIxEEEEPS6_SG_NS0_5tupleIJSF_S6_EEENSH_IJSG_SG_EEES6_PlJNSB_9not_fun_tI7is_evenIxEEEEEE10hipError_tPvRmT3_T4_T5_T6_T7_T9_mT8_P12ihipStream_tbDpT10_ENKUlT_T0_E_clISt17integral_constantIbLb1EES18_EEDaS13_S14_EUlS13_E_NS1_11comp_targetILNS1_3genE8ELNS1_11target_archE1030ELNS1_3gpuE2ELNS1_3repE0EEENS1_30default_config_static_selectorELNS0_4arch9wavefront6targetE0EEEvT1_, .Lfunc_end708-_ZN7rocprim17ROCPRIM_400000_NS6detail17trampoline_kernelINS0_14default_configENS1_25partition_config_selectorILNS1_17partition_subalgoE6ExNS0_10empty_typeEbEEZZNS1_14partition_implILS5_6ELb0ES3_mN6thrust23THRUST_200600_302600_NS6detail15normal_iteratorINSA_10device_ptrIxEEEEPS6_SG_NS0_5tupleIJSF_S6_EEENSH_IJSG_SG_EEES6_PlJNSB_9not_fun_tI7is_evenIxEEEEEE10hipError_tPvRmT3_T4_T5_T6_T7_T9_mT8_P12ihipStream_tbDpT10_ENKUlT_T0_E_clISt17integral_constantIbLb1EES18_EEDaS13_S14_EUlS13_E_NS1_11comp_targetILNS1_3genE8ELNS1_11target_archE1030ELNS1_3gpuE2ELNS1_3repE0EEENS1_30default_config_static_selectorELNS0_4arch9wavefront6targetE0EEEvT1_
                                        ; -- End function
	.set _ZN7rocprim17ROCPRIM_400000_NS6detail17trampoline_kernelINS0_14default_configENS1_25partition_config_selectorILNS1_17partition_subalgoE6ExNS0_10empty_typeEbEEZZNS1_14partition_implILS5_6ELb0ES3_mN6thrust23THRUST_200600_302600_NS6detail15normal_iteratorINSA_10device_ptrIxEEEEPS6_SG_NS0_5tupleIJSF_S6_EEENSH_IJSG_SG_EEES6_PlJNSB_9not_fun_tI7is_evenIxEEEEEE10hipError_tPvRmT3_T4_T5_T6_T7_T9_mT8_P12ihipStream_tbDpT10_ENKUlT_T0_E_clISt17integral_constantIbLb1EES18_EEDaS13_S14_EUlS13_E_NS1_11comp_targetILNS1_3genE8ELNS1_11target_archE1030ELNS1_3gpuE2ELNS1_3repE0EEENS1_30default_config_static_selectorELNS0_4arch9wavefront6targetE0EEEvT1_.num_vgpr, 0
	.set _ZN7rocprim17ROCPRIM_400000_NS6detail17trampoline_kernelINS0_14default_configENS1_25partition_config_selectorILNS1_17partition_subalgoE6ExNS0_10empty_typeEbEEZZNS1_14partition_implILS5_6ELb0ES3_mN6thrust23THRUST_200600_302600_NS6detail15normal_iteratorINSA_10device_ptrIxEEEEPS6_SG_NS0_5tupleIJSF_S6_EEENSH_IJSG_SG_EEES6_PlJNSB_9not_fun_tI7is_evenIxEEEEEE10hipError_tPvRmT3_T4_T5_T6_T7_T9_mT8_P12ihipStream_tbDpT10_ENKUlT_T0_E_clISt17integral_constantIbLb1EES18_EEDaS13_S14_EUlS13_E_NS1_11comp_targetILNS1_3genE8ELNS1_11target_archE1030ELNS1_3gpuE2ELNS1_3repE0EEENS1_30default_config_static_selectorELNS0_4arch9wavefront6targetE0EEEvT1_.num_agpr, 0
	.set _ZN7rocprim17ROCPRIM_400000_NS6detail17trampoline_kernelINS0_14default_configENS1_25partition_config_selectorILNS1_17partition_subalgoE6ExNS0_10empty_typeEbEEZZNS1_14partition_implILS5_6ELb0ES3_mN6thrust23THRUST_200600_302600_NS6detail15normal_iteratorINSA_10device_ptrIxEEEEPS6_SG_NS0_5tupleIJSF_S6_EEENSH_IJSG_SG_EEES6_PlJNSB_9not_fun_tI7is_evenIxEEEEEE10hipError_tPvRmT3_T4_T5_T6_T7_T9_mT8_P12ihipStream_tbDpT10_ENKUlT_T0_E_clISt17integral_constantIbLb1EES18_EEDaS13_S14_EUlS13_E_NS1_11comp_targetILNS1_3genE8ELNS1_11target_archE1030ELNS1_3gpuE2ELNS1_3repE0EEENS1_30default_config_static_selectorELNS0_4arch9wavefront6targetE0EEEvT1_.numbered_sgpr, 0
	.set _ZN7rocprim17ROCPRIM_400000_NS6detail17trampoline_kernelINS0_14default_configENS1_25partition_config_selectorILNS1_17partition_subalgoE6ExNS0_10empty_typeEbEEZZNS1_14partition_implILS5_6ELb0ES3_mN6thrust23THRUST_200600_302600_NS6detail15normal_iteratorINSA_10device_ptrIxEEEEPS6_SG_NS0_5tupleIJSF_S6_EEENSH_IJSG_SG_EEES6_PlJNSB_9not_fun_tI7is_evenIxEEEEEE10hipError_tPvRmT3_T4_T5_T6_T7_T9_mT8_P12ihipStream_tbDpT10_ENKUlT_T0_E_clISt17integral_constantIbLb1EES18_EEDaS13_S14_EUlS13_E_NS1_11comp_targetILNS1_3genE8ELNS1_11target_archE1030ELNS1_3gpuE2ELNS1_3repE0EEENS1_30default_config_static_selectorELNS0_4arch9wavefront6targetE0EEEvT1_.num_named_barrier, 0
	.set _ZN7rocprim17ROCPRIM_400000_NS6detail17trampoline_kernelINS0_14default_configENS1_25partition_config_selectorILNS1_17partition_subalgoE6ExNS0_10empty_typeEbEEZZNS1_14partition_implILS5_6ELb0ES3_mN6thrust23THRUST_200600_302600_NS6detail15normal_iteratorINSA_10device_ptrIxEEEEPS6_SG_NS0_5tupleIJSF_S6_EEENSH_IJSG_SG_EEES6_PlJNSB_9not_fun_tI7is_evenIxEEEEEE10hipError_tPvRmT3_T4_T5_T6_T7_T9_mT8_P12ihipStream_tbDpT10_ENKUlT_T0_E_clISt17integral_constantIbLb1EES18_EEDaS13_S14_EUlS13_E_NS1_11comp_targetILNS1_3genE8ELNS1_11target_archE1030ELNS1_3gpuE2ELNS1_3repE0EEENS1_30default_config_static_selectorELNS0_4arch9wavefront6targetE0EEEvT1_.private_seg_size, 0
	.set _ZN7rocprim17ROCPRIM_400000_NS6detail17trampoline_kernelINS0_14default_configENS1_25partition_config_selectorILNS1_17partition_subalgoE6ExNS0_10empty_typeEbEEZZNS1_14partition_implILS5_6ELb0ES3_mN6thrust23THRUST_200600_302600_NS6detail15normal_iteratorINSA_10device_ptrIxEEEEPS6_SG_NS0_5tupleIJSF_S6_EEENSH_IJSG_SG_EEES6_PlJNSB_9not_fun_tI7is_evenIxEEEEEE10hipError_tPvRmT3_T4_T5_T6_T7_T9_mT8_P12ihipStream_tbDpT10_ENKUlT_T0_E_clISt17integral_constantIbLb1EES18_EEDaS13_S14_EUlS13_E_NS1_11comp_targetILNS1_3genE8ELNS1_11target_archE1030ELNS1_3gpuE2ELNS1_3repE0EEENS1_30default_config_static_selectorELNS0_4arch9wavefront6targetE0EEEvT1_.uses_vcc, 0
	.set _ZN7rocprim17ROCPRIM_400000_NS6detail17trampoline_kernelINS0_14default_configENS1_25partition_config_selectorILNS1_17partition_subalgoE6ExNS0_10empty_typeEbEEZZNS1_14partition_implILS5_6ELb0ES3_mN6thrust23THRUST_200600_302600_NS6detail15normal_iteratorINSA_10device_ptrIxEEEEPS6_SG_NS0_5tupleIJSF_S6_EEENSH_IJSG_SG_EEES6_PlJNSB_9not_fun_tI7is_evenIxEEEEEE10hipError_tPvRmT3_T4_T5_T6_T7_T9_mT8_P12ihipStream_tbDpT10_ENKUlT_T0_E_clISt17integral_constantIbLb1EES18_EEDaS13_S14_EUlS13_E_NS1_11comp_targetILNS1_3genE8ELNS1_11target_archE1030ELNS1_3gpuE2ELNS1_3repE0EEENS1_30default_config_static_selectorELNS0_4arch9wavefront6targetE0EEEvT1_.uses_flat_scratch, 0
	.set _ZN7rocprim17ROCPRIM_400000_NS6detail17trampoline_kernelINS0_14default_configENS1_25partition_config_selectorILNS1_17partition_subalgoE6ExNS0_10empty_typeEbEEZZNS1_14partition_implILS5_6ELb0ES3_mN6thrust23THRUST_200600_302600_NS6detail15normal_iteratorINSA_10device_ptrIxEEEEPS6_SG_NS0_5tupleIJSF_S6_EEENSH_IJSG_SG_EEES6_PlJNSB_9not_fun_tI7is_evenIxEEEEEE10hipError_tPvRmT3_T4_T5_T6_T7_T9_mT8_P12ihipStream_tbDpT10_ENKUlT_T0_E_clISt17integral_constantIbLb1EES18_EEDaS13_S14_EUlS13_E_NS1_11comp_targetILNS1_3genE8ELNS1_11target_archE1030ELNS1_3gpuE2ELNS1_3repE0EEENS1_30default_config_static_selectorELNS0_4arch9wavefront6targetE0EEEvT1_.has_dyn_sized_stack, 0
	.set _ZN7rocprim17ROCPRIM_400000_NS6detail17trampoline_kernelINS0_14default_configENS1_25partition_config_selectorILNS1_17partition_subalgoE6ExNS0_10empty_typeEbEEZZNS1_14partition_implILS5_6ELb0ES3_mN6thrust23THRUST_200600_302600_NS6detail15normal_iteratorINSA_10device_ptrIxEEEEPS6_SG_NS0_5tupleIJSF_S6_EEENSH_IJSG_SG_EEES6_PlJNSB_9not_fun_tI7is_evenIxEEEEEE10hipError_tPvRmT3_T4_T5_T6_T7_T9_mT8_P12ihipStream_tbDpT10_ENKUlT_T0_E_clISt17integral_constantIbLb1EES18_EEDaS13_S14_EUlS13_E_NS1_11comp_targetILNS1_3genE8ELNS1_11target_archE1030ELNS1_3gpuE2ELNS1_3repE0EEENS1_30default_config_static_selectorELNS0_4arch9wavefront6targetE0EEEvT1_.has_recursion, 0
	.set _ZN7rocprim17ROCPRIM_400000_NS6detail17trampoline_kernelINS0_14default_configENS1_25partition_config_selectorILNS1_17partition_subalgoE6ExNS0_10empty_typeEbEEZZNS1_14partition_implILS5_6ELb0ES3_mN6thrust23THRUST_200600_302600_NS6detail15normal_iteratorINSA_10device_ptrIxEEEEPS6_SG_NS0_5tupleIJSF_S6_EEENSH_IJSG_SG_EEES6_PlJNSB_9not_fun_tI7is_evenIxEEEEEE10hipError_tPvRmT3_T4_T5_T6_T7_T9_mT8_P12ihipStream_tbDpT10_ENKUlT_T0_E_clISt17integral_constantIbLb1EES18_EEDaS13_S14_EUlS13_E_NS1_11comp_targetILNS1_3genE8ELNS1_11target_archE1030ELNS1_3gpuE2ELNS1_3repE0EEENS1_30default_config_static_selectorELNS0_4arch9wavefront6targetE0EEEvT1_.has_indirect_call, 0
	.section	.AMDGPU.csdata,"",@progbits
; Kernel info:
; codeLenInByte = 0
; TotalNumSgprs: 0
; NumVgprs: 0
; ScratchSize: 0
; MemoryBound: 0
; FloatMode: 240
; IeeeMode: 1
; LDSByteSize: 0 bytes/workgroup (compile time only)
; SGPRBlocks: 0
; VGPRBlocks: 0
; NumSGPRsForWavesPerEU: 1
; NumVGPRsForWavesPerEU: 1
; Occupancy: 16
; WaveLimiterHint : 0
; COMPUTE_PGM_RSRC2:SCRATCH_EN: 0
; COMPUTE_PGM_RSRC2:USER_SGPR: 2
; COMPUTE_PGM_RSRC2:TRAP_HANDLER: 0
; COMPUTE_PGM_RSRC2:TGID_X_EN: 1
; COMPUTE_PGM_RSRC2:TGID_Y_EN: 0
; COMPUTE_PGM_RSRC2:TGID_Z_EN: 0
; COMPUTE_PGM_RSRC2:TIDIG_COMP_CNT: 0
	.section	.text._ZN7rocprim17ROCPRIM_400000_NS6detail17trampoline_kernelINS0_14default_configENS1_25partition_config_selectorILNS1_17partition_subalgoE6ExNS0_10empty_typeEbEEZZNS1_14partition_implILS5_6ELb0ES3_mN6thrust23THRUST_200600_302600_NS6detail15normal_iteratorINSA_10device_ptrIxEEEEPS6_SG_NS0_5tupleIJSF_S6_EEENSH_IJSG_SG_EEES6_PlJNSB_9not_fun_tI7is_evenIxEEEEEE10hipError_tPvRmT3_T4_T5_T6_T7_T9_mT8_P12ihipStream_tbDpT10_ENKUlT_T0_E_clISt17integral_constantIbLb1EES17_IbLb0EEEEDaS13_S14_EUlS13_E_NS1_11comp_targetILNS1_3genE0ELNS1_11target_archE4294967295ELNS1_3gpuE0ELNS1_3repE0EEENS1_30default_config_static_selectorELNS0_4arch9wavefront6targetE0EEEvT1_,"axG",@progbits,_ZN7rocprim17ROCPRIM_400000_NS6detail17trampoline_kernelINS0_14default_configENS1_25partition_config_selectorILNS1_17partition_subalgoE6ExNS0_10empty_typeEbEEZZNS1_14partition_implILS5_6ELb0ES3_mN6thrust23THRUST_200600_302600_NS6detail15normal_iteratorINSA_10device_ptrIxEEEEPS6_SG_NS0_5tupleIJSF_S6_EEENSH_IJSG_SG_EEES6_PlJNSB_9not_fun_tI7is_evenIxEEEEEE10hipError_tPvRmT3_T4_T5_T6_T7_T9_mT8_P12ihipStream_tbDpT10_ENKUlT_T0_E_clISt17integral_constantIbLb1EES17_IbLb0EEEEDaS13_S14_EUlS13_E_NS1_11comp_targetILNS1_3genE0ELNS1_11target_archE4294967295ELNS1_3gpuE0ELNS1_3repE0EEENS1_30default_config_static_selectorELNS0_4arch9wavefront6targetE0EEEvT1_,comdat
	.protected	_ZN7rocprim17ROCPRIM_400000_NS6detail17trampoline_kernelINS0_14default_configENS1_25partition_config_selectorILNS1_17partition_subalgoE6ExNS0_10empty_typeEbEEZZNS1_14partition_implILS5_6ELb0ES3_mN6thrust23THRUST_200600_302600_NS6detail15normal_iteratorINSA_10device_ptrIxEEEEPS6_SG_NS0_5tupleIJSF_S6_EEENSH_IJSG_SG_EEES6_PlJNSB_9not_fun_tI7is_evenIxEEEEEE10hipError_tPvRmT3_T4_T5_T6_T7_T9_mT8_P12ihipStream_tbDpT10_ENKUlT_T0_E_clISt17integral_constantIbLb1EES17_IbLb0EEEEDaS13_S14_EUlS13_E_NS1_11comp_targetILNS1_3genE0ELNS1_11target_archE4294967295ELNS1_3gpuE0ELNS1_3repE0EEENS1_30default_config_static_selectorELNS0_4arch9wavefront6targetE0EEEvT1_ ; -- Begin function _ZN7rocprim17ROCPRIM_400000_NS6detail17trampoline_kernelINS0_14default_configENS1_25partition_config_selectorILNS1_17partition_subalgoE6ExNS0_10empty_typeEbEEZZNS1_14partition_implILS5_6ELb0ES3_mN6thrust23THRUST_200600_302600_NS6detail15normal_iteratorINSA_10device_ptrIxEEEEPS6_SG_NS0_5tupleIJSF_S6_EEENSH_IJSG_SG_EEES6_PlJNSB_9not_fun_tI7is_evenIxEEEEEE10hipError_tPvRmT3_T4_T5_T6_T7_T9_mT8_P12ihipStream_tbDpT10_ENKUlT_T0_E_clISt17integral_constantIbLb1EES17_IbLb0EEEEDaS13_S14_EUlS13_E_NS1_11comp_targetILNS1_3genE0ELNS1_11target_archE4294967295ELNS1_3gpuE0ELNS1_3repE0EEENS1_30default_config_static_selectorELNS0_4arch9wavefront6targetE0EEEvT1_
	.globl	_ZN7rocprim17ROCPRIM_400000_NS6detail17trampoline_kernelINS0_14default_configENS1_25partition_config_selectorILNS1_17partition_subalgoE6ExNS0_10empty_typeEbEEZZNS1_14partition_implILS5_6ELb0ES3_mN6thrust23THRUST_200600_302600_NS6detail15normal_iteratorINSA_10device_ptrIxEEEEPS6_SG_NS0_5tupleIJSF_S6_EEENSH_IJSG_SG_EEES6_PlJNSB_9not_fun_tI7is_evenIxEEEEEE10hipError_tPvRmT3_T4_T5_T6_T7_T9_mT8_P12ihipStream_tbDpT10_ENKUlT_T0_E_clISt17integral_constantIbLb1EES17_IbLb0EEEEDaS13_S14_EUlS13_E_NS1_11comp_targetILNS1_3genE0ELNS1_11target_archE4294967295ELNS1_3gpuE0ELNS1_3repE0EEENS1_30default_config_static_selectorELNS0_4arch9wavefront6targetE0EEEvT1_
	.p2align	8
	.type	_ZN7rocprim17ROCPRIM_400000_NS6detail17trampoline_kernelINS0_14default_configENS1_25partition_config_selectorILNS1_17partition_subalgoE6ExNS0_10empty_typeEbEEZZNS1_14partition_implILS5_6ELb0ES3_mN6thrust23THRUST_200600_302600_NS6detail15normal_iteratorINSA_10device_ptrIxEEEEPS6_SG_NS0_5tupleIJSF_S6_EEENSH_IJSG_SG_EEES6_PlJNSB_9not_fun_tI7is_evenIxEEEEEE10hipError_tPvRmT3_T4_T5_T6_T7_T9_mT8_P12ihipStream_tbDpT10_ENKUlT_T0_E_clISt17integral_constantIbLb1EES17_IbLb0EEEEDaS13_S14_EUlS13_E_NS1_11comp_targetILNS1_3genE0ELNS1_11target_archE4294967295ELNS1_3gpuE0ELNS1_3repE0EEENS1_30default_config_static_selectorELNS0_4arch9wavefront6targetE0EEEvT1_,@function
_ZN7rocprim17ROCPRIM_400000_NS6detail17trampoline_kernelINS0_14default_configENS1_25partition_config_selectorILNS1_17partition_subalgoE6ExNS0_10empty_typeEbEEZZNS1_14partition_implILS5_6ELb0ES3_mN6thrust23THRUST_200600_302600_NS6detail15normal_iteratorINSA_10device_ptrIxEEEEPS6_SG_NS0_5tupleIJSF_S6_EEENSH_IJSG_SG_EEES6_PlJNSB_9not_fun_tI7is_evenIxEEEEEE10hipError_tPvRmT3_T4_T5_T6_T7_T9_mT8_P12ihipStream_tbDpT10_ENKUlT_T0_E_clISt17integral_constantIbLb1EES17_IbLb0EEEEDaS13_S14_EUlS13_E_NS1_11comp_targetILNS1_3genE0ELNS1_11target_archE4294967295ELNS1_3gpuE0ELNS1_3repE0EEENS1_30default_config_static_selectorELNS0_4arch9wavefront6targetE0EEEvT1_: ; @_ZN7rocprim17ROCPRIM_400000_NS6detail17trampoline_kernelINS0_14default_configENS1_25partition_config_selectorILNS1_17partition_subalgoE6ExNS0_10empty_typeEbEEZZNS1_14partition_implILS5_6ELb0ES3_mN6thrust23THRUST_200600_302600_NS6detail15normal_iteratorINSA_10device_ptrIxEEEEPS6_SG_NS0_5tupleIJSF_S6_EEENSH_IJSG_SG_EEES6_PlJNSB_9not_fun_tI7is_evenIxEEEEEE10hipError_tPvRmT3_T4_T5_T6_T7_T9_mT8_P12ihipStream_tbDpT10_ENKUlT_T0_E_clISt17integral_constantIbLb1EES17_IbLb0EEEEDaS13_S14_EUlS13_E_NS1_11comp_targetILNS1_3genE0ELNS1_11target_archE4294967295ELNS1_3gpuE0ELNS1_3repE0EEENS1_30default_config_static_selectorELNS0_4arch9wavefront6targetE0EEEvT1_
; %bb.0:
	.section	.rodata,"a",@progbits
	.p2align	6, 0x0
	.amdhsa_kernel _ZN7rocprim17ROCPRIM_400000_NS6detail17trampoline_kernelINS0_14default_configENS1_25partition_config_selectorILNS1_17partition_subalgoE6ExNS0_10empty_typeEbEEZZNS1_14partition_implILS5_6ELb0ES3_mN6thrust23THRUST_200600_302600_NS6detail15normal_iteratorINSA_10device_ptrIxEEEEPS6_SG_NS0_5tupleIJSF_S6_EEENSH_IJSG_SG_EEES6_PlJNSB_9not_fun_tI7is_evenIxEEEEEE10hipError_tPvRmT3_T4_T5_T6_T7_T9_mT8_P12ihipStream_tbDpT10_ENKUlT_T0_E_clISt17integral_constantIbLb1EES17_IbLb0EEEEDaS13_S14_EUlS13_E_NS1_11comp_targetILNS1_3genE0ELNS1_11target_archE4294967295ELNS1_3gpuE0ELNS1_3repE0EEENS1_30default_config_static_selectorELNS0_4arch9wavefront6targetE0EEEvT1_
		.amdhsa_group_segment_fixed_size 0
		.amdhsa_private_segment_fixed_size 0
		.amdhsa_kernarg_size 112
		.amdhsa_user_sgpr_count 2
		.amdhsa_user_sgpr_dispatch_ptr 0
		.amdhsa_user_sgpr_queue_ptr 0
		.amdhsa_user_sgpr_kernarg_segment_ptr 1
		.amdhsa_user_sgpr_dispatch_id 0
		.amdhsa_user_sgpr_private_segment_size 0
		.amdhsa_wavefront_size32 1
		.amdhsa_uses_dynamic_stack 0
		.amdhsa_enable_private_segment 0
		.amdhsa_system_sgpr_workgroup_id_x 1
		.amdhsa_system_sgpr_workgroup_id_y 0
		.amdhsa_system_sgpr_workgroup_id_z 0
		.amdhsa_system_sgpr_workgroup_info 0
		.amdhsa_system_vgpr_workitem_id 0
		.amdhsa_next_free_vgpr 1
		.amdhsa_next_free_sgpr 1
		.amdhsa_reserve_vcc 0
		.amdhsa_float_round_mode_32 0
		.amdhsa_float_round_mode_16_64 0
		.amdhsa_float_denorm_mode_32 3
		.amdhsa_float_denorm_mode_16_64 3
		.amdhsa_fp16_overflow 0
		.amdhsa_workgroup_processor_mode 1
		.amdhsa_memory_ordered 1
		.amdhsa_forward_progress 1
		.amdhsa_inst_pref_size 0
		.amdhsa_round_robin_scheduling 0
		.amdhsa_exception_fp_ieee_invalid_op 0
		.amdhsa_exception_fp_denorm_src 0
		.amdhsa_exception_fp_ieee_div_zero 0
		.amdhsa_exception_fp_ieee_overflow 0
		.amdhsa_exception_fp_ieee_underflow 0
		.amdhsa_exception_fp_ieee_inexact 0
		.amdhsa_exception_int_div_zero 0
	.end_amdhsa_kernel
	.section	.text._ZN7rocprim17ROCPRIM_400000_NS6detail17trampoline_kernelINS0_14default_configENS1_25partition_config_selectorILNS1_17partition_subalgoE6ExNS0_10empty_typeEbEEZZNS1_14partition_implILS5_6ELb0ES3_mN6thrust23THRUST_200600_302600_NS6detail15normal_iteratorINSA_10device_ptrIxEEEEPS6_SG_NS0_5tupleIJSF_S6_EEENSH_IJSG_SG_EEES6_PlJNSB_9not_fun_tI7is_evenIxEEEEEE10hipError_tPvRmT3_T4_T5_T6_T7_T9_mT8_P12ihipStream_tbDpT10_ENKUlT_T0_E_clISt17integral_constantIbLb1EES17_IbLb0EEEEDaS13_S14_EUlS13_E_NS1_11comp_targetILNS1_3genE0ELNS1_11target_archE4294967295ELNS1_3gpuE0ELNS1_3repE0EEENS1_30default_config_static_selectorELNS0_4arch9wavefront6targetE0EEEvT1_,"axG",@progbits,_ZN7rocprim17ROCPRIM_400000_NS6detail17trampoline_kernelINS0_14default_configENS1_25partition_config_selectorILNS1_17partition_subalgoE6ExNS0_10empty_typeEbEEZZNS1_14partition_implILS5_6ELb0ES3_mN6thrust23THRUST_200600_302600_NS6detail15normal_iteratorINSA_10device_ptrIxEEEEPS6_SG_NS0_5tupleIJSF_S6_EEENSH_IJSG_SG_EEES6_PlJNSB_9not_fun_tI7is_evenIxEEEEEE10hipError_tPvRmT3_T4_T5_T6_T7_T9_mT8_P12ihipStream_tbDpT10_ENKUlT_T0_E_clISt17integral_constantIbLb1EES17_IbLb0EEEEDaS13_S14_EUlS13_E_NS1_11comp_targetILNS1_3genE0ELNS1_11target_archE4294967295ELNS1_3gpuE0ELNS1_3repE0EEENS1_30default_config_static_selectorELNS0_4arch9wavefront6targetE0EEEvT1_,comdat
.Lfunc_end709:
	.size	_ZN7rocprim17ROCPRIM_400000_NS6detail17trampoline_kernelINS0_14default_configENS1_25partition_config_selectorILNS1_17partition_subalgoE6ExNS0_10empty_typeEbEEZZNS1_14partition_implILS5_6ELb0ES3_mN6thrust23THRUST_200600_302600_NS6detail15normal_iteratorINSA_10device_ptrIxEEEEPS6_SG_NS0_5tupleIJSF_S6_EEENSH_IJSG_SG_EEES6_PlJNSB_9not_fun_tI7is_evenIxEEEEEE10hipError_tPvRmT3_T4_T5_T6_T7_T9_mT8_P12ihipStream_tbDpT10_ENKUlT_T0_E_clISt17integral_constantIbLb1EES17_IbLb0EEEEDaS13_S14_EUlS13_E_NS1_11comp_targetILNS1_3genE0ELNS1_11target_archE4294967295ELNS1_3gpuE0ELNS1_3repE0EEENS1_30default_config_static_selectorELNS0_4arch9wavefront6targetE0EEEvT1_, .Lfunc_end709-_ZN7rocprim17ROCPRIM_400000_NS6detail17trampoline_kernelINS0_14default_configENS1_25partition_config_selectorILNS1_17partition_subalgoE6ExNS0_10empty_typeEbEEZZNS1_14partition_implILS5_6ELb0ES3_mN6thrust23THRUST_200600_302600_NS6detail15normal_iteratorINSA_10device_ptrIxEEEEPS6_SG_NS0_5tupleIJSF_S6_EEENSH_IJSG_SG_EEES6_PlJNSB_9not_fun_tI7is_evenIxEEEEEE10hipError_tPvRmT3_T4_T5_T6_T7_T9_mT8_P12ihipStream_tbDpT10_ENKUlT_T0_E_clISt17integral_constantIbLb1EES17_IbLb0EEEEDaS13_S14_EUlS13_E_NS1_11comp_targetILNS1_3genE0ELNS1_11target_archE4294967295ELNS1_3gpuE0ELNS1_3repE0EEENS1_30default_config_static_selectorELNS0_4arch9wavefront6targetE0EEEvT1_
                                        ; -- End function
	.set _ZN7rocprim17ROCPRIM_400000_NS6detail17trampoline_kernelINS0_14default_configENS1_25partition_config_selectorILNS1_17partition_subalgoE6ExNS0_10empty_typeEbEEZZNS1_14partition_implILS5_6ELb0ES3_mN6thrust23THRUST_200600_302600_NS6detail15normal_iteratorINSA_10device_ptrIxEEEEPS6_SG_NS0_5tupleIJSF_S6_EEENSH_IJSG_SG_EEES6_PlJNSB_9not_fun_tI7is_evenIxEEEEEE10hipError_tPvRmT3_T4_T5_T6_T7_T9_mT8_P12ihipStream_tbDpT10_ENKUlT_T0_E_clISt17integral_constantIbLb1EES17_IbLb0EEEEDaS13_S14_EUlS13_E_NS1_11comp_targetILNS1_3genE0ELNS1_11target_archE4294967295ELNS1_3gpuE0ELNS1_3repE0EEENS1_30default_config_static_selectorELNS0_4arch9wavefront6targetE0EEEvT1_.num_vgpr, 0
	.set _ZN7rocprim17ROCPRIM_400000_NS6detail17trampoline_kernelINS0_14default_configENS1_25partition_config_selectorILNS1_17partition_subalgoE6ExNS0_10empty_typeEbEEZZNS1_14partition_implILS5_6ELb0ES3_mN6thrust23THRUST_200600_302600_NS6detail15normal_iteratorINSA_10device_ptrIxEEEEPS6_SG_NS0_5tupleIJSF_S6_EEENSH_IJSG_SG_EEES6_PlJNSB_9not_fun_tI7is_evenIxEEEEEE10hipError_tPvRmT3_T4_T5_T6_T7_T9_mT8_P12ihipStream_tbDpT10_ENKUlT_T0_E_clISt17integral_constantIbLb1EES17_IbLb0EEEEDaS13_S14_EUlS13_E_NS1_11comp_targetILNS1_3genE0ELNS1_11target_archE4294967295ELNS1_3gpuE0ELNS1_3repE0EEENS1_30default_config_static_selectorELNS0_4arch9wavefront6targetE0EEEvT1_.num_agpr, 0
	.set _ZN7rocprim17ROCPRIM_400000_NS6detail17trampoline_kernelINS0_14default_configENS1_25partition_config_selectorILNS1_17partition_subalgoE6ExNS0_10empty_typeEbEEZZNS1_14partition_implILS5_6ELb0ES3_mN6thrust23THRUST_200600_302600_NS6detail15normal_iteratorINSA_10device_ptrIxEEEEPS6_SG_NS0_5tupleIJSF_S6_EEENSH_IJSG_SG_EEES6_PlJNSB_9not_fun_tI7is_evenIxEEEEEE10hipError_tPvRmT3_T4_T5_T6_T7_T9_mT8_P12ihipStream_tbDpT10_ENKUlT_T0_E_clISt17integral_constantIbLb1EES17_IbLb0EEEEDaS13_S14_EUlS13_E_NS1_11comp_targetILNS1_3genE0ELNS1_11target_archE4294967295ELNS1_3gpuE0ELNS1_3repE0EEENS1_30default_config_static_selectorELNS0_4arch9wavefront6targetE0EEEvT1_.numbered_sgpr, 0
	.set _ZN7rocprim17ROCPRIM_400000_NS6detail17trampoline_kernelINS0_14default_configENS1_25partition_config_selectorILNS1_17partition_subalgoE6ExNS0_10empty_typeEbEEZZNS1_14partition_implILS5_6ELb0ES3_mN6thrust23THRUST_200600_302600_NS6detail15normal_iteratorINSA_10device_ptrIxEEEEPS6_SG_NS0_5tupleIJSF_S6_EEENSH_IJSG_SG_EEES6_PlJNSB_9not_fun_tI7is_evenIxEEEEEE10hipError_tPvRmT3_T4_T5_T6_T7_T9_mT8_P12ihipStream_tbDpT10_ENKUlT_T0_E_clISt17integral_constantIbLb1EES17_IbLb0EEEEDaS13_S14_EUlS13_E_NS1_11comp_targetILNS1_3genE0ELNS1_11target_archE4294967295ELNS1_3gpuE0ELNS1_3repE0EEENS1_30default_config_static_selectorELNS0_4arch9wavefront6targetE0EEEvT1_.num_named_barrier, 0
	.set _ZN7rocprim17ROCPRIM_400000_NS6detail17trampoline_kernelINS0_14default_configENS1_25partition_config_selectorILNS1_17partition_subalgoE6ExNS0_10empty_typeEbEEZZNS1_14partition_implILS5_6ELb0ES3_mN6thrust23THRUST_200600_302600_NS6detail15normal_iteratorINSA_10device_ptrIxEEEEPS6_SG_NS0_5tupleIJSF_S6_EEENSH_IJSG_SG_EEES6_PlJNSB_9not_fun_tI7is_evenIxEEEEEE10hipError_tPvRmT3_T4_T5_T6_T7_T9_mT8_P12ihipStream_tbDpT10_ENKUlT_T0_E_clISt17integral_constantIbLb1EES17_IbLb0EEEEDaS13_S14_EUlS13_E_NS1_11comp_targetILNS1_3genE0ELNS1_11target_archE4294967295ELNS1_3gpuE0ELNS1_3repE0EEENS1_30default_config_static_selectorELNS0_4arch9wavefront6targetE0EEEvT1_.private_seg_size, 0
	.set _ZN7rocprim17ROCPRIM_400000_NS6detail17trampoline_kernelINS0_14default_configENS1_25partition_config_selectorILNS1_17partition_subalgoE6ExNS0_10empty_typeEbEEZZNS1_14partition_implILS5_6ELb0ES3_mN6thrust23THRUST_200600_302600_NS6detail15normal_iteratorINSA_10device_ptrIxEEEEPS6_SG_NS0_5tupleIJSF_S6_EEENSH_IJSG_SG_EEES6_PlJNSB_9not_fun_tI7is_evenIxEEEEEE10hipError_tPvRmT3_T4_T5_T6_T7_T9_mT8_P12ihipStream_tbDpT10_ENKUlT_T0_E_clISt17integral_constantIbLb1EES17_IbLb0EEEEDaS13_S14_EUlS13_E_NS1_11comp_targetILNS1_3genE0ELNS1_11target_archE4294967295ELNS1_3gpuE0ELNS1_3repE0EEENS1_30default_config_static_selectorELNS0_4arch9wavefront6targetE0EEEvT1_.uses_vcc, 0
	.set _ZN7rocprim17ROCPRIM_400000_NS6detail17trampoline_kernelINS0_14default_configENS1_25partition_config_selectorILNS1_17partition_subalgoE6ExNS0_10empty_typeEbEEZZNS1_14partition_implILS5_6ELb0ES3_mN6thrust23THRUST_200600_302600_NS6detail15normal_iteratorINSA_10device_ptrIxEEEEPS6_SG_NS0_5tupleIJSF_S6_EEENSH_IJSG_SG_EEES6_PlJNSB_9not_fun_tI7is_evenIxEEEEEE10hipError_tPvRmT3_T4_T5_T6_T7_T9_mT8_P12ihipStream_tbDpT10_ENKUlT_T0_E_clISt17integral_constantIbLb1EES17_IbLb0EEEEDaS13_S14_EUlS13_E_NS1_11comp_targetILNS1_3genE0ELNS1_11target_archE4294967295ELNS1_3gpuE0ELNS1_3repE0EEENS1_30default_config_static_selectorELNS0_4arch9wavefront6targetE0EEEvT1_.uses_flat_scratch, 0
	.set _ZN7rocprim17ROCPRIM_400000_NS6detail17trampoline_kernelINS0_14default_configENS1_25partition_config_selectorILNS1_17partition_subalgoE6ExNS0_10empty_typeEbEEZZNS1_14partition_implILS5_6ELb0ES3_mN6thrust23THRUST_200600_302600_NS6detail15normal_iteratorINSA_10device_ptrIxEEEEPS6_SG_NS0_5tupleIJSF_S6_EEENSH_IJSG_SG_EEES6_PlJNSB_9not_fun_tI7is_evenIxEEEEEE10hipError_tPvRmT3_T4_T5_T6_T7_T9_mT8_P12ihipStream_tbDpT10_ENKUlT_T0_E_clISt17integral_constantIbLb1EES17_IbLb0EEEEDaS13_S14_EUlS13_E_NS1_11comp_targetILNS1_3genE0ELNS1_11target_archE4294967295ELNS1_3gpuE0ELNS1_3repE0EEENS1_30default_config_static_selectorELNS0_4arch9wavefront6targetE0EEEvT1_.has_dyn_sized_stack, 0
	.set _ZN7rocprim17ROCPRIM_400000_NS6detail17trampoline_kernelINS0_14default_configENS1_25partition_config_selectorILNS1_17partition_subalgoE6ExNS0_10empty_typeEbEEZZNS1_14partition_implILS5_6ELb0ES3_mN6thrust23THRUST_200600_302600_NS6detail15normal_iteratorINSA_10device_ptrIxEEEEPS6_SG_NS0_5tupleIJSF_S6_EEENSH_IJSG_SG_EEES6_PlJNSB_9not_fun_tI7is_evenIxEEEEEE10hipError_tPvRmT3_T4_T5_T6_T7_T9_mT8_P12ihipStream_tbDpT10_ENKUlT_T0_E_clISt17integral_constantIbLb1EES17_IbLb0EEEEDaS13_S14_EUlS13_E_NS1_11comp_targetILNS1_3genE0ELNS1_11target_archE4294967295ELNS1_3gpuE0ELNS1_3repE0EEENS1_30default_config_static_selectorELNS0_4arch9wavefront6targetE0EEEvT1_.has_recursion, 0
	.set _ZN7rocprim17ROCPRIM_400000_NS6detail17trampoline_kernelINS0_14default_configENS1_25partition_config_selectorILNS1_17partition_subalgoE6ExNS0_10empty_typeEbEEZZNS1_14partition_implILS5_6ELb0ES3_mN6thrust23THRUST_200600_302600_NS6detail15normal_iteratorINSA_10device_ptrIxEEEEPS6_SG_NS0_5tupleIJSF_S6_EEENSH_IJSG_SG_EEES6_PlJNSB_9not_fun_tI7is_evenIxEEEEEE10hipError_tPvRmT3_T4_T5_T6_T7_T9_mT8_P12ihipStream_tbDpT10_ENKUlT_T0_E_clISt17integral_constantIbLb1EES17_IbLb0EEEEDaS13_S14_EUlS13_E_NS1_11comp_targetILNS1_3genE0ELNS1_11target_archE4294967295ELNS1_3gpuE0ELNS1_3repE0EEENS1_30default_config_static_selectorELNS0_4arch9wavefront6targetE0EEEvT1_.has_indirect_call, 0
	.section	.AMDGPU.csdata,"",@progbits
; Kernel info:
; codeLenInByte = 0
; TotalNumSgprs: 0
; NumVgprs: 0
; ScratchSize: 0
; MemoryBound: 0
; FloatMode: 240
; IeeeMode: 1
; LDSByteSize: 0 bytes/workgroup (compile time only)
; SGPRBlocks: 0
; VGPRBlocks: 0
; NumSGPRsForWavesPerEU: 1
; NumVGPRsForWavesPerEU: 1
; Occupancy: 16
; WaveLimiterHint : 0
; COMPUTE_PGM_RSRC2:SCRATCH_EN: 0
; COMPUTE_PGM_RSRC2:USER_SGPR: 2
; COMPUTE_PGM_RSRC2:TRAP_HANDLER: 0
; COMPUTE_PGM_RSRC2:TGID_X_EN: 1
; COMPUTE_PGM_RSRC2:TGID_Y_EN: 0
; COMPUTE_PGM_RSRC2:TGID_Z_EN: 0
; COMPUTE_PGM_RSRC2:TIDIG_COMP_CNT: 0
	.section	.text._ZN7rocprim17ROCPRIM_400000_NS6detail17trampoline_kernelINS0_14default_configENS1_25partition_config_selectorILNS1_17partition_subalgoE6ExNS0_10empty_typeEbEEZZNS1_14partition_implILS5_6ELb0ES3_mN6thrust23THRUST_200600_302600_NS6detail15normal_iteratorINSA_10device_ptrIxEEEEPS6_SG_NS0_5tupleIJSF_S6_EEENSH_IJSG_SG_EEES6_PlJNSB_9not_fun_tI7is_evenIxEEEEEE10hipError_tPvRmT3_T4_T5_T6_T7_T9_mT8_P12ihipStream_tbDpT10_ENKUlT_T0_E_clISt17integral_constantIbLb1EES17_IbLb0EEEEDaS13_S14_EUlS13_E_NS1_11comp_targetILNS1_3genE5ELNS1_11target_archE942ELNS1_3gpuE9ELNS1_3repE0EEENS1_30default_config_static_selectorELNS0_4arch9wavefront6targetE0EEEvT1_,"axG",@progbits,_ZN7rocprim17ROCPRIM_400000_NS6detail17trampoline_kernelINS0_14default_configENS1_25partition_config_selectorILNS1_17partition_subalgoE6ExNS0_10empty_typeEbEEZZNS1_14partition_implILS5_6ELb0ES3_mN6thrust23THRUST_200600_302600_NS6detail15normal_iteratorINSA_10device_ptrIxEEEEPS6_SG_NS0_5tupleIJSF_S6_EEENSH_IJSG_SG_EEES6_PlJNSB_9not_fun_tI7is_evenIxEEEEEE10hipError_tPvRmT3_T4_T5_T6_T7_T9_mT8_P12ihipStream_tbDpT10_ENKUlT_T0_E_clISt17integral_constantIbLb1EES17_IbLb0EEEEDaS13_S14_EUlS13_E_NS1_11comp_targetILNS1_3genE5ELNS1_11target_archE942ELNS1_3gpuE9ELNS1_3repE0EEENS1_30default_config_static_selectorELNS0_4arch9wavefront6targetE0EEEvT1_,comdat
	.protected	_ZN7rocprim17ROCPRIM_400000_NS6detail17trampoline_kernelINS0_14default_configENS1_25partition_config_selectorILNS1_17partition_subalgoE6ExNS0_10empty_typeEbEEZZNS1_14partition_implILS5_6ELb0ES3_mN6thrust23THRUST_200600_302600_NS6detail15normal_iteratorINSA_10device_ptrIxEEEEPS6_SG_NS0_5tupleIJSF_S6_EEENSH_IJSG_SG_EEES6_PlJNSB_9not_fun_tI7is_evenIxEEEEEE10hipError_tPvRmT3_T4_T5_T6_T7_T9_mT8_P12ihipStream_tbDpT10_ENKUlT_T0_E_clISt17integral_constantIbLb1EES17_IbLb0EEEEDaS13_S14_EUlS13_E_NS1_11comp_targetILNS1_3genE5ELNS1_11target_archE942ELNS1_3gpuE9ELNS1_3repE0EEENS1_30default_config_static_selectorELNS0_4arch9wavefront6targetE0EEEvT1_ ; -- Begin function _ZN7rocprim17ROCPRIM_400000_NS6detail17trampoline_kernelINS0_14default_configENS1_25partition_config_selectorILNS1_17partition_subalgoE6ExNS0_10empty_typeEbEEZZNS1_14partition_implILS5_6ELb0ES3_mN6thrust23THRUST_200600_302600_NS6detail15normal_iteratorINSA_10device_ptrIxEEEEPS6_SG_NS0_5tupleIJSF_S6_EEENSH_IJSG_SG_EEES6_PlJNSB_9not_fun_tI7is_evenIxEEEEEE10hipError_tPvRmT3_T4_T5_T6_T7_T9_mT8_P12ihipStream_tbDpT10_ENKUlT_T0_E_clISt17integral_constantIbLb1EES17_IbLb0EEEEDaS13_S14_EUlS13_E_NS1_11comp_targetILNS1_3genE5ELNS1_11target_archE942ELNS1_3gpuE9ELNS1_3repE0EEENS1_30default_config_static_selectorELNS0_4arch9wavefront6targetE0EEEvT1_
	.globl	_ZN7rocprim17ROCPRIM_400000_NS6detail17trampoline_kernelINS0_14default_configENS1_25partition_config_selectorILNS1_17partition_subalgoE6ExNS0_10empty_typeEbEEZZNS1_14partition_implILS5_6ELb0ES3_mN6thrust23THRUST_200600_302600_NS6detail15normal_iteratorINSA_10device_ptrIxEEEEPS6_SG_NS0_5tupleIJSF_S6_EEENSH_IJSG_SG_EEES6_PlJNSB_9not_fun_tI7is_evenIxEEEEEE10hipError_tPvRmT3_T4_T5_T6_T7_T9_mT8_P12ihipStream_tbDpT10_ENKUlT_T0_E_clISt17integral_constantIbLb1EES17_IbLb0EEEEDaS13_S14_EUlS13_E_NS1_11comp_targetILNS1_3genE5ELNS1_11target_archE942ELNS1_3gpuE9ELNS1_3repE0EEENS1_30default_config_static_selectorELNS0_4arch9wavefront6targetE0EEEvT1_
	.p2align	8
	.type	_ZN7rocprim17ROCPRIM_400000_NS6detail17trampoline_kernelINS0_14default_configENS1_25partition_config_selectorILNS1_17partition_subalgoE6ExNS0_10empty_typeEbEEZZNS1_14partition_implILS5_6ELb0ES3_mN6thrust23THRUST_200600_302600_NS6detail15normal_iteratorINSA_10device_ptrIxEEEEPS6_SG_NS0_5tupleIJSF_S6_EEENSH_IJSG_SG_EEES6_PlJNSB_9not_fun_tI7is_evenIxEEEEEE10hipError_tPvRmT3_T4_T5_T6_T7_T9_mT8_P12ihipStream_tbDpT10_ENKUlT_T0_E_clISt17integral_constantIbLb1EES17_IbLb0EEEEDaS13_S14_EUlS13_E_NS1_11comp_targetILNS1_3genE5ELNS1_11target_archE942ELNS1_3gpuE9ELNS1_3repE0EEENS1_30default_config_static_selectorELNS0_4arch9wavefront6targetE0EEEvT1_,@function
_ZN7rocprim17ROCPRIM_400000_NS6detail17trampoline_kernelINS0_14default_configENS1_25partition_config_selectorILNS1_17partition_subalgoE6ExNS0_10empty_typeEbEEZZNS1_14partition_implILS5_6ELb0ES3_mN6thrust23THRUST_200600_302600_NS6detail15normal_iteratorINSA_10device_ptrIxEEEEPS6_SG_NS0_5tupleIJSF_S6_EEENSH_IJSG_SG_EEES6_PlJNSB_9not_fun_tI7is_evenIxEEEEEE10hipError_tPvRmT3_T4_T5_T6_T7_T9_mT8_P12ihipStream_tbDpT10_ENKUlT_T0_E_clISt17integral_constantIbLb1EES17_IbLb0EEEEDaS13_S14_EUlS13_E_NS1_11comp_targetILNS1_3genE5ELNS1_11target_archE942ELNS1_3gpuE9ELNS1_3repE0EEENS1_30default_config_static_selectorELNS0_4arch9wavefront6targetE0EEEvT1_: ; @_ZN7rocprim17ROCPRIM_400000_NS6detail17trampoline_kernelINS0_14default_configENS1_25partition_config_selectorILNS1_17partition_subalgoE6ExNS0_10empty_typeEbEEZZNS1_14partition_implILS5_6ELb0ES3_mN6thrust23THRUST_200600_302600_NS6detail15normal_iteratorINSA_10device_ptrIxEEEEPS6_SG_NS0_5tupleIJSF_S6_EEENSH_IJSG_SG_EEES6_PlJNSB_9not_fun_tI7is_evenIxEEEEEE10hipError_tPvRmT3_T4_T5_T6_T7_T9_mT8_P12ihipStream_tbDpT10_ENKUlT_T0_E_clISt17integral_constantIbLb1EES17_IbLb0EEEEDaS13_S14_EUlS13_E_NS1_11comp_targetILNS1_3genE5ELNS1_11target_archE942ELNS1_3gpuE9ELNS1_3repE0EEENS1_30default_config_static_selectorELNS0_4arch9wavefront6targetE0EEEvT1_
; %bb.0:
	.section	.rodata,"a",@progbits
	.p2align	6, 0x0
	.amdhsa_kernel _ZN7rocprim17ROCPRIM_400000_NS6detail17trampoline_kernelINS0_14default_configENS1_25partition_config_selectorILNS1_17partition_subalgoE6ExNS0_10empty_typeEbEEZZNS1_14partition_implILS5_6ELb0ES3_mN6thrust23THRUST_200600_302600_NS6detail15normal_iteratorINSA_10device_ptrIxEEEEPS6_SG_NS0_5tupleIJSF_S6_EEENSH_IJSG_SG_EEES6_PlJNSB_9not_fun_tI7is_evenIxEEEEEE10hipError_tPvRmT3_T4_T5_T6_T7_T9_mT8_P12ihipStream_tbDpT10_ENKUlT_T0_E_clISt17integral_constantIbLb1EES17_IbLb0EEEEDaS13_S14_EUlS13_E_NS1_11comp_targetILNS1_3genE5ELNS1_11target_archE942ELNS1_3gpuE9ELNS1_3repE0EEENS1_30default_config_static_selectorELNS0_4arch9wavefront6targetE0EEEvT1_
		.amdhsa_group_segment_fixed_size 0
		.amdhsa_private_segment_fixed_size 0
		.amdhsa_kernarg_size 112
		.amdhsa_user_sgpr_count 2
		.amdhsa_user_sgpr_dispatch_ptr 0
		.amdhsa_user_sgpr_queue_ptr 0
		.amdhsa_user_sgpr_kernarg_segment_ptr 1
		.amdhsa_user_sgpr_dispatch_id 0
		.amdhsa_user_sgpr_private_segment_size 0
		.amdhsa_wavefront_size32 1
		.amdhsa_uses_dynamic_stack 0
		.amdhsa_enable_private_segment 0
		.amdhsa_system_sgpr_workgroup_id_x 1
		.amdhsa_system_sgpr_workgroup_id_y 0
		.amdhsa_system_sgpr_workgroup_id_z 0
		.amdhsa_system_sgpr_workgroup_info 0
		.amdhsa_system_vgpr_workitem_id 0
		.amdhsa_next_free_vgpr 1
		.amdhsa_next_free_sgpr 1
		.amdhsa_reserve_vcc 0
		.amdhsa_float_round_mode_32 0
		.amdhsa_float_round_mode_16_64 0
		.amdhsa_float_denorm_mode_32 3
		.amdhsa_float_denorm_mode_16_64 3
		.amdhsa_fp16_overflow 0
		.amdhsa_workgroup_processor_mode 1
		.amdhsa_memory_ordered 1
		.amdhsa_forward_progress 1
		.amdhsa_inst_pref_size 0
		.amdhsa_round_robin_scheduling 0
		.amdhsa_exception_fp_ieee_invalid_op 0
		.amdhsa_exception_fp_denorm_src 0
		.amdhsa_exception_fp_ieee_div_zero 0
		.amdhsa_exception_fp_ieee_overflow 0
		.amdhsa_exception_fp_ieee_underflow 0
		.amdhsa_exception_fp_ieee_inexact 0
		.amdhsa_exception_int_div_zero 0
	.end_amdhsa_kernel
	.section	.text._ZN7rocprim17ROCPRIM_400000_NS6detail17trampoline_kernelINS0_14default_configENS1_25partition_config_selectorILNS1_17partition_subalgoE6ExNS0_10empty_typeEbEEZZNS1_14partition_implILS5_6ELb0ES3_mN6thrust23THRUST_200600_302600_NS6detail15normal_iteratorINSA_10device_ptrIxEEEEPS6_SG_NS0_5tupleIJSF_S6_EEENSH_IJSG_SG_EEES6_PlJNSB_9not_fun_tI7is_evenIxEEEEEE10hipError_tPvRmT3_T4_T5_T6_T7_T9_mT8_P12ihipStream_tbDpT10_ENKUlT_T0_E_clISt17integral_constantIbLb1EES17_IbLb0EEEEDaS13_S14_EUlS13_E_NS1_11comp_targetILNS1_3genE5ELNS1_11target_archE942ELNS1_3gpuE9ELNS1_3repE0EEENS1_30default_config_static_selectorELNS0_4arch9wavefront6targetE0EEEvT1_,"axG",@progbits,_ZN7rocprim17ROCPRIM_400000_NS6detail17trampoline_kernelINS0_14default_configENS1_25partition_config_selectorILNS1_17partition_subalgoE6ExNS0_10empty_typeEbEEZZNS1_14partition_implILS5_6ELb0ES3_mN6thrust23THRUST_200600_302600_NS6detail15normal_iteratorINSA_10device_ptrIxEEEEPS6_SG_NS0_5tupleIJSF_S6_EEENSH_IJSG_SG_EEES6_PlJNSB_9not_fun_tI7is_evenIxEEEEEE10hipError_tPvRmT3_T4_T5_T6_T7_T9_mT8_P12ihipStream_tbDpT10_ENKUlT_T0_E_clISt17integral_constantIbLb1EES17_IbLb0EEEEDaS13_S14_EUlS13_E_NS1_11comp_targetILNS1_3genE5ELNS1_11target_archE942ELNS1_3gpuE9ELNS1_3repE0EEENS1_30default_config_static_selectorELNS0_4arch9wavefront6targetE0EEEvT1_,comdat
.Lfunc_end710:
	.size	_ZN7rocprim17ROCPRIM_400000_NS6detail17trampoline_kernelINS0_14default_configENS1_25partition_config_selectorILNS1_17partition_subalgoE6ExNS0_10empty_typeEbEEZZNS1_14partition_implILS5_6ELb0ES3_mN6thrust23THRUST_200600_302600_NS6detail15normal_iteratorINSA_10device_ptrIxEEEEPS6_SG_NS0_5tupleIJSF_S6_EEENSH_IJSG_SG_EEES6_PlJNSB_9not_fun_tI7is_evenIxEEEEEE10hipError_tPvRmT3_T4_T5_T6_T7_T9_mT8_P12ihipStream_tbDpT10_ENKUlT_T0_E_clISt17integral_constantIbLb1EES17_IbLb0EEEEDaS13_S14_EUlS13_E_NS1_11comp_targetILNS1_3genE5ELNS1_11target_archE942ELNS1_3gpuE9ELNS1_3repE0EEENS1_30default_config_static_selectorELNS0_4arch9wavefront6targetE0EEEvT1_, .Lfunc_end710-_ZN7rocprim17ROCPRIM_400000_NS6detail17trampoline_kernelINS0_14default_configENS1_25partition_config_selectorILNS1_17partition_subalgoE6ExNS0_10empty_typeEbEEZZNS1_14partition_implILS5_6ELb0ES3_mN6thrust23THRUST_200600_302600_NS6detail15normal_iteratorINSA_10device_ptrIxEEEEPS6_SG_NS0_5tupleIJSF_S6_EEENSH_IJSG_SG_EEES6_PlJNSB_9not_fun_tI7is_evenIxEEEEEE10hipError_tPvRmT3_T4_T5_T6_T7_T9_mT8_P12ihipStream_tbDpT10_ENKUlT_T0_E_clISt17integral_constantIbLb1EES17_IbLb0EEEEDaS13_S14_EUlS13_E_NS1_11comp_targetILNS1_3genE5ELNS1_11target_archE942ELNS1_3gpuE9ELNS1_3repE0EEENS1_30default_config_static_selectorELNS0_4arch9wavefront6targetE0EEEvT1_
                                        ; -- End function
	.set _ZN7rocprim17ROCPRIM_400000_NS6detail17trampoline_kernelINS0_14default_configENS1_25partition_config_selectorILNS1_17partition_subalgoE6ExNS0_10empty_typeEbEEZZNS1_14partition_implILS5_6ELb0ES3_mN6thrust23THRUST_200600_302600_NS6detail15normal_iteratorINSA_10device_ptrIxEEEEPS6_SG_NS0_5tupleIJSF_S6_EEENSH_IJSG_SG_EEES6_PlJNSB_9not_fun_tI7is_evenIxEEEEEE10hipError_tPvRmT3_T4_T5_T6_T7_T9_mT8_P12ihipStream_tbDpT10_ENKUlT_T0_E_clISt17integral_constantIbLb1EES17_IbLb0EEEEDaS13_S14_EUlS13_E_NS1_11comp_targetILNS1_3genE5ELNS1_11target_archE942ELNS1_3gpuE9ELNS1_3repE0EEENS1_30default_config_static_selectorELNS0_4arch9wavefront6targetE0EEEvT1_.num_vgpr, 0
	.set _ZN7rocprim17ROCPRIM_400000_NS6detail17trampoline_kernelINS0_14default_configENS1_25partition_config_selectorILNS1_17partition_subalgoE6ExNS0_10empty_typeEbEEZZNS1_14partition_implILS5_6ELb0ES3_mN6thrust23THRUST_200600_302600_NS6detail15normal_iteratorINSA_10device_ptrIxEEEEPS6_SG_NS0_5tupleIJSF_S6_EEENSH_IJSG_SG_EEES6_PlJNSB_9not_fun_tI7is_evenIxEEEEEE10hipError_tPvRmT3_T4_T5_T6_T7_T9_mT8_P12ihipStream_tbDpT10_ENKUlT_T0_E_clISt17integral_constantIbLb1EES17_IbLb0EEEEDaS13_S14_EUlS13_E_NS1_11comp_targetILNS1_3genE5ELNS1_11target_archE942ELNS1_3gpuE9ELNS1_3repE0EEENS1_30default_config_static_selectorELNS0_4arch9wavefront6targetE0EEEvT1_.num_agpr, 0
	.set _ZN7rocprim17ROCPRIM_400000_NS6detail17trampoline_kernelINS0_14default_configENS1_25partition_config_selectorILNS1_17partition_subalgoE6ExNS0_10empty_typeEbEEZZNS1_14partition_implILS5_6ELb0ES3_mN6thrust23THRUST_200600_302600_NS6detail15normal_iteratorINSA_10device_ptrIxEEEEPS6_SG_NS0_5tupleIJSF_S6_EEENSH_IJSG_SG_EEES6_PlJNSB_9not_fun_tI7is_evenIxEEEEEE10hipError_tPvRmT3_T4_T5_T6_T7_T9_mT8_P12ihipStream_tbDpT10_ENKUlT_T0_E_clISt17integral_constantIbLb1EES17_IbLb0EEEEDaS13_S14_EUlS13_E_NS1_11comp_targetILNS1_3genE5ELNS1_11target_archE942ELNS1_3gpuE9ELNS1_3repE0EEENS1_30default_config_static_selectorELNS0_4arch9wavefront6targetE0EEEvT1_.numbered_sgpr, 0
	.set _ZN7rocprim17ROCPRIM_400000_NS6detail17trampoline_kernelINS0_14default_configENS1_25partition_config_selectorILNS1_17partition_subalgoE6ExNS0_10empty_typeEbEEZZNS1_14partition_implILS5_6ELb0ES3_mN6thrust23THRUST_200600_302600_NS6detail15normal_iteratorINSA_10device_ptrIxEEEEPS6_SG_NS0_5tupleIJSF_S6_EEENSH_IJSG_SG_EEES6_PlJNSB_9not_fun_tI7is_evenIxEEEEEE10hipError_tPvRmT3_T4_T5_T6_T7_T9_mT8_P12ihipStream_tbDpT10_ENKUlT_T0_E_clISt17integral_constantIbLb1EES17_IbLb0EEEEDaS13_S14_EUlS13_E_NS1_11comp_targetILNS1_3genE5ELNS1_11target_archE942ELNS1_3gpuE9ELNS1_3repE0EEENS1_30default_config_static_selectorELNS0_4arch9wavefront6targetE0EEEvT1_.num_named_barrier, 0
	.set _ZN7rocprim17ROCPRIM_400000_NS6detail17trampoline_kernelINS0_14default_configENS1_25partition_config_selectorILNS1_17partition_subalgoE6ExNS0_10empty_typeEbEEZZNS1_14partition_implILS5_6ELb0ES3_mN6thrust23THRUST_200600_302600_NS6detail15normal_iteratorINSA_10device_ptrIxEEEEPS6_SG_NS0_5tupleIJSF_S6_EEENSH_IJSG_SG_EEES6_PlJNSB_9not_fun_tI7is_evenIxEEEEEE10hipError_tPvRmT3_T4_T5_T6_T7_T9_mT8_P12ihipStream_tbDpT10_ENKUlT_T0_E_clISt17integral_constantIbLb1EES17_IbLb0EEEEDaS13_S14_EUlS13_E_NS1_11comp_targetILNS1_3genE5ELNS1_11target_archE942ELNS1_3gpuE9ELNS1_3repE0EEENS1_30default_config_static_selectorELNS0_4arch9wavefront6targetE0EEEvT1_.private_seg_size, 0
	.set _ZN7rocprim17ROCPRIM_400000_NS6detail17trampoline_kernelINS0_14default_configENS1_25partition_config_selectorILNS1_17partition_subalgoE6ExNS0_10empty_typeEbEEZZNS1_14partition_implILS5_6ELb0ES3_mN6thrust23THRUST_200600_302600_NS6detail15normal_iteratorINSA_10device_ptrIxEEEEPS6_SG_NS0_5tupleIJSF_S6_EEENSH_IJSG_SG_EEES6_PlJNSB_9not_fun_tI7is_evenIxEEEEEE10hipError_tPvRmT3_T4_T5_T6_T7_T9_mT8_P12ihipStream_tbDpT10_ENKUlT_T0_E_clISt17integral_constantIbLb1EES17_IbLb0EEEEDaS13_S14_EUlS13_E_NS1_11comp_targetILNS1_3genE5ELNS1_11target_archE942ELNS1_3gpuE9ELNS1_3repE0EEENS1_30default_config_static_selectorELNS0_4arch9wavefront6targetE0EEEvT1_.uses_vcc, 0
	.set _ZN7rocprim17ROCPRIM_400000_NS6detail17trampoline_kernelINS0_14default_configENS1_25partition_config_selectorILNS1_17partition_subalgoE6ExNS0_10empty_typeEbEEZZNS1_14partition_implILS5_6ELb0ES3_mN6thrust23THRUST_200600_302600_NS6detail15normal_iteratorINSA_10device_ptrIxEEEEPS6_SG_NS0_5tupleIJSF_S6_EEENSH_IJSG_SG_EEES6_PlJNSB_9not_fun_tI7is_evenIxEEEEEE10hipError_tPvRmT3_T4_T5_T6_T7_T9_mT8_P12ihipStream_tbDpT10_ENKUlT_T0_E_clISt17integral_constantIbLb1EES17_IbLb0EEEEDaS13_S14_EUlS13_E_NS1_11comp_targetILNS1_3genE5ELNS1_11target_archE942ELNS1_3gpuE9ELNS1_3repE0EEENS1_30default_config_static_selectorELNS0_4arch9wavefront6targetE0EEEvT1_.uses_flat_scratch, 0
	.set _ZN7rocprim17ROCPRIM_400000_NS6detail17trampoline_kernelINS0_14default_configENS1_25partition_config_selectorILNS1_17partition_subalgoE6ExNS0_10empty_typeEbEEZZNS1_14partition_implILS5_6ELb0ES3_mN6thrust23THRUST_200600_302600_NS6detail15normal_iteratorINSA_10device_ptrIxEEEEPS6_SG_NS0_5tupleIJSF_S6_EEENSH_IJSG_SG_EEES6_PlJNSB_9not_fun_tI7is_evenIxEEEEEE10hipError_tPvRmT3_T4_T5_T6_T7_T9_mT8_P12ihipStream_tbDpT10_ENKUlT_T0_E_clISt17integral_constantIbLb1EES17_IbLb0EEEEDaS13_S14_EUlS13_E_NS1_11comp_targetILNS1_3genE5ELNS1_11target_archE942ELNS1_3gpuE9ELNS1_3repE0EEENS1_30default_config_static_selectorELNS0_4arch9wavefront6targetE0EEEvT1_.has_dyn_sized_stack, 0
	.set _ZN7rocprim17ROCPRIM_400000_NS6detail17trampoline_kernelINS0_14default_configENS1_25partition_config_selectorILNS1_17partition_subalgoE6ExNS0_10empty_typeEbEEZZNS1_14partition_implILS5_6ELb0ES3_mN6thrust23THRUST_200600_302600_NS6detail15normal_iteratorINSA_10device_ptrIxEEEEPS6_SG_NS0_5tupleIJSF_S6_EEENSH_IJSG_SG_EEES6_PlJNSB_9not_fun_tI7is_evenIxEEEEEE10hipError_tPvRmT3_T4_T5_T6_T7_T9_mT8_P12ihipStream_tbDpT10_ENKUlT_T0_E_clISt17integral_constantIbLb1EES17_IbLb0EEEEDaS13_S14_EUlS13_E_NS1_11comp_targetILNS1_3genE5ELNS1_11target_archE942ELNS1_3gpuE9ELNS1_3repE0EEENS1_30default_config_static_selectorELNS0_4arch9wavefront6targetE0EEEvT1_.has_recursion, 0
	.set _ZN7rocprim17ROCPRIM_400000_NS6detail17trampoline_kernelINS0_14default_configENS1_25partition_config_selectorILNS1_17partition_subalgoE6ExNS0_10empty_typeEbEEZZNS1_14partition_implILS5_6ELb0ES3_mN6thrust23THRUST_200600_302600_NS6detail15normal_iteratorINSA_10device_ptrIxEEEEPS6_SG_NS0_5tupleIJSF_S6_EEENSH_IJSG_SG_EEES6_PlJNSB_9not_fun_tI7is_evenIxEEEEEE10hipError_tPvRmT3_T4_T5_T6_T7_T9_mT8_P12ihipStream_tbDpT10_ENKUlT_T0_E_clISt17integral_constantIbLb1EES17_IbLb0EEEEDaS13_S14_EUlS13_E_NS1_11comp_targetILNS1_3genE5ELNS1_11target_archE942ELNS1_3gpuE9ELNS1_3repE0EEENS1_30default_config_static_selectorELNS0_4arch9wavefront6targetE0EEEvT1_.has_indirect_call, 0
	.section	.AMDGPU.csdata,"",@progbits
; Kernel info:
; codeLenInByte = 0
; TotalNumSgprs: 0
; NumVgprs: 0
; ScratchSize: 0
; MemoryBound: 0
; FloatMode: 240
; IeeeMode: 1
; LDSByteSize: 0 bytes/workgroup (compile time only)
; SGPRBlocks: 0
; VGPRBlocks: 0
; NumSGPRsForWavesPerEU: 1
; NumVGPRsForWavesPerEU: 1
; Occupancy: 16
; WaveLimiterHint : 0
; COMPUTE_PGM_RSRC2:SCRATCH_EN: 0
; COMPUTE_PGM_RSRC2:USER_SGPR: 2
; COMPUTE_PGM_RSRC2:TRAP_HANDLER: 0
; COMPUTE_PGM_RSRC2:TGID_X_EN: 1
; COMPUTE_PGM_RSRC2:TGID_Y_EN: 0
; COMPUTE_PGM_RSRC2:TGID_Z_EN: 0
; COMPUTE_PGM_RSRC2:TIDIG_COMP_CNT: 0
	.section	.text._ZN7rocprim17ROCPRIM_400000_NS6detail17trampoline_kernelINS0_14default_configENS1_25partition_config_selectorILNS1_17partition_subalgoE6ExNS0_10empty_typeEbEEZZNS1_14partition_implILS5_6ELb0ES3_mN6thrust23THRUST_200600_302600_NS6detail15normal_iteratorINSA_10device_ptrIxEEEEPS6_SG_NS0_5tupleIJSF_S6_EEENSH_IJSG_SG_EEES6_PlJNSB_9not_fun_tI7is_evenIxEEEEEE10hipError_tPvRmT3_T4_T5_T6_T7_T9_mT8_P12ihipStream_tbDpT10_ENKUlT_T0_E_clISt17integral_constantIbLb1EES17_IbLb0EEEEDaS13_S14_EUlS13_E_NS1_11comp_targetILNS1_3genE4ELNS1_11target_archE910ELNS1_3gpuE8ELNS1_3repE0EEENS1_30default_config_static_selectorELNS0_4arch9wavefront6targetE0EEEvT1_,"axG",@progbits,_ZN7rocprim17ROCPRIM_400000_NS6detail17trampoline_kernelINS0_14default_configENS1_25partition_config_selectorILNS1_17partition_subalgoE6ExNS0_10empty_typeEbEEZZNS1_14partition_implILS5_6ELb0ES3_mN6thrust23THRUST_200600_302600_NS6detail15normal_iteratorINSA_10device_ptrIxEEEEPS6_SG_NS0_5tupleIJSF_S6_EEENSH_IJSG_SG_EEES6_PlJNSB_9not_fun_tI7is_evenIxEEEEEE10hipError_tPvRmT3_T4_T5_T6_T7_T9_mT8_P12ihipStream_tbDpT10_ENKUlT_T0_E_clISt17integral_constantIbLb1EES17_IbLb0EEEEDaS13_S14_EUlS13_E_NS1_11comp_targetILNS1_3genE4ELNS1_11target_archE910ELNS1_3gpuE8ELNS1_3repE0EEENS1_30default_config_static_selectorELNS0_4arch9wavefront6targetE0EEEvT1_,comdat
	.protected	_ZN7rocprim17ROCPRIM_400000_NS6detail17trampoline_kernelINS0_14default_configENS1_25partition_config_selectorILNS1_17partition_subalgoE6ExNS0_10empty_typeEbEEZZNS1_14partition_implILS5_6ELb0ES3_mN6thrust23THRUST_200600_302600_NS6detail15normal_iteratorINSA_10device_ptrIxEEEEPS6_SG_NS0_5tupleIJSF_S6_EEENSH_IJSG_SG_EEES6_PlJNSB_9not_fun_tI7is_evenIxEEEEEE10hipError_tPvRmT3_T4_T5_T6_T7_T9_mT8_P12ihipStream_tbDpT10_ENKUlT_T0_E_clISt17integral_constantIbLb1EES17_IbLb0EEEEDaS13_S14_EUlS13_E_NS1_11comp_targetILNS1_3genE4ELNS1_11target_archE910ELNS1_3gpuE8ELNS1_3repE0EEENS1_30default_config_static_selectorELNS0_4arch9wavefront6targetE0EEEvT1_ ; -- Begin function _ZN7rocprim17ROCPRIM_400000_NS6detail17trampoline_kernelINS0_14default_configENS1_25partition_config_selectorILNS1_17partition_subalgoE6ExNS0_10empty_typeEbEEZZNS1_14partition_implILS5_6ELb0ES3_mN6thrust23THRUST_200600_302600_NS6detail15normal_iteratorINSA_10device_ptrIxEEEEPS6_SG_NS0_5tupleIJSF_S6_EEENSH_IJSG_SG_EEES6_PlJNSB_9not_fun_tI7is_evenIxEEEEEE10hipError_tPvRmT3_T4_T5_T6_T7_T9_mT8_P12ihipStream_tbDpT10_ENKUlT_T0_E_clISt17integral_constantIbLb1EES17_IbLb0EEEEDaS13_S14_EUlS13_E_NS1_11comp_targetILNS1_3genE4ELNS1_11target_archE910ELNS1_3gpuE8ELNS1_3repE0EEENS1_30default_config_static_selectorELNS0_4arch9wavefront6targetE0EEEvT1_
	.globl	_ZN7rocprim17ROCPRIM_400000_NS6detail17trampoline_kernelINS0_14default_configENS1_25partition_config_selectorILNS1_17partition_subalgoE6ExNS0_10empty_typeEbEEZZNS1_14partition_implILS5_6ELb0ES3_mN6thrust23THRUST_200600_302600_NS6detail15normal_iteratorINSA_10device_ptrIxEEEEPS6_SG_NS0_5tupleIJSF_S6_EEENSH_IJSG_SG_EEES6_PlJNSB_9not_fun_tI7is_evenIxEEEEEE10hipError_tPvRmT3_T4_T5_T6_T7_T9_mT8_P12ihipStream_tbDpT10_ENKUlT_T0_E_clISt17integral_constantIbLb1EES17_IbLb0EEEEDaS13_S14_EUlS13_E_NS1_11comp_targetILNS1_3genE4ELNS1_11target_archE910ELNS1_3gpuE8ELNS1_3repE0EEENS1_30default_config_static_selectorELNS0_4arch9wavefront6targetE0EEEvT1_
	.p2align	8
	.type	_ZN7rocprim17ROCPRIM_400000_NS6detail17trampoline_kernelINS0_14default_configENS1_25partition_config_selectorILNS1_17partition_subalgoE6ExNS0_10empty_typeEbEEZZNS1_14partition_implILS5_6ELb0ES3_mN6thrust23THRUST_200600_302600_NS6detail15normal_iteratorINSA_10device_ptrIxEEEEPS6_SG_NS0_5tupleIJSF_S6_EEENSH_IJSG_SG_EEES6_PlJNSB_9not_fun_tI7is_evenIxEEEEEE10hipError_tPvRmT3_T4_T5_T6_T7_T9_mT8_P12ihipStream_tbDpT10_ENKUlT_T0_E_clISt17integral_constantIbLb1EES17_IbLb0EEEEDaS13_S14_EUlS13_E_NS1_11comp_targetILNS1_3genE4ELNS1_11target_archE910ELNS1_3gpuE8ELNS1_3repE0EEENS1_30default_config_static_selectorELNS0_4arch9wavefront6targetE0EEEvT1_,@function
_ZN7rocprim17ROCPRIM_400000_NS6detail17trampoline_kernelINS0_14default_configENS1_25partition_config_selectorILNS1_17partition_subalgoE6ExNS0_10empty_typeEbEEZZNS1_14partition_implILS5_6ELb0ES3_mN6thrust23THRUST_200600_302600_NS6detail15normal_iteratorINSA_10device_ptrIxEEEEPS6_SG_NS0_5tupleIJSF_S6_EEENSH_IJSG_SG_EEES6_PlJNSB_9not_fun_tI7is_evenIxEEEEEE10hipError_tPvRmT3_T4_T5_T6_T7_T9_mT8_P12ihipStream_tbDpT10_ENKUlT_T0_E_clISt17integral_constantIbLb1EES17_IbLb0EEEEDaS13_S14_EUlS13_E_NS1_11comp_targetILNS1_3genE4ELNS1_11target_archE910ELNS1_3gpuE8ELNS1_3repE0EEENS1_30default_config_static_selectorELNS0_4arch9wavefront6targetE0EEEvT1_: ; @_ZN7rocprim17ROCPRIM_400000_NS6detail17trampoline_kernelINS0_14default_configENS1_25partition_config_selectorILNS1_17partition_subalgoE6ExNS0_10empty_typeEbEEZZNS1_14partition_implILS5_6ELb0ES3_mN6thrust23THRUST_200600_302600_NS6detail15normal_iteratorINSA_10device_ptrIxEEEEPS6_SG_NS0_5tupleIJSF_S6_EEENSH_IJSG_SG_EEES6_PlJNSB_9not_fun_tI7is_evenIxEEEEEE10hipError_tPvRmT3_T4_T5_T6_T7_T9_mT8_P12ihipStream_tbDpT10_ENKUlT_T0_E_clISt17integral_constantIbLb1EES17_IbLb0EEEEDaS13_S14_EUlS13_E_NS1_11comp_targetILNS1_3genE4ELNS1_11target_archE910ELNS1_3gpuE8ELNS1_3repE0EEENS1_30default_config_static_selectorELNS0_4arch9wavefront6targetE0EEEvT1_
; %bb.0:
	.section	.rodata,"a",@progbits
	.p2align	6, 0x0
	.amdhsa_kernel _ZN7rocprim17ROCPRIM_400000_NS6detail17trampoline_kernelINS0_14default_configENS1_25partition_config_selectorILNS1_17partition_subalgoE6ExNS0_10empty_typeEbEEZZNS1_14partition_implILS5_6ELb0ES3_mN6thrust23THRUST_200600_302600_NS6detail15normal_iteratorINSA_10device_ptrIxEEEEPS6_SG_NS0_5tupleIJSF_S6_EEENSH_IJSG_SG_EEES6_PlJNSB_9not_fun_tI7is_evenIxEEEEEE10hipError_tPvRmT3_T4_T5_T6_T7_T9_mT8_P12ihipStream_tbDpT10_ENKUlT_T0_E_clISt17integral_constantIbLb1EES17_IbLb0EEEEDaS13_S14_EUlS13_E_NS1_11comp_targetILNS1_3genE4ELNS1_11target_archE910ELNS1_3gpuE8ELNS1_3repE0EEENS1_30default_config_static_selectorELNS0_4arch9wavefront6targetE0EEEvT1_
		.amdhsa_group_segment_fixed_size 0
		.amdhsa_private_segment_fixed_size 0
		.amdhsa_kernarg_size 112
		.amdhsa_user_sgpr_count 2
		.amdhsa_user_sgpr_dispatch_ptr 0
		.amdhsa_user_sgpr_queue_ptr 0
		.amdhsa_user_sgpr_kernarg_segment_ptr 1
		.amdhsa_user_sgpr_dispatch_id 0
		.amdhsa_user_sgpr_private_segment_size 0
		.amdhsa_wavefront_size32 1
		.amdhsa_uses_dynamic_stack 0
		.amdhsa_enable_private_segment 0
		.amdhsa_system_sgpr_workgroup_id_x 1
		.amdhsa_system_sgpr_workgroup_id_y 0
		.amdhsa_system_sgpr_workgroup_id_z 0
		.amdhsa_system_sgpr_workgroup_info 0
		.amdhsa_system_vgpr_workitem_id 0
		.amdhsa_next_free_vgpr 1
		.amdhsa_next_free_sgpr 1
		.amdhsa_reserve_vcc 0
		.amdhsa_float_round_mode_32 0
		.amdhsa_float_round_mode_16_64 0
		.amdhsa_float_denorm_mode_32 3
		.amdhsa_float_denorm_mode_16_64 3
		.amdhsa_fp16_overflow 0
		.amdhsa_workgroup_processor_mode 1
		.amdhsa_memory_ordered 1
		.amdhsa_forward_progress 1
		.amdhsa_inst_pref_size 0
		.amdhsa_round_robin_scheduling 0
		.amdhsa_exception_fp_ieee_invalid_op 0
		.amdhsa_exception_fp_denorm_src 0
		.amdhsa_exception_fp_ieee_div_zero 0
		.amdhsa_exception_fp_ieee_overflow 0
		.amdhsa_exception_fp_ieee_underflow 0
		.amdhsa_exception_fp_ieee_inexact 0
		.amdhsa_exception_int_div_zero 0
	.end_amdhsa_kernel
	.section	.text._ZN7rocprim17ROCPRIM_400000_NS6detail17trampoline_kernelINS0_14default_configENS1_25partition_config_selectorILNS1_17partition_subalgoE6ExNS0_10empty_typeEbEEZZNS1_14partition_implILS5_6ELb0ES3_mN6thrust23THRUST_200600_302600_NS6detail15normal_iteratorINSA_10device_ptrIxEEEEPS6_SG_NS0_5tupleIJSF_S6_EEENSH_IJSG_SG_EEES6_PlJNSB_9not_fun_tI7is_evenIxEEEEEE10hipError_tPvRmT3_T4_T5_T6_T7_T9_mT8_P12ihipStream_tbDpT10_ENKUlT_T0_E_clISt17integral_constantIbLb1EES17_IbLb0EEEEDaS13_S14_EUlS13_E_NS1_11comp_targetILNS1_3genE4ELNS1_11target_archE910ELNS1_3gpuE8ELNS1_3repE0EEENS1_30default_config_static_selectorELNS0_4arch9wavefront6targetE0EEEvT1_,"axG",@progbits,_ZN7rocprim17ROCPRIM_400000_NS6detail17trampoline_kernelINS0_14default_configENS1_25partition_config_selectorILNS1_17partition_subalgoE6ExNS0_10empty_typeEbEEZZNS1_14partition_implILS5_6ELb0ES3_mN6thrust23THRUST_200600_302600_NS6detail15normal_iteratorINSA_10device_ptrIxEEEEPS6_SG_NS0_5tupleIJSF_S6_EEENSH_IJSG_SG_EEES6_PlJNSB_9not_fun_tI7is_evenIxEEEEEE10hipError_tPvRmT3_T4_T5_T6_T7_T9_mT8_P12ihipStream_tbDpT10_ENKUlT_T0_E_clISt17integral_constantIbLb1EES17_IbLb0EEEEDaS13_S14_EUlS13_E_NS1_11comp_targetILNS1_3genE4ELNS1_11target_archE910ELNS1_3gpuE8ELNS1_3repE0EEENS1_30default_config_static_selectorELNS0_4arch9wavefront6targetE0EEEvT1_,comdat
.Lfunc_end711:
	.size	_ZN7rocprim17ROCPRIM_400000_NS6detail17trampoline_kernelINS0_14default_configENS1_25partition_config_selectorILNS1_17partition_subalgoE6ExNS0_10empty_typeEbEEZZNS1_14partition_implILS5_6ELb0ES3_mN6thrust23THRUST_200600_302600_NS6detail15normal_iteratorINSA_10device_ptrIxEEEEPS6_SG_NS0_5tupleIJSF_S6_EEENSH_IJSG_SG_EEES6_PlJNSB_9not_fun_tI7is_evenIxEEEEEE10hipError_tPvRmT3_T4_T5_T6_T7_T9_mT8_P12ihipStream_tbDpT10_ENKUlT_T0_E_clISt17integral_constantIbLb1EES17_IbLb0EEEEDaS13_S14_EUlS13_E_NS1_11comp_targetILNS1_3genE4ELNS1_11target_archE910ELNS1_3gpuE8ELNS1_3repE0EEENS1_30default_config_static_selectorELNS0_4arch9wavefront6targetE0EEEvT1_, .Lfunc_end711-_ZN7rocprim17ROCPRIM_400000_NS6detail17trampoline_kernelINS0_14default_configENS1_25partition_config_selectorILNS1_17partition_subalgoE6ExNS0_10empty_typeEbEEZZNS1_14partition_implILS5_6ELb0ES3_mN6thrust23THRUST_200600_302600_NS6detail15normal_iteratorINSA_10device_ptrIxEEEEPS6_SG_NS0_5tupleIJSF_S6_EEENSH_IJSG_SG_EEES6_PlJNSB_9not_fun_tI7is_evenIxEEEEEE10hipError_tPvRmT3_T4_T5_T6_T7_T9_mT8_P12ihipStream_tbDpT10_ENKUlT_T0_E_clISt17integral_constantIbLb1EES17_IbLb0EEEEDaS13_S14_EUlS13_E_NS1_11comp_targetILNS1_3genE4ELNS1_11target_archE910ELNS1_3gpuE8ELNS1_3repE0EEENS1_30default_config_static_selectorELNS0_4arch9wavefront6targetE0EEEvT1_
                                        ; -- End function
	.set _ZN7rocprim17ROCPRIM_400000_NS6detail17trampoline_kernelINS0_14default_configENS1_25partition_config_selectorILNS1_17partition_subalgoE6ExNS0_10empty_typeEbEEZZNS1_14partition_implILS5_6ELb0ES3_mN6thrust23THRUST_200600_302600_NS6detail15normal_iteratorINSA_10device_ptrIxEEEEPS6_SG_NS0_5tupleIJSF_S6_EEENSH_IJSG_SG_EEES6_PlJNSB_9not_fun_tI7is_evenIxEEEEEE10hipError_tPvRmT3_T4_T5_T6_T7_T9_mT8_P12ihipStream_tbDpT10_ENKUlT_T0_E_clISt17integral_constantIbLb1EES17_IbLb0EEEEDaS13_S14_EUlS13_E_NS1_11comp_targetILNS1_3genE4ELNS1_11target_archE910ELNS1_3gpuE8ELNS1_3repE0EEENS1_30default_config_static_selectorELNS0_4arch9wavefront6targetE0EEEvT1_.num_vgpr, 0
	.set _ZN7rocprim17ROCPRIM_400000_NS6detail17trampoline_kernelINS0_14default_configENS1_25partition_config_selectorILNS1_17partition_subalgoE6ExNS0_10empty_typeEbEEZZNS1_14partition_implILS5_6ELb0ES3_mN6thrust23THRUST_200600_302600_NS6detail15normal_iteratorINSA_10device_ptrIxEEEEPS6_SG_NS0_5tupleIJSF_S6_EEENSH_IJSG_SG_EEES6_PlJNSB_9not_fun_tI7is_evenIxEEEEEE10hipError_tPvRmT3_T4_T5_T6_T7_T9_mT8_P12ihipStream_tbDpT10_ENKUlT_T0_E_clISt17integral_constantIbLb1EES17_IbLb0EEEEDaS13_S14_EUlS13_E_NS1_11comp_targetILNS1_3genE4ELNS1_11target_archE910ELNS1_3gpuE8ELNS1_3repE0EEENS1_30default_config_static_selectorELNS0_4arch9wavefront6targetE0EEEvT1_.num_agpr, 0
	.set _ZN7rocprim17ROCPRIM_400000_NS6detail17trampoline_kernelINS0_14default_configENS1_25partition_config_selectorILNS1_17partition_subalgoE6ExNS0_10empty_typeEbEEZZNS1_14partition_implILS5_6ELb0ES3_mN6thrust23THRUST_200600_302600_NS6detail15normal_iteratorINSA_10device_ptrIxEEEEPS6_SG_NS0_5tupleIJSF_S6_EEENSH_IJSG_SG_EEES6_PlJNSB_9not_fun_tI7is_evenIxEEEEEE10hipError_tPvRmT3_T4_T5_T6_T7_T9_mT8_P12ihipStream_tbDpT10_ENKUlT_T0_E_clISt17integral_constantIbLb1EES17_IbLb0EEEEDaS13_S14_EUlS13_E_NS1_11comp_targetILNS1_3genE4ELNS1_11target_archE910ELNS1_3gpuE8ELNS1_3repE0EEENS1_30default_config_static_selectorELNS0_4arch9wavefront6targetE0EEEvT1_.numbered_sgpr, 0
	.set _ZN7rocprim17ROCPRIM_400000_NS6detail17trampoline_kernelINS0_14default_configENS1_25partition_config_selectorILNS1_17partition_subalgoE6ExNS0_10empty_typeEbEEZZNS1_14partition_implILS5_6ELb0ES3_mN6thrust23THRUST_200600_302600_NS6detail15normal_iteratorINSA_10device_ptrIxEEEEPS6_SG_NS0_5tupleIJSF_S6_EEENSH_IJSG_SG_EEES6_PlJNSB_9not_fun_tI7is_evenIxEEEEEE10hipError_tPvRmT3_T4_T5_T6_T7_T9_mT8_P12ihipStream_tbDpT10_ENKUlT_T0_E_clISt17integral_constantIbLb1EES17_IbLb0EEEEDaS13_S14_EUlS13_E_NS1_11comp_targetILNS1_3genE4ELNS1_11target_archE910ELNS1_3gpuE8ELNS1_3repE0EEENS1_30default_config_static_selectorELNS0_4arch9wavefront6targetE0EEEvT1_.num_named_barrier, 0
	.set _ZN7rocprim17ROCPRIM_400000_NS6detail17trampoline_kernelINS0_14default_configENS1_25partition_config_selectorILNS1_17partition_subalgoE6ExNS0_10empty_typeEbEEZZNS1_14partition_implILS5_6ELb0ES3_mN6thrust23THRUST_200600_302600_NS6detail15normal_iteratorINSA_10device_ptrIxEEEEPS6_SG_NS0_5tupleIJSF_S6_EEENSH_IJSG_SG_EEES6_PlJNSB_9not_fun_tI7is_evenIxEEEEEE10hipError_tPvRmT3_T4_T5_T6_T7_T9_mT8_P12ihipStream_tbDpT10_ENKUlT_T0_E_clISt17integral_constantIbLb1EES17_IbLb0EEEEDaS13_S14_EUlS13_E_NS1_11comp_targetILNS1_3genE4ELNS1_11target_archE910ELNS1_3gpuE8ELNS1_3repE0EEENS1_30default_config_static_selectorELNS0_4arch9wavefront6targetE0EEEvT1_.private_seg_size, 0
	.set _ZN7rocprim17ROCPRIM_400000_NS6detail17trampoline_kernelINS0_14default_configENS1_25partition_config_selectorILNS1_17partition_subalgoE6ExNS0_10empty_typeEbEEZZNS1_14partition_implILS5_6ELb0ES3_mN6thrust23THRUST_200600_302600_NS6detail15normal_iteratorINSA_10device_ptrIxEEEEPS6_SG_NS0_5tupleIJSF_S6_EEENSH_IJSG_SG_EEES6_PlJNSB_9not_fun_tI7is_evenIxEEEEEE10hipError_tPvRmT3_T4_T5_T6_T7_T9_mT8_P12ihipStream_tbDpT10_ENKUlT_T0_E_clISt17integral_constantIbLb1EES17_IbLb0EEEEDaS13_S14_EUlS13_E_NS1_11comp_targetILNS1_3genE4ELNS1_11target_archE910ELNS1_3gpuE8ELNS1_3repE0EEENS1_30default_config_static_selectorELNS0_4arch9wavefront6targetE0EEEvT1_.uses_vcc, 0
	.set _ZN7rocprim17ROCPRIM_400000_NS6detail17trampoline_kernelINS0_14default_configENS1_25partition_config_selectorILNS1_17partition_subalgoE6ExNS0_10empty_typeEbEEZZNS1_14partition_implILS5_6ELb0ES3_mN6thrust23THRUST_200600_302600_NS6detail15normal_iteratorINSA_10device_ptrIxEEEEPS6_SG_NS0_5tupleIJSF_S6_EEENSH_IJSG_SG_EEES6_PlJNSB_9not_fun_tI7is_evenIxEEEEEE10hipError_tPvRmT3_T4_T5_T6_T7_T9_mT8_P12ihipStream_tbDpT10_ENKUlT_T0_E_clISt17integral_constantIbLb1EES17_IbLb0EEEEDaS13_S14_EUlS13_E_NS1_11comp_targetILNS1_3genE4ELNS1_11target_archE910ELNS1_3gpuE8ELNS1_3repE0EEENS1_30default_config_static_selectorELNS0_4arch9wavefront6targetE0EEEvT1_.uses_flat_scratch, 0
	.set _ZN7rocprim17ROCPRIM_400000_NS6detail17trampoline_kernelINS0_14default_configENS1_25partition_config_selectorILNS1_17partition_subalgoE6ExNS0_10empty_typeEbEEZZNS1_14partition_implILS5_6ELb0ES3_mN6thrust23THRUST_200600_302600_NS6detail15normal_iteratorINSA_10device_ptrIxEEEEPS6_SG_NS0_5tupleIJSF_S6_EEENSH_IJSG_SG_EEES6_PlJNSB_9not_fun_tI7is_evenIxEEEEEE10hipError_tPvRmT3_T4_T5_T6_T7_T9_mT8_P12ihipStream_tbDpT10_ENKUlT_T0_E_clISt17integral_constantIbLb1EES17_IbLb0EEEEDaS13_S14_EUlS13_E_NS1_11comp_targetILNS1_3genE4ELNS1_11target_archE910ELNS1_3gpuE8ELNS1_3repE0EEENS1_30default_config_static_selectorELNS0_4arch9wavefront6targetE0EEEvT1_.has_dyn_sized_stack, 0
	.set _ZN7rocprim17ROCPRIM_400000_NS6detail17trampoline_kernelINS0_14default_configENS1_25partition_config_selectorILNS1_17partition_subalgoE6ExNS0_10empty_typeEbEEZZNS1_14partition_implILS5_6ELb0ES3_mN6thrust23THRUST_200600_302600_NS6detail15normal_iteratorINSA_10device_ptrIxEEEEPS6_SG_NS0_5tupleIJSF_S6_EEENSH_IJSG_SG_EEES6_PlJNSB_9not_fun_tI7is_evenIxEEEEEE10hipError_tPvRmT3_T4_T5_T6_T7_T9_mT8_P12ihipStream_tbDpT10_ENKUlT_T0_E_clISt17integral_constantIbLb1EES17_IbLb0EEEEDaS13_S14_EUlS13_E_NS1_11comp_targetILNS1_3genE4ELNS1_11target_archE910ELNS1_3gpuE8ELNS1_3repE0EEENS1_30default_config_static_selectorELNS0_4arch9wavefront6targetE0EEEvT1_.has_recursion, 0
	.set _ZN7rocprim17ROCPRIM_400000_NS6detail17trampoline_kernelINS0_14default_configENS1_25partition_config_selectorILNS1_17partition_subalgoE6ExNS0_10empty_typeEbEEZZNS1_14partition_implILS5_6ELb0ES3_mN6thrust23THRUST_200600_302600_NS6detail15normal_iteratorINSA_10device_ptrIxEEEEPS6_SG_NS0_5tupleIJSF_S6_EEENSH_IJSG_SG_EEES6_PlJNSB_9not_fun_tI7is_evenIxEEEEEE10hipError_tPvRmT3_T4_T5_T6_T7_T9_mT8_P12ihipStream_tbDpT10_ENKUlT_T0_E_clISt17integral_constantIbLb1EES17_IbLb0EEEEDaS13_S14_EUlS13_E_NS1_11comp_targetILNS1_3genE4ELNS1_11target_archE910ELNS1_3gpuE8ELNS1_3repE0EEENS1_30default_config_static_selectorELNS0_4arch9wavefront6targetE0EEEvT1_.has_indirect_call, 0
	.section	.AMDGPU.csdata,"",@progbits
; Kernel info:
; codeLenInByte = 0
; TotalNumSgprs: 0
; NumVgprs: 0
; ScratchSize: 0
; MemoryBound: 0
; FloatMode: 240
; IeeeMode: 1
; LDSByteSize: 0 bytes/workgroup (compile time only)
; SGPRBlocks: 0
; VGPRBlocks: 0
; NumSGPRsForWavesPerEU: 1
; NumVGPRsForWavesPerEU: 1
; Occupancy: 16
; WaveLimiterHint : 0
; COMPUTE_PGM_RSRC2:SCRATCH_EN: 0
; COMPUTE_PGM_RSRC2:USER_SGPR: 2
; COMPUTE_PGM_RSRC2:TRAP_HANDLER: 0
; COMPUTE_PGM_RSRC2:TGID_X_EN: 1
; COMPUTE_PGM_RSRC2:TGID_Y_EN: 0
; COMPUTE_PGM_RSRC2:TGID_Z_EN: 0
; COMPUTE_PGM_RSRC2:TIDIG_COMP_CNT: 0
	.section	.text._ZN7rocprim17ROCPRIM_400000_NS6detail17trampoline_kernelINS0_14default_configENS1_25partition_config_selectorILNS1_17partition_subalgoE6ExNS0_10empty_typeEbEEZZNS1_14partition_implILS5_6ELb0ES3_mN6thrust23THRUST_200600_302600_NS6detail15normal_iteratorINSA_10device_ptrIxEEEEPS6_SG_NS0_5tupleIJSF_S6_EEENSH_IJSG_SG_EEES6_PlJNSB_9not_fun_tI7is_evenIxEEEEEE10hipError_tPvRmT3_T4_T5_T6_T7_T9_mT8_P12ihipStream_tbDpT10_ENKUlT_T0_E_clISt17integral_constantIbLb1EES17_IbLb0EEEEDaS13_S14_EUlS13_E_NS1_11comp_targetILNS1_3genE3ELNS1_11target_archE908ELNS1_3gpuE7ELNS1_3repE0EEENS1_30default_config_static_selectorELNS0_4arch9wavefront6targetE0EEEvT1_,"axG",@progbits,_ZN7rocprim17ROCPRIM_400000_NS6detail17trampoline_kernelINS0_14default_configENS1_25partition_config_selectorILNS1_17partition_subalgoE6ExNS0_10empty_typeEbEEZZNS1_14partition_implILS5_6ELb0ES3_mN6thrust23THRUST_200600_302600_NS6detail15normal_iteratorINSA_10device_ptrIxEEEEPS6_SG_NS0_5tupleIJSF_S6_EEENSH_IJSG_SG_EEES6_PlJNSB_9not_fun_tI7is_evenIxEEEEEE10hipError_tPvRmT3_T4_T5_T6_T7_T9_mT8_P12ihipStream_tbDpT10_ENKUlT_T0_E_clISt17integral_constantIbLb1EES17_IbLb0EEEEDaS13_S14_EUlS13_E_NS1_11comp_targetILNS1_3genE3ELNS1_11target_archE908ELNS1_3gpuE7ELNS1_3repE0EEENS1_30default_config_static_selectorELNS0_4arch9wavefront6targetE0EEEvT1_,comdat
	.protected	_ZN7rocprim17ROCPRIM_400000_NS6detail17trampoline_kernelINS0_14default_configENS1_25partition_config_selectorILNS1_17partition_subalgoE6ExNS0_10empty_typeEbEEZZNS1_14partition_implILS5_6ELb0ES3_mN6thrust23THRUST_200600_302600_NS6detail15normal_iteratorINSA_10device_ptrIxEEEEPS6_SG_NS0_5tupleIJSF_S6_EEENSH_IJSG_SG_EEES6_PlJNSB_9not_fun_tI7is_evenIxEEEEEE10hipError_tPvRmT3_T4_T5_T6_T7_T9_mT8_P12ihipStream_tbDpT10_ENKUlT_T0_E_clISt17integral_constantIbLb1EES17_IbLb0EEEEDaS13_S14_EUlS13_E_NS1_11comp_targetILNS1_3genE3ELNS1_11target_archE908ELNS1_3gpuE7ELNS1_3repE0EEENS1_30default_config_static_selectorELNS0_4arch9wavefront6targetE0EEEvT1_ ; -- Begin function _ZN7rocprim17ROCPRIM_400000_NS6detail17trampoline_kernelINS0_14default_configENS1_25partition_config_selectorILNS1_17partition_subalgoE6ExNS0_10empty_typeEbEEZZNS1_14partition_implILS5_6ELb0ES3_mN6thrust23THRUST_200600_302600_NS6detail15normal_iteratorINSA_10device_ptrIxEEEEPS6_SG_NS0_5tupleIJSF_S6_EEENSH_IJSG_SG_EEES6_PlJNSB_9not_fun_tI7is_evenIxEEEEEE10hipError_tPvRmT3_T4_T5_T6_T7_T9_mT8_P12ihipStream_tbDpT10_ENKUlT_T0_E_clISt17integral_constantIbLb1EES17_IbLb0EEEEDaS13_S14_EUlS13_E_NS1_11comp_targetILNS1_3genE3ELNS1_11target_archE908ELNS1_3gpuE7ELNS1_3repE0EEENS1_30default_config_static_selectorELNS0_4arch9wavefront6targetE0EEEvT1_
	.globl	_ZN7rocprim17ROCPRIM_400000_NS6detail17trampoline_kernelINS0_14default_configENS1_25partition_config_selectorILNS1_17partition_subalgoE6ExNS0_10empty_typeEbEEZZNS1_14partition_implILS5_6ELb0ES3_mN6thrust23THRUST_200600_302600_NS6detail15normal_iteratorINSA_10device_ptrIxEEEEPS6_SG_NS0_5tupleIJSF_S6_EEENSH_IJSG_SG_EEES6_PlJNSB_9not_fun_tI7is_evenIxEEEEEE10hipError_tPvRmT3_T4_T5_T6_T7_T9_mT8_P12ihipStream_tbDpT10_ENKUlT_T0_E_clISt17integral_constantIbLb1EES17_IbLb0EEEEDaS13_S14_EUlS13_E_NS1_11comp_targetILNS1_3genE3ELNS1_11target_archE908ELNS1_3gpuE7ELNS1_3repE0EEENS1_30default_config_static_selectorELNS0_4arch9wavefront6targetE0EEEvT1_
	.p2align	8
	.type	_ZN7rocprim17ROCPRIM_400000_NS6detail17trampoline_kernelINS0_14default_configENS1_25partition_config_selectorILNS1_17partition_subalgoE6ExNS0_10empty_typeEbEEZZNS1_14partition_implILS5_6ELb0ES3_mN6thrust23THRUST_200600_302600_NS6detail15normal_iteratorINSA_10device_ptrIxEEEEPS6_SG_NS0_5tupleIJSF_S6_EEENSH_IJSG_SG_EEES6_PlJNSB_9not_fun_tI7is_evenIxEEEEEE10hipError_tPvRmT3_T4_T5_T6_T7_T9_mT8_P12ihipStream_tbDpT10_ENKUlT_T0_E_clISt17integral_constantIbLb1EES17_IbLb0EEEEDaS13_S14_EUlS13_E_NS1_11comp_targetILNS1_3genE3ELNS1_11target_archE908ELNS1_3gpuE7ELNS1_3repE0EEENS1_30default_config_static_selectorELNS0_4arch9wavefront6targetE0EEEvT1_,@function
_ZN7rocprim17ROCPRIM_400000_NS6detail17trampoline_kernelINS0_14default_configENS1_25partition_config_selectorILNS1_17partition_subalgoE6ExNS0_10empty_typeEbEEZZNS1_14partition_implILS5_6ELb0ES3_mN6thrust23THRUST_200600_302600_NS6detail15normal_iteratorINSA_10device_ptrIxEEEEPS6_SG_NS0_5tupleIJSF_S6_EEENSH_IJSG_SG_EEES6_PlJNSB_9not_fun_tI7is_evenIxEEEEEE10hipError_tPvRmT3_T4_T5_T6_T7_T9_mT8_P12ihipStream_tbDpT10_ENKUlT_T0_E_clISt17integral_constantIbLb1EES17_IbLb0EEEEDaS13_S14_EUlS13_E_NS1_11comp_targetILNS1_3genE3ELNS1_11target_archE908ELNS1_3gpuE7ELNS1_3repE0EEENS1_30default_config_static_selectorELNS0_4arch9wavefront6targetE0EEEvT1_: ; @_ZN7rocprim17ROCPRIM_400000_NS6detail17trampoline_kernelINS0_14default_configENS1_25partition_config_selectorILNS1_17partition_subalgoE6ExNS0_10empty_typeEbEEZZNS1_14partition_implILS5_6ELb0ES3_mN6thrust23THRUST_200600_302600_NS6detail15normal_iteratorINSA_10device_ptrIxEEEEPS6_SG_NS0_5tupleIJSF_S6_EEENSH_IJSG_SG_EEES6_PlJNSB_9not_fun_tI7is_evenIxEEEEEE10hipError_tPvRmT3_T4_T5_T6_T7_T9_mT8_P12ihipStream_tbDpT10_ENKUlT_T0_E_clISt17integral_constantIbLb1EES17_IbLb0EEEEDaS13_S14_EUlS13_E_NS1_11comp_targetILNS1_3genE3ELNS1_11target_archE908ELNS1_3gpuE7ELNS1_3repE0EEENS1_30default_config_static_selectorELNS0_4arch9wavefront6targetE0EEEvT1_
; %bb.0:
	.section	.rodata,"a",@progbits
	.p2align	6, 0x0
	.amdhsa_kernel _ZN7rocprim17ROCPRIM_400000_NS6detail17trampoline_kernelINS0_14default_configENS1_25partition_config_selectorILNS1_17partition_subalgoE6ExNS0_10empty_typeEbEEZZNS1_14partition_implILS5_6ELb0ES3_mN6thrust23THRUST_200600_302600_NS6detail15normal_iteratorINSA_10device_ptrIxEEEEPS6_SG_NS0_5tupleIJSF_S6_EEENSH_IJSG_SG_EEES6_PlJNSB_9not_fun_tI7is_evenIxEEEEEE10hipError_tPvRmT3_T4_T5_T6_T7_T9_mT8_P12ihipStream_tbDpT10_ENKUlT_T0_E_clISt17integral_constantIbLb1EES17_IbLb0EEEEDaS13_S14_EUlS13_E_NS1_11comp_targetILNS1_3genE3ELNS1_11target_archE908ELNS1_3gpuE7ELNS1_3repE0EEENS1_30default_config_static_selectorELNS0_4arch9wavefront6targetE0EEEvT1_
		.amdhsa_group_segment_fixed_size 0
		.amdhsa_private_segment_fixed_size 0
		.amdhsa_kernarg_size 112
		.amdhsa_user_sgpr_count 2
		.amdhsa_user_sgpr_dispatch_ptr 0
		.amdhsa_user_sgpr_queue_ptr 0
		.amdhsa_user_sgpr_kernarg_segment_ptr 1
		.amdhsa_user_sgpr_dispatch_id 0
		.amdhsa_user_sgpr_private_segment_size 0
		.amdhsa_wavefront_size32 1
		.amdhsa_uses_dynamic_stack 0
		.amdhsa_enable_private_segment 0
		.amdhsa_system_sgpr_workgroup_id_x 1
		.amdhsa_system_sgpr_workgroup_id_y 0
		.amdhsa_system_sgpr_workgroup_id_z 0
		.amdhsa_system_sgpr_workgroup_info 0
		.amdhsa_system_vgpr_workitem_id 0
		.amdhsa_next_free_vgpr 1
		.amdhsa_next_free_sgpr 1
		.amdhsa_reserve_vcc 0
		.amdhsa_float_round_mode_32 0
		.amdhsa_float_round_mode_16_64 0
		.amdhsa_float_denorm_mode_32 3
		.amdhsa_float_denorm_mode_16_64 3
		.amdhsa_fp16_overflow 0
		.amdhsa_workgroup_processor_mode 1
		.amdhsa_memory_ordered 1
		.amdhsa_forward_progress 1
		.amdhsa_inst_pref_size 0
		.amdhsa_round_robin_scheduling 0
		.amdhsa_exception_fp_ieee_invalid_op 0
		.amdhsa_exception_fp_denorm_src 0
		.amdhsa_exception_fp_ieee_div_zero 0
		.amdhsa_exception_fp_ieee_overflow 0
		.amdhsa_exception_fp_ieee_underflow 0
		.amdhsa_exception_fp_ieee_inexact 0
		.amdhsa_exception_int_div_zero 0
	.end_amdhsa_kernel
	.section	.text._ZN7rocprim17ROCPRIM_400000_NS6detail17trampoline_kernelINS0_14default_configENS1_25partition_config_selectorILNS1_17partition_subalgoE6ExNS0_10empty_typeEbEEZZNS1_14partition_implILS5_6ELb0ES3_mN6thrust23THRUST_200600_302600_NS6detail15normal_iteratorINSA_10device_ptrIxEEEEPS6_SG_NS0_5tupleIJSF_S6_EEENSH_IJSG_SG_EEES6_PlJNSB_9not_fun_tI7is_evenIxEEEEEE10hipError_tPvRmT3_T4_T5_T6_T7_T9_mT8_P12ihipStream_tbDpT10_ENKUlT_T0_E_clISt17integral_constantIbLb1EES17_IbLb0EEEEDaS13_S14_EUlS13_E_NS1_11comp_targetILNS1_3genE3ELNS1_11target_archE908ELNS1_3gpuE7ELNS1_3repE0EEENS1_30default_config_static_selectorELNS0_4arch9wavefront6targetE0EEEvT1_,"axG",@progbits,_ZN7rocprim17ROCPRIM_400000_NS6detail17trampoline_kernelINS0_14default_configENS1_25partition_config_selectorILNS1_17partition_subalgoE6ExNS0_10empty_typeEbEEZZNS1_14partition_implILS5_6ELb0ES3_mN6thrust23THRUST_200600_302600_NS6detail15normal_iteratorINSA_10device_ptrIxEEEEPS6_SG_NS0_5tupleIJSF_S6_EEENSH_IJSG_SG_EEES6_PlJNSB_9not_fun_tI7is_evenIxEEEEEE10hipError_tPvRmT3_T4_T5_T6_T7_T9_mT8_P12ihipStream_tbDpT10_ENKUlT_T0_E_clISt17integral_constantIbLb1EES17_IbLb0EEEEDaS13_S14_EUlS13_E_NS1_11comp_targetILNS1_3genE3ELNS1_11target_archE908ELNS1_3gpuE7ELNS1_3repE0EEENS1_30default_config_static_selectorELNS0_4arch9wavefront6targetE0EEEvT1_,comdat
.Lfunc_end712:
	.size	_ZN7rocprim17ROCPRIM_400000_NS6detail17trampoline_kernelINS0_14default_configENS1_25partition_config_selectorILNS1_17partition_subalgoE6ExNS0_10empty_typeEbEEZZNS1_14partition_implILS5_6ELb0ES3_mN6thrust23THRUST_200600_302600_NS6detail15normal_iteratorINSA_10device_ptrIxEEEEPS6_SG_NS0_5tupleIJSF_S6_EEENSH_IJSG_SG_EEES6_PlJNSB_9not_fun_tI7is_evenIxEEEEEE10hipError_tPvRmT3_T4_T5_T6_T7_T9_mT8_P12ihipStream_tbDpT10_ENKUlT_T0_E_clISt17integral_constantIbLb1EES17_IbLb0EEEEDaS13_S14_EUlS13_E_NS1_11comp_targetILNS1_3genE3ELNS1_11target_archE908ELNS1_3gpuE7ELNS1_3repE0EEENS1_30default_config_static_selectorELNS0_4arch9wavefront6targetE0EEEvT1_, .Lfunc_end712-_ZN7rocprim17ROCPRIM_400000_NS6detail17trampoline_kernelINS0_14default_configENS1_25partition_config_selectorILNS1_17partition_subalgoE6ExNS0_10empty_typeEbEEZZNS1_14partition_implILS5_6ELb0ES3_mN6thrust23THRUST_200600_302600_NS6detail15normal_iteratorINSA_10device_ptrIxEEEEPS6_SG_NS0_5tupleIJSF_S6_EEENSH_IJSG_SG_EEES6_PlJNSB_9not_fun_tI7is_evenIxEEEEEE10hipError_tPvRmT3_T4_T5_T6_T7_T9_mT8_P12ihipStream_tbDpT10_ENKUlT_T0_E_clISt17integral_constantIbLb1EES17_IbLb0EEEEDaS13_S14_EUlS13_E_NS1_11comp_targetILNS1_3genE3ELNS1_11target_archE908ELNS1_3gpuE7ELNS1_3repE0EEENS1_30default_config_static_selectorELNS0_4arch9wavefront6targetE0EEEvT1_
                                        ; -- End function
	.set _ZN7rocprim17ROCPRIM_400000_NS6detail17trampoline_kernelINS0_14default_configENS1_25partition_config_selectorILNS1_17partition_subalgoE6ExNS0_10empty_typeEbEEZZNS1_14partition_implILS5_6ELb0ES3_mN6thrust23THRUST_200600_302600_NS6detail15normal_iteratorINSA_10device_ptrIxEEEEPS6_SG_NS0_5tupleIJSF_S6_EEENSH_IJSG_SG_EEES6_PlJNSB_9not_fun_tI7is_evenIxEEEEEE10hipError_tPvRmT3_T4_T5_T6_T7_T9_mT8_P12ihipStream_tbDpT10_ENKUlT_T0_E_clISt17integral_constantIbLb1EES17_IbLb0EEEEDaS13_S14_EUlS13_E_NS1_11comp_targetILNS1_3genE3ELNS1_11target_archE908ELNS1_3gpuE7ELNS1_3repE0EEENS1_30default_config_static_selectorELNS0_4arch9wavefront6targetE0EEEvT1_.num_vgpr, 0
	.set _ZN7rocprim17ROCPRIM_400000_NS6detail17trampoline_kernelINS0_14default_configENS1_25partition_config_selectorILNS1_17partition_subalgoE6ExNS0_10empty_typeEbEEZZNS1_14partition_implILS5_6ELb0ES3_mN6thrust23THRUST_200600_302600_NS6detail15normal_iteratorINSA_10device_ptrIxEEEEPS6_SG_NS0_5tupleIJSF_S6_EEENSH_IJSG_SG_EEES6_PlJNSB_9not_fun_tI7is_evenIxEEEEEE10hipError_tPvRmT3_T4_T5_T6_T7_T9_mT8_P12ihipStream_tbDpT10_ENKUlT_T0_E_clISt17integral_constantIbLb1EES17_IbLb0EEEEDaS13_S14_EUlS13_E_NS1_11comp_targetILNS1_3genE3ELNS1_11target_archE908ELNS1_3gpuE7ELNS1_3repE0EEENS1_30default_config_static_selectorELNS0_4arch9wavefront6targetE0EEEvT1_.num_agpr, 0
	.set _ZN7rocprim17ROCPRIM_400000_NS6detail17trampoline_kernelINS0_14default_configENS1_25partition_config_selectorILNS1_17partition_subalgoE6ExNS0_10empty_typeEbEEZZNS1_14partition_implILS5_6ELb0ES3_mN6thrust23THRUST_200600_302600_NS6detail15normal_iteratorINSA_10device_ptrIxEEEEPS6_SG_NS0_5tupleIJSF_S6_EEENSH_IJSG_SG_EEES6_PlJNSB_9not_fun_tI7is_evenIxEEEEEE10hipError_tPvRmT3_T4_T5_T6_T7_T9_mT8_P12ihipStream_tbDpT10_ENKUlT_T0_E_clISt17integral_constantIbLb1EES17_IbLb0EEEEDaS13_S14_EUlS13_E_NS1_11comp_targetILNS1_3genE3ELNS1_11target_archE908ELNS1_3gpuE7ELNS1_3repE0EEENS1_30default_config_static_selectorELNS0_4arch9wavefront6targetE0EEEvT1_.numbered_sgpr, 0
	.set _ZN7rocprim17ROCPRIM_400000_NS6detail17trampoline_kernelINS0_14default_configENS1_25partition_config_selectorILNS1_17partition_subalgoE6ExNS0_10empty_typeEbEEZZNS1_14partition_implILS5_6ELb0ES3_mN6thrust23THRUST_200600_302600_NS6detail15normal_iteratorINSA_10device_ptrIxEEEEPS6_SG_NS0_5tupleIJSF_S6_EEENSH_IJSG_SG_EEES6_PlJNSB_9not_fun_tI7is_evenIxEEEEEE10hipError_tPvRmT3_T4_T5_T6_T7_T9_mT8_P12ihipStream_tbDpT10_ENKUlT_T0_E_clISt17integral_constantIbLb1EES17_IbLb0EEEEDaS13_S14_EUlS13_E_NS1_11comp_targetILNS1_3genE3ELNS1_11target_archE908ELNS1_3gpuE7ELNS1_3repE0EEENS1_30default_config_static_selectorELNS0_4arch9wavefront6targetE0EEEvT1_.num_named_barrier, 0
	.set _ZN7rocprim17ROCPRIM_400000_NS6detail17trampoline_kernelINS0_14default_configENS1_25partition_config_selectorILNS1_17partition_subalgoE6ExNS0_10empty_typeEbEEZZNS1_14partition_implILS5_6ELb0ES3_mN6thrust23THRUST_200600_302600_NS6detail15normal_iteratorINSA_10device_ptrIxEEEEPS6_SG_NS0_5tupleIJSF_S6_EEENSH_IJSG_SG_EEES6_PlJNSB_9not_fun_tI7is_evenIxEEEEEE10hipError_tPvRmT3_T4_T5_T6_T7_T9_mT8_P12ihipStream_tbDpT10_ENKUlT_T0_E_clISt17integral_constantIbLb1EES17_IbLb0EEEEDaS13_S14_EUlS13_E_NS1_11comp_targetILNS1_3genE3ELNS1_11target_archE908ELNS1_3gpuE7ELNS1_3repE0EEENS1_30default_config_static_selectorELNS0_4arch9wavefront6targetE0EEEvT1_.private_seg_size, 0
	.set _ZN7rocprim17ROCPRIM_400000_NS6detail17trampoline_kernelINS0_14default_configENS1_25partition_config_selectorILNS1_17partition_subalgoE6ExNS0_10empty_typeEbEEZZNS1_14partition_implILS5_6ELb0ES3_mN6thrust23THRUST_200600_302600_NS6detail15normal_iteratorINSA_10device_ptrIxEEEEPS6_SG_NS0_5tupleIJSF_S6_EEENSH_IJSG_SG_EEES6_PlJNSB_9not_fun_tI7is_evenIxEEEEEE10hipError_tPvRmT3_T4_T5_T6_T7_T9_mT8_P12ihipStream_tbDpT10_ENKUlT_T0_E_clISt17integral_constantIbLb1EES17_IbLb0EEEEDaS13_S14_EUlS13_E_NS1_11comp_targetILNS1_3genE3ELNS1_11target_archE908ELNS1_3gpuE7ELNS1_3repE0EEENS1_30default_config_static_selectorELNS0_4arch9wavefront6targetE0EEEvT1_.uses_vcc, 0
	.set _ZN7rocprim17ROCPRIM_400000_NS6detail17trampoline_kernelINS0_14default_configENS1_25partition_config_selectorILNS1_17partition_subalgoE6ExNS0_10empty_typeEbEEZZNS1_14partition_implILS5_6ELb0ES3_mN6thrust23THRUST_200600_302600_NS6detail15normal_iteratorINSA_10device_ptrIxEEEEPS6_SG_NS0_5tupleIJSF_S6_EEENSH_IJSG_SG_EEES6_PlJNSB_9not_fun_tI7is_evenIxEEEEEE10hipError_tPvRmT3_T4_T5_T6_T7_T9_mT8_P12ihipStream_tbDpT10_ENKUlT_T0_E_clISt17integral_constantIbLb1EES17_IbLb0EEEEDaS13_S14_EUlS13_E_NS1_11comp_targetILNS1_3genE3ELNS1_11target_archE908ELNS1_3gpuE7ELNS1_3repE0EEENS1_30default_config_static_selectorELNS0_4arch9wavefront6targetE0EEEvT1_.uses_flat_scratch, 0
	.set _ZN7rocprim17ROCPRIM_400000_NS6detail17trampoline_kernelINS0_14default_configENS1_25partition_config_selectorILNS1_17partition_subalgoE6ExNS0_10empty_typeEbEEZZNS1_14partition_implILS5_6ELb0ES3_mN6thrust23THRUST_200600_302600_NS6detail15normal_iteratorINSA_10device_ptrIxEEEEPS6_SG_NS0_5tupleIJSF_S6_EEENSH_IJSG_SG_EEES6_PlJNSB_9not_fun_tI7is_evenIxEEEEEE10hipError_tPvRmT3_T4_T5_T6_T7_T9_mT8_P12ihipStream_tbDpT10_ENKUlT_T0_E_clISt17integral_constantIbLb1EES17_IbLb0EEEEDaS13_S14_EUlS13_E_NS1_11comp_targetILNS1_3genE3ELNS1_11target_archE908ELNS1_3gpuE7ELNS1_3repE0EEENS1_30default_config_static_selectorELNS0_4arch9wavefront6targetE0EEEvT1_.has_dyn_sized_stack, 0
	.set _ZN7rocprim17ROCPRIM_400000_NS6detail17trampoline_kernelINS0_14default_configENS1_25partition_config_selectorILNS1_17partition_subalgoE6ExNS0_10empty_typeEbEEZZNS1_14partition_implILS5_6ELb0ES3_mN6thrust23THRUST_200600_302600_NS6detail15normal_iteratorINSA_10device_ptrIxEEEEPS6_SG_NS0_5tupleIJSF_S6_EEENSH_IJSG_SG_EEES6_PlJNSB_9not_fun_tI7is_evenIxEEEEEE10hipError_tPvRmT3_T4_T5_T6_T7_T9_mT8_P12ihipStream_tbDpT10_ENKUlT_T0_E_clISt17integral_constantIbLb1EES17_IbLb0EEEEDaS13_S14_EUlS13_E_NS1_11comp_targetILNS1_3genE3ELNS1_11target_archE908ELNS1_3gpuE7ELNS1_3repE0EEENS1_30default_config_static_selectorELNS0_4arch9wavefront6targetE0EEEvT1_.has_recursion, 0
	.set _ZN7rocprim17ROCPRIM_400000_NS6detail17trampoline_kernelINS0_14default_configENS1_25partition_config_selectorILNS1_17partition_subalgoE6ExNS0_10empty_typeEbEEZZNS1_14partition_implILS5_6ELb0ES3_mN6thrust23THRUST_200600_302600_NS6detail15normal_iteratorINSA_10device_ptrIxEEEEPS6_SG_NS0_5tupleIJSF_S6_EEENSH_IJSG_SG_EEES6_PlJNSB_9not_fun_tI7is_evenIxEEEEEE10hipError_tPvRmT3_T4_T5_T6_T7_T9_mT8_P12ihipStream_tbDpT10_ENKUlT_T0_E_clISt17integral_constantIbLb1EES17_IbLb0EEEEDaS13_S14_EUlS13_E_NS1_11comp_targetILNS1_3genE3ELNS1_11target_archE908ELNS1_3gpuE7ELNS1_3repE0EEENS1_30default_config_static_selectorELNS0_4arch9wavefront6targetE0EEEvT1_.has_indirect_call, 0
	.section	.AMDGPU.csdata,"",@progbits
; Kernel info:
; codeLenInByte = 0
; TotalNumSgprs: 0
; NumVgprs: 0
; ScratchSize: 0
; MemoryBound: 0
; FloatMode: 240
; IeeeMode: 1
; LDSByteSize: 0 bytes/workgroup (compile time only)
; SGPRBlocks: 0
; VGPRBlocks: 0
; NumSGPRsForWavesPerEU: 1
; NumVGPRsForWavesPerEU: 1
; Occupancy: 16
; WaveLimiterHint : 0
; COMPUTE_PGM_RSRC2:SCRATCH_EN: 0
; COMPUTE_PGM_RSRC2:USER_SGPR: 2
; COMPUTE_PGM_RSRC2:TRAP_HANDLER: 0
; COMPUTE_PGM_RSRC2:TGID_X_EN: 1
; COMPUTE_PGM_RSRC2:TGID_Y_EN: 0
; COMPUTE_PGM_RSRC2:TGID_Z_EN: 0
; COMPUTE_PGM_RSRC2:TIDIG_COMP_CNT: 0
	.section	.text._ZN7rocprim17ROCPRIM_400000_NS6detail17trampoline_kernelINS0_14default_configENS1_25partition_config_selectorILNS1_17partition_subalgoE6ExNS0_10empty_typeEbEEZZNS1_14partition_implILS5_6ELb0ES3_mN6thrust23THRUST_200600_302600_NS6detail15normal_iteratorINSA_10device_ptrIxEEEEPS6_SG_NS0_5tupleIJSF_S6_EEENSH_IJSG_SG_EEES6_PlJNSB_9not_fun_tI7is_evenIxEEEEEE10hipError_tPvRmT3_T4_T5_T6_T7_T9_mT8_P12ihipStream_tbDpT10_ENKUlT_T0_E_clISt17integral_constantIbLb1EES17_IbLb0EEEEDaS13_S14_EUlS13_E_NS1_11comp_targetILNS1_3genE2ELNS1_11target_archE906ELNS1_3gpuE6ELNS1_3repE0EEENS1_30default_config_static_selectorELNS0_4arch9wavefront6targetE0EEEvT1_,"axG",@progbits,_ZN7rocprim17ROCPRIM_400000_NS6detail17trampoline_kernelINS0_14default_configENS1_25partition_config_selectorILNS1_17partition_subalgoE6ExNS0_10empty_typeEbEEZZNS1_14partition_implILS5_6ELb0ES3_mN6thrust23THRUST_200600_302600_NS6detail15normal_iteratorINSA_10device_ptrIxEEEEPS6_SG_NS0_5tupleIJSF_S6_EEENSH_IJSG_SG_EEES6_PlJNSB_9not_fun_tI7is_evenIxEEEEEE10hipError_tPvRmT3_T4_T5_T6_T7_T9_mT8_P12ihipStream_tbDpT10_ENKUlT_T0_E_clISt17integral_constantIbLb1EES17_IbLb0EEEEDaS13_S14_EUlS13_E_NS1_11comp_targetILNS1_3genE2ELNS1_11target_archE906ELNS1_3gpuE6ELNS1_3repE0EEENS1_30default_config_static_selectorELNS0_4arch9wavefront6targetE0EEEvT1_,comdat
	.protected	_ZN7rocprim17ROCPRIM_400000_NS6detail17trampoline_kernelINS0_14default_configENS1_25partition_config_selectorILNS1_17partition_subalgoE6ExNS0_10empty_typeEbEEZZNS1_14partition_implILS5_6ELb0ES3_mN6thrust23THRUST_200600_302600_NS6detail15normal_iteratorINSA_10device_ptrIxEEEEPS6_SG_NS0_5tupleIJSF_S6_EEENSH_IJSG_SG_EEES6_PlJNSB_9not_fun_tI7is_evenIxEEEEEE10hipError_tPvRmT3_T4_T5_T6_T7_T9_mT8_P12ihipStream_tbDpT10_ENKUlT_T0_E_clISt17integral_constantIbLb1EES17_IbLb0EEEEDaS13_S14_EUlS13_E_NS1_11comp_targetILNS1_3genE2ELNS1_11target_archE906ELNS1_3gpuE6ELNS1_3repE0EEENS1_30default_config_static_selectorELNS0_4arch9wavefront6targetE0EEEvT1_ ; -- Begin function _ZN7rocprim17ROCPRIM_400000_NS6detail17trampoline_kernelINS0_14default_configENS1_25partition_config_selectorILNS1_17partition_subalgoE6ExNS0_10empty_typeEbEEZZNS1_14partition_implILS5_6ELb0ES3_mN6thrust23THRUST_200600_302600_NS6detail15normal_iteratorINSA_10device_ptrIxEEEEPS6_SG_NS0_5tupleIJSF_S6_EEENSH_IJSG_SG_EEES6_PlJNSB_9not_fun_tI7is_evenIxEEEEEE10hipError_tPvRmT3_T4_T5_T6_T7_T9_mT8_P12ihipStream_tbDpT10_ENKUlT_T0_E_clISt17integral_constantIbLb1EES17_IbLb0EEEEDaS13_S14_EUlS13_E_NS1_11comp_targetILNS1_3genE2ELNS1_11target_archE906ELNS1_3gpuE6ELNS1_3repE0EEENS1_30default_config_static_selectorELNS0_4arch9wavefront6targetE0EEEvT1_
	.globl	_ZN7rocprim17ROCPRIM_400000_NS6detail17trampoline_kernelINS0_14default_configENS1_25partition_config_selectorILNS1_17partition_subalgoE6ExNS0_10empty_typeEbEEZZNS1_14partition_implILS5_6ELb0ES3_mN6thrust23THRUST_200600_302600_NS6detail15normal_iteratorINSA_10device_ptrIxEEEEPS6_SG_NS0_5tupleIJSF_S6_EEENSH_IJSG_SG_EEES6_PlJNSB_9not_fun_tI7is_evenIxEEEEEE10hipError_tPvRmT3_T4_T5_T6_T7_T9_mT8_P12ihipStream_tbDpT10_ENKUlT_T0_E_clISt17integral_constantIbLb1EES17_IbLb0EEEEDaS13_S14_EUlS13_E_NS1_11comp_targetILNS1_3genE2ELNS1_11target_archE906ELNS1_3gpuE6ELNS1_3repE0EEENS1_30default_config_static_selectorELNS0_4arch9wavefront6targetE0EEEvT1_
	.p2align	8
	.type	_ZN7rocprim17ROCPRIM_400000_NS6detail17trampoline_kernelINS0_14default_configENS1_25partition_config_selectorILNS1_17partition_subalgoE6ExNS0_10empty_typeEbEEZZNS1_14partition_implILS5_6ELb0ES3_mN6thrust23THRUST_200600_302600_NS6detail15normal_iteratorINSA_10device_ptrIxEEEEPS6_SG_NS0_5tupleIJSF_S6_EEENSH_IJSG_SG_EEES6_PlJNSB_9not_fun_tI7is_evenIxEEEEEE10hipError_tPvRmT3_T4_T5_T6_T7_T9_mT8_P12ihipStream_tbDpT10_ENKUlT_T0_E_clISt17integral_constantIbLb1EES17_IbLb0EEEEDaS13_S14_EUlS13_E_NS1_11comp_targetILNS1_3genE2ELNS1_11target_archE906ELNS1_3gpuE6ELNS1_3repE0EEENS1_30default_config_static_selectorELNS0_4arch9wavefront6targetE0EEEvT1_,@function
_ZN7rocprim17ROCPRIM_400000_NS6detail17trampoline_kernelINS0_14default_configENS1_25partition_config_selectorILNS1_17partition_subalgoE6ExNS0_10empty_typeEbEEZZNS1_14partition_implILS5_6ELb0ES3_mN6thrust23THRUST_200600_302600_NS6detail15normal_iteratorINSA_10device_ptrIxEEEEPS6_SG_NS0_5tupleIJSF_S6_EEENSH_IJSG_SG_EEES6_PlJNSB_9not_fun_tI7is_evenIxEEEEEE10hipError_tPvRmT3_T4_T5_T6_T7_T9_mT8_P12ihipStream_tbDpT10_ENKUlT_T0_E_clISt17integral_constantIbLb1EES17_IbLb0EEEEDaS13_S14_EUlS13_E_NS1_11comp_targetILNS1_3genE2ELNS1_11target_archE906ELNS1_3gpuE6ELNS1_3repE0EEENS1_30default_config_static_selectorELNS0_4arch9wavefront6targetE0EEEvT1_: ; @_ZN7rocprim17ROCPRIM_400000_NS6detail17trampoline_kernelINS0_14default_configENS1_25partition_config_selectorILNS1_17partition_subalgoE6ExNS0_10empty_typeEbEEZZNS1_14partition_implILS5_6ELb0ES3_mN6thrust23THRUST_200600_302600_NS6detail15normal_iteratorINSA_10device_ptrIxEEEEPS6_SG_NS0_5tupleIJSF_S6_EEENSH_IJSG_SG_EEES6_PlJNSB_9not_fun_tI7is_evenIxEEEEEE10hipError_tPvRmT3_T4_T5_T6_T7_T9_mT8_P12ihipStream_tbDpT10_ENKUlT_T0_E_clISt17integral_constantIbLb1EES17_IbLb0EEEEDaS13_S14_EUlS13_E_NS1_11comp_targetILNS1_3genE2ELNS1_11target_archE906ELNS1_3gpuE6ELNS1_3repE0EEENS1_30default_config_static_selectorELNS0_4arch9wavefront6targetE0EEEvT1_
; %bb.0:
	.section	.rodata,"a",@progbits
	.p2align	6, 0x0
	.amdhsa_kernel _ZN7rocprim17ROCPRIM_400000_NS6detail17trampoline_kernelINS0_14default_configENS1_25partition_config_selectorILNS1_17partition_subalgoE6ExNS0_10empty_typeEbEEZZNS1_14partition_implILS5_6ELb0ES3_mN6thrust23THRUST_200600_302600_NS6detail15normal_iteratorINSA_10device_ptrIxEEEEPS6_SG_NS0_5tupleIJSF_S6_EEENSH_IJSG_SG_EEES6_PlJNSB_9not_fun_tI7is_evenIxEEEEEE10hipError_tPvRmT3_T4_T5_T6_T7_T9_mT8_P12ihipStream_tbDpT10_ENKUlT_T0_E_clISt17integral_constantIbLb1EES17_IbLb0EEEEDaS13_S14_EUlS13_E_NS1_11comp_targetILNS1_3genE2ELNS1_11target_archE906ELNS1_3gpuE6ELNS1_3repE0EEENS1_30default_config_static_selectorELNS0_4arch9wavefront6targetE0EEEvT1_
		.amdhsa_group_segment_fixed_size 0
		.amdhsa_private_segment_fixed_size 0
		.amdhsa_kernarg_size 112
		.amdhsa_user_sgpr_count 2
		.amdhsa_user_sgpr_dispatch_ptr 0
		.amdhsa_user_sgpr_queue_ptr 0
		.amdhsa_user_sgpr_kernarg_segment_ptr 1
		.amdhsa_user_sgpr_dispatch_id 0
		.amdhsa_user_sgpr_private_segment_size 0
		.amdhsa_wavefront_size32 1
		.amdhsa_uses_dynamic_stack 0
		.amdhsa_enable_private_segment 0
		.amdhsa_system_sgpr_workgroup_id_x 1
		.amdhsa_system_sgpr_workgroup_id_y 0
		.amdhsa_system_sgpr_workgroup_id_z 0
		.amdhsa_system_sgpr_workgroup_info 0
		.amdhsa_system_vgpr_workitem_id 0
		.amdhsa_next_free_vgpr 1
		.amdhsa_next_free_sgpr 1
		.amdhsa_reserve_vcc 0
		.amdhsa_float_round_mode_32 0
		.amdhsa_float_round_mode_16_64 0
		.amdhsa_float_denorm_mode_32 3
		.amdhsa_float_denorm_mode_16_64 3
		.amdhsa_fp16_overflow 0
		.amdhsa_workgroup_processor_mode 1
		.amdhsa_memory_ordered 1
		.amdhsa_forward_progress 1
		.amdhsa_inst_pref_size 0
		.amdhsa_round_robin_scheduling 0
		.amdhsa_exception_fp_ieee_invalid_op 0
		.amdhsa_exception_fp_denorm_src 0
		.amdhsa_exception_fp_ieee_div_zero 0
		.amdhsa_exception_fp_ieee_overflow 0
		.amdhsa_exception_fp_ieee_underflow 0
		.amdhsa_exception_fp_ieee_inexact 0
		.amdhsa_exception_int_div_zero 0
	.end_amdhsa_kernel
	.section	.text._ZN7rocprim17ROCPRIM_400000_NS6detail17trampoline_kernelINS0_14default_configENS1_25partition_config_selectorILNS1_17partition_subalgoE6ExNS0_10empty_typeEbEEZZNS1_14partition_implILS5_6ELb0ES3_mN6thrust23THRUST_200600_302600_NS6detail15normal_iteratorINSA_10device_ptrIxEEEEPS6_SG_NS0_5tupleIJSF_S6_EEENSH_IJSG_SG_EEES6_PlJNSB_9not_fun_tI7is_evenIxEEEEEE10hipError_tPvRmT3_T4_T5_T6_T7_T9_mT8_P12ihipStream_tbDpT10_ENKUlT_T0_E_clISt17integral_constantIbLb1EES17_IbLb0EEEEDaS13_S14_EUlS13_E_NS1_11comp_targetILNS1_3genE2ELNS1_11target_archE906ELNS1_3gpuE6ELNS1_3repE0EEENS1_30default_config_static_selectorELNS0_4arch9wavefront6targetE0EEEvT1_,"axG",@progbits,_ZN7rocprim17ROCPRIM_400000_NS6detail17trampoline_kernelINS0_14default_configENS1_25partition_config_selectorILNS1_17partition_subalgoE6ExNS0_10empty_typeEbEEZZNS1_14partition_implILS5_6ELb0ES3_mN6thrust23THRUST_200600_302600_NS6detail15normal_iteratorINSA_10device_ptrIxEEEEPS6_SG_NS0_5tupleIJSF_S6_EEENSH_IJSG_SG_EEES6_PlJNSB_9not_fun_tI7is_evenIxEEEEEE10hipError_tPvRmT3_T4_T5_T6_T7_T9_mT8_P12ihipStream_tbDpT10_ENKUlT_T0_E_clISt17integral_constantIbLb1EES17_IbLb0EEEEDaS13_S14_EUlS13_E_NS1_11comp_targetILNS1_3genE2ELNS1_11target_archE906ELNS1_3gpuE6ELNS1_3repE0EEENS1_30default_config_static_selectorELNS0_4arch9wavefront6targetE0EEEvT1_,comdat
.Lfunc_end713:
	.size	_ZN7rocprim17ROCPRIM_400000_NS6detail17trampoline_kernelINS0_14default_configENS1_25partition_config_selectorILNS1_17partition_subalgoE6ExNS0_10empty_typeEbEEZZNS1_14partition_implILS5_6ELb0ES3_mN6thrust23THRUST_200600_302600_NS6detail15normal_iteratorINSA_10device_ptrIxEEEEPS6_SG_NS0_5tupleIJSF_S6_EEENSH_IJSG_SG_EEES6_PlJNSB_9not_fun_tI7is_evenIxEEEEEE10hipError_tPvRmT3_T4_T5_T6_T7_T9_mT8_P12ihipStream_tbDpT10_ENKUlT_T0_E_clISt17integral_constantIbLb1EES17_IbLb0EEEEDaS13_S14_EUlS13_E_NS1_11comp_targetILNS1_3genE2ELNS1_11target_archE906ELNS1_3gpuE6ELNS1_3repE0EEENS1_30default_config_static_selectorELNS0_4arch9wavefront6targetE0EEEvT1_, .Lfunc_end713-_ZN7rocprim17ROCPRIM_400000_NS6detail17trampoline_kernelINS0_14default_configENS1_25partition_config_selectorILNS1_17partition_subalgoE6ExNS0_10empty_typeEbEEZZNS1_14partition_implILS5_6ELb0ES3_mN6thrust23THRUST_200600_302600_NS6detail15normal_iteratorINSA_10device_ptrIxEEEEPS6_SG_NS0_5tupleIJSF_S6_EEENSH_IJSG_SG_EEES6_PlJNSB_9not_fun_tI7is_evenIxEEEEEE10hipError_tPvRmT3_T4_T5_T6_T7_T9_mT8_P12ihipStream_tbDpT10_ENKUlT_T0_E_clISt17integral_constantIbLb1EES17_IbLb0EEEEDaS13_S14_EUlS13_E_NS1_11comp_targetILNS1_3genE2ELNS1_11target_archE906ELNS1_3gpuE6ELNS1_3repE0EEENS1_30default_config_static_selectorELNS0_4arch9wavefront6targetE0EEEvT1_
                                        ; -- End function
	.set _ZN7rocprim17ROCPRIM_400000_NS6detail17trampoline_kernelINS0_14default_configENS1_25partition_config_selectorILNS1_17partition_subalgoE6ExNS0_10empty_typeEbEEZZNS1_14partition_implILS5_6ELb0ES3_mN6thrust23THRUST_200600_302600_NS6detail15normal_iteratorINSA_10device_ptrIxEEEEPS6_SG_NS0_5tupleIJSF_S6_EEENSH_IJSG_SG_EEES6_PlJNSB_9not_fun_tI7is_evenIxEEEEEE10hipError_tPvRmT3_T4_T5_T6_T7_T9_mT8_P12ihipStream_tbDpT10_ENKUlT_T0_E_clISt17integral_constantIbLb1EES17_IbLb0EEEEDaS13_S14_EUlS13_E_NS1_11comp_targetILNS1_3genE2ELNS1_11target_archE906ELNS1_3gpuE6ELNS1_3repE0EEENS1_30default_config_static_selectorELNS0_4arch9wavefront6targetE0EEEvT1_.num_vgpr, 0
	.set _ZN7rocprim17ROCPRIM_400000_NS6detail17trampoline_kernelINS0_14default_configENS1_25partition_config_selectorILNS1_17partition_subalgoE6ExNS0_10empty_typeEbEEZZNS1_14partition_implILS5_6ELb0ES3_mN6thrust23THRUST_200600_302600_NS6detail15normal_iteratorINSA_10device_ptrIxEEEEPS6_SG_NS0_5tupleIJSF_S6_EEENSH_IJSG_SG_EEES6_PlJNSB_9not_fun_tI7is_evenIxEEEEEE10hipError_tPvRmT3_T4_T5_T6_T7_T9_mT8_P12ihipStream_tbDpT10_ENKUlT_T0_E_clISt17integral_constantIbLb1EES17_IbLb0EEEEDaS13_S14_EUlS13_E_NS1_11comp_targetILNS1_3genE2ELNS1_11target_archE906ELNS1_3gpuE6ELNS1_3repE0EEENS1_30default_config_static_selectorELNS0_4arch9wavefront6targetE0EEEvT1_.num_agpr, 0
	.set _ZN7rocprim17ROCPRIM_400000_NS6detail17trampoline_kernelINS0_14default_configENS1_25partition_config_selectorILNS1_17partition_subalgoE6ExNS0_10empty_typeEbEEZZNS1_14partition_implILS5_6ELb0ES3_mN6thrust23THRUST_200600_302600_NS6detail15normal_iteratorINSA_10device_ptrIxEEEEPS6_SG_NS0_5tupleIJSF_S6_EEENSH_IJSG_SG_EEES6_PlJNSB_9not_fun_tI7is_evenIxEEEEEE10hipError_tPvRmT3_T4_T5_T6_T7_T9_mT8_P12ihipStream_tbDpT10_ENKUlT_T0_E_clISt17integral_constantIbLb1EES17_IbLb0EEEEDaS13_S14_EUlS13_E_NS1_11comp_targetILNS1_3genE2ELNS1_11target_archE906ELNS1_3gpuE6ELNS1_3repE0EEENS1_30default_config_static_selectorELNS0_4arch9wavefront6targetE0EEEvT1_.numbered_sgpr, 0
	.set _ZN7rocprim17ROCPRIM_400000_NS6detail17trampoline_kernelINS0_14default_configENS1_25partition_config_selectorILNS1_17partition_subalgoE6ExNS0_10empty_typeEbEEZZNS1_14partition_implILS5_6ELb0ES3_mN6thrust23THRUST_200600_302600_NS6detail15normal_iteratorINSA_10device_ptrIxEEEEPS6_SG_NS0_5tupleIJSF_S6_EEENSH_IJSG_SG_EEES6_PlJNSB_9not_fun_tI7is_evenIxEEEEEE10hipError_tPvRmT3_T4_T5_T6_T7_T9_mT8_P12ihipStream_tbDpT10_ENKUlT_T0_E_clISt17integral_constantIbLb1EES17_IbLb0EEEEDaS13_S14_EUlS13_E_NS1_11comp_targetILNS1_3genE2ELNS1_11target_archE906ELNS1_3gpuE6ELNS1_3repE0EEENS1_30default_config_static_selectorELNS0_4arch9wavefront6targetE0EEEvT1_.num_named_barrier, 0
	.set _ZN7rocprim17ROCPRIM_400000_NS6detail17trampoline_kernelINS0_14default_configENS1_25partition_config_selectorILNS1_17partition_subalgoE6ExNS0_10empty_typeEbEEZZNS1_14partition_implILS5_6ELb0ES3_mN6thrust23THRUST_200600_302600_NS6detail15normal_iteratorINSA_10device_ptrIxEEEEPS6_SG_NS0_5tupleIJSF_S6_EEENSH_IJSG_SG_EEES6_PlJNSB_9not_fun_tI7is_evenIxEEEEEE10hipError_tPvRmT3_T4_T5_T6_T7_T9_mT8_P12ihipStream_tbDpT10_ENKUlT_T0_E_clISt17integral_constantIbLb1EES17_IbLb0EEEEDaS13_S14_EUlS13_E_NS1_11comp_targetILNS1_3genE2ELNS1_11target_archE906ELNS1_3gpuE6ELNS1_3repE0EEENS1_30default_config_static_selectorELNS0_4arch9wavefront6targetE0EEEvT1_.private_seg_size, 0
	.set _ZN7rocprim17ROCPRIM_400000_NS6detail17trampoline_kernelINS0_14default_configENS1_25partition_config_selectorILNS1_17partition_subalgoE6ExNS0_10empty_typeEbEEZZNS1_14partition_implILS5_6ELb0ES3_mN6thrust23THRUST_200600_302600_NS6detail15normal_iteratorINSA_10device_ptrIxEEEEPS6_SG_NS0_5tupleIJSF_S6_EEENSH_IJSG_SG_EEES6_PlJNSB_9not_fun_tI7is_evenIxEEEEEE10hipError_tPvRmT3_T4_T5_T6_T7_T9_mT8_P12ihipStream_tbDpT10_ENKUlT_T0_E_clISt17integral_constantIbLb1EES17_IbLb0EEEEDaS13_S14_EUlS13_E_NS1_11comp_targetILNS1_3genE2ELNS1_11target_archE906ELNS1_3gpuE6ELNS1_3repE0EEENS1_30default_config_static_selectorELNS0_4arch9wavefront6targetE0EEEvT1_.uses_vcc, 0
	.set _ZN7rocprim17ROCPRIM_400000_NS6detail17trampoline_kernelINS0_14default_configENS1_25partition_config_selectorILNS1_17partition_subalgoE6ExNS0_10empty_typeEbEEZZNS1_14partition_implILS5_6ELb0ES3_mN6thrust23THRUST_200600_302600_NS6detail15normal_iteratorINSA_10device_ptrIxEEEEPS6_SG_NS0_5tupleIJSF_S6_EEENSH_IJSG_SG_EEES6_PlJNSB_9not_fun_tI7is_evenIxEEEEEE10hipError_tPvRmT3_T4_T5_T6_T7_T9_mT8_P12ihipStream_tbDpT10_ENKUlT_T0_E_clISt17integral_constantIbLb1EES17_IbLb0EEEEDaS13_S14_EUlS13_E_NS1_11comp_targetILNS1_3genE2ELNS1_11target_archE906ELNS1_3gpuE6ELNS1_3repE0EEENS1_30default_config_static_selectorELNS0_4arch9wavefront6targetE0EEEvT1_.uses_flat_scratch, 0
	.set _ZN7rocprim17ROCPRIM_400000_NS6detail17trampoline_kernelINS0_14default_configENS1_25partition_config_selectorILNS1_17partition_subalgoE6ExNS0_10empty_typeEbEEZZNS1_14partition_implILS5_6ELb0ES3_mN6thrust23THRUST_200600_302600_NS6detail15normal_iteratorINSA_10device_ptrIxEEEEPS6_SG_NS0_5tupleIJSF_S6_EEENSH_IJSG_SG_EEES6_PlJNSB_9not_fun_tI7is_evenIxEEEEEE10hipError_tPvRmT3_T4_T5_T6_T7_T9_mT8_P12ihipStream_tbDpT10_ENKUlT_T0_E_clISt17integral_constantIbLb1EES17_IbLb0EEEEDaS13_S14_EUlS13_E_NS1_11comp_targetILNS1_3genE2ELNS1_11target_archE906ELNS1_3gpuE6ELNS1_3repE0EEENS1_30default_config_static_selectorELNS0_4arch9wavefront6targetE0EEEvT1_.has_dyn_sized_stack, 0
	.set _ZN7rocprim17ROCPRIM_400000_NS6detail17trampoline_kernelINS0_14default_configENS1_25partition_config_selectorILNS1_17partition_subalgoE6ExNS0_10empty_typeEbEEZZNS1_14partition_implILS5_6ELb0ES3_mN6thrust23THRUST_200600_302600_NS6detail15normal_iteratorINSA_10device_ptrIxEEEEPS6_SG_NS0_5tupleIJSF_S6_EEENSH_IJSG_SG_EEES6_PlJNSB_9not_fun_tI7is_evenIxEEEEEE10hipError_tPvRmT3_T4_T5_T6_T7_T9_mT8_P12ihipStream_tbDpT10_ENKUlT_T0_E_clISt17integral_constantIbLb1EES17_IbLb0EEEEDaS13_S14_EUlS13_E_NS1_11comp_targetILNS1_3genE2ELNS1_11target_archE906ELNS1_3gpuE6ELNS1_3repE0EEENS1_30default_config_static_selectorELNS0_4arch9wavefront6targetE0EEEvT1_.has_recursion, 0
	.set _ZN7rocprim17ROCPRIM_400000_NS6detail17trampoline_kernelINS0_14default_configENS1_25partition_config_selectorILNS1_17partition_subalgoE6ExNS0_10empty_typeEbEEZZNS1_14partition_implILS5_6ELb0ES3_mN6thrust23THRUST_200600_302600_NS6detail15normal_iteratorINSA_10device_ptrIxEEEEPS6_SG_NS0_5tupleIJSF_S6_EEENSH_IJSG_SG_EEES6_PlJNSB_9not_fun_tI7is_evenIxEEEEEE10hipError_tPvRmT3_T4_T5_T6_T7_T9_mT8_P12ihipStream_tbDpT10_ENKUlT_T0_E_clISt17integral_constantIbLb1EES17_IbLb0EEEEDaS13_S14_EUlS13_E_NS1_11comp_targetILNS1_3genE2ELNS1_11target_archE906ELNS1_3gpuE6ELNS1_3repE0EEENS1_30default_config_static_selectorELNS0_4arch9wavefront6targetE0EEEvT1_.has_indirect_call, 0
	.section	.AMDGPU.csdata,"",@progbits
; Kernel info:
; codeLenInByte = 0
; TotalNumSgprs: 0
; NumVgprs: 0
; ScratchSize: 0
; MemoryBound: 0
; FloatMode: 240
; IeeeMode: 1
; LDSByteSize: 0 bytes/workgroup (compile time only)
; SGPRBlocks: 0
; VGPRBlocks: 0
; NumSGPRsForWavesPerEU: 1
; NumVGPRsForWavesPerEU: 1
; Occupancy: 16
; WaveLimiterHint : 0
; COMPUTE_PGM_RSRC2:SCRATCH_EN: 0
; COMPUTE_PGM_RSRC2:USER_SGPR: 2
; COMPUTE_PGM_RSRC2:TRAP_HANDLER: 0
; COMPUTE_PGM_RSRC2:TGID_X_EN: 1
; COMPUTE_PGM_RSRC2:TGID_Y_EN: 0
; COMPUTE_PGM_RSRC2:TGID_Z_EN: 0
; COMPUTE_PGM_RSRC2:TIDIG_COMP_CNT: 0
	.section	.text._ZN7rocprim17ROCPRIM_400000_NS6detail17trampoline_kernelINS0_14default_configENS1_25partition_config_selectorILNS1_17partition_subalgoE6ExNS0_10empty_typeEbEEZZNS1_14partition_implILS5_6ELb0ES3_mN6thrust23THRUST_200600_302600_NS6detail15normal_iteratorINSA_10device_ptrIxEEEEPS6_SG_NS0_5tupleIJSF_S6_EEENSH_IJSG_SG_EEES6_PlJNSB_9not_fun_tI7is_evenIxEEEEEE10hipError_tPvRmT3_T4_T5_T6_T7_T9_mT8_P12ihipStream_tbDpT10_ENKUlT_T0_E_clISt17integral_constantIbLb1EES17_IbLb0EEEEDaS13_S14_EUlS13_E_NS1_11comp_targetILNS1_3genE10ELNS1_11target_archE1200ELNS1_3gpuE4ELNS1_3repE0EEENS1_30default_config_static_selectorELNS0_4arch9wavefront6targetE0EEEvT1_,"axG",@progbits,_ZN7rocprim17ROCPRIM_400000_NS6detail17trampoline_kernelINS0_14default_configENS1_25partition_config_selectorILNS1_17partition_subalgoE6ExNS0_10empty_typeEbEEZZNS1_14partition_implILS5_6ELb0ES3_mN6thrust23THRUST_200600_302600_NS6detail15normal_iteratorINSA_10device_ptrIxEEEEPS6_SG_NS0_5tupleIJSF_S6_EEENSH_IJSG_SG_EEES6_PlJNSB_9not_fun_tI7is_evenIxEEEEEE10hipError_tPvRmT3_T4_T5_T6_T7_T9_mT8_P12ihipStream_tbDpT10_ENKUlT_T0_E_clISt17integral_constantIbLb1EES17_IbLb0EEEEDaS13_S14_EUlS13_E_NS1_11comp_targetILNS1_3genE10ELNS1_11target_archE1200ELNS1_3gpuE4ELNS1_3repE0EEENS1_30default_config_static_selectorELNS0_4arch9wavefront6targetE0EEEvT1_,comdat
	.protected	_ZN7rocprim17ROCPRIM_400000_NS6detail17trampoline_kernelINS0_14default_configENS1_25partition_config_selectorILNS1_17partition_subalgoE6ExNS0_10empty_typeEbEEZZNS1_14partition_implILS5_6ELb0ES3_mN6thrust23THRUST_200600_302600_NS6detail15normal_iteratorINSA_10device_ptrIxEEEEPS6_SG_NS0_5tupleIJSF_S6_EEENSH_IJSG_SG_EEES6_PlJNSB_9not_fun_tI7is_evenIxEEEEEE10hipError_tPvRmT3_T4_T5_T6_T7_T9_mT8_P12ihipStream_tbDpT10_ENKUlT_T0_E_clISt17integral_constantIbLb1EES17_IbLb0EEEEDaS13_S14_EUlS13_E_NS1_11comp_targetILNS1_3genE10ELNS1_11target_archE1200ELNS1_3gpuE4ELNS1_3repE0EEENS1_30default_config_static_selectorELNS0_4arch9wavefront6targetE0EEEvT1_ ; -- Begin function _ZN7rocprim17ROCPRIM_400000_NS6detail17trampoline_kernelINS0_14default_configENS1_25partition_config_selectorILNS1_17partition_subalgoE6ExNS0_10empty_typeEbEEZZNS1_14partition_implILS5_6ELb0ES3_mN6thrust23THRUST_200600_302600_NS6detail15normal_iteratorINSA_10device_ptrIxEEEEPS6_SG_NS0_5tupleIJSF_S6_EEENSH_IJSG_SG_EEES6_PlJNSB_9not_fun_tI7is_evenIxEEEEEE10hipError_tPvRmT3_T4_T5_T6_T7_T9_mT8_P12ihipStream_tbDpT10_ENKUlT_T0_E_clISt17integral_constantIbLb1EES17_IbLb0EEEEDaS13_S14_EUlS13_E_NS1_11comp_targetILNS1_3genE10ELNS1_11target_archE1200ELNS1_3gpuE4ELNS1_3repE0EEENS1_30default_config_static_selectorELNS0_4arch9wavefront6targetE0EEEvT1_
	.globl	_ZN7rocprim17ROCPRIM_400000_NS6detail17trampoline_kernelINS0_14default_configENS1_25partition_config_selectorILNS1_17partition_subalgoE6ExNS0_10empty_typeEbEEZZNS1_14partition_implILS5_6ELb0ES3_mN6thrust23THRUST_200600_302600_NS6detail15normal_iteratorINSA_10device_ptrIxEEEEPS6_SG_NS0_5tupleIJSF_S6_EEENSH_IJSG_SG_EEES6_PlJNSB_9not_fun_tI7is_evenIxEEEEEE10hipError_tPvRmT3_T4_T5_T6_T7_T9_mT8_P12ihipStream_tbDpT10_ENKUlT_T0_E_clISt17integral_constantIbLb1EES17_IbLb0EEEEDaS13_S14_EUlS13_E_NS1_11comp_targetILNS1_3genE10ELNS1_11target_archE1200ELNS1_3gpuE4ELNS1_3repE0EEENS1_30default_config_static_selectorELNS0_4arch9wavefront6targetE0EEEvT1_
	.p2align	8
	.type	_ZN7rocprim17ROCPRIM_400000_NS6detail17trampoline_kernelINS0_14default_configENS1_25partition_config_selectorILNS1_17partition_subalgoE6ExNS0_10empty_typeEbEEZZNS1_14partition_implILS5_6ELb0ES3_mN6thrust23THRUST_200600_302600_NS6detail15normal_iteratorINSA_10device_ptrIxEEEEPS6_SG_NS0_5tupleIJSF_S6_EEENSH_IJSG_SG_EEES6_PlJNSB_9not_fun_tI7is_evenIxEEEEEE10hipError_tPvRmT3_T4_T5_T6_T7_T9_mT8_P12ihipStream_tbDpT10_ENKUlT_T0_E_clISt17integral_constantIbLb1EES17_IbLb0EEEEDaS13_S14_EUlS13_E_NS1_11comp_targetILNS1_3genE10ELNS1_11target_archE1200ELNS1_3gpuE4ELNS1_3repE0EEENS1_30default_config_static_selectorELNS0_4arch9wavefront6targetE0EEEvT1_,@function
_ZN7rocprim17ROCPRIM_400000_NS6detail17trampoline_kernelINS0_14default_configENS1_25partition_config_selectorILNS1_17partition_subalgoE6ExNS0_10empty_typeEbEEZZNS1_14partition_implILS5_6ELb0ES3_mN6thrust23THRUST_200600_302600_NS6detail15normal_iteratorINSA_10device_ptrIxEEEEPS6_SG_NS0_5tupleIJSF_S6_EEENSH_IJSG_SG_EEES6_PlJNSB_9not_fun_tI7is_evenIxEEEEEE10hipError_tPvRmT3_T4_T5_T6_T7_T9_mT8_P12ihipStream_tbDpT10_ENKUlT_T0_E_clISt17integral_constantIbLb1EES17_IbLb0EEEEDaS13_S14_EUlS13_E_NS1_11comp_targetILNS1_3genE10ELNS1_11target_archE1200ELNS1_3gpuE4ELNS1_3repE0EEENS1_30default_config_static_selectorELNS0_4arch9wavefront6targetE0EEEvT1_: ; @_ZN7rocprim17ROCPRIM_400000_NS6detail17trampoline_kernelINS0_14default_configENS1_25partition_config_selectorILNS1_17partition_subalgoE6ExNS0_10empty_typeEbEEZZNS1_14partition_implILS5_6ELb0ES3_mN6thrust23THRUST_200600_302600_NS6detail15normal_iteratorINSA_10device_ptrIxEEEEPS6_SG_NS0_5tupleIJSF_S6_EEENSH_IJSG_SG_EEES6_PlJNSB_9not_fun_tI7is_evenIxEEEEEE10hipError_tPvRmT3_T4_T5_T6_T7_T9_mT8_P12ihipStream_tbDpT10_ENKUlT_T0_E_clISt17integral_constantIbLb1EES17_IbLb0EEEEDaS13_S14_EUlS13_E_NS1_11comp_targetILNS1_3genE10ELNS1_11target_archE1200ELNS1_3gpuE4ELNS1_3repE0EEENS1_30default_config_static_selectorELNS0_4arch9wavefront6targetE0EEEvT1_
; %bb.0:
	s_endpgm
	.section	.rodata,"a",@progbits
	.p2align	6, 0x0
	.amdhsa_kernel _ZN7rocprim17ROCPRIM_400000_NS6detail17trampoline_kernelINS0_14default_configENS1_25partition_config_selectorILNS1_17partition_subalgoE6ExNS0_10empty_typeEbEEZZNS1_14partition_implILS5_6ELb0ES3_mN6thrust23THRUST_200600_302600_NS6detail15normal_iteratorINSA_10device_ptrIxEEEEPS6_SG_NS0_5tupleIJSF_S6_EEENSH_IJSG_SG_EEES6_PlJNSB_9not_fun_tI7is_evenIxEEEEEE10hipError_tPvRmT3_T4_T5_T6_T7_T9_mT8_P12ihipStream_tbDpT10_ENKUlT_T0_E_clISt17integral_constantIbLb1EES17_IbLb0EEEEDaS13_S14_EUlS13_E_NS1_11comp_targetILNS1_3genE10ELNS1_11target_archE1200ELNS1_3gpuE4ELNS1_3repE0EEENS1_30default_config_static_selectorELNS0_4arch9wavefront6targetE0EEEvT1_
		.amdhsa_group_segment_fixed_size 0
		.amdhsa_private_segment_fixed_size 0
		.amdhsa_kernarg_size 112
		.amdhsa_user_sgpr_count 2
		.amdhsa_user_sgpr_dispatch_ptr 0
		.amdhsa_user_sgpr_queue_ptr 0
		.amdhsa_user_sgpr_kernarg_segment_ptr 1
		.amdhsa_user_sgpr_dispatch_id 0
		.amdhsa_user_sgpr_private_segment_size 0
		.amdhsa_wavefront_size32 1
		.amdhsa_uses_dynamic_stack 0
		.amdhsa_enable_private_segment 0
		.amdhsa_system_sgpr_workgroup_id_x 1
		.amdhsa_system_sgpr_workgroup_id_y 0
		.amdhsa_system_sgpr_workgroup_id_z 0
		.amdhsa_system_sgpr_workgroup_info 0
		.amdhsa_system_vgpr_workitem_id 0
		.amdhsa_next_free_vgpr 1
		.amdhsa_next_free_sgpr 1
		.amdhsa_reserve_vcc 0
		.amdhsa_float_round_mode_32 0
		.amdhsa_float_round_mode_16_64 0
		.amdhsa_float_denorm_mode_32 3
		.amdhsa_float_denorm_mode_16_64 3
		.amdhsa_fp16_overflow 0
		.amdhsa_workgroup_processor_mode 1
		.amdhsa_memory_ordered 1
		.amdhsa_forward_progress 1
		.amdhsa_inst_pref_size 1
		.amdhsa_round_robin_scheduling 0
		.amdhsa_exception_fp_ieee_invalid_op 0
		.amdhsa_exception_fp_denorm_src 0
		.amdhsa_exception_fp_ieee_div_zero 0
		.amdhsa_exception_fp_ieee_overflow 0
		.amdhsa_exception_fp_ieee_underflow 0
		.amdhsa_exception_fp_ieee_inexact 0
		.amdhsa_exception_int_div_zero 0
	.end_amdhsa_kernel
	.section	.text._ZN7rocprim17ROCPRIM_400000_NS6detail17trampoline_kernelINS0_14default_configENS1_25partition_config_selectorILNS1_17partition_subalgoE6ExNS0_10empty_typeEbEEZZNS1_14partition_implILS5_6ELb0ES3_mN6thrust23THRUST_200600_302600_NS6detail15normal_iteratorINSA_10device_ptrIxEEEEPS6_SG_NS0_5tupleIJSF_S6_EEENSH_IJSG_SG_EEES6_PlJNSB_9not_fun_tI7is_evenIxEEEEEE10hipError_tPvRmT3_T4_T5_T6_T7_T9_mT8_P12ihipStream_tbDpT10_ENKUlT_T0_E_clISt17integral_constantIbLb1EES17_IbLb0EEEEDaS13_S14_EUlS13_E_NS1_11comp_targetILNS1_3genE10ELNS1_11target_archE1200ELNS1_3gpuE4ELNS1_3repE0EEENS1_30default_config_static_selectorELNS0_4arch9wavefront6targetE0EEEvT1_,"axG",@progbits,_ZN7rocprim17ROCPRIM_400000_NS6detail17trampoline_kernelINS0_14default_configENS1_25partition_config_selectorILNS1_17partition_subalgoE6ExNS0_10empty_typeEbEEZZNS1_14partition_implILS5_6ELb0ES3_mN6thrust23THRUST_200600_302600_NS6detail15normal_iteratorINSA_10device_ptrIxEEEEPS6_SG_NS0_5tupleIJSF_S6_EEENSH_IJSG_SG_EEES6_PlJNSB_9not_fun_tI7is_evenIxEEEEEE10hipError_tPvRmT3_T4_T5_T6_T7_T9_mT8_P12ihipStream_tbDpT10_ENKUlT_T0_E_clISt17integral_constantIbLb1EES17_IbLb0EEEEDaS13_S14_EUlS13_E_NS1_11comp_targetILNS1_3genE10ELNS1_11target_archE1200ELNS1_3gpuE4ELNS1_3repE0EEENS1_30default_config_static_selectorELNS0_4arch9wavefront6targetE0EEEvT1_,comdat
.Lfunc_end714:
	.size	_ZN7rocprim17ROCPRIM_400000_NS6detail17trampoline_kernelINS0_14default_configENS1_25partition_config_selectorILNS1_17partition_subalgoE6ExNS0_10empty_typeEbEEZZNS1_14partition_implILS5_6ELb0ES3_mN6thrust23THRUST_200600_302600_NS6detail15normal_iteratorINSA_10device_ptrIxEEEEPS6_SG_NS0_5tupleIJSF_S6_EEENSH_IJSG_SG_EEES6_PlJNSB_9not_fun_tI7is_evenIxEEEEEE10hipError_tPvRmT3_T4_T5_T6_T7_T9_mT8_P12ihipStream_tbDpT10_ENKUlT_T0_E_clISt17integral_constantIbLb1EES17_IbLb0EEEEDaS13_S14_EUlS13_E_NS1_11comp_targetILNS1_3genE10ELNS1_11target_archE1200ELNS1_3gpuE4ELNS1_3repE0EEENS1_30default_config_static_selectorELNS0_4arch9wavefront6targetE0EEEvT1_, .Lfunc_end714-_ZN7rocprim17ROCPRIM_400000_NS6detail17trampoline_kernelINS0_14default_configENS1_25partition_config_selectorILNS1_17partition_subalgoE6ExNS0_10empty_typeEbEEZZNS1_14partition_implILS5_6ELb0ES3_mN6thrust23THRUST_200600_302600_NS6detail15normal_iteratorINSA_10device_ptrIxEEEEPS6_SG_NS0_5tupleIJSF_S6_EEENSH_IJSG_SG_EEES6_PlJNSB_9not_fun_tI7is_evenIxEEEEEE10hipError_tPvRmT3_T4_T5_T6_T7_T9_mT8_P12ihipStream_tbDpT10_ENKUlT_T0_E_clISt17integral_constantIbLb1EES17_IbLb0EEEEDaS13_S14_EUlS13_E_NS1_11comp_targetILNS1_3genE10ELNS1_11target_archE1200ELNS1_3gpuE4ELNS1_3repE0EEENS1_30default_config_static_selectorELNS0_4arch9wavefront6targetE0EEEvT1_
                                        ; -- End function
	.set _ZN7rocprim17ROCPRIM_400000_NS6detail17trampoline_kernelINS0_14default_configENS1_25partition_config_selectorILNS1_17partition_subalgoE6ExNS0_10empty_typeEbEEZZNS1_14partition_implILS5_6ELb0ES3_mN6thrust23THRUST_200600_302600_NS6detail15normal_iteratorINSA_10device_ptrIxEEEEPS6_SG_NS0_5tupleIJSF_S6_EEENSH_IJSG_SG_EEES6_PlJNSB_9not_fun_tI7is_evenIxEEEEEE10hipError_tPvRmT3_T4_T5_T6_T7_T9_mT8_P12ihipStream_tbDpT10_ENKUlT_T0_E_clISt17integral_constantIbLb1EES17_IbLb0EEEEDaS13_S14_EUlS13_E_NS1_11comp_targetILNS1_3genE10ELNS1_11target_archE1200ELNS1_3gpuE4ELNS1_3repE0EEENS1_30default_config_static_selectorELNS0_4arch9wavefront6targetE0EEEvT1_.num_vgpr, 0
	.set _ZN7rocprim17ROCPRIM_400000_NS6detail17trampoline_kernelINS0_14default_configENS1_25partition_config_selectorILNS1_17partition_subalgoE6ExNS0_10empty_typeEbEEZZNS1_14partition_implILS5_6ELb0ES3_mN6thrust23THRUST_200600_302600_NS6detail15normal_iteratorINSA_10device_ptrIxEEEEPS6_SG_NS0_5tupleIJSF_S6_EEENSH_IJSG_SG_EEES6_PlJNSB_9not_fun_tI7is_evenIxEEEEEE10hipError_tPvRmT3_T4_T5_T6_T7_T9_mT8_P12ihipStream_tbDpT10_ENKUlT_T0_E_clISt17integral_constantIbLb1EES17_IbLb0EEEEDaS13_S14_EUlS13_E_NS1_11comp_targetILNS1_3genE10ELNS1_11target_archE1200ELNS1_3gpuE4ELNS1_3repE0EEENS1_30default_config_static_selectorELNS0_4arch9wavefront6targetE0EEEvT1_.num_agpr, 0
	.set _ZN7rocprim17ROCPRIM_400000_NS6detail17trampoline_kernelINS0_14default_configENS1_25partition_config_selectorILNS1_17partition_subalgoE6ExNS0_10empty_typeEbEEZZNS1_14partition_implILS5_6ELb0ES3_mN6thrust23THRUST_200600_302600_NS6detail15normal_iteratorINSA_10device_ptrIxEEEEPS6_SG_NS0_5tupleIJSF_S6_EEENSH_IJSG_SG_EEES6_PlJNSB_9not_fun_tI7is_evenIxEEEEEE10hipError_tPvRmT3_T4_T5_T6_T7_T9_mT8_P12ihipStream_tbDpT10_ENKUlT_T0_E_clISt17integral_constantIbLb1EES17_IbLb0EEEEDaS13_S14_EUlS13_E_NS1_11comp_targetILNS1_3genE10ELNS1_11target_archE1200ELNS1_3gpuE4ELNS1_3repE0EEENS1_30default_config_static_selectorELNS0_4arch9wavefront6targetE0EEEvT1_.numbered_sgpr, 0
	.set _ZN7rocprim17ROCPRIM_400000_NS6detail17trampoline_kernelINS0_14default_configENS1_25partition_config_selectorILNS1_17partition_subalgoE6ExNS0_10empty_typeEbEEZZNS1_14partition_implILS5_6ELb0ES3_mN6thrust23THRUST_200600_302600_NS6detail15normal_iteratorINSA_10device_ptrIxEEEEPS6_SG_NS0_5tupleIJSF_S6_EEENSH_IJSG_SG_EEES6_PlJNSB_9not_fun_tI7is_evenIxEEEEEE10hipError_tPvRmT3_T4_T5_T6_T7_T9_mT8_P12ihipStream_tbDpT10_ENKUlT_T0_E_clISt17integral_constantIbLb1EES17_IbLb0EEEEDaS13_S14_EUlS13_E_NS1_11comp_targetILNS1_3genE10ELNS1_11target_archE1200ELNS1_3gpuE4ELNS1_3repE0EEENS1_30default_config_static_selectorELNS0_4arch9wavefront6targetE0EEEvT1_.num_named_barrier, 0
	.set _ZN7rocprim17ROCPRIM_400000_NS6detail17trampoline_kernelINS0_14default_configENS1_25partition_config_selectorILNS1_17partition_subalgoE6ExNS0_10empty_typeEbEEZZNS1_14partition_implILS5_6ELb0ES3_mN6thrust23THRUST_200600_302600_NS6detail15normal_iteratorINSA_10device_ptrIxEEEEPS6_SG_NS0_5tupleIJSF_S6_EEENSH_IJSG_SG_EEES6_PlJNSB_9not_fun_tI7is_evenIxEEEEEE10hipError_tPvRmT3_T4_T5_T6_T7_T9_mT8_P12ihipStream_tbDpT10_ENKUlT_T0_E_clISt17integral_constantIbLb1EES17_IbLb0EEEEDaS13_S14_EUlS13_E_NS1_11comp_targetILNS1_3genE10ELNS1_11target_archE1200ELNS1_3gpuE4ELNS1_3repE0EEENS1_30default_config_static_selectorELNS0_4arch9wavefront6targetE0EEEvT1_.private_seg_size, 0
	.set _ZN7rocprim17ROCPRIM_400000_NS6detail17trampoline_kernelINS0_14default_configENS1_25partition_config_selectorILNS1_17partition_subalgoE6ExNS0_10empty_typeEbEEZZNS1_14partition_implILS5_6ELb0ES3_mN6thrust23THRUST_200600_302600_NS6detail15normal_iteratorINSA_10device_ptrIxEEEEPS6_SG_NS0_5tupleIJSF_S6_EEENSH_IJSG_SG_EEES6_PlJNSB_9not_fun_tI7is_evenIxEEEEEE10hipError_tPvRmT3_T4_T5_T6_T7_T9_mT8_P12ihipStream_tbDpT10_ENKUlT_T0_E_clISt17integral_constantIbLb1EES17_IbLb0EEEEDaS13_S14_EUlS13_E_NS1_11comp_targetILNS1_3genE10ELNS1_11target_archE1200ELNS1_3gpuE4ELNS1_3repE0EEENS1_30default_config_static_selectorELNS0_4arch9wavefront6targetE0EEEvT1_.uses_vcc, 0
	.set _ZN7rocprim17ROCPRIM_400000_NS6detail17trampoline_kernelINS0_14default_configENS1_25partition_config_selectorILNS1_17partition_subalgoE6ExNS0_10empty_typeEbEEZZNS1_14partition_implILS5_6ELb0ES3_mN6thrust23THRUST_200600_302600_NS6detail15normal_iteratorINSA_10device_ptrIxEEEEPS6_SG_NS0_5tupleIJSF_S6_EEENSH_IJSG_SG_EEES6_PlJNSB_9not_fun_tI7is_evenIxEEEEEE10hipError_tPvRmT3_T4_T5_T6_T7_T9_mT8_P12ihipStream_tbDpT10_ENKUlT_T0_E_clISt17integral_constantIbLb1EES17_IbLb0EEEEDaS13_S14_EUlS13_E_NS1_11comp_targetILNS1_3genE10ELNS1_11target_archE1200ELNS1_3gpuE4ELNS1_3repE0EEENS1_30default_config_static_selectorELNS0_4arch9wavefront6targetE0EEEvT1_.uses_flat_scratch, 0
	.set _ZN7rocprim17ROCPRIM_400000_NS6detail17trampoline_kernelINS0_14default_configENS1_25partition_config_selectorILNS1_17partition_subalgoE6ExNS0_10empty_typeEbEEZZNS1_14partition_implILS5_6ELb0ES3_mN6thrust23THRUST_200600_302600_NS6detail15normal_iteratorINSA_10device_ptrIxEEEEPS6_SG_NS0_5tupleIJSF_S6_EEENSH_IJSG_SG_EEES6_PlJNSB_9not_fun_tI7is_evenIxEEEEEE10hipError_tPvRmT3_T4_T5_T6_T7_T9_mT8_P12ihipStream_tbDpT10_ENKUlT_T0_E_clISt17integral_constantIbLb1EES17_IbLb0EEEEDaS13_S14_EUlS13_E_NS1_11comp_targetILNS1_3genE10ELNS1_11target_archE1200ELNS1_3gpuE4ELNS1_3repE0EEENS1_30default_config_static_selectorELNS0_4arch9wavefront6targetE0EEEvT1_.has_dyn_sized_stack, 0
	.set _ZN7rocprim17ROCPRIM_400000_NS6detail17trampoline_kernelINS0_14default_configENS1_25partition_config_selectorILNS1_17partition_subalgoE6ExNS0_10empty_typeEbEEZZNS1_14partition_implILS5_6ELb0ES3_mN6thrust23THRUST_200600_302600_NS6detail15normal_iteratorINSA_10device_ptrIxEEEEPS6_SG_NS0_5tupleIJSF_S6_EEENSH_IJSG_SG_EEES6_PlJNSB_9not_fun_tI7is_evenIxEEEEEE10hipError_tPvRmT3_T4_T5_T6_T7_T9_mT8_P12ihipStream_tbDpT10_ENKUlT_T0_E_clISt17integral_constantIbLb1EES17_IbLb0EEEEDaS13_S14_EUlS13_E_NS1_11comp_targetILNS1_3genE10ELNS1_11target_archE1200ELNS1_3gpuE4ELNS1_3repE0EEENS1_30default_config_static_selectorELNS0_4arch9wavefront6targetE0EEEvT1_.has_recursion, 0
	.set _ZN7rocprim17ROCPRIM_400000_NS6detail17trampoline_kernelINS0_14default_configENS1_25partition_config_selectorILNS1_17partition_subalgoE6ExNS0_10empty_typeEbEEZZNS1_14partition_implILS5_6ELb0ES3_mN6thrust23THRUST_200600_302600_NS6detail15normal_iteratorINSA_10device_ptrIxEEEEPS6_SG_NS0_5tupleIJSF_S6_EEENSH_IJSG_SG_EEES6_PlJNSB_9not_fun_tI7is_evenIxEEEEEE10hipError_tPvRmT3_T4_T5_T6_T7_T9_mT8_P12ihipStream_tbDpT10_ENKUlT_T0_E_clISt17integral_constantIbLb1EES17_IbLb0EEEEDaS13_S14_EUlS13_E_NS1_11comp_targetILNS1_3genE10ELNS1_11target_archE1200ELNS1_3gpuE4ELNS1_3repE0EEENS1_30default_config_static_selectorELNS0_4arch9wavefront6targetE0EEEvT1_.has_indirect_call, 0
	.section	.AMDGPU.csdata,"",@progbits
; Kernel info:
; codeLenInByte = 4
; TotalNumSgprs: 0
; NumVgprs: 0
; ScratchSize: 0
; MemoryBound: 0
; FloatMode: 240
; IeeeMode: 1
; LDSByteSize: 0 bytes/workgroup (compile time only)
; SGPRBlocks: 0
; VGPRBlocks: 0
; NumSGPRsForWavesPerEU: 1
; NumVGPRsForWavesPerEU: 1
; Occupancy: 16
; WaveLimiterHint : 0
; COMPUTE_PGM_RSRC2:SCRATCH_EN: 0
; COMPUTE_PGM_RSRC2:USER_SGPR: 2
; COMPUTE_PGM_RSRC2:TRAP_HANDLER: 0
; COMPUTE_PGM_RSRC2:TGID_X_EN: 1
; COMPUTE_PGM_RSRC2:TGID_Y_EN: 0
; COMPUTE_PGM_RSRC2:TGID_Z_EN: 0
; COMPUTE_PGM_RSRC2:TIDIG_COMP_CNT: 0
	.section	.text._ZN7rocprim17ROCPRIM_400000_NS6detail17trampoline_kernelINS0_14default_configENS1_25partition_config_selectorILNS1_17partition_subalgoE6ExNS0_10empty_typeEbEEZZNS1_14partition_implILS5_6ELb0ES3_mN6thrust23THRUST_200600_302600_NS6detail15normal_iteratorINSA_10device_ptrIxEEEEPS6_SG_NS0_5tupleIJSF_S6_EEENSH_IJSG_SG_EEES6_PlJNSB_9not_fun_tI7is_evenIxEEEEEE10hipError_tPvRmT3_T4_T5_T6_T7_T9_mT8_P12ihipStream_tbDpT10_ENKUlT_T0_E_clISt17integral_constantIbLb1EES17_IbLb0EEEEDaS13_S14_EUlS13_E_NS1_11comp_targetILNS1_3genE9ELNS1_11target_archE1100ELNS1_3gpuE3ELNS1_3repE0EEENS1_30default_config_static_selectorELNS0_4arch9wavefront6targetE0EEEvT1_,"axG",@progbits,_ZN7rocprim17ROCPRIM_400000_NS6detail17trampoline_kernelINS0_14default_configENS1_25partition_config_selectorILNS1_17partition_subalgoE6ExNS0_10empty_typeEbEEZZNS1_14partition_implILS5_6ELb0ES3_mN6thrust23THRUST_200600_302600_NS6detail15normal_iteratorINSA_10device_ptrIxEEEEPS6_SG_NS0_5tupleIJSF_S6_EEENSH_IJSG_SG_EEES6_PlJNSB_9not_fun_tI7is_evenIxEEEEEE10hipError_tPvRmT3_T4_T5_T6_T7_T9_mT8_P12ihipStream_tbDpT10_ENKUlT_T0_E_clISt17integral_constantIbLb1EES17_IbLb0EEEEDaS13_S14_EUlS13_E_NS1_11comp_targetILNS1_3genE9ELNS1_11target_archE1100ELNS1_3gpuE3ELNS1_3repE0EEENS1_30default_config_static_selectorELNS0_4arch9wavefront6targetE0EEEvT1_,comdat
	.protected	_ZN7rocprim17ROCPRIM_400000_NS6detail17trampoline_kernelINS0_14default_configENS1_25partition_config_selectorILNS1_17partition_subalgoE6ExNS0_10empty_typeEbEEZZNS1_14partition_implILS5_6ELb0ES3_mN6thrust23THRUST_200600_302600_NS6detail15normal_iteratorINSA_10device_ptrIxEEEEPS6_SG_NS0_5tupleIJSF_S6_EEENSH_IJSG_SG_EEES6_PlJNSB_9not_fun_tI7is_evenIxEEEEEE10hipError_tPvRmT3_T4_T5_T6_T7_T9_mT8_P12ihipStream_tbDpT10_ENKUlT_T0_E_clISt17integral_constantIbLb1EES17_IbLb0EEEEDaS13_S14_EUlS13_E_NS1_11comp_targetILNS1_3genE9ELNS1_11target_archE1100ELNS1_3gpuE3ELNS1_3repE0EEENS1_30default_config_static_selectorELNS0_4arch9wavefront6targetE0EEEvT1_ ; -- Begin function _ZN7rocprim17ROCPRIM_400000_NS6detail17trampoline_kernelINS0_14default_configENS1_25partition_config_selectorILNS1_17partition_subalgoE6ExNS0_10empty_typeEbEEZZNS1_14partition_implILS5_6ELb0ES3_mN6thrust23THRUST_200600_302600_NS6detail15normal_iteratorINSA_10device_ptrIxEEEEPS6_SG_NS0_5tupleIJSF_S6_EEENSH_IJSG_SG_EEES6_PlJNSB_9not_fun_tI7is_evenIxEEEEEE10hipError_tPvRmT3_T4_T5_T6_T7_T9_mT8_P12ihipStream_tbDpT10_ENKUlT_T0_E_clISt17integral_constantIbLb1EES17_IbLb0EEEEDaS13_S14_EUlS13_E_NS1_11comp_targetILNS1_3genE9ELNS1_11target_archE1100ELNS1_3gpuE3ELNS1_3repE0EEENS1_30default_config_static_selectorELNS0_4arch9wavefront6targetE0EEEvT1_
	.globl	_ZN7rocprim17ROCPRIM_400000_NS6detail17trampoline_kernelINS0_14default_configENS1_25partition_config_selectorILNS1_17partition_subalgoE6ExNS0_10empty_typeEbEEZZNS1_14partition_implILS5_6ELb0ES3_mN6thrust23THRUST_200600_302600_NS6detail15normal_iteratorINSA_10device_ptrIxEEEEPS6_SG_NS0_5tupleIJSF_S6_EEENSH_IJSG_SG_EEES6_PlJNSB_9not_fun_tI7is_evenIxEEEEEE10hipError_tPvRmT3_T4_T5_T6_T7_T9_mT8_P12ihipStream_tbDpT10_ENKUlT_T0_E_clISt17integral_constantIbLb1EES17_IbLb0EEEEDaS13_S14_EUlS13_E_NS1_11comp_targetILNS1_3genE9ELNS1_11target_archE1100ELNS1_3gpuE3ELNS1_3repE0EEENS1_30default_config_static_selectorELNS0_4arch9wavefront6targetE0EEEvT1_
	.p2align	8
	.type	_ZN7rocprim17ROCPRIM_400000_NS6detail17trampoline_kernelINS0_14default_configENS1_25partition_config_selectorILNS1_17partition_subalgoE6ExNS0_10empty_typeEbEEZZNS1_14partition_implILS5_6ELb0ES3_mN6thrust23THRUST_200600_302600_NS6detail15normal_iteratorINSA_10device_ptrIxEEEEPS6_SG_NS0_5tupleIJSF_S6_EEENSH_IJSG_SG_EEES6_PlJNSB_9not_fun_tI7is_evenIxEEEEEE10hipError_tPvRmT3_T4_T5_T6_T7_T9_mT8_P12ihipStream_tbDpT10_ENKUlT_T0_E_clISt17integral_constantIbLb1EES17_IbLb0EEEEDaS13_S14_EUlS13_E_NS1_11comp_targetILNS1_3genE9ELNS1_11target_archE1100ELNS1_3gpuE3ELNS1_3repE0EEENS1_30default_config_static_selectorELNS0_4arch9wavefront6targetE0EEEvT1_,@function
_ZN7rocprim17ROCPRIM_400000_NS6detail17trampoline_kernelINS0_14default_configENS1_25partition_config_selectorILNS1_17partition_subalgoE6ExNS0_10empty_typeEbEEZZNS1_14partition_implILS5_6ELb0ES3_mN6thrust23THRUST_200600_302600_NS6detail15normal_iteratorINSA_10device_ptrIxEEEEPS6_SG_NS0_5tupleIJSF_S6_EEENSH_IJSG_SG_EEES6_PlJNSB_9not_fun_tI7is_evenIxEEEEEE10hipError_tPvRmT3_T4_T5_T6_T7_T9_mT8_P12ihipStream_tbDpT10_ENKUlT_T0_E_clISt17integral_constantIbLb1EES17_IbLb0EEEEDaS13_S14_EUlS13_E_NS1_11comp_targetILNS1_3genE9ELNS1_11target_archE1100ELNS1_3gpuE3ELNS1_3repE0EEENS1_30default_config_static_selectorELNS0_4arch9wavefront6targetE0EEEvT1_: ; @_ZN7rocprim17ROCPRIM_400000_NS6detail17trampoline_kernelINS0_14default_configENS1_25partition_config_selectorILNS1_17partition_subalgoE6ExNS0_10empty_typeEbEEZZNS1_14partition_implILS5_6ELb0ES3_mN6thrust23THRUST_200600_302600_NS6detail15normal_iteratorINSA_10device_ptrIxEEEEPS6_SG_NS0_5tupleIJSF_S6_EEENSH_IJSG_SG_EEES6_PlJNSB_9not_fun_tI7is_evenIxEEEEEE10hipError_tPvRmT3_T4_T5_T6_T7_T9_mT8_P12ihipStream_tbDpT10_ENKUlT_T0_E_clISt17integral_constantIbLb1EES17_IbLb0EEEEDaS13_S14_EUlS13_E_NS1_11comp_targetILNS1_3genE9ELNS1_11target_archE1100ELNS1_3gpuE3ELNS1_3repE0EEENS1_30default_config_static_selectorELNS0_4arch9wavefront6targetE0EEEvT1_
; %bb.0:
	.section	.rodata,"a",@progbits
	.p2align	6, 0x0
	.amdhsa_kernel _ZN7rocprim17ROCPRIM_400000_NS6detail17trampoline_kernelINS0_14default_configENS1_25partition_config_selectorILNS1_17partition_subalgoE6ExNS0_10empty_typeEbEEZZNS1_14partition_implILS5_6ELb0ES3_mN6thrust23THRUST_200600_302600_NS6detail15normal_iteratorINSA_10device_ptrIxEEEEPS6_SG_NS0_5tupleIJSF_S6_EEENSH_IJSG_SG_EEES6_PlJNSB_9not_fun_tI7is_evenIxEEEEEE10hipError_tPvRmT3_T4_T5_T6_T7_T9_mT8_P12ihipStream_tbDpT10_ENKUlT_T0_E_clISt17integral_constantIbLb1EES17_IbLb0EEEEDaS13_S14_EUlS13_E_NS1_11comp_targetILNS1_3genE9ELNS1_11target_archE1100ELNS1_3gpuE3ELNS1_3repE0EEENS1_30default_config_static_selectorELNS0_4arch9wavefront6targetE0EEEvT1_
		.amdhsa_group_segment_fixed_size 0
		.amdhsa_private_segment_fixed_size 0
		.amdhsa_kernarg_size 112
		.amdhsa_user_sgpr_count 2
		.amdhsa_user_sgpr_dispatch_ptr 0
		.amdhsa_user_sgpr_queue_ptr 0
		.amdhsa_user_sgpr_kernarg_segment_ptr 1
		.amdhsa_user_sgpr_dispatch_id 0
		.amdhsa_user_sgpr_private_segment_size 0
		.amdhsa_wavefront_size32 1
		.amdhsa_uses_dynamic_stack 0
		.amdhsa_enable_private_segment 0
		.amdhsa_system_sgpr_workgroup_id_x 1
		.amdhsa_system_sgpr_workgroup_id_y 0
		.amdhsa_system_sgpr_workgroup_id_z 0
		.amdhsa_system_sgpr_workgroup_info 0
		.amdhsa_system_vgpr_workitem_id 0
		.amdhsa_next_free_vgpr 1
		.amdhsa_next_free_sgpr 1
		.amdhsa_reserve_vcc 0
		.amdhsa_float_round_mode_32 0
		.amdhsa_float_round_mode_16_64 0
		.amdhsa_float_denorm_mode_32 3
		.amdhsa_float_denorm_mode_16_64 3
		.amdhsa_fp16_overflow 0
		.amdhsa_workgroup_processor_mode 1
		.amdhsa_memory_ordered 1
		.amdhsa_forward_progress 1
		.amdhsa_inst_pref_size 0
		.amdhsa_round_robin_scheduling 0
		.amdhsa_exception_fp_ieee_invalid_op 0
		.amdhsa_exception_fp_denorm_src 0
		.amdhsa_exception_fp_ieee_div_zero 0
		.amdhsa_exception_fp_ieee_overflow 0
		.amdhsa_exception_fp_ieee_underflow 0
		.amdhsa_exception_fp_ieee_inexact 0
		.amdhsa_exception_int_div_zero 0
	.end_amdhsa_kernel
	.section	.text._ZN7rocprim17ROCPRIM_400000_NS6detail17trampoline_kernelINS0_14default_configENS1_25partition_config_selectorILNS1_17partition_subalgoE6ExNS0_10empty_typeEbEEZZNS1_14partition_implILS5_6ELb0ES3_mN6thrust23THRUST_200600_302600_NS6detail15normal_iteratorINSA_10device_ptrIxEEEEPS6_SG_NS0_5tupleIJSF_S6_EEENSH_IJSG_SG_EEES6_PlJNSB_9not_fun_tI7is_evenIxEEEEEE10hipError_tPvRmT3_T4_T5_T6_T7_T9_mT8_P12ihipStream_tbDpT10_ENKUlT_T0_E_clISt17integral_constantIbLb1EES17_IbLb0EEEEDaS13_S14_EUlS13_E_NS1_11comp_targetILNS1_3genE9ELNS1_11target_archE1100ELNS1_3gpuE3ELNS1_3repE0EEENS1_30default_config_static_selectorELNS0_4arch9wavefront6targetE0EEEvT1_,"axG",@progbits,_ZN7rocprim17ROCPRIM_400000_NS6detail17trampoline_kernelINS0_14default_configENS1_25partition_config_selectorILNS1_17partition_subalgoE6ExNS0_10empty_typeEbEEZZNS1_14partition_implILS5_6ELb0ES3_mN6thrust23THRUST_200600_302600_NS6detail15normal_iteratorINSA_10device_ptrIxEEEEPS6_SG_NS0_5tupleIJSF_S6_EEENSH_IJSG_SG_EEES6_PlJNSB_9not_fun_tI7is_evenIxEEEEEE10hipError_tPvRmT3_T4_T5_T6_T7_T9_mT8_P12ihipStream_tbDpT10_ENKUlT_T0_E_clISt17integral_constantIbLb1EES17_IbLb0EEEEDaS13_S14_EUlS13_E_NS1_11comp_targetILNS1_3genE9ELNS1_11target_archE1100ELNS1_3gpuE3ELNS1_3repE0EEENS1_30default_config_static_selectorELNS0_4arch9wavefront6targetE0EEEvT1_,comdat
.Lfunc_end715:
	.size	_ZN7rocprim17ROCPRIM_400000_NS6detail17trampoline_kernelINS0_14default_configENS1_25partition_config_selectorILNS1_17partition_subalgoE6ExNS0_10empty_typeEbEEZZNS1_14partition_implILS5_6ELb0ES3_mN6thrust23THRUST_200600_302600_NS6detail15normal_iteratorINSA_10device_ptrIxEEEEPS6_SG_NS0_5tupleIJSF_S6_EEENSH_IJSG_SG_EEES6_PlJNSB_9not_fun_tI7is_evenIxEEEEEE10hipError_tPvRmT3_T4_T5_T6_T7_T9_mT8_P12ihipStream_tbDpT10_ENKUlT_T0_E_clISt17integral_constantIbLb1EES17_IbLb0EEEEDaS13_S14_EUlS13_E_NS1_11comp_targetILNS1_3genE9ELNS1_11target_archE1100ELNS1_3gpuE3ELNS1_3repE0EEENS1_30default_config_static_selectorELNS0_4arch9wavefront6targetE0EEEvT1_, .Lfunc_end715-_ZN7rocprim17ROCPRIM_400000_NS6detail17trampoline_kernelINS0_14default_configENS1_25partition_config_selectorILNS1_17partition_subalgoE6ExNS0_10empty_typeEbEEZZNS1_14partition_implILS5_6ELb0ES3_mN6thrust23THRUST_200600_302600_NS6detail15normal_iteratorINSA_10device_ptrIxEEEEPS6_SG_NS0_5tupleIJSF_S6_EEENSH_IJSG_SG_EEES6_PlJNSB_9not_fun_tI7is_evenIxEEEEEE10hipError_tPvRmT3_T4_T5_T6_T7_T9_mT8_P12ihipStream_tbDpT10_ENKUlT_T0_E_clISt17integral_constantIbLb1EES17_IbLb0EEEEDaS13_S14_EUlS13_E_NS1_11comp_targetILNS1_3genE9ELNS1_11target_archE1100ELNS1_3gpuE3ELNS1_3repE0EEENS1_30default_config_static_selectorELNS0_4arch9wavefront6targetE0EEEvT1_
                                        ; -- End function
	.set _ZN7rocprim17ROCPRIM_400000_NS6detail17trampoline_kernelINS0_14default_configENS1_25partition_config_selectorILNS1_17partition_subalgoE6ExNS0_10empty_typeEbEEZZNS1_14partition_implILS5_6ELb0ES3_mN6thrust23THRUST_200600_302600_NS6detail15normal_iteratorINSA_10device_ptrIxEEEEPS6_SG_NS0_5tupleIJSF_S6_EEENSH_IJSG_SG_EEES6_PlJNSB_9not_fun_tI7is_evenIxEEEEEE10hipError_tPvRmT3_T4_T5_T6_T7_T9_mT8_P12ihipStream_tbDpT10_ENKUlT_T0_E_clISt17integral_constantIbLb1EES17_IbLb0EEEEDaS13_S14_EUlS13_E_NS1_11comp_targetILNS1_3genE9ELNS1_11target_archE1100ELNS1_3gpuE3ELNS1_3repE0EEENS1_30default_config_static_selectorELNS0_4arch9wavefront6targetE0EEEvT1_.num_vgpr, 0
	.set _ZN7rocprim17ROCPRIM_400000_NS6detail17trampoline_kernelINS0_14default_configENS1_25partition_config_selectorILNS1_17partition_subalgoE6ExNS0_10empty_typeEbEEZZNS1_14partition_implILS5_6ELb0ES3_mN6thrust23THRUST_200600_302600_NS6detail15normal_iteratorINSA_10device_ptrIxEEEEPS6_SG_NS0_5tupleIJSF_S6_EEENSH_IJSG_SG_EEES6_PlJNSB_9not_fun_tI7is_evenIxEEEEEE10hipError_tPvRmT3_T4_T5_T6_T7_T9_mT8_P12ihipStream_tbDpT10_ENKUlT_T0_E_clISt17integral_constantIbLb1EES17_IbLb0EEEEDaS13_S14_EUlS13_E_NS1_11comp_targetILNS1_3genE9ELNS1_11target_archE1100ELNS1_3gpuE3ELNS1_3repE0EEENS1_30default_config_static_selectorELNS0_4arch9wavefront6targetE0EEEvT1_.num_agpr, 0
	.set _ZN7rocprim17ROCPRIM_400000_NS6detail17trampoline_kernelINS0_14default_configENS1_25partition_config_selectorILNS1_17partition_subalgoE6ExNS0_10empty_typeEbEEZZNS1_14partition_implILS5_6ELb0ES3_mN6thrust23THRUST_200600_302600_NS6detail15normal_iteratorINSA_10device_ptrIxEEEEPS6_SG_NS0_5tupleIJSF_S6_EEENSH_IJSG_SG_EEES6_PlJNSB_9not_fun_tI7is_evenIxEEEEEE10hipError_tPvRmT3_T4_T5_T6_T7_T9_mT8_P12ihipStream_tbDpT10_ENKUlT_T0_E_clISt17integral_constantIbLb1EES17_IbLb0EEEEDaS13_S14_EUlS13_E_NS1_11comp_targetILNS1_3genE9ELNS1_11target_archE1100ELNS1_3gpuE3ELNS1_3repE0EEENS1_30default_config_static_selectorELNS0_4arch9wavefront6targetE0EEEvT1_.numbered_sgpr, 0
	.set _ZN7rocprim17ROCPRIM_400000_NS6detail17trampoline_kernelINS0_14default_configENS1_25partition_config_selectorILNS1_17partition_subalgoE6ExNS0_10empty_typeEbEEZZNS1_14partition_implILS5_6ELb0ES3_mN6thrust23THRUST_200600_302600_NS6detail15normal_iteratorINSA_10device_ptrIxEEEEPS6_SG_NS0_5tupleIJSF_S6_EEENSH_IJSG_SG_EEES6_PlJNSB_9not_fun_tI7is_evenIxEEEEEE10hipError_tPvRmT3_T4_T5_T6_T7_T9_mT8_P12ihipStream_tbDpT10_ENKUlT_T0_E_clISt17integral_constantIbLb1EES17_IbLb0EEEEDaS13_S14_EUlS13_E_NS1_11comp_targetILNS1_3genE9ELNS1_11target_archE1100ELNS1_3gpuE3ELNS1_3repE0EEENS1_30default_config_static_selectorELNS0_4arch9wavefront6targetE0EEEvT1_.num_named_barrier, 0
	.set _ZN7rocprim17ROCPRIM_400000_NS6detail17trampoline_kernelINS0_14default_configENS1_25partition_config_selectorILNS1_17partition_subalgoE6ExNS0_10empty_typeEbEEZZNS1_14partition_implILS5_6ELb0ES3_mN6thrust23THRUST_200600_302600_NS6detail15normal_iteratorINSA_10device_ptrIxEEEEPS6_SG_NS0_5tupleIJSF_S6_EEENSH_IJSG_SG_EEES6_PlJNSB_9not_fun_tI7is_evenIxEEEEEE10hipError_tPvRmT3_T4_T5_T6_T7_T9_mT8_P12ihipStream_tbDpT10_ENKUlT_T0_E_clISt17integral_constantIbLb1EES17_IbLb0EEEEDaS13_S14_EUlS13_E_NS1_11comp_targetILNS1_3genE9ELNS1_11target_archE1100ELNS1_3gpuE3ELNS1_3repE0EEENS1_30default_config_static_selectorELNS0_4arch9wavefront6targetE0EEEvT1_.private_seg_size, 0
	.set _ZN7rocprim17ROCPRIM_400000_NS6detail17trampoline_kernelINS0_14default_configENS1_25partition_config_selectorILNS1_17partition_subalgoE6ExNS0_10empty_typeEbEEZZNS1_14partition_implILS5_6ELb0ES3_mN6thrust23THRUST_200600_302600_NS6detail15normal_iteratorINSA_10device_ptrIxEEEEPS6_SG_NS0_5tupleIJSF_S6_EEENSH_IJSG_SG_EEES6_PlJNSB_9not_fun_tI7is_evenIxEEEEEE10hipError_tPvRmT3_T4_T5_T6_T7_T9_mT8_P12ihipStream_tbDpT10_ENKUlT_T0_E_clISt17integral_constantIbLb1EES17_IbLb0EEEEDaS13_S14_EUlS13_E_NS1_11comp_targetILNS1_3genE9ELNS1_11target_archE1100ELNS1_3gpuE3ELNS1_3repE0EEENS1_30default_config_static_selectorELNS0_4arch9wavefront6targetE0EEEvT1_.uses_vcc, 0
	.set _ZN7rocprim17ROCPRIM_400000_NS6detail17trampoline_kernelINS0_14default_configENS1_25partition_config_selectorILNS1_17partition_subalgoE6ExNS0_10empty_typeEbEEZZNS1_14partition_implILS5_6ELb0ES3_mN6thrust23THRUST_200600_302600_NS6detail15normal_iteratorINSA_10device_ptrIxEEEEPS6_SG_NS0_5tupleIJSF_S6_EEENSH_IJSG_SG_EEES6_PlJNSB_9not_fun_tI7is_evenIxEEEEEE10hipError_tPvRmT3_T4_T5_T6_T7_T9_mT8_P12ihipStream_tbDpT10_ENKUlT_T0_E_clISt17integral_constantIbLb1EES17_IbLb0EEEEDaS13_S14_EUlS13_E_NS1_11comp_targetILNS1_3genE9ELNS1_11target_archE1100ELNS1_3gpuE3ELNS1_3repE0EEENS1_30default_config_static_selectorELNS0_4arch9wavefront6targetE0EEEvT1_.uses_flat_scratch, 0
	.set _ZN7rocprim17ROCPRIM_400000_NS6detail17trampoline_kernelINS0_14default_configENS1_25partition_config_selectorILNS1_17partition_subalgoE6ExNS0_10empty_typeEbEEZZNS1_14partition_implILS5_6ELb0ES3_mN6thrust23THRUST_200600_302600_NS6detail15normal_iteratorINSA_10device_ptrIxEEEEPS6_SG_NS0_5tupleIJSF_S6_EEENSH_IJSG_SG_EEES6_PlJNSB_9not_fun_tI7is_evenIxEEEEEE10hipError_tPvRmT3_T4_T5_T6_T7_T9_mT8_P12ihipStream_tbDpT10_ENKUlT_T0_E_clISt17integral_constantIbLb1EES17_IbLb0EEEEDaS13_S14_EUlS13_E_NS1_11comp_targetILNS1_3genE9ELNS1_11target_archE1100ELNS1_3gpuE3ELNS1_3repE0EEENS1_30default_config_static_selectorELNS0_4arch9wavefront6targetE0EEEvT1_.has_dyn_sized_stack, 0
	.set _ZN7rocprim17ROCPRIM_400000_NS6detail17trampoline_kernelINS0_14default_configENS1_25partition_config_selectorILNS1_17partition_subalgoE6ExNS0_10empty_typeEbEEZZNS1_14partition_implILS5_6ELb0ES3_mN6thrust23THRUST_200600_302600_NS6detail15normal_iteratorINSA_10device_ptrIxEEEEPS6_SG_NS0_5tupleIJSF_S6_EEENSH_IJSG_SG_EEES6_PlJNSB_9not_fun_tI7is_evenIxEEEEEE10hipError_tPvRmT3_T4_T5_T6_T7_T9_mT8_P12ihipStream_tbDpT10_ENKUlT_T0_E_clISt17integral_constantIbLb1EES17_IbLb0EEEEDaS13_S14_EUlS13_E_NS1_11comp_targetILNS1_3genE9ELNS1_11target_archE1100ELNS1_3gpuE3ELNS1_3repE0EEENS1_30default_config_static_selectorELNS0_4arch9wavefront6targetE0EEEvT1_.has_recursion, 0
	.set _ZN7rocprim17ROCPRIM_400000_NS6detail17trampoline_kernelINS0_14default_configENS1_25partition_config_selectorILNS1_17partition_subalgoE6ExNS0_10empty_typeEbEEZZNS1_14partition_implILS5_6ELb0ES3_mN6thrust23THRUST_200600_302600_NS6detail15normal_iteratorINSA_10device_ptrIxEEEEPS6_SG_NS0_5tupleIJSF_S6_EEENSH_IJSG_SG_EEES6_PlJNSB_9not_fun_tI7is_evenIxEEEEEE10hipError_tPvRmT3_T4_T5_T6_T7_T9_mT8_P12ihipStream_tbDpT10_ENKUlT_T0_E_clISt17integral_constantIbLb1EES17_IbLb0EEEEDaS13_S14_EUlS13_E_NS1_11comp_targetILNS1_3genE9ELNS1_11target_archE1100ELNS1_3gpuE3ELNS1_3repE0EEENS1_30default_config_static_selectorELNS0_4arch9wavefront6targetE0EEEvT1_.has_indirect_call, 0
	.section	.AMDGPU.csdata,"",@progbits
; Kernel info:
; codeLenInByte = 0
; TotalNumSgprs: 0
; NumVgprs: 0
; ScratchSize: 0
; MemoryBound: 0
; FloatMode: 240
; IeeeMode: 1
; LDSByteSize: 0 bytes/workgroup (compile time only)
; SGPRBlocks: 0
; VGPRBlocks: 0
; NumSGPRsForWavesPerEU: 1
; NumVGPRsForWavesPerEU: 1
; Occupancy: 16
; WaveLimiterHint : 0
; COMPUTE_PGM_RSRC2:SCRATCH_EN: 0
; COMPUTE_PGM_RSRC2:USER_SGPR: 2
; COMPUTE_PGM_RSRC2:TRAP_HANDLER: 0
; COMPUTE_PGM_RSRC2:TGID_X_EN: 1
; COMPUTE_PGM_RSRC2:TGID_Y_EN: 0
; COMPUTE_PGM_RSRC2:TGID_Z_EN: 0
; COMPUTE_PGM_RSRC2:TIDIG_COMP_CNT: 0
	.section	.text._ZN7rocprim17ROCPRIM_400000_NS6detail17trampoline_kernelINS0_14default_configENS1_25partition_config_selectorILNS1_17partition_subalgoE6ExNS0_10empty_typeEbEEZZNS1_14partition_implILS5_6ELb0ES3_mN6thrust23THRUST_200600_302600_NS6detail15normal_iteratorINSA_10device_ptrIxEEEEPS6_SG_NS0_5tupleIJSF_S6_EEENSH_IJSG_SG_EEES6_PlJNSB_9not_fun_tI7is_evenIxEEEEEE10hipError_tPvRmT3_T4_T5_T6_T7_T9_mT8_P12ihipStream_tbDpT10_ENKUlT_T0_E_clISt17integral_constantIbLb1EES17_IbLb0EEEEDaS13_S14_EUlS13_E_NS1_11comp_targetILNS1_3genE8ELNS1_11target_archE1030ELNS1_3gpuE2ELNS1_3repE0EEENS1_30default_config_static_selectorELNS0_4arch9wavefront6targetE0EEEvT1_,"axG",@progbits,_ZN7rocprim17ROCPRIM_400000_NS6detail17trampoline_kernelINS0_14default_configENS1_25partition_config_selectorILNS1_17partition_subalgoE6ExNS0_10empty_typeEbEEZZNS1_14partition_implILS5_6ELb0ES3_mN6thrust23THRUST_200600_302600_NS6detail15normal_iteratorINSA_10device_ptrIxEEEEPS6_SG_NS0_5tupleIJSF_S6_EEENSH_IJSG_SG_EEES6_PlJNSB_9not_fun_tI7is_evenIxEEEEEE10hipError_tPvRmT3_T4_T5_T6_T7_T9_mT8_P12ihipStream_tbDpT10_ENKUlT_T0_E_clISt17integral_constantIbLb1EES17_IbLb0EEEEDaS13_S14_EUlS13_E_NS1_11comp_targetILNS1_3genE8ELNS1_11target_archE1030ELNS1_3gpuE2ELNS1_3repE0EEENS1_30default_config_static_selectorELNS0_4arch9wavefront6targetE0EEEvT1_,comdat
	.protected	_ZN7rocprim17ROCPRIM_400000_NS6detail17trampoline_kernelINS0_14default_configENS1_25partition_config_selectorILNS1_17partition_subalgoE6ExNS0_10empty_typeEbEEZZNS1_14partition_implILS5_6ELb0ES3_mN6thrust23THRUST_200600_302600_NS6detail15normal_iteratorINSA_10device_ptrIxEEEEPS6_SG_NS0_5tupleIJSF_S6_EEENSH_IJSG_SG_EEES6_PlJNSB_9not_fun_tI7is_evenIxEEEEEE10hipError_tPvRmT3_T4_T5_T6_T7_T9_mT8_P12ihipStream_tbDpT10_ENKUlT_T0_E_clISt17integral_constantIbLb1EES17_IbLb0EEEEDaS13_S14_EUlS13_E_NS1_11comp_targetILNS1_3genE8ELNS1_11target_archE1030ELNS1_3gpuE2ELNS1_3repE0EEENS1_30default_config_static_selectorELNS0_4arch9wavefront6targetE0EEEvT1_ ; -- Begin function _ZN7rocprim17ROCPRIM_400000_NS6detail17trampoline_kernelINS0_14default_configENS1_25partition_config_selectorILNS1_17partition_subalgoE6ExNS0_10empty_typeEbEEZZNS1_14partition_implILS5_6ELb0ES3_mN6thrust23THRUST_200600_302600_NS6detail15normal_iteratorINSA_10device_ptrIxEEEEPS6_SG_NS0_5tupleIJSF_S6_EEENSH_IJSG_SG_EEES6_PlJNSB_9not_fun_tI7is_evenIxEEEEEE10hipError_tPvRmT3_T4_T5_T6_T7_T9_mT8_P12ihipStream_tbDpT10_ENKUlT_T0_E_clISt17integral_constantIbLb1EES17_IbLb0EEEEDaS13_S14_EUlS13_E_NS1_11comp_targetILNS1_3genE8ELNS1_11target_archE1030ELNS1_3gpuE2ELNS1_3repE0EEENS1_30default_config_static_selectorELNS0_4arch9wavefront6targetE0EEEvT1_
	.globl	_ZN7rocprim17ROCPRIM_400000_NS6detail17trampoline_kernelINS0_14default_configENS1_25partition_config_selectorILNS1_17partition_subalgoE6ExNS0_10empty_typeEbEEZZNS1_14partition_implILS5_6ELb0ES3_mN6thrust23THRUST_200600_302600_NS6detail15normal_iteratorINSA_10device_ptrIxEEEEPS6_SG_NS0_5tupleIJSF_S6_EEENSH_IJSG_SG_EEES6_PlJNSB_9not_fun_tI7is_evenIxEEEEEE10hipError_tPvRmT3_T4_T5_T6_T7_T9_mT8_P12ihipStream_tbDpT10_ENKUlT_T0_E_clISt17integral_constantIbLb1EES17_IbLb0EEEEDaS13_S14_EUlS13_E_NS1_11comp_targetILNS1_3genE8ELNS1_11target_archE1030ELNS1_3gpuE2ELNS1_3repE0EEENS1_30default_config_static_selectorELNS0_4arch9wavefront6targetE0EEEvT1_
	.p2align	8
	.type	_ZN7rocprim17ROCPRIM_400000_NS6detail17trampoline_kernelINS0_14default_configENS1_25partition_config_selectorILNS1_17partition_subalgoE6ExNS0_10empty_typeEbEEZZNS1_14partition_implILS5_6ELb0ES3_mN6thrust23THRUST_200600_302600_NS6detail15normal_iteratorINSA_10device_ptrIxEEEEPS6_SG_NS0_5tupleIJSF_S6_EEENSH_IJSG_SG_EEES6_PlJNSB_9not_fun_tI7is_evenIxEEEEEE10hipError_tPvRmT3_T4_T5_T6_T7_T9_mT8_P12ihipStream_tbDpT10_ENKUlT_T0_E_clISt17integral_constantIbLb1EES17_IbLb0EEEEDaS13_S14_EUlS13_E_NS1_11comp_targetILNS1_3genE8ELNS1_11target_archE1030ELNS1_3gpuE2ELNS1_3repE0EEENS1_30default_config_static_selectorELNS0_4arch9wavefront6targetE0EEEvT1_,@function
_ZN7rocprim17ROCPRIM_400000_NS6detail17trampoline_kernelINS0_14default_configENS1_25partition_config_selectorILNS1_17partition_subalgoE6ExNS0_10empty_typeEbEEZZNS1_14partition_implILS5_6ELb0ES3_mN6thrust23THRUST_200600_302600_NS6detail15normal_iteratorINSA_10device_ptrIxEEEEPS6_SG_NS0_5tupleIJSF_S6_EEENSH_IJSG_SG_EEES6_PlJNSB_9not_fun_tI7is_evenIxEEEEEE10hipError_tPvRmT3_T4_T5_T6_T7_T9_mT8_P12ihipStream_tbDpT10_ENKUlT_T0_E_clISt17integral_constantIbLb1EES17_IbLb0EEEEDaS13_S14_EUlS13_E_NS1_11comp_targetILNS1_3genE8ELNS1_11target_archE1030ELNS1_3gpuE2ELNS1_3repE0EEENS1_30default_config_static_selectorELNS0_4arch9wavefront6targetE0EEEvT1_: ; @_ZN7rocprim17ROCPRIM_400000_NS6detail17trampoline_kernelINS0_14default_configENS1_25partition_config_selectorILNS1_17partition_subalgoE6ExNS0_10empty_typeEbEEZZNS1_14partition_implILS5_6ELb0ES3_mN6thrust23THRUST_200600_302600_NS6detail15normal_iteratorINSA_10device_ptrIxEEEEPS6_SG_NS0_5tupleIJSF_S6_EEENSH_IJSG_SG_EEES6_PlJNSB_9not_fun_tI7is_evenIxEEEEEE10hipError_tPvRmT3_T4_T5_T6_T7_T9_mT8_P12ihipStream_tbDpT10_ENKUlT_T0_E_clISt17integral_constantIbLb1EES17_IbLb0EEEEDaS13_S14_EUlS13_E_NS1_11comp_targetILNS1_3genE8ELNS1_11target_archE1030ELNS1_3gpuE2ELNS1_3repE0EEENS1_30default_config_static_selectorELNS0_4arch9wavefront6targetE0EEEvT1_
; %bb.0:
	.section	.rodata,"a",@progbits
	.p2align	6, 0x0
	.amdhsa_kernel _ZN7rocprim17ROCPRIM_400000_NS6detail17trampoline_kernelINS0_14default_configENS1_25partition_config_selectorILNS1_17partition_subalgoE6ExNS0_10empty_typeEbEEZZNS1_14partition_implILS5_6ELb0ES3_mN6thrust23THRUST_200600_302600_NS6detail15normal_iteratorINSA_10device_ptrIxEEEEPS6_SG_NS0_5tupleIJSF_S6_EEENSH_IJSG_SG_EEES6_PlJNSB_9not_fun_tI7is_evenIxEEEEEE10hipError_tPvRmT3_T4_T5_T6_T7_T9_mT8_P12ihipStream_tbDpT10_ENKUlT_T0_E_clISt17integral_constantIbLb1EES17_IbLb0EEEEDaS13_S14_EUlS13_E_NS1_11comp_targetILNS1_3genE8ELNS1_11target_archE1030ELNS1_3gpuE2ELNS1_3repE0EEENS1_30default_config_static_selectorELNS0_4arch9wavefront6targetE0EEEvT1_
		.amdhsa_group_segment_fixed_size 0
		.amdhsa_private_segment_fixed_size 0
		.amdhsa_kernarg_size 112
		.amdhsa_user_sgpr_count 2
		.amdhsa_user_sgpr_dispatch_ptr 0
		.amdhsa_user_sgpr_queue_ptr 0
		.amdhsa_user_sgpr_kernarg_segment_ptr 1
		.amdhsa_user_sgpr_dispatch_id 0
		.amdhsa_user_sgpr_private_segment_size 0
		.amdhsa_wavefront_size32 1
		.amdhsa_uses_dynamic_stack 0
		.amdhsa_enable_private_segment 0
		.amdhsa_system_sgpr_workgroup_id_x 1
		.amdhsa_system_sgpr_workgroup_id_y 0
		.amdhsa_system_sgpr_workgroup_id_z 0
		.amdhsa_system_sgpr_workgroup_info 0
		.amdhsa_system_vgpr_workitem_id 0
		.amdhsa_next_free_vgpr 1
		.amdhsa_next_free_sgpr 1
		.amdhsa_reserve_vcc 0
		.amdhsa_float_round_mode_32 0
		.amdhsa_float_round_mode_16_64 0
		.amdhsa_float_denorm_mode_32 3
		.amdhsa_float_denorm_mode_16_64 3
		.amdhsa_fp16_overflow 0
		.amdhsa_workgroup_processor_mode 1
		.amdhsa_memory_ordered 1
		.amdhsa_forward_progress 1
		.amdhsa_inst_pref_size 0
		.amdhsa_round_robin_scheduling 0
		.amdhsa_exception_fp_ieee_invalid_op 0
		.amdhsa_exception_fp_denorm_src 0
		.amdhsa_exception_fp_ieee_div_zero 0
		.amdhsa_exception_fp_ieee_overflow 0
		.amdhsa_exception_fp_ieee_underflow 0
		.amdhsa_exception_fp_ieee_inexact 0
		.amdhsa_exception_int_div_zero 0
	.end_amdhsa_kernel
	.section	.text._ZN7rocprim17ROCPRIM_400000_NS6detail17trampoline_kernelINS0_14default_configENS1_25partition_config_selectorILNS1_17partition_subalgoE6ExNS0_10empty_typeEbEEZZNS1_14partition_implILS5_6ELb0ES3_mN6thrust23THRUST_200600_302600_NS6detail15normal_iteratorINSA_10device_ptrIxEEEEPS6_SG_NS0_5tupleIJSF_S6_EEENSH_IJSG_SG_EEES6_PlJNSB_9not_fun_tI7is_evenIxEEEEEE10hipError_tPvRmT3_T4_T5_T6_T7_T9_mT8_P12ihipStream_tbDpT10_ENKUlT_T0_E_clISt17integral_constantIbLb1EES17_IbLb0EEEEDaS13_S14_EUlS13_E_NS1_11comp_targetILNS1_3genE8ELNS1_11target_archE1030ELNS1_3gpuE2ELNS1_3repE0EEENS1_30default_config_static_selectorELNS0_4arch9wavefront6targetE0EEEvT1_,"axG",@progbits,_ZN7rocprim17ROCPRIM_400000_NS6detail17trampoline_kernelINS0_14default_configENS1_25partition_config_selectorILNS1_17partition_subalgoE6ExNS0_10empty_typeEbEEZZNS1_14partition_implILS5_6ELb0ES3_mN6thrust23THRUST_200600_302600_NS6detail15normal_iteratorINSA_10device_ptrIxEEEEPS6_SG_NS0_5tupleIJSF_S6_EEENSH_IJSG_SG_EEES6_PlJNSB_9not_fun_tI7is_evenIxEEEEEE10hipError_tPvRmT3_T4_T5_T6_T7_T9_mT8_P12ihipStream_tbDpT10_ENKUlT_T0_E_clISt17integral_constantIbLb1EES17_IbLb0EEEEDaS13_S14_EUlS13_E_NS1_11comp_targetILNS1_3genE8ELNS1_11target_archE1030ELNS1_3gpuE2ELNS1_3repE0EEENS1_30default_config_static_selectorELNS0_4arch9wavefront6targetE0EEEvT1_,comdat
.Lfunc_end716:
	.size	_ZN7rocprim17ROCPRIM_400000_NS6detail17trampoline_kernelINS0_14default_configENS1_25partition_config_selectorILNS1_17partition_subalgoE6ExNS0_10empty_typeEbEEZZNS1_14partition_implILS5_6ELb0ES3_mN6thrust23THRUST_200600_302600_NS6detail15normal_iteratorINSA_10device_ptrIxEEEEPS6_SG_NS0_5tupleIJSF_S6_EEENSH_IJSG_SG_EEES6_PlJNSB_9not_fun_tI7is_evenIxEEEEEE10hipError_tPvRmT3_T4_T5_T6_T7_T9_mT8_P12ihipStream_tbDpT10_ENKUlT_T0_E_clISt17integral_constantIbLb1EES17_IbLb0EEEEDaS13_S14_EUlS13_E_NS1_11comp_targetILNS1_3genE8ELNS1_11target_archE1030ELNS1_3gpuE2ELNS1_3repE0EEENS1_30default_config_static_selectorELNS0_4arch9wavefront6targetE0EEEvT1_, .Lfunc_end716-_ZN7rocprim17ROCPRIM_400000_NS6detail17trampoline_kernelINS0_14default_configENS1_25partition_config_selectorILNS1_17partition_subalgoE6ExNS0_10empty_typeEbEEZZNS1_14partition_implILS5_6ELb0ES3_mN6thrust23THRUST_200600_302600_NS6detail15normal_iteratorINSA_10device_ptrIxEEEEPS6_SG_NS0_5tupleIJSF_S6_EEENSH_IJSG_SG_EEES6_PlJNSB_9not_fun_tI7is_evenIxEEEEEE10hipError_tPvRmT3_T4_T5_T6_T7_T9_mT8_P12ihipStream_tbDpT10_ENKUlT_T0_E_clISt17integral_constantIbLb1EES17_IbLb0EEEEDaS13_S14_EUlS13_E_NS1_11comp_targetILNS1_3genE8ELNS1_11target_archE1030ELNS1_3gpuE2ELNS1_3repE0EEENS1_30default_config_static_selectorELNS0_4arch9wavefront6targetE0EEEvT1_
                                        ; -- End function
	.set _ZN7rocprim17ROCPRIM_400000_NS6detail17trampoline_kernelINS0_14default_configENS1_25partition_config_selectorILNS1_17partition_subalgoE6ExNS0_10empty_typeEbEEZZNS1_14partition_implILS5_6ELb0ES3_mN6thrust23THRUST_200600_302600_NS6detail15normal_iteratorINSA_10device_ptrIxEEEEPS6_SG_NS0_5tupleIJSF_S6_EEENSH_IJSG_SG_EEES6_PlJNSB_9not_fun_tI7is_evenIxEEEEEE10hipError_tPvRmT3_T4_T5_T6_T7_T9_mT8_P12ihipStream_tbDpT10_ENKUlT_T0_E_clISt17integral_constantIbLb1EES17_IbLb0EEEEDaS13_S14_EUlS13_E_NS1_11comp_targetILNS1_3genE8ELNS1_11target_archE1030ELNS1_3gpuE2ELNS1_3repE0EEENS1_30default_config_static_selectorELNS0_4arch9wavefront6targetE0EEEvT1_.num_vgpr, 0
	.set _ZN7rocprim17ROCPRIM_400000_NS6detail17trampoline_kernelINS0_14default_configENS1_25partition_config_selectorILNS1_17partition_subalgoE6ExNS0_10empty_typeEbEEZZNS1_14partition_implILS5_6ELb0ES3_mN6thrust23THRUST_200600_302600_NS6detail15normal_iteratorINSA_10device_ptrIxEEEEPS6_SG_NS0_5tupleIJSF_S6_EEENSH_IJSG_SG_EEES6_PlJNSB_9not_fun_tI7is_evenIxEEEEEE10hipError_tPvRmT3_T4_T5_T6_T7_T9_mT8_P12ihipStream_tbDpT10_ENKUlT_T0_E_clISt17integral_constantIbLb1EES17_IbLb0EEEEDaS13_S14_EUlS13_E_NS1_11comp_targetILNS1_3genE8ELNS1_11target_archE1030ELNS1_3gpuE2ELNS1_3repE0EEENS1_30default_config_static_selectorELNS0_4arch9wavefront6targetE0EEEvT1_.num_agpr, 0
	.set _ZN7rocprim17ROCPRIM_400000_NS6detail17trampoline_kernelINS0_14default_configENS1_25partition_config_selectorILNS1_17partition_subalgoE6ExNS0_10empty_typeEbEEZZNS1_14partition_implILS5_6ELb0ES3_mN6thrust23THRUST_200600_302600_NS6detail15normal_iteratorINSA_10device_ptrIxEEEEPS6_SG_NS0_5tupleIJSF_S6_EEENSH_IJSG_SG_EEES6_PlJNSB_9not_fun_tI7is_evenIxEEEEEE10hipError_tPvRmT3_T4_T5_T6_T7_T9_mT8_P12ihipStream_tbDpT10_ENKUlT_T0_E_clISt17integral_constantIbLb1EES17_IbLb0EEEEDaS13_S14_EUlS13_E_NS1_11comp_targetILNS1_3genE8ELNS1_11target_archE1030ELNS1_3gpuE2ELNS1_3repE0EEENS1_30default_config_static_selectorELNS0_4arch9wavefront6targetE0EEEvT1_.numbered_sgpr, 0
	.set _ZN7rocprim17ROCPRIM_400000_NS6detail17trampoline_kernelINS0_14default_configENS1_25partition_config_selectorILNS1_17partition_subalgoE6ExNS0_10empty_typeEbEEZZNS1_14partition_implILS5_6ELb0ES3_mN6thrust23THRUST_200600_302600_NS6detail15normal_iteratorINSA_10device_ptrIxEEEEPS6_SG_NS0_5tupleIJSF_S6_EEENSH_IJSG_SG_EEES6_PlJNSB_9not_fun_tI7is_evenIxEEEEEE10hipError_tPvRmT3_T4_T5_T6_T7_T9_mT8_P12ihipStream_tbDpT10_ENKUlT_T0_E_clISt17integral_constantIbLb1EES17_IbLb0EEEEDaS13_S14_EUlS13_E_NS1_11comp_targetILNS1_3genE8ELNS1_11target_archE1030ELNS1_3gpuE2ELNS1_3repE0EEENS1_30default_config_static_selectorELNS0_4arch9wavefront6targetE0EEEvT1_.num_named_barrier, 0
	.set _ZN7rocprim17ROCPRIM_400000_NS6detail17trampoline_kernelINS0_14default_configENS1_25partition_config_selectorILNS1_17partition_subalgoE6ExNS0_10empty_typeEbEEZZNS1_14partition_implILS5_6ELb0ES3_mN6thrust23THRUST_200600_302600_NS6detail15normal_iteratorINSA_10device_ptrIxEEEEPS6_SG_NS0_5tupleIJSF_S6_EEENSH_IJSG_SG_EEES6_PlJNSB_9not_fun_tI7is_evenIxEEEEEE10hipError_tPvRmT3_T4_T5_T6_T7_T9_mT8_P12ihipStream_tbDpT10_ENKUlT_T0_E_clISt17integral_constantIbLb1EES17_IbLb0EEEEDaS13_S14_EUlS13_E_NS1_11comp_targetILNS1_3genE8ELNS1_11target_archE1030ELNS1_3gpuE2ELNS1_3repE0EEENS1_30default_config_static_selectorELNS0_4arch9wavefront6targetE0EEEvT1_.private_seg_size, 0
	.set _ZN7rocprim17ROCPRIM_400000_NS6detail17trampoline_kernelINS0_14default_configENS1_25partition_config_selectorILNS1_17partition_subalgoE6ExNS0_10empty_typeEbEEZZNS1_14partition_implILS5_6ELb0ES3_mN6thrust23THRUST_200600_302600_NS6detail15normal_iteratorINSA_10device_ptrIxEEEEPS6_SG_NS0_5tupleIJSF_S6_EEENSH_IJSG_SG_EEES6_PlJNSB_9not_fun_tI7is_evenIxEEEEEE10hipError_tPvRmT3_T4_T5_T6_T7_T9_mT8_P12ihipStream_tbDpT10_ENKUlT_T0_E_clISt17integral_constantIbLb1EES17_IbLb0EEEEDaS13_S14_EUlS13_E_NS1_11comp_targetILNS1_3genE8ELNS1_11target_archE1030ELNS1_3gpuE2ELNS1_3repE0EEENS1_30default_config_static_selectorELNS0_4arch9wavefront6targetE0EEEvT1_.uses_vcc, 0
	.set _ZN7rocprim17ROCPRIM_400000_NS6detail17trampoline_kernelINS0_14default_configENS1_25partition_config_selectorILNS1_17partition_subalgoE6ExNS0_10empty_typeEbEEZZNS1_14partition_implILS5_6ELb0ES3_mN6thrust23THRUST_200600_302600_NS6detail15normal_iteratorINSA_10device_ptrIxEEEEPS6_SG_NS0_5tupleIJSF_S6_EEENSH_IJSG_SG_EEES6_PlJNSB_9not_fun_tI7is_evenIxEEEEEE10hipError_tPvRmT3_T4_T5_T6_T7_T9_mT8_P12ihipStream_tbDpT10_ENKUlT_T0_E_clISt17integral_constantIbLb1EES17_IbLb0EEEEDaS13_S14_EUlS13_E_NS1_11comp_targetILNS1_3genE8ELNS1_11target_archE1030ELNS1_3gpuE2ELNS1_3repE0EEENS1_30default_config_static_selectorELNS0_4arch9wavefront6targetE0EEEvT1_.uses_flat_scratch, 0
	.set _ZN7rocprim17ROCPRIM_400000_NS6detail17trampoline_kernelINS0_14default_configENS1_25partition_config_selectorILNS1_17partition_subalgoE6ExNS0_10empty_typeEbEEZZNS1_14partition_implILS5_6ELb0ES3_mN6thrust23THRUST_200600_302600_NS6detail15normal_iteratorINSA_10device_ptrIxEEEEPS6_SG_NS0_5tupleIJSF_S6_EEENSH_IJSG_SG_EEES6_PlJNSB_9not_fun_tI7is_evenIxEEEEEE10hipError_tPvRmT3_T4_T5_T6_T7_T9_mT8_P12ihipStream_tbDpT10_ENKUlT_T0_E_clISt17integral_constantIbLb1EES17_IbLb0EEEEDaS13_S14_EUlS13_E_NS1_11comp_targetILNS1_3genE8ELNS1_11target_archE1030ELNS1_3gpuE2ELNS1_3repE0EEENS1_30default_config_static_selectorELNS0_4arch9wavefront6targetE0EEEvT1_.has_dyn_sized_stack, 0
	.set _ZN7rocprim17ROCPRIM_400000_NS6detail17trampoline_kernelINS0_14default_configENS1_25partition_config_selectorILNS1_17partition_subalgoE6ExNS0_10empty_typeEbEEZZNS1_14partition_implILS5_6ELb0ES3_mN6thrust23THRUST_200600_302600_NS6detail15normal_iteratorINSA_10device_ptrIxEEEEPS6_SG_NS0_5tupleIJSF_S6_EEENSH_IJSG_SG_EEES6_PlJNSB_9not_fun_tI7is_evenIxEEEEEE10hipError_tPvRmT3_T4_T5_T6_T7_T9_mT8_P12ihipStream_tbDpT10_ENKUlT_T0_E_clISt17integral_constantIbLb1EES17_IbLb0EEEEDaS13_S14_EUlS13_E_NS1_11comp_targetILNS1_3genE8ELNS1_11target_archE1030ELNS1_3gpuE2ELNS1_3repE0EEENS1_30default_config_static_selectorELNS0_4arch9wavefront6targetE0EEEvT1_.has_recursion, 0
	.set _ZN7rocprim17ROCPRIM_400000_NS6detail17trampoline_kernelINS0_14default_configENS1_25partition_config_selectorILNS1_17partition_subalgoE6ExNS0_10empty_typeEbEEZZNS1_14partition_implILS5_6ELb0ES3_mN6thrust23THRUST_200600_302600_NS6detail15normal_iteratorINSA_10device_ptrIxEEEEPS6_SG_NS0_5tupleIJSF_S6_EEENSH_IJSG_SG_EEES6_PlJNSB_9not_fun_tI7is_evenIxEEEEEE10hipError_tPvRmT3_T4_T5_T6_T7_T9_mT8_P12ihipStream_tbDpT10_ENKUlT_T0_E_clISt17integral_constantIbLb1EES17_IbLb0EEEEDaS13_S14_EUlS13_E_NS1_11comp_targetILNS1_3genE8ELNS1_11target_archE1030ELNS1_3gpuE2ELNS1_3repE0EEENS1_30default_config_static_selectorELNS0_4arch9wavefront6targetE0EEEvT1_.has_indirect_call, 0
	.section	.AMDGPU.csdata,"",@progbits
; Kernel info:
; codeLenInByte = 0
; TotalNumSgprs: 0
; NumVgprs: 0
; ScratchSize: 0
; MemoryBound: 0
; FloatMode: 240
; IeeeMode: 1
; LDSByteSize: 0 bytes/workgroup (compile time only)
; SGPRBlocks: 0
; VGPRBlocks: 0
; NumSGPRsForWavesPerEU: 1
; NumVGPRsForWavesPerEU: 1
; Occupancy: 16
; WaveLimiterHint : 0
; COMPUTE_PGM_RSRC2:SCRATCH_EN: 0
; COMPUTE_PGM_RSRC2:USER_SGPR: 2
; COMPUTE_PGM_RSRC2:TRAP_HANDLER: 0
; COMPUTE_PGM_RSRC2:TGID_X_EN: 1
; COMPUTE_PGM_RSRC2:TGID_Y_EN: 0
; COMPUTE_PGM_RSRC2:TGID_Z_EN: 0
; COMPUTE_PGM_RSRC2:TIDIG_COMP_CNT: 0
	.section	.text._ZN7rocprim17ROCPRIM_400000_NS6detail17trampoline_kernelINS0_14default_configENS1_25partition_config_selectorILNS1_17partition_subalgoE6ExNS0_10empty_typeEbEEZZNS1_14partition_implILS5_6ELb0ES3_mN6thrust23THRUST_200600_302600_NS6detail15normal_iteratorINSA_10device_ptrIxEEEEPS6_SG_NS0_5tupleIJSF_S6_EEENSH_IJSG_SG_EEES6_PlJNSB_9not_fun_tI7is_evenIxEEEEEE10hipError_tPvRmT3_T4_T5_T6_T7_T9_mT8_P12ihipStream_tbDpT10_ENKUlT_T0_E_clISt17integral_constantIbLb0EES17_IbLb1EEEEDaS13_S14_EUlS13_E_NS1_11comp_targetILNS1_3genE0ELNS1_11target_archE4294967295ELNS1_3gpuE0ELNS1_3repE0EEENS1_30default_config_static_selectorELNS0_4arch9wavefront6targetE0EEEvT1_,"axG",@progbits,_ZN7rocprim17ROCPRIM_400000_NS6detail17trampoline_kernelINS0_14default_configENS1_25partition_config_selectorILNS1_17partition_subalgoE6ExNS0_10empty_typeEbEEZZNS1_14partition_implILS5_6ELb0ES3_mN6thrust23THRUST_200600_302600_NS6detail15normal_iteratorINSA_10device_ptrIxEEEEPS6_SG_NS0_5tupleIJSF_S6_EEENSH_IJSG_SG_EEES6_PlJNSB_9not_fun_tI7is_evenIxEEEEEE10hipError_tPvRmT3_T4_T5_T6_T7_T9_mT8_P12ihipStream_tbDpT10_ENKUlT_T0_E_clISt17integral_constantIbLb0EES17_IbLb1EEEEDaS13_S14_EUlS13_E_NS1_11comp_targetILNS1_3genE0ELNS1_11target_archE4294967295ELNS1_3gpuE0ELNS1_3repE0EEENS1_30default_config_static_selectorELNS0_4arch9wavefront6targetE0EEEvT1_,comdat
	.protected	_ZN7rocprim17ROCPRIM_400000_NS6detail17trampoline_kernelINS0_14default_configENS1_25partition_config_selectorILNS1_17partition_subalgoE6ExNS0_10empty_typeEbEEZZNS1_14partition_implILS5_6ELb0ES3_mN6thrust23THRUST_200600_302600_NS6detail15normal_iteratorINSA_10device_ptrIxEEEEPS6_SG_NS0_5tupleIJSF_S6_EEENSH_IJSG_SG_EEES6_PlJNSB_9not_fun_tI7is_evenIxEEEEEE10hipError_tPvRmT3_T4_T5_T6_T7_T9_mT8_P12ihipStream_tbDpT10_ENKUlT_T0_E_clISt17integral_constantIbLb0EES17_IbLb1EEEEDaS13_S14_EUlS13_E_NS1_11comp_targetILNS1_3genE0ELNS1_11target_archE4294967295ELNS1_3gpuE0ELNS1_3repE0EEENS1_30default_config_static_selectorELNS0_4arch9wavefront6targetE0EEEvT1_ ; -- Begin function _ZN7rocprim17ROCPRIM_400000_NS6detail17trampoline_kernelINS0_14default_configENS1_25partition_config_selectorILNS1_17partition_subalgoE6ExNS0_10empty_typeEbEEZZNS1_14partition_implILS5_6ELb0ES3_mN6thrust23THRUST_200600_302600_NS6detail15normal_iteratorINSA_10device_ptrIxEEEEPS6_SG_NS0_5tupleIJSF_S6_EEENSH_IJSG_SG_EEES6_PlJNSB_9not_fun_tI7is_evenIxEEEEEE10hipError_tPvRmT3_T4_T5_T6_T7_T9_mT8_P12ihipStream_tbDpT10_ENKUlT_T0_E_clISt17integral_constantIbLb0EES17_IbLb1EEEEDaS13_S14_EUlS13_E_NS1_11comp_targetILNS1_3genE0ELNS1_11target_archE4294967295ELNS1_3gpuE0ELNS1_3repE0EEENS1_30default_config_static_selectorELNS0_4arch9wavefront6targetE0EEEvT1_
	.globl	_ZN7rocprim17ROCPRIM_400000_NS6detail17trampoline_kernelINS0_14default_configENS1_25partition_config_selectorILNS1_17partition_subalgoE6ExNS0_10empty_typeEbEEZZNS1_14partition_implILS5_6ELb0ES3_mN6thrust23THRUST_200600_302600_NS6detail15normal_iteratorINSA_10device_ptrIxEEEEPS6_SG_NS0_5tupleIJSF_S6_EEENSH_IJSG_SG_EEES6_PlJNSB_9not_fun_tI7is_evenIxEEEEEE10hipError_tPvRmT3_T4_T5_T6_T7_T9_mT8_P12ihipStream_tbDpT10_ENKUlT_T0_E_clISt17integral_constantIbLb0EES17_IbLb1EEEEDaS13_S14_EUlS13_E_NS1_11comp_targetILNS1_3genE0ELNS1_11target_archE4294967295ELNS1_3gpuE0ELNS1_3repE0EEENS1_30default_config_static_selectorELNS0_4arch9wavefront6targetE0EEEvT1_
	.p2align	8
	.type	_ZN7rocprim17ROCPRIM_400000_NS6detail17trampoline_kernelINS0_14default_configENS1_25partition_config_selectorILNS1_17partition_subalgoE6ExNS0_10empty_typeEbEEZZNS1_14partition_implILS5_6ELb0ES3_mN6thrust23THRUST_200600_302600_NS6detail15normal_iteratorINSA_10device_ptrIxEEEEPS6_SG_NS0_5tupleIJSF_S6_EEENSH_IJSG_SG_EEES6_PlJNSB_9not_fun_tI7is_evenIxEEEEEE10hipError_tPvRmT3_T4_T5_T6_T7_T9_mT8_P12ihipStream_tbDpT10_ENKUlT_T0_E_clISt17integral_constantIbLb0EES17_IbLb1EEEEDaS13_S14_EUlS13_E_NS1_11comp_targetILNS1_3genE0ELNS1_11target_archE4294967295ELNS1_3gpuE0ELNS1_3repE0EEENS1_30default_config_static_selectorELNS0_4arch9wavefront6targetE0EEEvT1_,@function
_ZN7rocprim17ROCPRIM_400000_NS6detail17trampoline_kernelINS0_14default_configENS1_25partition_config_selectorILNS1_17partition_subalgoE6ExNS0_10empty_typeEbEEZZNS1_14partition_implILS5_6ELb0ES3_mN6thrust23THRUST_200600_302600_NS6detail15normal_iteratorINSA_10device_ptrIxEEEEPS6_SG_NS0_5tupleIJSF_S6_EEENSH_IJSG_SG_EEES6_PlJNSB_9not_fun_tI7is_evenIxEEEEEE10hipError_tPvRmT3_T4_T5_T6_T7_T9_mT8_P12ihipStream_tbDpT10_ENKUlT_T0_E_clISt17integral_constantIbLb0EES17_IbLb1EEEEDaS13_S14_EUlS13_E_NS1_11comp_targetILNS1_3genE0ELNS1_11target_archE4294967295ELNS1_3gpuE0ELNS1_3repE0EEENS1_30default_config_static_selectorELNS0_4arch9wavefront6targetE0EEEvT1_: ; @_ZN7rocprim17ROCPRIM_400000_NS6detail17trampoline_kernelINS0_14default_configENS1_25partition_config_selectorILNS1_17partition_subalgoE6ExNS0_10empty_typeEbEEZZNS1_14partition_implILS5_6ELb0ES3_mN6thrust23THRUST_200600_302600_NS6detail15normal_iteratorINSA_10device_ptrIxEEEEPS6_SG_NS0_5tupleIJSF_S6_EEENSH_IJSG_SG_EEES6_PlJNSB_9not_fun_tI7is_evenIxEEEEEE10hipError_tPvRmT3_T4_T5_T6_T7_T9_mT8_P12ihipStream_tbDpT10_ENKUlT_T0_E_clISt17integral_constantIbLb0EES17_IbLb1EEEEDaS13_S14_EUlS13_E_NS1_11comp_targetILNS1_3genE0ELNS1_11target_archE4294967295ELNS1_3gpuE0ELNS1_3repE0EEENS1_30default_config_static_selectorELNS0_4arch9wavefront6targetE0EEEvT1_
; %bb.0:
	.section	.rodata,"a",@progbits
	.p2align	6, 0x0
	.amdhsa_kernel _ZN7rocprim17ROCPRIM_400000_NS6detail17trampoline_kernelINS0_14default_configENS1_25partition_config_selectorILNS1_17partition_subalgoE6ExNS0_10empty_typeEbEEZZNS1_14partition_implILS5_6ELb0ES3_mN6thrust23THRUST_200600_302600_NS6detail15normal_iteratorINSA_10device_ptrIxEEEEPS6_SG_NS0_5tupleIJSF_S6_EEENSH_IJSG_SG_EEES6_PlJNSB_9not_fun_tI7is_evenIxEEEEEE10hipError_tPvRmT3_T4_T5_T6_T7_T9_mT8_P12ihipStream_tbDpT10_ENKUlT_T0_E_clISt17integral_constantIbLb0EES17_IbLb1EEEEDaS13_S14_EUlS13_E_NS1_11comp_targetILNS1_3genE0ELNS1_11target_archE4294967295ELNS1_3gpuE0ELNS1_3repE0EEENS1_30default_config_static_selectorELNS0_4arch9wavefront6targetE0EEEvT1_
		.amdhsa_group_segment_fixed_size 0
		.amdhsa_private_segment_fixed_size 0
		.amdhsa_kernarg_size 128
		.amdhsa_user_sgpr_count 2
		.amdhsa_user_sgpr_dispatch_ptr 0
		.amdhsa_user_sgpr_queue_ptr 0
		.amdhsa_user_sgpr_kernarg_segment_ptr 1
		.amdhsa_user_sgpr_dispatch_id 0
		.amdhsa_user_sgpr_private_segment_size 0
		.amdhsa_wavefront_size32 1
		.amdhsa_uses_dynamic_stack 0
		.amdhsa_enable_private_segment 0
		.amdhsa_system_sgpr_workgroup_id_x 1
		.amdhsa_system_sgpr_workgroup_id_y 0
		.amdhsa_system_sgpr_workgroup_id_z 0
		.amdhsa_system_sgpr_workgroup_info 0
		.amdhsa_system_vgpr_workitem_id 0
		.amdhsa_next_free_vgpr 1
		.amdhsa_next_free_sgpr 1
		.amdhsa_reserve_vcc 0
		.amdhsa_float_round_mode_32 0
		.amdhsa_float_round_mode_16_64 0
		.amdhsa_float_denorm_mode_32 3
		.amdhsa_float_denorm_mode_16_64 3
		.amdhsa_fp16_overflow 0
		.amdhsa_workgroup_processor_mode 1
		.amdhsa_memory_ordered 1
		.amdhsa_forward_progress 1
		.amdhsa_inst_pref_size 0
		.amdhsa_round_robin_scheduling 0
		.amdhsa_exception_fp_ieee_invalid_op 0
		.amdhsa_exception_fp_denorm_src 0
		.amdhsa_exception_fp_ieee_div_zero 0
		.amdhsa_exception_fp_ieee_overflow 0
		.amdhsa_exception_fp_ieee_underflow 0
		.amdhsa_exception_fp_ieee_inexact 0
		.amdhsa_exception_int_div_zero 0
	.end_amdhsa_kernel
	.section	.text._ZN7rocprim17ROCPRIM_400000_NS6detail17trampoline_kernelINS0_14default_configENS1_25partition_config_selectorILNS1_17partition_subalgoE6ExNS0_10empty_typeEbEEZZNS1_14partition_implILS5_6ELb0ES3_mN6thrust23THRUST_200600_302600_NS6detail15normal_iteratorINSA_10device_ptrIxEEEEPS6_SG_NS0_5tupleIJSF_S6_EEENSH_IJSG_SG_EEES6_PlJNSB_9not_fun_tI7is_evenIxEEEEEE10hipError_tPvRmT3_T4_T5_T6_T7_T9_mT8_P12ihipStream_tbDpT10_ENKUlT_T0_E_clISt17integral_constantIbLb0EES17_IbLb1EEEEDaS13_S14_EUlS13_E_NS1_11comp_targetILNS1_3genE0ELNS1_11target_archE4294967295ELNS1_3gpuE0ELNS1_3repE0EEENS1_30default_config_static_selectorELNS0_4arch9wavefront6targetE0EEEvT1_,"axG",@progbits,_ZN7rocprim17ROCPRIM_400000_NS6detail17trampoline_kernelINS0_14default_configENS1_25partition_config_selectorILNS1_17partition_subalgoE6ExNS0_10empty_typeEbEEZZNS1_14partition_implILS5_6ELb0ES3_mN6thrust23THRUST_200600_302600_NS6detail15normal_iteratorINSA_10device_ptrIxEEEEPS6_SG_NS0_5tupleIJSF_S6_EEENSH_IJSG_SG_EEES6_PlJNSB_9not_fun_tI7is_evenIxEEEEEE10hipError_tPvRmT3_T4_T5_T6_T7_T9_mT8_P12ihipStream_tbDpT10_ENKUlT_T0_E_clISt17integral_constantIbLb0EES17_IbLb1EEEEDaS13_S14_EUlS13_E_NS1_11comp_targetILNS1_3genE0ELNS1_11target_archE4294967295ELNS1_3gpuE0ELNS1_3repE0EEENS1_30default_config_static_selectorELNS0_4arch9wavefront6targetE0EEEvT1_,comdat
.Lfunc_end717:
	.size	_ZN7rocprim17ROCPRIM_400000_NS6detail17trampoline_kernelINS0_14default_configENS1_25partition_config_selectorILNS1_17partition_subalgoE6ExNS0_10empty_typeEbEEZZNS1_14partition_implILS5_6ELb0ES3_mN6thrust23THRUST_200600_302600_NS6detail15normal_iteratorINSA_10device_ptrIxEEEEPS6_SG_NS0_5tupleIJSF_S6_EEENSH_IJSG_SG_EEES6_PlJNSB_9not_fun_tI7is_evenIxEEEEEE10hipError_tPvRmT3_T4_T5_T6_T7_T9_mT8_P12ihipStream_tbDpT10_ENKUlT_T0_E_clISt17integral_constantIbLb0EES17_IbLb1EEEEDaS13_S14_EUlS13_E_NS1_11comp_targetILNS1_3genE0ELNS1_11target_archE4294967295ELNS1_3gpuE0ELNS1_3repE0EEENS1_30default_config_static_selectorELNS0_4arch9wavefront6targetE0EEEvT1_, .Lfunc_end717-_ZN7rocprim17ROCPRIM_400000_NS6detail17trampoline_kernelINS0_14default_configENS1_25partition_config_selectorILNS1_17partition_subalgoE6ExNS0_10empty_typeEbEEZZNS1_14partition_implILS5_6ELb0ES3_mN6thrust23THRUST_200600_302600_NS6detail15normal_iteratorINSA_10device_ptrIxEEEEPS6_SG_NS0_5tupleIJSF_S6_EEENSH_IJSG_SG_EEES6_PlJNSB_9not_fun_tI7is_evenIxEEEEEE10hipError_tPvRmT3_T4_T5_T6_T7_T9_mT8_P12ihipStream_tbDpT10_ENKUlT_T0_E_clISt17integral_constantIbLb0EES17_IbLb1EEEEDaS13_S14_EUlS13_E_NS1_11comp_targetILNS1_3genE0ELNS1_11target_archE4294967295ELNS1_3gpuE0ELNS1_3repE0EEENS1_30default_config_static_selectorELNS0_4arch9wavefront6targetE0EEEvT1_
                                        ; -- End function
	.set _ZN7rocprim17ROCPRIM_400000_NS6detail17trampoline_kernelINS0_14default_configENS1_25partition_config_selectorILNS1_17partition_subalgoE6ExNS0_10empty_typeEbEEZZNS1_14partition_implILS5_6ELb0ES3_mN6thrust23THRUST_200600_302600_NS6detail15normal_iteratorINSA_10device_ptrIxEEEEPS6_SG_NS0_5tupleIJSF_S6_EEENSH_IJSG_SG_EEES6_PlJNSB_9not_fun_tI7is_evenIxEEEEEE10hipError_tPvRmT3_T4_T5_T6_T7_T9_mT8_P12ihipStream_tbDpT10_ENKUlT_T0_E_clISt17integral_constantIbLb0EES17_IbLb1EEEEDaS13_S14_EUlS13_E_NS1_11comp_targetILNS1_3genE0ELNS1_11target_archE4294967295ELNS1_3gpuE0ELNS1_3repE0EEENS1_30default_config_static_selectorELNS0_4arch9wavefront6targetE0EEEvT1_.num_vgpr, 0
	.set _ZN7rocprim17ROCPRIM_400000_NS6detail17trampoline_kernelINS0_14default_configENS1_25partition_config_selectorILNS1_17partition_subalgoE6ExNS0_10empty_typeEbEEZZNS1_14partition_implILS5_6ELb0ES3_mN6thrust23THRUST_200600_302600_NS6detail15normal_iteratorINSA_10device_ptrIxEEEEPS6_SG_NS0_5tupleIJSF_S6_EEENSH_IJSG_SG_EEES6_PlJNSB_9not_fun_tI7is_evenIxEEEEEE10hipError_tPvRmT3_T4_T5_T6_T7_T9_mT8_P12ihipStream_tbDpT10_ENKUlT_T0_E_clISt17integral_constantIbLb0EES17_IbLb1EEEEDaS13_S14_EUlS13_E_NS1_11comp_targetILNS1_3genE0ELNS1_11target_archE4294967295ELNS1_3gpuE0ELNS1_3repE0EEENS1_30default_config_static_selectorELNS0_4arch9wavefront6targetE0EEEvT1_.num_agpr, 0
	.set _ZN7rocprim17ROCPRIM_400000_NS6detail17trampoline_kernelINS0_14default_configENS1_25partition_config_selectorILNS1_17partition_subalgoE6ExNS0_10empty_typeEbEEZZNS1_14partition_implILS5_6ELb0ES3_mN6thrust23THRUST_200600_302600_NS6detail15normal_iteratorINSA_10device_ptrIxEEEEPS6_SG_NS0_5tupleIJSF_S6_EEENSH_IJSG_SG_EEES6_PlJNSB_9not_fun_tI7is_evenIxEEEEEE10hipError_tPvRmT3_T4_T5_T6_T7_T9_mT8_P12ihipStream_tbDpT10_ENKUlT_T0_E_clISt17integral_constantIbLb0EES17_IbLb1EEEEDaS13_S14_EUlS13_E_NS1_11comp_targetILNS1_3genE0ELNS1_11target_archE4294967295ELNS1_3gpuE0ELNS1_3repE0EEENS1_30default_config_static_selectorELNS0_4arch9wavefront6targetE0EEEvT1_.numbered_sgpr, 0
	.set _ZN7rocprim17ROCPRIM_400000_NS6detail17trampoline_kernelINS0_14default_configENS1_25partition_config_selectorILNS1_17partition_subalgoE6ExNS0_10empty_typeEbEEZZNS1_14partition_implILS5_6ELb0ES3_mN6thrust23THRUST_200600_302600_NS6detail15normal_iteratorINSA_10device_ptrIxEEEEPS6_SG_NS0_5tupleIJSF_S6_EEENSH_IJSG_SG_EEES6_PlJNSB_9not_fun_tI7is_evenIxEEEEEE10hipError_tPvRmT3_T4_T5_T6_T7_T9_mT8_P12ihipStream_tbDpT10_ENKUlT_T0_E_clISt17integral_constantIbLb0EES17_IbLb1EEEEDaS13_S14_EUlS13_E_NS1_11comp_targetILNS1_3genE0ELNS1_11target_archE4294967295ELNS1_3gpuE0ELNS1_3repE0EEENS1_30default_config_static_selectorELNS0_4arch9wavefront6targetE0EEEvT1_.num_named_barrier, 0
	.set _ZN7rocprim17ROCPRIM_400000_NS6detail17trampoline_kernelINS0_14default_configENS1_25partition_config_selectorILNS1_17partition_subalgoE6ExNS0_10empty_typeEbEEZZNS1_14partition_implILS5_6ELb0ES3_mN6thrust23THRUST_200600_302600_NS6detail15normal_iteratorINSA_10device_ptrIxEEEEPS6_SG_NS0_5tupleIJSF_S6_EEENSH_IJSG_SG_EEES6_PlJNSB_9not_fun_tI7is_evenIxEEEEEE10hipError_tPvRmT3_T4_T5_T6_T7_T9_mT8_P12ihipStream_tbDpT10_ENKUlT_T0_E_clISt17integral_constantIbLb0EES17_IbLb1EEEEDaS13_S14_EUlS13_E_NS1_11comp_targetILNS1_3genE0ELNS1_11target_archE4294967295ELNS1_3gpuE0ELNS1_3repE0EEENS1_30default_config_static_selectorELNS0_4arch9wavefront6targetE0EEEvT1_.private_seg_size, 0
	.set _ZN7rocprim17ROCPRIM_400000_NS6detail17trampoline_kernelINS0_14default_configENS1_25partition_config_selectorILNS1_17partition_subalgoE6ExNS0_10empty_typeEbEEZZNS1_14partition_implILS5_6ELb0ES3_mN6thrust23THRUST_200600_302600_NS6detail15normal_iteratorINSA_10device_ptrIxEEEEPS6_SG_NS0_5tupleIJSF_S6_EEENSH_IJSG_SG_EEES6_PlJNSB_9not_fun_tI7is_evenIxEEEEEE10hipError_tPvRmT3_T4_T5_T6_T7_T9_mT8_P12ihipStream_tbDpT10_ENKUlT_T0_E_clISt17integral_constantIbLb0EES17_IbLb1EEEEDaS13_S14_EUlS13_E_NS1_11comp_targetILNS1_3genE0ELNS1_11target_archE4294967295ELNS1_3gpuE0ELNS1_3repE0EEENS1_30default_config_static_selectorELNS0_4arch9wavefront6targetE0EEEvT1_.uses_vcc, 0
	.set _ZN7rocprim17ROCPRIM_400000_NS6detail17trampoline_kernelINS0_14default_configENS1_25partition_config_selectorILNS1_17partition_subalgoE6ExNS0_10empty_typeEbEEZZNS1_14partition_implILS5_6ELb0ES3_mN6thrust23THRUST_200600_302600_NS6detail15normal_iteratorINSA_10device_ptrIxEEEEPS6_SG_NS0_5tupleIJSF_S6_EEENSH_IJSG_SG_EEES6_PlJNSB_9not_fun_tI7is_evenIxEEEEEE10hipError_tPvRmT3_T4_T5_T6_T7_T9_mT8_P12ihipStream_tbDpT10_ENKUlT_T0_E_clISt17integral_constantIbLb0EES17_IbLb1EEEEDaS13_S14_EUlS13_E_NS1_11comp_targetILNS1_3genE0ELNS1_11target_archE4294967295ELNS1_3gpuE0ELNS1_3repE0EEENS1_30default_config_static_selectorELNS0_4arch9wavefront6targetE0EEEvT1_.uses_flat_scratch, 0
	.set _ZN7rocprim17ROCPRIM_400000_NS6detail17trampoline_kernelINS0_14default_configENS1_25partition_config_selectorILNS1_17partition_subalgoE6ExNS0_10empty_typeEbEEZZNS1_14partition_implILS5_6ELb0ES3_mN6thrust23THRUST_200600_302600_NS6detail15normal_iteratorINSA_10device_ptrIxEEEEPS6_SG_NS0_5tupleIJSF_S6_EEENSH_IJSG_SG_EEES6_PlJNSB_9not_fun_tI7is_evenIxEEEEEE10hipError_tPvRmT3_T4_T5_T6_T7_T9_mT8_P12ihipStream_tbDpT10_ENKUlT_T0_E_clISt17integral_constantIbLb0EES17_IbLb1EEEEDaS13_S14_EUlS13_E_NS1_11comp_targetILNS1_3genE0ELNS1_11target_archE4294967295ELNS1_3gpuE0ELNS1_3repE0EEENS1_30default_config_static_selectorELNS0_4arch9wavefront6targetE0EEEvT1_.has_dyn_sized_stack, 0
	.set _ZN7rocprim17ROCPRIM_400000_NS6detail17trampoline_kernelINS0_14default_configENS1_25partition_config_selectorILNS1_17partition_subalgoE6ExNS0_10empty_typeEbEEZZNS1_14partition_implILS5_6ELb0ES3_mN6thrust23THRUST_200600_302600_NS6detail15normal_iteratorINSA_10device_ptrIxEEEEPS6_SG_NS0_5tupleIJSF_S6_EEENSH_IJSG_SG_EEES6_PlJNSB_9not_fun_tI7is_evenIxEEEEEE10hipError_tPvRmT3_T4_T5_T6_T7_T9_mT8_P12ihipStream_tbDpT10_ENKUlT_T0_E_clISt17integral_constantIbLb0EES17_IbLb1EEEEDaS13_S14_EUlS13_E_NS1_11comp_targetILNS1_3genE0ELNS1_11target_archE4294967295ELNS1_3gpuE0ELNS1_3repE0EEENS1_30default_config_static_selectorELNS0_4arch9wavefront6targetE0EEEvT1_.has_recursion, 0
	.set _ZN7rocprim17ROCPRIM_400000_NS6detail17trampoline_kernelINS0_14default_configENS1_25partition_config_selectorILNS1_17partition_subalgoE6ExNS0_10empty_typeEbEEZZNS1_14partition_implILS5_6ELb0ES3_mN6thrust23THRUST_200600_302600_NS6detail15normal_iteratorINSA_10device_ptrIxEEEEPS6_SG_NS0_5tupleIJSF_S6_EEENSH_IJSG_SG_EEES6_PlJNSB_9not_fun_tI7is_evenIxEEEEEE10hipError_tPvRmT3_T4_T5_T6_T7_T9_mT8_P12ihipStream_tbDpT10_ENKUlT_T0_E_clISt17integral_constantIbLb0EES17_IbLb1EEEEDaS13_S14_EUlS13_E_NS1_11comp_targetILNS1_3genE0ELNS1_11target_archE4294967295ELNS1_3gpuE0ELNS1_3repE0EEENS1_30default_config_static_selectorELNS0_4arch9wavefront6targetE0EEEvT1_.has_indirect_call, 0
	.section	.AMDGPU.csdata,"",@progbits
; Kernel info:
; codeLenInByte = 0
; TotalNumSgprs: 0
; NumVgprs: 0
; ScratchSize: 0
; MemoryBound: 0
; FloatMode: 240
; IeeeMode: 1
; LDSByteSize: 0 bytes/workgroup (compile time only)
; SGPRBlocks: 0
; VGPRBlocks: 0
; NumSGPRsForWavesPerEU: 1
; NumVGPRsForWavesPerEU: 1
; Occupancy: 16
; WaveLimiterHint : 0
; COMPUTE_PGM_RSRC2:SCRATCH_EN: 0
; COMPUTE_PGM_RSRC2:USER_SGPR: 2
; COMPUTE_PGM_RSRC2:TRAP_HANDLER: 0
; COMPUTE_PGM_RSRC2:TGID_X_EN: 1
; COMPUTE_PGM_RSRC2:TGID_Y_EN: 0
; COMPUTE_PGM_RSRC2:TGID_Z_EN: 0
; COMPUTE_PGM_RSRC2:TIDIG_COMP_CNT: 0
	.section	.text._ZN7rocprim17ROCPRIM_400000_NS6detail17trampoline_kernelINS0_14default_configENS1_25partition_config_selectorILNS1_17partition_subalgoE6ExNS0_10empty_typeEbEEZZNS1_14partition_implILS5_6ELb0ES3_mN6thrust23THRUST_200600_302600_NS6detail15normal_iteratorINSA_10device_ptrIxEEEEPS6_SG_NS0_5tupleIJSF_S6_EEENSH_IJSG_SG_EEES6_PlJNSB_9not_fun_tI7is_evenIxEEEEEE10hipError_tPvRmT3_T4_T5_T6_T7_T9_mT8_P12ihipStream_tbDpT10_ENKUlT_T0_E_clISt17integral_constantIbLb0EES17_IbLb1EEEEDaS13_S14_EUlS13_E_NS1_11comp_targetILNS1_3genE5ELNS1_11target_archE942ELNS1_3gpuE9ELNS1_3repE0EEENS1_30default_config_static_selectorELNS0_4arch9wavefront6targetE0EEEvT1_,"axG",@progbits,_ZN7rocprim17ROCPRIM_400000_NS6detail17trampoline_kernelINS0_14default_configENS1_25partition_config_selectorILNS1_17partition_subalgoE6ExNS0_10empty_typeEbEEZZNS1_14partition_implILS5_6ELb0ES3_mN6thrust23THRUST_200600_302600_NS6detail15normal_iteratorINSA_10device_ptrIxEEEEPS6_SG_NS0_5tupleIJSF_S6_EEENSH_IJSG_SG_EEES6_PlJNSB_9not_fun_tI7is_evenIxEEEEEE10hipError_tPvRmT3_T4_T5_T6_T7_T9_mT8_P12ihipStream_tbDpT10_ENKUlT_T0_E_clISt17integral_constantIbLb0EES17_IbLb1EEEEDaS13_S14_EUlS13_E_NS1_11comp_targetILNS1_3genE5ELNS1_11target_archE942ELNS1_3gpuE9ELNS1_3repE0EEENS1_30default_config_static_selectorELNS0_4arch9wavefront6targetE0EEEvT1_,comdat
	.protected	_ZN7rocprim17ROCPRIM_400000_NS6detail17trampoline_kernelINS0_14default_configENS1_25partition_config_selectorILNS1_17partition_subalgoE6ExNS0_10empty_typeEbEEZZNS1_14partition_implILS5_6ELb0ES3_mN6thrust23THRUST_200600_302600_NS6detail15normal_iteratorINSA_10device_ptrIxEEEEPS6_SG_NS0_5tupleIJSF_S6_EEENSH_IJSG_SG_EEES6_PlJNSB_9not_fun_tI7is_evenIxEEEEEE10hipError_tPvRmT3_T4_T5_T6_T7_T9_mT8_P12ihipStream_tbDpT10_ENKUlT_T0_E_clISt17integral_constantIbLb0EES17_IbLb1EEEEDaS13_S14_EUlS13_E_NS1_11comp_targetILNS1_3genE5ELNS1_11target_archE942ELNS1_3gpuE9ELNS1_3repE0EEENS1_30default_config_static_selectorELNS0_4arch9wavefront6targetE0EEEvT1_ ; -- Begin function _ZN7rocprim17ROCPRIM_400000_NS6detail17trampoline_kernelINS0_14default_configENS1_25partition_config_selectorILNS1_17partition_subalgoE6ExNS0_10empty_typeEbEEZZNS1_14partition_implILS5_6ELb0ES3_mN6thrust23THRUST_200600_302600_NS6detail15normal_iteratorINSA_10device_ptrIxEEEEPS6_SG_NS0_5tupleIJSF_S6_EEENSH_IJSG_SG_EEES6_PlJNSB_9not_fun_tI7is_evenIxEEEEEE10hipError_tPvRmT3_T4_T5_T6_T7_T9_mT8_P12ihipStream_tbDpT10_ENKUlT_T0_E_clISt17integral_constantIbLb0EES17_IbLb1EEEEDaS13_S14_EUlS13_E_NS1_11comp_targetILNS1_3genE5ELNS1_11target_archE942ELNS1_3gpuE9ELNS1_3repE0EEENS1_30default_config_static_selectorELNS0_4arch9wavefront6targetE0EEEvT1_
	.globl	_ZN7rocprim17ROCPRIM_400000_NS6detail17trampoline_kernelINS0_14default_configENS1_25partition_config_selectorILNS1_17partition_subalgoE6ExNS0_10empty_typeEbEEZZNS1_14partition_implILS5_6ELb0ES3_mN6thrust23THRUST_200600_302600_NS6detail15normal_iteratorINSA_10device_ptrIxEEEEPS6_SG_NS0_5tupleIJSF_S6_EEENSH_IJSG_SG_EEES6_PlJNSB_9not_fun_tI7is_evenIxEEEEEE10hipError_tPvRmT3_T4_T5_T6_T7_T9_mT8_P12ihipStream_tbDpT10_ENKUlT_T0_E_clISt17integral_constantIbLb0EES17_IbLb1EEEEDaS13_S14_EUlS13_E_NS1_11comp_targetILNS1_3genE5ELNS1_11target_archE942ELNS1_3gpuE9ELNS1_3repE0EEENS1_30default_config_static_selectorELNS0_4arch9wavefront6targetE0EEEvT1_
	.p2align	8
	.type	_ZN7rocprim17ROCPRIM_400000_NS6detail17trampoline_kernelINS0_14default_configENS1_25partition_config_selectorILNS1_17partition_subalgoE6ExNS0_10empty_typeEbEEZZNS1_14partition_implILS5_6ELb0ES3_mN6thrust23THRUST_200600_302600_NS6detail15normal_iteratorINSA_10device_ptrIxEEEEPS6_SG_NS0_5tupleIJSF_S6_EEENSH_IJSG_SG_EEES6_PlJNSB_9not_fun_tI7is_evenIxEEEEEE10hipError_tPvRmT3_T4_T5_T6_T7_T9_mT8_P12ihipStream_tbDpT10_ENKUlT_T0_E_clISt17integral_constantIbLb0EES17_IbLb1EEEEDaS13_S14_EUlS13_E_NS1_11comp_targetILNS1_3genE5ELNS1_11target_archE942ELNS1_3gpuE9ELNS1_3repE0EEENS1_30default_config_static_selectorELNS0_4arch9wavefront6targetE0EEEvT1_,@function
_ZN7rocprim17ROCPRIM_400000_NS6detail17trampoline_kernelINS0_14default_configENS1_25partition_config_selectorILNS1_17partition_subalgoE6ExNS0_10empty_typeEbEEZZNS1_14partition_implILS5_6ELb0ES3_mN6thrust23THRUST_200600_302600_NS6detail15normal_iteratorINSA_10device_ptrIxEEEEPS6_SG_NS0_5tupleIJSF_S6_EEENSH_IJSG_SG_EEES6_PlJNSB_9not_fun_tI7is_evenIxEEEEEE10hipError_tPvRmT3_T4_T5_T6_T7_T9_mT8_P12ihipStream_tbDpT10_ENKUlT_T0_E_clISt17integral_constantIbLb0EES17_IbLb1EEEEDaS13_S14_EUlS13_E_NS1_11comp_targetILNS1_3genE5ELNS1_11target_archE942ELNS1_3gpuE9ELNS1_3repE0EEENS1_30default_config_static_selectorELNS0_4arch9wavefront6targetE0EEEvT1_: ; @_ZN7rocprim17ROCPRIM_400000_NS6detail17trampoline_kernelINS0_14default_configENS1_25partition_config_selectorILNS1_17partition_subalgoE6ExNS0_10empty_typeEbEEZZNS1_14partition_implILS5_6ELb0ES3_mN6thrust23THRUST_200600_302600_NS6detail15normal_iteratorINSA_10device_ptrIxEEEEPS6_SG_NS0_5tupleIJSF_S6_EEENSH_IJSG_SG_EEES6_PlJNSB_9not_fun_tI7is_evenIxEEEEEE10hipError_tPvRmT3_T4_T5_T6_T7_T9_mT8_P12ihipStream_tbDpT10_ENKUlT_T0_E_clISt17integral_constantIbLb0EES17_IbLb1EEEEDaS13_S14_EUlS13_E_NS1_11comp_targetILNS1_3genE5ELNS1_11target_archE942ELNS1_3gpuE9ELNS1_3repE0EEENS1_30default_config_static_selectorELNS0_4arch9wavefront6targetE0EEEvT1_
; %bb.0:
	.section	.rodata,"a",@progbits
	.p2align	6, 0x0
	.amdhsa_kernel _ZN7rocprim17ROCPRIM_400000_NS6detail17trampoline_kernelINS0_14default_configENS1_25partition_config_selectorILNS1_17partition_subalgoE6ExNS0_10empty_typeEbEEZZNS1_14partition_implILS5_6ELb0ES3_mN6thrust23THRUST_200600_302600_NS6detail15normal_iteratorINSA_10device_ptrIxEEEEPS6_SG_NS0_5tupleIJSF_S6_EEENSH_IJSG_SG_EEES6_PlJNSB_9not_fun_tI7is_evenIxEEEEEE10hipError_tPvRmT3_T4_T5_T6_T7_T9_mT8_P12ihipStream_tbDpT10_ENKUlT_T0_E_clISt17integral_constantIbLb0EES17_IbLb1EEEEDaS13_S14_EUlS13_E_NS1_11comp_targetILNS1_3genE5ELNS1_11target_archE942ELNS1_3gpuE9ELNS1_3repE0EEENS1_30default_config_static_selectorELNS0_4arch9wavefront6targetE0EEEvT1_
		.amdhsa_group_segment_fixed_size 0
		.amdhsa_private_segment_fixed_size 0
		.amdhsa_kernarg_size 128
		.amdhsa_user_sgpr_count 2
		.amdhsa_user_sgpr_dispatch_ptr 0
		.amdhsa_user_sgpr_queue_ptr 0
		.amdhsa_user_sgpr_kernarg_segment_ptr 1
		.amdhsa_user_sgpr_dispatch_id 0
		.amdhsa_user_sgpr_private_segment_size 0
		.amdhsa_wavefront_size32 1
		.amdhsa_uses_dynamic_stack 0
		.amdhsa_enable_private_segment 0
		.amdhsa_system_sgpr_workgroup_id_x 1
		.amdhsa_system_sgpr_workgroup_id_y 0
		.amdhsa_system_sgpr_workgroup_id_z 0
		.amdhsa_system_sgpr_workgroup_info 0
		.amdhsa_system_vgpr_workitem_id 0
		.amdhsa_next_free_vgpr 1
		.amdhsa_next_free_sgpr 1
		.amdhsa_reserve_vcc 0
		.amdhsa_float_round_mode_32 0
		.amdhsa_float_round_mode_16_64 0
		.amdhsa_float_denorm_mode_32 3
		.amdhsa_float_denorm_mode_16_64 3
		.amdhsa_fp16_overflow 0
		.amdhsa_workgroup_processor_mode 1
		.amdhsa_memory_ordered 1
		.amdhsa_forward_progress 1
		.amdhsa_inst_pref_size 0
		.amdhsa_round_robin_scheduling 0
		.amdhsa_exception_fp_ieee_invalid_op 0
		.amdhsa_exception_fp_denorm_src 0
		.amdhsa_exception_fp_ieee_div_zero 0
		.amdhsa_exception_fp_ieee_overflow 0
		.amdhsa_exception_fp_ieee_underflow 0
		.amdhsa_exception_fp_ieee_inexact 0
		.amdhsa_exception_int_div_zero 0
	.end_amdhsa_kernel
	.section	.text._ZN7rocprim17ROCPRIM_400000_NS6detail17trampoline_kernelINS0_14default_configENS1_25partition_config_selectorILNS1_17partition_subalgoE6ExNS0_10empty_typeEbEEZZNS1_14partition_implILS5_6ELb0ES3_mN6thrust23THRUST_200600_302600_NS6detail15normal_iteratorINSA_10device_ptrIxEEEEPS6_SG_NS0_5tupleIJSF_S6_EEENSH_IJSG_SG_EEES6_PlJNSB_9not_fun_tI7is_evenIxEEEEEE10hipError_tPvRmT3_T4_T5_T6_T7_T9_mT8_P12ihipStream_tbDpT10_ENKUlT_T0_E_clISt17integral_constantIbLb0EES17_IbLb1EEEEDaS13_S14_EUlS13_E_NS1_11comp_targetILNS1_3genE5ELNS1_11target_archE942ELNS1_3gpuE9ELNS1_3repE0EEENS1_30default_config_static_selectorELNS0_4arch9wavefront6targetE0EEEvT1_,"axG",@progbits,_ZN7rocprim17ROCPRIM_400000_NS6detail17trampoline_kernelINS0_14default_configENS1_25partition_config_selectorILNS1_17partition_subalgoE6ExNS0_10empty_typeEbEEZZNS1_14partition_implILS5_6ELb0ES3_mN6thrust23THRUST_200600_302600_NS6detail15normal_iteratorINSA_10device_ptrIxEEEEPS6_SG_NS0_5tupleIJSF_S6_EEENSH_IJSG_SG_EEES6_PlJNSB_9not_fun_tI7is_evenIxEEEEEE10hipError_tPvRmT3_T4_T5_T6_T7_T9_mT8_P12ihipStream_tbDpT10_ENKUlT_T0_E_clISt17integral_constantIbLb0EES17_IbLb1EEEEDaS13_S14_EUlS13_E_NS1_11comp_targetILNS1_3genE5ELNS1_11target_archE942ELNS1_3gpuE9ELNS1_3repE0EEENS1_30default_config_static_selectorELNS0_4arch9wavefront6targetE0EEEvT1_,comdat
.Lfunc_end718:
	.size	_ZN7rocprim17ROCPRIM_400000_NS6detail17trampoline_kernelINS0_14default_configENS1_25partition_config_selectorILNS1_17partition_subalgoE6ExNS0_10empty_typeEbEEZZNS1_14partition_implILS5_6ELb0ES3_mN6thrust23THRUST_200600_302600_NS6detail15normal_iteratorINSA_10device_ptrIxEEEEPS6_SG_NS0_5tupleIJSF_S6_EEENSH_IJSG_SG_EEES6_PlJNSB_9not_fun_tI7is_evenIxEEEEEE10hipError_tPvRmT3_T4_T5_T6_T7_T9_mT8_P12ihipStream_tbDpT10_ENKUlT_T0_E_clISt17integral_constantIbLb0EES17_IbLb1EEEEDaS13_S14_EUlS13_E_NS1_11comp_targetILNS1_3genE5ELNS1_11target_archE942ELNS1_3gpuE9ELNS1_3repE0EEENS1_30default_config_static_selectorELNS0_4arch9wavefront6targetE0EEEvT1_, .Lfunc_end718-_ZN7rocprim17ROCPRIM_400000_NS6detail17trampoline_kernelINS0_14default_configENS1_25partition_config_selectorILNS1_17partition_subalgoE6ExNS0_10empty_typeEbEEZZNS1_14partition_implILS5_6ELb0ES3_mN6thrust23THRUST_200600_302600_NS6detail15normal_iteratorINSA_10device_ptrIxEEEEPS6_SG_NS0_5tupleIJSF_S6_EEENSH_IJSG_SG_EEES6_PlJNSB_9not_fun_tI7is_evenIxEEEEEE10hipError_tPvRmT3_T4_T5_T6_T7_T9_mT8_P12ihipStream_tbDpT10_ENKUlT_T0_E_clISt17integral_constantIbLb0EES17_IbLb1EEEEDaS13_S14_EUlS13_E_NS1_11comp_targetILNS1_3genE5ELNS1_11target_archE942ELNS1_3gpuE9ELNS1_3repE0EEENS1_30default_config_static_selectorELNS0_4arch9wavefront6targetE0EEEvT1_
                                        ; -- End function
	.set _ZN7rocprim17ROCPRIM_400000_NS6detail17trampoline_kernelINS0_14default_configENS1_25partition_config_selectorILNS1_17partition_subalgoE6ExNS0_10empty_typeEbEEZZNS1_14partition_implILS5_6ELb0ES3_mN6thrust23THRUST_200600_302600_NS6detail15normal_iteratorINSA_10device_ptrIxEEEEPS6_SG_NS0_5tupleIJSF_S6_EEENSH_IJSG_SG_EEES6_PlJNSB_9not_fun_tI7is_evenIxEEEEEE10hipError_tPvRmT3_T4_T5_T6_T7_T9_mT8_P12ihipStream_tbDpT10_ENKUlT_T0_E_clISt17integral_constantIbLb0EES17_IbLb1EEEEDaS13_S14_EUlS13_E_NS1_11comp_targetILNS1_3genE5ELNS1_11target_archE942ELNS1_3gpuE9ELNS1_3repE0EEENS1_30default_config_static_selectorELNS0_4arch9wavefront6targetE0EEEvT1_.num_vgpr, 0
	.set _ZN7rocprim17ROCPRIM_400000_NS6detail17trampoline_kernelINS0_14default_configENS1_25partition_config_selectorILNS1_17partition_subalgoE6ExNS0_10empty_typeEbEEZZNS1_14partition_implILS5_6ELb0ES3_mN6thrust23THRUST_200600_302600_NS6detail15normal_iteratorINSA_10device_ptrIxEEEEPS6_SG_NS0_5tupleIJSF_S6_EEENSH_IJSG_SG_EEES6_PlJNSB_9not_fun_tI7is_evenIxEEEEEE10hipError_tPvRmT3_T4_T5_T6_T7_T9_mT8_P12ihipStream_tbDpT10_ENKUlT_T0_E_clISt17integral_constantIbLb0EES17_IbLb1EEEEDaS13_S14_EUlS13_E_NS1_11comp_targetILNS1_3genE5ELNS1_11target_archE942ELNS1_3gpuE9ELNS1_3repE0EEENS1_30default_config_static_selectorELNS0_4arch9wavefront6targetE0EEEvT1_.num_agpr, 0
	.set _ZN7rocprim17ROCPRIM_400000_NS6detail17trampoline_kernelINS0_14default_configENS1_25partition_config_selectorILNS1_17partition_subalgoE6ExNS0_10empty_typeEbEEZZNS1_14partition_implILS5_6ELb0ES3_mN6thrust23THRUST_200600_302600_NS6detail15normal_iteratorINSA_10device_ptrIxEEEEPS6_SG_NS0_5tupleIJSF_S6_EEENSH_IJSG_SG_EEES6_PlJNSB_9not_fun_tI7is_evenIxEEEEEE10hipError_tPvRmT3_T4_T5_T6_T7_T9_mT8_P12ihipStream_tbDpT10_ENKUlT_T0_E_clISt17integral_constantIbLb0EES17_IbLb1EEEEDaS13_S14_EUlS13_E_NS1_11comp_targetILNS1_3genE5ELNS1_11target_archE942ELNS1_3gpuE9ELNS1_3repE0EEENS1_30default_config_static_selectorELNS0_4arch9wavefront6targetE0EEEvT1_.numbered_sgpr, 0
	.set _ZN7rocprim17ROCPRIM_400000_NS6detail17trampoline_kernelINS0_14default_configENS1_25partition_config_selectorILNS1_17partition_subalgoE6ExNS0_10empty_typeEbEEZZNS1_14partition_implILS5_6ELb0ES3_mN6thrust23THRUST_200600_302600_NS6detail15normal_iteratorINSA_10device_ptrIxEEEEPS6_SG_NS0_5tupleIJSF_S6_EEENSH_IJSG_SG_EEES6_PlJNSB_9not_fun_tI7is_evenIxEEEEEE10hipError_tPvRmT3_T4_T5_T6_T7_T9_mT8_P12ihipStream_tbDpT10_ENKUlT_T0_E_clISt17integral_constantIbLb0EES17_IbLb1EEEEDaS13_S14_EUlS13_E_NS1_11comp_targetILNS1_3genE5ELNS1_11target_archE942ELNS1_3gpuE9ELNS1_3repE0EEENS1_30default_config_static_selectorELNS0_4arch9wavefront6targetE0EEEvT1_.num_named_barrier, 0
	.set _ZN7rocprim17ROCPRIM_400000_NS6detail17trampoline_kernelINS0_14default_configENS1_25partition_config_selectorILNS1_17partition_subalgoE6ExNS0_10empty_typeEbEEZZNS1_14partition_implILS5_6ELb0ES3_mN6thrust23THRUST_200600_302600_NS6detail15normal_iteratorINSA_10device_ptrIxEEEEPS6_SG_NS0_5tupleIJSF_S6_EEENSH_IJSG_SG_EEES6_PlJNSB_9not_fun_tI7is_evenIxEEEEEE10hipError_tPvRmT3_T4_T5_T6_T7_T9_mT8_P12ihipStream_tbDpT10_ENKUlT_T0_E_clISt17integral_constantIbLb0EES17_IbLb1EEEEDaS13_S14_EUlS13_E_NS1_11comp_targetILNS1_3genE5ELNS1_11target_archE942ELNS1_3gpuE9ELNS1_3repE0EEENS1_30default_config_static_selectorELNS0_4arch9wavefront6targetE0EEEvT1_.private_seg_size, 0
	.set _ZN7rocprim17ROCPRIM_400000_NS6detail17trampoline_kernelINS0_14default_configENS1_25partition_config_selectorILNS1_17partition_subalgoE6ExNS0_10empty_typeEbEEZZNS1_14partition_implILS5_6ELb0ES3_mN6thrust23THRUST_200600_302600_NS6detail15normal_iteratorINSA_10device_ptrIxEEEEPS6_SG_NS0_5tupleIJSF_S6_EEENSH_IJSG_SG_EEES6_PlJNSB_9not_fun_tI7is_evenIxEEEEEE10hipError_tPvRmT3_T4_T5_T6_T7_T9_mT8_P12ihipStream_tbDpT10_ENKUlT_T0_E_clISt17integral_constantIbLb0EES17_IbLb1EEEEDaS13_S14_EUlS13_E_NS1_11comp_targetILNS1_3genE5ELNS1_11target_archE942ELNS1_3gpuE9ELNS1_3repE0EEENS1_30default_config_static_selectorELNS0_4arch9wavefront6targetE0EEEvT1_.uses_vcc, 0
	.set _ZN7rocprim17ROCPRIM_400000_NS6detail17trampoline_kernelINS0_14default_configENS1_25partition_config_selectorILNS1_17partition_subalgoE6ExNS0_10empty_typeEbEEZZNS1_14partition_implILS5_6ELb0ES3_mN6thrust23THRUST_200600_302600_NS6detail15normal_iteratorINSA_10device_ptrIxEEEEPS6_SG_NS0_5tupleIJSF_S6_EEENSH_IJSG_SG_EEES6_PlJNSB_9not_fun_tI7is_evenIxEEEEEE10hipError_tPvRmT3_T4_T5_T6_T7_T9_mT8_P12ihipStream_tbDpT10_ENKUlT_T0_E_clISt17integral_constantIbLb0EES17_IbLb1EEEEDaS13_S14_EUlS13_E_NS1_11comp_targetILNS1_3genE5ELNS1_11target_archE942ELNS1_3gpuE9ELNS1_3repE0EEENS1_30default_config_static_selectorELNS0_4arch9wavefront6targetE0EEEvT1_.uses_flat_scratch, 0
	.set _ZN7rocprim17ROCPRIM_400000_NS6detail17trampoline_kernelINS0_14default_configENS1_25partition_config_selectorILNS1_17partition_subalgoE6ExNS0_10empty_typeEbEEZZNS1_14partition_implILS5_6ELb0ES3_mN6thrust23THRUST_200600_302600_NS6detail15normal_iteratorINSA_10device_ptrIxEEEEPS6_SG_NS0_5tupleIJSF_S6_EEENSH_IJSG_SG_EEES6_PlJNSB_9not_fun_tI7is_evenIxEEEEEE10hipError_tPvRmT3_T4_T5_T6_T7_T9_mT8_P12ihipStream_tbDpT10_ENKUlT_T0_E_clISt17integral_constantIbLb0EES17_IbLb1EEEEDaS13_S14_EUlS13_E_NS1_11comp_targetILNS1_3genE5ELNS1_11target_archE942ELNS1_3gpuE9ELNS1_3repE0EEENS1_30default_config_static_selectorELNS0_4arch9wavefront6targetE0EEEvT1_.has_dyn_sized_stack, 0
	.set _ZN7rocprim17ROCPRIM_400000_NS6detail17trampoline_kernelINS0_14default_configENS1_25partition_config_selectorILNS1_17partition_subalgoE6ExNS0_10empty_typeEbEEZZNS1_14partition_implILS5_6ELb0ES3_mN6thrust23THRUST_200600_302600_NS6detail15normal_iteratorINSA_10device_ptrIxEEEEPS6_SG_NS0_5tupleIJSF_S6_EEENSH_IJSG_SG_EEES6_PlJNSB_9not_fun_tI7is_evenIxEEEEEE10hipError_tPvRmT3_T4_T5_T6_T7_T9_mT8_P12ihipStream_tbDpT10_ENKUlT_T0_E_clISt17integral_constantIbLb0EES17_IbLb1EEEEDaS13_S14_EUlS13_E_NS1_11comp_targetILNS1_3genE5ELNS1_11target_archE942ELNS1_3gpuE9ELNS1_3repE0EEENS1_30default_config_static_selectorELNS0_4arch9wavefront6targetE0EEEvT1_.has_recursion, 0
	.set _ZN7rocprim17ROCPRIM_400000_NS6detail17trampoline_kernelINS0_14default_configENS1_25partition_config_selectorILNS1_17partition_subalgoE6ExNS0_10empty_typeEbEEZZNS1_14partition_implILS5_6ELb0ES3_mN6thrust23THRUST_200600_302600_NS6detail15normal_iteratorINSA_10device_ptrIxEEEEPS6_SG_NS0_5tupleIJSF_S6_EEENSH_IJSG_SG_EEES6_PlJNSB_9not_fun_tI7is_evenIxEEEEEE10hipError_tPvRmT3_T4_T5_T6_T7_T9_mT8_P12ihipStream_tbDpT10_ENKUlT_T0_E_clISt17integral_constantIbLb0EES17_IbLb1EEEEDaS13_S14_EUlS13_E_NS1_11comp_targetILNS1_3genE5ELNS1_11target_archE942ELNS1_3gpuE9ELNS1_3repE0EEENS1_30default_config_static_selectorELNS0_4arch9wavefront6targetE0EEEvT1_.has_indirect_call, 0
	.section	.AMDGPU.csdata,"",@progbits
; Kernel info:
; codeLenInByte = 0
; TotalNumSgprs: 0
; NumVgprs: 0
; ScratchSize: 0
; MemoryBound: 0
; FloatMode: 240
; IeeeMode: 1
; LDSByteSize: 0 bytes/workgroup (compile time only)
; SGPRBlocks: 0
; VGPRBlocks: 0
; NumSGPRsForWavesPerEU: 1
; NumVGPRsForWavesPerEU: 1
; Occupancy: 16
; WaveLimiterHint : 0
; COMPUTE_PGM_RSRC2:SCRATCH_EN: 0
; COMPUTE_PGM_RSRC2:USER_SGPR: 2
; COMPUTE_PGM_RSRC2:TRAP_HANDLER: 0
; COMPUTE_PGM_RSRC2:TGID_X_EN: 1
; COMPUTE_PGM_RSRC2:TGID_Y_EN: 0
; COMPUTE_PGM_RSRC2:TGID_Z_EN: 0
; COMPUTE_PGM_RSRC2:TIDIG_COMP_CNT: 0
	.section	.text._ZN7rocprim17ROCPRIM_400000_NS6detail17trampoline_kernelINS0_14default_configENS1_25partition_config_selectorILNS1_17partition_subalgoE6ExNS0_10empty_typeEbEEZZNS1_14partition_implILS5_6ELb0ES3_mN6thrust23THRUST_200600_302600_NS6detail15normal_iteratorINSA_10device_ptrIxEEEEPS6_SG_NS0_5tupleIJSF_S6_EEENSH_IJSG_SG_EEES6_PlJNSB_9not_fun_tI7is_evenIxEEEEEE10hipError_tPvRmT3_T4_T5_T6_T7_T9_mT8_P12ihipStream_tbDpT10_ENKUlT_T0_E_clISt17integral_constantIbLb0EES17_IbLb1EEEEDaS13_S14_EUlS13_E_NS1_11comp_targetILNS1_3genE4ELNS1_11target_archE910ELNS1_3gpuE8ELNS1_3repE0EEENS1_30default_config_static_selectorELNS0_4arch9wavefront6targetE0EEEvT1_,"axG",@progbits,_ZN7rocprim17ROCPRIM_400000_NS6detail17trampoline_kernelINS0_14default_configENS1_25partition_config_selectorILNS1_17partition_subalgoE6ExNS0_10empty_typeEbEEZZNS1_14partition_implILS5_6ELb0ES3_mN6thrust23THRUST_200600_302600_NS6detail15normal_iteratorINSA_10device_ptrIxEEEEPS6_SG_NS0_5tupleIJSF_S6_EEENSH_IJSG_SG_EEES6_PlJNSB_9not_fun_tI7is_evenIxEEEEEE10hipError_tPvRmT3_T4_T5_T6_T7_T9_mT8_P12ihipStream_tbDpT10_ENKUlT_T0_E_clISt17integral_constantIbLb0EES17_IbLb1EEEEDaS13_S14_EUlS13_E_NS1_11comp_targetILNS1_3genE4ELNS1_11target_archE910ELNS1_3gpuE8ELNS1_3repE0EEENS1_30default_config_static_selectorELNS0_4arch9wavefront6targetE0EEEvT1_,comdat
	.protected	_ZN7rocprim17ROCPRIM_400000_NS6detail17trampoline_kernelINS0_14default_configENS1_25partition_config_selectorILNS1_17partition_subalgoE6ExNS0_10empty_typeEbEEZZNS1_14partition_implILS5_6ELb0ES3_mN6thrust23THRUST_200600_302600_NS6detail15normal_iteratorINSA_10device_ptrIxEEEEPS6_SG_NS0_5tupleIJSF_S6_EEENSH_IJSG_SG_EEES6_PlJNSB_9not_fun_tI7is_evenIxEEEEEE10hipError_tPvRmT3_T4_T5_T6_T7_T9_mT8_P12ihipStream_tbDpT10_ENKUlT_T0_E_clISt17integral_constantIbLb0EES17_IbLb1EEEEDaS13_S14_EUlS13_E_NS1_11comp_targetILNS1_3genE4ELNS1_11target_archE910ELNS1_3gpuE8ELNS1_3repE0EEENS1_30default_config_static_selectorELNS0_4arch9wavefront6targetE0EEEvT1_ ; -- Begin function _ZN7rocprim17ROCPRIM_400000_NS6detail17trampoline_kernelINS0_14default_configENS1_25partition_config_selectorILNS1_17partition_subalgoE6ExNS0_10empty_typeEbEEZZNS1_14partition_implILS5_6ELb0ES3_mN6thrust23THRUST_200600_302600_NS6detail15normal_iteratorINSA_10device_ptrIxEEEEPS6_SG_NS0_5tupleIJSF_S6_EEENSH_IJSG_SG_EEES6_PlJNSB_9not_fun_tI7is_evenIxEEEEEE10hipError_tPvRmT3_T4_T5_T6_T7_T9_mT8_P12ihipStream_tbDpT10_ENKUlT_T0_E_clISt17integral_constantIbLb0EES17_IbLb1EEEEDaS13_S14_EUlS13_E_NS1_11comp_targetILNS1_3genE4ELNS1_11target_archE910ELNS1_3gpuE8ELNS1_3repE0EEENS1_30default_config_static_selectorELNS0_4arch9wavefront6targetE0EEEvT1_
	.globl	_ZN7rocprim17ROCPRIM_400000_NS6detail17trampoline_kernelINS0_14default_configENS1_25partition_config_selectorILNS1_17partition_subalgoE6ExNS0_10empty_typeEbEEZZNS1_14partition_implILS5_6ELb0ES3_mN6thrust23THRUST_200600_302600_NS6detail15normal_iteratorINSA_10device_ptrIxEEEEPS6_SG_NS0_5tupleIJSF_S6_EEENSH_IJSG_SG_EEES6_PlJNSB_9not_fun_tI7is_evenIxEEEEEE10hipError_tPvRmT3_T4_T5_T6_T7_T9_mT8_P12ihipStream_tbDpT10_ENKUlT_T0_E_clISt17integral_constantIbLb0EES17_IbLb1EEEEDaS13_S14_EUlS13_E_NS1_11comp_targetILNS1_3genE4ELNS1_11target_archE910ELNS1_3gpuE8ELNS1_3repE0EEENS1_30default_config_static_selectorELNS0_4arch9wavefront6targetE0EEEvT1_
	.p2align	8
	.type	_ZN7rocprim17ROCPRIM_400000_NS6detail17trampoline_kernelINS0_14default_configENS1_25partition_config_selectorILNS1_17partition_subalgoE6ExNS0_10empty_typeEbEEZZNS1_14partition_implILS5_6ELb0ES3_mN6thrust23THRUST_200600_302600_NS6detail15normal_iteratorINSA_10device_ptrIxEEEEPS6_SG_NS0_5tupleIJSF_S6_EEENSH_IJSG_SG_EEES6_PlJNSB_9not_fun_tI7is_evenIxEEEEEE10hipError_tPvRmT3_T4_T5_T6_T7_T9_mT8_P12ihipStream_tbDpT10_ENKUlT_T0_E_clISt17integral_constantIbLb0EES17_IbLb1EEEEDaS13_S14_EUlS13_E_NS1_11comp_targetILNS1_3genE4ELNS1_11target_archE910ELNS1_3gpuE8ELNS1_3repE0EEENS1_30default_config_static_selectorELNS0_4arch9wavefront6targetE0EEEvT1_,@function
_ZN7rocprim17ROCPRIM_400000_NS6detail17trampoline_kernelINS0_14default_configENS1_25partition_config_selectorILNS1_17partition_subalgoE6ExNS0_10empty_typeEbEEZZNS1_14partition_implILS5_6ELb0ES3_mN6thrust23THRUST_200600_302600_NS6detail15normal_iteratorINSA_10device_ptrIxEEEEPS6_SG_NS0_5tupleIJSF_S6_EEENSH_IJSG_SG_EEES6_PlJNSB_9not_fun_tI7is_evenIxEEEEEE10hipError_tPvRmT3_T4_T5_T6_T7_T9_mT8_P12ihipStream_tbDpT10_ENKUlT_T0_E_clISt17integral_constantIbLb0EES17_IbLb1EEEEDaS13_S14_EUlS13_E_NS1_11comp_targetILNS1_3genE4ELNS1_11target_archE910ELNS1_3gpuE8ELNS1_3repE0EEENS1_30default_config_static_selectorELNS0_4arch9wavefront6targetE0EEEvT1_: ; @_ZN7rocprim17ROCPRIM_400000_NS6detail17trampoline_kernelINS0_14default_configENS1_25partition_config_selectorILNS1_17partition_subalgoE6ExNS0_10empty_typeEbEEZZNS1_14partition_implILS5_6ELb0ES3_mN6thrust23THRUST_200600_302600_NS6detail15normal_iteratorINSA_10device_ptrIxEEEEPS6_SG_NS0_5tupleIJSF_S6_EEENSH_IJSG_SG_EEES6_PlJNSB_9not_fun_tI7is_evenIxEEEEEE10hipError_tPvRmT3_T4_T5_T6_T7_T9_mT8_P12ihipStream_tbDpT10_ENKUlT_T0_E_clISt17integral_constantIbLb0EES17_IbLb1EEEEDaS13_S14_EUlS13_E_NS1_11comp_targetILNS1_3genE4ELNS1_11target_archE910ELNS1_3gpuE8ELNS1_3repE0EEENS1_30default_config_static_selectorELNS0_4arch9wavefront6targetE0EEEvT1_
; %bb.0:
	.section	.rodata,"a",@progbits
	.p2align	6, 0x0
	.amdhsa_kernel _ZN7rocprim17ROCPRIM_400000_NS6detail17trampoline_kernelINS0_14default_configENS1_25partition_config_selectorILNS1_17partition_subalgoE6ExNS0_10empty_typeEbEEZZNS1_14partition_implILS5_6ELb0ES3_mN6thrust23THRUST_200600_302600_NS6detail15normal_iteratorINSA_10device_ptrIxEEEEPS6_SG_NS0_5tupleIJSF_S6_EEENSH_IJSG_SG_EEES6_PlJNSB_9not_fun_tI7is_evenIxEEEEEE10hipError_tPvRmT3_T4_T5_T6_T7_T9_mT8_P12ihipStream_tbDpT10_ENKUlT_T0_E_clISt17integral_constantIbLb0EES17_IbLb1EEEEDaS13_S14_EUlS13_E_NS1_11comp_targetILNS1_3genE4ELNS1_11target_archE910ELNS1_3gpuE8ELNS1_3repE0EEENS1_30default_config_static_selectorELNS0_4arch9wavefront6targetE0EEEvT1_
		.amdhsa_group_segment_fixed_size 0
		.amdhsa_private_segment_fixed_size 0
		.amdhsa_kernarg_size 128
		.amdhsa_user_sgpr_count 2
		.amdhsa_user_sgpr_dispatch_ptr 0
		.amdhsa_user_sgpr_queue_ptr 0
		.amdhsa_user_sgpr_kernarg_segment_ptr 1
		.amdhsa_user_sgpr_dispatch_id 0
		.amdhsa_user_sgpr_private_segment_size 0
		.amdhsa_wavefront_size32 1
		.amdhsa_uses_dynamic_stack 0
		.amdhsa_enable_private_segment 0
		.amdhsa_system_sgpr_workgroup_id_x 1
		.amdhsa_system_sgpr_workgroup_id_y 0
		.amdhsa_system_sgpr_workgroup_id_z 0
		.amdhsa_system_sgpr_workgroup_info 0
		.amdhsa_system_vgpr_workitem_id 0
		.amdhsa_next_free_vgpr 1
		.amdhsa_next_free_sgpr 1
		.amdhsa_reserve_vcc 0
		.amdhsa_float_round_mode_32 0
		.amdhsa_float_round_mode_16_64 0
		.amdhsa_float_denorm_mode_32 3
		.amdhsa_float_denorm_mode_16_64 3
		.amdhsa_fp16_overflow 0
		.amdhsa_workgroup_processor_mode 1
		.amdhsa_memory_ordered 1
		.amdhsa_forward_progress 1
		.amdhsa_inst_pref_size 0
		.amdhsa_round_robin_scheduling 0
		.amdhsa_exception_fp_ieee_invalid_op 0
		.amdhsa_exception_fp_denorm_src 0
		.amdhsa_exception_fp_ieee_div_zero 0
		.amdhsa_exception_fp_ieee_overflow 0
		.amdhsa_exception_fp_ieee_underflow 0
		.amdhsa_exception_fp_ieee_inexact 0
		.amdhsa_exception_int_div_zero 0
	.end_amdhsa_kernel
	.section	.text._ZN7rocprim17ROCPRIM_400000_NS6detail17trampoline_kernelINS0_14default_configENS1_25partition_config_selectorILNS1_17partition_subalgoE6ExNS0_10empty_typeEbEEZZNS1_14partition_implILS5_6ELb0ES3_mN6thrust23THRUST_200600_302600_NS6detail15normal_iteratorINSA_10device_ptrIxEEEEPS6_SG_NS0_5tupleIJSF_S6_EEENSH_IJSG_SG_EEES6_PlJNSB_9not_fun_tI7is_evenIxEEEEEE10hipError_tPvRmT3_T4_T5_T6_T7_T9_mT8_P12ihipStream_tbDpT10_ENKUlT_T0_E_clISt17integral_constantIbLb0EES17_IbLb1EEEEDaS13_S14_EUlS13_E_NS1_11comp_targetILNS1_3genE4ELNS1_11target_archE910ELNS1_3gpuE8ELNS1_3repE0EEENS1_30default_config_static_selectorELNS0_4arch9wavefront6targetE0EEEvT1_,"axG",@progbits,_ZN7rocprim17ROCPRIM_400000_NS6detail17trampoline_kernelINS0_14default_configENS1_25partition_config_selectorILNS1_17partition_subalgoE6ExNS0_10empty_typeEbEEZZNS1_14partition_implILS5_6ELb0ES3_mN6thrust23THRUST_200600_302600_NS6detail15normal_iteratorINSA_10device_ptrIxEEEEPS6_SG_NS0_5tupleIJSF_S6_EEENSH_IJSG_SG_EEES6_PlJNSB_9not_fun_tI7is_evenIxEEEEEE10hipError_tPvRmT3_T4_T5_T6_T7_T9_mT8_P12ihipStream_tbDpT10_ENKUlT_T0_E_clISt17integral_constantIbLb0EES17_IbLb1EEEEDaS13_S14_EUlS13_E_NS1_11comp_targetILNS1_3genE4ELNS1_11target_archE910ELNS1_3gpuE8ELNS1_3repE0EEENS1_30default_config_static_selectorELNS0_4arch9wavefront6targetE0EEEvT1_,comdat
.Lfunc_end719:
	.size	_ZN7rocprim17ROCPRIM_400000_NS6detail17trampoline_kernelINS0_14default_configENS1_25partition_config_selectorILNS1_17partition_subalgoE6ExNS0_10empty_typeEbEEZZNS1_14partition_implILS5_6ELb0ES3_mN6thrust23THRUST_200600_302600_NS6detail15normal_iteratorINSA_10device_ptrIxEEEEPS6_SG_NS0_5tupleIJSF_S6_EEENSH_IJSG_SG_EEES6_PlJNSB_9not_fun_tI7is_evenIxEEEEEE10hipError_tPvRmT3_T4_T5_T6_T7_T9_mT8_P12ihipStream_tbDpT10_ENKUlT_T0_E_clISt17integral_constantIbLb0EES17_IbLb1EEEEDaS13_S14_EUlS13_E_NS1_11comp_targetILNS1_3genE4ELNS1_11target_archE910ELNS1_3gpuE8ELNS1_3repE0EEENS1_30default_config_static_selectorELNS0_4arch9wavefront6targetE0EEEvT1_, .Lfunc_end719-_ZN7rocprim17ROCPRIM_400000_NS6detail17trampoline_kernelINS0_14default_configENS1_25partition_config_selectorILNS1_17partition_subalgoE6ExNS0_10empty_typeEbEEZZNS1_14partition_implILS5_6ELb0ES3_mN6thrust23THRUST_200600_302600_NS6detail15normal_iteratorINSA_10device_ptrIxEEEEPS6_SG_NS0_5tupleIJSF_S6_EEENSH_IJSG_SG_EEES6_PlJNSB_9not_fun_tI7is_evenIxEEEEEE10hipError_tPvRmT3_T4_T5_T6_T7_T9_mT8_P12ihipStream_tbDpT10_ENKUlT_T0_E_clISt17integral_constantIbLb0EES17_IbLb1EEEEDaS13_S14_EUlS13_E_NS1_11comp_targetILNS1_3genE4ELNS1_11target_archE910ELNS1_3gpuE8ELNS1_3repE0EEENS1_30default_config_static_selectorELNS0_4arch9wavefront6targetE0EEEvT1_
                                        ; -- End function
	.set _ZN7rocprim17ROCPRIM_400000_NS6detail17trampoline_kernelINS0_14default_configENS1_25partition_config_selectorILNS1_17partition_subalgoE6ExNS0_10empty_typeEbEEZZNS1_14partition_implILS5_6ELb0ES3_mN6thrust23THRUST_200600_302600_NS6detail15normal_iteratorINSA_10device_ptrIxEEEEPS6_SG_NS0_5tupleIJSF_S6_EEENSH_IJSG_SG_EEES6_PlJNSB_9not_fun_tI7is_evenIxEEEEEE10hipError_tPvRmT3_T4_T5_T6_T7_T9_mT8_P12ihipStream_tbDpT10_ENKUlT_T0_E_clISt17integral_constantIbLb0EES17_IbLb1EEEEDaS13_S14_EUlS13_E_NS1_11comp_targetILNS1_3genE4ELNS1_11target_archE910ELNS1_3gpuE8ELNS1_3repE0EEENS1_30default_config_static_selectorELNS0_4arch9wavefront6targetE0EEEvT1_.num_vgpr, 0
	.set _ZN7rocprim17ROCPRIM_400000_NS6detail17trampoline_kernelINS0_14default_configENS1_25partition_config_selectorILNS1_17partition_subalgoE6ExNS0_10empty_typeEbEEZZNS1_14partition_implILS5_6ELb0ES3_mN6thrust23THRUST_200600_302600_NS6detail15normal_iteratorINSA_10device_ptrIxEEEEPS6_SG_NS0_5tupleIJSF_S6_EEENSH_IJSG_SG_EEES6_PlJNSB_9not_fun_tI7is_evenIxEEEEEE10hipError_tPvRmT3_T4_T5_T6_T7_T9_mT8_P12ihipStream_tbDpT10_ENKUlT_T0_E_clISt17integral_constantIbLb0EES17_IbLb1EEEEDaS13_S14_EUlS13_E_NS1_11comp_targetILNS1_3genE4ELNS1_11target_archE910ELNS1_3gpuE8ELNS1_3repE0EEENS1_30default_config_static_selectorELNS0_4arch9wavefront6targetE0EEEvT1_.num_agpr, 0
	.set _ZN7rocprim17ROCPRIM_400000_NS6detail17trampoline_kernelINS0_14default_configENS1_25partition_config_selectorILNS1_17partition_subalgoE6ExNS0_10empty_typeEbEEZZNS1_14partition_implILS5_6ELb0ES3_mN6thrust23THRUST_200600_302600_NS6detail15normal_iteratorINSA_10device_ptrIxEEEEPS6_SG_NS0_5tupleIJSF_S6_EEENSH_IJSG_SG_EEES6_PlJNSB_9not_fun_tI7is_evenIxEEEEEE10hipError_tPvRmT3_T4_T5_T6_T7_T9_mT8_P12ihipStream_tbDpT10_ENKUlT_T0_E_clISt17integral_constantIbLb0EES17_IbLb1EEEEDaS13_S14_EUlS13_E_NS1_11comp_targetILNS1_3genE4ELNS1_11target_archE910ELNS1_3gpuE8ELNS1_3repE0EEENS1_30default_config_static_selectorELNS0_4arch9wavefront6targetE0EEEvT1_.numbered_sgpr, 0
	.set _ZN7rocprim17ROCPRIM_400000_NS6detail17trampoline_kernelINS0_14default_configENS1_25partition_config_selectorILNS1_17partition_subalgoE6ExNS0_10empty_typeEbEEZZNS1_14partition_implILS5_6ELb0ES3_mN6thrust23THRUST_200600_302600_NS6detail15normal_iteratorINSA_10device_ptrIxEEEEPS6_SG_NS0_5tupleIJSF_S6_EEENSH_IJSG_SG_EEES6_PlJNSB_9not_fun_tI7is_evenIxEEEEEE10hipError_tPvRmT3_T4_T5_T6_T7_T9_mT8_P12ihipStream_tbDpT10_ENKUlT_T0_E_clISt17integral_constantIbLb0EES17_IbLb1EEEEDaS13_S14_EUlS13_E_NS1_11comp_targetILNS1_3genE4ELNS1_11target_archE910ELNS1_3gpuE8ELNS1_3repE0EEENS1_30default_config_static_selectorELNS0_4arch9wavefront6targetE0EEEvT1_.num_named_barrier, 0
	.set _ZN7rocprim17ROCPRIM_400000_NS6detail17trampoline_kernelINS0_14default_configENS1_25partition_config_selectorILNS1_17partition_subalgoE6ExNS0_10empty_typeEbEEZZNS1_14partition_implILS5_6ELb0ES3_mN6thrust23THRUST_200600_302600_NS6detail15normal_iteratorINSA_10device_ptrIxEEEEPS6_SG_NS0_5tupleIJSF_S6_EEENSH_IJSG_SG_EEES6_PlJNSB_9not_fun_tI7is_evenIxEEEEEE10hipError_tPvRmT3_T4_T5_T6_T7_T9_mT8_P12ihipStream_tbDpT10_ENKUlT_T0_E_clISt17integral_constantIbLb0EES17_IbLb1EEEEDaS13_S14_EUlS13_E_NS1_11comp_targetILNS1_3genE4ELNS1_11target_archE910ELNS1_3gpuE8ELNS1_3repE0EEENS1_30default_config_static_selectorELNS0_4arch9wavefront6targetE0EEEvT1_.private_seg_size, 0
	.set _ZN7rocprim17ROCPRIM_400000_NS6detail17trampoline_kernelINS0_14default_configENS1_25partition_config_selectorILNS1_17partition_subalgoE6ExNS0_10empty_typeEbEEZZNS1_14partition_implILS5_6ELb0ES3_mN6thrust23THRUST_200600_302600_NS6detail15normal_iteratorINSA_10device_ptrIxEEEEPS6_SG_NS0_5tupleIJSF_S6_EEENSH_IJSG_SG_EEES6_PlJNSB_9not_fun_tI7is_evenIxEEEEEE10hipError_tPvRmT3_T4_T5_T6_T7_T9_mT8_P12ihipStream_tbDpT10_ENKUlT_T0_E_clISt17integral_constantIbLb0EES17_IbLb1EEEEDaS13_S14_EUlS13_E_NS1_11comp_targetILNS1_3genE4ELNS1_11target_archE910ELNS1_3gpuE8ELNS1_3repE0EEENS1_30default_config_static_selectorELNS0_4arch9wavefront6targetE0EEEvT1_.uses_vcc, 0
	.set _ZN7rocprim17ROCPRIM_400000_NS6detail17trampoline_kernelINS0_14default_configENS1_25partition_config_selectorILNS1_17partition_subalgoE6ExNS0_10empty_typeEbEEZZNS1_14partition_implILS5_6ELb0ES3_mN6thrust23THRUST_200600_302600_NS6detail15normal_iteratorINSA_10device_ptrIxEEEEPS6_SG_NS0_5tupleIJSF_S6_EEENSH_IJSG_SG_EEES6_PlJNSB_9not_fun_tI7is_evenIxEEEEEE10hipError_tPvRmT3_T4_T5_T6_T7_T9_mT8_P12ihipStream_tbDpT10_ENKUlT_T0_E_clISt17integral_constantIbLb0EES17_IbLb1EEEEDaS13_S14_EUlS13_E_NS1_11comp_targetILNS1_3genE4ELNS1_11target_archE910ELNS1_3gpuE8ELNS1_3repE0EEENS1_30default_config_static_selectorELNS0_4arch9wavefront6targetE0EEEvT1_.uses_flat_scratch, 0
	.set _ZN7rocprim17ROCPRIM_400000_NS6detail17trampoline_kernelINS0_14default_configENS1_25partition_config_selectorILNS1_17partition_subalgoE6ExNS0_10empty_typeEbEEZZNS1_14partition_implILS5_6ELb0ES3_mN6thrust23THRUST_200600_302600_NS6detail15normal_iteratorINSA_10device_ptrIxEEEEPS6_SG_NS0_5tupleIJSF_S6_EEENSH_IJSG_SG_EEES6_PlJNSB_9not_fun_tI7is_evenIxEEEEEE10hipError_tPvRmT3_T4_T5_T6_T7_T9_mT8_P12ihipStream_tbDpT10_ENKUlT_T0_E_clISt17integral_constantIbLb0EES17_IbLb1EEEEDaS13_S14_EUlS13_E_NS1_11comp_targetILNS1_3genE4ELNS1_11target_archE910ELNS1_3gpuE8ELNS1_3repE0EEENS1_30default_config_static_selectorELNS0_4arch9wavefront6targetE0EEEvT1_.has_dyn_sized_stack, 0
	.set _ZN7rocprim17ROCPRIM_400000_NS6detail17trampoline_kernelINS0_14default_configENS1_25partition_config_selectorILNS1_17partition_subalgoE6ExNS0_10empty_typeEbEEZZNS1_14partition_implILS5_6ELb0ES3_mN6thrust23THRUST_200600_302600_NS6detail15normal_iteratorINSA_10device_ptrIxEEEEPS6_SG_NS0_5tupleIJSF_S6_EEENSH_IJSG_SG_EEES6_PlJNSB_9not_fun_tI7is_evenIxEEEEEE10hipError_tPvRmT3_T4_T5_T6_T7_T9_mT8_P12ihipStream_tbDpT10_ENKUlT_T0_E_clISt17integral_constantIbLb0EES17_IbLb1EEEEDaS13_S14_EUlS13_E_NS1_11comp_targetILNS1_3genE4ELNS1_11target_archE910ELNS1_3gpuE8ELNS1_3repE0EEENS1_30default_config_static_selectorELNS0_4arch9wavefront6targetE0EEEvT1_.has_recursion, 0
	.set _ZN7rocprim17ROCPRIM_400000_NS6detail17trampoline_kernelINS0_14default_configENS1_25partition_config_selectorILNS1_17partition_subalgoE6ExNS0_10empty_typeEbEEZZNS1_14partition_implILS5_6ELb0ES3_mN6thrust23THRUST_200600_302600_NS6detail15normal_iteratorINSA_10device_ptrIxEEEEPS6_SG_NS0_5tupleIJSF_S6_EEENSH_IJSG_SG_EEES6_PlJNSB_9not_fun_tI7is_evenIxEEEEEE10hipError_tPvRmT3_T4_T5_T6_T7_T9_mT8_P12ihipStream_tbDpT10_ENKUlT_T0_E_clISt17integral_constantIbLb0EES17_IbLb1EEEEDaS13_S14_EUlS13_E_NS1_11comp_targetILNS1_3genE4ELNS1_11target_archE910ELNS1_3gpuE8ELNS1_3repE0EEENS1_30default_config_static_selectorELNS0_4arch9wavefront6targetE0EEEvT1_.has_indirect_call, 0
	.section	.AMDGPU.csdata,"",@progbits
; Kernel info:
; codeLenInByte = 0
; TotalNumSgprs: 0
; NumVgprs: 0
; ScratchSize: 0
; MemoryBound: 0
; FloatMode: 240
; IeeeMode: 1
; LDSByteSize: 0 bytes/workgroup (compile time only)
; SGPRBlocks: 0
; VGPRBlocks: 0
; NumSGPRsForWavesPerEU: 1
; NumVGPRsForWavesPerEU: 1
; Occupancy: 16
; WaveLimiterHint : 0
; COMPUTE_PGM_RSRC2:SCRATCH_EN: 0
; COMPUTE_PGM_RSRC2:USER_SGPR: 2
; COMPUTE_PGM_RSRC2:TRAP_HANDLER: 0
; COMPUTE_PGM_RSRC2:TGID_X_EN: 1
; COMPUTE_PGM_RSRC2:TGID_Y_EN: 0
; COMPUTE_PGM_RSRC2:TGID_Z_EN: 0
; COMPUTE_PGM_RSRC2:TIDIG_COMP_CNT: 0
	.section	.text._ZN7rocprim17ROCPRIM_400000_NS6detail17trampoline_kernelINS0_14default_configENS1_25partition_config_selectorILNS1_17partition_subalgoE6ExNS0_10empty_typeEbEEZZNS1_14partition_implILS5_6ELb0ES3_mN6thrust23THRUST_200600_302600_NS6detail15normal_iteratorINSA_10device_ptrIxEEEEPS6_SG_NS0_5tupleIJSF_S6_EEENSH_IJSG_SG_EEES6_PlJNSB_9not_fun_tI7is_evenIxEEEEEE10hipError_tPvRmT3_T4_T5_T6_T7_T9_mT8_P12ihipStream_tbDpT10_ENKUlT_T0_E_clISt17integral_constantIbLb0EES17_IbLb1EEEEDaS13_S14_EUlS13_E_NS1_11comp_targetILNS1_3genE3ELNS1_11target_archE908ELNS1_3gpuE7ELNS1_3repE0EEENS1_30default_config_static_selectorELNS0_4arch9wavefront6targetE0EEEvT1_,"axG",@progbits,_ZN7rocprim17ROCPRIM_400000_NS6detail17trampoline_kernelINS0_14default_configENS1_25partition_config_selectorILNS1_17partition_subalgoE6ExNS0_10empty_typeEbEEZZNS1_14partition_implILS5_6ELb0ES3_mN6thrust23THRUST_200600_302600_NS6detail15normal_iteratorINSA_10device_ptrIxEEEEPS6_SG_NS0_5tupleIJSF_S6_EEENSH_IJSG_SG_EEES6_PlJNSB_9not_fun_tI7is_evenIxEEEEEE10hipError_tPvRmT3_T4_T5_T6_T7_T9_mT8_P12ihipStream_tbDpT10_ENKUlT_T0_E_clISt17integral_constantIbLb0EES17_IbLb1EEEEDaS13_S14_EUlS13_E_NS1_11comp_targetILNS1_3genE3ELNS1_11target_archE908ELNS1_3gpuE7ELNS1_3repE0EEENS1_30default_config_static_selectorELNS0_4arch9wavefront6targetE0EEEvT1_,comdat
	.protected	_ZN7rocprim17ROCPRIM_400000_NS6detail17trampoline_kernelINS0_14default_configENS1_25partition_config_selectorILNS1_17partition_subalgoE6ExNS0_10empty_typeEbEEZZNS1_14partition_implILS5_6ELb0ES3_mN6thrust23THRUST_200600_302600_NS6detail15normal_iteratorINSA_10device_ptrIxEEEEPS6_SG_NS0_5tupleIJSF_S6_EEENSH_IJSG_SG_EEES6_PlJNSB_9not_fun_tI7is_evenIxEEEEEE10hipError_tPvRmT3_T4_T5_T6_T7_T9_mT8_P12ihipStream_tbDpT10_ENKUlT_T0_E_clISt17integral_constantIbLb0EES17_IbLb1EEEEDaS13_S14_EUlS13_E_NS1_11comp_targetILNS1_3genE3ELNS1_11target_archE908ELNS1_3gpuE7ELNS1_3repE0EEENS1_30default_config_static_selectorELNS0_4arch9wavefront6targetE0EEEvT1_ ; -- Begin function _ZN7rocprim17ROCPRIM_400000_NS6detail17trampoline_kernelINS0_14default_configENS1_25partition_config_selectorILNS1_17partition_subalgoE6ExNS0_10empty_typeEbEEZZNS1_14partition_implILS5_6ELb0ES3_mN6thrust23THRUST_200600_302600_NS6detail15normal_iteratorINSA_10device_ptrIxEEEEPS6_SG_NS0_5tupleIJSF_S6_EEENSH_IJSG_SG_EEES6_PlJNSB_9not_fun_tI7is_evenIxEEEEEE10hipError_tPvRmT3_T4_T5_T6_T7_T9_mT8_P12ihipStream_tbDpT10_ENKUlT_T0_E_clISt17integral_constantIbLb0EES17_IbLb1EEEEDaS13_S14_EUlS13_E_NS1_11comp_targetILNS1_3genE3ELNS1_11target_archE908ELNS1_3gpuE7ELNS1_3repE0EEENS1_30default_config_static_selectorELNS0_4arch9wavefront6targetE0EEEvT1_
	.globl	_ZN7rocprim17ROCPRIM_400000_NS6detail17trampoline_kernelINS0_14default_configENS1_25partition_config_selectorILNS1_17partition_subalgoE6ExNS0_10empty_typeEbEEZZNS1_14partition_implILS5_6ELb0ES3_mN6thrust23THRUST_200600_302600_NS6detail15normal_iteratorINSA_10device_ptrIxEEEEPS6_SG_NS0_5tupleIJSF_S6_EEENSH_IJSG_SG_EEES6_PlJNSB_9not_fun_tI7is_evenIxEEEEEE10hipError_tPvRmT3_T4_T5_T6_T7_T9_mT8_P12ihipStream_tbDpT10_ENKUlT_T0_E_clISt17integral_constantIbLb0EES17_IbLb1EEEEDaS13_S14_EUlS13_E_NS1_11comp_targetILNS1_3genE3ELNS1_11target_archE908ELNS1_3gpuE7ELNS1_3repE0EEENS1_30default_config_static_selectorELNS0_4arch9wavefront6targetE0EEEvT1_
	.p2align	8
	.type	_ZN7rocprim17ROCPRIM_400000_NS6detail17trampoline_kernelINS0_14default_configENS1_25partition_config_selectorILNS1_17partition_subalgoE6ExNS0_10empty_typeEbEEZZNS1_14partition_implILS5_6ELb0ES3_mN6thrust23THRUST_200600_302600_NS6detail15normal_iteratorINSA_10device_ptrIxEEEEPS6_SG_NS0_5tupleIJSF_S6_EEENSH_IJSG_SG_EEES6_PlJNSB_9not_fun_tI7is_evenIxEEEEEE10hipError_tPvRmT3_T4_T5_T6_T7_T9_mT8_P12ihipStream_tbDpT10_ENKUlT_T0_E_clISt17integral_constantIbLb0EES17_IbLb1EEEEDaS13_S14_EUlS13_E_NS1_11comp_targetILNS1_3genE3ELNS1_11target_archE908ELNS1_3gpuE7ELNS1_3repE0EEENS1_30default_config_static_selectorELNS0_4arch9wavefront6targetE0EEEvT1_,@function
_ZN7rocprim17ROCPRIM_400000_NS6detail17trampoline_kernelINS0_14default_configENS1_25partition_config_selectorILNS1_17partition_subalgoE6ExNS0_10empty_typeEbEEZZNS1_14partition_implILS5_6ELb0ES3_mN6thrust23THRUST_200600_302600_NS6detail15normal_iteratorINSA_10device_ptrIxEEEEPS6_SG_NS0_5tupleIJSF_S6_EEENSH_IJSG_SG_EEES6_PlJNSB_9not_fun_tI7is_evenIxEEEEEE10hipError_tPvRmT3_T4_T5_T6_T7_T9_mT8_P12ihipStream_tbDpT10_ENKUlT_T0_E_clISt17integral_constantIbLb0EES17_IbLb1EEEEDaS13_S14_EUlS13_E_NS1_11comp_targetILNS1_3genE3ELNS1_11target_archE908ELNS1_3gpuE7ELNS1_3repE0EEENS1_30default_config_static_selectorELNS0_4arch9wavefront6targetE0EEEvT1_: ; @_ZN7rocprim17ROCPRIM_400000_NS6detail17trampoline_kernelINS0_14default_configENS1_25partition_config_selectorILNS1_17partition_subalgoE6ExNS0_10empty_typeEbEEZZNS1_14partition_implILS5_6ELb0ES3_mN6thrust23THRUST_200600_302600_NS6detail15normal_iteratorINSA_10device_ptrIxEEEEPS6_SG_NS0_5tupleIJSF_S6_EEENSH_IJSG_SG_EEES6_PlJNSB_9not_fun_tI7is_evenIxEEEEEE10hipError_tPvRmT3_T4_T5_T6_T7_T9_mT8_P12ihipStream_tbDpT10_ENKUlT_T0_E_clISt17integral_constantIbLb0EES17_IbLb1EEEEDaS13_S14_EUlS13_E_NS1_11comp_targetILNS1_3genE3ELNS1_11target_archE908ELNS1_3gpuE7ELNS1_3repE0EEENS1_30default_config_static_selectorELNS0_4arch9wavefront6targetE0EEEvT1_
; %bb.0:
	.section	.rodata,"a",@progbits
	.p2align	6, 0x0
	.amdhsa_kernel _ZN7rocprim17ROCPRIM_400000_NS6detail17trampoline_kernelINS0_14default_configENS1_25partition_config_selectorILNS1_17partition_subalgoE6ExNS0_10empty_typeEbEEZZNS1_14partition_implILS5_6ELb0ES3_mN6thrust23THRUST_200600_302600_NS6detail15normal_iteratorINSA_10device_ptrIxEEEEPS6_SG_NS0_5tupleIJSF_S6_EEENSH_IJSG_SG_EEES6_PlJNSB_9not_fun_tI7is_evenIxEEEEEE10hipError_tPvRmT3_T4_T5_T6_T7_T9_mT8_P12ihipStream_tbDpT10_ENKUlT_T0_E_clISt17integral_constantIbLb0EES17_IbLb1EEEEDaS13_S14_EUlS13_E_NS1_11comp_targetILNS1_3genE3ELNS1_11target_archE908ELNS1_3gpuE7ELNS1_3repE0EEENS1_30default_config_static_selectorELNS0_4arch9wavefront6targetE0EEEvT1_
		.amdhsa_group_segment_fixed_size 0
		.amdhsa_private_segment_fixed_size 0
		.amdhsa_kernarg_size 128
		.amdhsa_user_sgpr_count 2
		.amdhsa_user_sgpr_dispatch_ptr 0
		.amdhsa_user_sgpr_queue_ptr 0
		.amdhsa_user_sgpr_kernarg_segment_ptr 1
		.amdhsa_user_sgpr_dispatch_id 0
		.amdhsa_user_sgpr_private_segment_size 0
		.amdhsa_wavefront_size32 1
		.amdhsa_uses_dynamic_stack 0
		.amdhsa_enable_private_segment 0
		.amdhsa_system_sgpr_workgroup_id_x 1
		.amdhsa_system_sgpr_workgroup_id_y 0
		.amdhsa_system_sgpr_workgroup_id_z 0
		.amdhsa_system_sgpr_workgroup_info 0
		.amdhsa_system_vgpr_workitem_id 0
		.amdhsa_next_free_vgpr 1
		.amdhsa_next_free_sgpr 1
		.amdhsa_reserve_vcc 0
		.amdhsa_float_round_mode_32 0
		.amdhsa_float_round_mode_16_64 0
		.amdhsa_float_denorm_mode_32 3
		.amdhsa_float_denorm_mode_16_64 3
		.amdhsa_fp16_overflow 0
		.amdhsa_workgroup_processor_mode 1
		.amdhsa_memory_ordered 1
		.amdhsa_forward_progress 1
		.amdhsa_inst_pref_size 0
		.amdhsa_round_robin_scheduling 0
		.amdhsa_exception_fp_ieee_invalid_op 0
		.amdhsa_exception_fp_denorm_src 0
		.amdhsa_exception_fp_ieee_div_zero 0
		.amdhsa_exception_fp_ieee_overflow 0
		.amdhsa_exception_fp_ieee_underflow 0
		.amdhsa_exception_fp_ieee_inexact 0
		.amdhsa_exception_int_div_zero 0
	.end_amdhsa_kernel
	.section	.text._ZN7rocprim17ROCPRIM_400000_NS6detail17trampoline_kernelINS0_14default_configENS1_25partition_config_selectorILNS1_17partition_subalgoE6ExNS0_10empty_typeEbEEZZNS1_14partition_implILS5_6ELb0ES3_mN6thrust23THRUST_200600_302600_NS6detail15normal_iteratorINSA_10device_ptrIxEEEEPS6_SG_NS0_5tupleIJSF_S6_EEENSH_IJSG_SG_EEES6_PlJNSB_9not_fun_tI7is_evenIxEEEEEE10hipError_tPvRmT3_T4_T5_T6_T7_T9_mT8_P12ihipStream_tbDpT10_ENKUlT_T0_E_clISt17integral_constantIbLb0EES17_IbLb1EEEEDaS13_S14_EUlS13_E_NS1_11comp_targetILNS1_3genE3ELNS1_11target_archE908ELNS1_3gpuE7ELNS1_3repE0EEENS1_30default_config_static_selectorELNS0_4arch9wavefront6targetE0EEEvT1_,"axG",@progbits,_ZN7rocprim17ROCPRIM_400000_NS6detail17trampoline_kernelINS0_14default_configENS1_25partition_config_selectorILNS1_17partition_subalgoE6ExNS0_10empty_typeEbEEZZNS1_14partition_implILS5_6ELb0ES3_mN6thrust23THRUST_200600_302600_NS6detail15normal_iteratorINSA_10device_ptrIxEEEEPS6_SG_NS0_5tupleIJSF_S6_EEENSH_IJSG_SG_EEES6_PlJNSB_9not_fun_tI7is_evenIxEEEEEE10hipError_tPvRmT3_T4_T5_T6_T7_T9_mT8_P12ihipStream_tbDpT10_ENKUlT_T0_E_clISt17integral_constantIbLb0EES17_IbLb1EEEEDaS13_S14_EUlS13_E_NS1_11comp_targetILNS1_3genE3ELNS1_11target_archE908ELNS1_3gpuE7ELNS1_3repE0EEENS1_30default_config_static_selectorELNS0_4arch9wavefront6targetE0EEEvT1_,comdat
.Lfunc_end720:
	.size	_ZN7rocprim17ROCPRIM_400000_NS6detail17trampoline_kernelINS0_14default_configENS1_25partition_config_selectorILNS1_17partition_subalgoE6ExNS0_10empty_typeEbEEZZNS1_14partition_implILS5_6ELb0ES3_mN6thrust23THRUST_200600_302600_NS6detail15normal_iteratorINSA_10device_ptrIxEEEEPS6_SG_NS0_5tupleIJSF_S6_EEENSH_IJSG_SG_EEES6_PlJNSB_9not_fun_tI7is_evenIxEEEEEE10hipError_tPvRmT3_T4_T5_T6_T7_T9_mT8_P12ihipStream_tbDpT10_ENKUlT_T0_E_clISt17integral_constantIbLb0EES17_IbLb1EEEEDaS13_S14_EUlS13_E_NS1_11comp_targetILNS1_3genE3ELNS1_11target_archE908ELNS1_3gpuE7ELNS1_3repE0EEENS1_30default_config_static_selectorELNS0_4arch9wavefront6targetE0EEEvT1_, .Lfunc_end720-_ZN7rocprim17ROCPRIM_400000_NS6detail17trampoline_kernelINS0_14default_configENS1_25partition_config_selectorILNS1_17partition_subalgoE6ExNS0_10empty_typeEbEEZZNS1_14partition_implILS5_6ELb0ES3_mN6thrust23THRUST_200600_302600_NS6detail15normal_iteratorINSA_10device_ptrIxEEEEPS6_SG_NS0_5tupleIJSF_S6_EEENSH_IJSG_SG_EEES6_PlJNSB_9not_fun_tI7is_evenIxEEEEEE10hipError_tPvRmT3_T4_T5_T6_T7_T9_mT8_P12ihipStream_tbDpT10_ENKUlT_T0_E_clISt17integral_constantIbLb0EES17_IbLb1EEEEDaS13_S14_EUlS13_E_NS1_11comp_targetILNS1_3genE3ELNS1_11target_archE908ELNS1_3gpuE7ELNS1_3repE0EEENS1_30default_config_static_selectorELNS0_4arch9wavefront6targetE0EEEvT1_
                                        ; -- End function
	.set _ZN7rocprim17ROCPRIM_400000_NS6detail17trampoline_kernelINS0_14default_configENS1_25partition_config_selectorILNS1_17partition_subalgoE6ExNS0_10empty_typeEbEEZZNS1_14partition_implILS5_6ELb0ES3_mN6thrust23THRUST_200600_302600_NS6detail15normal_iteratorINSA_10device_ptrIxEEEEPS6_SG_NS0_5tupleIJSF_S6_EEENSH_IJSG_SG_EEES6_PlJNSB_9not_fun_tI7is_evenIxEEEEEE10hipError_tPvRmT3_T4_T5_T6_T7_T9_mT8_P12ihipStream_tbDpT10_ENKUlT_T0_E_clISt17integral_constantIbLb0EES17_IbLb1EEEEDaS13_S14_EUlS13_E_NS1_11comp_targetILNS1_3genE3ELNS1_11target_archE908ELNS1_3gpuE7ELNS1_3repE0EEENS1_30default_config_static_selectorELNS0_4arch9wavefront6targetE0EEEvT1_.num_vgpr, 0
	.set _ZN7rocprim17ROCPRIM_400000_NS6detail17trampoline_kernelINS0_14default_configENS1_25partition_config_selectorILNS1_17partition_subalgoE6ExNS0_10empty_typeEbEEZZNS1_14partition_implILS5_6ELb0ES3_mN6thrust23THRUST_200600_302600_NS6detail15normal_iteratorINSA_10device_ptrIxEEEEPS6_SG_NS0_5tupleIJSF_S6_EEENSH_IJSG_SG_EEES6_PlJNSB_9not_fun_tI7is_evenIxEEEEEE10hipError_tPvRmT3_T4_T5_T6_T7_T9_mT8_P12ihipStream_tbDpT10_ENKUlT_T0_E_clISt17integral_constantIbLb0EES17_IbLb1EEEEDaS13_S14_EUlS13_E_NS1_11comp_targetILNS1_3genE3ELNS1_11target_archE908ELNS1_3gpuE7ELNS1_3repE0EEENS1_30default_config_static_selectorELNS0_4arch9wavefront6targetE0EEEvT1_.num_agpr, 0
	.set _ZN7rocprim17ROCPRIM_400000_NS6detail17trampoline_kernelINS0_14default_configENS1_25partition_config_selectorILNS1_17partition_subalgoE6ExNS0_10empty_typeEbEEZZNS1_14partition_implILS5_6ELb0ES3_mN6thrust23THRUST_200600_302600_NS6detail15normal_iteratorINSA_10device_ptrIxEEEEPS6_SG_NS0_5tupleIJSF_S6_EEENSH_IJSG_SG_EEES6_PlJNSB_9not_fun_tI7is_evenIxEEEEEE10hipError_tPvRmT3_T4_T5_T6_T7_T9_mT8_P12ihipStream_tbDpT10_ENKUlT_T0_E_clISt17integral_constantIbLb0EES17_IbLb1EEEEDaS13_S14_EUlS13_E_NS1_11comp_targetILNS1_3genE3ELNS1_11target_archE908ELNS1_3gpuE7ELNS1_3repE0EEENS1_30default_config_static_selectorELNS0_4arch9wavefront6targetE0EEEvT1_.numbered_sgpr, 0
	.set _ZN7rocprim17ROCPRIM_400000_NS6detail17trampoline_kernelINS0_14default_configENS1_25partition_config_selectorILNS1_17partition_subalgoE6ExNS0_10empty_typeEbEEZZNS1_14partition_implILS5_6ELb0ES3_mN6thrust23THRUST_200600_302600_NS6detail15normal_iteratorINSA_10device_ptrIxEEEEPS6_SG_NS0_5tupleIJSF_S6_EEENSH_IJSG_SG_EEES6_PlJNSB_9not_fun_tI7is_evenIxEEEEEE10hipError_tPvRmT3_T4_T5_T6_T7_T9_mT8_P12ihipStream_tbDpT10_ENKUlT_T0_E_clISt17integral_constantIbLb0EES17_IbLb1EEEEDaS13_S14_EUlS13_E_NS1_11comp_targetILNS1_3genE3ELNS1_11target_archE908ELNS1_3gpuE7ELNS1_3repE0EEENS1_30default_config_static_selectorELNS0_4arch9wavefront6targetE0EEEvT1_.num_named_barrier, 0
	.set _ZN7rocprim17ROCPRIM_400000_NS6detail17trampoline_kernelINS0_14default_configENS1_25partition_config_selectorILNS1_17partition_subalgoE6ExNS0_10empty_typeEbEEZZNS1_14partition_implILS5_6ELb0ES3_mN6thrust23THRUST_200600_302600_NS6detail15normal_iteratorINSA_10device_ptrIxEEEEPS6_SG_NS0_5tupleIJSF_S6_EEENSH_IJSG_SG_EEES6_PlJNSB_9not_fun_tI7is_evenIxEEEEEE10hipError_tPvRmT3_T4_T5_T6_T7_T9_mT8_P12ihipStream_tbDpT10_ENKUlT_T0_E_clISt17integral_constantIbLb0EES17_IbLb1EEEEDaS13_S14_EUlS13_E_NS1_11comp_targetILNS1_3genE3ELNS1_11target_archE908ELNS1_3gpuE7ELNS1_3repE0EEENS1_30default_config_static_selectorELNS0_4arch9wavefront6targetE0EEEvT1_.private_seg_size, 0
	.set _ZN7rocprim17ROCPRIM_400000_NS6detail17trampoline_kernelINS0_14default_configENS1_25partition_config_selectorILNS1_17partition_subalgoE6ExNS0_10empty_typeEbEEZZNS1_14partition_implILS5_6ELb0ES3_mN6thrust23THRUST_200600_302600_NS6detail15normal_iteratorINSA_10device_ptrIxEEEEPS6_SG_NS0_5tupleIJSF_S6_EEENSH_IJSG_SG_EEES6_PlJNSB_9not_fun_tI7is_evenIxEEEEEE10hipError_tPvRmT3_T4_T5_T6_T7_T9_mT8_P12ihipStream_tbDpT10_ENKUlT_T0_E_clISt17integral_constantIbLb0EES17_IbLb1EEEEDaS13_S14_EUlS13_E_NS1_11comp_targetILNS1_3genE3ELNS1_11target_archE908ELNS1_3gpuE7ELNS1_3repE0EEENS1_30default_config_static_selectorELNS0_4arch9wavefront6targetE0EEEvT1_.uses_vcc, 0
	.set _ZN7rocprim17ROCPRIM_400000_NS6detail17trampoline_kernelINS0_14default_configENS1_25partition_config_selectorILNS1_17partition_subalgoE6ExNS0_10empty_typeEbEEZZNS1_14partition_implILS5_6ELb0ES3_mN6thrust23THRUST_200600_302600_NS6detail15normal_iteratorINSA_10device_ptrIxEEEEPS6_SG_NS0_5tupleIJSF_S6_EEENSH_IJSG_SG_EEES6_PlJNSB_9not_fun_tI7is_evenIxEEEEEE10hipError_tPvRmT3_T4_T5_T6_T7_T9_mT8_P12ihipStream_tbDpT10_ENKUlT_T0_E_clISt17integral_constantIbLb0EES17_IbLb1EEEEDaS13_S14_EUlS13_E_NS1_11comp_targetILNS1_3genE3ELNS1_11target_archE908ELNS1_3gpuE7ELNS1_3repE0EEENS1_30default_config_static_selectorELNS0_4arch9wavefront6targetE0EEEvT1_.uses_flat_scratch, 0
	.set _ZN7rocprim17ROCPRIM_400000_NS6detail17trampoline_kernelINS0_14default_configENS1_25partition_config_selectorILNS1_17partition_subalgoE6ExNS0_10empty_typeEbEEZZNS1_14partition_implILS5_6ELb0ES3_mN6thrust23THRUST_200600_302600_NS6detail15normal_iteratorINSA_10device_ptrIxEEEEPS6_SG_NS0_5tupleIJSF_S6_EEENSH_IJSG_SG_EEES6_PlJNSB_9not_fun_tI7is_evenIxEEEEEE10hipError_tPvRmT3_T4_T5_T6_T7_T9_mT8_P12ihipStream_tbDpT10_ENKUlT_T0_E_clISt17integral_constantIbLb0EES17_IbLb1EEEEDaS13_S14_EUlS13_E_NS1_11comp_targetILNS1_3genE3ELNS1_11target_archE908ELNS1_3gpuE7ELNS1_3repE0EEENS1_30default_config_static_selectorELNS0_4arch9wavefront6targetE0EEEvT1_.has_dyn_sized_stack, 0
	.set _ZN7rocprim17ROCPRIM_400000_NS6detail17trampoline_kernelINS0_14default_configENS1_25partition_config_selectorILNS1_17partition_subalgoE6ExNS0_10empty_typeEbEEZZNS1_14partition_implILS5_6ELb0ES3_mN6thrust23THRUST_200600_302600_NS6detail15normal_iteratorINSA_10device_ptrIxEEEEPS6_SG_NS0_5tupleIJSF_S6_EEENSH_IJSG_SG_EEES6_PlJNSB_9not_fun_tI7is_evenIxEEEEEE10hipError_tPvRmT3_T4_T5_T6_T7_T9_mT8_P12ihipStream_tbDpT10_ENKUlT_T0_E_clISt17integral_constantIbLb0EES17_IbLb1EEEEDaS13_S14_EUlS13_E_NS1_11comp_targetILNS1_3genE3ELNS1_11target_archE908ELNS1_3gpuE7ELNS1_3repE0EEENS1_30default_config_static_selectorELNS0_4arch9wavefront6targetE0EEEvT1_.has_recursion, 0
	.set _ZN7rocprim17ROCPRIM_400000_NS6detail17trampoline_kernelINS0_14default_configENS1_25partition_config_selectorILNS1_17partition_subalgoE6ExNS0_10empty_typeEbEEZZNS1_14partition_implILS5_6ELb0ES3_mN6thrust23THRUST_200600_302600_NS6detail15normal_iteratorINSA_10device_ptrIxEEEEPS6_SG_NS0_5tupleIJSF_S6_EEENSH_IJSG_SG_EEES6_PlJNSB_9not_fun_tI7is_evenIxEEEEEE10hipError_tPvRmT3_T4_T5_T6_T7_T9_mT8_P12ihipStream_tbDpT10_ENKUlT_T0_E_clISt17integral_constantIbLb0EES17_IbLb1EEEEDaS13_S14_EUlS13_E_NS1_11comp_targetILNS1_3genE3ELNS1_11target_archE908ELNS1_3gpuE7ELNS1_3repE0EEENS1_30default_config_static_selectorELNS0_4arch9wavefront6targetE0EEEvT1_.has_indirect_call, 0
	.section	.AMDGPU.csdata,"",@progbits
; Kernel info:
; codeLenInByte = 0
; TotalNumSgprs: 0
; NumVgprs: 0
; ScratchSize: 0
; MemoryBound: 0
; FloatMode: 240
; IeeeMode: 1
; LDSByteSize: 0 bytes/workgroup (compile time only)
; SGPRBlocks: 0
; VGPRBlocks: 0
; NumSGPRsForWavesPerEU: 1
; NumVGPRsForWavesPerEU: 1
; Occupancy: 16
; WaveLimiterHint : 0
; COMPUTE_PGM_RSRC2:SCRATCH_EN: 0
; COMPUTE_PGM_RSRC2:USER_SGPR: 2
; COMPUTE_PGM_RSRC2:TRAP_HANDLER: 0
; COMPUTE_PGM_RSRC2:TGID_X_EN: 1
; COMPUTE_PGM_RSRC2:TGID_Y_EN: 0
; COMPUTE_PGM_RSRC2:TGID_Z_EN: 0
; COMPUTE_PGM_RSRC2:TIDIG_COMP_CNT: 0
	.section	.text._ZN7rocprim17ROCPRIM_400000_NS6detail17trampoline_kernelINS0_14default_configENS1_25partition_config_selectorILNS1_17partition_subalgoE6ExNS0_10empty_typeEbEEZZNS1_14partition_implILS5_6ELb0ES3_mN6thrust23THRUST_200600_302600_NS6detail15normal_iteratorINSA_10device_ptrIxEEEEPS6_SG_NS0_5tupleIJSF_S6_EEENSH_IJSG_SG_EEES6_PlJNSB_9not_fun_tI7is_evenIxEEEEEE10hipError_tPvRmT3_T4_T5_T6_T7_T9_mT8_P12ihipStream_tbDpT10_ENKUlT_T0_E_clISt17integral_constantIbLb0EES17_IbLb1EEEEDaS13_S14_EUlS13_E_NS1_11comp_targetILNS1_3genE2ELNS1_11target_archE906ELNS1_3gpuE6ELNS1_3repE0EEENS1_30default_config_static_selectorELNS0_4arch9wavefront6targetE0EEEvT1_,"axG",@progbits,_ZN7rocprim17ROCPRIM_400000_NS6detail17trampoline_kernelINS0_14default_configENS1_25partition_config_selectorILNS1_17partition_subalgoE6ExNS0_10empty_typeEbEEZZNS1_14partition_implILS5_6ELb0ES3_mN6thrust23THRUST_200600_302600_NS6detail15normal_iteratorINSA_10device_ptrIxEEEEPS6_SG_NS0_5tupleIJSF_S6_EEENSH_IJSG_SG_EEES6_PlJNSB_9not_fun_tI7is_evenIxEEEEEE10hipError_tPvRmT3_T4_T5_T6_T7_T9_mT8_P12ihipStream_tbDpT10_ENKUlT_T0_E_clISt17integral_constantIbLb0EES17_IbLb1EEEEDaS13_S14_EUlS13_E_NS1_11comp_targetILNS1_3genE2ELNS1_11target_archE906ELNS1_3gpuE6ELNS1_3repE0EEENS1_30default_config_static_selectorELNS0_4arch9wavefront6targetE0EEEvT1_,comdat
	.protected	_ZN7rocprim17ROCPRIM_400000_NS6detail17trampoline_kernelINS0_14default_configENS1_25partition_config_selectorILNS1_17partition_subalgoE6ExNS0_10empty_typeEbEEZZNS1_14partition_implILS5_6ELb0ES3_mN6thrust23THRUST_200600_302600_NS6detail15normal_iteratorINSA_10device_ptrIxEEEEPS6_SG_NS0_5tupleIJSF_S6_EEENSH_IJSG_SG_EEES6_PlJNSB_9not_fun_tI7is_evenIxEEEEEE10hipError_tPvRmT3_T4_T5_T6_T7_T9_mT8_P12ihipStream_tbDpT10_ENKUlT_T0_E_clISt17integral_constantIbLb0EES17_IbLb1EEEEDaS13_S14_EUlS13_E_NS1_11comp_targetILNS1_3genE2ELNS1_11target_archE906ELNS1_3gpuE6ELNS1_3repE0EEENS1_30default_config_static_selectorELNS0_4arch9wavefront6targetE0EEEvT1_ ; -- Begin function _ZN7rocprim17ROCPRIM_400000_NS6detail17trampoline_kernelINS0_14default_configENS1_25partition_config_selectorILNS1_17partition_subalgoE6ExNS0_10empty_typeEbEEZZNS1_14partition_implILS5_6ELb0ES3_mN6thrust23THRUST_200600_302600_NS6detail15normal_iteratorINSA_10device_ptrIxEEEEPS6_SG_NS0_5tupleIJSF_S6_EEENSH_IJSG_SG_EEES6_PlJNSB_9not_fun_tI7is_evenIxEEEEEE10hipError_tPvRmT3_T4_T5_T6_T7_T9_mT8_P12ihipStream_tbDpT10_ENKUlT_T0_E_clISt17integral_constantIbLb0EES17_IbLb1EEEEDaS13_S14_EUlS13_E_NS1_11comp_targetILNS1_3genE2ELNS1_11target_archE906ELNS1_3gpuE6ELNS1_3repE0EEENS1_30default_config_static_selectorELNS0_4arch9wavefront6targetE0EEEvT1_
	.globl	_ZN7rocprim17ROCPRIM_400000_NS6detail17trampoline_kernelINS0_14default_configENS1_25partition_config_selectorILNS1_17partition_subalgoE6ExNS0_10empty_typeEbEEZZNS1_14partition_implILS5_6ELb0ES3_mN6thrust23THRUST_200600_302600_NS6detail15normal_iteratorINSA_10device_ptrIxEEEEPS6_SG_NS0_5tupleIJSF_S6_EEENSH_IJSG_SG_EEES6_PlJNSB_9not_fun_tI7is_evenIxEEEEEE10hipError_tPvRmT3_T4_T5_T6_T7_T9_mT8_P12ihipStream_tbDpT10_ENKUlT_T0_E_clISt17integral_constantIbLb0EES17_IbLb1EEEEDaS13_S14_EUlS13_E_NS1_11comp_targetILNS1_3genE2ELNS1_11target_archE906ELNS1_3gpuE6ELNS1_3repE0EEENS1_30default_config_static_selectorELNS0_4arch9wavefront6targetE0EEEvT1_
	.p2align	8
	.type	_ZN7rocprim17ROCPRIM_400000_NS6detail17trampoline_kernelINS0_14default_configENS1_25partition_config_selectorILNS1_17partition_subalgoE6ExNS0_10empty_typeEbEEZZNS1_14partition_implILS5_6ELb0ES3_mN6thrust23THRUST_200600_302600_NS6detail15normal_iteratorINSA_10device_ptrIxEEEEPS6_SG_NS0_5tupleIJSF_S6_EEENSH_IJSG_SG_EEES6_PlJNSB_9not_fun_tI7is_evenIxEEEEEE10hipError_tPvRmT3_T4_T5_T6_T7_T9_mT8_P12ihipStream_tbDpT10_ENKUlT_T0_E_clISt17integral_constantIbLb0EES17_IbLb1EEEEDaS13_S14_EUlS13_E_NS1_11comp_targetILNS1_3genE2ELNS1_11target_archE906ELNS1_3gpuE6ELNS1_3repE0EEENS1_30default_config_static_selectorELNS0_4arch9wavefront6targetE0EEEvT1_,@function
_ZN7rocprim17ROCPRIM_400000_NS6detail17trampoline_kernelINS0_14default_configENS1_25partition_config_selectorILNS1_17partition_subalgoE6ExNS0_10empty_typeEbEEZZNS1_14partition_implILS5_6ELb0ES3_mN6thrust23THRUST_200600_302600_NS6detail15normal_iteratorINSA_10device_ptrIxEEEEPS6_SG_NS0_5tupleIJSF_S6_EEENSH_IJSG_SG_EEES6_PlJNSB_9not_fun_tI7is_evenIxEEEEEE10hipError_tPvRmT3_T4_T5_T6_T7_T9_mT8_P12ihipStream_tbDpT10_ENKUlT_T0_E_clISt17integral_constantIbLb0EES17_IbLb1EEEEDaS13_S14_EUlS13_E_NS1_11comp_targetILNS1_3genE2ELNS1_11target_archE906ELNS1_3gpuE6ELNS1_3repE0EEENS1_30default_config_static_selectorELNS0_4arch9wavefront6targetE0EEEvT1_: ; @_ZN7rocprim17ROCPRIM_400000_NS6detail17trampoline_kernelINS0_14default_configENS1_25partition_config_selectorILNS1_17partition_subalgoE6ExNS0_10empty_typeEbEEZZNS1_14partition_implILS5_6ELb0ES3_mN6thrust23THRUST_200600_302600_NS6detail15normal_iteratorINSA_10device_ptrIxEEEEPS6_SG_NS0_5tupleIJSF_S6_EEENSH_IJSG_SG_EEES6_PlJNSB_9not_fun_tI7is_evenIxEEEEEE10hipError_tPvRmT3_T4_T5_T6_T7_T9_mT8_P12ihipStream_tbDpT10_ENKUlT_T0_E_clISt17integral_constantIbLb0EES17_IbLb1EEEEDaS13_S14_EUlS13_E_NS1_11comp_targetILNS1_3genE2ELNS1_11target_archE906ELNS1_3gpuE6ELNS1_3repE0EEENS1_30default_config_static_selectorELNS0_4arch9wavefront6targetE0EEEvT1_
; %bb.0:
	.section	.rodata,"a",@progbits
	.p2align	6, 0x0
	.amdhsa_kernel _ZN7rocprim17ROCPRIM_400000_NS6detail17trampoline_kernelINS0_14default_configENS1_25partition_config_selectorILNS1_17partition_subalgoE6ExNS0_10empty_typeEbEEZZNS1_14partition_implILS5_6ELb0ES3_mN6thrust23THRUST_200600_302600_NS6detail15normal_iteratorINSA_10device_ptrIxEEEEPS6_SG_NS0_5tupleIJSF_S6_EEENSH_IJSG_SG_EEES6_PlJNSB_9not_fun_tI7is_evenIxEEEEEE10hipError_tPvRmT3_T4_T5_T6_T7_T9_mT8_P12ihipStream_tbDpT10_ENKUlT_T0_E_clISt17integral_constantIbLb0EES17_IbLb1EEEEDaS13_S14_EUlS13_E_NS1_11comp_targetILNS1_3genE2ELNS1_11target_archE906ELNS1_3gpuE6ELNS1_3repE0EEENS1_30default_config_static_selectorELNS0_4arch9wavefront6targetE0EEEvT1_
		.amdhsa_group_segment_fixed_size 0
		.amdhsa_private_segment_fixed_size 0
		.amdhsa_kernarg_size 128
		.amdhsa_user_sgpr_count 2
		.amdhsa_user_sgpr_dispatch_ptr 0
		.amdhsa_user_sgpr_queue_ptr 0
		.amdhsa_user_sgpr_kernarg_segment_ptr 1
		.amdhsa_user_sgpr_dispatch_id 0
		.amdhsa_user_sgpr_private_segment_size 0
		.amdhsa_wavefront_size32 1
		.amdhsa_uses_dynamic_stack 0
		.amdhsa_enable_private_segment 0
		.amdhsa_system_sgpr_workgroup_id_x 1
		.amdhsa_system_sgpr_workgroup_id_y 0
		.amdhsa_system_sgpr_workgroup_id_z 0
		.amdhsa_system_sgpr_workgroup_info 0
		.amdhsa_system_vgpr_workitem_id 0
		.amdhsa_next_free_vgpr 1
		.amdhsa_next_free_sgpr 1
		.amdhsa_reserve_vcc 0
		.amdhsa_float_round_mode_32 0
		.amdhsa_float_round_mode_16_64 0
		.amdhsa_float_denorm_mode_32 3
		.amdhsa_float_denorm_mode_16_64 3
		.amdhsa_fp16_overflow 0
		.amdhsa_workgroup_processor_mode 1
		.amdhsa_memory_ordered 1
		.amdhsa_forward_progress 1
		.amdhsa_inst_pref_size 0
		.amdhsa_round_robin_scheduling 0
		.amdhsa_exception_fp_ieee_invalid_op 0
		.amdhsa_exception_fp_denorm_src 0
		.amdhsa_exception_fp_ieee_div_zero 0
		.amdhsa_exception_fp_ieee_overflow 0
		.amdhsa_exception_fp_ieee_underflow 0
		.amdhsa_exception_fp_ieee_inexact 0
		.amdhsa_exception_int_div_zero 0
	.end_amdhsa_kernel
	.section	.text._ZN7rocprim17ROCPRIM_400000_NS6detail17trampoline_kernelINS0_14default_configENS1_25partition_config_selectorILNS1_17partition_subalgoE6ExNS0_10empty_typeEbEEZZNS1_14partition_implILS5_6ELb0ES3_mN6thrust23THRUST_200600_302600_NS6detail15normal_iteratorINSA_10device_ptrIxEEEEPS6_SG_NS0_5tupleIJSF_S6_EEENSH_IJSG_SG_EEES6_PlJNSB_9not_fun_tI7is_evenIxEEEEEE10hipError_tPvRmT3_T4_T5_T6_T7_T9_mT8_P12ihipStream_tbDpT10_ENKUlT_T0_E_clISt17integral_constantIbLb0EES17_IbLb1EEEEDaS13_S14_EUlS13_E_NS1_11comp_targetILNS1_3genE2ELNS1_11target_archE906ELNS1_3gpuE6ELNS1_3repE0EEENS1_30default_config_static_selectorELNS0_4arch9wavefront6targetE0EEEvT1_,"axG",@progbits,_ZN7rocprim17ROCPRIM_400000_NS6detail17trampoline_kernelINS0_14default_configENS1_25partition_config_selectorILNS1_17partition_subalgoE6ExNS0_10empty_typeEbEEZZNS1_14partition_implILS5_6ELb0ES3_mN6thrust23THRUST_200600_302600_NS6detail15normal_iteratorINSA_10device_ptrIxEEEEPS6_SG_NS0_5tupleIJSF_S6_EEENSH_IJSG_SG_EEES6_PlJNSB_9not_fun_tI7is_evenIxEEEEEE10hipError_tPvRmT3_T4_T5_T6_T7_T9_mT8_P12ihipStream_tbDpT10_ENKUlT_T0_E_clISt17integral_constantIbLb0EES17_IbLb1EEEEDaS13_S14_EUlS13_E_NS1_11comp_targetILNS1_3genE2ELNS1_11target_archE906ELNS1_3gpuE6ELNS1_3repE0EEENS1_30default_config_static_selectorELNS0_4arch9wavefront6targetE0EEEvT1_,comdat
.Lfunc_end721:
	.size	_ZN7rocprim17ROCPRIM_400000_NS6detail17trampoline_kernelINS0_14default_configENS1_25partition_config_selectorILNS1_17partition_subalgoE6ExNS0_10empty_typeEbEEZZNS1_14partition_implILS5_6ELb0ES3_mN6thrust23THRUST_200600_302600_NS6detail15normal_iteratorINSA_10device_ptrIxEEEEPS6_SG_NS0_5tupleIJSF_S6_EEENSH_IJSG_SG_EEES6_PlJNSB_9not_fun_tI7is_evenIxEEEEEE10hipError_tPvRmT3_T4_T5_T6_T7_T9_mT8_P12ihipStream_tbDpT10_ENKUlT_T0_E_clISt17integral_constantIbLb0EES17_IbLb1EEEEDaS13_S14_EUlS13_E_NS1_11comp_targetILNS1_3genE2ELNS1_11target_archE906ELNS1_3gpuE6ELNS1_3repE0EEENS1_30default_config_static_selectorELNS0_4arch9wavefront6targetE0EEEvT1_, .Lfunc_end721-_ZN7rocprim17ROCPRIM_400000_NS6detail17trampoline_kernelINS0_14default_configENS1_25partition_config_selectorILNS1_17partition_subalgoE6ExNS0_10empty_typeEbEEZZNS1_14partition_implILS5_6ELb0ES3_mN6thrust23THRUST_200600_302600_NS6detail15normal_iteratorINSA_10device_ptrIxEEEEPS6_SG_NS0_5tupleIJSF_S6_EEENSH_IJSG_SG_EEES6_PlJNSB_9not_fun_tI7is_evenIxEEEEEE10hipError_tPvRmT3_T4_T5_T6_T7_T9_mT8_P12ihipStream_tbDpT10_ENKUlT_T0_E_clISt17integral_constantIbLb0EES17_IbLb1EEEEDaS13_S14_EUlS13_E_NS1_11comp_targetILNS1_3genE2ELNS1_11target_archE906ELNS1_3gpuE6ELNS1_3repE0EEENS1_30default_config_static_selectorELNS0_4arch9wavefront6targetE0EEEvT1_
                                        ; -- End function
	.set _ZN7rocprim17ROCPRIM_400000_NS6detail17trampoline_kernelINS0_14default_configENS1_25partition_config_selectorILNS1_17partition_subalgoE6ExNS0_10empty_typeEbEEZZNS1_14partition_implILS5_6ELb0ES3_mN6thrust23THRUST_200600_302600_NS6detail15normal_iteratorINSA_10device_ptrIxEEEEPS6_SG_NS0_5tupleIJSF_S6_EEENSH_IJSG_SG_EEES6_PlJNSB_9not_fun_tI7is_evenIxEEEEEE10hipError_tPvRmT3_T4_T5_T6_T7_T9_mT8_P12ihipStream_tbDpT10_ENKUlT_T0_E_clISt17integral_constantIbLb0EES17_IbLb1EEEEDaS13_S14_EUlS13_E_NS1_11comp_targetILNS1_3genE2ELNS1_11target_archE906ELNS1_3gpuE6ELNS1_3repE0EEENS1_30default_config_static_selectorELNS0_4arch9wavefront6targetE0EEEvT1_.num_vgpr, 0
	.set _ZN7rocprim17ROCPRIM_400000_NS6detail17trampoline_kernelINS0_14default_configENS1_25partition_config_selectorILNS1_17partition_subalgoE6ExNS0_10empty_typeEbEEZZNS1_14partition_implILS5_6ELb0ES3_mN6thrust23THRUST_200600_302600_NS6detail15normal_iteratorINSA_10device_ptrIxEEEEPS6_SG_NS0_5tupleIJSF_S6_EEENSH_IJSG_SG_EEES6_PlJNSB_9not_fun_tI7is_evenIxEEEEEE10hipError_tPvRmT3_T4_T5_T6_T7_T9_mT8_P12ihipStream_tbDpT10_ENKUlT_T0_E_clISt17integral_constantIbLb0EES17_IbLb1EEEEDaS13_S14_EUlS13_E_NS1_11comp_targetILNS1_3genE2ELNS1_11target_archE906ELNS1_3gpuE6ELNS1_3repE0EEENS1_30default_config_static_selectorELNS0_4arch9wavefront6targetE0EEEvT1_.num_agpr, 0
	.set _ZN7rocprim17ROCPRIM_400000_NS6detail17trampoline_kernelINS0_14default_configENS1_25partition_config_selectorILNS1_17partition_subalgoE6ExNS0_10empty_typeEbEEZZNS1_14partition_implILS5_6ELb0ES3_mN6thrust23THRUST_200600_302600_NS6detail15normal_iteratorINSA_10device_ptrIxEEEEPS6_SG_NS0_5tupleIJSF_S6_EEENSH_IJSG_SG_EEES6_PlJNSB_9not_fun_tI7is_evenIxEEEEEE10hipError_tPvRmT3_T4_T5_T6_T7_T9_mT8_P12ihipStream_tbDpT10_ENKUlT_T0_E_clISt17integral_constantIbLb0EES17_IbLb1EEEEDaS13_S14_EUlS13_E_NS1_11comp_targetILNS1_3genE2ELNS1_11target_archE906ELNS1_3gpuE6ELNS1_3repE0EEENS1_30default_config_static_selectorELNS0_4arch9wavefront6targetE0EEEvT1_.numbered_sgpr, 0
	.set _ZN7rocprim17ROCPRIM_400000_NS6detail17trampoline_kernelINS0_14default_configENS1_25partition_config_selectorILNS1_17partition_subalgoE6ExNS0_10empty_typeEbEEZZNS1_14partition_implILS5_6ELb0ES3_mN6thrust23THRUST_200600_302600_NS6detail15normal_iteratorINSA_10device_ptrIxEEEEPS6_SG_NS0_5tupleIJSF_S6_EEENSH_IJSG_SG_EEES6_PlJNSB_9not_fun_tI7is_evenIxEEEEEE10hipError_tPvRmT3_T4_T5_T6_T7_T9_mT8_P12ihipStream_tbDpT10_ENKUlT_T0_E_clISt17integral_constantIbLb0EES17_IbLb1EEEEDaS13_S14_EUlS13_E_NS1_11comp_targetILNS1_3genE2ELNS1_11target_archE906ELNS1_3gpuE6ELNS1_3repE0EEENS1_30default_config_static_selectorELNS0_4arch9wavefront6targetE0EEEvT1_.num_named_barrier, 0
	.set _ZN7rocprim17ROCPRIM_400000_NS6detail17trampoline_kernelINS0_14default_configENS1_25partition_config_selectorILNS1_17partition_subalgoE6ExNS0_10empty_typeEbEEZZNS1_14partition_implILS5_6ELb0ES3_mN6thrust23THRUST_200600_302600_NS6detail15normal_iteratorINSA_10device_ptrIxEEEEPS6_SG_NS0_5tupleIJSF_S6_EEENSH_IJSG_SG_EEES6_PlJNSB_9not_fun_tI7is_evenIxEEEEEE10hipError_tPvRmT3_T4_T5_T6_T7_T9_mT8_P12ihipStream_tbDpT10_ENKUlT_T0_E_clISt17integral_constantIbLb0EES17_IbLb1EEEEDaS13_S14_EUlS13_E_NS1_11comp_targetILNS1_3genE2ELNS1_11target_archE906ELNS1_3gpuE6ELNS1_3repE0EEENS1_30default_config_static_selectorELNS0_4arch9wavefront6targetE0EEEvT1_.private_seg_size, 0
	.set _ZN7rocprim17ROCPRIM_400000_NS6detail17trampoline_kernelINS0_14default_configENS1_25partition_config_selectorILNS1_17partition_subalgoE6ExNS0_10empty_typeEbEEZZNS1_14partition_implILS5_6ELb0ES3_mN6thrust23THRUST_200600_302600_NS6detail15normal_iteratorINSA_10device_ptrIxEEEEPS6_SG_NS0_5tupleIJSF_S6_EEENSH_IJSG_SG_EEES6_PlJNSB_9not_fun_tI7is_evenIxEEEEEE10hipError_tPvRmT3_T4_T5_T6_T7_T9_mT8_P12ihipStream_tbDpT10_ENKUlT_T0_E_clISt17integral_constantIbLb0EES17_IbLb1EEEEDaS13_S14_EUlS13_E_NS1_11comp_targetILNS1_3genE2ELNS1_11target_archE906ELNS1_3gpuE6ELNS1_3repE0EEENS1_30default_config_static_selectorELNS0_4arch9wavefront6targetE0EEEvT1_.uses_vcc, 0
	.set _ZN7rocprim17ROCPRIM_400000_NS6detail17trampoline_kernelINS0_14default_configENS1_25partition_config_selectorILNS1_17partition_subalgoE6ExNS0_10empty_typeEbEEZZNS1_14partition_implILS5_6ELb0ES3_mN6thrust23THRUST_200600_302600_NS6detail15normal_iteratorINSA_10device_ptrIxEEEEPS6_SG_NS0_5tupleIJSF_S6_EEENSH_IJSG_SG_EEES6_PlJNSB_9not_fun_tI7is_evenIxEEEEEE10hipError_tPvRmT3_T4_T5_T6_T7_T9_mT8_P12ihipStream_tbDpT10_ENKUlT_T0_E_clISt17integral_constantIbLb0EES17_IbLb1EEEEDaS13_S14_EUlS13_E_NS1_11comp_targetILNS1_3genE2ELNS1_11target_archE906ELNS1_3gpuE6ELNS1_3repE0EEENS1_30default_config_static_selectorELNS0_4arch9wavefront6targetE0EEEvT1_.uses_flat_scratch, 0
	.set _ZN7rocprim17ROCPRIM_400000_NS6detail17trampoline_kernelINS0_14default_configENS1_25partition_config_selectorILNS1_17partition_subalgoE6ExNS0_10empty_typeEbEEZZNS1_14partition_implILS5_6ELb0ES3_mN6thrust23THRUST_200600_302600_NS6detail15normal_iteratorINSA_10device_ptrIxEEEEPS6_SG_NS0_5tupleIJSF_S6_EEENSH_IJSG_SG_EEES6_PlJNSB_9not_fun_tI7is_evenIxEEEEEE10hipError_tPvRmT3_T4_T5_T6_T7_T9_mT8_P12ihipStream_tbDpT10_ENKUlT_T0_E_clISt17integral_constantIbLb0EES17_IbLb1EEEEDaS13_S14_EUlS13_E_NS1_11comp_targetILNS1_3genE2ELNS1_11target_archE906ELNS1_3gpuE6ELNS1_3repE0EEENS1_30default_config_static_selectorELNS0_4arch9wavefront6targetE0EEEvT1_.has_dyn_sized_stack, 0
	.set _ZN7rocprim17ROCPRIM_400000_NS6detail17trampoline_kernelINS0_14default_configENS1_25partition_config_selectorILNS1_17partition_subalgoE6ExNS0_10empty_typeEbEEZZNS1_14partition_implILS5_6ELb0ES3_mN6thrust23THRUST_200600_302600_NS6detail15normal_iteratorINSA_10device_ptrIxEEEEPS6_SG_NS0_5tupleIJSF_S6_EEENSH_IJSG_SG_EEES6_PlJNSB_9not_fun_tI7is_evenIxEEEEEE10hipError_tPvRmT3_T4_T5_T6_T7_T9_mT8_P12ihipStream_tbDpT10_ENKUlT_T0_E_clISt17integral_constantIbLb0EES17_IbLb1EEEEDaS13_S14_EUlS13_E_NS1_11comp_targetILNS1_3genE2ELNS1_11target_archE906ELNS1_3gpuE6ELNS1_3repE0EEENS1_30default_config_static_selectorELNS0_4arch9wavefront6targetE0EEEvT1_.has_recursion, 0
	.set _ZN7rocprim17ROCPRIM_400000_NS6detail17trampoline_kernelINS0_14default_configENS1_25partition_config_selectorILNS1_17partition_subalgoE6ExNS0_10empty_typeEbEEZZNS1_14partition_implILS5_6ELb0ES3_mN6thrust23THRUST_200600_302600_NS6detail15normal_iteratorINSA_10device_ptrIxEEEEPS6_SG_NS0_5tupleIJSF_S6_EEENSH_IJSG_SG_EEES6_PlJNSB_9not_fun_tI7is_evenIxEEEEEE10hipError_tPvRmT3_T4_T5_T6_T7_T9_mT8_P12ihipStream_tbDpT10_ENKUlT_T0_E_clISt17integral_constantIbLb0EES17_IbLb1EEEEDaS13_S14_EUlS13_E_NS1_11comp_targetILNS1_3genE2ELNS1_11target_archE906ELNS1_3gpuE6ELNS1_3repE0EEENS1_30default_config_static_selectorELNS0_4arch9wavefront6targetE0EEEvT1_.has_indirect_call, 0
	.section	.AMDGPU.csdata,"",@progbits
; Kernel info:
; codeLenInByte = 0
; TotalNumSgprs: 0
; NumVgprs: 0
; ScratchSize: 0
; MemoryBound: 0
; FloatMode: 240
; IeeeMode: 1
; LDSByteSize: 0 bytes/workgroup (compile time only)
; SGPRBlocks: 0
; VGPRBlocks: 0
; NumSGPRsForWavesPerEU: 1
; NumVGPRsForWavesPerEU: 1
; Occupancy: 16
; WaveLimiterHint : 0
; COMPUTE_PGM_RSRC2:SCRATCH_EN: 0
; COMPUTE_PGM_RSRC2:USER_SGPR: 2
; COMPUTE_PGM_RSRC2:TRAP_HANDLER: 0
; COMPUTE_PGM_RSRC2:TGID_X_EN: 1
; COMPUTE_PGM_RSRC2:TGID_Y_EN: 0
; COMPUTE_PGM_RSRC2:TGID_Z_EN: 0
; COMPUTE_PGM_RSRC2:TIDIG_COMP_CNT: 0
	.section	.text._ZN7rocprim17ROCPRIM_400000_NS6detail17trampoline_kernelINS0_14default_configENS1_25partition_config_selectorILNS1_17partition_subalgoE6ExNS0_10empty_typeEbEEZZNS1_14partition_implILS5_6ELb0ES3_mN6thrust23THRUST_200600_302600_NS6detail15normal_iteratorINSA_10device_ptrIxEEEEPS6_SG_NS0_5tupleIJSF_S6_EEENSH_IJSG_SG_EEES6_PlJNSB_9not_fun_tI7is_evenIxEEEEEE10hipError_tPvRmT3_T4_T5_T6_T7_T9_mT8_P12ihipStream_tbDpT10_ENKUlT_T0_E_clISt17integral_constantIbLb0EES17_IbLb1EEEEDaS13_S14_EUlS13_E_NS1_11comp_targetILNS1_3genE10ELNS1_11target_archE1200ELNS1_3gpuE4ELNS1_3repE0EEENS1_30default_config_static_selectorELNS0_4arch9wavefront6targetE0EEEvT1_,"axG",@progbits,_ZN7rocprim17ROCPRIM_400000_NS6detail17trampoline_kernelINS0_14default_configENS1_25partition_config_selectorILNS1_17partition_subalgoE6ExNS0_10empty_typeEbEEZZNS1_14partition_implILS5_6ELb0ES3_mN6thrust23THRUST_200600_302600_NS6detail15normal_iteratorINSA_10device_ptrIxEEEEPS6_SG_NS0_5tupleIJSF_S6_EEENSH_IJSG_SG_EEES6_PlJNSB_9not_fun_tI7is_evenIxEEEEEE10hipError_tPvRmT3_T4_T5_T6_T7_T9_mT8_P12ihipStream_tbDpT10_ENKUlT_T0_E_clISt17integral_constantIbLb0EES17_IbLb1EEEEDaS13_S14_EUlS13_E_NS1_11comp_targetILNS1_3genE10ELNS1_11target_archE1200ELNS1_3gpuE4ELNS1_3repE0EEENS1_30default_config_static_selectorELNS0_4arch9wavefront6targetE0EEEvT1_,comdat
	.protected	_ZN7rocprim17ROCPRIM_400000_NS6detail17trampoline_kernelINS0_14default_configENS1_25partition_config_selectorILNS1_17partition_subalgoE6ExNS0_10empty_typeEbEEZZNS1_14partition_implILS5_6ELb0ES3_mN6thrust23THRUST_200600_302600_NS6detail15normal_iteratorINSA_10device_ptrIxEEEEPS6_SG_NS0_5tupleIJSF_S6_EEENSH_IJSG_SG_EEES6_PlJNSB_9not_fun_tI7is_evenIxEEEEEE10hipError_tPvRmT3_T4_T5_T6_T7_T9_mT8_P12ihipStream_tbDpT10_ENKUlT_T0_E_clISt17integral_constantIbLb0EES17_IbLb1EEEEDaS13_S14_EUlS13_E_NS1_11comp_targetILNS1_3genE10ELNS1_11target_archE1200ELNS1_3gpuE4ELNS1_3repE0EEENS1_30default_config_static_selectorELNS0_4arch9wavefront6targetE0EEEvT1_ ; -- Begin function _ZN7rocprim17ROCPRIM_400000_NS6detail17trampoline_kernelINS0_14default_configENS1_25partition_config_selectorILNS1_17partition_subalgoE6ExNS0_10empty_typeEbEEZZNS1_14partition_implILS5_6ELb0ES3_mN6thrust23THRUST_200600_302600_NS6detail15normal_iteratorINSA_10device_ptrIxEEEEPS6_SG_NS0_5tupleIJSF_S6_EEENSH_IJSG_SG_EEES6_PlJNSB_9not_fun_tI7is_evenIxEEEEEE10hipError_tPvRmT3_T4_T5_T6_T7_T9_mT8_P12ihipStream_tbDpT10_ENKUlT_T0_E_clISt17integral_constantIbLb0EES17_IbLb1EEEEDaS13_S14_EUlS13_E_NS1_11comp_targetILNS1_3genE10ELNS1_11target_archE1200ELNS1_3gpuE4ELNS1_3repE0EEENS1_30default_config_static_selectorELNS0_4arch9wavefront6targetE0EEEvT1_
	.globl	_ZN7rocprim17ROCPRIM_400000_NS6detail17trampoline_kernelINS0_14default_configENS1_25partition_config_selectorILNS1_17partition_subalgoE6ExNS0_10empty_typeEbEEZZNS1_14partition_implILS5_6ELb0ES3_mN6thrust23THRUST_200600_302600_NS6detail15normal_iteratorINSA_10device_ptrIxEEEEPS6_SG_NS0_5tupleIJSF_S6_EEENSH_IJSG_SG_EEES6_PlJNSB_9not_fun_tI7is_evenIxEEEEEE10hipError_tPvRmT3_T4_T5_T6_T7_T9_mT8_P12ihipStream_tbDpT10_ENKUlT_T0_E_clISt17integral_constantIbLb0EES17_IbLb1EEEEDaS13_S14_EUlS13_E_NS1_11comp_targetILNS1_3genE10ELNS1_11target_archE1200ELNS1_3gpuE4ELNS1_3repE0EEENS1_30default_config_static_selectorELNS0_4arch9wavefront6targetE0EEEvT1_
	.p2align	8
	.type	_ZN7rocprim17ROCPRIM_400000_NS6detail17trampoline_kernelINS0_14default_configENS1_25partition_config_selectorILNS1_17partition_subalgoE6ExNS0_10empty_typeEbEEZZNS1_14partition_implILS5_6ELb0ES3_mN6thrust23THRUST_200600_302600_NS6detail15normal_iteratorINSA_10device_ptrIxEEEEPS6_SG_NS0_5tupleIJSF_S6_EEENSH_IJSG_SG_EEES6_PlJNSB_9not_fun_tI7is_evenIxEEEEEE10hipError_tPvRmT3_T4_T5_T6_T7_T9_mT8_P12ihipStream_tbDpT10_ENKUlT_T0_E_clISt17integral_constantIbLb0EES17_IbLb1EEEEDaS13_S14_EUlS13_E_NS1_11comp_targetILNS1_3genE10ELNS1_11target_archE1200ELNS1_3gpuE4ELNS1_3repE0EEENS1_30default_config_static_selectorELNS0_4arch9wavefront6targetE0EEEvT1_,@function
_ZN7rocprim17ROCPRIM_400000_NS6detail17trampoline_kernelINS0_14default_configENS1_25partition_config_selectorILNS1_17partition_subalgoE6ExNS0_10empty_typeEbEEZZNS1_14partition_implILS5_6ELb0ES3_mN6thrust23THRUST_200600_302600_NS6detail15normal_iteratorINSA_10device_ptrIxEEEEPS6_SG_NS0_5tupleIJSF_S6_EEENSH_IJSG_SG_EEES6_PlJNSB_9not_fun_tI7is_evenIxEEEEEE10hipError_tPvRmT3_T4_T5_T6_T7_T9_mT8_P12ihipStream_tbDpT10_ENKUlT_T0_E_clISt17integral_constantIbLb0EES17_IbLb1EEEEDaS13_S14_EUlS13_E_NS1_11comp_targetILNS1_3genE10ELNS1_11target_archE1200ELNS1_3gpuE4ELNS1_3repE0EEENS1_30default_config_static_selectorELNS0_4arch9wavefront6targetE0EEEvT1_: ; @_ZN7rocprim17ROCPRIM_400000_NS6detail17trampoline_kernelINS0_14default_configENS1_25partition_config_selectorILNS1_17partition_subalgoE6ExNS0_10empty_typeEbEEZZNS1_14partition_implILS5_6ELb0ES3_mN6thrust23THRUST_200600_302600_NS6detail15normal_iteratorINSA_10device_ptrIxEEEEPS6_SG_NS0_5tupleIJSF_S6_EEENSH_IJSG_SG_EEES6_PlJNSB_9not_fun_tI7is_evenIxEEEEEE10hipError_tPvRmT3_T4_T5_T6_T7_T9_mT8_P12ihipStream_tbDpT10_ENKUlT_T0_E_clISt17integral_constantIbLb0EES17_IbLb1EEEEDaS13_S14_EUlS13_E_NS1_11comp_targetILNS1_3genE10ELNS1_11target_archE1200ELNS1_3gpuE4ELNS1_3repE0EEENS1_30default_config_static_selectorELNS0_4arch9wavefront6targetE0EEEvT1_
; %bb.0:
	s_clause 0x3
	s_load_b64 s[12:13], s[0:1], 0x28
	s_load_b128 s[4:7], s[0:1], 0x40
	s_load_b64 s[16:17], s[0:1], 0x50
	s_load_b64 s[14:15], s[0:1], 0x60
	v_cmp_eq_u32_e64 s2, 0, v0
	s_and_saveexec_b32 s3, s2
	s_cbranch_execz .LBB722_4
; %bb.1:
	s_mov_b32 s9, exec_lo
	s_mov_b32 s8, exec_lo
	v_mbcnt_lo_u32_b32 v1, s9, 0
                                        ; implicit-def: $vgpr2
	s_delay_alu instid0(VALU_DEP_1)
	v_cmpx_eq_u32_e32 0, v1
	s_cbranch_execz .LBB722_3
; %bb.2:
	s_load_b64 s[10:11], s[0:1], 0x70
	s_bcnt1_i32_b32 s9, s9
	s_wait_alu 0xfffe
	v_dual_mov_b32 v2, 0 :: v_dual_mov_b32 v3, s9
	s_wait_kmcnt 0x0
	global_atomic_add_u32 v2, v2, v3, s[10:11] th:TH_ATOMIC_RETURN scope:SCOPE_DEV
.LBB722_3:
	s_or_b32 exec_lo, exec_lo, s8
	s_wait_loadcnt 0x0
	v_readfirstlane_b32 s8, v2
	s_wait_alu 0xf1ff
	s_delay_alu instid0(VALU_DEP_1)
	v_dual_mov_b32 v2, 0 :: v_dual_add_nc_u32 v1, s8, v1
	ds_store_b32 v2, v1
.LBB722_4:
	s_or_b32 exec_lo, exec_lo, s3
	v_mov_b32_e32 v2, 0
	s_clause 0x1
	s_load_b128 s[8:11], s[0:1], 0x8
	s_load_b32 s0, s[0:1], 0x68
	s_wait_dscnt 0x0
	s_barrier_signal -1
	s_barrier_wait -1
	global_inv scope:SCOPE_SE
	ds_load_b32 v1, v2
	s_wait_loadcnt_dscnt 0x0
	s_barrier_signal -1
	s_barrier_wait -1
	global_inv scope:SCOPE_SE
	s_mov_b32 s1, 0
	v_lshrrev_b32_e32 v9, 2, v0
	v_or_b32_e32 v11, 0x200, v0
	v_or_b32_e32 v10, 0x300, v0
	s_wait_kmcnt 0x0
	s_lshl_b64 s[20:21], s[10:11], 3
	s_add_co_i32 s3, s0, -1
	s_lshl_b32 s0, s0, 10
	s_lshl_b32 s19, s3, 10
	s_add_nc_u64 s[8:9], s[8:9], s[20:21]
	v_readfirstlane_b32 s18, v1
	v_lshlrev_b32_e32 v1, 10, v1
	global_load_b64 v[17:18], v2, s[6:7]
	s_add_nc_u64 s[6:7], s[10:11], s[0:1]
	s_add_co_i32 s0, s10, s19
	v_cmp_le_u64_e64 s1, s[16:17], s[6:7]
	v_lshlrev_b64_e32 v[1:2], 3, v[1:2]
	s_cmp_eq_u32 s18, s3
	s_cselect_b32 s6, -1, 0
	s_wait_alu 0xfffe
	s_and_b32 s1, s1, s6
	s_delay_alu instid0(VALU_DEP_1) | instskip(NEXT) | instid1(VALU_DEP_1)
	v_add_co_u32 v12, vcc_lo, s8, v1
	v_add_co_ci_u32_e64 v13, null, s9, v2, vcc_lo
	s_xor_b32 s7, s1, -1
	s_mov_b32 s1, -1
	s_wait_alu 0xfffe
	s_and_b32 vcc_lo, exec_lo, s7
	s_wait_alu 0xfffe
	s_cbranch_vccz .LBB722_6
; %bb.5:
	v_lshlrev_b32_e32 v14, 3, v0
	v_or_b32_e32 v15, 0x100, v0
	v_lshrrev_b32_e32 v16, 2, v11
	v_lshrrev_b32_e32 v19, 2, v10
	v_and_b32_e32 v20, 56, v9
	v_add_co_u32 v1, vcc_lo, v12, v14
	s_wait_alu 0xfffd
	v_add_co_ci_u32_e64 v2, null, 0, v13, vcc_lo
	v_lshrrev_b32_e32 v15, 2, v15
	v_and_b32_e32 v16, 0xb8, v16
	v_and_b32_e32 v19, 0xf8, v19
	s_clause 0x3
	flat_load_b64 v[3:4], v[1:2]
	flat_load_b64 v[5:6], v[1:2] offset:2048
	flat_load_b64 v[7:8], v[1:2] offset:4096
	;; [unrolled: 1-line block ×3, first 2 shown]
	v_add_nc_u32_e32 v20, v20, v14
	v_and_b32_e32 v15, 0x78, v15
	v_add_nc_u32_e32 v16, v16, v14
	s_mov_b32 s1, 0
	s_delay_alu instid0(VALU_DEP_2)
	v_add_nc_u32_e32 v15, v15, v14
	v_add_nc_u32_e32 v14, v19, v14
	s_wait_loadcnt_dscnt 0x303
	ds_store_b64 v20, v[3:4]
	s_wait_loadcnt_dscnt 0x203
	ds_store_b64 v15, v[5:6] offset:2048
	s_wait_loadcnt_dscnt 0x103
	ds_store_b64 v16, v[7:8] offset:4096
	;; [unrolled: 2-line block ×3, first 2 shown]
	s_wait_dscnt 0x0
	s_barrier_signal -1
	s_barrier_wait -1
.LBB722_6:
	s_and_not1_b32 vcc_lo, exec_lo, s1
	s_sub_co_i32 s0, s16, s0
	s_wait_alu 0xfffe
	s_cbranch_vccnz .LBB722_14
; %bb.7:
	v_mov_b32_e32 v1, 0
	s_mov_b32 s1, exec_lo
	s_delay_alu instid0(VALU_DEP_1)
	v_dual_mov_b32 v2, v1 :: v_dual_mov_b32 v3, v1
	v_dual_mov_b32 v4, v1 :: v_dual_mov_b32 v5, v1
	;; [unrolled: 1-line block ×3, first 2 shown]
	v_mov_b32_e32 v8, v1
	v_cmpx_gt_u32_e64 s0, v0
	s_cbranch_execz .LBB722_9
; %bb.8:
	v_dual_mov_b32 v21, v1 :: v_dual_lshlrev_b32 v2, 3, v0
	v_dual_mov_b32 v22, v1 :: v_dual_mov_b32 v23, v1
	v_dual_mov_b32 v24, v1 :: v_dual_mov_b32 v25, v1
	s_delay_alu instid0(VALU_DEP_3)
	v_add_co_u32 v2, vcc_lo, v12, v2
	s_wait_alu 0xfffd
	v_add_co_ci_u32_e64 v3, null, 0, v13, vcc_lo
	v_mov_b32_e32 v26, v1
	flat_load_b64 v[19:20], v[2:3]
	s_wait_loadcnt_dscnt 0x0
	v_dual_mov_b32 v1, v19 :: v_dual_mov_b32 v2, v20
	v_dual_mov_b32 v3, v21 :: v_dual_mov_b32 v4, v22
	;; [unrolled: 1-line block ×4, first 2 shown]
.LBB722_9:
	s_or_b32 exec_lo, exec_lo, s1
	v_or_b32_e32 v14, 0x100, v0
	s_mov_b32 s1, exec_lo
	s_delay_alu instid0(VALU_DEP_1)
	v_cmpx_gt_u32_e64 s0, v14
	s_cbranch_execnz .LBB722_132
; %bb.10:
	s_wait_alu 0xfffe
	s_or_b32 exec_lo, exec_lo, s1
	s_delay_alu instid0(SALU_CYCLE_1)
	s_mov_b32 s1, exec_lo
	v_cmpx_gt_u32_e64 s0, v11
	s_cbranch_execnz .LBB722_133
.LBB722_11:
	s_wait_alu 0xfffe
	s_or_b32 exec_lo, exec_lo, s1
	s_delay_alu instid0(SALU_CYCLE_1)
	s_mov_b32 s1, exec_lo
	v_cmpx_gt_u32_e64 s0, v10
	s_cbranch_execz .LBB722_13
.LBB722_12:
	v_lshlrev_b32_e32 v7, 3, v0
	s_delay_alu instid0(VALU_DEP_1)
	v_add_co_u32 v7, vcc_lo, v12, v7
	s_wait_alu 0xfffd
	v_add_co_ci_u32_e64 v8, null, 0, v13, vcc_lo
	flat_load_b64 v[7:8], v[7:8] offset:6144
.LBB722_13:
	s_wait_alu 0xfffe
	s_or_b32 exec_lo, exec_lo, s1
	v_lshrrev_b32_e32 v12, 2, v14
	v_lshrrev_b32_e32 v11, 2, v11
	v_lshrrev_b32_e32 v10, 2, v10
	v_and_b32_e32 v9, 56, v9
	v_lshlrev_b32_e32 v13, 3, v0
	v_and_b32_e32 v12, 0x78, v12
	v_and_b32_e32 v11, 0xf8, v11
	;; [unrolled: 1-line block ×3, first 2 shown]
	s_delay_alu instid0(VALU_DEP_4) | instskip(NEXT) | instid1(VALU_DEP_4)
	v_add_nc_u32_e32 v9, v9, v13
	v_add_nc_u32_e32 v12, v12, v13
	s_delay_alu instid0(VALU_DEP_4) | instskip(NEXT) | instid1(VALU_DEP_4)
	v_add_nc_u32_e32 v11, v11, v13
	v_add_nc_u32_e32 v10, v10, v13
	ds_store_b64 v9, v[1:2]
	s_wait_loadcnt_dscnt 0x1
	ds_store_b64 v12, v[3:4] offset:2048
	ds_store_b64 v11, v[5:6] offset:4096
	;; [unrolled: 1-line block ×3, first 2 shown]
	s_wait_dscnt 0x0
	s_barrier_signal -1
	s_barrier_wait -1
.LBB722_14:
	v_and_b32_e32 v1, 0xf8, v0
	s_wait_loadcnt 0x0
	global_inv scope:SCOPE_SE
	s_and_not1_b32 vcc_lo, exec_lo, s7
	v_lshl_add_u32 v1, v0, 5, v1
	ds_load_2addr_b64 v[5:8], v1 offset1:1
	ds_load_2addr_b64 v[1:4], v1 offset0:2 offset1:3
	s_wait_loadcnt_dscnt 0x0
	s_barrier_signal -1
	s_barrier_wait -1
	global_inv scope:SCOPE_SE
	s_wait_alu 0xfffe
	s_cbranch_vccnz .LBB722_16
; %bb.15:
	v_and_b32_e32 v9, 1, v3
	v_and_b32_e32 v10, 1, v1
	;; [unrolled: 1-line block ×4, first 2 shown]
	s_delay_alu instid0(VALU_DEP_4) | instskip(NEXT) | instid1(VALU_DEP_1)
	v_lshlrev_b16 v9, 8, v9
	v_or_b32_e32 v28, v10, v9
	s_delay_alu instid0(VALU_DEP_4) | instskip(NEXT) | instid1(VALU_DEP_2)
	v_lshlrev_b16 v9, 8, v11
	v_lshlrev_b32_e32 v10, 16, v28
	s_delay_alu instid0(VALU_DEP_2) | instskip(SKIP_1) | instid1(VALU_DEP_3)
	v_and_b32_e32 v11, 0xffff, v9
	v_or_b32_e32 v30, v12, v9
	v_lshrrev_b32_e32 v27, 24, v10
	s_delay_alu instid0(VALU_DEP_3) | instskip(NEXT) | instid1(VALU_DEP_1)
	v_or_b32_e32 v11, v11, v10
	v_lshrrev_b32_e32 v29, 8, v11
	s_cbranch_execz .LBB722_17
	s_branch .LBB722_18
.LBB722_16:
                                        ; implicit-def: $vgpr30
                                        ; implicit-def: $vgpr29
                                        ; implicit-def: $vgpr28
                                        ; implicit-def: $vgpr27
.LBB722_17:
	v_lshlrev_b32_e32 v9, 2, v0
	s_delay_alu instid0(VALU_DEP_1)
	v_or_b32_e32 v10, 1, v9
	v_cmp_gt_u32_e32 vcc_lo, s0, v9
	v_or_b32_e32 v11, 2, v9
	v_or_b32_e32 v9, 3, v9
	s_wait_alu 0xfffd
	v_cndmask_b32_e64 v12, 0, 1, vcc_lo
	v_cmp_gt_u32_e32 vcc_lo, s0, v10
	s_delay_alu instid0(VALU_DEP_2) | instskip(SKIP_3) | instid1(VALU_DEP_2)
	v_and_b32_e32 v30, v12, v5
	s_wait_alu 0xfffd
	v_cndmask_b32_e64 v10, 0, 1, vcc_lo
	v_cmp_gt_u32_e32 vcc_lo, s0, v11
	v_and_b32_e32 v29, v10, v7
	s_wait_alu 0xfffd
	v_cndmask_b32_e64 v11, 0, 1, vcc_lo
	v_cmp_gt_u32_e32 vcc_lo, s0, v9
	s_delay_alu instid0(VALU_DEP_2) | instskip(SKIP_2) | instid1(VALU_DEP_1)
	v_and_b32_e32 v28, v11, v1
	s_wait_alu 0xfffd
	v_cndmask_b32_e64 v9, 0, 1, vcc_lo
	v_and_b32_e32 v27, v9, v3
.LBB722_18:
	v_dual_mov_b32 v10, 0 :: v_dual_and_b32 v33, 0xff, v30
	s_delay_alu instid0(VALU_DEP_2)
	v_and_b32_e32 v32, 0xff, v29
	v_and_b32_e32 v31, 0xff, v28
	v_mbcnt_lo_u32_b32 v34, -1, 0
	v_and_b32_e32 v9, 0xff, v27
	s_cmp_lg_u32 s18, 0
	s_mov_b32 s1, -1
	v_add3_u32 v11, v32, v33, v31
	v_and_b32_e32 v35, 15, v34
	s_delay_alu instid0(VALU_DEP_2) | instskip(SKIP_2) | instid1(VALU_DEP_3)
	v_add_co_u32 v19, s0, v11, v9
	s_wait_alu 0xf1ff
	v_add_co_ci_u32_e64 v20, null, 0, 0, s0
	v_cmp_ne_u32_e64 s0, 0, v35
	s_cbranch_scc0 .LBB722_75
; %bb.19:
	v_mov_b32_e32 v11, v19
	v_mov_b32_dpp v9, v19 row_shr:1 row_mask:0xf bank_mask:0xf
	v_mov_b32_dpp v14, v10 row_shr:1 row_mask:0xf bank_mask:0xf
	v_dual_mov_b32 v13, v19 :: v_dual_mov_b32 v12, v20
	s_and_saveexec_b32 s1, s0
; %bb.20:
	s_delay_alu instid0(VALU_DEP_3) | instskip(SKIP_2) | instid1(VALU_DEP_2)
	v_add_co_u32 v13, vcc_lo, v19, v9
	s_wait_alu 0xfffd
	v_add_co_ci_u32_e64 v10, null, 0, v20, vcc_lo
	v_add_co_u32 v9, vcc_lo, 0, v13
	s_wait_alu 0xfffd
	s_delay_alu instid0(VALU_DEP_2) | instskip(NEXT) | instid1(VALU_DEP_1)
	v_add_co_ci_u32_e64 v10, null, v14, v10, vcc_lo
	v_dual_mov_b32 v12, v10 :: v_dual_mov_b32 v11, v9
; %bb.21:
	s_wait_alu 0xfffe
	s_or_b32 exec_lo, exec_lo, s1
	v_mov_b32_dpp v9, v13 row_shr:2 row_mask:0xf bank_mask:0xf
	v_mov_b32_dpp v14, v10 row_shr:2 row_mask:0xf bank_mask:0xf
	s_mov_b32 s1, exec_lo
	v_cmpx_lt_u32_e32 1, v35
; %bb.22:
	s_delay_alu instid0(VALU_DEP_3) | instskip(SKIP_2) | instid1(VALU_DEP_2)
	v_add_co_u32 v13, vcc_lo, v11, v9
	s_wait_alu 0xfffd
	v_add_co_ci_u32_e64 v10, null, 0, v12, vcc_lo
	v_add_co_u32 v9, vcc_lo, 0, v13
	s_wait_alu 0xfffd
	s_delay_alu instid0(VALU_DEP_2) | instskip(NEXT) | instid1(VALU_DEP_1)
	v_add_co_ci_u32_e64 v10, null, v14, v10, vcc_lo
	v_dual_mov_b32 v12, v10 :: v_dual_mov_b32 v11, v9
; %bb.23:
	s_wait_alu 0xfffe
	s_or_b32 exec_lo, exec_lo, s1
	v_mov_b32_dpp v9, v13 row_shr:4 row_mask:0xf bank_mask:0xf
	v_mov_b32_dpp v14, v10 row_shr:4 row_mask:0xf bank_mask:0xf
	s_mov_b32 s1, exec_lo
	v_cmpx_lt_u32_e32 3, v35
; %bb.24:
	s_delay_alu instid0(VALU_DEP_3) | instskip(SKIP_2) | instid1(VALU_DEP_2)
	v_add_co_u32 v13, vcc_lo, v11, v9
	s_wait_alu 0xfffd
	v_add_co_ci_u32_e64 v10, null, 0, v12, vcc_lo
	v_add_co_u32 v9, vcc_lo, 0, v13
	s_wait_alu 0xfffd
	s_delay_alu instid0(VALU_DEP_2) | instskip(NEXT) | instid1(VALU_DEP_1)
	v_add_co_ci_u32_e64 v10, null, v14, v10, vcc_lo
	v_dual_mov_b32 v12, v10 :: v_dual_mov_b32 v11, v9
; %bb.25:
	s_wait_alu 0xfffe
	s_or_b32 exec_lo, exec_lo, s1
	v_mov_b32_dpp v14, v13 row_shr:8 row_mask:0xf bank_mask:0xf
	v_mov_b32_dpp v9, v10 row_shr:8 row_mask:0xf bank_mask:0xf
	s_mov_b32 s1, exec_lo
	v_cmpx_lt_u32_e32 7, v35
; %bb.26:
	s_delay_alu instid0(VALU_DEP_3) | instskip(SKIP_2) | instid1(VALU_DEP_2)
	v_add_co_u32 v13, vcc_lo, v11, v14
	s_wait_alu 0xfffd
	v_add_co_ci_u32_e64 v10, null, 0, v12, vcc_lo
	v_add_co_u32 v11, vcc_lo, 0, v13
	s_wait_alu 0xfffd
	s_delay_alu instid0(VALU_DEP_2) | instskip(NEXT) | instid1(VALU_DEP_1)
	v_add_co_ci_u32_e64 v12, null, v9, v10, vcc_lo
	v_mov_b32_e32 v10, v12
; %bb.27:
	s_wait_alu 0xfffe
	s_or_b32 exec_lo, exec_lo, s1
	ds_swizzle_b32 v9, v13 offset:swizzle(BROADCAST,32,15)
	ds_swizzle_b32 v14, v10 offset:swizzle(BROADCAST,32,15)
	v_and_b32_e32 v15, 16, v34
	s_mov_b32 s1, exec_lo
	s_delay_alu instid0(VALU_DEP_1)
	v_cmpx_ne_u32_e32 0, v15
	s_cbranch_execz .LBB722_29
; %bb.28:
	s_wait_dscnt 0x1
	v_add_co_u32 v13, vcc_lo, v11, v9
	s_wait_alu 0xfffd
	v_add_co_ci_u32_e64 v10, null, 0, v12, vcc_lo
	s_delay_alu instid0(VALU_DEP_2) | instskip(SKIP_2) | instid1(VALU_DEP_2)
	v_add_co_u32 v9, vcc_lo, 0, v13
	s_wait_dscnt 0x0
	s_wait_alu 0xfffd
	v_add_co_ci_u32_e64 v10, null, v14, v10, vcc_lo
	s_delay_alu instid0(VALU_DEP_1)
	v_dual_mov_b32 v12, v10 :: v_dual_mov_b32 v11, v9
.LBB722_29:
	s_wait_alu 0xfffe
	s_or_b32 exec_lo, exec_lo, s1
	s_wait_dscnt 0x0
	v_or_b32_e32 v14, 31, v0
	v_lshrrev_b32_e32 v9, 5, v0
	s_mov_b32 s1, exec_lo
	s_delay_alu instid0(VALU_DEP_2)
	v_cmpx_eq_u32_e64 v0, v14
; %bb.30:
	s_delay_alu instid0(VALU_DEP_2)
	v_lshlrev_b32_e32 v14, 3, v9
	ds_store_b64 v14, v[11:12]
; %bb.31:
	s_wait_alu 0xfffe
	s_or_b32 exec_lo, exec_lo, s1
	s_delay_alu instid0(SALU_CYCLE_1)
	s_mov_b32 s1, exec_lo
	s_wait_loadcnt_dscnt 0x0
	s_barrier_signal -1
	s_barrier_wait -1
	global_inv scope:SCOPE_SE
	v_cmpx_gt_u32_e32 8, v0
	s_cbranch_execz .LBB722_39
; %bb.32:
	v_lshlrev_b32_e32 v14, 3, v0
	s_mov_b32 s3, exec_lo
	ds_load_b64 v[11:12], v14
	s_wait_dscnt 0x0
	v_dual_mov_b32 v16, v11 :: v_dual_and_b32 v15, 7, v34
	v_mov_b32_dpp v22, v11 row_shr:1 row_mask:0xf bank_mask:0xf
	v_mov_b32_dpp v21, v12 row_shr:1 row_mask:0xf bank_mask:0xf
	s_delay_alu instid0(VALU_DEP_3)
	v_cmpx_ne_u32_e32 0, v15
; %bb.33:
	s_delay_alu instid0(VALU_DEP_3) | instskip(SKIP_2) | instid1(VALU_DEP_2)
	v_add_co_u32 v16, vcc_lo, v11, v22
	s_wait_alu 0xfffd
	v_add_co_ci_u32_e64 v12, null, 0, v12, vcc_lo
	v_add_co_u32 v11, vcc_lo, 0, v16
	s_wait_alu 0xfffd
	s_delay_alu instid0(VALU_DEP_2)
	v_add_co_ci_u32_e64 v12, null, v21, v12, vcc_lo
; %bb.34:
	s_or_b32 exec_lo, exec_lo, s3
	v_mov_b32_dpp v22, v16 row_shr:2 row_mask:0xf bank_mask:0xf
	s_delay_alu instid0(VALU_DEP_2)
	v_mov_b32_dpp v21, v12 row_shr:2 row_mask:0xf bank_mask:0xf
	s_mov_b32 s3, exec_lo
	v_cmpx_lt_u32_e32 1, v15
; %bb.35:
	s_delay_alu instid0(VALU_DEP_3) | instskip(SKIP_2) | instid1(VALU_DEP_2)
	v_add_co_u32 v16, vcc_lo, v11, v22
	s_wait_alu 0xfffd
	v_add_co_ci_u32_e64 v12, null, 0, v12, vcc_lo
	v_add_co_u32 v11, vcc_lo, 0, v16
	s_wait_alu 0xfffd
	s_delay_alu instid0(VALU_DEP_2)
	v_add_co_ci_u32_e64 v12, null, v21, v12, vcc_lo
; %bb.36:
	s_or_b32 exec_lo, exec_lo, s3
	v_mov_b32_dpp v21, v16 row_shr:4 row_mask:0xf bank_mask:0xf
	s_delay_alu instid0(VALU_DEP_2)
	v_mov_b32_dpp v16, v12 row_shr:4 row_mask:0xf bank_mask:0xf
	s_mov_b32 s3, exec_lo
	v_cmpx_lt_u32_e32 3, v15
; %bb.37:
	s_delay_alu instid0(VALU_DEP_3) | instskip(SKIP_2) | instid1(VALU_DEP_2)
	v_add_co_u32 v11, vcc_lo, v11, v21
	s_wait_alu 0xfffd
	v_add_co_ci_u32_e64 v12, null, 0, v12, vcc_lo
	v_add_co_u32 v11, vcc_lo, v11, 0
	s_wait_alu 0xfffd
	s_delay_alu instid0(VALU_DEP_2)
	v_add_co_ci_u32_e64 v12, null, v12, v16, vcc_lo
; %bb.38:
	s_or_b32 exec_lo, exec_lo, s3
	ds_store_b64 v14, v[11:12]
.LBB722_39:
	s_wait_alu 0xfffe
	s_or_b32 exec_lo, exec_lo, s1
	s_delay_alu instid0(SALU_CYCLE_1)
	s_mov_b32 s3, exec_lo
	v_cmp_gt_u32_e32 vcc_lo, 32, v0
	s_wait_loadcnt_dscnt 0x0
	s_barrier_signal -1
	s_barrier_wait -1
	global_inv scope:SCOPE_SE
                                        ; implicit-def: $vgpr21_vgpr22
	v_cmpx_lt_u32_e32 31, v0
	s_cbranch_execz .LBB722_41
; %bb.40:
	v_lshl_add_u32 v9, v9, 3, -8
	ds_load_b64 v[21:22], v9
	s_wait_dscnt 0x0
	v_add_co_u32 v13, s1, v13, v21
	s_wait_alu 0xf1ff
	v_add_co_ci_u32_e64 v10, null, v10, v22, s1
.LBB722_41:
	s_or_b32 exec_lo, exec_lo, s3
	v_sub_co_u32 v9, s1, v34, 1
	s_delay_alu instid0(VALU_DEP_1) | instskip(NEXT) | instid1(VALU_DEP_1)
	v_cmp_gt_i32_e64 s3, 0, v9
	v_cndmask_b32_e64 v9, v9, v34, s3
	s_delay_alu instid0(VALU_DEP_1)
	v_lshlrev_b32_e32 v9, 2, v9
	ds_bpermute_b32 v36, v9, v13
	ds_bpermute_b32 v37, v9, v10
	s_and_saveexec_b32 s3, vcc_lo
	s_cbranch_execz .LBB722_80
; %bb.42:
	v_mov_b32_e32 v12, 0
	ds_load_b64 v[9:10], v12 offset:56
	s_and_saveexec_b32 s8, s1
	s_cbranch_execz .LBB722_44
; %bb.43:
	s_add_co_i32 s10, s18, 32
	s_mov_b32 s11, 0
	s_delay_alu instid0(SALU_CYCLE_1) | instskip(NEXT) | instid1(SALU_CYCLE_1)
	s_lshl_b64 s[10:11], s[10:11], 4
	s_add_nc_u64 s[10:11], s[14:15], s[10:11]
	s_delay_alu instid0(SALU_CYCLE_1)
	v_dual_mov_b32 v11, 1 :: v_dual_mov_b32 v14, s11
	v_mov_b32_e32 v13, s10
	s_wait_dscnt 0x0
	;;#ASMSTART
	global_store_b128 v[13:14], v[9:12] off scope:SCOPE_DEV	
s_wait_storecnt 0x0
	;;#ASMEND
.LBB722_44:
	s_wait_alu 0xfffe
	s_or_b32 exec_lo, exec_lo, s8
	v_xad_u32 v23, v34, -1, s18
	s_mov_b32 s9, 0
	s_mov_b32 s8, exec_lo
	s_delay_alu instid0(VALU_DEP_1) | instskip(NEXT) | instid1(VALU_DEP_1)
	v_add_nc_u32_e32 v11, 32, v23
	v_lshlrev_b64_e32 v[11:12], 4, v[11:12]
	s_delay_alu instid0(VALU_DEP_1) | instskip(SKIP_1) | instid1(VALU_DEP_2)
	v_add_co_u32 v11, vcc_lo, s14, v11
	s_wait_alu 0xfffd
	v_add_co_ci_u32_e64 v12, null, s15, v12, vcc_lo
	;;#ASMSTART
	global_load_b128 v[13:16], v[11:12] off scope:SCOPE_DEV	
s_wait_loadcnt 0x0
	;;#ASMEND
	v_and_b32_e32 v16, 0xff, v15
	s_delay_alu instid0(VALU_DEP_1)
	v_cmpx_eq_u16_e32 0, v16
	s_cbranch_execz .LBB722_47
.LBB722_45:                             ; =>This Inner Loop Header: Depth=1
	;;#ASMSTART
	global_load_b128 v[13:16], v[11:12] off scope:SCOPE_DEV	
s_wait_loadcnt 0x0
	;;#ASMEND
	v_and_b32_e32 v16, 0xff, v15
	s_delay_alu instid0(VALU_DEP_1)
	v_cmp_ne_u16_e32 vcc_lo, 0, v16
	s_wait_alu 0xfffe
	s_or_b32 s9, vcc_lo, s9
	s_wait_alu 0xfffe
	s_and_not1_b32 exec_lo, exec_lo, s9
	s_cbranch_execnz .LBB722_45
; %bb.46:
	s_or_b32 exec_lo, exec_lo, s9
.LBB722_47:
	s_wait_alu 0xfffe
	s_or_b32 exec_lo, exec_lo, s8
	v_cmp_ne_u32_e32 vcc_lo, 31, v34
	v_and_b32_e32 v12, 0xff, v15
	v_lshlrev_b32_e64 v39, v34, -1
	s_mov_b32 s8, exec_lo
	s_wait_alu 0xfffd
	v_add_co_ci_u32_e64 v11, null, 0, v34, vcc_lo
	v_cmp_eq_u16_e32 vcc_lo, 2, v12
	v_mov_b32_e32 v12, v13
	s_delay_alu instid0(VALU_DEP_3)
	v_lshlrev_b32_e32 v38, 2, v11
	s_wait_alu 0xfffd
	v_and_or_b32 v11, vcc_lo, v39, 0x80000000
	ds_bpermute_b32 v24, v38, v13
	ds_bpermute_b32 v16, v38, v14
	v_ctz_i32_b32_e32 v11, v11
	s_delay_alu instid0(VALU_DEP_1)
	v_cmpx_lt_u32_e64 v34, v11
	s_cbranch_execz .LBB722_49
; %bb.48:
	s_wait_dscnt 0x1
	v_add_co_u32 v12, vcc_lo, v13, v24
	s_wait_alu 0xfffd
	v_add_co_ci_u32_e64 v14, null, 0, v14, vcc_lo
	s_delay_alu instid0(VALU_DEP_2) | instskip(SKIP_2) | instid1(VALU_DEP_2)
	v_add_co_u32 v13, vcc_lo, 0, v12
	s_wait_dscnt 0x0
	s_wait_alu 0xfffd
	v_add_co_ci_u32_e64 v14, null, v16, v14, vcc_lo
.LBB722_49:
	s_wait_alu 0xfffe
	s_or_b32 exec_lo, exec_lo, s8
	v_cmp_gt_u32_e32 vcc_lo, 30, v34
	v_add_nc_u32_e32 v41, 2, v34
	s_mov_b32 s8, exec_lo
	s_wait_dscnt 0x0
	s_wait_alu 0xfffd
	v_cndmask_b32_e64 v16, 0, 2, vcc_lo
	s_delay_alu instid0(VALU_DEP_1)
	v_add_lshl_u32 v40, v16, v34, 2
	ds_bpermute_b32 v24, v40, v12
	ds_bpermute_b32 v16, v40, v14
	v_cmpx_le_u32_e64 v41, v11
	s_cbranch_execz .LBB722_51
; %bb.50:
	s_wait_dscnt 0x1
	v_add_co_u32 v12, vcc_lo, v13, v24
	s_wait_alu 0xfffd
	v_add_co_ci_u32_e64 v14, null, 0, v14, vcc_lo
	s_delay_alu instid0(VALU_DEP_2) | instskip(SKIP_2) | instid1(VALU_DEP_2)
	v_add_co_u32 v13, vcc_lo, 0, v12
	s_wait_dscnt 0x0
	s_wait_alu 0xfffd
	v_add_co_ci_u32_e64 v14, null, v16, v14, vcc_lo
.LBB722_51:
	s_wait_alu 0xfffe
	s_or_b32 exec_lo, exec_lo, s8
	v_cmp_gt_u32_e32 vcc_lo, 28, v34
	v_add_nc_u32_e32 v43, 4, v34
	s_mov_b32 s8, exec_lo
	s_wait_dscnt 0x0
	s_wait_alu 0xfffd
	v_cndmask_b32_e64 v16, 0, 4, vcc_lo
	s_delay_alu instid0(VALU_DEP_1)
	v_add_lshl_u32 v42, v16, v34, 2
	ds_bpermute_b32 v24, v42, v12
	ds_bpermute_b32 v16, v42, v14
	v_cmpx_le_u32_e64 v43, v11
	s_cbranch_execz .LBB722_53
; %bb.52:
	s_wait_dscnt 0x1
	v_add_co_u32 v12, vcc_lo, v13, v24
	s_wait_alu 0xfffd
	v_add_co_ci_u32_e64 v14, null, 0, v14, vcc_lo
	s_delay_alu instid0(VALU_DEP_2) | instskip(SKIP_2) | instid1(VALU_DEP_2)
	v_add_co_u32 v13, vcc_lo, 0, v12
	s_wait_dscnt 0x0
	s_wait_alu 0xfffd
	v_add_co_ci_u32_e64 v14, null, v16, v14, vcc_lo
.LBB722_53:
	s_wait_alu 0xfffe
	s_or_b32 exec_lo, exec_lo, s8
	v_cmp_gt_u32_e32 vcc_lo, 24, v34
	v_add_nc_u32_e32 v45, 8, v34
	s_mov_b32 s8, exec_lo
	s_wait_dscnt 0x0
	s_wait_alu 0xfffd
	v_cndmask_b32_e64 v16, 0, 8, vcc_lo
	s_delay_alu instid0(VALU_DEP_1)
	v_add_lshl_u32 v44, v16, v34, 2
	ds_bpermute_b32 v24, v44, v12
	ds_bpermute_b32 v16, v44, v14
	v_cmpx_le_u32_e64 v45, v11
	s_cbranch_execz .LBB722_55
; %bb.54:
	s_wait_dscnt 0x1
	v_add_co_u32 v12, vcc_lo, v13, v24
	s_wait_alu 0xfffd
	v_add_co_ci_u32_e64 v14, null, 0, v14, vcc_lo
	s_delay_alu instid0(VALU_DEP_2) | instskip(SKIP_2) | instid1(VALU_DEP_2)
	v_add_co_u32 v13, vcc_lo, 0, v12
	s_wait_dscnt 0x0
	s_wait_alu 0xfffd
	v_add_co_ci_u32_e64 v14, null, v16, v14, vcc_lo
.LBB722_55:
	s_wait_alu 0xfffe
	s_or_b32 exec_lo, exec_lo, s8
	v_lshl_or_b32 v46, v34, 2, 64
	v_add_nc_u32_e32 v47, 16, v34
	s_mov_b32 s8, exec_lo
	s_wait_dscnt 0x0
	ds_bpermute_b32 v16, v46, v12
	ds_bpermute_b32 v12, v46, v14
	v_cmpx_le_u32_e64 v47, v11
	s_cbranch_execz .LBB722_57
; %bb.56:
	s_wait_dscnt 0x1
	v_add_co_u32 v11, vcc_lo, v13, v16
	s_wait_alu 0xfffd
	v_add_co_ci_u32_e64 v14, null, 0, v14, vcc_lo
	s_delay_alu instid0(VALU_DEP_2) | instskip(SKIP_2) | instid1(VALU_DEP_2)
	v_add_co_u32 v13, vcc_lo, v11, 0
	s_wait_dscnt 0x0
	s_wait_alu 0xfffd
	v_add_co_ci_u32_e64 v14, null, v14, v12, vcc_lo
.LBB722_57:
	s_wait_alu 0xfffe
	s_or_b32 exec_lo, exec_lo, s8
	v_mov_b32_e32 v24, 0
	s_branch .LBB722_60
.LBB722_58:                             ;   in Loop: Header=BB722_60 Depth=1
	s_wait_alu 0xfffe
	s_or_b32 exec_lo, exec_lo, s8
	v_add_co_u32 v13, vcc_lo, v13, v11
	v_subrev_nc_u32_e32 v23, 32, v23
	s_wait_alu 0xfffd
	v_add_co_ci_u32_e64 v14, null, v14, v12, vcc_lo
	s_mov_b32 s8, 0
.LBB722_59:                             ;   in Loop: Header=BB722_60 Depth=1
	s_wait_alu 0xfffe
	s_and_b32 vcc_lo, exec_lo, s8
	s_wait_alu 0xfffe
	s_cbranch_vccnz .LBB722_76
.LBB722_60:                             ; =>This Loop Header: Depth=1
                                        ;     Child Loop BB722_63 Depth 2
	v_and_b32_e32 v11, 0xff, v15
	s_mov_b32 s8, -1
	s_delay_alu instid0(VALU_DEP_1)
	v_cmp_ne_u16_e32 vcc_lo, 2, v11
	s_wait_dscnt 0x0
	v_dual_mov_b32 v11, v13 :: v_dual_mov_b32 v12, v14
                                        ; implicit-def: $vgpr13_vgpr14
	s_cmp_lg_u32 vcc_lo, exec_lo
	s_cbranch_scc1 .LBB722_59
; %bb.61:                               ;   in Loop: Header=BB722_60 Depth=1
	v_lshlrev_b64_e32 v[13:14], 4, v[23:24]
	s_mov_b32 s8, exec_lo
	s_delay_alu instid0(VALU_DEP_1) | instskip(SKIP_1) | instid1(VALU_DEP_2)
	v_add_co_u32 v25, vcc_lo, s14, v13
	s_wait_alu 0xfffd
	v_add_co_ci_u32_e64 v26, null, s15, v14, vcc_lo
	;;#ASMSTART
	global_load_b128 v[13:16], v[25:26] off scope:SCOPE_DEV	
s_wait_loadcnt 0x0
	;;#ASMEND
	v_and_b32_e32 v16, 0xff, v15
	s_delay_alu instid0(VALU_DEP_1)
	v_cmpx_eq_u16_e32 0, v16
	s_cbranch_execz .LBB722_65
; %bb.62:                               ;   in Loop: Header=BB722_60 Depth=1
	s_mov_b32 s9, 0
.LBB722_63:                             ;   Parent Loop BB722_60 Depth=1
                                        ; =>  This Inner Loop Header: Depth=2
	;;#ASMSTART
	global_load_b128 v[13:16], v[25:26] off scope:SCOPE_DEV	
s_wait_loadcnt 0x0
	;;#ASMEND
	v_and_b32_e32 v16, 0xff, v15
	s_delay_alu instid0(VALU_DEP_1)
	v_cmp_ne_u16_e32 vcc_lo, 0, v16
	s_wait_alu 0xfffe
	s_or_b32 s9, vcc_lo, s9
	s_wait_alu 0xfffe
	s_and_not1_b32 exec_lo, exec_lo, s9
	s_cbranch_execnz .LBB722_63
; %bb.64:                               ;   in Loop: Header=BB722_60 Depth=1
	s_or_b32 exec_lo, exec_lo, s9
.LBB722_65:                             ;   in Loop: Header=BB722_60 Depth=1
	s_wait_alu 0xfffe
	s_or_b32 exec_lo, exec_lo, s8
	v_dual_mov_b32 v25, v13 :: v_dual_and_b32 v16, 0xff, v15
	ds_bpermute_b32 v48, v38, v13
	ds_bpermute_b32 v26, v38, v14
	s_mov_b32 s8, exec_lo
	v_cmp_eq_u16_e32 vcc_lo, 2, v16
	s_wait_alu 0xfffd
	v_and_or_b32 v16, vcc_lo, v39, 0x80000000
	s_delay_alu instid0(VALU_DEP_1) | instskip(NEXT) | instid1(VALU_DEP_1)
	v_ctz_i32_b32_e32 v16, v16
	v_cmpx_lt_u32_e64 v34, v16
	s_cbranch_execz .LBB722_67
; %bb.66:                               ;   in Loop: Header=BB722_60 Depth=1
	s_wait_dscnt 0x1
	v_add_co_u32 v25, vcc_lo, v13, v48
	s_wait_alu 0xfffd
	v_add_co_ci_u32_e64 v14, null, 0, v14, vcc_lo
	s_delay_alu instid0(VALU_DEP_2) | instskip(SKIP_2) | instid1(VALU_DEP_2)
	v_add_co_u32 v13, vcc_lo, 0, v25
	s_wait_dscnt 0x0
	s_wait_alu 0xfffd
	v_add_co_ci_u32_e64 v14, null, v26, v14, vcc_lo
.LBB722_67:                             ;   in Loop: Header=BB722_60 Depth=1
	s_wait_alu 0xfffe
	s_or_b32 exec_lo, exec_lo, s8
	s_wait_dscnt 0x1
	ds_bpermute_b32 v48, v40, v25
	s_wait_dscnt 0x1
	ds_bpermute_b32 v26, v40, v14
	s_mov_b32 s8, exec_lo
	v_cmpx_le_u32_e64 v41, v16
	s_cbranch_execz .LBB722_69
; %bb.68:                               ;   in Loop: Header=BB722_60 Depth=1
	s_wait_dscnt 0x1
	v_add_co_u32 v25, vcc_lo, v13, v48
	s_wait_alu 0xfffd
	v_add_co_ci_u32_e64 v14, null, 0, v14, vcc_lo
	s_delay_alu instid0(VALU_DEP_2) | instskip(SKIP_2) | instid1(VALU_DEP_2)
	v_add_co_u32 v13, vcc_lo, 0, v25
	s_wait_dscnt 0x0
	s_wait_alu 0xfffd
	v_add_co_ci_u32_e64 v14, null, v26, v14, vcc_lo
.LBB722_69:                             ;   in Loop: Header=BB722_60 Depth=1
	s_wait_alu 0xfffe
	s_or_b32 exec_lo, exec_lo, s8
	s_wait_dscnt 0x1
	ds_bpermute_b32 v48, v42, v25
	s_wait_dscnt 0x1
	ds_bpermute_b32 v26, v42, v14
	s_mov_b32 s8, exec_lo
	v_cmpx_le_u32_e64 v43, v16
	;; [unrolled: 20-line block ×3, first 2 shown]
	s_cbranch_execz .LBB722_73
; %bb.72:                               ;   in Loop: Header=BB722_60 Depth=1
	s_wait_dscnt 0x1
	v_add_co_u32 v25, vcc_lo, v13, v48
	s_wait_alu 0xfffd
	v_add_co_ci_u32_e64 v14, null, 0, v14, vcc_lo
	s_delay_alu instid0(VALU_DEP_2) | instskip(SKIP_2) | instid1(VALU_DEP_2)
	v_add_co_u32 v13, vcc_lo, 0, v25
	s_wait_dscnt 0x0
	s_wait_alu 0xfffd
	v_add_co_ci_u32_e64 v14, null, v26, v14, vcc_lo
.LBB722_73:                             ;   in Loop: Header=BB722_60 Depth=1
	s_wait_alu 0xfffe
	s_or_b32 exec_lo, exec_lo, s8
	s_wait_dscnt 0x0
	ds_bpermute_b32 v26, v46, v25
	ds_bpermute_b32 v25, v46, v14
	s_mov_b32 s8, exec_lo
	v_cmpx_le_u32_e64 v47, v16
	s_cbranch_execz .LBB722_58
; %bb.74:                               ;   in Loop: Header=BB722_60 Depth=1
	s_wait_dscnt 0x1
	v_add_co_u32 v13, vcc_lo, v13, v26
	s_wait_alu 0xfffd
	v_add_co_ci_u32_e64 v14, null, 0, v14, vcc_lo
	s_delay_alu instid0(VALU_DEP_2) | instskip(SKIP_2) | instid1(VALU_DEP_2)
	v_add_co_u32 v13, vcc_lo, v13, 0
	s_wait_dscnt 0x0
	s_wait_alu 0xfffd
	v_add_co_ci_u32_e64 v14, null, v14, v25, vcc_lo
	s_branch .LBB722_58
.LBB722_75:
                                        ; implicit-def: $vgpr15_vgpr16
                                        ; implicit-def: $vgpr13_vgpr14
                                        ; implicit-def: $vgpr21_vgpr22
                                        ; implicit-def: $vgpr23_vgpr24
                                        ; implicit-def: $vgpr11_vgpr12
	s_wait_alu 0xfffe
	s_and_b32 vcc_lo, exec_lo, s1
	s_wait_alu 0xfffe
	s_cbranch_vccnz .LBB722_81
	s_branch .LBB722_106
.LBB722_76:
	s_and_saveexec_b32 s8, s1
	s_cbranch_execz .LBB722_78
; %bb.77:
	s_add_co_i32 s10, s18, 32
	s_mov_b32 s11, 0
	v_add_co_u32 v13, vcc_lo, v11, v9
	s_wait_alu 0xfffe
	s_lshl_b64 s[10:11], s[10:11], 4
	v_dual_mov_b32 v15, 2 :: v_dual_mov_b32 v16, 0
	s_wait_alu 0xfffe
	s_add_nc_u64 s[10:11], s[14:15], s[10:11]
	s_wait_alu 0xfffd
	v_add_co_ci_u32_e64 v14, null, v12, v10, vcc_lo
	s_wait_alu 0xfffe
	v_dual_mov_b32 v24, s11 :: v_dual_mov_b32 v23, s10
	;;#ASMSTART
	global_store_b128 v[23:24], v[13:16] off scope:SCOPE_DEV	
s_wait_storecnt 0x0
	;;#ASMEND
	ds_store_b128 v16, v[9:12] offset:8448
.LBB722_78:
	s_wait_alu 0xfffe
	s_or_b32 exec_lo, exec_lo, s8
	s_delay_alu instid0(SALU_CYCLE_1)
	s_and_b32 exec_lo, exec_lo, s2
; %bb.79:
	v_mov_b32_e32 v9, 0
	ds_store_b64 v9, v[11:12] offset:56
.LBB722_80:
	s_wait_alu 0xfffe
	s_or_b32 exec_lo, exec_lo, s3
	v_mov_b32_e32 v9, 0
	s_wait_loadcnt_dscnt 0x0
	s_barrier_signal -1
	s_barrier_wait -1
	global_inv scope:SCOPE_SE
	ds_load_b64 v[13:14], v9 offset:56
	v_cndmask_b32_e64 v11, v36, v21, s1
	v_cndmask_b32_e64 v10, v37, v22, s1
	s_wait_loadcnt_dscnt 0x0
	s_barrier_signal -1
	s_barrier_wait -1
	v_cndmask_b32_e64 v16, v11, 0, s2
	v_cndmask_b32_e64 v15, v10, 0, s2
	global_inv scope:SCOPE_SE
	ds_load_b128 v[9:12], v9 offset:8448
	v_add_co_u32 v23, vcc_lo, v13, v16
	s_wait_alu 0xfffd
	v_add_co_ci_u32_e64 v24, null, v14, v15, vcc_lo
	s_delay_alu instid0(VALU_DEP_2) | instskip(SKIP_1) | instid1(VALU_DEP_2)
	v_add_co_u32 v21, vcc_lo, v23, v33
	s_wait_alu 0xfffd
	v_add_co_ci_u32_e64 v22, null, 0, v24, vcc_lo
	s_delay_alu instid0(VALU_DEP_2) | instskip(SKIP_1) | instid1(VALU_DEP_2)
	;; [unrolled: 4-line block ×3, first 2 shown]
	v_add_co_u32 v15, vcc_lo, v13, v31
	s_wait_alu 0xfffd
	v_add_co_ci_u32_e64 v16, null, 0, v14, vcc_lo
	s_branch .LBB722_106
.LBB722_81:
	s_wait_dscnt 0x0
	v_dual_mov_b32 v10, 0 :: v_dual_mov_b32 v11, v19
	v_mov_b32_dpp v12, v19 row_shr:1 row_mask:0xf bank_mask:0xf
	s_delay_alu instid0(VALU_DEP_2)
	v_mov_b32_dpp v9, v10 row_shr:1 row_mask:0xf bank_mask:0xf
	s_and_saveexec_b32 s1, s0
; %bb.82:
	s_delay_alu instid0(VALU_DEP_2) | instskip(SKIP_2) | instid1(VALU_DEP_2)
	v_add_co_u32 v11, vcc_lo, v19, v12
	s_wait_alu 0xfffd
	v_add_co_ci_u32_e64 v10, null, 0, v20, vcc_lo
	v_add_co_u32 v19, vcc_lo, 0, v11
	s_wait_alu 0xfffd
	s_delay_alu instid0(VALU_DEP_2) | instskip(NEXT) | instid1(VALU_DEP_1)
	v_add_co_ci_u32_e64 v20, null, v9, v10, vcc_lo
	v_mov_b32_e32 v10, v20
; %bb.83:
	s_wait_alu 0xfffe
	s_or_b32 exec_lo, exec_lo, s1
	v_mov_b32_dpp v9, v11 row_shr:2 row_mask:0xf bank_mask:0xf
	s_delay_alu instid0(VALU_DEP_2)
	v_mov_b32_dpp v12, v10 row_shr:2 row_mask:0xf bank_mask:0xf
	s_mov_b32 s0, exec_lo
	v_cmpx_lt_u32_e32 1, v35
; %bb.84:
	s_delay_alu instid0(VALU_DEP_3) | instskip(SKIP_2) | instid1(VALU_DEP_2)
	v_add_co_u32 v11, vcc_lo, v19, v9
	s_wait_alu 0xfffd
	v_add_co_ci_u32_e64 v10, null, 0, v20, vcc_lo
	v_add_co_u32 v9, vcc_lo, 0, v11
	s_wait_alu 0xfffd
	s_delay_alu instid0(VALU_DEP_2) | instskip(NEXT) | instid1(VALU_DEP_1)
	v_add_co_ci_u32_e64 v10, null, v12, v10, vcc_lo
	v_dual_mov_b32 v20, v10 :: v_dual_mov_b32 v19, v9
; %bb.85:
	s_wait_alu 0xfffe
	s_or_b32 exec_lo, exec_lo, s0
	v_mov_b32_dpp v9, v11 row_shr:4 row_mask:0xf bank_mask:0xf
	v_mov_b32_dpp v12, v10 row_shr:4 row_mask:0xf bank_mask:0xf
	s_mov_b32 s0, exec_lo
	v_cmpx_lt_u32_e32 3, v35
; %bb.86:
	s_delay_alu instid0(VALU_DEP_3) | instskip(SKIP_2) | instid1(VALU_DEP_2)
	v_add_co_u32 v11, vcc_lo, v19, v9
	s_wait_alu 0xfffd
	v_add_co_ci_u32_e64 v10, null, 0, v20, vcc_lo
	v_add_co_u32 v9, vcc_lo, 0, v11
	s_wait_alu 0xfffd
	s_delay_alu instid0(VALU_DEP_2) | instskip(NEXT) | instid1(VALU_DEP_1)
	v_add_co_ci_u32_e64 v10, null, v12, v10, vcc_lo
	v_dual_mov_b32 v20, v10 :: v_dual_mov_b32 v19, v9
; %bb.87:
	s_wait_alu 0xfffe
	s_or_b32 exec_lo, exec_lo, s0
	v_mov_b32_dpp v12, v11 row_shr:8 row_mask:0xf bank_mask:0xf
	v_mov_b32_dpp v9, v10 row_shr:8 row_mask:0xf bank_mask:0xf
	s_mov_b32 s0, exec_lo
	v_cmpx_lt_u32_e32 7, v35
; %bb.88:
	s_delay_alu instid0(VALU_DEP_3) | instskip(SKIP_2) | instid1(VALU_DEP_2)
	v_add_co_u32 v11, vcc_lo, v19, v12
	s_wait_alu 0xfffd
	v_add_co_ci_u32_e64 v10, null, 0, v20, vcc_lo
	v_add_co_u32 v19, vcc_lo, 0, v11
	s_wait_alu 0xfffd
	s_delay_alu instid0(VALU_DEP_2) | instskip(NEXT) | instid1(VALU_DEP_1)
	v_add_co_ci_u32_e64 v20, null, v9, v10, vcc_lo
	v_mov_b32_e32 v10, v20
; %bb.89:
	s_wait_alu 0xfffe
	s_or_b32 exec_lo, exec_lo, s0
	ds_swizzle_b32 v11, v11 offset:swizzle(BROADCAST,32,15)
	ds_swizzle_b32 v9, v10 offset:swizzle(BROADCAST,32,15)
	v_and_b32_e32 v10, 16, v34
	s_mov_b32 s0, exec_lo
	s_delay_alu instid0(VALU_DEP_1)
	v_cmpx_ne_u32_e32 0, v10
	s_cbranch_execz .LBB722_91
; %bb.90:
	s_wait_dscnt 0x1
	v_add_co_u32 v10, vcc_lo, v19, v11
	s_wait_alu 0xfffd
	v_add_co_ci_u32_e64 v11, null, 0, v20, vcc_lo
	s_delay_alu instid0(VALU_DEP_2) | instskip(SKIP_2) | instid1(VALU_DEP_2)
	v_add_co_u32 v19, vcc_lo, v10, 0
	s_wait_dscnt 0x0
	s_wait_alu 0xfffd
	v_add_co_ci_u32_e64 v20, null, v11, v9, vcc_lo
.LBB722_91:
	s_wait_alu 0xfffe
	s_or_b32 exec_lo, exec_lo, s0
	s_wait_dscnt 0x0
	v_or_b32_e32 v9, 31, v0
	v_lshrrev_b32_e32 v11, 5, v0
	s_mov_b32 s0, exec_lo
	s_delay_alu instid0(VALU_DEP_2)
	v_cmpx_eq_u32_e64 v0, v9
; %bb.92:
	s_delay_alu instid0(VALU_DEP_2)
	v_lshlrev_b32_e32 v9, 3, v11
	ds_store_b64 v9, v[19:20]
; %bb.93:
	s_wait_alu 0xfffe
	s_or_b32 exec_lo, exec_lo, s0
	s_delay_alu instid0(SALU_CYCLE_1)
	s_mov_b32 s0, exec_lo
	s_wait_loadcnt_dscnt 0x0
	s_barrier_signal -1
	s_barrier_wait -1
	global_inv scope:SCOPE_SE
	v_cmpx_gt_u32_e32 8, v0
	s_cbranch_execz .LBB722_101
; %bb.94:
	v_lshlrev_b32_e32 v12, 3, v0
	s_mov_b32 s1, exec_lo
	ds_load_b64 v[9:10], v12
	s_wait_dscnt 0x0
	v_dual_mov_b32 v14, v9 :: v_dual_and_b32 v13, 7, v34
	v_mov_b32_dpp v16, v9 row_shr:1 row_mask:0xf bank_mask:0xf
	v_mov_b32_dpp v15, v10 row_shr:1 row_mask:0xf bank_mask:0xf
	s_delay_alu instid0(VALU_DEP_3)
	v_cmpx_ne_u32_e32 0, v13
; %bb.95:
	s_delay_alu instid0(VALU_DEP_3) | instskip(SKIP_2) | instid1(VALU_DEP_2)
	v_add_co_u32 v14, vcc_lo, v9, v16
	s_wait_alu 0xfffd
	v_add_co_ci_u32_e64 v10, null, 0, v10, vcc_lo
	v_add_co_u32 v9, vcc_lo, 0, v14
	s_wait_alu 0xfffd
	s_delay_alu instid0(VALU_DEP_2)
	v_add_co_ci_u32_e64 v10, null, v15, v10, vcc_lo
; %bb.96:
	s_wait_alu 0xfffe
	s_or_b32 exec_lo, exec_lo, s1
	v_mov_b32_dpp v16, v14 row_shr:2 row_mask:0xf bank_mask:0xf
	s_delay_alu instid0(VALU_DEP_2)
	v_mov_b32_dpp v15, v10 row_shr:2 row_mask:0xf bank_mask:0xf
	s_mov_b32 s1, exec_lo
	v_cmpx_lt_u32_e32 1, v13
; %bb.97:
	s_delay_alu instid0(VALU_DEP_3) | instskip(SKIP_2) | instid1(VALU_DEP_2)
	v_add_co_u32 v14, vcc_lo, v9, v16
	s_wait_alu 0xfffd
	v_add_co_ci_u32_e64 v10, null, 0, v10, vcc_lo
	v_add_co_u32 v9, vcc_lo, 0, v14
	s_wait_alu 0xfffd
	s_delay_alu instid0(VALU_DEP_2)
	v_add_co_ci_u32_e64 v10, null, v15, v10, vcc_lo
; %bb.98:
	s_wait_alu 0xfffe
	s_or_b32 exec_lo, exec_lo, s1
	v_mov_b32_dpp v15, v14 row_shr:4 row_mask:0xf bank_mask:0xf
	s_delay_alu instid0(VALU_DEP_2)
	v_mov_b32_dpp v14, v10 row_shr:4 row_mask:0xf bank_mask:0xf
	s_mov_b32 s1, exec_lo
	v_cmpx_lt_u32_e32 3, v13
; %bb.99:
	s_delay_alu instid0(VALU_DEP_3) | instskip(SKIP_2) | instid1(VALU_DEP_2)
	v_add_co_u32 v9, vcc_lo, v9, v15
	s_wait_alu 0xfffd
	v_add_co_ci_u32_e64 v10, null, 0, v10, vcc_lo
	v_add_co_u32 v9, vcc_lo, v9, 0
	s_wait_alu 0xfffd
	s_delay_alu instid0(VALU_DEP_2)
	v_add_co_ci_u32_e64 v10, null, v10, v14, vcc_lo
; %bb.100:
	s_wait_alu 0xfffe
	s_or_b32 exec_lo, exec_lo, s1
	ds_store_b64 v12, v[9:10]
.LBB722_101:
	s_wait_alu 0xfffe
	s_or_b32 exec_lo, exec_lo, s0
	v_mov_b32_e32 v13, 0
	v_mov_b32_e32 v14, 0
	s_mov_b32 s0, exec_lo
	s_wait_loadcnt_dscnt 0x0
	s_barrier_signal -1
	s_barrier_wait -1
	global_inv scope:SCOPE_SE
	v_cmpx_lt_u32_e32 31, v0
; %bb.102:
	v_lshl_add_u32 v9, v11, 3, -8
	ds_load_b64 v[13:14], v9
; %bb.103:
	s_wait_alu 0xfffe
	s_or_b32 exec_lo, exec_lo, s0
	v_sub_co_u32 v9, vcc_lo, v34, 1
	v_mov_b32_e32 v12, 0
	s_delay_alu instid0(VALU_DEP_2) | instskip(SKIP_1) | instid1(VALU_DEP_1)
	v_cmp_gt_i32_e64 s0, 0, v9
	s_wait_alu 0xf1ff
	v_cndmask_b32_e64 v9, v9, v34, s0
	s_wait_dscnt 0x0
	v_add_co_u32 v10, s0, v13, v19
	s_wait_alu 0xf1ff
	v_add_co_ci_u32_e64 v11, null, v14, v20, s0
	v_lshlrev_b32_e32 v9, 2, v9
	ds_bpermute_b32 v15, v9, v10
	ds_bpermute_b32 v16, v9, v11
	ds_load_b64 v[9:10], v12 offset:56
	s_and_saveexec_b32 s0, s2
	s_cbranch_execz .LBB722_105
; %bb.104:
	s_add_nc_u64 s[8:9], s[14:15], 0x200
	s_wait_alu 0xfffe
	v_dual_mov_b32 v11, 2 :: v_dual_mov_b32 v20, s9
	v_mov_b32_e32 v19, s8
	s_wait_dscnt 0x0
	;;#ASMSTART
	global_store_b128 v[19:20], v[9:12] off scope:SCOPE_DEV	
s_wait_storecnt 0x0
	;;#ASMEND
.LBB722_105:
	s_wait_alu 0xfffe
	s_or_b32 exec_lo, exec_lo, s0
	s_wait_dscnt 0x1
	s_wait_alu 0xfffd
	v_dual_cndmask_b32 v11, v15, v13 :: v_dual_cndmask_b32 v12, v16, v14
	s_wait_loadcnt_dscnt 0x0
	s_barrier_signal -1
	s_barrier_wait -1
	s_delay_alu instid0(VALU_DEP_1)
	v_cndmask_b32_e64 v23, v11, 0, s2
	v_cndmask_b32_e64 v24, v12, 0, s2
	v_mov_b32_e32 v11, 0
	v_mov_b32_e32 v12, 0
	global_inv scope:SCOPE_SE
	v_add_co_u32 v21, vcc_lo, v23, v33
	s_wait_alu 0xfffd
	v_add_co_ci_u32_e64 v22, null, 0, v24, vcc_lo
	s_delay_alu instid0(VALU_DEP_2) | instskip(SKIP_1) | instid1(VALU_DEP_2)
	v_add_co_u32 v13, vcc_lo, v21, v32
	s_wait_alu 0xfffd
	v_add_co_ci_u32_e64 v14, null, 0, v22, vcc_lo
	s_delay_alu instid0(VALU_DEP_2) | instskip(SKIP_1) | instid1(VALU_DEP_2)
	v_add_co_u32 v15, vcc_lo, v13, v31
	s_wait_alu 0xfffd
	v_add_co_ci_u32_e64 v16, null, 0, v14, vcc_lo
.LBB722_106:
	v_and_b32_e32 v25, 1, v30
	s_wait_dscnt 0x0
	v_cmp_gt_u64_e32 vcc_lo, 0x101, v[9:10]
	s_mov_b32 s1, -1
	s_delay_alu instid0(VALU_DEP_2)
	v_cmp_eq_u32_e64 s0, 1, v25
	s_cbranch_vccnz .LBB722_110
; %bb.107:
	s_wait_alu 0xfffe
	s_and_b32 vcc_lo, exec_lo, s1
	s_wait_alu 0xfffe
	s_cbranch_vccnz .LBB722_119
.LBB722_108:
	s_and_b32 s0, s2, s6
	s_wait_alu 0xfffe
	s_and_saveexec_b32 s1, s0
	s_cbranch_execnz .LBB722_131
.LBB722_109:
	s_endpgm
.LBB722_110:
	v_add_co_u32 v19, vcc_lo, v11, v9
	s_wait_alu 0xfffd
	v_add_co_ci_u32_e64 v20, null, v12, v10, vcc_lo
	v_lshlrev_b64_e32 v[30:31], 3, v[17:18]
	s_delay_alu instid0(VALU_DEP_2) | instskip(NEXT) | instid1(VALU_DEP_2)
	v_cmp_lt_u64_e32 vcc_lo, v[23:24], v[19:20]
	v_add_co_u32 v26, s1, s12, v30
	s_wait_alu 0xf1fe
	s_delay_alu instid0(VALU_DEP_3)
	v_add_co_ci_u32_e64 v30, null, s13, v31, s1
	s_or_b32 s1, s7, vcc_lo
	s_wait_alu 0xfffe
	s_and_b32 s1, s1, s0
	s_wait_alu 0xfffe
	s_and_saveexec_b32 s0, s1
	s_cbranch_execz .LBB722_112
; %bb.111:
	v_lshlrev_b64_e32 v[31:32], 3, v[23:24]
	s_delay_alu instid0(VALU_DEP_1) | instskip(SKIP_1) | instid1(VALU_DEP_2)
	v_add_co_u32 v31, vcc_lo, v26, v31
	s_wait_alu 0xfffd
	v_add_co_ci_u32_e64 v32, null, v30, v32, vcc_lo
	global_store_b64 v[31:32], v[5:6], off
.LBB722_112:
	s_wait_alu 0xfffe
	s_or_b32 exec_lo, exec_lo, s0
	v_and_b32_e32 v24, 1, v29
	v_cmp_lt_u64_e32 vcc_lo, v[21:22], v[19:20]
	s_delay_alu instid0(VALU_DEP_2)
	v_cmp_eq_u32_e64 s0, 1, v24
	s_or_b32 s1, s7, vcc_lo
	s_wait_alu 0xfffe
	s_and_b32 s1, s1, s0
	s_wait_alu 0xfffe
	s_and_saveexec_b32 s0, s1
	s_cbranch_execz .LBB722_114
; %bb.113:
	v_lshlrev_b64_e32 v[31:32], 3, v[21:22]
	s_delay_alu instid0(VALU_DEP_1) | instskip(SKIP_1) | instid1(VALU_DEP_2)
	v_add_co_u32 v31, vcc_lo, v26, v31
	s_wait_alu 0xfffd
	v_add_co_ci_u32_e64 v32, null, v30, v32, vcc_lo
	global_store_b64 v[31:32], v[7:8], off
.LBB722_114:
	s_wait_alu 0xfffe
	s_or_b32 exec_lo, exec_lo, s0
	v_and_b32_e32 v22, 1, v28
	v_cmp_lt_u64_e32 vcc_lo, v[13:14], v[19:20]
	s_delay_alu instid0(VALU_DEP_2)
	v_cmp_eq_u32_e64 s0, 1, v22
	;; [unrolled: 20-line block ×3, first 2 shown]
	s_or_b32 s1, s7, vcc_lo
	s_wait_alu 0xfffe
	s_and_b32 s1, s1, s0
	s_wait_alu 0xfffe
	s_and_saveexec_b32 s0, s1
	s_cbranch_execz .LBB722_118
; %bb.117:
	v_lshlrev_b64_e32 v[19:20], 3, v[15:16]
	s_delay_alu instid0(VALU_DEP_1) | instskip(SKIP_1) | instid1(VALU_DEP_2)
	v_add_co_u32 v19, vcc_lo, v26, v19
	s_wait_alu 0xfffd
	v_add_co_ci_u32_e64 v20, null, v30, v20, vcc_lo
	global_store_b64 v[19:20], v[3:4], off
.LBB722_118:
	s_wait_alu 0xfffe
	s_or_b32 exec_lo, exec_lo, s0
	s_branch .LBB722_108
.LBB722_119:
	s_mov_b32 s0, exec_lo
	v_cmpx_eq_u32_e32 1, v25
; %bb.120:
	v_sub_nc_u32_e32 v14, v23, v11
	s_delay_alu instid0(VALU_DEP_1)
	v_lshlrev_b32_e32 v14, 3, v14
	ds_store_b64 v14, v[5:6]
; %bb.121:
	s_wait_alu 0xfffe
	s_or_b32 exec_lo, exec_lo, s0
	v_and_b32_e32 v5, 1, v29
	s_mov_b32 s0, exec_lo
	s_delay_alu instid0(VALU_DEP_1)
	v_cmpx_eq_u32_e32 1, v5
; %bb.122:
	v_sub_nc_u32_e32 v5, v21, v11
	s_delay_alu instid0(VALU_DEP_1)
	v_lshlrev_b32_e32 v5, 3, v5
	ds_store_b64 v5, v[7:8]
; %bb.123:
	s_wait_alu 0xfffe
	s_or_b32 exec_lo, exec_lo, s0
	v_and_b32_e32 v5, 1, v28
	s_mov_b32 s0, exec_lo
	s_delay_alu instid0(VALU_DEP_1)
	;; [unrolled: 12-line block ×3, first 2 shown]
	v_cmpx_eq_u32_e32 1, v1
; %bb.126:
	v_sub_nc_u32_e32 v1, v15, v11
	s_delay_alu instid0(VALU_DEP_1)
	v_lshlrev_b32_e32 v1, 3, v1
	ds_store_b64 v1, v[3:4]
; %bb.127:
	s_wait_alu 0xfffe
	s_or_b32 exec_lo, exec_lo, s0
	v_mov_b32_e32 v1, 0
	s_mov_b32 s1, exec_lo
	s_wait_storecnt 0x0
	s_wait_loadcnt_dscnt 0x0
	s_barrier_signal -1
	s_barrier_wait -1
	global_inv scope:SCOPE_SE
	v_cmpx_gt_u64_e64 v[9:10], v[0:1]
	s_cbranch_execz .LBB722_130
; %bb.128:
	v_lshlrev_b64_e32 v[2:3], 3, v[17:18]
	v_lshlrev_b64_e32 v[4:5], 3, v[11:12]
	s_mov_b32 s3, 0
	s_delay_alu instid0(VALU_DEP_2) | instskip(SKIP_1) | instid1(VALU_DEP_3)
	v_add_co_u32 v6, vcc_lo, s12, v2
	s_wait_alu 0xfffd
	v_add_co_ci_u32_e64 v7, null, s13, v3, vcc_lo
	v_dual_mov_b32 v3, v1 :: v_dual_mov_b32 v2, v0
	s_delay_alu instid0(VALU_DEP_3) | instskip(SKIP_1) | instid1(VALU_DEP_3)
	v_add_co_u32 v4, vcc_lo, v6, v4
	s_wait_alu 0xfffd
	v_add_co_ci_u32_e64 v5, null, v7, v5, vcc_lo
	v_or_b32_e32 v0, 0x100, v0
.LBB722_129:                            ; =>This Inner Loop Header: Depth=1
	v_lshlrev_b32_e32 v6, 3, v2
	v_lshlrev_b64_e32 v[13:14], 3, v[2:3]
	v_mov_b32_e32 v3, v1
	s_delay_alu instid0(VALU_DEP_4)
	v_cmp_le_u64_e32 vcc_lo, v[9:10], v[0:1]
	v_mov_b32_e32 v2, v0
	ds_load_b64 v[6:7], v6
	v_add_nc_u32_e32 v0, 0x100, v0
	v_add_co_u32 v13, s0, v4, v13
	s_wait_alu 0xf1ff
	v_add_co_ci_u32_e64 v14, null, v5, v14, s0
	s_wait_alu 0xfffe
	s_or_b32 s3, vcc_lo, s3
	s_wait_dscnt 0x0
	global_store_b64 v[13:14], v[6:7], off
	s_wait_alu 0xfffe
	s_and_not1_b32 exec_lo, exec_lo, s3
	s_cbranch_execnz .LBB722_129
.LBB722_130:
	s_wait_alu 0xfffe
	s_or_b32 exec_lo, exec_lo, s1
	s_and_b32 s0, s2, s6
	s_wait_alu 0xfffe
	s_and_saveexec_b32 s1, s0
	s_cbranch_execz .LBB722_109
.LBB722_131:
	v_add_co_u32 v0, vcc_lo, v11, v9
	s_wait_alu 0xfffd
	v_add_co_ci_u32_e64 v1, null, v12, v10, vcc_lo
	v_mov_b32_e32 v2, 0
	s_delay_alu instid0(VALU_DEP_3) | instskip(SKIP_1) | instid1(VALU_DEP_3)
	v_add_co_u32 v0, vcc_lo, v0, v17
	s_wait_alu 0xfffd
	v_add_co_ci_u32_e64 v1, null, v1, v18, vcc_lo
	global_store_b64 v2, v[0:1], s[4:5]
	s_endpgm
.LBB722_132:
	v_lshlrev_b32_e32 v3, 3, v0
	s_delay_alu instid0(VALU_DEP_1)
	v_add_co_u32 v3, vcc_lo, v12, v3
	s_wait_alu 0xfffd
	v_add_co_ci_u32_e64 v4, null, 0, v13, vcc_lo
	flat_load_b64 v[3:4], v[3:4] offset:2048
	s_wait_alu 0xfffe
	s_or_b32 exec_lo, exec_lo, s1
	s_delay_alu instid0(SALU_CYCLE_1)
	s_mov_b32 s1, exec_lo
	v_cmpx_gt_u32_e64 s0, v11
	s_cbranch_execz .LBB722_11
.LBB722_133:
	v_lshlrev_b32_e32 v5, 3, v0
	s_delay_alu instid0(VALU_DEP_1)
	v_add_co_u32 v5, vcc_lo, v12, v5
	s_wait_alu 0xfffd
	v_add_co_ci_u32_e64 v6, null, 0, v13, vcc_lo
	flat_load_b64 v[5:6], v[5:6] offset:4096
	s_wait_alu 0xfffe
	s_or_b32 exec_lo, exec_lo, s1
	s_delay_alu instid0(SALU_CYCLE_1)
	s_mov_b32 s1, exec_lo
	v_cmpx_gt_u32_e64 s0, v10
	s_cbranch_execnz .LBB722_12
	s_branch .LBB722_13
	.section	.rodata,"a",@progbits
	.p2align	6, 0x0
	.amdhsa_kernel _ZN7rocprim17ROCPRIM_400000_NS6detail17trampoline_kernelINS0_14default_configENS1_25partition_config_selectorILNS1_17partition_subalgoE6ExNS0_10empty_typeEbEEZZNS1_14partition_implILS5_6ELb0ES3_mN6thrust23THRUST_200600_302600_NS6detail15normal_iteratorINSA_10device_ptrIxEEEEPS6_SG_NS0_5tupleIJSF_S6_EEENSH_IJSG_SG_EEES6_PlJNSB_9not_fun_tI7is_evenIxEEEEEE10hipError_tPvRmT3_T4_T5_T6_T7_T9_mT8_P12ihipStream_tbDpT10_ENKUlT_T0_E_clISt17integral_constantIbLb0EES17_IbLb1EEEEDaS13_S14_EUlS13_E_NS1_11comp_targetILNS1_3genE10ELNS1_11target_archE1200ELNS1_3gpuE4ELNS1_3repE0EEENS1_30default_config_static_selectorELNS0_4arch9wavefront6targetE0EEEvT1_
		.amdhsa_group_segment_fixed_size 8464
		.amdhsa_private_segment_fixed_size 0
		.amdhsa_kernarg_size 128
		.amdhsa_user_sgpr_count 2
		.amdhsa_user_sgpr_dispatch_ptr 0
		.amdhsa_user_sgpr_queue_ptr 0
		.amdhsa_user_sgpr_kernarg_segment_ptr 1
		.amdhsa_user_sgpr_dispatch_id 0
		.amdhsa_user_sgpr_private_segment_size 0
		.amdhsa_wavefront_size32 1
		.amdhsa_uses_dynamic_stack 0
		.amdhsa_enable_private_segment 0
		.amdhsa_system_sgpr_workgroup_id_x 1
		.amdhsa_system_sgpr_workgroup_id_y 0
		.amdhsa_system_sgpr_workgroup_id_z 0
		.amdhsa_system_sgpr_workgroup_info 0
		.amdhsa_system_vgpr_workitem_id 0
		.amdhsa_next_free_vgpr 49
		.amdhsa_next_free_sgpr 22
		.amdhsa_reserve_vcc 1
		.amdhsa_float_round_mode_32 0
		.amdhsa_float_round_mode_16_64 0
		.amdhsa_float_denorm_mode_32 3
		.amdhsa_float_denorm_mode_16_64 3
		.amdhsa_fp16_overflow 0
		.amdhsa_workgroup_processor_mode 1
		.amdhsa_memory_ordered 1
		.amdhsa_forward_progress 1
		.amdhsa_inst_pref_size 52
		.amdhsa_round_robin_scheduling 0
		.amdhsa_exception_fp_ieee_invalid_op 0
		.amdhsa_exception_fp_denorm_src 0
		.amdhsa_exception_fp_ieee_div_zero 0
		.amdhsa_exception_fp_ieee_overflow 0
		.amdhsa_exception_fp_ieee_underflow 0
		.amdhsa_exception_fp_ieee_inexact 0
		.amdhsa_exception_int_div_zero 0
	.end_amdhsa_kernel
	.section	.text._ZN7rocprim17ROCPRIM_400000_NS6detail17trampoline_kernelINS0_14default_configENS1_25partition_config_selectorILNS1_17partition_subalgoE6ExNS0_10empty_typeEbEEZZNS1_14partition_implILS5_6ELb0ES3_mN6thrust23THRUST_200600_302600_NS6detail15normal_iteratorINSA_10device_ptrIxEEEEPS6_SG_NS0_5tupleIJSF_S6_EEENSH_IJSG_SG_EEES6_PlJNSB_9not_fun_tI7is_evenIxEEEEEE10hipError_tPvRmT3_T4_T5_T6_T7_T9_mT8_P12ihipStream_tbDpT10_ENKUlT_T0_E_clISt17integral_constantIbLb0EES17_IbLb1EEEEDaS13_S14_EUlS13_E_NS1_11comp_targetILNS1_3genE10ELNS1_11target_archE1200ELNS1_3gpuE4ELNS1_3repE0EEENS1_30default_config_static_selectorELNS0_4arch9wavefront6targetE0EEEvT1_,"axG",@progbits,_ZN7rocprim17ROCPRIM_400000_NS6detail17trampoline_kernelINS0_14default_configENS1_25partition_config_selectorILNS1_17partition_subalgoE6ExNS0_10empty_typeEbEEZZNS1_14partition_implILS5_6ELb0ES3_mN6thrust23THRUST_200600_302600_NS6detail15normal_iteratorINSA_10device_ptrIxEEEEPS6_SG_NS0_5tupleIJSF_S6_EEENSH_IJSG_SG_EEES6_PlJNSB_9not_fun_tI7is_evenIxEEEEEE10hipError_tPvRmT3_T4_T5_T6_T7_T9_mT8_P12ihipStream_tbDpT10_ENKUlT_T0_E_clISt17integral_constantIbLb0EES17_IbLb1EEEEDaS13_S14_EUlS13_E_NS1_11comp_targetILNS1_3genE10ELNS1_11target_archE1200ELNS1_3gpuE4ELNS1_3repE0EEENS1_30default_config_static_selectorELNS0_4arch9wavefront6targetE0EEEvT1_,comdat
.Lfunc_end722:
	.size	_ZN7rocprim17ROCPRIM_400000_NS6detail17trampoline_kernelINS0_14default_configENS1_25partition_config_selectorILNS1_17partition_subalgoE6ExNS0_10empty_typeEbEEZZNS1_14partition_implILS5_6ELb0ES3_mN6thrust23THRUST_200600_302600_NS6detail15normal_iteratorINSA_10device_ptrIxEEEEPS6_SG_NS0_5tupleIJSF_S6_EEENSH_IJSG_SG_EEES6_PlJNSB_9not_fun_tI7is_evenIxEEEEEE10hipError_tPvRmT3_T4_T5_T6_T7_T9_mT8_P12ihipStream_tbDpT10_ENKUlT_T0_E_clISt17integral_constantIbLb0EES17_IbLb1EEEEDaS13_S14_EUlS13_E_NS1_11comp_targetILNS1_3genE10ELNS1_11target_archE1200ELNS1_3gpuE4ELNS1_3repE0EEENS1_30default_config_static_selectorELNS0_4arch9wavefront6targetE0EEEvT1_, .Lfunc_end722-_ZN7rocprim17ROCPRIM_400000_NS6detail17trampoline_kernelINS0_14default_configENS1_25partition_config_selectorILNS1_17partition_subalgoE6ExNS0_10empty_typeEbEEZZNS1_14partition_implILS5_6ELb0ES3_mN6thrust23THRUST_200600_302600_NS6detail15normal_iteratorINSA_10device_ptrIxEEEEPS6_SG_NS0_5tupleIJSF_S6_EEENSH_IJSG_SG_EEES6_PlJNSB_9not_fun_tI7is_evenIxEEEEEE10hipError_tPvRmT3_T4_T5_T6_T7_T9_mT8_P12ihipStream_tbDpT10_ENKUlT_T0_E_clISt17integral_constantIbLb0EES17_IbLb1EEEEDaS13_S14_EUlS13_E_NS1_11comp_targetILNS1_3genE10ELNS1_11target_archE1200ELNS1_3gpuE4ELNS1_3repE0EEENS1_30default_config_static_selectorELNS0_4arch9wavefront6targetE0EEEvT1_
                                        ; -- End function
	.set _ZN7rocprim17ROCPRIM_400000_NS6detail17trampoline_kernelINS0_14default_configENS1_25partition_config_selectorILNS1_17partition_subalgoE6ExNS0_10empty_typeEbEEZZNS1_14partition_implILS5_6ELb0ES3_mN6thrust23THRUST_200600_302600_NS6detail15normal_iteratorINSA_10device_ptrIxEEEEPS6_SG_NS0_5tupleIJSF_S6_EEENSH_IJSG_SG_EEES6_PlJNSB_9not_fun_tI7is_evenIxEEEEEE10hipError_tPvRmT3_T4_T5_T6_T7_T9_mT8_P12ihipStream_tbDpT10_ENKUlT_T0_E_clISt17integral_constantIbLb0EES17_IbLb1EEEEDaS13_S14_EUlS13_E_NS1_11comp_targetILNS1_3genE10ELNS1_11target_archE1200ELNS1_3gpuE4ELNS1_3repE0EEENS1_30default_config_static_selectorELNS0_4arch9wavefront6targetE0EEEvT1_.num_vgpr, 49
	.set _ZN7rocprim17ROCPRIM_400000_NS6detail17trampoline_kernelINS0_14default_configENS1_25partition_config_selectorILNS1_17partition_subalgoE6ExNS0_10empty_typeEbEEZZNS1_14partition_implILS5_6ELb0ES3_mN6thrust23THRUST_200600_302600_NS6detail15normal_iteratorINSA_10device_ptrIxEEEEPS6_SG_NS0_5tupleIJSF_S6_EEENSH_IJSG_SG_EEES6_PlJNSB_9not_fun_tI7is_evenIxEEEEEE10hipError_tPvRmT3_T4_T5_T6_T7_T9_mT8_P12ihipStream_tbDpT10_ENKUlT_T0_E_clISt17integral_constantIbLb0EES17_IbLb1EEEEDaS13_S14_EUlS13_E_NS1_11comp_targetILNS1_3genE10ELNS1_11target_archE1200ELNS1_3gpuE4ELNS1_3repE0EEENS1_30default_config_static_selectorELNS0_4arch9wavefront6targetE0EEEvT1_.num_agpr, 0
	.set _ZN7rocprim17ROCPRIM_400000_NS6detail17trampoline_kernelINS0_14default_configENS1_25partition_config_selectorILNS1_17partition_subalgoE6ExNS0_10empty_typeEbEEZZNS1_14partition_implILS5_6ELb0ES3_mN6thrust23THRUST_200600_302600_NS6detail15normal_iteratorINSA_10device_ptrIxEEEEPS6_SG_NS0_5tupleIJSF_S6_EEENSH_IJSG_SG_EEES6_PlJNSB_9not_fun_tI7is_evenIxEEEEEE10hipError_tPvRmT3_T4_T5_T6_T7_T9_mT8_P12ihipStream_tbDpT10_ENKUlT_T0_E_clISt17integral_constantIbLb0EES17_IbLb1EEEEDaS13_S14_EUlS13_E_NS1_11comp_targetILNS1_3genE10ELNS1_11target_archE1200ELNS1_3gpuE4ELNS1_3repE0EEENS1_30default_config_static_selectorELNS0_4arch9wavefront6targetE0EEEvT1_.numbered_sgpr, 22
	.set _ZN7rocprim17ROCPRIM_400000_NS6detail17trampoline_kernelINS0_14default_configENS1_25partition_config_selectorILNS1_17partition_subalgoE6ExNS0_10empty_typeEbEEZZNS1_14partition_implILS5_6ELb0ES3_mN6thrust23THRUST_200600_302600_NS6detail15normal_iteratorINSA_10device_ptrIxEEEEPS6_SG_NS0_5tupleIJSF_S6_EEENSH_IJSG_SG_EEES6_PlJNSB_9not_fun_tI7is_evenIxEEEEEE10hipError_tPvRmT3_T4_T5_T6_T7_T9_mT8_P12ihipStream_tbDpT10_ENKUlT_T0_E_clISt17integral_constantIbLb0EES17_IbLb1EEEEDaS13_S14_EUlS13_E_NS1_11comp_targetILNS1_3genE10ELNS1_11target_archE1200ELNS1_3gpuE4ELNS1_3repE0EEENS1_30default_config_static_selectorELNS0_4arch9wavefront6targetE0EEEvT1_.num_named_barrier, 0
	.set _ZN7rocprim17ROCPRIM_400000_NS6detail17trampoline_kernelINS0_14default_configENS1_25partition_config_selectorILNS1_17partition_subalgoE6ExNS0_10empty_typeEbEEZZNS1_14partition_implILS5_6ELb0ES3_mN6thrust23THRUST_200600_302600_NS6detail15normal_iteratorINSA_10device_ptrIxEEEEPS6_SG_NS0_5tupleIJSF_S6_EEENSH_IJSG_SG_EEES6_PlJNSB_9not_fun_tI7is_evenIxEEEEEE10hipError_tPvRmT3_T4_T5_T6_T7_T9_mT8_P12ihipStream_tbDpT10_ENKUlT_T0_E_clISt17integral_constantIbLb0EES17_IbLb1EEEEDaS13_S14_EUlS13_E_NS1_11comp_targetILNS1_3genE10ELNS1_11target_archE1200ELNS1_3gpuE4ELNS1_3repE0EEENS1_30default_config_static_selectorELNS0_4arch9wavefront6targetE0EEEvT1_.private_seg_size, 0
	.set _ZN7rocprim17ROCPRIM_400000_NS6detail17trampoline_kernelINS0_14default_configENS1_25partition_config_selectorILNS1_17partition_subalgoE6ExNS0_10empty_typeEbEEZZNS1_14partition_implILS5_6ELb0ES3_mN6thrust23THRUST_200600_302600_NS6detail15normal_iteratorINSA_10device_ptrIxEEEEPS6_SG_NS0_5tupleIJSF_S6_EEENSH_IJSG_SG_EEES6_PlJNSB_9not_fun_tI7is_evenIxEEEEEE10hipError_tPvRmT3_T4_T5_T6_T7_T9_mT8_P12ihipStream_tbDpT10_ENKUlT_T0_E_clISt17integral_constantIbLb0EES17_IbLb1EEEEDaS13_S14_EUlS13_E_NS1_11comp_targetILNS1_3genE10ELNS1_11target_archE1200ELNS1_3gpuE4ELNS1_3repE0EEENS1_30default_config_static_selectorELNS0_4arch9wavefront6targetE0EEEvT1_.uses_vcc, 1
	.set _ZN7rocprim17ROCPRIM_400000_NS6detail17trampoline_kernelINS0_14default_configENS1_25partition_config_selectorILNS1_17partition_subalgoE6ExNS0_10empty_typeEbEEZZNS1_14partition_implILS5_6ELb0ES3_mN6thrust23THRUST_200600_302600_NS6detail15normal_iteratorINSA_10device_ptrIxEEEEPS6_SG_NS0_5tupleIJSF_S6_EEENSH_IJSG_SG_EEES6_PlJNSB_9not_fun_tI7is_evenIxEEEEEE10hipError_tPvRmT3_T4_T5_T6_T7_T9_mT8_P12ihipStream_tbDpT10_ENKUlT_T0_E_clISt17integral_constantIbLb0EES17_IbLb1EEEEDaS13_S14_EUlS13_E_NS1_11comp_targetILNS1_3genE10ELNS1_11target_archE1200ELNS1_3gpuE4ELNS1_3repE0EEENS1_30default_config_static_selectorELNS0_4arch9wavefront6targetE0EEEvT1_.uses_flat_scratch, 1
	.set _ZN7rocprim17ROCPRIM_400000_NS6detail17trampoline_kernelINS0_14default_configENS1_25partition_config_selectorILNS1_17partition_subalgoE6ExNS0_10empty_typeEbEEZZNS1_14partition_implILS5_6ELb0ES3_mN6thrust23THRUST_200600_302600_NS6detail15normal_iteratorINSA_10device_ptrIxEEEEPS6_SG_NS0_5tupleIJSF_S6_EEENSH_IJSG_SG_EEES6_PlJNSB_9not_fun_tI7is_evenIxEEEEEE10hipError_tPvRmT3_T4_T5_T6_T7_T9_mT8_P12ihipStream_tbDpT10_ENKUlT_T0_E_clISt17integral_constantIbLb0EES17_IbLb1EEEEDaS13_S14_EUlS13_E_NS1_11comp_targetILNS1_3genE10ELNS1_11target_archE1200ELNS1_3gpuE4ELNS1_3repE0EEENS1_30default_config_static_selectorELNS0_4arch9wavefront6targetE0EEEvT1_.has_dyn_sized_stack, 0
	.set _ZN7rocprim17ROCPRIM_400000_NS6detail17trampoline_kernelINS0_14default_configENS1_25partition_config_selectorILNS1_17partition_subalgoE6ExNS0_10empty_typeEbEEZZNS1_14partition_implILS5_6ELb0ES3_mN6thrust23THRUST_200600_302600_NS6detail15normal_iteratorINSA_10device_ptrIxEEEEPS6_SG_NS0_5tupleIJSF_S6_EEENSH_IJSG_SG_EEES6_PlJNSB_9not_fun_tI7is_evenIxEEEEEE10hipError_tPvRmT3_T4_T5_T6_T7_T9_mT8_P12ihipStream_tbDpT10_ENKUlT_T0_E_clISt17integral_constantIbLb0EES17_IbLb1EEEEDaS13_S14_EUlS13_E_NS1_11comp_targetILNS1_3genE10ELNS1_11target_archE1200ELNS1_3gpuE4ELNS1_3repE0EEENS1_30default_config_static_selectorELNS0_4arch9wavefront6targetE0EEEvT1_.has_recursion, 0
	.set _ZN7rocprim17ROCPRIM_400000_NS6detail17trampoline_kernelINS0_14default_configENS1_25partition_config_selectorILNS1_17partition_subalgoE6ExNS0_10empty_typeEbEEZZNS1_14partition_implILS5_6ELb0ES3_mN6thrust23THRUST_200600_302600_NS6detail15normal_iteratorINSA_10device_ptrIxEEEEPS6_SG_NS0_5tupleIJSF_S6_EEENSH_IJSG_SG_EEES6_PlJNSB_9not_fun_tI7is_evenIxEEEEEE10hipError_tPvRmT3_T4_T5_T6_T7_T9_mT8_P12ihipStream_tbDpT10_ENKUlT_T0_E_clISt17integral_constantIbLb0EES17_IbLb1EEEEDaS13_S14_EUlS13_E_NS1_11comp_targetILNS1_3genE10ELNS1_11target_archE1200ELNS1_3gpuE4ELNS1_3repE0EEENS1_30default_config_static_selectorELNS0_4arch9wavefront6targetE0EEEvT1_.has_indirect_call, 0
	.section	.AMDGPU.csdata,"",@progbits
; Kernel info:
; codeLenInByte = 6556
; TotalNumSgprs: 24
; NumVgprs: 49
; ScratchSize: 0
; MemoryBound: 0
; FloatMode: 240
; IeeeMode: 1
; LDSByteSize: 8464 bytes/workgroup (compile time only)
; SGPRBlocks: 0
; VGPRBlocks: 6
; NumSGPRsForWavesPerEU: 24
; NumVGPRsForWavesPerEU: 49
; Occupancy: 16
; WaveLimiterHint : 1
; COMPUTE_PGM_RSRC2:SCRATCH_EN: 0
; COMPUTE_PGM_RSRC2:USER_SGPR: 2
; COMPUTE_PGM_RSRC2:TRAP_HANDLER: 0
; COMPUTE_PGM_RSRC2:TGID_X_EN: 1
; COMPUTE_PGM_RSRC2:TGID_Y_EN: 0
; COMPUTE_PGM_RSRC2:TGID_Z_EN: 0
; COMPUTE_PGM_RSRC2:TIDIG_COMP_CNT: 0
	.section	.text._ZN7rocprim17ROCPRIM_400000_NS6detail17trampoline_kernelINS0_14default_configENS1_25partition_config_selectorILNS1_17partition_subalgoE6ExNS0_10empty_typeEbEEZZNS1_14partition_implILS5_6ELb0ES3_mN6thrust23THRUST_200600_302600_NS6detail15normal_iteratorINSA_10device_ptrIxEEEEPS6_SG_NS0_5tupleIJSF_S6_EEENSH_IJSG_SG_EEES6_PlJNSB_9not_fun_tI7is_evenIxEEEEEE10hipError_tPvRmT3_T4_T5_T6_T7_T9_mT8_P12ihipStream_tbDpT10_ENKUlT_T0_E_clISt17integral_constantIbLb0EES17_IbLb1EEEEDaS13_S14_EUlS13_E_NS1_11comp_targetILNS1_3genE9ELNS1_11target_archE1100ELNS1_3gpuE3ELNS1_3repE0EEENS1_30default_config_static_selectorELNS0_4arch9wavefront6targetE0EEEvT1_,"axG",@progbits,_ZN7rocprim17ROCPRIM_400000_NS6detail17trampoline_kernelINS0_14default_configENS1_25partition_config_selectorILNS1_17partition_subalgoE6ExNS0_10empty_typeEbEEZZNS1_14partition_implILS5_6ELb0ES3_mN6thrust23THRUST_200600_302600_NS6detail15normal_iteratorINSA_10device_ptrIxEEEEPS6_SG_NS0_5tupleIJSF_S6_EEENSH_IJSG_SG_EEES6_PlJNSB_9not_fun_tI7is_evenIxEEEEEE10hipError_tPvRmT3_T4_T5_T6_T7_T9_mT8_P12ihipStream_tbDpT10_ENKUlT_T0_E_clISt17integral_constantIbLb0EES17_IbLb1EEEEDaS13_S14_EUlS13_E_NS1_11comp_targetILNS1_3genE9ELNS1_11target_archE1100ELNS1_3gpuE3ELNS1_3repE0EEENS1_30default_config_static_selectorELNS0_4arch9wavefront6targetE0EEEvT1_,comdat
	.protected	_ZN7rocprim17ROCPRIM_400000_NS6detail17trampoline_kernelINS0_14default_configENS1_25partition_config_selectorILNS1_17partition_subalgoE6ExNS0_10empty_typeEbEEZZNS1_14partition_implILS5_6ELb0ES3_mN6thrust23THRUST_200600_302600_NS6detail15normal_iteratorINSA_10device_ptrIxEEEEPS6_SG_NS0_5tupleIJSF_S6_EEENSH_IJSG_SG_EEES6_PlJNSB_9not_fun_tI7is_evenIxEEEEEE10hipError_tPvRmT3_T4_T5_T6_T7_T9_mT8_P12ihipStream_tbDpT10_ENKUlT_T0_E_clISt17integral_constantIbLb0EES17_IbLb1EEEEDaS13_S14_EUlS13_E_NS1_11comp_targetILNS1_3genE9ELNS1_11target_archE1100ELNS1_3gpuE3ELNS1_3repE0EEENS1_30default_config_static_selectorELNS0_4arch9wavefront6targetE0EEEvT1_ ; -- Begin function _ZN7rocprim17ROCPRIM_400000_NS6detail17trampoline_kernelINS0_14default_configENS1_25partition_config_selectorILNS1_17partition_subalgoE6ExNS0_10empty_typeEbEEZZNS1_14partition_implILS5_6ELb0ES3_mN6thrust23THRUST_200600_302600_NS6detail15normal_iteratorINSA_10device_ptrIxEEEEPS6_SG_NS0_5tupleIJSF_S6_EEENSH_IJSG_SG_EEES6_PlJNSB_9not_fun_tI7is_evenIxEEEEEE10hipError_tPvRmT3_T4_T5_T6_T7_T9_mT8_P12ihipStream_tbDpT10_ENKUlT_T0_E_clISt17integral_constantIbLb0EES17_IbLb1EEEEDaS13_S14_EUlS13_E_NS1_11comp_targetILNS1_3genE9ELNS1_11target_archE1100ELNS1_3gpuE3ELNS1_3repE0EEENS1_30default_config_static_selectorELNS0_4arch9wavefront6targetE0EEEvT1_
	.globl	_ZN7rocprim17ROCPRIM_400000_NS6detail17trampoline_kernelINS0_14default_configENS1_25partition_config_selectorILNS1_17partition_subalgoE6ExNS0_10empty_typeEbEEZZNS1_14partition_implILS5_6ELb0ES3_mN6thrust23THRUST_200600_302600_NS6detail15normal_iteratorINSA_10device_ptrIxEEEEPS6_SG_NS0_5tupleIJSF_S6_EEENSH_IJSG_SG_EEES6_PlJNSB_9not_fun_tI7is_evenIxEEEEEE10hipError_tPvRmT3_T4_T5_T6_T7_T9_mT8_P12ihipStream_tbDpT10_ENKUlT_T0_E_clISt17integral_constantIbLb0EES17_IbLb1EEEEDaS13_S14_EUlS13_E_NS1_11comp_targetILNS1_3genE9ELNS1_11target_archE1100ELNS1_3gpuE3ELNS1_3repE0EEENS1_30default_config_static_selectorELNS0_4arch9wavefront6targetE0EEEvT1_
	.p2align	8
	.type	_ZN7rocprim17ROCPRIM_400000_NS6detail17trampoline_kernelINS0_14default_configENS1_25partition_config_selectorILNS1_17partition_subalgoE6ExNS0_10empty_typeEbEEZZNS1_14partition_implILS5_6ELb0ES3_mN6thrust23THRUST_200600_302600_NS6detail15normal_iteratorINSA_10device_ptrIxEEEEPS6_SG_NS0_5tupleIJSF_S6_EEENSH_IJSG_SG_EEES6_PlJNSB_9not_fun_tI7is_evenIxEEEEEE10hipError_tPvRmT3_T4_T5_T6_T7_T9_mT8_P12ihipStream_tbDpT10_ENKUlT_T0_E_clISt17integral_constantIbLb0EES17_IbLb1EEEEDaS13_S14_EUlS13_E_NS1_11comp_targetILNS1_3genE9ELNS1_11target_archE1100ELNS1_3gpuE3ELNS1_3repE0EEENS1_30default_config_static_selectorELNS0_4arch9wavefront6targetE0EEEvT1_,@function
_ZN7rocprim17ROCPRIM_400000_NS6detail17trampoline_kernelINS0_14default_configENS1_25partition_config_selectorILNS1_17partition_subalgoE6ExNS0_10empty_typeEbEEZZNS1_14partition_implILS5_6ELb0ES3_mN6thrust23THRUST_200600_302600_NS6detail15normal_iteratorINSA_10device_ptrIxEEEEPS6_SG_NS0_5tupleIJSF_S6_EEENSH_IJSG_SG_EEES6_PlJNSB_9not_fun_tI7is_evenIxEEEEEE10hipError_tPvRmT3_T4_T5_T6_T7_T9_mT8_P12ihipStream_tbDpT10_ENKUlT_T0_E_clISt17integral_constantIbLb0EES17_IbLb1EEEEDaS13_S14_EUlS13_E_NS1_11comp_targetILNS1_3genE9ELNS1_11target_archE1100ELNS1_3gpuE3ELNS1_3repE0EEENS1_30default_config_static_selectorELNS0_4arch9wavefront6targetE0EEEvT1_: ; @_ZN7rocprim17ROCPRIM_400000_NS6detail17trampoline_kernelINS0_14default_configENS1_25partition_config_selectorILNS1_17partition_subalgoE6ExNS0_10empty_typeEbEEZZNS1_14partition_implILS5_6ELb0ES3_mN6thrust23THRUST_200600_302600_NS6detail15normal_iteratorINSA_10device_ptrIxEEEEPS6_SG_NS0_5tupleIJSF_S6_EEENSH_IJSG_SG_EEES6_PlJNSB_9not_fun_tI7is_evenIxEEEEEE10hipError_tPvRmT3_T4_T5_T6_T7_T9_mT8_P12ihipStream_tbDpT10_ENKUlT_T0_E_clISt17integral_constantIbLb0EES17_IbLb1EEEEDaS13_S14_EUlS13_E_NS1_11comp_targetILNS1_3genE9ELNS1_11target_archE1100ELNS1_3gpuE3ELNS1_3repE0EEENS1_30default_config_static_selectorELNS0_4arch9wavefront6targetE0EEEvT1_
; %bb.0:
	.section	.rodata,"a",@progbits
	.p2align	6, 0x0
	.amdhsa_kernel _ZN7rocprim17ROCPRIM_400000_NS6detail17trampoline_kernelINS0_14default_configENS1_25partition_config_selectorILNS1_17partition_subalgoE6ExNS0_10empty_typeEbEEZZNS1_14partition_implILS5_6ELb0ES3_mN6thrust23THRUST_200600_302600_NS6detail15normal_iteratorINSA_10device_ptrIxEEEEPS6_SG_NS0_5tupleIJSF_S6_EEENSH_IJSG_SG_EEES6_PlJNSB_9not_fun_tI7is_evenIxEEEEEE10hipError_tPvRmT3_T4_T5_T6_T7_T9_mT8_P12ihipStream_tbDpT10_ENKUlT_T0_E_clISt17integral_constantIbLb0EES17_IbLb1EEEEDaS13_S14_EUlS13_E_NS1_11comp_targetILNS1_3genE9ELNS1_11target_archE1100ELNS1_3gpuE3ELNS1_3repE0EEENS1_30default_config_static_selectorELNS0_4arch9wavefront6targetE0EEEvT1_
		.amdhsa_group_segment_fixed_size 0
		.amdhsa_private_segment_fixed_size 0
		.amdhsa_kernarg_size 128
		.amdhsa_user_sgpr_count 2
		.amdhsa_user_sgpr_dispatch_ptr 0
		.amdhsa_user_sgpr_queue_ptr 0
		.amdhsa_user_sgpr_kernarg_segment_ptr 1
		.amdhsa_user_sgpr_dispatch_id 0
		.amdhsa_user_sgpr_private_segment_size 0
		.amdhsa_wavefront_size32 1
		.amdhsa_uses_dynamic_stack 0
		.amdhsa_enable_private_segment 0
		.amdhsa_system_sgpr_workgroup_id_x 1
		.amdhsa_system_sgpr_workgroup_id_y 0
		.amdhsa_system_sgpr_workgroup_id_z 0
		.amdhsa_system_sgpr_workgroup_info 0
		.amdhsa_system_vgpr_workitem_id 0
		.amdhsa_next_free_vgpr 1
		.amdhsa_next_free_sgpr 1
		.amdhsa_reserve_vcc 0
		.amdhsa_float_round_mode_32 0
		.amdhsa_float_round_mode_16_64 0
		.amdhsa_float_denorm_mode_32 3
		.amdhsa_float_denorm_mode_16_64 3
		.amdhsa_fp16_overflow 0
		.amdhsa_workgroup_processor_mode 1
		.amdhsa_memory_ordered 1
		.amdhsa_forward_progress 1
		.amdhsa_inst_pref_size 0
		.amdhsa_round_robin_scheduling 0
		.amdhsa_exception_fp_ieee_invalid_op 0
		.amdhsa_exception_fp_denorm_src 0
		.amdhsa_exception_fp_ieee_div_zero 0
		.amdhsa_exception_fp_ieee_overflow 0
		.amdhsa_exception_fp_ieee_underflow 0
		.amdhsa_exception_fp_ieee_inexact 0
		.amdhsa_exception_int_div_zero 0
	.end_amdhsa_kernel
	.section	.text._ZN7rocprim17ROCPRIM_400000_NS6detail17trampoline_kernelINS0_14default_configENS1_25partition_config_selectorILNS1_17partition_subalgoE6ExNS0_10empty_typeEbEEZZNS1_14partition_implILS5_6ELb0ES3_mN6thrust23THRUST_200600_302600_NS6detail15normal_iteratorINSA_10device_ptrIxEEEEPS6_SG_NS0_5tupleIJSF_S6_EEENSH_IJSG_SG_EEES6_PlJNSB_9not_fun_tI7is_evenIxEEEEEE10hipError_tPvRmT3_T4_T5_T6_T7_T9_mT8_P12ihipStream_tbDpT10_ENKUlT_T0_E_clISt17integral_constantIbLb0EES17_IbLb1EEEEDaS13_S14_EUlS13_E_NS1_11comp_targetILNS1_3genE9ELNS1_11target_archE1100ELNS1_3gpuE3ELNS1_3repE0EEENS1_30default_config_static_selectorELNS0_4arch9wavefront6targetE0EEEvT1_,"axG",@progbits,_ZN7rocprim17ROCPRIM_400000_NS6detail17trampoline_kernelINS0_14default_configENS1_25partition_config_selectorILNS1_17partition_subalgoE6ExNS0_10empty_typeEbEEZZNS1_14partition_implILS5_6ELb0ES3_mN6thrust23THRUST_200600_302600_NS6detail15normal_iteratorINSA_10device_ptrIxEEEEPS6_SG_NS0_5tupleIJSF_S6_EEENSH_IJSG_SG_EEES6_PlJNSB_9not_fun_tI7is_evenIxEEEEEE10hipError_tPvRmT3_T4_T5_T6_T7_T9_mT8_P12ihipStream_tbDpT10_ENKUlT_T0_E_clISt17integral_constantIbLb0EES17_IbLb1EEEEDaS13_S14_EUlS13_E_NS1_11comp_targetILNS1_3genE9ELNS1_11target_archE1100ELNS1_3gpuE3ELNS1_3repE0EEENS1_30default_config_static_selectorELNS0_4arch9wavefront6targetE0EEEvT1_,comdat
.Lfunc_end723:
	.size	_ZN7rocprim17ROCPRIM_400000_NS6detail17trampoline_kernelINS0_14default_configENS1_25partition_config_selectorILNS1_17partition_subalgoE6ExNS0_10empty_typeEbEEZZNS1_14partition_implILS5_6ELb0ES3_mN6thrust23THRUST_200600_302600_NS6detail15normal_iteratorINSA_10device_ptrIxEEEEPS6_SG_NS0_5tupleIJSF_S6_EEENSH_IJSG_SG_EEES6_PlJNSB_9not_fun_tI7is_evenIxEEEEEE10hipError_tPvRmT3_T4_T5_T6_T7_T9_mT8_P12ihipStream_tbDpT10_ENKUlT_T0_E_clISt17integral_constantIbLb0EES17_IbLb1EEEEDaS13_S14_EUlS13_E_NS1_11comp_targetILNS1_3genE9ELNS1_11target_archE1100ELNS1_3gpuE3ELNS1_3repE0EEENS1_30default_config_static_selectorELNS0_4arch9wavefront6targetE0EEEvT1_, .Lfunc_end723-_ZN7rocprim17ROCPRIM_400000_NS6detail17trampoline_kernelINS0_14default_configENS1_25partition_config_selectorILNS1_17partition_subalgoE6ExNS0_10empty_typeEbEEZZNS1_14partition_implILS5_6ELb0ES3_mN6thrust23THRUST_200600_302600_NS6detail15normal_iteratorINSA_10device_ptrIxEEEEPS6_SG_NS0_5tupleIJSF_S6_EEENSH_IJSG_SG_EEES6_PlJNSB_9not_fun_tI7is_evenIxEEEEEE10hipError_tPvRmT3_T4_T5_T6_T7_T9_mT8_P12ihipStream_tbDpT10_ENKUlT_T0_E_clISt17integral_constantIbLb0EES17_IbLb1EEEEDaS13_S14_EUlS13_E_NS1_11comp_targetILNS1_3genE9ELNS1_11target_archE1100ELNS1_3gpuE3ELNS1_3repE0EEENS1_30default_config_static_selectorELNS0_4arch9wavefront6targetE0EEEvT1_
                                        ; -- End function
	.set _ZN7rocprim17ROCPRIM_400000_NS6detail17trampoline_kernelINS0_14default_configENS1_25partition_config_selectorILNS1_17partition_subalgoE6ExNS0_10empty_typeEbEEZZNS1_14partition_implILS5_6ELb0ES3_mN6thrust23THRUST_200600_302600_NS6detail15normal_iteratorINSA_10device_ptrIxEEEEPS6_SG_NS0_5tupleIJSF_S6_EEENSH_IJSG_SG_EEES6_PlJNSB_9not_fun_tI7is_evenIxEEEEEE10hipError_tPvRmT3_T4_T5_T6_T7_T9_mT8_P12ihipStream_tbDpT10_ENKUlT_T0_E_clISt17integral_constantIbLb0EES17_IbLb1EEEEDaS13_S14_EUlS13_E_NS1_11comp_targetILNS1_3genE9ELNS1_11target_archE1100ELNS1_3gpuE3ELNS1_3repE0EEENS1_30default_config_static_selectorELNS0_4arch9wavefront6targetE0EEEvT1_.num_vgpr, 0
	.set _ZN7rocprim17ROCPRIM_400000_NS6detail17trampoline_kernelINS0_14default_configENS1_25partition_config_selectorILNS1_17partition_subalgoE6ExNS0_10empty_typeEbEEZZNS1_14partition_implILS5_6ELb0ES3_mN6thrust23THRUST_200600_302600_NS6detail15normal_iteratorINSA_10device_ptrIxEEEEPS6_SG_NS0_5tupleIJSF_S6_EEENSH_IJSG_SG_EEES6_PlJNSB_9not_fun_tI7is_evenIxEEEEEE10hipError_tPvRmT3_T4_T5_T6_T7_T9_mT8_P12ihipStream_tbDpT10_ENKUlT_T0_E_clISt17integral_constantIbLb0EES17_IbLb1EEEEDaS13_S14_EUlS13_E_NS1_11comp_targetILNS1_3genE9ELNS1_11target_archE1100ELNS1_3gpuE3ELNS1_3repE0EEENS1_30default_config_static_selectorELNS0_4arch9wavefront6targetE0EEEvT1_.num_agpr, 0
	.set _ZN7rocprim17ROCPRIM_400000_NS6detail17trampoline_kernelINS0_14default_configENS1_25partition_config_selectorILNS1_17partition_subalgoE6ExNS0_10empty_typeEbEEZZNS1_14partition_implILS5_6ELb0ES3_mN6thrust23THRUST_200600_302600_NS6detail15normal_iteratorINSA_10device_ptrIxEEEEPS6_SG_NS0_5tupleIJSF_S6_EEENSH_IJSG_SG_EEES6_PlJNSB_9not_fun_tI7is_evenIxEEEEEE10hipError_tPvRmT3_T4_T5_T6_T7_T9_mT8_P12ihipStream_tbDpT10_ENKUlT_T0_E_clISt17integral_constantIbLb0EES17_IbLb1EEEEDaS13_S14_EUlS13_E_NS1_11comp_targetILNS1_3genE9ELNS1_11target_archE1100ELNS1_3gpuE3ELNS1_3repE0EEENS1_30default_config_static_selectorELNS0_4arch9wavefront6targetE0EEEvT1_.numbered_sgpr, 0
	.set _ZN7rocprim17ROCPRIM_400000_NS6detail17trampoline_kernelINS0_14default_configENS1_25partition_config_selectorILNS1_17partition_subalgoE6ExNS0_10empty_typeEbEEZZNS1_14partition_implILS5_6ELb0ES3_mN6thrust23THRUST_200600_302600_NS6detail15normal_iteratorINSA_10device_ptrIxEEEEPS6_SG_NS0_5tupleIJSF_S6_EEENSH_IJSG_SG_EEES6_PlJNSB_9not_fun_tI7is_evenIxEEEEEE10hipError_tPvRmT3_T4_T5_T6_T7_T9_mT8_P12ihipStream_tbDpT10_ENKUlT_T0_E_clISt17integral_constantIbLb0EES17_IbLb1EEEEDaS13_S14_EUlS13_E_NS1_11comp_targetILNS1_3genE9ELNS1_11target_archE1100ELNS1_3gpuE3ELNS1_3repE0EEENS1_30default_config_static_selectorELNS0_4arch9wavefront6targetE0EEEvT1_.num_named_barrier, 0
	.set _ZN7rocprim17ROCPRIM_400000_NS6detail17trampoline_kernelINS0_14default_configENS1_25partition_config_selectorILNS1_17partition_subalgoE6ExNS0_10empty_typeEbEEZZNS1_14partition_implILS5_6ELb0ES3_mN6thrust23THRUST_200600_302600_NS6detail15normal_iteratorINSA_10device_ptrIxEEEEPS6_SG_NS0_5tupleIJSF_S6_EEENSH_IJSG_SG_EEES6_PlJNSB_9not_fun_tI7is_evenIxEEEEEE10hipError_tPvRmT3_T4_T5_T6_T7_T9_mT8_P12ihipStream_tbDpT10_ENKUlT_T0_E_clISt17integral_constantIbLb0EES17_IbLb1EEEEDaS13_S14_EUlS13_E_NS1_11comp_targetILNS1_3genE9ELNS1_11target_archE1100ELNS1_3gpuE3ELNS1_3repE0EEENS1_30default_config_static_selectorELNS0_4arch9wavefront6targetE0EEEvT1_.private_seg_size, 0
	.set _ZN7rocprim17ROCPRIM_400000_NS6detail17trampoline_kernelINS0_14default_configENS1_25partition_config_selectorILNS1_17partition_subalgoE6ExNS0_10empty_typeEbEEZZNS1_14partition_implILS5_6ELb0ES3_mN6thrust23THRUST_200600_302600_NS6detail15normal_iteratorINSA_10device_ptrIxEEEEPS6_SG_NS0_5tupleIJSF_S6_EEENSH_IJSG_SG_EEES6_PlJNSB_9not_fun_tI7is_evenIxEEEEEE10hipError_tPvRmT3_T4_T5_T6_T7_T9_mT8_P12ihipStream_tbDpT10_ENKUlT_T0_E_clISt17integral_constantIbLb0EES17_IbLb1EEEEDaS13_S14_EUlS13_E_NS1_11comp_targetILNS1_3genE9ELNS1_11target_archE1100ELNS1_3gpuE3ELNS1_3repE0EEENS1_30default_config_static_selectorELNS0_4arch9wavefront6targetE0EEEvT1_.uses_vcc, 0
	.set _ZN7rocprim17ROCPRIM_400000_NS6detail17trampoline_kernelINS0_14default_configENS1_25partition_config_selectorILNS1_17partition_subalgoE6ExNS0_10empty_typeEbEEZZNS1_14partition_implILS5_6ELb0ES3_mN6thrust23THRUST_200600_302600_NS6detail15normal_iteratorINSA_10device_ptrIxEEEEPS6_SG_NS0_5tupleIJSF_S6_EEENSH_IJSG_SG_EEES6_PlJNSB_9not_fun_tI7is_evenIxEEEEEE10hipError_tPvRmT3_T4_T5_T6_T7_T9_mT8_P12ihipStream_tbDpT10_ENKUlT_T0_E_clISt17integral_constantIbLb0EES17_IbLb1EEEEDaS13_S14_EUlS13_E_NS1_11comp_targetILNS1_3genE9ELNS1_11target_archE1100ELNS1_3gpuE3ELNS1_3repE0EEENS1_30default_config_static_selectorELNS0_4arch9wavefront6targetE0EEEvT1_.uses_flat_scratch, 0
	.set _ZN7rocprim17ROCPRIM_400000_NS6detail17trampoline_kernelINS0_14default_configENS1_25partition_config_selectorILNS1_17partition_subalgoE6ExNS0_10empty_typeEbEEZZNS1_14partition_implILS5_6ELb0ES3_mN6thrust23THRUST_200600_302600_NS6detail15normal_iteratorINSA_10device_ptrIxEEEEPS6_SG_NS0_5tupleIJSF_S6_EEENSH_IJSG_SG_EEES6_PlJNSB_9not_fun_tI7is_evenIxEEEEEE10hipError_tPvRmT3_T4_T5_T6_T7_T9_mT8_P12ihipStream_tbDpT10_ENKUlT_T0_E_clISt17integral_constantIbLb0EES17_IbLb1EEEEDaS13_S14_EUlS13_E_NS1_11comp_targetILNS1_3genE9ELNS1_11target_archE1100ELNS1_3gpuE3ELNS1_3repE0EEENS1_30default_config_static_selectorELNS0_4arch9wavefront6targetE0EEEvT1_.has_dyn_sized_stack, 0
	.set _ZN7rocprim17ROCPRIM_400000_NS6detail17trampoline_kernelINS0_14default_configENS1_25partition_config_selectorILNS1_17partition_subalgoE6ExNS0_10empty_typeEbEEZZNS1_14partition_implILS5_6ELb0ES3_mN6thrust23THRUST_200600_302600_NS6detail15normal_iteratorINSA_10device_ptrIxEEEEPS6_SG_NS0_5tupleIJSF_S6_EEENSH_IJSG_SG_EEES6_PlJNSB_9not_fun_tI7is_evenIxEEEEEE10hipError_tPvRmT3_T4_T5_T6_T7_T9_mT8_P12ihipStream_tbDpT10_ENKUlT_T0_E_clISt17integral_constantIbLb0EES17_IbLb1EEEEDaS13_S14_EUlS13_E_NS1_11comp_targetILNS1_3genE9ELNS1_11target_archE1100ELNS1_3gpuE3ELNS1_3repE0EEENS1_30default_config_static_selectorELNS0_4arch9wavefront6targetE0EEEvT1_.has_recursion, 0
	.set _ZN7rocprim17ROCPRIM_400000_NS6detail17trampoline_kernelINS0_14default_configENS1_25partition_config_selectorILNS1_17partition_subalgoE6ExNS0_10empty_typeEbEEZZNS1_14partition_implILS5_6ELb0ES3_mN6thrust23THRUST_200600_302600_NS6detail15normal_iteratorINSA_10device_ptrIxEEEEPS6_SG_NS0_5tupleIJSF_S6_EEENSH_IJSG_SG_EEES6_PlJNSB_9not_fun_tI7is_evenIxEEEEEE10hipError_tPvRmT3_T4_T5_T6_T7_T9_mT8_P12ihipStream_tbDpT10_ENKUlT_T0_E_clISt17integral_constantIbLb0EES17_IbLb1EEEEDaS13_S14_EUlS13_E_NS1_11comp_targetILNS1_3genE9ELNS1_11target_archE1100ELNS1_3gpuE3ELNS1_3repE0EEENS1_30default_config_static_selectorELNS0_4arch9wavefront6targetE0EEEvT1_.has_indirect_call, 0
	.section	.AMDGPU.csdata,"",@progbits
; Kernel info:
; codeLenInByte = 0
; TotalNumSgprs: 0
; NumVgprs: 0
; ScratchSize: 0
; MemoryBound: 0
; FloatMode: 240
; IeeeMode: 1
; LDSByteSize: 0 bytes/workgroup (compile time only)
; SGPRBlocks: 0
; VGPRBlocks: 0
; NumSGPRsForWavesPerEU: 1
; NumVGPRsForWavesPerEU: 1
; Occupancy: 16
; WaveLimiterHint : 0
; COMPUTE_PGM_RSRC2:SCRATCH_EN: 0
; COMPUTE_PGM_RSRC2:USER_SGPR: 2
; COMPUTE_PGM_RSRC2:TRAP_HANDLER: 0
; COMPUTE_PGM_RSRC2:TGID_X_EN: 1
; COMPUTE_PGM_RSRC2:TGID_Y_EN: 0
; COMPUTE_PGM_RSRC2:TGID_Z_EN: 0
; COMPUTE_PGM_RSRC2:TIDIG_COMP_CNT: 0
	.section	.text._ZN7rocprim17ROCPRIM_400000_NS6detail17trampoline_kernelINS0_14default_configENS1_25partition_config_selectorILNS1_17partition_subalgoE6ExNS0_10empty_typeEbEEZZNS1_14partition_implILS5_6ELb0ES3_mN6thrust23THRUST_200600_302600_NS6detail15normal_iteratorINSA_10device_ptrIxEEEEPS6_SG_NS0_5tupleIJSF_S6_EEENSH_IJSG_SG_EEES6_PlJNSB_9not_fun_tI7is_evenIxEEEEEE10hipError_tPvRmT3_T4_T5_T6_T7_T9_mT8_P12ihipStream_tbDpT10_ENKUlT_T0_E_clISt17integral_constantIbLb0EES17_IbLb1EEEEDaS13_S14_EUlS13_E_NS1_11comp_targetILNS1_3genE8ELNS1_11target_archE1030ELNS1_3gpuE2ELNS1_3repE0EEENS1_30default_config_static_selectorELNS0_4arch9wavefront6targetE0EEEvT1_,"axG",@progbits,_ZN7rocprim17ROCPRIM_400000_NS6detail17trampoline_kernelINS0_14default_configENS1_25partition_config_selectorILNS1_17partition_subalgoE6ExNS0_10empty_typeEbEEZZNS1_14partition_implILS5_6ELb0ES3_mN6thrust23THRUST_200600_302600_NS6detail15normal_iteratorINSA_10device_ptrIxEEEEPS6_SG_NS0_5tupleIJSF_S6_EEENSH_IJSG_SG_EEES6_PlJNSB_9not_fun_tI7is_evenIxEEEEEE10hipError_tPvRmT3_T4_T5_T6_T7_T9_mT8_P12ihipStream_tbDpT10_ENKUlT_T0_E_clISt17integral_constantIbLb0EES17_IbLb1EEEEDaS13_S14_EUlS13_E_NS1_11comp_targetILNS1_3genE8ELNS1_11target_archE1030ELNS1_3gpuE2ELNS1_3repE0EEENS1_30default_config_static_selectorELNS0_4arch9wavefront6targetE0EEEvT1_,comdat
	.protected	_ZN7rocprim17ROCPRIM_400000_NS6detail17trampoline_kernelINS0_14default_configENS1_25partition_config_selectorILNS1_17partition_subalgoE6ExNS0_10empty_typeEbEEZZNS1_14partition_implILS5_6ELb0ES3_mN6thrust23THRUST_200600_302600_NS6detail15normal_iteratorINSA_10device_ptrIxEEEEPS6_SG_NS0_5tupleIJSF_S6_EEENSH_IJSG_SG_EEES6_PlJNSB_9not_fun_tI7is_evenIxEEEEEE10hipError_tPvRmT3_T4_T5_T6_T7_T9_mT8_P12ihipStream_tbDpT10_ENKUlT_T0_E_clISt17integral_constantIbLb0EES17_IbLb1EEEEDaS13_S14_EUlS13_E_NS1_11comp_targetILNS1_3genE8ELNS1_11target_archE1030ELNS1_3gpuE2ELNS1_3repE0EEENS1_30default_config_static_selectorELNS0_4arch9wavefront6targetE0EEEvT1_ ; -- Begin function _ZN7rocprim17ROCPRIM_400000_NS6detail17trampoline_kernelINS0_14default_configENS1_25partition_config_selectorILNS1_17partition_subalgoE6ExNS0_10empty_typeEbEEZZNS1_14partition_implILS5_6ELb0ES3_mN6thrust23THRUST_200600_302600_NS6detail15normal_iteratorINSA_10device_ptrIxEEEEPS6_SG_NS0_5tupleIJSF_S6_EEENSH_IJSG_SG_EEES6_PlJNSB_9not_fun_tI7is_evenIxEEEEEE10hipError_tPvRmT3_T4_T5_T6_T7_T9_mT8_P12ihipStream_tbDpT10_ENKUlT_T0_E_clISt17integral_constantIbLb0EES17_IbLb1EEEEDaS13_S14_EUlS13_E_NS1_11comp_targetILNS1_3genE8ELNS1_11target_archE1030ELNS1_3gpuE2ELNS1_3repE0EEENS1_30default_config_static_selectorELNS0_4arch9wavefront6targetE0EEEvT1_
	.globl	_ZN7rocprim17ROCPRIM_400000_NS6detail17trampoline_kernelINS0_14default_configENS1_25partition_config_selectorILNS1_17partition_subalgoE6ExNS0_10empty_typeEbEEZZNS1_14partition_implILS5_6ELb0ES3_mN6thrust23THRUST_200600_302600_NS6detail15normal_iteratorINSA_10device_ptrIxEEEEPS6_SG_NS0_5tupleIJSF_S6_EEENSH_IJSG_SG_EEES6_PlJNSB_9not_fun_tI7is_evenIxEEEEEE10hipError_tPvRmT3_T4_T5_T6_T7_T9_mT8_P12ihipStream_tbDpT10_ENKUlT_T0_E_clISt17integral_constantIbLb0EES17_IbLb1EEEEDaS13_S14_EUlS13_E_NS1_11comp_targetILNS1_3genE8ELNS1_11target_archE1030ELNS1_3gpuE2ELNS1_3repE0EEENS1_30default_config_static_selectorELNS0_4arch9wavefront6targetE0EEEvT1_
	.p2align	8
	.type	_ZN7rocprim17ROCPRIM_400000_NS6detail17trampoline_kernelINS0_14default_configENS1_25partition_config_selectorILNS1_17partition_subalgoE6ExNS0_10empty_typeEbEEZZNS1_14partition_implILS5_6ELb0ES3_mN6thrust23THRUST_200600_302600_NS6detail15normal_iteratorINSA_10device_ptrIxEEEEPS6_SG_NS0_5tupleIJSF_S6_EEENSH_IJSG_SG_EEES6_PlJNSB_9not_fun_tI7is_evenIxEEEEEE10hipError_tPvRmT3_T4_T5_T6_T7_T9_mT8_P12ihipStream_tbDpT10_ENKUlT_T0_E_clISt17integral_constantIbLb0EES17_IbLb1EEEEDaS13_S14_EUlS13_E_NS1_11comp_targetILNS1_3genE8ELNS1_11target_archE1030ELNS1_3gpuE2ELNS1_3repE0EEENS1_30default_config_static_selectorELNS0_4arch9wavefront6targetE0EEEvT1_,@function
_ZN7rocprim17ROCPRIM_400000_NS6detail17trampoline_kernelINS0_14default_configENS1_25partition_config_selectorILNS1_17partition_subalgoE6ExNS0_10empty_typeEbEEZZNS1_14partition_implILS5_6ELb0ES3_mN6thrust23THRUST_200600_302600_NS6detail15normal_iteratorINSA_10device_ptrIxEEEEPS6_SG_NS0_5tupleIJSF_S6_EEENSH_IJSG_SG_EEES6_PlJNSB_9not_fun_tI7is_evenIxEEEEEE10hipError_tPvRmT3_T4_T5_T6_T7_T9_mT8_P12ihipStream_tbDpT10_ENKUlT_T0_E_clISt17integral_constantIbLb0EES17_IbLb1EEEEDaS13_S14_EUlS13_E_NS1_11comp_targetILNS1_3genE8ELNS1_11target_archE1030ELNS1_3gpuE2ELNS1_3repE0EEENS1_30default_config_static_selectorELNS0_4arch9wavefront6targetE0EEEvT1_: ; @_ZN7rocprim17ROCPRIM_400000_NS6detail17trampoline_kernelINS0_14default_configENS1_25partition_config_selectorILNS1_17partition_subalgoE6ExNS0_10empty_typeEbEEZZNS1_14partition_implILS5_6ELb0ES3_mN6thrust23THRUST_200600_302600_NS6detail15normal_iteratorINSA_10device_ptrIxEEEEPS6_SG_NS0_5tupleIJSF_S6_EEENSH_IJSG_SG_EEES6_PlJNSB_9not_fun_tI7is_evenIxEEEEEE10hipError_tPvRmT3_T4_T5_T6_T7_T9_mT8_P12ihipStream_tbDpT10_ENKUlT_T0_E_clISt17integral_constantIbLb0EES17_IbLb1EEEEDaS13_S14_EUlS13_E_NS1_11comp_targetILNS1_3genE8ELNS1_11target_archE1030ELNS1_3gpuE2ELNS1_3repE0EEENS1_30default_config_static_selectorELNS0_4arch9wavefront6targetE0EEEvT1_
; %bb.0:
	.section	.rodata,"a",@progbits
	.p2align	6, 0x0
	.amdhsa_kernel _ZN7rocprim17ROCPRIM_400000_NS6detail17trampoline_kernelINS0_14default_configENS1_25partition_config_selectorILNS1_17partition_subalgoE6ExNS0_10empty_typeEbEEZZNS1_14partition_implILS5_6ELb0ES3_mN6thrust23THRUST_200600_302600_NS6detail15normal_iteratorINSA_10device_ptrIxEEEEPS6_SG_NS0_5tupleIJSF_S6_EEENSH_IJSG_SG_EEES6_PlJNSB_9not_fun_tI7is_evenIxEEEEEE10hipError_tPvRmT3_T4_T5_T6_T7_T9_mT8_P12ihipStream_tbDpT10_ENKUlT_T0_E_clISt17integral_constantIbLb0EES17_IbLb1EEEEDaS13_S14_EUlS13_E_NS1_11comp_targetILNS1_3genE8ELNS1_11target_archE1030ELNS1_3gpuE2ELNS1_3repE0EEENS1_30default_config_static_selectorELNS0_4arch9wavefront6targetE0EEEvT1_
		.amdhsa_group_segment_fixed_size 0
		.amdhsa_private_segment_fixed_size 0
		.amdhsa_kernarg_size 128
		.amdhsa_user_sgpr_count 2
		.amdhsa_user_sgpr_dispatch_ptr 0
		.amdhsa_user_sgpr_queue_ptr 0
		.amdhsa_user_sgpr_kernarg_segment_ptr 1
		.amdhsa_user_sgpr_dispatch_id 0
		.amdhsa_user_sgpr_private_segment_size 0
		.amdhsa_wavefront_size32 1
		.amdhsa_uses_dynamic_stack 0
		.amdhsa_enable_private_segment 0
		.amdhsa_system_sgpr_workgroup_id_x 1
		.amdhsa_system_sgpr_workgroup_id_y 0
		.amdhsa_system_sgpr_workgroup_id_z 0
		.amdhsa_system_sgpr_workgroup_info 0
		.amdhsa_system_vgpr_workitem_id 0
		.amdhsa_next_free_vgpr 1
		.amdhsa_next_free_sgpr 1
		.amdhsa_reserve_vcc 0
		.amdhsa_float_round_mode_32 0
		.amdhsa_float_round_mode_16_64 0
		.amdhsa_float_denorm_mode_32 3
		.amdhsa_float_denorm_mode_16_64 3
		.amdhsa_fp16_overflow 0
		.amdhsa_workgroup_processor_mode 1
		.amdhsa_memory_ordered 1
		.amdhsa_forward_progress 1
		.amdhsa_inst_pref_size 0
		.amdhsa_round_robin_scheduling 0
		.amdhsa_exception_fp_ieee_invalid_op 0
		.amdhsa_exception_fp_denorm_src 0
		.amdhsa_exception_fp_ieee_div_zero 0
		.amdhsa_exception_fp_ieee_overflow 0
		.amdhsa_exception_fp_ieee_underflow 0
		.amdhsa_exception_fp_ieee_inexact 0
		.amdhsa_exception_int_div_zero 0
	.end_amdhsa_kernel
	.section	.text._ZN7rocprim17ROCPRIM_400000_NS6detail17trampoline_kernelINS0_14default_configENS1_25partition_config_selectorILNS1_17partition_subalgoE6ExNS0_10empty_typeEbEEZZNS1_14partition_implILS5_6ELb0ES3_mN6thrust23THRUST_200600_302600_NS6detail15normal_iteratorINSA_10device_ptrIxEEEEPS6_SG_NS0_5tupleIJSF_S6_EEENSH_IJSG_SG_EEES6_PlJNSB_9not_fun_tI7is_evenIxEEEEEE10hipError_tPvRmT3_T4_T5_T6_T7_T9_mT8_P12ihipStream_tbDpT10_ENKUlT_T0_E_clISt17integral_constantIbLb0EES17_IbLb1EEEEDaS13_S14_EUlS13_E_NS1_11comp_targetILNS1_3genE8ELNS1_11target_archE1030ELNS1_3gpuE2ELNS1_3repE0EEENS1_30default_config_static_selectorELNS0_4arch9wavefront6targetE0EEEvT1_,"axG",@progbits,_ZN7rocprim17ROCPRIM_400000_NS6detail17trampoline_kernelINS0_14default_configENS1_25partition_config_selectorILNS1_17partition_subalgoE6ExNS0_10empty_typeEbEEZZNS1_14partition_implILS5_6ELb0ES3_mN6thrust23THRUST_200600_302600_NS6detail15normal_iteratorINSA_10device_ptrIxEEEEPS6_SG_NS0_5tupleIJSF_S6_EEENSH_IJSG_SG_EEES6_PlJNSB_9not_fun_tI7is_evenIxEEEEEE10hipError_tPvRmT3_T4_T5_T6_T7_T9_mT8_P12ihipStream_tbDpT10_ENKUlT_T0_E_clISt17integral_constantIbLb0EES17_IbLb1EEEEDaS13_S14_EUlS13_E_NS1_11comp_targetILNS1_3genE8ELNS1_11target_archE1030ELNS1_3gpuE2ELNS1_3repE0EEENS1_30default_config_static_selectorELNS0_4arch9wavefront6targetE0EEEvT1_,comdat
.Lfunc_end724:
	.size	_ZN7rocprim17ROCPRIM_400000_NS6detail17trampoline_kernelINS0_14default_configENS1_25partition_config_selectorILNS1_17partition_subalgoE6ExNS0_10empty_typeEbEEZZNS1_14partition_implILS5_6ELb0ES3_mN6thrust23THRUST_200600_302600_NS6detail15normal_iteratorINSA_10device_ptrIxEEEEPS6_SG_NS0_5tupleIJSF_S6_EEENSH_IJSG_SG_EEES6_PlJNSB_9not_fun_tI7is_evenIxEEEEEE10hipError_tPvRmT3_T4_T5_T6_T7_T9_mT8_P12ihipStream_tbDpT10_ENKUlT_T0_E_clISt17integral_constantIbLb0EES17_IbLb1EEEEDaS13_S14_EUlS13_E_NS1_11comp_targetILNS1_3genE8ELNS1_11target_archE1030ELNS1_3gpuE2ELNS1_3repE0EEENS1_30default_config_static_selectorELNS0_4arch9wavefront6targetE0EEEvT1_, .Lfunc_end724-_ZN7rocprim17ROCPRIM_400000_NS6detail17trampoline_kernelINS0_14default_configENS1_25partition_config_selectorILNS1_17partition_subalgoE6ExNS0_10empty_typeEbEEZZNS1_14partition_implILS5_6ELb0ES3_mN6thrust23THRUST_200600_302600_NS6detail15normal_iteratorINSA_10device_ptrIxEEEEPS6_SG_NS0_5tupleIJSF_S6_EEENSH_IJSG_SG_EEES6_PlJNSB_9not_fun_tI7is_evenIxEEEEEE10hipError_tPvRmT3_T4_T5_T6_T7_T9_mT8_P12ihipStream_tbDpT10_ENKUlT_T0_E_clISt17integral_constantIbLb0EES17_IbLb1EEEEDaS13_S14_EUlS13_E_NS1_11comp_targetILNS1_3genE8ELNS1_11target_archE1030ELNS1_3gpuE2ELNS1_3repE0EEENS1_30default_config_static_selectorELNS0_4arch9wavefront6targetE0EEEvT1_
                                        ; -- End function
	.set _ZN7rocprim17ROCPRIM_400000_NS6detail17trampoline_kernelINS0_14default_configENS1_25partition_config_selectorILNS1_17partition_subalgoE6ExNS0_10empty_typeEbEEZZNS1_14partition_implILS5_6ELb0ES3_mN6thrust23THRUST_200600_302600_NS6detail15normal_iteratorINSA_10device_ptrIxEEEEPS6_SG_NS0_5tupleIJSF_S6_EEENSH_IJSG_SG_EEES6_PlJNSB_9not_fun_tI7is_evenIxEEEEEE10hipError_tPvRmT3_T4_T5_T6_T7_T9_mT8_P12ihipStream_tbDpT10_ENKUlT_T0_E_clISt17integral_constantIbLb0EES17_IbLb1EEEEDaS13_S14_EUlS13_E_NS1_11comp_targetILNS1_3genE8ELNS1_11target_archE1030ELNS1_3gpuE2ELNS1_3repE0EEENS1_30default_config_static_selectorELNS0_4arch9wavefront6targetE0EEEvT1_.num_vgpr, 0
	.set _ZN7rocprim17ROCPRIM_400000_NS6detail17trampoline_kernelINS0_14default_configENS1_25partition_config_selectorILNS1_17partition_subalgoE6ExNS0_10empty_typeEbEEZZNS1_14partition_implILS5_6ELb0ES3_mN6thrust23THRUST_200600_302600_NS6detail15normal_iteratorINSA_10device_ptrIxEEEEPS6_SG_NS0_5tupleIJSF_S6_EEENSH_IJSG_SG_EEES6_PlJNSB_9not_fun_tI7is_evenIxEEEEEE10hipError_tPvRmT3_T4_T5_T6_T7_T9_mT8_P12ihipStream_tbDpT10_ENKUlT_T0_E_clISt17integral_constantIbLb0EES17_IbLb1EEEEDaS13_S14_EUlS13_E_NS1_11comp_targetILNS1_3genE8ELNS1_11target_archE1030ELNS1_3gpuE2ELNS1_3repE0EEENS1_30default_config_static_selectorELNS0_4arch9wavefront6targetE0EEEvT1_.num_agpr, 0
	.set _ZN7rocprim17ROCPRIM_400000_NS6detail17trampoline_kernelINS0_14default_configENS1_25partition_config_selectorILNS1_17partition_subalgoE6ExNS0_10empty_typeEbEEZZNS1_14partition_implILS5_6ELb0ES3_mN6thrust23THRUST_200600_302600_NS6detail15normal_iteratorINSA_10device_ptrIxEEEEPS6_SG_NS0_5tupleIJSF_S6_EEENSH_IJSG_SG_EEES6_PlJNSB_9not_fun_tI7is_evenIxEEEEEE10hipError_tPvRmT3_T4_T5_T6_T7_T9_mT8_P12ihipStream_tbDpT10_ENKUlT_T0_E_clISt17integral_constantIbLb0EES17_IbLb1EEEEDaS13_S14_EUlS13_E_NS1_11comp_targetILNS1_3genE8ELNS1_11target_archE1030ELNS1_3gpuE2ELNS1_3repE0EEENS1_30default_config_static_selectorELNS0_4arch9wavefront6targetE0EEEvT1_.numbered_sgpr, 0
	.set _ZN7rocprim17ROCPRIM_400000_NS6detail17trampoline_kernelINS0_14default_configENS1_25partition_config_selectorILNS1_17partition_subalgoE6ExNS0_10empty_typeEbEEZZNS1_14partition_implILS5_6ELb0ES3_mN6thrust23THRUST_200600_302600_NS6detail15normal_iteratorINSA_10device_ptrIxEEEEPS6_SG_NS0_5tupleIJSF_S6_EEENSH_IJSG_SG_EEES6_PlJNSB_9not_fun_tI7is_evenIxEEEEEE10hipError_tPvRmT3_T4_T5_T6_T7_T9_mT8_P12ihipStream_tbDpT10_ENKUlT_T0_E_clISt17integral_constantIbLb0EES17_IbLb1EEEEDaS13_S14_EUlS13_E_NS1_11comp_targetILNS1_3genE8ELNS1_11target_archE1030ELNS1_3gpuE2ELNS1_3repE0EEENS1_30default_config_static_selectorELNS0_4arch9wavefront6targetE0EEEvT1_.num_named_barrier, 0
	.set _ZN7rocprim17ROCPRIM_400000_NS6detail17trampoline_kernelINS0_14default_configENS1_25partition_config_selectorILNS1_17partition_subalgoE6ExNS0_10empty_typeEbEEZZNS1_14partition_implILS5_6ELb0ES3_mN6thrust23THRUST_200600_302600_NS6detail15normal_iteratorINSA_10device_ptrIxEEEEPS6_SG_NS0_5tupleIJSF_S6_EEENSH_IJSG_SG_EEES6_PlJNSB_9not_fun_tI7is_evenIxEEEEEE10hipError_tPvRmT3_T4_T5_T6_T7_T9_mT8_P12ihipStream_tbDpT10_ENKUlT_T0_E_clISt17integral_constantIbLb0EES17_IbLb1EEEEDaS13_S14_EUlS13_E_NS1_11comp_targetILNS1_3genE8ELNS1_11target_archE1030ELNS1_3gpuE2ELNS1_3repE0EEENS1_30default_config_static_selectorELNS0_4arch9wavefront6targetE0EEEvT1_.private_seg_size, 0
	.set _ZN7rocprim17ROCPRIM_400000_NS6detail17trampoline_kernelINS0_14default_configENS1_25partition_config_selectorILNS1_17partition_subalgoE6ExNS0_10empty_typeEbEEZZNS1_14partition_implILS5_6ELb0ES3_mN6thrust23THRUST_200600_302600_NS6detail15normal_iteratorINSA_10device_ptrIxEEEEPS6_SG_NS0_5tupleIJSF_S6_EEENSH_IJSG_SG_EEES6_PlJNSB_9not_fun_tI7is_evenIxEEEEEE10hipError_tPvRmT3_T4_T5_T6_T7_T9_mT8_P12ihipStream_tbDpT10_ENKUlT_T0_E_clISt17integral_constantIbLb0EES17_IbLb1EEEEDaS13_S14_EUlS13_E_NS1_11comp_targetILNS1_3genE8ELNS1_11target_archE1030ELNS1_3gpuE2ELNS1_3repE0EEENS1_30default_config_static_selectorELNS0_4arch9wavefront6targetE0EEEvT1_.uses_vcc, 0
	.set _ZN7rocprim17ROCPRIM_400000_NS6detail17trampoline_kernelINS0_14default_configENS1_25partition_config_selectorILNS1_17partition_subalgoE6ExNS0_10empty_typeEbEEZZNS1_14partition_implILS5_6ELb0ES3_mN6thrust23THRUST_200600_302600_NS6detail15normal_iteratorINSA_10device_ptrIxEEEEPS6_SG_NS0_5tupleIJSF_S6_EEENSH_IJSG_SG_EEES6_PlJNSB_9not_fun_tI7is_evenIxEEEEEE10hipError_tPvRmT3_T4_T5_T6_T7_T9_mT8_P12ihipStream_tbDpT10_ENKUlT_T0_E_clISt17integral_constantIbLb0EES17_IbLb1EEEEDaS13_S14_EUlS13_E_NS1_11comp_targetILNS1_3genE8ELNS1_11target_archE1030ELNS1_3gpuE2ELNS1_3repE0EEENS1_30default_config_static_selectorELNS0_4arch9wavefront6targetE0EEEvT1_.uses_flat_scratch, 0
	.set _ZN7rocprim17ROCPRIM_400000_NS6detail17trampoline_kernelINS0_14default_configENS1_25partition_config_selectorILNS1_17partition_subalgoE6ExNS0_10empty_typeEbEEZZNS1_14partition_implILS5_6ELb0ES3_mN6thrust23THRUST_200600_302600_NS6detail15normal_iteratorINSA_10device_ptrIxEEEEPS6_SG_NS0_5tupleIJSF_S6_EEENSH_IJSG_SG_EEES6_PlJNSB_9not_fun_tI7is_evenIxEEEEEE10hipError_tPvRmT3_T4_T5_T6_T7_T9_mT8_P12ihipStream_tbDpT10_ENKUlT_T0_E_clISt17integral_constantIbLb0EES17_IbLb1EEEEDaS13_S14_EUlS13_E_NS1_11comp_targetILNS1_3genE8ELNS1_11target_archE1030ELNS1_3gpuE2ELNS1_3repE0EEENS1_30default_config_static_selectorELNS0_4arch9wavefront6targetE0EEEvT1_.has_dyn_sized_stack, 0
	.set _ZN7rocprim17ROCPRIM_400000_NS6detail17trampoline_kernelINS0_14default_configENS1_25partition_config_selectorILNS1_17partition_subalgoE6ExNS0_10empty_typeEbEEZZNS1_14partition_implILS5_6ELb0ES3_mN6thrust23THRUST_200600_302600_NS6detail15normal_iteratorINSA_10device_ptrIxEEEEPS6_SG_NS0_5tupleIJSF_S6_EEENSH_IJSG_SG_EEES6_PlJNSB_9not_fun_tI7is_evenIxEEEEEE10hipError_tPvRmT3_T4_T5_T6_T7_T9_mT8_P12ihipStream_tbDpT10_ENKUlT_T0_E_clISt17integral_constantIbLb0EES17_IbLb1EEEEDaS13_S14_EUlS13_E_NS1_11comp_targetILNS1_3genE8ELNS1_11target_archE1030ELNS1_3gpuE2ELNS1_3repE0EEENS1_30default_config_static_selectorELNS0_4arch9wavefront6targetE0EEEvT1_.has_recursion, 0
	.set _ZN7rocprim17ROCPRIM_400000_NS6detail17trampoline_kernelINS0_14default_configENS1_25partition_config_selectorILNS1_17partition_subalgoE6ExNS0_10empty_typeEbEEZZNS1_14partition_implILS5_6ELb0ES3_mN6thrust23THRUST_200600_302600_NS6detail15normal_iteratorINSA_10device_ptrIxEEEEPS6_SG_NS0_5tupleIJSF_S6_EEENSH_IJSG_SG_EEES6_PlJNSB_9not_fun_tI7is_evenIxEEEEEE10hipError_tPvRmT3_T4_T5_T6_T7_T9_mT8_P12ihipStream_tbDpT10_ENKUlT_T0_E_clISt17integral_constantIbLb0EES17_IbLb1EEEEDaS13_S14_EUlS13_E_NS1_11comp_targetILNS1_3genE8ELNS1_11target_archE1030ELNS1_3gpuE2ELNS1_3repE0EEENS1_30default_config_static_selectorELNS0_4arch9wavefront6targetE0EEEvT1_.has_indirect_call, 0
	.section	.AMDGPU.csdata,"",@progbits
; Kernel info:
; codeLenInByte = 0
; TotalNumSgprs: 0
; NumVgprs: 0
; ScratchSize: 0
; MemoryBound: 0
; FloatMode: 240
; IeeeMode: 1
; LDSByteSize: 0 bytes/workgroup (compile time only)
; SGPRBlocks: 0
; VGPRBlocks: 0
; NumSGPRsForWavesPerEU: 1
; NumVGPRsForWavesPerEU: 1
; Occupancy: 16
; WaveLimiterHint : 0
; COMPUTE_PGM_RSRC2:SCRATCH_EN: 0
; COMPUTE_PGM_RSRC2:USER_SGPR: 2
; COMPUTE_PGM_RSRC2:TRAP_HANDLER: 0
; COMPUTE_PGM_RSRC2:TGID_X_EN: 1
; COMPUTE_PGM_RSRC2:TGID_Y_EN: 0
; COMPUTE_PGM_RSRC2:TGID_Z_EN: 0
; COMPUTE_PGM_RSRC2:TIDIG_COMP_CNT: 0
	.section	.text._ZN7rocprim17ROCPRIM_400000_NS6detail17trampoline_kernelINS0_14default_configENS1_25partition_config_selectorILNS1_17partition_subalgoE6EiNS0_10empty_typeEbEEZZNS1_14partition_implILS5_6ELb0ES3_mN6thrust23THRUST_200600_302600_NS6detail15normal_iteratorINSA_10device_ptrIiEEEEPS6_SG_NS0_5tupleIJSF_S6_EEENSH_IJSG_SG_EEES6_PlJNSB_9not_fun_tI7is_evenIiEEEEEE10hipError_tPvRmT3_T4_T5_T6_T7_T9_mT8_P12ihipStream_tbDpT10_ENKUlT_T0_E_clISt17integral_constantIbLb0EES18_EEDaS13_S14_EUlS13_E_NS1_11comp_targetILNS1_3genE0ELNS1_11target_archE4294967295ELNS1_3gpuE0ELNS1_3repE0EEENS1_30default_config_static_selectorELNS0_4arch9wavefront6targetE0EEEvT1_,"axG",@progbits,_ZN7rocprim17ROCPRIM_400000_NS6detail17trampoline_kernelINS0_14default_configENS1_25partition_config_selectorILNS1_17partition_subalgoE6EiNS0_10empty_typeEbEEZZNS1_14partition_implILS5_6ELb0ES3_mN6thrust23THRUST_200600_302600_NS6detail15normal_iteratorINSA_10device_ptrIiEEEEPS6_SG_NS0_5tupleIJSF_S6_EEENSH_IJSG_SG_EEES6_PlJNSB_9not_fun_tI7is_evenIiEEEEEE10hipError_tPvRmT3_T4_T5_T6_T7_T9_mT8_P12ihipStream_tbDpT10_ENKUlT_T0_E_clISt17integral_constantIbLb0EES18_EEDaS13_S14_EUlS13_E_NS1_11comp_targetILNS1_3genE0ELNS1_11target_archE4294967295ELNS1_3gpuE0ELNS1_3repE0EEENS1_30default_config_static_selectorELNS0_4arch9wavefront6targetE0EEEvT1_,comdat
	.protected	_ZN7rocprim17ROCPRIM_400000_NS6detail17trampoline_kernelINS0_14default_configENS1_25partition_config_selectorILNS1_17partition_subalgoE6EiNS0_10empty_typeEbEEZZNS1_14partition_implILS5_6ELb0ES3_mN6thrust23THRUST_200600_302600_NS6detail15normal_iteratorINSA_10device_ptrIiEEEEPS6_SG_NS0_5tupleIJSF_S6_EEENSH_IJSG_SG_EEES6_PlJNSB_9not_fun_tI7is_evenIiEEEEEE10hipError_tPvRmT3_T4_T5_T6_T7_T9_mT8_P12ihipStream_tbDpT10_ENKUlT_T0_E_clISt17integral_constantIbLb0EES18_EEDaS13_S14_EUlS13_E_NS1_11comp_targetILNS1_3genE0ELNS1_11target_archE4294967295ELNS1_3gpuE0ELNS1_3repE0EEENS1_30default_config_static_selectorELNS0_4arch9wavefront6targetE0EEEvT1_ ; -- Begin function _ZN7rocprim17ROCPRIM_400000_NS6detail17trampoline_kernelINS0_14default_configENS1_25partition_config_selectorILNS1_17partition_subalgoE6EiNS0_10empty_typeEbEEZZNS1_14partition_implILS5_6ELb0ES3_mN6thrust23THRUST_200600_302600_NS6detail15normal_iteratorINSA_10device_ptrIiEEEEPS6_SG_NS0_5tupleIJSF_S6_EEENSH_IJSG_SG_EEES6_PlJNSB_9not_fun_tI7is_evenIiEEEEEE10hipError_tPvRmT3_T4_T5_T6_T7_T9_mT8_P12ihipStream_tbDpT10_ENKUlT_T0_E_clISt17integral_constantIbLb0EES18_EEDaS13_S14_EUlS13_E_NS1_11comp_targetILNS1_3genE0ELNS1_11target_archE4294967295ELNS1_3gpuE0ELNS1_3repE0EEENS1_30default_config_static_selectorELNS0_4arch9wavefront6targetE0EEEvT1_
	.globl	_ZN7rocprim17ROCPRIM_400000_NS6detail17trampoline_kernelINS0_14default_configENS1_25partition_config_selectorILNS1_17partition_subalgoE6EiNS0_10empty_typeEbEEZZNS1_14partition_implILS5_6ELb0ES3_mN6thrust23THRUST_200600_302600_NS6detail15normal_iteratorINSA_10device_ptrIiEEEEPS6_SG_NS0_5tupleIJSF_S6_EEENSH_IJSG_SG_EEES6_PlJNSB_9not_fun_tI7is_evenIiEEEEEE10hipError_tPvRmT3_T4_T5_T6_T7_T9_mT8_P12ihipStream_tbDpT10_ENKUlT_T0_E_clISt17integral_constantIbLb0EES18_EEDaS13_S14_EUlS13_E_NS1_11comp_targetILNS1_3genE0ELNS1_11target_archE4294967295ELNS1_3gpuE0ELNS1_3repE0EEENS1_30default_config_static_selectorELNS0_4arch9wavefront6targetE0EEEvT1_
	.p2align	8
	.type	_ZN7rocprim17ROCPRIM_400000_NS6detail17trampoline_kernelINS0_14default_configENS1_25partition_config_selectorILNS1_17partition_subalgoE6EiNS0_10empty_typeEbEEZZNS1_14partition_implILS5_6ELb0ES3_mN6thrust23THRUST_200600_302600_NS6detail15normal_iteratorINSA_10device_ptrIiEEEEPS6_SG_NS0_5tupleIJSF_S6_EEENSH_IJSG_SG_EEES6_PlJNSB_9not_fun_tI7is_evenIiEEEEEE10hipError_tPvRmT3_T4_T5_T6_T7_T9_mT8_P12ihipStream_tbDpT10_ENKUlT_T0_E_clISt17integral_constantIbLb0EES18_EEDaS13_S14_EUlS13_E_NS1_11comp_targetILNS1_3genE0ELNS1_11target_archE4294967295ELNS1_3gpuE0ELNS1_3repE0EEENS1_30default_config_static_selectorELNS0_4arch9wavefront6targetE0EEEvT1_,@function
_ZN7rocprim17ROCPRIM_400000_NS6detail17trampoline_kernelINS0_14default_configENS1_25partition_config_selectorILNS1_17partition_subalgoE6EiNS0_10empty_typeEbEEZZNS1_14partition_implILS5_6ELb0ES3_mN6thrust23THRUST_200600_302600_NS6detail15normal_iteratorINSA_10device_ptrIiEEEEPS6_SG_NS0_5tupleIJSF_S6_EEENSH_IJSG_SG_EEES6_PlJNSB_9not_fun_tI7is_evenIiEEEEEE10hipError_tPvRmT3_T4_T5_T6_T7_T9_mT8_P12ihipStream_tbDpT10_ENKUlT_T0_E_clISt17integral_constantIbLb0EES18_EEDaS13_S14_EUlS13_E_NS1_11comp_targetILNS1_3genE0ELNS1_11target_archE4294967295ELNS1_3gpuE0ELNS1_3repE0EEENS1_30default_config_static_selectorELNS0_4arch9wavefront6targetE0EEEvT1_: ; @_ZN7rocprim17ROCPRIM_400000_NS6detail17trampoline_kernelINS0_14default_configENS1_25partition_config_selectorILNS1_17partition_subalgoE6EiNS0_10empty_typeEbEEZZNS1_14partition_implILS5_6ELb0ES3_mN6thrust23THRUST_200600_302600_NS6detail15normal_iteratorINSA_10device_ptrIiEEEEPS6_SG_NS0_5tupleIJSF_S6_EEENSH_IJSG_SG_EEES6_PlJNSB_9not_fun_tI7is_evenIiEEEEEE10hipError_tPvRmT3_T4_T5_T6_T7_T9_mT8_P12ihipStream_tbDpT10_ENKUlT_T0_E_clISt17integral_constantIbLb0EES18_EEDaS13_S14_EUlS13_E_NS1_11comp_targetILNS1_3genE0ELNS1_11target_archE4294967295ELNS1_3gpuE0ELNS1_3repE0EEENS1_30default_config_static_selectorELNS0_4arch9wavefront6targetE0EEEvT1_
; %bb.0:
	.section	.rodata,"a",@progbits
	.p2align	6, 0x0
	.amdhsa_kernel _ZN7rocprim17ROCPRIM_400000_NS6detail17trampoline_kernelINS0_14default_configENS1_25partition_config_selectorILNS1_17partition_subalgoE6EiNS0_10empty_typeEbEEZZNS1_14partition_implILS5_6ELb0ES3_mN6thrust23THRUST_200600_302600_NS6detail15normal_iteratorINSA_10device_ptrIiEEEEPS6_SG_NS0_5tupleIJSF_S6_EEENSH_IJSG_SG_EEES6_PlJNSB_9not_fun_tI7is_evenIiEEEEEE10hipError_tPvRmT3_T4_T5_T6_T7_T9_mT8_P12ihipStream_tbDpT10_ENKUlT_T0_E_clISt17integral_constantIbLb0EES18_EEDaS13_S14_EUlS13_E_NS1_11comp_targetILNS1_3genE0ELNS1_11target_archE4294967295ELNS1_3gpuE0ELNS1_3repE0EEENS1_30default_config_static_selectorELNS0_4arch9wavefront6targetE0EEEvT1_
		.amdhsa_group_segment_fixed_size 0
		.amdhsa_private_segment_fixed_size 0
		.amdhsa_kernarg_size 112
		.amdhsa_user_sgpr_count 2
		.amdhsa_user_sgpr_dispatch_ptr 0
		.amdhsa_user_sgpr_queue_ptr 0
		.amdhsa_user_sgpr_kernarg_segment_ptr 1
		.amdhsa_user_sgpr_dispatch_id 0
		.amdhsa_user_sgpr_private_segment_size 0
		.amdhsa_wavefront_size32 1
		.amdhsa_uses_dynamic_stack 0
		.amdhsa_enable_private_segment 0
		.amdhsa_system_sgpr_workgroup_id_x 1
		.amdhsa_system_sgpr_workgroup_id_y 0
		.amdhsa_system_sgpr_workgroup_id_z 0
		.amdhsa_system_sgpr_workgroup_info 0
		.amdhsa_system_vgpr_workitem_id 0
		.amdhsa_next_free_vgpr 1
		.amdhsa_next_free_sgpr 1
		.amdhsa_reserve_vcc 0
		.amdhsa_float_round_mode_32 0
		.amdhsa_float_round_mode_16_64 0
		.amdhsa_float_denorm_mode_32 3
		.amdhsa_float_denorm_mode_16_64 3
		.amdhsa_fp16_overflow 0
		.amdhsa_workgroup_processor_mode 1
		.amdhsa_memory_ordered 1
		.amdhsa_forward_progress 1
		.amdhsa_inst_pref_size 0
		.amdhsa_round_robin_scheduling 0
		.amdhsa_exception_fp_ieee_invalid_op 0
		.amdhsa_exception_fp_denorm_src 0
		.amdhsa_exception_fp_ieee_div_zero 0
		.amdhsa_exception_fp_ieee_overflow 0
		.amdhsa_exception_fp_ieee_underflow 0
		.amdhsa_exception_fp_ieee_inexact 0
		.amdhsa_exception_int_div_zero 0
	.end_amdhsa_kernel
	.section	.text._ZN7rocprim17ROCPRIM_400000_NS6detail17trampoline_kernelINS0_14default_configENS1_25partition_config_selectorILNS1_17partition_subalgoE6EiNS0_10empty_typeEbEEZZNS1_14partition_implILS5_6ELb0ES3_mN6thrust23THRUST_200600_302600_NS6detail15normal_iteratorINSA_10device_ptrIiEEEEPS6_SG_NS0_5tupleIJSF_S6_EEENSH_IJSG_SG_EEES6_PlJNSB_9not_fun_tI7is_evenIiEEEEEE10hipError_tPvRmT3_T4_T5_T6_T7_T9_mT8_P12ihipStream_tbDpT10_ENKUlT_T0_E_clISt17integral_constantIbLb0EES18_EEDaS13_S14_EUlS13_E_NS1_11comp_targetILNS1_3genE0ELNS1_11target_archE4294967295ELNS1_3gpuE0ELNS1_3repE0EEENS1_30default_config_static_selectorELNS0_4arch9wavefront6targetE0EEEvT1_,"axG",@progbits,_ZN7rocprim17ROCPRIM_400000_NS6detail17trampoline_kernelINS0_14default_configENS1_25partition_config_selectorILNS1_17partition_subalgoE6EiNS0_10empty_typeEbEEZZNS1_14partition_implILS5_6ELb0ES3_mN6thrust23THRUST_200600_302600_NS6detail15normal_iteratorINSA_10device_ptrIiEEEEPS6_SG_NS0_5tupleIJSF_S6_EEENSH_IJSG_SG_EEES6_PlJNSB_9not_fun_tI7is_evenIiEEEEEE10hipError_tPvRmT3_T4_T5_T6_T7_T9_mT8_P12ihipStream_tbDpT10_ENKUlT_T0_E_clISt17integral_constantIbLb0EES18_EEDaS13_S14_EUlS13_E_NS1_11comp_targetILNS1_3genE0ELNS1_11target_archE4294967295ELNS1_3gpuE0ELNS1_3repE0EEENS1_30default_config_static_selectorELNS0_4arch9wavefront6targetE0EEEvT1_,comdat
.Lfunc_end725:
	.size	_ZN7rocprim17ROCPRIM_400000_NS6detail17trampoline_kernelINS0_14default_configENS1_25partition_config_selectorILNS1_17partition_subalgoE6EiNS0_10empty_typeEbEEZZNS1_14partition_implILS5_6ELb0ES3_mN6thrust23THRUST_200600_302600_NS6detail15normal_iteratorINSA_10device_ptrIiEEEEPS6_SG_NS0_5tupleIJSF_S6_EEENSH_IJSG_SG_EEES6_PlJNSB_9not_fun_tI7is_evenIiEEEEEE10hipError_tPvRmT3_T4_T5_T6_T7_T9_mT8_P12ihipStream_tbDpT10_ENKUlT_T0_E_clISt17integral_constantIbLb0EES18_EEDaS13_S14_EUlS13_E_NS1_11comp_targetILNS1_3genE0ELNS1_11target_archE4294967295ELNS1_3gpuE0ELNS1_3repE0EEENS1_30default_config_static_selectorELNS0_4arch9wavefront6targetE0EEEvT1_, .Lfunc_end725-_ZN7rocprim17ROCPRIM_400000_NS6detail17trampoline_kernelINS0_14default_configENS1_25partition_config_selectorILNS1_17partition_subalgoE6EiNS0_10empty_typeEbEEZZNS1_14partition_implILS5_6ELb0ES3_mN6thrust23THRUST_200600_302600_NS6detail15normal_iteratorINSA_10device_ptrIiEEEEPS6_SG_NS0_5tupleIJSF_S6_EEENSH_IJSG_SG_EEES6_PlJNSB_9not_fun_tI7is_evenIiEEEEEE10hipError_tPvRmT3_T4_T5_T6_T7_T9_mT8_P12ihipStream_tbDpT10_ENKUlT_T0_E_clISt17integral_constantIbLb0EES18_EEDaS13_S14_EUlS13_E_NS1_11comp_targetILNS1_3genE0ELNS1_11target_archE4294967295ELNS1_3gpuE0ELNS1_3repE0EEENS1_30default_config_static_selectorELNS0_4arch9wavefront6targetE0EEEvT1_
                                        ; -- End function
	.set _ZN7rocprim17ROCPRIM_400000_NS6detail17trampoline_kernelINS0_14default_configENS1_25partition_config_selectorILNS1_17partition_subalgoE6EiNS0_10empty_typeEbEEZZNS1_14partition_implILS5_6ELb0ES3_mN6thrust23THRUST_200600_302600_NS6detail15normal_iteratorINSA_10device_ptrIiEEEEPS6_SG_NS0_5tupleIJSF_S6_EEENSH_IJSG_SG_EEES6_PlJNSB_9not_fun_tI7is_evenIiEEEEEE10hipError_tPvRmT3_T4_T5_T6_T7_T9_mT8_P12ihipStream_tbDpT10_ENKUlT_T0_E_clISt17integral_constantIbLb0EES18_EEDaS13_S14_EUlS13_E_NS1_11comp_targetILNS1_3genE0ELNS1_11target_archE4294967295ELNS1_3gpuE0ELNS1_3repE0EEENS1_30default_config_static_selectorELNS0_4arch9wavefront6targetE0EEEvT1_.num_vgpr, 0
	.set _ZN7rocprim17ROCPRIM_400000_NS6detail17trampoline_kernelINS0_14default_configENS1_25partition_config_selectorILNS1_17partition_subalgoE6EiNS0_10empty_typeEbEEZZNS1_14partition_implILS5_6ELb0ES3_mN6thrust23THRUST_200600_302600_NS6detail15normal_iteratorINSA_10device_ptrIiEEEEPS6_SG_NS0_5tupleIJSF_S6_EEENSH_IJSG_SG_EEES6_PlJNSB_9not_fun_tI7is_evenIiEEEEEE10hipError_tPvRmT3_T4_T5_T6_T7_T9_mT8_P12ihipStream_tbDpT10_ENKUlT_T0_E_clISt17integral_constantIbLb0EES18_EEDaS13_S14_EUlS13_E_NS1_11comp_targetILNS1_3genE0ELNS1_11target_archE4294967295ELNS1_3gpuE0ELNS1_3repE0EEENS1_30default_config_static_selectorELNS0_4arch9wavefront6targetE0EEEvT1_.num_agpr, 0
	.set _ZN7rocprim17ROCPRIM_400000_NS6detail17trampoline_kernelINS0_14default_configENS1_25partition_config_selectorILNS1_17partition_subalgoE6EiNS0_10empty_typeEbEEZZNS1_14partition_implILS5_6ELb0ES3_mN6thrust23THRUST_200600_302600_NS6detail15normal_iteratorINSA_10device_ptrIiEEEEPS6_SG_NS0_5tupleIJSF_S6_EEENSH_IJSG_SG_EEES6_PlJNSB_9not_fun_tI7is_evenIiEEEEEE10hipError_tPvRmT3_T4_T5_T6_T7_T9_mT8_P12ihipStream_tbDpT10_ENKUlT_T0_E_clISt17integral_constantIbLb0EES18_EEDaS13_S14_EUlS13_E_NS1_11comp_targetILNS1_3genE0ELNS1_11target_archE4294967295ELNS1_3gpuE0ELNS1_3repE0EEENS1_30default_config_static_selectorELNS0_4arch9wavefront6targetE0EEEvT1_.numbered_sgpr, 0
	.set _ZN7rocprim17ROCPRIM_400000_NS6detail17trampoline_kernelINS0_14default_configENS1_25partition_config_selectorILNS1_17partition_subalgoE6EiNS0_10empty_typeEbEEZZNS1_14partition_implILS5_6ELb0ES3_mN6thrust23THRUST_200600_302600_NS6detail15normal_iteratorINSA_10device_ptrIiEEEEPS6_SG_NS0_5tupleIJSF_S6_EEENSH_IJSG_SG_EEES6_PlJNSB_9not_fun_tI7is_evenIiEEEEEE10hipError_tPvRmT3_T4_T5_T6_T7_T9_mT8_P12ihipStream_tbDpT10_ENKUlT_T0_E_clISt17integral_constantIbLb0EES18_EEDaS13_S14_EUlS13_E_NS1_11comp_targetILNS1_3genE0ELNS1_11target_archE4294967295ELNS1_3gpuE0ELNS1_3repE0EEENS1_30default_config_static_selectorELNS0_4arch9wavefront6targetE0EEEvT1_.num_named_barrier, 0
	.set _ZN7rocprim17ROCPRIM_400000_NS6detail17trampoline_kernelINS0_14default_configENS1_25partition_config_selectorILNS1_17partition_subalgoE6EiNS0_10empty_typeEbEEZZNS1_14partition_implILS5_6ELb0ES3_mN6thrust23THRUST_200600_302600_NS6detail15normal_iteratorINSA_10device_ptrIiEEEEPS6_SG_NS0_5tupleIJSF_S6_EEENSH_IJSG_SG_EEES6_PlJNSB_9not_fun_tI7is_evenIiEEEEEE10hipError_tPvRmT3_T4_T5_T6_T7_T9_mT8_P12ihipStream_tbDpT10_ENKUlT_T0_E_clISt17integral_constantIbLb0EES18_EEDaS13_S14_EUlS13_E_NS1_11comp_targetILNS1_3genE0ELNS1_11target_archE4294967295ELNS1_3gpuE0ELNS1_3repE0EEENS1_30default_config_static_selectorELNS0_4arch9wavefront6targetE0EEEvT1_.private_seg_size, 0
	.set _ZN7rocprim17ROCPRIM_400000_NS6detail17trampoline_kernelINS0_14default_configENS1_25partition_config_selectorILNS1_17partition_subalgoE6EiNS0_10empty_typeEbEEZZNS1_14partition_implILS5_6ELb0ES3_mN6thrust23THRUST_200600_302600_NS6detail15normal_iteratorINSA_10device_ptrIiEEEEPS6_SG_NS0_5tupleIJSF_S6_EEENSH_IJSG_SG_EEES6_PlJNSB_9not_fun_tI7is_evenIiEEEEEE10hipError_tPvRmT3_T4_T5_T6_T7_T9_mT8_P12ihipStream_tbDpT10_ENKUlT_T0_E_clISt17integral_constantIbLb0EES18_EEDaS13_S14_EUlS13_E_NS1_11comp_targetILNS1_3genE0ELNS1_11target_archE4294967295ELNS1_3gpuE0ELNS1_3repE0EEENS1_30default_config_static_selectorELNS0_4arch9wavefront6targetE0EEEvT1_.uses_vcc, 0
	.set _ZN7rocprim17ROCPRIM_400000_NS6detail17trampoline_kernelINS0_14default_configENS1_25partition_config_selectorILNS1_17partition_subalgoE6EiNS0_10empty_typeEbEEZZNS1_14partition_implILS5_6ELb0ES3_mN6thrust23THRUST_200600_302600_NS6detail15normal_iteratorINSA_10device_ptrIiEEEEPS6_SG_NS0_5tupleIJSF_S6_EEENSH_IJSG_SG_EEES6_PlJNSB_9not_fun_tI7is_evenIiEEEEEE10hipError_tPvRmT3_T4_T5_T6_T7_T9_mT8_P12ihipStream_tbDpT10_ENKUlT_T0_E_clISt17integral_constantIbLb0EES18_EEDaS13_S14_EUlS13_E_NS1_11comp_targetILNS1_3genE0ELNS1_11target_archE4294967295ELNS1_3gpuE0ELNS1_3repE0EEENS1_30default_config_static_selectorELNS0_4arch9wavefront6targetE0EEEvT1_.uses_flat_scratch, 0
	.set _ZN7rocprim17ROCPRIM_400000_NS6detail17trampoline_kernelINS0_14default_configENS1_25partition_config_selectorILNS1_17partition_subalgoE6EiNS0_10empty_typeEbEEZZNS1_14partition_implILS5_6ELb0ES3_mN6thrust23THRUST_200600_302600_NS6detail15normal_iteratorINSA_10device_ptrIiEEEEPS6_SG_NS0_5tupleIJSF_S6_EEENSH_IJSG_SG_EEES6_PlJNSB_9not_fun_tI7is_evenIiEEEEEE10hipError_tPvRmT3_T4_T5_T6_T7_T9_mT8_P12ihipStream_tbDpT10_ENKUlT_T0_E_clISt17integral_constantIbLb0EES18_EEDaS13_S14_EUlS13_E_NS1_11comp_targetILNS1_3genE0ELNS1_11target_archE4294967295ELNS1_3gpuE0ELNS1_3repE0EEENS1_30default_config_static_selectorELNS0_4arch9wavefront6targetE0EEEvT1_.has_dyn_sized_stack, 0
	.set _ZN7rocprim17ROCPRIM_400000_NS6detail17trampoline_kernelINS0_14default_configENS1_25partition_config_selectorILNS1_17partition_subalgoE6EiNS0_10empty_typeEbEEZZNS1_14partition_implILS5_6ELb0ES3_mN6thrust23THRUST_200600_302600_NS6detail15normal_iteratorINSA_10device_ptrIiEEEEPS6_SG_NS0_5tupleIJSF_S6_EEENSH_IJSG_SG_EEES6_PlJNSB_9not_fun_tI7is_evenIiEEEEEE10hipError_tPvRmT3_T4_T5_T6_T7_T9_mT8_P12ihipStream_tbDpT10_ENKUlT_T0_E_clISt17integral_constantIbLb0EES18_EEDaS13_S14_EUlS13_E_NS1_11comp_targetILNS1_3genE0ELNS1_11target_archE4294967295ELNS1_3gpuE0ELNS1_3repE0EEENS1_30default_config_static_selectorELNS0_4arch9wavefront6targetE0EEEvT1_.has_recursion, 0
	.set _ZN7rocprim17ROCPRIM_400000_NS6detail17trampoline_kernelINS0_14default_configENS1_25partition_config_selectorILNS1_17partition_subalgoE6EiNS0_10empty_typeEbEEZZNS1_14partition_implILS5_6ELb0ES3_mN6thrust23THRUST_200600_302600_NS6detail15normal_iteratorINSA_10device_ptrIiEEEEPS6_SG_NS0_5tupleIJSF_S6_EEENSH_IJSG_SG_EEES6_PlJNSB_9not_fun_tI7is_evenIiEEEEEE10hipError_tPvRmT3_T4_T5_T6_T7_T9_mT8_P12ihipStream_tbDpT10_ENKUlT_T0_E_clISt17integral_constantIbLb0EES18_EEDaS13_S14_EUlS13_E_NS1_11comp_targetILNS1_3genE0ELNS1_11target_archE4294967295ELNS1_3gpuE0ELNS1_3repE0EEENS1_30default_config_static_selectorELNS0_4arch9wavefront6targetE0EEEvT1_.has_indirect_call, 0
	.section	.AMDGPU.csdata,"",@progbits
; Kernel info:
; codeLenInByte = 0
; TotalNumSgprs: 0
; NumVgprs: 0
; ScratchSize: 0
; MemoryBound: 0
; FloatMode: 240
; IeeeMode: 1
; LDSByteSize: 0 bytes/workgroup (compile time only)
; SGPRBlocks: 0
; VGPRBlocks: 0
; NumSGPRsForWavesPerEU: 1
; NumVGPRsForWavesPerEU: 1
; Occupancy: 16
; WaveLimiterHint : 0
; COMPUTE_PGM_RSRC2:SCRATCH_EN: 0
; COMPUTE_PGM_RSRC2:USER_SGPR: 2
; COMPUTE_PGM_RSRC2:TRAP_HANDLER: 0
; COMPUTE_PGM_RSRC2:TGID_X_EN: 1
; COMPUTE_PGM_RSRC2:TGID_Y_EN: 0
; COMPUTE_PGM_RSRC2:TGID_Z_EN: 0
; COMPUTE_PGM_RSRC2:TIDIG_COMP_CNT: 0
	.section	.text._ZN7rocprim17ROCPRIM_400000_NS6detail17trampoline_kernelINS0_14default_configENS1_25partition_config_selectorILNS1_17partition_subalgoE6EiNS0_10empty_typeEbEEZZNS1_14partition_implILS5_6ELb0ES3_mN6thrust23THRUST_200600_302600_NS6detail15normal_iteratorINSA_10device_ptrIiEEEEPS6_SG_NS0_5tupleIJSF_S6_EEENSH_IJSG_SG_EEES6_PlJNSB_9not_fun_tI7is_evenIiEEEEEE10hipError_tPvRmT3_T4_T5_T6_T7_T9_mT8_P12ihipStream_tbDpT10_ENKUlT_T0_E_clISt17integral_constantIbLb0EES18_EEDaS13_S14_EUlS13_E_NS1_11comp_targetILNS1_3genE5ELNS1_11target_archE942ELNS1_3gpuE9ELNS1_3repE0EEENS1_30default_config_static_selectorELNS0_4arch9wavefront6targetE0EEEvT1_,"axG",@progbits,_ZN7rocprim17ROCPRIM_400000_NS6detail17trampoline_kernelINS0_14default_configENS1_25partition_config_selectorILNS1_17partition_subalgoE6EiNS0_10empty_typeEbEEZZNS1_14partition_implILS5_6ELb0ES3_mN6thrust23THRUST_200600_302600_NS6detail15normal_iteratorINSA_10device_ptrIiEEEEPS6_SG_NS0_5tupleIJSF_S6_EEENSH_IJSG_SG_EEES6_PlJNSB_9not_fun_tI7is_evenIiEEEEEE10hipError_tPvRmT3_T4_T5_T6_T7_T9_mT8_P12ihipStream_tbDpT10_ENKUlT_T0_E_clISt17integral_constantIbLb0EES18_EEDaS13_S14_EUlS13_E_NS1_11comp_targetILNS1_3genE5ELNS1_11target_archE942ELNS1_3gpuE9ELNS1_3repE0EEENS1_30default_config_static_selectorELNS0_4arch9wavefront6targetE0EEEvT1_,comdat
	.protected	_ZN7rocprim17ROCPRIM_400000_NS6detail17trampoline_kernelINS0_14default_configENS1_25partition_config_selectorILNS1_17partition_subalgoE6EiNS0_10empty_typeEbEEZZNS1_14partition_implILS5_6ELb0ES3_mN6thrust23THRUST_200600_302600_NS6detail15normal_iteratorINSA_10device_ptrIiEEEEPS6_SG_NS0_5tupleIJSF_S6_EEENSH_IJSG_SG_EEES6_PlJNSB_9not_fun_tI7is_evenIiEEEEEE10hipError_tPvRmT3_T4_T5_T6_T7_T9_mT8_P12ihipStream_tbDpT10_ENKUlT_T0_E_clISt17integral_constantIbLb0EES18_EEDaS13_S14_EUlS13_E_NS1_11comp_targetILNS1_3genE5ELNS1_11target_archE942ELNS1_3gpuE9ELNS1_3repE0EEENS1_30default_config_static_selectorELNS0_4arch9wavefront6targetE0EEEvT1_ ; -- Begin function _ZN7rocprim17ROCPRIM_400000_NS6detail17trampoline_kernelINS0_14default_configENS1_25partition_config_selectorILNS1_17partition_subalgoE6EiNS0_10empty_typeEbEEZZNS1_14partition_implILS5_6ELb0ES3_mN6thrust23THRUST_200600_302600_NS6detail15normal_iteratorINSA_10device_ptrIiEEEEPS6_SG_NS0_5tupleIJSF_S6_EEENSH_IJSG_SG_EEES6_PlJNSB_9not_fun_tI7is_evenIiEEEEEE10hipError_tPvRmT3_T4_T5_T6_T7_T9_mT8_P12ihipStream_tbDpT10_ENKUlT_T0_E_clISt17integral_constantIbLb0EES18_EEDaS13_S14_EUlS13_E_NS1_11comp_targetILNS1_3genE5ELNS1_11target_archE942ELNS1_3gpuE9ELNS1_3repE0EEENS1_30default_config_static_selectorELNS0_4arch9wavefront6targetE0EEEvT1_
	.globl	_ZN7rocprim17ROCPRIM_400000_NS6detail17trampoline_kernelINS0_14default_configENS1_25partition_config_selectorILNS1_17partition_subalgoE6EiNS0_10empty_typeEbEEZZNS1_14partition_implILS5_6ELb0ES3_mN6thrust23THRUST_200600_302600_NS6detail15normal_iteratorINSA_10device_ptrIiEEEEPS6_SG_NS0_5tupleIJSF_S6_EEENSH_IJSG_SG_EEES6_PlJNSB_9not_fun_tI7is_evenIiEEEEEE10hipError_tPvRmT3_T4_T5_T6_T7_T9_mT8_P12ihipStream_tbDpT10_ENKUlT_T0_E_clISt17integral_constantIbLb0EES18_EEDaS13_S14_EUlS13_E_NS1_11comp_targetILNS1_3genE5ELNS1_11target_archE942ELNS1_3gpuE9ELNS1_3repE0EEENS1_30default_config_static_selectorELNS0_4arch9wavefront6targetE0EEEvT1_
	.p2align	8
	.type	_ZN7rocprim17ROCPRIM_400000_NS6detail17trampoline_kernelINS0_14default_configENS1_25partition_config_selectorILNS1_17partition_subalgoE6EiNS0_10empty_typeEbEEZZNS1_14partition_implILS5_6ELb0ES3_mN6thrust23THRUST_200600_302600_NS6detail15normal_iteratorINSA_10device_ptrIiEEEEPS6_SG_NS0_5tupleIJSF_S6_EEENSH_IJSG_SG_EEES6_PlJNSB_9not_fun_tI7is_evenIiEEEEEE10hipError_tPvRmT3_T4_T5_T6_T7_T9_mT8_P12ihipStream_tbDpT10_ENKUlT_T0_E_clISt17integral_constantIbLb0EES18_EEDaS13_S14_EUlS13_E_NS1_11comp_targetILNS1_3genE5ELNS1_11target_archE942ELNS1_3gpuE9ELNS1_3repE0EEENS1_30default_config_static_selectorELNS0_4arch9wavefront6targetE0EEEvT1_,@function
_ZN7rocprim17ROCPRIM_400000_NS6detail17trampoline_kernelINS0_14default_configENS1_25partition_config_selectorILNS1_17partition_subalgoE6EiNS0_10empty_typeEbEEZZNS1_14partition_implILS5_6ELb0ES3_mN6thrust23THRUST_200600_302600_NS6detail15normal_iteratorINSA_10device_ptrIiEEEEPS6_SG_NS0_5tupleIJSF_S6_EEENSH_IJSG_SG_EEES6_PlJNSB_9not_fun_tI7is_evenIiEEEEEE10hipError_tPvRmT3_T4_T5_T6_T7_T9_mT8_P12ihipStream_tbDpT10_ENKUlT_T0_E_clISt17integral_constantIbLb0EES18_EEDaS13_S14_EUlS13_E_NS1_11comp_targetILNS1_3genE5ELNS1_11target_archE942ELNS1_3gpuE9ELNS1_3repE0EEENS1_30default_config_static_selectorELNS0_4arch9wavefront6targetE0EEEvT1_: ; @_ZN7rocprim17ROCPRIM_400000_NS6detail17trampoline_kernelINS0_14default_configENS1_25partition_config_selectorILNS1_17partition_subalgoE6EiNS0_10empty_typeEbEEZZNS1_14partition_implILS5_6ELb0ES3_mN6thrust23THRUST_200600_302600_NS6detail15normal_iteratorINSA_10device_ptrIiEEEEPS6_SG_NS0_5tupleIJSF_S6_EEENSH_IJSG_SG_EEES6_PlJNSB_9not_fun_tI7is_evenIiEEEEEE10hipError_tPvRmT3_T4_T5_T6_T7_T9_mT8_P12ihipStream_tbDpT10_ENKUlT_T0_E_clISt17integral_constantIbLb0EES18_EEDaS13_S14_EUlS13_E_NS1_11comp_targetILNS1_3genE5ELNS1_11target_archE942ELNS1_3gpuE9ELNS1_3repE0EEENS1_30default_config_static_selectorELNS0_4arch9wavefront6targetE0EEEvT1_
; %bb.0:
	.section	.rodata,"a",@progbits
	.p2align	6, 0x0
	.amdhsa_kernel _ZN7rocprim17ROCPRIM_400000_NS6detail17trampoline_kernelINS0_14default_configENS1_25partition_config_selectorILNS1_17partition_subalgoE6EiNS0_10empty_typeEbEEZZNS1_14partition_implILS5_6ELb0ES3_mN6thrust23THRUST_200600_302600_NS6detail15normal_iteratorINSA_10device_ptrIiEEEEPS6_SG_NS0_5tupleIJSF_S6_EEENSH_IJSG_SG_EEES6_PlJNSB_9not_fun_tI7is_evenIiEEEEEE10hipError_tPvRmT3_T4_T5_T6_T7_T9_mT8_P12ihipStream_tbDpT10_ENKUlT_T0_E_clISt17integral_constantIbLb0EES18_EEDaS13_S14_EUlS13_E_NS1_11comp_targetILNS1_3genE5ELNS1_11target_archE942ELNS1_3gpuE9ELNS1_3repE0EEENS1_30default_config_static_selectorELNS0_4arch9wavefront6targetE0EEEvT1_
		.amdhsa_group_segment_fixed_size 0
		.amdhsa_private_segment_fixed_size 0
		.amdhsa_kernarg_size 112
		.amdhsa_user_sgpr_count 2
		.amdhsa_user_sgpr_dispatch_ptr 0
		.amdhsa_user_sgpr_queue_ptr 0
		.amdhsa_user_sgpr_kernarg_segment_ptr 1
		.amdhsa_user_sgpr_dispatch_id 0
		.amdhsa_user_sgpr_private_segment_size 0
		.amdhsa_wavefront_size32 1
		.amdhsa_uses_dynamic_stack 0
		.amdhsa_enable_private_segment 0
		.amdhsa_system_sgpr_workgroup_id_x 1
		.amdhsa_system_sgpr_workgroup_id_y 0
		.amdhsa_system_sgpr_workgroup_id_z 0
		.amdhsa_system_sgpr_workgroup_info 0
		.amdhsa_system_vgpr_workitem_id 0
		.amdhsa_next_free_vgpr 1
		.amdhsa_next_free_sgpr 1
		.amdhsa_reserve_vcc 0
		.amdhsa_float_round_mode_32 0
		.amdhsa_float_round_mode_16_64 0
		.amdhsa_float_denorm_mode_32 3
		.amdhsa_float_denorm_mode_16_64 3
		.amdhsa_fp16_overflow 0
		.amdhsa_workgroup_processor_mode 1
		.amdhsa_memory_ordered 1
		.amdhsa_forward_progress 1
		.amdhsa_inst_pref_size 0
		.amdhsa_round_robin_scheduling 0
		.amdhsa_exception_fp_ieee_invalid_op 0
		.amdhsa_exception_fp_denorm_src 0
		.amdhsa_exception_fp_ieee_div_zero 0
		.amdhsa_exception_fp_ieee_overflow 0
		.amdhsa_exception_fp_ieee_underflow 0
		.amdhsa_exception_fp_ieee_inexact 0
		.amdhsa_exception_int_div_zero 0
	.end_amdhsa_kernel
	.section	.text._ZN7rocprim17ROCPRIM_400000_NS6detail17trampoline_kernelINS0_14default_configENS1_25partition_config_selectorILNS1_17partition_subalgoE6EiNS0_10empty_typeEbEEZZNS1_14partition_implILS5_6ELb0ES3_mN6thrust23THRUST_200600_302600_NS6detail15normal_iteratorINSA_10device_ptrIiEEEEPS6_SG_NS0_5tupleIJSF_S6_EEENSH_IJSG_SG_EEES6_PlJNSB_9not_fun_tI7is_evenIiEEEEEE10hipError_tPvRmT3_T4_T5_T6_T7_T9_mT8_P12ihipStream_tbDpT10_ENKUlT_T0_E_clISt17integral_constantIbLb0EES18_EEDaS13_S14_EUlS13_E_NS1_11comp_targetILNS1_3genE5ELNS1_11target_archE942ELNS1_3gpuE9ELNS1_3repE0EEENS1_30default_config_static_selectorELNS0_4arch9wavefront6targetE0EEEvT1_,"axG",@progbits,_ZN7rocprim17ROCPRIM_400000_NS6detail17trampoline_kernelINS0_14default_configENS1_25partition_config_selectorILNS1_17partition_subalgoE6EiNS0_10empty_typeEbEEZZNS1_14partition_implILS5_6ELb0ES3_mN6thrust23THRUST_200600_302600_NS6detail15normal_iteratorINSA_10device_ptrIiEEEEPS6_SG_NS0_5tupleIJSF_S6_EEENSH_IJSG_SG_EEES6_PlJNSB_9not_fun_tI7is_evenIiEEEEEE10hipError_tPvRmT3_T4_T5_T6_T7_T9_mT8_P12ihipStream_tbDpT10_ENKUlT_T0_E_clISt17integral_constantIbLb0EES18_EEDaS13_S14_EUlS13_E_NS1_11comp_targetILNS1_3genE5ELNS1_11target_archE942ELNS1_3gpuE9ELNS1_3repE0EEENS1_30default_config_static_selectorELNS0_4arch9wavefront6targetE0EEEvT1_,comdat
.Lfunc_end726:
	.size	_ZN7rocprim17ROCPRIM_400000_NS6detail17trampoline_kernelINS0_14default_configENS1_25partition_config_selectorILNS1_17partition_subalgoE6EiNS0_10empty_typeEbEEZZNS1_14partition_implILS5_6ELb0ES3_mN6thrust23THRUST_200600_302600_NS6detail15normal_iteratorINSA_10device_ptrIiEEEEPS6_SG_NS0_5tupleIJSF_S6_EEENSH_IJSG_SG_EEES6_PlJNSB_9not_fun_tI7is_evenIiEEEEEE10hipError_tPvRmT3_T4_T5_T6_T7_T9_mT8_P12ihipStream_tbDpT10_ENKUlT_T0_E_clISt17integral_constantIbLb0EES18_EEDaS13_S14_EUlS13_E_NS1_11comp_targetILNS1_3genE5ELNS1_11target_archE942ELNS1_3gpuE9ELNS1_3repE0EEENS1_30default_config_static_selectorELNS0_4arch9wavefront6targetE0EEEvT1_, .Lfunc_end726-_ZN7rocprim17ROCPRIM_400000_NS6detail17trampoline_kernelINS0_14default_configENS1_25partition_config_selectorILNS1_17partition_subalgoE6EiNS0_10empty_typeEbEEZZNS1_14partition_implILS5_6ELb0ES3_mN6thrust23THRUST_200600_302600_NS6detail15normal_iteratorINSA_10device_ptrIiEEEEPS6_SG_NS0_5tupleIJSF_S6_EEENSH_IJSG_SG_EEES6_PlJNSB_9not_fun_tI7is_evenIiEEEEEE10hipError_tPvRmT3_T4_T5_T6_T7_T9_mT8_P12ihipStream_tbDpT10_ENKUlT_T0_E_clISt17integral_constantIbLb0EES18_EEDaS13_S14_EUlS13_E_NS1_11comp_targetILNS1_3genE5ELNS1_11target_archE942ELNS1_3gpuE9ELNS1_3repE0EEENS1_30default_config_static_selectorELNS0_4arch9wavefront6targetE0EEEvT1_
                                        ; -- End function
	.set _ZN7rocprim17ROCPRIM_400000_NS6detail17trampoline_kernelINS0_14default_configENS1_25partition_config_selectorILNS1_17partition_subalgoE6EiNS0_10empty_typeEbEEZZNS1_14partition_implILS5_6ELb0ES3_mN6thrust23THRUST_200600_302600_NS6detail15normal_iteratorINSA_10device_ptrIiEEEEPS6_SG_NS0_5tupleIJSF_S6_EEENSH_IJSG_SG_EEES6_PlJNSB_9not_fun_tI7is_evenIiEEEEEE10hipError_tPvRmT3_T4_T5_T6_T7_T9_mT8_P12ihipStream_tbDpT10_ENKUlT_T0_E_clISt17integral_constantIbLb0EES18_EEDaS13_S14_EUlS13_E_NS1_11comp_targetILNS1_3genE5ELNS1_11target_archE942ELNS1_3gpuE9ELNS1_3repE0EEENS1_30default_config_static_selectorELNS0_4arch9wavefront6targetE0EEEvT1_.num_vgpr, 0
	.set _ZN7rocprim17ROCPRIM_400000_NS6detail17trampoline_kernelINS0_14default_configENS1_25partition_config_selectorILNS1_17partition_subalgoE6EiNS0_10empty_typeEbEEZZNS1_14partition_implILS5_6ELb0ES3_mN6thrust23THRUST_200600_302600_NS6detail15normal_iteratorINSA_10device_ptrIiEEEEPS6_SG_NS0_5tupleIJSF_S6_EEENSH_IJSG_SG_EEES6_PlJNSB_9not_fun_tI7is_evenIiEEEEEE10hipError_tPvRmT3_T4_T5_T6_T7_T9_mT8_P12ihipStream_tbDpT10_ENKUlT_T0_E_clISt17integral_constantIbLb0EES18_EEDaS13_S14_EUlS13_E_NS1_11comp_targetILNS1_3genE5ELNS1_11target_archE942ELNS1_3gpuE9ELNS1_3repE0EEENS1_30default_config_static_selectorELNS0_4arch9wavefront6targetE0EEEvT1_.num_agpr, 0
	.set _ZN7rocprim17ROCPRIM_400000_NS6detail17trampoline_kernelINS0_14default_configENS1_25partition_config_selectorILNS1_17partition_subalgoE6EiNS0_10empty_typeEbEEZZNS1_14partition_implILS5_6ELb0ES3_mN6thrust23THRUST_200600_302600_NS6detail15normal_iteratorINSA_10device_ptrIiEEEEPS6_SG_NS0_5tupleIJSF_S6_EEENSH_IJSG_SG_EEES6_PlJNSB_9not_fun_tI7is_evenIiEEEEEE10hipError_tPvRmT3_T4_T5_T6_T7_T9_mT8_P12ihipStream_tbDpT10_ENKUlT_T0_E_clISt17integral_constantIbLb0EES18_EEDaS13_S14_EUlS13_E_NS1_11comp_targetILNS1_3genE5ELNS1_11target_archE942ELNS1_3gpuE9ELNS1_3repE0EEENS1_30default_config_static_selectorELNS0_4arch9wavefront6targetE0EEEvT1_.numbered_sgpr, 0
	.set _ZN7rocprim17ROCPRIM_400000_NS6detail17trampoline_kernelINS0_14default_configENS1_25partition_config_selectorILNS1_17partition_subalgoE6EiNS0_10empty_typeEbEEZZNS1_14partition_implILS5_6ELb0ES3_mN6thrust23THRUST_200600_302600_NS6detail15normal_iteratorINSA_10device_ptrIiEEEEPS6_SG_NS0_5tupleIJSF_S6_EEENSH_IJSG_SG_EEES6_PlJNSB_9not_fun_tI7is_evenIiEEEEEE10hipError_tPvRmT3_T4_T5_T6_T7_T9_mT8_P12ihipStream_tbDpT10_ENKUlT_T0_E_clISt17integral_constantIbLb0EES18_EEDaS13_S14_EUlS13_E_NS1_11comp_targetILNS1_3genE5ELNS1_11target_archE942ELNS1_3gpuE9ELNS1_3repE0EEENS1_30default_config_static_selectorELNS0_4arch9wavefront6targetE0EEEvT1_.num_named_barrier, 0
	.set _ZN7rocprim17ROCPRIM_400000_NS6detail17trampoline_kernelINS0_14default_configENS1_25partition_config_selectorILNS1_17partition_subalgoE6EiNS0_10empty_typeEbEEZZNS1_14partition_implILS5_6ELb0ES3_mN6thrust23THRUST_200600_302600_NS6detail15normal_iteratorINSA_10device_ptrIiEEEEPS6_SG_NS0_5tupleIJSF_S6_EEENSH_IJSG_SG_EEES6_PlJNSB_9not_fun_tI7is_evenIiEEEEEE10hipError_tPvRmT3_T4_T5_T6_T7_T9_mT8_P12ihipStream_tbDpT10_ENKUlT_T0_E_clISt17integral_constantIbLb0EES18_EEDaS13_S14_EUlS13_E_NS1_11comp_targetILNS1_3genE5ELNS1_11target_archE942ELNS1_3gpuE9ELNS1_3repE0EEENS1_30default_config_static_selectorELNS0_4arch9wavefront6targetE0EEEvT1_.private_seg_size, 0
	.set _ZN7rocprim17ROCPRIM_400000_NS6detail17trampoline_kernelINS0_14default_configENS1_25partition_config_selectorILNS1_17partition_subalgoE6EiNS0_10empty_typeEbEEZZNS1_14partition_implILS5_6ELb0ES3_mN6thrust23THRUST_200600_302600_NS6detail15normal_iteratorINSA_10device_ptrIiEEEEPS6_SG_NS0_5tupleIJSF_S6_EEENSH_IJSG_SG_EEES6_PlJNSB_9not_fun_tI7is_evenIiEEEEEE10hipError_tPvRmT3_T4_T5_T6_T7_T9_mT8_P12ihipStream_tbDpT10_ENKUlT_T0_E_clISt17integral_constantIbLb0EES18_EEDaS13_S14_EUlS13_E_NS1_11comp_targetILNS1_3genE5ELNS1_11target_archE942ELNS1_3gpuE9ELNS1_3repE0EEENS1_30default_config_static_selectorELNS0_4arch9wavefront6targetE0EEEvT1_.uses_vcc, 0
	.set _ZN7rocprim17ROCPRIM_400000_NS6detail17trampoline_kernelINS0_14default_configENS1_25partition_config_selectorILNS1_17partition_subalgoE6EiNS0_10empty_typeEbEEZZNS1_14partition_implILS5_6ELb0ES3_mN6thrust23THRUST_200600_302600_NS6detail15normal_iteratorINSA_10device_ptrIiEEEEPS6_SG_NS0_5tupleIJSF_S6_EEENSH_IJSG_SG_EEES6_PlJNSB_9not_fun_tI7is_evenIiEEEEEE10hipError_tPvRmT3_T4_T5_T6_T7_T9_mT8_P12ihipStream_tbDpT10_ENKUlT_T0_E_clISt17integral_constantIbLb0EES18_EEDaS13_S14_EUlS13_E_NS1_11comp_targetILNS1_3genE5ELNS1_11target_archE942ELNS1_3gpuE9ELNS1_3repE0EEENS1_30default_config_static_selectorELNS0_4arch9wavefront6targetE0EEEvT1_.uses_flat_scratch, 0
	.set _ZN7rocprim17ROCPRIM_400000_NS6detail17trampoline_kernelINS0_14default_configENS1_25partition_config_selectorILNS1_17partition_subalgoE6EiNS0_10empty_typeEbEEZZNS1_14partition_implILS5_6ELb0ES3_mN6thrust23THRUST_200600_302600_NS6detail15normal_iteratorINSA_10device_ptrIiEEEEPS6_SG_NS0_5tupleIJSF_S6_EEENSH_IJSG_SG_EEES6_PlJNSB_9not_fun_tI7is_evenIiEEEEEE10hipError_tPvRmT3_T4_T5_T6_T7_T9_mT8_P12ihipStream_tbDpT10_ENKUlT_T0_E_clISt17integral_constantIbLb0EES18_EEDaS13_S14_EUlS13_E_NS1_11comp_targetILNS1_3genE5ELNS1_11target_archE942ELNS1_3gpuE9ELNS1_3repE0EEENS1_30default_config_static_selectorELNS0_4arch9wavefront6targetE0EEEvT1_.has_dyn_sized_stack, 0
	.set _ZN7rocprim17ROCPRIM_400000_NS6detail17trampoline_kernelINS0_14default_configENS1_25partition_config_selectorILNS1_17partition_subalgoE6EiNS0_10empty_typeEbEEZZNS1_14partition_implILS5_6ELb0ES3_mN6thrust23THRUST_200600_302600_NS6detail15normal_iteratorINSA_10device_ptrIiEEEEPS6_SG_NS0_5tupleIJSF_S6_EEENSH_IJSG_SG_EEES6_PlJNSB_9not_fun_tI7is_evenIiEEEEEE10hipError_tPvRmT3_T4_T5_T6_T7_T9_mT8_P12ihipStream_tbDpT10_ENKUlT_T0_E_clISt17integral_constantIbLb0EES18_EEDaS13_S14_EUlS13_E_NS1_11comp_targetILNS1_3genE5ELNS1_11target_archE942ELNS1_3gpuE9ELNS1_3repE0EEENS1_30default_config_static_selectorELNS0_4arch9wavefront6targetE0EEEvT1_.has_recursion, 0
	.set _ZN7rocprim17ROCPRIM_400000_NS6detail17trampoline_kernelINS0_14default_configENS1_25partition_config_selectorILNS1_17partition_subalgoE6EiNS0_10empty_typeEbEEZZNS1_14partition_implILS5_6ELb0ES3_mN6thrust23THRUST_200600_302600_NS6detail15normal_iteratorINSA_10device_ptrIiEEEEPS6_SG_NS0_5tupleIJSF_S6_EEENSH_IJSG_SG_EEES6_PlJNSB_9not_fun_tI7is_evenIiEEEEEE10hipError_tPvRmT3_T4_T5_T6_T7_T9_mT8_P12ihipStream_tbDpT10_ENKUlT_T0_E_clISt17integral_constantIbLb0EES18_EEDaS13_S14_EUlS13_E_NS1_11comp_targetILNS1_3genE5ELNS1_11target_archE942ELNS1_3gpuE9ELNS1_3repE0EEENS1_30default_config_static_selectorELNS0_4arch9wavefront6targetE0EEEvT1_.has_indirect_call, 0
	.section	.AMDGPU.csdata,"",@progbits
; Kernel info:
; codeLenInByte = 0
; TotalNumSgprs: 0
; NumVgprs: 0
; ScratchSize: 0
; MemoryBound: 0
; FloatMode: 240
; IeeeMode: 1
; LDSByteSize: 0 bytes/workgroup (compile time only)
; SGPRBlocks: 0
; VGPRBlocks: 0
; NumSGPRsForWavesPerEU: 1
; NumVGPRsForWavesPerEU: 1
; Occupancy: 16
; WaveLimiterHint : 0
; COMPUTE_PGM_RSRC2:SCRATCH_EN: 0
; COMPUTE_PGM_RSRC2:USER_SGPR: 2
; COMPUTE_PGM_RSRC2:TRAP_HANDLER: 0
; COMPUTE_PGM_RSRC2:TGID_X_EN: 1
; COMPUTE_PGM_RSRC2:TGID_Y_EN: 0
; COMPUTE_PGM_RSRC2:TGID_Z_EN: 0
; COMPUTE_PGM_RSRC2:TIDIG_COMP_CNT: 0
	.section	.text._ZN7rocprim17ROCPRIM_400000_NS6detail17trampoline_kernelINS0_14default_configENS1_25partition_config_selectorILNS1_17partition_subalgoE6EiNS0_10empty_typeEbEEZZNS1_14partition_implILS5_6ELb0ES3_mN6thrust23THRUST_200600_302600_NS6detail15normal_iteratorINSA_10device_ptrIiEEEEPS6_SG_NS0_5tupleIJSF_S6_EEENSH_IJSG_SG_EEES6_PlJNSB_9not_fun_tI7is_evenIiEEEEEE10hipError_tPvRmT3_T4_T5_T6_T7_T9_mT8_P12ihipStream_tbDpT10_ENKUlT_T0_E_clISt17integral_constantIbLb0EES18_EEDaS13_S14_EUlS13_E_NS1_11comp_targetILNS1_3genE4ELNS1_11target_archE910ELNS1_3gpuE8ELNS1_3repE0EEENS1_30default_config_static_selectorELNS0_4arch9wavefront6targetE0EEEvT1_,"axG",@progbits,_ZN7rocprim17ROCPRIM_400000_NS6detail17trampoline_kernelINS0_14default_configENS1_25partition_config_selectorILNS1_17partition_subalgoE6EiNS0_10empty_typeEbEEZZNS1_14partition_implILS5_6ELb0ES3_mN6thrust23THRUST_200600_302600_NS6detail15normal_iteratorINSA_10device_ptrIiEEEEPS6_SG_NS0_5tupleIJSF_S6_EEENSH_IJSG_SG_EEES6_PlJNSB_9not_fun_tI7is_evenIiEEEEEE10hipError_tPvRmT3_T4_T5_T6_T7_T9_mT8_P12ihipStream_tbDpT10_ENKUlT_T0_E_clISt17integral_constantIbLb0EES18_EEDaS13_S14_EUlS13_E_NS1_11comp_targetILNS1_3genE4ELNS1_11target_archE910ELNS1_3gpuE8ELNS1_3repE0EEENS1_30default_config_static_selectorELNS0_4arch9wavefront6targetE0EEEvT1_,comdat
	.protected	_ZN7rocprim17ROCPRIM_400000_NS6detail17trampoline_kernelINS0_14default_configENS1_25partition_config_selectorILNS1_17partition_subalgoE6EiNS0_10empty_typeEbEEZZNS1_14partition_implILS5_6ELb0ES3_mN6thrust23THRUST_200600_302600_NS6detail15normal_iteratorINSA_10device_ptrIiEEEEPS6_SG_NS0_5tupleIJSF_S6_EEENSH_IJSG_SG_EEES6_PlJNSB_9not_fun_tI7is_evenIiEEEEEE10hipError_tPvRmT3_T4_T5_T6_T7_T9_mT8_P12ihipStream_tbDpT10_ENKUlT_T0_E_clISt17integral_constantIbLb0EES18_EEDaS13_S14_EUlS13_E_NS1_11comp_targetILNS1_3genE4ELNS1_11target_archE910ELNS1_3gpuE8ELNS1_3repE0EEENS1_30default_config_static_selectorELNS0_4arch9wavefront6targetE0EEEvT1_ ; -- Begin function _ZN7rocprim17ROCPRIM_400000_NS6detail17trampoline_kernelINS0_14default_configENS1_25partition_config_selectorILNS1_17partition_subalgoE6EiNS0_10empty_typeEbEEZZNS1_14partition_implILS5_6ELb0ES3_mN6thrust23THRUST_200600_302600_NS6detail15normal_iteratorINSA_10device_ptrIiEEEEPS6_SG_NS0_5tupleIJSF_S6_EEENSH_IJSG_SG_EEES6_PlJNSB_9not_fun_tI7is_evenIiEEEEEE10hipError_tPvRmT3_T4_T5_T6_T7_T9_mT8_P12ihipStream_tbDpT10_ENKUlT_T0_E_clISt17integral_constantIbLb0EES18_EEDaS13_S14_EUlS13_E_NS1_11comp_targetILNS1_3genE4ELNS1_11target_archE910ELNS1_3gpuE8ELNS1_3repE0EEENS1_30default_config_static_selectorELNS0_4arch9wavefront6targetE0EEEvT1_
	.globl	_ZN7rocprim17ROCPRIM_400000_NS6detail17trampoline_kernelINS0_14default_configENS1_25partition_config_selectorILNS1_17partition_subalgoE6EiNS0_10empty_typeEbEEZZNS1_14partition_implILS5_6ELb0ES3_mN6thrust23THRUST_200600_302600_NS6detail15normal_iteratorINSA_10device_ptrIiEEEEPS6_SG_NS0_5tupleIJSF_S6_EEENSH_IJSG_SG_EEES6_PlJNSB_9not_fun_tI7is_evenIiEEEEEE10hipError_tPvRmT3_T4_T5_T6_T7_T9_mT8_P12ihipStream_tbDpT10_ENKUlT_T0_E_clISt17integral_constantIbLb0EES18_EEDaS13_S14_EUlS13_E_NS1_11comp_targetILNS1_3genE4ELNS1_11target_archE910ELNS1_3gpuE8ELNS1_3repE0EEENS1_30default_config_static_selectorELNS0_4arch9wavefront6targetE0EEEvT1_
	.p2align	8
	.type	_ZN7rocprim17ROCPRIM_400000_NS6detail17trampoline_kernelINS0_14default_configENS1_25partition_config_selectorILNS1_17partition_subalgoE6EiNS0_10empty_typeEbEEZZNS1_14partition_implILS5_6ELb0ES3_mN6thrust23THRUST_200600_302600_NS6detail15normal_iteratorINSA_10device_ptrIiEEEEPS6_SG_NS0_5tupleIJSF_S6_EEENSH_IJSG_SG_EEES6_PlJNSB_9not_fun_tI7is_evenIiEEEEEE10hipError_tPvRmT3_T4_T5_T6_T7_T9_mT8_P12ihipStream_tbDpT10_ENKUlT_T0_E_clISt17integral_constantIbLb0EES18_EEDaS13_S14_EUlS13_E_NS1_11comp_targetILNS1_3genE4ELNS1_11target_archE910ELNS1_3gpuE8ELNS1_3repE0EEENS1_30default_config_static_selectorELNS0_4arch9wavefront6targetE0EEEvT1_,@function
_ZN7rocprim17ROCPRIM_400000_NS6detail17trampoline_kernelINS0_14default_configENS1_25partition_config_selectorILNS1_17partition_subalgoE6EiNS0_10empty_typeEbEEZZNS1_14partition_implILS5_6ELb0ES3_mN6thrust23THRUST_200600_302600_NS6detail15normal_iteratorINSA_10device_ptrIiEEEEPS6_SG_NS0_5tupleIJSF_S6_EEENSH_IJSG_SG_EEES6_PlJNSB_9not_fun_tI7is_evenIiEEEEEE10hipError_tPvRmT3_T4_T5_T6_T7_T9_mT8_P12ihipStream_tbDpT10_ENKUlT_T0_E_clISt17integral_constantIbLb0EES18_EEDaS13_S14_EUlS13_E_NS1_11comp_targetILNS1_3genE4ELNS1_11target_archE910ELNS1_3gpuE8ELNS1_3repE0EEENS1_30default_config_static_selectorELNS0_4arch9wavefront6targetE0EEEvT1_: ; @_ZN7rocprim17ROCPRIM_400000_NS6detail17trampoline_kernelINS0_14default_configENS1_25partition_config_selectorILNS1_17partition_subalgoE6EiNS0_10empty_typeEbEEZZNS1_14partition_implILS5_6ELb0ES3_mN6thrust23THRUST_200600_302600_NS6detail15normal_iteratorINSA_10device_ptrIiEEEEPS6_SG_NS0_5tupleIJSF_S6_EEENSH_IJSG_SG_EEES6_PlJNSB_9not_fun_tI7is_evenIiEEEEEE10hipError_tPvRmT3_T4_T5_T6_T7_T9_mT8_P12ihipStream_tbDpT10_ENKUlT_T0_E_clISt17integral_constantIbLb0EES18_EEDaS13_S14_EUlS13_E_NS1_11comp_targetILNS1_3genE4ELNS1_11target_archE910ELNS1_3gpuE8ELNS1_3repE0EEENS1_30default_config_static_selectorELNS0_4arch9wavefront6targetE0EEEvT1_
; %bb.0:
	.section	.rodata,"a",@progbits
	.p2align	6, 0x0
	.amdhsa_kernel _ZN7rocprim17ROCPRIM_400000_NS6detail17trampoline_kernelINS0_14default_configENS1_25partition_config_selectorILNS1_17partition_subalgoE6EiNS0_10empty_typeEbEEZZNS1_14partition_implILS5_6ELb0ES3_mN6thrust23THRUST_200600_302600_NS6detail15normal_iteratorINSA_10device_ptrIiEEEEPS6_SG_NS0_5tupleIJSF_S6_EEENSH_IJSG_SG_EEES6_PlJNSB_9not_fun_tI7is_evenIiEEEEEE10hipError_tPvRmT3_T4_T5_T6_T7_T9_mT8_P12ihipStream_tbDpT10_ENKUlT_T0_E_clISt17integral_constantIbLb0EES18_EEDaS13_S14_EUlS13_E_NS1_11comp_targetILNS1_3genE4ELNS1_11target_archE910ELNS1_3gpuE8ELNS1_3repE0EEENS1_30default_config_static_selectorELNS0_4arch9wavefront6targetE0EEEvT1_
		.amdhsa_group_segment_fixed_size 0
		.amdhsa_private_segment_fixed_size 0
		.amdhsa_kernarg_size 112
		.amdhsa_user_sgpr_count 2
		.amdhsa_user_sgpr_dispatch_ptr 0
		.amdhsa_user_sgpr_queue_ptr 0
		.amdhsa_user_sgpr_kernarg_segment_ptr 1
		.amdhsa_user_sgpr_dispatch_id 0
		.amdhsa_user_sgpr_private_segment_size 0
		.amdhsa_wavefront_size32 1
		.amdhsa_uses_dynamic_stack 0
		.amdhsa_enable_private_segment 0
		.amdhsa_system_sgpr_workgroup_id_x 1
		.amdhsa_system_sgpr_workgroup_id_y 0
		.amdhsa_system_sgpr_workgroup_id_z 0
		.amdhsa_system_sgpr_workgroup_info 0
		.amdhsa_system_vgpr_workitem_id 0
		.amdhsa_next_free_vgpr 1
		.amdhsa_next_free_sgpr 1
		.amdhsa_reserve_vcc 0
		.amdhsa_float_round_mode_32 0
		.amdhsa_float_round_mode_16_64 0
		.amdhsa_float_denorm_mode_32 3
		.amdhsa_float_denorm_mode_16_64 3
		.amdhsa_fp16_overflow 0
		.amdhsa_workgroup_processor_mode 1
		.amdhsa_memory_ordered 1
		.amdhsa_forward_progress 1
		.amdhsa_inst_pref_size 0
		.amdhsa_round_robin_scheduling 0
		.amdhsa_exception_fp_ieee_invalid_op 0
		.amdhsa_exception_fp_denorm_src 0
		.amdhsa_exception_fp_ieee_div_zero 0
		.amdhsa_exception_fp_ieee_overflow 0
		.amdhsa_exception_fp_ieee_underflow 0
		.amdhsa_exception_fp_ieee_inexact 0
		.amdhsa_exception_int_div_zero 0
	.end_amdhsa_kernel
	.section	.text._ZN7rocprim17ROCPRIM_400000_NS6detail17trampoline_kernelINS0_14default_configENS1_25partition_config_selectorILNS1_17partition_subalgoE6EiNS0_10empty_typeEbEEZZNS1_14partition_implILS5_6ELb0ES3_mN6thrust23THRUST_200600_302600_NS6detail15normal_iteratorINSA_10device_ptrIiEEEEPS6_SG_NS0_5tupleIJSF_S6_EEENSH_IJSG_SG_EEES6_PlJNSB_9not_fun_tI7is_evenIiEEEEEE10hipError_tPvRmT3_T4_T5_T6_T7_T9_mT8_P12ihipStream_tbDpT10_ENKUlT_T0_E_clISt17integral_constantIbLb0EES18_EEDaS13_S14_EUlS13_E_NS1_11comp_targetILNS1_3genE4ELNS1_11target_archE910ELNS1_3gpuE8ELNS1_3repE0EEENS1_30default_config_static_selectorELNS0_4arch9wavefront6targetE0EEEvT1_,"axG",@progbits,_ZN7rocprim17ROCPRIM_400000_NS6detail17trampoline_kernelINS0_14default_configENS1_25partition_config_selectorILNS1_17partition_subalgoE6EiNS0_10empty_typeEbEEZZNS1_14partition_implILS5_6ELb0ES3_mN6thrust23THRUST_200600_302600_NS6detail15normal_iteratorINSA_10device_ptrIiEEEEPS6_SG_NS0_5tupleIJSF_S6_EEENSH_IJSG_SG_EEES6_PlJNSB_9not_fun_tI7is_evenIiEEEEEE10hipError_tPvRmT3_T4_T5_T6_T7_T9_mT8_P12ihipStream_tbDpT10_ENKUlT_T0_E_clISt17integral_constantIbLb0EES18_EEDaS13_S14_EUlS13_E_NS1_11comp_targetILNS1_3genE4ELNS1_11target_archE910ELNS1_3gpuE8ELNS1_3repE0EEENS1_30default_config_static_selectorELNS0_4arch9wavefront6targetE0EEEvT1_,comdat
.Lfunc_end727:
	.size	_ZN7rocprim17ROCPRIM_400000_NS6detail17trampoline_kernelINS0_14default_configENS1_25partition_config_selectorILNS1_17partition_subalgoE6EiNS0_10empty_typeEbEEZZNS1_14partition_implILS5_6ELb0ES3_mN6thrust23THRUST_200600_302600_NS6detail15normal_iteratorINSA_10device_ptrIiEEEEPS6_SG_NS0_5tupleIJSF_S6_EEENSH_IJSG_SG_EEES6_PlJNSB_9not_fun_tI7is_evenIiEEEEEE10hipError_tPvRmT3_T4_T5_T6_T7_T9_mT8_P12ihipStream_tbDpT10_ENKUlT_T0_E_clISt17integral_constantIbLb0EES18_EEDaS13_S14_EUlS13_E_NS1_11comp_targetILNS1_3genE4ELNS1_11target_archE910ELNS1_3gpuE8ELNS1_3repE0EEENS1_30default_config_static_selectorELNS0_4arch9wavefront6targetE0EEEvT1_, .Lfunc_end727-_ZN7rocprim17ROCPRIM_400000_NS6detail17trampoline_kernelINS0_14default_configENS1_25partition_config_selectorILNS1_17partition_subalgoE6EiNS0_10empty_typeEbEEZZNS1_14partition_implILS5_6ELb0ES3_mN6thrust23THRUST_200600_302600_NS6detail15normal_iteratorINSA_10device_ptrIiEEEEPS6_SG_NS0_5tupleIJSF_S6_EEENSH_IJSG_SG_EEES6_PlJNSB_9not_fun_tI7is_evenIiEEEEEE10hipError_tPvRmT3_T4_T5_T6_T7_T9_mT8_P12ihipStream_tbDpT10_ENKUlT_T0_E_clISt17integral_constantIbLb0EES18_EEDaS13_S14_EUlS13_E_NS1_11comp_targetILNS1_3genE4ELNS1_11target_archE910ELNS1_3gpuE8ELNS1_3repE0EEENS1_30default_config_static_selectorELNS0_4arch9wavefront6targetE0EEEvT1_
                                        ; -- End function
	.set _ZN7rocprim17ROCPRIM_400000_NS6detail17trampoline_kernelINS0_14default_configENS1_25partition_config_selectorILNS1_17partition_subalgoE6EiNS0_10empty_typeEbEEZZNS1_14partition_implILS5_6ELb0ES3_mN6thrust23THRUST_200600_302600_NS6detail15normal_iteratorINSA_10device_ptrIiEEEEPS6_SG_NS0_5tupleIJSF_S6_EEENSH_IJSG_SG_EEES6_PlJNSB_9not_fun_tI7is_evenIiEEEEEE10hipError_tPvRmT3_T4_T5_T6_T7_T9_mT8_P12ihipStream_tbDpT10_ENKUlT_T0_E_clISt17integral_constantIbLb0EES18_EEDaS13_S14_EUlS13_E_NS1_11comp_targetILNS1_3genE4ELNS1_11target_archE910ELNS1_3gpuE8ELNS1_3repE0EEENS1_30default_config_static_selectorELNS0_4arch9wavefront6targetE0EEEvT1_.num_vgpr, 0
	.set _ZN7rocprim17ROCPRIM_400000_NS6detail17trampoline_kernelINS0_14default_configENS1_25partition_config_selectorILNS1_17partition_subalgoE6EiNS0_10empty_typeEbEEZZNS1_14partition_implILS5_6ELb0ES3_mN6thrust23THRUST_200600_302600_NS6detail15normal_iteratorINSA_10device_ptrIiEEEEPS6_SG_NS0_5tupleIJSF_S6_EEENSH_IJSG_SG_EEES6_PlJNSB_9not_fun_tI7is_evenIiEEEEEE10hipError_tPvRmT3_T4_T5_T6_T7_T9_mT8_P12ihipStream_tbDpT10_ENKUlT_T0_E_clISt17integral_constantIbLb0EES18_EEDaS13_S14_EUlS13_E_NS1_11comp_targetILNS1_3genE4ELNS1_11target_archE910ELNS1_3gpuE8ELNS1_3repE0EEENS1_30default_config_static_selectorELNS0_4arch9wavefront6targetE0EEEvT1_.num_agpr, 0
	.set _ZN7rocprim17ROCPRIM_400000_NS6detail17trampoline_kernelINS0_14default_configENS1_25partition_config_selectorILNS1_17partition_subalgoE6EiNS0_10empty_typeEbEEZZNS1_14partition_implILS5_6ELb0ES3_mN6thrust23THRUST_200600_302600_NS6detail15normal_iteratorINSA_10device_ptrIiEEEEPS6_SG_NS0_5tupleIJSF_S6_EEENSH_IJSG_SG_EEES6_PlJNSB_9not_fun_tI7is_evenIiEEEEEE10hipError_tPvRmT3_T4_T5_T6_T7_T9_mT8_P12ihipStream_tbDpT10_ENKUlT_T0_E_clISt17integral_constantIbLb0EES18_EEDaS13_S14_EUlS13_E_NS1_11comp_targetILNS1_3genE4ELNS1_11target_archE910ELNS1_3gpuE8ELNS1_3repE0EEENS1_30default_config_static_selectorELNS0_4arch9wavefront6targetE0EEEvT1_.numbered_sgpr, 0
	.set _ZN7rocprim17ROCPRIM_400000_NS6detail17trampoline_kernelINS0_14default_configENS1_25partition_config_selectorILNS1_17partition_subalgoE6EiNS0_10empty_typeEbEEZZNS1_14partition_implILS5_6ELb0ES3_mN6thrust23THRUST_200600_302600_NS6detail15normal_iteratorINSA_10device_ptrIiEEEEPS6_SG_NS0_5tupleIJSF_S6_EEENSH_IJSG_SG_EEES6_PlJNSB_9not_fun_tI7is_evenIiEEEEEE10hipError_tPvRmT3_T4_T5_T6_T7_T9_mT8_P12ihipStream_tbDpT10_ENKUlT_T0_E_clISt17integral_constantIbLb0EES18_EEDaS13_S14_EUlS13_E_NS1_11comp_targetILNS1_3genE4ELNS1_11target_archE910ELNS1_3gpuE8ELNS1_3repE0EEENS1_30default_config_static_selectorELNS0_4arch9wavefront6targetE0EEEvT1_.num_named_barrier, 0
	.set _ZN7rocprim17ROCPRIM_400000_NS6detail17trampoline_kernelINS0_14default_configENS1_25partition_config_selectorILNS1_17partition_subalgoE6EiNS0_10empty_typeEbEEZZNS1_14partition_implILS5_6ELb0ES3_mN6thrust23THRUST_200600_302600_NS6detail15normal_iteratorINSA_10device_ptrIiEEEEPS6_SG_NS0_5tupleIJSF_S6_EEENSH_IJSG_SG_EEES6_PlJNSB_9not_fun_tI7is_evenIiEEEEEE10hipError_tPvRmT3_T4_T5_T6_T7_T9_mT8_P12ihipStream_tbDpT10_ENKUlT_T0_E_clISt17integral_constantIbLb0EES18_EEDaS13_S14_EUlS13_E_NS1_11comp_targetILNS1_3genE4ELNS1_11target_archE910ELNS1_3gpuE8ELNS1_3repE0EEENS1_30default_config_static_selectorELNS0_4arch9wavefront6targetE0EEEvT1_.private_seg_size, 0
	.set _ZN7rocprim17ROCPRIM_400000_NS6detail17trampoline_kernelINS0_14default_configENS1_25partition_config_selectorILNS1_17partition_subalgoE6EiNS0_10empty_typeEbEEZZNS1_14partition_implILS5_6ELb0ES3_mN6thrust23THRUST_200600_302600_NS6detail15normal_iteratorINSA_10device_ptrIiEEEEPS6_SG_NS0_5tupleIJSF_S6_EEENSH_IJSG_SG_EEES6_PlJNSB_9not_fun_tI7is_evenIiEEEEEE10hipError_tPvRmT3_T4_T5_T6_T7_T9_mT8_P12ihipStream_tbDpT10_ENKUlT_T0_E_clISt17integral_constantIbLb0EES18_EEDaS13_S14_EUlS13_E_NS1_11comp_targetILNS1_3genE4ELNS1_11target_archE910ELNS1_3gpuE8ELNS1_3repE0EEENS1_30default_config_static_selectorELNS0_4arch9wavefront6targetE0EEEvT1_.uses_vcc, 0
	.set _ZN7rocprim17ROCPRIM_400000_NS6detail17trampoline_kernelINS0_14default_configENS1_25partition_config_selectorILNS1_17partition_subalgoE6EiNS0_10empty_typeEbEEZZNS1_14partition_implILS5_6ELb0ES3_mN6thrust23THRUST_200600_302600_NS6detail15normal_iteratorINSA_10device_ptrIiEEEEPS6_SG_NS0_5tupleIJSF_S6_EEENSH_IJSG_SG_EEES6_PlJNSB_9not_fun_tI7is_evenIiEEEEEE10hipError_tPvRmT3_T4_T5_T6_T7_T9_mT8_P12ihipStream_tbDpT10_ENKUlT_T0_E_clISt17integral_constantIbLb0EES18_EEDaS13_S14_EUlS13_E_NS1_11comp_targetILNS1_3genE4ELNS1_11target_archE910ELNS1_3gpuE8ELNS1_3repE0EEENS1_30default_config_static_selectorELNS0_4arch9wavefront6targetE0EEEvT1_.uses_flat_scratch, 0
	.set _ZN7rocprim17ROCPRIM_400000_NS6detail17trampoline_kernelINS0_14default_configENS1_25partition_config_selectorILNS1_17partition_subalgoE6EiNS0_10empty_typeEbEEZZNS1_14partition_implILS5_6ELb0ES3_mN6thrust23THRUST_200600_302600_NS6detail15normal_iteratorINSA_10device_ptrIiEEEEPS6_SG_NS0_5tupleIJSF_S6_EEENSH_IJSG_SG_EEES6_PlJNSB_9not_fun_tI7is_evenIiEEEEEE10hipError_tPvRmT3_T4_T5_T6_T7_T9_mT8_P12ihipStream_tbDpT10_ENKUlT_T0_E_clISt17integral_constantIbLb0EES18_EEDaS13_S14_EUlS13_E_NS1_11comp_targetILNS1_3genE4ELNS1_11target_archE910ELNS1_3gpuE8ELNS1_3repE0EEENS1_30default_config_static_selectorELNS0_4arch9wavefront6targetE0EEEvT1_.has_dyn_sized_stack, 0
	.set _ZN7rocprim17ROCPRIM_400000_NS6detail17trampoline_kernelINS0_14default_configENS1_25partition_config_selectorILNS1_17partition_subalgoE6EiNS0_10empty_typeEbEEZZNS1_14partition_implILS5_6ELb0ES3_mN6thrust23THRUST_200600_302600_NS6detail15normal_iteratorINSA_10device_ptrIiEEEEPS6_SG_NS0_5tupleIJSF_S6_EEENSH_IJSG_SG_EEES6_PlJNSB_9not_fun_tI7is_evenIiEEEEEE10hipError_tPvRmT3_T4_T5_T6_T7_T9_mT8_P12ihipStream_tbDpT10_ENKUlT_T0_E_clISt17integral_constantIbLb0EES18_EEDaS13_S14_EUlS13_E_NS1_11comp_targetILNS1_3genE4ELNS1_11target_archE910ELNS1_3gpuE8ELNS1_3repE0EEENS1_30default_config_static_selectorELNS0_4arch9wavefront6targetE0EEEvT1_.has_recursion, 0
	.set _ZN7rocprim17ROCPRIM_400000_NS6detail17trampoline_kernelINS0_14default_configENS1_25partition_config_selectorILNS1_17partition_subalgoE6EiNS0_10empty_typeEbEEZZNS1_14partition_implILS5_6ELb0ES3_mN6thrust23THRUST_200600_302600_NS6detail15normal_iteratorINSA_10device_ptrIiEEEEPS6_SG_NS0_5tupleIJSF_S6_EEENSH_IJSG_SG_EEES6_PlJNSB_9not_fun_tI7is_evenIiEEEEEE10hipError_tPvRmT3_T4_T5_T6_T7_T9_mT8_P12ihipStream_tbDpT10_ENKUlT_T0_E_clISt17integral_constantIbLb0EES18_EEDaS13_S14_EUlS13_E_NS1_11comp_targetILNS1_3genE4ELNS1_11target_archE910ELNS1_3gpuE8ELNS1_3repE0EEENS1_30default_config_static_selectorELNS0_4arch9wavefront6targetE0EEEvT1_.has_indirect_call, 0
	.section	.AMDGPU.csdata,"",@progbits
; Kernel info:
; codeLenInByte = 0
; TotalNumSgprs: 0
; NumVgprs: 0
; ScratchSize: 0
; MemoryBound: 0
; FloatMode: 240
; IeeeMode: 1
; LDSByteSize: 0 bytes/workgroup (compile time only)
; SGPRBlocks: 0
; VGPRBlocks: 0
; NumSGPRsForWavesPerEU: 1
; NumVGPRsForWavesPerEU: 1
; Occupancy: 16
; WaveLimiterHint : 0
; COMPUTE_PGM_RSRC2:SCRATCH_EN: 0
; COMPUTE_PGM_RSRC2:USER_SGPR: 2
; COMPUTE_PGM_RSRC2:TRAP_HANDLER: 0
; COMPUTE_PGM_RSRC2:TGID_X_EN: 1
; COMPUTE_PGM_RSRC2:TGID_Y_EN: 0
; COMPUTE_PGM_RSRC2:TGID_Z_EN: 0
; COMPUTE_PGM_RSRC2:TIDIG_COMP_CNT: 0
	.section	.text._ZN7rocprim17ROCPRIM_400000_NS6detail17trampoline_kernelINS0_14default_configENS1_25partition_config_selectorILNS1_17partition_subalgoE6EiNS0_10empty_typeEbEEZZNS1_14partition_implILS5_6ELb0ES3_mN6thrust23THRUST_200600_302600_NS6detail15normal_iteratorINSA_10device_ptrIiEEEEPS6_SG_NS0_5tupleIJSF_S6_EEENSH_IJSG_SG_EEES6_PlJNSB_9not_fun_tI7is_evenIiEEEEEE10hipError_tPvRmT3_T4_T5_T6_T7_T9_mT8_P12ihipStream_tbDpT10_ENKUlT_T0_E_clISt17integral_constantIbLb0EES18_EEDaS13_S14_EUlS13_E_NS1_11comp_targetILNS1_3genE3ELNS1_11target_archE908ELNS1_3gpuE7ELNS1_3repE0EEENS1_30default_config_static_selectorELNS0_4arch9wavefront6targetE0EEEvT1_,"axG",@progbits,_ZN7rocprim17ROCPRIM_400000_NS6detail17trampoline_kernelINS0_14default_configENS1_25partition_config_selectorILNS1_17partition_subalgoE6EiNS0_10empty_typeEbEEZZNS1_14partition_implILS5_6ELb0ES3_mN6thrust23THRUST_200600_302600_NS6detail15normal_iteratorINSA_10device_ptrIiEEEEPS6_SG_NS0_5tupleIJSF_S6_EEENSH_IJSG_SG_EEES6_PlJNSB_9not_fun_tI7is_evenIiEEEEEE10hipError_tPvRmT3_T4_T5_T6_T7_T9_mT8_P12ihipStream_tbDpT10_ENKUlT_T0_E_clISt17integral_constantIbLb0EES18_EEDaS13_S14_EUlS13_E_NS1_11comp_targetILNS1_3genE3ELNS1_11target_archE908ELNS1_3gpuE7ELNS1_3repE0EEENS1_30default_config_static_selectorELNS0_4arch9wavefront6targetE0EEEvT1_,comdat
	.protected	_ZN7rocprim17ROCPRIM_400000_NS6detail17trampoline_kernelINS0_14default_configENS1_25partition_config_selectorILNS1_17partition_subalgoE6EiNS0_10empty_typeEbEEZZNS1_14partition_implILS5_6ELb0ES3_mN6thrust23THRUST_200600_302600_NS6detail15normal_iteratorINSA_10device_ptrIiEEEEPS6_SG_NS0_5tupleIJSF_S6_EEENSH_IJSG_SG_EEES6_PlJNSB_9not_fun_tI7is_evenIiEEEEEE10hipError_tPvRmT3_T4_T5_T6_T7_T9_mT8_P12ihipStream_tbDpT10_ENKUlT_T0_E_clISt17integral_constantIbLb0EES18_EEDaS13_S14_EUlS13_E_NS1_11comp_targetILNS1_3genE3ELNS1_11target_archE908ELNS1_3gpuE7ELNS1_3repE0EEENS1_30default_config_static_selectorELNS0_4arch9wavefront6targetE0EEEvT1_ ; -- Begin function _ZN7rocprim17ROCPRIM_400000_NS6detail17trampoline_kernelINS0_14default_configENS1_25partition_config_selectorILNS1_17partition_subalgoE6EiNS0_10empty_typeEbEEZZNS1_14partition_implILS5_6ELb0ES3_mN6thrust23THRUST_200600_302600_NS6detail15normal_iteratorINSA_10device_ptrIiEEEEPS6_SG_NS0_5tupleIJSF_S6_EEENSH_IJSG_SG_EEES6_PlJNSB_9not_fun_tI7is_evenIiEEEEEE10hipError_tPvRmT3_T4_T5_T6_T7_T9_mT8_P12ihipStream_tbDpT10_ENKUlT_T0_E_clISt17integral_constantIbLb0EES18_EEDaS13_S14_EUlS13_E_NS1_11comp_targetILNS1_3genE3ELNS1_11target_archE908ELNS1_3gpuE7ELNS1_3repE0EEENS1_30default_config_static_selectorELNS0_4arch9wavefront6targetE0EEEvT1_
	.globl	_ZN7rocprim17ROCPRIM_400000_NS6detail17trampoline_kernelINS0_14default_configENS1_25partition_config_selectorILNS1_17partition_subalgoE6EiNS0_10empty_typeEbEEZZNS1_14partition_implILS5_6ELb0ES3_mN6thrust23THRUST_200600_302600_NS6detail15normal_iteratorINSA_10device_ptrIiEEEEPS6_SG_NS0_5tupleIJSF_S6_EEENSH_IJSG_SG_EEES6_PlJNSB_9not_fun_tI7is_evenIiEEEEEE10hipError_tPvRmT3_T4_T5_T6_T7_T9_mT8_P12ihipStream_tbDpT10_ENKUlT_T0_E_clISt17integral_constantIbLb0EES18_EEDaS13_S14_EUlS13_E_NS1_11comp_targetILNS1_3genE3ELNS1_11target_archE908ELNS1_3gpuE7ELNS1_3repE0EEENS1_30default_config_static_selectorELNS0_4arch9wavefront6targetE0EEEvT1_
	.p2align	8
	.type	_ZN7rocprim17ROCPRIM_400000_NS6detail17trampoline_kernelINS0_14default_configENS1_25partition_config_selectorILNS1_17partition_subalgoE6EiNS0_10empty_typeEbEEZZNS1_14partition_implILS5_6ELb0ES3_mN6thrust23THRUST_200600_302600_NS6detail15normal_iteratorINSA_10device_ptrIiEEEEPS6_SG_NS0_5tupleIJSF_S6_EEENSH_IJSG_SG_EEES6_PlJNSB_9not_fun_tI7is_evenIiEEEEEE10hipError_tPvRmT3_T4_T5_T6_T7_T9_mT8_P12ihipStream_tbDpT10_ENKUlT_T0_E_clISt17integral_constantIbLb0EES18_EEDaS13_S14_EUlS13_E_NS1_11comp_targetILNS1_3genE3ELNS1_11target_archE908ELNS1_3gpuE7ELNS1_3repE0EEENS1_30default_config_static_selectorELNS0_4arch9wavefront6targetE0EEEvT1_,@function
_ZN7rocprim17ROCPRIM_400000_NS6detail17trampoline_kernelINS0_14default_configENS1_25partition_config_selectorILNS1_17partition_subalgoE6EiNS0_10empty_typeEbEEZZNS1_14partition_implILS5_6ELb0ES3_mN6thrust23THRUST_200600_302600_NS6detail15normal_iteratorINSA_10device_ptrIiEEEEPS6_SG_NS0_5tupleIJSF_S6_EEENSH_IJSG_SG_EEES6_PlJNSB_9not_fun_tI7is_evenIiEEEEEE10hipError_tPvRmT3_T4_T5_T6_T7_T9_mT8_P12ihipStream_tbDpT10_ENKUlT_T0_E_clISt17integral_constantIbLb0EES18_EEDaS13_S14_EUlS13_E_NS1_11comp_targetILNS1_3genE3ELNS1_11target_archE908ELNS1_3gpuE7ELNS1_3repE0EEENS1_30default_config_static_selectorELNS0_4arch9wavefront6targetE0EEEvT1_: ; @_ZN7rocprim17ROCPRIM_400000_NS6detail17trampoline_kernelINS0_14default_configENS1_25partition_config_selectorILNS1_17partition_subalgoE6EiNS0_10empty_typeEbEEZZNS1_14partition_implILS5_6ELb0ES3_mN6thrust23THRUST_200600_302600_NS6detail15normal_iteratorINSA_10device_ptrIiEEEEPS6_SG_NS0_5tupleIJSF_S6_EEENSH_IJSG_SG_EEES6_PlJNSB_9not_fun_tI7is_evenIiEEEEEE10hipError_tPvRmT3_T4_T5_T6_T7_T9_mT8_P12ihipStream_tbDpT10_ENKUlT_T0_E_clISt17integral_constantIbLb0EES18_EEDaS13_S14_EUlS13_E_NS1_11comp_targetILNS1_3genE3ELNS1_11target_archE908ELNS1_3gpuE7ELNS1_3repE0EEENS1_30default_config_static_selectorELNS0_4arch9wavefront6targetE0EEEvT1_
; %bb.0:
	.section	.rodata,"a",@progbits
	.p2align	6, 0x0
	.amdhsa_kernel _ZN7rocprim17ROCPRIM_400000_NS6detail17trampoline_kernelINS0_14default_configENS1_25partition_config_selectorILNS1_17partition_subalgoE6EiNS0_10empty_typeEbEEZZNS1_14partition_implILS5_6ELb0ES3_mN6thrust23THRUST_200600_302600_NS6detail15normal_iteratorINSA_10device_ptrIiEEEEPS6_SG_NS0_5tupleIJSF_S6_EEENSH_IJSG_SG_EEES6_PlJNSB_9not_fun_tI7is_evenIiEEEEEE10hipError_tPvRmT3_T4_T5_T6_T7_T9_mT8_P12ihipStream_tbDpT10_ENKUlT_T0_E_clISt17integral_constantIbLb0EES18_EEDaS13_S14_EUlS13_E_NS1_11comp_targetILNS1_3genE3ELNS1_11target_archE908ELNS1_3gpuE7ELNS1_3repE0EEENS1_30default_config_static_selectorELNS0_4arch9wavefront6targetE0EEEvT1_
		.amdhsa_group_segment_fixed_size 0
		.amdhsa_private_segment_fixed_size 0
		.amdhsa_kernarg_size 112
		.amdhsa_user_sgpr_count 2
		.amdhsa_user_sgpr_dispatch_ptr 0
		.amdhsa_user_sgpr_queue_ptr 0
		.amdhsa_user_sgpr_kernarg_segment_ptr 1
		.amdhsa_user_sgpr_dispatch_id 0
		.amdhsa_user_sgpr_private_segment_size 0
		.amdhsa_wavefront_size32 1
		.amdhsa_uses_dynamic_stack 0
		.amdhsa_enable_private_segment 0
		.amdhsa_system_sgpr_workgroup_id_x 1
		.amdhsa_system_sgpr_workgroup_id_y 0
		.amdhsa_system_sgpr_workgroup_id_z 0
		.amdhsa_system_sgpr_workgroup_info 0
		.amdhsa_system_vgpr_workitem_id 0
		.amdhsa_next_free_vgpr 1
		.amdhsa_next_free_sgpr 1
		.amdhsa_reserve_vcc 0
		.amdhsa_float_round_mode_32 0
		.amdhsa_float_round_mode_16_64 0
		.amdhsa_float_denorm_mode_32 3
		.amdhsa_float_denorm_mode_16_64 3
		.amdhsa_fp16_overflow 0
		.amdhsa_workgroup_processor_mode 1
		.amdhsa_memory_ordered 1
		.amdhsa_forward_progress 1
		.amdhsa_inst_pref_size 0
		.amdhsa_round_robin_scheduling 0
		.amdhsa_exception_fp_ieee_invalid_op 0
		.amdhsa_exception_fp_denorm_src 0
		.amdhsa_exception_fp_ieee_div_zero 0
		.amdhsa_exception_fp_ieee_overflow 0
		.amdhsa_exception_fp_ieee_underflow 0
		.amdhsa_exception_fp_ieee_inexact 0
		.amdhsa_exception_int_div_zero 0
	.end_amdhsa_kernel
	.section	.text._ZN7rocprim17ROCPRIM_400000_NS6detail17trampoline_kernelINS0_14default_configENS1_25partition_config_selectorILNS1_17partition_subalgoE6EiNS0_10empty_typeEbEEZZNS1_14partition_implILS5_6ELb0ES3_mN6thrust23THRUST_200600_302600_NS6detail15normal_iteratorINSA_10device_ptrIiEEEEPS6_SG_NS0_5tupleIJSF_S6_EEENSH_IJSG_SG_EEES6_PlJNSB_9not_fun_tI7is_evenIiEEEEEE10hipError_tPvRmT3_T4_T5_T6_T7_T9_mT8_P12ihipStream_tbDpT10_ENKUlT_T0_E_clISt17integral_constantIbLb0EES18_EEDaS13_S14_EUlS13_E_NS1_11comp_targetILNS1_3genE3ELNS1_11target_archE908ELNS1_3gpuE7ELNS1_3repE0EEENS1_30default_config_static_selectorELNS0_4arch9wavefront6targetE0EEEvT1_,"axG",@progbits,_ZN7rocprim17ROCPRIM_400000_NS6detail17trampoline_kernelINS0_14default_configENS1_25partition_config_selectorILNS1_17partition_subalgoE6EiNS0_10empty_typeEbEEZZNS1_14partition_implILS5_6ELb0ES3_mN6thrust23THRUST_200600_302600_NS6detail15normal_iteratorINSA_10device_ptrIiEEEEPS6_SG_NS0_5tupleIJSF_S6_EEENSH_IJSG_SG_EEES6_PlJNSB_9not_fun_tI7is_evenIiEEEEEE10hipError_tPvRmT3_T4_T5_T6_T7_T9_mT8_P12ihipStream_tbDpT10_ENKUlT_T0_E_clISt17integral_constantIbLb0EES18_EEDaS13_S14_EUlS13_E_NS1_11comp_targetILNS1_3genE3ELNS1_11target_archE908ELNS1_3gpuE7ELNS1_3repE0EEENS1_30default_config_static_selectorELNS0_4arch9wavefront6targetE0EEEvT1_,comdat
.Lfunc_end728:
	.size	_ZN7rocprim17ROCPRIM_400000_NS6detail17trampoline_kernelINS0_14default_configENS1_25partition_config_selectorILNS1_17partition_subalgoE6EiNS0_10empty_typeEbEEZZNS1_14partition_implILS5_6ELb0ES3_mN6thrust23THRUST_200600_302600_NS6detail15normal_iteratorINSA_10device_ptrIiEEEEPS6_SG_NS0_5tupleIJSF_S6_EEENSH_IJSG_SG_EEES6_PlJNSB_9not_fun_tI7is_evenIiEEEEEE10hipError_tPvRmT3_T4_T5_T6_T7_T9_mT8_P12ihipStream_tbDpT10_ENKUlT_T0_E_clISt17integral_constantIbLb0EES18_EEDaS13_S14_EUlS13_E_NS1_11comp_targetILNS1_3genE3ELNS1_11target_archE908ELNS1_3gpuE7ELNS1_3repE0EEENS1_30default_config_static_selectorELNS0_4arch9wavefront6targetE0EEEvT1_, .Lfunc_end728-_ZN7rocprim17ROCPRIM_400000_NS6detail17trampoline_kernelINS0_14default_configENS1_25partition_config_selectorILNS1_17partition_subalgoE6EiNS0_10empty_typeEbEEZZNS1_14partition_implILS5_6ELb0ES3_mN6thrust23THRUST_200600_302600_NS6detail15normal_iteratorINSA_10device_ptrIiEEEEPS6_SG_NS0_5tupleIJSF_S6_EEENSH_IJSG_SG_EEES6_PlJNSB_9not_fun_tI7is_evenIiEEEEEE10hipError_tPvRmT3_T4_T5_T6_T7_T9_mT8_P12ihipStream_tbDpT10_ENKUlT_T0_E_clISt17integral_constantIbLb0EES18_EEDaS13_S14_EUlS13_E_NS1_11comp_targetILNS1_3genE3ELNS1_11target_archE908ELNS1_3gpuE7ELNS1_3repE0EEENS1_30default_config_static_selectorELNS0_4arch9wavefront6targetE0EEEvT1_
                                        ; -- End function
	.set _ZN7rocprim17ROCPRIM_400000_NS6detail17trampoline_kernelINS0_14default_configENS1_25partition_config_selectorILNS1_17partition_subalgoE6EiNS0_10empty_typeEbEEZZNS1_14partition_implILS5_6ELb0ES3_mN6thrust23THRUST_200600_302600_NS6detail15normal_iteratorINSA_10device_ptrIiEEEEPS6_SG_NS0_5tupleIJSF_S6_EEENSH_IJSG_SG_EEES6_PlJNSB_9not_fun_tI7is_evenIiEEEEEE10hipError_tPvRmT3_T4_T5_T6_T7_T9_mT8_P12ihipStream_tbDpT10_ENKUlT_T0_E_clISt17integral_constantIbLb0EES18_EEDaS13_S14_EUlS13_E_NS1_11comp_targetILNS1_3genE3ELNS1_11target_archE908ELNS1_3gpuE7ELNS1_3repE0EEENS1_30default_config_static_selectorELNS0_4arch9wavefront6targetE0EEEvT1_.num_vgpr, 0
	.set _ZN7rocprim17ROCPRIM_400000_NS6detail17trampoline_kernelINS0_14default_configENS1_25partition_config_selectorILNS1_17partition_subalgoE6EiNS0_10empty_typeEbEEZZNS1_14partition_implILS5_6ELb0ES3_mN6thrust23THRUST_200600_302600_NS6detail15normal_iteratorINSA_10device_ptrIiEEEEPS6_SG_NS0_5tupleIJSF_S6_EEENSH_IJSG_SG_EEES6_PlJNSB_9not_fun_tI7is_evenIiEEEEEE10hipError_tPvRmT3_T4_T5_T6_T7_T9_mT8_P12ihipStream_tbDpT10_ENKUlT_T0_E_clISt17integral_constantIbLb0EES18_EEDaS13_S14_EUlS13_E_NS1_11comp_targetILNS1_3genE3ELNS1_11target_archE908ELNS1_3gpuE7ELNS1_3repE0EEENS1_30default_config_static_selectorELNS0_4arch9wavefront6targetE0EEEvT1_.num_agpr, 0
	.set _ZN7rocprim17ROCPRIM_400000_NS6detail17trampoline_kernelINS0_14default_configENS1_25partition_config_selectorILNS1_17partition_subalgoE6EiNS0_10empty_typeEbEEZZNS1_14partition_implILS5_6ELb0ES3_mN6thrust23THRUST_200600_302600_NS6detail15normal_iteratorINSA_10device_ptrIiEEEEPS6_SG_NS0_5tupleIJSF_S6_EEENSH_IJSG_SG_EEES6_PlJNSB_9not_fun_tI7is_evenIiEEEEEE10hipError_tPvRmT3_T4_T5_T6_T7_T9_mT8_P12ihipStream_tbDpT10_ENKUlT_T0_E_clISt17integral_constantIbLb0EES18_EEDaS13_S14_EUlS13_E_NS1_11comp_targetILNS1_3genE3ELNS1_11target_archE908ELNS1_3gpuE7ELNS1_3repE0EEENS1_30default_config_static_selectorELNS0_4arch9wavefront6targetE0EEEvT1_.numbered_sgpr, 0
	.set _ZN7rocprim17ROCPRIM_400000_NS6detail17trampoline_kernelINS0_14default_configENS1_25partition_config_selectorILNS1_17partition_subalgoE6EiNS0_10empty_typeEbEEZZNS1_14partition_implILS5_6ELb0ES3_mN6thrust23THRUST_200600_302600_NS6detail15normal_iteratorINSA_10device_ptrIiEEEEPS6_SG_NS0_5tupleIJSF_S6_EEENSH_IJSG_SG_EEES6_PlJNSB_9not_fun_tI7is_evenIiEEEEEE10hipError_tPvRmT3_T4_T5_T6_T7_T9_mT8_P12ihipStream_tbDpT10_ENKUlT_T0_E_clISt17integral_constantIbLb0EES18_EEDaS13_S14_EUlS13_E_NS1_11comp_targetILNS1_3genE3ELNS1_11target_archE908ELNS1_3gpuE7ELNS1_3repE0EEENS1_30default_config_static_selectorELNS0_4arch9wavefront6targetE0EEEvT1_.num_named_barrier, 0
	.set _ZN7rocprim17ROCPRIM_400000_NS6detail17trampoline_kernelINS0_14default_configENS1_25partition_config_selectorILNS1_17partition_subalgoE6EiNS0_10empty_typeEbEEZZNS1_14partition_implILS5_6ELb0ES3_mN6thrust23THRUST_200600_302600_NS6detail15normal_iteratorINSA_10device_ptrIiEEEEPS6_SG_NS0_5tupleIJSF_S6_EEENSH_IJSG_SG_EEES6_PlJNSB_9not_fun_tI7is_evenIiEEEEEE10hipError_tPvRmT3_T4_T5_T6_T7_T9_mT8_P12ihipStream_tbDpT10_ENKUlT_T0_E_clISt17integral_constantIbLb0EES18_EEDaS13_S14_EUlS13_E_NS1_11comp_targetILNS1_3genE3ELNS1_11target_archE908ELNS1_3gpuE7ELNS1_3repE0EEENS1_30default_config_static_selectorELNS0_4arch9wavefront6targetE0EEEvT1_.private_seg_size, 0
	.set _ZN7rocprim17ROCPRIM_400000_NS6detail17trampoline_kernelINS0_14default_configENS1_25partition_config_selectorILNS1_17partition_subalgoE6EiNS0_10empty_typeEbEEZZNS1_14partition_implILS5_6ELb0ES3_mN6thrust23THRUST_200600_302600_NS6detail15normal_iteratorINSA_10device_ptrIiEEEEPS6_SG_NS0_5tupleIJSF_S6_EEENSH_IJSG_SG_EEES6_PlJNSB_9not_fun_tI7is_evenIiEEEEEE10hipError_tPvRmT3_T4_T5_T6_T7_T9_mT8_P12ihipStream_tbDpT10_ENKUlT_T0_E_clISt17integral_constantIbLb0EES18_EEDaS13_S14_EUlS13_E_NS1_11comp_targetILNS1_3genE3ELNS1_11target_archE908ELNS1_3gpuE7ELNS1_3repE0EEENS1_30default_config_static_selectorELNS0_4arch9wavefront6targetE0EEEvT1_.uses_vcc, 0
	.set _ZN7rocprim17ROCPRIM_400000_NS6detail17trampoline_kernelINS0_14default_configENS1_25partition_config_selectorILNS1_17partition_subalgoE6EiNS0_10empty_typeEbEEZZNS1_14partition_implILS5_6ELb0ES3_mN6thrust23THRUST_200600_302600_NS6detail15normal_iteratorINSA_10device_ptrIiEEEEPS6_SG_NS0_5tupleIJSF_S6_EEENSH_IJSG_SG_EEES6_PlJNSB_9not_fun_tI7is_evenIiEEEEEE10hipError_tPvRmT3_T4_T5_T6_T7_T9_mT8_P12ihipStream_tbDpT10_ENKUlT_T0_E_clISt17integral_constantIbLb0EES18_EEDaS13_S14_EUlS13_E_NS1_11comp_targetILNS1_3genE3ELNS1_11target_archE908ELNS1_3gpuE7ELNS1_3repE0EEENS1_30default_config_static_selectorELNS0_4arch9wavefront6targetE0EEEvT1_.uses_flat_scratch, 0
	.set _ZN7rocprim17ROCPRIM_400000_NS6detail17trampoline_kernelINS0_14default_configENS1_25partition_config_selectorILNS1_17partition_subalgoE6EiNS0_10empty_typeEbEEZZNS1_14partition_implILS5_6ELb0ES3_mN6thrust23THRUST_200600_302600_NS6detail15normal_iteratorINSA_10device_ptrIiEEEEPS6_SG_NS0_5tupleIJSF_S6_EEENSH_IJSG_SG_EEES6_PlJNSB_9not_fun_tI7is_evenIiEEEEEE10hipError_tPvRmT3_T4_T5_T6_T7_T9_mT8_P12ihipStream_tbDpT10_ENKUlT_T0_E_clISt17integral_constantIbLb0EES18_EEDaS13_S14_EUlS13_E_NS1_11comp_targetILNS1_3genE3ELNS1_11target_archE908ELNS1_3gpuE7ELNS1_3repE0EEENS1_30default_config_static_selectorELNS0_4arch9wavefront6targetE0EEEvT1_.has_dyn_sized_stack, 0
	.set _ZN7rocprim17ROCPRIM_400000_NS6detail17trampoline_kernelINS0_14default_configENS1_25partition_config_selectorILNS1_17partition_subalgoE6EiNS0_10empty_typeEbEEZZNS1_14partition_implILS5_6ELb0ES3_mN6thrust23THRUST_200600_302600_NS6detail15normal_iteratorINSA_10device_ptrIiEEEEPS6_SG_NS0_5tupleIJSF_S6_EEENSH_IJSG_SG_EEES6_PlJNSB_9not_fun_tI7is_evenIiEEEEEE10hipError_tPvRmT3_T4_T5_T6_T7_T9_mT8_P12ihipStream_tbDpT10_ENKUlT_T0_E_clISt17integral_constantIbLb0EES18_EEDaS13_S14_EUlS13_E_NS1_11comp_targetILNS1_3genE3ELNS1_11target_archE908ELNS1_3gpuE7ELNS1_3repE0EEENS1_30default_config_static_selectorELNS0_4arch9wavefront6targetE0EEEvT1_.has_recursion, 0
	.set _ZN7rocprim17ROCPRIM_400000_NS6detail17trampoline_kernelINS0_14default_configENS1_25partition_config_selectorILNS1_17partition_subalgoE6EiNS0_10empty_typeEbEEZZNS1_14partition_implILS5_6ELb0ES3_mN6thrust23THRUST_200600_302600_NS6detail15normal_iteratorINSA_10device_ptrIiEEEEPS6_SG_NS0_5tupleIJSF_S6_EEENSH_IJSG_SG_EEES6_PlJNSB_9not_fun_tI7is_evenIiEEEEEE10hipError_tPvRmT3_T4_T5_T6_T7_T9_mT8_P12ihipStream_tbDpT10_ENKUlT_T0_E_clISt17integral_constantIbLb0EES18_EEDaS13_S14_EUlS13_E_NS1_11comp_targetILNS1_3genE3ELNS1_11target_archE908ELNS1_3gpuE7ELNS1_3repE0EEENS1_30default_config_static_selectorELNS0_4arch9wavefront6targetE0EEEvT1_.has_indirect_call, 0
	.section	.AMDGPU.csdata,"",@progbits
; Kernel info:
; codeLenInByte = 0
; TotalNumSgprs: 0
; NumVgprs: 0
; ScratchSize: 0
; MemoryBound: 0
; FloatMode: 240
; IeeeMode: 1
; LDSByteSize: 0 bytes/workgroup (compile time only)
; SGPRBlocks: 0
; VGPRBlocks: 0
; NumSGPRsForWavesPerEU: 1
; NumVGPRsForWavesPerEU: 1
; Occupancy: 16
; WaveLimiterHint : 0
; COMPUTE_PGM_RSRC2:SCRATCH_EN: 0
; COMPUTE_PGM_RSRC2:USER_SGPR: 2
; COMPUTE_PGM_RSRC2:TRAP_HANDLER: 0
; COMPUTE_PGM_RSRC2:TGID_X_EN: 1
; COMPUTE_PGM_RSRC2:TGID_Y_EN: 0
; COMPUTE_PGM_RSRC2:TGID_Z_EN: 0
; COMPUTE_PGM_RSRC2:TIDIG_COMP_CNT: 0
	.section	.text._ZN7rocprim17ROCPRIM_400000_NS6detail17trampoline_kernelINS0_14default_configENS1_25partition_config_selectorILNS1_17partition_subalgoE6EiNS0_10empty_typeEbEEZZNS1_14partition_implILS5_6ELb0ES3_mN6thrust23THRUST_200600_302600_NS6detail15normal_iteratorINSA_10device_ptrIiEEEEPS6_SG_NS0_5tupleIJSF_S6_EEENSH_IJSG_SG_EEES6_PlJNSB_9not_fun_tI7is_evenIiEEEEEE10hipError_tPvRmT3_T4_T5_T6_T7_T9_mT8_P12ihipStream_tbDpT10_ENKUlT_T0_E_clISt17integral_constantIbLb0EES18_EEDaS13_S14_EUlS13_E_NS1_11comp_targetILNS1_3genE2ELNS1_11target_archE906ELNS1_3gpuE6ELNS1_3repE0EEENS1_30default_config_static_selectorELNS0_4arch9wavefront6targetE0EEEvT1_,"axG",@progbits,_ZN7rocprim17ROCPRIM_400000_NS6detail17trampoline_kernelINS0_14default_configENS1_25partition_config_selectorILNS1_17partition_subalgoE6EiNS0_10empty_typeEbEEZZNS1_14partition_implILS5_6ELb0ES3_mN6thrust23THRUST_200600_302600_NS6detail15normal_iteratorINSA_10device_ptrIiEEEEPS6_SG_NS0_5tupleIJSF_S6_EEENSH_IJSG_SG_EEES6_PlJNSB_9not_fun_tI7is_evenIiEEEEEE10hipError_tPvRmT3_T4_T5_T6_T7_T9_mT8_P12ihipStream_tbDpT10_ENKUlT_T0_E_clISt17integral_constantIbLb0EES18_EEDaS13_S14_EUlS13_E_NS1_11comp_targetILNS1_3genE2ELNS1_11target_archE906ELNS1_3gpuE6ELNS1_3repE0EEENS1_30default_config_static_selectorELNS0_4arch9wavefront6targetE0EEEvT1_,comdat
	.protected	_ZN7rocprim17ROCPRIM_400000_NS6detail17trampoline_kernelINS0_14default_configENS1_25partition_config_selectorILNS1_17partition_subalgoE6EiNS0_10empty_typeEbEEZZNS1_14partition_implILS5_6ELb0ES3_mN6thrust23THRUST_200600_302600_NS6detail15normal_iteratorINSA_10device_ptrIiEEEEPS6_SG_NS0_5tupleIJSF_S6_EEENSH_IJSG_SG_EEES6_PlJNSB_9not_fun_tI7is_evenIiEEEEEE10hipError_tPvRmT3_T4_T5_T6_T7_T9_mT8_P12ihipStream_tbDpT10_ENKUlT_T0_E_clISt17integral_constantIbLb0EES18_EEDaS13_S14_EUlS13_E_NS1_11comp_targetILNS1_3genE2ELNS1_11target_archE906ELNS1_3gpuE6ELNS1_3repE0EEENS1_30default_config_static_selectorELNS0_4arch9wavefront6targetE0EEEvT1_ ; -- Begin function _ZN7rocprim17ROCPRIM_400000_NS6detail17trampoline_kernelINS0_14default_configENS1_25partition_config_selectorILNS1_17partition_subalgoE6EiNS0_10empty_typeEbEEZZNS1_14partition_implILS5_6ELb0ES3_mN6thrust23THRUST_200600_302600_NS6detail15normal_iteratorINSA_10device_ptrIiEEEEPS6_SG_NS0_5tupleIJSF_S6_EEENSH_IJSG_SG_EEES6_PlJNSB_9not_fun_tI7is_evenIiEEEEEE10hipError_tPvRmT3_T4_T5_T6_T7_T9_mT8_P12ihipStream_tbDpT10_ENKUlT_T0_E_clISt17integral_constantIbLb0EES18_EEDaS13_S14_EUlS13_E_NS1_11comp_targetILNS1_3genE2ELNS1_11target_archE906ELNS1_3gpuE6ELNS1_3repE0EEENS1_30default_config_static_selectorELNS0_4arch9wavefront6targetE0EEEvT1_
	.globl	_ZN7rocprim17ROCPRIM_400000_NS6detail17trampoline_kernelINS0_14default_configENS1_25partition_config_selectorILNS1_17partition_subalgoE6EiNS0_10empty_typeEbEEZZNS1_14partition_implILS5_6ELb0ES3_mN6thrust23THRUST_200600_302600_NS6detail15normal_iteratorINSA_10device_ptrIiEEEEPS6_SG_NS0_5tupleIJSF_S6_EEENSH_IJSG_SG_EEES6_PlJNSB_9not_fun_tI7is_evenIiEEEEEE10hipError_tPvRmT3_T4_T5_T6_T7_T9_mT8_P12ihipStream_tbDpT10_ENKUlT_T0_E_clISt17integral_constantIbLb0EES18_EEDaS13_S14_EUlS13_E_NS1_11comp_targetILNS1_3genE2ELNS1_11target_archE906ELNS1_3gpuE6ELNS1_3repE0EEENS1_30default_config_static_selectorELNS0_4arch9wavefront6targetE0EEEvT1_
	.p2align	8
	.type	_ZN7rocprim17ROCPRIM_400000_NS6detail17trampoline_kernelINS0_14default_configENS1_25partition_config_selectorILNS1_17partition_subalgoE6EiNS0_10empty_typeEbEEZZNS1_14partition_implILS5_6ELb0ES3_mN6thrust23THRUST_200600_302600_NS6detail15normal_iteratorINSA_10device_ptrIiEEEEPS6_SG_NS0_5tupleIJSF_S6_EEENSH_IJSG_SG_EEES6_PlJNSB_9not_fun_tI7is_evenIiEEEEEE10hipError_tPvRmT3_T4_T5_T6_T7_T9_mT8_P12ihipStream_tbDpT10_ENKUlT_T0_E_clISt17integral_constantIbLb0EES18_EEDaS13_S14_EUlS13_E_NS1_11comp_targetILNS1_3genE2ELNS1_11target_archE906ELNS1_3gpuE6ELNS1_3repE0EEENS1_30default_config_static_selectorELNS0_4arch9wavefront6targetE0EEEvT1_,@function
_ZN7rocprim17ROCPRIM_400000_NS6detail17trampoline_kernelINS0_14default_configENS1_25partition_config_selectorILNS1_17partition_subalgoE6EiNS0_10empty_typeEbEEZZNS1_14partition_implILS5_6ELb0ES3_mN6thrust23THRUST_200600_302600_NS6detail15normal_iteratorINSA_10device_ptrIiEEEEPS6_SG_NS0_5tupleIJSF_S6_EEENSH_IJSG_SG_EEES6_PlJNSB_9not_fun_tI7is_evenIiEEEEEE10hipError_tPvRmT3_T4_T5_T6_T7_T9_mT8_P12ihipStream_tbDpT10_ENKUlT_T0_E_clISt17integral_constantIbLb0EES18_EEDaS13_S14_EUlS13_E_NS1_11comp_targetILNS1_3genE2ELNS1_11target_archE906ELNS1_3gpuE6ELNS1_3repE0EEENS1_30default_config_static_selectorELNS0_4arch9wavefront6targetE0EEEvT1_: ; @_ZN7rocprim17ROCPRIM_400000_NS6detail17trampoline_kernelINS0_14default_configENS1_25partition_config_selectorILNS1_17partition_subalgoE6EiNS0_10empty_typeEbEEZZNS1_14partition_implILS5_6ELb0ES3_mN6thrust23THRUST_200600_302600_NS6detail15normal_iteratorINSA_10device_ptrIiEEEEPS6_SG_NS0_5tupleIJSF_S6_EEENSH_IJSG_SG_EEES6_PlJNSB_9not_fun_tI7is_evenIiEEEEEE10hipError_tPvRmT3_T4_T5_T6_T7_T9_mT8_P12ihipStream_tbDpT10_ENKUlT_T0_E_clISt17integral_constantIbLb0EES18_EEDaS13_S14_EUlS13_E_NS1_11comp_targetILNS1_3genE2ELNS1_11target_archE906ELNS1_3gpuE6ELNS1_3repE0EEENS1_30default_config_static_selectorELNS0_4arch9wavefront6targetE0EEEvT1_
; %bb.0:
	.section	.rodata,"a",@progbits
	.p2align	6, 0x0
	.amdhsa_kernel _ZN7rocprim17ROCPRIM_400000_NS6detail17trampoline_kernelINS0_14default_configENS1_25partition_config_selectorILNS1_17partition_subalgoE6EiNS0_10empty_typeEbEEZZNS1_14partition_implILS5_6ELb0ES3_mN6thrust23THRUST_200600_302600_NS6detail15normal_iteratorINSA_10device_ptrIiEEEEPS6_SG_NS0_5tupleIJSF_S6_EEENSH_IJSG_SG_EEES6_PlJNSB_9not_fun_tI7is_evenIiEEEEEE10hipError_tPvRmT3_T4_T5_T6_T7_T9_mT8_P12ihipStream_tbDpT10_ENKUlT_T0_E_clISt17integral_constantIbLb0EES18_EEDaS13_S14_EUlS13_E_NS1_11comp_targetILNS1_3genE2ELNS1_11target_archE906ELNS1_3gpuE6ELNS1_3repE0EEENS1_30default_config_static_selectorELNS0_4arch9wavefront6targetE0EEEvT1_
		.amdhsa_group_segment_fixed_size 0
		.amdhsa_private_segment_fixed_size 0
		.amdhsa_kernarg_size 112
		.amdhsa_user_sgpr_count 2
		.amdhsa_user_sgpr_dispatch_ptr 0
		.amdhsa_user_sgpr_queue_ptr 0
		.amdhsa_user_sgpr_kernarg_segment_ptr 1
		.amdhsa_user_sgpr_dispatch_id 0
		.amdhsa_user_sgpr_private_segment_size 0
		.amdhsa_wavefront_size32 1
		.amdhsa_uses_dynamic_stack 0
		.amdhsa_enable_private_segment 0
		.amdhsa_system_sgpr_workgroup_id_x 1
		.amdhsa_system_sgpr_workgroup_id_y 0
		.amdhsa_system_sgpr_workgroup_id_z 0
		.amdhsa_system_sgpr_workgroup_info 0
		.amdhsa_system_vgpr_workitem_id 0
		.amdhsa_next_free_vgpr 1
		.amdhsa_next_free_sgpr 1
		.amdhsa_reserve_vcc 0
		.amdhsa_float_round_mode_32 0
		.amdhsa_float_round_mode_16_64 0
		.amdhsa_float_denorm_mode_32 3
		.amdhsa_float_denorm_mode_16_64 3
		.amdhsa_fp16_overflow 0
		.amdhsa_workgroup_processor_mode 1
		.amdhsa_memory_ordered 1
		.amdhsa_forward_progress 1
		.amdhsa_inst_pref_size 0
		.amdhsa_round_robin_scheduling 0
		.amdhsa_exception_fp_ieee_invalid_op 0
		.amdhsa_exception_fp_denorm_src 0
		.amdhsa_exception_fp_ieee_div_zero 0
		.amdhsa_exception_fp_ieee_overflow 0
		.amdhsa_exception_fp_ieee_underflow 0
		.amdhsa_exception_fp_ieee_inexact 0
		.amdhsa_exception_int_div_zero 0
	.end_amdhsa_kernel
	.section	.text._ZN7rocprim17ROCPRIM_400000_NS6detail17trampoline_kernelINS0_14default_configENS1_25partition_config_selectorILNS1_17partition_subalgoE6EiNS0_10empty_typeEbEEZZNS1_14partition_implILS5_6ELb0ES3_mN6thrust23THRUST_200600_302600_NS6detail15normal_iteratorINSA_10device_ptrIiEEEEPS6_SG_NS0_5tupleIJSF_S6_EEENSH_IJSG_SG_EEES6_PlJNSB_9not_fun_tI7is_evenIiEEEEEE10hipError_tPvRmT3_T4_T5_T6_T7_T9_mT8_P12ihipStream_tbDpT10_ENKUlT_T0_E_clISt17integral_constantIbLb0EES18_EEDaS13_S14_EUlS13_E_NS1_11comp_targetILNS1_3genE2ELNS1_11target_archE906ELNS1_3gpuE6ELNS1_3repE0EEENS1_30default_config_static_selectorELNS0_4arch9wavefront6targetE0EEEvT1_,"axG",@progbits,_ZN7rocprim17ROCPRIM_400000_NS6detail17trampoline_kernelINS0_14default_configENS1_25partition_config_selectorILNS1_17partition_subalgoE6EiNS0_10empty_typeEbEEZZNS1_14partition_implILS5_6ELb0ES3_mN6thrust23THRUST_200600_302600_NS6detail15normal_iteratorINSA_10device_ptrIiEEEEPS6_SG_NS0_5tupleIJSF_S6_EEENSH_IJSG_SG_EEES6_PlJNSB_9not_fun_tI7is_evenIiEEEEEE10hipError_tPvRmT3_T4_T5_T6_T7_T9_mT8_P12ihipStream_tbDpT10_ENKUlT_T0_E_clISt17integral_constantIbLb0EES18_EEDaS13_S14_EUlS13_E_NS1_11comp_targetILNS1_3genE2ELNS1_11target_archE906ELNS1_3gpuE6ELNS1_3repE0EEENS1_30default_config_static_selectorELNS0_4arch9wavefront6targetE0EEEvT1_,comdat
.Lfunc_end729:
	.size	_ZN7rocprim17ROCPRIM_400000_NS6detail17trampoline_kernelINS0_14default_configENS1_25partition_config_selectorILNS1_17partition_subalgoE6EiNS0_10empty_typeEbEEZZNS1_14partition_implILS5_6ELb0ES3_mN6thrust23THRUST_200600_302600_NS6detail15normal_iteratorINSA_10device_ptrIiEEEEPS6_SG_NS0_5tupleIJSF_S6_EEENSH_IJSG_SG_EEES6_PlJNSB_9not_fun_tI7is_evenIiEEEEEE10hipError_tPvRmT3_T4_T5_T6_T7_T9_mT8_P12ihipStream_tbDpT10_ENKUlT_T0_E_clISt17integral_constantIbLb0EES18_EEDaS13_S14_EUlS13_E_NS1_11comp_targetILNS1_3genE2ELNS1_11target_archE906ELNS1_3gpuE6ELNS1_3repE0EEENS1_30default_config_static_selectorELNS0_4arch9wavefront6targetE0EEEvT1_, .Lfunc_end729-_ZN7rocprim17ROCPRIM_400000_NS6detail17trampoline_kernelINS0_14default_configENS1_25partition_config_selectorILNS1_17partition_subalgoE6EiNS0_10empty_typeEbEEZZNS1_14partition_implILS5_6ELb0ES3_mN6thrust23THRUST_200600_302600_NS6detail15normal_iteratorINSA_10device_ptrIiEEEEPS6_SG_NS0_5tupleIJSF_S6_EEENSH_IJSG_SG_EEES6_PlJNSB_9not_fun_tI7is_evenIiEEEEEE10hipError_tPvRmT3_T4_T5_T6_T7_T9_mT8_P12ihipStream_tbDpT10_ENKUlT_T0_E_clISt17integral_constantIbLb0EES18_EEDaS13_S14_EUlS13_E_NS1_11comp_targetILNS1_3genE2ELNS1_11target_archE906ELNS1_3gpuE6ELNS1_3repE0EEENS1_30default_config_static_selectorELNS0_4arch9wavefront6targetE0EEEvT1_
                                        ; -- End function
	.set _ZN7rocprim17ROCPRIM_400000_NS6detail17trampoline_kernelINS0_14default_configENS1_25partition_config_selectorILNS1_17partition_subalgoE6EiNS0_10empty_typeEbEEZZNS1_14partition_implILS5_6ELb0ES3_mN6thrust23THRUST_200600_302600_NS6detail15normal_iteratorINSA_10device_ptrIiEEEEPS6_SG_NS0_5tupleIJSF_S6_EEENSH_IJSG_SG_EEES6_PlJNSB_9not_fun_tI7is_evenIiEEEEEE10hipError_tPvRmT3_T4_T5_T6_T7_T9_mT8_P12ihipStream_tbDpT10_ENKUlT_T0_E_clISt17integral_constantIbLb0EES18_EEDaS13_S14_EUlS13_E_NS1_11comp_targetILNS1_3genE2ELNS1_11target_archE906ELNS1_3gpuE6ELNS1_3repE0EEENS1_30default_config_static_selectorELNS0_4arch9wavefront6targetE0EEEvT1_.num_vgpr, 0
	.set _ZN7rocprim17ROCPRIM_400000_NS6detail17trampoline_kernelINS0_14default_configENS1_25partition_config_selectorILNS1_17partition_subalgoE6EiNS0_10empty_typeEbEEZZNS1_14partition_implILS5_6ELb0ES3_mN6thrust23THRUST_200600_302600_NS6detail15normal_iteratorINSA_10device_ptrIiEEEEPS6_SG_NS0_5tupleIJSF_S6_EEENSH_IJSG_SG_EEES6_PlJNSB_9not_fun_tI7is_evenIiEEEEEE10hipError_tPvRmT3_T4_T5_T6_T7_T9_mT8_P12ihipStream_tbDpT10_ENKUlT_T0_E_clISt17integral_constantIbLb0EES18_EEDaS13_S14_EUlS13_E_NS1_11comp_targetILNS1_3genE2ELNS1_11target_archE906ELNS1_3gpuE6ELNS1_3repE0EEENS1_30default_config_static_selectorELNS0_4arch9wavefront6targetE0EEEvT1_.num_agpr, 0
	.set _ZN7rocprim17ROCPRIM_400000_NS6detail17trampoline_kernelINS0_14default_configENS1_25partition_config_selectorILNS1_17partition_subalgoE6EiNS0_10empty_typeEbEEZZNS1_14partition_implILS5_6ELb0ES3_mN6thrust23THRUST_200600_302600_NS6detail15normal_iteratorINSA_10device_ptrIiEEEEPS6_SG_NS0_5tupleIJSF_S6_EEENSH_IJSG_SG_EEES6_PlJNSB_9not_fun_tI7is_evenIiEEEEEE10hipError_tPvRmT3_T4_T5_T6_T7_T9_mT8_P12ihipStream_tbDpT10_ENKUlT_T0_E_clISt17integral_constantIbLb0EES18_EEDaS13_S14_EUlS13_E_NS1_11comp_targetILNS1_3genE2ELNS1_11target_archE906ELNS1_3gpuE6ELNS1_3repE0EEENS1_30default_config_static_selectorELNS0_4arch9wavefront6targetE0EEEvT1_.numbered_sgpr, 0
	.set _ZN7rocprim17ROCPRIM_400000_NS6detail17trampoline_kernelINS0_14default_configENS1_25partition_config_selectorILNS1_17partition_subalgoE6EiNS0_10empty_typeEbEEZZNS1_14partition_implILS5_6ELb0ES3_mN6thrust23THRUST_200600_302600_NS6detail15normal_iteratorINSA_10device_ptrIiEEEEPS6_SG_NS0_5tupleIJSF_S6_EEENSH_IJSG_SG_EEES6_PlJNSB_9not_fun_tI7is_evenIiEEEEEE10hipError_tPvRmT3_T4_T5_T6_T7_T9_mT8_P12ihipStream_tbDpT10_ENKUlT_T0_E_clISt17integral_constantIbLb0EES18_EEDaS13_S14_EUlS13_E_NS1_11comp_targetILNS1_3genE2ELNS1_11target_archE906ELNS1_3gpuE6ELNS1_3repE0EEENS1_30default_config_static_selectorELNS0_4arch9wavefront6targetE0EEEvT1_.num_named_barrier, 0
	.set _ZN7rocprim17ROCPRIM_400000_NS6detail17trampoline_kernelINS0_14default_configENS1_25partition_config_selectorILNS1_17partition_subalgoE6EiNS0_10empty_typeEbEEZZNS1_14partition_implILS5_6ELb0ES3_mN6thrust23THRUST_200600_302600_NS6detail15normal_iteratorINSA_10device_ptrIiEEEEPS6_SG_NS0_5tupleIJSF_S6_EEENSH_IJSG_SG_EEES6_PlJNSB_9not_fun_tI7is_evenIiEEEEEE10hipError_tPvRmT3_T4_T5_T6_T7_T9_mT8_P12ihipStream_tbDpT10_ENKUlT_T0_E_clISt17integral_constantIbLb0EES18_EEDaS13_S14_EUlS13_E_NS1_11comp_targetILNS1_3genE2ELNS1_11target_archE906ELNS1_3gpuE6ELNS1_3repE0EEENS1_30default_config_static_selectorELNS0_4arch9wavefront6targetE0EEEvT1_.private_seg_size, 0
	.set _ZN7rocprim17ROCPRIM_400000_NS6detail17trampoline_kernelINS0_14default_configENS1_25partition_config_selectorILNS1_17partition_subalgoE6EiNS0_10empty_typeEbEEZZNS1_14partition_implILS5_6ELb0ES3_mN6thrust23THRUST_200600_302600_NS6detail15normal_iteratorINSA_10device_ptrIiEEEEPS6_SG_NS0_5tupleIJSF_S6_EEENSH_IJSG_SG_EEES6_PlJNSB_9not_fun_tI7is_evenIiEEEEEE10hipError_tPvRmT3_T4_T5_T6_T7_T9_mT8_P12ihipStream_tbDpT10_ENKUlT_T0_E_clISt17integral_constantIbLb0EES18_EEDaS13_S14_EUlS13_E_NS1_11comp_targetILNS1_3genE2ELNS1_11target_archE906ELNS1_3gpuE6ELNS1_3repE0EEENS1_30default_config_static_selectorELNS0_4arch9wavefront6targetE0EEEvT1_.uses_vcc, 0
	.set _ZN7rocprim17ROCPRIM_400000_NS6detail17trampoline_kernelINS0_14default_configENS1_25partition_config_selectorILNS1_17partition_subalgoE6EiNS0_10empty_typeEbEEZZNS1_14partition_implILS5_6ELb0ES3_mN6thrust23THRUST_200600_302600_NS6detail15normal_iteratorINSA_10device_ptrIiEEEEPS6_SG_NS0_5tupleIJSF_S6_EEENSH_IJSG_SG_EEES6_PlJNSB_9not_fun_tI7is_evenIiEEEEEE10hipError_tPvRmT3_T4_T5_T6_T7_T9_mT8_P12ihipStream_tbDpT10_ENKUlT_T0_E_clISt17integral_constantIbLb0EES18_EEDaS13_S14_EUlS13_E_NS1_11comp_targetILNS1_3genE2ELNS1_11target_archE906ELNS1_3gpuE6ELNS1_3repE0EEENS1_30default_config_static_selectorELNS0_4arch9wavefront6targetE0EEEvT1_.uses_flat_scratch, 0
	.set _ZN7rocprim17ROCPRIM_400000_NS6detail17trampoline_kernelINS0_14default_configENS1_25partition_config_selectorILNS1_17partition_subalgoE6EiNS0_10empty_typeEbEEZZNS1_14partition_implILS5_6ELb0ES3_mN6thrust23THRUST_200600_302600_NS6detail15normal_iteratorINSA_10device_ptrIiEEEEPS6_SG_NS0_5tupleIJSF_S6_EEENSH_IJSG_SG_EEES6_PlJNSB_9not_fun_tI7is_evenIiEEEEEE10hipError_tPvRmT3_T4_T5_T6_T7_T9_mT8_P12ihipStream_tbDpT10_ENKUlT_T0_E_clISt17integral_constantIbLb0EES18_EEDaS13_S14_EUlS13_E_NS1_11comp_targetILNS1_3genE2ELNS1_11target_archE906ELNS1_3gpuE6ELNS1_3repE0EEENS1_30default_config_static_selectorELNS0_4arch9wavefront6targetE0EEEvT1_.has_dyn_sized_stack, 0
	.set _ZN7rocprim17ROCPRIM_400000_NS6detail17trampoline_kernelINS0_14default_configENS1_25partition_config_selectorILNS1_17partition_subalgoE6EiNS0_10empty_typeEbEEZZNS1_14partition_implILS5_6ELb0ES3_mN6thrust23THRUST_200600_302600_NS6detail15normal_iteratorINSA_10device_ptrIiEEEEPS6_SG_NS0_5tupleIJSF_S6_EEENSH_IJSG_SG_EEES6_PlJNSB_9not_fun_tI7is_evenIiEEEEEE10hipError_tPvRmT3_T4_T5_T6_T7_T9_mT8_P12ihipStream_tbDpT10_ENKUlT_T0_E_clISt17integral_constantIbLb0EES18_EEDaS13_S14_EUlS13_E_NS1_11comp_targetILNS1_3genE2ELNS1_11target_archE906ELNS1_3gpuE6ELNS1_3repE0EEENS1_30default_config_static_selectorELNS0_4arch9wavefront6targetE0EEEvT1_.has_recursion, 0
	.set _ZN7rocprim17ROCPRIM_400000_NS6detail17trampoline_kernelINS0_14default_configENS1_25partition_config_selectorILNS1_17partition_subalgoE6EiNS0_10empty_typeEbEEZZNS1_14partition_implILS5_6ELb0ES3_mN6thrust23THRUST_200600_302600_NS6detail15normal_iteratorINSA_10device_ptrIiEEEEPS6_SG_NS0_5tupleIJSF_S6_EEENSH_IJSG_SG_EEES6_PlJNSB_9not_fun_tI7is_evenIiEEEEEE10hipError_tPvRmT3_T4_T5_T6_T7_T9_mT8_P12ihipStream_tbDpT10_ENKUlT_T0_E_clISt17integral_constantIbLb0EES18_EEDaS13_S14_EUlS13_E_NS1_11comp_targetILNS1_3genE2ELNS1_11target_archE906ELNS1_3gpuE6ELNS1_3repE0EEENS1_30default_config_static_selectorELNS0_4arch9wavefront6targetE0EEEvT1_.has_indirect_call, 0
	.section	.AMDGPU.csdata,"",@progbits
; Kernel info:
; codeLenInByte = 0
; TotalNumSgprs: 0
; NumVgprs: 0
; ScratchSize: 0
; MemoryBound: 0
; FloatMode: 240
; IeeeMode: 1
; LDSByteSize: 0 bytes/workgroup (compile time only)
; SGPRBlocks: 0
; VGPRBlocks: 0
; NumSGPRsForWavesPerEU: 1
; NumVGPRsForWavesPerEU: 1
; Occupancy: 16
; WaveLimiterHint : 0
; COMPUTE_PGM_RSRC2:SCRATCH_EN: 0
; COMPUTE_PGM_RSRC2:USER_SGPR: 2
; COMPUTE_PGM_RSRC2:TRAP_HANDLER: 0
; COMPUTE_PGM_RSRC2:TGID_X_EN: 1
; COMPUTE_PGM_RSRC2:TGID_Y_EN: 0
; COMPUTE_PGM_RSRC2:TGID_Z_EN: 0
; COMPUTE_PGM_RSRC2:TIDIG_COMP_CNT: 0
	.section	.text._ZN7rocprim17ROCPRIM_400000_NS6detail17trampoline_kernelINS0_14default_configENS1_25partition_config_selectorILNS1_17partition_subalgoE6EiNS0_10empty_typeEbEEZZNS1_14partition_implILS5_6ELb0ES3_mN6thrust23THRUST_200600_302600_NS6detail15normal_iteratorINSA_10device_ptrIiEEEEPS6_SG_NS0_5tupleIJSF_S6_EEENSH_IJSG_SG_EEES6_PlJNSB_9not_fun_tI7is_evenIiEEEEEE10hipError_tPvRmT3_T4_T5_T6_T7_T9_mT8_P12ihipStream_tbDpT10_ENKUlT_T0_E_clISt17integral_constantIbLb0EES18_EEDaS13_S14_EUlS13_E_NS1_11comp_targetILNS1_3genE10ELNS1_11target_archE1200ELNS1_3gpuE4ELNS1_3repE0EEENS1_30default_config_static_selectorELNS0_4arch9wavefront6targetE0EEEvT1_,"axG",@progbits,_ZN7rocprim17ROCPRIM_400000_NS6detail17trampoline_kernelINS0_14default_configENS1_25partition_config_selectorILNS1_17partition_subalgoE6EiNS0_10empty_typeEbEEZZNS1_14partition_implILS5_6ELb0ES3_mN6thrust23THRUST_200600_302600_NS6detail15normal_iteratorINSA_10device_ptrIiEEEEPS6_SG_NS0_5tupleIJSF_S6_EEENSH_IJSG_SG_EEES6_PlJNSB_9not_fun_tI7is_evenIiEEEEEE10hipError_tPvRmT3_T4_T5_T6_T7_T9_mT8_P12ihipStream_tbDpT10_ENKUlT_T0_E_clISt17integral_constantIbLb0EES18_EEDaS13_S14_EUlS13_E_NS1_11comp_targetILNS1_3genE10ELNS1_11target_archE1200ELNS1_3gpuE4ELNS1_3repE0EEENS1_30default_config_static_selectorELNS0_4arch9wavefront6targetE0EEEvT1_,comdat
	.protected	_ZN7rocprim17ROCPRIM_400000_NS6detail17trampoline_kernelINS0_14default_configENS1_25partition_config_selectorILNS1_17partition_subalgoE6EiNS0_10empty_typeEbEEZZNS1_14partition_implILS5_6ELb0ES3_mN6thrust23THRUST_200600_302600_NS6detail15normal_iteratorINSA_10device_ptrIiEEEEPS6_SG_NS0_5tupleIJSF_S6_EEENSH_IJSG_SG_EEES6_PlJNSB_9not_fun_tI7is_evenIiEEEEEE10hipError_tPvRmT3_T4_T5_T6_T7_T9_mT8_P12ihipStream_tbDpT10_ENKUlT_T0_E_clISt17integral_constantIbLb0EES18_EEDaS13_S14_EUlS13_E_NS1_11comp_targetILNS1_3genE10ELNS1_11target_archE1200ELNS1_3gpuE4ELNS1_3repE0EEENS1_30default_config_static_selectorELNS0_4arch9wavefront6targetE0EEEvT1_ ; -- Begin function _ZN7rocprim17ROCPRIM_400000_NS6detail17trampoline_kernelINS0_14default_configENS1_25partition_config_selectorILNS1_17partition_subalgoE6EiNS0_10empty_typeEbEEZZNS1_14partition_implILS5_6ELb0ES3_mN6thrust23THRUST_200600_302600_NS6detail15normal_iteratorINSA_10device_ptrIiEEEEPS6_SG_NS0_5tupleIJSF_S6_EEENSH_IJSG_SG_EEES6_PlJNSB_9not_fun_tI7is_evenIiEEEEEE10hipError_tPvRmT3_T4_T5_T6_T7_T9_mT8_P12ihipStream_tbDpT10_ENKUlT_T0_E_clISt17integral_constantIbLb0EES18_EEDaS13_S14_EUlS13_E_NS1_11comp_targetILNS1_3genE10ELNS1_11target_archE1200ELNS1_3gpuE4ELNS1_3repE0EEENS1_30default_config_static_selectorELNS0_4arch9wavefront6targetE0EEEvT1_
	.globl	_ZN7rocprim17ROCPRIM_400000_NS6detail17trampoline_kernelINS0_14default_configENS1_25partition_config_selectorILNS1_17partition_subalgoE6EiNS0_10empty_typeEbEEZZNS1_14partition_implILS5_6ELb0ES3_mN6thrust23THRUST_200600_302600_NS6detail15normal_iteratorINSA_10device_ptrIiEEEEPS6_SG_NS0_5tupleIJSF_S6_EEENSH_IJSG_SG_EEES6_PlJNSB_9not_fun_tI7is_evenIiEEEEEE10hipError_tPvRmT3_T4_T5_T6_T7_T9_mT8_P12ihipStream_tbDpT10_ENKUlT_T0_E_clISt17integral_constantIbLb0EES18_EEDaS13_S14_EUlS13_E_NS1_11comp_targetILNS1_3genE10ELNS1_11target_archE1200ELNS1_3gpuE4ELNS1_3repE0EEENS1_30default_config_static_selectorELNS0_4arch9wavefront6targetE0EEEvT1_
	.p2align	8
	.type	_ZN7rocprim17ROCPRIM_400000_NS6detail17trampoline_kernelINS0_14default_configENS1_25partition_config_selectorILNS1_17partition_subalgoE6EiNS0_10empty_typeEbEEZZNS1_14partition_implILS5_6ELb0ES3_mN6thrust23THRUST_200600_302600_NS6detail15normal_iteratorINSA_10device_ptrIiEEEEPS6_SG_NS0_5tupleIJSF_S6_EEENSH_IJSG_SG_EEES6_PlJNSB_9not_fun_tI7is_evenIiEEEEEE10hipError_tPvRmT3_T4_T5_T6_T7_T9_mT8_P12ihipStream_tbDpT10_ENKUlT_T0_E_clISt17integral_constantIbLb0EES18_EEDaS13_S14_EUlS13_E_NS1_11comp_targetILNS1_3genE10ELNS1_11target_archE1200ELNS1_3gpuE4ELNS1_3repE0EEENS1_30default_config_static_selectorELNS0_4arch9wavefront6targetE0EEEvT1_,@function
_ZN7rocprim17ROCPRIM_400000_NS6detail17trampoline_kernelINS0_14default_configENS1_25partition_config_selectorILNS1_17partition_subalgoE6EiNS0_10empty_typeEbEEZZNS1_14partition_implILS5_6ELb0ES3_mN6thrust23THRUST_200600_302600_NS6detail15normal_iteratorINSA_10device_ptrIiEEEEPS6_SG_NS0_5tupleIJSF_S6_EEENSH_IJSG_SG_EEES6_PlJNSB_9not_fun_tI7is_evenIiEEEEEE10hipError_tPvRmT3_T4_T5_T6_T7_T9_mT8_P12ihipStream_tbDpT10_ENKUlT_T0_E_clISt17integral_constantIbLb0EES18_EEDaS13_S14_EUlS13_E_NS1_11comp_targetILNS1_3genE10ELNS1_11target_archE1200ELNS1_3gpuE4ELNS1_3repE0EEENS1_30default_config_static_selectorELNS0_4arch9wavefront6targetE0EEEvT1_: ; @_ZN7rocprim17ROCPRIM_400000_NS6detail17trampoline_kernelINS0_14default_configENS1_25partition_config_selectorILNS1_17partition_subalgoE6EiNS0_10empty_typeEbEEZZNS1_14partition_implILS5_6ELb0ES3_mN6thrust23THRUST_200600_302600_NS6detail15normal_iteratorINSA_10device_ptrIiEEEEPS6_SG_NS0_5tupleIJSF_S6_EEENSH_IJSG_SG_EEES6_PlJNSB_9not_fun_tI7is_evenIiEEEEEE10hipError_tPvRmT3_T4_T5_T6_T7_T9_mT8_P12ihipStream_tbDpT10_ENKUlT_T0_E_clISt17integral_constantIbLb0EES18_EEDaS13_S14_EUlS13_E_NS1_11comp_targetILNS1_3genE10ELNS1_11target_archE1200ELNS1_3gpuE4ELNS1_3repE0EEENS1_30default_config_static_selectorELNS0_4arch9wavefront6targetE0EEEvT1_
; %bb.0:
	s_clause 0x3
	s_load_b128 s[12:15], s[0:1], 0x8
	s_load_b128 s[8:11], s[0:1], 0x40
	s_load_b32 s16, s[0:1], 0x68
	s_load_b64 s[2:3], s[0:1], 0x50
	s_mov_b32 s17, 0
	v_lshlrev_b32_e32 v8, 2, v0
	s_wait_kmcnt 0x0
	s_lshl_b64 s[4:5], s[14:15], 2
	s_load_b64 s[6:7], s[10:11], 0x0
	s_add_co_i32 s18, s16, -1
	s_mulk_i32 s16, 0xa80
	s_add_nc_u64 s[10:11], s[12:13], s[4:5]
	s_add_nc_u64 s[4:5], s[14:15], s[16:17]
	s_add_co_i32 s12, s16, s14
	v_cmp_le_u64_e64 s3, s[2:3], s[4:5]
	s_sub_co_i32 s4, s2, s12
	s_cmp_eq_u32 ttmp9, s18
	s_mul_i32 s16, ttmp9, 0xa80
	s_cselect_b32 s12, -1, 0
	s_mov_b32 s5, -1
	s_and_b32 s2, s12, s3
	s_wait_alu 0xfffe
	s_xor_b32 s13, s2, -1
	s_lshl_b64 s[2:3], s[16:17], 2
	s_and_b32 vcc_lo, exec_lo, s13
	s_wait_alu 0xfffe
	s_add_nc_u64 s[2:3], s[10:11], s[2:3]
	s_cbranch_vccz .LBB730_2
; %bb.1:
	s_wait_alu 0xfffe
	v_add_co_u32 v1, s5, s2, v8
	s_wait_alu 0xf1ff
	v_add_co_ci_u32_e64 v2, null, s3, 0, s5
	s_mov_b32 s5, 0
	s_clause 0x6
	flat_load_b32 v3, v[1:2]
	flat_load_b32 v4, v[1:2] offset:1536
	flat_load_b32 v5, v[1:2] offset:3072
	;; [unrolled: 1-line block ×6, first 2 shown]
	s_wait_loadcnt_dscnt 0x505
	ds_store_2addr_stride64_b32 v8, v3, v4 offset1:6
	s_wait_loadcnt_dscnt 0x304
	ds_store_2addr_stride64_b32 v8, v5, v6 offset0:12 offset1:18
	s_wait_loadcnt_dscnt 0x103
	ds_store_2addr_stride64_b32 v8, v7, v9 offset0:24 offset1:30
	s_wait_loadcnt_dscnt 0x3
	ds_store_b32 v8, v1 offset:9216
	s_wait_dscnt 0x0
	s_barrier_signal -1
	s_barrier_wait -1
.LBB730_2:
	s_wait_alu 0xfffe
	s_and_not1_b32 vcc_lo, exec_lo, s5
	s_addk_co_i32 s4, 0xa80
	s_cbranch_vccnz .LBB730_18
; %bb.3:
	v_mov_b32_e32 v1, 0
	s_mov_b32 s5, exec_lo
	s_delay_alu instid0(VALU_DEP_1)
	v_dual_mov_b32 v2, v1 :: v_dual_mov_b32 v3, v1
	v_dual_mov_b32 v4, v1 :: v_dual_mov_b32 v5, v1
	;; [unrolled: 1-line block ×3, first 2 shown]
	s_wait_alu 0xfffe
	v_cmpx_gt_u32_e64 s4, v0
	s_cbranch_execz .LBB730_5
; %bb.4:
	v_add_co_u32 v2, s10, s2, v8
	s_delay_alu instid0(VALU_DEP_1)
	v_add_co_ci_u32_e64 v3, null, s3, 0, s10
	v_dual_mov_b32 v10, v1 :: v_dual_mov_b32 v11, v1
	v_dual_mov_b32 v12, v1 :: v_dual_mov_b32 v13, v1
	flat_load_b32 v9, v[2:3]
	v_dual_mov_b32 v14, v1 :: v_dual_mov_b32 v15, v1
	s_wait_loadcnt_dscnt 0x0
	v_dual_mov_b32 v1, v9 :: v_dual_mov_b32 v2, v10
	v_dual_mov_b32 v3, v11 :: v_dual_mov_b32 v4, v12
	s_delay_alu instid0(VALU_DEP_3)
	v_dual_mov_b32 v5, v13 :: v_dual_mov_b32 v6, v14
	v_mov_b32_e32 v7, v15
.LBB730_5:
	s_or_b32 exec_lo, exec_lo, s5
	v_add_nc_u32_e32 v9, 0x180, v0
	s_mov_b32 s5, exec_lo
	s_delay_alu instid0(VALU_DEP_1)
	v_cmpx_gt_u32_e64 s4, v9
	s_cbranch_execz .LBB730_7
; %bb.6:
	v_add_co_u32 v9, s10, s2, v8
	s_wait_alu 0xf1ff
	v_add_co_ci_u32_e64 v10, null, s3, 0, s10
	flat_load_b32 v2, v[9:10] offset:1536
.LBB730_7:
	s_wait_alu 0xfffe
	s_or_b32 exec_lo, exec_lo, s5
	v_add_nc_u32_e32 v9, 0x300, v0
	s_mov_b32 s5, exec_lo
	s_delay_alu instid0(VALU_DEP_1)
	v_cmpx_gt_u32_e64 s4, v9
	s_cbranch_execz .LBB730_9
; %bb.8:
	v_add_co_u32 v9, s10, s2, v8
	s_wait_alu 0xf1ff
	v_add_co_ci_u32_e64 v10, null, s3, 0, s10
	flat_load_b32 v3, v[9:10] offset:3072
.LBB730_9:
	s_wait_alu 0xfffe
	;; [unrolled: 13-line block ×3, first 2 shown]
	s_or_b32 exec_lo, exec_lo, s5
	v_or_b32_e32 v9, 0x600, v0
	s_mov_b32 s5, exec_lo
	s_delay_alu instid0(VALU_DEP_1)
	v_cmpx_gt_u32_e64 s4, v9
	s_cbranch_execz .LBB730_13
; %bb.12:
	v_add_co_u32 v9, s10, s2, v8
	s_wait_alu 0xf1ff
	v_add_co_ci_u32_e64 v10, null, s3, 0, s10
	flat_load_b32 v5, v[9:10] offset:6144
.LBB730_13:
	s_wait_alu 0xfffe
	s_or_b32 exec_lo, exec_lo, s5
	v_add_nc_u32_e32 v9, 0x780, v0
	s_mov_b32 s5, exec_lo
	s_delay_alu instid0(VALU_DEP_1)
	v_cmpx_gt_u32_e64 s4, v9
	s_cbranch_execz .LBB730_15
; %bb.14:
	v_add_co_u32 v9, s10, s2, v8
	s_wait_alu 0xf1ff
	v_add_co_ci_u32_e64 v10, null, s3, 0, s10
	flat_load_b32 v6, v[9:10] offset:7680
.LBB730_15:
	s_wait_alu 0xfffe
	s_or_b32 exec_lo, exec_lo, s5
	v_add_nc_u32_e32 v9, 0x900, v0
	s_mov_b32 s5, exec_lo
	s_delay_alu instid0(VALU_DEP_1)
	v_cmpx_gt_u32_e64 s4, v9
	s_cbranch_execz .LBB730_17
; %bb.16:
	v_add_co_u32 v9, s2, s2, v8
	s_wait_alu 0xf1ff
	v_add_co_ci_u32_e64 v10, null, s3, 0, s2
	flat_load_b32 v7, v[9:10] offset:9216
.LBB730_17:
	s_wait_alu 0xfffe
	s_or_b32 exec_lo, exec_lo, s5
	s_wait_loadcnt_dscnt 0x0
	ds_store_2addr_stride64_b32 v8, v1, v2 offset1:6
	ds_store_2addr_stride64_b32 v8, v3, v4 offset0:12 offset1:18
	ds_store_2addr_stride64_b32 v8, v5, v6 offset0:24 offset1:30
	ds_store_b32 v8, v7 offset:9216
	s_wait_dscnt 0x0
	s_barrier_signal -1
	s_barrier_wait -1
.LBB730_18:
	v_mul_u32_u24_e32 v1, 7, v0
	global_inv scope:SCOPE_SE
	s_and_not1_b32 vcc_lo, exec_lo, s13
	v_lshlrev_b32_e32 v35, 2, v1
	ds_load_2addr_b32 v[13:14], v35 offset1:1
	ds_load_2addr_b32 v[11:12], v35 offset0:2 offset1:3
	ds_load_2addr_b32 v[9:10], v35 offset0:4 offset1:5
	ds_load_b32 v29, v35 offset:24
	s_wait_loadcnt_dscnt 0x0
	s_barrier_signal -1
	s_barrier_wait -1
	global_inv scope:SCOPE_SE
	s_cbranch_vccnz .LBB730_20
; %bb.19:
	v_and_b32_e32 v2, 1, v14
	v_and_b32_e32 v3, 1, v12
	;; [unrolled: 1-line block ×5, first 2 shown]
	v_lshlrev_b16 v2, 8, v2
	v_lshlrev_b16 v3, 8, v3
	v_and_b32_e32 v32, 1, v9
	s_delay_alu instid0(VALU_DEP_3) | instskip(NEXT) | instid1(VALU_DEP_3)
	v_lshrrev_b32_e32 v2, 8, v2
	v_lshrrev_b32_e32 v3, 8, v3
	s_delay_alu instid0(VALU_DEP_2) | instskip(NEXT) | instid1(VALU_DEP_2)
	v_lshlrev_b16 v2, 8, v2
	v_lshlrev_b16 v3, 8, v3
	s_delay_alu instid0(VALU_DEP_2) | instskip(NEXT) | instid1(VALU_DEP_2)
	v_or_b32_e32 v2, v4, v2
	v_or_b32_e32 v3, v5, v3
	v_and_b32_e32 v4, 1, v10
	v_lshlrev_b16 v5, 8, v30
	s_delay_alu instid0(VALU_DEP_4) | instskip(NEXT) | instid1(VALU_DEP_4)
	v_and_b32_e32 v2, 0xffff, v2
	v_lshlrev_b32_e32 v3, 16, v3
	s_delay_alu instid0(VALU_DEP_3) | instskip(NEXT) | instid1(VALU_DEP_2)
	v_or_b32_e32 v31, v4, v5
	v_or_b32_e32 v34, v2, v3
	s_cbranch_execz .LBB730_21
	s_branch .LBB730_22
.LBB730_20:
                                        ; implicit-def: $vgpr30
                                        ; implicit-def: $vgpr31
                                        ; implicit-def: $vgpr32
                                        ; implicit-def: $vgpr34
.LBB730_21:
	v_add_nc_u32_e32 v2, 3, v1
	v_add_nc_u32_e32 v3, 1, v1
	;; [unrolled: 1-line block ×5, first 2 shown]
	s_wait_alu 0xfffe
	v_cmp_gt_u32_e32 vcc_lo, s4, v2
	v_cndmask_b32_e64 v2, 0, 1, vcc_lo
	v_cmp_gt_u32_e32 vcc_lo, s4, v3
	s_delay_alu instid0(VALU_DEP_2)
	v_and_b32_e32 v2, v2, v12
	s_wait_alu 0xfffd
	v_cndmask_b32_e64 v3, 0, 1, vcc_lo
	v_cmp_gt_u32_e32 vcc_lo, s4, v1
	v_add_nc_u32_e32 v1, 6, v1
	v_lshlrev_b16 v2, 8, v2
	s_delay_alu instid0(VALU_DEP_4)
	v_and_b32_e32 v3, v3, v14
	s_wait_alu 0xfffd
	v_cndmask_b32_e64 v5, 0, 1, vcc_lo
	v_cmp_gt_u32_e32 vcc_lo, s4, v4
	v_lshrrev_b32_e32 v2, 8, v2
	v_lshlrev_b16 v3, 8, v3
	s_delay_alu instid0(VALU_DEP_4)
	v_and_b32_e32 v5, v5, v13
	s_wait_alu 0xfffd
	v_cndmask_b32_e64 v4, 0, 1, vcc_lo
	v_cmp_gt_u32_e32 vcc_lo, s4, v6
	v_and_b32_e32 v2, 1, v2
	v_lshrrev_b32_e32 v3, 8, v3
	v_and_b32_e32 v5, 1, v5
	v_and_b32_e32 v4, v4, v11
	s_wait_alu 0xfffd
	v_cndmask_b32_e64 v6, 0, 1, vcc_lo
	v_lshlrev_b16 v2, 8, v2
	v_lshlrev_b16 v3, 8, v3
	v_cmp_gt_u32_e32 vcc_lo, s4, v7
	v_and_b32_e32 v4, 1, v4
	v_and_b32_e32 v32, v6, v9
	s_delay_alu instid0(VALU_DEP_4) | instskip(NEXT) | instid1(VALU_DEP_3)
	v_or_b32_e32 v3, v5, v3
	v_or_b32_e32 v2, v4, v2
	s_wait_alu 0xfffd
	v_cndmask_b32_e64 v4, 0, 1, vcc_lo
	v_cmp_gt_u32_e32 vcc_lo, s4, v1
	v_and_b32_e32 v3, 0xffff, v3
	v_lshlrev_b32_e32 v2, 16, v2
	s_delay_alu instid0(VALU_DEP_4) | instskip(SKIP_2) | instid1(VALU_DEP_3)
	v_and_b32_e32 v31, v4, v10
	s_wait_alu 0xfffd
	v_cndmask_b32_e64 v1, 0, 1, vcc_lo
	v_or_b32_e32 v34, v3, v2
	s_delay_alu instid0(VALU_DEP_2)
	v_and_b32_e32 v30, v1, v29
.LBB730_22:
	s_delay_alu instid0(VALU_DEP_1)
	v_and_b32_e32 v40, 0xff, v34
	v_bfe_u32 v38, v34, 8, 8
	v_bfe_u32 v37, v34, 16, 8
	v_lshrrev_b32_e32 v33, 24, v34
	v_dual_mov_b32 v2, 0 :: v_dual_and_b32 v39, 0xff, v32
	s_load_b64 s[10:11], s[0:1], 0x60
	s_delay_alu instid0(VALU_DEP_3)
	v_add3_u32 v1, v38, v40, v37
	v_and_b32_e32 v36, 0xff, v31
	v_mbcnt_lo_u32_b32 v41, -1, 0
	v_and_b32_e32 v4, 0xff, v30
	s_cmp_lg_u32 ttmp9, 0
	v_add_co_u32 v1, s2, v1, v33
	s_wait_alu 0xf1ff
	v_add_co_ci_u32_e64 v3, null, 0, 0, s2
	v_and_b32_e32 v42, 15, v41
	s_delay_alu instid0(VALU_DEP_3) | instskip(SKIP_1) | instid1(VALU_DEP_3)
	v_add_co_u32 v1, vcc_lo, v1, v39
	s_wait_alu 0xfffd
	v_add_co_ci_u32_e64 v3, null, 0, v3, vcc_lo
	s_delay_alu instid0(VALU_DEP_3) | instskip(NEXT) | instid1(VALU_DEP_3)
	v_cmp_ne_u32_e64 s2, 0, v42
	v_add_co_u32 v1, vcc_lo, v1, v36
	s_wait_alu 0xfffd
	s_delay_alu instid0(VALU_DEP_3)
	v_add_co_ci_u32_e64 v3, null, 0, v3, vcc_lo
	s_mov_b32 s3, -1
	v_add_co_u32 v15, vcc_lo, v1, v4
	s_wait_alu 0xfffd
	v_add_co_ci_u32_e64 v16, null, 0, v3, vcc_lo
	s_cbranch_scc0 .LBB730_81
; %bb.23:
	v_mov_b32_e32 v3, v15
	v_mov_b32_dpp v1, v15 row_shr:1 row_mask:0xf bank_mask:0xf
	v_mov_b32_dpp v6, v2 row_shr:1 row_mask:0xf bank_mask:0xf
	v_dual_mov_b32 v5, v15 :: v_dual_mov_b32 v4, v16
	s_and_saveexec_b32 s3, s2
; %bb.24:
	s_delay_alu instid0(VALU_DEP_3) | instskip(SKIP_2) | instid1(VALU_DEP_2)
	v_add_co_u32 v5, vcc_lo, v15, v1
	s_wait_alu 0xfffd
	v_add_co_ci_u32_e64 v2, null, 0, v16, vcc_lo
	v_add_co_u32 v1, vcc_lo, 0, v5
	s_wait_alu 0xfffd
	s_delay_alu instid0(VALU_DEP_2) | instskip(NEXT) | instid1(VALU_DEP_1)
	v_add_co_ci_u32_e64 v2, null, v6, v2, vcc_lo
	v_dual_mov_b32 v4, v2 :: v_dual_mov_b32 v3, v1
; %bb.25:
	s_wait_alu 0xfffe
	s_or_b32 exec_lo, exec_lo, s3
	v_mov_b32_dpp v1, v5 row_shr:2 row_mask:0xf bank_mask:0xf
	v_mov_b32_dpp v6, v2 row_shr:2 row_mask:0xf bank_mask:0xf
	v_cmp_lt_u32_e32 vcc_lo, 1, v42
	s_and_saveexec_b32 s4, vcc_lo
; %bb.26:
	s_delay_alu instid0(VALU_DEP_3) | instskip(SKIP_2) | instid1(VALU_DEP_2)
	v_add_co_u32 v5, s3, v3, v1
	s_wait_alu 0xf1ff
	v_add_co_ci_u32_e64 v2, null, 0, v4, s3
	v_add_co_u32 v1, s3, 0, v5
	s_wait_alu 0xf1ff
	s_delay_alu instid0(VALU_DEP_2) | instskip(NEXT) | instid1(VALU_DEP_1)
	v_add_co_ci_u32_e64 v2, null, v6, v2, s3
	v_dual_mov_b32 v4, v2 :: v_dual_mov_b32 v3, v1
; %bb.27:
	s_wait_alu 0xfffe
	s_or_b32 exec_lo, exec_lo, s4
	v_mov_b32_dpp v1, v5 row_shr:4 row_mask:0xf bank_mask:0xf
	v_mov_b32_dpp v6, v2 row_shr:4 row_mask:0xf bank_mask:0xf
	v_cmp_lt_u32_e64 s3, 3, v42
	s_and_saveexec_b32 s5, s3
; %bb.28:
	v_add_co_u32 v5, s4, v3, v1
	s_wait_alu 0xf1ff
	v_add_co_ci_u32_e64 v2, null, 0, v4, s4
	s_delay_alu instid0(VALU_DEP_2) | instskip(SKIP_1) | instid1(VALU_DEP_2)
	v_add_co_u32 v1, s4, 0, v5
	s_wait_alu 0xf1ff
	v_add_co_ci_u32_e64 v2, null, v6, v2, s4
	s_delay_alu instid0(VALU_DEP_1)
	v_dual_mov_b32 v4, v2 :: v_dual_mov_b32 v3, v1
; %bb.29:
	s_wait_alu 0xfffe
	s_or_b32 exec_lo, exec_lo, s5
	v_mov_b32_dpp v6, v5 row_shr:8 row_mask:0xf bank_mask:0xf
	v_mov_b32_dpp v1, v2 row_shr:8 row_mask:0xf bank_mask:0xf
	v_cmp_lt_u32_e64 s4, 7, v42
	s_and_saveexec_b32 s14, s4
; %bb.30:
	v_add_co_u32 v5, s5, v3, v6
	s_wait_alu 0xf1ff
	v_add_co_ci_u32_e64 v2, null, 0, v4, s5
	s_delay_alu instid0(VALU_DEP_2) | instskip(SKIP_1) | instid1(VALU_DEP_2)
	v_add_co_u32 v3, s5, 0, v5
	s_wait_alu 0xf1ff
	v_add_co_ci_u32_e64 v4, null, v1, v2, s5
	s_delay_alu instid0(VALU_DEP_1)
	v_mov_b32_e32 v2, v4
; %bb.31:
	s_or_b32 exec_lo, exec_lo, s14
	ds_swizzle_b32 v1, v5 offset:swizzle(BROADCAST,32,15)
	ds_swizzle_b32 v6, v2 offset:swizzle(BROADCAST,32,15)
	v_and_b32_e32 v7, 16, v41
	s_mov_b32 s14, exec_lo
	s_delay_alu instid0(VALU_DEP_1)
	v_cmpx_ne_u32_e32 0, v7
	s_cbranch_execz .LBB730_33
; %bb.32:
	s_wait_dscnt 0x1
	v_add_co_u32 v5, s5, v3, v1
	s_wait_alu 0xf1ff
	v_add_co_ci_u32_e64 v2, null, 0, v4, s5
	s_delay_alu instid0(VALU_DEP_2) | instskip(SKIP_2) | instid1(VALU_DEP_2)
	v_add_co_u32 v1, s5, 0, v5
	s_wait_dscnt 0x0
	s_wait_alu 0xf1ff
	v_add_co_ci_u32_e64 v2, null, v6, v2, s5
	s_delay_alu instid0(VALU_DEP_1)
	v_dual_mov_b32 v4, v2 :: v_dual_mov_b32 v3, v1
.LBB730_33:
	s_or_b32 exec_lo, exec_lo, s14
	s_wait_dscnt 0x1
	v_and_b32_e32 v1, 0x1e0, v0
	s_mov_b32 s14, exec_lo
	s_delay_alu instid0(VALU_DEP_1) | instskip(SKIP_1) | instid1(VALU_DEP_1)
	v_min_u32_e32 v1, 0x160, v1
	s_wait_dscnt 0x0
	v_or_b32_e32 v6, 31, v1
	v_lshrrev_b32_e32 v1, 5, v0
	s_delay_alu instid0(VALU_DEP_2)
	v_cmpx_eq_u32_e64 v0, v6
; %bb.34:
	s_delay_alu instid0(VALU_DEP_2)
	v_lshlrev_b32_e32 v6, 3, v1
	ds_store_b64 v6, v[3:4]
; %bb.35:
	s_or_b32 exec_lo, exec_lo, s14
	s_delay_alu instid0(SALU_CYCLE_1)
	s_mov_b32 s14, exec_lo
	s_wait_loadcnt_dscnt 0x0
	s_barrier_signal -1
	s_barrier_wait -1
	global_inv scope:SCOPE_SE
	v_cmpx_gt_u32_e32 12, v0
	s_cbranch_execz .LBB730_45
; %bb.36:
	v_lshlrev_b32_e32 v6, 3, v0
	ds_load_b64 v[3:4], v6
	s_wait_dscnt 0x0
	v_mov_b32_dpp v17, v3 row_shr:1 row_mask:0xf bank_mask:0xf
	v_mov_b32_dpp v8, v4 row_shr:1 row_mask:0xf bank_mask:0xf
	v_mov_b32_e32 v7, v3
	s_and_saveexec_b32 s15, s2
; %bb.37:
	s_delay_alu instid0(VALU_DEP_3) | instskip(SKIP_2) | instid1(VALU_DEP_2)
	v_add_co_u32 v7, s5, v3, v17
	s_wait_alu 0xf1ff
	v_add_co_ci_u32_e64 v4, null, 0, v4, s5
	v_add_co_u32 v3, s5, 0, v7
	s_wait_alu 0xf1ff
	s_delay_alu instid0(VALU_DEP_2)
	v_add_co_ci_u32_e64 v4, null, v8, v4, s5
; %bb.38:
	s_or_b32 exec_lo, exec_lo, s15
	v_mov_b32_dpp v17, v7 row_shr:2 row_mask:0xf bank_mask:0xf
	s_delay_alu instid0(VALU_DEP_2)
	v_mov_b32_dpp v8, v4 row_shr:2 row_mask:0xf bank_mask:0xf
	s_and_saveexec_b32 s5, vcc_lo
; %bb.39:
	s_delay_alu instid0(VALU_DEP_2) | instskip(SKIP_2) | instid1(VALU_DEP_2)
	v_add_co_u32 v7, vcc_lo, v3, v17
	s_wait_alu 0xfffd
	v_add_co_ci_u32_e64 v4, null, 0, v4, vcc_lo
	v_add_co_u32 v3, vcc_lo, 0, v7
	s_wait_alu 0xfffd
	s_delay_alu instid0(VALU_DEP_2)
	v_add_co_ci_u32_e64 v4, null, v8, v4, vcc_lo
; %bb.40:
	s_wait_alu 0xfffe
	s_or_b32 exec_lo, exec_lo, s5
	v_mov_b32_dpp v17, v7 row_shr:4 row_mask:0xf bank_mask:0xf
	s_delay_alu instid0(VALU_DEP_2)
	v_mov_b32_dpp v8, v4 row_shr:4 row_mask:0xf bank_mask:0xf
	s_and_saveexec_b32 s5, s3
; %bb.41:
	s_delay_alu instid0(VALU_DEP_2) | instskip(SKIP_2) | instid1(VALU_DEP_2)
	v_add_co_u32 v7, vcc_lo, v3, v17
	s_wait_alu 0xfffd
	v_add_co_ci_u32_e64 v4, null, 0, v4, vcc_lo
	v_add_co_u32 v3, vcc_lo, 0, v7
	s_wait_alu 0xfffd
	s_delay_alu instid0(VALU_DEP_2)
	v_add_co_ci_u32_e64 v4, null, v8, v4, vcc_lo
; %bb.42:
	s_wait_alu 0xfffe
	s_or_b32 exec_lo, exec_lo, s5
	v_mov_b32_dpp v8, v7 row_shr:8 row_mask:0xf bank_mask:0xf
	s_delay_alu instid0(VALU_DEP_2)
	v_mov_b32_dpp v7, v4 row_shr:8 row_mask:0xf bank_mask:0xf
	s_and_saveexec_b32 s3, s4
; %bb.43:
	s_delay_alu instid0(VALU_DEP_2) | instskip(SKIP_2) | instid1(VALU_DEP_2)
	v_add_co_u32 v3, vcc_lo, v3, v8
	s_wait_alu 0xfffd
	v_add_co_ci_u32_e64 v4, null, 0, v4, vcc_lo
	v_add_co_u32 v3, vcc_lo, v3, 0
	s_wait_alu 0xfffd
	s_delay_alu instid0(VALU_DEP_2)
	v_add_co_ci_u32_e64 v4, null, v4, v7, vcc_lo
; %bb.44:
	s_wait_alu 0xfffe
	s_or_b32 exec_lo, exec_lo, s3
	ds_store_b64 v6, v[3:4]
.LBB730_45:
	s_or_b32 exec_lo, exec_lo, s14
	s_delay_alu instid0(SALU_CYCLE_1)
	s_mov_b32 s4, exec_lo
	v_cmp_gt_u32_e32 vcc_lo, 32, v0
	s_wait_loadcnt_dscnt 0x0
	s_barrier_signal -1
	s_barrier_wait -1
	global_inv scope:SCOPE_SE
                                        ; implicit-def: $vgpr17_vgpr18
	v_cmpx_lt_u32_e32 31, v0
	s_cbranch_execz .LBB730_47
; %bb.46:
	v_lshl_add_u32 v1, v1, 3, -8
	ds_load_b64 v[17:18], v1
	s_wait_dscnt 0x0
	v_add_co_u32 v5, s3, v5, v17
	s_wait_alu 0xf1ff
	v_add_co_ci_u32_e64 v2, null, v2, v18, s3
.LBB730_47:
	s_wait_alu 0xfffe
	s_or_b32 exec_lo, exec_lo, s4
	v_sub_co_u32 v1, s3, v41, 1
	s_delay_alu instid0(VALU_DEP_1) | instskip(SKIP_1) | instid1(VALU_DEP_1)
	v_cmp_gt_i32_e64 s4, 0, v1
	s_wait_alu 0xf1ff
	v_cndmask_b32_e64 v1, v1, v41, s4
	s_delay_alu instid0(VALU_DEP_1)
	v_lshlrev_b32_e32 v1, 2, v1
	ds_bpermute_b32 v23, v1, v5
	ds_bpermute_b32 v24, v1, v2
	s_and_saveexec_b32 s4, vcc_lo
	s_cbranch_execz .LBB730_86
; %bb.48:
	v_mov_b32_e32 v4, 0
	ds_load_b64 v[1:2], v4 offset:88
	s_and_saveexec_b32 s5, s3
	s_cbranch_execz .LBB730_50
; %bb.49:
	s_add_co_i32 s14, ttmp9, 32
	s_mov_b32 s15, 0
	s_delay_alu instid0(SALU_CYCLE_1)
	s_lshl_b64 s[14:15], s[14:15], 4
	s_wait_kmcnt 0x0
	s_add_nc_u64 s[14:15], s[10:11], s[14:15]
	v_mov_b32_e32 v3, 1
	v_dual_mov_b32 v5, s14 :: v_dual_mov_b32 v6, s15
	s_wait_dscnt 0x0
	;;#ASMSTART
	global_store_b128 v[5:6], v[1:4] off scope:SCOPE_DEV	
s_wait_storecnt 0x0
	;;#ASMEND
.LBB730_50:
	s_wait_alu 0xfffe
	s_or_b32 exec_lo, exec_lo, s5
	v_xad_u32 v19, v41, -1, ttmp9
	s_mov_b32 s14, 0
	s_mov_b32 s5, exec_lo
	s_delay_alu instid0(VALU_DEP_1) | instskip(NEXT) | instid1(VALU_DEP_1)
	v_add_nc_u32_e32 v3, 32, v19
	v_lshlrev_b64_e32 v[3:4], 4, v[3:4]
	s_wait_kmcnt 0x0
	s_delay_alu instid0(VALU_DEP_1) | instskip(SKIP_1) | instid1(VALU_DEP_2)
	v_add_co_u32 v3, vcc_lo, s10, v3
	s_wait_alu 0xfffd
	v_add_co_ci_u32_e64 v4, null, s11, v4, vcc_lo
	;;#ASMSTART
	global_load_b128 v[5:8], v[3:4] off scope:SCOPE_DEV	
s_wait_loadcnt 0x0
	;;#ASMEND
	v_and_b32_e32 v8, 0xff, v7
	s_delay_alu instid0(VALU_DEP_1)
	v_cmpx_eq_u16_e32 0, v8
	s_cbranch_execz .LBB730_53
.LBB730_51:                             ; =>This Inner Loop Header: Depth=1
	;;#ASMSTART
	global_load_b128 v[5:8], v[3:4] off scope:SCOPE_DEV	
s_wait_loadcnt 0x0
	;;#ASMEND
	v_and_b32_e32 v8, 0xff, v7
	s_delay_alu instid0(VALU_DEP_1)
	v_cmp_ne_u16_e32 vcc_lo, 0, v8
	s_wait_alu 0xfffe
	s_or_b32 s14, vcc_lo, s14
	s_wait_alu 0xfffe
	s_and_not1_b32 exec_lo, exec_lo, s14
	s_cbranch_execnz .LBB730_51
; %bb.52:
	s_or_b32 exec_lo, exec_lo, s14
.LBB730_53:
	s_wait_alu 0xfffe
	s_or_b32 exec_lo, exec_lo, s5
	v_cmp_ne_u32_e32 vcc_lo, 31, v41
	v_and_b32_e32 v4, 0xff, v7
	v_lshlrev_b32_e64 v26, v41, -1
	s_mov_b32 s5, exec_lo
	s_wait_alu 0xfffd
	v_add_co_ci_u32_e64 v3, null, 0, v41, vcc_lo
	v_cmp_eq_u16_e32 vcc_lo, 2, v4
	s_delay_alu instid0(VALU_DEP_2)
	v_dual_mov_b32 v4, v5 :: v_dual_lshlrev_b32 v25, 2, v3
	s_wait_alu 0xfffd
	v_and_or_b32 v3, vcc_lo, v26, 0x80000000
	ds_bpermute_b32 v20, v25, v5
	ds_bpermute_b32 v8, v25, v6
	v_ctz_i32_b32_e32 v3, v3
	s_delay_alu instid0(VALU_DEP_1)
	v_cmpx_lt_u32_e64 v41, v3
	s_cbranch_execz .LBB730_55
; %bb.54:
	s_wait_dscnt 0x1
	v_add_co_u32 v4, vcc_lo, v5, v20
	s_wait_alu 0xfffd
	v_add_co_ci_u32_e64 v6, null, 0, v6, vcc_lo
	s_delay_alu instid0(VALU_DEP_2) | instskip(SKIP_2) | instid1(VALU_DEP_2)
	v_add_co_u32 v5, vcc_lo, 0, v4
	s_wait_dscnt 0x0
	s_wait_alu 0xfffd
	v_add_co_ci_u32_e64 v6, null, v8, v6, vcc_lo
.LBB730_55:
	s_wait_alu 0xfffe
	s_or_b32 exec_lo, exec_lo, s5
	v_cmp_gt_u32_e32 vcc_lo, 30, v41
	v_add_nc_u32_e32 v28, 2, v41
	s_mov_b32 s5, exec_lo
	s_wait_dscnt 0x0
	s_wait_alu 0xfffd
	v_cndmask_b32_e64 v8, 0, 2, vcc_lo
	s_delay_alu instid0(VALU_DEP_1)
	v_add_lshl_u32 v27, v8, v41, 2
	ds_bpermute_b32 v20, v27, v4
	ds_bpermute_b32 v8, v27, v6
	v_cmpx_le_u32_e64 v28, v3
	s_cbranch_execz .LBB730_57
; %bb.56:
	s_wait_dscnt 0x1
	v_add_co_u32 v4, vcc_lo, v5, v20
	s_wait_alu 0xfffd
	v_add_co_ci_u32_e64 v6, null, 0, v6, vcc_lo
	s_delay_alu instid0(VALU_DEP_2) | instskip(SKIP_2) | instid1(VALU_DEP_2)
	v_add_co_u32 v5, vcc_lo, 0, v4
	s_wait_dscnt 0x0
	s_wait_alu 0xfffd
	v_add_co_ci_u32_e64 v6, null, v8, v6, vcc_lo
.LBB730_57:
	s_wait_alu 0xfffe
	s_or_b32 exec_lo, exec_lo, s5
	v_cmp_gt_u32_e32 vcc_lo, 28, v41
	v_add_nc_u32_e32 v44, 4, v41
	s_mov_b32 s5, exec_lo
	s_wait_dscnt 0x0
	s_wait_alu 0xfffd
	v_cndmask_b32_e64 v8, 0, 4, vcc_lo
	s_delay_alu instid0(VALU_DEP_1)
	v_add_lshl_u32 v43, v8, v41, 2
	ds_bpermute_b32 v20, v43, v4
	ds_bpermute_b32 v8, v43, v6
	v_cmpx_le_u32_e64 v44, v3
	;; [unrolled: 25-line block ×3, first 2 shown]
	s_cbranch_execz .LBB730_61
; %bb.60:
	s_wait_dscnt 0x1
	v_add_co_u32 v4, vcc_lo, v5, v20
	s_wait_alu 0xfffd
	v_add_co_ci_u32_e64 v6, null, 0, v6, vcc_lo
	s_delay_alu instid0(VALU_DEP_2) | instskip(SKIP_2) | instid1(VALU_DEP_2)
	v_add_co_u32 v5, vcc_lo, 0, v4
	s_wait_dscnt 0x0
	s_wait_alu 0xfffd
	v_add_co_ci_u32_e64 v6, null, v8, v6, vcc_lo
.LBB730_61:
	s_wait_alu 0xfffe
	s_or_b32 exec_lo, exec_lo, s5
	v_lshl_or_b32 v47, v41, 2, 64
	v_add_nc_u32_e32 v48, 16, v41
	s_mov_b32 s5, exec_lo
	s_wait_dscnt 0x0
	ds_bpermute_b32 v8, v47, v4
	ds_bpermute_b32 v4, v47, v6
	v_cmpx_le_u32_e64 v48, v3
	s_cbranch_execz .LBB730_63
; %bb.62:
	s_wait_dscnt 0x1
	v_add_co_u32 v3, vcc_lo, v5, v8
	s_wait_alu 0xfffd
	v_add_co_ci_u32_e64 v6, null, 0, v6, vcc_lo
	s_delay_alu instid0(VALU_DEP_2) | instskip(SKIP_2) | instid1(VALU_DEP_2)
	v_add_co_u32 v5, vcc_lo, v3, 0
	s_wait_dscnt 0x0
	s_wait_alu 0xfffd
	v_add_co_ci_u32_e64 v6, null, v6, v4, vcc_lo
.LBB730_63:
	s_wait_alu 0xfffe
	s_or_b32 exec_lo, exec_lo, s5
	v_mov_b32_e32 v20, 0
	s_branch .LBB730_66
.LBB730_64:                             ;   in Loop: Header=BB730_66 Depth=1
	s_wait_alu 0xfffe
	s_or_b32 exec_lo, exec_lo, s5
	v_add_co_u32 v5, vcc_lo, v5, v3
	v_subrev_nc_u32_e32 v19, 32, v19
	s_wait_alu 0xfffd
	v_add_co_ci_u32_e64 v6, null, v6, v4, vcc_lo
	s_mov_b32 s5, 0
.LBB730_65:                             ;   in Loop: Header=BB730_66 Depth=1
	s_wait_alu 0xfffe
	s_and_b32 vcc_lo, exec_lo, s5
	s_wait_alu 0xfffe
	s_cbranch_vccnz .LBB730_82
.LBB730_66:                             ; =>This Loop Header: Depth=1
                                        ;     Child Loop BB730_69 Depth 2
	v_and_b32_e32 v3, 0xff, v7
	s_mov_b32 s5, -1
	s_delay_alu instid0(VALU_DEP_1)
	v_cmp_ne_u16_e32 vcc_lo, 2, v3
	s_wait_dscnt 0x0
	v_dual_mov_b32 v3, v5 :: v_dual_mov_b32 v4, v6
                                        ; implicit-def: $vgpr5_vgpr6
	s_cmp_lg_u32 vcc_lo, exec_lo
	s_cbranch_scc1 .LBB730_65
; %bb.67:                               ;   in Loop: Header=BB730_66 Depth=1
	v_lshlrev_b64_e32 v[5:6], 4, v[19:20]
	s_mov_b32 s5, exec_lo
	s_delay_alu instid0(VALU_DEP_1) | instskip(SKIP_1) | instid1(VALU_DEP_2)
	v_add_co_u32 v21, vcc_lo, s10, v5
	s_wait_alu 0xfffd
	v_add_co_ci_u32_e64 v22, null, s11, v6, vcc_lo
	;;#ASMSTART
	global_load_b128 v[5:8], v[21:22] off scope:SCOPE_DEV	
s_wait_loadcnt 0x0
	;;#ASMEND
	v_and_b32_e32 v8, 0xff, v7
	s_delay_alu instid0(VALU_DEP_1)
	v_cmpx_eq_u16_e32 0, v8
	s_cbranch_execz .LBB730_71
; %bb.68:                               ;   in Loop: Header=BB730_66 Depth=1
	s_mov_b32 s14, 0
.LBB730_69:                             ;   Parent Loop BB730_66 Depth=1
                                        ; =>  This Inner Loop Header: Depth=2
	;;#ASMSTART
	global_load_b128 v[5:8], v[21:22] off scope:SCOPE_DEV	
s_wait_loadcnt 0x0
	;;#ASMEND
	v_and_b32_e32 v8, 0xff, v7
	s_delay_alu instid0(VALU_DEP_1)
	v_cmp_ne_u16_e32 vcc_lo, 0, v8
	s_wait_alu 0xfffe
	s_or_b32 s14, vcc_lo, s14
	s_wait_alu 0xfffe
	s_and_not1_b32 exec_lo, exec_lo, s14
	s_cbranch_execnz .LBB730_69
; %bb.70:                               ;   in Loop: Header=BB730_66 Depth=1
	s_or_b32 exec_lo, exec_lo, s14
.LBB730_71:                             ;   in Loop: Header=BB730_66 Depth=1
	s_wait_alu 0xfffe
	s_or_b32 exec_lo, exec_lo, s5
	v_dual_mov_b32 v21, v5 :: v_dual_and_b32 v8, 0xff, v7
	ds_bpermute_b32 v49, v25, v5
	ds_bpermute_b32 v22, v25, v6
	s_mov_b32 s5, exec_lo
	v_cmp_eq_u16_e32 vcc_lo, 2, v8
	s_wait_alu 0xfffd
	v_and_or_b32 v8, vcc_lo, v26, 0x80000000
	s_delay_alu instid0(VALU_DEP_1) | instskip(NEXT) | instid1(VALU_DEP_1)
	v_ctz_i32_b32_e32 v8, v8
	v_cmpx_lt_u32_e64 v41, v8
	s_cbranch_execz .LBB730_73
; %bb.72:                               ;   in Loop: Header=BB730_66 Depth=1
	s_wait_dscnt 0x1
	v_add_co_u32 v21, vcc_lo, v5, v49
	s_wait_alu 0xfffd
	v_add_co_ci_u32_e64 v6, null, 0, v6, vcc_lo
	s_delay_alu instid0(VALU_DEP_2) | instskip(SKIP_2) | instid1(VALU_DEP_2)
	v_add_co_u32 v5, vcc_lo, 0, v21
	s_wait_dscnt 0x0
	s_wait_alu 0xfffd
	v_add_co_ci_u32_e64 v6, null, v22, v6, vcc_lo
.LBB730_73:                             ;   in Loop: Header=BB730_66 Depth=1
	s_wait_alu 0xfffe
	s_or_b32 exec_lo, exec_lo, s5
	s_wait_dscnt 0x1
	ds_bpermute_b32 v49, v27, v21
	s_wait_dscnt 0x1
	ds_bpermute_b32 v22, v27, v6
	s_mov_b32 s5, exec_lo
	v_cmpx_le_u32_e64 v28, v8
	s_cbranch_execz .LBB730_75
; %bb.74:                               ;   in Loop: Header=BB730_66 Depth=1
	s_wait_dscnt 0x1
	v_add_co_u32 v21, vcc_lo, v5, v49
	s_wait_alu 0xfffd
	v_add_co_ci_u32_e64 v6, null, 0, v6, vcc_lo
	s_delay_alu instid0(VALU_DEP_2) | instskip(SKIP_2) | instid1(VALU_DEP_2)
	v_add_co_u32 v5, vcc_lo, 0, v21
	s_wait_dscnt 0x0
	s_wait_alu 0xfffd
	v_add_co_ci_u32_e64 v6, null, v22, v6, vcc_lo
.LBB730_75:                             ;   in Loop: Header=BB730_66 Depth=1
	s_wait_alu 0xfffe
	s_or_b32 exec_lo, exec_lo, s5
	s_wait_dscnt 0x1
	ds_bpermute_b32 v49, v43, v21
	s_wait_dscnt 0x1
	ds_bpermute_b32 v22, v43, v6
	s_mov_b32 s5, exec_lo
	v_cmpx_le_u32_e64 v44, v8
	;; [unrolled: 20-line block ×3, first 2 shown]
	s_cbranch_execz .LBB730_79
; %bb.78:                               ;   in Loop: Header=BB730_66 Depth=1
	s_wait_dscnt 0x1
	v_add_co_u32 v21, vcc_lo, v5, v49
	s_wait_alu 0xfffd
	v_add_co_ci_u32_e64 v6, null, 0, v6, vcc_lo
	s_delay_alu instid0(VALU_DEP_2) | instskip(SKIP_2) | instid1(VALU_DEP_2)
	v_add_co_u32 v5, vcc_lo, 0, v21
	s_wait_dscnt 0x0
	s_wait_alu 0xfffd
	v_add_co_ci_u32_e64 v6, null, v22, v6, vcc_lo
.LBB730_79:                             ;   in Loop: Header=BB730_66 Depth=1
	s_wait_alu 0xfffe
	s_or_b32 exec_lo, exec_lo, s5
	s_wait_dscnt 0x0
	ds_bpermute_b32 v22, v47, v21
	ds_bpermute_b32 v21, v47, v6
	s_mov_b32 s5, exec_lo
	v_cmpx_le_u32_e64 v48, v8
	s_cbranch_execz .LBB730_64
; %bb.80:                               ;   in Loop: Header=BB730_66 Depth=1
	s_wait_dscnt 0x1
	v_add_co_u32 v5, vcc_lo, v5, v22
	s_wait_alu 0xfffd
	v_add_co_ci_u32_e64 v6, null, 0, v6, vcc_lo
	s_delay_alu instid0(VALU_DEP_2) | instskip(SKIP_2) | instid1(VALU_DEP_2)
	v_add_co_u32 v5, vcc_lo, v5, 0
	s_wait_dscnt 0x0
	s_wait_alu 0xfffd
	v_add_co_ci_u32_e64 v6, null, v6, v21, vcc_lo
	s_branch .LBB730_64
.LBB730_81:
                                        ; implicit-def: $vgpr17_vgpr18
                                        ; implicit-def: $vgpr6_vgpr7
                                        ; implicit-def: $vgpr19_vgpr20
                                        ; implicit-def: $vgpr21_vgpr22
                                        ; implicit-def: $vgpr23_vgpr24
                                        ; implicit-def: $vgpr25_vgpr26
                                        ; implicit-def: $vgpr27_vgpr28
                                        ; implicit-def: $vgpr4_vgpr5
	s_wait_alu 0xfffe
	s_and_b32 vcc_lo, exec_lo, s3
	s_wait_alu 0xfffe
	s_cbranch_vccnz .LBB730_87
	s_branch .LBB730_114
.LBB730_82:
	s_and_saveexec_b32 s5, s3
	s_cbranch_execz .LBB730_84
; %bb.83:
	s_add_co_i32 s14, ttmp9, 32
	s_mov_b32 s15, 0
	v_add_co_u32 v5, vcc_lo, v3, v1
	s_wait_alu 0xfffe
	s_lshl_b64 s[14:15], s[14:15], 4
	v_dual_mov_b32 v7, 2 :: v_dual_mov_b32 v8, 0
	s_wait_alu 0xfffe
	s_add_nc_u64 s[14:15], s[10:11], s[14:15]
	s_wait_alu 0xfffd
	v_add_co_ci_u32_e64 v6, null, v4, v2, vcc_lo
	s_wait_alu 0xfffe
	v_dual_mov_b32 v20, s15 :: v_dual_mov_b32 v19, s14
	;;#ASMSTART
	global_store_b128 v[19:20], v[5:8] off scope:SCOPE_DEV	
s_wait_storecnt 0x0
	;;#ASMEND
	ds_store_b128 v8, v[1:4] offset:10752
.LBB730_84:
	s_wait_alu 0xfffe
	s_or_b32 exec_lo, exec_lo, s5
	v_cmp_eq_u32_e32 vcc_lo, 0, v0
	s_and_b32 exec_lo, exec_lo, vcc_lo
; %bb.85:
	v_mov_b32_e32 v1, 0
	ds_store_b64 v1, v[3:4] offset:88
.LBB730_86:
	s_wait_alu 0xfffe
	s_or_b32 exec_lo, exec_lo, s4
	s_wait_dscnt 0x1
	v_cndmask_b32_e64 v4, v23, v17, s3
	v_cmp_ne_u32_e32 vcc_lo, 0, v0
	v_mov_b32_e32 v3, 0
	s_wait_loadcnt_dscnt 0x0
	s_barrier_signal -1
	s_barrier_wait -1
	global_inv scope:SCOPE_SE
	s_wait_alu 0xfffd
	v_cndmask_b32_e32 v4, 0, v4, vcc_lo
	ds_load_b64 v[1:2], v3 offset:88
	v_cndmask_b32_e64 v5, v24, v18, s3
	s_wait_loadcnt_dscnt 0x0
	s_barrier_signal -1
	s_barrier_wait -1
	global_inv scope:SCOPE_SE
	v_cndmask_b32_e32 v5, 0, v5, vcc_lo
	v_add_co_u32 v27, vcc_lo, v1, v4
	s_wait_alu 0xfffd
	s_delay_alu instid0(VALU_DEP_2) | instskip(SKIP_4) | instid1(VALU_DEP_2)
	v_add_co_ci_u32_e64 v28, null, v2, v5, vcc_lo
	ds_load_b128 v[2:5], v3 offset:10752
	v_add_co_u32 v25, vcc_lo, v27, v40
	s_wait_alu 0xfffd
	v_add_co_ci_u32_e64 v26, null, 0, v28, vcc_lo
	v_add_co_u32 v23, vcc_lo, v25, v38
	s_wait_alu 0xfffd
	s_delay_alu instid0(VALU_DEP_2) | instskip(NEXT) | instid1(VALU_DEP_2)
	v_add_co_ci_u32_e64 v24, null, 0, v26, vcc_lo
	v_add_co_u32 v21, vcc_lo, v23, v37
	s_wait_alu 0xfffd
	s_delay_alu instid0(VALU_DEP_2) | instskip(NEXT) | instid1(VALU_DEP_2)
	;; [unrolled: 4-line block ×4, first 2 shown]
	v_add_co_ci_u32_e64 v7, null, 0, v20, vcc_lo
	v_add_co_u32 v17, vcc_lo, v6, v36
	s_wait_alu 0xfffd
	s_delay_alu instid0(VALU_DEP_2)
	v_add_co_ci_u32_e64 v18, null, 0, v7, vcc_lo
	s_branch .LBB730_114
.LBB730_87:
	s_wait_dscnt 0x0
	v_dual_mov_b32 v2, 0 :: v_dual_mov_b32 v3, v15
	v_mov_b32_dpp v4, v15 row_shr:1 row_mask:0xf bank_mask:0xf
	s_delay_alu instid0(VALU_DEP_2)
	v_mov_b32_dpp v1, v2 row_shr:1 row_mask:0xf bank_mask:0xf
	s_and_saveexec_b32 s3, s2
; %bb.88:
	s_delay_alu instid0(VALU_DEP_2) | instskip(SKIP_2) | instid1(VALU_DEP_2)
	v_add_co_u32 v3, vcc_lo, v15, v4
	s_wait_alu 0xfffd
	v_add_co_ci_u32_e64 v2, null, 0, v16, vcc_lo
	v_add_co_u32 v15, vcc_lo, 0, v3
	s_wait_alu 0xfffd
	s_delay_alu instid0(VALU_DEP_2) | instskip(NEXT) | instid1(VALU_DEP_1)
	v_add_co_ci_u32_e64 v16, null, v1, v2, vcc_lo
	v_mov_b32_e32 v2, v16
; %bb.89:
	s_wait_alu 0xfffe
	s_or_b32 exec_lo, exec_lo, s3
	v_mov_b32_dpp v1, v3 row_shr:2 row_mask:0xf bank_mask:0xf
	s_delay_alu instid0(VALU_DEP_2)
	v_mov_b32_dpp v4, v2 row_shr:2 row_mask:0xf bank_mask:0xf
	v_cmp_lt_u32_e32 vcc_lo, 1, v42
	s_and_saveexec_b32 s4, vcc_lo
; %bb.90:
	s_delay_alu instid0(VALU_DEP_3) | instskip(SKIP_2) | instid1(VALU_DEP_2)
	v_add_co_u32 v3, s3, v15, v1
	s_wait_alu 0xf1ff
	v_add_co_ci_u32_e64 v2, null, 0, v16, s3
	v_add_co_u32 v1, s3, 0, v3
	s_wait_alu 0xf1ff
	s_delay_alu instid0(VALU_DEP_2) | instskip(NEXT) | instid1(VALU_DEP_1)
	v_add_co_ci_u32_e64 v2, null, v4, v2, s3
	v_dual_mov_b32 v16, v2 :: v_dual_mov_b32 v15, v1
; %bb.91:
	s_wait_alu 0xfffe
	s_or_b32 exec_lo, exec_lo, s4
	v_mov_b32_dpp v1, v3 row_shr:4 row_mask:0xf bank_mask:0xf
	v_mov_b32_dpp v4, v2 row_shr:4 row_mask:0xf bank_mask:0xf
	v_cmp_lt_u32_e64 s3, 3, v42
	s_and_saveexec_b32 s5, s3
; %bb.92:
	v_add_co_u32 v3, s4, v15, v1
	s_wait_alu 0xf1ff
	v_add_co_ci_u32_e64 v2, null, 0, v16, s4
	s_delay_alu instid0(VALU_DEP_2) | instskip(SKIP_1) | instid1(VALU_DEP_2)
	v_add_co_u32 v1, s4, 0, v3
	s_wait_alu 0xf1ff
	v_add_co_ci_u32_e64 v2, null, v4, v2, s4
	s_delay_alu instid0(VALU_DEP_1)
	v_dual_mov_b32 v16, v2 :: v_dual_mov_b32 v15, v1
; %bb.93:
	s_wait_alu 0xfffe
	s_or_b32 exec_lo, exec_lo, s5
	v_mov_b32_dpp v4, v3 row_shr:8 row_mask:0xf bank_mask:0xf
	v_mov_b32_dpp v1, v2 row_shr:8 row_mask:0xf bank_mask:0xf
	v_cmp_lt_u32_e64 s4, 7, v42
	s_and_saveexec_b32 s14, s4
; %bb.94:
	v_add_co_u32 v3, s5, v15, v4
	s_wait_alu 0xf1ff
	v_add_co_ci_u32_e64 v2, null, 0, v16, s5
	s_delay_alu instid0(VALU_DEP_2) | instskip(SKIP_1) | instid1(VALU_DEP_2)
	v_add_co_u32 v15, s5, 0, v3
	s_wait_alu 0xf1ff
	v_add_co_ci_u32_e64 v16, null, v1, v2, s5
	s_delay_alu instid0(VALU_DEP_1)
	v_mov_b32_e32 v2, v16
; %bb.95:
	s_or_b32 exec_lo, exec_lo, s14
	ds_swizzle_b32 v3, v3 offset:swizzle(BROADCAST,32,15)
	ds_swizzle_b32 v1, v2 offset:swizzle(BROADCAST,32,15)
	v_and_b32_e32 v2, 16, v41
	s_mov_b32 s14, exec_lo
	s_delay_alu instid0(VALU_DEP_1)
	v_cmpx_ne_u32_e32 0, v2
	s_cbranch_execz .LBB730_97
; %bb.96:
	s_wait_dscnt 0x1
	v_add_co_u32 v2, s5, v15, v3
	s_wait_alu 0xf1ff
	v_add_co_ci_u32_e64 v3, null, 0, v16, s5
	s_delay_alu instid0(VALU_DEP_2) | instskip(SKIP_2) | instid1(VALU_DEP_2)
	v_add_co_u32 v15, s5, v2, 0
	s_wait_dscnt 0x0
	s_wait_alu 0xf1ff
	v_add_co_ci_u32_e64 v16, null, v3, v1, s5
.LBB730_97:
	s_or_b32 exec_lo, exec_lo, s14
	s_wait_dscnt 0x0
	v_and_b32_e32 v1, 0x1e0, v0
	v_lshrrev_b32_e32 v3, 5, v0
	s_mov_b32 s14, exec_lo
	s_delay_alu instid0(VALU_DEP_2) | instskip(NEXT) | instid1(VALU_DEP_1)
	v_min_u32_e32 v1, 0x160, v1
	v_or_b32_e32 v1, 31, v1
	s_delay_alu instid0(VALU_DEP_1)
	v_cmpx_eq_u32_e64 v0, v1
; %bb.98:
	v_lshlrev_b32_e32 v1, 3, v3
	ds_store_b64 v1, v[15:16]
; %bb.99:
	s_or_b32 exec_lo, exec_lo, s14
	s_delay_alu instid0(SALU_CYCLE_1)
	s_mov_b32 s14, exec_lo
	s_wait_loadcnt_dscnt 0x0
	s_barrier_signal -1
	s_barrier_wait -1
	global_inv scope:SCOPE_SE
	v_cmpx_gt_u32_e32 12, v0
	s_cbranch_execz .LBB730_109
; %bb.100:
	v_mad_i32_i24 v1, 0xffffffec, v0, v35
	ds_load_b64 v[1:2], v1
	s_wait_dscnt 0x0
	v_mov_b32_dpp v6, v1 row_shr:1 row_mask:0xf bank_mask:0xf
	v_mov_b32_dpp v5, v2 row_shr:1 row_mask:0xf bank_mask:0xf
	v_mov_b32_e32 v4, v1
	s_and_saveexec_b32 s5, s2
; %bb.101:
	s_delay_alu instid0(VALU_DEP_3) | instskip(SKIP_2) | instid1(VALU_DEP_2)
	v_add_co_u32 v4, s2, v1, v6
	s_wait_alu 0xf1ff
	v_add_co_ci_u32_e64 v2, null, 0, v2, s2
	v_add_co_u32 v1, s2, 0, v4
	s_wait_alu 0xf1ff
	s_delay_alu instid0(VALU_DEP_2)
	v_add_co_ci_u32_e64 v2, null, v5, v2, s2
; %bb.102:
	s_wait_alu 0xfffe
	s_or_b32 exec_lo, exec_lo, s5
	v_mov_b32_dpp v6, v4 row_shr:2 row_mask:0xf bank_mask:0xf
	s_delay_alu instid0(VALU_DEP_2)
	v_mov_b32_dpp v5, v2 row_shr:2 row_mask:0xf bank_mask:0xf
	s_and_saveexec_b32 s2, vcc_lo
; %bb.103:
	s_delay_alu instid0(VALU_DEP_2) | instskip(SKIP_2) | instid1(VALU_DEP_2)
	v_add_co_u32 v4, vcc_lo, v1, v6
	s_wait_alu 0xfffd
	v_add_co_ci_u32_e64 v2, null, 0, v2, vcc_lo
	v_add_co_u32 v1, vcc_lo, 0, v4
	s_wait_alu 0xfffd
	s_delay_alu instid0(VALU_DEP_2)
	v_add_co_ci_u32_e64 v2, null, v5, v2, vcc_lo
; %bb.104:
	s_wait_alu 0xfffe
	s_or_b32 exec_lo, exec_lo, s2
	v_mov_b32_dpp v6, v4 row_shr:4 row_mask:0xf bank_mask:0xf
	s_delay_alu instid0(VALU_DEP_2)
	v_mov_b32_dpp v5, v2 row_shr:4 row_mask:0xf bank_mask:0xf
	s_and_saveexec_b32 s2, s3
; %bb.105:
	s_delay_alu instid0(VALU_DEP_2) | instskip(SKIP_2) | instid1(VALU_DEP_2)
	v_add_co_u32 v4, vcc_lo, v1, v6
	s_wait_alu 0xfffd
	v_add_co_ci_u32_e64 v2, null, 0, v2, vcc_lo
	v_add_co_u32 v1, vcc_lo, 0, v4
	s_wait_alu 0xfffd
	s_delay_alu instid0(VALU_DEP_2)
	v_add_co_ci_u32_e64 v2, null, v5, v2, vcc_lo
; %bb.106:
	s_wait_alu 0xfffe
	s_or_b32 exec_lo, exec_lo, s2
	v_mul_i32_i24_e32 v5, 0xffffffec, v0
	v_mov_b32_dpp v6, v4 row_shr:8 row_mask:0xf bank_mask:0xf
	v_mov_b32_dpp v4, v2 row_shr:8 row_mask:0xf bank_mask:0xf
	s_and_saveexec_b32 s2, s4
; %bb.107:
	s_delay_alu instid0(VALU_DEP_2) | instskip(SKIP_2) | instid1(VALU_DEP_2)
	v_add_co_u32 v1, vcc_lo, v1, v6
	s_wait_alu 0xfffd
	v_add_co_ci_u32_e64 v2, null, 0, v2, vcc_lo
	v_add_co_u32 v1, vcc_lo, v1, 0
	s_wait_alu 0xfffd
	s_delay_alu instid0(VALU_DEP_2)
	v_add_co_ci_u32_e64 v2, null, v2, v4, vcc_lo
; %bb.108:
	s_wait_alu 0xfffe
	s_or_b32 exec_lo, exec_lo, s2
	v_add_nc_u32_e32 v4, v35, v5
	ds_store_b64 v4, v[1:2]
.LBB730_109:
	s_or_b32 exec_lo, exec_lo, s14
	v_mov_b32_e32 v6, 0
	v_mov_b32_e32 v7, 0
	s_mov_b32 s2, exec_lo
	s_wait_loadcnt_dscnt 0x0
	s_barrier_signal -1
	s_barrier_wait -1
	global_inv scope:SCOPE_SE
	v_cmpx_lt_u32_e32 31, v0
; %bb.110:
	v_lshl_add_u32 v1, v3, 3, -8
	ds_load_b64 v[6:7], v1
; %bb.111:
	s_wait_alu 0xfffe
	s_or_b32 exec_lo, exec_lo, s2
	v_sub_co_u32 v1, vcc_lo, v41, 1
	v_mov_b32_e32 v5, 0
	s_delay_alu instid0(VALU_DEP_2) | instskip(SKIP_1) | instid1(VALU_DEP_1)
	v_cmp_gt_i32_e64 s2, 0, v1
	s_wait_alu 0xf1ff
	v_cndmask_b32_e64 v1, v1, v41, s2
	s_delay_alu instid0(VALU_DEP_1)
	v_lshlrev_b32_e32 v2, 2, v1
	s_wait_dscnt 0x0
	v_add_co_u32 v1, s2, v6, v15
	s_wait_alu 0xf1ff
	v_add_co_ci_u32_e64 v3, null, v7, v16, s2
	v_cmp_eq_u32_e64 s2, 0, v0
	ds_bpermute_b32 v1, v2, v1
	ds_bpermute_b32 v8, v2, v3
	ds_load_b64 v[2:3], v5 offset:88
	s_and_saveexec_b32 s3, s2
	s_cbranch_execz .LBB730_113
; %bb.112:
	s_wait_kmcnt 0x0
	s_add_nc_u64 s[4:5], s[10:11], 0x200
	v_mov_b32_e32 v4, 2
	s_wait_alu 0xfffe
	v_dual_mov_b32 v16, s5 :: v_dual_mov_b32 v15, s4
	s_wait_dscnt 0x0
	;;#ASMSTART
	global_store_b128 v[15:16], v[2:5] off scope:SCOPE_DEV	
s_wait_storecnt 0x0
	;;#ASMEND
.LBB730_113:
	s_wait_alu 0xfffe
	s_or_b32 exec_lo, exec_lo, s3
	s_wait_dscnt 0x1
	s_wait_alu 0xfffd
	v_dual_cndmask_b32 v1, v1, v6 :: v_dual_cndmask_b32 v4, v8, v7
	s_wait_loadcnt_dscnt 0x0
	s_barrier_signal -1
	s_barrier_wait -1
	s_delay_alu instid0(VALU_DEP_1)
	v_cndmask_b32_e64 v27, v1, 0, s2
	v_cndmask_b32_e64 v28, v4, 0, s2
	v_mov_b32_e32 v4, 0
	v_mov_b32_e32 v5, 0
	global_inv scope:SCOPE_SE
	v_add_co_u32 v25, vcc_lo, v27, v40
	s_wait_alu 0xfffd
	v_add_co_ci_u32_e64 v26, null, 0, v28, vcc_lo
	s_delay_alu instid0(VALU_DEP_2) | instskip(SKIP_1) | instid1(VALU_DEP_2)
	v_add_co_u32 v23, vcc_lo, v25, v38
	s_wait_alu 0xfffd
	v_add_co_ci_u32_e64 v24, null, 0, v26, vcc_lo
	s_delay_alu instid0(VALU_DEP_2) | instskip(SKIP_1) | instid1(VALU_DEP_2)
	;; [unrolled: 4-line block ×5, first 2 shown]
	v_add_co_u32 v17, vcc_lo, v6, v36
	s_wait_alu 0xfffd
	v_add_co_ci_u32_e64 v18, null, 0, v7, vcc_lo
.LBB730_114:
	s_load_b64 s[2:3], s[0:1], 0x28
	v_lshrrev_b32_e32 v8, 8, v34
	v_lshrrev_b32_e32 v1, 16, v34
	v_and_b32_e32 v34, 1, v34
	s_wait_dscnt 0x0
	v_cmp_gt_u64_e32 vcc_lo, 0x181, v[2:3]
	s_mov_b32 s1, -1
	s_delay_alu instid0(VALU_DEP_2)
	v_cmp_eq_u32_e64 s0, 1, v34
	s_cbranch_vccnz .LBB730_118
; %bb.115:
	s_wait_alu 0xfffe
	s_and_b32 vcc_lo, exec_lo, s1
	s_wait_alu 0xfffe
	s_cbranch_vccnz .LBB730_133
.LBB730_116:
	v_cmp_eq_u32_e32 vcc_lo, 0, v0
	s_and_b32 s0, vcc_lo, s12
	s_wait_alu 0xfffe
	s_and_saveexec_b32 s1, s0
	s_cbranch_execnz .LBB730_150
.LBB730_117:
	s_endpgm
.LBB730_118:
	v_add_co_u32 v15, vcc_lo, v4, v2
	s_wait_alu 0xfffd
	v_add_co_ci_u32_e64 v16, null, v5, v3, vcc_lo
	s_wait_kmcnt 0x0
	s_lshl_b64 s[4:5], s[6:7], 2
	s_wait_alu 0xfffe
	s_add_nc_u64 s[4:5], s[2:3], s[4:5]
	v_cmp_lt_u64_e32 vcc_lo, v[27:28], v[15:16]
	s_or_b32 s1, s13, vcc_lo
	s_wait_alu 0xfffe
	s_and_b32 s1, s1, s0
	s_wait_alu 0xfffe
	s_and_saveexec_b32 s0, s1
	s_cbranch_execz .LBB730_120
; %bb.119:
	v_lshlrev_b64_e32 v[35:36], 2, v[27:28]
	s_delay_alu instid0(VALU_DEP_1) | instskip(SKIP_1) | instid1(VALU_DEP_2)
	v_add_co_u32 v35, vcc_lo, s4, v35
	s_wait_alu 0xfffd
	v_add_co_ci_u32_e64 v36, null, s5, v36, vcc_lo
	global_store_b32 v[35:36], v13, off
.LBB730_120:
	s_wait_alu 0xfffe
	s_or_b32 exec_lo, exec_lo, s0
	v_and_b32_e32 v28, 1, v8
	v_cmp_lt_u64_e32 vcc_lo, v[25:26], v[15:16]
	s_delay_alu instid0(VALU_DEP_2)
	v_cmp_eq_u32_e64 s0, 1, v28
	s_or_b32 s1, s13, vcc_lo
	s_wait_alu 0xfffe
	s_and_b32 s1, s1, s0
	s_wait_alu 0xfffe
	s_and_saveexec_b32 s0, s1
	s_cbranch_execz .LBB730_122
; %bb.121:
	v_lshlrev_b64_e32 v[35:36], 2, v[25:26]
	s_delay_alu instid0(VALU_DEP_1) | instskip(SKIP_1) | instid1(VALU_DEP_2)
	v_add_co_u32 v35, vcc_lo, s4, v35
	s_wait_alu 0xfffd
	v_add_co_ci_u32_e64 v36, null, s5, v36, vcc_lo
	global_store_b32 v[35:36], v14, off
.LBB730_122:
	s_wait_alu 0xfffe
	s_or_b32 exec_lo, exec_lo, s0
	v_and_b32_e32 v26, 1, v1
	v_cmp_lt_u64_e32 vcc_lo, v[23:24], v[15:16]
	s_delay_alu instid0(VALU_DEP_2)
	v_cmp_eq_u32_e64 s0, 1, v26
	;; [unrolled: 20-line block ×6, first 2 shown]
	s_or_b32 s1, s13, vcc_lo
	s_wait_alu 0xfffe
	s_and_b32 s1, s1, s0
	s_wait_alu 0xfffe
	s_and_saveexec_b32 s0, s1
	s_cbranch_execz .LBB730_132
; %bb.131:
	v_lshlrev_b64_e32 v[15:16], 2, v[17:18]
	s_delay_alu instid0(VALU_DEP_1) | instskip(SKIP_1) | instid1(VALU_DEP_2)
	v_add_co_u32 v15, vcc_lo, s4, v15
	s_wait_alu 0xfffd
	v_add_co_ci_u32_e64 v16, null, s5, v16, vcc_lo
	global_store_b32 v[15:16], v29, off
.LBB730_132:
	s_wait_alu 0xfffe
	s_or_b32 exec_lo, exec_lo, s0
	s_branch .LBB730_116
.LBB730_133:
	s_mov_b32 s0, exec_lo
	v_cmpx_eq_u32_e32 1, v34
; %bb.134:
	v_sub_nc_u32_e32 v7, v27, v4
	s_delay_alu instid0(VALU_DEP_1)
	v_lshlrev_b32_e32 v7, 2, v7
	ds_store_b32 v7, v13
; %bb.135:
	s_wait_alu 0xfffe
	s_or_b32 exec_lo, exec_lo, s0
	v_and_b32_e32 v7, 1, v8
	s_mov_b32 s0, exec_lo
	s_delay_alu instid0(VALU_DEP_1)
	v_cmpx_eq_u32_e32 1, v7
; %bb.136:
	v_sub_nc_u32_e32 v7, v25, v4
	s_delay_alu instid0(VALU_DEP_1)
	v_lshlrev_b32_e32 v7, 2, v7
	ds_store_b32 v7, v14
; %bb.137:
	s_wait_alu 0xfffe
	s_or_b32 exec_lo, exec_lo, s0
	v_and_b32_e32 v1, 1, v1
	s_mov_b32 s0, exec_lo
	s_delay_alu instid0(VALU_DEP_1)
	;; [unrolled: 12-line block ×6, first 2 shown]
	v_cmpx_eq_u32_e32 1, v1
; %bb.146:
	v_sub_nc_u32_e32 v1, v17, v4
	s_delay_alu instid0(VALU_DEP_1)
	v_lshlrev_b32_e32 v1, 2, v1
	ds_store_b32 v1, v29
; %bb.147:
	s_wait_alu 0xfffe
	s_or_b32 exec_lo, exec_lo, s0
	v_dual_mov_b32 v7, 0 :: v_dual_add_nc_u32 v6, 0x180, v0
	v_lshlrev_b64_e32 v[8:9], 2, v[4:5]
	s_wait_kmcnt 0x0
	s_lshl_b64 s[0:1], s[6:7], 2
	s_wait_storecnt 0x0
	s_wait_loadcnt_dscnt 0x0
	v_mov_b32_e32 v1, v7
	s_wait_alu 0xfffe
	s_add_nc_u64 s[0:1], s[2:3], s[0:1]
	s_barrier_signal -1
	s_wait_alu 0xfffe
	v_add_co_u32 v10, vcc_lo, s0, v8
	s_wait_alu 0xfffd
	v_add_co_ci_u32_e64 v11, null, s1, v9, vcc_lo
	v_dual_mov_b32 v9, v1 :: v_dual_mov_b32 v8, v0
	s_mov_b32 s1, 0
	s_barrier_wait -1
	global_inv scope:SCOPE_SE
.LBB730_148:                            ; =>This Inner Loop Header: Depth=1
	v_lshlrev_b32_e32 v1, 2, v8
	v_lshlrev_b64_e32 v[12:13], 2, v[8:9]
	v_dual_mov_b32 v9, v7 :: v_dual_mov_b32 v8, v6
	v_cmp_le_u64_e32 vcc_lo, v[2:3], v[6:7]
	ds_load_b32 v1, v1
	v_add_nc_u32_e32 v6, 0x180, v6
	v_add_co_u32 v12, s0, v10, v12
	s_wait_alu 0xf1ff
	v_add_co_ci_u32_e64 v13, null, v11, v13, s0
	s_wait_alu 0xfffe
	s_or_b32 s1, vcc_lo, s1
	s_wait_dscnt 0x0
	global_store_b32 v[12:13], v1, off
	s_wait_alu 0xfffe
	s_and_not1_b32 exec_lo, exec_lo, s1
	s_cbranch_execnz .LBB730_148
; %bb.149:
	s_or_b32 exec_lo, exec_lo, s1
	v_cmp_eq_u32_e32 vcc_lo, 0, v0
	s_and_b32 s0, vcc_lo, s12
	s_wait_alu 0xfffe
	s_and_saveexec_b32 s1, s0
	s_cbranch_execz .LBB730_117
.LBB730_150:
	v_add_co_u32 v0, vcc_lo, v4, v2
	s_wait_alu 0xfffd
	v_add_co_ci_u32_e64 v1, null, v5, v3, vcc_lo
	v_mov_b32_e32 v2, 0
	s_wait_kmcnt 0x0
	v_add_co_u32 v0, vcc_lo, v0, s6
	s_wait_alu 0xfffd
	v_add_co_ci_u32_e64 v1, null, s7, v1, vcc_lo
	global_store_b64 v2, v[0:1], s[8:9]
	s_endpgm
	.section	.rodata,"a",@progbits
	.p2align	6, 0x0
	.amdhsa_kernel _ZN7rocprim17ROCPRIM_400000_NS6detail17trampoline_kernelINS0_14default_configENS1_25partition_config_selectorILNS1_17partition_subalgoE6EiNS0_10empty_typeEbEEZZNS1_14partition_implILS5_6ELb0ES3_mN6thrust23THRUST_200600_302600_NS6detail15normal_iteratorINSA_10device_ptrIiEEEEPS6_SG_NS0_5tupleIJSF_S6_EEENSH_IJSG_SG_EEES6_PlJNSB_9not_fun_tI7is_evenIiEEEEEE10hipError_tPvRmT3_T4_T5_T6_T7_T9_mT8_P12ihipStream_tbDpT10_ENKUlT_T0_E_clISt17integral_constantIbLb0EES18_EEDaS13_S14_EUlS13_E_NS1_11comp_targetILNS1_3genE10ELNS1_11target_archE1200ELNS1_3gpuE4ELNS1_3repE0EEENS1_30default_config_static_selectorELNS0_4arch9wavefront6targetE0EEEvT1_
		.amdhsa_group_segment_fixed_size 10768
		.amdhsa_private_segment_fixed_size 0
		.amdhsa_kernarg_size 112
		.amdhsa_user_sgpr_count 2
		.amdhsa_user_sgpr_dispatch_ptr 0
		.amdhsa_user_sgpr_queue_ptr 0
		.amdhsa_user_sgpr_kernarg_segment_ptr 1
		.amdhsa_user_sgpr_dispatch_id 0
		.amdhsa_user_sgpr_private_segment_size 0
		.amdhsa_wavefront_size32 1
		.amdhsa_uses_dynamic_stack 0
		.amdhsa_enable_private_segment 0
		.amdhsa_system_sgpr_workgroup_id_x 1
		.amdhsa_system_sgpr_workgroup_id_y 0
		.amdhsa_system_sgpr_workgroup_id_z 0
		.amdhsa_system_sgpr_workgroup_info 0
		.amdhsa_system_vgpr_workitem_id 0
		.amdhsa_next_free_vgpr 50
		.amdhsa_next_free_sgpr 19
		.amdhsa_reserve_vcc 1
		.amdhsa_float_round_mode_32 0
		.amdhsa_float_round_mode_16_64 0
		.amdhsa_float_denorm_mode_32 3
		.amdhsa_float_denorm_mode_16_64 3
		.amdhsa_fp16_overflow 0
		.amdhsa_workgroup_processor_mode 1
		.amdhsa_memory_ordered 1
		.amdhsa_forward_progress 1
		.amdhsa_inst_pref_size 58
		.amdhsa_round_robin_scheduling 0
		.amdhsa_exception_fp_ieee_invalid_op 0
		.amdhsa_exception_fp_denorm_src 0
		.amdhsa_exception_fp_ieee_div_zero 0
		.amdhsa_exception_fp_ieee_overflow 0
		.amdhsa_exception_fp_ieee_underflow 0
		.amdhsa_exception_fp_ieee_inexact 0
		.amdhsa_exception_int_div_zero 0
	.end_amdhsa_kernel
	.section	.text._ZN7rocprim17ROCPRIM_400000_NS6detail17trampoline_kernelINS0_14default_configENS1_25partition_config_selectorILNS1_17partition_subalgoE6EiNS0_10empty_typeEbEEZZNS1_14partition_implILS5_6ELb0ES3_mN6thrust23THRUST_200600_302600_NS6detail15normal_iteratorINSA_10device_ptrIiEEEEPS6_SG_NS0_5tupleIJSF_S6_EEENSH_IJSG_SG_EEES6_PlJNSB_9not_fun_tI7is_evenIiEEEEEE10hipError_tPvRmT3_T4_T5_T6_T7_T9_mT8_P12ihipStream_tbDpT10_ENKUlT_T0_E_clISt17integral_constantIbLb0EES18_EEDaS13_S14_EUlS13_E_NS1_11comp_targetILNS1_3genE10ELNS1_11target_archE1200ELNS1_3gpuE4ELNS1_3repE0EEENS1_30default_config_static_selectorELNS0_4arch9wavefront6targetE0EEEvT1_,"axG",@progbits,_ZN7rocprim17ROCPRIM_400000_NS6detail17trampoline_kernelINS0_14default_configENS1_25partition_config_selectorILNS1_17partition_subalgoE6EiNS0_10empty_typeEbEEZZNS1_14partition_implILS5_6ELb0ES3_mN6thrust23THRUST_200600_302600_NS6detail15normal_iteratorINSA_10device_ptrIiEEEEPS6_SG_NS0_5tupleIJSF_S6_EEENSH_IJSG_SG_EEES6_PlJNSB_9not_fun_tI7is_evenIiEEEEEE10hipError_tPvRmT3_T4_T5_T6_T7_T9_mT8_P12ihipStream_tbDpT10_ENKUlT_T0_E_clISt17integral_constantIbLb0EES18_EEDaS13_S14_EUlS13_E_NS1_11comp_targetILNS1_3genE10ELNS1_11target_archE1200ELNS1_3gpuE4ELNS1_3repE0EEENS1_30default_config_static_selectorELNS0_4arch9wavefront6targetE0EEEvT1_,comdat
.Lfunc_end730:
	.size	_ZN7rocprim17ROCPRIM_400000_NS6detail17trampoline_kernelINS0_14default_configENS1_25partition_config_selectorILNS1_17partition_subalgoE6EiNS0_10empty_typeEbEEZZNS1_14partition_implILS5_6ELb0ES3_mN6thrust23THRUST_200600_302600_NS6detail15normal_iteratorINSA_10device_ptrIiEEEEPS6_SG_NS0_5tupleIJSF_S6_EEENSH_IJSG_SG_EEES6_PlJNSB_9not_fun_tI7is_evenIiEEEEEE10hipError_tPvRmT3_T4_T5_T6_T7_T9_mT8_P12ihipStream_tbDpT10_ENKUlT_T0_E_clISt17integral_constantIbLb0EES18_EEDaS13_S14_EUlS13_E_NS1_11comp_targetILNS1_3genE10ELNS1_11target_archE1200ELNS1_3gpuE4ELNS1_3repE0EEENS1_30default_config_static_selectorELNS0_4arch9wavefront6targetE0EEEvT1_, .Lfunc_end730-_ZN7rocprim17ROCPRIM_400000_NS6detail17trampoline_kernelINS0_14default_configENS1_25partition_config_selectorILNS1_17partition_subalgoE6EiNS0_10empty_typeEbEEZZNS1_14partition_implILS5_6ELb0ES3_mN6thrust23THRUST_200600_302600_NS6detail15normal_iteratorINSA_10device_ptrIiEEEEPS6_SG_NS0_5tupleIJSF_S6_EEENSH_IJSG_SG_EEES6_PlJNSB_9not_fun_tI7is_evenIiEEEEEE10hipError_tPvRmT3_T4_T5_T6_T7_T9_mT8_P12ihipStream_tbDpT10_ENKUlT_T0_E_clISt17integral_constantIbLb0EES18_EEDaS13_S14_EUlS13_E_NS1_11comp_targetILNS1_3genE10ELNS1_11target_archE1200ELNS1_3gpuE4ELNS1_3repE0EEENS1_30default_config_static_selectorELNS0_4arch9wavefront6targetE0EEEvT1_
                                        ; -- End function
	.set _ZN7rocprim17ROCPRIM_400000_NS6detail17trampoline_kernelINS0_14default_configENS1_25partition_config_selectorILNS1_17partition_subalgoE6EiNS0_10empty_typeEbEEZZNS1_14partition_implILS5_6ELb0ES3_mN6thrust23THRUST_200600_302600_NS6detail15normal_iteratorINSA_10device_ptrIiEEEEPS6_SG_NS0_5tupleIJSF_S6_EEENSH_IJSG_SG_EEES6_PlJNSB_9not_fun_tI7is_evenIiEEEEEE10hipError_tPvRmT3_T4_T5_T6_T7_T9_mT8_P12ihipStream_tbDpT10_ENKUlT_T0_E_clISt17integral_constantIbLb0EES18_EEDaS13_S14_EUlS13_E_NS1_11comp_targetILNS1_3genE10ELNS1_11target_archE1200ELNS1_3gpuE4ELNS1_3repE0EEENS1_30default_config_static_selectorELNS0_4arch9wavefront6targetE0EEEvT1_.num_vgpr, 50
	.set _ZN7rocprim17ROCPRIM_400000_NS6detail17trampoline_kernelINS0_14default_configENS1_25partition_config_selectorILNS1_17partition_subalgoE6EiNS0_10empty_typeEbEEZZNS1_14partition_implILS5_6ELb0ES3_mN6thrust23THRUST_200600_302600_NS6detail15normal_iteratorINSA_10device_ptrIiEEEEPS6_SG_NS0_5tupleIJSF_S6_EEENSH_IJSG_SG_EEES6_PlJNSB_9not_fun_tI7is_evenIiEEEEEE10hipError_tPvRmT3_T4_T5_T6_T7_T9_mT8_P12ihipStream_tbDpT10_ENKUlT_T0_E_clISt17integral_constantIbLb0EES18_EEDaS13_S14_EUlS13_E_NS1_11comp_targetILNS1_3genE10ELNS1_11target_archE1200ELNS1_3gpuE4ELNS1_3repE0EEENS1_30default_config_static_selectorELNS0_4arch9wavefront6targetE0EEEvT1_.num_agpr, 0
	.set _ZN7rocprim17ROCPRIM_400000_NS6detail17trampoline_kernelINS0_14default_configENS1_25partition_config_selectorILNS1_17partition_subalgoE6EiNS0_10empty_typeEbEEZZNS1_14partition_implILS5_6ELb0ES3_mN6thrust23THRUST_200600_302600_NS6detail15normal_iteratorINSA_10device_ptrIiEEEEPS6_SG_NS0_5tupleIJSF_S6_EEENSH_IJSG_SG_EEES6_PlJNSB_9not_fun_tI7is_evenIiEEEEEE10hipError_tPvRmT3_T4_T5_T6_T7_T9_mT8_P12ihipStream_tbDpT10_ENKUlT_T0_E_clISt17integral_constantIbLb0EES18_EEDaS13_S14_EUlS13_E_NS1_11comp_targetILNS1_3genE10ELNS1_11target_archE1200ELNS1_3gpuE4ELNS1_3repE0EEENS1_30default_config_static_selectorELNS0_4arch9wavefront6targetE0EEEvT1_.numbered_sgpr, 19
	.set _ZN7rocprim17ROCPRIM_400000_NS6detail17trampoline_kernelINS0_14default_configENS1_25partition_config_selectorILNS1_17partition_subalgoE6EiNS0_10empty_typeEbEEZZNS1_14partition_implILS5_6ELb0ES3_mN6thrust23THRUST_200600_302600_NS6detail15normal_iteratorINSA_10device_ptrIiEEEEPS6_SG_NS0_5tupleIJSF_S6_EEENSH_IJSG_SG_EEES6_PlJNSB_9not_fun_tI7is_evenIiEEEEEE10hipError_tPvRmT3_T4_T5_T6_T7_T9_mT8_P12ihipStream_tbDpT10_ENKUlT_T0_E_clISt17integral_constantIbLb0EES18_EEDaS13_S14_EUlS13_E_NS1_11comp_targetILNS1_3genE10ELNS1_11target_archE1200ELNS1_3gpuE4ELNS1_3repE0EEENS1_30default_config_static_selectorELNS0_4arch9wavefront6targetE0EEEvT1_.num_named_barrier, 0
	.set _ZN7rocprim17ROCPRIM_400000_NS6detail17trampoline_kernelINS0_14default_configENS1_25partition_config_selectorILNS1_17partition_subalgoE6EiNS0_10empty_typeEbEEZZNS1_14partition_implILS5_6ELb0ES3_mN6thrust23THRUST_200600_302600_NS6detail15normal_iteratorINSA_10device_ptrIiEEEEPS6_SG_NS0_5tupleIJSF_S6_EEENSH_IJSG_SG_EEES6_PlJNSB_9not_fun_tI7is_evenIiEEEEEE10hipError_tPvRmT3_T4_T5_T6_T7_T9_mT8_P12ihipStream_tbDpT10_ENKUlT_T0_E_clISt17integral_constantIbLb0EES18_EEDaS13_S14_EUlS13_E_NS1_11comp_targetILNS1_3genE10ELNS1_11target_archE1200ELNS1_3gpuE4ELNS1_3repE0EEENS1_30default_config_static_selectorELNS0_4arch9wavefront6targetE0EEEvT1_.private_seg_size, 0
	.set _ZN7rocprim17ROCPRIM_400000_NS6detail17trampoline_kernelINS0_14default_configENS1_25partition_config_selectorILNS1_17partition_subalgoE6EiNS0_10empty_typeEbEEZZNS1_14partition_implILS5_6ELb0ES3_mN6thrust23THRUST_200600_302600_NS6detail15normal_iteratorINSA_10device_ptrIiEEEEPS6_SG_NS0_5tupleIJSF_S6_EEENSH_IJSG_SG_EEES6_PlJNSB_9not_fun_tI7is_evenIiEEEEEE10hipError_tPvRmT3_T4_T5_T6_T7_T9_mT8_P12ihipStream_tbDpT10_ENKUlT_T0_E_clISt17integral_constantIbLb0EES18_EEDaS13_S14_EUlS13_E_NS1_11comp_targetILNS1_3genE10ELNS1_11target_archE1200ELNS1_3gpuE4ELNS1_3repE0EEENS1_30default_config_static_selectorELNS0_4arch9wavefront6targetE0EEEvT1_.uses_vcc, 1
	.set _ZN7rocprim17ROCPRIM_400000_NS6detail17trampoline_kernelINS0_14default_configENS1_25partition_config_selectorILNS1_17partition_subalgoE6EiNS0_10empty_typeEbEEZZNS1_14partition_implILS5_6ELb0ES3_mN6thrust23THRUST_200600_302600_NS6detail15normal_iteratorINSA_10device_ptrIiEEEEPS6_SG_NS0_5tupleIJSF_S6_EEENSH_IJSG_SG_EEES6_PlJNSB_9not_fun_tI7is_evenIiEEEEEE10hipError_tPvRmT3_T4_T5_T6_T7_T9_mT8_P12ihipStream_tbDpT10_ENKUlT_T0_E_clISt17integral_constantIbLb0EES18_EEDaS13_S14_EUlS13_E_NS1_11comp_targetILNS1_3genE10ELNS1_11target_archE1200ELNS1_3gpuE4ELNS1_3repE0EEENS1_30default_config_static_selectorELNS0_4arch9wavefront6targetE0EEEvT1_.uses_flat_scratch, 1
	.set _ZN7rocprim17ROCPRIM_400000_NS6detail17trampoline_kernelINS0_14default_configENS1_25partition_config_selectorILNS1_17partition_subalgoE6EiNS0_10empty_typeEbEEZZNS1_14partition_implILS5_6ELb0ES3_mN6thrust23THRUST_200600_302600_NS6detail15normal_iteratorINSA_10device_ptrIiEEEEPS6_SG_NS0_5tupleIJSF_S6_EEENSH_IJSG_SG_EEES6_PlJNSB_9not_fun_tI7is_evenIiEEEEEE10hipError_tPvRmT3_T4_T5_T6_T7_T9_mT8_P12ihipStream_tbDpT10_ENKUlT_T0_E_clISt17integral_constantIbLb0EES18_EEDaS13_S14_EUlS13_E_NS1_11comp_targetILNS1_3genE10ELNS1_11target_archE1200ELNS1_3gpuE4ELNS1_3repE0EEENS1_30default_config_static_selectorELNS0_4arch9wavefront6targetE0EEEvT1_.has_dyn_sized_stack, 0
	.set _ZN7rocprim17ROCPRIM_400000_NS6detail17trampoline_kernelINS0_14default_configENS1_25partition_config_selectorILNS1_17partition_subalgoE6EiNS0_10empty_typeEbEEZZNS1_14partition_implILS5_6ELb0ES3_mN6thrust23THRUST_200600_302600_NS6detail15normal_iteratorINSA_10device_ptrIiEEEEPS6_SG_NS0_5tupleIJSF_S6_EEENSH_IJSG_SG_EEES6_PlJNSB_9not_fun_tI7is_evenIiEEEEEE10hipError_tPvRmT3_T4_T5_T6_T7_T9_mT8_P12ihipStream_tbDpT10_ENKUlT_T0_E_clISt17integral_constantIbLb0EES18_EEDaS13_S14_EUlS13_E_NS1_11comp_targetILNS1_3genE10ELNS1_11target_archE1200ELNS1_3gpuE4ELNS1_3repE0EEENS1_30default_config_static_selectorELNS0_4arch9wavefront6targetE0EEEvT1_.has_recursion, 0
	.set _ZN7rocprim17ROCPRIM_400000_NS6detail17trampoline_kernelINS0_14default_configENS1_25partition_config_selectorILNS1_17partition_subalgoE6EiNS0_10empty_typeEbEEZZNS1_14partition_implILS5_6ELb0ES3_mN6thrust23THRUST_200600_302600_NS6detail15normal_iteratorINSA_10device_ptrIiEEEEPS6_SG_NS0_5tupleIJSF_S6_EEENSH_IJSG_SG_EEES6_PlJNSB_9not_fun_tI7is_evenIiEEEEEE10hipError_tPvRmT3_T4_T5_T6_T7_T9_mT8_P12ihipStream_tbDpT10_ENKUlT_T0_E_clISt17integral_constantIbLb0EES18_EEDaS13_S14_EUlS13_E_NS1_11comp_targetILNS1_3genE10ELNS1_11target_archE1200ELNS1_3gpuE4ELNS1_3repE0EEENS1_30default_config_static_selectorELNS0_4arch9wavefront6targetE0EEEvT1_.has_indirect_call, 0
	.section	.AMDGPU.csdata,"",@progbits
; Kernel info:
; codeLenInByte = 7368
; TotalNumSgprs: 21
; NumVgprs: 50
; ScratchSize: 0
; MemoryBound: 0
; FloatMode: 240
; IeeeMode: 1
; LDSByteSize: 10768 bytes/workgroup (compile time only)
; SGPRBlocks: 0
; VGPRBlocks: 6
; NumSGPRsForWavesPerEU: 21
; NumVGPRsForWavesPerEU: 50
; Occupancy: 15
; WaveLimiterHint : 1
; COMPUTE_PGM_RSRC2:SCRATCH_EN: 0
; COMPUTE_PGM_RSRC2:USER_SGPR: 2
; COMPUTE_PGM_RSRC2:TRAP_HANDLER: 0
; COMPUTE_PGM_RSRC2:TGID_X_EN: 1
; COMPUTE_PGM_RSRC2:TGID_Y_EN: 0
; COMPUTE_PGM_RSRC2:TGID_Z_EN: 0
; COMPUTE_PGM_RSRC2:TIDIG_COMP_CNT: 0
	.section	.text._ZN7rocprim17ROCPRIM_400000_NS6detail17trampoline_kernelINS0_14default_configENS1_25partition_config_selectorILNS1_17partition_subalgoE6EiNS0_10empty_typeEbEEZZNS1_14partition_implILS5_6ELb0ES3_mN6thrust23THRUST_200600_302600_NS6detail15normal_iteratorINSA_10device_ptrIiEEEEPS6_SG_NS0_5tupleIJSF_S6_EEENSH_IJSG_SG_EEES6_PlJNSB_9not_fun_tI7is_evenIiEEEEEE10hipError_tPvRmT3_T4_T5_T6_T7_T9_mT8_P12ihipStream_tbDpT10_ENKUlT_T0_E_clISt17integral_constantIbLb0EES18_EEDaS13_S14_EUlS13_E_NS1_11comp_targetILNS1_3genE9ELNS1_11target_archE1100ELNS1_3gpuE3ELNS1_3repE0EEENS1_30default_config_static_selectorELNS0_4arch9wavefront6targetE0EEEvT1_,"axG",@progbits,_ZN7rocprim17ROCPRIM_400000_NS6detail17trampoline_kernelINS0_14default_configENS1_25partition_config_selectorILNS1_17partition_subalgoE6EiNS0_10empty_typeEbEEZZNS1_14partition_implILS5_6ELb0ES3_mN6thrust23THRUST_200600_302600_NS6detail15normal_iteratorINSA_10device_ptrIiEEEEPS6_SG_NS0_5tupleIJSF_S6_EEENSH_IJSG_SG_EEES6_PlJNSB_9not_fun_tI7is_evenIiEEEEEE10hipError_tPvRmT3_T4_T5_T6_T7_T9_mT8_P12ihipStream_tbDpT10_ENKUlT_T0_E_clISt17integral_constantIbLb0EES18_EEDaS13_S14_EUlS13_E_NS1_11comp_targetILNS1_3genE9ELNS1_11target_archE1100ELNS1_3gpuE3ELNS1_3repE0EEENS1_30default_config_static_selectorELNS0_4arch9wavefront6targetE0EEEvT1_,comdat
	.protected	_ZN7rocprim17ROCPRIM_400000_NS6detail17trampoline_kernelINS0_14default_configENS1_25partition_config_selectorILNS1_17partition_subalgoE6EiNS0_10empty_typeEbEEZZNS1_14partition_implILS5_6ELb0ES3_mN6thrust23THRUST_200600_302600_NS6detail15normal_iteratorINSA_10device_ptrIiEEEEPS6_SG_NS0_5tupleIJSF_S6_EEENSH_IJSG_SG_EEES6_PlJNSB_9not_fun_tI7is_evenIiEEEEEE10hipError_tPvRmT3_T4_T5_T6_T7_T9_mT8_P12ihipStream_tbDpT10_ENKUlT_T0_E_clISt17integral_constantIbLb0EES18_EEDaS13_S14_EUlS13_E_NS1_11comp_targetILNS1_3genE9ELNS1_11target_archE1100ELNS1_3gpuE3ELNS1_3repE0EEENS1_30default_config_static_selectorELNS0_4arch9wavefront6targetE0EEEvT1_ ; -- Begin function _ZN7rocprim17ROCPRIM_400000_NS6detail17trampoline_kernelINS0_14default_configENS1_25partition_config_selectorILNS1_17partition_subalgoE6EiNS0_10empty_typeEbEEZZNS1_14partition_implILS5_6ELb0ES3_mN6thrust23THRUST_200600_302600_NS6detail15normal_iteratorINSA_10device_ptrIiEEEEPS6_SG_NS0_5tupleIJSF_S6_EEENSH_IJSG_SG_EEES6_PlJNSB_9not_fun_tI7is_evenIiEEEEEE10hipError_tPvRmT3_T4_T5_T6_T7_T9_mT8_P12ihipStream_tbDpT10_ENKUlT_T0_E_clISt17integral_constantIbLb0EES18_EEDaS13_S14_EUlS13_E_NS1_11comp_targetILNS1_3genE9ELNS1_11target_archE1100ELNS1_3gpuE3ELNS1_3repE0EEENS1_30default_config_static_selectorELNS0_4arch9wavefront6targetE0EEEvT1_
	.globl	_ZN7rocprim17ROCPRIM_400000_NS6detail17trampoline_kernelINS0_14default_configENS1_25partition_config_selectorILNS1_17partition_subalgoE6EiNS0_10empty_typeEbEEZZNS1_14partition_implILS5_6ELb0ES3_mN6thrust23THRUST_200600_302600_NS6detail15normal_iteratorINSA_10device_ptrIiEEEEPS6_SG_NS0_5tupleIJSF_S6_EEENSH_IJSG_SG_EEES6_PlJNSB_9not_fun_tI7is_evenIiEEEEEE10hipError_tPvRmT3_T4_T5_T6_T7_T9_mT8_P12ihipStream_tbDpT10_ENKUlT_T0_E_clISt17integral_constantIbLb0EES18_EEDaS13_S14_EUlS13_E_NS1_11comp_targetILNS1_3genE9ELNS1_11target_archE1100ELNS1_3gpuE3ELNS1_3repE0EEENS1_30default_config_static_selectorELNS0_4arch9wavefront6targetE0EEEvT1_
	.p2align	8
	.type	_ZN7rocprim17ROCPRIM_400000_NS6detail17trampoline_kernelINS0_14default_configENS1_25partition_config_selectorILNS1_17partition_subalgoE6EiNS0_10empty_typeEbEEZZNS1_14partition_implILS5_6ELb0ES3_mN6thrust23THRUST_200600_302600_NS6detail15normal_iteratorINSA_10device_ptrIiEEEEPS6_SG_NS0_5tupleIJSF_S6_EEENSH_IJSG_SG_EEES6_PlJNSB_9not_fun_tI7is_evenIiEEEEEE10hipError_tPvRmT3_T4_T5_T6_T7_T9_mT8_P12ihipStream_tbDpT10_ENKUlT_T0_E_clISt17integral_constantIbLb0EES18_EEDaS13_S14_EUlS13_E_NS1_11comp_targetILNS1_3genE9ELNS1_11target_archE1100ELNS1_3gpuE3ELNS1_3repE0EEENS1_30default_config_static_selectorELNS0_4arch9wavefront6targetE0EEEvT1_,@function
_ZN7rocprim17ROCPRIM_400000_NS6detail17trampoline_kernelINS0_14default_configENS1_25partition_config_selectorILNS1_17partition_subalgoE6EiNS0_10empty_typeEbEEZZNS1_14partition_implILS5_6ELb0ES3_mN6thrust23THRUST_200600_302600_NS6detail15normal_iteratorINSA_10device_ptrIiEEEEPS6_SG_NS0_5tupleIJSF_S6_EEENSH_IJSG_SG_EEES6_PlJNSB_9not_fun_tI7is_evenIiEEEEEE10hipError_tPvRmT3_T4_T5_T6_T7_T9_mT8_P12ihipStream_tbDpT10_ENKUlT_T0_E_clISt17integral_constantIbLb0EES18_EEDaS13_S14_EUlS13_E_NS1_11comp_targetILNS1_3genE9ELNS1_11target_archE1100ELNS1_3gpuE3ELNS1_3repE0EEENS1_30default_config_static_selectorELNS0_4arch9wavefront6targetE0EEEvT1_: ; @_ZN7rocprim17ROCPRIM_400000_NS6detail17trampoline_kernelINS0_14default_configENS1_25partition_config_selectorILNS1_17partition_subalgoE6EiNS0_10empty_typeEbEEZZNS1_14partition_implILS5_6ELb0ES3_mN6thrust23THRUST_200600_302600_NS6detail15normal_iteratorINSA_10device_ptrIiEEEEPS6_SG_NS0_5tupleIJSF_S6_EEENSH_IJSG_SG_EEES6_PlJNSB_9not_fun_tI7is_evenIiEEEEEE10hipError_tPvRmT3_T4_T5_T6_T7_T9_mT8_P12ihipStream_tbDpT10_ENKUlT_T0_E_clISt17integral_constantIbLb0EES18_EEDaS13_S14_EUlS13_E_NS1_11comp_targetILNS1_3genE9ELNS1_11target_archE1100ELNS1_3gpuE3ELNS1_3repE0EEENS1_30default_config_static_selectorELNS0_4arch9wavefront6targetE0EEEvT1_
; %bb.0:
	.section	.rodata,"a",@progbits
	.p2align	6, 0x0
	.amdhsa_kernel _ZN7rocprim17ROCPRIM_400000_NS6detail17trampoline_kernelINS0_14default_configENS1_25partition_config_selectorILNS1_17partition_subalgoE6EiNS0_10empty_typeEbEEZZNS1_14partition_implILS5_6ELb0ES3_mN6thrust23THRUST_200600_302600_NS6detail15normal_iteratorINSA_10device_ptrIiEEEEPS6_SG_NS0_5tupleIJSF_S6_EEENSH_IJSG_SG_EEES6_PlJNSB_9not_fun_tI7is_evenIiEEEEEE10hipError_tPvRmT3_T4_T5_T6_T7_T9_mT8_P12ihipStream_tbDpT10_ENKUlT_T0_E_clISt17integral_constantIbLb0EES18_EEDaS13_S14_EUlS13_E_NS1_11comp_targetILNS1_3genE9ELNS1_11target_archE1100ELNS1_3gpuE3ELNS1_3repE0EEENS1_30default_config_static_selectorELNS0_4arch9wavefront6targetE0EEEvT1_
		.amdhsa_group_segment_fixed_size 0
		.amdhsa_private_segment_fixed_size 0
		.amdhsa_kernarg_size 112
		.amdhsa_user_sgpr_count 2
		.amdhsa_user_sgpr_dispatch_ptr 0
		.amdhsa_user_sgpr_queue_ptr 0
		.amdhsa_user_sgpr_kernarg_segment_ptr 1
		.amdhsa_user_sgpr_dispatch_id 0
		.amdhsa_user_sgpr_private_segment_size 0
		.amdhsa_wavefront_size32 1
		.amdhsa_uses_dynamic_stack 0
		.amdhsa_enable_private_segment 0
		.amdhsa_system_sgpr_workgroup_id_x 1
		.amdhsa_system_sgpr_workgroup_id_y 0
		.amdhsa_system_sgpr_workgroup_id_z 0
		.amdhsa_system_sgpr_workgroup_info 0
		.amdhsa_system_vgpr_workitem_id 0
		.amdhsa_next_free_vgpr 1
		.amdhsa_next_free_sgpr 1
		.amdhsa_reserve_vcc 0
		.amdhsa_float_round_mode_32 0
		.amdhsa_float_round_mode_16_64 0
		.amdhsa_float_denorm_mode_32 3
		.amdhsa_float_denorm_mode_16_64 3
		.amdhsa_fp16_overflow 0
		.amdhsa_workgroup_processor_mode 1
		.amdhsa_memory_ordered 1
		.amdhsa_forward_progress 1
		.amdhsa_inst_pref_size 0
		.amdhsa_round_robin_scheduling 0
		.amdhsa_exception_fp_ieee_invalid_op 0
		.amdhsa_exception_fp_denorm_src 0
		.amdhsa_exception_fp_ieee_div_zero 0
		.amdhsa_exception_fp_ieee_overflow 0
		.amdhsa_exception_fp_ieee_underflow 0
		.amdhsa_exception_fp_ieee_inexact 0
		.amdhsa_exception_int_div_zero 0
	.end_amdhsa_kernel
	.section	.text._ZN7rocprim17ROCPRIM_400000_NS6detail17trampoline_kernelINS0_14default_configENS1_25partition_config_selectorILNS1_17partition_subalgoE6EiNS0_10empty_typeEbEEZZNS1_14partition_implILS5_6ELb0ES3_mN6thrust23THRUST_200600_302600_NS6detail15normal_iteratorINSA_10device_ptrIiEEEEPS6_SG_NS0_5tupleIJSF_S6_EEENSH_IJSG_SG_EEES6_PlJNSB_9not_fun_tI7is_evenIiEEEEEE10hipError_tPvRmT3_T4_T5_T6_T7_T9_mT8_P12ihipStream_tbDpT10_ENKUlT_T0_E_clISt17integral_constantIbLb0EES18_EEDaS13_S14_EUlS13_E_NS1_11comp_targetILNS1_3genE9ELNS1_11target_archE1100ELNS1_3gpuE3ELNS1_3repE0EEENS1_30default_config_static_selectorELNS0_4arch9wavefront6targetE0EEEvT1_,"axG",@progbits,_ZN7rocprim17ROCPRIM_400000_NS6detail17trampoline_kernelINS0_14default_configENS1_25partition_config_selectorILNS1_17partition_subalgoE6EiNS0_10empty_typeEbEEZZNS1_14partition_implILS5_6ELb0ES3_mN6thrust23THRUST_200600_302600_NS6detail15normal_iteratorINSA_10device_ptrIiEEEEPS6_SG_NS0_5tupleIJSF_S6_EEENSH_IJSG_SG_EEES6_PlJNSB_9not_fun_tI7is_evenIiEEEEEE10hipError_tPvRmT3_T4_T5_T6_T7_T9_mT8_P12ihipStream_tbDpT10_ENKUlT_T0_E_clISt17integral_constantIbLb0EES18_EEDaS13_S14_EUlS13_E_NS1_11comp_targetILNS1_3genE9ELNS1_11target_archE1100ELNS1_3gpuE3ELNS1_3repE0EEENS1_30default_config_static_selectorELNS0_4arch9wavefront6targetE0EEEvT1_,comdat
.Lfunc_end731:
	.size	_ZN7rocprim17ROCPRIM_400000_NS6detail17trampoline_kernelINS0_14default_configENS1_25partition_config_selectorILNS1_17partition_subalgoE6EiNS0_10empty_typeEbEEZZNS1_14partition_implILS5_6ELb0ES3_mN6thrust23THRUST_200600_302600_NS6detail15normal_iteratorINSA_10device_ptrIiEEEEPS6_SG_NS0_5tupleIJSF_S6_EEENSH_IJSG_SG_EEES6_PlJNSB_9not_fun_tI7is_evenIiEEEEEE10hipError_tPvRmT3_T4_T5_T6_T7_T9_mT8_P12ihipStream_tbDpT10_ENKUlT_T0_E_clISt17integral_constantIbLb0EES18_EEDaS13_S14_EUlS13_E_NS1_11comp_targetILNS1_3genE9ELNS1_11target_archE1100ELNS1_3gpuE3ELNS1_3repE0EEENS1_30default_config_static_selectorELNS0_4arch9wavefront6targetE0EEEvT1_, .Lfunc_end731-_ZN7rocprim17ROCPRIM_400000_NS6detail17trampoline_kernelINS0_14default_configENS1_25partition_config_selectorILNS1_17partition_subalgoE6EiNS0_10empty_typeEbEEZZNS1_14partition_implILS5_6ELb0ES3_mN6thrust23THRUST_200600_302600_NS6detail15normal_iteratorINSA_10device_ptrIiEEEEPS6_SG_NS0_5tupleIJSF_S6_EEENSH_IJSG_SG_EEES6_PlJNSB_9not_fun_tI7is_evenIiEEEEEE10hipError_tPvRmT3_T4_T5_T6_T7_T9_mT8_P12ihipStream_tbDpT10_ENKUlT_T0_E_clISt17integral_constantIbLb0EES18_EEDaS13_S14_EUlS13_E_NS1_11comp_targetILNS1_3genE9ELNS1_11target_archE1100ELNS1_3gpuE3ELNS1_3repE0EEENS1_30default_config_static_selectorELNS0_4arch9wavefront6targetE0EEEvT1_
                                        ; -- End function
	.set _ZN7rocprim17ROCPRIM_400000_NS6detail17trampoline_kernelINS0_14default_configENS1_25partition_config_selectorILNS1_17partition_subalgoE6EiNS0_10empty_typeEbEEZZNS1_14partition_implILS5_6ELb0ES3_mN6thrust23THRUST_200600_302600_NS6detail15normal_iteratorINSA_10device_ptrIiEEEEPS6_SG_NS0_5tupleIJSF_S6_EEENSH_IJSG_SG_EEES6_PlJNSB_9not_fun_tI7is_evenIiEEEEEE10hipError_tPvRmT3_T4_T5_T6_T7_T9_mT8_P12ihipStream_tbDpT10_ENKUlT_T0_E_clISt17integral_constantIbLb0EES18_EEDaS13_S14_EUlS13_E_NS1_11comp_targetILNS1_3genE9ELNS1_11target_archE1100ELNS1_3gpuE3ELNS1_3repE0EEENS1_30default_config_static_selectorELNS0_4arch9wavefront6targetE0EEEvT1_.num_vgpr, 0
	.set _ZN7rocprim17ROCPRIM_400000_NS6detail17trampoline_kernelINS0_14default_configENS1_25partition_config_selectorILNS1_17partition_subalgoE6EiNS0_10empty_typeEbEEZZNS1_14partition_implILS5_6ELb0ES3_mN6thrust23THRUST_200600_302600_NS6detail15normal_iteratorINSA_10device_ptrIiEEEEPS6_SG_NS0_5tupleIJSF_S6_EEENSH_IJSG_SG_EEES6_PlJNSB_9not_fun_tI7is_evenIiEEEEEE10hipError_tPvRmT3_T4_T5_T6_T7_T9_mT8_P12ihipStream_tbDpT10_ENKUlT_T0_E_clISt17integral_constantIbLb0EES18_EEDaS13_S14_EUlS13_E_NS1_11comp_targetILNS1_3genE9ELNS1_11target_archE1100ELNS1_3gpuE3ELNS1_3repE0EEENS1_30default_config_static_selectorELNS0_4arch9wavefront6targetE0EEEvT1_.num_agpr, 0
	.set _ZN7rocprim17ROCPRIM_400000_NS6detail17trampoline_kernelINS0_14default_configENS1_25partition_config_selectorILNS1_17partition_subalgoE6EiNS0_10empty_typeEbEEZZNS1_14partition_implILS5_6ELb0ES3_mN6thrust23THRUST_200600_302600_NS6detail15normal_iteratorINSA_10device_ptrIiEEEEPS6_SG_NS0_5tupleIJSF_S6_EEENSH_IJSG_SG_EEES6_PlJNSB_9not_fun_tI7is_evenIiEEEEEE10hipError_tPvRmT3_T4_T5_T6_T7_T9_mT8_P12ihipStream_tbDpT10_ENKUlT_T0_E_clISt17integral_constantIbLb0EES18_EEDaS13_S14_EUlS13_E_NS1_11comp_targetILNS1_3genE9ELNS1_11target_archE1100ELNS1_3gpuE3ELNS1_3repE0EEENS1_30default_config_static_selectorELNS0_4arch9wavefront6targetE0EEEvT1_.numbered_sgpr, 0
	.set _ZN7rocprim17ROCPRIM_400000_NS6detail17trampoline_kernelINS0_14default_configENS1_25partition_config_selectorILNS1_17partition_subalgoE6EiNS0_10empty_typeEbEEZZNS1_14partition_implILS5_6ELb0ES3_mN6thrust23THRUST_200600_302600_NS6detail15normal_iteratorINSA_10device_ptrIiEEEEPS6_SG_NS0_5tupleIJSF_S6_EEENSH_IJSG_SG_EEES6_PlJNSB_9not_fun_tI7is_evenIiEEEEEE10hipError_tPvRmT3_T4_T5_T6_T7_T9_mT8_P12ihipStream_tbDpT10_ENKUlT_T0_E_clISt17integral_constantIbLb0EES18_EEDaS13_S14_EUlS13_E_NS1_11comp_targetILNS1_3genE9ELNS1_11target_archE1100ELNS1_3gpuE3ELNS1_3repE0EEENS1_30default_config_static_selectorELNS0_4arch9wavefront6targetE0EEEvT1_.num_named_barrier, 0
	.set _ZN7rocprim17ROCPRIM_400000_NS6detail17trampoline_kernelINS0_14default_configENS1_25partition_config_selectorILNS1_17partition_subalgoE6EiNS0_10empty_typeEbEEZZNS1_14partition_implILS5_6ELb0ES3_mN6thrust23THRUST_200600_302600_NS6detail15normal_iteratorINSA_10device_ptrIiEEEEPS6_SG_NS0_5tupleIJSF_S6_EEENSH_IJSG_SG_EEES6_PlJNSB_9not_fun_tI7is_evenIiEEEEEE10hipError_tPvRmT3_T4_T5_T6_T7_T9_mT8_P12ihipStream_tbDpT10_ENKUlT_T0_E_clISt17integral_constantIbLb0EES18_EEDaS13_S14_EUlS13_E_NS1_11comp_targetILNS1_3genE9ELNS1_11target_archE1100ELNS1_3gpuE3ELNS1_3repE0EEENS1_30default_config_static_selectorELNS0_4arch9wavefront6targetE0EEEvT1_.private_seg_size, 0
	.set _ZN7rocprim17ROCPRIM_400000_NS6detail17trampoline_kernelINS0_14default_configENS1_25partition_config_selectorILNS1_17partition_subalgoE6EiNS0_10empty_typeEbEEZZNS1_14partition_implILS5_6ELb0ES3_mN6thrust23THRUST_200600_302600_NS6detail15normal_iteratorINSA_10device_ptrIiEEEEPS6_SG_NS0_5tupleIJSF_S6_EEENSH_IJSG_SG_EEES6_PlJNSB_9not_fun_tI7is_evenIiEEEEEE10hipError_tPvRmT3_T4_T5_T6_T7_T9_mT8_P12ihipStream_tbDpT10_ENKUlT_T0_E_clISt17integral_constantIbLb0EES18_EEDaS13_S14_EUlS13_E_NS1_11comp_targetILNS1_3genE9ELNS1_11target_archE1100ELNS1_3gpuE3ELNS1_3repE0EEENS1_30default_config_static_selectorELNS0_4arch9wavefront6targetE0EEEvT1_.uses_vcc, 0
	.set _ZN7rocprim17ROCPRIM_400000_NS6detail17trampoline_kernelINS0_14default_configENS1_25partition_config_selectorILNS1_17partition_subalgoE6EiNS0_10empty_typeEbEEZZNS1_14partition_implILS5_6ELb0ES3_mN6thrust23THRUST_200600_302600_NS6detail15normal_iteratorINSA_10device_ptrIiEEEEPS6_SG_NS0_5tupleIJSF_S6_EEENSH_IJSG_SG_EEES6_PlJNSB_9not_fun_tI7is_evenIiEEEEEE10hipError_tPvRmT3_T4_T5_T6_T7_T9_mT8_P12ihipStream_tbDpT10_ENKUlT_T0_E_clISt17integral_constantIbLb0EES18_EEDaS13_S14_EUlS13_E_NS1_11comp_targetILNS1_3genE9ELNS1_11target_archE1100ELNS1_3gpuE3ELNS1_3repE0EEENS1_30default_config_static_selectorELNS0_4arch9wavefront6targetE0EEEvT1_.uses_flat_scratch, 0
	.set _ZN7rocprim17ROCPRIM_400000_NS6detail17trampoline_kernelINS0_14default_configENS1_25partition_config_selectorILNS1_17partition_subalgoE6EiNS0_10empty_typeEbEEZZNS1_14partition_implILS5_6ELb0ES3_mN6thrust23THRUST_200600_302600_NS6detail15normal_iteratorINSA_10device_ptrIiEEEEPS6_SG_NS0_5tupleIJSF_S6_EEENSH_IJSG_SG_EEES6_PlJNSB_9not_fun_tI7is_evenIiEEEEEE10hipError_tPvRmT3_T4_T5_T6_T7_T9_mT8_P12ihipStream_tbDpT10_ENKUlT_T0_E_clISt17integral_constantIbLb0EES18_EEDaS13_S14_EUlS13_E_NS1_11comp_targetILNS1_3genE9ELNS1_11target_archE1100ELNS1_3gpuE3ELNS1_3repE0EEENS1_30default_config_static_selectorELNS0_4arch9wavefront6targetE0EEEvT1_.has_dyn_sized_stack, 0
	.set _ZN7rocprim17ROCPRIM_400000_NS6detail17trampoline_kernelINS0_14default_configENS1_25partition_config_selectorILNS1_17partition_subalgoE6EiNS0_10empty_typeEbEEZZNS1_14partition_implILS5_6ELb0ES3_mN6thrust23THRUST_200600_302600_NS6detail15normal_iteratorINSA_10device_ptrIiEEEEPS6_SG_NS0_5tupleIJSF_S6_EEENSH_IJSG_SG_EEES6_PlJNSB_9not_fun_tI7is_evenIiEEEEEE10hipError_tPvRmT3_T4_T5_T6_T7_T9_mT8_P12ihipStream_tbDpT10_ENKUlT_T0_E_clISt17integral_constantIbLb0EES18_EEDaS13_S14_EUlS13_E_NS1_11comp_targetILNS1_3genE9ELNS1_11target_archE1100ELNS1_3gpuE3ELNS1_3repE0EEENS1_30default_config_static_selectorELNS0_4arch9wavefront6targetE0EEEvT1_.has_recursion, 0
	.set _ZN7rocprim17ROCPRIM_400000_NS6detail17trampoline_kernelINS0_14default_configENS1_25partition_config_selectorILNS1_17partition_subalgoE6EiNS0_10empty_typeEbEEZZNS1_14partition_implILS5_6ELb0ES3_mN6thrust23THRUST_200600_302600_NS6detail15normal_iteratorINSA_10device_ptrIiEEEEPS6_SG_NS0_5tupleIJSF_S6_EEENSH_IJSG_SG_EEES6_PlJNSB_9not_fun_tI7is_evenIiEEEEEE10hipError_tPvRmT3_T4_T5_T6_T7_T9_mT8_P12ihipStream_tbDpT10_ENKUlT_T0_E_clISt17integral_constantIbLb0EES18_EEDaS13_S14_EUlS13_E_NS1_11comp_targetILNS1_3genE9ELNS1_11target_archE1100ELNS1_3gpuE3ELNS1_3repE0EEENS1_30default_config_static_selectorELNS0_4arch9wavefront6targetE0EEEvT1_.has_indirect_call, 0
	.section	.AMDGPU.csdata,"",@progbits
; Kernel info:
; codeLenInByte = 0
; TotalNumSgprs: 0
; NumVgprs: 0
; ScratchSize: 0
; MemoryBound: 0
; FloatMode: 240
; IeeeMode: 1
; LDSByteSize: 0 bytes/workgroup (compile time only)
; SGPRBlocks: 0
; VGPRBlocks: 0
; NumSGPRsForWavesPerEU: 1
; NumVGPRsForWavesPerEU: 1
; Occupancy: 16
; WaveLimiterHint : 0
; COMPUTE_PGM_RSRC2:SCRATCH_EN: 0
; COMPUTE_PGM_RSRC2:USER_SGPR: 2
; COMPUTE_PGM_RSRC2:TRAP_HANDLER: 0
; COMPUTE_PGM_RSRC2:TGID_X_EN: 1
; COMPUTE_PGM_RSRC2:TGID_Y_EN: 0
; COMPUTE_PGM_RSRC2:TGID_Z_EN: 0
; COMPUTE_PGM_RSRC2:TIDIG_COMP_CNT: 0
	.section	.text._ZN7rocprim17ROCPRIM_400000_NS6detail17trampoline_kernelINS0_14default_configENS1_25partition_config_selectorILNS1_17partition_subalgoE6EiNS0_10empty_typeEbEEZZNS1_14partition_implILS5_6ELb0ES3_mN6thrust23THRUST_200600_302600_NS6detail15normal_iteratorINSA_10device_ptrIiEEEEPS6_SG_NS0_5tupleIJSF_S6_EEENSH_IJSG_SG_EEES6_PlJNSB_9not_fun_tI7is_evenIiEEEEEE10hipError_tPvRmT3_T4_T5_T6_T7_T9_mT8_P12ihipStream_tbDpT10_ENKUlT_T0_E_clISt17integral_constantIbLb0EES18_EEDaS13_S14_EUlS13_E_NS1_11comp_targetILNS1_3genE8ELNS1_11target_archE1030ELNS1_3gpuE2ELNS1_3repE0EEENS1_30default_config_static_selectorELNS0_4arch9wavefront6targetE0EEEvT1_,"axG",@progbits,_ZN7rocprim17ROCPRIM_400000_NS6detail17trampoline_kernelINS0_14default_configENS1_25partition_config_selectorILNS1_17partition_subalgoE6EiNS0_10empty_typeEbEEZZNS1_14partition_implILS5_6ELb0ES3_mN6thrust23THRUST_200600_302600_NS6detail15normal_iteratorINSA_10device_ptrIiEEEEPS6_SG_NS0_5tupleIJSF_S6_EEENSH_IJSG_SG_EEES6_PlJNSB_9not_fun_tI7is_evenIiEEEEEE10hipError_tPvRmT3_T4_T5_T6_T7_T9_mT8_P12ihipStream_tbDpT10_ENKUlT_T0_E_clISt17integral_constantIbLb0EES18_EEDaS13_S14_EUlS13_E_NS1_11comp_targetILNS1_3genE8ELNS1_11target_archE1030ELNS1_3gpuE2ELNS1_3repE0EEENS1_30default_config_static_selectorELNS0_4arch9wavefront6targetE0EEEvT1_,comdat
	.protected	_ZN7rocprim17ROCPRIM_400000_NS6detail17trampoline_kernelINS0_14default_configENS1_25partition_config_selectorILNS1_17partition_subalgoE6EiNS0_10empty_typeEbEEZZNS1_14partition_implILS5_6ELb0ES3_mN6thrust23THRUST_200600_302600_NS6detail15normal_iteratorINSA_10device_ptrIiEEEEPS6_SG_NS0_5tupleIJSF_S6_EEENSH_IJSG_SG_EEES6_PlJNSB_9not_fun_tI7is_evenIiEEEEEE10hipError_tPvRmT3_T4_T5_T6_T7_T9_mT8_P12ihipStream_tbDpT10_ENKUlT_T0_E_clISt17integral_constantIbLb0EES18_EEDaS13_S14_EUlS13_E_NS1_11comp_targetILNS1_3genE8ELNS1_11target_archE1030ELNS1_3gpuE2ELNS1_3repE0EEENS1_30default_config_static_selectorELNS0_4arch9wavefront6targetE0EEEvT1_ ; -- Begin function _ZN7rocprim17ROCPRIM_400000_NS6detail17trampoline_kernelINS0_14default_configENS1_25partition_config_selectorILNS1_17partition_subalgoE6EiNS0_10empty_typeEbEEZZNS1_14partition_implILS5_6ELb0ES3_mN6thrust23THRUST_200600_302600_NS6detail15normal_iteratorINSA_10device_ptrIiEEEEPS6_SG_NS0_5tupleIJSF_S6_EEENSH_IJSG_SG_EEES6_PlJNSB_9not_fun_tI7is_evenIiEEEEEE10hipError_tPvRmT3_T4_T5_T6_T7_T9_mT8_P12ihipStream_tbDpT10_ENKUlT_T0_E_clISt17integral_constantIbLb0EES18_EEDaS13_S14_EUlS13_E_NS1_11comp_targetILNS1_3genE8ELNS1_11target_archE1030ELNS1_3gpuE2ELNS1_3repE0EEENS1_30default_config_static_selectorELNS0_4arch9wavefront6targetE0EEEvT1_
	.globl	_ZN7rocprim17ROCPRIM_400000_NS6detail17trampoline_kernelINS0_14default_configENS1_25partition_config_selectorILNS1_17partition_subalgoE6EiNS0_10empty_typeEbEEZZNS1_14partition_implILS5_6ELb0ES3_mN6thrust23THRUST_200600_302600_NS6detail15normal_iteratorINSA_10device_ptrIiEEEEPS6_SG_NS0_5tupleIJSF_S6_EEENSH_IJSG_SG_EEES6_PlJNSB_9not_fun_tI7is_evenIiEEEEEE10hipError_tPvRmT3_T4_T5_T6_T7_T9_mT8_P12ihipStream_tbDpT10_ENKUlT_T0_E_clISt17integral_constantIbLb0EES18_EEDaS13_S14_EUlS13_E_NS1_11comp_targetILNS1_3genE8ELNS1_11target_archE1030ELNS1_3gpuE2ELNS1_3repE0EEENS1_30default_config_static_selectorELNS0_4arch9wavefront6targetE0EEEvT1_
	.p2align	8
	.type	_ZN7rocprim17ROCPRIM_400000_NS6detail17trampoline_kernelINS0_14default_configENS1_25partition_config_selectorILNS1_17partition_subalgoE6EiNS0_10empty_typeEbEEZZNS1_14partition_implILS5_6ELb0ES3_mN6thrust23THRUST_200600_302600_NS6detail15normal_iteratorINSA_10device_ptrIiEEEEPS6_SG_NS0_5tupleIJSF_S6_EEENSH_IJSG_SG_EEES6_PlJNSB_9not_fun_tI7is_evenIiEEEEEE10hipError_tPvRmT3_T4_T5_T6_T7_T9_mT8_P12ihipStream_tbDpT10_ENKUlT_T0_E_clISt17integral_constantIbLb0EES18_EEDaS13_S14_EUlS13_E_NS1_11comp_targetILNS1_3genE8ELNS1_11target_archE1030ELNS1_3gpuE2ELNS1_3repE0EEENS1_30default_config_static_selectorELNS0_4arch9wavefront6targetE0EEEvT1_,@function
_ZN7rocprim17ROCPRIM_400000_NS6detail17trampoline_kernelINS0_14default_configENS1_25partition_config_selectorILNS1_17partition_subalgoE6EiNS0_10empty_typeEbEEZZNS1_14partition_implILS5_6ELb0ES3_mN6thrust23THRUST_200600_302600_NS6detail15normal_iteratorINSA_10device_ptrIiEEEEPS6_SG_NS0_5tupleIJSF_S6_EEENSH_IJSG_SG_EEES6_PlJNSB_9not_fun_tI7is_evenIiEEEEEE10hipError_tPvRmT3_T4_T5_T6_T7_T9_mT8_P12ihipStream_tbDpT10_ENKUlT_T0_E_clISt17integral_constantIbLb0EES18_EEDaS13_S14_EUlS13_E_NS1_11comp_targetILNS1_3genE8ELNS1_11target_archE1030ELNS1_3gpuE2ELNS1_3repE0EEENS1_30default_config_static_selectorELNS0_4arch9wavefront6targetE0EEEvT1_: ; @_ZN7rocprim17ROCPRIM_400000_NS6detail17trampoline_kernelINS0_14default_configENS1_25partition_config_selectorILNS1_17partition_subalgoE6EiNS0_10empty_typeEbEEZZNS1_14partition_implILS5_6ELb0ES3_mN6thrust23THRUST_200600_302600_NS6detail15normal_iteratorINSA_10device_ptrIiEEEEPS6_SG_NS0_5tupleIJSF_S6_EEENSH_IJSG_SG_EEES6_PlJNSB_9not_fun_tI7is_evenIiEEEEEE10hipError_tPvRmT3_T4_T5_T6_T7_T9_mT8_P12ihipStream_tbDpT10_ENKUlT_T0_E_clISt17integral_constantIbLb0EES18_EEDaS13_S14_EUlS13_E_NS1_11comp_targetILNS1_3genE8ELNS1_11target_archE1030ELNS1_3gpuE2ELNS1_3repE0EEENS1_30default_config_static_selectorELNS0_4arch9wavefront6targetE0EEEvT1_
; %bb.0:
	.section	.rodata,"a",@progbits
	.p2align	6, 0x0
	.amdhsa_kernel _ZN7rocprim17ROCPRIM_400000_NS6detail17trampoline_kernelINS0_14default_configENS1_25partition_config_selectorILNS1_17partition_subalgoE6EiNS0_10empty_typeEbEEZZNS1_14partition_implILS5_6ELb0ES3_mN6thrust23THRUST_200600_302600_NS6detail15normal_iteratorINSA_10device_ptrIiEEEEPS6_SG_NS0_5tupleIJSF_S6_EEENSH_IJSG_SG_EEES6_PlJNSB_9not_fun_tI7is_evenIiEEEEEE10hipError_tPvRmT3_T4_T5_T6_T7_T9_mT8_P12ihipStream_tbDpT10_ENKUlT_T0_E_clISt17integral_constantIbLb0EES18_EEDaS13_S14_EUlS13_E_NS1_11comp_targetILNS1_3genE8ELNS1_11target_archE1030ELNS1_3gpuE2ELNS1_3repE0EEENS1_30default_config_static_selectorELNS0_4arch9wavefront6targetE0EEEvT1_
		.amdhsa_group_segment_fixed_size 0
		.amdhsa_private_segment_fixed_size 0
		.amdhsa_kernarg_size 112
		.amdhsa_user_sgpr_count 2
		.amdhsa_user_sgpr_dispatch_ptr 0
		.amdhsa_user_sgpr_queue_ptr 0
		.amdhsa_user_sgpr_kernarg_segment_ptr 1
		.amdhsa_user_sgpr_dispatch_id 0
		.amdhsa_user_sgpr_private_segment_size 0
		.amdhsa_wavefront_size32 1
		.amdhsa_uses_dynamic_stack 0
		.amdhsa_enable_private_segment 0
		.amdhsa_system_sgpr_workgroup_id_x 1
		.amdhsa_system_sgpr_workgroup_id_y 0
		.amdhsa_system_sgpr_workgroup_id_z 0
		.amdhsa_system_sgpr_workgroup_info 0
		.amdhsa_system_vgpr_workitem_id 0
		.amdhsa_next_free_vgpr 1
		.amdhsa_next_free_sgpr 1
		.amdhsa_reserve_vcc 0
		.amdhsa_float_round_mode_32 0
		.amdhsa_float_round_mode_16_64 0
		.amdhsa_float_denorm_mode_32 3
		.amdhsa_float_denorm_mode_16_64 3
		.amdhsa_fp16_overflow 0
		.amdhsa_workgroup_processor_mode 1
		.amdhsa_memory_ordered 1
		.amdhsa_forward_progress 1
		.amdhsa_inst_pref_size 0
		.amdhsa_round_robin_scheduling 0
		.amdhsa_exception_fp_ieee_invalid_op 0
		.amdhsa_exception_fp_denorm_src 0
		.amdhsa_exception_fp_ieee_div_zero 0
		.amdhsa_exception_fp_ieee_overflow 0
		.amdhsa_exception_fp_ieee_underflow 0
		.amdhsa_exception_fp_ieee_inexact 0
		.amdhsa_exception_int_div_zero 0
	.end_amdhsa_kernel
	.section	.text._ZN7rocprim17ROCPRIM_400000_NS6detail17trampoline_kernelINS0_14default_configENS1_25partition_config_selectorILNS1_17partition_subalgoE6EiNS0_10empty_typeEbEEZZNS1_14partition_implILS5_6ELb0ES3_mN6thrust23THRUST_200600_302600_NS6detail15normal_iteratorINSA_10device_ptrIiEEEEPS6_SG_NS0_5tupleIJSF_S6_EEENSH_IJSG_SG_EEES6_PlJNSB_9not_fun_tI7is_evenIiEEEEEE10hipError_tPvRmT3_T4_T5_T6_T7_T9_mT8_P12ihipStream_tbDpT10_ENKUlT_T0_E_clISt17integral_constantIbLb0EES18_EEDaS13_S14_EUlS13_E_NS1_11comp_targetILNS1_3genE8ELNS1_11target_archE1030ELNS1_3gpuE2ELNS1_3repE0EEENS1_30default_config_static_selectorELNS0_4arch9wavefront6targetE0EEEvT1_,"axG",@progbits,_ZN7rocprim17ROCPRIM_400000_NS6detail17trampoline_kernelINS0_14default_configENS1_25partition_config_selectorILNS1_17partition_subalgoE6EiNS0_10empty_typeEbEEZZNS1_14partition_implILS5_6ELb0ES3_mN6thrust23THRUST_200600_302600_NS6detail15normal_iteratorINSA_10device_ptrIiEEEEPS6_SG_NS0_5tupleIJSF_S6_EEENSH_IJSG_SG_EEES6_PlJNSB_9not_fun_tI7is_evenIiEEEEEE10hipError_tPvRmT3_T4_T5_T6_T7_T9_mT8_P12ihipStream_tbDpT10_ENKUlT_T0_E_clISt17integral_constantIbLb0EES18_EEDaS13_S14_EUlS13_E_NS1_11comp_targetILNS1_3genE8ELNS1_11target_archE1030ELNS1_3gpuE2ELNS1_3repE0EEENS1_30default_config_static_selectorELNS0_4arch9wavefront6targetE0EEEvT1_,comdat
.Lfunc_end732:
	.size	_ZN7rocprim17ROCPRIM_400000_NS6detail17trampoline_kernelINS0_14default_configENS1_25partition_config_selectorILNS1_17partition_subalgoE6EiNS0_10empty_typeEbEEZZNS1_14partition_implILS5_6ELb0ES3_mN6thrust23THRUST_200600_302600_NS6detail15normal_iteratorINSA_10device_ptrIiEEEEPS6_SG_NS0_5tupleIJSF_S6_EEENSH_IJSG_SG_EEES6_PlJNSB_9not_fun_tI7is_evenIiEEEEEE10hipError_tPvRmT3_T4_T5_T6_T7_T9_mT8_P12ihipStream_tbDpT10_ENKUlT_T0_E_clISt17integral_constantIbLb0EES18_EEDaS13_S14_EUlS13_E_NS1_11comp_targetILNS1_3genE8ELNS1_11target_archE1030ELNS1_3gpuE2ELNS1_3repE0EEENS1_30default_config_static_selectorELNS0_4arch9wavefront6targetE0EEEvT1_, .Lfunc_end732-_ZN7rocprim17ROCPRIM_400000_NS6detail17trampoline_kernelINS0_14default_configENS1_25partition_config_selectorILNS1_17partition_subalgoE6EiNS0_10empty_typeEbEEZZNS1_14partition_implILS5_6ELb0ES3_mN6thrust23THRUST_200600_302600_NS6detail15normal_iteratorINSA_10device_ptrIiEEEEPS6_SG_NS0_5tupleIJSF_S6_EEENSH_IJSG_SG_EEES6_PlJNSB_9not_fun_tI7is_evenIiEEEEEE10hipError_tPvRmT3_T4_T5_T6_T7_T9_mT8_P12ihipStream_tbDpT10_ENKUlT_T0_E_clISt17integral_constantIbLb0EES18_EEDaS13_S14_EUlS13_E_NS1_11comp_targetILNS1_3genE8ELNS1_11target_archE1030ELNS1_3gpuE2ELNS1_3repE0EEENS1_30default_config_static_selectorELNS0_4arch9wavefront6targetE0EEEvT1_
                                        ; -- End function
	.set _ZN7rocprim17ROCPRIM_400000_NS6detail17trampoline_kernelINS0_14default_configENS1_25partition_config_selectorILNS1_17partition_subalgoE6EiNS0_10empty_typeEbEEZZNS1_14partition_implILS5_6ELb0ES3_mN6thrust23THRUST_200600_302600_NS6detail15normal_iteratorINSA_10device_ptrIiEEEEPS6_SG_NS0_5tupleIJSF_S6_EEENSH_IJSG_SG_EEES6_PlJNSB_9not_fun_tI7is_evenIiEEEEEE10hipError_tPvRmT3_T4_T5_T6_T7_T9_mT8_P12ihipStream_tbDpT10_ENKUlT_T0_E_clISt17integral_constantIbLb0EES18_EEDaS13_S14_EUlS13_E_NS1_11comp_targetILNS1_3genE8ELNS1_11target_archE1030ELNS1_3gpuE2ELNS1_3repE0EEENS1_30default_config_static_selectorELNS0_4arch9wavefront6targetE0EEEvT1_.num_vgpr, 0
	.set _ZN7rocprim17ROCPRIM_400000_NS6detail17trampoline_kernelINS0_14default_configENS1_25partition_config_selectorILNS1_17partition_subalgoE6EiNS0_10empty_typeEbEEZZNS1_14partition_implILS5_6ELb0ES3_mN6thrust23THRUST_200600_302600_NS6detail15normal_iteratorINSA_10device_ptrIiEEEEPS6_SG_NS0_5tupleIJSF_S6_EEENSH_IJSG_SG_EEES6_PlJNSB_9not_fun_tI7is_evenIiEEEEEE10hipError_tPvRmT3_T4_T5_T6_T7_T9_mT8_P12ihipStream_tbDpT10_ENKUlT_T0_E_clISt17integral_constantIbLb0EES18_EEDaS13_S14_EUlS13_E_NS1_11comp_targetILNS1_3genE8ELNS1_11target_archE1030ELNS1_3gpuE2ELNS1_3repE0EEENS1_30default_config_static_selectorELNS0_4arch9wavefront6targetE0EEEvT1_.num_agpr, 0
	.set _ZN7rocprim17ROCPRIM_400000_NS6detail17trampoline_kernelINS0_14default_configENS1_25partition_config_selectorILNS1_17partition_subalgoE6EiNS0_10empty_typeEbEEZZNS1_14partition_implILS5_6ELb0ES3_mN6thrust23THRUST_200600_302600_NS6detail15normal_iteratorINSA_10device_ptrIiEEEEPS6_SG_NS0_5tupleIJSF_S6_EEENSH_IJSG_SG_EEES6_PlJNSB_9not_fun_tI7is_evenIiEEEEEE10hipError_tPvRmT3_T4_T5_T6_T7_T9_mT8_P12ihipStream_tbDpT10_ENKUlT_T0_E_clISt17integral_constantIbLb0EES18_EEDaS13_S14_EUlS13_E_NS1_11comp_targetILNS1_3genE8ELNS1_11target_archE1030ELNS1_3gpuE2ELNS1_3repE0EEENS1_30default_config_static_selectorELNS0_4arch9wavefront6targetE0EEEvT1_.numbered_sgpr, 0
	.set _ZN7rocprim17ROCPRIM_400000_NS6detail17trampoline_kernelINS0_14default_configENS1_25partition_config_selectorILNS1_17partition_subalgoE6EiNS0_10empty_typeEbEEZZNS1_14partition_implILS5_6ELb0ES3_mN6thrust23THRUST_200600_302600_NS6detail15normal_iteratorINSA_10device_ptrIiEEEEPS6_SG_NS0_5tupleIJSF_S6_EEENSH_IJSG_SG_EEES6_PlJNSB_9not_fun_tI7is_evenIiEEEEEE10hipError_tPvRmT3_T4_T5_T6_T7_T9_mT8_P12ihipStream_tbDpT10_ENKUlT_T0_E_clISt17integral_constantIbLb0EES18_EEDaS13_S14_EUlS13_E_NS1_11comp_targetILNS1_3genE8ELNS1_11target_archE1030ELNS1_3gpuE2ELNS1_3repE0EEENS1_30default_config_static_selectorELNS0_4arch9wavefront6targetE0EEEvT1_.num_named_barrier, 0
	.set _ZN7rocprim17ROCPRIM_400000_NS6detail17trampoline_kernelINS0_14default_configENS1_25partition_config_selectorILNS1_17partition_subalgoE6EiNS0_10empty_typeEbEEZZNS1_14partition_implILS5_6ELb0ES3_mN6thrust23THRUST_200600_302600_NS6detail15normal_iteratorINSA_10device_ptrIiEEEEPS6_SG_NS0_5tupleIJSF_S6_EEENSH_IJSG_SG_EEES6_PlJNSB_9not_fun_tI7is_evenIiEEEEEE10hipError_tPvRmT3_T4_T5_T6_T7_T9_mT8_P12ihipStream_tbDpT10_ENKUlT_T0_E_clISt17integral_constantIbLb0EES18_EEDaS13_S14_EUlS13_E_NS1_11comp_targetILNS1_3genE8ELNS1_11target_archE1030ELNS1_3gpuE2ELNS1_3repE0EEENS1_30default_config_static_selectorELNS0_4arch9wavefront6targetE0EEEvT1_.private_seg_size, 0
	.set _ZN7rocprim17ROCPRIM_400000_NS6detail17trampoline_kernelINS0_14default_configENS1_25partition_config_selectorILNS1_17partition_subalgoE6EiNS0_10empty_typeEbEEZZNS1_14partition_implILS5_6ELb0ES3_mN6thrust23THRUST_200600_302600_NS6detail15normal_iteratorINSA_10device_ptrIiEEEEPS6_SG_NS0_5tupleIJSF_S6_EEENSH_IJSG_SG_EEES6_PlJNSB_9not_fun_tI7is_evenIiEEEEEE10hipError_tPvRmT3_T4_T5_T6_T7_T9_mT8_P12ihipStream_tbDpT10_ENKUlT_T0_E_clISt17integral_constantIbLb0EES18_EEDaS13_S14_EUlS13_E_NS1_11comp_targetILNS1_3genE8ELNS1_11target_archE1030ELNS1_3gpuE2ELNS1_3repE0EEENS1_30default_config_static_selectorELNS0_4arch9wavefront6targetE0EEEvT1_.uses_vcc, 0
	.set _ZN7rocprim17ROCPRIM_400000_NS6detail17trampoline_kernelINS0_14default_configENS1_25partition_config_selectorILNS1_17partition_subalgoE6EiNS0_10empty_typeEbEEZZNS1_14partition_implILS5_6ELb0ES3_mN6thrust23THRUST_200600_302600_NS6detail15normal_iteratorINSA_10device_ptrIiEEEEPS6_SG_NS0_5tupleIJSF_S6_EEENSH_IJSG_SG_EEES6_PlJNSB_9not_fun_tI7is_evenIiEEEEEE10hipError_tPvRmT3_T4_T5_T6_T7_T9_mT8_P12ihipStream_tbDpT10_ENKUlT_T0_E_clISt17integral_constantIbLb0EES18_EEDaS13_S14_EUlS13_E_NS1_11comp_targetILNS1_3genE8ELNS1_11target_archE1030ELNS1_3gpuE2ELNS1_3repE0EEENS1_30default_config_static_selectorELNS0_4arch9wavefront6targetE0EEEvT1_.uses_flat_scratch, 0
	.set _ZN7rocprim17ROCPRIM_400000_NS6detail17trampoline_kernelINS0_14default_configENS1_25partition_config_selectorILNS1_17partition_subalgoE6EiNS0_10empty_typeEbEEZZNS1_14partition_implILS5_6ELb0ES3_mN6thrust23THRUST_200600_302600_NS6detail15normal_iteratorINSA_10device_ptrIiEEEEPS6_SG_NS0_5tupleIJSF_S6_EEENSH_IJSG_SG_EEES6_PlJNSB_9not_fun_tI7is_evenIiEEEEEE10hipError_tPvRmT3_T4_T5_T6_T7_T9_mT8_P12ihipStream_tbDpT10_ENKUlT_T0_E_clISt17integral_constantIbLb0EES18_EEDaS13_S14_EUlS13_E_NS1_11comp_targetILNS1_3genE8ELNS1_11target_archE1030ELNS1_3gpuE2ELNS1_3repE0EEENS1_30default_config_static_selectorELNS0_4arch9wavefront6targetE0EEEvT1_.has_dyn_sized_stack, 0
	.set _ZN7rocprim17ROCPRIM_400000_NS6detail17trampoline_kernelINS0_14default_configENS1_25partition_config_selectorILNS1_17partition_subalgoE6EiNS0_10empty_typeEbEEZZNS1_14partition_implILS5_6ELb0ES3_mN6thrust23THRUST_200600_302600_NS6detail15normal_iteratorINSA_10device_ptrIiEEEEPS6_SG_NS0_5tupleIJSF_S6_EEENSH_IJSG_SG_EEES6_PlJNSB_9not_fun_tI7is_evenIiEEEEEE10hipError_tPvRmT3_T4_T5_T6_T7_T9_mT8_P12ihipStream_tbDpT10_ENKUlT_T0_E_clISt17integral_constantIbLb0EES18_EEDaS13_S14_EUlS13_E_NS1_11comp_targetILNS1_3genE8ELNS1_11target_archE1030ELNS1_3gpuE2ELNS1_3repE0EEENS1_30default_config_static_selectorELNS0_4arch9wavefront6targetE0EEEvT1_.has_recursion, 0
	.set _ZN7rocprim17ROCPRIM_400000_NS6detail17trampoline_kernelINS0_14default_configENS1_25partition_config_selectorILNS1_17partition_subalgoE6EiNS0_10empty_typeEbEEZZNS1_14partition_implILS5_6ELb0ES3_mN6thrust23THRUST_200600_302600_NS6detail15normal_iteratorINSA_10device_ptrIiEEEEPS6_SG_NS0_5tupleIJSF_S6_EEENSH_IJSG_SG_EEES6_PlJNSB_9not_fun_tI7is_evenIiEEEEEE10hipError_tPvRmT3_T4_T5_T6_T7_T9_mT8_P12ihipStream_tbDpT10_ENKUlT_T0_E_clISt17integral_constantIbLb0EES18_EEDaS13_S14_EUlS13_E_NS1_11comp_targetILNS1_3genE8ELNS1_11target_archE1030ELNS1_3gpuE2ELNS1_3repE0EEENS1_30default_config_static_selectorELNS0_4arch9wavefront6targetE0EEEvT1_.has_indirect_call, 0
	.section	.AMDGPU.csdata,"",@progbits
; Kernel info:
; codeLenInByte = 0
; TotalNumSgprs: 0
; NumVgprs: 0
; ScratchSize: 0
; MemoryBound: 0
; FloatMode: 240
; IeeeMode: 1
; LDSByteSize: 0 bytes/workgroup (compile time only)
; SGPRBlocks: 0
; VGPRBlocks: 0
; NumSGPRsForWavesPerEU: 1
; NumVGPRsForWavesPerEU: 1
; Occupancy: 16
; WaveLimiterHint : 0
; COMPUTE_PGM_RSRC2:SCRATCH_EN: 0
; COMPUTE_PGM_RSRC2:USER_SGPR: 2
; COMPUTE_PGM_RSRC2:TRAP_HANDLER: 0
; COMPUTE_PGM_RSRC2:TGID_X_EN: 1
; COMPUTE_PGM_RSRC2:TGID_Y_EN: 0
; COMPUTE_PGM_RSRC2:TGID_Z_EN: 0
; COMPUTE_PGM_RSRC2:TIDIG_COMP_CNT: 0
	.section	.text._ZN7rocprim17ROCPRIM_400000_NS6detail17trampoline_kernelINS0_14default_configENS1_25partition_config_selectorILNS1_17partition_subalgoE6EiNS0_10empty_typeEbEEZZNS1_14partition_implILS5_6ELb0ES3_mN6thrust23THRUST_200600_302600_NS6detail15normal_iteratorINSA_10device_ptrIiEEEEPS6_SG_NS0_5tupleIJSF_S6_EEENSH_IJSG_SG_EEES6_PlJNSB_9not_fun_tI7is_evenIiEEEEEE10hipError_tPvRmT3_T4_T5_T6_T7_T9_mT8_P12ihipStream_tbDpT10_ENKUlT_T0_E_clISt17integral_constantIbLb1EES18_EEDaS13_S14_EUlS13_E_NS1_11comp_targetILNS1_3genE0ELNS1_11target_archE4294967295ELNS1_3gpuE0ELNS1_3repE0EEENS1_30default_config_static_selectorELNS0_4arch9wavefront6targetE0EEEvT1_,"axG",@progbits,_ZN7rocprim17ROCPRIM_400000_NS6detail17trampoline_kernelINS0_14default_configENS1_25partition_config_selectorILNS1_17partition_subalgoE6EiNS0_10empty_typeEbEEZZNS1_14partition_implILS5_6ELb0ES3_mN6thrust23THRUST_200600_302600_NS6detail15normal_iteratorINSA_10device_ptrIiEEEEPS6_SG_NS0_5tupleIJSF_S6_EEENSH_IJSG_SG_EEES6_PlJNSB_9not_fun_tI7is_evenIiEEEEEE10hipError_tPvRmT3_T4_T5_T6_T7_T9_mT8_P12ihipStream_tbDpT10_ENKUlT_T0_E_clISt17integral_constantIbLb1EES18_EEDaS13_S14_EUlS13_E_NS1_11comp_targetILNS1_3genE0ELNS1_11target_archE4294967295ELNS1_3gpuE0ELNS1_3repE0EEENS1_30default_config_static_selectorELNS0_4arch9wavefront6targetE0EEEvT1_,comdat
	.protected	_ZN7rocprim17ROCPRIM_400000_NS6detail17trampoline_kernelINS0_14default_configENS1_25partition_config_selectorILNS1_17partition_subalgoE6EiNS0_10empty_typeEbEEZZNS1_14partition_implILS5_6ELb0ES3_mN6thrust23THRUST_200600_302600_NS6detail15normal_iteratorINSA_10device_ptrIiEEEEPS6_SG_NS0_5tupleIJSF_S6_EEENSH_IJSG_SG_EEES6_PlJNSB_9not_fun_tI7is_evenIiEEEEEE10hipError_tPvRmT3_T4_T5_T6_T7_T9_mT8_P12ihipStream_tbDpT10_ENKUlT_T0_E_clISt17integral_constantIbLb1EES18_EEDaS13_S14_EUlS13_E_NS1_11comp_targetILNS1_3genE0ELNS1_11target_archE4294967295ELNS1_3gpuE0ELNS1_3repE0EEENS1_30default_config_static_selectorELNS0_4arch9wavefront6targetE0EEEvT1_ ; -- Begin function _ZN7rocprim17ROCPRIM_400000_NS6detail17trampoline_kernelINS0_14default_configENS1_25partition_config_selectorILNS1_17partition_subalgoE6EiNS0_10empty_typeEbEEZZNS1_14partition_implILS5_6ELb0ES3_mN6thrust23THRUST_200600_302600_NS6detail15normal_iteratorINSA_10device_ptrIiEEEEPS6_SG_NS0_5tupleIJSF_S6_EEENSH_IJSG_SG_EEES6_PlJNSB_9not_fun_tI7is_evenIiEEEEEE10hipError_tPvRmT3_T4_T5_T6_T7_T9_mT8_P12ihipStream_tbDpT10_ENKUlT_T0_E_clISt17integral_constantIbLb1EES18_EEDaS13_S14_EUlS13_E_NS1_11comp_targetILNS1_3genE0ELNS1_11target_archE4294967295ELNS1_3gpuE0ELNS1_3repE0EEENS1_30default_config_static_selectorELNS0_4arch9wavefront6targetE0EEEvT1_
	.globl	_ZN7rocprim17ROCPRIM_400000_NS6detail17trampoline_kernelINS0_14default_configENS1_25partition_config_selectorILNS1_17partition_subalgoE6EiNS0_10empty_typeEbEEZZNS1_14partition_implILS5_6ELb0ES3_mN6thrust23THRUST_200600_302600_NS6detail15normal_iteratorINSA_10device_ptrIiEEEEPS6_SG_NS0_5tupleIJSF_S6_EEENSH_IJSG_SG_EEES6_PlJNSB_9not_fun_tI7is_evenIiEEEEEE10hipError_tPvRmT3_T4_T5_T6_T7_T9_mT8_P12ihipStream_tbDpT10_ENKUlT_T0_E_clISt17integral_constantIbLb1EES18_EEDaS13_S14_EUlS13_E_NS1_11comp_targetILNS1_3genE0ELNS1_11target_archE4294967295ELNS1_3gpuE0ELNS1_3repE0EEENS1_30default_config_static_selectorELNS0_4arch9wavefront6targetE0EEEvT1_
	.p2align	8
	.type	_ZN7rocprim17ROCPRIM_400000_NS6detail17trampoline_kernelINS0_14default_configENS1_25partition_config_selectorILNS1_17partition_subalgoE6EiNS0_10empty_typeEbEEZZNS1_14partition_implILS5_6ELb0ES3_mN6thrust23THRUST_200600_302600_NS6detail15normal_iteratorINSA_10device_ptrIiEEEEPS6_SG_NS0_5tupleIJSF_S6_EEENSH_IJSG_SG_EEES6_PlJNSB_9not_fun_tI7is_evenIiEEEEEE10hipError_tPvRmT3_T4_T5_T6_T7_T9_mT8_P12ihipStream_tbDpT10_ENKUlT_T0_E_clISt17integral_constantIbLb1EES18_EEDaS13_S14_EUlS13_E_NS1_11comp_targetILNS1_3genE0ELNS1_11target_archE4294967295ELNS1_3gpuE0ELNS1_3repE0EEENS1_30default_config_static_selectorELNS0_4arch9wavefront6targetE0EEEvT1_,@function
_ZN7rocprim17ROCPRIM_400000_NS6detail17trampoline_kernelINS0_14default_configENS1_25partition_config_selectorILNS1_17partition_subalgoE6EiNS0_10empty_typeEbEEZZNS1_14partition_implILS5_6ELb0ES3_mN6thrust23THRUST_200600_302600_NS6detail15normal_iteratorINSA_10device_ptrIiEEEEPS6_SG_NS0_5tupleIJSF_S6_EEENSH_IJSG_SG_EEES6_PlJNSB_9not_fun_tI7is_evenIiEEEEEE10hipError_tPvRmT3_T4_T5_T6_T7_T9_mT8_P12ihipStream_tbDpT10_ENKUlT_T0_E_clISt17integral_constantIbLb1EES18_EEDaS13_S14_EUlS13_E_NS1_11comp_targetILNS1_3genE0ELNS1_11target_archE4294967295ELNS1_3gpuE0ELNS1_3repE0EEENS1_30default_config_static_selectorELNS0_4arch9wavefront6targetE0EEEvT1_: ; @_ZN7rocprim17ROCPRIM_400000_NS6detail17trampoline_kernelINS0_14default_configENS1_25partition_config_selectorILNS1_17partition_subalgoE6EiNS0_10empty_typeEbEEZZNS1_14partition_implILS5_6ELb0ES3_mN6thrust23THRUST_200600_302600_NS6detail15normal_iteratorINSA_10device_ptrIiEEEEPS6_SG_NS0_5tupleIJSF_S6_EEENSH_IJSG_SG_EEES6_PlJNSB_9not_fun_tI7is_evenIiEEEEEE10hipError_tPvRmT3_T4_T5_T6_T7_T9_mT8_P12ihipStream_tbDpT10_ENKUlT_T0_E_clISt17integral_constantIbLb1EES18_EEDaS13_S14_EUlS13_E_NS1_11comp_targetILNS1_3genE0ELNS1_11target_archE4294967295ELNS1_3gpuE0ELNS1_3repE0EEENS1_30default_config_static_selectorELNS0_4arch9wavefront6targetE0EEEvT1_
; %bb.0:
	.section	.rodata,"a",@progbits
	.p2align	6, 0x0
	.amdhsa_kernel _ZN7rocprim17ROCPRIM_400000_NS6detail17trampoline_kernelINS0_14default_configENS1_25partition_config_selectorILNS1_17partition_subalgoE6EiNS0_10empty_typeEbEEZZNS1_14partition_implILS5_6ELb0ES3_mN6thrust23THRUST_200600_302600_NS6detail15normal_iteratorINSA_10device_ptrIiEEEEPS6_SG_NS0_5tupleIJSF_S6_EEENSH_IJSG_SG_EEES6_PlJNSB_9not_fun_tI7is_evenIiEEEEEE10hipError_tPvRmT3_T4_T5_T6_T7_T9_mT8_P12ihipStream_tbDpT10_ENKUlT_T0_E_clISt17integral_constantIbLb1EES18_EEDaS13_S14_EUlS13_E_NS1_11comp_targetILNS1_3genE0ELNS1_11target_archE4294967295ELNS1_3gpuE0ELNS1_3repE0EEENS1_30default_config_static_selectorELNS0_4arch9wavefront6targetE0EEEvT1_
		.amdhsa_group_segment_fixed_size 0
		.amdhsa_private_segment_fixed_size 0
		.amdhsa_kernarg_size 128
		.amdhsa_user_sgpr_count 2
		.amdhsa_user_sgpr_dispatch_ptr 0
		.amdhsa_user_sgpr_queue_ptr 0
		.amdhsa_user_sgpr_kernarg_segment_ptr 1
		.amdhsa_user_sgpr_dispatch_id 0
		.amdhsa_user_sgpr_private_segment_size 0
		.amdhsa_wavefront_size32 1
		.amdhsa_uses_dynamic_stack 0
		.amdhsa_enable_private_segment 0
		.amdhsa_system_sgpr_workgroup_id_x 1
		.amdhsa_system_sgpr_workgroup_id_y 0
		.amdhsa_system_sgpr_workgroup_id_z 0
		.amdhsa_system_sgpr_workgroup_info 0
		.amdhsa_system_vgpr_workitem_id 0
		.amdhsa_next_free_vgpr 1
		.amdhsa_next_free_sgpr 1
		.amdhsa_reserve_vcc 0
		.amdhsa_float_round_mode_32 0
		.amdhsa_float_round_mode_16_64 0
		.amdhsa_float_denorm_mode_32 3
		.amdhsa_float_denorm_mode_16_64 3
		.amdhsa_fp16_overflow 0
		.amdhsa_workgroup_processor_mode 1
		.amdhsa_memory_ordered 1
		.amdhsa_forward_progress 1
		.amdhsa_inst_pref_size 0
		.amdhsa_round_robin_scheduling 0
		.amdhsa_exception_fp_ieee_invalid_op 0
		.amdhsa_exception_fp_denorm_src 0
		.amdhsa_exception_fp_ieee_div_zero 0
		.amdhsa_exception_fp_ieee_overflow 0
		.amdhsa_exception_fp_ieee_underflow 0
		.amdhsa_exception_fp_ieee_inexact 0
		.amdhsa_exception_int_div_zero 0
	.end_amdhsa_kernel
	.section	.text._ZN7rocprim17ROCPRIM_400000_NS6detail17trampoline_kernelINS0_14default_configENS1_25partition_config_selectorILNS1_17partition_subalgoE6EiNS0_10empty_typeEbEEZZNS1_14partition_implILS5_6ELb0ES3_mN6thrust23THRUST_200600_302600_NS6detail15normal_iteratorINSA_10device_ptrIiEEEEPS6_SG_NS0_5tupleIJSF_S6_EEENSH_IJSG_SG_EEES6_PlJNSB_9not_fun_tI7is_evenIiEEEEEE10hipError_tPvRmT3_T4_T5_T6_T7_T9_mT8_P12ihipStream_tbDpT10_ENKUlT_T0_E_clISt17integral_constantIbLb1EES18_EEDaS13_S14_EUlS13_E_NS1_11comp_targetILNS1_3genE0ELNS1_11target_archE4294967295ELNS1_3gpuE0ELNS1_3repE0EEENS1_30default_config_static_selectorELNS0_4arch9wavefront6targetE0EEEvT1_,"axG",@progbits,_ZN7rocprim17ROCPRIM_400000_NS6detail17trampoline_kernelINS0_14default_configENS1_25partition_config_selectorILNS1_17partition_subalgoE6EiNS0_10empty_typeEbEEZZNS1_14partition_implILS5_6ELb0ES3_mN6thrust23THRUST_200600_302600_NS6detail15normal_iteratorINSA_10device_ptrIiEEEEPS6_SG_NS0_5tupleIJSF_S6_EEENSH_IJSG_SG_EEES6_PlJNSB_9not_fun_tI7is_evenIiEEEEEE10hipError_tPvRmT3_T4_T5_T6_T7_T9_mT8_P12ihipStream_tbDpT10_ENKUlT_T0_E_clISt17integral_constantIbLb1EES18_EEDaS13_S14_EUlS13_E_NS1_11comp_targetILNS1_3genE0ELNS1_11target_archE4294967295ELNS1_3gpuE0ELNS1_3repE0EEENS1_30default_config_static_selectorELNS0_4arch9wavefront6targetE0EEEvT1_,comdat
.Lfunc_end733:
	.size	_ZN7rocprim17ROCPRIM_400000_NS6detail17trampoline_kernelINS0_14default_configENS1_25partition_config_selectorILNS1_17partition_subalgoE6EiNS0_10empty_typeEbEEZZNS1_14partition_implILS5_6ELb0ES3_mN6thrust23THRUST_200600_302600_NS6detail15normal_iteratorINSA_10device_ptrIiEEEEPS6_SG_NS0_5tupleIJSF_S6_EEENSH_IJSG_SG_EEES6_PlJNSB_9not_fun_tI7is_evenIiEEEEEE10hipError_tPvRmT3_T4_T5_T6_T7_T9_mT8_P12ihipStream_tbDpT10_ENKUlT_T0_E_clISt17integral_constantIbLb1EES18_EEDaS13_S14_EUlS13_E_NS1_11comp_targetILNS1_3genE0ELNS1_11target_archE4294967295ELNS1_3gpuE0ELNS1_3repE0EEENS1_30default_config_static_selectorELNS0_4arch9wavefront6targetE0EEEvT1_, .Lfunc_end733-_ZN7rocprim17ROCPRIM_400000_NS6detail17trampoline_kernelINS0_14default_configENS1_25partition_config_selectorILNS1_17partition_subalgoE6EiNS0_10empty_typeEbEEZZNS1_14partition_implILS5_6ELb0ES3_mN6thrust23THRUST_200600_302600_NS6detail15normal_iteratorINSA_10device_ptrIiEEEEPS6_SG_NS0_5tupleIJSF_S6_EEENSH_IJSG_SG_EEES6_PlJNSB_9not_fun_tI7is_evenIiEEEEEE10hipError_tPvRmT3_T4_T5_T6_T7_T9_mT8_P12ihipStream_tbDpT10_ENKUlT_T0_E_clISt17integral_constantIbLb1EES18_EEDaS13_S14_EUlS13_E_NS1_11comp_targetILNS1_3genE0ELNS1_11target_archE4294967295ELNS1_3gpuE0ELNS1_3repE0EEENS1_30default_config_static_selectorELNS0_4arch9wavefront6targetE0EEEvT1_
                                        ; -- End function
	.set _ZN7rocprim17ROCPRIM_400000_NS6detail17trampoline_kernelINS0_14default_configENS1_25partition_config_selectorILNS1_17partition_subalgoE6EiNS0_10empty_typeEbEEZZNS1_14partition_implILS5_6ELb0ES3_mN6thrust23THRUST_200600_302600_NS6detail15normal_iteratorINSA_10device_ptrIiEEEEPS6_SG_NS0_5tupleIJSF_S6_EEENSH_IJSG_SG_EEES6_PlJNSB_9not_fun_tI7is_evenIiEEEEEE10hipError_tPvRmT3_T4_T5_T6_T7_T9_mT8_P12ihipStream_tbDpT10_ENKUlT_T0_E_clISt17integral_constantIbLb1EES18_EEDaS13_S14_EUlS13_E_NS1_11comp_targetILNS1_3genE0ELNS1_11target_archE4294967295ELNS1_3gpuE0ELNS1_3repE0EEENS1_30default_config_static_selectorELNS0_4arch9wavefront6targetE0EEEvT1_.num_vgpr, 0
	.set _ZN7rocprim17ROCPRIM_400000_NS6detail17trampoline_kernelINS0_14default_configENS1_25partition_config_selectorILNS1_17partition_subalgoE6EiNS0_10empty_typeEbEEZZNS1_14partition_implILS5_6ELb0ES3_mN6thrust23THRUST_200600_302600_NS6detail15normal_iteratorINSA_10device_ptrIiEEEEPS6_SG_NS0_5tupleIJSF_S6_EEENSH_IJSG_SG_EEES6_PlJNSB_9not_fun_tI7is_evenIiEEEEEE10hipError_tPvRmT3_T4_T5_T6_T7_T9_mT8_P12ihipStream_tbDpT10_ENKUlT_T0_E_clISt17integral_constantIbLb1EES18_EEDaS13_S14_EUlS13_E_NS1_11comp_targetILNS1_3genE0ELNS1_11target_archE4294967295ELNS1_3gpuE0ELNS1_3repE0EEENS1_30default_config_static_selectorELNS0_4arch9wavefront6targetE0EEEvT1_.num_agpr, 0
	.set _ZN7rocprim17ROCPRIM_400000_NS6detail17trampoline_kernelINS0_14default_configENS1_25partition_config_selectorILNS1_17partition_subalgoE6EiNS0_10empty_typeEbEEZZNS1_14partition_implILS5_6ELb0ES3_mN6thrust23THRUST_200600_302600_NS6detail15normal_iteratorINSA_10device_ptrIiEEEEPS6_SG_NS0_5tupleIJSF_S6_EEENSH_IJSG_SG_EEES6_PlJNSB_9not_fun_tI7is_evenIiEEEEEE10hipError_tPvRmT3_T4_T5_T6_T7_T9_mT8_P12ihipStream_tbDpT10_ENKUlT_T0_E_clISt17integral_constantIbLb1EES18_EEDaS13_S14_EUlS13_E_NS1_11comp_targetILNS1_3genE0ELNS1_11target_archE4294967295ELNS1_3gpuE0ELNS1_3repE0EEENS1_30default_config_static_selectorELNS0_4arch9wavefront6targetE0EEEvT1_.numbered_sgpr, 0
	.set _ZN7rocprim17ROCPRIM_400000_NS6detail17trampoline_kernelINS0_14default_configENS1_25partition_config_selectorILNS1_17partition_subalgoE6EiNS0_10empty_typeEbEEZZNS1_14partition_implILS5_6ELb0ES3_mN6thrust23THRUST_200600_302600_NS6detail15normal_iteratorINSA_10device_ptrIiEEEEPS6_SG_NS0_5tupleIJSF_S6_EEENSH_IJSG_SG_EEES6_PlJNSB_9not_fun_tI7is_evenIiEEEEEE10hipError_tPvRmT3_T4_T5_T6_T7_T9_mT8_P12ihipStream_tbDpT10_ENKUlT_T0_E_clISt17integral_constantIbLb1EES18_EEDaS13_S14_EUlS13_E_NS1_11comp_targetILNS1_3genE0ELNS1_11target_archE4294967295ELNS1_3gpuE0ELNS1_3repE0EEENS1_30default_config_static_selectorELNS0_4arch9wavefront6targetE0EEEvT1_.num_named_barrier, 0
	.set _ZN7rocprim17ROCPRIM_400000_NS6detail17trampoline_kernelINS0_14default_configENS1_25partition_config_selectorILNS1_17partition_subalgoE6EiNS0_10empty_typeEbEEZZNS1_14partition_implILS5_6ELb0ES3_mN6thrust23THRUST_200600_302600_NS6detail15normal_iteratorINSA_10device_ptrIiEEEEPS6_SG_NS0_5tupleIJSF_S6_EEENSH_IJSG_SG_EEES6_PlJNSB_9not_fun_tI7is_evenIiEEEEEE10hipError_tPvRmT3_T4_T5_T6_T7_T9_mT8_P12ihipStream_tbDpT10_ENKUlT_T0_E_clISt17integral_constantIbLb1EES18_EEDaS13_S14_EUlS13_E_NS1_11comp_targetILNS1_3genE0ELNS1_11target_archE4294967295ELNS1_3gpuE0ELNS1_3repE0EEENS1_30default_config_static_selectorELNS0_4arch9wavefront6targetE0EEEvT1_.private_seg_size, 0
	.set _ZN7rocprim17ROCPRIM_400000_NS6detail17trampoline_kernelINS0_14default_configENS1_25partition_config_selectorILNS1_17partition_subalgoE6EiNS0_10empty_typeEbEEZZNS1_14partition_implILS5_6ELb0ES3_mN6thrust23THRUST_200600_302600_NS6detail15normal_iteratorINSA_10device_ptrIiEEEEPS6_SG_NS0_5tupleIJSF_S6_EEENSH_IJSG_SG_EEES6_PlJNSB_9not_fun_tI7is_evenIiEEEEEE10hipError_tPvRmT3_T4_T5_T6_T7_T9_mT8_P12ihipStream_tbDpT10_ENKUlT_T0_E_clISt17integral_constantIbLb1EES18_EEDaS13_S14_EUlS13_E_NS1_11comp_targetILNS1_3genE0ELNS1_11target_archE4294967295ELNS1_3gpuE0ELNS1_3repE0EEENS1_30default_config_static_selectorELNS0_4arch9wavefront6targetE0EEEvT1_.uses_vcc, 0
	.set _ZN7rocprim17ROCPRIM_400000_NS6detail17trampoline_kernelINS0_14default_configENS1_25partition_config_selectorILNS1_17partition_subalgoE6EiNS0_10empty_typeEbEEZZNS1_14partition_implILS5_6ELb0ES3_mN6thrust23THRUST_200600_302600_NS6detail15normal_iteratorINSA_10device_ptrIiEEEEPS6_SG_NS0_5tupleIJSF_S6_EEENSH_IJSG_SG_EEES6_PlJNSB_9not_fun_tI7is_evenIiEEEEEE10hipError_tPvRmT3_T4_T5_T6_T7_T9_mT8_P12ihipStream_tbDpT10_ENKUlT_T0_E_clISt17integral_constantIbLb1EES18_EEDaS13_S14_EUlS13_E_NS1_11comp_targetILNS1_3genE0ELNS1_11target_archE4294967295ELNS1_3gpuE0ELNS1_3repE0EEENS1_30default_config_static_selectorELNS0_4arch9wavefront6targetE0EEEvT1_.uses_flat_scratch, 0
	.set _ZN7rocprim17ROCPRIM_400000_NS6detail17trampoline_kernelINS0_14default_configENS1_25partition_config_selectorILNS1_17partition_subalgoE6EiNS0_10empty_typeEbEEZZNS1_14partition_implILS5_6ELb0ES3_mN6thrust23THRUST_200600_302600_NS6detail15normal_iteratorINSA_10device_ptrIiEEEEPS6_SG_NS0_5tupleIJSF_S6_EEENSH_IJSG_SG_EEES6_PlJNSB_9not_fun_tI7is_evenIiEEEEEE10hipError_tPvRmT3_T4_T5_T6_T7_T9_mT8_P12ihipStream_tbDpT10_ENKUlT_T0_E_clISt17integral_constantIbLb1EES18_EEDaS13_S14_EUlS13_E_NS1_11comp_targetILNS1_3genE0ELNS1_11target_archE4294967295ELNS1_3gpuE0ELNS1_3repE0EEENS1_30default_config_static_selectorELNS0_4arch9wavefront6targetE0EEEvT1_.has_dyn_sized_stack, 0
	.set _ZN7rocprim17ROCPRIM_400000_NS6detail17trampoline_kernelINS0_14default_configENS1_25partition_config_selectorILNS1_17partition_subalgoE6EiNS0_10empty_typeEbEEZZNS1_14partition_implILS5_6ELb0ES3_mN6thrust23THRUST_200600_302600_NS6detail15normal_iteratorINSA_10device_ptrIiEEEEPS6_SG_NS0_5tupleIJSF_S6_EEENSH_IJSG_SG_EEES6_PlJNSB_9not_fun_tI7is_evenIiEEEEEE10hipError_tPvRmT3_T4_T5_T6_T7_T9_mT8_P12ihipStream_tbDpT10_ENKUlT_T0_E_clISt17integral_constantIbLb1EES18_EEDaS13_S14_EUlS13_E_NS1_11comp_targetILNS1_3genE0ELNS1_11target_archE4294967295ELNS1_3gpuE0ELNS1_3repE0EEENS1_30default_config_static_selectorELNS0_4arch9wavefront6targetE0EEEvT1_.has_recursion, 0
	.set _ZN7rocprim17ROCPRIM_400000_NS6detail17trampoline_kernelINS0_14default_configENS1_25partition_config_selectorILNS1_17partition_subalgoE6EiNS0_10empty_typeEbEEZZNS1_14partition_implILS5_6ELb0ES3_mN6thrust23THRUST_200600_302600_NS6detail15normal_iteratorINSA_10device_ptrIiEEEEPS6_SG_NS0_5tupleIJSF_S6_EEENSH_IJSG_SG_EEES6_PlJNSB_9not_fun_tI7is_evenIiEEEEEE10hipError_tPvRmT3_T4_T5_T6_T7_T9_mT8_P12ihipStream_tbDpT10_ENKUlT_T0_E_clISt17integral_constantIbLb1EES18_EEDaS13_S14_EUlS13_E_NS1_11comp_targetILNS1_3genE0ELNS1_11target_archE4294967295ELNS1_3gpuE0ELNS1_3repE0EEENS1_30default_config_static_selectorELNS0_4arch9wavefront6targetE0EEEvT1_.has_indirect_call, 0
	.section	.AMDGPU.csdata,"",@progbits
; Kernel info:
; codeLenInByte = 0
; TotalNumSgprs: 0
; NumVgprs: 0
; ScratchSize: 0
; MemoryBound: 0
; FloatMode: 240
; IeeeMode: 1
; LDSByteSize: 0 bytes/workgroup (compile time only)
; SGPRBlocks: 0
; VGPRBlocks: 0
; NumSGPRsForWavesPerEU: 1
; NumVGPRsForWavesPerEU: 1
; Occupancy: 16
; WaveLimiterHint : 0
; COMPUTE_PGM_RSRC2:SCRATCH_EN: 0
; COMPUTE_PGM_RSRC2:USER_SGPR: 2
; COMPUTE_PGM_RSRC2:TRAP_HANDLER: 0
; COMPUTE_PGM_RSRC2:TGID_X_EN: 1
; COMPUTE_PGM_RSRC2:TGID_Y_EN: 0
; COMPUTE_PGM_RSRC2:TGID_Z_EN: 0
; COMPUTE_PGM_RSRC2:TIDIG_COMP_CNT: 0
	.section	.text._ZN7rocprim17ROCPRIM_400000_NS6detail17trampoline_kernelINS0_14default_configENS1_25partition_config_selectorILNS1_17partition_subalgoE6EiNS0_10empty_typeEbEEZZNS1_14partition_implILS5_6ELb0ES3_mN6thrust23THRUST_200600_302600_NS6detail15normal_iteratorINSA_10device_ptrIiEEEEPS6_SG_NS0_5tupleIJSF_S6_EEENSH_IJSG_SG_EEES6_PlJNSB_9not_fun_tI7is_evenIiEEEEEE10hipError_tPvRmT3_T4_T5_T6_T7_T9_mT8_P12ihipStream_tbDpT10_ENKUlT_T0_E_clISt17integral_constantIbLb1EES18_EEDaS13_S14_EUlS13_E_NS1_11comp_targetILNS1_3genE5ELNS1_11target_archE942ELNS1_3gpuE9ELNS1_3repE0EEENS1_30default_config_static_selectorELNS0_4arch9wavefront6targetE0EEEvT1_,"axG",@progbits,_ZN7rocprim17ROCPRIM_400000_NS6detail17trampoline_kernelINS0_14default_configENS1_25partition_config_selectorILNS1_17partition_subalgoE6EiNS0_10empty_typeEbEEZZNS1_14partition_implILS5_6ELb0ES3_mN6thrust23THRUST_200600_302600_NS6detail15normal_iteratorINSA_10device_ptrIiEEEEPS6_SG_NS0_5tupleIJSF_S6_EEENSH_IJSG_SG_EEES6_PlJNSB_9not_fun_tI7is_evenIiEEEEEE10hipError_tPvRmT3_T4_T5_T6_T7_T9_mT8_P12ihipStream_tbDpT10_ENKUlT_T0_E_clISt17integral_constantIbLb1EES18_EEDaS13_S14_EUlS13_E_NS1_11comp_targetILNS1_3genE5ELNS1_11target_archE942ELNS1_3gpuE9ELNS1_3repE0EEENS1_30default_config_static_selectorELNS0_4arch9wavefront6targetE0EEEvT1_,comdat
	.protected	_ZN7rocprim17ROCPRIM_400000_NS6detail17trampoline_kernelINS0_14default_configENS1_25partition_config_selectorILNS1_17partition_subalgoE6EiNS0_10empty_typeEbEEZZNS1_14partition_implILS5_6ELb0ES3_mN6thrust23THRUST_200600_302600_NS6detail15normal_iteratorINSA_10device_ptrIiEEEEPS6_SG_NS0_5tupleIJSF_S6_EEENSH_IJSG_SG_EEES6_PlJNSB_9not_fun_tI7is_evenIiEEEEEE10hipError_tPvRmT3_T4_T5_T6_T7_T9_mT8_P12ihipStream_tbDpT10_ENKUlT_T0_E_clISt17integral_constantIbLb1EES18_EEDaS13_S14_EUlS13_E_NS1_11comp_targetILNS1_3genE5ELNS1_11target_archE942ELNS1_3gpuE9ELNS1_3repE0EEENS1_30default_config_static_selectorELNS0_4arch9wavefront6targetE0EEEvT1_ ; -- Begin function _ZN7rocprim17ROCPRIM_400000_NS6detail17trampoline_kernelINS0_14default_configENS1_25partition_config_selectorILNS1_17partition_subalgoE6EiNS0_10empty_typeEbEEZZNS1_14partition_implILS5_6ELb0ES3_mN6thrust23THRUST_200600_302600_NS6detail15normal_iteratorINSA_10device_ptrIiEEEEPS6_SG_NS0_5tupleIJSF_S6_EEENSH_IJSG_SG_EEES6_PlJNSB_9not_fun_tI7is_evenIiEEEEEE10hipError_tPvRmT3_T4_T5_T6_T7_T9_mT8_P12ihipStream_tbDpT10_ENKUlT_T0_E_clISt17integral_constantIbLb1EES18_EEDaS13_S14_EUlS13_E_NS1_11comp_targetILNS1_3genE5ELNS1_11target_archE942ELNS1_3gpuE9ELNS1_3repE0EEENS1_30default_config_static_selectorELNS0_4arch9wavefront6targetE0EEEvT1_
	.globl	_ZN7rocprim17ROCPRIM_400000_NS6detail17trampoline_kernelINS0_14default_configENS1_25partition_config_selectorILNS1_17partition_subalgoE6EiNS0_10empty_typeEbEEZZNS1_14partition_implILS5_6ELb0ES3_mN6thrust23THRUST_200600_302600_NS6detail15normal_iteratorINSA_10device_ptrIiEEEEPS6_SG_NS0_5tupleIJSF_S6_EEENSH_IJSG_SG_EEES6_PlJNSB_9not_fun_tI7is_evenIiEEEEEE10hipError_tPvRmT3_T4_T5_T6_T7_T9_mT8_P12ihipStream_tbDpT10_ENKUlT_T0_E_clISt17integral_constantIbLb1EES18_EEDaS13_S14_EUlS13_E_NS1_11comp_targetILNS1_3genE5ELNS1_11target_archE942ELNS1_3gpuE9ELNS1_3repE0EEENS1_30default_config_static_selectorELNS0_4arch9wavefront6targetE0EEEvT1_
	.p2align	8
	.type	_ZN7rocprim17ROCPRIM_400000_NS6detail17trampoline_kernelINS0_14default_configENS1_25partition_config_selectorILNS1_17partition_subalgoE6EiNS0_10empty_typeEbEEZZNS1_14partition_implILS5_6ELb0ES3_mN6thrust23THRUST_200600_302600_NS6detail15normal_iteratorINSA_10device_ptrIiEEEEPS6_SG_NS0_5tupleIJSF_S6_EEENSH_IJSG_SG_EEES6_PlJNSB_9not_fun_tI7is_evenIiEEEEEE10hipError_tPvRmT3_T4_T5_T6_T7_T9_mT8_P12ihipStream_tbDpT10_ENKUlT_T0_E_clISt17integral_constantIbLb1EES18_EEDaS13_S14_EUlS13_E_NS1_11comp_targetILNS1_3genE5ELNS1_11target_archE942ELNS1_3gpuE9ELNS1_3repE0EEENS1_30default_config_static_selectorELNS0_4arch9wavefront6targetE0EEEvT1_,@function
_ZN7rocprim17ROCPRIM_400000_NS6detail17trampoline_kernelINS0_14default_configENS1_25partition_config_selectorILNS1_17partition_subalgoE6EiNS0_10empty_typeEbEEZZNS1_14partition_implILS5_6ELb0ES3_mN6thrust23THRUST_200600_302600_NS6detail15normal_iteratorINSA_10device_ptrIiEEEEPS6_SG_NS0_5tupleIJSF_S6_EEENSH_IJSG_SG_EEES6_PlJNSB_9not_fun_tI7is_evenIiEEEEEE10hipError_tPvRmT3_T4_T5_T6_T7_T9_mT8_P12ihipStream_tbDpT10_ENKUlT_T0_E_clISt17integral_constantIbLb1EES18_EEDaS13_S14_EUlS13_E_NS1_11comp_targetILNS1_3genE5ELNS1_11target_archE942ELNS1_3gpuE9ELNS1_3repE0EEENS1_30default_config_static_selectorELNS0_4arch9wavefront6targetE0EEEvT1_: ; @_ZN7rocprim17ROCPRIM_400000_NS6detail17trampoline_kernelINS0_14default_configENS1_25partition_config_selectorILNS1_17partition_subalgoE6EiNS0_10empty_typeEbEEZZNS1_14partition_implILS5_6ELb0ES3_mN6thrust23THRUST_200600_302600_NS6detail15normal_iteratorINSA_10device_ptrIiEEEEPS6_SG_NS0_5tupleIJSF_S6_EEENSH_IJSG_SG_EEES6_PlJNSB_9not_fun_tI7is_evenIiEEEEEE10hipError_tPvRmT3_T4_T5_T6_T7_T9_mT8_P12ihipStream_tbDpT10_ENKUlT_T0_E_clISt17integral_constantIbLb1EES18_EEDaS13_S14_EUlS13_E_NS1_11comp_targetILNS1_3genE5ELNS1_11target_archE942ELNS1_3gpuE9ELNS1_3repE0EEENS1_30default_config_static_selectorELNS0_4arch9wavefront6targetE0EEEvT1_
; %bb.0:
	.section	.rodata,"a",@progbits
	.p2align	6, 0x0
	.amdhsa_kernel _ZN7rocprim17ROCPRIM_400000_NS6detail17trampoline_kernelINS0_14default_configENS1_25partition_config_selectorILNS1_17partition_subalgoE6EiNS0_10empty_typeEbEEZZNS1_14partition_implILS5_6ELb0ES3_mN6thrust23THRUST_200600_302600_NS6detail15normal_iteratorINSA_10device_ptrIiEEEEPS6_SG_NS0_5tupleIJSF_S6_EEENSH_IJSG_SG_EEES6_PlJNSB_9not_fun_tI7is_evenIiEEEEEE10hipError_tPvRmT3_T4_T5_T6_T7_T9_mT8_P12ihipStream_tbDpT10_ENKUlT_T0_E_clISt17integral_constantIbLb1EES18_EEDaS13_S14_EUlS13_E_NS1_11comp_targetILNS1_3genE5ELNS1_11target_archE942ELNS1_3gpuE9ELNS1_3repE0EEENS1_30default_config_static_selectorELNS0_4arch9wavefront6targetE0EEEvT1_
		.amdhsa_group_segment_fixed_size 0
		.amdhsa_private_segment_fixed_size 0
		.amdhsa_kernarg_size 128
		.amdhsa_user_sgpr_count 2
		.amdhsa_user_sgpr_dispatch_ptr 0
		.amdhsa_user_sgpr_queue_ptr 0
		.amdhsa_user_sgpr_kernarg_segment_ptr 1
		.amdhsa_user_sgpr_dispatch_id 0
		.amdhsa_user_sgpr_private_segment_size 0
		.amdhsa_wavefront_size32 1
		.amdhsa_uses_dynamic_stack 0
		.amdhsa_enable_private_segment 0
		.amdhsa_system_sgpr_workgroup_id_x 1
		.amdhsa_system_sgpr_workgroup_id_y 0
		.amdhsa_system_sgpr_workgroup_id_z 0
		.amdhsa_system_sgpr_workgroup_info 0
		.amdhsa_system_vgpr_workitem_id 0
		.amdhsa_next_free_vgpr 1
		.amdhsa_next_free_sgpr 1
		.amdhsa_reserve_vcc 0
		.amdhsa_float_round_mode_32 0
		.amdhsa_float_round_mode_16_64 0
		.amdhsa_float_denorm_mode_32 3
		.amdhsa_float_denorm_mode_16_64 3
		.amdhsa_fp16_overflow 0
		.amdhsa_workgroup_processor_mode 1
		.amdhsa_memory_ordered 1
		.amdhsa_forward_progress 1
		.amdhsa_inst_pref_size 0
		.amdhsa_round_robin_scheduling 0
		.amdhsa_exception_fp_ieee_invalid_op 0
		.amdhsa_exception_fp_denorm_src 0
		.amdhsa_exception_fp_ieee_div_zero 0
		.amdhsa_exception_fp_ieee_overflow 0
		.amdhsa_exception_fp_ieee_underflow 0
		.amdhsa_exception_fp_ieee_inexact 0
		.amdhsa_exception_int_div_zero 0
	.end_amdhsa_kernel
	.section	.text._ZN7rocprim17ROCPRIM_400000_NS6detail17trampoline_kernelINS0_14default_configENS1_25partition_config_selectorILNS1_17partition_subalgoE6EiNS0_10empty_typeEbEEZZNS1_14partition_implILS5_6ELb0ES3_mN6thrust23THRUST_200600_302600_NS6detail15normal_iteratorINSA_10device_ptrIiEEEEPS6_SG_NS0_5tupleIJSF_S6_EEENSH_IJSG_SG_EEES6_PlJNSB_9not_fun_tI7is_evenIiEEEEEE10hipError_tPvRmT3_T4_T5_T6_T7_T9_mT8_P12ihipStream_tbDpT10_ENKUlT_T0_E_clISt17integral_constantIbLb1EES18_EEDaS13_S14_EUlS13_E_NS1_11comp_targetILNS1_3genE5ELNS1_11target_archE942ELNS1_3gpuE9ELNS1_3repE0EEENS1_30default_config_static_selectorELNS0_4arch9wavefront6targetE0EEEvT1_,"axG",@progbits,_ZN7rocprim17ROCPRIM_400000_NS6detail17trampoline_kernelINS0_14default_configENS1_25partition_config_selectorILNS1_17partition_subalgoE6EiNS0_10empty_typeEbEEZZNS1_14partition_implILS5_6ELb0ES3_mN6thrust23THRUST_200600_302600_NS6detail15normal_iteratorINSA_10device_ptrIiEEEEPS6_SG_NS0_5tupleIJSF_S6_EEENSH_IJSG_SG_EEES6_PlJNSB_9not_fun_tI7is_evenIiEEEEEE10hipError_tPvRmT3_T4_T5_T6_T7_T9_mT8_P12ihipStream_tbDpT10_ENKUlT_T0_E_clISt17integral_constantIbLb1EES18_EEDaS13_S14_EUlS13_E_NS1_11comp_targetILNS1_3genE5ELNS1_11target_archE942ELNS1_3gpuE9ELNS1_3repE0EEENS1_30default_config_static_selectorELNS0_4arch9wavefront6targetE0EEEvT1_,comdat
.Lfunc_end734:
	.size	_ZN7rocprim17ROCPRIM_400000_NS6detail17trampoline_kernelINS0_14default_configENS1_25partition_config_selectorILNS1_17partition_subalgoE6EiNS0_10empty_typeEbEEZZNS1_14partition_implILS5_6ELb0ES3_mN6thrust23THRUST_200600_302600_NS6detail15normal_iteratorINSA_10device_ptrIiEEEEPS6_SG_NS0_5tupleIJSF_S6_EEENSH_IJSG_SG_EEES6_PlJNSB_9not_fun_tI7is_evenIiEEEEEE10hipError_tPvRmT3_T4_T5_T6_T7_T9_mT8_P12ihipStream_tbDpT10_ENKUlT_T0_E_clISt17integral_constantIbLb1EES18_EEDaS13_S14_EUlS13_E_NS1_11comp_targetILNS1_3genE5ELNS1_11target_archE942ELNS1_3gpuE9ELNS1_3repE0EEENS1_30default_config_static_selectorELNS0_4arch9wavefront6targetE0EEEvT1_, .Lfunc_end734-_ZN7rocprim17ROCPRIM_400000_NS6detail17trampoline_kernelINS0_14default_configENS1_25partition_config_selectorILNS1_17partition_subalgoE6EiNS0_10empty_typeEbEEZZNS1_14partition_implILS5_6ELb0ES3_mN6thrust23THRUST_200600_302600_NS6detail15normal_iteratorINSA_10device_ptrIiEEEEPS6_SG_NS0_5tupleIJSF_S6_EEENSH_IJSG_SG_EEES6_PlJNSB_9not_fun_tI7is_evenIiEEEEEE10hipError_tPvRmT3_T4_T5_T6_T7_T9_mT8_P12ihipStream_tbDpT10_ENKUlT_T0_E_clISt17integral_constantIbLb1EES18_EEDaS13_S14_EUlS13_E_NS1_11comp_targetILNS1_3genE5ELNS1_11target_archE942ELNS1_3gpuE9ELNS1_3repE0EEENS1_30default_config_static_selectorELNS0_4arch9wavefront6targetE0EEEvT1_
                                        ; -- End function
	.set _ZN7rocprim17ROCPRIM_400000_NS6detail17trampoline_kernelINS0_14default_configENS1_25partition_config_selectorILNS1_17partition_subalgoE6EiNS0_10empty_typeEbEEZZNS1_14partition_implILS5_6ELb0ES3_mN6thrust23THRUST_200600_302600_NS6detail15normal_iteratorINSA_10device_ptrIiEEEEPS6_SG_NS0_5tupleIJSF_S6_EEENSH_IJSG_SG_EEES6_PlJNSB_9not_fun_tI7is_evenIiEEEEEE10hipError_tPvRmT3_T4_T5_T6_T7_T9_mT8_P12ihipStream_tbDpT10_ENKUlT_T0_E_clISt17integral_constantIbLb1EES18_EEDaS13_S14_EUlS13_E_NS1_11comp_targetILNS1_3genE5ELNS1_11target_archE942ELNS1_3gpuE9ELNS1_3repE0EEENS1_30default_config_static_selectorELNS0_4arch9wavefront6targetE0EEEvT1_.num_vgpr, 0
	.set _ZN7rocprim17ROCPRIM_400000_NS6detail17trampoline_kernelINS0_14default_configENS1_25partition_config_selectorILNS1_17partition_subalgoE6EiNS0_10empty_typeEbEEZZNS1_14partition_implILS5_6ELb0ES3_mN6thrust23THRUST_200600_302600_NS6detail15normal_iteratorINSA_10device_ptrIiEEEEPS6_SG_NS0_5tupleIJSF_S6_EEENSH_IJSG_SG_EEES6_PlJNSB_9not_fun_tI7is_evenIiEEEEEE10hipError_tPvRmT3_T4_T5_T6_T7_T9_mT8_P12ihipStream_tbDpT10_ENKUlT_T0_E_clISt17integral_constantIbLb1EES18_EEDaS13_S14_EUlS13_E_NS1_11comp_targetILNS1_3genE5ELNS1_11target_archE942ELNS1_3gpuE9ELNS1_3repE0EEENS1_30default_config_static_selectorELNS0_4arch9wavefront6targetE0EEEvT1_.num_agpr, 0
	.set _ZN7rocprim17ROCPRIM_400000_NS6detail17trampoline_kernelINS0_14default_configENS1_25partition_config_selectorILNS1_17partition_subalgoE6EiNS0_10empty_typeEbEEZZNS1_14partition_implILS5_6ELb0ES3_mN6thrust23THRUST_200600_302600_NS6detail15normal_iteratorINSA_10device_ptrIiEEEEPS6_SG_NS0_5tupleIJSF_S6_EEENSH_IJSG_SG_EEES6_PlJNSB_9not_fun_tI7is_evenIiEEEEEE10hipError_tPvRmT3_T4_T5_T6_T7_T9_mT8_P12ihipStream_tbDpT10_ENKUlT_T0_E_clISt17integral_constantIbLb1EES18_EEDaS13_S14_EUlS13_E_NS1_11comp_targetILNS1_3genE5ELNS1_11target_archE942ELNS1_3gpuE9ELNS1_3repE0EEENS1_30default_config_static_selectorELNS0_4arch9wavefront6targetE0EEEvT1_.numbered_sgpr, 0
	.set _ZN7rocprim17ROCPRIM_400000_NS6detail17trampoline_kernelINS0_14default_configENS1_25partition_config_selectorILNS1_17partition_subalgoE6EiNS0_10empty_typeEbEEZZNS1_14partition_implILS5_6ELb0ES3_mN6thrust23THRUST_200600_302600_NS6detail15normal_iteratorINSA_10device_ptrIiEEEEPS6_SG_NS0_5tupleIJSF_S6_EEENSH_IJSG_SG_EEES6_PlJNSB_9not_fun_tI7is_evenIiEEEEEE10hipError_tPvRmT3_T4_T5_T6_T7_T9_mT8_P12ihipStream_tbDpT10_ENKUlT_T0_E_clISt17integral_constantIbLb1EES18_EEDaS13_S14_EUlS13_E_NS1_11comp_targetILNS1_3genE5ELNS1_11target_archE942ELNS1_3gpuE9ELNS1_3repE0EEENS1_30default_config_static_selectorELNS0_4arch9wavefront6targetE0EEEvT1_.num_named_barrier, 0
	.set _ZN7rocprim17ROCPRIM_400000_NS6detail17trampoline_kernelINS0_14default_configENS1_25partition_config_selectorILNS1_17partition_subalgoE6EiNS0_10empty_typeEbEEZZNS1_14partition_implILS5_6ELb0ES3_mN6thrust23THRUST_200600_302600_NS6detail15normal_iteratorINSA_10device_ptrIiEEEEPS6_SG_NS0_5tupleIJSF_S6_EEENSH_IJSG_SG_EEES6_PlJNSB_9not_fun_tI7is_evenIiEEEEEE10hipError_tPvRmT3_T4_T5_T6_T7_T9_mT8_P12ihipStream_tbDpT10_ENKUlT_T0_E_clISt17integral_constantIbLb1EES18_EEDaS13_S14_EUlS13_E_NS1_11comp_targetILNS1_3genE5ELNS1_11target_archE942ELNS1_3gpuE9ELNS1_3repE0EEENS1_30default_config_static_selectorELNS0_4arch9wavefront6targetE0EEEvT1_.private_seg_size, 0
	.set _ZN7rocprim17ROCPRIM_400000_NS6detail17trampoline_kernelINS0_14default_configENS1_25partition_config_selectorILNS1_17partition_subalgoE6EiNS0_10empty_typeEbEEZZNS1_14partition_implILS5_6ELb0ES3_mN6thrust23THRUST_200600_302600_NS6detail15normal_iteratorINSA_10device_ptrIiEEEEPS6_SG_NS0_5tupleIJSF_S6_EEENSH_IJSG_SG_EEES6_PlJNSB_9not_fun_tI7is_evenIiEEEEEE10hipError_tPvRmT3_T4_T5_T6_T7_T9_mT8_P12ihipStream_tbDpT10_ENKUlT_T0_E_clISt17integral_constantIbLb1EES18_EEDaS13_S14_EUlS13_E_NS1_11comp_targetILNS1_3genE5ELNS1_11target_archE942ELNS1_3gpuE9ELNS1_3repE0EEENS1_30default_config_static_selectorELNS0_4arch9wavefront6targetE0EEEvT1_.uses_vcc, 0
	.set _ZN7rocprim17ROCPRIM_400000_NS6detail17trampoline_kernelINS0_14default_configENS1_25partition_config_selectorILNS1_17partition_subalgoE6EiNS0_10empty_typeEbEEZZNS1_14partition_implILS5_6ELb0ES3_mN6thrust23THRUST_200600_302600_NS6detail15normal_iteratorINSA_10device_ptrIiEEEEPS6_SG_NS0_5tupleIJSF_S6_EEENSH_IJSG_SG_EEES6_PlJNSB_9not_fun_tI7is_evenIiEEEEEE10hipError_tPvRmT3_T4_T5_T6_T7_T9_mT8_P12ihipStream_tbDpT10_ENKUlT_T0_E_clISt17integral_constantIbLb1EES18_EEDaS13_S14_EUlS13_E_NS1_11comp_targetILNS1_3genE5ELNS1_11target_archE942ELNS1_3gpuE9ELNS1_3repE0EEENS1_30default_config_static_selectorELNS0_4arch9wavefront6targetE0EEEvT1_.uses_flat_scratch, 0
	.set _ZN7rocprim17ROCPRIM_400000_NS6detail17trampoline_kernelINS0_14default_configENS1_25partition_config_selectorILNS1_17partition_subalgoE6EiNS0_10empty_typeEbEEZZNS1_14partition_implILS5_6ELb0ES3_mN6thrust23THRUST_200600_302600_NS6detail15normal_iteratorINSA_10device_ptrIiEEEEPS6_SG_NS0_5tupleIJSF_S6_EEENSH_IJSG_SG_EEES6_PlJNSB_9not_fun_tI7is_evenIiEEEEEE10hipError_tPvRmT3_T4_T5_T6_T7_T9_mT8_P12ihipStream_tbDpT10_ENKUlT_T0_E_clISt17integral_constantIbLb1EES18_EEDaS13_S14_EUlS13_E_NS1_11comp_targetILNS1_3genE5ELNS1_11target_archE942ELNS1_3gpuE9ELNS1_3repE0EEENS1_30default_config_static_selectorELNS0_4arch9wavefront6targetE0EEEvT1_.has_dyn_sized_stack, 0
	.set _ZN7rocprim17ROCPRIM_400000_NS6detail17trampoline_kernelINS0_14default_configENS1_25partition_config_selectorILNS1_17partition_subalgoE6EiNS0_10empty_typeEbEEZZNS1_14partition_implILS5_6ELb0ES3_mN6thrust23THRUST_200600_302600_NS6detail15normal_iteratorINSA_10device_ptrIiEEEEPS6_SG_NS0_5tupleIJSF_S6_EEENSH_IJSG_SG_EEES6_PlJNSB_9not_fun_tI7is_evenIiEEEEEE10hipError_tPvRmT3_T4_T5_T6_T7_T9_mT8_P12ihipStream_tbDpT10_ENKUlT_T0_E_clISt17integral_constantIbLb1EES18_EEDaS13_S14_EUlS13_E_NS1_11comp_targetILNS1_3genE5ELNS1_11target_archE942ELNS1_3gpuE9ELNS1_3repE0EEENS1_30default_config_static_selectorELNS0_4arch9wavefront6targetE0EEEvT1_.has_recursion, 0
	.set _ZN7rocprim17ROCPRIM_400000_NS6detail17trampoline_kernelINS0_14default_configENS1_25partition_config_selectorILNS1_17partition_subalgoE6EiNS0_10empty_typeEbEEZZNS1_14partition_implILS5_6ELb0ES3_mN6thrust23THRUST_200600_302600_NS6detail15normal_iteratorINSA_10device_ptrIiEEEEPS6_SG_NS0_5tupleIJSF_S6_EEENSH_IJSG_SG_EEES6_PlJNSB_9not_fun_tI7is_evenIiEEEEEE10hipError_tPvRmT3_T4_T5_T6_T7_T9_mT8_P12ihipStream_tbDpT10_ENKUlT_T0_E_clISt17integral_constantIbLb1EES18_EEDaS13_S14_EUlS13_E_NS1_11comp_targetILNS1_3genE5ELNS1_11target_archE942ELNS1_3gpuE9ELNS1_3repE0EEENS1_30default_config_static_selectorELNS0_4arch9wavefront6targetE0EEEvT1_.has_indirect_call, 0
	.section	.AMDGPU.csdata,"",@progbits
; Kernel info:
; codeLenInByte = 0
; TotalNumSgprs: 0
; NumVgprs: 0
; ScratchSize: 0
; MemoryBound: 0
; FloatMode: 240
; IeeeMode: 1
; LDSByteSize: 0 bytes/workgroup (compile time only)
; SGPRBlocks: 0
; VGPRBlocks: 0
; NumSGPRsForWavesPerEU: 1
; NumVGPRsForWavesPerEU: 1
; Occupancy: 16
; WaveLimiterHint : 0
; COMPUTE_PGM_RSRC2:SCRATCH_EN: 0
; COMPUTE_PGM_RSRC2:USER_SGPR: 2
; COMPUTE_PGM_RSRC2:TRAP_HANDLER: 0
; COMPUTE_PGM_RSRC2:TGID_X_EN: 1
; COMPUTE_PGM_RSRC2:TGID_Y_EN: 0
; COMPUTE_PGM_RSRC2:TGID_Z_EN: 0
; COMPUTE_PGM_RSRC2:TIDIG_COMP_CNT: 0
	.section	.text._ZN7rocprim17ROCPRIM_400000_NS6detail17trampoline_kernelINS0_14default_configENS1_25partition_config_selectorILNS1_17partition_subalgoE6EiNS0_10empty_typeEbEEZZNS1_14partition_implILS5_6ELb0ES3_mN6thrust23THRUST_200600_302600_NS6detail15normal_iteratorINSA_10device_ptrIiEEEEPS6_SG_NS0_5tupleIJSF_S6_EEENSH_IJSG_SG_EEES6_PlJNSB_9not_fun_tI7is_evenIiEEEEEE10hipError_tPvRmT3_T4_T5_T6_T7_T9_mT8_P12ihipStream_tbDpT10_ENKUlT_T0_E_clISt17integral_constantIbLb1EES18_EEDaS13_S14_EUlS13_E_NS1_11comp_targetILNS1_3genE4ELNS1_11target_archE910ELNS1_3gpuE8ELNS1_3repE0EEENS1_30default_config_static_selectorELNS0_4arch9wavefront6targetE0EEEvT1_,"axG",@progbits,_ZN7rocprim17ROCPRIM_400000_NS6detail17trampoline_kernelINS0_14default_configENS1_25partition_config_selectorILNS1_17partition_subalgoE6EiNS0_10empty_typeEbEEZZNS1_14partition_implILS5_6ELb0ES3_mN6thrust23THRUST_200600_302600_NS6detail15normal_iteratorINSA_10device_ptrIiEEEEPS6_SG_NS0_5tupleIJSF_S6_EEENSH_IJSG_SG_EEES6_PlJNSB_9not_fun_tI7is_evenIiEEEEEE10hipError_tPvRmT3_T4_T5_T6_T7_T9_mT8_P12ihipStream_tbDpT10_ENKUlT_T0_E_clISt17integral_constantIbLb1EES18_EEDaS13_S14_EUlS13_E_NS1_11comp_targetILNS1_3genE4ELNS1_11target_archE910ELNS1_3gpuE8ELNS1_3repE0EEENS1_30default_config_static_selectorELNS0_4arch9wavefront6targetE0EEEvT1_,comdat
	.protected	_ZN7rocprim17ROCPRIM_400000_NS6detail17trampoline_kernelINS0_14default_configENS1_25partition_config_selectorILNS1_17partition_subalgoE6EiNS0_10empty_typeEbEEZZNS1_14partition_implILS5_6ELb0ES3_mN6thrust23THRUST_200600_302600_NS6detail15normal_iteratorINSA_10device_ptrIiEEEEPS6_SG_NS0_5tupleIJSF_S6_EEENSH_IJSG_SG_EEES6_PlJNSB_9not_fun_tI7is_evenIiEEEEEE10hipError_tPvRmT3_T4_T5_T6_T7_T9_mT8_P12ihipStream_tbDpT10_ENKUlT_T0_E_clISt17integral_constantIbLb1EES18_EEDaS13_S14_EUlS13_E_NS1_11comp_targetILNS1_3genE4ELNS1_11target_archE910ELNS1_3gpuE8ELNS1_3repE0EEENS1_30default_config_static_selectorELNS0_4arch9wavefront6targetE0EEEvT1_ ; -- Begin function _ZN7rocprim17ROCPRIM_400000_NS6detail17trampoline_kernelINS0_14default_configENS1_25partition_config_selectorILNS1_17partition_subalgoE6EiNS0_10empty_typeEbEEZZNS1_14partition_implILS5_6ELb0ES3_mN6thrust23THRUST_200600_302600_NS6detail15normal_iteratorINSA_10device_ptrIiEEEEPS6_SG_NS0_5tupleIJSF_S6_EEENSH_IJSG_SG_EEES6_PlJNSB_9not_fun_tI7is_evenIiEEEEEE10hipError_tPvRmT3_T4_T5_T6_T7_T9_mT8_P12ihipStream_tbDpT10_ENKUlT_T0_E_clISt17integral_constantIbLb1EES18_EEDaS13_S14_EUlS13_E_NS1_11comp_targetILNS1_3genE4ELNS1_11target_archE910ELNS1_3gpuE8ELNS1_3repE0EEENS1_30default_config_static_selectorELNS0_4arch9wavefront6targetE0EEEvT1_
	.globl	_ZN7rocprim17ROCPRIM_400000_NS6detail17trampoline_kernelINS0_14default_configENS1_25partition_config_selectorILNS1_17partition_subalgoE6EiNS0_10empty_typeEbEEZZNS1_14partition_implILS5_6ELb0ES3_mN6thrust23THRUST_200600_302600_NS6detail15normal_iteratorINSA_10device_ptrIiEEEEPS6_SG_NS0_5tupleIJSF_S6_EEENSH_IJSG_SG_EEES6_PlJNSB_9not_fun_tI7is_evenIiEEEEEE10hipError_tPvRmT3_T4_T5_T6_T7_T9_mT8_P12ihipStream_tbDpT10_ENKUlT_T0_E_clISt17integral_constantIbLb1EES18_EEDaS13_S14_EUlS13_E_NS1_11comp_targetILNS1_3genE4ELNS1_11target_archE910ELNS1_3gpuE8ELNS1_3repE0EEENS1_30default_config_static_selectorELNS0_4arch9wavefront6targetE0EEEvT1_
	.p2align	8
	.type	_ZN7rocprim17ROCPRIM_400000_NS6detail17trampoline_kernelINS0_14default_configENS1_25partition_config_selectorILNS1_17partition_subalgoE6EiNS0_10empty_typeEbEEZZNS1_14partition_implILS5_6ELb0ES3_mN6thrust23THRUST_200600_302600_NS6detail15normal_iteratorINSA_10device_ptrIiEEEEPS6_SG_NS0_5tupleIJSF_S6_EEENSH_IJSG_SG_EEES6_PlJNSB_9not_fun_tI7is_evenIiEEEEEE10hipError_tPvRmT3_T4_T5_T6_T7_T9_mT8_P12ihipStream_tbDpT10_ENKUlT_T0_E_clISt17integral_constantIbLb1EES18_EEDaS13_S14_EUlS13_E_NS1_11comp_targetILNS1_3genE4ELNS1_11target_archE910ELNS1_3gpuE8ELNS1_3repE0EEENS1_30default_config_static_selectorELNS0_4arch9wavefront6targetE0EEEvT1_,@function
_ZN7rocprim17ROCPRIM_400000_NS6detail17trampoline_kernelINS0_14default_configENS1_25partition_config_selectorILNS1_17partition_subalgoE6EiNS0_10empty_typeEbEEZZNS1_14partition_implILS5_6ELb0ES3_mN6thrust23THRUST_200600_302600_NS6detail15normal_iteratorINSA_10device_ptrIiEEEEPS6_SG_NS0_5tupleIJSF_S6_EEENSH_IJSG_SG_EEES6_PlJNSB_9not_fun_tI7is_evenIiEEEEEE10hipError_tPvRmT3_T4_T5_T6_T7_T9_mT8_P12ihipStream_tbDpT10_ENKUlT_T0_E_clISt17integral_constantIbLb1EES18_EEDaS13_S14_EUlS13_E_NS1_11comp_targetILNS1_3genE4ELNS1_11target_archE910ELNS1_3gpuE8ELNS1_3repE0EEENS1_30default_config_static_selectorELNS0_4arch9wavefront6targetE0EEEvT1_: ; @_ZN7rocprim17ROCPRIM_400000_NS6detail17trampoline_kernelINS0_14default_configENS1_25partition_config_selectorILNS1_17partition_subalgoE6EiNS0_10empty_typeEbEEZZNS1_14partition_implILS5_6ELb0ES3_mN6thrust23THRUST_200600_302600_NS6detail15normal_iteratorINSA_10device_ptrIiEEEEPS6_SG_NS0_5tupleIJSF_S6_EEENSH_IJSG_SG_EEES6_PlJNSB_9not_fun_tI7is_evenIiEEEEEE10hipError_tPvRmT3_T4_T5_T6_T7_T9_mT8_P12ihipStream_tbDpT10_ENKUlT_T0_E_clISt17integral_constantIbLb1EES18_EEDaS13_S14_EUlS13_E_NS1_11comp_targetILNS1_3genE4ELNS1_11target_archE910ELNS1_3gpuE8ELNS1_3repE0EEENS1_30default_config_static_selectorELNS0_4arch9wavefront6targetE0EEEvT1_
; %bb.0:
	.section	.rodata,"a",@progbits
	.p2align	6, 0x0
	.amdhsa_kernel _ZN7rocprim17ROCPRIM_400000_NS6detail17trampoline_kernelINS0_14default_configENS1_25partition_config_selectorILNS1_17partition_subalgoE6EiNS0_10empty_typeEbEEZZNS1_14partition_implILS5_6ELb0ES3_mN6thrust23THRUST_200600_302600_NS6detail15normal_iteratorINSA_10device_ptrIiEEEEPS6_SG_NS0_5tupleIJSF_S6_EEENSH_IJSG_SG_EEES6_PlJNSB_9not_fun_tI7is_evenIiEEEEEE10hipError_tPvRmT3_T4_T5_T6_T7_T9_mT8_P12ihipStream_tbDpT10_ENKUlT_T0_E_clISt17integral_constantIbLb1EES18_EEDaS13_S14_EUlS13_E_NS1_11comp_targetILNS1_3genE4ELNS1_11target_archE910ELNS1_3gpuE8ELNS1_3repE0EEENS1_30default_config_static_selectorELNS0_4arch9wavefront6targetE0EEEvT1_
		.amdhsa_group_segment_fixed_size 0
		.amdhsa_private_segment_fixed_size 0
		.amdhsa_kernarg_size 128
		.amdhsa_user_sgpr_count 2
		.amdhsa_user_sgpr_dispatch_ptr 0
		.amdhsa_user_sgpr_queue_ptr 0
		.amdhsa_user_sgpr_kernarg_segment_ptr 1
		.amdhsa_user_sgpr_dispatch_id 0
		.amdhsa_user_sgpr_private_segment_size 0
		.amdhsa_wavefront_size32 1
		.amdhsa_uses_dynamic_stack 0
		.amdhsa_enable_private_segment 0
		.amdhsa_system_sgpr_workgroup_id_x 1
		.amdhsa_system_sgpr_workgroup_id_y 0
		.amdhsa_system_sgpr_workgroup_id_z 0
		.amdhsa_system_sgpr_workgroup_info 0
		.amdhsa_system_vgpr_workitem_id 0
		.amdhsa_next_free_vgpr 1
		.amdhsa_next_free_sgpr 1
		.amdhsa_reserve_vcc 0
		.amdhsa_float_round_mode_32 0
		.amdhsa_float_round_mode_16_64 0
		.amdhsa_float_denorm_mode_32 3
		.amdhsa_float_denorm_mode_16_64 3
		.amdhsa_fp16_overflow 0
		.amdhsa_workgroup_processor_mode 1
		.amdhsa_memory_ordered 1
		.amdhsa_forward_progress 1
		.amdhsa_inst_pref_size 0
		.amdhsa_round_robin_scheduling 0
		.amdhsa_exception_fp_ieee_invalid_op 0
		.amdhsa_exception_fp_denorm_src 0
		.amdhsa_exception_fp_ieee_div_zero 0
		.amdhsa_exception_fp_ieee_overflow 0
		.amdhsa_exception_fp_ieee_underflow 0
		.amdhsa_exception_fp_ieee_inexact 0
		.amdhsa_exception_int_div_zero 0
	.end_amdhsa_kernel
	.section	.text._ZN7rocprim17ROCPRIM_400000_NS6detail17trampoline_kernelINS0_14default_configENS1_25partition_config_selectorILNS1_17partition_subalgoE6EiNS0_10empty_typeEbEEZZNS1_14partition_implILS5_6ELb0ES3_mN6thrust23THRUST_200600_302600_NS6detail15normal_iteratorINSA_10device_ptrIiEEEEPS6_SG_NS0_5tupleIJSF_S6_EEENSH_IJSG_SG_EEES6_PlJNSB_9not_fun_tI7is_evenIiEEEEEE10hipError_tPvRmT3_T4_T5_T6_T7_T9_mT8_P12ihipStream_tbDpT10_ENKUlT_T0_E_clISt17integral_constantIbLb1EES18_EEDaS13_S14_EUlS13_E_NS1_11comp_targetILNS1_3genE4ELNS1_11target_archE910ELNS1_3gpuE8ELNS1_3repE0EEENS1_30default_config_static_selectorELNS0_4arch9wavefront6targetE0EEEvT1_,"axG",@progbits,_ZN7rocprim17ROCPRIM_400000_NS6detail17trampoline_kernelINS0_14default_configENS1_25partition_config_selectorILNS1_17partition_subalgoE6EiNS0_10empty_typeEbEEZZNS1_14partition_implILS5_6ELb0ES3_mN6thrust23THRUST_200600_302600_NS6detail15normal_iteratorINSA_10device_ptrIiEEEEPS6_SG_NS0_5tupleIJSF_S6_EEENSH_IJSG_SG_EEES6_PlJNSB_9not_fun_tI7is_evenIiEEEEEE10hipError_tPvRmT3_T4_T5_T6_T7_T9_mT8_P12ihipStream_tbDpT10_ENKUlT_T0_E_clISt17integral_constantIbLb1EES18_EEDaS13_S14_EUlS13_E_NS1_11comp_targetILNS1_3genE4ELNS1_11target_archE910ELNS1_3gpuE8ELNS1_3repE0EEENS1_30default_config_static_selectorELNS0_4arch9wavefront6targetE0EEEvT1_,comdat
.Lfunc_end735:
	.size	_ZN7rocprim17ROCPRIM_400000_NS6detail17trampoline_kernelINS0_14default_configENS1_25partition_config_selectorILNS1_17partition_subalgoE6EiNS0_10empty_typeEbEEZZNS1_14partition_implILS5_6ELb0ES3_mN6thrust23THRUST_200600_302600_NS6detail15normal_iteratorINSA_10device_ptrIiEEEEPS6_SG_NS0_5tupleIJSF_S6_EEENSH_IJSG_SG_EEES6_PlJNSB_9not_fun_tI7is_evenIiEEEEEE10hipError_tPvRmT3_T4_T5_T6_T7_T9_mT8_P12ihipStream_tbDpT10_ENKUlT_T0_E_clISt17integral_constantIbLb1EES18_EEDaS13_S14_EUlS13_E_NS1_11comp_targetILNS1_3genE4ELNS1_11target_archE910ELNS1_3gpuE8ELNS1_3repE0EEENS1_30default_config_static_selectorELNS0_4arch9wavefront6targetE0EEEvT1_, .Lfunc_end735-_ZN7rocprim17ROCPRIM_400000_NS6detail17trampoline_kernelINS0_14default_configENS1_25partition_config_selectorILNS1_17partition_subalgoE6EiNS0_10empty_typeEbEEZZNS1_14partition_implILS5_6ELb0ES3_mN6thrust23THRUST_200600_302600_NS6detail15normal_iteratorINSA_10device_ptrIiEEEEPS6_SG_NS0_5tupleIJSF_S6_EEENSH_IJSG_SG_EEES6_PlJNSB_9not_fun_tI7is_evenIiEEEEEE10hipError_tPvRmT3_T4_T5_T6_T7_T9_mT8_P12ihipStream_tbDpT10_ENKUlT_T0_E_clISt17integral_constantIbLb1EES18_EEDaS13_S14_EUlS13_E_NS1_11comp_targetILNS1_3genE4ELNS1_11target_archE910ELNS1_3gpuE8ELNS1_3repE0EEENS1_30default_config_static_selectorELNS0_4arch9wavefront6targetE0EEEvT1_
                                        ; -- End function
	.set _ZN7rocprim17ROCPRIM_400000_NS6detail17trampoline_kernelINS0_14default_configENS1_25partition_config_selectorILNS1_17partition_subalgoE6EiNS0_10empty_typeEbEEZZNS1_14partition_implILS5_6ELb0ES3_mN6thrust23THRUST_200600_302600_NS6detail15normal_iteratorINSA_10device_ptrIiEEEEPS6_SG_NS0_5tupleIJSF_S6_EEENSH_IJSG_SG_EEES6_PlJNSB_9not_fun_tI7is_evenIiEEEEEE10hipError_tPvRmT3_T4_T5_T6_T7_T9_mT8_P12ihipStream_tbDpT10_ENKUlT_T0_E_clISt17integral_constantIbLb1EES18_EEDaS13_S14_EUlS13_E_NS1_11comp_targetILNS1_3genE4ELNS1_11target_archE910ELNS1_3gpuE8ELNS1_3repE0EEENS1_30default_config_static_selectorELNS0_4arch9wavefront6targetE0EEEvT1_.num_vgpr, 0
	.set _ZN7rocprim17ROCPRIM_400000_NS6detail17trampoline_kernelINS0_14default_configENS1_25partition_config_selectorILNS1_17partition_subalgoE6EiNS0_10empty_typeEbEEZZNS1_14partition_implILS5_6ELb0ES3_mN6thrust23THRUST_200600_302600_NS6detail15normal_iteratorINSA_10device_ptrIiEEEEPS6_SG_NS0_5tupleIJSF_S6_EEENSH_IJSG_SG_EEES6_PlJNSB_9not_fun_tI7is_evenIiEEEEEE10hipError_tPvRmT3_T4_T5_T6_T7_T9_mT8_P12ihipStream_tbDpT10_ENKUlT_T0_E_clISt17integral_constantIbLb1EES18_EEDaS13_S14_EUlS13_E_NS1_11comp_targetILNS1_3genE4ELNS1_11target_archE910ELNS1_3gpuE8ELNS1_3repE0EEENS1_30default_config_static_selectorELNS0_4arch9wavefront6targetE0EEEvT1_.num_agpr, 0
	.set _ZN7rocprim17ROCPRIM_400000_NS6detail17trampoline_kernelINS0_14default_configENS1_25partition_config_selectorILNS1_17partition_subalgoE6EiNS0_10empty_typeEbEEZZNS1_14partition_implILS5_6ELb0ES3_mN6thrust23THRUST_200600_302600_NS6detail15normal_iteratorINSA_10device_ptrIiEEEEPS6_SG_NS0_5tupleIJSF_S6_EEENSH_IJSG_SG_EEES6_PlJNSB_9not_fun_tI7is_evenIiEEEEEE10hipError_tPvRmT3_T4_T5_T6_T7_T9_mT8_P12ihipStream_tbDpT10_ENKUlT_T0_E_clISt17integral_constantIbLb1EES18_EEDaS13_S14_EUlS13_E_NS1_11comp_targetILNS1_3genE4ELNS1_11target_archE910ELNS1_3gpuE8ELNS1_3repE0EEENS1_30default_config_static_selectorELNS0_4arch9wavefront6targetE0EEEvT1_.numbered_sgpr, 0
	.set _ZN7rocprim17ROCPRIM_400000_NS6detail17trampoline_kernelINS0_14default_configENS1_25partition_config_selectorILNS1_17partition_subalgoE6EiNS0_10empty_typeEbEEZZNS1_14partition_implILS5_6ELb0ES3_mN6thrust23THRUST_200600_302600_NS6detail15normal_iteratorINSA_10device_ptrIiEEEEPS6_SG_NS0_5tupleIJSF_S6_EEENSH_IJSG_SG_EEES6_PlJNSB_9not_fun_tI7is_evenIiEEEEEE10hipError_tPvRmT3_T4_T5_T6_T7_T9_mT8_P12ihipStream_tbDpT10_ENKUlT_T0_E_clISt17integral_constantIbLb1EES18_EEDaS13_S14_EUlS13_E_NS1_11comp_targetILNS1_3genE4ELNS1_11target_archE910ELNS1_3gpuE8ELNS1_3repE0EEENS1_30default_config_static_selectorELNS0_4arch9wavefront6targetE0EEEvT1_.num_named_barrier, 0
	.set _ZN7rocprim17ROCPRIM_400000_NS6detail17trampoline_kernelINS0_14default_configENS1_25partition_config_selectorILNS1_17partition_subalgoE6EiNS0_10empty_typeEbEEZZNS1_14partition_implILS5_6ELb0ES3_mN6thrust23THRUST_200600_302600_NS6detail15normal_iteratorINSA_10device_ptrIiEEEEPS6_SG_NS0_5tupleIJSF_S6_EEENSH_IJSG_SG_EEES6_PlJNSB_9not_fun_tI7is_evenIiEEEEEE10hipError_tPvRmT3_T4_T5_T6_T7_T9_mT8_P12ihipStream_tbDpT10_ENKUlT_T0_E_clISt17integral_constantIbLb1EES18_EEDaS13_S14_EUlS13_E_NS1_11comp_targetILNS1_3genE4ELNS1_11target_archE910ELNS1_3gpuE8ELNS1_3repE0EEENS1_30default_config_static_selectorELNS0_4arch9wavefront6targetE0EEEvT1_.private_seg_size, 0
	.set _ZN7rocprim17ROCPRIM_400000_NS6detail17trampoline_kernelINS0_14default_configENS1_25partition_config_selectorILNS1_17partition_subalgoE6EiNS0_10empty_typeEbEEZZNS1_14partition_implILS5_6ELb0ES3_mN6thrust23THRUST_200600_302600_NS6detail15normal_iteratorINSA_10device_ptrIiEEEEPS6_SG_NS0_5tupleIJSF_S6_EEENSH_IJSG_SG_EEES6_PlJNSB_9not_fun_tI7is_evenIiEEEEEE10hipError_tPvRmT3_T4_T5_T6_T7_T9_mT8_P12ihipStream_tbDpT10_ENKUlT_T0_E_clISt17integral_constantIbLb1EES18_EEDaS13_S14_EUlS13_E_NS1_11comp_targetILNS1_3genE4ELNS1_11target_archE910ELNS1_3gpuE8ELNS1_3repE0EEENS1_30default_config_static_selectorELNS0_4arch9wavefront6targetE0EEEvT1_.uses_vcc, 0
	.set _ZN7rocprim17ROCPRIM_400000_NS6detail17trampoline_kernelINS0_14default_configENS1_25partition_config_selectorILNS1_17partition_subalgoE6EiNS0_10empty_typeEbEEZZNS1_14partition_implILS5_6ELb0ES3_mN6thrust23THRUST_200600_302600_NS6detail15normal_iteratorINSA_10device_ptrIiEEEEPS6_SG_NS0_5tupleIJSF_S6_EEENSH_IJSG_SG_EEES6_PlJNSB_9not_fun_tI7is_evenIiEEEEEE10hipError_tPvRmT3_T4_T5_T6_T7_T9_mT8_P12ihipStream_tbDpT10_ENKUlT_T0_E_clISt17integral_constantIbLb1EES18_EEDaS13_S14_EUlS13_E_NS1_11comp_targetILNS1_3genE4ELNS1_11target_archE910ELNS1_3gpuE8ELNS1_3repE0EEENS1_30default_config_static_selectorELNS0_4arch9wavefront6targetE0EEEvT1_.uses_flat_scratch, 0
	.set _ZN7rocprim17ROCPRIM_400000_NS6detail17trampoline_kernelINS0_14default_configENS1_25partition_config_selectorILNS1_17partition_subalgoE6EiNS0_10empty_typeEbEEZZNS1_14partition_implILS5_6ELb0ES3_mN6thrust23THRUST_200600_302600_NS6detail15normal_iteratorINSA_10device_ptrIiEEEEPS6_SG_NS0_5tupleIJSF_S6_EEENSH_IJSG_SG_EEES6_PlJNSB_9not_fun_tI7is_evenIiEEEEEE10hipError_tPvRmT3_T4_T5_T6_T7_T9_mT8_P12ihipStream_tbDpT10_ENKUlT_T0_E_clISt17integral_constantIbLb1EES18_EEDaS13_S14_EUlS13_E_NS1_11comp_targetILNS1_3genE4ELNS1_11target_archE910ELNS1_3gpuE8ELNS1_3repE0EEENS1_30default_config_static_selectorELNS0_4arch9wavefront6targetE0EEEvT1_.has_dyn_sized_stack, 0
	.set _ZN7rocprim17ROCPRIM_400000_NS6detail17trampoline_kernelINS0_14default_configENS1_25partition_config_selectorILNS1_17partition_subalgoE6EiNS0_10empty_typeEbEEZZNS1_14partition_implILS5_6ELb0ES3_mN6thrust23THRUST_200600_302600_NS6detail15normal_iteratorINSA_10device_ptrIiEEEEPS6_SG_NS0_5tupleIJSF_S6_EEENSH_IJSG_SG_EEES6_PlJNSB_9not_fun_tI7is_evenIiEEEEEE10hipError_tPvRmT3_T4_T5_T6_T7_T9_mT8_P12ihipStream_tbDpT10_ENKUlT_T0_E_clISt17integral_constantIbLb1EES18_EEDaS13_S14_EUlS13_E_NS1_11comp_targetILNS1_3genE4ELNS1_11target_archE910ELNS1_3gpuE8ELNS1_3repE0EEENS1_30default_config_static_selectorELNS0_4arch9wavefront6targetE0EEEvT1_.has_recursion, 0
	.set _ZN7rocprim17ROCPRIM_400000_NS6detail17trampoline_kernelINS0_14default_configENS1_25partition_config_selectorILNS1_17partition_subalgoE6EiNS0_10empty_typeEbEEZZNS1_14partition_implILS5_6ELb0ES3_mN6thrust23THRUST_200600_302600_NS6detail15normal_iteratorINSA_10device_ptrIiEEEEPS6_SG_NS0_5tupleIJSF_S6_EEENSH_IJSG_SG_EEES6_PlJNSB_9not_fun_tI7is_evenIiEEEEEE10hipError_tPvRmT3_T4_T5_T6_T7_T9_mT8_P12ihipStream_tbDpT10_ENKUlT_T0_E_clISt17integral_constantIbLb1EES18_EEDaS13_S14_EUlS13_E_NS1_11comp_targetILNS1_3genE4ELNS1_11target_archE910ELNS1_3gpuE8ELNS1_3repE0EEENS1_30default_config_static_selectorELNS0_4arch9wavefront6targetE0EEEvT1_.has_indirect_call, 0
	.section	.AMDGPU.csdata,"",@progbits
; Kernel info:
; codeLenInByte = 0
; TotalNumSgprs: 0
; NumVgprs: 0
; ScratchSize: 0
; MemoryBound: 0
; FloatMode: 240
; IeeeMode: 1
; LDSByteSize: 0 bytes/workgroup (compile time only)
; SGPRBlocks: 0
; VGPRBlocks: 0
; NumSGPRsForWavesPerEU: 1
; NumVGPRsForWavesPerEU: 1
; Occupancy: 16
; WaveLimiterHint : 0
; COMPUTE_PGM_RSRC2:SCRATCH_EN: 0
; COMPUTE_PGM_RSRC2:USER_SGPR: 2
; COMPUTE_PGM_RSRC2:TRAP_HANDLER: 0
; COMPUTE_PGM_RSRC2:TGID_X_EN: 1
; COMPUTE_PGM_RSRC2:TGID_Y_EN: 0
; COMPUTE_PGM_RSRC2:TGID_Z_EN: 0
; COMPUTE_PGM_RSRC2:TIDIG_COMP_CNT: 0
	.section	.text._ZN7rocprim17ROCPRIM_400000_NS6detail17trampoline_kernelINS0_14default_configENS1_25partition_config_selectorILNS1_17partition_subalgoE6EiNS0_10empty_typeEbEEZZNS1_14partition_implILS5_6ELb0ES3_mN6thrust23THRUST_200600_302600_NS6detail15normal_iteratorINSA_10device_ptrIiEEEEPS6_SG_NS0_5tupleIJSF_S6_EEENSH_IJSG_SG_EEES6_PlJNSB_9not_fun_tI7is_evenIiEEEEEE10hipError_tPvRmT3_T4_T5_T6_T7_T9_mT8_P12ihipStream_tbDpT10_ENKUlT_T0_E_clISt17integral_constantIbLb1EES18_EEDaS13_S14_EUlS13_E_NS1_11comp_targetILNS1_3genE3ELNS1_11target_archE908ELNS1_3gpuE7ELNS1_3repE0EEENS1_30default_config_static_selectorELNS0_4arch9wavefront6targetE0EEEvT1_,"axG",@progbits,_ZN7rocprim17ROCPRIM_400000_NS6detail17trampoline_kernelINS0_14default_configENS1_25partition_config_selectorILNS1_17partition_subalgoE6EiNS0_10empty_typeEbEEZZNS1_14partition_implILS5_6ELb0ES3_mN6thrust23THRUST_200600_302600_NS6detail15normal_iteratorINSA_10device_ptrIiEEEEPS6_SG_NS0_5tupleIJSF_S6_EEENSH_IJSG_SG_EEES6_PlJNSB_9not_fun_tI7is_evenIiEEEEEE10hipError_tPvRmT3_T4_T5_T6_T7_T9_mT8_P12ihipStream_tbDpT10_ENKUlT_T0_E_clISt17integral_constantIbLb1EES18_EEDaS13_S14_EUlS13_E_NS1_11comp_targetILNS1_3genE3ELNS1_11target_archE908ELNS1_3gpuE7ELNS1_3repE0EEENS1_30default_config_static_selectorELNS0_4arch9wavefront6targetE0EEEvT1_,comdat
	.protected	_ZN7rocprim17ROCPRIM_400000_NS6detail17trampoline_kernelINS0_14default_configENS1_25partition_config_selectorILNS1_17partition_subalgoE6EiNS0_10empty_typeEbEEZZNS1_14partition_implILS5_6ELb0ES3_mN6thrust23THRUST_200600_302600_NS6detail15normal_iteratorINSA_10device_ptrIiEEEEPS6_SG_NS0_5tupleIJSF_S6_EEENSH_IJSG_SG_EEES6_PlJNSB_9not_fun_tI7is_evenIiEEEEEE10hipError_tPvRmT3_T4_T5_T6_T7_T9_mT8_P12ihipStream_tbDpT10_ENKUlT_T0_E_clISt17integral_constantIbLb1EES18_EEDaS13_S14_EUlS13_E_NS1_11comp_targetILNS1_3genE3ELNS1_11target_archE908ELNS1_3gpuE7ELNS1_3repE0EEENS1_30default_config_static_selectorELNS0_4arch9wavefront6targetE0EEEvT1_ ; -- Begin function _ZN7rocprim17ROCPRIM_400000_NS6detail17trampoline_kernelINS0_14default_configENS1_25partition_config_selectorILNS1_17partition_subalgoE6EiNS0_10empty_typeEbEEZZNS1_14partition_implILS5_6ELb0ES3_mN6thrust23THRUST_200600_302600_NS6detail15normal_iteratorINSA_10device_ptrIiEEEEPS6_SG_NS0_5tupleIJSF_S6_EEENSH_IJSG_SG_EEES6_PlJNSB_9not_fun_tI7is_evenIiEEEEEE10hipError_tPvRmT3_T4_T5_T6_T7_T9_mT8_P12ihipStream_tbDpT10_ENKUlT_T0_E_clISt17integral_constantIbLb1EES18_EEDaS13_S14_EUlS13_E_NS1_11comp_targetILNS1_3genE3ELNS1_11target_archE908ELNS1_3gpuE7ELNS1_3repE0EEENS1_30default_config_static_selectorELNS0_4arch9wavefront6targetE0EEEvT1_
	.globl	_ZN7rocprim17ROCPRIM_400000_NS6detail17trampoline_kernelINS0_14default_configENS1_25partition_config_selectorILNS1_17partition_subalgoE6EiNS0_10empty_typeEbEEZZNS1_14partition_implILS5_6ELb0ES3_mN6thrust23THRUST_200600_302600_NS6detail15normal_iteratorINSA_10device_ptrIiEEEEPS6_SG_NS0_5tupleIJSF_S6_EEENSH_IJSG_SG_EEES6_PlJNSB_9not_fun_tI7is_evenIiEEEEEE10hipError_tPvRmT3_T4_T5_T6_T7_T9_mT8_P12ihipStream_tbDpT10_ENKUlT_T0_E_clISt17integral_constantIbLb1EES18_EEDaS13_S14_EUlS13_E_NS1_11comp_targetILNS1_3genE3ELNS1_11target_archE908ELNS1_3gpuE7ELNS1_3repE0EEENS1_30default_config_static_selectorELNS0_4arch9wavefront6targetE0EEEvT1_
	.p2align	8
	.type	_ZN7rocprim17ROCPRIM_400000_NS6detail17trampoline_kernelINS0_14default_configENS1_25partition_config_selectorILNS1_17partition_subalgoE6EiNS0_10empty_typeEbEEZZNS1_14partition_implILS5_6ELb0ES3_mN6thrust23THRUST_200600_302600_NS6detail15normal_iteratorINSA_10device_ptrIiEEEEPS6_SG_NS0_5tupleIJSF_S6_EEENSH_IJSG_SG_EEES6_PlJNSB_9not_fun_tI7is_evenIiEEEEEE10hipError_tPvRmT3_T4_T5_T6_T7_T9_mT8_P12ihipStream_tbDpT10_ENKUlT_T0_E_clISt17integral_constantIbLb1EES18_EEDaS13_S14_EUlS13_E_NS1_11comp_targetILNS1_3genE3ELNS1_11target_archE908ELNS1_3gpuE7ELNS1_3repE0EEENS1_30default_config_static_selectorELNS0_4arch9wavefront6targetE0EEEvT1_,@function
_ZN7rocprim17ROCPRIM_400000_NS6detail17trampoline_kernelINS0_14default_configENS1_25partition_config_selectorILNS1_17partition_subalgoE6EiNS0_10empty_typeEbEEZZNS1_14partition_implILS5_6ELb0ES3_mN6thrust23THRUST_200600_302600_NS6detail15normal_iteratorINSA_10device_ptrIiEEEEPS6_SG_NS0_5tupleIJSF_S6_EEENSH_IJSG_SG_EEES6_PlJNSB_9not_fun_tI7is_evenIiEEEEEE10hipError_tPvRmT3_T4_T5_T6_T7_T9_mT8_P12ihipStream_tbDpT10_ENKUlT_T0_E_clISt17integral_constantIbLb1EES18_EEDaS13_S14_EUlS13_E_NS1_11comp_targetILNS1_3genE3ELNS1_11target_archE908ELNS1_3gpuE7ELNS1_3repE0EEENS1_30default_config_static_selectorELNS0_4arch9wavefront6targetE0EEEvT1_: ; @_ZN7rocprim17ROCPRIM_400000_NS6detail17trampoline_kernelINS0_14default_configENS1_25partition_config_selectorILNS1_17partition_subalgoE6EiNS0_10empty_typeEbEEZZNS1_14partition_implILS5_6ELb0ES3_mN6thrust23THRUST_200600_302600_NS6detail15normal_iteratorINSA_10device_ptrIiEEEEPS6_SG_NS0_5tupleIJSF_S6_EEENSH_IJSG_SG_EEES6_PlJNSB_9not_fun_tI7is_evenIiEEEEEE10hipError_tPvRmT3_T4_T5_T6_T7_T9_mT8_P12ihipStream_tbDpT10_ENKUlT_T0_E_clISt17integral_constantIbLb1EES18_EEDaS13_S14_EUlS13_E_NS1_11comp_targetILNS1_3genE3ELNS1_11target_archE908ELNS1_3gpuE7ELNS1_3repE0EEENS1_30default_config_static_selectorELNS0_4arch9wavefront6targetE0EEEvT1_
; %bb.0:
	.section	.rodata,"a",@progbits
	.p2align	6, 0x0
	.amdhsa_kernel _ZN7rocprim17ROCPRIM_400000_NS6detail17trampoline_kernelINS0_14default_configENS1_25partition_config_selectorILNS1_17partition_subalgoE6EiNS0_10empty_typeEbEEZZNS1_14partition_implILS5_6ELb0ES3_mN6thrust23THRUST_200600_302600_NS6detail15normal_iteratorINSA_10device_ptrIiEEEEPS6_SG_NS0_5tupleIJSF_S6_EEENSH_IJSG_SG_EEES6_PlJNSB_9not_fun_tI7is_evenIiEEEEEE10hipError_tPvRmT3_T4_T5_T6_T7_T9_mT8_P12ihipStream_tbDpT10_ENKUlT_T0_E_clISt17integral_constantIbLb1EES18_EEDaS13_S14_EUlS13_E_NS1_11comp_targetILNS1_3genE3ELNS1_11target_archE908ELNS1_3gpuE7ELNS1_3repE0EEENS1_30default_config_static_selectorELNS0_4arch9wavefront6targetE0EEEvT1_
		.amdhsa_group_segment_fixed_size 0
		.amdhsa_private_segment_fixed_size 0
		.amdhsa_kernarg_size 128
		.amdhsa_user_sgpr_count 2
		.amdhsa_user_sgpr_dispatch_ptr 0
		.amdhsa_user_sgpr_queue_ptr 0
		.amdhsa_user_sgpr_kernarg_segment_ptr 1
		.amdhsa_user_sgpr_dispatch_id 0
		.amdhsa_user_sgpr_private_segment_size 0
		.amdhsa_wavefront_size32 1
		.amdhsa_uses_dynamic_stack 0
		.amdhsa_enable_private_segment 0
		.amdhsa_system_sgpr_workgroup_id_x 1
		.amdhsa_system_sgpr_workgroup_id_y 0
		.amdhsa_system_sgpr_workgroup_id_z 0
		.amdhsa_system_sgpr_workgroup_info 0
		.amdhsa_system_vgpr_workitem_id 0
		.amdhsa_next_free_vgpr 1
		.amdhsa_next_free_sgpr 1
		.amdhsa_reserve_vcc 0
		.amdhsa_float_round_mode_32 0
		.amdhsa_float_round_mode_16_64 0
		.amdhsa_float_denorm_mode_32 3
		.amdhsa_float_denorm_mode_16_64 3
		.amdhsa_fp16_overflow 0
		.amdhsa_workgroup_processor_mode 1
		.amdhsa_memory_ordered 1
		.amdhsa_forward_progress 1
		.amdhsa_inst_pref_size 0
		.amdhsa_round_robin_scheduling 0
		.amdhsa_exception_fp_ieee_invalid_op 0
		.amdhsa_exception_fp_denorm_src 0
		.amdhsa_exception_fp_ieee_div_zero 0
		.amdhsa_exception_fp_ieee_overflow 0
		.amdhsa_exception_fp_ieee_underflow 0
		.amdhsa_exception_fp_ieee_inexact 0
		.amdhsa_exception_int_div_zero 0
	.end_amdhsa_kernel
	.section	.text._ZN7rocprim17ROCPRIM_400000_NS6detail17trampoline_kernelINS0_14default_configENS1_25partition_config_selectorILNS1_17partition_subalgoE6EiNS0_10empty_typeEbEEZZNS1_14partition_implILS5_6ELb0ES3_mN6thrust23THRUST_200600_302600_NS6detail15normal_iteratorINSA_10device_ptrIiEEEEPS6_SG_NS0_5tupleIJSF_S6_EEENSH_IJSG_SG_EEES6_PlJNSB_9not_fun_tI7is_evenIiEEEEEE10hipError_tPvRmT3_T4_T5_T6_T7_T9_mT8_P12ihipStream_tbDpT10_ENKUlT_T0_E_clISt17integral_constantIbLb1EES18_EEDaS13_S14_EUlS13_E_NS1_11comp_targetILNS1_3genE3ELNS1_11target_archE908ELNS1_3gpuE7ELNS1_3repE0EEENS1_30default_config_static_selectorELNS0_4arch9wavefront6targetE0EEEvT1_,"axG",@progbits,_ZN7rocprim17ROCPRIM_400000_NS6detail17trampoline_kernelINS0_14default_configENS1_25partition_config_selectorILNS1_17partition_subalgoE6EiNS0_10empty_typeEbEEZZNS1_14partition_implILS5_6ELb0ES3_mN6thrust23THRUST_200600_302600_NS6detail15normal_iteratorINSA_10device_ptrIiEEEEPS6_SG_NS0_5tupleIJSF_S6_EEENSH_IJSG_SG_EEES6_PlJNSB_9not_fun_tI7is_evenIiEEEEEE10hipError_tPvRmT3_T4_T5_T6_T7_T9_mT8_P12ihipStream_tbDpT10_ENKUlT_T0_E_clISt17integral_constantIbLb1EES18_EEDaS13_S14_EUlS13_E_NS1_11comp_targetILNS1_3genE3ELNS1_11target_archE908ELNS1_3gpuE7ELNS1_3repE0EEENS1_30default_config_static_selectorELNS0_4arch9wavefront6targetE0EEEvT1_,comdat
.Lfunc_end736:
	.size	_ZN7rocprim17ROCPRIM_400000_NS6detail17trampoline_kernelINS0_14default_configENS1_25partition_config_selectorILNS1_17partition_subalgoE6EiNS0_10empty_typeEbEEZZNS1_14partition_implILS5_6ELb0ES3_mN6thrust23THRUST_200600_302600_NS6detail15normal_iteratorINSA_10device_ptrIiEEEEPS6_SG_NS0_5tupleIJSF_S6_EEENSH_IJSG_SG_EEES6_PlJNSB_9not_fun_tI7is_evenIiEEEEEE10hipError_tPvRmT3_T4_T5_T6_T7_T9_mT8_P12ihipStream_tbDpT10_ENKUlT_T0_E_clISt17integral_constantIbLb1EES18_EEDaS13_S14_EUlS13_E_NS1_11comp_targetILNS1_3genE3ELNS1_11target_archE908ELNS1_3gpuE7ELNS1_3repE0EEENS1_30default_config_static_selectorELNS0_4arch9wavefront6targetE0EEEvT1_, .Lfunc_end736-_ZN7rocprim17ROCPRIM_400000_NS6detail17trampoline_kernelINS0_14default_configENS1_25partition_config_selectorILNS1_17partition_subalgoE6EiNS0_10empty_typeEbEEZZNS1_14partition_implILS5_6ELb0ES3_mN6thrust23THRUST_200600_302600_NS6detail15normal_iteratorINSA_10device_ptrIiEEEEPS6_SG_NS0_5tupleIJSF_S6_EEENSH_IJSG_SG_EEES6_PlJNSB_9not_fun_tI7is_evenIiEEEEEE10hipError_tPvRmT3_T4_T5_T6_T7_T9_mT8_P12ihipStream_tbDpT10_ENKUlT_T0_E_clISt17integral_constantIbLb1EES18_EEDaS13_S14_EUlS13_E_NS1_11comp_targetILNS1_3genE3ELNS1_11target_archE908ELNS1_3gpuE7ELNS1_3repE0EEENS1_30default_config_static_selectorELNS0_4arch9wavefront6targetE0EEEvT1_
                                        ; -- End function
	.set _ZN7rocprim17ROCPRIM_400000_NS6detail17trampoline_kernelINS0_14default_configENS1_25partition_config_selectorILNS1_17partition_subalgoE6EiNS0_10empty_typeEbEEZZNS1_14partition_implILS5_6ELb0ES3_mN6thrust23THRUST_200600_302600_NS6detail15normal_iteratorINSA_10device_ptrIiEEEEPS6_SG_NS0_5tupleIJSF_S6_EEENSH_IJSG_SG_EEES6_PlJNSB_9not_fun_tI7is_evenIiEEEEEE10hipError_tPvRmT3_T4_T5_T6_T7_T9_mT8_P12ihipStream_tbDpT10_ENKUlT_T0_E_clISt17integral_constantIbLb1EES18_EEDaS13_S14_EUlS13_E_NS1_11comp_targetILNS1_3genE3ELNS1_11target_archE908ELNS1_3gpuE7ELNS1_3repE0EEENS1_30default_config_static_selectorELNS0_4arch9wavefront6targetE0EEEvT1_.num_vgpr, 0
	.set _ZN7rocprim17ROCPRIM_400000_NS6detail17trampoline_kernelINS0_14default_configENS1_25partition_config_selectorILNS1_17partition_subalgoE6EiNS0_10empty_typeEbEEZZNS1_14partition_implILS5_6ELb0ES3_mN6thrust23THRUST_200600_302600_NS6detail15normal_iteratorINSA_10device_ptrIiEEEEPS6_SG_NS0_5tupleIJSF_S6_EEENSH_IJSG_SG_EEES6_PlJNSB_9not_fun_tI7is_evenIiEEEEEE10hipError_tPvRmT3_T4_T5_T6_T7_T9_mT8_P12ihipStream_tbDpT10_ENKUlT_T0_E_clISt17integral_constantIbLb1EES18_EEDaS13_S14_EUlS13_E_NS1_11comp_targetILNS1_3genE3ELNS1_11target_archE908ELNS1_3gpuE7ELNS1_3repE0EEENS1_30default_config_static_selectorELNS0_4arch9wavefront6targetE0EEEvT1_.num_agpr, 0
	.set _ZN7rocprim17ROCPRIM_400000_NS6detail17trampoline_kernelINS0_14default_configENS1_25partition_config_selectorILNS1_17partition_subalgoE6EiNS0_10empty_typeEbEEZZNS1_14partition_implILS5_6ELb0ES3_mN6thrust23THRUST_200600_302600_NS6detail15normal_iteratorINSA_10device_ptrIiEEEEPS6_SG_NS0_5tupleIJSF_S6_EEENSH_IJSG_SG_EEES6_PlJNSB_9not_fun_tI7is_evenIiEEEEEE10hipError_tPvRmT3_T4_T5_T6_T7_T9_mT8_P12ihipStream_tbDpT10_ENKUlT_T0_E_clISt17integral_constantIbLb1EES18_EEDaS13_S14_EUlS13_E_NS1_11comp_targetILNS1_3genE3ELNS1_11target_archE908ELNS1_3gpuE7ELNS1_3repE0EEENS1_30default_config_static_selectorELNS0_4arch9wavefront6targetE0EEEvT1_.numbered_sgpr, 0
	.set _ZN7rocprim17ROCPRIM_400000_NS6detail17trampoline_kernelINS0_14default_configENS1_25partition_config_selectorILNS1_17partition_subalgoE6EiNS0_10empty_typeEbEEZZNS1_14partition_implILS5_6ELb0ES3_mN6thrust23THRUST_200600_302600_NS6detail15normal_iteratorINSA_10device_ptrIiEEEEPS6_SG_NS0_5tupleIJSF_S6_EEENSH_IJSG_SG_EEES6_PlJNSB_9not_fun_tI7is_evenIiEEEEEE10hipError_tPvRmT3_T4_T5_T6_T7_T9_mT8_P12ihipStream_tbDpT10_ENKUlT_T0_E_clISt17integral_constantIbLb1EES18_EEDaS13_S14_EUlS13_E_NS1_11comp_targetILNS1_3genE3ELNS1_11target_archE908ELNS1_3gpuE7ELNS1_3repE0EEENS1_30default_config_static_selectorELNS0_4arch9wavefront6targetE0EEEvT1_.num_named_barrier, 0
	.set _ZN7rocprim17ROCPRIM_400000_NS6detail17trampoline_kernelINS0_14default_configENS1_25partition_config_selectorILNS1_17partition_subalgoE6EiNS0_10empty_typeEbEEZZNS1_14partition_implILS5_6ELb0ES3_mN6thrust23THRUST_200600_302600_NS6detail15normal_iteratorINSA_10device_ptrIiEEEEPS6_SG_NS0_5tupleIJSF_S6_EEENSH_IJSG_SG_EEES6_PlJNSB_9not_fun_tI7is_evenIiEEEEEE10hipError_tPvRmT3_T4_T5_T6_T7_T9_mT8_P12ihipStream_tbDpT10_ENKUlT_T0_E_clISt17integral_constantIbLb1EES18_EEDaS13_S14_EUlS13_E_NS1_11comp_targetILNS1_3genE3ELNS1_11target_archE908ELNS1_3gpuE7ELNS1_3repE0EEENS1_30default_config_static_selectorELNS0_4arch9wavefront6targetE0EEEvT1_.private_seg_size, 0
	.set _ZN7rocprim17ROCPRIM_400000_NS6detail17trampoline_kernelINS0_14default_configENS1_25partition_config_selectorILNS1_17partition_subalgoE6EiNS0_10empty_typeEbEEZZNS1_14partition_implILS5_6ELb0ES3_mN6thrust23THRUST_200600_302600_NS6detail15normal_iteratorINSA_10device_ptrIiEEEEPS6_SG_NS0_5tupleIJSF_S6_EEENSH_IJSG_SG_EEES6_PlJNSB_9not_fun_tI7is_evenIiEEEEEE10hipError_tPvRmT3_T4_T5_T6_T7_T9_mT8_P12ihipStream_tbDpT10_ENKUlT_T0_E_clISt17integral_constantIbLb1EES18_EEDaS13_S14_EUlS13_E_NS1_11comp_targetILNS1_3genE3ELNS1_11target_archE908ELNS1_3gpuE7ELNS1_3repE0EEENS1_30default_config_static_selectorELNS0_4arch9wavefront6targetE0EEEvT1_.uses_vcc, 0
	.set _ZN7rocprim17ROCPRIM_400000_NS6detail17trampoline_kernelINS0_14default_configENS1_25partition_config_selectorILNS1_17partition_subalgoE6EiNS0_10empty_typeEbEEZZNS1_14partition_implILS5_6ELb0ES3_mN6thrust23THRUST_200600_302600_NS6detail15normal_iteratorINSA_10device_ptrIiEEEEPS6_SG_NS0_5tupleIJSF_S6_EEENSH_IJSG_SG_EEES6_PlJNSB_9not_fun_tI7is_evenIiEEEEEE10hipError_tPvRmT3_T4_T5_T6_T7_T9_mT8_P12ihipStream_tbDpT10_ENKUlT_T0_E_clISt17integral_constantIbLb1EES18_EEDaS13_S14_EUlS13_E_NS1_11comp_targetILNS1_3genE3ELNS1_11target_archE908ELNS1_3gpuE7ELNS1_3repE0EEENS1_30default_config_static_selectorELNS0_4arch9wavefront6targetE0EEEvT1_.uses_flat_scratch, 0
	.set _ZN7rocprim17ROCPRIM_400000_NS6detail17trampoline_kernelINS0_14default_configENS1_25partition_config_selectorILNS1_17partition_subalgoE6EiNS0_10empty_typeEbEEZZNS1_14partition_implILS5_6ELb0ES3_mN6thrust23THRUST_200600_302600_NS6detail15normal_iteratorINSA_10device_ptrIiEEEEPS6_SG_NS0_5tupleIJSF_S6_EEENSH_IJSG_SG_EEES6_PlJNSB_9not_fun_tI7is_evenIiEEEEEE10hipError_tPvRmT3_T4_T5_T6_T7_T9_mT8_P12ihipStream_tbDpT10_ENKUlT_T0_E_clISt17integral_constantIbLb1EES18_EEDaS13_S14_EUlS13_E_NS1_11comp_targetILNS1_3genE3ELNS1_11target_archE908ELNS1_3gpuE7ELNS1_3repE0EEENS1_30default_config_static_selectorELNS0_4arch9wavefront6targetE0EEEvT1_.has_dyn_sized_stack, 0
	.set _ZN7rocprim17ROCPRIM_400000_NS6detail17trampoline_kernelINS0_14default_configENS1_25partition_config_selectorILNS1_17partition_subalgoE6EiNS0_10empty_typeEbEEZZNS1_14partition_implILS5_6ELb0ES3_mN6thrust23THRUST_200600_302600_NS6detail15normal_iteratorINSA_10device_ptrIiEEEEPS6_SG_NS0_5tupleIJSF_S6_EEENSH_IJSG_SG_EEES6_PlJNSB_9not_fun_tI7is_evenIiEEEEEE10hipError_tPvRmT3_T4_T5_T6_T7_T9_mT8_P12ihipStream_tbDpT10_ENKUlT_T0_E_clISt17integral_constantIbLb1EES18_EEDaS13_S14_EUlS13_E_NS1_11comp_targetILNS1_3genE3ELNS1_11target_archE908ELNS1_3gpuE7ELNS1_3repE0EEENS1_30default_config_static_selectorELNS0_4arch9wavefront6targetE0EEEvT1_.has_recursion, 0
	.set _ZN7rocprim17ROCPRIM_400000_NS6detail17trampoline_kernelINS0_14default_configENS1_25partition_config_selectorILNS1_17partition_subalgoE6EiNS0_10empty_typeEbEEZZNS1_14partition_implILS5_6ELb0ES3_mN6thrust23THRUST_200600_302600_NS6detail15normal_iteratorINSA_10device_ptrIiEEEEPS6_SG_NS0_5tupleIJSF_S6_EEENSH_IJSG_SG_EEES6_PlJNSB_9not_fun_tI7is_evenIiEEEEEE10hipError_tPvRmT3_T4_T5_T6_T7_T9_mT8_P12ihipStream_tbDpT10_ENKUlT_T0_E_clISt17integral_constantIbLb1EES18_EEDaS13_S14_EUlS13_E_NS1_11comp_targetILNS1_3genE3ELNS1_11target_archE908ELNS1_3gpuE7ELNS1_3repE0EEENS1_30default_config_static_selectorELNS0_4arch9wavefront6targetE0EEEvT1_.has_indirect_call, 0
	.section	.AMDGPU.csdata,"",@progbits
; Kernel info:
; codeLenInByte = 0
; TotalNumSgprs: 0
; NumVgprs: 0
; ScratchSize: 0
; MemoryBound: 0
; FloatMode: 240
; IeeeMode: 1
; LDSByteSize: 0 bytes/workgroup (compile time only)
; SGPRBlocks: 0
; VGPRBlocks: 0
; NumSGPRsForWavesPerEU: 1
; NumVGPRsForWavesPerEU: 1
; Occupancy: 16
; WaveLimiterHint : 0
; COMPUTE_PGM_RSRC2:SCRATCH_EN: 0
; COMPUTE_PGM_RSRC2:USER_SGPR: 2
; COMPUTE_PGM_RSRC2:TRAP_HANDLER: 0
; COMPUTE_PGM_RSRC2:TGID_X_EN: 1
; COMPUTE_PGM_RSRC2:TGID_Y_EN: 0
; COMPUTE_PGM_RSRC2:TGID_Z_EN: 0
; COMPUTE_PGM_RSRC2:TIDIG_COMP_CNT: 0
	.section	.text._ZN7rocprim17ROCPRIM_400000_NS6detail17trampoline_kernelINS0_14default_configENS1_25partition_config_selectorILNS1_17partition_subalgoE6EiNS0_10empty_typeEbEEZZNS1_14partition_implILS5_6ELb0ES3_mN6thrust23THRUST_200600_302600_NS6detail15normal_iteratorINSA_10device_ptrIiEEEEPS6_SG_NS0_5tupleIJSF_S6_EEENSH_IJSG_SG_EEES6_PlJNSB_9not_fun_tI7is_evenIiEEEEEE10hipError_tPvRmT3_T4_T5_T6_T7_T9_mT8_P12ihipStream_tbDpT10_ENKUlT_T0_E_clISt17integral_constantIbLb1EES18_EEDaS13_S14_EUlS13_E_NS1_11comp_targetILNS1_3genE2ELNS1_11target_archE906ELNS1_3gpuE6ELNS1_3repE0EEENS1_30default_config_static_selectorELNS0_4arch9wavefront6targetE0EEEvT1_,"axG",@progbits,_ZN7rocprim17ROCPRIM_400000_NS6detail17trampoline_kernelINS0_14default_configENS1_25partition_config_selectorILNS1_17partition_subalgoE6EiNS0_10empty_typeEbEEZZNS1_14partition_implILS5_6ELb0ES3_mN6thrust23THRUST_200600_302600_NS6detail15normal_iteratorINSA_10device_ptrIiEEEEPS6_SG_NS0_5tupleIJSF_S6_EEENSH_IJSG_SG_EEES6_PlJNSB_9not_fun_tI7is_evenIiEEEEEE10hipError_tPvRmT3_T4_T5_T6_T7_T9_mT8_P12ihipStream_tbDpT10_ENKUlT_T0_E_clISt17integral_constantIbLb1EES18_EEDaS13_S14_EUlS13_E_NS1_11comp_targetILNS1_3genE2ELNS1_11target_archE906ELNS1_3gpuE6ELNS1_3repE0EEENS1_30default_config_static_selectorELNS0_4arch9wavefront6targetE0EEEvT1_,comdat
	.protected	_ZN7rocprim17ROCPRIM_400000_NS6detail17trampoline_kernelINS0_14default_configENS1_25partition_config_selectorILNS1_17partition_subalgoE6EiNS0_10empty_typeEbEEZZNS1_14partition_implILS5_6ELb0ES3_mN6thrust23THRUST_200600_302600_NS6detail15normal_iteratorINSA_10device_ptrIiEEEEPS6_SG_NS0_5tupleIJSF_S6_EEENSH_IJSG_SG_EEES6_PlJNSB_9not_fun_tI7is_evenIiEEEEEE10hipError_tPvRmT3_T4_T5_T6_T7_T9_mT8_P12ihipStream_tbDpT10_ENKUlT_T0_E_clISt17integral_constantIbLb1EES18_EEDaS13_S14_EUlS13_E_NS1_11comp_targetILNS1_3genE2ELNS1_11target_archE906ELNS1_3gpuE6ELNS1_3repE0EEENS1_30default_config_static_selectorELNS0_4arch9wavefront6targetE0EEEvT1_ ; -- Begin function _ZN7rocprim17ROCPRIM_400000_NS6detail17trampoline_kernelINS0_14default_configENS1_25partition_config_selectorILNS1_17partition_subalgoE6EiNS0_10empty_typeEbEEZZNS1_14partition_implILS5_6ELb0ES3_mN6thrust23THRUST_200600_302600_NS6detail15normal_iteratorINSA_10device_ptrIiEEEEPS6_SG_NS0_5tupleIJSF_S6_EEENSH_IJSG_SG_EEES6_PlJNSB_9not_fun_tI7is_evenIiEEEEEE10hipError_tPvRmT3_T4_T5_T6_T7_T9_mT8_P12ihipStream_tbDpT10_ENKUlT_T0_E_clISt17integral_constantIbLb1EES18_EEDaS13_S14_EUlS13_E_NS1_11comp_targetILNS1_3genE2ELNS1_11target_archE906ELNS1_3gpuE6ELNS1_3repE0EEENS1_30default_config_static_selectorELNS0_4arch9wavefront6targetE0EEEvT1_
	.globl	_ZN7rocprim17ROCPRIM_400000_NS6detail17trampoline_kernelINS0_14default_configENS1_25partition_config_selectorILNS1_17partition_subalgoE6EiNS0_10empty_typeEbEEZZNS1_14partition_implILS5_6ELb0ES3_mN6thrust23THRUST_200600_302600_NS6detail15normal_iteratorINSA_10device_ptrIiEEEEPS6_SG_NS0_5tupleIJSF_S6_EEENSH_IJSG_SG_EEES6_PlJNSB_9not_fun_tI7is_evenIiEEEEEE10hipError_tPvRmT3_T4_T5_T6_T7_T9_mT8_P12ihipStream_tbDpT10_ENKUlT_T0_E_clISt17integral_constantIbLb1EES18_EEDaS13_S14_EUlS13_E_NS1_11comp_targetILNS1_3genE2ELNS1_11target_archE906ELNS1_3gpuE6ELNS1_3repE0EEENS1_30default_config_static_selectorELNS0_4arch9wavefront6targetE0EEEvT1_
	.p2align	8
	.type	_ZN7rocprim17ROCPRIM_400000_NS6detail17trampoline_kernelINS0_14default_configENS1_25partition_config_selectorILNS1_17partition_subalgoE6EiNS0_10empty_typeEbEEZZNS1_14partition_implILS5_6ELb0ES3_mN6thrust23THRUST_200600_302600_NS6detail15normal_iteratorINSA_10device_ptrIiEEEEPS6_SG_NS0_5tupleIJSF_S6_EEENSH_IJSG_SG_EEES6_PlJNSB_9not_fun_tI7is_evenIiEEEEEE10hipError_tPvRmT3_T4_T5_T6_T7_T9_mT8_P12ihipStream_tbDpT10_ENKUlT_T0_E_clISt17integral_constantIbLb1EES18_EEDaS13_S14_EUlS13_E_NS1_11comp_targetILNS1_3genE2ELNS1_11target_archE906ELNS1_3gpuE6ELNS1_3repE0EEENS1_30default_config_static_selectorELNS0_4arch9wavefront6targetE0EEEvT1_,@function
_ZN7rocprim17ROCPRIM_400000_NS6detail17trampoline_kernelINS0_14default_configENS1_25partition_config_selectorILNS1_17partition_subalgoE6EiNS0_10empty_typeEbEEZZNS1_14partition_implILS5_6ELb0ES3_mN6thrust23THRUST_200600_302600_NS6detail15normal_iteratorINSA_10device_ptrIiEEEEPS6_SG_NS0_5tupleIJSF_S6_EEENSH_IJSG_SG_EEES6_PlJNSB_9not_fun_tI7is_evenIiEEEEEE10hipError_tPvRmT3_T4_T5_T6_T7_T9_mT8_P12ihipStream_tbDpT10_ENKUlT_T0_E_clISt17integral_constantIbLb1EES18_EEDaS13_S14_EUlS13_E_NS1_11comp_targetILNS1_3genE2ELNS1_11target_archE906ELNS1_3gpuE6ELNS1_3repE0EEENS1_30default_config_static_selectorELNS0_4arch9wavefront6targetE0EEEvT1_: ; @_ZN7rocprim17ROCPRIM_400000_NS6detail17trampoline_kernelINS0_14default_configENS1_25partition_config_selectorILNS1_17partition_subalgoE6EiNS0_10empty_typeEbEEZZNS1_14partition_implILS5_6ELb0ES3_mN6thrust23THRUST_200600_302600_NS6detail15normal_iteratorINSA_10device_ptrIiEEEEPS6_SG_NS0_5tupleIJSF_S6_EEENSH_IJSG_SG_EEES6_PlJNSB_9not_fun_tI7is_evenIiEEEEEE10hipError_tPvRmT3_T4_T5_T6_T7_T9_mT8_P12ihipStream_tbDpT10_ENKUlT_T0_E_clISt17integral_constantIbLb1EES18_EEDaS13_S14_EUlS13_E_NS1_11comp_targetILNS1_3genE2ELNS1_11target_archE906ELNS1_3gpuE6ELNS1_3repE0EEENS1_30default_config_static_selectorELNS0_4arch9wavefront6targetE0EEEvT1_
; %bb.0:
	.section	.rodata,"a",@progbits
	.p2align	6, 0x0
	.amdhsa_kernel _ZN7rocprim17ROCPRIM_400000_NS6detail17trampoline_kernelINS0_14default_configENS1_25partition_config_selectorILNS1_17partition_subalgoE6EiNS0_10empty_typeEbEEZZNS1_14partition_implILS5_6ELb0ES3_mN6thrust23THRUST_200600_302600_NS6detail15normal_iteratorINSA_10device_ptrIiEEEEPS6_SG_NS0_5tupleIJSF_S6_EEENSH_IJSG_SG_EEES6_PlJNSB_9not_fun_tI7is_evenIiEEEEEE10hipError_tPvRmT3_T4_T5_T6_T7_T9_mT8_P12ihipStream_tbDpT10_ENKUlT_T0_E_clISt17integral_constantIbLb1EES18_EEDaS13_S14_EUlS13_E_NS1_11comp_targetILNS1_3genE2ELNS1_11target_archE906ELNS1_3gpuE6ELNS1_3repE0EEENS1_30default_config_static_selectorELNS0_4arch9wavefront6targetE0EEEvT1_
		.amdhsa_group_segment_fixed_size 0
		.amdhsa_private_segment_fixed_size 0
		.amdhsa_kernarg_size 128
		.amdhsa_user_sgpr_count 2
		.amdhsa_user_sgpr_dispatch_ptr 0
		.amdhsa_user_sgpr_queue_ptr 0
		.amdhsa_user_sgpr_kernarg_segment_ptr 1
		.amdhsa_user_sgpr_dispatch_id 0
		.amdhsa_user_sgpr_private_segment_size 0
		.amdhsa_wavefront_size32 1
		.amdhsa_uses_dynamic_stack 0
		.amdhsa_enable_private_segment 0
		.amdhsa_system_sgpr_workgroup_id_x 1
		.amdhsa_system_sgpr_workgroup_id_y 0
		.amdhsa_system_sgpr_workgroup_id_z 0
		.amdhsa_system_sgpr_workgroup_info 0
		.amdhsa_system_vgpr_workitem_id 0
		.amdhsa_next_free_vgpr 1
		.amdhsa_next_free_sgpr 1
		.amdhsa_reserve_vcc 0
		.amdhsa_float_round_mode_32 0
		.amdhsa_float_round_mode_16_64 0
		.amdhsa_float_denorm_mode_32 3
		.amdhsa_float_denorm_mode_16_64 3
		.amdhsa_fp16_overflow 0
		.amdhsa_workgroup_processor_mode 1
		.amdhsa_memory_ordered 1
		.amdhsa_forward_progress 1
		.amdhsa_inst_pref_size 0
		.amdhsa_round_robin_scheduling 0
		.amdhsa_exception_fp_ieee_invalid_op 0
		.amdhsa_exception_fp_denorm_src 0
		.amdhsa_exception_fp_ieee_div_zero 0
		.amdhsa_exception_fp_ieee_overflow 0
		.amdhsa_exception_fp_ieee_underflow 0
		.amdhsa_exception_fp_ieee_inexact 0
		.amdhsa_exception_int_div_zero 0
	.end_amdhsa_kernel
	.section	.text._ZN7rocprim17ROCPRIM_400000_NS6detail17trampoline_kernelINS0_14default_configENS1_25partition_config_selectorILNS1_17partition_subalgoE6EiNS0_10empty_typeEbEEZZNS1_14partition_implILS5_6ELb0ES3_mN6thrust23THRUST_200600_302600_NS6detail15normal_iteratorINSA_10device_ptrIiEEEEPS6_SG_NS0_5tupleIJSF_S6_EEENSH_IJSG_SG_EEES6_PlJNSB_9not_fun_tI7is_evenIiEEEEEE10hipError_tPvRmT3_T4_T5_T6_T7_T9_mT8_P12ihipStream_tbDpT10_ENKUlT_T0_E_clISt17integral_constantIbLb1EES18_EEDaS13_S14_EUlS13_E_NS1_11comp_targetILNS1_3genE2ELNS1_11target_archE906ELNS1_3gpuE6ELNS1_3repE0EEENS1_30default_config_static_selectorELNS0_4arch9wavefront6targetE0EEEvT1_,"axG",@progbits,_ZN7rocprim17ROCPRIM_400000_NS6detail17trampoline_kernelINS0_14default_configENS1_25partition_config_selectorILNS1_17partition_subalgoE6EiNS0_10empty_typeEbEEZZNS1_14partition_implILS5_6ELb0ES3_mN6thrust23THRUST_200600_302600_NS6detail15normal_iteratorINSA_10device_ptrIiEEEEPS6_SG_NS0_5tupleIJSF_S6_EEENSH_IJSG_SG_EEES6_PlJNSB_9not_fun_tI7is_evenIiEEEEEE10hipError_tPvRmT3_T4_T5_T6_T7_T9_mT8_P12ihipStream_tbDpT10_ENKUlT_T0_E_clISt17integral_constantIbLb1EES18_EEDaS13_S14_EUlS13_E_NS1_11comp_targetILNS1_3genE2ELNS1_11target_archE906ELNS1_3gpuE6ELNS1_3repE0EEENS1_30default_config_static_selectorELNS0_4arch9wavefront6targetE0EEEvT1_,comdat
.Lfunc_end737:
	.size	_ZN7rocprim17ROCPRIM_400000_NS6detail17trampoline_kernelINS0_14default_configENS1_25partition_config_selectorILNS1_17partition_subalgoE6EiNS0_10empty_typeEbEEZZNS1_14partition_implILS5_6ELb0ES3_mN6thrust23THRUST_200600_302600_NS6detail15normal_iteratorINSA_10device_ptrIiEEEEPS6_SG_NS0_5tupleIJSF_S6_EEENSH_IJSG_SG_EEES6_PlJNSB_9not_fun_tI7is_evenIiEEEEEE10hipError_tPvRmT3_T4_T5_T6_T7_T9_mT8_P12ihipStream_tbDpT10_ENKUlT_T0_E_clISt17integral_constantIbLb1EES18_EEDaS13_S14_EUlS13_E_NS1_11comp_targetILNS1_3genE2ELNS1_11target_archE906ELNS1_3gpuE6ELNS1_3repE0EEENS1_30default_config_static_selectorELNS0_4arch9wavefront6targetE0EEEvT1_, .Lfunc_end737-_ZN7rocprim17ROCPRIM_400000_NS6detail17trampoline_kernelINS0_14default_configENS1_25partition_config_selectorILNS1_17partition_subalgoE6EiNS0_10empty_typeEbEEZZNS1_14partition_implILS5_6ELb0ES3_mN6thrust23THRUST_200600_302600_NS6detail15normal_iteratorINSA_10device_ptrIiEEEEPS6_SG_NS0_5tupleIJSF_S6_EEENSH_IJSG_SG_EEES6_PlJNSB_9not_fun_tI7is_evenIiEEEEEE10hipError_tPvRmT3_T4_T5_T6_T7_T9_mT8_P12ihipStream_tbDpT10_ENKUlT_T0_E_clISt17integral_constantIbLb1EES18_EEDaS13_S14_EUlS13_E_NS1_11comp_targetILNS1_3genE2ELNS1_11target_archE906ELNS1_3gpuE6ELNS1_3repE0EEENS1_30default_config_static_selectorELNS0_4arch9wavefront6targetE0EEEvT1_
                                        ; -- End function
	.set _ZN7rocprim17ROCPRIM_400000_NS6detail17trampoline_kernelINS0_14default_configENS1_25partition_config_selectorILNS1_17partition_subalgoE6EiNS0_10empty_typeEbEEZZNS1_14partition_implILS5_6ELb0ES3_mN6thrust23THRUST_200600_302600_NS6detail15normal_iteratorINSA_10device_ptrIiEEEEPS6_SG_NS0_5tupleIJSF_S6_EEENSH_IJSG_SG_EEES6_PlJNSB_9not_fun_tI7is_evenIiEEEEEE10hipError_tPvRmT3_T4_T5_T6_T7_T9_mT8_P12ihipStream_tbDpT10_ENKUlT_T0_E_clISt17integral_constantIbLb1EES18_EEDaS13_S14_EUlS13_E_NS1_11comp_targetILNS1_3genE2ELNS1_11target_archE906ELNS1_3gpuE6ELNS1_3repE0EEENS1_30default_config_static_selectorELNS0_4arch9wavefront6targetE0EEEvT1_.num_vgpr, 0
	.set _ZN7rocprim17ROCPRIM_400000_NS6detail17trampoline_kernelINS0_14default_configENS1_25partition_config_selectorILNS1_17partition_subalgoE6EiNS0_10empty_typeEbEEZZNS1_14partition_implILS5_6ELb0ES3_mN6thrust23THRUST_200600_302600_NS6detail15normal_iteratorINSA_10device_ptrIiEEEEPS6_SG_NS0_5tupleIJSF_S6_EEENSH_IJSG_SG_EEES6_PlJNSB_9not_fun_tI7is_evenIiEEEEEE10hipError_tPvRmT3_T4_T5_T6_T7_T9_mT8_P12ihipStream_tbDpT10_ENKUlT_T0_E_clISt17integral_constantIbLb1EES18_EEDaS13_S14_EUlS13_E_NS1_11comp_targetILNS1_3genE2ELNS1_11target_archE906ELNS1_3gpuE6ELNS1_3repE0EEENS1_30default_config_static_selectorELNS0_4arch9wavefront6targetE0EEEvT1_.num_agpr, 0
	.set _ZN7rocprim17ROCPRIM_400000_NS6detail17trampoline_kernelINS0_14default_configENS1_25partition_config_selectorILNS1_17partition_subalgoE6EiNS0_10empty_typeEbEEZZNS1_14partition_implILS5_6ELb0ES3_mN6thrust23THRUST_200600_302600_NS6detail15normal_iteratorINSA_10device_ptrIiEEEEPS6_SG_NS0_5tupleIJSF_S6_EEENSH_IJSG_SG_EEES6_PlJNSB_9not_fun_tI7is_evenIiEEEEEE10hipError_tPvRmT3_T4_T5_T6_T7_T9_mT8_P12ihipStream_tbDpT10_ENKUlT_T0_E_clISt17integral_constantIbLb1EES18_EEDaS13_S14_EUlS13_E_NS1_11comp_targetILNS1_3genE2ELNS1_11target_archE906ELNS1_3gpuE6ELNS1_3repE0EEENS1_30default_config_static_selectorELNS0_4arch9wavefront6targetE0EEEvT1_.numbered_sgpr, 0
	.set _ZN7rocprim17ROCPRIM_400000_NS6detail17trampoline_kernelINS0_14default_configENS1_25partition_config_selectorILNS1_17partition_subalgoE6EiNS0_10empty_typeEbEEZZNS1_14partition_implILS5_6ELb0ES3_mN6thrust23THRUST_200600_302600_NS6detail15normal_iteratorINSA_10device_ptrIiEEEEPS6_SG_NS0_5tupleIJSF_S6_EEENSH_IJSG_SG_EEES6_PlJNSB_9not_fun_tI7is_evenIiEEEEEE10hipError_tPvRmT3_T4_T5_T6_T7_T9_mT8_P12ihipStream_tbDpT10_ENKUlT_T0_E_clISt17integral_constantIbLb1EES18_EEDaS13_S14_EUlS13_E_NS1_11comp_targetILNS1_3genE2ELNS1_11target_archE906ELNS1_3gpuE6ELNS1_3repE0EEENS1_30default_config_static_selectorELNS0_4arch9wavefront6targetE0EEEvT1_.num_named_barrier, 0
	.set _ZN7rocprim17ROCPRIM_400000_NS6detail17trampoline_kernelINS0_14default_configENS1_25partition_config_selectorILNS1_17partition_subalgoE6EiNS0_10empty_typeEbEEZZNS1_14partition_implILS5_6ELb0ES3_mN6thrust23THRUST_200600_302600_NS6detail15normal_iteratorINSA_10device_ptrIiEEEEPS6_SG_NS0_5tupleIJSF_S6_EEENSH_IJSG_SG_EEES6_PlJNSB_9not_fun_tI7is_evenIiEEEEEE10hipError_tPvRmT3_T4_T5_T6_T7_T9_mT8_P12ihipStream_tbDpT10_ENKUlT_T0_E_clISt17integral_constantIbLb1EES18_EEDaS13_S14_EUlS13_E_NS1_11comp_targetILNS1_3genE2ELNS1_11target_archE906ELNS1_3gpuE6ELNS1_3repE0EEENS1_30default_config_static_selectorELNS0_4arch9wavefront6targetE0EEEvT1_.private_seg_size, 0
	.set _ZN7rocprim17ROCPRIM_400000_NS6detail17trampoline_kernelINS0_14default_configENS1_25partition_config_selectorILNS1_17partition_subalgoE6EiNS0_10empty_typeEbEEZZNS1_14partition_implILS5_6ELb0ES3_mN6thrust23THRUST_200600_302600_NS6detail15normal_iteratorINSA_10device_ptrIiEEEEPS6_SG_NS0_5tupleIJSF_S6_EEENSH_IJSG_SG_EEES6_PlJNSB_9not_fun_tI7is_evenIiEEEEEE10hipError_tPvRmT3_T4_T5_T6_T7_T9_mT8_P12ihipStream_tbDpT10_ENKUlT_T0_E_clISt17integral_constantIbLb1EES18_EEDaS13_S14_EUlS13_E_NS1_11comp_targetILNS1_3genE2ELNS1_11target_archE906ELNS1_3gpuE6ELNS1_3repE0EEENS1_30default_config_static_selectorELNS0_4arch9wavefront6targetE0EEEvT1_.uses_vcc, 0
	.set _ZN7rocprim17ROCPRIM_400000_NS6detail17trampoline_kernelINS0_14default_configENS1_25partition_config_selectorILNS1_17partition_subalgoE6EiNS0_10empty_typeEbEEZZNS1_14partition_implILS5_6ELb0ES3_mN6thrust23THRUST_200600_302600_NS6detail15normal_iteratorINSA_10device_ptrIiEEEEPS6_SG_NS0_5tupleIJSF_S6_EEENSH_IJSG_SG_EEES6_PlJNSB_9not_fun_tI7is_evenIiEEEEEE10hipError_tPvRmT3_T4_T5_T6_T7_T9_mT8_P12ihipStream_tbDpT10_ENKUlT_T0_E_clISt17integral_constantIbLb1EES18_EEDaS13_S14_EUlS13_E_NS1_11comp_targetILNS1_3genE2ELNS1_11target_archE906ELNS1_3gpuE6ELNS1_3repE0EEENS1_30default_config_static_selectorELNS0_4arch9wavefront6targetE0EEEvT1_.uses_flat_scratch, 0
	.set _ZN7rocprim17ROCPRIM_400000_NS6detail17trampoline_kernelINS0_14default_configENS1_25partition_config_selectorILNS1_17partition_subalgoE6EiNS0_10empty_typeEbEEZZNS1_14partition_implILS5_6ELb0ES3_mN6thrust23THRUST_200600_302600_NS6detail15normal_iteratorINSA_10device_ptrIiEEEEPS6_SG_NS0_5tupleIJSF_S6_EEENSH_IJSG_SG_EEES6_PlJNSB_9not_fun_tI7is_evenIiEEEEEE10hipError_tPvRmT3_T4_T5_T6_T7_T9_mT8_P12ihipStream_tbDpT10_ENKUlT_T0_E_clISt17integral_constantIbLb1EES18_EEDaS13_S14_EUlS13_E_NS1_11comp_targetILNS1_3genE2ELNS1_11target_archE906ELNS1_3gpuE6ELNS1_3repE0EEENS1_30default_config_static_selectorELNS0_4arch9wavefront6targetE0EEEvT1_.has_dyn_sized_stack, 0
	.set _ZN7rocprim17ROCPRIM_400000_NS6detail17trampoline_kernelINS0_14default_configENS1_25partition_config_selectorILNS1_17partition_subalgoE6EiNS0_10empty_typeEbEEZZNS1_14partition_implILS5_6ELb0ES3_mN6thrust23THRUST_200600_302600_NS6detail15normal_iteratorINSA_10device_ptrIiEEEEPS6_SG_NS0_5tupleIJSF_S6_EEENSH_IJSG_SG_EEES6_PlJNSB_9not_fun_tI7is_evenIiEEEEEE10hipError_tPvRmT3_T4_T5_T6_T7_T9_mT8_P12ihipStream_tbDpT10_ENKUlT_T0_E_clISt17integral_constantIbLb1EES18_EEDaS13_S14_EUlS13_E_NS1_11comp_targetILNS1_3genE2ELNS1_11target_archE906ELNS1_3gpuE6ELNS1_3repE0EEENS1_30default_config_static_selectorELNS0_4arch9wavefront6targetE0EEEvT1_.has_recursion, 0
	.set _ZN7rocprim17ROCPRIM_400000_NS6detail17trampoline_kernelINS0_14default_configENS1_25partition_config_selectorILNS1_17partition_subalgoE6EiNS0_10empty_typeEbEEZZNS1_14partition_implILS5_6ELb0ES3_mN6thrust23THRUST_200600_302600_NS6detail15normal_iteratorINSA_10device_ptrIiEEEEPS6_SG_NS0_5tupleIJSF_S6_EEENSH_IJSG_SG_EEES6_PlJNSB_9not_fun_tI7is_evenIiEEEEEE10hipError_tPvRmT3_T4_T5_T6_T7_T9_mT8_P12ihipStream_tbDpT10_ENKUlT_T0_E_clISt17integral_constantIbLb1EES18_EEDaS13_S14_EUlS13_E_NS1_11comp_targetILNS1_3genE2ELNS1_11target_archE906ELNS1_3gpuE6ELNS1_3repE0EEENS1_30default_config_static_selectorELNS0_4arch9wavefront6targetE0EEEvT1_.has_indirect_call, 0
	.section	.AMDGPU.csdata,"",@progbits
; Kernel info:
; codeLenInByte = 0
; TotalNumSgprs: 0
; NumVgprs: 0
; ScratchSize: 0
; MemoryBound: 0
; FloatMode: 240
; IeeeMode: 1
; LDSByteSize: 0 bytes/workgroup (compile time only)
; SGPRBlocks: 0
; VGPRBlocks: 0
; NumSGPRsForWavesPerEU: 1
; NumVGPRsForWavesPerEU: 1
; Occupancy: 16
; WaveLimiterHint : 0
; COMPUTE_PGM_RSRC2:SCRATCH_EN: 0
; COMPUTE_PGM_RSRC2:USER_SGPR: 2
; COMPUTE_PGM_RSRC2:TRAP_HANDLER: 0
; COMPUTE_PGM_RSRC2:TGID_X_EN: 1
; COMPUTE_PGM_RSRC2:TGID_Y_EN: 0
; COMPUTE_PGM_RSRC2:TGID_Z_EN: 0
; COMPUTE_PGM_RSRC2:TIDIG_COMP_CNT: 0
	.section	.text._ZN7rocprim17ROCPRIM_400000_NS6detail17trampoline_kernelINS0_14default_configENS1_25partition_config_selectorILNS1_17partition_subalgoE6EiNS0_10empty_typeEbEEZZNS1_14partition_implILS5_6ELb0ES3_mN6thrust23THRUST_200600_302600_NS6detail15normal_iteratorINSA_10device_ptrIiEEEEPS6_SG_NS0_5tupleIJSF_S6_EEENSH_IJSG_SG_EEES6_PlJNSB_9not_fun_tI7is_evenIiEEEEEE10hipError_tPvRmT3_T4_T5_T6_T7_T9_mT8_P12ihipStream_tbDpT10_ENKUlT_T0_E_clISt17integral_constantIbLb1EES18_EEDaS13_S14_EUlS13_E_NS1_11comp_targetILNS1_3genE10ELNS1_11target_archE1200ELNS1_3gpuE4ELNS1_3repE0EEENS1_30default_config_static_selectorELNS0_4arch9wavefront6targetE0EEEvT1_,"axG",@progbits,_ZN7rocprim17ROCPRIM_400000_NS6detail17trampoline_kernelINS0_14default_configENS1_25partition_config_selectorILNS1_17partition_subalgoE6EiNS0_10empty_typeEbEEZZNS1_14partition_implILS5_6ELb0ES3_mN6thrust23THRUST_200600_302600_NS6detail15normal_iteratorINSA_10device_ptrIiEEEEPS6_SG_NS0_5tupleIJSF_S6_EEENSH_IJSG_SG_EEES6_PlJNSB_9not_fun_tI7is_evenIiEEEEEE10hipError_tPvRmT3_T4_T5_T6_T7_T9_mT8_P12ihipStream_tbDpT10_ENKUlT_T0_E_clISt17integral_constantIbLb1EES18_EEDaS13_S14_EUlS13_E_NS1_11comp_targetILNS1_3genE10ELNS1_11target_archE1200ELNS1_3gpuE4ELNS1_3repE0EEENS1_30default_config_static_selectorELNS0_4arch9wavefront6targetE0EEEvT1_,comdat
	.protected	_ZN7rocprim17ROCPRIM_400000_NS6detail17trampoline_kernelINS0_14default_configENS1_25partition_config_selectorILNS1_17partition_subalgoE6EiNS0_10empty_typeEbEEZZNS1_14partition_implILS5_6ELb0ES3_mN6thrust23THRUST_200600_302600_NS6detail15normal_iteratorINSA_10device_ptrIiEEEEPS6_SG_NS0_5tupleIJSF_S6_EEENSH_IJSG_SG_EEES6_PlJNSB_9not_fun_tI7is_evenIiEEEEEE10hipError_tPvRmT3_T4_T5_T6_T7_T9_mT8_P12ihipStream_tbDpT10_ENKUlT_T0_E_clISt17integral_constantIbLb1EES18_EEDaS13_S14_EUlS13_E_NS1_11comp_targetILNS1_3genE10ELNS1_11target_archE1200ELNS1_3gpuE4ELNS1_3repE0EEENS1_30default_config_static_selectorELNS0_4arch9wavefront6targetE0EEEvT1_ ; -- Begin function _ZN7rocprim17ROCPRIM_400000_NS6detail17trampoline_kernelINS0_14default_configENS1_25partition_config_selectorILNS1_17partition_subalgoE6EiNS0_10empty_typeEbEEZZNS1_14partition_implILS5_6ELb0ES3_mN6thrust23THRUST_200600_302600_NS6detail15normal_iteratorINSA_10device_ptrIiEEEEPS6_SG_NS0_5tupleIJSF_S6_EEENSH_IJSG_SG_EEES6_PlJNSB_9not_fun_tI7is_evenIiEEEEEE10hipError_tPvRmT3_T4_T5_T6_T7_T9_mT8_P12ihipStream_tbDpT10_ENKUlT_T0_E_clISt17integral_constantIbLb1EES18_EEDaS13_S14_EUlS13_E_NS1_11comp_targetILNS1_3genE10ELNS1_11target_archE1200ELNS1_3gpuE4ELNS1_3repE0EEENS1_30default_config_static_selectorELNS0_4arch9wavefront6targetE0EEEvT1_
	.globl	_ZN7rocprim17ROCPRIM_400000_NS6detail17trampoline_kernelINS0_14default_configENS1_25partition_config_selectorILNS1_17partition_subalgoE6EiNS0_10empty_typeEbEEZZNS1_14partition_implILS5_6ELb0ES3_mN6thrust23THRUST_200600_302600_NS6detail15normal_iteratorINSA_10device_ptrIiEEEEPS6_SG_NS0_5tupleIJSF_S6_EEENSH_IJSG_SG_EEES6_PlJNSB_9not_fun_tI7is_evenIiEEEEEE10hipError_tPvRmT3_T4_T5_T6_T7_T9_mT8_P12ihipStream_tbDpT10_ENKUlT_T0_E_clISt17integral_constantIbLb1EES18_EEDaS13_S14_EUlS13_E_NS1_11comp_targetILNS1_3genE10ELNS1_11target_archE1200ELNS1_3gpuE4ELNS1_3repE0EEENS1_30default_config_static_selectorELNS0_4arch9wavefront6targetE0EEEvT1_
	.p2align	8
	.type	_ZN7rocprim17ROCPRIM_400000_NS6detail17trampoline_kernelINS0_14default_configENS1_25partition_config_selectorILNS1_17partition_subalgoE6EiNS0_10empty_typeEbEEZZNS1_14partition_implILS5_6ELb0ES3_mN6thrust23THRUST_200600_302600_NS6detail15normal_iteratorINSA_10device_ptrIiEEEEPS6_SG_NS0_5tupleIJSF_S6_EEENSH_IJSG_SG_EEES6_PlJNSB_9not_fun_tI7is_evenIiEEEEEE10hipError_tPvRmT3_T4_T5_T6_T7_T9_mT8_P12ihipStream_tbDpT10_ENKUlT_T0_E_clISt17integral_constantIbLb1EES18_EEDaS13_S14_EUlS13_E_NS1_11comp_targetILNS1_3genE10ELNS1_11target_archE1200ELNS1_3gpuE4ELNS1_3repE0EEENS1_30default_config_static_selectorELNS0_4arch9wavefront6targetE0EEEvT1_,@function
_ZN7rocprim17ROCPRIM_400000_NS6detail17trampoline_kernelINS0_14default_configENS1_25partition_config_selectorILNS1_17partition_subalgoE6EiNS0_10empty_typeEbEEZZNS1_14partition_implILS5_6ELb0ES3_mN6thrust23THRUST_200600_302600_NS6detail15normal_iteratorINSA_10device_ptrIiEEEEPS6_SG_NS0_5tupleIJSF_S6_EEENSH_IJSG_SG_EEES6_PlJNSB_9not_fun_tI7is_evenIiEEEEEE10hipError_tPvRmT3_T4_T5_T6_T7_T9_mT8_P12ihipStream_tbDpT10_ENKUlT_T0_E_clISt17integral_constantIbLb1EES18_EEDaS13_S14_EUlS13_E_NS1_11comp_targetILNS1_3genE10ELNS1_11target_archE1200ELNS1_3gpuE4ELNS1_3repE0EEENS1_30default_config_static_selectorELNS0_4arch9wavefront6targetE0EEEvT1_: ; @_ZN7rocprim17ROCPRIM_400000_NS6detail17trampoline_kernelINS0_14default_configENS1_25partition_config_selectorILNS1_17partition_subalgoE6EiNS0_10empty_typeEbEEZZNS1_14partition_implILS5_6ELb0ES3_mN6thrust23THRUST_200600_302600_NS6detail15normal_iteratorINSA_10device_ptrIiEEEEPS6_SG_NS0_5tupleIJSF_S6_EEENSH_IJSG_SG_EEES6_PlJNSB_9not_fun_tI7is_evenIiEEEEEE10hipError_tPvRmT3_T4_T5_T6_T7_T9_mT8_P12ihipStream_tbDpT10_ENKUlT_T0_E_clISt17integral_constantIbLb1EES18_EEDaS13_S14_EUlS13_E_NS1_11comp_targetILNS1_3genE10ELNS1_11target_archE1200ELNS1_3gpuE4ELNS1_3repE0EEENS1_30default_config_static_selectorELNS0_4arch9wavefront6targetE0EEEvT1_
; %bb.0:
	s_endpgm
	.section	.rodata,"a",@progbits
	.p2align	6, 0x0
	.amdhsa_kernel _ZN7rocprim17ROCPRIM_400000_NS6detail17trampoline_kernelINS0_14default_configENS1_25partition_config_selectorILNS1_17partition_subalgoE6EiNS0_10empty_typeEbEEZZNS1_14partition_implILS5_6ELb0ES3_mN6thrust23THRUST_200600_302600_NS6detail15normal_iteratorINSA_10device_ptrIiEEEEPS6_SG_NS0_5tupleIJSF_S6_EEENSH_IJSG_SG_EEES6_PlJNSB_9not_fun_tI7is_evenIiEEEEEE10hipError_tPvRmT3_T4_T5_T6_T7_T9_mT8_P12ihipStream_tbDpT10_ENKUlT_T0_E_clISt17integral_constantIbLb1EES18_EEDaS13_S14_EUlS13_E_NS1_11comp_targetILNS1_3genE10ELNS1_11target_archE1200ELNS1_3gpuE4ELNS1_3repE0EEENS1_30default_config_static_selectorELNS0_4arch9wavefront6targetE0EEEvT1_
		.amdhsa_group_segment_fixed_size 0
		.amdhsa_private_segment_fixed_size 0
		.amdhsa_kernarg_size 128
		.amdhsa_user_sgpr_count 2
		.amdhsa_user_sgpr_dispatch_ptr 0
		.amdhsa_user_sgpr_queue_ptr 0
		.amdhsa_user_sgpr_kernarg_segment_ptr 1
		.amdhsa_user_sgpr_dispatch_id 0
		.amdhsa_user_sgpr_private_segment_size 0
		.amdhsa_wavefront_size32 1
		.amdhsa_uses_dynamic_stack 0
		.amdhsa_enable_private_segment 0
		.amdhsa_system_sgpr_workgroup_id_x 1
		.amdhsa_system_sgpr_workgroup_id_y 0
		.amdhsa_system_sgpr_workgroup_id_z 0
		.amdhsa_system_sgpr_workgroup_info 0
		.amdhsa_system_vgpr_workitem_id 0
		.amdhsa_next_free_vgpr 1
		.amdhsa_next_free_sgpr 1
		.amdhsa_reserve_vcc 0
		.amdhsa_float_round_mode_32 0
		.amdhsa_float_round_mode_16_64 0
		.amdhsa_float_denorm_mode_32 3
		.amdhsa_float_denorm_mode_16_64 3
		.amdhsa_fp16_overflow 0
		.amdhsa_workgroup_processor_mode 1
		.amdhsa_memory_ordered 1
		.amdhsa_forward_progress 1
		.amdhsa_inst_pref_size 1
		.amdhsa_round_robin_scheduling 0
		.amdhsa_exception_fp_ieee_invalid_op 0
		.amdhsa_exception_fp_denorm_src 0
		.amdhsa_exception_fp_ieee_div_zero 0
		.amdhsa_exception_fp_ieee_overflow 0
		.amdhsa_exception_fp_ieee_underflow 0
		.amdhsa_exception_fp_ieee_inexact 0
		.amdhsa_exception_int_div_zero 0
	.end_amdhsa_kernel
	.section	.text._ZN7rocprim17ROCPRIM_400000_NS6detail17trampoline_kernelINS0_14default_configENS1_25partition_config_selectorILNS1_17partition_subalgoE6EiNS0_10empty_typeEbEEZZNS1_14partition_implILS5_6ELb0ES3_mN6thrust23THRUST_200600_302600_NS6detail15normal_iteratorINSA_10device_ptrIiEEEEPS6_SG_NS0_5tupleIJSF_S6_EEENSH_IJSG_SG_EEES6_PlJNSB_9not_fun_tI7is_evenIiEEEEEE10hipError_tPvRmT3_T4_T5_T6_T7_T9_mT8_P12ihipStream_tbDpT10_ENKUlT_T0_E_clISt17integral_constantIbLb1EES18_EEDaS13_S14_EUlS13_E_NS1_11comp_targetILNS1_3genE10ELNS1_11target_archE1200ELNS1_3gpuE4ELNS1_3repE0EEENS1_30default_config_static_selectorELNS0_4arch9wavefront6targetE0EEEvT1_,"axG",@progbits,_ZN7rocprim17ROCPRIM_400000_NS6detail17trampoline_kernelINS0_14default_configENS1_25partition_config_selectorILNS1_17partition_subalgoE6EiNS0_10empty_typeEbEEZZNS1_14partition_implILS5_6ELb0ES3_mN6thrust23THRUST_200600_302600_NS6detail15normal_iteratorINSA_10device_ptrIiEEEEPS6_SG_NS0_5tupleIJSF_S6_EEENSH_IJSG_SG_EEES6_PlJNSB_9not_fun_tI7is_evenIiEEEEEE10hipError_tPvRmT3_T4_T5_T6_T7_T9_mT8_P12ihipStream_tbDpT10_ENKUlT_T0_E_clISt17integral_constantIbLb1EES18_EEDaS13_S14_EUlS13_E_NS1_11comp_targetILNS1_3genE10ELNS1_11target_archE1200ELNS1_3gpuE4ELNS1_3repE0EEENS1_30default_config_static_selectorELNS0_4arch9wavefront6targetE0EEEvT1_,comdat
.Lfunc_end738:
	.size	_ZN7rocprim17ROCPRIM_400000_NS6detail17trampoline_kernelINS0_14default_configENS1_25partition_config_selectorILNS1_17partition_subalgoE6EiNS0_10empty_typeEbEEZZNS1_14partition_implILS5_6ELb0ES3_mN6thrust23THRUST_200600_302600_NS6detail15normal_iteratorINSA_10device_ptrIiEEEEPS6_SG_NS0_5tupleIJSF_S6_EEENSH_IJSG_SG_EEES6_PlJNSB_9not_fun_tI7is_evenIiEEEEEE10hipError_tPvRmT3_T4_T5_T6_T7_T9_mT8_P12ihipStream_tbDpT10_ENKUlT_T0_E_clISt17integral_constantIbLb1EES18_EEDaS13_S14_EUlS13_E_NS1_11comp_targetILNS1_3genE10ELNS1_11target_archE1200ELNS1_3gpuE4ELNS1_3repE0EEENS1_30default_config_static_selectorELNS0_4arch9wavefront6targetE0EEEvT1_, .Lfunc_end738-_ZN7rocprim17ROCPRIM_400000_NS6detail17trampoline_kernelINS0_14default_configENS1_25partition_config_selectorILNS1_17partition_subalgoE6EiNS0_10empty_typeEbEEZZNS1_14partition_implILS5_6ELb0ES3_mN6thrust23THRUST_200600_302600_NS6detail15normal_iteratorINSA_10device_ptrIiEEEEPS6_SG_NS0_5tupleIJSF_S6_EEENSH_IJSG_SG_EEES6_PlJNSB_9not_fun_tI7is_evenIiEEEEEE10hipError_tPvRmT3_T4_T5_T6_T7_T9_mT8_P12ihipStream_tbDpT10_ENKUlT_T0_E_clISt17integral_constantIbLb1EES18_EEDaS13_S14_EUlS13_E_NS1_11comp_targetILNS1_3genE10ELNS1_11target_archE1200ELNS1_3gpuE4ELNS1_3repE0EEENS1_30default_config_static_selectorELNS0_4arch9wavefront6targetE0EEEvT1_
                                        ; -- End function
	.set _ZN7rocprim17ROCPRIM_400000_NS6detail17trampoline_kernelINS0_14default_configENS1_25partition_config_selectorILNS1_17partition_subalgoE6EiNS0_10empty_typeEbEEZZNS1_14partition_implILS5_6ELb0ES3_mN6thrust23THRUST_200600_302600_NS6detail15normal_iteratorINSA_10device_ptrIiEEEEPS6_SG_NS0_5tupleIJSF_S6_EEENSH_IJSG_SG_EEES6_PlJNSB_9not_fun_tI7is_evenIiEEEEEE10hipError_tPvRmT3_T4_T5_T6_T7_T9_mT8_P12ihipStream_tbDpT10_ENKUlT_T0_E_clISt17integral_constantIbLb1EES18_EEDaS13_S14_EUlS13_E_NS1_11comp_targetILNS1_3genE10ELNS1_11target_archE1200ELNS1_3gpuE4ELNS1_3repE0EEENS1_30default_config_static_selectorELNS0_4arch9wavefront6targetE0EEEvT1_.num_vgpr, 0
	.set _ZN7rocprim17ROCPRIM_400000_NS6detail17trampoline_kernelINS0_14default_configENS1_25partition_config_selectorILNS1_17partition_subalgoE6EiNS0_10empty_typeEbEEZZNS1_14partition_implILS5_6ELb0ES3_mN6thrust23THRUST_200600_302600_NS6detail15normal_iteratorINSA_10device_ptrIiEEEEPS6_SG_NS0_5tupleIJSF_S6_EEENSH_IJSG_SG_EEES6_PlJNSB_9not_fun_tI7is_evenIiEEEEEE10hipError_tPvRmT3_T4_T5_T6_T7_T9_mT8_P12ihipStream_tbDpT10_ENKUlT_T0_E_clISt17integral_constantIbLb1EES18_EEDaS13_S14_EUlS13_E_NS1_11comp_targetILNS1_3genE10ELNS1_11target_archE1200ELNS1_3gpuE4ELNS1_3repE0EEENS1_30default_config_static_selectorELNS0_4arch9wavefront6targetE0EEEvT1_.num_agpr, 0
	.set _ZN7rocprim17ROCPRIM_400000_NS6detail17trampoline_kernelINS0_14default_configENS1_25partition_config_selectorILNS1_17partition_subalgoE6EiNS0_10empty_typeEbEEZZNS1_14partition_implILS5_6ELb0ES3_mN6thrust23THRUST_200600_302600_NS6detail15normal_iteratorINSA_10device_ptrIiEEEEPS6_SG_NS0_5tupleIJSF_S6_EEENSH_IJSG_SG_EEES6_PlJNSB_9not_fun_tI7is_evenIiEEEEEE10hipError_tPvRmT3_T4_T5_T6_T7_T9_mT8_P12ihipStream_tbDpT10_ENKUlT_T0_E_clISt17integral_constantIbLb1EES18_EEDaS13_S14_EUlS13_E_NS1_11comp_targetILNS1_3genE10ELNS1_11target_archE1200ELNS1_3gpuE4ELNS1_3repE0EEENS1_30default_config_static_selectorELNS0_4arch9wavefront6targetE0EEEvT1_.numbered_sgpr, 0
	.set _ZN7rocprim17ROCPRIM_400000_NS6detail17trampoline_kernelINS0_14default_configENS1_25partition_config_selectorILNS1_17partition_subalgoE6EiNS0_10empty_typeEbEEZZNS1_14partition_implILS5_6ELb0ES3_mN6thrust23THRUST_200600_302600_NS6detail15normal_iteratorINSA_10device_ptrIiEEEEPS6_SG_NS0_5tupleIJSF_S6_EEENSH_IJSG_SG_EEES6_PlJNSB_9not_fun_tI7is_evenIiEEEEEE10hipError_tPvRmT3_T4_T5_T6_T7_T9_mT8_P12ihipStream_tbDpT10_ENKUlT_T0_E_clISt17integral_constantIbLb1EES18_EEDaS13_S14_EUlS13_E_NS1_11comp_targetILNS1_3genE10ELNS1_11target_archE1200ELNS1_3gpuE4ELNS1_3repE0EEENS1_30default_config_static_selectorELNS0_4arch9wavefront6targetE0EEEvT1_.num_named_barrier, 0
	.set _ZN7rocprim17ROCPRIM_400000_NS6detail17trampoline_kernelINS0_14default_configENS1_25partition_config_selectorILNS1_17partition_subalgoE6EiNS0_10empty_typeEbEEZZNS1_14partition_implILS5_6ELb0ES3_mN6thrust23THRUST_200600_302600_NS6detail15normal_iteratorINSA_10device_ptrIiEEEEPS6_SG_NS0_5tupleIJSF_S6_EEENSH_IJSG_SG_EEES6_PlJNSB_9not_fun_tI7is_evenIiEEEEEE10hipError_tPvRmT3_T4_T5_T6_T7_T9_mT8_P12ihipStream_tbDpT10_ENKUlT_T0_E_clISt17integral_constantIbLb1EES18_EEDaS13_S14_EUlS13_E_NS1_11comp_targetILNS1_3genE10ELNS1_11target_archE1200ELNS1_3gpuE4ELNS1_3repE0EEENS1_30default_config_static_selectorELNS0_4arch9wavefront6targetE0EEEvT1_.private_seg_size, 0
	.set _ZN7rocprim17ROCPRIM_400000_NS6detail17trampoline_kernelINS0_14default_configENS1_25partition_config_selectorILNS1_17partition_subalgoE6EiNS0_10empty_typeEbEEZZNS1_14partition_implILS5_6ELb0ES3_mN6thrust23THRUST_200600_302600_NS6detail15normal_iteratorINSA_10device_ptrIiEEEEPS6_SG_NS0_5tupleIJSF_S6_EEENSH_IJSG_SG_EEES6_PlJNSB_9not_fun_tI7is_evenIiEEEEEE10hipError_tPvRmT3_T4_T5_T6_T7_T9_mT8_P12ihipStream_tbDpT10_ENKUlT_T0_E_clISt17integral_constantIbLb1EES18_EEDaS13_S14_EUlS13_E_NS1_11comp_targetILNS1_3genE10ELNS1_11target_archE1200ELNS1_3gpuE4ELNS1_3repE0EEENS1_30default_config_static_selectorELNS0_4arch9wavefront6targetE0EEEvT1_.uses_vcc, 0
	.set _ZN7rocprim17ROCPRIM_400000_NS6detail17trampoline_kernelINS0_14default_configENS1_25partition_config_selectorILNS1_17partition_subalgoE6EiNS0_10empty_typeEbEEZZNS1_14partition_implILS5_6ELb0ES3_mN6thrust23THRUST_200600_302600_NS6detail15normal_iteratorINSA_10device_ptrIiEEEEPS6_SG_NS0_5tupleIJSF_S6_EEENSH_IJSG_SG_EEES6_PlJNSB_9not_fun_tI7is_evenIiEEEEEE10hipError_tPvRmT3_T4_T5_T6_T7_T9_mT8_P12ihipStream_tbDpT10_ENKUlT_T0_E_clISt17integral_constantIbLb1EES18_EEDaS13_S14_EUlS13_E_NS1_11comp_targetILNS1_3genE10ELNS1_11target_archE1200ELNS1_3gpuE4ELNS1_3repE0EEENS1_30default_config_static_selectorELNS0_4arch9wavefront6targetE0EEEvT1_.uses_flat_scratch, 0
	.set _ZN7rocprim17ROCPRIM_400000_NS6detail17trampoline_kernelINS0_14default_configENS1_25partition_config_selectorILNS1_17partition_subalgoE6EiNS0_10empty_typeEbEEZZNS1_14partition_implILS5_6ELb0ES3_mN6thrust23THRUST_200600_302600_NS6detail15normal_iteratorINSA_10device_ptrIiEEEEPS6_SG_NS0_5tupleIJSF_S6_EEENSH_IJSG_SG_EEES6_PlJNSB_9not_fun_tI7is_evenIiEEEEEE10hipError_tPvRmT3_T4_T5_T6_T7_T9_mT8_P12ihipStream_tbDpT10_ENKUlT_T0_E_clISt17integral_constantIbLb1EES18_EEDaS13_S14_EUlS13_E_NS1_11comp_targetILNS1_3genE10ELNS1_11target_archE1200ELNS1_3gpuE4ELNS1_3repE0EEENS1_30default_config_static_selectorELNS0_4arch9wavefront6targetE0EEEvT1_.has_dyn_sized_stack, 0
	.set _ZN7rocprim17ROCPRIM_400000_NS6detail17trampoline_kernelINS0_14default_configENS1_25partition_config_selectorILNS1_17partition_subalgoE6EiNS0_10empty_typeEbEEZZNS1_14partition_implILS5_6ELb0ES3_mN6thrust23THRUST_200600_302600_NS6detail15normal_iteratorINSA_10device_ptrIiEEEEPS6_SG_NS0_5tupleIJSF_S6_EEENSH_IJSG_SG_EEES6_PlJNSB_9not_fun_tI7is_evenIiEEEEEE10hipError_tPvRmT3_T4_T5_T6_T7_T9_mT8_P12ihipStream_tbDpT10_ENKUlT_T0_E_clISt17integral_constantIbLb1EES18_EEDaS13_S14_EUlS13_E_NS1_11comp_targetILNS1_3genE10ELNS1_11target_archE1200ELNS1_3gpuE4ELNS1_3repE0EEENS1_30default_config_static_selectorELNS0_4arch9wavefront6targetE0EEEvT1_.has_recursion, 0
	.set _ZN7rocprim17ROCPRIM_400000_NS6detail17trampoline_kernelINS0_14default_configENS1_25partition_config_selectorILNS1_17partition_subalgoE6EiNS0_10empty_typeEbEEZZNS1_14partition_implILS5_6ELb0ES3_mN6thrust23THRUST_200600_302600_NS6detail15normal_iteratorINSA_10device_ptrIiEEEEPS6_SG_NS0_5tupleIJSF_S6_EEENSH_IJSG_SG_EEES6_PlJNSB_9not_fun_tI7is_evenIiEEEEEE10hipError_tPvRmT3_T4_T5_T6_T7_T9_mT8_P12ihipStream_tbDpT10_ENKUlT_T0_E_clISt17integral_constantIbLb1EES18_EEDaS13_S14_EUlS13_E_NS1_11comp_targetILNS1_3genE10ELNS1_11target_archE1200ELNS1_3gpuE4ELNS1_3repE0EEENS1_30default_config_static_selectorELNS0_4arch9wavefront6targetE0EEEvT1_.has_indirect_call, 0
	.section	.AMDGPU.csdata,"",@progbits
; Kernel info:
; codeLenInByte = 4
; TotalNumSgprs: 0
; NumVgprs: 0
; ScratchSize: 0
; MemoryBound: 0
; FloatMode: 240
; IeeeMode: 1
; LDSByteSize: 0 bytes/workgroup (compile time only)
; SGPRBlocks: 0
; VGPRBlocks: 0
; NumSGPRsForWavesPerEU: 1
; NumVGPRsForWavesPerEU: 1
; Occupancy: 16
; WaveLimiterHint : 0
; COMPUTE_PGM_RSRC2:SCRATCH_EN: 0
; COMPUTE_PGM_RSRC2:USER_SGPR: 2
; COMPUTE_PGM_RSRC2:TRAP_HANDLER: 0
; COMPUTE_PGM_RSRC2:TGID_X_EN: 1
; COMPUTE_PGM_RSRC2:TGID_Y_EN: 0
; COMPUTE_PGM_RSRC2:TGID_Z_EN: 0
; COMPUTE_PGM_RSRC2:TIDIG_COMP_CNT: 0
	.section	.text._ZN7rocprim17ROCPRIM_400000_NS6detail17trampoline_kernelINS0_14default_configENS1_25partition_config_selectorILNS1_17partition_subalgoE6EiNS0_10empty_typeEbEEZZNS1_14partition_implILS5_6ELb0ES3_mN6thrust23THRUST_200600_302600_NS6detail15normal_iteratorINSA_10device_ptrIiEEEEPS6_SG_NS0_5tupleIJSF_S6_EEENSH_IJSG_SG_EEES6_PlJNSB_9not_fun_tI7is_evenIiEEEEEE10hipError_tPvRmT3_T4_T5_T6_T7_T9_mT8_P12ihipStream_tbDpT10_ENKUlT_T0_E_clISt17integral_constantIbLb1EES18_EEDaS13_S14_EUlS13_E_NS1_11comp_targetILNS1_3genE9ELNS1_11target_archE1100ELNS1_3gpuE3ELNS1_3repE0EEENS1_30default_config_static_selectorELNS0_4arch9wavefront6targetE0EEEvT1_,"axG",@progbits,_ZN7rocprim17ROCPRIM_400000_NS6detail17trampoline_kernelINS0_14default_configENS1_25partition_config_selectorILNS1_17partition_subalgoE6EiNS0_10empty_typeEbEEZZNS1_14partition_implILS5_6ELb0ES3_mN6thrust23THRUST_200600_302600_NS6detail15normal_iteratorINSA_10device_ptrIiEEEEPS6_SG_NS0_5tupleIJSF_S6_EEENSH_IJSG_SG_EEES6_PlJNSB_9not_fun_tI7is_evenIiEEEEEE10hipError_tPvRmT3_T4_T5_T6_T7_T9_mT8_P12ihipStream_tbDpT10_ENKUlT_T0_E_clISt17integral_constantIbLb1EES18_EEDaS13_S14_EUlS13_E_NS1_11comp_targetILNS1_3genE9ELNS1_11target_archE1100ELNS1_3gpuE3ELNS1_3repE0EEENS1_30default_config_static_selectorELNS0_4arch9wavefront6targetE0EEEvT1_,comdat
	.protected	_ZN7rocprim17ROCPRIM_400000_NS6detail17trampoline_kernelINS0_14default_configENS1_25partition_config_selectorILNS1_17partition_subalgoE6EiNS0_10empty_typeEbEEZZNS1_14partition_implILS5_6ELb0ES3_mN6thrust23THRUST_200600_302600_NS6detail15normal_iteratorINSA_10device_ptrIiEEEEPS6_SG_NS0_5tupleIJSF_S6_EEENSH_IJSG_SG_EEES6_PlJNSB_9not_fun_tI7is_evenIiEEEEEE10hipError_tPvRmT3_T4_T5_T6_T7_T9_mT8_P12ihipStream_tbDpT10_ENKUlT_T0_E_clISt17integral_constantIbLb1EES18_EEDaS13_S14_EUlS13_E_NS1_11comp_targetILNS1_3genE9ELNS1_11target_archE1100ELNS1_3gpuE3ELNS1_3repE0EEENS1_30default_config_static_selectorELNS0_4arch9wavefront6targetE0EEEvT1_ ; -- Begin function _ZN7rocprim17ROCPRIM_400000_NS6detail17trampoline_kernelINS0_14default_configENS1_25partition_config_selectorILNS1_17partition_subalgoE6EiNS0_10empty_typeEbEEZZNS1_14partition_implILS5_6ELb0ES3_mN6thrust23THRUST_200600_302600_NS6detail15normal_iteratorINSA_10device_ptrIiEEEEPS6_SG_NS0_5tupleIJSF_S6_EEENSH_IJSG_SG_EEES6_PlJNSB_9not_fun_tI7is_evenIiEEEEEE10hipError_tPvRmT3_T4_T5_T6_T7_T9_mT8_P12ihipStream_tbDpT10_ENKUlT_T0_E_clISt17integral_constantIbLb1EES18_EEDaS13_S14_EUlS13_E_NS1_11comp_targetILNS1_3genE9ELNS1_11target_archE1100ELNS1_3gpuE3ELNS1_3repE0EEENS1_30default_config_static_selectorELNS0_4arch9wavefront6targetE0EEEvT1_
	.globl	_ZN7rocprim17ROCPRIM_400000_NS6detail17trampoline_kernelINS0_14default_configENS1_25partition_config_selectorILNS1_17partition_subalgoE6EiNS0_10empty_typeEbEEZZNS1_14partition_implILS5_6ELb0ES3_mN6thrust23THRUST_200600_302600_NS6detail15normal_iteratorINSA_10device_ptrIiEEEEPS6_SG_NS0_5tupleIJSF_S6_EEENSH_IJSG_SG_EEES6_PlJNSB_9not_fun_tI7is_evenIiEEEEEE10hipError_tPvRmT3_T4_T5_T6_T7_T9_mT8_P12ihipStream_tbDpT10_ENKUlT_T0_E_clISt17integral_constantIbLb1EES18_EEDaS13_S14_EUlS13_E_NS1_11comp_targetILNS1_3genE9ELNS1_11target_archE1100ELNS1_3gpuE3ELNS1_3repE0EEENS1_30default_config_static_selectorELNS0_4arch9wavefront6targetE0EEEvT1_
	.p2align	8
	.type	_ZN7rocprim17ROCPRIM_400000_NS6detail17trampoline_kernelINS0_14default_configENS1_25partition_config_selectorILNS1_17partition_subalgoE6EiNS0_10empty_typeEbEEZZNS1_14partition_implILS5_6ELb0ES3_mN6thrust23THRUST_200600_302600_NS6detail15normal_iteratorINSA_10device_ptrIiEEEEPS6_SG_NS0_5tupleIJSF_S6_EEENSH_IJSG_SG_EEES6_PlJNSB_9not_fun_tI7is_evenIiEEEEEE10hipError_tPvRmT3_T4_T5_T6_T7_T9_mT8_P12ihipStream_tbDpT10_ENKUlT_T0_E_clISt17integral_constantIbLb1EES18_EEDaS13_S14_EUlS13_E_NS1_11comp_targetILNS1_3genE9ELNS1_11target_archE1100ELNS1_3gpuE3ELNS1_3repE0EEENS1_30default_config_static_selectorELNS0_4arch9wavefront6targetE0EEEvT1_,@function
_ZN7rocprim17ROCPRIM_400000_NS6detail17trampoline_kernelINS0_14default_configENS1_25partition_config_selectorILNS1_17partition_subalgoE6EiNS0_10empty_typeEbEEZZNS1_14partition_implILS5_6ELb0ES3_mN6thrust23THRUST_200600_302600_NS6detail15normal_iteratorINSA_10device_ptrIiEEEEPS6_SG_NS0_5tupleIJSF_S6_EEENSH_IJSG_SG_EEES6_PlJNSB_9not_fun_tI7is_evenIiEEEEEE10hipError_tPvRmT3_T4_T5_T6_T7_T9_mT8_P12ihipStream_tbDpT10_ENKUlT_T0_E_clISt17integral_constantIbLb1EES18_EEDaS13_S14_EUlS13_E_NS1_11comp_targetILNS1_3genE9ELNS1_11target_archE1100ELNS1_3gpuE3ELNS1_3repE0EEENS1_30default_config_static_selectorELNS0_4arch9wavefront6targetE0EEEvT1_: ; @_ZN7rocprim17ROCPRIM_400000_NS6detail17trampoline_kernelINS0_14default_configENS1_25partition_config_selectorILNS1_17partition_subalgoE6EiNS0_10empty_typeEbEEZZNS1_14partition_implILS5_6ELb0ES3_mN6thrust23THRUST_200600_302600_NS6detail15normal_iteratorINSA_10device_ptrIiEEEEPS6_SG_NS0_5tupleIJSF_S6_EEENSH_IJSG_SG_EEES6_PlJNSB_9not_fun_tI7is_evenIiEEEEEE10hipError_tPvRmT3_T4_T5_T6_T7_T9_mT8_P12ihipStream_tbDpT10_ENKUlT_T0_E_clISt17integral_constantIbLb1EES18_EEDaS13_S14_EUlS13_E_NS1_11comp_targetILNS1_3genE9ELNS1_11target_archE1100ELNS1_3gpuE3ELNS1_3repE0EEENS1_30default_config_static_selectorELNS0_4arch9wavefront6targetE0EEEvT1_
; %bb.0:
	.section	.rodata,"a",@progbits
	.p2align	6, 0x0
	.amdhsa_kernel _ZN7rocprim17ROCPRIM_400000_NS6detail17trampoline_kernelINS0_14default_configENS1_25partition_config_selectorILNS1_17partition_subalgoE6EiNS0_10empty_typeEbEEZZNS1_14partition_implILS5_6ELb0ES3_mN6thrust23THRUST_200600_302600_NS6detail15normal_iteratorINSA_10device_ptrIiEEEEPS6_SG_NS0_5tupleIJSF_S6_EEENSH_IJSG_SG_EEES6_PlJNSB_9not_fun_tI7is_evenIiEEEEEE10hipError_tPvRmT3_T4_T5_T6_T7_T9_mT8_P12ihipStream_tbDpT10_ENKUlT_T0_E_clISt17integral_constantIbLb1EES18_EEDaS13_S14_EUlS13_E_NS1_11comp_targetILNS1_3genE9ELNS1_11target_archE1100ELNS1_3gpuE3ELNS1_3repE0EEENS1_30default_config_static_selectorELNS0_4arch9wavefront6targetE0EEEvT1_
		.amdhsa_group_segment_fixed_size 0
		.amdhsa_private_segment_fixed_size 0
		.amdhsa_kernarg_size 128
		.amdhsa_user_sgpr_count 2
		.amdhsa_user_sgpr_dispatch_ptr 0
		.amdhsa_user_sgpr_queue_ptr 0
		.amdhsa_user_sgpr_kernarg_segment_ptr 1
		.amdhsa_user_sgpr_dispatch_id 0
		.amdhsa_user_sgpr_private_segment_size 0
		.amdhsa_wavefront_size32 1
		.amdhsa_uses_dynamic_stack 0
		.amdhsa_enable_private_segment 0
		.amdhsa_system_sgpr_workgroup_id_x 1
		.amdhsa_system_sgpr_workgroup_id_y 0
		.amdhsa_system_sgpr_workgroup_id_z 0
		.amdhsa_system_sgpr_workgroup_info 0
		.amdhsa_system_vgpr_workitem_id 0
		.amdhsa_next_free_vgpr 1
		.amdhsa_next_free_sgpr 1
		.amdhsa_reserve_vcc 0
		.amdhsa_float_round_mode_32 0
		.amdhsa_float_round_mode_16_64 0
		.amdhsa_float_denorm_mode_32 3
		.amdhsa_float_denorm_mode_16_64 3
		.amdhsa_fp16_overflow 0
		.amdhsa_workgroup_processor_mode 1
		.amdhsa_memory_ordered 1
		.amdhsa_forward_progress 1
		.amdhsa_inst_pref_size 0
		.amdhsa_round_robin_scheduling 0
		.amdhsa_exception_fp_ieee_invalid_op 0
		.amdhsa_exception_fp_denorm_src 0
		.amdhsa_exception_fp_ieee_div_zero 0
		.amdhsa_exception_fp_ieee_overflow 0
		.amdhsa_exception_fp_ieee_underflow 0
		.amdhsa_exception_fp_ieee_inexact 0
		.amdhsa_exception_int_div_zero 0
	.end_amdhsa_kernel
	.section	.text._ZN7rocprim17ROCPRIM_400000_NS6detail17trampoline_kernelINS0_14default_configENS1_25partition_config_selectorILNS1_17partition_subalgoE6EiNS0_10empty_typeEbEEZZNS1_14partition_implILS5_6ELb0ES3_mN6thrust23THRUST_200600_302600_NS6detail15normal_iteratorINSA_10device_ptrIiEEEEPS6_SG_NS0_5tupleIJSF_S6_EEENSH_IJSG_SG_EEES6_PlJNSB_9not_fun_tI7is_evenIiEEEEEE10hipError_tPvRmT3_T4_T5_T6_T7_T9_mT8_P12ihipStream_tbDpT10_ENKUlT_T0_E_clISt17integral_constantIbLb1EES18_EEDaS13_S14_EUlS13_E_NS1_11comp_targetILNS1_3genE9ELNS1_11target_archE1100ELNS1_3gpuE3ELNS1_3repE0EEENS1_30default_config_static_selectorELNS0_4arch9wavefront6targetE0EEEvT1_,"axG",@progbits,_ZN7rocprim17ROCPRIM_400000_NS6detail17trampoline_kernelINS0_14default_configENS1_25partition_config_selectorILNS1_17partition_subalgoE6EiNS0_10empty_typeEbEEZZNS1_14partition_implILS5_6ELb0ES3_mN6thrust23THRUST_200600_302600_NS6detail15normal_iteratorINSA_10device_ptrIiEEEEPS6_SG_NS0_5tupleIJSF_S6_EEENSH_IJSG_SG_EEES6_PlJNSB_9not_fun_tI7is_evenIiEEEEEE10hipError_tPvRmT3_T4_T5_T6_T7_T9_mT8_P12ihipStream_tbDpT10_ENKUlT_T0_E_clISt17integral_constantIbLb1EES18_EEDaS13_S14_EUlS13_E_NS1_11comp_targetILNS1_3genE9ELNS1_11target_archE1100ELNS1_3gpuE3ELNS1_3repE0EEENS1_30default_config_static_selectorELNS0_4arch9wavefront6targetE0EEEvT1_,comdat
.Lfunc_end739:
	.size	_ZN7rocprim17ROCPRIM_400000_NS6detail17trampoline_kernelINS0_14default_configENS1_25partition_config_selectorILNS1_17partition_subalgoE6EiNS0_10empty_typeEbEEZZNS1_14partition_implILS5_6ELb0ES3_mN6thrust23THRUST_200600_302600_NS6detail15normal_iteratorINSA_10device_ptrIiEEEEPS6_SG_NS0_5tupleIJSF_S6_EEENSH_IJSG_SG_EEES6_PlJNSB_9not_fun_tI7is_evenIiEEEEEE10hipError_tPvRmT3_T4_T5_T6_T7_T9_mT8_P12ihipStream_tbDpT10_ENKUlT_T0_E_clISt17integral_constantIbLb1EES18_EEDaS13_S14_EUlS13_E_NS1_11comp_targetILNS1_3genE9ELNS1_11target_archE1100ELNS1_3gpuE3ELNS1_3repE0EEENS1_30default_config_static_selectorELNS0_4arch9wavefront6targetE0EEEvT1_, .Lfunc_end739-_ZN7rocprim17ROCPRIM_400000_NS6detail17trampoline_kernelINS0_14default_configENS1_25partition_config_selectorILNS1_17partition_subalgoE6EiNS0_10empty_typeEbEEZZNS1_14partition_implILS5_6ELb0ES3_mN6thrust23THRUST_200600_302600_NS6detail15normal_iteratorINSA_10device_ptrIiEEEEPS6_SG_NS0_5tupleIJSF_S6_EEENSH_IJSG_SG_EEES6_PlJNSB_9not_fun_tI7is_evenIiEEEEEE10hipError_tPvRmT3_T4_T5_T6_T7_T9_mT8_P12ihipStream_tbDpT10_ENKUlT_T0_E_clISt17integral_constantIbLb1EES18_EEDaS13_S14_EUlS13_E_NS1_11comp_targetILNS1_3genE9ELNS1_11target_archE1100ELNS1_3gpuE3ELNS1_3repE0EEENS1_30default_config_static_selectorELNS0_4arch9wavefront6targetE0EEEvT1_
                                        ; -- End function
	.set _ZN7rocprim17ROCPRIM_400000_NS6detail17trampoline_kernelINS0_14default_configENS1_25partition_config_selectorILNS1_17partition_subalgoE6EiNS0_10empty_typeEbEEZZNS1_14partition_implILS5_6ELb0ES3_mN6thrust23THRUST_200600_302600_NS6detail15normal_iteratorINSA_10device_ptrIiEEEEPS6_SG_NS0_5tupleIJSF_S6_EEENSH_IJSG_SG_EEES6_PlJNSB_9not_fun_tI7is_evenIiEEEEEE10hipError_tPvRmT3_T4_T5_T6_T7_T9_mT8_P12ihipStream_tbDpT10_ENKUlT_T0_E_clISt17integral_constantIbLb1EES18_EEDaS13_S14_EUlS13_E_NS1_11comp_targetILNS1_3genE9ELNS1_11target_archE1100ELNS1_3gpuE3ELNS1_3repE0EEENS1_30default_config_static_selectorELNS0_4arch9wavefront6targetE0EEEvT1_.num_vgpr, 0
	.set _ZN7rocprim17ROCPRIM_400000_NS6detail17trampoline_kernelINS0_14default_configENS1_25partition_config_selectorILNS1_17partition_subalgoE6EiNS0_10empty_typeEbEEZZNS1_14partition_implILS5_6ELb0ES3_mN6thrust23THRUST_200600_302600_NS6detail15normal_iteratorINSA_10device_ptrIiEEEEPS6_SG_NS0_5tupleIJSF_S6_EEENSH_IJSG_SG_EEES6_PlJNSB_9not_fun_tI7is_evenIiEEEEEE10hipError_tPvRmT3_T4_T5_T6_T7_T9_mT8_P12ihipStream_tbDpT10_ENKUlT_T0_E_clISt17integral_constantIbLb1EES18_EEDaS13_S14_EUlS13_E_NS1_11comp_targetILNS1_3genE9ELNS1_11target_archE1100ELNS1_3gpuE3ELNS1_3repE0EEENS1_30default_config_static_selectorELNS0_4arch9wavefront6targetE0EEEvT1_.num_agpr, 0
	.set _ZN7rocprim17ROCPRIM_400000_NS6detail17trampoline_kernelINS0_14default_configENS1_25partition_config_selectorILNS1_17partition_subalgoE6EiNS0_10empty_typeEbEEZZNS1_14partition_implILS5_6ELb0ES3_mN6thrust23THRUST_200600_302600_NS6detail15normal_iteratorINSA_10device_ptrIiEEEEPS6_SG_NS0_5tupleIJSF_S6_EEENSH_IJSG_SG_EEES6_PlJNSB_9not_fun_tI7is_evenIiEEEEEE10hipError_tPvRmT3_T4_T5_T6_T7_T9_mT8_P12ihipStream_tbDpT10_ENKUlT_T0_E_clISt17integral_constantIbLb1EES18_EEDaS13_S14_EUlS13_E_NS1_11comp_targetILNS1_3genE9ELNS1_11target_archE1100ELNS1_3gpuE3ELNS1_3repE0EEENS1_30default_config_static_selectorELNS0_4arch9wavefront6targetE0EEEvT1_.numbered_sgpr, 0
	.set _ZN7rocprim17ROCPRIM_400000_NS6detail17trampoline_kernelINS0_14default_configENS1_25partition_config_selectorILNS1_17partition_subalgoE6EiNS0_10empty_typeEbEEZZNS1_14partition_implILS5_6ELb0ES3_mN6thrust23THRUST_200600_302600_NS6detail15normal_iteratorINSA_10device_ptrIiEEEEPS6_SG_NS0_5tupleIJSF_S6_EEENSH_IJSG_SG_EEES6_PlJNSB_9not_fun_tI7is_evenIiEEEEEE10hipError_tPvRmT3_T4_T5_T6_T7_T9_mT8_P12ihipStream_tbDpT10_ENKUlT_T0_E_clISt17integral_constantIbLb1EES18_EEDaS13_S14_EUlS13_E_NS1_11comp_targetILNS1_3genE9ELNS1_11target_archE1100ELNS1_3gpuE3ELNS1_3repE0EEENS1_30default_config_static_selectorELNS0_4arch9wavefront6targetE0EEEvT1_.num_named_barrier, 0
	.set _ZN7rocprim17ROCPRIM_400000_NS6detail17trampoline_kernelINS0_14default_configENS1_25partition_config_selectorILNS1_17partition_subalgoE6EiNS0_10empty_typeEbEEZZNS1_14partition_implILS5_6ELb0ES3_mN6thrust23THRUST_200600_302600_NS6detail15normal_iteratorINSA_10device_ptrIiEEEEPS6_SG_NS0_5tupleIJSF_S6_EEENSH_IJSG_SG_EEES6_PlJNSB_9not_fun_tI7is_evenIiEEEEEE10hipError_tPvRmT3_T4_T5_T6_T7_T9_mT8_P12ihipStream_tbDpT10_ENKUlT_T0_E_clISt17integral_constantIbLb1EES18_EEDaS13_S14_EUlS13_E_NS1_11comp_targetILNS1_3genE9ELNS1_11target_archE1100ELNS1_3gpuE3ELNS1_3repE0EEENS1_30default_config_static_selectorELNS0_4arch9wavefront6targetE0EEEvT1_.private_seg_size, 0
	.set _ZN7rocprim17ROCPRIM_400000_NS6detail17trampoline_kernelINS0_14default_configENS1_25partition_config_selectorILNS1_17partition_subalgoE6EiNS0_10empty_typeEbEEZZNS1_14partition_implILS5_6ELb0ES3_mN6thrust23THRUST_200600_302600_NS6detail15normal_iteratorINSA_10device_ptrIiEEEEPS6_SG_NS0_5tupleIJSF_S6_EEENSH_IJSG_SG_EEES6_PlJNSB_9not_fun_tI7is_evenIiEEEEEE10hipError_tPvRmT3_T4_T5_T6_T7_T9_mT8_P12ihipStream_tbDpT10_ENKUlT_T0_E_clISt17integral_constantIbLb1EES18_EEDaS13_S14_EUlS13_E_NS1_11comp_targetILNS1_3genE9ELNS1_11target_archE1100ELNS1_3gpuE3ELNS1_3repE0EEENS1_30default_config_static_selectorELNS0_4arch9wavefront6targetE0EEEvT1_.uses_vcc, 0
	.set _ZN7rocprim17ROCPRIM_400000_NS6detail17trampoline_kernelINS0_14default_configENS1_25partition_config_selectorILNS1_17partition_subalgoE6EiNS0_10empty_typeEbEEZZNS1_14partition_implILS5_6ELb0ES3_mN6thrust23THRUST_200600_302600_NS6detail15normal_iteratorINSA_10device_ptrIiEEEEPS6_SG_NS0_5tupleIJSF_S6_EEENSH_IJSG_SG_EEES6_PlJNSB_9not_fun_tI7is_evenIiEEEEEE10hipError_tPvRmT3_T4_T5_T6_T7_T9_mT8_P12ihipStream_tbDpT10_ENKUlT_T0_E_clISt17integral_constantIbLb1EES18_EEDaS13_S14_EUlS13_E_NS1_11comp_targetILNS1_3genE9ELNS1_11target_archE1100ELNS1_3gpuE3ELNS1_3repE0EEENS1_30default_config_static_selectorELNS0_4arch9wavefront6targetE0EEEvT1_.uses_flat_scratch, 0
	.set _ZN7rocprim17ROCPRIM_400000_NS6detail17trampoline_kernelINS0_14default_configENS1_25partition_config_selectorILNS1_17partition_subalgoE6EiNS0_10empty_typeEbEEZZNS1_14partition_implILS5_6ELb0ES3_mN6thrust23THRUST_200600_302600_NS6detail15normal_iteratorINSA_10device_ptrIiEEEEPS6_SG_NS0_5tupleIJSF_S6_EEENSH_IJSG_SG_EEES6_PlJNSB_9not_fun_tI7is_evenIiEEEEEE10hipError_tPvRmT3_T4_T5_T6_T7_T9_mT8_P12ihipStream_tbDpT10_ENKUlT_T0_E_clISt17integral_constantIbLb1EES18_EEDaS13_S14_EUlS13_E_NS1_11comp_targetILNS1_3genE9ELNS1_11target_archE1100ELNS1_3gpuE3ELNS1_3repE0EEENS1_30default_config_static_selectorELNS0_4arch9wavefront6targetE0EEEvT1_.has_dyn_sized_stack, 0
	.set _ZN7rocprim17ROCPRIM_400000_NS6detail17trampoline_kernelINS0_14default_configENS1_25partition_config_selectorILNS1_17partition_subalgoE6EiNS0_10empty_typeEbEEZZNS1_14partition_implILS5_6ELb0ES3_mN6thrust23THRUST_200600_302600_NS6detail15normal_iteratorINSA_10device_ptrIiEEEEPS6_SG_NS0_5tupleIJSF_S6_EEENSH_IJSG_SG_EEES6_PlJNSB_9not_fun_tI7is_evenIiEEEEEE10hipError_tPvRmT3_T4_T5_T6_T7_T9_mT8_P12ihipStream_tbDpT10_ENKUlT_T0_E_clISt17integral_constantIbLb1EES18_EEDaS13_S14_EUlS13_E_NS1_11comp_targetILNS1_3genE9ELNS1_11target_archE1100ELNS1_3gpuE3ELNS1_3repE0EEENS1_30default_config_static_selectorELNS0_4arch9wavefront6targetE0EEEvT1_.has_recursion, 0
	.set _ZN7rocprim17ROCPRIM_400000_NS6detail17trampoline_kernelINS0_14default_configENS1_25partition_config_selectorILNS1_17partition_subalgoE6EiNS0_10empty_typeEbEEZZNS1_14partition_implILS5_6ELb0ES3_mN6thrust23THRUST_200600_302600_NS6detail15normal_iteratorINSA_10device_ptrIiEEEEPS6_SG_NS0_5tupleIJSF_S6_EEENSH_IJSG_SG_EEES6_PlJNSB_9not_fun_tI7is_evenIiEEEEEE10hipError_tPvRmT3_T4_T5_T6_T7_T9_mT8_P12ihipStream_tbDpT10_ENKUlT_T0_E_clISt17integral_constantIbLb1EES18_EEDaS13_S14_EUlS13_E_NS1_11comp_targetILNS1_3genE9ELNS1_11target_archE1100ELNS1_3gpuE3ELNS1_3repE0EEENS1_30default_config_static_selectorELNS0_4arch9wavefront6targetE0EEEvT1_.has_indirect_call, 0
	.section	.AMDGPU.csdata,"",@progbits
; Kernel info:
; codeLenInByte = 0
; TotalNumSgprs: 0
; NumVgprs: 0
; ScratchSize: 0
; MemoryBound: 0
; FloatMode: 240
; IeeeMode: 1
; LDSByteSize: 0 bytes/workgroup (compile time only)
; SGPRBlocks: 0
; VGPRBlocks: 0
; NumSGPRsForWavesPerEU: 1
; NumVGPRsForWavesPerEU: 1
; Occupancy: 16
; WaveLimiterHint : 0
; COMPUTE_PGM_RSRC2:SCRATCH_EN: 0
; COMPUTE_PGM_RSRC2:USER_SGPR: 2
; COMPUTE_PGM_RSRC2:TRAP_HANDLER: 0
; COMPUTE_PGM_RSRC2:TGID_X_EN: 1
; COMPUTE_PGM_RSRC2:TGID_Y_EN: 0
; COMPUTE_PGM_RSRC2:TGID_Z_EN: 0
; COMPUTE_PGM_RSRC2:TIDIG_COMP_CNT: 0
	.section	.text._ZN7rocprim17ROCPRIM_400000_NS6detail17trampoline_kernelINS0_14default_configENS1_25partition_config_selectorILNS1_17partition_subalgoE6EiNS0_10empty_typeEbEEZZNS1_14partition_implILS5_6ELb0ES3_mN6thrust23THRUST_200600_302600_NS6detail15normal_iteratorINSA_10device_ptrIiEEEEPS6_SG_NS0_5tupleIJSF_S6_EEENSH_IJSG_SG_EEES6_PlJNSB_9not_fun_tI7is_evenIiEEEEEE10hipError_tPvRmT3_T4_T5_T6_T7_T9_mT8_P12ihipStream_tbDpT10_ENKUlT_T0_E_clISt17integral_constantIbLb1EES18_EEDaS13_S14_EUlS13_E_NS1_11comp_targetILNS1_3genE8ELNS1_11target_archE1030ELNS1_3gpuE2ELNS1_3repE0EEENS1_30default_config_static_selectorELNS0_4arch9wavefront6targetE0EEEvT1_,"axG",@progbits,_ZN7rocprim17ROCPRIM_400000_NS6detail17trampoline_kernelINS0_14default_configENS1_25partition_config_selectorILNS1_17partition_subalgoE6EiNS0_10empty_typeEbEEZZNS1_14partition_implILS5_6ELb0ES3_mN6thrust23THRUST_200600_302600_NS6detail15normal_iteratorINSA_10device_ptrIiEEEEPS6_SG_NS0_5tupleIJSF_S6_EEENSH_IJSG_SG_EEES6_PlJNSB_9not_fun_tI7is_evenIiEEEEEE10hipError_tPvRmT3_T4_T5_T6_T7_T9_mT8_P12ihipStream_tbDpT10_ENKUlT_T0_E_clISt17integral_constantIbLb1EES18_EEDaS13_S14_EUlS13_E_NS1_11comp_targetILNS1_3genE8ELNS1_11target_archE1030ELNS1_3gpuE2ELNS1_3repE0EEENS1_30default_config_static_selectorELNS0_4arch9wavefront6targetE0EEEvT1_,comdat
	.protected	_ZN7rocprim17ROCPRIM_400000_NS6detail17trampoline_kernelINS0_14default_configENS1_25partition_config_selectorILNS1_17partition_subalgoE6EiNS0_10empty_typeEbEEZZNS1_14partition_implILS5_6ELb0ES3_mN6thrust23THRUST_200600_302600_NS6detail15normal_iteratorINSA_10device_ptrIiEEEEPS6_SG_NS0_5tupleIJSF_S6_EEENSH_IJSG_SG_EEES6_PlJNSB_9not_fun_tI7is_evenIiEEEEEE10hipError_tPvRmT3_T4_T5_T6_T7_T9_mT8_P12ihipStream_tbDpT10_ENKUlT_T0_E_clISt17integral_constantIbLb1EES18_EEDaS13_S14_EUlS13_E_NS1_11comp_targetILNS1_3genE8ELNS1_11target_archE1030ELNS1_3gpuE2ELNS1_3repE0EEENS1_30default_config_static_selectorELNS0_4arch9wavefront6targetE0EEEvT1_ ; -- Begin function _ZN7rocprim17ROCPRIM_400000_NS6detail17trampoline_kernelINS0_14default_configENS1_25partition_config_selectorILNS1_17partition_subalgoE6EiNS0_10empty_typeEbEEZZNS1_14partition_implILS5_6ELb0ES3_mN6thrust23THRUST_200600_302600_NS6detail15normal_iteratorINSA_10device_ptrIiEEEEPS6_SG_NS0_5tupleIJSF_S6_EEENSH_IJSG_SG_EEES6_PlJNSB_9not_fun_tI7is_evenIiEEEEEE10hipError_tPvRmT3_T4_T5_T6_T7_T9_mT8_P12ihipStream_tbDpT10_ENKUlT_T0_E_clISt17integral_constantIbLb1EES18_EEDaS13_S14_EUlS13_E_NS1_11comp_targetILNS1_3genE8ELNS1_11target_archE1030ELNS1_3gpuE2ELNS1_3repE0EEENS1_30default_config_static_selectorELNS0_4arch9wavefront6targetE0EEEvT1_
	.globl	_ZN7rocprim17ROCPRIM_400000_NS6detail17trampoline_kernelINS0_14default_configENS1_25partition_config_selectorILNS1_17partition_subalgoE6EiNS0_10empty_typeEbEEZZNS1_14partition_implILS5_6ELb0ES3_mN6thrust23THRUST_200600_302600_NS6detail15normal_iteratorINSA_10device_ptrIiEEEEPS6_SG_NS0_5tupleIJSF_S6_EEENSH_IJSG_SG_EEES6_PlJNSB_9not_fun_tI7is_evenIiEEEEEE10hipError_tPvRmT3_T4_T5_T6_T7_T9_mT8_P12ihipStream_tbDpT10_ENKUlT_T0_E_clISt17integral_constantIbLb1EES18_EEDaS13_S14_EUlS13_E_NS1_11comp_targetILNS1_3genE8ELNS1_11target_archE1030ELNS1_3gpuE2ELNS1_3repE0EEENS1_30default_config_static_selectorELNS0_4arch9wavefront6targetE0EEEvT1_
	.p2align	8
	.type	_ZN7rocprim17ROCPRIM_400000_NS6detail17trampoline_kernelINS0_14default_configENS1_25partition_config_selectorILNS1_17partition_subalgoE6EiNS0_10empty_typeEbEEZZNS1_14partition_implILS5_6ELb0ES3_mN6thrust23THRUST_200600_302600_NS6detail15normal_iteratorINSA_10device_ptrIiEEEEPS6_SG_NS0_5tupleIJSF_S6_EEENSH_IJSG_SG_EEES6_PlJNSB_9not_fun_tI7is_evenIiEEEEEE10hipError_tPvRmT3_T4_T5_T6_T7_T9_mT8_P12ihipStream_tbDpT10_ENKUlT_T0_E_clISt17integral_constantIbLb1EES18_EEDaS13_S14_EUlS13_E_NS1_11comp_targetILNS1_3genE8ELNS1_11target_archE1030ELNS1_3gpuE2ELNS1_3repE0EEENS1_30default_config_static_selectorELNS0_4arch9wavefront6targetE0EEEvT1_,@function
_ZN7rocprim17ROCPRIM_400000_NS6detail17trampoline_kernelINS0_14default_configENS1_25partition_config_selectorILNS1_17partition_subalgoE6EiNS0_10empty_typeEbEEZZNS1_14partition_implILS5_6ELb0ES3_mN6thrust23THRUST_200600_302600_NS6detail15normal_iteratorINSA_10device_ptrIiEEEEPS6_SG_NS0_5tupleIJSF_S6_EEENSH_IJSG_SG_EEES6_PlJNSB_9not_fun_tI7is_evenIiEEEEEE10hipError_tPvRmT3_T4_T5_T6_T7_T9_mT8_P12ihipStream_tbDpT10_ENKUlT_T0_E_clISt17integral_constantIbLb1EES18_EEDaS13_S14_EUlS13_E_NS1_11comp_targetILNS1_3genE8ELNS1_11target_archE1030ELNS1_3gpuE2ELNS1_3repE0EEENS1_30default_config_static_selectorELNS0_4arch9wavefront6targetE0EEEvT1_: ; @_ZN7rocprim17ROCPRIM_400000_NS6detail17trampoline_kernelINS0_14default_configENS1_25partition_config_selectorILNS1_17partition_subalgoE6EiNS0_10empty_typeEbEEZZNS1_14partition_implILS5_6ELb0ES3_mN6thrust23THRUST_200600_302600_NS6detail15normal_iteratorINSA_10device_ptrIiEEEEPS6_SG_NS0_5tupleIJSF_S6_EEENSH_IJSG_SG_EEES6_PlJNSB_9not_fun_tI7is_evenIiEEEEEE10hipError_tPvRmT3_T4_T5_T6_T7_T9_mT8_P12ihipStream_tbDpT10_ENKUlT_T0_E_clISt17integral_constantIbLb1EES18_EEDaS13_S14_EUlS13_E_NS1_11comp_targetILNS1_3genE8ELNS1_11target_archE1030ELNS1_3gpuE2ELNS1_3repE0EEENS1_30default_config_static_selectorELNS0_4arch9wavefront6targetE0EEEvT1_
; %bb.0:
	.section	.rodata,"a",@progbits
	.p2align	6, 0x0
	.amdhsa_kernel _ZN7rocprim17ROCPRIM_400000_NS6detail17trampoline_kernelINS0_14default_configENS1_25partition_config_selectorILNS1_17partition_subalgoE6EiNS0_10empty_typeEbEEZZNS1_14partition_implILS5_6ELb0ES3_mN6thrust23THRUST_200600_302600_NS6detail15normal_iteratorINSA_10device_ptrIiEEEEPS6_SG_NS0_5tupleIJSF_S6_EEENSH_IJSG_SG_EEES6_PlJNSB_9not_fun_tI7is_evenIiEEEEEE10hipError_tPvRmT3_T4_T5_T6_T7_T9_mT8_P12ihipStream_tbDpT10_ENKUlT_T0_E_clISt17integral_constantIbLb1EES18_EEDaS13_S14_EUlS13_E_NS1_11comp_targetILNS1_3genE8ELNS1_11target_archE1030ELNS1_3gpuE2ELNS1_3repE0EEENS1_30default_config_static_selectorELNS0_4arch9wavefront6targetE0EEEvT1_
		.amdhsa_group_segment_fixed_size 0
		.amdhsa_private_segment_fixed_size 0
		.amdhsa_kernarg_size 128
		.amdhsa_user_sgpr_count 2
		.amdhsa_user_sgpr_dispatch_ptr 0
		.amdhsa_user_sgpr_queue_ptr 0
		.amdhsa_user_sgpr_kernarg_segment_ptr 1
		.amdhsa_user_sgpr_dispatch_id 0
		.amdhsa_user_sgpr_private_segment_size 0
		.amdhsa_wavefront_size32 1
		.amdhsa_uses_dynamic_stack 0
		.amdhsa_enable_private_segment 0
		.amdhsa_system_sgpr_workgroup_id_x 1
		.amdhsa_system_sgpr_workgroup_id_y 0
		.amdhsa_system_sgpr_workgroup_id_z 0
		.amdhsa_system_sgpr_workgroup_info 0
		.amdhsa_system_vgpr_workitem_id 0
		.amdhsa_next_free_vgpr 1
		.amdhsa_next_free_sgpr 1
		.amdhsa_reserve_vcc 0
		.amdhsa_float_round_mode_32 0
		.amdhsa_float_round_mode_16_64 0
		.amdhsa_float_denorm_mode_32 3
		.amdhsa_float_denorm_mode_16_64 3
		.amdhsa_fp16_overflow 0
		.amdhsa_workgroup_processor_mode 1
		.amdhsa_memory_ordered 1
		.amdhsa_forward_progress 1
		.amdhsa_inst_pref_size 0
		.amdhsa_round_robin_scheduling 0
		.amdhsa_exception_fp_ieee_invalid_op 0
		.amdhsa_exception_fp_denorm_src 0
		.amdhsa_exception_fp_ieee_div_zero 0
		.amdhsa_exception_fp_ieee_overflow 0
		.amdhsa_exception_fp_ieee_underflow 0
		.amdhsa_exception_fp_ieee_inexact 0
		.amdhsa_exception_int_div_zero 0
	.end_amdhsa_kernel
	.section	.text._ZN7rocprim17ROCPRIM_400000_NS6detail17trampoline_kernelINS0_14default_configENS1_25partition_config_selectorILNS1_17partition_subalgoE6EiNS0_10empty_typeEbEEZZNS1_14partition_implILS5_6ELb0ES3_mN6thrust23THRUST_200600_302600_NS6detail15normal_iteratorINSA_10device_ptrIiEEEEPS6_SG_NS0_5tupleIJSF_S6_EEENSH_IJSG_SG_EEES6_PlJNSB_9not_fun_tI7is_evenIiEEEEEE10hipError_tPvRmT3_T4_T5_T6_T7_T9_mT8_P12ihipStream_tbDpT10_ENKUlT_T0_E_clISt17integral_constantIbLb1EES18_EEDaS13_S14_EUlS13_E_NS1_11comp_targetILNS1_3genE8ELNS1_11target_archE1030ELNS1_3gpuE2ELNS1_3repE0EEENS1_30default_config_static_selectorELNS0_4arch9wavefront6targetE0EEEvT1_,"axG",@progbits,_ZN7rocprim17ROCPRIM_400000_NS6detail17trampoline_kernelINS0_14default_configENS1_25partition_config_selectorILNS1_17partition_subalgoE6EiNS0_10empty_typeEbEEZZNS1_14partition_implILS5_6ELb0ES3_mN6thrust23THRUST_200600_302600_NS6detail15normal_iteratorINSA_10device_ptrIiEEEEPS6_SG_NS0_5tupleIJSF_S6_EEENSH_IJSG_SG_EEES6_PlJNSB_9not_fun_tI7is_evenIiEEEEEE10hipError_tPvRmT3_T4_T5_T6_T7_T9_mT8_P12ihipStream_tbDpT10_ENKUlT_T0_E_clISt17integral_constantIbLb1EES18_EEDaS13_S14_EUlS13_E_NS1_11comp_targetILNS1_3genE8ELNS1_11target_archE1030ELNS1_3gpuE2ELNS1_3repE0EEENS1_30default_config_static_selectorELNS0_4arch9wavefront6targetE0EEEvT1_,comdat
.Lfunc_end740:
	.size	_ZN7rocprim17ROCPRIM_400000_NS6detail17trampoline_kernelINS0_14default_configENS1_25partition_config_selectorILNS1_17partition_subalgoE6EiNS0_10empty_typeEbEEZZNS1_14partition_implILS5_6ELb0ES3_mN6thrust23THRUST_200600_302600_NS6detail15normal_iteratorINSA_10device_ptrIiEEEEPS6_SG_NS0_5tupleIJSF_S6_EEENSH_IJSG_SG_EEES6_PlJNSB_9not_fun_tI7is_evenIiEEEEEE10hipError_tPvRmT3_T4_T5_T6_T7_T9_mT8_P12ihipStream_tbDpT10_ENKUlT_T0_E_clISt17integral_constantIbLb1EES18_EEDaS13_S14_EUlS13_E_NS1_11comp_targetILNS1_3genE8ELNS1_11target_archE1030ELNS1_3gpuE2ELNS1_3repE0EEENS1_30default_config_static_selectorELNS0_4arch9wavefront6targetE0EEEvT1_, .Lfunc_end740-_ZN7rocprim17ROCPRIM_400000_NS6detail17trampoline_kernelINS0_14default_configENS1_25partition_config_selectorILNS1_17partition_subalgoE6EiNS0_10empty_typeEbEEZZNS1_14partition_implILS5_6ELb0ES3_mN6thrust23THRUST_200600_302600_NS6detail15normal_iteratorINSA_10device_ptrIiEEEEPS6_SG_NS0_5tupleIJSF_S6_EEENSH_IJSG_SG_EEES6_PlJNSB_9not_fun_tI7is_evenIiEEEEEE10hipError_tPvRmT3_T4_T5_T6_T7_T9_mT8_P12ihipStream_tbDpT10_ENKUlT_T0_E_clISt17integral_constantIbLb1EES18_EEDaS13_S14_EUlS13_E_NS1_11comp_targetILNS1_3genE8ELNS1_11target_archE1030ELNS1_3gpuE2ELNS1_3repE0EEENS1_30default_config_static_selectorELNS0_4arch9wavefront6targetE0EEEvT1_
                                        ; -- End function
	.set _ZN7rocprim17ROCPRIM_400000_NS6detail17trampoline_kernelINS0_14default_configENS1_25partition_config_selectorILNS1_17partition_subalgoE6EiNS0_10empty_typeEbEEZZNS1_14partition_implILS5_6ELb0ES3_mN6thrust23THRUST_200600_302600_NS6detail15normal_iteratorINSA_10device_ptrIiEEEEPS6_SG_NS0_5tupleIJSF_S6_EEENSH_IJSG_SG_EEES6_PlJNSB_9not_fun_tI7is_evenIiEEEEEE10hipError_tPvRmT3_T4_T5_T6_T7_T9_mT8_P12ihipStream_tbDpT10_ENKUlT_T0_E_clISt17integral_constantIbLb1EES18_EEDaS13_S14_EUlS13_E_NS1_11comp_targetILNS1_3genE8ELNS1_11target_archE1030ELNS1_3gpuE2ELNS1_3repE0EEENS1_30default_config_static_selectorELNS0_4arch9wavefront6targetE0EEEvT1_.num_vgpr, 0
	.set _ZN7rocprim17ROCPRIM_400000_NS6detail17trampoline_kernelINS0_14default_configENS1_25partition_config_selectorILNS1_17partition_subalgoE6EiNS0_10empty_typeEbEEZZNS1_14partition_implILS5_6ELb0ES3_mN6thrust23THRUST_200600_302600_NS6detail15normal_iteratorINSA_10device_ptrIiEEEEPS6_SG_NS0_5tupleIJSF_S6_EEENSH_IJSG_SG_EEES6_PlJNSB_9not_fun_tI7is_evenIiEEEEEE10hipError_tPvRmT3_T4_T5_T6_T7_T9_mT8_P12ihipStream_tbDpT10_ENKUlT_T0_E_clISt17integral_constantIbLb1EES18_EEDaS13_S14_EUlS13_E_NS1_11comp_targetILNS1_3genE8ELNS1_11target_archE1030ELNS1_3gpuE2ELNS1_3repE0EEENS1_30default_config_static_selectorELNS0_4arch9wavefront6targetE0EEEvT1_.num_agpr, 0
	.set _ZN7rocprim17ROCPRIM_400000_NS6detail17trampoline_kernelINS0_14default_configENS1_25partition_config_selectorILNS1_17partition_subalgoE6EiNS0_10empty_typeEbEEZZNS1_14partition_implILS5_6ELb0ES3_mN6thrust23THRUST_200600_302600_NS6detail15normal_iteratorINSA_10device_ptrIiEEEEPS6_SG_NS0_5tupleIJSF_S6_EEENSH_IJSG_SG_EEES6_PlJNSB_9not_fun_tI7is_evenIiEEEEEE10hipError_tPvRmT3_T4_T5_T6_T7_T9_mT8_P12ihipStream_tbDpT10_ENKUlT_T0_E_clISt17integral_constantIbLb1EES18_EEDaS13_S14_EUlS13_E_NS1_11comp_targetILNS1_3genE8ELNS1_11target_archE1030ELNS1_3gpuE2ELNS1_3repE0EEENS1_30default_config_static_selectorELNS0_4arch9wavefront6targetE0EEEvT1_.numbered_sgpr, 0
	.set _ZN7rocprim17ROCPRIM_400000_NS6detail17trampoline_kernelINS0_14default_configENS1_25partition_config_selectorILNS1_17partition_subalgoE6EiNS0_10empty_typeEbEEZZNS1_14partition_implILS5_6ELb0ES3_mN6thrust23THRUST_200600_302600_NS6detail15normal_iteratorINSA_10device_ptrIiEEEEPS6_SG_NS0_5tupleIJSF_S6_EEENSH_IJSG_SG_EEES6_PlJNSB_9not_fun_tI7is_evenIiEEEEEE10hipError_tPvRmT3_T4_T5_T6_T7_T9_mT8_P12ihipStream_tbDpT10_ENKUlT_T0_E_clISt17integral_constantIbLb1EES18_EEDaS13_S14_EUlS13_E_NS1_11comp_targetILNS1_3genE8ELNS1_11target_archE1030ELNS1_3gpuE2ELNS1_3repE0EEENS1_30default_config_static_selectorELNS0_4arch9wavefront6targetE0EEEvT1_.num_named_barrier, 0
	.set _ZN7rocprim17ROCPRIM_400000_NS6detail17trampoline_kernelINS0_14default_configENS1_25partition_config_selectorILNS1_17partition_subalgoE6EiNS0_10empty_typeEbEEZZNS1_14partition_implILS5_6ELb0ES3_mN6thrust23THRUST_200600_302600_NS6detail15normal_iteratorINSA_10device_ptrIiEEEEPS6_SG_NS0_5tupleIJSF_S6_EEENSH_IJSG_SG_EEES6_PlJNSB_9not_fun_tI7is_evenIiEEEEEE10hipError_tPvRmT3_T4_T5_T6_T7_T9_mT8_P12ihipStream_tbDpT10_ENKUlT_T0_E_clISt17integral_constantIbLb1EES18_EEDaS13_S14_EUlS13_E_NS1_11comp_targetILNS1_3genE8ELNS1_11target_archE1030ELNS1_3gpuE2ELNS1_3repE0EEENS1_30default_config_static_selectorELNS0_4arch9wavefront6targetE0EEEvT1_.private_seg_size, 0
	.set _ZN7rocprim17ROCPRIM_400000_NS6detail17trampoline_kernelINS0_14default_configENS1_25partition_config_selectorILNS1_17partition_subalgoE6EiNS0_10empty_typeEbEEZZNS1_14partition_implILS5_6ELb0ES3_mN6thrust23THRUST_200600_302600_NS6detail15normal_iteratorINSA_10device_ptrIiEEEEPS6_SG_NS0_5tupleIJSF_S6_EEENSH_IJSG_SG_EEES6_PlJNSB_9not_fun_tI7is_evenIiEEEEEE10hipError_tPvRmT3_T4_T5_T6_T7_T9_mT8_P12ihipStream_tbDpT10_ENKUlT_T0_E_clISt17integral_constantIbLb1EES18_EEDaS13_S14_EUlS13_E_NS1_11comp_targetILNS1_3genE8ELNS1_11target_archE1030ELNS1_3gpuE2ELNS1_3repE0EEENS1_30default_config_static_selectorELNS0_4arch9wavefront6targetE0EEEvT1_.uses_vcc, 0
	.set _ZN7rocprim17ROCPRIM_400000_NS6detail17trampoline_kernelINS0_14default_configENS1_25partition_config_selectorILNS1_17partition_subalgoE6EiNS0_10empty_typeEbEEZZNS1_14partition_implILS5_6ELb0ES3_mN6thrust23THRUST_200600_302600_NS6detail15normal_iteratorINSA_10device_ptrIiEEEEPS6_SG_NS0_5tupleIJSF_S6_EEENSH_IJSG_SG_EEES6_PlJNSB_9not_fun_tI7is_evenIiEEEEEE10hipError_tPvRmT3_T4_T5_T6_T7_T9_mT8_P12ihipStream_tbDpT10_ENKUlT_T0_E_clISt17integral_constantIbLb1EES18_EEDaS13_S14_EUlS13_E_NS1_11comp_targetILNS1_3genE8ELNS1_11target_archE1030ELNS1_3gpuE2ELNS1_3repE0EEENS1_30default_config_static_selectorELNS0_4arch9wavefront6targetE0EEEvT1_.uses_flat_scratch, 0
	.set _ZN7rocprim17ROCPRIM_400000_NS6detail17trampoline_kernelINS0_14default_configENS1_25partition_config_selectorILNS1_17partition_subalgoE6EiNS0_10empty_typeEbEEZZNS1_14partition_implILS5_6ELb0ES3_mN6thrust23THRUST_200600_302600_NS6detail15normal_iteratorINSA_10device_ptrIiEEEEPS6_SG_NS0_5tupleIJSF_S6_EEENSH_IJSG_SG_EEES6_PlJNSB_9not_fun_tI7is_evenIiEEEEEE10hipError_tPvRmT3_T4_T5_T6_T7_T9_mT8_P12ihipStream_tbDpT10_ENKUlT_T0_E_clISt17integral_constantIbLb1EES18_EEDaS13_S14_EUlS13_E_NS1_11comp_targetILNS1_3genE8ELNS1_11target_archE1030ELNS1_3gpuE2ELNS1_3repE0EEENS1_30default_config_static_selectorELNS0_4arch9wavefront6targetE0EEEvT1_.has_dyn_sized_stack, 0
	.set _ZN7rocprim17ROCPRIM_400000_NS6detail17trampoline_kernelINS0_14default_configENS1_25partition_config_selectorILNS1_17partition_subalgoE6EiNS0_10empty_typeEbEEZZNS1_14partition_implILS5_6ELb0ES3_mN6thrust23THRUST_200600_302600_NS6detail15normal_iteratorINSA_10device_ptrIiEEEEPS6_SG_NS0_5tupleIJSF_S6_EEENSH_IJSG_SG_EEES6_PlJNSB_9not_fun_tI7is_evenIiEEEEEE10hipError_tPvRmT3_T4_T5_T6_T7_T9_mT8_P12ihipStream_tbDpT10_ENKUlT_T0_E_clISt17integral_constantIbLb1EES18_EEDaS13_S14_EUlS13_E_NS1_11comp_targetILNS1_3genE8ELNS1_11target_archE1030ELNS1_3gpuE2ELNS1_3repE0EEENS1_30default_config_static_selectorELNS0_4arch9wavefront6targetE0EEEvT1_.has_recursion, 0
	.set _ZN7rocprim17ROCPRIM_400000_NS6detail17trampoline_kernelINS0_14default_configENS1_25partition_config_selectorILNS1_17partition_subalgoE6EiNS0_10empty_typeEbEEZZNS1_14partition_implILS5_6ELb0ES3_mN6thrust23THRUST_200600_302600_NS6detail15normal_iteratorINSA_10device_ptrIiEEEEPS6_SG_NS0_5tupleIJSF_S6_EEENSH_IJSG_SG_EEES6_PlJNSB_9not_fun_tI7is_evenIiEEEEEE10hipError_tPvRmT3_T4_T5_T6_T7_T9_mT8_P12ihipStream_tbDpT10_ENKUlT_T0_E_clISt17integral_constantIbLb1EES18_EEDaS13_S14_EUlS13_E_NS1_11comp_targetILNS1_3genE8ELNS1_11target_archE1030ELNS1_3gpuE2ELNS1_3repE0EEENS1_30default_config_static_selectorELNS0_4arch9wavefront6targetE0EEEvT1_.has_indirect_call, 0
	.section	.AMDGPU.csdata,"",@progbits
; Kernel info:
; codeLenInByte = 0
; TotalNumSgprs: 0
; NumVgprs: 0
; ScratchSize: 0
; MemoryBound: 0
; FloatMode: 240
; IeeeMode: 1
; LDSByteSize: 0 bytes/workgroup (compile time only)
; SGPRBlocks: 0
; VGPRBlocks: 0
; NumSGPRsForWavesPerEU: 1
; NumVGPRsForWavesPerEU: 1
; Occupancy: 16
; WaveLimiterHint : 0
; COMPUTE_PGM_RSRC2:SCRATCH_EN: 0
; COMPUTE_PGM_RSRC2:USER_SGPR: 2
; COMPUTE_PGM_RSRC2:TRAP_HANDLER: 0
; COMPUTE_PGM_RSRC2:TGID_X_EN: 1
; COMPUTE_PGM_RSRC2:TGID_Y_EN: 0
; COMPUTE_PGM_RSRC2:TGID_Z_EN: 0
; COMPUTE_PGM_RSRC2:TIDIG_COMP_CNT: 0
	.section	.text._ZN7rocprim17ROCPRIM_400000_NS6detail17trampoline_kernelINS0_14default_configENS1_25partition_config_selectorILNS1_17partition_subalgoE6EiNS0_10empty_typeEbEEZZNS1_14partition_implILS5_6ELb0ES3_mN6thrust23THRUST_200600_302600_NS6detail15normal_iteratorINSA_10device_ptrIiEEEEPS6_SG_NS0_5tupleIJSF_S6_EEENSH_IJSG_SG_EEES6_PlJNSB_9not_fun_tI7is_evenIiEEEEEE10hipError_tPvRmT3_T4_T5_T6_T7_T9_mT8_P12ihipStream_tbDpT10_ENKUlT_T0_E_clISt17integral_constantIbLb1EES17_IbLb0EEEEDaS13_S14_EUlS13_E_NS1_11comp_targetILNS1_3genE0ELNS1_11target_archE4294967295ELNS1_3gpuE0ELNS1_3repE0EEENS1_30default_config_static_selectorELNS0_4arch9wavefront6targetE0EEEvT1_,"axG",@progbits,_ZN7rocprim17ROCPRIM_400000_NS6detail17trampoline_kernelINS0_14default_configENS1_25partition_config_selectorILNS1_17partition_subalgoE6EiNS0_10empty_typeEbEEZZNS1_14partition_implILS5_6ELb0ES3_mN6thrust23THRUST_200600_302600_NS6detail15normal_iteratorINSA_10device_ptrIiEEEEPS6_SG_NS0_5tupleIJSF_S6_EEENSH_IJSG_SG_EEES6_PlJNSB_9not_fun_tI7is_evenIiEEEEEE10hipError_tPvRmT3_T4_T5_T6_T7_T9_mT8_P12ihipStream_tbDpT10_ENKUlT_T0_E_clISt17integral_constantIbLb1EES17_IbLb0EEEEDaS13_S14_EUlS13_E_NS1_11comp_targetILNS1_3genE0ELNS1_11target_archE4294967295ELNS1_3gpuE0ELNS1_3repE0EEENS1_30default_config_static_selectorELNS0_4arch9wavefront6targetE0EEEvT1_,comdat
	.protected	_ZN7rocprim17ROCPRIM_400000_NS6detail17trampoline_kernelINS0_14default_configENS1_25partition_config_selectorILNS1_17partition_subalgoE6EiNS0_10empty_typeEbEEZZNS1_14partition_implILS5_6ELb0ES3_mN6thrust23THRUST_200600_302600_NS6detail15normal_iteratorINSA_10device_ptrIiEEEEPS6_SG_NS0_5tupleIJSF_S6_EEENSH_IJSG_SG_EEES6_PlJNSB_9not_fun_tI7is_evenIiEEEEEE10hipError_tPvRmT3_T4_T5_T6_T7_T9_mT8_P12ihipStream_tbDpT10_ENKUlT_T0_E_clISt17integral_constantIbLb1EES17_IbLb0EEEEDaS13_S14_EUlS13_E_NS1_11comp_targetILNS1_3genE0ELNS1_11target_archE4294967295ELNS1_3gpuE0ELNS1_3repE0EEENS1_30default_config_static_selectorELNS0_4arch9wavefront6targetE0EEEvT1_ ; -- Begin function _ZN7rocprim17ROCPRIM_400000_NS6detail17trampoline_kernelINS0_14default_configENS1_25partition_config_selectorILNS1_17partition_subalgoE6EiNS0_10empty_typeEbEEZZNS1_14partition_implILS5_6ELb0ES3_mN6thrust23THRUST_200600_302600_NS6detail15normal_iteratorINSA_10device_ptrIiEEEEPS6_SG_NS0_5tupleIJSF_S6_EEENSH_IJSG_SG_EEES6_PlJNSB_9not_fun_tI7is_evenIiEEEEEE10hipError_tPvRmT3_T4_T5_T6_T7_T9_mT8_P12ihipStream_tbDpT10_ENKUlT_T0_E_clISt17integral_constantIbLb1EES17_IbLb0EEEEDaS13_S14_EUlS13_E_NS1_11comp_targetILNS1_3genE0ELNS1_11target_archE4294967295ELNS1_3gpuE0ELNS1_3repE0EEENS1_30default_config_static_selectorELNS0_4arch9wavefront6targetE0EEEvT1_
	.globl	_ZN7rocprim17ROCPRIM_400000_NS6detail17trampoline_kernelINS0_14default_configENS1_25partition_config_selectorILNS1_17partition_subalgoE6EiNS0_10empty_typeEbEEZZNS1_14partition_implILS5_6ELb0ES3_mN6thrust23THRUST_200600_302600_NS6detail15normal_iteratorINSA_10device_ptrIiEEEEPS6_SG_NS0_5tupleIJSF_S6_EEENSH_IJSG_SG_EEES6_PlJNSB_9not_fun_tI7is_evenIiEEEEEE10hipError_tPvRmT3_T4_T5_T6_T7_T9_mT8_P12ihipStream_tbDpT10_ENKUlT_T0_E_clISt17integral_constantIbLb1EES17_IbLb0EEEEDaS13_S14_EUlS13_E_NS1_11comp_targetILNS1_3genE0ELNS1_11target_archE4294967295ELNS1_3gpuE0ELNS1_3repE0EEENS1_30default_config_static_selectorELNS0_4arch9wavefront6targetE0EEEvT1_
	.p2align	8
	.type	_ZN7rocprim17ROCPRIM_400000_NS6detail17trampoline_kernelINS0_14default_configENS1_25partition_config_selectorILNS1_17partition_subalgoE6EiNS0_10empty_typeEbEEZZNS1_14partition_implILS5_6ELb0ES3_mN6thrust23THRUST_200600_302600_NS6detail15normal_iteratorINSA_10device_ptrIiEEEEPS6_SG_NS0_5tupleIJSF_S6_EEENSH_IJSG_SG_EEES6_PlJNSB_9not_fun_tI7is_evenIiEEEEEE10hipError_tPvRmT3_T4_T5_T6_T7_T9_mT8_P12ihipStream_tbDpT10_ENKUlT_T0_E_clISt17integral_constantIbLb1EES17_IbLb0EEEEDaS13_S14_EUlS13_E_NS1_11comp_targetILNS1_3genE0ELNS1_11target_archE4294967295ELNS1_3gpuE0ELNS1_3repE0EEENS1_30default_config_static_selectorELNS0_4arch9wavefront6targetE0EEEvT1_,@function
_ZN7rocprim17ROCPRIM_400000_NS6detail17trampoline_kernelINS0_14default_configENS1_25partition_config_selectorILNS1_17partition_subalgoE6EiNS0_10empty_typeEbEEZZNS1_14partition_implILS5_6ELb0ES3_mN6thrust23THRUST_200600_302600_NS6detail15normal_iteratorINSA_10device_ptrIiEEEEPS6_SG_NS0_5tupleIJSF_S6_EEENSH_IJSG_SG_EEES6_PlJNSB_9not_fun_tI7is_evenIiEEEEEE10hipError_tPvRmT3_T4_T5_T6_T7_T9_mT8_P12ihipStream_tbDpT10_ENKUlT_T0_E_clISt17integral_constantIbLb1EES17_IbLb0EEEEDaS13_S14_EUlS13_E_NS1_11comp_targetILNS1_3genE0ELNS1_11target_archE4294967295ELNS1_3gpuE0ELNS1_3repE0EEENS1_30default_config_static_selectorELNS0_4arch9wavefront6targetE0EEEvT1_: ; @_ZN7rocprim17ROCPRIM_400000_NS6detail17trampoline_kernelINS0_14default_configENS1_25partition_config_selectorILNS1_17partition_subalgoE6EiNS0_10empty_typeEbEEZZNS1_14partition_implILS5_6ELb0ES3_mN6thrust23THRUST_200600_302600_NS6detail15normal_iteratorINSA_10device_ptrIiEEEEPS6_SG_NS0_5tupleIJSF_S6_EEENSH_IJSG_SG_EEES6_PlJNSB_9not_fun_tI7is_evenIiEEEEEE10hipError_tPvRmT3_T4_T5_T6_T7_T9_mT8_P12ihipStream_tbDpT10_ENKUlT_T0_E_clISt17integral_constantIbLb1EES17_IbLb0EEEEDaS13_S14_EUlS13_E_NS1_11comp_targetILNS1_3genE0ELNS1_11target_archE4294967295ELNS1_3gpuE0ELNS1_3repE0EEENS1_30default_config_static_selectorELNS0_4arch9wavefront6targetE0EEEvT1_
; %bb.0:
	.section	.rodata,"a",@progbits
	.p2align	6, 0x0
	.amdhsa_kernel _ZN7rocprim17ROCPRIM_400000_NS6detail17trampoline_kernelINS0_14default_configENS1_25partition_config_selectorILNS1_17partition_subalgoE6EiNS0_10empty_typeEbEEZZNS1_14partition_implILS5_6ELb0ES3_mN6thrust23THRUST_200600_302600_NS6detail15normal_iteratorINSA_10device_ptrIiEEEEPS6_SG_NS0_5tupleIJSF_S6_EEENSH_IJSG_SG_EEES6_PlJNSB_9not_fun_tI7is_evenIiEEEEEE10hipError_tPvRmT3_T4_T5_T6_T7_T9_mT8_P12ihipStream_tbDpT10_ENKUlT_T0_E_clISt17integral_constantIbLb1EES17_IbLb0EEEEDaS13_S14_EUlS13_E_NS1_11comp_targetILNS1_3genE0ELNS1_11target_archE4294967295ELNS1_3gpuE0ELNS1_3repE0EEENS1_30default_config_static_selectorELNS0_4arch9wavefront6targetE0EEEvT1_
		.amdhsa_group_segment_fixed_size 0
		.amdhsa_private_segment_fixed_size 0
		.amdhsa_kernarg_size 112
		.amdhsa_user_sgpr_count 2
		.amdhsa_user_sgpr_dispatch_ptr 0
		.amdhsa_user_sgpr_queue_ptr 0
		.amdhsa_user_sgpr_kernarg_segment_ptr 1
		.amdhsa_user_sgpr_dispatch_id 0
		.amdhsa_user_sgpr_private_segment_size 0
		.amdhsa_wavefront_size32 1
		.amdhsa_uses_dynamic_stack 0
		.amdhsa_enable_private_segment 0
		.amdhsa_system_sgpr_workgroup_id_x 1
		.amdhsa_system_sgpr_workgroup_id_y 0
		.amdhsa_system_sgpr_workgroup_id_z 0
		.amdhsa_system_sgpr_workgroup_info 0
		.amdhsa_system_vgpr_workitem_id 0
		.amdhsa_next_free_vgpr 1
		.amdhsa_next_free_sgpr 1
		.amdhsa_reserve_vcc 0
		.amdhsa_float_round_mode_32 0
		.amdhsa_float_round_mode_16_64 0
		.amdhsa_float_denorm_mode_32 3
		.amdhsa_float_denorm_mode_16_64 3
		.amdhsa_fp16_overflow 0
		.amdhsa_workgroup_processor_mode 1
		.amdhsa_memory_ordered 1
		.amdhsa_forward_progress 1
		.amdhsa_inst_pref_size 0
		.amdhsa_round_robin_scheduling 0
		.amdhsa_exception_fp_ieee_invalid_op 0
		.amdhsa_exception_fp_denorm_src 0
		.amdhsa_exception_fp_ieee_div_zero 0
		.amdhsa_exception_fp_ieee_overflow 0
		.amdhsa_exception_fp_ieee_underflow 0
		.amdhsa_exception_fp_ieee_inexact 0
		.amdhsa_exception_int_div_zero 0
	.end_amdhsa_kernel
	.section	.text._ZN7rocprim17ROCPRIM_400000_NS6detail17trampoline_kernelINS0_14default_configENS1_25partition_config_selectorILNS1_17partition_subalgoE6EiNS0_10empty_typeEbEEZZNS1_14partition_implILS5_6ELb0ES3_mN6thrust23THRUST_200600_302600_NS6detail15normal_iteratorINSA_10device_ptrIiEEEEPS6_SG_NS0_5tupleIJSF_S6_EEENSH_IJSG_SG_EEES6_PlJNSB_9not_fun_tI7is_evenIiEEEEEE10hipError_tPvRmT3_T4_T5_T6_T7_T9_mT8_P12ihipStream_tbDpT10_ENKUlT_T0_E_clISt17integral_constantIbLb1EES17_IbLb0EEEEDaS13_S14_EUlS13_E_NS1_11comp_targetILNS1_3genE0ELNS1_11target_archE4294967295ELNS1_3gpuE0ELNS1_3repE0EEENS1_30default_config_static_selectorELNS0_4arch9wavefront6targetE0EEEvT1_,"axG",@progbits,_ZN7rocprim17ROCPRIM_400000_NS6detail17trampoline_kernelINS0_14default_configENS1_25partition_config_selectorILNS1_17partition_subalgoE6EiNS0_10empty_typeEbEEZZNS1_14partition_implILS5_6ELb0ES3_mN6thrust23THRUST_200600_302600_NS6detail15normal_iteratorINSA_10device_ptrIiEEEEPS6_SG_NS0_5tupleIJSF_S6_EEENSH_IJSG_SG_EEES6_PlJNSB_9not_fun_tI7is_evenIiEEEEEE10hipError_tPvRmT3_T4_T5_T6_T7_T9_mT8_P12ihipStream_tbDpT10_ENKUlT_T0_E_clISt17integral_constantIbLb1EES17_IbLb0EEEEDaS13_S14_EUlS13_E_NS1_11comp_targetILNS1_3genE0ELNS1_11target_archE4294967295ELNS1_3gpuE0ELNS1_3repE0EEENS1_30default_config_static_selectorELNS0_4arch9wavefront6targetE0EEEvT1_,comdat
.Lfunc_end741:
	.size	_ZN7rocprim17ROCPRIM_400000_NS6detail17trampoline_kernelINS0_14default_configENS1_25partition_config_selectorILNS1_17partition_subalgoE6EiNS0_10empty_typeEbEEZZNS1_14partition_implILS5_6ELb0ES3_mN6thrust23THRUST_200600_302600_NS6detail15normal_iteratorINSA_10device_ptrIiEEEEPS6_SG_NS0_5tupleIJSF_S6_EEENSH_IJSG_SG_EEES6_PlJNSB_9not_fun_tI7is_evenIiEEEEEE10hipError_tPvRmT3_T4_T5_T6_T7_T9_mT8_P12ihipStream_tbDpT10_ENKUlT_T0_E_clISt17integral_constantIbLb1EES17_IbLb0EEEEDaS13_S14_EUlS13_E_NS1_11comp_targetILNS1_3genE0ELNS1_11target_archE4294967295ELNS1_3gpuE0ELNS1_3repE0EEENS1_30default_config_static_selectorELNS0_4arch9wavefront6targetE0EEEvT1_, .Lfunc_end741-_ZN7rocprim17ROCPRIM_400000_NS6detail17trampoline_kernelINS0_14default_configENS1_25partition_config_selectorILNS1_17partition_subalgoE6EiNS0_10empty_typeEbEEZZNS1_14partition_implILS5_6ELb0ES3_mN6thrust23THRUST_200600_302600_NS6detail15normal_iteratorINSA_10device_ptrIiEEEEPS6_SG_NS0_5tupleIJSF_S6_EEENSH_IJSG_SG_EEES6_PlJNSB_9not_fun_tI7is_evenIiEEEEEE10hipError_tPvRmT3_T4_T5_T6_T7_T9_mT8_P12ihipStream_tbDpT10_ENKUlT_T0_E_clISt17integral_constantIbLb1EES17_IbLb0EEEEDaS13_S14_EUlS13_E_NS1_11comp_targetILNS1_3genE0ELNS1_11target_archE4294967295ELNS1_3gpuE0ELNS1_3repE0EEENS1_30default_config_static_selectorELNS0_4arch9wavefront6targetE0EEEvT1_
                                        ; -- End function
	.set _ZN7rocprim17ROCPRIM_400000_NS6detail17trampoline_kernelINS0_14default_configENS1_25partition_config_selectorILNS1_17partition_subalgoE6EiNS0_10empty_typeEbEEZZNS1_14partition_implILS5_6ELb0ES3_mN6thrust23THRUST_200600_302600_NS6detail15normal_iteratorINSA_10device_ptrIiEEEEPS6_SG_NS0_5tupleIJSF_S6_EEENSH_IJSG_SG_EEES6_PlJNSB_9not_fun_tI7is_evenIiEEEEEE10hipError_tPvRmT3_T4_T5_T6_T7_T9_mT8_P12ihipStream_tbDpT10_ENKUlT_T0_E_clISt17integral_constantIbLb1EES17_IbLb0EEEEDaS13_S14_EUlS13_E_NS1_11comp_targetILNS1_3genE0ELNS1_11target_archE4294967295ELNS1_3gpuE0ELNS1_3repE0EEENS1_30default_config_static_selectorELNS0_4arch9wavefront6targetE0EEEvT1_.num_vgpr, 0
	.set _ZN7rocprim17ROCPRIM_400000_NS6detail17trampoline_kernelINS0_14default_configENS1_25partition_config_selectorILNS1_17partition_subalgoE6EiNS0_10empty_typeEbEEZZNS1_14partition_implILS5_6ELb0ES3_mN6thrust23THRUST_200600_302600_NS6detail15normal_iteratorINSA_10device_ptrIiEEEEPS6_SG_NS0_5tupleIJSF_S6_EEENSH_IJSG_SG_EEES6_PlJNSB_9not_fun_tI7is_evenIiEEEEEE10hipError_tPvRmT3_T4_T5_T6_T7_T9_mT8_P12ihipStream_tbDpT10_ENKUlT_T0_E_clISt17integral_constantIbLb1EES17_IbLb0EEEEDaS13_S14_EUlS13_E_NS1_11comp_targetILNS1_3genE0ELNS1_11target_archE4294967295ELNS1_3gpuE0ELNS1_3repE0EEENS1_30default_config_static_selectorELNS0_4arch9wavefront6targetE0EEEvT1_.num_agpr, 0
	.set _ZN7rocprim17ROCPRIM_400000_NS6detail17trampoline_kernelINS0_14default_configENS1_25partition_config_selectorILNS1_17partition_subalgoE6EiNS0_10empty_typeEbEEZZNS1_14partition_implILS5_6ELb0ES3_mN6thrust23THRUST_200600_302600_NS6detail15normal_iteratorINSA_10device_ptrIiEEEEPS6_SG_NS0_5tupleIJSF_S6_EEENSH_IJSG_SG_EEES6_PlJNSB_9not_fun_tI7is_evenIiEEEEEE10hipError_tPvRmT3_T4_T5_T6_T7_T9_mT8_P12ihipStream_tbDpT10_ENKUlT_T0_E_clISt17integral_constantIbLb1EES17_IbLb0EEEEDaS13_S14_EUlS13_E_NS1_11comp_targetILNS1_3genE0ELNS1_11target_archE4294967295ELNS1_3gpuE0ELNS1_3repE0EEENS1_30default_config_static_selectorELNS0_4arch9wavefront6targetE0EEEvT1_.numbered_sgpr, 0
	.set _ZN7rocprim17ROCPRIM_400000_NS6detail17trampoline_kernelINS0_14default_configENS1_25partition_config_selectorILNS1_17partition_subalgoE6EiNS0_10empty_typeEbEEZZNS1_14partition_implILS5_6ELb0ES3_mN6thrust23THRUST_200600_302600_NS6detail15normal_iteratorINSA_10device_ptrIiEEEEPS6_SG_NS0_5tupleIJSF_S6_EEENSH_IJSG_SG_EEES6_PlJNSB_9not_fun_tI7is_evenIiEEEEEE10hipError_tPvRmT3_T4_T5_T6_T7_T9_mT8_P12ihipStream_tbDpT10_ENKUlT_T0_E_clISt17integral_constantIbLb1EES17_IbLb0EEEEDaS13_S14_EUlS13_E_NS1_11comp_targetILNS1_3genE0ELNS1_11target_archE4294967295ELNS1_3gpuE0ELNS1_3repE0EEENS1_30default_config_static_selectorELNS0_4arch9wavefront6targetE0EEEvT1_.num_named_barrier, 0
	.set _ZN7rocprim17ROCPRIM_400000_NS6detail17trampoline_kernelINS0_14default_configENS1_25partition_config_selectorILNS1_17partition_subalgoE6EiNS0_10empty_typeEbEEZZNS1_14partition_implILS5_6ELb0ES3_mN6thrust23THRUST_200600_302600_NS6detail15normal_iteratorINSA_10device_ptrIiEEEEPS6_SG_NS0_5tupleIJSF_S6_EEENSH_IJSG_SG_EEES6_PlJNSB_9not_fun_tI7is_evenIiEEEEEE10hipError_tPvRmT3_T4_T5_T6_T7_T9_mT8_P12ihipStream_tbDpT10_ENKUlT_T0_E_clISt17integral_constantIbLb1EES17_IbLb0EEEEDaS13_S14_EUlS13_E_NS1_11comp_targetILNS1_3genE0ELNS1_11target_archE4294967295ELNS1_3gpuE0ELNS1_3repE0EEENS1_30default_config_static_selectorELNS0_4arch9wavefront6targetE0EEEvT1_.private_seg_size, 0
	.set _ZN7rocprim17ROCPRIM_400000_NS6detail17trampoline_kernelINS0_14default_configENS1_25partition_config_selectorILNS1_17partition_subalgoE6EiNS0_10empty_typeEbEEZZNS1_14partition_implILS5_6ELb0ES3_mN6thrust23THRUST_200600_302600_NS6detail15normal_iteratorINSA_10device_ptrIiEEEEPS6_SG_NS0_5tupleIJSF_S6_EEENSH_IJSG_SG_EEES6_PlJNSB_9not_fun_tI7is_evenIiEEEEEE10hipError_tPvRmT3_T4_T5_T6_T7_T9_mT8_P12ihipStream_tbDpT10_ENKUlT_T0_E_clISt17integral_constantIbLb1EES17_IbLb0EEEEDaS13_S14_EUlS13_E_NS1_11comp_targetILNS1_3genE0ELNS1_11target_archE4294967295ELNS1_3gpuE0ELNS1_3repE0EEENS1_30default_config_static_selectorELNS0_4arch9wavefront6targetE0EEEvT1_.uses_vcc, 0
	.set _ZN7rocprim17ROCPRIM_400000_NS6detail17trampoline_kernelINS0_14default_configENS1_25partition_config_selectorILNS1_17partition_subalgoE6EiNS0_10empty_typeEbEEZZNS1_14partition_implILS5_6ELb0ES3_mN6thrust23THRUST_200600_302600_NS6detail15normal_iteratorINSA_10device_ptrIiEEEEPS6_SG_NS0_5tupleIJSF_S6_EEENSH_IJSG_SG_EEES6_PlJNSB_9not_fun_tI7is_evenIiEEEEEE10hipError_tPvRmT3_T4_T5_T6_T7_T9_mT8_P12ihipStream_tbDpT10_ENKUlT_T0_E_clISt17integral_constantIbLb1EES17_IbLb0EEEEDaS13_S14_EUlS13_E_NS1_11comp_targetILNS1_3genE0ELNS1_11target_archE4294967295ELNS1_3gpuE0ELNS1_3repE0EEENS1_30default_config_static_selectorELNS0_4arch9wavefront6targetE0EEEvT1_.uses_flat_scratch, 0
	.set _ZN7rocprim17ROCPRIM_400000_NS6detail17trampoline_kernelINS0_14default_configENS1_25partition_config_selectorILNS1_17partition_subalgoE6EiNS0_10empty_typeEbEEZZNS1_14partition_implILS5_6ELb0ES3_mN6thrust23THRUST_200600_302600_NS6detail15normal_iteratorINSA_10device_ptrIiEEEEPS6_SG_NS0_5tupleIJSF_S6_EEENSH_IJSG_SG_EEES6_PlJNSB_9not_fun_tI7is_evenIiEEEEEE10hipError_tPvRmT3_T4_T5_T6_T7_T9_mT8_P12ihipStream_tbDpT10_ENKUlT_T0_E_clISt17integral_constantIbLb1EES17_IbLb0EEEEDaS13_S14_EUlS13_E_NS1_11comp_targetILNS1_3genE0ELNS1_11target_archE4294967295ELNS1_3gpuE0ELNS1_3repE0EEENS1_30default_config_static_selectorELNS0_4arch9wavefront6targetE0EEEvT1_.has_dyn_sized_stack, 0
	.set _ZN7rocprim17ROCPRIM_400000_NS6detail17trampoline_kernelINS0_14default_configENS1_25partition_config_selectorILNS1_17partition_subalgoE6EiNS0_10empty_typeEbEEZZNS1_14partition_implILS5_6ELb0ES3_mN6thrust23THRUST_200600_302600_NS6detail15normal_iteratorINSA_10device_ptrIiEEEEPS6_SG_NS0_5tupleIJSF_S6_EEENSH_IJSG_SG_EEES6_PlJNSB_9not_fun_tI7is_evenIiEEEEEE10hipError_tPvRmT3_T4_T5_T6_T7_T9_mT8_P12ihipStream_tbDpT10_ENKUlT_T0_E_clISt17integral_constantIbLb1EES17_IbLb0EEEEDaS13_S14_EUlS13_E_NS1_11comp_targetILNS1_3genE0ELNS1_11target_archE4294967295ELNS1_3gpuE0ELNS1_3repE0EEENS1_30default_config_static_selectorELNS0_4arch9wavefront6targetE0EEEvT1_.has_recursion, 0
	.set _ZN7rocprim17ROCPRIM_400000_NS6detail17trampoline_kernelINS0_14default_configENS1_25partition_config_selectorILNS1_17partition_subalgoE6EiNS0_10empty_typeEbEEZZNS1_14partition_implILS5_6ELb0ES3_mN6thrust23THRUST_200600_302600_NS6detail15normal_iteratorINSA_10device_ptrIiEEEEPS6_SG_NS0_5tupleIJSF_S6_EEENSH_IJSG_SG_EEES6_PlJNSB_9not_fun_tI7is_evenIiEEEEEE10hipError_tPvRmT3_T4_T5_T6_T7_T9_mT8_P12ihipStream_tbDpT10_ENKUlT_T0_E_clISt17integral_constantIbLb1EES17_IbLb0EEEEDaS13_S14_EUlS13_E_NS1_11comp_targetILNS1_3genE0ELNS1_11target_archE4294967295ELNS1_3gpuE0ELNS1_3repE0EEENS1_30default_config_static_selectorELNS0_4arch9wavefront6targetE0EEEvT1_.has_indirect_call, 0
	.section	.AMDGPU.csdata,"",@progbits
; Kernel info:
; codeLenInByte = 0
; TotalNumSgprs: 0
; NumVgprs: 0
; ScratchSize: 0
; MemoryBound: 0
; FloatMode: 240
; IeeeMode: 1
; LDSByteSize: 0 bytes/workgroup (compile time only)
; SGPRBlocks: 0
; VGPRBlocks: 0
; NumSGPRsForWavesPerEU: 1
; NumVGPRsForWavesPerEU: 1
; Occupancy: 16
; WaveLimiterHint : 0
; COMPUTE_PGM_RSRC2:SCRATCH_EN: 0
; COMPUTE_PGM_RSRC2:USER_SGPR: 2
; COMPUTE_PGM_RSRC2:TRAP_HANDLER: 0
; COMPUTE_PGM_RSRC2:TGID_X_EN: 1
; COMPUTE_PGM_RSRC2:TGID_Y_EN: 0
; COMPUTE_PGM_RSRC2:TGID_Z_EN: 0
; COMPUTE_PGM_RSRC2:TIDIG_COMP_CNT: 0
	.section	.text._ZN7rocprim17ROCPRIM_400000_NS6detail17trampoline_kernelINS0_14default_configENS1_25partition_config_selectorILNS1_17partition_subalgoE6EiNS0_10empty_typeEbEEZZNS1_14partition_implILS5_6ELb0ES3_mN6thrust23THRUST_200600_302600_NS6detail15normal_iteratorINSA_10device_ptrIiEEEEPS6_SG_NS0_5tupleIJSF_S6_EEENSH_IJSG_SG_EEES6_PlJNSB_9not_fun_tI7is_evenIiEEEEEE10hipError_tPvRmT3_T4_T5_T6_T7_T9_mT8_P12ihipStream_tbDpT10_ENKUlT_T0_E_clISt17integral_constantIbLb1EES17_IbLb0EEEEDaS13_S14_EUlS13_E_NS1_11comp_targetILNS1_3genE5ELNS1_11target_archE942ELNS1_3gpuE9ELNS1_3repE0EEENS1_30default_config_static_selectorELNS0_4arch9wavefront6targetE0EEEvT1_,"axG",@progbits,_ZN7rocprim17ROCPRIM_400000_NS6detail17trampoline_kernelINS0_14default_configENS1_25partition_config_selectorILNS1_17partition_subalgoE6EiNS0_10empty_typeEbEEZZNS1_14partition_implILS5_6ELb0ES3_mN6thrust23THRUST_200600_302600_NS6detail15normal_iteratorINSA_10device_ptrIiEEEEPS6_SG_NS0_5tupleIJSF_S6_EEENSH_IJSG_SG_EEES6_PlJNSB_9not_fun_tI7is_evenIiEEEEEE10hipError_tPvRmT3_T4_T5_T6_T7_T9_mT8_P12ihipStream_tbDpT10_ENKUlT_T0_E_clISt17integral_constantIbLb1EES17_IbLb0EEEEDaS13_S14_EUlS13_E_NS1_11comp_targetILNS1_3genE5ELNS1_11target_archE942ELNS1_3gpuE9ELNS1_3repE0EEENS1_30default_config_static_selectorELNS0_4arch9wavefront6targetE0EEEvT1_,comdat
	.protected	_ZN7rocprim17ROCPRIM_400000_NS6detail17trampoline_kernelINS0_14default_configENS1_25partition_config_selectorILNS1_17partition_subalgoE6EiNS0_10empty_typeEbEEZZNS1_14partition_implILS5_6ELb0ES3_mN6thrust23THRUST_200600_302600_NS6detail15normal_iteratorINSA_10device_ptrIiEEEEPS6_SG_NS0_5tupleIJSF_S6_EEENSH_IJSG_SG_EEES6_PlJNSB_9not_fun_tI7is_evenIiEEEEEE10hipError_tPvRmT3_T4_T5_T6_T7_T9_mT8_P12ihipStream_tbDpT10_ENKUlT_T0_E_clISt17integral_constantIbLb1EES17_IbLb0EEEEDaS13_S14_EUlS13_E_NS1_11comp_targetILNS1_3genE5ELNS1_11target_archE942ELNS1_3gpuE9ELNS1_3repE0EEENS1_30default_config_static_selectorELNS0_4arch9wavefront6targetE0EEEvT1_ ; -- Begin function _ZN7rocprim17ROCPRIM_400000_NS6detail17trampoline_kernelINS0_14default_configENS1_25partition_config_selectorILNS1_17partition_subalgoE6EiNS0_10empty_typeEbEEZZNS1_14partition_implILS5_6ELb0ES3_mN6thrust23THRUST_200600_302600_NS6detail15normal_iteratorINSA_10device_ptrIiEEEEPS6_SG_NS0_5tupleIJSF_S6_EEENSH_IJSG_SG_EEES6_PlJNSB_9not_fun_tI7is_evenIiEEEEEE10hipError_tPvRmT3_T4_T5_T6_T7_T9_mT8_P12ihipStream_tbDpT10_ENKUlT_T0_E_clISt17integral_constantIbLb1EES17_IbLb0EEEEDaS13_S14_EUlS13_E_NS1_11comp_targetILNS1_3genE5ELNS1_11target_archE942ELNS1_3gpuE9ELNS1_3repE0EEENS1_30default_config_static_selectorELNS0_4arch9wavefront6targetE0EEEvT1_
	.globl	_ZN7rocprim17ROCPRIM_400000_NS6detail17trampoline_kernelINS0_14default_configENS1_25partition_config_selectorILNS1_17partition_subalgoE6EiNS0_10empty_typeEbEEZZNS1_14partition_implILS5_6ELb0ES3_mN6thrust23THRUST_200600_302600_NS6detail15normal_iteratorINSA_10device_ptrIiEEEEPS6_SG_NS0_5tupleIJSF_S6_EEENSH_IJSG_SG_EEES6_PlJNSB_9not_fun_tI7is_evenIiEEEEEE10hipError_tPvRmT3_T4_T5_T6_T7_T9_mT8_P12ihipStream_tbDpT10_ENKUlT_T0_E_clISt17integral_constantIbLb1EES17_IbLb0EEEEDaS13_S14_EUlS13_E_NS1_11comp_targetILNS1_3genE5ELNS1_11target_archE942ELNS1_3gpuE9ELNS1_3repE0EEENS1_30default_config_static_selectorELNS0_4arch9wavefront6targetE0EEEvT1_
	.p2align	8
	.type	_ZN7rocprim17ROCPRIM_400000_NS6detail17trampoline_kernelINS0_14default_configENS1_25partition_config_selectorILNS1_17partition_subalgoE6EiNS0_10empty_typeEbEEZZNS1_14partition_implILS5_6ELb0ES3_mN6thrust23THRUST_200600_302600_NS6detail15normal_iteratorINSA_10device_ptrIiEEEEPS6_SG_NS0_5tupleIJSF_S6_EEENSH_IJSG_SG_EEES6_PlJNSB_9not_fun_tI7is_evenIiEEEEEE10hipError_tPvRmT3_T4_T5_T6_T7_T9_mT8_P12ihipStream_tbDpT10_ENKUlT_T0_E_clISt17integral_constantIbLb1EES17_IbLb0EEEEDaS13_S14_EUlS13_E_NS1_11comp_targetILNS1_3genE5ELNS1_11target_archE942ELNS1_3gpuE9ELNS1_3repE0EEENS1_30default_config_static_selectorELNS0_4arch9wavefront6targetE0EEEvT1_,@function
_ZN7rocprim17ROCPRIM_400000_NS6detail17trampoline_kernelINS0_14default_configENS1_25partition_config_selectorILNS1_17partition_subalgoE6EiNS0_10empty_typeEbEEZZNS1_14partition_implILS5_6ELb0ES3_mN6thrust23THRUST_200600_302600_NS6detail15normal_iteratorINSA_10device_ptrIiEEEEPS6_SG_NS0_5tupleIJSF_S6_EEENSH_IJSG_SG_EEES6_PlJNSB_9not_fun_tI7is_evenIiEEEEEE10hipError_tPvRmT3_T4_T5_T6_T7_T9_mT8_P12ihipStream_tbDpT10_ENKUlT_T0_E_clISt17integral_constantIbLb1EES17_IbLb0EEEEDaS13_S14_EUlS13_E_NS1_11comp_targetILNS1_3genE5ELNS1_11target_archE942ELNS1_3gpuE9ELNS1_3repE0EEENS1_30default_config_static_selectorELNS0_4arch9wavefront6targetE0EEEvT1_: ; @_ZN7rocprim17ROCPRIM_400000_NS6detail17trampoline_kernelINS0_14default_configENS1_25partition_config_selectorILNS1_17partition_subalgoE6EiNS0_10empty_typeEbEEZZNS1_14partition_implILS5_6ELb0ES3_mN6thrust23THRUST_200600_302600_NS6detail15normal_iteratorINSA_10device_ptrIiEEEEPS6_SG_NS0_5tupleIJSF_S6_EEENSH_IJSG_SG_EEES6_PlJNSB_9not_fun_tI7is_evenIiEEEEEE10hipError_tPvRmT3_T4_T5_T6_T7_T9_mT8_P12ihipStream_tbDpT10_ENKUlT_T0_E_clISt17integral_constantIbLb1EES17_IbLb0EEEEDaS13_S14_EUlS13_E_NS1_11comp_targetILNS1_3genE5ELNS1_11target_archE942ELNS1_3gpuE9ELNS1_3repE0EEENS1_30default_config_static_selectorELNS0_4arch9wavefront6targetE0EEEvT1_
; %bb.0:
	.section	.rodata,"a",@progbits
	.p2align	6, 0x0
	.amdhsa_kernel _ZN7rocprim17ROCPRIM_400000_NS6detail17trampoline_kernelINS0_14default_configENS1_25partition_config_selectorILNS1_17partition_subalgoE6EiNS0_10empty_typeEbEEZZNS1_14partition_implILS5_6ELb0ES3_mN6thrust23THRUST_200600_302600_NS6detail15normal_iteratorINSA_10device_ptrIiEEEEPS6_SG_NS0_5tupleIJSF_S6_EEENSH_IJSG_SG_EEES6_PlJNSB_9not_fun_tI7is_evenIiEEEEEE10hipError_tPvRmT3_T4_T5_T6_T7_T9_mT8_P12ihipStream_tbDpT10_ENKUlT_T0_E_clISt17integral_constantIbLb1EES17_IbLb0EEEEDaS13_S14_EUlS13_E_NS1_11comp_targetILNS1_3genE5ELNS1_11target_archE942ELNS1_3gpuE9ELNS1_3repE0EEENS1_30default_config_static_selectorELNS0_4arch9wavefront6targetE0EEEvT1_
		.amdhsa_group_segment_fixed_size 0
		.amdhsa_private_segment_fixed_size 0
		.amdhsa_kernarg_size 112
		.amdhsa_user_sgpr_count 2
		.amdhsa_user_sgpr_dispatch_ptr 0
		.amdhsa_user_sgpr_queue_ptr 0
		.amdhsa_user_sgpr_kernarg_segment_ptr 1
		.amdhsa_user_sgpr_dispatch_id 0
		.amdhsa_user_sgpr_private_segment_size 0
		.amdhsa_wavefront_size32 1
		.amdhsa_uses_dynamic_stack 0
		.amdhsa_enable_private_segment 0
		.amdhsa_system_sgpr_workgroup_id_x 1
		.amdhsa_system_sgpr_workgroup_id_y 0
		.amdhsa_system_sgpr_workgroup_id_z 0
		.amdhsa_system_sgpr_workgroup_info 0
		.amdhsa_system_vgpr_workitem_id 0
		.amdhsa_next_free_vgpr 1
		.amdhsa_next_free_sgpr 1
		.amdhsa_reserve_vcc 0
		.amdhsa_float_round_mode_32 0
		.amdhsa_float_round_mode_16_64 0
		.amdhsa_float_denorm_mode_32 3
		.amdhsa_float_denorm_mode_16_64 3
		.amdhsa_fp16_overflow 0
		.amdhsa_workgroup_processor_mode 1
		.amdhsa_memory_ordered 1
		.amdhsa_forward_progress 1
		.amdhsa_inst_pref_size 0
		.amdhsa_round_robin_scheduling 0
		.amdhsa_exception_fp_ieee_invalid_op 0
		.amdhsa_exception_fp_denorm_src 0
		.amdhsa_exception_fp_ieee_div_zero 0
		.amdhsa_exception_fp_ieee_overflow 0
		.amdhsa_exception_fp_ieee_underflow 0
		.amdhsa_exception_fp_ieee_inexact 0
		.amdhsa_exception_int_div_zero 0
	.end_amdhsa_kernel
	.section	.text._ZN7rocprim17ROCPRIM_400000_NS6detail17trampoline_kernelINS0_14default_configENS1_25partition_config_selectorILNS1_17partition_subalgoE6EiNS0_10empty_typeEbEEZZNS1_14partition_implILS5_6ELb0ES3_mN6thrust23THRUST_200600_302600_NS6detail15normal_iteratorINSA_10device_ptrIiEEEEPS6_SG_NS0_5tupleIJSF_S6_EEENSH_IJSG_SG_EEES6_PlJNSB_9not_fun_tI7is_evenIiEEEEEE10hipError_tPvRmT3_T4_T5_T6_T7_T9_mT8_P12ihipStream_tbDpT10_ENKUlT_T0_E_clISt17integral_constantIbLb1EES17_IbLb0EEEEDaS13_S14_EUlS13_E_NS1_11comp_targetILNS1_3genE5ELNS1_11target_archE942ELNS1_3gpuE9ELNS1_3repE0EEENS1_30default_config_static_selectorELNS0_4arch9wavefront6targetE0EEEvT1_,"axG",@progbits,_ZN7rocprim17ROCPRIM_400000_NS6detail17trampoline_kernelINS0_14default_configENS1_25partition_config_selectorILNS1_17partition_subalgoE6EiNS0_10empty_typeEbEEZZNS1_14partition_implILS5_6ELb0ES3_mN6thrust23THRUST_200600_302600_NS6detail15normal_iteratorINSA_10device_ptrIiEEEEPS6_SG_NS0_5tupleIJSF_S6_EEENSH_IJSG_SG_EEES6_PlJNSB_9not_fun_tI7is_evenIiEEEEEE10hipError_tPvRmT3_T4_T5_T6_T7_T9_mT8_P12ihipStream_tbDpT10_ENKUlT_T0_E_clISt17integral_constantIbLb1EES17_IbLb0EEEEDaS13_S14_EUlS13_E_NS1_11comp_targetILNS1_3genE5ELNS1_11target_archE942ELNS1_3gpuE9ELNS1_3repE0EEENS1_30default_config_static_selectorELNS0_4arch9wavefront6targetE0EEEvT1_,comdat
.Lfunc_end742:
	.size	_ZN7rocprim17ROCPRIM_400000_NS6detail17trampoline_kernelINS0_14default_configENS1_25partition_config_selectorILNS1_17partition_subalgoE6EiNS0_10empty_typeEbEEZZNS1_14partition_implILS5_6ELb0ES3_mN6thrust23THRUST_200600_302600_NS6detail15normal_iteratorINSA_10device_ptrIiEEEEPS6_SG_NS0_5tupleIJSF_S6_EEENSH_IJSG_SG_EEES6_PlJNSB_9not_fun_tI7is_evenIiEEEEEE10hipError_tPvRmT3_T4_T5_T6_T7_T9_mT8_P12ihipStream_tbDpT10_ENKUlT_T0_E_clISt17integral_constantIbLb1EES17_IbLb0EEEEDaS13_S14_EUlS13_E_NS1_11comp_targetILNS1_3genE5ELNS1_11target_archE942ELNS1_3gpuE9ELNS1_3repE0EEENS1_30default_config_static_selectorELNS0_4arch9wavefront6targetE0EEEvT1_, .Lfunc_end742-_ZN7rocprim17ROCPRIM_400000_NS6detail17trampoline_kernelINS0_14default_configENS1_25partition_config_selectorILNS1_17partition_subalgoE6EiNS0_10empty_typeEbEEZZNS1_14partition_implILS5_6ELb0ES3_mN6thrust23THRUST_200600_302600_NS6detail15normal_iteratorINSA_10device_ptrIiEEEEPS6_SG_NS0_5tupleIJSF_S6_EEENSH_IJSG_SG_EEES6_PlJNSB_9not_fun_tI7is_evenIiEEEEEE10hipError_tPvRmT3_T4_T5_T6_T7_T9_mT8_P12ihipStream_tbDpT10_ENKUlT_T0_E_clISt17integral_constantIbLb1EES17_IbLb0EEEEDaS13_S14_EUlS13_E_NS1_11comp_targetILNS1_3genE5ELNS1_11target_archE942ELNS1_3gpuE9ELNS1_3repE0EEENS1_30default_config_static_selectorELNS0_4arch9wavefront6targetE0EEEvT1_
                                        ; -- End function
	.set _ZN7rocprim17ROCPRIM_400000_NS6detail17trampoline_kernelINS0_14default_configENS1_25partition_config_selectorILNS1_17partition_subalgoE6EiNS0_10empty_typeEbEEZZNS1_14partition_implILS5_6ELb0ES3_mN6thrust23THRUST_200600_302600_NS6detail15normal_iteratorINSA_10device_ptrIiEEEEPS6_SG_NS0_5tupleIJSF_S6_EEENSH_IJSG_SG_EEES6_PlJNSB_9not_fun_tI7is_evenIiEEEEEE10hipError_tPvRmT3_T4_T5_T6_T7_T9_mT8_P12ihipStream_tbDpT10_ENKUlT_T0_E_clISt17integral_constantIbLb1EES17_IbLb0EEEEDaS13_S14_EUlS13_E_NS1_11comp_targetILNS1_3genE5ELNS1_11target_archE942ELNS1_3gpuE9ELNS1_3repE0EEENS1_30default_config_static_selectorELNS0_4arch9wavefront6targetE0EEEvT1_.num_vgpr, 0
	.set _ZN7rocprim17ROCPRIM_400000_NS6detail17trampoline_kernelINS0_14default_configENS1_25partition_config_selectorILNS1_17partition_subalgoE6EiNS0_10empty_typeEbEEZZNS1_14partition_implILS5_6ELb0ES3_mN6thrust23THRUST_200600_302600_NS6detail15normal_iteratorINSA_10device_ptrIiEEEEPS6_SG_NS0_5tupleIJSF_S6_EEENSH_IJSG_SG_EEES6_PlJNSB_9not_fun_tI7is_evenIiEEEEEE10hipError_tPvRmT3_T4_T5_T6_T7_T9_mT8_P12ihipStream_tbDpT10_ENKUlT_T0_E_clISt17integral_constantIbLb1EES17_IbLb0EEEEDaS13_S14_EUlS13_E_NS1_11comp_targetILNS1_3genE5ELNS1_11target_archE942ELNS1_3gpuE9ELNS1_3repE0EEENS1_30default_config_static_selectorELNS0_4arch9wavefront6targetE0EEEvT1_.num_agpr, 0
	.set _ZN7rocprim17ROCPRIM_400000_NS6detail17trampoline_kernelINS0_14default_configENS1_25partition_config_selectorILNS1_17partition_subalgoE6EiNS0_10empty_typeEbEEZZNS1_14partition_implILS5_6ELb0ES3_mN6thrust23THRUST_200600_302600_NS6detail15normal_iteratorINSA_10device_ptrIiEEEEPS6_SG_NS0_5tupleIJSF_S6_EEENSH_IJSG_SG_EEES6_PlJNSB_9not_fun_tI7is_evenIiEEEEEE10hipError_tPvRmT3_T4_T5_T6_T7_T9_mT8_P12ihipStream_tbDpT10_ENKUlT_T0_E_clISt17integral_constantIbLb1EES17_IbLb0EEEEDaS13_S14_EUlS13_E_NS1_11comp_targetILNS1_3genE5ELNS1_11target_archE942ELNS1_3gpuE9ELNS1_3repE0EEENS1_30default_config_static_selectorELNS0_4arch9wavefront6targetE0EEEvT1_.numbered_sgpr, 0
	.set _ZN7rocprim17ROCPRIM_400000_NS6detail17trampoline_kernelINS0_14default_configENS1_25partition_config_selectorILNS1_17partition_subalgoE6EiNS0_10empty_typeEbEEZZNS1_14partition_implILS5_6ELb0ES3_mN6thrust23THRUST_200600_302600_NS6detail15normal_iteratorINSA_10device_ptrIiEEEEPS6_SG_NS0_5tupleIJSF_S6_EEENSH_IJSG_SG_EEES6_PlJNSB_9not_fun_tI7is_evenIiEEEEEE10hipError_tPvRmT3_T4_T5_T6_T7_T9_mT8_P12ihipStream_tbDpT10_ENKUlT_T0_E_clISt17integral_constantIbLb1EES17_IbLb0EEEEDaS13_S14_EUlS13_E_NS1_11comp_targetILNS1_3genE5ELNS1_11target_archE942ELNS1_3gpuE9ELNS1_3repE0EEENS1_30default_config_static_selectorELNS0_4arch9wavefront6targetE0EEEvT1_.num_named_barrier, 0
	.set _ZN7rocprim17ROCPRIM_400000_NS6detail17trampoline_kernelINS0_14default_configENS1_25partition_config_selectorILNS1_17partition_subalgoE6EiNS0_10empty_typeEbEEZZNS1_14partition_implILS5_6ELb0ES3_mN6thrust23THRUST_200600_302600_NS6detail15normal_iteratorINSA_10device_ptrIiEEEEPS6_SG_NS0_5tupleIJSF_S6_EEENSH_IJSG_SG_EEES6_PlJNSB_9not_fun_tI7is_evenIiEEEEEE10hipError_tPvRmT3_T4_T5_T6_T7_T9_mT8_P12ihipStream_tbDpT10_ENKUlT_T0_E_clISt17integral_constantIbLb1EES17_IbLb0EEEEDaS13_S14_EUlS13_E_NS1_11comp_targetILNS1_3genE5ELNS1_11target_archE942ELNS1_3gpuE9ELNS1_3repE0EEENS1_30default_config_static_selectorELNS0_4arch9wavefront6targetE0EEEvT1_.private_seg_size, 0
	.set _ZN7rocprim17ROCPRIM_400000_NS6detail17trampoline_kernelINS0_14default_configENS1_25partition_config_selectorILNS1_17partition_subalgoE6EiNS0_10empty_typeEbEEZZNS1_14partition_implILS5_6ELb0ES3_mN6thrust23THRUST_200600_302600_NS6detail15normal_iteratorINSA_10device_ptrIiEEEEPS6_SG_NS0_5tupleIJSF_S6_EEENSH_IJSG_SG_EEES6_PlJNSB_9not_fun_tI7is_evenIiEEEEEE10hipError_tPvRmT3_T4_T5_T6_T7_T9_mT8_P12ihipStream_tbDpT10_ENKUlT_T0_E_clISt17integral_constantIbLb1EES17_IbLb0EEEEDaS13_S14_EUlS13_E_NS1_11comp_targetILNS1_3genE5ELNS1_11target_archE942ELNS1_3gpuE9ELNS1_3repE0EEENS1_30default_config_static_selectorELNS0_4arch9wavefront6targetE0EEEvT1_.uses_vcc, 0
	.set _ZN7rocprim17ROCPRIM_400000_NS6detail17trampoline_kernelINS0_14default_configENS1_25partition_config_selectorILNS1_17partition_subalgoE6EiNS0_10empty_typeEbEEZZNS1_14partition_implILS5_6ELb0ES3_mN6thrust23THRUST_200600_302600_NS6detail15normal_iteratorINSA_10device_ptrIiEEEEPS6_SG_NS0_5tupleIJSF_S6_EEENSH_IJSG_SG_EEES6_PlJNSB_9not_fun_tI7is_evenIiEEEEEE10hipError_tPvRmT3_T4_T5_T6_T7_T9_mT8_P12ihipStream_tbDpT10_ENKUlT_T0_E_clISt17integral_constantIbLb1EES17_IbLb0EEEEDaS13_S14_EUlS13_E_NS1_11comp_targetILNS1_3genE5ELNS1_11target_archE942ELNS1_3gpuE9ELNS1_3repE0EEENS1_30default_config_static_selectorELNS0_4arch9wavefront6targetE0EEEvT1_.uses_flat_scratch, 0
	.set _ZN7rocprim17ROCPRIM_400000_NS6detail17trampoline_kernelINS0_14default_configENS1_25partition_config_selectorILNS1_17partition_subalgoE6EiNS0_10empty_typeEbEEZZNS1_14partition_implILS5_6ELb0ES3_mN6thrust23THRUST_200600_302600_NS6detail15normal_iteratorINSA_10device_ptrIiEEEEPS6_SG_NS0_5tupleIJSF_S6_EEENSH_IJSG_SG_EEES6_PlJNSB_9not_fun_tI7is_evenIiEEEEEE10hipError_tPvRmT3_T4_T5_T6_T7_T9_mT8_P12ihipStream_tbDpT10_ENKUlT_T0_E_clISt17integral_constantIbLb1EES17_IbLb0EEEEDaS13_S14_EUlS13_E_NS1_11comp_targetILNS1_3genE5ELNS1_11target_archE942ELNS1_3gpuE9ELNS1_3repE0EEENS1_30default_config_static_selectorELNS0_4arch9wavefront6targetE0EEEvT1_.has_dyn_sized_stack, 0
	.set _ZN7rocprim17ROCPRIM_400000_NS6detail17trampoline_kernelINS0_14default_configENS1_25partition_config_selectorILNS1_17partition_subalgoE6EiNS0_10empty_typeEbEEZZNS1_14partition_implILS5_6ELb0ES3_mN6thrust23THRUST_200600_302600_NS6detail15normal_iteratorINSA_10device_ptrIiEEEEPS6_SG_NS0_5tupleIJSF_S6_EEENSH_IJSG_SG_EEES6_PlJNSB_9not_fun_tI7is_evenIiEEEEEE10hipError_tPvRmT3_T4_T5_T6_T7_T9_mT8_P12ihipStream_tbDpT10_ENKUlT_T0_E_clISt17integral_constantIbLb1EES17_IbLb0EEEEDaS13_S14_EUlS13_E_NS1_11comp_targetILNS1_3genE5ELNS1_11target_archE942ELNS1_3gpuE9ELNS1_3repE0EEENS1_30default_config_static_selectorELNS0_4arch9wavefront6targetE0EEEvT1_.has_recursion, 0
	.set _ZN7rocprim17ROCPRIM_400000_NS6detail17trampoline_kernelINS0_14default_configENS1_25partition_config_selectorILNS1_17partition_subalgoE6EiNS0_10empty_typeEbEEZZNS1_14partition_implILS5_6ELb0ES3_mN6thrust23THRUST_200600_302600_NS6detail15normal_iteratorINSA_10device_ptrIiEEEEPS6_SG_NS0_5tupleIJSF_S6_EEENSH_IJSG_SG_EEES6_PlJNSB_9not_fun_tI7is_evenIiEEEEEE10hipError_tPvRmT3_T4_T5_T6_T7_T9_mT8_P12ihipStream_tbDpT10_ENKUlT_T0_E_clISt17integral_constantIbLb1EES17_IbLb0EEEEDaS13_S14_EUlS13_E_NS1_11comp_targetILNS1_3genE5ELNS1_11target_archE942ELNS1_3gpuE9ELNS1_3repE0EEENS1_30default_config_static_selectorELNS0_4arch9wavefront6targetE0EEEvT1_.has_indirect_call, 0
	.section	.AMDGPU.csdata,"",@progbits
; Kernel info:
; codeLenInByte = 0
; TotalNumSgprs: 0
; NumVgprs: 0
; ScratchSize: 0
; MemoryBound: 0
; FloatMode: 240
; IeeeMode: 1
; LDSByteSize: 0 bytes/workgroup (compile time only)
; SGPRBlocks: 0
; VGPRBlocks: 0
; NumSGPRsForWavesPerEU: 1
; NumVGPRsForWavesPerEU: 1
; Occupancy: 16
; WaveLimiterHint : 0
; COMPUTE_PGM_RSRC2:SCRATCH_EN: 0
; COMPUTE_PGM_RSRC2:USER_SGPR: 2
; COMPUTE_PGM_RSRC2:TRAP_HANDLER: 0
; COMPUTE_PGM_RSRC2:TGID_X_EN: 1
; COMPUTE_PGM_RSRC2:TGID_Y_EN: 0
; COMPUTE_PGM_RSRC2:TGID_Z_EN: 0
; COMPUTE_PGM_RSRC2:TIDIG_COMP_CNT: 0
	.section	.text._ZN7rocprim17ROCPRIM_400000_NS6detail17trampoline_kernelINS0_14default_configENS1_25partition_config_selectorILNS1_17partition_subalgoE6EiNS0_10empty_typeEbEEZZNS1_14partition_implILS5_6ELb0ES3_mN6thrust23THRUST_200600_302600_NS6detail15normal_iteratorINSA_10device_ptrIiEEEEPS6_SG_NS0_5tupleIJSF_S6_EEENSH_IJSG_SG_EEES6_PlJNSB_9not_fun_tI7is_evenIiEEEEEE10hipError_tPvRmT3_T4_T5_T6_T7_T9_mT8_P12ihipStream_tbDpT10_ENKUlT_T0_E_clISt17integral_constantIbLb1EES17_IbLb0EEEEDaS13_S14_EUlS13_E_NS1_11comp_targetILNS1_3genE4ELNS1_11target_archE910ELNS1_3gpuE8ELNS1_3repE0EEENS1_30default_config_static_selectorELNS0_4arch9wavefront6targetE0EEEvT1_,"axG",@progbits,_ZN7rocprim17ROCPRIM_400000_NS6detail17trampoline_kernelINS0_14default_configENS1_25partition_config_selectorILNS1_17partition_subalgoE6EiNS0_10empty_typeEbEEZZNS1_14partition_implILS5_6ELb0ES3_mN6thrust23THRUST_200600_302600_NS6detail15normal_iteratorINSA_10device_ptrIiEEEEPS6_SG_NS0_5tupleIJSF_S6_EEENSH_IJSG_SG_EEES6_PlJNSB_9not_fun_tI7is_evenIiEEEEEE10hipError_tPvRmT3_T4_T5_T6_T7_T9_mT8_P12ihipStream_tbDpT10_ENKUlT_T0_E_clISt17integral_constantIbLb1EES17_IbLb0EEEEDaS13_S14_EUlS13_E_NS1_11comp_targetILNS1_3genE4ELNS1_11target_archE910ELNS1_3gpuE8ELNS1_3repE0EEENS1_30default_config_static_selectorELNS0_4arch9wavefront6targetE0EEEvT1_,comdat
	.protected	_ZN7rocprim17ROCPRIM_400000_NS6detail17trampoline_kernelINS0_14default_configENS1_25partition_config_selectorILNS1_17partition_subalgoE6EiNS0_10empty_typeEbEEZZNS1_14partition_implILS5_6ELb0ES3_mN6thrust23THRUST_200600_302600_NS6detail15normal_iteratorINSA_10device_ptrIiEEEEPS6_SG_NS0_5tupleIJSF_S6_EEENSH_IJSG_SG_EEES6_PlJNSB_9not_fun_tI7is_evenIiEEEEEE10hipError_tPvRmT3_T4_T5_T6_T7_T9_mT8_P12ihipStream_tbDpT10_ENKUlT_T0_E_clISt17integral_constantIbLb1EES17_IbLb0EEEEDaS13_S14_EUlS13_E_NS1_11comp_targetILNS1_3genE4ELNS1_11target_archE910ELNS1_3gpuE8ELNS1_3repE0EEENS1_30default_config_static_selectorELNS0_4arch9wavefront6targetE0EEEvT1_ ; -- Begin function _ZN7rocprim17ROCPRIM_400000_NS6detail17trampoline_kernelINS0_14default_configENS1_25partition_config_selectorILNS1_17partition_subalgoE6EiNS0_10empty_typeEbEEZZNS1_14partition_implILS5_6ELb0ES3_mN6thrust23THRUST_200600_302600_NS6detail15normal_iteratorINSA_10device_ptrIiEEEEPS6_SG_NS0_5tupleIJSF_S6_EEENSH_IJSG_SG_EEES6_PlJNSB_9not_fun_tI7is_evenIiEEEEEE10hipError_tPvRmT3_T4_T5_T6_T7_T9_mT8_P12ihipStream_tbDpT10_ENKUlT_T0_E_clISt17integral_constantIbLb1EES17_IbLb0EEEEDaS13_S14_EUlS13_E_NS1_11comp_targetILNS1_3genE4ELNS1_11target_archE910ELNS1_3gpuE8ELNS1_3repE0EEENS1_30default_config_static_selectorELNS0_4arch9wavefront6targetE0EEEvT1_
	.globl	_ZN7rocprim17ROCPRIM_400000_NS6detail17trampoline_kernelINS0_14default_configENS1_25partition_config_selectorILNS1_17partition_subalgoE6EiNS0_10empty_typeEbEEZZNS1_14partition_implILS5_6ELb0ES3_mN6thrust23THRUST_200600_302600_NS6detail15normal_iteratorINSA_10device_ptrIiEEEEPS6_SG_NS0_5tupleIJSF_S6_EEENSH_IJSG_SG_EEES6_PlJNSB_9not_fun_tI7is_evenIiEEEEEE10hipError_tPvRmT3_T4_T5_T6_T7_T9_mT8_P12ihipStream_tbDpT10_ENKUlT_T0_E_clISt17integral_constantIbLb1EES17_IbLb0EEEEDaS13_S14_EUlS13_E_NS1_11comp_targetILNS1_3genE4ELNS1_11target_archE910ELNS1_3gpuE8ELNS1_3repE0EEENS1_30default_config_static_selectorELNS0_4arch9wavefront6targetE0EEEvT1_
	.p2align	8
	.type	_ZN7rocprim17ROCPRIM_400000_NS6detail17trampoline_kernelINS0_14default_configENS1_25partition_config_selectorILNS1_17partition_subalgoE6EiNS0_10empty_typeEbEEZZNS1_14partition_implILS5_6ELb0ES3_mN6thrust23THRUST_200600_302600_NS6detail15normal_iteratorINSA_10device_ptrIiEEEEPS6_SG_NS0_5tupleIJSF_S6_EEENSH_IJSG_SG_EEES6_PlJNSB_9not_fun_tI7is_evenIiEEEEEE10hipError_tPvRmT3_T4_T5_T6_T7_T9_mT8_P12ihipStream_tbDpT10_ENKUlT_T0_E_clISt17integral_constantIbLb1EES17_IbLb0EEEEDaS13_S14_EUlS13_E_NS1_11comp_targetILNS1_3genE4ELNS1_11target_archE910ELNS1_3gpuE8ELNS1_3repE0EEENS1_30default_config_static_selectorELNS0_4arch9wavefront6targetE0EEEvT1_,@function
_ZN7rocprim17ROCPRIM_400000_NS6detail17trampoline_kernelINS0_14default_configENS1_25partition_config_selectorILNS1_17partition_subalgoE6EiNS0_10empty_typeEbEEZZNS1_14partition_implILS5_6ELb0ES3_mN6thrust23THRUST_200600_302600_NS6detail15normal_iteratorINSA_10device_ptrIiEEEEPS6_SG_NS0_5tupleIJSF_S6_EEENSH_IJSG_SG_EEES6_PlJNSB_9not_fun_tI7is_evenIiEEEEEE10hipError_tPvRmT3_T4_T5_T6_T7_T9_mT8_P12ihipStream_tbDpT10_ENKUlT_T0_E_clISt17integral_constantIbLb1EES17_IbLb0EEEEDaS13_S14_EUlS13_E_NS1_11comp_targetILNS1_3genE4ELNS1_11target_archE910ELNS1_3gpuE8ELNS1_3repE0EEENS1_30default_config_static_selectorELNS0_4arch9wavefront6targetE0EEEvT1_: ; @_ZN7rocprim17ROCPRIM_400000_NS6detail17trampoline_kernelINS0_14default_configENS1_25partition_config_selectorILNS1_17partition_subalgoE6EiNS0_10empty_typeEbEEZZNS1_14partition_implILS5_6ELb0ES3_mN6thrust23THRUST_200600_302600_NS6detail15normal_iteratorINSA_10device_ptrIiEEEEPS6_SG_NS0_5tupleIJSF_S6_EEENSH_IJSG_SG_EEES6_PlJNSB_9not_fun_tI7is_evenIiEEEEEE10hipError_tPvRmT3_T4_T5_T6_T7_T9_mT8_P12ihipStream_tbDpT10_ENKUlT_T0_E_clISt17integral_constantIbLb1EES17_IbLb0EEEEDaS13_S14_EUlS13_E_NS1_11comp_targetILNS1_3genE4ELNS1_11target_archE910ELNS1_3gpuE8ELNS1_3repE0EEENS1_30default_config_static_selectorELNS0_4arch9wavefront6targetE0EEEvT1_
; %bb.0:
	.section	.rodata,"a",@progbits
	.p2align	6, 0x0
	.amdhsa_kernel _ZN7rocprim17ROCPRIM_400000_NS6detail17trampoline_kernelINS0_14default_configENS1_25partition_config_selectorILNS1_17partition_subalgoE6EiNS0_10empty_typeEbEEZZNS1_14partition_implILS5_6ELb0ES3_mN6thrust23THRUST_200600_302600_NS6detail15normal_iteratorINSA_10device_ptrIiEEEEPS6_SG_NS0_5tupleIJSF_S6_EEENSH_IJSG_SG_EEES6_PlJNSB_9not_fun_tI7is_evenIiEEEEEE10hipError_tPvRmT3_T4_T5_T6_T7_T9_mT8_P12ihipStream_tbDpT10_ENKUlT_T0_E_clISt17integral_constantIbLb1EES17_IbLb0EEEEDaS13_S14_EUlS13_E_NS1_11comp_targetILNS1_3genE4ELNS1_11target_archE910ELNS1_3gpuE8ELNS1_3repE0EEENS1_30default_config_static_selectorELNS0_4arch9wavefront6targetE0EEEvT1_
		.amdhsa_group_segment_fixed_size 0
		.amdhsa_private_segment_fixed_size 0
		.amdhsa_kernarg_size 112
		.amdhsa_user_sgpr_count 2
		.amdhsa_user_sgpr_dispatch_ptr 0
		.amdhsa_user_sgpr_queue_ptr 0
		.amdhsa_user_sgpr_kernarg_segment_ptr 1
		.amdhsa_user_sgpr_dispatch_id 0
		.amdhsa_user_sgpr_private_segment_size 0
		.amdhsa_wavefront_size32 1
		.amdhsa_uses_dynamic_stack 0
		.amdhsa_enable_private_segment 0
		.amdhsa_system_sgpr_workgroup_id_x 1
		.amdhsa_system_sgpr_workgroup_id_y 0
		.amdhsa_system_sgpr_workgroup_id_z 0
		.amdhsa_system_sgpr_workgroup_info 0
		.amdhsa_system_vgpr_workitem_id 0
		.amdhsa_next_free_vgpr 1
		.amdhsa_next_free_sgpr 1
		.amdhsa_reserve_vcc 0
		.amdhsa_float_round_mode_32 0
		.amdhsa_float_round_mode_16_64 0
		.amdhsa_float_denorm_mode_32 3
		.amdhsa_float_denorm_mode_16_64 3
		.amdhsa_fp16_overflow 0
		.amdhsa_workgroup_processor_mode 1
		.amdhsa_memory_ordered 1
		.amdhsa_forward_progress 1
		.amdhsa_inst_pref_size 0
		.amdhsa_round_robin_scheduling 0
		.amdhsa_exception_fp_ieee_invalid_op 0
		.amdhsa_exception_fp_denorm_src 0
		.amdhsa_exception_fp_ieee_div_zero 0
		.amdhsa_exception_fp_ieee_overflow 0
		.amdhsa_exception_fp_ieee_underflow 0
		.amdhsa_exception_fp_ieee_inexact 0
		.amdhsa_exception_int_div_zero 0
	.end_amdhsa_kernel
	.section	.text._ZN7rocprim17ROCPRIM_400000_NS6detail17trampoline_kernelINS0_14default_configENS1_25partition_config_selectorILNS1_17partition_subalgoE6EiNS0_10empty_typeEbEEZZNS1_14partition_implILS5_6ELb0ES3_mN6thrust23THRUST_200600_302600_NS6detail15normal_iteratorINSA_10device_ptrIiEEEEPS6_SG_NS0_5tupleIJSF_S6_EEENSH_IJSG_SG_EEES6_PlJNSB_9not_fun_tI7is_evenIiEEEEEE10hipError_tPvRmT3_T4_T5_T6_T7_T9_mT8_P12ihipStream_tbDpT10_ENKUlT_T0_E_clISt17integral_constantIbLb1EES17_IbLb0EEEEDaS13_S14_EUlS13_E_NS1_11comp_targetILNS1_3genE4ELNS1_11target_archE910ELNS1_3gpuE8ELNS1_3repE0EEENS1_30default_config_static_selectorELNS0_4arch9wavefront6targetE0EEEvT1_,"axG",@progbits,_ZN7rocprim17ROCPRIM_400000_NS6detail17trampoline_kernelINS0_14default_configENS1_25partition_config_selectorILNS1_17partition_subalgoE6EiNS0_10empty_typeEbEEZZNS1_14partition_implILS5_6ELb0ES3_mN6thrust23THRUST_200600_302600_NS6detail15normal_iteratorINSA_10device_ptrIiEEEEPS6_SG_NS0_5tupleIJSF_S6_EEENSH_IJSG_SG_EEES6_PlJNSB_9not_fun_tI7is_evenIiEEEEEE10hipError_tPvRmT3_T4_T5_T6_T7_T9_mT8_P12ihipStream_tbDpT10_ENKUlT_T0_E_clISt17integral_constantIbLb1EES17_IbLb0EEEEDaS13_S14_EUlS13_E_NS1_11comp_targetILNS1_3genE4ELNS1_11target_archE910ELNS1_3gpuE8ELNS1_3repE0EEENS1_30default_config_static_selectorELNS0_4arch9wavefront6targetE0EEEvT1_,comdat
.Lfunc_end743:
	.size	_ZN7rocprim17ROCPRIM_400000_NS6detail17trampoline_kernelINS0_14default_configENS1_25partition_config_selectorILNS1_17partition_subalgoE6EiNS0_10empty_typeEbEEZZNS1_14partition_implILS5_6ELb0ES3_mN6thrust23THRUST_200600_302600_NS6detail15normal_iteratorINSA_10device_ptrIiEEEEPS6_SG_NS0_5tupleIJSF_S6_EEENSH_IJSG_SG_EEES6_PlJNSB_9not_fun_tI7is_evenIiEEEEEE10hipError_tPvRmT3_T4_T5_T6_T7_T9_mT8_P12ihipStream_tbDpT10_ENKUlT_T0_E_clISt17integral_constantIbLb1EES17_IbLb0EEEEDaS13_S14_EUlS13_E_NS1_11comp_targetILNS1_3genE4ELNS1_11target_archE910ELNS1_3gpuE8ELNS1_3repE0EEENS1_30default_config_static_selectorELNS0_4arch9wavefront6targetE0EEEvT1_, .Lfunc_end743-_ZN7rocprim17ROCPRIM_400000_NS6detail17trampoline_kernelINS0_14default_configENS1_25partition_config_selectorILNS1_17partition_subalgoE6EiNS0_10empty_typeEbEEZZNS1_14partition_implILS5_6ELb0ES3_mN6thrust23THRUST_200600_302600_NS6detail15normal_iteratorINSA_10device_ptrIiEEEEPS6_SG_NS0_5tupleIJSF_S6_EEENSH_IJSG_SG_EEES6_PlJNSB_9not_fun_tI7is_evenIiEEEEEE10hipError_tPvRmT3_T4_T5_T6_T7_T9_mT8_P12ihipStream_tbDpT10_ENKUlT_T0_E_clISt17integral_constantIbLb1EES17_IbLb0EEEEDaS13_S14_EUlS13_E_NS1_11comp_targetILNS1_3genE4ELNS1_11target_archE910ELNS1_3gpuE8ELNS1_3repE0EEENS1_30default_config_static_selectorELNS0_4arch9wavefront6targetE0EEEvT1_
                                        ; -- End function
	.set _ZN7rocprim17ROCPRIM_400000_NS6detail17trampoline_kernelINS0_14default_configENS1_25partition_config_selectorILNS1_17partition_subalgoE6EiNS0_10empty_typeEbEEZZNS1_14partition_implILS5_6ELb0ES3_mN6thrust23THRUST_200600_302600_NS6detail15normal_iteratorINSA_10device_ptrIiEEEEPS6_SG_NS0_5tupleIJSF_S6_EEENSH_IJSG_SG_EEES6_PlJNSB_9not_fun_tI7is_evenIiEEEEEE10hipError_tPvRmT3_T4_T5_T6_T7_T9_mT8_P12ihipStream_tbDpT10_ENKUlT_T0_E_clISt17integral_constantIbLb1EES17_IbLb0EEEEDaS13_S14_EUlS13_E_NS1_11comp_targetILNS1_3genE4ELNS1_11target_archE910ELNS1_3gpuE8ELNS1_3repE0EEENS1_30default_config_static_selectorELNS0_4arch9wavefront6targetE0EEEvT1_.num_vgpr, 0
	.set _ZN7rocprim17ROCPRIM_400000_NS6detail17trampoline_kernelINS0_14default_configENS1_25partition_config_selectorILNS1_17partition_subalgoE6EiNS0_10empty_typeEbEEZZNS1_14partition_implILS5_6ELb0ES3_mN6thrust23THRUST_200600_302600_NS6detail15normal_iteratorINSA_10device_ptrIiEEEEPS6_SG_NS0_5tupleIJSF_S6_EEENSH_IJSG_SG_EEES6_PlJNSB_9not_fun_tI7is_evenIiEEEEEE10hipError_tPvRmT3_T4_T5_T6_T7_T9_mT8_P12ihipStream_tbDpT10_ENKUlT_T0_E_clISt17integral_constantIbLb1EES17_IbLb0EEEEDaS13_S14_EUlS13_E_NS1_11comp_targetILNS1_3genE4ELNS1_11target_archE910ELNS1_3gpuE8ELNS1_3repE0EEENS1_30default_config_static_selectorELNS0_4arch9wavefront6targetE0EEEvT1_.num_agpr, 0
	.set _ZN7rocprim17ROCPRIM_400000_NS6detail17trampoline_kernelINS0_14default_configENS1_25partition_config_selectorILNS1_17partition_subalgoE6EiNS0_10empty_typeEbEEZZNS1_14partition_implILS5_6ELb0ES3_mN6thrust23THRUST_200600_302600_NS6detail15normal_iteratorINSA_10device_ptrIiEEEEPS6_SG_NS0_5tupleIJSF_S6_EEENSH_IJSG_SG_EEES6_PlJNSB_9not_fun_tI7is_evenIiEEEEEE10hipError_tPvRmT3_T4_T5_T6_T7_T9_mT8_P12ihipStream_tbDpT10_ENKUlT_T0_E_clISt17integral_constantIbLb1EES17_IbLb0EEEEDaS13_S14_EUlS13_E_NS1_11comp_targetILNS1_3genE4ELNS1_11target_archE910ELNS1_3gpuE8ELNS1_3repE0EEENS1_30default_config_static_selectorELNS0_4arch9wavefront6targetE0EEEvT1_.numbered_sgpr, 0
	.set _ZN7rocprim17ROCPRIM_400000_NS6detail17trampoline_kernelINS0_14default_configENS1_25partition_config_selectorILNS1_17partition_subalgoE6EiNS0_10empty_typeEbEEZZNS1_14partition_implILS5_6ELb0ES3_mN6thrust23THRUST_200600_302600_NS6detail15normal_iteratorINSA_10device_ptrIiEEEEPS6_SG_NS0_5tupleIJSF_S6_EEENSH_IJSG_SG_EEES6_PlJNSB_9not_fun_tI7is_evenIiEEEEEE10hipError_tPvRmT3_T4_T5_T6_T7_T9_mT8_P12ihipStream_tbDpT10_ENKUlT_T0_E_clISt17integral_constantIbLb1EES17_IbLb0EEEEDaS13_S14_EUlS13_E_NS1_11comp_targetILNS1_3genE4ELNS1_11target_archE910ELNS1_3gpuE8ELNS1_3repE0EEENS1_30default_config_static_selectorELNS0_4arch9wavefront6targetE0EEEvT1_.num_named_barrier, 0
	.set _ZN7rocprim17ROCPRIM_400000_NS6detail17trampoline_kernelINS0_14default_configENS1_25partition_config_selectorILNS1_17partition_subalgoE6EiNS0_10empty_typeEbEEZZNS1_14partition_implILS5_6ELb0ES3_mN6thrust23THRUST_200600_302600_NS6detail15normal_iteratorINSA_10device_ptrIiEEEEPS6_SG_NS0_5tupleIJSF_S6_EEENSH_IJSG_SG_EEES6_PlJNSB_9not_fun_tI7is_evenIiEEEEEE10hipError_tPvRmT3_T4_T5_T6_T7_T9_mT8_P12ihipStream_tbDpT10_ENKUlT_T0_E_clISt17integral_constantIbLb1EES17_IbLb0EEEEDaS13_S14_EUlS13_E_NS1_11comp_targetILNS1_3genE4ELNS1_11target_archE910ELNS1_3gpuE8ELNS1_3repE0EEENS1_30default_config_static_selectorELNS0_4arch9wavefront6targetE0EEEvT1_.private_seg_size, 0
	.set _ZN7rocprim17ROCPRIM_400000_NS6detail17trampoline_kernelINS0_14default_configENS1_25partition_config_selectorILNS1_17partition_subalgoE6EiNS0_10empty_typeEbEEZZNS1_14partition_implILS5_6ELb0ES3_mN6thrust23THRUST_200600_302600_NS6detail15normal_iteratorINSA_10device_ptrIiEEEEPS6_SG_NS0_5tupleIJSF_S6_EEENSH_IJSG_SG_EEES6_PlJNSB_9not_fun_tI7is_evenIiEEEEEE10hipError_tPvRmT3_T4_T5_T6_T7_T9_mT8_P12ihipStream_tbDpT10_ENKUlT_T0_E_clISt17integral_constantIbLb1EES17_IbLb0EEEEDaS13_S14_EUlS13_E_NS1_11comp_targetILNS1_3genE4ELNS1_11target_archE910ELNS1_3gpuE8ELNS1_3repE0EEENS1_30default_config_static_selectorELNS0_4arch9wavefront6targetE0EEEvT1_.uses_vcc, 0
	.set _ZN7rocprim17ROCPRIM_400000_NS6detail17trampoline_kernelINS0_14default_configENS1_25partition_config_selectorILNS1_17partition_subalgoE6EiNS0_10empty_typeEbEEZZNS1_14partition_implILS5_6ELb0ES3_mN6thrust23THRUST_200600_302600_NS6detail15normal_iteratorINSA_10device_ptrIiEEEEPS6_SG_NS0_5tupleIJSF_S6_EEENSH_IJSG_SG_EEES6_PlJNSB_9not_fun_tI7is_evenIiEEEEEE10hipError_tPvRmT3_T4_T5_T6_T7_T9_mT8_P12ihipStream_tbDpT10_ENKUlT_T0_E_clISt17integral_constantIbLb1EES17_IbLb0EEEEDaS13_S14_EUlS13_E_NS1_11comp_targetILNS1_3genE4ELNS1_11target_archE910ELNS1_3gpuE8ELNS1_3repE0EEENS1_30default_config_static_selectorELNS0_4arch9wavefront6targetE0EEEvT1_.uses_flat_scratch, 0
	.set _ZN7rocprim17ROCPRIM_400000_NS6detail17trampoline_kernelINS0_14default_configENS1_25partition_config_selectorILNS1_17partition_subalgoE6EiNS0_10empty_typeEbEEZZNS1_14partition_implILS5_6ELb0ES3_mN6thrust23THRUST_200600_302600_NS6detail15normal_iteratorINSA_10device_ptrIiEEEEPS6_SG_NS0_5tupleIJSF_S6_EEENSH_IJSG_SG_EEES6_PlJNSB_9not_fun_tI7is_evenIiEEEEEE10hipError_tPvRmT3_T4_T5_T6_T7_T9_mT8_P12ihipStream_tbDpT10_ENKUlT_T0_E_clISt17integral_constantIbLb1EES17_IbLb0EEEEDaS13_S14_EUlS13_E_NS1_11comp_targetILNS1_3genE4ELNS1_11target_archE910ELNS1_3gpuE8ELNS1_3repE0EEENS1_30default_config_static_selectorELNS0_4arch9wavefront6targetE0EEEvT1_.has_dyn_sized_stack, 0
	.set _ZN7rocprim17ROCPRIM_400000_NS6detail17trampoline_kernelINS0_14default_configENS1_25partition_config_selectorILNS1_17partition_subalgoE6EiNS0_10empty_typeEbEEZZNS1_14partition_implILS5_6ELb0ES3_mN6thrust23THRUST_200600_302600_NS6detail15normal_iteratorINSA_10device_ptrIiEEEEPS6_SG_NS0_5tupleIJSF_S6_EEENSH_IJSG_SG_EEES6_PlJNSB_9not_fun_tI7is_evenIiEEEEEE10hipError_tPvRmT3_T4_T5_T6_T7_T9_mT8_P12ihipStream_tbDpT10_ENKUlT_T0_E_clISt17integral_constantIbLb1EES17_IbLb0EEEEDaS13_S14_EUlS13_E_NS1_11comp_targetILNS1_3genE4ELNS1_11target_archE910ELNS1_3gpuE8ELNS1_3repE0EEENS1_30default_config_static_selectorELNS0_4arch9wavefront6targetE0EEEvT1_.has_recursion, 0
	.set _ZN7rocprim17ROCPRIM_400000_NS6detail17trampoline_kernelINS0_14default_configENS1_25partition_config_selectorILNS1_17partition_subalgoE6EiNS0_10empty_typeEbEEZZNS1_14partition_implILS5_6ELb0ES3_mN6thrust23THRUST_200600_302600_NS6detail15normal_iteratorINSA_10device_ptrIiEEEEPS6_SG_NS0_5tupleIJSF_S6_EEENSH_IJSG_SG_EEES6_PlJNSB_9not_fun_tI7is_evenIiEEEEEE10hipError_tPvRmT3_T4_T5_T6_T7_T9_mT8_P12ihipStream_tbDpT10_ENKUlT_T0_E_clISt17integral_constantIbLb1EES17_IbLb0EEEEDaS13_S14_EUlS13_E_NS1_11comp_targetILNS1_3genE4ELNS1_11target_archE910ELNS1_3gpuE8ELNS1_3repE0EEENS1_30default_config_static_selectorELNS0_4arch9wavefront6targetE0EEEvT1_.has_indirect_call, 0
	.section	.AMDGPU.csdata,"",@progbits
; Kernel info:
; codeLenInByte = 0
; TotalNumSgprs: 0
; NumVgprs: 0
; ScratchSize: 0
; MemoryBound: 0
; FloatMode: 240
; IeeeMode: 1
; LDSByteSize: 0 bytes/workgroup (compile time only)
; SGPRBlocks: 0
; VGPRBlocks: 0
; NumSGPRsForWavesPerEU: 1
; NumVGPRsForWavesPerEU: 1
; Occupancy: 16
; WaveLimiterHint : 0
; COMPUTE_PGM_RSRC2:SCRATCH_EN: 0
; COMPUTE_PGM_RSRC2:USER_SGPR: 2
; COMPUTE_PGM_RSRC2:TRAP_HANDLER: 0
; COMPUTE_PGM_RSRC2:TGID_X_EN: 1
; COMPUTE_PGM_RSRC2:TGID_Y_EN: 0
; COMPUTE_PGM_RSRC2:TGID_Z_EN: 0
; COMPUTE_PGM_RSRC2:TIDIG_COMP_CNT: 0
	.section	.text._ZN7rocprim17ROCPRIM_400000_NS6detail17trampoline_kernelINS0_14default_configENS1_25partition_config_selectorILNS1_17partition_subalgoE6EiNS0_10empty_typeEbEEZZNS1_14partition_implILS5_6ELb0ES3_mN6thrust23THRUST_200600_302600_NS6detail15normal_iteratorINSA_10device_ptrIiEEEEPS6_SG_NS0_5tupleIJSF_S6_EEENSH_IJSG_SG_EEES6_PlJNSB_9not_fun_tI7is_evenIiEEEEEE10hipError_tPvRmT3_T4_T5_T6_T7_T9_mT8_P12ihipStream_tbDpT10_ENKUlT_T0_E_clISt17integral_constantIbLb1EES17_IbLb0EEEEDaS13_S14_EUlS13_E_NS1_11comp_targetILNS1_3genE3ELNS1_11target_archE908ELNS1_3gpuE7ELNS1_3repE0EEENS1_30default_config_static_selectorELNS0_4arch9wavefront6targetE0EEEvT1_,"axG",@progbits,_ZN7rocprim17ROCPRIM_400000_NS6detail17trampoline_kernelINS0_14default_configENS1_25partition_config_selectorILNS1_17partition_subalgoE6EiNS0_10empty_typeEbEEZZNS1_14partition_implILS5_6ELb0ES3_mN6thrust23THRUST_200600_302600_NS6detail15normal_iteratorINSA_10device_ptrIiEEEEPS6_SG_NS0_5tupleIJSF_S6_EEENSH_IJSG_SG_EEES6_PlJNSB_9not_fun_tI7is_evenIiEEEEEE10hipError_tPvRmT3_T4_T5_T6_T7_T9_mT8_P12ihipStream_tbDpT10_ENKUlT_T0_E_clISt17integral_constantIbLb1EES17_IbLb0EEEEDaS13_S14_EUlS13_E_NS1_11comp_targetILNS1_3genE3ELNS1_11target_archE908ELNS1_3gpuE7ELNS1_3repE0EEENS1_30default_config_static_selectorELNS0_4arch9wavefront6targetE0EEEvT1_,comdat
	.protected	_ZN7rocprim17ROCPRIM_400000_NS6detail17trampoline_kernelINS0_14default_configENS1_25partition_config_selectorILNS1_17partition_subalgoE6EiNS0_10empty_typeEbEEZZNS1_14partition_implILS5_6ELb0ES3_mN6thrust23THRUST_200600_302600_NS6detail15normal_iteratorINSA_10device_ptrIiEEEEPS6_SG_NS0_5tupleIJSF_S6_EEENSH_IJSG_SG_EEES6_PlJNSB_9not_fun_tI7is_evenIiEEEEEE10hipError_tPvRmT3_T4_T5_T6_T7_T9_mT8_P12ihipStream_tbDpT10_ENKUlT_T0_E_clISt17integral_constantIbLb1EES17_IbLb0EEEEDaS13_S14_EUlS13_E_NS1_11comp_targetILNS1_3genE3ELNS1_11target_archE908ELNS1_3gpuE7ELNS1_3repE0EEENS1_30default_config_static_selectorELNS0_4arch9wavefront6targetE0EEEvT1_ ; -- Begin function _ZN7rocprim17ROCPRIM_400000_NS6detail17trampoline_kernelINS0_14default_configENS1_25partition_config_selectorILNS1_17partition_subalgoE6EiNS0_10empty_typeEbEEZZNS1_14partition_implILS5_6ELb0ES3_mN6thrust23THRUST_200600_302600_NS6detail15normal_iteratorINSA_10device_ptrIiEEEEPS6_SG_NS0_5tupleIJSF_S6_EEENSH_IJSG_SG_EEES6_PlJNSB_9not_fun_tI7is_evenIiEEEEEE10hipError_tPvRmT3_T4_T5_T6_T7_T9_mT8_P12ihipStream_tbDpT10_ENKUlT_T0_E_clISt17integral_constantIbLb1EES17_IbLb0EEEEDaS13_S14_EUlS13_E_NS1_11comp_targetILNS1_3genE3ELNS1_11target_archE908ELNS1_3gpuE7ELNS1_3repE0EEENS1_30default_config_static_selectorELNS0_4arch9wavefront6targetE0EEEvT1_
	.globl	_ZN7rocprim17ROCPRIM_400000_NS6detail17trampoline_kernelINS0_14default_configENS1_25partition_config_selectorILNS1_17partition_subalgoE6EiNS0_10empty_typeEbEEZZNS1_14partition_implILS5_6ELb0ES3_mN6thrust23THRUST_200600_302600_NS6detail15normal_iteratorINSA_10device_ptrIiEEEEPS6_SG_NS0_5tupleIJSF_S6_EEENSH_IJSG_SG_EEES6_PlJNSB_9not_fun_tI7is_evenIiEEEEEE10hipError_tPvRmT3_T4_T5_T6_T7_T9_mT8_P12ihipStream_tbDpT10_ENKUlT_T0_E_clISt17integral_constantIbLb1EES17_IbLb0EEEEDaS13_S14_EUlS13_E_NS1_11comp_targetILNS1_3genE3ELNS1_11target_archE908ELNS1_3gpuE7ELNS1_3repE0EEENS1_30default_config_static_selectorELNS0_4arch9wavefront6targetE0EEEvT1_
	.p2align	8
	.type	_ZN7rocprim17ROCPRIM_400000_NS6detail17trampoline_kernelINS0_14default_configENS1_25partition_config_selectorILNS1_17partition_subalgoE6EiNS0_10empty_typeEbEEZZNS1_14partition_implILS5_6ELb0ES3_mN6thrust23THRUST_200600_302600_NS6detail15normal_iteratorINSA_10device_ptrIiEEEEPS6_SG_NS0_5tupleIJSF_S6_EEENSH_IJSG_SG_EEES6_PlJNSB_9not_fun_tI7is_evenIiEEEEEE10hipError_tPvRmT3_T4_T5_T6_T7_T9_mT8_P12ihipStream_tbDpT10_ENKUlT_T0_E_clISt17integral_constantIbLb1EES17_IbLb0EEEEDaS13_S14_EUlS13_E_NS1_11comp_targetILNS1_3genE3ELNS1_11target_archE908ELNS1_3gpuE7ELNS1_3repE0EEENS1_30default_config_static_selectorELNS0_4arch9wavefront6targetE0EEEvT1_,@function
_ZN7rocprim17ROCPRIM_400000_NS6detail17trampoline_kernelINS0_14default_configENS1_25partition_config_selectorILNS1_17partition_subalgoE6EiNS0_10empty_typeEbEEZZNS1_14partition_implILS5_6ELb0ES3_mN6thrust23THRUST_200600_302600_NS6detail15normal_iteratorINSA_10device_ptrIiEEEEPS6_SG_NS0_5tupleIJSF_S6_EEENSH_IJSG_SG_EEES6_PlJNSB_9not_fun_tI7is_evenIiEEEEEE10hipError_tPvRmT3_T4_T5_T6_T7_T9_mT8_P12ihipStream_tbDpT10_ENKUlT_T0_E_clISt17integral_constantIbLb1EES17_IbLb0EEEEDaS13_S14_EUlS13_E_NS1_11comp_targetILNS1_3genE3ELNS1_11target_archE908ELNS1_3gpuE7ELNS1_3repE0EEENS1_30default_config_static_selectorELNS0_4arch9wavefront6targetE0EEEvT1_: ; @_ZN7rocprim17ROCPRIM_400000_NS6detail17trampoline_kernelINS0_14default_configENS1_25partition_config_selectorILNS1_17partition_subalgoE6EiNS0_10empty_typeEbEEZZNS1_14partition_implILS5_6ELb0ES3_mN6thrust23THRUST_200600_302600_NS6detail15normal_iteratorINSA_10device_ptrIiEEEEPS6_SG_NS0_5tupleIJSF_S6_EEENSH_IJSG_SG_EEES6_PlJNSB_9not_fun_tI7is_evenIiEEEEEE10hipError_tPvRmT3_T4_T5_T6_T7_T9_mT8_P12ihipStream_tbDpT10_ENKUlT_T0_E_clISt17integral_constantIbLb1EES17_IbLb0EEEEDaS13_S14_EUlS13_E_NS1_11comp_targetILNS1_3genE3ELNS1_11target_archE908ELNS1_3gpuE7ELNS1_3repE0EEENS1_30default_config_static_selectorELNS0_4arch9wavefront6targetE0EEEvT1_
; %bb.0:
	.section	.rodata,"a",@progbits
	.p2align	6, 0x0
	.amdhsa_kernel _ZN7rocprim17ROCPRIM_400000_NS6detail17trampoline_kernelINS0_14default_configENS1_25partition_config_selectorILNS1_17partition_subalgoE6EiNS0_10empty_typeEbEEZZNS1_14partition_implILS5_6ELb0ES3_mN6thrust23THRUST_200600_302600_NS6detail15normal_iteratorINSA_10device_ptrIiEEEEPS6_SG_NS0_5tupleIJSF_S6_EEENSH_IJSG_SG_EEES6_PlJNSB_9not_fun_tI7is_evenIiEEEEEE10hipError_tPvRmT3_T4_T5_T6_T7_T9_mT8_P12ihipStream_tbDpT10_ENKUlT_T0_E_clISt17integral_constantIbLb1EES17_IbLb0EEEEDaS13_S14_EUlS13_E_NS1_11comp_targetILNS1_3genE3ELNS1_11target_archE908ELNS1_3gpuE7ELNS1_3repE0EEENS1_30default_config_static_selectorELNS0_4arch9wavefront6targetE0EEEvT1_
		.amdhsa_group_segment_fixed_size 0
		.amdhsa_private_segment_fixed_size 0
		.amdhsa_kernarg_size 112
		.amdhsa_user_sgpr_count 2
		.amdhsa_user_sgpr_dispatch_ptr 0
		.amdhsa_user_sgpr_queue_ptr 0
		.amdhsa_user_sgpr_kernarg_segment_ptr 1
		.amdhsa_user_sgpr_dispatch_id 0
		.amdhsa_user_sgpr_private_segment_size 0
		.amdhsa_wavefront_size32 1
		.amdhsa_uses_dynamic_stack 0
		.amdhsa_enable_private_segment 0
		.amdhsa_system_sgpr_workgroup_id_x 1
		.amdhsa_system_sgpr_workgroup_id_y 0
		.amdhsa_system_sgpr_workgroup_id_z 0
		.amdhsa_system_sgpr_workgroup_info 0
		.amdhsa_system_vgpr_workitem_id 0
		.amdhsa_next_free_vgpr 1
		.amdhsa_next_free_sgpr 1
		.amdhsa_reserve_vcc 0
		.amdhsa_float_round_mode_32 0
		.amdhsa_float_round_mode_16_64 0
		.amdhsa_float_denorm_mode_32 3
		.amdhsa_float_denorm_mode_16_64 3
		.amdhsa_fp16_overflow 0
		.amdhsa_workgroup_processor_mode 1
		.amdhsa_memory_ordered 1
		.amdhsa_forward_progress 1
		.amdhsa_inst_pref_size 0
		.amdhsa_round_robin_scheduling 0
		.amdhsa_exception_fp_ieee_invalid_op 0
		.amdhsa_exception_fp_denorm_src 0
		.amdhsa_exception_fp_ieee_div_zero 0
		.amdhsa_exception_fp_ieee_overflow 0
		.amdhsa_exception_fp_ieee_underflow 0
		.amdhsa_exception_fp_ieee_inexact 0
		.amdhsa_exception_int_div_zero 0
	.end_amdhsa_kernel
	.section	.text._ZN7rocprim17ROCPRIM_400000_NS6detail17trampoline_kernelINS0_14default_configENS1_25partition_config_selectorILNS1_17partition_subalgoE6EiNS0_10empty_typeEbEEZZNS1_14partition_implILS5_6ELb0ES3_mN6thrust23THRUST_200600_302600_NS6detail15normal_iteratorINSA_10device_ptrIiEEEEPS6_SG_NS0_5tupleIJSF_S6_EEENSH_IJSG_SG_EEES6_PlJNSB_9not_fun_tI7is_evenIiEEEEEE10hipError_tPvRmT3_T4_T5_T6_T7_T9_mT8_P12ihipStream_tbDpT10_ENKUlT_T0_E_clISt17integral_constantIbLb1EES17_IbLb0EEEEDaS13_S14_EUlS13_E_NS1_11comp_targetILNS1_3genE3ELNS1_11target_archE908ELNS1_3gpuE7ELNS1_3repE0EEENS1_30default_config_static_selectorELNS0_4arch9wavefront6targetE0EEEvT1_,"axG",@progbits,_ZN7rocprim17ROCPRIM_400000_NS6detail17trampoline_kernelINS0_14default_configENS1_25partition_config_selectorILNS1_17partition_subalgoE6EiNS0_10empty_typeEbEEZZNS1_14partition_implILS5_6ELb0ES3_mN6thrust23THRUST_200600_302600_NS6detail15normal_iteratorINSA_10device_ptrIiEEEEPS6_SG_NS0_5tupleIJSF_S6_EEENSH_IJSG_SG_EEES6_PlJNSB_9not_fun_tI7is_evenIiEEEEEE10hipError_tPvRmT3_T4_T5_T6_T7_T9_mT8_P12ihipStream_tbDpT10_ENKUlT_T0_E_clISt17integral_constantIbLb1EES17_IbLb0EEEEDaS13_S14_EUlS13_E_NS1_11comp_targetILNS1_3genE3ELNS1_11target_archE908ELNS1_3gpuE7ELNS1_3repE0EEENS1_30default_config_static_selectorELNS0_4arch9wavefront6targetE0EEEvT1_,comdat
.Lfunc_end744:
	.size	_ZN7rocprim17ROCPRIM_400000_NS6detail17trampoline_kernelINS0_14default_configENS1_25partition_config_selectorILNS1_17partition_subalgoE6EiNS0_10empty_typeEbEEZZNS1_14partition_implILS5_6ELb0ES3_mN6thrust23THRUST_200600_302600_NS6detail15normal_iteratorINSA_10device_ptrIiEEEEPS6_SG_NS0_5tupleIJSF_S6_EEENSH_IJSG_SG_EEES6_PlJNSB_9not_fun_tI7is_evenIiEEEEEE10hipError_tPvRmT3_T4_T5_T6_T7_T9_mT8_P12ihipStream_tbDpT10_ENKUlT_T0_E_clISt17integral_constantIbLb1EES17_IbLb0EEEEDaS13_S14_EUlS13_E_NS1_11comp_targetILNS1_3genE3ELNS1_11target_archE908ELNS1_3gpuE7ELNS1_3repE0EEENS1_30default_config_static_selectorELNS0_4arch9wavefront6targetE0EEEvT1_, .Lfunc_end744-_ZN7rocprim17ROCPRIM_400000_NS6detail17trampoline_kernelINS0_14default_configENS1_25partition_config_selectorILNS1_17partition_subalgoE6EiNS0_10empty_typeEbEEZZNS1_14partition_implILS5_6ELb0ES3_mN6thrust23THRUST_200600_302600_NS6detail15normal_iteratorINSA_10device_ptrIiEEEEPS6_SG_NS0_5tupleIJSF_S6_EEENSH_IJSG_SG_EEES6_PlJNSB_9not_fun_tI7is_evenIiEEEEEE10hipError_tPvRmT3_T4_T5_T6_T7_T9_mT8_P12ihipStream_tbDpT10_ENKUlT_T0_E_clISt17integral_constantIbLb1EES17_IbLb0EEEEDaS13_S14_EUlS13_E_NS1_11comp_targetILNS1_3genE3ELNS1_11target_archE908ELNS1_3gpuE7ELNS1_3repE0EEENS1_30default_config_static_selectorELNS0_4arch9wavefront6targetE0EEEvT1_
                                        ; -- End function
	.set _ZN7rocprim17ROCPRIM_400000_NS6detail17trampoline_kernelINS0_14default_configENS1_25partition_config_selectorILNS1_17partition_subalgoE6EiNS0_10empty_typeEbEEZZNS1_14partition_implILS5_6ELb0ES3_mN6thrust23THRUST_200600_302600_NS6detail15normal_iteratorINSA_10device_ptrIiEEEEPS6_SG_NS0_5tupleIJSF_S6_EEENSH_IJSG_SG_EEES6_PlJNSB_9not_fun_tI7is_evenIiEEEEEE10hipError_tPvRmT3_T4_T5_T6_T7_T9_mT8_P12ihipStream_tbDpT10_ENKUlT_T0_E_clISt17integral_constantIbLb1EES17_IbLb0EEEEDaS13_S14_EUlS13_E_NS1_11comp_targetILNS1_3genE3ELNS1_11target_archE908ELNS1_3gpuE7ELNS1_3repE0EEENS1_30default_config_static_selectorELNS0_4arch9wavefront6targetE0EEEvT1_.num_vgpr, 0
	.set _ZN7rocprim17ROCPRIM_400000_NS6detail17trampoline_kernelINS0_14default_configENS1_25partition_config_selectorILNS1_17partition_subalgoE6EiNS0_10empty_typeEbEEZZNS1_14partition_implILS5_6ELb0ES3_mN6thrust23THRUST_200600_302600_NS6detail15normal_iteratorINSA_10device_ptrIiEEEEPS6_SG_NS0_5tupleIJSF_S6_EEENSH_IJSG_SG_EEES6_PlJNSB_9not_fun_tI7is_evenIiEEEEEE10hipError_tPvRmT3_T4_T5_T6_T7_T9_mT8_P12ihipStream_tbDpT10_ENKUlT_T0_E_clISt17integral_constantIbLb1EES17_IbLb0EEEEDaS13_S14_EUlS13_E_NS1_11comp_targetILNS1_3genE3ELNS1_11target_archE908ELNS1_3gpuE7ELNS1_3repE0EEENS1_30default_config_static_selectorELNS0_4arch9wavefront6targetE0EEEvT1_.num_agpr, 0
	.set _ZN7rocprim17ROCPRIM_400000_NS6detail17trampoline_kernelINS0_14default_configENS1_25partition_config_selectorILNS1_17partition_subalgoE6EiNS0_10empty_typeEbEEZZNS1_14partition_implILS5_6ELb0ES3_mN6thrust23THRUST_200600_302600_NS6detail15normal_iteratorINSA_10device_ptrIiEEEEPS6_SG_NS0_5tupleIJSF_S6_EEENSH_IJSG_SG_EEES6_PlJNSB_9not_fun_tI7is_evenIiEEEEEE10hipError_tPvRmT3_T4_T5_T6_T7_T9_mT8_P12ihipStream_tbDpT10_ENKUlT_T0_E_clISt17integral_constantIbLb1EES17_IbLb0EEEEDaS13_S14_EUlS13_E_NS1_11comp_targetILNS1_3genE3ELNS1_11target_archE908ELNS1_3gpuE7ELNS1_3repE0EEENS1_30default_config_static_selectorELNS0_4arch9wavefront6targetE0EEEvT1_.numbered_sgpr, 0
	.set _ZN7rocprim17ROCPRIM_400000_NS6detail17trampoline_kernelINS0_14default_configENS1_25partition_config_selectorILNS1_17partition_subalgoE6EiNS0_10empty_typeEbEEZZNS1_14partition_implILS5_6ELb0ES3_mN6thrust23THRUST_200600_302600_NS6detail15normal_iteratorINSA_10device_ptrIiEEEEPS6_SG_NS0_5tupleIJSF_S6_EEENSH_IJSG_SG_EEES6_PlJNSB_9not_fun_tI7is_evenIiEEEEEE10hipError_tPvRmT3_T4_T5_T6_T7_T9_mT8_P12ihipStream_tbDpT10_ENKUlT_T0_E_clISt17integral_constantIbLb1EES17_IbLb0EEEEDaS13_S14_EUlS13_E_NS1_11comp_targetILNS1_3genE3ELNS1_11target_archE908ELNS1_3gpuE7ELNS1_3repE0EEENS1_30default_config_static_selectorELNS0_4arch9wavefront6targetE0EEEvT1_.num_named_barrier, 0
	.set _ZN7rocprim17ROCPRIM_400000_NS6detail17trampoline_kernelINS0_14default_configENS1_25partition_config_selectorILNS1_17partition_subalgoE6EiNS0_10empty_typeEbEEZZNS1_14partition_implILS5_6ELb0ES3_mN6thrust23THRUST_200600_302600_NS6detail15normal_iteratorINSA_10device_ptrIiEEEEPS6_SG_NS0_5tupleIJSF_S6_EEENSH_IJSG_SG_EEES6_PlJNSB_9not_fun_tI7is_evenIiEEEEEE10hipError_tPvRmT3_T4_T5_T6_T7_T9_mT8_P12ihipStream_tbDpT10_ENKUlT_T0_E_clISt17integral_constantIbLb1EES17_IbLb0EEEEDaS13_S14_EUlS13_E_NS1_11comp_targetILNS1_3genE3ELNS1_11target_archE908ELNS1_3gpuE7ELNS1_3repE0EEENS1_30default_config_static_selectorELNS0_4arch9wavefront6targetE0EEEvT1_.private_seg_size, 0
	.set _ZN7rocprim17ROCPRIM_400000_NS6detail17trampoline_kernelINS0_14default_configENS1_25partition_config_selectorILNS1_17partition_subalgoE6EiNS0_10empty_typeEbEEZZNS1_14partition_implILS5_6ELb0ES3_mN6thrust23THRUST_200600_302600_NS6detail15normal_iteratorINSA_10device_ptrIiEEEEPS6_SG_NS0_5tupleIJSF_S6_EEENSH_IJSG_SG_EEES6_PlJNSB_9not_fun_tI7is_evenIiEEEEEE10hipError_tPvRmT3_T4_T5_T6_T7_T9_mT8_P12ihipStream_tbDpT10_ENKUlT_T0_E_clISt17integral_constantIbLb1EES17_IbLb0EEEEDaS13_S14_EUlS13_E_NS1_11comp_targetILNS1_3genE3ELNS1_11target_archE908ELNS1_3gpuE7ELNS1_3repE0EEENS1_30default_config_static_selectorELNS0_4arch9wavefront6targetE0EEEvT1_.uses_vcc, 0
	.set _ZN7rocprim17ROCPRIM_400000_NS6detail17trampoline_kernelINS0_14default_configENS1_25partition_config_selectorILNS1_17partition_subalgoE6EiNS0_10empty_typeEbEEZZNS1_14partition_implILS5_6ELb0ES3_mN6thrust23THRUST_200600_302600_NS6detail15normal_iteratorINSA_10device_ptrIiEEEEPS6_SG_NS0_5tupleIJSF_S6_EEENSH_IJSG_SG_EEES6_PlJNSB_9not_fun_tI7is_evenIiEEEEEE10hipError_tPvRmT3_T4_T5_T6_T7_T9_mT8_P12ihipStream_tbDpT10_ENKUlT_T0_E_clISt17integral_constantIbLb1EES17_IbLb0EEEEDaS13_S14_EUlS13_E_NS1_11comp_targetILNS1_3genE3ELNS1_11target_archE908ELNS1_3gpuE7ELNS1_3repE0EEENS1_30default_config_static_selectorELNS0_4arch9wavefront6targetE0EEEvT1_.uses_flat_scratch, 0
	.set _ZN7rocprim17ROCPRIM_400000_NS6detail17trampoline_kernelINS0_14default_configENS1_25partition_config_selectorILNS1_17partition_subalgoE6EiNS0_10empty_typeEbEEZZNS1_14partition_implILS5_6ELb0ES3_mN6thrust23THRUST_200600_302600_NS6detail15normal_iteratorINSA_10device_ptrIiEEEEPS6_SG_NS0_5tupleIJSF_S6_EEENSH_IJSG_SG_EEES6_PlJNSB_9not_fun_tI7is_evenIiEEEEEE10hipError_tPvRmT3_T4_T5_T6_T7_T9_mT8_P12ihipStream_tbDpT10_ENKUlT_T0_E_clISt17integral_constantIbLb1EES17_IbLb0EEEEDaS13_S14_EUlS13_E_NS1_11comp_targetILNS1_3genE3ELNS1_11target_archE908ELNS1_3gpuE7ELNS1_3repE0EEENS1_30default_config_static_selectorELNS0_4arch9wavefront6targetE0EEEvT1_.has_dyn_sized_stack, 0
	.set _ZN7rocprim17ROCPRIM_400000_NS6detail17trampoline_kernelINS0_14default_configENS1_25partition_config_selectorILNS1_17partition_subalgoE6EiNS0_10empty_typeEbEEZZNS1_14partition_implILS5_6ELb0ES3_mN6thrust23THRUST_200600_302600_NS6detail15normal_iteratorINSA_10device_ptrIiEEEEPS6_SG_NS0_5tupleIJSF_S6_EEENSH_IJSG_SG_EEES6_PlJNSB_9not_fun_tI7is_evenIiEEEEEE10hipError_tPvRmT3_T4_T5_T6_T7_T9_mT8_P12ihipStream_tbDpT10_ENKUlT_T0_E_clISt17integral_constantIbLb1EES17_IbLb0EEEEDaS13_S14_EUlS13_E_NS1_11comp_targetILNS1_3genE3ELNS1_11target_archE908ELNS1_3gpuE7ELNS1_3repE0EEENS1_30default_config_static_selectorELNS0_4arch9wavefront6targetE0EEEvT1_.has_recursion, 0
	.set _ZN7rocprim17ROCPRIM_400000_NS6detail17trampoline_kernelINS0_14default_configENS1_25partition_config_selectorILNS1_17partition_subalgoE6EiNS0_10empty_typeEbEEZZNS1_14partition_implILS5_6ELb0ES3_mN6thrust23THRUST_200600_302600_NS6detail15normal_iteratorINSA_10device_ptrIiEEEEPS6_SG_NS0_5tupleIJSF_S6_EEENSH_IJSG_SG_EEES6_PlJNSB_9not_fun_tI7is_evenIiEEEEEE10hipError_tPvRmT3_T4_T5_T6_T7_T9_mT8_P12ihipStream_tbDpT10_ENKUlT_T0_E_clISt17integral_constantIbLb1EES17_IbLb0EEEEDaS13_S14_EUlS13_E_NS1_11comp_targetILNS1_3genE3ELNS1_11target_archE908ELNS1_3gpuE7ELNS1_3repE0EEENS1_30default_config_static_selectorELNS0_4arch9wavefront6targetE0EEEvT1_.has_indirect_call, 0
	.section	.AMDGPU.csdata,"",@progbits
; Kernel info:
; codeLenInByte = 0
; TotalNumSgprs: 0
; NumVgprs: 0
; ScratchSize: 0
; MemoryBound: 0
; FloatMode: 240
; IeeeMode: 1
; LDSByteSize: 0 bytes/workgroup (compile time only)
; SGPRBlocks: 0
; VGPRBlocks: 0
; NumSGPRsForWavesPerEU: 1
; NumVGPRsForWavesPerEU: 1
; Occupancy: 16
; WaveLimiterHint : 0
; COMPUTE_PGM_RSRC2:SCRATCH_EN: 0
; COMPUTE_PGM_RSRC2:USER_SGPR: 2
; COMPUTE_PGM_RSRC2:TRAP_HANDLER: 0
; COMPUTE_PGM_RSRC2:TGID_X_EN: 1
; COMPUTE_PGM_RSRC2:TGID_Y_EN: 0
; COMPUTE_PGM_RSRC2:TGID_Z_EN: 0
; COMPUTE_PGM_RSRC2:TIDIG_COMP_CNT: 0
	.section	.text._ZN7rocprim17ROCPRIM_400000_NS6detail17trampoline_kernelINS0_14default_configENS1_25partition_config_selectorILNS1_17partition_subalgoE6EiNS0_10empty_typeEbEEZZNS1_14partition_implILS5_6ELb0ES3_mN6thrust23THRUST_200600_302600_NS6detail15normal_iteratorINSA_10device_ptrIiEEEEPS6_SG_NS0_5tupleIJSF_S6_EEENSH_IJSG_SG_EEES6_PlJNSB_9not_fun_tI7is_evenIiEEEEEE10hipError_tPvRmT3_T4_T5_T6_T7_T9_mT8_P12ihipStream_tbDpT10_ENKUlT_T0_E_clISt17integral_constantIbLb1EES17_IbLb0EEEEDaS13_S14_EUlS13_E_NS1_11comp_targetILNS1_3genE2ELNS1_11target_archE906ELNS1_3gpuE6ELNS1_3repE0EEENS1_30default_config_static_selectorELNS0_4arch9wavefront6targetE0EEEvT1_,"axG",@progbits,_ZN7rocprim17ROCPRIM_400000_NS6detail17trampoline_kernelINS0_14default_configENS1_25partition_config_selectorILNS1_17partition_subalgoE6EiNS0_10empty_typeEbEEZZNS1_14partition_implILS5_6ELb0ES3_mN6thrust23THRUST_200600_302600_NS6detail15normal_iteratorINSA_10device_ptrIiEEEEPS6_SG_NS0_5tupleIJSF_S6_EEENSH_IJSG_SG_EEES6_PlJNSB_9not_fun_tI7is_evenIiEEEEEE10hipError_tPvRmT3_T4_T5_T6_T7_T9_mT8_P12ihipStream_tbDpT10_ENKUlT_T0_E_clISt17integral_constantIbLb1EES17_IbLb0EEEEDaS13_S14_EUlS13_E_NS1_11comp_targetILNS1_3genE2ELNS1_11target_archE906ELNS1_3gpuE6ELNS1_3repE0EEENS1_30default_config_static_selectorELNS0_4arch9wavefront6targetE0EEEvT1_,comdat
	.protected	_ZN7rocprim17ROCPRIM_400000_NS6detail17trampoline_kernelINS0_14default_configENS1_25partition_config_selectorILNS1_17partition_subalgoE6EiNS0_10empty_typeEbEEZZNS1_14partition_implILS5_6ELb0ES3_mN6thrust23THRUST_200600_302600_NS6detail15normal_iteratorINSA_10device_ptrIiEEEEPS6_SG_NS0_5tupleIJSF_S6_EEENSH_IJSG_SG_EEES6_PlJNSB_9not_fun_tI7is_evenIiEEEEEE10hipError_tPvRmT3_T4_T5_T6_T7_T9_mT8_P12ihipStream_tbDpT10_ENKUlT_T0_E_clISt17integral_constantIbLb1EES17_IbLb0EEEEDaS13_S14_EUlS13_E_NS1_11comp_targetILNS1_3genE2ELNS1_11target_archE906ELNS1_3gpuE6ELNS1_3repE0EEENS1_30default_config_static_selectorELNS0_4arch9wavefront6targetE0EEEvT1_ ; -- Begin function _ZN7rocprim17ROCPRIM_400000_NS6detail17trampoline_kernelINS0_14default_configENS1_25partition_config_selectorILNS1_17partition_subalgoE6EiNS0_10empty_typeEbEEZZNS1_14partition_implILS5_6ELb0ES3_mN6thrust23THRUST_200600_302600_NS6detail15normal_iteratorINSA_10device_ptrIiEEEEPS6_SG_NS0_5tupleIJSF_S6_EEENSH_IJSG_SG_EEES6_PlJNSB_9not_fun_tI7is_evenIiEEEEEE10hipError_tPvRmT3_T4_T5_T6_T7_T9_mT8_P12ihipStream_tbDpT10_ENKUlT_T0_E_clISt17integral_constantIbLb1EES17_IbLb0EEEEDaS13_S14_EUlS13_E_NS1_11comp_targetILNS1_3genE2ELNS1_11target_archE906ELNS1_3gpuE6ELNS1_3repE0EEENS1_30default_config_static_selectorELNS0_4arch9wavefront6targetE0EEEvT1_
	.globl	_ZN7rocprim17ROCPRIM_400000_NS6detail17trampoline_kernelINS0_14default_configENS1_25partition_config_selectorILNS1_17partition_subalgoE6EiNS0_10empty_typeEbEEZZNS1_14partition_implILS5_6ELb0ES3_mN6thrust23THRUST_200600_302600_NS6detail15normal_iteratorINSA_10device_ptrIiEEEEPS6_SG_NS0_5tupleIJSF_S6_EEENSH_IJSG_SG_EEES6_PlJNSB_9not_fun_tI7is_evenIiEEEEEE10hipError_tPvRmT3_T4_T5_T6_T7_T9_mT8_P12ihipStream_tbDpT10_ENKUlT_T0_E_clISt17integral_constantIbLb1EES17_IbLb0EEEEDaS13_S14_EUlS13_E_NS1_11comp_targetILNS1_3genE2ELNS1_11target_archE906ELNS1_3gpuE6ELNS1_3repE0EEENS1_30default_config_static_selectorELNS0_4arch9wavefront6targetE0EEEvT1_
	.p2align	8
	.type	_ZN7rocprim17ROCPRIM_400000_NS6detail17trampoline_kernelINS0_14default_configENS1_25partition_config_selectorILNS1_17partition_subalgoE6EiNS0_10empty_typeEbEEZZNS1_14partition_implILS5_6ELb0ES3_mN6thrust23THRUST_200600_302600_NS6detail15normal_iteratorINSA_10device_ptrIiEEEEPS6_SG_NS0_5tupleIJSF_S6_EEENSH_IJSG_SG_EEES6_PlJNSB_9not_fun_tI7is_evenIiEEEEEE10hipError_tPvRmT3_T4_T5_T6_T7_T9_mT8_P12ihipStream_tbDpT10_ENKUlT_T0_E_clISt17integral_constantIbLb1EES17_IbLb0EEEEDaS13_S14_EUlS13_E_NS1_11comp_targetILNS1_3genE2ELNS1_11target_archE906ELNS1_3gpuE6ELNS1_3repE0EEENS1_30default_config_static_selectorELNS0_4arch9wavefront6targetE0EEEvT1_,@function
_ZN7rocprim17ROCPRIM_400000_NS6detail17trampoline_kernelINS0_14default_configENS1_25partition_config_selectorILNS1_17partition_subalgoE6EiNS0_10empty_typeEbEEZZNS1_14partition_implILS5_6ELb0ES3_mN6thrust23THRUST_200600_302600_NS6detail15normal_iteratorINSA_10device_ptrIiEEEEPS6_SG_NS0_5tupleIJSF_S6_EEENSH_IJSG_SG_EEES6_PlJNSB_9not_fun_tI7is_evenIiEEEEEE10hipError_tPvRmT3_T4_T5_T6_T7_T9_mT8_P12ihipStream_tbDpT10_ENKUlT_T0_E_clISt17integral_constantIbLb1EES17_IbLb0EEEEDaS13_S14_EUlS13_E_NS1_11comp_targetILNS1_3genE2ELNS1_11target_archE906ELNS1_3gpuE6ELNS1_3repE0EEENS1_30default_config_static_selectorELNS0_4arch9wavefront6targetE0EEEvT1_: ; @_ZN7rocprim17ROCPRIM_400000_NS6detail17trampoline_kernelINS0_14default_configENS1_25partition_config_selectorILNS1_17partition_subalgoE6EiNS0_10empty_typeEbEEZZNS1_14partition_implILS5_6ELb0ES3_mN6thrust23THRUST_200600_302600_NS6detail15normal_iteratorINSA_10device_ptrIiEEEEPS6_SG_NS0_5tupleIJSF_S6_EEENSH_IJSG_SG_EEES6_PlJNSB_9not_fun_tI7is_evenIiEEEEEE10hipError_tPvRmT3_T4_T5_T6_T7_T9_mT8_P12ihipStream_tbDpT10_ENKUlT_T0_E_clISt17integral_constantIbLb1EES17_IbLb0EEEEDaS13_S14_EUlS13_E_NS1_11comp_targetILNS1_3genE2ELNS1_11target_archE906ELNS1_3gpuE6ELNS1_3repE0EEENS1_30default_config_static_selectorELNS0_4arch9wavefront6targetE0EEEvT1_
; %bb.0:
	.section	.rodata,"a",@progbits
	.p2align	6, 0x0
	.amdhsa_kernel _ZN7rocprim17ROCPRIM_400000_NS6detail17trampoline_kernelINS0_14default_configENS1_25partition_config_selectorILNS1_17partition_subalgoE6EiNS0_10empty_typeEbEEZZNS1_14partition_implILS5_6ELb0ES3_mN6thrust23THRUST_200600_302600_NS6detail15normal_iteratorINSA_10device_ptrIiEEEEPS6_SG_NS0_5tupleIJSF_S6_EEENSH_IJSG_SG_EEES6_PlJNSB_9not_fun_tI7is_evenIiEEEEEE10hipError_tPvRmT3_T4_T5_T6_T7_T9_mT8_P12ihipStream_tbDpT10_ENKUlT_T0_E_clISt17integral_constantIbLb1EES17_IbLb0EEEEDaS13_S14_EUlS13_E_NS1_11comp_targetILNS1_3genE2ELNS1_11target_archE906ELNS1_3gpuE6ELNS1_3repE0EEENS1_30default_config_static_selectorELNS0_4arch9wavefront6targetE0EEEvT1_
		.amdhsa_group_segment_fixed_size 0
		.amdhsa_private_segment_fixed_size 0
		.amdhsa_kernarg_size 112
		.amdhsa_user_sgpr_count 2
		.amdhsa_user_sgpr_dispatch_ptr 0
		.amdhsa_user_sgpr_queue_ptr 0
		.amdhsa_user_sgpr_kernarg_segment_ptr 1
		.amdhsa_user_sgpr_dispatch_id 0
		.amdhsa_user_sgpr_private_segment_size 0
		.amdhsa_wavefront_size32 1
		.amdhsa_uses_dynamic_stack 0
		.amdhsa_enable_private_segment 0
		.amdhsa_system_sgpr_workgroup_id_x 1
		.amdhsa_system_sgpr_workgroup_id_y 0
		.amdhsa_system_sgpr_workgroup_id_z 0
		.amdhsa_system_sgpr_workgroup_info 0
		.amdhsa_system_vgpr_workitem_id 0
		.amdhsa_next_free_vgpr 1
		.amdhsa_next_free_sgpr 1
		.amdhsa_reserve_vcc 0
		.amdhsa_float_round_mode_32 0
		.amdhsa_float_round_mode_16_64 0
		.amdhsa_float_denorm_mode_32 3
		.amdhsa_float_denorm_mode_16_64 3
		.amdhsa_fp16_overflow 0
		.amdhsa_workgroup_processor_mode 1
		.amdhsa_memory_ordered 1
		.amdhsa_forward_progress 1
		.amdhsa_inst_pref_size 0
		.amdhsa_round_robin_scheduling 0
		.amdhsa_exception_fp_ieee_invalid_op 0
		.amdhsa_exception_fp_denorm_src 0
		.amdhsa_exception_fp_ieee_div_zero 0
		.amdhsa_exception_fp_ieee_overflow 0
		.amdhsa_exception_fp_ieee_underflow 0
		.amdhsa_exception_fp_ieee_inexact 0
		.amdhsa_exception_int_div_zero 0
	.end_amdhsa_kernel
	.section	.text._ZN7rocprim17ROCPRIM_400000_NS6detail17trampoline_kernelINS0_14default_configENS1_25partition_config_selectorILNS1_17partition_subalgoE6EiNS0_10empty_typeEbEEZZNS1_14partition_implILS5_6ELb0ES3_mN6thrust23THRUST_200600_302600_NS6detail15normal_iteratorINSA_10device_ptrIiEEEEPS6_SG_NS0_5tupleIJSF_S6_EEENSH_IJSG_SG_EEES6_PlJNSB_9not_fun_tI7is_evenIiEEEEEE10hipError_tPvRmT3_T4_T5_T6_T7_T9_mT8_P12ihipStream_tbDpT10_ENKUlT_T0_E_clISt17integral_constantIbLb1EES17_IbLb0EEEEDaS13_S14_EUlS13_E_NS1_11comp_targetILNS1_3genE2ELNS1_11target_archE906ELNS1_3gpuE6ELNS1_3repE0EEENS1_30default_config_static_selectorELNS0_4arch9wavefront6targetE0EEEvT1_,"axG",@progbits,_ZN7rocprim17ROCPRIM_400000_NS6detail17trampoline_kernelINS0_14default_configENS1_25partition_config_selectorILNS1_17partition_subalgoE6EiNS0_10empty_typeEbEEZZNS1_14partition_implILS5_6ELb0ES3_mN6thrust23THRUST_200600_302600_NS6detail15normal_iteratorINSA_10device_ptrIiEEEEPS6_SG_NS0_5tupleIJSF_S6_EEENSH_IJSG_SG_EEES6_PlJNSB_9not_fun_tI7is_evenIiEEEEEE10hipError_tPvRmT3_T4_T5_T6_T7_T9_mT8_P12ihipStream_tbDpT10_ENKUlT_T0_E_clISt17integral_constantIbLb1EES17_IbLb0EEEEDaS13_S14_EUlS13_E_NS1_11comp_targetILNS1_3genE2ELNS1_11target_archE906ELNS1_3gpuE6ELNS1_3repE0EEENS1_30default_config_static_selectorELNS0_4arch9wavefront6targetE0EEEvT1_,comdat
.Lfunc_end745:
	.size	_ZN7rocprim17ROCPRIM_400000_NS6detail17trampoline_kernelINS0_14default_configENS1_25partition_config_selectorILNS1_17partition_subalgoE6EiNS0_10empty_typeEbEEZZNS1_14partition_implILS5_6ELb0ES3_mN6thrust23THRUST_200600_302600_NS6detail15normal_iteratorINSA_10device_ptrIiEEEEPS6_SG_NS0_5tupleIJSF_S6_EEENSH_IJSG_SG_EEES6_PlJNSB_9not_fun_tI7is_evenIiEEEEEE10hipError_tPvRmT3_T4_T5_T6_T7_T9_mT8_P12ihipStream_tbDpT10_ENKUlT_T0_E_clISt17integral_constantIbLb1EES17_IbLb0EEEEDaS13_S14_EUlS13_E_NS1_11comp_targetILNS1_3genE2ELNS1_11target_archE906ELNS1_3gpuE6ELNS1_3repE0EEENS1_30default_config_static_selectorELNS0_4arch9wavefront6targetE0EEEvT1_, .Lfunc_end745-_ZN7rocprim17ROCPRIM_400000_NS6detail17trampoline_kernelINS0_14default_configENS1_25partition_config_selectorILNS1_17partition_subalgoE6EiNS0_10empty_typeEbEEZZNS1_14partition_implILS5_6ELb0ES3_mN6thrust23THRUST_200600_302600_NS6detail15normal_iteratorINSA_10device_ptrIiEEEEPS6_SG_NS0_5tupleIJSF_S6_EEENSH_IJSG_SG_EEES6_PlJNSB_9not_fun_tI7is_evenIiEEEEEE10hipError_tPvRmT3_T4_T5_T6_T7_T9_mT8_P12ihipStream_tbDpT10_ENKUlT_T0_E_clISt17integral_constantIbLb1EES17_IbLb0EEEEDaS13_S14_EUlS13_E_NS1_11comp_targetILNS1_3genE2ELNS1_11target_archE906ELNS1_3gpuE6ELNS1_3repE0EEENS1_30default_config_static_selectorELNS0_4arch9wavefront6targetE0EEEvT1_
                                        ; -- End function
	.set _ZN7rocprim17ROCPRIM_400000_NS6detail17trampoline_kernelINS0_14default_configENS1_25partition_config_selectorILNS1_17partition_subalgoE6EiNS0_10empty_typeEbEEZZNS1_14partition_implILS5_6ELb0ES3_mN6thrust23THRUST_200600_302600_NS6detail15normal_iteratorINSA_10device_ptrIiEEEEPS6_SG_NS0_5tupleIJSF_S6_EEENSH_IJSG_SG_EEES6_PlJNSB_9not_fun_tI7is_evenIiEEEEEE10hipError_tPvRmT3_T4_T5_T6_T7_T9_mT8_P12ihipStream_tbDpT10_ENKUlT_T0_E_clISt17integral_constantIbLb1EES17_IbLb0EEEEDaS13_S14_EUlS13_E_NS1_11comp_targetILNS1_3genE2ELNS1_11target_archE906ELNS1_3gpuE6ELNS1_3repE0EEENS1_30default_config_static_selectorELNS0_4arch9wavefront6targetE0EEEvT1_.num_vgpr, 0
	.set _ZN7rocprim17ROCPRIM_400000_NS6detail17trampoline_kernelINS0_14default_configENS1_25partition_config_selectorILNS1_17partition_subalgoE6EiNS0_10empty_typeEbEEZZNS1_14partition_implILS5_6ELb0ES3_mN6thrust23THRUST_200600_302600_NS6detail15normal_iteratorINSA_10device_ptrIiEEEEPS6_SG_NS0_5tupleIJSF_S6_EEENSH_IJSG_SG_EEES6_PlJNSB_9not_fun_tI7is_evenIiEEEEEE10hipError_tPvRmT3_T4_T5_T6_T7_T9_mT8_P12ihipStream_tbDpT10_ENKUlT_T0_E_clISt17integral_constantIbLb1EES17_IbLb0EEEEDaS13_S14_EUlS13_E_NS1_11comp_targetILNS1_3genE2ELNS1_11target_archE906ELNS1_3gpuE6ELNS1_3repE0EEENS1_30default_config_static_selectorELNS0_4arch9wavefront6targetE0EEEvT1_.num_agpr, 0
	.set _ZN7rocprim17ROCPRIM_400000_NS6detail17trampoline_kernelINS0_14default_configENS1_25partition_config_selectorILNS1_17partition_subalgoE6EiNS0_10empty_typeEbEEZZNS1_14partition_implILS5_6ELb0ES3_mN6thrust23THRUST_200600_302600_NS6detail15normal_iteratorINSA_10device_ptrIiEEEEPS6_SG_NS0_5tupleIJSF_S6_EEENSH_IJSG_SG_EEES6_PlJNSB_9not_fun_tI7is_evenIiEEEEEE10hipError_tPvRmT3_T4_T5_T6_T7_T9_mT8_P12ihipStream_tbDpT10_ENKUlT_T0_E_clISt17integral_constantIbLb1EES17_IbLb0EEEEDaS13_S14_EUlS13_E_NS1_11comp_targetILNS1_3genE2ELNS1_11target_archE906ELNS1_3gpuE6ELNS1_3repE0EEENS1_30default_config_static_selectorELNS0_4arch9wavefront6targetE0EEEvT1_.numbered_sgpr, 0
	.set _ZN7rocprim17ROCPRIM_400000_NS6detail17trampoline_kernelINS0_14default_configENS1_25partition_config_selectorILNS1_17partition_subalgoE6EiNS0_10empty_typeEbEEZZNS1_14partition_implILS5_6ELb0ES3_mN6thrust23THRUST_200600_302600_NS6detail15normal_iteratorINSA_10device_ptrIiEEEEPS6_SG_NS0_5tupleIJSF_S6_EEENSH_IJSG_SG_EEES6_PlJNSB_9not_fun_tI7is_evenIiEEEEEE10hipError_tPvRmT3_T4_T5_T6_T7_T9_mT8_P12ihipStream_tbDpT10_ENKUlT_T0_E_clISt17integral_constantIbLb1EES17_IbLb0EEEEDaS13_S14_EUlS13_E_NS1_11comp_targetILNS1_3genE2ELNS1_11target_archE906ELNS1_3gpuE6ELNS1_3repE0EEENS1_30default_config_static_selectorELNS0_4arch9wavefront6targetE0EEEvT1_.num_named_barrier, 0
	.set _ZN7rocprim17ROCPRIM_400000_NS6detail17trampoline_kernelINS0_14default_configENS1_25partition_config_selectorILNS1_17partition_subalgoE6EiNS0_10empty_typeEbEEZZNS1_14partition_implILS5_6ELb0ES3_mN6thrust23THRUST_200600_302600_NS6detail15normal_iteratorINSA_10device_ptrIiEEEEPS6_SG_NS0_5tupleIJSF_S6_EEENSH_IJSG_SG_EEES6_PlJNSB_9not_fun_tI7is_evenIiEEEEEE10hipError_tPvRmT3_T4_T5_T6_T7_T9_mT8_P12ihipStream_tbDpT10_ENKUlT_T0_E_clISt17integral_constantIbLb1EES17_IbLb0EEEEDaS13_S14_EUlS13_E_NS1_11comp_targetILNS1_3genE2ELNS1_11target_archE906ELNS1_3gpuE6ELNS1_3repE0EEENS1_30default_config_static_selectorELNS0_4arch9wavefront6targetE0EEEvT1_.private_seg_size, 0
	.set _ZN7rocprim17ROCPRIM_400000_NS6detail17trampoline_kernelINS0_14default_configENS1_25partition_config_selectorILNS1_17partition_subalgoE6EiNS0_10empty_typeEbEEZZNS1_14partition_implILS5_6ELb0ES3_mN6thrust23THRUST_200600_302600_NS6detail15normal_iteratorINSA_10device_ptrIiEEEEPS6_SG_NS0_5tupleIJSF_S6_EEENSH_IJSG_SG_EEES6_PlJNSB_9not_fun_tI7is_evenIiEEEEEE10hipError_tPvRmT3_T4_T5_T6_T7_T9_mT8_P12ihipStream_tbDpT10_ENKUlT_T0_E_clISt17integral_constantIbLb1EES17_IbLb0EEEEDaS13_S14_EUlS13_E_NS1_11comp_targetILNS1_3genE2ELNS1_11target_archE906ELNS1_3gpuE6ELNS1_3repE0EEENS1_30default_config_static_selectorELNS0_4arch9wavefront6targetE0EEEvT1_.uses_vcc, 0
	.set _ZN7rocprim17ROCPRIM_400000_NS6detail17trampoline_kernelINS0_14default_configENS1_25partition_config_selectorILNS1_17partition_subalgoE6EiNS0_10empty_typeEbEEZZNS1_14partition_implILS5_6ELb0ES3_mN6thrust23THRUST_200600_302600_NS6detail15normal_iteratorINSA_10device_ptrIiEEEEPS6_SG_NS0_5tupleIJSF_S6_EEENSH_IJSG_SG_EEES6_PlJNSB_9not_fun_tI7is_evenIiEEEEEE10hipError_tPvRmT3_T4_T5_T6_T7_T9_mT8_P12ihipStream_tbDpT10_ENKUlT_T0_E_clISt17integral_constantIbLb1EES17_IbLb0EEEEDaS13_S14_EUlS13_E_NS1_11comp_targetILNS1_3genE2ELNS1_11target_archE906ELNS1_3gpuE6ELNS1_3repE0EEENS1_30default_config_static_selectorELNS0_4arch9wavefront6targetE0EEEvT1_.uses_flat_scratch, 0
	.set _ZN7rocprim17ROCPRIM_400000_NS6detail17trampoline_kernelINS0_14default_configENS1_25partition_config_selectorILNS1_17partition_subalgoE6EiNS0_10empty_typeEbEEZZNS1_14partition_implILS5_6ELb0ES3_mN6thrust23THRUST_200600_302600_NS6detail15normal_iteratorINSA_10device_ptrIiEEEEPS6_SG_NS0_5tupleIJSF_S6_EEENSH_IJSG_SG_EEES6_PlJNSB_9not_fun_tI7is_evenIiEEEEEE10hipError_tPvRmT3_T4_T5_T6_T7_T9_mT8_P12ihipStream_tbDpT10_ENKUlT_T0_E_clISt17integral_constantIbLb1EES17_IbLb0EEEEDaS13_S14_EUlS13_E_NS1_11comp_targetILNS1_3genE2ELNS1_11target_archE906ELNS1_3gpuE6ELNS1_3repE0EEENS1_30default_config_static_selectorELNS0_4arch9wavefront6targetE0EEEvT1_.has_dyn_sized_stack, 0
	.set _ZN7rocprim17ROCPRIM_400000_NS6detail17trampoline_kernelINS0_14default_configENS1_25partition_config_selectorILNS1_17partition_subalgoE6EiNS0_10empty_typeEbEEZZNS1_14partition_implILS5_6ELb0ES3_mN6thrust23THRUST_200600_302600_NS6detail15normal_iteratorINSA_10device_ptrIiEEEEPS6_SG_NS0_5tupleIJSF_S6_EEENSH_IJSG_SG_EEES6_PlJNSB_9not_fun_tI7is_evenIiEEEEEE10hipError_tPvRmT3_T4_T5_T6_T7_T9_mT8_P12ihipStream_tbDpT10_ENKUlT_T0_E_clISt17integral_constantIbLb1EES17_IbLb0EEEEDaS13_S14_EUlS13_E_NS1_11comp_targetILNS1_3genE2ELNS1_11target_archE906ELNS1_3gpuE6ELNS1_3repE0EEENS1_30default_config_static_selectorELNS0_4arch9wavefront6targetE0EEEvT1_.has_recursion, 0
	.set _ZN7rocprim17ROCPRIM_400000_NS6detail17trampoline_kernelINS0_14default_configENS1_25partition_config_selectorILNS1_17partition_subalgoE6EiNS0_10empty_typeEbEEZZNS1_14partition_implILS5_6ELb0ES3_mN6thrust23THRUST_200600_302600_NS6detail15normal_iteratorINSA_10device_ptrIiEEEEPS6_SG_NS0_5tupleIJSF_S6_EEENSH_IJSG_SG_EEES6_PlJNSB_9not_fun_tI7is_evenIiEEEEEE10hipError_tPvRmT3_T4_T5_T6_T7_T9_mT8_P12ihipStream_tbDpT10_ENKUlT_T0_E_clISt17integral_constantIbLb1EES17_IbLb0EEEEDaS13_S14_EUlS13_E_NS1_11comp_targetILNS1_3genE2ELNS1_11target_archE906ELNS1_3gpuE6ELNS1_3repE0EEENS1_30default_config_static_selectorELNS0_4arch9wavefront6targetE0EEEvT1_.has_indirect_call, 0
	.section	.AMDGPU.csdata,"",@progbits
; Kernel info:
; codeLenInByte = 0
; TotalNumSgprs: 0
; NumVgprs: 0
; ScratchSize: 0
; MemoryBound: 0
; FloatMode: 240
; IeeeMode: 1
; LDSByteSize: 0 bytes/workgroup (compile time only)
; SGPRBlocks: 0
; VGPRBlocks: 0
; NumSGPRsForWavesPerEU: 1
; NumVGPRsForWavesPerEU: 1
; Occupancy: 16
; WaveLimiterHint : 0
; COMPUTE_PGM_RSRC2:SCRATCH_EN: 0
; COMPUTE_PGM_RSRC2:USER_SGPR: 2
; COMPUTE_PGM_RSRC2:TRAP_HANDLER: 0
; COMPUTE_PGM_RSRC2:TGID_X_EN: 1
; COMPUTE_PGM_RSRC2:TGID_Y_EN: 0
; COMPUTE_PGM_RSRC2:TGID_Z_EN: 0
; COMPUTE_PGM_RSRC2:TIDIG_COMP_CNT: 0
	.section	.text._ZN7rocprim17ROCPRIM_400000_NS6detail17trampoline_kernelINS0_14default_configENS1_25partition_config_selectorILNS1_17partition_subalgoE6EiNS0_10empty_typeEbEEZZNS1_14partition_implILS5_6ELb0ES3_mN6thrust23THRUST_200600_302600_NS6detail15normal_iteratorINSA_10device_ptrIiEEEEPS6_SG_NS0_5tupleIJSF_S6_EEENSH_IJSG_SG_EEES6_PlJNSB_9not_fun_tI7is_evenIiEEEEEE10hipError_tPvRmT3_T4_T5_T6_T7_T9_mT8_P12ihipStream_tbDpT10_ENKUlT_T0_E_clISt17integral_constantIbLb1EES17_IbLb0EEEEDaS13_S14_EUlS13_E_NS1_11comp_targetILNS1_3genE10ELNS1_11target_archE1200ELNS1_3gpuE4ELNS1_3repE0EEENS1_30default_config_static_selectorELNS0_4arch9wavefront6targetE0EEEvT1_,"axG",@progbits,_ZN7rocprim17ROCPRIM_400000_NS6detail17trampoline_kernelINS0_14default_configENS1_25partition_config_selectorILNS1_17partition_subalgoE6EiNS0_10empty_typeEbEEZZNS1_14partition_implILS5_6ELb0ES3_mN6thrust23THRUST_200600_302600_NS6detail15normal_iteratorINSA_10device_ptrIiEEEEPS6_SG_NS0_5tupleIJSF_S6_EEENSH_IJSG_SG_EEES6_PlJNSB_9not_fun_tI7is_evenIiEEEEEE10hipError_tPvRmT3_T4_T5_T6_T7_T9_mT8_P12ihipStream_tbDpT10_ENKUlT_T0_E_clISt17integral_constantIbLb1EES17_IbLb0EEEEDaS13_S14_EUlS13_E_NS1_11comp_targetILNS1_3genE10ELNS1_11target_archE1200ELNS1_3gpuE4ELNS1_3repE0EEENS1_30default_config_static_selectorELNS0_4arch9wavefront6targetE0EEEvT1_,comdat
	.protected	_ZN7rocprim17ROCPRIM_400000_NS6detail17trampoline_kernelINS0_14default_configENS1_25partition_config_selectorILNS1_17partition_subalgoE6EiNS0_10empty_typeEbEEZZNS1_14partition_implILS5_6ELb0ES3_mN6thrust23THRUST_200600_302600_NS6detail15normal_iteratorINSA_10device_ptrIiEEEEPS6_SG_NS0_5tupleIJSF_S6_EEENSH_IJSG_SG_EEES6_PlJNSB_9not_fun_tI7is_evenIiEEEEEE10hipError_tPvRmT3_T4_T5_T6_T7_T9_mT8_P12ihipStream_tbDpT10_ENKUlT_T0_E_clISt17integral_constantIbLb1EES17_IbLb0EEEEDaS13_S14_EUlS13_E_NS1_11comp_targetILNS1_3genE10ELNS1_11target_archE1200ELNS1_3gpuE4ELNS1_3repE0EEENS1_30default_config_static_selectorELNS0_4arch9wavefront6targetE0EEEvT1_ ; -- Begin function _ZN7rocprim17ROCPRIM_400000_NS6detail17trampoline_kernelINS0_14default_configENS1_25partition_config_selectorILNS1_17partition_subalgoE6EiNS0_10empty_typeEbEEZZNS1_14partition_implILS5_6ELb0ES3_mN6thrust23THRUST_200600_302600_NS6detail15normal_iteratorINSA_10device_ptrIiEEEEPS6_SG_NS0_5tupleIJSF_S6_EEENSH_IJSG_SG_EEES6_PlJNSB_9not_fun_tI7is_evenIiEEEEEE10hipError_tPvRmT3_T4_T5_T6_T7_T9_mT8_P12ihipStream_tbDpT10_ENKUlT_T0_E_clISt17integral_constantIbLb1EES17_IbLb0EEEEDaS13_S14_EUlS13_E_NS1_11comp_targetILNS1_3genE10ELNS1_11target_archE1200ELNS1_3gpuE4ELNS1_3repE0EEENS1_30default_config_static_selectorELNS0_4arch9wavefront6targetE0EEEvT1_
	.globl	_ZN7rocprim17ROCPRIM_400000_NS6detail17trampoline_kernelINS0_14default_configENS1_25partition_config_selectorILNS1_17partition_subalgoE6EiNS0_10empty_typeEbEEZZNS1_14partition_implILS5_6ELb0ES3_mN6thrust23THRUST_200600_302600_NS6detail15normal_iteratorINSA_10device_ptrIiEEEEPS6_SG_NS0_5tupleIJSF_S6_EEENSH_IJSG_SG_EEES6_PlJNSB_9not_fun_tI7is_evenIiEEEEEE10hipError_tPvRmT3_T4_T5_T6_T7_T9_mT8_P12ihipStream_tbDpT10_ENKUlT_T0_E_clISt17integral_constantIbLb1EES17_IbLb0EEEEDaS13_S14_EUlS13_E_NS1_11comp_targetILNS1_3genE10ELNS1_11target_archE1200ELNS1_3gpuE4ELNS1_3repE0EEENS1_30default_config_static_selectorELNS0_4arch9wavefront6targetE0EEEvT1_
	.p2align	8
	.type	_ZN7rocprim17ROCPRIM_400000_NS6detail17trampoline_kernelINS0_14default_configENS1_25partition_config_selectorILNS1_17partition_subalgoE6EiNS0_10empty_typeEbEEZZNS1_14partition_implILS5_6ELb0ES3_mN6thrust23THRUST_200600_302600_NS6detail15normal_iteratorINSA_10device_ptrIiEEEEPS6_SG_NS0_5tupleIJSF_S6_EEENSH_IJSG_SG_EEES6_PlJNSB_9not_fun_tI7is_evenIiEEEEEE10hipError_tPvRmT3_T4_T5_T6_T7_T9_mT8_P12ihipStream_tbDpT10_ENKUlT_T0_E_clISt17integral_constantIbLb1EES17_IbLb0EEEEDaS13_S14_EUlS13_E_NS1_11comp_targetILNS1_3genE10ELNS1_11target_archE1200ELNS1_3gpuE4ELNS1_3repE0EEENS1_30default_config_static_selectorELNS0_4arch9wavefront6targetE0EEEvT1_,@function
_ZN7rocprim17ROCPRIM_400000_NS6detail17trampoline_kernelINS0_14default_configENS1_25partition_config_selectorILNS1_17partition_subalgoE6EiNS0_10empty_typeEbEEZZNS1_14partition_implILS5_6ELb0ES3_mN6thrust23THRUST_200600_302600_NS6detail15normal_iteratorINSA_10device_ptrIiEEEEPS6_SG_NS0_5tupleIJSF_S6_EEENSH_IJSG_SG_EEES6_PlJNSB_9not_fun_tI7is_evenIiEEEEEE10hipError_tPvRmT3_T4_T5_T6_T7_T9_mT8_P12ihipStream_tbDpT10_ENKUlT_T0_E_clISt17integral_constantIbLb1EES17_IbLb0EEEEDaS13_S14_EUlS13_E_NS1_11comp_targetILNS1_3genE10ELNS1_11target_archE1200ELNS1_3gpuE4ELNS1_3repE0EEENS1_30default_config_static_selectorELNS0_4arch9wavefront6targetE0EEEvT1_: ; @_ZN7rocprim17ROCPRIM_400000_NS6detail17trampoline_kernelINS0_14default_configENS1_25partition_config_selectorILNS1_17partition_subalgoE6EiNS0_10empty_typeEbEEZZNS1_14partition_implILS5_6ELb0ES3_mN6thrust23THRUST_200600_302600_NS6detail15normal_iteratorINSA_10device_ptrIiEEEEPS6_SG_NS0_5tupleIJSF_S6_EEENSH_IJSG_SG_EEES6_PlJNSB_9not_fun_tI7is_evenIiEEEEEE10hipError_tPvRmT3_T4_T5_T6_T7_T9_mT8_P12ihipStream_tbDpT10_ENKUlT_T0_E_clISt17integral_constantIbLb1EES17_IbLb0EEEEDaS13_S14_EUlS13_E_NS1_11comp_targetILNS1_3genE10ELNS1_11target_archE1200ELNS1_3gpuE4ELNS1_3repE0EEENS1_30default_config_static_selectorELNS0_4arch9wavefront6targetE0EEEvT1_
; %bb.0:
	s_endpgm
	.section	.rodata,"a",@progbits
	.p2align	6, 0x0
	.amdhsa_kernel _ZN7rocprim17ROCPRIM_400000_NS6detail17trampoline_kernelINS0_14default_configENS1_25partition_config_selectorILNS1_17partition_subalgoE6EiNS0_10empty_typeEbEEZZNS1_14partition_implILS5_6ELb0ES3_mN6thrust23THRUST_200600_302600_NS6detail15normal_iteratorINSA_10device_ptrIiEEEEPS6_SG_NS0_5tupleIJSF_S6_EEENSH_IJSG_SG_EEES6_PlJNSB_9not_fun_tI7is_evenIiEEEEEE10hipError_tPvRmT3_T4_T5_T6_T7_T9_mT8_P12ihipStream_tbDpT10_ENKUlT_T0_E_clISt17integral_constantIbLb1EES17_IbLb0EEEEDaS13_S14_EUlS13_E_NS1_11comp_targetILNS1_3genE10ELNS1_11target_archE1200ELNS1_3gpuE4ELNS1_3repE0EEENS1_30default_config_static_selectorELNS0_4arch9wavefront6targetE0EEEvT1_
		.amdhsa_group_segment_fixed_size 0
		.amdhsa_private_segment_fixed_size 0
		.amdhsa_kernarg_size 112
		.amdhsa_user_sgpr_count 2
		.amdhsa_user_sgpr_dispatch_ptr 0
		.amdhsa_user_sgpr_queue_ptr 0
		.amdhsa_user_sgpr_kernarg_segment_ptr 1
		.amdhsa_user_sgpr_dispatch_id 0
		.amdhsa_user_sgpr_private_segment_size 0
		.amdhsa_wavefront_size32 1
		.amdhsa_uses_dynamic_stack 0
		.amdhsa_enable_private_segment 0
		.amdhsa_system_sgpr_workgroup_id_x 1
		.amdhsa_system_sgpr_workgroup_id_y 0
		.amdhsa_system_sgpr_workgroup_id_z 0
		.amdhsa_system_sgpr_workgroup_info 0
		.amdhsa_system_vgpr_workitem_id 0
		.amdhsa_next_free_vgpr 1
		.amdhsa_next_free_sgpr 1
		.amdhsa_reserve_vcc 0
		.amdhsa_float_round_mode_32 0
		.amdhsa_float_round_mode_16_64 0
		.amdhsa_float_denorm_mode_32 3
		.amdhsa_float_denorm_mode_16_64 3
		.amdhsa_fp16_overflow 0
		.amdhsa_workgroup_processor_mode 1
		.amdhsa_memory_ordered 1
		.amdhsa_forward_progress 1
		.amdhsa_inst_pref_size 1
		.amdhsa_round_robin_scheduling 0
		.amdhsa_exception_fp_ieee_invalid_op 0
		.amdhsa_exception_fp_denorm_src 0
		.amdhsa_exception_fp_ieee_div_zero 0
		.amdhsa_exception_fp_ieee_overflow 0
		.amdhsa_exception_fp_ieee_underflow 0
		.amdhsa_exception_fp_ieee_inexact 0
		.amdhsa_exception_int_div_zero 0
	.end_amdhsa_kernel
	.section	.text._ZN7rocprim17ROCPRIM_400000_NS6detail17trampoline_kernelINS0_14default_configENS1_25partition_config_selectorILNS1_17partition_subalgoE6EiNS0_10empty_typeEbEEZZNS1_14partition_implILS5_6ELb0ES3_mN6thrust23THRUST_200600_302600_NS6detail15normal_iteratorINSA_10device_ptrIiEEEEPS6_SG_NS0_5tupleIJSF_S6_EEENSH_IJSG_SG_EEES6_PlJNSB_9not_fun_tI7is_evenIiEEEEEE10hipError_tPvRmT3_T4_T5_T6_T7_T9_mT8_P12ihipStream_tbDpT10_ENKUlT_T0_E_clISt17integral_constantIbLb1EES17_IbLb0EEEEDaS13_S14_EUlS13_E_NS1_11comp_targetILNS1_3genE10ELNS1_11target_archE1200ELNS1_3gpuE4ELNS1_3repE0EEENS1_30default_config_static_selectorELNS0_4arch9wavefront6targetE0EEEvT1_,"axG",@progbits,_ZN7rocprim17ROCPRIM_400000_NS6detail17trampoline_kernelINS0_14default_configENS1_25partition_config_selectorILNS1_17partition_subalgoE6EiNS0_10empty_typeEbEEZZNS1_14partition_implILS5_6ELb0ES3_mN6thrust23THRUST_200600_302600_NS6detail15normal_iteratorINSA_10device_ptrIiEEEEPS6_SG_NS0_5tupleIJSF_S6_EEENSH_IJSG_SG_EEES6_PlJNSB_9not_fun_tI7is_evenIiEEEEEE10hipError_tPvRmT3_T4_T5_T6_T7_T9_mT8_P12ihipStream_tbDpT10_ENKUlT_T0_E_clISt17integral_constantIbLb1EES17_IbLb0EEEEDaS13_S14_EUlS13_E_NS1_11comp_targetILNS1_3genE10ELNS1_11target_archE1200ELNS1_3gpuE4ELNS1_3repE0EEENS1_30default_config_static_selectorELNS0_4arch9wavefront6targetE0EEEvT1_,comdat
.Lfunc_end746:
	.size	_ZN7rocprim17ROCPRIM_400000_NS6detail17trampoline_kernelINS0_14default_configENS1_25partition_config_selectorILNS1_17partition_subalgoE6EiNS0_10empty_typeEbEEZZNS1_14partition_implILS5_6ELb0ES3_mN6thrust23THRUST_200600_302600_NS6detail15normal_iteratorINSA_10device_ptrIiEEEEPS6_SG_NS0_5tupleIJSF_S6_EEENSH_IJSG_SG_EEES6_PlJNSB_9not_fun_tI7is_evenIiEEEEEE10hipError_tPvRmT3_T4_T5_T6_T7_T9_mT8_P12ihipStream_tbDpT10_ENKUlT_T0_E_clISt17integral_constantIbLb1EES17_IbLb0EEEEDaS13_S14_EUlS13_E_NS1_11comp_targetILNS1_3genE10ELNS1_11target_archE1200ELNS1_3gpuE4ELNS1_3repE0EEENS1_30default_config_static_selectorELNS0_4arch9wavefront6targetE0EEEvT1_, .Lfunc_end746-_ZN7rocprim17ROCPRIM_400000_NS6detail17trampoline_kernelINS0_14default_configENS1_25partition_config_selectorILNS1_17partition_subalgoE6EiNS0_10empty_typeEbEEZZNS1_14partition_implILS5_6ELb0ES3_mN6thrust23THRUST_200600_302600_NS6detail15normal_iteratorINSA_10device_ptrIiEEEEPS6_SG_NS0_5tupleIJSF_S6_EEENSH_IJSG_SG_EEES6_PlJNSB_9not_fun_tI7is_evenIiEEEEEE10hipError_tPvRmT3_T4_T5_T6_T7_T9_mT8_P12ihipStream_tbDpT10_ENKUlT_T0_E_clISt17integral_constantIbLb1EES17_IbLb0EEEEDaS13_S14_EUlS13_E_NS1_11comp_targetILNS1_3genE10ELNS1_11target_archE1200ELNS1_3gpuE4ELNS1_3repE0EEENS1_30default_config_static_selectorELNS0_4arch9wavefront6targetE0EEEvT1_
                                        ; -- End function
	.set _ZN7rocprim17ROCPRIM_400000_NS6detail17trampoline_kernelINS0_14default_configENS1_25partition_config_selectorILNS1_17partition_subalgoE6EiNS0_10empty_typeEbEEZZNS1_14partition_implILS5_6ELb0ES3_mN6thrust23THRUST_200600_302600_NS6detail15normal_iteratorINSA_10device_ptrIiEEEEPS6_SG_NS0_5tupleIJSF_S6_EEENSH_IJSG_SG_EEES6_PlJNSB_9not_fun_tI7is_evenIiEEEEEE10hipError_tPvRmT3_T4_T5_T6_T7_T9_mT8_P12ihipStream_tbDpT10_ENKUlT_T0_E_clISt17integral_constantIbLb1EES17_IbLb0EEEEDaS13_S14_EUlS13_E_NS1_11comp_targetILNS1_3genE10ELNS1_11target_archE1200ELNS1_3gpuE4ELNS1_3repE0EEENS1_30default_config_static_selectorELNS0_4arch9wavefront6targetE0EEEvT1_.num_vgpr, 0
	.set _ZN7rocprim17ROCPRIM_400000_NS6detail17trampoline_kernelINS0_14default_configENS1_25partition_config_selectorILNS1_17partition_subalgoE6EiNS0_10empty_typeEbEEZZNS1_14partition_implILS5_6ELb0ES3_mN6thrust23THRUST_200600_302600_NS6detail15normal_iteratorINSA_10device_ptrIiEEEEPS6_SG_NS0_5tupleIJSF_S6_EEENSH_IJSG_SG_EEES6_PlJNSB_9not_fun_tI7is_evenIiEEEEEE10hipError_tPvRmT3_T4_T5_T6_T7_T9_mT8_P12ihipStream_tbDpT10_ENKUlT_T0_E_clISt17integral_constantIbLb1EES17_IbLb0EEEEDaS13_S14_EUlS13_E_NS1_11comp_targetILNS1_3genE10ELNS1_11target_archE1200ELNS1_3gpuE4ELNS1_3repE0EEENS1_30default_config_static_selectorELNS0_4arch9wavefront6targetE0EEEvT1_.num_agpr, 0
	.set _ZN7rocprim17ROCPRIM_400000_NS6detail17trampoline_kernelINS0_14default_configENS1_25partition_config_selectorILNS1_17partition_subalgoE6EiNS0_10empty_typeEbEEZZNS1_14partition_implILS5_6ELb0ES3_mN6thrust23THRUST_200600_302600_NS6detail15normal_iteratorINSA_10device_ptrIiEEEEPS6_SG_NS0_5tupleIJSF_S6_EEENSH_IJSG_SG_EEES6_PlJNSB_9not_fun_tI7is_evenIiEEEEEE10hipError_tPvRmT3_T4_T5_T6_T7_T9_mT8_P12ihipStream_tbDpT10_ENKUlT_T0_E_clISt17integral_constantIbLb1EES17_IbLb0EEEEDaS13_S14_EUlS13_E_NS1_11comp_targetILNS1_3genE10ELNS1_11target_archE1200ELNS1_3gpuE4ELNS1_3repE0EEENS1_30default_config_static_selectorELNS0_4arch9wavefront6targetE0EEEvT1_.numbered_sgpr, 0
	.set _ZN7rocprim17ROCPRIM_400000_NS6detail17trampoline_kernelINS0_14default_configENS1_25partition_config_selectorILNS1_17partition_subalgoE6EiNS0_10empty_typeEbEEZZNS1_14partition_implILS5_6ELb0ES3_mN6thrust23THRUST_200600_302600_NS6detail15normal_iteratorINSA_10device_ptrIiEEEEPS6_SG_NS0_5tupleIJSF_S6_EEENSH_IJSG_SG_EEES6_PlJNSB_9not_fun_tI7is_evenIiEEEEEE10hipError_tPvRmT3_T4_T5_T6_T7_T9_mT8_P12ihipStream_tbDpT10_ENKUlT_T0_E_clISt17integral_constantIbLb1EES17_IbLb0EEEEDaS13_S14_EUlS13_E_NS1_11comp_targetILNS1_3genE10ELNS1_11target_archE1200ELNS1_3gpuE4ELNS1_3repE0EEENS1_30default_config_static_selectorELNS0_4arch9wavefront6targetE0EEEvT1_.num_named_barrier, 0
	.set _ZN7rocprim17ROCPRIM_400000_NS6detail17trampoline_kernelINS0_14default_configENS1_25partition_config_selectorILNS1_17partition_subalgoE6EiNS0_10empty_typeEbEEZZNS1_14partition_implILS5_6ELb0ES3_mN6thrust23THRUST_200600_302600_NS6detail15normal_iteratorINSA_10device_ptrIiEEEEPS6_SG_NS0_5tupleIJSF_S6_EEENSH_IJSG_SG_EEES6_PlJNSB_9not_fun_tI7is_evenIiEEEEEE10hipError_tPvRmT3_T4_T5_T6_T7_T9_mT8_P12ihipStream_tbDpT10_ENKUlT_T0_E_clISt17integral_constantIbLb1EES17_IbLb0EEEEDaS13_S14_EUlS13_E_NS1_11comp_targetILNS1_3genE10ELNS1_11target_archE1200ELNS1_3gpuE4ELNS1_3repE0EEENS1_30default_config_static_selectorELNS0_4arch9wavefront6targetE0EEEvT1_.private_seg_size, 0
	.set _ZN7rocprim17ROCPRIM_400000_NS6detail17trampoline_kernelINS0_14default_configENS1_25partition_config_selectorILNS1_17partition_subalgoE6EiNS0_10empty_typeEbEEZZNS1_14partition_implILS5_6ELb0ES3_mN6thrust23THRUST_200600_302600_NS6detail15normal_iteratorINSA_10device_ptrIiEEEEPS6_SG_NS0_5tupleIJSF_S6_EEENSH_IJSG_SG_EEES6_PlJNSB_9not_fun_tI7is_evenIiEEEEEE10hipError_tPvRmT3_T4_T5_T6_T7_T9_mT8_P12ihipStream_tbDpT10_ENKUlT_T0_E_clISt17integral_constantIbLb1EES17_IbLb0EEEEDaS13_S14_EUlS13_E_NS1_11comp_targetILNS1_3genE10ELNS1_11target_archE1200ELNS1_3gpuE4ELNS1_3repE0EEENS1_30default_config_static_selectorELNS0_4arch9wavefront6targetE0EEEvT1_.uses_vcc, 0
	.set _ZN7rocprim17ROCPRIM_400000_NS6detail17trampoline_kernelINS0_14default_configENS1_25partition_config_selectorILNS1_17partition_subalgoE6EiNS0_10empty_typeEbEEZZNS1_14partition_implILS5_6ELb0ES3_mN6thrust23THRUST_200600_302600_NS6detail15normal_iteratorINSA_10device_ptrIiEEEEPS6_SG_NS0_5tupleIJSF_S6_EEENSH_IJSG_SG_EEES6_PlJNSB_9not_fun_tI7is_evenIiEEEEEE10hipError_tPvRmT3_T4_T5_T6_T7_T9_mT8_P12ihipStream_tbDpT10_ENKUlT_T0_E_clISt17integral_constantIbLb1EES17_IbLb0EEEEDaS13_S14_EUlS13_E_NS1_11comp_targetILNS1_3genE10ELNS1_11target_archE1200ELNS1_3gpuE4ELNS1_3repE0EEENS1_30default_config_static_selectorELNS0_4arch9wavefront6targetE0EEEvT1_.uses_flat_scratch, 0
	.set _ZN7rocprim17ROCPRIM_400000_NS6detail17trampoline_kernelINS0_14default_configENS1_25partition_config_selectorILNS1_17partition_subalgoE6EiNS0_10empty_typeEbEEZZNS1_14partition_implILS5_6ELb0ES3_mN6thrust23THRUST_200600_302600_NS6detail15normal_iteratorINSA_10device_ptrIiEEEEPS6_SG_NS0_5tupleIJSF_S6_EEENSH_IJSG_SG_EEES6_PlJNSB_9not_fun_tI7is_evenIiEEEEEE10hipError_tPvRmT3_T4_T5_T6_T7_T9_mT8_P12ihipStream_tbDpT10_ENKUlT_T0_E_clISt17integral_constantIbLb1EES17_IbLb0EEEEDaS13_S14_EUlS13_E_NS1_11comp_targetILNS1_3genE10ELNS1_11target_archE1200ELNS1_3gpuE4ELNS1_3repE0EEENS1_30default_config_static_selectorELNS0_4arch9wavefront6targetE0EEEvT1_.has_dyn_sized_stack, 0
	.set _ZN7rocprim17ROCPRIM_400000_NS6detail17trampoline_kernelINS0_14default_configENS1_25partition_config_selectorILNS1_17partition_subalgoE6EiNS0_10empty_typeEbEEZZNS1_14partition_implILS5_6ELb0ES3_mN6thrust23THRUST_200600_302600_NS6detail15normal_iteratorINSA_10device_ptrIiEEEEPS6_SG_NS0_5tupleIJSF_S6_EEENSH_IJSG_SG_EEES6_PlJNSB_9not_fun_tI7is_evenIiEEEEEE10hipError_tPvRmT3_T4_T5_T6_T7_T9_mT8_P12ihipStream_tbDpT10_ENKUlT_T0_E_clISt17integral_constantIbLb1EES17_IbLb0EEEEDaS13_S14_EUlS13_E_NS1_11comp_targetILNS1_3genE10ELNS1_11target_archE1200ELNS1_3gpuE4ELNS1_3repE0EEENS1_30default_config_static_selectorELNS0_4arch9wavefront6targetE0EEEvT1_.has_recursion, 0
	.set _ZN7rocprim17ROCPRIM_400000_NS6detail17trampoline_kernelINS0_14default_configENS1_25partition_config_selectorILNS1_17partition_subalgoE6EiNS0_10empty_typeEbEEZZNS1_14partition_implILS5_6ELb0ES3_mN6thrust23THRUST_200600_302600_NS6detail15normal_iteratorINSA_10device_ptrIiEEEEPS6_SG_NS0_5tupleIJSF_S6_EEENSH_IJSG_SG_EEES6_PlJNSB_9not_fun_tI7is_evenIiEEEEEE10hipError_tPvRmT3_T4_T5_T6_T7_T9_mT8_P12ihipStream_tbDpT10_ENKUlT_T0_E_clISt17integral_constantIbLb1EES17_IbLb0EEEEDaS13_S14_EUlS13_E_NS1_11comp_targetILNS1_3genE10ELNS1_11target_archE1200ELNS1_3gpuE4ELNS1_3repE0EEENS1_30default_config_static_selectorELNS0_4arch9wavefront6targetE0EEEvT1_.has_indirect_call, 0
	.section	.AMDGPU.csdata,"",@progbits
; Kernel info:
; codeLenInByte = 4
; TotalNumSgprs: 0
; NumVgprs: 0
; ScratchSize: 0
; MemoryBound: 0
; FloatMode: 240
; IeeeMode: 1
; LDSByteSize: 0 bytes/workgroup (compile time only)
; SGPRBlocks: 0
; VGPRBlocks: 0
; NumSGPRsForWavesPerEU: 1
; NumVGPRsForWavesPerEU: 1
; Occupancy: 16
; WaveLimiterHint : 0
; COMPUTE_PGM_RSRC2:SCRATCH_EN: 0
; COMPUTE_PGM_RSRC2:USER_SGPR: 2
; COMPUTE_PGM_RSRC2:TRAP_HANDLER: 0
; COMPUTE_PGM_RSRC2:TGID_X_EN: 1
; COMPUTE_PGM_RSRC2:TGID_Y_EN: 0
; COMPUTE_PGM_RSRC2:TGID_Z_EN: 0
; COMPUTE_PGM_RSRC2:TIDIG_COMP_CNT: 0
	.section	.text._ZN7rocprim17ROCPRIM_400000_NS6detail17trampoline_kernelINS0_14default_configENS1_25partition_config_selectorILNS1_17partition_subalgoE6EiNS0_10empty_typeEbEEZZNS1_14partition_implILS5_6ELb0ES3_mN6thrust23THRUST_200600_302600_NS6detail15normal_iteratorINSA_10device_ptrIiEEEEPS6_SG_NS0_5tupleIJSF_S6_EEENSH_IJSG_SG_EEES6_PlJNSB_9not_fun_tI7is_evenIiEEEEEE10hipError_tPvRmT3_T4_T5_T6_T7_T9_mT8_P12ihipStream_tbDpT10_ENKUlT_T0_E_clISt17integral_constantIbLb1EES17_IbLb0EEEEDaS13_S14_EUlS13_E_NS1_11comp_targetILNS1_3genE9ELNS1_11target_archE1100ELNS1_3gpuE3ELNS1_3repE0EEENS1_30default_config_static_selectorELNS0_4arch9wavefront6targetE0EEEvT1_,"axG",@progbits,_ZN7rocprim17ROCPRIM_400000_NS6detail17trampoline_kernelINS0_14default_configENS1_25partition_config_selectorILNS1_17partition_subalgoE6EiNS0_10empty_typeEbEEZZNS1_14partition_implILS5_6ELb0ES3_mN6thrust23THRUST_200600_302600_NS6detail15normal_iteratorINSA_10device_ptrIiEEEEPS6_SG_NS0_5tupleIJSF_S6_EEENSH_IJSG_SG_EEES6_PlJNSB_9not_fun_tI7is_evenIiEEEEEE10hipError_tPvRmT3_T4_T5_T6_T7_T9_mT8_P12ihipStream_tbDpT10_ENKUlT_T0_E_clISt17integral_constantIbLb1EES17_IbLb0EEEEDaS13_S14_EUlS13_E_NS1_11comp_targetILNS1_3genE9ELNS1_11target_archE1100ELNS1_3gpuE3ELNS1_3repE0EEENS1_30default_config_static_selectorELNS0_4arch9wavefront6targetE0EEEvT1_,comdat
	.protected	_ZN7rocprim17ROCPRIM_400000_NS6detail17trampoline_kernelINS0_14default_configENS1_25partition_config_selectorILNS1_17partition_subalgoE6EiNS0_10empty_typeEbEEZZNS1_14partition_implILS5_6ELb0ES3_mN6thrust23THRUST_200600_302600_NS6detail15normal_iteratorINSA_10device_ptrIiEEEEPS6_SG_NS0_5tupleIJSF_S6_EEENSH_IJSG_SG_EEES6_PlJNSB_9not_fun_tI7is_evenIiEEEEEE10hipError_tPvRmT3_T4_T5_T6_T7_T9_mT8_P12ihipStream_tbDpT10_ENKUlT_T0_E_clISt17integral_constantIbLb1EES17_IbLb0EEEEDaS13_S14_EUlS13_E_NS1_11comp_targetILNS1_3genE9ELNS1_11target_archE1100ELNS1_3gpuE3ELNS1_3repE0EEENS1_30default_config_static_selectorELNS0_4arch9wavefront6targetE0EEEvT1_ ; -- Begin function _ZN7rocprim17ROCPRIM_400000_NS6detail17trampoline_kernelINS0_14default_configENS1_25partition_config_selectorILNS1_17partition_subalgoE6EiNS0_10empty_typeEbEEZZNS1_14partition_implILS5_6ELb0ES3_mN6thrust23THRUST_200600_302600_NS6detail15normal_iteratorINSA_10device_ptrIiEEEEPS6_SG_NS0_5tupleIJSF_S6_EEENSH_IJSG_SG_EEES6_PlJNSB_9not_fun_tI7is_evenIiEEEEEE10hipError_tPvRmT3_T4_T5_T6_T7_T9_mT8_P12ihipStream_tbDpT10_ENKUlT_T0_E_clISt17integral_constantIbLb1EES17_IbLb0EEEEDaS13_S14_EUlS13_E_NS1_11comp_targetILNS1_3genE9ELNS1_11target_archE1100ELNS1_3gpuE3ELNS1_3repE0EEENS1_30default_config_static_selectorELNS0_4arch9wavefront6targetE0EEEvT1_
	.globl	_ZN7rocprim17ROCPRIM_400000_NS6detail17trampoline_kernelINS0_14default_configENS1_25partition_config_selectorILNS1_17partition_subalgoE6EiNS0_10empty_typeEbEEZZNS1_14partition_implILS5_6ELb0ES3_mN6thrust23THRUST_200600_302600_NS6detail15normal_iteratorINSA_10device_ptrIiEEEEPS6_SG_NS0_5tupleIJSF_S6_EEENSH_IJSG_SG_EEES6_PlJNSB_9not_fun_tI7is_evenIiEEEEEE10hipError_tPvRmT3_T4_T5_T6_T7_T9_mT8_P12ihipStream_tbDpT10_ENKUlT_T0_E_clISt17integral_constantIbLb1EES17_IbLb0EEEEDaS13_S14_EUlS13_E_NS1_11comp_targetILNS1_3genE9ELNS1_11target_archE1100ELNS1_3gpuE3ELNS1_3repE0EEENS1_30default_config_static_selectorELNS0_4arch9wavefront6targetE0EEEvT1_
	.p2align	8
	.type	_ZN7rocprim17ROCPRIM_400000_NS6detail17trampoline_kernelINS0_14default_configENS1_25partition_config_selectorILNS1_17partition_subalgoE6EiNS0_10empty_typeEbEEZZNS1_14partition_implILS5_6ELb0ES3_mN6thrust23THRUST_200600_302600_NS6detail15normal_iteratorINSA_10device_ptrIiEEEEPS6_SG_NS0_5tupleIJSF_S6_EEENSH_IJSG_SG_EEES6_PlJNSB_9not_fun_tI7is_evenIiEEEEEE10hipError_tPvRmT3_T4_T5_T6_T7_T9_mT8_P12ihipStream_tbDpT10_ENKUlT_T0_E_clISt17integral_constantIbLb1EES17_IbLb0EEEEDaS13_S14_EUlS13_E_NS1_11comp_targetILNS1_3genE9ELNS1_11target_archE1100ELNS1_3gpuE3ELNS1_3repE0EEENS1_30default_config_static_selectorELNS0_4arch9wavefront6targetE0EEEvT1_,@function
_ZN7rocprim17ROCPRIM_400000_NS6detail17trampoline_kernelINS0_14default_configENS1_25partition_config_selectorILNS1_17partition_subalgoE6EiNS0_10empty_typeEbEEZZNS1_14partition_implILS5_6ELb0ES3_mN6thrust23THRUST_200600_302600_NS6detail15normal_iteratorINSA_10device_ptrIiEEEEPS6_SG_NS0_5tupleIJSF_S6_EEENSH_IJSG_SG_EEES6_PlJNSB_9not_fun_tI7is_evenIiEEEEEE10hipError_tPvRmT3_T4_T5_T6_T7_T9_mT8_P12ihipStream_tbDpT10_ENKUlT_T0_E_clISt17integral_constantIbLb1EES17_IbLb0EEEEDaS13_S14_EUlS13_E_NS1_11comp_targetILNS1_3genE9ELNS1_11target_archE1100ELNS1_3gpuE3ELNS1_3repE0EEENS1_30default_config_static_selectorELNS0_4arch9wavefront6targetE0EEEvT1_: ; @_ZN7rocprim17ROCPRIM_400000_NS6detail17trampoline_kernelINS0_14default_configENS1_25partition_config_selectorILNS1_17partition_subalgoE6EiNS0_10empty_typeEbEEZZNS1_14partition_implILS5_6ELb0ES3_mN6thrust23THRUST_200600_302600_NS6detail15normal_iteratorINSA_10device_ptrIiEEEEPS6_SG_NS0_5tupleIJSF_S6_EEENSH_IJSG_SG_EEES6_PlJNSB_9not_fun_tI7is_evenIiEEEEEE10hipError_tPvRmT3_T4_T5_T6_T7_T9_mT8_P12ihipStream_tbDpT10_ENKUlT_T0_E_clISt17integral_constantIbLb1EES17_IbLb0EEEEDaS13_S14_EUlS13_E_NS1_11comp_targetILNS1_3genE9ELNS1_11target_archE1100ELNS1_3gpuE3ELNS1_3repE0EEENS1_30default_config_static_selectorELNS0_4arch9wavefront6targetE0EEEvT1_
; %bb.0:
	.section	.rodata,"a",@progbits
	.p2align	6, 0x0
	.amdhsa_kernel _ZN7rocprim17ROCPRIM_400000_NS6detail17trampoline_kernelINS0_14default_configENS1_25partition_config_selectorILNS1_17partition_subalgoE6EiNS0_10empty_typeEbEEZZNS1_14partition_implILS5_6ELb0ES3_mN6thrust23THRUST_200600_302600_NS6detail15normal_iteratorINSA_10device_ptrIiEEEEPS6_SG_NS0_5tupleIJSF_S6_EEENSH_IJSG_SG_EEES6_PlJNSB_9not_fun_tI7is_evenIiEEEEEE10hipError_tPvRmT3_T4_T5_T6_T7_T9_mT8_P12ihipStream_tbDpT10_ENKUlT_T0_E_clISt17integral_constantIbLb1EES17_IbLb0EEEEDaS13_S14_EUlS13_E_NS1_11comp_targetILNS1_3genE9ELNS1_11target_archE1100ELNS1_3gpuE3ELNS1_3repE0EEENS1_30default_config_static_selectorELNS0_4arch9wavefront6targetE0EEEvT1_
		.amdhsa_group_segment_fixed_size 0
		.amdhsa_private_segment_fixed_size 0
		.amdhsa_kernarg_size 112
		.amdhsa_user_sgpr_count 2
		.amdhsa_user_sgpr_dispatch_ptr 0
		.amdhsa_user_sgpr_queue_ptr 0
		.amdhsa_user_sgpr_kernarg_segment_ptr 1
		.amdhsa_user_sgpr_dispatch_id 0
		.amdhsa_user_sgpr_private_segment_size 0
		.amdhsa_wavefront_size32 1
		.amdhsa_uses_dynamic_stack 0
		.amdhsa_enable_private_segment 0
		.amdhsa_system_sgpr_workgroup_id_x 1
		.amdhsa_system_sgpr_workgroup_id_y 0
		.amdhsa_system_sgpr_workgroup_id_z 0
		.amdhsa_system_sgpr_workgroup_info 0
		.amdhsa_system_vgpr_workitem_id 0
		.amdhsa_next_free_vgpr 1
		.amdhsa_next_free_sgpr 1
		.amdhsa_reserve_vcc 0
		.amdhsa_float_round_mode_32 0
		.amdhsa_float_round_mode_16_64 0
		.amdhsa_float_denorm_mode_32 3
		.amdhsa_float_denorm_mode_16_64 3
		.amdhsa_fp16_overflow 0
		.amdhsa_workgroup_processor_mode 1
		.amdhsa_memory_ordered 1
		.amdhsa_forward_progress 1
		.amdhsa_inst_pref_size 0
		.amdhsa_round_robin_scheduling 0
		.amdhsa_exception_fp_ieee_invalid_op 0
		.amdhsa_exception_fp_denorm_src 0
		.amdhsa_exception_fp_ieee_div_zero 0
		.amdhsa_exception_fp_ieee_overflow 0
		.amdhsa_exception_fp_ieee_underflow 0
		.amdhsa_exception_fp_ieee_inexact 0
		.amdhsa_exception_int_div_zero 0
	.end_amdhsa_kernel
	.section	.text._ZN7rocprim17ROCPRIM_400000_NS6detail17trampoline_kernelINS0_14default_configENS1_25partition_config_selectorILNS1_17partition_subalgoE6EiNS0_10empty_typeEbEEZZNS1_14partition_implILS5_6ELb0ES3_mN6thrust23THRUST_200600_302600_NS6detail15normal_iteratorINSA_10device_ptrIiEEEEPS6_SG_NS0_5tupleIJSF_S6_EEENSH_IJSG_SG_EEES6_PlJNSB_9not_fun_tI7is_evenIiEEEEEE10hipError_tPvRmT3_T4_T5_T6_T7_T9_mT8_P12ihipStream_tbDpT10_ENKUlT_T0_E_clISt17integral_constantIbLb1EES17_IbLb0EEEEDaS13_S14_EUlS13_E_NS1_11comp_targetILNS1_3genE9ELNS1_11target_archE1100ELNS1_3gpuE3ELNS1_3repE0EEENS1_30default_config_static_selectorELNS0_4arch9wavefront6targetE0EEEvT1_,"axG",@progbits,_ZN7rocprim17ROCPRIM_400000_NS6detail17trampoline_kernelINS0_14default_configENS1_25partition_config_selectorILNS1_17partition_subalgoE6EiNS0_10empty_typeEbEEZZNS1_14partition_implILS5_6ELb0ES3_mN6thrust23THRUST_200600_302600_NS6detail15normal_iteratorINSA_10device_ptrIiEEEEPS6_SG_NS0_5tupleIJSF_S6_EEENSH_IJSG_SG_EEES6_PlJNSB_9not_fun_tI7is_evenIiEEEEEE10hipError_tPvRmT3_T4_T5_T6_T7_T9_mT8_P12ihipStream_tbDpT10_ENKUlT_T0_E_clISt17integral_constantIbLb1EES17_IbLb0EEEEDaS13_S14_EUlS13_E_NS1_11comp_targetILNS1_3genE9ELNS1_11target_archE1100ELNS1_3gpuE3ELNS1_3repE0EEENS1_30default_config_static_selectorELNS0_4arch9wavefront6targetE0EEEvT1_,comdat
.Lfunc_end747:
	.size	_ZN7rocprim17ROCPRIM_400000_NS6detail17trampoline_kernelINS0_14default_configENS1_25partition_config_selectorILNS1_17partition_subalgoE6EiNS0_10empty_typeEbEEZZNS1_14partition_implILS5_6ELb0ES3_mN6thrust23THRUST_200600_302600_NS6detail15normal_iteratorINSA_10device_ptrIiEEEEPS6_SG_NS0_5tupleIJSF_S6_EEENSH_IJSG_SG_EEES6_PlJNSB_9not_fun_tI7is_evenIiEEEEEE10hipError_tPvRmT3_T4_T5_T6_T7_T9_mT8_P12ihipStream_tbDpT10_ENKUlT_T0_E_clISt17integral_constantIbLb1EES17_IbLb0EEEEDaS13_S14_EUlS13_E_NS1_11comp_targetILNS1_3genE9ELNS1_11target_archE1100ELNS1_3gpuE3ELNS1_3repE0EEENS1_30default_config_static_selectorELNS0_4arch9wavefront6targetE0EEEvT1_, .Lfunc_end747-_ZN7rocprim17ROCPRIM_400000_NS6detail17trampoline_kernelINS0_14default_configENS1_25partition_config_selectorILNS1_17partition_subalgoE6EiNS0_10empty_typeEbEEZZNS1_14partition_implILS5_6ELb0ES3_mN6thrust23THRUST_200600_302600_NS6detail15normal_iteratorINSA_10device_ptrIiEEEEPS6_SG_NS0_5tupleIJSF_S6_EEENSH_IJSG_SG_EEES6_PlJNSB_9not_fun_tI7is_evenIiEEEEEE10hipError_tPvRmT3_T4_T5_T6_T7_T9_mT8_P12ihipStream_tbDpT10_ENKUlT_T0_E_clISt17integral_constantIbLb1EES17_IbLb0EEEEDaS13_S14_EUlS13_E_NS1_11comp_targetILNS1_3genE9ELNS1_11target_archE1100ELNS1_3gpuE3ELNS1_3repE0EEENS1_30default_config_static_selectorELNS0_4arch9wavefront6targetE0EEEvT1_
                                        ; -- End function
	.set _ZN7rocprim17ROCPRIM_400000_NS6detail17trampoline_kernelINS0_14default_configENS1_25partition_config_selectorILNS1_17partition_subalgoE6EiNS0_10empty_typeEbEEZZNS1_14partition_implILS5_6ELb0ES3_mN6thrust23THRUST_200600_302600_NS6detail15normal_iteratorINSA_10device_ptrIiEEEEPS6_SG_NS0_5tupleIJSF_S6_EEENSH_IJSG_SG_EEES6_PlJNSB_9not_fun_tI7is_evenIiEEEEEE10hipError_tPvRmT3_T4_T5_T6_T7_T9_mT8_P12ihipStream_tbDpT10_ENKUlT_T0_E_clISt17integral_constantIbLb1EES17_IbLb0EEEEDaS13_S14_EUlS13_E_NS1_11comp_targetILNS1_3genE9ELNS1_11target_archE1100ELNS1_3gpuE3ELNS1_3repE0EEENS1_30default_config_static_selectorELNS0_4arch9wavefront6targetE0EEEvT1_.num_vgpr, 0
	.set _ZN7rocprim17ROCPRIM_400000_NS6detail17trampoline_kernelINS0_14default_configENS1_25partition_config_selectorILNS1_17partition_subalgoE6EiNS0_10empty_typeEbEEZZNS1_14partition_implILS5_6ELb0ES3_mN6thrust23THRUST_200600_302600_NS6detail15normal_iteratorINSA_10device_ptrIiEEEEPS6_SG_NS0_5tupleIJSF_S6_EEENSH_IJSG_SG_EEES6_PlJNSB_9not_fun_tI7is_evenIiEEEEEE10hipError_tPvRmT3_T4_T5_T6_T7_T9_mT8_P12ihipStream_tbDpT10_ENKUlT_T0_E_clISt17integral_constantIbLb1EES17_IbLb0EEEEDaS13_S14_EUlS13_E_NS1_11comp_targetILNS1_3genE9ELNS1_11target_archE1100ELNS1_3gpuE3ELNS1_3repE0EEENS1_30default_config_static_selectorELNS0_4arch9wavefront6targetE0EEEvT1_.num_agpr, 0
	.set _ZN7rocprim17ROCPRIM_400000_NS6detail17trampoline_kernelINS0_14default_configENS1_25partition_config_selectorILNS1_17partition_subalgoE6EiNS0_10empty_typeEbEEZZNS1_14partition_implILS5_6ELb0ES3_mN6thrust23THRUST_200600_302600_NS6detail15normal_iteratorINSA_10device_ptrIiEEEEPS6_SG_NS0_5tupleIJSF_S6_EEENSH_IJSG_SG_EEES6_PlJNSB_9not_fun_tI7is_evenIiEEEEEE10hipError_tPvRmT3_T4_T5_T6_T7_T9_mT8_P12ihipStream_tbDpT10_ENKUlT_T0_E_clISt17integral_constantIbLb1EES17_IbLb0EEEEDaS13_S14_EUlS13_E_NS1_11comp_targetILNS1_3genE9ELNS1_11target_archE1100ELNS1_3gpuE3ELNS1_3repE0EEENS1_30default_config_static_selectorELNS0_4arch9wavefront6targetE0EEEvT1_.numbered_sgpr, 0
	.set _ZN7rocprim17ROCPRIM_400000_NS6detail17trampoline_kernelINS0_14default_configENS1_25partition_config_selectorILNS1_17partition_subalgoE6EiNS0_10empty_typeEbEEZZNS1_14partition_implILS5_6ELb0ES3_mN6thrust23THRUST_200600_302600_NS6detail15normal_iteratorINSA_10device_ptrIiEEEEPS6_SG_NS0_5tupleIJSF_S6_EEENSH_IJSG_SG_EEES6_PlJNSB_9not_fun_tI7is_evenIiEEEEEE10hipError_tPvRmT3_T4_T5_T6_T7_T9_mT8_P12ihipStream_tbDpT10_ENKUlT_T0_E_clISt17integral_constantIbLb1EES17_IbLb0EEEEDaS13_S14_EUlS13_E_NS1_11comp_targetILNS1_3genE9ELNS1_11target_archE1100ELNS1_3gpuE3ELNS1_3repE0EEENS1_30default_config_static_selectorELNS0_4arch9wavefront6targetE0EEEvT1_.num_named_barrier, 0
	.set _ZN7rocprim17ROCPRIM_400000_NS6detail17trampoline_kernelINS0_14default_configENS1_25partition_config_selectorILNS1_17partition_subalgoE6EiNS0_10empty_typeEbEEZZNS1_14partition_implILS5_6ELb0ES3_mN6thrust23THRUST_200600_302600_NS6detail15normal_iteratorINSA_10device_ptrIiEEEEPS6_SG_NS0_5tupleIJSF_S6_EEENSH_IJSG_SG_EEES6_PlJNSB_9not_fun_tI7is_evenIiEEEEEE10hipError_tPvRmT3_T4_T5_T6_T7_T9_mT8_P12ihipStream_tbDpT10_ENKUlT_T0_E_clISt17integral_constantIbLb1EES17_IbLb0EEEEDaS13_S14_EUlS13_E_NS1_11comp_targetILNS1_3genE9ELNS1_11target_archE1100ELNS1_3gpuE3ELNS1_3repE0EEENS1_30default_config_static_selectorELNS0_4arch9wavefront6targetE0EEEvT1_.private_seg_size, 0
	.set _ZN7rocprim17ROCPRIM_400000_NS6detail17trampoline_kernelINS0_14default_configENS1_25partition_config_selectorILNS1_17partition_subalgoE6EiNS0_10empty_typeEbEEZZNS1_14partition_implILS5_6ELb0ES3_mN6thrust23THRUST_200600_302600_NS6detail15normal_iteratorINSA_10device_ptrIiEEEEPS6_SG_NS0_5tupleIJSF_S6_EEENSH_IJSG_SG_EEES6_PlJNSB_9not_fun_tI7is_evenIiEEEEEE10hipError_tPvRmT3_T4_T5_T6_T7_T9_mT8_P12ihipStream_tbDpT10_ENKUlT_T0_E_clISt17integral_constantIbLb1EES17_IbLb0EEEEDaS13_S14_EUlS13_E_NS1_11comp_targetILNS1_3genE9ELNS1_11target_archE1100ELNS1_3gpuE3ELNS1_3repE0EEENS1_30default_config_static_selectorELNS0_4arch9wavefront6targetE0EEEvT1_.uses_vcc, 0
	.set _ZN7rocprim17ROCPRIM_400000_NS6detail17trampoline_kernelINS0_14default_configENS1_25partition_config_selectorILNS1_17partition_subalgoE6EiNS0_10empty_typeEbEEZZNS1_14partition_implILS5_6ELb0ES3_mN6thrust23THRUST_200600_302600_NS6detail15normal_iteratorINSA_10device_ptrIiEEEEPS6_SG_NS0_5tupleIJSF_S6_EEENSH_IJSG_SG_EEES6_PlJNSB_9not_fun_tI7is_evenIiEEEEEE10hipError_tPvRmT3_T4_T5_T6_T7_T9_mT8_P12ihipStream_tbDpT10_ENKUlT_T0_E_clISt17integral_constantIbLb1EES17_IbLb0EEEEDaS13_S14_EUlS13_E_NS1_11comp_targetILNS1_3genE9ELNS1_11target_archE1100ELNS1_3gpuE3ELNS1_3repE0EEENS1_30default_config_static_selectorELNS0_4arch9wavefront6targetE0EEEvT1_.uses_flat_scratch, 0
	.set _ZN7rocprim17ROCPRIM_400000_NS6detail17trampoline_kernelINS0_14default_configENS1_25partition_config_selectorILNS1_17partition_subalgoE6EiNS0_10empty_typeEbEEZZNS1_14partition_implILS5_6ELb0ES3_mN6thrust23THRUST_200600_302600_NS6detail15normal_iteratorINSA_10device_ptrIiEEEEPS6_SG_NS0_5tupleIJSF_S6_EEENSH_IJSG_SG_EEES6_PlJNSB_9not_fun_tI7is_evenIiEEEEEE10hipError_tPvRmT3_T4_T5_T6_T7_T9_mT8_P12ihipStream_tbDpT10_ENKUlT_T0_E_clISt17integral_constantIbLb1EES17_IbLb0EEEEDaS13_S14_EUlS13_E_NS1_11comp_targetILNS1_3genE9ELNS1_11target_archE1100ELNS1_3gpuE3ELNS1_3repE0EEENS1_30default_config_static_selectorELNS0_4arch9wavefront6targetE0EEEvT1_.has_dyn_sized_stack, 0
	.set _ZN7rocprim17ROCPRIM_400000_NS6detail17trampoline_kernelINS0_14default_configENS1_25partition_config_selectorILNS1_17partition_subalgoE6EiNS0_10empty_typeEbEEZZNS1_14partition_implILS5_6ELb0ES3_mN6thrust23THRUST_200600_302600_NS6detail15normal_iteratorINSA_10device_ptrIiEEEEPS6_SG_NS0_5tupleIJSF_S6_EEENSH_IJSG_SG_EEES6_PlJNSB_9not_fun_tI7is_evenIiEEEEEE10hipError_tPvRmT3_T4_T5_T6_T7_T9_mT8_P12ihipStream_tbDpT10_ENKUlT_T0_E_clISt17integral_constantIbLb1EES17_IbLb0EEEEDaS13_S14_EUlS13_E_NS1_11comp_targetILNS1_3genE9ELNS1_11target_archE1100ELNS1_3gpuE3ELNS1_3repE0EEENS1_30default_config_static_selectorELNS0_4arch9wavefront6targetE0EEEvT1_.has_recursion, 0
	.set _ZN7rocprim17ROCPRIM_400000_NS6detail17trampoline_kernelINS0_14default_configENS1_25partition_config_selectorILNS1_17partition_subalgoE6EiNS0_10empty_typeEbEEZZNS1_14partition_implILS5_6ELb0ES3_mN6thrust23THRUST_200600_302600_NS6detail15normal_iteratorINSA_10device_ptrIiEEEEPS6_SG_NS0_5tupleIJSF_S6_EEENSH_IJSG_SG_EEES6_PlJNSB_9not_fun_tI7is_evenIiEEEEEE10hipError_tPvRmT3_T4_T5_T6_T7_T9_mT8_P12ihipStream_tbDpT10_ENKUlT_T0_E_clISt17integral_constantIbLb1EES17_IbLb0EEEEDaS13_S14_EUlS13_E_NS1_11comp_targetILNS1_3genE9ELNS1_11target_archE1100ELNS1_3gpuE3ELNS1_3repE0EEENS1_30default_config_static_selectorELNS0_4arch9wavefront6targetE0EEEvT1_.has_indirect_call, 0
	.section	.AMDGPU.csdata,"",@progbits
; Kernel info:
; codeLenInByte = 0
; TotalNumSgprs: 0
; NumVgprs: 0
; ScratchSize: 0
; MemoryBound: 0
; FloatMode: 240
; IeeeMode: 1
; LDSByteSize: 0 bytes/workgroup (compile time only)
; SGPRBlocks: 0
; VGPRBlocks: 0
; NumSGPRsForWavesPerEU: 1
; NumVGPRsForWavesPerEU: 1
; Occupancy: 16
; WaveLimiterHint : 0
; COMPUTE_PGM_RSRC2:SCRATCH_EN: 0
; COMPUTE_PGM_RSRC2:USER_SGPR: 2
; COMPUTE_PGM_RSRC2:TRAP_HANDLER: 0
; COMPUTE_PGM_RSRC2:TGID_X_EN: 1
; COMPUTE_PGM_RSRC2:TGID_Y_EN: 0
; COMPUTE_PGM_RSRC2:TGID_Z_EN: 0
; COMPUTE_PGM_RSRC2:TIDIG_COMP_CNT: 0
	.section	.text._ZN7rocprim17ROCPRIM_400000_NS6detail17trampoline_kernelINS0_14default_configENS1_25partition_config_selectorILNS1_17partition_subalgoE6EiNS0_10empty_typeEbEEZZNS1_14partition_implILS5_6ELb0ES3_mN6thrust23THRUST_200600_302600_NS6detail15normal_iteratorINSA_10device_ptrIiEEEEPS6_SG_NS0_5tupleIJSF_S6_EEENSH_IJSG_SG_EEES6_PlJNSB_9not_fun_tI7is_evenIiEEEEEE10hipError_tPvRmT3_T4_T5_T6_T7_T9_mT8_P12ihipStream_tbDpT10_ENKUlT_T0_E_clISt17integral_constantIbLb1EES17_IbLb0EEEEDaS13_S14_EUlS13_E_NS1_11comp_targetILNS1_3genE8ELNS1_11target_archE1030ELNS1_3gpuE2ELNS1_3repE0EEENS1_30default_config_static_selectorELNS0_4arch9wavefront6targetE0EEEvT1_,"axG",@progbits,_ZN7rocprim17ROCPRIM_400000_NS6detail17trampoline_kernelINS0_14default_configENS1_25partition_config_selectorILNS1_17partition_subalgoE6EiNS0_10empty_typeEbEEZZNS1_14partition_implILS5_6ELb0ES3_mN6thrust23THRUST_200600_302600_NS6detail15normal_iteratorINSA_10device_ptrIiEEEEPS6_SG_NS0_5tupleIJSF_S6_EEENSH_IJSG_SG_EEES6_PlJNSB_9not_fun_tI7is_evenIiEEEEEE10hipError_tPvRmT3_T4_T5_T6_T7_T9_mT8_P12ihipStream_tbDpT10_ENKUlT_T0_E_clISt17integral_constantIbLb1EES17_IbLb0EEEEDaS13_S14_EUlS13_E_NS1_11comp_targetILNS1_3genE8ELNS1_11target_archE1030ELNS1_3gpuE2ELNS1_3repE0EEENS1_30default_config_static_selectorELNS0_4arch9wavefront6targetE0EEEvT1_,comdat
	.protected	_ZN7rocprim17ROCPRIM_400000_NS6detail17trampoline_kernelINS0_14default_configENS1_25partition_config_selectorILNS1_17partition_subalgoE6EiNS0_10empty_typeEbEEZZNS1_14partition_implILS5_6ELb0ES3_mN6thrust23THRUST_200600_302600_NS6detail15normal_iteratorINSA_10device_ptrIiEEEEPS6_SG_NS0_5tupleIJSF_S6_EEENSH_IJSG_SG_EEES6_PlJNSB_9not_fun_tI7is_evenIiEEEEEE10hipError_tPvRmT3_T4_T5_T6_T7_T9_mT8_P12ihipStream_tbDpT10_ENKUlT_T0_E_clISt17integral_constantIbLb1EES17_IbLb0EEEEDaS13_S14_EUlS13_E_NS1_11comp_targetILNS1_3genE8ELNS1_11target_archE1030ELNS1_3gpuE2ELNS1_3repE0EEENS1_30default_config_static_selectorELNS0_4arch9wavefront6targetE0EEEvT1_ ; -- Begin function _ZN7rocprim17ROCPRIM_400000_NS6detail17trampoline_kernelINS0_14default_configENS1_25partition_config_selectorILNS1_17partition_subalgoE6EiNS0_10empty_typeEbEEZZNS1_14partition_implILS5_6ELb0ES3_mN6thrust23THRUST_200600_302600_NS6detail15normal_iteratorINSA_10device_ptrIiEEEEPS6_SG_NS0_5tupleIJSF_S6_EEENSH_IJSG_SG_EEES6_PlJNSB_9not_fun_tI7is_evenIiEEEEEE10hipError_tPvRmT3_T4_T5_T6_T7_T9_mT8_P12ihipStream_tbDpT10_ENKUlT_T0_E_clISt17integral_constantIbLb1EES17_IbLb0EEEEDaS13_S14_EUlS13_E_NS1_11comp_targetILNS1_3genE8ELNS1_11target_archE1030ELNS1_3gpuE2ELNS1_3repE0EEENS1_30default_config_static_selectorELNS0_4arch9wavefront6targetE0EEEvT1_
	.globl	_ZN7rocprim17ROCPRIM_400000_NS6detail17trampoline_kernelINS0_14default_configENS1_25partition_config_selectorILNS1_17partition_subalgoE6EiNS0_10empty_typeEbEEZZNS1_14partition_implILS5_6ELb0ES3_mN6thrust23THRUST_200600_302600_NS6detail15normal_iteratorINSA_10device_ptrIiEEEEPS6_SG_NS0_5tupleIJSF_S6_EEENSH_IJSG_SG_EEES6_PlJNSB_9not_fun_tI7is_evenIiEEEEEE10hipError_tPvRmT3_T4_T5_T6_T7_T9_mT8_P12ihipStream_tbDpT10_ENKUlT_T0_E_clISt17integral_constantIbLb1EES17_IbLb0EEEEDaS13_S14_EUlS13_E_NS1_11comp_targetILNS1_3genE8ELNS1_11target_archE1030ELNS1_3gpuE2ELNS1_3repE0EEENS1_30default_config_static_selectorELNS0_4arch9wavefront6targetE0EEEvT1_
	.p2align	8
	.type	_ZN7rocprim17ROCPRIM_400000_NS6detail17trampoline_kernelINS0_14default_configENS1_25partition_config_selectorILNS1_17partition_subalgoE6EiNS0_10empty_typeEbEEZZNS1_14partition_implILS5_6ELb0ES3_mN6thrust23THRUST_200600_302600_NS6detail15normal_iteratorINSA_10device_ptrIiEEEEPS6_SG_NS0_5tupleIJSF_S6_EEENSH_IJSG_SG_EEES6_PlJNSB_9not_fun_tI7is_evenIiEEEEEE10hipError_tPvRmT3_T4_T5_T6_T7_T9_mT8_P12ihipStream_tbDpT10_ENKUlT_T0_E_clISt17integral_constantIbLb1EES17_IbLb0EEEEDaS13_S14_EUlS13_E_NS1_11comp_targetILNS1_3genE8ELNS1_11target_archE1030ELNS1_3gpuE2ELNS1_3repE0EEENS1_30default_config_static_selectorELNS0_4arch9wavefront6targetE0EEEvT1_,@function
_ZN7rocprim17ROCPRIM_400000_NS6detail17trampoline_kernelINS0_14default_configENS1_25partition_config_selectorILNS1_17partition_subalgoE6EiNS0_10empty_typeEbEEZZNS1_14partition_implILS5_6ELb0ES3_mN6thrust23THRUST_200600_302600_NS6detail15normal_iteratorINSA_10device_ptrIiEEEEPS6_SG_NS0_5tupleIJSF_S6_EEENSH_IJSG_SG_EEES6_PlJNSB_9not_fun_tI7is_evenIiEEEEEE10hipError_tPvRmT3_T4_T5_T6_T7_T9_mT8_P12ihipStream_tbDpT10_ENKUlT_T0_E_clISt17integral_constantIbLb1EES17_IbLb0EEEEDaS13_S14_EUlS13_E_NS1_11comp_targetILNS1_3genE8ELNS1_11target_archE1030ELNS1_3gpuE2ELNS1_3repE0EEENS1_30default_config_static_selectorELNS0_4arch9wavefront6targetE0EEEvT1_: ; @_ZN7rocprim17ROCPRIM_400000_NS6detail17trampoline_kernelINS0_14default_configENS1_25partition_config_selectorILNS1_17partition_subalgoE6EiNS0_10empty_typeEbEEZZNS1_14partition_implILS5_6ELb0ES3_mN6thrust23THRUST_200600_302600_NS6detail15normal_iteratorINSA_10device_ptrIiEEEEPS6_SG_NS0_5tupleIJSF_S6_EEENSH_IJSG_SG_EEES6_PlJNSB_9not_fun_tI7is_evenIiEEEEEE10hipError_tPvRmT3_T4_T5_T6_T7_T9_mT8_P12ihipStream_tbDpT10_ENKUlT_T0_E_clISt17integral_constantIbLb1EES17_IbLb0EEEEDaS13_S14_EUlS13_E_NS1_11comp_targetILNS1_3genE8ELNS1_11target_archE1030ELNS1_3gpuE2ELNS1_3repE0EEENS1_30default_config_static_selectorELNS0_4arch9wavefront6targetE0EEEvT1_
; %bb.0:
	.section	.rodata,"a",@progbits
	.p2align	6, 0x0
	.amdhsa_kernel _ZN7rocprim17ROCPRIM_400000_NS6detail17trampoline_kernelINS0_14default_configENS1_25partition_config_selectorILNS1_17partition_subalgoE6EiNS0_10empty_typeEbEEZZNS1_14partition_implILS5_6ELb0ES3_mN6thrust23THRUST_200600_302600_NS6detail15normal_iteratorINSA_10device_ptrIiEEEEPS6_SG_NS0_5tupleIJSF_S6_EEENSH_IJSG_SG_EEES6_PlJNSB_9not_fun_tI7is_evenIiEEEEEE10hipError_tPvRmT3_T4_T5_T6_T7_T9_mT8_P12ihipStream_tbDpT10_ENKUlT_T0_E_clISt17integral_constantIbLb1EES17_IbLb0EEEEDaS13_S14_EUlS13_E_NS1_11comp_targetILNS1_3genE8ELNS1_11target_archE1030ELNS1_3gpuE2ELNS1_3repE0EEENS1_30default_config_static_selectorELNS0_4arch9wavefront6targetE0EEEvT1_
		.amdhsa_group_segment_fixed_size 0
		.amdhsa_private_segment_fixed_size 0
		.amdhsa_kernarg_size 112
		.amdhsa_user_sgpr_count 2
		.amdhsa_user_sgpr_dispatch_ptr 0
		.amdhsa_user_sgpr_queue_ptr 0
		.amdhsa_user_sgpr_kernarg_segment_ptr 1
		.amdhsa_user_sgpr_dispatch_id 0
		.amdhsa_user_sgpr_private_segment_size 0
		.amdhsa_wavefront_size32 1
		.amdhsa_uses_dynamic_stack 0
		.amdhsa_enable_private_segment 0
		.amdhsa_system_sgpr_workgroup_id_x 1
		.amdhsa_system_sgpr_workgroup_id_y 0
		.amdhsa_system_sgpr_workgroup_id_z 0
		.amdhsa_system_sgpr_workgroup_info 0
		.amdhsa_system_vgpr_workitem_id 0
		.amdhsa_next_free_vgpr 1
		.amdhsa_next_free_sgpr 1
		.amdhsa_reserve_vcc 0
		.amdhsa_float_round_mode_32 0
		.amdhsa_float_round_mode_16_64 0
		.amdhsa_float_denorm_mode_32 3
		.amdhsa_float_denorm_mode_16_64 3
		.amdhsa_fp16_overflow 0
		.amdhsa_workgroup_processor_mode 1
		.amdhsa_memory_ordered 1
		.amdhsa_forward_progress 1
		.amdhsa_inst_pref_size 0
		.amdhsa_round_robin_scheduling 0
		.amdhsa_exception_fp_ieee_invalid_op 0
		.amdhsa_exception_fp_denorm_src 0
		.amdhsa_exception_fp_ieee_div_zero 0
		.amdhsa_exception_fp_ieee_overflow 0
		.amdhsa_exception_fp_ieee_underflow 0
		.amdhsa_exception_fp_ieee_inexact 0
		.amdhsa_exception_int_div_zero 0
	.end_amdhsa_kernel
	.section	.text._ZN7rocprim17ROCPRIM_400000_NS6detail17trampoline_kernelINS0_14default_configENS1_25partition_config_selectorILNS1_17partition_subalgoE6EiNS0_10empty_typeEbEEZZNS1_14partition_implILS5_6ELb0ES3_mN6thrust23THRUST_200600_302600_NS6detail15normal_iteratorINSA_10device_ptrIiEEEEPS6_SG_NS0_5tupleIJSF_S6_EEENSH_IJSG_SG_EEES6_PlJNSB_9not_fun_tI7is_evenIiEEEEEE10hipError_tPvRmT3_T4_T5_T6_T7_T9_mT8_P12ihipStream_tbDpT10_ENKUlT_T0_E_clISt17integral_constantIbLb1EES17_IbLb0EEEEDaS13_S14_EUlS13_E_NS1_11comp_targetILNS1_3genE8ELNS1_11target_archE1030ELNS1_3gpuE2ELNS1_3repE0EEENS1_30default_config_static_selectorELNS0_4arch9wavefront6targetE0EEEvT1_,"axG",@progbits,_ZN7rocprim17ROCPRIM_400000_NS6detail17trampoline_kernelINS0_14default_configENS1_25partition_config_selectorILNS1_17partition_subalgoE6EiNS0_10empty_typeEbEEZZNS1_14partition_implILS5_6ELb0ES3_mN6thrust23THRUST_200600_302600_NS6detail15normal_iteratorINSA_10device_ptrIiEEEEPS6_SG_NS0_5tupleIJSF_S6_EEENSH_IJSG_SG_EEES6_PlJNSB_9not_fun_tI7is_evenIiEEEEEE10hipError_tPvRmT3_T4_T5_T6_T7_T9_mT8_P12ihipStream_tbDpT10_ENKUlT_T0_E_clISt17integral_constantIbLb1EES17_IbLb0EEEEDaS13_S14_EUlS13_E_NS1_11comp_targetILNS1_3genE8ELNS1_11target_archE1030ELNS1_3gpuE2ELNS1_3repE0EEENS1_30default_config_static_selectorELNS0_4arch9wavefront6targetE0EEEvT1_,comdat
.Lfunc_end748:
	.size	_ZN7rocprim17ROCPRIM_400000_NS6detail17trampoline_kernelINS0_14default_configENS1_25partition_config_selectorILNS1_17partition_subalgoE6EiNS0_10empty_typeEbEEZZNS1_14partition_implILS5_6ELb0ES3_mN6thrust23THRUST_200600_302600_NS6detail15normal_iteratorINSA_10device_ptrIiEEEEPS6_SG_NS0_5tupleIJSF_S6_EEENSH_IJSG_SG_EEES6_PlJNSB_9not_fun_tI7is_evenIiEEEEEE10hipError_tPvRmT3_T4_T5_T6_T7_T9_mT8_P12ihipStream_tbDpT10_ENKUlT_T0_E_clISt17integral_constantIbLb1EES17_IbLb0EEEEDaS13_S14_EUlS13_E_NS1_11comp_targetILNS1_3genE8ELNS1_11target_archE1030ELNS1_3gpuE2ELNS1_3repE0EEENS1_30default_config_static_selectorELNS0_4arch9wavefront6targetE0EEEvT1_, .Lfunc_end748-_ZN7rocprim17ROCPRIM_400000_NS6detail17trampoline_kernelINS0_14default_configENS1_25partition_config_selectorILNS1_17partition_subalgoE6EiNS0_10empty_typeEbEEZZNS1_14partition_implILS5_6ELb0ES3_mN6thrust23THRUST_200600_302600_NS6detail15normal_iteratorINSA_10device_ptrIiEEEEPS6_SG_NS0_5tupleIJSF_S6_EEENSH_IJSG_SG_EEES6_PlJNSB_9not_fun_tI7is_evenIiEEEEEE10hipError_tPvRmT3_T4_T5_T6_T7_T9_mT8_P12ihipStream_tbDpT10_ENKUlT_T0_E_clISt17integral_constantIbLb1EES17_IbLb0EEEEDaS13_S14_EUlS13_E_NS1_11comp_targetILNS1_3genE8ELNS1_11target_archE1030ELNS1_3gpuE2ELNS1_3repE0EEENS1_30default_config_static_selectorELNS0_4arch9wavefront6targetE0EEEvT1_
                                        ; -- End function
	.set _ZN7rocprim17ROCPRIM_400000_NS6detail17trampoline_kernelINS0_14default_configENS1_25partition_config_selectorILNS1_17partition_subalgoE6EiNS0_10empty_typeEbEEZZNS1_14partition_implILS5_6ELb0ES3_mN6thrust23THRUST_200600_302600_NS6detail15normal_iteratorINSA_10device_ptrIiEEEEPS6_SG_NS0_5tupleIJSF_S6_EEENSH_IJSG_SG_EEES6_PlJNSB_9not_fun_tI7is_evenIiEEEEEE10hipError_tPvRmT3_T4_T5_T6_T7_T9_mT8_P12ihipStream_tbDpT10_ENKUlT_T0_E_clISt17integral_constantIbLb1EES17_IbLb0EEEEDaS13_S14_EUlS13_E_NS1_11comp_targetILNS1_3genE8ELNS1_11target_archE1030ELNS1_3gpuE2ELNS1_3repE0EEENS1_30default_config_static_selectorELNS0_4arch9wavefront6targetE0EEEvT1_.num_vgpr, 0
	.set _ZN7rocprim17ROCPRIM_400000_NS6detail17trampoline_kernelINS0_14default_configENS1_25partition_config_selectorILNS1_17partition_subalgoE6EiNS0_10empty_typeEbEEZZNS1_14partition_implILS5_6ELb0ES3_mN6thrust23THRUST_200600_302600_NS6detail15normal_iteratorINSA_10device_ptrIiEEEEPS6_SG_NS0_5tupleIJSF_S6_EEENSH_IJSG_SG_EEES6_PlJNSB_9not_fun_tI7is_evenIiEEEEEE10hipError_tPvRmT3_T4_T5_T6_T7_T9_mT8_P12ihipStream_tbDpT10_ENKUlT_T0_E_clISt17integral_constantIbLb1EES17_IbLb0EEEEDaS13_S14_EUlS13_E_NS1_11comp_targetILNS1_3genE8ELNS1_11target_archE1030ELNS1_3gpuE2ELNS1_3repE0EEENS1_30default_config_static_selectorELNS0_4arch9wavefront6targetE0EEEvT1_.num_agpr, 0
	.set _ZN7rocprim17ROCPRIM_400000_NS6detail17trampoline_kernelINS0_14default_configENS1_25partition_config_selectorILNS1_17partition_subalgoE6EiNS0_10empty_typeEbEEZZNS1_14partition_implILS5_6ELb0ES3_mN6thrust23THRUST_200600_302600_NS6detail15normal_iteratorINSA_10device_ptrIiEEEEPS6_SG_NS0_5tupleIJSF_S6_EEENSH_IJSG_SG_EEES6_PlJNSB_9not_fun_tI7is_evenIiEEEEEE10hipError_tPvRmT3_T4_T5_T6_T7_T9_mT8_P12ihipStream_tbDpT10_ENKUlT_T0_E_clISt17integral_constantIbLb1EES17_IbLb0EEEEDaS13_S14_EUlS13_E_NS1_11comp_targetILNS1_3genE8ELNS1_11target_archE1030ELNS1_3gpuE2ELNS1_3repE0EEENS1_30default_config_static_selectorELNS0_4arch9wavefront6targetE0EEEvT1_.numbered_sgpr, 0
	.set _ZN7rocprim17ROCPRIM_400000_NS6detail17trampoline_kernelINS0_14default_configENS1_25partition_config_selectorILNS1_17partition_subalgoE6EiNS0_10empty_typeEbEEZZNS1_14partition_implILS5_6ELb0ES3_mN6thrust23THRUST_200600_302600_NS6detail15normal_iteratorINSA_10device_ptrIiEEEEPS6_SG_NS0_5tupleIJSF_S6_EEENSH_IJSG_SG_EEES6_PlJNSB_9not_fun_tI7is_evenIiEEEEEE10hipError_tPvRmT3_T4_T5_T6_T7_T9_mT8_P12ihipStream_tbDpT10_ENKUlT_T0_E_clISt17integral_constantIbLb1EES17_IbLb0EEEEDaS13_S14_EUlS13_E_NS1_11comp_targetILNS1_3genE8ELNS1_11target_archE1030ELNS1_3gpuE2ELNS1_3repE0EEENS1_30default_config_static_selectorELNS0_4arch9wavefront6targetE0EEEvT1_.num_named_barrier, 0
	.set _ZN7rocprim17ROCPRIM_400000_NS6detail17trampoline_kernelINS0_14default_configENS1_25partition_config_selectorILNS1_17partition_subalgoE6EiNS0_10empty_typeEbEEZZNS1_14partition_implILS5_6ELb0ES3_mN6thrust23THRUST_200600_302600_NS6detail15normal_iteratorINSA_10device_ptrIiEEEEPS6_SG_NS0_5tupleIJSF_S6_EEENSH_IJSG_SG_EEES6_PlJNSB_9not_fun_tI7is_evenIiEEEEEE10hipError_tPvRmT3_T4_T5_T6_T7_T9_mT8_P12ihipStream_tbDpT10_ENKUlT_T0_E_clISt17integral_constantIbLb1EES17_IbLb0EEEEDaS13_S14_EUlS13_E_NS1_11comp_targetILNS1_3genE8ELNS1_11target_archE1030ELNS1_3gpuE2ELNS1_3repE0EEENS1_30default_config_static_selectorELNS0_4arch9wavefront6targetE0EEEvT1_.private_seg_size, 0
	.set _ZN7rocprim17ROCPRIM_400000_NS6detail17trampoline_kernelINS0_14default_configENS1_25partition_config_selectorILNS1_17partition_subalgoE6EiNS0_10empty_typeEbEEZZNS1_14partition_implILS5_6ELb0ES3_mN6thrust23THRUST_200600_302600_NS6detail15normal_iteratorINSA_10device_ptrIiEEEEPS6_SG_NS0_5tupleIJSF_S6_EEENSH_IJSG_SG_EEES6_PlJNSB_9not_fun_tI7is_evenIiEEEEEE10hipError_tPvRmT3_T4_T5_T6_T7_T9_mT8_P12ihipStream_tbDpT10_ENKUlT_T0_E_clISt17integral_constantIbLb1EES17_IbLb0EEEEDaS13_S14_EUlS13_E_NS1_11comp_targetILNS1_3genE8ELNS1_11target_archE1030ELNS1_3gpuE2ELNS1_3repE0EEENS1_30default_config_static_selectorELNS0_4arch9wavefront6targetE0EEEvT1_.uses_vcc, 0
	.set _ZN7rocprim17ROCPRIM_400000_NS6detail17trampoline_kernelINS0_14default_configENS1_25partition_config_selectorILNS1_17partition_subalgoE6EiNS0_10empty_typeEbEEZZNS1_14partition_implILS5_6ELb0ES3_mN6thrust23THRUST_200600_302600_NS6detail15normal_iteratorINSA_10device_ptrIiEEEEPS6_SG_NS0_5tupleIJSF_S6_EEENSH_IJSG_SG_EEES6_PlJNSB_9not_fun_tI7is_evenIiEEEEEE10hipError_tPvRmT3_T4_T5_T6_T7_T9_mT8_P12ihipStream_tbDpT10_ENKUlT_T0_E_clISt17integral_constantIbLb1EES17_IbLb0EEEEDaS13_S14_EUlS13_E_NS1_11comp_targetILNS1_3genE8ELNS1_11target_archE1030ELNS1_3gpuE2ELNS1_3repE0EEENS1_30default_config_static_selectorELNS0_4arch9wavefront6targetE0EEEvT1_.uses_flat_scratch, 0
	.set _ZN7rocprim17ROCPRIM_400000_NS6detail17trampoline_kernelINS0_14default_configENS1_25partition_config_selectorILNS1_17partition_subalgoE6EiNS0_10empty_typeEbEEZZNS1_14partition_implILS5_6ELb0ES3_mN6thrust23THRUST_200600_302600_NS6detail15normal_iteratorINSA_10device_ptrIiEEEEPS6_SG_NS0_5tupleIJSF_S6_EEENSH_IJSG_SG_EEES6_PlJNSB_9not_fun_tI7is_evenIiEEEEEE10hipError_tPvRmT3_T4_T5_T6_T7_T9_mT8_P12ihipStream_tbDpT10_ENKUlT_T0_E_clISt17integral_constantIbLb1EES17_IbLb0EEEEDaS13_S14_EUlS13_E_NS1_11comp_targetILNS1_3genE8ELNS1_11target_archE1030ELNS1_3gpuE2ELNS1_3repE0EEENS1_30default_config_static_selectorELNS0_4arch9wavefront6targetE0EEEvT1_.has_dyn_sized_stack, 0
	.set _ZN7rocprim17ROCPRIM_400000_NS6detail17trampoline_kernelINS0_14default_configENS1_25partition_config_selectorILNS1_17partition_subalgoE6EiNS0_10empty_typeEbEEZZNS1_14partition_implILS5_6ELb0ES3_mN6thrust23THRUST_200600_302600_NS6detail15normal_iteratorINSA_10device_ptrIiEEEEPS6_SG_NS0_5tupleIJSF_S6_EEENSH_IJSG_SG_EEES6_PlJNSB_9not_fun_tI7is_evenIiEEEEEE10hipError_tPvRmT3_T4_T5_T6_T7_T9_mT8_P12ihipStream_tbDpT10_ENKUlT_T0_E_clISt17integral_constantIbLb1EES17_IbLb0EEEEDaS13_S14_EUlS13_E_NS1_11comp_targetILNS1_3genE8ELNS1_11target_archE1030ELNS1_3gpuE2ELNS1_3repE0EEENS1_30default_config_static_selectorELNS0_4arch9wavefront6targetE0EEEvT1_.has_recursion, 0
	.set _ZN7rocprim17ROCPRIM_400000_NS6detail17trampoline_kernelINS0_14default_configENS1_25partition_config_selectorILNS1_17partition_subalgoE6EiNS0_10empty_typeEbEEZZNS1_14partition_implILS5_6ELb0ES3_mN6thrust23THRUST_200600_302600_NS6detail15normal_iteratorINSA_10device_ptrIiEEEEPS6_SG_NS0_5tupleIJSF_S6_EEENSH_IJSG_SG_EEES6_PlJNSB_9not_fun_tI7is_evenIiEEEEEE10hipError_tPvRmT3_T4_T5_T6_T7_T9_mT8_P12ihipStream_tbDpT10_ENKUlT_T0_E_clISt17integral_constantIbLb1EES17_IbLb0EEEEDaS13_S14_EUlS13_E_NS1_11comp_targetILNS1_3genE8ELNS1_11target_archE1030ELNS1_3gpuE2ELNS1_3repE0EEENS1_30default_config_static_selectorELNS0_4arch9wavefront6targetE0EEEvT1_.has_indirect_call, 0
	.section	.AMDGPU.csdata,"",@progbits
; Kernel info:
; codeLenInByte = 0
; TotalNumSgprs: 0
; NumVgprs: 0
; ScratchSize: 0
; MemoryBound: 0
; FloatMode: 240
; IeeeMode: 1
; LDSByteSize: 0 bytes/workgroup (compile time only)
; SGPRBlocks: 0
; VGPRBlocks: 0
; NumSGPRsForWavesPerEU: 1
; NumVGPRsForWavesPerEU: 1
; Occupancy: 16
; WaveLimiterHint : 0
; COMPUTE_PGM_RSRC2:SCRATCH_EN: 0
; COMPUTE_PGM_RSRC2:USER_SGPR: 2
; COMPUTE_PGM_RSRC2:TRAP_HANDLER: 0
; COMPUTE_PGM_RSRC2:TGID_X_EN: 1
; COMPUTE_PGM_RSRC2:TGID_Y_EN: 0
; COMPUTE_PGM_RSRC2:TGID_Z_EN: 0
; COMPUTE_PGM_RSRC2:TIDIG_COMP_CNT: 0
	.section	.text._ZN7rocprim17ROCPRIM_400000_NS6detail17trampoline_kernelINS0_14default_configENS1_25partition_config_selectorILNS1_17partition_subalgoE6EiNS0_10empty_typeEbEEZZNS1_14partition_implILS5_6ELb0ES3_mN6thrust23THRUST_200600_302600_NS6detail15normal_iteratorINSA_10device_ptrIiEEEEPS6_SG_NS0_5tupleIJSF_S6_EEENSH_IJSG_SG_EEES6_PlJNSB_9not_fun_tI7is_evenIiEEEEEE10hipError_tPvRmT3_T4_T5_T6_T7_T9_mT8_P12ihipStream_tbDpT10_ENKUlT_T0_E_clISt17integral_constantIbLb0EES17_IbLb1EEEEDaS13_S14_EUlS13_E_NS1_11comp_targetILNS1_3genE0ELNS1_11target_archE4294967295ELNS1_3gpuE0ELNS1_3repE0EEENS1_30default_config_static_selectorELNS0_4arch9wavefront6targetE0EEEvT1_,"axG",@progbits,_ZN7rocprim17ROCPRIM_400000_NS6detail17trampoline_kernelINS0_14default_configENS1_25partition_config_selectorILNS1_17partition_subalgoE6EiNS0_10empty_typeEbEEZZNS1_14partition_implILS5_6ELb0ES3_mN6thrust23THRUST_200600_302600_NS6detail15normal_iteratorINSA_10device_ptrIiEEEEPS6_SG_NS0_5tupleIJSF_S6_EEENSH_IJSG_SG_EEES6_PlJNSB_9not_fun_tI7is_evenIiEEEEEE10hipError_tPvRmT3_T4_T5_T6_T7_T9_mT8_P12ihipStream_tbDpT10_ENKUlT_T0_E_clISt17integral_constantIbLb0EES17_IbLb1EEEEDaS13_S14_EUlS13_E_NS1_11comp_targetILNS1_3genE0ELNS1_11target_archE4294967295ELNS1_3gpuE0ELNS1_3repE0EEENS1_30default_config_static_selectorELNS0_4arch9wavefront6targetE0EEEvT1_,comdat
	.protected	_ZN7rocprim17ROCPRIM_400000_NS6detail17trampoline_kernelINS0_14default_configENS1_25partition_config_selectorILNS1_17partition_subalgoE6EiNS0_10empty_typeEbEEZZNS1_14partition_implILS5_6ELb0ES3_mN6thrust23THRUST_200600_302600_NS6detail15normal_iteratorINSA_10device_ptrIiEEEEPS6_SG_NS0_5tupleIJSF_S6_EEENSH_IJSG_SG_EEES6_PlJNSB_9not_fun_tI7is_evenIiEEEEEE10hipError_tPvRmT3_T4_T5_T6_T7_T9_mT8_P12ihipStream_tbDpT10_ENKUlT_T0_E_clISt17integral_constantIbLb0EES17_IbLb1EEEEDaS13_S14_EUlS13_E_NS1_11comp_targetILNS1_3genE0ELNS1_11target_archE4294967295ELNS1_3gpuE0ELNS1_3repE0EEENS1_30default_config_static_selectorELNS0_4arch9wavefront6targetE0EEEvT1_ ; -- Begin function _ZN7rocprim17ROCPRIM_400000_NS6detail17trampoline_kernelINS0_14default_configENS1_25partition_config_selectorILNS1_17partition_subalgoE6EiNS0_10empty_typeEbEEZZNS1_14partition_implILS5_6ELb0ES3_mN6thrust23THRUST_200600_302600_NS6detail15normal_iteratorINSA_10device_ptrIiEEEEPS6_SG_NS0_5tupleIJSF_S6_EEENSH_IJSG_SG_EEES6_PlJNSB_9not_fun_tI7is_evenIiEEEEEE10hipError_tPvRmT3_T4_T5_T6_T7_T9_mT8_P12ihipStream_tbDpT10_ENKUlT_T0_E_clISt17integral_constantIbLb0EES17_IbLb1EEEEDaS13_S14_EUlS13_E_NS1_11comp_targetILNS1_3genE0ELNS1_11target_archE4294967295ELNS1_3gpuE0ELNS1_3repE0EEENS1_30default_config_static_selectorELNS0_4arch9wavefront6targetE0EEEvT1_
	.globl	_ZN7rocprim17ROCPRIM_400000_NS6detail17trampoline_kernelINS0_14default_configENS1_25partition_config_selectorILNS1_17partition_subalgoE6EiNS0_10empty_typeEbEEZZNS1_14partition_implILS5_6ELb0ES3_mN6thrust23THRUST_200600_302600_NS6detail15normal_iteratorINSA_10device_ptrIiEEEEPS6_SG_NS0_5tupleIJSF_S6_EEENSH_IJSG_SG_EEES6_PlJNSB_9not_fun_tI7is_evenIiEEEEEE10hipError_tPvRmT3_T4_T5_T6_T7_T9_mT8_P12ihipStream_tbDpT10_ENKUlT_T0_E_clISt17integral_constantIbLb0EES17_IbLb1EEEEDaS13_S14_EUlS13_E_NS1_11comp_targetILNS1_3genE0ELNS1_11target_archE4294967295ELNS1_3gpuE0ELNS1_3repE0EEENS1_30default_config_static_selectorELNS0_4arch9wavefront6targetE0EEEvT1_
	.p2align	8
	.type	_ZN7rocprim17ROCPRIM_400000_NS6detail17trampoline_kernelINS0_14default_configENS1_25partition_config_selectorILNS1_17partition_subalgoE6EiNS0_10empty_typeEbEEZZNS1_14partition_implILS5_6ELb0ES3_mN6thrust23THRUST_200600_302600_NS6detail15normal_iteratorINSA_10device_ptrIiEEEEPS6_SG_NS0_5tupleIJSF_S6_EEENSH_IJSG_SG_EEES6_PlJNSB_9not_fun_tI7is_evenIiEEEEEE10hipError_tPvRmT3_T4_T5_T6_T7_T9_mT8_P12ihipStream_tbDpT10_ENKUlT_T0_E_clISt17integral_constantIbLb0EES17_IbLb1EEEEDaS13_S14_EUlS13_E_NS1_11comp_targetILNS1_3genE0ELNS1_11target_archE4294967295ELNS1_3gpuE0ELNS1_3repE0EEENS1_30default_config_static_selectorELNS0_4arch9wavefront6targetE0EEEvT1_,@function
_ZN7rocprim17ROCPRIM_400000_NS6detail17trampoline_kernelINS0_14default_configENS1_25partition_config_selectorILNS1_17partition_subalgoE6EiNS0_10empty_typeEbEEZZNS1_14partition_implILS5_6ELb0ES3_mN6thrust23THRUST_200600_302600_NS6detail15normal_iteratorINSA_10device_ptrIiEEEEPS6_SG_NS0_5tupleIJSF_S6_EEENSH_IJSG_SG_EEES6_PlJNSB_9not_fun_tI7is_evenIiEEEEEE10hipError_tPvRmT3_T4_T5_T6_T7_T9_mT8_P12ihipStream_tbDpT10_ENKUlT_T0_E_clISt17integral_constantIbLb0EES17_IbLb1EEEEDaS13_S14_EUlS13_E_NS1_11comp_targetILNS1_3genE0ELNS1_11target_archE4294967295ELNS1_3gpuE0ELNS1_3repE0EEENS1_30default_config_static_selectorELNS0_4arch9wavefront6targetE0EEEvT1_: ; @_ZN7rocprim17ROCPRIM_400000_NS6detail17trampoline_kernelINS0_14default_configENS1_25partition_config_selectorILNS1_17partition_subalgoE6EiNS0_10empty_typeEbEEZZNS1_14partition_implILS5_6ELb0ES3_mN6thrust23THRUST_200600_302600_NS6detail15normal_iteratorINSA_10device_ptrIiEEEEPS6_SG_NS0_5tupleIJSF_S6_EEENSH_IJSG_SG_EEES6_PlJNSB_9not_fun_tI7is_evenIiEEEEEE10hipError_tPvRmT3_T4_T5_T6_T7_T9_mT8_P12ihipStream_tbDpT10_ENKUlT_T0_E_clISt17integral_constantIbLb0EES17_IbLb1EEEEDaS13_S14_EUlS13_E_NS1_11comp_targetILNS1_3genE0ELNS1_11target_archE4294967295ELNS1_3gpuE0ELNS1_3repE0EEENS1_30default_config_static_selectorELNS0_4arch9wavefront6targetE0EEEvT1_
; %bb.0:
	.section	.rodata,"a",@progbits
	.p2align	6, 0x0
	.amdhsa_kernel _ZN7rocprim17ROCPRIM_400000_NS6detail17trampoline_kernelINS0_14default_configENS1_25partition_config_selectorILNS1_17partition_subalgoE6EiNS0_10empty_typeEbEEZZNS1_14partition_implILS5_6ELb0ES3_mN6thrust23THRUST_200600_302600_NS6detail15normal_iteratorINSA_10device_ptrIiEEEEPS6_SG_NS0_5tupleIJSF_S6_EEENSH_IJSG_SG_EEES6_PlJNSB_9not_fun_tI7is_evenIiEEEEEE10hipError_tPvRmT3_T4_T5_T6_T7_T9_mT8_P12ihipStream_tbDpT10_ENKUlT_T0_E_clISt17integral_constantIbLb0EES17_IbLb1EEEEDaS13_S14_EUlS13_E_NS1_11comp_targetILNS1_3genE0ELNS1_11target_archE4294967295ELNS1_3gpuE0ELNS1_3repE0EEENS1_30default_config_static_selectorELNS0_4arch9wavefront6targetE0EEEvT1_
		.amdhsa_group_segment_fixed_size 0
		.amdhsa_private_segment_fixed_size 0
		.amdhsa_kernarg_size 128
		.amdhsa_user_sgpr_count 2
		.amdhsa_user_sgpr_dispatch_ptr 0
		.amdhsa_user_sgpr_queue_ptr 0
		.amdhsa_user_sgpr_kernarg_segment_ptr 1
		.amdhsa_user_sgpr_dispatch_id 0
		.amdhsa_user_sgpr_private_segment_size 0
		.amdhsa_wavefront_size32 1
		.amdhsa_uses_dynamic_stack 0
		.amdhsa_enable_private_segment 0
		.amdhsa_system_sgpr_workgroup_id_x 1
		.amdhsa_system_sgpr_workgroup_id_y 0
		.amdhsa_system_sgpr_workgroup_id_z 0
		.amdhsa_system_sgpr_workgroup_info 0
		.amdhsa_system_vgpr_workitem_id 0
		.amdhsa_next_free_vgpr 1
		.amdhsa_next_free_sgpr 1
		.amdhsa_reserve_vcc 0
		.amdhsa_float_round_mode_32 0
		.amdhsa_float_round_mode_16_64 0
		.amdhsa_float_denorm_mode_32 3
		.amdhsa_float_denorm_mode_16_64 3
		.amdhsa_fp16_overflow 0
		.amdhsa_workgroup_processor_mode 1
		.amdhsa_memory_ordered 1
		.amdhsa_forward_progress 1
		.amdhsa_inst_pref_size 0
		.amdhsa_round_robin_scheduling 0
		.amdhsa_exception_fp_ieee_invalid_op 0
		.amdhsa_exception_fp_denorm_src 0
		.amdhsa_exception_fp_ieee_div_zero 0
		.amdhsa_exception_fp_ieee_overflow 0
		.amdhsa_exception_fp_ieee_underflow 0
		.amdhsa_exception_fp_ieee_inexact 0
		.amdhsa_exception_int_div_zero 0
	.end_amdhsa_kernel
	.section	.text._ZN7rocprim17ROCPRIM_400000_NS6detail17trampoline_kernelINS0_14default_configENS1_25partition_config_selectorILNS1_17partition_subalgoE6EiNS0_10empty_typeEbEEZZNS1_14partition_implILS5_6ELb0ES3_mN6thrust23THRUST_200600_302600_NS6detail15normal_iteratorINSA_10device_ptrIiEEEEPS6_SG_NS0_5tupleIJSF_S6_EEENSH_IJSG_SG_EEES6_PlJNSB_9not_fun_tI7is_evenIiEEEEEE10hipError_tPvRmT3_T4_T5_T6_T7_T9_mT8_P12ihipStream_tbDpT10_ENKUlT_T0_E_clISt17integral_constantIbLb0EES17_IbLb1EEEEDaS13_S14_EUlS13_E_NS1_11comp_targetILNS1_3genE0ELNS1_11target_archE4294967295ELNS1_3gpuE0ELNS1_3repE0EEENS1_30default_config_static_selectorELNS0_4arch9wavefront6targetE0EEEvT1_,"axG",@progbits,_ZN7rocprim17ROCPRIM_400000_NS6detail17trampoline_kernelINS0_14default_configENS1_25partition_config_selectorILNS1_17partition_subalgoE6EiNS0_10empty_typeEbEEZZNS1_14partition_implILS5_6ELb0ES3_mN6thrust23THRUST_200600_302600_NS6detail15normal_iteratorINSA_10device_ptrIiEEEEPS6_SG_NS0_5tupleIJSF_S6_EEENSH_IJSG_SG_EEES6_PlJNSB_9not_fun_tI7is_evenIiEEEEEE10hipError_tPvRmT3_T4_T5_T6_T7_T9_mT8_P12ihipStream_tbDpT10_ENKUlT_T0_E_clISt17integral_constantIbLb0EES17_IbLb1EEEEDaS13_S14_EUlS13_E_NS1_11comp_targetILNS1_3genE0ELNS1_11target_archE4294967295ELNS1_3gpuE0ELNS1_3repE0EEENS1_30default_config_static_selectorELNS0_4arch9wavefront6targetE0EEEvT1_,comdat
.Lfunc_end749:
	.size	_ZN7rocprim17ROCPRIM_400000_NS6detail17trampoline_kernelINS0_14default_configENS1_25partition_config_selectorILNS1_17partition_subalgoE6EiNS0_10empty_typeEbEEZZNS1_14partition_implILS5_6ELb0ES3_mN6thrust23THRUST_200600_302600_NS6detail15normal_iteratorINSA_10device_ptrIiEEEEPS6_SG_NS0_5tupleIJSF_S6_EEENSH_IJSG_SG_EEES6_PlJNSB_9not_fun_tI7is_evenIiEEEEEE10hipError_tPvRmT3_T4_T5_T6_T7_T9_mT8_P12ihipStream_tbDpT10_ENKUlT_T0_E_clISt17integral_constantIbLb0EES17_IbLb1EEEEDaS13_S14_EUlS13_E_NS1_11comp_targetILNS1_3genE0ELNS1_11target_archE4294967295ELNS1_3gpuE0ELNS1_3repE0EEENS1_30default_config_static_selectorELNS0_4arch9wavefront6targetE0EEEvT1_, .Lfunc_end749-_ZN7rocprim17ROCPRIM_400000_NS6detail17trampoline_kernelINS0_14default_configENS1_25partition_config_selectorILNS1_17partition_subalgoE6EiNS0_10empty_typeEbEEZZNS1_14partition_implILS5_6ELb0ES3_mN6thrust23THRUST_200600_302600_NS6detail15normal_iteratorINSA_10device_ptrIiEEEEPS6_SG_NS0_5tupleIJSF_S6_EEENSH_IJSG_SG_EEES6_PlJNSB_9not_fun_tI7is_evenIiEEEEEE10hipError_tPvRmT3_T4_T5_T6_T7_T9_mT8_P12ihipStream_tbDpT10_ENKUlT_T0_E_clISt17integral_constantIbLb0EES17_IbLb1EEEEDaS13_S14_EUlS13_E_NS1_11comp_targetILNS1_3genE0ELNS1_11target_archE4294967295ELNS1_3gpuE0ELNS1_3repE0EEENS1_30default_config_static_selectorELNS0_4arch9wavefront6targetE0EEEvT1_
                                        ; -- End function
	.set _ZN7rocprim17ROCPRIM_400000_NS6detail17trampoline_kernelINS0_14default_configENS1_25partition_config_selectorILNS1_17partition_subalgoE6EiNS0_10empty_typeEbEEZZNS1_14partition_implILS5_6ELb0ES3_mN6thrust23THRUST_200600_302600_NS6detail15normal_iteratorINSA_10device_ptrIiEEEEPS6_SG_NS0_5tupleIJSF_S6_EEENSH_IJSG_SG_EEES6_PlJNSB_9not_fun_tI7is_evenIiEEEEEE10hipError_tPvRmT3_T4_T5_T6_T7_T9_mT8_P12ihipStream_tbDpT10_ENKUlT_T0_E_clISt17integral_constantIbLb0EES17_IbLb1EEEEDaS13_S14_EUlS13_E_NS1_11comp_targetILNS1_3genE0ELNS1_11target_archE4294967295ELNS1_3gpuE0ELNS1_3repE0EEENS1_30default_config_static_selectorELNS0_4arch9wavefront6targetE0EEEvT1_.num_vgpr, 0
	.set _ZN7rocprim17ROCPRIM_400000_NS6detail17trampoline_kernelINS0_14default_configENS1_25partition_config_selectorILNS1_17partition_subalgoE6EiNS0_10empty_typeEbEEZZNS1_14partition_implILS5_6ELb0ES3_mN6thrust23THRUST_200600_302600_NS6detail15normal_iteratorINSA_10device_ptrIiEEEEPS6_SG_NS0_5tupleIJSF_S6_EEENSH_IJSG_SG_EEES6_PlJNSB_9not_fun_tI7is_evenIiEEEEEE10hipError_tPvRmT3_T4_T5_T6_T7_T9_mT8_P12ihipStream_tbDpT10_ENKUlT_T0_E_clISt17integral_constantIbLb0EES17_IbLb1EEEEDaS13_S14_EUlS13_E_NS1_11comp_targetILNS1_3genE0ELNS1_11target_archE4294967295ELNS1_3gpuE0ELNS1_3repE0EEENS1_30default_config_static_selectorELNS0_4arch9wavefront6targetE0EEEvT1_.num_agpr, 0
	.set _ZN7rocprim17ROCPRIM_400000_NS6detail17trampoline_kernelINS0_14default_configENS1_25partition_config_selectorILNS1_17partition_subalgoE6EiNS0_10empty_typeEbEEZZNS1_14partition_implILS5_6ELb0ES3_mN6thrust23THRUST_200600_302600_NS6detail15normal_iteratorINSA_10device_ptrIiEEEEPS6_SG_NS0_5tupleIJSF_S6_EEENSH_IJSG_SG_EEES6_PlJNSB_9not_fun_tI7is_evenIiEEEEEE10hipError_tPvRmT3_T4_T5_T6_T7_T9_mT8_P12ihipStream_tbDpT10_ENKUlT_T0_E_clISt17integral_constantIbLb0EES17_IbLb1EEEEDaS13_S14_EUlS13_E_NS1_11comp_targetILNS1_3genE0ELNS1_11target_archE4294967295ELNS1_3gpuE0ELNS1_3repE0EEENS1_30default_config_static_selectorELNS0_4arch9wavefront6targetE0EEEvT1_.numbered_sgpr, 0
	.set _ZN7rocprim17ROCPRIM_400000_NS6detail17trampoline_kernelINS0_14default_configENS1_25partition_config_selectorILNS1_17partition_subalgoE6EiNS0_10empty_typeEbEEZZNS1_14partition_implILS5_6ELb0ES3_mN6thrust23THRUST_200600_302600_NS6detail15normal_iteratorINSA_10device_ptrIiEEEEPS6_SG_NS0_5tupleIJSF_S6_EEENSH_IJSG_SG_EEES6_PlJNSB_9not_fun_tI7is_evenIiEEEEEE10hipError_tPvRmT3_T4_T5_T6_T7_T9_mT8_P12ihipStream_tbDpT10_ENKUlT_T0_E_clISt17integral_constantIbLb0EES17_IbLb1EEEEDaS13_S14_EUlS13_E_NS1_11comp_targetILNS1_3genE0ELNS1_11target_archE4294967295ELNS1_3gpuE0ELNS1_3repE0EEENS1_30default_config_static_selectorELNS0_4arch9wavefront6targetE0EEEvT1_.num_named_barrier, 0
	.set _ZN7rocprim17ROCPRIM_400000_NS6detail17trampoline_kernelINS0_14default_configENS1_25partition_config_selectorILNS1_17partition_subalgoE6EiNS0_10empty_typeEbEEZZNS1_14partition_implILS5_6ELb0ES3_mN6thrust23THRUST_200600_302600_NS6detail15normal_iteratorINSA_10device_ptrIiEEEEPS6_SG_NS0_5tupleIJSF_S6_EEENSH_IJSG_SG_EEES6_PlJNSB_9not_fun_tI7is_evenIiEEEEEE10hipError_tPvRmT3_T4_T5_T6_T7_T9_mT8_P12ihipStream_tbDpT10_ENKUlT_T0_E_clISt17integral_constantIbLb0EES17_IbLb1EEEEDaS13_S14_EUlS13_E_NS1_11comp_targetILNS1_3genE0ELNS1_11target_archE4294967295ELNS1_3gpuE0ELNS1_3repE0EEENS1_30default_config_static_selectorELNS0_4arch9wavefront6targetE0EEEvT1_.private_seg_size, 0
	.set _ZN7rocprim17ROCPRIM_400000_NS6detail17trampoline_kernelINS0_14default_configENS1_25partition_config_selectorILNS1_17partition_subalgoE6EiNS0_10empty_typeEbEEZZNS1_14partition_implILS5_6ELb0ES3_mN6thrust23THRUST_200600_302600_NS6detail15normal_iteratorINSA_10device_ptrIiEEEEPS6_SG_NS0_5tupleIJSF_S6_EEENSH_IJSG_SG_EEES6_PlJNSB_9not_fun_tI7is_evenIiEEEEEE10hipError_tPvRmT3_T4_T5_T6_T7_T9_mT8_P12ihipStream_tbDpT10_ENKUlT_T0_E_clISt17integral_constantIbLb0EES17_IbLb1EEEEDaS13_S14_EUlS13_E_NS1_11comp_targetILNS1_3genE0ELNS1_11target_archE4294967295ELNS1_3gpuE0ELNS1_3repE0EEENS1_30default_config_static_selectorELNS0_4arch9wavefront6targetE0EEEvT1_.uses_vcc, 0
	.set _ZN7rocprim17ROCPRIM_400000_NS6detail17trampoline_kernelINS0_14default_configENS1_25partition_config_selectorILNS1_17partition_subalgoE6EiNS0_10empty_typeEbEEZZNS1_14partition_implILS5_6ELb0ES3_mN6thrust23THRUST_200600_302600_NS6detail15normal_iteratorINSA_10device_ptrIiEEEEPS6_SG_NS0_5tupleIJSF_S6_EEENSH_IJSG_SG_EEES6_PlJNSB_9not_fun_tI7is_evenIiEEEEEE10hipError_tPvRmT3_T4_T5_T6_T7_T9_mT8_P12ihipStream_tbDpT10_ENKUlT_T0_E_clISt17integral_constantIbLb0EES17_IbLb1EEEEDaS13_S14_EUlS13_E_NS1_11comp_targetILNS1_3genE0ELNS1_11target_archE4294967295ELNS1_3gpuE0ELNS1_3repE0EEENS1_30default_config_static_selectorELNS0_4arch9wavefront6targetE0EEEvT1_.uses_flat_scratch, 0
	.set _ZN7rocprim17ROCPRIM_400000_NS6detail17trampoline_kernelINS0_14default_configENS1_25partition_config_selectorILNS1_17partition_subalgoE6EiNS0_10empty_typeEbEEZZNS1_14partition_implILS5_6ELb0ES3_mN6thrust23THRUST_200600_302600_NS6detail15normal_iteratorINSA_10device_ptrIiEEEEPS6_SG_NS0_5tupleIJSF_S6_EEENSH_IJSG_SG_EEES6_PlJNSB_9not_fun_tI7is_evenIiEEEEEE10hipError_tPvRmT3_T4_T5_T6_T7_T9_mT8_P12ihipStream_tbDpT10_ENKUlT_T0_E_clISt17integral_constantIbLb0EES17_IbLb1EEEEDaS13_S14_EUlS13_E_NS1_11comp_targetILNS1_3genE0ELNS1_11target_archE4294967295ELNS1_3gpuE0ELNS1_3repE0EEENS1_30default_config_static_selectorELNS0_4arch9wavefront6targetE0EEEvT1_.has_dyn_sized_stack, 0
	.set _ZN7rocprim17ROCPRIM_400000_NS6detail17trampoline_kernelINS0_14default_configENS1_25partition_config_selectorILNS1_17partition_subalgoE6EiNS0_10empty_typeEbEEZZNS1_14partition_implILS5_6ELb0ES3_mN6thrust23THRUST_200600_302600_NS6detail15normal_iteratorINSA_10device_ptrIiEEEEPS6_SG_NS0_5tupleIJSF_S6_EEENSH_IJSG_SG_EEES6_PlJNSB_9not_fun_tI7is_evenIiEEEEEE10hipError_tPvRmT3_T4_T5_T6_T7_T9_mT8_P12ihipStream_tbDpT10_ENKUlT_T0_E_clISt17integral_constantIbLb0EES17_IbLb1EEEEDaS13_S14_EUlS13_E_NS1_11comp_targetILNS1_3genE0ELNS1_11target_archE4294967295ELNS1_3gpuE0ELNS1_3repE0EEENS1_30default_config_static_selectorELNS0_4arch9wavefront6targetE0EEEvT1_.has_recursion, 0
	.set _ZN7rocprim17ROCPRIM_400000_NS6detail17trampoline_kernelINS0_14default_configENS1_25partition_config_selectorILNS1_17partition_subalgoE6EiNS0_10empty_typeEbEEZZNS1_14partition_implILS5_6ELb0ES3_mN6thrust23THRUST_200600_302600_NS6detail15normal_iteratorINSA_10device_ptrIiEEEEPS6_SG_NS0_5tupleIJSF_S6_EEENSH_IJSG_SG_EEES6_PlJNSB_9not_fun_tI7is_evenIiEEEEEE10hipError_tPvRmT3_T4_T5_T6_T7_T9_mT8_P12ihipStream_tbDpT10_ENKUlT_T0_E_clISt17integral_constantIbLb0EES17_IbLb1EEEEDaS13_S14_EUlS13_E_NS1_11comp_targetILNS1_3genE0ELNS1_11target_archE4294967295ELNS1_3gpuE0ELNS1_3repE0EEENS1_30default_config_static_selectorELNS0_4arch9wavefront6targetE0EEEvT1_.has_indirect_call, 0
	.section	.AMDGPU.csdata,"",@progbits
; Kernel info:
; codeLenInByte = 0
; TotalNumSgprs: 0
; NumVgprs: 0
; ScratchSize: 0
; MemoryBound: 0
; FloatMode: 240
; IeeeMode: 1
; LDSByteSize: 0 bytes/workgroup (compile time only)
; SGPRBlocks: 0
; VGPRBlocks: 0
; NumSGPRsForWavesPerEU: 1
; NumVGPRsForWavesPerEU: 1
; Occupancy: 16
; WaveLimiterHint : 0
; COMPUTE_PGM_RSRC2:SCRATCH_EN: 0
; COMPUTE_PGM_RSRC2:USER_SGPR: 2
; COMPUTE_PGM_RSRC2:TRAP_HANDLER: 0
; COMPUTE_PGM_RSRC2:TGID_X_EN: 1
; COMPUTE_PGM_RSRC2:TGID_Y_EN: 0
; COMPUTE_PGM_RSRC2:TGID_Z_EN: 0
; COMPUTE_PGM_RSRC2:TIDIG_COMP_CNT: 0
	.section	.text._ZN7rocprim17ROCPRIM_400000_NS6detail17trampoline_kernelINS0_14default_configENS1_25partition_config_selectorILNS1_17partition_subalgoE6EiNS0_10empty_typeEbEEZZNS1_14partition_implILS5_6ELb0ES3_mN6thrust23THRUST_200600_302600_NS6detail15normal_iteratorINSA_10device_ptrIiEEEEPS6_SG_NS0_5tupleIJSF_S6_EEENSH_IJSG_SG_EEES6_PlJNSB_9not_fun_tI7is_evenIiEEEEEE10hipError_tPvRmT3_T4_T5_T6_T7_T9_mT8_P12ihipStream_tbDpT10_ENKUlT_T0_E_clISt17integral_constantIbLb0EES17_IbLb1EEEEDaS13_S14_EUlS13_E_NS1_11comp_targetILNS1_3genE5ELNS1_11target_archE942ELNS1_3gpuE9ELNS1_3repE0EEENS1_30default_config_static_selectorELNS0_4arch9wavefront6targetE0EEEvT1_,"axG",@progbits,_ZN7rocprim17ROCPRIM_400000_NS6detail17trampoline_kernelINS0_14default_configENS1_25partition_config_selectorILNS1_17partition_subalgoE6EiNS0_10empty_typeEbEEZZNS1_14partition_implILS5_6ELb0ES3_mN6thrust23THRUST_200600_302600_NS6detail15normal_iteratorINSA_10device_ptrIiEEEEPS6_SG_NS0_5tupleIJSF_S6_EEENSH_IJSG_SG_EEES6_PlJNSB_9not_fun_tI7is_evenIiEEEEEE10hipError_tPvRmT3_T4_T5_T6_T7_T9_mT8_P12ihipStream_tbDpT10_ENKUlT_T0_E_clISt17integral_constantIbLb0EES17_IbLb1EEEEDaS13_S14_EUlS13_E_NS1_11comp_targetILNS1_3genE5ELNS1_11target_archE942ELNS1_3gpuE9ELNS1_3repE0EEENS1_30default_config_static_selectorELNS0_4arch9wavefront6targetE0EEEvT1_,comdat
	.protected	_ZN7rocprim17ROCPRIM_400000_NS6detail17trampoline_kernelINS0_14default_configENS1_25partition_config_selectorILNS1_17partition_subalgoE6EiNS0_10empty_typeEbEEZZNS1_14partition_implILS5_6ELb0ES3_mN6thrust23THRUST_200600_302600_NS6detail15normal_iteratorINSA_10device_ptrIiEEEEPS6_SG_NS0_5tupleIJSF_S6_EEENSH_IJSG_SG_EEES6_PlJNSB_9not_fun_tI7is_evenIiEEEEEE10hipError_tPvRmT3_T4_T5_T6_T7_T9_mT8_P12ihipStream_tbDpT10_ENKUlT_T0_E_clISt17integral_constantIbLb0EES17_IbLb1EEEEDaS13_S14_EUlS13_E_NS1_11comp_targetILNS1_3genE5ELNS1_11target_archE942ELNS1_3gpuE9ELNS1_3repE0EEENS1_30default_config_static_selectorELNS0_4arch9wavefront6targetE0EEEvT1_ ; -- Begin function _ZN7rocprim17ROCPRIM_400000_NS6detail17trampoline_kernelINS0_14default_configENS1_25partition_config_selectorILNS1_17partition_subalgoE6EiNS0_10empty_typeEbEEZZNS1_14partition_implILS5_6ELb0ES3_mN6thrust23THRUST_200600_302600_NS6detail15normal_iteratorINSA_10device_ptrIiEEEEPS6_SG_NS0_5tupleIJSF_S6_EEENSH_IJSG_SG_EEES6_PlJNSB_9not_fun_tI7is_evenIiEEEEEE10hipError_tPvRmT3_T4_T5_T6_T7_T9_mT8_P12ihipStream_tbDpT10_ENKUlT_T0_E_clISt17integral_constantIbLb0EES17_IbLb1EEEEDaS13_S14_EUlS13_E_NS1_11comp_targetILNS1_3genE5ELNS1_11target_archE942ELNS1_3gpuE9ELNS1_3repE0EEENS1_30default_config_static_selectorELNS0_4arch9wavefront6targetE0EEEvT1_
	.globl	_ZN7rocprim17ROCPRIM_400000_NS6detail17trampoline_kernelINS0_14default_configENS1_25partition_config_selectorILNS1_17partition_subalgoE6EiNS0_10empty_typeEbEEZZNS1_14partition_implILS5_6ELb0ES3_mN6thrust23THRUST_200600_302600_NS6detail15normal_iteratorINSA_10device_ptrIiEEEEPS6_SG_NS0_5tupleIJSF_S6_EEENSH_IJSG_SG_EEES6_PlJNSB_9not_fun_tI7is_evenIiEEEEEE10hipError_tPvRmT3_T4_T5_T6_T7_T9_mT8_P12ihipStream_tbDpT10_ENKUlT_T0_E_clISt17integral_constantIbLb0EES17_IbLb1EEEEDaS13_S14_EUlS13_E_NS1_11comp_targetILNS1_3genE5ELNS1_11target_archE942ELNS1_3gpuE9ELNS1_3repE0EEENS1_30default_config_static_selectorELNS0_4arch9wavefront6targetE0EEEvT1_
	.p2align	8
	.type	_ZN7rocprim17ROCPRIM_400000_NS6detail17trampoline_kernelINS0_14default_configENS1_25partition_config_selectorILNS1_17partition_subalgoE6EiNS0_10empty_typeEbEEZZNS1_14partition_implILS5_6ELb0ES3_mN6thrust23THRUST_200600_302600_NS6detail15normal_iteratorINSA_10device_ptrIiEEEEPS6_SG_NS0_5tupleIJSF_S6_EEENSH_IJSG_SG_EEES6_PlJNSB_9not_fun_tI7is_evenIiEEEEEE10hipError_tPvRmT3_T4_T5_T6_T7_T9_mT8_P12ihipStream_tbDpT10_ENKUlT_T0_E_clISt17integral_constantIbLb0EES17_IbLb1EEEEDaS13_S14_EUlS13_E_NS1_11comp_targetILNS1_3genE5ELNS1_11target_archE942ELNS1_3gpuE9ELNS1_3repE0EEENS1_30default_config_static_selectorELNS0_4arch9wavefront6targetE0EEEvT1_,@function
_ZN7rocprim17ROCPRIM_400000_NS6detail17trampoline_kernelINS0_14default_configENS1_25partition_config_selectorILNS1_17partition_subalgoE6EiNS0_10empty_typeEbEEZZNS1_14partition_implILS5_6ELb0ES3_mN6thrust23THRUST_200600_302600_NS6detail15normal_iteratorINSA_10device_ptrIiEEEEPS6_SG_NS0_5tupleIJSF_S6_EEENSH_IJSG_SG_EEES6_PlJNSB_9not_fun_tI7is_evenIiEEEEEE10hipError_tPvRmT3_T4_T5_T6_T7_T9_mT8_P12ihipStream_tbDpT10_ENKUlT_T0_E_clISt17integral_constantIbLb0EES17_IbLb1EEEEDaS13_S14_EUlS13_E_NS1_11comp_targetILNS1_3genE5ELNS1_11target_archE942ELNS1_3gpuE9ELNS1_3repE0EEENS1_30default_config_static_selectorELNS0_4arch9wavefront6targetE0EEEvT1_: ; @_ZN7rocprim17ROCPRIM_400000_NS6detail17trampoline_kernelINS0_14default_configENS1_25partition_config_selectorILNS1_17partition_subalgoE6EiNS0_10empty_typeEbEEZZNS1_14partition_implILS5_6ELb0ES3_mN6thrust23THRUST_200600_302600_NS6detail15normal_iteratorINSA_10device_ptrIiEEEEPS6_SG_NS0_5tupleIJSF_S6_EEENSH_IJSG_SG_EEES6_PlJNSB_9not_fun_tI7is_evenIiEEEEEE10hipError_tPvRmT3_T4_T5_T6_T7_T9_mT8_P12ihipStream_tbDpT10_ENKUlT_T0_E_clISt17integral_constantIbLb0EES17_IbLb1EEEEDaS13_S14_EUlS13_E_NS1_11comp_targetILNS1_3genE5ELNS1_11target_archE942ELNS1_3gpuE9ELNS1_3repE0EEENS1_30default_config_static_selectorELNS0_4arch9wavefront6targetE0EEEvT1_
; %bb.0:
	.section	.rodata,"a",@progbits
	.p2align	6, 0x0
	.amdhsa_kernel _ZN7rocprim17ROCPRIM_400000_NS6detail17trampoline_kernelINS0_14default_configENS1_25partition_config_selectorILNS1_17partition_subalgoE6EiNS0_10empty_typeEbEEZZNS1_14partition_implILS5_6ELb0ES3_mN6thrust23THRUST_200600_302600_NS6detail15normal_iteratorINSA_10device_ptrIiEEEEPS6_SG_NS0_5tupleIJSF_S6_EEENSH_IJSG_SG_EEES6_PlJNSB_9not_fun_tI7is_evenIiEEEEEE10hipError_tPvRmT3_T4_T5_T6_T7_T9_mT8_P12ihipStream_tbDpT10_ENKUlT_T0_E_clISt17integral_constantIbLb0EES17_IbLb1EEEEDaS13_S14_EUlS13_E_NS1_11comp_targetILNS1_3genE5ELNS1_11target_archE942ELNS1_3gpuE9ELNS1_3repE0EEENS1_30default_config_static_selectorELNS0_4arch9wavefront6targetE0EEEvT1_
		.amdhsa_group_segment_fixed_size 0
		.amdhsa_private_segment_fixed_size 0
		.amdhsa_kernarg_size 128
		.amdhsa_user_sgpr_count 2
		.amdhsa_user_sgpr_dispatch_ptr 0
		.amdhsa_user_sgpr_queue_ptr 0
		.amdhsa_user_sgpr_kernarg_segment_ptr 1
		.amdhsa_user_sgpr_dispatch_id 0
		.amdhsa_user_sgpr_private_segment_size 0
		.amdhsa_wavefront_size32 1
		.amdhsa_uses_dynamic_stack 0
		.amdhsa_enable_private_segment 0
		.amdhsa_system_sgpr_workgroup_id_x 1
		.amdhsa_system_sgpr_workgroup_id_y 0
		.amdhsa_system_sgpr_workgroup_id_z 0
		.amdhsa_system_sgpr_workgroup_info 0
		.amdhsa_system_vgpr_workitem_id 0
		.amdhsa_next_free_vgpr 1
		.amdhsa_next_free_sgpr 1
		.amdhsa_reserve_vcc 0
		.amdhsa_float_round_mode_32 0
		.amdhsa_float_round_mode_16_64 0
		.amdhsa_float_denorm_mode_32 3
		.amdhsa_float_denorm_mode_16_64 3
		.amdhsa_fp16_overflow 0
		.amdhsa_workgroup_processor_mode 1
		.amdhsa_memory_ordered 1
		.amdhsa_forward_progress 1
		.amdhsa_inst_pref_size 0
		.amdhsa_round_robin_scheduling 0
		.amdhsa_exception_fp_ieee_invalid_op 0
		.amdhsa_exception_fp_denorm_src 0
		.amdhsa_exception_fp_ieee_div_zero 0
		.amdhsa_exception_fp_ieee_overflow 0
		.amdhsa_exception_fp_ieee_underflow 0
		.amdhsa_exception_fp_ieee_inexact 0
		.amdhsa_exception_int_div_zero 0
	.end_amdhsa_kernel
	.section	.text._ZN7rocprim17ROCPRIM_400000_NS6detail17trampoline_kernelINS0_14default_configENS1_25partition_config_selectorILNS1_17partition_subalgoE6EiNS0_10empty_typeEbEEZZNS1_14partition_implILS5_6ELb0ES3_mN6thrust23THRUST_200600_302600_NS6detail15normal_iteratorINSA_10device_ptrIiEEEEPS6_SG_NS0_5tupleIJSF_S6_EEENSH_IJSG_SG_EEES6_PlJNSB_9not_fun_tI7is_evenIiEEEEEE10hipError_tPvRmT3_T4_T5_T6_T7_T9_mT8_P12ihipStream_tbDpT10_ENKUlT_T0_E_clISt17integral_constantIbLb0EES17_IbLb1EEEEDaS13_S14_EUlS13_E_NS1_11comp_targetILNS1_3genE5ELNS1_11target_archE942ELNS1_3gpuE9ELNS1_3repE0EEENS1_30default_config_static_selectorELNS0_4arch9wavefront6targetE0EEEvT1_,"axG",@progbits,_ZN7rocprim17ROCPRIM_400000_NS6detail17trampoline_kernelINS0_14default_configENS1_25partition_config_selectorILNS1_17partition_subalgoE6EiNS0_10empty_typeEbEEZZNS1_14partition_implILS5_6ELb0ES3_mN6thrust23THRUST_200600_302600_NS6detail15normal_iteratorINSA_10device_ptrIiEEEEPS6_SG_NS0_5tupleIJSF_S6_EEENSH_IJSG_SG_EEES6_PlJNSB_9not_fun_tI7is_evenIiEEEEEE10hipError_tPvRmT3_T4_T5_T6_T7_T9_mT8_P12ihipStream_tbDpT10_ENKUlT_T0_E_clISt17integral_constantIbLb0EES17_IbLb1EEEEDaS13_S14_EUlS13_E_NS1_11comp_targetILNS1_3genE5ELNS1_11target_archE942ELNS1_3gpuE9ELNS1_3repE0EEENS1_30default_config_static_selectorELNS0_4arch9wavefront6targetE0EEEvT1_,comdat
.Lfunc_end750:
	.size	_ZN7rocprim17ROCPRIM_400000_NS6detail17trampoline_kernelINS0_14default_configENS1_25partition_config_selectorILNS1_17partition_subalgoE6EiNS0_10empty_typeEbEEZZNS1_14partition_implILS5_6ELb0ES3_mN6thrust23THRUST_200600_302600_NS6detail15normal_iteratorINSA_10device_ptrIiEEEEPS6_SG_NS0_5tupleIJSF_S6_EEENSH_IJSG_SG_EEES6_PlJNSB_9not_fun_tI7is_evenIiEEEEEE10hipError_tPvRmT3_T4_T5_T6_T7_T9_mT8_P12ihipStream_tbDpT10_ENKUlT_T0_E_clISt17integral_constantIbLb0EES17_IbLb1EEEEDaS13_S14_EUlS13_E_NS1_11comp_targetILNS1_3genE5ELNS1_11target_archE942ELNS1_3gpuE9ELNS1_3repE0EEENS1_30default_config_static_selectorELNS0_4arch9wavefront6targetE0EEEvT1_, .Lfunc_end750-_ZN7rocprim17ROCPRIM_400000_NS6detail17trampoline_kernelINS0_14default_configENS1_25partition_config_selectorILNS1_17partition_subalgoE6EiNS0_10empty_typeEbEEZZNS1_14partition_implILS5_6ELb0ES3_mN6thrust23THRUST_200600_302600_NS6detail15normal_iteratorINSA_10device_ptrIiEEEEPS6_SG_NS0_5tupleIJSF_S6_EEENSH_IJSG_SG_EEES6_PlJNSB_9not_fun_tI7is_evenIiEEEEEE10hipError_tPvRmT3_T4_T5_T6_T7_T9_mT8_P12ihipStream_tbDpT10_ENKUlT_T0_E_clISt17integral_constantIbLb0EES17_IbLb1EEEEDaS13_S14_EUlS13_E_NS1_11comp_targetILNS1_3genE5ELNS1_11target_archE942ELNS1_3gpuE9ELNS1_3repE0EEENS1_30default_config_static_selectorELNS0_4arch9wavefront6targetE0EEEvT1_
                                        ; -- End function
	.set _ZN7rocprim17ROCPRIM_400000_NS6detail17trampoline_kernelINS0_14default_configENS1_25partition_config_selectorILNS1_17partition_subalgoE6EiNS0_10empty_typeEbEEZZNS1_14partition_implILS5_6ELb0ES3_mN6thrust23THRUST_200600_302600_NS6detail15normal_iteratorINSA_10device_ptrIiEEEEPS6_SG_NS0_5tupleIJSF_S6_EEENSH_IJSG_SG_EEES6_PlJNSB_9not_fun_tI7is_evenIiEEEEEE10hipError_tPvRmT3_T4_T5_T6_T7_T9_mT8_P12ihipStream_tbDpT10_ENKUlT_T0_E_clISt17integral_constantIbLb0EES17_IbLb1EEEEDaS13_S14_EUlS13_E_NS1_11comp_targetILNS1_3genE5ELNS1_11target_archE942ELNS1_3gpuE9ELNS1_3repE0EEENS1_30default_config_static_selectorELNS0_4arch9wavefront6targetE0EEEvT1_.num_vgpr, 0
	.set _ZN7rocprim17ROCPRIM_400000_NS6detail17trampoline_kernelINS0_14default_configENS1_25partition_config_selectorILNS1_17partition_subalgoE6EiNS0_10empty_typeEbEEZZNS1_14partition_implILS5_6ELb0ES3_mN6thrust23THRUST_200600_302600_NS6detail15normal_iteratorINSA_10device_ptrIiEEEEPS6_SG_NS0_5tupleIJSF_S6_EEENSH_IJSG_SG_EEES6_PlJNSB_9not_fun_tI7is_evenIiEEEEEE10hipError_tPvRmT3_T4_T5_T6_T7_T9_mT8_P12ihipStream_tbDpT10_ENKUlT_T0_E_clISt17integral_constantIbLb0EES17_IbLb1EEEEDaS13_S14_EUlS13_E_NS1_11comp_targetILNS1_3genE5ELNS1_11target_archE942ELNS1_3gpuE9ELNS1_3repE0EEENS1_30default_config_static_selectorELNS0_4arch9wavefront6targetE0EEEvT1_.num_agpr, 0
	.set _ZN7rocprim17ROCPRIM_400000_NS6detail17trampoline_kernelINS0_14default_configENS1_25partition_config_selectorILNS1_17partition_subalgoE6EiNS0_10empty_typeEbEEZZNS1_14partition_implILS5_6ELb0ES3_mN6thrust23THRUST_200600_302600_NS6detail15normal_iteratorINSA_10device_ptrIiEEEEPS6_SG_NS0_5tupleIJSF_S6_EEENSH_IJSG_SG_EEES6_PlJNSB_9not_fun_tI7is_evenIiEEEEEE10hipError_tPvRmT3_T4_T5_T6_T7_T9_mT8_P12ihipStream_tbDpT10_ENKUlT_T0_E_clISt17integral_constantIbLb0EES17_IbLb1EEEEDaS13_S14_EUlS13_E_NS1_11comp_targetILNS1_3genE5ELNS1_11target_archE942ELNS1_3gpuE9ELNS1_3repE0EEENS1_30default_config_static_selectorELNS0_4arch9wavefront6targetE0EEEvT1_.numbered_sgpr, 0
	.set _ZN7rocprim17ROCPRIM_400000_NS6detail17trampoline_kernelINS0_14default_configENS1_25partition_config_selectorILNS1_17partition_subalgoE6EiNS0_10empty_typeEbEEZZNS1_14partition_implILS5_6ELb0ES3_mN6thrust23THRUST_200600_302600_NS6detail15normal_iteratorINSA_10device_ptrIiEEEEPS6_SG_NS0_5tupleIJSF_S6_EEENSH_IJSG_SG_EEES6_PlJNSB_9not_fun_tI7is_evenIiEEEEEE10hipError_tPvRmT3_T4_T5_T6_T7_T9_mT8_P12ihipStream_tbDpT10_ENKUlT_T0_E_clISt17integral_constantIbLb0EES17_IbLb1EEEEDaS13_S14_EUlS13_E_NS1_11comp_targetILNS1_3genE5ELNS1_11target_archE942ELNS1_3gpuE9ELNS1_3repE0EEENS1_30default_config_static_selectorELNS0_4arch9wavefront6targetE0EEEvT1_.num_named_barrier, 0
	.set _ZN7rocprim17ROCPRIM_400000_NS6detail17trampoline_kernelINS0_14default_configENS1_25partition_config_selectorILNS1_17partition_subalgoE6EiNS0_10empty_typeEbEEZZNS1_14partition_implILS5_6ELb0ES3_mN6thrust23THRUST_200600_302600_NS6detail15normal_iteratorINSA_10device_ptrIiEEEEPS6_SG_NS0_5tupleIJSF_S6_EEENSH_IJSG_SG_EEES6_PlJNSB_9not_fun_tI7is_evenIiEEEEEE10hipError_tPvRmT3_T4_T5_T6_T7_T9_mT8_P12ihipStream_tbDpT10_ENKUlT_T0_E_clISt17integral_constantIbLb0EES17_IbLb1EEEEDaS13_S14_EUlS13_E_NS1_11comp_targetILNS1_3genE5ELNS1_11target_archE942ELNS1_3gpuE9ELNS1_3repE0EEENS1_30default_config_static_selectorELNS0_4arch9wavefront6targetE0EEEvT1_.private_seg_size, 0
	.set _ZN7rocprim17ROCPRIM_400000_NS6detail17trampoline_kernelINS0_14default_configENS1_25partition_config_selectorILNS1_17partition_subalgoE6EiNS0_10empty_typeEbEEZZNS1_14partition_implILS5_6ELb0ES3_mN6thrust23THRUST_200600_302600_NS6detail15normal_iteratorINSA_10device_ptrIiEEEEPS6_SG_NS0_5tupleIJSF_S6_EEENSH_IJSG_SG_EEES6_PlJNSB_9not_fun_tI7is_evenIiEEEEEE10hipError_tPvRmT3_T4_T5_T6_T7_T9_mT8_P12ihipStream_tbDpT10_ENKUlT_T0_E_clISt17integral_constantIbLb0EES17_IbLb1EEEEDaS13_S14_EUlS13_E_NS1_11comp_targetILNS1_3genE5ELNS1_11target_archE942ELNS1_3gpuE9ELNS1_3repE0EEENS1_30default_config_static_selectorELNS0_4arch9wavefront6targetE0EEEvT1_.uses_vcc, 0
	.set _ZN7rocprim17ROCPRIM_400000_NS6detail17trampoline_kernelINS0_14default_configENS1_25partition_config_selectorILNS1_17partition_subalgoE6EiNS0_10empty_typeEbEEZZNS1_14partition_implILS5_6ELb0ES3_mN6thrust23THRUST_200600_302600_NS6detail15normal_iteratorINSA_10device_ptrIiEEEEPS6_SG_NS0_5tupleIJSF_S6_EEENSH_IJSG_SG_EEES6_PlJNSB_9not_fun_tI7is_evenIiEEEEEE10hipError_tPvRmT3_T4_T5_T6_T7_T9_mT8_P12ihipStream_tbDpT10_ENKUlT_T0_E_clISt17integral_constantIbLb0EES17_IbLb1EEEEDaS13_S14_EUlS13_E_NS1_11comp_targetILNS1_3genE5ELNS1_11target_archE942ELNS1_3gpuE9ELNS1_3repE0EEENS1_30default_config_static_selectorELNS0_4arch9wavefront6targetE0EEEvT1_.uses_flat_scratch, 0
	.set _ZN7rocprim17ROCPRIM_400000_NS6detail17trampoline_kernelINS0_14default_configENS1_25partition_config_selectorILNS1_17partition_subalgoE6EiNS0_10empty_typeEbEEZZNS1_14partition_implILS5_6ELb0ES3_mN6thrust23THRUST_200600_302600_NS6detail15normal_iteratorINSA_10device_ptrIiEEEEPS6_SG_NS0_5tupleIJSF_S6_EEENSH_IJSG_SG_EEES6_PlJNSB_9not_fun_tI7is_evenIiEEEEEE10hipError_tPvRmT3_T4_T5_T6_T7_T9_mT8_P12ihipStream_tbDpT10_ENKUlT_T0_E_clISt17integral_constantIbLb0EES17_IbLb1EEEEDaS13_S14_EUlS13_E_NS1_11comp_targetILNS1_3genE5ELNS1_11target_archE942ELNS1_3gpuE9ELNS1_3repE0EEENS1_30default_config_static_selectorELNS0_4arch9wavefront6targetE0EEEvT1_.has_dyn_sized_stack, 0
	.set _ZN7rocprim17ROCPRIM_400000_NS6detail17trampoline_kernelINS0_14default_configENS1_25partition_config_selectorILNS1_17partition_subalgoE6EiNS0_10empty_typeEbEEZZNS1_14partition_implILS5_6ELb0ES3_mN6thrust23THRUST_200600_302600_NS6detail15normal_iteratorINSA_10device_ptrIiEEEEPS6_SG_NS0_5tupleIJSF_S6_EEENSH_IJSG_SG_EEES6_PlJNSB_9not_fun_tI7is_evenIiEEEEEE10hipError_tPvRmT3_T4_T5_T6_T7_T9_mT8_P12ihipStream_tbDpT10_ENKUlT_T0_E_clISt17integral_constantIbLb0EES17_IbLb1EEEEDaS13_S14_EUlS13_E_NS1_11comp_targetILNS1_3genE5ELNS1_11target_archE942ELNS1_3gpuE9ELNS1_3repE0EEENS1_30default_config_static_selectorELNS0_4arch9wavefront6targetE0EEEvT1_.has_recursion, 0
	.set _ZN7rocprim17ROCPRIM_400000_NS6detail17trampoline_kernelINS0_14default_configENS1_25partition_config_selectorILNS1_17partition_subalgoE6EiNS0_10empty_typeEbEEZZNS1_14partition_implILS5_6ELb0ES3_mN6thrust23THRUST_200600_302600_NS6detail15normal_iteratorINSA_10device_ptrIiEEEEPS6_SG_NS0_5tupleIJSF_S6_EEENSH_IJSG_SG_EEES6_PlJNSB_9not_fun_tI7is_evenIiEEEEEE10hipError_tPvRmT3_T4_T5_T6_T7_T9_mT8_P12ihipStream_tbDpT10_ENKUlT_T0_E_clISt17integral_constantIbLb0EES17_IbLb1EEEEDaS13_S14_EUlS13_E_NS1_11comp_targetILNS1_3genE5ELNS1_11target_archE942ELNS1_3gpuE9ELNS1_3repE0EEENS1_30default_config_static_selectorELNS0_4arch9wavefront6targetE0EEEvT1_.has_indirect_call, 0
	.section	.AMDGPU.csdata,"",@progbits
; Kernel info:
; codeLenInByte = 0
; TotalNumSgprs: 0
; NumVgprs: 0
; ScratchSize: 0
; MemoryBound: 0
; FloatMode: 240
; IeeeMode: 1
; LDSByteSize: 0 bytes/workgroup (compile time only)
; SGPRBlocks: 0
; VGPRBlocks: 0
; NumSGPRsForWavesPerEU: 1
; NumVGPRsForWavesPerEU: 1
; Occupancy: 16
; WaveLimiterHint : 0
; COMPUTE_PGM_RSRC2:SCRATCH_EN: 0
; COMPUTE_PGM_RSRC2:USER_SGPR: 2
; COMPUTE_PGM_RSRC2:TRAP_HANDLER: 0
; COMPUTE_PGM_RSRC2:TGID_X_EN: 1
; COMPUTE_PGM_RSRC2:TGID_Y_EN: 0
; COMPUTE_PGM_RSRC2:TGID_Z_EN: 0
; COMPUTE_PGM_RSRC2:TIDIG_COMP_CNT: 0
	.section	.text._ZN7rocprim17ROCPRIM_400000_NS6detail17trampoline_kernelINS0_14default_configENS1_25partition_config_selectorILNS1_17partition_subalgoE6EiNS0_10empty_typeEbEEZZNS1_14partition_implILS5_6ELb0ES3_mN6thrust23THRUST_200600_302600_NS6detail15normal_iteratorINSA_10device_ptrIiEEEEPS6_SG_NS0_5tupleIJSF_S6_EEENSH_IJSG_SG_EEES6_PlJNSB_9not_fun_tI7is_evenIiEEEEEE10hipError_tPvRmT3_T4_T5_T6_T7_T9_mT8_P12ihipStream_tbDpT10_ENKUlT_T0_E_clISt17integral_constantIbLb0EES17_IbLb1EEEEDaS13_S14_EUlS13_E_NS1_11comp_targetILNS1_3genE4ELNS1_11target_archE910ELNS1_3gpuE8ELNS1_3repE0EEENS1_30default_config_static_selectorELNS0_4arch9wavefront6targetE0EEEvT1_,"axG",@progbits,_ZN7rocprim17ROCPRIM_400000_NS6detail17trampoline_kernelINS0_14default_configENS1_25partition_config_selectorILNS1_17partition_subalgoE6EiNS0_10empty_typeEbEEZZNS1_14partition_implILS5_6ELb0ES3_mN6thrust23THRUST_200600_302600_NS6detail15normal_iteratorINSA_10device_ptrIiEEEEPS6_SG_NS0_5tupleIJSF_S6_EEENSH_IJSG_SG_EEES6_PlJNSB_9not_fun_tI7is_evenIiEEEEEE10hipError_tPvRmT3_T4_T5_T6_T7_T9_mT8_P12ihipStream_tbDpT10_ENKUlT_T0_E_clISt17integral_constantIbLb0EES17_IbLb1EEEEDaS13_S14_EUlS13_E_NS1_11comp_targetILNS1_3genE4ELNS1_11target_archE910ELNS1_3gpuE8ELNS1_3repE0EEENS1_30default_config_static_selectorELNS0_4arch9wavefront6targetE0EEEvT1_,comdat
	.protected	_ZN7rocprim17ROCPRIM_400000_NS6detail17trampoline_kernelINS0_14default_configENS1_25partition_config_selectorILNS1_17partition_subalgoE6EiNS0_10empty_typeEbEEZZNS1_14partition_implILS5_6ELb0ES3_mN6thrust23THRUST_200600_302600_NS6detail15normal_iteratorINSA_10device_ptrIiEEEEPS6_SG_NS0_5tupleIJSF_S6_EEENSH_IJSG_SG_EEES6_PlJNSB_9not_fun_tI7is_evenIiEEEEEE10hipError_tPvRmT3_T4_T5_T6_T7_T9_mT8_P12ihipStream_tbDpT10_ENKUlT_T0_E_clISt17integral_constantIbLb0EES17_IbLb1EEEEDaS13_S14_EUlS13_E_NS1_11comp_targetILNS1_3genE4ELNS1_11target_archE910ELNS1_3gpuE8ELNS1_3repE0EEENS1_30default_config_static_selectorELNS0_4arch9wavefront6targetE0EEEvT1_ ; -- Begin function _ZN7rocprim17ROCPRIM_400000_NS6detail17trampoline_kernelINS0_14default_configENS1_25partition_config_selectorILNS1_17partition_subalgoE6EiNS0_10empty_typeEbEEZZNS1_14partition_implILS5_6ELb0ES3_mN6thrust23THRUST_200600_302600_NS6detail15normal_iteratorINSA_10device_ptrIiEEEEPS6_SG_NS0_5tupleIJSF_S6_EEENSH_IJSG_SG_EEES6_PlJNSB_9not_fun_tI7is_evenIiEEEEEE10hipError_tPvRmT3_T4_T5_T6_T7_T9_mT8_P12ihipStream_tbDpT10_ENKUlT_T0_E_clISt17integral_constantIbLb0EES17_IbLb1EEEEDaS13_S14_EUlS13_E_NS1_11comp_targetILNS1_3genE4ELNS1_11target_archE910ELNS1_3gpuE8ELNS1_3repE0EEENS1_30default_config_static_selectorELNS0_4arch9wavefront6targetE0EEEvT1_
	.globl	_ZN7rocprim17ROCPRIM_400000_NS6detail17trampoline_kernelINS0_14default_configENS1_25partition_config_selectorILNS1_17partition_subalgoE6EiNS0_10empty_typeEbEEZZNS1_14partition_implILS5_6ELb0ES3_mN6thrust23THRUST_200600_302600_NS6detail15normal_iteratorINSA_10device_ptrIiEEEEPS6_SG_NS0_5tupleIJSF_S6_EEENSH_IJSG_SG_EEES6_PlJNSB_9not_fun_tI7is_evenIiEEEEEE10hipError_tPvRmT3_T4_T5_T6_T7_T9_mT8_P12ihipStream_tbDpT10_ENKUlT_T0_E_clISt17integral_constantIbLb0EES17_IbLb1EEEEDaS13_S14_EUlS13_E_NS1_11comp_targetILNS1_3genE4ELNS1_11target_archE910ELNS1_3gpuE8ELNS1_3repE0EEENS1_30default_config_static_selectorELNS0_4arch9wavefront6targetE0EEEvT1_
	.p2align	8
	.type	_ZN7rocprim17ROCPRIM_400000_NS6detail17trampoline_kernelINS0_14default_configENS1_25partition_config_selectorILNS1_17partition_subalgoE6EiNS0_10empty_typeEbEEZZNS1_14partition_implILS5_6ELb0ES3_mN6thrust23THRUST_200600_302600_NS6detail15normal_iteratorINSA_10device_ptrIiEEEEPS6_SG_NS0_5tupleIJSF_S6_EEENSH_IJSG_SG_EEES6_PlJNSB_9not_fun_tI7is_evenIiEEEEEE10hipError_tPvRmT3_T4_T5_T6_T7_T9_mT8_P12ihipStream_tbDpT10_ENKUlT_T0_E_clISt17integral_constantIbLb0EES17_IbLb1EEEEDaS13_S14_EUlS13_E_NS1_11comp_targetILNS1_3genE4ELNS1_11target_archE910ELNS1_3gpuE8ELNS1_3repE0EEENS1_30default_config_static_selectorELNS0_4arch9wavefront6targetE0EEEvT1_,@function
_ZN7rocprim17ROCPRIM_400000_NS6detail17trampoline_kernelINS0_14default_configENS1_25partition_config_selectorILNS1_17partition_subalgoE6EiNS0_10empty_typeEbEEZZNS1_14partition_implILS5_6ELb0ES3_mN6thrust23THRUST_200600_302600_NS6detail15normal_iteratorINSA_10device_ptrIiEEEEPS6_SG_NS0_5tupleIJSF_S6_EEENSH_IJSG_SG_EEES6_PlJNSB_9not_fun_tI7is_evenIiEEEEEE10hipError_tPvRmT3_T4_T5_T6_T7_T9_mT8_P12ihipStream_tbDpT10_ENKUlT_T0_E_clISt17integral_constantIbLb0EES17_IbLb1EEEEDaS13_S14_EUlS13_E_NS1_11comp_targetILNS1_3genE4ELNS1_11target_archE910ELNS1_3gpuE8ELNS1_3repE0EEENS1_30default_config_static_selectorELNS0_4arch9wavefront6targetE0EEEvT1_: ; @_ZN7rocprim17ROCPRIM_400000_NS6detail17trampoline_kernelINS0_14default_configENS1_25partition_config_selectorILNS1_17partition_subalgoE6EiNS0_10empty_typeEbEEZZNS1_14partition_implILS5_6ELb0ES3_mN6thrust23THRUST_200600_302600_NS6detail15normal_iteratorINSA_10device_ptrIiEEEEPS6_SG_NS0_5tupleIJSF_S6_EEENSH_IJSG_SG_EEES6_PlJNSB_9not_fun_tI7is_evenIiEEEEEE10hipError_tPvRmT3_T4_T5_T6_T7_T9_mT8_P12ihipStream_tbDpT10_ENKUlT_T0_E_clISt17integral_constantIbLb0EES17_IbLb1EEEEDaS13_S14_EUlS13_E_NS1_11comp_targetILNS1_3genE4ELNS1_11target_archE910ELNS1_3gpuE8ELNS1_3repE0EEENS1_30default_config_static_selectorELNS0_4arch9wavefront6targetE0EEEvT1_
; %bb.0:
	.section	.rodata,"a",@progbits
	.p2align	6, 0x0
	.amdhsa_kernel _ZN7rocprim17ROCPRIM_400000_NS6detail17trampoline_kernelINS0_14default_configENS1_25partition_config_selectorILNS1_17partition_subalgoE6EiNS0_10empty_typeEbEEZZNS1_14partition_implILS5_6ELb0ES3_mN6thrust23THRUST_200600_302600_NS6detail15normal_iteratorINSA_10device_ptrIiEEEEPS6_SG_NS0_5tupleIJSF_S6_EEENSH_IJSG_SG_EEES6_PlJNSB_9not_fun_tI7is_evenIiEEEEEE10hipError_tPvRmT3_T4_T5_T6_T7_T9_mT8_P12ihipStream_tbDpT10_ENKUlT_T0_E_clISt17integral_constantIbLb0EES17_IbLb1EEEEDaS13_S14_EUlS13_E_NS1_11comp_targetILNS1_3genE4ELNS1_11target_archE910ELNS1_3gpuE8ELNS1_3repE0EEENS1_30default_config_static_selectorELNS0_4arch9wavefront6targetE0EEEvT1_
		.amdhsa_group_segment_fixed_size 0
		.amdhsa_private_segment_fixed_size 0
		.amdhsa_kernarg_size 128
		.amdhsa_user_sgpr_count 2
		.amdhsa_user_sgpr_dispatch_ptr 0
		.amdhsa_user_sgpr_queue_ptr 0
		.amdhsa_user_sgpr_kernarg_segment_ptr 1
		.amdhsa_user_sgpr_dispatch_id 0
		.amdhsa_user_sgpr_private_segment_size 0
		.amdhsa_wavefront_size32 1
		.amdhsa_uses_dynamic_stack 0
		.amdhsa_enable_private_segment 0
		.amdhsa_system_sgpr_workgroup_id_x 1
		.amdhsa_system_sgpr_workgroup_id_y 0
		.amdhsa_system_sgpr_workgroup_id_z 0
		.amdhsa_system_sgpr_workgroup_info 0
		.amdhsa_system_vgpr_workitem_id 0
		.amdhsa_next_free_vgpr 1
		.amdhsa_next_free_sgpr 1
		.amdhsa_reserve_vcc 0
		.amdhsa_float_round_mode_32 0
		.amdhsa_float_round_mode_16_64 0
		.amdhsa_float_denorm_mode_32 3
		.amdhsa_float_denorm_mode_16_64 3
		.amdhsa_fp16_overflow 0
		.amdhsa_workgroup_processor_mode 1
		.amdhsa_memory_ordered 1
		.amdhsa_forward_progress 1
		.amdhsa_inst_pref_size 0
		.amdhsa_round_robin_scheduling 0
		.amdhsa_exception_fp_ieee_invalid_op 0
		.amdhsa_exception_fp_denorm_src 0
		.amdhsa_exception_fp_ieee_div_zero 0
		.amdhsa_exception_fp_ieee_overflow 0
		.amdhsa_exception_fp_ieee_underflow 0
		.amdhsa_exception_fp_ieee_inexact 0
		.amdhsa_exception_int_div_zero 0
	.end_amdhsa_kernel
	.section	.text._ZN7rocprim17ROCPRIM_400000_NS6detail17trampoline_kernelINS0_14default_configENS1_25partition_config_selectorILNS1_17partition_subalgoE6EiNS0_10empty_typeEbEEZZNS1_14partition_implILS5_6ELb0ES3_mN6thrust23THRUST_200600_302600_NS6detail15normal_iteratorINSA_10device_ptrIiEEEEPS6_SG_NS0_5tupleIJSF_S6_EEENSH_IJSG_SG_EEES6_PlJNSB_9not_fun_tI7is_evenIiEEEEEE10hipError_tPvRmT3_T4_T5_T6_T7_T9_mT8_P12ihipStream_tbDpT10_ENKUlT_T0_E_clISt17integral_constantIbLb0EES17_IbLb1EEEEDaS13_S14_EUlS13_E_NS1_11comp_targetILNS1_3genE4ELNS1_11target_archE910ELNS1_3gpuE8ELNS1_3repE0EEENS1_30default_config_static_selectorELNS0_4arch9wavefront6targetE0EEEvT1_,"axG",@progbits,_ZN7rocprim17ROCPRIM_400000_NS6detail17trampoline_kernelINS0_14default_configENS1_25partition_config_selectorILNS1_17partition_subalgoE6EiNS0_10empty_typeEbEEZZNS1_14partition_implILS5_6ELb0ES3_mN6thrust23THRUST_200600_302600_NS6detail15normal_iteratorINSA_10device_ptrIiEEEEPS6_SG_NS0_5tupleIJSF_S6_EEENSH_IJSG_SG_EEES6_PlJNSB_9not_fun_tI7is_evenIiEEEEEE10hipError_tPvRmT3_T4_T5_T6_T7_T9_mT8_P12ihipStream_tbDpT10_ENKUlT_T0_E_clISt17integral_constantIbLb0EES17_IbLb1EEEEDaS13_S14_EUlS13_E_NS1_11comp_targetILNS1_3genE4ELNS1_11target_archE910ELNS1_3gpuE8ELNS1_3repE0EEENS1_30default_config_static_selectorELNS0_4arch9wavefront6targetE0EEEvT1_,comdat
.Lfunc_end751:
	.size	_ZN7rocprim17ROCPRIM_400000_NS6detail17trampoline_kernelINS0_14default_configENS1_25partition_config_selectorILNS1_17partition_subalgoE6EiNS0_10empty_typeEbEEZZNS1_14partition_implILS5_6ELb0ES3_mN6thrust23THRUST_200600_302600_NS6detail15normal_iteratorINSA_10device_ptrIiEEEEPS6_SG_NS0_5tupleIJSF_S6_EEENSH_IJSG_SG_EEES6_PlJNSB_9not_fun_tI7is_evenIiEEEEEE10hipError_tPvRmT3_T4_T5_T6_T7_T9_mT8_P12ihipStream_tbDpT10_ENKUlT_T0_E_clISt17integral_constantIbLb0EES17_IbLb1EEEEDaS13_S14_EUlS13_E_NS1_11comp_targetILNS1_3genE4ELNS1_11target_archE910ELNS1_3gpuE8ELNS1_3repE0EEENS1_30default_config_static_selectorELNS0_4arch9wavefront6targetE0EEEvT1_, .Lfunc_end751-_ZN7rocprim17ROCPRIM_400000_NS6detail17trampoline_kernelINS0_14default_configENS1_25partition_config_selectorILNS1_17partition_subalgoE6EiNS0_10empty_typeEbEEZZNS1_14partition_implILS5_6ELb0ES3_mN6thrust23THRUST_200600_302600_NS6detail15normal_iteratorINSA_10device_ptrIiEEEEPS6_SG_NS0_5tupleIJSF_S6_EEENSH_IJSG_SG_EEES6_PlJNSB_9not_fun_tI7is_evenIiEEEEEE10hipError_tPvRmT3_T4_T5_T6_T7_T9_mT8_P12ihipStream_tbDpT10_ENKUlT_T0_E_clISt17integral_constantIbLb0EES17_IbLb1EEEEDaS13_S14_EUlS13_E_NS1_11comp_targetILNS1_3genE4ELNS1_11target_archE910ELNS1_3gpuE8ELNS1_3repE0EEENS1_30default_config_static_selectorELNS0_4arch9wavefront6targetE0EEEvT1_
                                        ; -- End function
	.set _ZN7rocprim17ROCPRIM_400000_NS6detail17trampoline_kernelINS0_14default_configENS1_25partition_config_selectorILNS1_17partition_subalgoE6EiNS0_10empty_typeEbEEZZNS1_14partition_implILS5_6ELb0ES3_mN6thrust23THRUST_200600_302600_NS6detail15normal_iteratorINSA_10device_ptrIiEEEEPS6_SG_NS0_5tupleIJSF_S6_EEENSH_IJSG_SG_EEES6_PlJNSB_9not_fun_tI7is_evenIiEEEEEE10hipError_tPvRmT3_T4_T5_T6_T7_T9_mT8_P12ihipStream_tbDpT10_ENKUlT_T0_E_clISt17integral_constantIbLb0EES17_IbLb1EEEEDaS13_S14_EUlS13_E_NS1_11comp_targetILNS1_3genE4ELNS1_11target_archE910ELNS1_3gpuE8ELNS1_3repE0EEENS1_30default_config_static_selectorELNS0_4arch9wavefront6targetE0EEEvT1_.num_vgpr, 0
	.set _ZN7rocprim17ROCPRIM_400000_NS6detail17trampoline_kernelINS0_14default_configENS1_25partition_config_selectorILNS1_17partition_subalgoE6EiNS0_10empty_typeEbEEZZNS1_14partition_implILS5_6ELb0ES3_mN6thrust23THRUST_200600_302600_NS6detail15normal_iteratorINSA_10device_ptrIiEEEEPS6_SG_NS0_5tupleIJSF_S6_EEENSH_IJSG_SG_EEES6_PlJNSB_9not_fun_tI7is_evenIiEEEEEE10hipError_tPvRmT3_T4_T5_T6_T7_T9_mT8_P12ihipStream_tbDpT10_ENKUlT_T0_E_clISt17integral_constantIbLb0EES17_IbLb1EEEEDaS13_S14_EUlS13_E_NS1_11comp_targetILNS1_3genE4ELNS1_11target_archE910ELNS1_3gpuE8ELNS1_3repE0EEENS1_30default_config_static_selectorELNS0_4arch9wavefront6targetE0EEEvT1_.num_agpr, 0
	.set _ZN7rocprim17ROCPRIM_400000_NS6detail17trampoline_kernelINS0_14default_configENS1_25partition_config_selectorILNS1_17partition_subalgoE6EiNS0_10empty_typeEbEEZZNS1_14partition_implILS5_6ELb0ES3_mN6thrust23THRUST_200600_302600_NS6detail15normal_iteratorINSA_10device_ptrIiEEEEPS6_SG_NS0_5tupleIJSF_S6_EEENSH_IJSG_SG_EEES6_PlJNSB_9not_fun_tI7is_evenIiEEEEEE10hipError_tPvRmT3_T4_T5_T6_T7_T9_mT8_P12ihipStream_tbDpT10_ENKUlT_T0_E_clISt17integral_constantIbLb0EES17_IbLb1EEEEDaS13_S14_EUlS13_E_NS1_11comp_targetILNS1_3genE4ELNS1_11target_archE910ELNS1_3gpuE8ELNS1_3repE0EEENS1_30default_config_static_selectorELNS0_4arch9wavefront6targetE0EEEvT1_.numbered_sgpr, 0
	.set _ZN7rocprim17ROCPRIM_400000_NS6detail17trampoline_kernelINS0_14default_configENS1_25partition_config_selectorILNS1_17partition_subalgoE6EiNS0_10empty_typeEbEEZZNS1_14partition_implILS5_6ELb0ES3_mN6thrust23THRUST_200600_302600_NS6detail15normal_iteratorINSA_10device_ptrIiEEEEPS6_SG_NS0_5tupleIJSF_S6_EEENSH_IJSG_SG_EEES6_PlJNSB_9not_fun_tI7is_evenIiEEEEEE10hipError_tPvRmT3_T4_T5_T6_T7_T9_mT8_P12ihipStream_tbDpT10_ENKUlT_T0_E_clISt17integral_constantIbLb0EES17_IbLb1EEEEDaS13_S14_EUlS13_E_NS1_11comp_targetILNS1_3genE4ELNS1_11target_archE910ELNS1_3gpuE8ELNS1_3repE0EEENS1_30default_config_static_selectorELNS0_4arch9wavefront6targetE0EEEvT1_.num_named_barrier, 0
	.set _ZN7rocprim17ROCPRIM_400000_NS6detail17trampoline_kernelINS0_14default_configENS1_25partition_config_selectorILNS1_17partition_subalgoE6EiNS0_10empty_typeEbEEZZNS1_14partition_implILS5_6ELb0ES3_mN6thrust23THRUST_200600_302600_NS6detail15normal_iteratorINSA_10device_ptrIiEEEEPS6_SG_NS0_5tupleIJSF_S6_EEENSH_IJSG_SG_EEES6_PlJNSB_9not_fun_tI7is_evenIiEEEEEE10hipError_tPvRmT3_T4_T5_T6_T7_T9_mT8_P12ihipStream_tbDpT10_ENKUlT_T0_E_clISt17integral_constantIbLb0EES17_IbLb1EEEEDaS13_S14_EUlS13_E_NS1_11comp_targetILNS1_3genE4ELNS1_11target_archE910ELNS1_3gpuE8ELNS1_3repE0EEENS1_30default_config_static_selectorELNS0_4arch9wavefront6targetE0EEEvT1_.private_seg_size, 0
	.set _ZN7rocprim17ROCPRIM_400000_NS6detail17trampoline_kernelINS0_14default_configENS1_25partition_config_selectorILNS1_17partition_subalgoE6EiNS0_10empty_typeEbEEZZNS1_14partition_implILS5_6ELb0ES3_mN6thrust23THRUST_200600_302600_NS6detail15normal_iteratorINSA_10device_ptrIiEEEEPS6_SG_NS0_5tupleIJSF_S6_EEENSH_IJSG_SG_EEES6_PlJNSB_9not_fun_tI7is_evenIiEEEEEE10hipError_tPvRmT3_T4_T5_T6_T7_T9_mT8_P12ihipStream_tbDpT10_ENKUlT_T0_E_clISt17integral_constantIbLb0EES17_IbLb1EEEEDaS13_S14_EUlS13_E_NS1_11comp_targetILNS1_3genE4ELNS1_11target_archE910ELNS1_3gpuE8ELNS1_3repE0EEENS1_30default_config_static_selectorELNS0_4arch9wavefront6targetE0EEEvT1_.uses_vcc, 0
	.set _ZN7rocprim17ROCPRIM_400000_NS6detail17trampoline_kernelINS0_14default_configENS1_25partition_config_selectorILNS1_17partition_subalgoE6EiNS0_10empty_typeEbEEZZNS1_14partition_implILS5_6ELb0ES3_mN6thrust23THRUST_200600_302600_NS6detail15normal_iteratorINSA_10device_ptrIiEEEEPS6_SG_NS0_5tupleIJSF_S6_EEENSH_IJSG_SG_EEES6_PlJNSB_9not_fun_tI7is_evenIiEEEEEE10hipError_tPvRmT3_T4_T5_T6_T7_T9_mT8_P12ihipStream_tbDpT10_ENKUlT_T0_E_clISt17integral_constantIbLb0EES17_IbLb1EEEEDaS13_S14_EUlS13_E_NS1_11comp_targetILNS1_3genE4ELNS1_11target_archE910ELNS1_3gpuE8ELNS1_3repE0EEENS1_30default_config_static_selectorELNS0_4arch9wavefront6targetE0EEEvT1_.uses_flat_scratch, 0
	.set _ZN7rocprim17ROCPRIM_400000_NS6detail17trampoline_kernelINS0_14default_configENS1_25partition_config_selectorILNS1_17partition_subalgoE6EiNS0_10empty_typeEbEEZZNS1_14partition_implILS5_6ELb0ES3_mN6thrust23THRUST_200600_302600_NS6detail15normal_iteratorINSA_10device_ptrIiEEEEPS6_SG_NS0_5tupleIJSF_S6_EEENSH_IJSG_SG_EEES6_PlJNSB_9not_fun_tI7is_evenIiEEEEEE10hipError_tPvRmT3_T4_T5_T6_T7_T9_mT8_P12ihipStream_tbDpT10_ENKUlT_T0_E_clISt17integral_constantIbLb0EES17_IbLb1EEEEDaS13_S14_EUlS13_E_NS1_11comp_targetILNS1_3genE4ELNS1_11target_archE910ELNS1_3gpuE8ELNS1_3repE0EEENS1_30default_config_static_selectorELNS0_4arch9wavefront6targetE0EEEvT1_.has_dyn_sized_stack, 0
	.set _ZN7rocprim17ROCPRIM_400000_NS6detail17trampoline_kernelINS0_14default_configENS1_25partition_config_selectorILNS1_17partition_subalgoE6EiNS0_10empty_typeEbEEZZNS1_14partition_implILS5_6ELb0ES3_mN6thrust23THRUST_200600_302600_NS6detail15normal_iteratorINSA_10device_ptrIiEEEEPS6_SG_NS0_5tupleIJSF_S6_EEENSH_IJSG_SG_EEES6_PlJNSB_9not_fun_tI7is_evenIiEEEEEE10hipError_tPvRmT3_T4_T5_T6_T7_T9_mT8_P12ihipStream_tbDpT10_ENKUlT_T0_E_clISt17integral_constantIbLb0EES17_IbLb1EEEEDaS13_S14_EUlS13_E_NS1_11comp_targetILNS1_3genE4ELNS1_11target_archE910ELNS1_3gpuE8ELNS1_3repE0EEENS1_30default_config_static_selectorELNS0_4arch9wavefront6targetE0EEEvT1_.has_recursion, 0
	.set _ZN7rocprim17ROCPRIM_400000_NS6detail17trampoline_kernelINS0_14default_configENS1_25partition_config_selectorILNS1_17partition_subalgoE6EiNS0_10empty_typeEbEEZZNS1_14partition_implILS5_6ELb0ES3_mN6thrust23THRUST_200600_302600_NS6detail15normal_iteratorINSA_10device_ptrIiEEEEPS6_SG_NS0_5tupleIJSF_S6_EEENSH_IJSG_SG_EEES6_PlJNSB_9not_fun_tI7is_evenIiEEEEEE10hipError_tPvRmT3_T4_T5_T6_T7_T9_mT8_P12ihipStream_tbDpT10_ENKUlT_T0_E_clISt17integral_constantIbLb0EES17_IbLb1EEEEDaS13_S14_EUlS13_E_NS1_11comp_targetILNS1_3genE4ELNS1_11target_archE910ELNS1_3gpuE8ELNS1_3repE0EEENS1_30default_config_static_selectorELNS0_4arch9wavefront6targetE0EEEvT1_.has_indirect_call, 0
	.section	.AMDGPU.csdata,"",@progbits
; Kernel info:
; codeLenInByte = 0
; TotalNumSgprs: 0
; NumVgprs: 0
; ScratchSize: 0
; MemoryBound: 0
; FloatMode: 240
; IeeeMode: 1
; LDSByteSize: 0 bytes/workgroup (compile time only)
; SGPRBlocks: 0
; VGPRBlocks: 0
; NumSGPRsForWavesPerEU: 1
; NumVGPRsForWavesPerEU: 1
; Occupancy: 16
; WaveLimiterHint : 0
; COMPUTE_PGM_RSRC2:SCRATCH_EN: 0
; COMPUTE_PGM_RSRC2:USER_SGPR: 2
; COMPUTE_PGM_RSRC2:TRAP_HANDLER: 0
; COMPUTE_PGM_RSRC2:TGID_X_EN: 1
; COMPUTE_PGM_RSRC2:TGID_Y_EN: 0
; COMPUTE_PGM_RSRC2:TGID_Z_EN: 0
; COMPUTE_PGM_RSRC2:TIDIG_COMP_CNT: 0
	.section	.text._ZN7rocprim17ROCPRIM_400000_NS6detail17trampoline_kernelINS0_14default_configENS1_25partition_config_selectorILNS1_17partition_subalgoE6EiNS0_10empty_typeEbEEZZNS1_14partition_implILS5_6ELb0ES3_mN6thrust23THRUST_200600_302600_NS6detail15normal_iteratorINSA_10device_ptrIiEEEEPS6_SG_NS0_5tupleIJSF_S6_EEENSH_IJSG_SG_EEES6_PlJNSB_9not_fun_tI7is_evenIiEEEEEE10hipError_tPvRmT3_T4_T5_T6_T7_T9_mT8_P12ihipStream_tbDpT10_ENKUlT_T0_E_clISt17integral_constantIbLb0EES17_IbLb1EEEEDaS13_S14_EUlS13_E_NS1_11comp_targetILNS1_3genE3ELNS1_11target_archE908ELNS1_3gpuE7ELNS1_3repE0EEENS1_30default_config_static_selectorELNS0_4arch9wavefront6targetE0EEEvT1_,"axG",@progbits,_ZN7rocprim17ROCPRIM_400000_NS6detail17trampoline_kernelINS0_14default_configENS1_25partition_config_selectorILNS1_17partition_subalgoE6EiNS0_10empty_typeEbEEZZNS1_14partition_implILS5_6ELb0ES3_mN6thrust23THRUST_200600_302600_NS6detail15normal_iteratorINSA_10device_ptrIiEEEEPS6_SG_NS0_5tupleIJSF_S6_EEENSH_IJSG_SG_EEES6_PlJNSB_9not_fun_tI7is_evenIiEEEEEE10hipError_tPvRmT3_T4_T5_T6_T7_T9_mT8_P12ihipStream_tbDpT10_ENKUlT_T0_E_clISt17integral_constantIbLb0EES17_IbLb1EEEEDaS13_S14_EUlS13_E_NS1_11comp_targetILNS1_3genE3ELNS1_11target_archE908ELNS1_3gpuE7ELNS1_3repE0EEENS1_30default_config_static_selectorELNS0_4arch9wavefront6targetE0EEEvT1_,comdat
	.protected	_ZN7rocprim17ROCPRIM_400000_NS6detail17trampoline_kernelINS0_14default_configENS1_25partition_config_selectorILNS1_17partition_subalgoE6EiNS0_10empty_typeEbEEZZNS1_14partition_implILS5_6ELb0ES3_mN6thrust23THRUST_200600_302600_NS6detail15normal_iteratorINSA_10device_ptrIiEEEEPS6_SG_NS0_5tupleIJSF_S6_EEENSH_IJSG_SG_EEES6_PlJNSB_9not_fun_tI7is_evenIiEEEEEE10hipError_tPvRmT3_T4_T5_T6_T7_T9_mT8_P12ihipStream_tbDpT10_ENKUlT_T0_E_clISt17integral_constantIbLb0EES17_IbLb1EEEEDaS13_S14_EUlS13_E_NS1_11comp_targetILNS1_3genE3ELNS1_11target_archE908ELNS1_3gpuE7ELNS1_3repE0EEENS1_30default_config_static_selectorELNS0_4arch9wavefront6targetE0EEEvT1_ ; -- Begin function _ZN7rocprim17ROCPRIM_400000_NS6detail17trampoline_kernelINS0_14default_configENS1_25partition_config_selectorILNS1_17partition_subalgoE6EiNS0_10empty_typeEbEEZZNS1_14partition_implILS5_6ELb0ES3_mN6thrust23THRUST_200600_302600_NS6detail15normal_iteratorINSA_10device_ptrIiEEEEPS6_SG_NS0_5tupleIJSF_S6_EEENSH_IJSG_SG_EEES6_PlJNSB_9not_fun_tI7is_evenIiEEEEEE10hipError_tPvRmT3_T4_T5_T6_T7_T9_mT8_P12ihipStream_tbDpT10_ENKUlT_T0_E_clISt17integral_constantIbLb0EES17_IbLb1EEEEDaS13_S14_EUlS13_E_NS1_11comp_targetILNS1_3genE3ELNS1_11target_archE908ELNS1_3gpuE7ELNS1_3repE0EEENS1_30default_config_static_selectorELNS0_4arch9wavefront6targetE0EEEvT1_
	.globl	_ZN7rocprim17ROCPRIM_400000_NS6detail17trampoline_kernelINS0_14default_configENS1_25partition_config_selectorILNS1_17partition_subalgoE6EiNS0_10empty_typeEbEEZZNS1_14partition_implILS5_6ELb0ES3_mN6thrust23THRUST_200600_302600_NS6detail15normal_iteratorINSA_10device_ptrIiEEEEPS6_SG_NS0_5tupleIJSF_S6_EEENSH_IJSG_SG_EEES6_PlJNSB_9not_fun_tI7is_evenIiEEEEEE10hipError_tPvRmT3_T4_T5_T6_T7_T9_mT8_P12ihipStream_tbDpT10_ENKUlT_T0_E_clISt17integral_constantIbLb0EES17_IbLb1EEEEDaS13_S14_EUlS13_E_NS1_11comp_targetILNS1_3genE3ELNS1_11target_archE908ELNS1_3gpuE7ELNS1_3repE0EEENS1_30default_config_static_selectorELNS0_4arch9wavefront6targetE0EEEvT1_
	.p2align	8
	.type	_ZN7rocprim17ROCPRIM_400000_NS6detail17trampoline_kernelINS0_14default_configENS1_25partition_config_selectorILNS1_17partition_subalgoE6EiNS0_10empty_typeEbEEZZNS1_14partition_implILS5_6ELb0ES3_mN6thrust23THRUST_200600_302600_NS6detail15normal_iteratorINSA_10device_ptrIiEEEEPS6_SG_NS0_5tupleIJSF_S6_EEENSH_IJSG_SG_EEES6_PlJNSB_9not_fun_tI7is_evenIiEEEEEE10hipError_tPvRmT3_T4_T5_T6_T7_T9_mT8_P12ihipStream_tbDpT10_ENKUlT_T0_E_clISt17integral_constantIbLb0EES17_IbLb1EEEEDaS13_S14_EUlS13_E_NS1_11comp_targetILNS1_3genE3ELNS1_11target_archE908ELNS1_3gpuE7ELNS1_3repE0EEENS1_30default_config_static_selectorELNS0_4arch9wavefront6targetE0EEEvT1_,@function
_ZN7rocprim17ROCPRIM_400000_NS6detail17trampoline_kernelINS0_14default_configENS1_25partition_config_selectorILNS1_17partition_subalgoE6EiNS0_10empty_typeEbEEZZNS1_14partition_implILS5_6ELb0ES3_mN6thrust23THRUST_200600_302600_NS6detail15normal_iteratorINSA_10device_ptrIiEEEEPS6_SG_NS0_5tupleIJSF_S6_EEENSH_IJSG_SG_EEES6_PlJNSB_9not_fun_tI7is_evenIiEEEEEE10hipError_tPvRmT3_T4_T5_T6_T7_T9_mT8_P12ihipStream_tbDpT10_ENKUlT_T0_E_clISt17integral_constantIbLb0EES17_IbLb1EEEEDaS13_S14_EUlS13_E_NS1_11comp_targetILNS1_3genE3ELNS1_11target_archE908ELNS1_3gpuE7ELNS1_3repE0EEENS1_30default_config_static_selectorELNS0_4arch9wavefront6targetE0EEEvT1_: ; @_ZN7rocprim17ROCPRIM_400000_NS6detail17trampoline_kernelINS0_14default_configENS1_25partition_config_selectorILNS1_17partition_subalgoE6EiNS0_10empty_typeEbEEZZNS1_14partition_implILS5_6ELb0ES3_mN6thrust23THRUST_200600_302600_NS6detail15normal_iteratorINSA_10device_ptrIiEEEEPS6_SG_NS0_5tupleIJSF_S6_EEENSH_IJSG_SG_EEES6_PlJNSB_9not_fun_tI7is_evenIiEEEEEE10hipError_tPvRmT3_T4_T5_T6_T7_T9_mT8_P12ihipStream_tbDpT10_ENKUlT_T0_E_clISt17integral_constantIbLb0EES17_IbLb1EEEEDaS13_S14_EUlS13_E_NS1_11comp_targetILNS1_3genE3ELNS1_11target_archE908ELNS1_3gpuE7ELNS1_3repE0EEENS1_30default_config_static_selectorELNS0_4arch9wavefront6targetE0EEEvT1_
; %bb.0:
	.section	.rodata,"a",@progbits
	.p2align	6, 0x0
	.amdhsa_kernel _ZN7rocprim17ROCPRIM_400000_NS6detail17trampoline_kernelINS0_14default_configENS1_25partition_config_selectorILNS1_17partition_subalgoE6EiNS0_10empty_typeEbEEZZNS1_14partition_implILS5_6ELb0ES3_mN6thrust23THRUST_200600_302600_NS6detail15normal_iteratorINSA_10device_ptrIiEEEEPS6_SG_NS0_5tupleIJSF_S6_EEENSH_IJSG_SG_EEES6_PlJNSB_9not_fun_tI7is_evenIiEEEEEE10hipError_tPvRmT3_T4_T5_T6_T7_T9_mT8_P12ihipStream_tbDpT10_ENKUlT_T0_E_clISt17integral_constantIbLb0EES17_IbLb1EEEEDaS13_S14_EUlS13_E_NS1_11comp_targetILNS1_3genE3ELNS1_11target_archE908ELNS1_3gpuE7ELNS1_3repE0EEENS1_30default_config_static_selectorELNS0_4arch9wavefront6targetE0EEEvT1_
		.amdhsa_group_segment_fixed_size 0
		.amdhsa_private_segment_fixed_size 0
		.amdhsa_kernarg_size 128
		.amdhsa_user_sgpr_count 2
		.amdhsa_user_sgpr_dispatch_ptr 0
		.amdhsa_user_sgpr_queue_ptr 0
		.amdhsa_user_sgpr_kernarg_segment_ptr 1
		.amdhsa_user_sgpr_dispatch_id 0
		.amdhsa_user_sgpr_private_segment_size 0
		.amdhsa_wavefront_size32 1
		.amdhsa_uses_dynamic_stack 0
		.amdhsa_enable_private_segment 0
		.amdhsa_system_sgpr_workgroup_id_x 1
		.amdhsa_system_sgpr_workgroup_id_y 0
		.amdhsa_system_sgpr_workgroup_id_z 0
		.amdhsa_system_sgpr_workgroup_info 0
		.amdhsa_system_vgpr_workitem_id 0
		.amdhsa_next_free_vgpr 1
		.amdhsa_next_free_sgpr 1
		.amdhsa_reserve_vcc 0
		.amdhsa_float_round_mode_32 0
		.amdhsa_float_round_mode_16_64 0
		.amdhsa_float_denorm_mode_32 3
		.amdhsa_float_denorm_mode_16_64 3
		.amdhsa_fp16_overflow 0
		.amdhsa_workgroup_processor_mode 1
		.amdhsa_memory_ordered 1
		.amdhsa_forward_progress 1
		.amdhsa_inst_pref_size 0
		.amdhsa_round_robin_scheduling 0
		.amdhsa_exception_fp_ieee_invalid_op 0
		.amdhsa_exception_fp_denorm_src 0
		.amdhsa_exception_fp_ieee_div_zero 0
		.amdhsa_exception_fp_ieee_overflow 0
		.amdhsa_exception_fp_ieee_underflow 0
		.amdhsa_exception_fp_ieee_inexact 0
		.amdhsa_exception_int_div_zero 0
	.end_amdhsa_kernel
	.section	.text._ZN7rocprim17ROCPRIM_400000_NS6detail17trampoline_kernelINS0_14default_configENS1_25partition_config_selectorILNS1_17partition_subalgoE6EiNS0_10empty_typeEbEEZZNS1_14partition_implILS5_6ELb0ES3_mN6thrust23THRUST_200600_302600_NS6detail15normal_iteratorINSA_10device_ptrIiEEEEPS6_SG_NS0_5tupleIJSF_S6_EEENSH_IJSG_SG_EEES6_PlJNSB_9not_fun_tI7is_evenIiEEEEEE10hipError_tPvRmT3_T4_T5_T6_T7_T9_mT8_P12ihipStream_tbDpT10_ENKUlT_T0_E_clISt17integral_constantIbLb0EES17_IbLb1EEEEDaS13_S14_EUlS13_E_NS1_11comp_targetILNS1_3genE3ELNS1_11target_archE908ELNS1_3gpuE7ELNS1_3repE0EEENS1_30default_config_static_selectorELNS0_4arch9wavefront6targetE0EEEvT1_,"axG",@progbits,_ZN7rocprim17ROCPRIM_400000_NS6detail17trampoline_kernelINS0_14default_configENS1_25partition_config_selectorILNS1_17partition_subalgoE6EiNS0_10empty_typeEbEEZZNS1_14partition_implILS5_6ELb0ES3_mN6thrust23THRUST_200600_302600_NS6detail15normal_iteratorINSA_10device_ptrIiEEEEPS6_SG_NS0_5tupleIJSF_S6_EEENSH_IJSG_SG_EEES6_PlJNSB_9not_fun_tI7is_evenIiEEEEEE10hipError_tPvRmT3_T4_T5_T6_T7_T9_mT8_P12ihipStream_tbDpT10_ENKUlT_T0_E_clISt17integral_constantIbLb0EES17_IbLb1EEEEDaS13_S14_EUlS13_E_NS1_11comp_targetILNS1_3genE3ELNS1_11target_archE908ELNS1_3gpuE7ELNS1_3repE0EEENS1_30default_config_static_selectorELNS0_4arch9wavefront6targetE0EEEvT1_,comdat
.Lfunc_end752:
	.size	_ZN7rocprim17ROCPRIM_400000_NS6detail17trampoline_kernelINS0_14default_configENS1_25partition_config_selectorILNS1_17partition_subalgoE6EiNS0_10empty_typeEbEEZZNS1_14partition_implILS5_6ELb0ES3_mN6thrust23THRUST_200600_302600_NS6detail15normal_iteratorINSA_10device_ptrIiEEEEPS6_SG_NS0_5tupleIJSF_S6_EEENSH_IJSG_SG_EEES6_PlJNSB_9not_fun_tI7is_evenIiEEEEEE10hipError_tPvRmT3_T4_T5_T6_T7_T9_mT8_P12ihipStream_tbDpT10_ENKUlT_T0_E_clISt17integral_constantIbLb0EES17_IbLb1EEEEDaS13_S14_EUlS13_E_NS1_11comp_targetILNS1_3genE3ELNS1_11target_archE908ELNS1_3gpuE7ELNS1_3repE0EEENS1_30default_config_static_selectorELNS0_4arch9wavefront6targetE0EEEvT1_, .Lfunc_end752-_ZN7rocprim17ROCPRIM_400000_NS6detail17trampoline_kernelINS0_14default_configENS1_25partition_config_selectorILNS1_17partition_subalgoE6EiNS0_10empty_typeEbEEZZNS1_14partition_implILS5_6ELb0ES3_mN6thrust23THRUST_200600_302600_NS6detail15normal_iteratorINSA_10device_ptrIiEEEEPS6_SG_NS0_5tupleIJSF_S6_EEENSH_IJSG_SG_EEES6_PlJNSB_9not_fun_tI7is_evenIiEEEEEE10hipError_tPvRmT3_T4_T5_T6_T7_T9_mT8_P12ihipStream_tbDpT10_ENKUlT_T0_E_clISt17integral_constantIbLb0EES17_IbLb1EEEEDaS13_S14_EUlS13_E_NS1_11comp_targetILNS1_3genE3ELNS1_11target_archE908ELNS1_3gpuE7ELNS1_3repE0EEENS1_30default_config_static_selectorELNS0_4arch9wavefront6targetE0EEEvT1_
                                        ; -- End function
	.set _ZN7rocprim17ROCPRIM_400000_NS6detail17trampoline_kernelINS0_14default_configENS1_25partition_config_selectorILNS1_17partition_subalgoE6EiNS0_10empty_typeEbEEZZNS1_14partition_implILS5_6ELb0ES3_mN6thrust23THRUST_200600_302600_NS6detail15normal_iteratorINSA_10device_ptrIiEEEEPS6_SG_NS0_5tupleIJSF_S6_EEENSH_IJSG_SG_EEES6_PlJNSB_9not_fun_tI7is_evenIiEEEEEE10hipError_tPvRmT3_T4_T5_T6_T7_T9_mT8_P12ihipStream_tbDpT10_ENKUlT_T0_E_clISt17integral_constantIbLb0EES17_IbLb1EEEEDaS13_S14_EUlS13_E_NS1_11comp_targetILNS1_3genE3ELNS1_11target_archE908ELNS1_3gpuE7ELNS1_3repE0EEENS1_30default_config_static_selectorELNS0_4arch9wavefront6targetE0EEEvT1_.num_vgpr, 0
	.set _ZN7rocprim17ROCPRIM_400000_NS6detail17trampoline_kernelINS0_14default_configENS1_25partition_config_selectorILNS1_17partition_subalgoE6EiNS0_10empty_typeEbEEZZNS1_14partition_implILS5_6ELb0ES3_mN6thrust23THRUST_200600_302600_NS6detail15normal_iteratorINSA_10device_ptrIiEEEEPS6_SG_NS0_5tupleIJSF_S6_EEENSH_IJSG_SG_EEES6_PlJNSB_9not_fun_tI7is_evenIiEEEEEE10hipError_tPvRmT3_T4_T5_T6_T7_T9_mT8_P12ihipStream_tbDpT10_ENKUlT_T0_E_clISt17integral_constantIbLb0EES17_IbLb1EEEEDaS13_S14_EUlS13_E_NS1_11comp_targetILNS1_3genE3ELNS1_11target_archE908ELNS1_3gpuE7ELNS1_3repE0EEENS1_30default_config_static_selectorELNS0_4arch9wavefront6targetE0EEEvT1_.num_agpr, 0
	.set _ZN7rocprim17ROCPRIM_400000_NS6detail17trampoline_kernelINS0_14default_configENS1_25partition_config_selectorILNS1_17partition_subalgoE6EiNS0_10empty_typeEbEEZZNS1_14partition_implILS5_6ELb0ES3_mN6thrust23THRUST_200600_302600_NS6detail15normal_iteratorINSA_10device_ptrIiEEEEPS6_SG_NS0_5tupleIJSF_S6_EEENSH_IJSG_SG_EEES6_PlJNSB_9not_fun_tI7is_evenIiEEEEEE10hipError_tPvRmT3_T4_T5_T6_T7_T9_mT8_P12ihipStream_tbDpT10_ENKUlT_T0_E_clISt17integral_constantIbLb0EES17_IbLb1EEEEDaS13_S14_EUlS13_E_NS1_11comp_targetILNS1_3genE3ELNS1_11target_archE908ELNS1_3gpuE7ELNS1_3repE0EEENS1_30default_config_static_selectorELNS0_4arch9wavefront6targetE0EEEvT1_.numbered_sgpr, 0
	.set _ZN7rocprim17ROCPRIM_400000_NS6detail17trampoline_kernelINS0_14default_configENS1_25partition_config_selectorILNS1_17partition_subalgoE6EiNS0_10empty_typeEbEEZZNS1_14partition_implILS5_6ELb0ES3_mN6thrust23THRUST_200600_302600_NS6detail15normal_iteratorINSA_10device_ptrIiEEEEPS6_SG_NS0_5tupleIJSF_S6_EEENSH_IJSG_SG_EEES6_PlJNSB_9not_fun_tI7is_evenIiEEEEEE10hipError_tPvRmT3_T4_T5_T6_T7_T9_mT8_P12ihipStream_tbDpT10_ENKUlT_T0_E_clISt17integral_constantIbLb0EES17_IbLb1EEEEDaS13_S14_EUlS13_E_NS1_11comp_targetILNS1_3genE3ELNS1_11target_archE908ELNS1_3gpuE7ELNS1_3repE0EEENS1_30default_config_static_selectorELNS0_4arch9wavefront6targetE0EEEvT1_.num_named_barrier, 0
	.set _ZN7rocprim17ROCPRIM_400000_NS6detail17trampoline_kernelINS0_14default_configENS1_25partition_config_selectorILNS1_17partition_subalgoE6EiNS0_10empty_typeEbEEZZNS1_14partition_implILS5_6ELb0ES3_mN6thrust23THRUST_200600_302600_NS6detail15normal_iteratorINSA_10device_ptrIiEEEEPS6_SG_NS0_5tupleIJSF_S6_EEENSH_IJSG_SG_EEES6_PlJNSB_9not_fun_tI7is_evenIiEEEEEE10hipError_tPvRmT3_T4_T5_T6_T7_T9_mT8_P12ihipStream_tbDpT10_ENKUlT_T0_E_clISt17integral_constantIbLb0EES17_IbLb1EEEEDaS13_S14_EUlS13_E_NS1_11comp_targetILNS1_3genE3ELNS1_11target_archE908ELNS1_3gpuE7ELNS1_3repE0EEENS1_30default_config_static_selectorELNS0_4arch9wavefront6targetE0EEEvT1_.private_seg_size, 0
	.set _ZN7rocprim17ROCPRIM_400000_NS6detail17trampoline_kernelINS0_14default_configENS1_25partition_config_selectorILNS1_17partition_subalgoE6EiNS0_10empty_typeEbEEZZNS1_14partition_implILS5_6ELb0ES3_mN6thrust23THRUST_200600_302600_NS6detail15normal_iteratorINSA_10device_ptrIiEEEEPS6_SG_NS0_5tupleIJSF_S6_EEENSH_IJSG_SG_EEES6_PlJNSB_9not_fun_tI7is_evenIiEEEEEE10hipError_tPvRmT3_T4_T5_T6_T7_T9_mT8_P12ihipStream_tbDpT10_ENKUlT_T0_E_clISt17integral_constantIbLb0EES17_IbLb1EEEEDaS13_S14_EUlS13_E_NS1_11comp_targetILNS1_3genE3ELNS1_11target_archE908ELNS1_3gpuE7ELNS1_3repE0EEENS1_30default_config_static_selectorELNS0_4arch9wavefront6targetE0EEEvT1_.uses_vcc, 0
	.set _ZN7rocprim17ROCPRIM_400000_NS6detail17trampoline_kernelINS0_14default_configENS1_25partition_config_selectorILNS1_17partition_subalgoE6EiNS0_10empty_typeEbEEZZNS1_14partition_implILS5_6ELb0ES3_mN6thrust23THRUST_200600_302600_NS6detail15normal_iteratorINSA_10device_ptrIiEEEEPS6_SG_NS0_5tupleIJSF_S6_EEENSH_IJSG_SG_EEES6_PlJNSB_9not_fun_tI7is_evenIiEEEEEE10hipError_tPvRmT3_T4_T5_T6_T7_T9_mT8_P12ihipStream_tbDpT10_ENKUlT_T0_E_clISt17integral_constantIbLb0EES17_IbLb1EEEEDaS13_S14_EUlS13_E_NS1_11comp_targetILNS1_3genE3ELNS1_11target_archE908ELNS1_3gpuE7ELNS1_3repE0EEENS1_30default_config_static_selectorELNS0_4arch9wavefront6targetE0EEEvT1_.uses_flat_scratch, 0
	.set _ZN7rocprim17ROCPRIM_400000_NS6detail17trampoline_kernelINS0_14default_configENS1_25partition_config_selectorILNS1_17partition_subalgoE6EiNS0_10empty_typeEbEEZZNS1_14partition_implILS5_6ELb0ES3_mN6thrust23THRUST_200600_302600_NS6detail15normal_iteratorINSA_10device_ptrIiEEEEPS6_SG_NS0_5tupleIJSF_S6_EEENSH_IJSG_SG_EEES6_PlJNSB_9not_fun_tI7is_evenIiEEEEEE10hipError_tPvRmT3_T4_T5_T6_T7_T9_mT8_P12ihipStream_tbDpT10_ENKUlT_T0_E_clISt17integral_constantIbLb0EES17_IbLb1EEEEDaS13_S14_EUlS13_E_NS1_11comp_targetILNS1_3genE3ELNS1_11target_archE908ELNS1_3gpuE7ELNS1_3repE0EEENS1_30default_config_static_selectorELNS0_4arch9wavefront6targetE0EEEvT1_.has_dyn_sized_stack, 0
	.set _ZN7rocprim17ROCPRIM_400000_NS6detail17trampoline_kernelINS0_14default_configENS1_25partition_config_selectorILNS1_17partition_subalgoE6EiNS0_10empty_typeEbEEZZNS1_14partition_implILS5_6ELb0ES3_mN6thrust23THRUST_200600_302600_NS6detail15normal_iteratorINSA_10device_ptrIiEEEEPS6_SG_NS0_5tupleIJSF_S6_EEENSH_IJSG_SG_EEES6_PlJNSB_9not_fun_tI7is_evenIiEEEEEE10hipError_tPvRmT3_T4_T5_T6_T7_T9_mT8_P12ihipStream_tbDpT10_ENKUlT_T0_E_clISt17integral_constantIbLb0EES17_IbLb1EEEEDaS13_S14_EUlS13_E_NS1_11comp_targetILNS1_3genE3ELNS1_11target_archE908ELNS1_3gpuE7ELNS1_3repE0EEENS1_30default_config_static_selectorELNS0_4arch9wavefront6targetE0EEEvT1_.has_recursion, 0
	.set _ZN7rocprim17ROCPRIM_400000_NS6detail17trampoline_kernelINS0_14default_configENS1_25partition_config_selectorILNS1_17partition_subalgoE6EiNS0_10empty_typeEbEEZZNS1_14partition_implILS5_6ELb0ES3_mN6thrust23THRUST_200600_302600_NS6detail15normal_iteratorINSA_10device_ptrIiEEEEPS6_SG_NS0_5tupleIJSF_S6_EEENSH_IJSG_SG_EEES6_PlJNSB_9not_fun_tI7is_evenIiEEEEEE10hipError_tPvRmT3_T4_T5_T6_T7_T9_mT8_P12ihipStream_tbDpT10_ENKUlT_T0_E_clISt17integral_constantIbLb0EES17_IbLb1EEEEDaS13_S14_EUlS13_E_NS1_11comp_targetILNS1_3genE3ELNS1_11target_archE908ELNS1_3gpuE7ELNS1_3repE0EEENS1_30default_config_static_selectorELNS0_4arch9wavefront6targetE0EEEvT1_.has_indirect_call, 0
	.section	.AMDGPU.csdata,"",@progbits
; Kernel info:
; codeLenInByte = 0
; TotalNumSgprs: 0
; NumVgprs: 0
; ScratchSize: 0
; MemoryBound: 0
; FloatMode: 240
; IeeeMode: 1
; LDSByteSize: 0 bytes/workgroup (compile time only)
; SGPRBlocks: 0
; VGPRBlocks: 0
; NumSGPRsForWavesPerEU: 1
; NumVGPRsForWavesPerEU: 1
; Occupancy: 16
; WaveLimiterHint : 0
; COMPUTE_PGM_RSRC2:SCRATCH_EN: 0
; COMPUTE_PGM_RSRC2:USER_SGPR: 2
; COMPUTE_PGM_RSRC2:TRAP_HANDLER: 0
; COMPUTE_PGM_RSRC2:TGID_X_EN: 1
; COMPUTE_PGM_RSRC2:TGID_Y_EN: 0
; COMPUTE_PGM_RSRC2:TGID_Z_EN: 0
; COMPUTE_PGM_RSRC2:TIDIG_COMP_CNT: 0
	.section	.text._ZN7rocprim17ROCPRIM_400000_NS6detail17trampoline_kernelINS0_14default_configENS1_25partition_config_selectorILNS1_17partition_subalgoE6EiNS0_10empty_typeEbEEZZNS1_14partition_implILS5_6ELb0ES3_mN6thrust23THRUST_200600_302600_NS6detail15normal_iteratorINSA_10device_ptrIiEEEEPS6_SG_NS0_5tupleIJSF_S6_EEENSH_IJSG_SG_EEES6_PlJNSB_9not_fun_tI7is_evenIiEEEEEE10hipError_tPvRmT3_T4_T5_T6_T7_T9_mT8_P12ihipStream_tbDpT10_ENKUlT_T0_E_clISt17integral_constantIbLb0EES17_IbLb1EEEEDaS13_S14_EUlS13_E_NS1_11comp_targetILNS1_3genE2ELNS1_11target_archE906ELNS1_3gpuE6ELNS1_3repE0EEENS1_30default_config_static_selectorELNS0_4arch9wavefront6targetE0EEEvT1_,"axG",@progbits,_ZN7rocprim17ROCPRIM_400000_NS6detail17trampoline_kernelINS0_14default_configENS1_25partition_config_selectorILNS1_17partition_subalgoE6EiNS0_10empty_typeEbEEZZNS1_14partition_implILS5_6ELb0ES3_mN6thrust23THRUST_200600_302600_NS6detail15normal_iteratorINSA_10device_ptrIiEEEEPS6_SG_NS0_5tupleIJSF_S6_EEENSH_IJSG_SG_EEES6_PlJNSB_9not_fun_tI7is_evenIiEEEEEE10hipError_tPvRmT3_T4_T5_T6_T7_T9_mT8_P12ihipStream_tbDpT10_ENKUlT_T0_E_clISt17integral_constantIbLb0EES17_IbLb1EEEEDaS13_S14_EUlS13_E_NS1_11comp_targetILNS1_3genE2ELNS1_11target_archE906ELNS1_3gpuE6ELNS1_3repE0EEENS1_30default_config_static_selectorELNS0_4arch9wavefront6targetE0EEEvT1_,comdat
	.protected	_ZN7rocprim17ROCPRIM_400000_NS6detail17trampoline_kernelINS0_14default_configENS1_25partition_config_selectorILNS1_17partition_subalgoE6EiNS0_10empty_typeEbEEZZNS1_14partition_implILS5_6ELb0ES3_mN6thrust23THRUST_200600_302600_NS6detail15normal_iteratorINSA_10device_ptrIiEEEEPS6_SG_NS0_5tupleIJSF_S6_EEENSH_IJSG_SG_EEES6_PlJNSB_9not_fun_tI7is_evenIiEEEEEE10hipError_tPvRmT3_T4_T5_T6_T7_T9_mT8_P12ihipStream_tbDpT10_ENKUlT_T0_E_clISt17integral_constantIbLb0EES17_IbLb1EEEEDaS13_S14_EUlS13_E_NS1_11comp_targetILNS1_3genE2ELNS1_11target_archE906ELNS1_3gpuE6ELNS1_3repE0EEENS1_30default_config_static_selectorELNS0_4arch9wavefront6targetE0EEEvT1_ ; -- Begin function _ZN7rocprim17ROCPRIM_400000_NS6detail17trampoline_kernelINS0_14default_configENS1_25partition_config_selectorILNS1_17partition_subalgoE6EiNS0_10empty_typeEbEEZZNS1_14partition_implILS5_6ELb0ES3_mN6thrust23THRUST_200600_302600_NS6detail15normal_iteratorINSA_10device_ptrIiEEEEPS6_SG_NS0_5tupleIJSF_S6_EEENSH_IJSG_SG_EEES6_PlJNSB_9not_fun_tI7is_evenIiEEEEEE10hipError_tPvRmT3_T4_T5_T6_T7_T9_mT8_P12ihipStream_tbDpT10_ENKUlT_T0_E_clISt17integral_constantIbLb0EES17_IbLb1EEEEDaS13_S14_EUlS13_E_NS1_11comp_targetILNS1_3genE2ELNS1_11target_archE906ELNS1_3gpuE6ELNS1_3repE0EEENS1_30default_config_static_selectorELNS0_4arch9wavefront6targetE0EEEvT1_
	.globl	_ZN7rocprim17ROCPRIM_400000_NS6detail17trampoline_kernelINS0_14default_configENS1_25partition_config_selectorILNS1_17partition_subalgoE6EiNS0_10empty_typeEbEEZZNS1_14partition_implILS5_6ELb0ES3_mN6thrust23THRUST_200600_302600_NS6detail15normal_iteratorINSA_10device_ptrIiEEEEPS6_SG_NS0_5tupleIJSF_S6_EEENSH_IJSG_SG_EEES6_PlJNSB_9not_fun_tI7is_evenIiEEEEEE10hipError_tPvRmT3_T4_T5_T6_T7_T9_mT8_P12ihipStream_tbDpT10_ENKUlT_T0_E_clISt17integral_constantIbLb0EES17_IbLb1EEEEDaS13_S14_EUlS13_E_NS1_11comp_targetILNS1_3genE2ELNS1_11target_archE906ELNS1_3gpuE6ELNS1_3repE0EEENS1_30default_config_static_selectorELNS0_4arch9wavefront6targetE0EEEvT1_
	.p2align	8
	.type	_ZN7rocprim17ROCPRIM_400000_NS6detail17trampoline_kernelINS0_14default_configENS1_25partition_config_selectorILNS1_17partition_subalgoE6EiNS0_10empty_typeEbEEZZNS1_14partition_implILS5_6ELb0ES3_mN6thrust23THRUST_200600_302600_NS6detail15normal_iteratorINSA_10device_ptrIiEEEEPS6_SG_NS0_5tupleIJSF_S6_EEENSH_IJSG_SG_EEES6_PlJNSB_9not_fun_tI7is_evenIiEEEEEE10hipError_tPvRmT3_T4_T5_T6_T7_T9_mT8_P12ihipStream_tbDpT10_ENKUlT_T0_E_clISt17integral_constantIbLb0EES17_IbLb1EEEEDaS13_S14_EUlS13_E_NS1_11comp_targetILNS1_3genE2ELNS1_11target_archE906ELNS1_3gpuE6ELNS1_3repE0EEENS1_30default_config_static_selectorELNS0_4arch9wavefront6targetE0EEEvT1_,@function
_ZN7rocprim17ROCPRIM_400000_NS6detail17trampoline_kernelINS0_14default_configENS1_25partition_config_selectorILNS1_17partition_subalgoE6EiNS0_10empty_typeEbEEZZNS1_14partition_implILS5_6ELb0ES3_mN6thrust23THRUST_200600_302600_NS6detail15normal_iteratorINSA_10device_ptrIiEEEEPS6_SG_NS0_5tupleIJSF_S6_EEENSH_IJSG_SG_EEES6_PlJNSB_9not_fun_tI7is_evenIiEEEEEE10hipError_tPvRmT3_T4_T5_T6_T7_T9_mT8_P12ihipStream_tbDpT10_ENKUlT_T0_E_clISt17integral_constantIbLb0EES17_IbLb1EEEEDaS13_S14_EUlS13_E_NS1_11comp_targetILNS1_3genE2ELNS1_11target_archE906ELNS1_3gpuE6ELNS1_3repE0EEENS1_30default_config_static_selectorELNS0_4arch9wavefront6targetE0EEEvT1_: ; @_ZN7rocprim17ROCPRIM_400000_NS6detail17trampoline_kernelINS0_14default_configENS1_25partition_config_selectorILNS1_17partition_subalgoE6EiNS0_10empty_typeEbEEZZNS1_14partition_implILS5_6ELb0ES3_mN6thrust23THRUST_200600_302600_NS6detail15normal_iteratorINSA_10device_ptrIiEEEEPS6_SG_NS0_5tupleIJSF_S6_EEENSH_IJSG_SG_EEES6_PlJNSB_9not_fun_tI7is_evenIiEEEEEE10hipError_tPvRmT3_T4_T5_T6_T7_T9_mT8_P12ihipStream_tbDpT10_ENKUlT_T0_E_clISt17integral_constantIbLb0EES17_IbLb1EEEEDaS13_S14_EUlS13_E_NS1_11comp_targetILNS1_3genE2ELNS1_11target_archE906ELNS1_3gpuE6ELNS1_3repE0EEENS1_30default_config_static_selectorELNS0_4arch9wavefront6targetE0EEEvT1_
; %bb.0:
	.section	.rodata,"a",@progbits
	.p2align	6, 0x0
	.amdhsa_kernel _ZN7rocprim17ROCPRIM_400000_NS6detail17trampoline_kernelINS0_14default_configENS1_25partition_config_selectorILNS1_17partition_subalgoE6EiNS0_10empty_typeEbEEZZNS1_14partition_implILS5_6ELb0ES3_mN6thrust23THRUST_200600_302600_NS6detail15normal_iteratorINSA_10device_ptrIiEEEEPS6_SG_NS0_5tupleIJSF_S6_EEENSH_IJSG_SG_EEES6_PlJNSB_9not_fun_tI7is_evenIiEEEEEE10hipError_tPvRmT3_T4_T5_T6_T7_T9_mT8_P12ihipStream_tbDpT10_ENKUlT_T0_E_clISt17integral_constantIbLb0EES17_IbLb1EEEEDaS13_S14_EUlS13_E_NS1_11comp_targetILNS1_3genE2ELNS1_11target_archE906ELNS1_3gpuE6ELNS1_3repE0EEENS1_30default_config_static_selectorELNS0_4arch9wavefront6targetE0EEEvT1_
		.amdhsa_group_segment_fixed_size 0
		.amdhsa_private_segment_fixed_size 0
		.amdhsa_kernarg_size 128
		.amdhsa_user_sgpr_count 2
		.amdhsa_user_sgpr_dispatch_ptr 0
		.amdhsa_user_sgpr_queue_ptr 0
		.amdhsa_user_sgpr_kernarg_segment_ptr 1
		.amdhsa_user_sgpr_dispatch_id 0
		.amdhsa_user_sgpr_private_segment_size 0
		.amdhsa_wavefront_size32 1
		.amdhsa_uses_dynamic_stack 0
		.amdhsa_enable_private_segment 0
		.amdhsa_system_sgpr_workgroup_id_x 1
		.amdhsa_system_sgpr_workgroup_id_y 0
		.amdhsa_system_sgpr_workgroup_id_z 0
		.amdhsa_system_sgpr_workgroup_info 0
		.amdhsa_system_vgpr_workitem_id 0
		.amdhsa_next_free_vgpr 1
		.amdhsa_next_free_sgpr 1
		.amdhsa_reserve_vcc 0
		.amdhsa_float_round_mode_32 0
		.amdhsa_float_round_mode_16_64 0
		.amdhsa_float_denorm_mode_32 3
		.amdhsa_float_denorm_mode_16_64 3
		.amdhsa_fp16_overflow 0
		.amdhsa_workgroup_processor_mode 1
		.amdhsa_memory_ordered 1
		.amdhsa_forward_progress 1
		.amdhsa_inst_pref_size 0
		.amdhsa_round_robin_scheduling 0
		.amdhsa_exception_fp_ieee_invalid_op 0
		.amdhsa_exception_fp_denorm_src 0
		.amdhsa_exception_fp_ieee_div_zero 0
		.amdhsa_exception_fp_ieee_overflow 0
		.amdhsa_exception_fp_ieee_underflow 0
		.amdhsa_exception_fp_ieee_inexact 0
		.amdhsa_exception_int_div_zero 0
	.end_amdhsa_kernel
	.section	.text._ZN7rocprim17ROCPRIM_400000_NS6detail17trampoline_kernelINS0_14default_configENS1_25partition_config_selectorILNS1_17partition_subalgoE6EiNS0_10empty_typeEbEEZZNS1_14partition_implILS5_6ELb0ES3_mN6thrust23THRUST_200600_302600_NS6detail15normal_iteratorINSA_10device_ptrIiEEEEPS6_SG_NS0_5tupleIJSF_S6_EEENSH_IJSG_SG_EEES6_PlJNSB_9not_fun_tI7is_evenIiEEEEEE10hipError_tPvRmT3_T4_T5_T6_T7_T9_mT8_P12ihipStream_tbDpT10_ENKUlT_T0_E_clISt17integral_constantIbLb0EES17_IbLb1EEEEDaS13_S14_EUlS13_E_NS1_11comp_targetILNS1_3genE2ELNS1_11target_archE906ELNS1_3gpuE6ELNS1_3repE0EEENS1_30default_config_static_selectorELNS0_4arch9wavefront6targetE0EEEvT1_,"axG",@progbits,_ZN7rocprim17ROCPRIM_400000_NS6detail17trampoline_kernelINS0_14default_configENS1_25partition_config_selectorILNS1_17partition_subalgoE6EiNS0_10empty_typeEbEEZZNS1_14partition_implILS5_6ELb0ES3_mN6thrust23THRUST_200600_302600_NS6detail15normal_iteratorINSA_10device_ptrIiEEEEPS6_SG_NS0_5tupleIJSF_S6_EEENSH_IJSG_SG_EEES6_PlJNSB_9not_fun_tI7is_evenIiEEEEEE10hipError_tPvRmT3_T4_T5_T6_T7_T9_mT8_P12ihipStream_tbDpT10_ENKUlT_T0_E_clISt17integral_constantIbLb0EES17_IbLb1EEEEDaS13_S14_EUlS13_E_NS1_11comp_targetILNS1_3genE2ELNS1_11target_archE906ELNS1_3gpuE6ELNS1_3repE0EEENS1_30default_config_static_selectorELNS0_4arch9wavefront6targetE0EEEvT1_,comdat
.Lfunc_end753:
	.size	_ZN7rocprim17ROCPRIM_400000_NS6detail17trampoline_kernelINS0_14default_configENS1_25partition_config_selectorILNS1_17partition_subalgoE6EiNS0_10empty_typeEbEEZZNS1_14partition_implILS5_6ELb0ES3_mN6thrust23THRUST_200600_302600_NS6detail15normal_iteratorINSA_10device_ptrIiEEEEPS6_SG_NS0_5tupleIJSF_S6_EEENSH_IJSG_SG_EEES6_PlJNSB_9not_fun_tI7is_evenIiEEEEEE10hipError_tPvRmT3_T4_T5_T6_T7_T9_mT8_P12ihipStream_tbDpT10_ENKUlT_T0_E_clISt17integral_constantIbLb0EES17_IbLb1EEEEDaS13_S14_EUlS13_E_NS1_11comp_targetILNS1_3genE2ELNS1_11target_archE906ELNS1_3gpuE6ELNS1_3repE0EEENS1_30default_config_static_selectorELNS0_4arch9wavefront6targetE0EEEvT1_, .Lfunc_end753-_ZN7rocprim17ROCPRIM_400000_NS6detail17trampoline_kernelINS0_14default_configENS1_25partition_config_selectorILNS1_17partition_subalgoE6EiNS0_10empty_typeEbEEZZNS1_14partition_implILS5_6ELb0ES3_mN6thrust23THRUST_200600_302600_NS6detail15normal_iteratorINSA_10device_ptrIiEEEEPS6_SG_NS0_5tupleIJSF_S6_EEENSH_IJSG_SG_EEES6_PlJNSB_9not_fun_tI7is_evenIiEEEEEE10hipError_tPvRmT3_T4_T5_T6_T7_T9_mT8_P12ihipStream_tbDpT10_ENKUlT_T0_E_clISt17integral_constantIbLb0EES17_IbLb1EEEEDaS13_S14_EUlS13_E_NS1_11comp_targetILNS1_3genE2ELNS1_11target_archE906ELNS1_3gpuE6ELNS1_3repE0EEENS1_30default_config_static_selectorELNS0_4arch9wavefront6targetE0EEEvT1_
                                        ; -- End function
	.set _ZN7rocprim17ROCPRIM_400000_NS6detail17trampoline_kernelINS0_14default_configENS1_25partition_config_selectorILNS1_17partition_subalgoE6EiNS0_10empty_typeEbEEZZNS1_14partition_implILS5_6ELb0ES3_mN6thrust23THRUST_200600_302600_NS6detail15normal_iteratorINSA_10device_ptrIiEEEEPS6_SG_NS0_5tupleIJSF_S6_EEENSH_IJSG_SG_EEES6_PlJNSB_9not_fun_tI7is_evenIiEEEEEE10hipError_tPvRmT3_T4_T5_T6_T7_T9_mT8_P12ihipStream_tbDpT10_ENKUlT_T0_E_clISt17integral_constantIbLb0EES17_IbLb1EEEEDaS13_S14_EUlS13_E_NS1_11comp_targetILNS1_3genE2ELNS1_11target_archE906ELNS1_3gpuE6ELNS1_3repE0EEENS1_30default_config_static_selectorELNS0_4arch9wavefront6targetE0EEEvT1_.num_vgpr, 0
	.set _ZN7rocprim17ROCPRIM_400000_NS6detail17trampoline_kernelINS0_14default_configENS1_25partition_config_selectorILNS1_17partition_subalgoE6EiNS0_10empty_typeEbEEZZNS1_14partition_implILS5_6ELb0ES3_mN6thrust23THRUST_200600_302600_NS6detail15normal_iteratorINSA_10device_ptrIiEEEEPS6_SG_NS0_5tupleIJSF_S6_EEENSH_IJSG_SG_EEES6_PlJNSB_9not_fun_tI7is_evenIiEEEEEE10hipError_tPvRmT3_T4_T5_T6_T7_T9_mT8_P12ihipStream_tbDpT10_ENKUlT_T0_E_clISt17integral_constantIbLb0EES17_IbLb1EEEEDaS13_S14_EUlS13_E_NS1_11comp_targetILNS1_3genE2ELNS1_11target_archE906ELNS1_3gpuE6ELNS1_3repE0EEENS1_30default_config_static_selectorELNS0_4arch9wavefront6targetE0EEEvT1_.num_agpr, 0
	.set _ZN7rocprim17ROCPRIM_400000_NS6detail17trampoline_kernelINS0_14default_configENS1_25partition_config_selectorILNS1_17partition_subalgoE6EiNS0_10empty_typeEbEEZZNS1_14partition_implILS5_6ELb0ES3_mN6thrust23THRUST_200600_302600_NS6detail15normal_iteratorINSA_10device_ptrIiEEEEPS6_SG_NS0_5tupleIJSF_S6_EEENSH_IJSG_SG_EEES6_PlJNSB_9not_fun_tI7is_evenIiEEEEEE10hipError_tPvRmT3_T4_T5_T6_T7_T9_mT8_P12ihipStream_tbDpT10_ENKUlT_T0_E_clISt17integral_constantIbLb0EES17_IbLb1EEEEDaS13_S14_EUlS13_E_NS1_11comp_targetILNS1_3genE2ELNS1_11target_archE906ELNS1_3gpuE6ELNS1_3repE0EEENS1_30default_config_static_selectorELNS0_4arch9wavefront6targetE0EEEvT1_.numbered_sgpr, 0
	.set _ZN7rocprim17ROCPRIM_400000_NS6detail17trampoline_kernelINS0_14default_configENS1_25partition_config_selectorILNS1_17partition_subalgoE6EiNS0_10empty_typeEbEEZZNS1_14partition_implILS5_6ELb0ES3_mN6thrust23THRUST_200600_302600_NS6detail15normal_iteratorINSA_10device_ptrIiEEEEPS6_SG_NS0_5tupleIJSF_S6_EEENSH_IJSG_SG_EEES6_PlJNSB_9not_fun_tI7is_evenIiEEEEEE10hipError_tPvRmT3_T4_T5_T6_T7_T9_mT8_P12ihipStream_tbDpT10_ENKUlT_T0_E_clISt17integral_constantIbLb0EES17_IbLb1EEEEDaS13_S14_EUlS13_E_NS1_11comp_targetILNS1_3genE2ELNS1_11target_archE906ELNS1_3gpuE6ELNS1_3repE0EEENS1_30default_config_static_selectorELNS0_4arch9wavefront6targetE0EEEvT1_.num_named_barrier, 0
	.set _ZN7rocprim17ROCPRIM_400000_NS6detail17trampoline_kernelINS0_14default_configENS1_25partition_config_selectorILNS1_17partition_subalgoE6EiNS0_10empty_typeEbEEZZNS1_14partition_implILS5_6ELb0ES3_mN6thrust23THRUST_200600_302600_NS6detail15normal_iteratorINSA_10device_ptrIiEEEEPS6_SG_NS0_5tupleIJSF_S6_EEENSH_IJSG_SG_EEES6_PlJNSB_9not_fun_tI7is_evenIiEEEEEE10hipError_tPvRmT3_T4_T5_T6_T7_T9_mT8_P12ihipStream_tbDpT10_ENKUlT_T0_E_clISt17integral_constantIbLb0EES17_IbLb1EEEEDaS13_S14_EUlS13_E_NS1_11comp_targetILNS1_3genE2ELNS1_11target_archE906ELNS1_3gpuE6ELNS1_3repE0EEENS1_30default_config_static_selectorELNS0_4arch9wavefront6targetE0EEEvT1_.private_seg_size, 0
	.set _ZN7rocprim17ROCPRIM_400000_NS6detail17trampoline_kernelINS0_14default_configENS1_25partition_config_selectorILNS1_17partition_subalgoE6EiNS0_10empty_typeEbEEZZNS1_14partition_implILS5_6ELb0ES3_mN6thrust23THRUST_200600_302600_NS6detail15normal_iteratorINSA_10device_ptrIiEEEEPS6_SG_NS0_5tupleIJSF_S6_EEENSH_IJSG_SG_EEES6_PlJNSB_9not_fun_tI7is_evenIiEEEEEE10hipError_tPvRmT3_T4_T5_T6_T7_T9_mT8_P12ihipStream_tbDpT10_ENKUlT_T0_E_clISt17integral_constantIbLb0EES17_IbLb1EEEEDaS13_S14_EUlS13_E_NS1_11comp_targetILNS1_3genE2ELNS1_11target_archE906ELNS1_3gpuE6ELNS1_3repE0EEENS1_30default_config_static_selectorELNS0_4arch9wavefront6targetE0EEEvT1_.uses_vcc, 0
	.set _ZN7rocprim17ROCPRIM_400000_NS6detail17trampoline_kernelINS0_14default_configENS1_25partition_config_selectorILNS1_17partition_subalgoE6EiNS0_10empty_typeEbEEZZNS1_14partition_implILS5_6ELb0ES3_mN6thrust23THRUST_200600_302600_NS6detail15normal_iteratorINSA_10device_ptrIiEEEEPS6_SG_NS0_5tupleIJSF_S6_EEENSH_IJSG_SG_EEES6_PlJNSB_9not_fun_tI7is_evenIiEEEEEE10hipError_tPvRmT3_T4_T5_T6_T7_T9_mT8_P12ihipStream_tbDpT10_ENKUlT_T0_E_clISt17integral_constantIbLb0EES17_IbLb1EEEEDaS13_S14_EUlS13_E_NS1_11comp_targetILNS1_3genE2ELNS1_11target_archE906ELNS1_3gpuE6ELNS1_3repE0EEENS1_30default_config_static_selectorELNS0_4arch9wavefront6targetE0EEEvT1_.uses_flat_scratch, 0
	.set _ZN7rocprim17ROCPRIM_400000_NS6detail17trampoline_kernelINS0_14default_configENS1_25partition_config_selectorILNS1_17partition_subalgoE6EiNS0_10empty_typeEbEEZZNS1_14partition_implILS5_6ELb0ES3_mN6thrust23THRUST_200600_302600_NS6detail15normal_iteratorINSA_10device_ptrIiEEEEPS6_SG_NS0_5tupleIJSF_S6_EEENSH_IJSG_SG_EEES6_PlJNSB_9not_fun_tI7is_evenIiEEEEEE10hipError_tPvRmT3_T4_T5_T6_T7_T9_mT8_P12ihipStream_tbDpT10_ENKUlT_T0_E_clISt17integral_constantIbLb0EES17_IbLb1EEEEDaS13_S14_EUlS13_E_NS1_11comp_targetILNS1_3genE2ELNS1_11target_archE906ELNS1_3gpuE6ELNS1_3repE0EEENS1_30default_config_static_selectorELNS0_4arch9wavefront6targetE0EEEvT1_.has_dyn_sized_stack, 0
	.set _ZN7rocprim17ROCPRIM_400000_NS6detail17trampoline_kernelINS0_14default_configENS1_25partition_config_selectorILNS1_17partition_subalgoE6EiNS0_10empty_typeEbEEZZNS1_14partition_implILS5_6ELb0ES3_mN6thrust23THRUST_200600_302600_NS6detail15normal_iteratorINSA_10device_ptrIiEEEEPS6_SG_NS0_5tupleIJSF_S6_EEENSH_IJSG_SG_EEES6_PlJNSB_9not_fun_tI7is_evenIiEEEEEE10hipError_tPvRmT3_T4_T5_T6_T7_T9_mT8_P12ihipStream_tbDpT10_ENKUlT_T0_E_clISt17integral_constantIbLb0EES17_IbLb1EEEEDaS13_S14_EUlS13_E_NS1_11comp_targetILNS1_3genE2ELNS1_11target_archE906ELNS1_3gpuE6ELNS1_3repE0EEENS1_30default_config_static_selectorELNS0_4arch9wavefront6targetE0EEEvT1_.has_recursion, 0
	.set _ZN7rocprim17ROCPRIM_400000_NS6detail17trampoline_kernelINS0_14default_configENS1_25partition_config_selectorILNS1_17partition_subalgoE6EiNS0_10empty_typeEbEEZZNS1_14partition_implILS5_6ELb0ES3_mN6thrust23THRUST_200600_302600_NS6detail15normal_iteratorINSA_10device_ptrIiEEEEPS6_SG_NS0_5tupleIJSF_S6_EEENSH_IJSG_SG_EEES6_PlJNSB_9not_fun_tI7is_evenIiEEEEEE10hipError_tPvRmT3_T4_T5_T6_T7_T9_mT8_P12ihipStream_tbDpT10_ENKUlT_T0_E_clISt17integral_constantIbLb0EES17_IbLb1EEEEDaS13_S14_EUlS13_E_NS1_11comp_targetILNS1_3genE2ELNS1_11target_archE906ELNS1_3gpuE6ELNS1_3repE0EEENS1_30default_config_static_selectorELNS0_4arch9wavefront6targetE0EEEvT1_.has_indirect_call, 0
	.section	.AMDGPU.csdata,"",@progbits
; Kernel info:
; codeLenInByte = 0
; TotalNumSgprs: 0
; NumVgprs: 0
; ScratchSize: 0
; MemoryBound: 0
; FloatMode: 240
; IeeeMode: 1
; LDSByteSize: 0 bytes/workgroup (compile time only)
; SGPRBlocks: 0
; VGPRBlocks: 0
; NumSGPRsForWavesPerEU: 1
; NumVGPRsForWavesPerEU: 1
; Occupancy: 16
; WaveLimiterHint : 0
; COMPUTE_PGM_RSRC2:SCRATCH_EN: 0
; COMPUTE_PGM_RSRC2:USER_SGPR: 2
; COMPUTE_PGM_RSRC2:TRAP_HANDLER: 0
; COMPUTE_PGM_RSRC2:TGID_X_EN: 1
; COMPUTE_PGM_RSRC2:TGID_Y_EN: 0
; COMPUTE_PGM_RSRC2:TGID_Z_EN: 0
; COMPUTE_PGM_RSRC2:TIDIG_COMP_CNT: 0
	.section	.text._ZN7rocprim17ROCPRIM_400000_NS6detail17trampoline_kernelINS0_14default_configENS1_25partition_config_selectorILNS1_17partition_subalgoE6EiNS0_10empty_typeEbEEZZNS1_14partition_implILS5_6ELb0ES3_mN6thrust23THRUST_200600_302600_NS6detail15normal_iteratorINSA_10device_ptrIiEEEEPS6_SG_NS0_5tupleIJSF_S6_EEENSH_IJSG_SG_EEES6_PlJNSB_9not_fun_tI7is_evenIiEEEEEE10hipError_tPvRmT3_T4_T5_T6_T7_T9_mT8_P12ihipStream_tbDpT10_ENKUlT_T0_E_clISt17integral_constantIbLb0EES17_IbLb1EEEEDaS13_S14_EUlS13_E_NS1_11comp_targetILNS1_3genE10ELNS1_11target_archE1200ELNS1_3gpuE4ELNS1_3repE0EEENS1_30default_config_static_selectorELNS0_4arch9wavefront6targetE0EEEvT1_,"axG",@progbits,_ZN7rocprim17ROCPRIM_400000_NS6detail17trampoline_kernelINS0_14default_configENS1_25partition_config_selectorILNS1_17partition_subalgoE6EiNS0_10empty_typeEbEEZZNS1_14partition_implILS5_6ELb0ES3_mN6thrust23THRUST_200600_302600_NS6detail15normal_iteratorINSA_10device_ptrIiEEEEPS6_SG_NS0_5tupleIJSF_S6_EEENSH_IJSG_SG_EEES6_PlJNSB_9not_fun_tI7is_evenIiEEEEEE10hipError_tPvRmT3_T4_T5_T6_T7_T9_mT8_P12ihipStream_tbDpT10_ENKUlT_T0_E_clISt17integral_constantIbLb0EES17_IbLb1EEEEDaS13_S14_EUlS13_E_NS1_11comp_targetILNS1_3genE10ELNS1_11target_archE1200ELNS1_3gpuE4ELNS1_3repE0EEENS1_30default_config_static_selectorELNS0_4arch9wavefront6targetE0EEEvT1_,comdat
	.protected	_ZN7rocprim17ROCPRIM_400000_NS6detail17trampoline_kernelINS0_14default_configENS1_25partition_config_selectorILNS1_17partition_subalgoE6EiNS0_10empty_typeEbEEZZNS1_14partition_implILS5_6ELb0ES3_mN6thrust23THRUST_200600_302600_NS6detail15normal_iteratorINSA_10device_ptrIiEEEEPS6_SG_NS0_5tupleIJSF_S6_EEENSH_IJSG_SG_EEES6_PlJNSB_9not_fun_tI7is_evenIiEEEEEE10hipError_tPvRmT3_T4_T5_T6_T7_T9_mT8_P12ihipStream_tbDpT10_ENKUlT_T0_E_clISt17integral_constantIbLb0EES17_IbLb1EEEEDaS13_S14_EUlS13_E_NS1_11comp_targetILNS1_3genE10ELNS1_11target_archE1200ELNS1_3gpuE4ELNS1_3repE0EEENS1_30default_config_static_selectorELNS0_4arch9wavefront6targetE0EEEvT1_ ; -- Begin function _ZN7rocprim17ROCPRIM_400000_NS6detail17trampoline_kernelINS0_14default_configENS1_25partition_config_selectorILNS1_17partition_subalgoE6EiNS0_10empty_typeEbEEZZNS1_14partition_implILS5_6ELb0ES3_mN6thrust23THRUST_200600_302600_NS6detail15normal_iteratorINSA_10device_ptrIiEEEEPS6_SG_NS0_5tupleIJSF_S6_EEENSH_IJSG_SG_EEES6_PlJNSB_9not_fun_tI7is_evenIiEEEEEE10hipError_tPvRmT3_T4_T5_T6_T7_T9_mT8_P12ihipStream_tbDpT10_ENKUlT_T0_E_clISt17integral_constantIbLb0EES17_IbLb1EEEEDaS13_S14_EUlS13_E_NS1_11comp_targetILNS1_3genE10ELNS1_11target_archE1200ELNS1_3gpuE4ELNS1_3repE0EEENS1_30default_config_static_selectorELNS0_4arch9wavefront6targetE0EEEvT1_
	.globl	_ZN7rocprim17ROCPRIM_400000_NS6detail17trampoline_kernelINS0_14default_configENS1_25partition_config_selectorILNS1_17partition_subalgoE6EiNS0_10empty_typeEbEEZZNS1_14partition_implILS5_6ELb0ES3_mN6thrust23THRUST_200600_302600_NS6detail15normal_iteratorINSA_10device_ptrIiEEEEPS6_SG_NS0_5tupleIJSF_S6_EEENSH_IJSG_SG_EEES6_PlJNSB_9not_fun_tI7is_evenIiEEEEEE10hipError_tPvRmT3_T4_T5_T6_T7_T9_mT8_P12ihipStream_tbDpT10_ENKUlT_T0_E_clISt17integral_constantIbLb0EES17_IbLb1EEEEDaS13_S14_EUlS13_E_NS1_11comp_targetILNS1_3genE10ELNS1_11target_archE1200ELNS1_3gpuE4ELNS1_3repE0EEENS1_30default_config_static_selectorELNS0_4arch9wavefront6targetE0EEEvT1_
	.p2align	8
	.type	_ZN7rocprim17ROCPRIM_400000_NS6detail17trampoline_kernelINS0_14default_configENS1_25partition_config_selectorILNS1_17partition_subalgoE6EiNS0_10empty_typeEbEEZZNS1_14partition_implILS5_6ELb0ES3_mN6thrust23THRUST_200600_302600_NS6detail15normal_iteratorINSA_10device_ptrIiEEEEPS6_SG_NS0_5tupleIJSF_S6_EEENSH_IJSG_SG_EEES6_PlJNSB_9not_fun_tI7is_evenIiEEEEEE10hipError_tPvRmT3_T4_T5_T6_T7_T9_mT8_P12ihipStream_tbDpT10_ENKUlT_T0_E_clISt17integral_constantIbLb0EES17_IbLb1EEEEDaS13_S14_EUlS13_E_NS1_11comp_targetILNS1_3genE10ELNS1_11target_archE1200ELNS1_3gpuE4ELNS1_3repE0EEENS1_30default_config_static_selectorELNS0_4arch9wavefront6targetE0EEEvT1_,@function
_ZN7rocprim17ROCPRIM_400000_NS6detail17trampoline_kernelINS0_14default_configENS1_25partition_config_selectorILNS1_17partition_subalgoE6EiNS0_10empty_typeEbEEZZNS1_14partition_implILS5_6ELb0ES3_mN6thrust23THRUST_200600_302600_NS6detail15normal_iteratorINSA_10device_ptrIiEEEEPS6_SG_NS0_5tupleIJSF_S6_EEENSH_IJSG_SG_EEES6_PlJNSB_9not_fun_tI7is_evenIiEEEEEE10hipError_tPvRmT3_T4_T5_T6_T7_T9_mT8_P12ihipStream_tbDpT10_ENKUlT_T0_E_clISt17integral_constantIbLb0EES17_IbLb1EEEEDaS13_S14_EUlS13_E_NS1_11comp_targetILNS1_3genE10ELNS1_11target_archE1200ELNS1_3gpuE4ELNS1_3repE0EEENS1_30default_config_static_selectorELNS0_4arch9wavefront6targetE0EEEvT1_: ; @_ZN7rocprim17ROCPRIM_400000_NS6detail17trampoline_kernelINS0_14default_configENS1_25partition_config_selectorILNS1_17partition_subalgoE6EiNS0_10empty_typeEbEEZZNS1_14partition_implILS5_6ELb0ES3_mN6thrust23THRUST_200600_302600_NS6detail15normal_iteratorINSA_10device_ptrIiEEEEPS6_SG_NS0_5tupleIJSF_S6_EEENSH_IJSG_SG_EEES6_PlJNSB_9not_fun_tI7is_evenIiEEEEEE10hipError_tPvRmT3_T4_T5_T6_T7_T9_mT8_P12ihipStream_tbDpT10_ENKUlT_T0_E_clISt17integral_constantIbLb0EES17_IbLb1EEEEDaS13_S14_EUlS13_E_NS1_11comp_targetILNS1_3genE10ELNS1_11target_archE1200ELNS1_3gpuE4ELNS1_3repE0EEENS1_30default_config_static_selectorELNS0_4arch9wavefront6targetE0EEEvT1_
; %bb.0:
	s_clause 0x3
	s_load_b64 s[12:13], s[0:1], 0x28
	s_load_b128 s[8:11], s[0:1], 0x40
	s_load_b64 s[16:17], s[0:1], 0x50
	s_load_b64 s[14:15], s[0:1], 0x60
	v_cmp_eq_u32_e64 s2, 0, v0
	s_and_saveexec_b32 s3, s2
	s_cbranch_execz .LBB754_4
; %bb.1:
	s_mov_b32 s5, exec_lo
	s_mov_b32 s4, exec_lo
	v_mbcnt_lo_u32_b32 v1, s5, 0
                                        ; implicit-def: $vgpr2
	s_delay_alu instid0(VALU_DEP_1)
	v_cmpx_eq_u32_e32 0, v1
	s_cbranch_execz .LBB754_3
; %bb.2:
	s_load_b64 s[6:7], s[0:1], 0x70
	s_bcnt1_i32_b32 s5, s5
	s_wait_alu 0xfffe
	v_dual_mov_b32 v2, 0 :: v_dual_mov_b32 v3, s5
	s_wait_kmcnt 0x0
	global_atomic_add_u32 v2, v2, v3, s[6:7] th:TH_ATOMIC_RETURN scope:SCOPE_DEV
.LBB754_3:
	s_or_b32 exec_lo, exec_lo, s4
	s_wait_loadcnt 0x0
	v_readfirstlane_b32 s4, v2
	s_wait_alu 0xf1ff
	s_delay_alu instid0(VALU_DEP_1)
	v_dual_mov_b32 v2, 0 :: v_dual_add_nc_u32 v1, s4, v1
	ds_store_b32 v2, v1
.LBB754_4:
	s_or_b32 exec_lo, exec_lo, s3
	v_mov_b32_e32 v2, 0
	s_clause 0x1
	s_load_b128 s[4:7], s[0:1], 0x8
	s_load_b32 s0, s[0:1], 0x68
	s_wait_dscnt 0x0
	s_barrier_signal -1
	s_barrier_wait -1
	global_inv scope:SCOPE_SE
	ds_load_b32 v1, v2
	s_wait_loadcnt_dscnt 0x0
	s_barrier_signal -1
	s_barrier_wait -1
	global_inv scope:SCOPE_SE
	s_wait_kmcnt 0x0
	global_load_b64 v[9:10], v2, s[10:11]
	s_mov_b32 s1, 0
	v_lshlrev_b32_e32 v8, 2, v0
	s_lshl_b64 s[18:19], s[6:7], 2
	s_add_co_i32 s3, s0, -1
	s_mulk_i32 s0, 0xa80
	s_delay_alu instid0(SALU_CYCLE_1)
	s_add_co_i32 s11, s0, s6
	s_add_nc_u64 s[6:7], s[6:7], s[0:1]
	v_readfirstlane_b32 s10, v1
	v_mul_lo_u32 v1, 0xa80, v1
	v_cmp_le_u64_e64 s1, s[16:17], s[6:7]
	s_sub_co_i32 s0, s16, s11
	s_add_nc_u64 s[16:17], s[4:5], s[18:19]
	s_cmp_eq_u32 s10, s3
	s_cselect_b32 s6, -1, 0
	v_lshlrev_b64_e32 v[1:2], 2, v[1:2]
	s_wait_alu 0xfffe
	s_and_b32 s1, s1, s6
	s_delay_alu instid0(SALU_CYCLE_1) | instskip(SKIP_1) | instid1(VALU_DEP_1)
	s_xor_b32 s5, s1, -1
	s_mov_b32 s1, -1
	v_add_co_u32 v11, vcc_lo, s16, v1
	s_delay_alu instid0(VALU_DEP_1)
	v_add_co_ci_u32_e64 v12, null, s17, v2, vcc_lo
	s_wait_alu 0xfffe
	s_and_b32 vcc_lo, exec_lo, s5
	s_wait_alu 0xfffe
	s_cbranch_vccz .LBB754_6
; %bb.5:
	v_add_co_u32 v1, vcc_lo, v11, v8
	s_wait_alu 0xfffd
	v_add_co_ci_u32_e64 v2, null, 0, v12, vcc_lo
	s_mov_b32 s1, 0
	s_clause 0x6
	flat_load_b32 v3, v[1:2]
	flat_load_b32 v4, v[1:2] offset:1536
	flat_load_b32 v5, v[1:2] offset:3072
	;; [unrolled: 1-line block ×6, first 2 shown]
	s_wait_loadcnt_dscnt 0x505
	ds_store_2addr_stride64_b32 v8, v3, v4 offset1:6
	s_wait_loadcnt_dscnt 0x304
	ds_store_2addr_stride64_b32 v8, v5, v6 offset0:12 offset1:18
	s_wait_loadcnt_dscnt 0x103
	ds_store_2addr_stride64_b32 v8, v7, v13 offset0:24 offset1:30
	s_wait_loadcnt_dscnt 0x3
	ds_store_b32 v8, v1 offset:9216
	s_wait_dscnt 0x0
	s_barrier_signal -1
	s_barrier_wait -1
.LBB754_6:
	s_and_not1_b32 vcc_lo, exec_lo, s1
	s_addk_co_i32 s0, 0xa80
	s_wait_alu 0xfffe
	s_cbranch_vccnz .LBB754_22
; %bb.7:
	v_mov_b32_e32 v1, 0
	s_mov_b32 s1, exec_lo
	s_delay_alu instid0(VALU_DEP_1)
	v_dual_mov_b32 v2, v1 :: v_dual_mov_b32 v3, v1
	v_dual_mov_b32 v4, v1 :: v_dual_mov_b32 v5, v1
	;; [unrolled: 1-line block ×3, first 2 shown]
	v_cmpx_gt_u32_e64 s0, v0
	s_cbranch_execz .LBB754_9
; %bb.8:
	v_add_co_u32 v2, vcc_lo, v11, v8
	s_wait_alu 0xfffd
	v_add_co_ci_u32_e64 v3, null, 0, v12, vcc_lo
	v_dual_mov_b32 v14, v1 :: v_dual_mov_b32 v15, v1
	v_dual_mov_b32 v16, v1 :: v_dual_mov_b32 v17, v1
	flat_load_b32 v13, v[2:3]
	v_dual_mov_b32 v18, v1 :: v_dual_mov_b32 v19, v1
	s_wait_loadcnt_dscnt 0x0
	v_dual_mov_b32 v1, v13 :: v_dual_mov_b32 v2, v14
	v_dual_mov_b32 v3, v15 :: v_dual_mov_b32 v4, v16
	s_delay_alu instid0(VALU_DEP_3)
	v_dual_mov_b32 v5, v17 :: v_dual_mov_b32 v6, v18
	v_mov_b32_e32 v7, v19
.LBB754_9:
	s_or_b32 exec_lo, exec_lo, s1
	v_add_nc_u32_e32 v13, 0x180, v0
	s_mov_b32 s1, exec_lo
	s_delay_alu instid0(VALU_DEP_1)
	v_cmpx_gt_u32_e64 s0, v13
	s_cbranch_execz .LBB754_11
; %bb.10:
	v_add_co_u32 v13, vcc_lo, v11, v8
	s_wait_alu 0xfffd
	v_add_co_ci_u32_e64 v14, null, 0, v12, vcc_lo
	flat_load_b32 v2, v[13:14] offset:1536
.LBB754_11:
	s_wait_alu 0xfffe
	s_or_b32 exec_lo, exec_lo, s1
	v_add_nc_u32_e32 v13, 0x300, v0
	s_mov_b32 s1, exec_lo
	s_delay_alu instid0(VALU_DEP_1)
	v_cmpx_gt_u32_e64 s0, v13
	s_cbranch_execz .LBB754_13
; %bb.12:
	v_add_co_u32 v13, vcc_lo, v11, v8
	s_wait_alu 0xfffd
	v_add_co_ci_u32_e64 v14, null, 0, v12, vcc_lo
	flat_load_b32 v3, v[13:14] offset:3072
.LBB754_13:
	s_wait_alu 0xfffe
	;; [unrolled: 13-line block ×3, first 2 shown]
	s_or_b32 exec_lo, exec_lo, s1
	v_or_b32_e32 v13, 0x600, v0
	s_mov_b32 s1, exec_lo
	s_delay_alu instid0(VALU_DEP_1)
	v_cmpx_gt_u32_e64 s0, v13
	s_cbranch_execz .LBB754_17
; %bb.16:
	v_add_co_u32 v13, vcc_lo, v11, v8
	s_wait_alu 0xfffd
	v_add_co_ci_u32_e64 v14, null, 0, v12, vcc_lo
	flat_load_b32 v5, v[13:14] offset:6144
.LBB754_17:
	s_wait_alu 0xfffe
	s_or_b32 exec_lo, exec_lo, s1
	v_add_nc_u32_e32 v13, 0x780, v0
	s_mov_b32 s1, exec_lo
	s_delay_alu instid0(VALU_DEP_1)
	v_cmpx_gt_u32_e64 s0, v13
	s_cbranch_execz .LBB754_19
; %bb.18:
	v_add_co_u32 v13, vcc_lo, v11, v8
	s_wait_alu 0xfffd
	v_add_co_ci_u32_e64 v14, null, 0, v12, vcc_lo
	flat_load_b32 v6, v[13:14] offset:7680
.LBB754_19:
	s_wait_alu 0xfffe
	s_or_b32 exec_lo, exec_lo, s1
	v_add_nc_u32_e32 v13, 0x900, v0
	s_mov_b32 s1, exec_lo
	s_delay_alu instid0(VALU_DEP_1)
	v_cmpx_gt_u32_e64 s0, v13
	s_cbranch_execz .LBB754_21
; %bb.20:
	v_add_co_u32 v11, vcc_lo, v11, v8
	s_wait_alu 0xfffd
	v_add_co_ci_u32_e64 v12, null, 0, v12, vcc_lo
	flat_load_b32 v7, v[11:12] offset:9216
.LBB754_21:
	s_wait_alu 0xfffe
	s_or_b32 exec_lo, exec_lo, s1
	s_wait_loadcnt_dscnt 0x0
	ds_store_2addr_stride64_b32 v8, v1, v2 offset1:6
	ds_store_2addr_stride64_b32 v8, v3, v4 offset0:12 offset1:18
	ds_store_2addr_stride64_b32 v8, v5, v6 offset0:24 offset1:30
	ds_store_b32 v8, v7 offset:9216
	s_wait_dscnt 0x0
	s_barrier_signal -1
	s_barrier_wait -1
.LBB754_22:
	v_mul_u32_u24_e32 v1, 7, v0
	s_wait_loadcnt 0x0
	global_inv scope:SCOPE_SE
	s_and_not1_b32 vcc_lo, exec_lo, s5
	v_lshlrev_b32_e32 v32, 2, v1
	ds_load_2addr_b32 v[15:16], v32 offset1:1
	ds_load_2addr_b32 v[13:14], v32 offset0:2 offset1:3
	ds_load_2addr_b32 v[11:12], v32 offset0:4 offset1:5
	ds_load_b32 v33, v32 offset:24
	s_wait_loadcnt_dscnt 0x0
	s_barrier_signal -1
	s_barrier_wait -1
	global_inv scope:SCOPE_SE
	s_wait_alu 0xfffe
	s_cbranch_vccnz .LBB754_24
; %bb.23:
	v_and_b32_e32 v2, 1, v16
	v_and_b32_e32 v3, 1, v14
	;; [unrolled: 1-line block ×5, first 2 shown]
	v_lshlrev_b16 v2, 8, v2
	v_lshlrev_b16 v3, 8, v3
	v_and_b32_e32 v36, 1, v11
	s_delay_alu instid0(VALU_DEP_3) | instskip(NEXT) | instid1(VALU_DEP_3)
	v_lshrrev_b32_e32 v2, 8, v2
	v_lshrrev_b32_e32 v3, 8, v3
	s_delay_alu instid0(VALU_DEP_2) | instskip(NEXT) | instid1(VALU_DEP_2)
	v_lshlrev_b16 v2, 8, v2
	v_lshlrev_b16 v3, 8, v3
	s_delay_alu instid0(VALU_DEP_2) | instskip(NEXT) | instid1(VALU_DEP_2)
	v_or_b32_e32 v2, v4, v2
	v_or_b32_e32 v3, v5, v3
	v_and_b32_e32 v4, 1, v12
	v_lshlrev_b16 v5, 8, v34
	s_delay_alu instid0(VALU_DEP_4) | instskip(NEXT) | instid1(VALU_DEP_4)
	v_and_b32_e32 v2, 0xffff, v2
	v_lshlrev_b32_e32 v3, 16, v3
	s_delay_alu instid0(VALU_DEP_3) | instskip(NEXT) | instid1(VALU_DEP_2)
	v_or_b32_e32 v35, v4, v5
	v_or_b32_e32 v31, v2, v3
	s_cbranch_execz .LBB754_25
	s_branch .LBB754_26
.LBB754_24:
                                        ; implicit-def: $vgpr34
                                        ; implicit-def: $vgpr35
                                        ; implicit-def: $vgpr36
                                        ; implicit-def: $vgpr31
.LBB754_25:
	v_add_nc_u32_e32 v2, 3, v1
	v_add_nc_u32_e32 v3, 1, v1
	;; [unrolled: 1-line block ×5, first 2 shown]
	v_cmp_gt_u32_e32 vcc_lo, s0, v2
	s_wait_alu 0xfffd
	v_cndmask_b32_e64 v2, 0, 1, vcc_lo
	v_cmp_gt_u32_e32 vcc_lo, s0, v3
	s_delay_alu instid0(VALU_DEP_2)
	v_and_b32_e32 v2, v2, v14
	s_wait_alu 0xfffd
	v_cndmask_b32_e64 v3, 0, 1, vcc_lo
	v_cmp_gt_u32_e32 vcc_lo, s0, v1
	v_add_nc_u32_e32 v1, 6, v1
	v_lshlrev_b16 v2, 8, v2
	s_delay_alu instid0(VALU_DEP_4)
	v_and_b32_e32 v3, v3, v16
	s_wait_alu 0xfffd
	v_cndmask_b32_e64 v5, 0, 1, vcc_lo
	v_cmp_gt_u32_e32 vcc_lo, s0, v4
	v_lshrrev_b32_e32 v2, 8, v2
	v_lshlrev_b16 v3, 8, v3
	s_delay_alu instid0(VALU_DEP_4)
	v_and_b32_e32 v5, v5, v15
	s_wait_alu 0xfffd
	v_cndmask_b32_e64 v4, 0, 1, vcc_lo
	v_cmp_gt_u32_e32 vcc_lo, s0, v6
	v_and_b32_e32 v2, 1, v2
	v_lshrrev_b32_e32 v3, 8, v3
	v_and_b32_e32 v5, 1, v5
	v_and_b32_e32 v4, v4, v13
	s_wait_alu 0xfffd
	v_cndmask_b32_e64 v6, 0, 1, vcc_lo
	v_lshlrev_b16 v2, 8, v2
	v_lshlrev_b16 v3, 8, v3
	v_cmp_gt_u32_e32 vcc_lo, s0, v7
	v_and_b32_e32 v4, 1, v4
	v_and_b32_e32 v36, v6, v11
	s_delay_alu instid0(VALU_DEP_4) | instskip(NEXT) | instid1(VALU_DEP_3)
	v_or_b32_e32 v3, v5, v3
	v_or_b32_e32 v2, v4, v2
	s_wait_alu 0xfffd
	v_cndmask_b32_e64 v4, 0, 1, vcc_lo
	v_cmp_gt_u32_e32 vcc_lo, s0, v1
	v_and_b32_e32 v3, 0xffff, v3
	v_lshlrev_b32_e32 v2, 16, v2
	s_delay_alu instid0(VALU_DEP_4) | instskip(SKIP_2) | instid1(VALU_DEP_3)
	v_and_b32_e32 v35, v4, v12
	s_wait_alu 0xfffd
	v_cndmask_b32_e64 v1, 0, 1, vcc_lo
	v_or_b32_e32 v31, v3, v2
	s_delay_alu instid0(VALU_DEP_2)
	v_and_b32_e32 v34, v1, v33
.LBB754_26:
	s_delay_alu instid0(VALU_DEP_1)
	v_and_b32_e32 v42, 0xff, v31
	v_bfe_u32 v40, v31, 8, 8
	v_bfe_u32 v39, v31, 16, 8
	v_lshrrev_b32_e32 v37, 24, v31
	v_dual_mov_b32 v2, 0 :: v_dual_and_b32 v41, 0xff, v36
	v_and_b32_e32 v38, 0xff, v35
	s_delay_alu instid0(VALU_DEP_4)
	v_add3_u32 v1, v40, v42, v39
	v_mbcnt_lo_u32_b32 v43, -1, 0
	v_and_b32_e32 v4, 0xff, v34
	s_cmp_lg_u32 s10, 0
	s_mov_b32 s1, -1
	v_add_co_u32 v1, s0, v1, v37
	s_wait_alu 0xf1ff
	v_add_co_ci_u32_e64 v3, null, 0, 0, s0
	v_and_b32_e32 v44, 15, v43
	s_delay_alu instid0(VALU_DEP_3) | instskip(SKIP_1) | instid1(VALU_DEP_3)
	v_add_co_u32 v1, vcc_lo, v1, v41
	s_wait_alu 0xfffd
	v_add_co_ci_u32_e64 v3, null, 0, v3, vcc_lo
	s_delay_alu instid0(VALU_DEP_3) | instskip(NEXT) | instid1(VALU_DEP_3)
	v_cmp_ne_u32_e64 s0, 0, v44
	v_add_co_u32 v1, vcc_lo, v1, v38
	s_wait_alu 0xfffd
	s_delay_alu instid0(VALU_DEP_3) | instskip(NEXT) | instid1(VALU_DEP_2)
	v_add_co_ci_u32_e64 v3, null, 0, v3, vcc_lo
	v_add_co_u32 v17, vcc_lo, v1, v4
	s_wait_alu 0xfffd
	s_delay_alu instid0(VALU_DEP_2)
	v_add_co_ci_u32_e64 v18, null, 0, v3, vcc_lo
	s_cbranch_scc0 .LBB754_85
; %bb.27:
	v_mov_b32_e32 v3, v17
	v_mov_b32_dpp v1, v17 row_shr:1 row_mask:0xf bank_mask:0xf
	v_mov_b32_dpp v6, v2 row_shr:1 row_mask:0xf bank_mask:0xf
	v_dual_mov_b32 v5, v17 :: v_dual_mov_b32 v4, v18
	s_and_saveexec_b32 s1, s0
; %bb.28:
	s_delay_alu instid0(VALU_DEP_3) | instskip(SKIP_2) | instid1(VALU_DEP_2)
	v_add_co_u32 v5, vcc_lo, v17, v1
	s_wait_alu 0xfffd
	v_add_co_ci_u32_e64 v2, null, 0, v18, vcc_lo
	v_add_co_u32 v1, vcc_lo, 0, v5
	s_wait_alu 0xfffd
	s_delay_alu instid0(VALU_DEP_2) | instskip(NEXT) | instid1(VALU_DEP_1)
	v_add_co_ci_u32_e64 v2, null, v6, v2, vcc_lo
	v_dual_mov_b32 v4, v2 :: v_dual_mov_b32 v3, v1
; %bb.29:
	s_wait_alu 0xfffe
	s_or_b32 exec_lo, exec_lo, s1
	v_mov_b32_dpp v1, v5 row_shr:2 row_mask:0xf bank_mask:0xf
	v_mov_b32_dpp v6, v2 row_shr:2 row_mask:0xf bank_mask:0xf
	v_cmp_lt_u32_e32 vcc_lo, 1, v44
	s_and_saveexec_b32 s3, vcc_lo
; %bb.30:
	s_delay_alu instid0(VALU_DEP_3) | instskip(SKIP_2) | instid1(VALU_DEP_2)
	v_add_co_u32 v5, s1, v3, v1
	s_wait_alu 0xf1ff
	v_add_co_ci_u32_e64 v2, null, 0, v4, s1
	v_add_co_u32 v1, s1, 0, v5
	s_wait_alu 0xf1ff
	s_delay_alu instid0(VALU_DEP_2) | instskip(NEXT) | instid1(VALU_DEP_1)
	v_add_co_ci_u32_e64 v2, null, v6, v2, s1
	v_dual_mov_b32 v4, v2 :: v_dual_mov_b32 v3, v1
; %bb.31:
	s_or_b32 exec_lo, exec_lo, s3
	v_mov_b32_dpp v1, v5 row_shr:4 row_mask:0xf bank_mask:0xf
	v_mov_b32_dpp v6, v2 row_shr:4 row_mask:0xf bank_mask:0xf
	v_cmp_lt_u32_e64 s1, 3, v44
	s_and_saveexec_b32 s4, s1
; %bb.32:
	v_add_co_u32 v5, s3, v3, v1
	s_delay_alu instid0(VALU_DEP_1) | instskip(NEXT) | instid1(VALU_DEP_2)
	v_add_co_ci_u32_e64 v2, null, 0, v4, s3
	v_add_co_u32 v1, s3, 0, v5
	s_wait_alu 0xf1ff
	s_delay_alu instid0(VALU_DEP_2) | instskip(NEXT) | instid1(VALU_DEP_1)
	v_add_co_ci_u32_e64 v2, null, v6, v2, s3
	v_dual_mov_b32 v4, v2 :: v_dual_mov_b32 v3, v1
; %bb.33:
	s_wait_alu 0xfffe
	s_or_b32 exec_lo, exec_lo, s4
	v_mov_b32_dpp v6, v5 row_shr:8 row_mask:0xf bank_mask:0xf
	v_mov_b32_dpp v1, v2 row_shr:8 row_mask:0xf bank_mask:0xf
	v_cmp_lt_u32_e64 s3, 7, v44
	s_and_saveexec_b32 s7, s3
; %bb.34:
	v_add_co_u32 v5, s4, v3, v6
	s_wait_alu 0xf1ff
	v_add_co_ci_u32_e64 v2, null, 0, v4, s4
	s_delay_alu instid0(VALU_DEP_2) | instskip(SKIP_1) | instid1(VALU_DEP_2)
	v_add_co_u32 v3, s4, 0, v5
	s_wait_alu 0xf1ff
	v_add_co_ci_u32_e64 v4, null, v1, v2, s4
	s_delay_alu instid0(VALU_DEP_1)
	v_mov_b32_e32 v2, v4
; %bb.35:
	s_wait_alu 0xfffe
	s_or_b32 exec_lo, exec_lo, s7
	ds_swizzle_b32 v1, v5 offset:swizzle(BROADCAST,32,15)
	ds_swizzle_b32 v6, v2 offset:swizzle(BROADCAST,32,15)
	v_and_b32_e32 v7, 16, v43
	s_mov_b32 s7, exec_lo
	s_delay_alu instid0(VALU_DEP_1)
	v_cmpx_ne_u32_e32 0, v7
	s_cbranch_execz .LBB754_37
; %bb.36:
	s_wait_dscnt 0x1
	v_add_co_u32 v5, s4, v3, v1
	s_wait_alu 0xf1ff
	v_add_co_ci_u32_e64 v2, null, 0, v4, s4
	s_delay_alu instid0(VALU_DEP_2) | instskip(SKIP_2) | instid1(VALU_DEP_2)
	v_add_co_u32 v1, s4, 0, v5
	s_wait_dscnt 0x0
	s_wait_alu 0xf1ff
	v_add_co_ci_u32_e64 v2, null, v6, v2, s4
	s_delay_alu instid0(VALU_DEP_1)
	v_dual_mov_b32 v4, v2 :: v_dual_mov_b32 v3, v1
.LBB754_37:
	s_wait_alu 0xfffe
	s_or_b32 exec_lo, exec_lo, s7
	s_wait_dscnt 0x1
	v_and_b32_e32 v1, 0x1e0, v0
	s_mov_b32 s7, exec_lo
	s_delay_alu instid0(VALU_DEP_1) | instskip(SKIP_1) | instid1(VALU_DEP_1)
	v_min_u32_e32 v1, 0x160, v1
	s_wait_dscnt 0x0
	v_or_b32_e32 v6, 31, v1
	v_lshrrev_b32_e32 v1, 5, v0
	s_delay_alu instid0(VALU_DEP_2)
	v_cmpx_eq_u32_e64 v0, v6
; %bb.38:
	s_delay_alu instid0(VALU_DEP_2)
	v_lshlrev_b32_e32 v6, 3, v1
	ds_store_b64 v6, v[3:4]
; %bb.39:
	s_wait_alu 0xfffe
	s_or_b32 exec_lo, exec_lo, s7
	s_delay_alu instid0(SALU_CYCLE_1)
	s_mov_b32 s7, exec_lo
	s_wait_loadcnt_dscnt 0x0
	s_barrier_signal -1
	s_barrier_wait -1
	global_inv scope:SCOPE_SE
	v_cmpx_gt_u32_e32 12, v0
	s_cbranch_execz .LBB754_49
; %bb.40:
	v_lshlrev_b32_e32 v6, 3, v0
	ds_load_b64 v[3:4], v6
	s_wait_dscnt 0x0
	v_mov_b32_dpp v19, v3 row_shr:1 row_mask:0xf bank_mask:0xf
	v_mov_b32_dpp v8, v4 row_shr:1 row_mask:0xf bank_mask:0xf
	v_mov_b32_e32 v7, v3
	s_and_saveexec_b32 s11, s0
; %bb.41:
	s_delay_alu instid0(VALU_DEP_3) | instskip(SKIP_2) | instid1(VALU_DEP_2)
	v_add_co_u32 v7, s4, v3, v19
	s_wait_alu 0xf1ff
	v_add_co_ci_u32_e64 v4, null, 0, v4, s4
	v_add_co_u32 v3, s4, 0, v7
	s_wait_alu 0xf1ff
	s_delay_alu instid0(VALU_DEP_2)
	v_add_co_ci_u32_e64 v4, null, v8, v4, s4
; %bb.42:
	s_or_b32 exec_lo, exec_lo, s11
	v_mov_b32_dpp v19, v7 row_shr:2 row_mask:0xf bank_mask:0xf
	s_delay_alu instid0(VALU_DEP_2)
	v_mov_b32_dpp v8, v4 row_shr:2 row_mask:0xf bank_mask:0xf
	s_and_saveexec_b32 s4, vcc_lo
; %bb.43:
	s_delay_alu instid0(VALU_DEP_2) | instskip(SKIP_2) | instid1(VALU_DEP_2)
	v_add_co_u32 v7, vcc_lo, v3, v19
	s_wait_alu 0xfffd
	v_add_co_ci_u32_e64 v4, null, 0, v4, vcc_lo
	v_add_co_u32 v3, vcc_lo, 0, v7
	s_wait_alu 0xfffd
	s_delay_alu instid0(VALU_DEP_2)
	v_add_co_ci_u32_e64 v4, null, v8, v4, vcc_lo
; %bb.44:
	s_wait_alu 0xfffe
	s_or_b32 exec_lo, exec_lo, s4
	v_mov_b32_dpp v19, v7 row_shr:4 row_mask:0xf bank_mask:0xf
	s_delay_alu instid0(VALU_DEP_2)
	v_mov_b32_dpp v8, v4 row_shr:4 row_mask:0xf bank_mask:0xf
	s_and_saveexec_b32 s4, s1
; %bb.45:
	s_delay_alu instid0(VALU_DEP_2) | instskip(SKIP_2) | instid1(VALU_DEP_2)
	v_add_co_u32 v7, vcc_lo, v3, v19
	s_wait_alu 0xfffd
	v_add_co_ci_u32_e64 v4, null, 0, v4, vcc_lo
	v_add_co_u32 v3, vcc_lo, 0, v7
	s_wait_alu 0xfffd
	s_delay_alu instid0(VALU_DEP_2)
	v_add_co_ci_u32_e64 v4, null, v8, v4, vcc_lo
; %bb.46:
	s_wait_alu 0xfffe
	s_or_b32 exec_lo, exec_lo, s4
	v_mov_b32_dpp v8, v7 row_shr:8 row_mask:0xf bank_mask:0xf
	s_delay_alu instid0(VALU_DEP_2)
	v_mov_b32_dpp v7, v4 row_shr:8 row_mask:0xf bank_mask:0xf
	s_and_saveexec_b32 s1, s3
; %bb.47:
	s_delay_alu instid0(VALU_DEP_2) | instskip(SKIP_2) | instid1(VALU_DEP_2)
	v_add_co_u32 v3, vcc_lo, v3, v8
	s_wait_alu 0xfffd
	v_add_co_ci_u32_e64 v4, null, 0, v4, vcc_lo
	v_add_co_u32 v3, vcc_lo, v3, 0
	s_wait_alu 0xfffd
	s_delay_alu instid0(VALU_DEP_2)
	v_add_co_ci_u32_e64 v4, null, v4, v7, vcc_lo
; %bb.48:
	s_wait_alu 0xfffe
	s_or_b32 exec_lo, exec_lo, s1
	ds_store_b64 v6, v[3:4]
.LBB754_49:
	s_wait_alu 0xfffe
	s_or_b32 exec_lo, exec_lo, s7
	s_delay_alu instid0(SALU_CYCLE_1)
	s_mov_b32 s3, exec_lo
	v_cmp_gt_u32_e32 vcc_lo, 32, v0
	s_wait_loadcnt_dscnt 0x0
	s_barrier_signal -1
	s_barrier_wait -1
	global_inv scope:SCOPE_SE
                                        ; implicit-def: $vgpr19_vgpr20
	v_cmpx_lt_u32_e32 31, v0
	s_cbranch_execz .LBB754_51
; %bb.50:
	v_lshl_add_u32 v1, v1, 3, -8
	ds_load_b64 v[19:20], v1
	s_wait_dscnt 0x0
	v_add_co_u32 v5, s1, v5, v19
	s_wait_alu 0xf1ff
	v_add_co_ci_u32_e64 v2, null, v2, v20, s1
.LBB754_51:
	s_wait_alu 0xfffe
	s_or_b32 exec_lo, exec_lo, s3
	v_sub_co_u32 v1, s1, v43, 1
	s_delay_alu instid0(VALU_DEP_1) | instskip(SKIP_1) | instid1(VALU_DEP_1)
	v_cmp_gt_i32_e64 s3, 0, v1
	s_wait_alu 0xf1ff
	v_cndmask_b32_e64 v1, v1, v43, s3
	s_delay_alu instid0(VALU_DEP_1)
	v_lshlrev_b32_e32 v1, 2, v1
	ds_bpermute_b32 v25, v1, v5
	ds_bpermute_b32 v26, v1, v2
	s_and_saveexec_b32 s3, vcc_lo
	s_cbranch_execz .LBB754_90
; %bb.52:
	v_mov_b32_e32 v4, 0
	ds_load_b64 v[1:2], v4 offset:88
	s_and_saveexec_b32 s4, s1
	s_cbranch_execz .LBB754_54
; %bb.53:
	s_add_co_i32 s16, s10, 32
	s_mov_b32 s17, 0
	s_wait_alu 0xfffe
	s_lshl_b64 s[16:17], s[16:17], 4
	s_wait_alu 0xfffe
	s_add_nc_u64 s[16:17], s[14:15], s[16:17]
	v_mov_b32_e32 v3, 1
	s_wait_alu 0xfffe
	v_dual_mov_b32 v5, s16 :: v_dual_mov_b32 v6, s17
	s_wait_dscnt 0x0
	;;#ASMSTART
	global_store_b128 v[5:6], v[1:4] off scope:SCOPE_DEV	
s_wait_storecnt 0x0
	;;#ASMEND
.LBB754_54:
	s_wait_alu 0xfffe
	s_or_b32 exec_lo, exec_lo, s4
	v_xad_u32 v21, v43, -1, s10
	s_mov_b32 s7, 0
	s_mov_b32 s4, exec_lo
	s_delay_alu instid0(VALU_DEP_1) | instskip(NEXT) | instid1(VALU_DEP_1)
	v_add_nc_u32_e32 v3, 32, v21
	v_lshlrev_b64_e32 v[3:4], 4, v[3:4]
	s_delay_alu instid0(VALU_DEP_1) | instskip(SKIP_1) | instid1(VALU_DEP_2)
	v_add_co_u32 v3, vcc_lo, s14, v3
	s_wait_alu 0xfffd
	v_add_co_ci_u32_e64 v4, null, s15, v4, vcc_lo
	;;#ASMSTART
	global_load_b128 v[5:8], v[3:4] off scope:SCOPE_DEV	
s_wait_loadcnt 0x0
	;;#ASMEND
	v_and_b32_e32 v8, 0xff, v7
	s_delay_alu instid0(VALU_DEP_1)
	v_cmpx_eq_u16_e32 0, v8
	s_cbranch_execz .LBB754_57
.LBB754_55:                             ; =>This Inner Loop Header: Depth=1
	;;#ASMSTART
	global_load_b128 v[5:8], v[3:4] off scope:SCOPE_DEV	
s_wait_loadcnt 0x0
	;;#ASMEND
	v_and_b32_e32 v8, 0xff, v7
	s_delay_alu instid0(VALU_DEP_1)
	v_cmp_ne_u16_e32 vcc_lo, 0, v8
	s_wait_alu 0xfffe
	s_or_b32 s7, vcc_lo, s7
	s_wait_alu 0xfffe
	s_and_not1_b32 exec_lo, exec_lo, s7
	s_cbranch_execnz .LBB754_55
; %bb.56:
	s_or_b32 exec_lo, exec_lo, s7
.LBB754_57:
	s_wait_alu 0xfffe
	s_or_b32 exec_lo, exec_lo, s4
	v_cmp_ne_u32_e32 vcc_lo, 31, v43
	v_and_b32_e32 v4, 0xff, v7
	v_lshlrev_b32_e64 v28, v43, -1
	s_mov_b32 s4, exec_lo
	s_wait_alu 0xfffd
	v_add_co_ci_u32_e64 v3, null, 0, v43, vcc_lo
	v_cmp_eq_u16_e32 vcc_lo, 2, v4
	s_delay_alu instid0(VALU_DEP_2)
	v_dual_mov_b32 v4, v5 :: v_dual_lshlrev_b32 v27, 2, v3
	s_wait_alu 0xfffd
	v_and_or_b32 v3, vcc_lo, v28, 0x80000000
	ds_bpermute_b32 v22, v27, v5
	ds_bpermute_b32 v8, v27, v6
	v_ctz_i32_b32_e32 v3, v3
	s_delay_alu instid0(VALU_DEP_1)
	v_cmpx_lt_u32_e64 v43, v3
	s_cbranch_execz .LBB754_59
; %bb.58:
	s_wait_dscnt 0x1
	v_add_co_u32 v4, vcc_lo, v5, v22
	s_wait_alu 0xfffd
	v_add_co_ci_u32_e64 v6, null, 0, v6, vcc_lo
	s_delay_alu instid0(VALU_DEP_2) | instskip(SKIP_2) | instid1(VALU_DEP_2)
	v_add_co_u32 v5, vcc_lo, 0, v4
	s_wait_dscnt 0x0
	s_wait_alu 0xfffd
	v_add_co_ci_u32_e64 v6, null, v8, v6, vcc_lo
.LBB754_59:
	s_wait_alu 0xfffe
	s_or_b32 exec_lo, exec_lo, s4
	v_cmp_gt_u32_e32 vcc_lo, 30, v43
	v_add_nc_u32_e32 v30, 2, v43
	s_mov_b32 s4, exec_lo
	s_wait_dscnt 0x0
	s_wait_alu 0xfffd
	v_cndmask_b32_e64 v8, 0, 2, vcc_lo
	s_delay_alu instid0(VALU_DEP_1)
	v_add_lshl_u32 v29, v8, v43, 2
	ds_bpermute_b32 v22, v29, v4
	ds_bpermute_b32 v8, v29, v6
	v_cmpx_le_u32_e64 v30, v3
	s_cbranch_execz .LBB754_61
; %bb.60:
	s_wait_dscnt 0x1
	v_add_co_u32 v4, vcc_lo, v5, v22
	s_wait_alu 0xfffd
	v_add_co_ci_u32_e64 v6, null, 0, v6, vcc_lo
	s_delay_alu instid0(VALU_DEP_2) | instskip(SKIP_2) | instid1(VALU_DEP_2)
	v_add_co_u32 v5, vcc_lo, 0, v4
	s_wait_dscnt 0x0
	s_wait_alu 0xfffd
	v_add_co_ci_u32_e64 v6, null, v8, v6, vcc_lo
.LBB754_61:
	s_wait_alu 0xfffe
	s_or_b32 exec_lo, exec_lo, s4
	v_cmp_gt_u32_e32 vcc_lo, 28, v43
	v_add_nc_u32_e32 v46, 4, v43
	s_mov_b32 s4, exec_lo
	s_wait_dscnt 0x0
	s_wait_alu 0xfffd
	v_cndmask_b32_e64 v8, 0, 4, vcc_lo
	s_delay_alu instid0(VALU_DEP_1)
	v_add_lshl_u32 v45, v8, v43, 2
	ds_bpermute_b32 v22, v45, v4
	ds_bpermute_b32 v8, v45, v6
	v_cmpx_le_u32_e64 v46, v3
	;; [unrolled: 25-line block ×3, first 2 shown]
	s_cbranch_execz .LBB754_65
; %bb.64:
	s_wait_dscnt 0x1
	v_add_co_u32 v4, vcc_lo, v5, v22
	s_wait_alu 0xfffd
	v_add_co_ci_u32_e64 v6, null, 0, v6, vcc_lo
	s_delay_alu instid0(VALU_DEP_2) | instskip(SKIP_2) | instid1(VALU_DEP_2)
	v_add_co_u32 v5, vcc_lo, 0, v4
	s_wait_dscnt 0x0
	s_wait_alu 0xfffd
	v_add_co_ci_u32_e64 v6, null, v8, v6, vcc_lo
.LBB754_65:
	s_wait_alu 0xfffe
	s_or_b32 exec_lo, exec_lo, s4
	v_lshl_or_b32 v49, v43, 2, 64
	v_add_nc_u32_e32 v50, 16, v43
	s_mov_b32 s4, exec_lo
	s_wait_dscnt 0x0
	ds_bpermute_b32 v8, v49, v4
	ds_bpermute_b32 v4, v49, v6
	v_cmpx_le_u32_e64 v50, v3
	s_cbranch_execz .LBB754_67
; %bb.66:
	s_wait_dscnt 0x1
	v_add_co_u32 v3, vcc_lo, v5, v8
	s_wait_alu 0xfffd
	v_add_co_ci_u32_e64 v6, null, 0, v6, vcc_lo
	s_delay_alu instid0(VALU_DEP_2) | instskip(SKIP_2) | instid1(VALU_DEP_2)
	v_add_co_u32 v5, vcc_lo, v3, 0
	s_wait_dscnt 0x0
	s_wait_alu 0xfffd
	v_add_co_ci_u32_e64 v6, null, v6, v4, vcc_lo
.LBB754_67:
	s_wait_alu 0xfffe
	s_or_b32 exec_lo, exec_lo, s4
	v_mov_b32_e32 v22, 0
	s_branch .LBB754_70
.LBB754_68:                             ;   in Loop: Header=BB754_70 Depth=1
	s_wait_alu 0xfffe
	s_or_b32 exec_lo, exec_lo, s4
	v_add_co_u32 v5, vcc_lo, v5, v3
	v_subrev_nc_u32_e32 v21, 32, v21
	s_wait_alu 0xfffd
	v_add_co_ci_u32_e64 v6, null, v6, v4, vcc_lo
	s_mov_b32 s4, 0
.LBB754_69:                             ;   in Loop: Header=BB754_70 Depth=1
	s_wait_alu 0xfffe
	s_and_b32 vcc_lo, exec_lo, s4
	s_wait_alu 0xfffe
	s_cbranch_vccnz .LBB754_86
.LBB754_70:                             ; =>This Loop Header: Depth=1
                                        ;     Child Loop BB754_73 Depth 2
	v_and_b32_e32 v3, 0xff, v7
	s_mov_b32 s4, -1
	s_delay_alu instid0(VALU_DEP_1)
	v_cmp_ne_u16_e32 vcc_lo, 2, v3
	s_wait_dscnt 0x0
	v_dual_mov_b32 v3, v5 :: v_dual_mov_b32 v4, v6
                                        ; implicit-def: $vgpr5_vgpr6
	s_cmp_lg_u32 vcc_lo, exec_lo
	s_cbranch_scc1 .LBB754_69
; %bb.71:                               ;   in Loop: Header=BB754_70 Depth=1
	v_lshlrev_b64_e32 v[5:6], 4, v[21:22]
	s_mov_b32 s4, exec_lo
	s_delay_alu instid0(VALU_DEP_1) | instskip(SKIP_1) | instid1(VALU_DEP_2)
	v_add_co_u32 v23, vcc_lo, s14, v5
	s_wait_alu 0xfffd
	v_add_co_ci_u32_e64 v24, null, s15, v6, vcc_lo
	;;#ASMSTART
	global_load_b128 v[5:8], v[23:24] off scope:SCOPE_DEV	
s_wait_loadcnt 0x0
	;;#ASMEND
	v_and_b32_e32 v8, 0xff, v7
	s_delay_alu instid0(VALU_DEP_1)
	v_cmpx_eq_u16_e32 0, v8
	s_cbranch_execz .LBB754_75
; %bb.72:                               ;   in Loop: Header=BB754_70 Depth=1
	s_mov_b32 s7, 0
.LBB754_73:                             ;   Parent Loop BB754_70 Depth=1
                                        ; =>  This Inner Loop Header: Depth=2
	;;#ASMSTART
	global_load_b128 v[5:8], v[23:24] off scope:SCOPE_DEV	
s_wait_loadcnt 0x0
	;;#ASMEND
	v_and_b32_e32 v8, 0xff, v7
	s_delay_alu instid0(VALU_DEP_1)
	v_cmp_ne_u16_e32 vcc_lo, 0, v8
	s_wait_alu 0xfffe
	s_or_b32 s7, vcc_lo, s7
	s_wait_alu 0xfffe
	s_and_not1_b32 exec_lo, exec_lo, s7
	s_cbranch_execnz .LBB754_73
; %bb.74:                               ;   in Loop: Header=BB754_70 Depth=1
	s_or_b32 exec_lo, exec_lo, s7
.LBB754_75:                             ;   in Loop: Header=BB754_70 Depth=1
	s_wait_alu 0xfffe
	s_or_b32 exec_lo, exec_lo, s4
	v_dual_mov_b32 v23, v5 :: v_dual_and_b32 v8, 0xff, v7
	ds_bpermute_b32 v51, v27, v5
	ds_bpermute_b32 v24, v27, v6
	s_mov_b32 s4, exec_lo
	v_cmp_eq_u16_e32 vcc_lo, 2, v8
	s_wait_alu 0xfffd
	v_and_or_b32 v8, vcc_lo, v28, 0x80000000
	s_delay_alu instid0(VALU_DEP_1) | instskip(NEXT) | instid1(VALU_DEP_1)
	v_ctz_i32_b32_e32 v8, v8
	v_cmpx_lt_u32_e64 v43, v8
	s_cbranch_execz .LBB754_77
; %bb.76:                               ;   in Loop: Header=BB754_70 Depth=1
	s_wait_dscnt 0x1
	v_add_co_u32 v23, vcc_lo, v5, v51
	s_wait_alu 0xfffd
	v_add_co_ci_u32_e64 v6, null, 0, v6, vcc_lo
	s_delay_alu instid0(VALU_DEP_2) | instskip(SKIP_2) | instid1(VALU_DEP_2)
	v_add_co_u32 v5, vcc_lo, 0, v23
	s_wait_dscnt 0x0
	s_wait_alu 0xfffd
	v_add_co_ci_u32_e64 v6, null, v24, v6, vcc_lo
.LBB754_77:                             ;   in Loop: Header=BB754_70 Depth=1
	s_wait_alu 0xfffe
	s_or_b32 exec_lo, exec_lo, s4
	s_wait_dscnt 0x1
	ds_bpermute_b32 v51, v29, v23
	s_wait_dscnt 0x1
	ds_bpermute_b32 v24, v29, v6
	s_mov_b32 s4, exec_lo
	v_cmpx_le_u32_e64 v30, v8
	s_cbranch_execz .LBB754_79
; %bb.78:                               ;   in Loop: Header=BB754_70 Depth=1
	s_wait_dscnt 0x1
	v_add_co_u32 v23, vcc_lo, v5, v51
	s_wait_alu 0xfffd
	v_add_co_ci_u32_e64 v6, null, 0, v6, vcc_lo
	s_delay_alu instid0(VALU_DEP_2) | instskip(SKIP_2) | instid1(VALU_DEP_2)
	v_add_co_u32 v5, vcc_lo, 0, v23
	s_wait_dscnt 0x0
	s_wait_alu 0xfffd
	v_add_co_ci_u32_e64 v6, null, v24, v6, vcc_lo
.LBB754_79:                             ;   in Loop: Header=BB754_70 Depth=1
	s_wait_alu 0xfffe
	s_or_b32 exec_lo, exec_lo, s4
	s_wait_dscnt 0x1
	ds_bpermute_b32 v51, v45, v23
	s_wait_dscnt 0x1
	ds_bpermute_b32 v24, v45, v6
	s_mov_b32 s4, exec_lo
	v_cmpx_le_u32_e64 v46, v8
	;; [unrolled: 20-line block ×3, first 2 shown]
	s_cbranch_execz .LBB754_83
; %bb.82:                               ;   in Loop: Header=BB754_70 Depth=1
	s_wait_dscnt 0x1
	v_add_co_u32 v23, vcc_lo, v5, v51
	s_wait_alu 0xfffd
	v_add_co_ci_u32_e64 v6, null, 0, v6, vcc_lo
	s_delay_alu instid0(VALU_DEP_2) | instskip(SKIP_2) | instid1(VALU_DEP_2)
	v_add_co_u32 v5, vcc_lo, 0, v23
	s_wait_dscnt 0x0
	s_wait_alu 0xfffd
	v_add_co_ci_u32_e64 v6, null, v24, v6, vcc_lo
.LBB754_83:                             ;   in Loop: Header=BB754_70 Depth=1
	s_wait_alu 0xfffe
	s_or_b32 exec_lo, exec_lo, s4
	s_wait_dscnt 0x0
	ds_bpermute_b32 v24, v49, v23
	ds_bpermute_b32 v23, v49, v6
	s_mov_b32 s4, exec_lo
	v_cmpx_le_u32_e64 v50, v8
	s_cbranch_execz .LBB754_68
; %bb.84:                               ;   in Loop: Header=BB754_70 Depth=1
	s_wait_dscnt 0x1
	v_add_co_u32 v5, vcc_lo, v5, v24
	s_wait_alu 0xfffd
	v_add_co_ci_u32_e64 v6, null, 0, v6, vcc_lo
	s_delay_alu instid0(VALU_DEP_2) | instskip(SKIP_2) | instid1(VALU_DEP_2)
	v_add_co_u32 v5, vcc_lo, v5, 0
	s_wait_dscnt 0x0
	s_wait_alu 0xfffd
	v_add_co_ci_u32_e64 v6, null, v6, v23, vcc_lo
	s_branch .LBB754_68
.LBB754_85:
                                        ; implicit-def: $vgpr19_vgpr20
                                        ; implicit-def: $vgpr6_vgpr7
                                        ; implicit-def: $vgpr21_vgpr22
                                        ; implicit-def: $vgpr23_vgpr24
                                        ; implicit-def: $vgpr25_vgpr26
                                        ; implicit-def: $vgpr27_vgpr28
                                        ; implicit-def: $vgpr29_vgpr30
                                        ; implicit-def: $vgpr4_vgpr5
	s_wait_alu 0xfffe
	s_and_b32 vcc_lo, exec_lo, s1
	s_wait_alu 0xfffe
	s_cbranch_vccnz .LBB754_91
	s_branch .LBB754_118
.LBB754_86:
	s_and_saveexec_b32 s4, s1
	s_cbranch_execz .LBB754_88
; %bb.87:
	s_add_co_i32 s10, s10, 32
	s_mov_b32 s11, 0
	v_add_co_u32 v5, vcc_lo, v3, v1
	s_wait_alu 0xfffe
	s_lshl_b64 s[10:11], s[10:11], 4
	v_dual_mov_b32 v7, 2 :: v_dual_mov_b32 v8, 0
	s_wait_alu 0xfffe
	s_add_nc_u64 s[10:11], s[14:15], s[10:11]
	s_wait_alu 0xfffd
	v_add_co_ci_u32_e64 v6, null, v4, v2, vcc_lo
	s_wait_alu 0xfffe
	v_dual_mov_b32 v22, s11 :: v_dual_mov_b32 v21, s10
	;;#ASMSTART
	global_store_b128 v[21:22], v[5:8] off scope:SCOPE_DEV	
s_wait_storecnt 0x0
	;;#ASMEND
	ds_store_b128 v8, v[1:4] offset:10752
.LBB754_88:
	s_wait_alu 0xfffe
	s_or_b32 exec_lo, exec_lo, s4
	s_delay_alu instid0(SALU_CYCLE_1)
	s_and_b32 exec_lo, exec_lo, s2
; %bb.89:
	v_mov_b32_e32 v1, 0
	ds_store_b64 v1, v[3:4] offset:88
.LBB754_90:
	s_wait_alu 0xfffe
	s_or_b32 exec_lo, exec_lo, s3
	v_mov_b32_e32 v3, 0
	s_wait_loadcnt_dscnt 0x0
	s_barrier_signal -1
	s_barrier_wait -1
	global_inv scope:SCOPE_SE
	ds_load_b64 v[1:2], v3 offset:88
	v_cndmask_b32_e64 v4, v25, v19, s1
	v_cndmask_b32_e64 v5, v26, v20, s1
	s_wait_loadcnt_dscnt 0x0
	s_barrier_signal -1
	s_barrier_wait -1
	v_cndmask_b32_e64 v4, v4, 0, s2
	v_cndmask_b32_e64 v5, v5, 0, s2
	global_inv scope:SCOPE_SE
	v_add_co_u32 v29, vcc_lo, v1, v4
	s_wait_alu 0xfffd
	v_add_co_ci_u32_e64 v30, null, v2, v5, vcc_lo
	ds_load_b128 v[2:5], v3 offset:10752
	v_add_co_u32 v27, vcc_lo, v29, v42
	s_wait_alu 0xfffd
	v_add_co_ci_u32_e64 v28, null, 0, v30, vcc_lo
	s_delay_alu instid0(VALU_DEP_2) | instskip(SKIP_1) | instid1(VALU_DEP_2)
	v_add_co_u32 v25, vcc_lo, v27, v40
	s_wait_alu 0xfffd
	v_add_co_ci_u32_e64 v26, null, 0, v28, vcc_lo
	s_delay_alu instid0(VALU_DEP_2) | instskip(SKIP_1) | instid1(VALU_DEP_2)
	;; [unrolled: 4-line block ×5, first 2 shown]
	v_add_co_u32 v19, vcc_lo, v6, v38
	s_wait_alu 0xfffd
	v_add_co_ci_u32_e64 v20, null, 0, v7, vcc_lo
	s_branch .LBB754_118
.LBB754_91:
	s_wait_dscnt 0x0
	v_dual_mov_b32 v2, 0 :: v_dual_mov_b32 v3, v17
	v_mov_b32_dpp v4, v17 row_shr:1 row_mask:0xf bank_mask:0xf
	s_delay_alu instid0(VALU_DEP_2)
	v_mov_b32_dpp v1, v2 row_shr:1 row_mask:0xf bank_mask:0xf
	s_and_saveexec_b32 s1, s0
; %bb.92:
	s_delay_alu instid0(VALU_DEP_2) | instskip(SKIP_2) | instid1(VALU_DEP_2)
	v_add_co_u32 v3, vcc_lo, v17, v4
	s_wait_alu 0xfffd
	v_add_co_ci_u32_e64 v2, null, 0, v18, vcc_lo
	v_add_co_u32 v17, vcc_lo, 0, v3
	s_wait_alu 0xfffd
	s_delay_alu instid0(VALU_DEP_2) | instskip(NEXT) | instid1(VALU_DEP_1)
	v_add_co_ci_u32_e64 v18, null, v1, v2, vcc_lo
	v_mov_b32_e32 v2, v18
; %bb.93:
	s_wait_alu 0xfffe
	s_or_b32 exec_lo, exec_lo, s1
	v_mov_b32_dpp v1, v3 row_shr:2 row_mask:0xf bank_mask:0xf
	s_delay_alu instid0(VALU_DEP_2)
	v_mov_b32_dpp v4, v2 row_shr:2 row_mask:0xf bank_mask:0xf
	v_cmp_lt_u32_e32 vcc_lo, 1, v44
	s_and_saveexec_b32 s3, vcc_lo
; %bb.94:
	s_delay_alu instid0(VALU_DEP_3) | instskip(SKIP_2) | instid1(VALU_DEP_2)
	v_add_co_u32 v3, s1, v17, v1
	s_wait_alu 0xf1ff
	v_add_co_ci_u32_e64 v2, null, 0, v18, s1
	v_add_co_u32 v1, s1, 0, v3
	s_wait_alu 0xf1ff
	s_delay_alu instid0(VALU_DEP_2) | instskip(NEXT) | instid1(VALU_DEP_1)
	v_add_co_ci_u32_e64 v2, null, v4, v2, s1
	v_dual_mov_b32 v18, v2 :: v_dual_mov_b32 v17, v1
; %bb.95:
	s_or_b32 exec_lo, exec_lo, s3
	v_mov_b32_dpp v1, v3 row_shr:4 row_mask:0xf bank_mask:0xf
	v_mov_b32_dpp v4, v2 row_shr:4 row_mask:0xf bank_mask:0xf
	v_cmp_lt_u32_e64 s1, 3, v44
	s_and_saveexec_b32 s4, s1
; %bb.96:
	v_add_co_u32 v3, s3, v17, v1
	s_delay_alu instid0(VALU_DEP_1) | instskip(NEXT) | instid1(VALU_DEP_2)
	v_add_co_ci_u32_e64 v2, null, 0, v18, s3
	v_add_co_u32 v1, s3, 0, v3
	s_wait_alu 0xf1ff
	s_delay_alu instid0(VALU_DEP_2) | instskip(NEXT) | instid1(VALU_DEP_1)
	v_add_co_ci_u32_e64 v2, null, v4, v2, s3
	v_dual_mov_b32 v18, v2 :: v_dual_mov_b32 v17, v1
; %bb.97:
	s_wait_alu 0xfffe
	s_or_b32 exec_lo, exec_lo, s4
	v_mov_b32_dpp v4, v3 row_shr:8 row_mask:0xf bank_mask:0xf
	v_mov_b32_dpp v1, v2 row_shr:8 row_mask:0xf bank_mask:0xf
	v_cmp_lt_u32_e64 s3, 7, v44
	s_and_saveexec_b32 s7, s3
; %bb.98:
	v_add_co_u32 v3, s4, v17, v4
	s_wait_alu 0xf1ff
	v_add_co_ci_u32_e64 v2, null, 0, v18, s4
	s_delay_alu instid0(VALU_DEP_2) | instskip(SKIP_1) | instid1(VALU_DEP_2)
	v_add_co_u32 v17, s4, 0, v3
	s_wait_alu 0xf1ff
	v_add_co_ci_u32_e64 v18, null, v1, v2, s4
	s_delay_alu instid0(VALU_DEP_1)
	v_mov_b32_e32 v2, v18
; %bb.99:
	s_wait_alu 0xfffe
	s_or_b32 exec_lo, exec_lo, s7
	ds_swizzle_b32 v3, v3 offset:swizzle(BROADCAST,32,15)
	ds_swizzle_b32 v1, v2 offset:swizzle(BROADCAST,32,15)
	v_and_b32_e32 v2, 16, v43
	s_mov_b32 s7, exec_lo
	s_delay_alu instid0(VALU_DEP_1)
	v_cmpx_ne_u32_e32 0, v2
	s_cbranch_execz .LBB754_101
; %bb.100:
	s_wait_dscnt 0x1
	v_add_co_u32 v2, s4, v17, v3
	s_wait_alu 0xf1ff
	v_add_co_ci_u32_e64 v3, null, 0, v18, s4
	s_delay_alu instid0(VALU_DEP_2) | instskip(SKIP_2) | instid1(VALU_DEP_2)
	v_add_co_u32 v17, s4, v2, 0
	s_wait_dscnt 0x0
	s_wait_alu 0xf1ff
	v_add_co_ci_u32_e64 v18, null, v3, v1, s4
.LBB754_101:
	s_wait_alu 0xfffe
	s_or_b32 exec_lo, exec_lo, s7
	s_wait_dscnt 0x0
	v_and_b32_e32 v1, 0x1e0, v0
	v_lshrrev_b32_e32 v3, 5, v0
	s_mov_b32 s7, exec_lo
	s_delay_alu instid0(VALU_DEP_2) | instskip(NEXT) | instid1(VALU_DEP_1)
	v_min_u32_e32 v1, 0x160, v1
	v_or_b32_e32 v1, 31, v1
	s_delay_alu instid0(VALU_DEP_1)
	v_cmpx_eq_u32_e64 v0, v1
; %bb.102:
	v_lshlrev_b32_e32 v1, 3, v3
	ds_store_b64 v1, v[17:18]
; %bb.103:
	s_wait_alu 0xfffe
	s_or_b32 exec_lo, exec_lo, s7
	s_delay_alu instid0(SALU_CYCLE_1)
	s_mov_b32 s7, exec_lo
	s_wait_loadcnt_dscnt 0x0
	s_barrier_signal -1
	s_barrier_wait -1
	global_inv scope:SCOPE_SE
	v_cmpx_gt_u32_e32 12, v0
	s_cbranch_execz .LBB754_113
; %bb.104:
	v_mad_i32_i24 v1, 0xffffffec, v0, v32
	ds_load_b64 v[1:2], v1
	s_wait_dscnt 0x0
	v_mov_b32_dpp v6, v1 row_shr:1 row_mask:0xf bank_mask:0xf
	v_mov_b32_dpp v5, v2 row_shr:1 row_mask:0xf bank_mask:0xf
	v_mov_b32_e32 v4, v1
	s_and_saveexec_b32 s4, s0
; %bb.105:
	s_delay_alu instid0(VALU_DEP_3) | instskip(SKIP_2) | instid1(VALU_DEP_2)
	v_add_co_u32 v4, s0, v1, v6
	s_wait_alu 0xf1ff
	v_add_co_ci_u32_e64 v2, null, 0, v2, s0
	v_add_co_u32 v1, s0, 0, v4
	s_wait_alu 0xf1ff
	s_delay_alu instid0(VALU_DEP_2)
	v_add_co_ci_u32_e64 v2, null, v5, v2, s0
; %bb.106:
	s_wait_alu 0xfffe
	s_or_b32 exec_lo, exec_lo, s4
	v_mov_b32_dpp v6, v4 row_shr:2 row_mask:0xf bank_mask:0xf
	s_delay_alu instid0(VALU_DEP_2)
	v_mov_b32_dpp v5, v2 row_shr:2 row_mask:0xf bank_mask:0xf
	s_and_saveexec_b32 s0, vcc_lo
; %bb.107:
	s_delay_alu instid0(VALU_DEP_2) | instskip(SKIP_2) | instid1(VALU_DEP_2)
	v_add_co_u32 v4, vcc_lo, v1, v6
	s_wait_alu 0xfffd
	v_add_co_ci_u32_e64 v2, null, 0, v2, vcc_lo
	v_add_co_u32 v1, vcc_lo, 0, v4
	s_wait_alu 0xfffd
	s_delay_alu instid0(VALU_DEP_2)
	v_add_co_ci_u32_e64 v2, null, v5, v2, vcc_lo
; %bb.108:
	s_wait_alu 0xfffe
	s_or_b32 exec_lo, exec_lo, s0
	v_mov_b32_dpp v6, v4 row_shr:4 row_mask:0xf bank_mask:0xf
	s_delay_alu instid0(VALU_DEP_2)
	v_mov_b32_dpp v5, v2 row_shr:4 row_mask:0xf bank_mask:0xf
	s_and_saveexec_b32 s0, s1
; %bb.109:
	s_delay_alu instid0(VALU_DEP_2) | instskip(SKIP_2) | instid1(VALU_DEP_2)
	v_add_co_u32 v4, vcc_lo, v1, v6
	s_wait_alu 0xfffd
	v_add_co_ci_u32_e64 v2, null, 0, v2, vcc_lo
	v_add_co_u32 v1, vcc_lo, 0, v4
	s_wait_alu 0xfffd
	s_delay_alu instid0(VALU_DEP_2)
	v_add_co_ci_u32_e64 v2, null, v5, v2, vcc_lo
; %bb.110:
	s_wait_alu 0xfffe
	s_or_b32 exec_lo, exec_lo, s0
	v_mul_i32_i24_e32 v5, 0xffffffec, v0
	v_mov_b32_dpp v6, v4 row_shr:8 row_mask:0xf bank_mask:0xf
	v_mov_b32_dpp v4, v2 row_shr:8 row_mask:0xf bank_mask:0xf
	s_and_saveexec_b32 s0, s3
; %bb.111:
	s_delay_alu instid0(VALU_DEP_2) | instskip(SKIP_2) | instid1(VALU_DEP_2)
	v_add_co_u32 v1, vcc_lo, v1, v6
	s_wait_alu 0xfffd
	v_add_co_ci_u32_e64 v2, null, 0, v2, vcc_lo
	v_add_co_u32 v1, vcc_lo, v1, 0
	s_wait_alu 0xfffd
	s_delay_alu instid0(VALU_DEP_2)
	v_add_co_ci_u32_e64 v2, null, v2, v4, vcc_lo
; %bb.112:
	s_wait_alu 0xfffe
	s_or_b32 exec_lo, exec_lo, s0
	v_add_nc_u32_e32 v4, v32, v5
	ds_store_b64 v4, v[1:2]
.LBB754_113:
	s_wait_alu 0xfffe
	s_or_b32 exec_lo, exec_lo, s7
	v_mov_b32_e32 v6, 0
	v_mov_b32_e32 v7, 0
	s_mov_b32 s0, exec_lo
	s_wait_loadcnt_dscnt 0x0
	s_barrier_signal -1
	s_barrier_wait -1
	global_inv scope:SCOPE_SE
	v_cmpx_lt_u32_e32 31, v0
; %bb.114:
	v_lshl_add_u32 v1, v3, 3, -8
	ds_load_b64 v[6:7], v1
; %bb.115:
	s_wait_alu 0xfffe
	s_or_b32 exec_lo, exec_lo, s0
	v_sub_co_u32 v1, vcc_lo, v43, 1
	v_mov_b32_e32 v5, 0
	s_delay_alu instid0(VALU_DEP_2) | instskip(SKIP_1) | instid1(VALU_DEP_1)
	v_cmp_gt_i32_e64 s0, 0, v1
	s_wait_alu 0xf1ff
	v_cndmask_b32_e64 v1, v1, v43, s0
	s_delay_alu instid0(VALU_DEP_1)
	v_lshlrev_b32_e32 v2, 2, v1
	s_wait_dscnt 0x0
	v_add_co_u32 v1, s0, v6, v17
	s_wait_alu 0xf1ff
	v_add_co_ci_u32_e64 v3, null, v7, v18, s0
	ds_bpermute_b32 v1, v2, v1
	ds_bpermute_b32 v8, v2, v3
	ds_load_b64 v[2:3], v5 offset:88
	s_and_saveexec_b32 s0, s2
	s_cbranch_execz .LBB754_117
; %bb.116:
	s_add_nc_u64 s[10:11], s[14:15], 0x200
	v_mov_b32_e32 v4, 2
	v_dual_mov_b32 v18, s11 :: v_dual_mov_b32 v17, s10
	s_wait_dscnt 0x0
	;;#ASMSTART
	global_store_b128 v[17:18], v[2:5] off scope:SCOPE_DEV	
s_wait_storecnt 0x0
	;;#ASMEND
.LBB754_117:
	s_wait_alu 0xfffe
	s_or_b32 exec_lo, exec_lo, s0
	s_wait_dscnt 0x1
	s_wait_alu 0xfffd
	v_dual_cndmask_b32 v1, v1, v6 :: v_dual_cndmask_b32 v4, v8, v7
	s_wait_loadcnt_dscnt 0x0
	s_barrier_signal -1
	s_barrier_wait -1
	s_delay_alu instid0(VALU_DEP_1)
	v_cndmask_b32_e64 v29, v1, 0, s2
	v_cndmask_b32_e64 v30, v4, 0, s2
	v_mov_b32_e32 v4, 0
	v_mov_b32_e32 v5, 0
	global_inv scope:SCOPE_SE
	v_add_co_u32 v27, vcc_lo, v29, v42
	s_wait_alu 0xfffd
	v_add_co_ci_u32_e64 v28, null, 0, v30, vcc_lo
	s_delay_alu instid0(VALU_DEP_2) | instskip(SKIP_1) | instid1(VALU_DEP_2)
	v_add_co_u32 v25, vcc_lo, v27, v40
	s_wait_alu 0xfffd
	v_add_co_ci_u32_e64 v26, null, 0, v28, vcc_lo
	s_delay_alu instid0(VALU_DEP_2) | instskip(SKIP_1) | instid1(VALU_DEP_2)
	;; [unrolled: 4-line block ×5, first 2 shown]
	v_add_co_u32 v19, vcc_lo, v6, v38
	s_wait_alu 0xfffd
	v_add_co_ci_u32_e64 v20, null, 0, v7, vcc_lo
.LBB754_118:
	v_and_b32_e32 v38, 1, v31
	s_wait_dscnt 0x0
	v_cmp_gt_u64_e32 vcc_lo, 0x181, v[2:3]
	v_lshlrev_b64_e32 v[17:18], 2, v[9:10]
	v_lshrrev_b32_e32 v8, 8, v31
	v_lshrrev_b32_e32 v1, 16, v31
	v_cmp_eq_u32_e64 s0, 1, v38
	s_mov_b32 s1, -1
	s_cbranch_vccnz .LBB754_122
; %bb.119:
	s_wait_alu 0xfffe
	s_and_b32 vcc_lo, exec_lo, s1
	s_wait_alu 0xfffe
	s_cbranch_vccnz .LBB754_137
.LBB754_120:
	s_and_b32 s0, s2, s6
	s_wait_alu 0xfffe
	s_and_saveexec_b32 s1, s0
	s_cbranch_execnz .LBB754_154
.LBB754_121:
	s_endpgm
.LBB754_122:
	v_add_co_u32 v31, vcc_lo, v4, v2
	s_wait_alu 0xfffd
	v_add_co_ci_u32_e64 v32, null, v5, v3, vcc_lo
	v_add_co_u32 v39, s1, s12, v17
	s_wait_alu 0xf1fe
	v_add_co_ci_u32_e64 v40, null, s13, v18, s1
	s_delay_alu instid0(VALU_DEP_3)
	v_cmp_lt_u64_e32 vcc_lo, v[29:30], v[31:32]
	s_or_b32 s1, s5, vcc_lo
	s_wait_alu 0xfffe
	s_and_b32 s1, s1, s0
	s_wait_alu 0xfffe
	s_and_saveexec_b32 s0, s1
	s_cbranch_execz .LBB754_124
; %bb.123:
	v_lshlrev_b64_e32 v[41:42], 2, v[29:30]
	s_delay_alu instid0(VALU_DEP_1) | instskip(SKIP_1) | instid1(VALU_DEP_2)
	v_add_co_u32 v41, vcc_lo, v39, v41
	s_wait_alu 0xfffd
	v_add_co_ci_u32_e64 v42, null, v40, v42, vcc_lo
	global_store_b32 v[41:42], v15, off
.LBB754_124:
	s_wait_alu 0xfffe
	s_or_b32 exec_lo, exec_lo, s0
	v_and_b32_e32 v30, 1, v8
	v_cmp_lt_u64_e32 vcc_lo, v[27:28], v[31:32]
	s_delay_alu instid0(VALU_DEP_2)
	v_cmp_eq_u32_e64 s0, 1, v30
	s_or_b32 s1, s5, vcc_lo
	s_wait_alu 0xfffe
	s_and_b32 s1, s1, s0
	s_wait_alu 0xfffe
	s_and_saveexec_b32 s0, s1
	s_cbranch_execz .LBB754_126
; %bb.125:
	v_lshlrev_b64_e32 v[41:42], 2, v[27:28]
	s_delay_alu instid0(VALU_DEP_1) | instskip(SKIP_1) | instid1(VALU_DEP_2)
	v_add_co_u32 v41, vcc_lo, v39, v41
	s_wait_alu 0xfffd
	v_add_co_ci_u32_e64 v42, null, v40, v42, vcc_lo
	global_store_b32 v[41:42], v16, off
.LBB754_126:
	s_wait_alu 0xfffe
	s_or_b32 exec_lo, exec_lo, s0
	v_and_b32_e32 v28, 1, v1
	v_cmp_lt_u64_e32 vcc_lo, v[25:26], v[31:32]
	s_delay_alu instid0(VALU_DEP_2)
	v_cmp_eq_u32_e64 s0, 1, v28
	;; [unrolled: 20-line block ×6, first 2 shown]
	s_or_b32 s1, s5, vcc_lo
	s_wait_alu 0xfffe
	s_and_b32 s1, s1, s0
	s_wait_alu 0xfffe
	s_and_saveexec_b32 s0, s1
	s_cbranch_execz .LBB754_136
; %bb.135:
	v_lshlrev_b64_e32 v[30:31], 2, v[19:20]
	s_delay_alu instid0(VALU_DEP_1) | instskip(SKIP_1) | instid1(VALU_DEP_2)
	v_add_co_u32 v30, vcc_lo, v39, v30
	s_wait_alu 0xfffd
	v_add_co_ci_u32_e64 v31, null, v40, v31, vcc_lo
	global_store_b32 v[30:31], v33, off
.LBB754_136:
	s_wait_alu 0xfffe
	s_or_b32 exec_lo, exec_lo, s0
	s_branch .LBB754_120
.LBB754_137:
	s_mov_b32 s0, exec_lo
	v_cmpx_eq_u32_e32 1, v38
; %bb.138:
	v_sub_nc_u32_e32 v7, v29, v4
	s_delay_alu instid0(VALU_DEP_1)
	v_lshlrev_b32_e32 v7, 2, v7
	ds_store_b32 v7, v15
; %bb.139:
	s_wait_alu 0xfffe
	s_or_b32 exec_lo, exec_lo, s0
	v_and_b32_e32 v7, 1, v8
	s_mov_b32 s0, exec_lo
	s_delay_alu instid0(VALU_DEP_1)
	v_cmpx_eq_u32_e32 1, v7
; %bb.140:
	v_sub_nc_u32_e32 v7, v27, v4
	s_delay_alu instid0(VALU_DEP_1)
	v_lshlrev_b32_e32 v7, 2, v7
	ds_store_b32 v7, v16
; %bb.141:
	s_wait_alu 0xfffe
	s_or_b32 exec_lo, exec_lo, s0
	v_and_b32_e32 v1, 1, v1
	s_mov_b32 s0, exec_lo
	s_delay_alu instid0(VALU_DEP_1)
	;; [unrolled: 12-line block ×6, first 2 shown]
	v_cmpx_eq_u32_e32 1, v1
; %bb.150:
	v_sub_nc_u32_e32 v1, v19, v4
	s_delay_alu instid0(VALU_DEP_1)
	v_lshlrev_b32_e32 v1, 2, v1
	ds_store_b32 v1, v33
; %bb.151:
	s_wait_alu 0xfffe
	s_or_b32 exec_lo, exec_lo, s0
	v_lshlrev_b64_e32 v[11:12], 2, v[4:5]
	v_add_co_u32 v8, vcc_lo, s12, v17
	v_mov_b32_e32 v1, 0
	s_wait_alu 0xfffd
	v_add_co_ci_u32_e64 v13, null, s13, v18, vcc_lo
	s_delay_alu instid0(VALU_DEP_3) | instskip(NEXT) | instid1(VALU_DEP_3)
	v_add_co_u32 v8, vcc_lo, v8, v11
	v_dual_mov_b32 v7, v1 :: v_dual_mov_b32 v6, v0
	s_wait_alu 0xfffd
	s_delay_alu instid0(VALU_DEP_3)
	v_add_co_ci_u32_e64 v11, null, v13, v12, vcc_lo
	v_add_nc_u32_e32 v0, 0x180, v0
	s_mov_b32 s1, 0
	s_wait_storecnt 0x0
	s_wait_loadcnt_dscnt 0x0
	s_barrier_signal -1
	s_barrier_wait -1
	global_inv scope:SCOPE_SE
.LBB754_152:                            ; =>This Inner Loop Header: Depth=1
	v_lshlrev_b32_e32 v12, 2, v6
	v_cmp_le_u64_e32 vcc_lo, v[2:3], v[0:1]
	ds_load_b32 v14, v12
	v_lshlrev_b64_e32 v[12:13], 2, v[6:7]
	v_dual_mov_b32 v7, v1 :: v_dual_mov_b32 v6, v0
	v_add_nc_u32_e32 v0, 0x180, v0
	s_wait_alu 0xfffe
	s_or_b32 s1, vcc_lo, s1
	s_delay_alu instid0(VALU_DEP_3)
	v_add_co_u32 v12, s0, v8, v12
	s_wait_alu 0xf1ff
	v_add_co_ci_u32_e64 v13, null, v11, v13, s0
	s_wait_dscnt 0x0
	global_store_b32 v[12:13], v14, off
	s_wait_alu 0xfffe
	s_and_not1_b32 exec_lo, exec_lo, s1
	s_cbranch_execnz .LBB754_152
; %bb.153:
	s_or_b32 exec_lo, exec_lo, s1
	s_and_b32 s0, s2, s6
	s_wait_alu 0xfffe
	s_and_saveexec_b32 s1, s0
	s_cbranch_execz .LBB754_121
.LBB754_154:
	v_add_co_u32 v0, vcc_lo, v4, v2
	s_wait_alu 0xfffd
	v_add_co_ci_u32_e64 v1, null, v5, v3, vcc_lo
	v_mov_b32_e32 v2, 0
	s_delay_alu instid0(VALU_DEP_3) | instskip(SKIP_1) | instid1(VALU_DEP_3)
	v_add_co_u32 v0, vcc_lo, v0, v9
	s_wait_alu 0xfffd
	v_add_co_ci_u32_e64 v1, null, v1, v10, vcc_lo
	global_store_b64 v2, v[0:1], s[8:9]
	s_endpgm
	.section	.rodata,"a",@progbits
	.p2align	6, 0x0
	.amdhsa_kernel _ZN7rocprim17ROCPRIM_400000_NS6detail17trampoline_kernelINS0_14default_configENS1_25partition_config_selectorILNS1_17partition_subalgoE6EiNS0_10empty_typeEbEEZZNS1_14partition_implILS5_6ELb0ES3_mN6thrust23THRUST_200600_302600_NS6detail15normal_iteratorINSA_10device_ptrIiEEEEPS6_SG_NS0_5tupleIJSF_S6_EEENSH_IJSG_SG_EEES6_PlJNSB_9not_fun_tI7is_evenIiEEEEEE10hipError_tPvRmT3_T4_T5_T6_T7_T9_mT8_P12ihipStream_tbDpT10_ENKUlT_T0_E_clISt17integral_constantIbLb0EES17_IbLb1EEEEDaS13_S14_EUlS13_E_NS1_11comp_targetILNS1_3genE10ELNS1_11target_archE1200ELNS1_3gpuE4ELNS1_3repE0EEENS1_30default_config_static_selectorELNS0_4arch9wavefront6targetE0EEEvT1_
		.amdhsa_group_segment_fixed_size 10768
		.amdhsa_private_segment_fixed_size 0
		.amdhsa_kernarg_size 128
		.amdhsa_user_sgpr_count 2
		.amdhsa_user_sgpr_dispatch_ptr 0
		.amdhsa_user_sgpr_queue_ptr 0
		.amdhsa_user_sgpr_kernarg_segment_ptr 1
		.amdhsa_user_sgpr_dispatch_id 0
		.amdhsa_user_sgpr_private_segment_size 0
		.amdhsa_wavefront_size32 1
		.amdhsa_uses_dynamic_stack 0
		.amdhsa_enable_private_segment 0
		.amdhsa_system_sgpr_workgroup_id_x 1
		.amdhsa_system_sgpr_workgroup_id_y 0
		.amdhsa_system_sgpr_workgroup_id_z 0
		.amdhsa_system_sgpr_workgroup_info 0
		.amdhsa_system_vgpr_workitem_id 0
		.amdhsa_next_free_vgpr 52
		.amdhsa_next_free_sgpr 20
		.amdhsa_reserve_vcc 1
		.amdhsa_float_round_mode_32 0
		.amdhsa_float_round_mode_16_64 0
		.amdhsa_float_denorm_mode_32 3
		.amdhsa_float_denorm_mode_16_64 3
		.amdhsa_fp16_overflow 0
		.amdhsa_workgroup_processor_mode 1
		.amdhsa_memory_ordered 1
		.amdhsa_forward_progress 1
		.amdhsa_inst_pref_size 60
		.amdhsa_round_robin_scheduling 0
		.amdhsa_exception_fp_ieee_invalid_op 0
		.amdhsa_exception_fp_denorm_src 0
		.amdhsa_exception_fp_ieee_div_zero 0
		.amdhsa_exception_fp_ieee_overflow 0
		.amdhsa_exception_fp_ieee_underflow 0
		.amdhsa_exception_fp_ieee_inexact 0
		.amdhsa_exception_int_div_zero 0
	.end_amdhsa_kernel
	.section	.text._ZN7rocprim17ROCPRIM_400000_NS6detail17trampoline_kernelINS0_14default_configENS1_25partition_config_selectorILNS1_17partition_subalgoE6EiNS0_10empty_typeEbEEZZNS1_14partition_implILS5_6ELb0ES3_mN6thrust23THRUST_200600_302600_NS6detail15normal_iteratorINSA_10device_ptrIiEEEEPS6_SG_NS0_5tupleIJSF_S6_EEENSH_IJSG_SG_EEES6_PlJNSB_9not_fun_tI7is_evenIiEEEEEE10hipError_tPvRmT3_T4_T5_T6_T7_T9_mT8_P12ihipStream_tbDpT10_ENKUlT_T0_E_clISt17integral_constantIbLb0EES17_IbLb1EEEEDaS13_S14_EUlS13_E_NS1_11comp_targetILNS1_3genE10ELNS1_11target_archE1200ELNS1_3gpuE4ELNS1_3repE0EEENS1_30default_config_static_selectorELNS0_4arch9wavefront6targetE0EEEvT1_,"axG",@progbits,_ZN7rocprim17ROCPRIM_400000_NS6detail17trampoline_kernelINS0_14default_configENS1_25partition_config_selectorILNS1_17partition_subalgoE6EiNS0_10empty_typeEbEEZZNS1_14partition_implILS5_6ELb0ES3_mN6thrust23THRUST_200600_302600_NS6detail15normal_iteratorINSA_10device_ptrIiEEEEPS6_SG_NS0_5tupleIJSF_S6_EEENSH_IJSG_SG_EEES6_PlJNSB_9not_fun_tI7is_evenIiEEEEEE10hipError_tPvRmT3_T4_T5_T6_T7_T9_mT8_P12ihipStream_tbDpT10_ENKUlT_T0_E_clISt17integral_constantIbLb0EES17_IbLb1EEEEDaS13_S14_EUlS13_E_NS1_11comp_targetILNS1_3genE10ELNS1_11target_archE1200ELNS1_3gpuE4ELNS1_3repE0EEENS1_30default_config_static_selectorELNS0_4arch9wavefront6targetE0EEEvT1_,comdat
.Lfunc_end754:
	.size	_ZN7rocprim17ROCPRIM_400000_NS6detail17trampoline_kernelINS0_14default_configENS1_25partition_config_selectorILNS1_17partition_subalgoE6EiNS0_10empty_typeEbEEZZNS1_14partition_implILS5_6ELb0ES3_mN6thrust23THRUST_200600_302600_NS6detail15normal_iteratorINSA_10device_ptrIiEEEEPS6_SG_NS0_5tupleIJSF_S6_EEENSH_IJSG_SG_EEES6_PlJNSB_9not_fun_tI7is_evenIiEEEEEE10hipError_tPvRmT3_T4_T5_T6_T7_T9_mT8_P12ihipStream_tbDpT10_ENKUlT_T0_E_clISt17integral_constantIbLb0EES17_IbLb1EEEEDaS13_S14_EUlS13_E_NS1_11comp_targetILNS1_3genE10ELNS1_11target_archE1200ELNS1_3gpuE4ELNS1_3repE0EEENS1_30default_config_static_selectorELNS0_4arch9wavefront6targetE0EEEvT1_, .Lfunc_end754-_ZN7rocprim17ROCPRIM_400000_NS6detail17trampoline_kernelINS0_14default_configENS1_25partition_config_selectorILNS1_17partition_subalgoE6EiNS0_10empty_typeEbEEZZNS1_14partition_implILS5_6ELb0ES3_mN6thrust23THRUST_200600_302600_NS6detail15normal_iteratorINSA_10device_ptrIiEEEEPS6_SG_NS0_5tupleIJSF_S6_EEENSH_IJSG_SG_EEES6_PlJNSB_9not_fun_tI7is_evenIiEEEEEE10hipError_tPvRmT3_T4_T5_T6_T7_T9_mT8_P12ihipStream_tbDpT10_ENKUlT_T0_E_clISt17integral_constantIbLb0EES17_IbLb1EEEEDaS13_S14_EUlS13_E_NS1_11comp_targetILNS1_3genE10ELNS1_11target_archE1200ELNS1_3gpuE4ELNS1_3repE0EEENS1_30default_config_static_selectorELNS0_4arch9wavefront6targetE0EEEvT1_
                                        ; -- End function
	.set _ZN7rocprim17ROCPRIM_400000_NS6detail17trampoline_kernelINS0_14default_configENS1_25partition_config_selectorILNS1_17partition_subalgoE6EiNS0_10empty_typeEbEEZZNS1_14partition_implILS5_6ELb0ES3_mN6thrust23THRUST_200600_302600_NS6detail15normal_iteratorINSA_10device_ptrIiEEEEPS6_SG_NS0_5tupleIJSF_S6_EEENSH_IJSG_SG_EEES6_PlJNSB_9not_fun_tI7is_evenIiEEEEEE10hipError_tPvRmT3_T4_T5_T6_T7_T9_mT8_P12ihipStream_tbDpT10_ENKUlT_T0_E_clISt17integral_constantIbLb0EES17_IbLb1EEEEDaS13_S14_EUlS13_E_NS1_11comp_targetILNS1_3genE10ELNS1_11target_archE1200ELNS1_3gpuE4ELNS1_3repE0EEENS1_30default_config_static_selectorELNS0_4arch9wavefront6targetE0EEEvT1_.num_vgpr, 52
	.set _ZN7rocprim17ROCPRIM_400000_NS6detail17trampoline_kernelINS0_14default_configENS1_25partition_config_selectorILNS1_17partition_subalgoE6EiNS0_10empty_typeEbEEZZNS1_14partition_implILS5_6ELb0ES3_mN6thrust23THRUST_200600_302600_NS6detail15normal_iteratorINSA_10device_ptrIiEEEEPS6_SG_NS0_5tupleIJSF_S6_EEENSH_IJSG_SG_EEES6_PlJNSB_9not_fun_tI7is_evenIiEEEEEE10hipError_tPvRmT3_T4_T5_T6_T7_T9_mT8_P12ihipStream_tbDpT10_ENKUlT_T0_E_clISt17integral_constantIbLb0EES17_IbLb1EEEEDaS13_S14_EUlS13_E_NS1_11comp_targetILNS1_3genE10ELNS1_11target_archE1200ELNS1_3gpuE4ELNS1_3repE0EEENS1_30default_config_static_selectorELNS0_4arch9wavefront6targetE0EEEvT1_.num_agpr, 0
	.set _ZN7rocprim17ROCPRIM_400000_NS6detail17trampoline_kernelINS0_14default_configENS1_25partition_config_selectorILNS1_17partition_subalgoE6EiNS0_10empty_typeEbEEZZNS1_14partition_implILS5_6ELb0ES3_mN6thrust23THRUST_200600_302600_NS6detail15normal_iteratorINSA_10device_ptrIiEEEEPS6_SG_NS0_5tupleIJSF_S6_EEENSH_IJSG_SG_EEES6_PlJNSB_9not_fun_tI7is_evenIiEEEEEE10hipError_tPvRmT3_T4_T5_T6_T7_T9_mT8_P12ihipStream_tbDpT10_ENKUlT_T0_E_clISt17integral_constantIbLb0EES17_IbLb1EEEEDaS13_S14_EUlS13_E_NS1_11comp_targetILNS1_3genE10ELNS1_11target_archE1200ELNS1_3gpuE4ELNS1_3repE0EEENS1_30default_config_static_selectorELNS0_4arch9wavefront6targetE0EEEvT1_.numbered_sgpr, 20
	.set _ZN7rocprim17ROCPRIM_400000_NS6detail17trampoline_kernelINS0_14default_configENS1_25partition_config_selectorILNS1_17partition_subalgoE6EiNS0_10empty_typeEbEEZZNS1_14partition_implILS5_6ELb0ES3_mN6thrust23THRUST_200600_302600_NS6detail15normal_iteratorINSA_10device_ptrIiEEEEPS6_SG_NS0_5tupleIJSF_S6_EEENSH_IJSG_SG_EEES6_PlJNSB_9not_fun_tI7is_evenIiEEEEEE10hipError_tPvRmT3_T4_T5_T6_T7_T9_mT8_P12ihipStream_tbDpT10_ENKUlT_T0_E_clISt17integral_constantIbLb0EES17_IbLb1EEEEDaS13_S14_EUlS13_E_NS1_11comp_targetILNS1_3genE10ELNS1_11target_archE1200ELNS1_3gpuE4ELNS1_3repE0EEENS1_30default_config_static_selectorELNS0_4arch9wavefront6targetE0EEEvT1_.num_named_barrier, 0
	.set _ZN7rocprim17ROCPRIM_400000_NS6detail17trampoline_kernelINS0_14default_configENS1_25partition_config_selectorILNS1_17partition_subalgoE6EiNS0_10empty_typeEbEEZZNS1_14partition_implILS5_6ELb0ES3_mN6thrust23THRUST_200600_302600_NS6detail15normal_iteratorINSA_10device_ptrIiEEEEPS6_SG_NS0_5tupleIJSF_S6_EEENSH_IJSG_SG_EEES6_PlJNSB_9not_fun_tI7is_evenIiEEEEEE10hipError_tPvRmT3_T4_T5_T6_T7_T9_mT8_P12ihipStream_tbDpT10_ENKUlT_T0_E_clISt17integral_constantIbLb0EES17_IbLb1EEEEDaS13_S14_EUlS13_E_NS1_11comp_targetILNS1_3genE10ELNS1_11target_archE1200ELNS1_3gpuE4ELNS1_3repE0EEENS1_30default_config_static_selectorELNS0_4arch9wavefront6targetE0EEEvT1_.private_seg_size, 0
	.set _ZN7rocprim17ROCPRIM_400000_NS6detail17trampoline_kernelINS0_14default_configENS1_25partition_config_selectorILNS1_17partition_subalgoE6EiNS0_10empty_typeEbEEZZNS1_14partition_implILS5_6ELb0ES3_mN6thrust23THRUST_200600_302600_NS6detail15normal_iteratorINSA_10device_ptrIiEEEEPS6_SG_NS0_5tupleIJSF_S6_EEENSH_IJSG_SG_EEES6_PlJNSB_9not_fun_tI7is_evenIiEEEEEE10hipError_tPvRmT3_T4_T5_T6_T7_T9_mT8_P12ihipStream_tbDpT10_ENKUlT_T0_E_clISt17integral_constantIbLb0EES17_IbLb1EEEEDaS13_S14_EUlS13_E_NS1_11comp_targetILNS1_3genE10ELNS1_11target_archE1200ELNS1_3gpuE4ELNS1_3repE0EEENS1_30default_config_static_selectorELNS0_4arch9wavefront6targetE0EEEvT1_.uses_vcc, 1
	.set _ZN7rocprim17ROCPRIM_400000_NS6detail17trampoline_kernelINS0_14default_configENS1_25partition_config_selectorILNS1_17partition_subalgoE6EiNS0_10empty_typeEbEEZZNS1_14partition_implILS5_6ELb0ES3_mN6thrust23THRUST_200600_302600_NS6detail15normal_iteratorINSA_10device_ptrIiEEEEPS6_SG_NS0_5tupleIJSF_S6_EEENSH_IJSG_SG_EEES6_PlJNSB_9not_fun_tI7is_evenIiEEEEEE10hipError_tPvRmT3_T4_T5_T6_T7_T9_mT8_P12ihipStream_tbDpT10_ENKUlT_T0_E_clISt17integral_constantIbLb0EES17_IbLb1EEEEDaS13_S14_EUlS13_E_NS1_11comp_targetILNS1_3genE10ELNS1_11target_archE1200ELNS1_3gpuE4ELNS1_3repE0EEENS1_30default_config_static_selectorELNS0_4arch9wavefront6targetE0EEEvT1_.uses_flat_scratch, 1
	.set _ZN7rocprim17ROCPRIM_400000_NS6detail17trampoline_kernelINS0_14default_configENS1_25partition_config_selectorILNS1_17partition_subalgoE6EiNS0_10empty_typeEbEEZZNS1_14partition_implILS5_6ELb0ES3_mN6thrust23THRUST_200600_302600_NS6detail15normal_iteratorINSA_10device_ptrIiEEEEPS6_SG_NS0_5tupleIJSF_S6_EEENSH_IJSG_SG_EEES6_PlJNSB_9not_fun_tI7is_evenIiEEEEEE10hipError_tPvRmT3_T4_T5_T6_T7_T9_mT8_P12ihipStream_tbDpT10_ENKUlT_T0_E_clISt17integral_constantIbLb0EES17_IbLb1EEEEDaS13_S14_EUlS13_E_NS1_11comp_targetILNS1_3genE10ELNS1_11target_archE1200ELNS1_3gpuE4ELNS1_3repE0EEENS1_30default_config_static_selectorELNS0_4arch9wavefront6targetE0EEEvT1_.has_dyn_sized_stack, 0
	.set _ZN7rocprim17ROCPRIM_400000_NS6detail17trampoline_kernelINS0_14default_configENS1_25partition_config_selectorILNS1_17partition_subalgoE6EiNS0_10empty_typeEbEEZZNS1_14partition_implILS5_6ELb0ES3_mN6thrust23THRUST_200600_302600_NS6detail15normal_iteratorINSA_10device_ptrIiEEEEPS6_SG_NS0_5tupleIJSF_S6_EEENSH_IJSG_SG_EEES6_PlJNSB_9not_fun_tI7is_evenIiEEEEEE10hipError_tPvRmT3_T4_T5_T6_T7_T9_mT8_P12ihipStream_tbDpT10_ENKUlT_T0_E_clISt17integral_constantIbLb0EES17_IbLb1EEEEDaS13_S14_EUlS13_E_NS1_11comp_targetILNS1_3genE10ELNS1_11target_archE1200ELNS1_3gpuE4ELNS1_3repE0EEENS1_30default_config_static_selectorELNS0_4arch9wavefront6targetE0EEEvT1_.has_recursion, 0
	.set _ZN7rocprim17ROCPRIM_400000_NS6detail17trampoline_kernelINS0_14default_configENS1_25partition_config_selectorILNS1_17partition_subalgoE6EiNS0_10empty_typeEbEEZZNS1_14partition_implILS5_6ELb0ES3_mN6thrust23THRUST_200600_302600_NS6detail15normal_iteratorINSA_10device_ptrIiEEEEPS6_SG_NS0_5tupleIJSF_S6_EEENSH_IJSG_SG_EEES6_PlJNSB_9not_fun_tI7is_evenIiEEEEEE10hipError_tPvRmT3_T4_T5_T6_T7_T9_mT8_P12ihipStream_tbDpT10_ENKUlT_T0_E_clISt17integral_constantIbLb0EES17_IbLb1EEEEDaS13_S14_EUlS13_E_NS1_11comp_targetILNS1_3genE10ELNS1_11target_archE1200ELNS1_3gpuE4ELNS1_3repE0EEENS1_30default_config_static_selectorELNS0_4arch9wavefront6targetE0EEEvT1_.has_indirect_call, 0
	.section	.AMDGPU.csdata,"",@progbits
; Kernel info:
; codeLenInByte = 7600
; TotalNumSgprs: 22
; NumVgprs: 52
; ScratchSize: 0
; MemoryBound: 0
; FloatMode: 240
; IeeeMode: 1
; LDSByteSize: 10768 bytes/workgroup (compile time only)
; SGPRBlocks: 0
; VGPRBlocks: 6
; NumSGPRsForWavesPerEU: 22
; NumVGPRsForWavesPerEU: 52
; Occupancy: 15
; WaveLimiterHint : 1
; COMPUTE_PGM_RSRC2:SCRATCH_EN: 0
; COMPUTE_PGM_RSRC2:USER_SGPR: 2
; COMPUTE_PGM_RSRC2:TRAP_HANDLER: 0
; COMPUTE_PGM_RSRC2:TGID_X_EN: 1
; COMPUTE_PGM_RSRC2:TGID_Y_EN: 0
; COMPUTE_PGM_RSRC2:TGID_Z_EN: 0
; COMPUTE_PGM_RSRC2:TIDIG_COMP_CNT: 0
	.section	.text._ZN7rocprim17ROCPRIM_400000_NS6detail17trampoline_kernelINS0_14default_configENS1_25partition_config_selectorILNS1_17partition_subalgoE6EiNS0_10empty_typeEbEEZZNS1_14partition_implILS5_6ELb0ES3_mN6thrust23THRUST_200600_302600_NS6detail15normal_iteratorINSA_10device_ptrIiEEEEPS6_SG_NS0_5tupleIJSF_S6_EEENSH_IJSG_SG_EEES6_PlJNSB_9not_fun_tI7is_evenIiEEEEEE10hipError_tPvRmT3_T4_T5_T6_T7_T9_mT8_P12ihipStream_tbDpT10_ENKUlT_T0_E_clISt17integral_constantIbLb0EES17_IbLb1EEEEDaS13_S14_EUlS13_E_NS1_11comp_targetILNS1_3genE9ELNS1_11target_archE1100ELNS1_3gpuE3ELNS1_3repE0EEENS1_30default_config_static_selectorELNS0_4arch9wavefront6targetE0EEEvT1_,"axG",@progbits,_ZN7rocprim17ROCPRIM_400000_NS6detail17trampoline_kernelINS0_14default_configENS1_25partition_config_selectorILNS1_17partition_subalgoE6EiNS0_10empty_typeEbEEZZNS1_14partition_implILS5_6ELb0ES3_mN6thrust23THRUST_200600_302600_NS6detail15normal_iteratorINSA_10device_ptrIiEEEEPS6_SG_NS0_5tupleIJSF_S6_EEENSH_IJSG_SG_EEES6_PlJNSB_9not_fun_tI7is_evenIiEEEEEE10hipError_tPvRmT3_T4_T5_T6_T7_T9_mT8_P12ihipStream_tbDpT10_ENKUlT_T0_E_clISt17integral_constantIbLb0EES17_IbLb1EEEEDaS13_S14_EUlS13_E_NS1_11comp_targetILNS1_3genE9ELNS1_11target_archE1100ELNS1_3gpuE3ELNS1_3repE0EEENS1_30default_config_static_selectorELNS0_4arch9wavefront6targetE0EEEvT1_,comdat
	.protected	_ZN7rocprim17ROCPRIM_400000_NS6detail17trampoline_kernelINS0_14default_configENS1_25partition_config_selectorILNS1_17partition_subalgoE6EiNS0_10empty_typeEbEEZZNS1_14partition_implILS5_6ELb0ES3_mN6thrust23THRUST_200600_302600_NS6detail15normal_iteratorINSA_10device_ptrIiEEEEPS6_SG_NS0_5tupleIJSF_S6_EEENSH_IJSG_SG_EEES6_PlJNSB_9not_fun_tI7is_evenIiEEEEEE10hipError_tPvRmT3_T4_T5_T6_T7_T9_mT8_P12ihipStream_tbDpT10_ENKUlT_T0_E_clISt17integral_constantIbLb0EES17_IbLb1EEEEDaS13_S14_EUlS13_E_NS1_11comp_targetILNS1_3genE9ELNS1_11target_archE1100ELNS1_3gpuE3ELNS1_3repE0EEENS1_30default_config_static_selectorELNS0_4arch9wavefront6targetE0EEEvT1_ ; -- Begin function _ZN7rocprim17ROCPRIM_400000_NS6detail17trampoline_kernelINS0_14default_configENS1_25partition_config_selectorILNS1_17partition_subalgoE6EiNS0_10empty_typeEbEEZZNS1_14partition_implILS5_6ELb0ES3_mN6thrust23THRUST_200600_302600_NS6detail15normal_iteratorINSA_10device_ptrIiEEEEPS6_SG_NS0_5tupleIJSF_S6_EEENSH_IJSG_SG_EEES6_PlJNSB_9not_fun_tI7is_evenIiEEEEEE10hipError_tPvRmT3_T4_T5_T6_T7_T9_mT8_P12ihipStream_tbDpT10_ENKUlT_T0_E_clISt17integral_constantIbLb0EES17_IbLb1EEEEDaS13_S14_EUlS13_E_NS1_11comp_targetILNS1_3genE9ELNS1_11target_archE1100ELNS1_3gpuE3ELNS1_3repE0EEENS1_30default_config_static_selectorELNS0_4arch9wavefront6targetE0EEEvT1_
	.globl	_ZN7rocprim17ROCPRIM_400000_NS6detail17trampoline_kernelINS0_14default_configENS1_25partition_config_selectorILNS1_17partition_subalgoE6EiNS0_10empty_typeEbEEZZNS1_14partition_implILS5_6ELb0ES3_mN6thrust23THRUST_200600_302600_NS6detail15normal_iteratorINSA_10device_ptrIiEEEEPS6_SG_NS0_5tupleIJSF_S6_EEENSH_IJSG_SG_EEES6_PlJNSB_9not_fun_tI7is_evenIiEEEEEE10hipError_tPvRmT3_T4_T5_T6_T7_T9_mT8_P12ihipStream_tbDpT10_ENKUlT_T0_E_clISt17integral_constantIbLb0EES17_IbLb1EEEEDaS13_S14_EUlS13_E_NS1_11comp_targetILNS1_3genE9ELNS1_11target_archE1100ELNS1_3gpuE3ELNS1_3repE0EEENS1_30default_config_static_selectorELNS0_4arch9wavefront6targetE0EEEvT1_
	.p2align	8
	.type	_ZN7rocprim17ROCPRIM_400000_NS6detail17trampoline_kernelINS0_14default_configENS1_25partition_config_selectorILNS1_17partition_subalgoE6EiNS0_10empty_typeEbEEZZNS1_14partition_implILS5_6ELb0ES3_mN6thrust23THRUST_200600_302600_NS6detail15normal_iteratorINSA_10device_ptrIiEEEEPS6_SG_NS0_5tupleIJSF_S6_EEENSH_IJSG_SG_EEES6_PlJNSB_9not_fun_tI7is_evenIiEEEEEE10hipError_tPvRmT3_T4_T5_T6_T7_T9_mT8_P12ihipStream_tbDpT10_ENKUlT_T0_E_clISt17integral_constantIbLb0EES17_IbLb1EEEEDaS13_S14_EUlS13_E_NS1_11comp_targetILNS1_3genE9ELNS1_11target_archE1100ELNS1_3gpuE3ELNS1_3repE0EEENS1_30default_config_static_selectorELNS0_4arch9wavefront6targetE0EEEvT1_,@function
_ZN7rocprim17ROCPRIM_400000_NS6detail17trampoline_kernelINS0_14default_configENS1_25partition_config_selectorILNS1_17partition_subalgoE6EiNS0_10empty_typeEbEEZZNS1_14partition_implILS5_6ELb0ES3_mN6thrust23THRUST_200600_302600_NS6detail15normal_iteratorINSA_10device_ptrIiEEEEPS6_SG_NS0_5tupleIJSF_S6_EEENSH_IJSG_SG_EEES6_PlJNSB_9not_fun_tI7is_evenIiEEEEEE10hipError_tPvRmT3_T4_T5_T6_T7_T9_mT8_P12ihipStream_tbDpT10_ENKUlT_T0_E_clISt17integral_constantIbLb0EES17_IbLb1EEEEDaS13_S14_EUlS13_E_NS1_11comp_targetILNS1_3genE9ELNS1_11target_archE1100ELNS1_3gpuE3ELNS1_3repE0EEENS1_30default_config_static_selectorELNS0_4arch9wavefront6targetE0EEEvT1_: ; @_ZN7rocprim17ROCPRIM_400000_NS6detail17trampoline_kernelINS0_14default_configENS1_25partition_config_selectorILNS1_17partition_subalgoE6EiNS0_10empty_typeEbEEZZNS1_14partition_implILS5_6ELb0ES3_mN6thrust23THRUST_200600_302600_NS6detail15normal_iteratorINSA_10device_ptrIiEEEEPS6_SG_NS0_5tupleIJSF_S6_EEENSH_IJSG_SG_EEES6_PlJNSB_9not_fun_tI7is_evenIiEEEEEE10hipError_tPvRmT3_T4_T5_T6_T7_T9_mT8_P12ihipStream_tbDpT10_ENKUlT_T0_E_clISt17integral_constantIbLb0EES17_IbLb1EEEEDaS13_S14_EUlS13_E_NS1_11comp_targetILNS1_3genE9ELNS1_11target_archE1100ELNS1_3gpuE3ELNS1_3repE0EEENS1_30default_config_static_selectorELNS0_4arch9wavefront6targetE0EEEvT1_
; %bb.0:
	.section	.rodata,"a",@progbits
	.p2align	6, 0x0
	.amdhsa_kernel _ZN7rocprim17ROCPRIM_400000_NS6detail17trampoline_kernelINS0_14default_configENS1_25partition_config_selectorILNS1_17partition_subalgoE6EiNS0_10empty_typeEbEEZZNS1_14partition_implILS5_6ELb0ES3_mN6thrust23THRUST_200600_302600_NS6detail15normal_iteratorINSA_10device_ptrIiEEEEPS6_SG_NS0_5tupleIJSF_S6_EEENSH_IJSG_SG_EEES6_PlJNSB_9not_fun_tI7is_evenIiEEEEEE10hipError_tPvRmT3_T4_T5_T6_T7_T9_mT8_P12ihipStream_tbDpT10_ENKUlT_T0_E_clISt17integral_constantIbLb0EES17_IbLb1EEEEDaS13_S14_EUlS13_E_NS1_11comp_targetILNS1_3genE9ELNS1_11target_archE1100ELNS1_3gpuE3ELNS1_3repE0EEENS1_30default_config_static_selectorELNS0_4arch9wavefront6targetE0EEEvT1_
		.amdhsa_group_segment_fixed_size 0
		.amdhsa_private_segment_fixed_size 0
		.amdhsa_kernarg_size 128
		.amdhsa_user_sgpr_count 2
		.amdhsa_user_sgpr_dispatch_ptr 0
		.amdhsa_user_sgpr_queue_ptr 0
		.amdhsa_user_sgpr_kernarg_segment_ptr 1
		.amdhsa_user_sgpr_dispatch_id 0
		.amdhsa_user_sgpr_private_segment_size 0
		.amdhsa_wavefront_size32 1
		.amdhsa_uses_dynamic_stack 0
		.amdhsa_enable_private_segment 0
		.amdhsa_system_sgpr_workgroup_id_x 1
		.amdhsa_system_sgpr_workgroup_id_y 0
		.amdhsa_system_sgpr_workgroup_id_z 0
		.amdhsa_system_sgpr_workgroup_info 0
		.amdhsa_system_vgpr_workitem_id 0
		.amdhsa_next_free_vgpr 1
		.amdhsa_next_free_sgpr 1
		.amdhsa_reserve_vcc 0
		.amdhsa_float_round_mode_32 0
		.amdhsa_float_round_mode_16_64 0
		.amdhsa_float_denorm_mode_32 3
		.amdhsa_float_denorm_mode_16_64 3
		.amdhsa_fp16_overflow 0
		.amdhsa_workgroup_processor_mode 1
		.amdhsa_memory_ordered 1
		.amdhsa_forward_progress 1
		.amdhsa_inst_pref_size 0
		.amdhsa_round_robin_scheduling 0
		.amdhsa_exception_fp_ieee_invalid_op 0
		.amdhsa_exception_fp_denorm_src 0
		.amdhsa_exception_fp_ieee_div_zero 0
		.amdhsa_exception_fp_ieee_overflow 0
		.amdhsa_exception_fp_ieee_underflow 0
		.amdhsa_exception_fp_ieee_inexact 0
		.amdhsa_exception_int_div_zero 0
	.end_amdhsa_kernel
	.section	.text._ZN7rocprim17ROCPRIM_400000_NS6detail17trampoline_kernelINS0_14default_configENS1_25partition_config_selectorILNS1_17partition_subalgoE6EiNS0_10empty_typeEbEEZZNS1_14partition_implILS5_6ELb0ES3_mN6thrust23THRUST_200600_302600_NS6detail15normal_iteratorINSA_10device_ptrIiEEEEPS6_SG_NS0_5tupleIJSF_S6_EEENSH_IJSG_SG_EEES6_PlJNSB_9not_fun_tI7is_evenIiEEEEEE10hipError_tPvRmT3_T4_T5_T6_T7_T9_mT8_P12ihipStream_tbDpT10_ENKUlT_T0_E_clISt17integral_constantIbLb0EES17_IbLb1EEEEDaS13_S14_EUlS13_E_NS1_11comp_targetILNS1_3genE9ELNS1_11target_archE1100ELNS1_3gpuE3ELNS1_3repE0EEENS1_30default_config_static_selectorELNS0_4arch9wavefront6targetE0EEEvT1_,"axG",@progbits,_ZN7rocprim17ROCPRIM_400000_NS6detail17trampoline_kernelINS0_14default_configENS1_25partition_config_selectorILNS1_17partition_subalgoE6EiNS0_10empty_typeEbEEZZNS1_14partition_implILS5_6ELb0ES3_mN6thrust23THRUST_200600_302600_NS6detail15normal_iteratorINSA_10device_ptrIiEEEEPS6_SG_NS0_5tupleIJSF_S6_EEENSH_IJSG_SG_EEES6_PlJNSB_9not_fun_tI7is_evenIiEEEEEE10hipError_tPvRmT3_T4_T5_T6_T7_T9_mT8_P12ihipStream_tbDpT10_ENKUlT_T0_E_clISt17integral_constantIbLb0EES17_IbLb1EEEEDaS13_S14_EUlS13_E_NS1_11comp_targetILNS1_3genE9ELNS1_11target_archE1100ELNS1_3gpuE3ELNS1_3repE0EEENS1_30default_config_static_selectorELNS0_4arch9wavefront6targetE0EEEvT1_,comdat
.Lfunc_end755:
	.size	_ZN7rocprim17ROCPRIM_400000_NS6detail17trampoline_kernelINS0_14default_configENS1_25partition_config_selectorILNS1_17partition_subalgoE6EiNS0_10empty_typeEbEEZZNS1_14partition_implILS5_6ELb0ES3_mN6thrust23THRUST_200600_302600_NS6detail15normal_iteratorINSA_10device_ptrIiEEEEPS6_SG_NS0_5tupleIJSF_S6_EEENSH_IJSG_SG_EEES6_PlJNSB_9not_fun_tI7is_evenIiEEEEEE10hipError_tPvRmT3_T4_T5_T6_T7_T9_mT8_P12ihipStream_tbDpT10_ENKUlT_T0_E_clISt17integral_constantIbLb0EES17_IbLb1EEEEDaS13_S14_EUlS13_E_NS1_11comp_targetILNS1_3genE9ELNS1_11target_archE1100ELNS1_3gpuE3ELNS1_3repE0EEENS1_30default_config_static_selectorELNS0_4arch9wavefront6targetE0EEEvT1_, .Lfunc_end755-_ZN7rocprim17ROCPRIM_400000_NS6detail17trampoline_kernelINS0_14default_configENS1_25partition_config_selectorILNS1_17partition_subalgoE6EiNS0_10empty_typeEbEEZZNS1_14partition_implILS5_6ELb0ES3_mN6thrust23THRUST_200600_302600_NS6detail15normal_iteratorINSA_10device_ptrIiEEEEPS6_SG_NS0_5tupleIJSF_S6_EEENSH_IJSG_SG_EEES6_PlJNSB_9not_fun_tI7is_evenIiEEEEEE10hipError_tPvRmT3_T4_T5_T6_T7_T9_mT8_P12ihipStream_tbDpT10_ENKUlT_T0_E_clISt17integral_constantIbLb0EES17_IbLb1EEEEDaS13_S14_EUlS13_E_NS1_11comp_targetILNS1_3genE9ELNS1_11target_archE1100ELNS1_3gpuE3ELNS1_3repE0EEENS1_30default_config_static_selectorELNS0_4arch9wavefront6targetE0EEEvT1_
                                        ; -- End function
	.set _ZN7rocprim17ROCPRIM_400000_NS6detail17trampoline_kernelINS0_14default_configENS1_25partition_config_selectorILNS1_17partition_subalgoE6EiNS0_10empty_typeEbEEZZNS1_14partition_implILS5_6ELb0ES3_mN6thrust23THRUST_200600_302600_NS6detail15normal_iteratorINSA_10device_ptrIiEEEEPS6_SG_NS0_5tupleIJSF_S6_EEENSH_IJSG_SG_EEES6_PlJNSB_9not_fun_tI7is_evenIiEEEEEE10hipError_tPvRmT3_T4_T5_T6_T7_T9_mT8_P12ihipStream_tbDpT10_ENKUlT_T0_E_clISt17integral_constantIbLb0EES17_IbLb1EEEEDaS13_S14_EUlS13_E_NS1_11comp_targetILNS1_3genE9ELNS1_11target_archE1100ELNS1_3gpuE3ELNS1_3repE0EEENS1_30default_config_static_selectorELNS0_4arch9wavefront6targetE0EEEvT1_.num_vgpr, 0
	.set _ZN7rocprim17ROCPRIM_400000_NS6detail17trampoline_kernelINS0_14default_configENS1_25partition_config_selectorILNS1_17partition_subalgoE6EiNS0_10empty_typeEbEEZZNS1_14partition_implILS5_6ELb0ES3_mN6thrust23THRUST_200600_302600_NS6detail15normal_iteratorINSA_10device_ptrIiEEEEPS6_SG_NS0_5tupleIJSF_S6_EEENSH_IJSG_SG_EEES6_PlJNSB_9not_fun_tI7is_evenIiEEEEEE10hipError_tPvRmT3_T4_T5_T6_T7_T9_mT8_P12ihipStream_tbDpT10_ENKUlT_T0_E_clISt17integral_constantIbLb0EES17_IbLb1EEEEDaS13_S14_EUlS13_E_NS1_11comp_targetILNS1_3genE9ELNS1_11target_archE1100ELNS1_3gpuE3ELNS1_3repE0EEENS1_30default_config_static_selectorELNS0_4arch9wavefront6targetE0EEEvT1_.num_agpr, 0
	.set _ZN7rocprim17ROCPRIM_400000_NS6detail17trampoline_kernelINS0_14default_configENS1_25partition_config_selectorILNS1_17partition_subalgoE6EiNS0_10empty_typeEbEEZZNS1_14partition_implILS5_6ELb0ES3_mN6thrust23THRUST_200600_302600_NS6detail15normal_iteratorINSA_10device_ptrIiEEEEPS6_SG_NS0_5tupleIJSF_S6_EEENSH_IJSG_SG_EEES6_PlJNSB_9not_fun_tI7is_evenIiEEEEEE10hipError_tPvRmT3_T4_T5_T6_T7_T9_mT8_P12ihipStream_tbDpT10_ENKUlT_T0_E_clISt17integral_constantIbLb0EES17_IbLb1EEEEDaS13_S14_EUlS13_E_NS1_11comp_targetILNS1_3genE9ELNS1_11target_archE1100ELNS1_3gpuE3ELNS1_3repE0EEENS1_30default_config_static_selectorELNS0_4arch9wavefront6targetE0EEEvT1_.numbered_sgpr, 0
	.set _ZN7rocprim17ROCPRIM_400000_NS6detail17trampoline_kernelINS0_14default_configENS1_25partition_config_selectorILNS1_17partition_subalgoE6EiNS0_10empty_typeEbEEZZNS1_14partition_implILS5_6ELb0ES3_mN6thrust23THRUST_200600_302600_NS6detail15normal_iteratorINSA_10device_ptrIiEEEEPS6_SG_NS0_5tupleIJSF_S6_EEENSH_IJSG_SG_EEES6_PlJNSB_9not_fun_tI7is_evenIiEEEEEE10hipError_tPvRmT3_T4_T5_T6_T7_T9_mT8_P12ihipStream_tbDpT10_ENKUlT_T0_E_clISt17integral_constantIbLb0EES17_IbLb1EEEEDaS13_S14_EUlS13_E_NS1_11comp_targetILNS1_3genE9ELNS1_11target_archE1100ELNS1_3gpuE3ELNS1_3repE0EEENS1_30default_config_static_selectorELNS0_4arch9wavefront6targetE0EEEvT1_.num_named_barrier, 0
	.set _ZN7rocprim17ROCPRIM_400000_NS6detail17trampoline_kernelINS0_14default_configENS1_25partition_config_selectorILNS1_17partition_subalgoE6EiNS0_10empty_typeEbEEZZNS1_14partition_implILS5_6ELb0ES3_mN6thrust23THRUST_200600_302600_NS6detail15normal_iteratorINSA_10device_ptrIiEEEEPS6_SG_NS0_5tupleIJSF_S6_EEENSH_IJSG_SG_EEES6_PlJNSB_9not_fun_tI7is_evenIiEEEEEE10hipError_tPvRmT3_T4_T5_T6_T7_T9_mT8_P12ihipStream_tbDpT10_ENKUlT_T0_E_clISt17integral_constantIbLb0EES17_IbLb1EEEEDaS13_S14_EUlS13_E_NS1_11comp_targetILNS1_3genE9ELNS1_11target_archE1100ELNS1_3gpuE3ELNS1_3repE0EEENS1_30default_config_static_selectorELNS0_4arch9wavefront6targetE0EEEvT1_.private_seg_size, 0
	.set _ZN7rocprim17ROCPRIM_400000_NS6detail17trampoline_kernelINS0_14default_configENS1_25partition_config_selectorILNS1_17partition_subalgoE6EiNS0_10empty_typeEbEEZZNS1_14partition_implILS5_6ELb0ES3_mN6thrust23THRUST_200600_302600_NS6detail15normal_iteratorINSA_10device_ptrIiEEEEPS6_SG_NS0_5tupleIJSF_S6_EEENSH_IJSG_SG_EEES6_PlJNSB_9not_fun_tI7is_evenIiEEEEEE10hipError_tPvRmT3_T4_T5_T6_T7_T9_mT8_P12ihipStream_tbDpT10_ENKUlT_T0_E_clISt17integral_constantIbLb0EES17_IbLb1EEEEDaS13_S14_EUlS13_E_NS1_11comp_targetILNS1_3genE9ELNS1_11target_archE1100ELNS1_3gpuE3ELNS1_3repE0EEENS1_30default_config_static_selectorELNS0_4arch9wavefront6targetE0EEEvT1_.uses_vcc, 0
	.set _ZN7rocprim17ROCPRIM_400000_NS6detail17trampoline_kernelINS0_14default_configENS1_25partition_config_selectorILNS1_17partition_subalgoE6EiNS0_10empty_typeEbEEZZNS1_14partition_implILS5_6ELb0ES3_mN6thrust23THRUST_200600_302600_NS6detail15normal_iteratorINSA_10device_ptrIiEEEEPS6_SG_NS0_5tupleIJSF_S6_EEENSH_IJSG_SG_EEES6_PlJNSB_9not_fun_tI7is_evenIiEEEEEE10hipError_tPvRmT3_T4_T5_T6_T7_T9_mT8_P12ihipStream_tbDpT10_ENKUlT_T0_E_clISt17integral_constantIbLb0EES17_IbLb1EEEEDaS13_S14_EUlS13_E_NS1_11comp_targetILNS1_3genE9ELNS1_11target_archE1100ELNS1_3gpuE3ELNS1_3repE0EEENS1_30default_config_static_selectorELNS0_4arch9wavefront6targetE0EEEvT1_.uses_flat_scratch, 0
	.set _ZN7rocprim17ROCPRIM_400000_NS6detail17trampoline_kernelINS0_14default_configENS1_25partition_config_selectorILNS1_17partition_subalgoE6EiNS0_10empty_typeEbEEZZNS1_14partition_implILS5_6ELb0ES3_mN6thrust23THRUST_200600_302600_NS6detail15normal_iteratorINSA_10device_ptrIiEEEEPS6_SG_NS0_5tupleIJSF_S6_EEENSH_IJSG_SG_EEES6_PlJNSB_9not_fun_tI7is_evenIiEEEEEE10hipError_tPvRmT3_T4_T5_T6_T7_T9_mT8_P12ihipStream_tbDpT10_ENKUlT_T0_E_clISt17integral_constantIbLb0EES17_IbLb1EEEEDaS13_S14_EUlS13_E_NS1_11comp_targetILNS1_3genE9ELNS1_11target_archE1100ELNS1_3gpuE3ELNS1_3repE0EEENS1_30default_config_static_selectorELNS0_4arch9wavefront6targetE0EEEvT1_.has_dyn_sized_stack, 0
	.set _ZN7rocprim17ROCPRIM_400000_NS6detail17trampoline_kernelINS0_14default_configENS1_25partition_config_selectorILNS1_17partition_subalgoE6EiNS0_10empty_typeEbEEZZNS1_14partition_implILS5_6ELb0ES3_mN6thrust23THRUST_200600_302600_NS6detail15normal_iteratorINSA_10device_ptrIiEEEEPS6_SG_NS0_5tupleIJSF_S6_EEENSH_IJSG_SG_EEES6_PlJNSB_9not_fun_tI7is_evenIiEEEEEE10hipError_tPvRmT3_T4_T5_T6_T7_T9_mT8_P12ihipStream_tbDpT10_ENKUlT_T0_E_clISt17integral_constantIbLb0EES17_IbLb1EEEEDaS13_S14_EUlS13_E_NS1_11comp_targetILNS1_3genE9ELNS1_11target_archE1100ELNS1_3gpuE3ELNS1_3repE0EEENS1_30default_config_static_selectorELNS0_4arch9wavefront6targetE0EEEvT1_.has_recursion, 0
	.set _ZN7rocprim17ROCPRIM_400000_NS6detail17trampoline_kernelINS0_14default_configENS1_25partition_config_selectorILNS1_17partition_subalgoE6EiNS0_10empty_typeEbEEZZNS1_14partition_implILS5_6ELb0ES3_mN6thrust23THRUST_200600_302600_NS6detail15normal_iteratorINSA_10device_ptrIiEEEEPS6_SG_NS0_5tupleIJSF_S6_EEENSH_IJSG_SG_EEES6_PlJNSB_9not_fun_tI7is_evenIiEEEEEE10hipError_tPvRmT3_T4_T5_T6_T7_T9_mT8_P12ihipStream_tbDpT10_ENKUlT_T0_E_clISt17integral_constantIbLb0EES17_IbLb1EEEEDaS13_S14_EUlS13_E_NS1_11comp_targetILNS1_3genE9ELNS1_11target_archE1100ELNS1_3gpuE3ELNS1_3repE0EEENS1_30default_config_static_selectorELNS0_4arch9wavefront6targetE0EEEvT1_.has_indirect_call, 0
	.section	.AMDGPU.csdata,"",@progbits
; Kernel info:
; codeLenInByte = 0
; TotalNumSgprs: 0
; NumVgprs: 0
; ScratchSize: 0
; MemoryBound: 0
; FloatMode: 240
; IeeeMode: 1
; LDSByteSize: 0 bytes/workgroup (compile time only)
; SGPRBlocks: 0
; VGPRBlocks: 0
; NumSGPRsForWavesPerEU: 1
; NumVGPRsForWavesPerEU: 1
; Occupancy: 16
; WaveLimiterHint : 0
; COMPUTE_PGM_RSRC2:SCRATCH_EN: 0
; COMPUTE_PGM_RSRC2:USER_SGPR: 2
; COMPUTE_PGM_RSRC2:TRAP_HANDLER: 0
; COMPUTE_PGM_RSRC2:TGID_X_EN: 1
; COMPUTE_PGM_RSRC2:TGID_Y_EN: 0
; COMPUTE_PGM_RSRC2:TGID_Z_EN: 0
; COMPUTE_PGM_RSRC2:TIDIG_COMP_CNT: 0
	.section	.text._ZN7rocprim17ROCPRIM_400000_NS6detail17trampoline_kernelINS0_14default_configENS1_25partition_config_selectorILNS1_17partition_subalgoE6EiNS0_10empty_typeEbEEZZNS1_14partition_implILS5_6ELb0ES3_mN6thrust23THRUST_200600_302600_NS6detail15normal_iteratorINSA_10device_ptrIiEEEEPS6_SG_NS0_5tupleIJSF_S6_EEENSH_IJSG_SG_EEES6_PlJNSB_9not_fun_tI7is_evenIiEEEEEE10hipError_tPvRmT3_T4_T5_T6_T7_T9_mT8_P12ihipStream_tbDpT10_ENKUlT_T0_E_clISt17integral_constantIbLb0EES17_IbLb1EEEEDaS13_S14_EUlS13_E_NS1_11comp_targetILNS1_3genE8ELNS1_11target_archE1030ELNS1_3gpuE2ELNS1_3repE0EEENS1_30default_config_static_selectorELNS0_4arch9wavefront6targetE0EEEvT1_,"axG",@progbits,_ZN7rocprim17ROCPRIM_400000_NS6detail17trampoline_kernelINS0_14default_configENS1_25partition_config_selectorILNS1_17partition_subalgoE6EiNS0_10empty_typeEbEEZZNS1_14partition_implILS5_6ELb0ES3_mN6thrust23THRUST_200600_302600_NS6detail15normal_iteratorINSA_10device_ptrIiEEEEPS6_SG_NS0_5tupleIJSF_S6_EEENSH_IJSG_SG_EEES6_PlJNSB_9not_fun_tI7is_evenIiEEEEEE10hipError_tPvRmT3_T4_T5_T6_T7_T9_mT8_P12ihipStream_tbDpT10_ENKUlT_T0_E_clISt17integral_constantIbLb0EES17_IbLb1EEEEDaS13_S14_EUlS13_E_NS1_11comp_targetILNS1_3genE8ELNS1_11target_archE1030ELNS1_3gpuE2ELNS1_3repE0EEENS1_30default_config_static_selectorELNS0_4arch9wavefront6targetE0EEEvT1_,comdat
	.protected	_ZN7rocprim17ROCPRIM_400000_NS6detail17trampoline_kernelINS0_14default_configENS1_25partition_config_selectorILNS1_17partition_subalgoE6EiNS0_10empty_typeEbEEZZNS1_14partition_implILS5_6ELb0ES3_mN6thrust23THRUST_200600_302600_NS6detail15normal_iteratorINSA_10device_ptrIiEEEEPS6_SG_NS0_5tupleIJSF_S6_EEENSH_IJSG_SG_EEES6_PlJNSB_9not_fun_tI7is_evenIiEEEEEE10hipError_tPvRmT3_T4_T5_T6_T7_T9_mT8_P12ihipStream_tbDpT10_ENKUlT_T0_E_clISt17integral_constantIbLb0EES17_IbLb1EEEEDaS13_S14_EUlS13_E_NS1_11comp_targetILNS1_3genE8ELNS1_11target_archE1030ELNS1_3gpuE2ELNS1_3repE0EEENS1_30default_config_static_selectorELNS0_4arch9wavefront6targetE0EEEvT1_ ; -- Begin function _ZN7rocprim17ROCPRIM_400000_NS6detail17trampoline_kernelINS0_14default_configENS1_25partition_config_selectorILNS1_17partition_subalgoE6EiNS0_10empty_typeEbEEZZNS1_14partition_implILS5_6ELb0ES3_mN6thrust23THRUST_200600_302600_NS6detail15normal_iteratorINSA_10device_ptrIiEEEEPS6_SG_NS0_5tupleIJSF_S6_EEENSH_IJSG_SG_EEES6_PlJNSB_9not_fun_tI7is_evenIiEEEEEE10hipError_tPvRmT3_T4_T5_T6_T7_T9_mT8_P12ihipStream_tbDpT10_ENKUlT_T0_E_clISt17integral_constantIbLb0EES17_IbLb1EEEEDaS13_S14_EUlS13_E_NS1_11comp_targetILNS1_3genE8ELNS1_11target_archE1030ELNS1_3gpuE2ELNS1_3repE0EEENS1_30default_config_static_selectorELNS0_4arch9wavefront6targetE0EEEvT1_
	.globl	_ZN7rocprim17ROCPRIM_400000_NS6detail17trampoline_kernelINS0_14default_configENS1_25partition_config_selectorILNS1_17partition_subalgoE6EiNS0_10empty_typeEbEEZZNS1_14partition_implILS5_6ELb0ES3_mN6thrust23THRUST_200600_302600_NS6detail15normal_iteratorINSA_10device_ptrIiEEEEPS6_SG_NS0_5tupleIJSF_S6_EEENSH_IJSG_SG_EEES6_PlJNSB_9not_fun_tI7is_evenIiEEEEEE10hipError_tPvRmT3_T4_T5_T6_T7_T9_mT8_P12ihipStream_tbDpT10_ENKUlT_T0_E_clISt17integral_constantIbLb0EES17_IbLb1EEEEDaS13_S14_EUlS13_E_NS1_11comp_targetILNS1_3genE8ELNS1_11target_archE1030ELNS1_3gpuE2ELNS1_3repE0EEENS1_30default_config_static_selectorELNS0_4arch9wavefront6targetE0EEEvT1_
	.p2align	8
	.type	_ZN7rocprim17ROCPRIM_400000_NS6detail17trampoline_kernelINS0_14default_configENS1_25partition_config_selectorILNS1_17partition_subalgoE6EiNS0_10empty_typeEbEEZZNS1_14partition_implILS5_6ELb0ES3_mN6thrust23THRUST_200600_302600_NS6detail15normal_iteratorINSA_10device_ptrIiEEEEPS6_SG_NS0_5tupleIJSF_S6_EEENSH_IJSG_SG_EEES6_PlJNSB_9not_fun_tI7is_evenIiEEEEEE10hipError_tPvRmT3_T4_T5_T6_T7_T9_mT8_P12ihipStream_tbDpT10_ENKUlT_T0_E_clISt17integral_constantIbLb0EES17_IbLb1EEEEDaS13_S14_EUlS13_E_NS1_11comp_targetILNS1_3genE8ELNS1_11target_archE1030ELNS1_3gpuE2ELNS1_3repE0EEENS1_30default_config_static_selectorELNS0_4arch9wavefront6targetE0EEEvT1_,@function
_ZN7rocprim17ROCPRIM_400000_NS6detail17trampoline_kernelINS0_14default_configENS1_25partition_config_selectorILNS1_17partition_subalgoE6EiNS0_10empty_typeEbEEZZNS1_14partition_implILS5_6ELb0ES3_mN6thrust23THRUST_200600_302600_NS6detail15normal_iteratorINSA_10device_ptrIiEEEEPS6_SG_NS0_5tupleIJSF_S6_EEENSH_IJSG_SG_EEES6_PlJNSB_9not_fun_tI7is_evenIiEEEEEE10hipError_tPvRmT3_T4_T5_T6_T7_T9_mT8_P12ihipStream_tbDpT10_ENKUlT_T0_E_clISt17integral_constantIbLb0EES17_IbLb1EEEEDaS13_S14_EUlS13_E_NS1_11comp_targetILNS1_3genE8ELNS1_11target_archE1030ELNS1_3gpuE2ELNS1_3repE0EEENS1_30default_config_static_selectorELNS0_4arch9wavefront6targetE0EEEvT1_: ; @_ZN7rocprim17ROCPRIM_400000_NS6detail17trampoline_kernelINS0_14default_configENS1_25partition_config_selectorILNS1_17partition_subalgoE6EiNS0_10empty_typeEbEEZZNS1_14partition_implILS5_6ELb0ES3_mN6thrust23THRUST_200600_302600_NS6detail15normal_iteratorINSA_10device_ptrIiEEEEPS6_SG_NS0_5tupleIJSF_S6_EEENSH_IJSG_SG_EEES6_PlJNSB_9not_fun_tI7is_evenIiEEEEEE10hipError_tPvRmT3_T4_T5_T6_T7_T9_mT8_P12ihipStream_tbDpT10_ENKUlT_T0_E_clISt17integral_constantIbLb0EES17_IbLb1EEEEDaS13_S14_EUlS13_E_NS1_11comp_targetILNS1_3genE8ELNS1_11target_archE1030ELNS1_3gpuE2ELNS1_3repE0EEENS1_30default_config_static_selectorELNS0_4arch9wavefront6targetE0EEEvT1_
; %bb.0:
	.section	.rodata,"a",@progbits
	.p2align	6, 0x0
	.amdhsa_kernel _ZN7rocprim17ROCPRIM_400000_NS6detail17trampoline_kernelINS0_14default_configENS1_25partition_config_selectorILNS1_17partition_subalgoE6EiNS0_10empty_typeEbEEZZNS1_14partition_implILS5_6ELb0ES3_mN6thrust23THRUST_200600_302600_NS6detail15normal_iteratorINSA_10device_ptrIiEEEEPS6_SG_NS0_5tupleIJSF_S6_EEENSH_IJSG_SG_EEES6_PlJNSB_9not_fun_tI7is_evenIiEEEEEE10hipError_tPvRmT3_T4_T5_T6_T7_T9_mT8_P12ihipStream_tbDpT10_ENKUlT_T0_E_clISt17integral_constantIbLb0EES17_IbLb1EEEEDaS13_S14_EUlS13_E_NS1_11comp_targetILNS1_3genE8ELNS1_11target_archE1030ELNS1_3gpuE2ELNS1_3repE0EEENS1_30default_config_static_selectorELNS0_4arch9wavefront6targetE0EEEvT1_
		.amdhsa_group_segment_fixed_size 0
		.amdhsa_private_segment_fixed_size 0
		.amdhsa_kernarg_size 128
		.amdhsa_user_sgpr_count 2
		.amdhsa_user_sgpr_dispatch_ptr 0
		.amdhsa_user_sgpr_queue_ptr 0
		.amdhsa_user_sgpr_kernarg_segment_ptr 1
		.amdhsa_user_sgpr_dispatch_id 0
		.amdhsa_user_sgpr_private_segment_size 0
		.amdhsa_wavefront_size32 1
		.amdhsa_uses_dynamic_stack 0
		.amdhsa_enable_private_segment 0
		.amdhsa_system_sgpr_workgroup_id_x 1
		.amdhsa_system_sgpr_workgroup_id_y 0
		.amdhsa_system_sgpr_workgroup_id_z 0
		.amdhsa_system_sgpr_workgroup_info 0
		.amdhsa_system_vgpr_workitem_id 0
		.amdhsa_next_free_vgpr 1
		.amdhsa_next_free_sgpr 1
		.amdhsa_reserve_vcc 0
		.amdhsa_float_round_mode_32 0
		.amdhsa_float_round_mode_16_64 0
		.amdhsa_float_denorm_mode_32 3
		.amdhsa_float_denorm_mode_16_64 3
		.amdhsa_fp16_overflow 0
		.amdhsa_workgroup_processor_mode 1
		.amdhsa_memory_ordered 1
		.amdhsa_forward_progress 1
		.amdhsa_inst_pref_size 0
		.amdhsa_round_robin_scheduling 0
		.amdhsa_exception_fp_ieee_invalid_op 0
		.amdhsa_exception_fp_denorm_src 0
		.amdhsa_exception_fp_ieee_div_zero 0
		.amdhsa_exception_fp_ieee_overflow 0
		.amdhsa_exception_fp_ieee_underflow 0
		.amdhsa_exception_fp_ieee_inexact 0
		.amdhsa_exception_int_div_zero 0
	.end_amdhsa_kernel
	.section	.text._ZN7rocprim17ROCPRIM_400000_NS6detail17trampoline_kernelINS0_14default_configENS1_25partition_config_selectorILNS1_17partition_subalgoE6EiNS0_10empty_typeEbEEZZNS1_14partition_implILS5_6ELb0ES3_mN6thrust23THRUST_200600_302600_NS6detail15normal_iteratorINSA_10device_ptrIiEEEEPS6_SG_NS0_5tupleIJSF_S6_EEENSH_IJSG_SG_EEES6_PlJNSB_9not_fun_tI7is_evenIiEEEEEE10hipError_tPvRmT3_T4_T5_T6_T7_T9_mT8_P12ihipStream_tbDpT10_ENKUlT_T0_E_clISt17integral_constantIbLb0EES17_IbLb1EEEEDaS13_S14_EUlS13_E_NS1_11comp_targetILNS1_3genE8ELNS1_11target_archE1030ELNS1_3gpuE2ELNS1_3repE0EEENS1_30default_config_static_selectorELNS0_4arch9wavefront6targetE0EEEvT1_,"axG",@progbits,_ZN7rocprim17ROCPRIM_400000_NS6detail17trampoline_kernelINS0_14default_configENS1_25partition_config_selectorILNS1_17partition_subalgoE6EiNS0_10empty_typeEbEEZZNS1_14partition_implILS5_6ELb0ES3_mN6thrust23THRUST_200600_302600_NS6detail15normal_iteratorINSA_10device_ptrIiEEEEPS6_SG_NS0_5tupleIJSF_S6_EEENSH_IJSG_SG_EEES6_PlJNSB_9not_fun_tI7is_evenIiEEEEEE10hipError_tPvRmT3_T4_T5_T6_T7_T9_mT8_P12ihipStream_tbDpT10_ENKUlT_T0_E_clISt17integral_constantIbLb0EES17_IbLb1EEEEDaS13_S14_EUlS13_E_NS1_11comp_targetILNS1_3genE8ELNS1_11target_archE1030ELNS1_3gpuE2ELNS1_3repE0EEENS1_30default_config_static_selectorELNS0_4arch9wavefront6targetE0EEEvT1_,comdat
.Lfunc_end756:
	.size	_ZN7rocprim17ROCPRIM_400000_NS6detail17trampoline_kernelINS0_14default_configENS1_25partition_config_selectorILNS1_17partition_subalgoE6EiNS0_10empty_typeEbEEZZNS1_14partition_implILS5_6ELb0ES3_mN6thrust23THRUST_200600_302600_NS6detail15normal_iteratorINSA_10device_ptrIiEEEEPS6_SG_NS0_5tupleIJSF_S6_EEENSH_IJSG_SG_EEES6_PlJNSB_9not_fun_tI7is_evenIiEEEEEE10hipError_tPvRmT3_T4_T5_T6_T7_T9_mT8_P12ihipStream_tbDpT10_ENKUlT_T0_E_clISt17integral_constantIbLb0EES17_IbLb1EEEEDaS13_S14_EUlS13_E_NS1_11comp_targetILNS1_3genE8ELNS1_11target_archE1030ELNS1_3gpuE2ELNS1_3repE0EEENS1_30default_config_static_selectorELNS0_4arch9wavefront6targetE0EEEvT1_, .Lfunc_end756-_ZN7rocprim17ROCPRIM_400000_NS6detail17trampoline_kernelINS0_14default_configENS1_25partition_config_selectorILNS1_17partition_subalgoE6EiNS0_10empty_typeEbEEZZNS1_14partition_implILS5_6ELb0ES3_mN6thrust23THRUST_200600_302600_NS6detail15normal_iteratorINSA_10device_ptrIiEEEEPS6_SG_NS0_5tupleIJSF_S6_EEENSH_IJSG_SG_EEES6_PlJNSB_9not_fun_tI7is_evenIiEEEEEE10hipError_tPvRmT3_T4_T5_T6_T7_T9_mT8_P12ihipStream_tbDpT10_ENKUlT_T0_E_clISt17integral_constantIbLb0EES17_IbLb1EEEEDaS13_S14_EUlS13_E_NS1_11comp_targetILNS1_3genE8ELNS1_11target_archE1030ELNS1_3gpuE2ELNS1_3repE0EEENS1_30default_config_static_selectorELNS0_4arch9wavefront6targetE0EEEvT1_
                                        ; -- End function
	.set _ZN7rocprim17ROCPRIM_400000_NS6detail17trampoline_kernelINS0_14default_configENS1_25partition_config_selectorILNS1_17partition_subalgoE6EiNS0_10empty_typeEbEEZZNS1_14partition_implILS5_6ELb0ES3_mN6thrust23THRUST_200600_302600_NS6detail15normal_iteratorINSA_10device_ptrIiEEEEPS6_SG_NS0_5tupleIJSF_S6_EEENSH_IJSG_SG_EEES6_PlJNSB_9not_fun_tI7is_evenIiEEEEEE10hipError_tPvRmT3_T4_T5_T6_T7_T9_mT8_P12ihipStream_tbDpT10_ENKUlT_T0_E_clISt17integral_constantIbLb0EES17_IbLb1EEEEDaS13_S14_EUlS13_E_NS1_11comp_targetILNS1_3genE8ELNS1_11target_archE1030ELNS1_3gpuE2ELNS1_3repE0EEENS1_30default_config_static_selectorELNS0_4arch9wavefront6targetE0EEEvT1_.num_vgpr, 0
	.set _ZN7rocprim17ROCPRIM_400000_NS6detail17trampoline_kernelINS0_14default_configENS1_25partition_config_selectorILNS1_17partition_subalgoE6EiNS0_10empty_typeEbEEZZNS1_14partition_implILS5_6ELb0ES3_mN6thrust23THRUST_200600_302600_NS6detail15normal_iteratorINSA_10device_ptrIiEEEEPS6_SG_NS0_5tupleIJSF_S6_EEENSH_IJSG_SG_EEES6_PlJNSB_9not_fun_tI7is_evenIiEEEEEE10hipError_tPvRmT3_T4_T5_T6_T7_T9_mT8_P12ihipStream_tbDpT10_ENKUlT_T0_E_clISt17integral_constantIbLb0EES17_IbLb1EEEEDaS13_S14_EUlS13_E_NS1_11comp_targetILNS1_3genE8ELNS1_11target_archE1030ELNS1_3gpuE2ELNS1_3repE0EEENS1_30default_config_static_selectorELNS0_4arch9wavefront6targetE0EEEvT1_.num_agpr, 0
	.set _ZN7rocprim17ROCPRIM_400000_NS6detail17trampoline_kernelINS0_14default_configENS1_25partition_config_selectorILNS1_17partition_subalgoE6EiNS0_10empty_typeEbEEZZNS1_14partition_implILS5_6ELb0ES3_mN6thrust23THRUST_200600_302600_NS6detail15normal_iteratorINSA_10device_ptrIiEEEEPS6_SG_NS0_5tupleIJSF_S6_EEENSH_IJSG_SG_EEES6_PlJNSB_9not_fun_tI7is_evenIiEEEEEE10hipError_tPvRmT3_T4_T5_T6_T7_T9_mT8_P12ihipStream_tbDpT10_ENKUlT_T0_E_clISt17integral_constantIbLb0EES17_IbLb1EEEEDaS13_S14_EUlS13_E_NS1_11comp_targetILNS1_3genE8ELNS1_11target_archE1030ELNS1_3gpuE2ELNS1_3repE0EEENS1_30default_config_static_selectorELNS0_4arch9wavefront6targetE0EEEvT1_.numbered_sgpr, 0
	.set _ZN7rocprim17ROCPRIM_400000_NS6detail17trampoline_kernelINS0_14default_configENS1_25partition_config_selectorILNS1_17partition_subalgoE6EiNS0_10empty_typeEbEEZZNS1_14partition_implILS5_6ELb0ES3_mN6thrust23THRUST_200600_302600_NS6detail15normal_iteratorINSA_10device_ptrIiEEEEPS6_SG_NS0_5tupleIJSF_S6_EEENSH_IJSG_SG_EEES6_PlJNSB_9not_fun_tI7is_evenIiEEEEEE10hipError_tPvRmT3_T4_T5_T6_T7_T9_mT8_P12ihipStream_tbDpT10_ENKUlT_T0_E_clISt17integral_constantIbLb0EES17_IbLb1EEEEDaS13_S14_EUlS13_E_NS1_11comp_targetILNS1_3genE8ELNS1_11target_archE1030ELNS1_3gpuE2ELNS1_3repE0EEENS1_30default_config_static_selectorELNS0_4arch9wavefront6targetE0EEEvT1_.num_named_barrier, 0
	.set _ZN7rocprim17ROCPRIM_400000_NS6detail17trampoline_kernelINS0_14default_configENS1_25partition_config_selectorILNS1_17partition_subalgoE6EiNS0_10empty_typeEbEEZZNS1_14partition_implILS5_6ELb0ES3_mN6thrust23THRUST_200600_302600_NS6detail15normal_iteratorINSA_10device_ptrIiEEEEPS6_SG_NS0_5tupleIJSF_S6_EEENSH_IJSG_SG_EEES6_PlJNSB_9not_fun_tI7is_evenIiEEEEEE10hipError_tPvRmT3_T4_T5_T6_T7_T9_mT8_P12ihipStream_tbDpT10_ENKUlT_T0_E_clISt17integral_constantIbLb0EES17_IbLb1EEEEDaS13_S14_EUlS13_E_NS1_11comp_targetILNS1_3genE8ELNS1_11target_archE1030ELNS1_3gpuE2ELNS1_3repE0EEENS1_30default_config_static_selectorELNS0_4arch9wavefront6targetE0EEEvT1_.private_seg_size, 0
	.set _ZN7rocprim17ROCPRIM_400000_NS6detail17trampoline_kernelINS0_14default_configENS1_25partition_config_selectorILNS1_17partition_subalgoE6EiNS0_10empty_typeEbEEZZNS1_14partition_implILS5_6ELb0ES3_mN6thrust23THRUST_200600_302600_NS6detail15normal_iteratorINSA_10device_ptrIiEEEEPS6_SG_NS0_5tupleIJSF_S6_EEENSH_IJSG_SG_EEES6_PlJNSB_9not_fun_tI7is_evenIiEEEEEE10hipError_tPvRmT3_T4_T5_T6_T7_T9_mT8_P12ihipStream_tbDpT10_ENKUlT_T0_E_clISt17integral_constantIbLb0EES17_IbLb1EEEEDaS13_S14_EUlS13_E_NS1_11comp_targetILNS1_3genE8ELNS1_11target_archE1030ELNS1_3gpuE2ELNS1_3repE0EEENS1_30default_config_static_selectorELNS0_4arch9wavefront6targetE0EEEvT1_.uses_vcc, 0
	.set _ZN7rocprim17ROCPRIM_400000_NS6detail17trampoline_kernelINS0_14default_configENS1_25partition_config_selectorILNS1_17partition_subalgoE6EiNS0_10empty_typeEbEEZZNS1_14partition_implILS5_6ELb0ES3_mN6thrust23THRUST_200600_302600_NS6detail15normal_iteratorINSA_10device_ptrIiEEEEPS6_SG_NS0_5tupleIJSF_S6_EEENSH_IJSG_SG_EEES6_PlJNSB_9not_fun_tI7is_evenIiEEEEEE10hipError_tPvRmT3_T4_T5_T6_T7_T9_mT8_P12ihipStream_tbDpT10_ENKUlT_T0_E_clISt17integral_constantIbLb0EES17_IbLb1EEEEDaS13_S14_EUlS13_E_NS1_11comp_targetILNS1_3genE8ELNS1_11target_archE1030ELNS1_3gpuE2ELNS1_3repE0EEENS1_30default_config_static_selectorELNS0_4arch9wavefront6targetE0EEEvT1_.uses_flat_scratch, 0
	.set _ZN7rocprim17ROCPRIM_400000_NS6detail17trampoline_kernelINS0_14default_configENS1_25partition_config_selectorILNS1_17partition_subalgoE6EiNS0_10empty_typeEbEEZZNS1_14partition_implILS5_6ELb0ES3_mN6thrust23THRUST_200600_302600_NS6detail15normal_iteratorINSA_10device_ptrIiEEEEPS6_SG_NS0_5tupleIJSF_S6_EEENSH_IJSG_SG_EEES6_PlJNSB_9not_fun_tI7is_evenIiEEEEEE10hipError_tPvRmT3_T4_T5_T6_T7_T9_mT8_P12ihipStream_tbDpT10_ENKUlT_T0_E_clISt17integral_constantIbLb0EES17_IbLb1EEEEDaS13_S14_EUlS13_E_NS1_11comp_targetILNS1_3genE8ELNS1_11target_archE1030ELNS1_3gpuE2ELNS1_3repE0EEENS1_30default_config_static_selectorELNS0_4arch9wavefront6targetE0EEEvT1_.has_dyn_sized_stack, 0
	.set _ZN7rocprim17ROCPRIM_400000_NS6detail17trampoline_kernelINS0_14default_configENS1_25partition_config_selectorILNS1_17partition_subalgoE6EiNS0_10empty_typeEbEEZZNS1_14partition_implILS5_6ELb0ES3_mN6thrust23THRUST_200600_302600_NS6detail15normal_iteratorINSA_10device_ptrIiEEEEPS6_SG_NS0_5tupleIJSF_S6_EEENSH_IJSG_SG_EEES6_PlJNSB_9not_fun_tI7is_evenIiEEEEEE10hipError_tPvRmT3_T4_T5_T6_T7_T9_mT8_P12ihipStream_tbDpT10_ENKUlT_T0_E_clISt17integral_constantIbLb0EES17_IbLb1EEEEDaS13_S14_EUlS13_E_NS1_11comp_targetILNS1_3genE8ELNS1_11target_archE1030ELNS1_3gpuE2ELNS1_3repE0EEENS1_30default_config_static_selectorELNS0_4arch9wavefront6targetE0EEEvT1_.has_recursion, 0
	.set _ZN7rocprim17ROCPRIM_400000_NS6detail17trampoline_kernelINS0_14default_configENS1_25partition_config_selectorILNS1_17partition_subalgoE6EiNS0_10empty_typeEbEEZZNS1_14partition_implILS5_6ELb0ES3_mN6thrust23THRUST_200600_302600_NS6detail15normal_iteratorINSA_10device_ptrIiEEEEPS6_SG_NS0_5tupleIJSF_S6_EEENSH_IJSG_SG_EEES6_PlJNSB_9not_fun_tI7is_evenIiEEEEEE10hipError_tPvRmT3_T4_T5_T6_T7_T9_mT8_P12ihipStream_tbDpT10_ENKUlT_T0_E_clISt17integral_constantIbLb0EES17_IbLb1EEEEDaS13_S14_EUlS13_E_NS1_11comp_targetILNS1_3genE8ELNS1_11target_archE1030ELNS1_3gpuE2ELNS1_3repE0EEENS1_30default_config_static_selectorELNS0_4arch9wavefront6targetE0EEEvT1_.has_indirect_call, 0
	.section	.AMDGPU.csdata,"",@progbits
; Kernel info:
; codeLenInByte = 0
; TotalNumSgprs: 0
; NumVgprs: 0
; ScratchSize: 0
; MemoryBound: 0
; FloatMode: 240
; IeeeMode: 1
; LDSByteSize: 0 bytes/workgroup (compile time only)
; SGPRBlocks: 0
; VGPRBlocks: 0
; NumSGPRsForWavesPerEU: 1
; NumVGPRsForWavesPerEU: 1
; Occupancy: 16
; WaveLimiterHint : 0
; COMPUTE_PGM_RSRC2:SCRATCH_EN: 0
; COMPUTE_PGM_RSRC2:USER_SGPR: 2
; COMPUTE_PGM_RSRC2:TRAP_HANDLER: 0
; COMPUTE_PGM_RSRC2:TGID_X_EN: 1
; COMPUTE_PGM_RSRC2:TGID_Y_EN: 0
; COMPUTE_PGM_RSRC2:TGID_Z_EN: 0
; COMPUTE_PGM_RSRC2:TIDIG_COMP_CNT: 0
	.section	.text._ZN7rocprim17ROCPRIM_400000_NS6detail17trampoline_kernelINS0_14default_configENS1_25partition_config_selectorILNS1_17partition_subalgoE6EsNS0_10empty_typeEbEEZZNS1_14partition_implILS5_6ELb0ES3_mN6thrust23THRUST_200600_302600_NS6detail15normal_iteratorINSA_10device_ptrIsEEEEPS6_SG_NS0_5tupleIJSF_S6_EEENSH_IJSG_SG_EEES6_PlJNSB_9not_fun_tI7is_evenIsEEEEEE10hipError_tPvRmT3_T4_T5_T6_T7_T9_mT8_P12ihipStream_tbDpT10_ENKUlT_T0_E_clISt17integral_constantIbLb0EES18_EEDaS13_S14_EUlS13_E_NS1_11comp_targetILNS1_3genE0ELNS1_11target_archE4294967295ELNS1_3gpuE0ELNS1_3repE0EEENS1_30default_config_static_selectorELNS0_4arch9wavefront6targetE0EEEvT1_,"axG",@progbits,_ZN7rocprim17ROCPRIM_400000_NS6detail17trampoline_kernelINS0_14default_configENS1_25partition_config_selectorILNS1_17partition_subalgoE6EsNS0_10empty_typeEbEEZZNS1_14partition_implILS5_6ELb0ES3_mN6thrust23THRUST_200600_302600_NS6detail15normal_iteratorINSA_10device_ptrIsEEEEPS6_SG_NS0_5tupleIJSF_S6_EEENSH_IJSG_SG_EEES6_PlJNSB_9not_fun_tI7is_evenIsEEEEEE10hipError_tPvRmT3_T4_T5_T6_T7_T9_mT8_P12ihipStream_tbDpT10_ENKUlT_T0_E_clISt17integral_constantIbLb0EES18_EEDaS13_S14_EUlS13_E_NS1_11comp_targetILNS1_3genE0ELNS1_11target_archE4294967295ELNS1_3gpuE0ELNS1_3repE0EEENS1_30default_config_static_selectorELNS0_4arch9wavefront6targetE0EEEvT1_,comdat
	.protected	_ZN7rocprim17ROCPRIM_400000_NS6detail17trampoline_kernelINS0_14default_configENS1_25partition_config_selectorILNS1_17partition_subalgoE6EsNS0_10empty_typeEbEEZZNS1_14partition_implILS5_6ELb0ES3_mN6thrust23THRUST_200600_302600_NS6detail15normal_iteratorINSA_10device_ptrIsEEEEPS6_SG_NS0_5tupleIJSF_S6_EEENSH_IJSG_SG_EEES6_PlJNSB_9not_fun_tI7is_evenIsEEEEEE10hipError_tPvRmT3_T4_T5_T6_T7_T9_mT8_P12ihipStream_tbDpT10_ENKUlT_T0_E_clISt17integral_constantIbLb0EES18_EEDaS13_S14_EUlS13_E_NS1_11comp_targetILNS1_3genE0ELNS1_11target_archE4294967295ELNS1_3gpuE0ELNS1_3repE0EEENS1_30default_config_static_selectorELNS0_4arch9wavefront6targetE0EEEvT1_ ; -- Begin function _ZN7rocprim17ROCPRIM_400000_NS6detail17trampoline_kernelINS0_14default_configENS1_25partition_config_selectorILNS1_17partition_subalgoE6EsNS0_10empty_typeEbEEZZNS1_14partition_implILS5_6ELb0ES3_mN6thrust23THRUST_200600_302600_NS6detail15normal_iteratorINSA_10device_ptrIsEEEEPS6_SG_NS0_5tupleIJSF_S6_EEENSH_IJSG_SG_EEES6_PlJNSB_9not_fun_tI7is_evenIsEEEEEE10hipError_tPvRmT3_T4_T5_T6_T7_T9_mT8_P12ihipStream_tbDpT10_ENKUlT_T0_E_clISt17integral_constantIbLb0EES18_EEDaS13_S14_EUlS13_E_NS1_11comp_targetILNS1_3genE0ELNS1_11target_archE4294967295ELNS1_3gpuE0ELNS1_3repE0EEENS1_30default_config_static_selectorELNS0_4arch9wavefront6targetE0EEEvT1_
	.globl	_ZN7rocprim17ROCPRIM_400000_NS6detail17trampoline_kernelINS0_14default_configENS1_25partition_config_selectorILNS1_17partition_subalgoE6EsNS0_10empty_typeEbEEZZNS1_14partition_implILS5_6ELb0ES3_mN6thrust23THRUST_200600_302600_NS6detail15normal_iteratorINSA_10device_ptrIsEEEEPS6_SG_NS0_5tupleIJSF_S6_EEENSH_IJSG_SG_EEES6_PlJNSB_9not_fun_tI7is_evenIsEEEEEE10hipError_tPvRmT3_T4_T5_T6_T7_T9_mT8_P12ihipStream_tbDpT10_ENKUlT_T0_E_clISt17integral_constantIbLb0EES18_EEDaS13_S14_EUlS13_E_NS1_11comp_targetILNS1_3genE0ELNS1_11target_archE4294967295ELNS1_3gpuE0ELNS1_3repE0EEENS1_30default_config_static_selectorELNS0_4arch9wavefront6targetE0EEEvT1_
	.p2align	8
	.type	_ZN7rocprim17ROCPRIM_400000_NS6detail17trampoline_kernelINS0_14default_configENS1_25partition_config_selectorILNS1_17partition_subalgoE6EsNS0_10empty_typeEbEEZZNS1_14partition_implILS5_6ELb0ES3_mN6thrust23THRUST_200600_302600_NS6detail15normal_iteratorINSA_10device_ptrIsEEEEPS6_SG_NS0_5tupleIJSF_S6_EEENSH_IJSG_SG_EEES6_PlJNSB_9not_fun_tI7is_evenIsEEEEEE10hipError_tPvRmT3_T4_T5_T6_T7_T9_mT8_P12ihipStream_tbDpT10_ENKUlT_T0_E_clISt17integral_constantIbLb0EES18_EEDaS13_S14_EUlS13_E_NS1_11comp_targetILNS1_3genE0ELNS1_11target_archE4294967295ELNS1_3gpuE0ELNS1_3repE0EEENS1_30default_config_static_selectorELNS0_4arch9wavefront6targetE0EEEvT1_,@function
_ZN7rocprim17ROCPRIM_400000_NS6detail17trampoline_kernelINS0_14default_configENS1_25partition_config_selectorILNS1_17partition_subalgoE6EsNS0_10empty_typeEbEEZZNS1_14partition_implILS5_6ELb0ES3_mN6thrust23THRUST_200600_302600_NS6detail15normal_iteratorINSA_10device_ptrIsEEEEPS6_SG_NS0_5tupleIJSF_S6_EEENSH_IJSG_SG_EEES6_PlJNSB_9not_fun_tI7is_evenIsEEEEEE10hipError_tPvRmT3_T4_T5_T6_T7_T9_mT8_P12ihipStream_tbDpT10_ENKUlT_T0_E_clISt17integral_constantIbLb0EES18_EEDaS13_S14_EUlS13_E_NS1_11comp_targetILNS1_3genE0ELNS1_11target_archE4294967295ELNS1_3gpuE0ELNS1_3repE0EEENS1_30default_config_static_selectorELNS0_4arch9wavefront6targetE0EEEvT1_: ; @_ZN7rocprim17ROCPRIM_400000_NS6detail17trampoline_kernelINS0_14default_configENS1_25partition_config_selectorILNS1_17partition_subalgoE6EsNS0_10empty_typeEbEEZZNS1_14partition_implILS5_6ELb0ES3_mN6thrust23THRUST_200600_302600_NS6detail15normal_iteratorINSA_10device_ptrIsEEEEPS6_SG_NS0_5tupleIJSF_S6_EEENSH_IJSG_SG_EEES6_PlJNSB_9not_fun_tI7is_evenIsEEEEEE10hipError_tPvRmT3_T4_T5_T6_T7_T9_mT8_P12ihipStream_tbDpT10_ENKUlT_T0_E_clISt17integral_constantIbLb0EES18_EEDaS13_S14_EUlS13_E_NS1_11comp_targetILNS1_3genE0ELNS1_11target_archE4294967295ELNS1_3gpuE0ELNS1_3repE0EEENS1_30default_config_static_selectorELNS0_4arch9wavefront6targetE0EEEvT1_
; %bb.0:
	.section	.rodata,"a",@progbits
	.p2align	6, 0x0
	.amdhsa_kernel _ZN7rocprim17ROCPRIM_400000_NS6detail17trampoline_kernelINS0_14default_configENS1_25partition_config_selectorILNS1_17partition_subalgoE6EsNS0_10empty_typeEbEEZZNS1_14partition_implILS5_6ELb0ES3_mN6thrust23THRUST_200600_302600_NS6detail15normal_iteratorINSA_10device_ptrIsEEEEPS6_SG_NS0_5tupleIJSF_S6_EEENSH_IJSG_SG_EEES6_PlJNSB_9not_fun_tI7is_evenIsEEEEEE10hipError_tPvRmT3_T4_T5_T6_T7_T9_mT8_P12ihipStream_tbDpT10_ENKUlT_T0_E_clISt17integral_constantIbLb0EES18_EEDaS13_S14_EUlS13_E_NS1_11comp_targetILNS1_3genE0ELNS1_11target_archE4294967295ELNS1_3gpuE0ELNS1_3repE0EEENS1_30default_config_static_selectorELNS0_4arch9wavefront6targetE0EEEvT1_
		.amdhsa_group_segment_fixed_size 0
		.amdhsa_private_segment_fixed_size 0
		.amdhsa_kernarg_size 112
		.amdhsa_user_sgpr_count 2
		.amdhsa_user_sgpr_dispatch_ptr 0
		.amdhsa_user_sgpr_queue_ptr 0
		.amdhsa_user_sgpr_kernarg_segment_ptr 1
		.amdhsa_user_sgpr_dispatch_id 0
		.amdhsa_user_sgpr_private_segment_size 0
		.amdhsa_wavefront_size32 1
		.amdhsa_uses_dynamic_stack 0
		.amdhsa_enable_private_segment 0
		.amdhsa_system_sgpr_workgroup_id_x 1
		.amdhsa_system_sgpr_workgroup_id_y 0
		.amdhsa_system_sgpr_workgroup_id_z 0
		.amdhsa_system_sgpr_workgroup_info 0
		.amdhsa_system_vgpr_workitem_id 0
		.amdhsa_next_free_vgpr 1
		.amdhsa_next_free_sgpr 1
		.amdhsa_reserve_vcc 0
		.amdhsa_float_round_mode_32 0
		.amdhsa_float_round_mode_16_64 0
		.amdhsa_float_denorm_mode_32 3
		.amdhsa_float_denorm_mode_16_64 3
		.amdhsa_fp16_overflow 0
		.amdhsa_workgroup_processor_mode 1
		.amdhsa_memory_ordered 1
		.amdhsa_forward_progress 1
		.amdhsa_inst_pref_size 0
		.amdhsa_round_robin_scheduling 0
		.amdhsa_exception_fp_ieee_invalid_op 0
		.amdhsa_exception_fp_denorm_src 0
		.amdhsa_exception_fp_ieee_div_zero 0
		.amdhsa_exception_fp_ieee_overflow 0
		.amdhsa_exception_fp_ieee_underflow 0
		.amdhsa_exception_fp_ieee_inexact 0
		.amdhsa_exception_int_div_zero 0
	.end_amdhsa_kernel
	.section	.text._ZN7rocprim17ROCPRIM_400000_NS6detail17trampoline_kernelINS0_14default_configENS1_25partition_config_selectorILNS1_17partition_subalgoE6EsNS0_10empty_typeEbEEZZNS1_14partition_implILS5_6ELb0ES3_mN6thrust23THRUST_200600_302600_NS6detail15normal_iteratorINSA_10device_ptrIsEEEEPS6_SG_NS0_5tupleIJSF_S6_EEENSH_IJSG_SG_EEES6_PlJNSB_9not_fun_tI7is_evenIsEEEEEE10hipError_tPvRmT3_T4_T5_T6_T7_T9_mT8_P12ihipStream_tbDpT10_ENKUlT_T0_E_clISt17integral_constantIbLb0EES18_EEDaS13_S14_EUlS13_E_NS1_11comp_targetILNS1_3genE0ELNS1_11target_archE4294967295ELNS1_3gpuE0ELNS1_3repE0EEENS1_30default_config_static_selectorELNS0_4arch9wavefront6targetE0EEEvT1_,"axG",@progbits,_ZN7rocprim17ROCPRIM_400000_NS6detail17trampoline_kernelINS0_14default_configENS1_25partition_config_selectorILNS1_17partition_subalgoE6EsNS0_10empty_typeEbEEZZNS1_14partition_implILS5_6ELb0ES3_mN6thrust23THRUST_200600_302600_NS6detail15normal_iteratorINSA_10device_ptrIsEEEEPS6_SG_NS0_5tupleIJSF_S6_EEENSH_IJSG_SG_EEES6_PlJNSB_9not_fun_tI7is_evenIsEEEEEE10hipError_tPvRmT3_T4_T5_T6_T7_T9_mT8_P12ihipStream_tbDpT10_ENKUlT_T0_E_clISt17integral_constantIbLb0EES18_EEDaS13_S14_EUlS13_E_NS1_11comp_targetILNS1_3genE0ELNS1_11target_archE4294967295ELNS1_3gpuE0ELNS1_3repE0EEENS1_30default_config_static_selectorELNS0_4arch9wavefront6targetE0EEEvT1_,comdat
.Lfunc_end757:
	.size	_ZN7rocprim17ROCPRIM_400000_NS6detail17trampoline_kernelINS0_14default_configENS1_25partition_config_selectorILNS1_17partition_subalgoE6EsNS0_10empty_typeEbEEZZNS1_14partition_implILS5_6ELb0ES3_mN6thrust23THRUST_200600_302600_NS6detail15normal_iteratorINSA_10device_ptrIsEEEEPS6_SG_NS0_5tupleIJSF_S6_EEENSH_IJSG_SG_EEES6_PlJNSB_9not_fun_tI7is_evenIsEEEEEE10hipError_tPvRmT3_T4_T5_T6_T7_T9_mT8_P12ihipStream_tbDpT10_ENKUlT_T0_E_clISt17integral_constantIbLb0EES18_EEDaS13_S14_EUlS13_E_NS1_11comp_targetILNS1_3genE0ELNS1_11target_archE4294967295ELNS1_3gpuE0ELNS1_3repE0EEENS1_30default_config_static_selectorELNS0_4arch9wavefront6targetE0EEEvT1_, .Lfunc_end757-_ZN7rocprim17ROCPRIM_400000_NS6detail17trampoline_kernelINS0_14default_configENS1_25partition_config_selectorILNS1_17partition_subalgoE6EsNS0_10empty_typeEbEEZZNS1_14partition_implILS5_6ELb0ES3_mN6thrust23THRUST_200600_302600_NS6detail15normal_iteratorINSA_10device_ptrIsEEEEPS6_SG_NS0_5tupleIJSF_S6_EEENSH_IJSG_SG_EEES6_PlJNSB_9not_fun_tI7is_evenIsEEEEEE10hipError_tPvRmT3_T4_T5_T6_T7_T9_mT8_P12ihipStream_tbDpT10_ENKUlT_T0_E_clISt17integral_constantIbLb0EES18_EEDaS13_S14_EUlS13_E_NS1_11comp_targetILNS1_3genE0ELNS1_11target_archE4294967295ELNS1_3gpuE0ELNS1_3repE0EEENS1_30default_config_static_selectorELNS0_4arch9wavefront6targetE0EEEvT1_
                                        ; -- End function
	.set _ZN7rocprim17ROCPRIM_400000_NS6detail17trampoline_kernelINS0_14default_configENS1_25partition_config_selectorILNS1_17partition_subalgoE6EsNS0_10empty_typeEbEEZZNS1_14partition_implILS5_6ELb0ES3_mN6thrust23THRUST_200600_302600_NS6detail15normal_iteratorINSA_10device_ptrIsEEEEPS6_SG_NS0_5tupleIJSF_S6_EEENSH_IJSG_SG_EEES6_PlJNSB_9not_fun_tI7is_evenIsEEEEEE10hipError_tPvRmT3_T4_T5_T6_T7_T9_mT8_P12ihipStream_tbDpT10_ENKUlT_T0_E_clISt17integral_constantIbLb0EES18_EEDaS13_S14_EUlS13_E_NS1_11comp_targetILNS1_3genE0ELNS1_11target_archE4294967295ELNS1_3gpuE0ELNS1_3repE0EEENS1_30default_config_static_selectorELNS0_4arch9wavefront6targetE0EEEvT1_.num_vgpr, 0
	.set _ZN7rocprim17ROCPRIM_400000_NS6detail17trampoline_kernelINS0_14default_configENS1_25partition_config_selectorILNS1_17partition_subalgoE6EsNS0_10empty_typeEbEEZZNS1_14partition_implILS5_6ELb0ES3_mN6thrust23THRUST_200600_302600_NS6detail15normal_iteratorINSA_10device_ptrIsEEEEPS6_SG_NS0_5tupleIJSF_S6_EEENSH_IJSG_SG_EEES6_PlJNSB_9not_fun_tI7is_evenIsEEEEEE10hipError_tPvRmT3_T4_T5_T6_T7_T9_mT8_P12ihipStream_tbDpT10_ENKUlT_T0_E_clISt17integral_constantIbLb0EES18_EEDaS13_S14_EUlS13_E_NS1_11comp_targetILNS1_3genE0ELNS1_11target_archE4294967295ELNS1_3gpuE0ELNS1_3repE0EEENS1_30default_config_static_selectorELNS0_4arch9wavefront6targetE0EEEvT1_.num_agpr, 0
	.set _ZN7rocprim17ROCPRIM_400000_NS6detail17trampoline_kernelINS0_14default_configENS1_25partition_config_selectorILNS1_17partition_subalgoE6EsNS0_10empty_typeEbEEZZNS1_14partition_implILS5_6ELb0ES3_mN6thrust23THRUST_200600_302600_NS6detail15normal_iteratorINSA_10device_ptrIsEEEEPS6_SG_NS0_5tupleIJSF_S6_EEENSH_IJSG_SG_EEES6_PlJNSB_9not_fun_tI7is_evenIsEEEEEE10hipError_tPvRmT3_T4_T5_T6_T7_T9_mT8_P12ihipStream_tbDpT10_ENKUlT_T0_E_clISt17integral_constantIbLb0EES18_EEDaS13_S14_EUlS13_E_NS1_11comp_targetILNS1_3genE0ELNS1_11target_archE4294967295ELNS1_3gpuE0ELNS1_3repE0EEENS1_30default_config_static_selectorELNS0_4arch9wavefront6targetE0EEEvT1_.numbered_sgpr, 0
	.set _ZN7rocprim17ROCPRIM_400000_NS6detail17trampoline_kernelINS0_14default_configENS1_25partition_config_selectorILNS1_17partition_subalgoE6EsNS0_10empty_typeEbEEZZNS1_14partition_implILS5_6ELb0ES3_mN6thrust23THRUST_200600_302600_NS6detail15normal_iteratorINSA_10device_ptrIsEEEEPS6_SG_NS0_5tupleIJSF_S6_EEENSH_IJSG_SG_EEES6_PlJNSB_9not_fun_tI7is_evenIsEEEEEE10hipError_tPvRmT3_T4_T5_T6_T7_T9_mT8_P12ihipStream_tbDpT10_ENKUlT_T0_E_clISt17integral_constantIbLb0EES18_EEDaS13_S14_EUlS13_E_NS1_11comp_targetILNS1_3genE0ELNS1_11target_archE4294967295ELNS1_3gpuE0ELNS1_3repE0EEENS1_30default_config_static_selectorELNS0_4arch9wavefront6targetE0EEEvT1_.num_named_barrier, 0
	.set _ZN7rocprim17ROCPRIM_400000_NS6detail17trampoline_kernelINS0_14default_configENS1_25partition_config_selectorILNS1_17partition_subalgoE6EsNS0_10empty_typeEbEEZZNS1_14partition_implILS5_6ELb0ES3_mN6thrust23THRUST_200600_302600_NS6detail15normal_iteratorINSA_10device_ptrIsEEEEPS6_SG_NS0_5tupleIJSF_S6_EEENSH_IJSG_SG_EEES6_PlJNSB_9not_fun_tI7is_evenIsEEEEEE10hipError_tPvRmT3_T4_T5_T6_T7_T9_mT8_P12ihipStream_tbDpT10_ENKUlT_T0_E_clISt17integral_constantIbLb0EES18_EEDaS13_S14_EUlS13_E_NS1_11comp_targetILNS1_3genE0ELNS1_11target_archE4294967295ELNS1_3gpuE0ELNS1_3repE0EEENS1_30default_config_static_selectorELNS0_4arch9wavefront6targetE0EEEvT1_.private_seg_size, 0
	.set _ZN7rocprim17ROCPRIM_400000_NS6detail17trampoline_kernelINS0_14default_configENS1_25partition_config_selectorILNS1_17partition_subalgoE6EsNS0_10empty_typeEbEEZZNS1_14partition_implILS5_6ELb0ES3_mN6thrust23THRUST_200600_302600_NS6detail15normal_iteratorINSA_10device_ptrIsEEEEPS6_SG_NS0_5tupleIJSF_S6_EEENSH_IJSG_SG_EEES6_PlJNSB_9not_fun_tI7is_evenIsEEEEEE10hipError_tPvRmT3_T4_T5_T6_T7_T9_mT8_P12ihipStream_tbDpT10_ENKUlT_T0_E_clISt17integral_constantIbLb0EES18_EEDaS13_S14_EUlS13_E_NS1_11comp_targetILNS1_3genE0ELNS1_11target_archE4294967295ELNS1_3gpuE0ELNS1_3repE0EEENS1_30default_config_static_selectorELNS0_4arch9wavefront6targetE0EEEvT1_.uses_vcc, 0
	.set _ZN7rocprim17ROCPRIM_400000_NS6detail17trampoline_kernelINS0_14default_configENS1_25partition_config_selectorILNS1_17partition_subalgoE6EsNS0_10empty_typeEbEEZZNS1_14partition_implILS5_6ELb0ES3_mN6thrust23THRUST_200600_302600_NS6detail15normal_iteratorINSA_10device_ptrIsEEEEPS6_SG_NS0_5tupleIJSF_S6_EEENSH_IJSG_SG_EEES6_PlJNSB_9not_fun_tI7is_evenIsEEEEEE10hipError_tPvRmT3_T4_T5_T6_T7_T9_mT8_P12ihipStream_tbDpT10_ENKUlT_T0_E_clISt17integral_constantIbLb0EES18_EEDaS13_S14_EUlS13_E_NS1_11comp_targetILNS1_3genE0ELNS1_11target_archE4294967295ELNS1_3gpuE0ELNS1_3repE0EEENS1_30default_config_static_selectorELNS0_4arch9wavefront6targetE0EEEvT1_.uses_flat_scratch, 0
	.set _ZN7rocprim17ROCPRIM_400000_NS6detail17trampoline_kernelINS0_14default_configENS1_25partition_config_selectorILNS1_17partition_subalgoE6EsNS0_10empty_typeEbEEZZNS1_14partition_implILS5_6ELb0ES3_mN6thrust23THRUST_200600_302600_NS6detail15normal_iteratorINSA_10device_ptrIsEEEEPS6_SG_NS0_5tupleIJSF_S6_EEENSH_IJSG_SG_EEES6_PlJNSB_9not_fun_tI7is_evenIsEEEEEE10hipError_tPvRmT3_T4_T5_T6_T7_T9_mT8_P12ihipStream_tbDpT10_ENKUlT_T0_E_clISt17integral_constantIbLb0EES18_EEDaS13_S14_EUlS13_E_NS1_11comp_targetILNS1_3genE0ELNS1_11target_archE4294967295ELNS1_3gpuE0ELNS1_3repE0EEENS1_30default_config_static_selectorELNS0_4arch9wavefront6targetE0EEEvT1_.has_dyn_sized_stack, 0
	.set _ZN7rocprim17ROCPRIM_400000_NS6detail17trampoline_kernelINS0_14default_configENS1_25partition_config_selectorILNS1_17partition_subalgoE6EsNS0_10empty_typeEbEEZZNS1_14partition_implILS5_6ELb0ES3_mN6thrust23THRUST_200600_302600_NS6detail15normal_iteratorINSA_10device_ptrIsEEEEPS6_SG_NS0_5tupleIJSF_S6_EEENSH_IJSG_SG_EEES6_PlJNSB_9not_fun_tI7is_evenIsEEEEEE10hipError_tPvRmT3_T4_T5_T6_T7_T9_mT8_P12ihipStream_tbDpT10_ENKUlT_T0_E_clISt17integral_constantIbLb0EES18_EEDaS13_S14_EUlS13_E_NS1_11comp_targetILNS1_3genE0ELNS1_11target_archE4294967295ELNS1_3gpuE0ELNS1_3repE0EEENS1_30default_config_static_selectorELNS0_4arch9wavefront6targetE0EEEvT1_.has_recursion, 0
	.set _ZN7rocprim17ROCPRIM_400000_NS6detail17trampoline_kernelINS0_14default_configENS1_25partition_config_selectorILNS1_17partition_subalgoE6EsNS0_10empty_typeEbEEZZNS1_14partition_implILS5_6ELb0ES3_mN6thrust23THRUST_200600_302600_NS6detail15normal_iteratorINSA_10device_ptrIsEEEEPS6_SG_NS0_5tupleIJSF_S6_EEENSH_IJSG_SG_EEES6_PlJNSB_9not_fun_tI7is_evenIsEEEEEE10hipError_tPvRmT3_T4_T5_T6_T7_T9_mT8_P12ihipStream_tbDpT10_ENKUlT_T0_E_clISt17integral_constantIbLb0EES18_EEDaS13_S14_EUlS13_E_NS1_11comp_targetILNS1_3genE0ELNS1_11target_archE4294967295ELNS1_3gpuE0ELNS1_3repE0EEENS1_30default_config_static_selectorELNS0_4arch9wavefront6targetE0EEEvT1_.has_indirect_call, 0
	.section	.AMDGPU.csdata,"",@progbits
; Kernel info:
; codeLenInByte = 0
; TotalNumSgprs: 0
; NumVgprs: 0
; ScratchSize: 0
; MemoryBound: 0
; FloatMode: 240
; IeeeMode: 1
; LDSByteSize: 0 bytes/workgroup (compile time only)
; SGPRBlocks: 0
; VGPRBlocks: 0
; NumSGPRsForWavesPerEU: 1
; NumVGPRsForWavesPerEU: 1
; Occupancy: 16
; WaveLimiterHint : 0
; COMPUTE_PGM_RSRC2:SCRATCH_EN: 0
; COMPUTE_PGM_RSRC2:USER_SGPR: 2
; COMPUTE_PGM_RSRC2:TRAP_HANDLER: 0
; COMPUTE_PGM_RSRC2:TGID_X_EN: 1
; COMPUTE_PGM_RSRC2:TGID_Y_EN: 0
; COMPUTE_PGM_RSRC2:TGID_Z_EN: 0
; COMPUTE_PGM_RSRC2:TIDIG_COMP_CNT: 0
	.section	.text._ZN7rocprim17ROCPRIM_400000_NS6detail17trampoline_kernelINS0_14default_configENS1_25partition_config_selectorILNS1_17partition_subalgoE6EsNS0_10empty_typeEbEEZZNS1_14partition_implILS5_6ELb0ES3_mN6thrust23THRUST_200600_302600_NS6detail15normal_iteratorINSA_10device_ptrIsEEEEPS6_SG_NS0_5tupleIJSF_S6_EEENSH_IJSG_SG_EEES6_PlJNSB_9not_fun_tI7is_evenIsEEEEEE10hipError_tPvRmT3_T4_T5_T6_T7_T9_mT8_P12ihipStream_tbDpT10_ENKUlT_T0_E_clISt17integral_constantIbLb0EES18_EEDaS13_S14_EUlS13_E_NS1_11comp_targetILNS1_3genE5ELNS1_11target_archE942ELNS1_3gpuE9ELNS1_3repE0EEENS1_30default_config_static_selectorELNS0_4arch9wavefront6targetE0EEEvT1_,"axG",@progbits,_ZN7rocprim17ROCPRIM_400000_NS6detail17trampoline_kernelINS0_14default_configENS1_25partition_config_selectorILNS1_17partition_subalgoE6EsNS0_10empty_typeEbEEZZNS1_14partition_implILS5_6ELb0ES3_mN6thrust23THRUST_200600_302600_NS6detail15normal_iteratorINSA_10device_ptrIsEEEEPS6_SG_NS0_5tupleIJSF_S6_EEENSH_IJSG_SG_EEES6_PlJNSB_9not_fun_tI7is_evenIsEEEEEE10hipError_tPvRmT3_T4_T5_T6_T7_T9_mT8_P12ihipStream_tbDpT10_ENKUlT_T0_E_clISt17integral_constantIbLb0EES18_EEDaS13_S14_EUlS13_E_NS1_11comp_targetILNS1_3genE5ELNS1_11target_archE942ELNS1_3gpuE9ELNS1_3repE0EEENS1_30default_config_static_selectorELNS0_4arch9wavefront6targetE0EEEvT1_,comdat
	.protected	_ZN7rocprim17ROCPRIM_400000_NS6detail17trampoline_kernelINS0_14default_configENS1_25partition_config_selectorILNS1_17partition_subalgoE6EsNS0_10empty_typeEbEEZZNS1_14partition_implILS5_6ELb0ES3_mN6thrust23THRUST_200600_302600_NS6detail15normal_iteratorINSA_10device_ptrIsEEEEPS6_SG_NS0_5tupleIJSF_S6_EEENSH_IJSG_SG_EEES6_PlJNSB_9not_fun_tI7is_evenIsEEEEEE10hipError_tPvRmT3_T4_T5_T6_T7_T9_mT8_P12ihipStream_tbDpT10_ENKUlT_T0_E_clISt17integral_constantIbLb0EES18_EEDaS13_S14_EUlS13_E_NS1_11comp_targetILNS1_3genE5ELNS1_11target_archE942ELNS1_3gpuE9ELNS1_3repE0EEENS1_30default_config_static_selectorELNS0_4arch9wavefront6targetE0EEEvT1_ ; -- Begin function _ZN7rocprim17ROCPRIM_400000_NS6detail17trampoline_kernelINS0_14default_configENS1_25partition_config_selectorILNS1_17partition_subalgoE6EsNS0_10empty_typeEbEEZZNS1_14partition_implILS5_6ELb0ES3_mN6thrust23THRUST_200600_302600_NS6detail15normal_iteratorINSA_10device_ptrIsEEEEPS6_SG_NS0_5tupleIJSF_S6_EEENSH_IJSG_SG_EEES6_PlJNSB_9not_fun_tI7is_evenIsEEEEEE10hipError_tPvRmT3_T4_T5_T6_T7_T9_mT8_P12ihipStream_tbDpT10_ENKUlT_T0_E_clISt17integral_constantIbLb0EES18_EEDaS13_S14_EUlS13_E_NS1_11comp_targetILNS1_3genE5ELNS1_11target_archE942ELNS1_3gpuE9ELNS1_3repE0EEENS1_30default_config_static_selectorELNS0_4arch9wavefront6targetE0EEEvT1_
	.globl	_ZN7rocprim17ROCPRIM_400000_NS6detail17trampoline_kernelINS0_14default_configENS1_25partition_config_selectorILNS1_17partition_subalgoE6EsNS0_10empty_typeEbEEZZNS1_14partition_implILS5_6ELb0ES3_mN6thrust23THRUST_200600_302600_NS6detail15normal_iteratorINSA_10device_ptrIsEEEEPS6_SG_NS0_5tupleIJSF_S6_EEENSH_IJSG_SG_EEES6_PlJNSB_9not_fun_tI7is_evenIsEEEEEE10hipError_tPvRmT3_T4_T5_T6_T7_T9_mT8_P12ihipStream_tbDpT10_ENKUlT_T0_E_clISt17integral_constantIbLb0EES18_EEDaS13_S14_EUlS13_E_NS1_11comp_targetILNS1_3genE5ELNS1_11target_archE942ELNS1_3gpuE9ELNS1_3repE0EEENS1_30default_config_static_selectorELNS0_4arch9wavefront6targetE0EEEvT1_
	.p2align	8
	.type	_ZN7rocprim17ROCPRIM_400000_NS6detail17trampoline_kernelINS0_14default_configENS1_25partition_config_selectorILNS1_17partition_subalgoE6EsNS0_10empty_typeEbEEZZNS1_14partition_implILS5_6ELb0ES3_mN6thrust23THRUST_200600_302600_NS6detail15normal_iteratorINSA_10device_ptrIsEEEEPS6_SG_NS0_5tupleIJSF_S6_EEENSH_IJSG_SG_EEES6_PlJNSB_9not_fun_tI7is_evenIsEEEEEE10hipError_tPvRmT3_T4_T5_T6_T7_T9_mT8_P12ihipStream_tbDpT10_ENKUlT_T0_E_clISt17integral_constantIbLb0EES18_EEDaS13_S14_EUlS13_E_NS1_11comp_targetILNS1_3genE5ELNS1_11target_archE942ELNS1_3gpuE9ELNS1_3repE0EEENS1_30default_config_static_selectorELNS0_4arch9wavefront6targetE0EEEvT1_,@function
_ZN7rocprim17ROCPRIM_400000_NS6detail17trampoline_kernelINS0_14default_configENS1_25partition_config_selectorILNS1_17partition_subalgoE6EsNS0_10empty_typeEbEEZZNS1_14partition_implILS5_6ELb0ES3_mN6thrust23THRUST_200600_302600_NS6detail15normal_iteratorINSA_10device_ptrIsEEEEPS6_SG_NS0_5tupleIJSF_S6_EEENSH_IJSG_SG_EEES6_PlJNSB_9not_fun_tI7is_evenIsEEEEEE10hipError_tPvRmT3_T4_T5_T6_T7_T9_mT8_P12ihipStream_tbDpT10_ENKUlT_T0_E_clISt17integral_constantIbLb0EES18_EEDaS13_S14_EUlS13_E_NS1_11comp_targetILNS1_3genE5ELNS1_11target_archE942ELNS1_3gpuE9ELNS1_3repE0EEENS1_30default_config_static_selectorELNS0_4arch9wavefront6targetE0EEEvT1_: ; @_ZN7rocprim17ROCPRIM_400000_NS6detail17trampoline_kernelINS0_14default_configENS1_25partition_config_selectorILNS1_17partition_subalgoE6EsNS0_10empty_typeEbEEZZNS1_14partition_implILS5_6ELb0ES3_mN6thrust23THRUST_200600_302600_NS6detail15normal_iteratorINSA_10device_ptrIsEEEEPS6_SG_NS0_5tupleIJSF_S6_EEENSH_IJSG_SG_EEES6_PlJNSB_9not_fun_tI7is_evenIsEEEEEE10hipError_tPvRmT3_T4_T5_T6_T7_T9_mT8_P12ihipStream_tbDpT10_ENKUlT_T0_E_clISt17integral_constantIbLb0EES18_EEDaS13_S14_EUlS13_E_NS1_11comp_targetILNS1_3genE5ELNS1_11target_archE942ELNS1_3gpuE9ELNS1_3repE0EEENS1_30default_config_static_selectorELNS0_4arch9wavefront6targetE0EEEvT1_
; %bb.0:
	.section	.rodata,"a",@progbits
	.p2align	6, 0x0
	.amdhsa_kernel _ZN7rocprim17ROCPRIM_400000_NS6detail17trampoline_kernelINS0_14default_configENS1_25partition_config_selectorILNS1_17partition_subalgoE6EsNS0_10empty_typeEbEEZZNS1_14partition_implILS5_6ELb0ES3_mN6thrust23THRUST_200600_302600_NS6detail15normal_iteratorINSA_10device_ptrIsEEEEPS6_SG_NS0_5tupleIJSF_S6_EEENSH_IJSG_SG_EEES6_PlJNSB_9not_fun_tI7is_evenIsEEEEEE10hipError_tPvRmT3_T4_T5_T6_T7_T9_mT8_P12ihipStream_tbDpT10_ENKUlT_T0_E_clISt17integral_constantIbLb0EES18_EEDaS13_S14_EUlS13_E_NS1_11comp_targetILNS1_3genE5ELNS1_11target_archE942ELNS1_3gpuE9ELNS1_3repE0EEENS1_30default_config_static_selectorELNS0_4arch9wavefront6targetE0EEEvT1_
		.amdhsa_group_segment_fixed_size 0
		.amdhsa_private_segment_fixed_size 0
		.amdhsa_kernarg_size 112
		.amdhsa_user_sgpr_count 2
		.amdhsa_user_sgpr_dispatch_ptr 0
		.amdhsa_user_sgpr_queue_ptr 0
		.amdhsa_user_sgpr_kernarg_segment_ptr 1
		.amdhsa_user_sgpr_dispatch_id 0
		.amdhsa_user_sgpr_private_segment_size 0
		.amdhsa_wavefront_size32 1
		.amdhsa_uses_dynamic_stack 0
		.amdhsa_enable_private_segment 0
		.amdhsa_system_sgpr_workgroup_id_x 1
		.amdhsa_system_sgpr_workgroup_id_y 0
		.amdhsa_system_sgpr_workgroup_id_z 0
		.amdhsa_system_sgpr_workgroup_info 0
		.amdhsa_system_vgpr_workitem_id 0
		.amdhsa_next_free_vgpr 1
		.amdhsa_next_free_sgpr 1
		.amdhsa_reserve_vcc 0
		.amdhsa_float_round_mode_32 0
		.amdhsa_float_round_mode_16_64 0
		.amdhsa_float_denorm_mode_32 3
		.amdhsa_float_denorm_mode_16_64 3
		.amdhsa_fp16_overflow 0
		.amdhsa_workgroup_processor_mode 1
		.amdhsa_memory_ordered 1
		.amdhsa_forward_progress 1
		.amdhsa_inst_pref_size 0
		.amdhsa_round_robin_scheduling 0
		.amdhsa_exception_fp_ieee_invalid_op 0
		.amdhsa_exception_fp_denorm_src 0
		.amdhsa_exception_fp_ieee_div_zero 0
		.amdhsa_exception_fp_ieee_overflow 0
		.amdhsa_exception_fp_ieee_underflow 0
		.amdhsa_exception_fp_ieee_inexact 0
		.amdhsa_exception_int_div_zero 0
	.end_amdhsa_kernel
	.section	.text._ZN7rocprim17ROCPRIM_400000_NS6detail17trampoline_kernelINS0_14default_configENS1_25partition_config_selectorILNS1_17partition_subalgoE6EsNS0_10empty_typeEbEEZZNS1_14partition_implILS5_6ELb0ES3_mN6thrust23THRUST_200600_302600_NS6detail15normal_iteratorINSA_10device_ptrIsEEEEPS6_SG_NS0_5tupleIJSF_S6_EEENSH_IJSG_SG_EEES6_PlJNSB_9not_fun_tI7is_evenIsEEEEEE10hipError_tPvRmT3_T4_T5_T6_T7_T9_mT8_P12ihipStream_tbDpT10_ENKUlT_T0_E_clISt17integral_constantIbLb0EES18_EEDaS13_S14_EUlS13_E_NS1_11comp_targetILNS1_3genE5ELNS1_11target_archE942ELNS1_3gpuE9ELNS1_3repE0EEENS1_30default_config_static_selectorELNS0_4arch9wavefront6targetE0EEEvT1_,"axG",@progbits,_ZN7rocprim17ROCPRIM_400000_NS6detail17trampoline_kernelINS0_14default_configENS1_25partition_config_selectorILNS1_17partition_subalgoE6EsNS0_10empty_typeEbEEZZNS1_14partition_implILS5_6ELb0ES3_mN6thrust23THRUST_200600_302600_NS6detail15normal_iteratorINSA_10device_ptrIsEEEEPS6_SG_NS0_5tupleIJSF_S6_EEENSH_IJSG_SG_EEES6_PlJNSB_9not_fun_tI7is_evenIsEEEEEE10hipError_tPvRmT3_T4_T5_T6_T7_T9_mT8_P12ihipStream_tbDpT10_ENKUlT_T0_E_clISt17integral_constantIbLb0EES18_EEDaS13_S14_EUlS13_E_NS1_11comp_targetILNS1_3genE5ELNS1_11target_archE942ELNS1_3gpuE9ELNS1_3repE0EEENS1_30default_config_static_selectorELNS0_4arch9wavefront6targetE0EEEvT1_,comdat
.Lfunc_end758:
	.size	_ZN7rocprim17ROCPRIM_400000_NS6detail17trampoline_kernelINS0_14default_configENS1_25partition_config_selectorILNS1_17partition_subalgoE6EsNS0_10empty_typeEbEEZZNS1_14partition_implILS5_6ELb0ES3_mN6thrust23THRUST_200600_302600_NS6detail15normal_iteratorINSA_10device_ptrIsEEEEPS6_SG_NS0_5tupleIJSF_S6_EEENSH_IJSG_SG_EEES6_PlJNSB_9not_fun_tI7is_evenIsEEEEEE10hipError_tPvRmT3_T4_T5_T6_T7_T9_mT8_P12ihipStream_tbDpT10_ENKUlT_T0_E_clISt17integral_constantIbLb0EES18_EEDaS13_S14_EUlS13_E_NS1_11comp_targetILNS1_3genE5ELNS1_11target_archE942ELNS1_3gpuE9ELNS1_3repE0EEENS1_30default_config_static_selectorELNS0_4arch9wavefront6targetE0EEEvT1_, .Lfunc_end758-_ZN7rocprim17ROCPRIM_400000_NS6detail17trampoline_kernelINS0_14default_configENS1_25partition_config_selectorILNS1_17partition_subalgoE6EsNS0_10empty_typeEbEEZZNS1_14partition_implILS5_6ELb0ES3_mN6thrust23THRUST_200600_302600_NS6detail15normal_iteratorINSA_10device_ptrIsEEEEPS6_SG_NS0_5tupleIJSF_S6_EEENSH_IJSG_SG_EEES6_PlJNSB_9not_fun_tI7is_evenIsEEEEEE10hipError_tPvRmT3_T4_T5_T6_T7_T9_mT8_P12ihipStream_tbDpT10_ENKUlT_T0_E_clISt17integral_constantIbLb0EES18_EEDaS13_S14_EUlS13_E_NS1_11comp_targetILNS1_3genE5ELNS1_11target_archE942ELNS1_3gpuE9ELNS1_3repE0EEENS1_30default_config_static_selectorELNS0_4arch9wavefront6targetE0EEEvT1_
                                        ; -- End function
	.set _ZN7rocprim17ROCPRIM_400000_NS6detail17trampoline_kernelINS0_14default_configENS1_25partition_config_selectorILNS1_17partition_subalgoE6EsNS0_10empty_typeEbEEZZNS1_14partition_implILS5_6ELb0ES3_mN6thrust23THRUST_200600_302600_NS6detail15normal_iteratorINSA_10device_ptrIsEEEEPS6_SG_NS0_5tupleIJSF_S6_EEENSH_IJSG_SG_EEES6_PlJNSB_9not_fun_tI7is_evenIsEEEEEE10hipError_tPvRmT3_T4_T5_T6_T7_T9_mT8_P12ihipStream_tbDpT10_ENKUlT_T0_E_clISt17integral_constantIbLb0EES18_EEDaS13_S14_EUlS13_E_NS1_11comp_targetILNS1_3genE5ELNS1_11target_archE942ELNS1_3gpuE9ELNS1_3repE0EEENS1_30default_config_static_selectorELNS0_4arch9wavefront6targetE0EEEvT1_.num_vgpr, 0
	.set _ZN7rocprim17ROCPRIM_400000_NS6detail17trampoline_kernelINS0_14default_configENS1_25partition_config_selectorILNS1_17partition_subalgoE6EsNS0_10empty_typeEbEEZZNS1_14partition_implILS5_6ELb0ES3_mN6thrust23THRUST_200600_302600_NS6detail15normal_iteratorINSA_10device_ptrIsEEEEPS6_SG_NS0_5tupleIJSF_S6_EEENSH_IJSG_SG_EEES6_PlJNSB_9not_fun_tI7is_evenIsEEEEEE10hipError_tPvRmT3_T4_T5_T6_T7_T9_mT8_P12ihipStream_tbDpT10_ENKUlT_T0_E_clISt17integral_constantIbLb0EES18_EEDaS13_S14_EUlS13_E_NS1_11comp_targetILNS1_3genE5ELNS1_11target_archE942ELNS1_3gpuE9ELNS1_3repE0EEENS1_30default_config_static_selectorELNS0_4arch9wavefront6targetE0EEEvT1_.num_agpr, 0
	.set _ZN7rocprim17ROCPRIM_400000_NS6detail17trampoline_kernelINS0_14default_configENS1_25partition_config_selectorILNS1_17partition_subalgoE6EsNS0_10empty_typeEbEEZZNS1_14partition_implILS5_6ELb0ES3_mN6thrust23THRUST_200600_302600_NS6detail15normal_iteratorINSA_10device_ptrIsEEEEPS6_SG_NS0_5tupleIJSF_S6_EEENSH_IJSG_SG_EEES6_PlJNSB_9not_fun_tI7is_evenIsEEEEEE10hipError_tPvRmT3_T4_T5_T6_T7_T9_mT8_P12ihipStream_tbDpT10_ENKUlT_T0_E_clISt17integral_constantIbLb0EES18_EEDaS13_S14_EUlS13_E_NS1_11comp_targetILNS1_3genE5ELNS1_11target_archE942ELNS1_3gpuE9ELNS1_3repE0EEENS1_30default_config_static_selectorELNS0_4arch9wavefront6targetE0EEEvT1_.numbered_sgpr, 0
	.set _ZN7rocprim17ROCPRIM_400000_NS6detail17trampoline_kernelINS0_14default_configENS1_25partition_config_selectorILNS1_17partition_subalgoE6EsNS0_10empty_typeEbEEZZNS1_14partition_implILS5_6ELb0ES3_mN6thrust23THRUST_200600_302600_NS6detail15normal_iteratorINSA_10device_ptrIsEEEEPS6_SG_NS0_5tupleIJSF_S6_EEENSH_IJSG_SG_EEES6_PlJNSB_9not_fun_tI7is_evenIsEEEEEE10hipError_tPvRmT3_T4_T5_T6_T7_T9_mT8_P12ihipStream_tbDpT10_ENKUlT_T0_E_clISt17integral_constantIbLb0EES18_EEDaS13_S14_EUlS13_E_NS1_11comp_targetILNS1_3genE5ELNS1_11target_archE942ELNS1_3gpuE9ELNS1_3repE0EEENS1_30default_config_static_selectorELNS0_4arch9wavefront6targetE0EEEvT1_.num_named_barrier, 0
	.set _ZN7rocprim17ROCPRIM_400000_NS6detail17trampoline_kernelINS0_14default_configENS1_25partition_config_selectorILNS1_17partition_subalgoE6EsNS0_10empty_typeEbEEZZNS1_14partition_implILS5_6ELb0ES3_mN6thrust23THRUST_200600_302600_NS6detail15normal_iteratorINSA_10device_ptrIsEEEEPS6_SG_NS0_5tupleIJSF_S6_EEENSH_IJSG_SG_EEES6_PlJNSB_9not_fun_tI7is_evenIsEEEEEE10hipError_tPvRmT3_T4_T5_T6_T7_T9_mT8_P12ihipStream_tbDpT10_ENKUlT_T0_E_clISt17integral_constantIbLb0EES18_EEDaS13_S14_EUlS13_E_NS1_11comp_targetILNS1_3genE5ELNS1_11target_archE942ELNS1_3gpuE9ELNS1_3repE0EEENS1_30default_config_static_selectorELNS0_4arch9wavefront6targetE0EEEvT1_.private_seg_size, 0
	.set _ZN7rocprim17ROCPRIM_400000_NS6detail17trampoline_kernelINS0_14default_configENS1_25partition_config_selectorILNS1_17partition_subalgoE6EsNS0_10empty_typeEbEEZZNS1_14partition_implILS5_6ELb0ES3_mN6thrust23THRUST_200600_302600_NS6detail15normal_iteratorINSA_10device_ptrIsEEEEPS6_SG_NS0_5tupleIJSF_S6_EEENSH_IJSG_SG_EEES6_PlJNSB_9not_fun_tI7is_evenIsEEEEEE10hipError_tPvRmT3_T4_T5_T6_T7_T9_mT8_P12ihipStream_tbDpT10_ENKUlT_T0_E_clISt17integral_constantIbLb0EES18_EEDaS13_S14_EUlS13_E_NS1_11comp_targetILNS1_3genE5ELNS1_11target_archE942ELNS1_3gpuE9ELNS1_3repE0EEENS1_30default_config_static_selectorELNS0_4arch9wavefront6targetE0EEEvT1_.uses_vcc, 0
	.set _ZN7rocprim17ROCPRIM_400000_NS6detail17trampoline_kernelINS0_14default_configENS1_25partition_config_selectorILNS1_17partition_subalgoE6EsNS0_10empty_typeEbEEZZNS1_14partition_implILS5_6ELb0ES3_mN6thrust23THRUST_200600_302600_NS6detail15normal_iteratorINSA_10device_ptrIsEEEEPS6_SG_NS0_5tupleIJSF_S6_EEENSH_IJSG_SG_EEES6_PlJNSB_9not_fun_tI7is_evenIsEEEEEE10hipError_tPvRmT3_T4_T5_T6_T7_T9_mT8_P12ihipStream_tbDpT10_ENKUlT_T0_E_clISt17integral_constantIbLb0EES18_EEDaS13_S14_EUlS13_E_NS1_11comp_targetILNS1_3genE5ELNS1_11target_archE942ELNS1_3gpuE9ELNS1_3repE0EEENS1_30default_config_static_selectorELNS0_4arch9wavefront6targetE0EEEvT1_.uses_flat_scratch, 0
	.set _ZN7rocprim17ROCPRIM_400000_NS6detail17trampoline_kernelINS0_14default_configENS1_25partition_config_selectorILNS1_17partition_subalgoE6EsNS0_10empty_typeEbEEZZNS1_14partition_implILS5_6ELb0ES3_mN6thrust23THRUST_200600_302600_NS6detail15normal_iteratorINSA_10device_ptrIsEEEEPS6_SG_NS0_5tupleIJSF_S6_EEENSH_IJSG_SG_EEES6_PlJNSB_9not_fun_tI7is_evenIsEEEEEE10hipError_tPvRmT3_T4_T5_T6_T7_T9_mT8_P12ihipStream_tbDpT10_ENKUlT_T0_E_clISt17integral_constantIbLb0EES18_EEDaS13_S14_EUlS13_E_NS1_11comp_targetILNS1_3genE5ELNS1_11target_archE942ELNS1_3gpuE9ELNS1_3repE0EEENS1_30default_config_static_selectorELNS0_4arch9wavefront6targetE0EEEvT1_.has_dyn_sized_stack, 0
	.set _ZN7rocprim17ROCPRIM_400000_NS6detail17trampoline_kernelINS0_14default_configENS1_25partition_config_selectorILNS1_17partition_subalgoE6EsNS0_10empty_typeEbEEZZNS1_14partition_implILS5_6ELb0ES3_mN6thrust23THRUST_200600_302600_NS6detail15normal_iteratorINSA_10device_ptrIsEEEEPS6_SG_NS0_5tupleIJSF_S6_EEENSH_IJSG_SG_EEES6_PlJNSB_9not_fun_tI7is_evenIsEEEEEE10hipError_tPvRmT3_T4_T5_T6_T7_T9_mT8_P12ihipStream_tbDpT10_ENKUlT_T0_E_clISt17integral_constantIbLb0EES18_EEDaS13_S14_EUlS13_E_NS1_11comp_targetILNS1_3genE5ELNS1_11target_archE942ELNS1_3gpuE9ELNS1_3repE0EEENS1_30default_config_static_selectorELNS0_4arch9wavefront6targetE0EEEvT1_.has_recursion, 0
	.set _ZN7rocprim17ROCPRIM_400000_NS6detail17trampoline_kernelINS0_14default_configENS1_25partition_config_selectorILNS1_17partition_subalgoE6EsNS0_10empty_typeEbEEZZNS1_14partition_implILS5_6ELb0ES3_mN6thrust23THRUST_200600_302600_NS6detail15normal_iteratorINSA_10device_ptrIsEEEEPS6_SG_NS0_5tupleIJSF_S6_EEENSH_IJSG_SG_EEES6_PlJNSB_9not_fun_tI7is_evenIsEEEEEE10hipError_tPvRmT3_T4_T5_T6_T7_T9_mT8_P12ihipStream_tbDpT10_ENKUlT_T0_E_clISt17integral_constantIbLb0EES18_EEDaS13_S14_EUlS13_E_NS1_11comp_targetILNS1_3genE5ELNS1_11target_archE942ELNS1_3gpuE9ELNS1_3repE0EEENS1_30default_config_static_selectorELNS0_4arch9wavefront6targetE0EEEvT1_.has_indirect_call, 0
	.section	.AMDGPU.csdata,"",@progbits
; Kernel info:
; codeLenInByte = 0
; TotalNumSgprs: 0
; NumVgprs: 0
; ScratchSize: 0
; MemoryBound: 0
; FloatMode: 240
; IeeeMode: 1
; LDSByteSize: 0 bytes/workgroup (compile time only)
; SGPRBlocks: 0
; VGPRBlocks: 0
; NumSGPRsForWavesPerEU: 1
; NumVGPRsForWavesPerEU: 1
; Occupancy: 16
; WaveLimiterHint : 0
; COMPUTE_PGM_RSRC2:SCRATCH_EN: 0
; COMPUTE_PGM_RSRC2:USER_SGPR: 2
; COMPUTE_PGM_RSRC2:TRAP_HANDLER: 0
; COMPUTE_PGM_RSRC2:TGID_X_EN: 1
; COMPUTE_PGM_RSRC2:TGID_Y_EN: 0
; COMPUTE_PGM_RSRC2:TGID_Z_EN: 0
; COMPUTE_PGM_RSRC2:TIDIG_COMP_CNT: 0
	.section	.text._ZN7rocprim17ROCPRIM_400000_NS6detail17trampoline_kernelINS0_14default_configENS1_25partition_config_selectorILNS1_17partition_subalgoE6EsNS0_10empty_typeEbEEZZNS1_14partition_implILS5_6ELb0ES3_mN6thrust23THRUST_200600_302600_NS6detail15normal_iteratorINSA_10device_ptrIsEEEEPS6_SG_NS0_5tupleIJSF_S6_EEENSH_IJSG_SG_EEES6_PlJNSB_9not_fun_tI7is_evenIsEEEEEE10hipError_tPvRmT3_T4_T5_T6_T7_T9_mT8_P12ihipStream_tbDpT10_ENKUlT_T0_E_clISt17integral_constantIbLb0EES18_EEDaS13_S14_EUlS13_E_NS1_11comp_targetILNS1_3genE4ELNS1_11target_archE910ELNS1_3gpuE8ELNS1_3repE0EEENS1_30default_config_static_selectorELNS0_4arch9wavefront6targetE0EEEvT1_,"axG",@progbits,_ZN7rocprim17ROCPRIM_400000_NS6detail17trampoline_kernelINS0_14default_configENS1_25partition_config_selectorILNS1_17partition_subalgoE6EsNS0_10empty_typeEbEEZZNS1_14partition_implILS5_6ELb0ES3_mN6thrust23THRUST_200600_302600_NS6detail15normal_iteratorINSA_10device_ptrIsEEEEPS6_SG_NS0_5tupleIJSF_S6_EEENSH_IJSG_SG_EEES6_PlJNSB_9not_fun_tI7is_evenIsEEEEEE10hipError_tPvRmT3_T4_T5_T6_T7_T9_mT8_P12ihipStream_tbDpT10_ENKUlT_T0_E_clISt17integral_constantIbLb0EES18_EEDaS13_S14_EUlS13_E_NS1_11comp_targetILNS1_3genE4ELNS1_11target_archE910ELNS1_3gpuE8ELNS1_3repE0EEENS1_30default_config_static_selectorELNS0_4arch9wavefront6targetE0EEEvT1_,comdat
	.protected	_ZN7rocprim17ROCPRIM_400000_NS6detail17trampoline_kernelINS0_14default_configENS1_25partition_config_selectorILNS1_17partition_subalgoE6EsNS0_10empty_typeEbEEZZNS1_14partition_implILS5_6ELb0ES3_mN6thrust23THRUST_200600_302600_NS6detail15normal_iteratorINSA_10device_ptrIsEEEEPS6_SG_NS0_5tupleIJSF_S6_EEENSH_IJSG_SG_EEES6_PlJNSB_9not_fun_tI7is_evenIsEEEEEE10hipError_tPvRmT3_T4_T5_T6_T7_T9_mT8_P12ihipStream_tbDpT10_ENKUlT_T0_E_clISt17integral_constantIbLb0EES18_EEDaS13_S14_EUlS13_E_NS1_11comp_targetILNS1_3genE4ELNS1_11target_archE910ELNS1_3gpuE8ELNS1_3repE0EEENS1_30default_config_static_selectorELNS0_4arch9wavefront6targetE0EEEvT1_ ; -- Begin function _ZN7rocprim17ROCPRIM_400000_NS6detail17trampoline_kernelINS0_14default_configENS1_25partition_config_selectorILNS1_17partition_subalgoE6EsNS0_10empty_typeEbEEZZNS1_14partition_implILS5_6ELb0ES3_mN6thrust23THRUST_200600_302600_NS6detail15normal_iteratorINSA_10device_ptrIsEEEEPS6_SG_NS0_5tupleIJSF_S6_EEENSH_IJSG_SG_EEES6_PlJNSB_9not_fun_tI7is_evenIsEEEEEE10hipError_tPvRmT3_T4_T5_T6_T7_T9_mT8_P12ihipStream_tbDpT10_ENKUlT_T0_E_clISt17integral_constantIbLb0EES18_EEDaS13_S14_EUlS13_E_NS1_11comp_targetILNS1_3genE4ELNS1_11target_archE910ELNS1_3gpuE8ELNS1_3repE0EEENS1_30default_config_static_selectorELNS0_4arch9wavefront6targetE0EEEvT1_
	.globl	_ZN7rocprim17ROCPRIM_400000_NS6detail17trampoline_kernelINS0_14default_configENS1_25partition_config_selectorILNS1_17partition_subalgoE6EsNS0_10empty_typeEbEEZZNS1_14partition_implILS5_6ELb0ES3_mN6thrust23THRUST_200600_302600_NS6detail15normal_iteratorINSA_10device_ptrIsEEEEPS6_SG_NS0_5tupleIJSF_S6_EEENSH_IJSG_SG_EEES6_PlJNSB_9not_fun_tI7is_evenIsEEEEEE10hipError_tPvRmT3_T4_T5_T6_T7_T9_mT8_P12ihipStream_tbDpT10_ENKUlT_T0_E_clISt17integral_constantIbLb0EES18_EEDaS13_S14_EUlS13_E_NS1_11comp_targetILNS1_3genE4ELNS1_11target_archE910ELNS1_3gpuE8ELNS1_3repE0EEENS1_30default_config_static_selectorELNS0_4arch9wavefront6targetE0EEEvT1_
	.p2align	8
	.type	_ZN7rocprim17ROCPRIM_400000_NS6detail17trampoline_kernelINS0_14default_configENS1_25partition_config_selectorILNS1_17partition_subalgoE6EsNS0_10empty_typeEbEEZZNS1_14partition_implILS5_6ELb0ES3_mN6thrust23THRUST_200600_302600_NS6detail15normal_iteratorINSA_10device_ptrIsEEEEPS6_SG_NS0_5tupleIJSF_S6_EEENSH_IJSG_SG_EEES6_PlJNSB_9not_fun_tI7is_evenIsEEEEEE10hipError_tPvRmT3_T4_T5_T6_T7_T9_mT8_P12ihipStream_tbDpT10_ENKUlT_T0_E_clISt17integral_constantIbLb0EES18_EEDaS13_S14_EUlS13_E_NS1_11comp_targetILNS1_3genE4ELNS1_11target_archE910ELNS1_3gpuE8ELNS1_3repE0EEENS1_30default_config_static_selectorELNS0_4arch9wavefront6targetE0EEEvT1_,@function
_ZN7rocprim17ROCPRIM_400000_NS6detail17trampoline_kernelINS0_14default_configENS1_25partition_config_selectorILNS1_17partition_subalgoE6EsNS0_10empty_typeEbEEZZNS1_14partition_implILS5_6ELb0ES3_mN6thrust23THRUST_200600_302600_NS6detail15normal_iteratorINSA_10device_ptrIsEEEEPS6_SG_NS0_5tupleIJSF_S6_EEENSH_IJSG_SG_EEES6_PlJNSB_9not_fun_tI7is_evenIsEEEEEE10hipError_tPvRmT3_T4_T5_T6_T7_T9_mT8_P12ihipStream_tbDpT10_ENKUlT_T0_E_clISt17integral_constantIbLb0EES18_EEDaS13_S14_EUlS13_E_NS1_11comp_targetILNS1_3genE4ELNS1_11target_archE910ELNS1_3gpuE8ELNS1_3repE0EEENS1_30default_config_static_selectorELNS0_4arch9wavefront6targetE0EEEvT1_: ; @_ZN7rocprim17ROCPRIM_400000_NS6detail17trampoline_kernelINS0_14default_configENS1_25partition_config_selectorILNS1_17partition_subalgoE6EsNS0_10empty_typeEbEEZZNS1_14partition_implILS5_6ELb0ES3_mN6thrust23THRUST_200600_302600_NS6detail15normal_iteratorINSA_10device_ptrIsEEEEPS6_SG_NS0_5tupleIJSF_S6_EEENSH_IJSG_SG_EEES6_PlJNSB_9not_fun_tI7is_evenIsEEEEEE10hipError_tPvRmT3_T4_T5_T6_T7_T9_mT8_P12ihipStream_tbDpT10_ENKUlT_T0_E_clISt17integral_constantIbLb0EES18_EEDaS13_S14_EUlS13_E_NS1_11comp_targetILNS1_3genE4ELNS1_11target_archE910ELNS1_3gpuE8ELNS1_3repE0EEENS1_30default_config_static_selectorELNS0_4arch9wavefront6targetE0EEEvT1_
; %bb.0:
	.section	.rodata,"a",@progbits
	.p2align	6, 0x0
	.amdhsa_kernel _ZN7rocprim17ROCPRIM_400000_NS6detail17trampoline_kernelINS0_14default_configENS1_25partition_config_selectorILNS1_17partition_subalgoE6EsNS0_10empty_typeEbEEZZNS1_14partition_implILS5_6ELb0ES3_mN6thrust23THRUST_200600_302600_NS6detail15normal_iteratorINSA_10device_ptrIsEEEEPS6_SG_NS0_5tupleIJSF_S6_EEENSH_IJSG_SG_EEES6_PlJNSB_9not_fun_tI7is_evenIsEEEEEE10hipError_tPvRmT3_T4_T5_T6_T7_T9_mT8_P12ihipStream_tbDpT10_ENKUlT_T0_E_clISt17integral_constantIbLb0EES18_EEDaS13_S14_EUlS13_E_NS1_11comp_targetILNS1_3genE4ELNS1_11target_archE910ELNS1_3gpuE8ELNS1_3repE0EEENS1_30default_config_static_selectorELNS0_4arch9wavefront6targetE0EEEvT1_
		.amdhsa_group_segment_fixed_size 0
		.amdhsa_private_segment_fixed_size 0
		.amdhsa_kernarg_size 112
		.amdhsa_user_sgpr_count 2
		.amdhsa_user_sgpr_dispatch_ptr 0
		.amdhsa_user_sgpr_queue_ptr 0
		.amdhsa_user_sgpr_kernarg_segment_ptr 1
		.amdhsa_user_sgpr_dispatch_id 0
		.amdhsa_user_sgpr_private_segment_size 0
		.amdhsa_wavefront_size32 1
		.amdhsa_uses_dynamic_stack 0
		.amdhsa_enable_private_segment 0
		.amdhsa_system_sgpr_workgroup_id_x 1
		.amdhsa_system_sgpr_workgroup_id_y 0
		.amdhsa_system_sgpr_workgroup_id_z 0
		.amdhsa_system_sgpr_workgroup_info 0
		.amdhsa_system_vgpr_workitem_id 0
		.amdhsa_next_free_vgpr 1
		.amdhsa_next_free_sgpr 1
		.amdhsa_reserve_vcc 0
		.amdhsa_float_round_mode_32 0
		.amdhsa_float_round_mode_16_64 0
		.amdhsa_float_denorm_mode_32 3
		.amdhsa_float_denorm_mode_16_64 3
		.amdhsa_fp16_overflow 0
		.amdhsa_workgroup_processor_mode 1
		.amdhsa_memory_ordered 1
		.amdhsa_forward_progress 1
		.amdhsa_inst_pref_size 0
		.amdhsa_round_robin_scheduling 0
		.amdhsa_exception_fp_ieee_invalid_op 0
		.amdhsa_exception_fp_denorm_src 0
		.amdhsa_exception_fp_ieee_div_zero 0
		.amdhsa_exception_fp_ieee_overflow 0
		.amdhsa_exception_fp_ieee_underflow 0
		.amdhsa_exception_fp_ieee_inexact 0
		.amdhsa_exception_int_div_zero 0
	.end_amdhsa_kernel
	.section	.text._ZN7rocprim17ROCPRIM_400000_NS6detail17trampoline_kernelINS0_14default_configENS1_25partition_config_selectorILNS1_17partition_subalgoE6EsNS0_10empty_typeEbEEZZNS1_14partition_implILS5_6ELb0ES3_mN6thrust23THRUST_200600_302600_NS6detail15normal_iteratorINSA_10device_ptrIsEEEEPS6_SG_NS0_5tupleIJSF_S6_EEENSH_IJSG_SG_EEES6_PlJNSB_9not_fun_tI7is_evenIsEEEEEE10hipError_tPvRmT3_T4_T5_T6_T7_T9_mT8_P12ihipStream_tbDpT10_ENKUlT_T0_E_clISt17integral_constantIbLb0EES18_EEDaS13_S14_EUlS13_E_NS1_11comp_targetILNS1_3genE4ELNS1_11target_archE910ELNS1_3gpuE8ELNS1_3repE0EEENS1_30default_config_static_selectorELNS0_4arch9wavefront6targetE0EEEvT1_,"axG",@progbits,_ZN7rocprim17ROCPRIM_400000_NS6detail17trampoline_kernelINS0_14default_configENS1_25partition_config_selectorILNS1_17partition_subalgoE6EsNS0_10empty_typeEbEEZZNS1_14partition_implILS5_6ELb0ES3_mN6thrust23THRUST_200600_302600_NS6detail15normal_iteratorINSA_10device_ptrIsEEEEPS6_SG_NS0_5tupleIJSF_S6_EEENSH_IJSG_SG_EEES6_PlJNSB_9not_fun_tI7is_evenIsEEEEEE10hipError_tPvRmT3_T4_T5_T6_T7_T9_mT8_P12ihipStream_tbDpT10_ENKUlT_T0_E_clISt17integral_constantIbLb0EES18_EEDaS13_S14_EUlS13_E_NS1_11comp_targetILNS1_3genE4ELNS1_11target_archE910ELNS1_3gpuE8ELNS1_3repE0EEENS1_30default_config_static_selectorELNS0_4arch9wavefront6targetE0EEEvT1_,comdat
.Lfunc_end759:
	.size	_ZN7rocprim17ROCPRIM_400000_NS6detail17trampoline_kernelINS0_14default_configENS1_25partition_config_selectorILNS1_17partition_subalgoE6EsNS0_10empty_typeEbEEZZNS1_14partition_implILS5_6ELb0ES3_mN6thrust23THRUST_200600_302600_NS6detail15normal_iteratorINSA_10device_ptrIsEEEEPS6_SG_NS0_5tupleIJSF_S6_EEENSH_IJSG_SG_EEES6_PlJNSB_9not_fun_tI7is_evenIsEEEEEE10hipError_tPvRmT3_T4_T5_T6_T7_T9_mT8_P12ihipStream_tbDpT10_ENKUlT_T0_E_clISt17integral_constantIbLb0EES18_EEDaS13_S14_EUlS13_E_NS1_11comp_targetILNS1_3genE4ELNS1_11target_archE910ELNS1_3gpuE8ELNS1_3repE0EEENS1_30default_config_static_selectorELNS0_4arch9wavefront6targetE0EEEvT1_, .Lfunc_end759-_ZN7rocprim17ROCPRIM_400000_NS6detail17trampoline_kernelINS0_14default_configENS1_25partition_config_selectorILNS1_17partition_subalgoE6EsNS0_10empty_typeEbEEZZNS1_14partition_implILS5_6ELb0ES3_mN6thrust23THRUST_200600_302600_NS6detail15normal_iteratorINSA_10device_ptrIsEEEEPS6_SG_NS0_5tupleIJSF_S6_EEENSH_IJSG_SG_EEES6_PlJNSB_9not_fun_tI7is_evenIsEEEEEE10hipError_tPvRmT3_T4_T5_T6_T7_T9_mT8_P12ihipStream_tbDpT10_ENKUlT_T0_E_clISt17integral_constantIbLb0EES18_EEDaS13_S14_EUlS13_E_NS1_11comp_targetILNS1_3genE4ELNS1_11target_archE910ELNS1_3gpuE8ELNS1_3repE0EEENS1_30default_config_static_selectorELNS0_4arch9wavefront6targetE0EEEvT1_
                                        ; -- End function
	.set _ZN7rocprim17ROCPRIM_400000_NS6detail17trampoline_kernelINS0_14default_configENS1_25partition_config_selectorILNS1_17partition_subalgoE6EsNS0_10empty_typeEbEEZZNS1_14partition_implILS5_6ELb0ES3_mN6thrust23THRUST_200600_302600_NS6detail15normal_iteratorINSA_10device_ptrIsEEEEPS6_SG_NS0_5tupleIJSF_S6_EEENSH_IJSG_SG_EEES6_PlJNSB_9not_fun_tI7is_evenIsEEEEEE10hipError_tPvRmT3_T4_T5_T6_T7_T9_mT8_P12ihipStream_tbDpT10_ENKUlT_T0_E_clISt17integral_constantIbLb0EES18_EEDaS13_S14_EUlS13_E_NS1_11comp_targetILNS1_3genE4ELNS1_11target_archE910ELNS1_3gpuE8ELNS1_3repE0EEENS1_30default_config_static_selectorELNS0_4arch9wavefront6targetE0EEEvT1_.num_vgpr, 0
	.set _ZN7rocprim17ROCPRIM_400000_NS6detail17trampoline_kernelINS0_14default_configENS1_25partition_config_selectorILNS1_17partition_subalgoE6EsNS0_10empty_typeEbEEZZNS1_14partition_implILS5_6ELb0ES3_mN6thrust23THRUST_200600_302600_NS6detail15normal_iteratorINSA_10device_ptrIsEEEEPS6_SG_NS0_5tupleIJSF_S6_EEENSH_IJSG_SG_EEES6_PlJNSB_9not_fun_tI7is_evenIsEEEEEE10hipError_tPvRmT3_T4_T5_T6_T7_T9_mT8_P12ihipStream_tbDpT10_ENKUlT_T0_E_clISt17integral_constantIbLb0EES18_EEDaS13_S14_EUlS13_E_NS1_11comp_targetILNS1_3genE4ELNS1_11target_archE910ELNS1_3gpuE8ELNS1_3repE0EEENS1_30default_config_static_selectorELNS0_4arch9wavefront6targetE0EEEvT1_.num_agpr, 0
	.set _ZN7rocprim17ROCPRIM_400000_NS6detail17trampoline_kernelINS0_14default_configENS1_25partition_config_selectorILNS1_17partition_subalgoE6EsNS0_10empty_typeEbEEZZNS1_14partition_implILS5_6ELb0ES3_mN6thrust23THRUST_200600_302600_NS6detail15normal_iteratorINSA_10device_ptrIsEEEEPS6_SG_NS0_5tupleIJSF_S6_EEENSH_IJSG_SG_EEES6_PlJNSB_9not_fun_tI7is_evenIsEEEEEE10hipError_tPvRmT3_T4_T5_T6_T7_T9_mT8_P12ihipStream_tbDpT10_ENKUlT_T0_E_clISt17integral_constantIbLb0EES18_EEDaS13_S14_EUlS13_E_NS1_11comp_targetILNS1_3genE4ELNS1_11target_archE910ELNS1_3gpuE8ELNS1_3repE0EEENS1_30default_config_static_selectorELNS0_4arch9wavefront6targetE0EEEvT1_.numbered_sgpr, 0
	.set _ZN7rocprim17ROCPRIM_400000_NS6detail17trampoline_kernelINS0_14default_configENS1_25partition_config_selectorILNS1_17partition_subalgoE6EsNS0_10empty_typeEbEEZZNS1_14partition_implILS5_6ELb0ES3_mN6thrust23THRUST_200600_302600_NS6detail15normal_iteratorINSA_10device_ptrIsEEEEPS6_SG_NS0_5tupleIJSF_S6_EEENSH_IJSG_SG_EEES6_PlJNSB_9not_fun_tI7is_evenIsEEEEEE10hipError_tPvRmT3_T4_T5_T6_T7_T9_mT8_P12ihipStream_tbDpT10_ENKUlT_T0_E_clISt17integral_constantIbLb0EES18_EEDaS13_S14_EUlS13_E_NS1_11comp_targetILNS1_3genE4ELNS1_11target_archE910ELNS1_3gpuE8ELNS1_3repE0EEENS1_30default_config_static_selectorELNS0_4arch9wavefront6targetE0EEEvT1_.num_named_barrier, 0
	.set _ZN7rocprim17ROCPRIM_400000_NS6detail17trampoline_kernelINS0_14default_configENS1_25partition_config_selectorILNS1_17partition_subalgoE6EsNS0_10empty_typeEbEEZZNS1_14partition_implILS5_6ELb0ES3_mN6thrust23THRUST_200600_302600_NS6detail15normal_iteratorINSA_10device_ptrIsEEEEPS6_SG_NS0_5tupleIJSF_S6_EEENSH_IJSG_SG_EEES6_PlJNSB_9not_fun_tI7is_evenIsEEEEEE10hipError_tPvRmT3_T4_T5_T6_T7_T9_mT8_P12ihipStream_tbDpT10_ENKUlT_T0_E_clISt17integral_constantIbLb0EES18_EEDaS13_S14_EUlS13_E_NS1_11comp_targetILNS1_3genE4ELNS1_11target_archE910ELNS1_3gpuE8ELNS1_3repE0EEENS1_30default_config_static_selectorELNS0_4arch9wavefront6targetE0EEEvT1_.private_seg_size, 0
	.set _ZN7rocprim17ROCPRIM_400000_NS6detail17trampoline_kernelINS0_14default_configENS1_25partition_config_selectorILNS1_17partition_subalgoE6EsNS0_10empty_typeEbEEZZNS1_14partition_implILS5_6ELb0ES3_mN6thrust23THRUST_200600_302600_NS6detail15normal_iteratorINSA_10device_ptrIsEEEEPS6_SG_NS0_5tupleIJSF_S6_EEENSH_IJSG_SG_EEES6_PlJNSB_9not_fun_tI7is_evenIsEEEEEE10hipError_tPvRmT3_T4_T5_T6_T7_T9_mT8_P12ihipStream_tbDpT10_ENKUlT_T0_E_clISt17integral_constantIbLb0EES18_EEDaS13_S14_EUlS13_E_NS1_11comp_targetILNS1_3genE4ELNS1_11target_archE910ELNS1_3gpuE8ELNS1_3repE0EEENS1_30default_config_static_selectorELNS0_4arch9wavefront6targetE0EEEvT1_.uses_vcc, 0
	.set _ZN7rocprim17ROCPRIM_400000_NS6detail17trampoline_kernelINS0_14default_configENS1_25partition_config_selectorILNS1_17partition_subalgoE6EsNS0_10empty_typeEbEEZZNS1_14partition_implILS5_6ELb0ES3_mN6thrust23THRUST_200600_302600_NS6detail15normal_iteratorINSA_10device_ptrIsEEEEPS6_SG_NS0_5tupleIJSF_S6_EEENSH_IJSG_SG_EEES6_PlJNSB_9not_fun_tI7is_evenIsEEEEEE10hipError_tPvRmT3_T4_T5_T6_T7_T9_mT8_P12ihipStream_tbDpT10_ENKUlT_T0_E_clISt17integral_constantIbLb0EES18_EEDaS13_S14_EUlS13_E_NS1_11comp_targetILNS1_3genE4ELNS1_11target_archE910ELNS1_3gpuE8ELNS1_3repE0EEENS1_30default_config_static_selectorELNS0_4arch9wavefront6targetE0EEEvT1_.uses_flat_scratch, 0
	.set _ZN7rocprim17ROCPRIM_400000_NS6detail17trampoline_kernelINS0_14default_configENS1_25partition_config_selectorILNS1_17partition_subalgoE6EsNS0_10empty_typeEbEEZZNS1_14partition_implILS5_6ELb0ES3_mN6thrust23THRUST_200600_302600_NS6detail15normal_iteratorINSA_10device_ptrIsEEEEPS6_SG_NS0_5tupleIJSF_S6_EEENSH_IJSG_SG_EEES6_PlJNSB_9not_fun_tI7is_evenIsEEEEEE10hipError_tPvRmT3_T4_T5_T6_T7_T9_mT8_P12ihipStream_tbDpT10_ENKUlT_T0_E_clISt17integral_constantIbLb0EES18_EEDaS13_S14_EUlS13_E_NS1_11comp_targetILNS1_3genE4ELNS1_11target_archE910ELNS1_3gpuE8ELNS1_3repE0EEENS1_30default_config_static_selectorELNS0_4arch9wavefront6targetE0EEEvT1_.has_dyn_sized_stack, 0
	.set _ZN7rocprim17ROCPRIM_400000_NS6detail17trampoline_kernelINS0_14default_configENS1_25partition_config_selectorILNS1_17partition_subalgoE6EsNS0_10empty_typeEbEEZZNS1_14partition_implILS5_6ELb0ES3_mN6thrust23THRUST_200600_302600_NS6detail15normal_iteratorINSA_10device_ptrIsEEEEPS6_SG_NS0_5tupleIJSF_S6_EEENSH_IJSG_SG_EEES6_PlJNSB_9not_fun_tI7is_evenIsEEEEEE10hipError_tPvRmT3_T4_T5_T6_T7_T9_mT8_P12ihipStream_tbDpT10_ENKUlT_T0_E_clISt17integral_constantIbLb0EES18_EEDaS13_S14_EUlS13_E_NS1_11comp_targetILNS1_3genE4ELNS1_11target_archE910ELNS1_3gpuE8ELNS1_3repE0EEENS1_30default_config_static_selectorELNS0_4arch9wavefront6targetE0EEEvT1_.has_recursion, 0
	.set _ZN7rocprim17ROCPRIM_400000_NS6detail17trampoline_kernelINS0_14default_configENS1_25partition_config_selectorILNS1_17partition_subalgoE6EsNS0_10empty_typeEbEEZZNS1_14partition_implILS5_6ELb0ES3_mN6thrust23THRUST_200600_302600_NS6detail15normal_iteratorINSA_10device_ptrIsEEEEPS6_SG_NS0_5tupleIJSF_S6_EEENSH_IJSG_SG_EEES6_PlJNSB_9not_fun_tI7is_evenIsEEEEEE10hipError_tPvRmT3_T4_T5_T6_T7_T9_mT8_P12ihipStream_tbDpT10_ENKUlT_T0_E_clISt17integral_constantIbLb0EES18_EEDaS13_S14_EUlS13_E_NS1_11comp_targetILNS1_3genE4ELNS1_11target_archE910ELNS1_3gpuE8ELNS1_3repE0EEENS1_30default_config_static_selectorELNS0_4arch9wavefront6targetE0EEEvT1_.has_indirect_call, 0
	.section	.AMDGPU.csdata,"",@progbits
; Kernel info:
; codeLenInByte = 0
; TotalNumSgprs: 0
; NumVgprs: 0
; ScratchSize: 0
; MemoryBound: 0
; FloatMode: 240
; IeeeMode: 1
; LDSByteSize: 0 bytes/workgroup (compile time only)
; SGPRBlocks: 0
; VGPRBlocks: 0
; NumSGPRsForWavesPerEU: 1
; NumVGPRsForWavesPerEU: 1
; Occupancy: 16
; WaveLimiterHint : 0
; COMPUTE_PGM_RSRC2:SCRATCH_EN: 0
; COMPUTE_PGM_RSRC2:USER_SGPR: 2
; COMPUTE_PGM_RSRC2:TRAP_HANDLER: 0
; COMPUTE_PGM_RSRC2:TGID_X_EN: 1
; COMPUTE_PGM_RSRC2:TGID_Y_EN: 0
; COMPUTE_PGM_RSRC2:TGID_Z_EN: 0
; COMPUTE_PGM_RSRC2:TIDIG_COMP_CNT: 0
	.section	.text._ZN7rocprim17ROCPRIM_400000_NS6detail17trampoline_kernelINS0_14default_configENS1_25partition_config_selectorILNS1_17partition_subalgoE6EsNS0_10empty_typeEbEEZZNS1_14partition_implILS5_6ELb0ES3_mN6thrust23THRUST_200600_302600_NS6detail15normal_iteratorINSA_10device_ptrIsEEEEPS6_SG_NS0_5tupleIJSF_S6_EEENSH_IJSG_SG_EEES6_PlJNSB_9not_fun_tI7is_evenIsEEEEEE10hipError_tPvRmT3_T4_T5_T6_T7_T9_mT8_P12ihipStream_tbDpT10_ENKUlT_T0_E_clISt17integral_constantIbLb0EES18_EEDaS13_S14_EUlS13_E_NS1_11comp_targetILNS1_3genE3ELNS1_11target_archE908ELNS1_3gpuE7ELNS1_3repE0EEENS1_30default_config_static_selectorELNS0_4arch9wavefront6targetE0EEEvT1_,"axG",@progbits,_ZN7rocprim17ROCPRIM_400000_NS6detail17trampoline_kernelINS0_14default_configENS1_25partition_config_selectorILNS1_17partition_subalgoE6EsNS0_10empty_typeEbEEZZNS1_14partition_implILS5_6ELb0ES3_mN6thrust23THRUST_200600_302600_NS6detail15normal_iteratorINSA_10device_ptrIsEEEEPS6_SG_NS0_5tupleIJSF_S6_EEENSH_IJSG_SG_EEES6_PlJNSB_9not_fun_tI7is_evenIsEEEEEE10hipError_tPvRmT3_T4_T5_T6_T7_T9_mT8_P12ihipStream_tbDpT10_ENKUlT_T0_E_clISt17integral_constantIbLb0EES18_EEDaS13_S14_EUlS13_E_NS1_11comp_targetILNS1_3genE3ELNS1_11target_archE908ELNS1_3gpuE7ELNS1_3repE0EEENS1_30default_config_static_selectorELNS0_4arch9wavefront6targetE0EEEvT1_,comdat
	.protected	_ZN7rocprim17ROCPRIM_400000_NS6detail17trampoline_kernelINS0_14default_configENS1_25partition_config_selectorILNS1_17partition_subalgoE6EsNS0_10empty_typeEbEEZZNS1_14partition_implILS5_6ELb0ES3_mN6thrust23THRUST_200600_302600_NS6detail15normal_iteratorINSA_10device_ptrIsEEEEPS6_SG_NS0_5tupleIJSF_S6_EEENSH_IJSG_SG_EEES6_PlJNSB_9not_fun_tI7is_evenIsEEEEEE10hipError_tPvRmT3_T4_T5_T6_T7_T9_mT8_P12ihipStream_tbDpT10_ENKUlT_T0_E_clISt17integral_constantIbLb0EES18_EEDaS13_S14_EUlS13_E_NS1_11comp_targetILNS1_3genE3ELNS1_11target_archE908ELNS1_3gpuE7ELNS1_3repE0EEENS1_30default_config_static_selectorELNS0_4arch9wavefront6targetE0EEEvT1_ ; -- Begin function _ZN7rocprim17ROCPRIM_400000_NS6detail17trampoline_kernelINS0_14default_configENS1_25partition_config_selectorILNS1_17partition_subalgoE6EsNS0_10empty_typeEbEEZZNS1_14partition_implILS5_6ELb0ES3_mN6thrust23THRUST_200600_302600_NS6detail15normal_iteratorINSA_10device_ptrIsEEEEPS6_SG_NS0_5tupleIJSF_S6_EEENSH_IJSG_SG_EEES6_PlJNSB_9not_fun_tI7is_evenIsEEEEEE10hipError_tPvRmT3_T4_T5_T6_T7_T9_mT8_P12ihipStream_tbDpT10_ENKUlT_T0_E_clISt17integral_constantIbLb0EES18_EEDaS13_S14_EUlS13_E_NS1_11comp_targetILNS1_3genE3ELNS1_11target_archE908ELNS1_3gpuE7ELNS1_3repE0EEENS1_30default_config_static_selectorELNS0_4arch9wavefront6targetE0EEEvT1_
	.globl	_ZN7rocprim17ROCPRIM_400000_NS6detail17trampoline_kernelINS0_14default_configENS1_25partition_config_selectorILNS1_17partition_subalgoE6EsNS0_10empty_typeEbEEZZNS1_14partition_implILS5_6ELb0ES3_mN6thrust23THRUST_200600_302600_NS6detail15normal_iteratorINSA_10device_ptrIsEEEEPS6_SG_NS0_5tupleIJSF_S6_EEENSH_IJSG_SG_EEES6_PlJNSB_9not_fun_tI7is_evenIsEEEEEE10hipError_tPvRmT3_T4_T5_T6_T7_T9_mT8_P12ihipStream_tbDpT10_ENKUlT_T0_E_clISt17integral_constantIbLb0EES18_EEDaS13_S14_EUlS13_E_NS1_11comp_targetILNS1_3genE3ELNS1_11target_archE908ELNS1_3gpuE7ELNS1_3repE0EEENS1_30default_config_static_selectorELNS0_4arch9wavefront6targetE0EEEvT1_
	.p2align	8
	.type	_ZN7rocprim17ROCPRIM_400000_NS6detail17trampoline_kernelINS0_14default_configENS1_25partition_config_selectorILNS1_17partition_subalgoE6EsNS0_10empty_typeEbEEZZNS1_14partition_implILS5_6ELb0ES3_mN6thrust23THRUST_200600_302600_NS6detail15normal_iteratorINSA_10device_ptrIsEEEEPS6_SG_NS0_5tupleIJSF_S6_EEENSH_IJSG_SG_EEES6_PlJNSB_9not_fun_tI7is_evenIsEEEEEE10hipError_tPvRmT3_T4_T5_T6_T7_T9_mT8_P12ihipStream_tbDpT10_ENKUlT_T0_E_clISt17integral_constantIbLb0EES18_EEDaS13_S14_EUlS13_E_NS1_11comp_targetILNS1_3genE3ELNS1_11target_archE908ELNS1_3gpuE7ELNS1_3repE0EEENS1_30default_config_static_selectorELNS0_4arch9wavefront6targetE0EEEvT1_,@function
_ZN7rocprim17ROCPRIM_400000_NS6detail17trampoline_kernelINS0_14default_configENS1_25partition_config_selectorILNS1_17partition_subalgoE6EsNS0_10empty_typeEbEEZZNS1_14partition_implILS5_6ELb0ES3_mN6thrust23THRUST_200600_302600_NS6detail15normal_iteratorINSA_10device_ptrIsEEEEPS6_SG_NS0_5tupleIJSF_S6_EEENSH_IJSG_SG_EEES6_PlJNSB_9not_fun_tI7is_evenIsEEEEEE10hipError_tPvRmT3_T4_T5_T6_T7_T9_mT8_P12ihipStream_tbDpT10_ENKUlT_T0_E_clISt17integral_constantIbLb0EES18_EEDaS13_S14_EUlS13_E_NS1_11comp_targetILNS1_3genE3ELNS1_11target_archE908ELNS1_3gpuE7ELNS1_3repE0EEENS1_30default_config_static_selectorELNS0_4arch9wavefront6targetE0EEEvT1_: ; @_ZN7rocprim17ROCPRIM_400000_NS6detail17trampoline_kernelINS0_14default_configENS1_25partition_config_selectorILNS1_17partition_subalgoE6EsNS0_10empty_typeEbEEZZNS1_14partition_implILS5_6ELb0ES3_mN6thrust23THRUST_200600_302600_NS6detail15normal_iteratorINSA_10device_ptrIsEEEEPS6_SG_NS0_5tupleIJSF_S6_EEENSH_IJSG_SG_EEES6_PlJNSB_9not_fun_tI7is_evenIsEEEEEE10hipError_tPvRmT3_T4_T5_T6_T7_T9_mT8_P12ihipStream_tbDpT10_ENKUlT_T0_E_clISt17integral_constantIbLb0EES18_EEDaS13_S14_EUlS13_E_NS1_11comp_targetILNS1_3genE3ELNS1_11target_archE908ELNS1_3gpuE7ELNS1_3repE0EEENS1_30default_config_static_selectorELNS0_4arch9wavefront6targetE0EEEvT1_
; %bb.0:
	.section	.rodata,"a",@progbits
	.p2align	6, 0x0
	.amdhsa_kernel _ZN7rocprim17ROCPRIM_400000_NS6detail17trampoline_kernelINS0_14default_configENS1_25partition_config_selectorILNS1_17partition_subalgoE6EsNS0_10empty_typeEbEEZZNS1_14partition_implILS5_6ELb0ES3_mN6thrust23THRUST_200600_302600_NS6detail15normal_iteratorINSA_10device_ptrIsEEEEPS6_SG_NS0_5tupleIJSF_S6_EEENSH_IJSG_SG_EEES6_PlJNSB_9not_fun_tI7is_evenIsEEEEEE10hipError_tPvRmT3_T4_T5_T6_T7_T9_mT8_P12ihipStream_tbDpT10_ENKUlT_T0_E_clISt17integral_constantIbLb0EES18_EEDaS13_S14_EUlS13_E_NS1_11comp_targetILNS1_3genE3ELNS1_11target_archE908ELNS1_3gpuE7ELNS1_3repE0EEENS1_30default_config_static_selectorELNS0_4arch9wavefront6targetE0EEEvT1_
		.amdhsa_group_segment_fixed_size 0
		.amdhsa_private_segment_fixed_size 0
		.amdhsa_kernarg_size 112
		.amdhsa_user_sgpr_count 2
		.amdhsa_user_sgpr_dispatch_ptr 0
		.amdhsa_user_sgpr_queue_ptr 0
		.amdhsa_user_sgpr_kernarg_segment_ptr 1
		.amdhsa_user_sgpr_dispatch_id 0
		.amdhsa_user_sgpr_private_segment_size 0
		.amdhsa_wavefront_size32 1
		.amdhsa_uses_dynamic_stack 0
		.amdhsa_enable_private_segment 0
		.amdhsa_system_sgpr_workgroup_id_x 1
		.amdhsa_system_sgpr_workgroup_id_y 0
		.amdhsa_system_sgpr_workgroup_id_z 0
		.amdhsa_system_sgpr_workgroup_info 0
		.amdhsa_system_vgpr_workitem_id 0
		.amdhsa_next_free_vgpr 1
		.amdhsa_next_free_sgpr 1
		.amdhsa_reserve_vcc 0
		.amdhsa_float_round_mode_32 0
		.amdhsa_float_round_mode_16_64 0
		.amdhsa_float_denorm_mode_32 3
		.amdhsa_float_denorm_mode_16_64 3
		.amdhsa_fp16_overflow 0
		.amdhsa_workgroup_processor_mode 1
		.amdhsa_memory_ordered 1
		.amdhsa_forward_progress 1
		.amdhsa_inst_pref_size 0
		.amdhsa_round_robin_scheduling 0
		.amdhsa_exception_fp_ieee_invalid_op 0
		.amdhsa_exception_fp_denorm_src 0
		.amdhsa_exception_fp_ieee_div_zero 0
		.amdhsa_exception_fp_ieee_overflow 0
		.amdhsa_exception_fp_ieee_underflow 0
		.amdhsa_exception_fp_ieee_inexact 0
		.amdhsa_exception_int_div_zero 0
	.end_amdhsa_kernel
	.section	.text._ZN7rocprim17ROCPRIM_400000_NS6detail17trampoline_kernelINS0_14default_configENS1_25partition_config_selectorILNS1_17partition_subalgoE6EsNS0_10empty_typeEbEEZZNS1_14partition_implILS5_6ELb0ES3_mN6thrust23THRUST_200600_302600_NS6detail15normal_iteratorINSA_10device_ptrIsEEEEPS6_SG_NS0_5tupleIJSF_S6_EEENSH_IJSG_SG_EEES6_PlJNSB_9not_fun_tI7is_evenIsEEEEEE10hipError_tPvRmT3_T4_T5_T6_T7_T9_mT8_P12ihipStream_tbDpT10_ENKUlT_T0_E_clISt17integral_constantIbLb0EES18_EEDaS13_S14_EUlS13_E_NS1_11comp_targetILNS1_3genE3ELNS1_11target_archE908ELNS1_3gpuE7ELNS1_3repE0EEENS1_30default_config_static_selectorELNS0_4arch9wavefront6targetE0EEEvT1_,"axG",@progbits,_ZN7rocprim17ROCPRIM_400000_NS6detail17trampoline_kernelINS0_14default_configENS1_25partition_config_selectorILNS1_17partition_subalgoE6EsNS0_10empty_typeEbEEZZNS1_14partition_implILS5_6ELb0ES3_mN6thrust23THRUST_200600_302600_NS6detail15normal_iteratorINSA_10device_ptrIsEEEEPS6_SG_NS0_5tupleIJSF_S6_EEENSH_IJSG_SG_EEES6_PlJNSB_9not_fun_tI7is_evenIsEEEEEE10hipError_tPvRmT3_T4_T5_T6_T7_T9_mT8_P12ihipStream_tbDpT10_ENKUlT_T0_E_clISt17integral_constantIbLb0EES18_EEDaS13_S14_EUlS13_E_NS1_11comp_targetILNS1_3genE3ELNS1_11target_archE908ELNS1_3gpuE7ELNS1_3repE0EEENS1_30default_config_static_selectorELNS0_4arch9wavefront6targetE0EEEvT1_,comdat
.Lfunc_end760:
	.size	_ZN7rocprim17ROCPRIM_400000_NS6detail17trampoline_kernelINS0_14default_configENS1_25partition_config_selectorILNS1_17partition_subalgoE6EsNS0_10empty_typeEbEEZZNS1_14partition_implILS5_6ELb0ES3_mN6thrust23THRUST_200600_302600_NS6detail15normal_iteratorINSA_10device_ptrIsEEEEPS6_SG_NS0_5tupleIJSF_S6_EEENSH_IJSG_SG_EEES6_PlJNSB_9not_fun_tI7is_evenIsEEEEEE10hipError_tPvRmT3_T4_T5_T6_T7_T9_mT8_P12ihipStream_tbDpT10_ENKUlT_T0_E_clISt17integral_constantIbLb0EES18_EEDaS13_S14_EUlS13_E_NS1_11comp_targetILNS1_3genE3ELNS1_11target_archE908ELNS1_3gpuE7ELNS1_3repE0EEENS1_30default_config_static_selectorELNS0_4arch9wavefront6targetE0EEEvT1_, .Lfunc_end760-_ZN7rocprim17ROCPRIM_400000_NS6detail17trampoline_kernelINS0_14default_configENS1_25partition_config_selectorILNS1_17partition_subalgoE6EsNS0_10empty_typeEbEEZZNS1_14partition_implILS5_6ELb0ES3_mN6thrust23THRUST_200600_302600_NS6detail15normal_iteratorINSA_10device_ptrIsEEEEPS6_SG_NS0_5tupleIJSF_S6_EEENSH_IJSG_SG_EEES6_PlJNSB_9not_fun_tI7is_evenIsEEEEEE10hipError_tPvRmT3_T4_T5_T6_T7_T9_mT8_P12ihipStream_tbDpT10_ENKUlT_T0_E_clISt17integral_constantIbLb0EES18_EEDaS13_S14_EUlS13_E_NS1_11comp_targetILNS1_3genE3ELNS1_11target_archE908ELNS1_3gpuE7ELNS1_3repE0EEENS1_30default_config_static_selectorELNS0_4arch9wavefront6targetE0EEEvT1_
                                        ; -- End function
	.set _ZN7rocprim17ROCPRIM_400000_NS6detail17trampoline_kernelINS0_14default_configENS1_25partition_config_selectorILNS1_17partition_subalgoE6EsNS0_10empty_typeEbEEZZNS1_14partition_implILS5_6ELb0ES3_mN6thrust23THRUST_200600_302600_NS6detail15normal_iteratorINSA_10device_ptrIsEEEEPS6_SG_NS0_5tupleIJSF_S6_EEENSH_IJSG_SG_EEES6_PlJNSB_9not_fun_tI7is_evenIsEEEEEE10hipError_tPvRmT3_T4_T5_T6_T7_T9_mT8_P12ihipStream_tbDpT10_ENKUlT_T0_E_clISt17integral_constantIbLb0EES18_EEDaS13_S14_EUlS13_E_NS1_11comp_targetILNS1_3genE3ELNS1_11target_archE908ELNS1_3gpuE7ELNS1_3repE0EEENS1_30default_config_static_selectorELNS0_4arch9wavefront6targetE0EEEvT1_.num_vgpr, 0
	.set _ZN7rocprim17ROCPRIM_400000_NS6detail17trampoline_kernelINS0_14default_configENS1_25partition_config_selectorILNS1_17partition_subalgoE6EsNS0_10empty_typeEbEEZZNS1_14partition_implILS5_6ELb0ES3_mN6thrust23THRUST_200600_302600_NS6detail15normal_iteratorINSA_10device_ptrIsEEEEPS6_SG_NS0_5tupleIJSF_S6_EEENSH_IJSG_SG_EEES6_PlJNSB_9not_fun_tI7is_evenIsEEEEEE10hipError_tPvRmT3_T4_T5_T6_T7_T9_mT8_P12ihipStream_tbDpT10_ENKUlT_T0_E_clISt17integral_constantIbLb0EES18_EEDaS13_S14_EUlS13_E_NS1_11comp_targetILNS1_3genE3ELNS1_11target_archE908ELNS1_3gpuE7ELNS1_3repE0EEENS1_30default_config_static_selectorELNS0_4arch9wavefront6targetE0EEEvT1_.num_agpr, 0
	.set _ZN7rocprim17ROCPRIM_400000_NS6detail17trampoline_kernelINS0_14default_configENS1_25partition_config_selectorILNS1_17partition_subalgoE6EsNS0_10empty_typeEbEEZZNS1_14partition_implILS5_6ELb0ES3_mN6thrust23THRUST_200600_302600_NS6detail15normal_iteratorINSA_10device_ptrIsEEEEPS6_SG_NS0_5tupleIJSF_S6_EEENSH_IJSG_SG_EEES6_PlJNSB_9not_fun_tI7is_evenIsEEEEEE10hipError_tPvRmT3_T4_T5_T6_T7_T9_mT8_P12ihipStream_tbDpT10_ENKUlT_T0_E_clISt17integral_constantIbLb0EES18_EEDaS13_S14_EUlS13_E_NS1_11comp_targetILNS1_3genE3ELNS1_11target_archE908ELNS1_3gpuE7ELNS1_3repE0EEENS1_30default_config_static_selectorELNS0_4arch9wavefront6targetE0EEEvT1_.numbered_sgpr, 0
	.set _ZN7rocprim17ROCPRIM_400000_NS6detail17trampoline_kernelINS0_14default_configENS1_25partition_config_selectorILNS1_17partition_subalgoE6EsNS0_10empty_typeEbEEZZNS1_14partition_implILS5_6ELb0ES3_mN6thrust23THRUST_200600_302600_NS6detail15normal_iteratorINSA_10device_ptrIsEEEEPS6_SG_NS0_5tupleIJSF_S6_EEENSH_IJSG_SG_EEES6_PlJNSB_9not_fun_tI7is_evenIsEEEEEE10hipError_tPvRmT3_T4_T5_T6_T7_T9_mT8_P12ihipStream_tbDpT10_ENKUlT_T0_E_clISt17integral_constantIbLb0EES18_EEDaS13_S14_EUlS13_E_NS1_11comp_targetILNS1_3genE3ELNS1_11target_archE908ELNS1_3gpuE7ELNS1_3repE0EEENS1_30default_config_static_selectorELNS0_4arch9wavefront6targetE0EEEvT1_.num_named_barrier, 0
	.set _ZN7rocprim17ROCPRIM_400000_NS6detail17trampoline_kernelINS0_14default_configENS1_25partition_config_selectorILNS1_17partition_subalgoE6EsNS0_10empty_typeEbEEZZNS1_14partition_implILS5_6ELb0ES3_mN6thrust23THRUST_200600_302600_NS6detail15normal_iteratorINSA_10device_ptrIsEEEEPS6_SG_NS0_5tupleIJSF_S6_EEENSH_IJSG_SG_EEES6_PlJNSB_9not_fun_tI7is_evenIsEEEEEE10hipError_tPvRmT3_T4_T5_T6_T7_T9_mT8_P12ihipStream_tbDpT10_ENKUlT_T0_E_clISt17integral_constantIbLb0EES18_EEDaS13_S14_EUlS13_E_NS1_11comp_targetILNS1_3genE3ELNS1_11target_archE908ELNS1_3gpuE7ELNS1_3repE0EEENS1_30default_config_static_selectorELNS0_4arch9wavefront6targetE0EEEvT1_.private_seg_size, 0
	.set _ZN7rocprim17ROCPRIM_400000_NS6detail17trampoline_kernelINS0_14default_configENS1_25partition_config_selectorILNS1_17partition_subalgoE6EsNS0_10empty_typeEbEEZZNS1_14partition_implILS5_6ELb0ES3_mN6thrust23THRUST_200600_302600_NS6detail15normal_iteratorINSA_10device_ptrIsEEEEPS6_SG_NS0_5tupleIJSF_S6_EEENSH_IJSG_SG_EEES6_PlJNSB_9not_fun_tI7is_evenIsEEEEEE10hipError_tPvRmT3_T4_T5_T6_T7_T9_mT8_P12ihipStream_tbDpT10_ENKUlT_T0_E_clISt17integral_constantIbLb0EES18_EEDaS13_S14_EUlS13_E_NS1_11comp_targetILNS1_3genE3ELNS1_11target_archE908ELNS1_3gpuE7ELNS1_3repE0EEENS1_30default_config_static_selectorELNS0_4arch9wavefront6targetE0EEEvT1_.uses_vcc, 0
	.set _ZN7rocprim17ROCPRIM_400000_NS6detail17trampoline_kernelINS0_14default_configENS1_25partition_config_selectorILNS1_17partition_subalgoE6EsNS0_10empty_typeEbEEZZNS1_14partition_implILS5_6ELb0ES3_mN6thrust23THRUST_200600_302600_NS6detail15normal_iteratorINSA_10device_ptrIsEEEEPS6_SG_NS0_5tupleIJSF_S6_EEENSH_IJSG_SG_EEES6_PlJNSB_9not_fun_tI7is_evenIsEEEEEE10hipError_tPvRmT3_T4_T5_T6_T7_T9_mT8_P12ihipStream_tbDpT10_ENKUlT_T0_E_clISt17integral_constantIbLb0EES18_EEDaS13_S14_EUlS13_E_NS1_11comp_targetILNS1_3genE3ELNS1_11target_archE908ELNS1_3gpuE7ELNS1_3repE0EEENS1_30default_config_static_selectorELNS0_4arch9wavefront6targetE0EEEvT1_.uses_flat_scratch, 0
	.set _ZN7rocprim17ROCPRIM_400000_NS6detail17trampoline_kernelINS0_14default_configENS1_25partition_config_selectorILNS1_17partition_subalgoE6EsNS0_10empty_typeEbEEZZNS1_14partition_implILS5_6ELb0ES3_mN6thrust23THRUST_200600_302600_NS6detail15normal_iteratorINSA_10device_ptrIsEEEEPS6_SG_NS0_5tupleIJSF_S6_EEENSH_IJSG_SG_EEES6_PlJNSB_9not_fun_tI7is_evenIsEEEEEE10hipError_tPvRmT3_T4_T5_T6_T7_T9_mT8_P12ihipStream_tbDpT10_ENKUlT_T0_E_clISt17integral_constantIbLb0EES18_EEDaS13_S14_EUlS13_E_NS1_11comp_targetILNS1_3genE3ELNS1_11target_archE908ELNS1_3gpuE7ELNS1_3repE0EEENS1_30default_config_static_selectorELNS0_4arch9wavefront6targetE0EEEvT1_.has_dyn_sized_stack, 0
	.set _ZN7rocprim17ROCPRIM_400000_NS6detail17trampoline_kernelINS0_14default_configENS1_25partition_config_selectorILNS1_17partition_subalgoE6EsNS0_10empty_typeEbEEZZNS1_14partition_implILS5_6ELb0ES3_mN6thrust23THRUST_200600_302600_NS6detail15normal_iteratorINSA_10device_ptrIsEEEEPS6_SG_NS0_5tupleIJSF_S6_EEENSH_IJSG_SG_EEES6_PlJNSB_9not_fun_tI7is_evenIsEEEEEE10hipError_tPvRmT3_T4_T5_T6_T7_T9_mT8_P12ihipStream_tbDpT10_ENKUlT_T0_E_clISt17integral_constantIbLb0EES18_EEDaS13_S14_EUlS13_E_NS1_11comp_targetILNS1_3genE3ELNS1_11target_archE908ELNS1_3gpuE7ELNS1_3repE0EEENS1_30default_config_static_selectorELNS0_4arch9wavefront6targetE0EEEvT1_.has_recursion, 0
	.set _ZN7rocprim17ROCPRIM_400000_NS6detail17trampoline_kernelINS0_14default_configENS1_25partition_config_selectorILNS1_17partition_subalgoE6EsNS0_10empty_typeEbEEZZNS1_14partition_implILS5_6ELb0ES3_mN6thrust23THRUST_200600_302600_NS6detail15normal_iteratorINSA_10device_ptrIsEEEEPS6_SG_NS0_5tupleIJSF_S6_EEENSH_IJSG_SG_EEES6_PlJNSB_9not_fun_tI7is_evenIsEEEEEE10hipError_tPvRmT3_T4_T5_T6_T7_T9_mT8_P12ihipStream_tbDpT10_ENKUlT_T0_E_clISt17integral_constantIbLb0EES18_EEDaS13_S14_EUlS13_E_NS1_11comp_targetILNS1_3genE3ELNS1_11target_archE908ELNS1_3gpuE7ELNS1_3repE0EEENS1_30default_config_static_selectorELNS0_4arch9wavefront6targetE0EEEvT1_.has_indirect_call, 0
	.section	.AMDGPU.csdata,"",@progbits
; Kernel info:
; codeLenInByte = 0
; TotalNumSgprs: 0
; NumVgprs: 0
; ScratchSize: 0
; MemoryBound: 0
; FloatMode: 240
; IeeeMode: 1
; LDSByteSize: 0 bytes/workgroup (compile time only)
; SGPRBlocks: 0
; VGPRBlocks: 0
; NumSGPRsForWavesPerEU: 1
; NumVGPRsForWavesPerEU: 1
; Occupancy: 16
; WaveLimiterHint : 0
; COMPUTE_PGM_RSRC2:SCRATCH_EN: 0
; COMPUTE_PGM_RSRC2:USER_SGPR: 2
; COMPUTE_PGM_RSRC2:TRAP_HANDLER: 0
; COMPUTE_PGM_RSRC2:TGID_X_EN: 1
; COMPUTE_PGM_RSRC2:TGID_Y_EN: 0
; COMPUTE_PGM_RSRC2:TGID_Z_EN: 0
; COMPUTE_PGM_RSRC2:TIDIG_COMP_CNT: 0
	.section	.text._ZN7rocprim17ROCPRIM_400000_NS6detail17trampoline_kernelINS0_14default_configENS1_25partition_config_selectorILNS1_17partition_subalgoE6EsNS0_10empty_typeEbEEZZNS1_14partition_implILS5_6ELb0ES3_mN6thrust23THRUST_200600_302600_NS6detail15normal_iteratorINSA_10device_ptrIsEEEEPS6_SG_NS0_5tupleIJSF_S6_EEENSH_IJSG_SG_EEES6_PlJNSB_9not_fun_tI7is_evenIsEEEEEE10hipError_tPvRmT3_T4_T5_T6_T7_T9_mT8_P12ihipStream_tbDpT10_ENKUlT_T0_E_clISt17integral_constantIbLb0EES18_EEDaS13_S14_EUlS13_E_NS1_11comp_targetILNS1_3genE2ELNS1_11target_archE906ELNS1_3gpuE6ELNS1_3repE0EEENS1_30default_config_static_selectorELNS0_4arch9wavefront6targetE0EEEvT1_,"axG",@progbits,_ZN7rocprim17ROCPRIM_400000_NS6detail17trampoline_kernelINS0_14default_configENS1_25partition_config_selectorILNS1_17partition_subalgoE6EsNS0_10empty_typeEbEEZZNS1_14partition_implILS5_6ELb0ES3_mN6thrust23THRUST_200600_302600_NS6detail15normal_iteratorINSA_10device_ptrIsEEEEPS6_SG_NS0_5tupleIJSF_S6_EEENSH_IJSG_SG_EEES6_PlJNSB_9not_fun_tI7is_evenIsEEEEEE10hipError_tPvRmT3_T4_T5_T6_T7_T9_mT8_P12ihipStream_tbDpT10_ENKUlT_T0_E_clISt17integral_constantIbLb0EES18_EEDaS13_S14_EUlS13_E_NS1_11comp_targetILNS1_3genE2ELNS1_11target_archE906ELNS1_3gpuE6ELNS1_3repE0EEENS1_30default_config_static_selectorELNS0_4arch9wavefront6targetE0EEEvT1_,comdat
	.protected	_ZN7rocprim17ROCPRIM_400000_NS6detail17trampoline_kernelINS0_14default_configENS1_25partition_config_selectorILNS1_17partition_subalgoE6EsNS0_10empty_typeEbEEZZNS1_14partition_implILS5_6ELb0ES3_mN6thrust23THRUST_200600_302600_NS6detail15normal_iteratorINSA_10device_ptrIsEEEEPS6_SG_NS0_5tupleIJSF_S6_EEENSH_IJSG_SG_EEES6_PlJNSB_9not_fun_tI7is_evenIsEEEEEE10hipError_tPvRmT3_T4_T5_T6_T7_T9_mT8_P12ihipStream_tbDpT10_ENKUlT_T0_E_clISt17integral_constantIbLb0EES18_EEDaS13_S14_EUlS13_E_NS1_11comp_targetILNS1_3genE2ELNS1_11target_archE906ELNS1_3gpuE6ELNS1_3repE0EEENS1_30default_config_static_selectorELNS0_4arch9wavefront6targetE0EEEvT1_ ; -- Begin function _ZN7rocprim17ROCPRIM_400000_NS6detail17trampoline_kernelINS0_14default_configENS1_25partition_config_selectorILNS1_17partition_subalgoE6EsNS0_10empty_typeEbEEZZNS1_14partition_implILS5_6ELb0ES3_mN6thrust23THRUST_200600_302600_NS6detail15normal_iteratorINSA_10device_ptrIsEEEEPS6_SG_NS0_5tupleIJSF_S6_EEENSH_IJSG_SG_EEES6_PlJNSB_9not_fun_tI7is_evenIsEEEEEE10hipError_tPvRmT3_T4_T5_T6_T7_T9_mT8_P12ihipStream_tbDpT10_ENKUlT_T0_E_clISt17integral_constantIbLb0EES18_EEDaS13_S14_EUlS13_E_NS1_11comp_targetILNS1_3genE2ELNS1_11target_archE906ELNS1_3gpuE6ELNS1_3repE0EEENS1_30default_config_static_selectorELNS0_4arch9wavefront6targetE0EEEvT1_
	.globl	_ZN7rocprim17ROCPRIM_400000_NS6detail17trampoline_kernelINS0_14default_configENS1_25partition_config_selectorILNS1_17partition_subalgoE6EsNS0_10empty_typeEbEEZZNS1_14partition_implILS5_6ELb0ES3_mN6thrust23THRUST_200600_302600_NS6detail15normal_iteratorINSA_10device_ptrIsEEEEPS6_SG_NS0_5tupleIJSF_S6_EEENSH_IJSG_SG_EEES6_PlJNSB_9not_fun_tI7is_evenIsEEEEEE10hipError_tPvRmT3_T4_T5_T6_T7_T9_mT8_P12ihipStream_tbDpT10_ENKUlT_T0_E_clISt17integral_constantIbLb0EES18_EEDaS13_S14_EUlS13_E_NS1_11comp_targetILNS1_3genE2ELNS1_11target_archE906ELNS1_3gpuE6ELNS1_3repE0EEENS1_30default_config_static_selectorELNS0_4arch9wavefront6targetE0EEEvT1_
	.p2align	8
	.type	_ZN7rocprim17ROCPRIM_400000_NS6detail17trampoline_kernelINS0_14default_configENS1_25partition_config_selectorILNS1_17partition_subalgoE6EsNS0_10empty_typeEbEEZZNS1_14partition_implILS5_6ELb0ES3_mN6thrust23THRUST_200600_302600_NS6detail15normal_iteratorINSA_10device_ptrIsEEEEPS6_SG_NS0_5tupleIJSF_S6_EEENSH_IJSG_SG_EEES6_PlJNSB_9not_fun_tI7is_evenIsEEEEEE10hipError_tPvRmT3_T4_T5_T6_T7_T9_mT8_P12ihipStream_tbDpT10_ENKUlT_T0_E_clISt17integral_constantIbLb0EES18_EEDaS13_S14_EUlS13_E_NS1_11comp_targetILNS1_3genE2ELNS1_11target_archE906ELNS1_3gpuE6ELNS1_3repE0EEENS1_30default_config_static_selectorELNS0_4arch9wavefront6targetE0EEEvT1_,@function
_ZN7rocprim17ROCPRIM_400000_NS6detail17trampoline_kernelINS0_14default_configENS1_25partition_config_selectorILNS1_17partition_subalgoE6EsNS0_10empty_typeEbEEZZNS1_14partition_implILS5_6ELb0ES3_mN6thrust23THRUST_200600_302600_NS6detail15normal_iteratorINSA_10device_ptrIsEEEEPS6_SG_NS0_5tupleIJSF_S6_EEENSH_IJSG_SG_EEES6_PlJNSB_9not_fun_tI7is_evenIsEEEEEE10hipError_tPvRmT3_T4_T5_T6_T7_T9_mT8_P12ihipStream_tbDpT10_ENKUlT_T0_E_clISt17integral_constantIbLb0EES18_EEDaS13_S14_EUlS13_E_NS1_11comp_targetILNS1_3genE2ELNS1_11target_archE906ELNS1_3gpuE6ELNS1_3repE0EEENS1_30default_config_static_selectorELNS0_4arch9wavefront6targetE0EEEvT1_: ; @_ZN7rocprim17ROCPRIM_400000_NS6detail17trampoline_kernelINS0_14default_configENS1_25partition_config_selectorILNS1_17partition_subalgoE6EsNS0_10empty_typeEbEEZZNS1_14partition_implILS5_6ELb0ES3_mN6thrust23THRUST_200600_302600_NS6detail15normal_iteratorINSA_10device_ptrIsEEEEPS6_SG_NS0_5tupleIJSF_S6_EEENSH_IJSG_SG_EEES6_PlJNSB_9not_fun_tI7is_evenIsEEEEEE10hipError_tPvRmT3_T4_T5_T6_T7_T9_mT8_P12ihipStream_tbDpT10_ENKUlT_T0_E_clISt17integral_constantIbLb0EES18_EEDaS13_S14_EUlS13_E_NS1_11comp_targetILNS1_3genE2ELNS1_11target_archE906ELNS1_3gpuE6ELNS1_3repE0EEENS1_30default_config_static_selectorELNS0_4arch9wavefront6targetE0EEEvT1_
; %bb.0:
	.section	.rodata,"a",@progbits
	.p2align	6, 0x0
	.amdhsa_kernel _ZN7rocprim17ROCPRIM_400000_NS6detail17trampoline_kernelINS0_14default_configENS1_25partition_config_selectorILNS1_17partition_subalgoE6EsNS0_10empty_typeEbEEZZNS1_14partition_implILS5_6ELb0ES3_mN6thrust23THRUST_200600_302600_NS6detail15normal_iteratorINSA_10device_ptrIsEEEEPS6_SG_NS0_5tupleIJSF_S6_EEENSH_IJSG_SG_EEES6_PlJNSB_9not_fun_tI7is_evenIsEEEEEE10hipError_tPvRmT3_T4_T5_T6_T7_T9_mT8_P12ihipStream_tbDpT10_ENKUlT_T0_E_clISt17integral_constantIbLb0EES18_EEDaS13_S14_EUlS13_E_NS1_11comp_targetILNS1_3genE2ELNS1_11target_archE906ELNS1_3gpuE6ELNS1_3repE0EEENS1_30default_config_static_selectorELNS0_4arch9wavefront6targetE0EEEvT1_
		.amdhsa_group_segment_fixed_size 0
		.amdhsa_private_segment_fixed_size 0
		.amdhsa_kernarg_size 112
		.amdhsa_user_sgpr_count 2
		.amdhsa_user_sgpr_dispatch_ptr 0
		.amdhsa_user_sgpr_queue_ptr 0
		.amdhsa_user_sgpr_kernarg_segment_ptr 1
		.amdhsa_user_sgpr_dispatch_id 0
		.amdhsa_user_sgpr_private_segment_size 0
		.amdhsa_wavefront_size32 1
		.amdhsa_uses_dynamic_stack 0
		.amdhsa_enable_private_segment 0
		.amdhsa_system_sgpr_workgroup_id_x 1
		.amdhsa_system_sgpr_workgroup_id_y 0
		.amdhsa_system_sgpr_workgroup_id_z 0
		.amdhsa_system_sgpr_workgroup_info 0
		.amdhsa_system_vgpr_workitem_id 0
		.amdhsa_next_free_vgpr 1
		.amdhsa_next_free_sgpr 1
		.amdhsa_reserve_vcc 0
		.amdhsa_float_round_mode_32 0
		.amdhsa_float_round_mode_16_64 0
		.amdhsa_float_denorm_mode_32 3
		.amdhsa_float_denorm_mode_16_64 3
		.amdhsa_fp16_overflow 0
		.amdhsa_workgroup_processor_mode 1
		.amdhsa_memory_ordered 1
		.amdhsa_forward_progress 1
		.amdhsa_inst_pref_size 0
		.amdhsa_round_robin_scheduling 0
		.amdhsa_exception_fp_ieee_invalid_op 0
		.amdhsa_exception_fp_denorm_src 0
		.amdhsa_exception_fp_ieee_div_zero 0
		.amdhsa_exception_fp_ieee_overflow 0
		.amdhsa_exception_fp_ieee_underflow 0
		.amdhsa_exception_fp_ieee_inexact 0
		.amdhsa_exception_int_div_zero 0
	.end_amdhsa_kernel
	.section	.text._ZN7rocprim17ROCPRIM_400000_NS6detail17trampoline_kernelINS0_14default_configENS1_25partition_config_selectorILNS1_17partition_subalgoE6EsNS0_10empty_typeEbEEZZNS1_14partition_implILS5_6ELb0ES3_mN6thrust23THRUST_200600_302600_NS6detail15normal_iteratorINSA_10device_ptrIsEEEEPS6_SG_NS0_5tupleIJSF_S6_EEENSH_IJSG_SG_EEES6_PlJNSB_9not_fun_tI7is_evenIsEEEEEE10hipError_tPvRmT3_T4_T5_T6_T7_T9_mT8_P12ihipStream_tbDpT10_ENKUlT_T0_E_clISt17integral_constantIbLb0EES18_EEDaS13_S14_EUlS13_E_NS1_11comp_targetILNS1_3genE2ELNS1_11target_archE906ELNS1_3gpuE6ELNS1_3repE0EEENS1_30default_config_static_selectorELNS0_4arch9wavefront6targetE0EEEvT1_,"axG",@progbits,_ZN7rocprim17ROCPRIM_400000_NS6detail17trampoline_kernelINS0_14default_configENS1_25partition_config_selectorILNS1_17partition_subalgoE6EsNS0_10empty_typeEbEEZZNS1_14partition_implILS5_6ELb0ES3_mN6thrust23THRUST_200600_302600_NS6detail15normal_iteratorINSA_10device_ptrIsEEEEPS6_SG_NS0_5tupleIJSF_S6_EEENSH_IJSG_SG_EEES6_PlJNSB_9not_fun_tI7is_evenIsEEEEEE10hipError_tPvRmT3_T4_T5_T6_T7_T9_mT8_P12ihipStream_tbDpT10_ENKUlT_T0_E_clISt17integral_constantIbLb0EES18_EEDaS13_S14_EUlS13_E_NS1_11comp_targetILNS1_3genE2ELNS1_11target_archE906ELNS1_3gpuE6ELNS1_3repE0EEENS1_30default_config_static_selectorELNS0_4arch9wavefront6targetE0EEEvT1_,comdat
.Lfunc_end761:
	.size	_ZN7rocprim17ROCPRIM_400000_NS6detail17trampoline_kernelINS0_14default_configENS1_25partition_config_selectorILNS1_17partition_subalgoE6EsNS0_10empty_typeEbEEZZNS1_14partition_implILS5_6ELb0ES3_mN6thrust23THRUST_200600_302600_NS6detail15normal_iteratorINSA_10device_ptrIsEEEEPS6_SG_NS0_5tupleIJSF_S6_EEENSH_IJSG_SG_EEES6_PlJNSB_9not_fun_tI7is_evenIsEEEEEE10hipError_tPvRmT3_T4_T5_T6_T7_T9_mT8_P12ihipStream_tbDpT10_ENKUlT_T0_E_clISt17integral_constantIbLb0EES18_EEDaS13_S14_EUlS13_E_NS1_11comp_targetILNS1_3genE2ELNS1_11target_archE906ELNS1_3gpuE6ELNS1_3repE0EEENS1_30default_config_static_selectorELNS0_4arch9wavefront6targetE0EEEvT1_, .Lfunc_end761-_ZN7rocprim17ROCPRIM_400000_NS6detail17trampoline_kernelINS0_14default_configENS1_25partition_config_selectorILNS1_17partition_subalgoE6EsNS0_10empty_typeEbEEZZNS1_14partition_implILS5_6ELb0ES3_mN6thrust23THRUST_200600_302600_NS6detail15normal_iteratorINSA_10device_ptrIsEEEEPS6_SG_NS0_5tupleIJSF_S6_EEENSH_IJSG_SG_EEES6_PlJNSB_9not_fun_tI7is_evenIsEEEEEE10hipError_tPvRmT3_T4_T5_T6_T7_T9_mT8_P12ihipStream_tbDpT10_ENKUlT_T0_E_clISt17integral_constantIbLb0EES18_EEDaS13_S14_EUlS13_E_NS1_11comp_targetILNS1_3genE2ELNS1_11target_archE906ELNS1_3gpuE6ELNS1_3repE0EEENS1_30default_config_static_selectorELNS0_4arch9wavefront6targetE0EEEvT1_
                                        ; -- End function
	.set _ZN7rocprim17ROCPRIM_400000_NS6detail17trampoline_kernelINS0_14default_configENS1_25partition_config_selectorILNS1_17partition_subalgoE6EsNS0_10empty_typeEbEEZZNS1_14partition_implILS5_6ELb0ES3_mN6thrust23THRUST_200600_302600_NS6detail15normal_iteratorINSA_10device_ptrIsEEEEPS6_SG_NS0_5tupleIJSF_S6_EEENSH_IJSG_SG_EEES6_PlJNSB_9not_fun_tI7is_evenIsEEEEEE10hipError_tPvRmT3_T4_T5_T6_T7_T9_mT8_P12ihipStream_tbDpT10_ENKUlT_T0_E_clISt17integral_constantIbLb0EES18_EEDaS13_S14_EUlS13_E_NS1_11comp_targetILNS1_3genE2ELNS1_11target_archE906ELNS1_3gpuE6ELNS1_3repE0EEENS1_30default_config_static_selectorELNS0_4arch9wavefront6targetE0EEEvT1_.num_vgpr, 0
	.set _ZN7rocprim17ROCPRIM_400000_NS6detail17trampoline_kernelINS0_14default_configENS1_25partition_config_selectorILNS1_17partition_subalgoE6EsNS0_10empty_typeEbEEZZNS1_14partition_implILS5_6ELb0ES3_mN6thrust23THRUST_200600_302600_NS6detail15normal_iteratorINSA_10device_ptrIsEEEEPS6_SG_NS0_5tupleIJSF_S6_EEENSH_IJSG_SG_EEES6_PlJNSB_9not_fun_tI7is_evenIsEEEEEE10hipError_tPvRmT3_T4_T5_T6_T7_T9_mT8_P12ihipStream_tbDpT10_ENKUlT_T0_E_clISt17integral_constantIbLb0EES18_EEDaS13_S14_EUlS13_E_NS1_11comp_targetILNS1_3genE2ELNS1_11target_archE906ELNS1_3gpuE6ELNS1_3repE0EEENS1_30default_config_static_selectorELNS0_4arch9wavefront6targetE0EEEvT1_.num_agpr, 0
	.set _ZN7rocprim17ROCPRIM_400000_NS6detail17trampoline_kernelINS0_14default_configENS1_25partition_config_selectorILNS1_17partition_subalgoE6EsNS0_10empty_typeEbEEZZNS1_14partition_implILS5_6ELb0ES3_mN6thrust23THRUST_200600_302600_NS6detail15normal_iteratorINSA_10device_ptrIsEEEEPS6_SG_NS0_5tupleIJSF_S6_EEENSH_IJSG_SG_EEES6_PlJNSB_9not_fun_tI7is_evenIsEEEEEE10hipError_tPvRmT3_T4_T5_T6_T7_T9_mT8_P12ihipStream_tbDpT10_ENKUlT_T0_E_clISt17integral_constantIbLb0EES18_EEDaS13_S14_EUlS13_E_NS1_11comp_targetILNS1_3genE2ELNS1_11target_archE906ELNS1_3gpuE6ELNS1_3repE0EEENS1_30default_config_static_selectorELNS0_4arch9wavefront6targetE0EEEvT1_.numbered_sgpr, 0
	.set _ZN7rocprim17ROCPRIM_400000_NS6detail17trampoline_kernelINS0_14default_configENS1_25partition_config_selectorILNS1_17partition_subalgoE6EsNS0_10empty_typeEbEEZZNS1_14partition_implILS5_6ELb0ES3_mN6thrust23THRUST_200600_302600_NS6detail15normal_iteratorINSA_10device_ptrIsEEEEPS6_SG_NS0_5tupleIJSF_S6_EEENSH_IJSG_SG_EEES6_PlJNSB_9not_fun_tI7is_evenIsEEEEEE10hipError_tPvRmT3_T4_T5_T6_T7_T9_mT8_P12ihipStream_tbDpT10_ENKUlT_T0_E_clISt17integral_constantIbLb0EES18_EEDaS13_S14_EUlS13_E_NS1_11comp_targetILNS1_3genE2ELNS1_11target_archE906ELNS1_3gpuE6ELNS1_3repE0EEENS1_30default_config_static_selectorELNS0_4arch9wavefront6targetE0EEEvT1_.num_named_barrier, 0
	.set _ZN7rocprim17ROCPRIM_400000_NS6detail17trampoline_kernelINS0_14default_configENS1_25partition_config_selectorILNS1_17partition_subalgoE6EsNS0_10empty_typeEbEEZZNS1_14partition_implILS5_6ELb0ES3_mN6thrust23THRUST_200600_302600_NS6detail15normal_iteratorINSA_10device_ptrIsEEEEPS6_SG_NS0_5tupleIJSF_S6_EEENSH_IJSG_SG_EEES6_PlJNSB_9not_fun_tI7is_evenIsEEEEEE10hipError_tPvRmT3_T4_T5_T6_T7_T9_mT8_P12ihipStream_tbDpT10_ENKUlT_T0_E_clISt17integral_constantIbLb0EES18_EEDaS13_S14_EUlS13_E_NS1_11comp_targetILNS1_3genE2ELNS1_11target_archE906ELNS1_3gpuE6ELNS1_3repE0EEENS1_30default_config_static_selectorELNS0_4arch9wavefront6targetE0EEEvT1_.private_seg_size, 0
	.set _ZN7rocprim17ROCPRIM_400000_NS6detail17trampoline_kernelINS0_14default_configENS1_25partition_config_selectorILNS1_17partition_subalgoE6EsNS0_10empty_typeEbEEZZNS1_14partition_implILS5_6ELb0ES3_mN6thrust23THRUST_200600_302600_NS6detail15normal_iteratorINSA_10device_ptrIsEEEEPS6_SG_NS0_5tupleIJSF_S6_EEENSH_IJSG_SG_EEES6_PlJNSB_9not_fun_tI7is_evenIsEEEEEE10hipError_tPvRmT3_T4_T5_T6_T7_T9_mT8_P12ihipStream_tbDpT10_ENKUlT_T0_E_clISt17integral_constantIbLb0EES18_EEDaS13_S14_EUlS13_E_NS1_11comp_targetILNS1_3genE2ELNS1_11target_archE906ELNS1_3gpuE6ELNS1_3repE0EEENS1_30default_config_static_selectorELNS0_4arch9wavefront6targetE0EEEvT1_.uses_vcc, 0
	.set _ZN7rocprim17ROCPRIM_400000_NS6detail17trampoline_kernelINS0_14default_configENS1_25partition_config_selectorILNS1_17partition_subalgoE6EsNS0_10empty_typeEbEEZZNS1_14partition_implILS5_6ELb0ES3_mN6thrust23THRUST_200600_302600_NS6detail15normal_iteratorINSA_10device_ptrIsEEEEPS6_SG_NS0_5tupleIJSF_S6_EEENSH_IJSG_SG_EEES6_PlJNSB_9not_fun_tI7is_evenIsEEEEEE10hipError_tPvRmT3_T4_T5_T6_T7_T9_mT8_P12ihipStream_tbDpT10_ENKUlT_T0_E_clISt17integral_constantIbLb0EES18_EEDaS13_S14_EUlS13_E_NS1_11comp_targetILNS1_3genE2ELNS1_11target_archE906ELNS1_3gpuE6ELNS1_3repE0EEENS1_30default_config_static_selectorELNS0_4arch9wavefront6targetE0EEEvT1_.uses_flat_scratch, 0
	.set _ZN7rocprim17ROCPRIM_400000_NS6detail17trampoline_kernelINS0_14default_configENS1_25partition_config_selectorILNS1_17partition_subalgoE6EsNS0_10empty_typeEbEEZZNS1_14partition_implILS5_6ELb0ES3_mN6thrust23THRUST_200600_302600_NS6detail15normal_iteratorINSA_10device_ptrIsEEEEPS6_SG_NS0_5tupleIJSF_S6_EEENSH_IJSG_SG_EEES6_PlJNSB_9not_fun_tI7is_evenIsEEEEEE10hipError_tPvRmT3_T4_T5_T6_T7_T9_mT8_P12ihipStream_tbDpT10_ENKUlT_T0_E_clISt17integral_constantIbLb0EES18_EEDaS13_S14_EUlS13_E_NS1_11comp_targetILNS1_3genE2ELNS1_11target_archE906ELNS1_3gpuE6ELNS1_3repE0EEENS1_30default_config_static_selectorELNS0_4arch9wavefront6targetE0EEEvT1_.has_dyn_sized_stack, 0
	.set _ZN7rocprim17ROCPRIM_400000_NS6detail17trampoline_kernelINS0_14default_configENS1_25partition_config_selectorILNS1_17partition_subalgoE6EsNS0_10empty_typeEbEEZZNS1_14partition_implILS5_6ELb0ES3_mN6thrust23THRUST_200600_302600_NS6detail15normal_iteratorINSA_10device_ptrIsEEEEPS6_SG_NS0_5tupleIJSF_S6_EEENSH_IJSG_SG_EEES6_PlJNSB_9not_fun_tI7is_evenIsEEEEEE10hipError_tPvRmT3_T4_T5_T6_T7_T9_mT8_P12ihipStream_tbDpT10_ENKUlT_T0_E_clISt17integral_constantIbLb0EES18_EEDaS13_S14_EUlS13_E_NS1_11comp_targetILNS1_3genE2ELNS1_11target_archE906ELNS1_3gpuE6ELNS1_3repE0EEENS1_30default_config_static_selectorELNS0_4arch9wavefront6targetE0EEEvT1_.has_recursion, 0
	.set _ZN7rocprim17ROCPRIM_400000_NS6detail17trampoline_kernelINS0_14default_configENS1_25partition_config_selectorILNS1_17partition_subalgoE6EsNS0_10empty_typeEbEEZZNS1_14partition_implILS5_6ELb0ES3_mN6thrust23THRUST_200600_302600_NS6detail15normal_iteratorINSA_10device_ptrIsEEEEPS6_SG_NS0_5tupleIJSF_S6_EEENSH_IJSG_SG_EEES6_PlJNSB_9not_fun_tI7is_evenIsEEEEEE10hipError_tPvRmT3_T4_T5_T6_T7_T9_mT8_P12ihipStream_tbDpT10_ENKUlT_T0_E_clISt17integral_constantIbLb0EES18_EEDaS13_S14_EUlS13_E_NS1_11comp_targetILNS1_3genE2ELNS1_11target_archE906ELNS1_3gpuE6ELNS1_3repE0EEENS1_30default_config_static_selectorELNS0_4arch9wavefront6targetE0EEEvT1_.has_indirect_call, 0
	.section	.AMDGPU.csdata,"",@progbits
; Kernel info:
; codeLenInByte = 0
; TotalNumSgprs: 0
; NumVgprs: 0
; ScratchSize: 0
; MemoryBound: 0
; FloatMode: 240
; IeeeMode: 1
; LDSByteSize: 0 bytes/workgroup (compile time only)
; SGPRBlocks: 0
; VGPRBlocks: 0
; NumSGPRsForWavesPerEU: 1
; NumVGPRsForWavesPerEU: 1
; Occupancy: 16
; WaveLimiterHint : 0
; COMPUTE_PGM_RSRC2:SCRATCH_EN: 0
; COMPUTE_PGM_RSRC2:USER_SGPR: 2
; COMPUTE_PGM_RSRC2:TRAP_HANDLER: 0
; COMPUTE_PGM_RSRC2:TGID_X_EN: 1
; COMPUTE_PGM_RSRC2:TGID_Y_EN: 0
; COMPUTE_PGM_RSRC2:TGID_Z_EN: 0
; COMPUTE_PGM_RSRC2:TIDIG_COMP_CNT: 0
	.section	.text._ZN7rocprim17ROCPRIM_400000_NS6detail17trampoline_kernelINS0_14default_configENS1_25partition_config_selectorILNS1_17partition_subalgoE6EsNS0_10empty_typeEbEEZZNS1_14partition_implILS5_6ELb0ES3_mN6thrust23THRUST_200600_302600_NS6detail15normal_iteratorINSA_10device_ptrIsEEEEPS6_SG_NS0_5tupleIJSF_S6_EEENSH_IJSG_SG_EEES6_PlJNSB_9not_fun_tI7is_evenIsEEEEEE10hipError_tPvRmT3_T4_T5_T6_T7_T9_mT8_P12ihipStream_tbDpT10_ENKUlT_T0_E_clISt17integral_constantIbLb0EES18_EEDaS13_S14_EUlS13_E_NS1_11comp_targetILNS1_3genE10ELNS1_11target_archE1200ELNS1_3gpuE4ELNS1_3repE0EEENS1_30default_config_static_selectorELNS0_4arch9wavefront6targetE0EEEvT1_,"axG",@progbits,_ZN7rocprim17ROCPRIM_400000_NS6detail17trampoline_kernelINS0_14default_configENS1_25partition_config_selectorILNS1_17partition_subalgoE6EsNS0_10empty_typeEbEEZZNS1_14partition_implILS5_6ELb0ES3_mN6thrust23THRUST_200600_302600_NS6detail15normal_iteratorINSA_10device_ptrIsEEEEPS6_SG_NS0_5tupleIJSF_S6_EEENSH_IJSG_SG_EEES6_PlJNSB_9not_fun_tI7is_evenIsEEEEEE10hipError_tPvRmT3_T4_T5_T6_T7_T9_mT8_P12ihipStream_tbDpT10_ENKUlT_T0_E_clISt17integral_constantIbLb0EES18_EEDaS13_S14_EUlS13_E_NS1_11comp_targetILNS1_3genE10ELNS1_11target_archE1200ELNS1_3gpuE4ELNS1_3repE0EEENS1_30default_config_static_selectorELNS0_4arch9wavefront6targetE0EEEvT1_,comdat
	.protected	_ZN7rocprim17ROCPRIM_400000_NS6detail17trampoline_kernelINS0_14default_configENS1_25partition_config_selectorILNS1_17partition_subalgoE6EsNS0_10empty_typeEbEEZZNS1_14partition_implILS5_6ELb0ES3_mN6thrust23THRUST_200600_302600_NS6detail15normal_iteratorINSA_10device_ptrIsEEEEPS6_SG_NS0_5tupleIJSF_S6_EEENSH_IJSG_SG_EEES6_PlJNSB_9not_fun_tI7is_evenIsEEEEEE10hipError_tPvRmT3_T4_T5_T6_T7_T9_mT8_P12ihipStream_tbDpT10_ENKUlT_T0_E_clISt17integral_constantIbLb0EES18_EEDaS13_S14_EUlS13_E_NS1_11comp_targetILNS1_3genE10ELNS1_11target_archE1200ELNS1_3gpuE4ELNS1_3repE0EEENS1_30default_config_static_selectorELNS0_4arch9wavefront6targetE0EEEvT1_ ; -- Begin function _ZN7rocprim17ROCPRIM_400000_NS6detail17trampoline_kernelINS0_14default_configENS1_25partition_config_selectorILNS1_17partition_subalgoE6EsNS0_10empty_typeEbEEZZNS1_14partition_implILS5_6ELb0ES3_mN6thrust23THRUST_200600_302600_NS6detail15normal_iteratorINSA_10device_ptrIsEEEEPS6_SG_NS0_5tupleIJSF_S6_EEENSH_IJSG_SG_EEES6_PlJNSB_9not_fun_tI7is_evenIsEEEEEE10hipError_tPvRmT3_T4_T5_T6_T7_T9_mT8_P12ihipStream_tbDpT10_ENKUlT_T0_E_clISt17integral_constantIbLb0EES18_EEDaS13_S14_EUlS13_E_NS1_11comp_targetILNS1_3genE10ELNS1_11target_archE1200ELNS1_3gpuE4ELNS1_3repE0EEENS1_30default_config_static_selectorELNS0_4arch9wavefront6targetE0EEEvT1_
	.globl	_ZN7rocprim17ROCPRIM_400000_NS6detail17trampoline_kernelINS0_14default_configENS1_25partition_config_selectorILNS1_17partition_subalgoE6EsNS0_10empty_typeEbEEZZNS1_14partition_implILS5_6ELb0ES3_mN6thrust23THRUST_200600_302600_NS6detail15normal_iteratorINSA_10device_ptrIsEEEEPS6_SG_NS0_5tupleIJSF_S6_EEENSH_IJSG_SG_EEES6_PlJNSB_9not_fun_tI7is_evenIsEEEEEE10hipError_tPvRmT3_T4_T5_T6_T7_T9_mT8_P12ihipStream_tbDpT10_ENKUlT_T0_E_clISt17integral_constantIbLb0EES18_EEDaS13_S14_EUlS13_E_NS1_11comp_targetILNS1_3genE10ELNS1_11target_archE1200ELNS1_3gpuE4ELNS1_3repE0EEENS1_30default_config_static_selectorELNS0_4arch9wavefront6targetE0EEEvT1_
	.p2align	8
	.type	_ZN7rocprim17ROCPRIM_400000_NS6detail17trampoline_kernelINS0_14default_configENS1_25partition_config_selectorILNS1_17partition_subalgoE6EsNS0_10empty_typeEbEEZZNS1_14partition_implILS5_6ELb0ES3_mN6thrust23THRUST_200600_302600_NS6detail15normal_iteratorINSA_10device_ptrIsEEEEPS6_SG_NS0_5tupleIJSF_S6_EEENSH_IJSG_SG_EEES6_PlJNSB_9not_fun_tI7is_evenIsEEEEEE10hipError_tPvRmT3_T4_T5_T6_T7_T9_mT8_P12ihipStream_tbDpT10_ENKUlT_T0_E_clISt17integral_constantIbLb0EES18_EEDaS13_S14_EUlS13_E_NS1_11comp_targetILNS1_3genE10ELNS1_11target_archE1200ELNS1_3gpuE4ELNS1_3repE0EEENS1_30default_config_static_selectorELNS0_4arch9wavefront6targetE0EEEvT1_,@function
_ZN7rocprim17ROCPRIM_400000_NS6detail17trampoline_kernelINS0_14default_configENS1_25partition_config_selectorILNS1_17partition_subalgoE6EsNS0_10empty_typeEbEEZZNS1_14partition_implILS5_6ELb0ES3_mN6thrust23THRUST_200600_302600_NS6detail15normal_iteratorINSA_10device_ptrIsEEEEPS6_SG_NS0_5tupleIJSF_S6_EEENSH_IJSG_SG_EEES6_PlJNSB_9not_fun_tI7is_evenIsEEEEEE10hipError_tPvRmT3_T4_T5_T6_T7_T9_mT8_P12ihipStream_tbDpT10_ENKUlT_T0_E_clISt17integral_constantIbLb0EES18_EEDaS13_S14_EUlS13_E_NS1_11comp_targetILNS1_3genE10ELNS1_11target_archE1200ELNS1_3gpuE4ELNS1_3repE0EEENS1_30default_config_static_selectorELNS0_4arch9wavefront6targetE0EEEvT1_: ; @_ZN7rocprim17ROCPRIM_400000_NS6detail17trampoline_kernelINS0_14default_configENS1_25partition_config_selectorILNS1_17partition_subalgoE6EsNS0_10empty_typeEbEEZZNS1_14partition_implILS5_6ELb0ES3_mN6thrust23THRUST_200600_302600_NS6detail15normal_iteratorINSA_10device_ptrIsEEEEPS6_SG_NS0_5tupleIJSF_S6_EEENSH_IJSG_SG_EEES6_PlJNSB_9not_fun_tI7is_evenIsEEEEEE10hipError_tPvRmT3_T4_T5_T6_T7_T9_mT8_P12ihipStream_tbDpT10_ENKUlT_T0_E_clISt17integral_constantIbLb0EES18_EEDaS13_S14_EUlS13_E_NS1_11comp_targetILNS1_3genE10ELNS1_11target_archE1200ELNS1_3gpuE4ELNS1_3repE0EEENS1_30default_config_static_selectorELNS0_4arch9wavefront6targetE0EEEvT1_
; %bb.0:
	s_clause 0x3
	s_load_b128 s[12:15], s[0:1], 0x8
	s_load_b128 s[8:11], s[0:1], 0x40
	s_load_b32 s16, s[0:1], 0x68
	s_load_b64 s[2:3], s[0:1], 0x50
	s_mov_b32 s17, 0
	v_lshlrev_b32_e32 v17, 1, v0
	s_wait_kmcnt 0x0
	s_lshl_b64 s[4:5], s[14:15], 1
	s_load_b64 s[6:7], s[10:11], 0x0
	s_add_co_i32 s18, s16, -1
	s_mulk_i32 s16, 0x1b00
	s_add_nc_u64 s[10:11], s[12:13], s[4:5]
	s_add_nc_u64 s[4:5], s[14:15], s[16:17]
	s_add_co_i32 s12, s16, s14
	v_cmp_le_u64_e64 s3, s[2:3], s[4:5]
	s_sub_co_i32 s4, s2, s12
	s_cmp_eq_u32 ttmp9, s18
	s_mul_i32 s16, ttmp9, 0x1b00
	s_cselect_b32 s12, -1, 0
	s_mov_b32 s5, -1
	s_and_b32 s2, s12, s3
	s_wait_alu 0xfffe
	s_xor_b32 s13, s2, -1
	s_lshl_b64 s[2:3], s[16:17], 1
	s_and_b32 vcc_lo, exec_lo, s13
	s_wait_alu 0xfffe
	s_add_nc_u64 s[2:3], s[10:11], s[2:3]
	s_cbranch_vccz .LBB762_2
; %bb.1:
	s_wait_alu 0xfffe
	v_add_co_u32 v1, s5, s2, v17
	s_wait_alu 0xf1ff
	v_add_co_ci_u32_e64 v2, null, s3, 0, s5
	s_mov_b32 s5, 0
	s_clause 0x11
	flat_load_u16 v3, v[1:2]
	flat_load_u16 v4, v[1:2] offset:768
	flat_load_u16 v5, v[1:2] offset:1536
	;; [unrolled: 1-line block ×17, first 2 shown]
	s_wait_loadcnt_dscnt 0x1111
	ds_store_b16 v17, v3
	s_wait_loadcnt_dscnt 0x1011
	ds_store_b16 v17, v4 offset:768
	s_wait_loadcnt_dscnt 0xf11
	ds_store_b16 v17, v5 offset:1536
	s_wait_loadcnt_dscnt 0xe11
	ds_store_b16 v17, v6 offset:2304
	s_wait_loadcnt_dscnt 0xd11
	ds_store_b16 v17, v7 offset:3072
	s_wait_loadcnt_dscnt 0xc11
	ds_store_b16 v17, v8 offset:3840
	s_wait_loadcnt_dscnt 0xb11
	ds_store_b16 v17, v9 offset:4608
	s_wait_loadcnt_dscnt 0xa11
	ds_store_b16 v17, v10 offset:5376
	s_wait_loadcnt_dscnt 0x911
	ds_store_b16 v17, v11 offset:6144
	s_wait_loadcnt_dscnt 0x811
	ds_store_b16 v17, v12 offset:6912
	s_wait_loadcnt_dscnt 0x711
	ds_store_b16 v17, v13 offset:7680
	s_wait_loadcnt_dscnt 0x611
	ds_store_b16 v17, v14 offset:8448
	s_wait_loadcnt_dscnt 0x511
	ds_store_b16 v17, v15 offset:9216
	s_wait_loadcnt_dscnt 0x411
	ds_store_b16 v17, v16 offset:9984
	s_wait_loadcnt_dscnt 0x311
	ds_store_b16 v17, v18 offset:10752
	s_wait_loadcnt_dscnt 0x211
	ds_store_b16 v17, v19 offset:11520
	s_wait_loadcnt_dscnt 0x111
	ds_store_b16 v17, v20 offset:12288
	s_wait_loadcnt_dscnt 0x11
	ds_store_b16 v17, v1 offset:13056
	s_wait_dscnt 0x0
	s_barrier_signal -1
	s_barrier_wait -1
.LBB762_2:
	s_wait_alu 0xfffe
	s_and_not1_b32 vcc_lo, exec_lo, s5
	s_addk_co_i32 s4, 0x1b00
	s_cbranch_vccnz .LBB762_40
; %bb.3:
	v_mov_b32_e32 v1, 0
	s_mov_b32 s5, exec_lo
	s_delay_alu instid0(VALU_DEP_1)
	v_dual_mov_b32 v2, v1 :: v_dual_mov_b32 v3, v1
	v_dual_mov_b32 v4, v1 :: v_dual_mov_b32 v5, v1
	;; [unrolled: 1-line block ×4, first 2 shown]
	s_wait_alu 0xfffe
	v_cmpx_gt_u32_e64 s4, v0
	s_cbranch_execz .LBB762_5
; %bb.4:
	v_add_co_u32 v3, s10, s2, v17
	s_delay_alu instid0(VALU_DEP_1)
	v_add_co_ci_u32_e64 v4, null, s3, 0, s10
	v_mov_b32_e32 v2, v1
	v_dual_mov_b32 v6, v1 :: v_dual_mov_b32 v7, v1
	v_dual_mov_b32 v5, v1 :: v_dual_mov_b32 v8, v1
	v_mov_b32_e32 v9, v1
	flat_load_d16_b16 v2, v[3:4]
	v_dual_mov_b32 v3, v1 :: v_dual_mov_b32 v4, v1
	v_mov_b32_e32 v10, v1
	s_wait_loadcnt_dscnt 0x0
	v_mov_b32_e32 v1, v2
	s_delay_alu instid0(VALU_DEP_3)
	v_mov_b32_e32 v2, v3
	v_mov_b32_e32 v3, v4
	v_mov_b32_e32 v4, v5
	v_mov_b32_e32 v5, v6
	v_mov_b32_e32 v6, v7
	v_mov_b32_e32 v7, v8
	v_mov_b32_e32 v8, v9
	v_mov_b32_e32 v9, v10
	v_mov_b32_e32 v10, v11
	v_mov_b32_e32 v11, v12
	v_mov_b32_e32 v12, v13
	v_mov_b32_e32 v13, v14
	v_mov_b32_e32 v14, v15
	v_mov_b32_e32 v15, v16
	v_mov_b32_e32 v16, v17
.LBB762_5:
	s_or_b32 exec_lo, exec_lo, s5
	v_add_nc_u32_e32 v10, 0x180, v0
	s_mov_b32 s5, exec_lo
	s_delay_alu instid0(VALU_DEP_1)
	v_cmpx_gt_u32_e64 s4, v10
	s_cbranch_execz .LBB762_7
; %bb.6:
	v_add_co_u32 v10, s10, s2, v17
	s_wait_alu 0xf1ff
	v_add_co_ci_u32_e64 v11, null, s3, 0, s10
	flat_load_d16_hi_b16 v1, v[10:11] offset:768
.LBB762_7:
	s_wait_alu 0xfffe
	s_or_b32 exec_lo, exec_lo, s5
	v_add_nc_u32_e32 v10, 0x300, v0
	s_mov_b32 s5, exec_lo
	s_delay_alu instid0(VALU_DEP_1)
	v_cmpx_gt_u32_e64 s4, v10
	s_cbranch_execz .LBB762_9
; %bb.8:
	v_add_co_u32 v10, s10, s2, v17
	s_wait_alu 0xf1ff
	v_add_co_ci_u32_e64 v11, null, s3, 0, s10
	flat_load_d16_b16 v2, v[10:11] offset:1536
.LBB762_9:
	s_wait_alu 0xfffe
	s_or_b32 exec_lo, exec_lo, s5
	v_add_nc_u32_e32 v10, 0x480, v0
	s_mov_b32 s5, exec_lo
	s_delay_alu instid0(VALU_DEP_1)
	v_cmpx_gt_u32_e64 s4, v10
	s_cbranch_execz .LBB762_11
; %bb.10:
	v_add_co_u32 v10, s10, s2, v17
	s_wait_alu 0xf1ff
	v_add_co_ci_u32_e64 v11, null, s3, 0, s10
	s_wait_loadcnt_dscnt 0x0
	flat_load_d16_hi_b16 v2, v[10:11] offset:2304
.LBB762_11:
	s_wait_alu 0xfffe
	s_or_b32 exec_lo, exec_lo, s5
	v_or_b32_e32 v10, 0x600, v0
	s_mov_b32 s5, exec_lo
	s_delay_alu instid0(VALU_DEP_1)
	v_cmpx_gt_u32_e64 s4, v10
	s_cbranch_execz .LBB762_13
; %bb.12:
	v_add_co_u32 v10, s10, s2, v17
	s_wait_alu 0xf1ff
	v_add_co_ci_u32_e64 v11, null, s3, 0, s10
	flat_load_d16_b16 v3, v[10:11] offset:3072
.LBB762_13:
	s_wait_alu 0xfffe
	s_or_b32 exec_lo, exec_lo, s5
	v_add_nc_u32_e32 v10, 0x780, v0
	s_mov_b32 s5, exec_lo
	s_delay_alu instid0(VALU_DEP_1)
	v_cmpx_gt_u32_e64 s4, v10
	s_cbranch_execz .LBB762_15
; %bb.14:
	v_add_co_u32 v10, s10, s2, v17
	s_wait_alu 0xf1ff
	v_add_co_ci_u32_e64 v11, null, s3, 0, s10
	s_wait_loadcnt_dscnt 0x0
	flat_load_d16_hi_b16 v3, v[10:11] offset:3840
.LBB762_15:
	s_wait_alu 0xfffe
	s_or_b32 exec_lo, exec_lo, s5
	v_add_nc_u32_e32 v10, 0x900, v0
	s_mov_b32 s5, exec_lo
	s_delay_alu instid0(VALU_DEP_1)
	v_cmpx_gt_u32_e64 s4, v10
	s_cbranch_execz .LBB762_17
; %bb.16:
	v_add_co_u32 v10, s10, s2, v17
	s_wait_alu 0xf1ff
	v_add_co_ci_u32_e64 v11, null, s3, 0, s10
	flat_load_d16_b16 v4, v[10:11] offset:4608
.LBB762_17:
	s_wait_alu 0xfffe
	s_or_b32 exec_lo, exec_lo, s5
	v_add_nc_u32_e32 v10, 0xa80, v0
	s_mov_b32 s5, exec_lo
	s_delay_alu instid0(VALU_DEP_1)
	v_cmpx_gt_u32_e64 s4, v10
	s_cbranch_execz .LBB762_19
; %bb.18:
	v_add_co_u32 v10, s10, s2, v17
	s_wait_alu 0xf1ff
	v_add_co_ci_u32_e64 v11, null, s3, 0, s10
	s_wait_loadcnt_dscnt 0x0
	flat_load_d16_hi_b16 v4, v[10:11] offset:5376
.LBB762_19:
	s_wait_alu 0xfffe
	s_or_b32 exec_lo, exec_lo, s5
	v_or_b32_e32 v10, 0xc00, v0
	s_mov_b32 s5, exec_lo
	s_delay_alu instid0(VALU_DEP_1)
	v_cmpx_gt_u32_e64 s4, v10
	s_cbranch_execz .LBB762_21
; %bb.20:
	v_add_co_u32 v10, s10, s2, v17
	s_wait_alu 0xf1ff
	v_add_co_ci_u32_e64 v11, null, s3, 0, s10
	flat_load_d16_b16 v5, v[10:11] offset:6144
.LBB762_21:
	s_wait_alu 0xfffe
	s_or_b32 exec_lo, exec_lo, s5
	v_add_nc_u32_e32 v10, 0xd80, v0
	s_mov_b32 s5, exec_lo
	s_delay_alu instid0(VALU_DEP_1)
	v_cmpx_gt_u32_e64 s4, v10
	s_cbranch_execz .LBB762_23
; %bb.22:
	v_add_co_u32 v10, s10, s2, v17
	s_wait_alu 0xf1ff
	v_add_co_ci_u32_e64 v11, null, s3, 0, s10
	s_wait_loadcnt_dscnt 0x0
	flat_load_d16_hi_b16 v5, v[10:11] offset:6912
.LBB762_23:
	;; [unrolled: 54-line block ×4, first 2 shown]
	s_wait_alu 0xfffe
	s_or_b32 exec_lo, exec_lo, s5
	s_wait_loadcnt_dscnt 0x0
	ds_store_b16 v17, v1
	ds_store_b16_d16_hi v17, v1 offset:768
	ds_store_b16 v17, v2 offset:1536
	ds_store_b16_d16_hi v17, v2 offset:2304
	ds_store_b16 v17, v3 offset:3072
	ds_store_b16_d16_hi v17, v3 offset:3840
	ds_store_b16 v17, v4 offset:4608
	ds_store_b16_d16_hi v17, v4 offset:5376
	ds_store_b16 v17, v5 offset:6144
	ds_store_b16_d16_hi v17, v5 offset:6912
	ds_store_b16 v17, v6 offset:7680
	ds_store_b16_d16_hi v17, v6 offset:8448
	ds_store_b16 v17, v7 offset:9216
	ds_store_b16_d16_hi v17, v7 offset:9984
	ds_store_b16 v17, v8 offset:10752
	ds_store_b16_d16_hi v17, v8 offset:11520
	ds_store_b16 v17, v9 offset:12288
	ds_store_b16_d16_hi v17, v9 offset:13056
	s_wait_dscnt 0x0
	s_barrier_signal -1
	s_barrier_wait -1
.LBB762_40:
	v_mul_u32_u24_e32 v1, 18, v0
	global_inv scope:SCOPE_SE
	s_and_not1_b32 vcc_lo, exec_lo, s13
	v_lshlrev_b32_e32 v2, 1, v1
	ds_load_b32 v53, v2 offset:32
	ds_load_2addr_b32 v[15:16], v2 offset1:1
	ds_load_2addr_b32 v[13:14], v2 offset0:2 offset1:3
	ds_load_2addr_b32 v[11:12], v2 offset0:4 offset1:5
	ds_load_2addr_b32 v[9:10], v2 offset0:6 offset1:7
	s_wait_loadcnt_dscnt 0x0
	s_barrier_signal -1
	s_barrier_wait -1
	global_inv scope:SCOPE_SE
	v_lshrrev_b32_e32 v54, 16, v53
	v_lshrrev_b32_e32 v17, 16, v15
	;; [unrolled: 1-line block ×9, first 2 shown]
	s_cbranch_vccnz .LBB762_42
; %bb.41:
	v_and_b32_e32 v20, 1, v8
	v_and_b32_e32 v18, 1, v7
	;; [unrolled: 1-line block ×5, first 2 shown]
	v_lshlrev_b16 v20, 8, v20
	v_and_b32_e32 v25, 1, v4
	v_lshlrev_b16 v18, 8, v18
	v_lshlrev_b16 v19, 8, v19
	;; [unrolled: 1-line block ×3, first 2 shown]
	v_lshrrev_b32_e32 v20, 8, v20
	v_lshlrev_b16 v23, 8, v23
	v_lshlrev_b16 v25, 8, v25
	v_and_b32_e32 v21, 1, v5
	v_and_b32_e32 v24, 1, v2
	v_lshrrev_b32_e32 v19, 8, v19
	v_lshrrev_b32_e32 v18, 8, v18
	v_and_b32_e32 v28, 1, v13
	v_lshlrev_b16 v20, 8, v20
	v_lshrrev_b32_e32 v25, 8, v25
	v_lshrrev_b32_e32 v23, 8, v23
	v_lshrrev_b32_e32 v22, 8, v22
	v_lshlrev_b16 v21, 8, v21
	v_lshlrev_b16 v24, 8, v24
	v_and_b32_e32 v26, 1, v15
	v_lshlrev_b16 v19, 8, v19
	v_and_b32_e32 v27, 1, v16
	v_lshlrev_b16 v18, 8, v18
	v_or_b32_e32 v20, v28, v20
	v_and_b32_e32 v28, 1, v14
	v_and_b32_e32 v29, 1, v11
	v_lshlrev_b16 v23, 8, v23
	v_and_b32_e32 v30, 1, v12
	v_lshlrev_b16 v22, 8, v22
	;; [unrolled: 2-line block ×3, first 2 shown]
	v_and_b32_e32 v32, 1, v10
	v_and_b32_e32 v55, 1, v54
	v_or_b32_e32 v19, v26, v19
	v_or_b32_e32 v18, v27, v18
	;; [unrolled: 1-line block ×7, first 2 shown]
	v_lshlrev_b16 v26, 8, v55
	v_and_b32_e32 v27, 1, v53
	v_and_b32_e32 v19, 0xffff, v19
	v_lshlrev_b32_e32 v18, 16, v18
	v_and_b32_e32 v20, 0xffff, v20
	v_lshlrev_b32_e32 v21, 16, v21
	;; [unrolled: 2-line block ×4, first 2 shown]
	v_or_b32_e32 v56, v27, v26
	v_or_b32_e32 v51, v19, v18
	;; [unrolled: 1-line block ×5, first 2 shown]
	s_cbranch_execz .LBB762_43
	s_branch .LBB762_44
.LBB762_42:
                                        ; implicit-def: $vgpr55
                                        ; implicit-def: $vgpr56
                                        ; implicit-def: $vgpr57
                                        ; implicit-def: $vgpr58
                                        ; implicit-def: $vgpr60
                                        ; implicit-def: $vgpr51
.LBB762_43:
	v_or_b32_e32 v18, 1, v1
	s_wait_alu 0xfffe
	v_cmp_gt_u32_e32 vcc_lo, s4, v1
	v_add_nc_u32_e32 v20, 3, v1
	v_add_nc_u32_e32 v21, 5, v1
	;; [unrolled: 1-line block ×4, first 2 shown]
	v_cndmask_b32_e64 v19, 0, 1, vcc_lo
	v_cmp_gt_u32_e32 vcc_lo, s4, v18
	v_add_nc_u32_e32 v24, 13, v1
	v_add_nc_u32_e32 v25, 12, v1
	;; [unrolled: 1-line block ×3, first 2 shown]
	v_and_b32_e32 v19, v19, v15
	s_wait_alu 0xfffd
	v_cndmask_b32_e64 v18, 0, 1, vcc_lo
	v_cmp_gt_u32_e32 vcc_lo, s4, v20
	v_add_nc_u32_e32 v27, 16, v1
	v_and_b32_e32 v19, 1, v19
	s_delay_alu instid0(VALU_DEP_4)
	v_and_b32_e32 v17, v18, v17
	s_wait_alu 0xfffd
	v_cndmask_b32_e64 v20, 0, 1, vcc_lo
	v_cmp_gt_u32_e32 vcc_lo, s4, v21
	v_add_nc_u32_e32 v21, 2, v1
	v_lshlrev_b16 v17, 8, v17
	s_delay_alu instid0(VALU_DEP_4)
	v_and_b32_e32 v7, v20, v7
	s_wait_alu 0xfffd
	v_cndmask_b32_e64 v18, 0, 1, vcc_lo
	v_cmp_gt_u32_e32 vcc_lo, s4, v22
	v_add_nc_u32_e32 v20, 9, v1
	v_add_nc_u32_e32 v22, 7, v1
	v_lshlrev_b16 v7, 8, v7
	v_and_b32_e32 v8, v18, v8
	s_wait_alu 0xfffd
	v_cndmask_b32_e64 v18, 0, 1, vcc_lo
	v_cmp_gt_u32_e32 vcc_lo, s4, v20
	v_lshrrev_b32_e32 v17, 8, v17
	v_lshrrev_b32_e32 v7, 8, v7
	v_lshlrev_b16 v8, 8, v8
	v_and_b32_e32 v18, v18, v13
	s_wait_alu 0xfffd
	v_cndmask_b32_e64 v20, 0, 1, vcc_lo
	v_cmp_gt_u32_e32 vcc_lo, s4, v22
	v_and_b32_e32 v7, 1, v7
	v_lshrrev_b32_e32 v8, 8, v8
	v_lshlrev_b16 v17, 8, v17
	v_and_b32_e32 v6, v20, v6
	s_wait_alu 0xfffd
	v_cndmask_b32_e64 v22, 0, 1, vcc_lo
	v_cmp_gt_u32_e32 vcc_lo, s4, v21
	v_lshlrev_b16 v7, 8, v7
	v_lshlrev_b16 v8, 8, v8
	;; [unrolled: 1-line block ×3, first 2 shown]
	v_and_b32_e32 v5, v22, v5
	s_wait_alu 0xfffd
	v_cndmask_b32_e32 v21, 0, v16, vcc_lo
	v_cmp_gt_u32_e32 vcc_lo, s4, v23
	v_add_nc_u32_e32 v22, 6, v1
	v_add_nc_u32_e32 v23, 11, v1
	v_lshlrev_b16 v5, 8, v5
	v_and_b32_e32 v21, 1, v21
	s_wait_alu 0xfffd
	v_cndmask_b32_e64 v20, 0, 1, vcc_lo
	v_cmp_gt_u32_e32 vcc_lo, s4, v22
	v_and_b32_e32 v18, 1, v18
	v_lshrrev_b32_e32 v5, 8, v5
	v_lshrrev_b32_e32 v6, 8, v6
	v_and_b32_e32 v20, v20, v11
	s_wait_alu 0xfffd
	v_cndmask_b32_e64 v22, 0, 1, vcc_lo
	v_cmp_gt_u32_e32 vcc_lo, s4, v23
	v_or_b32_e32 v17, v19, v17
	v_or_b32_e32 v7, v21, v7
	v_or_b32_e32 v8, v18, v8
	v_and_b32_e32 v22, v22, v14
	s_wait_alu 0xfffd
	v_cndmask_b32_e64 v23, 0, 1, vcc_lo
	v_cmp_gt_u32_e32 vcc_lo, s4, v24
	v_lshlrev_b16 v5, 8, v5
	v_lshlrev_b16 v6, 8, v6
	v_and_b32_e32 v18, 1, v22
	v_and_b32_e32 v3, v23, v3
	s_wait_alu 0xfffd
	v_cndmask_b32_e64 v24, 0, 1, vcc_lo
	v_cmp_gt_u32_e32 vcc_lo, s4, v25
	v_add_nc_u32_e32 v25, 14, v1
	v_and_b32_e32 v19, 1, v20
	v_lshlrev_b16 v3, 8, v3
	v_and_b32_e32 v4, v24, v4
	v_add_nc_u32_e32 v24, 10, v1
	s_wait_alu 0xfffd
	v_cndmask_b32_e64 v23, 0, 1, vcc_lo
	v_add_nc_u32_e32 v1, 17, v1
	v_lshrrev_b32_e32 v3, 8, v3
	v_lshlrev_b16 v4, 8, v4
	v_cmp_gt_u32_e32 vcc_lo, s4, v24
	v_and_b32_e32 v23, v23, v9
	v_or_b32_e32 v5, v18, v5
	v_and_b32_e32 v3, 1, v3
	v_lshrrev_b32_e32 v4, 8, v4
	s_wait_alu 0xfffd
	v_cndmask_b32_e32 v24, 0, v12, vcc_lo
	v_cmp_gt_u32_e32 vcc_lo, s4, v25
	v_and_b32_e32 v21, 1, v23
	v_lshlrev_b16 v3, 8, v3
	v_lshlrev_b16 v4, 8, v4
	v_and_b32_e32 v20, 1, v24
	s_wait_alu 0xfffd
	v_cndmask_b32_e64 v25, 0, 1, vcc_lo
	v_cmp_gt_u32_e32 vcc_lo, s4, v26
	v_or_b32_e32 v6, v19, v6
	v_or_b32_e32 v4, v21, v4
	;; [unrolled: 1-line block ×3, first 2 shown]
	v_and_b32_e32 v25, v25, v10
	s_wait_alu 0xfffd
	v_cndmask_b32_e64 v26, 0, 1, vcc_lo
	v_cmp_gt_u32_e32 vcc_lo, s4, v27
	v_and_b32_e32 v17, 0xffff, v17
	v_lshlrev_b32_e32 v7, 16, v7
	v_and_b32_e32 v8, 0xffff, v8
	v_and_b32_e32 v2, v26, v2
	s_wait_alu 0xfffd
	v_cndmask_b32_e64 v27, 0, 1, vcc_lo
	v_cmp_gt_u32_e32 vcc_lo, s4, v1
	v_lshlrev_b32_e32 v5, 16, v5
	v_and_b32_e32 v6, 0xffff, v6
	v_lshlrev_b16 v2, 8, v2
	v_lshlrev_b32_e32 v3, 16, v3
	s_wait_alu 0xfffd
	v_cndmask_b32_e64 v1, 0, 1, vcc_lo
	v_and_b32_e32 v4, 0xffff, v4
	v_and_b32_e32 v56, v27, v53
	v_or_b32_e32 v2, v25, v2
	v_or_b32_e32 v51, v17, v7
	v_and_b32_e32 v55, v1, v54
	v_or_b32_e32 v60, v8, v5
	v_or_b32_e32 v58, v6, v3
	v_lshlrev_b32_e32 v2, 16, v2
	s_delay_alu instid0(VALU_DEP_1)
	v_or_b32_e32 v57, v4, v2
.LBB762_44:
	v_dual_mov_b32 v2, 0 :: v_dual_and_b32 v27, 0xff, v51
	v_bfe_u32 v26, v51, 8, 8
	v_bfe_u32 v25, v51, 16, 8
	v_lshrrev_b32_e32 v63, 24, v51
	v_and_b32_e32 v33, 0xff, v60
	v_bfe_u32 v32, v60, 8, 8
	v_bfe_u32 v31, v60, 16, 8
	v_add3_u32 v1, v26, v27, v25
	v_lshrrev_b32_e32 v62, 24, v60
	v_and_b32_e32 v30, 0xff, v58
	v_bfe_u32 v29, v58, 8, 8
	v_bfe_u32 v28, v58, 16, 8
	v_add_co_u32 v1, s2, v1, v63
	s_wait_alu 0xf1ff
	v_add_co_ci_u32_e64 v3, null, 0, 0, s2
	v_lshrrev_b32_e32 v61, 24, v58
	s_delay_alu instid0(VALU_DEP_3) | instskip(SKIP_1) | instid1(VALU_DEP_3)
	v_add_co_u32 v1, vcc_lo, v1, v33
	s_wait_alu 0xfffd
	v_add_co_ci_u32_e64 v3, null, 0, v3, vcc_lo
	v_and_b32_e32 v66, 0xff, v57
	s_delay_alu instid0(VALU_DEP_3) | instskip(SKIP_1) | instid1(VALU_DEP_3)
	v_add_co_u32 v1, vcc_lo, v1, v32
	s_wait_alu 0xfffd
	v_add_co_ci_u32_e64 v3, null, 0, v3, vcc_lo
	v_bfe_u32 v65, v57, 8, 8
	s_delay_alu instid0(VALU_DEP_3) | instskip(SKIP_1) | instid1(VALU_DEP_3)
	v_add_co_u32 v1, vcc_lo, v1, v31
	s_wait_alu 0xfffd
	v_add_co_ci_u32_e64 v3, null, 0, v3, vcc_lo
	v_bfe_u32 v64, v57, 16, 8
	s_delay_alu instid0(VALU_DEP_3) | instskip(SKIP_1) | instid1(VALU_DEP_3)
	v_add_co_u32 v1, vcc_lo, v1, v62
	s_wait_alu 0xfffd
	v_add_co_ci_u32_e64 v3, null, 0, v3, vcc_lo
	v_lshrrev_b32_e32 v59, 24, v57
	s_delay_alu instid0(VALU_DEP_3) | instskip(SKIP_1) | instid1(VALU_DEP_3)
	v_add_co_u32 v1, vcc_lo, v1, v30
	s_wait_alu 0xfffd
	v_add_co_ci_u32_e64 v3, null, 0, v3, vcc_lo
	s_load_b64 s[10:11], s[0:1], 0x60
	v_add_co_u32 v1, vcc_lo, v1, v29
	s_wait_alu 0xfffd
	v_add_co_ci_u32_e64 v3, null, 0, v3, vcc_lo
	v_and_b32_e32 v52, 0xff, v56
	s_delay_alu instid0(VALU_DEP_3) | instskip(SKIP_1) | instid1(VALU_DEP_3)
	v_add_co_u32 v1, vcc_lo, v1, v28
	s_wait_alu 0xfffd
	v_add_co_ci_u32_e64 v3, null, 0, v3, vcc_lo
	v_mbcnt_lo_u32_b32 v34, -1, 0
	s_delay_alu instid0(VALU_DEP_3) | instskip(SKIP_1) | instid1(VALU_DEP_3)
	v_add_co_u32 v1, vcc_lo, v1, v61
	s_wait_alu 0xfffd
	v_add_co_ci_u32_e64 v3, null, 0, v3, vcc_lo
	v_and_b32_e32 v4, 0xff, v55
	s_delay_alu instid0(VALU_DEP_3) | instskip(SKIP_1) | instid1(VALU_DEP_3)
	v_add_co_u32 v1, vcc_lo, v1, v66
	s_wait_alu 0xfffd
	v_add_co_ci_u32_e64 v3, null, 0, v3, vcc_lo
	v_and_b32_e32 v35, 15, v34
	s_delay_alu instid0(VALU_DEP_3) | instskip(SKIP_1) | instid1(VALU_DEP_3)
	v_add_co_u32 v1, vcc_lo, v1, v65
	s_wait_alu 0xfffd
	v_add_co_ci_u32_e64 v3, null, 0, v3, vcc_lo
	s_delay_alu instid0(VALU_DEP_3) | instskip(NEXT) | instid1(VALU_DEP_3)
	v_cmp_ne_u32_e64 s2, 0, v35
	v_add_co_u32 v1, vcc_lo, v1, v64
	s_wait_alu 0xfffd
	s_delay_alu instid0(VALU_DEP_3)
	v_add_co_ci_u32_e64 v3, null, 0, v3, vcc_lo
	s_cmp_lg_u32 ttmp9, 0
	v_add_co_u32 v1, vcc_lo, v1, v59
	s_wait_alu 0xfffd
	v_add_co_ci_u32_e64 v3, null, 0, v3, vcc_lo
	s_mov_b32 s3, -1
	v_add_co_u32 v1, vcc_lo, v1, v52
	s_wait_alu 0xfffd
	v_add_co_ci_u32_e64 v3, null, 0, v3, vcc_lo
	s_delay_alu instid0(VALU_DEP_2) | instskip(SKIP_1) | instid1(VALU_DEP_2)
	v_add_co_u32 v17, vcc_lo, v1, v4
	s_wait_alu 0xfffd
	v_add_co_ci_u32_e64 v18, null, 0, v3, vcc_lo
	s_cbranch_scc0 .LBB762_103
; %bb.45:
	v_mov_b32_e32 v3, v17
	v_mov_b32_dpp v1, v17 row_shr:1 row_mask:0xf bank_mask:0xf
	v_mov_b32_dpp v6, v2 row_shr:1 row_mask:0xf bank_mask:0xf
	v_dual_mov_b32 v5, v17 :: v_dual_mov_b32 v4, v18
	s_and_saveexec_b32 s3, s2
; %bb.46:
	s_delay_alu instid0(VALU_DEP_3) | instskip(SKIP_2) | instid1(VALU_DEP_2)
	v_add_co_u32 v5, vcc_lo, v17, v1
	s_wait_alu 0xfffd
	v_add_co_ci_u32_e64 v2, null, 0, v18, vcc_lo
	v_add_co_u32 v1, vcc_lo, 0, v5
	s_wait_alu 0xfffd
	s_delay_alu instid0(VALU_DEP_2) | instskip(NEXT) | instid1(VALU_DEP_1)
	v_add_co_ci_u32_e64 v2, null, v6, v2, vcc_lo
	v_dual_mov_b32 v4, v2 :: v_dual_mov_b32 v3, v1
; %bb.47:
	s_wait_alu 0xfffe
	s_or_b32 exec_lo, exec_lo, s3
	v_mov_b32_dpp v1, v5 row_shr:2 row_mask:0xf bank_mask:0xf
	v_mov_b32_dpp v6, v2 row_shr:2 row_mask:0xf bank_mask:0xf
	v_cmp_lt_u32_e32 vcc_lo, 1, v35
	s_and_saveexec_b32 s4, vcc_lo
; %bb.48:
	s_delay_alu instid0(VALU_DEP_3) | instskip(SKIP_2) | instid1(VALU_DEP_2)
	v_add_co_u32 v5, s3, v3, v1
	s_wait_alu 0xf1ff
	v_add_co_ci_u32_e64 v2, null, 0, v4, s3
	v_add_co_u32 v1, s3, 0, v5
	s_wait_alu 0xf1ff
	s_delay_alu instid0(VALU_DEP_2) | instskip(NEXT) | instid1(VALU_DEP_1)
	v_add_co_ci_u32_e64 v2, null, v6, v2, s3
	v_dual_mov_b32 v4, v2 :: v_dual_mov_b32 v3, v1
; %bb.49:
	s_wait_alu 0xfffe
	s_or_b32 exec_lo, exec_lo, s4
	v_mov_b32_dpp v1, v5 row_shr:4 row_mask:0xf bank_mask:0xf
	v_mov_b32_dpp v6, v2 row_shr:4 row_mask:0xf bank_mask:0xf
	v_cmp_lt_u32_e64 s3, 3, v35
	s_and_saveexec_b32 s5, s3
; %bb.50:
	v_add_co_u32 v5, s4, v3, v1
	s_wait_alu 0xf1ff
	v_add_co_ci_u32_e64 v2, null, 0, v4, s4
	s_delay_alu instid0(VALU_DEP_2) | instskip(SKIP_1) | instid1(VALU_DEP_2)
	v_add_co_u32 v1, s4, 0, v5
	s_wait_alu 0xf1ff
	v_add_co_ci_u32_e64 v2, null, v6, v2, s4
	s_delay_alu instid0(VALU_DEP_1)
	v_dual_mov_b32 v4, v2 :: v_dual_mov_b32 v3, v1
; %bb.51:
	s_wait_alu 0xfffe
	s_or_b32 exec_lo, exec_lo, s5
	v_mov_b32_dpp v6, v5 row_shr:8 row_mask:0xf bank_mask:0xf
	v_mov_b32_dpp v1, v2 row_shr:8 row_mask:0xf bank_mask:0xf
	v_cmp_lt_u32_e64 s4, 7, v35
	s_and_saveexec_b32 s14, s4
; %bb.52:
	v_add_co_u32 v5, s5, v3, v6
	s_wait_alu 0xf1ff
	v_add_co_ci_u32_e64 v2, null, 0, v4, s5
	s_delay_alu instid0(VALU_DEP_2) | instskip(SKIP_1) | instid1(VALU_DEP_2)
	v_add_co_u32 v3, s5, 0, v5
	s_wait_alu 0xf1ff
	v_add_co_ci_u32_e64 v4, null, v1, v2, s5
	s_delay_alu instid0(VALU_DEP_1)
	v_mov_b32_e32 v2, v4
; %bb.53:
	s_or_b32 exec_lo, exec_lo, s14
	ds_swizzle_b32 v1, v5 offset:swizzle(BROADCAST,32,15)
	ds_swizzle_b32 v6, v2 offset:swizzle(BROADCAST,32,15)
	v_and_b32_e32 v7, 16, v34
	s_mov_b32 s14, exec_lo
	s_delay_alu instid0(VALU_DEP_1)
	v_cmpx_ne_u32_e32 0, v7
	s_cbranch_execz .LBB762_55
; %bb.54:
	s_wait_dscnt 0x1
	v_add_co_u32 v5, s5, v3, v1
	s_wait_alu 0xf1ff
	v_add_co_ci_u32_e64 v2, null, 0, v4, s5
	s_delay_alu instid0(VALU_DEP_2) | instskip(SKIP_2) | instid1(VALU_DEP_2)
	v_add_co_u32 v1, s5, 0, v5
	s_wait_dscnt 0x0
	s_wait_alu 0xf1ff
	v_add_co_ci_u32_e64 v2, null, v6, v2, s5
	s_delay_alu instid0(VALU_DEP_1)
	v_dual_mov_b32 v4, v2 :: v_dual_mov_b32 v3, v1
.LBB762_55:
	s_or_b32 exec_lo, exec_lo, s14
	s_wait_dscnt 0x1
	v_and_b32_e32 v1, 0x1e0, v0
	s_mov_b32 s14, exec_lo
	s_delay_alu instid0(VALU_DEP_1) | instskip(SKIP_1) | instid1(VALU_DEP_1)
	v_min_u32_e32 v1, 0x160, v1
	s_wait_dscnt 0x0
	v_or_b32_e32 v6, 31, v1
	v_lshrrev_b32_e32 v1, 5, v0
	s_delay_alu instid0(VALU_DEP_2)
	v_cmpx_eq_u32_e64 v0, v6
; %bb.56:
	s_delay_alu instid0(VALU_DEP_2)
	v_lshlrev_b32_e32 v6, 3, v1
	ds_store_b64 v6, v[3:4]
; %bb.57:
	s_or_b32 exec_lo, exec_lo, s14
	s_delay_alu instid0(SALU_CYCLE_1)
	s_mov_b32 s14, exec_lo
	s_wait_loadcnt_dscnt 0x0
	s_barrier_signal -1
	s_barrier_wait -1
	global_inv scope:SCOPE_SE
	v_cmpx_gt_u32_e32 12, v0
	s_cbranch_execz .LBB762_67
; %bb.58:
	v_lshlrev_b32_e32 v6, 3, v0
	ds_load_b64 v[3:4], v6
	s_wait_dscnt 0x0
	v_mov_b32_dpp v19, v3 row_shr:1 row_mask:0xf bank_mask:0xf
	v_mov_b32_dpp v8, v4 row_shr:1 row_mask:0xf bank_mask:0xf
	v_mov_b32_e32 v7, v3
	s_and_saveexec_b32 s15, s2
; %bb.59:
	s_delay_alu instid0(VALU_DEP_3) | instskip(SKIP_2) | instid1(VALU_DEP_2)
	v_add_co_u32 v7, s5, v3, v19
	s_wait_alu 0xf1ff
	v_add_co_ci_u32_e64 v4, null, 0, v4, s5
	v_add_co_u32 v3, s5, 0, v7
	s_wait_alu 0xf1ff
	s_delay_alu instid0(VALU_DEP_2)
	v_add_co_ci_u32_e64 v4, null, v8, v4, s5
; %bb.60:
	s_or_b32 exec_lo, exec_lo, s15
	v_mov_b32_dpp v19, v7 row_shr:2 row_mask:0xf bank_mask:0xf
	s_delay_alu instid0(VALU_DEP_2)
	v_mov_b32_dpp v8, v4 row_shr:2 row_mask:0xf bank_mask:0xf
	s_and_saveexec_b32 s5, vcc_lo
; %bb.61:
	s_delay_alu instid0(VALU_DEP_2) | instskip(SKIP_2) | instid1(VALU_DEP_2)
	v_add_co_u32 v7, vcc_lo, v3, v19
	s_wait_alu 0xfffd
	v_add_co_ci_u32_e64 v4, null, 0, v4, vcc_lo
	v_add_co_u32 v3, vcc_lo, 0, v7
	s_wait_alu 0xfffd
	s_delay_alu instid0(VALU_DEP_2)
	v_add_co_ci_u32_e64 v4, null, v8, v4, vcc_lo
; %bb.62:
	s_wait_alu 0xfffe
	s_or_b32 exec_lo, exec_lo, s5
	v_mov_b32_dpp v19, v7 row_shr:4 row_mask:0xf bank_mask:0xf
	s_delay_alu instid0(VALU_DEP_2)
	v_mov_b32_dpp v8, v4 row_shr:4 row_mask:0xf bank_mask:0xf
	s_and_saveexec_b32 s5, s3
; %bb.63:
	s_delay_alu instid0(VALU_DEP_2) | instskip(SKIP_2) | instid1(VALU_DEP_2)
	v_add_co_u32 v7, vcc_lo, v3, v19
	s_wait_alu 0xfffd
	v_add_co_ci_u32_e64 v4, null, 0, v4, vcc_lo
	v_add_co_u32 v3, vcc_lo, 0, v7
	s_wait_alu 0xfffd
	s_delay_alu instid0(VALU_DEP_2)
	v_add_co_ci_u32_e64 v4, null, v8, v4, vcc_lo
; %bb.64:
	s_wait_alu 0xfffe
	s_or_b32 exec_lo, exec_lo, s5
	v_mov_b32_dpp v8, v7 row_shr:8 row_mask:0xf bank_mask:0xf
	s_delay_alu instid0(VALU_DEP_2)
	v_mov_b32_dpp v7, v4 row_shr:8 row_mask:0xf bank_mask:0xf
	s_and_saveexec_b32 s3, s4
; %bb.65:
	s_delay_alu instid0(VALU_DEP_2) | instskip(SKIP_2) | instid1(VALU_DEP_2)
	v_add_co_u32 v3, vcc_lo, v3, v8
	s_wait_alu 0xfffd
	v_add_co_ci_u32_e64 v4, null, 0, v4, vcc_lo
	v_add_co_u32 v3, vcc_lo, v3, 0
	s_wait_alu 0xfffd
	s_delay_alu instid0(VALU_DEP_2)
	v_add_co_ci_u32_e64 v4, null, v4, v7, vcc_lo
; %bb.66:
	s_wait_alu 0xfffe
	s_or_b32 exec_lo, exec_lo, s3
	ds_store_b64 v6, v[3:4]
.LBB762_67:
	s_or_b32 exec_lo, exec_lo, s14
	s_delay_alu instid0(SALU_CYCLE_1)
	s_mov_b32 s4, exec_lo
	v_cmp_gt_u32_e32 vcc_lo, 32, v0
	s_wait_loadcnt_dscnt 0x0
	s_barrier_signal -1
	s_barrier_wait -1
	global_inv scope:SCOPE_SE
                                        ; implicit-def: $vgpr19_vgpr20
	v_cmpx_lt_u32_e32 31, v0
	s_cbranch_execz .LBB762_69
; %bb.68:
	v_lshl_add_u32 v1, v1, 3, -8
	ds_load_b64 v[19:20], v1
	s_wait_dscnt 0x0
	v_add_co_u32 v5, s3, v5, v19
	s_wait_alu 0xf1ff
	v_add_co_ci_u32_e64 v2, null, v2, v20, s3
.LBB762_69:
	s_wait_alu 0xfffe
	s_or_b32 exec_lo, exec_lo, s4
	v_sub_co_u32 v1, s3, v34, 1
	s_delay_alu instid0(VALU_DEP_1) | instskip(SKIP_1) | instid1(VALU_DEP_1)
	v_cmp_gt_i32_e64 s4, 0, v1
	s_wait_alu 0xf1ff
	v_cndmask_b32_e64 v1, v1, v34, s4
	s_delay_alu instid0(VALU_DEP_1)
	v_lshlrev_b32_e32 v1, 2, v1
	ds_bpermute_b32 v36, v1, v5
	ds_bpermute_b32 v37, v1, v2
	s_and_saveexec_b32 s4, vcc_lo
	s_cbranch_execz .LBB762_108
; %bb.70:
	v_mov_b32_e32 v4, 0
	ds_load_b64 v[1:2], v4 offset:88
	s_and_saveexec_b32 s5, s3
	s_cbranch_execz .LBB762_72
; %bb.71:
	s_add_co_i32 s14, ttmp9, 32
	s_mov_b32 s15, 0
	s_delay_alu instid0(SALU_CYCLE_1)
	s_lshl_b64 s[14:15], s[14:15], 4
	s_wait_kmcnt 0x0
	s_add_nc_u64 s[14:15], s[10:11], s[14:15]
	v_mov_b32_e32 v3, 1
	v_dual_mov_b32 v5, s14 :: v_dual_mov_b32 v6, s15
	s_wait_dscnt 0x0
	;;#ASMSTART
	global_store_b128 v[5:6], v[1:4] off scope:SCOPE_DEV	
s_wait_storecnt 0x0
	;;#ASMEND
.LBB762_72:
	s_wait_alu 0xfffe
	s_or_b32 exec_lo, exec_lo, s5
	v_xad_u32 v21, v34, -1, ttmp9
	s_mov_b32 s14, 0
	s_mov_b32 s5, exec_lo
	s_delay_alu instid0(VALU_DEP_1) | instskip(NEXT) | instid1(VALU_DEP_1)
	v_add_nc_u32_e32 v3, 32, v21
	v_lshlrev_b64_e32 v[3:4], 4, v[3:4]
	s_wait_kmcnt 0x0
	s_delay_alu instid0(VALU_DEP_1) | instskip(SKIP_1) | instid1(VALU_DEP_2)
	v_add_co_u32 v3, vcc_lo, s10, v3
	s_wait_alu 0xfffd
	v_add_co_ci_u32_e64 v4, null, s11, v4, vcc_lo
	;;#ASMSTART
	global_load_b128 v[5:8], v[3:4] off scope:SCOPE_DEV	
s_wait_loadcnt 0x0
	;;#ASMEND
	v_and_b32_e32 v8, 0xff, v7
	s_delay_alu instid0(VALU_DEP_1)
	v_cmpx_eq_u16_e32 0, v8
	s_cbranch_execz .LBB762_75
.LBB762_73:                             ; =>This Inner Loop Header: Depth=1
	;;#ASMSTART
	global_load_b128 v[5:8], v[3:4] off scope:SCOPE_DEV	
s_wait_loadcnt 0x0
	;;#ASMEND
	v_and_b32_e32 v8, 0xff, v7
	s_delay_alu instid0(VALU_DEP_1)
	v_cmp_ne_u16_e32 vcc_lo, 0, v8
	s_wait_alu 0xfffe
	s_or_b32 s14, vcc_lo, s14
	s_wait_alu 0xfffe
	s_and_not1_b32 exec_lo, exec_lo, s14
	s_cbranch_execnz .LBB762_73
; %bb.74:
	s_or_b32 exec_lo, exec_lo, s14
.LBB762_75:
	s_wait_alu 0xfffe
	s_or_b32 exec_lo, exec_lo, s5
	v_cmp_ne_u32_e32 vcc_lo, 31, v34
	v_and_b32_e32 v4, 0xff, v7
	v_lshlrev_b32_e64 v39, v34, -1
	s_mov_b32 s5, exec_lo
	s_wait_alu 0xfffd
	v_add_co_ci_u32_e64 v3, null, 0, v34, vcc_lo
	v_cmp_eq_u16_e32 vcc_lo, 2, v4
	v_mov_b32_e32 v4, v5
	s_delay_alu instid0(VALU_DEP_3)
	v_lshlrev_b32_e32 v38, 2, v3
	s_wait_alu 0xfffd
	v_and_or_b32 v3, vcc_lo, v39, 0x80000000
	ds_bpermute_b32 v22, v38, v5
	ds_bpermute_b32 v8, v38, v6
	v_ctz_i32_b32_e32 v3, v3
	s_delay_alu instid0(VALU_DEP_1)
	v_cmpx_lt_u32_e64 v34, v3
	s_cbranch_execz .LBB762_77
; %bb.76:
	s_wait_dscnt 0x1
	v_add_co_u32 v4, vcc_lo, v5, v22
	s_wait_alu 0xfffd
	v_add_co_ci_u32_e64 v6, null, 0, v6, vcc_lo
	s_delay_alu instid0(VALU_DEP_2) | instskip(SKIP_2) | instid1(VALU_DEP_2)
	v_add_co_u32 v5, vcc_lo, 0, v4
	s_wait_dscnt 0x0
	s_wait_alu 0xfffd
	v_add_co_ci_u32_e64 v6, null, v8, v6, vcc_lo
.LBB762_77:
	s_wait_alu 0xfffe
	s_or_b32 exec_lo, exec_lo, s5
	v_cmp_gt_u32_e32 vcc_lo, 30, v34
	v_add_nc_u32_e32 v41, 2, v34
	s_mov_b32 s5, exec_lo
	s_wait_dscnt 0x0
	s_wait_alu 0xfffd
	v_cndmask_b32_e64 v8, 0, 2, vcc_lo
	s_delay_alu instid0(VALU_DEP_1)
	v_add_lshl_u32 v40, v8, v34, 2
	ds_bpermute_b32 v22, v40, v4
	ds_bpermute_b32 v8, v40, v6
	v_cmpx_le_u32_e64 v41, v3
	s_cbranch_execz .LBB762_79
; %bb.78:
	s_wait_dscnt 0x1
	v_add_co_u32 v4, vcc_lo, v5, v22
	s_wait_alu 0xfffd
	v_add_co_ci_u32_e64 v6, null, 0, v6, vcc_lo
	s_delay_alu instid0(VALU_DEP_2) | instskip(SKIP_2) | instid1(VALU_DEP_2)
	v_add_co_u32 v5, vcc_lo, 0, v4
	s_wait_dscnt 0x0
	s_wait_alu 0xfffd
	v_add_co_ci_u32_e64 v6, null, v8, v6, vcc_lo
.LBB762_79:
	s_wait_alu 0xfffe
	s_or_b32 exec_lo, exec_lo, s5
	v_cmp_gt_u32_e32 vcc_lo, 28, v34
	v_add_nc_u32_e32 v43, 4, v34
	s_mov_b32 s5, exec_lo
	s_wait_dscnt 0x0
	s_wait_alu 0xfffd
	v_cndmask_b32_e64 v8, 0, 4, vcc_lo
	s_delay_alu instid0(VALU_DEP_1)
	v_add_lshl_u32 v42, v8, v34, 2
	ds_bpermute_b32 v22, v42, v4
	ds_bpermute_b32 v8, v42, v6
	v_cmpx_le_u32_e64 v43, v3
	;; [unrolled: 25-line block ×3, first 2 shown]
	s_cbranch_execz .LBB762_83
; %bb.82:
	s_wait_dscnt 0x1
	v_add_co_u32 v4, vcc_lo, v5, v22
	s_wait_alu 0xfffd
	v_add_co_ci_u32_e64 v6, null, 0, v6, vcc_lo
	s_delay_alu instid0(VALU_DEP_2) | instskip(SKIP_2) | instid1(VALU_DEP_2)
	v_add_co_u32 v5, vcc_lo, 0, v4
	s_wait_dscnt 0x0
	s_wait_alu 0xfffd
	v_add_co_ci_u32_e64 v6, null, v8, v6, vcc_lo
.LBB762_83:
	s_wait_alu 0xfffe
	s_or_b32 exec_lo, exec_lo, s5
	v_lshl_or_b32 v46, v34, 2, 64
	v_add_nc_u32_e32 v47, 16, v34
	s_mov_b32 s5, exec_lo
	s_wait_dscnt 0x0
	ds_bpermute_b32 v8, v46, v4
	ds_bpermute_b32 v4, v46, v6
	v_cmpx_le_u32_e64 v47, v3
	s_cbranch_execz .LBB762_85
; %bb.84:
	s_wait_dscnt 0x1
	v_add_co_u32 v3, vcc_lo, v5, v8
	s_wait_alu 0xfffd
	v_add_co_ci_u32_e64 v6, null, 0, v6, vcc_lo
	s_delay_alu instid0(VALU_DEP_2) | instskip(SKIP_2) | instid1(VALU_DEP_2)
	v_add_co_u32 v5, vcc_lo, v3, 0
	s_wait_dscnt 0x0
	s_wait_alu 0xfffd
	v_add_co_ci_u32_e64 v6, null, v6, v4, vcc_lo
.LBB762_85:
	s_wait_alu 0xfffe
	s_or_b32 exec_lo, exec_lo, s5
	v_mov_b32_e32 v22, 0
	s_branch .LBB762_88
.LBB762_86:                             ;   in Loop: Header=BB762_88 Depth=1
	s_wait_alu 0xfffe
	s_or_b32 exec_lo, exec_lo, s5
	v_add_co_u32 v5, vcc_lo, v5, v3
	v_subrev_nc_u32_e32 v21, 32, v21
	s_wait_alu 0xfffd
	v_add_co_ci_u32_e64 v6, null, v6, v4, vcc_lo
	s_mov_b32 s5, 0
.LBB762_87:                             ;   in Loop: Header=BB762_88 Depth=1
	s_wait_alu 0xfffe
	s_and_b32 vcc_lo, exec_lo, s5
	s_wait_alu 0xfffe
	s_cbranch_vccnz .LBB762_104
.LBB762_88:                             ; =>This Loop Header: Depth=1
                                        ;     Child Loop BB762_91 Depth 2
	v_and_b32_e32 v3, 0xff, v7
	s_mov_b32 s5, -1
	s_delay_alu instid0(VALU_DEP_1)
	v_cmp_ne_u16_e32 vcc_lo, 2, v3
	s_wait_dscnt 0x0
	v_dual_mov_b32 v3, v5 :: v_dual_mov_b32 v4, v6
                                        ; implicit-def: $vgpr5_vgpr6
	s_cmp_lg_u32 vcc_lo, exec_lo
	s_cbranch_scc1 .LBB762_87
; %bb.89:                               ;   in Loop: Header=BB762_88 Depth=1
	v_lshlrev_b64_e32 v[5:6], 4, v[21:22]
	s_mov_b32 s5, exec_lo
	s_delay_alu instid0(VALU_DEP_1) | instskip(SKIP_1) | instid1(VALU_DEP_2)
	v_add_co_u32 v23, vcc_lo, s10, v5
	s_wait_alu 0xfffd
	v_add_co_ci_u32_e64 v24, null, s11, v6, vcc_lo
	;;#ASMSTART
	global_load_b128 v[5:8], v[23:24] off scope:SCOPE_DEV	
s_wait_loadcnt 0x0
	;;#ASMEND
	v_and_b32_e32 v8, 0xff, v7
	s_delay_alu instid0(VALU_DEP_1)
	v_cmpx_eq_u16_e32 0, v8
	s_cbranch_execz .LBB762_93
; %bb.90:                               ;   in Loop: Header=BB762_88 Depth=1
	s_mov_b32 s14, 0
.LBB762_91:                             ;   Parent Loop BB762_88 Depth=1
                                        ; =>  This Inner Loop Header: Depth=2
	;;#ASMSTART
	global_load_b128 v[5:8], v[23:24] off scope:SCOPE_DEV	
s_wait_loadcnt 0x0
	;;#ASMEND
	v_and_b32_e32 v8, 0xff, v7
	s_delay_alu instid0(VALU_DEP_1)
	v_cmp_ne_u16_e32 vcc_lo, 0, v8
	s_wait_alu 0xfffe
	s_or_b32 s14, vcc_lo, s14
	s_wait_alu 0xfffe
	s_and_not1_b32 exec_lo, exec_lo, s14
	s_cbranch_execnz .LBB762_91
; %bb.92:                               ;   in Loop: Header=BB762_88 Depth=1
	s_or_b32 exec_lo, exec_lo, s14
.LBB762_93:                             ;   in Loop: Header=BB762_88 Depth=1
	s_wait_alu 0xfffe
	s_or_b32 exec_lo, exec_lo, s5
	v_dual_mov_b32 v23, v5 :: v_dual_and_b32 v8, 0xff, v7
	ds_bpermute_b32 v48, v38, v5
	ds_bpermute_b32 v24, v38, v6
	s_mov_b32 s5, exec_lo
	v_cmp_eq_u16_e32 vcc_lo, 2, v8
	s_wait_alu 0xfffd
	v_and_or_b32 v8, vcc_lo, v39, 0x80000000
	s_delay_alu instid0(VALU_DEP_1) | instskip(NEXT) | instid1(VALU_DEP_1)
	v_ctz_i32_b32_e32 v8, v8
	v_cmpx_lt_u32_e64 v34, v8
	s_cbranch_execz .LBB762_95
; %bb.94:                               ;   in Loop: Header=BB762_88 Depth=1
	s_wait_dscnt 0x1
	v_add_co_u32 v23, vcc_lo, v5, v48
	s_wait_alu 0xfffd
	v_add_co_ci_u32_e64 v6, null, 0, v6, vcc_lo
	s_delay_alu instid0(VALU_DEP_2) | instskip(SKIP_2) | instid1(VALU_DEP_2)
	v_add_co_u32 v5, vcc_lo, 0, v23
	s_wait_dscnt 0x0
	s_wait_alu 0xfffd
	v_add_co_ci_u32_e64 v6, null, v24, v6, vcc_lo
.LBB762_95:                             ;   in Loop: Header=BB762_88 Depth=1
	s_wait_alu 0xfffe
	s_or_b32 exec_lo, exec_lo, s5
	s_wait_dscnt 0x1
	ds_bpermute_b32 v48, v40, v23
	s_wait_dscnt 0x1
	ds_bpermute_b32 v24, v40, v6
	s_mov_b32 s5, exec_lo
	v_cmpx_le_u32_e64 v41, v8
	s_cbranch_execz .LBB762_97
; %bb.96:                               ;   in Loop: Header=BB762_88 Depth=1
	s_wait_dscnt 0x1
	v_add_co_u32 v23, vcc_lo, v5, v48
	s_wait_alu 0xfffd
	v_add_co_ci_u32_e64 v6, null, 0, v6, vcc_lo
	s_delay_alu instid0(VALU_DEP_2) | instskip(SKIP_2) | instid1(VALU_DEP_2)
	v_add_co_u32 v5, vcc_lo, 0, v23
	s_wait_dscnt 0x0
	s_wait_alu 0xfffd
	v_add_co_ci_u32_e64 v6, null, v24, v6, vcc_lo
.LBB762_97:                             ;   in Loop: Header=BB762_88 Depth=1
	s_wait_alu 0xfffe
	s_or_b32 exec_lo, exec_lo, s5
	s_wait_dscnt 0x1
	ds_bpermute_b32 v48, v42, v23
	s_wait_dscnt 0x1
	ds_bpermute_b32 v24, v42, v6
	s_mov_b32 s5, exec_lo
	v_cmpx_le_u32_e64 v43, v8
	;; [unrolled: 20-line block ×3, first 2 shown]
	s_cbranch_execz .LBB762_101
; %bb.100:                              ;   in Loop: Header=BB762_88 Depth=1
	s_wait_dscnt 0x1
	v_add_co_u32 v23, vcc_lo, v5, v48
	s_wait_alu 0xfffd
	v_add_co_ci_u32_e64 v6, null, 0, v6, vcc_lo
	s_delay_alu instid0(VALU_DEP_2) | instskip(SKIP_2) | instid1(VALU_DEP_2)
	v_add_co_u32 v5, vcc_lo, 0, v23
	s_wait_dscnt 0x0
	s_wait_alu 0xfffd
	v_add_co_ci_u32_e64 v6, null, v24, v6, vcc_lo
.LBB762_101:                            ;   in Loop: Header=BB762_88 Depth=1
	s_wait_alu 0xfffe
	s_or_b32 exec_lo, exec_lo, s5
	s_wait_dscnt 0x0
	ds_bpermute_b32 v24, v46, v23
	ds_bpermute_b32 v23, v46, v6
	s_mov_b32 s5, exec_lo
	v_cmpx_le_u32_e64 v47, v8
	s_cbranch_execz .LBB762_86
; %bb.102:                              ;   in Loop: Header=BB762_88 Depth=1
	s_wait_dscnt 0x1
	v_add_co_u32 v5, vcc_lo, v5, v24
	s_wait_alu 0xfffd
	v_add_co_ci_u32_e64 v6, null, 0, v6, vcc_lo
	s_delay_alu instid0(VALU_DEP_2) | instskip(SKIP_2) | instid1(VALU_DEP_2)
	v_add_co_u32 v5, vcc_lo, v5, 0
	s_wait_dscnt 0x0
	s_wait_alu 0xfffd
	v_add_co_ci_u32_e64 v6, null, v6, v23, vcc_lo
	s_branch .LBB762_86
.LBB762_103:
                                        ; implicit-def: $vgpr4_vgpr5
                                        ; implicit-def: $vgpr39_vgpr40
	s_wait_alu 0xfffe
	s_and_b32 vcc_lo, exec_lo, s3
	s_wait_alu 0xfffe
	s_cbranch_vccnz .LBB762_109
	s_branch .LBB762_136
.LBB762_104:
	s_and_saveexec_b32 s5, s3
	s_cbranch_execz .LBB762_106
; %bb.105:
	s_add_co_i32 s14, ttmp9, 32
	s_mov_b32 s15, 0
	v_add_co_u32 v5, vcc_lo, v3, v1
	s_wait_alu 0xfffe
	s_lshl_b64 s[14:15], s[14:15], 4
	v_dual_mov_b32 v7, 2 :: v_dual_mov_b32 v8, 0
	s_wait_alu 0xfffe
	s_add_nc_u64 s[14:15], s[10:11], s[14:15]
	s_wait_alu 0xfffd
	v_add_co_ci_u32_e64 v6, null, v4, v2, vcc_lo
	s_wait_alu 0xfffe
	v_dual_mov_b32 v22, s15 :: v_dual_mov_b32 v21, s14
	;;#ASMSTART
	global_store_b128 v[21:22], v[5:8] off scope:SCOPE_DEV	
s_wait_storecnt 0x0
	;;#ASMEND
	ds_store_b128 v8, v[1:4] offset:13824
.LBB762_106:
	s_wait_alu 0xfffe
	s_or_b32 exec_lo, exec_lo, s5
	v_cmp_eq_u32_e32 vcc_lo, 0, v0
	s_and_b32 exec_lo, exec_lo, vcc_lo
; %bb.107:
	v_mov_b32_e32 v1, 0
	ds_store_b64 v1, v[3:4] offset:88
.LBB762_108:
	s_wait_alu 0xfffe
	s_or_b32 exec_lo, exec_lo, s4
	s_wait_dscnt 0x0
	v_cndmask_b32_e64 v8, v37, v20, s3
	v_cmp_ne_u32_e32 vcc_lo, 0, v0
	v_mov_b32_e32 v1, 0
	s_wait_loadcnt 0x0
	s_barrier_signal -1
	s_barrier_wait -1
	global_inv scope:SCOPE_SE
	s_wait_alu 0xfffd
	v_cndmask_b32_e32 v8, 0, v8, vcc_lo
	ds_load_b64 v[6:7], v1 offset:88
	s_wait_loadcnt_dscnt 0x0
	s_barrier_signal -1
	s_barrier_wait -1
	global_inv scope:SCOPE_SE
	ds_load_b128 v[2:5], v1 offset:13824
	v_cndmask_b32_e64 v1, v36, v19, s3
	s_delay_alu instid0(VALU_DEP_1) | instskip(NEXT) | instid1(VALU_DEP_1)
	v_cndmask_b32_e32 v1, 0, v1, vcc_lo
	v_add_co_u32 v39, vcc_lo, v6, v1
	s_wait_alu 0xfffd
	v_add_co_ci_u32_e64 v40, null, v7, v8, vcc_lo
	s_branch .LBB762_136
.LBB762_109:
	s_wait_dscnt 0x0
	v_dual_mov_b32 v2, 0 :: v_dual_mov_b32 v3, v17
	v_mov_b32_dpp v4, v17 row_shr:1 row_mask:0xf bank_mask:0xf
	s_delay_alu instid0(VALU_DEP_2)
	v_mov_b32_dpp v1, v2 row_shr:1 row_mask:0xf bank_mask:0xf
	s_and_saveexec_b32 s3, s2
; %bb.110:
	s_delay_alu instid0(VALU_DEP_2) | instskip(SKIP_2) | instid1(VALU_DEP_2)
	v_add_co_u32 v3, vcc_lo, v17, v4
	s_wait_alu 0xfffd
	v_add_co_ci_u32_e64 v2, null, 0, v18, vcc_lo
	v_add_co_u32 v17, vcc_lo, 0, v3
	s_wait_alu 0xfffd
	s_delay_alu instid0(VALU_DEP_2) | instskip(NEXT) | instid1(VALU_DEP_1)
	v_add_co_ci_u32_e64 v18, null, v1, v2, vcc_lo
	v_mov_b32_e32 v2, v18
; %bb.111:
	s_wait_alu 0xfffe
	s_or_b32 exec_lo, exec_lo, s3
	v_mov_b32_dpp v1, v3 row_shr:2 row_mask:0xf bank_mask:0xf
	s_delay_alu instid0(VALU_DEP_2)
	v_mov_b32_dpp v4, v2 row_shr:2 row_mask:0xf bank_mask:0xf
	v_cmp_lt_u32_e32 vcc_lo, 1, v35
	s_and_saveexec_b32 s4, vcc_lo
; %bb.112:
	s_delay_alu instid0(VALU_DEP_3) | instskip(SKIP_2) | instid1(VALU_DEP_2)
	v_add_co_u32 v3, s3, v17, v1
	s_wait_alu 0xf1ff
	v_add_co_ci_u32_e64 v2, null, 0, v18, s3
	v_add_co_u32 v1, s3, 0, v3
	s_wait_alu 0xf1ff
	s_delay_alu instid0(VALU_DEP_2) | instskip(NEXT) | instid1(VALU_DEP_1)
	v_add_co_ci_u32_e64 v2, null, v4, v2, s3
	v_dual_mov_b32 v18, v2 :: v_dual_mov_b32 v17, v1
; %bb.113:
	s_wait_alu 0xfffe
	s_or_b32 exec_lo, exec_lo, s4
	v_mov_b32_dpp v1, v3 row_shr:4 row_mask:0xf bank_mask:0xf
	v_mov_b32_dpp v4, v2 row_shr:4 row_mask:0xf bank_mask:0xf
	v_cmp_lt_u32_e64 s3, 3, v35
	s_and_saveexec_b32 s5, s3
; %bb.114:
	v_add_co_u32 v3, s4, v17, v1
	s_wait_alu 0xf1ff
	v_add_co_ci_u32_e64 v2, null, 0, v18, s4
	s_delay_alu instid0(VALU_DEP_2) | instskip(SKIP_1) | instid1(VALU_DEP_2)
	v_add_co_u32 v1, s4, 0, v3
	s_wait_alu 0xf1ff
	v_add_co_ci_u32_e64 v2, null, v4, v2, s4
	s_delay_alu instid0(VALU_DEP_1)
	v_dual_mov_b32 v18, v2 :: v_dual_mov_b32 v17, v1
; %bb.115:
	s_wait_alu 0xfffe
	s_or_b32 exec_lo, exec_lo, s5
	v_mov_b32_dpp v4, v3 row_shr:8 row_mask:0xf bank_mask:0xf
	v_mov_b32_dpp v1, v2 row_shr:8 row_mask:0xf bank_mask:0xf
	v_cmp_lt_u32_e64 s4, 7, v35
	s_and_saveexec_b32 s14, s4
; %bb.116:
	v_add_co_u32 v3, s5, v17, v4
	s_wait_alu 0xf1ff
	v_add_co_ci_u32_e64 v2, null, 0, v18, s5
	s_delay_alu instid0(VALU_DEP_2) | instskip(SKIP_1) | instid1(VALU_DEP_2)
	v_add_co_u32 v17, s5, 0, v3
	s_wait_alu 0xf1ff
	v_add_co_ci_u32_e64 v18, null, v1, v2, s5
	s_delay_alu instid0(VALU_DEP_1)
	v_mov_b32_e32 v2, v18
; %bb.117:
	s_or_b32 exec_lo, exec_lo, s14
	ds_swizzle_b32 v3, v3 offset:swizzle(BROADCAST,32,15)
	ds_swizzle_b32 v1, v2 offset:swizzle(BROADCAST,32,15)
	v_and_b32_e32 v2, 16, v34
	s_mov_b32 s14, exec_lo
	s_delay_alu instid0(VALU_DEP_1)
	v_cmpx_ne_u32_e32 0, v2
	s_cbranch_execz .LBB762_119
; %bb.118:
	s_wait_dscnt 0x1
	v_add_co_u32 v2, s5, v17, v3
	s_wait_alu 0xf1ff
	v_add_co_ci_u32_e64 v3, null, 0, v18, s5
	s_delay_alu instid0(VALU_DEP_2) | instskip(SKIP_2) | instid1(VALU_DEP_2)
	v_add_co_u32 v17, s5, v2, 0
	s_wait_dscnt 0x0
	s_wait_alu 0xf1ff
	v_add_co_ci_u32_e64 v18, null, v3, v1, s5
.LBB762_119:
	s_or_b32 exec_lo, exec_lo, s14
	s_wait_dscnt 0x0
	v_and_b32_e32 v1, 0x1e0, v0
	v_lshrrev_b32_e32 v3, 5, v0
	s_mov_b32 s14, exec_lo
	s_delay_alu instid0(VALU_DEP_2) | instskip(NEXT) | instid1(VALU_DEP_1)
	v_min_u32_e32 v1, 0x160, v1
	v_or_b32_e32 v1, 31, v1
	s_delay_alu instid0(VALU_DEP_1)
	v_cmpx_eq_u32_e64 v0, v1
; %bb.120:
	v_lshlrev_b32_e32 v1, 3, v3
	ds_store_b64 v1, v[17:18]
; %bb.121:
	s_or_b32 exec_lo, exec_lo, s14
	s_delay_alu instid0(SALU_CYCLE_1)
	s_mov_b32 s14, exec_lo
	s_wait_loadcnt_dscnt 0x0
	s_barrier_signal -1
	s_barrier_wait -1
	global_inv scope:SCOPE_SE
	v_cmpx_gt_u32_e32 12, v0
	s_cbranch_execz .LBB762_131
; %bb.122:
	v_lshlrev_b32_e32 v4, 3, v0
	ds_load_b64 v[1:2], v4
	s_wait_dscnt 0x0
	v_mov_b32_dpp v7, v1 row_shr:1 row_mask:0xf bank_mask:0xf
	v_mov_b32_dpp v6, v2 row_shr:1 row_mask:0xf bank_mask:0xf
	v_mov_b32_e32 v5, v1
	s_and_saveexec_b32 s5, s2
; %bb.123:
	s_delay_alu instid0(VALU_DEP_3) | instskip(SKIP_2) | instid1(VALU_DEP_2)
	v_add_co_u32 v5, s2, v1, v7
	s_wait_alu 0xf1ff
	v_add_co_ci_u32_e64 v2, null, 0, v2, s2
	v_add_co_u32 v1, s2, 0, v5
	s_wait_alu 0xf1ff
	s_delay_alu instid0(VALU_DEP_2)
	v_add_co_ci_u32_e64 v2, null, v6, v2, s2
; %bb.124:
	s_wait_alu 0xfffe
	s_or_b32 exec_lo, exec_lo, s5
	v_mov_b32_dpp v7, v5 row_shr:2 row_mask:0xf bank_mask:0xf
	s_delay_alu instid0(VALU_DEP_2)
	v_mov_b32_dpp v6, v2 row_shr:2 row_mask:0xf bank_mask:0xf
	s_and_saveexec_b32 s2, vcc_lo
; %bb.125:
	s_delay_alu instid0(VALU_DEP_2) | instskip(SKIP_2) | instid1(VALU_DEP_2)
	v_add_co_u32 v5, vcc_lo, v1, v7
	s_wait_alu 0xfffd
	v_add_co_ci_u32_e64 v2, null, 0, v2, vcc_lo
	v_add_co_u32 v1, vcc_lo, 0, v5
	s_wait_alu 0xfffd
	s_delay_alu instid0(VALU_DEP_2)
	v_add_co_ci_u32_e64 v2, null, v6, v2, vcc_lo
; %bb.126:
	s_wait_alu 0xfffe
	s_or_b32 exec_lo, exec_lo, s2
	v_mov_b32_dpp v7, v5 row_shr:4 row_mask:0xf bank_mask:0xf
	s_delay_alu instid0(VALU_DEP_2)
	v_mov_b32_dpp v6, v2 row_shr:4 row_mask:0xf bank_mask:0xf
	s_and_saveexec_b32 s2, s3
; %bb.127:
	s_delay_alu instid0(VALU_DEP_2) | instskip(SKIP_2) | instid1(VALU_DEP_2)
	v_add_co_u32 v5, vcc_lo, v1, v7
	s_wait_alu 0xfffd
	v_add_co_ci_u32_e64 v2, null, 0, v2, vcc_lo
	v_add_co_u32 v1, vcc_lo, 0, v5
	s_wait_alu 0xfffd
	s_delay_alu instid0(VALU_DEP_2)
	v_add_co_ci_u32_e64 v2, null, v6, v2, vcc_lo
; %bb.128:
	s_wait_alu 0xfffe
	s_or_b32 exec_lo, exec_lo, s2
	v_mov_b32_dpp v6, v5 row_shr:8 row_mask:0xf bank_mask:0xf
	s_delay_alu instid0(VALU_DEP_2)
	v_mov_b32_dpp v5, v2 row_shr:8 row_mask:0xf bank_mask:0xf
	s_and_saveexec_b32 s2, s4
; %bb.129:
	s_delay_alu instid0(VALU_DEP_2) | instskip(SKIP_2) | instid1(VALU_DEP_2)
	v_add_co_u32 v1, vcc_lo, v1, v6
	s_wait_alu 0xfffd
	v_add_co_ci_u32_e64 v2, null, 0, v2, vcc_lo
	v_add_co_u32 v1, vcc_lo, v1, 0
	s_wait_alu 0xfffd
	s_delay_alu instid0(VALU_DEP_2)
	v_add_co_ci_u32_e64 v2, null, v2, v5, vcc_lo
; %bb.130:
	s_wait_alu 0xfffe
	s_or_b32 exec_lo, exec_lo, s2
	ds_store_b64 v4, v[1:2]
.LBB762_131:
	s_or_b32 exec_lo, exec_lo, s14
	v_mov_b32_e32 v6, 0
	v_mov_b32_e32 v7, 0
	s_mov_b32 s2, exec_lo
	s_wait_loadcnt_dscnt 0x0
	s_barrier_signal -1
	s_barrier_wait -1
	global_inv scope:SCOPE_SE
	v_cmpx_lt_u32_e32 31, v0
; %bb.132:
	v_lshl_add_u32 v1, v3, 3, -8
	ds_load_b64 v[6:7], v1
; %bb.133:
	s_wait_alu 0xfffe
	s_or_b32 exec_lo, exec_lo, s2
	v_sub_co_u32 v1, vcc_lo, v34, 1
	v_mov_b32_e32 v5, 0
	s_delay_alu instid0(VALU_DEP_2) | instskip(SKIP_1) | instid1(VALU_DEP_1)
	v_cmp_gt_i32_e64 s2, 0, v1
	s_wait_alu 0xf1ff
	v_cndmask_b32_e64 v1, v1, v34, s2
	s_delay_alu instid0(VALU_DEP_1)
	v_lshlrev_b32_e32 v2, 2, v1
	s_wait_dscnt 0x0
	v_add_co_u32 v1, s2, v6, v17
	s_wait_alu 0xf1ff
	v_add_co_ci_u32_e64 v3, null, v7, v18, s2
	v_cmp_eq_u32_e64 s2, 0, v0
	ds_bpermute_b32 v1, v2, v1
	ds_bpermute_b32 v8, v2, v3
	ds_load_b64 v[2:3], v5 offset:88
	s_and_saveexec_b32 s3, s2
	s_cbranch_execz .LBB762_135
; %bb.134:
	s_wait_kmcnt 0x0
	s_add_nc_u64 s[4:5], s[10:11], 0x200
	v_mov_b32_e32 v4, 2
	s_wait_alu 0xfffe
	v_dual_mov_b32 v18, s5 :: v_dual_mov_b32 v17, s4
	s_wait_dscnt 0x0
	;;#ASMSTART
	global_store_b128 v[17:18], v[2:5] off scope:SCOPE_DEV	
s_wait_storecnt 0x0
	;;#ASMEND
.LBB762_135:
	s_wait_alu 0xfffe
	s_or_b32 exec_lo, exec_lo, s3
	s_wait_dscnt 0x1
	s_wait_alu 0xfffd
	v_dual_cndmask_b32 v7, v8, v7 :: v_dual_mov_b32 v4, 0
	v_cndmask_b32_e32 v1, v1, v6, vcc_lo
	v_mov_b32_e32 v5, 0
	s_wait_loadcnt_dscnt 0x0
	s_delay_alu instid0(VALU_DEP_3)
	v_cndmask_b32_e64 v40, v7, 0, s2
	s_barrier_signal -1
	v_cndmask_b32_e64 v39, v1, 0, s2
	s_barrier_wait -1
	global_inv scope:SCOPE_SE
.LBB762_136:
	s_delay_alu instid0(VALU_DEP_2) | instskip(SKIP_1) | instid1(VALU_DEP_2)
	v_add_co_u32 v49, vcc_lo, v39, v27
	s_wait_alu 0xfffd
	v_add_co_ci_u32_e64 v50, null, 0, v40, vcc_lo
	s_load_b64 s[2:3], s[0:1], 0x28
	v_add_co_u32 v47, vcc_lo, v49, v26
	s_wait_alu 0xfffd
	v_add_co_ci_u32_e64 v48, null, 0, v50, vcc_lo
	v_lshrrev_b32_e32 v69, 16, v60
	s_delay_alu instid0(VALU_DEP_3) | instskip(SKIP_1) | instid1(VALU_DEP_3)
	v_add_co_u32 v45, vcc_lo, v47, v25
	s_wait_alu 0xfffd
	v_add_co_ci_u32_e64 v46, null, 0, v48, vcc_lo
	v_lshrrev_b32_e32 v70, 8, v60
	s_delay_alu instid0(VALU_DEP_3) | instskip(SKIP_1) | instid1(VALU_DEP_3)
	;; [unrolled: 5-line block ×8, first 2 shown]
	v_add_co_u32 v29, vcc_lo, v31, v29
	s_wait_alu 0xfffd
	v_add_co_ci_u32_e64 v30, null, 0, v32, vcc_lo
	s_mov_b32 s1, -1
	v_add_co_u32 v27, vcc_lo, v29, v28
	s_wait_alu 0xfffd
	v_add_co_ci_u32_e64 v28, null, 0, v30, vcc_lo
	s_delay_alu instid0(VALU_DEP_2) | instskip(SKIP_1) | instid1(VALU_DEP_2)
	v_add_co_u32 v25, vcc_lo, v27, v61
	s_wait_alu 0xfffd
	v_add_co_ci_u32_e64 v26, null, 0, v28, vcc_lo
	s_delay_alu instid0(VALU_DEP_2) | instskip(SKIP_1) | instid1(VALU_DEP_2)
	;; [unrolled: 4-line block ×3, first 2 shown]
	v_add_co_u32 v19, vcc_lo, v23, v65
	s_wait_alu 0xfffd
	v_add_co_ci_u32_e64 v20, null, 0, v24, vcc_lo
	s_wait_dscnt 0x0
	v_cmp_gt_u64_e32 vcc_lo, 0x181, v[2:3]
	v_add_co_u32 v21, s0, v19, v64
	s_wait_alu 0xf1ff
	v_add_co_ci_u32_e64 v22, null, 0, v20, s0
	v_and_b32_e32 v64, 1, v51
	s_delay_alu instid0(VALU_DEP_3) | instskip(SKIP_1) | instid1(VALU_DEP_3)
	v_add_co_u32 v17, s0, v21, v59
	s_wait_alu 0xf1ff
	v_add_co_ci_u32_e64 v18, null, 0, v22, s0
	s_delay_alu instid0(VALU_DEP_2) | instskip(SKIP_1) | instid1(VALU_DEP_2)
	v_add_co_u32 v6, s0, v17, v52
	s_wait_alu 0xf1ff
	v_add_co_ci_u32_e64 v7, null, 0, v18, s0
	v_cmp_eq_u32_e64 s0, 1, v64
	s_cbranch_vccnz .LBB762_140
; %bb.137:
	s_wait_alu 0xfffe
	s_and_b32 vcc_lo, exec_lo, s1
	s_wait_alu 0xfffe
	s_cbranch_vccnz .LBB762_177
.LBB762_138:
	v_cmp_eq_u32_e32 vcc_lo, 0, v0
	s_and_b32 s0, vcc_lo, s12
	s_wait_alu 0xfffe
	s_and_saveexec_b32 s1, s0
	s_cbranch_execnz .LBB762_216
.LBB762_139:
	s_endpgm
.LBB762_140:
	v_add_co_u32 v51, vcc_lo, v4, v2
	s_wait_alu 0xfffd
	v_add_co_ci_u32_e64 v52, null, v5, v3, vcc_lo
	s_wait_kmcnt 0x0
	s_lshl_b64 s[4:5], s[6:7], 1
	s_wait_alu 0xfffe
	s_add_nc_u64 s[4:5], s[2:3], s[4:5]
	v_cmp_lt_u64_e32 vcc_lo, v[39:40], v[51:52]
	s_or_b32 s1, s13, vcc_lo
	s_wait_alu 0xfffe
	s_and_b32 s1, s1, s0
	s_wait_alu 0xfffe
	s_and_saveexec_b32 s0, s1
	s_cbranch_execz .LBB762_142
; %bb.141:
	v_lshlrev_b64_e32 v[65:66], 1, v[39:40]
	s_delay_alu instid0(VALU_DEP_1) | instskip(SKIP_1) | instid1(VALU_DEP_2)
	v_add_co_u32 v65, vcc_lo, s4, v65
	s_wait_alu 0xfffd
	v_add_co_ci_u32_e64 v66, null, s5, v66, vcc_lo
	global_store_b16 v[65:66], v15, off
.LBB762_142:
	s_wait_alu 0xfffe
	s_or_b32 exec_lo, exec_lo, s0
	v_and_b32_e32 v40, 1, v72
	v_cmp_lt_u64_e32 vcc_lo, v[49:50], v[51:52]
	s_delay_alu instid0(VALU_DEP_2)
	v_cmp_eq_u32_e64 s0, 1, v40
	s_or_b32 s1, s13, vcc_lo
	s_wait_alu 0xfffe
	s_and_b32 s1, s1, s0
	s_wait_alu 0xfffe
	s_and_saveexec_b32 s0, s1
	s_cbranch_execz .LBB762_144
; %bb.143:
	v_lshlrev_b64_e32 v[65:66], 1, v[49:50]
	s_delay_alu instid0(VALU_DEP_1) | instskip(SKIP_1) | instid1(VALU_DEP_2)
	v_add_co_u32 v65, vcc_lo, s4, v65
	s_wait_alu 0xfffd
	v_add_co_ci_u32_e64 v66, null, s5, v66, vcc_lo
	global_store_d16_hi_b16 v[65:66], v15, off
.LBB762_144:
	s_wait_alu 0xfffe
	s_or_b32 exec_lo, exec_lo, s0
	v_and_b32_e32 v40, 1, v71
	v_cmp_lt_u64_e32 vcc_lo, v[47:48], v[51:52]
	s_delay_alu instid0(VALU_DEP_2)
	v_cmp_eq_u32_e64 s0, 1, v40
	s_or_b32 s1, s13, vcc_lo
	s_wait_alu 0xfffe
	s_and_b32 s1, s1, s0
	s_wait_alu 0xfffe
	s_and_saveexec_b32 s0, s1
	s_cbranch_execz .LBB762_146
; %bb.145:
	v_lshlrev_b64_e32 v[65:66], 1, v[47:48]
	s_delay_alu instid0(VALU_DEP_1) | instskip(SKIP_1) | instid1(VALU_DEP_2)
	v_add_co_u32 v65, vcc_lo, s4, v65
	s_wait_alu 0xfffd
	v_add_co_ci_u32_e64 v66, null, s5, v66, vcc_lo
	global_store_b16 v[65:66], v16, off
.LBB762_146:
	s_wait_alu 0xfffe
	s_or_b32 exec_lo, exec_lo, s0
	v_and_b32_e32 v40, 1, v63
	v_cmp_lt_u64_e32 vcc_lo, v[45:46], v[51:52]
	s_delay_alu instid0(VALU_DEP_2)
	v_cmp_eq_u32_e64 s0, 1, v40
	s_or_b32 s1, s13, vcc_lo
	s_wait_alu 0xfffe
	s_and_b32 s1, s1, s0
	s_wait_alu 0xfffe
	s_and_saveexec_b32 s0, s1
	s_cbranch_execz .LBB762_148
; %bb.147:
	v_lshlrev_b64_e32 v[65:66], 1, v[45:46]
	s_delay_alu instid0(VALU_DEP_1) | instskip(SKIP_1) | instid1(VALU_DEP_2)
	v_add_co_u32 v65, vcc_lo, s4, v65
	s_wait_alu 0xfffd
	v_add_co_ci_u32_e64 v66, null, s5, v66, vcc_lo
	global_store_d16_hi_b16 v[65:66], v16, off
.LBB762_148:
	s_wait_alu 0xfffe
	s_or_b32 exec_lo, exec_lo, s0
	v_and_b32_e32 v40, 1, v60
	v_cmp_lt_u64_e32 vcc_lo, v[43:44], v[51:52]
	s_delay_alu instid0(VALU_DEP_2)
	v_cmp_eq_u32_e64 s0, 1, v40
	;; [unrolled: 40-line block ×8, first 2 shown]
	s_or_b32 s1, s13, vcc_lo
	s_wait_alu 0xfffe
	s_and_b32 s1, s1, s0
	s_wait_alu 0xfffe
	s_and_saveexec_b32 s0, s1
	s_cbranch_execz .LBB762_174
; %bb.173:
	v_lshlrev_b64_e32 v[65:66], 1, v[17:18]
	s_delay_alu instid0(VALU_DEP_1) | instskip(SKIP_1) | instid1(VALU_DEP_2)
	v_add_co_u32 v65, vcc_lo, s4, v65
	s_wait_alu 0xfffd
	v_add_co_ci_u32_e64 v66, null, s5, v66, vcc_lo
	global_store_b16 v[65:66], v53, off
.LBB762_174:
	s_wait_alu 0xfffe
	s_or_b32 exec_lo, exec_lo, s0
	v_and_b32_e32 v18, 1, v55
	v_cmp_lt_u64_e32 vcc_lo, v[6:7], v[51:52]
	s_delay_alu instid0(VALU_DEP_2)
	v_cmp_eq_u32_e64 s0, 1, v18
	s_or_b32 s1, s13, vcc_lo
	s_wait_alu 0xfffe
	s_and_b32 s1, s1, s0
	s_wait_alu 0xfffe
	s_and_saveexec_b32 s0, s1
	s_cbranch_execz .LBB762_176
; %bb.175:
	v_lshlrev_b64_e32 v[50:51], 1, v[6:7]
	s_delay_alu instid0(VALU_DEP_1) | instskip(SKIP_1) | instid1(VALU_DEP_2)
	v_add_co_u32 v50, vcc_lo, s4, v50
	s_wait_alu 0xfffd
	v_add_co_ci_u32_e64 v51, null, s5, v51, vcc_lo
	global_store_b16 v[50:51], v54, off
.LBB762_176:
	s_wait_alu 0xfffe
	s_or_b32 exec_lo, exec_lo, s0
	s_branch .LBB762_138
.LBB762_177:
	s_mov_b32 s0, exec_lo
	v_cmpx_eq_u32_e32 1, v64
; %bb.178:
	v_sub_nc_u32_e32 v7, v39, v4
	s_delay_alu instid0(VALU_DEP_1)
	v_lshlrev_b32_e32 v7, 1, v7
	ds_store_b16 v7, v15
; %bb.179:
	s_wait_alu 0xfffe
	s_or_b32 exec_lo, exec_lo, s0
	v_and_b32_e32 v7, 1, v72
	s_mov_b32 s0, exec_lo
	s_delay_alu instid0(VALU_DEP_1)
	v_cmpx_eq_u32_e32 1, v7
; %bb.180:
	v_sub_nc_u32_e32 v7, v49, v4
	s_delay_alu instid0(VALU_DEP_1)
	v_lshlrev_b32_e32 v7, 1, v7
	ds_store_b16_d16_hi v7, v15
; %bb.181:
	s_wait_alu 0xfffe
	s_or_b32 exec_lo, exec_lo, s0
	v_and_b32_e32 v7, 1, v71
	s_mov_b32 s0, exec_lo
	s_delay_alu instid0(VALU_DEP_1)
	v_cmpx_eq_u32_e32 1, v7
; %bb.182:
	v_sub_nc_u32_e32 v7, v47, v4
	s_delay_alu instid0(VALU_DEP_1)
	v_lshlrev_b32_e32 v7, 1, v7
	ds_store_b16 v7, v16
; %bb.183:
	s_wait_alu 0xfffe
	s_or_b32 exec_lo, exec_lo, s0
	v_and_b32_e32 v7, 1, v63
	s_mov_b32 s0, exec_lo
	s_delay_alu instid0(VALU_DEP_1)
	v_cmpx_eq_u32_e32 1, v7
; %bb.184:
	v_sub_nc_u32_e32 v7, v45, v4
	s_delay_alu instid0(VALU_DEP_1)
	v_lshlrev_b32_e32 v7, 1, v7
	ds_store_b16_d16_hi v7, v16
; %bb.185:
	s_wait_alu 0xfffe
	s_or_b32 exec_lo, exec_lo, s0
	v_and_b32_e32 v7, 1, v60
	s_mov_b32 s0, exec_lo
	s_delay_alu instid0(VALU_DEP_1)
	;; [unrolled: 24-line block ×8, first 2 shown]
	v_cmpx_eq_u32_e32 1, v1
; %bb.210:
	v_sub_nc_u32_e32 v1, v17, v4
	s_delay_alu instid0(VALU_DEP_1)
	v_lshlrev_b32_e32 v1, 1, v1
	ds_store_b16 v1, v53
; %bb.211:
	s_wait_alu 0xfffe
	s_or_b32 exec_lo, exec_lo, s0
	v_and_b32_e32 v1, 1, v55
	s_mov_b32 s0, exec_lo
	s_delay_alu instid0(VALU_DEP_1)
	v_cmpx_eq_u32_e32 1, v1
; %bb.212:
	v_sub_nc_u32_e32 v1, v6, v4
	s_delay_alu instid0(VALU_DEP_1)
	v_lshlrev_b32_e32 v1, 1, v1
	ds_store_b16 v1, v54
; %bb.213:
	s_wait_alu 0xfffe
	s_or_b32 exec_lo, exec_lo, s0
	v_dual_mov_b32 v7, 0 :: v_dual_add_nc_u32 v6, 0x180, v0
	v_lshlrev_b64_e32 v[8:9], 1, v[4:5]
	s_wait_kmcnt 0x0
	s_lshl_b64 s[0:1], s[6:7], 1
	s_wait_storecnt 0x0
	s_wait_loadcnt_dscnt 0x0
	v_mov_b32_e32 v1, v7
	s_wait_alu 0xfffe
	s_add_nc_u64 s[0:1], s[2:3], s[0:1]
	s_barrier_signal -1
	s_wait_alu 0xfffe
	v_add_co_u32 v10, vcc_lo, s0, v8
	s_wait_alu 0xfffd
	v_add_co_ci_u32_e64 v11, null, s1, v9, vcc_lo
	v_dual_mov_b32 v9, v1 :: v_dual_mov_b32 v8, v0
	s_mov_b32 s1, 0
	s_barrier_wait -1
	global_inv scope:SCOPE_SE
.LBB762_214:                            ; =>This Inner Loop Header: Depth=1
	v_lshlrev_b32_e32 v1, 1, v8
	v_lshlrev_b64_e32 v[12:13], 1, v[8:9]
	v_dual_mov_b32 v9, v7 :: v_dual_mov_b32 v8, v6
	v_cmp_le_u64_e32 vcc_lo, v[2:3], v[6:7]
	ds_load_u16 v1, v1
	v_add_nc_u32_e32 v6, 0x180, v6
	v_add_co_u32 v12, s0, v10, v12
	s_wait_alu 0xf1ff
	v_add_co_ci_u32_e64 v13, null, v11, v13, s0
	s_wait_alu 0xfffe
	s_or_b32 s1, vcc_lo, s1
	s_wait_dscnt 0x0
	global_store_b16 v[12:13], v1, off
	s_wait_alu 0xfffe
	s_and_not1_b32 exec_lo, exec_lo, s1
	s_cbranch_execnz .LBB762_214
; %bb.215:
	s_or_b32 exec_lo, exec_lo, s1
	v_cmp_eq_u32_e32 vcc_lo, 0, v0
	s_and_b32 s0, vcc_lo, s12
	s_wait_alu 0xfffe
	s_and_saveexec_b32 s1, s0
	s_cbranch_execz .LBB762_139
.LBB762_216:
	v_add_co_u32 v0, vcc_lo, v4, v2
	s_wait_alu 0xfffd
	v_add_co_ci_u32_e64 v1, null, v5, v3, vcc_lo
	v_mov_b32_e32 v2, 0
	s_wait_kmcnt 0x0
	v_add_co_u32 v0, vcc_lo, v0, s6
	s_wait_alu 0xfffd
	v_add_co_ci_u32_e64 v1, null, s7, v1, vcc_lo
	global_store_b64 v2, v[0:1], s[8:9]
	s_endpgm
	.section	.rodata,"a",@progbits
	.p2align	6, 0x0
	.amdhsa_kernel _ZN7rocprim17ROCPRIM_400000_NS6detail17trampoline_kernelINS0_14default_configENS1_25partition_config_selectorILNS1_17partition_subalgoE6EsNS0_10empty_typeEbEEZZNS1_14partition_implILS5_6ELb0ES3_mN6thrust23THRUST_200600_302600_NS6detail15normal_iteratorINSA_10device_ptrIsEEEEPS6_SG_NS0_5tupleIJSF_S6_EEENSH_IJSG_SG_EEES6_PlJNSB_9not_fun_tI7is_evenIsEEEEEE10hipError_tPvRmT3_T4_T5_T6_T7_T9_mT8_P12ihipStream_tbDpT10_ENKUlT_T0_E_clISt17integral_constantIbLb0EES18_EEDaS13_S14_EUlS13_E_NS1_11comp_targetILNS1_3genE10ELNS1_11target_archE1200ELNS1_3gpuE4ELNS1_3repE0EEENS1_30default_config_static_selectorELNS0_4arch9wavefront6targetE0EEEvT1_
		.amdhsa_group_segment_fixed_size 13840
		.amdhsa_private_segment_fixed_size 0
		.amdhsa_kernarg_size 112
		.amdhsa_user_sgpr_count 2
		.amdhsa_user_sgpr_dispatch_ptr 0
		.amdhsa_user_sgpr_queue_ptr 0
		.amdhsa_user_sgpr_kernarg_segment_ptr 1
		.amdhsa_user_sgpr_dispatch_id 0
		.amdhsa_user_sgpr_private_segment_size 0
		.amdhsa_wavefront_size32 1
		.amdhsa_uses_dynamic_stack 0
		.amdhsa_enable_private_segment 0
		.amdhsa_system_sgpr_workgroup_id_x 1
		.amdhsa_system_sgpr_workgroup_id_y 0
		.amdhsa_system_sgpr_workgroup_id_z 0
		.amdhsa_system_sgpr_workgroup_info 0
		.amdhsa_system_vgpr_workitem_id 0
		.amdhsa_next_free_vgpr 73
		.amdhsa_next_free_sgpr 19
		.amdhsa_reserve_vcc 1
		.amdhsa_float_round_mode_32 0
		.amdhsa_float_round_mode_16_64 0
		.amdhsa_float_denorm_mode_32 3
		.amdhsa_float_denorm_mode_16_64 3
		.amdhsa_fp16_overflow 0
		.amdhsa_workgroup_processor_mode 1
		.amdhsa_memory_ordered 1
		.amdhsa_forward_progress 1
		.amdhsa_inst_pref_size 88
		.amdhsa_round_robin_scheduling 0
		.amdhsa_exception_fp_ieee_invalid_op 0
		.amdhsa_exception_fp_denorm_src 0
		.amdhsa_exception_fp_ieee_div_zero 0
		.amdhsa_exception_fp_ieee_overflow 0
		.amdhsa_exception_fp_ieee_underflow 0
		.amdhsa_exception_fp_ieee_inexact 0
		.amdhsa_exception_int_div_zero 0
	.end_amdhsa_kernel
	.section	.text._ZN7rocprim17ROCPRIM_400000_NS6detail17trampoline_kernelINS0_14default_configENS1_25partition_config_selectorILNS1_17partition_subalgoE6EsNS0_10empty_typeEbEEZZNS1_14partition_implILS5_6ELb0ES3_mN6thrust23THRUST_200600_302600_NS6detail15normal_iteratorINSA_10device_ptrIsEEEEPS6_SG_NS0_5tupleIJSF_S6_EEENSH_IJSG_SG_EEES6_PlJNSB_9not_fun_tI7is_evenIsEEEEEE10hipError_tPvRmT3_T4_T5_T6_T7_T9_mT8_P12ihipStream_tbDpT10_ENKUlT_T0_E_clISt17integral_constantIbLb0EES18_EEDaS13_S14_EUlS13_E_NS1_11comp_targetILNS1_3genE10ELNS1_11target_archE1200ELNS1_3gpuE4ELNS1_3repE0EEENS1_30default_config_static_selectorELNS0_4arch9wavefront6targetE0EEEvT1_,"axG",@progbits,_ZN7rocprim17ROCPRIM_400000_NS6detail17trampoline_kernelINS0_14default_configENS1_25partition_config_selectorILNS1_17partition_subalgoE6EsNS0_10empty_typeEbEEZZNS1_14partition_implILS5_6ELb0ES3_mN6thrust23THRUST_200600_302600_NS6detail15normal_iteratorINSA_10device_ptrIsEEEEPS6_SG_NS0_5tupleIJSF_S6_EEENSH_IJSG_SG_EEES6_PlJNSB_9not_fun_tI7is_evenIsEEEEEE10hipError_tPvRmT3_T4_T5_T6_T7_T9_mT8_P12ihipStream_tbDpT10_ENKUlT_T0_E_clISt17integral_constantIbLb0EES18_EEDaS13_S14_EUlS13_E_NS1_11comp_targetILNS1_3genE10ELNS1_11target_archE1200ELNS1_3gpuE4ELNS1_3repE0EEENS1_30default_config_static_selectorELNS0_4arch9wavefront6targetE0EEEvT1_,comdat
.Lfunc_end762:
	.size	_ZN7rocprim17ROCPRIM_400000_NS6detail17trampoline_kernelINS0_14default_configENS1_25partition_config_selectorILNS1_17partition_subalgoE6EsNS0_10empty_typeEbEEZZNS1_14partition_implILS5_6ELb0ES3_mN6thrust23THRUST_200600_302600_NS6detail15normal_iteratorINSA_10device_ptrIsEEEEPS6_SG_NS0_5tupleIJSF_S6_EEENSH_IJSG_SG_EEES6_PlJNSB_9not_fun_tI7is_evenIsEEEEEE10hipError_tPvRmT3_T4_T5_T6_T7_T9_mT8_P12ihipStream_tbDpT10_ENKUlT_T0_E_clISt17integral_constantIbLb0EES18_EEDaS13_S14_EUlS13_E_NS1_11comp_targetILNS1_3genE10ELNS1_11target_archE1200ELNS1_3gpuE4ELNS1_3repE0EEENS1_30default_config_static_selectorELNS0_4arch9wavefront6targetE0EEEvT1_, .Lfunc_end762-_ZN7rocprim17ROCPRIM_400000_NS6detail17trampoline_kernelINS0_14default_configENS1_25partition_config_selectorILNS1_17partition_subalgoE6EsNS0_10empty_typeEbEEZZNS1_14partition_implILS5_6ELb0ES3_mN6thrust23THRUST_200600_302600_NS6detail15normal_iteratorINSA_10device_ptrIsEEEEPS6_SG_NS0_5tupleIJSF_S6_EEENSH_IJSG_SG_EEES6_PlJNSB_9not_fun_tI7is_evenIsEEEEEE10hipError_tPvRmT3_T4_T5_T6_T7_T9_mT8_P12ihipStream_tbDpT10_ENKUlT_T0_E_clISt17integral_constantIbLb0EES18_EEDaS13_S14_EUlS13_E_NS1_11comp_targetILNS1_3genE10ELNS1_11target_archE1200ELNS1_3gpuE4ELNS1_3repE0EEENS1_30default_config_static_selectorELNS0_4arch9wavefront6targetE0EEEvT1_
                                        ; -- End function
	.set _ZN7rocprim17ROCPRIM_400000_NS6detail17trampoline_kernelINS0_14default_configENS1_25partition_config_selectorILNS1_17partition_subalgoE6EsNS0_10empty_typeEbEEZZNS1_14partition_implILS5_6ELb0ES3_mN6thrust23THRUST_200600_302600_NS6detail15normal_iteratorINSA_10device_ptrIsEEEEPS6_SG_NS0_5tupleIJSF_S6_EEENSH_IJSG_SG_EEES6_PlJNSB_9not_fun_tI7is_evenIsEEEEEE10hipError_tPvRmT3_T4_T5_T6_T7_T9_mT8_P12ihipStream_tbDpT10_ENKUlT_T0_E_clISt17integral_constantIbLb0EES18_EEDaS13_S14_EUlS13_E_NS1_11comp_targetILNS1_3genE10ELNS1_11target_archE1200ELNS1_3gpuE4ELNS1_3repE0EEENS1_30default_config_static_selectorELNS0_4arch9wavefront6targetE0EEEvT1_.num_vgpr, 73
	.set _ZN7rocprim17ROCPRIM_400000_NS6detail17trampoline_kernelINS0_14default_configENS1_25partition_config_selectorILNS1_17partition_subalgoE6EsNS0_10empty_typeEbEEZZNS1_14partition_implILS5_6ELb0ES3_mN6thrust23THRUST_200600_302600_NS6detail15normal_iteratorINSA_10device_ptrIsEEEEPS6_SG_NS0_5tupleIJSF_S6_EEENSH_IJSG_SG_EEES6_PlJNSB_9not_fun_tI7is_evenIsEEEEEE10hipError_tPvRmT3_T4_T5_T6_T7_T9_mT8_P12ihipStream_tbDpT10_ENKUlT_T0_E_clISt17integral_constantIbLb0EES18_EEDaS13_S14_EUlS13_E_NS1_11comp_targetILNS1_3genE10ELNS1_11target_archE1200ELNS1_3gpuE4ELNS1_3repE0EEENS1_30default_config_static_selectorELNS0_4arch9wavefront6targetE0EEEvT1_.num_agpr, 0
	.set _ZN7rocprim17ROCPRIM_400000_NS6detail17trampoline_kernelINS0_14default_configENS1_25partition_config_selectorILNS1_17partition_subalgoE6EsNS0_10empty_typeEbEEZZNS1_14partition_implILS5_6ELb0ES3_mN6thrust23THRUST_200600_302600_NS6detail15normal_iteratorINSA_10device_ptrIsEEEEPS6_SG_NS0_5tupleIJSF_S6_EEENSH_IJSG_SG_EEES6_PlJNSB_9not_fun_tI7is_evenIsEEEEEE10hipError_tPvRmT3_T4_T5_T6_T7_T9_mT8_P12ihipStream_tbDpT10_ENKUlT_T0_E_clISt17integral_constantIbLb0EES18_EEDaS13_S14_EUlS13_E_NS1_11comp_targetILNS1_3genE10ELNS1_11target_archE1200ELNS1_3gpuE4ELNS1_3repE0EEENS1_30default_config_static_selectorELNS0_4arch9wavefront6targetE0EEEvT1_.numbered_sgpr, 19
	.set _ZN7rocprim17ROCPRIM_400000_NS6detail17trampoline_kernelINS0_14default_configENS1_25partition_config_selectorILNS1_17partition_subalgoE6EsNS0_10empty_typeEbEEZZNS1_14partition_implILS5_6ELb0ES3_mN6thrust23THRUST_200600_302600_NS6detail15normal_iteratorINSA_10device_ptrIsEEEEPS6_SG_NS0_5tupleIJSF_S6_EEENSH_IJSG_SG_EEES6_PlJNSB_9not_fun_tI7is_evenIsEEEEEE10hipError_tPvRmT3_T4_T5_T6_T7_T9_mT8_P12ihipStream_tbDpT10_ENKUlT_T0_E_clISt17integral_constantIbLb0EES18_EEDaS13_S14_EUlS13_E_NS1_11comp_targetILNS1_3genE10ELNS1_11target_archE1200ELNS1_3gpuE4ELNS1_3repE0EEENS1_30default_config_static_selectorELNS0_4arch9wavefront6targetE0EEEvT1_.num_named_barrier, 0
	.set _ZN7rocprim17ROCPRIM_400000_NS6detail17trampoline_kernelINS0_14default_configENS1_25partition_config_selectorILNS1_17partition_subalgoE6EsNS0_10empty_typeEbEEZZNS1_14partition_implILS5_6ELb0ES3_mN6thrust23THRUST_200600_302600_NS6detail15normal_iteratorINSA_10device_ptrIsEEEEPS6_SG_NS0_5tupleIJSF_S6_EEENSH_IJSG_SG_EEES6_PlJNSB_9not_fun_tI7is_evenIsEEEEEE10hipError_tPvRmT3_T4_T5_T6_T7_T9_mT8_P12ihipStream_tbDpT10_ENKUlT_T0_E_clISt17integral_constantIbLb0EES18_EEDaS13_S14_EUlS13_E_NS1_11comp_targetILNS1_3genE10ELNS1_11target_archE1200ELNS1_3gpuE4ELNS1_3repE0EEENS1_30default_config_static_selectorELNS0_4arch9wavefront6targetE0EEEvT1_.private_seg_size, 0
	.set _ZN7rocprim17ROCPRIM_400000_NS6detail17trampoline_kernelINS0_14default_configENS1_25partition_config_selectorILNS1_17partition_subalgoE6EsNS0_10empty_typeEbEEZZNS1_14partition_implILS5_6ELb0ES3_mN6thrust23THRUST_200600_302600_NS6detail15normal_iteratorINSA_10device_ptrIsEEEEPS6_SG_NS0_5tupleIJSF_S6_EEENSH_IJSG_SG_EEES6_PlJNSB_9not_fun_tI7is_evenIsEEEEEE10hipError_tPvRmT3_T4_T5_T6_T7_T9_mT8_P12ihipStream_tbDpT10_ENKUlT_T0_E_clISt17integral_constantIbLb0EES18_EEDaS13_S14_EUlS13_E_NS1_11comp_targetILNS1_3genE10ELNS1_11target_archE1200ELNS1_3gpuE4ELNS1_3repE0EEENS1_30default_config_static_selectorELNS0_4arch9wavefront6targetE0EEEvT1_.uses_vcc, 1
	.set _ZN7rocprim17ROCPRIM_400000_NS6detail17trampoline_kernelINS0_14default_configENS1_25partition_config_selectorILNS1_17partition_subalgoE6EsNS0_10empty_typeEbEEZZNS1_14partition_implILS5_6ELb0ES3_mN6thrust23THRUST_200600_302600_NS6detail15normal_iteratorINSA_10device_ptrIsEEEEPS6_SG_NS0_5tupleIJSF_S6_EEENSH_IJSG_SG_EEES6_PlJNSB_9not_fun_tI7is_evenIsEEEEEE10hipError_tPvRmT3_T4_T5_T6_T7_T9_mT8_P12ihipStream_tbDpT10_ENKUlT_T0_E_clISt17integral_constantIbLb0EES18_EEDaS13_S14_EUlS13_E_NS1_11comp_targetILNS1_3genE10ELNS1_11target_archE1200ELNS1_3gpuE4ELNS1_3repE0EEENS1_30default_config_static_selectorELNS0_4arch9wavefront6targetE0EEEvT1_.uses_flat_scratch, 1
	.set _ZN7rocprim17ROCPRIM_400000_NS6detail17trampoline_kernelINS0_14default_configENS1_25partition_config_selectorILNS1_17partition_subalgoE6EsNS0_10empty_typeEbEEZZNS1_14partition_implILS5_6ELb0ES3_mN6thrust23THRUST_200600_302600_NS6detail15normal_iteratorINSA_10device_ptrIsEEEEPS6_SG_NS0_5tupleIJSF_S6_EEENSH_IJSG_SG_EEES6_PlJNSB_9not_fun_tI7is_evenIsEEEEEE10hipError_tPvRmT3_T4_T5_T6_T7_T9_mT8_P12ihipStream_tbDpT10_ENKUlT_T0_E_clISt17integral_constantIbLb0EES18_EEDaS13_S14_EUlS13_E_NS1_11comp_targetILNS1_3genE10ELNS1_11target_archE1200ELNS1_3gpuE4ELNS1_3repE0EEENS1_30default_config_static_selectorELNS0_4arch9wavefront6targetE0EEEvT1_.has_dyn_sized_stack, 0
	.set _ZN7rocprim17ROCPRIM_400000_NS6detail17trampoline_kernelINS0_14default_configENS1_25partition_config_selectorILNS1_17partition_subalgoE6EsNS0_10empty_typeEbEEZZNS1_14partition_implILS5_6ELb0ES3_mN6thrust23THRUST_200600_302600_NS6detail15normal_iteratorINSA_10device_ptrIsEEEEPS6_SG_NS0_5tupleIJSF_S6_EEENSH_IJSG_SG_EEES6_PlJNSB_9not_fun_tI7is_evenIsEEEEEE10hipError_tPvRmT3_T4_T5_T6_T7_T9_mT8_P12ihipStream_tbDpT10_ENKUlT_T0_E_clISt17integral_constantIbLb0EES18_EEDaS13_S14_EUlS13_E_NS1_11comp_targetILNS1_3genE10ELNS1_11target_archE1200ELNS1_3gpuE4ELNS1_3repE0EEENS1_30default_config_static_selectorELNS0_4arch9wavefront6targetE0EEEvT1_.has_recursion, 0
	.set _ZN7rocprim17ROCPRIM_400000_NS6detail17trampoline_kernelINS0_14default_configENS1_25partition_config_selectorILNS1_17partition_subalgoE6EsNS0_10empty_typeEbEEZZNS1_14partition_implILS5_6ELb0ES3_mN6thrust23THRUST_200600_302600_NS6detail15normal_iteratorINSA_10device_ptrIsEEEEPS6_SG_NS0_5tupleIJSF_S6_EEENSH_IJSG_SG_EEES6_PlJNSB_9not_fun_tI7is_evenIsEEEEEE10hipError_tPvRmT3_T4_T5_T6_T7_T9_mT8_P12ihipStream_tbDpT10_ENKUlT_T0_E_clISt17integral_constantIbLb0EES18_EEDaS13_S14_EUlS13_E_NS1_11comp_targetILNS1_3genE10ELNS1_11target_archE1200ELNS1_3gpuE4ELNS1_3repE0EEENS1_30default_config_static_selectorELNS0_4arch9wavefront6targetE0EEEvT1_.has_indirect_call, 0
	.section	.AMDGPU.csdata,"",@progbits
; Kernel info:
; codeLenInByte = 11232
; TotalNumSgprs: 21
; NumVgprs: 73
; ScratchSize: 0
; MemoryBound: 0
; FloatMode: 240
; IeeeMode: 1
; LDSByteSize: 13840 bytes/workgroup (compile time only)
; SGPRBlocks: 0
; VGPRBlocks: 9
; NumSGPRsForWavesPerEU: 21
; NumVGPRsForWavesPerEU: 73
; Occupancy: 15
; WaveLimiterHint : 1
; COMPUTE_PGM_RSRC2:SCRATCH_EN: 0
; COMPUTE_PGM_RSRC2:USER_SGPR: 2
; COMPUTE_PGM_RSRC2:TRAP_HANDLER: 0
; COMPUTE_PGM_RSRC2:TGID_X_EN: 1
; COMPUTE_PGM_RSRC2:TGID_Y_EN: 0
; COMPUTE_PGM_RSRC2:TGID_Z_EN: 0
; COMPUTE_PGM_RSRC2:TIDIG_COMP_CNT: 0
	.section	.text._ZN7rocprim17ROCPRIM_400000_NS6detail17trampoline_kernelINS0_14default_configENS1_25partition_config_selectorILNS1_17partition_subalgoE6EsNS0_10empty_typeEbEEZZNS1_14partition_implILS5_6ELb0ES3_mN6thrust23THRUST_200600_302600_NS6detail15normal_iteratorINSA_10device_ptrIsEEEEPS6_SG_NS0_5tupleIJSF_S6_EEENSH_IJSG_SG_EEES6_PlJNSB_9not_fun_tI7is_evenIsEEEEEE10hipError_tPvRmT3_T4_T5_T6_T7_T9_mT8_P12ihipStream_tbDpT10_ENKUlT_T0_E_clISt17integral_constantIbLb0EES18_EEDaS13_S14_EUlS13_E_NS1_11comp_targetILNS1_3genE9ELNS1_11target_archE1100ELNS1_3gpuE3ELNS1_3repE0EEENS1_30default_config_static_selectorELNS0_4arch9wavefront6targetE0EEEvT1_,"axG",@progbits,_ZN7rocprim17ROCPRIM_400000_NS6detail17trampoline_kernelINS0_14default_configENS1_25partition_config_selectorILNS1_17partition_subalgoE6EsNS0_10empty_typeEbEEZZNS1_14partition_implILS5_6ELb0ES3_mN6thrust23THRUST_200600_302600_NS6detail15normal_iteratorINSA_10device_ptrIsEEEEPS6_SG_NS0_5tupleIJSF_S6_EEENSH_IJSG_SG_EEES6_PlJNSB_9not_fun_tI7is_evenIsEEEEEE10hipError_tPvRmT3_T4_T5_T6_T7_T9_mT8_P12ihipStream_tbDpT10_ENKUlT_T0_E_clISt17integral_constantIbLb0EES18_EEDaS13_S14_EUlS13_E_NS1_11comp_targetILNS1_3genE9ELNS1_11target_archE1100ELNS1_3gpuE3ELNS1_3repE0EEENS1_30default_config_static_selectorELNS0_4arch9wavefront6targetE0EEEvT1_,comdat
	.protected	_ZN7rocprim17ROCPRIM_400000_NS6detail17trampoline_kernelINS0_14default_configENS1_25partition_config_selectorILNS1_17partition_subalgoE6EsNS0_10empty_typeEbEEZZNS1_14partition_implILS5_6ELb0ES3_mN6thrust23THRUST_200600_302600_NS6detail15normal_iteratorINSA_10device_ptrIsEEEEPS6_SG_NS0_5tupleIJSF_S6_EEENSH_IJSG_SG_EEES6_PlJNSB_9not_fun_tI7is_evenIsEEEEEE10hipError_tPvRmT3_T4_T5_T6_T7_T9_mT8_P12ihipStream_tbDpT10_ENKUlT_T0_E_clISt17integral_constantIbLb0EES18_EEDaS13_S14_EUlS13_E_NS1_11comp_targetILNS1_3genE9ELNS1_11target_archE1100ELNS1_3gpuE3ELNS1_3repE0EEENS1_30default_config_static_selectorELNS0_4arch9wavefront6targetE0EEEvT1_ ; -- Begin function _ZN7rocprim17ROCPRIM_400000_NS6detail17trampoline_kernelINS0_14default_configENS1_25partition_config_selectorILNS1_17partition_subalgoE6EsNS0_10empty_typeEbEEZZNS1_14partition_implILS5_6ELb0ES3_mN6thrust23THRUST_200600_302600_NS6detail15normal_iteratorINSA_10device_ptrIsEEEEPS6_SG_NS0_5tupleIJSF_S6_EEENSH_IJSG_SG_EEES6_PlJNSB_9not_fun_tI7is_evenIsEEEEEE10hipError_tPvRmT3_T4_T5_T6_T7_T9_mT8_P12ihipStream_tbDpT10_ENKUlT_T0_E_clISt17integral_constantIbLb0EES18_EEDaS13_S14_EUlS13_E_NS1_11comp_targetILNS1_3genE9ELNS1_11target_archE1100ELNS1_3gpuE3ELNS1_3repE0EEENS1_30default_config_static_selectorELNS0_4arch9wavefront6targetE0EEEvT1_
	.globl	_ZN7rocprim17ROCPRIM_400000_NS6detail17trampoline_kernelINS0_14default_configENS1_25partition_config_selectorILNS1_17partition_subalgoE6EsNS0_10empty_typeEbEEZZNS1_14partition_implILS5_6ELb0ES3_mN6thrust23THRUST_200600_302600_NS6detail15normal_iteratorINSA_10device_ptrIsEEEEPS6_SG_NS0_5tupleIJSF_S6_EEENSH_IJSG_SG_EEES6_PlJNSB_9not_fun_tI7is_evenIsEEEEEE10hipError_tPvRmT3_T4_T5_T6_T7_T9_mT8_P12ihipStream_tbDpT10_ENKUlT_T0_E_clISt17integral_constantIbLb0EES18_EEDaS13_S14_EUlS13_E_NS1_11comp_targetILNS1_3genE9ELNS1_11target_archE1100ELNS1_3gpuE3ELNS1_3repE0EEENS1_30default_config_static_selectorELNS0_4arch9wavefront6targetE0EEEvT1_
	.p2align	8
	.type	_ZN7rocprim17ROCPRIM_400000_NS6detail17trampoline_kernelINS0_14default_configENS1_25partition_config_selectorILNS1_17partition_subalgoE6EsNS0_10empty_typeEbEEZZNS1_14partition_implILS5_6ELb0ES3_mN6thrust23THRUST_200600_302600_NS6detail15normal_iteratorINSA_10device_ptrIsEEEEPS6_SG_NS0_5tupleIJSF_S6_EEENSH_IJSG_SG_EEES6_PlJNSB_9not_fun_tI7is_evenIsEEEEEE10hipError_tPvRmT3_T4_T5_T6_T7_T9_mT8_P12ihipStream_tbDpT10_ENKUlT_T0_E_clISt17integral_constantIbLb0EES18_EEDaS13_S14_EUlS13_E_NS1_11comp_targetILNS1_3genE9ELNS1_11target_archE1100ELNS1_3gpuE3ELNS1_3repE0EEENS1_30default_config_static_selectorELNS0_4arch9wavefront6targetE0EEEvT1_,@function
_ZN7rocprim17ROCPRIM_400000_NS6detail17trampoline_kernelINS0_14default_configENS1_25partition_config_selectorILNS1_17partition_subalgoE6EsNS0_10empty_typeEbEEZZNS1_14partition_implILS5_6ELb0ES3_mN6thrust23THRUST_200600_302600_NS6detail15normal_iteratorINSA_10device_ptrIsEEEEPS6_SG_NS0_5tupleIJSF_S6_EEENSH_IJSG_SG_EEES6_PlJNSB_9not_fun_tI7is_evenIsEEEEEE10hipError_tPvRmT3_T4_T5_T6_T7_T9_mT8_P12ihipStream_tbDpT10_ENKUlT_T0_E_clISt17integral_constantIbLb0EES18_EEDaS13_S14_EUlS13_E_NS1_11comp_targetILNS1_3genE9ELNS1_11target_archE1100ELNS1_3gpuE3ELNS1_3repE0EEENS1_30default_config_static_selectorELNS0_4arch9wavefront6targetE0EEEvT1_: ; @_ZN7rocprim17ROCPRIM_400000_NS6detail17trampoline_kernelINS0_14default_configENS1_25partition_config_selectorILNS1_17partition_subalgoE6EsNS0_10empty_typeEbEEZZNS1_14partition_implILS5_6ELb0ES3_mN6thrust23THRUST_200600_302600_NS6detail15normal_iteratorINSA_10device_ptrIsEEEEPS6_SG_NS0_5tupleIJSF_S6_EEENSH_IJSG_SG_EEES6_PlJNSB_9not_fun_tI7is_evenIsEEEEEE10hipError_tPvRmT3_T4_T5_T6_T7_T9_mT8_P12ihipStream_tbDpT10_ENKUlT_T0_E_clISt17integral_constantIbLb0EES18_EEDaS13_S14_EUlS13_E_NS1_11comp_targetILNS1_3genE9ELNS1_11target_archE1100ELNS1_3gpuE3ELNS1_3repE0EEENS1_30default_config_static_selectorELNS0_4arch9wavefront6targetE0EEEvT1_
; %bb.0:
	.section	.rodata,"a",@progbits
	.p2align	6, 0x0
	.amdhsa_kernel _ZN7rocprim17ROCPRIM_400000_NS6detail17trampoline_kernelINS0_14default_configENS1_25partition_config_selectorILNS1_17partition_subalgoE6EsNS0_10empty_typeEbEEZZNS1_14partition_implILS5_6ELb0ES3_mN6thrust23THRUST_200600_302600_NS6detail15normal_iteratorINSA_10device_ptrIsEEEEPS6_SG_NS0_5tupleIJSF_S6_EEENSH_IJSG_SG_EEES6_PlJNSB_9not_fun_tI7is_evenIsEEEEEE10hipError_tPvRmT3_T4_T5_T6_T7_T9_mT8_P12ihipStream_tbDpT10_ENKUlT_T0_E_clISt17integral_constantIbLb0EES18_EEDaS13_S14_EUlS13_E_NS1_11comp_targetILNS1_3genE9ELNS1_11target_archE1100ELNS1_3gpuE3ELNS1_3repE0EEENS1_30default_config_static_selectorELNS0_4arch9wavefront6targetE0EEEvT1_
		.amdhsa_group_segment_fixed_size 0
		.amdhsa_private_segment_fixed_size 0
		.amdhsa_kernarg_size 112
		.amdhsa_user_sgpr_count 2
		.amdhsa_user_sgpr_dispatch_ptr 0
		.amdhsa_user_sgpr_queue_ptr 0
		.amdhsa_user_sgpr_kernarg_segment_ptr 1
		.amdhsa_user_sgpr_dispatch_id 0
		.amdhsa_user_sgpr_private_segment_size 0
		.amdhsa_wavefront_size32 1
		.amdhsa_uses_dynamic_stack 0
		.amdhsa_enable_private_segment 0
		.amdhsa_system_sgpr_workgroup_id_x 1
		.amdhsa_system_sgpr_workgroup_id_y 0
		.amdhsa_system_sgpr_workgroup_id_z 0
		.amdhsa_system_sgpr_workgroup_info 0
		.amdhsa_system_vgpr_workitem_id 0
		.amdhsa_next_free_vgpr 1
		.amdhsa_next_free_sgpr 1
		.amdhsa_reserve_vcc 0
		.amdhsa_float_round_mode_32 0
		.amdhsa_float_round_mode_16_64 0
		.amdhsa_float_denorm_mode_32 3
		.amdhsa_float_denorm_mode_16_64 3
		.amdhsa_fp16_overflow 0
		.amdhsa_workgroup_processor_mode 1
		.amdhsa_memory_ordered 1
		.amdhsa_forward_progress 1
		.amdhsa_inst_pref_size 0
		.amdhsa_round_robin_scheduling 0
		.amdhsa_exception_fp_ieee_invalid_op 0
		.amdhsa_exception_fp_denorm_src 0
		.amdhsa_exception_fp_ieee_div_zero 0
		.amdhsa_exception_fp_ieee_overflow 0
		.amdhsa_exception_fp_ieee_underflow 0
		.amdhsa_exception_fp_ieee_inexact 0
		.amdhsa_exception_int_div_zero 0
	.end_amdhsa_kernel
	.section	.text._ZN7rocprim17ROCPRIM_400000_NS6detail17trampoline_kernelINS0_14default_configENS1_25partition_config_selectorILNS1_17partition_subalgoE6EsNS0_10empty_typeEbEEZZNS1_14partition_implILS5_6ELb0ES3_mN6thrust23THRUST_200600_302600_NS6detail15normal_iteratorINSA_10device_ptrIsEEEEPS6_SG_NS0_5tupleIJSF_S6_EEENSH_IJSG_SG_EEES6_PlJNSB_9not_fun_tI7is_evenIsEEEEEE10hipError_tPvRmT3_T4_T5_T6_T7_T9_mT8_P12ihipStream_tbDpT10_ENKUlT_T0_E_clISt17integral_constantIbLb0EES18_EEDaS13_S14_EUlS13_E_NS1_11comp_targetILNS1_3genE9ELNS1_11target_archE1100ELNS1_3gpuE3ELNS1_3repE0EEENS1_30default_config_static_selectorELNS0_4arch9wavefront6targetE0EEEvT1_,"axG",@progbits,_ZN7rocprim17ROCPRIM_400000_NS6detail17trampoline_kernelINS0_14default_configENS1_25partition_config_selectorILNS1_17partition_subalgoE6EsNS0_10empty_typeEbEEZZNS1_14partition_implILS5_6ELb0ES3_mN6thrust23THRUST_200600_302600_NS6detail15normal_iteratorINSA_10device_ptrIsEEEEPS6_SG_NS0_5tupleIJSF_S6_EEENSH_IJSG_SG_EEES6_PlJNSB_9not_fun_tI7is_evenIsEEEEEE10hipError_tPvRmT3_T4_T5_T6_T7_T9_mT8_P12ihipStream_tbDpT10_ENKUlT_T0_E_clISt17integral_constantIbLb0EES18_EEDaS13_S14_EUlS13_E_NS1_11comp_targetILNS1_3genE9ELNS1_11target_archE1100ELNS1_3gpuE3ELNS1_3repE0EEENS1_30default_config_static_selectorELNS0_4arch9wavefront6targetE0EEEvT1_,comdat
.Lfunc_end763:
	.size	_ZN7rocprim17ROCPRIM_400000_NS6detail17trampoline_kernelINS0_14default_configENS1_25partition_config_selectorILNS1_17partition_subalgoE6EsNS0_10empty_typeEbEEZZNS1_14partition_implILS5_6ELb0ES3_mN6thrust23THRUST_200600_302600_NS6detail15normal_iteratorINSA_10device_ptrIsEEEEPS6_SG_NS0_5tupleIJSF_S6_EEENSH_IJSG_SG_EEES6_PlJNSB_9not_fun_tI7is_evenIsEEEEEE10hipError_tPvRmT3_T4_T5_T6_T7_T9_mT8_P12ihipStream_tbDpT10_ENKUlT_T0_E_clISt17integral_constantIbLb0EES18_EEDaS13_S14_EUlS13_E_NS1_11comp_targetILNS1_3genE9ELNS1_11target_archE1100ELNS1_3gpuE3ELNS1_3repE0EEENS1_30default_config_static_selectorELNS0_4arch9wavefront6targetE0EEEvT1_, .Lfunc_end763-_ZN7rocprim17ROCPRIM_400000_NS6detail17trampoline_kernelINS0_14default_configENS1_25partition_config_selectorILNS1_17partition_subalgoE6EsNS0_10empty_typeEbEEZZNS1_14partition_implILS5_6ELb0ES3_mN6thrust23THRUST_200600_302600_NS6detail15normal_iteratorINSA_10device_ptrIsEEEEPS6_SG_NS0_5tupleIJSF_S6_EEENSH_IJSG_SG_EEES6_PlJNSB_9not_fun_tI7is_evenIsEEEEEE10hipError_tPvRmT3_T4_T5_T6_T7_T9_mT8_P12ihipStream_tbDpT10_ENKUlT_T0_E_clISt17integral_constantIbLb0EES18_EEDaS13_S14_EUlS13_E_NS1_11comp_targetILNS1_3genE9ELNS1_11target_archE1100ELNS1_3gpuE3ELNS1_3repE0EEENS1_30default_config_static_selectorELNS0_4arch9wavefront6targetE0EEEvT1_
                                        ; -- End function
	.set _ZN7rocprim17ROCPRIM_400000_NS6detail17trampoline_kernelINS0_14default_configENS1_25partition_config_selectorILNS1_17partition_subalgoE6EsNS0_10empty_typeEbEEZZNS1_14partition_implILS5_6ELb0ES3_mN6thrust23THRUST_200600_302600_NS6detail15normal_iteratorINSA_10device_ptrIsEEEEPS6_SG_NS0_5tupleIJSF_S6_EEENSH_IJSG_SG_EEES6_PlJNSB_9not_fun_tI7is_evenIsEEEEEE10hipError_tPvRmT3_T4_T5_T6_T7_T9_mT8_P12ihipStream_tbDpT10_ENKUlT_T0_E_clISt17integral_constantIbLb0EES18_EEDaS13_S14_EUlS13_E_NS1_11comp_targetILNS1_3genE9ELNS1_11target_archE1100ELNS1_3gpuE3ELNS1_3repE0EEENS1_30default_config_static_selectorELNS0_4arch9wavefront6targetE0EEEvT1_.num_vgpr, 0
	.set _ZN7rocprim17ROCPRIM_400000_NS6detail17trampoline_kernelINS0_14default_configENS1_25partition_config_selectorILNS1_17partition_subalgoE6EsNS0_10empty_typeEbEEZZNS1_14partition_implILS5_6ELb0ES3_mN6thrust23THRUST_200600_302600_NS6detail15normal_iteratorINSA_10device_ptrIsEEEEPS6_SG_NS0_5tupleIJSF_S6_EEENSH_IJSG_SG_EEES6_PlJNSB_9not_fun_tI7is_evenIsEEEEEE10hipError_tPvRmT3_T4_T5_T6_T7_T9_mT8_P12ihipStream_tbDpT10_ENKUlT_T0_E_clISt17integral_constantIbLb0EES18_EEDaS13_S14_EUlS13_E_NS1_11comp_targetILNS1_3genE9ELNS1_11target_archE1100ELNS1_3gpuE3ELNS1_3repE0EEENS1_30default_config_static_selectorELNS0_4arch9wavefront6targetE0EEEvT1_.num_agpr, 0
	.set _ZN7rocprim17ROCPRIM_400000_NS6detail17trampoline_kernelINS0_14default_configENS1_25partition_config_selectorILNS1_17partition_subalgoE6EsNS0_10empty_typeEbEEZZNS1_14partition_implILS5_6ELb0ES3_mN6thrust23THRUST_200600_302600_NS6detail15normal_iteratorINSA_10device_ptrIsEEEEPS6_SG_NS0_5tupleIJSF_S6_EEENSH_IJSG_SG_EEES6_PlJNSB_9not_fun_tI7is_evenIsEEEEEE10hipError_tPvRmT3_T4_T5_T6_T7_T9_mT8_P12ihipStream_tbDpT10_ENKUlT_T0_E_clISt17integral_constantIbLb0EES18_EEDaS13_S14_EUlS13_E_NS1_11comp_targetILNS1_3genE9ELNS1_11target_archE1100ELNS1_3gpuE3ELNS1_3repE0EEENS1_30default_config_static_selectorELNS0_4arch9wavefront6targetE0EEEvT1_.numbered_sgpr, 0
	.set _ZN7rocprim17ROCPRIM_400000_NS6detail17trampoline_kernelINS0_14default_configENS1_25partition_config_selectorILNS1_17partition_subalgoE6EsNS0_10empty_typeEbEEZZNS1_14partition_implILS5_6ELb0ES3_mN6thrust23THRUST_200600_302600_NS6detail15normal_iteratorINSA_10device_ptrIsEEEEPS6_SG_NS0_5tupleIJSF_S6_EEENSH_IJSG_SG_EEES6_PlJNSB_9not_fun_tI7is_evenIsEEEEEE10hipError_tPvRmT3_T4_T5_T6_T7_T9_mT8_P12ihipStream_tbDpT10_ENKUlT_T0_E_clISt17integral_constantIbLb0EES18_EEDaS13_S14_EUlS13_E_NS1_11comp_targetILNS1_3genE9ELNS1_11target_archE1100ELNS1_3gpuE3ELNS1_3repE0EEENS1_30default_config_static_selectorELNS0_4arch9wavefront6targetE0EEEvT1_.num_named_barrier, 0
	.set _ZN7rocprim17ROCPRIM_400000_NS6detail17trampoline_kernelINS0_14default_configENS1_25partition_config_selectorILNS1_17partition_subalgoE6EsNS0_10empty_typeEbEEZZNS1_14partition_implILS5_6ELb0ES3_mN6thrust23THRUST_200600_302600_NS6detail15normal_iteratorINSA_10device_ptrIsEEEEPS6_SG_NS0_5tupleIJSF_S6_EEENSH_IJSG_SG_EEES6_PlJNSB_9not_fun_tI7is_evenIsEEEEEE10hipError_tPvRmT3_T4_T5_T6_T7_T9_mT8_P12ihipStream_tbDpT10_ENKUlT_T0_E_clISt17integral_constantIbLb0EES18_EEDaS13_S14_EUlS13_E_NS1_11comp_targetILNS1_3genE9ELNS1_11target_archE1100ELNS1_3gpuE3ELNS1_3repE0EEENS1_30default_config_static_selectorELNS0_4arch9wavefront6targetE0EEEvT1_.private_seg_size, 0
	.set _ZN7rocprim17ROCPRIM_400000_NS6detail17trampoline_kernelINS0_14default_configENS1_25partition_config_selectorILNS1_17partition_subalgoE6EsNS0_10empty_typeEbEEZZNS1_14partition_implILS5_6ELb0ES3_mN6thrust23THRUST_200600_302600_NS6detail15normal_iteratorINSA_10device_ptrIsEEEEPS6_SG_NS0_5tupleIJSF_S6_EEENSH_IJSG_SG_EEES6_PlJNSB_9not_fun_tI7is_evenIsEEEEEE10hipError_tPvRmT3_T4_T5_T6_T7_T9_mT8_P12ihipStream_tbDpT10_ENKUlT_T0_E_clISt17integral_constantIbLb0EES18_EEDaS13_S14_EUlS13_E_NS1_11comp_targetILNS1_3genE9ELNS1_11target_archE1100ELNS1_3gpuE3ELNS1_3repE0EEENS1_30default_config_static_selectorELNS0_4arch9wavefront6targetE0EEEvT1_.uses_vcc, 0
	.set _ZN7rocprim17ROCPRIM_400000_NS6detail17trampoline_kernelINS0_14default_configENS1_25partition_config_selectorILNS1_17partition_subalgoE6EsNS0_10empty_typeEbEEZZNS1_14partition_implILS5_6ELb0ES3_mN6thrust23THRUST_200600_302600_NS6detail15normal_iteratorINSA_10device_ptrIsEEEEPS6_SG_NS0_5tupleIJSF_S6_EEENSH_IJSG_SG_EEES6_PlJNSB_9not_fun_tI7is_evenIsEEEEEE10hipError_tPvRmT3_T4_T5_T6_T7_T9_mT8_P12ihipStream_tbDpT10_ENKUlT_T0_E_clISt17integral_constantIbLb0EES18_EEDaS13_S14_EUlS13_E_NS1_11comp_targetILNS1_3genE9ELNS1_11target_archE1100ELNS1_3gpuE3ELNS1_3repE0EEENS1_30default_config_static_selectorELNS0_4arch9wavefront6targetE0EEEvT1_.uses_flat_scratch, 0
	.set _ZN7rocprim17ROCPRIM_400000_NS6detail17trampoline_kernelINS0_14default_configENS1_25partition_config_selectorILNS1_17partition_subalgoE6EsNS0_10empty_typeEbEEZZNS1_14partition_implILS5_6ELb0ES3_mN6thrust23THRUST_200600_302600_NS6detail15normal_iteratorINSA_10device_ptrIsEEEEPS6_SG_NS0_5tupleIJSF_S6_EEENSH_IJSG_SG_EEES6_PlJNSB_9not_fun_tI7is_evenIsEEEEEE10hipError_tPvRmT3_T4_T5_T6_T7_T9_mT8_P12ihipStream_tbDpT10_ENKUlT_T0_E_clISt17integral_constantIbLb0EES18_EEDaS13_S14_EUlS13_E_NS1_11comp_targetILNS1_3genE9ELNS1_11target_archE1100ELNS1_3gpuE3ELNS1_3repE0EEENS1_30default_config_static_selectorELNS0_4arch9wavefront6targetE0EEEvT1_.has_dyn_sized_stack, 0
	.set _ZN7rocprim17ROCPRIM_400000_NS6detail17trampoline_kernelINS0_14default_configENS1_25partition_config_selectorILNS1_17partition_subalgoE6EsNS0_10empty_typeEbEEZZNS1_14partition_implILS5_6ELb0ES3_mN6thrust23THRUST_200600_302600_NS6detail15normal_iteratorINSA_10device_ptrIsEEEEPS6_SG_NS0_5tupleIJSF_S6_EEENSH_IJSG_SG_EEES6_PlJNSB_9not_fun_tI7is_evenIsEEEEEE10hipError_tPvRmT3_T4_T5_T6_T7_T9_mT8_P12ihipStream_tbDpT10_ENKUlT_T0_E_clISt17integral_constantIbLb0EES18_EEDaS13_S14_EUlS13_E_NS1_11comp_targetILNS1_3genE9ELNS1_11target_archE1100ELNS1_3gpuE3ELNS1_3repE0EEENS1_30default_config_static_selectorELNS0_4arch9wavefront6targetE0EEEvT1_.has_recursion, 0
	.set _ZN7rocprim17ROCPRIM_400000_NS6detail17trampoline_kernelINS0_14default_configENS1_25partition_config_selectorILNS1_17partition_subalgoE6EsNS0_10empty_typeEbEEZZNS1_14partition_implILS5_6ELb0ES3_mN6thrust23THRUST_200600_302600_NS6detail15normal_iteratorINSA_10device_ptrIsEEEEPS6_SG_NS0_5tupleIJSF_S6_EEENSH_IJSG_SG_EEES6_PlJNSB_9not_fun_tI7is_evenIsEEEEEE10hipError_tPvRmT3_T4_T5_T6_T7_T9_mT8_P12ihipStream_tbDpT10_ENKUlT_T0_E_clISt17integral_constantIbLb0EES18_EEDaS13_S14_EUlS13_E_NS1_11comp_targetILNS1_3genE9ELNS1_11target_archE1100ELNS1_3gpuE3ELNS1_3repE0EEENS1_30default_config_static_selectorELNS0_4arch9wavefront6targetE0EEEvT1_.has_indirect_call, 0
	.section	.AMDGPU.csdata,"",@progbits
; Kernel info:
; codeLenInByte = 0
; TotalNumSgprs: 0
; NumVgprs: 0
; ScratchSize: 0
; MemoryBound: 0
; FloatMode: 240
; IeeeMode: 1
; LDSByteSize: 0 bytes/workgroup (compile time only)
; SGPRBlocks: 0
; VGPRBlocks: 0
; NumSGPRsForWavesPerEU: 1
; NumVGPRsForWavesPerEU: 1
; Occupancy: 16
; WaveLimiterHint : 0
; COMPUTE_PGM_RSRC2:SCRATCH_EN: 0
; COMPUTE_PGM_RSRC2:USER_SGPR: 2
; COMPUTE_PGM_RSRC2:TRAP_HANDLER: 0
; COMPUTE_PGM_RSRC2:TGID_X_EN: 1
; COMPUTE_PGM_RSRC2:TGID_Y_EN: 0
; COMPUTE_PGM_RSRC2:TGID_Z_EN: 0
; COMPUTE_PGM_RSRC2:TIDIG_COMP_CNT: 0
	.section	.text._ZN7rocprim17ROCPRIM_400000_NS6detail17trampoline_kernelINS0_14default_configENS1_25partition_config_selectorILNS1_17partition_subalgoE6EsNS0_10empty_typeEbEEZZNS1_14partition_implILS5_6ELb0ES3_mN6thrust23THRUST_200600_302600_NS6detail15normal_iteratorINSA_10device_ptrIsEEEEPS6_SG_NS0_5tupleIJSF_S6_EEENSH_IJSG_SG_EEES6_PlJNSB_9not_fun_tI7is_evenIsEEEEEE10hipError_tPvRmT3_T4_T5_T6_T7_T9_mT8_P12ihipStream_tbDpT10_ENKUlT_T0_E_clISt17integral_constantIbLb0EES18_EEDaS13_S14_EUlS13_E_NS1_11comp_targetILNS1_3genE8ELNS1_11target_archE1030ELNS1_3gpuE2ELNS1_3repE0EEENS1_30default_config_static_selectorELNS0_4arch9wavefront6targetE0EEEvT1_,"axG",@progbits,_ZN7rocprim17ROCPRIM_400000_NS6detail17trampoline_kernelINS0_14default_configENS1_25partition_config_selectorILNS1_17partition_subalgoE6EsNS0_10empty_typeEbEEZZNS1_14partition_implILS5_6ELb0ES3_mN6thrust23THRUST_200600_302600_NS6detail15normal_iteratorINSA_10device_ptrIsEEEEPS6_SG_NS0_5tupleIJSF_S6_EEENSH_IJSG_SG_EEES6_PlJNSB_9not_fun_tI7is_evenIsEEEEEE10hipError_tPvRmT3_T4_T5_T6_T7_T9_mT8_P12ihipStream_tbDpT10_ENKUlT_T0_E_clISt17integral_constantIbLb0EES18_EEDaS13_S14_EUlS13_E_NS1_11comp_targetILNS1_3genE8ELNS1_11target_archE1030ELNS1_3gpuE2ELNS1_3repE0EEENS1_30default_config_static_selectorELNS0_4arch9wavefront6targetE0EEEvT1_,comdat
	.protected	_ZN7rocprim17ROCPRIM_400000_NS6detail17trampoline_kernelINS0_14default_configENS1_25partition_config_selectorILNS1_17partition_subalgoE6EsNS0_10empty_typeEbEEZZNS1_14partition_implILS5_6ELb0ES3_mN6thrust23THRUST_200600_302600_NS6detail15normal_iteratorINSA_10device_ptrIsEEEEPS6_SG_NS0_5tupleIJSF_S6_EEENSH_IJSG_SG_EEES6_PlJNSB_9not_fun_tI7is_evenIsEEEEEE10hipError_tPvRmT3_T4_T5_T6_T7_T9_mT8_P12ihipStream_tbDpT10_ENKUlT_T0_E_clISt17integral_constantIbLb0EES18_EEDaS13_S14_EUlS13_E_NS1_11comp_targetILNS1_3genE8ELNS1_11target_archE1030ELNS1_3gpuE2ELNS1_3repE0EEENS1_30default_config_static_selectorELNS0_4arch9wavefront6targetE0EEEvT1_ ; -- Begin function _ZN7rocprim17ROCPRIM_400000_NS6detail17trampoline_kernelINS0_14default_configENS1_25partition_config_selectorILNS1_17partition_subalgoE6EsNS0_10empty_typeEbEEZZNS1_14partition_implILS5_6ELb0ES3_mN6thrust23THRUST_200600_302600_NS6detail15normal_iteratorINSA_10device_ptrIsEEEEPS6_SG_NS0_5tupleIJSF_S6_EEENSH_IJSG_SG_EEES6_PlJNSB_9not_fun_tI7is_evenIsEEEEEE10hipError_tPvRmT3_T4_T5_T6_T7_T9_mT8_P12ihipStream_tbDpT10_ENKUlT_T0_E_clISt17integral_constantIbLb0EES18_EEDaS13_S14_EUlS13_E_NS1_11comp_targetILNS1_3genE8ELNS1_11target_archE1030ELNS1_3gpuE2ELNS1_3repE0EEENS1_30default_config_static_selectorELNS0_4arch9wavefront6targetE0EEEvT1_
	.globl	_ZN7rocprim17ROCPRIM_400000_NS6detail17trampoline_kernelINS0_14default_configENS1_25partition_config_selectorILNS1_17partition_subalgoE6EsNS0_10empty_typeEbEEZZNS1_14partition_implILS5_6ELb0ES3_mN6thrust23THRUST_200600_302600_NS6detail15normal_iteratorINSA_10device_ptrIsEEEEPS6_SG_NS0_5tupleIJSF_S6_EEENSH_IJSG_SG_EEES6_PlJNSB_9not_fun_tI7is_evenIsEEEEEE10hipError_tPvRmT3_T4_T5_T6_T7_T9_mT8_P12ihipStream_tbDpT10_ENKUlT_T0_E_clISt17integral_constantIbLb0EES18_EEDaS13_S14_EUlS13_E_NS1_11comp_targetILNS1_3genE8ELNS1_11target_archE1030ELNS1_3gpuE2ELNS1_3repE0EEENS1_30default_config_static_selectorELNS0_4arch9wavefront6targetE0EEEvT1_
	.p2align	8
	.type	_ZN7rocprim17ROCPRIM_400000_NS6detail17trampoline_kernelINS0_14default_configENS1_25partition_config_selectorILNS1_17partition_subalgoE6EsNS0_10empty_typeEbEEZZNS1_14partition_implILS5_6ELb0ES3_mN6thrust23THRUST_200600_302600_NS6detail15normal_iteratorINSA_10device_ptrIsEEEEPS6_SG_NS0_5tupleIJSF_S6_EEENSH_IJSG_SG_EEES6_PlJNSB_9not_fun_tI7is_evenIsEEEEEE10hipError_tPvRmT3_T4_T5_T6_T7_T9_mT8_P12ihipStream_tbDpT10_ENKUlT_T0_E_clISt17integral_constantIbLb0EES18_EEDaS13_S14_EUlS13_E_NS1_11comp_targetILNS1_3genE8ELNS1_11target_archE1030ELNS1_3gpuE2ELNS1_3repE0EEENS1_30default_config_static_selectorELNS0_4arch9wavefront6targetE0EEEvT1_,@function
_ZN7rocprim17ROCPRIM_400000_NS6detail17trampoline_kernelINS0_14default_configENS1_25partition_config_selectorILNS1_17partition_subalgoE6EsNS0_10empty_typeEbEEZZNS1_14partition_implILS5_6ELb0ES3_mN6thrust23THRUST_200600_302600_NS6detail15normal_iteratorINSA_10device_ptrIsEEEEPS6_SG_NS0_5tupleIJSF_S6_EEENSH_IJSG_SG_EEES6_PlJNSB_9not_fun_tI7is_evenIsEEEEEE10hipError_tPvRmT3_T4_T5_T6_T7_T9_mT8_P12ihipStream_tbDpT10_ENKUlT_T0_E_clISt17integral_constantIbLb0EES18_EEDaS13_S14_EUlS13_E_NS1_11comp_targetILNS1_3genE8ELNS1_11target_archE1030ELNS1_3gpuE2ELNS1_3repE0EEENS1_30default_config_static_selectorELNS0_4arch9wavefront6targetE0EEEvT1_: ; @_ZN7rocprim17ROCPRIM_400000_NS6detail17trampoline_kernelINS0_14default_configENS1_25partition_config_selectorILNS1_17partition_subalgoE6EsNS0_10empty_typeEbEEZZNS1_14partition_implILS5_6ELb0ES3_mN6thrust23THRUST_200600_302600_NS6detail15normal_iteratorINSA_10device_ptrIsEEEEPS6_SG_NS0_5tupleIJSF_S6_EEENSH_IJSG_SG_EEES6_PlJNSB_9not_fun_tI7is_evenIsEEEEEE10hipError_tPvRmT3_T4_T5_T6_T7_T9_mT8_P12ihipStream_tbDpT10_ENKUlT_T0_E_clISt17integral_constantIbLb0EES18_EEDaS13_S14_EUlS13_E_NS1_11comp_targetILNS1_3genE8ELNS1_11target_archE1030ELNS1_3gpuE2ELNS1_3repE0EEENS1_30default_config_static_selectorELNS0_4arch9wavefront6targetE0EEEvT1_
; %bb.0:
	.section	.rodata,"a",@progbits
	.p2align	6, 0x0
	.amdhsa_kernel _ZN7rocprim17ROCPRIM_400000_NS6detail17trampoline_kernelINS0_14default_configENS1_25partition_config_selectorILNS1_17partition_subalgoE6EsNS0_10empty_typeEbEEZZNS1_14partition_implILS5_6ELb0ES3_mN6thrust23THRUST_200600_302600_NS6detail15normal_iteratorINSA_10device_ptrIsEEEEPS6_SG_NS0_5tupleIJSF_S6_EEENSH_IJSG_SG_EEES6_PlJNSB_9not_fun_tI7is_evenIsEEEEEE10hipError_tPvRmT3_T4_T5_T6_T7_T9_mT8_P12ihipStream_tbDpT10_ENKUlT_T0_E_clISt17integral_constantIbLb0EES18_EEDaS13_S14_EUlS13_E_NS1_11comp_targetILNS1_3genE8ELNS1_11target_archE1030ELNS1_3gpuE2ELNS1_3repE0EEENS1_30default_config_static_selectorELNS0_4arch9wavefront6targetE0EEEvT1_
		.amdhsa_group_segment_fixed_size 0
		.amdhsa_private_segment_fixed_size 0
		.amdhsa_kernarg_size 112
		.amdhsa_user_sgpr_count 2
		.amdhsa_user_sgpr_dispatch_ptr 0
		.amdhsa_user_sgpr_queue_ptr 0
		.amdhsa_user_sgpr_kernarg_segment_ptr 1
		.amdhsa_user_sgpr_dispatch_id 0
		.amdhsa_user_sgpr_private_segment_size 0
		.amdhsa_wavefront_size32 1
		.amdhsa_uses_dynamic_stack 0
		.amdhsa_enable_private_segment 0
		.amdhsa_system_sgpr_workgroup_id_x 1
		.amdhsa_system_sgpr_workgroup_id_y 0
		.amdhsa_system_sgpr_workgroup_id_z 0
		.amdhsa_system_sgpr_workgroup_info 0
		.amdhsa_system_vgpr_workitem_id 0
		.amdhsa_next_free_vgpr 1
		.amdhsa_next_free_sgpr 1
		.amdhsa_reserve_vcc 0
		.amdhsa_float_round_mode_32 0
		.amdhsa_float_round_mode_16_64 0
		.amdhsa_float_denorm_mode_32 3
		.amdhsa_float_denorm_mode_16_64 3
		.amdhsa_fp16_overflow 0
		.amdhsa_workgroup_processor_mode 1
		.amdhsa_memory_ordered 1
		.amdhsa_forward_progress 1
		.amdhsa_inst_pref_size 0
		.amdhsa_round_robin_scheduling 0
		.amdhsa_exception_fp_ieee_invalid_op 0
		.amdhsa_exception_fp_denorm_src 0
		.amdhsa_exception_fp_ieee_div_zero 0
		.amdhsa_exception_fp_ieee_overflow 0
		.amdhsa_exception_fp_ieee_underflow 0
		.amdhsa_exception_fp_ieee_inexact 0
		.amdhsa_exception_int_div_zero 0
	.end_amdhsa_kernel
	.section	.text._ZN7rocprim17ROCPRIM_400000_NS6detail17trampoline_kernelINS0_14default_configENS1_25partition_config_selectorILNS1_17partition_subalgoE6EsNS0_10empty_typeEbEEZZNS1_14partition_implILS5_6ELb0ES3_mN6thrust23THRUST_200600_302600_NS6detail15normal_iteratorINSA_10device_ptrIsEEEEPS6_SG_NS0_5tupleIJSF_S6_EEENSH_IJSG_SG_EEES6_PlJNSB_9not_fun_tI7is_evenIsEEEEEE10hipError_tPvRmT3_T4_T5_T6_T7_T9_mT8_P12ihipStream_tbDpT10_ENKUlT_T0_E_clISt17integral_constantIbLb0EES18_EEDaS13_S14_EUlS13_E_NS1_11comp_targetILNS1_3genE8ELNS1_11target_archE1030ELNS1_3gpuE2ELNS1_3repE0EEENS1_30default_config_static_selectorELNS0_4arch9wavefront6targetE0EEEvT1_,"axG",@progbits,_ZN7rocprim17ROCPRIM_400000_NS6detail17trampoline_kernelINS0_14default_configENS1_25partition_config_selectorILNS1_17partition_subalgoE6EsNS0_10empty_typeEbEEZZNS1_14partition_implILS5_6ELb0ES3_mN6thrust23THRUST_200600_302600_NS6detail15normal_iteratorINSA_10device_ptrIsEEEEPS6_SG_NS0_5tupleIJSF_S6_EEENSH_IJSG_SG_EEES6_PlJNSB_9not_fun_tI7is_evenIsEEEEEE10hipError_tPvRmT3_T4_T5_T6_T7_T9_mT8_P12ihipStream_tbDpT10_ENKUlT_T0_E_clISt17integral_constantIbLb0EES18_EEDaS13_S14_EUlS13_E_NS1_11comp_targetILNS1_3genE8ELNS1_11target_archE1030ELNS1_3gpuE2ELNS1_3repE0EEENS1_30default_config_static_selectorELNS0_4arch9wavefront6targetE0EEEvT1_,comdat
.Lfunc_end764:
	.size	_ZN7rocprim17ROCPRIM_400000_NS6detail17trampoline_kernelINS0_14default_configENS1_25partition_config_selectorILNS1_17partition_subalgoE6EsNS0_10empty_typeEbEEZZNS1_14partition_implILS5_6ELb0ES3_mN6thrust23THRUST_200600_302600_NS6detail15normal_iteratorINSA_10device_ptrIsEEEEPS6_SG_NS0_5tupleIJSF_S6_EEENSH_IJSG_SG_EEES6_PlJNSB_9not_fun_tI7is_evenIsEEEEEE10hipError_tPvRmT3_T4_T5_T6_T7_T9_mT8_P12ihipStream_tbDpT10_ENKUlT_T0_E_clISt17integral_constantIbLb0EES18_EEDaS13_S14_EUlS13_E_NS1_11comp_targetILNS1_3genE8ELNS1_11target_archE1030ELNS1_3gpuE2ELNS1_3repE0EEENS1_30default_config_static_selectorELNS0_4arch9wavefront6targetE0EEEvT1_, .Lfunc_end764-_ZN7rocprim17ROCPRIM_400000_NS6detail17trampoline_kernelINS0_14default_configENS1_25partition_config_selectorILNS1_17partition_subalgoE6EsNS0_10empty_typeEbEEZZNS1_14partition_implILS5_6ELb0ES3_mN6thrust23THRUST_200600_302600_NS6detail15normal_iteratorINSA_10device_ptrIsEEEEPS6_SG_NS0_5tupleIJSF_S6_EEENSH_IJSG_SG_EEES6_PlJNSB_9not_fun_tI7is_evenIsEEEEEE10hipError_tPvRmT3_T4_T5_T6_T7_T9_mT8_P12ihipStream_tbDpT10_ENKUlT_T0_E_clISt17integral_constantIbLb0EES18_EEDaS13_S14_EUlS13_E_NS1_11comp_targetILNS1_3genE8ELNS1_11target_archE1030ELNS1_3gpuE2ELNS1_3repE0EEENS1_30default_config_static_selectorELNS0_4arch9wavefront6targetE0EEEvT1_
                                        ; -- End function
	.set _ZN7rocprim17ROCPRIM_400000_NS6detail17trampoline_kernelINS0_14default_configENS1_25partition_config_selectorILNS1_17partition_subalgoE6EsNS0_10empty_typeEbEEZZNS1_14partition_implILS5_6ELb0ES3_mN6thrust23THRUST_200600_302600_NS6detail15normal_iteratorINSA_10device_ptrIsEEEEPS6_SG_NS0_5tupleIJSF_S6_EEENSH_IJSG_SG_EEES6_PlJNSB_9not_fun_tI7is_evenIsEEEEEE10hipError_tPvRmT3_T4_T5_T6_T7_T9_mT8_P12ihipStream_tbDpT10_ENKUlT_T0_E_clISt17integral_constantIbLb0EES18_EEDaS13_S14_EUlS13_E_NS1_11comp_targetILNS1_3genE8ELNS1_11target_archE1030ELNS1_3gpuE2ELNS1_3repE0EEENS1_30default_config_static_selectorELNS0_4arch9wavefront6targetE0EEEvT1_.num_vgpr, 0
	.set _ZN7rocprim17ROCPRIM_400000_NS6detail17trampoline_kernelINS0_14default_configENS1_25partition_config_selectorILNS1_17partition_subalgoE6EsNS0_10empty_typeEbEEZZNS1_14partition_implILS5_6ELb0ES3_mN6thrust23THRUST_200600_302600_NS6detail15normal_iteratorINSA_10device_ptrIsEEEEPS6_SG_NS0_5tupleIJSF_S6_EEENSH_IJSG_SG_EEES6_PlJNSB_9not_fun_tI7is_evenIsEEEEEE10hipError_tPvRmT3_T4_T5_T6_T7_T9_mT8_P12ihipStream_tbDpT10_ENKUlT_T0_E_clISt17integral_constantIbLb0EES18_EEDaS13_S14_EUlS13_E_NS1_11comp_targetILNS1_3genE8ELNS1_11target_archE1030ELNS1_3gpuE2ELNS1_3repE0EEENS1_30default_config_static_selectorELNS0_4arch9wavefront6targetE0EEEvT1_.num_agpr, 0
	.set _ZN7rocprim17ROCPRIM_400000_NS6detail17trampoline_kernelINS0_14default_configENS1_25partition_config_selectorILNS1_17partition_subalgoE6EsNS0_10empty_typeEbEEZZNS1_14partition_implILS5_6ELb0ES3_mN6thrust23THRUST_200600_302600_NS6detail15normal_iteratorINSA_10device_ptrIsEEEEPS6_SG_NS0_5tupleIJSF_S6_EEENSH_IJSG_SG_EEES6_PlJNSB_9not_fun_tI7is_evenIsEEEEEE10hipError_tPvRmT3_T4_T5_T6_T7_T9_mT8_P12ihipStream_tbDpT10_ENKUlT_T0_E_clISt17integral_constantIbLb0EES18_EEDaS13_S14_EUlS13_E_NS1_11comp_targetILNS1_3genE8ELNS1_11target_archE1030ELNS1_3gpuE2ELNS1_3repE0EEENS1_30default_config_static_selectorELNS0_4arch9wavefront6targetE0EEEvT1_.numbered_sgpr, 0
	.set _ZN7rocprim17ROCPRIM_400000_NS6detail17trampoline_kernelINS0_14default_configENS1_25partition_config_selectorILNS1_17partition_subalgoE6EsNS0_10empty_typeEbEEZZNS1_14partition_implILS5_6ELb0ES3_mN6thrust23THRUST_200600_302600_NS6detail15normal_iteratorINSA_10device_ptrIsEEEEPS6_SG_NS0_5tupleIJSF_S6_EEENSH_IJSG_SG_EEES6_PlJNSB_9not_fun_tI7is_evenIsEEEEEE10hipError_tPvRmT3_T4_T5_T6_T7_T9_mT8_P12ihipStream_tbDpT10_ENKUlT_T0_E_clISt17integral_constantIbLb0EES18_EEDaS13_S14_EUlS13_E_NS1_11comp_targetILNS1_3genE8ELNS1_11target_archE1030ELNS1_3gpuE2ELNS1_3repE0EEENS1_30default_config_static_selectorELNS0_4arch9wavefront6targetE0EEEvT1_.num_named_barrier, 0
	.set _ZN7rocprim17ROCPRIM_400000_NS6detail17trampoline_kernelINS0_14default_configENS1_25partition_config_selectorILNS1_17partition_subalgoE6EsNS0_10empty_typeEbEEZZNS1_14partition_implILS5_6ELb0ES3_mN6thrust23THRUST_200600_302600_NS6detail15normal_iteratorINSA_10device_ptrIsEEEEPS6_SG_NS0_5tupleIJSF_S6_EEENSH_IJSG_SG_EEES6_PlJNSB_9not_fun_tI7is_evenIsEEEEEE10hipError_tPvRmT3_T4_T5_T6_T7_T9_mT8_P12ihipStream_tbDpT10_ENKUlT_T0_E_clISt17integral_constantIbLb0EES18_EEDaS13_S14_EUlS13_E_NS1_11comp_targetILNS1_3genE8ELNS1_11target_archE1030ELNS1_3gpuE2ELNS1_3repE0EEENS1_30default_config_static_selectorELNS0_4arch9wavefront6targetE0EEEvT1_.private_seg_size, 0
	.set _ZN7rocprim17ROCPRIM_400000_NS6detail17trampoline_kernelINS0_14default_configENS1_25partition_config_selectorILNS1_17partition_subalgoE6EsNS0_10empty_typeEbEEZZNS1_14partition_implILS5_6ELb0ES3_mN6thrust23THRUST_200600_302600_NS6detail15normal_iteratorINSA_10device_ptrIsEEEEPS6_SG_NS0_5tupleIJSF_S6_EEENSH_IJSG_SG_EEES6_PlJNSB_9not_fun_tI7is_evenIsEEEEEE10hipError_tPvRmT3_T4_T5_T6_T7_T9_mT8_P12ihipStream_tbDpT10_ENKUlT_T0_E_clISt17integral_constantIbLb0EES18_EEDaS13_S14_EUlS13_E_NS1_11comp_targetILNS1_3genE8ELNS1_11target_archE1030ELNS1_3gpuE2ELNS1_3repE0EEENS1_30default_config_static_selectorELNS0_4arch9wavefront6targetE0EEEvT1_.uses_vcc, 0
	.set _ZN7rocprim17ROCPRIM_400000_NS6detail17trampoline_kernelINS0_14default_configENS1_25partition_config_selectorILNS1_17partition_subalgoE6EsNS0_10empty_typeEbEEZZNS1_14partition_implILS5_6ELb0ES3_mN6thrust23THRUST_200600_302600_NS6detail15normal_iteratorINSA_10device_ptrIsEEEEPS6_SG_NS0_5tupleIJSF_S6_EEENSH_IJSG_SG_EEES6_PlJNSB_9not_fun_tI7is_evenIsEEEEEE10hipError_tPvRmT3_T4_T5_T6_T7_T9_mT8_P12ihipStream_tbDpT10_ENKUlT_T0_E_clISt17integral_constantIbLb0EES18_EEDaS13_S14_EUlS13_E_NS1_11comp_targetILNS1_3genE8ELNS1_11target_archE1030ELNS1_3gpuE2ELNS1_3repE0EEENS1_30default_config_static_selectorELNS0_4arch9wavefront6targetE0EEEvT1_.uses_flat_scratch, 0
	.set _ZN7rocprim17ROCPRIM_400000_NS6detail17trampoline_kernelINS0_14default_configENS1_25partition_config_selectorILNS1_17partition_subalgoE6EsNS0_10empty_typeEbEEZZNS1_14partition_implILS5_6ELb0ES3_mN6thrust23THRUST_200600_302600_NS6detail15normal_iteratorINSA_10device_ptrIsEEEEPS6_SG_NS0_5tupleIJSF_S6_EEENSH_IJSG_SG_EEES6_PlJNSB_9not_fun_tI7is_evenIsEEEEEE10hipError_tPvRmT3_T4_T5_T6_T7_T9_mT8_P12ihipStream_tbDpT10_ENKUlT_T0_E_clISt17integral_constantIbLb0EES18_EEDaS13_S14_EUlS13_E_NS1_11comp_targetILNS1_3genE8ELNS1_11target_archE1030ELNS1_3gpuE2ELNS1_3repE0EEENS1_30default_config_static_selectorELNS0_4arch9wavefront6targetE0EEEvT1_.has_dyn_sized_stack, 0
	.set _ZN7rocprim17ROCPRIM_400000_NS6detail17trampoline_kernelINS0_14default_configENS1_25partition_config_selectorILNS1_17partition_subalgoE6EsNS0_10empty_typeEbEEZZNS1_14partition_implILS5_6ELb0ES3_mN6thrust23THRUST_200600_302600_NS6detail15normal_iteratorINSA_10device_ptrIsEEEEPS6_SG_NS0_5tupleIJSF_S6_EEENSH_IJSG_SG_EEES6_PlJNSB_9not_fun_tI7is_evenIsEEEEEE10hipError_tPvRmT3_T4_T5_T6_T7_T9_mT8_P12ihipStream_tbDpT10_ENKUlT_T0_E_clISt17integral_constantIbLb0EES18_EEDaS13_S14_EUlS13_E_NS1_11comp_targetILNS1_3genE8ELNS1_11target_archE1030ELNS1_3gpuE2ELNS1_3repE0EEENS1_30default_config_static_selectorELNS0_4arch9wavefront6targetE0EEEvT1_.has_recursion, 0
	.set _ZN7rocprim17ROCPRIM_400000_NS6detail17trampoline_kernelINS0_14default_configENS1_25partition_config_selectorILNS1_17partition_subalgoE6EsNS0_10empty_typeEbEEZZNS1_14partition_implILS5_6ELb0ES3_mN6thrust23THRUST_200600_302600_NS6detail15normal_iteratorINSA_10device_ptrIsEEEEPS6_SG_NS0_5tupleIJSF_S6_EEENSH_IJSG_SG_EEES6_PlJNSB_9not_fun_tI7is_evenIsEEEEEE10hipError_tPvRmT3_T4_T5_T6_T7_T9_mT8_P12ihipStream_tbDpT10_ENKUlT_T0_E_clISt17integral_constantIbLb0EES18_EEDaS13_S14_EUlS13_E_NS1_11comp_targetILNS1_3genE8ELNS1_11target_archE1030ELNS1_3gpuE2ELNS1_3repE0EEENS1_30default_config_static_selectorELNS0_4arch9wavefront6targetE0EEEvT1_.has_indirect_call, 0
	.section	.AMDGPU.csdata,"",@progbits
; Kernel info:
; codeLenInByte = 0
; TotalNumSgprs: 0
; NumVgprs: 0
; ScratchSize: 0
; MemoryBound: 0
; FloatMode: 240
; IeeeMode: 1
; LDSByteSize: 0 bytes/workgroup (compile time only)
; SGPRBlocks: 0
; VGPRBlocks: 0
; NumSGPRsForWavesPerEU: 1
; NumVGPRsForWavesPerEU: 1
; Occupancy: 16
; WaveLimiterHint : 0
; COMPUTE_PGM_RSRC2:SCRATCH_EN: 0
; COMPUTE_PGM_RSRC2:USER_SGPR: 2
; COMPUTE_PGM_RSRC2:TRAP_HANDLER: 0
; COMPUTE_PGM_RSRC2:TGID_X_EN: 1
; COMPUTE_PGM_RSRC2:TGID_Y_EN: 0
; COMPUTE_PGM_RSRC2:TGID_Z_EN: 0
; COMPUTE_PGM_RSRC2:TIDIG_COMP_CNT: 0
	.section	.text._ZN7rocprim17ROCPRIM_400000_NS6detail17trampoline_kernelINS0_14default_configENS1_25partition_config_selectorILNS1_17partition_subalgoE6EsNS0_10empty_typeEbEEZZNS1_14partition_implILS5_6ELb0ES3_mN6thrust23THRUST_200600_302600_NS6detail15normal_iteratorINSA_10device_ptrIsEEEEPS6_SG_NS0_5tupleIJSF_S6_EEENSH_IJSG_SG_EEES6_PlJNSB_9not_fun_tI7is_evenIsEEEEEE10hipError_tPvRmT3_T4_T5_T6_T7_T9_mT8_P12ihipStream_tbDpT10_ENKUlT_T0_E_clISt17integral_constantIbLb1EES18_EEDaS13_S14_EUlS13_E_NS1_11comp_targetILNS1_3genE0ELNS1_11target_archE4294967295ELNS1_3gpuE0ELNS1_3repE0EEENS1_30default_config_static_selectorELNS0_4arch9wavefront6targetE0EEEvT1_,"axG",@progbits,_ZN7rocprim17ROCPRIM_400000_NS6detail17trampoline_kernelINS0_14default_configENS1_25partition_config_selectorILNS1_17partition_subalgoE6EsNS0_10empty_typeEbEEZZNS1_14partition_implILS5_6ELb0ES3_mN6thrust23THRUST_200600_302600_NS6detail15normal_iteratorINSA_10device_ptrIsEEEEPS6_SG_NS0_5tupleIJSF_S6_EEENSH_IJSG_SG_EEES6_PlJNSB_9not_fun_tI7is_evenIsEEEEEE10hipError_tPvRmT3_T4_T5_T6_T7_T9_mT8_P12ihipStream_tbDpT10_ENKUlT_T0_E_clISt17integral_constantIbLb1EES18_EEDaS13_S14_EUlS13_E_NS1_11comp_targetILNS1_3genE0ELNS1_11target_archE4294967295ELNS1_3gpuE0ELNS1_3repE0EEENS1_30default_config_static_selectorELNS0_4arch9wavefront6targetE0EEEvT1_,comdat
	.protected	_ZN7rocprim17ROCPRIM_400000_NS6detail17trampoline_kernelINS0_14default_configENS1_25partition_config_selectorILNS1_17partition_subalgoE6EsNS0_10empty_typeEbEEZZNS1_14partition_implILS5_6ELb0ES3_mN6thrust23THRUST_200600_302600_NS6detail15normal_iteratorINSA_10device_ptrIsEEEEPS6_SG_NS0_5tupleIJSF_S6_EEENSH_IJSG_SG_EEES6_PlJNSB_9not_fun_tI7is_evenIsEEEEEE10hipError_tPvRmT3_T4_T5_T6_T7_T9_mT8_P12ihipStream_tbDpT10_ENKUlT_T0_E_clISt17integral_constantIbLb1EES18_EEDaS13_S14_EUlS13_E_NS1_11comp_targetILNS1_3genE0ELNS1_11target_archE4294967295ELNS1_3gpuE0ELNS1_3repE0EEENS1_30default_config_static_selectorELNS0_4arch9wavefront6targetE0EEEvT1_ ; -- Begin function _ZN7rocprim17ROCPRIM_400000_NS6detail17trampoline_kernelINS0_14default_configENS1_25partition_config_selectorILNS1_17partition_subalgoE6EsNS0_10empty_typeEbEEZZNS1_14partition_implILS5_6ELb0ES3_mN6thrust23THRUST_200600_302600_NS6detail15normal_iteratorINSA_10device_ptrIsEEEEPS6_SG_NS0_5tupleIJSF_S6_EEENSH_IJSG_SG_EEES6_PlJNSB_9not_fun_tI7is_evenIsEEEEEE10hipError_tPvRmT3_T4_T5_T6_T7_T9_mT8_P12ihipStream_tbDpT10_ENKUlT_T0_E_clISt17integral_constantIbLb1EES18_EEDaS13_S14_EUlS13_E_NS1_11comp_targetILNS1_3genE0ELNS1_11target_archE4294967295ELNS1_3gpuE0ELNS1_3repE0EEENS1_30default_config_static_selectorELNS0_4arch9wavefront6targetE0EEEvT1_
	.globl	_ZN7rocprim17ROCPRIM_400000_NS6detail17trampoline_kernelINS0_14default_configENS1_25partition_config_selectorILNS1_17partition_subalgoE6EsNS0_10empty_typeEbEEZZNS1_14partition_implILS5_6ELb0ES3_mN6thrust23THRUST_200600_302600_NS6detail15normal_iteratorINSA_10device_ptrIsEEEEPS6_SG_NS0_5tupleIJSF_S6_EEENSH_IJSG_SG_EEES6_PlJNSB_9not_fun_tI7is_evenIsEEEEEE10hipError_tPvRmT3_T4_T5_T6_T7_T9_mT8_P12ihipStream_tbDpT10_ENKUlT_T0_E_clISt17integral_constantIbLb1EES18_EEDaS13_S14_EUlS13_E_NS1_11comp_targetILNS1_3genE0ELNS1_11target_archE4294967295ELNS1_3gpuE0ELNS1_3repE0EEENS1_30default_config_static_selectorELNS0_4arch9wavefront6targetE0EEEvT1_
	.p2align	8
	.type	_ZN7rocprim17ROCPRIM_400000_NS6detail17trampoline_kernelINS0_14default_configENS1_25partition_config_selectorILNS1_17partition_subalgoE6EsNS0_10empty_typeEbEEZZNS1_14partition_implILS5_6ELb0ES3_mN6thrust23THRUST_200600_302600_NS6detail15normal_iteratorINSA_10device_ptrIsEEEEPS6_SG_NS0_5tupleIJSF_S6_EEENSH_IJSG_SG_EEES6_PlJNSB_9not_fun_tI7is_evenIsEEEEEE10hipError_tPvRmT3_T4_T5_T6_T7_T9_mT8_P12ihipStream_tbDpT10_ENKUlT_T0_E_clISt17integral_constantIbLb1EES18_EEDaS13_S14_EUlS13_E_NS1_11comp_targetILNS1_3genE0ELNS1_11target_archE4294967295ELNS1_3gpuE0ELNS1_3repE0EEENS1_30default_config_static_selectorELNS0_4arch9wavefront6targetE0EEEvT1_,@function
_ZN7rocprim17ROCPRIM_400000_NS6detail17trampoline_kernelINS0_14default_configENS1_25partition_config_selectorILNS1_17partition_subalgoE6EsNS0_10empty_typeEbEEZZNS1_14partition_implILS5_6ELb0ES3_mN6thrust23THRUST_200600_302600_NS6detail15normal_iteratorINSA_10device_ptrIsEEEEPS6_SG_NS0_5tupleIJSF_S6_EEENSH_IJSG_SG_EEES6_PlJNSB_9not_fun_tI7is_evenIsEEEEEE10hipError_tPvRmT3_T4_T5_T6_T7_T9_mT8_P12ihipStream_tbDpT10_ENKUlT_T0_E_clISt17integral_constantIbLb1EES18_EEDaS13_S14_EUlS13_E_NS1_11comp_targetILNS1_3genE0ELNS1_11target_archE4294967295ELNS1_3gpuE0ELNS1_3repE0EEENS1_30default_config_static_selectorELNS0_4arch9wavefront6targetE0EEEvT1_: ; @_ZN7rocprim17ROCPRIM_400000_NS6detail17trampoline_kernelINS0_14default_configENS1_25partition_config_selectorILNS1_17partition_subalgoE6EsNS0_10empty_typeEbEEZZNS1_14partition_implILS5_6ELb0ES3_mN6thrust23THRUST_200600_302600_NS6detail15normal_iteratorINSA_10device_ptrIsEEEEPS6_SG_NS0_5tupleIJSF_S6_EEENSH_IJSG_SG_EEES6_PlJNSB_9not_fun_tI7is_evenIsEEEEEE10hipError_tPvRmT3_T4_T5_T6_T7_T9_mT8_P12ihipStream_tbDpT10_ENKUlT_T0_E_clISt17integral_constantIbLb1EES18_EEDaS13_S14_EUlS13_E_NS1_11comp_targetILNS1_3genE0ELNS1_11target_archE4294967295ELNS1_3gpuE0ELNS1_3repE0EEENS1_30default_config_static_selectorELNS0_4arch9wavefront6targetE0EEEvT1_
; %bb.0:
	.section	.rodata,"a",@progbits
	.p2align	6, 0x0
	.amdhsa_kernel _ZN7rocprim17ROCPRIM_400000_NS6detail17trampoline_kernelINS0_14default_configENS1_25partition_config_selectorILNS1_17partition_subalgoE6EsNS0_10empty_typeEbEEZZNS1_14partition_implILS5_6ELb0ES3_mN6thrust23THRUST_200600_302600_NS6detail15normal_iteratorINSA_10device_ptrIsEEEEPS6_SG_NS0_5tupleIJSF_S6_EEENSH_IJSG_SG_EEES6_PlJNSB_9not_fun_tI7is_evenIsEEEEEE10hipError_tPvRmT3_T4_T5_T6_T7_T9_mT8_P12ihipStream_tbDpT10_ENKUlT_T0_E_clISt17integral_constantIbLb1EES18_EEDaS13_S14_EUlS13_E_NS1_11comp_targetILNS1_3genE0ELNS1_11target_archE4294967295ELNS1_3gpuE0ELNS1_3repE0EEENS1_30default_config_static_selectorELNS0_4arch9wavefront6targetE0EEEvT1_
		.amdhsa_group_segment_fixed_size 0
		.amdhsa_private_segment_fixed_size 0
		.amdhsa_kernarg_size 128
		.amdhsa_user_sgpr_count 2
		.amdhsa_user_sgpr_dispatch_ptr 0
		.amdhsa_user_sgpr_queue_ptr 0
		.amdhsa_user_sgpr_kernarg_segment_ptr 1
		.amdhsa_user_sgpr_dispatch_id 0
		.amdhsa_user_sgpr_private_segment_size 0
		.amdhsa_wavefront_size32 1
		.amdhsa_uses_dynamic_stack 0
		.amdhsa_enable_private_segment 0
		.amdhsa_system_sgpr_workgroup_id_x 1
		.amdhsa_system_sgpr_workgroup_id_y 0
		.amdhsa_system_sgpr_workgroup_id_z 0
		.amdhsa_system_sgpr_workgroup_info 0
		.amdhsa_system_vgpr_workitem_id 0
		.amdhsa_next_free_vgpr 1
		.amdhsa_next_free_sgpr 1
		.amdhsa_reserve_vcc 0
		.amdhsa_float_round_mode_32 0
		.amdhsa_float_round_mode_16_64 0
		.amdhsa_float_denorm_mode_32 3
		.amdhsa_float_denorm_mode_16_64 3
		.amdhsa_fp16_overflow 0
		.amdhsa_workgroup_processor_mode 1
		.amdhsa_memory_ordered 1
		.amdhsa_forward_progress 1
		.amdhsa_inst_pref_size 0
		.amdhsa_round_robin_scheduling 0
		.amdhsa_exception_fp_ieee_invalid_op 0
		.amdhsa_exception_fp_denorm_src 0
		.amdhsa_exception_fp_ieee_div_zero 0
		.amdhsa_exception_fp_ieee_overflow 0
		.amdhsa_exception_fp_ieee_underflow 0
		.amdhsa_exception_fp_ieee_inexact 0
		.amdhsa_exception_int_div_zero 0
	.end_amdhsa_kernel
	.section	.text._ZN7rocprim17ROCPRIM_400000_NS6detail17trampoline_kernelINS0_14default_configENS1_25partition_config_selectorILNS1_17partition_subalgoE6EsNS0_10empty_typeEbEEZZNS1_14partition_implILS5_6ELb0ES3_mN6thrust23THRUST_200600_302600_NS6detail15normal_iteratorINSA_10device_ptrIsEEEEPS6_SG_NS0_5tupleIJSF_S6_EEENSH_IJSG_SG_EEES6_PlJNSB_9not_fun_tI7is_evenIsEEEEEE10hipError_tPvRmT3_T4_T5_T6_T7_T9_mT8_P12ihipStream_tbDpT10_ENKUlT_T0_E_clISt17integral_constantIbLb1EES18_EEDaS13_S14_EUlS13_E_NS1_11comp_targetILNS1_3genE0ELNS1_11target_archE4294967295ELNS1_3gpuE0ELNS1_3repE0EEENS1_30default_config_static_selectorELNS0_4arch9wavefront6targetE0EEEvT1_,"axG",@progbits,_ZN7rocprim17ROCPRIM_400000_NS6detail17trampoline_kernelINS0_14default_configENS1_25partition_config_selectorILNS1_17partition_subalgoE6EsNS0_10empty_typeEbEEZZNS1_14partition_implILS5_6ELb0ES3_mN6thrust23THRUST_200600_302600_NS6detail15normal_iteratorINSA_10device_ptrIsEEEEPS6_SG_NS0_5tupleIJSF_S6_EEENSH_IJSG_SG_EEES6_PlJNSB_9not_fun_tI7is_evenIsEEEEEE10hipError_tPvRmT3_T4_T5_T6_T7_T9_mT8_P12ihipStream_tbDpT10_ENKUlT_T0_E_clISt17integral_constantIbLb1EES18_EEDaS13_S14_EUlS13_E_NS1_11comp_targetILNS1_3genE0ELNS1_11target_archE4294967295ELNS1_3gpuE0ELNS1_3repE0EEENS1_30default_config_static_selectorELNS0_4arch9wavefront6targetE0EEEvT1_,comdat
.Lfunc_end765:
	.size	_ZN7rocprim17ROCPRIM_400000_NS6detail17trampoline_kernelINS0_14default_configENS1_25partition_config_selectorILNS1_17partition_subalgoE6EsNS0_10empty_typeEbEEZZNS1_14partition_implILS5_6ELb0ES3_mN6thrust23THRUST_200600_302600_NS6detail15normal_iteratorINSA_10device_ptrIsEEEEPS6_SG_NS0_5tupleIJSF_S6_EEENSH_IJSG_SG_EEES6_PlJNSB_9not_fun_tI7is_evenIsEEEEEE10hipError_tPvRmT3_T4_T5_T6_T7_T9_mT8_P12ihipStream_tbDpT10_ENKUlT_T0_E_clISt17integral_constantIbLb1EES18_EEDaS13_S14_EUlS13_E_NS1_11comp_targetILNS1_3genE0ELNS1_11target_archE4294967295ELNS1_3gpuE0ELNS1_3repE0EEENS1_30default_config_static_selectorELNS0_4arch9wavefront6targetE0EEEvT1_, .Lfunc_end765-_ZN7rocprim17ROCPRIM_400000_NS6detail17trampoline_kernelINS0_14default_configENS1_25partition_config_selectorILNS1_17partition_subalgoE6EsNS0_10empty_typeEbEEZZNS1_14partition_implILS5_6ELb0ES3_mN6thrust23THRUST_200600_302600_NS6detail15normal_iteratorINSA_10device_ptrIsEEEEPS6_SG_NS0_5tupleIJSF_S6_EEENSH_IJSG_SG_EEES6_PlJNSB_9not_fun_tI7is_evenIsEEEEEE10hipError_tPvRmT3_T4_T5_T6_T7_T9_mT8_P12ihipStream_tbDpT10_ENKUlT_T0_E_clISt17integral_constantIbLb1EES18_EEDaS13_S14_EUlS13_E_NS1_11comp_targetILNS1_3genE0ELNS1_11target_archE4294967295ELNS1_3gpuE0ELNS1_3repE0EEENS1_30default_config_static_selectorELNS0_4arch9wavefront6targetE0EEEvT1_
                                        ; -- End function
	.set _ZN7rocprim17ROCPRIM_400000_NS6detail17trampoline_kernelINS0_14default_configENS1_25partition_config_selectorILNS1_17partition_subalgoE6EsNS0_10empty_typeEbEEZZNS1_14partition_implILS5_6ELb0ES3_mN6thrust23THRUST_200600_302600_NS6detail15normal_iteratorINSA_10device_ptrIsEEEEPS6_SG_NS0_5tupleIJSF_S6_EEENSH_IJSG_SG_EEES6_PlJNSB_9not_fun_tI7is_evenIsEEEEEE10hipError_tPvRmT3_T4_T5_T6_T7_T9_mT8_P12ihipStream_tbDpT10_ENKUlT_T0_E_clISt17integral_constantIbLb1EES18_EEDaS13_S14_EUlS13_E_NS1_11comp_targetILNS1_3genE0ELNS1_11target_archE4294967295ELNS1_3gpuE0ELNS1_3repE0EEENS1_30default_config_static_selectorELNS0_4arch9wavefront6targetE0EEEvT1_.num_vgpr, 0
	.set _ZN7rocprim17ROCPRIM_400000_NS6detail17trampoline_kernelINS0_14default_configENS1_25partition_config_selectorILNS1_17partition_subalgoE6EsNS0_10empty_typeEbEEZZNS1_14partition_implILS5_6ELb0ES3_mN6thrust23THRUST_200600_302600_NS6detail15normal_iteratorINSA_10device_ptrIsEEEEPS6_SG_NS0_5tupleIJSF_S6_EEENSH_IJSG_SG_EEES6_PlJNSB_9not_fun_tI7is_evenIsEEEEEE10hipError_tPvRmT3_T4_T5_T6_T7_T9_mT8_P12ihipStream_tbDpT10_ENKUlT_T0_E_clISt17integral_constantIbLb1EES18_EEDaS13_S14_EUlS13_E_NS1_11comp_targetILNS1_3genE0ELNS1_11target_archE4294967295ELNS1_3gpuE0ELNS1_3repE0EEENS1_30default_config_static_selectorELNS0_4arch9wavefront6targetE0EEEvT1_.num_agpr, 0
	.set _ZN7rocprim17ROCPRIM_400000_NS6detail17trampoline_kernelINS0_14default_configENS1_25partition_config_selectorILNS1_17partition_subalgoE6EsNS0_10empty_typeEbEEZZNS1_14partition_implILS5_6ELb0ES3_mN6thrust23THRUST_200600_302600_NS6detail15normal_iteratorINSA_10device_ptrIsEEEEPS6_SG_NS0_5tupleIJSF_S6_EEENSH_IJSG_SG_EEES6_PlJNSB_9not_fun_tI7is_evenIsEEEEEE10hipError_tPvRmT3_T4_T5_T6_T7_T9_mT8_P12ihipStream_tbDpT10_ENKUlT_T0_E_clISt17integral_constantIbLb1EES18_EEDaS13_S14_EUlS13_E_NS1_11comp_targetILNS1_3genE0ELNS1_11target_archE4294967295ELNS1_3gpuE0ELNS1_3repE0EEENS1_30default_config_static_selectorELNS0_4arch9wavefront6targetE0EEEvT1_.numbered_sgpr, 0
	.set _ZN7rocprim17ROCPRIM_400000_NS6detail17trampoline_kernelINS0_14default_configENS1_25partition_config_selectorILNS1_17partition_subalgoE6EsNS0_10empty_typeEbEEZZNS1_14partition_implILS5_6ELb0ES3_mN6thrust23THRUST_200600_302600_NS6detail15normal_iteratorINSA_10device_ptrIsEEEEPS6_SG_NS0_5tupleIJSF_S6_EEENSH_IJSG_SG_EEES6_PlJNSB_9not_fun_tI7is_evenIsEEEEEE10hipError_tPvRmT3_T4_T5_T6_T7_T9_mT8_P12ihipStream_tbDpT10_ENKUlT_T0_E_clISt17integral_constantIbLb1EES18_EEDaS13_S14_EUlS13_E_NS1_11comp_targetILNS1_3genE0ELNS1_11target_archE4294967295ELNS1_3gpuE0ELNS1_3repE0EEENS1_30default_config_static_selectorELNS0_4arch9wavefront6targetE0EEEvT1_.num_named_barrier, 0
	.set _ZN7rocprim17ROCPRIM_400000_NS6detail17trampoline_kernelINS0_14default_configENS1_25partition_config_selectorILNS1_17partition_subalgoE6EsNS0_10empty_typeEbEEZZNS1_14partition_implILS5_6ELb0ES3_mN6thrust23THRUST_200600_302600_NS6detail15normal_iteratorINSA_10device_ptrIsEEEEPS6_SG_NS0_5tupleIJSF_S6_EEENSH_IJSG_SG_EEES6_PlJNSB_9not_fun_tI7is_evenIsEEEEEE10hipError_tPvRmT3_T4_T5_T6_T7_T9_mT8_P12ihipStream_tbDpT10_ENKUlT_T0_E_clISt17integral_constantIbLb1EES18_EEDaS13_S14_EUlS13_E_NS1_11comp_targetILNS1_3genE0ELNS1_11target_archE4294967295ELNS1_3gpuE0ELNS1_3repE0EEENS1_30default_config_static_selectorELNS0_4arch9wavefront6targetE0EEEvT1_.private_seg_size, 0
	.set _ZN7rocprim17ROCPRIM_400000_NS6detail17trampoline_kernelINS0_14default_configENS1_25partition_config_selectorILNS1_17partition_subalgoE6EsNS0_10empty_typeEbEEZZNS1_14partition_implILS5_6ELb0ES3_mN6thrust23THRUST_200600_302600_NS6detail15normal_iteratorINSA_10device_ptrIsEEEEPS6_SG_NS0_5tupleIJSF_S6_EEENSH_IJSG_SG_EEES6_PlJNSB_9not_fun_tI7is_evenIsEEEEEE10hipError_tPvRmT3_T4_T5_T6_T7_T9_mT8_P12ihipStream_tbDpT10_ENKUlT_T0_E_clISt17integral_constantIbLb1EES18_EEDaS13_S14_EUlS13_E_NS1_11comp_targetILNS1_3genE0ELNS1_11target_archE4294967295ELNS1_3gpuE0ELNS1_3repE0EEENS1_30default_config_static_selectorELNS0_4arch9wavefront6targetE0EEEvT1_.uses_vcc, 0
	.set _ZN7rocprim17ROCPRIM_400000_NS6detail17trampoline_kernelINS0_14default_configENS1_25partition_config_selectorILNS1_17partition_subalgoE6EsNS0_10empty_typeEbEEZZNS1_14partition_implILS5_6ELb0ES3_mN6thrust23THRUST_200600_302600_NS6detail15normal_iteratorINSA_10device_ptrIsEEEEPS6_SG_NS0_5tupleIJSF_S6_EEENSH_IJSG_SG_EEES6_PlJNSB_9not_fun_tI7is_evenIsEEEEEE10hipError_tPvRmT3_T4_T5_T6_T7_T9_mT8_P12ihipStream_tbDpT10_ENKUlT_T0_E_clISt17integral_constantIbLb1EES18_EEDaS13_S14_EUlS13_E_NS1_11comp_targetILNS1_3genE0ELNS1_11target_archE4294967295ELNS1_3gpuE0ELNS1_3repE0EEENS1_30default_config_static_selectorELNS0_4arch9wavefront6targetE0EEEvT1_.uses_flat_scratch, 0
	.set _ZN7rocprim17ROCPRIM_400000_NS6detail17trampoline_kernelINS0_14default_configENS1_25partition_config_selectorILNS1_17partition_subalgoE6EsNS0_10empty_typeEbEEZZNS1_14partition_implILS5_6ELb0ES3_mN6thrust23THRUST_200600_302600_NS6detail15normal_iteratorINSA_10device_ptrIsEEEEPS6_SG_NS0_5tupleIJSF_S6_EEENSH_IJSG_SG_EEES6_PlJNSB_9not_fun_tI7is_evenIsEEEEEE10hipError_tPvRmT3_T4_T5_T6_T7_T9_mT8_P12ihipStream_tbDpT10_ENKUlT_T0_E_clISt17integral_constantIbLb1EES18_EEDaS13_S14_EUlS13_E_NS1_11comp_targetILNS1_3genE0ELNS1_11target_archE4294967295ELNS1_3gpuE0ELNS1_3repE0EEENS1_30default_config_static_selectorELNS0_4arch9wavefront6targetE0EEEvT1_.has_dyn_sized_stack, 0
	.set _ZN7rocprim17ROCPRIM_400000_NS6detail17trampoline_kernelINS0_14default_configENS1_25partition_config_selectorILNS1_17partition_subalgoE6EsNS0_10empty_typeEbEEZZNS1_14partition_implILS5_6ELb0ES3_mN6thrust23THRUST_200600_302600_NS6detail15normal_iteratorINSA_10device_ptrIsEEEEPS6_SG_NS0_5tupleIJSF_S6_EEENSH_IJSG_SG_EEES6_PlJNSB_9not_fun_tI7is_evenIsEEEEEE10hipError_tPvRmT3_T4_T5_T6_T7_T9_mT8_P12ihipStream_tbDpT10_ENKUlT_T0_E_clISt17integral_constantIbLb1EES18_EEDaS13_S14_EUlS13_E_NS1_11comp_targetILNS1_3genE0ELNS1_11target_archE4294967295ELNS1_3gpuE0ELNS1_3repE0EEENS1_30default_config_static_selectorELNS0_4arch9wavefront6targetE0EEEvT1_.has_recursion, 0
	.set _ZN7rocprim17ROCPRIM_400000_NS6detail17trampoline_kernelINS0_14default_configENS1_25partition_config_selectorILNS1_17partition_subalgoE6EsNS0_10empty_typeEbEEZZNS1_14partition_implILS5_6ELb0ES3_mN6thrust23THRUST_200600_302600_NS6detail15normal_iteratorINSA_10device_ptrIsEEEEPS6_SG_NS0_5tupleIJSF_S6_EEENSH_IJSG_SG_EEES6_PlJNSB_9not_fun_tI7is_evenIsEEEEEE10hipError_tPvRmT3_T4_T5_T6_T7_T9_mT8_P12ihipStream_tbDpT10_ENKUlT_T0_E_clISt17integral_constantIbLb1EES18_EEDaS13_S14_EUlS13_E_NS1_11comp_targetILNS1_3genE0ELNS1_11target_archE4294967295ELNS1_3gpuE0ELNS1_3repE0EEENS1_30default_config_static_selectorELNS0_4arch9wavefront6targetE0EEEvT1_.has_indirect_call, 0
	.section	.AMDGPU.csdata,"",@progbits
; Kernel info:
; codeLenInByte = 0
; TotalNumSgprs: 0
; NumVgprs: 0
; ScratchSize: 0
; MemoryBound: 0
; FloatMode: 240
; IeeeMode: 1
; LDSByteSize: 0 bytes/workgroup (compile time only)
; SGPRBlocks: 0
; VGPRBlocks: 0
; NumSGPRsForWavesPerEU: 1
; NumVGPRsForWavesPerEU: 1
; Occupancy: 16
; WaveLimiterHint : 0
; COMPUTE_PGM_RSRC2:SCRATCH_EN: 0
; COMPUTE_PGM_RSRC2:USER_SGPR: 2
; COMPUTE_PGM_RSRC2:TRAP_HANDLER: 0
; COMPUTE_PGM_RSRC2:TGID_X_EN: 1
; COMPUTE_PGM_RSRC2:TGID_Y_EN: 0
; COMPUTE_PGM_RSRC2:TGID_Z_EN: 0
; COMPUTE_PGM_RSRC2:TIDIG_COMP_CNT: 0
	.section	.text._ZN7rocprim17ROCPRIM_400000_NS6detail17trampoline_kernelINS0_14default_configENS1_25partition_config_selectorILNS1_17partition_subalgoE6EsNS0_10empty_typeEbEEZZNS1_14partition_implILS5_6ELb0ES3_mN6thrust23THRUST_200600_302600_NS6detail15normal_iteratorINSA_10device_ptrIsEEEEPS6_SG_NS0_5tupleIJSF_S6_EEENSH_IJSG_SG_EEES6_PlJNSB_9not_fun_tI7is_evenIsEEEEEE10hipError_tPvRmT3_T4_T5_T6_T7_T9_mT8_P12ihipStream_tbDpT10_ENKUlT_T0_E_clISt17integral_constantIbLb1EES18_EEDaS13_S14_EUlS13_E_NS1_11comp_targetILNS1_3genE5ELNS1_11target_archE942ELNS1_3gpuE9ELNS1_3repE0EEENS1_30default_config_static_selectorELNS0_4arch9wavefront6targetE0EEEvT1_,"axG",@progbits,_ZN7rocprim17ROCPRIM_400000_NS6detail17trampoline_kernelINS0_14default_configENS1_25partition_config_selectorILNS1_17partition_subalgoE6EsNS0_10empty_typeEbEEZZNS1_14partition_implILS5_6ELb0ES3_mN6thrust23THRUST_200600_302600_NS6detail15normal_iteratorINSA_10device_ptrIsEEEEPS6_SG_NS0_5tupleIJSF_S6_EEENSH_IJSG_SG_EEES6_PlJNSB_9not_fun_tI7is_evenIsEEEEEE10hipError_tPvRmT3_T4_T5_T6_T7_T9_mT8_P12ihipStream_tbDpT10_ENKUlT_T0_E_clISt17integral_constantIbLb1EES18_EEDaS13_S14_EUlS13_E_NS1_11comp_targetILNS1_3genE5ELNS1_11target_archE942ELNS1_3gpuE9ELNS1_3repE0EEENS1_30default_config_static_selectorELNS0_4arch9wavefront6targetE0EEEvT1_,comdat
	.protected	_ZN7rocprim17ROCPRIM_400000_NS6detail17trampoline_kernelINS0_14default_configENS1_25partition_config_selectorILNS1_17partition_subalgoE6EsNS0_10empty_typeEbEEZZNS1_14partition_implILS5_6ELb0ES3_mN6thrust23THRUST_200600_302600_NS6detail15normal_iteratorINSA_10device_ptrIsEEEEPS6_SG_NS0_5tupleIJSF_S6_EEENSH_IJSG_SG_EEES6_PlJNSB_9not_fun_tI7is_evenIsEEEEEE10hipError_tPvRmT3_T4_T5_T6_T7_T9_mT8_P12ihipStream_tbDpT10_ENKUlT_T0_E_clISt17integral_constantIbLb1EES18_EEDaS13_S14_EUlS13_E_NS1_11comp_targetILNS1_3genE5ELNS1_11target_archE942ELNS1_3gpuE9ELNS1_3repE0EEENS1_30default_config_static_selectorELNS0_4arch9wavefront6targetE0EEEvT1_ ; -- Begin function _ZN7rocprim17ROCPRIM_400000_NS6detail17trampoline_kernelINS0_14default_configENS1_25partition_config_selectorILNS1_17partition_subalgoE6EsNS0_10empty_typeEbEEZZNS1_14partition_implILS5_6ELb0ES3_mN6thrust23THRUST_200600_302600_NS6detail15normal_iteratorINSA_10device_ptrIsEEEEPS6_SG_NS0_5tupleIJSF_S6_EEENSH_IJSG_SG_EEES6_PlJNSB_9not_fun_tI7is_evenIsEEEEEE10hipError_tPvRmT3_T4_T5_T6_T7_T9_mT8_P12ihipStream_tbDpT10_ENKUlT_T0_E_clISt17integral_constantIbLb1EES18_EEDaS13_S14_EUlS13_E_NS1_11comp_targetILNS1_3genE5ELNS1_11target_archE942ELNS1_3gpuE9ELNS1_3repE0EEENS1_30default_config_static_selectorELNS0_4arch9wavefront6targetE0EEEvT1_
	.globl	_ZN7rocprim17ROCPRIM_400000_NS6detail17trampoline_kernelINS0_14default_configENS1_25partition_config_selectorILNS1_17partition_subalgoE6EsNS0_10empty_typeEbEEZZNS1_14partition_implILS5_6ELb0ES3_mN6thrust23THRUST_200600_302600_NS6detail15normal_iteratorINSA_10device_ptrIsEEEEPS6_SG_NS0_5tupleIJSF_S6_EEENSH_IJSG_SG_EEES6_PlJNSB_9not_fun_tI7is_evenIsEEEEEE10hipError_tPvRmT3_T4_T5_T6_T7_T9_mT8_P12ihipStream_tbDpT10_ENKUlT_T0_E_clISt17integral_constantIbLb1EES18_EEDaS13_S14_EUlS13_E_NS1_11comp_targetILNS1_3genE5ELNS1_11target_archE942ELNS1_3gpuE9ELNS1_3repE0EEENS1_30default_config_static_selectorELNS0_4arch9wavefront6targetE0EEEvT1_
	.p2align	8
	.type	_ZN7rocprim17ROCPRIM_400000_NS6detail17trampoline_kernelINS0_14default_configENS1_25partition_config_selectorILNS1_17partition_subalgoE6EsNS0_10empty_typeEbEEZZNS1_14partition_implILS5_6ELb0ES3_mN6thrust23THRUST_200600_302600_NS6detail15normal_iteratorINSA_10device_ptrIsEEEEPS6_SG_NS0_5tupleIJSF_S6_EEENSH_IJSG_SG_EEES6_PlJNSB_9not_fun_tI7is_evenIsEEEEEE10hipError_tPvRmT3_T4_T5_T6_T7_T9_mT8_P12ihipStream_tbDpT10_ENKUlT_T0_E_clISt17integral_constantIbLb1EES18_EEDaS13_S14_EUlS13_E_NS1_11comp_targetILNS1_3genE5ELNS1_11target_archE942ELNS1_3gpuE9ELNS1_3repE0EEENS1_30default_config_static_selectorELNS0_4arch9wavefront6targetE0EEEvT1_,@function
_ZN7rocprim17ROCPRIM_400000_NS6detail17trampoline_kernelINS0_14default_configENS1_25partition_config_selectorILNS1_17partition_subalgoE6EsNS0_10empty_typeEbEEZZNS1_14partition_implILS5_6ELb0ES3_mN6thrust23THRUST_200600_302600_NS6detail15normal_iteratorINSA_10device_ptrIsEEEEPS6_SG_NS0_5tupleIJSF_S6_EEENSH_IJSG_SG_EEES6_PlJNSB_9not_fun_tI7is_evenIsEEEEEE10hipError_tPvRmT3_T4_T5_T6_T7_T9_mT8_P12ihipStream_tbDpT10_ENKUlT_T0_E_clISt17integral_constantIbLb1EES18_EEDaS13_S14_EUlS13_E_NS1_11comp_targetILNS1_3genE5ELNS1_11target_archE942ELNS1_3gpuE9ELNS1_3repE0EEENS1_30default_config_static_selectorELNS0_4arch9wavefront6targetE0EEEvT1_: ; @_ZN7rocprim17ROCPRIM_400000_NS6detail17trampoline_kernelINS0_14default_configENS1_25partition_config_selectorILNS1_17partition_subalgoE6EsNS0_10empty_typeEbEEZZNS1_14partition_implILS5_6ELb0ES3_mN6thrust23THRUST_200600_302600_NS6detail15normal_iteratorINSA_10device_ptrIsEEEEPS6_SG_NS0_5tupleIJSF_S6_EEENSH_IJSG_SG_EEES6_PlJNSB_9not_fun_tI7is_evenIsEEEEEE10hipError_tPvRmT3_T4_T5_T6_T7_T9_mT8_P12ihipStream_tbDpT10_ENKUlT_T0_E_clISt17integral_constantIbLb1EES18_EEDaS13_S14_EUlS13_E_NS1_11comp_targetILNS1_3genE5ELNS1_11target_archE942ELNS1_3gpuE9ELNS1_3repE0EEENS1_30default_config_static_selectorELNS0_4arch9wavefront6targetE0EEEvT1_
; %bb.0:
	.section	.rodata,"a",@progbits
	.p2align	6, 0x0
	.amdhsa_kernel _ZN7rocprim17ROCPRIM_400000_NS6detail17trampoline_kernelINS0_14default_configENS1_25partition_config_selectorILNS1_17partition_subalgoE6EsNS0_10empty_typeEbEEZZNS1_14partition_implILS5_6ELb0ES3_mN6thrust23THRUST_200600_302600_NS6detail15normal_iteratorINSA_10device_ptrIsEEEEPS6_SG_NS0_5tupleIJSF_S6_EEENSH_IJSG_SG_EEES6_PlJNSB_9not_fun_tI7is_evenIsEEEEEE10hipError_tPvRmT3_T4_T5_T6_T7_T9_mT8_P12ihipStream_tbDpT10_ENKUlT_T0_E_clISt17integral_constantIbLb1EES18_EEDaS13_S14_EUlS13_E_NS1_11comp_targetILNS1_3genE5ELNS1_11target_archE942ELNS1_3gpuE9ELNS1_3repE0EEENS1_30default_config_static_selectorELNS0_4arch9wavefront6targetE0EEEvT1_
		.amdhsa_group_segment_fixed_size 0
		.amdhsa_private_segment_fixed_size 0
		.amdhsa_kernarg_size 128
		.amdhsa_user_sgpr_count 2
		.amdhsa_user_sgpr_dispatch_ptr 0
		.amdhsa_user_sgpr_queue_ptr 0
		.amdhsa_user_sgpr_kernarg_segment_ptr 1
		.amdhsa_user_sgpr_dispatch_id 0
		.amdhsa_user_sgpr_private_segment_size 0
		.amdhsa_wavefront_size32 1
		.amdhsa_uses_dynamic_stack 0
		.amdhsa_enable_private_segment 0
		.amdhsa_system_sgpr_workgroup_id_x 1
		.amdhsa_system_sgpr_workgroup_id_y 0
		.amdhsa_system_sgpr_workgroup_id_z 0
		.amdhsa_system_sgpr_workgroup_info 0
		.amdhsa_system_vgpr_workitem_id 0
		.amdhsa_next_free_vgpr 1
		.amdhsa_next_free_sgpr 1
		.amdhsa_reserve_vcc 0
		.amdhsa_float_round_mode_32 0
		.amdhsa_float_round_mode_16_64 0
		.amdhsa_float_denorm_mode_32 3
		.amdhsa_float_denorm_mode_16_64 3
		.amdhsa_fp16_overflow 0
		.amdhsa_workgroup_processor_mode 1
		.amdhsa_memory_ordered 1
		.amdhsa_forward_progress 1
		.amdhsa_inst_pref_size 0
		.amdhsa_round_robin_scheduling 0
		.amdhsa_exception_fp_ieee_invalid_op 0
		.amdhsa_exception_fp_denorm_src 0
		.amdhsa_exception_fp_ieee_div_zero 0
		.amdhsa_exception_fp_ieee_overflow 0
		.amdhsa_exception_fp_ieee_underflow 0
		.amdhsa_exception_fp_ieee_inexact 0
		.amdhsa_exception_int_div_zero 0
	.end_amdhsa_kernel
	.section	.text._ZN7rocprim17ROCPRIM_400000_NS6detail17trampoline_kernelINS0_14default_configENS1_25partition_config_selectorILNS1_17partition_subalgoE6EsNS0_10empty_typeEbEEZZNS1_14partition_implILS5_6ELb0ES3_mN6thrust23THRUST_200600_302600_NS6detail15normal_iteratorINSA_10device_ptrIsEEEEPS6_SG_NS0_5tupleIJSF_S6_EEENSH_IJSG_SG_EEES6_PlJNSB_9not_fun_tI7is_evenIsEEEEEE10hipError_tPvRmT3_T4_T5_T6_T7_T9_mT8_P12ihipStream_tbDpT10_ENKUlT_T0_E_clISt17integral_constantIbLb1EES18_EEDaS13_S14_EUlS13_E_NS1_11comp_targetILNS1_3genE5ELNS1_11target_archE942ELNS1_3gpuE9ELNS1_3repE0EEENS1_30default_config_static_selectorELNS0_4arch9wavefront6targetE0EEEvT1_,"axG",@progbits,_ZN7rocprim17ROCPRIM_400000_NS6detail17trampoline_kernelINS0_14default_configENS1_25partition_config_selectorILNS1_17partition_subalgoE6EsNS0_10empty_typeEbEEZZNS1_14partition_implILS5_6ELb0ES3_mN6thrust23THRUST_200600_302600_NS6detail15normal_iteratorINSA_10device_ptrIsEEEEPS6_SG_NS0_5tupleIJSF_S6_EEENSH_IJSG_SG_EEES6_PlJNSB_9not_fun_tI7is_evenIsEEEEEE10hipError_tPvRmT3_T4_T5_T6_T7_T9_mT8_P12ihipStream_tbDpT10_ENKUlT_T0_E_clISt17integral_constantIbLb1EES18_EEDaS13_S14_EUlS13_E_NS1_11comp_targetILNS1_3genE5ELNS1_11target_archE942ELNS1_3gpuE9ELNS1_3repE0EEENS1_30default_config_static_selectorELNS0_4arch9wavefront6targetE0EEEvT1_,comdat
.Lfunc_end766:
	.size	_ZN7rocprim17ROCPRIM_400000_NS6detail17trampoline_kernelINS0_14default_configENS1_25partition_config_selectorILNS1_17partition_subalgoE6EsNS0_10empty_typeEbEEZZNS1_14partition_implILS5_6ELb0ES3_mN6thrust23THRUST_200600_302600_NS6detail15normal_iteratorINSA_10device_ptrIsEEEEPS6_SG_NS0_5tupleIJSF_S6_EEENSH_IJSG_SG_EEES6_PlJNSB_9not_fun_tI7is_evenIsEEEEEE10hipError_tPvRmT3_T4_T5_T6_T7_T9_mT8_P12ihipStream_tbDpT10_ENKUlT_T0_E_clISt17integral_constantIbLb1EES18_EEDaS13_S14_EUlS13_E_NS1_11comp_targetILNS1_3genE5ELNS1_11target_archE942ELNS1_3gpuE9ELNS1_3repE0EEENS1_30default_config_static_selectorELNS0_4arch9wavefront6targetE0EEEvT1_, .Lfunc_end766-_ZN7rocprim17ROCPRIM_400000_NS6detail17trampoline_kernelINS0_14default_configENS1_25partition_config_selectorILNS1_17partition_subalgoE6EsNS0_10empty_typeEbEEZZNS1_14partition_implILS5_6ELb0ES3_mN6thrust23THRUST_200600_302600_NS6detail15normal_iteratorINSA_10device_ptrIsEEEEPS6_SG_NS0_5tupleIJSF_S6_EEENSH_IJSG_SG_EEES6_PlJNSB_9not_fun_tI7is_evenIsEEEEEE10hipError_tPvRmT3_T4_T5_T6_T7_T9_mT8_P12ihipStream_tbDpT10_ENKUlT_T0_E_clISt17integral_constantIbLb1EES18_EEDaS13_S14_EUlS13_E_NS1_11comp_targetILNS1_3genE5ELNS1_11target_archE942ELNS1_3gpuE9ELNS1_3repE0EEENS1_30default_config_static_selectorELNS0_4arch9wavefront6targetE0EEEvT1_
                                        ; -- End function
	.set _ZN7rocprim17ROCPRIM_400000_NS6detail17trampoline_kernelINS0_14default_configENS1_25partition_config_selectorILNS1_17partition_subalgoE6EsNS0_10empty_typeEbEEZZNS1_14partition_implILS5_6ELb0ES3_mN6thrust23THRUST_200600_302600_NS6detail15normal_iteratorINSA_10device_ptrIsEEEEPS6_SG_NS0_5tupleIJSF_S6_EEENSH_IJSG_SG_EEES6_PlJNSB_9not_fun_tI7is_evenIsEEEEEE10hipError_tPvRmT3_T4_T5_T6_T7_T9_mT8_P12ihipStream_tbDpT10_ENKUlT_T0_E_clISt17integral_constantIbLb1EES18_EEDaS13_S14_EUlS13_E_NS1_11comp_targetILNS1_3genE5ELNS1_11target_archE942ELNS1_3gpuE9ELNS1_3repE0EEENS1_30default_config_static_selectorELNS0_4arch9wavefront6targetE0EEEvT1_.num_vgpr, 0
	.set _ZN7rocprim17ROCPRIM_400000_NS6detail17trampoline_kernelINS0_14default_configENS1_25partition_config_selectorILNS1_17partition_subalgoE6EsNS0_10empty_typeEbEEZZNS1_14partition_implILS5_6ELb0ES3_mN6thrust23THRUST_200600_302600_NS6detail15normal_iteratorINSA_10device_ptrIsEEEEPS6_SG_NS0_5tupleIJSF_S6_EEENSH_IJSG_SG_EEES6_PlJNSB_9not_fun_tI7is_evenIsEEEEEE10hipError_tPvRmT3_T4_T5_T6_T7_T9_mT8_P12ihipStream_tbDpT10_ENKUlT_T0_E_clISt17integral_constantIbLb1EES18_EEDaS13_S14_EUlS13_E_NS1_11comp_targetILNS1_3genE5ELNS1_11target_archE942ELNS1_3gpuE9ELNS1_3repE0EEENS1_30default_config_static_selectorELNS0_4arch9wavefront6targetE0EEEvT1_.num_agpr, 0
	.set _ZN7rocprim17ROCPRIM_400000_NS6detail17trampoline_kernelINS0_14default_configENS1_25partition_config_selectorILNS1_17partition_subalgoE6EsNS0_10empty_typeEbEEZZNS1_14partition_implILS5_6ELb0ES3_mN6thrust23THRUST_200600_302600_NS6detail15normal_iteratorINSA_10device_ptrIsEEEEPS6_SG_NS0_5tupleIJSF_S6_EEENSH_IJSG_SG_EEES6_PlJNSB_9not_fun_tI7is_evenIsEEEEEE10hipError_tPvRmT3_T4_T5_T6_T7_T9_mT8_P12ihipStream_tbDpT10_ENKUlT_T0_E_clISt17integral_constantIbLb1EES18_EEDaS13_S14_EUlS13_E_NS1_11comp_targetILNS1_3genE5ELNS1_11target_archE942ELNS1_3gpuE9ELNS1_3repE0EEENS1_30default_config_static_selectorELNS0_4arch9wavefront6targetE0EEEvT1_.numbered_sgpr, 0
	.set _ZN7rocprim17ROCPRIM_400000_NS6detail17trampoline_kernelINS0_14default_configENS1_25partition_config_selectorILNS1_17partition_subalgoE6EsNS0_10empty_typeEbEEZZNS1_14partition_implILS5_6ELb0ES3_mN6thrust23THRUST_200600_302600_NS6detail15normal_iteratorINSA_10device_ptrIsEEEEPS6_SG_NS0_5tupleIJSF_S6_EEENSH_IJSG_SG_EEES6_PlJNSB_9not_fun_tI7is_evenIsEEEEEE10hipError_tPvRmT3_T4_T5_T6_T7_T9_mT8_P12ihipStream_tbDpT10_ENKUlT_T0_E_clISt17integral_constantIbLb1EES18_EEDaS13_S14_EUlS13_E_NS1_11comp_targetILNS1_3genE5ELNS1_11target_archE942ELNS1_3gpuE9ELNS1_3repE0EEENS1_30default_config_static_selectorELNS0_4arch9wavefront6targetE0EEEvT1_.num_named_barrier, 0
	.set _ZN7rocprim17ROCPRIM_400000_NS6detail17trampoline_kernelINS0_14default_configENS1_25partition_config_selectorILNS1_17partition_subalgoE6EsNS0_10empty_typeEbEEZZNS1_14partition_implILS5_6ELb0ES3_mN6thrust23THRUST_200600_302600_NS6detail15normal_iteratorINSA_10device_ptrIsEEEEPS6_SG_NS0_5tupleIJSF_S6_EEENSH_IJSG_SG_EEES6_PlJNSB_9not_fun_tI7is_evenIsEEEEEE10hipError_tPvRmT3_T4_T5_T6_T7_T9_mT8_P12ihipStream_tbDpT10_ENKUlT_T0_E_clISt17integral_constantIbLb1EES18_EEDaS13_S14_EUlS13_E_NS1_11comp_targetILNS1_3genE5ELNS1_11target_archE942ELNS1_3gpuE9ELNS1_3repE0EEENS1_30default_config_static_selectorELNS0_4arch9wavefront6targetE0EEEvT1_.private_seg_size, 0
	.set _ZN7rocprim17ROCPRIM_400000_NS6detail17trampoline_kernelINS0_14default_configENS1_25partition_config_selectorILNS1_17partition_subalgoE6EsNS0_10empty_typeEbEEZZNS1_14partition_implILS5_6ELb0ES3_mN6thrust23THRUST_200600_302600_NS6detail15normal_iteratorINSA_10device_ptrIsEEEEPS6_SG_NS0_5tupleIJSF_S6_EEENSH_IJSG_SG_EEES6_PlJNSB_9not_fun_tI7is_evenIsEEEEEE10hipError_tPvRmT3_T4_T5_T6_T7_T9_mT8_P12ihipStream_tbDpT10_ENKUlT_T0_E_clISt17integral_constantIbLb1EES18_EEDaS13_S14_EUlS13_E_NS1_11comp_targetILNS1_3genE5ELNS1_11target_archE942ELNS1_3gpuE9ELNS1_3repE0EEENS1_30default_config_static_selectorELNS0_4arch9wavefront6targetE0EEEvT1_.uses_vcc, 0
	.set _ZN7rocprim17ROCPRIM_400000_NS6detail17trampoline_kernelINS0_14default_configENS1_25partition_config_selectorILNS1_17partition_subalgoE6EsNS0_10empty_typeEbEEZZNS1_14partition_implILS5_6ELb0ES3_mN6thrust23THRUST_200600_302600_NS6detail15normal_iteratorINSA_10device_ptrIsEEEEPS6_SG_NS0_5tupleIJSF_S6_EEENSH_IJSG_SG_EEES6_PlJNSB_9not_fun_tI7is_evenIsEEEEEE10hipError_tPvRmT3_T4_T5_T6_T7_T9_mT8_P12ihipStream_tbDpT10_ENKUlT_T0_E_clISt17integral_constantIbLb1EES18_EEDaS13_S14_EUlS13_E_NS1_11comp_targetILNS1_3genE5ELNS1_11target_archE942ELNS1_3gpuE9ELNS1_3repE0EEENS1_30default_config_static_selectorELNS0_4arch9wavefront6targetE0EEEvT1_.uses_flat_scratch, 0
	.set _ZN7rocprim17ROCPRIM_400000_NS6detail17trampoline_kernelINS0_14default_configENS1_25partition_config_selectorILNS1_17partition_subalgoE6EsNS0_10empty_typeEbEEZZNS1_14partition_implILS5_6ELb0ES3_mN6thrust23THRUST_200600_302600_NS6detail15normal_iteratorINSA_10device_ptrIsEEEEPS6_SG_NS0_5tupleIJSF_S6_EEENSH_IJSG_SG_EEES6_PlJNSB_9not_fun_tI7is_evenIsEEEEEE10hipError_tPvRmT3_T4_T5_T6_T7_T9_mT8_P12ihipStream_tbDpT10_ENKUlT_T0_E_clISt17integral_constantIbLb1EES18_EEDaS13_S14_EUlS13_E_NS1_11comp_targetILNS1_3genE5ELNS1_11target_archE942ELNS1_3gpuE9ELNS1_3repE0EEENS1_30default_config_static_selectorELNS0_4arch9wavefront6targetE0EEEvT1_.has_dyn_sized_stack, 0
	.set _ZN7rocprim17ROCPRIM_400000_NS6detail17trampoline_kernelINS0_14default_configENS1_25partition_config_selectorILNS1_17partition_subalgoE6EsNS0_10empty_typeEbEEZZNS1_14partition_implILS5_6ELb0ES3_mN6thrust23THRUST_200600_302600_NS6detail15normal_iteratorINSA_10device_ptrIsEEEEPS6_SG_NS0_5tupleIJSF_S6_EEENSH_IJSG_SG_EEES6_PlJNSB_9not_fun_tI7is_evenIsEEEEEE10hipError_tPvRmT3_T4_T5_T6_T7_T9_mT8_P12ihipStream_tbDpT10_ENKUlT_T0_E_clISt17integral_constantIbLb1EES18_EEDaS13_S14_EUlS13_E_NS1_11comp_targetILNS1_3genE5ELNS1_11target_archE942ELNS1_3gpuE9ELNS1_3repE0EEENS1_30default_config_static_selectorELNS0_4arch9wavefront6targetE0EEEvT1_.has_recursion, 0
	.set _ZN7rocprim17ROCPRIM_400000_NS6detail17trampoline_kernelINS0_14default_configENS1_25partition_config_selectorILNS1_17partition_subalgoE6EsNS0_10empty_typeEbEEZZNS1_14partition_implILS5_6ELb0ES3_mN6thrust23THRUST_200600_302600_NS6detail15normal_iteratorINSA_10device_ptrIsEEEEPS6_SG_NS0_5tupleIJSF_S6_EEENSH_IJSG_SG_EEES6_PlJNSB_9not_fun_tI7is_evenIsEEEEEE10hipError_tPvRmT3_T4_T5_T6_T7_T9_mT8_P12ihipStream_tbDpT10_ENKUlT_T0_E_clISt17integral_constantIbLb1EES18_EEDaS13_S14_EUlS13_E_NS1_11comp_targetILNS1_3genE5ELNS1_11target_archE942ELNS1_3gpuE9ELNS1_3repE0EEENS1_30default_config_static_selectorELNS0_4arch9wavefront6targetE0EEEvT1_.has_indirect_call, 0
	.section	.AMDGPU.csdata,"",@progbits
; Kernel info:
; codeLenInByte = 0
; TotalNumSgprs: 0
; NumVgprs: 0
; ScratchSize: 0
; MemoryBound: 0
; FloatMode: 240
; IeeeMode: 1
; LDSByteSize: 0 bytes/workgroup (compile time only)
; SGPRBlocks: 0
; VGPRBlocks: 0
; NumSGPRsForWavesPerEU: 1
; NumVGPRsForWavesPerEU: 1
; Occupancy: 16
; WaveLimiterHint : 0
; COMPUTE_PGM_RSRC2:SCRATCH_EN: 0
; COMPUTE_PGM_RSRC2:USER_SGPR: 2
; COMPUTE_PGM_RSRC2:TRAP_HANDLER: 0
; COMPUTE_PGM_RSRC2:TGID_X_EN: 1
; COMPUTE_PGM_RSRC2:TGID_Y_EN: 0
; COMPUTE_PGM_RSRC2:TGID_Z_EN: 0
; COMPUTE_PGM_RSRC2:TIDIG_COMP_CNT: 0
	.section	.text._ZN7rocprim17ROCPRIM_400000_NS6detail17trampoline_kernelINS0_14default_configENS1_25partition_config_selectorILNS1_17partition_subalgoE6EsNS0_10empty_typeEbEEZZNS1_14partition_implILS5_6ELb0ES3_mN6thrust23THRUST_200600_302600_NS6detail15normal_iteratorINSA_10device_ptrIsEEEEPS6_SG_NS0_5tupleIJSF_S6_EEENSH_IJSG_SG_EEES6_PlJNSB_9not_fun_tI7is_evenIsEEEEEE10hipError_tPvRmT3_T4_T5_T6_T7_T9_mT8_P12ihipStream_tbDpT10_ENKUlT_T0_E_clISt17integral_constantIbLb1EES18_EEDaS13_S14_EUlS13_E_NS1_11comp_targetILNS1_3genE4ELNS1_11target_archE910ELNS1_3gpuE8ELNS1_3repE0EEENS1_30default_config_static_selectorELNS0_4arch9wavefront6targetE0EEEvT1_,"axG",@progbits,_ZN7rocprim17ROCPRIM_400000_NS6detail17trampoline_kernelINS0_14default_configENS1_25partition_config_selectorILNS1_17partition_subalgoE6EsNS0_10empty_typeEbEEZZNS1_14partition_implILS5_6ELb0ES3_mN6thrust23THRUST_200600_302600_NS6detail15normal_iteratorINSA_10device_ptrIsEEEEPS6_SG_NS0_5tupleIJSF_S6_EEENSH_IJSG_SG_EEES6_PlJNSB_9not_fun_tI7is_evenIsEEEEEE10hipError_tPvRmT3_T4_T5_T6_T7_T9_mT8_P12ihipStream_tbDpT10_ENKUlT_T0_E_clISt17integral_constantIbLb1EES18_EEDaS13_S14_EUlS13_E_NS1_11comp_targetILNS1_3genE4ELNS1_11target_archE910ELNS1_3gpuE8ELNS1_3repE0EEENS1_30default_config_static_selectorELNS0_4arch9wavefront6targetE0EEEvT1_,comdat
	.protected	_ZN7rocprim17ROCPRIM_400000_NS6detail17trampoline_kernelINS0_14default_configENS1_25partition_config_selectorILNS1_17partition_subalgoE6EsNS0_10empty_typeEbEEZZNS1_14partition_implILS5_6ELb0ES3_mN6thrust23THRUST_200600_302600_NS6detail15normal_iteratorINSA_10device_ptrIsEEEEPS6_SG_NS0_5tupleIJSF_S6_EEENSH_IJSG_SG_EEES6_PlJNSB_9not_fun_tI7is_evenIsEEEEEE10hipError_tPvRmT3_T4_T5_T6_T7_T9_mT8_P12ihipStream_tbDpT10_ENKUlT_T0_E_clISt17integral_constantIbLb1EES18_EEDaS13_S14_EUlS13_E_NS1_11comp_targetILNS1_3genE4ELNS1_11target_archE910ELNS1_3gpuE8ELNS1_3repE0EEENS1_30default_config_static_selectorELNS0_4arch9wavefront6targetE0EEEvT1_ ; -- Begin function _ZN7rocprim17ROCPRIM_400000_NS6detail17trampoline_kernelINS0_14default_configENS1_25partition_config_selectorILNS1_17partition_subalgoE6EsNS0_10empty_typeEbEEZZNS1_14partition_implILS5_6ELb0ES3_mN6thrust23THRUST_200600_302600_NS6detail15normal_iteratorINSA_10device_ptrIsEEEEPS6_SG_NS0_5tupleIJSF_S6_EEENSH_IJSG_SG_EEES6_PlJNSB_9not_fun_tI7is_evenIsEEEEEE10hipError_tPvRmT3_T4_T5_T6_T7_T9_mT8_P12ihipStream_tbDpT10_ENKUlT_T0_E_clISt17integral_constantIbLb1EES18_EEDaS13_S14_EUlS13_E_NS1_11comp_targetILNS1_3genE4ELNS1_11target_archE910ELNS1_3gpuE8ELNS1_3repE0EEENS1_30default_config_static_selectorELNS0_4arch9wavefront6targetE0EEEvT1_
	.globl	_ZN7rocprim17ROCPRIM_400000_NS6detail17trampoline_kernelINS0_14default_configENS1_25partition_config_selectorILNS1_17partition_subalgoE6EsNS0_10empty_typeEbEEZZNS1_14partition_implILS5_6ELb0ES3_mN6thrust23THRUST_200600_302600_NS6detail15normal_iteratorINSA_10device_ptrIsEEEEPS6_SG_NS0_5tupleIJSF_S6_EEENSH_IJSG_SG_EEES6_PlJNSB_9not_fun_tI7is_evenIsEEEEEE10hipError_tPvRmT3_T4_T5_T6_T7_T9_mT8_P12ihipStream_tbDpT10_ENKUlT_T0_E_clISt17integral_constantIbLb1EES18_EEDaS13_S14_EUlS13_E_NS1_11comp_targetILNS1_3genE4ELNS1_11target_archE910ELNS1_3gpuE8ELNS1_3repE0EEENS1_30default_config_static_selectorELNS0_4arch9wavefront6targetE0EEEvT1_
	.p2align	8
	.type	_ZN7rocprim17ROCPRIM_400000_NS6detail17trampoline_kernelINS0_14default_configENS1_25partition_config_selectorILNS1_17partition_subalgoE6EsNS0_10empty_typeEbEEZZNS1_14partition_implILS5_6ELb0ES3_mN6thrust23THRUST_200600_302600_NS6detail15normal_iteratorINSA_10device_ptrIsEEEEPS6_SG_NS0_5tupleIJSF_S6_EEENSH_IJSG_SG_EEES6_PlJNSB_9not_fun_tI7is_evenIsEEEEEE10hipError_tPvRmT3_T4_T5_T6_T7_T9_mT8_P12ihipStream_tbDpT10_ENKUlT_T0_E_clISt17integral_constantIbLb1EES18_EEDaS13_S14_EUlS13_E_NS1_11comp_targetILNS1_3genE4ELNS1_11target_archE910ELNS1_3gpuE8ELNS1_3repE0EEENS1_30default_config_static_selectorELNS0_4arch9wavefront6targetE0EEEvT1_,@function
_ZN7rocprim17ROCPRIM_400000_NS6detail17trampoline_kernelINS0_14default_configENS1_25partition_config_selectorILNS1_17partition_subalgoE6EsNS0_10empty_typeEbEEZZNS1_14partition_implILS5_6ELb0ES3_mN6thrust23THRUST_200600_302600_NS6detail15normal_iteratorINSA_10device_ptrIsEEEEPS6_SG_NS0_5tupleIJSF_S6_EEENSH_IJSG_SG_EEES6_PlJNSB_9not_fun_tI7is_evenIsEEEEEE10hipError_tPvRmT3_T4_T5_T6_T7_T9_mT8_P12ihipStream_tbDpT10_ENKUlT_T0_E_clISt17integral_constantIbLb1EES18_EEDaS13_S14_EUlS13_E_NS1_11comp_targetILNS1_3genE4ELNS1_11target_archE910ELNS1_3gpuE8ELNS1_3repE0EEENS1_30default_config_static_selectorELNS0_4arch9wavefront6targetE0EEEvT1_: ; @_ZN7rocprim17ROCPRIM_400000_NS6detail17trampoline_kernelINS0_14default_configENS1_25partition_config_selectorILNS1_17partition_subalgoE6EsNS0_10empty_typeEbEEZZNS1_14partition_implILS5_6ELb0ES3_mN6thrust23THRUST_200600_302600_NS6detail15normal_iteratorINSA_10device_ptrIsEEEEPS6_SG_NS0_5tupleIJSF_S6_EEENSH_IJSG_SG_EEES6_PlJNSB_9not_fun_tI7is_evenIsEEEEEE10hipError_tPvRmT3_T4_T5_T6_T7_T9_mT8_P12ihipStream_tbDpT10_ENKUlT_T0_E_clISt17integral_constantIbLb1EES18_EEDaS13_S14_EUlS13_E_NS1_11comp_targetILNS1_3genE4ELNS1_11target_archE910ELNS1_3gpuE8ELNS1_3repE0EEENS1_30default_config_static_selectorELNS0_4arch9wavefront6targetE0EEEvT1_
; %bb.0:
	.section	.rodata,"a",@progbits
	.p2align	6, 0x0
	.amdhsa_kernel _ZN7rocprim17ROCPRIM_400000_NS6detail17trampoline_kernelINS0_14default_configENS1_25partition_config_selectorILNS1_17partition_subalgoE6EsNS0_10empty_typeEbEEZZNS1_14partition_implILS5_6ELb0ES3_mN6thrust23THRUST_200600_302600_NS6detail15normal_iteratorINSA_10device_ptrIsEEEEPS6_SG_NS0_5tupleIJSF_S6_EEENSH_IJSG_SG_EEES6_PlJNSB_9not_fun_tI7is_evenIsEEEEEE10hipError_tPvRmT3_T4_T5_T6_T7_T9_mT8_P12ihipStream_tbDpT10_ENKUlT_T0_E_clISt17integral_constantIbLb1EES18_EEDaS13_S14_EUlS13_E_NS1_11comp_targetILNS1_3genE4ELNS1_11target_archE910ELNS1_3gpuE8ELNS1_3repE0EEENS1_30default_config_static_selectorELNS0_4arch9wavefront6targetE0EEEvT1_
		.amdhsa_group_segment_fixed_size 0
		.amdhsa_private_segment_fixed_size 0
		.amdhsa_kernarg_size 128
		.amdhsa_user_sgpr_count 2
		.amdhsa_user_sgpr_dispatch_ptr 0
		.amdhsa_user_sgpr_queue_ptr 0
		.amdhsa_user_sgpr_kernarg_segment_ptr 1
		.amdhsa_user_sgpr_dispatch_id 0
		.amdhsa_user_sgpr_private_segment_size 0
		.amdhsa_wavefront_size32 1
		.amdhsa_uses_dynamic_stack 0
		.amdhsa_enable_private_segment 0
		.amdhsa_system_sgpr_workgroup_id_x 1
		.amdhsa_system_sgpr_workgroup_id_y 0
		.amdhsa_system_sgpr_workgroup_id_z 0
		.amdhsa_system_sgpr_workgroup_info 0
		.amdhsa_system_vgpr_workitem_id 0
		.amdhsa_next_free_vgpr 1
		.amdhsa_next_free_sgpr 1
		.amdhsa_reserve_vcc 0
		.amdhsa_float_round_mode_32 0
		.amdhsa_float_round_mode_16_64 0
		.amdhsa_float_denorm_mode_32 3
		.amdhsa_float_denorm_mode_16_64 3
		.amdhsa_fp16_overflow 0
		.amdhsa_workgroup_processor_mode 1
		.amdhsa_memory_ordered 1
		.amdhsa_forward_progress 1
		.amdhsa_inst_pref_size 0
		.amdhsa_round_robin_scheduling 0
		.amdhsa_exception_fp_ieee_invalid_op 0
		.amdhsa_exception_fp_denorm_src 0
		.amdhsa_exception_fp_ieee_div_zero 0
		.amdhsa_exception_fp_ieee_overflow 0
		.amdhsa_exception_fp_ieee_underflow 0
		.amdhsa_exception_fp_ieee_inexact 0
		.amdhsa_exception_int_div_zero 0
	.end_amdhsa_kernel
	.section	.text._ZN7rocprim17ROCPRIM_400000_NS6detail17trampoline_kernelINS0_14default_configENS1_25partition_config_selectorILNS1_17partition_subalgoE6EsNS0_10empty_typeEbEEZZNS1_14partition_implILS5_6ELb0ES3_mN6thrust23THRUST_200600_302600_NS6detail15normal_iteratorINSA_10device_ptrIsEEEEPS6_SG_NS0_5tupleIJSF_S6_EEENSH_IJSG_SG_EEES6_PlJNSB_9not_fun_tI7is_evenIsEEEEEE10hipError_tPvRmT3_T4_T5_T6_T7_T9_mT8_P12ihipStream_tbDpT10_ENKUlT_T0_E_clISt17integral_constantIbLb1EES18_EEDaS13_S14_EUlS13_E_NS1_11comp_targetILNS1_3genE4ELNS1_11target_archE910ELNS1_3gpuE8ELNS1_3repE0EEENS1_30default_config_static_selectorELNS0_4arch9wavefront6targetE0EEEvT1_,"axG",@progbits,_ZN7rocprim17ROCPRIM_400000_NS6detail17trampoline_kernelINS0_14default_configENS1_25partition_config_selectorILNS1_17partition_subalgoE6EsNS0_10empty_typeEbEEZZNS1_14partition_implILS5_6ELb0ES3_mN6thrust23THRUST_200600_302600_NS6detail15normal_iteratorINSA_10device_ptrIsEEEEPS6_SG_NS0_5tupleIJSF_S6_EEENSH_IJSG_SG_EEES6_PlJNSB_9not_fun_tI7is_evenIsEEEEEE10hipError_tPvRmT3_T4_T5_T6_T7_T9_mT8_P12ihipStream_tbDpT10_ENKUlT_T0_E_clISt17integral_constantIbLb1EES18_EEDaS13_S14_EUlS13_E_NS1_11comp_targetILNS1_3genE4ELNS1_11target_archE910ELNS1_3gpuE8ELNS1_3repE0EEENS1_30default_config_static_selectorELNS0_4arch9wavefront6targetE0EEEvT1_,comdat
.Lfunc_end767:
	.size	_ZN7rocprim17ROCPRIM_400000_NS6detail17trampoline_kernelINS0_14default_configENS1_25partition_config_selectorILNS1_17partition_subalgoE6EsNS0_10empty_typeEbEEZZNS1_14partition_implILS5_6ELb0ES3_mN6thrust23THRUST_200600_302600_NS6detail15normal_iteratorINSA_10device_ptrIsEEEEPS6_SG_NS0_5tupleIJSF_S6_EEENSH_IJSG_SG_EEES6_PlJNSB_9not_fun_tI7is_evenIsEEEEEE10hipError_tPvRmT3_T4_T5_T6_T7_T9_mT8_P12ihipStream_tbDpT10_ENKUlT_T0_E_clISt17integral_constantIbLb1EES18_EEDaS13_S14_EUlS13_E_NS1_11comp_targetILNS1_3genE4ELNS1_11target_archE910ELNS1_3gpuE8ELNS1_3repE0EEENS1_30default_config_static_selectorELNS0_4arch9wavefront6targetE0EEEvT1_, .Lfunc_end767-_ZN7rocprim17ROCPRIM_400000_NS6detail17trampoline_kernelINS0_14default_configENS1_25partition_config_selectorILNS1_17partition_subalgoE6EsNS0_10empty_typeEbEEZZNS1_14partition_implILS5_6ELb0ES3_mN6thrust23THRUST_200600_302600_NS6detail15normal_iteratorINSA_10device_ptrIsEEEEPS6_SG_NS0_5tupleIJSF_S6_EEENSH_IJSG_SG_EEES6_PlJNSB_9not_fun_tI7is_evenIsEEEEEE10hipError_tPvRmT3_T4_T5_T6_T7_T9_mT8_P12ihipStream_tbDpT10_ENKUlT_T0_E_clISt17integral_constantIbLb1EES18_EEDaS13_S14_EUlS13_E_NS1_11comp_targetILNS1_3genE4ELNS1_11target_archE910ELNS1_3gpuE8ELNS1_3repE0EEENS1_30default_config_static_selectorELNS0_4arch9wavefront6targetE0EEEvT1_
                                        ; -- End function
	.set _ZN7rocprim17ROCPRIM_400000_NS6detail17trampoline_kernelINS0_14default_configENS1_25partition_config_selectorILNS1_17partition_subalgoE6EsNS0_10empty_typeEbEEZZNS1_14partition_implILS5_6ELb0ES3_mN6thrust23THRUST_200600_302600_NS6detail15normal_iteratorINSA_10device_ptrIsEEEEPS6_SG_NS0_5tupleIJSF_S6_EEENSH_IJSG_SG_EEES6_PlJNSB_9not_fun_tI7is_evenIsEEEEEE10hipError_tPvRmT3_T4_T5_T6_T7_T9_mT8_P12ihipStream_tbDpT10_ENKUlT_T0_E_clISt17integral_constantIbLb1EES18_EEDaS13_S14_EUlS13_E_NS1_11comp_targetILNS1_3genE4ELNS1_11target_archE910ELNS1_3gpuE8ELNS1_3repE0EEENS1_30default_config_static_selectorELNS0_4arch9wavefront6targetE0EEEvT1_.num_vgpr, 0
	.set _ZN7rocprim17ROCPRIM_400000_NS6detail17trampoline_kernelINS0_14default_configENS1_25partition_config_selectorILNS1_17partition_subalgoE6EsNS0_10empty_typeEbEEZZNS1_14partition_implILS5_6ELb0ES3_mN6thrust23THRUST_200600_302600_NS6detail15normal_iteratorINSA_10device_ptrIsEEEEPS6_SG_NS0_5tupleIJSF_S6_EEENSH_IJSG_SG_EEES6_PlJNSB_9not_fun_tI7is_evenIsEEEEEE10hipError_tPvRmT3_T4_T5_T6_T7_T9_mT8_P12ihipStream_tbDpT10_ENKUlT_T0_E_clISt17integral_constantIbLb1EES18_EEDaS13_S14_EUlS13_E_NS1_11comp_targetILNS1_3genE4ELNS1_11target_archE910ELNS1_3gpuE8ELNS1_3repE0EEENS1_30default_config_static_selectorELNS0_4arch9wavefront6targetE0EEEvT1_.num_agpr, 0
	.set _ZN7rocprim17ROCPRIM_400000_NS6detail17trampoline_kernelINS0_14default_configENS1_25partition_config_selectorILNS1_17partition_subalgoE6EsNS0_10empty_typeEbEEZZNS1_14partition_implILS5_6ELb0ES3_mN6thrust23THRUST_200600_302600_NS6detail15normal_iteratorINSA_10device_ptrIsEEEEPS6_SG_NS0_5tupleIJSF_S6_EEENSH_IJSG_SG_EEES6_PlJNSB_9not_fun_tI7is_evenIsEEEEEE10hipError_tPvRmT3_T4_T5_T6_T7_T9_mT8_P12ihipStream_tbDpT10_ENKUlT_T0_E_clISt17integral_constantIbLb1EES18_EEDaS13_S14_EUlS13_E_NS1_11comp_targetILNS1_3genE4ELNS1_11target_archE910ELNS1_3gpuE8ELNS1_3repE0EEENS1_30default_config_static_selectorELNS0_4arch9wavefront6targetE0EEEvT1_.numbered_sgpr, 0
	.set _ZN7rocprim17ROCPRIM_400000_NS6detail17trampoline_kernelINS0_14default_configENS1_25partition_config_selectorILNS1_17partition_subalgoE6EsNS0_10empty_typeEbEEZZNS1_14partition_implILS5_6ELb0ES3_mN6thrust23THRUST_200600_302600_NS6detail15normal_iteratorINSA_10device_ptrIsEEEEPS6_SG_NS0_5tupleIJSF_S6_EEENSH_IJSG_SG_EEES6_PlJNSB_9not_fun_tI7is_evenIsEEEEEE10hipError_tPvRmT3_T4_T5_T6_T7_T9_mT8_P12ihipStream_tbDpT10_ENKUlT_T0_E_clISt17integral_constantIbLb1EES18_EEDaS13_S14_EUlS13_E_NS1_11comp_targetILNS1_3genE4ELNS1_11target_archE910ELNS1_3gpuE8ELNS1_3repE0EEENS1_30default_config_static_selectorELNS0_4arch9wavefront6targetE0EEEvT1_.num_named_barrier, 0
	.set _ZN7rocprim17ROCPRIM_400000_NS6detail17trampoline_kernelINS0_14default_configENS1_25partition_config_selectorILNS1_17partition_subalgoE6EsNS0_10empty_typeEbEEZZNS1_14partition_implILS5_6ELb0ES3_mN6thrust23THRUST_200600_302600_NS6detail15normal_iteratorINSA_10device_ptrIsEEEEPS6_SG_NS0_5tupleIJSF_S6_EEENSH_IJSG_SG_EEES6_PlJNSB_9not_fun_tI7is_evenIsEEEEEE10hipError_tPvRmT3_T4_T5_T6_T7_T9_mT8_P12ihipStream_tbDpT10_ENKUlT_T0_E_clISt17integral_constantIbLb1EES18_EEDaS13_S14_EUlS13_E_NS1_11comp_targetILNS1_3genE4ELNS1_11target_archE910ELNS1_3gpuE8ELNS1_3repE0EEENS1_30default_config_static_selectorELNS0_4arch9wavefront6targetE0EEEvT1_.private_seg_size, 0
	.set _ZN7rocprim17ROCPRIM_400000_NS6detail17trampoline_kernelINS0_14default_configENS1_25partition_config_selectorILNS1_17partition_subalgoE6EsNS0_10empty_typeEbEEZZNS1_14partition_implILS5_6ELb0ES3_mN6thrust23THRUST_200600_302600_NS6detail15normal_iteratorINSA_10device_ptrIsEEEEPS6_SG_NS0_5tupleIJSF_S6_EEENSH_IJSG_SG_EEES6_PlJNSB_9not_fun_tI7is_evenIsEEEEEE10hipError_tPvRmT3_T4_T5_T6_T7_T9_mT8_P12ihipStream_tbDpT10_ENKUlT_T0_E_clISt17integral_constantIbLb1EES18_EEDaS13_S14_EUlS13_E_NS1_11comp_targetILNS1_3genE4ELNS1_11target_archE910ELNS1_3gpuE8ELNS1_3repE0EEENS1_30default_config_static_selectorELNS0_4arch9wavefront6targetE0EEEvT1_.uses_vcc, 0
	.set _ZN7rocprim17ROCPRIM_400000_NS6detail17trampoline_kernelINS0_14default_configENS1_25partition_config_selectorILNS1_17partition_subalgoE6EsNS0_10empty_typeEbEEZZNS1_14partition_implILS5_6ELb0ES3_mN6thrust23THRUST_200600_302600_NS6detail15normal_iteratorINSA_10device_ptrIsEEEEPS6_SG_NS0_5tupleIJSF_S6_EEENSH_IJSG_SG_EEES6_PlJNSB_9not_fun_tI7is_evenIsEEEEEE10hipError_tPvRmT3_T4_T5_T6_T7_T9_mT8_P12ihipStream_tbDpT10_ENKUlT_T0_E_clISt17integral_constantIbLb1EES18_EEDaS13_S14_EUlS13_E_NS1_11comp_targetILNS1_3genE4ELNS1_11target_archE910ELNS1_3gpuE8ELNS1_3repE0EEENS1_30default_config_static_selectorELNS0_4arch9wavefront6targetE0EEEvT1_.uses_flat_scratch, 0
	.set _ZN7rocprim17ROCPRIM_400000_NS6detail17trampoline_kernelINS0_14default_configENS1_25partition_config_selectorILNS1_17partition_subalgoE6EsNS0_10empty_typeEbEEZZNS1_14partition_implILS5_6ELb0ES3_mN6thrust23THRUST_200600_302600_NS6detail15normal_iteratorINSA_10device_ptrIsEEEEPS6_SG_NS0_5tupleIJSF_S6_EEENSH_IJSG_SG_EEES6_PlJNSB_9not_fun_tI7is_evenIsEEEEEE10hipError_tPvRmT3_T4_T5_T6_T7_T9_mT8_P12ihipStream_tbDpT10_ENKUlT_T0_E_clISt17integral_constantIbLb1EES18_EEDaS13_S14_EUlS13_E_NS1_11comp_targetILNS1_3genE4ELNS1_11target_archE910ELNS1_3gpuE8ELNS1_3repE0EEENS1_30default_config_static_selectorELNS0_4arch9wavefront6targetE0EEEvT1_.has_dyn_sized_stack, 0
	.set _ZN7rocprim17ROCPRIM_400000_NS6detail17trampoline_kernelINS0_14default_configENS1_25partition_config_selectorILNS1_17partition_subalgoE6EsNS0_10empty_typeEbEEZZNS1_14partition_implILS5_6ELb0ES3_mN6thrust23THRUST_200600_302600_NS6detail15normal_iteratorINSA_10device_ptrIsEEEEPS6_SG_NS0_5tupleIJSF_S6_EEENSH_IJSG_SG_EEES6_PlJNSB_9not_fun_tI7is_evenIsEEEEEE10hipError_tPvRmT3_T4_T5_T6_T7_T9_mT8_P12ihipStream_tbDpT10_ENKUlT_T0_E_clISt17integral_constantIbLb1EES18_EEDaS13_S14_EUlS13_E_NS1_11comp_targetILNS1_3genE4ELNS1_11target_archE910ELNS1_3gpuE8ELNS1_3repE0EEENS1_30default_config_static_selectorELNS0_4arch9wavefront6targetE0EEEvT1_.has_recursion, 0
	.set _ZN7rocprim17ROCPRIM_400000_NS6detail17trampoline_kernelINS0_14default_configENS1_25partition_config_selectorILNS1_17partition_subalgoE6EsNS0_10empty_typeEbEEZZNS1_14partition_implILS5_6ELb0ES3_mN6thrust23THRUST_200600_302600_NS6detail15normal_iteratorINSA_10device_ptrIsEEEEPS6_SG_NS0_5tupleIJSF_S6_EEENSH_IJSG_SG_EEES6_PlJNSB_9not_fun_tI7is_evenIsEEEEEE10hipError_tPvRmT3_T4_T5_T6_T7_T9_mT8_P12ihipStream_tbDpT10_ENKUlT_T0_E_clISt17integral_constantIbLb1EES18_EEDaS13_S14_EUlS13_E_NS1_11comp_targetILNS1_3genE4ELNS1_11target_archE910ELNS1_3gpuE8ELNS1_3repE0EEENS1_30default_config_static_selectorELNS0_4arch9wavefront6targetE0EEEvT1_.has_indirect_call, 0
	.section	.AMDGPU.csdata,"",@progbits
; Kernel info:
; codeLenInByte = 0
; TotalNumSgprs: 0
; NumVgprs: 0
; ScratchSize: 0
; MemoryBound: 0
; FloatMode: 240
; IeeeMode: 1
; LDSByteSize: 0 bytes/workgroup (compile time only)
; SGPRBlocks: 0
; VGPRBlocks: 0
; NumSGPRsForWavesPerEU: 1
; NumVGPRsForWavesPerEU: 1
; Occupancy: 16
; WaveLimiterHint : 0
; COMPUTE_PGM_RSRC2:SCRATCH_EN: 0
; COMPUTE_PGM_RSRC2:USER_SGPR: 2
; COMPUTE_PGM_RSRC2:TRAP_HANDLER: 0
; COMPUTE_PGM_RSRC2:TGID_X_EN: 1
; COMPUTE_PGM_RSRC2:TGID_Y_EN: 0
; COMPUTE_PGM_RSRC2:TGID_Z_EN: 0
; COMPUTE_PGM_RSRC2:TIDIG_COMP_CNT: 0
	.section	.text._ZN7rocprim17ROCPRIM_400000_NS6detail17trampoline_kernelINS0_14default_configENS1_25partition_config_selectorILNS1_17partition_subalgoE6EsNS0_10empty_typeEbEEZZNS1_14partition_implILS5_6ELb0ES3_mN6thrust23THRUST_200600_302600_NS6detail15normal_iteratorINSA_10device_ptrIsEEEEPS6_SG_NS0_5tupleIJSF_S6_EEENSH_IJSG_SG_EEES6_PlJNSB_9not_fun_tI7is_evenIsEEEEEE10hipError_tPvRmT3_T4_T5_T6_T7_T9_mT8_P12ihipStream_tbDpT10_ENKUlT_T0_E_clISt17integral_constantIbLb1EES18_EEDaS13_S14_EUlS13_E_NS1_11comp_targetILNS1_3genE3ELNS1_11target_archE908ELNS1_3gpuE7ELNS1_3repE0EEENS1_30default_config_static_selectorELNS0_4arch9wavefront6targetE0EEEvT1_,"axG",@progbits,_ZN7rocprim17ROCPRIM_400000_NS6detail17trampoline_kernelINS0_14default_configENS1_25partition_config_selectorILNS1_17partition_subalgoE6EsNS0_10empty_typeEbEEZZNS1_14partition_implILS5_6ELb0ES3_mN6thrust23THRUST_200600_302600_NS6detail15normal_iteratorINSA_10device_ptrIsEEEEPS6_SG_NS0_5tupleIJSF_S6_EEENSH_IJSG_SG_EEES6_PlJNSB_9not_fun_tI7is_evenIsEEEEEE10hipError_tPvRmT3_T4_T5_T6_T7_T9_mT8_P12ihipStream_tbDpT10_ENKUlT_T0_E_clISt17integral_constantIbLb1EES18_EEDaS13_S14_EUlS13_E_NS1_11comp_targetILNS1_3genE3ELNS1_11target_archE908ELNS1_3gpuE7ELNS1_3repE0EEENS1_30default_config_static_selectorELNS0_4arch9wavefront6targetE0EEEvT1_,comdat
	.protected	_ZN7rocprim17ROCPRIM_400000_NS6detail17trampoline_kernelINS0_14default_configENS1_25partition_config_selectorILNS1_17partition_subalgoE6EsNS0_10empty_typeEbEEZZNS1_14partition_implILS5_6ELb0ES3_mN6thrust23THRUST_200600_302600_NS6detail15normal_iteratorINSA_10device_ptrIsEEEEPS6_SG_NS0_5tupleIJSF_S6_EEENSH_IJSG_SG_EEES6_PlJNSB_9not_fun_tI7is_evenIsEEEEEE10hipError_tPvRmT3_T4_T5_T6_T7_T9_mT8_P12ihipStream_tbDpT10_ENKUlT_T0_E_clISt17integral_constantIbLb1EES18_EEDaS13_S14_EUlS13_E_NS1_11comp_targetILNS1_3genE3ELNS1_11target_archE908ELNS1_3gpuE7ELNS1_3repE0EEENS1_30default_config_static_selectorELNS0_4arch9wavefront6targetE0EEEvT1_ ; -- Begin function _ZN7rocprim17ROCPRIM_400000_NS6detail17trampoline_kernelINS0_14default_configENS1_25partition_config_selectorILNS1_17partition_subalgoE6EsNS0_10empty_typeEbEEZZNS1_14partition_implILS5_6ELb0ES3_mN6thrust23THRUST_200600_302600_NS6detail15normal_iteratorINSA_10device_ptrIsEEEEPS6_SG_NS0_5tupleIJSF_S6_EEENSH_IJSG_SG_EEES6_PlJNSB_9not_fun_tI7is_evenIsEEEEEE10hipError_tPvRmT3_T4_T5_T6_T7_T9_mT8_P12ihipStream_tbDpT10_ENKUlT_T0_E_clISt17integral_constantIbLb1EES18_EEDaS13_S14_EUlS13_E_NS1_11comp_targetILNS1_3genE3ELNS1_11target_archE908ELNS1_3gpuE7ELNS1_3repE0EEENS1_30default_config_static_selectorELNS0_4arch9wavefront6targetE0EEEvT1_
	.globl	_ZN7rocprim17ROCPRIM_400000_NS6detail17trampoline_kernelINS0_14default_configENS1_25partition_config_selectorILNS1_17partition_subalgoE6EsNS0_10empty_typeEbEEZZNS1_14partition_implILS5_6ELb0ES3_mN6thrust23THRUST_200600_302600_NS6detail15normal_iteratorINSA_10device_ptrIsEEEEPS6_SG_NS0_5tupleIJSF_S6_EEENSH_IJSG_SG_EEES6_PlJNSB_9not_fun_tI7is_evenIsEEEEEE10hipError_tPvRmT3_T4_T5_T6_T7_T9_mT8_P12ihipStream_tbDpT10_ENKUlT_T0_E_clISt17integral_constantIbLb1EES18_EEDaS13_S14_EUlS13_E_NS1_11comp_targetILNS1_3genE3ELNS1_11target_archE908ELNS1_3gpuE7ELNS1_3repE0EEENS1_30default_config_static_selectorELNS0_4arch9wavefront6targetE0EEEvT1_
	.p2align	8
	.type	_ZN7rocprim17ROCPRIM_400000_NS6detail17trampoline_kernelINS0_14default_configENS1_25partition_config_selectorILNS1_17partition_subalgoE6EsNS0_10empty_typeEbEEZZNS1_14partition_implILS5_6ELb0ES3_mN6thrust23THRUST_200600_302600_NS6detail15normal_iteratorINSA_10device_ptrIsEEEEPS6_SG_NS0_5tupleIJSF_S6_EEENSH_IJSG_SG_EEES6_PlJNSB_9not_fun_tI7is_evenIsEEEEEE10hipError_tPvRmT3_T4_T5_T6_T7_T9_mT8_P12ihipStream_tbDpT10_ENKUlT_T0_E_clISt17integral_constantIbLb1EES18_EEDaS13_S14_EUlS13_E_NS1_11comp_targetILNS1_3genE3ELNS1_11target_archE908ELNS1_3gpuE7ELNS1_3repE0EEENS1_30default_config_static_selectorELNS0_4arch9wavefront6targetE0EEEvT1_,@function
_ZN7rocprim17ROCPRIM_400000_NS6detail17trampoline_kernelINS0_14default_configENS1_25partition_config_selectorILNS1_17partition_subalgoE6EsNS0_10empty_typeEbEEZZNS1_14partition_implILS5_6ELb0ES3_mN6thrust23THRUST_200600_302600_NS6detail15normal_iteratorINSA_10device_ptrIsEEEEPS6_SG_NS0_5tupleIJSF_S6_EEENSH_IJSG_SG_EEES6_PlJNSB_9not_fun_tI7is_evenIsEEEEEE10hipError_tPvRmT3_T4_T5_T6_T7_T9_mT8_P12ihipStream_tbDpT10_ENKUlT_T0_E_clISt17integral_constantIbLb1EES18_EEDaS13_S14_EUlS13_E_NS1_11comp_targetILNS1_3genE3ELNS1_11target_archE908ELNS1_3gpuE7ELNS1_3repE0EEENS1_30default_config_static_selectorELNS0_4arch9wavefront6targetE0EEEvT1_: ; @_ZN7rocprim17ROCPRIM_400000_NS6detail17trampoline_kernelINS0_14default_configENS1_25partition_config_selectorILNS1_17partition_subalgoE6EsNS0_10empty_typeEbEEZZNS1_14partition_implILS5_6ELb0ES3_mN6thrust23THRUST_200600_302600_NS6detail15normal_iteratorINSA_10device_ptrIsEEEEPS6_SG_NS0_5tupleIJSF_S6_EEENSH_IJSG_SG_EEES6_PlJNSB_9not_fun_tI7is_evenIsEEEEEE10hipError_tPvRmT3_T4_T5_T6_T7_T9_mT8_P12ihipStream_tbDpT10_ENKUlT_T0_E_clISt17integral_constantIbLb1EES18_EEDaS13_S14_EUlS13_E_NS1_11comp_targetILNS1_3genE3ELNS1_11target_archE908ELNS1_3gpuE7ELNS1_3repE0EEENS1_30default_config_static_selectorELNS0_4arch9wavefront6targetE0EEEvT1_
; %bb.0:
	.section	.rodata,"a",@progbits
	.p2align	6, 0x0
	.amdhsa_kernel _ZN7rocprim17ROCPRIM_400000_NS6detail17trampoline_kernelINS0_14default_configENS1_25partition_config_selectorILNS1_17partition_subalgoE6EsNS0_10empty_typeEbEEZZNS1_14partition_implILS5_6ELb0ES3_mN6thrust23THRUST_200600_302600_NS6detail15normal_iteratorINSA_10device_ptrIsEEEEPS6_SG_NS0_5tupleIJSF_S6_EEENSH_IJSG_SG_EEES6_PlJNSB_9not_fun_tI7is_evenIsEEEEEE10hipError_tPvRmT3_T4_T5_T6_T7_T9_mT8_P12ihipStream_tbDpT10_ENKUlT_T0_E_clISt17integral_constantIbLb1EES18_EEDaS13_S14_EUlS13_E_NS1_11comp_targetILNS1_3genE3ELNS1_11target_archE908ELNS1_3gpuE7ELNS1_3repE0EEENS1_30default_config_static_selectorELNS0_4arch9wavefront6targetE0EEEvT1_
		.amdhsa_group_segment_fixed_size 0
		.amdhsa_private_segment_fixed_size 0
		.amdhsa_kernarg_size 128
		.amdhsa_user_sgpr_count 2
		.amdhsa_user_sgpr_dispatch_ptr 0
		.amdhsa_user_sgpr_queue_ptr 0
		.amdhsa_user_sgpr_kernarg_segment_ptr 1
		.amdhsa_user_sgpr_dispatch_id 0
		.amdhsa_user_sgpr_private_segment_size 0
		.amdhsa_wavefront_size32 1
		.amdhsa_uses_dynamic_stack 0
		.amdhsa_enable_private_segment 0
		.amdhsa_system_sgpr_workgroup_id_x 1
		.amdhsa_system_sgpr_workgroup_id_y 0
		.amdhsa_system_sgpr_workgroup_id_z 0
		.amdhsa_system_sgpr_workgroup_info 0
		.amdhsa_system_vgpr_workitem_id 0
		.amdhsa_next_free_vgpr 1
		.amdhsa_next_free_sgpr 1
		.amdhsa_reserve_vcc 0
		.amdhsa_float_round_mode_32 0
		.amdhsa_float_round_mode_16_64 0
		.amdhsa_float_denorm_mode_32 3
		.amdhsa_float_denorm_mode_16_64 3
		.amdhsa_fp16_overflow 0
		.amdhsa_workgroup_processor_mode 1
		.amdhsa_memory_ordered 1
		.amdhsa_forward_progress 1
		.amdhsa_inst_pref_size 0
		.amdhsa_round_robin_scheduling 0
		.amdhsa_exception_fp_ieee_invalid_op 0
		.amdhsa_exception_fp_denorm_src 0
		.amdhsa_exception_fp_ieee_div_zero 0
		.amdhsa_exception_fp_ieee_overflow 0
		.amdhsa_exception_fp_ieee_underflow 0
		.amdhsa_exception_fp_ieee_inexact 0
		.amdhsa_exception_int_div_zero 0
	.end_amdhsa_kernel
	.section	.text._ZN7rocprim17ROCPRIM_400000_NS6detail17trampoline_kernelINS0_14default_configENS1_25partition_config_selectorILNS1_17partition_subalgoE6EsNS0_10empty_typeEbEEZZNS1_14partition_implILS5_6ELb0ES3_mN6thrust23THRUST_200600_302600_NS6detail15normal_iteratorINSA_10device_ptrIsEEEEPS6_SG_NS0_5tupleIJSF_S6_EEENSH_IJSG_SG_EEES6_PlJNSB_9not_fun_tI7is_evenIsEEEEEE10hipError_tPvRmT3_T4_T5_T6_T7_T9_mT8_P12ihipStream_tbDpT10_ENKUlT_T0_E_clISt17integral_constantIbLb1EES18_EEDaS13_S14_EUlS13_E_NS1_11comp_targetILNS1_3genE3ELNS1_11target_archE908ELNS1_3gpuE7ELNS1_3repE0EEENS1_30default_config_static_selectorELNS0_4arch9wavefront6targetE0EEEvT1_,"axG",@progbits,_ZN7rocprim17ROCPRIM_400000_NS6detail17trampoline_kernelINS0_14default_configENS1_25partition_config_selectorILNS1_17partition_subalgoE6EsNS0_10empty_typeEbEEZZNS1_14partition_implILS5_6ELb0ES3_mN6thrust23THRUST_200600_302600_NS6detail15normal_iteratorINSA_10device_ptrIsEEEEPS6_SG_NS0_5tupleIJSF_S6_EEENSH_IJSG_SG_EEES6_PlJNSB_9not_fun_tI7is_evenIsEEEEEE10hipError_tPvRmT3_T4_T5_T6_T7_T9_mT8_P12ihipStream_tbDpT10_ENKUlT_T0_E_clISt17integral_constantIbLb1EES18_EEDaS13_S14_EUlS13_E_NS1_11comp_targetILNS1_3genE3ELNS1_11target_archE908ELNS1_3gpuE7ELNS1_3repE0EEENS1_30default_config_static_selectorELNS0_4arch9wavefront6targetE0EEEvT1_,comdat
.Lfunc_end768:
	.size	_ZN7rocprim17ROCPRIM_400000_NS6detail17trampoline_kernelINS0_14default_configENS1_25partition_config_selectorILNS1_17partition_subalgoE6EsNS0_10empty_typeEbEEZZNS1_14partition_implILS5_6ELb0ES3_mN6thrust23THRUST_200600_302600_NS6detail15normal_iteratorINSA_10device_ptrIsEEEEPS6_SG_NS0_5tupleIJSF_S6_EEENSH_IJSG_SG_EEES6_PlJNSB_9not_fun_tI7is_evenIsEEEEEE10hipError_tPvRmT3_T4_T5_T6_T7_T9_mT8_P12ihipStream_tbDpT10_ENKUlT_T0_E_clISt17integral_constantIbLb1EES18_EEDaS13_S14_EUlS13_E_NS1_11comp_targetILNS1_3genE3ELNS1_11target_archE908ELNS1_3gpuE7ELNS1_3repE0EEENS1_30default_config_static_selectorELNS0_4arch9wavefront6targetE0EEEvT1_, .Lfunc_end768-_ZN7rocprim17ROCPRIM_400000_NS6detail17trampoline_kernelINS0_14default_configENS1_25partition_config_selectorILNS1_17partition_subalgoE6EsNS0_10empty_typeEbEEZZNS1_14partition_implILS5_6ELb0ES3_mN6thrust23THRUST_200600_302600_NS6detail15normal_iteratorINSA_10device_ptrIsEEEEPS6_SG_NS0_5tupleIJSF_S6_EEENSH_IJSG_SG_EEES6_PlJNSB_9not_fun_tI7is_evenIsEEEEEE10hipError_tPvRmT3_T4_T5_T6_T7_T9_mT8_P12ihipStream_tbDpT10_ENKUlT_T0_E_clISt17integral_constantIbLb1EES18_EEDaS13_S14_EUlS13_E_NS1_11comp_targetILNS1_3genE3ELNS1_11target_archE908ELNS1_3gpuE7ELNS1_3repE0EEENS1_30default_config_static_selectorELNS0_4arch9wavefront6targetE0EEEvT1_
                                        ; -- End function
	.set _ZN7rocprim17ROCPRIM_400000_NS6detail17trampoline_kernelINS0_14default_configENS1_25partition_config_selectorILNS1_17partition_subalgoE6EsNS0_10empty_typeEbEEZZNS1_14partition_implILS5_6ELb0ES3_mN6thrust23THRUST_200600_302600_NS6detail15normal_iteratorINSA_10device_ptrIsEEEEPS6_SG_NS0_5tupleIJSF_S6_EEENSH_IJSG_SG_EEES6_PlJNSB_9not_fun_tI7is_evenIsEEEEEE10hipError_tPvRmT3_T4_T5_T6_T7_T9_mT8_P12ihipStream_tbDpT10_ENKUlT_T0_E_clISt17integral_constantIbLb1EES18_EEDaS13_S14_EUlS13_E_NS1_11comp_targetILNS1_3genE3ELNS1_11target_archE908ELNS1_3gpuE7ELNS1_3repE0EEENS1_30default_config_static_selectorELNS0_4arch9wavefront6targetE0EEEvT1_.num_vgpr, 0
	.set _ZN7rocprim17ROCPRIM_400000_NS6detail17trampoline_kernelINS0_14default_configENS1_25partition_config_selectorILNS1_17partition_subalgoE6EsNS0_10empty_typeEbEEZZNS1_14partition_implILS5_6ELb0ES3_mN6thrust23THRUST_200600_302600_NS6detail15normal_iteratorINSA_10device_ptrIsEEEEPS6_SG_NS0_5tupleIJSF_S6_EEENSH_IJSG_SG_EEES6_PlJNSB_9not_fun_tI7is_evenIsEEEEEE10hipError_tPvRmT3_T4_T5_T6_T7_T9_mT8_P12ihipStream_tbDpT10_ENKUlT_T0_E_clISt17integral_constantIbLb1EES18_EEDaS13_S14_EUlS13_E_NS1_11comp_targetILNS1_3genE3ELNS1_11target_archE908ELNS1_3gpuE7ELNS1_3repE0EEENS1_30default_config_static_selectorELNS0_4arch9wavefront6targetE0EEEvT1_.num_agpr, 0
	.set _ZN7rocprim17ROCPRIM_400000_NS6detail17trampoline_kernelINS0_14default_configENS1_25partition_config_selectorILNS1_17partition_subalgoE6EsNS0_10empty_typeEbEEZZNS1_14partition_implILS5_6ELb0ES3_mN6thrust23THRUST_200600_302600_NS6detail15normal_iteratorINSA_10device_ptrIsEEEEPS6_SG_NS0_5tupleIJSF_S6_EEENSH_IJSG_SG_EEES6_PlJNSB_9not_fun_tI7is_evenIsEEEEEE10hipError_tPvRmT3_T4_T5_T6_T7_T9_mT8_P12ihipStream_tbDpT10_ENKUlT_T0_E_clISt17integral_constantIbLb1EES18_EEDaS13_S14_EUlS13_E_NS1_11comp_targetILNS1_3genE3ELNS1_11target_archE908ELNS1_3gpuE7ELNS1_3repE0EEENS1_30default_config_static_selectorELNS0_4arch9wavefront6targetE0EEEvT1_.numbered_sgpr, 0
	.set _ZN7rocprim17ROCPRIM_400000_NS6detail17trampoline_kernelINS0_14default_configENS1_25partition_config_selectorILNS1_17partition_subalgoE6EsNS0_10empty_typeEbEEZZNS1_14partition_implILS5_6ELb0ES3_mN6thrust23THRUST_200600_302600_NS6detail15normal_iteratorINSA_10device_ptrIsEEEEPS6_SG_NS0_5tupleIJSF_S6_EEENSH_IJSG_SG_EEES6_PlJNSB_9not_fun_tI7is_evenIsEEEEEE10hipError_tPvRmT3_T4_T5_T6_T7_T9_mT8_P12ihipStream_tbDpT10_ENKUlT_T0_E_clISt17integral_constantIbLb1EES18_EEDaS13_S14_EUlS13_E_NS1_11comp_targetILNS1_3genE3ELNS1_11target_archE908ELNS1_3gpuE7ELNS1_3repE0EEENS1_30default_config_static_selectorELNS0_4arch9wavefront6targetE0EEEvT1_.num_named_barrier, 0
	.set _ZN7rocprim17ROCPRIM_400000_NS6detail17trampoline_kernelINS0_14default_configENS1_25partition_config_selectorILNS1_17partition_subalgoE6EsNS0_10empty_typeEbEEZZNS1_14partition_implILS5_6ELb0ES3_mN6thrust23THRUST_200600_302600_NS6detail15normal_iteratorINSA_10device_ptrIsEEEEPS6_SG_NS0_5tupleIJSF_S6_EEENSH_IJSG_SG_EEES6_PlJNSB_9not_fun_tI7is_evenIsEEEEEE10hipError_tPvRmT3_T4_T5_T6_T7_T9_mT8_P12ihipStream_tbDpT10_ENKUlT_T0_E_clISt17integral_constantIbLb1EES18_EEDaS13_S14_EUlS13_E_NS1_11comp_targetILNS1_3genE3ELNS1_11target_archE908ELNS1_3gpuE7ELNS1_3repE0EEENS1_30default_config_static_selectorELNS0_4arch9wavefront6targetE0EEEvT1_.private_seg_size, 0
	.set _ZN7rocprim17ROCPRIM_400000_NS6detail17trampoline_kernelINS0_14default_configENS1_25partition_config_selectorILNS1_17partition_subalgoE6EsNS0_10empty_typeEbEEZZNS1_14partition_implILS5_6ELb0ES3_mN6thrust23THRUST_200600_302600_NS6detail15normal_iteratorINSA_10device_ptrIsEEEEPS6_SG_NS0_5tupleIJSF_S6_EEENSH_IJSG_SG_EEES6_PlJNSB_9not_fun_tI7is_evenIsEEEEEE10hipError_tPvRmT3_T4_T5_T6_T7_T9_mT8_P12ihipStream_tbDpT10_ENKUlT_T0_E_clISt17integral_constantIbLb1EES18_EEDaS13_S14_EUlS13_E_NS1_11comp_targetILNS1_3genE3ELNS1_11target_archE908ELNS1_3gpuE7ELNS1_3repE0EEENS1_30default_config_static_selectorELNS0_4arch9wavefront6targetE0EEEvT1_.uses_vcc, 0
	.set _ZN7rocprim17ROCPRIM_400000_NS6detail17trampoline_kernelINS0_14default_configENS1_25partition_config_selectorILNS1_17partition_subalgoE6EsNS0_10empty_typeEbEEZZNS1_14partition_implILS5_6ELb0ES3_mN6thrust23THRUST_200600_302600_NS6detail15normal_iteratorINSA_10device_ptrIsEEEEPS6_SG_NS0_5tupleIJSF_S6_EEENSH_IJSG_SG_EEES6_PlJNSB_9not_fun_tI7is_evenIsEEEEEE10hipError_tPvRmT3_T4_T5_T6_T7_T9_mT8_P12ihipStream_tbDpT10_ENKUlT_T0_E_clISt17integral_constantIbLb1EES18_EEDaS13_S14_EUlS13_E_NS1_11comp_targetILNS1_3genE3ELNS1_11target_archE908ELNS1_3gpuE7ELNS1_3repE0EEENS1_30default_config_static_selectorELNS0_4arch9wavefront6targetE0EEEvT1_.uses_flat_scratch, 0
	.set _ZN7rocprim17ROCPRIM_400000_NS6detail17trampoline_kernelINS0_14default_configENS1_25partition_config_selectorILNS1_17partition_subalgoE6EsNS0_10empty_typeEbEEZZNS1_14partition_implILS5_6ELb0ES3_mN6thrust23THRUST_200600_302600_NS6detail15normal_iteratorINSA_10device_ptrIsEEEEPS6_SG_NS0_5tupleIJSF_S6_EEENSH_IJSG_SG_EEES6_PlJNSB_9not_fun_tI7is_evenIsEEEEEE10hipError_tPvRmT3_T4_T5_T6_T7_T9_mT8_P12ihipStream_tbDpT10_ENKUlT_T0_E_clISt17integral_constantIbLb1EES18_EEDaS13_S14_EUlS13_E_NS1_11comp_targetILNS1_3genE3ELNS1_11target_archE908ELNS1_3gpuE7ELNS1_3repE0EEENS1_30default_config_static_selectorELNS0_4arch9wavefront6targetE0EEEvT1_.has_dyn_sized_stack, 0
	.set _ZN7rocprim17ROCPRIM_400000_NS6detail17trampoline_kernelINS0_14default_configENS1_25partition_config_selectorILNS1_17partition_subalgoE6EsNS0_10empty_typeEbEEZZNS1_14partition_implILS5_6ELb0ES3_mN6thrust23THRUST_200600_302600_NS6detail15normal_iteratorINSA_10device_ptrIsEEEEPS6_SG_NS0_5tupleIJSF_S6_EEENSH_IJSG_SG_EEES6_PlJNSB_9not_fun_tI7is_evenIsEEEEEE10hipError_tPvRmT3_T4_T5_T6_T7_T9_mT8_P12ihipStream_tbDpT10_ENKUlT_T0_E_clISt17integral_constantIbLb1EES18_EEDaS13_S14_EUlS13_E_NS1_11comp_targetILNS1_3genE3ELNS1_11target_archE908ELNS1_3gpuE7ELNS1_3repE0EEENS1_30default_config_static_selectorELNS0_4arch9wavefront6targetE0EEEvT1_.has_recursion, 0
	.set _ZN7rocprim17ROCPRIM_400000_NS6detail17trampoline_kernelINS0_14default_configENS1_25partition_config_selectorILNS1_17partition_subalgoE6EsNS0_10empty_typeEbEEZZNS1_14partition_implILS5_6ELb0ES3_mN6thrust23THRUST_200600_302600_NS6detail15normal_iteratorINSA_10device_ptrIsEEEEPS6_SG_NS0_5tupleIJSF_S6_EEENSH_IJSG_SG_EEES6_PlJNSB_9not_fun_tI7is_evenIsEEEEEE10hipError_tPvRmT3_T4_T5_T6_T7_T9_mT8_P12ihipStream_tbDpT10_ENKUlT_T0_E_clISt17integral_constantIbLb1EES18_EEDaS13_S14_EUlS13_E_NS1_11comp_targetILNS1_3genE3ELNS1_11target_archE908ELNS1_3gpuE7ELNS1_3repE0EEENS1_30default_config_static_selectorELNS0_4arch9wavefront6targetE0EEEvT1_.has_indirect_call, 0
	.section	.AMDGPU.csdata,"",@progbits
; Kernel info:
; codeLenInByte = 0
; TotalNumSgprs: 0
; NumVgprs: 0
; ScratchSize: 0
; MemoryBound: 0
; FloatMode: 240
; IeeeMode: 1
; LDSByteSize: 0 bytes/workgroup (compile time only)
; SGPRBlocks: 0
; VGPRBlocks: 0
; NumSGPRsForWavesPerEU: 1
; NumVGPRsForWavesPerEU: 1
; Occupancy: 16
; WaveLimiterHint : 0
; COMPUTE_PGM_RSRC2:SCRATCH_EN: 0
; COMPUTE_PGM_RSRC2:USER_SGPR: 2
; COMPUTE_PGM_RSRC2:TRAP_HANDLER: 0
; COMPUTE_PGM_RSRC2:TGID_X_EN: 1
; COMPUTE_PGM_RSRC2:TGID_Y_EN: 0
; COMPUTE_PGM_RSRC2:TGID_Z_EN: 0
; COMPUTE_PGM_RSRC2:TIDIG_COMP_CNT: 0
	.section	.text._ZN7rocprim17ROCPRIM_400000_NS6detail17trampoline_kernelINS0_14default_configENS1_25partition_config_selectorILNS1_17partition_subalgoE6EsNS0_10empty_typeEbEEZZNS1_14partition_implILS5_6ELb0ES3_mN6thrust23THRUST_200600_302600_NS6detail15normal_iteratorINSA_10device_ptrIsEEEEPS6_SG_NS0_5tupleIJSF_S6_EEENSH_IJSG_SG_EEES6_PlJNSB_9not_fun_tI7is_evenIsEEEEEE10hipError_tPvRmT3_T4_T5_T6_T7_T9_mT8_P12ihipStream_tbDpT10_ENKUlT_T0_E_clISt17integral_constantIbLb1EES18_EEDaS13_S14_EUlS13_E_NS1_11comp_targetILNS1_3genE2ELNS1_11target_archE906ELNS1_3gpuE6ELNS1_3repE0EEENS1_30default_config_static_selectorELNS0_4arch9wavefront6targetE0EEEvT1_,"axG",@progbits,_ZN7rocprim17ROCPRIM_400000_NS6detail17trampoline_kernelINS0_14default_configENS1_25partition_config_selectorILNS1_17partition_subalgoE6EsNS0_10empty_typeEbEEZZNS1_14partition_implILS5_6ELb0ES3_mN6thrust23THRUST_200600_302600_NS6detail15normal_iteratorINSA_10device_ptrIsEEEEPS6_SG_NS0_5tupleIJSF_S6_EEENSH_IJSG_SG_EEES6_PlJNSB_9not_fun_tI7is_evenIsEEEEEE10hipError_tPvRmT3_T4_T5_T6_T7_T9_mT8_P12ihipStream_tbDpT10_ENKUlT_T0_E_clISt17integral_constantIbLb1EES18_EEDaS13_S14_EUlS13_E_NS1_11comp_targetILNS1_3genE2ELNS1_11target_archE906ELNS1_3gpuE6ELNS1_3repE0EEENS1_30default_config_static_selectorELNS0_4arch9wavefront6targetE0EEEvT1_,comdat
	.protected	_ZN7rocprim17ROCPRIM_400000_NS6detail17trampoline_kernelINS0_14default_configENS1_25partition_config_selectorILNS1_17partition_subalgoE6EsNS0_10empty_typeEbEEZZNS1_14partition_implILS5_6ELb0ES3_mN6thrust23THRUST_200600_302600_NS6detail15normal_iteratorINSA_10device_ptrIsEEEEPS6_SG_NS0_5tupleIJSF_S6_EEENSH_IJSG_SG_EEES6_PlJNSB_9not_fun_tI7is_evenIsEEEEEE10hipError_tPvRmT3_T4_T5_T6_T7_T9_mT8_P12ihipStream_tbDpT10_ENKUlT_T0_E_clISt17integral_constantIbLb1EES18_EEDaS13_S14_EUlS13_E_NS1_11comp_targetILNS1_3genE2ELNS1_11target_archE906ELNS1_3gpuE6ELNS1_3repE0EEENS1_30default_config_static_selectorELNS0_4arch9wavefront6targetE0EEEvT1_ ; -- Begin function _ZN7rocprim17ROCPRIM_400000_NS6detail17trampoline_kernelINS0_14default_configENS1_25partition_config_selectorILNS1_17partition_subalgoE6EsNS0_10empty_typeEbEEZZNS1_14partition_implILS5_6ELb0ES3_mN6thrust23THRUST_200600_302600_NS6detail15normal_iteratorINSA_10device_ptrIsEEEEPS6_SG_NS0_5tupleIJSF_S6_EEENSH_IJSG_SG_EEES6_PlJNSB_9not_fun_tI7is_evenIsEEEEEE10hipError_tPvRmT3_T4_T5_T6_T7_T9_mT8_P12ihipStream_tbDpT10_ENKUlT_T0_E_clISt17integral_constantIbLb1EES18_EEDaS13_S14_EUlS13_E_NS1_11comp_targetILNS1_3genE2ELNS1_11target_archE906ELNS1_3gpuE6ELNS1_3repE0EEENS1_30default_config_static_selectorELNS0_4arch9wavefront6targetE0EEEvT1_
	.globl	_ZN7rocprim17ROCPRIM_400000_NS6detail17trampoline_kernelINS0_14default_configENS1_25partition_config_selectorILNS1_17partition_subalgoE6EsNS0_10empty_typeEbEEZZNS1_14partition_implILS5_6ELb0ES3_mN6thrust23THRUST_200600_302600_NS6detail15normal_iteratorINSA_10device_ptrIsEEEEPS6_SG_NS0_5tupleIJSF_S6_EEENSH_IJSG_SG_EEES6_PlJNSB_9not_fun_tI7is_evenIsEEEEEE10hipError_tPvRmT3_T4_T5_T6_T7_T9_mT8_P12ihipStream_tbDpT10_ENKUlT_T0_E_clISt17integral_constantIbLb1EES18_EEDaS13_S14_EUlS13_E_NS1_11comp_targetILNS1_3genE2ELNS1_11target_archE906ELNS1_3gpuE6ELNS1_3repE0EEENS1_30default_config_static_selectorELNS0_4arch9wavefront6targetE0EEEvT1_
	.p2align	8
	.type	_ZN7rocprim17ROCPRIM_400000_NS6detail17trampoline_kernelINS0_14default_configENS1_25partition_config_selectorILNS1_17partition_subalgoE6EsNS0_10empty_typeEbEEZZNS1_14partition_implILS5_6ELb0ES3_mN6thrust23THRUST_200600_302600_NS6detail15normal_iteratorINSA_10device_ptrIsEEEEPS6_SG_NS0_5tupleIJSF_S6_EEENSH_IJSG_SG_EEES6_PlJNSB_9not_fun_tI7is_evenIsEEEEEE10hipError_tPvRmT3_T4_T5_T6_T7_T9_mT8_P12ihipStream_tbDpT10_ENKUlT_T0_E_clISt17integral_constantIbLb1EES18_EEDaS13_S14_EUlS13_E_NS1_11comp_targetILNS1_3genE2ELNS1_11target_archE906ELNS1_3gpuE6ELNS1_3repE0EEENS1_30default_config_static_selectorELNS0_4arch9wavefront6targetE0EEEvT1_,@function
_ZN7rocprim17ROCPRIM_400000_NS6detail17trampoline_kernelINS0_14default_configENS1_25partition_config_selectorILNS1_17partition_subalgoE6EsNS0_10empty_typeEbEEZZNS1_14partition_implILS5_6ELb0ES3_mN6thrust23THRUST_200600_302600_NS6detail15normal_iteratorINSA_10device_ptrIsEEEEPS6_SG_NS0_5tupleIJSF_S6_EEENSH_IJSG_SG_EEES6_PlJNSB_9not_fun_tI7is_evenIsEEEEEE10hipError_tPvRmT3_T4_T5_T6_T7_T9_mT8_P12ihipStream_tbDpT10_ENKUlT_T0_E_clISt17integral_constantIbLb1EES18_EEDaS13_S14_EUlS13_E_NS1_11comp_targetILNS1_3genE2ELNS1_11target_archE906ELNS1_3gpuE6ELNS1_3repE0EEENS1_30default_config_static_selectorELNS0_4arch9wavefront6targetE0EEEvT1_: ; @_ZN7rocprim17ROCPRIM_400000_NS6detail17trampoline_kernelINS0_14default_configENS1_25partition_config_selectorILNS1_17partition_subalgoE6EsNS0_10empty_typeEbEEZZNS1_14partition_implILS5_6ELb0ES3_mN6thrust23THRUST_200600_302600_NS6detail15normal_iteratorINSA_10device_ptrIsEEEEPS6_SG_NS0_5tupleIJSF_S6_EEENSH_IJSG_SG_EEES6_PlJNSB_9not_fun_tI7is_evenIsEEEEEE10hipError_tPvRmT3_T4_T5_T6_T7_T9_mT8_P12ihipStream_tbDpT10_ENKUlT_T0_E_clISt17integral_constantIbLb1EES18_EEDaS13_S14_EUlS13_E_NS1_11comp_targetILNS1_3genE2ELNS1_11target_archE906ELNS1_3gpuE6ELNS1_3repE0EEENS1_30default_config_static_selectorELNS0_4arch9wavefront6targetE0EEEvT1_
; %bb.0:
	.section	.rodata,"a",@progbits
	.p2align	6, 0x0
	.amdhsa_kernel _ZN7rocprim17ROCPRIM_400000_NS6detail17trampoline_kernelINS0_14default_configENS1_25partition_config_selectorILNS1_17partition_subalgoE6EsNS0_10empty_typeEbEEZZNS1_14partition_implILS5_6ELb0ES3_mN6thrust23THRUST_200600_302600_NS6detail15normal_iteratorINSA_10device_ptrIsEEEEPS6_SG_NS0_5tupleIJSF_S6_EEENSH_IJSG_SG_EEES6_PlJNSB_9not_fun_tI7is_evenIsEEEEEE10hipError_tPvRmT3_T4_T5_T6_T7_T9_mT8_P12ihipStream_tbDpT10_ENKUlT_T0_E_clISt17integral_constantIbLb1EES18_EEDaS13_S14_EUlS13_E_NS1_11comp_targetILNS1_3genE2ELNS1_11target_archE906ELNS1_3gpuE6ELNS1_3repE0EEENS1_30default_config_static_selectorELNS0_4arch9wavefront6targetE0EEEvT1_
		.amdhsa_group_segment_fixed_size 0
		.amdhsa_private_segment_fixed_size 0
		.amdhsa_kernarg_size 128
		.amdhsa_user_sgpr_count 2
		.amdhsa_user_sgpr_dispatch_ptr 0
		.amdhsa_user_sgpr_queue_ptr 0
		.amdhsa_user_sgpr_kernarg_segment_ptr 1
		.amdhsa_user_sgpr_dispatch_id 0
		.amdhsa_user_sgpr_private_segment_size 0
		.amdhsa_wavefront_size32 1
		.amdhsa_uses_dynamic_stack 0
		.amdhsa_enable_private_segment 0
		.amdhsa_system_sgpr_workgroup_id_x 1
		.amdhsa_system_sgpr_workgroup_id_y 0
		.amdhsa_system_sgpr_workgroup_id_z 0
		.amdhsa_system_sgpr_workgroup_info 0
		.amdhsa_system_vgpr_workitem_id 0
		.amdhsa_next_free_vgpr 1
		.amdhsa_next_free_sgpr 1
		.amdhsa_reserve_vcc 0
		.amdhsa_float_round_mode_32 0
		.amdhsa_float_round_mode_16_64 0
		.amdhsa_float_denorm_mode_32 3
		.amdhsa_float_denorm_mode_16_64 3
		.amdhsa_fp16_overflow 0
		.amdhsa_workgroup_processor_mode 1
		.amdhsa_memory_ordered 1
		.amdhsa_forward_progress 1
		.amdhsa_inst_pref_size 0
		.amdhsa_round_robin_scheduling 0
		.amdhsa_exception_fp_ieee_invalid_op 0
		.amdhsa_exception_fp_denorm_src 0
		.amdhsa_exception_fp_ieee_div_zero 0
		.amdhsa_exception_fp_ieee_overflow 0
		.amdhsa_exception_fp_ieee_underflow 0
		.amdhsa_exception_fp_ieee_inexact 0
		.amdhsa_exception_int_div_zero 0
	.end_amdhsa_kernel
	.section	.text._ZN7rocprim17ROCPRIM_400000_NS6detail17trampoline_kernelINS0_14default_configENS1_25partition_config_selectorILNS1_17partition_subalgoE6EsNS0_10empty_typeEbEEZZNS1_14partition_implILS5_6ELb0ES3_mN6thrust23THRUST_200600_302600_NS6detail15normal_iteratorINSA_10device_ptrIsEEEEPS6_SG_NS0_5tupleIJSF_S6_EEENSH_IJSG_SG_EEES6_PlJNSB_9not_fun_tI7is_evenIsEEEEEE10hipError_tPvRmT3_T4_T5_T6_T7_T9_mT8_P12ihipStream_tbDpT10_ENKUlT_T0_E_clISt17integral_constantIbLb1EES18_EEDaS13_S14_EUlS13_E_NS1_11comp_targetILNS1_3genE2ELNS1_11target_archE906ELNS1_3gpuE6ELNS1_3repE0EEENS1_30default_config_static_selectorELNS0_4arch9wavefront6targetE0EEEvT1_,"axG",@progbits,_ZN7rocprim17ROCPRIM_400000_NS6detail17trampoline_kernelINS0_14default_configENS1_25partition_config_selectorILNS1_17partition_subalgoE6EsNS0_10empty_typeEbEEZZNS1_14partition_implILS5_6ELb0ES3_mN6thrust23THRUST_200600_302600_NS6detail15normal_iteratorINSA_10device_ptrIsEEEEPS6_SG_NS0_5tupleIJSF_S6_EEENSH_IJSG_SG_EEES6_PlJNSB_9not_fun_tI7is_evenIsEEEEEE10hipError_tPvRmT3_T4_T5_T6_T7_T9_mT8_P12ihipStream_tbDpT10_ENKUlT_T0_E_clISt17integral_constantIbLb1EES18_EEDaS13_S14_EUlS13_E_NS1_11comp_targetILNS1_3genE2ELNS1_11target_archE906ELNS1_3gpuE6ELNS1_3repE0EEENS1_30default_config_static_selectorELNS0_4arch9wavefront6targetE0EEEvT1_,comdat
.Lfunc_end769:
	.size	_ZN7rocprim17ROCPRIM_400000_NS6detail17trampoline_kernelINS0_14default_configENS1_25partition_config_selectorILNS1_17partition_subalgoE6EsNS0_10empty_typeEbEEZZNS1_14partition_implILS5_6ELb0ES3_mN6thrust23THRUST_200600_302600_NS6detail15normal_iteratorINSA_10device_ptrIsEEEEPS6_SG_NS0_5tupleIJSF_S6_EEENSH_IJSG_SG_EEES6_PlJNSB_9not_fun_tI7is_evenIsEEEEEE10hipError_tPvRmT3_T4_T5_T6_T7_T9_mT8_P12ihipStream_tbDpT10_ENKUlT_T0_E_clISt17integral_constantIbLb1EES18_EEDaS13_S14_EUlS13_E_NS1_11comp_targetILNS1_3genE2ELNS1_11target_archE906ELNS1_3gpuE6ELNS1_3repE0EEENS1_30default_config_static_selectorELNS0_4arch9wavefront6targetE0EEEvT1_, .Lfunc_end769-_ZN7rocprim17ROCPRIM_400000_NS6detail17trampoline_kernelINS0_14default_configENS1_25partition_config_selectorILNS1_17partition_subalgoE6EsNS0_10empty_typeEbEEZZNS1_14partition_implILS5_6ELb0ES3_mN6thrust23THRUST_200600_302600_NS6detail15normal_iteratorINSA_10device_ptrIsEEEEPS6_SG_NS0_5tupleIJSF_S6_EEENSH_IJSG_SG_EEES6_PlJNSB_9not_fun_tI7is_evenIsEEEEEE10hipError_tPvRmT3_T4_T5_T6_T7_T9_mT8_P12ihipStream_tbDpT10_ENKUlT_T0_E_clISt17integral_constantIbLb1EES18_EEDaS13_S14_EUlS13_E_NS1_11comp_targetILNS1_3genE2ELNS1_11target_archE906ELNS1_3gpuE6ELNS1_3repE0EEENS1_30default_config_static_selectorELNS0_4arch9wavefront6targetE0EEEvT1_
                                        ; -- End function
	.set _ZN7rocprim17ROCPRIM_400000_NS6detail17trampoline_kernelINS0_14default_configENS1_25partition_config_selectorILNS1_17partition_subalgoE6EsNS0_10empty_typeEbEEZZNS1_14partition_implILS5_6ELb0ES3_mN6thrust23THRUST_200600_302600_NS6detail15normal_iteratorINSA_10device_ptrIsEEEEPS6_SG_NS0_5tupleIJSF_S6_EEENSH_IJSG_SG_EEES6_PlJNSB_9not_fun_tI7is_evenIsEEEEEE10hipError_tPvRmT3_T4_T5_T6_T7_T9_mT8_P12ihipStream_tbDpT10_ENKUlT_T0_E_clISt17integral_constantIbLb1EES18_EEDaS13_S14_EUlS13_E_NS1_11comp_targetILNS1_3genE2ELNS1_11target_archE906ELNS1_3gpuE6ELNS1_3repE0EEENS1_30default_config_static_selectorELNS0_4arch9wavefront6targetE0EEEvT1_.num_vgpr, 0
	.set _ZN7rocprim17ROCPRIM_400000_NS6detail17trampoline_kernelINS0_14default_configENS1_25partition_config_selectorILNS1_17partition_subalgoE6EsNS0_10empty_typeEbEEZZNS1_14partition_implILS5_6ELb0ES3_mN6thrust23THRUST_200600_302600_NS6detail15normal_iteratorINSA_10device_ptrIsEEEEPS6_SG_NS0_5tupleIJSF_S6_EEENSH_IJSG_SG_EEES6_PlJNSB_9not_fun_tI7is_evenIsEEEEEE10hipError_tPvRmT3_T4_T5_T6_T7_T9_mT8_P12ihipStream_tbDpT10_ENKUlT_T0_E_clISt17integral_constantIbLb1EES18_EEDaS13_S14_EUlS13_E_NS1_11comp_targetILNS1_3genE2ELNS1_11target_archE906ELNS1_3gpuE6ELNS1_3repE0EEENS1_30default_config_static_selectorELNS0_4arch9wavefront6targetE0EEEvT1_.num_agpr, 0
	.set _ZN7rocprim17ROCPRIM_400000_NS6detail17trampoline_kernelINS0_14default_configENS1_25partition_config_selectorILNS1_17partition_subalgoE6EsNS0_10empty_typeEbEEZZNS1_14partition_implILS5_6ELb0ES3_mN6thrust23THRUST_200600_302600_NS6detail15normal_iteratorINSA_10device_ptrIsEEEEPS6_SG_NS0_5tupleIJSF_S6_EEENSH_IJSG_SG_EEES6_PlJNSB_9not_fun_tI7is_evenIsEEEEEE10hipError_tPvRmT3_T4_T5_T6_T7_T9_mT8_P12ihipStream_tbDpT10_ENKUlT_T0_E_clISt17integral_constantIbLb1EES18_EEDaS13_S14_EUlS13_E_NS1_11comp_targetILNS1_3genE2ELNS1_11target_archE906ELNS1_3gpuE6ELNS1_3repE0EEENS1_30default_config_static_selectorELNS0_4arch9wavefront6targetE0EEEvT1_.numbered_sgpr, 0
	.set _ZN7rocprim17ROCPRIM_400000_NS6detail17trampoline_kernelINS0_14default_configENS1_25partition_config_selectorILNS1_17partition_subalgoE6EsNS0_10empty_typeEbEEZZNS1_14partition_implILS5_6ELb0ES3_mN6thrust23THRUST_200600_302600_NS6detail15normal_iteratorINSA_10device_ptrIsEEEEPS6_SG_NS0_5tupleIJSF_S6_EEENSH_IJSG_SG_EEES6_PlJNSB_9not_fun_tI7is_evenIsEEEEEE10hipError_tPvRmT3_T4_T5_T6_T7_T9_mT8_P12ihipStream_tbDpT10_ENKUlT_T0_E_clISt17integral_constantIbLb1EES18_EEDaS13_S14_EUlS13_E_NS1_11comp_targetILNS1_3genE2ELNS1_11target_archE906ELNS1_3gpuE6ELNS1_3repE0EEENS1_30default_config_static_selectorELNS0_4arch9wavefront6targetE0EEEvT1_.num_named_barrier, 0
	.set _ZN7rocprim17ROCPRIM_400000_NS6detail17trampoline_kernelINS0_14default_configENS1_25partition_config_selectorILNS1_17partition_subalgoE6EsNS0_10empty_typeEbEEZZNS1_14partition_implILS5_6ELb0ES3_mN6thrust23THRUST_200600_302600_NS6detail15normal_iteratorINSA_10device_ptrIsEEEEPS6_SG_NS0_5tupleIJSF_S6_EEENSH_IJSG_SG_EEES6_PlJNSB_9not_fun_tI7is_evenIsEEEEEE10hipError_tPvRmT3_T4_T5_T6_T7_T9_mT8_P12ihipStream_tbDpT10_ENKUlT_T0_E_clISt17integral_constantIbLb1EES18_EEDaS13_S14_EUlS13_E_NS1_11comp_targetILNS1_3genE2ELNS1_11target_archE906ELNS1_3gpuE6ELNS1_3repE0EEENS1_30default_config_static_selectorELNS0_4arch9wavefront6targetE0EEEvT1_.private_seg_size, 0
	.set _ZN7rocprim17ROCPRIM_400000_NS6detail17trampoline_kernelINS0_14default_configENS1_25partition_config_selectorILNS1_17partition_subalgoE6EsNS0_10empty_typeEbEEZZNS1_14partition_implILS5_6ELb0ES3_mN6thrust23THRUST_200600_302600_NS6detail15normal_iteratorINSA_10device_ptrIsEEEEPS6_SG_NS0_5tupleIJSF_S6_EEENSH_IJSG_SG_EEES6_PlJNSB_9not_fun_tI7is_evenIsEEEEEE10hipError_tPvRmT3_T4_T5_T6_T7_T9_mT8_P12ihipStream_tbDpT10_ENKUlT_T0_E_clISt17integral_constantIbLb1EES18_EEDaS13_S14_EUlS13_E_NS1_11comp_targetILNS1_3genE2ELNS1_11target_archE906ELNS1_3gpuE6ELNS1_3repE0EEENS1_30default_config_static_selectorELNS0_4arch9wavefront6targetE0EEEvT1_.uses_vcc, 0
	.set _ZN7rocprim17ROCPRIM_400000_NS6detail17trampoline_kernelINS0_14default_configENS1_25partition_config_selectorILNS1_17partition_subalgoE6EsNS0_10empty_typeEbEEZZNS1_14partition_implILS5_6ELb0ES3_mN6thrust23THRUST_200600_302600_NS6detail15normal_iteratorINSA_10device_ptrIsEEEEPS6_SG_NS0_5tupleIJSF_S6_EEENSH_IJSG_SG_EEES6_PlJNSB_9not_fun_tI7is_evenIsEEEEEE10hipError_tPvRmT3_T4_T5_T6_T7_T9_mT8_P12ihipStream_tbDpT10_ENKUlT_T0_E_clISt17integral_constantIbLb1EES18_EEDaS13_S14_EUlS13_E_NS1_11comp_targetILNS1_3genE2ELNS1_11target_archE906ELNS1_3gpuE6ELNS1_3repE0EEENS1_30default_config_static_selectorELNS0_4arch9wavefront6targetE0EEEvT1_.uses_flat_scratch, 0
	.set _ZN7rocprim17ROCPRIM_400000_NS6detail17trampoline_kernelINS0_14default_configENS1_25partition_config_selectorILNS1_17partition_subalgoE6EsNS0_10empty_typeEbEEZZNS1_14partition_implILS5_6ELb0ES3_mN6thrust23THRUST_200600_302600_NS6detail15normal_iteratorINSA_10device_ptrIsEEEEPS6_SG_NS0_5tupleIJSF_S6_EEENSH_IJSG_SG_EEES6_PlJNSB_9not_fun_tI7is_evenIsEEEEEE10hipError_tPvRmT3_T4_T5_T6_T7_T9_mT8_P12ihipStream_tbDpT10_ENKUlT_T0_E_clISt17integral_constantIbLb1EES18_EEDaS13_S14_EUlS13_E_NS1_11comp_targetILNS1_3genE2ELNS1_11target_archE906ELNS1_3gpuE6ELNS1_3repE0EEENS1_30default_config_static_selectorELNS0_4arch9wavefront6targetE0EEEvT1_.has_dyn_sized_stack, 0
	.set _ZN7rocprim17ROCPRIM_400000_NS6detail17trampoline_kernelINS0_14default_configENS1_25partition_config_selectorILNS1_17partition_subalgoE6EsNS0_10empty_typeEbEEZZNS1_14partition_implILS5_6ELb0ES3_mN6thrust23THRUST_200600_302600_NS6detail15normal_iteratorINSA_10device_ptrIsEEEEPS6_SG_NS0_5tupleIJSF_S6_EEENSH_IJSG_SG_EEES6_PlJNSB_9not_fun_tI7is_evenIsEEEEEE10hipError_tPvRmT3_T4_T5_T6_T7_T9_mT8_P12ihipStream_tbDpT10_ENKUlT_T0_E_clISt17integral_constantIbLb1EES18_EEDaS13_S14_EUlS13_E_NS1_11comp_targetILNS1_3genE2ELNS1_11target_archE906ELNS1_3gpuE6ELNS1_3repE0EEENS1_30default_config_static_selectorELNS0_4arch9wavefront6targetE0EEEvT1_.has_recursion, 0
	.set _ZN7rocprim17ROCPRIM_400000_NS6detail17trampoline_kernelINS0_14default_configENS1_25partition_config_selectorILNS1_17partition_subalgoE6EsNS0_10empty_typeEbEEZZNS1_14partition_implILS5_6ELb0ES3_mN6thrust23THRUST_200600_302600_NS6detail15normal_iteratorINSA_10device_ptrIsEEEEPS6_SG_NS0_5tupleIJSF_S6_EEENSH_IJSG_SG_EEES6_PlJNSB_9not_fun_tI7is_evenIsEEEEEE10hipError_tPvRmT3_T4_T5_T6_T7_T9_mT8_P12ihipStream_tbDpT10_ENKUlT_T0_E_clISt17integral_constantIbLb1EES18_EEDaS13_S14_EUlS13_E_NS1_11comp_targetILNS1_3genE2ELNS1_11target_archE906ELNS1_3gpuE6ELNS1_3repE0EEENS1_30default_config_static_selectorELNS0_4arch9wavefront6targetE0EEEvT1_.has_indirect_call, 0
	.section	.AMDGPU.csdata,"",@progbits
; Kernel info:
; codeLenInByte = 0
; TotalNumSgprs: 0
; NumVgprs: 0
; ScratchSize: 0
; MemoryBound: 0
; FloatMode: 240
; IeeeMode: 1
; LDSByteSize: 0 bytes/workgroup (compile time only)
; SGPRBlocks: 0
; VGPRBlocks: 0
; NumSGPRsForWavesPerEU: 1
; NumVGPRsForWavesPerEU: 1
; Occupancy: 16
; WaveLimiterHint : 0
; COMPUTE_PGM_RSRC2:SCRATCH_EN: 0
; COMPUTE_PGM_RSRC2:USER_SGPR: 2
; COMPUTE_PGM_RSRC2:TRAP_HANDLER: 0
; COMPUTE_PGM_RSRC2:TGID_X_EN: 1
; COMPUTE_PGM_RSRC2:TGID_Y_EN: 0
; COMPUTE_PGM_RSRC2:TGID_Z_EN: 0
; COMPUTE_PGM_RSRC2:TIDIG_COMP_CNT: 0
	.section	.text._ZN7rocprim17ROCPRIM_400000_NS6detail17trampoline_kernelINS0_14default_configENS1_25partition_config_selectorILNS1_17partition_subalgoE6EsNS0_10empty_typeEbEEZZNS1_14partition_implILS5_6ELb0ES3_mN6thrust23THRUST_200600_302600_NS6detail15normal_iteratorINSA_10device_ptrIsEEEEPS6_SG_NS0_5tupleIJSF_S6_EEENSH_IJSG_SG_EEES6_PlJNSB_9not_fun_tI7is_evenIsEEEEEE10hipError_tPvRmT3_T4_T5_T6_T7_T9_mT8_P12ihipStream_tbDpT10_ENKUlT_T0_E_clISt17integral_constantIbLb1EES18_EEDaS13_S14_EUlS13_E_NS1_11comp_targetILNS1_3genE10ELNS1_11target_archE1200ELNS1_3gpuE4ELNS1_3repE0EEENS1_30default_config_static_selectorELNS0_4arch9wavefront6targetE0EEEvT1_,"axG",@progbits,_ZN7rocprim17ROCPRIM_400000_NS6detail17trampoline_kernelINS0_14default_configENS1_25partition_config_selectorILNS1_17partition_subalgoE6EsNS0_10empty_typeEbEEZZNS1_14partition_implILS5_6ELb0ES3_mN6thrust23THRUST_200600_302600_NS6detail15normal_iteratorINSA_10device_ptrIsEEEEPS6_SG_NS0_5tupleIJSF_S6_EEENSH_IJSG_SG_EEES6_PlJNSB_9not_fun_tI7is_evenIsEEEEEE10hipError_tPvRmT3_T4_T5_T6_T7_T9_mT8_P12ihipStream_tbDpT10_ENKUlT_T0_E_clISt17integral_constantIbLb1EES18_EEDaS13_S14_EUlS13_E_NS1_11comp_targetILNS1_3genE10ELNS1_11target_archE1200ELNS1_3gpuE4ELNS1_3repE0EEENS1_30default_config_static_selectorELNS0_4arch9wavefront6targetE0EEEvT1_,comdat
	.protected	_ZN7rocprim17ROCPRIM_400000_NS6detail17trampoline_kernelINS0_14default_configENS1_25partition_config_selectorILNS1_17partition_subalgoE6EsNS0_10empty_typeEbEEZZNS1_14partition_implILS5_6ELb0ES3_mN6thrust23THRUST_200600_302600_NS6detail15normal_iteratorINSA_10device_ptrIsEEEEPS6_SG_NS0_5tupleIJSF_S6_EEENSH_IJSG_SG_EEES6_PlJNSB_9not_fun_tI7is_evenIsEEEEEE10hipError_tPvRmT3_T4_T5_T6_T7_T9_mT8_P12ihipStream_tbDpT10_ENKUlT_T0_E_clISt17integral_constantIbLb1EES18_EEDaS13_S14_EUlS13_E_NS1_11comp_targetILNS1_3genE10ELNS1_11target_archE1200ELNS1_3gpuE4ELNS1_3repE0EEENS1_30default_config_static_selectorELNS0_4arch9wavefront6targetE0EEEvT1_ ; -- Begin function _ZN7rocprim17ROCPRIM_400000_NS6detail17trampoline_kernelINS0_14default_configENS1_25partition_config_selectorILNS1_17partition_subalgoE6EsNS0_10empty_typeEbEEZZNS1_14partition_implILS5_6ELb0ES3_mN6thrust23THRUST_200600_302600_NS6detail15normal_iteratorINSA_10device_ptrIsEEEEPS6_SG_NS0_5tupleIJSF_S6_EEENSH_IJSG_SG_EEES6_PlJNSB_9not_fun_tI7is_evenIsEEEEEE10hipError_tPvRmT3_T4_T5_T6_T7_T9_mT8_P12ihipStream_tbDpT10_ENKUlT_T0_E_clISt17integral_constantIbLb1EES18_EEDaS13_S14_EUlS13_E_NS1_11comp_targetILNS1_3genE10ELNS1_11target_archE1200ELNS1_3gpuE4ELNS1_3repE0EEENS1_30default_config_static_selectorELNS0_4arch9wavefront6targetE0EEEvT1_
	.globl	_ZN7rocprim17ROCPRIM_400000_NS6detail17trampoline_kernelINS0_14default_configENS1_25partition_config_selectorILNS1_17partition_subalgoE6EsNS0_10empty_typeEbEEZZNS1_14partition_implILS5_6ELb0ES3_mN6thrust23THRUST_200600_302600_NS6detail15normal_iteratorINSA_10device_ptrIsEEEEPS6_SG_NS0_5tupleIJSF_S6_EEENSH_IJSG_SG_EEES6_PlJNSB_9not_fun_tI7is_evenIsEEEEEE10hipError_tPvRmT3_T4_T5_T6_T7_T9_mT8_P12ihipStream_tbDpT10_ENKUlT_T0_E_clISt17integral_constantIbLb1EES18_EEDaS13_S14_EUlS13_E_NS1_11comp_targetILNS1_3genE10ELNS1_11target_archE1200ELNS1_3gpuE4ELNS1_3repE0EEENS1_30default_config_static_selectorELNS0_4arch9wavefront6targetE0EEEvT1_
	.p2align	8
	.type	_ZN7rocprim17ROCPRIM_400000_NS6detail17trampoline_kernelINS0_14default_configENS1_25partition_config_selectorILNS1_17partition_subalgoE6EsNS0_10empty_typeEbEEZZNS1_14partition_implILS5_6ELb0ES3_mN6thrust23THRUST_200600_302600_NS6detail15normal_iteratorINSA_10device_ptrIsEEEEPS6_SG_NS0_5tupleIJSF_S6_EEENSH_IJSG_SG_EEES6_PlJNSB_9not_fun_tI7is_evenIsEEEEEE10hipError_tPvRmT3_T4_T5_T6_T7_T9_mT8_P12ihipStream_tbDpT10_ENKUlT_T0_E_clISt17integral_constantIbLb1EES18_EEDaS13_S14_EUlS13_E_NS1_11comp_targetILNS1_3genE10ELNS1_11target_archE1200ELNS1_3gpuE4ELNS1_3repE0EEENS1_30default_config_static_selectorELNS0_4arch9wavefront6targetE0EEEvT1_,@function
_ZN7rocprim17ROCPRIM_400000_NS6detail17trampoline_kernelINS0_14default_configENS1_25partition_config_selectorILNS1_17partition_subalgoE6EsNS0_10empty_typeEbEEZZNS1_14partition_implILS5_6ELb0ES3_mN6thrust23THRUST_200600_302600_NS6detail15normal_iteratorINSA_10device_ptrIsEEEEPS6_SG_NS0_5tupleIJSF_S6_EEENSH_IJSG_SG_EEES6_PlJNSB_9not_fun_tI7is_evenIsEEEEEE10hipError_tPvRmT3_T4_T5_T6_T7_T9_mT8_P12ihipStream_tbDpT10_ENKUlT_T0_E_clISt17integral_constantIbLb1EES18_EEDaS13_S14_EUlS13_E_NS1_11comp_targetILNS1_3genE10ELNS1_11target_archE1200ELNS1_3gpuE4ELNS1_3repE0EEENS1_30default_config_static_selectorELNS0_4arch9wavefront6targetE0EEEvT1_: ; @_ZN7rocprim17ROCPRIM_400000_NS6detail17trampoline_kernelINS0_14default_configENS1_25partition_config_selectorILNS1_17partition_subalgoE6EsNS0_10empty_typeEbEEZZNS1_14partition_implILS5_6ELb0ES3_mN6thrust23THRUST_200600_302600_NS6detail15normal_iteratorINSA_10device_ptrIsEEEEPS6_SG_NS0_5tupleIJSF_S6_EEENSH_IJSG_SG_EEES6_PlJNSB_9not_fun_tI7is_evenIsEEEEEE10hipError_tPvRmT3_T4_T5_T6_T7_T9_mT8_P12ihipStream_tbDpT10_ENKUlT_T0_E_clISt17integral_constantIbLb1EES18_EEDaS13_S14_EUlS13_E_NS1_11comp_targetILNS1_3genE10ELNS1_11target_archE1200ELNS1_3gpuE4ELNS1_3repE0EEENS1_30default_config_static_selectorELNS0_4arch9wavefront6targetE0EEEvT1_
; %bb.0:
	s_endpgm
	.section	.rodata,"a",@progbits
	.p2align	6, 0x0
	.amdhsa_kernel _ZN7rocprim17ROCPRIM_400000_NS6detail17trampoline_kernelINS0_14default_configENS1_25partition_config_selectorILNS1_17partition_subalgoE6EsNS0_10empty_typeEbEEZZNS1_14partition_implILS5_6ELb0ES3_mN6thrust23THRUST_200600_302600_NS6detail15normal_iteratorINSA_10device_ptrIsEEEEPS6_SG_NS0_5tupleIJSF_S6_EEENSH_IJSG_SG_EEES6_PlJNSB_9not_fun_tI7is_evenIsEEEEEE10hipError_tPvRmT3_T4_T5_T6_T7_T9_mT8_P12ihipStream_tbDpT10_ENKUlT_T0_E_clISt17integral_constantIbLb1EES18_EEDaS13_S14_EUlS13_E_NS1_11comp_targetILNS1_3genE10ELNS1_11target_archE1200ELNS1_3gpuE4ELNS1_3repE0EEENS1_30default_config_static_selectorELNS0_4arch9wavefront6targetE0EEEvT1_
		.amdhsa_group_segment_fixed_size 0
		.amdhsa_private_segment_fixed_size 0
		.amdhsa_kernarg_size 128
		.amdhsa_user_sgpr_count 2
		.amdhsa_user_sgpr_dispatch_ptr 0
		.amdhsa_user_sgpr_queue_ptr 0
		.amdhsa_user_sgpr_kernarg_segment_ptr 1
		.amdhsa_user_sgpr_dispatch_id 0
		.amdhsa_user_sgpr_private_segment_size 0
		.amdhsa_wavefront_size32 1
		.amdhsa_uses_dynamic_stack 0
		.amdhsa_enable_private_segment 0
		.amdhsa_system_sgpr_workgroup_id_x 1
		.amdhsa_system_sgpr_workgroup_id_y 0
		.amdhsa_system_sgpr_workgroup_id_z 0
		.amdhsa_system_sgpr_workgroup_info 0
		.amdhsa_system_vgpr_workitem_id 0
		.amdhsa_next_free_vgpr 1
		.amdhsa_next_free_sgpr 1
		.amdhsa_reserve_vcc 0
		.amdhsa_float_round_mode_32 0
		.amdhsa_float_round_mode_16_64 0
		.amdhsa_float_denorm_mode_32 3
		.amdhsa_float_denorm_mode_16_64 3
		.amdhsa_fp16_overflow 0
		.amdhsa_workgroup_processor_mode 1
		.amdhsa_memory_ordered 1
		.amdhsa_forward_progress 1
		.amdhsa_inst_pref_size 1
		.amdhsa_round_robin_scheduling 0
		.amdhsa_exception_fp_ieee_invalid_op 0
		.amdhsa_exception_fp_denorm_src 0
		.amdhsa_exception_fp_ieee_div_zero 0
		.amdhsa_exception_fp_ieee_overflow 0
		.amdhsa_exception_fp_ieee_underflow 0
		.amdhsa_exception_fp_ieee_inexact 0
		.amdhsa_exception_int_div_zero 0
	.end_amdhsa_kernel
	.section	.text._ZN7rocprim17ROCPRIM_400000_NS6detail17trampoline_kernelINS0_14default_configENS1_25partition_config_selectorILNS1_17partition_subalgoE6EsNS0_10empty_typeEbEEZZNS1_14partition_implILS5_6ELb0ES3_mN6thrust23THRUST_200600_302600_NS6detail15normal_iteratorINSA_10device_ptrIsEEEEPS6_SG_NS0_5tupleIJSF_S6_EEENSH_IJSG_SG_EEES6_PlJNSB_9not_fun_tI7is_evenIsEEEEEE10hipError_tPvRmT3_T4_T5_T6_T7_T9_mT8_P12ihipStream_tbDpT10_ENKUlT_T0_E_clISt17integral_constantIbLb1EES18_EEDaS13_S14_EUlS13_E_NS1_11comp_targetILNS1_3genE10ELNS1_11target_archE1200ELNS1_3gpuE4ELNS1_3repE0EEENS1_30default_config_static_selectorELNS0_4arch9wavefront6targetE0EEEvT1_,"axG",@progbits,_ZN7rocprim17ROCPRIM_400000_NS6detail17trampoline_kernelINS0_14default_configENS1_25partition_config_selectorILNS1_17partition_subalgoE6EsNS0_10empty_typeEbEEZZNS1_14partition_implILS5_6ELb0ES3_mN6thrust23THRUST_200600_302600_NS6detail15normal_iteratorINSA_10device_ptrIsEEEEPS6_SG_NS0_5tupleIJSF_S6_EEENSH_IJSG_SG_EEES6_PlJNSB_9not_fun_tI7is_evenIsEEEEEE10hipError_tPvRmT3_T4_T5_T6_T7_T9_mT8_P12ihipStream_tbDpT10_ENKUlT_T0_E_clISt17integral_constantIbLb1EES18_EEDaS13_S14_EUlS13_E_NS1_11comp_targetILNS1_3genE10ELNS1_11target_archE1200ELNS1_3gpuE4ELNS1_3repE0EEENS1_30default_config_static_selectorELNS0_4arch9wavefront6targetE0EEEvT1_,comdat
.Lfunc_end770:
	.size	_ZN7rocprim17ROCPRIM_400000_NS6detail17trampoline_kernelINS0_14default_configENS1_25partition_config_selectorILNS1_17partition_subalgoE6EsNS0_10empty_typeEbEEZZNS1_14partition_implILS5_6ELb0ES3_mN6thrust23THRUST_200600_302600_NS6detail15normal_iteratorINSA_10device_ptrIsEEEEPS6_SG_NS0_5tupleIJSF_S6_EEENSH_IJSG_SG_EEES6_PlJNSB_9not_fun_tI7is_evenIsEEEEEE10hipError_tPvRmT3_T4_T5_T6_T7_T9_mT8_P12ihipStream_tbDpT10_ENKUlT_T0_E_clISt17integral_constantIbLb1EES18_EEDaS13_S14_EUlS13_E_NS1_11comp_targetILNS1_3genE10ELNS1_11target_archE1200ELNS1_3gpuE4ELNS1_3repE0EEENS1_30default_config_static_selectorELNS0_4arch9wavefront6targetE0EEEvT1_, .Lfunc_end770-_ZN7rocprim17ROCPRIM_400000_NS6detail17trampoline_kernelINS0_14default_configENS1_25partition_config_selectorILNS1_17partition_subalgoE6EsNS0_10empty_typeEbEEZZNS1_14partition_implILS5_6ELb0ES3_mN6thrust23THRUST_200600_302600_NS6detail15normal_iteratorINSA_10device_ptrIsEEEEPS6_SG_NS0_5tupleIJSF_S6_EEENSH_IJSG_SG_EEES6_PlJNSB_9not_fun_tI7is_evenIsEEEEEE10hipError_tPvRmT3_T4_T5_T6_T7_T9_mT8_P12ihipStream_tbDpT10_ENKUlT_T0_E_clISt17integral_constantIbLb1EES18_EEDaS13_S14_EUlS13_E_NS1_11comp_targetILNS1_3genE10ELNS1_11target_archE1200ELNS1_3gpuE4ELNS1_3repE0EEENS1_30default_config_static_selectorELNS0_4arch9wavefront6targetE0EEEvT1_
                                        ; -- End function
	.set _ZN7rocprim17ROCPRIM_400000_NS6detail17trampoline_kernelINS0_14default_configENS1_25partition_config_selectorILNS1_17partition_subalgoE6EsNS0_10empty_typeEbEEZZNS1_14partition_implILS5_6ELb0ES3_mN6thrust23THRUST_200600_302600_NS6detail15normal_iteratorINSA_10device_ptrIsEEEEPS6_SG_NS0_5tupleIJSF_S6_EEENSH_IJSG_SG_EEES6_PlJNSB_9not_fun_tI7is_evenIsEEEEEE10hipError_tPvRmT3_T4_T5_T6_T7_T9_mT8_P12ihipStream_tbDpT10_ENKUlT_T0_E_clISt17integral_constantIbLb1EES18_EEDaS13_S14_EUlS13_E_NS1_11comp_targetILNS1_3genE10ELNS1_11target_archE1200ELNS1_3gpuE4ELNS1_3repE0EEENS1_30default_config_static_selectorELNS0_4arch9wavefront6targetE0EEEvT1_.num_vgpr, 0
	.set _ZN7rocprim17ROCPRIM_400000_NS6detail17trampoline_kernelINS0_14default_configENS1_25partition_config_selectorILNS1_17partition_subalgoE6EsNS0_10empty_typeEbEEZZNS1_14partition_implILS5_6ELb0ES3_mN6thrust23THRUST_200600_302600_NS6detail15normal_iteratorINSA_10device_ptrIsEEEEPS6_SG_NS0_5tupleIJSF_S6_EEENSH_IJSG_SG_EEES6_PlJNSB_9not_fun_tI7is_evenIsEEEEEE10hipError_tPvRmT3_T4_T5_T6_T7_T9_mT8_P12ihipStream_tbDpT10_ENKUlT_T0_E_clISt17integral_constantIbLb1EES18_EEDaS13_S14_EUlS13_E_NS1_11comp_targetILNS1_3genE10ELNS1_11target_archE1200ELNS1_3gpuE4ELNS1_3repE0EEENS1_30default_config_static_selectorELNS0_4arch9wavefront6targetE0EEEvT1_.num_agpr, 0
	.set _ZN7rocprim17ROCPRIM_400000_NS6detail17trampoline_kernelINS0_14default_configENS1_25partition_config_selectorILNS1_17partition_subalgoE6EsNS0_10empty_typeEbEEZZNS1_14partition_implILS5_6ELb0ES3_mN6thrust23THRUST_200600_302600_NS6detail15normal_iteratorINSA_10device_ptrIsEEEEPS6_SG_NS0_5tupleIJSF_S6_EEENSH_IJSG_SG_EEES6_PlJNSB_9not_fun_tI7is_evenIsEEEEEE10hipError_tPvRmT3_T4_T5_T6_T7_T9_mT8_P12ihipStream_tbDpT10_ENKUlT_T0_E_clISt17integral_constantIbLb1EES18_EEDaS13_S14_EUlS13_E_NS1_11comp_targetILNS1_3genE10ELNS1_11target_archE1200ELNS1_3gpuE4ELNS1_3repE0EEENS1_30default_config_static_selectorELNS0_4arch9wavefront6targetE0EEEvT1_.numbered_sgpr, 0
	.set _ZN7rocprim17ROCPRIM_400000_NS6detail17trampoline_kernelINS0_14default_configENS1_25partition_config_selectorILNS1_17partition_subalgoE6EsNS0_10empty_typeEbEEZZNS1_14partition_implILS5_6ELb0ES3_mN6thrust23THRUST_200600_302600_NS6detail15normal_iteratorINSA_10device_ptrIsEEEEPS6_SG_NS0_5tupleIJSF_S6_EEENSH_IJSG_SG_EEES6_PlJNSB_9not_fun_tI7is_evenIsEEEEEE10hipError_tPvRmT3_T4_T5_T6_T7_T9_mT8_P12ihipStream_tbDpT10_ENKUlT_T0_E_clISt17integral_constantIbLb1EES18_EEDaS13_S14_EUlS13_E_NS1_11comp_targetILNS1_3genE10ELNS1_11target_archE1200ELNS1_3gpuE4ELNS1_3repE0EEENS1_30default_config_static_selectorELNS0_4arch9wavefront6targetE0EEEvT1_.num_named_barrier, 0
	.set _ZN7rocprim17ROCPRIM_400000_NS6detail17trampoline_kernelINS0_14default_configENS1_25partition_config_selectorILNS1_17partition_subalgoE6EsNS0_10empty_typeEbEEZZNS1_14partition_implILS5_6ELb0ES3_mN6thrust23THRUST_200600_302600_NS6detail15normal_iteratorINSA_10device_ptrIsEEEEPS6_SG_NS0_5tupleIJSF_S6_EEENSH_IJSG_SG_EEES6_PlJNSB_9not_fun_tI7is_evenIsEEEEEE10hipError_tPvRmT3_T4_T5_T6_T7_T9_mT8_P12ihipStream_tbDpT10_ENKUlT_T0_E_clISt17integral_constantIbLb1EES18_EEDaS13_S14_EUlS13_E_NS1_11comp_targetILNS1_3genE10ELNS1_11target_archE1200ELNS1_3gpuE4ELNS1_3repE0EEENS1_30default_config_static_selectorELNS0_4arch9wavefront6targetE0EEEvT1_.private_seg_size, 0
	.set _ZN7rocprim17ROCPRIM_400000_NS6detail17trampoline_kernelINS0_14default_configENS1_25partition_config_selectorILNS1_17partition_subalgoE6EsNS0_10empty_typeEbEEZZNS1_14partition_implILS5_6ELb0ES3_mN6thrust23THRUST_200600_302600_NS6detail15normal_iteratorINSA_10device_ptrIsEEEEPS6_SG_NS0_5tupleIJSF_S6_EEENSH_IJSG_SG_EEES6_PlJNSB_9not_fun_tI7is_evenIsEEEEEE10hipError_tPvRmT3_T4_T5_T6_T7_T9_mT8_P12ihipStream_tbDpT10_ENKUlT_T0_E_clISt17integral_constantIbLb1EES18_EEDaS13_S14_EUlS13_E_NS1_11comp_targetILNS1_3genE10ELNS1_11target_archE1200ELNS1_3gpuE4ELNS1_3repE0EEENS1_30default_config_static_selectorELNS0_4arch9wavefront6targetE0EEEvT1_.uses_vcc, 0
	.set _ZN7rocprim17ROCPRIM_400000_NS6detail17trampoline_kernelINS0_14default_configENS1_25partition_config_selectorILNS1_17partition_subalgoE6EsNS0_10empty_typeEbEEZZNS1_14partition_implILS5_6ELb0ES3_mN6thrust23THRUST_200600_302600_NS6detail15normal_iteratorINSA_10device_ptrIsEEEEPS6_SG_NS0_5tupleIJSF_S6_EEENSH_IJSG_SG_EEES6_PlJNSB_9not_fun_tI7is_evenIsEEEEEE10hipError_tPvRmT3_T4_T5_T6_T7_T9_mT8_P12ihipStream_tbDpT10_ENKUlT_T0_E_clISt17integral_constantIbLb1EES18_EEDaS13_S14_EUlS13_E_NS1_11comp_targetILNS1_3genE10ELNS1_11target_archE1200ELNS1_3gpuE4ELNS1_3repE0EEENS1_30default_config_static_selectorELNS0_4arch9wavefront6targetE0EEEvT1_.uses_flat_scratch, 0
	.set _ZN7rocprim17ROCPRIM_400000_NS6detail17trampoline_kernelINS0_14default_configENS1_25partition_config_selectorILNS1_17partition_subalgoE6EsNS0_10empty_typeEbEEZZNS1_14partition_implILS5_6ELb0ES3_mN6thrust23THRUST_200600_302600_NS6detail15normal_iteratorINSA_10device_ptrIsEEEEPS6_SG_NS0_5tupleIJSF_S6_EEENSH_IJSG_SG_EEES6_PlJNSB_9not_fun_tI7is_evenIsEEEEEE10hipError_tPvRmT3_T4_T5_T6_T7_T9_mT8_P12ihipStream_tbDpT10_ENKUlT_T0_E_clISt17integral_constantIbLb1EES18_EEDaS13_S14_EUlS13_E_NS1_11comp_targetILNS1_3genE10ELNS1_11target_archE1200ELNS1_3gpuE4ELNS1_3repE0EEENS1_30default_config_static_selectorELNS0_4arch9wavefront6targetE0EEEvT1_.has_dyn_sized_stack, 0
	.set _ZN7rocprim17ROCPRIM_400000_NS6detail17trampoline_kernelINS0_14default_configENS1_25partition_config_selectorILNS1_17partition_subalgoE6EsNS0_10empty_typeEbEEZZNS1_14partition_implILS5_6ELb0ES3_mN6thrust23THRUST_200600_302600_NS6detail15normal_iteratorINSA_10device_ptrIsEEEEPS6_SG_NS0_5tupleIJSF_S6_EEENSH_IJSG_SG_EEES6_PlJNSB_9not_fun_tI7is_evenIsEEEEEE10hipError_tPvRmT3_T4_T5_T6_T7_T9_mT8_P12ihipStream_tbDpT10_ENKUlT_T0_E_clISt17integral_constantIbLb1EES18_EEDaS13_S14_EUlS13_E_NS1_11comp_targetILNS1_3genE10ELNS1_11target_archE1200ELNS1_3gpuE4ELNS1_3repE0EEENS1_30default_config_static_selectorELNS0_4arch9wavefront6targetE0EEEvT1_.has_recursion, 0
	.set _ZN7rocprim17ROCPRIM_400000_NS6detail17trampoline_kernelINS0_14default_configENS1_25partition_config_selectorILNS1_17partition_subalgoE6EsNS0_10empty_typeEbEEZZNS1_14partition_implILS5_6ELb0ES3_mN6thrust23THRUST_200600_302600_NS6detail15normal_iteratorINSA_10device_ptrIsEEEEPS6_SG_NS0_5tupleIJSF_S6_EEENSH_IJSG_SG_EEES6_PlJNSB_9not_fun_tI7is_evenIsEEEEEE10hipError_tPvRmT3_T4_T5_T6_T7_T9_mT8_P12ihipStream_tbDpT10_ENKUlT_T0_E_clISt17integral_constantIbLb1EES18_EEDaS13_S14_EUlS13_E_NS1_11comp_targetILNS1_3genE10ELNS1_11target_archE1200ELNS1_3gpuE4ELNS1_3repE0EEENS1_30default_config_static_selectorELNS0_4arch9wavefront6targetE0EEEvT1_.has_indirect_call, 0
	.section	.AMDGPU.csdata,"",@progbits
; Kernel info:
; codeLenInByte = 4
; TotalNumSgprs: 0
; NumVgprs: 0
; ScratchSize: 0
; MemoryBound: 0
; FloatMode: 240
; IeeeMode: 1
; LDSByteSize: 0 bytes/workgroup (compile time only)
; SGPRBlocks: 0
; VGPRBlocks: 0
; NumSGPRsForWavesPerEU: 1
; NumVGPRsForWavesPerEU: 1
; Occupancy: 16
; WaveLimiterHint : 0
; COMPUTE_PGM_RSRC2:SCRATCH_EN: 0
; COMPUTE_PGM_RSRC2:USER_SGPR: 2
; COMPUTE_PGM_RSRC2:TRAP_HANDLER: 0
; COMPUTE_PGM_RSRC2:TGID_X_EN: 1
; COMPUTE_PGM_RSRC2:TGID_Y_EN: 0
; COMPUTE_PGM_RSRC2:TGID_Z_EN: 0
; COMPUTE_PGM_RSRC2:TIDIG_COMP_CNT: 0
	.section	.text._ZN7rocprim17ROCPRIM_400000_NS6detail17trampoline_kernelINS0_14default_configENS1_25partition_config_selectorILNS1_17partition_subalgoE6EsNS0_10empty_typeEbEEZZNS1_14partition_implILS5_6ELb0ES3_mN6thrust23THRUST_200600_302600_NS6detail15normal_iteratorINSA_10device_ptrIsEEEEPS6_SG_NS0_5tupleIJSF_S6_EEENSH_IJSG_SG_EEES6_PlJNSB_9not_fun_tI7is_evenIsEEEEEE10hipError_tPvRmT3_T4_T5_T6_T7_T9_mT8_P12ihipStream_tbDpT10_ENKUlT_T0_E_clISt17integral_constantIbLb1EES18_EEDaS13_S14_EUlS13_E_NS1_11comp_targetILNS1_3genE9ELNS1_11target_archE1100ELNS1_3gpuE3ELNS1_3repE0EEENS1_30default_config_static_selectorELNS0_4arch9wavefront6targetE0EEEvT1_,"axG",@progbits,_ZN7rocprim17ROCPRIM_400000_NS6detail17trampoline_kernelINS0_14default_configENS1_25partition_config_selectorILNS1_17partition_subalgoE6EsNS0_10empty_typeEbEEZZNS1_14partition_implILS5_6ELb0ES3_mN6thrust23THRUST_200600_302600_NS6detail15normal_iteratorINSA_10device_ptrIsEEEEPS6_SG_NS0_5tupleIJSF_S6_EEENSH_IJSG_SG_EEES6_PlJNSB_9not_fun_tI7is_evenIsEEEEEE10hipError_tPvRmT3_T4_T5_T6_T7_T9_mT8_P12ihipStream_tbDpT10_ENKUlT_T0_E_clISt17integral_constantIbLb1EES18_EEDaS13_S14_EUlS13_E_NS1_11comp_targetILNS1_3genE9ELNS1_11target_archE1100ELNS1_3gpuE3ELNS1_3repE0EEENS1_30default_config_static_selectorELNS0_4arch9wavefront6targetE0EEEvT1_,comdat
	.protected	_ZN7rocprim17ROCPRIM_400000_NS6detail17trampoline_kernelINS0_14default_configENS1_25partition_config_selectorILNS1_17partition_subalgoE6EsNS0_10empty_typeEbEEZZNS1_14partition_implILS5_6ELb0ES3_mN6thrust23THRUST_200600_302600_NS6detail15normal_iteratorINSA_10device_ptrIsEEEEPS6_SG_NS0_5tupleIJSF_S6_EEENSH_IJSG_SG_EEES6_PlJNSB_9not_fun_tI7is_evenIsEEEEEE10hipError_tPvRmT3_T4_T5_T6_T7_T9_mT8_P12ihipStream_tbDpT10_ENKUlT_T0_E_clISt17integral_constantIbLb1EES18_EEDaS13_S14_EUlS13_E_NS1_11comp_targetILNS1_3genE9ELNS1_11target_archE1100ELNS1_3gpuE3ELNS1_3repE0EEENS1_30default_config_static_selectorELNS0_4arch9wavefront6targetE0EEEvT1_ ; -- Begin function _ZN7rocprim17ROCPRIM_400000_NS6detail17trampoline_kernelINS0_14default_configENS1_25partition_config_selectorILNS1_17partition_subalgoE6EsNS0_10empty_typeEbEEZZNS1_14partition_implILS5_6ELb0ES3_mN6thrust23THRUST_200600_302600_NS6detail15normal_iteratorINSA_10device_ptrIsEEEEPS6_SG_NS0_5tupleIJSF_S6_EEENSH_IJSG_SG_EEES6_PlJNSB_9not_fun_tI7is_evenIsEEEEEE10hipError_tPvRmT3_T4_T5_T6_T7_T9_mT8_P12ihipStream_tbDpT10_ENKUlT_T0_E_clISt17integral_constantIbLb1EES18_EEDaS13_S14_EUlS13_E_NS1_11comp_targetILNS1_3genE9ELNS1_11target_archE1100ELNS1_3gpuE3ELNS1_3repE0EEENS1_30default_config_static_selectorELNS0_4arch9wavefront6targetE0EEEvT1_
	.globl	_ZN7rocprim17ROCPRIM_400000_NS6detail17trampoline_kernelINS0_14default_configENS1_25partition_config_selectorILNS1_17partition_subalgoE6EsNS0_10empty_typeEbEEZZNS1_14partition_implILS5_6ELb0ES3_mN6thrust23THRUST_200600_302600_NS6detail15normal_iteratorINSA_10device_ptrIsEEEEPS6_SG_NS0_5tupleIJSF_S6_EEENSH_IJSG_SG_EEES6_PlJNSB_9not_fun_tI7is_evenIsEEEEEE10hipError_tPvRmT3_T4_T5_T6_T7_T9_mT8_P12ihipStream_tbDpT10_ENKUlT_T0_E_clISt17integral_constantIbLb1EES18_EEDaS13_S14_EUlS13_E_NS1_11comp_targetILNS1_3genE9ELNS1_11target_archE1100ELNS1_3gpuE3ELNS1_3repE0EEENS1_30default_config_static_selectorELNS0_4arch9wavefront6targetE0EEEvT1_
	.p2align	8
	.type	_ZN7rocprim17ROCPRIM_400000_NS6detail17trampoline_kernelINS0_14default_configENS1_25partition_config_selectorILNS1_17partition_subalgoE6EsNS0_10empty_typeEbEEZZNS1_14partition_implILS5_6ELb0ES3_mN6thrust23THRUST_200600_302600_NS6detail15normal_iteratorINSA_10device_ptrIsEEEEPS6_SG_NS0_5tupleIJSF_S6_EEENSH_IJSG_SG_EEES6_PlJNSB_9not_fun_tI7is_evenIsEEEEEE10hipError_tPvRmT3_T4_T5_T6_T7_T9_mT8_P12ihipStream_tbDpT10_ENKUlT_T0_E_clISt17integral_constantIbLb1EES18_EEDaS13_S14_EUlS13_E_NS1_11comp_targetILNS1_3genE9ELNS1_11target_archE1100ELNS1_3gpuE3ELNS1_3repE0EEENS1_30default_config_static_selectorELNS0_4arch9wavefront6targetE0EEEvT1_,@function
_ZN7rocprim17ROCPRIM_400000_NS6detail17trampoline_kernelINS0_14default_configENS1_25partition_config_selectorILNS1_17partition_subalgoE6EsNS0_10empty_typeEbEEZZNS1_14partition_implILS5_6ELb0ES3_mN6thrust23THRUST_200600_302600_NS6detail15normal_iteratorINSA_10device_ptrIsEEEEPS6_SG_NS0_5tupleIJSF_S6_EEENSH_IJSG_SG_EEES6_PlJNSB_9not_fun_tI7is_evenIsEEEEEE10hipError_tPvRmT3_T4_T5_T6_T7_T9_mT8_P12ihipStream_tbDpT10_ENKUlT_T0_E_clISt17integral_constantIbLb1EES18_EEDaS13_S14_EUlS13_E_NS1_11comp_targetILNS1_3genE9ELNS1_11target_archE1100ELNS1_3gpuE3ELNS1_3repE0EEENS1_30default_config_static_selectorELNS0_4arch9wavefront6targetE0EEEvT1_: ; @_ZN7rocprim17ROCPRIM_400000_NS6detail17trampoline_kernelINS0_14default_configENS1_25partition_config_selectorILNS1_17partition_subalgoE6EsNS0_10empty_typeEbEEZZNS1_14partition_implILS5_6ELb0ES3_mN6thrust23THRUST_200600_302600_NS6detail15normal_iteratorINSA_10device_ptrIsEEEEPS6_SG_NS0_5tupleIJSF_S6_EEENSH_IJSG_SG_EEES6_PlJNSB_9not_fun_tI7is_evenIsEEEEEE10hipError_tPvRmT3_T4_T5_T6_T7_T9_mT8_P12ihipStream_tbDpT10_ENKUlT_T0_E_clISt17integral_constantIbLb1EES18_EEDaS13_S14_EUlS13_E_NS1_11comp_targetILNS1_3genE9ELNS1_11target_archE1100ELNS1_3gpuE3ELNS1_3repE0EEENS1_30default_config_static_selectorELNS0_4arch9wavefront6targetE0EEEvT1_
; %bb.0:
	.section	.rodata,"a",@progbits
	.p2align	6, 0x0
	.amdhsa_kernel _ZN7rocprim17ROCPRIM_400000_NS6detail17trampoline_kernelINS0_14default_configENS1_25partition_config_selectorILNS1_17partition_subalgoE6EsNS0_10empty_typeEbEEZZNS1_14partition_implILS5_6ELb0ES3_mN6thrust23THRUST_200600_302600_NS6detail15normal_iteratorINSA_10device_ptrIsEEEEPS6_SG_NS0_5tupleIJSF_S6_EEENSH_IJSG_SG_EEES6_PlJNSB_9not_fun_tI7is_evenIsEEEEEE10hipError_tPvRmT3_T4_T5_T6_T7_T9_mT8_P12ihipStream_tbDpT10_ENKUlT_T0_E_clISt17integral_constantIbLb1EES18_EEDaS13_S14_EUlS13_E_NS1_11comp_targetILNS1_3genE9ELNS1_11target_archE1100ELNS1_3gpuE3ELNS1_3repE0EEENS1_30default_config_static_selectorELNS0_4arch9wavefront6targetE0EEEvT1_
		.amdhsa_group_segment_fixed_size 0
		.amdhsa_private_segment_fixed_size 0
		.amdhsa_kernarg_size 128
		.amdhsa_user_sgpr_count 2
		.amdhsa_user_sgpr_dispatch_ptr 0
		.amdhsa_user_sgpr_queue_ptr 0
		.amdhsa_user_sgpr_kernarg_segment_ptr 1
		.amdhsa_user_sgpr_dispatch_id 0
		.amdhsa_user_sgpr_private_segment_size 0
		.amdhsa_wavefront_size32 1
		.amdhsa_uses_dynamic_stack 0
		.amdhsa_enable_private_segment 0
		.amdhsa_system_sgpr_workgroup_id_x 1
		.amdhsa_system_sgpr_workgroup_id_y 0
		.amdhsa_system_sgpr_workgroup_id_z 0
		.amdhsa_system_sgpr_workgroup_info 0
		.amdhsa_system_vgpr_workitem_id 0
		.amdhsa_next_free_vgpr 1
		.amdhsa_next_free_sgpr 1
		.amdhsa_reserve_vcc 0
		.amdhsa_float_round_mode_32 0
		.amdhsa_float_round_mode_16_64 0
		.amdhsa_float_denorm_mode_32 3
		.amdhsa_float_denorm_mode_16_64 3
		.amdhsa_fp16_overflow 0
		.amdhsa_workgroup_processor_mode 1
		.amdhsa_memory_ordered 1
		.amdhsa_forward_progress 1
		.amdhsa_inst_pref_size 0
		.amdhsa_round_robin_scheduling 0
		.amdhsa_exception_fp_ieee_invalid_op 0
		.amdhsa_exception_fp_denorm_src 0
		.amdhsa_exception_fp_ieee_div_zero 0
		.amdhsa_exception_fp_ieee_overflow 0
		.amdhsa_exception_fp_ieee_underflow 0
		.amdhsa_exception_fp_ieee_inexact 0
		.amdhsa_exception_int_div_zero 0
	.end_amdhsa_kernel
	.section	.text._ZN7rocprim17ROCPRIM_400000_NS6detail17trampoline_kernelINS0_14default_configENS1_25partition_config_selectorILNS1_17partition_subalgoE6EsNS0_10empty_typeEbEEZZNS1_14partition_implILS5_6ELb0ES3_mN6thrust23THRUST_200600_302600_NS6detail15normal_iteratorINSA_10device_ptrIsEEEEPS6_SG_NS0_5tupleIJSF_S6_EEENSH_IJSG_SG_EEES6_PlJNSB_9not_fun_tI7is_evenIsEEEEEE10hipError_tPvRmT3_T4_T5_T6_T7_T9_mT8_P12ihipStream_tbDpT10_ENKUlT_T0_E_clISt17integral_constantIbLb1EES18_EEDaS13_S14_EUlS13_E_NS1_11comp_targetILNS1_3genE9ELNS1_11target_archE1100ELNS1_3gpuE3ELNS1_3repE0EEENS1_30default_config_static_selectorELNS0_4arch9wavefront6targetE0EEEvT1_,"axG",@progbits,_ZN7rocprim17ROCPRIM_400000_NS6detail17trampoline_kernelINS0_14default_configENS1_25partition_config_selectorILNS1_17partition_subalgoE6EsNS0_10empty_typeEbEEZZNS1_14partition_implILS5_6ELb0ES3_mN6thrust23THRUST_200600_302600_NS6detail15normal_iteratorINSA_10device_ptrIsEEEEPS6_SG_NS0_5tupleIJSF_S6_EEENSH_IJSG_SG_EEES6_PlJNSB_9not_fun_tI7is_evenIsEEEEEE10hipError_tPvRmT3_T4_T5_T6_T7_T9_mT8_P12ihipStream_tbDpT10_ENKUlT_T0_E_clISt17integral_constantIbLb1EES18_EEDaS13_S14_EUlS13_E_NS1_11comp_targetILNS1_3genE9ELNS1_11target_archE1100ELNS1_3gpuE3ELNS1_3repE0EEENS1_30default_config_static_selectorELNS0_4arch9wavefront6targetE0EEEvT1_,comdat
.Lfunc_end771:
	.size	_ZN7rocprim17ROCPRIM_400000_NS6detail17trampoline_kernelINS0_14default_configENS1_25partition_config_selectorILNS1_17partition_subalgoE6EsNS0_10empty_typeEbEEZZNS1_14partition_implILS5_6ELb0ES3_mN6thrust23THRUST_200600_302600_NS6detail15normal_iteratorINSA_10device_ptrIsEEEEPS6_SG_NS0_5tupleIJSF_S6_EEENSH_IJSG_SG_EEES6_PlJNSB_9not_fun_tI7is_evenIsEEEEEE10hipError_tPvRmT3_T4_T5_T6_T7_T9_mT8_P12ihipStream_tbDpT10_ENKUlT_T0_E_clISt17integral_constantIbLb1EES18_EEDaS13_S14_EUlS13_E_NS1_11comp_targetILNS1_3genE9ELNS1_11target_archE1100ELNS1_3gpuE3ELNS1_3repE0EEENS1_30default_config_static_selectorELNS0_4arch9wavefront6targetE0EEEvT1_, .Lfunc_end771-_ZN7rocprim17ROCPRIM_400000_NS6detail17trampoline_kernelINS0_14default_configENS1_25partition_config_selectorILNS1_17partition_subalgoE6EsNS0_10empty_typeEbEEZZNS1_14partition_implILS5_6ELb0ES3_mN6thrust23THRUST_200600_302600_NS6detail15normal_iteratorINSA_10device_ptrIsEEEEPS6_SG_NS0_5tupleIJSF_S6_EEENSH_IJSG_SG_EEES6_PlJNSB_9not_fun_tI7is_evenIsEEEEEE10hipError_tPvRmT3_T4_T5_T6_T7_T9_mT8_P12ihipStream_tbDpT10_ENKUlT_T0_E_clISt17integral_constantIbLb1EES18_EEDaS13_S14_EUlS13_E_NS1_11comp_targetILNS1_3genE9ELNS1_11target_archE1100ELNS1_3gpuE3ELNS1_3repE0EEENS1_30default_config_static_selectorELNS0_4arch9wavefront6targetE0EEEvT1_
                                        ; -- End function
	.set _ZN7rocprim17ROCPRIM_400000_NS6detail17trampoline_kernelINS0_14default_configENS1_25partition_config_selectorILNS1_17partition_subalgoE6EsNS0_10empty_typeEbEEZZNS1_14partition_implILS5_6ELb0ES3_mN6thrust23THRUST_200600_302600_NS6detail15normal_iteratorINSA_10device_ptrIsEEEEPS6_SG_NS0_5tupleIJSF_S6_EEENSH_IJSG_SG_EEES6_PlJNSB_9not_fun_tI7is_evenIsEEEEEE10hipError_tPvRmT3_T4_T5_T6_T7_T9_mT8_P12ihipStream_tbDpT10_ENKUlT_T0_E_clISt17integral_constantIbLb1EES18_EEDaS13_S14_EUlS13_E_NS1_11comp_targetILNS1_3genE9ELNS1_11target_archE1100ELNS1_3gpuE3ELNS1_3repE0EEENS1_30default_config_static_selectorELNS0_4arch9wavefront6targetE0EEEvT1_.num_vgpr, 0
	.set _ZN7rocprim17ROCPRIM_400000_NS6detail17trampoline_kernelINS0_14default_configENS1_25partition_config_selectorILNS1_17partition_subalgoE6EsNS0_10empty_typeEbEEZZNS1_14partition_implILS5_6ELb0ES3_mN6thrust23THRUST_200600_302600_NS6detail15normal_iteratorINSA_10device_ptrIsEEEEPS6_SG_NS0_5tupleIJSF_S6_EEENSH_IJSG_SG_EEES6_PlJNSB_9not_fun_tI7is_evenIsEEEEEE10hipError_tPvRmT3_T4_T5_T6_T7_T9_mT8_P12ihipStream_tbDpT10_ENKUlT_T0_E_clISt17integral_constantIbLb1EES18_EEDaS13_S14_EUlS13_E_NS1_11comp_targetILNS1_3genE9ELNS1_11target_archE1100ELNS1_3gpuE3ELNS1_3repE0EEENS1_30default_config_static_selectorELNS0_4arch9wavefront6targetE0EEEvT1_.num_agpr, 0
	.set _ZN7rocprim17ROCPRIM_400000_NS6detail17trampoline_kernelINS0_14default_configENS1_25partition_config_selectorILNS1_17partition_subalgoE6EsNS0_10empty_typeEbEEZZNS1_14partition_implILS5_6ELb0ES3_mN6thrust23THRUST_200600_302600_NS6detail15normal_iteratorINSA_10device_ptrIsEEEEPS6_SG_NS0_5tupleIJSF_S6_EEENSH_IJSG_SG_EEES6_PlJNSB_9not_fun_tI7is_evenIsEEEEEE10hipError_tPvRmT3_T4_T5_T6_T7_T9_mT8_P12ihipStream_tbDpT10_ENKUlT_T0_E_clISt17integral_constantIbLb1EES18_EEDaS13_S14_EUlS13_E_NS1_11comp_targetILNS1_3genE9ELNS1_11target_archE1100ELNS1_3gpuE3ELNS1_3repE0EEENS1_30default_config_static_selectorELNS0_4arch9wavefront6targetE0EEEvT1_.numbered_sgpr, 0
	.set _ZN7rocprim17ROCPRIM_400000_NS6detail17trampoline_kernelINS0_14default_configENS1_25partition_config_selectorILNS1_17partition_subalgoE6EsNS0_10empty_typeEbEEZZNS1_14partition_implILS5_6ELb0ES3_mN6thrust23THRUST_200600_302600_NS6detail15normal_iteratorINSA_10device_ptrIsEEEEPS6_SG_NS0_5tupleIJSF_S6_EEENSH_IJSG_SG_EEES6_PlJNSB_9not_fun_tI7is_evenIsEEEEEE10hipError_tPvRmT3_T4_T5_T6_T7_T9_mT8_P12ihipStream_tbDpT10_ENKUlT_T0_E_clISt17integral_constantIbLb1EES18_EEDaS13_S14_EUlS13_E_NS1_11comp_targetILNS1_3genE9ELNS1_11target_archE1100ELNS1_3gpuE3ELNS1_3repE0EEENS1_30default_config_static_selectorELNS0_4arch9wavefront6targetE0EEEvT1_.num_named_barrier, 0
	.set _ZN7rocprim17ROCPRIM_400000_NS6detail17trampoline_kernelINS0_14default_configENS1_25partition_config_selectorILNS1_17partition_subalgoE6EsNS0_10empty_typeEbEEZZNS1_14partition_implILS5_6ELb0ES3_mN6thrust23THRUST_200600_302600_NS6detail15normal_iteratorINSA_10device_ptrIsEEEEPS6_SG_NS0_5tupleIJSF_S6_EEENSH_IJSG_SG_EEES6_PlJNSB_9not_fun_tI7is_evenIsEEEEEE10hipError_tPvRmT3_T4_T5_T6_T7_T9_mT8_P12ihipStream_tbDpT10_ENKUlT_T0_E_clISt17integral_constantIbLb1EES18_EEDaS13_S14_EUlS13_E_NS1_11comp_targetILNS1_3genE9ELNS1_11target_archE1100ELNS1_3gpuE3ELNS1_3repE0EEENS1_30default_config_static_selectorELNS0_4arch9wavefront6targetE0EEEvT1_.private_seg_size, 0
	.set _ZN7rocprim17ROCPRIM_400000_NS6detail17trampoline_kernelINS0_14default_configENS1_25partition_config_selectorILNS1_17partition_subalgoE6EsNS0_10empty_typeEbEEZZNS1_14partition_implILS5_6ELb0ES3_mN6thrust23THRUST_200600_302600_NS6detail15normal_iteratorINSA_10device_ptrIsEEEEPS6_SG_NS0_5tupleIJSF_S6_EEENSH_IJSG_SG_EEES6_PlJNSB_9not_fun_tI7is_evenIsEEEEEE10hipError_tPvRmT3_T4_T5_T6_T7_T9_mT8_P12ihipStream_tbDpT10_ENKUlT_T0_E_clISt17integral_constantIbLb1EES18_EEDaS13_S14_EUlS13_E_NS1_11comp_targetILNS1_3genE9ELNS1_11target_archE1100ELNS1_3gpuE3ELNS1_3repE0EEENS1_30default_config_static_selectorELNS0_4arch9wavefront6targetE0EEEvT1_.uses_vcc, 0
	.set _ZN7rocprim17ROCPRIM_400000_NS6detail17trampoline_kernelINS0_14default_configENS1_25partition_config_selectorILNS1_17partition_subalgoE6EsNS0_10empty_typeEbEEZZNS1_14partition_implILS5_6ELb0ES3_mN6thrust23THRUST_200600_302600_NS6detail15normal_iteratorINSA_10device_ptrIsEEEEPS6_SG_NS0_5tupleIJSF_S6_EEENSH_IJSG_SG_EEES6_PlJNSB_9not_fun_tI7is_evenIsEEEEEE10hipError_tPvRmT3_T4_T5_T6_T7_T9_mT8_P12ihipStream_tbDpT10_ENKUlT_T0_E_clISt17integral_constantIbLb1EES18_EEDaS13_S14_EUlS13_E_NS1_11comp_targetILNS1_3genE9ELNS1_11target_archE1100ELNS1_3gpuE3ELNS1_3repE0EEENS1_30default_config_static_selectorELNS0_4arch9wavefront6targetE0EEEvT1_.uses_flat_scratch, 0
	.set _ZN7rocprim17ROCPRIM_400000_NS6detail17trampoline_kernelINS0_14default_configENS1_25partition_config_selectorILNS1_17partition_subalgoE6EsNS0_10empty_typeEbEEZZNS1_14partition_implILS5_6ELb0ES3_mN6thrust23THRUST_200600_302600_NS6detail15normal_iteratorINSA_10device_ptrIsEEEEPS6_SG_NS0_5tupleIJSF_S6_EEENSH_IJSG_SG_EEES6_PlJNSB_9not_fun_tI7is_evenIsEEEEEE10hipError_tPvRmT3_T4_T5_T6_T7_T9_mT8_P12ihipStream_tbDpT10_ENKUlT_T0_E_clISt17integral_constantIbLb1EES18_EEDaS13_S14_EUlS13_E_NS1_11comp_targetILNS1_3genE9ELNS1_11target_archE1100ELNS1_3gpuE3ELNS1_3repE0EEENS1_30default_config_static_selectorELNS0_4arch9wavefront6targetE0EEEvT1_.has_dyn_sized_stack, 0
	.set _ZN7rocprim17ROCPRIM_400000_NS6detail17trampoline_kernelINS0_14default_configENS1_25partition_config_selectorILNS1_17partition_subalgoE6EsNS0_10empty_typeEbEEZZNS1_14partition_implILS5_6ELb0ES3_mN6thrust23THRUST_200600_302600_NS6detail15normal_iteratorINSA_10device_ptrIsEEEEPS6_SG_NS0_5tupleIJSF_S6_EEENSH_IJSG_SG_EEES6_PlJNSB_9not_fun_tI7is_evenIsEEEEEE10hipError_tPvRmT3_T4_T5_T6_T7_T9_mT8_P12ihipStream_tbDpT10_ENKUlT_T0_E_clISt17integral_constantIbLb1EES18_EEDaS13_S14_EUlS13_E_NS1_11comp_targetILNS1_3genE9ELNS1_11target_archE1100ELNS1_3gpuE3ELNS1_3repE0EEENS1_30default_config_static_selectorELNS0_4arch9wavefront6targetE0EEEvT1_.has_recursion, 0
	.set _ZN7rocprim17ROCPRIM_400000_NS6detail17trampoline_kernelINS0_14default_configENS1_25partition_config_selectorILNS1_17partition_subalgoE6EsNS0_10empty_typeEbEEZZNS1_14partition_implILS5_6ELb0ES3_mN6thrust23THRUST_200600_302600_NS6detail15normal_iteratorINSA_10device_ptrIsEEEEPS6_SG_NS0_5tupleIJSF_S6_EEENSH_IJSG_SG_EEES6_PlJNSB_9not_fun_tI7is_evenIsEEEEEE10hipError_tPvRmT3_T4_T5_T6_T7_T9_mT8_P12ihipStream_tbDpT10_ENKUlT_T0_E_clISt17integral_constantIbLb1EES18_EEDaS13_S14_EUlS13_E_NS1_11comp_targetILNS1_3genE9ELNS1_11target_archE1100ELNS1_3gpuE3ELNS1_3repE0EEENS1_30default_config_static_selectorELNS0_4arch9wavefront6targetE0EEEvT1_.has_indirect_call, 0
	.section	.AMDGPU.csdata,"",@progbits
; Kernel info:
; codeLenInByte = 0
; TotalNumSgprs: 0
; NumVgprs: 0
; ScratchSize: 0
; MemoryBound: 0
; FloatMode: 240
; IeeeMode: 1
; LDSByteSize: 0 bytes/workgroup (compile time only)
; SGPRBlocks: 0
; VGPRBlocks: 0
; NumSGPRsForWavesPerEU: 1
; NumVGPRsForWavesPerEU: 1
; Occupancy: 16
; WaveLimiterHint : 0
; COMPUTE_PGM_RSRC2:SCRATCH_EN: 0
; COMPUTE_PGM_RSRC2:USER_SGPR: 2
; COMPUTE_PGM_RSRC2:TRAP_HANDLER: 0
; COMPUTE_PGM_RSRC2:TGID_X_EN: 1
; COMPUTE_PGM_RSRC2:TGID_Y_EN: 0
; COMPUTE_PGM_RSRC2:TGID_Z_EN: 0
; COMPUTE_PGM_RSRC2:TIDIG_COMP_CNT: 0
	.section	.text._ZN7rocprim17ROCPRIM_400000_NS6detail17trampoline_kernelINS0_14default_configENS1_25partition_config_selectorILNS1_17partition_subalgoE6EsNS0_10empty_typeEbEEZZNS1_14partition_implILS5_6ELb0ES3_mN6thrust23THRUST_200600_302600_NS6detail15normal_iteratorINSA_10device_ptrIsEEEEPS6_SG_NS0_5tupleIJSF_S6_EEENSH_IJSG_SG_EEES6_PlJNSB_9not_fun_tI7is_evenIsEEEEEE10hipError_tPvRmT3_T4_T5_T6_T7_T9_mT8_P12ihipStream_tbDpT10_ENKUlT_T0_E_clISt17integral_constantIbLb1EES18_EEDaS13_S14_EUlS13_E_NS1_11comp_targetILNS1_3genE8ELNS1_11target_archE1030ELNS1_3gpuE2ELNS1_3repE0EEENS1_30default_config_static_selectorELNS0_4arch9wavefront6targetE0EEEvT1_,"axG",@progbits,_ZN7rocprim17ROCPRIM_400000_NS6detail17trampoline_kernelINS0_14default_configENS1_25partition_config_selectorILNS1_17partition_subalgoE6EsNS0_10empty_typeEbEEZZNS1_14partition_implILS5_6ELb0ES3_mN6thrust23THRUST_200600_302600_NS6detail15normal_iteratorINSA_10device_ptrIsEEEEPS6_SG_NS0_5tupleIJSF_S6_EEENSH_IJSG_SG_EEES6_PlJNSB_9not_fun_tI7is_evenIsEEEEEE10hipError_tPvRmT3_T4_T5_T6_T7_T9_mT8_P12ihipStream_tbDpT10_ENKUlT_T0_E_clISt17integral_constantIbLb1EES18_EEDaS13_S14_EUlS13_E_NS1_11comp_targetILNS1_3genE8ELNS1_11target_archE1030ELNS1_3gpuE2ELNS1_3repE0EEENS1_30default_config_static_selectorELNS0_4arch9wavefront6targetE0EEEvT1_,comdat
	.protected	_ZN7rocprim17ROCPRIM_400000_NS6detail17trampoline_kernelINS0_14default_configENS1_25partition_config_selectorILNS1_17partition_subalgoE6EsNS0_10empty_typeEbEEZZNS1_14partition_implILS5_6ELb0ES3_mN6thrust23THRUST_200600_302600_NS6detail15normal_iteratorINSA_10device_ptrIsEEEEPS6_SG_NS0_5tupleIJSF_S6_EEENSH_IJSG_SG_EEES6_PlJNSB_9not_fun_tI7is_evenIsEEEEEE10hipError_tPvRmT3_T4_T5_T6_T7_T9_mT8_P12ihipStream_tbDpT10_ENKUlT_T0_E_clISt17integral_constantIbLb1EES18_EEDaS13_S14_EUlS13_E_NS1_11comp_targetILNS1_3genE8ELNS1_11target_archE1030ELNS1_3gpuE2ELNS1_3repE0EEENS1_30default_config_static_selectorELNS0_4arch9wavefront6targetE0EEEvT1_ ; -- Begin function _ZN7rocprim17ROCPRIM_400000_NS6detail17trampoline_kernelINS0_14default_configENS1_25partition_config_selectorILNS1_17partition_subalgoE6EsNS0_10empty_typeEbEEZZNS1_14partition_implILS5_6ELb0ES3_mN6thrust23THRUST_200600_302600_NS6detail15normal_iteratorINSA_10device_ptrIsEEEEPS6_SG_NS0_5tupleIJSF_S6_EEENSH_IJSG_SG_EEES6_PlJNSB_9not_fun_tI7is_evenIsEEEEEE10hipError_tPvRmT3_T4_T5_T6_T7_T9_mT8_P12ihipStream_tbDpT10_ENKUlT_T0_E_clISt17integral_constantIbLb1EES18_EEDaS13_S14_EUlS13_E_NS1_11comp_targetILNS1_3genE8ELNS1_11target_archE1030ELNS1_3gpuE2ELNS1_3repE0EEENS1_30default_config_static_selectorELNS0_4arch9wavefront6targetE0EEEvT1_
	.globl	_ZN7rocprim17ROCPRIM_400000_NS6detail17trampoline_kernelINS0_14default_configENS1_25partition_config_selectorILNS1_17partition_subalgoE6EsNS0_10empty_typeEbEEZZNS1_14partition_implILS5_6ELb0ES3_mN6thrust23THRUST_200600_302600_NS6detail15normal_iteratorINSA_10device_ptrIsEEEEPS6_SG_NS0_5tupleIJSF_S6_EEENSH_IJSG_SG_EEES6_PlJNSB_9not_fun_tI7is_evenIsEEEEEE10hipError_tPvRmT3_T4_T5_T6_T7_T9_mT8_P12ihipStream_tbDpT10_ENKUlT_T0_E_clISt17integral_constantIbLb1EES18_EEDaS13_S14_EUlS13_E_NS1_11comp_targetILNS1_3genE8ELNS1_11target_archE1030ELNS1_3gpuE2ELNS1_3repE0EEENS1_30default_config_static_selectorELNS0_4arch9wavefront6targetE0EEEvT1_
	.p2align	8
	.type	_ZN7rocprim17ROCPRIM_400000_NS6detail17trampoline_kernelINS0_14default_configENS1_25partition_config_selectorILNS1_17partition_subalgoE6EsNS0_10empty_typeEbEEZZNS1_14partition_implILS5_6ELb0ES3_mN6thrust23THRUST_200600_302600_NS6detail15normal_iteratorINSA_10device_ptrIsEEEEPS6_SG_NS0_5tupleIJSF_S6_EEENSH_IJSG_SG_EEES6_PlJNSB_9not_fun_tI7is_evenIsEEEEEE10hipError_tPvRmT3_T4_T5_T6_T7_T9_mT8_P12ihipStream_tbDpT10_ENKUlT_T0_E_clISt17integral_constantIbLb1EES18_EEDaS13_S14_EUlS13_E_NS1_11comp_targetILNS1_3genE8ELNS1_11target_archE1030ELNS1_3gpuE2ELNS1_3repE0EEENS1_30default_config_static_selectorELNS0_4arch9wavefront6targetE0EEEvT1_,@function
_ZN7rocprim17ROCPRIM_400000_NS6detail17trampoline_kernelINS0_14default_configENS1_25partition_config_selectorILNS1_17partition_subalgoE6EsNS0_10empty_typeEbEEZZNS1_14partition_implILS5_6ELb0ES3_mN6thrust23THRUST_200600_302600_NS6detail15normal_iteratorINSA_10device_ptrIsEEEEPS6_SG_NS0_5tupleIJSF_S6_EEENSH_IJSG_SG_EEES6_PlJNSB_9not_fun_tI7is_evenIsEEEEEE10hipError_tPvRmT3_T4_T5_T6_T7_T9_mT8_P12ihipStream_tbDpT10_ENKUlT_T0_E_clISt17integral_constantIbLb1EES18_EEDaS13_S14_EUlS13_E_NS1_11comp_targetILNS1_3genE8ELNS1_11target_archE1030ELNS1_3gpuE2ELNS1_3repE0EEENS1_30default_config_static_selectorELNS0_4arch9wavefront6targetE0EEEvT1_: ; @_ZN7rocprim17ROCPRIM_400000_NS6detail17trampoline_kernelINS0_14default_configENS1_25partition_config_selectorILNS1_17partition_subalgoE6EsNS0_10empty_typeEbEEZZNS1_14partition_implILS5_6ELb0ES3_mN6thrust23THRUST_200600_302600_NS6detail15normal_iteratorINSA_10device_ptrIsEEEEPS6_SG_NS0_5tupleIJSF_S6_EEENSH_IJSG_SG_EEES6_PlJNSB_9not_fun_tI7is_evenIsEEEEEE10hipError_tPvRmT3_T4_T5_T6_T7_T9_mT8_P12ihipStream_tbDpT10_ENKUlT_T0_E_clISt17integral_constantIbLb1EES18_EEDaS13_S14_EUlS13_E_NS1_11comp_targetILNS1_3genE8ELNS1_11target_archE1030ELNS1_3gpuE2ELNS1_3repE0EEENS1_30default_config_static_selectorELNS0_4arch9wavefront6targetE0EEEvT1_
; %bb.0:
	.section	.rodata,"a",@progbits
	.p2align	6, 0x0
	.amdhsa_kernel _ZN7rocprim17ROCPRIM_400000_NS6detail17trampoline_kernelINS0_14default_configENS1_25partition_config_selectorILNS1_17partition_subalgoE6EsNS0_10empty_typeEbEEZZNS1_14partition_implILS5_6ELb0ES3_mN6thrust23THRUST_200600_302600_NS6detail15normal_iteratorINSA_10device_ptrIsEEEEPS6_SG_NS0_5tupleIJSF_S6_EEENSH_IJSG_SG_EEES6_PlJNSB_9not_fun_tI7is_evenIsEEEEEE10hipError_tPvRmT3_T4_T5_T6_T7_T9_mT8_P12ihipStream_tbDpT10_ENKUlT_T0_E_clISt17integral_constantIbLb1EES18_EEDaS13_S14_EUlS13_E_NS1_11comp_targetILNS1_3genE8ELNS1_11target_archE1030ELNS1_3gpuE2ELNS1_3repE0EEENS1_30default_config_static_selectorELNS0_4arch9wavefront6targetE0EEEvT1_
		.amdhsa_group_segment_fixed_size 0
		.amdhsa_private_segment_fixed_size 0
		.amdhsa_kernarg_size 128
		.amdhsa_user_sgpr_count 2
		.amdhsa_user_sgpr_dispatch_ptr 0
		.amdhsa_user_sgpr_queue_ptr 0
		.amdhsa_user_sgpr_kernarg_segment_ptr 1
		.amdhsa_user_sgpr_dispatch_id 0
		.amdhsa_user_sgpr_private_segment_size 0
		.amdhsa_wavefront_size32 1
		.amdhsa_uses_dynamic_stack 0
		.amdhsa_enable_private_segment 0
		.amdhsa_system_sgpr_workgroup_id_x 1
		.amdhsa_system_sgpr_workgroup_id_y 0
		.amdhsa_system_sgpr_workgroup_id_z 0
		.amdhsa_system_sgpr_workgroup_info 0
		.amdhsa_system_vgpr_workitem_id 0
		.amdhsa_next_free_vgpr 1
		.amdhsa_next_free_sgpr 1
		.amdhsa_reserve_vcc 0
		.amdhsa_float_round_mode_32 0
		.amdhsa_float_round_mode_16_64 0
		.amdhsa_float_denorm_mode_32 3
		.amdhsa_float_denorm_mode_16_64 3
		.amdhsa_fp16_overflow 0
		.amdhsa_workgroup_processor_mode 1
		.amdhsa_memory_ordered 1
		.amdhsa_forward_progress 1
		.amdhsa_inst_pref_size 0
		.amdhsa_round_robin_scheduling 0
		.amdhsa_exception_fp_ieee_invalid_op 0
		.amdhsa_exception_fp_denorm_src 0
		.amdhsa_exception_fp_ieee_div_zero 0
		.amdhsa_exception_fp_ieee_overflow 0
		.amdhsa_exception_fp_ieee_underflow 0
		.amdhsa_exception_fp_ieee_inexact 0
		.amdhsa_exception_int_div_zero 0
	.end_amdhsa_kernel
	.section	.text._ZN7rocprim17ROCPRIM_400000_NS6detail17trampoline_kernelINS0_14default_configENS1_25partition_config_selectorILNS1_17partition_subalgoE6EsNS0_10empty_typeEbEEZZNS1_14partition_implILS5_6ELb0ES3_mN6thrust23THRUST_200600_302600_NS6detail15normal_iteratorINSA_10device_ptrIsEEEEPS6_SG_NS0_5tupleIJSF_S6_EEENSH_IJSG_SG_EEES6_PlJNSB_9not_fun_tI7is_evenIsEEEEEE10hipError_tPvRmT3_T4_T5_T6_T7_T9_mT8_P12ihipStream_tbDpT10_ENKUlT_T0_E_clISt17integral_constantIbLb1EES18_EEDaS13_S14_EUlS13_E_NS1_11comp_targetILNS1_3genE8ELNS1_11target_archE1030ELNS1_3gpuE2ELNS1_3repE0EEENS1_30default_config_static_selectorELNS0_4arch9wavefront6targetE0EEEvT1_,"axG",@progbits,_ZN7rocprim17ROCPRIM_400000_NS6detail17trampoline_kernelINS0_14default_configENS1_25partition_config_selectorILNS1_17partition_subalgoE6EsNS0_10empty_typeEbEEZZNS1_14partition_implILS5_6ELb0ES3_mN6thrust23THRUST_200600_302600_NS6detail15normal_iteratorINSA_10device_ptrIsEEEEPS6_SG_NS0_5tupleIJSF_S6_EEENSH_IJSG_SG_EEES6_PlJNSB_9not_fun_tI7is_evenIsEEEEEE10hipError_tPvRmT3_T4_T5_T6_T7_T9_mT8_P12ihipStream_tbDpT10_ENKUlT_T0_E_clISt17integral_constantIbLb1EES18_EEDaS13_S14_EUlS13_E_NS1_11comp_targetILNS1_3genE8ELNS1_11target_archE1030ELNS1_3gpuE2ELNS1_3repE0EEENS1_30default_config_static_selectorELNS0_4arch9wavefront6targetE0EEEvT1_,comdat
.Lfunc_end772:
	.size	_ZN7rocprim17ROCPRIM_400000_NS6detail17trampoline_kernelINS0_14default_configENS1_25partition_config_selectorILNS1_17partition_subalgoE6EsNS0_10empty_typeEbEEZZNS1_14partition_implILS5_6ELb0ES3_mN6thrust23THRUST_200600_302600_NS6detail15normal_iteratorINSA_10device_ptrIsEEEEPS6_SG_NS0_5tupleIJSF_S6_EEENSH_IJSG_SG_EEES6_PlJNSB_9not_fun_tI7is_evenIsEEEEEE10hipError_tPvRmT3_T4_T5_T6_T7_T9_mT8_P12ihipStream_tbDpT10_ENKUlT_T0_E_clISt17integral_constantIbLb1EES18_EEDaS13_S14_EUlS13_E_NS1_11comp_targetILNS1_3genE8ELNS1_11target_archE1030ELNS1_3gpuE2ELNS1_3repE0EEENS1_30default_config_static_selectorELNS0_4arch9wavefront6targetE0EEEvT1_, .Lfunc_end772-_ZN7rocprim17ROCPRIM_400000_NS6detail17trampoline_kernelINS0_14default_configENS1_25partition_config_selectorILNS1_17partition_subalgoE6EsNS0_10empty_typeEbEEZZNS1_14partition_implILS5_6ELb0ES3_mN6thrust23THRUST_200600_302600_NS6detail15normal_iteratorINSA_10device_ptrIsEEEEPS6_SG_NS0_5tupleIJSF_S6_EEENSH_IJSG_SG_EEES6_PlJNSB_9not_fun_tI7is_evenIsEEEEEE10hipError_tPvRmT3_T4_T5_T6_T7_T9_mT8_P12ihipStream_tbDpT10_ENKUlT_T0_E_clISt17integral_constantIbLb1EES18_EEDaS13_S14_EUlS13_E_NS1_11comp_targetILNS1_3genE8ELNS1_11target_archE1030ELNS1_3gpuE2ELNS1_3repE0EEENS1_30default_config_static_selectorELNS0_4arch9wavefront6targetE0EEEvT1_
                                        ; -- End function
	.set _ZN7rocprim17ROCPRIM_400000_NS6detail17trampoline_kernelINS0_14default_configENS1_25partition_config_selectorILNS1_17partition_subalgoE6EsNS0_10empty_typeEbEEZZNS1_14partition_implILS5_6ELb0ES3_mN6thrust23THRUST_200600_302600_NS6detail15normal_iteratorINSA_10device_ptrIsEEEEPS6_SG_NS0_5tupleIJSF_S6_EEENSH_IJSG_SG_EEES6_PlJNSB_9not_fun_tI7is_evenIsEEEEEE10hipError_tPvRmT3_T4_T5_T6_T7_T9_mT8_P12ihipStream_tbDpT10_ENKUlT_T0_E_clISt17integral_constantIbLb1EES18_EEDaS13_S14_EUlS13_E_NS1_11comp_targetILNS1_3genE8ELNS1_11target_archE1030ELNS1_3gpuE2ELNS1_3repE0EEENS1_30default_config_static_selectorELNS0_4arch9wavefront6targetE0EEEvT1_.num_vgpr, 0
	.set _ZN7rocprim17ROCPRIM_400000_NS6detail17trampoline_kernelINS0_14default_configENS1_25partition_config_selectorILNS1_17partition_subalgoE6EsNS0_10empty_typeEbEEZZNS1_14partition_implILS5_6ELb0ES3_mN6thrust23THRUST_200600_302600_NS6detail15normal_iteratorINSA_10device_ptrIsEEEEPS6_SG_NS0_5tupleIJSF_S6_EEENSH_IJSG_SG_EEES6_PlJNSB_9not_fun_tI7is_evenIsEEEEEE10hipError_tPvRmT3_T4_T5_T6_T7_T9_mT8_P12ihipStream_tbDpT10_ENKUlT_T0_E_clISt17integral_constantIbLb1EES18_EEDaS13_S14_EUlS13_E_NS1_11comp_targetILNS1_3genE8ELNS1_11target_archE1030ELNS1_3gpuE2ELNS1_3repE0EEENS1_30default_config_static_selectorELNS0_4arch9wavefront6targetE0EEEvT1_.num_agpr, 0
	.set _ZN7rocprim17ROCPRIM_400000_NS6detail17trampoline_kernelINS0_14default_configENS1_25partition_config_selectorILNS1_17partition_subalgoE6EsNS0_10empty_typeEbEEZZNS1_14partition_implILS5_6ELb0ES3_mN6thrust23THRUST_200600_302600_NS6detail15normal_iteratorINSA_10device_ptrIsEEEEPS6_SG_NS0_5tupleIJSF_S6_EEENSH_IJSG_SG_EEES6_PlJNSB_9not_fun_tI7is_evenIsEEEEEE10hipError_tPvRmT3_T4_T5_T6_T7_T9_mT8_P12ihipStream_tbDpT10_ENKUlT_T0_E_clISt17integral_constantIbLb1EES18_EEDaS13_S14_EUlS13_E_NS1_11comp_targetILNS1_3genE8ELNS1_11target_archE1030ELNS1_3gpuE2ELNS1_3repE0EEENS1_30default_config_static_selectorELNS0_4arch9wavefront6targetE0EEEvT1_.numbered_sgpr, 0
	.set _ZN7rocprim17ROCPRIM_400000_NS6detail17trampoline_kernelINS0_14default_configENS1_25partition_config_selectorILNS1_17partition_subalgoE6EsNS0_10empty_typeEbEEZZNS1_14partition_implILS5_6ELb0ES3_mN6thrust23THRUST_200600_302600_NS6detail15normal_iteratorINSA_10device_ptrIsEEEEPS6_SG_NS0_5tupleIJSF_S6_EEENSH_IJSG_SG_EEES6_PlJNSB_9not_fun_tI7is_evenIsEEEEEE10hipError_tPvRmT3_T4_T5_T6_T7_T9_mT8_P12ihipStream_tbDpT10_ENKUlT_T0_E_clISt17integral_constantIbLb1EES18_EEDaS13_S14_EUlS13_E_NS1_11comp_targetILNS1_3genE8ELNS1_11target_archE1030ELNS1_3gpuE2ELNS1_3repE0EEENS1_30default_config_static_selectorELNS0_4arch9wavefront6targetE0EEEvT1_.num_named_barrier, 0
	.set _ZN7rocprim17ROCPRIM_400000_NS6detail17trampoline_kernelINS0_14default_configENS1_25partition_config_selectorILNS1_17partition_subalgoE6EsNS0_10empty_typeEbEEZZNS1_14partition_implILS5_6ELb0ES3_mN6thrust23THRUST_200600_302600_NS6detail15normal_iteratorINSA_10device_ptrIsEEEEPS6_SG_NS0_5tupleIJSF_S6_EEENSH_IJSG_SG_EEES6_PlJNSB_9not_fun_tI7is_evenIsEEEEEE10hipError_tPvRmT3_T4_T5_T6_T7_T9_mT8_P12ihipStream_tbDpT10_ENKUlT_T0_E_clISt17integral_constantIbLb1EES18_EEDaS13_S14_EUlS13_E_NS1_11comp_targetILNS1_3genE8ELNS1_11target_archE1030ELNS1_3gpuE2ELNS1_3repE0EEENS1_30default_config_static_selectorELNS0_4arch9wavefront6targetE0EEEvT1_.private_seg_size, 0
	.set _ZN7rocprim17ROCPRIM_400000_NS6detail17trampoline_kernelINS0_14default_configENS1_25partition_config_selectorILNS1_17partition_subalgoE6EsNS0_10empty_typeEbEEZZNS1_14partition_implILS5_6ELb0ES3_mN6thrust23THRUST_200600_302600_NS6detail15normal_iteratorINSA_10device_ptrIsEEEEPS6_SG_NS0_5tupleIJSF_S6_EEENSH_IJSG_SG_EEES6_PlJNSB_9not_fun_tI7is_evenIsEEEEEE10hipError_tPvRmT3_T4_T5_T6_T7_T9_mT8_P12ihipStream_tbDpT10_ENKUlT_T0_E_clISt17integral_constantIbLb1EES18_EEDaS13_S14_EUlS13_E_NS1_11comp_targetILNS1_3genE8ELNS1_11target_archE1030ELNS1_3gpuE2ELNS1_3repE0EEENS1_30default_config_static_selectorELNS0_4arch9wavefront6targetE0EEEvT1_.uses_vcc, 0
	.set _ZN7rocprim17ROCPRIM_400000_NS6detail17trampoline_kernelINS0_14default_configENS1_25partition_config_selectorILNS1_17partition_subalgoE6EsNS0_10empty_typeEbEEZZNS1_14partition_implILS5_6ELb0ES3_mN6thrust23THRUST_200600_302600_NS6detail15normal_iteratorINSA_10device_ptrIsEEEEPS6_SG_NS0_5tupleIJSF_S6_EEENSH_IJSG_SG_EEES6_PlJNSB_9not_fun_tI7is_evenIsEEEEEE10hipError_tPvRmT3_T4_T5_T6_T7_T9_mT8_P12ihipStream_tbDpT10_ENKUlT_T0_E_clISt17integral_constantIbLb1EES18_EEDaS13_S14_EUlS13_E_NS1_11comp_targetILNS1_3genE8ELNS1_11target_archE1030ELNS1_3gpuE2ELNS1_3repE0EEENS1_30default_config_static_selectorELNS0_4arch9wavefront6targetE0EEEvT1_.uses_flat_scratch, 0
	.set _ZN7rocprim17ROCPRIM_400000_NS6detail17trampoline_kernelINS0_14default_configENS1_25partition_config_selectorILNS1_17partition_subalgoE6EsNS0_10empty_typeEbEEZZNS1_14partition_implILS5_6ELb0ES3_mN6thrust23THRUST_200600_302600_NS6detail15normal_iteratorINSA_10device_ptrIsEEEEPS6_SG_NS0_5tupleIJSF_S6_EEENSH_IJSG_SG_EEES6_PlJNSB_9not_fun_tI7is_evenIsEEEEEE10hipError_tPvRmT3_T4_T5_T6_T7_T9_mT8_P12ihipStream_tbDpT10_ENKUlT_T0_E_clISt17integral_constantIbLb1EES18_EEDaS13_S14_EUlS13_E_NS1_11comp_targetILNS1_3genE8ELNS1_11target_archE1030ELNS1_3gpuE2ELNS1_3repE0EEENS1_30default_config_static_selectorELNS0_4arch9wavefront6targetE0EEEvT1_.has_dyn_sized_stack, 0
	.set _ZN7rocprim17ROCPRIM_400000_NS6detail17trampoline_kernelINS0_14default_configENS1_25partition_config_selectorILNS1_17partition_subalgoE6EsNS0_10empty_typeEbEEZZNS1_14partition_implILS5_6ELb0ES3_mN6thrust23THRUST_200600_302600_NS6detail15normal_iteratorINSA_10device_ptrIsEEEEPS6_SG_NS0_5tupleIJSF_S6_EEENSH_IJSG_SG_EEES6_PlJNSB_9not_fun_tI7is_evenIsEEEEEE10hipError_tPvRmT3_T4_T5_T6_T7_T9_mT8_P12ihipStream_tbDpT10_ENKUlT_T0_E_clISt17integral_constantIbLb1EES18_EEDaS13_S14_EUlS13_E_NS1_11comp_targetILNS1_3genE8ELNS1_11target_archE1030ELNS1_3gpuE2ELNS1_3repE0EEENS1_30default_config_static_selectorELNS0_4arch9wavefront6targetE0EEEvT1_.has_recursion, 0
	.set _ZN7rocprim17ROCPRIM_400000_NS6detail17trampoline_kernelINS0_14default_configENS1_25partition_config_selectorILNS1_17partition_subalgoE6EsNS0_10empty_typeEbEEZZNS1_14partition_implILS5_6ELb0ES3_mN6thrust23THRUST_200600_302600_NS6detail15normal_iteratorINSA_10device_ptrIsEEEEPS6_SG_NS0_5tupleIJSF_S6_EEENSH_IJSG_SG_EEES6_PlJNSB_9not_fun_tI7is_evenIsEEEEEE10hipError_tPvRmT3_T4_T5_T6_T7_T9_mT8_P12ihipStream_tbDpT10_ENKUlT_T0_E_clISt17integral_constantIbLb1EES18_EEDaS13_S14_EUlS13_E_NS1_11comp_targetILNS1_3genE8ELNS1_11target_archE1030ELNS1_3gpuE2ELNS1_3repE0EEENS1_30default_config_static_selectorELNS0_4arch9wavefront6targetE0EEEvT1_.has_indirect_call, 0
	.section	.AMDGPU.csdata,"",@progbits
; Kernel info:
; codeLenInByte = 0
; TotalNumSgprs: 0
; NumVgprs: 0
; ScratchSize: 0
; MemoryBound: 0
; FloatMode: 240
; IeeeMode: 1
; LDSByteSize: 0 bytes/workgroup (compile time only)
; SGPRBlocks: 0
; VGPRBlocks: 0
; NumSGPRsForWavesPerEU: 1
; NumVGPRsForWavesPerEU: 1
; Occupancy: 16
; WaveLimiterHint : 0
; COMPUTE_PGM_RSRC2:SCRATCH_EN: 0
; COMPUTE_PGM_RSRC2:USER_SGPR: 2
; COMPUTE_PGM_RSRC2:TRAP_HANDLER: 0
; COMPUTE_PGM_RSRC2:TGID_X_EN: 1
; COMPUTE_PGM_RSRC2:TGID_Y_EN: 0
; COMPUTE_PGM_RSRC2:TGID_Z_EN: 0
; COMPUTE_PGM_RSRC2:TIDIG_COMP_CNT: 0
	.section	.text._ZN7rocprim17ROCPRIM_400000_NS6detail17trampoline_kernelINS0_14default_configENS1_25partition_config_selectorILNS1_17partition_subalgoE6EsNS0_10empty_typeEbEEZZNS1_14partition_implILS5_6ELb0ES3_mN6thrust23THRUST_200600_302600_NS6detail15normal_iteratorINSA_10device_ptrIsEEEEPS6_SG_NS0_5tupleIJSF_S6_EEENSH_IJSG_SG_EEES6_PlJNSB_9not_fun_tI7is_evenIsEEEEEE10hipError_tPvRmT3_T4_T5_T6_T7_T9_mT8_P12ihipStream_tbDpT10_ENKUlT_T0_E_clISt17integral_constantIbLb1EES17_IbLb0EEEEDaS13_S14_EUlS13_E_NS1_11comp_targetILNS1_3genE0ELNS1_11target_archE4294967295ELNS1_3gpuE0ELNS1_3repE0EEENS1_30default_config_static_selectorELNS0_4arch9wavefront6targetE0EEEvT1_,"axG",@progbits,_ZN7rocprim17ROCPRIM_400000_NS6detail17trampoline_kernelINS0_14default_configENS1_25partition_config_selectorILNS1_17partition_subalgoE6EsNS0_10empty_typeEbEEZZNS1_14partition_implILS5_6ELb0ES3_mN6thrust23THRUST_200600_302600_NS6detail15normal_iteratorINSA_10device_ptrIsEEEEPS6_SG_NS0_5tupleIJSF_S6_EEENSH_IJSG_SG_EEES6_PlJNSB_9not_fun_tI7is_evenIsEEEEEE10hipError_tPvRmT3_T4_T5_T6_T7_T9_mT8_P12ihipStream_tbDpT10_ENKUlT_T0_E_clISt17integral_constantIbLb1EES17_IbLb0EEEEDaS13_S14_EUlS13_E_NS1_11comp_targetILNS1_3genE0ELNS1_11target_archE4294967295ELNS1_3gpuE0ELNS1_3repE0EEENS1_30default_config_static_selectorELNS0_4arch9wavefront6targetE0EEEvT1_,comdat
	.protected	_ZN7rocprim17ROCPRIM_400000_NS6detail17trampoline_kernelINS0_14default_configENS1_25partition_config_selectorILNS1_17partition_subalgoE6EsNS0_10empty_typeEbEEZZNS1_14partition_implILS5_6ELb0ES3_mN6thrust23THRUST_200600_302600_NS6detail15normal_iteratorINSA_10device_ptrIsEEEEPS6_SG_NS0_5tupleIJSF_S6_EEENSH_IJSG_SG_EEES6_PlJNSB_9not_fun_tI7is_evenIsEEEEEE10hipError_tPvRmT3_T4_T5_T6_T7_T9_mT8_P12ihipStream_tbDpT10_ENKUlT_T0_E_clISt17integral_constantIbLb1EES17_IbLb0EEEEDaS13_S14_EUlS13_E_NS1_11comp_targetILNS1_3genE0ELNS1_11target_archE4294967295ELNS1_3gpuE0ELNS1_3repE0EEENS1_30default_config_static_selectorELNS0_4arch9wavefront6targetE0EEEvT1_ ; -- Begin function _ZN7rocprim17ROCPRIM_400000_NS6detail17trampoline_kernelINS0_14default_configENS1_25partition_config_selectorILNS1_17partition_subalgoE6EsNS0_10empty_typeEbEEZZNS1_14partition_implILS5_6ELb0ES3_mN6thrust23THRUST_200600_302600_NS6detail15normal_iteratorINSA_10device_ptrIsEEEEPS6_SG_NS0_5tupleIJSF_S6_EEENSH_IJSG_SG_EEES6_PlJNSB_9not_fun_tI7is_evenIsEEEEEE10hipError_tPvRmT3_T4_T5_T6_T7_T9_mT8_P12ihipStream_tbDpT10_ENKUlT_T0_E_clISt17integral_constantIbLb1EES17_IbLb0EEEEDaS13_S14_EUlS13_E_NS1_11comp_targetILNS1_3genE0ELNS1_11target_archE4294967295ELNS1_3gpuE0ELNS1_3repE0EEENS1_30default_config_static_selectorELNS0_4arch9wavefront6targetE0EEEvT1_
	.globl	_ZN7rocprim17ROCPRIM_400000_NS6detail17trampoline_kernelINS0_14default_configENS1_25partition_config_selectorILNS1_17partition_subalgoE6EsNS0_10empty_typeEbEEZZNS1_14partition_implILS5_6ELb0ES3_mN6thrust23THRUST_200600_302600_NS6detail15normal_iteratorINSA_10device_ptrIsEEEEPS6_SG_NS0_5tupleIJSF_S6_EEENSH_IJSG_SG_EEES6_PlJNSB_9not_fun_tI7is_evenIsEEEEEE10hipError_tPvRmT3_T4_T5_T6_T7_T9_mT8_P12ihipStream_tbDpT10_ENKUlT_T0_E_clISt17integral_constantIbLb1EES17_IbLb0EEEEDaS13_S14_EUlS13_E_NS1_11comp_targetILNS1_3genE0ELNS1_11target_archE4294967295ELNS1_3gpuE0ELNS1_3repE0EEENS1_30default_config_static_selectorELNS0_4arch9wavefront6targetE0EEEvT1_
	.p2align	8
	.type	_ZN7rocprim17ROCPRIM_400000_NS6detail17trampoline_kernelINS0_14default_configENS1_25partition_config_selectorILNS1_17partition_subalgoE6EsNS0_10empty_typeEbEEZZNS1_14partition_implILS5_6ELb0ES3_mN6thrust23THRUST_200600_302600_NS6detail15normal_iteratorINSA_10device_ptrIsEEEEPS6_SG_NS0_5tupleIJSF_S6_EEENSH_IJSG_SG_EEES6_PlJNSB_9not_fun_tI7is_evenIsEEEEEE10hipError_tPvRmT3_T4_T5_T6_T7_T9_mT8_P12ihipStream_tbDpT10_ENKUlT_T0_E_clISt17integral_constantIbLb1EES17_IbLb0EEEEDaS13_S14_EUlS13_E_NS1_11comp_targetILNS1_3genE0ELNS1_11target_archE4294967295ELNS1_3gpuE0ELNS1_3repE0EEENS1_30default_config_static_selectorELNS0_4arch9wavefront6targetE0EEEvT1_,@function
_ZN7rocprim17ROCPRIM_400000_NS6detail17trampoline_kernelINS0_14default_configENS1_25partition_config_selectorILNS1_17partition_subalgoE6EsNS0_10empty_typeEbEEZZNS1_14partition_implILS5_6ELb0ES3_mN6thrust23THRUST_200600_302600_NS6detail15normal_iteratorINSA_10device_ptrIsEEEEPS6_SG_NS0_5tupleIJSF_S6_EEENSH_IJSG_SG_EEES6_PlJNSB_9not_fun_tI7is_evenIsEEEEEE10hipError_tPvRmT3_T4_T5_T6_T7_T9_mT8_P12ihipStream_tbDpT10_ENKUlT_T0_E_clISt17integral_constantIbLb1EES17_IbLb0EEEEDaS13_S14_EUlS13_E_NS1_11comp_targetILNS1_3genE0ELNS1_11target_archE4294967295ELNS1_3gpuE0ELNS1_3repE0EEENS1_30default_config_static_selectorELNS0_4arch9wavefront6targetE0EEEvT1_: ; @_ZN7rocprim17ROCPRIM_400000_NS6detail17trampoline_kernelINS0_14default_configENS1_25partition_config_selectorILNS1_17partition_subalgoE6EsNS0_10empty_typeEbEEZZNS1_14partition_implILS5_6ELb0ES3_mN6thrust23THRUST_200600_302600_NS6detail15normal_iteratorINSA_10device_ptrIsEEEEPS6_SG_NS0_5tupleIJSF_S6_EEENSH_IJSG_SG_EEES6_PlJNSB_9not_fun_tI7is_evenIsEEEEEE10hipError_tPvRmT3_T4_T5_T6_T7_T9_mT8_P12ihipStream_tbDpT10_ENKUlT_T0_E_clISt17integral_constantIbLb1EES17_IbLb0EEEEDaS13_S14_EUlS13_E_NS1_11comp_targetILNS1_3genE0ELNS1_11target_archE4294967295ELNS1_3gpuE0ELNS1_3repE0EEENS1_30default_config_static_selectorELNS0_4arch9wavefront6targetE0EEEvT1_
; %bb.0:
	.section	.rodata,"a",@progbits
	.p2align	6, 0x0
	.amdhsa_kernel _ZN7rocprim17ROCPRIM_400000_NS6detail17trampoline_kernelINS0_14default_configENS1_25partition_config_selectorILNS1_17partition_subalgoE6EsNS0_10empty_typeEbEEZZNS1_14partition_implILS5_6ELb0ES3_mN6thrust23THRUST_200600_302600_NS6detail15normal_iteratorINSA_10device_ptrIsEEEEPS6_SG_NS0_5tupleIJSF_S6_EEENSH_IJSG_SG_EEES6_PlJNSB_9not_fun_tI7is_evenIsEEEEEE10hipError_tPvRmT3_T4_T5_T6_T7_T9_mT8_P12ihipStream_tbDpT10_ENKUlT_T0_E_clISt17integral_constantIbLb1EES17_IbLb0EEEEDaS13_S14_EUlS13_E_NS1_11comp_targetILNS1_3genE0ELNS1_11target_archE4294967295ELNS1_3gpuE0ELNS1_3repE0EEENS1_30default_config_static_selectorELNS0_4arch9wavefront6targetE0EEEvT1_
		.amdhsa_group_segment_fixed_size 0
		.amdhsa_private_segment_fixed_size 0
		.amdhsa_kernarg_size 112
		.amdhsa_user_sgpr_count 2
		.amdhsa_user_sgpr_dispatch_ptr 0
		.amdhsa_user_sgpr_queue_ptr 0
		.amdhsa_user_sgpr_kernarg_segment_ptr 1
		.amdhsa_user_sgpr_dispatch_id 0
		.amdhsa_user_sgpr_private_segment_size 0
		.amdhsa_wavefront_size32 1
		.amdhsa_uses_dynamic_stack 0
		.amdhsa_enable_private_segment 0
		.amdhsa_system_sgpr_workgroup_id_x 1
		.amdhsa_system_sgpr_workgroup_id_y 0
		.amdhsa_system_sgpr_workgroup_id_z 0
		.amdhsa_system_sgpr_workgroup_info 0
		.amdhsa_system_vgpr_workitem_id 0
		.amdhsa_next_free_vgpr 1
		.amdhsa_next_free_sgpr 1
		.amdhsa_reserve_vcc 0
		.amdhsa_float_round_mode_32 0
		.amdhsa_float_round_mode_16_64 0
		.amdhsa_float_denorm_mode_32 3
		.amdhsa_float_denorm_mode_16_64 3
		.amdhsa_fp16_overflow 0
		.amdhsa_workgroup_processor_mode 1
		.amdhsa_memory_ordered 1
		.amdhsa_forward_progress 1
		.amdhsa_inst_pref_size 0
		.amdhsa_round_robin_scheduling 0
		.amdhsa_exception_fp_ieee_invalid_op 0
		.amdhsa_exception_fp_denorm_src 0
		.amdhsa_exception_fp_ieee_div_zero 0
		.amdhsa_exception_fp_ieee_overflow 0
		.amdhsa_exception_fp_ieee_underflow 0
		.amdhsa_exception_fp_ieee_inexact 0
		.amdhsa_exception_int_div_zero 0
	.end_amdhsa_kernel
	.section	.text._ZN7rocprim17ROCPRIM_400000_NS6detail17trampoline_kernelINS0_14default_configENS1_25partition_config_selectorILNS1_17partition_subalgoE6EsNS0_10empty_typeEbEEZZNS1_14partition_implILS5_6ELb0ES3_mN6thrust23THRUST_200600_302600_NS6detail15normal_iteratorINSA_10device_ptrIsEEEEPS6_SG_NS0_5tupleIJSF_S6_EEENSH_IJSG_SG_EEES6_PlJNSB_9not_fun_tI7is_evenIsEEEEEE10hipError_tPvRmT3_T4_T5_T6_T7_T9_mT8_P12ihipStream_tbDpT10_ENKUlT_T0_E_clISt17integral_constantIbLb1EES17_IbLb0EEEEDaS13_S14_EUlS13_E_NS1_11comp_targetILNS1_3genE0ELNS1_11target_archE4294967295ELNS1_3gpuE0ELNS1_3repE0EEENS1_30default_config_static_selectorELNS0_4arch9wavefront6targetE0EEEvT1_,"axG",@progbits,_ZN7rocprim17ROCPRIM_400000_NS6detail17trampoline_kernelINS0_14default_configENS1_25partition_config_selectorILNS1_17partition_subalgoE6EsNS0_10empty_typeEbEEZZNS1_14partition_implILS5_6ELb0ES3_mN6thrust23THRUST_200600_302600_NS6detail15normal_iteratorINSA_10device_ptrIsEEEEPS6_SG_NS0_5tupleIJSF_S6_EEENSH_IJSG_SG_EEES6_PlJNSB_9not_fun_tI7is_evenIsEEEEEE10hipError_tPvRmT3_T4_T5_T6_T7_T9_mT8_P12ihipStream_tbDpT10_ENKUlT_T0_E_clISt17integral_constantIbLb1EES17_IbLb0EEEEDaS13_S14_EUlS13_E_NS1_11comp_targetILNS1_3genE0ELNS1_11target_archE4294967295ELNS1_3gpuE0ELNS1_3repE0EEENS1_30default_config_static_selectorELNS0_4arch9wavefront6targetE0EEEvT1_,comdat
.Lfunc_end773:
	.size	_ZN7rocprim17ROCPRIM_400000_NS6detail17trampoline_kernelINS0_14default_configENS1_25partition_config_selectorILNS1_17partition_subalgoE6EsNS0_10empty_typeEbEEZZNS1_14partition_implILS5_6ELb0ES3_mN6thrust23THRUST_200600_302600_NS6detail15normal_iteratorINSA_10device_ptrIsEEEEPS6_SG_NS0_5tupleIJSF_S6_EEENSH_IJSG_SG_EEES6_PlJNSB_9not_fun_tI7is_evenIsEEEEEE10hipError_tPvRmT3_T4_T5_T6_T7_T9_mT8_P12ihipStream_tbDpT10_ENKUlT_T0_E_clISt17integral_constantIbLb1EES17_IbLb0EEEEDaS13_S14_EUlS13_E_NS1_11comp_targetILNS1_3genE0ELNS1_11target_archE4294967295ELNS1_3gpuE0ELNS1_3repE0EEENS1_30default_config_static_selectorELNS0_4arch9wavefront6targetE0EEEvT1_, .Lfunc_end773-_ZN7rocprim17ROCPRIM_400000_NS6detail17trampoline_kernelINS0_14default_configENS1_25partition_config_selectorILNS1_17partition_subalgoE6EsNS0_10empty_typeEbEEZZNS1_14partition_implILS5_6ELb0ES3_mN6thrust23THRUST_200600_302600_NS6detail15normal_iteratorINSA_10device_ptrIsEEEEPS6_SG_NS0_5tupleIJSF_S6_EEENSH_IJSG_SG_EEES6_PlJNSB_9not_fun_tI7is_evenIsEEEEEE10hipError_tPvRmT3_T4_T5_T6_T7_T9_mT8_P12ihipStream_tbDpT10_ENKUlT_T0_E_clISt17integral_constantIbLb1EES17_IbLb0EEEEDaS13_S14_EUlS13_E_NS1_11comp_targetILNS1_3genE0ELNS1_11target_archE4294967295ELNS1_3gpuE0ELNS1_3repE0EEENS1_30default_config_static_selectorELNS0_4arch9wavefront6targetE0EEEvT1_
                                        ; -- End function
	.set _ZN7rocprim17ROCPRIM_400000_NS6detail17trampoline_kernelINS0_14default_configENS1_25partition_config_selectorILNS1_17partition_subalgoE6EsNS0_10empty_typeEbEEZZNS1_14partition_implILS5_6ELb0ES3_mN6thrust23THRUST_200600_302600_NS6detail15normal_iteratorINSA_10device_ptrIsEEEEPS6_SG_NS0_5tupleIJSF_S6_EEENSH_IJSG_SG_EEES6_PlJNSB_9not_fun_tI7is_evenIsEEEEEE10hipError_tPvRmT3_T4_T5_T6_T7_T9_mT8_P12ihipStream_tbDpT10_ENKUlT_T0_E_clISt17integral_constantIbLb1EES17_IbLb0EEEEDaS13_S14_EUlS13_E_NS1_11comp_targetILNS1_3genE0ELNS1_11target_archE4294967295ELNS1_3gpuE0ELNS1_3repE0EEENS1_30default_config_static_selectorELNS0_4arch9wavefront6targetE0EEEvT1_.num_vgpr, 0
	.set _ZN7rocprim17ROCPRIM_400000_NS6detail17trampoline_kernelINS0_14default_configENS1_25partition_config_selectorILNS1_17partition_subalgoE6EsNS0_10empty_typeEbEEZZNS1_14partition_implILS5_6ELb0ES3_mN6thrust23THRUST_200600_302600_NS6detail15normal_iteratorINSA_10device_ptrIsEEEEPS6_SG_NS0_5tupleIJSF_S6_EEENSH_IJSG_SG_EEES6_PlJNSB_9not_fun_tI7is_evenIsEEEEEE10hipError_tPvRmT3_T4_T5_T6_T7_T9_mT8_P12ihipStream_tbDpT10_ENKUlT_T0_E_clISt17integral_constantIbLb1EES17_IbLb0EEEEDaS13_S14_EUlS13_E_NS1_11comp_targetILNS1_3genE0ELNS1_11target_archE4294967295ELNS1_3gpuE0ELNS1_3repE0EEENS1_30default_config_static_selectorELNS0_4arch9wavefront6targetE0EEEvT1_.num_agpr, 0
	.set _ZN7rocprim17ROCPRIM_400000_NS6detail17trampoline_kernelINS0_14default_configENS1_25partition_config_selectorILNS1_17partition_subalgoE6EsNS0_10empty_typeEbEEZZNS1_14partition_implILS5_6ELb0ES3_mN6thrust23THRUST_200600_302600_NS6detail15normal_iteratorINSA_10device_ptrIsEEEEPS6_SG_NS0_5tupleIJSF_S6_EEENSH_IJSG_SG_EEES6_PlJNSB_9not_fun_tI7is_evenIsEEEEEE10hipError_tPvRmT3_T4_T5_T6_T7_T9_mT8_P12ihipStream_tbDpT10_ENKUlT_T0_E_clISt17integral_constantIbLb1EES17_IbLb0EEEEDaS13_S14_EUlS13_E_NS1_11comp_targetILNS1_3genE0ELNS1_11target_archE4294967295ELNS1_3gpuE0ELNS1_3repE0EEENS1_30default_config_static_selectorELNS0_4arch9wavefront6targetE0EEEvT1_.numbered_sgpr, 0
	.set _ZN7rocprim17ROCPRIM_400000_NS6detail17trampoline_kernelINS0_14default_configENS1_25partition_config_selectorILNS1_17partition_subalgoE6EsNS0_10empty_typeEbEEZZNS1_14partition_implILS5_6ELb0ES3_mN6thrust23THRUST_200600_302600_NS6detail15normal_iteratorINSA_10device_ptrIsEEEEPS6_SG_NS0_5tupleIJSF_S6_EEENSH_IJSG_SG_EEES6_PlJNSB_9not_fun_tI7is_evenIsEEEEEE10hipError_tPvRmT3_T4_T5_T6_T7_T9_mT8_P12ihipStream_tbDpT10_ENKUlT_T0_E_clISt17integral_constantIbLb1EES17_IbLb0EEEEDaS13_S14_EUlS13_E_NS1_11comp_targetILNS1_3genE0ELNS1_11target_archE4294967295ELNS1_3gpuE0ELNS1_3repE0EEENS1_30default_config_static_selectorELNS0_4arch9wavefront6targetE0EEEvT1_.num_named_barrier, 0
	.set _ZN7rocprim17ROCPRIM_400000_NS6detail17trampoline_kernelINS0_14default_configENS1_25partition_config_selectorILNS1_17partition_subalgoE6EsNS0_10empty_typeEbEEZZNS1_14partition_implILS5_6ELb0ES3_mN6thrust23THRUST_200600_302600_NS6detail15normal_iteratorINSA_10device_ptrIsEEEEPS6_SG_NS0_5tupleIJSF_S6_EEENSH_IJSG_SG_EEES6_PlJNSB_9not_fun_tI7is_evenIsEEEEEE10hipError_tPvRmT3_T4_T5_T6_T7_T9_mT8_P12ihipStream_tbDpT10_ENKUlT_T0_E_clISt17integral_constantIbLb1EES17_IbLb0EEEEDaS13_S14_EUlS13_E_NS1_11comp_targetILNS1_3genE0ELNS1_11target_archE4294967295ELNS1_3gpuE0ELNS1_3repE0EEENS1_30default_config_static_selectorELNS0_4arch9wavefront6targetE0EEEvT1_.private_seg_size, 0
	.set _ZN7rocprim17ROCPRIM_400000_NS6detail17trampoline_kernelINS0_14default_configENS1_25partition_config_selectorILNS1_17partition_subalgoE6EsNS0_10empty_typeEbEEZZNS1_14partition_implILS5_6ELb0ES3_mN6thrust23THRUST_200600_302600_NS6detail15normal_iteratorINSA_10device_ptrIsEEEEPS6_SG_NS0_5tupleIJSF_S6_EEENSH_IJSG_SG_EEES6_PlJNSB_9not_fun_tI7is_evenIsEEEEEE10hipError_tPvRmT3_T4_T5_T6_T7_T9_mT8_P12ihipStream_tbDpT10_ENKUlT_T0_E_clISt17integral_constantIbLb1EES17_IbLb0EEEEDaS13_S14_EUlS13_E_NS1_11comp_targetILNS1_3genE0ELNS1_11target_archE4294967295ELNS1_3gpuE0ELNS1_3repE0EEENS1_30default_config_static_selectorELNS0_4arch9wavefront6targetE0EEEvT1_.uses_vcc, 0
	.set _ZN7rocprim17ROCPRIM_400000_NS6detail17trampoline_kernelINS0_14default_configENS1_25partition_config_selectorILNS1_17partition_subalgoE6EsNS0_10empty_typeEbEEZZNS1_14partition_implILS5_6ELb0ES3_mN6thrust23THRUST_200600_302600_NS6detail15normal_iteratorINSA_10device_ptrIsEEEEPS6_SG_NS0_5tupleIJSF_S6_EEENSH_IJSG_SG_EEES6_PlJNSB_9not_fun_tI7is_evenIsEEEEEE10hipError_tPvRmT3_T4_T5_T6_T7_T9_mT8_P12ihipStream_tbDpT10_ENKUlT_T0_E_clISt17integral_constantIbLb1EES17_IbLb0EEEEDaS13_S14_EUlS13_E_NS1_11comp_targetILNS1_3genE0ELNS1_11target_archE4294967295ELNS1_3gpuE0ELNS1_3repE0EEENS1_30default_config_static_selectorELNS0_4arch9wavefront6targetE0EEEvT1_.uses_flat_scratch, 0
	.set _ZN7rocprim17ROCPRIM_400000_NS6detail17trampoline_kernelINS0_14default_configENS1_25partition_config_selectorILNS1_17partition_subalgoE6EsNS0_10empty_typeEbEEZZNS1_14partition_implILS5_6ELb0ES3_mN6thrust23THRUST_200600_302600_NS6detail15normal_iteratorINSA_10device_ptrIsEEEEPS6_SG_NS0_5tupleIJSF_S6_EEENSH_IJSG_SG_EEES6_PlJNSB_9not_fun_tI7is_evenIsEEEEEE10hipError_tPvRmT3_T4_T5_T6_T7_T9_mT8_P12ihipStream_tbDpT10_ENKUlT_T0_E_clISt17integral_constantIbLb1EES17_IbLb0EEEEDaS13_S14_EUlS13_E_NS1_11comp_targetILNS1_3genE0ELNS1_11target_archE4294967295ELNS1_3gpuE0ELNS1_3repE0EEENS1_30default_config_static_selectorELNS0_4arch9wavefront6targetE0EEEvT1_.has_dyn_sized_stack, 0
	.set _ZN7rocprim17ROCPRIM_400000_NS6detail17trampoline_kernelINS0_14default_configENS1_25partition_config_selectorILNS1_17partition_subalgoE6EsNS0_10empty_typeEbEEZZNS1_14partition_implILS5_6ELb0ES3_mN6thrust23THRUST_200600_302600_NS6detail15normal_iteratorINSA_10device_ptrIsEEEEPS6_SG_NS0_5tupleIJSF_S6_EEENSH_IJSG_SG_EEES6_PlJNSB_9not_fun_tI7is_evenIsEEEEEE10hipError_tPvRmT3_T4_T5_T6_T7_T9_mT8_P12ihipStream_tbDpT10_ENKUlT_T0_E_clISt17integral_constantIbLb1EES17_IbLb0EEEEDaS13_S14_EUlS13_E_NS1_11comp_targetILNS1_3genE0ELNS1_11target_archE4294967295ELNS1_3gpuE0ELNS1_3repE0EEENS1_30default_config_static_selectorELNS0_4arch9wavefront6targetE0EEEvT1_.has_recursion, 0
	.set _ZN7rocprim17ROCPRIM_400000_NS6detail17trampoline_kernelINS0_14default_configENS1_25partition_config_selectorILNS1_17partition_subalgoE6EsNS0_10empty_typeEbEEZZNS1_14partition_implILS5_6ELb0ES3_mN6thrust23THRUST_200600_302600_NS6detail15normal_iteratorINSA_10device_ptrIsEEEEPS6_SG_NS0_5tupleIJSF_S6_EEENSH_IJSG_SG_EEES6_PlJNSB_9not_fun_tI7is_evenIsEEEEEE10hipError_tPvRmT3_T4_T5_T6_T7_T9_mT8_P12ihipStream_tbDpT10_ENKUlT_T0_E_clISt17integral_constantIbLb1EES17_IbLb0EEEEDaS13_S14_EUlS13_E_NS1_11comp_targetILNS1_3genE0ELNS1_11target_archE4294967295ELNS1_3gpuE0ELNS1_3repE0EEENS1_30default_config_static_selectorELNS0_4arch9wavefront6targetE0EEEvT1_.has_indirect_call, 0
	.section	.AMDGPU.csdata,"",@progbits
; Kernel info:
; codeLenInByte = 0
; TotalNumSgprs: 0
; NumVgprs: 0
; ScratchSize: 0
; MemoryBound: 0
; FloatMode: 240
; IeeeMode: 1
; LDSByteSize: 0 bytes/workgroup (compile time only)
; SGPRBlocks: 0
; VGPRBlocks: 0
; NumSGPRsForWavesPerEU: 1
; NumVGPRsForWavesPerEU: 1
; Occupancy: 16
; WaveLimiterHint : 0
; COMPUTE_PGM_RSRC2:SCRATCH_EN: 0
; COMPUTE_PGM_RSRC2:USER_SGPR: 2
; COMPUTE_PGM_RSRC2:TRAP_HANDLER: 0
; COMPUTE_PGM_RSRC2:TGID_X_EN: 1
; COMPUTE_PGM_RSRC2:TGID_Y_EN: 0
; COMPUTE_PGM_RSRC2:TGID_Z_EN: 0
; COMPUTE_PGM_RSRC2:TIDIG_COMP_CNT: 0
	.section	.text._ZN7rocprim17ROCPRIM_400000_NS6detail17trampoline_kernelINS0_14default_configENS1_25partition_config_selectorILNS1_17partition_subalgoE6EsNS0_10empty_typeEbEEZZNS1_14partition_implILS5_6ELb0ES3_mN6thrust23THRUST_200600_302600_NS6detail15normal_iteratorINSA_10device_ptrIsEEEEPS6_SG_NS0_5tupleIJSF_S6_EEENSH_IJSG_SG_EEES6_PlJNSB_9not_fun_tI7is_evenIsEEEEEE10hipError_tPvRmT3_T4_T5_T6_T7_T9_mT8_P12ihipStream_tbDpT10_ENKUlT_T0_E_clISt17integral_constantIbLb1EES17_IbLb0EEEEDaS13_S14_EUlS13_E_NS1_11comp_targetILNS1_3genE5ELNS1_11target_archE942ELNS1_3gpuE9ELNS1_3repE0EEENS1_30default_config_static_selectorELNS0_4arch9wavefront6targetE0EEEvT1_,"axG",@progbits,_ZN7rocprim17ROCPRIM_400000_NS6detail17trampoline_kernelINS0_14default_configENS1_25partition_config_selectorILNS1_17partition_subalgoE6EsNS0_10empty_typeEbEEZZNS1_14partition_implILS5_6ELb0ES3_mN6thrust23THRUST_200600_302600_NS6detail15normal_iteratorINSA_10device_ptrIsEEEEPS6_SG_NS0_5tupleIJSF_S6_EEENSH_IJSG_SG_EEES6_PlJNSB_9not_fun_tI7is_evenIsEEEEEE10hipError_tPvRmT3_T4_T5_T6_T7_T9_mT8_P12ihipStream_tbDpT10_ENKUlT_T0_E_clISt17integral_constantIbLb1EES17_IbLb0EEEEDaS13_S14_EUlS13_E_NS1_11comp_targetILNS1_3genE5ELNS1_11target_archE942ELNS1_3gpuE9ELNS1_3repE0EEENS1_30default_config_static_selectorELNS0_4arch9wavefront6targetE0EEEvT1_,comdat
	.protected	_ZN7rocprim17ROCPRIM_400000_NS6detail17trampoline_kernelINS0_14default_configENS1_25partition_config_selectorILNS1_17partition_subalgoE6EsNS0_10empty_typeEbEEZZNS1_14partition_implILS5_6ELb0ES3_mN6thrust23THRUST_200600_302600_NS6detail15normal_iteratorINSA_10device_ptrIsEEEEPS6_SG_NS0_5tupleIJSF_S6_EEENSH_IJSG_SG_EEES6_PlJNSB_9not_fun_tI7is_evenIsEEEEEE10hipError_tPvRmT3_T4_T5_T6_T7_T9_mT8_P12ihipStream_tbDpT10_ENKUlT_T0_E_clISt17integral_constantIbLb1EES17_IbLb0EEEEDaS13_S14_EUlS13_E_NS1_11comp_targetILNS1_3genE5ELNS1_11target_archE942ELNS1_3gpuE9ELNS1_3repE0EEENS1_30default_config_static_selectorELNS0_4arch9wavefront6targetE0EEEvT1_ ; -- Begin function _ZN7rocprim17ROCPRIM_400000_NS6detail17trampoline_kernelINS0_14default_configENS1_25partition_config_selectorILNS1_17partition_subalgoE6EsNS0_10empty_typeEbEEZZNS1_14partition_implILS5_6ELb0ES3_mN6thrust23THRUST_200600_302600_NS6detail15normal_iteratorINSA_10device_ptrIsEEEEPS6_SG_NS0_5tupleIJSF_S6_EEENSH_IJSG_SG_EEES6_PlJNSB_9not_fun_tI7is_evenIsEEEEEE10hipError_tPvRmT3_T4_T5_T6_T7_T9_mT8_P12ihipStream_tbDpT10_ENKUlT_T0_E_clISt17integral_constantIbLb1EES17_IbLb0EEEEDaS13_S14_EUlS13_E_NS1_11comp_targetILNS1_3genE5ELNS1_11target_archE942ELNS1_3gpuE9ELNS1_3repE0EEENS1_30default_config_static_selectorELNS0_4arch9wavefront6targetE0EEEvT1_
	.globl	_ZN7rocprim17ROCPRIM_400000_NS6detail17trampoline_kernelINS0_14default_configENS1_25partition_config_selectorILNS1_17partition_subalgoE6EsNS0_10empty_typeEbEEZZNS1_14partition_implILS5_6ELb0ES3_mN6thrust23THRUST_200600_302600_NS6detail15normal_iteratorINSA_10device_ptrIsEEEEPS6_SG_NS0_5tupleIJSF_S6_EEENSH_IJSG_SG_EEES6_PlJNSB_9not_fun_tI7is_evenIsEEEEEE10hipError_tPvRmT3_T4_T5_T6_T7_T9_mT8_P12ihipStream_tbDpT10_ENKUlT_T0_E_clISt17integral_constantIbLb1EES17_IbLb0EEEEDaS13_S14_EUlS13_E_NS1_11comp_targetILNS1_3genE5ELNS1_11target_archE942ELNS1_3gpuE9ELNS1_3repE0EEENS1_30default_config_static_selectorELNS0_4arch9wavefront6targetE0EEEvT1_
	.p2align	8
	.type	_ZN7rocprim17ROCPRIM_400000_NS6detail17trampoline_kernelINS0_14default_configENS1_25partition_config_selectorILNS1_17partition_subalgoE6EsNS0_10empty_typeEbEEZZNS1_14partition_implILS5_6ELb0ES3_mN6thrust23THRUST_200600_302600_NS6detail15normal_iteratorINSA_10device_ptrIsEEEEPS6_SG_NS0_5tupleIJSF_S6_EEENSH_IJSG_SG_EEES6_PlJNSB_9not_fun_tI7is_evenIsEEEEEE10hipError_tPvRmT3_T4_T5_T6_T7_T9_mT8_P12ihipStream_tbDpT10_ENKUlT_T0_E_clISt17integral_constantIbLb1EES17_IbLb0EEEEDaS13_S14_EUlS13_E_NS1_11comp_targetILNS1_3genE5ELNS1_11target_archE942ELNS1_3gpuE9ELNS1_3repE0EEENS1_30default_config_static_selectorELNS0_4arch9wavefront6targetE0EEEvT1_,@function
_ZN7rocprim17ROCPRIM_400000_NS6detail17trampoline_kernelINS0_14default_configENS1_25partition_config_selectorILNS1_17partition_subalgoE6EsNS0_10empty_typeEbEEZZNS1_14partition_implILS5_6ELb0ES3_mN6thrust23THRUST_200600_302600_NS6detail15normal_iteratorINSA_10device_ptrIsEEEEPS6_SG_NS0_5tupleIJSF_S6_EEENSH_IJSG_SG_EEES6_PlJNSB_9not_fun_tI7is_evenIsEEEEEE10hipError_tPvRmT3_T4_T5_T6_T7_T9_mT8_P12ihipStream_tbDpT10_ENKUlT_T0_E_clISt17integral_constantIbLb1EES17_IbLb0EEEEDaS13_S14_EUlS13_E_NS1_11comp_targetILNS1_3genE5ELNS1_11target_archE942ELNS1_3gpuE9ELNS1_3repE0EEENS1_30default_config_static_selectorELNS0_4arch9wavefront6targetE0EEEvT1_: ; @_ZN7rocprim17ROCPRIM_400000_NS6detail17trampoline_kernelINS0_14default_configENS1_25partition_config_selectorILNS1_17partition_subalgoE6EsNS0_10empty_typeEbEEZZNS1_14partition_implILS5_6ELb0ES3_mN6thrust23THRUST_200600_302600_NS6detail15normal_iteratorINSA_10device_ptrIsEEEEPS6_SG_NS0_5tupleIJSF_S6_EEENSH_IJSG_SG_EEES6_PlJNSB_9not_fun_tI7is_evenIsEEEEEE10hipError_tPvRmT3_T4_T5_T6_T7_T9_mT8_P12ihipStream_tbDpT10_ENKUlT_T0_E_clISt17integral_constantIbLb1EES17_IbLb0EEEEDaS13_S14_EUlS13_E_NS1_11comp_targetILNS1_3genE5ELNS1_11target_archE942ELNS1_3gpuE9ELNS1_3repE0EEENS1_30default_config_static_selectorELNS0_4arch9wavefront6targetE0EEEvT1_
; %bb.0:
	.section	.rodata,"a",@progbits
	.p2align	6, 0x0
	.amdhsa_kernel _ZN7rocprim17ROCPRIM_400000_NS6detail17trampoline_kernelINS0_14default_configENS1_25partition_config_selectorILNS1_17partition_subalgoE6EsNS0_10empty_typeEbEEZZNS1_14partition_implILS5_6ELb0ES3_mN6thrust23THRUST_200600_302600_NS6detail15normal_iteratorINSA_10device_ptrIsEEEEPS6_SG_NS0_5tupleIJSF_S6_EEENSH_IJSG_SG_EEES6_PlJNSB_9not_fun_tI7is_evenIsEEEEEE10hipError_tPvRmT3_T4_T5_T6_T7_T9_mT8_P12ihipStream_tbDpT10_ENKUlT_T0_E_clISt17integral_constantIbLb1EES17_IbLb0EEEEDaS13_S14_EUlS13_E_NS1_11comp_targetILNS1_3genE5ELNS1_11target_archE942ELNS1_3gpuE9ELNS1_3repE0EEENS1_30default_config_static_selectorELNS0_4arch9wavefront6targetE0EEEvT1_
		.amdhsa_group_segment_fixed_size 0
		.amdhsa_private_segment_fixed_size 0
		.amdhsa_kernarg_size 112
		.amdhsa_user_sgpr_count 2
		.amdhsa_user_sgpr_dispatch_ptr 0
		.amdhsa_user_sgpr_queue_ptr 0
		.amdhsa_user_sgpr_kernarg_segment_ptr 1
		.amdhsa_user_sgpr_dispatch_id 0
		.amdhsa_user_sgpr_private_segment_size 0
		.amdhsa_wavefront_size32 1
		.amdhsa_uses_dynamic_stack 0
		.amdhsa_enable_private_segment 0
		.amdhsa_system_sgpr_workgroup_id_x 1
		.amdhsa_system_sgpr_workgroup_id_y 0
		.amdhsa_system_sgpr_workgroup_id_z 0
		.amdhsa_system_sgpr_workgroup_info 0
		.amdhsa_system_vgpr_workitem_id 0
		.amdhsa_next_free_vgpr 1
		.amdhsa_next_free_sgpr 1
		.amdhsa_reserve_vcc 0
		.amdhsa_float_round_mode_32 0
		.amdhsa_float_round_mode_16_64 0
		.amdhsa_float_denorm_mode_32 3
		.amdhsa_float_denorm_mode_16_64 3
		.amdhsa_fp16_overflow 0
		.amdhsa_workgroup_processor_mode 1
		.amdhsa_memory_ordered 1
		.amdhsa_forward_progress 1
		.amdhsa_inst_pref_size 0
		.amdhsa_round_robin_scheduling 0
		.amdhsa_exception_fp_ieee_invalid_op 0
		.amdhsa_exception_fp_denorm_src 0
		.amdhsa_exception_fp_ieee_div_zero 0
		.amdhsa_exception_fp_ieee_overflow 0
		.amdhsa_exception_fp_ieee_underflow 0
		.amdhsa_exception_fp_ieee_inexact 0
		.amdhsa_exception_int_div_zero 0
	.end_amdhsa_kernel
	.section	.text._ZN7rocprim17ROCPRIM_400000_NS6detail17trampoline_kernelINS0_14default_configENS1_25partition_config_selectorILNS1_17partition_subalgoE6EsNS0_10empty_typeEbEEZZNS1_14partition_implILS5_6ELb0ES3_mN6thrust23THRUST_200600_302600_NS6detail15normal_iteratorINSA_10device_ptrIsEEEEPS6_SG_NS0_5tupleIJSF_S6_EEENSH_IJSG_SG_EEES6_PlJNSB_9not_fun_tI7is_evenIsEEEEEE10hipError_tPvRmT3_T4_T5_T6_T7_T9_mT8_P12ihipStream_tbDpT10_ENKUlT_T0_E_clISt17integral_constantIbLb1EES17_IbLb0EEEEDaS13_S14_EUlS13_E_NS1_11comp_targetILNS1_3genE5ELNS1_11target_archE942ELNS1_3gpuE9ELNS1_3repE0EEENS1_30default_config_static_selectorELNS0_4arch9wavefront6targetE0EEEvT1_,"axG",@progbits,_ZN7rocprim17ROCPRIM_400000_NS6detail17trampoline_kernelINS0_14default_configENS1_25partition_config_selectorILNS1_17partition_subalgoE6EsNS0_10empty_typeEbEEZZNS1_14partition_implILS5_6ELb0ES3_mN6thrust23THRUST_200600_302600_NS6detail15normal_iteratorINSA_10device_ptrIsEEEEPS6_SG_NS0_5tupleIJSF_S6_EEENSH_IJSG_SG_EEES6_PlJNSB_9not_fun_tI7is_evenIsEEEEEE10hipError_tPvRmT3_T4_T5_T6_T7_T9_mT8_P12ihipStream_tbDpT10_ENKUlT_T0_E_clISt17integral_constantIbLb1EES17_IbLb0EEEEDaS13_S14_EUlS13_E_NS1_11comp_targetILNS1_3genE5ELNS1_11target_archE942ELNS1_3gpuE9ELNS1_3repE0EEENS1_30default_config_static_selectorELNS0_4arch9wavefront6targetE0EEEvT1_,comdat
.Lfunc_end774:
	.size	_ZN7rocprim17ROCPRIM_400000_NS6detail17trampoline_kernelINS0_14default_configENS1_25partition_config_selectorILNS1_17partition_subalgoE6EsNS0_10empty_typeEbEEZZNS1_14partition_implILS5_6ELb0ES3_mN6thrust23THRUST_200600_302600_NS6detail15normal_iteratorINSA_10device_ptrIsEEEEPS6_SG_NS0_5tupleIJSF_S6_EEENSH_IJSG_SG_EEES6_PlJNSB_9not_fun_tI7is_evenIsEEEEEE10hipError_tPvRmT3_T4_T5_T6_T7_T9_mT8_P12ihipStream_tbDpT10_ENKUlT_T0_E_clISt17integral_constantIbLb1EES17_IbLb0EEEEDaS13_S14_EUlS13_E_NS1_11comp_targetILNS1_3genE5ELNS1_11target_archE942ELNS1_3gpuE9ELNS1_3repE0EEENS1_30default_config_static_selectorELNS0_4arch9wavefront6targetE0EEEvT1_, .Lfunc_end774-_ZN7rocprim17ROCPRIM_400000_NS6detail17trampoline_kernelINS0_14default_configENS1_25partition_config_selectorILNS1_17partition_subalgoE6EsNS0_10empty_typeEbEEZZNS1_14partition_implILS5_6ELb0ES3_mN6thrust23THRUST_200600_302600_NS6detail15normal_iteratorINSA_10device_ptrIsEEEEPS6_SG_NS0_5tupleIJSF_S6_EEENSH_IJSG_SG_EEES6_PlJNSB_9not_fun_tI7is_evenIsEEEEEE10hipError_tPvRmT3_T4_T5_T6_T7_T9_mT8_P12ihipStream_tbDpT10_ENKUlT_T0_E_clISt17integral_constantIbLb1EES17_IbLb0EEEEDaS13_S14_EUlS13_E_NS1_11comp_targetILNS1_3genE5ELNS1_11target_archE942ELNS1_3gpuE9ELNS1_3repE0EEENS1_30default_config_static_selectorELNS0_4arch9wavefront6targetE0EEEvT1_
                                        ; -- End function
	.set _ZN7rocprim17ROCPRIM_400000_NS6detail17trampoline_kernelINS0_14default_configENS1_25partition_config_selectorILNS1_17partition_subalgoE6EsNS0_10empty_typeEbEEZZNS1_14partition_implILS5_6ELb0ES3_mN6thrust23THRUST_200600_302600_NS6detail15normal_iteratorINSA_10device_ptrIsEEEEPS6_SG_NS0_5tupleIJSF_S6_EEENSH_IJSG_SG_EEES6_PlJNSB_9not_fun_tI7is_evenIsEEEEEE10hipError_tPvRmT3_T4_T5_T6_T7_T9_mT8_P12ihipStream_tbDpT10_ENKUlT_T0_E_clISt17integral_constantIbLb1EES17_IbLb0EEEEDaS13_S14_EUlS13_E_NS1_11comp_targetILNS1_3genE5ELNS1_11target_archE942ELNS1_3gpuE9ELNS1_3repE0EEENS1_30default_config_static_selectorELNS0_4arch9wavefront6targetE0EEEvT1_.num_vgpr, 0
	.set _ZN7rocprim17ROCPRIM_400000_NS6detail17trampoline_kernelINS0_14default_configENS1_25partition_config_selectorILNS1_17partition_subalgoE6EsNS0_10empty_typeEbEEZZNS1_14partition_implILS5_6ELb0ES3_mN6thrust23THRUST_200600_302600_NS6detail15normal_iteratorINSA_10device_ptrIsEEEEPS6_SG_NS0_5tupleIJSF_S6_EEENSH_IJSG_SG_EEES6_PlJNSB_9not_fun_tI7is_evenIsEEEEEE10hipError_tPvRmT3_T4_T5_T6_T7_T9_mT8_P12ihipStream_tbDpT10_ENKUlT_T0_E_clISt17integral_constantIbLb1EES17_IbLb0EEEEDaS13_S14_EUlS13_E_NS1_11comp_targetILNS1_3genE5ELNS1_11target_archE942ELNS1_3gpuE9ELNS1_3repE0EEENS1_30default_config_static_selectorELNS0_4arch9wavefront6targetE0EEEvT1_.num_agpr, 0
	.set _ZN7rocprim17ROCPRIM_400000_NS6detail17trampoline_kernelINS0_14default_configENS1_25partition_config_selectorILNS1_17partition_subalgoE6EsNS0_10empty_typeEbEEZZNS1_14partition_implILS5_6ELb0ES3_mN6thrust23THRUST_200600_302600_NS6detail15normal_iteratorINSA_10device_ptrIsEEEEPS6_SG_NS0_5tupleIJSF_S6_EEENSH_IJSG_SG_EEES6_PlJNSB_9not_fun_tI7is_evenIsEEEEEE10hipError_tPvRmT3_T4_T5_T6_T7_T9_mT8_P12ihipStream_tbDpT10_ENKUlT_T0_E_clISt17integral_constantIbLb1EES17_IbLb0EEEEDaS13_S14_EUlS13_E_NS1_11comp_targetILNS1_3genE5ELNS1_11target_archE942ELNS1_3gpuE9ELNS1_3repE0EEENS1_30default_config_static_selectorELNS0_4arch9wavefront6targetE0EEEvT1_.numbered_sgpr, 0
	.set _ZN7rocprim17ROCPRIM_400000_NS6detail17trampoline_kernelINS0_14default_configENS1_25partition_config_selectorILNS1_17partition_subalgoE6EsNS0_10empty_typeEbEEZZNS1_14partition_implILS5_6ELb0ES3_mN6thrust23THRUST_200600_302600_NS6detail15normal_iteratorINSA_10device_ptrIsEEEEPS6_SG_NS0_5tupleIJSF_S6_EEENSH_IJSG_SG_EEES6_PlJNSB_9not_fun_tI7is_evenIsEEEEEE10hipError_tPvRmT3_T4_T5_T6_T7_T9_mT8_P12ihipStream_tbDpT10_ENKUlT_T0_E_clISt17integral_constantIbLb1EES17_IbLb0EEEEDaS13_S14_EUlS13_E_NS1_11comp_targetILNS1_3genE5ELNS1_11target_archE942ELNS1_3gpuE9ELNS1_3repE0EEENS1_30default_config_static_selectorELNS0_4arch9wavefront6targetE0EEEvT1_.num_named_barrier, 0
	.set _ZN7rocprim17ROCPRIM_400000_NS6detail17trampoline_kernelINS0_14default_configENS1_25partition_config_selectorILNS1_17partition_subalgoE6EsNS0_10empty_typeEbEEZZNS1_14partition_implILS5_6ELb0ES3_mN6thrust23THRUST_200600_302600_NS6detail15normal_iteratorINSA_10device_ptrIsEEEEPS6_SG_NS0_5tupleIJSF_S6_EEENSH_IJSG_SG_EEES6_PlJNSB_9not_fun_tI7is_evenIsEEEEEE10hipError_tPvRmT3_T4_T5_T6_T7_T9_mT8_P12ihipStream_tbDpT10_ENKUlT_T0_E_clISt17integral_constantIbLb1EES17_IbLb0EEEEDaS13_S14_EUlS13_E_NS1_11comp_targetILNS1_3genE5ELNS1_11target_archE942ELNS1_3gpuE9ELNS1_3repE0EEENS1_30default_config_static_selectorELNS0_4arch9wavefront6targetE0EEEvT1_.private_seg_size, 0
	.set _ZN7rocprim17ROCPRIM_400000_NS6detail17trampoline_kernelINS0_14default_configENS1_25partition_config_selectorILNS1_17partition_subalgoE6EsNS0_10empty_typeEbEEZZNS1_14partition_implILS5_6ELb0ES3_mN6thrust23THRUST_200600_302600_NS6detail15normal_iteratorINSA_10device_ptrIsEEEEPS6_SG_NS0_5tupleIJSF_S6_EEENSH_IJSG_SG_EEES6_PlJNSB_9not_fun_tI7is_evenIsEEEEEE10hipError_tPvRmT3_T4_T5_T6_T7_T9_mT8_P12ihipStream_tbDpT10_ENKUlT_T0_E_clISt17integral_constantIbLb1EES17_IbLb0EEEEDaS13_S14_EUlS13_E_NS1_11comp_targetILNS1_3genE5ELNS1_11target_archE942ELNS1_3gpuE9ELNS1_3repE0EEENS1_30default_config_static_selectorELNS0_4arch9wavefront6targetE0EEEvT1_.uses_vcc, 0
	.set _ZN7rocprim17ROCPRIM_400000_NS6detail17trampoline_kernelINS0_14default_configENS1_25partition_config_selectorILNS1_17partition_subalgoE6EsNS0_10empty_typeEbEEZZNS1_14partition_implILS5_6ELb0ES3_mN6thrust23THRUST_200600_302600_NS6detail15normal_iteratorINSA_10device_ptrIsEEEEPS6_SG_NS0_5tupleIJSF_S6_EEENSH_IJSG_SG_EEES6_PlJNSB_9not_fun_tI7is_evenIsEEEEEE10hipError_tPvRmT3_T4_T5_T6_T7_T9_mT8_P12ihipStream_tbDpT10_ENKUlT_T0_E_clISt17integral_constantIbLb1EES17_IbLb0EEEEDaS13_S14_EUlS13_E_NS1_11comp_targetILNS1_3genE5ELNS1_11target_archE942ELNS1_3gpuE9ELNS1_3repE0EEENS1_30default_config_static_selectorELNS0_4arch9wavefront6targetE0EEEvT1_.uses_flat_scratch, 0
	.set _ZN7rocprim17ROCPRIM_400000_NS6detail17trampoline_kernelINS0_14default_configENS1_25partition_config_selectorILNS1_17partition_subalgoE6EsNS0_10empty_typeEbEEZZNS1_14partition_implILS5_6ELb0ES3_mN6thrust23THRUST_200600_302600_NS6detail15normal_iteratorINSA_10device_ptrIsEEEEPS6_SG_NS0_5tupleIJSF_S6_EEENSH_IJSG_SG_EEES6_PlJNSB_9not_fun_tI7is_evenIsEEEEEE10hipError_tPvRmT3_T4_T5_T6_T7_T9_mT8_P12ihipStream_tbDpT10_ENKUlT_T0_E_clISt17integral_constantIbLb1EES17_IbLb0EEEEDaS13_S14_EUlS13_E_NS1_11comp_targetILNS1_3genE5ELNS1_11target_archE942ELNS1_3gpuE9ELNS1_3repE0EEENS1_30default_config_static_selectorELNS0_4arch9wavefront6targetE0EEEvT1_.has_dyn_sized_stack, 0
	.set _ZN7rocprim17ROCPRIM_400000_NS6detail17trampoline_kernelINS0_14default_configENS1_25partition_config_selectorILNS1_17partition_subalgoE6EsNS0_10empty_typeEbEEZZNS1_14partition_implILS5_6ELb0ES3_mN6thrust23THRUST_200600_302600_NS6detail15normal_iteratorINSA_10device_ptrIsEEEEPS6_SG_NS0_5tupleIJSF_S6_EEENSH_IJSG_SG_EEES6_PlJNSB_9not_fun_tI7is_evenIsEEEEEE10hipError_tPvRmT3_T4_T5_T6_T7_T9_mT8_P12ihipStream_tbDpT10_ENKUlT_T0_E_clISt17integral_constantIbLb1EES17_IbLb0EEEEDaS13_S14_EUlS13_E_NS1_11comp_targetILNS1_3genE5ELNS1_11target_archE942ELNS1_3gpuE9ELNS1_3repE0EEENS1_30default_config_static_selectorELNS0_4arch9wavefront6targetE0EEEvT1_.has_recursion, 0
	.set _ZN7rocprim17ROCPRIM_400000_NS6detail17trampoline_kernelINS0_14default_configENS1_25partition_config_selectorILNS1_17partition_subalgoE6EsNS0_10empty_typeEbEEZZNS1_14partition_implILS5_6ELb0ES3_mN6thrust23THRUST_200600_302600_NS6detail15normal_iteratorINSA_10device_ptrIsEEEEPS6_SG_NS0_5tupleIJSF_S6_EEENSH_IJSG_SG_EEES6_PlJNSB_9not_fun_tI7is_evenIsEEEEEE10hipError_tPvRmT3_T4_T5_T6_T7_T9_mT8_P12ihipStream_tbDpT10_ENKUlT_T0_E_clISt17integral_constantIbLb1EES17_IbLb0EEEEDaS13_S14_EUlS13_E_NS1_11comp_targetILNS1_3genE5ELNS1_11target_archE942ELNS1_3gpuE9ELNS1_3repE0EEENS1_30default_config_static_selectorELNS0_4arch9wavefront6targetE0EEEvT1_.has_indirect_call, 0
	.section	.AMDGPU.csdata,"",@progbits
; Kernel info:
; codeLenInByte = 0
; TotalNumSgprs: 0
; NumVgprs: 0
; ScratchSize: 0
; MemoryBound: 0
; FloatMode: 240
; IeeeMode: 1
; LDSByteSize: 0 bytes/workgroup (compile time only)
; SGPRBlocks: 0
; VGPRBlocks: 0
; NumSGPRsForWavesPerEU: 1
; NumVGPRsForWavesPerEU: 1
; Occupancy: 16
; WaveLimiterHint : 0
; COMPUTE_PGM_RSRC2:SCRATCH_EN: 0
; COMPUTE_PGM_RSRC2:USER_SGPR: 2
; COMPUTE_PGM_RSRC2:TRAP_HANDLER: 0
; COMPUTE_PGM_RSRC2:TGID_X_EN: 1
; COMPUTE_PGM_RSRC2:TGID_Y_EN: 0
; COMPUTE_PGM_RSRC2:TGID_Z_EN: 0
; COMPUTE_PGM_RSRC2:TIDIG_COMP_CNT: 0
	.section	.text._ZN7rocprim17ROCPRIM_400000_NS6detail17trampoline_kernelINS0_14default_configENS1_25partition_config_selectorILNS1_17partition_subalgoE6EsNS0_10empty_typeEbEEZZNS1_14partition_implILS5_6ELb0ES3_mN6thrust23THRUST_200600_302600_NS6detail15normal_iteratorINSA_10device_ptrIsEEEEPS6_SG_NS0_5tupleIJSF_S6_EEENSH_IJSG_SG_EEES6_PlJNSB_9not_fun_tI7is_evenIsEEEEEE10hipError_tPvRmT3_T4_T5_T6_T7_T9_mT8_P12ihipStream_tbDpT10_ENKUlT_T0_E_clISt17integral_constantIbLb1EES17_IbLb0EEEEDaS13_S14_EUlS13_E_NS1_11comp_targetILNS1_3genE4ELNS1_11target_archE910ELNS1_3gpuE8ELNS1_3repE0EEENS1_30default_config_static_selectorELNS0_4arch9wavefront6targetE0EEEvT1_,"axG",@progbits,_ZN7rocprim17ROCPRIM_400000_NS6detail17trampoline_kernelINS0_14default_configENS1_25partition_config_selectorILNS1_17partition_subalgoE6EsNS0_10empty_typeEbEEZZNS1_14partition_implILS5_6ELb0ES3_mN6thrust23THRUST_200600_302600_NS6detail15normal_iteratorINSA_10device_ptrIsEEEEPS6_SG_NS0_5tupleIJSF_S6_EEENSH_IJSG_SG_EEES6_PlJNSB_9not_fun_tI7is_evenIsEEEEEE10hipError_tPvRmT3_T4_T5_T6_T7_T9_mT8_P12ihipStream_tbDpT10_ENKUlT_T0_E_clISt17integral_constantIbLb1EES17_IbLb0EEEEDaS13_S14_EUlS13_E_NS1_11comp_targetILNS1_3genE4ELNS1_11target_archE910ELNS1_3gpuE8ELNS1_3repE0EEENS1_30default_config_static_selectorELNS0_4arch9wavefront6targetE0EEEvT1_,comdat
	.protected	_ZN7rocprim17ROCPRIM_400000_NS6detail17trampoline_kernelINS0_14default_configENS1_25partition_config_selectorILNS1_17partition_subalgoE6EsNS0_10empty_typeEbEEZZNS1_14partition_implILS5_6ELb0ES3_mN6thrust23THRUST_200600_302600_NS6detail15normal_iteratorINSA_10device_ptrIsEEEEPS6_SG_NS0_5tupleIJSF_S6_EEENSH_IJSG_SG_EEES6_PlJNSB_9not_fun_tI7is_evenIsEEEEEE10hipError_tPvRmT3_T4_T5_T6_T7_T9_mT8_P12ihipStream_tbDpT10_ENKUlT_T0_E_clISt17integral_constantIbLb1EES17_IbLb0EEEEDaS13_S14_EUlS13_E_NS1_11comp_targetILNS1_3genE4ELNS1_11target_archE910ELNS1_3gpuE8ELNS1_3repE0EEENS1_30default_config_static_selectorELNS0_4arch9wavefront6targetE0EEEvT1_ ; -- Begin function _ZN7rocprim17ROCPRIM_400000_NS6detail17trampoline_kernelINS0_14default_configENS1_25partition_config_selectorILNS1_17partition_subalgoE6EsNS0_10empty_typeEbEEZZNS1_14partition_implILS5_6ELb0ES3_mN6thrust23THRUST_200600_302600_NS6detail15normal_iteratorINSA_10device_ptrIsEEEEPS6_SG_NS0_5tupleIJSF_S6_EEENSH_IJSG_SG_EEES6_PlJNSB_9not_fun_tI7is_evenIsEEEEEE10hipError_tPvRmT3_T4_T5_T6_T7_T9_mT8_P12ihipStream_tbDpT10_ENKUlT_T0_E_clISt17integral_constantIbLb1EES17_IbLb0EEEEDaS13_S14_EUlS13_E_NS1_11comp_targetILNS1_3genE4ELNS1_11target_archE910ELNS1_3gpuE8ELNS1_3repE0EEENS1_30default_config_static_selectorELNS0_4arch9wavefront6targetE0EEEvT1_
	.globl	_ZN7rocprim17ROCPRIM_400000_NS6detail17trampoline_kernelINS0_14default_configENS1_25partition_config_selectorILNS1_17partition_subalgoE6EsNS0_10empty_typeEbEEZZNS1_14partition_implILS5_6ELb0ES3_mN6thrust23THRUST_200600_302600_NS6detail15normal_iteratorINSA_10device_ptrIsEEEEPS6_SG_NS0_5tupleIJSF_S6_EEENSH_IJSG_SG_EEES6_PlJNSB_9not_fun_tI7is_evenIsEEEEEE10hipError_tPvRmT3_T4_T5_T6_T7_T9_mT8_P12ihipStream_tbDpT10_ENKUlT_T0_E_clISt17integral_constantIbLb1EES17_IbLb0EEEEDaS13_S14_EUlS13_E_NS1_11comp_targetILNS1_3genE4ELNS1_11target_archE910ELNS1_3gpuE8ELNS1_3repE0EEENS1_30default_config_static_selectorELNS0_4arch9wavefront6targetE0EEEvT1_
	.p2align	8
	.type	_ZN7rocprim17ROCPRIM_400000_NS6detail17trampoline_kernelINS0_14default_configENS1_25partition_config_selectorILNS1_17partition_subalgoE6EsNS0_10empty_typeEbEEZZNS1_14partition_implILS5_6ELb0ES3_mN6thrust23THRUST_200600_302600_NS6detail15normal_iteratorINSA_10device_ptrIsEEEEPS6_SG_NS0_5tupleIJSF_S6_EEENSH_IJSG_SG_EEES6_PlJNSB_9not_fun_tI7is_evenIsEEEEEE10hipError_tPvRmT3_T4_T5_T6_T7_T9_mT8_P12ihipStream_tbDpT10_ENKUlT_T0_E_clISt17integral_constantIbLb1EES17_IbLb0EEEEDaS13_S14_EUlS13_E_NS1_11comp_targetILNS1_3genE4ELNS1_11target_archE910ELNS1_3gpuE8ELNS1_3repE0EEENS1_30default_config_static_selectorELNS0_4arch9wavefront6targetE0EEEvT1_,@function
_ZN7rocprim17ROCPRIM_400000_NS6detail17trampoline_kernelINS0_14default_configENS1_25partition_config_selectorILNS1_17partition_subalgoE6EsNS0_10empty_typeEbEEZZNS1_14partition_implILS5_6ELb0ES3_mN6thrust23THRUST_200600_302600_NS6detail15normal_iteratorINSA_10device_ptrIsEEEEPS6_SG_NS0_5tupleIJSF_S6_EEENSH_IJSG_SG_EEES6_PlJNSB_9not_fun_tI7is_evenIsEEEEEE10hipError_tPvRmT3_T4_T5_T6_T7_T9_mT8_P12ihipStream_tbDpT10_ENKUlT_T0_E_clISt17integral_constantIbLb1EES17_IbLb0EEEEDaS13_S14_EUlS13_E_NS1_11comp_targetILNS1_3genE4ELNS1_11target_archE910ELNS1_3gpuE8ELNS1_3repE0EEENS1_30default_config_static_selectorELNS0_4arch9wavefront6targetE0EEEvT1_: ; @_ZN7rocprim17ROCPRIM_400000_NS6detail17trampoline_kernelINS0_14default_configENS1_25partition_config_selectorILNS1_17partition_subalgoE6EsNS0_10empty_typeEbEEZZNS1_14partition_implILS5_6ELb0ES3_mN6thrust23THRUST_200600_302600_NS6detail15normal_iteratorINSA_10device_ptrIsEEEEPS6_SG_NS0_5tupleIJSF_S6_EEENSH_IJSG_SG_EEES6_PlJNSB_9not_fun_tI7is_evenIsEEEEEE10hipError_tPvRmT3_T4_T5_T6_T7_T9_mT8_P12ihipStream_tbDpT10_ENKUlT_T0_E_clISt17integral_constantIbLb1EES17_IbLb0EEEEDaS13_S14_EUlS13_E_NS1_11comp_targetILNS1_3genE4ELNS1_11target_archE910ELNS1_3gpuE8ELNS1_3repE0EEENS1_30default_config_static_selectorELNS0_4arch9wavefront6targetE0EEEvT1_
; %bb.0:
	.section	.rodata,"a",@progbits
	.p2align	6, 0x0
	.amdhsa_kernel _ZN7rocprim17ROCPRIM_400000_NS6detail17trampoline_kernelINS0_14default_configENS1_25partition_config_selectorILNS1_17partition_subalgoE6EsNS0_10empty_typeEbEEZZNS1_14partition_implILS5_6ELb0ES3_mN6thrust23THRUST_200600_302600_NS6detail15normal_iteratorINSA_10device_ptrIsEEEEPS6_SG_NS0_5tupleIJSF_S6_EEENSH_IJSG_SG_EEES6_PlJNSB_9not_fun_tI7is_evenIsEEEEEE10hipError_tPvRmT3_T4_T5_T6_T7_T9_mT8_P12ihipStream_tbDpT10_ENKUlT_T0_E_clISt17integral_constantIbLb1EES17_IbLb0EEEEDaS13_S14_EUlS13_E_NS1_11comp_targetILNS1_3genE4ELNS1_11target_archE910ELNS1_3gpuE8ELNS1_3repE0EEENS1_30default_config_static_selectorELNS0_4arch9wavefront6targetE0EEEvT1_
		.amdhsa_group_segment_fixed_size 0
		.amdhsa_private_segment_fixed_size 0
		.amdhsa_kernarg_size 112
		.amdhsa_user_sgpr_count 2
		.amdhsa_user_sgpr_dispatch_ptr 0
		.amdhsa_user_sgpr_queue_ptr 0
		.amdhsa_user_sgpr_kernarg_segment_ptr 1
		.amdhsa_user_sgpr_dispatch_id 0
		.amdhsa_user_sgpr_private_segment_size 0
		.amdhsa_wavefront_size32 1
		.amdhsa_uses_dynamic_stack 0
		.amdhsa_enable_private_segment 0
		.amdhsa_system_sgpr_workgroup_id_x 1
		.amdhsa_system_sgpr_workgroup_id_y 0
		.amdhsa_system_sgpr_workgroup_id_z 0
		.amdhsa_system_sgpr_workgroup_info 0
		.amdhsa_system_vgpr_workitem_id 0
		.amdhsa_next_free_vgpr 1
		.amdhsa_next_free_sgpr 1
		.amdhsa_reserve_vcc 0
		.amdhsa_float_round_mode_32 0
		.amdhsa_float_round_mode_16_64 0
		.amdhsa_float_denorm_mode_32 3
		.amdhsa_float_denorm_mode_16_64 3
		.amdhsa_fp16_overflow 0
		.amdhsa_workgroup_processor_mode 1
		.amdhsa_memory_ordered 1
		.amdhsa_forward_progress 1
		.amdhsa_inst_pref_size 0
		.amdhsa_round_robin_scheduling 0
		.amdhsa_exception_fp_ieee_invalid_op 0
		.amdhsa_exception_fp_denorm_src 0
		.amdhsa_exception_fp_ieee_div_zero 0
		.amdhsa_exception_fp_ieee_overflow 0
		.amdhsa_exception_fp_ieee_underflow 0
		.amdhsa_exception_fp_ieee_inexact 0
		.amdhsa_exception_int_div_zero 0
	.end_amdhsa_kernel
	.section	.text._ZN7rocprim17ROCPRIM_400000_NS6detail17trampoline_kernelINS0_14default_configENS1_25partition_config_selectorILNS1_17partition_subalgoE6EsNS0_10empty_typeEbEEZZNS1_14partition_implILS5_6ELb0ES3_mN6thrust23THRUST_200600_302600_NS6detail15normal_iteratorINSA_10device_ptrIsEEEEPS6_SG_NS0_5tupleIJSF_S6_EEENSH_IJSG_SG_EEES6_PlJNSB_9not_fun_tI7is_evenIsEEEEEE10hipError_tPvRmT3_T4_T5_T6_T7_T9_mT8_P12ihipStream_tbDpT10_ENKUlT_T0_E_clISt17integral_constantIbLb1EES17_IbLb0EEEEDaS13_S14_EUlS13_E_NS1_11comp_targetILNS1_3genE4ELNS1_11target_archE910ELNS1_3gpuE8ELNS1_3repE0EEENS1_30default_config_static_selectorELNS0_4arch9wavefront6targetE0EEEvT1_,"axG",@progbits,_ZN7rocprim17ROCPRIM_400000_NS6detail17trampoline_kernelINS0_14default_configENS1_25partition_config_selectorILNS1_17partition_subalgoE6EsNS0_10empty_typeEbEEZZNS1_14partition_implILS5_6ELb0ES3_mN6thrust23THRUST_200600_302600_NS6detail15normal_iteratorINSA_10device_ptrIsEEEEPS6_SG_NS0_5tupleIJSF_S6_EEENSH_IJSG_SG_EEES6_PlJNSB_9not_fun_tI7is_evenIsEEEEEE10hipError_tPvRmT3_T4_T5_T6_T7_T9_mT8_P12ihipStream_tbDpT10_ENKUlT_T0_E_clISt17integral_constantIbLb1EES17_IbLb0EEEEDaS13_S14_EUlS13_E_NS1_11comp_targetILNS1_3genE4ELNS1_11target_archE910ELNS1_3gpuE8ELNS1_3repE0EEENS1_30default_config_static_selectorELNS0_4arch9wavefront6targetE0EEEvT1_,comdat
.Lfunc_end775:
	.size	_ZN7rocprim17ROCPRIM_400000_NS6detail17trampoline_kernelINS0_14default_configENS1_25partition_config_selectorILNS1_17partition_subalgoE6EsNS0_10empty_typeEbEEZZNS1_14partition_implILS5_6ELb0ES3_mN6thrust23THRUST_200600_302600_NS6detail15normal_iteratorINSA_10device_ptrIsEEEEPS6_SG_NS0_5tupleIJSF_S6_EEENSH_IJSG_SG_EEES6_PlJNSB_9not_fun_tI7is_evenIsEEEEEE10hipError_tPvRmT3_T4_T5_T6_T7_T9_mT8_P12ihipStream_tbDpT10_ENKUlT_T0_E_clISt17integral_constantIbLb1EES17_IbLb0EEEEDaS13_S14_EUlS13_E_NS1_11comp_targetILNS1_3genE4ELNS1_11target_archE910ELNS1_3gpuE8ELNS1_3repE0EEENS1_30default_config_static_selectorELNS0_4arch9wavefront6targetE0EEEvT1_, .Lfunc_end775-_ZN7rocprim17ROCPRIM_400000_NS6detail17trampoline_kernelINS0_14default_configENS1_25partition_config_selectorILNS1_17partition_subalgoE6EsNS0_10empty_typeEbEEZZNS1_14partition_implILS5_6ELb0ES3_mN6thrust23THRUST_200600_302600_NS6detail15normal_iteratorINSA_10device_ptrIsEEEEPS6_SG_NS0_5tupleIJSF_S6_EEENSH_IJSG_SG_EEES6_PlJNSB_9not_fun_tI7is_evenIsEEEEEE10hipError_tPvRmT3_T4_T5_T6_T7_T9_mT8_P12ihipStream_tbDpT10_ENKUlT_T0_E_clISt17integral_constantIbLb1EES17_IbLb0EEEEDaS13_S14_EUlS13_E_NS1_11comp_targetILNS1_3genE4ELNS1_11target_archE910ELNS1_3gpuE8ELNS1_3repE0EEENS1_30default_config_static_selectorELNS0_4arch9wavefront6targetE0EEEvT1_
                                        ; -- End function
	.set _ZN7rocprim17ROCPRIM_400000_NS6detail17trampoline_kernelINS0_14default_configENS1_25partition_config_selectorILNS1_17partition_subalgoE6EsNS0_10empty_typeEbEEZZNS1_14partition_implILS5_6ELb0ES3_mN6thrust23THRUST_200600_302600_NS6detail15normal_iteratorINSA_10device_ptrIsEEEEPS6_SG_NS0_5tupleIJSF_S6_EEENSH_IJSG_SG_EEES6_PlJNSB_9not_fun_tI7is_evenIsEEEEEE10hipError_tPvRmT3_T4_T5_T6_T7_T9_mT8_P12ihipStream_tbDpT10_ENKUlT_T0_E_clISt17integral_constantIbLb1EES17_IbLb0EEEEDaS13_S14_EUlS13_E_NS1_11comp_targetILNS1_3genE4ELNS1_11target_archE910ELNS1_3gpuE8ELNS1_3repE0EEENS1_30default_config_static_selectorELNS0_4arch9wavefront6targetE0EEEvT1_.num_vgpr, 0
	.set _ZN7rocprim17ROCPRIM_400000_NS6detail17trampoline_kernelINS0_14default_configENS1_25partition_config_selectorILNS1_17partition_subalgoE6EsNS0_10empty_typeEbEEZZNS1_14partition_implILS5_6ELb0ES3_mN6thrust23THRUST_200600_302600_NS6detail15normal_iteratorINSA_10device_ptrIsEEEEPS6_SG_NS0_5tupleIJSF_S6_EEENSH_IJSG_SG_EEES6_PlJNSB_9not_fun_tI7is_evenIsEEEEEE10hipError_tPvRmT3_T4_T5_T6_T7_T9_mT8_P12ihipStream_tbDpT10_ENKUlT_T0_E_clISt17integral_constantIbLb1EES17_IbLb0EEEEDaS13_S14_EUlS13_E_NS1_11comp_targetILNS1_3genE4ELNS1_11target_archE910ELNS1_3gpuE8ELNS1_3repE0EEENS1_30default_config_static_selectorELNS0_4arch9wavefront6targetE0EEEvT1_.num_agpr, 0
	.set _ZN7rocprim17ROCPRIM_400000_NS6detail17trampoline_kernelINS0_14default_configENS1_25partition_config_selectorILNS1_17partition_subalgoE6EsNS0_10empty_typeEbEEZZNS1_14partition_implILS5_6ELb0ES3_mN6thrust23THRUST_200600_302600_NS6detail15normal_iteratorINSA_10device_ptrIsEEEEPS6_SG_NS0_5tupleIJSF_S6_EEENSH_IJSG_SG_EEES6_PlJNSB_9not_fun_tI7is_evenIsEEEEEE10hipError_tPvRmT3_T4_T5_T6_T7_T9_mT8_P12ihipStream_tbDpT10_ENKUlT_T0_E_clISt17integral_constantIbLb1EES17_IbLb0EEEEDaS13_S14_EUlS13_E_NS1_11comp_targetILNS1_3genE4ELNS1_11target_archE910ELNS1_3gpuE8ELNS1_3repE0EEENS1_30default_config_static_selectorELNS0_4arch9wavefront6targetE0EEEvT1_.numbered_sgpr, 0
	.set _ZN7rocprim17ROCPRIM_400000_NS6detail17trampoline_kernelINS0_14default_configENS1_25partition_config_selectorILNS1_17partition_subalgoE6EsNS0_10empty_typeEbEEZZNS1_14partition_implILS5_6ELb0ES3_mN6thrust23THRUST_200600_302600_NS6detail15normal_iteratorINSA_10device_ptrIsEEEEPS6_SG_NS0_5tupleIJSF_S6_EEENSH_IJSG_SG_EEES6_PlJNSB_9not_fun_tI7is_evenIsEEEEEE10hipError_tPvRmT3_T4_T5_T6_T7_T9_mT8_P12ihipStream_tbDpT10_ENKUlT_T0_E_clISt17integral_constantIbLb1EES17_IbLb0EEEEDaS13_S14_EUlS13_E_NS1_11comp_targetILNS1_3genE4ELNS1_11target_archE910ELNS1_3gpuE8ELNS1_3repE0EEENS1_30default_config_static_selectorELNS0_4arch9wavefront6targetE0EEEvT1_.num_named_barrier, 0
	.set _ZN7rocprim17ROCPRIM_400000_NS6detail17trampoline_kernelINS0_14default_configENS1_25partition_config_selectorILNS1_17partition_subalgoE6EsNS0_10empty_typeEbEEZZNS1_14partition_implILS5_6ELb0ES3_mN6thrust23THRUST_200600_302600_NS6detail15normal_iteratorINSA_10device_ptrIsEEEEPS6_SG_NS0_5tupleIJSF_S6_EEENSH_IJSG_SG_EEES6_PlJNSB_9not_fun_tI7is_evenIsEEEEEE10hipError_tPvRmT3_T4_T5_T6_T7_T9_mT8_P12ihipStream_tbDpT10_ENKUlT_T0_E_clISt17integral_constantIbLb1EES17_IbLb0EEEEDaS13_S14_EUlS13_E_NS1_11comp_targetILNS1_3genE4ELNS1_11target_archE910ELNS1_3gpuE8ELNS1_3repE0EEENS1_30default_config_static_selectorELNS0_4arch9wavefront6targetE0EEEvT1_.private_seg_size, 0
	.set _ZN7rocprim17ROCPRIM_400000_NS6detail17trampoline_kernelINS0_14default_configENS1_25partition_config_selectorILNS1_17partition_subalgoE6EsNS0_10empty_typeEbEEZZNS1_14partition_implILS5_6ELb0ES3_mN6thrust23THRUST_200600_302600_NS6detail15normal_iteratorINSA_10device_ptrIsEEEEPS6_SG_NS0_5tupleIJSF_S6_EEENSH_IJSG_SG_EEES6_PlJNSB_9not_fun_tI7is_evenIsEEEEEE10hipError_tPvRmT3_T4_T5_T6_T7_T9_mT8_P12ihipStream_tbDpT10_ENKUlT_T0_E_clISt17integral_constantIbLb1EES17_IbLb0EEEEDaS13_S14_EUlS13_E_NS1_11comp_targetILNS1_3genE4ELNS1_11target_archE910ELNS1_3gpuE8ELNS1_3repE0EEENS1_30default_config_static_selectorELNS0_4arch9wavefront6targetE0EEEvT1_.uses_vcc, 0
	.set _ZN7rocprim17ROCPRIM_400000_NS6detail17trampoline_kernelINS0_14default_configENS1_25partition_config_selectorILNS1_17partition_subalgoE6EsNS0_10empty_typeEbEEZZNS1_14partition_implILS5_6ELb0ES3_mN6thrust23THRUST_200600_302600_NS6detail15normal_iteratorINSA_10device_ptrIsEEEEPS6_SG_NS0_5tupleIJSF_S6_EEENSH_IJSG_SG_EEES6_PlJNSB_9not_fun_tI7is_evenIsEEEEEE10hipError_tPvRmT3_T4_T5_T6_T7_T9_mT8_P12ihipStream_tbDpT10_ENKUlT_T0_E_clISt17integral_constantIbLb1EES17_IbLb0EEEEDaS13_S14_EUlS13_E_NS1_11comp_targetILNS1_3genE4ELNS1_11target_archE910ELNS1_3gpuE8ELNS1_3repE0EEENS1_30default_config_static_selectorELNS0_4arch9wavefront6targetE0EEEvT1_.uses_flat_scratch, 0
	.set _ZN7rocprim17ROCPRIM_400000_NS6detail17trampoline_kernelINS0_14default_configENS1_25partition_config_selectorILNS1_17partition_subalgoE6EsNS0_10empty_typeEbEEZZNS1_14partition_implILS5_6ELb0ES3_mN6thrust23THRUST_200600_302600_NS6detail15normal_iteratorINSA_10device_ptrIsEEEEPS6_SG_NS0_5tupleIJSF_S6_EEENSH_IJSG_SG_EEES6_PlJNSB_9not_fun_tI7is_evenIsEEEEEE10hipError_tPvRmT3_T4_T5_T6_T7_T9_mT8_P12ihipStream_tbDpT10_ENKUlT_T0_E_clISt17integral_constantIbLb1EES17_IbLb0EEEEDaS13_S14_EUlS13_E_NS1_11comp_targetILNS1_3genE4ELNS1_11target_archE910ELNS1_3gpuE8ELNS1_3repE0EEENS1_30default_config_static_selectorELNS0_4arch9wavefront6targetE0EEEvT1_.has_dyn_sized_stack, 0
	.set _ZN7rocprim17ROCPRIM_400000_NS6detail17trampoline_kernelINS0_14default_configENS1_25partition_config_selectorILNS1_17partition_subalgoE6EsNS0_10empty_typeEbEEZZNS1_14partition_implILS5_6ELb0ES3_mN6thrust23THRUST_200600_302600_NS6detail15normal_iteratorINSA_10device_ptrIsEEEEPS6_SG_NS0_5tupleIJSF_S6_EEENSH_IJSG_SG_EEES6_PlJNSB_9not_fun_tI7is_evenIsEEEEEE10hipError_tPvRmT3_T4_T5_T6_T7_T9_mT8_P12ihipStream_tbDpT10_ENKUlT_T0_E_clISt17integral_constantIbLb1EES17_IbLb0EEEEDaS13_S14_EUlS13_E_NS1_11comp_targetILNS1_3genE4ELNS1_11target_archE910ELNS1_3gpuE8ELNS1_3repE0EEENS1_30default_config_static_selectorELNS0_4arch9wavefront6targetE0EEEvT1_.has_recursion, 0
	.set _ZN7rocprim17ROCPRIM_400000_NS6detail17trampoline_kernelINS0_14default_configENS1_25partition_config_selectorILNS1_17partition_subalgoE6EsNS0_10empty_typeEbEEZZNS1_14partition_implILS5_6ELb0ES3_mN6thrust23THRUST_200600_302600_NS6detail15normal_iteratorINSA_10device_ptrIsEEEEPS6_SG_NS0_5tupleIJSF_S6_EEENSH_IJSG_SG_EEES6_PlJNSB_9not_fun_tI7is_evenIsEEEEEE10hipError_tPvRmT3_T4_T5_T6_T7_T9_mT8_P12ihipStream_tbDpT10_ENKUlT_T0_E_clISt17integral_constantIbLb1EES17_IbLb0EEEEDaS13_S14_EUlS13_E_NS1_11comp_targetILNS1_3genE4ELNS1_11target_archE910ELNS1_3gpuE8ELNS1_3repE0EEENS1_30default_config_static_selectorELNS0_4arch9wavefront6targetE0EEEvT1_.has_indirect_call, 0
	.section	.AMDGPU.csdata,"",@progbits
; Kernel info:
; codeLenInByte = 0
; TotalNumSgprs: 0
; NumVgprs: 0
; ScratchSize: 0
; MemoryBound: 0
; FloatMode: 240
; IeeeMode: 1
; LDSByteSize: 0 bytes/workgroup (compile time only)
; SGPRBlocks: 0
; VGPRBlocks: 0
; NumSGPRsForWavesPerEU: 1
; NumVGPRsForWavesPerEU: 1
; Occupancy: 16
; WaveLimiterHint : 0
; COMPUTE_PGM_RSRC2:SCRATCH_EN: 0
; COMPUTE_PGM_RSRC2:USER_SGPR: 2
; COMPUTE_PGM_RSRC2:TRAP_HANDLER: 0
; COMPUTE_PGM_RSRC2:TGID_X_EN: 1
; COMPUTE_PGM_RSRC2:TGID_Y_EN: 0
; COMPUTE_PGM_RSRC2:TGID_Z_EN: 0
; COMPUTE_PGM_RSRC2:TIDIG_COMP_CNT: 0
	.section	.text._ZN7rocprim17ROCPRIM_400000_NS6detail17trampoline_kernelINS0_14default_configENS1_25partition_config_selectorILNS1_17partition_subalgoE6EsNS0_10empty_typeEbEEZZNS1_14partition_implILS5_6ELb0ES3_mN6thrust23THRUST_200600_302600_NS6detail15normal_iteratorINSA_10device_ptrIsEEEEPS6_SG_NS0_5tupleIJSF_S6_EEENSH_IJSG_SG_EEES6_PlJNSB_9not_fun_tI7is_evenIsEEEEEE10hipError_tPvRmT3_T4_T5_T6_T7_T9_mT8_P12ihipStream_tbDpT10_ENKUlT_T0_E_clISt17integral_constantIbLb1EES17_IbLb0EEEEDaS13_S14_EUlS13_E_NS1_11comp_targetILNS1_3genE3ELNS1_11target_archE908ELNS1_3gpuE7ELNS1_3repE0EEENS1_30default_config_static_selectorELNS0_4arch9wavefront6targetE0EEEvT1_,"axG",@progbits,_ZN7rocprim17ROCPRIM_400000_NS6detail17trampoline_kernelINS0_14default_configENS1_25partition_config_selectorILNS1_17partition_subalgoE6EsNS0_10empty_typeEbEEZZNS1_14partition_implILS5_6ELb0ES3_mN6thrust23THRUST_200600_302600_NS6detail15normal_iteratorINSA_10device_ptrIsEEEEPS6_SG_NS0_5tupleIJSF_S6_EEENSH_IJSG_SG_EEES6_PlJNSB_9not_fun_tI7is_evenIsEEEEEE10hipError_tPvRmT3_T4_T5_T6_T7_T9_mT8_P12ihipStream_tbDpT10_ENKUlT_T0_E_clISt17integral_constantIbLb1EES17_IbLb0EEEEDaS13_S14_EUlS13_E_NS1_11comp_targetILNS1_3genE3ELNS1_11target_archE908ELNS1_3gpuE7ELNS1_3repE0EEENS1_30default_config_static_selectorELNS0_4arch9wavefront6targetE0EEEvT1_,comdat
	.protected	_ZN7rocprim17ROCPRIM_400000_NS6detail17trampoline_kernelINS0_14default_configENS1_25partition_config_selectorILNS1_17partition_subalgoE6EsNS0_10empty_typeEbEEZZNS1_14partition_implILS5_6ELb0ES3_mN6thrust23THRUST_200600_302600_NS6detail15normal_iteratorINSA_10device_ptrIsEEEEPS6_SG_NS0_5tupleIJSF_S6_EEENSH_IJSG_SG_EEES6_PlJNSB_9not_fun_tI7is_evenIsEEEEEE10hipError_tPvRmT3_T4_T5_T6_T7_T9_mT8_P12ihipStream_tbDpT10_ENKUlT_T0_E_clISt17integral_constantIbLb1EES17_IbLb0EEEEDaS13_S14_EUlS13_E_NS1_11comp_targetILNS1_3genE3ELNS1_11target_archE908ELNS1_3gpuE7ELNS1_3repE0EEENS1_30default_config_static_selectorELNS0_4arch9wavefront6targetE0EEEvT1_ ; -- Begin function _ZN7rocprim17ROCPRIM_400000_NS6detail17trampoline_kernelINS0_14default_configENS1_25partition_config_selectorILNS1_17partition_subalgoE6EsNS0_10empty_typeEbEEZZNS1_14partition_implILS5_6ELb0ES3_mN6thrust23THRUST_200600_302600_NS6detail15normal_iteratorINSA_10device_ptrIsEEEEPS6_SG_NS0_5tupleIJSF_S6_EEENSH_IJSG_SG_EEES6_PlJNSB_9not_fun_tI7is_evenIsEEEEEE10hipError_tPvRmT3_T4_T5_T6_T7_T9_mT8_P12ihipStream_tbDpT10_ENKUlT_T0_E_clISt17integral_constantIbLb1EES17_IbLb0EEEEDaS13_S14_EUlS13_E_NS1_11comp_targetILNS1_3genE3ELNS1_11target_archE908ELNS1_3gpuE7ELNS1_3repE0EEENS1_30default_config_static_selectorELNS0_4arch9wavefront6targetE0EEEvT1_
	.globl	_ZN7rocprim17ROCPRIM_400000_NS6detail17trampoline_kernelINS0_14default_configENS1_25partition_config_selectorILNS1_17partition_subalgoE6EsNS0_10empty_typeEbEEZZNS1_14partition_implILS5_6ELb0ES3_mN6thrust23THRUST_200600_302600_NS6detail15normal_iteratorINSA_10device_ptrIsEEEEPS6_SG_NS0_5tupleIJSF_S6_EEENSH_IJSG_SG_EEES6_PlJNSB_9not_fun_tI7is_evenIsEEEEEE10hipError_tPvRmT3_T4_T5_T6_T7_T9_mT8_P12ihipStream_tbDpT10_ENKUlT_T0_E_clISt17integral_constantIbLb1EES17_IbLb0EEEEDaS13_S14_EUlS13_E_NS1_11comp_targetILNS1_3genE3ELNS1_11target_archE908ELNS1_3gpuE7ELNS1_3repE0EEENS1_30default_config_static_selectorELNS0_4arch9wavefront6targetE0EEEvT1_
	.p2align	8
	.type	_ZN7rocprim17ROCPRIM_400000_NS6detail17trampoline_kernelINS0_14default_configENS1_25partition_config_selectorILNS1_17partition_subalgoE6EsNS0_10empty_typeEbEEZZNS1_14partition_implILS5_6ELb0ES3_mN6thrust23THRUST_200600_302600_NS6detail15normal_iteratorINSA_10device_ptrIsEEEEPS6_SG_NS0_5tupleIJSF_S6_EEENSH_IJSG_SG_EEES6_PlJNSB_9not_fun_tI7is_evenIsEEEEEE10hipError_tPvRmT3_T4_T5_T6_T7_T9_mT8_P12ihipStream_tbDpT10_ENKUlT_T0_E_clISt17integral_constantIbLb1EES17_IbLb0EEEEDaS13_S14_EUlS13_E_NS1_11comp_targetILNS1_3genE3ELNS1_11target_archE908ELNS1_3gpuE7ELNS1_3repE0EEENS1_30default_config_static_selectorELNS0_4arch9wavefront6targetE0EEEvT1_,@function
_ZN7rocprim17ROCPRIM_400000_NS6detail17trampoline_kernelINS0_14default_configENS1_25partition_config_selectorILNS1_17partition_subalgoE6EsNS0_10empty_typeEbEEZZNS1_14partition_implILS5_6ELb0ES3_mN6thrust23THRUST_200600_302600_NS6detail15normal_iteratorINSA_10device_ptrIsEEEEPS6_SG_NS0_5tupleIJSF_S6_EEENSH_IJSG_SG_EEES6_PlJNSB_9not_fun_tI7is_evenIsEEEEEE10hipError_tPvRmT3_T4_T5_T6_T7_T9_mT8_P12ihipStream_tbDpT10_ENKUlT_T0_E_clISt17integral_constantIbLb1EES17_IbLb0EEEEDaS13_S14_EUlS13_E_NS1_11comp_targetILNS1_3genE3ELNS1_11target_archE908ELNS1_3gpuE7ELNS1_3repE0EEENS1_30default_config_static_selectorELNS0_4arch9wavefront6targetE0EEEvT1_: ; @_ZN7rocprim17ROCPRIM_400000_NS6detail17trampoline_kernelINS0_14default_configENS1_25partition_config_selectorILNS1_17partition_subalgoE6EsNS0_10empty_typeEbEEZZNS1_14partition_implILS5_6ELb0ES3_mN6thrust23THRUST_200600_302600_NS6detail15normal_iteratorINSA_10device_ptrIsEEEEPS6_SG_NS0_5tupleIJSF_S6_EEENSH_IJSG_SG_EEES6_PlJNSB_9not_fun_tI7is_evenIsEEEEEE10hipError_tPvRmT3_T4_T5_T6_T7_T9_mT8_P12ihipStream_tbDpT10_ENKUlT_T0_E_clISt17integral_constantIbLb1EES17_IbLb0EEEEDaS13_S14_EUlS13_E_NS1_11comp_targetILNS1_3genE3ELNS1_11target_archE908ELNS1_3gpuE7ELNS1_3repE0EEENS1_30default_config_static_selectorELNS0_4arch9wavefront6targetE0EEEvT1_
; %bb.0:
	.section	.rodata,"a",@progbits
	.p2align	6, 0x0
	.amdhsa_kernel _ZN7rocprim17ROCPRIM_400000_NS6detail17trampoline_kernelINS0_14default_configENS1_25partition_config_selectorILNS1_17partition_subalgoE6EsNS0_10empty_typeEbEEZZNS1_14partition_implILS5_6ELb0ES3_mN6thrust23THRUST_200600_302600_NS6detail15normal_iteratorINSA_10device_ptrIsEEEEPS6_SG_NS0_5tupleIJSF_S6_EEENSH_IJSG_SG_EEES6_PlJNSB_9not_fun_tI7is_evenIsEEEEEE10hipError_tPvRmT3_T4_T5_T6_T7_T9_mT8_P12ihipStream_tbDpT10_ENKUlT_T0_E_clISt17integral_constantIbLb1EES17_IbLb0EEEEDaS13_S14_EUlS13_E_NS1_11comp_targetILNS1_3genE3ELNS1_11target_archE908ELNS1_3gpuE7ELNS1_3repE0EEENS1_30default_config_static_selectorELNS0_4arch9wavefront6targetE0EEEvT1_
		.amdhsa_group_segment_fixed_size 0
		.amdhsa_private_segment_fixed_size 0
		.amdhsa_kernarg_size 112
		.amdhsa_user_sgpr_count 2
		.amdhsa_user_sgpr_dispatch_ptr 0
		.amdhsa_user_sgpr_queue_ptr 0
		.amdhsa_user_sgpr_kernarg_segment_ptr 1
		.amdhsa_user_sgpr_dispatch_id 0
		.amdhsa_user_sgpr_private_segment_size 0
		.amdhsa_wavefront_size32 1
		.amdhsa_uses_dynamic_stack 0
		.amdhsa_enable_private_segment 0
		.amdhsa_system_sgpr_workgroup_id_x 1
		.amdhsa_system_sgpr_workgroup_id_y 0
		.amdhsa_system_sgpr_workgroup_id_z 0
		.amdhsa_system_sgpr_workgroup_info 0
		.amdhsa_system_vgpr_workitem_id 0
		.amdhsa_next_free_vgpr 1
		.amdhsa_next_free_sgpr 1
		.amdhsa_reserve_vcc 0
		.amdhsa_float_round_mode_32 0
		.amdhsa_float_round_mode_16_64 0
		.amdhsa_float_denorm_mode_32 3
		.amdhsa_float_denorm_mode_16_64 3
		.amdhsa_fp16_overflow 0
		.amdhsa_workgroup_processor_mode 1
		.amdhsa_memory_ordered 1
		.amdhsa_forward_progress 1
		.amdhsa_inst_pref_size 0
		.amdhsa_round_robin_scheduling 0
		.amdhsa_exception_fp_ieee_invalid_op 0
		.amdhsa_exception_fp_denorm_src 0
		.amdhsa_exception_fp_ieee_div_zero 0
		.amdhsa_exception_fp_ieee_overflow 0
		.amdhsa_exception_fp_ieee_underflow 0
		.amdhsa_exception_fp_ieee_inexact 0
		.amdhsa_exception_int_div_zero 0
	.end_amdhsa_kernel
	.section	.text._ZN7rocprim17ROCPRIM_400000_NS6detail17trampoline_kernelINS0_14default_configENS1_25partition_config_selectorILNS1_17partition_subalgoE6EsNS0_10empty_typeEbEEZZNS1_14partition_implILS5_6ELb0ES3_mN6thrust23THRUST_200600_302600_NS6detail15normal_iteratorINSA_10device_ptrIsEEEEPS6_SG_NS0_5tupleIJSF_S6_EEENSH_IJSG_SG_EEES6_PlJNSB_9not_fun_tI7is_evenIsEEEEEE10hipError_tPvRmT3_T4_T5_T6_T7_T9_mT8_P12ihipStream_tbDpT10_ENKUlT_T0_E_clISt17integral_constantIbLb1EES17_IbLb0EEEEDaS13_S14_EUlS13_E_NS1_11comp_targetILNS1_3genE3ELNS1_11target_archE908ELNS1_3gpuE7ELNS1_3repE0EEENS1_30default_config_static_selectorELNS0_4arch9wavefront6targetE0EEEvT1_,"axG",@progbits,_ZN7rocprim17ROCPRIM_400000_NS6detail17trampoline_kernelINS0_14default_configENS1_25partition_config_selectorILNS1_17partition_subalgoE6EsNS0_10empty_typeEbEEZZNS1_14partition_implILS5_6ELb0ES3_mN6thrust23THRUST_200600_302600_NS6detail15normal_iteratorINSA_10device_ptrIsEEEEPS6_SG_NS0_5tupleIJSF_S6_EEENSH_IJSG_SG_EEES6_PlJNSB_9not_fun_tI7is_evenIsEEEEEE10hipError_tPvRmT3_T4_T5_T6_T7_T9_mT8_P12ihipStream_tbDpT10_ENKUlT_T0_E_clISt17integral_constantIbLb1EES17_IbLb0EEEEDaS13_S14_EUlS13_E_NS1_11comp_targetILNS1_3genE3ELNS1_11target_archE908ELNS1_3gpuE7ELNS1_3repE0EEENS1_30default_config_static_selectorELNS0_4arch9wavefront6targetE0EEEvT1_,comdat
.Lfunc_end776:
	.size	_ZN7rocprim17ROCPRIM_400000_NS6detail17trampoline_kernelINS0_14default_configENS1_25partition_config_selectorILNS1_17partition_subalgoE6EsNS0_10empty_typeEbEEZZNS1_14partition_implILS5_6ELb0ES3_mN6thrust23THRUST_200600_302600_NS6detail15normal_iteratorINSA_10device_ptrIsEEEEPS6_SG_NS0_5tupleIJSF_S6_EEENSH_IJSG_SG_EEES6_PlJNSB_9not_fun_tI7is_evenIsEEEEEE10hipError_tPvRmT3_T4_T5_T6_T7_T9_mT8_P12ihipStream_tbDpT10_ENKUlT_T0_E_clISt17integral_constantIbLb1EES17_IbLb0EEEEDaS13_S14_EUlS13_E_NS1_11comp_targetILNS1_3genE3ELNS1_11target_archE908ELNS1_3gpuE7ELNS1_3repE0EEENS1_30default_config_static_selectorELNS0_4arch9wavefront6targetE0EEEvT1_, .Lfunc_end776-_ZN7rocprim17ROCPRIM_400000_NS6detail17trampoline_kernelINS0_14default_configENS1_25partition_config_selectorILNS1_17partition_subalgoE6EsNS0_10empty_typeEbEEZZNS1_14partition_implILS5_6ELb0ES3_mN6thrust23THRUST_200600_302600_NS6detail15normal_iteratorINSA_10device_ptrIsEEEEPS6_SG_NS0_5tupleIJSF_S6_EEENSH_IJSG_SG_EEES6_PlJNSB_9not_fun_tI7is_evenIsEEEEEE10hipError_tPvRmT3_T4_T5_T6_T7_T9_mT8_P12ihipStream_tbDpT10_ENKUlT_T0_E_clISt17integral_constantIbLb1EES17_IbLb0EEEEDaS13_S14_EUlS13_E_NS1_11comp_targetILNS1_3genE3ELNS1_11target_archE908ELNS1_3gpuE7ELNS1_3repE0EEENS1_30default_config_static_selectorELNS0_4arch9wavefront6targetE0EEEvT1_
                                        ; -- End function
	.set _ZN7rocprim17ROCPRIM_400000_NS6detail17trampoline_kernelINS0_14default_configENS1_25partition_config_selectorILNS1_17partition_subalgoE6EsNS0_10empty_typeEbEEZZNS1_14partition_implILS5_6ELb0ES3_mN6thrust23THRUST_200600_302600_NS6detail15normal_iteratorINSA_10device_ptrIsEEEEPS6_SG_NS0_5tupleIJSF_S6_EEENSH_IJSG_SG_EEES6_PlJNSB_9not_fun_tI7is_evenIsEEEEEE10hipError_tPvRmT3_T4_T5_T6_T7_T9_mT8_P12ihipStream_tbDpT10_ENKUlT_T0_E_clISt17integral_constantIbLb1EES17_IbLb0EEEEDaS13_S14_EUlS13_E_NS1_11comp_targetILNS1_3genE3ELNS1_11target_archE908ELNS1_3gpuE7ELNS1_3repE0EEENS1_30default_config_static_selectorELNS0_4arch9wavefront6targetE0EEEvT1_.num_vgpr, 0
	.set _ZN7rocprim17ROCPRIM_400000_NS6detail17trampoline_kernelINS0_14default_configENS1_25partition_config_selectorILNS1_17partition_subalgoE6EsNS0_10empty_typeEbEEZZNS1_14partition_implILS5_6ELb0ES3_mN6thrust23THRUST_200600_302600_NS6detail15normal_iteratorINSA_10device_ptrIsEEEEPS6_SG_NS0_5tupleIJSF_S6_EEENSH_IJSG_SG_EEES6_PlJNSB_9not_fun_tI7is_evenIsEEEEEE10hipError_tPvRmT3_T4_T5_T6_T7_T9_mT8_P12ihipStream_tbDpT10_ENKUlT_T0_E_clISt17integral_constantIbLb1EES17_IbLb0EEEEDaS13_S14_EUlS13_E_NS1_11comp_targetILNS1_3genE3ELNS1_11target_archE908ELNS1_3gpuE7ELNS1_3repE0EEENS1_30default_config_static_selectorELNS0_4arch9wavefront6targetE0EEEvT1_.num_agpr, 0
	.set _ZN7rocprim17ROCPRIM_400000_NS6detail17trampoline_kernelINS0_14default_configENS1_25partition_config_selectorILNS1_17partition_subalgoE6EsNS0_10empty_typeEbEEZZNS1_14partition_implILS5_6ELb0ES3_mN6thrust23THRUST_200600_302600_NS6detail15normal_iteratorINSA_10device_ptrIsEEEEPS6_SG_NS0_5tupleIJSF_S6_EEENSH_IJSG_SG_EEES6_PlJNSB_9not_fun_tI7is_evenIsEEEEEE10hipError_tPvRmT3_T4_T5_T6_T7_T9_mT8_P12ihipStream_tbDpT10_ENKUlT_T0_E_clISt17integral_constantIbLb1EES17_IbLb0EEEEDaS13_S14_EUlS13_E_NS1_11comp_targetILNS1_3genE3ELNS1_11target_archE908ELNS1_3gpuE7ELNS1_3repE0EEENS1_30default_config_static_selectorELNS0_4arch9wavefront6targetE0EEEvT1_.numbered_sgpr, 0
	.set _ZN7rocprim17ROCPRIM_400000_NS6detail17trampoline_kernelINS0_14default_configENS1_25partition_config_selectorILNS1_17partition_subalgoE6EsNS0_10empty_typeEbEEZZNS1_14partition_implILS5_6ELb0ES3_mN6thrust23THRUST_200600_302600_NS6detail15normal_iteratorINSA_10device_ptrIsEEEEPS6_SG_NS0_5tupleIJSF_S6_EEENSH_IJSG_SG_EEES6_PlJNSB_9not_fun_tI7is_evenIsEEEEEE10hipError_tPvRmT3_T4_T5_T6_T7_T9_mT8_P12ihipStream_tbDpT10_ENKUlT_T0_E_clISt17integral_constantIbLb1EES17_IbLb0EEEEDaS13_S14_EUlS13_E_NS1_11comp_targetILNS1_3genE3ELNS1_11target_archE908ELNS1_3gpuE7ELNS1_3repE0EEENS1_30default_config_static_selectorELNS0_4arch9wavefront6targetE0EEEvT1_.num_named_barrier, 0
	.set _ZN7rocprim17ROCPRIM_400000_NS6detail17trampoline_kernelINS0_14default_configENS1_25partition_config_selectorILNS1_17partition_subalgoE6EsNS0_10empty_typeEbEEZZNS1_14partition_implILS5_6ELb0ES3_mN6thrust23THRUST_200600_302600_NS6detail15normal_iteratorINSA_10device_ptrIsEEEEPS6_SG_NS0_5tupleIJSF_S6_EEENSH_IJSG_SG_EEES6_PlJNSB_9not_fun_tI7is_evenIsEEEEEE10hipError_tPvRmT3_T4_T5_T6_T7_T9_mT8_P12ihipStream_tbDpT10_ENKUlT_T0_E_clISt17integral_constantIbLb1EES17_IbLb0EEEEDaS13_S14_EUlS13_E_NS1_11comp_targetILNS1_3genE3ELNS1_11target_archE908ELNS1_3gpuE7ELNS1_3repE0EEENS1_30default_config_static_selectorELNS0_4arch9wavefront6targetE0EEEvT1_.private_seg_size, 0
	.set _ZN7rocprim17ROCPRIM_400000_NS6detail17trampoline_kernelINS0_14default_configENS1_25partition_config_selectorILNS1_17partition_subalgoE6EsNS0_10empty_typeEbEEZZNS1_14partition_implILS5_6ELb0ES3_mN6thrust23THRUST_200600_302600_NS6detail15normal_iteratorINSA_10device_ptrIsEEEEPS6_SG_NS0_5tupleIJSF_S6_EEENSH_IJSG_SG_EEES6_PlJNSB_9not_fun_tI7is_evenIsEEEEEE10hipError_tPvRmT3_T4_T5_T6_T7_T9_mT8_P12ihipStream_tbDpT10_ENKUlT_T0_E_clISt17integral_constantIbLb1EES17_IbLb0EEEEDaS13_S14_EUlS13_E_NS1_11comp_targetILNS1_3genE3ELNS1_11target_archE908ELNS1_3gpuE7ELNS1_3repE0EEENS1_30default_config_static_selectorELNS0_4arch9wavefront6targetE0EEEvT1_.uses_vcc, 0
	.set _ZN7rocprim17ROCPRIM_400000_NS6detail17trampoline_kernelINS0_14default_configENS1_25partition_config_selectorILNS1_17partition_subalgoE6EsNS0_10empty_typeEbEEZZNS1_14partition_implILS5_6ELb0ES3_mN6thrust23THRUST_200600_302600_NS6detail15normal_iteratorINSA_10device_ptrIsEEEEPS6_SG_NS0_5tupleIJSF_S6_EEENSH_IJSG_SG_EEES6_PlJNSB_9not_fun_tI7is_evenIsEEEEEE10hipError_tPvRmT3_T4_T5_T6_T7_T9_mT8_P12ihipStream_tbDpT10_ENKUlT_T0_E_clISt17integral_constantIbLb1EES17_IbLb0EEEEDaS13_S14_EUlS13_E_NS1_11comp_targetILNS1_3genE3ELNS1_11target_archE908ELNS1_3gpuE7ELNS1_3repE0EEENS1_30default_config_static_selectorELNS0_4arch9wavefront6targetE0EEEvT1_.uses_flat_scratch, 0
	.set _ZN7rocprim17ROCPRIM_400000_NS6detail17trampoline_kernelINS0_14default_configENS1_25partition_config_selectorILNS1_17partition_subalgoE6EsNS0_10empty_typeEbEEZZNS1_14partition_implILS5_6ELb0ES3_mN6thrust23THRUST_200600_302600_NS6detail15normal_iteratorINSA_10device_ptrIsEEEEPS6_SG_NS0_5tupleIJSF_S6_EEENSH_IJSG_SG_EEES6_PlJNSB_9not_fun_tI7is_evenIsEEEEEE10hipError_tPvRmT3_T4_T5_T6_T7_T9_mT8_P12ihipStream_tbDpT10_ENKUlT_T0_E_clISt17integral_constantIbLb1EES17_IbLb0EEEEDaS13_S14_EUlS13_E_NS1_11comp_targetILNS1_3genE3ELNS1_11target_archE908ELNS1_3gpuE7ELNS1_3repE0EEENS1_30default_config_static_selectorELNS0_4arch9wavefront6targetE0EEEvT1_.has_dyn_sized_stack, 0
	.set _ZN7rocprim17ROCPRIM_400000_NS6detail17trampoline_kernelINS0_14default_configENS1_25partition_config_selectorILNS1_17partition_subalgoE6EsNS0_10empty_typeEbEEZZNS1_14partition_implILS5_6ELb0ES3_mN6thrust23THRUST_200600_302600_NS6detail15normal_iteratorINSA_10device_ptrIsEEEEPS6_SG_NS0_5tupleIJSF_S6_EEENSH_IJSG_SG_EEES6_PlJNSB_9not_fun_tI7is_evenIsEEEEEE10hipError_tPvRmT3_T4_T5_T6_T7_T9_mT8_P12ihipStream_tbDpT10_ENKUlT_T0_E_clISt17integral_constantIbLb1EES17_IbLb0EEEEDaS13_S14_EUlS13_E_NS1_11comp_targetILNS1_3genE3ELNS1_11target_archE908ELNS1_3gpuE7ELNS1_3repE0EEENS1_30default_config_static_selectorELNS0_4arch9wavefront6targetE0EEEvT1_.has_recursion, 0
	.set _ZN7rocprim17ROCPRIM_400000_NS6detail17trampoline_kernelINS0_14default_configENS1_25partition_config_selectorILNS1_17partition_subalgoE6EsNS0_10empty_typeEbEEZZNS1_14partition_implILS5_6ELb0ES3_mN6thrust23THRUST_200600_302600_NS6detail15normal_iteratorINSA_10device_ptrIsEEEEPS6_SG_NS0_5tupleIJSF_S6_EEENSH_IJSG_SG_EEES6_PlJNSB_9not_fun_tI7is_evenIsEEEEEE10hipError_tPvRmT3_T4_T5_T6_T7_T9_mT8_P12ihipStream_tbDpT10_ENKUlT_T0_E_clISt17integral_constantIbLb1EES17_IbLb0EEEEDaS13_S14_EUlS13_E_NS1_11comp_targetILNS1_3genE3ELNS1_11target_archE908ELNS1_3gpuE7ELNS1_3repE0EEENS1_30default_config_static_selectorELNS0_4arch9wavefront6targetE0EEEvT1_.has_indirect_call, 0
	.section	.AMDGPU.csdata,"",@progbits
; Kernel info:
; codeLenInByte = 0
; TotalNumSgprs: 0
; NumVgprs: 0
; ScratchSize: 0
; MemoryBound: 0
; FloatMode: 240
; IeeeMode: 1
; LDSByteSize: 0 bytes/workgroup (compile time only)
; SGPRBlocks: 0
; VGPRBlocks: 0
; NumSGPRsForWavesPerEU: 1
; NumVGPRsForWavesPerEU: 1
; Occupancy: 16
; WaveLimiterHint : 0
; COMPUTE_PGM_RSRC2:SCRATCH_EN: 0
; COMPUTE_PGM_RSRC2:USER_SGPR: 2
; COMPUTE_PGM_RSRC2:TRAP_HANDLER: 0
; COMPUTE_PGM_RSRC2:TGID_X_EN: 1
; COMPUTE_PGM_RSRC2:TGID_Y_EN: 0
; COMPUTE_PGM_RSRC2:TGID_Z_EN: 0
; COMPUTE_PGM_RSRC2:TIDIG_COMP_CNT: 0
	.section	.text._ZN7rocprim17ROCPRIM_400000_NS6detail17trampoline_kernelINS0_14default_configENS1_25partition_config_selectorILNS1_17partition_subalgoE6EsNS0_10empty_typeEbEEZZNS1_14partition_implILS5_6ELb0ES3_mN6thrust23THRUST_200600_302600_NS6detail15normal_iteratorINSA_10device_ptrIsEEEEPS6_SG_NS0_5tupleIJSF_S6_EEENSH_IJSG_SG_EEES6_PlJNSB_9not_fun_tI7is_evenIsEEEEEE10hipError_tPvRmT3_T4_T5_T6_T7_T9_mT8_P12ihipStream_tbDpT10_ENKUlT_T0_E_clISt17integral_constantIbLb1EES17_IbLb0EEEEDaS13_S14_EUlS13_E_NS1_11comp_targetILNS1_3genE2ELNS1_11target_archE906ELNS1_3gpuE6ELNS1_3repE0EEENS1_30default_config_static_selectorELNS0_4arch9wavefront6targetE0EEEvT1_,"axG",@progbits,_ZN7rocprim17ROCPRIM_400000_NS6detail17trampoline_kernelINS0_14default_configENS1_25partition_config_selectorILNS1_17partition_subalgoE6EsNS0_10empty_typeEbEEZZNS1_14partition_implILS5_6ELb0ES3_mN6thrust23THRUST_200600_302600_NS6detail15normal_iteratorINSA_10device_ptrIsEEEEPS6_SG_NS0_5tupleIJSF_S6_EEENSH_IJSG_SG_EEES6_PlJNSB_9not_fun_tI7is_evenIsEEEEEE10hipError_tPvRmT3_T4_T5_T6_T7_T9_mT8_P12ihipStream_tbDpT10_ENKUlT_T0_E_clISt17integral_constantIbLb1EES17_IbLb0EEEEDaS13_S14_EUlS13_E_NS1_11comp_targetILNS1_3genE2ELNS1_11target_archE906ELNS1_3gpuE6ELNS1_3repE0EEENS1_30default_config_static_selectorELNS0_4arch9wavefront6targetE0EEEvT1_,comdat
	.protected	_ZN7rocprim17ROCPRIM_400000_NS6detail17trampoline_kernelINS0_14default_configENS1_25partition_config_selectorILNS1_17partition_subalgoE6EsNS0_10empty_typeEbEEZZNS1_14partition_implILS5_6ELb0ES3_mN6thrust23THRUST_200600_302600_NS6detail15normal_iteratorINSA_10device_ptrIsEEEEPS6_SG_NS0_5tupleIJSF_S6_EEENSH_IJSG_SG_EEES6_PlJNSB_9not_fun_tI7is_evenIsEEEEEE10hipError_tPvRmT3_T4_T5_T6_T7_T9_mT8_P12ihipStream_tbDpT10_ENKUlT_T0_E_clISt17integral_constantIbLb1EES17_IbLb0EEEEDaS13_S14_EUlS13_E_NS1_11comp_targetILNS1_3genE2ELNS1_11target_archE906ELNS1_3gpuE6ELNS1_3repE0EEENS1_30default_config_static_selectorELNS0_4arch9wavefront6targetE0EEEvT1_ ; -- Begin function _ZN7rocprim17ROCPRIM_400000_NS6detail17trampoline_kernelINS0_14default_configENS1_25partition_config_selectorILNS1_17partition_subalgoE6EsNS0_10empty_typeEbEEZZNS1_14partition_implILS5_6ELb0ES3_mN6thrust23THRUST_200600_302600_NS6detail15normal_iteratorINSA_10device_ptrIsEEEEPS6_SG_NS0_5tupleIJSF_S6_EEENSH_IJSG_SG_EEES6_PlJNSB_9not_fun_tI7is_evenIsEEEEEE10hipError_tPvRmT3_T4_T5_T6_T7_T9_mT8_P12ihipStream_tbDpT10_ENKUlT_T0_E_clISt17integral_constantIbLb1EES17_IbLb0EEEEDaS13_S14_EUlS13_E_NS1_11comp_targetILNS1_3genE2ELNS1_11target_archE906ELNS1_3gpuE6ELNS1_3repE0EEENS1_30default_config_static_selectorELNS0_4arch9wavefront6targetE0EEEvT1_
	.globl	_ZN7rocprim17ROCPRIM_400000_NS6detail17trampoline_kernelINS0_14default_configENS1_25partition_config_selectorILNS1_17partition_subalgoE6EsNS0_10empty_typeEbEEZZNS1_14partition_implILS5_6ELb0ES3_mN6thrust23THRUST_200600_302600_NS6detail15normal_iteratorINSA_10device_ptrIsEEEEPS6_SG_NS0_5tupleIJSF_S6_EEENSH_IJSG_SG_EEES6_PlJNSB_9not_fun_tI7is_evenIsEEEEEE10hipError_tPvRmT3_T4_T5_T6_T7_T9_mT8_P12ihipStream_tbDpT10_ENKUlT_T0_E_clISt17integral_constantIbLb1EES17_IbLb0EEEEDaS13_S14_EUlS13_E_NS1_11comp_targetILNS1_3genE2ELNS1_11target_archE906ELNS1_3gpuE6ELNS1_3repE0EEENS1_30default_config_static_selectorELNS0_4arch9wavefront6targetE0EEEvT1_
	.p2align	8
	.type	_ZN7rocprim17ROCPRIM_400000_NS6detail17trampoline_kernelINS0_14default_configENS1_25partition_config_selectorILNS1_17partition_subalgoE6EsNS0_10empty_typeEbEEZZNS1_14partition_implILS5_6ELb0ES3_mN6thrust23THRUST_200600_302600_NS6detail15normal_iteratorINSA_10device_ptrIsEEEEPS6_SG_NS0_5tupleIJSF_S6_EEENSH_IJSG_SG_EEES6_PlJNSB_9not_fun_tI7is_evenIsEEEEEE10hipError_tPvRmT3_T4_T5_T6_T7_T9_mT8_P12ihipStream_tbDpT10_ENKUlT_T0_E_clISt17integral_constantIbLb1EES17_IbLb0EEEEDaS13_S14_EUlS13_E_NS1_11comp_targetILNS1_3genE2ELNS1_11target_archE906ELNS1_3gpuE6ELNS1_3repE0EEENS1_30default_config_static_selectorELNS0_4arch9wavefront6targetE0EEEvT1_,@function
_ZN7rocprim17ROCPRIM_400000_NS6detail17trampoline_kernelINS0_14default_configENS1_25partition_config_selectorILNS1_17partition_subalgoE6EsNS0_10empty_typeEbEEZZNS1_14partition_implILS5_6ELb0ES3_mN6thrust23THRUST_200600_302600_NS6detail15normal_iteratorINSA_10device_ptrIsEEEEPS6_SG_NS0_5tupleIJSF_S6_EEENSH_IJSG_SG_EEES6_PlJNSB_9not_fun_tI7is_evenIsEEEEEE10hipError_tPvRmT3_T4_T5_T6_T7_T9_mT8_P12ihipStream_tbDpT10_ENKUlT_T0_E_clISt17integral_constantIbLb1EES17_IbLb0EEEEDaS13_S14_EUlS13_E_NS1_11comp_targetILNS1_3genE2ELNS1_11target_archE906ELNS1_3gpuE6ELNS1_3repE0EEENS1_30default_config_static_selectorELNS0_4arch9wavefront6targetE0EEEvT1_: ; @_ZN7rocprim17ROCPRIM_400000_NS6detail17trampoline_kernelINS0_14default_configENS1_25partition_config_selectorILNS1_17partition_subalgoE6EsNS0_10empty_typeEbEEZZNS1_14partition_implILS5_6ELb0ES3_mN6thrust23THRUST_200600_302600_NS6detail15normal_iteratorINSA_10device_ptrIsEEEEPS6_SG_NS0_5tupleIJSF_S6_EEENSH_IJSG_SG_EEES6_PlJNSB_9not_fun_tI7is_evenIsEEEEEE10hipError_tPvRmT3_T4_T5_T6_T7_T9_mT8_P12ihipStream_tbDpT10_ENKUlT_T0_E_clISt17integral_constantIbLb1EES17_IbLb0EEEEDaS13_S14_EUlS13_E_NS1_11comp_targetILNS1_3genE2ELNS1_11target_archE906ELNS1_3gpuE6ELNS1_3repE0EEENS1_30default_config_static_selectorELNS0_4arch9wavefront6targetE0EEEvT1_
; %bb.0:
	.section	.rodata,"a",@progbits
	.p2align	6, 0x0
	.amdhsa_kernel _ZN7rocprim17ROCPRIM_400000_NS6detail17trampoline_kernelINS0_14default_configENS1_25partition_config_selectorILNS1_17partition_subalgoE6EsNS0_10empty_typeEbEEZZNS1_14partition_implILS5_6ELb0ES3_mN6thrust23THRUST_200600_302600_NS6detail15normal_iteratorINSA_10device_ptrIsEEEEPS6_SG_NS0_5tupleIJSF_S6_EEENSH_IJSG_SG_EEES6_PlJNSB_9not_fun_tI7is_evenIsEEEEEE10hipError_tPvRmT3_T4_T5_T6_T7_T9_mT8_P12ihipStream_tbDpT10_ENKUlT_T0_E_clISt17integral_constantIbLb1EES17_IbLb0EEEEDaS13_S14_EUlS13_E_NS1_11comp_targetILNS1_3genE2ELNS1_11target_archE906ELNS1_3gpuE6ELNS1_3repE0EEENS1_30default_config_static_selectorELNS0_4arch9wavefront6targetE0EEEvT1_
		.amdhsa_group_segment_fixed_size 0
		.amdhsa_private_segment_fixed_size 0
		.amdhsa_kernarg_size 112
		.amdhsa_user_sgpr_count 2
		.amdhsa_user_sgpr_dispatch_ptr 0
		.amdhsa_user_sgpr_queue_ptr 0
		.amdhsa_user_sgpr_kernarg_segment_ptr 1
		.amdhsa_user_sgpr_dispatch_id 0
		.amdhsa_user_sgpr_private_segment_size 0
		.amdhsa_wavefront_size32 1
		.amdhsa_uses_dynamic_stack 0
		.amdhsa_enable_private_segment 0
		.amdhsa_system_sgpr_workgroup_id_x 1
		.amdhsa_system_sgpr_workgroup_id_y 0
		.amdhsa_system_sgpr_workgroup_id_z 0
		.amdhsa_system_sgpr_workgroup_info 0
		.amdhsa_system_vgpr_workitem_id 0
		.amdhsa_next_free_vgpr 1
		.amdhsa_next_free_sgpr 1
		.amdhsa_reserve_vcc 0
		.amdhsa_float_round_mode_32 0
		.amdhsa_float_round_mode_16_64 0
		.amdhsa_float_denorm_mode_32 3
		.amdhsa_float_denorm_mode_16_64 3
		.amdhsa_fp16_overflow 0
		.amdhsa_workgroup_processor_mode 1
		.amdhsa_memory_ordered 1
		.amdhsa_forward_progress 1
		.amdhsa_inst_pref_size 0
		.amdhsa_round_robin_scheduling 0
		.amdhsa_exception_fp_ieee_invalid_op 0
		.amdhsa_exception_fp_denorm_src 0
		.amdhsa_exception_fp_ieee_div_zero 0
		.amdhsa_exception_fp_ieee_overflow 0
		.amdhsa_exception_fp_ieee_underflow 0
		.amdhsa_exception_fp_ieee_inexact 0
		.amdhsa_exception_int_div_zero 0
	.end_amdhsa_kernel
	.section	.text._ZN7rocprim17ROCPRIM_400000_NS6detail17trampoline_kernelINS0_14default_configENS1_25partition_config_selectorILNS1_17partition_subalgoE6EsNS0_10empty_typeEbEEZZNS1_14partition_implILS5_6ELb0ES3_mN6thrust23THRUST_200600_302600_NS6detail15normal_iteratorINSA_10device_ptrIsEEEEPS6_SG_NS0_5tupleIJSF_S6_EEENSH_IJSG_SG_EEES6_PlJNSB_9not_fun_tI7is_evenIsEEEEEE10hipError_tPvRmT3_T4_T5_T6_T7_T9_mT8_P12ihipStream_tbDpT10_ENKUlT_T0_E_clISt17integral_constantIbLb1EES17_IbLb0EEEEDaS13_S14_EUlS13_E_NS1_11comp_targetILNS1_3genE2ELNS1_11target_archE906ELNS1_3gpuE6ELNS1_3repE0EEENS1_30default_config_static_selectorELNS0_4arch9wavefront6targetE0EEEvT1_,"axG",@progbits,_ZN7rocprim17ROCPRIM_400000_NS6detail17trampoline_kernelINS0_14default_configENS1_25partition_config_selectorILNS1_17partition_subalgoE6EsNS0_10empty_typeEbEEZZNS1_14partition_implILS5_6ELb0ES3_mN6thrust23THRUST_200600_302600_NS6detail15normal_iteratorINSA_10device_ptrIsEEEEPS6_SG_NS0_5tupleIJSF_S6_EEENSH_IJSG_SG_EEES6_PlJNSB_9not_fun_tI7is_evenIsEEEEEE10hipError_tPvRmT3_T4_T5_T6_T7_T9_mT8_P12ihipStream_tbDpT10_ENKUlT_T0_E_clISt17integral_constantIbLb1EES17_IbLb0EEEEDaS13_S14_EUlS13_E_NS1_11comp_targetILNS1_3genE2ELNS1_11target_archE906ELNS1_3gpuE6ELNS1_3repE0EEENS1_30default_config_static_selectorELNS0_4arch9wavefront6targetE0EEEvT1_,comdat
.Lfunc_end777:
	.size	_ZN7rocprim17ROCPRIM_400000_NS6detail17trampoline_kernelINS0_14default_configENS1_25partition_config_selectorILNS1_17partition_subalgoE6EsNS0_10empty_typeEbEEZZNS1_14partition_implILS5_6ELb0ES3_mN6thrust23THRUST_200600_302600_NS6detail15normal_iteratorINSA_10device_ptrIsEEEEPS6_SG_NS0_5tupleIJSF_S6_EEENSH_IJSG_SG_EEES6_PlJNSB_9not_fun_tI7is_evenIsEEEEEE10hipError_tPvRmT3_T4_T5_T6_T7_T9_mT8_P12ihipStream_tbDpT10_ENKUlT_T0_E_clISt17integral_constantIbLb1EES17_IbLb0EEEEDaS13_S14_EUlS13_E_NS1_11comp_targetILNS1_3genE2ELNS1_11target_archE906ELNS1_3gpuE6ELNS1_3repE0EEENS1_30default_config_static_selectorELNS0_4arch9wavefront6targetE0EEEvT1_, .Lfunc_end777-_ZN7rocprim17ROCPRIM_400000_NS6detail17trampoline_kernelINS0_14default_configENS1_25partition_config_selectorILNS1_17partition_subalgoE6EsNS0_10empty_typeEbEEZZNS1_14partition_implILS5_6ELb0ES3_mN6thrust23THRUST_200600_302600_NS6detail15normal_iteratorINSA_10device_ptrIsEEEEPS6_SG_NS0_5tupleIJSF_S6_EEENSH_IJSG_SG_EEES6_PlJNSB_9not_fun_tI7is_evenIsEEEEEE10hipError_tPvRmT3_T4_T5_T6_T7_T9_mT8_P12ihipStream_tbDpT10_ENKUlT_T0_E_clISt17integral_constantIbLb1EES17_IbLb0EEEEDaS13_S14_EUlS13_E_NS1_11comp_targetILNS1_3genE2ELNS1_11target_archE906ELNS1_3gpuE6ELNS1_3repE0EEENS1_30default_config_static_selectorELNS0_4arch9wavefront6targetE0EEEvT1_
                                        ; -- End function
	.set _ZN7rocprim17ROCPRIM_400000_NS6detail17trampoline_kernelINS0_14default_configENS1_25partition_config_selectorILNS1_17partition_subalgoE6EsNS0_10empty_typeEbEEZZNS1_14partition_implILS5_6ELb0ES3_mN6thrust23THRUST_200600_302600_NS6detail15normal_iteratorINSA_10device_ptrIsEEEEPS6_SG_NS0_5tupleIJSF_S6_EEENSH_IJSG_SG_EEES6_PlJNSB_9not_fun_tI7is_evenIsEEEEEE10hipError_tPvRmT3_T4_T5_T6_T7_T9_mT8_P12ihipStream_tbDpT10_ENKUlT_T0_E_clISt17integral_constantIbLb1EES17_IbLb0EEEEDaS13_S14_EUlS13_E_NS1_11comp_targetILNS1_3genE2ELNS1_11target_archE906ELNS1_3gpuE6ELNS1_3repE0EEENS1_30default_config_static_selectorELNS0_4arch9wavefront6targetE0EEEvT1_.num_vgpr, 0
	.set _ZN7rocprim17ROCPRIM_400000_NS6detail17trampoline_kernelINS0_14default_configENS1_25partition_config_selectorILNS1_17partition_subalgoE6EsNS0_10empty_typeEbEEZZNS1_14partition_implILS5_6ELb0ES3_mN6thrust23THRUST_200600_302600_NS6detail15normal_iteratorINSA_10device_ptrIsEEEEPS6_SG_NS0_5tupleIJSF_S6_EEENSH_IJSG_SG_EEES6_PlJNSB_9not_fun_tI7is_evenIsEEEEEE10hipError_tPvRmT3_T4_T5_T6_T7_T9_mT8_P12ihipStream_tbDpT10_ENKUlT_T0_E_clISt17integral_constantIbLb1EES17_IbLb0EEEEDaS13_S14_EUlS13_E_NS1_11comp_targetILNS1_3genE2ELNS1_11target_archE906ELNS1_3gpuE6ELNS1_3repE0EEENS1_30default_config_static_selectorELNS0_4arch9wavefront6targetE0EEEvT1_.num_agpr, 0
	.set _ZN7rocprim17ROCPRIM_400000_NS6detail17trampoline_kernelINS0_14default_configENS1_25partition_config_selectorILNS1_17partition_subalgoE6EsNS0_10empty_typeEbEEZZNS1_14partition_implILS5_6ELb0ES3_mN6thrust23THRUST_200600_302600_NS6detail15normal_iteratorINSA_10device_ptrIsEEEEPS6_SG_NS0_5tupleIJSF_S6_EEENSH_IJSG_SG_EEES6_PlJNSB_9not_fun_tI7is_evenIsEEEEEE10hipError_tPvRmT3_T4_T5_T6_T7_T9_mT8_P12ihipStream_tbDpT10_ENKUlT_T0_E_clISt17integral_constantIbLb1EES17_IbLb0EEEEDaS13_S14_EUlS13_E_NS1_11comp_targetILNS1_3genE2ELNS1_11target_archE906ELNS1_3gpuE6ELNS1_3repE0EEENS1_30default_config_static_selectorELNS0_4arch9wavefront6targetE0EEEvT1_.numbered_sgpr, 0
	.set _ZN7rocprim17ROCPRIM_400000_NS6detail17trampoline_kernelINS0_14default_configENS1_25partition_config_selectorILNS1_17partition_subalgoE6EsNS0_10empty_typeEbEEZZNS1_14partition_implILS5_6ELb0ES3_mN6thrust23THRUST_200600_302600_NS6detail15normal_iteratorINSA_10device_ptrIsEEEEPS6_SG_NS0_5tupleIJSF_S6_EEENSH_IJSG_SG_EEES6_PlJNSB_9not_fun_tI7is_evenIsEEEEEE10hipError_tPvRmT3_T4_T5_T6_T7_T9_mT8_P12ihipStream_tbDpT10_ENKUlT_T0_E_clISt17integral_constantIbLb1EES17_IbLb0EEEEDaS13_S14_EUlS13_E_NS1_11comp_targetILNS1_3genE2ELNS1_11target_archE906ELNS1_3gpuE6ELNS1_3repE0EEENS1_30default_config_static_selectorELNS0_4arch9wavefront6targetE0EEEvT1_.num_named_barrier, 0
	.set _ZN7rocprim17ROCPRIM_400000_NS6detail17trampoline_kernelINS0_14default_configENS1_25partition_config_selectorILNS1_17partition_subalgoE6EsNS0_10empty_typeEbEEZZNS1_14partition_implILS5_6ELb0ES3_mN6thrust23THRUST_200600_302600_NS6detail15normal_iteratorINSA_10device_ptrIsEEEEPS6_SG_NS0_5tupleIJSF_S6_EEENSH_IJSG_SG_EEES6_PlJNSB_9not_fun_tI7is_evenIsEEEEEE10hipError_tPvRmT3_T4_T5_T6_T7_T9_mT8_P12ihipStream_tbDpT10_ENKUlT_T0_E_clISt17integral_constantIbLb1EES17_IbLb0EEEEDaS13_S14_EUlS13_E_NS1_11comp_targetILNS1_3genE2ELNS1_11target_archE906ELNS1_3gpuE6ELNS1_3repE0EEENS1_30default_config_static_selectorELNS0_4arch9wavefront6targetE0EEEvT1_.private_seg_size, 0
	.set _ZN7rocprim17ROCPRIM_400000_NS6detail17trampoline_kernelINS0_14default_configENS1_25partition_config_selectorILNS1_17partition_subalgoE6EsNS0_10empty_typeEbEEZZNS1_14partition_implILS5_6ELb0ES3_mN6thrust23THRUST_200600_302600_NS6detail15normal_iteratorINSA_10device_ptrIsEEEEPS6_SG_NS0_5tupleIJSF_S6_EEENSH_IJSG_SG_EEES6_PlJNSB_9not_fun_tI7is_evenIsEEEEEE10hipError_tPvRmT3_T4_T5_T6_T7_T9_mT8_P12ihipStream_tbDpT10_ENKUlT_T0_E_clISt17integral_constantIbLb1EES17_IbLb0EEEEDaS13_S14_EUlS13_E_NS1_11comp_targetILNS1_3genE2ELNS1_11target_archE906ELNS1_3gpuE6ELNS1_3repE0EEENS1_30default_config_static_selectorELNS0_4arch9wavefront6targetE0EEEvT1_.uses_vcc, 0
	.set _ZN7rocprim17ROCPRIM_400000_NS6detail17trampoline_kernelINS0_14default_configENS1_25partition_config_selectorILNS1_17partition_subalgoE6EsNS0_10empty_typeEbEEZZNS1_14partition_implILS5_6ELb0ES3_mN6thrust23THRUST_200600_302600_NS6detail15normal_iteratorINSA_10device_ptrIsEEEEPS6_SG_NS0_5tupleIJSF_S6_EEENSH_IJSG_SG_EEES6_PlJNSB_9not_fun_tI7is_evenIsEEEEEE10hipError_tPvRmT3_T4_T5_T6_T7_T9_mT8_P12ihipStream_tbDpT10_ENKUlT_T0_E_clISt17integral_constantIbLb1EES17_IbLb0EEEEDaS13_S14_EUlS13_E_NS1_11comp_targetILNS1_3genE2ELNS1_11target_archE906ELNS1_3gpuE6ELNS1_3repE0EEENS1_30default_config_static_selectorELNS0_4arch9wavefront6targetE0EEEvT1_.uses_flat_scratch, 0
	.set _ZN7rocprim17ROCPRIM_400000_NS6detail17trampoline_kernelINS0_14default_configENS1_25partition_config_selectorILNS1_17partition_subalgoE6EsNS0_10empty_typeEbEEZZNS1_14partition_implILS5_6ELb0ES3_mN6thrust23THRUST_200600_302600_NS6detail15normal_iteratorINSA_10device_ptrIsEEEEPS6_SG_NS0_5tupleIJSF_S6_EEENSH_IJSG_SG_EEES6_PlJNSB_9not_fun_tI7is_evenIsEEEEEE10hipError_tPvRmT3_T4_T5_T6_T7_T9_mT8_P12ihipStream_tbDpT10_ENKUlT_T0_E_clISt17integral_constantIbLb1EES17_IbLb0EEEEDaS13_S14_EUlS13_E_NS1_11comp_targetILNS1_3genE2ELNS1_11target_archE906ELNS1_3gpuE6ELNS1_3repE0EEENS1_30default_config_static_selectorELNS0_4arch9wavefront6targetE0EEEvT1_.has_dyn_sized_stack, 0
	.set _ZN7rocprim17ROCPRIM_400000_NS6detail17trampoline_kernelINS0_14default_configENS1_25partition_config_selectorILNS1_17partition_subalgoE6EsNS0_10empty_typeEbEEZZNS1_14partition_implILS5_6ELb0ES3_mN6thrust23THRUST_200600_302600_NS6detail15normal_iteratorINSA_10device_ptrIsEEEEPS6_SG_NS0_5tupleIJSF_S6_EEENSH_IJSG_SG_EEES6_PlJNSB_9not_fun_tI7is_evenIsEEEEEE10hipError_tPvRmT3_T4_T5_T6_T7_T9_mT8_P12ihipStream_tbDpT10_ENKUlT_T0_E_clISt17integral_constantIbLb1EES17_IbLb0EEEEDaS13_S14_EUlS13_E_NS1_11comp_targetILNS1_3genE2ELNS1_11target_archE906ELNS1_3gpuE6ELNS1_3repE0EEENS1_30default_config_static_selectorELNS0_4arch9wavefront6targetE0EEEvT1_.has_recursion, 0
	.set _ZN7rocprim17ROCPRIM_400000_NS6detail17trampoline_kernelINS0_14default_configENS1_25partition_config_selectorILNS1_17partition_subalgoE6EsNS0_10empty_typeEbEEZZNS1_14partition_implILS5_6ELb0ES3_mN6thrust23THRUST_200600_302600_NS6detail15normal_iteratorINSA_10device_ptrIsEEEEPS6_SG_NS0_5tupleIJSF_S6_EEENSH_IJSG_SG_EEES6_PlJNSB_9not_fun_tI7is_evenIsEEEEEE10hipError_tPvRmT3_T4_T5_T6_T7_T9_mT8_P12ihipStream_tbDpT10_ENKUlT_T0_E_clISt17integral_constantIbLb1EES17_IbLb0EEEEDaS13_S14_EUlS13_E_NS1_11comp_targetILNS1_3genE2ELNS1_11target_archE906ELNS1_3gpuE6ELNS1_3repE0EEENS1_30default_config_static_selectorELNS0_4arch9wavefront6targetE0EEEvT1_.has_indirect_call, 0
	.section	.AMDGPU.csdata,"",@progbits
; Kernel info:
; codeLenInByte = 0
; TotalNumSgprs: 0
; NumVgprs: 0
; ScratchSize: 0
; MemoryBound: 0
; FloatMode: 240
; IeeeMode: 1
; LDSByteSize: 0 bytes/workgroup (compile time only)
; SGPRBlocks: 0
; VGPRBlocks: 0
; NumSGPRsForWavesPerEU: 1
; NumVGPRsForWavesPerEU: 1
; Occupancy: 16
; WaveLimiterHint : 0
; COMPUTE_PGM_RSRC2:SCRATCH_EN: 0
; COMPUTE_PGM_RSRC2:USER_SGPR: 2
; COMPUTE_PGM_RSRC2:TRAP_HANDLER: 0
; COMPUTE_PGM_RSRC2:TGID_X_EN: 1
; COMPUTE_PGM_RSRC2:TGID_Y_EN: 0
; COMPUTE_PGM_RSRC2:TGID_Z_EN: 0
; COMPUTE_PGM_RSRC2:TIDIG_COMP_CNT: 0
	.section	.text._ZN7rocprim17ROCPRIM_400000_NS6detail17trampoline_kernelINS0_14default_configENS1_25partition_config_selectorILNS1_17partition_subalgoE6EsNS0_10empty_typeEbEEZZNS1_14partition_implILS5_6ELb0ES3_mN6thrust23THRUST_200600_302600_NS6detail15normal_iteratorINSA_10device_ptrIsEEEEPS6_SG_NS0_5tupleIJSF_S6_EEENSH_IJSG_SG_EEES6_PlJNSB_9not_fun_tI7is_evenIsEEEEEE10hipError_tPvRmT3_T4_T5_T6_T7_T9_mT8_P12ihipStream_tbDpT10_ENKUlT_T0_E_clISt17integral_constantIbLb1EES17_IbLb0EEEEDaS13_S14_EUlS13_E_NS1_11comp_targetILNS1_3genE10ELNS1_11target_archE1200ELNS1_3gpuE4ELNS1_3repE0EEENS1_30default_config_static_selectorELNS0_4arch9wavefront6targetE0EEEvT1_,"axG",@progbits,_ZN7rocprim17ROCPRIM_400000_NS6detail17trampoline_kernelINS0_14default_configENS1_25partition_config_selectorILNS1_17partition_subalgoE6EsNS0_10empty_typeEbEEZZNS1_14partition_implILS5_6ELb0ES3_mN6thrust23THRUST_200600_302600_NS6detail15normal_iteratorINSA_10device_ptrIsEEEEPS6_SG_NS0_5tupleIJSF_S6_EEENSH_IJSG_SG_EEES6_PlJNSB_9not_fun_tI7is_evenIsEEEEEE10hipError_tPvRmT3_T4_T5_T6_T7_T9_mT8_P12ihipStream_tbDpT10_ENKUlT_T0_E_clISt17integral_constantIbLb1EES17_IbLb0EEEEDaS13_S14_EUlS13_E_NS1_11comp_targetILNS1_3genE10ELNS1_11target_archE1200ELNS1_3gpuE4ELNS1_3repE0EEENS1_30default_config_static_selectorELNS0_4arch9wavefront6targetE0EEEvT1_,comdat
	.protected	_ZN7rocprim17ROCPRIM_400000_NS6detail17trampoline_kernelINS0_14default_configENS1_25partition_config_selectorILNS1_17partition_subalgoE6EsNS0_10empty_typeEbEEZZNS1_14partition_implILS5_6ELb0ES3_mN6thrust23THRUST_200600_302600_NS6detail15normal_iteratorINSA_10device_ptrIsEEEEPS6_SG_NS0_5tupleIJSF_S6_EEENSH_IJSG_SG_EEES6_PlJNSB_9not_fun_tI7is_evenIsEEEEEE10hipError_tPvRmT3_T4_T5_T6_T7_T9_mT8_P12ihipStream_tbDpT10_ENKUlT_T0_E_clISt17integral_constantIbLb1EES17_IbLb0EEEEDaS13_S14_EUlS13_E_NS1_11comp_targetILNS1_3genE10ELNS1_11target_archE1200ELNS1_3gpuE4ELNS1_3repE0EEENS1_30default_config_static_selectorELNS0_4arch9wavefront6targetE0EEEvT1_ ; -- Begin function _ZN7rocprim17ROCPRIM_400000_NS6detail17trampoline_kernelINS0_14default_configENS1_25partition_config_selectorILNS1_17partition_subalgoE6EsNS0_10empty_typeEbEEZZNS1_14partition_implILS5_6ELb0ES3_mN6thrust23THRUST_200600_302600_NS6detail15normal_iteratorINSA_10device_ptrIsEEEEPS6_SG_NS0_5tupleIJSF_S6_EEENSH_IJSG_SG_EEES6_PlJNSB_9not_fun_tI7is_evenIsEEEEEE10hipError_tPvRmT3_T4_T5_T6_T7_T9_mT8_P12ihipStream_tbDpT10_ENKUlT_T0_E_clISt17integral_constantIbLb1EES17_IbLb0EEEEDaS13_S14_EUlS13_E_NS1_11comp_targetILNS1_3genE10ELNS1_11target_archE1200ELNS1_3gpuE4ELNS1_3repE0EEENS1_30default_config_static_selectorELNS0_4arch9wavefront6targetE0EEEvT1_
	.globl	_ZN7rocprim17ROCPRIM_400000_NS6detail17trampoline_kernelINS0_14default_configENS1_25partition_config_selectorILNS1_17partition_subalgoE6EsNS0_10empty_typeEbEEZZNS1_14partition_implILS5_6ELb0ES3_mN6thrust23THRUST_200600_302600_NS6detail15normal_iteratorINSA_10device_ptrIsEEEEPS6_SG_NS0_5tupleIJSF_S6_EEENSH_IJSG_SG_EEES6_PlJNSB_9not_fun_tI7is_evenIsEEEEEE10hipError_tPvRmT3_T4_T5_T6_T7_T9_mT8_P12ihipStream_tbDpT10_ENKUlT_T0_E_clISt17integral_constantIbLb1EES17_IbLb0EEEEDaS13_S14_EUlS13_E_NS1_11comp_targetILNS1_3genE10ELNS1_11target_archE1200ELNS1_3gpuE4ELNS1_3repE0EEENS1_30default_config_static_selectorELNS0_4arch9wavefront6targetE0EEEvT1_
	.p2align	8
	.type	_ZN7rocprim17ROCPRIM_400000_NS6detail17trampoline_kernelINS0_14default_configENS1_25partition_config_selectorILNS1_17partition_subalgoE6EsNS0_10empty_typeEbEEZZNS1_14partition_implILS5_6ELb0ES3_mN6thrust23THRUST_200600_302600_NS6detail15normal_iteratorINSA_10device_ptrIsEEEEPS6_SG_NS0_5tupleIJSF_S6_EEENSH_IJSG_SG_EEES6_PlJNSB_9not_fun_tI7is_evenIsEEEEEE10hipError_tPvRmT3_T4_T5_T6_T7_T9_mT8_P12ihipStream_tbDpT10_ENKUlT_T0_E_clISt17integral_constantIbLb1EES17_IbLb0EEEEDaS13_S14_EUlS13_E_NS1_11comp_targetILNS1_3genE10ELNS1_11target_archE1200ELNS1_3gpuE4ELNS1_3repE0EEENS1_30default_config_static_selectorELNS0_4arch9wavefront6targetE0EEEvT1_,@function
_ZN7rocprim17ROCPRIM_400000_NS6detail17trampoline_kernelINS0_14default_configENS1_25partition_config_selectorILNS1_17partition_subalgoE6EsNS0_10empty_typeEbEEZZNS1_14partition_implILS5_6ELb0ES3_mN6thrust23THRUST_200600_302600_NS6detail15normal_iteratorINSA_10device_ptrIsEEEEPS6_SG_NS0_5tupleIJSF_S6_EEENSH_IJSG_SG_EEES6_PlJNSB_9not_fun_tI7is_evenIsEEEEEE10hipError_tPvRmT3_T4_T5_T6_T7_T9_mT8_P12ihipStream_tbDpT10_ENKUlT_T0_E_clISt17integral_constantIbLb1EES17_IbLb0EEEEDaS13_S14_EUlS13_E_NS1_11comp_targetILNS1_3genE10ELNS1_11target_archE1200ELNS1_3gpuE4ELNS1_3repE0EEENS1_30default_config_static_selectorELNS0_4arch9wavefront6targetE0EEEvT1_: ; @_ZN7rocprim17ROCPRIM_400000_NS6detail17trampoline_kernelINS0_14default_configENS1_25partition_config_selectorILNS1_17partition_subalgoE6EsNS0_10empty_typeEbEEZZNS1_14partition_implILS5_6ELb0ES3_mN6thrust23THRUST_200600_302600_NS6detail15normal_iteratorINSA_10device_ptrIsEEEEPS6_SG_NS0_5tupleIJSF_S6_EEENSH_IJSG_SG_EEES6_PlJNSB_9not_fun_tI7is_evenIsEEEEEE10hipError_tPvRmT3_T4_T5_T6_T7_T9_mT8_P12ihipStream_tbDpT10_ENKUlT_T0_E_clISt17integral_constantIbLb1EES17_IbLb0EEEEDaS13_S14_EUlS13_E_NS1_11comp_targetILNS1_3genE10ELNS1_11target_archE1200ELNS1_3gpuE4ELNS1_3repE0EEENS1_30default_config_static_selectorELNS0_4arch9wavefront6targetE0EEEvT1_
; %bb.0:
	s_endpgm
	.section	.rodata,"a",@progbits
	.p2align	6, 0x0
	.amdhsa_kernel _ZN7rocprim17ROCPRIM_400000_NS6detail17trampoline_kernelINS0_14default_configENS1_25partition_config_selectorILNS1_17partition_subalgoE6EsNS0_10empty_typeEbEEZZNS1_14partition_implILS5_6ELb0ES3_mN6thrust23THRUST_200600_302600_NS6detail15normal_iteratorINSA_10device_ptrIsEEEEPS6_SG_NS0_5tupleIJSF_S6_EEENSH_IJSG_SG_EEES6_PlJNSB_9not_fun_tI7is_evenIsEEEEEE10hipError_tPvRmT3_T4_T5_T6_T7_T9_mT8_P12ihipStream_tbDpT10_ENKUlT_T0_E_clISt17integral_constantIbLb1EES17_IbLb0EEEEDaS13_S14_EUlS13_E_NS1_11comp_targetILNS1_3genE10ELNS1_11target_archE1200ELNS1_3gpuE4ELNS1_3repE0EEENS1_30default_config_static_selectorELNS0_4arch9wavefront6targetE0EEEvT1_
		.amdhsa_group_segment_fixed_size 0
		.amdhsa_private_segment_fixed_size 0
		.amdhsa_kernarg_size 112
		.amdhsa_user_sgpr_count 2
		.amdhsa_user_sgpr_dispatch_ptr 0
		.amdhsa_user_sgpr_queue_ptr 0
		.amdhsa_user_sgpr_kernarg_segment_ptr 1
		.amdhsa_user_sgpr_dispatch_id 0
		.amdhsa_user_sgpr_private_segment_size 0
		.amdhsa_wavefront_size32 1
		.amdhsa_uses_dynamic_stack 0
		.amdhsa_enable_private_segment 0
		.amdhsa_system_sgpr_workgroup_id_x 1
		.amdhsa_system_sgpr_workgroup_id_y 0
		.amdhsa_system_sgpr_workgroup_id_z 0
		.amdhsa_system_sgpr_workgroup_info 0
		.amdhsa_system_vgpr_workitem_id 0
		.amdhsa_next_free_vgpr 1
		.amdhsa_next_free_sgpr 1
		.amdhsa_reserve_vcc 0
		.amdhsa_float_round_mode_32 0
		.amdhsa_float_round_mode_16_64 0
		.amdhsa_float_denorm_mode_32 3
		.amdhsa_float_denorm_mode_16_64 3
		.amdhsa_fp16_overflow 0
		.amdhsa_workgroup_processor_mode 1
		.amdhsa_memory_ordered 1
		.amdhsa_forward_progress 1
		.amdhsa_inst_pref_size 1
		.amdhsa_round_robin_scheduling 0
		.amdhsa_exception_fp_ieee_invalid_op 0
		.amdhsa_exception_fp_denorm_src 0
		.amdhsa_exception_fp_ieee_div_zero 0
		.amdhsa_exception_fp_ieee_overflow 0
		.amdhsa_exception_fp_ieee_underflow 0
		.amdhsa_exception_fp_ieee_inexact 0
		.amdhsa_exception_int_div_zero 0
	.end_amdhsa_kernel
	.section	.text._ZN7rocprim17ROCPRIM_400000_NS6detail17trampoline_kernelINS0_14default_configENS1_25partition_config_selectorILNS1_17partition_subalgoE6EsNS0_10empty_typeEbEEZZNS1_14partition_implILS5_6ELb0ES3_mN6thrust23THRUST_200600_302600_NS6detail15normal_iteratorINSA_10device_ptrIsEEEEPS6_SG_NS0_5tupleIJSF_S6_EEENSH_IJSG_SG_EEES6_PlJNSB_9not_fun_tI7is_evenIsEEEEEE10hipError_tPvRmT3_T4_T5_T6_T7_T9_mT8_P12ihipStream_tbDpT10_ENKUlT_T0_E_clISt17integral_constantIbLb1EES17_IbLb0EEEEDaS13_S14_EUlS13_E_NS1_11comp_targetILNS1_3genE10ELNS1_11target_archE1200ELNS1_3gpuE4ELNS1_3repE0EEENS1_30default_config_static_selectorELNS0_4arch9wavefront6targetE0EEEvT1_,"axG",@progbits,_ZN7rocprim17ROCPRIM_400000_NS6detail17trampoline_kernelINS0_14default_configENS1_25partition_config_selectorILNS1_17partition_subalgoE6EsNS0_10empty_typeEbEEZZNS1_14partition_implILS5_6ELb0ES3_mN6thrust23THRUST_200600_302600_NS6detail15normal_iteratorINSA_10device_ptrIsEEEEPS6_SG_NS0_5tupleIJSF_S6_EEENSH_IJSG_SG_EEES6_PlJNSB_9not_fun_tI7is_evenIsEEEEEE10hipError_tPvRmT3_T4_T5_T6_T7_T9_mT8_P12ihipStream_tbDpT10_ENKUlT_T0_E_clISt17integral_constantIbLb1EES17_IbLb0EEEEDaS13_S14_EUlS13_E_NS1_11comp_targetILNS1_3genE10ELNS1_11target_archE1200ELNS1_3gpuE4ELNS1_3repE0EEENS1_30default_config_static_selectorELNS0_4arch9wavefront6targetE0EEEvT1_,comdat
.Lfunc_end778:
	.size	_ZN7rocprim17ROCPRIM_400000_NS6detail17trampoline_kernelINS0_14default_configENS1_25partition_config_selectorILNS1_17partition_subalgoE6EsNS0_10empty_typeEbEEZZNS1_14partition_implILS5_6ELb0ES3_mN6thrust23THRUST_200600_302600_NS6detail15normal_iteratorINSA_10device_ptrIsEEEEPS6_SG_NS0_5tupleIJSF_S6_EEENSH_IJSG_SG_EEES6_PlJNSB_9not_fun_tI7is_evenIsEEEEEE10hipError_tPvRmT3_T4_T5_T6_T7_T9_mT8_P12ihipStream_tbDpT10_ENKUlT_T0_E_clISt17integral_constantIbLb1EES17_IbLb0EEEEDaS13_S14_EUlS13_E_NS1_11comp_targetILNS1_3genE10ELNS1_11target_archE1200ELNS1_3gpuE4ELNS1_3repE0EEENS1_30default_config_static_selectorELNS0_4arch9wavefront6targetE0EEEvT1_, .Lfunc_end778-_ZN7rocprim17ROCPRIM_400000_NS6detail17trampoline_kernelINS0_14default_configENS1_25partition_config_selectorILNS1_17partition_subalgoE6EsNS0_10empty_typeEbEEZZNS1_14partition_implILS5_6ELb0ES3_mN6thrust23THRUST_200600_302600_NS6detail15normal_iteratorINSA_10device_ptrIsEEEEPS6_SG_NS0_5tupleIJSF_S6_EEENSH_IJSG_SG_EEES6_PlJNSB_9not_fun_tI7is_evenIsEEEEEE10hipError_tPvRmT3_T4_T5_T6_T7_T9_mT8_P12ihipStream_tbDpT10_ENKUlT_T0_E_clISt17integral_constantIbLb1EES17_IbLb0EEEEDaS13_S14_EUlS13_E_NS1_11comp_targetILNS1_3genE10ELNS1_11target_archE1200ELNS1_3gpuE4ELNS1_3repE0EEENS1_30default_config_static_selectorELNS0_4arch9wavefront6targetE0EEEvT1_
                                        ; -- End function
	.set _ZN7rocprim17ROCPRIM_400000_NS6detail17trampoline_kernelINS0_14default_configENS1_25partition_config_selectorILNS1_17partition_subalgoE6EsNS0_10empty_typeEbEEZZNS1_14partition_implILS5_6ELb0ES3_mN6thrust23THRUST_200600_302600_NS6detail15normal_iteratorINSA_10device_ptrIsEEEEPS6_SG_NS0_5tupleIJSF_S6_EEENSH_IJSG_SG_EEES6_PlJNSB_9not_fun_tI7is_evenIsEEEEEE10hipError_tPvRmT3_T4_T5_T6_T7_T9_mT8_P12ihipStream_tbDpT10_ENKUlT_T0_E_clISt17integral_constantIbLb1EES17_IbLb0EEEEDaS13_S14_EUlS13_E_NS1_11comp_targetILNS1_3genE10ELNS1_11target_archE1200ELNS1_3gpuE4ELNS1_3repE0EEENS1_30default_config_static_selectorELNS0_4arch9wavefront6targetE0EEEvT1_.num_vgpr, 0
	.set _ZN7rocprim17ROCPRIM_400000_NS6detail17trampoline_kernelINS0_14default_configENS1_25partition_config_selectorILNS1_17partition_subalgoE6EsNS0_10empty_typeEbEEZZNS1_14partition_implILS5_6ELb0ES3_mN6thrust23THRUST_200600_302600_NS6detail15normal_iteratorINSA_10device_ptrIsEEEEPS6_SG_NS0_5tupleIJSF_S6_EEENSH_IJSG_SG_EEES6_PlJNSB_9not_fun_tI7is_evenIsEEEEEE10hipError_tPvRmT3_T4_T5_T6_T7_T9_mT8_P12ihipStream_tbDpT10_ENKUlT_T0_E_clISt17integral_constantIbLb1EES17_IbLb0EEEEDaS13_S14_EUlS13_E_NS1_11comp_targetILNS1_3genE10ELNS1_11target_archE1200ELNS1_3gpuE4ELNS1_3repE0EEENS1_30default_config_static_selectorELNS0_4arch9wavefront6targetE0EEEvT1_.num_agpr, 0
	.set _ZN7rocprim17ROCPRIM_400000_NS6detail17trampoline_kernelINS0_14default_configENS1_25partition_config_selectorILNS1_17partition_subalgoE6EsNS0_10empty_typeEbEEZZNS1_14partition_implILS5_6ELb0ES3_mN6thrust23THRUST_200600_302600_NS6detail15normal_iteratorINSA_10device_ptrIsEEEEPS6_SG_NS0_5tupleIJSF_S6_EEENSH_IJSG_SG_EEES6_PlJNSB_9not_fun_tI7is_evenIsEEEEEE10hipError_tPvRmT3_T4_T5_T6_T7_T9_mT8_P12ihipStream_tbDpT10_ENKUlT_T0_E_clISt17integral_constantIbLb1EES17_IbLb0EEEEDaS13_S14_EUlS13_E_NS1_11comp_targetILNS1_3genE10ELNS1_11target_archE1200ELNS1_3gpuE4ELNS1_3repE0EEENS1_30default_config_static_selectorELNS0_4arch9wavefront6targetE0EEEvT1_.numbered_sgpr, 0
	.set _ZN7rocprim17ROCPRIM_400000_NS6detail17trampoline_kernelINS0_14default_configENS1_25partition_config_selectorILNS1_17partition_subalgoE6EsNS0_10empty_typeEbEEZZNS1_14partition_implILS5_6ELb0ES3_mN6thrust23THRUST_200600_302600_NS6detail15normal_iteratorINSA_10device_ptrIsEEEEPS6_SG_NS0_5tupleIJSF_S6_EEENSH_IJSG_SG_EEES6_PlJNSB_9not_fun_tI7is_evenIsEEEEEE10hipError_tPvRmT3_T4_T5_T6_T7_T9_mT8_P12ihipStream_tbDpT10_ENKUlT_T0_E_clISt17integral_constantIbLb1EES17_IbLb0EEEEDaS13_S14_EUlS13_E_NS1_11comp_targetILNS1_3genE10ELNS1_11target_archE1200ELNS1_3gpuE4ELNS1_3repE0EEENS1_30default_config_static_selectorELNS0_4arch9wavefront6targetE0EEEvT1_.num_named_barrier, 0
	.set _ZN7rocprim17ROCPRIM_400000_NS6detail17trampoline_kernelINS0_14default_configENS1_25partition_config_selectorILNS1_17partition_subalgoE6EsNS0_10empty_typeEbEEZZNS1_14partition_implILS5_6ELb0ES3_mN6thrust23THRUST_200600_302600_NS6detail15normal_iteratorINSA_10device_ptrIsEEEEPS6_SG_NS0_5tupleIJSF_S6_EEENSH_IJSG_SG_EEES6_PlJNSB_9not_fun_tI7is_evenIsEEEEEE10hipError_tPvRmT3_T4_T5_T6_T7_T9_mT8_P12ihipStream_tbDpT10_ENKUlT_T0_E_clISt17integral_constantIbLb1EES17_IbLb0EEEEDaS13_S14_EUlS13_E_NS1_11comp_targetILNS1_3genE10ELNS1_11target_archE1200ELNS1_3gpuE4ELNS1_3repE0EEENS1_30default_config_static_selectorELNS0_4arch9wavefront6targetE0EEEvT1_.private_seg_size, 0
	.set _ZN7rocprim17ROCPRIM_400000_NS6detail17trampoline_kernelINS0_14default_configENS1_25partition_config_selectorILNS1_17partition_subalgoE6EsNS0_10empty_typeEbEEZZNS1_14partition_implILS5_6ELb0ES3_mN6thrust23THRUST_200600_302600_NS6detail15normal_iteratorINSA_10device_ptrIsEEEEPS6_SG_NS0_5tupleIJSF_S6_EEENSH_IJSG_SG_EEES6_PlJNSB_9not_fun_tI7is_evenIsEEEEEE10hipError_tPvRmT3_T4_T5_T6_T7_T9_mT8_P12ihipStream_tbDpT10_ENKUlT_T0_E_clISt17integral_constantIbLb1EES17_IbLb0EEEEDaS13_S14_EUlS13_E_NS1_11comp_targetILNS1_3genE10ELNS1_11target_archE1200ELNS1_3gpuE4ELNS1_3repE0EEENS1_30default_config_static_selectorELNS0_4arch9wavefront6targetE0EEEvT1_.uses_vcc, 0
	.set _ZN7rocprim17ROCPRIM_400000_NS6detail17trampoline_kernelINS0_14default_configENS1_25partition_config_selectorILNS1_17partition_subalgoE6EsNS0_10empty_typeEbEEZZNS1_14partition_implILS5_6ELb0ES3_mN6thrust23THRUST_200600_302600_NS6detail15normal_iteratorINSA_10device_ptrIsEEEEPS6_SG_NS0_5tupleIJSF_S6_EEENSH_IJSG_SG_EEES6_PlJNSB_9not_fun_tI7is_evenIsEEEEEE10hipError_tPvRmT3_T4_T5_T6_T7_T9_mT8_P12ihipStream_tbDpT10_ENKUlT_T0_E_clISt17integral_constantIbLb1EES17_IbLb0EEEEDaS13_S14_EUlS13_E_NS1_11comp_targetILNS1_3genE10ELNS1_11target_archE1200ELNS1_3gpuE4ELNS1_3repE0EEENS1_30default_config_static_selectorELNS0_4arch9wavefront6targetE0EEEvT1_.uses_flat_scratch, 0
	.set _ZN7rocprim17ROCPRIM_400000_NS6detail17trampoline_kernelINS0_14default_configENS1_25partition_config_selectorILNS1_17partition_subalgoE6EsNS0_10empty_typeEbEEZZNS1_14partition_implILS5_6ELb0ES3_mN6thrust23THRUST_200600_302600_NS6detail15normal_iteratorINSA_10device_ptrIsEEEEPS6_SG_NS0_5tupleIJSF_S6_EEENSH_IJSG_SG_EEES6_PlJNSB_9not_fun_tI7is_evenIsEEEEEE10hipError_tPvRmT3_T4_T5_T6_T7_T9_mT8_P12ihipStream_tbDpT10_ENKUlT_T0_E_clISt17integral_constantIbLb1EES17_IbLb0EEEEDaS13_S14_EUlS13_E_NS1_11comp_targetILNS1_3genE10ELNS1_11target_archE1200ELNS1_3gpuE4ELNS1_3repE0EEENS1_30default_config_static_selectorELNS0_4arch9wavefront6targetE0EEEvT1_.has_dyn_sized_stack, 0
	.set _ZN7rocprim17ROCPRIM_400000_NS6detail17trampoline_kernelINS0_14default_configENS1_25partition_config_selectorILNS1_17partition_subalgoE6EsNS0_10empty_typeEbEEZZNS1_14partition_implILS5_6ELb0ES3_mN6thrust23THRUST_200600_302600_NS6detail15normal_iteratorINSA_10device_ptrIsEEEEPS6_SG_NS0_5tupleIJSF_S6_EEENSH_IJSG_SG_EEES6_PlJNSB_9not_fun_tI7is_evenIsEEEEEE10hipError_tPvRmT3_T4_T5_T6_T7_T9_mT8_P12ihipStream_tbDpT10_ENKUlT_T0_E_clISt17integral_constantIbLb1EES17_IbLb0EEEEDaS13_S14_EUlS13_E_NS1_11comp_targetILNS1_3genE10ELNS1_11target_archE1200ELNS1_3gpuE4ELNS1_3repE0EEENS1_30default_config_static_selectorELNS0_4arch9wavefront6targetE0EEEvT1_.has_recursion, 0
	.set _ZN7rocprim17ROCPRIM_400000_NS6detail17trampoline_kernelINS0_14default_configENS1_25partition_config_selectorILNS1_17partition_subalgoE6EsNS0_10empty_typeEbEEZZNS1_14partition_implILS5_6ELb0ES3_mN6thrust23THRUST_200600_302600_NS6detail15normal_iteratorINSA_10device_ptrIsEEEEPS6_SG_NS0_5tupleIJSF_S6_EEENSH_IJSG_SG_EEES6_PlJNSB_9not_fun_tI7is_evenIsEEEEEE10hipError_tPvRmT3_T4_T5_T6_T7_T9_mT8_P12ihipStream_tbDpT10_ENKUlT_T0_E_clISt17integral_constantIbLb1EES17_IbLb0EEEEDaS13_S14_EUlS13_E_NS1_11comp_targetILNS1_3genE10ELNS1_11target_archE1200ELNS1_3gpuE4ELNS1_3repE0EEENS1_30default_config_static_selectorELNS0_4arch9wavefront6targetE0EEEvT1_.has_indirect_call, 0
	.section	.AMDGPU.csdata,"",@progbits
; Kernel info:
; codeLenInByte = 4
; TotalNumSgprs: 0
; NumVgprs: 0
; ScratchSize: 0
; MemoryBound: 0
; FloatMode: 240
; IeeeMode: 1
; LDSByteSize: 0 bytes/workgroup (compile time only)
; SGPRBlocks: 0
; VGPRBlocks: 0
; NumSGPRsForWavesPerEU: 1
; NumVGPRsForWavesPerEU: 1
; Occupancy: 16
; WaveLimiterHint : 0
; COMPUTE_PGM_RSRC2:SCRATCH_EN: 0
; COMPUTE_PGM_RSRC2:USER_SGPR: 2
; COMPUTE_PGM_RSRC2:TRAP_HANDLER: 0
; COMPUTE_PGM_RSRC2:TGID_X_EN: 1
; COMPUTE_PGM_RSRC2:TGID_Y_EN: 0
; COMPUTE_PGM_RSRC2:TGID_Z_EN: 0
; COMPUTE_PGM_RSRC2:TIDIG_COMP_CNT: 0
	.section	.text._ZN7rocprim17ROCPRIM_400000_NS6detail17trampoline_kernelINS0_14default_configENS1_25partition_config_selectorILNS1_17partition_subalgoE6EsNS0_10empty_typeEbEEZZNS1_14partition_implILS5_6ELb0ES3_mN6thrust23THRUST_200600_302600_NS6detail15normal_iteratorINSA_10device_ptrIsEEEEPS6_SG_NS0_5tupleIJSF_S6_EEENSH_IJSG_SG_EEES6_PlJNSB_9not_fun_tI7is_evenIsEEEEEE10hipError_tPvRmT3_T4_T5_T6_T7_T9_mT8_P12ihipStream_tbDpT10_ENKUlT_T0_E_clISt17integral_constantIbLb1EES17_IbLb0EEEEDaS13_S14_EUlS13_E_NS1_11comp_targetILNS1_3genE9ELNS1_11target_archE1100ELNS1_3gpuE3ELNS1_3repE0EEENS1_30default_config_static_selectorELNS0_4arch9wavefront6targetE0EEEvT1_,"axG",@progbits,_ZN7rocprim17ROCPRIM_400000_NS6detail17trampoline_kernelINS0_14default_configENS1_25partition_config_selectorILNS1_17partition_subalgoE6EsNS0_10empty_typeEbEEZZNS1_14partition_implILS5_6ELb0ES3_mN6thrust23THRUST_200600_302600_NS6detail15normal_iteratorINSA_10device_ptrIsEEEEPS6_SG_NS0_5tupleIJSF_S6_EEENSH_IJSG_SG_EEES6_PlJNSB_9not_fun_tI7is_evenIsEEEEEE10hipError_tPvRmT3_T4_T5_T6_T7_T9_mT8_P12ihipStream_tbDpT10_ENKUlT_T0_E_clISt17integral_constantIbLb1EES17_IbLb0EEEEDaS13_S14_EUlS13_E_NS1_11comp_targetILNS1_3genE9ELNS1_11target_archE1100ELNS1_3gpuE3ELNS1_3repE0EEENS1_30default_config_static_selectorELNS0_4arch9wavefront6targetE0EEEvT1_,comdat
	.protected	_ZN7rocprim17ROCPRIM_400000_NS6detail17trampoline_kernelINS0_14default_configENS1_25partition_config_selectorILNS1_17partition_subalgoE6EsNS0_10empty_typeEbEEZZNS1_14partition_implILS5_6ELb0ES3_mN6thrust23THRUST_200600_302600_NS6detail15normal_iteratorINSA_10device_ptrIsEEEEPS6_SG_NS0_5tupleIJSF_S6_EEENSH_IJSG_SG_EEES6_PlJNSB_9not_fun_tI7is_evenIsEEEEEE10hipError_tPvRmT3_T4_T5_T6_T7_T9_mT8_P12ihipStream_tbDpT10_ENKUlT_T0_E_clISt17integral_constantIbLb1EES17_IbLb0EEEEDaS13_S14_EUlS13_E_NS1_11comp_targetILNS1_3genE9ELNS1_11target_archE1100ELNS1_3gpuE3ELNS1_3repE0EEENS1_30default_config_static_selectorELNS0_4arch9wavefront6targetE0EEEvT1_ ; -- Begin function _ZN7rocprim17ROCPRIM_400000_NS6detail17trampoline_kernelINS0_14default_configENS1_25partition_config_selectorILNS1_17partition_subalgoE6EsNS0_10empty_typeEbEEZZNS1_14partition_implILS5_6ELb0ES3_mN6thrust23THRUST_200600_302600_NS6detail15normal_iteratorINSA_10device_ptrIsEEEEPS6_SG_NS0_5tupleIJSF_S6_EEENSH_IJSG_SG_EEES6_PlJNSB_9not_fun_tI7is_evenIsEEEEEE10hipError_tPvRmT3_T4_T5_T6_T7_T9_mT8_P12ihipStream_tbDpT10_ENKUlT_T0_E_clISt17integral_constantIbLb1EES17_IbLb0EEEEDaS13_S14_EUlS13_E_NS1_11comp_targetILNS1_3genE9ELNS1_11target_archE1100ELNS1_3gpuE3ELNS1_3repE0EEENS1_30default_config_static_selectorELNS0_4arch9wavefront6targetE0EEEvT1_
	.globl	_ZN7rocprim17ROCPRIM_400000_NS6detail17trampoline_kernelINS0_14default_configENS1_25partition_config_selectorILNS1_17partition_subalgoE6EsNS0_10empty_typeEbEEZZNS1_14partition_implILS5_6ELb0ES3_mN6thrust23THRUST_200600_302600_NS6detail15normal_iteratorINSA_10device_ptrIsEEEEPS6_SG_NS0_5tupleIJSF_S6_EEENSH_IJSG_SG_EEES6_PlJNSB_9not_fun_tI7is_evenIsEEEEEE10hipError_tPvRmT3_T4_T5_T6_T7_T9_mT8_P12ihipStream_tbDpT10_ENKUlT_T0_E_clISt17integral_constantIbLb1EES17_IbLb0EEEEDaS13_S14_EUlS13_E_NS1_11comp_targetILNS1_3genE9ELNS1_11target_archE1100ELNS1_3gpuE3ELNS1_3repE0EEENS1_30default_config_static_selectorELNS0_4arch9wavefront6targetE0EEEvT1_
	.p2align	8
	.type	_ZN7rocprim17ROCPRIM_400000_NS6detail17trampoline_kernelINS0_14default_configENS1_25partition_config_selectorILNS1_17partition_subalgoE6EsNS0_10empty_typeEbEEZZNS1_14partition_implILS5_6ELb0ES3_mN6thrust23THRUST_200600_302600_NS6detail15normal_iteratorINSA_10device_ptrIsEEEEPS6_SG_NS0_5tupleIJSF_S6_EEENSH_IJSG_SG_EEES6_PlJNSB_9not_fun_tI7is_evenIsEEEEEE10hipError_tPvRmT3_T4_T5_T6_T7_T9_mT8_P12ihipStream_tbDpT10_ENKUlT_T0_E_clISt17integral_constantIbLb1EES17_IbLb0EEEEDaS13_S14_EUlS13_E_NS1_11comp_targetILNS1_3genE9ELNS1_11target_archE1100ELNS1_3gpuE3ELNS1_3repE0EEENS1_30default_config_static_selectorELNS0_4arch9wavefront6targetE0EEEvT1_,@function
_ZN7rocprim17ROCPRIM_400000_NS6detail17trampoline_kernelINS0_14default_configENS1_25partition_config_selectorILNS1_17partition_subalgoE6EsNS0_10empty_typeEbEEZZNS1_14partition_implILS5_6ELb0ES3_mN6thrust23THRUST_200600_302600_NS6detail15normal_iteratorINSA_10device_ptrIsEEEEPS6_SG_NS0_5tupleIJSF_S6_EEENSH_IJSG_SG_EEES6_PlJNSB_9not_fun_tI7is_evenIsEEEEEE10hipError_tPvRmT3_T4_T5_T6_T7_T9_mT8_P12ihipStream_tbDpT10_ENKUlT_T0_E_clISt17integral_constantIbLb1EES17_IbLb0EEEEDaS13_S14_EUlS13_E_NS1_11comp_targetILNS1_3genE9ELNS1_11target_archE1100ELNS1_3gpuE3ELNS1_3repE0EEENS1_30default_config_static_selectorELNS0_4arch9wavefront6targetE0EEEvT1_: ; @_ZN7rocprim17ROCPRIM_400000_NS6detail17trampoline_kernelINS0_14default_configENS1_25partition_config_selectorILNS1_17partition_subalgoE6EsNS0_10empty_typeEbEEZZNS1_14partition_implILS5_6ELb0ES3_mN6thrust23THRUST_200600_302600_NS6detail15normal_iteratorINSA_10device_ptrIsEEEEPS6_SG_NS0_5tupleIJSF_S6_EEENSH_IJSG_SG_EEES6_PlJNSB_9not_fun_tI7is_evenIsEEEEEE10hipError_tPvRmT3_T4_T5_T6_T7_T9_mT8_P12ihipStream_tbDpT10_ENKUlT_T0_E_clISt17integral_constantIbLb1EES17_IbLb0EEEEDaS13_S14_EUlS13_E_NS1_11comp_targetILNS1_3genE9ELNS1_11target_archE1100ELNS1_3gpuE3ELNS1_3repE0EEENS1_30default_config_static_selectorELNS0_4arch9wavefront6targetE0EEEvT1_
; %bb.0:
	.section	.rodata,"a",@progbits
	.p2align	6, 0x0
	.amdhsa_kernel _ZN7rocprim17ROCPRIM_400000_NS6detail17trampoline_kernelINS0_14default_configENS1_25partition_config_selectorILNS1_17partition_subalgoE6EsNS0_10empty_typeEbEEZZNS1_14partition_implILS5_6ELb0ES3_mN6thrust23THRUST_200600_302600_NS6detail15normal_iteratorINSA_10device_ptrIsEEEEPS6_SG_NS0_5tupleIJSF_S6_EEENSH_IJSG_SG_EEES6_PlJNSB_9not_fun_tI7is_evenIsEEEEEE10hipError_tPvRmT3_T4_T5_T6_T7_T9_mT8_P12ihipStream_tbDpT10_ENKUlT_T0_E_clISt17integral_constantIbLb1EES17_IbLb0EEEEDaS13_S14_EUlS13_E_NS1_11comp_targetILNS1_3genE9ELNS1_11target_archE1100ELNS1_3gpuE3ELNS1_3repE0EEENS1_30default_config_static_selectorELNS0_4arch9wavefront6targetE0EEEvT1_
		.amdhsa_group_segment_fixed_size 0
		.amdhsa_private_segment_fixed_size 0
		.amdhsa_kernarg_size 112
		.amdhsa_user_sgpr_count 2
		.amdhsa_user_sgpr_dispatch_ptr 0
		.amdhsa_user_sgpr_queue_ptr 0
		.amdhsa_user_sgpr_kernarg_segment_ptr 1
		.amdhsa_user_sgpr_dispatch_id 0
		.amdhsa_user_sgpr_private_segment_size 0
		.amdhsa_wavefront_size32 1
		.amdhsa_uses_dynamic_stack 0
		.amdhsa_enable_private_segment 0
		.amdhsa_system_sgpr_workgroup_id_x 1
		.amdhsa_system_sgpr_workgroup_id_y 0
		.amdhsa_system_sgpr_workgroup_id_z 0
		.amdhsa_system_sgpr_workgroup_info 0
		.amdhsa_system_vgpr_workitem_id 0
		.amdhsa_next_free_vgpr 1
		.amdhsa_next_free_sgpr 1
		.amdhsa_reserve_vcc 0
		.amdhsa_float_round_mode_32 0
		.amdhsa_float_round_mode_16_64 0
		.amdhsa_float_denorm_mode_32 3
		.amdhsa_float_denorm_mode_16_64 3
		.amdhsa_fp16_overflow 0
		.amdhsa_workgroup_processor_mode 1
		.amdhsa_memory_ordered 1
		.amdhsa_forward_progress 1
		.amdhsa_inst_pref_size 0
		.amdhsa_round_robin_scheduling 0
		.amdhsa_exception_fp_ieee_invalid_op 0
		.amdhsa_exception_fp_denorm_src 0
		.amdhsa_exception_fp_ieee_div_zero 0
		.amdhsa_exception_fp_ieee_overflow 0
		.amdhsa_exception_fp_ieee_underflow 0
		.amdhsa_exception_fp_ieee_inexact 0
		.amdhsa_exception_int_div_zero 0
	.end_amdhsa_kernel
	.section	.text._ZN7rocprim17ROCPRIM_400000_NS6detail17trampoline_kernelINS0_14default_configENS1_25partition_config_selectorILNS1_17partition_subalgoE6EsNS0_10empty_typeEbEEZZNS1_14partition_implILS5_6ELb0ES3_mN6thrust23THRUST_200600_302600_NS6detail15normal_iteratorINSA_10device_ptrIsEEEEPS6_SG_NS0_5tupleIJSF_S6_EEENSH_IJSG_SG_EEES6_PlJNSB_9not_fun_tI7is_evenIsEEEEEE10hipError_tPvRmT3_T4_T5_T6_T7_T9_mT8_P12ihipStream_tbDpT10_ENKUlT_T0_E_clISt17integral_constantIbLb1EES17_IbLb0EEEEDaS13_S14_EUlS13_E_NS1_11comp_targetILNS1_3genE9ELNS1_11target_archE1100ELNS1_3gpuE3ELNS1_3repE0EEENS1_30default_config_static_selectorELNS0_4arch9wavefront6targetE0EEEvT1_,"axG",@progbits,_ZN7rocprim17ROCPRIM_400000_NS6detail17trampoline_kernelINS0_14default_configENS1_25partition_config_selectorILNS1_17partition_subalgoE6EsNS0_10empty_typeEbEEZZNS1_14partition_implILS5_6ELb0ES3_mN6thrust23THRUST_200600_302600_NS6detail15normal_iteratorINSA_10device_ptrIsEEEEPS6_SG_NS0_5tupleIJSF_S6_EEENSH_IJSG_SG_EEES6_PlJNSB_9not_fun_tI7is_evenIsEEEEEE10hipError_tPvRmT3_T4_T5_T6_T7_T9_mT8_P12ihipStream_tbDpT10_ENKUlT_T0_E_clISt17integral_constantIbLb1EES17_IbLb0EEEEDaS13_S14_EUlS13_E_NS1_11comp_targetILNS1_3genE9ELNS1_11target_archE1100ELNS1_3gpuE3ELNS1_3repE0EEENS1_30default_config_static_selectorELNS0_4arch9wavefront6targetE0EEEvT1_,comdat
.Lfunc_end779:
	.size	_ZN7rocprim17ROCPRIM_400000_NS6detail17trampoline_kernelINS0_14default_configENS1_25partition_config_selectorILNS1_17partition_subalgoE6EsNS0_10empty_typeEbEEZZNS1_14partition_implILS5_6ELb0ES3_mN6thrust23THRUST_200600_302600_NS6detail15normal_iteratorINSA_10device_ptrIsEEEEPS6_SG_NS0_5tupleIJSF_S6_EEENSH_IJSG_SG_EEES6_PlJNSB_9not_fun_tI7is_evenIsEEEEEE10hipError_tPvRmT3_T4_T5_T6_T7_T9_mT8_P12ihipStream_tbDpT10_ENKUlT_T0_E_clISt17integral_constantIbLb1EES17_IbLb0EEEEDaS13_S14_EUlS13_E_NS1_11comp_targetILNS1_3genE9ELNS1_11target_archE1100ELNS1_3gpuE3ELNS1_3repE0EEENS1_30default_config_static_selectorELNS0_4arch9wavefront6targetE0EEEvT1_, .Lfunc_end779-_ZN7rocprim17ROCPRIM_400000_NS6detail17trampoline_kernelINS0_14default_configENS1_25partition_config_selectorILNS1_17partition_subalgoE6EsNS0_10empty_typeEbEEZZNS1_14partition_implILS5_6ELb0ES3_mN6thrust23THRUST_200600_302600_NS6detail15normal_iteratorINSA_10device_ptrIsEEEEPS6_SG_NS0_5tupleIJSF_S6_EEENSH_IJSG_SG_EEES6_PlJNSB_9not_fun_tI7is_evenIsEEEEEE10hipError_tPvRmT3_T4_T5_T6_T7_T9_mT8_P12ihipStream_tbDpT10_ENKUlT_T0_E_clISt17integral_constantIbLb1EES17_IbLb0EEEEDaS13_S14_EUlS13_E_NS1_11comp_targetILNS1_3genE9ELNS1_11target_archE1100ELNS1_3gpuE3ELNS1_3repE0EEENS1_30default_config_static_selectorELNS0_4arch9wavefront6targetE0EEEvT1_
                                        ; -- End function
	.set _ZN7rocprim17ROCPRIM_400000_NS6detail17trampoline_kernelINS0_14default_configENS1_25partition_config_selectorILNS1_17partition_subalgoE6EsNS0_10empty_typeEbEEZZNS1_14partition_implILS5_6ELb0ES3_mN6thrust23THRUST_200600_302600_NS6detail15normal_iteratorINSA_10device_ptrIsEEEEPS6_SG_NS0_5tupleIJSF_S6_EEENSH_IJSG_SG_EEES6_PlJNSB_9not_fun_tI7is_evenIsEEEEEE10hipError_tPvRmT3_T4_T5_T6_T7_T9_mT8_P12ihipStream_tbDpT10_ENKUlT_T0_E_clISt17integral_constantIbLb1EES17_IbLb0EEEEDaS13_S14_EUlS13_E_NS1_11comp_targetILNS1_3genE9ELNS1_11target_archE1100ELNS1_3gpuE3ELNS1_3repE0EEENS1_30default_config_static_selectorELNS0_4arch9wavefront6targetE0EEEvT1_.num_vgpr, 0
	.set _ZN7rocprim17ROCPRIM_400000_NS6detail17trampoline_kernelINS0_14default_configENS1_25partition_config_selectorILNS1_17partition_subalgoE6EsNS0_10empty_typeEbEEZZNS1_14partition_implILS5_6ELb0ES3_mN6thrust23THRUST_200600_302600_NS6detail15normal_iteratorINSA_10device_ptrIsEEEEPS6_SG_NS0_5tupleIJSF_S6_EEENSH_IJSG_SG_EEES6_PlJNSB_9not_fun_tI7is_evenIsEEEEEE10hipError_tPvRmT3_T4_T5_T6_T7_T9_mT8_P12ihipStream_tbDpT10_ENKUlT_T0_E_clISt17integral_constantIbLb1EES17_IbLb0EEEEDaS13_S14_EUlS13_E_NS1_11comp_targetILNS1_3genE9ELNS1_11target_archE1100ELNS1_3gpuE3ELNS1_3repE0EEENS1_30default_config_static_selectorELNS0_4arch9wavefront6targetE0EEEvT1_.num_agpr, 0
	.set _ZN7rocprim17ROCPRIM_400000_NS6detail17trampoline_kernelINS0_14default_configENS1_25partition_config_selectorILNS1_17partition_subalgoE6EsNS0_10empty_typeEbEEZZNS1_14partition_implILS5_6ELb0ES3_mN6thrust23THRUST_200600_302600_NS6detail15normal_iteratorINSA_10device_ptrIsEEEEPS6_SG_NS0_5tupleIJSF_S6_EEENSH_IJSG_SG_EEES6_PlJNSB_9not_fun_tI7is_evenIsEEEEEE10hipError_tPvRmT3_T4_T5_T6_T7_T9_mT8_P12ihipStream_tbDpT10_ENKUlT_T0_E_clISt17integral_constantIbLb1EES17_IbLb0EEEEDaS13_S14_EUlS13_E_NS1_11comp_targetILNS1_3genE9ELNS1_11target_archE1100ELNS1_3gpuE3ELNS1_3repE0EEENS1_30default_config_static_selectorELNS0_4arch9wavefront6targetE0EEEvT1_.numbered_sgpr, 0
	.set _ZN7rocprim17ROCPRIM_400000_NS6detail17trampoline_kernelINS0_14default_configENS1_25partition_config_selectorILNS1_17partition_subalgoE6EsNS0_10empty_typeEbEEZZNS1_14partition_implILS5_6ELb0ES3_mN6thrust23THRUST_200600_302600_NS6detail15normal_iteratorINSA_10device_ptrIsEEEEPS6_SG_NS0_5tupleIJSF_S6_EEENSH_IJSG_SG_EEES6_PlJNSB_9not_fun_tI7is_evenIsEEEEEE10hipError_tPvRmT3_T4_T5_T6_T7_T9_mT8_P12ihipStream_tbDpT10_ENKUlT_T0_E_clISt17integral_constantIbLb1EES17_IbLb0EEEEDaS13_S14_EUlS13_E_NS1_11comp_targetILNS1_3genE9ELNS1_11target_archE1100ELNS1_3gpuE3ELNS1_3repE0EEENS1_30default_config_static_selectorELNS0_4arch9wavefront6targetE0EEEvT1_.num_named_barrier, 0
	.set _ZN7rocprim17ROCPRIM_400000_NS6detail17trampoline_kernelINS0_14default_configENS1_25partition_config_selectorILNS1_17partition_subalgoE6EsNS0_10empty_typeEbEEZZNS1_14partition_implILS5_6ELb0ES3_mN6thrust23THRUST_200600_302600_NS6detail15normal_iteratorINSA_10device_ptrIsEEEEPS6_SG_NS0_5tupleIJSF_S6_EEENSH_IJSG_SG_EEES6_PlJNSB_9not_fun_tI7is_evenIsEEEEEE10hipError_tPvRmT3_T4_T5_T6_T7_T9_mT8_P12ihipStream_tbDpT10_ENKUlT_T0_E_clISt17integral_constantIbLb1EES17_IbLb0EEEEDaS13_S14_EUlS13_E_NS1_11comp_targetILNS1_3genE9ELNS1_11target_archE1100ELNS1_3gpuE3ELNS1_3repE0EEENS1_30default_config_static_selectorELNS0_4arch9wavefront6targetE0EEEvT1_.private_seg_size, 0
	.set _ZN7rocprim17ROCPRIM_400000_NS6detail17trampoline_kernelINS0_14default_configENS1_25partition_config_selectorILNS1_17partition_subalgoE6EsNS0_10empty_typeEbEEZZNS1_14partition_implILS5_6ELb0ES3_mN6thrust23THRUST_200600_302600_NS6detail15normal_iteratorINSA_10device_ptrIsEEEEPS6_SG_NS0_5tupleIJSF_S6_EEENSH_IJSG_SG_EEES6_PlJNSB_9not_fun_tI7is_evenIsEEEEEE10hipError_tPvRmT3_T4_T5_T6_T7_T9_mT8_P12ihipStream_tbDpT10_ENKUlT_T0_E_clISt17integral_constantIbLb1EES17_IbLb0EEEEDaS13_S14_EUlS13_E_NS1_11comp_targetILNS1_3genE9ELNS1_11target_archE1100ELNS1_3gpuE3ELNS1_3repE0EEENS1_30default_config_static_selectorELNS0_4arch9wavefront6targetE0EEEvT1_.uses_vcc, 0
	.set _ZN7rocprim17ROCPRIM_400000_NS6detail17trampoline_kernelINS0_14default_configENS1_25partition_config_selectorILNS1_17partition_subalgoE6EsNS0_10empty_typeEbEEZZNS1_14partition_implILS5_6ELb0ES3_mN6thrust23THRUST_200600_302600_NS6detail15normal_iteratorINSA_10device_ptrIsEEEEPS6_SG_NS0_5tupleIJSF_S6_EEENSH_IJSG_SG_EEES6_PlJNSB_9not_fun_tI7is_evenIsEEEEEE10hipError_tPvRmT3_T4_T5_T6_T7_T9_mT8_P12ihipStream_tbDpT10_ENKUlT_T0_E_clISt17integral_constantIbLb1EES17_IbLb0EEEEDaS13_S14_EUlS13_E_NS1_11comp_targetILNS1_3genE9ELNS1_11target_archE1100ELNS1_3gpuE3ELNS1_3repE0EEENS1_30default_config_static_selectorELNS0_4arch9wavefront6targetE0EEEvT1_.uses_flat_scratch, 0
	.set _ZN7rocprim17ROCPRIM_400000_NS6detail17trampoline_kernelINS0_14default_configENS1_25partition_config_selectorILNS1_17partition_subalgoE6EsNS0_10empty_typeEbEEZZNS1_14partition_implILS5_6ELb0ES3_mN6thrust23THRUST_200600_302600_NS6detail15normal_iteratorINSA_10device_ptrIsEEEEPS6_SG_NS0_5tupleIJSF_S6_EEENSH_IJSG_SG_EEES6_PlJNSB_9not_fun_tI7is_evenIsEEEEEE10hipError_tPvRmT3_T4_T5_T6_T7_T9_mT8_P12ihipStream_tbDpT10_ENKUlT_T0_E_clISt17integral_constantIbLb1EES17_IbLb0EEEEDaS13_S14_EUlS13_E_NS1_11comp_targetILNS1_3genE9ELNS1_11target_archE1100ELNS1_3gpuE3ELNS1_3repE0EEENS1_30default_config_static_selectorELNS0_4arch9wavefront6targetE0EEEvT1_.has_dyn_sized_stack, 0
	.set _ZN7rocprim17ROCPRIM_400000_NS6detail17trampoline_kernelINS0_14default_configENS1_25partition_config_selectorILNS1_17partition_subalgoE6EsNS0_10empty_typeEbEEZZNS1_14partition_implILS5_6ELb0ES3_mN6thrust23THRUST_200600_302600_NS6detail15normal_iteratorINSA_10device_ptrIsEEEEPS6_SG_NS0_5tupleIJSF_S6_EEENSH_IJSG_SG_EEES6_PlJNSB_9not_fun_tI7is_evenIsEEEEEE10hipError_tPvRmT3_T4_T5_T6_T7_T9_mT8_P12ihipStream_tbDpT10_ENKUlT_T0_E_clISt17integral_constantIbLb1EES17_IbLb0EEEEDaS13_S14_EUlS13_E_NS1_11comp_targetILNS1_3genE9ELNS1_11target_archE1100ELNS1_3gpuE3ELNS1_3repE0EEENS1_30default_config_static_selectorELNS0_4arch9wavefront6targetE0EEEvT1_.has_recursion, 0
	.set _ZN7rocprim17ROCPRIM_400000_NS6detail17trampoline_kernelINS0_14default_configENS1_25partition_config_selectorILNS1_17partition_subalgoE6EsNS0_10empty_typeEbEEZZNS1_14partition_implILS5_6ELb0ES3_mN6thrust23THRUST_200600_302600_NS6detail15normal_iteratorINSA_10device_ptrIsEEEEPS6_SG_NS0_5tupleIJSF_S6_EEENSH_IJSG_SG_EEES6_PlJNSB_9not_fun_tI7is_evenIsEEEEEE10hipError_tPvRmT3_T4_T5_T6_T7_T9_mT8_P12ihipStream_tbDpT10_ENKUlT_T0_E_clISt17integral_constantIbLb1EES17_IbLb0EEEEDaS13_S14_EUlS13_E_NS1_11comp_targetILNS1_3genE9ELNS1_11target_archE1100ELNS1_3gpuE3ELNS1_3repE0EEENS1_30default_config_static_selectorELNS0_4arch9wavefront6targetE0EEEvT1_.has_indirect_call, 0
	.section	.AMDGPU.csdata,"",@progbits
; Kernel info:
; codeLenInByte = 0
; TotalNumSgprs: 0
; NumVgprs: 0
; ScratchSize: 0
; MemoryBound: 0
; FloatMode: 240
; IeeeMode: 1
; LDSByteSize: 0 bytes/workgroup (compile time only)
; SGPRBlocks: 0
; VGPRBlocks: 0
; NumSGPRsForWavesPerEU: 1
; NumVGPRsForWavesPerEU: 1
; Occupancy: 16
; WaveLimiterHint : 0
; COMPUTE_PGM_RSRC2:SCRATCH_EN: 0
; COMPUTE_PGM_RSRC2:USER_SGPR: 2
; COMPUTE_PGM_RSRC2:TRAP_HANDLER: 0
; COMPUTE_PGM_RSRC2:TGID_X_EN: 1
; COMPUTE_PGM_RSRC2:TGID_Y_EN: 0
; COMPUTE_PGM_RSRC2:TGID_Z_EN: 0
; COMPUTE_PGM_RSRC2:TIDIG_COMP_CNT: 0
	.section	.text._ZN7rocprim17ROCPRIM_400000_NS6detail17trampoline_kernelINS0_14default_configENS1_25partition_config_selectorILNS1_17partition_subalgoE6EsNS0_10empty_typeEbEEZZNS1_14partition_implILS5_6ELb0ES3_mN6thrust23THRUST_200600_302600_NS6detail15normal_iteratorINSA_10device_ptrIsEEEEPS6_SG_NS0_5tupleIJSF_S6_EEENSH_IJSG_SG_EEES6_PlJNSB_9not_fun_tI7is_evenIsEEEEEE10hipError_tPvRmT3_T4_T5_T6_T7_T9_mT8_P12ihipStream_tbDpT10_ENKUlT_T0_E_clISt17integral_constantIbLb1EES17_IbLb0EEEEDaS13_S14_EUlS13_E_NS1_11comp_targetILNS1_3genE8ELNS1_11target_archE1030ELNS1_3gpuE2ELNS1_3repE0EEENS1_30default_config_static_selectorELNS0_4arch9wavefront6targetE0EEEvT1_,"axG",@progbits,_ZN7rocprim17ROCPRIM_400000_NS6detail17trampoline_kernelINS0_14default_configENS1_25partition_config_selectorILNS1_17partition_subalgoE6EsNS0_10empty_typeEbEEZZNS1_14partition_implILS5_6ELb0ES3_mN6thrust23THRUST_200600_302600_NS6detail15normal_iteratorINSA_10device_ptrIsEEEEPS6_SG_NS0_5tupleIJSF_S6_EEENSH_IJSG_SG_EEES6_PlJNSB_9not_fun_tI7is_evenIsEEEEEE10hipError_tPvRmT3_T4_T5_T6_T7_T9_mT8_P12ihipStream_tbDpT10_ENKUlT_T0_E_clISt17integral_constantIbLb1EES17_IbLb0EEEEDaS13_S14_EUlS13_E_NS1_11comp_targetILNS1_3genE8ELNS1_11target_archE1030ELNS1_3gpuE2ELNS1_3repE0EEENS1_30default_config_static_selectorELNS0_4arch9wavefront6targetE0EEEvT1_,comdat
	.protected	_ZN7rocprim17ROCPRIM_400000_NS6detail17trampoline_kernelINS0_14default_configENS1_25partition_config_selectorILNS1_17partition_subalgoE6EsNS0_10empty_typeEbEEZZNS1_14partition_implILS5_6ELb0ES3_mN6thrust23THRUST_200600_302600_NS6detail15normal_iteratorINSA_10device_ptrIsEEEEPS6_SG_NS0_5tupleIJSF_S6_EEENSH_IJSG_SG_EEES6_PlJNSB_9not_fun_tI7is_evenIsEEEEEE10hipError_tPvRmT3_T4_T5_T6_T7_T9_mT8_P12ihipStream_tbDpT10_ENKUlT_T0_E_clISt17integral_constantIbLb1EES17_IbLb0EEEEDaS13_S14_EUlS13_E_NS1_11comp_targetILNS1_3genE8ELNS1_11target_archE1030ELNS1_3gpuE2ELNS1_3repE0EEENS1_30default_config_static_selectorELNS0_4arch9wavefront6targetE0EEEvT1_ ; -- Begin function _ZN7rocprim17ROCPRIM_400000_NS6detail17trampoline_kernelINS0_14default_configENS1_25partition_config_selectorILNS1_17partition_subalgoE6EsNS0_10empty_typeEbEEZZNS1_14partition_implILS5_6ELb0ES3_mN6thrust23THRUST_200600_302600_NS6detail15normal_iteratorINSA_10device_ptrIsEEEEPS6_SG_NS0_5tupleIJSF_S6_EEENSH_IJSG_SG_EEES6_PlJNSB_9not_fun_tI7is_evenIsEEEEEE10hipError_tPvRmT3_T4_T5_T6_T7_T9_mT8_P12ihipStream_tbDpT10_ENKUlT_T0_E_clISt17integral_constantIbLb1EES17_IbLb0EEEEDaS13_S14_EUlS13_E_NS1_11comp_targetILNS1_3genE8ELNS1_11target_archE1030ELNS1_3gpuE2ELNS1_3repE0EEENS1_30default_config_static_selectorELNS0_4arch9wavefront6targetE0EEEvT1_
	.globl	_ZN7rocprim17ROCPRIM_400000_NS6detail17trampoline_kernelINS0_14default_configENS1_25partition_config_selectorILNS1_17partition_subalgoE6EsNS0_10empty_typeEbEEZZNS1_14partition_implILS5_6ELb0ES3_mN6thrust23THRUST_200600_302600_NS6detail15normal_iteratorINSA_10device_ptrIsEEEEPS6_SG_NS0_5tupleIJSF_S6_EEENSH_IJSG_SG_EEES6_PlJNSB_9not_fun_tI7is_evenIsEEEEEE10hipError_tPvRmT3_T4_T5_T6_T7_T9_mT8_P12ihipStream_tbDpT10_ENKUlT_T0_E_clISt17integral_constantIbLb1EES17_IbLb0EEEEDaS13_S14_EUlS13_E_NS1_11comp_targetILNS1_3genE8ELNS1_11target_archE1030ELNS1_3gpuE2ELNS1_3repE0EEENS1_30default_config_static_selectorELNS0_4arch9wavefront6targetE0EEEvT1_
	.p2align	8
	.type	_ZN7rocprim17ROCPRIM_400000_NS6detail17trampoline_kernelINS0_14default_configENS1_25partition_config_selectorILNS1_17partition_subalgoE6EsNS0_10empty_typeEbEEZZNS1_14partition_implILS5_6ELb0ES3_mN6thrust23THRUST_200600_302600_NS6detail15normal_iteratorINSA_10device_ptrIsEEEEPS6_SG_NS0_5tupleIJSF_S6_EEENSH_IJSG_SG_EEES6_PlJNSB_9not_fun_tI7is_evenIsEEEEEE10hipError_tPvRmT3_T4_T5_T6_T7_T9_mT8_P12ihipStream_tbDpT10_ENKUlT_T0_E_clISt17integral_constantIbLb1EES17_IbLb0EEEEDaS13_S14_EUlS13_E_NS1_11comp_targetILNS1_3genE8ELNS1_11target_archE1030ELNS1_3gpuE2ELNS1_3repE0EEENS1_30default_config_static_selectorELNS0_4arch9wavefront6targetE0EEEvT1_,@function
_ZN7rocprim17ROCPRIM_400000_NS6detail17trampoline_kernelINS0_14default_configENS1_25partition_config_selectorILNS1_17partition_subalgoE6EsNS0_10empty_typeEbEEZZNS1_14partition_implILS5_6ELb0ES3_mN6thrust23THRUST_200600_302600_NS6detail15normal_iteratorINSA_10device_ptrIsEEEEPS6_SG_NS0_5tupleIJSF_S6_EEENSH_IJSG_SG_EEES6_PlJNSB_9not_fun_tI7is_evenIsEEEEEE10hipError_tPvRmT3_T4_T5_T6_T7_T9_mT8_P12ihipStream_tbDpT10_ENKUlT_T0_E_clISt17integral_constantIbLb1EES17_IbLb0EEEEDaS13_S14_EUlS13_E_NS1_11comp_targetILNS1_3genE8ELNS1_11target_archE1030ELNS1_3gpuE2ELNS1_3repE0EEENS1_30default_config_static_selectorELNS0_4arch9wavefront6targetE0EEEvT1_: ; @_ZN7rocprim17ROCPRIM_400000_NS6detail17trampoline_kernelINS0_14default_configENS1_25partition_config_selectorILNS1_17partition_subalgoE6EsNS0_10empty_typeEbEEZZNS1_14partition_implILS5_6ELb0ES3_mN6thrust23THRUST_200600_302600_NS6detail15normal_iteratorINSA_10device_ptrIsEEEEPS6_SG_NS0_5tupleIJSF_S6_EEENSH_IJSG_SG_EEES6_PlJNSB_9not_fun_tI7is_evenIsEEEEEE10hipError_tPvRmT3_T4_T5_T6_T7_T9_mT8_P12ihipStream_tbDpT10_ENKUlT_T0_E_clISt17integral_constantIbLb1EES17_IbLb0EEEEDaS13_S14_EUlS13_E_NS1_11comp_targetILNS1_3genE8ELNS1_11target_archE1030ELNS1_3gpuE2ELNS1_3repE0EEENS1_30default_config_static_selectorELNS0_4arch9wavefront6targetE0EEEvT1_
; %bb.0:
	.section	.rodata,"a",@progbits
	.p2align	6, 0x0
	.amdhsa_kernel _ZN7rocprim17ROCPRIM_400000_NS6detail17trampoline_kernelINS0_14default_configENS1_25partition_config_selectorILNS1_17partition_subalgoE6EsNS0_10empty_typeEbEEZZNS1_14partition_implILS5_6ELb0ES3_mN6thrust23THRUST_200600_302600_NS6detail15normal_iteratorINSA_10device_ptrIsEEEEPS6_SG_NS0_5tupleIJSF_S6_EEENSH_IJSG_SG_EEES6_PlJNSB_9not_fun_tI7is_evenIsEEEEEE10hipError_tPvRmT3_T4_T5_T6_T7_T9_mT8_P12ihipStream_tbDpT10_ENKUlT_T0_E_clISt17integral_constantIbLb1EES17_IbLb0EEEEDaS13_S14_EUlS13_E_NS1_11comp_targetILNS1_3genE8ELNS1_11target_archE1030ELNS1_3gpuE2ELNS1_3repE0EEENS1_30default_config_static_selectorELNS0_4arch9wavefront6targetE0EEEvT1_
		.amdhsa_group_segment_fixed_size 0
		.amdhsa_private_segment_fixed_size 0
		.amdhsa_kernarg_size 112
		.amdhsa_user_sgpr_count 2
		.amdhsa_user_sgpr_dispatch_ptr 0
		.amdhsa_user_sgpr_queue_ptr 0
		.amdhsa_user_sgpr_kernarg_segment_ptr 1
		.amdhsa_user_sgpr_dispatch_id 0
		.amdhsa_user_sgpr_private_segment_size 0
		.amdhsa_wavefront_size32 1
		.amdhsa_uses_dynamic_stack 0
		.amdhsa_enable_private_segment 0
		.amdhsa_system_sgpr_workgroup_id_x 1
		.amdhsa_system_sgpr_workgroup_id_y 0
		.amdhsa_system_sgpr_workgroup_id_z 0
		.amdhsa_system_sgpr_workgroup_info 0
		.amdhsa_system_vgpr_workitem_id 0
		.amdhsa_next_free_vgpr 1
		.amdhsa_next_free_sgpr 1
		.amdhsa_reserve_vcc 0
		.amdhsa_float_round_mode_32 0
		.amdhsa_float_round_mode_16_64 0
		.amdhsa_float_denorm_mode_32 3
		.amdhsa_float_denorm_mode_16_64 3
		.amdhsa_fp16_overflow 0
		.amdhsa_workgroup_processor_mode 1
		.amdhsa_memory_ordered 1
		.amdhsa_forward_progress 1
		.amdhsa_inst_pref_size 0
		.amdhsa_round_robin_scheduling 0
		.amdhsa_exception_fp_ieee_invalid_op 0
		.amdhsa_exception_fp_denorm_src 0
		.amdhsa_exception_fp_ieee_div_zero 0
		.amdhsa_exception_fp_ieee_overflow 0
		.amdhsa_exception_fp_ieee_underflow 0
		.amdhsa_exception_fp_ieee_inexact 0
		.amdhsa_exception_int_div_zero 0
	.end_amdhsa_kernel
	.section	.text._ZN7rocprim17ROCPRIM_400000_NS6detail17trampoline_kernelINS0_14default_configENS1_25partition_config_selectorILNS1_17partition_subalgoE6EsNS0_10empty_typeEbEEZZNS1_14partition_implILS5_6ELb0ES3_mN6thrust23THRUST_200600_302600_NS6detail15normal_iteratorINSA_10device_ptrIsEEEEPS6_SG_NS0_5tupleIJSF_S6_EEENSH_IJSG_SG_EEES6_PlJNSB_9not_fun_tI7is_evenIsEEEEEE10hipError_tPvRmT3_T4_T5_T6_T7_T9_mT8_P12ihipStream_tbDpT10_ENKUlT_T0_E_clISt17integral_constantIbLb1EES17_IbLb0EEEEDaS13_S14_EUlS13_E_NS1_11comp_targetILNS1_3genE8ELNS1_11target_archE1030ELNS1_3gpuE2ELNS1_3repE0EEENS1_30default_config_static_selectorELNS0_4arch9wavefront6targetE0EEEvT1_,"axG",@progbits,_ZN7rocprim17ROCPRIM_400000_NS6detail17trampoline_kernelINS0_14default_configENS1_25partition_config_selectorILNS1_17partition_subalgoE6EsNS0_10empty_typeEbEEZZNS1_14partition_implILS5_6ELb0ES3_mN6thrust23THRUST_200600_302600_NS6detail15normal_iteratorINSA_10device_ptrIsEEEEPS6_SG_NS0_5tupleIJSF_S6_EEENSH_IJSG_SG_EEES6_PlJNSB_9not_fun_tI7is_evenIsEEEEEE10hipError_tPvRmT3_T4_T5_T6_T7_T9_mT8_P12ihipStream_tbDpT10_ENKUlT_T0_E_clISt17integral_constantIbLb1EES17_IbLb0EEEEDaS13_S14_EUlS13_E_NS1_11comp_targetILNS1_3genE8ELNS1_11target_archE1030ELNS1_3gpuE2ELNS1_3repE0EEENS1_30default_config_static_selectorELNS0_4arch9wavefront6targetE0EEEvT1_,comdat
.Lfunc_end780:
	.size	_ZN7rocprim17ROCPRIM_400000_NS6detail17trampoline_kernelINS0_14default_configENS1_25partition_config_selectorILNS1_17partition_subalgoE6EsNS0_10empty_typeEbEEZZNS1_14partition_implILS5_6ELb0ES3_mN6thrust23THRUST_200600_302600_NS6detail15normal_iteratorINSA_10device_ptrIsEEEEPS6_SG_NS0_5tupleIJSF_S6_EEENSH_IJSG_SG_EEES6_PlJNSB_9not_fun_tI7is_evenIsEEEEEE10hipError_tPvRmT3_T4_T5_T6_T7_T9_mT8_P12ihipStream_tbDpT10_ENKUlT_T0_E_clISt17integral_constantIbLb1EES17_IbLb0EEEEDaS13_S14_EUlS13_E_NS1_11comp_targetILNS1_3genE8ELNS1_11target_archE1030ELNS1_3gpuE2ELNS1_3repE0EEENS1_30default_config_static_selectorELNS0_4arch9wavefront6targetE0EEEvT1_, .Lfunc_end780-_ZN7rocprim17ROCPRIM_400000_NS6detail17trampoline_kernelINS0_14default_configENS1_25partition_config_selectorILNS1_17partition_subalgoE6EsNS0_10empty_typeEbEEZZNS1_14partition_implILS5_6ELb0ES3_mN6thrust23THRUST_200600_302600_NS6detail15normal_iteratorINSA_10device_ptrIsEEEEPS6_SG_NS0_5tupleIJSF_S6_EEENSH_IJSG_SG_EEES6_PlJNSB_9not_fun_tI7is_evenIsEEEEEE10hipError_tPvRmT3_T4_T5_T6_T7_T9_mT8_P12ihipStream_tbDpT10_ENKUlT_T0_E_clISt17integral_constantIbLb1EES17_IbLb0EEEEDaS13_S14_EUlS13_E_NS1_11comp_targetILNS1_3genE8ELNS1_11target_archE1030ELNS1_3gpuE2ELNS1_3repE0EEENS1_30default_config_static_selectorELNS0_4arch9wavefront6targetE0EEEvT1_
                                        ; -- End function
	.set _ZN7rocprim17ROCPRIM_400000_NS6detail17trampoline_kernelINS0_14default_configENS1_25partition_config_selectorILNS1_17partition_subalgoE6EsNS0_10empty_typeEbEEZZNS1_14partition_implILS5_6ELb0ES3_mN6thrust23THRUST_200600_302600_NS6detail15normal_iteratorINSA_10device_ptrIsEEEEPS6_SG_NS0_5tupleIJSF_S6_EEENSH_IJSG_SG_EEES6_PlJNSB_9not_fun_tI7is_evenIsEEEEEE10hipError_tPvRmT3_T4_T5_T6_T7_T9_mT8_P12ihipStream_tbDpT10_ENKUlT_T0_E_clISt17integral_constantIbLb1EES17_IbLb0EEEEDaS13_S14_EUlS13_E_NS1_11comp_targetILNS1_3genE8ELNS1_11target_archE1030ELNS1_3gpuE2ELNS1_3repE0EEENS1_30default_config_static_selectorELNS0_4arch9wavefront6targetE0EEEvT1_.num_vgpr, 0
	.set _ZN7rocprim17ROCPRIM_400000_NS6detail17trampoline_kernelINS0_14default_configENS1_25partition_config_selectorILNS1_17partition_subalgoE6EsNS0_10empty_typeEbEEZZNS1_14partition_implILS5_6ELb0ES3_mN6thrust23THRUST_200600_302600_NS6detail15normal_iteratorINSA_10device_ptrIsEEEEPS6_SG_NS0_5tupleIJSF_S6_EEENSH_IJSG_SG_EEES6_PlJNSB_9not_fun_tI7is_evenIsEEEEEE10hipError_tPvRmT3_T4_T5_T6_T7_T9_mT8_P12ihipStream_tbDpT10_ENKUlT_T0_E_clISt17integral_constantIbLb1EES17_IbLb0EEEEDaS13_S14_EUlS13_E_NS1_11comp_targetILNS1_3genE8ELNS1_11target_archE1030ELNS1_3gpuE2ELNS1_3repE0EEENS1_30default_config_static_selectorELNS0_4arch9wavefront6targetE0EEEvT1_.num_agpr, 0
	.set _ZN7rocprim17ROCPRIM_400000_NS6detail17trampoline_kernelINS0_14default_configENS1_25partition_config_selectorILNS1_17partition_subalgoE6EsNS0_10empty_typeEbEEZZNS1_14partition_implILS5_6ELb0ES3_mN6thrust23THRUST_200600_302600_NS6detail15normal_iteratorINSA_10device_ptrIsEEEEPS6_SG_NS0_5tupleIJSF_S6_EEENSH_IJSG_SG_EEES6_PlJNSB_9not_fun_tI7is_evenIsEEEEEE10hipError_tPvRmT3_T4_T5_T6_T7_T9_mT8_P12ihipStream_tbDpT10_ENKUlT_T0_E_clISt17integral_constantIbLb1EES17_IbLb0EEEEDaS13_S14_EUlS13_E_NS1_11comp_targetILNS1_3genE8ELNS1_11target_archE1030ELNS1_3gpuE2ELNS1_3repE0EEENS1_30default_config_static_selectorELNS0_4arch9wavefront6targetE0EEEvT1_.numbered_sgpr, 0
	.set _ZN7rocprim17ROCPRIM_400000_NS6detail17trampoline_kernelINS0_14default_configENS1_25partition_config_selectorILNS1_17partition_subalgoE6EsNS0_10empty_typeEbEEZZNS1_14partition_implILS5_6ELb0ES3_mN6thrust23THRUST_200600_302600_NS6detail15normal_iteratorINSA_10device_ptrIsEEEEPS6_SG_NS0_5tupleIJSF_S6_EEENSH_IJSG_SG_EEES6_PlJNSB_9not_fun_tI7is_evenIsEEEEEE10hipError_tPvRmT3_T4_T5_T6_T7_T9_mT8_P12ihipStream_tbDpT10_ENKUlT_T0_E_clISt17integral_constantIbLb1EES17_IbLb0EEEEDaS13_S14_EUlS13_E_NS1_11comp_targetILNS1_3genE8ELNS1_11target_archE1030ELNS1_3gpuE2ELNS1_3repE0EEENS1_30default_config_static_selectorELNS0_4arch9wavefront6targetE0EEEvT1_.num_named_barrier, 0
	.set _ZN7rocprim17ROCPRIM_400000_NS6detail17trampoline_kernelINS0_14default_configENS1_25partition_config_selectorILNS1_17partition_subalgoE6EsNS0_10empty_typeEbEEZZNS1_14partition_implILS5_6ELb0ES3_mN6thrust23THRUST_200600_302600_NS6detail15normal_iteratorINSA_10device_ptrIsEEEEPS6_SG_NS0_5tupleIJSF_S6_EEENSH_IJSG_SG_EEES6_PlJNSB_9not_fun_tI7is_evenIsEEEEEE10hipError_tPvRmT3_T4_T5_T6_T7_T9_mT8_P12ihipStream_tbDpT10_ENKUlT_T0_E_clISt17integral_constantIbLb1EES17_IbLb0EEEEDaS13_S14_EUlS13_E_NS1_11comp_targetILNS1_3genE8ELNS1_11target_archE1030ELNS1_3gpuE2ELNS1_3repE0EEENS1_30default_config_static_selectorELNS0_4arch9wavefront6targetE0EEEvT1_.private_seg_size, 0
	.set _ZN7rocprim17ROCPRIM_400000_NS6detail17trampoline_kernelINS0_14default_configENS1_25partition_config_selectorILNS1_17partition_subalgoE6EsNS0_10empty_typeEbEEZZNS1_14partition_implILS5_6ELb0ES3_mN6thrust23THRUST_200600_302600_NS6detail15normal_iteratorINSA_10device_ptrIsEEEEPS6_SG_NS0_5tupleIJSF_S6_EEENSH_IJSG_SG_EEES6_PlJNSB_9not_fun_tI7is_evenIsEEEEEE10hipError_tPvRmT3_T4_T5_T6_T7_T9_mT8_P12ihipStream_tbDpT10_ENKUlT_T0_E_clISt17integral_constantIbLb1EES17_IbLb0EEEEDaS13_S14_EUlS13_E_NS1_11comp_targetILNS1_3genE8ELNS1_11target_archE1030ELNS1_3gpuE2ELNS1_3repE0EEENS1_30default_config_static_selectorELNS0_4arch9wavefront6targetE0EEEvT1_.uses_vcc, 0
	.set _ZN7rocprim17ROCPRIM_400000_NS6detail17trampoline_kernelINS0_14default_configENS1_25partition_config_selectorILNS1_17partition_subalgoE6EsNS0_10empty_typeEbEEZZNS1_14partition_implILS5_6ELb0ES3_mN6thrust23THRUST_200600_302600_NS6detail15normal_iteratorINSA_10device_ptrIsEEEEPS6_SG_NS0_5tupleIJSF_S6_EEENSH_IJSG_SG_EEES6_PlJNSB_9not_fun_tI7is_evenIsEEEEEE10hipError_tPvRmT3_T4_T5_T6_T7_T9_mT8_P12ihipStream_tbDpT10_ENKUlT_T0_E_clISt17integral_constantIbLb1EES17_IbLb0EEEEDaS13_S14_EUlS13_E_NS1_11comp_targetILNS1_3genE8ELNS1_11target_archE1030ELNS1_3gpuE2ELNS1_3repE0EEENS1_30default_config_static_selectorELNS0_4arch9wavefront6targetE0EEEvT1_.uses_flat_scratch, 0
	.set _ZN7rocprim17ROCPRIM_400000_NS6detail17trampoline_kernelINS0_14default_configENS1_25partition_config_selectorILNS1_17partition_subalgoE6EsNS0_10empty_typeEbEEZZNS1_14partition_implILS5_6ELb0ES3_mN6thrust23THRUST_200600_302600_NS6detail15normal_iteratorINSA_10device_ptrIsEEEEPS6_SG_NS0_5tupleIJSF_S6_EEENSH_IJSG_SG_EEES6_PlJNSB_9not_fun_tI7is_evenIsEEEEEE10hipError_tPvRmT3_T4_T5_T6_T7_T9_mT8_P12ihipStream_tbDpT10_ENKUlT_T0_E_clISt17integral_constantIbLb1EES17_IbLb0EEEEDaS13_S14_EUlS13_E_NS1_11comp_targetILNS1_3genE8ELNS1_11target_archE1030ELNS1_3gpuE2ELNS1_3repE0EEENS1_30default_config_static_selectorELNS0_4arch9wavefront6targetE0EEEvT1_.has_dyn_sized_stack, 0
	.set _ZN7rocprim17ROCPRIM_400000_NS6detail17trampoline_kernelINS0_14default_configENS1_25partition_config_selectorILNS1_17partition_subalgoE6EsNS0_10empty_typeEbEEZZNS1_14partition_implILS5_6ELb0ES3_mN6thrust23THRUST_200600_302600_NS6detail15normal_iteratorINSA_10device_ptrIsEEEEPS6_SG_NS0_5tupleIJSF_S6_EEENSH_IJSG_SG_EEES6_PlJNSB_9not_fun_tI7is_evenIsEEEEEE10hipError_tPvRmT3_T4_T5_T6_T7_T9_mT8_P12ihipStream_tbDpT10_ENKUlT_T0_E_clISt17integral_constantIbLb1EES17_IbLb0EEEEDaS13_S14_EUlS13_E_NS1_11comp_targetILNS1_3genE8ELNS1_11target_archE1030ELNS1_3gpuE2ELNS1_3repE0EEENS1_30default_config_static_selectorELNS0_4arch9wavefront6targetE0EEEvT1_.has_recursion, 0
	.set _ZN7rocprim17ROCPRIM_400000_NS6detail17trampoline_kernelINS0_14default_configENS1_25partition_config_selectorILNS1_17partition_subalgoE6EsNS0_10empty_typeEbEEZZNS1_14partition_implILS5_6ELb0ES3_mN6thrust23THRUST_200600_302600_NS6detail15normal_iteratorINSA_10device_ptrIsEEEEPS6_SG_NS0_5tupleIJSF_S6_EEENSH_IJSG_SG_EEES6_PlJNSB_9not_fun_tI7is_evenIsEEEEEE10hipError_tPvRmT3_T4_T5_T6_T7_T9_mT8_P12ihipStream_tbDpT10_ENKUlT_T0_E_clISt17integral_constantIbLb1EES17_IbLb0EEEEDaS13_S14_EUlS13_E_NS1_11comp_targetILNS1_3genE8ELNS1_11target_archE1030ELNS1_3gpuE2ELNS1_3repE0EEENS1_30default_config_static_selectorELNS0_4arch9wavefront6targetE0EEEvT1_.has_indirect_call, 0
	.section	.AMDGPU.csdata,"",@progbits
; Kernel info:
; codeLenInByte = 0
; TotalNumSgprs: 0
; NumVgprs: 0
; ScratchSize: 0
; MemoryBound: 0
; FloatMode: 240
; IeeeMode: 1
; LDSByteSize: 0 bytes/workgroup (compile time only)
; SGPRBlocks: 0
; VGPRBlocks: 0
; NumSGPRsForWavesPerEU: 1
; NumVGPRsForWavesPerEU: 1
; Occupancy: 16
; WaveLimiterHint : 0
; COMPUTE_PGM_RSRC2:SCRATCH_EN: 0
; COMPUTE_PGM_RSRC2:USER_SGPR: 2
; COMPUTE_PGM_RSRC2:TRAP_HANDLER: 0
; COMPUTE_PGM_RSRC2:TGID_X_EN: 1
; COMPUTE_PGM_RSRC2:TGID_Y_EN: 0
; COMPUTE_PGM_RSRC2:TGID_Z_EN: 0
; COMPUTE_PGM_RSRC2:TIDIG_COMP_CNT: 0
	.section	.text._ZN7rocprim17ROCPRIM_400000_NS6detail17trampoline_kernelINS0_14default_configENS1_25partition_config_selectorILNS1_17partition_subalgoE6EsNS0_10empty_typeEbEEZZNS1_14partition_implILS5_6ELb0ES3_mN6thrust23THRUST_200600_302600_NS6detail15normal_iteratorINSA_10device_ptrIsEEEEPS6_SG_NS0_5tupleIJSF_S6_EEENSH_IJSG_SG_EEES6_PlJNSB_9not_fun_tI7is_evenIsEEEEEE10hipError_tPvRmT3_T4_T5_T6_T7_T9_mT8_P12ihipStream_tbDpT10_ENKUlT_T0_E_clISt17integral_constantIbLb0EES17_IbLb1EEEEDaS13_S14_EUlS13_E_NS1_11comp_targetILNS1_3genE0ELNS1_11target_archE4294967295ELNS1_3gpuE0ELNS1_3repE0EEENS1_30default_config_static_selectorELNS0_4arch9wavefront6targetE0EEEvT1_,"axG",@progbits,_ZN7rocprim17ROCPRIM_400000_NS6detail17trampoline_kernelINS0_14default_configENS1_25partition_config_selectorILNS1_17partition_subalgoE6EsNS0_10empty_typeEbEEZZNS1_14partition_implILS5_6ELb0ES3_mN6thrust23THRUST_200600_302600_NS6detail15normal_iteratorINSA_10device_ptrIsEEEEPS6_SG_NS0_5tupleIJSF_S6_EEENSH_IJSG_SG_EEES6_PlJNSB_9not_fun_tI7is_evenIsEEEEEE10hipError_tPvRmT3_T4_T5_T6_T7_T9_mT8_P12ihipStream_tbDpT10_ENKUlT_T0_E_clISt17integral_constantIbLb0EES17_IbLb1EEEEDaS13_S14_EUlS13_E_NS1_11comp_targetILNS1_3genE0ELNS1_11target_archE4294967295ELNS1_3gpuE0ELNS1_3repE0EEENS1_30default_config_static_selectorELNS0_4arch9wavefront6targetE0EEEvT1_,comdat
	.protected	_ZN7rocprim17ROCPRIM_400000_NS6detail17trampoline_kernelINS0_14default_configENS1_25partition_config_selectorILNS1_17partition_subalgoE6EsNS0_10empty_typeEbEEZZNS1_14partition_implILS5_6ELb0ES3_mN6thrust23THRUST_200600_302600_NS6detail15normal_iteratorINSA_10device_ptrIsEEEEPS6_SG_NS0_5tupleIJSF_S6_EEENSH_IJSG_SG_EEES6_PlJNSB_9not_fun_tI7is_evenIsEEEEEE10hipError_tPvRmT3_T4_T5_T6_T7_T9_mT8_P12ihipStream_tbDpT10_ENKUlT_T0_E_clISt17integral_constantIbLb0EES17_IbLb1EEEEDaS13_S14_EUlS13_E_NS1_11comp_targetILNS1_3genE0ELNS1_11target_archE4294967295ELNS1_3gpuE0ELNS1_3repE0EEENS1_30default_config_static_selectorELNS0_4arch9wavefront6targetE0EEEvT1_ ; -- Begin function _ZN7rocprim17ROCPRIM_400000_NS6detail17trampoline_kernelINS0_14default_configENS1_25partition_config_selectorILNS1_17partition_subalgoE6EsNS0_10empty_typeEbEEZZNS1_14partition_implILS5_6ELb0ES3_mN6thrust23THRUST_200600_302600_NS6detail15normal_iteratorINSA_10device_ptrIsEEEEPS6_SG_NS0_5tupleIJSF_S6_EEENSH_IJSG_SG_EEES6_PlJNSB_9not_fun_tI7is_evenIsEEEEEE10hipError_tPvRmT3_T4_T5_T6_T7_T9_mT8_P12ihipStream_tbDpT10_ENKUlT_T0_E_clISt17integral_constantIbLb0EES17_IbLb1EEEEDaS13_S14_EUlS13_E_NS1_11comp_targetILNS1_3genE0ELNS1_11target_archE4294967295ELNS1_3gpuE0ELNS1_3repE0EEENS1_30default_config_static_selectorELNS0_4arch9wavefront6targetE0EEEvT1_
	.globl	_ZN7rocprim17ROCPRIM_400000_NS6detail17trampoline_kernelINS0_14default_configENS1_25partition_config_selectorILNS1_17partition_subalgoE6EsNS0_10empty_typeEbEEZZNS1_14partition_implILS5_6ELb0ES3_mN6thrust23THRUST_200600_302600_NS6detail15normal_iteratorINSA_10device_ptrIsEEEEPS6_SG_NS0_5tupleIJSF_S6_EEENSH_IJSG_SG_EEES6_PlJNSB_9not_fun_tI7is_evenIsEEEEEE10hipError_tPvRmT3_T4_T5_T6_T7_T9_mT8_P12ihipStream_tbDpT10_ENKUlT_T0_E_clISt17integral_constantIbLb0EES17_IbLb1EEEEDaS13_S14_EUlS13_E_NS1_11comp_targetILNS1_3genE0ELNS1_11target_archE4294967295ELNS1_3gpuE0ELNS1_3repE0EEENS1_30default_config_static_selectorELNS0_4arch9wavefront6targetE0EEEvT1_
	.p2align	8
	.type	_ZN7rocprim17ROCPRIM_400000_NS6detail17trampoline_kernelINS0_14default_configENS1_25partition_config_selectorILNS1_17partition_subalgoE6EsNS0_10empty_typeEbEEZZNS1_14partition_implILS5_6ELb0ES3_mN6thrust23THRUST_200600_302600_NS6detail15normal_iteratorINSA_10device_ptrIsEEEEPS6_SG_NS0_5tupleIJSF_S6_EEENSH_IJSG_SG_EEES6_PlJNSB_9not_fun_tI7is_evenIsEEEEEE10hipError_tPvRmT3_T4_T5_T6_T7_T9_mT8_P12ihipStream_tbDpT10_ENKUlT_T0_E_clISt17integral_constantIbLb0EES17_IbLb1EEEEDaS13_S14_EUlS13_E_NS1_11comp_targetILNS1_3genE0ELNS1_11target_archE4294967295ELNS1_3gpuE0ELNS1_3repE0EEENS1_30default_config_static_selectorELNS0_4arch9wavefront6targetE0EEEvT1_,@function
_ZN7rocprim17ROCPRIM_400000_NS6detail17trampoline_kernelINS0_14default_configENS1_25partition_config_selectorILNS1_17partition_subalgoE6EsNS0_10empty_typeEbEEZZNS1_14partition_implILS5_6ELb0ES3_mN6thrust23THRUST_200600_302600_NS6detail15normal_iteratorINSA_10device_ptrIsEEEEPS6_SG_NS0_5tupleIJSF_S6_EEENSH_IJSG_SG_EEES6_PlJNSB_9not_fun_tI7is_evenIsEEEEEE10hipError_tPvRmT3_T4_T5_T6_T7_T9_mT8_P12ihipStream_tbDpT10_ENKUlT_T0_E_clISt17integral_constantIbLb0EES17_IbLb1EEEEDaS13_S14_EUlS13_E_NS1_11comp_targetILNS1_3genE0ELNS1_11target_archE4294967295ELNS1_3gpuE0ELNS1_3repE0EEENS1_30default_config_static_selectorELNS0_4arch9wavefront6targetE0EEEvT1_: ; @_ZN7rocprim17ROCPRIM_400000_NS6detail17trampoline_kernelINS0_14default_configENS1_25partition_config_selectorILNS1_17partition_subalgoE6EsNS0_10empty_typeEbEEZZNS1_14partition_implILS5_6ELb0ES3_mN6thrust23THRUST_200600_302600_NS6detail15normal_iteratorINSA_10device_ptrIsEEEEPS6_SG_NS0_5tupleIJSF_S6_EEENSH_IJSG_SG_EEES6_PlJNSB_9not_fun_tI7is_evenIsEEEEEE10hipError_tPvRmT3_T4_T5_T6_T7_T9_mT8_P12ihipStream_tbDpT10_ENKUlT_T0_E_clISt17integral_constantIbLb0EES17_IbLb1EEEEDaS13_S14_EUlS13_E_NS1_11comp_targetILNS1_3genE0ELNS1_11target_archE4294967295ELNS1_3gpuE0ELNS1_3repE0EEENS1_30default_config_static_selectorELNS0_4arch9wavefront6targetE0EEEvT1_
; %bb.0:
	.section	.rodata,"a",@progbits
	.p2align	6, 0x0
	.amdhsa_kernel _ZN7rocprim17ROCPRIM_400000_NS6detail17trampoline_kernelINS0_14default_configENS1_25partition_config_selectorILNS1_17partition_subalgoE6EsNS0_10empty_typeEbEEZZNS1_14partition_implILS5_6ELb0ES3_mN6thrust23THRUST_200600_302600_NS6detail15normal_iteratorINSA_10device_ptrIsEEEEPS6_SG_NS0_5tupleIJSF_S6_EEENSH_IJSG_SG_EEES6_PlJNSB_9not_fun_tI7is_evenIsEEEEEE10hipError_tPvRmT3_T4_T5_T6_T7_T9_mT8_P12ihipStream_tbDpT10_ENKUlT_T0_E_clISt17integral_constantIbLb0EES17_IbLb1EEEEDaS13_S14_EUlS13_E_NS1_11comp_targetILNS1_3genE0ELNS1_11target_archE4294967295ELNS1_3gpuE0ELNS1_3repE0EEENS1_30default_config_static_selectorELNS0_4arch9wavefront6targetE0EEEvT1_
		.amdhsa_group_segment_fixed_size 0
		.amdhsa_private_segment_fixed_size 0
		.amdhsa_kernarg_size 128
		.amdhsa_user_sgpr_count 2
		.amdhsa_user_sgpr_dispatch_ptr 0
		.amdhsa_user_sgpr_queue_ptr 0
		.amdhsa_user_sgpr_kernarg_segment_ptr 1
		.amdhsa_user_sgpr_dispatch_id 0
		.amdhsa_user_sgpr_private_segment_size 0
		.amdhsa_wavefront_size32 1
		.amdhsa_uses_dynamic_stack 0
		.amdhsa_enable_private_segment 0
		.amdhsa_system_sgpr_workgroup_id_x 1
		.amdhsa_system_sgpr_workgroup_id_y 0
		.amdhsa_system_sgpr_workgroup_id_z 0
		.amdhsa_system_sgpr_workgroup_info 0
		.amdhsa_system_vgpr_workitem_id 0
		.amdhsa_next_free_vgpr 1
		.amdhsa_next_free_sgpr 1
		.amdhsa_reserve_vcc 0
		.amdhsa_float_round_mode_32 0
		.amdhsa_float_round_mode_16_64 0
		.amdhsa_float_denorm_mode_32 3
		.amdhsa_float_denorm_mode_16_64 3
		.amdhsa_fp16_overflow 0
		.amdhsa_workgroup_processor_mode 1
		.amdhsa_memory_ordered 1
		.amdhsa_forward_progress 1
		.amdhsa_inst_pref_size 0
		.amdhsa_round_robin_scheduling 0
		.amdhsa_exception_fp_ieee_invalid_op 0
		.amdhsa_exception_fp_denorm_src 0
		.amdhsa_exception_fp_ieee_div_zero 0
		.amdhsa_exception_fp_ieee_overflow 0
		.amdhsa_exception_fp_ieee_underflow 0
		.amdhsa_exception_fp_ieee_inexact 0
		.amdhsa_exception_int_div_zero 0
	.end_amdhsa_kernel
	.section	.text._ZN7rocprim17ROCPRIM_400000_NS6detail17trampoline_kernelINS0_14default_configENS1_25partition_config_selectorILNS1_17partition_subalgoE6EsNS0_10empty_typeEbEEZZNS1_14partition_implILS5_6ELb0ES3_mN6thrust23THRUST_200600_302600_NS6detail15normal_iteratorINSA_10device_ptrIsEEEEPS6_SG_NS0_5tupleIJSF_S6_EEENSH_IJSG_SG_EEES6_PlJNSB_9not_fun_tI7is_evenIsEEEEEE10hipError_tPvRmT3_T4_T5_T6_T7_T9_mT8_P12ihipStream_tbDpT10_ENKUlT_T0_E_clISt17integral_constantIbLb0EES17_IbLb1EEEEDaS13_S14_EUlS13_E_NS1_11comp_targetILNS1_3genE0ELNS1_11target_archE4294967295ELNS1_3gpuE0ELNS1_3repE0EEENS1_30default_config_static_selectorELNS0_4arch9wavefront6targetE0EEEvT1_,"axG",@progbits,_ZN7rocprim17ROCPRIM_400000_NS6detail17trampoline_kernelINS0_14default_configENS1_25partition_config_selectorILNS1_17partition_subalgoE6EsNS0_10empty_typeEbEEZZNS1_14partition_implILS5_6ELb0ES3_mN6thrust23THRUST_200600_302600_NS6detail15normal_iteratorINSA_10device_ptrIsEEEEPS6_SG_NS0_5tupleIJSF_S6_EEENSH_IJSG_SG_EEES6_PlJNSB_9not_fun_tI7is_evenIsEEEEEE10hipError_tPvRmT3_T4_T5_T6_T7_T9_mT8_P12ihipStream_tbDpT10_ENKUlT_T0_E_clISt17integral_constantIbLb0EES17_IbLb1EEEEDaS13_S14_EUlS13_E_NS1_11comp_targetILNS1_3genE0ELNS1_11target_archE4294967295ELNS1_3gpuE0ELNS1_3repE0EEENS1_30default_config_static_selectorELNS0_4arch9wavefront6targetE0EEEvT1_,comdat
.Lfunc_end781:
	.size	_ZN7rocprim17ROCPRIM_400000_NS6detail17trampoline_kernelINS0_14default_configENS1_25partition_config_selectorILNS1_17partition_subalgoE6EsNS0_10empty_typeEbEEZZNS1_14partition_implILS5_6ELb0ES3_mN6thrust23THRUST_200600_302600_NS6detail15normal_iteratorINSA_10device_ptrIsEEEEPS6_SG_NS0_5tupleIJSF_S6_EEENSH_IJSG_SG_EEES6_PlJNSB_9not_fun_tI7is_evenIsEEEEEE10hipError_tPvRmT3_T4_T5_T6_T7_T9_mT8_P12ihipStream_tbDpT10_ENKUlT_T0_E_clISt17integral_constantIbLb0EES17_IbLb1EEEEDaS13_S14_EUlS13_E_NS1_11comp_targetILNS1_3genE0ELNS1_11target_archE4294967295ELNS1_3gpuE0ELNS1_3repE0EEENS1_30default_config_static_selectorELNS0_4arch9wavefront6targetE0EEEvT1_, .Lfunc_end781-_ZN7rocprim17ROCPRIM_400000_NS6detail17trampoline_kernelINS0_14default_configENS1_25partition_config_selectorILNS1_17partition_subalgoE6EsNS0_10empty_typeEbEEZZNS1_14partition_implILS5_6ELb0ES3_mN6thrust23THRUST_200600_302600_NS6detail15normal_iteratorINSA_10device_ptrIsEEEEPS6_SG_NS0_5tupleIJSF_S6_EEENSH_IJSG_SG_EEES6_PlJNSB_9not_fun_tI7is_evenIsEEEEEE10hipError_tPvRmT3_T4_T5_T6_T7_T9_mT8_P12ihipStream_tbDpT10_ENKUlT_T0_E_clISt17integral_constantIbLb0EES17_IbLb1EEEEDaS13_S14_EUlS13_E_NS1_11comp_targetILNS1_3genE0ELNS1_11target_archE4294967295ELNS1_3gpuE0ELNS1_3repE0EEENS1_30default_config_static_selectorELNS0_4arch9wavefront6targetE0EEEvT1_
                                        ; -- End function
	.set _ZN7rocprim17ROCPRIM_400000_NS6detail17trampoline_kernelINS0_14default_configENS1_25partition_config_selectorILNS1_17partition_subalgoE6EsNS0_10empty_typeEbEEZZNS1_14partition_implILS5_6ELb0ES3_mN6thrust23THRUST_200600_302600_NS6detail15normal_iteratorINSA_10device_ptrIsEEEEPS6_SG_NS0_5tupleIJSF_S6_EEENSH_IJSG_SG_EEES6_PlJNSB_9not_fun_tI7is_evenIsEEEEEE10hipError_tPvRmT3_T4_T5_T6_T7_T9_mT8_P12ihipStream_tbDpT10_ENKUlT_T0_E_clISt17integral_constantIbLb0EES17_IbLb1EEEEDaS13_S14_EUlS13_E_NS1_11comp_targetILNS1_3genE0ELNS1_11target_archE4294967295ELNS1_3gpuE0ELNS1_3repE0EEENS1_30default_config_static_selectorELNS0_4arch9wavefront6targetE0EEEvT1_.num_vgpr, 0
	.set _ZN7rocprim17ROCPRIM_400000_NS6detail17trampoline_kernelINS0_14default_configENS1_25partition_config_selectorILNS1_17partition_subalgoE6EsNS0_10empty_typeEbEEZZNS1_14partition_implILS5_6ELb0ES3_mN6thrust23THRUST_200600_302600_NS6detail15normal_iteratorINSA_10device_ptrIsEEEEPS6_SG_NS0_5tupleIJSF_S6_EEENSH_IJSG_SG_EEES6_PlJNSB_9not_fun_tI7is_evenIsEEEEEE10hipError_tPvRmT3_T4_T5_T6_T7_T9_mT8_P12ihipStream_tbDpT10_ENKUlT_T0_E_clISt17integral_constantIbLb0EES17_IbLb1EEEEDaS13_S14_EUlS13_E_NS1_11comp_targetILNS1_3genE0ELNS1_11target_archE4294967295ELNS1_3gpuE0ELNS1_3repE0EEENS1_30default_config_static_selectorELNS0_4arch9wavefront6targetE0EEEvT1_.num_agpr, 0
	.set _ZN7rocprim17ROCPRIM_400000_NS6detail17trampoline_kernelINS0_14default_configENS1_25partition_config_selectorILNS1_17partition_subalgoE6EsNS0_10empty_typeEbEEZZNS1_14partition_implILS5_6ELb0ES3_mN6thrust23THRUST_200600_302600_NS6detail15normal_iteratorINSA_10device_ptrIsEEEEPS6_SG_NS0_5tupleIJSF_S6_EEENSH_IJSG_SG_EEES6_PlJNSB_9not_fun_tI7is_evenIsEEEEEE10hipError_tPvRmT3_T4_T5_T6_T7_T9_mT8_P12ihipStream_tbDpT10_ENKUlT_T0_E_clISt17integral_constantIbLb0EES17_IbLb1EEEEDaS13_S14_EUlS13_E_NS1_11comp_targetILNS1_3genE0ELNS1_11target_archE4294967295ELNS1_3gpuE0ELNS1_3repE0EEENS1_30default_config_static_selectorELNS0_4arch9wavefront6targetE0EEEvT1_.numbered_sgpr, 0
	.set _ZN7rocprim17ROCPRIM_400000_NS6detail17trampoline_kernelINS0_14default_configENS1_25partition_config_selectorILNS1_17partition_subalgoE6EsNS0_10empty_typeEbEEZZNS1_14partition_implILS5_6ELb0ES3_mN6thrust23THRUST_200600_302600_NS6detail15normal_iteratorINSA_10device_ptrIsEEEEPS6_SG_NS0_5tupleIJSF_S6_EEENSH_IJSG_SG_EEES6_PlJNSB_9not_fun_tI7is_evenIsEEEEEE10hipError_tPvRmT3_T4_T5_T6_T7_T9_mT8_P12ihipStream_tbDpT10_ENKUlT_T0_E_clISt17integral_constantIbLb0EES17_IbLb1EEEEDaS13_S14_EUlS13_E_NS1_11comp_targetILNS1_3genE0ELNS1_11target_archE4294967295ELNS1_3gpuE0ELNS1_3repE0EEENS1_30default_config_static_selectorELNS0_4arch9wavefront6targetE0EEEvT1_.num_named_barrier, 0
	.set _ZN7rocprim17ROCPRIM_400000_NS6detail17trampoline_kernelINS0_14default_configENS1_25partition_config_selectorILNS1_17partition_subalgoE6EsNS0_10empty_typeEbEEZZNS1_14partition_implILS5_6ELb0ES3_mN6thrust23THRUST_200600_302600_NS6detail15normal_iteratorINSA_10device_ptrIsEEEEPS6_SG_NS0_5tupleIJSF_S6_EEENSH_IJSG_SG_EEES6_PlJNSB_9not_fun_tI7is_evenIsEEEEEE10hipError_tPvRmT3_T4_T5_T6_T7_T9_mT8_P12ihipStream_tbDpT10_ENKUlT_T0_E_clISt17integral_constantIbLb0EES17_IbLb1EEEEDaS13_S14_EUlS13_E_NS1_11comp_targetILNS1_3genE0ELNS1_11target_archE4294967295ELNS1_3gpuE0ELNS1_3repE0EEENS1_30default_config_static_selectorELNS0_4arch9wavefront6targetE0EEEvT1_.private_seg_size, 0
	.set _ZN7rocprim17ROCPRIM_400000_NS6detail17trampoline_kernelINS0_14default_configENS1_25partition_config_selectorILNS1_17partition_subalgoE6EsNS0_10empty_typeEbEEZZNS1_14partition_implILS5_6ELb0ES3_mN6thrust23THRUST_200600_302600_NS6detail15normal_iteratorINSA_10device_ptrIsEEEEPS6_SG_NS0_5tupleIJSF_S6_EEENSH_IJSG_SG_EEES6_PlJNSB_9not_fun_tI7is_evenIsEEEEEE10hipError_tPvRmT3_T4_T5_T6_T7_T9_mT8_P12ihipStream_tbDpT10_ENKUlT_T0_E_clISt17integral_constantIbLb0EES17_IbLb1EEEEDaS13_S14_EUlS13_E_NS1_11comp_targetILNS1_3genE0ELNS1_11target_archE4294967295ELNS1_3gpuE0ELNS1_3repE0EEENS1_30default_config_static_selectorELNS0_4arch9wavefront6targetE0EEEvT1_.uses_vcc, 0
	.set _ZN7rocprim17ROCPRIM_400000_NS6detail17trampoline_kernelINS0_14default_configENS1_25partition_config_selectorILNS1_17partition_subalgoE6EsNS0_10empty_typeEbEEZZNS1_14partition_implILS5_6ELb0ES3_mN6thrust23THRUST_200600_302600_NS6detail15normal_iteratorINSA_10device_ptrIsEEEEPS6_SG_NS0_5tupleIJSF_S6_EEENSH_IJSG_SG_EEES6_PlJNSB_9not_fun_tI7is_evenIsEEEEEE10hipError_tPvRmT3_T4_T5_T6_T7_T9_mT8_P12ihipStream_tbDpT10_ENKUlT_T0_E_clISt17integral_constantIbLb0EES17_IbLb1EEEEDaS13_S14_EUlS13_E_NS1_11comp_targetILNS1_3genE0ELNS1_11target_archE4294967295ELNS1_3gpuE0ELNS1_3repE0EEENS1_30default_config_static_selectorELNS0_4arch9wavefront6targetE0EEEvT1_.uses_flat_scratch, 0
	.set _ZN7rocprim17ROCPRIM_400000_NS6detail17trampoline_kernelINS0_14default_configENS1_25partition_config_selectorILNS1_17partition_subalgoE6EsNS0_10empty_typeEbEEZZNS1_14partition_implILS5_6ELb0ES3_mN6thrust23THRUST_200600_302600_NS6detail15normal_iteratorINSA_10device_ptrIsEEEEPS6_SG_NS0_5tupleIJSF_S6_EEENSH_IJSG_SG_EEES6_PlJNSB_9not_fun_tI7is_evenIsEEEEEE10hipError_tPvRmT3_T4_T5_T6_T7_T9_mT8_P12ihipStream_tbDpT10_ENKUlT_T0_E_clISt17integral_constantIbLb0EES17_IbLb1EEEEDaS13_S14_EUlS13_E_NS1_11comp_targetILNS1_3genE0ELNS1_11target_archE4294967295ELNS1_3gpuE0ELNS1_3repE0EEENS1_30default_config_static_selectorELNS0_4arch9wavefront6targetE0EEEvT1_.has_dyn_sized_stack, 0
	.set _ZN7rocprim17ROCPRIM_400000_NS6detail17trampoline_kernelINS0_14default_configENS1_25partition_config_selectorILNS1_17partition_subalgoE6EsNS0_10empty_typeEbEEZZNS1_14partition_implILS5_6ELb0ES3_mN6thrust23THRUST_200600_302600_NS6detail15normal_iteratorINSA_10device_ptrIsEEEEPS6_SG_NS0_5tupleIJSF_S6_EEENSH_IJSG_SG_EEES6_PlJNSB_9not_fun_tI7is_evenIsEEEEEE10hipError_tPvRmT3_T4_T5_T6_T7_T9_mT8_P12ihipStream_tbDpT10_ENKUlT_T0_E_clISt17integral_constantIbLb0EES17_IbLb1EEEEDaS13_S14_EUlS13_E_NS1_11comp_targetILNS1_3genE0ELNS1_11target_archE4294967295ELNS1_3gpuE0ELNS1_3repE0EEENS1_30default_config_static_selectorELNS0_4arch9wavefront6targetE0EEEvT1_.has_recursion, 0
	.set _ZN7rocprim17ROCPRIM_400000_NS6detail17trampoline_kernelINS0_14default_configENS1_25partition_config_selectorILNS1_17partition_subalgoE6EsNS0_10empty_typeEbEEZZNS1_14partition_implILS5_6ELb0ES3_mN6thrust23THRUST_200600_302600_NS6detail15normal_iteratorINSA_10device_ptrIsEEEEPS6_SG_NS0_5tupleIJSF_S6_EEENSH_IJSG_SG_EEES6_PlJNSB_9not_fun_tI7is_evenIsEEEEEE10hipError_tPvRmT3_T4_T5_T6_T7_T9_mT8_P12ihipStream_tbDpT10_ENKUlT_T0_E_clISt17integral_constantIbLb0EES17_IbLb1EEEEDaS13_S14_EUlS13_E_NS1_11comp_targetILNS1_3genE0ELNS1_11target_archE4294967295ELNS1_3gpuE0ELNS1_3repE0EEENS1_30default_config_static_selectorELNS0_4arch9wavefront6targetE0EEEvT1_.has_indirect_call, 0
	.section	.AMDGPU.csdata,"",@progbits
; Kernel info:
; codeLenInByte = 0
; TotalNumSgprs: 0
; NumVgprs: 0
; ScratchSize: 0
; MemoryBound: 0
; FloatMode: 240
; IeeeMode: 1
; LDSByteSize: 0 bytes/workgroup (compile time only)
; SGPRBlocks: 0
; VGPRBlocks: 0
; NumSGPRsForWavesPerEU: 1
; NumVGPRsForWavesPerEU: 1
; Occupancy: 16
; WaveLimiterHint : 0
; COMPUTE_PGM_RSRC2:SCRATCH_EN: 0
; COMPUTE_PGM_RSRC2:USER_SGPR: 2
; COMPUTE_PGM_RSRC2:TRAP_HANDLER: 0
; COMPUTE_PGM_RSRC2:TGID_X_EN: 1
; COMPUTE_PGM_RSRC2:TGID_Y_EN: 0
; COMPUTE_PGM_RSRC2:TGID_Z_EN: 0
; COMPUTE_PGM_RSRC2:TIDIG_COMP_CNT: 0
	.section	.text._ZN7rocprim17ROCPRIM_400000_NS6detail17trampoline_kernelINS0_14default_configENS1_25partition_config_selectorILNS1_17partition_subalgoE6EsNS0_10empty_typeEbEEZZNS1_14partition_implILS5_6ELb0ES3_mN6thrust23THRUST_200600_302600_NS6detail15normal_iteratorINSA_10device_ptrIsEEEEPS6_SG_NS0_5tupleIJSF_S6_EEENSH_IJSG_SG_EEES6_PlJNSB_9not_fun_tI7is_evenIsEEEEEE10hipError_tPvRmT3_T4_T5_T6_T7_T9_mT8_P12ihipStream_tbDpT10_ENKUlT_T0_E_clISt17integral_constantIbLb0EES17_IbLb1EEEEDaS13_S14_EUlS13_E_NS1_11comp_targetILNS1_3genE5ELNS1_11target_archE942ELNS1_3gpuE9ELNS1_3repE0EEENS1_30default_config_static_selectorELNS0_4arch9wavefront6targetE0EEEvT1_,"axG",@progbits,_ZN7rocprim17ROCPRIM_400000_NS6detail17trampoline_kernelINS0_14default_configENS1_25partition_config_selectorILNS1_17partition_subalgoE6EsNS0_10empty_typeEbEEZZNS1_14partition_implILS5_6ELb0ES3_mN6thrust23THRUST_200600_302600_NS6detail15normal_iteratorINSA_10device_ptrIsEEEEPS6_SG_NS0_5tupleIJSF_S6_EEENSH_IJSG_SG_EEES6_PlJNSB_9not_fun_tI7is_evenIsEEEEEE10hipError_tPvRmT3_T4_T5_T6_T7_T9_mT8_P12ihipStream_tbDpT10_ENKUlT_T0_E_clISt17integral_constantIbLb0EES17_IbLb1EEEEDaS13_S14_EUlS13_E_NS1_11comp_targetILNS1_3genE5ELNS1_11target_archE942ELNS1_3gpuE9ELNS1_3repE0EEENS1_30default_config_static_selectorELNS0_4arch9wavefront6targetE0EEEvT1_,comdat
	.protected	_ZN7rocprim17ROCPRIM_400000_NS6detail17trampoline_kernelINS0_14default_configENS1_25partition_config_selectorILNS1_17partition_subalgoE6EsNS0_10empty_typeEbEEZZNS1_14partition_implILS5_6ELb0ES3_mN6thrust23THRUST_200600_302600_NS6detail15normal_iteratorINSA_10device_ptrIsEEEEPS6_SG_NS0_5tupleIJSF_S6_EEENSH_IJSG_SG_EEES6_PlJNSB_9not_fun_tI7is_evenIsEEEEEE10hipError_tPvRmT3_T4_T5_T6_T7_T9_mT8_P12ihipStream_tbDpT10_ENKUlT_T0_E_clISt17integral_constantIbLb0EES17_IbLb1EEEEDaS13_S14_EUlS13_E_NS1_11comp_targetILNS1_3genE5ELNS1_11target_archE942ELNS1_3gpuE9ELNS1_3repE0EEENS1_30default_config_static_selectorELNS0_4arch9wavefront6targetE0EEEvT1_ ; -- Begin function _ZN7rocprim17ROCPRIM_400000_NS6detail17trampoline_kernelINS0_14default_configENS1_25partition_config_selectorILNS1_17partition_subalgoE6EsNS0_10empty_typeEbEEZZNS1_14partition_implILS5_6ELb0ES3_mN6thrust23THRUST_200600_302600_NS6detail15normal_iteratorINSA_10device_ptrIsEEEEPS6_SG_NS0_5tupleIJSF_S6_EEENSH_IJSG_SG_EEES6_PlJNSB_9not_fun_tI7is_evenIsEEEEEE10hipError_tPvRmT3_T4_T5_T6_T7_T9_mT8_P12ihipStream_tbDpT10_ENKUlT_T0_E_clISt17integral_constantIbLb0EES17_IbLb1EEEEDaS13_S14_EUlS13_E_NS1_11comp_targetILNS1_3genE5ELNS1_11target_archE942ELNS1_3gpuE9ELNS1_3repE0EEENS1_30default_config_static_selectorELNS0_4arch9wavefront6targetE0EEEvT1_
	.globl	_ZN7rocprim17ROCPRIM_400000_NS6detail17trampoline_kernelINS0_14default_configENS1_25partition_config_selectorILNS1_17partition_subalgoE6EsNS0_10empty_typeEbEEZZNS1_14partition_implILS5_6ELb0ES3_mN6thrust23THRUST_200600_302600_NS6detail15normal_iteratorINSA_10device_ptrIsEEEEPS6_SG_NS0_5tupleIJSF_S6_EEENSH_IJSG_SG_EEES6_PlJNSB_9not_fun_tI7is_evenIsEEEEEE10hipError_tPvRmT3_T4_T5_T6_T7_T9_mT8_P12ihipStream_tbDpT10_ENKUlT_T0_E_clISt17integral_constantIbLb0EES17_IbLb1EEEEDaS13_S14_EUlS13_E_NS1_11comp_targetILNS1_3genE5ELNS1_11target_archE942ELNS1_3gpuE9ELNS1_3repE0EEENS1_30default_config_static_selectorELNS0_4arch9wavefront6targetE0EEEvT1_
	.p2align	8
	.type	_ZN7rocprim17ROCPRIM_400000_NS6detail17trampoline_kernelINS0_14default_configENS1_25partition_config_selectorILNS1_17partition_subalgoE6EsNS0_10empty_typeEbEEZZNS1_14partition_implILS5_6ELb0ES3_mN6thrust23THRUST_200600_302600_NS6detail15normal_iteratorINSA_10device_ptrIsEEEEPS6_SG_NS0_5tupleIJSF_S6_EEENSH_IJSG_SG_EEES6_PlJNSB_9not_fun_tI7is_evenIsEEEEEE10hipError_tPvRmT3_T4_T5_T6_T7_T9_mT8_P12ihipStream_tbDpT10_ENKUlT_T0_E_clISt17integral_constantIbLb0EES17_IbLb1EEEEDaS13_S14_EUlS13_E_NS1_11comp_targetILNS1_3genE5ELNS1_11target_archE942ELNS1_3gpuE9ELNS1_3repE0EEENS1_30default_config_static_selectorELNS0_4arch9wavefront6targetE0EEEvT1_,@function
_ZN7rocprim17ROCPRIM_400000_NS6detail17trampoline_kernelINS0_14default_configENS1_25partition_config_selectorILNS1_17partition_subalgoE6EsNS0_10empty_typeEbEEZZNS1_14partition_implILS5_6ELb0ES3_mN6thrust23THRUST_200600_302600_NS6detail15normal_iteratorINSA_10device_ptrIsEEEEPS6_SG_NS0_5tupleIJSF_S6_EEENSH_IJSG_SG_EEES6_PlJNSB_9not_fun_tI7is_evenIsEEEEEE10hipError_tPvRmT3_T4_T5_T6_T7_T9_mT8_P12ihipStream_tbDpT10_ENKUlT_T0_E_clISt17integral_constantIbLb0EES17_IbLb1EEEEDaS13_S14_EUlS13_E_NS1_11comp_targetILNS1_3genE5ELNS1_11target_archE942ELNS1_3gpuE9ELNS1_3repE0EEENS1_30default_config_static_selectorELNS0_4arch9wavefront6targetE0EEEvT1_: ; @_ZN7rocprim17ROCPRIM_400000_NS6detail17trampoline_kernelINS0_14default_configENS1_25partition_config_selectorILNS1_17partition_subalgoE6EsNS0_10empty_typeEbEEZZNS1_14partition_implILS5_6ELb0ES3_mN6thrust23THRUST_200600_302600_NS6detail15normal_iteratorINSA_10device_ptrIsEEEEPS6_SG_NS0_5tupleIJSF_S6_EEENSH_IJSG_SG_EEES6_PlJNSB_9not_fun_tI7is_evenIsEEEEEE10hipError_tPvRmT3_T4_T5_T6_T7_T9_mT8_P12ihipStream_tbDpT10_ENKUlT_T0_E_clISt17integral_constantIbLb0EES17_IbLb1EEEEDaS13_S14_EUlS13_E_NS1_11comp_targetILNS1_3genE5ELNS1_11target_archE942ELNS1_3gpuE9ELNS1_3repE0EEENS1_30default_config_static_selectorELNS0_4arch9wavefront6targetE0EEEvT1_
; %bb.0:
	.section	.rodata,"a",@progbits
	.p2align	6, 0x0
	.amdhsa_kernel _ZN7rocprim17ROCPRIM_400000_NS6detail17trampoline_kernelINS0_14default_configENS1_25partition_config_selectorILNS1_17partition_subalgoE6EsNS0_10empty_typeEbEEZZNS1_14partition_implILS5_6ELb0ES3_mN6thrust23THRUST_200600_302600_NS6detail15normal_iteratorINSA_10device_ptrIsEEEEPS6_SG_NS0_5tupleIJSF_S6_EEENSH_IJSG_SG_EEES6_PlJNSB_9not_fun_tI7is_evenIsEEEEEE10hipError_tPvRmT3_T4_T5_T6_T7_T9_mT8_P12ihipStream_tbDpT10_ENKUlT_T0_E_clISt17integral_constantIbLb0EES17_IbLb1EEEEDaS13_S14_EUlS13_E_NS1_11comp_targetILNS1_3genE5ELNS1_11target_archE942ELNS1_3gpuE9ELNS1_3repE0EEENS1_30default_config_static_selectorELNS0_4arch9wavefront6targetE0EEEvT1_
		.amdhsa_group_segment_fixed_size 0
		.amdhsa_private_segment_fixed_size 0
		.amdhsa_kernarg_size 128
		.amdhsa_user_sgpr_count 2
		.amdhsa_user_sgpr_dispatch_ptr 0
		.amdhsa_user_sgpr_queue_ptr 0
		.amdhsa_user_sgpr_kernarg_segment_ptr 1
		.amdhsa_user_sgpr_dispatch_id 0
		.amdhsa_user_sgpr_private_segment_size 0
		.amdhsa_wavefront_size32 1
		.amdhsa_uses_dynamic_stack 0
		.amdhsa_enable_private_segment 0
		.amdhsa_system_sgpr_workgroup_id_x 1
		.amdhsa_system_sgpr_workgroup_id_y 0
		.amdhsa_system_sgpr_workgroup_id_z 0
		.amdhsa_system_sgpr_workgroup_info 0
		.amdhsa_system_vgpr_workitem_id 0
		.amdhsa_next_free_vgpr 1
		.amdhsa_next_free_sgpr 1
		.amdhsa_reserve_vcc 0
		.amdhsa_float_round_mode_32 0
		.amdhsa_float_round_mode_16_64 0
		.amdhsa_float_denorm_mode_32 3
		.amdhsa_float_denorm_mode_16_64 3
		.amdhsa_fp16_overflow 0
		.amdhsa_workgroup_processor_mode 1
		.amdhsa_memory_ordered 1
		.amdhsa_forward_progress 1
		.amdhsa_inst_pref_size 0
		.amdhsa_round_robin_scheduling 0
		.amdhsa_exception_fp_ieee_invalid_op 0
		.amdhsa_exception_fp_denorm_src 0
		.amdhsa_exception_fp_ieee_div_zero 0
		.amdhsa_exception_fp_ieee_overflow 0
		.amdhsa_exception_fp_ieee_underflow 0
		.amdhsa_exception_fp_ieee_inexact 0
		.amdhsa_exception_int_div_zero 0
	.end_amdhsa_kernel
	.section	.text._ZN7rocprim17ROCPRIM_400000_NS6detail17trampoline_kernelINS0_14default_configENS1_25partition_config_selectorILNS1_17partition_subalgoE6EsNS0_10empty_typeEbEEZZNS1_14partition_implILS5_6ELb0ES3_mN6thrust23THRUST_200600_302600_NS6detail15normal_iteratorINSA_10device_ptrIsEEEEPS6_SG_NS0_5tupleIJSF_S6_EEENSH_IJSG_SG_EEES6_PlJNSB_9not_fun_tI7is_evenIsEEEEEE10hipError_tPvRmT3_T4_T5_T6_T7_T9_mT8_P12ihipStream_tbDpT10_ENKUlT_T0_E_clISt17integral_constantIbLb0EES17_IbLb1EEEEDaS13_S14_EUlS13_E_NS1_11comp_targetILNS1_3genE5ELNS1_11target_archE942ELNS1_3gpuE9ELNS1_3repE0EEENS1_30default_config_static_selectorELNS0_4arch9wavefront6targetE0EEEvT1_,"axG",@progbits,_ZN7rocprim17ROCPRIM_400000_NS6detail17trampoline_kernelINS0_14default_configENS1_25partition_config_selectorILNS1_17partition_subalgoE6EsNS0_10empty_typeEbEEZZNS1_14partition_implILS5_6ELb0ES3_mN6thrust23THRUST_200600_302600_NS6detail15normal_iteratorINSA_10device_ptrIsEEEEPS6_SG_NS0_5tupleIJSF_S6_EEENSH_IJSG_SG_EEES6_PlJNSB_9not_fun_tI7is_evenIsEEEEEE10hipError_tPvRmT3_T4_T5_T6_T7_T9_mT8_P12ihipStream_tbDpT10_ENKUlT_T0_E_clISt17integral_constantIbLb0EES17_IbLb1EEEEDaS13_S14_EUlS13_E_NS1_11comp_targetILNS1_3genE5ELNS1_11target_archE942ELNS1_3gpuE9ELNS1_3repE0EEENS1_30default_config_static_selectorELNS0_4arch9wavefront6targetE0EEEvT1_,comdat
.Lfunc_end782:
	.size	_ZN7rocprim17ROCPRIM_400000_NS6detail17trampoline_kernelINS0_14default_configENS1_25partition_config_selectorILNS1_17partition_subalgoE6EsNS0_10empty_typeEbEEZZNS1_14partition_implILS5_6ELb0ES3_mN6thrust23THRUST_200600_302600_NS6detail15normal_iteratorINSA_10device_ptrIsEEEEPS6_SG_NS0_5tupleIJSF_S6_EEENSH_IJSG_SG_EEES6_PlJNSB_9not_fun_tI7is_evenIsEEEEEE10hipError_tPvRmT3_T4_T5_T6_T7_T9_mT8_P12ihipStream_tbDpT10_ENKUlT_T0_E_clISt17integral_constantIbLb0EES17_IbLb1EEEEDaS13_S14_EUlS13_E_NS1_11comp_targetILNS1_3genE5ELNS1_11target_archE942ELNS1_3gpuE9ELNS1_3repE0EEENS1_30default_config_static_selectorELNS0_4arch9wavefront6targetE0EEEvT1_, .Lfunc_end782-_ZN7rocprim17ROCPRIM_400000_NS6detail17trampoline_kernelINS0_14default_configENS1_25partition_config_selectorILNS1_17partition_subalgoE6EsNS0_10empty_typeEbEEZZNS1_14partition_implILS5_6ELb0ES3_mN6thrust23THRUST_200600_302600_NS6detail15normal_iteratorINSA_10device_ptrIsEEEEPS6_SG_NS0_5tupleIJSF_S6_EEENSH_IJSG_SG_EEES6_PlJNSB_9not_fun_tI7is_evenIsEEEEEE10hipError_tPvRmT3_T4_T5_T6_T7_T9_mT8_P12ihipStream_tbDpT10_ENKUlT_T0_E_clISt17integral_constantIbLb0EES17_IbLb1EEEEDaS13_S14_EUlS13_E_NS1_11comp_targetILNS1_3genE5ELNS1_11target_archE942ELNS1_3gpuE9ELNS1_3repE0EEENS1_30default_config_static_selectorELNS0_4arch9wavefront6targetE0EEEvT1_
                                        ; -- End function
	.set _ZN7rocprim17ROCPRIM_400000_NS6detail17trampoline_kernelINS0_14default_configENS1_25partition_config_selectorILNS1_17partition_subalgoE6EsNS0_10empty_typeEbEEZZNS1_14partition_implILS5_6ELb0ES3_mN6thrust23THRUST_200600_302600_NS6detail15normal_iteratorINSA_10device_ptrIsEEEEPS6_SG_NS0_5tupleIJSF_S6_EEENSH_IJSG_SG_EEES6_PlJNSB_9not_fun_tI7is_evenIsEEEEEE10hipError_tPvRmT3_T4_T5_T6_T7_T9_mT8_P12ihipStream_tbDpT10_ENKUlT_T0_E_clISt17integral_constantIbLb0EES17_IbLb1EEEEDaS13_S14_EUlS13_E_NS1_11comp_targetILNS1_3genE5ELNS1_11target_archE942ELNS1_3gpuE9ELNS1_3repE0EEENS1_30default_config_static_selectorELNS0_4arch9wavefront6targetE0EEEvT1_.num_vgpr, 0
	.set _ZN7rocprim17ROCPRIM_400000_NS6detail17trampoline_kernelINS0_14default_configENS1_25partition_config_selectorILNS1_17partition_subalgoE6EsNS0_10empty_typeEbEEZZNS1_14partition_implILS5_6ELb0ES3_mN6thrust23THRUST_200600_302600_NS6detail15normal_iteratorINSA_10device_ptrIsEEEEPS6_SG_NS0_5tupleIJSF_S6_EEENSH_IJSG_SG_EEES6_PlJNSB_9not_fun_tI7is_evenIsEEEEEE10hipError_tPvRmT3_T4_T5_T6_T7_T9_mT8_P12ihipStream_tbDpT10_ENKUlT_T0_E_clISt17integral_constantIbLb0EES17_IbLb1EEEEDaS13_S14_EUlS13_E_NS1_11comp_targetILNS1_3genE5ELNS1_11target_archE942ELNS1_3gpuE9ELNS1_3repE0EEENS1_30default_config_static_selectorELNS0_4arch9wavefront6targetE0EEEvT1_.num_agpr, 0
	.set _ZN7rocprim17ROCPRIM_400000_NS6detail17trampoline_kernelINS0_14default_configENS1_25partition_config_selectorILNS1_17partition_subalgoE6EsNS0_10empty_typeEbEEZZNS1_14partition_implILS5_6ELb0ES3_mN6thrust23THRUST_200600_302600_NS6detail15normal_iteratorINSA_10device_ptrIsEEEEPS6_SG_NS0_5tupleIJSF_S6_EEENSH_IJSG_SG_EEES6_PlJNSB_9not_fun_tI7is_evenIsEEEEEE10hipError_tPvRmT3_T4_T5_T6_T7_T9_mT8_P12ihipStream_tbDpT10_ENKUlT_T0_E_clISt17integral_constantIbLb0EES17_IbLb1EEEEDaS13_S14_EUlS13_E_NS1_11comp_targetILNS1_3genE5ELNS1_11target_archE942ELNS1_3gpuE9ELNS1_3repE0EEENS1_30default_config_static_selectorELNS0_4arch9wavefront6targetE0EEEvT1_.numbered_sgpr, 0
	.set _ZN7rocprim17ROCPRIM_400000_NS6detail17trampoline_kernelINS0_14default_configENS1_25partition_config_selectorILNS1_17partition_subalgoE6EsNS0_10empty_typeEbEEZZNS1_14partition_implILS5_6ELb0ES3_mN6thrust23THRUST_200600_302600_NS6detail15normal_iteratorINSA_10device_ptrIsEEEEPS6_SG_NS0_5tupleIJSF_S6_EEENSH_IJSG_SG_EEES6_PlJNSB_9not_fun_tI7is_evenIsEEEEEE10hipError_tPvRmT3_T4_T5_T6_T7_T9_mT8_P12ihipStream_tbDpT10_ENKUlT_T0_E_clISt17integral_constantIbLb0EES17_IbLb1EEEEDaS13_S14_EUlS13_E_NS1_11comp_targetILNS1_3genE5ELNS1_11target_archE942ELNS1_3gpuE9ELNS1_3repE0EEENS1_30default_config_static_selectorELNS0_4arch9wavefront6targetE0EEEvT1_.num_named_barrier, 0
	.set _ZN7rocprim17ROCPRIM_400000_NS6detail17trampoline_kernelINS0_14default_configENS1_25partition_config_selectorILNS1_17partition_subalgoE6EsNS0_10empty_typeEbEEZZNS1_14partition_implILS5_6ELb0ES3_mN6thrust23THRUST_200600_302600_NS6detail15normal_iteratorINSA_10device_ptrIsEEEEPS6_SG_NS0_5tupleIJSF_S6_EEENSH_IJSG_SG_EEES6_PlJNSB_9not_fun_tI7is_evenIsEEEEEE10hipError_tPvRmT3_T4_T5_T6_T7_T9_mT8_P12ihipStream_tbDpT10_ENKUlT_T0_E_clISt17integral_constantIbLb0EES17_IbLb1EEEEDaS13_S14_EUlS13_E_NS1_11comp_targetILNS1_3genE5ELNS1_11target_archE942ELNS1_3gpuE9ELNS1_3repE0EEENS1_30default_config_static_selectorELNS0_4arch9wavefront6targetE0EEEvT1_.private_seg_size, 0
	.set _ZN7rocprim17ROCPRIM_400000_NS6detail17trampoline_kernelINS0_14default_configENS1_25partition_config_selectorILNS1_17partition_subalgoE6EsNS0_10empty_typeEbEEZZNS1_14partition_implILS5_6ELb0ES3_mN6thrust23THRUST_200600_302600_NS6detail15normal_iteratorINSA_10device_ptrIsEEEEPS6_SG_NS0_5tupleIJSF_S6_EEENSH_IJSG_SG_EEES6_PlJNSB_9not_fun_tI7is_evenIsEEEEEE10hipError_tPvRmT3_T4_T5_T6_T7_T9_mT8_P12ihipStream_tbDpT10_ENKUlT_T0_E_clISt17integral_constantIbLb0EES17_IbLb1EEEEDaS13_S14_EUlS13_E_NS1_11comp_targetILNS1_3genE5ELNS1_11target_archE942ELNS1_3gpuE9ELNS1_3repE0EEENS1_30default_config_static_selectorELNS0_4arch9wavefront6targetE0EEEvT1_.uses_vcc, 0
	.set _ZN7rocprim17ROCPRIM_400000_NS6detail17trampoline_kernelINS0_14default_configENS1_25partition_config_selectorILNS1_17partition_subalgoE6EsNS0_10empty_typeEbEEZZNS1_14partition_implILS5_6ELb0ES3_mN6thrust23THRUST_200600_302600_NS6detail15normal_iteratorINSA_10device_ptrIsEEEEPS6_SG_NS0_5tupleIJSF_S6_EEENSH_IJSG_SG_EEES6_PlJNSB_9not_fun_tI7is_evenIsEEEEEE10hipError_tPvRmT3_T4_T5_T6_T7_T9_mT8_P12ihipStream_tbDpT10_ENKUlT_T0_E_clISt17integral_constantIbLb0EES17_IbLb1EEEEDaS13_S14_EUlS13_E_NS1_11comp_targetILNS1_3genE5ELNS1_11target_archE942ELNS1_3gpuE9ELNS1_3repE0EEENS1_30default_config_static_selectorELNS0_4arch9wavefront6targetE0EEEvT1_.uses_flat_scratch, 0
	.set _ZN7rocprim17ROCPRIM_400000_NS6detail17trampoline_kernelINS0_14default_configENS1_25partition_config_selectorILNS1_17partition_subalgoE6EsNS0_10empty_typeEbEEZZNS1_14partition_implILS5_6ELb0ES3_mN6thrust23THRUST_200600_302600_NS6detail15normal_iteratorINSA_10device_ptrIsEEEEPS6_SG_NS0_5tupleIJSF_S6_EEENSH_IJSG_SG_EEES6_PlJNSB_9not_fun_tI7is_evenIsEEEEEE10hipError_tPvRmT3_T4_T5_T6_T7_T9_mT8_P12ihipStream_tbDpT10_ENKUlT_T0_E_clISt17integral_constantIbLb0EES17_IbLb1EEEEDaS13_S14_EUlS13_E_NS1_11comp_targetILNS1_3genE5ELNS1_11target_archE942ELNS1_3gpuE9ELNS1_3repE0EEENS1_30default_config_static_selectorELNS0_4arch9wavefront6targetE0EEEvT1_.has_dyn_sized_stack, 0
	.set _ZN7rocprim17ROCPRIM_400000_NS6detail17trampoline_kernelINS0_14default_configENS1_25partition_config_selectorILNS1_17partition_subalgoE6EsNS0_10empty_typeEbEEZZNS1_14partition_implILS5_6ELb0ES3_mN6thrust23THRUST_200600_302600_NS6detail15normal_iteratorINSA_10device_ptrIsEEEEPS6_SG_NS0_5tupleIJSF_S6_EEENSH_IJSG_SG_EEES6_PlJNSB_9not_fun_tI7is_evenIsEEEEEE10hipError_tPvRmT3_T4_T5_T6_T7_T9_mT8_P12ihipStream_tbDpT10_ENKUlT_T0_E_clISt17integral_constantIbLb0EES17_IbLb1EEEEDaS13_S14_EUlS13_E_NS1_11comp_targetILNS1_3genE5ELNS1_11target_archE942ELNS1_3gpuE9ELNS1_3repE0EEENS1_30default_config_static_selectorELNS0_4arch9wavefront6targetE0EEEvT1_.has_recursion, 0
	.set _ZN7rocprim17ROCPRIM_400000_NS6detail17trampoline_kernelINS0_14default_configENS1_25partition_config_selectorILNS1_17partition_subalgoE6EsNS0_10empty_typeEbEEZZNS1_14partition_implILS5_6ELb0ES3_mN6thrust23THRUST_200600_302600_NS6detail15normal_iteratorINSA_10device_ptrIsEEEEPS6_SG_NS0_5tupleIJSF_S6_EEENSH_IJSG_SG_EEES6_PlJNSB_9not_fun_tI7is_evenIsEEEEEE10hipError_tPvRmT3_T4_T5_T6_T7_T9_mT8_P12ihipStream_tbDpT10_ENKUlT_T0_E_clISt17integral_constantIbLb0EES17_IbLb1EEEEDaS13_S14_EUlS13_E_NS1_11comp_targetILNS1_3genE5ELNS1_11target_archE942ELNS1_3gpuE9ELNS1_3repE0EEENS1_30default_config_static_selectorELNS0_4arch9wavefront6targetE0EEEvT1_.has_indirect_call, 0
	.section	.AMDGPU.csdata,"",@progbits
; Kernel info:
; codeLenInByte = 0
; TotalNumSgprs: 0
; NumVgprs: 0
; ScratchSize: 0
; MemoryBound: 0
; FloatMode: 240
; IeeeMode: 1
; LDSByteSize: 0 bytes/workgroup (compile time only)
; SGPRBlocks: 0
; VGPRBlocks: 0
; NumSGPRsForWavesPerEU: 1
; NumVGPRsForWavesPerEU: 1
; Occupancy: 16
; WaveLimiterHint : 0
; COMPUTE_PGM_RSRC2:SCRATCH_EN: 0
; COMPUTE_PGM_RSRC2:USER_SGPR: 2
; COMPUTE_PGM_RSRC2:TRAP_HANDLER: 0
; COMPUTE_PGM_RSRC2:TGID_X_EN: 1
; COMPUTE_PGM_RSRC2:TGID_Y_EN: 0
; COMPUTE_PGM_RSRC2:TGID_Z_EN: 0
; COMPUTE_PGM_RSRC2:TIDIG_COMP_CNT: 0
	.section	.text._ZN7rocprim17ROCPRIM_400000_NS6detail17trampoline_kernelINS0_14default_configENS1_25partition_config_selectorILNS1_17partition_subalgoE6EsNS0_10empty_typeEbEEZZNS1_14partition_implILS5_6ELb0ES3_mN6thrust23THRUST_200600_302600_NS6detail15normal_iteratorINSA_10device_ptrIsEEEEPS6_SG_NS0_5tupleIJSF_S6_EEENSH_IJSG_SG_EEES6_PlJNSB_9not_fun_tI7is_evenIsEEEEEE10hipError_tPvRmT3_T4_T5_T6_T7_T9_mT8_P12ihipStream_tbDpT10_ENKUlT_T0_E_clISt17integral_constantIbLb0EES17_IbLb1EEEEDaS13_S14_EUlS13_E_NS1_11comp_targetILNS1_3genE4ELNS1_11target_archE910ELNS1_3gpuE8ELNS1_3repE0EEENS1_30default_config_static_selectorELNS0_4arch9wavefront6targetE0EEEvT1_,"axG",@progbits,_ZN7rocprim17ROCPRIM_400000_NS6detail17trampoline_kernelINS0_14default_configENS1_25partition_config_selectorILNS1_17partition_subalgoE6EsNS0_10empty_typeEbEEZZNS1_14partition_implILS5_6ELb0ES3_mN6thrust23THRUST_200600_302600_NS6detail15normal_iteratorINSA_10device_ptrIsEEEEPS6_SG_NS0_5tupleIJSF_S6_EEENSH_IJSG_SG_EEES6_PlJNSB_9not_fun_tI7is_evenIsEEEEEE10hipError_tPvRmT3_T4_T5_T6_T7_T9_mT8_P12ihipStream_tbDpT10_ENKUlT_T0_E_clISt17integral_constantIbLb0EES17_IbLb1EEEEDaS13_S14_EUlS13_E_NS1_11comp_targetILNS1_3genE4ELNS1_11target_archE910ELNS1_3gpuE8ELNS1_3repE0EEENS1_30default_config_static_selectorELNS0_4arch9wavefront6targetE0EEEvT1_,comdat
	.protected	_ZN7rocprim17ROCPRIM_400000_NS6detail17trampoline_kernelINS0_14default_configENS1_25partition_config_selectorILNS1_17partition_subalgoE6EsNS0_10empty_typeEbEEZZNS1_14partition_implILS5_6ELb0ES3_mN6thrust23THRUST_200600_302600_NS6detail15normal_iteratorINSA_10device_ptrIsEEEEPS6_SG_NS0_5tupleIJSF_S6_EEENSH_IJSG_SG_EEES6_PlJNSB_9not_fun_tI7is_evenIsEEEEEE10hipError_tPvRmT3_T4_T5_T6_T7_T9_mT8_P12ihipStream_tbDpT10_ENKUlT_T0_E_clISt17integral_constantIbLb0EES17_IbLb1EEEEDaS13_S14_EUlS13_E_NS1_11comp_targetILNS1_3genE4ELNS1_11target_archE910ELNS1_3gpuE8ELNS1_3repE0EEENS1_30default_config_static_selectorELNS0_4arch9wavefront6targetE0EEEvT1_ ; -- Begin function _ZN7rocprim17ROCPRIM_400000_NS6detail17trampoline_kernelINS0_14default_configENS1_25partition_config_selectorILNS1_17partition_subalgoE6EsNS0_10empty_typeEbEEZZNS1_14partition_implILS5_6ELb0ES3_mN6thrust23THRUST_200600_302600_NS6detail15normal_iteratorINSA_10device_ptrIsEEEEPS6_SG_NS0_5tupleIJSF_S6_EEENSH_IJSG_SG_EEES6_PlJNSB_9not_fun_tI7is_evenIsEEEEEE10hipError_tPvRmT3_T4_T5_T6_T7_T9_mT8_P12ihipStream_tbDpT10_ENKUlT_T0_E_clISt17integral_constantIbLb0EES17_IbLb1EEEEDaS13_S14_EUlS13_E_NS1_11comp_targetILNS1_3genE4ELNS1_11target_archE910ELNS1_3gpuE8ELNS1_3repE0EEENS1_30default_config_static_selectorELNS0_4arch9wavefront6targetE0EEEvT1_
	.globl	_ZN7rocprim17ROCPRIM_400000_NS6detail17trampoline_kernelINS0_14default_configENS1_25partition_config_selectorILNS1_17partition_subalgoE6EsNS0_10empty_typeEbEEZZNS1_14partition_implILS5_6ELb0ES3_mN6thrust23THRUST_200600_302600_NS6detail15normal_iteratorINSA_10device_ptrIsEEEEPS6_SG_NS0_5tupleIJSF_S6_EEENSH_IJSG_SG_EEES6_PlJNSB_9not_fun_tI7is_evenIsEEEEEE10hipError_tPvRmT3_T4_T5_T6_T7_T9_mT8_P12ihipStream_tbDpT10_ENKUlT_T0_E_clISt17integral_constantIbLb0EES17_IbLb1EEEEDaS13_S14_EUlS13_E_NS1_11comp_targetILNS1_3genE4ELNS1_11target_archE910ELNS1_3gpuE8ELNS1_3repE0EEENS1_30default_config_static_selectorELNS0_4arch9wavefront6targetE0EEEvT1_
	.p2align	8
	.type	_ZN7rocprim17ROCPRIM_400000_NS6detail17trampoline_kernelINS0_14default_configENS1_25partition_config_selectorILNS1_17partition_subalgoE6EsNS0_10empty_typeEbEEZZNS1_14partition_implILS5_6ELb0ES3_mN6thrust23THRUST_200600_302600_NS6detail15normal_iteratorINSA_10device_ptrIsEEEEPS6_SG_NS0_5tupleIJSF_S6_EEENSH_IJSG_SG_EEES6_PlJNSB_9not_fun_tI7is_evenIsEEEEEE10hipError_tPvRmT3_T4_T5_T6_T7_T9_mT8_P12ihipStream_tbDpT10_ENKUlT_T0_E_clISt17integral_constantIbLb0EES17_IbLb1EEEEDaS13_S14_EUlS13_E_NS1_11comp_targetILNS1_3genE4ELNS1_11target_archE910ELNS1_3gpuE8ELNS1_3repE0EEENS1_30default_config_static_selectorELNS0_4arch9wavefront6targetE0EEEvT1_,@function
_ZN7rocprim17ROCPRIM_400000_NS6detail17trampoline_kernelINS0_14default_configENS1_25partition_config_selectorILNS1_17partition_subalgoE6EsNS0_10empty_typeEbEEZZNS1_14partition_implILS5_6ELb0ES3_mN6thrust23THRUST_200600_302600_NS6detail15normal_iteratorINSA_10device_ptrIsEEEEPS6_SG_NS0_5tupleIJSF_S6_EEENSH_IJSG_SG_EEES6_PlJNSB_9not_fun_tI7is_evenIsEEEEEE10hipError_tPvRmT3_T4_T5_T6_T7_T9_mT8_P12ihipStream_tbDpT10_ENKUlT_T0_E_clISt17integral_constantIbLb0EES17_IbLb1EEEEDaS13_S14_EUlS13_E_NS1_11comp_targetILNS1_3genE4ELNS1_11target_archE910ELNS1_3gpuE8ELNS1_3repE0EEENS1_30default_config_static_selectorELNS0_4arch9wavefront6targetE0EEEvT1_: ; @_ZN7rocprim17ROCPRIM_400000_NS6detail17trampoline_kernelINS0_14default_configENS1_25partition_config_selectorILNS1_17partition_subalgoE6EsNS0_10empty_typeEbEEZZNS1_14partition_implILS5_6ELb0ES3_mN6thrust23THRUST_200600_302600_NS6detail15normal_iteratorINSA_10device_ptrIsEEEEPS6_SG_NS0_5tupleIJSF_S6_EEENSH_IJSG_SG_EEES6_PlJNSB_9not_fun_tI7is_evenIsEEEEEE10hipError_tPvRmT3_T4_T5_T6_T7_T9_mT8_P12ihipStream_tbDpT10_ENKUlT_T0_E_clISt17integral_constantIbLb0EES17_IbLb1EEEEDaS13_S14_EUlS13_E_NS1_11comp_targetILNS1_3genE4ELNS1_11target_archE910ELNS1_3gpuE8ELNS1_3repE0EEENS1_30default_config_static_selectorELNS0_4arch9wavefront6targetE0EEEvT1_
; %bb.0:
	.section	.rodata,"a",@progbits
	.p2align	6, 0x0
	.amdhsa_kernel _ZN7rocprim17ROCPRIM_400000_NS6detail17trampoline_kernelINS0_14default_configENS1_25partition_config_selectorILNS1_17partition_subalgoE6EsNS0_10empty_typeEbEEZZNS1_14partition_implILS5_6ELb0ES3_mN6thrust23THRUST_200600_302600_NS6detail15normal_iteratorINSA_10device_ptrIsEEEEPS6_SG_NS0_5tupleIJSF_S6_EEENSH_IJSG_SG_EEES6_PlJNSB_9not_fun_tI7is_evenIsEEEEEE10hipError_tPvRmT3_T4_T5_T6_T7_T9_mT8_P12ihipStream_tbDpT10_ENKUlT_T0_E_clISt17integral_constantIbLb0EES17_IbLb1EEEEDaS13_S14_EUlS13_E_NS1_11comp_targetILNS1_3genE4ELNS1_11target_archE910ELNS1_3gpuE8ELNS1_3repE0EEENS1_30default_config_static_selectorELNS0_4arch9wavefront6targetE0EEEvT1_
		.amdhsa_group_segment_fixed_size 0
		.amdhsa_private_segment_fixed_size 0
		.amdhsa_kernarg_size 128
		.amdhsa_user_sgpr_count 2
		.amdhsa_user_sgpr_dispatch_ptr 0
		.amdhsa_user_sgpr_queue_ptr 0
		.amdhsa_user_sgpr_kernarg_segment_ptr 1
		.amdhsa_user_sgpr_dispatch_id 0
		.amdhsa_user_sgpr_private_segment_size 0
		.amdhsa_wavefront_size32 1
		.amdhsa_uses_dynamic_stack 0
		.amdhsa_enable_private_segment 0
		.amdhsa_system_sgpr_workgroup_id_x 1
		.amdhsa_system_sgpr_workgroup_id_y 0
		.amdhsa_system_sgpr_workgroup_id_z 0
		.amdhsa_system_sgpr_workgroup_info 0
		.amdhsa_system_vgpr_workitem_id 0
		.amdhsa_next_free_vgpr 1
		.amdhsa_next_free_sgpr 1
		.amdhsa_reserve_vcc 0
		.amdhsa_float_round_mode_32 0
		.amdhsa_float_round_mode_16_64 0
		.amdhsa_float_denorm_mode_32 3
		.amdhsa_float_denorm_mode_16_64 3
		.amdhsa_fp16_overflow 0
		.amdhsa_workgroup_processor_mode 1
		.amdhsa_memory_ordered 1
		.amdhsa_forward_progress 1
		.amdhsa_inst_pref_size 0
		.amdhsa_round_robin_scheduling 0
		.amdhsa_exception_fp_ieee_invalid_op 0
		.amdhsa_exception_fp_denorm_src 0
		.amdhsa_exception_fp_ieee_div_zero 0
		.amdhsa_exception_fp_ieee_overflow 0
		.amdhsa_exception_fp_ieee_underflow 0
		.amdhsa_exception_fp_ieee_inexact 0
		.amdhsa_exception_int_div_zero 0
	.end_amdhsa_kernel
	.section	.text._ZN7rocprim17ROCPRIM_400000_NS6detail17trampoline_kernelINS0_14default_configENS1_25partition_config_selectorILNS1_17partition_subalgoE6EsNS0_10empty_typeEbEEZZNS1_14partition_implILS5_6ELb0ES3_mN6thrust23THRUST_200600_302600_NS6detail15normal_iteratorINSA_10device_ptrIsEEEEPS6_SG_NS0_5tupleIJSF_S6_EEENSH_IJSG_SG_EEES6_PlJNSB_9not_fun_tI7is_evenIsEEEEEE10hipError_tPvRmT3_T4_T5_T6_T7_T9_mT8_P12ihipStream_tbDpT10_ENKUlT_T0_E_clISt17integral_constantIbLb0EES17_IbLb1EEEEDaS13_S14_EUlS13_E_NS1_11comp_targetILNS1_3genE4ELNS1_11target_archE910ELNS1_3gpuE8ELNS1_3repE0EEENS1_30default_config_static_selectorELNS0_4arch9wavefront6targetE0EEEvT1_,"axG",@progbits,_ZN7rocprim17ROCPRIM_400000_NS6detail17trampoline_kernelINS0_14default_configENS1_25partition_config_selectorILNS1_17partition_subalgoE6EsNS0_10empty_typeEbEEZZNS1_14partition_implILS5_6ELb0ES3_mN6thrust23THRUST_200600_302600_NS6detail15normal_iteratorINSA_10device_ptrIsEEEEPS6_SG_NS0_5tupleIJSF_S6_EEENSH_IJSG_SG_EEES6_PlJNSB_9not_fun_tI7is_evenIsEEEEEE10hipError_tPvRmT3_T4_T5_T6_T7_T9_mT8_P12ihipStream_tbDpT10_ENKUlT_T0_E_clISt17integral_constantIbLb0EES17_IbLb1EEEEDaS13_S14_EUlS13_E_NS1_11comp_targetILNS1_3genE4ELNS1_11target_archE910ELNS1_3gpuE8ELNS1_3repE0EEENS1_30default_config_static_selectorELNS0_4arch9wavefront6targetE0EEEvT1_,comdat
.Lfunc_end783:
	.size	_ZN7rocprim17ROCPRIM_400000_NS6detail17trampoline_kernelINS0_14default_configENS1_25partition_config_selectorILNS1_17partition_subalgoE6EsNS0_10empty_typeEbEEZZNS1_14partition_implILS5_6ELb0ES3_mN6thrust23THRUST_200600_302600_NS6detail15normal_iteratorINSA_10device_ptrIsEEEEPS6_SG_NS0_5tupleIJSF_S6_EEENSH_IJSG_SG_EEES6_PlJNSB_9not_fun_tI7is_evenIsEEEEEE10hipError_tPvRmT3_T4_T5_T6_T7_T9_mT8_P12ihipStream_tbDpT10_ENKUlT_T0_E_clISt17integral_constantIbLb0EES17_IbLb1EEEEDaS13_S14_EUlS13_E_NS1_11comp_targetILNS1_3genE4ELNS1_11target_archE910ELNS1_3gpuE8ELNS1_3repE0EEENS1_30default_config_static_selectorELNS0_4arch9wavefront6targetE0EEEvT1_, .Lfunc_end783-_ZN7rocprim17ROCPRIM_400000_NS6detail17trampoline_kernelINS0_14default_configENS1_25partition_config_selectorILNS1_17partition_subalgoE6EsNS0_10empty_typeEbEEZZNS1_14partition_implILS5_6ELb0ES3_mN6thrust23THRUST_200600_302600_NS6detail15normal_iteratorINSA_10device_ptrIsEEEEPS6_SG_NS0_5tupleIJSF_S6_EEENSH_IJSG_SG_EEES6_PlJNSB_9not_fun_tI7is_evenIsEEEEEE10hipError_tPvRmT3_T4_T5_T6_T7_T9_mT8_P12ihipStream_tbDpT10_ENKUlT_T0_E_clISt17integral_constantIbLb0EES17_IbLb1EEEEDaS13_S14_EUlS13_E_NS1_11comp_targetILNS1_3genE4ELNS1_11target_archE910ELNS1_3gpuE8ELNS1_3repE0EEENS1_30default_config_static_selectorELNS0_4arch9wavefront6targetE0EEEvT1_
                                        ; -- End function
	.set _ZN7rocprim17ROCPRIM_400000_NS6detail17trampoline_kernelINS0_14default_configENS1_25partition_config_selectorILNS1_17partition_subalgoE6EsNS0_10empty_typeEbEEZZNS1_14partition_implILS5_6ELb0ES3_mN6thrust23THRUST_200600_302600_NS6detail15normal_iteratorINSA_10device_ptrIsEEEEPS6_SG_NS0_5tupleIJSF_S6_EEENSH_IJSG_SG_EEES6_PlJNSB_9not_fun_tI7is_evenIsEEEEEE10hipError_tPvRmT3_T4_T5_T6_T7_T9_mT8_P12ihipStream_tbDpT10_ENKUlT_T0_E_clISt17integral_constantIbLb0EES17_IbLb1EEEEDaS13_S14_EUlS13_E_NS1_11comp_targetILNS1_3genE4ELNS1_11target_archE910ELNS1_3gpuE8ELNS1_3repE0EEENS1_30default_config_static_selectorELNS0_4arch9wavefront6targetE0EEEvT1_.num_vgpr, 0
	.set _ZN7rocprim17ROCPRIM_400000_NS6detail17trampoline_kernelINS0_14default_configENS1_25partition_config_selectorILNS1_17partition_subalgoE6EsNS0_10empty_typeEbEEZZNS1_14partition_implILS5_6ELb0ES3_mN6thrust23THRUST_200600_302600_NS6detail15normal_iteratorINSA_10device_ptrIsEEEEPS6_SG_NS0_5tupleIJSF_S6_EEENSH_IJSG_SG_EEES6_PlJNSB_9not_fun_tI7is_evenIsEEEEEE10hipError_tPvRmT3_T4_T5_T6_T7_T9_mT8_P12ihipStream_tbDpT10_ENKUlT_T0_E_clISt17integral_constantIbLb0EES17_IbLb1EEEEDaS13_S14_EUlS13_E_NS1_11comp_targetILNS1_3genE4ELNS1_11target_archE910ELNS1_3gpuE8ELNS1_3repE0EEENS1_30default_config_static_selectorELNS0_4arch9wavefront6targetE0EEEvT1_.num_agpr, 0
	.set _ZN7rocprim17ROCPRIM_400000_NS6detail17trampoline_kernelINS0_14default_configENS1_25partition_config_selectorILNS1_17partition_subalgoE6EsNS0_10empty_typeEbEEZZNS1_14partition_implILS5_6ELb0ES3_mN6thrust23THRUST_200600_302600_NS6detail15normal_iteratorINSA_10device_ptrIsEEEEPS6_SG_NS0_5tupleIJSF_S6_EEENSH_IJSG_SG_EEES6_PlJNSB_9not_fun_tI7is_evenIsEEEEEE10hipError_tPvRmT3_T4_T5_T6_T7_T9_mT8_P12ihipStream_tbDpT10_ENKUlT_T0_E_clISt17integral_constantIbLb0EES17_IbLb1EEEEDaS13_S14_EUlS13_E_NS1_11comp_targetILNS1_3genE4ELNS1_11target_archE910ELNS1_3gpuE8ELNS1_3repE0EEENS1_30default_config_static_selectorELNS0_4arch9wavefront6targetE0EEEvT1_.numbered_sgpr, 0
	.set _ZN7rocprim17ROCPRIM_400000_NS6detail17trampoline_kernelINS0_14default_configENS1_25partition_config_selectorILNS1_17partition_subalgoE6EsNS0_10empty_typeEbEEZZNS1_14partition_implILS5_6ELb0ES3_mN6thrust23THRUST_200600_302600_NS6detail15normal_iteratorINSA_10device_ptrIsEEEEPS6_SG_NS0_5tupleIJSF_S6_EEENSH_IJSG_SG_EEES6_PlJNSB_9not_fun_tI7is_evenIsEEEEEE10hipError_tPvRmT3_T4_T5_T6_T7_T9_mT8_P12ihipStream_tbDpT10_ENKUlT_T0_E_clISt17integral_constantIbLb0EES17_IbLb1EEEEDaS13_S14_EUlS13_E_NS1_11comp_targetILNS1_3genE4ELNS1_11target_archE910ELNS1_3gpuE8ELNS1_3repE0EEENS1_30default_config_static_selectorELNS0_4arch9wavefront6targetE0EEEvT1_.num_named_barrier, 0
	.set _ZN7rocprim17ROCPRIM_400000_NS6detail17trampoline_kernelINS0_14default_configENS1_25partition_config_selectorILNS1_17partition_subalgoE6EsNS0_10empty_typeEbEEZZNS1_14partition_implILS5_6ELb0ES3_mN6thrust23THRUST_200600_302600_NS6detail15normal_iteratorINSA_10device_ptrIsEEEEPS6_SG_NS0_5tupleIJSF_S6_EEENSH_IJSG_SG_EEES6_PlJNSB_9not_fun_tI7is_evenIsEEEEEE10hipError_tPvRmT3_T4_T5_T6_T7_T9_mT8_P12ihipStream_tbDpT10_ENKUlT_T0_E_clISt17integral_constantIbLb0EES17_IbLb1EEEEDaS13_S14_EUlS13_E_NS1_11comp_targetILNS1_3genE4ELNS1_11target_archE910ELNS1_3gpuE8ELNS1_3repE0EEENS1_30default_config_static_selectorELNS0_4arch9wavefront6targetE0EEEvT1_.private_seg_size, 0
	.set _ZN7rocprim17ROCPRIM_400000_NS6detail17trampoline_kernelINS0_14default_configENS1_25partition_config_selectorILNS1_17partition_subalgoE6EsNS0_10empty_typeEbEEZZNS1_14partition_implILS5_6ELb0ES3_mN6thrust23THRUST_200600_302600_NS6detail15normal_iteratorINSA_10device_ptrIsEEEEPS6_SG_NS0_5tupleIJSF_S6_EEENSH_IJSG_SG_EEES6_PlJNSB_9not_fun_tI7is_evenIsEEEEEE10hipError_tPvRmT3_T4_T5_T6_T7_T9_mT8_P12ihipStream_tbDpT10_ENKUlT_T0_E_clISt17integral_constantIbLb0EES17_IbLb1EEEEDaS13_S14_EUlS13_E_NS1_11comp_targetILNS1_3genE4ELNS1_11target_archE910ELNS1_3gpuE8ELNS1_3repE0EEENS1_30default_config_static_selectorELNS0_4arch9wavefront6targetE0EEEvT1_.uses_vcc, 0
	.set _ZN7rocprim17ROCPRIM_400000_NS6detail17trampoline_kernelINS0_14default_configENS1_25partition_config_selectorILNS1_17partition_subalgoE6EsNS0_10empty_typeEbEEZZNS1_14partition_implILS5_6ELb0ES3_mN6thrust23THRUST_200600_302600_NS6detail15normal_iteratorINSA_10device_ptrIsEEEEPS6_SG_NS0_5tupleIJSF_S6_EEENSH_IJSG_SG_EEES6_PlJNSB_9not_fun_tI7is_evenIsEEEEEE10hipError_tPvRmT3_T4_T5_T6_T7_T9_mT8_P12ihipStream_tbDpT10_ENKUlT_T0_E_clISt17integral_constantIbLb0EES17_IbLb1EEEEDaS13_S14_EUlS13_E_NS1_11comp_targetILNS1_3genE4ELNS1_11target_archE910ELNS1_3gpuE8ELNS1_3repE0EEENS1_30default_config_static_selectorELNS0_4arch9wavefront6targetE0EEEvT1_.uses_flat_scratch, 0
	.set _ZN7rocprim17ROCPRIM_400000_NS6detail17trampoline_kernelINS0_14default_configENS1_25partition_config_selectorILNS1_17partition_subalgoE6EsNS0_10empty_typeEbEEZZNS1_14partition_implILS5_6ELb0ES3_mN6thrust23THRUST_200600_302600_NS6detail15normal_iteratorINSA_10device_ptrIsEEEEPS6_SG_NS0_5tupleIJSF_S6_EEENSH_IJSG_SG_EEES6_PlJNSB_9not_fun_tI7is_evenIsEEEEEE10hipError_tPvRmT3_T4_T5_T6_T7_T9_mT8_P12ihipStream_tbDpT10_ENKUlT_T0_E_clISt17integral_constantIbLb0EES17_IbLb1EEEEDaS13_S14_EUlS13_E_NS1_11comp_targetILNS1_3genE4ELNS1_11target_archE910ELNS1_3gpuE8ELNS1_3repE0EEENS1_30default_config_static_selectorELNS0_4arch9wavefront6targetE0EEEvT1_.has_dyn_sized_stack, 0
	.set _ZN7rocprim17ROCPRIM_400000_NS6detail17trampoline_kernelINS0_14default_configENS1_25partition_config_selectorILNS1_17partition_subalgoE6EsNS0_10empty_typeEbEEZZNS1_14partition_implILS5_6ELb0ES3_mN6thrust23THRUST_200600_302600_NS6detail15normal_iteratorINSA_10device_ptrIsEEEEPS6_SG_NS0_5tupleIJSF_S6_EEENSH_IJSG_SG_EEES6_PlJNSB_9not_fun_tI7is_evenIsEEEEEE10hipError_tPvRmT3_T4_T5_T6_T7_T9_mT8_P12ihipStream_tbDpT10_ENKUlT_T0_E_clISt17integral_constantIbLb0EES17_IbLb1EEEEDaS13_S14_EUlS13_E_NS1_11comp_targetILNS1_3genE4ELNS1_11target_archE910ELNS1_3gpuE8ELNS1_3repE0EEENS1_30default_config_static_selectorELNS0_4arch9wavefront6targetE0EEEvT1_.has_recursion, 0
	.set _ZN7rocprim17ROCPRIM_400000_NS6detail17trampoline_kernelINS0_14default_configENS1_25partition_config_selectorILNS1_17partition_subalgoE6EsNS0_10empty_typeEbEEZZNS1_14partition_implILS5_6ELb0ES3_mN6thrust23THRUST_200600_302600_NS6detail15normal_iteratorINSA_10device_ptrIsEEEEPS6_SG_NS0_5tupleIJSF_S6_EEENSH_IJSG_SG_EEES6_PlJNSB_9not_fun_tI7is_evenIsEEEEEE10hipError_tPvRmT3_T4_T5_T6_T7_T9_mT8_P12ihipStream_tbDpT10_ENKUlT_T0_E_clISt17integral_constantIbLb0EES17_IbLb1EEEEDaS13_S14_EUlS13_E_NS1_11comp_targetILNS1_3genE4ELNS1_11target_archE910ELNS1_3gpuE8ELNS1_3repE0EEENS1_30default_config_static_selectorELNS0_4arch9wavefront6targetE0EEEvT1_.has_indirect_call, 0
	.section	.AMDGPU.csdata,"",@progbits
; Kernel info:
; codeLenInByte = 0
; TotalNumSgprs: 0
; NumVgprs: 0
; ScratchSize: 0
; MemoryBound: 0
; FloatMode: 240
; IeeeMode: 1
; LDSByteSize: 0 bytes/workgroup (compile time only)
; SGPRBlocks: 0
; VGPRBlocks: 0
; NumSGPRsForWavesPerEU: 1
; NumVGPRsForWavesPerEU: 1
; Occupancy: 16
; WaveLimiterHint : 0
; COMPUTE_PGM_RSRC2:SCRATCH_EN: 0
; COMPUTE_PGM_RSRC2:USER_SGPR: 2
; COMPUTE_PGM_RSRC2:TRAP_HANDLER: 0
; COMPUTE_PGM_RSRC2:TGID_X_EN: 1
; COMPUTE_PGM_RSRC2:TGID_Y_EN: 0
; COMPUTE_PGM_RSRC2:TGID_Z_EN: 0
; COMPUTE_PGM_RSRC2:TIDIG_COMP_CNT: 0
	.section	.text._ZN7rocprim17ROCPRIM_400000_NS6detail17trampoline_kernelINS0_14default_configENS1_25partition_config_selectorILNS1_17partition_subalgoE6EsNS0_10empty_typeEbEEZZNS1_14partition_implILS5_6ELb0ES3_mN6thrust23THRUST_200600_302600_NS6detail15normal_iteratorINSA_10device_ptrIsEEEEPS6_SG_NS0_5tupleIJSF_S6_EEENSH_IJSG_SG_EEES6_PlJNSB_9not_fun_tI7is_evenIsEEEEEE10hipError_tPvRmT3_T4_T5_T6_T7_T9_mT8_P12ihipStream_tbDpT10_ENKUlT_T0_E_clISt17integral_constantIbLb0EES17_IbLb1EEEEDaS13_S14_EUlS13_E_NS1_11comp_targetILNS1_3genE3ELNS1_11target_archE908ELNS1_3gpuE7ELNS1_3repE0EEENS1_30default_config_static_selectorELNS0_4arch9wavefront6targetE0EEEvT1_,"axG",@progbits,_ZN7rocprim17ROCPRIM_400000_NS6detail17trampoline_kernelINS0_14default_configENS1_25partition_config_selectorILNS1_17partition_subalgoE6EsNS0_10empty_typeEbEEZZNS1_14partition_implILS5_6ELb0ES3_mN6thrust23THRUST_200600_302600_NS6detail15normal_iteratorINSA_10device_ptrIsEEEEPS6_SG_NS0_5tupleIJSF_S6_EEENSH_IJSG_SG_EEES6_PlJNSB_9not_fun_tI7is_evenIsEEEEEE10hipError_tPvRmT3_T4_T5_T6_T7_T9_mT8_P12ihipStream_tbDpT10_ENKUlT_T0_E_clISt17integral_constantIbLb0EES17_IbLb1EEEEDaS13_S14_EUlS13_E_NS1_11comp_targetILNS1_3genE3ELNS1_11target_archE908ELNS1_3gpuE7ELNS1_3repE0EEENS1_30default_config_static_selectorELNS0_4arch9wavefront6targetE0EEEvT1_,comdat
	.protected	_ZN7rocprim17ROCPRIM_400000_NS6detail17trampoline_kernelINS0_14default_configENS1_25partition_config_selectorILNS1_17partition_subalgoE6EsNS0_10empty_typeEbEEZZNS1_14partition_implILS5_6ELb0ES3_mN6thrust23THRUST_200600_302600_NS6detail15normal_iteratorINSA_10device_ptrIsEEEEPS6_SG_NS0_5tupleIJSF_S6_EEENSH_IJSG_SG_EEES6_PlJNSB_9not_fun_tI7is_evenIsEEEEEE10hipError_tPvRmT3_T4_T5_T6_T7_T9_mT8_P12ihipStream_tbDpT10_ENKUlT_T0_E_clISt17integral_constantIbLb0EES17_IbLb1EEEEDaS13_S14_EUlS13_E_NS1_11comp_targetILNS1_3genE3ELNS1_11target_archE908ELNS1_3gpuE7ELNS1_3repE0EEENS1_30default_config_static_selectorELNS0_4arch9wavefront6targetE0EEEvT1_ ; -- Begin function _ZN7rocprim17ROCPRIM_400000_NS6detail17trampoline_kernelINS0_14default_configENS1_25partition_config_selectorILNS1_17partition_subalgoE6EsNS0_10empty_typeEbEEZZNS1_14partition_implILS5_6ELb0ES3_mN6thrust23THRUST_200600_302600_NS6detail15normal_iteratorINSA_10device_ptrIsEEEEPS6_SG_NS0_5tupleIJSF_S6_EEENSH_IJSG_SG_EEES6_PlJNSB_9not_fun_tI7is_evenIsEEEEEE10hipError_tPvRmT3_T4_T5_T6_T7_T9_mT8_P12ihipStream_tbDpT10_ENKUlT_T0_E_clISt17integral_constantIbLb0EES17_IbLb1EEEEDaS13_S14_EUlS13_E_NS1_11comp_targetILNS1_3genE3ELNS1_11target_archE908ELNS1_3gpuE7ELNS1_3repE0EEENS1_30default_config_static_selectorELNS0_4arch9wavefront6targetE0EEEvT1_
	.globl	_ZN7rocprim17ROCPRIM_400000_NS6detail17trampoline_kernelINS0_14default_configENS1_25partition_config_selectorILNS1_17partition_subalgoE6EsNS0_10empty_typeEbEEZZNS1_14partition_implILS5_6ELb0ES3_mN6thrust23THRUST_200600_302600_NS6detail15normal_iteratorINSA_10device_ptrIsEEEEPS6_SG_NS0_5tupleIJSF_S6_EEENSH_IJSG_SG_EEES6_PlJNSB_9not_fun_tI7is_evenIsEEEEEE10hipError_tPvRmT3_T4_T5_T6_T7_T9_mT8_P12ihipStream_tbDpT10_ENKUlT_T0_E_clISt17integral_constantIbLb0EES17_IbLb1EEEEDaS13_S14_EUlS13_E_NS1_11comp_targetILNS1_3genE3ELNS1_11target_archE908ELNS1_3gpuE7ELNS1_3repE0EEENS1_30default_config_static_selectorELNS0_4arch9wavefront6targetE0EEEvT1_
	.p2align	8
	.type	_ZN7rocprim17ROCPRIM_400000_NS6detail17trampoline_kernelINS0_14default_configENS1_25partition_config_selectorILNS1_17partition_subalgoE6EsNS0_10empty_typeEbEEZZNS1_14partition_implILS5_6ELb0ES3_mN6thrust23THRUST_200600_302600_NS6detail15normal_iteratorINSA_10device_ptrIsEEEEPS6_SG_NS0_5tupleIJSF_S6_EEENSH_IJSG_SG_EEES6_PlJNSB_9not_fun_tI7is_evenIsEEEEEE10hipError_tPvRmT3_T4_T5_T6_T7_T9_mT8_P12ihipStream_tbDpT10_ENKUlT_T0_E_clISt17integral_constantIbLb0EES17_IbLb1EEEEDaS13_S14_EUlS13_E_NS1_11comp_targetILNS1_3genE3ELNS1_11target_archE908ELNS1_3gpuE7ELNS1_3repE0EEENS1_30default_config_static_selectorELNS0_4arch9wavefront6targetE0EEEvT1_,@function
_ZN7rocprim17ROCPRIM_400000_NS6detail17trampoline_kernelINS0_14default_configENS1_25partition_config_selectorILNS1_17partition_subalgoE6EsNS0_10empty_typeEbEEZZNS1_14partition_implILS5_6ELb0ES3_mN6thrust23THRUST_200600_302600_NS6detail15normal_iteratorINSA_10device_ptrIsEEEEPS6_SG_NS0_5tupleIJSF_S6_EEENSH_IJSG_SG_EEES6_PlJNSB_9not_fun_tI7is_evenIsEEEEEE10hipError_tPvRmT3_T4_T5_T6_T7_T9_mT8_P12ihipStream_tbDpT10_ENKUlT_T0_E_clISt17integral_constantIbLb0EES17_IbLb1EEEEDaS13_S14_EUlS13_E_NS1_11comp_targetILNS1_3genE3ELNS1_11target_archE908ELNS1_3gpuE7ELNS1_3repE0EEENS1_30default_config_static_selectorELNS0_4arch9wavefront6targetE0EEEvT1_: ; @_ZN7rocprim17ROCPRIM_400000_NS6detail17trampoline_kernelINS0_14default_configENS1_25partition_config_selectorILNS1_17partition_subalgoE6EsNS0_10empty_typeEbEEZZNS1_14partition_implILS5_6ELb0ES3_mN6thrust23THRUST_200600_302600_NS6detail15normal_iteratorINSA_10device_ptrIsEEEEPS6_SG_NS0_5tupleIJSF_S6_EEENSH_IJSG_SG_EEES6_PlJNSB_9not_fun_tI7is_evenIsEEEEEE10hipError_tPvRmT3_T4_T5_T6_T7_T9_mT8_P12ihipStream_tbDpT10_ENKUlT_T0_E_clISt17integral_constantIbLb0EES17_IbLb1EEEEDaS13_S14_EUlS13_E_NS1_11comp_targetILNS1_3genE3ELNS1_11target_archE908ELNS1_3gpuE7ELNS1_3repE0EEENS1_30default_config_static_selectorELNS0_4arch9wavefront6targetE0EEEvT1_
; %bb.0:
	.section	.rodata,"a",@progbits
	.p2align	6, 0x0
	.amdhsa_kernel _ZN7rocprim17ROCPRIM_400000_NS6detail17trampoline_kernelINS0_14default_configENS1_25partition_config_selectorILNS1_17partition_subalgoE6EsNS0_10empty_typeEbEEZZNS1_14partition_implILS5_6ELb0ES3_mN6thrust23THRUST_200600_302600_NS6detail15normal_iteratorINSA_10device_ptrIsEEEEPS6_SG_NS0_5tupleIJSF_S6_EEENSH_IJSG_SG_EEES6_PlJNSB_9not_fun_tI7is_evenIsEEEEEE10hipError_tPvRmT3_T4_T5_T6_T7_T9_mT8_P12ihipStream_tbDpT10_ENKUlT_T0_E_clISt17integral_constantIbLb0EES17_IbLb1EEEEDaS13_S14_EUlS13_E_NS1_11comp_targetILNS1_3genE3ELNS1_11target_archE908ELNS1_3gpuE7ELNS1_3repE0EEENS1_30default_config_static_selectorELNS0_4arch9wavefront6targetE0EEEvT1_
		.amdhsa_group_segment_fixed_size 0
		.amdhsa_private_segment_fixed_size 0
		.amdhsa_kernarg_size 128
		.amdhsa_user_sgpr_count 2
		.amdhsa_user_sgpr_dispatch_ptr 0
		.amdhsa_user_sgpr_queue_ptr 0
		.amdhsa_user_sgpr_kernarg_segment_ptr 1
		.amdhsa_user_sgpr_dispatch_id 0
		.amdhsa_user_sgpr_private_segment_size 0
		.amdhsa_wavefront_size32 1
		.amdhsa_uses_dynamic_stack 0
		.amdhsa_enable_private_segment 0
		.amdhsa_system_sgpr_workgroup_id_x 1
		.amdhsa_system_sgpr_workgroup_id_y 0
		.amdhsa_system_sgpr_workgroup_id_z 0
		.amdhsa_system_sgpr_workgroup_info 0
		.amdhsa_system_vgpr_workitem_id 0
		.amdhsa_next_free_vgpr 1
		.amdhsa_next_free_sgpr 1
		.amdhsa_reserve_vcc 0
		.amdhsa_float_round_mode_32 0
		.amdhsa_float_round_mode_16_64 0
		.amdhsa_float_denorm_mode_32 3
		.amdhsa_float_denorm_mode_16_64 3
		.amdhsa_fp16_overflow 0
		.amdhsa_workgroup_processor_mode 1
		.amdhsa_memory_ordered 1
		.amdhsa_forward_progress 1
		.amdhsa_inst_pref_size 0
		.amdhsa_round_robin_scheduling 0
		.amdhsa_exception_fp_ieee_invalid_op 0
		.amdhsa_exception_fp_denorm_src 0
		.amdhsa_exception_fp_ieee_div_zero 0
		.amdhsa_exception_fp_ieee_overflow 0
		.amdhsa_exception_fp_ieee_underflow 0
		.amdhsa_exception_fp_ieee_inexact 0
		.amdhsa_exception_int_div_zero 0
	.end_amdhsa_kernel
	.section	.text._ZN7rocprim17ROCPRIM_400000_NS6detail17trampoline_kernelINS0_14default_configENS1_25partition_config_selectorILNS1_17partition_subalgoE6EsNS0_10empty_typeEbEEZZNS1_14partition_implILS5_6ELb0ES3_mN6thrust23THRUST_200600_302600_NS6detail15normal_iteratorINSA_10device_ptrIsEEEEPS6_SG_NS0_5tupleIJSF_S6_EEENSH_IJSG_SG_EEES6_PlJNSB_9not_fun_tI7is_evenIsEEEEEE10hipError_tPvRmT3_T4_T5_T6_T7_T9_mT8_P12ihipStream_tbDpT10_ENKUlT_T0_E_clISt17integral_constantIbLb0EES17_IbLb1EEEEDaS13_S14_EUlS13_E_NS1_11comp_targetILNS1_3genE3ELNS1_11target_archE908ELNS1_3gpuE7ELNS1_3repE0EEENS1_30default_config_static_selectorELNS0_4arch9wavefront6targetE0EEEvT1_,"axG",@progbits,_ZN7rocprim17ROCPRIM_400000_NS6detail17trampoline_kernelINS0_14default_configENS1_25partition_config_selectorILNS1_17partition_subalgoE6EsNS0_10empty_typeEbEEZZNS1_14partition_implILS5_6ELb0ES3_mN6thrust23THRUST_200600_302600_NS6detail15normal_iteratorINSA_10device_ptrIsEEEEPS6_SG_NS0_5tupleIJSF_S6_EEENSH_IJSG_SG_EEES6_PlJNSB_9not_fun_tI7is_evenIsEEEEEE10hipError_tPvRmT3_T4_T5_T6_T7_T9_mT8_P12ihipStream_tbDpT10_ENKUlT_T0_E_clISt17integral_constantIbLb0EES17_IbLb1EEEEDaS13_S14_EUlS13_E_NS1_11comp_targetILNS1_3genE3ELNS1_11target_archE908ELNS1_3gpuE7ELNS1_3repE0EEENS1_30default_config_static_selectorELNS0_4arch9wavefront6targetE0EEEvT1_,comdat
.Lfunc_end784:
	.size	_ZN7rocprim17ROCPRIM_400000_NS6detail17trampoline_kernelINS0_14default_configENS1_25partition_config_selectorILNS1_17partition_subalgoE6EsNS0_10empty_typeEbEEZZNS1_14partition_implILS5_6ELb0ES3_mN6thrust23THRUST_200600_302600_NS6detail15normal_iteratorINSA_10device_ptrIsEEEEPS6_SG_NS0_5tupleIJSF_S6_EEENSH_IJSG_SG_EEES6_PlJNSB_9not_fun_tI7is_evenIsEEEEEE10hipError_tPvRmT3_T4_T5_T6_T7_T9_mT8_P12ihipStream_tbDpT10_ENKUlT_T0_E_clISt17integral_constantIbLb0EES17_IbLb1EEEEDaS13_S14_EUlS13_E_NS1_11comp_targetILNS1_3genE3ELNS1_11target_archE908ELNS1_3gpuE7ELNS1_3repE0EEENS1_30default_config_static_selectorELNS0_4arch9wavefront6targetE0EEEvT1_, .Lfunc_end784-_ZN7rocprim17ROCPRIM_400000_NS6detail17trampoline_kernelINS0_14default_configENS1_25partition_config_selectorILNS1_17partition_subalgoE6EsNS0_10empty_typeEbEEZZNS1_14partition_implILS5_6ELb0ES3_mN6thrust23THRUST_200600_302600_NS6detail15normal_iteratorINSA_10device_ptrIsEEEEPS6_SG_NS0_5tupleIJSF_S6_EEENSH_IJSG_SG_EEES6_PlJNSB_9not_fun_tI7is_evenIsEEEEEE10hipError_tPvRmT3_T4_T5_T6_T7_T9_mT8_P12ihipStream_tbDpT10_ENKUlT_T0_E_clISt17integral_constantIbLb0EES17_IbLb1EEEEDaS13_S14_EUlS13_E_NS1_11comp_targetILNS1_3genE3ELNS1_11target_archE908ELNS1_3gpuE7ELNS1_3repE0EEENS1_30default_config_static_selectorELNS0_4arch9wavefront6targetE0EEEvT1_
                                        ; -- End function
	.set _ZN7rocprim17ROCPRIM_400000_NS6detail17trampoline_kernelINS0_14default_configENS1_25partition_config_selectorILNS1_17partition_subalgoE6EsNS0_10empty_typeEbEEZZNS1_14partition_implILS5_6ELb0ES3_mN6thrust23THRUST_200600_302600_NS6detail15normal_iteratorINSA_10device_ptrIsEEEEPS6_SG_NS0_5tupleIJSF_S6_EEENSH_IJSG_SG_EEES6_PlJNSB_9not_fun_tI7is_evenIsEEEEEE10hipError_tPvRmT3_T4_T5_T6_T7_T9_mT8_P12ihipStream_tbDpT10_ENKUlT_T0_E_clISt17integral_constantIbLb0EES17_IbLb1EEEEDaS13_S14_EUlS13_E_NS1_11comp_targetILNS1_3genE3ELNS1_11target_archE908ELNS1_3gpuE7ELNS1_3repE0EEENS1_30default_config_static_selectorELNS0_4arch9wavefront6targetE0EEEvT1_.num_vgpr, 0
	.set _ZN7rocprim17ROCPRIM_400000_NS6detail17trampoline_kernelINS0_14default_configENS1_25partition_config_selectorILNS1_17partition_subalgoE6EsNS0_10empty_typeEbEEZZNS1_14partition_implILS5_6ELb0ES3_mN6thrust23THRUST_200600_302600_NS6detail15normal_iteratorINSA_10device_ptrIsEEEEPS6_SG_NS0_5tupleIJSF_S6_EEENSH_IJSG_SG_EEES6_PlJNSB_9not_fun_tI7is_evenIsEEEEEE10hipError_tPvRmT3_T4_T5_T6_T7_T9_mT8_P12ihipStream_tbDpT10_ENKUlT_T0_E_clISt17integral_constantIbLb0EES17_IbLb1EEEEDaS13_S14_EUlS13_E_NS1_11comp_targetILNS1_3genE3ELNS1_11target_archE908ELNS1_3gpuE7ELNS1_3repE0EEENS1_30default_config_static_selectorELNS0_4arch9wavefront6targetE0EEEvT1_.num_agpr, 0
	.set _ZN7rocprim17ROCPRIM_400000_NS6detail17trampoline_kernelINS0_14default_configENS1_25partition_config_selectorILNS1_17partition_subalgoE6EsNS0_10empty_typeEbEEZZNS1_14partition_implILS5_6ELb0ES3_mN6thrust23THRUST_200600_302600_NS6detail15normal_iteratorINSA_10device_ptrIsEEEEPS6_SG_NS0_5tupleIJSF_S6_EEENSH_IJSG_SG_EEES6_PlJNSB_9not_fun_tI7is_evenIsEEEEEE10hipError_tPvRmT3_T4_T5_T6_T7_T9_mT8_P12ihipStream_tbDpT10_ENKUlT_T0_E_clISt17integral_constantIbLb0EES17_IbLb1EEEEDaS13_S14_EUlS13_E_NS1_11comp_targetILNS1_3genE3ELNS1_11target_archE908ELNS1_3gpuE7ELNS1_3repE0EEENS1_30default_config_static_selectorELNS0_4arch9wavefront6targetE0EEEvT1_.numbered_sgpr, 0
	.set _ZN7rocprim17ROCPRIM_400000_NS6detail17trampoline_kernelINS0_14default_configENS1_25partition_config_selectorILNS1_17partition_subalgoE6EsNS0_10empty_typeEbEEZZNS1_14partition_implILS5_6ELb0ES3_mN6thrust23THRUST_200600_302600_NS6detail15normal_iteratorINSA_10device_ptrIsEEEEPS6_SG_NS0_5tupleIJSF_S6_EEENSH_IJSG_SG_EEES6_PlJNSB_9not_fun_tI7is_evenIsEEEEEE10hipError_tPvRmT3_T4_T5_T6_T7_T9_mT8_P12ihipStream_tbDpT10_ENKUlT_T0_E_clISt17integral_constantIbLb0EES17_IbLb1EEEEDaS13_S14_EUlS13_E_NS1_11comp_targetILNS1_3genE3ELNS1_11target_archE908ELNS1_3gpuE7ELNS1_3repE0EEENS1_30default_config_static_selectorELNS0_4arch9wavefront6targetE0EEEvT1_.num_named_barrier, 0
	.set _ZN7rocprim17ROCPRIM_400000_NS6detail17trampoline_kernelINS0_14default_configENS1_25partition_config_selectorILNS1_17partition_subalgoE6EsNS0_10empty_typeEbEEZZNS1_14partition_implILS5_6ELb0ES3_mN6thrust23THRUST_200600_302600_NS6detail15normal_iteratorINSA_10device_ptrIsEEEEPS6_SG_NS0_5tupleIJSF_S6_EEENSH_IJSG_SG_EEES6_PlJNSB_9not_fun_tI7is_evenIsEEEEEE10hipError_tPvRmT3_T4_T5_T6_T7_T9_mT8_P12ihipStream_tbDpT10_ENKUlT_T0_E_clISt17integral_constantIbLb0EES17_IbLb1EEEEDaS13_S14_EUlS13_E_NS1_11comp_targetILNS1_3genE3ELNS1_11target_archE908ELNS1_3gpuE7ELNS1_3repE0EEENS1_30default_config_static_selectorELNS0_4arch9wavefront6targetE0EEEvT1_.private_seg_size, 0
	.set _ZN7rocprim17ROCPRIM_400000_NS6detail17trampoline_kernelINS0_14default_configENS1_25partition_config_selectorILNS1_17partition_subalgoE6EsNS0_10empty_typeEbEEZZNS1_14partition_implILS5_6ELb0ES3_mN6thrust23THRUST_200600_302600_NS6detail15normal_iteratorINSA_10device_ptrIsEEEEPS6_SG_NS0_5tupleIJSF_S6_EEENSH_IJSG_SG_EEES6_PlJNSB_9not_fun_tI7is_evenIsEEEEEE10hipError_tPvRmT3_T4_T5_T6_T7_T9_mT8_P12ihipStream_tbDpT10_ENKUlT_T0_E_clISt17integral_constantIbLb0EES17_IbLb1EEEEDaS13_S14_EUlS13_E_NS1_11comp_targetILNS1_3genE3ELNS1_11target_archE908ELNS1_3gpuE7ELNS1_3repE0EEENS1_30default_config_static_selectorELNS0_4arch9wavefront6targetE0EEEvT1_.uses_vcc, 0
	.set _ZN7rocprim17ROCPRIM_400000_NS6detail17trampoline_kernelINS0_14default_configENS1_25partition_config_selectorILNS1_17partition_subalgoE6EsNS0_10empty_typeEbEEZZNS1_14partition_implILS5_6ELb0ES3_mN6thrust23THRUST_200600_302600_NS6detail15normal_iteratorINSA_10device_ptrIsEEEEPS6_SG_NS0_5tupleIJSF_S6_EEENSH_IJSG_SG_EEES6_PlJNSB_9not_fun_tI7is_evenIsEEEEEE10hipError_tPvRmT3_T4_T5_T6_T7_T9_mT8_P12ihipStream_tbDpT10_ENKUlT_T0_E_clISt17integral_constantIbLb0EES17_IbLb1EEEEDaS13_S14_EUlS13_E_NS1_11comp_targetILNS1_3genE3ELNS1_11target_archE908ELNS1_3gpuE7ELNS1_3repE0EEENS1_30default_config_static_selectorELNS0_4arch9wavefront6targetE0EEEvT1_.uses_flat_scratch, 0
	.set _ZN7rocprim17ROCPRIM_400000_NS6detail17trampoline_kernelINS0_14default_configENS1_25partition_config_selectorILNS1_17partition_subalgoE6EsNS0_10empty_typeEbEEZZNS1_14partition_implILS5_6ELb0ES3_mN6thrust23THRUST_200600_302600_NS6detail15normal_iteratorINSA_10device_ptrIsEEEEPS6_SG_NS0_5tupleIJSF_S6_EEENSH_IJSG_SG_EEES6_PlJNSB_9not_fun_tI7is_evenIsEEEEEE10hipError_tPvRmT3_T4_T5_T6_T7_T9_mT8_P12ihipStream_tbDpT10_ENKUlT_T0_E_clISt17integral_constantIbLb0EES17_IbLb1EEEEDaS13_S14_EUlS13_E_NS1_11comp_targetILNS1_3genE3ELNS1_11target_archE908ELNS1_3gpuE7ELNS1_3repE0EEENS1_30default_config_static_selectorELNS0_4arch9wavefront6targetE0EEEvT1_.has_dyn_sized_stack, 0
	.set _ZN7rocprim17ROCPRIM_400000_NS6detail17trampoline_kernelINS0_14default_configENS1_25partition_config_selectorILNS1_17partition_subalgoE6EsNS0_10empty_typeEbEEZZNS1_14partition_implILS5_6ELb0ES3_mN6thrust23THRUST_200600_302600_NS6detail15normal_iteratorINSA_10device_ptrIsEEEEPS6_SG_NS0_5tupleIJSF_S6_EEENSH_IJSG_SG_EEES6_PlJNSB_9not_fun_tI7is_evenIsEEEEEE10hipError_tPvRmT3_T4_T5_T6_T7_T9_mT8_P12ihipStream_tbDpT10_ENKUlT_T0_E_clISt17integral_constantIbLb0EES17_IbLb1EEEEDaS13_S14_EUlS13_E_NS1_11comp_targetILNS1_3genE3ELNS1_11target_archE908ELNS1_3gpuE7ELNS1_3repE0EEENS1_30default_config_static_selectorELNS0_4arch9wavefront6targetE0EEEvT1_.has_recursion, 0
	.set _ZN7rocprim17ROCPRIM_400000_NS6detail17trampoline_kernelINS0_14default_configENS1_25partition_config_selectorILNS1_17partition_subalgoE6EsNS0_10empty_typeEbEEZZNS1_14partition_implILS5_6ELb0ES3_mN6thrust23THRUST_200600_302600_NS6detail15normal_iteratorINSA_10device_ptrIsEEEEPS6_SG_NS0_5tupleIJSF_S6_EEENSH_IJSG_SG_EEES6_PlJNSB_9not_fun_tI7is_evenIsEEEEEE10hipError_tPvRmT3_T4_T5_T6_T7_T9_mT8_P12ihipStream_tbDpT10_ENKUlT_T0_E_clISt17integral_constantIbLb0EES17_IbLb1EEEEDaS13_S14_EUlS13_E_NS1_11comp_targetILNS1_3genE3ELNS1_11target_archE908ELNS1_3gpuE7ELNS1_3repE0EEENS1_30default_config_static_selectorELNS0_4arch9wavefront6targetE0EEEvT1_.has_indirect_call, 0
	.section	.AMDGPU.csdata,"",@progbits
; Kernel info:
; codeLenInByte = 0
; TotalNumSgprs: 0
; NumVgprs: 0
; ScratchSize: 0
; MemoryBound: 0
; FloatMode: 240
; IeeeMode: 1
; LDSByteSize: 0 bytes/workgroup (compile time only)
; SGPRBlocks: 0
; VGPRBlocks: 0
; NumSGPRsForWavesPerEU: 1
; NumVGPRsForWavesPerEU: 1
; Occupancy: 16
; WaveLimiterHint : 0
; COMPUTE_PGM_RSRC2:SCRATCH_EN: 0
; COMPUTE_PGM_RSRC2:USER_SGPR: 2
; COMPUTE_PGM_RSRC2:TRAP_HANDLER: 0
; COMPUTE_PGM_RSRC2:TGID_X_EN: 1
; COMPUTE_PGM_RSRC2:TGID_Y_EN: 0
; COMPUTE_PGM_RSRC2:TGID_Z_EN: 0
; COMPUTE_PGM_RSRC2:TIDIG_COMP_CNT: 0
	.section	.text._ZN7rocprim17ROCPRIM_400000_NS6detail17trampoline_kernelINS0_14default_configENS1_25partition_config_selectorILNS1_17partition_subalgoE6EsNS0_10empty_typeEbEEZZNS1_14partition_implILS5_6ELb0ES3_mN6thrust23THRUST_200600_302600_NS6detail15normal_iteratorINSA_10device_ptrIsEEEEPS6_SG_NS0_5tupleIJSF_S6_EEENSH_IJSG_SG_EEES6_PlJNSB_9not_fun_tI7is_evenIsEEEEEE10hipError_tPvRmT3_T4_T5_T6_T7_T9_mT8_P12ihipStream_tbDpT10_ENKUlT_T0_E_clISt17integral_constantIbLb0EES17_IbLb1EEEEDaS13_S14_EUlS13_E_NS1_11comp_targetILNS1_3genE2ELNS1_11target_archE906ELNS1_3gpuE6ELNS1_3repE0EEENS1_30default_config_static_selectorELNS0_4arch9wavefront6targetE0EEEvT1_,"axG",@progbits,_ZN7rocprim17ROCPRIM_400000_NS6detail17trampoline_kernelINS0_14default_configENS1_25partition_config_selectorILNS1_17partition_subalgoE6EsNS0_10empty_typeEbEEZZNS1_14partition_implILS5_6ELb0ES3_mN6thrust23THRUST_200600_302600_NS6detail15normal_iteratorINSA_10device_ptrIsEEEEPS6_SG_NS0_5tupleIJSF_S6_EEENSH_IJSG_SG_EEES6_PlJNSB_9not_fun_tI7is_evenIsEEEEEE10hipError_tPvRmT3_T4_T5_T6_T7_T9_mT8_P12ihipStream_tbDpT10_ENKUlT_T0_E_clISt17integral_constantIbLb0EES17_IbLb1EEEEDaS13_S14_EUlS13_E_NS1_11comp_targetILNS1_3genE2ELNS1_11target_archE906ELNS1_3gpuE6ELNS1_3repE0EEENS1_30default_config_static_selectorELNS0_4arch9wavefront6targetE0EEEvT1_,comdat
	.protected	_ZN7rocprim17ROCPRIM_400000_NS6detail17trampoline_kernelINS0_14default_configENS1_25partition_config_selectorILNS1_17partition_subalgoE6EsNS0_10empty_typeEbEEZZNS1_14partition_implILS5_6ELb0ES3_mN6thrust23THRUST_200600_302600_NS6detail15normal_iteratorINSA_10device_ptrIsEEEEPS6_SG_NS0_5tupleIJSF_S6_EEENSH_IJSG_SG_EEES6_PlJNSB_9not_fun_tI7is_evenIsEEEEEE10hipError_tPvRmT3_T4_T5_T6_T7_T9_mT8_P12ihipStream_tbDpT10_ENKUlT_T0_E_clISt17integral_constantIbLb0EES17_IbLb1EEEEDaS13_S14_EUlS13_E_NS1_11comp_targetILNS1_3genE2ELNS1_11target_archE906ELNS1_3gpuE6ELNS1_3repE0EEENS1_30default_config_static_selectorELNS0_4arch9wavefront6targetE0EEEvT1_ ; -- Begin function _ZN7rocprim17ROCPRIM_400000_NS6detail17trampoline_kernelINS0_14default_configENS1_25partition_config_selectorILNS1_17partition_subalgoE6EsNS0_10empty_typeEbEEZZNS1_14partition_implILS5_6ELb0ES3_mN6thrust23THRUST_200600_302600_NS6detail15normal_iteratorINSA_10device_ptrIsEEEEPS6_SG_NS0_5tupleIJSF_S6_EEENSH_IJSG_SG_EEES6_PlJNSB_9not_fun_tI7is_evenIsEEEEEE10hipError_tPvRmT3_T4_T5_T6_T7_T9_mT8_P12ihipStream_tbDpT10_ENKUlT_T0_E_clISt17integral_constantIbLb0EES17_IbLb1EEEEDaS13_S14_EUlS13_E_NS1_11comp_targetILNS1_3genE2ELNS1_11target_archE906ELNS1_3gpuE6ELNS1_3repE0EEENS1_30default_config_static_selectorELNS0_4arch9wavefront6targetE0EEEvT1_
	.globl	_ZN7rocprim17ROCPRIM_400000_NS6detail17trampoline_kernelINS0_14default_configENS1_25partition_config_selectorILNS1_17partition_subalgoE6EsNS0_10empty_typeEbEEZZNS1_14partition_implILS5_6ELb0ES3_mN6thrust23THRUST_200600_302600_NS6detail15normal_iteratorINSA_10device_ptrIsEEEEPS6_SG_NS0_5tupleIJSF_S6_EEENSH_IJSG_SG_EEES6_PlJNSB_9not_fun_tI7is_evenIsEEEEEE10hipError_tPvRmT3_T4_T5_T6_T7_T9_mT8_P12ihipStream_tbDpT10_ENKUlT_T0_E_clISt17integral_constantIbLb0EES17_IbLb1EEEEDaS13_S14_EUlS13_E_NS1_11comp_targetILNS1_3genE2ELNS1_11target_archE906ELNS1_3gpuE6ELNS1_3repE0EEENS1_30default_config_static_selectorELNS0_4arch9wavefront6targetE0EEEvT1_
	.p2align	8
	.type	_ZN7rocprim17ROCPRIM_400000_NS6detail17trampoline_kernelINS0_14default_configENS1_25partition_config_selectorILNS1_17partition_subalgoE6EsNS0_10empty_typeEbEEZZNS1_14partition_implILS5_6ELb0ES3_mN6thrust23THRUST_200600_302600_NS6detail15normal_iteratorINSA_10device_ptrIsEEEEPS6_SG_NS0_5tupleIJSF_S6_EEENSH_IJSG_SG_EEES6_PlJNSB_9not_fun_tI7is_evenIsEEEEEE10hipError_tPvRmT3_T4_T5_T6_T7_T9_mT8_P12ihipStream_tbDpT10_ENKUlT_T0_E_clISt17integral_constantIbLb0EES17_IbLb1EEEEDaS13_S14_EUlS13_E_NS1_11comp_targetILNS1_3genE2ELNS1_11target_archE906ELNS1_3gpuE6ELNS1_3repE0EEENS1_30default_config_static_selectorELNS0_4arch9wavefront6targetE0EEEvT1_,@function
_ZN7rocprim17ROCPRIM_400000_NS6detail17trampoline_kernelINS0_14default_configENS1_25partition_config_selectorILNS1_17partition_subalgoE6EsNS0_10empty_typeEbEEZZNS1_14partition_implILS5_6ELb0ES3_mN6thrust23THRUST_200600_302600_NS6detail15normal_iteratorINSA_10device_ptrIsEEEEPS6_SG_NS0_5tupleIJSF_S6_EEENSH_IJSG_SG_EEES6_PlJNSB_9not_fun_tI7is_evenIsEEEEEE10hipError_tPvRmT3_T4_T5_T6_T7_T9_mT8_P12ihipStream_tbDpT10_ENKUlT_T0_E_clISt17integral_constantIbLb0EES17_IbLb1EEEEDaS13_S14_EUlS13_E_NS1_11comp_targetILNS1_3genE2ELNS1_11target_archE906ELNS1_3gpuE6ELNS1_3repE0EEENS1_30default_config_static_selectorELNS0_4arch9wavefront6targetE0EEEvT1_: ; @_ZN7rocprim17ROCPRIM_400000_NS6detail17trampoline_kernelINS0_14default_configENS1_25partition_config_selectorILNS1_17partition_subalgoE6EsNS0_10empty_typeEbEEZZNS1_14partition_implILS5_6ELb0ES3_mN6thrust23THRUST_200600_302600_NS6detail15normal_iteratorINSA_10device_ptrIsEEEEPS6_SG_NS0_5tupleIJSF_S6_EEENSH_IJSG_SG_EEES6_PlJNSB_9not_fun_tI7is_evenIsEEEEEE10hipError_tPvRmT3_T4_T5_T6_T7_T9_mT8_P12ihipStream_tbDpT10_ENKUlT_T0_E_clISt17integral_constantIbLb0EES17_IbLb1EEEEDaS13_S14_EUlS13_E_NS1_11comp_targetILNS1_3genE2ELNS1_11target_archE906ELNS1_3gpuE6ELNS1_3repE0EEENS1_30default_config_static_selectorELNS0_4arch9wavefront6targetE0EEEvT1_
; %bb.0:
	.section	.rodata,"a",@progbits
	.p2align	6, 0x0
	.amdhsa_kernel _ZN7rocprim17ROCPRIM_400000_NS6detail17trampoline_kernelINS0_14default_configENS1_25partition_config_selectorILNS1_17partition_subalgoE6EsNS0_10empty_typeEbEEZZNS1_14partition_implILS5_6ELb0ES3_mN6thrust23THRUST_200600_302600_NS6detail15normal_iteratorINSA_10device_ptrIsEEEEPS6_SG_NS0_5tupleIJSF_S6_EEENSH_IJSG_SG_EEES6_PlJNSB_9not_fun_tI7is_evenIsEEEEEE10hipError_tPvRmT3_T4_T5_T6_T7_T9_mT8_P12ihipStream_tbDpT10_ENKUlT_T0_E_clISt17integral_constantIbLb0EES17_IbLb1EEEEDaS13_S14_EUlS13_E_NS1_11comp_targetILNS1_3genE2ELNS1_11target_archE906ELNS1_3gpuE6ELNS1_3repE0EEENS1_30default_config_static_selectorELNS0_4arch9wavefront6targetE0EEEvT1_
		.amdhsa_group_segment_fixed_size 0
		.amdhsa_private_segment_fixed_size 0
		.amdhsa_kernarg_size 128
		.amdhsa_user_sgpr_count 2
		.amdhsa_user_sgpr_dispatch_ptr 0
		.amdhsa_user_sgpr_queue_ptr 0
		.amdhsa_user_sgpr_kernarg_segment_ptr 1
		.amdhsa_user_sgpr_dispatch_id 0
		.amdhsa_user_sgpr_private_segment_size 0
		.amdhsa_wavefront_size32 1
		.amdhsa_uses_dynamic_stack 0
		.amdhsa_enable_private_segment 0
		.amdhsa_system_sgpr_workgroup_id_x 1
		.amdhsa_system_sgpr_workgroup_id_y 0
		.amdhsa_system_sgpr_workgroup_id_z 0
		.amdhsa_system_sgpr_workgroup_info 0
		.amdhsa_system_vgpr_workitem_id 0
		.amdhsa_next_free_vgpr 1
		.amdhsa_next_free_sgpr 1
		.amdhsa_reserve_vcc 0
		.amdhsa_float_round_mode_32 0
		.amdhsa_float_round_mode_16_64 0
		.amdhsa_float_denorm_mode_32 3
		.amdhsa_float_denorm_mode_16_64 3
		.amdhsa_fp16_overflow 0
		.amdhsa_workgroup_processor_mode 1
		.amdhsa_memory_ordered 1
		.amdhsa_forward_progress 1
		.amdhsa_inst_pref_size 0
		.amdhsa_round_robin_scheduling 0
		.amdhsa_exception_fp_ieee_invalid_op 0
		.amdhsa_exception_fp_denorm_src 0
		.amdhsa_exception_fp_ieee_div_zero 0
		.amdhsa_exception_fp_ieee_overflow 0
		.amdhsa_exception_fp_ieee_underflow 0
		.amdhsa_exception_fp_ieee_inexact 0
		.amdhsa_exception_int_div_zero 0
	.end_amdhsa_kernel
	.section	.text._ZN7rocprim17ROCPRIM_400000_NS6detail17trampoline_kernelINS0_14default_configENS1_25partition_config_selectorILNS1_17partition_subalgoE6EsNS0_10empty_typeEbEEZZNS1_14partition_implILS5_6ELb0ES3_mN6thrust23THRUST_200600_302600_NS6detail15normal_iteratorINSA_10device_ptrIsEEEEPS6_SG_NS0_5tupleIJSF_S6_EEENSH_IJSG_SG_EEES6_PlJNSB_9not_fun_tI7is_evenIsEEEEEE10hipError_tPvRmT3_T4_T5_T6_T7_T9_mT8_P12ihipStream_tbDpT10_ENKUlT_T0_E_clISt17integral_constantIbLb0EES17_IbLb1EEEEDaS13_S14_EUlS13_E_NS1_11comp_targetILNS1_3genE2ELNS1_11target_archE906ELNS1_3gpuE6ELNS1_3repE0EEENS1_30default_config_static_selectorELNS0_4arch9wavefront6targetE0EEEvT1_,"axG",@progbits,_ZN7rocprim17ROCPRIM_400000_NS6detail17trampoline_kernelINS0_14default_configENS1_25partition_config_selectorILNS1_17partition_subalgoE6EsNS0_10empty_typeEbEEZZNS1_14partition_implILS5_6ELb0ES3_mN6thrust23THRUST_200600_302600_NS6detail15normal_iteratorINSA_10device_ptrIsEEEEPS6_SG_NS0_5tupleIJSF_S6_EEENSH_IJSG_SG_EEES6_PlJNSB_9not_fun_tI7is_evenIsEEEEEE10hipError_tPvRmT3_T4_T5_T6_T7_T9_mT8_P12ihipStream_tbDpT10_ENKUlT_T0_E_clISt17integral_constantIbLb0EES17_IbLb1EEEEDaS13_S14_EUlS13_E_NS1_11comp_targetILNS1_3genE2ELNS1_11target_archE906ELNS1_3gpuE6ELNS1_3repE0EEENS1_30default_config_static_selectorELNS0_4arch9wavefront6targetE0EEEvT1_,comdat
.Lfunc_end785:
	.size	_ZN7rocprim17ROCPRIM_400000_NS6detail17trampoline_kernelINS0_14default_configENS1_25partition_config_selectorILNS1_17partition_subalgoE6EsNS0_10empty_typeEbEEZZNS1_14partition_implILS5_6ELb0ES3_mN6thrust23THRUST_200600_302600_NS6detail15normal_iteratorINSA_10device_ptrIsEEEEPS6_SG_NS0_5tupleIJSF_S6_EEENSH_IJSG_SG_EEES6_PlJNSB_9not_fun_tI7is_evenIsEEEEEE10hipError_tPvRmT3_T4_T5_T6_T7_T9_mT8_P12ihipStream_tbDpT10_ENKUlT_T0_E_clISt17integral_constantIbLb0EES17_IbLb1EEEEDaS13_S14_EUlS13_E_NS1_11comp_targetILNS1_3genE2ELNS1_11target_archE906ELNS1_3gpuE6ELNS1_3repE0EEENS1_30default_config_static_selectorELNS0_4arch9wavefront6targetE0EEEvT1_, .Lfunc_end785-_ZN7rocprim17ROCPRIM_400000_NS6detail17trampoline_kernelINS0_14default_configENS1_25partition_config_selectorILNS1_17partition_subalgoE6EsNS0_10empty_typeEbEEZZNS1_14partition_implILS5_6ELb0ES3_mN6thrust23THRUST_200600_302600_NS6detail15normal_iteratorINSA_10device_ptrIsEEEEPS6_SG_NS0_5tupleIJSF_S6_EEENSH_IJSG_SG_EEES6_PlJNSB_9not_fun_tI7is_evenIsEEEEEE10hipError_tPvRmT3_T4_T5_T6_T7_T9_mT8_P12ihipStream_tbDpT10_ENKUlT_T0_E_clISt17integral_constantIbLb0EES17_IbLb1EEEEDaS13_S14_EUlS13_E_NS1_11comp_targetILNS1_3genE2ELNS1_11target_archE906ELNS1_3gpuE6ELNS1_3repE0EEENS1_30default_config_static_selectorELNS0_4arch9wavefront6targetE0EEEvT1_
                                        ; -- End function
	.set _ZN7rocprim17ROCPRIM_400000_NS6detail17trampoline_kernelINS0_14default_configENS1_25partition_config_selectorILNS1_17partition_subalgoE6EsNS0_10empty_typeEbEEZZNS1_14partition_implILS5_6ELb0ES3_mN6thrust23THRUST_200600_302600_NS6detail15normal_iteratorINSA_10device_ptrIsEEEEPS6_SG_NS0_5tupleIJSF_S6_EEENSH_IJSG_SG_EEES6_PlJNSB_9not_fun_tI7is_evenIsEEEEEE10hipError_tPvRmT3_T4_T5_T6_T7_T9_mT8_P12ihipStream_tbDpT10_ENKUlT_T0_E_clISt17integral_constantIbLb0EES17_IbLb1EEEEDaS13_S14_EUlS13_E_NS1_11comp_targetILNS1_3genE2ELNS1_11target_archE906ELNS1_3gpuE6ELNS1_3repE0EEENS1_30default_config_static_selectorELNS0_4arch9wavefront6targetE0EEEvT1_.num_vgpr, 0
	.set _ZN7rocprim17ROCPRIM_400000_NS6detail17trampoline_kernelINS0_14default_configENS1_25partition_config_selectorILNS1_17partition_subalgoE6EsNS0_10empty_typeEbEEZZNS1_14partition_implILS5_6ELb0ES3_mN6thrust23THRUST_200600_302600_NS6detail15normal_iteratorINSA_10device_ptrIsEEEEPS6_SG_NS0_5tupleIJSF_S6_EEENSH_IJSG_SG_EEES6_PlJNSB_9not_fun_tI7is_evenIsEEEEEE10hipError_tPvRmT3_T4_T5_T6_T7_T9_mT8_P12ihipStream_tbDpT10_ENKUlT_T0_E_clISt17integral_constantIbLb0EES17_IbLb1EEEEDaS13_S14_EUlS13_E_NS1_11comp_targetILNS1_3genE2ELNS1_11target_archE906ELNS1_3gpuE6ELNS1_3repE0EEENS1_30default_config_static_selectorELNS0_4arch9wavefront6targetE0EEEvT1_.num_agpr, 0
	.set _ZN7rocprim17ROCPRIM_400000_NS6detail17trampoline_kernelINS0_14default_configENS1_25partition_config_selectorILNS1_17partition_subalgoE6EsNS0_10empty_typeEbEEZZNS1_14partition_implILS5_6ELb0ES3_mN6thrust23THRUST_200600_302600_NS6detail15normal_iteratorINSA_10device_ptrIsEEEEPS6_SG_NS0_5tupleIJSF_S6_EEENSH_IJSG_SG_EEES6_PlJNSB_9not_fun_tI7is_evenIsEEEEEE10hipError_tPvRmT3_T4_T5_T6_T7_T9_mT8_P12ihipStream_tbDpT10_ENKUlT_T0_E_clISt17integral_constantIbLb0EES17_IbLb1EEEEDaS13_S14_EUlS13_E_NS1_11comp_targetILNS1_3genE2ELNS1_11target_archE906ELNS1_3gpuE6ELNS1_3repE0EEENS1_30default_config_static_selectorELNS0_4arch9wavefront6targetE0EEEvT1_.numbered_sgpr, 0
	.set _ZN7rocprim17ROCPRIM_400000_NS6detail17trampoline_kernelINS0_14default_configENS1_25partition_config_selectorILNS1_17partition_subalgoE6EsNS0_10empty_typeEbEEZZNS1_14partition_implILS5_6ELb0ES3_mN6thrust23THRUST_200600_302600_NS6detail15normal_iteratorINSA_10device_ptrIsEEEEPS6_SG_NS0_5tupleIJSF_S6_EEENSH_IJSG_SG_EEES6_PlJNSB_9not_fun_tI7is_evenIsEEEEEE10hipError_tPvRmT3_T4_T5_T6_T7_T9_mT8_P12ihipStream_tbDpT10_ENKUlT_T0_E_clISt17integral_constantIbLb0EES17_IbLb1EEEEDaS13_S14_EUlS13_E_NS1_11comp_targetILNS1_3genE2ELNS1_11target_archE906ELNS1_3gpuE6ELNS1_3repE0EEENS1_30default_config_static_selectorELNS0_4arch9wavefront6targetE0EEEvT1_.num_named_barrier, 0
	.set _ZN7rocprim17ROCPRIM_400000_NS6detail17trampoline_kernelINS0_14default_configENS1_25partition_config_selectorILNS1_17partition_subalgoE6EsNS0_10empty_typeEbEEZZNS1_14partition_implILS5_6ELb0ES3_mN6thrust23THRUST_200600_302600_NS6detail15normal_iteratorINSA_10device_ptrIsEEEEPS6_SG_NS0_5tupleIJSF_S6_EEENSH_IJSG_SG_EEES6_PlJNSB_9not_fun_tI7is_evenIsEEEEEE10hipError_tPvRmT3_T4_T5_T6_T7_T9_mT8_P12ihipStream_tbDpT10_ENKUlT_T0_E_clISt17integral_constantIbLb0EES17_IbLb1EEEEDaS13_S14_EUlS13_E_NS1_11comp_targetILNS1_3genE2ELNS1_11target_archE906ELNS1_3gpuE6ELNS1_3repE0EEENS1_30default_config_static_selectorELNS0_4arch9wavefront6targetE0EEEvT1_.private_seg_size, 0
	.set _ZN7rocprim17ROCPRIM_400000_NS6detail17trampoline_kernelINS0_14default_configENS1_25partition_config_selectorILNS1_17partition_subalgoE6EsNS0_10empty_typeEbEEZZNS1_14partition_implILS5_6ELb0ES3_mN6thrust23THRUST_200600_302600_NS6detail15normal_iteratorINSA_10device_ptrIsEEEEPS6_SG_NS0_5tupleIJSF_S6_EEENSH_IJSG_SG_EEES6_PlJNSB_9not_fun_tI7is_evenIsEEEEEE10hipError_tPvRmT3_T4_T5_T6_T7_T9_mT8_P12ihipStream_tbDpT10_ENKUlT_T0_E_clISt17integral_constantIbLb0EES17_IbLb1EEEEDaS13_S14_EUlS13_E_NS1_11comp_targetILNS1_3genE2ELNS1_11target_archE906ELNS1_3gpuE6ELNS1_3repE0EEENS1_30default_config_static_selectorELNS0_4arch9wavefront6targetE0EEEvT1_.uses_vcc, 0
	.set _ZN7rocprim17ROCPRIM_400000_NS6detail17trampoline_kernelINS0_14default_configENS1_25partition_config_selectorILNS1_17partition_subalgoE6EsNS0_10empty_typeEbEEZZNS1_14partition_implILS5_6ELb0ES3_mN6thrust23THRUST_200600_302600_NS6detail15normal_iteratorINSA_10device_ptrIsEEEEPS6_SG_NS0_5tupleIJSF_S6_EEENSH_IJSG_SG_EEES6_PlJNSB_9not_fun_tI7is_evenIsEEEEEE10hipError_tPvRmT3_T4_T5_T6_T7_T9_mT8_P12ihipStream_tbDpT10_ENKUlT_T0_E_clISt17integral_constantIbLb0EES17_IbLb1EEEEDaS13_S14_EUlS13_E_NS1_11comp_targetILNS1_3genE2ELNS1_11target_archE906ELNS1_3gpuE6ELNS1_3repE0EEENS1_30default_config_static_selectorELNS0_4arch9wavefront6targetE0EEEvT1_.uses_flat_scratch, 0
	.set _ZN7rocprim17ROCPRIM_400000_NS6detail17trampoline_kernelINS0_14default_configENS1_25partition_config_selectorILNS1_17partition_subalgoE6EsNS0_10empty_typeEbEEZZNS1_14partition_implILS5_6ELb0ES3_mN6thrust23THRUST_200600_302600_NS6detail15normal_iteratorINSA_10device_ptrIsEEEEPS6_SG_NS0_5tupleIJSF_S6_EEENSH_IJSG_SG_EEES6_PlJNSB_9not_fun_tI7is_evenIsEEEEEE10hipError_tPvRmT3_T4_T5_T6_T7_T9_mT8_P12ihipStream_tbDpT10_ENKUlT_T0_E_clISt17integral_constantIbLb0EES17_IbLb1EEEEDaS13_S14_EUlS13_E_NS1_11comp_targetILNS1_3genE2ELNS1_11target_archE906ELNS1_3gpuE6ELNS1_3repE0EEENS1_30default_config_static_selectorELNS0_4arch9wavefront6targetE0EEEvT1_.has_dyn_sized_stack, 0
	.set _ZN7rocprim17ROCPRIM_400000_NS6detail17trampoline_kernelINS0_14default_configENS1_25partition_config_selectorILNS1_17partition_subalgoE6EsNS0_10empty_typeEbEEZZNS1_14partition_implILS5_6ELb0ES3_mN6thrust23THRUST_200600_302600_NS6detail15normal_iteratorINSA_10device_ptrIsEEEEPS6_SG_NS0_5tupleIJSF_S6_EEENSH_IJSG_SG_EEES6_PlJNSB_9not_fun_tI7is_evenIsEEEEEE10hipError_tPvRmT3_T4_T5_T6_T7_T9_mT8_P12ihipStream_tbDpT10_ENKUlT_T0_E_clISt17integral_constantIbLb0EES17_IbLb1EEEEDaS13_S14_EUlS13_E_NS1_11comp_targetILNS1_3genE2ELNS1_11target_archE906ELNS1_3gpuE6ELNS1_3repE0EEENS1_30default_config_static_selectorELNS0_4arch9wavefront6targetE0EEEvT1_.has_recursion, 0
	.set _ZN7rocprim17ROCPRIM_400000_NS6detail17trampoline_kernelINS0_14default_configENS1_25partition_config_selectorILNS1_17partition_subalgoE6EsNS0_10empty_typeEbEEZZNS1_14partition_implILS5_6ELb0ES3_mN6thrust23THRUST_200600_302600_NS6detail15normal_iteratorINSA_10device_ptrIsEEEEPS6_SG_NS0_5tupleIJSF_S6_EEENSH_IJSG_SG_EEES6_PlJNSB_9not_fun_tI7is_evenIsEEEEEE10hipError_tPvRmT3_T4_T5_T6_T7_T9_mT8_P12ihipStream_tbDpT10_ENKUlT_T0_E_clISt17integral_constantIbLb0EES17_IbLb1EEEEDaS13_S14_EUlS13_E_NS1_11comp_targetILNS1_3genE2ELNS1_11target_archE906ELNS1_3gpuE6ELNS1_3repE0EEENS1_30default_config_static_selectorELNS0_4arch9wavefront6targetE0EEEvT1_.has_indirect_call, 0
	.section	.AMDGPU.csdata,"",@progbits
; Kernel info:
; codeLenInByte = 0
; TotalNumSgprs: 0
; NumVgprs: 0
; ScratchSize: 0
; MemoryBound: 0
; FloatMode: 240
; IeeeMode: 1
; LDSByteSize: 0 bytes/workgroup (compile time only)
; SGPRBlocks: 0
; VGPRBlocks: 0
; NumSGPRsForWavesPerEU: 1
; NumVGPRsForWavesPerEU: 1
; Occupancy: 16
; WaveLimiterHint : 0
; COMPUTE_PGM_RSRC2:SCRATCH_EN: 0
; COMPUTE_PGM_RSRC2:USER_SGPR: 2
; COMPUTE_PGM_RSRC2:TRAP_HANDLER: 0
; COMPUTE_PGM_RSRC2:TGID_X_EN: 1
; COMPUTE_PGM_RSRC2:TGID_Y_EN: 0
; COMPUTE_PGM_RSRC2:TGID_Z_EN: 0
; COMPUTE_PGM_RSRC2:TIDIG_COMP_CNT: 0
	.section	.text._ZN7rocprim17ROCPRIM_400000_NS6detail17trampoline_kernelINS0_14default_configENS1_25partition_config_selectorILNS1_17partition_subalgoE6EsNS0_10empty_typeEbEEZZNS1_14partition_implILS5_6ELb0ES3_mN6thrust23THRUST_200600_302600_NS6detail15normal_iteratorINSA_10device_ptrIsEEEEPS6_SG_NS0_5tupleIJSF_S6_EEENSH_IJSG_SG_EEES6_PlJNSB_9not_fun_tI7is_evenIsEEEEEE10hipError_tPvRmT3_T4_T5_T6_T7_T9_mT8_P12ihipStream_tbDpT10_ENKUlT_T0_E_clISt17integral_constantIbLb0EES17_IbLb1EEEEDaS13_S14_EUlS13_E_NS1_11comp_targetILNS1_3genE10ELNS1_11target_archE1200ELNS1_3gpuE4ELNS1_3repE0EEENS1_30default_config_static_selectorELNS0_4arch9wavefront6targetE0EEEvT1_,"axG",@progbits,_ZN7rocprim17ROCPRIM_400000_NS6detail17trampoline_kernelINS0_14default_configENS1_25partition_config_selectorILNS1_17partition_subalgoE6EsNS0_10empty_typeEbEEZZNS1_14partition_implILS5_6ELb0ES3_mN6thrust23THRUST_200600_302600_NS6detail15normal_iteratorINSA_10device_ptrIsEEEEPS6_SG_NS0_5tupleIJSF_S6_EEENSH_IJSG_SG_EEES6_PlJNSB_9not_fun_tI7is_evenIsEEEEEE10hipError_tPvRmT3_T4_T5_T6_T7_T9_mT8_P12ihipStream_tbDpT10_ENKUlT_T0_E_clISt17integral_constantIbLb0EES17_IbLb1EEEEDaS13_S14_EUlS13_E_NS1_11comp_targetILNS1_3genE10ELNS1_11target_archE1200ELNS1_3gpuE4ELNS1_3repE0EEENS1_30default_config_static_selectorELNS0_4arch9wavefront6targetE0EEEvT1_,comdat
	.protected	_ZN7rocprim17ROCPRIM_400000_NS6detail17trampoline_kernelINS0_14default_configENS1_25partition_config_selectorILNS1_17partition_subalgoE6EsNS0_10empty_typeEbEEZZNS1_14partition_implILS5_6ELb0ES3_mN6thrust23THRUST_200600_302600_NS6detail15normal_iteratorINSA_10device_ptrIsEEEEPS6_SG_NS0_5tupleIJSF_S6_EEENSH_IJSG_SG_EEES6_PlJNSB_9not_fun_tI7is_evenIsEEEEEE10hipError_tPvRmT3_T4_T5_T6_T7_T9_mT8_P12ihipStream_tbDpT10_ENKUlT_T0_E_clISt17integral_constantIbLb0EES17_IbLb1EEEEDaS13_S14_EUlS13_E_NS1_11comp_targetILNS1_3genE10ELNS1_11target_archE1200ELNS1_3gpuE4ELNS1_3repE0EEENS1_30default_config_static_selectorELNS0_4arch9wavefront6targetE0EEEvT1_ ; -- Begin function _ZN7rocprim17ROCPRIM_400000_NS6detail17trampoline_kernelINS0_14default_configENS1_25partition_config_selectorILNS1_17partition_subalgoE6EsNS0_10empty_typeEbEEZZNS1_14partition_implILS5_6ELb0ES3_mN6thrust23THRUST_200600_302600_NS6detail15normal_iteratorINSA_10device_ptrIsEEEEPS6_SG_NS0_5tupleIJSF_S6_EEENSH_IJSG_SG_EEES6_PlJNSB_9not_fun_tI7is_evenIsEEEEEE10hipError_tPvRmT3_T4_T5_T6_T7_T9_mT8_P12ihipStream_tbDpT10_ENKUlT_T0_E_clISt17integral_constantIbLb0EES17_IbLb1EEEEDaS13_S14_EUlS13_E_NS1_11comp_targetILNS1_3genE10ELNS1_11target_archE1200ELNS1_3gpuE4ELNS1_3repE0EEENS1_30default_config_static_selectorELNS0_4arch9wavefront6targetE0EEEvT1_
	.globl	_ZN7rocprim17ROCPRIM_400000_NS6detail17trampoline_kernelINS0_14default_configENS1_25partition_config_selectorILNS1_17partition_subalgoE6EsNS0_10empty_typeEbEEZZNS1_14partition_implILS5_6ELb0ES3_mN6thrust23THRUST_200600_302600_NS6detail15normal_iteratorINSA_10device_ptrIsEEEEPS6_SG_NS0_5tupleIJSF_S6_EEENSH_IJSG_SG_EEES6_PlJNSB_9not_fun_tI7is_evenIsEEEEEE10hipError_tPvRmT3_T4_T5_T6_T7_T9_mT8_P12ihipStream_tbDpT10_ENKUlT_T0_E_clISt17integral_constantIbLb0EES17_IbLb1EEEEDaS13_S14_EUlS13_E_NS1_11comp_targetILNS1_3genE10ELNS1_11target_archE1200ELNS1_3gpuE4ELNS1_3repE0EEENS1_30default_config_static_selectorELNS0_4arch9wavefront6targetE0EEEvT1_
	.p2align	8
	.type	_ZN7rocprim17ROCPRIM_400000_NS6detail17trampoline_kernelINS0_14default_configENS1_25partition_config_selectorILNS1_17partition_subalgoE6EsNS0_10empty_typeEbEEZZNS1_14partition_implILS5_6ELb0ES3_mN6thrust23THRUST_200600_302600_NS6detail15normal_iteratorINSA_10device_ptrIsEEEEPS6_SG_NS0_5tupleIJSF_S6_EEENSH_IJSG_SG_EEES6_PlJNSB_9not_fun_tI7is_evenIsEEEEEE10hipError_tPvRmT3_T4_T5_T6_T7_T9_mT8_P12ihipStream_tbDpT10_ENKUlT_T0_E_clISt17integral_constantIbLb0EES17_IbLb1EEEEDaS13_S14_EUlS13_E_NS1_11comp_targetILNS1_3genE10ELNS1_11target_archE1200ELNS1_3gpuE4ELNS1_3repE0EEENS1_30default_config_static_selectorELNS0_4arch9wavefront6targetE0EEEvT1_,@function
_ZN7rocprim17ROCPRIM_400000_NS6detail17trampoline_kernelINS0_14default_configENS1_25partition_config_selectorILNS1_17partition_subalgoE6EsNS0_10empty_typeEbEEZZNS1_14partition_implILS5_6ELb0ES3_mN6thrust23THRUST_200600_302600_NS6detail15normal_iteratorINSA_10device_ptrIsEEEEPS6_SG_NS0_5tupleIJSF_S6_EEENSH_IJSG_SG_EEES6_PlJNSB_9not_fun_tI7is_evenIsEEEEEE10hipError_tPvRmT3_T4_T5_T6_T7_T9_mT8_P12ihipStream_tbDpT10_ENKUlT_T0_E_clISt17integral_constantIbLb0EES17_IbLb1EEEEDaS13_S14_EUlS13_E_NS1_11comp_targetILNS1_3genE10ELNS1_11target_archE1200ELNS1_3gpuE4ELNS1_3repE0EEENS1_30default_config_static_selectorELNS0_4arch9wavefront6targetE0EEEvT1_: ; @_ZN7rocprim17ROCPRIM_400000_NS6detail17trampoline_kernelINS0_14default_configENS1_25partition_config_selectorILNS1_17partition_subalgoE6EsNS0_10empty_typeEbEEZZNS1_14partition_implILS5_6ELb0ES3_mN6thrust23THRUST_200600_302600_NS6detail15normal_iteratorINSA_10device_ptrIsEEEEPS6_SG_NS0_5tupleIJSF_S6_EEENSH_IJSG_SG_EEES6_PlJNSB_9not_fun_tI7is_evenIsEEEEEE10hipError_tPvRmT3_T4_T5_T6_T7_T9_mT8_P12ihipStream_tbDpT10_ENKUlT_T0_E_clISt17integral_constantIbLb0EES17_IbLb1EEEEDaS13_S14_EUlS13_E_NS1_11comp_targetILNS1_3genE10ELNS1_11target_archE1200ELNS1_3gpuE4ELNS1_3repE0EEENS1_30default_config_static_selectorELNS0_4arch9wavefront6targetE0EEEvT1_
; %bb.0:
	s_clause 0x3
	s_load_b64 s[12:13], s[0:1], 0x28
	s_load_b128 s[8:11], s[0:1], 0x40
	s_load_b64 s[16:17], s[0:1], 0x50
	s_load_b64 s[14:15], s[0:1], 0x60
	v_cmp_eq_u32_e64 s2, 0, v0
	s_and_saveexec_b32 s3, s2
	s_cbranch_execz .LBB786_4
; %bb.1:
	s_mov_b32 s5, exec_lo
	s_mov_b32 s4, exec_lo
	v_mbcnt_lo_u32_b32 v1, s5, 0
                                        ; implicit-def: $vgpr2
	s_delay_alu instid0(VALU_DEP_1)
	v_cmpx_eq_u32_e32 0, v1
	s_cbranch_execz .LBB786_3
; %bb.2:
	s_load_b64 s[6:7], s[0:1], 0x70
	s_bcnt1_i32_b32 s5, s5
	s_wait_alu 0xfffe
	v_dual_mov_b32 v2, 0 :: v_dual_mov_b32 v3, s5
	s_wait_kmcnt 0x0
	global_atomic_add_u32 v2, v2, v3, s[6:7] th:TH_ATOMIC_RETURN scope:SCOPE_DEV
.LBB786_3:
	s_or_b32 exec_lo, exec_lo, s4
	s_wait_loadcnt 0x0
	v_readfirstlane_b32 s4, v2
	s_wait_alu 0xf1ff
	s_delay_alu instid0(VALU_DEP_1)
	v_dual_mov_b32 v2, 0 :: v_dual_add_nc_u32 v1, s4, v1
	ds_store_b32 v2, v1
.LBB786_4:
	s_or_b32 exec_lo, exec_lo, s3
	v_dual_mov_b32 v2, 0 :: v_dual_lshlrev_b32 v19, 1, v0
	s_clause 0x1
	s_load_b128 s[4:7], s[0:1], 0x8
	s_load_b32 s0, s[0:1], 0x68
	s_wait_dscnt 0x0
	s_barrier_signal -1
	s_barrier_wait -1
	global_inv scope:SCOPE_SE
	ds_load_b32 v1, v2
	s_wait_loadcnt_dscnt 0x0
	s_barrier_signal -1
	s_barrier_wait -1
	global_inv scope:SCOPE_SE
	s_wait_kmcnt 0x0
	global_load_b64 v[17:18], v2, s[10:11]
	s_mov_b32 s1, 0
	s_lshl_b64 s[18:19], s[6:7], 1
	s_add_co_i32 s3, s0, -1
	s_mulk_i32 s0, 0x1b00
	s_delay_alu instid0(SALU_CYCLE_1)
	s_add_co_i32 s11, s0, s6
	s_add_nc_u64 s[6:7], s[6:7], s[0:1]
	v_readfirstlane_b32 s10, v1
	v_mul_lo_u32 v1, 0x1b00, v1
	v_cmp_le_u64_e64 s1, s[16:17], s[6:7]
	s_sub_co_i32 s0, s16, s11
	s_add_nc_u64 s[16:17], s[4:5], s[18:19]
	s_cmp_eq_u32 s10, s3
	s_cselect_b32 s6, -1, 0
	v_lshlrev_b64_e32 v[1:2], 1, v[1:2]
	s_wait_alu 0xfffe
	s_and_b32 s1, s1, s6
	s_delay_alu instid0(SALU_CYCLE_1) | instskip(SKIP_1) | instid1(VALU_DEP_1)
	s_xor_b32 s5, s1, -1
	s_mov_b32 s1, -1
	v_add_co_u32 v20, vcc_lo, s16, v1
	s_delay_alu instid0(VALU_DEP_1)
	v_add_co_ci_u32_e64 v21, null, s17, v2, vcc_lo
	s_wait_alu 0xfffe
	s_and_b32 vcc_lo, exec_lo, s5
	s_wait_alu 0xfffe
	s_cbranch_vccz .LBB786_6
; %bb.5:
	v_add_co_u32 v1, vcc_lo, v20, v19
	s_wait_alu 0xfffd
	v_add_co_ci_u32_e64 v2, null, 0, v21, vcc_lo
	s_mov_b32 s1, 0
	s_clause 0x11
	flat_load_u16 v3, v[1:2]
	flat_load_u16 v4, v[1:2] offset:768
	flat_load_u16 v5, v[1:2] offset:1536
	;; [unrolled: 1-line block ×17, first 2 shown]
	s_wait_loadcnt_dscnt 0x1111
	ds_store_b16 v19, v3
	s_wait_loadcnt_dscnt 0x1011
	ds_store_b16 v19, v4 offset:768
	s_wait_loadcnt_dscnt 0xf11
	ds_store_b16 v19, v5 offset:1536
	;; [unrolled: 2-line block ×17, first 2 shown]
	s_wait_dscnt 0x0
	s_barrier_signal -1
	s_barrier_wait -1
.LBB786_6:
	s_and_not1_b32 vcc_lo, exec_lo, s1
	s_addk_co_i32 s0, 0x1b00
	s_wait_alu 0xfffe
	s_cbranch_vccnz .LBB786_44
; %bb.7:
	v_mov_b32_e32 v1, 0
	s_mov_b32 s1, exec_lo
	s_delay_alu instid0(VALU_DEP_1)
	v_dual_mov_b32 v2, v1 :: v_dual_mov_b32 v3, v1
	v_dual_mov_b32 v4, v1 :: v_dual_mov_b32 v5, v1
	;; [unrolled: 1-line block ×4, first 2 shown]
	v_cmpx_gt_u32_e64 s0, v0
	s_cbranch_execz .LBB786_9
; %bb.8:
	v_add_co_u32 v3, vcc_lo, v20, v19
	s_wait_alu 0xfffd
	v_add_co_ci_u32_e64 v4, null, 0, v21, vcc_lo
	v_mov_b32_e32 v2, v1
	v_dual_mov_b32 v6, v1 :: v_dual_mov_b32 v7, v1
	v_dual_mov_b32 v5, v1 :: v_dual_mov_b32 v8, v1
	v_mov_b32_e32 v9, v1
	flat_load_d16_b16 v2, v[3:4]
	v_dual_mov_b32 v3, v1 :: v_dual_mov_b32 v4, v1
	v_mov_b32_e32 v10, v1
	s_wait_loadcnt_dscnt 0x0
	v_mov_b32_e32 v1, v2
	s_delay_alu instid0(VALU_DEP_3)
	v_mov_b32_e32 v2, v3
	v_mov_b32_e32 v3, v4
	;; [unrolled: 1-line block ×15, first 2 shown]
.LBB786_9:
	s_or_b32 exec_lo, exec_lo, s1
	v_add_nc_u32_e32 v10, 0x180, v0
	s_mov_b32 s1, exec_lo
	s_delay_alu instid0(VALU_DEP_1)
	v_cmpx_gt_u32_e64 s0, v10
	s_cbranch_execz .LBB786_11
; %bb.10:
	v_add_co_u32 v10, vcc_lo, v20, v19
	s_wait_alu 0xfffd
	v_add_co_ci_u32_e64 v11, null, 0, v21, vcc_lo
	flat_load_d16_hi_b16 v1, v[10:11] offset:768
.LBB786_11:
	s_wait_alu 0xfffe
	s_or_b32 exec_lo, exec_lo, s1
	v_add_nc_u32_e32 v10, 0x300, v0
	s_mov_b32 s1, exec_lo
	s_delay_alu instid0(VALU_DEP_1)
	v_cmpx_gt_u32_e64 s0, v10
	s_cbranch_execz .LBB786_13
; %bb.12:
	v_add_co_u32 v10, vcc_lo, v20, v19
	s_wait_alu 0xfffd
	v_add_co_ci_u32_e64 v11, null, 0, v21, vcc_lo
	flat_load_d16_b16 v2, v[10:11] offset:1536
.LBB786_13:
	s_wait_alu 0xfffe
	s_or_b32 exec_lo, exec_lo, s1
	v_add_nc_u32_e32 v10, 0x480, v0
	s_mov_b32 s1, exec_lo
	s_delay_alu instid0(VALU_DEP_1)
	v_cmpx_gt_u32_e64 s0, v10
	s_cbranch_execz .LBB786_15
; %bb.14:
	v_add_co_u32 v10, vcc_lo, v20, v19
	s_wait_alu 0xfffd
	v_add_co_ci_u32_e64 v11, null, 0, v21, vcc_lo
	s_wait_loadcnt_dscnt 0x0
	flat_load_d16_hi_b16 v2, v[10:11] offset:2304
.LBB786_15:
	s_wait_alu 0xfffe
	s_or_b32 exec_lo, exec_lo, s1
	v_or_b32_e32 v10, 0x600, v0
	s_mov_b32 s1, exec_lo
	s_delay_alu instid0(VALU_DEP_1)
	v_cmpx_gt_u32_e64 s0, v10
	s_cbranch_execz .LBB786_17
; %bb.16:
	v_add_co_u32 v10, vcc_lo, v20, v19
	s_wait_alu 0xfffd
	v_add_co_ci_u32_e64 v11, null, 0, v21, vcc_lo
	flat_load_d16_b16 v3, v[10:11] offset:3072
.LBB786_17:
	s_wait_alu 0xfffe
	s_or_b32 exec_lo, exec_lo, s1
	v_add_nc_u32_e32 v10, 0x780, v0
	s_mov_b32 s1, exec_lo
	s_delay_alu instid0(VALU_DEP_1)
	v_cmpx_gt_u32_e64 s0, v10
	s_cbranch_execz .LBB786_19
; %bb.18:
	v_add_co_u32 v10, vcc_lo, v20, v19
	s_wait_alu 0xfffd
	v_add_co_ci_u32_e64 v11, null, 0, v21, vcc_lo
	s_wait_loadcnt_dscnt 0x0
	flat_load_d16_hi_b16 v3, v[10:11] offset:3840
.LBB786_19:
	s_wait_alu 0xfffe
	s_or_b32 exec_lo, exec_lo, s1
	v_add_nc_u32_e32 v10, 0x900, v0
	s_mov_b32 s1, exec_lo
	s_delay_alu instid0(VALU_DEP_1)
	v_cmpx_gt_u32_e64 s0, v10
	s_cbranch_execz .LBB786_21
; %bb.20:
	v_add_co_u32 v10, vcc_lo, v20, v19
	s_wait_alu 0xfffd
	v_add_co_ci_u32_e64 v11, null, 0, v21, vcc_lo
	flat_load_d16_b16 v4, v[10:11] offset:4608
.LBB786_21:
	s_wait_alu 0xfffe
	s_or_b32 exec_lo, exec_lo, s1
	v_add_nc_u32_e32 v10, 0xa80, v0
	s_mov_b32 s1, exec_lo
	s_delay_alu instid0(VALU_DEP_1)
	v_cmpx_gt_u32_e64 s0, v10
	s_cbranch_execz .LBB786_23
; %bb.22:
	v_add_co_u32 v10, vcc_lo, v20, v19
	s_wait_alu 0xfffd
	v_add_co_ci_u32_e64 v11, null, 0, v21, vcc_lo
	s_wait_loadcnt_dscnt 0x0
	flat_load_d16_hi_b16 v4, v[10:11] offset:5376
.LBB786_23:
	s_wait_alu 0xfffe
	s_or_b32 exec_lo, exec_lo, s1
	v_or_b32_e32 v10, 0xc00, v0
	s_mov_b32 s1, exec_lo
	s_delay_alu instid0(VALU_DEP_1)
	v_cmpx_gt_u32_e64 s0, v10
	s_cbranch_execz .LBB786_25
; %bb.24:
	v_add_co_u32 v10, vcc_lo, v20, v19
	s_wait_alu 0xfffd
	v_add_co_ci_u32_e64 v11, null, 0, v21, vcc_lo
	flat_load_d16_b16 v5, v[10:11] offset:6144
.LBB786_25:
	s_wait_alu 0xfffe
	s_or_b32 exec_lo, exec_lo, s1
	v_add_nc_u32_e32 v10, 0xd80, v0
	s_mov_b32 s1, exec_lo
	s_delay_alu instid0(VALU_DEP_1)
	v_cmpx_gt_u32_e64 s0, v10
	s_cbranch_execz .LBB786_27
; %bb.26:
	v_add_co_u32 v10, vcc_lo, v20, v19
	s_wait_alu 0xfffd
	v_add_co_ci_u32_e64 v11, null, 0, v21, vcc_lo
	s_wait_loadcnt_dscnt 0x0
	flat_load_d16_hi_b16 v5, v[10:11] offset:6912
.LBB786_27:
	;; [unrolled: 54-line block ×4, first 2 shown]
	s_wait_alu 0xfffe
	s_or_b32 exec_lo, exec_lo, s1
	s_wait_loadcnt_dscnt 0x0
	ds_store_b16 v19, v1
	ds_store_b16_d16_hi v19, v1 offset:768
	ds_store_b16 v19, v2 offset:1536
	ds_store_b16_d16_hi v19, v2 offset:2304
	ds_store_b16 v19, v3 offset:3072
	;; [unrolled: 2-line block ×8, first 2 shown]
	ds_store_b16_d16_hi v19, v9 offset:13056
	s_wait_dscnt 0x0
	s_barrier_signal -1
	s_barrier_wait -1
.LBB786_44:
	v_mul_u32_u24_e32 v1, 18, v0
	s_wait_loadcnt 0x0
	global_inv scope:SCOPE_SE
	s_and_not1_b32 vcc_lo, exec_lo, s5
	v_lshlrev_b32_e32 v2, 1, v1
	ds_load_b32 v57, v2 offset:32
	ds_load_2addr_b32 v[15:16], v2 offset1:1
	ds_load_2addr_b32 v[13:14], v2 offset0:2 offset1:3
	ds_load_2addr_b32 v[11:12], v2 offset0:4 offset1:5
	;; [unrolled: 1-line block ×3, first 2 shown]
	s_wait_loadcnt_dscnt 0x0
	s_barrier_signal -1
	s_barrier_wait -1
	global_inv scope:SCOPE_SE
	v_lshrrev_b32_e32 v58, 16, v57
	v_lshrrev_b32_e32 v19, 16, v15
	;; [unrolled: 1-line block ×9, first 2 shown]
	s_wait_alu 0xfffe
	s_cbranch_vccnz .LBB786_46
; %bb.45:
	v_and_b32_e32 v22, 1, v8
	v_and_b32_e32 v20, 1, v7
	;; [unrolled: 1-line block ×5, first 2 shown]
	v_lshlrev_b16 v22, 8, v22
	v_and_b32_e32 v27, 1, v4
	v_lshlrev_b16 v20, 8, v20
	v_lshlrev_b16 v21, 8, v21
	;; [unrolled: 1-line block ×3, first 2 shown]
	v_lshrrev_b32_e32 v22, 8, v22
	v_lshlrev_b16 v25, 8, v25
	v_lshlrev_b16 v27, 8, v27
	v_and_b32_e32 v23, 1, v5
	v_and_b32_e32 v26, 1, v2
	v_lshrrev_b32_e32 v21, 8, v21
	v_lshrrev_b32_e32 v20, 8, v20
	v_and_b32_e32 v30, 1, v13
	v_lshlrev_b16 v22, 8, v22
	v_lshrrev_b32_e32 v27, 8, v27
	v_lshrrev_b32_e32 v25, 8, v25
	;; [unrolled: 1-line block ×3, first 2 shown]
	v_lshlrev_b16 v23, 8, v23
	v_lshlrev_b16 v26, 8, v26
	v_and_b32_e32 v28, 1, v15
	v_lshlrev_b16 v21, 8, v21
	v_and_b32_e32 v29, 1, v16
	v_lshlrev_b16 v20, 8, v20
	v_or_b32_e32 v22, v30, v22
	v_and_b32_e32 v30, 1, v14
	v_and_b32_e32 v31, 1, v11
	v_lshlrev_b16 v25, 8, v25
	v_and_b32_e32 v32, 1, v12
	v_lshlrev_b16 v24, 8, v24
	;; [unrolled: 2-line block ×3, first 2 shown]
	v_and_b32_e32 v34, 1, v10
	v_and_b32_e32 v59, 1, v58
	v_or_b32_e32 v21, v28, v21
	v_or_b32_e32 v20, v29, v20
	;; [unrolled: 1-line block ×7, first 2 shown]
	v_lshlrev_b16 v28, 8, v59
	v_and_b32_e32 v29, 1, v57
	v_and_b32_e32 v21, 0xffff, v21
	v_lshlrev_b32_e32 v20, 16, v20
	v_and_b32_e32 v22, 0xffff, v22
	v_lshlrev_b32_e32 v23, 16, v23
	;; [unrolled: 2-line block ×4, first 2 shown]
	v_or_b32_e32 v60, v29, v28
	v_or_b32_e32 v55, v21, v20
	;; [unrolled: 1-line block ×5, first 2 shown]
	s_cbranch_execz .LBB786_47
	s_branch .LBB786_48
.LBB786_46:
                                        ; implicit-def: $vgpr59
                                        ; implicit-def: $vgpr60
                                        ; implicit-def: $vgpr61
                                        ; implicit-def: $vgpr62
                                        ; implicit-def: $vgpr64
                                        ; implicit-def: $vgpr55
.LBB786_47:
	v_or_b32_e32 v20, 1, v1
	v_cmp_gt_u32_e32 vcc_lo, s0, v1
	v_add_nc_u32_e32 v22, 3, v1
	v_add_nc_u32_e32 v23, 5, v1
	;; [unrolled: 1-line block ×4, first 2 shown]
	s_wait_alu 0xfffd
	v_cndmask_b32_e64 v21, 0, 1, vcc_lo
	v_cmp_gt_u32_e32 vcc_lo, s0, v20
	v_add_nc_u32_e32 v26, 13, v1
	v_add_nc_u32_e32 v27, 12, v1
	;; [unrolled: 1-line block ×3, first 2 shown]
	v_and_b32_e32 v21, v21, v15
	s_wait_alu 0xfffd
	v_cndmask_b32_e64 v20, 0, 1, vcc_lo
	v_cmp_gt_u32_e32 vcc_lo, s0, v22
	v_add_nc_u32_e32 v29, 16, v1
	v_and_b32_e32 v21, 1, v21
	s_delay_alu instid0(VALU_DEP_4)
	v_and_b32_e32 v19, v20, v19
	s_wait_alu 0xfffd
	v_cndmask_b32_e64 v22, 0, 1, vcc_lo
	v_cmp_gt_u32_e32 vcc_lo, s0, v23
	v_add_nc_u32_e32 v23, 2, v1
	v_lshlrev_b16 v19, 8, v19
	s_delay_alu instid0(VALU_DEP_4)
	v_and_b32_e32 v7, v22, v7
	s_wait_alu 0xfffd
	v_cndmask_b32_e64 v20, 0, 1, vcc_lo
	v_cmp_gt_u32_e32 vcc_lo, s0, v24
	v_add_nc_u32_e32 v22, 9, v1
	v_add_nc_u32_e32 v24, 7, v1
	v_lshlrev_b16 v7, 8, v7
	v_and_b32_e32 v8, v20, v8
	s_wait_alu 0xfffd
	v_cndmask_b32_e64 v20, 0, 1, vcc_lo
	v_cmp_gt_u32_e32 vcc_lo, s0, v22
	v_lshrrev_b32_e32 v19, 8, v19
	v_lshrrev_b32_e32 v7, 8, v7
	v_lshlrev_b16 v8, 8, v8
	v_and_b32_e32 v20, v20, v13
	s_wait_alu 0xfffd
	v_cndmask_b32_e64 v22, 0, 1, vcc_lo
	v_cmp_gt_u32_e32 vcc_lo, s0, v24
	v_and_b32_e32 v7, 1, v7
	v_lshrrev_b32_e32 v8, 8, v8
	v_lshlrev_b16 v19, 8, v19
	v_and_b32_e32 v6, v22, v6
	s_wait_alu 0xfffd
	v_cndmask_b32_e64 v24, 0, 1, vcc_lo
	v_cmp_gt_u32_e32 vcc_lo, s0, v23
	v_lshlrev_b16 v7, 8, v7
	v_lshlrev_b16 v8, 8, v8
	v_lshlrev_b16 v6, 8, v6
	v_and_b32_e32 v5, v24, v5
	s_wait_alu 0xfffd
	v_cndmask_b32_e32 v23, 0, v16, vcc_lo
	v_cmp_gt_u32_e32 vcc_lo, s0, v25
	v_add_nc_u32_e32 v24, 6, v1
	v_add_nc_u32_e32 v25, 11, v1
	v_lshlrev_b16 v5, 8, v5
	v_and_b32_e32 v23, 1, v23
	s_wait_alu 0xfffd
	v_cndmask_b32_e64 v22, 0, 1, vcc_lo
	v_cmp_gt_u32_e32 vcc_lo, s0, v24
	v_and_b32_e32 v20, 1, v20
	v_lshrrev_b32_e32 v5, 8, v5
	v_lshrrev_b32_e32 v6, 8, v6
	v_and_b32_e32 v22, v22, v11
	s_wait_alu 0xfffd
	v_cndmask_b32_e64 v24, 0, 1, vcc_lo
	v_cmp_gt_u32_e32 vcc_lo, s0, v25
	v_or_b32_e32 v19, v21, v19
	v_or_b32_e32 v7, v23, v7
	;; [unrolled: 1-line block ×3, first 2 shown]
	v_and_b32_e32 v24, v24, v14
	s_wait_alu 0xfffd
	v_cndmask_b32_e64 v25, 0, 1, vcc_lo
	v_cmp_gt_u32_e32 vcc_lo, s0, v26
	v_lshlrev_b16 v5, 8, v5
	v_lshlrev_b16 v6, 8, v6
	v_and_b32_e32 v20, 1, v24
	v_and_b32_e32 v3, v25, v3
	s_wait_alu 0xfffd
	v_cndmask_b32_e64 v26, 0, 1, vcc_lo
	v_cmp_gt_u32_e32 vcc_lo, s0, v27
	v_add_nc_u32_e32 v27, 14, v1
	v_and_b32_e32 v21, 1, v22
	v_lshlrev_b16 v3, 8, v3
	v_and_b32_e32 v4, v26, v4
	v_add_nc_u32_e32 v26, 10, v1
	s_wait_alu 0xfffd
	v_cndmask_b32_e64 v25, 0, 1, vcc_lo
	v_add_nc_u32_e32 v1, 17, v1
	v_lshrrev_b32_e32 v3, 8, v3
	v_lshlrev_b16 v4, 8, v4
	v_cmp_gt_u32_e32 vcc_lo, s0, v26
	v_and_b32_e32 v25, v25, v9
	v_or_b32_e32 v5, v20, v5
	v_and_b32_e32 v3, 1, v3
	v_lshrrev_b32_e32 v4, 8, v4
	s_wait_alu 0xfffd
	v_cndmask_b32_e32 v26, 0, v12, vcc_lo
	v_cmp_gt_u32_e32 vcc_lo, s0, v27
	v_and_b32_e32 v23, 1, v25
	v_lshlrev_b16 v3, 8, v3
	v_lshlrev_b16 v4, 8, v4
	v_and_b32_e32 v22, 1, v26
	s_wait_alu 0xfffd
	v_cndmask_b32_e64 v27, 0, 1, vcc_lo
	v_cmp_gt_u32_e32 vcc_lo, s0, v28
	v_or_b32_e32 v6, v21, v6
	v_or_b32_e32 v4, v23, v4
	;; [unrolled: 1-line block ×3, first 2 shown]
	v_and_b32_e32 v27, v27, v10
	s_wait_alu 0xfffd
	v_cndmask_b32_e64 v28, 0, 1, vcc_lo
	v_cmp_gt_u32_e32 vcc_lo, s0, v29
	v_and_b32_e32 v19, 0xffff, v19
	v_lshlrev_b32_e32 v7, 16, v7
	v_and_b32_e32 v8, 0xffff, v8
	v_and_b32_e32 v2, v28, v2
	s_wait_alu 0xfffd
	v_cndmask_b32_e64 v29, 0, 1, vcc_lo
	v_cmp_gt_u32_e32 vcc_lo, s0, v1
	v_lshlrev_b32_e32 v5, 16, v5
	v_and_b32_e32 v6, 0xffff, v6
	v_lshlrev_b16 v2, 8, v2
	v_lshlrev_b32_e32 v3, 16, v3
	s_wait_alu 0xfffd
	v_cndmask_b32_e64 v1, 0, 1, vcc_lo
	v_and_b32_e32 v4, 0xffff, v4
	v_and_b32_e32 v60, v29, v57
	v_or_b32_e32 v2, v27, v2
	v_or_b32_e32 v55, v19, v7
	v_and_b32_e32 v59, v1, v58
	v_or_b32_e32 v64, v8, v5
	v_or_b32_e32 v62, v6, v3
	v_lshlrev_b32_e32 v2, 16, v2
	s_delay_alu instid0(VALU_DEP_1)
	v_or_b32_e32 v61, v4, v2
.LBB786_48:
	v_and_b32_e32 v30, 0xff, v55
	v_bfe_u32 v29, v55, 8, 8
	v_bfe_u32 v28, v55, 16, 8
	v_lshrrev_b32_e32 v67, 24, v55
	v_and_b32_e32 v36, 0xff, v64
	v_bfe_u32 v35, v64, 8, 8
	v_bfe_u32 v34, v64, 16, 8
	v_add3_u32 v1, v29, v30, v28
	v_lshrrev_b32_e32 v66, 24, v64
	v_dual_mov_b32 v2, 0 :: v_dual_and_b32 v33, 0xff, v62
	v_bfe_u32 v32, v62, 8, 8
	s_delay_alu instid0(VALU_DEP_4) | instskip(SKIP_3) | instid1(VALU_DEP_3)
	v_add_co_u32 v1, s0, v1, v67
	s_wait_alu 0xf1ff
	v_add_co_ci_u32_e64 v3, null, 0, 0, s0
	v_bfe_u32 v31, v62, 16, 8
	v_add_co_u32 v1, vcc_lo, v1, v36
	s_wait_alu 0xfffd
	s_delay_alu instid0(VALU_DEP_3) | instskip(SKIP_1) | instid1(VALU_DEP_3)
	v_add_co_ci_u32_e64 v3, null, 0, v3, vcc_lo
	v_lshrrev_b32_e32 v65, 24, v62
	v_add_co_u32 v1, vcc_lo, v1, v35
	s_wait_alu 0xfffd
	s_delay_alu instid0(VALU_DEP_3) | instskip(SKIP_1) | instid1(VALU_DEP_3)
	v_add_co_ci_u32_e64 v3, null, 0, v3, vcc_lo
	v_and_b32_e32 v69, 0xff, v61
	v_add_co_u32 v1, vcc_lo, v1, v34
	s_wait_alu 0xfffd
	s_delay_alu instid0(VALU_DEP_3) | instskip(SKIP_1) | instid1(VALU_DEP_3)
	v_add_co_ci_u32_e64 v3, null, 0, v3, vcc_lo
	v_bfe_u32 v27, v61, 8, 8
	v_add_co_u32 v1, vcc_lo, v1, v66
	s_wait_alu 0xfffd
	s_delay_alu instid0(VALU_DEP_3) | instskip(SKIP_1) | instid1(VALU_DEP_3)
	v_add_co_ci_u32_e64 v3, null, 0, v3, vcc_lo
	v_bfe_u32 v68, v61, 16, 8
	v_add_co_u32 v1, vcc_lo, v1, v33
	s_wait_alu 0xfffd
	s_delay_alu instid0(VALU_DEP_3) | instskip(SKIP_1) | instid1(VALU_DEP_3)
	v_add_co_ci_u32_e64 v3, null, 0, v3, vcc_lo
	v_lshrrev_b32_e32 v63, 24, v61
	v_add_co_u32 v1, vcc_lo, v1, v32
	s_wait_alu 0xfffd
	s_delay_alu instid0(VALU_DEP_3) | instskip(SKIP_1) | instid1(VALU_DEP_3)
	v_add_co_ci_u32_e64 v3, null, 0, v3, vcc_lo
	v_and_b32_e32 v56, 0xff, v60
	v_add_co_u32 v1, vcc_lo, v1, v31
	s_wait_alu 0xfffd
	s_delay_alu instid0(VALU_DEP_3) | instskip(SKIP_1) | instid1(VALU_DEP_3)
	v_add_co_ci_u32_e64 v3, null, 0, v3, vcc_lo
	v_mbcnt_lo_u32_b32 v37, -1, 0
	v_add_co_u32 v1, vcc_lo, v1, v65
	s_wait_alu 0xfffd
	s_delay_alu instid0(VALU_DEP_3) | instskip(SKIP_1) | instid1(VALU_DEP_3)
	v_add_co_ci_u32_e64 v3, null, 0, v3, vcc_lo
	v_and_b32_e32 v4, 0xff, v59
	v_add_co_u32 v1, vcc_lo, v1, v69
	s_wait_alu 0xfffd
	s_delay_alu instid0(VALU_DEP_3) | instskip(SKIP_1) | instid1(VALU_DEP_3)
	v_add_co_ci_u32_e64 v3, null, 0, v3, vcc_lo
	v_and_b32_e32 v38, 15, v37
	v_add_co_u32 v1, vcc_lo, v1, v27
	s_wait_alu 0xfffd
	s_delay_alu instid0(VALU_DEP_3) | instskip(NEXT) | instid1(VALU_DEP_3)
	v_add_co_ci_u32_e64 v3, null, 0, v3, vcc_lo
	v_cmp_ne_u32_e64 s0, 0, v38
	s_delay_alu instid0(VALU_DEP_3) | instskip(SKIP_1) | instid1(VALU_DEP_3)
	v_add_co_u32 v1, vcc_lo, v1, v68
	s_wait_alu 0xfffd
	v_add_co_ci_u32_e64 v3, null, 0, v3, vcc_lo
	s_cmp_lg_u32 s10, 0
	v_add_co_u32 v1, vcc_lo, v1, v63
	s_wait_alu 0xfffd
	v_add_co_ci_u32_e64 v3, null, 0, v3, vcc_lo
	s_mov_b32 s1, -1
	v_add_co_u32 v1, vcc_lo, v1, v56
	s_wait_alu 0xfffd
	v_add_co_ci_u32_e64 v3, null, 0, v3, vcc_lo
	s_delay_alu instid0(VALU_DEP_2) | instskip(SKIP_1) | instid1(VALU_DEP_2)
	v_add_co_u32 v19, vcc_lo, v1, v4
	s_wait_alu 0xfffd
	v_add_co_ci_u32_e64 v20, null, 0, v3, vcc_lo
	s_cbranch_scc0 .LBB786_107
; %bb.49:
	v_mov_b32_e32 v3, v19
	v_mov_b32_dpp v1, v19 row_shr:1 row_mask:0xf bank_mask:0xf
	v_mov_b32_dpp v6, v2 row_shr:1 row_mask:0xf bank_mask:0xf
	v_dual_mov_b32 v5, v19 :: v_dual_mov_b32 v4, v20
	s_and_saveexec_b32 s1, s0
; %bb.50:
	s_delay_alu instid0(VALU_DEP_3) | instskip(SKIP_2) | instid1(VALU_DEP_2)
	v_add_co_u32 v5, vcc_lo, v19, v1
	s_wait_alu 0xfffd
	v_add_co_ci_u32_e64 v2, null, 0, v20, vcc_lo
	v_add_co_u32 v1, vcc_lo, 0, v5
	s_wait_alu 0xfffd
	s_delay_alu instid0(VALU_DEP_2) | instskip(NEXT) | instid1(VALU_DEP_1)
	v_add_co_ci_u32_e64 v2, null, v6, v2, vcc_lo
	v_dual_mov_b32 v4, v2 :: v_dual_mov_b32 v3, v1
; %bb.51:
	s_wait_alu 0xfffe
	s_or_b32 exec_lo, exec_lo, s1
	v_mov_b32_dpp v1, v5 row_shr:2 row_mask:0xf bank_mask:0xf
	v_mov_b32_dpp v6, v2 row_shr:2 row_mask:0xf bank_mask:0xf
	v_cmp_lt_u32_e32 vcc_lo, 1, v38
	s_and_saveexec_b32 s3, vcc_lo
; %bb.52:
	s_delay_alu instid0(VALU_DEP_3) | instskip(SKIP_2) | instid1(VALU_DEP_2)
	v_add_co_u32 v5, s1, v3, v1
	s_wait_alu 0xf1ff
	v_add_co_ci_u32_e64 v2, null, 0, v4, s1
	v_add_co_u32 v1, s1, 0, v5
	s_wait_alu 0xf1ff
	s_delay_alu instid0(VALU_DEP_2) | instskip(NEXT) | instid1(VALU_DEP_1)
	v_add_co_ci_u32_e64 v2, null, v6, v2, s1
	v_dual_mov_b32 v4, v2 :: v_dual_mov_b32 v3, v1
; %bb.53:
	s_or_b32 exec_lo, exec_lo, s3
	v_mov_b32_dpp v1, v5 row_shr:4 row_mask:0xf bank_mask:0xf
	v_mov_b32_dpp v6, v2 row_shr:4 row_mask:0xf bank_mask:0xf
	v_cmp_lt_u32_e64 s1, 3, v38
	s_and_saveexec_b32 s4, s1
; %bb.54:
	v_add_co_u32 v5, s3, v3, v1
	s_delay_alu instid0(VALU_DEP_1) | instskip(NEXT) | instid1(VALU_DEP_2)
	v_add_co_ci_u32_e64 v2, null, 0, v4, s3
	v_add_co_u32 v1, s3, 0, v5
	s_wait_alu 0xf1ff
	s_delay_alu instid0(VALU_DEP_2) | instskip(NEXT) | instid1(VALU_DEP_1)
	v_add_co_ci_u32_e64 v2, null, v6, v2, s3
	v_dual_mov_b32 v4, v2 :: v_dual_mov_b32 v3, v1
; %bb.55:
	s_wait_alu 0xfffe
	s_or_b32 exec_lo, exec_lo, s4
	v_mov_b32_dpp v6, v5 row_shr:8 row_mask:0xf bank_mask:0xf
	v_mov_b32_dpp v1, v2 row_shr:8 row_mask:0xf bank_mask:0xf
	v_cmp_lt_u32_e64 s3, 7, v38
	s_and_saveexec_b32 s7, s3
; %bb.56:
	v_add_co_u32 v5, s4, v3, v6
	s_wait_alu 0xf1ff
	v_add_co_ci_u32_e64 v2, null, 0, v4, s4
	s_delay_alu instid0(VALU_DEP_2) | instskip(SKIP_1) | instid1(VALU_DEP_2)
	v_add_co_u32 v3, s4, 0, v5
	s_wait_alu 0xf1ff
	v_add_co_ci_u32_e64 v4, null, v1, v2, s4
	s_delay_alu instid0(VALU_DEP_1)
	v_mov_b32_e32 v2, v4
; %bb.57:
	s_wait_alu 0xfffe
	s_or_b32 exec_lo, exec_lo, s7
	ds_swizzle_b32 v1, v5 offset:swizzle(BROADCAST,32,15)
	ds_swizzle_b32 v6, v2 offset:swizzle(BROADCAST,32,15)
	v_and_b32_e32 v7, 16, v37
	s_mov_b32 s7, exec_lo
	s_delay_alu instid0(VALU_DEP_1)
	v_cmpx_ne_u32_e32 0, v7
	s_cbranch_execz .LBB786_59
; %bb.58:
	s_wait_dscnt 0x1
	v_add_co_u32 v5, s4, v3, v1
	s_wait_alu 0xf1ff
	v_add_co_ci_u32_e64 v2, null, 0, v4, s4
	s_delay_alu instid0(VALU_DEP_2) | instskip(SKIP_2) | instid1(VALU_DEP_2)
	v_add_co_u32 v1, s4, 0, v5
	s_wait_dscnt 0x0
	s_wait_alu 0xf1ff
	v_add_co_ci_u32_e64 v2, null, v6, v2, s4
	s_delay_alu instid0(VALU_DEP_1)
	v_dual_mov_b32 v4, v2 :: v_dual_mov_b32 v3, v1
.LBB786_59:
	s_wait_alu 0xfffe
	s_or_b32 exec_lo, exec_lo, s7
	s_wait_dscnt 0x1
	v_and_b32_e32 v1, 0x1e0, v0
	s_mov_b32 s7, exec_lo
	s_delay_alu instid0(VALU_DEP_1) | instskip(SKIP_1) | instid1(VALU_DEP_1)
	v_min_u32_e32 v1, 0x160, v1
	s_wait_dscnt 0x0
	v_or_b32_e32 v6, 31, v1
	v_lshrrev_b32_e32 v1, 5, v0
	s_delay_alu instid0(VALU_DEP_2)
	v_cmpx_eq_u32_e64 v0, v6
; %bb.60:
	s_delay_alu instid0(VALU_DEP_2)
	v_lshlrev_b32_e32 v6, 3, v1
	ds_store_b64 v6, v[3:4]
; %bb.61:
	s_wait_alu 0xfffe
	s_or_b32 exec_lo, exec_lo, s7
	s_delay_alu instid0(SALU_CYCLE_1)
	s_mov_b32 s7, exec_lo
	s_wait_loadcnt_dscnt 0x0
	s_barrier_signal -1
	s_barrier_wait -1
	global_inv scope:SCOPE_SE
	v_cmpx_gt_u32_e32 12, v0
	s_cbranch_execz .LBB786_71
; %bb.62:
	v_lshlrev_b32_e32 v6, 3, v0
	ds_load_b64 v[3:4], v6
	s_wait_dscnt 0x0
	v_mov_b32_dpp v21, v3 row_shr:1 row_mask:0xf bank_mask:0xf
	v_mov_b32_dpp v8, v4 row_shr:1 row_mask:0xf bank_mask:0xf
	v_mov_b32_e32 v7, v3
	s_and_saveexec_b32 s11, s0
; %bb.63:
	s_delay_alu instid0(VALU_DEP_3) | instskip(SKIP_2) | instid1(VALU_DEP_2)
	v_add_co_u32 v7, s4, v3, v21
	s_wait_alu 0xf1ff
	v_add_co_ci_u32_e64 v4, null, 0, v4, s4
	v_add_co_u32 v3, s4, 0, v7
	s_wait_alu 0xf1ff
	s_delay_alu instid0(VALU_DEP_2)
	v_add_co_ci_u32_e64 v4, null, v8, v4, s4
; %bb.64:
	s_or_b32 exec_lo, exec_lo, s11
	v_mov_b32_dpp v21, v7 row_shr:2 row_mask:0xf bank_mask:0xf
	s_delay_alu instid0(VALU_DEP_2)
	v_mov_b32_dpp v8, v4 row_shr:2 row_mask:0xf bank_mask:0xf
	s_and_saveexec_b32 s4, vcc_lo
; %bb.65:
	s_delay_alu instid0(VALU_DEP_2) | instskip(SKIP_2) | instid1(VALU_DEP_2)
	v_add_co_u32 v7, vcc_lo, v3, v21
	s_wait_alu 0xfffd
	v_add_co_ci_u32_e64 v4, null, 0, v4, vcc_lo
	v_add_co_u32 v3, vcc_lo, 0, v7
	s_wait_alu 0xfffd
	s_delay_alu instid0(VALU_DEP_2)
	v_add_co_ci_u32_e64 v4, null, v8, v4, vcc_lo
; %bb.66:
	s_wait_alu 0xfffe
	s_or_b32 exec_lo, exec_lo, s4
	v_mov_b32_dpp v21, v7 row_shr:4 row_mask:0xf bank_mask:0xf
	s_delay_alu instid0(VALU_DEP_2)
	v_mov_b32_dpp v8, v4 row_shr:4 row_mask:0xf bank_mask:0xf
	s_and_saveexec_b32 s4, s1
; %bb.67:
	s_delay_alu instid0(VALU_DEP_2) | instskip(SKIP_2) | instid1(VALU_DEP_2)
	v_add_co_u32 v7, vcc_lo, v3, v21
	s_wait_alu 0xfffd
	v_add_co_ci_u32_e64 v4, null, 0, v4, vcc_lo
	v_add_co_u32 v3, vcc_lo, 0, v7
	s_wait_alu 0xfffd
	s_delay_alu instid0(VALU_DEP_2)
	v_add_co_ci_u32_e64 v4, null, v8, v4, vcc_lo
; %bb.68:
	s_wait_alu 0xfffe
	s_or_b32 exec_lo, exec_lo, s4
	v_mov_b32_dpp v8, v7 row_shr:8 row_mask:0xf bank_mask:0xf
	s_delay_alu instid0(VALU_DEP_2)
	v_mov_b32_dpp v7, v4 row_shr:8 row_mask:0xf bank_mask:0xf
	s_and_saveexec_b32 s1, s3
; %bb.69:
	s_delay_alu instid0(VALU_DEP_2) | instskip(SKIP_2) | instid1(VALU_DEP_2)
	v_add_co_u32 v3, vcc_lo, v3, v8
	s_wait_alu 0xfffd
	v_add_co_ci_u32_e64 v4, null, 0, v4, vcc_lo
	v_add_co_u32 v3, vcc_lo, v3, 0
	s_wait_alu 0xfffd
	s_delay_alu instid0(VALU_DEP_2)
	v_add_co_ci_u32_e64 v4, null, v4, v7, vcc_lo
; %bb.70:
	s_wait_alu 0xfffe
	s_or_b32 exec_lo, exec_lo, s1
	ds_store_b64 v6, v[3:4]
.LBB786_71:
	s_wait_alu 0xfffe
	s_or_b32 exec_lo, exec_lo, s7
	s_delay_alu instid0(SALU_CYCLE_1)
	s_mov_b32 s3, exec_lo
	v_cmp_gt_u32_e32 vcc_lo, 32, v0
	s_wait_loadcnt_dscnt 0x0
	s_barrier_signal -1
	s_barrier_wait -1
	global_inv scope:SCOPE_SE
                                        ; implicit-def: $vgpr21_vgpr22
	v_cmpx_lt_u32_e32 31, v0
	s_cbranch_execz .LBB786_73
; %bb.72:
	v_lshl_add_u32 v1, v1, 3, -8
	ds_load_b64 v[21:22], v1
	s_wait_dscnt 0x0
	v_add_co_u32 v5, s1, v5, v21
	s_wait_alu 0xf1ff
	v_add_co_ci_u32_e64 v2, null, v2, v22, s1
.LBB786_73:
	s_wait_alu 0xfffe
	s_or_b32 exec_lo, exec_lo, s3
	v_sub_co_u32 v1, s1, v37, 1
	s_delay_alu instid0(VALU_DEP_1) | instskip(SKIP_1) | instid1(VALU_DEP_1)
	v_cmp_gt_i32_e64 s3, 0, v1
	s_wait_alu 0xf1ff
	v_cndmask_b32_e64 v1, v1, v37, s3
	s_delay_alu instid0(VALU_DEP_1)
	v_lshlrev_b32_e32 v1, 2, v1
	ds_bpermute_b32 v39, v1, v5
	ds_bpermute_b32 v40, v1, v2
	s_and_saveexec_b32 s3, vcc_lo
	s_cbranch_execz .LBB786_112
; %bb.74:
	v_mov_b32_e32 v4, 0
	ds_load_b64 v[1:2], v4 offset:88
	s_and_saveexec_b32 s4, s1
	s_cbranch_execz .LBB786_76
; %bb.75:
	s_add_co_i32 s16, s10, 32
	s_mov_b32 s17, 0
	s_wait_alu 0xfffe
	s_lshl_b64 s[16:17], s[16:17], 4
	s_wait_alu 0xfffe
	s_add_nc_u64 s[16:17], s[14:15], s[16:17]
	v_mov_b32_e32 v3, 1
	s_wait_alu 0xfffe
	v_dual_mov_b32 v5, s16 :: v_dual_mov_b32 v6, s17
	s_wait_dscnt 0x0
	;;#ASMSTART
	global_store_b128 v[5:6], v[1:4] off scope:SCOPE_DEV	
s_wait_storecnt 0x0
	;;#ASMEND
.LBB786_76:
	s_wait_alu 0xfffe
	s_or_b32 exec_lo, exec_lo, s4
	v_xad_u32 v23, v37, -1, s10
	s_mov_b32 s7, 0
	s_mov_b32 s4, exec_lo
	s_delay_alu instid0(VALU_DEP_1) | instskip(NEXT) | instid1(VALU_DEP_1)
	v_add_nc_u32_e32 v3, 32, v23
	v_lshlrev_b64_e32 v[3:4], 4, v[3:4]
	s_delay_alu instid0(VALU_DEP_1) | instskip(SKIP_1) | instid1(VALU_DEP_2)
	v_add_co_u32 v3, vcc_lo, s14, v3
	s_wait_alu 0xfffd
	v_add_co_ci_u32_e64 v4, null, s15, v4, vcc_lo
	;;#ASMSTART
	global_load_b128 v[5:8], v[3:4] off scope:SCOPE_DEV	
s_wait_loadcnt 0x0
	;;#ASMEND
	v_and_b32_e32 v8, 0xff, v7
	s_delay_alu instid0(VALU_DEP_1)
	v_cmpx_eq_u16_e32 0, v8
	s_cbranch_execz .LBB786_79
.LBB786_77:                             ; =>This Inner Loop Header: Depth=1
	;;#ASMSTART
	global_load_b128 v[5:8], v[3:4] off scope:SCOPE_DEV	
s_wait_loadcnt 0x0
	;;#ASMEND
	v_and_b32_e32 v8, 0xff, v7
	s_delay_alu instid0(VALU_DEP_1)
	v_cmp_ne_u16_e32 vcc_lo, 0, v8
	s_wait_alu 0xfffe
	s_or_b32 s7, vcc_lo, s7
	s_wait_alu 0xfffe
	s_and_not1_b32 exec_lo, exec_lo, s7
	s_cbranch_execnz .LBB786_77
; %bb.78:
	s_or_b32 exec_lo, exec_lo, s7
.LBB786_79:
	s_wait_alu 0xfffe
	s_or_b32 exec_lo, exec_lo, s4
	v_cmp_ne_u32_e32 vcc_lo, 31, v37
	v_and_b32_e32 v4, 0xff, v7
	v_lshlrev_b32_e64 v42, v37, -1
	s_mov_b32 s4, exec_lo
	s_wait_alu 0xfffd
	v_add_co_ci_u32_e64 v3, null, 0, v37, vcc_lo
	v_cmp_eq_u16_e32 vcc_lo, 2, v4
	s_delay_alu instid0(VALU_DEP_2)
	v_dual_mov_b32 v4, v5 :: v_dual_lshlrev_b32 v41, 2, v3
	s_wait_alu 0xfffd
	v_and_or_b32 v3, vcc_lo, v42, 0x80000000
	ds_bpermute_b32 v24, v41, v5
	ds_bpermute_b32 v8, v41, v6
	v_ctz_i32_b32_e32 v3, v3
	s_delay_alu instid0(VALU_DEP_1)
	v_cmpx_lt_u32_e64 v37, v3
	s_cbranch_execz .LBB786_81
; %bb.80:
	s_wait_dscnt 0x1
	v_add_co_u32 v4, vcc_lo, v5, v24
	s_wait_alu 0xfffd
	v_add_co_ci_u32_e64 v6, null, 0, v6, vcc_lo
	s_delay_alu instid0(VALU_DEP_2) | instskip(SKIP_2) | instid1(VALU_DEP_2)
	v_add_co_u32 v5, vcc_lo, 0, v4
	s_wait_dscnt 0x0
	s_wait_alu 0xfffd
	v_add_co_ci_u32_e64 v6, null, v8, v6, vcc_lo
.LBB786_81:
	s_wait_alu 0xfffe
	s_or_b32 exec_lo, exec_lo, s4
	v_cmp_gt_u32_e32 vcc_lo, 30, v37
	v_add_nc_u32_e32 v44, 2, v37
	s_mov_b32 s4, exec_lo
	s_wait_dscnt 0x0
	s_wait_alu 0xfffd
	v_cndmask_b32_e64 v8, 0, 2, vcc_lo
	s_delay_alu instid0(VALU_DEP_1)
	v_add_lshl_u32 v43, v8, v37, 2
	ds_bpermute_b32 v24, v43, v4
	ds_bpermute_b32 v8, v43, v6
	v_cmpx_le_u32_e64 v44, v3
	s_cbranch_execz .LBB786_83
; %bb.82:
	s_wait_dscnt 0x1
	v_add_co_u32 v4, vcc_lo, v5, v24
	s_wait_alu 0xfffd
	v_add_co_ci_u32_e64 v6, null, 0, v6, vcc_lo
	s_delay_alu instid0(VALU_DEP_2) | instskip(SKIP_2) | instid1(VALU_DEP_2)
	v_add_co_u32 v5, vcc_lo, 0, v4
	s_wait_dscnt 0x0
	s_wait_alu 0xfffd
	v_add_co_ci_u32_e64 v6, null, v8, v6, vcc_lo
.LBB786_83:
	s_wait_alu 0xfffe
	s_or_b32 exec_lo, exec_lo, s4
	v_cmp_gt_u32_e32 vcc_lo, 28, v37
	v_add_nc_u32_e32 v46, 4, v37
	s_mov_b32 s4, exec_lo
	s_wait_dscnt 0x0
	s_wait_alu 0xfffd
	v_cndmask_b32_e64 v8, 0, 4, vcc_lo
	s_delay_alu instid0(VALU_DEP_1)
	v_add_lshl_u32 v45, v8, v37, 2
	ds_bpermute_b32 v24, v45, v4
	ds_bpermute_b32 v8, v45, v6
	v_cmpx_le_u32_e64 v46, v3
	;; [unrolled: 25-line block ×3, first 2 shown]
	s_cbranch_execz .LBB786_87
; %bb.86:
	s_wait_dscnt 0x1
	v_add_co_u32 v4, vcc_lo, v5, v24
	s_wait_alu 0xfffd
	v_add_co_ci_u32_e64 v6, null, 0, v6, vcc_lo
	s_delay_alu instid0(VALU_DEP_2) | instskip(SKIP_2) | instid1(VALU_DEP_2)
	v_add_co_u32 v5, vcc_lo, 0, v4
	s_wait_dscnt 0x0
	s_wait_alu 0xfffd
	v_add_co_ci_u32_e64 v6, null, v8, v6, vcc_lo
.LBB786_87:
	s_wait_alu 0xfffe
	s_or_b32 exec_lo, exec_lo, s4
	v_lshl_or_b32 v49, v37, 2, 64
	v_add_nc_u32_e32 v50, 16, v37
	s_mov_b32 s4, exec_lo
	s_wait_dscnt 0x0
	ds_bpermute_b32 v8, v49, v4
	ds_bpermute_b32 v4, v49, v6
	v_cmpx_le_u32_e64 v50, v3
	s_cbranch_execz .LBB786_89
; %bb.88:
	s_wait_dscnt 0x1
	v_add_co_u32 v3, vcc_lo, v5, v8
	s_wait_alu 0xfffd
	v_add_co_ci_u32_e64 v6, null, 0, v6, vcc_lo
	s_delay_alu instid0(VALU_DEP_2) | instskip(SKIP_2) | instid1(VALU_DEP_2)
	v_add_co_u32 v5, vcc_lo, v3, 0
	s_wait_dscnt 0x0
	s_wait_alu 0xfffd
	v_add_co_ci_u32_e64 v6, null, v6, v4, vcc_lo
.LBB786_89:
	s_wait_alu 0xfffe
	s_or_b32 exec_lo, exec_lo, s4
	v_mov_b32_e32 v24, 0
	s_branch .LBB786_92
.LBB786_90:                             ;   in Loop: Header=BB786_92 Depth=1
	s_wait_alu 0xfffe
	s_or_b32 exec_lo, exec_lo, s4
	v_add_co_u32 v5, vcc_lo, v5, v3
	v_subrev_nc_u32_e32 v23, 32, v23
	s_wait_alu 0xfffd
	v_add_co_ci_u32_e64 v6, null, v6, v4, vcc_lo
	s_mov_b32 s4, 0
.LBB786_91:                             ;   in Loop: Header=BB786_92 Depth=1
	s_wait_alu 0xfffe
	s_and_b32 vcc_lo, exec_lo, s4
	s_wait_alu 0xfffe
	s_cbranch_vccnz .LBB786_108
.LBB786_92:                             ; =>This Loop Header: Depth=1
                                        ;     Child Loop BB786_95 Depth 2
	v_and_b32_e32 v3, 0xff, v7
	s_mov_b32 s4, -1
	s_delay_alu instid0(VALU_DEP_1)
	v_cmp_ne_u16_e32 vcc_lo, 2, v3
	s_wait_dscnt 0x0
	v_dual_mov_b32 v3, v5 :: v_dual_mov_b32 v4, v6
                                        ; implicit-def: $vgpr5_vgpr6
	s_cmp_lg_u32 vcc_lo, exec_lo
	s_cbranch_scc1 .LBB786_91
; %bb.93:                               ;   in Loop: Header=BB786_92 Depth=1
	v_lshlrev_b64_e32 v[5:6], 4, v[23:24]
	s_mov_b32 s4, exec_lo
	s_delay_alu instid0(VALU_DEP_1) | instskip(SKIP_1) | instid1(VALU_DEP_2)
	v_add_co_u32 v25, vcc_lo, s14, v5
	s_wait_alu 0xfffd
	v_add_co_ci_u32_e64 v26, null, s15, v6, vcc_lo
	;;#ASMSTART
	global_load_b128 v[5:8], v[25:26] off scope:SCOPE_DEV	
s_wait_loadcnt 0x0
	;;#ASMEND
	v_and_b32_e32 v8, 0xff, v7
	s_delay_alu instid0(VALU_DEP_1)
	v_cmpx_eq_u16_e32 0, v8
	s_cbranch_execz .LBB786_97
; %bb.94:                               ;   in Loop: Header=BB786_92 Depth=1
	s_mov_b32 s7, 0
.LBB786_95:                             ;   Parent Loop BB786_92 Depth=1
                                        ; =>  This Inner Loop Header: Depth=2
	;;#ASMSTART
	global_load_b128 v[5:8], v[25:26] off scope:SCOPE_DEV	
s_wait_loadcnt 0x0
	;;#ASMEND
	v_and_b32_e32 v8, 0xff, v7
	s_delay_alu instid0(VALU_DEP_1)
	v_cmp_ne_u16_e32 vcc_lo, 0, v8
	s_wait_alu 0xfffe
	s_or_b32 s7, vcc_lo, s7
	s_wait_alu 0xfffe
	s_and_not1_b32 exec_lo, exec_lo, s7
	s_cbranch_execnz .LBB786_95
; %bb.96:                               ;   in Loop: Header=BB786_92 Depth=1
	s_or_b32 exec_lo, exec_lo, s7
.LBB786_97:                             ;   in Loop: Header=BB786_92 Depth=1
	s_wait_alu 0xfffe
	s_or_b32 exec_lo, exec_lo, s4
	v_dual_mov_b32 v25, v5 :: v_dual_and_b32 v8, 0xff, v7
	ds_bpermute_b32 v51, v41, v5
	ds_bpermute_b32 v26, v41, v6
	s_mov_b32 s4, exec_lo
	v_cmp_eq_u16_e32 vcc_lo, 2, v8
	s_wait_alu 0xfffd
	v_and_or_b32 v8, vcc_lo, v42, 0x80000000
	s_delay_alu instid0(VALU_DEP_1) | instskip(NEXT) | instid1(VALU_DEP_1)
	v_ctz_i32_b32_e32 v8, v8
	v_cmpx_lt_u32_e64 v37, v8
	s_cbranch_execz .LBB786_99
; %bb.98:                               ;   in Loop: Header=BB786_92 Depth=1
	s_wait_dscnt 0x1
	v_add_co_u32 v25, vcc_lo, v5, v51
	s_wait_alu 0xfffd
	v_add_co_ci_u32_e64 v6, null, 0, v6, vcc_lo
	s_delay_alu instid0(VALU_DEP_2) | instskip(SKIP_2) | instid1(VALU_DEP_2)
	v_add_co_u32 v5, vcc_lo, 0, v25
	s_wait_dscnt 0x0
	s_wait_alu 0xfffd
	v_add_co_ci_u32_e64 v6, null, v26, v6, vcc_lo
.LBB786_99:                             ;   in Loop: Header=BB786_92 Depth=1
	s_wait_alu 0xfffe
	s_or_b32 exec_lo, exec_lo, s4
	s_wait_dscnt 0x1
	ds_bpermute_b32 v51, v43, v25
	s_wait_dscnt 0x1
	ds_bpermute_b32 v26, v43, v6
	s_mov_b32 s4, exec_lo
	v_cmpx_le_u32_e64 v44, v8
	s_cbranch_execz .LBB786_101
; %bb.100:                              ;   in Loop: Header=BB786_92 Depth=1
	s_wait_dscnt 0x1
	v_add_co_u32 v25, vcc_lo, v5, v51
	s_wait_alu 0xfffd
	v_add_co_ci_u32_e64 v6, null, 0, v6, vcc_lo
	s_delay_alu instid0(VALU_DEP_2) | instskip(SKIP_2) | instid1(VALU_DEP_2)
	v_add_co_u32 v5, vcc_lo, 0, v25
	s_wait_dscnt 0x0
	s_wait_alu 0xfffd
	v_add_co_ci_u32_e64 v6, null, v26, v6, vcc_lo
.LBB786_101:                            ;   in Loop: Header=BB786_92 Depth=1
	s_wait_alu 0xfffe
	s_or_b32 exec_lo, exec_lo, s4
	s_wait_dscnt 0x1
	ds_bpermute_b32 v51, v45, v25
	s_wait_dscnt 0x1
	ds_bpermute_b32 v26, v45, v6
	s_mov_b32 s4, exec_lo
	v_cmpx_le_u32_e64 v46, v8
	s_cbranch_execz .LBB786_103
; %bb.102:                              ;   in Loop: Header=BB786_92 Depth=1
	s_wait_dscnt 0x1
	v_add_co_u32 v25, vcc_lo, v5, v51
	s_wait_alu 0xfffd
	v_add_co_ci_u32_e64 v6, null, 0, v6, vcc_lo
	s_delay_alu instid0(VALU_DEP_2) | instskip(SKIP_2) | instid1(VALU_DEP_2)
	v_add_co_u32 v5, vcc_lo, 0, v25
	s_wait_dscnt 0x0
	s_wait_alu 0xfffd
	v_add_co_ci_u32_e64 v6, null, v26, v6, vcc_lo
.LBB786_103:                            ;   in Loop: Header=BB786_92 Depth=1
	;; [unrolled: 20-line block ×3, first 2 shown]
	s_wait_alu 0xfffe
	s_or_b32 exec_lo, exec_lo, s4
	s_wait_dscnt 0x0
	ds_bpermute_b32 v26, v49, v25
	ds_bpermute_b32 v25, v49, v6
	s_mov_b32 s4, exec_lo
	v_cmpx_le_u32_e64 v50, v8
	s_cbranch_execz .LBB786_90
; %bb.106:                              ;   in Loop: Header=BB786_92 Depth=1
	s_wait_dscnt 0x1
	v_add_co_u32 v5, vcc_lo, v5, v26
	s_wait_alu 0xfffd
	v_add_co_ci_u32_e64 v6, null, 0, v6, vcc_lo
	s_delay_alu instid0(VALU_DEP_2) | instskip(SKIP_2) | instid1(VALU_DEP_2)
	v_add_co_u32 v5, vcc_lo, v5, 0
	s_wait_dscnt 0x0
	s_wait_alu 0xfffd
	v_add_co_ci_u32_e64 v6, null, v6, v25, vcc_lo
	s_branch .LBB786_90
.LBB786_107:
                                        ; implicit-def: $vgpr4_vgpr5
                                        ; implicit-def: $vgpr43_vgpr44
	s_wait_alu 0xfffe
	s_and_b32 vcc_lo, exec_lo, s1
	s_wait_alu 0xfffe
	s_cbranch_vccnz .LBB786_113
	s_branch .LBB786_140
.LBB786_108:
	s_and_saveexec_b32 s4, s1
	s_cbranch_execz .LBB786_110
; %bb.109:
	s_add_co_i32 s10, s10, 32
	s_mov_b32 s11, 0
	v_add_co_u32 v5, vcc_lo, v3, v1
	s_wait_alu 0xfffe
	s_lshl_b64 s[10:11], s[10:11], 4
	v_dual_mov_b32 v7, 2 :: v_dual_mov_b32 v8, 0
	s_wait_alu 0xfffe
	s_add_nc_u64 s[10:11], s[14:15], s[10:11]
	s_wait_alu 0xfffd
	v_add_co_ci_u32_e64 v6, null, v4, v2, vcc_lo
	s_wait_alu 0xfffe
	v_dual_mov_b32 v24, s11 :: v_dual_mov_b32 v23, s10
	;;#ASMSTART
	global_store_b128 v[23:24], v[5:8] off scope:SCOPE_DEV	
s_wait_storecnt 0x0
	;;#ASMEND
	ds_store_b128 v8, v[1:4] offset:13824
.LBB786_110:
	s_wait_alu 0xfffe
	s_or_b32 exec_lo, exec_lo, s4
	s_delay_alu instid0(SALU_CYCLE_1)
	s_and_b32 exec_lo, exec_lo, s2
; %bb.111:
	v_mov_b32_e32 v1, 0
	ds_store_b64 v1, v[3:4] offset:88
.LBB786_112:
	s_wait_alu 0xfffe
	s_or_b32 exec_lo, exec_lo, s3
	v_mov_b32_e32 v1, 0
	s_wait_loadcnt_dscnt 0x0
	s_barrier_signal -1
	s_barrier_wait -1
	global_inv scope:SCOPE_SE
	ds_load_b64 v[6:7], v1 offset:88
	s_wait_loadcnt_dscnt 0x0
	s_barrier_signal -1
	s_barrier_wait -1
	global_inv scope:SCOPE_SE
	ds_load_b128 v[2:5], v1 offset:13824
	v_cndmask_b32_e64 v1, v39, v21, s1
	v_cndmask_b32_e64 v8, v40, v22, s1
	s_delay_alu instid0(VALU_DEP_2) | instskip(NEXT) | instid1(VALU_DEP_2)
	v_cndmask_b32_e64 v1, v1, 0, s2
	v_cndmask_b32_e64 v8, v8, 0, s2
	s_delay_alu instid0(VALU_DEP_2) | instskip(SKIP_1) | instid1(VALU_DEP_2)
	v_add_co_u32 v43, vcc_lo, v6, v1
	s_wait_alu 0xfffd
	v_add_co_ci_u32_e64 v44, null, v7, v8, vcc_lo
	s_branch .LBB786_140
.LBB786_113:
	s_wait_dscnt 0x0
	v_dual_mov_b32 v2, 0 :: v_dual_mov_b32 v3, v19
	v_mov_b32_dpp v4, v19 row_shr:1 row_mask:0xf bank_mask:0xf
	s_delay_alu instid0(VALU_DEP_2)
	v_mov_b32_dpp v1, v2 row_shr:1 row_mask:0xf bank_mask:0xf
	s_and_saveexec_b32 s1, s0
; %bb.114:
	s_delay_alu instid0(VALU_DEP_2) | instskip(SKIP_2) | instid1(VALU_DEP_2)
	v_add_co_u32 v3, vcc_lo, v19, v4
	s_wait_alu 0xfffd
	v_add_co_ci_u32_e64 v2, null, 0, v20, vcc_lo
	v_add_co_u32 v19, vcc_lo, 0, v3
	s_wait_alu 0xfffd
	s_delay_alu instid0(VALU_DEP_2) | instskip(NEXT) | instid1(VALU_DEP_1)
	v_add_co_ci_u32_e64 v20, null, v1, v2, vcc_lo
	v_mov_b32_e32 v2, v20
; %bb.115:
	s_wait_alu 0xfffe
	s_or_b32 exec_lo, exec_lo, s1
	v_mov_b32_dpp v1, v3 row_shr:2 row_mask:0xf bank_mask:0xf
	s_delay_alu instid0(VALU_DEP_2)
	v_mov_b32_dpp v4, v2 row_shr:2 row_mask:0xf bank_mask:0xf
	v_cmp_lt_u32_e32 vcc_lo, 1, v38
	s_and_saveexec_b32 s3, vcc_lo
; %bb.116:
	s_delay_alu instid0(VALU_DEP_3) | instskip(SKIP_2) | instid1(VALU_DEP_2)
	v_add_co_u32 v3, s1, v19, v1
	s_wait_alu 0xf1ff
	v_add_co_ci_u32_e64 v2, null, 0, v20, s1
	v_add_co_u32 v1, s1, 0, v3
	s_wait_alu 0xf1ff
	s_delay_alu instid0(VALU_DEP_2) | instskip(NEXT) | instid1(VALU_DEP_1)
	v_add_co_ci_u32_e64 v2, null, v4, v2, s1
	v_dual_mov_b32 v20, v2 :: v_dual_mov_b32 v19, v1
; %bb.117:
	s_or_b32 exec_lo, exec_lo, s3
	v_mov_b32_dpp v1, v3 row_shr:4 row_mask:0xf bank_mask:0xf
	v_mov_b32_dpp v4, v2 row_shr:4 row_mask:0xf bank_mask:0xf
	v_cmp_lt_u32_e64 s1, 3, v38
	s_and_saveexec_b32 s4, s1
; %bb.118:
	v_add_co_u32 v3, s3, v19, v1
	s_delay_alu instid0(VALU_DEP_1) | instskip(NEXT) | instid1(VALU_DEP_2)
	v_add_co_ci_u32_e64 v2, null, 0, v20, s3
	v_add_co_u32 v1, s3, 0, v3
	s_wait_alu 0xf1ff
	s_delay_alu instid0(VALU_DEP_2) | instskip(NEXT) | instid1(VALU_DEP_1)
	v_add_co_ci_u32_e64 v2, null, v4, v2, s3
	v_dual_mov_b32 v20, v2 :: v_dual_mov_b32 v19, v1
; %bb.119:
	s_wait_alu 0xfffe
	s_or_b32 exec_lo, exec_lo, s4
	v_mov_b32_dpp v4, v3 row_shr:8 row_mask:0xf bank_mask:0xf
	v_mov_b32_dpp v1, v2 row_shr:8 row_mask:0xf bank_mask:0xf
	v_cmp_lt_u32_e64 s3, 7, v38
	s_and_saveexec_b32 s7, s3
; %bb.120:
	v_add_co_u32 v3, s4, v19, v4
	s_wait_alu 0xf1ff
	v_add_co_ci_u32_e64 v2, null, 0, v20, s4
	s_delay_alu instid0(VALU_DEP_2) | instskip(SKIP_1) | instid1(VALU_DEP_2)
	v_add_co_u32 v19, s4, 0, v3
	s_wait_alu 0xf1ff
	v_add_co_ci_u32_e64 v20, null, v1, v2, s4
	s_delay_alu instid0(VALU_DEP_1)
	v_mov_b32_e32 v2, v20
; %bb.121:
	s_wait_alu 0xfffe
	s_or_b32 exec_lo, exec_lo, s7
	ds_swizzle_b32 v3, v3 offset:swizzle(BROADCAST,32,15)
	ds_swizzle_b32 v1, v2 offset:swizzle(BROADCAST,32,15)
	v_and_b32_e32 v2, 16, v37
	s_mov_b32 s7, exec_lo
	s_delay_alu instid0(VALU_DEP_1)
	v_cmpx_ne_u32_e32 0, v2
	s_cbranch_execz .LBB786_123
; %bb.122:
	s_wait_dscnt 0x1
	v_add_co_u32 v2, s4, v19, v3
	s_wait_alu 0xf1ff
	v_add_co_ci_u32_e64 v3, null, 0, v20, s4
	s_delay_alu instid0(VALU_DEP_2) | instskip(SKIP_2) | instid1(VALU_DEP_2)
	v_add_co_u32 v19, s4, v2, 0
	s_wait_dscnt 0x0
	s_wait_alu 0xf1ff
	v_add_co_ci_u32_e64 v20, null, v3, v1, s4
.LBB786_123:
	s_wait_alu 0xfffe
	s_or_b32 exec_lo, exec_lo, s7
	s_wait_dscnt 0x0
	v_and_b32_e32 v1, 0x1e0, v0
	v_lshrrev_b32_e32 v3, 5, v0
	s_mov_b32 s7, exec_lo
	s_delay_alu instid0(VALU_DEP_2) | instskip(NEXT) | instid1(VALU_DEP_1)
	v_min_u32_e32 v1, 0x160, v1
	v_or_b32_e32 v1, 31, v1
	s_delay_alu instid0(VALU_DEP_1)
	v_cmpx_eq_u32_e64 v0, v1
; %bb.124:
	v_lshlrev_b32_e32 v1, 3, v3
	ds_store_b64 v1, v[19:20]
; %bb.125:
	s_wait_alu 0xfffe
	s_or_b32 exec_lo, exec_lo, s7
	s_delay_alu instid0(SALU_CYCLE_1)
	s_mov_b32 s7, exec_lo
	s_wait_loadcnt_dscnt 0x0
	s_barrier_signal -1
	s_barrier_wait -1
	global_inv scope:SCOPE_SE
	v_cmpx_gt_u32_e32 12, v0
	s_cbranch_execz .LBB786_135
; %bb.126:
	v_lshlrev_b32_e32 v4, 3, v0
	ds_load_b64 v[1:2], v4
	s_wait_dscnt 0x0
	v_mov_b32_dpp v7, v1 row_shr:1 row_mask:0xf bank_mask:0xf
	v_mov_b32_dpp v6, v2 row_shr:1 row_mask:0xf bank_mask:0xf
	v_mov_b32_e32 v5, v1
	s_and_saveexec_b32 s4, s0
; %bb.127:
	s_delay_alu instid0(VALU_DEP_3) | instskip(SKIP_2) | instid1(VALU_DEP_2)
	v_add_co_u32 v5, s0, v1, v7
	s_wait_alu 0xf1ff
	v_add_co_ci_u32_e64 v2, null, 0, v2, s0
	v_add_co_u32 v1, s0, 0, v5
	s_wait_alu 0xf1ff
	s_delay_alu instid0(VALU_DEP_2)
	v_add_co_ci_u32_e64 v2, null, v6, v2, s0
; %bb.128:
	s_wait_alu 0xfffe
	s_or_b32 exec_lo, exec_lo, s4
	v_mov_b32_dpp v7, v5 row_shr:2 row_mask:0xf bank_mask:0xf
	s_delay_alu instid0(VALU_DEP_2)
	v_mov_b32_dpp v6, v2 row_shr:2 row_mask:0xf bank_mask:0xf
	s_and_saveexec_b32 s0, vcc_lo
; %bb.129:
	s_delay_alu instid0(VALU_DEP_2) | instskip(SKIP_2) | instid1(VALU_DEP_2)
	v_add_co_u32 v5, vcc_lo, v1, v7
	s_wait_alu 0xfffd
	v_add_co_ci_u32_e64 v2, null, 0, v2, vcc_lo
	v_add_co_u32 v1, vcc_lo, 0, v5
	s_wait_alu 0xfffd
	s_delay_alu instid0(VALU_DEP_2)
	v_add_co_ci_u32_e64 v2, null, v6, v2, vcc_lo
; %bb.130:
	s_wait_alu 0xfffe
	s_or_b32 exec_lo, exec_lo, s0
	v_mov_b32_dpp v7, v5 row_shr:4 row_mask:0xf bank_mask:0xf
	s_delay_alu instid0(VALU_DEP_2)
	v_mov_b32_dpp v6, v2 row_shr:4 row_mask:0xf bank_mask:0xf
	s_and_saveexec_b32 s0, s1
; %bb.131:
	s_delay_alu instid0(VALU_DEP_2) | instskip(SKIP_2) | instid1(VALU_DEP_2)
	v_add_co_u32 v5, vcc_lo, v1, v7
	s_wait_alu 0xfffd
	v_add_co_ci_u32_e64 v2, null, 0, v2, vcc_lo
	v_add_co_u32 v1, vcc_lo, 0, v5
	s_wait_alu 0xfffd
	s_delay_alu instid0(VALU_DEP_2)
	v_add_co_ci_u32_e64 v2, null, v6, v2, vcc_lo
; %bb.132:
	s_wait_alu 0xfffe
	s_or_b32 exec_lo, exec_lo, s0
	v_mov_b32_dpp v6, v5 row_shr:8 row_mask:0xf bank_mask:0xf
	s_delay_alu instid0(VALU_DEP_2)
	v_mov_b32_dpp v5, v2 row_shr:8 row_mask:0xf bank_mask:0xf
	s_and_saveexec_b32 s0, s3
; %bb.133:
	s_delay_alu instid0(VALU_DEP_2) | instskip(SKIP_2) | instid1(VALU_DEP_2)
	v_add_co_u32 v1, vcc_lo, v1, v6
	s_wait_alu 0xfffd
	v_add_co_ci_u32_e64 v2, null, 0, v2, vcc_lo
	v_add_co_u32 v1, vcc_lo, v1, 0
	s_wait_alu 0xfffd
	s_delay_alu instid0(VALU_DEP_2)
	v_add_co_ci_u32_e64 v2, null, v2, v5, vcc_lo
; %bb.134:
	s_wait_alu 0xfffe
	s_or_b32 exec_lo, exec_lo, s0
	ds_store_b64 v4, v[1:2]
.LBB786_135:
	s_wait_alu 0xfffe
	s_or_b32 exec_lo, exec_lo, s7
	v_mov_b32_e32 v6, 0
	v_mov_b32_e32 v7, 0
	s_mov_b32 s0, exec_lo
	s_wait_loadcnt_dscnt 0x0
	s_barrier_signal -1
	s_barrier_wait -1
	global_inv scope:SCOPE_SE
	v_cmpx_lt_u32_e32 31, v0
; %bb.136:
	v_lshl_add_u32 v1, v3, 3, -8
	ds_load_b64 v[6:7], v1
; %bb.137:
	s_wait_alu 0xfffe
	s_or_b32 exec_lo, exec_lo, s0
	v_sub_co_u32 v1, vcc_lo, v37, 1
	v_mov_b32_e32 v5, 0
	s_delay_alu instid0(VALU_DEP_2) | instskip(SKIP_1) | instid1(VALU_DEP_1)
	v_cmp_gt_i32_e64 s0, 0, v1
	s_wait_alu 0xf1ff
	v_cndmask_b32_e64 v1, v1, v37, s0
	s_delay_alu instid0(VALU_DEP_1)
	v_lshlrev_b32_e32 v2, 2, v1
	s_wait_dscnt 0x0
	v_add_co_u32 v1, s0, v6, v19
	s_wait_alu 0xf1ff
	v_add_co_ci_u32_e64 v3, null, v7, v20, s0
	ds_bpermute_b32 v1, v2, v1
	ds_bpermute_b32 v8, v2, v3
	ds_load_b64 v[2:3], v5 offset:88
	s_and_saveexec_b32 s0, s2
	s_cbranch_execz .LBB786_139
; %bb.138:
	s_add_nc_u64 s[10:11], s[14:15], 0x200
	v_mov_b32_e32 v4, 2
	v_dual_mov_b32 v20, s11 :: v_dual_mov_b32 v19, s10
	s_wait_dscnt 0x0
	;;#ASMSTART
	global_store_b128 v[19:20], v[2:5] off scope:SCOPE_DEV	
s_wait_storecnt 0x0
	;;#ASMEND
.LBB786_139:
	s_wait_alu 0xfffe
	s_or_b32 exec_lo, exec_lo, s0
	s_wait_dscnt 0x1
	s_wait_alu 0xfffd
	v_dual_cndmask_b32 v7, v8, v7 :: v_dual_mov_b32 v4, 0
	v_cndmask_b32_e32 v1, v1, v6, vcc_lo
	v_mov_b32_e32 v5, 0
	s_wait_loadcnt_dscnt 0x0
	s_delay_alu instid0(VALU_DEP_3)
	v_cndmask_b32_e64 v44, v7, 0, s2
	s_barrier_signal -1
	v_cndmask_b32_e64 v43, v1, 0, s2
	s_barrier_wait -1
	global_inv scope:SCOPE_SE
.LBB786_140:
	s_delay_alu instid0(VALU_DEP_2) | instskip(SKIP_1) | instid1(VALU_DEP_2)
	v_add_co_u32 v53, vcc_lo, v43, v30
	s_wait_alu 0xfffd
	v_add_co_ci_u32_e64 v54, null, 0, v44, vcc_lo
	v_lshlrev_b64_e32 v[6:7], 1, v[17:18]
	s_delay_alu instid0(VALU_DEP_3) | instskip(SKIP_1) | instid1(VALU_DEP_3)
	v_add_co_u32 v51, vcc_lo, v53, v29
	s_wait_alu 0xfffd
	v_add_co_ci_u32_e64 v52, null, 0, v54, vcc_lo
	v_lshrrev_b32_e32 v72, 16, v64
	s_delay_alu instid0(VALU_DEP_3) | instskip(SKIP_1) | instid1(VALU_DEP_3)
	v_add_co_u32 v49, vcc_lo, v51, v28
	s_wait_alu 0xfffd
	v_add_co_ci_u32_e64 v50, null, 0, v52, vcc_lo
	v_lshrrev_b32_e32 v73, 8, v64
	;; [unrolled: 5-line block ×8, first 2 shown]
	s_delay_alu instid0(VALU_DEP_3) | instskip(SKIP_1) | instid1(VALU_DEP_3)
	v_add_co_u32 v33, vcc_lo, v35, v32
	s_wait_alu 0xfffd
	v_add_co_ci_u32_e64 v34, null, 0, v36, vcc_lo
	s_mov_b32 s1, -1
	v_add_co_u32 v31, vcc_lo, v33, v31
	s_wait_alu 0xfffd
	v_add_co_ci_u32_e64 v32, null, 0, v34, vcc_lo
	s_delay_alu instid0(VALU_DEP_2) | instskip(SKIP_1) | instid1(VALU_DEP_2)
	v_add_co_u32 v29, vcc_lo, v31, v65
	s_wait_alu 0xfffd
	v_add_co_ci_u32_e64 v30, null, 0, v32, vcc_lo
	s_delay_alu instid0(VALU_DEP_2) | instskip(SKIP_1) | instid1(VALU_DEP_2)
	v_add_co_u32 v23, vcc_lo, v29, v69
	s_wait_alu 0xfffd
	v_add_co_ci_u32_e64 v24, null, 0, v30, vcc_lo
	v_and_b32_e32 v69, 1, v55
	s_delay_alu instid0(VALU_DEP_3) | instskip(SKIP_1) | instid1(VALU_DEP_3)
	v_add_co_u32 v27, s0, v23, v27
	s_wait_alu 0xf1ff
	v_add_co_ci_u32_e64 v28, null, 0, v24, s0
	s_wait_dscnt 0x0
	v_cmp_gt_u64_e32 vcc_lo, 0x181, v[2:3]
	v_add_co_u32 v25, s0, v27, v68
	s_wait_alu 0xf1ff
	v_add_co_ci_u32_e64 v26, null, 0, v28, s0
	s_and_b32 vcc_lo, exec_lo, vcc_lo
	v_add_co_u32 v21, s0, v25, v63
	s_wait_alu 0xf1ff
	v_add_co_ci_u32_e64 v22, null, 0, v26, s0
	s_delay_alu instid0(VALU_DEP_2) | instskip(SKIP_1) | instid1(VALU_DEP_2)
	v_add_co_u32 v19, s0, v21, v56
	s_wait_alu 0xf1ff
	v_add_co_ci_u32_e64 v20, null, 0, v22, s0
	v_cmp_eq_u32_e64 s0, 1, v69
	s_wait_alu 0xfffe
	s_cbranch_vccnz .LBB786_144
; %bb.141:
	s_and_b32 vcc_lo, exec_lo, s1
	s_wait_alu 0xfffe
	s_cbranch_vccnz .LBB786_181
.LBB786_142:
	s_and_b32 s0, s2, s6
	s_wait_alu 0xfffe
	s_and_saveexec_b32 s1, s0
	s_cbranch_execnz .LBB786_220
.LBB786_143:
	s_endpgm
.LBB786_144:
	v_add_co_u32 v55, vcc_lo, v4, v2
	s_wait_alu 0xfffd
	v_add_co_ci_u32_e64 v56, null, v5, v3, vcc_lo
	v_add_co_u32 v68, s1, s12, v6
	s_wait_alu 0xf1ff
	v_add_co_ci_u32_e64 v76, null, s13, v7, s1
	s_delay_alu instid0(VALU_DEP_3)
	v_cmp_lt_u64_e32 vcc_lo, v[43:44], v[55:56]
	s_or_b32 s1, s5, vcc_lo
	s_wait_alu 0xfffe
	s_and_b32 s1, s1, s0
	s_wait_alu 0xfffe
	s_and_saveexec_b32 s0, s1
	s_cbranch_execz .LBB786_146
; %bb.145:
	v_lshlrev_b64_e32 v[77:78], 1, v[43:44]
	s_delay_alu instid0(VALU_DEP_1) | instskip(SKIP_1) | instid1(VALU_DEP_2)
	v_add_co_u32 v77, vcc_lo, v68, v77
	s_wait_alu 0xfffd
	v_add_co_ci_u32_e64 v78, null, v76, v78, vcc_lo
	global_store_b16 v[77:78], v15, off
.LBB786_146:
	s_wait_alu 0xfffe
	s_or_b32 exec_lo, exec_lo, s0
	v_and_b32_e32 v44, 1, v75
	v_cmp_lt_u64_e32 vcc_lo, v[53:54], v[55:56]
	s_delay_alu instid0(VALU_DEP_2)
	v_cmp_eq_u32_e64 s0, 1, v44
	s_or_b32 s1, s5, vcc_lo
	s_wait_alu 0xfffe
	s_and_b32 s1, s1, s0
	s_wait_alu 0xfffe
	s_and_saveexec_b32 s0, s1
	s_cbranch_execz .LBB786_148
; %bb.147:
	v_lshlrev_b64_e32 v[77:78], 1, v[53:54]
	s_delay_alu instid0(VALU_DEP_1) | instskip(SKIP_1) | instid1(VALU_DEP_2)
	v_add_co_u32 v77, vcc_lo, v68, v77
	s_wait_alu 0xfffd
	v_add_co_ci_u32_e64 v78, null, v76, v78, vcc_lo
	global_store_d16_hi_b16 v[77:78], v15, off
.LBB786_148:
	s_wait_alu 0xfffe
	s_or_b32 exec_lo, exec_lo, s0
	v_and_b32_e32 v44, 1, v74
	v_cmp_lt_u64_e32 vcc_lo, v[51:52], v[55:56]
	s_delay_alu instid0(VALU_DEP_2)
	v_cmp_eq_u32_e64 s0, 1, v44
	s_or_b32 s1, s5, vcc_lo
	s_wait_alu 0xfffe
	s_and_b32 s1, s1, s0
	s_wait_alu 0xfffe
	s_and_saveexec_b32 s0, s1
	s_cbranch_execz .LBB786_150
; %bb.149:
	v_lshlrev_b64_e32 v[77:78], 1, v[51:52]
	s_delay_alu instid0(VALU_DEP_1) | instskip(SKIP_1) | instid1(VALU_DEP_2)
	v_add_co_u32 v77, vcc_lo, v68, v77
	s_wait_alu 0xfffd
	v_add_co_ci_u32_e64 v78, null, v76, v78, vcc_lo
	global_store_b16 v[77:78], v16, off
.LBB786_150:
	s_wait_alu 0xfffe
	s_or_b32 exec_lo, exec_lo, s0
	v_and_b32_e32 v44, 1, v67
	v_cmp_lt_u64_e32 vcc_lo, v[49:50], v[55:56]
	s_delay_alu instid0(VALU_DEP_2)
	v_cmp_eq_u32_e64 s0, 1, v44
	s_or_b32 s1, s5, vcc_lo
	s_wait_alu 0xfffe
	s_and_b32 s1, s1, s0
	s_wait_alu 0xfffe
	s_and_saveexec_b32 s0, s1
	s_cbranch_execz .LBB786_152
; %bb.151:
	v_lshlrev_b64_e32 v[77:78], 1, v[49:50]
	s_delay_alu instid0(VALU_DEP_1) | instskip(SKIP_1) | instid1(VALU_DEP_2)
	v_add_co_u32 v77, vcc_lo, v68, v77
	s_wait_alu 0xfffd
	v_add_co_ci_u32_e64 v78, null, v76, v78, vcc_lo
	global_store_d16_hi_b16 v[77:78], v16, off
.LBB786_152:
	s_wait_alu 0xfffe
	s_or_b32 exec_lo, exec_lo, s0
	v_and_b32_e32 v44, 1, v64
	v_cmp_lt_u64_e32 vcc_lo, v[47:48], v[55:56]
	s_delay_alu instid0(VALU_DEP_2)
	v_cmp_eq_u32_e64 s0, 1, v44
	;; [unrolled: 40-line block ×8, first 2 shown]
	s_or_b32 s1, s5, vcc_lo
	s_wait_alu 0xfffe
	s_and_b32 s1, s1, s0
	s_wait_alu 0xfffe
	s_and_saveexec_b32 s0, s1
	s_cbranch_execz .LBB786_178
; %bb.177:
	v_lshlrev_b64_e32 v[77:78], 1, v[21:22]
	s_delay_alu instid0(VALU_DEP_1) | instskip(SKIP_1) | instid1(VALU_DEP_2)
	v_add_co_u32 v77, vcc_lo, v68, v77
	s_wait_alu 0xfffd
	v_add_co_ci_u32_e64 v78, null, v76, v78, vcc_lo
	global_store_b16 v[77:78], v57, off
.LBB786_178:
	s_wait_alu 0xfffe
	s_or_b32 exec_lo, exec_lo, s0
	v_and_b32_e32 v22, 1, v59
	v_cmp_lt_u64_e32 vcc_lo, v[19:20], v[55:56]
	s_delay_alu instid0(VALU_DEP_2)
	v_cmp_eq_u32_e64 s0, 1, v22
	s_or_b32 s1, s5, vcc_lo
	s_wait_alu 0xfffe
	s_and_b32 s1, s1, s0
	s_wait_alu 0xfffe
	s_and_saveexec_b32 s0, s1
	s_cbranch_execz .LBB786_180
; %bb.179:
	v_lshlrev_b64_e32 v[54:55], 1, v[19:20]
	s_delay_alu instid0(VALU_DEP_1) | instskip(SKIP_1) | instid1(VALU_DEP_2)
	v_add_co_u32 v54, vcc_lo, v68, v54
	s_wait_alu 0xfffd
	v_add_co_ci_u32_e64 v55, null, v76, v55, vcc_lo
	global_store_b16 v[54:55], v58, off
.LBB786_180:
	s_wait_alu 0xfffe
	s_or_b32 exec_lo, exec_lo, s0
	s_branch .LBB786_142
.LBB786_181:
	s_mov_b32 s0, exec_lo
	v_cmpx_eq_u32_e32 1, v69
; %bb.182:
	v_sub_nc_u32_e32 v20, v43, v4
	s_delay_alu instid0(VALU_DEP_1)
	v_lshlrev_b32_e32 v20, 1, v20
	ds_store_b16 v20, v15
; %bb.183:
	s_wait_alu 0xfffe
	s_or_b32 exec_lo, exec_lo, s0
	v_and_b32_e32 v20, 1, v75
	s_mov_b32 s0, exec_lo
	s_delay_alu instid0(VALU_DEP_1)
	v_cmpx_eq_u32_e32 1, v20
; %bb.184:
	v_sub_nc_u32_e32 v20, v53, v4
	s_delay_alu instid0(VALU_DEP_1)
	v_lshlrev_b32_e32 v20, 1, v20
	ds_store_b16_d16_hi v20, v15
; %bb.185:
	s_wait_alu 0xfffe
	s_or_b32 exec_lo, exec_lo, s0
	v_and_b32_e32 v15, 1, v74
	s_mov_b32 s0, exec_lo
	s_delay_alu instid0(VALU_DEP_1)
	v_cmpx_eq_u32_e32 1, v15
; %bb.186:
	v_sub_nc_u32_e32 v15, v51, v4
	s_delay_alu instid0(VALU_DEP_1)
	v_lshlrev_b32_e32 v15, 1, v15
	ds_store_b16 v15, v16
; %bb.187:
	s_wait_alu 0xfffe
	s_or_b32 exec_lo, exec_lo, s0
	v_and_b32_e32 v15, 1, v67
	s_mov_b32 s0, exec_lo
	s_delay_alu instid0(VALU_DEP_1)
	v_cmpx_eq_u32_e32 1, v15
; %bb.188:
	v_sub_nc_u32_e32 v15, v49, v4
	s_delay_alu instid0(VALU_DEP_1)
	v_lshlrev_b32_e32 v15, 1, v15
	ds_store_b16_d16_hi v15, v16
; %bb.189:
	s_wait_alu 0xfffe
	s_or_b32 exec_lo, exec_lo, s0
	v_and_b32_e32 v15, 1, v64
	s_mov_b32 s0, exec_lo
	s_delay_alu instid0(VALU_DEP_1)
	;; [unrolled: 24-line block ×8, first 2 shown]
	v_cmpx_eq_u32_e32 1, v1
; %bb.214:
	v_sub_nc_u32_e32 v1, v21, v4
	s_delay_alu instid0(VALU_DEP_1)
	v_lshlrev_b32_e32 v1, 1, v1
	ds_store_b16 v1, v57
; %bb.215:
	s_wait_alu 0xfffe
	s_or_b32 exec_lo, exec_lo, s0
	v_and_b32_e32 v1, 1, v59
	s_mov_b32 s0, exec_lo
	s_delay_alu instid0(VALU_DEP_1)
	v_cmpx_eq_u32_e32 1, v1
; %bb.216:
	v_sub_nc_u32_e32 v1, v19, v4
	s_delay_alu instid0(VALU_DEP_1)
	v_lshlrev_b32_e32 v1, 1, v1
	ds_store_b16 v1, v58
; %bb.217:
	s_wait_alu 0xfffe
	s_or_b32 exec_lo, exec_lo, s0
	v_lshlrev_b64_e32 v[8:9], 1, v[4:5]
	v_add_co_u32 v10, vcc_lo, s12, v6
	v_mov_b32_e32 v1, 0
	s_wait_alu 0xfffd
	v_add_co_ci_u32_e64 v11, null, s13, v7, vcc_lo
	s_delay_alu instid0(VALU_DEP_3) | instskip(NEXT) | instid1(VALU_DEP_3)
	v_add_co_u32 v8, vcc_lo, v10, v8
	v_dual_mov_b32 v7, v1 :: v_dual_mov_b32 v6, v0
	s_wait_alu 0xfffd
	s_delay_alu instid0(VALU_DEP_3)
	v_add_co_ci_u32_e64 v9, null, v11, v9, vcc_lo
	v_add_nc_u32_e32 v0, 0x180, v0
	s_mov_b32 s1, 0
	s_wait_storecnt 0x0
	s_wait_loadcnt_dscnt 0x0
	s_barrier_signal -1
	s_barrier_wait -1
	global_inv scope:SCOPE_SE
.LBB786_218:                            ; =>This Inner Loop Header: Depth=1
	v_lshlrev_b32_e32 v10, 1, v6
	v_cmp_le_u64_e32 vcc_lo, v[2:3], v[0:1]
	ds_load_u16 v12, v10
	v_lshlrev_b64_e32 v[10:11], 1, v[6:7]
	v_dual_mov_b32 v7, v1 :: v_dual_mov_b32 v6, v0
	v_add_nc_u32_e32 v0, 0x180, v0
	s_wait_alu 0xfffe
	s_or_b32 s1, vcc_lo, s1
	s_delay_alu instid0(VALU_DEP_3)
	v_add_co_u32 v10, s0, v8, v10
	s_wait_alu 0xf1ff
	v_add_co_ci_u32_e64 v11, null, v9, v11, s0
	s_wait_dscnt 0x0
	global_store_b16 v[10:11], v12, off
	s_wait_alu 0xfffe
	s_and_not1_b32 exec_lo, exec_lo, s1
	s_cbranch_execnz .LBB786_218
; %bb.219:
	s_or_b32 exec_lo, exec_lo, s1
	s_and_b32 s0, s2, s6
	s_wait_alu 0xfffe
	s_and_saveexec_b32 s1, s0
	s_cbranch_execz .LBB786_143
.LBB786_220:
	v_add_co_u32 v0, vcc_lo, v4, v2
	s_wait_alu 0xfffd
	v_add_co_ci_u32_e64 v1, null, v5, v3, vcc_lo
	v_mov_b32_e32 v2, 0
	s_delay_alu instid0(VALU_DEP_3) | instskip(SKIP_1) | instid1(VALU_DEP_3)
	v_add_co_u32 v0, vcc_lo, v0, v17
	s_wait_alu 0xfffd
	v_add_co_ci_u32_e64 v1, null, v1, v18, vcc_lo
	global_store_b64 v2, v[0:1], s[8:9]
	s_endpgm
	.section	.rodata,"a",@progbits
	.p2align	6, 0x0
	.amdhsa_kernel _ZN7rocprim17ROCPRIM_400000_NS6detail17trampoline_kernelINS0_14default_configENS1_25partition_config_selectorILNS1_17partition_subalgoE6EsNS0_10empty_typeEbEEZZNS1_14partition_implILS5_6ELb0ES3_mN6thrust23THRUST_200600_302600_NS6detail15normal_iteratorINSA_10device_ptrIsEEEEPS6_SG_NS0_5tupleIJSF_S6_EEENSH_IJSG_SG_EEES6_PlJNSB_9not_fun_tI7is_evenIsEEEEEE10hipError_tPvRmT3_T4_T5_T6_T7_T9_mT8_P12ihipStream_tbDpT10_ENKUlT_T0_E_clISt17integral_constantIbLb0EES17_IbLb1EEEEDaS13_S14_EUlS13_E_NS1_11comp_targetILNS1_3genE10ELNS1_11target_archE1200ELNS1_3gpuE4ELNS1_3repE0EEENS1_30default_config_static_selectorELNS0_4arch9wavefront6targetE0EEEvT1_
		.amdhsa_group_segment_fixed_size 13840
		.amdhsa_private_segment_fixed_size 0
		.amdhsa_kernarg_size 128
		.amdhsa_user_sgpr_count 2
		.amdhsa_user_sgpr_dispatch_ptr 0
		.amdhsa_user_sgpr_queue_ptr 0
		.amdhsa_user_sgpr_kernarg_segment_ptr 1
		.amdhsa_user_sgpr_dispatch_id 0
		.amdhsa_user_sgpr_private_segment_size 0
		.amdhsa_wavefront_size32 1
		.amdhsa_uses_dynamic_stack 0
		.amdhsa_enable_private_segment 0
		.amdhsa_system_sgpr_workgroup_id_x 1
		.amdhsa_system_sgpr_workgroup_id_y 0
		.amdhsa_system_sgpr_workgroup_id_z 0
		.amdhsa_system_sgpr_workgroup_info 0
		.amdhsa_system_vgpr_workitem_id 0
		.amdhsa_next_free_vgpr 79
		.amdhsa_next_free_sgpr 20
		.amdhsa_reserve_vcc 1
		.amdhsa_float_round_mode_32 0
		.amdhsa_float_round_mode_16_64 0
		.amdhsa_float_denorm_mode_32 3
		.amdhsa_float_denorm_mode_16_64 3
		.amdhsa_fp16_overflow 0
		.amdhsa_workgroup_processor_mode 1
		.amdhsa_memory_ordered 1
		.amdhsa_forward_progress 1
		.amdhsa_inst_pref_size 90
		.amdhsa_round_robin_scheduling 0
		.amdhsa_exception_fp_ieee_invalid_op 0
		.amdhsa_exception_fp_denorm_src 0
		.amdhsa_exception_fp_ieee_div_zero 0
		.amdhsa_exception_fp_ieee_overflow 0
		.amdhsa_exception_fp_ieee_underflow 0
		.amdhsa_exception_fp_ieee_inexact 0
		.amdhsa_exception_int_div_zero 0
	.end_amdhsa_kernel
	.section	.text._ZN7rocprim17ROCPRIM_400000_NS6detail17trampoline_kernelINS0_14default_configENS1_25partition_config_selectorILNS1_17partition_subalgoE6EsNS0_10empty_typeEbEEZZNS1_14partition_implILS5_6ELb0ES3_mN6thrust23THRUST_200600_302600_NS6detail15normal_iteratorINSA_10device_ptrIsEEEEPS6_SG_NS0_5tupleIJSF_S6_EEENSH_IJSG_SG_EEES6_PlJNSB_9not_fun_tI7is_evenIsEEEEEE10hipError_tPvRmT3_T4_T5_T6_T7_T9_mT8_P12ihipStream_tbDpT10_ENKUlT_T0_E_clISt17integral_constantIbLb0EES17_IbLb1EEEEDaS13_S14_EUlS13_E_NS1_11comp_targetILNS1_3genE10ELNS1_11target_archE1200ELNS1_3gpuE4ELNS1_3repE0EEENS1_30default_config_static_selectorELNS0_4arch9wavefront6targetE0EEEvT1_,"axG",@progbits,_ZN7rocprim17ROCPRIM_400000_NS6detail17trampoline_kernelINS0_14default_configENS1_25partition_config_selectorILNS1_17partition_subalgoE6EsNS0_10empty_typeEbEEZZNS1_14partition_implILS5_6ELb0ES3_mN6thrust23THRUST_200600_302600_NS6detail15normal_iteratorINSA_10device_ptrIsEEEEPS6_SG_NS0_5tupleIJSF_S6_EEENSH_IJSG_SG_EEES6_PlJNSB_9not_fun_tI7is_evenIsEEEEEE10hipError_tPvRmT3_T4_T5_T6_T7_T9_mT8_P12ihipStream_tbDpT10_ENKUlT_T0_E_clISt17integral_constantIbLb0EES17_IbLb1EEEEDaS13_S14_EUlS13_E_NS1_11comp_targetILNS1_3genE10ELNS1_11target_archE1200ELNS1_3gpuE4ELNS1_3repE0EEENS1_30default_config_static_selectorELNS0_4arch9wavefront6targetE0EEEvT1_,comdat
.Lfunc_end786:
	.size	_ZN7rocprim17ROCPRIM_400000_NS6detail17trampoline_kernelINS0_14default_configENS1_25partition_config_selectorILNS1_17partition_subalgoE6EsNS0_10empty_typeEbEEZZNS1_14partition_implILS5_6ELb0ES3_mN6thrust23THRUST_200600_302600_NS6detail15normal_iteratorINSA_10device_ptrIsEEEEPS6_SG_NS0_5tupleIJSF_S6_EEENSH_IJSG_SG_EEES6_PlJNSB_9not_fun_tI7is_evenIsEEEEEE10hipError_tPvRmT3_T4_T5_T6_T7_T9_mT8_P12ihipStream_tbDpT10_ENKUlT_T0_E_clISt17integral_constantIbLb0EES17_IbLb1EEEEDaS13_S14_EUlS13_E_NS1_11comp_targetILNS1_3genE10ELNS1_11target_archE1200ELNS1_3gpuE4ELNS1_3repE0EEENS1_30default_config_static_selectorELNS0_4arch9wavefront6targetE0EEEvT1_, .Lfunc_end786-_ZN7rocprim17ROCPRIM_400000_NS6detail17trampoline_kernelINS0_14default_configENS1_25partition_config_selectorILNS1_17partition_subalgoE6EsNS0_10empty_typeEbEEZZNS1_14partition_implILS5_6ELb0ES3_mN6thrust23THRUST_200600_302600_NS6detail15normal_iteratorINSA_10device_ptrIsEEEEPS6_SG_NS0_5tupleIJSF_S6_EEENSH_IJSG_SG_EEES6_PlJNSB_9not_fun_tI7is_evenIsEEEEEE10hipError_tPvRmT3_T4_T5_T6_T7_T9_mT8_P12ihipStream_tbDpT10_ENKUlT_T0_E_clISt17integral_constantIbLb0EES17_IbLb1EEEEDaS13_S14_EUlS13_E_NS1_11comp_targetILNS1_3genE10ELNS1_11target_archE1200ELNS1_3gpuE4ELNS1_3repE0EEENS1_30default_config_static_selectorELNS0_4arch9wavefront6targetE0EEEvT1_
                                        ; -- End function
	.set _ZN7rocprim17ROCPRIM_400000_NS6detail17trampoline_kernelINS0_14default_configENS1_25partition_config_selectorILNS1_17partition_subalgoE6EsNS0_10empty_typeEbEEZZNS1_14partition_implILS5_6ELb0ES3_mN6thrust23THRUST_200600_302600_NS6detail15normal_iteratorINSA_10device_ptrIsEEEEPS6_SG_NS0_5tupleIJSF_S6_EEENSH_IJSG_SG_EEES6_PlJNSB_9not_fun_tI7is_evenIsEEEEEE10hipError_tPvRmT3_T4_T5_T6_T7_T9_mT8_P12ihipStream_tbDpT10_ENKUlT_T0_E_clISt17integral_constantIbLb0EES17_IbLb1EEEEDaS13_S14_EUlS13_E_NS1_11comp_targetILNS1_3genE10ELNS1_11target_archE1200ELNS1_3gpuE4ELNS1_3repE0EEENS1_30default_config_static_selectorELNS0_4arch9wavefront6targetE0EEEvT1_.num_vgpr, 79
	.set _ZN7rocprim17ROCPRIM_400000_NS6detail17trampoline_kernelINS0_14default_configENS1_25partition_config_selectorILNS1_17partition_subalgoE6EsNS0_10empty_typeEbEEZZNS1_14partition_implILS5_6ELb0ES3_mN6thrust23THRUST_200600_302600_NS6detail15normal_iteratorINSA_10device_ptrIsEEEEPS6_SG_NS0_5tupleIJSF_S6_EEENSH_IJSG_SG_EEES6_PlJNSB_9not_fun_tI7is_evenIsEEEEEE10hipError_tPvRmT3_T4_T5_T6_T7_T9_mT8_P12ihipStream_tbDpT10_ENKUlT_T0_E_clISt17integral_constantIbLb0EES17_IbLb1EEEEDaS13_S14_EUlS13_E_NS1_11comp_targetILNS1_3genE10ELNS1_11target_archE1200ELNS1_3gpuE4ELNS1_3repE0EEENS1_30default_config_static_selectorELNS0_4arch9wavefront6targetE0EEEvT1_.num_agpr, 0
	.set _ZN7rocprim17ROCPRIM_400000_NS6detail17trampoline_kernelINS0_14default_configENS1_25partition_config_selectorILNS1_17partition_subalgoE6EsNS0_10empty_typeEbEEZZNS1_14partition_implILS5_6ELb0ES3_mN6thrust23THRUST_200600_302600_NS6detail15normal_iteratorINSA_10device_ptrIsEEEEPS6_SG_NS0_5tupleIJSF_S6_EEENSH_IJSG_SG_EEES6_PlJNSB_9not_fun_tI7is_evenIsEEEEEE10hipError_tPvRmT3_T4_T5_T6_T7_T9_mT8_P12ihipStream_tbDpT10_ENKUlT_T0_E_clISt17integral_constantIbLb0EES17_IbLb1EEEEDaS13_S14_EUlS13_E_NS1_11comp_targetILNS1_3genE10ELNS1_11target_archE1200ELNS1_3gpuE4ELNS1_3repE0EEENS1_30default_config_static_selectorELNS0_4arch9wavefront6targetE0EEEvT1_.numbered_sgpr, 20
	.set _ZN7rocprim17ROCPRIM_400000_NS6detail17trampoline_kernelINS0_14default_configENS1_25partition_config_selectorILNS1_17partition_subalgoE6EsNS0_10empty_typeEbEEZZNS1_14partition_implILS5_6ELb0ES3_mN6thrust23THRUST_200600_302600_NS6detail15normal_iteratorINSA_10device_ptrIsEEEEPS6_SG_NS0_5tupleIJSF_S6_EEENSH_IJSG_SG_EEES6_PlJNSB_9not_fun_tI7is_evenIsEEEEEE10hipError_tPvRmT3_T4_T5_T6_T7_T9_mT8_P12ihipStream_tbDpT10_ENKUlT_T0_E_clISt17integral_constantIbLb0EES17_IbLb1EEEEDaS13_S14_EUlS13_E_NS1_11comp_targetILNS1_3genE10ELNS1_11target_archE1200ELNS1_3gpuE4ELNS1_3repE0EEENS1_30default_config_static_selectorELNS0_4arch9wavefront6targetE0EEEvT1_.num_named_barrier, 0
	.set _ZN7rocprim17ROCPRIM_400000_NS6detail17trampoline_kernelINS0_14default_configENS1_25partition_config_selectorILNS1_17partition_subalgoE6EsNS0_10empty_typeEbEEZZNS1_14partition_implILS5_6ELb0ES3_mN6thrust23THRUST_200600_302600_NS6detail15normal_iteratorINSA_10device_ptrIsEEEEPS6_SG_NS0_5tupleIJSF_S6_EEENSH_IJSG_SG_EEES6_PlJNSB_9not_fun_tI7is_evenIsEEEEEE10hipError_tPvRmT3_T4_T5_T6_T7_T9_mT8_P12ihipStream_tbDpT10_ENKUlT_T0_E_clISt17integral_constantIbLb0EES17_IbLb1EEEEDaS13_S14_EUlS13_E_NS1_11comp_targetILNS1_3genE10ELNS1_11target_archE1200ELNS1_3gpuE4ELNS1_3repE0EEENS1_30default_config_static_selectorELNS0_4arch9wavefront6targetE0EEEvT1_.private_seg_size, 0
	.set _ZN7rocprim17ROCPRIM_400000_NS6detail17trampoline_kernelINS0_14default_configENS1_25partition_config_selectorILNS1_17partition_subalgoE6EsNS0_10empty_typeEbEEZZNS1_14partition_implILS5_6ELb0ES3_mN6thrust23THRUST_200600_302600_NS6detail15normal_iteratorINSA_10device_ptrIsEEEEPS6_SG_NS0_5tupleIJSF_S6_EEENSH_IJSG_SG_EEES6_PlJNSB_9not_fun_tI7is_evenIsEEEEEE10hipError_tPvRmT3_T4_T5_T6_T7_T9_mT8_P12ihipStream_tbDpT10_ENKUlT_T0_E_clISt17integral_constantIbLb0EES17_IbLb1EEEEDaS13_S14_EUlS13_E_NS1_11comp_targetILNS1_3genE10ELNS1_11target_archE1200ELNS1_3gpuE4ELNS1_3repE0EEENS1_30default_config_static_selectorELNS0_4arch9wavefront6targetE0EEEvT1_.uses_vcc, 1
	.set _ZN7rocprim17ROCPRIM_400000_NS6detail17trampoline_kernelINS0_14default_configENS1_25partition_config_selectorILNS1_17partition_subalgoE6EsNS0_10empty_typeEbEEZZNS1_14partition_implILS5_6ELb0ES3_mN6thrust23THRUST_200600_302600_NS6detail15normal_iteratorINSA_10device_ptrIsEEEEPS6_SG_NS0_5tupleIJSF_S6_EEENSH_IJSG_SG_EEES6_PlJNSB_9not_fun_tI7is_evenIsEEEEEE10hipError_tPvRmT3_T4_T5_T6_T7_T9_mT8_P12ihipStream_tbDpT10_ENKUlT_T0_E_clISt17integral_constantIbLb0EES17_IbLb1EEEEDaS13_S14_EUlS13_E_NS1_11comp_targetILNS1_3genE10ELNS1_11target_archE1200ELNS1_3gpuE4ELNS1_3repE0EEENS1_30default_config_static_selectorELNS0_4arch9wavefront6targetE0EEEvT1_.uses_flat_scratch, 1
	.set _ZN7rocprim17ROCPRIM_400000_NS6detail17trampoline_kernelINS0_14default_configENS1_25partition_config_selectorILNS1_17partition_subalgoE6EsNS0_10empty_typeEbEEZZNS1_14partition_implILS5_6ELb0ES3_mN6thrust23THRUST_200600_302600_NS6detail15normal_iteratorINSA_10device_ptrIsEEEEPS6_SG_NS0_5tupleIJSF_S6_EEENSH_IJSG_SG_EEES6_PlJNSB_9not_fun_tI7is_evenIsEEEEEE10hipError_tPvRmT3_T4_T5_T6_T7_T9_mT8_P12ihipStream_tbDpT10_ENKUlT_T0_E_clISt17integral_constantIbLb0EES17_IbLb1EEEEDaS13_S14_EUlS13_E_NS1_11comp_targetILNS1_3genE10ELNS1_11target_archE1200ELNS1_3gpuE4ELNS1_3repE0EEENS1_30default_config_static_selectorELNS0_4arch9wavefront6targetE0EEEvT1_.has_dyn_sized_stack, 0
	.set _ZN7rocprim17ROCPRIM_400000_NS6detail17trampoline_kernelINS0_14default_configENS1_25partition_config_selectorILNS1_17partition_subalgoE6EsNS0_10empty_typeEbEEZZNS1_14partition_implILS5_6ELb0ES3_mN6thrust23THRUST_200600_302600_NS6detail15normal_iteratorINSA_10device_ptrIsEEEEPS6_SG_NS0_5tupleIJSF_S6_EEENSH_IJSG_SG_EEES6_PlJNSB_9not_fun_tI7is_evenIsEEEEEE10hipError_tPvRmT3_T4_T5_T6_T7_T9_mT8_P12ihipStream_tbDpT10_ENKUlT_T0_E_clISt17integral_constantIbLb0EES17_IbLb1EEEEDaS13_S14_EUlS13_E_NS1_11comp_targetILNS1_3genE10ELNS1_11target_archE1200ELNS1_3gpuE4ELNS1_3repE0EEENS1_30default_config_static_selectorELNS0_4arch9wavefront6targetE0EEEvT1_.has_recursion, 0
	.set _ZN7rocprim17ROCPRIM_400000_NS6detail17trampoline_kernelINS0_14default_configENS1_25partition_config_selectorILNS1_17partition_subalgoE6EsNS0_10empty_typeEbEEZZNS1_14partition_implILS5_6ELb0ES3_mN6thrust23THRUST_200600_302600_NS6detail15normal_iteratorINSA_10device_ptrIsEEEEPS6_SG_NS0_5tupleIJSF_S6_EEENSH_IJSG_SG_EEES6_PlJNSB_9not_fun_tI7is_evenIsEEEEEE10hipError_tPvRmT3_T4_T5_T6_T7_T9_mT8_P12ihipStream_tbDpT10_ENKUlT_T0_E_clISt17integral_constantIbLb0EES17_IbLb1EEEEDaS13_S14_EUlS13_E_NS1_11comp_targetILNS1_3genE10ELNS1_11target_archE1200ELNS1_3gpuE4ELNS1_3repE0EEENS1_30default_config_static_selectorELNS0_4arch9wavefront6targetE0EEEvT1_.has_indirect_call, 0
	.section	.AMDGPU.csdata,"",@progbits
; Kernel info:
; codeLenInByte = 11480
; TotalNumSgprs: 22
; NumVgprs: 79
; ScratchSize: 0
; MemoryBound: 0
; FloatMode: 240
; IeeeMode: 1
; LDSByteSize: 13840 bytes/workgroup (compile time only)
; SGPRBlocks: 0
; VGPRBlocks: 9
; NumSGPRsForWavesPerEU: 22
; NumVGPRsForWavesPerEU: 79
; Occupancy: 15
; WaveLimiterHint : 1
; COMPUTE_PGM_RSRC2:SCRATCH_EN: 0
; COMPUTE_PGM_RSRC2:USER_SGPR: 2
; COMPUTE_PGM_RSRC2:TRAP_HANDLER: 0
; COMPUTE_PGM_RSRC2:TGID_X_EN: 1
; COMPUTE_PGM_RSRC2:TGID_Y_EN: 0
; COMPUTE_PGM_RSRC2:TGID_Z_EN: 0
; COMPUTE_PGM_RSRC2:TIDIG_COMP_CNT: 0
	.section	.text._ZN7rocprim17ROCPRIM_400000_NS6detail17trampoline_kernelINS0_14default_configENS1_25partition_config_selectorILNS1_17partition_subalgoE6EsNS0_10empty_typeEbEEZZNS1_14partition_implILS5_6ELb0ES3_mN6thrust23THRUST_200600_302600_NS6detail15normal_iteratorINSA_10device_ptrIsEEEEPS6_SG_NS0_5tupleIJSF_S6_EEENSH_IJSG_SG_EEES6_PlJNSB_9not_fun_tI7is_evenIsEEEEEE10hipError_tPvRmT3_T4_T5_T6_T7_T9_mT8_P12ihipStream_tbDpT10_ENKUlT_T0_E_clISt17integral_constantIbLb0EES17_IbLb1EEEEDaS13_S14_EUlS13_E_NS1_11comp_targetILNS1_3genE9ELNS1_11target_archE1100ELNS1_3gpuE3ELNS1_3repE0EEENS1_30default_config_static_selectorELNS0_4arch9wavefront6targetE0EEEvT1_,"axG",@progbits,_ZN7rocprim17ROCPRIM_400000_NS6detail17trampoline_kernelINS0_14default_configENS1_25partition_config_selectorILNS1_17partition_subalgoE6EsNS0_10empty_typeEbEEZZNS1_14partition_implILS5_6ELb0ES3_mN6thrust23THRUST_200600_302600_NS6detail15normal_iteratorINSA_10device_ptrIsEEEEPS6_SG_NS0_5tupleIJSF_S6_EEENSH_IJSG_SG_EEES6_PlJNSB_9not_fun_tI7is_evenIsEEEEEE10hipError_tPvRmT3_T4_T5_T6_T7_T9_mT8_P12ihipStream_tbDpT10_ENKUlT_T0_E_clISt17integral_constantIbLb0EES17_IbLb1EEEEDaS13_S14_EUlS13_E_NS1_11comp_targetILNS1_3genE9ELNS1_11target_archE1100ELNS1_3gpuE3ELNS1_3repE0EEENS1_30default_config_static_selectorELNS0_4arch9wavefront6targetE0EEEvT1_,comdat
	.protected	_ZN7rocprim17ROCPRIM_400000_NS6detail17trampoline_kernelINS0_14default_configENS1_25partition_config_selectorILNS1_17partition_subalgoE6EsNS0_10empty_typeEbEEZZNS1_14partition_implILS5_6ELb0ES3_mN6thrust23THRUST_200600_302600_NS6detail15normal_iteratorINSA_10device_ptrIsEEEEPS6_SG_NS0_5tupleIJSF_S6_EEENSH_IJSG_SG_EEES6_PlJNSB_9not_fun_tI7is_evenIsEEEEEE10hipError_tPvRmT3_T4_T5_T6_T7_T9_mT8_P12ihipStream_tbDpT10_ENKUlT_T0_E_clISt17integral_constantIbLb0EES17_IbLb1EEEEDaS13_S14_EUlS13_E_NS1_11comp_targetILNS1_3genE9ELNS1_11target_archE1100ELNS1_3gpuE3ELNS1_3repE0EEENS1_30default_config_static_selectorELNS0_4arch9wavefront6targetE0EEEvT1_ ; -- Begin function _ZN7rocprim17ROCPRIM_400000_NS6detail17trampoline_kernelINS0_14default_configENS1_25partition_config_selectorILNS1_17partition_subalgoE6EsNS0_10empty_typeEbEEZZNS1_14partition_implILS5_6ELb0ES3_mN6thrust23THRUST_200600_302600_NS6detail15normal_iteratorINSA_10device_ptrIsEEEEPS6_SG_NS0_5tupleIJSF_S6_EEENSH_IJSG_SG_EEES6_PlJNSB_9not_fun_tI7is_evenIsEEEEEE10hipError_tPvRmT3_T4_T5_T6_T7_T9_mT8_P12ihipStream_tbDpT10_ENKUlT_T0_E_clISt17integral_constantIbLb0EES17_IbLb1EEEEDaS13_S14_EUlS13_E_NS1_11comp_targetILNS1_3genE9ELNS1_11target_archE1100ELNS1_3gpuE3ELNS1_3repE0EEENS1_30default_config_static_selectorELNS0_4arch9wavefront6targetE0EEEvT1_
	.globl	_ZN7rocprim17ROCPRIM_400000_NS6detail17trampoline_kernelINS0_14default_configENS1_25partition_config_selectorILNS1_17partition_subalgoE6EsNS0_10empty_typeEbEEZZNS1_14partition_implILS5_6ELb0ES3_mN6thrust23THRUST_200600_302600_NS6detail15normal_iteratorINSA_10device_ptrIsEEEEPS6_SG_NS0_5tupleIJSF_S6_EEENSH_IJSG_SG_EEES6_PlJNSB_9not_fun_tI7is_evenIsEEEEEE10hipError_tPvRmT3_T4_T5_T6_T7_T9_mT8_P12ihipStream_tbDpT10_ENKUlT_T0_E_clISt17integral_constantIbLb0EES17_IbLb1EEEEDaS13_S14_EUlS13_E_NS1_11comp_targetILNS1_3genE9ELNS1_11target_archE1100ELNS1_3gpuE3ELNS1_3repE0EEENS1_30default_config_static_selectorELNS0_4arch9wavefront6targetE0EEEvT1_
	.p2align	8
	.type	_ZN7rocprim17ROCPRIM_400000_NS6detail17trampoline_kernelINS0_14default_configENS1_25partition_config_selectorILNS1_17partition_subalgoE6EsNS0_10empty_typeEbEEZZNS1_14partition_implILS5_6ELb0ES3_mN6thrust23THRUST_200600_302600_NS6detail15normal_iteratorINSA_10device_ptrIsEEEEPS6_SG_NS0_5tupleIJSF_S6_EEENSH_IJSG_SG_EEES6_PlJNSB_9not_fun_tI7is_evenIsEEEEEE10hipError_tPvRmT3_T4_T5_T6_T7_T9_mT8_P12ihipStream_tbDpT10_ENKUlT_T0_E_clISt17integral_constantIbLb0EES17_IbLb1EEEEDaS13_S14_EUlS13_E_NS1_11comp_targetILNS1_3genE9ELNS1_11target_archE1100ELNS1_3gpuE3ELNS1_3repE0EEENS1_30default_config_static_selectorELNS0_4arch9wavefront6targetE0EEEvT1_,@function
_ZN7rocprim17ROCPRIM_400000_NS6detail17trampoline_kernelINS0_14default_configENS1_25partition_config_selectorILNS1_17partition_subalgoE6EsNS0_10empty_typeEbEEZZNS1_14partition_implILS5_6ELb0ES3_mN6thrust23THRUST_200600_302600_NS6detail15normal_iteratorINSA_10device_ptrIsEEEEPS6_SG_NS0_5tupleIJSF_S6_EEENSH_IJSG_SG_EEES6_PlJNSB_9not_fun_tI7is_evenIsEEEEEE10hipError_tPvRmT3_T4_T5_T6_T7_T9_mT8_P12ihipStream_tbDpT10_ENKUlT_T0_E_clISt17integral_constantIbLb0EES17_IbLb1EEEEDaS13_S14_EUlS13_E_NS1_11comp_targetILNS1_3genE9ELNS1_11target_archE1100ELNS1_3gpuE3ELNS1_3repE0EEENS1_30default_config_static_selectorELNS0_4arch9wavefront6targetE0EEEvT1_: ; @_ZN7rocprim17ROCPRIM_400000_NS6detail17trampoline_kernelINS0_14default_configENS1_25partition_config_selectorILNS1_17partition_subalgoE6EsNS0_10empty_typeEbEEZZNS1_14partition_implILS5_6ELb0ES3_mN6thrust23THRUST_200600_302600_NS6detail15normal_iteratorINSA_10device_ptrIsEEEEPS6_SG_NS0_5tupleIJSF_S6_EEENSH_IJSG_SG_EEES6_PlJNSB_9not_fun_tI7is_evenIsEEEEEE10hipError_tPvRmT3_T4_T5_T6_T7_T9_mT8_P12ihipStream_tbDpT10_ENKUlT_T0_E_clISt17integral_constantIbLb0EES17_IbLb1EEEEDaS13_S14_EUlS13_E_NS1_11comp_targetILNS1_3genE9ELNS1_11target_archE1100ELNS1_3gpuE3ELNS1_3repE0EEENS1_30default_config_static_selectorELNS0_4arch9wavefront6targetE0EEEvT1_
; %bb.0:
	.section	.rodata,"a",@progbits
	.p2align	6, 0x0
	.amdhsa_kernel _ZN7rocprim17ROCPRIM_400000_NS6detail17trampoline_kernelINS0_14default_configENS1_25partition_config_selectorILNS1_17partition_subalgoE6EsNS0_10empty_typeEbEEZZNS1_14partition_implILS5_6ELb0ES3_mN6thrust23THRUST_200600_302600_NS6detail15normal_iteratorINSA_10device_ptrIsEEEEPS6_SG_NS0_5tupleIJSF_S6_EEENSH_IJSG_SG_EEES6_PlJNSB_9not_fun_tI7is_evenIsEEEEEE10hipError_tPvRmT3_T4_T5_T6_T7_T9_mT8_P12ihipStream_tbDpT10_ENKUlT_T0_E_clISt17integral_constantIbLb0EES17_IbLb1EEEEDaS13_S14_EUlS13_E_NS1_11comp_targetILNS1_3genE9ELNS1_11target_archE1100ELNS1_3gpuE3ELNS1_3repE0EEENS1_30default_config_static_selectorELNS0_4arch9wavefront6targetE0EEEvT1_
		.amdhsa_group_segment_fixed_size 0
		.amdhsa_private_segment_fixed_size 0
		.amdhsa_kernarg_size 128
		.amdhsa_user_sgpr_count 2
		.amdhsa_user_sgpr_dispatch_ptr 0
		.amdhsa_user_sgpr_queue_ptr 0
		.amdhsa_user_sgpr_kernarg_segment_ptr 1
		.amdhsa_user_sgpr_dispatch_id 0
		.amdhsa_user_sgpr_private_segment_size 0
		.amdhsa_wavefront_size32 1
		.amdhsa_uses_dynamic_stack 0
		.amdhsa_enable_private_segment 0
		.amdhsa_system_sgpr_workgroup_id_x 1
		.amdhsa_system_sgpr_workgroup_id_y 0
		.amdhsa_system_sgpr_workgroup_id_z 0
		.amdhsa_system_sgpr_workgroup_info 0
		.amdhsa_system_vgpr_workitem_id 0
		.amdhsa_next_free_vgpr 1
		.amdhsa_next_free_sgpr 1
		.amdhsa_reserve_vcc 0
		.amdhsa_float_round_mode_32 0
		.amdhsa_float_round_mode_16_64 0
		.amdhsa_float_denorm_mode_32 3
		.amdhsa_float_denorm_mode_16_64 3
		.amdhsa_fp16_overflow 0
		.amdhsa_workgroup_processor_mode 1
		.amdhsa_memory_ordered 1
		.amdhsa_forward_progress 1
		.amdhsa_inst_pref_size 0
		.amdhsa_round_robin_scheduling 0
		.amdhsa_exception_fp_ieee_invalid_op 0
		.amdhsa_exception_fp_denorm_src 0
		.amdhsa_exception_fp_ieee_div_zero 0
		.amdhsa_exception_fp_ieee_overflow 0
		.amdhsa_exception_fp_ieee_underflow 0
		.amdhsa_exception_fp_ieee_inexact 0
		.amdhsa_exception_int_div_zero 0
	.end_amdhsa_kernel
	.section	.text._ZN7rocprim17ROCPRIM_400000_NS6detail17trampoline_kernelINS0_14default_configENS1_25partition_config_selectorILNS1_17partition_subalgoE6EsNS0_10empty_typeEbEEZZNS1_14partition_implILS5_6ELb0ES3_mN6thrust23THRUST_200600_302600_NS6detail15normal_iteratorINSA_10device_ptrIsEEEEPS6_SG_NS0_5tupleIJSF_S6_EEENSH_IJSG_SG_EEES6_PlJNSB_9not_fun_tI7is_evenIsEEEEEE10hipError_tPvRmT3_T4_T5_T6_T7_T9_mT8_P12ihipStream_tbDpT10_ENKUlT_T0_E_clISt17integral_constantIbLb0EES17_IbLb1EEEEDaS13_S14_EUlS13_E_NS1_11comp_targetILNS1_3genE9ELNS1_11target_archE1100ELNS1_3gpuE3ELNS1_3repE0EEENS1_30default_config_static_selectorELNS0_4arch9wavefront6targetE0EEEvT1_,"axG",@progbits,_ZN7rocprim17ROCPRIM_400000_NS6detail17trampoline_kernelINS0_14default_configENS1_25partition_config_selectorILNS1_17partition_subalgoE6EsNS0_10empty_typeEbEEZZNS1_14partition_implILS5_6ELb0ES3_mN6thrust23THRUST_200600_302600_NS6detail15normal_iteratorINSA_10device_ptrIsEEEEPS6_SG_NS0_5tupleIJSF_S6_EEENSH_IJSG_SG_EEES6_PlJNSB_9not_fun_tI7is_evenIsEEEEEE10hipError_tPvRmT3_T4_T5_T6_T7_T9_mT8_P12ihipStream_tbDpT10_ENKUlT_T0_E_clISt17integral_constantIbLb0EES17_IbLb1EEEEDaS13_S14_EUlS13_E_NS1_11comp_targetILNS1_3genE9ELNS1_11target_archE1100ELNS1_3gpuE3ELNS1_3repE0EEENS1_30default_config_static_selectorELNS0_4arch9wavefront6targetE0EEEvT1_,comdat
.Lfunc_end787:
	.size	_ZN7rocprim17ROCPRIM_400000_NS6detail17trampoline_kernelINS0_14default_configENS1_25partition_config_selectorILNS1_17partition_subalgoE6EsNS0_10empty_typeEbEEZZNS1_14partition_implILS5_6ELb0ES3_mN6thrust23THRUST_200600_302600_NS6detail15normal_iteratorINSA_10device_ptrIsEEEEPS6_SG_NS0_5tupleIJSF_S6_EEENSH_IJSG_SG_EEES6_PlJNSB_9not_fun_tI7is_evenIsEEEEEE10hipError_tPvRmT3_T4_T5_T6_T7_T9_mT8_P12ihipStream_tbDpT10_ENKUlT_T0_E_clISt17integral_constantIbLb0EES17_IbLb1EEEEDaS13_S14_EUlS13_E_NS1_11comp_targetILNS1_3genE9ELNS1_11target_archE1100ELNS1_3gpuE3ELNS1_3repE0EEENS1_30default_config_static_selectorELNS0_4arch9wavefront6targetE0EEEvT1_, .Lfunc_end787-_ZN7rocprim17ROCPRIM_400000_NS6detail17trampoline_kernelINS0_14default_configENS1_25partition_config_selectorILNS1_17partition_subalgoE6EsNS0_10empty_typeEbEEZZNS1_14partition_implILS5_6ELb0ES3_mN6thrust23THRUST_200600_302600_NS6detail15normal_iteratorINSA_10device_ptrIsEEEEPS6_SG_NS0_5tupleIJSF_S6_EEENSH_IJSG_SG_EEES6_PlJNSB_9not_fun_tI7is_evenIsEEEEEE10hipError_tPvRmT3_T4_T5_T6_T7_T9_mT8_P12ihipStream_tbDpT10_ENKUlT_T0_E_clISt17integral_constantIbLb0EES17_IbLb1EEEEDaS13_S14_EUlS13_E_NS1_11comp_targetILNS1_3genE9ELNS1_11target_archE1100ELNS1_3gpuE3ELNS1_3repE0EEENS1_30default_config_static_selectorELNS0_4arch9wavefront6targetE0EEEvT1_
                                        ; -- End function
	.set _ZN7rocprim17ROCPRIM_400000_NS6detail17trampoline_kernelINS0_14default_configENS1_25partition_config_selectorILNS1_17partition_subalgoE6EsNS0_10empty_typeEbEEZZNS1_14partition_implILS5_6ELb0ES3_mN6thrust23THRUST_200600_302600_NS6detail15normal_iteratorINSA_10device_ptrIsEEEEPS6_SG_NS0_5tupleIJSF_S6_EEENSH_IJSG_SG_EEES6_PlJNSB_9not_fun_tI7is_evenIsEEEEEE10hipError_tPvRmT3_T4_T5_T6_T7_T9_mT8_P12ihipStream_tbDpT10_ENKUlT_T0_E_clISt17integral_constantIbLb0EES17_IbLb1EEEEDaS13_S14_EUlS13_E_NS1_11comp_targetILNS1_3genE9ELNS1_11target_archE1100ELNS1_3gpuE3ELNS1_3repE0EEENS1_30default_config_static_selectorELNS0_4arch9wavefront6targetE0EEEvT1_.num_vgpr, 0
	.set _ZN7rocprim17ROCPRIM_400000_NS6detail17trampoline_kernelINS0_14default_configENS1_25partition_config_selectorILNS1_17partition_subalgoE6EsNS0_10empty_typeEbEEZZNS1_14partition_implILS5_6ELb0ES3_mN6thrust23THRUST_200600_302600_NS6detail15normal_iteratorINSA_10device_ptrIsEEEEPS6_SG_NS0_5tupleIJSF_S6_EEENSH_IJSG_SG_EEES6_PlJNSB_9not_fun_tI7is_evenIsEEEEEE10hipError_tPvRmT3_T4_T5_T6_T7_T9_mT8_P12ihipStream_tbDpT10_ENKUlT_T0_E_clISt17integral_constantIbLb0EES17_IbLb1EEEEDaS13_S14_EUlS13_E_NS1_11comp_targetILNS1_3genE9ELNS1_11target_archE1100ELNS1_3gpuE3ELNS1_3repE0EEENS1_30default_config_static_selectorELNS0_4arch9wavefront6targetE0EEEvT1_.num_agpr, 0
	.set _ZN7rocprim17ROCPRIM_400000_NS6detail17trampoline_kernelINS0_14default_configENS1_25partition_config_selectorILNS1_17partition_subalgoE6EsNS0_10empty_typeEbEEZZNS1_14partition_implILS5_6ELb0ES3_mN6thrust23THRUST_200600_302600_NS6detail15normal_iteratorINSA_10device_ptrIsEEEEPS6_SG_NS0_5tupleIJSF_S6_EEENSH_IJSG_SG_EEES6_PlJNSB_9not_fun_tI7is_evenIsEEEEEE10hipError_tPvRmT3_T4_T5_T6_T7_T9_mT8_P12ihipStream_tbDpT10_ENKUlT_T0_E_clISt17integral_constantIbLb0EES17_IbLb1EEEEDaS13_S14_EUlS13_E_NS1_11comp_targetILNS1_3genE9ELNS1_11target_archE1100ELNS1_3gpuE3ELNS1_3repE0EEENS1_30default_config_static_selectorELNS0_4arch9wavefront6targetE0EEEvT1_.numbered_sgpr, 0
	.set _ZN7rocprim17ROCPRIM_400000_NS6detail17trampoline_kernelINS0_14default_configENS1_25partition_config_selectorILNS1_17partition_subalgoE6EsNS0_10empty_typeEbEEZZNS1_14partition_implILS5_6ELb0ES3_mN6thrust23THRUST_200600_302600_NS6detail15normal_iteratorINSA_10device_ptrIsEEEEPS6_SG_NS0_5tupleIJSF_S6_EEENSH_IJSG_SG_EEES6_PlJNSB_9not_fun_tI7is_evenIsEEEEEE10hipError_tPvRmT3_T4_T5_T6_T7_T9_mT8_P12ihipStream_tbDpT10_ENKUlT_T0_E_clISt17integral_constantIbLb0EES17_IbLb1EEEEDaS13_S14_EUlS13_E_NS1_11comp_targetILNS1_3genE9ELNS1_11target_archE1100ELNS1_3gpuE3ELNS1_3repE0EEENS1_30default_config_static_selectorELNS0_4arch9wavefront6targetE0EEEvT1_.num_named_barrier, 0
	.set _ZN7rocprim17ROCPRIM_400000_NS6detail17trampoline_kernelINS0_14default_configENS1_25partition_config_selectorILNS1_17partition_subalgoE6EsNS0_10empty_typeEbEEZZNS1_14partition_implILS5_6ELb0ES3_mN6thrust23THRUST_200600_302600_NS6detail15normal_iteratorINSA_10device_ptrIsEEEEPS6_SG_NS0_5tupleIJSF_S6_EEENSH_IJSG_SG_EEES6_PlJNSB_9not_fun_tI7is_evenIsEEEEEE10hipError_tPvRmT3_T4_T5_T6_T7_T9_mT8_P12ihipStream_tbDpT10_ENKUlT_T0_E_clISt17integral_constantIbLb0EES17_IbLb1EEEEDaS13_S14_EUlS13_E_NS1_11comp_targetILNS1_3genE9ELNS1_11target_archE1100ELNS1_3gpuE3ELNS1_3repE0EEENS1_30default_config_static_selectorELNS0_4arch9wavefront6targetE0EEEvT1_.private_seg_size, 0
	.set _ZN7rocprim17ROCPRIM_400000_NS6detail17trampoline_kernelINS0_14default_configENS1_25partition_config_selectorILNS1_17partition_subalgoE6EsNS0_10empty_typeEbEEZZNS1_14partition_implILS5_6ELb0ES3_mN6thrust23THRUST_200600_302600_NS6detail15normal_iteratorINSA_10device_ptrIsEEEEPS6_SG_NS0_5tupleIJSF_S6_EEENSH_IJSG_SG_EEES6_PlJNSB_9not_fun_tI7is_evenIsEEEEEE10hipError_tPvRmT3_T4_T5_T6_T7_T9_mT8_P12ihipStream_tbDpT10_ENKUlT_T0_E_clISt17integral_constantIbLb0EES17_IbLb1EEEEDaS13_S14_EUlS13_E_NS1_11comp_targetILNS1_3genE9ELNS1_11target_archE1100ELNS1_3gpuE3ELNS1_3repE0EEENS1_30default_config_static_selectorELNS0_4arch9wavefront6targetE0EEEvT1_.uses_vcc, 0
	.set _ZN7rocprim17ROCPRIM_400000_NS6detail17trampoline_kernelINS0_14default_configENS1_25partition_config_selectorILNS1_17partition_subalgoE6EsNS0_10empty_typeEbEEZZNS1_14partition_implILS5_6ELb0ES3_mN6thrust23THRUST_200600_302600_NS6detail15normal_iteratorINSA_10device_ptrIsEEEEPS6_SG_NS0_5tupleIJSF_S6_EEENSH_IJSG_SG_EEES6_PlJNSB_9not_fun_tI7is_evenIsEEEEEE10hipError_tPvRmT3_T4_T5_T6_T7_T9_mT8_P12ihipStream_tbDpT10_ENKUlT_T0_E_clISt17integral_constantIbLb0EES17_IbLb1EEEEDaS13_S14_EUlS13_E_NS1_11comp_targetILNS1_3genE9ELNS1_11target_archE1100ELNS1_3gpuE3ELNS1_3repE0EEENS1_30default_config_static_selectorELNS0_4arch9wavefront6targetE0EEEvT1_.uses_flat_scratch, 0
	.set _ZN7rocprim17ROCPRIM_400000_NS6detail17trampoline_kernelINS0_14default_configENS1_25partition_config_selectorILNS1_17partition_subalgoE6EsNS0_10empty_typeEbEEZZNS1_14partition_implILS5_6ELb0ES3_mN6thrust23THRUST_200600_302600_NS6detail15normal_iteratorINSA_10device_ptrIsEEEEPS6_SG_NS0_5tupleIJSF_S6_EEENSH_IJSG_SG_EEES6_PlJNSB_9not_fun_tI7is_evenIsEEEEEE10hipError_tPvRmT3_T4_T5_T6_T7_T9_mT8_P12ihipStream_tbDpT10_ENKUlT_T0_E_clISt17integral_constantIbLb0EES17_IbLb1EEEEDaS13_S14_EUlS13_E_NS1_11comp_targetILNS1_3genE9ELNS1_11target_archE1100ELNS1_3gpuE3ELNS1_3repE0EEENS1_30default_config_static_selectorELNS0_4arch9wavefront6targetE0EEEvT1_.has_dyn_sized_stack, 0
	.set _ZN7rocprim17ROCPRIM_400000_NS6detail17trampoline_kernelINS0_14default_configENS1_25partition_config_selectorILNS1_17partition_subalgoE6EsNS0_10empty_typeEbEEZZNS1_14partition_implILS5_6ELb0ES3_mN6thrust23THRUST_200600_302600_NS6detail15normal_iteratorINSA_10device_ptrIsEEEEPS6_SG_NS0_5tupleIJSF_S6_EEENSH_IJSG_SG_EEES6_PlJNSB_9not_fun_tI7is_evenIsEEEEEE10hipError_tPvRmT3_T4_T5_T6_T7_T9_mT8_P12ihipStream_tbDpT10_ENKUlT_T0_E_clISt17integral_constantIbLb0EES17_IbLb1EEEEDaS13_S14_EUlS13_E_NS1_11comp_targetILNS1_3genE9ELNS1_11target_archE1100ELNS1_3gpuE3ELNS1_3repE0EEENS1_30default_config_static_selectorELNS0_4arch9wavefront6targetE0EEEvT1_.has_recursion, 0
	.set _ZN7rocprim17ROCPRIM_400000_NS6detail17trampoline_kernelINS0_14default_configENS1_25partition_config_selectorILNS1_17partition_subalgoE6EsNS0_10empty_typeEbEEZZNS1_14partition_implILS5_6ELb0ES3_mN6thrust23THRUST_200600_302600_NS6detail15normal_iteratorINSA_10device_ptrIsEEEEPS6_SG_NS0_5tupleIJSF_S6_EEENSH_IJSG_SG_EEES6_PlJNSB_9not_fun_tI7is_evenIsEEEEEE10hipError_tPvRmT3_T4_T5_T6_T7_T9_mT8_P12ihipStream_tbDpT10_ENKUlT_T0_E_clISt17integral_constantIbLb0EES17_IbLb1EEEEDaS13_S14_EUlS13_E_NS1_11comp_targetILNS1_3genE9ELNS1_11target_archE1100ELNS1_3gpuE3ELNS1_3repE0EEENS1_30default_config_static_selectorELNS0_4arch9wavefront6targetE0EEEvT1_.has_indirect_call, 0
	.section	.AMDGPU.csdata,"",@progbits
; Kernel info:
; codeLenInByte = 0
; TotalNumSgprs: 0
; NumVgprs: 0
; ScratchSize: 0
; MemoryBound: 0
; FloatMode: 240
; IeeeMode: 1
; LDSByteSize: 0 bytes/workgroup (compile time only)
; SGPRBlocks: 0
; VGPRBlocks: 0
; NumSGPRsForWavesPerEU: 1
; NumVGPRsForWavesPerEU: 1
; Occupancy: 16
; WaveLimiterHint : 0
; COMPUTE_PGM_RSRC2:SCRATCH_EN: 0
; COMPUTE_PGM_RSRC2:USER_SGPR: 2
; COMPUTE_PGM_RSRC2:TRAP_HANDLER: 0
; COMPUTE_PGM_RSRC2:TGID_X_EN: 1
; COMPUTE_PGM_RSRC2:TGID_Y_EN: 0
; COMPUTE_PGM_RSRC2:TGID_Z_EN: 0
; COMPUTE_PGM_RSRC2:TIDIG_COMP_CNT: 0
	.section	.text._ZN7rocprim17ROCPRIM_400000_NS6detail17trampoline_kernelINS0_14default_configENS1_25partition_config_selectorILNS1_17partition_subalgoE6EsNS0_10empty_typeEbEEZZNS1_14partition_implILS5_6ELb0ES3_mN6thrust23THRUST_200600_302600_NS6detail15normal_iteratorINSA_10device_ptrIsEEEEPS6_SG_NS0_5tupleIJSF_S6_EEENSH_IJSG_SG_EEES6_PlJNSB_9not_fun_tI7is_evenIsEEEEEE10hipError_tPvRmT3_T4_T5_T6_T7_T9_mT8_P12ihipStream_tbDpT10_ENKUlT_T0_E_clISt17integral_constantIbLb0EES17_IbLb1EEEEDaS13_S14_EUlS13_E_NS1_11comp_targetILNS1_3genE8ELNS1_11target_archE1030ELNS1_3gpuE2ELNS1_3repE0EEENS1_30default_config_static_selectorELNS0_4arch9wavefront6targetE0EEEvT1_,"axG",@progbits,_ZN7rocprim17ROCPRIM_400000_NS6detail17trampoline_kernelINS0_14default_configENS1_25partition_config_selectorILNS1_17partition_subalgoE6EsNS0_10empty_typeEbEEZZNS1_14partition_implILS5_6ELb0ES3_mN6thrust23THRUST_200600_302600_NS6detail15normal_iteratorINSA_10device_ptrIsEEEEPS6_SG_NS0_5tupleIJSF_S6_EEENSH_IJSG_SG_EEES6_PlJNSB_9not_fun_tI7is_evenIsEEEEEE10hipError_tPvRmT3_T4_T5_T6_T7_T9_mT8_P12ihipStream_tbDpT10_ENKUlT_T0_E_clISt17integral_constantIbLb0EES17_IbLb1EEEEDaS13_S14_EUlS13_E_NS1_11comp_targetILNS1_3genE8ELNS1_11target_archE1030ELNS1_3gpuE2ELNS1_3repE0EEENS1_30default_config_static_selectorELNS0_4arch9wavefront6targetE0EEEvT1_,comdat
	.protected	_ZN7rocprim17ROCPRIM_400000_NS6detail17trampoline_kernelINS0_14default_configENS1_25partition_config_selectorILNS1_17partition_subalgoE6EsNS0_10empty_typeEbEEZZNS1_14partition_implILS5_6ELb0ES3_mN6thrust23THRUST_200600_302600_NS6detail15normal_iteratorINSA_10device_ptrIsEEEEPS6_SG_NS0_5tupleIJSF_S6_EEENSH_IJSG_SG_EEES6_PlJNSB_9not_fun_tI7is_evenIsEEEEEE10hipError_tPvRmT3_T4_T5_T6_T7_T9_mT8_P12ihipStream_tbDpT10_ENKUlT_T0_E_clISt17integral_constantIbLb0EES17_IbLb1EEEEDaS13_S14_EUlS13_E_NS1_11comp_targetILNS1_3genE8ELNS1_11target_archE1030ELNS1_3gpuE2ELNS1_3repE0EEENS1_30default_config_static_selectorELNS0_4arch9wavefront6targetE0EEEvT1_ ; -- Begin function _ZN7rocprim17ROCPRIM_400000_NS6detail17trampoline_kernelINS0_14default_configENS1_25partition_config_selectorILNS1_17partition_subalgoE6EsNS0_10empty_typeEbEEZZNS1_14partition_implILS5_6ELb0ES3_mN6thrust23THRUST_200600_302600_NS6detail15normal_iteratorINSA_10device_ptrIsEEEEPS6_SG_NS0_5tupleIJSF_S6_EEENSH_IJSG_SG_EEES6_PlJNSB_9not_fun_tI7is_evenIsEEEEEE10hipError_tPvRmT3_T4_T5_T6_T7_T9_mT8_P12ihipStream_tbDpT10_ENKUlT_T0_E_clISt17integral_constantIbLb0EES17_IbLb1EEEEDaS13_S14_EUlS13_E_NS1_11comp_targetILNS1_3genE8ELNS1_11target_archE1030ELNS1_3gpuE2ELNS1_3repE0EEENS1_30default_config_static_selectorELNS0_4arch9wavefront6targetE0EEEvT1_
	.globl	_ZN7rocprim17ROCPRIM_400000_NS6detail17trampoline_kernelINS0_14default_configENS1_25partition_config_selectorILNS1_17partition_subalgoE6EsNS0_10empty_typeEbEEZZNS1_14partition_implILS5_6ELb0ES3_mN6thrust23THRUST_200600_302600_NS6detail15normal_iteratorINSA_10device_ptrIsEEEEPS6_SG_NS0_5tupleIJSF_S6_EEENSH_IJSG_SG_EEES6_PlJNSB_9not_fun_tI7is_evenIsEEEEEE10hipError_tPvRmT3_T4_T5_T6_T7_T9_mT8_P12ihipStream_tbDpT10_ENKUlT_T0_E_clISt17integral_constantIbLb0EES17_IbLb1EEEEDaS13_S14_EUlS13_E_NS1_11comp_targetILNS1_3genE8ELNS1_11target_archE1030ELNS1_3gpuE2ELNS1_3repE0EEENS1_30default_config_static_selectorELNS0_4arch9wavefront6targetE0EEEvT1_
	.p2align	8
	.type	_ZN7rocprim17ROCPRIM_400000_NS6detail17trampoline_kernelINS0_14default_configENS1_25partition_config_selectorILNS1_17partition_subalgoE6EsNS0_10empty_typeEbEEZZNS1_14partition_implILS5_6ELb0ES3_mN6thrust23THRUST_200600_302600_NS6detail15normal_iteratorINSA_10device_ptrIsEEEEPS6_SG_NS0_5tupleIJSF_S6_EEENSH_IJSG_SG_EEES6_PlJNSB_9not_fun_tI7is_evenIsEEEEEE10hipError_tPvRmT3_T4_T5_T6_T7_T9_mT8_P12ihipStream_tbDpT10_ENKUlT_T0_E_clISt17integral_constantIbLb0EES17_IbLb1EEEEDaS13_S14_EUlS13_E_NS1_11comp_targetILNS1_3genE8ELNS1_11target_archE1030ELNS1_3gpuE2ELNS1_3repE0EEENS1_30default_config_static_selectorELNS0_4arch9wavefront6targetE0EEEvT1_,@function
_ZN7rocprim17ROCPRIM_400000_NS6detail17trampoline_kernelINS0_14default_configENS1_25partition_config_selectorILNS1_17partition_subalgoE6EsNS0_10empty_typeEbEEZZNS1_14partition_implILS5_6ELb0ES3_mN6thrust23THRUST_200600_302600_NS6detail15normal_iteratorINSA_10device_ptrIsEEEEPS6_SG_NS0_5tupleIJSF_S6_EEENSH_IJSG_SG_EEES6_PlJNSB_9not_fun_tI7is_evenIsEEEEEE10hipError_tPvRmT3_T4_T5_T6_T7_T9_mT8_P12ihipStream_tbDpT10_ENKUlT_T0_E_clISt17integral_constantIbLb0EES17_IbLb1EEEEDaS13_S14_EUlS13_E_NS1_11comp_targetILNS1_3genE8ELNS1_11target_archE1030ELNS1_3gpuE2ELNS1_3repE0EEENS1_30default_config_static_selectorELNS0_4arch9wavefront6targetE0EEEvT1_: ; @_ZN7rocprim17ROCPRIM_400000_NS6detail17trampoline_kernelINS0_14default_configENS1_25partition_config_selectorILNS1_17partition_subalgoE6EsNS0_10empty_typeEbEEZZNS1_14partition_implILS5_6ELb0ES3_mN6thrust23THRUST_200600_302600_NS6detail15normal_iteratorINSA_10device_ptrIsEEEEPS6_SG_NS0_5tupleIJSF_S6_EEENSH_IJSG_SG_EEES6_PlJNSB_9not_fun_tI7is_evenIsEEEEEE10hipError_tPvRmT3_T4_T5_T6_T7_T9_mT8_P12ihipStream_tbDpT10_ENKUlT_T0_E_clISt17integral_constantIbLb0EES17_IbLb1EEEEDaS13_S14_EUlS13_E_NS1_11comp_targetILNS1_3genE8ELNS1_11target_archE1030ELNS1_3gpuE2ELNS1_3repE0EEENS1_30default_config_static_selectorELNS0_4arch9wavefront6targetE0EEEvT1_
; %bb.0:
	.section	.rodata,"a",@progbits
	.p2align	6, 0x0
	.amdhsa_kernel _ZN7rocprim17ROCPRIM_400000_NS6detail17trampoline_kernelINS0_14default_configENS1_25partition_config_selectorILNS1_17partition_subalgoE6EsNS0_10empty_typeEbEEZZNS1_14partition_implILS5_6ELb0ES3_mN6thrust23THRUST_200600_302600_NS6detail15normal_iteratorINSA_10device_ptrIsEEEEPS6_SG_NS0_5tupleIJSF_S6_EEENSH_IJSG_SG_EEES6_PlJNSB_9not_fun_tI7is_evenIsEEEEEE10hipError_tPvRmT3_T4_T5_T6_T7_T9_mT8_P12ihipStream_tbDpT10_ENKUlT_T0_E_clISt17integral_constantIbLb0EES17_IbLb1EEEEDaS13_S14_EUlS13_E_NS1_11comp_targetILNS1_3genE8ELNS1_11target_archE1030ELNS1_3gpuE2ELNS1_3repE0EEENS1_30default_config_static_selectorELNS0_4arch9wavefront6targetE0EEEvT1_
		.amdhsa_group_segment_fixed_size 0
		.amdhsa_private_segment_fixed_size 0
		.amdhsa_kernarg_size 128
		.amdhsa_user_sgpr_count 2
		.amdhsa_user_sgpr_dispatch_ptr 0
		.amdhsa_user_sgpr_queue_ptr 0
		.amdhsa_user_sgpr_kernarg_segment_ptr 1
		.amdhsa_user_sgpr_dispatch_id 0
		.amdhsa_user_sgpr_private_segment_size 0
		.amdhsa_wavefront_size32 1
		.amdhsa_uses_dynamic_stack 0
		.amdhsa_enable_private_segment 0
		.amdhsa_system_sgpr_workgroup_id_x 1
		.amdhsa_system_sgpr_workgroup_id_y 0
		.amdhsa_system_sgpr_workgroup_id_z 0
		.amdhsa_system_sgpr_workgroup_info 0
		.amdhsa_system_vgpr_workitem_id 0
		.amdhsa_next_free_vgpr 1
		.amdhsa_next_free_sgpr 1
		.amdhsa_reserve_vcc 0
		.amdhsa_float_round_mode_32 0
		.amdhsa_float_round_mode_16_64 0
		.amdhsa_float_denorm_mode_32 3
		.amdhsa_float_denorm_mode_16_64 3
		.amdhsa_fp16_overflow 0
		.amdhsa_workgroup_processor_mode 1
		.amdhsa_memory_ordered 1
		.amdhsa_forward_progress 1
		.amdhsa_inst_pref_size 0
		.amdhsa_round_robin_scheduling 0
		.amdhsa_exception_fp_ieee_invalid_op 0
		.amdhsa_exception_fp_denorm_src 0
		.amdhsa_exception_fp_ieee_div_zero 0
		.amdhsa_exception_fp_ieee_overflow 0
		.amdhsa_exception_fp_ieee_underflow 0
		.amdhsa_exception_fp_ieee_inexact 0
		.amdhsa_exception_int_div_zero 0
	.end_amdhsa_kernel
	.section	.text._ZN7rocprim17ROCPRIM_400000_NS6detail17trampoline_kernelINS0_14default_configENS1_25partition_config_selectorILNS1_17partition_subalgoE6EsNS0_10empty_typeEbEEZZNS1_14partition_implILS5_6ELb0ES3_mN6thrust23THRUST_200600_302600_NS6detail15normal_iteratorINSA_10device_ptrIsEEEEPS6_SG_NS0_5tupleIJSF_S6_EEENSH_IJSG_SG_EEES6_PlJNSB_9not_fun_tI7is_evenIsEEEEEE10hipError_tPvRmT3_T4_T5_T6_T7_T9_mT8_P12ihipStream_tbDpT10_ENKUlT_T0_E_clISt17integral_constantIbLb0EES17_IbLb1EEEEDaS13_S14_EUlS13_E_NS1_11comp_targetILNS1_3genE8ELNS1_11target_archE1030ELNS1_3gpuE2ELNS1_3repE0EEENS1_30default_config_static_selectorELNS0_4arch9wavefront6targetE0EEEvT1_,"axG",@progbits,_ZN7rocprim17ROCPRIM_400000_NS6detail17trampoline_kernelINS0_14default_configENS1_25partition_config_selectorILNS1_17partition_subalgoE6EsNS0_10empty_typeEbEEZZNS1_14partition_implILS5_6ELb0ES3_mN6thrust23THRUST_200600_302600_NS6detail15normal_iteratorINSA_10device_ptrIsEEEEPS6_SG_NS0_5tupleIJSF_S6_EEENSH_IJSG_SG_EEES6_PlJNSB_9not_fun_tI7is_evenIsEEEEEE10hipError_tPvRmT3_T4_T5_T6_T7_T9_mT8_P12ihipStream_tbDpT10_ENKUlT_T0_E_clISt17integral_constantIbLb0EES17_IbLb1EEEEDaS13_S14_EUlS13_E_NS1_11comp_targetILNS1_3genE8ELNS1_11target_archE1030ELNS1_3gpuE2ELNS1_3repE0EEENS1_30default_config_static_selectorELNS0_4arch9wavefront6targetE0EEEvT1_,comdat
.Lfunc_end788:
	.size	_ZN7rocprim17ROCPRIM_400000_NS6detail17trampoline_kernelINS0_14default_configENS1_25partition_config_selectorILNS1_17partition_subalgoE6EsNS0_10empty_typeEbEEZZNS1_14partition_implILS5_6ELb0ES3_mN6thrust23THRUST_200600_302600_NS6detail15normal_iteratorINSA_10device_ptrIsEEEEPS6_SG_NS0_5tupleIJSF_S6_EEENSH_IJSG_SG_EEES6_PlJNSB_9not_fun_tI7is_evenIsEEEEEE10hipError_tPvRmT3_T4_T5_T6_T7_T9_mT8_P12ihipStream_tbDpT10_ENKUlT_T0_E_clISt17integral_constantIbLb0EES17_IbLb1EEEEDaS13_S14_EUlS13_E_NS1_11comp_targetILNS1_3genE8ELNS1_11target_archE1030ELNS1_3gpuE2ELNS1_3repE0EEENS1_30default_config_static_selectorELNS0_4arch9wavefront6targetE0EEEvT1_, .Lfunc_end788-_ZN7rocprim17ROCPRIM_400000_NS6detail17trampoline_kernelINS0_14default_configENS1_25partition_config_selectorILNS1_17partition_subalgoE6EsNS0_10empty_typeEbEEZZNS1_14partition_implILS5_6ELb0ES3_mN6thrust23THRUST_200600_302600_NS6detail15normal_iteratorINSA_10device_ptrIsEEEEPS6_SG_NS0_5tupleIJSF_S6_EEENSH_IJSG_SG_EEES6_PlJNSB_9not_fun_tI7is_evenIsEEEEEE10hipError_tPvRmT3_T4_T5_T6_T7_T9_mT8_P12ihipStream_tbDpT10_ENKUlT_T0_E_clISt17integral_constantIbLb0EES17_IbLb1EEEEDaS13_S14_EUlS13_E_NS1_11comp_targetILNS1_3genE8ELNS1_11target_archE1030ELNS1_3gpuE2ELNS1_3repE0EEENS1_30default_config_static_selectorELNS0_4arch9wavefront6targetE0EEEvT1_
                                        ; -- End function
	.set _ZN7rocprim17ROCPRIM_400000_NS6detail17trampoline_kernelINS0_14default_configENS1_25partition_config_selectorILNS1_17partition_subalgoE6EsNS0_10empty_typeEbEEZZNS1_14partition_implILS5_6ELb0ES3_mN6thrust23THRUST_200600_302600_NS6detail15normal_iteratorINSA_10device_ptrIsEEEEPS6_SG_NS0_5tupleIJSF_S6_EEENSH_IJSG_SG_EEES6_PlJNSB_9not_fun_tI7is_evenIsEEEEEE10hipError_tPvRmT3_T4_T5_T6_T7_T9_mT8_P12ihipStream_tbDpT10_ENKUlT_T0_E_clISt17integral_constantIbLb0EES17_IbLb1EEEEDaS13_S14_EUlS13_E_NS1_11comp_targetILNS1_3genE8ELNS1_11target_archE1030ELNS1_3gpuE2ELNS1_3repE0EEENS1_30default_config_static_selectorELNS0_4arch9wavefront6targetE0EEEvT1_.num_vgpr, 0
	.set _ZN7rocprim17ROCPRIM_400000_NS6detail17trampoline_kernelINS0_14default_configENS1_25partition_config_selectorILNS1_17partition_subalgoE6EsNS0_10empty_typeEbEEZZNS1_14partition_implILS5_6ELb0ES3_mN6thrust23THRUST_200600_302600_NS6detail15normal_iteratorINSA_10device_ptrIsEEEEPS6_SG_NS0_5tupleIJSF_S6_EEENSH_IJSG_SG_EEES6_PlJNSB_9not_fun_tI7is_evenIsEEEEEE10hipError_tPvRmT3_T4_T5_T6_T7_T9_mT8_P12ihipStream_tbDpT10_ENKUlT_T0_E_clISt17integral_constantIbLb0EES17_IbLb1EEEEDaS13_S14_EUlS13_E_NS1_11comp_targetILNS1_3genE8ELNS1_11target_archE1030ELNS1_3gpuE2ELNS1_3repE0EEENS1_30default_config_static_selectorELNS0_4arch9wavefront6targetE0EEEvT1_.num_agpr, 0
	.set _ZN7rocprim17ROCPRIM_400000_NS6detail17trampoline_kernelINS0_14default_configENS1_25partition_config_selectorILNS1_17partition_subalgoE6EsNS0_10empty_typeEbEEZZNS1_14partition_implILS5_6ELb0ES3_mN6thrust23THRUST_200600_302600_NS6detail15normal_iteratorINSA_10device_ptrIsEEEEPS6_SG_NS0_5tupleIJSF_S6_EEENSH_IJSG_SG_EEES6_PlJNSB_9not_fun_tI7is_evenIsEEEEEE10hipError_tPvRmT3_T4_T5_T6_T7_T9_mT8_P12ihipStream_tbDpT10_ENKUlT_T0_E_clISt17integral_constantIbLb0EES17_IbLb1EEEEDaS13_S14_EUlS13_E_NS1_11comp_targetILNS1_3genE8ELNS1_11target_archE1030ELNS1_3gpuE2ELNS1_3repE0EEENS1_30default_config_static_selectorELNS0_4arch9wavefront6targetE0EEEvT1_.numbered_sgpr, 0
	.set _ZN7rocprim17ROCPRIM_400000_NS6detail17trampoline_kernelINS0_14default_configENS1_25partition_config_selectorILNS1_17partition_subalgoE6EsNS0_10empty_typeEbEEZZNS1_14partition_implILS5_6ELb0ES3_mN6thrust23THRUST_200600_302600_NS6detail15normal_iteratorINSA_10device_ptrIsEEEEPS6_SG_NS0_5tupleIJSF_S6_EEENSH_IJSG_SG_EEES6_PlJNSB_9not_fun_tI7is_evenIsEEEEEE10hipError_tPvRmT3_T4_T5_T6_T7_T9_mT8_P12ihipStream_tbDpT10_ENKUlT_T0_E_clISt17integral_constantIbLb0EES17_IbLb1EEEEDaS13_S14_EUlS13_E_NS1_11comp_targetILNS1_3genE8ELNS1_11target_archE1030ELNS1_3gpuE2ELNS1_3repE0EEENS1_30default_config_static_selectorELNS0_4arch9wavefront6targetE0EEEvT1_.num_named_barrier, 0
	.set _ZN7rocprim17ROCPRIM_400000_NS6detail17trampoline_kernelINS0_14default_configENS1_25partition_config_selectorILNS1_17partition_subalgoE6EsNS0_10empty_typeEbEEZZNS1_14partition_implILS5_6ELb0ES3_mN6thrust23THRUST_200600_302600_NS6detail15normal_iteratorINSA_10device_ptrIsEEEEPS6_SG_NS0_5tupleIJSF_S6_EEENSH_IJSG_SG_EEES6_PlJNSB_9not_fun_tI7is_evenIsEEEEEE10hipError_tPvRmT3_T4_T5_T6_T7_T9_mT8_P12ihipStream_tbDpT10_ENKUlT_T0_E_clISt17integral_constantIbLb0EES17_IbLb1EEEEDaS13_S14_EUlS13_E_NS1_11comp_targetILNS1_3genE8ELNS1_11target_archE1030ELNS1_3gpuE2ELNS1_3repE0EEENS1_30default_config_static_selectorELNS0_4arch9wavefront6targetE0EEEvT1_.private_seg_size, 0
	.set _ZN7rocprim17ROCPRIM_400000_NS6detail17trampoline_kernelINS0_14default_configENS1_25partition_config_selectorILNS1_17partition_subalgoE6EsNS0_10empty_typeEbEEZZNS1_14partition_implILS5_6ELb0ES3_mN6thrust23THRUST_200600_302600_NS6detail15normal_iteratorINSA_10device_ptrIsEEEEPS6_SG_NS0_5tupleIJSF_S6_EEENSH_IJSG_SG_EEES6_PlJNSB_9not_fun_tI7is_evenIsEEEEEE10hipError_tPvRmT3_T4_T5_T6_T7_T9_mT8_P12ihipStream_tbDpT10_ENKUlT_T0_E_clISt17integral_constantIbLb0EES17_IbLb1EEEEDaS13_S14_EUlS13_E_NS1_11comp_targetILNS1_3genE8ELNS1_11target_archE1030ELNS1_3gpuE2ELNS1_3repE0EEENS1_30default_config_static_selectorELNS0_4arch9wavefront6targetE0EEEvT1_.uses_vcc, 0
	.set _ZN7rocprim17ROCPRIM_400000_NS6detail17trampoline_kernelINS0_14default_configENS1_25partition_config_selectorILNS1_17partition_subalgoE6EsNS0_10empty_typeEbEEZZNS1_14partition_implILS5_6ELb0ES3_mN6thrust23THRUST_200600_302600_NS6detail15normal_iteratorINSA_10device_ptrIsEEEEPS6_SG_NS0_5tupleIJSF_S6_EEENSH_IJSG_SG_EEES6_PlJNSB_9not_fun_tI7is_evenIsEEEEEE10hipError_tPvRmT3_T4_T5_T6_T7_T9_mT8_P12ihipStream_tbDpT10_ENKUlT_T0_E_clISt17integral_constantIbLb0EES17_IbLb1EEEEDaS13_S14_EUlS13_E_NS1_11comp_targetILNS1_3genE8ELNS1_11target_archE1030ELNS1_3gpuE2ELNS1_3repE0EEENS1_30default_config_static_selectorELNS0_4arch9wavefront6targetE0EEEvT1_.uses_flat_scratch, 0
	.set _ZN7rocprim17ROCPRIM_400000_NS6detail17trampoline_kernelINS0_14default_configENS1_25partition_config_selectorILNS1_17partition_subalgoE6EsNS0_10empty_typeEbEEZZNS1_14partition_implILS5_6ELb0ES3_mN6thrust23THRUST_200600_302600_NS6detail15normal_iteratorINSA_10device_ptrIsEEEEPS6_SG_NS0_5tupleIJSF_S6_EEENSH_IJSG_SG_EEES6_PlJNSB_9not_fun_tI7is_evenIsEEEEEE10hipError_tPvRmT3_T4_T5_T6_T7_T9_mT8_P12ihipStream_tbDpT10_ENKUlT_T0_E_clISt17integral_constantIbLb0EES17_IbLb1EEEEDaS13_S14_EUlS13_E_NS1_11comp_targetILNS1_3genE8ELNS1_11target_archE1030ELNS1_3gpuE2ELNS1_3repE0EEENS1_30default_config_static_selectorELNS0_4arch9wavefront6targetE0EEEvT1_.has_dyn_sized_stack, 0
	.set _ZN7rocprim17ROCPRIM_400000_NS6detail17trampoline_kernelINS0_14default_configENS1_25partition_config_selectorILNS1_17partition_subalgoE6EsNS0_10empty_typeEbEEZZNS1_14partition_implILS5_6ELb0ES3_mN6thrust23THRUST_200600_302600_NS6detail15normal_iteratorINSA_10device_ptrIsEEEEPS6_SG_NS0_5tupleIJSF_S6_EEENSH_IJSG_SG_EEES6_PlJNSB_9not_fun_tI7is_evenIsEEEEEE10hipError_tPvRmT3_T4_T5_T6_T7_T9_mT8_P12ihipStream_tbDpT10_ENKUlT_T0_E_clISt17integral_constantIbLb0EES17_IbLb1EEEEDaS13_S14_EUlS13_E_NS1_11comp_targetILNS1_3genE8ELNS1_11target_archE1030ELNS1_3gpuE2ELNS1_3repE0EEENS1_30default_config_static_selectorELNS0_4arch9wavefront6targetE0EEEvT1_.has_recursion, 0
	.set _ZN7rocprim17ROCPRIM_400000_NS6detail17trampoline_kernelINS0_14default_configENS1_25partition_config_selectorILNS1_17partition_subalgoE6EsNS0_10empty_typeEbEEZZNS1_14partition_implILS5_6ELb0ES3_mN6thrust23THRUST_200600_302600_NS6detail15normal_iteratorINSA_10device_ptrIsEEEEPS6_SG_NS0_5tupleIJSF_S6_EEENSH_IJSG_SG_EEES6_PlJNSB_9not_fun_tI7is_evenIsEEEEEE10hipError_tPvRmT3_T4_T5_T6_T7_T9_mT8_P12ihipStream_tbDpT10_ENKUlT_T0_E_clISt17integral_constantIbLb0EES17_IbLb1EEEEDaS13_S14_EUlS13_E_NS1_11comp_targetILNS1_3genE8ELNS1_11target_archE1030ELNS1_3gpuE2ELNS1_3repE0EEENS1_30default_config_static_selectorELNS0_4arch9wavefront6targetE0EEEvT1_.has_indirect_call, 0
	.section	.AMDGPU.csdata,"",@progbits
; Kernel info:
; codeLenInByte = 0
; TotalNumSgprs: 0
; NumVgprs: 0
; ScratchSize: 0
; MemoryBound: 0
; FloatMode: 240
; IeeeMode: 1
; LDSByteSize: 0 bytes/workgroup (compile time only)
; SGPRBlocks: 0
; VGPRBlocks: 0
; NumSGPRsForWavesPerEU: 1
; NumVGPRsForWavesPerEU: 1
; Occupancy: 16
; WaveLimiterHint : 0
; COMPUTE_PGM_RSRC2:SCRATCH_EN: 0
; COMPUTE_PGM_RSRC2:USER_SGPR: 2
; COMPUTE_PGM_RSRC2:TRAP_HANDLER: 0
; COMPUTE_PGM_RSRC2:TGID_X_EN: 1
; COMPUTE_PGM_RSRC2:TGID_Y_EN: 0
; COMPUTE_PGM_RSRC2:TGID_Z_EN: 0
; COMPUTE_PGM_RSRC2:TIDIG_COMP_CNT: 0
	.section	.text._ZN7rocprim17ROCPRIM_400000_NS6detail17trampoline_kernelINS0_14default_configENS1_25partition_config_selectorILNS1_17partition_subalgoE5EdNS0_10empty_typeEbEEZZNS1_14partition_implILS5_5ELb0ES3_mN6thrust23THRUST_200600_302600_NS6detail15normal_iteratorINSA_10device_ptrIdEEEEPS6_NSA_18transform_iteratorINSB_9not_fun_tINSA_8identityIdEEEESF_NSA_11use_defaultESM_EENS0_5tupleIJSF_S6_EEENSO_IJSG_SG_EEES6_PlJS6_EEE10hipError_tPvRmT3_T4_T5_T6_T7_T9_mT8_P12ihipStream_tbDpT10_ENKUlT_T0_E_clISt17integral_constantIbLb0EES1B_EEDaS16_S17_EUlS16_E_NS1_11comp_targetILNS1_3genE0ELNS1_11target_archE4294967295ELNS1_3gpuE0ELNS1_3repE0EEENS1_30default_config_static_selectorELNS0_4arch9wavefront6targetE0EEEvT1_,"axG",@progbits,_ZN7rocprim17ROCPRIM_400000_NS6detail17trampoline_kernelINS0_14default_configENS1_25partition_config_selectorILNS1_17partition_subalgoE5EdNS0_10empty_typeEbEEZZNS1_14partition_implILS5_5ELb0ES3_mN6thrust23THRUST_200600_302600_NS6detail15normal_iteratorINSA_10device_ptrIdEEEEPS6_NSA_18transform_iteratorINSB_9not_fun_tINSA_8identityIdEEEESF_NSA_11use_defaultESM_EENS0_5tupleIJSF_S6_EEENSO_IJSG_SG_EEES6_PlJS6_EEE10hipError_tPvRmT3_T4_T5_T6_T7_T9_mT8_P12ihipStream_tbDpT10_ENKUlT_T0_E_clISt17integral_constantIbLb0EES1B_EEDaS16_S17_EUlS16_E_NS1_11comp_targetILNS1_3genE0ELNS1_11target_archE4294967295ELNS1_3gpuE0ELNS1_3repE0EEENS1_30default_config_static_selectorELNS0_4arch9wavefront6targetE0EEEvT1_,comdat
	.protected	_ZN7rocprim17ROCPRIM_400000_NS6detail17trampoline_kernelINS0_14default_configENS1_25partition_config_selectorILNS1_17partition_subalgoE5EdNS0_10empty_typeEbEEZZNS1_14partition_implILS5_5ELb0ES3_mN6thrust23THRUST_200600_302600_NS6detail15normal_iteratorINSA_10device_ptrIdEEEEPS6_NSA_18transform_iteratorINSB_9not_fun_tINSA_8identityIdEEEESF_NSA_11use_defaultESM_EENS0_5tupleIJSF_S6_EEENSO_IJSG_SG_EEES6_PlJS6_EEE10hipError_tPvRmT3_T4_T5_T6_T7_T9_mT8_P12ihipStream_tbDpT10_ENKUlT_T0_E_clISt17integral_constantIbLb0EES1B_EEDaS16_S17_EUlS16_E_NS1_11comp_targetILNS1_3genE0ELNS1_11target_archE4294967295ELNS1_3gpuE0ELNS1_3repE0EEENS1_30default_config_static_selectorELNS0_4arch9wavefront6targetE0EEEvT1_ ; -- Begin function _ZN7rocprim17ROCPRIM_400000_NS6detail17trampoline_kernelINS0_14default_configENS1_25partition_config_selectorILNS1_17partition_subalgoE5EdNS0_10empty_typeEbEEZZNS1_14partition_implILS5_5ELb0ES3_mN6thrust23THRUST_200600_302600_NS6detail15normal_iteratorINSA_10device_ptrIdEEEEPS6_NSA_18transform_iteratorINSB_9not_fun_tINSA_8identityIdEEEESF_NSA_11use_defaultESM_EENS0_5tupleIJSF_S6_EEENSO_IJSG_SG_EEES6_PlJS6_EEE10hipError_tPvRmT3_T4_T5_T6_T7_T9_mT8_P12ihipStream_tbDpT10_ENKUlT_T0_E_clISt17integral_constantIbLb0EES1B_EEDaS16_S17_EUlS16_E_NS1_11comp_targetILNS1_3genE0ELNS1_11target_archE4294967295ELNS1_3gpuE0ELNS1_3repE0EEENS1_30default_config_static_selectorELNS0_4arch9wavefront6targetE0EEEvT1_
	.globl	_ZN7rocprim17ROCPRIM_400000_NS6detail17trampoline_kernelINS0_14default_configENS1_25partition_config_selectorILNS1_17partition_subalgoE5EdNS0_10empty_typeEbEEZZNS1_14partition_implILS5_5ELb0ES3_mN6thrust23THRUST_200600_302600_NS6detail15normal_iteratorINSA_10device_ptrIdEEEEPS6_NSA_18transform_iteratorINSB_9not_fun_tINSA_8identityIdEEEESF_NSA_11use_defaultESM_EENS0_5tupleIJSF_S6_EEENSO_IJSG_SG_EEES6_PlJS6_EEE10hipError_tPvRmT3_T4_T5_T6_T7_T9_mT8_P12ihipStream_tbDpT10_ENKUlT_T0_E_clISt17integral_constantIbLb0EES1B_EEDaS16_S17_EUlS16_E_NS1_11comp_targetILNS1_3genE0ELNS1_11target_archE4294967295ELNS1_3gpuE0ELNS1_3repE0EEENS1_30default_config_static_selectorELNS0_4arch9wavefront6targetE0EEEvT1_
	.p2align	8
	.type	_ZN7rocprim17ROCPRIM_400000_NS6detail17trampoline_kernelINS0_14default_configENS1_25partition_config_selectorILNS1_17partition_subalgoE5EdNS0_10empty_typeEbEEZZNS1_14partition_implILS5_5ELb0ES3_mN6thrust23THRUST_200600_302600_NS6detail15normal_iteratorINSA_10device_ptrIdEEEEPS6_NSA_18transform_iteratorINSB_9not_fun_tINSA_8identityIdEEEESF_NSA_11use_defaultESM_EENS0_5tupleIJSF_S6_EEENSO_IJSG_SG_EEES6_PlJS6_EEE10hipError_tPvRmT3_T4_T5_T6_T7_T9_mT8_P12ihipStream_tbDpT10_ENKUlT_T0_E_clISt17integral_constantIbLb0EES1B_EEDaS16_S17_EUlS16_E_NS1_11comp_targetILNS1_3genE0ELNS1_11target_archE4294967295ELNS1_3gpuE0ELNS1_3repE0EEENS1_30default_config_static_selectorELNS0_4arch9wavefront6targetE0EEEvT1_,@function
_ZN7rocprim17ROCPRIM_400000_NS6detail17trampoline_kernelINS0_14default_configENS1_25partition_config_selectorILNS1_17partition_subalgoE5EdNS0_10empty_typeEbEEZZNS1_14partition_implILS5_5ELb0ES3_mN6thrust23THRUST_200600_302600_NS6detail15normal_iteratorINSA_10device_ptrIdEEEEPS6_NSA_18transform_iteratorINSB_9not_fun_tINSA_8identityIdEEEESF_NSA_11use_defaultESM_EENS0_5tupleIJSF_S6_EEENSO_IJSG_SG_EEES6_PlJS6_EEE10hipError_tPvRmT3_T4_T5_T6_T7_T9_mT8_P12ihipStream_tbDpT10_ENKUlT_T0_E_clISt17integral_constantIbLb0EES1B_EEDaS16_S17_EUlS16_E_NS1_11comp_targetILNS1_3genE0ELNS1_11target_archE4294967295ELNS1_3gpuE0ELNS1_3repE0EEENS1_30default_config_static_selectorELNS0_4arch9wavefront6targetE0EEEvT1_: ; @_ZN7rocprim17ROCPRIM_400000_NS6detail17trampoline_kernelINS0_14default_configENS1_25partition_config_selectorILNS1_17partition_subalgoE5EdNS0_10empty_typeEbEEZZNS1_14partition_implILS5_5ELb0ES3_mN6thrust23THRUST_200600_302600_NS6detail15normal_iteratorINSA_10device_ptrIdEEEEPS6_NSA_18transform_iteratorINSB_9not_fun_tINSA_8identityIdEEEESF_NSA_11use_defaultESM_EENS0_5tupleIJSF_S6_EEENSO_IJSG_SG_EEES6_PlJS6_EEE10hipError_tPvRmT3_T4_T5_T6_T7_T9_mT8_P12ihipStream_tbDpT10_ENKUlT_T0_E_clISt17integral_constantIbLb0EES1B_EEDaS16_S17_EUlS16_E_NS1_11comp_targetILNS1_3genE0ELNS1_11target_archE4294967295ELNS1_3gpuE0ELNS1_3repE0EEENS1_30default_config_static_selectorELNS0_4arch9wavefront6targetE0EEEvT1_
; %bb.0:
	.section	.rodata,"a",@progbits
	.p2align	6, 0x0
	.amdhsa_kernel _ZN7rocprim17ROCPRIM_400000_NS6detail17trampoline_kernelINS0_14default_configENS1_25partition_config_selectorILNS1_17partition_subalgoE5EdNS0_10empty_typeEbEEZZNS1_14partition_implILS5_5ELb0ES3_mN6thrust23THRUST_200600_302600_NS6detail15normal_iteratorINSA_10device_ptrIdEEEEPS6_NSA_18transform_iteratorINSB_9not_fun_tINSA_8identityIdEEEESF_NSA_11use_defaultESM_EENS0_5tupleIJSF_S6_EEENSO_IJSG_SG_EEES6_PlJS6_EEE10hipError_tPvRmT3_T4_T5_T6_T7_T9_mT8_P12ihipStream_tbDpT10_ENKUlT_T0_E_clISt17integral_constantIbLb0EES1B_EEDaS16_S17_EUlS16_E_NS1_11comp_targetILNS1_3genE0ELNS1_11target_archE4294967295ELNS1_3gpuE0ELNS1_3repE0EEENS1_30default_config_static_selectorELNS0_4arch9wavefront6targetE0EEEvT1_
		.amdhsa_group_segment_fixed_size 0
		.amdhsa_private_segment_fixed_size 0
		.amdhsa_kernarg_size 120
		.amdhsa_user_sgpr_count 2
		.amdhsa_user_sgpr_dispatch_ptr 0
		.amdhsa_user_sgpr_queue_ptr 0
		.amdhsa_user_sgpr_kernarg_segment_ptr 1
		.amdhsa_user_sgpr_dispatch_id 0
		.amdhsa_user_sgpr_private_segment_size 0
		.amdhsa_wavefront_size32 1
		.amdhsa_uses_dynamic_stack 0
		.amdhsa_enable_private_segment 0
		.amdhsa_system_sgpr_workgroup_id_x 1
		.amdhsa_system_sgpr_workgroup_id_y 0
		.amdhsa_system_sgpr_workgroup_id_z 0
		.amdhsa_system_sgpr_workgroup_info 0
		.amdhsa_system_vgpr_workitem_id 0
		.amdhsa_next_free_vgpr 1
		.amdhsa_next_free_sgpr 1
		.amdhsa_reserve_vcc 0
		.amdhsa_float_round_mode_32 0
		.amdhsa_float_round_mode_16_64 0
		.amdhsa_float_denorm_mode_32 3
		.amdhsa_float_denorm_mode_16_64 3
		.amdhsa_fp16_overflow 0
		.amdhsa_workgroup_processor_mode 1
		.amdhsa_memory_ordered 1
		.amdhsa_forward_progress 1
		.amdhsa_inst_pref_size 0
		.amdhsa_round_robin_scheduling 0
		.amdhsa_exception_fp_ieee_invalid_op 0
		.amdhsa_exception_fp_denorm_src 0
		.amdhsa_exception_fp_ieee_div_zero 0
		.amdhsa_exception_fp_ieee_overflow 0
		.amdhsa_exception_fp_ieee_underflow 0
		.amdhsa_exception_fp_ieee_inexact 0
		.amdhsa_exception_int_div_zero 0
	.end_amdhsa_kernel
	.section	.text._ZN7rocprim17ROCPRIM_400000_NS6detail17trampoline_kernelINS0_14default_configENS1_25partition_config_selectorILNS1_17partition_subalgoE5EdNS0_10empty_typeEbEEZZNS1_14partition_implILS5_5ELb0ES3_mN6thrust23THRUST_200600_302600_NS6detail15normal_iteratorINSA_10device_ptrIdEEEEPS6_NSA_18transform_iteratorINSB_9not_fun_tINSA_8identityIdEEEESF_NSA_11use_defaultESM_EENS0_5tupleIJSF_S6_EEENSO_IJSG_SG_EEES6_PlJS6_EEE10hipError_tPvRmT3_T4_T5_T6_T7_T9_mT8_P12ihipStream_tbDpT10_ENKUlT_T0_E_clISt17integral_constantIbLb0EES1B_EEDaS16_S17_EUlS16_E_NS1_11comp_targetILNS1_3genE0ELNS1_11target_archE4294967295ELNS1_3gpuE0ELNS1_3repE0EEENS1_30default_config_static_selectorELNS0_4arch9wavefront6targetE0EEEvT1_,"axG",@progbits,_ZN7rocprim17ROCPRIM_400000_NS6detail17trampoline_kernelINS0_14default_configENS1_25partition_config_selectorILNS1_17partition_subalgoE5EdNS0_10empty_typeEbEEZZNS1_14partition_implILS5_5ELb0ES3_mN6thrust23THRUST_200600_302600_NS6detail15normal_iteratorINSA_10device_ptrIdEEEEPS6_NSA_18transform_iteratorINSB_9not_fun_tINSA_8identityIdEEEESF_NSA_11use_defaultESM_EENS0_5tupleIJSF_S6_EEENSO_IJSG_SG_EEES6_PlJS6_EEE10hipError_tPvRmT3_T4_T5_T6_T7_T9_mT8_P12ihipStream_tbDpT10_ENKUlT_T0_E_clISt17integral_constantIbLb0EES1B_EEDaS16_S17_EUlS16_E_NS1_11comp_targetILNS1_3genE0ELNS1_11target_archE4294967295ELNS1_3gpuE0ELNS1_3repE0EEENS1_30default_config_static_selectorELNS0_4arch9wavefront6targetE0EEEvT1_,comdat
.Lfunc_end789:
	.size	_ZN7rocprim17ROCPRIM_400000_NS6detail17trampoline_kernelINS0_14default_configENS1_25partition_config_selectorILNS1_17partition_subalgoE5EdNS0_10empty_typeEbEEZZNS1_14partition_implILS5_5ELb0ES3_mN6thrust23THRUST_200600_302600_NS6detail15normal_iteratorINSA_10device_ptrIdEEEEPS6_NSA_18transform_iteratorINSB_9not_fun_tINSA_8identityIdEEEESF_NSA_11use_defaultESM_EENS0_5tupleIJSF_S6_EEENSO_IJSG_SG_EEES6_PlJS6_EEE10hipError_tPvRmT3_T4_T5_T6_T7_T9_mT8_P12ihipStream_tbDpT10_ENKUlT_T0_E_clISt17integral_constantIbLb0EES1B_EEDaS16_S17_EUlS16_E_NS1_11comp_targetILNS1_3genE0ELNS1_11target_archE4294967295ELNS1_3gpuE0ELNS1_3repE0EEENS1_30default_config_static_selectorELNS0_4arch9wavefront6targetE0EEEvT1_, .Lfunc_end789-_ZN7rocprim17ROCPRIM_400000_NS6detail17trampoline_kernelINS0_14default_configENS1_25partition_config_selectorILNS1_17partition_subalgoE5EdNS0_10empty_typeEbEEZZNS1_14partition_implILS5_5ELb0ES3_mN6thrust23THRUST_200600_302600_NS6detail15normal_iteratorINSA_10device_ptrIdEEEEPS6_NSA_18transform_iteratorINSB_9not_fun_tINSA_8identityIdEEEESF_NSA_11use_defaultESM_EENS0_5tupleIJSF_S6_EEENSO_IJSG_SG_EEES6_PlJS6_EEE10hipError_tPvRmT3_T4_T5_T6_T7_T9_mT8_P12ihipStream_tbDpT10_ENKUlT_T0_E_clISt17integral_constantIbLb0EES1B_EEDaS16_S17_EUlS16_E_NS1_11comp_targetILNS1_3genE0ELNS1_11target_archE4294967295ELNS1_3gpuE0ELNS1_3repE0EEENS1_30default_config_static_selectorELNS0_4arch9wavefront6targetE0EEEvT1_
                                        ; -- End function
	.set _ZN7rocprim17ROCPRIM_400000_NS6detail17trampoline_kernelINS0_14default_configENS1_25partition_config_selectorILNS1_17partition_subalgoE5EdNS0_10empty_typeEbEEZZNS1_14partition_implILS5_5ELb0ES3_mN6thrust23THRUST_200600_302600_NS6detail15normal_iteratorINSA_10device_ptrIdEEEEPS6_NSA_18transform_iteratorINSB_9not_fun_tINSA_8identityIdEEEESF_NSA_11use_defaultESM_EENS0_5tupleIJSF_S6_EEENSO_IJSG_SG_EEES6_PlJS6_EEE10hipError_tPvRmT3_T4_T5_T6_T7_T9_mT8_P12ihipStream_tbDpT10_ENKUlT_T0_E_clISt17integral_constantIbLb0EES1B_EEDaS16_S17_EUlS16_E_NS1_11comp_targetILNS1_3genE0ELNS1_11target_archE4294967295ELNS1_3gpuE0ELNS1_3repE0EEENS1_30default_config_static_selectorELNS0_4arch9wavefront6targetE0EEEvT1_.num_vgpr, 0
	.set _ZN7rocprim17ROCPRIM_400000_NS6detail17trampoline_kernelINS0_14default_configENS1_25partition_config_selectorILNS1_17partition_subalgoE5EdNS0_10empty_typeEbEEZZNS1_14partition_implILS5_5ELb0ES3_mN6thrust23THRUST_200600_302600_NS6detail15normal_iteratorINSA_10device_ptrIdEEEEPS6_NSA_18transform_iteratorINSB_9not_fun_tINSA_8identityIdEEEESF_NSA_11use_defaultESM_EENS0_5tupleIJSF_S6_EEENSO_IJSG_SG_EEES6_PlJS6_EEE10hipError_tPvRmT3_T4_T5_T6_T7_T9_mT8_P12ihipStream_tbDpT10_ENKUlT_T0_E_clISt17integral_constantIbLb0EES1B_EEDaS16_S17_EUlS16_E_NS1_11comp_targetILNS1_3genE0ELNS1_11target_archE4294967295ELNS1_3gpuE0ELNS1_3repE0EEENS1_30default_config_static_selectorELNS0_4arch9wavefront6targetE0EEEvT1_.num_agpr, 0
	.set _ZN7rocprim17ROCPRIM_400000_NS6detail17trampoline_kernelINS0_14default_configENS1_25partition_config_selectorILNS1_17partition_subalgoE5EdNS0_10empty_typeEbEEZZNS1_14partition_implILS5_5ELb0ES3_mN6thrust23THRUST_200600_302600_NS6detail15normal_iteratorINSA_10device_ptrIdEEEEPS6_NSA_18transform_iteratorINSB_9not_fun_tINSA_8identityIdEEEESF_NSA_11use_defaultESM_EENS0_5tupleIJSF_S6_EEENSO_IJSG_SG_EEES6_PlJS6_EEE10hipError_tPvRmT3_T4_T5_T6_T7_T9_mT8_P12ihipStream_tbDpT10_ENKUlT_T0_E_clISt17integral_constantIbLb0EES1B_EEDaS16_S17_EUlS16_E_NS1_11comp_targetILNS1_3genE0ELNS1_11target_archE4294967295ELNS1_3gpuE0ELNS1_3repE0EEENS1_30default_config_static_selectorELNS0_4arch9wavefront6targetE0EEEvT1_.numbered_sgpr, 0
	.set _ZN7rocprim17ROCPRIM_400000_NS6detail17trampoline_kernelINS0_14default_configENS1_25partition_config_selectorILNS1_17partition_subalgoE5EdNS0_10empty_typeEbEEZZNS1_14partition_implILS5_5ELb0ES3_mN6thrust23THRUST_200600_302600_NS6detail15normal_iteratorINSA_10device_ptrIdEEEEPS6_NSA_18transform_iteratorINSB_9not_fun_tINSA_8identityIdEEEESF_NSA_11use_defaultESM_EENS0_5tupleIJSF_S6_EEENSO_IJSG_SG_EEES6_PlJS6_EEE10hipError_tPvRmT3_T4_T5_T6_T7_T9_mT8_P12ihipStream_tbDpT10_ENKUlT_T0_E_clISt17integral_constantIbLb0EES1B_EEDaS16_S17_EUlS16_E_NS1_11comp_targetILNS1_3genE0ELNS1_11target_archE4294967295ELNS1_3gpuE0ELNS1_3repE0EEENS1_30default_config_static_selectorELNS0_4arch9wavefront6targetE0EEEvT1_.num_named_barrier, 0
	.set _ZN7rocprim17ROCPRIM_400000_NS6detail17trampoline_kernelINS0_14default_configENS1_25partition_config_selectorILNS1_17partition_subalgoE5EdNS0_10empty_typeEbEEZZNS1_14partition_implILS5_5ELb0ES3_mN6thrust23THRUST_200600_302600_NS6detail15normal_iteratorINSA_10device_ptrIdEEEEPS6_NSA_18transform_iteratorINSB_9not_fun_tINSA_8identityIdEEEESF_NSA_11use_defaultESM_EENS0_5tupleIJSF_S6_EEENSO_IJSG_SG_EEES6_PlJS6_EEE10hipError_tPvRmT3_T4_T5_T6_T7_T9_mT8_P12ihipStream_tbDpT10_ENKUlT_T0_E_clISt17integral_constantIbLb0EES1B_EEDaS16_S17_EUlS16_E_NS1_11comp_targetILNS1_3genE0ELNS1_11target_archE4294967295ELNS1_3gpuE0ELNS1_3repE0EEENS1_30default_config_static_selectorELNS0_4arch9wavefront6targetE0EEEvT1_.private_seg_size, 0
	.set _ZN7rocprim17ROCPRIM_400000_NS6detail17trampoline_kernelINS0_14default_configENS1_25partition_config_selectorILNS1_17partition_subalgoE5EdNS0_10empty_typeEbEEZZNS1_14partition_implILS5_5ELb0ES3_mN6thrust23THRUST_200600_302600_NS6detail15normal_iteratorINSA_10device_ptrIdEEEEPS6_NSA_18transform_iteratorINSB_9not_fun_tINSA_8identityIdEEEESF_NSA_11use_defaultESM_EENS0_5tupleIJSF_S6_EEENSO_IJSG_SG_EEES6_PlJS6_EEE10hipError_tPvRmT3_T4_T5_T6_T7_T9_mT8_P12ihipStream_tbDpT10_ENKUlT_T0_E_clISt17integral_constantIbLb0EES1B_EEDaS16_S17_EUlS16_E_NS1_11comp_targetILNS1_3genE0ELNS1_11target_archE4294967295ELNS1_3gpuE0ELNS1_3repE0EEENS1_30default_config_static_selectorELNS0_4arch9wavefront6targetE0EEEvT1_.uses_vcc, 0
	.set _ZN7rocprim17ROCPRIM_400000_NS6detail17trampoline_kernelINS0_14default_configENS1_25partition_config_selectorILNS1_17partition_subalgoE5EdNS0_10empty_typeEbEEZZNS1_14partition_implILS5_5ELb0ES3_mN6thrust23THRUST_200600_302600_NS6detail15normal_iteratorINSA_10device_ptrIdEEEEPS6_NSA_18transform_iteratorINSB_9not_fun_tINSA_8identityIdEEEESF_NSA_11use_defaultESM_EENS0_5tupleIJSF_S6_EEENSO_IJSG_SG_EEES6_PlJS6_EEE10hipError_tPvRmT3_T4_T5_T6_T7_T9_mT8_P12ihipStream_tbDpT10_ENKUlT_T0_E_clISt17integral_constantIbLb0EES1B_EEDaS16_S17_EUlS16_E_NS1_11comp_targetILNS1_3genE0ELNS1_11target_archE4294967295ELNS1_3gpuE0ELNS1_3repE0EEENS1_30default_config_static_selectorELNS0_4arch9wavefront6targetE0EEEvT1_.uses_flat_scratch, 0
	.set _ZN7rocprim17ROCPRIM_400000_NS6detail17trampoline_kernelINS0_14default_configENS1_25partition_config_selectorILNS1_17partition_subalgoE5EdNS0_10empty_typeEbEEZZNS1_14partition_implILS5_5ELb0ES3_mN6thrust23THRUST_200600_302600_NS6detail15normal_iteratorINSA_10device_ptrIdEEEEPS6_NSA_18transform_iteratorINSB_9not_fun_tINSA_8identityIdEEEESF_NSA_11use_defaultESM_EENS0_5tupleIJSF_S6_EEENSO_IJSG_SG_EEES6_PlJS6_EEE10hipError_tPvRmT3_T4_T5_T6_T7_T9_mT8_P12ihipStream_tbDpT10_ENKUlT_T0_E_clISt17integral_constantIbLb0EES1B_EEDaS16_S17_EUlS16_E_NS1_11comp_targetILNS1_3genE0ELNS1_11target_archE4294967295ELNS1_3gpuE0ELNS1_3repE0EEENS1_30default_config_static_selectorELNS0_4arch9wavefront6targetE0EEEvT1_.has_dyn_sized_stack, 0
	.set _ZN7rocprim17ROCPRIM_400000_NS6detail17trampoline_kernelINS0_14default_configENS1_25partition_config_selectorILNS1_17partition_subalgoE5EdNS0_10empty_typeEbEEZZNS1_14partition_implILS5_5ELb0ES3_mN6thrust23THRUST_200600_302600_NS6detail15normal_iteratorINSA_10device_ptrIdEEEEPS6_NSA_18transform_iteratorINSB_9not_fun_tINSA_8identityIdEEEESF_NSA_11use_defaultESM_EENS0_5tupleIJSF_S6_EEENSO_IJSG_SG_EEES6_PlJS6_EEE10hipError_tPvRmT3_T4_T5_T6_T7_T9_mT8_P12ihipStream_tbDpT10_ENKUlT_T0_E_clISt17integral_constantIbLb0EES1B_EEDaS16_S17_EUlS16_E_NS1_11comp_targetILNS1_3genE0ELNS1_11target_archE4294967295ELNS1_3gpuE0ELNS1_3repE0EEENS1_30default_config_static_selectorELNS0_4arch9wavefront6targetE0EEEvT1_.has_recursion, 0
	.set _ZN7rocprim17ROCPRIM_400000_NS6detail17trampoline_kernelINS0_14default_configENS1_25partition_config_selectorILNS1_17partition_subalgoE5EdNS0_10empty_typeEbEEZZNS1_14partition_implILS5_5ELb0ES3_mN6thrust23THRUST_200600_302600_NS6detail15normal_iteratorINSA_10device_ptrIdEEEEPS6_NSA_18transform_iteratorINSB_9not_fun_tINSA_8identityIdEEEESF_NSA_11use_defaultESM_EENS0_5tupleIJSF_S6_EEENSO_IJSG_SG_EEES6_PlJS6_EEE10hipError_tPvRmT3_T4_T5_T6_T7_T9_mT8_P12ihipStream_tbDpT10_ENKUlT_T0_E_clISt17integral_constantIbLb0EES1B_EEDaS16_S17_EUlS16_E_NS1_11comp_targetILNS1_3genE0ELNS1_11target_archE4294967295ELNS1_3gpuE0ELNS1_3repE0EEENS1_30default_config_static_selectorELNS0_4arch9wavefront6targetE0EEEvT1_.has_indirect_call, 0
	.section	.AMDGPU.csdata,"",@progbits
; Kernel info:
; codeLenInByte = 0
; TotalNumSgprs: 0
; NumVgprs: 0
; ScratchSize: 0
; MemoryBound: 0
; FloatMode: 240
; IeeeMode: 1
; LDSByteSize: 0 bytes/workgroup (compile time only)
; SGPRBlocks: 0
; VGPRBlocks: 0
; NumSGPRsForWavesPerEU: 1
; NumVGPRsForWavesPerEU: 1
; Occupancy: 16
; WaveLimiterHint : 0
; COMPUTE_PGM_RSRC2:SCRATCH_EN: 0
; COMPUTE_PGM_RSRC2:USER_SGPR: 2
; COMPUTE_PGM_RSRC2:TRAP_HANDLER: 0
; COMPUTE_PGM_RSRC2:TGID_X_EN: 1
; COMPUTE_PGM_RSRC2:TGID_Y_EN: 0
; COMPUTE_PGM_RSRC2:TGID_Z_EN: 0
; COMPUTE_PGM_RSRC2:TIDIG_COMP_CNT: 0
	.section	.text._ZN7rocprim17ROCPRIM_400000_NS6detail17trampoline_kernelINS0_14default_configENS1_25partition_config_selectorILNS1_17partition_subalgoE5EdNS0_10empty_typeEbEEZZNS1_14partition_implILS5_5ELb0ES3_mN6thrust23THRUST_200600_302600_NS6detail15normal_iteratorINSA_10device_ptrIdEEEEPS6_NSA_18transform_iteratorINSB_9not_fun_tINSA_8identityIdEEEESF_NSA_11use_defaultESM_EENS0_5tupleIJSF_S6_EEENSO_IJSG_SG_EEES6_PlJS6_EEE10hipError_tPvRmT3_T4_T5_T6_T7_T9_mT8_P12ihipStream_tbDpT10_ENKUlT_T0_E_clISt17integral_constantIbLb0EES1B_EEDaS16_S17_EUlS16_E_NS1_11comp_targetILNS1_3genE5ELNS1_11target_archE942ELNS1_3gpuE9ELNS1_3repE0EEENS1_30default_config_static_selectorELNS0_4arch9wavefront6targetE0EEEvT1_,"axG",@progbits,_ZN7rocprim17ROCPRIM_400000_NS6detail17trampoline_kernelINS0_14default_configENS1_25partition_config_selectorILNS1_17partition_subalgoE5EdNS0_10empty_typeEbEEZZNS1_14partition_implILS5_5ELb0ES3_mN6thrust23THRUST_200600_302600_NS6detail15normal_iteratorINSA_10device_ptrIdEEEEPS6_NSA_18transform_iteratorINSB_9not_fun_tINSA_8identityIdEEEESF_NSA_11use_defaultESM_EENS0_5tupleIJSF_S6_EEENSO_IJSG_SG_EEES6_PlJS6_EEE10hipError_tPvRmT3_T4_T5_T6_T7_T9_mT8_P12ihipStream_tbDpT10_ENKUlT_T0_E_clISt17integral_constantIbLb0EES1B_EEDaS16_S17_EUlS16_E_NS1_11comp_targetILNS1_3genE5ELNS1_11target_archE942ELNS1_3gpuE9ELNS1_3repE0EEENS1_30default_config_static_selectorELNS0_4arch9wavefront6targetE0EEEvT1_,comdat
	.protected	_ZN7rocprim17ROCPRIM_400000_NS6detail17trampoline_kernelINS0_14default_configENS1_25partition_config_selectorILNS1_17partition_subalgoE5EdNS0_10empty_typeEbEEZZNS1_14partition_implILS5_5ELb0ES3_mN6thrust23THRUST_200600_302600_NS6detail15normal_iteratorINSA_10device_ptrIdEEEEPS6_NSA_18transform_iteratorINSB_9not_fun_tINSA_8identityIdEEEESF_NSA_11use_defaultESM_EENS0_5tupleIJSF_S6_EEENSO_IJSG_SG_EEES6_PlJS6_EEE10hipError_tPvRmT3_T4_T5_T6_T7_T9_mT8_P12ihipStream_tbDpT10_ENKUlT_T0_E_clISt17integral_constantIbLb0EES1B_EEDaS16_S17_EUlS16_E_NS1_11comp_targetILNS1_3genE5ELNS1_11target_archE942ELNS1_3gpuE9ELNS1_3repE0EEENS1_30default_config_static_selectorELNS0_4arch9wavefront6targetE0EEEvT1_ ; -- Begin function _ZN7rocprim17ROCPRIM_400000_NS6detail17trampoline_kernelINS0_14default_configENS1_25partition_config_selectorILNS1_17partition_subalgoE5EdNS0_10empty_typeEbEEZZNS1_14partition_implILS5_5ELb0ES3_mN6thrust23THRUST_200600_302600_NS6detail15normal_iteratorINSA_10device_ptrIdEEEEPS6_NSA_18transform_iteratorINSB_9not_fun_tINSA_8identityIdEEEESF_NSA_11use_defaultESM_EENS0_5tupleIJSF_S6_EEENSO_IJSG_SG_EEES6_PlJS6_EEE10hipError_tPvRmT3_T4_T5_T6_T7_T9_mT8_P12ihipStream_tbDpT10_ENKUlT_T0_E_clISt17integral_constantIbLb0EES1B_EEDaS16_S17_EUlS16_E_NS1_11comp_targetILNS1_3genE5ELNS1_11target_archE942ELNS1_3gpuE9ELNS1_3repE0EEENS1_30default_config_static_selectorELNS0_4arch9wavefront6targetE0EEEvT1_
	.globl	_ZN7rocprim17ROCPRIM_400000_NS6detail17trampoline_kernelINS0_14default_configENS1_25partition_config_selectorILNS1_17partition_subalgoE5EdNS0_10empty_typeEbEEZZNS1_14partition_implILS5_5ELb0ES3_mN6thrust23THRUST_200600_302600_NS6detail15normal_iteratorINSA_10device_ptrIdEEEEPS6_NSA_18transform_iteratorINSB_9not_fun_tINSA_8identityIdEEEESF_NSA_11use_defaultESM_EENS0_5tupleIJSF_S6_EEENSO_IJSG_SG_EEES6_PlJS6_EEE10hipError_tPvRmT3_T4_T5_T6_T7_T9_mT8_P12ihipStream_tbDpT10_ENKUlT_T0_E_clISt17integral_constantIbLb0EES1B_EEDaS16_S17_EUlS16_E_NS1_11comp_targetILNS1_3genE5ELNS1_11target_archE942ELNS1_3gpuE9ELNS1_3repE0EEENS1_30default_config_static_selectorELNS0_4arch9wavefront6targetE0EEEvT1_
	.p2align	8
	.type	_ZN7rocprim17ROCPRIM_400000_NS6detail17trampoline_kernelINS0_14default_configENS1_25partition_config_selectorILNS1_17partition_subalgoE5EdNS0_10empty_typeEbEEZZNS1_14partition_implILS5_5ELb0ES3_mN6thrust23THRUST_200600_302600_NS6detail15normal_iteratorINSA_10device_ptrIdEEEEPS6_NSA_18transform_iteratorINSB_9not_fun_tINSA_8identityIdEEEESF_NSA_11use_defaultESM_EENS0_5tupleIJSF_S6_EEENSO_IJSG_SG_EEES6_PlJS6_EEE10hipError_tPvRmT3_T4_T5_T6_T7_T9_mT8_P12ihipStream_tbDpT10_ENKUlT_T0_E_clISt17integral_constantIbLb0EES1B_EEDaS16_S17_EUlS16_E_NS1_11comp_targetILNS1_3genE5ELNS1_11target_archE942ELNS1_3gpuE9ELNS1_3repE0EEENS1_30default_config_static_selectorELNS0_4arch9wavefront6targetE0EEEvT1_,@function
_ZN7rocprim17ROCPRIM_400000_NS6detail17trampoline_kernelINS0_14default_configENS1_25partition_config_selectorILNS1_17partition_subalgoE5EdNS0_10empty_typeEbEEZZNS1_14partition_implILS5_5ELb0ES3_mN6thrust23THRUST_200600_302600_NS6detail15normal_iteratorINSA_10device_ptrIdEEEEPS6_NSA_18transform_iteratorINSB_9not_fun_tINSA_8identityIdEEEESF_NSA_11use_defaultESM_EENS0_5tupleIJSF_S6_EEENSO_IJSG_SG_EEES6_PlJS6_EEE10hipError_tPvRmT3_T4_T5_T6_T7_T9_mT8_P12ihipStream_tbDpT10_ENKUlT_T0_E_clISt17integral_constantIbLb0EES1B_EEDaS16_S17_EUlS16_E_NS1_11comp_targetILNS1_3genE5ELNS1_11target_archE942ELNS1_3gpuE9ELNS1_3repE0EEENS1_30default_config_static_selectorELNS0_4arch9wavefront6targetE0EEEvT1_: ; @_ZN7rocprim17ROCPRIM_400000_NS6detail17trampoline_kernelINS0_14default_configENS1_25partition_config_selectorILNS1_17partition_subalgoE5EdNS0_10empty_typeEbEEZZNS1_14partition_implILS5_5ELb0ES3_mN6thrust23THRUST_200600_302600_NS6detail15normal_iteratorINSA_10device_ptrIdEEEEPS6_NSA_18transform_iteratorINSB_9not_fun_tINSA_8identityIdEEEESF_NSA_11use_defaultESM_EENS0_5tupleIJSF_S6_EEENSO_IJSG_SG_EEES6_PlJS6_EEE10hipError_tPvRmT3_T4_T5_T6_T7_T9_mT8_P12ihipStream_tbDpT10_ENKUlT_T0_E_clISt17integral_constantIbLb0EES1B_EEDaS16_S17_EUlS16_E_NS1_11comp_targetILNS1_3genE5ELNS1_11target_archE942ELNS1_3gpuE9ELNS1_3repE0EEENS1_30default_config_static_selectorELNS0_4arch9wavefront6targetE0EEEvT1_
; %bb.0:
	.section	.rodata,"a",@progbits
	.p2align	6, 0x0
	.amdhsa_kernel _ZN7rocprim17ROCPRIM_400000_NS6detail17trampoline_kernelINS0_14default_configENS1_25partition_config_selectorILNS1_17partition_subalgoE5EdNS0_10empty_typeEbEEZZNS1_14partition_implILS5_5ELb0ES3_mN6thrust23THRUST_200600_302600_NS6detail15normal_iteratorINSA_10device_ptrIdEEEEPS6_NSA_18transform_iteratorINSB_9not_fun_tINSA_8identityIdEEEESF_NSA_11use_defaultESM_EENS0_5tupleIJSF_S6_EEENSO_IJSG_SG_EEES6_PlJS6_EEE10hipError_tPvRmT3_T4_T5_T6_T7_T9_mT8_P12ihipStream_tbDpT10_ENKUlT_T0_E_clISt17integral_constantIbLb0EES1B_EEDaS16_S17_EUlS16_E_NS1_11comp_targetILNS1_3genE5ELNS1_11target_archE942ELNS1_3gpuE9ELNS1_3repE0EEENS1_30default_config_static_selectorELNS0_4arch9wavefront6targetE0EEEvT1_
		.amdhsa_group_segment_fixed_size 0
		.amdhsa_private_segment_fixed_size 0
		.amdhsa_kernarg_size 120
		.amdhsa_user_sgpr_count 2
		.amdhsa_user_sgpr_dispatch_ptr 0
		.amdhsa_user_sgpr_queue_ptr 0
		.amdhsa_user_sgpr_kernarg_segment_ptr 1
		.amdhsa_user_sgpr_dispatch_id 0
		.amdhsa_user_sgpr_private_segment_size 0
		.amdhsa_wavefront_size32 1
		.amdhsa_uses_dynamic_stack 0
		.amdhsa_enable_private_segment 0
		.amdhsa_system_sgpr_workgroup_id_x 1
		.amdhsa_system_sgpr_workgroup_id_y 0
		.amdhsa_system_sgpr_workgroup_id_z 0
		.amdhsa_system_sgpr_workgroup_info 0
		.amdhsa_system_vgpr_workitem_id 0
		.amdhsa_next_free_vgpr 1
		.amdhsa_next_free_sgpr 1
		.amdhsa_reserve_vcc 0
		.amdhsa_float_round_mode_32 0
		.amdhsa_float_round_mode_16_64 0
		.amdhsa_float_denorm_mode_32 3
		.amdhsa_float_denorm_mode_16_64 3
		.amdhsa_fp16_overflow 0
		.amdhsa_workgroup_processor_mode 1
		.amdhsa_memory_ordered 1
		.amdhsa_forward_progress 1
		.amdhsa_inst_pref_size 0
		.amdhsa_round_robin_scheduling 0
		.amdhsa_exception_fp_ieee_invalid_op 0
		.amdhsa_exception_fp_denorm_src 0
		.amdhsa_exception_fp_ieee_div_zero 0
		.amdhsa_exception_fp_ieee_overflow 0
		.amdhsa_exception_fp_ieee_underflow 0
		.amdhsa_exception_fp_ieee_inexact 0
		.amdhsa_exception_int_div_zero 0
	.end_amdhsa_kernel
	.section	.text._ZN7rocprim17ROCPRIM_400000_NS6detail17trampoline_kernelINS0_14default_configENS1_25partition_config_selectorILNS1_17partition_subalgoE5EdNS0_10empty_typeEbEEZZNS1_14partition_implILS5_5ELb0ES3_mN6thrust23THRUST_200600_302600_NS6detail15normal_iteratorINSA_10device_ptrIdEEEEPS6_NSA_18transform_iteratorINSB_9not_fun_tINSA_8identityIdEEEESF_NSA_11use_defaultESM_EENS0_5tupleIJSF_S6_EEENSO_IJSG_SG_EEES6_PlJS6_EEE10hipError_tPvRmT3_T4_T5_T6_T7_T9_mT8_P12ihipStream_tbDpT10_ENKUlT_T0_E_clISt17integral_constantIbLb0EES1B_EEDaS16_S17_EUlS16_E_NS1_11comp_targetILNS1_3genE5ELNS1_11target_archE942ELNS1_3gpuE9ELNS1_3repE0EEENS1_30default_config_static_selectorELNS0_4arch9wavefront6targetE0EEEvT1_,"axG",@progbits,_ZN7rocprim17ROCPRIM_400000_NS6detail17trampoline_kernelINS0_14default_configENS1_25partition_config_selectorILNS1_17partition_subalgoE5EdNS0_10empty_typeEbEEZZNS1_14partition_implILS5_5ELb0ES3_mN6thrust23THRUST_200600_302600_NS6detail15normal_iteratorINSA_10device_ptrIdEEEEPS6_NSA_18transform_iteratorINSB_9not_fun_tINSA_8identityIdEEEESF_NSA_11use_defaultESM_EENS0_5tupleIJSF_S6_EEENSO_IJSG_SG_EEES6_PlJS6_EEE10hipError_tPvRmT3_T4_T5_T6_T7_T9_mT8_P12ihipStream_tbDpT10_ENKUlT_T0_E_clISt17integral_constantIbLb0EES1B_EEDaS16_S17_EUlS16_E_NS1_11comp_targetILNS1_3genE5ELNS1_11target_archE942ELNS1_3gpuE9ELNS1_3repE0EEENS1_30default_config_static_selectorELNS0_4arch9wavefront6targetE0EEEvT1_,comdat
.Lfunc_end790:
	.size	_ZN7rocprim17ROCPRIM_400000_NS6detail17trampoline_kernelINS0_14default_configENS1_25partition_config_selectorILNS1_17partition_subalgoE5EdNS0_10empty_typeEbEEZZNS1_14partition_implILS5_5ELb0ES3_mN6thrust23THRUST_200600_302600_NS6detail15normal_iteratorINSA_10device_ptrIdEEEEPS6_NSA_18transform_iteratorINSB_9not_fun_tINSA_8identityIdEEEESF_NSA_11use_defaultESM_EENS0_5tupleIJSF_S6_EEENSO_IJSG_SG_EEES6_PlJS6_EEE10hipError_tPvRmT3_T4_T5_T6_T7_T9_mT8_P12ihipStream_tbDpT10_ENKUlT_T0_E_clISt17integral_constantIbLb0EES1B_EEDaS16_S17_EUlS16_E_NS1_11comp_targetILNS1_3genE5ELNS1_11target_archE942ELNS1_3gpuE9ELNS1_3repE0EEENS1_30default_config_static_selectorELNS0_4arch9wavefront6targetE0EEEvT1_, .Lfunc_end790-_ZN7rocprim17ROCPRIM_400000_NS6detail17trampoline_kernelINS0_14default_configENS1_25partition_config_selectorILNS1_17partition_subalgoE5EdNS0_10empty_typeEbEEZZNS1_14partition_implILS5_5ELb0ES3_mN6thrust23THRUST_200600_302600_NS6detail15normal_iteratorINSA_10device_ptrIdEEEEPS6_NSA_18transform_iteratorINSB_9not_fun_tINSA_8identityIdEEEESF_NSA_11use_defaultESM_EENS0_5tupleIJSF_S6_EEENSO_IJSG_SG_EEES6_PlJS6_EEE10hipError_tPvRmT3_T4_T5_T6_T7_T9_mT8_P12ihipStream_tbDpT10_ENKUlT_T0_E_clISt17integral_constantIbLb0EES1B_EEDaS16_S17_EUlS16_E_NS1_11comp_targetILNS1_3genE5ELNS1_11target_archE942ELNS1_3gpuE9ELNS1_3repE0EEENS1_30default_config_static_selectorELNS0_4arch9wavefront6targetE0EEEvT1_
                                        ; -- End function
	.set _ZN7rocprim17ROCPRIM_400000_NS6detail17trampoline_kernelINS0_14default_configENS1_25partition_config_selectorILNS1_17partition_subalgoE5EdNS0_10empty_typeEbEEZZNS1_14partition_implILS5_5ELb0ES3_mN6thrust23THRUST_200600_302600_NS6detail15normal_iteratorINSA_10device_ptrIdEEEEPS6_NSA_18transform_iteratorINSB_9not_fun_tINSA_8identityIdEEEESF_NSA_11use_defaultESM_EENS0_5tupleIJSF_S6_EEENSO_IJSG_SG_EEES6_PlJS6_EEE10hipError_tPvRmT3_T4_T5_T6_T7_T9_mT8_P12ihipStream_tbDpT10_ENKUlT_T0_E_clISt17integral_constantIbLb0EES1B_EEDaS16_S17_EUlS16_E_NS1_11comp_targetILNS1_3genE5ELNS1_11target_archE942ELNS1_3gpuE9ELNS1_3repE0EEENS1_30default_config_static_selectorELNS0_4arch9wavefront6targetE0EEEvT1_.num_vgpr, 0
	.set _ZN7rocprim17ROCPRIM_400000_NS6detail17trampoline_kernelINS0_14default_configENS1_25partition_config_selectorILNS1_17partition_subalgoE5EdNS0_10empty_typeEbEEZZNS1_14partition_implILS5_5ELb0ES3_mN6thrust23THRUST_200600_302600_NS6detail15normal_iteratorINSA_10device_ptrIdEEEEPS6_NSA_18transform_iteratorINSB_9not_fun_tINSA_8identityIdEEEESF_NSA_11use_defaultESM_EENS0_5tupleIJSF_S6_EEENSO_IJSG_SG_EEES6_PlJS6_EEE10hipError_tPvRmT3_T4_T5_T6_T7_T9_mT8_P12ihipStream_tbDpT10_ENKUlT_T0_E_clISt17integral_constantIbLb0EES1B_EEDaS16_S17_EUlS16_E_NS1_11comp_targetILNS1_3genE5ELNS1_11target_archE942ELNS1_3gpuE9ELNS1_3repE0EEENS1_30default_config_static_selectorELNS0_4arch9wavefront6targetE0EEEvT1_.num_agpr, 0
	.set _ZN7rocprim17ROCPRIM_400000_NS6detail17trampoline_kernelINS0_14default_configENS1_25partition_config_selectorILNS1_17partition_subalgoE5EdNS0_10empty_typeEbEEZZNS1_14partition_implILS5_5ELb0ES3_mN6thrust23THRUST_200600_302600_NS6detail15normal_iteratorINSA_10device_ptrIdEEEEPS6_NSA_18transform_iteratorINSB_9not_fun_tINSA_8identityIdEEEESF_NSA_11use_defaultESM_EENS0_5tupleIJSF_S6_EEENSO_IJSG_SG_EEES6_PlJS6_EEE10hipError_tPvRmT3_T4_T5_T6_T7_T9_mT8_P12ihipStream_tbDpT10_ENKUlT_T0_E_clISt17integral_constantIbLb0EES1B_EEDaS16_S17_EUlS16_E_NS1_11comp_targetILNS1_3genE5ELNS1_11target_archE942ELNS1_3gpuE9ELNS1_3repE0EEENS1_30default_config_static_selectorELNS0_4arch9wavefront6targetE0EEEvT1_.numbered_sgpr, 0
	.set _ZN7rocprim17ROCPRIM_400000_NS6detail17trampoline_kernelINS0_14default_configENS1_25partition_config_selectorILNS1_17partition_subalgoE5EdNS0_10empty_typeEbEEZZNS1_14partition_implILS5_5ELb0ES3_mN6thrust23THRUST_200600_302600_NS6detail15normal_iteratorINSA_10device_ptrIdEEEEPS6_NSA_18transform_iteratorINSB_9not_fun_tINSA_8identityIdEEEESF_NSA_11use_defaultESM_EENS0_5tupleIJSF_S6_EEENSO_IJSG_SG_EEES6_PlJS6_EEE10hipError_tPvRmT3_T4_T5_T6_T7_T9_mT8_P12ihipStream_tbDpT10_ENKUlT_T0_E_clISt17integral_constantIbLb0EES1B_EEDaS16_S17_EUlS16_E_NS1_11comp_targetILNS1_3genE5ELNS1_11target_archE942ELNS1_3gpuE9ELNS1_3repE0EEENS1_30default_config_static_selectorELNS0_4arch9wavefront6targetE0EEEvT1_.num_named_barrier, 0
	.set _ZN7rocprim17ROCPRIM_400000_NS6detail17trampoline_kernelINS0_14default_configENS1_25partition_config_selectorILNS1_17partition_subalgoE5EdNS0_10empty_typeEbEEZZNS1_14partition_implILS5_5ELb0ES3_mN6thrust23THRUST_200600_302600_NS6detail15normal_iteratorINSA_10device_ptrIdEEEEPS6_NSA_18transform_iteratorINSB_9not_fun_tINSA_8identityIdEEEESF_NSA_11use_defaultESM_EENS0_5tupleIJSF_S6_EEENSO_IJSG_SG_EEES6_PlJS6_EEE10hipError_tPvRmT3_T4_T5_T6_T7_T9_mT8_P12ihipStream_tbDpT10_ENKUlT_T0_E_clISt17integral_constantIbLb0EES1B_EEDaS16_S17_EUlS16_E_NS1_11comp_targetILNS1_3genE5ELNS1_11target_archE942ELNS1_3gpuE9ELNS1_3repE0EEENS1_30default_config_static_selectorELNS0_4arch9wavefront6targetE0EEEvT1_.private_seg_size, 0
	.set _ZN7rocprim17ROCPRIM_400000_NS6detail17trampoline_kernelINS0_14default_configENS1_25partition_config_selectorILNS1_17partition_subalgoE5EdNS0_10empty_typeEbEEZZNS1_14partition_implILS5_5ELb0ES3_mN6thrust23THRUST_200600_302600_NS6detail15normal_iteratorINSA_10device_ptrIdEEEEPS6_NSA_18transform_iteratorINSB_9not_fun_tINSA_8identityIdEEEESF_NSA_11use_defaultESM_EENS0_5tupleIJSF_S6_EEENSO_IJSG_SG_EEES6_PlJS6_EEE10hipError_tPvRmT3_T4_T5_T6_T7_T9_mT8_P12ihipStream_tbDpT10_ENKUlT_T0_E_clISt17integral_constantIbLb0EES1B_EEDaS16_S17_EUlS16_E_NS1_11comp_targetILNS1_3genE5ELNS1_11target_archE942ELNS1_3gpuE9ELNS1_3repE0EEENS1_30default_config_static_selectorELNS0_4arch9wavefront6targetE0EEEvT1_.uses_vcc, 0
	.set _ZN7rocprim17ROCPRIM_400000_NS6detail17trampoline_kernelINS0_14default_configENS1_25partition_config_selectorILNS1_17partition_subalgoE5EdNS0_10empty_typeEbEEZZNS1_14partition_implILS5_5ELb0ES3_mN6thrust23THRUST_200600_302600_NS6detail15normal_iteratorINSA_10device_ptrIdEEEEPS6_NSA_18transform_iteratorINSB_9not_fun_tINSA_8identityIdEEEESF_NSA_11use_defaultESM_EENS0_5tupleIJSF_S6_EEENSO_IJSG_SG_EEES6_PlJS6_EEE10hipError_tPvRmT3_T4_T5_T6_T7_T9_mT8_P12ihipStream_tbDpT10_ENKUlT_T0_E_clISt17integral_constantIbLb0EES1B_EEDaS16_S17_EUlS16_E_NS1_11comp_targetILNS1_3genE5ELNS1_11target_archE942ELNS1_3gpuE9ELNS1_3repE0EEENS1_30default_config_static_selectorELNS0_4arch9wavefront6targetE0EEEvT1_.uses_flat_scratch, 0
	.set _ZN7rocprim17ROCPRIM_400000_NS6detail17trampoline_kernelINS0_14default_configENS1_25partition_config_selectorILNS1_17partition_subalgoE5EdNS0_10empty_typeEbEEZZNS1_14partition_implILS5_5ELb0ES3_mN6thrust23THRUST_200600_302600_NS6detail15normal_iteratorINSA_10device_ptrIdEEEEPS6_NSA_18transform_iteratorINSB_9not_fun_tINSA_8identityIdEEEESF_NSA_11use_defaultESM_EENS0_5tupleIJSF_S6_EEENSO_IJSG_SG_EEES6_PlJS6_EEE10hipError_tPvRmT3_T4_T5_T6_T7_T9_mT8_P12ihipStream_tbDpT10_ENKUlT_T0_E_clISt17integral_constantIbLb0EES1B_EEDaS16_S17_EUlS16_E_NS1_11comp_targetILNS1_3genE5ELNS1_11target_archE942ELNS1_3gpuE9ELNS1_3repE0EEENS1_30default_config_static_selectorELNS0_4arch9wavefront6targetE0EEEvT1_.has_dyn_sized_stack, 0
	.set _ZN7rocprim17ROCPRIM_400000_NS6detail17trampoline_kernelINS0_14default_configENS1_25partition_config_selectorILNS1_17partition_subalgoE5EdNS0_10empty_typeEbEEZZNS1_14partition_implILS5_5ELb0ES3_mN6thrust23THRUST_200600_302600_NS6detail15normal_iteratorINSA_10device_ptrIdEEEEPS6_NSA_18transform_iteratorINSB_9not_fun_tINSA_8identityIdEEEESF_NSA_11use_defaultESM_EENS0_5tupleIJSF_S6_EEENSO_IJSG_SG_EEES6_PlJS6_EEE10hipError_tPvRmT3_T4_T5_T6_T7_T9_mT8_P12ihipStream_tbDpT10_ENKUlT_T0_E_clISt17integral_constantIbLb0EES1B_EEDaS16_S17_EUlS16_E_NS1_11comp_targetILNS1_3genE5ELNS1_11target_archE942ELNS1_3gpuE9ELNS1_3repE0EEENS1_30default_config_static_selectorELNS0_4arch9wavefront6targetE0EEEvT1_.has_recursion, 0
	.set _ZN7rocprim17ROCPRIM_400000_NS6detail17trampoline_kernelINS0_14default_configENS1_25partition_config_selectorILNS1_17partition_subalgoE5EdNS0_10empty_typeEbEEZZNS1_14partition_implILS5_5ELb0ES3_mN6thrust23THRUST_200600_302600_NS6detail15normal_iteratorINSA_10device_ptrIdEEEEPS6_NSA_18transform_iteratorINSB_9not_fun_tINSA_8identityIdEEEESF_NSA_11use_defaultESM_EENS0_5tupleIJSF_S6_EEENSO_IJSG_SG_EEES6_PlJS6_EEE10hipError_tPvRmT3_T4_T5_T6_T7_T9_mT8_P12ihipStream_tbDpT10_ENKUlT_T0_E_clISt17integral_constantIbLb0EES1B_EEDaS16_S17_EUlS16_E_NS1_11comp_targetILNS1_3genE5ELNS1_11target_archE942ELNS1_3gpuE9ELNS1_3repE0EEENS1_30default_config_static_selectorELNS0_4arch9wavefront6targetE0EEEvT1_.has_indirect_call, 0
	.section	.AMDGPU.csdata,"",@progbits
; Kernel info:
; codeLenInByte = 0
; TotalNumSgprs: 0
; NumVgprs: 0
; ScratchSize: 0
; MemoryBound: 0
; FloatMode: 240
; IeeeMode: 1
; LDSByteSize: 0 bytes/workgroup (compile time only)
; SGPRBlocks: 0
; VGPRBlocks: 0
; NumSGPRsForWavesPerEU: 1
; NumVGPRsForWavesPerEU: 1
; Occupancy: 16
; WaveLimiterHint : 0
; COMPUTE_PGM_RSRC2:SCRATCH_EN: 0
; COMPUTE_PGM_RSRC2:USER_SGPR: 2
; COMPUTE_PGM_RSRC2:TRAP_HANDLER: 0
; COMPUTE_PGM_RSRC2:TGID_X_EN: 1
; COMPUTE_PGM_RSRC2:TGID_Y_EN: 0
; COMPUTE_PGM_RSRC2:TGID_Z_EN: 0
; COMPUTE_PGM_RSRC2:TIDIG_COMP_CNT: 0
	.section	.text._ZN7rocprim17ROCPRIM_400000_NS6detail17trampoline_kernelINS0_14default_configENS1_25partition_config_selectorILNS1_17partition_subalgoE5EdNS0_10empty_typeEbEEZZNS1_14partition_implILS5_5ELb0ES3_mN6thrust23THRUST_200600_302600_NS6detail15normal_iteratorINSA_10device_ptrIdEEEEPS6_NSA_18transform_iteratorINSB_9not_fun_tINSA_8identityIdEEEESF_NSA_11use_defaultESM_EENS0_5tupleIJSF_S6_EEENSO_IJSG_SG_EEES6_PlJS6_EEE10hipError_tPvRmT3_T4_T5_T6_T7_T9_mT8_P12ihipStream_tbDpT10_ENKUlT_T0_E_clISt17integral_constantIbLb0EES1B_EEDaS16_S17_EUlS16_E_NS1_11comp_targetILNS1_3genE4ELNS1_11target_archE910ELNS1_3gpuE8ELNS1_3repE0EEENS1_30default_config_static_selectorELNS0_4arch9wavefront6targetE0EEEvT1_,"axG",@progbits,_ZN7rocprim17ROCPRIM_400000_NS6detail17trampoline_kernelINS0_14default_configENS1_25partition_config_selectorILNS1_17partition_subalgoE5EdNS0_10empty_typeEbEEZZNS1_14partition_implILS5_5ELb0ES3_mN6thrust23THRUST_200600_302600_NS6detail15normal_iteratorINSA_10device_ptrIdEEEEPS6_NSA_18transform_iteratorINSB_9not_fun_tINSA_8identityIdEEEESF_NSA_11use_defaultESM_EENS0_5tupleIJSF_S6_EEENSO_IJSG_SG_EEES6_PlJS6_EEE10hipError_tPvRmT3_T4_T5_T6_T7_T9_mT8_P12ihipStream_tbDpT10_ENKUlT_T0_E_clISt17integral_constantIbLb0EES1B_EEDaS16_S17_EUlS16_E_NS1_11comp_targetILNS1_3genE4ELNS1_11target_archE910ELNS1_3gpuE8ELNS1_3repE0EEENS1_30default_config_static_selectorELNS0_4arch9wavefront6targetE0EEEvT1_,comdat
	.protected	_ZN7rocprim17ROCPRIM_400000_NS6detail17trampoline_kernelINS0_14default_configENS1_25partition_config_selectorILNS1_17partition_subalgoE5EdNS0_10empty_typeEbEEZZNS1_14partition_implILS5_5ELb0ES3_mN6thrust23THRUST_200600_302600_NS6detail15normal_iteratorINSA_10device_ptrIdEEEEPS6_NSA_18transform_iteratorINSB_9not_fun_tINSA_8identityIdEEEESF_NSA_11use_defaultESM_EENS0_5tupleIJSF_S6_EEENSO_IJSG_SG_EEES6_PlJS6_EEE10hipError_tPvRmT3_T4_T5_T6_T7_T9_mT8_P12ihipStream_tbDpT10_ENKUlT_T0_E_clISt17integral_constantIbLb0EES1B_EEDaS16_S17_EUlS16_E_NS1_11comp_targetILNS1_3genE4ELNS1_11target_archE910ELNS1_3gpuE8ELNS1_3repE0EEENS1_30default_config_static_selectorELNS0_4arch9wavefront6targetE0EEEvT1_ ; -- Begin function _ZN7rocprim17ROCPRIM_400000_NS6detail17trampoline_kernelINS0_14default_configENS1_25partition_config_selectorILNS1_17partition_subalgoE5EdNS0_10empty_typeEbEEZZNS1_14partition_implILS5_5ELb0ES3_mN6thrust23THRUST_200600_302600_NS6detail15normal_iteratorINSA_10device_ptrIdEEEEPS6_NSA_18transform_iteratorINSB_9not_fun_tINSA_8identityIdEEEESF_NSA_11use_defaultESM_EENS0_5tupleIJSF_S6_EEENSO_IJSG_SG_EEES6_PlJS6_EEE10hipError_tPvRmT3_T4_T5_T6_T7_T9_mT8_P12ihipStream_tbDpT10_ENKUlT_T0_E_clISt17integral_constantIbLb0EES1B_EEDaS16_S17_EUlS16_E_NS1_11comp_targetILNS1_3genE4ELNS1_11target_archE910ELNS1_3gpuE8ELNS1_3repE0EEENS1_30default_config_static_selectorELNS0_4arch9wavefront6targetE0EEEvT1_
	.globl	_ZN7rocprim17ROCPRIM_400000_NS6detail17trampoline_kernelINS0_14default_configENS1_25partition_config_selectorILNS1_17partition_subalgoE5EdNS0_10empty_typeEbEEZZNS1_14partition_implILS5_5ELb0ES3_mN6thrust23THRUST_200600_302600_NS6detail15normal_iteratorINSA_10device_ptrIdEEEEPS6_NSA_18transform_iteratorINSB_9not_fun_tINSA_8identityIdEEEESF_NSA_11use_defaultESM_EENS0_5tupleIJSF_S6_EEENSO_IJSG_SG_EEES6_PlJS6_EEE10hipError_tPvRmT3_T4_T5_T6_T7_T9_mT8_P12ihipStream_tbDpT10_ENKUlT_T0_E_clISt17integral_constantIbLb0EES1B_EEDaS16_S17_EUlS16_E_NS1_11comp_targetILNS1_3genE4ELNS1_11target_archE910ELNS1_3gpuE8ELNS1_3repE0EEENS1_30default_config_static_selectorELNS0_4arch9wavefront6targetE0EEEvT1_
	.p2align	8
	.type	_ZN7rocprim17ROCPRIM_400000_NS6detail17trampoline_kernelINS0_14default_configENS1_25partition_config_selectorILNS1_17partition_subalgoE5EdNS0_10empty_typeEbEEZZNS1_14partition_implILS5_5ELb0ES3_mN6thrust23THRUST_200600_302600_NS6detail15normal_iteratorINSA_10device_ptrIdEEEEPS6_NSA_18transform_iteratorINSB_9not_fun_tINSA_8identityIdEEEESF_NSA_11use_defaultESM_EENS0_5tupleIJSF_S6_EEENSO_IJSG_SG_EEES6_PlJS6_EEE10hipError_tPvRmT3_T4_T5_T6_T7_T9_mT8_P12ihipStream_tbDpT10_ENKUlT_T0_E_clISt17integral_constantIbLb0EES1B_EEDaS16_S17_EUlS16_E_NS1_11comp_targetILNS1_3genE4ELNS1_11target_archE910ELNS1_3gpuE8ELNS1_3repE0EEENS1_30default_config_static_selectorELNS0_4arch9wavefront6targetE0EEEvT1_,@function
_ZN7rocprim17ROCPRIM_400000_NS6detail17trampoline_kernelINS0_14default_configENS1_25partition_config_selectorILNS1_17partition_subalgoE5EdNS0_10empty_typeEbEEZZNS1_14partition_implILS5_5ELb0ES3_mN6thrust23THRUST_200600_302600_NS6detail15normal_iteratorINSA_10device_ptrIdEEEEPS6_NSA_18transform_iteratorINSB_9not_fun_tINSA_8identityIdEEEESF_NSA_11use_defaultESM_EENS0_5tupleIJSF_S6_EEENSO_IJSG_SG_EEES6_PlJS6_EEE10hipError_tPvRmT3_T4_T5_T6_T7_T9_mT8_P12ihipStream_tbDpT10_ENKUlT_T0_E_clISt17integral_constantIbLb0EES1B_EEDaS16_S17_EUlS16_E_NS1_11comp_targetILNS1_3genE4ELNS1_11target_archE910ELNS1_3gpuE8ELNS1_3repE0EEENS1_30default_config_static_selectorELNS0_4arch9wavefront6targetE0EEEvT1_: ; @_ZN7rocprim17ROCPRIM_400000_NS6detail17trampoline_kernelINS0_14default_configENS1_25partition_config_selectorILNS1_17partition_subalgoE5EdNS0_10empty_typeEbEEZZNS1_14partition_implILS5_5ELb0ES3_mN6thrust23THRUST_200600_302600_NS6detail15normal_iteratorINSA_10device_ptrIdEEEEPS6_NSA_18transform_iteratorINSB_9not_fun_tINSA_8identityIdEEEESF_NSA_11use_defaultESM_EENS0_5tupleIJSF_S6_EEENSO_IJSG_SG_EEES6_PlJS6_EEE10hipError_tPvRmT3_T4_T5_T6_T7_T9_mT8_P12ihipStream_tbDpT10_ENKUlT_T0_E_clISt17integral_constantIbLb0EES1B_EEDaS16_S17_EUlS16_E_NS1_11comp_targetILNS1_3genE4ELNS1_11target_archE910ELNS1_3gpuE8ELNS1_3repE0EEENS1_30default_config_static_selectorELNS0_4arch9wavefront6targetE0EEEvT1_
; %bb.0:
	.section	.rodata,"a",@progbits
	.p2align	6, 0x0
	.amdhsa_kernel _ZN7rocprim17ROCPRIM_400000_NS6detail17trampoline_kernelINS0_14default_configENS1_25partition_config_selectorILNS1_17partition_subalgoE5EdNS0_10empty_typeEbEEZZNS1_14partition_implILS5_5ELb0ES3_mN6thrust23THRUST_200600_302600_NS6detail15normal_iteratorINSA_10device_ptrIdEEEEPS6_NSA_18transform_iteratorINSB_9not_fun_tINSA_8identityIdEEEESF_NSA_11use_defaultESM_EENS0_5tupleIJSF_S6_EEENSO_IJSG_SG_EEES6_PlJS6_EEE10hipError_tPvRmT3_T4_T5_T6_T7_T9_mT8_P12ihipStream_tbDpT10_ENKUlT_T0_E_clISt17integral_constantIbLb0EES1B_EEDaS16_S17_EUlS16_E_NS1_11comp_targetILNS1_3genE4ELNS1_11target_archE910ELNS1_3gpuE8ELNS1_3repE0EEENS1_30default_config_static_selectorELNS0_4arch9wavefront6targetE0EEEvT1_
		.amdhsa_group_segment_fixed_size 0
		.amdhsa_private_segment_fixed_size 0
		.amdhsa_kernarg_size 120
		.amdhsa_user_sgpr_count 2
		.amdhsa_user_sgpr_dispatch_ptr 0
		.amdhsa_user_sgpr_queue_ptr 0
		.amdhsa_user_sgpr_kernarg_segment_ptr 1
		.amdhsa_user_sgpr_dispatch_id 0
		.amdhsa_user_sgpr_private_segment_size 0
		.amdhsa_wavefront_size32 1
		.amdhsa_uses_dynamic_stack 0
		.amdhsa_enable_private_segment 0
		.amdhsa_system_sgpr_workgroup_id_x 1
		.amdhsa_system_sgpr_workgroup_id_y 0
		.amdhsa_system_sgpr_workgroup_id_z 0
		.amdhsa_system_sgpr_workgroup_info 0
		.amdhsa_system_vgpr_workitem_id 0
		.amdhsa_next_free_vgpr 1
		.amdhsa_next_free_sgpr 1
		.amdhsa_reserve_vcc 0
		.amdhsa_float_round_mode_32 0
		.amdhsa_float_round_mode_16_64 0
		.amdhsa_float_denorm_mode_32 3
		.amdhsa_float_denorm_mode_16_64 3
		.amdhsa_fp16_overflow 0
		.amdhsa_workgroup_processor_mode 1
		.amdhsa_memory_ordered 1
		.amdhsa_forward_progress 1
		.amdhsa_inst_pref_size 0
		.amdhsa_round_robin_scheduling 0
		.amdhsa_exception_fp_ieee_invalid_op 0
		.amdhsa_exception_fp_denorm_src 0
		.amdhsa_exception_fp_ieee_div_zero 0
		.amdhsa_exception_fp_ieee_overflow 0
		.amdhsa_exception_fp_ieee_underflow 0
		.amdhsa_exception_fp_ieee_inexact 0
		.amdhsa_exception_int_div_zero 0
	.end_amdhsa_kernel
	.section	.text._ZN7rocprim17ROCPRIM_400000_NS6detail17trampoline_kernelINS0_14default_configENS1_25partition_config_selectorILNS1_17partition_subalgoE5EdNS0_10empty_typeEbEEZZNS1_14partition_implILS5_5ELb0ES3_mN6thrust23THRUST_200600_302600_NS6detail15normal_iteratorINSA_10device_ptrIdEEEEPS6_NSA_18transform_iteratorINSB_9not_fun_tINSA_8identityIdEEEESF_NSA_11use_defaultESM_EENS0_5tupleIJSF_S6_EEENSO_IJSG_SG_EEES6_PlJS6_EEE10hipError_tPvRmT3_T4_T5_T6_T7_T9_mT8_P12ihipStream_tbDpT10_ENKUlT_T0_E_clISt17integral_constantIbLb0EES1B_EEDaS16_S17_EUlS16_E_NS1_11comp_targetILNS1_3genE4ELNS1_11target_archE910ELNS1_3gpuE8ELNS1_3repE0EEENS1_30default_config_static_selectorELNS0_4arch9wavefront6targetE0EEEvT1_,"axG",@progbits,_ZN7rocprim17ROCPRIM_400000_NS6detail17trampoline_kernelINS0_14default_configENS1_25partition_config_selectorILNS1_17partition_subalgoE5EdNS0_10empty_typeEbEEZZNS1_14partition_implILS5_5ELb0ES3_mN6thrust23THRUST_200600_302600_NS6detail15normal_iteratorINSA_10device_ptrIdEEEEPS6_NSA_18transform_iteratorINSB_9not_fun_tINSA_8identityIdEEEESF_NSA_11use_defaultESM_EENS0_5tupleIJSF_S6_EEENSO_IJSG_SG_EEES6_PlJS6_EEE10hipError_tPvRmT3_T4_T5_T6_T7_T9_mT8_P12ihipStream_tbDpT10_ENKUlT_T0_E_clISt17integral_constantIbLb0EES1B_EEDaS16_S17_EUlS16_E_NS1_11comp_targetILNS1_3genE4ELNS1_11target_archE910ELNS1_3gpuE8ELNS1_3repE0EEENS1_30default_config_static_selectorELNS0_4arch9wavefront6targetE0EEEvT1_,comdat
.Lfunc_end791:
	.size	_ZN7rocprim17ROCPRIM_400000_NS6detail17trampoline_kernelINS0_14default_configENS1_25partition_config_selectorILNS1_17partition_subalgoE5EdNS0_10empty_typeEbEEZZNS1_14partition_implILS5_5ELb0ES3_mN6thrust23THRUST_200600_302600_NS6detail15normal_iteratorINSA_10device_ptrIdEEEEPS6_NSA_18transform_iteratorINSB_9not_fun_tINSA_8identityIdEEEESF_NSA_11use_defaultESM_EENS0_5tupleIJSF_S6_EEENSO_IJSG_SG_EEES6_PlJS6_EEE10hipError_tPvRmT3_T4_T5_T6_T7_T9_mT8_P12ihipStream_tbDpT10_ENKUlT_T0_E_clISt17integral_constantIbLb0EES1B_EEDaS16_S17_EUlS16_E_NS1_11comp_targetILNS1_3genE4ELNS1_11target_archE910ELNS1_3gpuE8ELNS1_3repE0EEENS1_30default_config_static_selectorELNS0_4arch9wavefront6targetE0EEEvT1_, .Lfunc_end791-_ZN7rocprim17ROCPRIM_400000_NS6detail17trampoline_kernelINS0_14default_configENS1_25partition_config_selectorILNS1_17partition_subalgoE5EdNS0_10empty_typeEbEEZZNS1_14partition_implILS5_5ELb0ES3_mN6thrust23THRUST_200600_302600_NS6detail15normal_iteratorINSA_10device_ptrIdEEEEPS6_NSA_18transform_iteratorINSB_9not_fun_tINSA_8identityIdEEEESF_NSA_11use_defaultESM_EENS0_5tupleIJSF_S6_EEENSO_IJSG_SG_EEES6_PlJS6_EEE10hipError_tPvRmT3_T4_T5_T6_T7_T9_mT8_P12ihipStream_tbDpT10_ENKUlT_T0_E_clISt17integral_constantIbLb0EES1B_EEDaS16_S17_EUlS16_E_NS1_11comp_targetILNS1_3genE4ELNS1_11target_archE910ELNS1_3gpuE8ELNS1_3repE0EEENS1_30default_config_static_selectorELNS0_4arch9wavefront6targetE0EEEvT1_
                                        ; -- End function
	.set _ZN7rocprim17ROCPRIM_400000_NS6detail17trampoline_kernelINS0_14default_configENS1_25partition_config_selectorILNS1_17partition_subalgoE5EdNS0_10empty_typeEbEEZZNS1_14partition_implILS5_5ELb0ES3_mN6thrust23THRUST_200600_302600_NS6detail15normal_iteratorINSA_10device_ptrIdEEEEPS6_NSA_18transform_iteratorINSB_9not_fun_tINSA_8identityIdEEEESF_NSA_11use_defaultESM_EENS0_5tupleIJSF_S6_EEENSO_IJSG_SG_EEES6_PlJS6_EEE10hipError_tPvRmT3_T4_T5_T6_T7_T9_mT8_P12ihipStream_tbDpT10_ENKUlT_T0_E_clISt17integral_constantIbLb0EES1B_EEDaS16_S17_EUlS16_E_NS1_11comp_targetILNS1_3genE4ELNS1_11target_archE910ELNS1_3gpuE8ELNS1_3repE0EEENS1_30default_config_static_selectorELNS0_4arch9wavefront6targetE0EEEvT1_.num_vgpr, 0
	.set _ZN7rocprim17ROCPRIM_400000_NS6detail17trampoline_kernelINS0_14default_configENS1_25partition_config_selectorILNS1_17partition_subalgoE5EdNS0_10empty_typeEbEEZZNS1_14partition_implILS5_5ELb0ES3_mN6thrust23THRUST_200600_302600_NS6detail15normal_iteratorINSA_10device_ptrIdEEEEPS6_NSA_18transform_iteratorINSB_9not_fun_tINSA_8identityIdEEEESF_NSA_11use_defaultESM_EENS0_5tupleIJSF_S6_EEENSO_IJSG_SG_EEES6_PlJS6_EEE10hipError_tPvRmT3_T4_T5_T6_T7_T9_mT8_P12ihipStream_tbDpT10_ENKUlT_T0_E_clISt17integral_constantIbLb0EES1B_EEDaS16_S17_EUlS16_E_NS1_11comp_targetILNS1_3genE4ELNS1_11target_archE910ELNS1_3gpuE8ELNS1_3repE0EEENS1_30default_config_static_selectorELNS0_4arch9wavefront6targetE0EEEvT1_.num_agpr, 0
	.set _ZN7rocprim17ROCPRIM_400000_NS6detail17trampoline_kernelINS0_14default_configENS1_25partition_config_selectorILNS1_17partition_subalgoE5EdNS0_10empty_typeEbEEZZNS1_14partition_implILS5_5ELb0ES3_mN6thrust23THRUST_200600_302600_NS6detail15normal_iteratorINSA_10device_ptrIdEEEEPS6_NSA_18transform_iteratorINSB_9not_fun_tINSA_8identityIdEEEESF_NSA_11use_defaultESM_EENS0_5tupleIJSF_S6_EEENSO_IJSG_SG_EEES6_PlJS6_EEE10hipError_tPvRmT3_T4_T5_T6_T7_T9_mT8_P12ihipStream_tbDpT10_ENKUlT_T0_E_clISt17integral_constantIbLb0EES1B_EEDaS16_S17_EUlS16_E_NS1_11comp_targetILNS1_3genE4ELNS1_11target_archE910ELNS1_3gpuE8ELNS1_3repE0EEENS1_30default_config_static_selectorELNS0_4arch9wavefront6targetE0EEEvT1_.numbered_sgpr, 0
	.set _ZN7rocprim17ROCPRIM_400000_NS6detail17trampoline_kernelINS0_14default_configENS1_25partition_config_selectorILNS1_17partition_subalgoE5EdNS0_10empty_typeEbEEZZNS1_14partition_implILS5_5ELb0ES3_mN6thrust23THRUST_200600_302600_NS6detail15normal_iteratorINSA_10device_ptrIdEEEEPS6_NSA_18transform_iteratorINSB_9not_fun_tINSA_8identityIdEEEESF_NSA_11use_defaultESM_EENS0_5tupleIJSF_S6_EEENSO_IJSG_SG_EEES6_PlJS6_EEE10hipError_tPvRmT3_T4_T5_T6_T7_T9_mT8_P12ihipStream_tbDpT10_ENKUlT_T0_E_clISt17integral_constantIbLb0EES1B_EEDaS16_S17_EUlS16_E_NS1_11comp_targetILNS1_3genE4ELNS1_11target_archE910ELNS1_3gpuE8ELNS1_3repE0EEENS1_30default_config_static_selectorELNS0_4arch9wavefront6targetE0EEEvT1_.num_named_barrier, 0
	.set _ZN7rocprim17ROCPRIM_400000_NS6detail17trampoline_kernelINS0_14default_configENS1_25partition_config_selectorILNS1_17partition_subalgoE5EdNS0_10empty_typeEbEEZZNS1_14partition_implILS5_5ELb0ES3_mN6thrust23THRUST_200600_302600_NS6detail15normal_iteratorINSA_10device_ptrIdEEEEPS6_NSA_18transform_iteratorINSB_9not_fun_tINSA_8identityIdEEEESF_NSA_11use_defaultESM_EENS0_5tupleIJSF_S6_EEENSO_IJSG_SG_EEES6_PlJS6_EEE10hipError_tPvRmT3_T4_T5_T6_T7_T9_mT8_P12ihipStream_tbDpT10_ENKUlT_T0_E_clISt17integral_constantIbLb0EES1B_EEDaS16_S17_EUlS16_E_NS1_11comp_targetILNS1_3genE4ELNS1_11target_archE910ELNS1_3gpuE8ELNS1_3repE0EEENS1_30default_config_static_selectorELNS0_4arch9wavefront6targetE0EEEvT1_.private_seg_size, 0
	.set _ZN7rocprim17ROCPRIM_400000_NS6detail17trampoline_kernelINS0_14default_configENS1_25partition_config_selectorILNS1_17partition_subalgoE5EdNS0_10empty_typeEbEEZZNS1_14partition_implILS5_5ELb0ES3_mN6thrust23THRUST_200600_302600_NS6detail15normal_iteratorINSA_10device_ptrIdEEEEPS6_NSA_18transform_iteratorINSB_9not_fun_tINSA_8identityIdEEEESF_NSA_11use_defaultESM_EENS0_5tupleIJSF_S6_EEENSO_IJSG_SG_EEES6_PlJS6_EEE10hipError_tPvRmT3_T4_T5_T6_T7_T9_mT8_P12ihipStream_tbDpT10_ENKUlT_T0_E_clISt17integral_constantIbLb0EES1B_EEDaS16_S17_EUlS16_E_NS1_11comp_targetILNS1_3genE4ELNS1_11target_archE910ELNS1_3gpuE8ELNS1_3repE0EEENS1_30default_config_static_selectorELNS0_4arch9wavefront6targetE0EEEvT1_.uses_vcc, 0
	.set _ZN7rocprim17ROCPRIM_400000_NS6detail17trampoline_kernelINS0_14default_configENS1_25partition_config_selectorILNS1_17partition_subalgoE5EdNS0_10empty_typeEbEEZZNS1_14partition_implILS5_5ELb0ES3_mN6thrust23THRUST_200600_302600_NS6detail15normal_iteratorINSA_10device_ptrIdEEEEPS6_NSA_18transform_iteratorINSB_9not_fun_tINSA_8identityIdEEEESF_NSA_11use_defaultESM_EENS0_5tupleIJSF_S6_EEENSO_IJSG_SG_EEES6_PlJS6_EEE10hipError_tPvRmT3_T4_T5_T6_T7_T9_mT8_P12ihipStream_tbDpT10_ENKUlT_T0_E_clISt17integral_constantIbLb0EES1B_EEDaS16_S17_EUlS16_E_NS1_11comp_targetILNS1_3genE4ELNS1_11target_archE910ELNS1_3gpuE8ELNS1_3repE0EEENS1_30default_config_static_selectorELNS0_4arch9wavefront6targetE0EEEvT1_.uses_flat_scratch, 0
	.set _ZN7rocprim17ROCPRIM_400000_NS6detail17trampoline_kernelINS0_14default_configENS1_25partition_config_selectorILNS1_17partition_subalgoE5EdNS0_10empty_typeEbEEZZNS1_14partition_implILS5_5ELb0ES3_mN6thrust23THRUST_200600_302600_NS6detail15normal_iteratorINSA_10device_ptrIdEEEEPS6_NSA_18transform_iteratorINSB_9not_fun_tINSA_8identityIdEEEESF_NSA_11use_defaultESM_EENS0_5tupleIJSF_S6_EEENSO_IJSG_SG_EEES6_PlJS6_EEE10hipError_tPvRmT3_T4_T5_T6_T7_T9_mT8_P12ihipStream_tbDpT10_ENKUlT_T0_E_clISt17integral_constantIbLb0EES1B_EEDaS16_S17_EUlS16_E_NS1_11comp_targetILNS1_3genE4ELNS1_11target_archE910ELNS1_3gpuE8ELNS1_3repE0EEENS1_30default_config_static_selectorELNS0_4arch9wavefront6targetE0EEEvT1_.has_dyn_sized_stack, 0
	.set _ZN7rocprim17ROCPRIM_400000_NS6detail17trampoline_kernelINS0_14default_configENS1_25partition_config_selectorILNS1_17partition_subalgoE5EdNS0_10empty_typeEbEEZZNS1_14partition_implILS5_5ELb0ES3_mN6thrust23THRUST_200600_302600_NS6detail15normal_iteratorINSA_10device_ptrIdEEEEPS6_NSA_18transform_iteratorINSB_9not_fun_tINSA_8identityIdEEEESF_NSA_11use_defaultESM_EENS0_5tupleIJSF_S6_EEENSO_IJSG_SG_EEES6_PlJS6_EEE10hipError_tPvRmT3_T4_T5_T6_T7_T9_mT8_P12ihipStream_tbDpT10_ENKUlT_T0_E_clISt17integral_constantIbLb0EES1B_EEDaS16_S17_EUlS16_E_NS1_11comp_targetILNS1_3genE4ELNS1_11target_archE910ELNS1_3gpuE8ELNS1_3repE0EEENS1_30default_config_static_selectorELNS0_4arch9wavefront6targetE0EEEvT1_.has_recursion, 0
	.set _ZN7rocprim17ROCPRIM_400000_NS6detail17trampoline_kernelINS0_14default_configENS1_25partition_config_selectorILNS1_17partition_subalgoE5EdNS0_10empty_typeEbEEZZNS1_14partition_implILS5_5ELb0ES3_mN6thrust23THRUST_200600_302600_NS6detail15normal_iteratorINSA_10device_ptrIdEEEEPS6_NSA_18transform_iteratorINSB_9not_fun_tINSA_8identityIdEEEESF_NSA_11use_defaultESM_EENS0_5tupleIJSF_S6_EEENSO_IJSG_SG_EEES6_PlJS6_EEE10hipError_tPvRmT3_T4_T5_T6_T7_T9_mT8_P12ihipStream_tbDpT10_ENKUlT_T0_E_clISt17integral_constantIbLb0EES1B_EEDaS16_S17_EUlS16_E_NS1_11comp_targetILNS1_3genE4ELNS1_11target_archE910ELNS1_3gpuE8ELNS1_3repE0EEENS1_30default_config_static_selectorELNS0_4arch9wavefront6targetE0EEEvT1_.has_indirect_call, 0
	.section	.AMDGPU.csdata,"",@progbits
; Kernel info:
; codeLenInByte = 0
; TotalNumSgprs: 0
; NumVgprs: 0
; ScratchSize: 0
; MemoryBound: 0
; FloatMode: 240
; IeeeMode: 1
; LDSByteSize: 0 bytes/workgroup (compile time only)
; SGPRBlocks: 0
; VGPRBlocks: 0
; NumSGPRsForWavesPerEU: 1
; NumVGPRsForWavesPerEU: 1
; Occupancy: 16
; WaveLimiterHint : 0
; COMPUTE_PGM_RSRC2:SCRATCH_EN: 0
; COMPUTE_PGM_RSRC2:USER_SGPR: 2
; COMPUTE_PGM_RSRC2:TRAP_HANDLER: 0
; COMPUTE_PGM_RSRC2:TGID_X_EN: 1
; COMPUTE_PGM_RSRC2:TGID_Y_EN: 0
; COMPUTE_PGM_RSRC2:TGID_Z_EN: 0
; COMPUTE_PGM_RSRC2:TIDIG_COMP_CNT: 0
	.section	.text._ZN7rocprim17ROCPRIM_400000_NS6detail17trampoline_kernelINS0_14default_configENS1_25partition_config_selectorILNS1_17partition_subalgoE5EdNS0_10empty_typeEbEEZZNS1_14partition_implILS5_5ELb0ES3_mN6thrust23THRUST_200600_302600_NS6detail15normal_iteratorINSA_10device_ptrIdEEEEPS6_NSA_18transform_iteratorINSB_9not_fun_tINSA_8identityIdEEEESF_NSA_11use_defaultESM_EENS0_5tupleIJSF_S6_EEENSO_IJSG_SG_EEES6_PlJS6_EEE10hipError_tPvRmT3_T4_T5_T6_T7_T9_mT8_P12ihipStream_tbDpT10_ENKUlT_T0_E_clISt17integral_constantIbLb0EES1B_EEDaS16_S17_EUlS16_E_NS1_11comp_targetILNS1_3genE3ELNS1_11target_archE908ELNS1_3gpuE7ELNS1_3repE0EEENS1_30default_config_static_selectorELNS0_4arch9wavefront6targetE0EEEvT1_,"axG",@progbits,_ZN7rocprim17ROCPRIM_400000_NS6detail17trampoline_kernelINS0_14default_configENS1_25partition_config_selectorILNS1_17partition_subalgoE5EdNS0_10empty_typeEbEEZZNS1_14partition_implILS5_5ELb0ES3_mN6thrust23THRUST_200600_302600_NS6detail15normal_iteratorINSA_10device_ptrIdEEEEPS6_NSA_18transform_iteratorINSB_9not_fun_tINSA_8identityIdEEEESF_NSA_11use_defaultESM_EENS0_5tupleIJSF_S6_EEENSO_IJSG_SG_EEES6_PlJS6_EEE10hipError_tPvRmT3_T4_T5_T6_T7_T9_mT8_P12ihipStream_tbDpT10_ENKUlT_T0_E_clISt17integral_constantIbLb0EES1B_EEDaS16_S17_EUlS16_E_NS1_11comp_targetILNS1_3genE3ELNS1_11target_archE908ELNS1_3gpuE7ELNS1_3repE0EEENS1_30default_config_static_selectorELNS0_4arch9wavefront6targetE0EEEvT1_,comdat
	.protected	_ZN7rocprim17ROCPRIM_400000_NS6detail17trampoline_kernelINS0_14default_configENS1_25partition_config_selectorILNS1_17partition_subalgoE5EdNS0_10empty_typeEbEEZZNS1_14partition_implILS5_5ELb0ES3_mN6thrust23THRUST_200600_302600_NS6detail15normal_iteratorINSA_10device_ptrIdEEEEPS6_NSA_18transform_iteratorINSB_9not_fun_tINSA_8identityIdEEEESF_NSA_11use_defaultESM_EENS0_5tupleIJSF_S6_EEENSO_IJSG_SG_EEES6_PlJS6_EEE10hipError_tPvRmT3_T4_T5_T6_T7_T9_mT8_P12ihipStream_tbDpT10_ENKUlT_T0_E_clISt17integral_constantIbLb0EES1B_EEDaS16_S17_EUlS16_E_NS1_11comp_targetILNS1_3genE3ELNS1_11target_archE908ELNS1_3gpuE7ELNS1_3repE0EEENS1_30default_config_static_selectorELNS0_4arch9wavefront6targetE0EEEvT1_ ; -- Begin function _ZN7rocprim17ROCPRIM_400000_NS6detail17trampoline_kernelINS0_14default_configENS1_25partition_config_selectorILNS1_17partition_subalgoE5EdNS0_10empty_typeEbEEZZNS1_14partition_implILS5_5ELb0ES3_mN6thrust23THRUST_200600_302600_NS6detail15normal_iteratorINSA_10device_ptrIdEEEEPS6_NSA_18transform_iteratorINSB_9not_fun_tINSA_8identityIdEEEESF_NSA_11use_defaultESM_EENS0_5tupleIJSF_S6_EEENSO_IJSG_SG_EEES6_PlJS6_EEE10hipError_tPvRmT3_T4_T5_T6_T7_T9_mT8_P12ihipStream_tbDpT10_ENKUlT_T0_E_clISt17integral_constantIbLb0EES1B_EEDaS16_S17_EUlS16_E_NS1_11comp_targetILNS1_3genE3ELNS1_11target_archE908ELNS1_3gpuE7ELNS1_3repE0EEENS1_30default_config_static_selectorELNS0_4arch9wavefront6targetE0EEEvT1_
	.globl	_ZN7rocprim17ROCPRIM_400000_NS6detail17trampoline_kernelINS0_14default_configENS1_25partition_config_selectorILNS1_17partition_subalgoE5EdNS0_10empty_typeEbEEZZNS1_14partition_implILS5_5ELb0ES3_mN6thrust23THRUST_200600_302600_NS6detail15normal_iteratorINSA_10device_ptrIdEEEEPS6_NSA_18transform_iteratorINSB_9not_fun_tINSA_8identityIdEEEESF_NSA_11use_defaultESM_EENS0_5tupleIJSF_S6_EEENSO_IJSG_SG_EEES6_PlJS6_EEE10hipError_tPvRmT3_T4_T5_T6_T7_T9_mT8_P12ihipStream_tbDpT10_ENKUlT_T0_E_clISt17integral_constantIbLb0EES1B_EEDaS16_S17_EUlS16_E_NS1_11comp_targetILNS1_3genE3ELNS1_11target_archE908ELNS1_3gpuE7ELNS1_3repE0EEENS1_30default_config_static_selectorELNS0_4arch9wavefront6targetE0EEEvT1_
	.p2align	8
	.type	_ZN7rocprim17ROCPRIM_400000_NS6detail17trampoline_kernelINS0_14default_configENS1_25partition_config_selectorILNS1_17partition_subalgoE5EdNS0_10empty_typeEbEEZZNS1_14partition_implILS5_5ELb0ES3_mN6thrust23THRUST_200600_302600_NS6detail15normal_iteratorINSA_10device_ptrIdEEEEPS6_NSA_18transform_iteratorINSB_9not_fun_tINSA_8identityIdEEEESF_NSA_11use_defaultESM_EENS0_5tupleIJSF_S6_EEENSO_IJSG_SG_EEES6_PlJS6_EEE10hipError_tPvRmT3_T4_T5_T6_T7_T9_mT8_P12ihipStream_tbDpT10_ENKUlT_T0_E_clISt17integral_constantIbLb0EES1B_EEDaS16_S17_EUlS16_E_NS1_11comp_targetILNS1_3genE3ELNS1_11target_archE908ELNS1_3gpuE7ELNS1_3repE0EEENS1_30default_config_static_selectorELNS0_4arch9wavefront6targetE0EEEvT1_,@function
_ZN7rocprim17ROCPRIM_400000_NS6detail17trampoline_kernelINS0_14default_configENS1_25partition_config_selectorILNS1_17partition_subalgoE5EdNS0_10empty_typeEbEEZZNS1_14partition_implILS5_5ELb0ES3_mN6thrust23THRUST_200600_302600_NS6detail15normal_iteratorINSA_10device_ptrIdEEEEPS6_NSA_18transform_iteratorINSB_9not_fun_tINSA_8identityIdEEEESF_NSA_11use_defaultESM_EENS0_5tupleIJSF_S6_EEENSO_IJSG_SG_EEES6_PlJS6_EEE10hipError_tPvRmT3_T4_T5_T6_T7_T9_mT8_P12ihipStream_tbDpT10_ENKUlT_T0_E_clISt17integral_constantIbLb0EES1B_EEDaS16_S17_EUlS16_E_NS1_11comp_targetILNS1_3genE3ELNS1_11target_archE908ELNS1_3gpuE7ELNS1_3repE0EEENS1_30default_config_static_selectorELNS0_4arch9wavefront6targetE0EEEvT1_: ; @_ZN7rocprim17ROCPRIM_400000_NS6detail17trampoline_kernelINS0_14default_configENS1_25partition_config_selectorILNS1_17partition_subalgoE5EdNS0_10empty_typeEbEEZZNS1_14partition_implILS5_5ELb0ES3_mN6thrust23THRUST_200600_302600_NS6detail15normal_iteratorINSA_10device_ptrIdEEEEPS6_NSA_18transform_iteratorINSB_9not_fun_tINSA_8identityIdEEEESF_NSA_11use_defaultESM_EENS0_5tupleIJSF_S6_EEENSO_IJSG_SG_EEES6_PlJS6_EEE10hipError_tPvRmT3_T4_T5_T6_T7_T9_mT8_P12ihipStream_tbDpT10_ENKUlT_T0_E_clISt17integral_constantIbLb0EES1B_EEDaS16_S17_EUlS16_E_NS1_11comp_targetILNS1_3genE3ELNS1_11target_archE908ELNS1_3gpuE7ELNS1_3repE0EEENS1_30default_config_static_selectorELNS0_4arch9wavefront6targetE0EEEvT1_
; %bb.0:
	.section	.rodata,"a",@progbits
	.p2align	6, 0x0
	.amdhsa_kernel _ZN7rocprim17ROCPRIM_400000_NS6detail17trampoline_kernelINS0_14default_configENS1_25partition_config_selectorILNS1_17partition_subalgoE5EdNS0_10empty_typeEbEEZZNS1_14partition_implILS5_5ELb0ES3_mN6thrust23THRUST_200600_302600_NS6detail15normal_iteratorINSA_10device_ptrIdEEEEPS6_NSA_18transform_iteratorINSB_9not_fun_tINSA_8identityIdEEEESF_NSA_11use_defaultESM_EENS0_5tupleIJSF_S6_EEENSO_IJSG_SG_EEES6_PlJS6_EEE10hipError_tPvRmT3_T4_T5_T6_T7_T9_mT8_P12ihipStream_tbDpT10_ENKUlT_T0_E_clISt17integral_constantIbLb0EES1B_EEDaS16_S17_EUlS16_E_NS1_11comp_targetILNS1_3genE3ELNS1_11target_archE908ELNS1_3gpuE7ELNS1_3repE0EEENS1_30default_config_static_selectorELNS0_4arch9wavefront6targetE0EEEvT1_
		.amdhsa_group_segment_fixed_size 0
		.amdhsa_private_segment_fixed_size 0
		.amdhsa_kernarg_size 120
		.amdhsa_user_sgpr_count 2
		.amdhsa_user_sgpr_dispatch_ptr 0
		.amdhsa_user_sgpr_queue_ptr 0
		.amdhsa_user_sgpr_kernarg_segment_ptr 1
		.amdhsa_user_sgpr_dispatch_id 0
		.amdhsa_user_sgpr_private_segment_size 0
		.amdhsa_wavefront_size32 1
		.amdhsa_uses_dynamic_stack 0
		.amdhsa_enable_private_segment 0
		.amdhsa_system_sgpr_workgroup_id_x 1
		.amdhsa_system_sgpr_workgroup_id_y 0
		.amdhsa_system_sgpr_workgroup_id_z 0
		.amdhsa_system_sgpr_workgroup_info 0
		.amdhsa_system_vgpr_workitem_id 0
		.amdhsa_next_free_vgpr 1
		.amdhsa_next_free_sgpr 1
		.amdhsa_reserve_vcc 0
		.amdhsa_float_round_mode_32 0
		.amdhsa_float_round_mode_16_64 0
		.amdhsa_float_denorm_mode_32 3
		.amdhsa_float_denorm_mode_16_64 3
		.amdhsa_fp16_overflow 0
		.amdhsa_workgroup_processor_mode 1
		.amdhsa_memory_ordered 1
		.amdhsa_forward_progress 1
		.amdhsa_inst_pref_size 0
		.amdhsa_round_robin_scheduling 0
		.amdhsa_exception_fp_ieee_invalid_op 0
		.amdhsa_exception_fp_denorm_src 0
		.amdhsa_exception_fp_ieee_div_zero 0
		.amdhsa_exception_fp_ieee_overflow 0
		.amdhsa_exception_fp_ieee_underflow 0
		.amdhsa_exception_fp_ieee_inexact 0
		.amdhsa_exception_int_div_zero 0
	.end_amdhsa_kernel
	.section	.text._ZN7rocprim17ROCPRIM_400000_NS6detail17trampoline_kernelINS0_14default_configENS1_25partition_config_selectorILNS1_17partition_subalgoE5EdNS0_10empty_typeEbEEZZNS1_14partition_implILS5_5ELb0ES3_mN6thrust23THRUST_200600_302600_NS6detail15normal_iteratorINSA_10device_ptrIdEEEEPS6_NSA_18transform_iteratorINSB_9not_fun_tINSA_8identityIdEEEESF_NSA_11use_defaultESM_EENS0_5tupleIJSF_S6_EEENSO_IJSG_SG_EEES6_PlJS6_EEE10hipError_tPvRmT3_T4_T5_T6_T7_T9_mT8_P12ihipStream_tbDpT10_ENKUlT_T0_E_clISt17integral_constantIbLb0EES1B_EEDaS16_S17_EUlS16_E_NS1_11comp_targetILNS1_3genE3ELNS1_11target_archE908ELNS1_3gpuE7ELNS1_3repE0EEENS1_30default_config_static_selectorELNS0_4arch9wavefront6targetE0EEEvT1_,"axG",@progbits,_ZN7rocprim17ROCPRIM_400000_NS6detail17trampoline_kernelINS0_14default_configENS1_25partition_config_selectorILNS1_17partition_subalgoE5EdNS0_10empty_typeEbEEZZNS1_14partition_implILS5_5ELb0ES3_mN6thrust23THRUST_200600_302600_NS6detail15normal_iteratorINSA_10device_ptrIdEEEEPS6_NSA_18transform_iteratorINSB_9not_fun_tINSA_8identityIdEEEESF_NSA_11use_defaultESM_EENS0_5tupleIJSF_S6_EEENSO_IJSG_SG_EEES6_PlJS6_EEE10hipError_tPvRmT3_T4_T5_T6_T7_T9_mT8_P12ihipStream_tbDpT10_ENKUlT_T0_E_clISt17integral_constantIbLb0EES1B_EEDaS16_S17_EUlS16_E_NS1_11comp_targetILNS1_3genE3ELNS1_11target_archE908ELNS1_3gpuE7ELNS1_3repE0EEENS1_30default_config_static_selectorELNS0_4arch9wavefront6targetE0EEEvT1_,comdat
.Lfunc_end792:
	.size	_ZN7rocprim17ROCPRIM_400000_NS6detail17trampoline_kernelINS0_14default_configENS1_25partition_config_selectorILNS1_17partition_subalgoE5EdNS0_10empty_typeEbEEZZNS1_14partition_implILS5_5ELb0ES3_mN6thrust23THRUST_200600_302600_NS6detail15normal_iteratorINSA_10device_ptrIdEEEEPS6_NSA_18transform_iteratorINSB_9not_fun_tINSA_8identityIdEEEESF_NSA_11use_defaultESM_EENS0_5tupleIJSF_S6_EEENSO_IJSG_SG_EEES6_PlJS6_EEE10hipError_tPvRmT3_T4_T5_T6_T7_T9_mT8_P12ihipStream_tbDpT10_ENKUlT_T0_E_clISt17integral_constantIbLb0EES1B_EEDaS16_S17_EUlS16_E_NS1_11comp_targetILNS1_3genE3ELNS1_11target_archE908ELNS1_3gpuE7ELNS1_3repE0EEENS1_30default_config_static_selectorELNS0_4arch9wavefront6targetE0EEEvT1_, .Lfunc_end792-_ZN7rocprim17ROCPRIM_400000_NS6detail17trampoline_kernelINS0_14default_configENS1_25partition_config_selectorILNS1_17partition_subalgoE5EdNS0_10empty_typeEbEEZZNS1_14partition_implILS5_5ELb0ES3_mN6thrust23THRUST_200600_302600_NS6detail15normal_iteratorINSA_10device_ptrIdEEEEPS6_NSA_18transform_iteratorINSB_9not_fun_tINSA_8identityIdEEEESF_NSA_11use_defaultESM_EENS0_5tupleIJSF_S6_EEENSO_IJSG_SG_EEES6_PlJS6_EEE10hipError_tPvRmT3_T4_T5_T6_T7_T9_mT8_P12ihipStream_tbDpT10_ENKUlT_T0_E_clISt17integral_constantIbLb0EES1B_EEDaS16_S17_EUlS16_E_NS1_11comp_targetILNS1_3genE3ELNS1_11target_archE908ELNS1_3gpuE7ELNS1_3repE0EEENS1_30default_config_static_selectorELNS0_4arch9wavefront6targetE0EEEvT1_
                                        ; -- End function
	.set _ZN7rocprim17ROCPRIM_400000_NS6detail17trampoline_kernelINS0_14default_configENS1_25partition_config_selectorILNS1_17partition_subalgoE5EdNS0_10empty_typeEbEEZZNS1_14partition_implILS5_5ELb0ES3_mN6thrust23THRUST_200600_302600_NS6detail15normal_iteratorINSA_10device_ptrIdEEEEPS6_NSA_18transform_iteratorINSB_9not_fun_tINSA_8identityIdEEEESF_NSA_11use_defaultESM_EENS0_5tupleIJSF_S6_EEENSO_IJSG_SG_EEES6_PlJS6_EEE10hipError_tPvRmT3_T4_T5_T6_T7_T9_mT8_P12ihipStream_tbDpT10_ENKUlT_T0_E_clISt17integral_constantIbLb0EES1B_EEDaS16_S17_EUlS16_E_NS1_11comp_targetILNS1_3genE3ELNS1_11target_archE908ELNS1_3gpuE7ELNS1_3repE0EEENS1_30default_config_static_selectorELNS0_4arch9wavefront6targetE0EEEvT1_.num_vgpr, 0
	.set _ZN7rocprim17ROCPRIM_400000_NS6detail17trampoline_kernelINS0_14default_configENS1_25partition_config_selectorILNS1_17partition_subalgoE5EdNS0_10empty_typeEbEEZZNS1_14partition_implILS5_5ELb0ES3_mN6thrust23THRUST_200600_302600_NS6detail15normal_iteratorINSA_10device_ptrIdEEEEPS6_NSA_18transform_iteratorINSB_9not_fun_tINSA_8identityIdEEEESF_NSA_11use_defaultESM_EENS0_5tupleIJSF_S6_EEENSO_IJSG_SG_EEES6_PlJS6_EEE10hipError_tPvRmT3_T4_T5_T6_T7_T9_mT8_P12ihipStream_tbDpT10_ENKUlT_T0_E_clISt17integral_constantIbLb0EES1B_EEDaS16_S17_EUlS16_E_NS1_11comp_targetILNS1_3genE3ELNS1_11target_archE908ELNS1_3gpuE7ELNS1_3repE0EEENS1_30default_config_static_selectorELNS0_4arch9wavefront6targetE0EEEvT1_.num_agpr, 0
	.set _ZN7rocprim17ROCPRIM_400000_NS6detail17trampoline_kernelINS0_14default_configENS1_25partition_config_selectorILNS1_17partition_subalgoE5EdNS0_10empty_typeEbEEZZNS1_14partition_implILS5_5ELb0ES3_mN6thrust23THRUST_200600_302600_NS6detail15normal_iteratorINSA_10device_ptrIdEEEEPS6_NSA_18transform_iteratorINSB_9not_fun_tINSA_8identityIdEEEESF_NSA_11use_defaultESM_EENS0_5tupleIJSF_S6_EEENSO_IJSG_SG_EEES6_PlJS6_EEE10hipError_tPvRmT3_T4_T5_T6_T7_T9_mT8_P12ihipStream_tbDpT10_ENKUlT_T0_E_clISt17integral_constantIbLb0EES1B_EEDaS16_S17_EUlS16_E_NS1_11comp_targetILNS1_3genE3ELNS1_11target_archE908ELNS1_3gpuE7ELNS1_3repE0EEENS1_30default_config_static_selectorELNS0_4arch9wavefront6targetE0EEEvT1_.numbered_sgpr, 0
	.set _ZN7rocprim17ROCPRIM_400000_NS6detail17trampoline_kernelINS0_14default_configENS1_25partition_config_selectorILNS1_17partition_subalgoE5EdNS0_10empty_typeEbEEZZNS1_14partition_implILS5_5ELb0ES3_mN6thrust23THRUST_200600_302600_NS6detail15normal_iteratorINSA_10device_ptrIdEEEEPS6_NSA_18transform_iteratorINSB_9not_fun_tINSA_8identityIdEEEESF_NSA_11use_defaultESM_EENS0_5tupleIJSF_S6_EEENSO_IJSG_SG_EEES6_PlJS6_EEE10hipError_tPvRmT3_T4_T5_T6_T7_T9_mT8_P12ihipStream_tbDpT10_ENKUlT_T0_E_clISt17integral_constantIbLb0EES1B_EEDaS16_S17_EUlS16_E_NS1_11comp_targetILNS1_3genE3ELNS1_11target_archE908ELNS1_3gpuE7ELNS1_3repE0EEENS1_30default_config_static_selectorELNS0_4arch9wavefront6targetE0EEEvT1_.num_named_barrier, 0
	.set _ZN7rocprim17ROCPRIM_400000_NS6detail17trampoline_kernelINS0_14default_configENS1_25partition_config_selectorILNS1_17partition_subalgoE5EdNS0_10empty_typeEbEEZZNS1_14partition_implILS5_5ELb0ES3_mN6thrust23THRUST_200600_302600_NS6detail15normal_iteratorINSA_10device_ptrIdEEEEPS6_NSA_18transform_iteratorINSB_9not_fun_tINSA_8identityIdEEEESF_NSA_11use_defaultESM_EENS0_5tupleIJSF_S6_EEENSO_IJSG_SG_EEES6_PlJS6_EEE10hipError_tPvRmT3_T4_T5_T6_T7_T9_mT8_P12ihipStream_tbDpT10_ENKUlT_T0_E_clISt17integral_constantIbLb0EES1B_EEDaS16_S17_EUlS16_E_NS1_11comp_targetILNS1_3genE3ELNS1_11target_archE908ELNS1_3gpuE7ELNS1_3repE0EEENS1_30default_config_static_selectorELNS0_4arch9wavefront6targetE0EEEvT1_.private_seg_size, 0
	.set _ZN7rocprim17ROCPRIM_400000_NS6detail17trampoline_kernelINS0_14default_configENS1_25partition_config_selectorILNS1_17partition_subalgoE5EdNS0_10empty_typeEbEEZZNS1_14partition_implILS5_5ELb0ES3_mN6thrust23THRUST_200600_302600_NS6detail15normal_iteratorINSA_10device_ptrIdEEEEPS6_NSA_18transform_iteratorINSB_9not_fun_tINSA_8identityIdEEEESF_NSA_11use_defaultESM_EENS0_5tupleIJSF_S6_EEENSO_IJSG_SG_EEES6_PlJS6_EEE10hipError_tPvRmT3_T4_T5_T6_T7_T9_mT8_P12ihipStream_tbDpT10_ENKUlT_T0_E_clISt17integral_constantIbLb0EES1B_EEDaS16_S17_EUlS16_E_NS1_11comp_targetILNS1_3genE3ELNS1_11target_archE908ELNS1_3gpuE7ELNS1_3repE0EEENS1_30default_config_static_selectorELNS0_4arch9wavefront6targetE0EEEvT1_.uses_vcc, 0
	.set _ZN7rocprim17ROCPRIM_400000_NS6detail17trampoline_kernelINS0_14default_configENS1_25partition_config_selectorILNS1_17partition_subalgoE5EdNS0_10empty_typeEbEEZZNS1_14partition_implILS5_5ELb0ES3_mN6thrust23THRUST_200600_302600_NS6detail15normal_iteratorINSA_10device_ptrIdEEEEPS6_NSA_18transform_iteratorINSB_9not_fun_tINSA_8identityIdEEEESF_NSA_11use_defaultESM_EENS0_5tupleIJSF_S6_EEENSO_IJSG_SG_EEES6_PlJS6_EEE10hipError_tPvRmT3_T4_T5_T6_T7_T9_mT8_P12ihipStream_tbDpT10_ENKUlT_T0_E_clISt17integral_constantIbLb0EES1B_EEDaS16_S17_EUlS16_E_NS1_11comp_targetILNS1_3genE3ELNS1_11target_archE908ELNS1_3gpuE7ELNS1_3repE0EEENS1_30default_config_static_selectorELNS0_4arch9wavefront6targetE0EEEvT1_.uses_flat_scratch, 0
	.set _ZN7rocprim17ROCPRIM_400000_NS6detail17trampoline_kernelINS0_14default_configENS1_25partition_config_selectorILNS1_17partition_subalgoE5EdNS0_10empty_typeEbEEZZNS1_14partition_implILS5_5ELb0ES3_mN6thrust23THRUST_200600_302600_NS6detail15normal_iteratorINSA_10device_ptrIdEEEEPS6_NSA_18transform_iteratorINSB_9not_fun_tINSA_8identityIdEEEESF_NSA_11use_defaultESM_EENS0_5tupleIJSF_S6_EEENSO_IJSG_SG_EEES6_PlJS6_EEE10hipError_tPvRmT3_T4_T5_T6_T7_T9_mT8_P12ihipStream_tbDpT10_ENKUlT_T0_E_clISt17integral_constantIbLb0EES1B_EEDaS16_S17_EUlS16_E_NS1_11comp_targetILNS1_3genE3ELNS1_11target_archE908ELNS1_3gpuE7ELNS1_3repE0EEENS1_30default_config_static_selectorELNS0_4arch9wavefront6targetE0EEEvT1_.has_dyn_sized_stack, 0
	.set _ZN7rocprim17ROCPRIM_400000_NS6detail17trampoline_kernelINS0_14default_configENS1_25partition_config_selectorILNS1_17partition_subalgoE5EdNS0_10empty_typeEbEEZZNS1_14partition_implILS5_5ELb0ES3_mN6thrust23THRUST_200600_302600_NS6detail15normal_iteratorINSA_10device_ptrIdEEEEPS6_NSA_18transform_iteratorINSB_9not_fun_tINSA_8identityIdEEEESF_NSA_11use_defaultESM_EENS0_5tupleIJSF_S6_EEENSO_IJSG_SG_EEES6_PlJS6_EEE10hipError_tPvRmT3_T4_T5_T6_T7_T9_mT8_P12ihipStream_tbDpT10_ENKUlT_T0_E_clISt17integral_constantIbLb0EES1B_EEDaS16_S17_EUlS16_E_NS1_11comp_targetILNS1_3genE3ELNS1_11target_archE908ELNS1_3gpuE7ELNS1_3repE0EEENS1_30default_config_static_selectorELNS0_4arch9wavefront6targetE0EEEvT1_.has_recursion, 0
	.set _ZN7rocprim17ROCPRIM_400000_NS6detail17trampoline_kernelINS0_14default_configENS1_25partition_config_selectorILNS1_17partition_subalgoE5EdNS0_10empty_typeEbEEZZNS1_14partition_implILS5_5ELb0ES3_mN6thrust23THRUST_200600_302600_NS6detail15normal_iteratorINSA_10device_ptrIdEEEEPS6_NSA_18transform_iteratorINSB_9not_fun_tINSA_8identityIdEEEESF_NSA_11use_defaultESM_EENS0_5tupleIJSF_S6_EEENSO_IJSG_SG_EEES6_PlJS6_EEE10hipError_tPvRmT3_T4_T5_T6_T7_T9_mT8_P12ihipStream_tbDpT10_ENKUlT_T0_E_clISt17integral_constantIbLb0EES1B_EEDaS16_S17_EUlS16_E_NS1_11comp_targetILNS1_3genE3ELNS1_11target_archE908ELNS1_3gpuE7ELNS1_3repE0EEENS1_30default_config_static_selectorELNS0_4arch9wavefront6targetE0EEEvT1_.has_indirect_call, 0
	.section	.AMDGPU.csdata,"",@progbits
; Kernel info:
; codeLenInByte = 0
; TotalNumSgprs: 0
; NumVgprs: 0
; ScratchSize: 0
; MemoryBound: 0
; FloatMode: 240
; IeeeMode: 1
; LDSByteSize: 0 bytes/workgroup (compile time only)
; SGPRBlocks: 0
; VGPRBlocks: 0
; NumSGPRsForWavesPerEU: 1
; NumVGPRsForWavesPerEU: 1
; Occupancy: 16
; WaveLimiterHint : 0
; COMPUTE_PGM_RSRC2:SCRATCH_EN: 0
; COMPUTE_PGM_RSRC2:USER_SGPR: 2
; COMPUTE_PGM_RSRC2:TRAP_HANDLER: 0
; COMPUTE_PGM_RSRC2:TGID_X_EN: 1
; COMPUTE_PGM_RSRC2:TGID_Y_EN: 0
; COMPUTE_PGM_RSRC2:TGID_Z_EN: 0
; COMPUTE_PGM_RSRC2:TIDIG_COMP_CNT: 0
	.section	.text._ZN7rocprim17ROCPRIM_400000_NS6detail17trampoline_kernelINS0_14default_configENS1_25partition_config_selectorILNS1_17partition_subalgoE5EdNS0_10empty_typeEbEEZZNS1_14partition_implILS5_5ELb0ES3_mN6thrust23THRUST_200600_302600_NS6detail15normal_iteratorINSA_10device_ptrIdEEEEPS6_NSA_18transform_iteratorINSB_9not_fun_tINSA_8identityIdEEEESF_NSA_11use_defaultESM_EENS0_5tupleIJSF_S6_EEENSO_IJSG_SG_EEES6_PlJS6_EEE10hipError_tPvRmT3_T4_T5_T6_T7_T9_mT8_P12ihipStream_tbDpT10_ENKUlT_T0_E_clISt17integral_constantIbLb0EES1B_EEDaS16_S17_EUlS16_E_NS1_11comp_targetILNS1_3genE2ELNS1_11target_archE906ELNS1_3gpuE6ELNS1_3repE0EEENS1_30default_config_static_selectorELNS0_4arch9wavefront6targetE0EEEvT1_,"axG",@progbits,_ZN7rocprim17ROCPRIM_400000_NS6detail17trampoline_kernelINS0_14default_configENS1_25partition_config_selectorILNS1_17partition_subalgoE5EdNS0_10empty_typeEbEEZZNS1_14partition_implILS5_5ELb0ES3_mN6thrust23THRUST_200600_302600_NS6detail15normal_iteratorINSA_10device_ptrIdEEEEPS6_NSA_18transform_iteratorINSB_9not_fun_tINSA_8identityIdEEEESF_NSA_11use_defaultESM_EENS0_5tupleIJSF_S6_EEENSO_IJSG_SG_EEES6_PlJS6_EEE10hipError_tPvRmT3_T4_T5_T6_T7_T9_mT8_P12ihipStream_tbDpT10_ENKUlT_T0_E_clISt17integral_constantIbLb0EES1B_EEDaS16_S17_EUlS16_E_NS1_11comp_targetILNS1_3genE2ELNS1_11target_archE906ELNS1_3gpuE6ELNS1_3repE0EEENS1_30default_config_static_selectorELNS0_4arch9wavefront6targetE0EEEvT1_,comdat
	.protected	_ZN7rocprim17ROCPRIM_400000_NS6detail17trampoline_kernelINS0_14default_configENS1_25partition_config_selectorILNS1_17partition_subalgoE5EdNS0_10empty_typeEbEEZZNS1_14partition_implILS5_5ELb0ES3_mN6thrust23THRUST_200600_302600_NS6detail15normal_iteratorINSA_10device_ptrIdEEEEPS6_NSA_18transform_iteratorINSB_9not_fun_tINSA_8identityIdEEEESF_NSA_11use_defaultESM_EENS0_5tupleIJSF_S6_EEENSO_IJSG_SG_EEES6_PlJS6_EEE10hipError_tPvRmT3_T4_T5_T6_T7_T9_mT8_P12ihipStream_tbDpT10_ENKUlT_T0_E_clISt17integral_constantIbLb0EES1B_EEDaS16_S17_EUlS16_E_NS1_11comp_targetILNS1_3genE2ELNS1_11target_archE906ELNS1_3gpuE6ELNS1_3repE0EEENS1_30default_config_static_selectorELNS0_4arch9wavefront6targetE0EEEvT1_ ; -- Begin function _ZN7rocprim17ROCPRIM_400000_NS6detail17trampoline_kernelINS0_14default_configENS1_25partition_config_selectorILNS1_17partition_subalgoE5EdNS0_10empty_typeEbEEZZNS1_14partition_implILS5_5ELb0ES3_mN6thrust23THRUST_200600_302600_NS6detail15normal_iteratorINSA_10device_ptrIdEEEEPS6_NSA_18transform_iteratorINSB_9not_fun_tINSA_8identityIdEEEESF_NSA_11use_defaultESM_EENS0_5tupleIJSF_S6_EEENSO_IJSG_SG_EEES6_PlJS6_EEE10hipError_tPvRmT3_T4_T5_T6_T7_T9_mT8_P12ihipStream_tbDpT10_ENKUlT_T0_E_clISt17integral_constantIbLb0EES1B_EEDaS16_S17_EUlS16_E_NS1_11comp_targetILNS1_3genE2ELNS1_11target_archE906ELNS1_3gpuE6ELNS1_3repE0EEENS1_30default_config_static_selectorELNS0_4arch9wavefront6targetE0EEEvT1_
	.globl	_ZN7rocprim17ROCPRIM_400000_NS6detail17trampoline_kernelINS0_14default_configENS1_25partition_config_selectorILNS1_17partition_subalgoE5EdNS0_10empty_typeEbEEZZNS1_14partition_implILS5_5ELb0ES3_mN6thrust23THRUST_200600_302600_NS6detail15normal_iteratorINSA_10device_ptrIdEEEEPS6_NSA_18transform_iteratorINSB_9not_fun_tINSA_8identityIdEEEESF_NSA_11use_defaultESM_EENS0_5tupleIJSF_S6_EEENSO_IJSG_SG_EEES6_PlJS6_EEE10hipError_tPvRmT3_T4_T5_T6_T7_T9_mT8_P12ihipStream_tbDpT10_ENKUlT_T0_E_clISt17integral_constantIbLb0EES1B_EEDaS16_S17_EUlS16_E_NS1_11comp_targetILNS1_3genE2ELNS1_11target_archE906ELNS1_3gpuE6ELNS1_3repE0EEENS1_30default_config_static_selectorELNS0_4arch9wavefront6targetE0EEEvT1_
	.p2align	8
	.type	_ZN7rocprim17ROCPRIM_400000_NS6detail17trampoline_kernelINS0_14default_configENS1_25partition_config_selectorILNS1_17partition_subalgoE5EdNS0_10empty_typeEbEEZZNS1_14partition_implILS5_5ELb0ES3_mN6thrust23THRUST_200600_302600_NS6detail15normal_iteratorINSA_10device_ptrIdEEEEPS6_NSA_18transform_iteratorINSB_9not_fun_tINSA_8identityIdEEEESF_NSA_11use_defaultESM_EENS0_5tupleIJSF_S6_EEENSO_IJSG_SG_EEES6_PlJS6_EEE10hipError_tPvRmT3_T4_T5_T6_T7_T9_mT8_P12ihipStream_tbDpT10_ENKUlT_T0_E_clISt17integral_constantIbLb0EES1B_EEDaS16_S17_EUlS16_E_NS1_11comp_targetILNS1_3genE2ELNS1_11target_archE906ELNS1_3gpuE6ELNS1_3repE0EEENS1_30default_config_static_selectorELNS0_4arch9wavefront6targetE0EEEvT1_,@function
_ZN7rocprim17ROCPRIM_400000_NS6detail17trampoline_kernelINS0_14default_configENS1_25partition_config_selectorILNS1_17partition_subalgoE5EdNS0_10empty_typeEbEEZZNS1_14partition_implILS5_5ELb0ES3_mN6thrust23THRUST_200600_302600_NS6detail15normal_iteratorINSA_10device_ptrIdEEEEPS6_NSA_18transform_iteratorINSB_9not_fun_tINSA_8identityIdEEEESF_NSA_11use_defaultESM_EENS0_5tupleIJSF_S6_EEENSO_IJSG_SG_EEES6_PlJS6_EEE10hipError_tPvRmT3_T4_T5_T6_T7_T9_mT8_P12ihipStream_tbDpT10_ENKUlT_T0_E_clISt17integral_constantIbLb0EES1B_EEDaS16_S17_EUlS16_E_NS1_11comp_targetILNS1_3genE2ELNS1_11target_archE906ELNS1_3gpuE6ELNS1_3repE0EEENS1_30default_config_static_selectorELNS0_4arch9wavefront6targetE0EEEvT1_: ; @_ZN7rocprim17ROCPRIM_400000_NS6detail17trampoline_kernelINS0_14default_configENS1_25partition_config_selectorILNS1_17partition_subalgoE5EdNS0_10empty_typeEbEEZZNS1_14partition_implILS5_5ELb0ES3_mN6thrust23THRUST_200600_302600_NS6detail15normal_iteratorINSA_10device_ptrIdEEEEPS6_NSA_18transform_iteratorINSB_9not_fun_tINSA_8identityIdEEEESF_NSA_11use_defaultESM_EENS0_5tupleIJSF_S6_EEENSO_IJSG_SG_EEES6_PlJS6_EEE10hipError_tPvRmT3_T4_T5_T6_T7_T9_mT8_P12ihipStream_tbDpT10_ENKUlT_T0_E_clISt17integral_constantIbLb0EES1B_EEDaS16_S17_EUlS16_E_NS1_11comp_targetILNS1_3genE2ELNS1_11target_archE906ELNS1_3gpuE6ELNS1_3repE0EEENS1_30default_config_static_selectorELNS0_4arch9wavefront6targetE0EEEvT1_
; %bb.0:
	.section	.rodata,"a",@progbits
	.p2align	6, 0x0
	.amdhsa_kernel _ZN7rocprim17ROCPRIM_400000_NS6detail17trampoline_kernelINS0_14default_configENS1_25partition_config_selectorILNS1_17partition_subalgoE5EdNS0_10empty_typeEbEEZZNS1_14partition_implILS5_5ELb0ES3_mN6thrust23THRUST_200600_302600_NS6detail15normal_iteratorINSA_10device_ptrIdEEEEPS6_NSA_18transform_iteratorINSB_9not_fun_tINSA_8identityIdEEEESF_NSA_11use_defaultESM_EENS0_5tupleIJSF_S6_EEENSO_IJSG_SG_EEES6_PlJS6_EEE10hipError_tPvRmT3_T4_T5_T6_T7_T9_mT8_P12ihipStream_tbDpT10_ENKUlT_T0_E_clISt17integral_constantIbLb0EES1B_EEDaS16_S17_EUlS16_E_NS1_11comp_targetILNS1_3genE2ELNS1_11target_archE906ELNS1_3gpuE6ELNS1_3repE0EEENS1_30default_config_static_selectorELNS0_4arch9wavefront6targetE0EEEvT1_
		.amdhsa_group_segment_fixed_size 0
		.amdhsa_private_segment_fixed_size 0
		.amdhsa_kernarg_size 120
		.amdhsa_user_sgpr_count 2
		.amdhsa_user_sgpr_dispatch_ptr 0
		.amdhsa_user_sgpr_queue_ptr 0
		.amdhsa_user_sgpr_kernarg_segment_ptr 1
		.amdhsa_user_sgpr_dispatch_id 0
		.amdhsa_user_sgpr_private_segment_size 0
		.amdhsa_wavefront_size32 1
		.amdhsa_uses_dynamic_stack 0
		.amdhsa_enable_private_segment 0
		.amdhsa_system_sgpr_workgroup_id_x 1
		.amdhsa_system_sgpr_workgroup_id_y 0
		.amdhsa_system_sgpr_workgroup_id_z 0
		.amdhsa_system_sgpr_workgroup_info 0
		.amdhsa_system_vgpr_workitem_id 0
		.amdhsa_next_free_vgpr 1
		.amdhsa_next_free_sgpr 1
		.amdhsa_reserve_vcc 0
		.amdhsa_float_round_mode_32 0
		.amdhsa_float_round_mode_16_64 0
		.amdhsa_float_denorm_mode_32 3
		.amdhsa_float_denorm_mode_16_64 3
		.amdhsa_fp16_overflow 0
		.amdhsa_workgroup_processor_mode 1
		.amdhsa_memory_ordered 1
		.amdhsa_forward_progress 1
		.amdhsa_inst_pref_size 0
		.amdhsa_round_robin_scheduling 0
		.amdhsa_exception_fp_ieee_invalid_op 0
		.amdhsa_exception_fp_denorm_src 0
		.amdhsa_exception_fp_ieee_div_zero 0
		.amdhsa_exception_fp_ieee_overflow 0
		.amdhsa_exception_fp_ieee_underflow 0
		.amdhsa_exception_fp_ieee_inexact 0
		.amdhsa_exception_int_div_zero 0
	.end_amdhsa_kernel
	.section	.text._ZN7rocprim17ROCPRIM_400000_NS6detail17trampoline_kernelINS0_14default_configENS1_25partition_config_selectorILNS1_17partition_subalgoE5EdNS0_10empty_typeEbEEZZNS1_14partition_implILS5_5ELb0ES3_mN6thrust23THRUST_200600_302600_NS6detail15normal_iteratorINSA_10device_ptrIdEEEEPS6_NSA_18transform_iteratorINSB_9not_fun_tINSA_8identityIdEEEESF_NSA_11use_defaultESM_EENS0_5tupleIJSF_S6_EEENSO_IJSG_SG_EEES6_PlJS6_EEE10hipError_tPvRmT3_T4_T5_T6_T7_T9_mT8_P12ihipStream_tbDpT10_ENKUlT_T0_E_clISt17integral_constantIbLb0EES1B_EEDaS16_S17_EUlS16_E_NS1_11comp_targetILNS1_3genE2ELNS1_11target_archE906ELNS1_3gpuE6ELNS1_3repE0EEENS1_30default_config_static_selectorELNS0_4arch9wavefront6targetE0EEEvT1_,"axG",@progbits,_ZN7rocprim17ROCPRIM_400000_NS6detail17trampoline_kernelINS0_14default_configENS1_25partition_config_selectorILNS1_17partition_subalgoE5EdNS0_10empty_typeEbEEZZNS1_14partition_implILS5_5ELb0ES3_mN6thrust23THRUST_200600_302600_NS6detail15normal_iteratorINSA_10device_ptrIdEEEEPS6_NSA_18transform_iteratorINSB_9not_fun_tINSA_8identityIdEEEESF_NSA_11use_defaultESM_EENS0_5tupleIJSF_S6_EEENSO_IJSG_SG_EEES6_PlJS6_EEE10hipError_tPvRmT3_T4_T5_T6_T7_T9_mT8_P12ihipStream_tbDpT10_ENKUlT_T0_E_clISt17integral_constantIbLb0EES1B_EEDaS16_S17_EUlS16_E_NS1_11comp_targetILNS1_3genE2ELNS1_11target_archE906ELNS1_3gpuE6ELNS1_3repE0EEENS1_30default_config_static_selectorELNS0_4arch9wavefront6targetE0EEEvT1_,comdat
.Lfunc_end793:
	.size	_ZN7rocprim17ROCPRIM_400000_NS6detail17trampoline_kernelINS0_14default_configENS1_25partition_config_selectorILNS1_17partition_subalgoE5EdNS0_10empty_typeEbEEZZNS1_14partition_implILS5_5ELb0ES3_mN6thrust23THRUST_200600_302600_NS6detail15normal_iteratorINSA_10device_ptrIdEEEEPS6_NSA_18transform_iteratorINSB_9not_fun_tINSA_8identityIdEEEESF_NSA_11use_defaultESM_EENS0_5tupleIJSF_S6_EEENSO_IJSG_SG_EEES6_PlJS6_EEE10hipError_tPvRmT3_T4_T5_T6_T7_T9_mT8_P12ihipStream_tbDpT10_ENKUlT_T0_E_clISt17integral_constantIbLb0EES1B_EEDaS16_S17_EUlS16_E_NS1_11comp_targetILNS1_3genE2ELNS1_11target_archE906ELNS1_3gpuE6ELNS1_3repE0EEENS1_30default_config_static_selectorELNS0_4arch9wavefront6targetE0EEEvT1_, .Lfunc_end793-_ZN7rocprim17ROCPRIM_400000_NS6detail17trampoline_kernelINS0_14default_configENS1_25partition_config_selectorILNS1_17partition_subalgoE5EdNS0_10empty_typeEbEEZZNS1_14partition_implILS5_5ELb0ES3_mN6thrust23THRUST_200600_302600_NS6detail15normal_iteratorINSA_10device_ptrIdEEEEPS6_NSA_18transform_iteratorINSB_9not_fun_tINSA_8identityIdEEEESF_NSA_11use_defaultESM_EENS0_5tupleIJSF_S6_EEENSO_IJSG_SG_EEES6_PlJS6_EEE10hipError_tPvRmT3_T4_T5_T6_T7_T9_mT8_P12ihipStream_tbDpT10_ENKUlT_T0_E_clISt17integral_constantIbLb0EES1B_EEDaS16_S17_EUlS16_E_NS1_11comp_targetILNS1_3genE2ELNS1_11target_archE906ELNS1_3gpuE6ELNS1_3repE0EEENS1_30default_config_static_selectorELNS0_4arch9wavefront6targetE0EEEvT1_
                                        ; -- End function
	.set _ZN7rocprim17ROCPRIM_400000_NS6detail17trampoline_kernelINS0_14default_configENS1_25partition_config_selectorILNS1_17partition_subalgoE5EdNS0_10empty_typeEbEEZZNS1_14partition_implILS5_5ELb0ES3_mN6thrust23THRUST_200600_302600_NS6detail15normal_iteratorINSA_10device_ptrIdEEEEPS6_NSA_18transform_iteratorINSB_9not_fun_tINSA_8identityIdEEEESF_NSA_11use_defaultESM_EENS0_5tupleIJSF_S6_EEENSO_IJSG_SG_EEES6_PlJS6_EEE10hipError_tPvRmT3_T4_T5_T6_T7_T9_mT8_P12ihipStream_tbDpT10_ENKUlT_T0_E_clISt17integral_constantIbLb0EES1B_EEDaS16_S17_EUlS16_E_NS1_11comp_targetILNS1_3genE2ELNS1_11target_archE906ELNS1_3gpuE6ELNS1_3repE0EEENS1_30default_config_static_selectorELNS0_4arch9wavefront6targetE0EEEvT1_.num_vgpr, 0
	.set _ZN7rocprim17ROCPRIM_400000_NS6detail17trampoline_kernelINS0_14default_configENS1_25partition_config_selectorILNS1_17partition_subalgoE5EdNS0_10empty_typeEbEEZZNS1_14partition_implILS5_5ELb0ES3_mN6thrust23THRUST_200600_302600_NS6detail15normal_iteratorINSA_10device_ptrIdEEEEPS6_NSA_18transform_iteratorINSB_9not_fun_tINSA_8identityIdEEEESF_NSA_11use_defaultESM_EENS0_5tupleIJSF_S6_EEENSO_IJSG_SG_EEES6_PlJS6_EEE10hipError_tPvRmT3_T4_T5_T6_T7_T9_mT8_P12ihipStream_tbDpT10_ENKUlT_T0_E_clISt17integral_constantIbLb0EES1B_EEDaS16_S17_EUlS16_E_NS1_11comp_targetILNS1_3genE2ELNS1_11target_archE906ELNS1_3gpuE6ELNS1_3repE0EEENS1_30default_config_static_selectorELNS0_4arch9wavefront6targetE0EEEvT1_.num_agpr, 0
	.set _ZN7rocprim17ROCPRIM_400000_NS6detail17trampoline_kernelINS0_14default_configENS1_25partition_config_selectorILNS1_17partition_subalgoE5EdNS0_10empty_typeEbEEZZNS1_14partition_implILS5_5ELb0ES3_mN6thrust23THRUST_200600_302600_NS6detail15normal_iteratorINSA_10device_ptrIdEEEEPS6_NSA_18transform_iteratorINSB_9not_fun_tINSA_8identityIdEEEESF_NSA_11use_defaultESM_EENS0_5tupleIJSF_S6_EEENSO_IJSG_SG_EEES6_PlJS6_EEE10hipError_tPvRmT3_T4_T5_T6_T7_T9_mT8_P12ihipStream_tbDpT10_ENKUlT_T0_E_clISt17integral_constantIbLb0EES1B_EEDaS16_S17_EUlS16_E_NS1_11comp_targetILNS1_3genE2ELNS1_11target_archE906ELNS1_3gpuE6ELNS1_3repE0EEENS1_30default_config_static_selectorELNS0_4arch9wavefront6targetE0EEEvT1_.numbered_sgpr, 0
	.set _ZN7rocprim17ROCPRIM_400000_NS6detail17trampoline_kernelINS0_14default_configENS1_25partition_config_selectorILNS1_17partition_subalgoE5EdNS0_10empty_typeEbEEZZNS1_14partition_implILS5_5ELb0ES3_mN6thrust23THRUST_200600_302600_NS6detail15normal_iteratorINSA_10device_ptrIdEEEEPS6_NSA_18transform_iteratorINSB_9not_fun_tINSA_8identityIdEEEESF_NSA_11use_defaultESM_EENS0_5tupleIJSF_S6_EEENSO_IJSG_SG_EEES6_PlJS6_EEE10hipError_tPvRmT3_T4_T5_T6_T7_T9_mT8_P12ihipStream_tbDpT10_ENKUlT_T0_E_clISt17integral_constantIbLb0EES1B_EEDaS16_S17_EUlS16_E_NS1_11comp_targetILNS1_3genE2ELNS1_11target_archE906ELNS1_3gpuE6ELNS1_3repE0EEENS1_30default_config_static_selectorELNS0_4arch9wavefront6targetE0EEEvT1_.num_named_barrier, 0
	.set _ZN7rocprim17ROCPRIM_400000_NS6detail17trampoline_kernelINS0_14default_configENS1_25partition_config_selectorILNS1_17partition_subalgoE5EdNS0_10empty_typeEbEEZZNS1_14partition_implILS5_5ELb0ES3_mN6thrust23THRUST_200600_302600_NS6detail15normal_iteratorINSA_10device_ptrIdEEEEPS6_NSA_18transform_iteratorINSB_9not_fun_tINSA_8identityIdEEEESF_NSA_11use_defaultESM_EENS0_5tupleIJSF_S6_EEENSO_IJSG_SG_EEES6_PlJS6_EEE10hipError_tPvRmT3_T4_T5_T6_T7_T9_mT8_P12ihipStream_tbDpT10_ENKUlT_T0_E_clISt17integral_constantIbLb0EES1B_EEDaS16_S17_EUlS16_E_NS1_11comp_targetILNS1_3genE2ELNS1_11target_archE906ELNS1_3gpuE6ELNS1_3repE0EEENS1_30default_config_static_selectorELNS0_4arch9wavefront6targetE0EEEvT1_.private_seg_size, 0
	.set _ZN7rocprim17ROCPRIM_400000_NS6detail17trampoline_kernelINS0_14default_configENS1_25partition_config_selectorILNS1_17partition_subalgoE5EdNS0_10empty_typeEbEEZZNS1_14partition_implILS5_5ELb0ES3_mN6thrust23THRUST_200600_302600_NS6detail15normal_iteratorINSA_10device_ptrIdEEEEPS6_NSA_18transform_iteratorINSB_9not_fun_tINSA_8identityIdEEEESF_NSA_11use_defaultESM_EENS0_5tupleIJSF_S6_EEENSO_IJSG_SG_EEES6_PlJS6_EEE10hipError_tPvRmT3_T4_T5_T6_T7_T9_mT8_P12ihipStream_tbDpT10_ENKUlT_T0_E_clISt17integral_constantIbLb0EES1B_EEDaS16_S17_EUlS16_E_NS1_11comp_targetILNS1_3genE2ELNS1_11target_archE906ELNS1_3gpuE6ELNS1_3repE0EEENS1_30default_config_static_selectorELNS0_4arch9wavefront6targetE0EEEvT1_.uses_vcc, 0
	.set _ZN7rocprim17ROCPRIM_400000_NS6detail17trampoline_kernelINS0_14default_configENS1_25partition_config_selectorILNS1_17partition_subalgoE5EdNS0_10empty_typeEbEEZZNS1_14partition_implILS5_5ELb0ES3_mN6thrust23THRUST_200600_302600_NS6detail15normal_iteratorINSA_10device_ptrIdEEEEPS6_NSA_18transform_iteratorINSB_9not_fun_tINSA_8identityIdEEEESF_NSA_11use_defaultESM_EENS0_5tupleIJSF_S6_EEENSO_IJSG_SG_EEES6_PlJS6_EEE10hipError_tPvRmT3_T4_T5_T6_T7_T9_mT8_P12ihipStream_tbDpT10_ENKUlT_T0_E_clISt17integral_constantIbLb0EES1B_EEDaS16_S17_EUlS16_E_NS1_11comp_targetILNS1_3genE2ELNS1_11target_archE906ELNS1_3gpuE6ELNS1_3repE0EEENS1_30default_config_static_selectorELNS0_4arch9wavefront6targetE0EEEvT1_.uses_flat_scratch, 0
	.set _ZN7rocprim17ROCPRIM_400000_NS6detail17trampoline_kernelINS0_14default_configENS1_25partition_config_selectorILNS1_17partition_subalgoE5EdNS0_10empty_typeEbEEZZNS1_14partition_implILS5_5ELb0ES3_mN6thrust23THRUST_200600_302600_NS6detail15normal_iteratorINSA_10device_ptrIdEEEEPS6_NSA_18transform_iteratorINSB_9not_fun_tINSA_8identityIdEEEESF_NSA_11use_defaultESM_EENS0_5tupleIJSF_S6_EEENSO_IJSG_SG_EEES6_PlJS6_EEE10hipError_tPvRmT3_T4_T5_T6_T7_T9_mT8_P12ihipStream_tbDpT10_ENKUlT_T0_E_clISt17integral_constantIbLb0EES1B_EEDaS16_S17_EUlS16_E_NS1_11comp_targetILNS1_3genE2ELNS1_11target_archE906ELNS1_3gpuE6ELNS1_3repE0EEENS1_30default_config_static_selectorELNS0_4arch9wavefront6targetE0EEEvT1_.has_dyn_sized_stack, 0
	.set _ZN7rocprim17ROCPRIM_400000_NS6detail17trampoline_kernelINS0_14default_configENS1_25partition_config_selectorILNS1_17partition_subalgoE5EdNS0_10empty_typeEbEEZZNS1_14partition_implILS5_5ELb0ES3_mN6thrust23THRUST_200600_302600_NS6detail15normal_iteratorINSA_10device_ptrIdEEEEPS6_NSA_18transform_iteratorINSB_9not_fun_tINSA_8identityIdEEEESF_NSA_11use_defaultESM_EENS0_5tupleIJSF_S6_EEENSO_IJSG_SG_EEES6_PlJS6_EEE10hipError_tPvRmT3_T4_T5_T6_T7_T9_mT8_P12ihipStream_tbDpT10_ENKUlT_T0_E_clISt17integral_constantIbLb0EES1B_EEDaS16_S17_EUlS16_E_NS1_11comp_targetILNS1_3genE2ELNS1_11target_archE906ELNS1_3gpuE6ELNS1_3repE0EEENS1_30default_config_static_selectorELNS0_4arch9wavefront6targetE0EEEvT1_.has_recursion, 0
	.set _ZN7rocprim17ROCPRIM_400000_NS6detail17trampoline_kernelINS0_14default_configENS1_25partition_config_selectorILNS1_17partition_subalgoE5EdNS0_10empty_typeEbEEZZNS1_14partition_implILS5_5ELb0ES3_mN6thrust23THRUST_200600_302600_NS6detail15normal_iteratorINSA_10device_ptrIdEEEEPS6_NSA_18transform_iteratorINSB_9not_fun_tINSA_8identityIdEEEESF_NSA_11use_defaultESM_EENS0_5tupleIJSF_S6_EEENSO_IJSG_SG_EEES6_PlJS6_EEE10hipError_tPvRmT3_T4_T5_T6_T7_T9_mT8_P12ihipStream_tbDpT10_ENKUlT_T0_E_clISt17integral_constantIbLb0EES1B_EEDaS16_S17_EUlS16_E_NS1_11comp_targetILNS1_3genE2ELNS1_11target_archE906ELNS1_3gpuE6ELNS1_3repE0EEENS1_30default_config_static_selectorELNS0_4arch9wavefront6targetE0EEEvT1_.has_indirect_call, 0
	.section	.AMDGPU.csdata,"",@progbits
; Kernel info:
; codeLenInByte = 0
; TotalNumSgprs: 0
; NumVgprs: 0
; ScratchSize: 0
; MemoryBound: 0
; FloatMode: 240
; IeeeMode: 1
; LDSByteSize: 0 bytes/workgroup (compile time only)
; SGPRBlocks: 0
; VGPRBlocks: 0
; NumSGPRsForWavesPerEU: 1
; NumVGPRsForWavesPerEU: 1
; Occupancy: 16
; WaveLimiterHint : 0
; COMPUTE_PGM_RSRC2:SCRATCH_EN: 0
; COMPUTE_PGM_RSRC2:USER_SGPR: 2
; COMPUTE_PGM_RSRC2:TRAP_HANDLER: 0
; COMPUTE_PGM_RSRC2:TGID_X_EN: 1
; COMPUTE_PGM_RSRC2:TGID_Y_EN: 0
; COMPUTE_PGM_RSRC2:TGID_Z_EN: 0
; COMPUTE_PGM_RSRC2:TIDIG_COMP_CNT: 0
	.section	.text._ZN7rocprim17ROCPRIM_400000_NS6detail17trampoline_kernelINS0_14default_configENS1_25partition_config_selectorILNS1_17partition_subalgoE5EdNS0_10empty_typeEbEEZZNS1_14partition_implILS5_5ELb0ES3_mN6thrust23THRUST_200600_302600_NS6detail15normal_iteratorINSA_10device_ptrIdEEEEPS6_NSA_18transform_iteratorINSB_9not_fun_tINSA_8identityIdEEEESF_NSA_11use_defaultESM_EENS0_5tupleIJSF_S6_EEENSO_IJSG_SG_EEES6_PlJS6_EEE10hipError_tPvRmT3_T4_T5_T6_T7_T9_mT8_P12ihipStream_tbDpT10_ENKUlT_T0_E_clISt17integral_constantIbLb0EES1B_EEDaS16_S17_EUlS16_E_NS1_11comp_targetILNS1_3genE10ELNS1_11target_archE1200ELNS1_3gpuE4ELNS1_3repE0EEENS1_30default_config_static_selectorELNS0_4arch9wavefront6targetE0EEEvT1_,"axG",@progbits,_ZN7rocprim17ROCPRIM_400000_NS6detail17trampoline_kernelINS0_14default_configENS1_25partition_config_selectorILNS1_17partition_subalgoE5EdNS0_10empty_typeEbEEZZNS1_14partition_implILS5_5ELb0ES3_mN6thrust23THRUST_200600_302600_NS6detail15normal_iteratorINSA_10device_ptrIdEEEEPS6_NSA_18transform_iteratorINSB_9not_fun_tINSA_8identityIdEEEESF_NSA_11use_defaultESM_EENS0_5tupleIJSF_S6_EEENSO_IJSG_SG_EEES6_PlJS6_EEE10hipError_tPvRmT3_T4_T5_T6_T7_T9_mT8_P12ihipStream_tbDpT10_ENKUlT_T0_E_clISt17integral_constantIbLb0EES1B_EEDaS16_S17_EUlS16_E_NS1_11comp_targetILNS1_3genE10ELNS1_11target_archE1200ELNS1_3gpuE4ELNS1_3repE0EEENS1_30default_config_static_selectorELNS0_4arch9wavefront6targetE0EEEvT1_,comdat
	.protected	_ZN7rocprim17ROCPRIM_400000_NS6detail17trampoline_kernelINS0_14default_configENS1_25partition_config_selectorILNS1_17partition_subalgoE5EdNS0_10empty_typeEbEEZZNS1_14partition_implILS5_5ELb0ES3_mN6thrust23THRUST_200600_302600_NS6detail15normal_iteratorINSA_10device_ptrIdEEEEPS6_NSA_18transform_iteratorINSB_9not_fun_tINSA_8identityIdEEEESF_NSA_11use_defaultESM_EENS0_5tupleIJSF_S6_EEENSO_IJSG_SG_EEES6_PlJS6_EEE10hipError_tPvRmT3_T4_T5_T6_T7_T9_mT8_P12ihipStream_tbDpT10_ENKUlT_T0_E_clISt17integral_constantIbLb0EES1B_EEDaS16_S17_EUlS16_E_NS1_11comp_targetILNS1_3genE10ELNS1_11target_archE1200ELNS1_3gpuE4ELNS1_3repE0EEENS1_30default_config_static_selectorELNS0_4arch9wavefront6targetE0EEEvT1_ ; -- Begin function _ZN7rocprim17ROCPRIM_400000_NS6detail17trampoline_kernelINS0_14default_configENS1_25partition_config_selectorILNS1_17partition_subalgoE5EdNS0_10empty_typeEbEEZZNS1_14partition_implILS5_5ELb0ES3_mN6thrust23THRUST_200600_302600_NS6detail15normal_iteratorINSA_10device_ptrIdEEEEPS6_NSA_18transform_iteratorINSB_9not_fun_tINSA_8identityIdEEEESF_NSA_11use_defaultESM_EENS0_5tupleIJSF_S6_EEENSO_IJSG_SG_EEES6_PlJS6_EEE10hipError_tPvRmT3_T4_T5_T6_T7_T9_mT8_P12ihipStream_tbDpT10_ENKUlT_T0_E_clISt17integral_constantIbLb0EES1B_EEDaS16_S17_EUlS16_E_NS1_11comp_targetILNS1_3genE10ELNS1_11target_archE1200ELNS1_3gpuE4ELNS1_3repE0EEENS1_30default_config_static_selectorELNS0_4arch9wavefront6targetE0EEEvT1_
	.globl	_ZN7rocprim17ROCPRIM_400000_NS6detail17trampoline_kernelINS0_14default_configENS1_25partition_config_selectorILNS1_17partition_subalgoE5EdNS0_10empty_typeEbEEZZNS1_14partition_implILS5_5ELb0ES3_mN6thrust23THRUST_200600_302600_NS6detail15normal_iteratorINSA_10device_ptrIdEEEEPS6_NSA_18transform_iteratorINSB_9not_fun_tINSA_8identityIdEEEESF_NSA_11use_defaultESM_EENS0_5tupleIJSF_S6_EEENSO_IJSG_SG_EEES6_PlJS6_EEE10hipError_tPvRmT3_T4_T5_T6_T7_T9_mT8_P12ihipStream_tbDpT10_ENKUlT_T0_E_clISt17integral_constantIbLb0EES1B_EEDaS16_S17_EUlS16_E_NS1_11comp_targetILNS1_3genE10ELNS1_11target_archE1200ELNS1_3gpuE4ELNS1_3repE0EEENS1_30default_config_static_selectorELNS0_4arch9wavefront6targetE0EEEvT1_
	.p2align	8
	.type	_ZN7rocprim17ROCPRIM_400000_NS6detail17trampoline_kernelINS0_14default_configENS1_25partition_config_selectorILNS1_17partition_subalgoE5EdNS0_10empty_typeEbEEZZNS1_14partition_implILS5_5ELb0ES3_mN6thrust23THRUST_200600_302600_NS6detail15normal_iteratorINSA_10device_ptrIdEEEEPS6_NSA_18transform_iteratorINSB_9not_fun_tINSA_8identityIdEEEESF_NSA_11use_defaultESM_EENS0_5tupleIJSF_S6_EEENSO_IJSG_SG_EEES6_PlJS6_EEE10hipError_tPvRmT3_T4_T5_T6_T7_T9_mT8_P12ihipStream_tbDpT10_ENKUlT_T0_E_clISt17integral_constantIbLb0EES1B_EEDaS16_S17_EUlS16_E_NS1_11comp_targetILNS1_3genE10ELNS1_11target_archE1200ELNS1_3gpuE4ELNS1_3repE0EEENS1_30default_config_static_selectorELNS0_4arch9wavefront6targetE0EEEvT1_,@function
_ZN7rocprim17ROCPRIM_400000_NS6detail17trampoline_kernelINS0_14default_configENS1_25partition_config_selectorILNS1_17partition_subalgoE5EdNS0_10empty_typeEbEEZZNS1_14partition_implILS5_5ELb0ES3_mN6thrust23THRUST_200600_302600_NS6detail15normal_iteratorINSA_10device_ptrIdEEEEPS6_NSA_18transform_iteratorINSB_9not_fun_tINSA_8identityIdEEEESF_NSA_11use_defaultESM_EENS0_5tupleIJSF_S6_EEENSO_IJSG_SG_EEES6_PlJS6_EEE10hipError_tPvRmT3_T4_T5_T6_T7_T9_mT8_P12ihipStream_tbDpT10_ENKUlT_T0_E_clISt17integral_constantIbLb0EES1B_EEDaS16_S17_EUlS16_E_NS1_11comp_targetILNS1_3genE10ELNS1_11target_archE1200ELNS1_3gpuE4ELNS1_3repE0EEENS1_30default_config_static_selectorELNS0_4arch9wavefront6targetE0EEEvT1_: ; @_ZN7rocprim17ROCPRIM_400000_NS6detail17trampoline_kernelINS0_14default_configENS1_25partition_config_selectorILNS1_17partition_subalgoE5EdNS0_10empty_typeEbEEZZNS1_14partition_implILS5_5ELb0ES3_mN6thrust23THRUST_200600_302600_NS6detail15normal_iteratorINSA_10device_ptrIdEEEEPS6_NSA_18transform_iteratorINSB_9not_fun_tINSA_8identityIdEEEESF_NSA_11use_defaultESM_EENS0_5tupleIJSF_S6_EEENSO_IJSG_SG_EEES6_PlJS6_EEE10hipError_tPvRmT3_T4_T5_T6_T7_T9_mT8_P12ihipStream_tbDpT10_ENKUlT_T0_E_clISt17integral_constantIbLb0EES1B_EEDaS16_S17_EUlS16_E_NS1_11comp_targetILNS1_3genE10ELNS1_11target_archE1200ELNS1_3gpuE4ELNS1_3repE0EEENS1_30default_config_static_selectorELNS0_4arch9wavefront6targetE0EEEvT1_
; %bb.0:
	s_clause 0x3
	s_load_b128 s[12:15], s[0:1], 0x8
	s_load_b128 s[8:11], s[0:1], 0x48
	s_load_b32 s16, s[0:1], 0x70
	s_load_b64 s[2:3], s[0:1], 0x58
	s_mov_b32 s17, 0
	s_wait_kmcnt 0x0
	s_lshl_b64 s[4:5], s[14:15], 3
	s_load_b64 s[6:7], s[10:11], 0x0
	s_add_co_i32 s19, s16, -1
	s_mulk_i32 s16, 0x500
	s_add_nc_u64 s[12:13], s[12:13], s[4:5]
	s_add_co_i32 s18, s16, s14
	s_add_nc_u64 s[10:11], s[14:15], s[16:17]
	s_sub_co_i32 s18, s2, s18
	v_cmp_le_u64_e64 s2, s[2:3], s[10:11]
	s_addk_co_i32 s18, 0x500
	s_cmp_eq_u32 ttmp9, s19
	s_mul_i32 s10, ttmp9, 0x500
	s_cselect_b32 s16, -1, 0
	s_mov_b32 s11, s17
	s_and_b32 s2, s16, s2
	s_wait_alu 0xfffe
	s_lshl_b64 s[10:11], s[10:11], 3
	s_xor_b32 s17, s2, -1
	s_mov_b32 s3, -1
	s_and_b32 vcc_lo, exec_lo, s17
	s_wait_alu 0xfffe
	s_add_nc_u64 s[14:15], s[12:13], s[10:11]
	s_cbranch_vccz .LBB794_2
; %bb.1:
	v_lshlrev_b32_e32 v11, 3, v0
	s_mov_b32 s3, 0
	s_delay_alu instid0(VALU_DEP_1)
	v_add_co_u32 v1, s2, s14, v11
	s_wait_alu 0xf1ff
	v_add_co_ci_u32_e64 v2, null, s15, 0, s2
	s_clause 0x4
	flat_load_b64 v[3:4], v[1:2]
	flat_load_b64 v[5:6], v[1:2] offset:2048
	flat_load_b64 v[7:8], v[1:2] offset:4096
	flat_load_b64 v[9:10], v[1:2] offset:6144
	flat_load_b64 v[1:2], v[1:2] offset:8192
	s_wait_loadcnt_dscnt 0x303
	ds_store_2addr_stride64_b64 v11, v[3:4], v[5:6] offset1:4
	s_wait_loadcnt_dscnt 0x102
	ds_store_2addr_stride64_b64 v11, v[7:8], v[9:10] offset0:8 offset1:12
	s_wait_loadcnt_dscnt 0x2
	ds_store_b64 v11, v[1:2] offset:8192
	s_wait_dscnt 0x0
	s_barrier_signal -1
	s_barrier_wait -1
.LBB794_2:
	s_load_b64 s[12:13], s[0:1], 0x20
	v_cmp_gt_u32_e64 s2, s18, v0
	s_and_not1_b32 vcc_lo, exec_lo, s3
	s_cbranch_vccnz .LBB794_14
; %bb.3:
	v_mov_b32_e32 v1, 0
	s_delay_alu instid0(VALU_DEP_1)
	v_dual_mov_b32 v2, v1 :: v_dual_mov_b32 v3, v1
	v_dual_mov_b32 v4, v1 :: v_dual_mov_b32 v5, v1
	;; [unrolled: 1-line block ×4, first 2 shown]
	v_mov_b32_e32 v10, v1
	s_and_saveexec_b32 s3, s2
	s_cbranch_execz .LBB794_5
; %bb.4:
	v_dual_mov_b32 v5, v1 :: v_dual_lshlrev_b32 v2, 3, v0
	v_dual_mov_b32 v4, v1 :: v_dual_mov_b32 v7, v1
	v_dual_mov_b32 v6, v1 :: v_dual_mov_b32 v9, v1
	s_delay_alu instid0(VALU_DEP_3)
	v_add_co_u32 v2, s2, s14, v2
	s_wait_alu 0xf1ff
	v_add_co_ci_u32_e64 v3, null, s15, 0, s2
	v_dual_mov_b32 v8, v1 :: v_dual_mov_b32 v11, v1
	v_mov_b32_e32 v10, v1
	flat_load_b64 v[2:3], v[2:3]
	s_wait_loadcnt_dscnt 0x0
	v_mov_b32_e32 v1, v2
	v_mov_b32_e32 v2, v3
	;; [unrolled: 1-line block ×16, first 2 shown]
.LBB794_5:
	s_wait_alu 0xfffe
	s_or_b32 exec_lo, exec_lo, s3
	v_or_b32_e32 v11, 0x100, v0
	s_mov_b32 s2, exec_lo
	s_delay_alu instid0(VALU_DEP_1)
	v_cmpx_gt_u32_e64 s18, v11
	s_cbranch_execz .LBB794_7
; %bb.6:
	v_lshlrev_b32_e32 v3, 3, v0
	s_delay_alu instid0(VALU_DEP_1)
	v_add_co_u32 v3, s3, s14, v3
	s_wait_alu 0xf1ff
	v_add_co_ci_u32_e64 v4, null, s15, 0, s3
	flat_load_b64 v[3:4], v[3:4] offset:2048
.LBB794_7:
	s_wait_alu 0xfffe
	s_or_b32 exec_lo, exec_lo, s2
	v_or_b32_e32 v11, 0x200, v0
	s_mov_b32 s2, exec_lo
	s_delay_alu instid0(VALU_DEP_1)
	v_cmpx_gt_u32_e64 s18, v11
	s_cbranch_execz .LBB794_9
; %bb.8:
	v_lshlrev_b32_e32 v5, 3, v0
	s_delay_alu instid0(VALU_DEP_1)
	v_add_co_u32 v5, s3, s14, v5
	s_wait_alu 0xf1ff
	v_add_co_ci_u32_e64 v6, null, s15, 0, s3
	flat_load_b64 v[5:6], v[5:6] offset:4096
.LBB794_9:
	;; [unrolled: 15-line block ×4, first 2 shown]
	s_wait_alu 0xfffe
	s_or_b32 exec_lo, exec_lo, s2
	v_lshlrev_b32_e32 v11, 3, v0
	s_wait_loadcnt_dscnt 0x0
	ds_store_2addr_stride64_b64 v11, v[1:2], v[3:4] offset1:4
	ds_store_2addr_stride64_b64 v11, v[5:6], v[7:8] offset0:8 offset1:12
	ds_store_b64 v11, v[9:10] offset:8192
	s_wait_dscnt 0x0
	s_barrier_signal -1
	s_barrier_wait -1
.LBB794_14:
	v_mul_u32_u24_e32 v1, 5, v0
	global_inv scope:SCOPE_SE
	s_wait_kmcnt 0x0
	s_add_nc_u64 s[2:3], s[12:13], s[4:5]
	s_and_b32 vcc_lo, exec_lo, s17
	s_wait_alu 0xfffe
	s_add_nc_u64 s[2:3], s[2:3], s[10:11]
	v_lshlrev_b32_e32 v9, 3, v1
	s_mov_b32 s4, -1
	ds_load_2addr_b64 v[5:8], v9 offset1:1
	ds_load_2addr_b64 v[1:4], v9 offset0:2 offset1:3
	ds_load_b64 v[17:18], v9 offset:32
	s_wait_loadcnt_dscnt 0x0
	s_barrier_signal -1
	s_barrier_wait -1
	global_inv scope:SCOPE_SE
	s_cbranch_vccz .LBB794_16
; %bb.15:
	v_lshlrev_b32_e32 v16, 3, v0
	s_mov_b32 s4, 0
	s_clause 0x4
	global_load_b64 v[10:11], v16, s[2:3]
	global_load_b64 v[12:13], v16, s[2:3] offset:2048
	global_load_b64 v[14:15], v16, s[2:3] offset:4096
	global_load_b64 v[19:20], v16, s[2:3] offset:6144
	global_load_b64 v[21:22], v16, s[2:3] offset:8192
	s_wait_loadcnt 0x4
	v_cmp_eq_f64_e32 vcc_lo, 0, v[10:11]
	v_cndmask_b32_e64 v10, 0, 1, vcc_lo
	s_wait_loadcnt 0x3
	v_cmp_eq_f64_e32 vcc_lo, 0, v[12:13]
	s_wait_alu 0xfffd
	v_cndmask_b32_e64 v11, 0, 1, vcc_lo
	s_wait_loadcnt 0x2
	v_cmp_eq_f64_e32 vcc_lo, 0, v[14:15]
	s_wait_alu 0xfffd
	;; [unrolled: 4-line block ×4, first 2 shown]
	v_cndmask_b32_e64 v14, 0, 1, vcc_lo
	ds_store_b8 v0, v10
	ds_store_b8 v0, v11 offset:256
	ds_store_b8 v0, v12 offset:512
	;; [unrolled: 1-line block ×4, first 2 shown]
	s_wait_dscnt 0x0
	s_barrier_signal -1
	s_barrier_wait -1
.LBB794_16:
	s_and_not1_b32 vcc_lo, exec_lo, s4
	s_wait_alu 0xfffe
	s_cbranch_vccnz .LBB794_28
; %bb.17:
	v_mov_b32_e32 v12, 0
	s_mov_b32 s5, 0
	s_mov_b32 s4, exec_lo
	s_delay_alu instid0(VALU_DEP_1)
	v_dual_mov_b32 v10, v12 :: v_dual_mov_b32 v11, v12
	v_cmpx_gt_u32_e64 s18, v0
	s_cbranch_execz .LBB794_19
; %bb.18:
	v_lshlrev_b32_e32 v10, 3, v0
	global_load_b64 v[10:11], v10, s[2:3]
	s_wait_loadcnt 0x0
	v_cmp_eq_f64_e32 vcc_lo, 0, v[10:11]
	v_mov_b32_e32 v10, s5
	s_wait_alu 0xfffd
	v_cndmask_b32_e64 v12, 0, 1, vcc_lo
	s_delay_alu instid0(VALU_DEP_1)
	v_mov_b32_e32 v11, v12
.LBB794_19:
	s_or_b32 exec_lo, exec_lo, s4
	v_or_b32_e32 v13, 0x100, v0
	s_mov_b32 s4, exec_lo
	s_delay_alu instid0(VALU_DEP_1)
	v_cmpx_gt_u32_e64 s18, v13
	s_cbranch_execz .LBB794_21
; %bb.20:
	v_lshlrev_b32_e32 v13, 3, v0
	v_lshrrev_b32_e32 v15, 24, v12
	v_lshrrev_b32_e32 v16, 16, v12
	v_and_b32_e32 v12, 0xff, v12
	v_and_b32_e32 v10, 0xff, v10
	global_load_b64 v[13:14], v13, s[2:3] offset:2048
	s_wait_loadcnt 0x0
	v_cmp_eq_f64_e32 vcc_lo, 0, v[13:14]
	v_lshlrev_b16 v14, 8, v15
	v_and_b32_e32 v15, 0xff, v16
	s_delay_alu instid0(VALU_DEP_1) | instskip(SKIP_2) | instid1(VALU_DEP_1)
	v_or_b32_e32 v14, v15, v14
	s_wait_alu 0xfffd
	v_cndmask_b32_e64 v13, 0, 1, vcc_lo
	v_lshlrev_b16 v13, 8, v13
	s_delay_alu instid0(VALU_DEP_1) | instskip(SKIP_1) | instid1(VALU_DEP_2)
	v_or_b32_e32 v12, v12, v13
	v_lshlrev_b32_e32 v13, 16, v14
	v_and_b32_e32 v12, 0xffff, v12
	s_delay_alu instid0(VALU_DEP_1)
	v_or_b32_e32 v12, v12, v13
.LBB794_21:
	s_wait_alu 0xfffe
	s_or_b32 exec_lo, exec_lo, s4
	v_or_b32_e32 v13, 0x200, v0
	s_mov_b32 s4, exec_lo
	s_delay_alu instid0(VALU_DEP_1)
	v_cmpx_gt_u32_e64 s18, v13
	s_cbranch_execz .LBB794_23
; %bb.22:
	v_lshlrev_b32_e32 v13, 3, v0
	v_lshrrev_b32_e32 v15, 24, v12
	v_perm_b32 v12, v12, v12, 0xc0c0104
	v_and_b32_e32 v10, 0xff, v10
	global_load_b64 v[13:14], v13, s[2:3] offset:4096
	v_lshlrev_b16 v15, 8, v15
	s_wait_loadcnt 0x0
	v_cmp_eq_f64_e32 vcc_lo, 0, v[13:14]
	s_wait_alu 0xfffd
	v_cndmask_b32_e64 v13, 0, 1, vcc_lo
	s_delay_alu instid0(VALU_DEP_1) | instskip(NEXT) | instid1(VALU_DEP_1)
	v_or_b32_e32 v13, v13, v15
	v_lshlrev_b32_e32 v13, 16, v13
	s_delay_alu instid0(VALU_DEP_1)
	v_or_b32_e32 v12, v12, v13
.LBB794_23:
	s_wait_alu 0xfffe
	s_or_b32 exec_lo, exec_lo, s4
	v_or_b32_e32 v13, 0x300, v0
	s_mov_b32 s4, exec_lo
	s_delay_alu instid0(VALU_DEP_1)
	v_cmpx_gt_u32_e64 s18, v13
	s_cbranch_execz .LBB794_25
; %bb.24:
	v_lshlrev_b32_e32 v13, 3, v0
	v_lshrrev_b32_e32 v15, 16, v12
	v_perm_b32 v12, v12, v12, 0xc0c0104
	v_and_b32_e32 v10, 0xff, v10
	global_load_b64 v[13:14], v13, s[2:3] offset:6144
	s_wait_loadcnt 0x0
	v_cmp_eq_f64_e32 vcc_lo, 0, v[13:14]
	v_and_b32_e32 v14, 0xff, v15
	s_wait_alu 0xfffd
	v_cndmask_b32_e64 v13, 0, 1, vcc_lo
	s_delay_alu instid0(VALU_DEP_1) | instskip(NEXT) | instid1(VALU_DEP_1)
	v_lshlrev_b16 v13, 8, v13
	v_or_b32_e32 v13, v14, v13
	s_delay_alu instid0(VALU_DEP_1) | instskip(NEXT) | instid1(VALU_DEP_1)
	v_lshlrev_b32_e32 v13, 16, v13
	v_or_b32_e32 v12, v12, v13
.LBB794_25:
	s_wait_alu 0xfffe
	s_or_b32 exec_lo, exec_lo, s4
	v_or_b32_e32 v13, 0x400, v0
	s_mov_b32 s4, exec_lo
	s_delay_alu instid0(VALU_DEP_1)
	v_cmpx_gt_u32_e64 s18, v13
	s_cbranch_execz .LBB794_27
; %bb.26:
	v_lshlrev_b32_e32 v10, 3, v0
	v_perm_b32 v12, v12, v12, 0x3020104
	global_load_b64 v[13:14], v10, s[2:3] offset:8192
	s_wait_loadcnt 0x0
	v_cmp_eq_f64_e32 vcc_lo, 0, v[13:14]
	s_wait_alu 0xfffd
	v_cndmask_b32_e64 v10, 0, 1, vcc_lo
.LBB794_27:
	s_wait_alu 0xfffe
	s_or_b32 exec_lo, exec_lo, s4
	v_lshrrev_b32_e32 v13, 8, v12
	v_lshrrev_b32_e32 v14, 24, v12
	ds_store_b8 v0, v11
	ds_store_b8 v0, v13 offset:256
	ds_store_b8_d16_hi v0, v12 offset:512
	ds_store_b8 v0, v14 offset:768
	ds_store_b8 v0, v10 offset:1024
	s_wait_loadcnt_dscnt 0x0
	s_barrier_signal -1
	s_barrier_wait -1
.LBB794_28:
	v_mad_i32_i24 v33, 0xffffffdd, v0, v9
	s_wait_loadcnt 0x0
	global_inv scope:SCOPE_SE
	s_load_b64 s[10:11], s[0:1], 0x68
	v_mbcnt_lo_u32_b32 v32, -1, 0
	s_cmp_lg_u32 ttmp9, 0
	ds_load_u8 v9, v33
	ds_load_u8 v10, v33 offset:1
	ds_load_u8 v11, v33 offset:2
	;; [unrolled: 1-line block ×4, first 2 shown]
	s_mov_b32 s3, -1
	s_wait_loadcnt_dscnt 0x0
	v_and_b32_e32 v34, 15, v32
	s_barrier_signal -1
	s_barrier_wait -1
	global_inv scope:SCOPE_SE
	v_and_b32_e32 v31, 1, v9
	v_and_b32_e32 v30, 1, v10
	v_dual_mov_b32 v10, 0 :: v_dual_and_b32 v29, 1, v11
	v_and_b32_e32 v27, 1, v12
	v_and_b32_e32 v28, 1, v13
	s_delay_alu instid0(VALU_DEP_3) | instskip(NEXT) | instid1(VALU_DEP_1)
	v_add3_u32 v9, v30, v31, v29
	v_add_co_u32 v9, s2, v9, v27
	s_wait_alu 0xf1ff
	v_add_co_ci_u32_e64 v11, null, 0, 0, s2
	v_cmp_ne_u32_e64 s2, 0, v34
	s_delay_alu instid0(VALU_DEP_3) | instskip(SKIP_1) | instid1(VALU_DEP_3)
	v_add_co_u32 v19, vcc_lo, v9, v28
	s_wait_alu 0xfffd
	v_add_co_ci_u32_e64 v20, null, 0, v11, vcc_lo
	s_cbranch_scc0 .LBB794_85
; %bb.29:
	v_mov_b32_e32 v11, v19
	v_mov_b32_dpp v9, v19 row_shr:1 row_mask:0xf bank_mask:0xf
	v_mov_b32_dpp v14, v10 row_shr:1 row_mask:0xf bank_mask:0xf
	v_dual_mov_b32 v13, v19 :: v_dual_mov_b32 v12, v20
	s_and_saveexec_b32 s3, s2
; %bb.30:
	s_delay_alu instid0(VALU_DEP_3) | instskip(SKIP_2) | instid1(VALU_DEP_2)
	v_add_co_u32 v13, vcc_lo, v19, v9
	s_wait_alu 0xfffd
	v_add_co_ci_u32_e64 v10, null, 0, v20, vcc_lo
	v_add_co_u32 v9, vcc_lo, 0, v13
	s_wait_alu 0xfffd
	s_delay_alu instid0(VALU_DEP_2) | instskip(NEXT) | instid1(VALU_DEP_1)
	v_add_co_ci_u32_e64 v10, null, v14, v10, vcc_lo
	v_dual_mov_b32 v12, v10 :: v_dual_mov_b32 v11, v9
; %bb.31:
	s_wait_alu 0xfffe
	s_or_b32 exec_lo, exec_lo, s3
	v_mov_b32_dpp v9, v13 row_shr:2 row_mask:0xf bank_mask:0xf
	v_mov_b32_dpp v14, v10 row_shr:2 row_mask:0xf bank_mask:0xf
	s_mov_b32 s3, exec_lo
	v_cmpx_lt_u32_e32 1, v34
; %bb.32:
	s_delay_alu instid0(VALU_DEP_3) | instskip(SKIP_2) | instid1(VALU_DEP_2)
	v_add_co_u32 v13, vcc_lo, v11, v9
	s_wait_alu 0xfffd
	v_add_co_ci_u32_e64 v10, null, 0, v12, vcc_lo
	v_add_co_u32 v9, vcc_lo, 0, v13
	s_wait_alu 0xfffd
	s_delay_alu instid0(VALU_DEP_2) | instskip(NEXT) | instid1(VALU_DEP_1)
	v_add_co_ci_u32_e64 v10, null, v14, v10, vcc_lo
	v_dual_mov_b32 v12, v10 :: v_dual_mov_b32 v11, v9
; %bb.33:
	s_wait_alu 0xfffe
	s_or_b32 exec_lo, exec_lo, s3
	v_mov_b32_dpp v9, v13 row_shr:4 row_mask:0xf bank_mask:0xf
	v_mov_b32_dpp v14, v10 row_shr:4 row_mask:0xf bank_mask:0xf
	s_mov_b32 s3, exec_lo
	v_cmpx_lt_u32_e32 3, v34
	;; [unrolled: 17-line block ×3, first 2 shown]
; %bb.36:
	s_delay_alu instid0(VALU_DEP_3) | instskip(SKIP_2) | instid1(VALU_DEP_2)
	v_add_co_u32 v13, vcc_lo, v11, v14
	s_wait_alu 0xfffd
	v_add_co_ci_u32_e64 v10, null, 0, v12, vcc_lo
	v_add_co_u32 v11, vcc_lo, 0, v13
	s_wait_alu 0xfffd
	s_delay_alu instid0(VALU_DEP_2) | instskip(NEXT) | instid1(VALU_DEP_1)
	v_add_co_ci_u32_e64 v12, null, v9, v10, vcc_lo
	v_mov_b32_e32 v10, v12
; %bb.37:
	s_wait_alu 0xfffe
	s_or_b32 exec_lo, exec_lo, s3
	ds_swizzle_b32 v9, v13 offset:swizzle(BROADCAST,32,15)
	ds_swizzle_b32 v14, v10 offset:swizzle(BROADCAST,32,15)
	v_and_b32_e32 v15, 16, v32
	s_mov_b32 s3, exec_lo
	s_delay_alu instid0(VALU_DEP_1)
	v_cmpx_ne_u32_e32 0, v15
	s_cbranch_execz .LBB794_39
; %bb.38:
	s_wait_dscnt 0x1
	v_add_co_u32 v13, vcc_lo, v11, v9
	s_wait_alu 0xfffd
	v_add_co_ci_u32_e64 v10, null, 0, v12, vcc_lo
	s_delay_alu instid0(VALU_DEP_2) | instskip(SKIP_2) | instid1(VALU_DEP_2)
	v_add_co_u32 v9, vcc_lo, 0, v13
	s_wait_dscnt 0x0
	s_wait_alu 0xfffd
	v_add_co_ci_u32_e64 v10, null, v14, v10, vcc_lo
	s_delay_alu instid0(VALU_DEP_1)
	v_dual_mov_b32 v12, v10 :: v_dual_mov_b32 v11, v9
.LBB794_39:
	s_wait_alu 0xfffe
	s_or_b32 exec_lo, exec_lo, s3
	s_wait_dscnt 0x0
	v_or_b32_e32 v14, 31, v0
	v_lshrrev_b32_e32 v9, 5, v0
	s_mov_b32 s3, exec_lo
	s_delay_alu instid0(VALU_DEP_2)
	v_cmpx_eq_u32_e64 v0, v14
; %bb.40:
	s_delay_alu instid0(VALU_DEP_2)
	v_lshlrev_b32_e32 v14, 3, v9
	ds_store_b64 v14, v[11:12]
; %bb.41:
	s_wait_alu 0xfffe
	s_or_b32 exec_lo, exec_lo, s3
	s_delay_alu instid0(SALU_CYCLE_1)
	s_mov_b32 s3, exec_lo
	s_wait_loadcnt_dscnt 0x0
	s_barrier_signal -1
	s_barrier_wait -1
	global_inv scope:SCOPE_SE
	v_cmpx_gt_u32_e32 8, v0
	s_cbranch_execz .LBB794_49
; %bb.42:
	v_lshlrev_b32_e32 v14, 3, v0
	s_mov_b32 s4, exec_lo
	ds_load_b64 v[11:12], v14
	s_wait_dscnt 0x0
	v_dual_mov_b32 v16, v11 :: v_dual_and_b32 v15, 7, v32
	v_mov_b32_dpp v22, v11 row_shr:1 row_mask:0xf bank_mask:0xf
	v_mov_b32_dpp v21, v12 row_shr:1 row_mask:0xf bank_mask:0xf
	s_delay_alu instid0(VALU_DEP_3)
	v_cmpx_ne_u32_e32 0, v15
; %bb.43:
	s_delay_alu instid0(VALU_DEP_3) | instskip(SKIP_2) | instid1(VALU_DEP_2)
	v_add_co_u32 v16, vcc_lo, v11, v22
	s_wait_alu 0xfffd
	v_add_co_ci_u32_e64 v12, null, 0, v12, vcc_lo
	v_add_co_u32 v11, vcc_lo, 0, v16
	s_wait_alu 0xfffd
	s_delay_alu instid0(VALU_DEP_2)
	v_add_co_ci_u32_e64 v12, null, v21, v12, vcc_lo
; %bb.44:
	s_wait_alu 0xfffe
	s_or_b32 exec_lo, exec_lo, s4
	v_mov_b32_dpp v22, v16 row_shr:2 row_mask:0xf bank_mask:0xf
	s_delay_alu instid0(VALU_DEP_2)
	v_mov_b32_dpp v21, v12 row_shr:2 row_mask:0xf bank_mask:0xf
	s_mov_b32 s4, exec_lo
	v_cmpx_lt_u32_e32 1, v15
; %bb.45:
	s_delay_alu instid0(VALU_DEP_3) | instskip(SKIP_2) | instid1(VALU_DEP_2)
	v_add_co_u32 v16, vcc_lo, v11, v22
	s_wait_alu 0xfffd
	v_add_co_ci_u32_e64 v12, null, 0, v12, vcc_lo
	v_add_co_u32 v11, vcc_lo, 0, v16
	s_wait_alu 0xfffd
	s_delay_alu instid0(VALU_DEP_2)
	v_add_co_ci_u32_e64 v12, null, v21, v12, vcc_lo
; %bb.46:
	s_wait_alu 0xfffe
	s_or_b32 exec_lo, exec_lo, s4
	v_mov_b32_dpp v21, v16 row_shr:4 row_mask:0xf bank_mask:0xf
	s_delay_alu instid0(VALU_DEP_2)
	v_mov_b32_dpp v16, v12 row_shr:4 row_mask:0xf bank_mask:0xf
	s_mov_b32 s4, exec_lo
	v_cmpx_lt_u32_e32 3, v15
; %bb.47:
	s_delay_alu instid0(VALU_DEP_3) | instskip(SKIP_2) | instid1(VALU_DEP_2)
	v_add_co_u32 v11, vcc_lo, v11, v21
	s_wait_alu 0xfffd
	v_add_co_ci_u32_e64 v12, null, 0, v12, vcc_lo
	v_add_co_u32 v11, vcc_lo, v11, 0
	s_wait_alu 0xfffd
	s_delay_alu instid0(VALU_DEP_2)
	v_add_co_ci_u32_e64 v12, null, v12, v16, vcc_lo
; %bb.48:
	s_wait_alu 0xfffe
	s_or_b32 exec_lo, exec_lo, s4
	ds_store_b64 v14, v[11:12]
.LBB794_49:
	s_wait_alu 0xfffe
	s_or_b32 exec_lo, exec_lo, s3
	s_delay_alu instid0(SALU_CYCLE_1)
	s_mov_b32 s4, exec_lo
	v_cmp_gt_u32_e32 vcc_lo, 32, v0
	s_wait_loadcnt_dscnt 0x0
	s_barrier_signal -1
	s_barrier_wait -1
	global_inv scope:SCOPE_SE
                                        ; implicit-def: $vgpr21_vgpr22
	v_cmpx_lt_u32_e32 31, v0
	s_cbranch_execz .LBB794_51
; %bb.50:
	v_lshl_add_u32 v9, v9, 3, -8
	ds_load_b64 v[21:22], v9
	s_wait_dscnt 0x0
	v_add_co_u32 v13, s3, v13, v21
	s_wait_alu 0xf1ff
	v_add_co_ci_u32_e64 v10, null, v10, v22, s3
.LBB794_51:
	s_wait_alu 0xfffe
	s_or_b32 exec_lo, exec_lo, s4
	v_sub_co_u32 v9, s3, v32, 1
	s_delay_alu instid0(VALU_DEP_1) | instskip(SKIP_1) | instid1(VALU_DEP_1)
	v_cmp_gt_i32_e64 s4, 0, v9
	s_wait_alu 0xf1ff
	v_cndmask_b32_e64 v9, v9, v32, s4
	s_delay_alu instid0(VALU_DEP_1)
	v_lshlrev_b32_e32 v9, 2, v9
	ds_bpermute_b32 v35, v9, v13
	ds_bpermute_b32 v36, v9, v10
	s_and_saveexec_b32 s4, vcc_lo
	s_cbranch_execz .LBB794_90
; %bb.52:
	v_mov_b32_e32 v12, 0
	ds_load_b64 v[9:10], v12 offset:56
	s_and_saveexec_b32 s5, s3
	s_cbranch_execz .LBB794_54
; %bb.53:
	s_add_co_i32 s12, ttmp9, 32
	s_mov_b32 s13, 0
	s_delay_alu instid0(SALU_CYCLE_1) | instskip(SKIP_2) | instid1(SALU_CYCLE_1)
	s_lshl_b64 s[12:13], s[12:13], 4
	s_wait_kmcnt 0x0
	s_add_nc_u64 s[12:13], s[10:11], s[12:13]
	v_dual_mov_b32 v11, 1 :: v_dual_mov_b32 v14, s13
	v_mov_b32_e32 v13, s12
	s_wait_dscnt 0x0
	;;#ASMSTART
	global_store_b128 v[13:14], v[9:12] off scope:SCOPE_DEV	
s_wait_storecnt 0x0
	;;#ASMEND
.LBB794_54:
	s_wait_alu 0xfffe
	s_or_b32 exec_lo, exec_lo, s5
	v_xad_u32 v23, v32, -1, ttmp9
	s_mov_b32 s12, 0
	s_mov_b32 s5, exec_lo
	s_delay_alu instid0(VALU_DEP_1) | instskip(NEXT) | instid1(VALU_DEP_1)
	v_add_nc_u32_e32 v11, 32, v23
	v_lshlrev_b64_e32 v[11:12], 4, v[11:12]
	s_wait_kmcnt 0x0
	s_delay_alu instid0(VALU_DEP_1) | instskip(SKIP_1) | instid1(VALU_DEP_2)
	v_add_co_u32 v11, vcc_lo, s10, v11
	s_wait_alu 0xfffd
	v_add_co_ci_u32_e64 v12, null, s11, v12, vcc_lo
	;;#ASMSTART
	global_load_b128 v[13:16], v[11:12] off scope:SCOPE_DEV	
s_wait_loadcnt 0x0
	;;#ASMEND
	v_and_b32_e32 v16, 0xff, v15
	s_delay_alu instid0(VALU_DEP_1)
	v_cmpx_eq_u16_e32 0, v16
	s_cbranch_execz .LBB794_57
.LBB794_55:                             ; =>This Inner Loop Header: Depth=1
	;;#ASMSTART
	global_load_b128 v[13:16], v[11:12] off scope:SCOPE_DEV	
s_wait_loadcnt 0x0
	;;#ASMEND
	v_and_b32_e32 v16, 0xff, v15
	s_delay_alu instid0(VALU_DEP_1)
	v_cmp_ne_u16_e32 vcc_lo, 0, v16
	s_wait_alu 0xfffe
	s_or_b32 s12, vcc_lo, s12
	s_wait_alu 0xfffe
	s_and_not1_b32 exec_lo, exec_lo, s12
	s_cbranch_execnz .LBB794_55
; %bb.56:
	s_or_b32 exec_lo, exec_lo, s12
.LBB794_57:
	s_wait_alu 0xfffe
	s_or_b32 exec_lo, exec_lo, s5
	v_cmp_ne_u32_e32 vcc_lo, 31, v32
	v_and_b32_e32 v12, 0xff, v15
	v_lshlrev_b32_e64 v38, v32, -1
	s_mov_b32 s5, exec_lo
	s_wait_alu 0xfffd
	v_add_co_ci_u32_e64 v11, null, 0, v32, vcc_lo
	v_cmp_eq_u16_e32 vcc_lo, 2, v12
	s_delay_alu instid0(VALU_DEP_2)
	v_dual_mov_b32 v12, v13 :: v_dual_lshlrev_b32 v37, 2, v11
	s_wait_alu 0xfffd
	v_and_or_b32 v11, vcc_lo, v38, 0x80000000
	ds_bpermute_b32 v24, v37, v13
	ds_bpermute_b32 v16, v37, v14
	v_ctz_i32_b32_e32 v11, v11
	s_delay_alu instid0(VALU_DEP_1)
	v_cmpx_lt_u32_e64 v32, v11
	s_cbranch_execz .LBB794_59
; %bb.58:
	s_wait_dscnt 0x1
	v_add_co_u32 v12, vcc_lo, v13, v24
	s_wait_alu 0xfffd
	v_add_co_ci_u32_e64 v14, null, 0, v14, vcc_lo
	s_delay_alu instid0(VALU_DEP_2) | instskip(SKIP_2) | instid1(VALU_DEP_2)
	v_add_co_u32 v13, vcc_lo, 0, v12
	s_wait_dscnt 0x0
	s_wait_alu 0xfffd
	v_add_co_ci_u32_e64 v14, null, v16, v14, vcc_lo
.LBB794_59:
	s_wait_alu 0xfffe
	s_or_b32 exec_lo, exec_lo, s5
	v_cmp_gt_u32_e32 vcc_lo, 30, v32
	v_add_nc_u32_e32 v40, 2, v32
	s_mov_b32 s5, exec_lo
	s_wait_dscnt 0x0
	s_wait_alu 0xfffd
	v_cndmask_b32_e64 v16, 0, 2, vcc_lo
	s_delay_alu instid0(VALU_DEP_1)
	v_add_lshl_u32 v39, v16, v32, 2
	ds_bpermute_b32 v24, v39, v12
	ds_bpermute_b32 v16, v39, v14
	v_cmpx_le_u32_e64 v40, v11
	s_cbranch_execz .LBB794_61
; %bb.60:
	s_wait_dscnt 0x1
	v_add_co_u32 v12, vcc_lo, v13, v24
	s_wait_alu 0xfffd
	v_add_co_ci_u32_e64 v14, null, 0, v14, vcc_lo
	s_delay_alu instid0(VALU_DEP_2) | instskip(SKIP_2) | instid1(VALU_DEP_2)
	v_add_co_u32 v13, vcc_lo, 0, v12
	s_wait_dscnt 0x0
	s_wait_alu 0xfffd
	v_add_co_ci_u32_e64 v14, null, v16, v14, vcc_lo
.LBB794_61:
	s_wait_alu 0xfffe
	s_or_b32 exec_lo, exec_lo, s5
	v_cmp_gt_u32_e32 vcc_lo, 28, v32
	v_add_nc_u32_e32 v42, 4, v32
	s_mov_b32 s5, exec_lo
	s_wait_dscnt 0x0
	s_wait_alu 0xfffd
	v_cndmask_b32_e64 v16, 0, 4, vcc_lo
	s_delay_alu instid0(VALU_DEP_1)
	v_add_lshl_u32 v41, v16, v32, 2
	ds_bpermute_b32 v24, v41, v12
	ds_bpermute_b32 v16, v41, v14
	v_cmpx_le_u32_e64 v42, v11
	;; [unrolled: 25-line block ×3, first 2 shown]
	s_cbranch_execz .LBB794_65
; %bb.64:
	s_wait_dscnt 0x1
	v_add_co_u32 v12, vcc_lo, v13, v24
	s_wait_alu 0xfffd
	v_add_co_ci_u32_e64 v14, null, 0, v14, vcc_lo
	s_delay_alu instid0(VALU_DEP_2) | instskip(SKIP_2) | instid1(VALU_DEP_2)
	v_add_co_u32 v13, vcc_lo, 0, v12
	s_wait_dscnt 0x0
	s_wait_alu 0xfffd
	v_add_co_ci_u32_e64 v14, null, v16, v14, vcc_lo
.LBB794_65:
	s_wait_alu 0xfffe
	s_or_b32 exec_lo, exec_lo, s5
	v_lshl_or_b32 v45, v32, 2, 64
	v_add_nc_u32_e32 v46, 16, v32
	s_mov_b32 s5, exec_lo
	s_wait_dscnt 0x0
	ds_bpermute_b32 v16, v45, v12
	ds_bpermute_b32 v12, v45, v14
	v_cmpx_le_u32_e64 v46, v11
	s_cbranch_execz .LBB794_67
; %bb.66:
	s_wait_dscnt 0x1
	v_add_co_u32 v11, vcc_lo, v13, v16
	s_wait_alu 0xfffd
	v_add_co_ci_u32_e64 v14, null, 0, v14, vcc_lo
	s_delay_alu instid0(VALU_DEP_2) | instskip(SKIP_2) | instid1(VALU_DEP_2)
	v_add_co_u32 v13, vcc_lo, v11, 0
	s_wait_dscnt 0x0
	s_wait_alu 0xfffd
	v_add_co_ci_u32_e64 v14, null, v14, v12, vcc_lo
.LBB794_67:
	s_wait_alu 0xfffe
	s_or_b32 exec_lo, exec_lo, s5
	v_mov_b32_e32 v24, 0
	s_branch .LBB794_70
.LBB794_68:                             ;   in Loop: Header=BB794_70 Depth=1
	s_wait_alu 0xfffe
	s_or_b32 exec_lo, exec_lo, s5
	v_add_co_u32 v13, vcc_lo, v13, v11
	v_subrev_nc_u32_e32 v23, 32, v23
	s_wait_alu 0xfffd
	v_add_co_ci_u32_e64 v14, null, v14, v12, vcc_lo
	s_mov_b32 s5, 0
.LBB794_69:                             ;   in Loop: Header=BB794_70 Depth=1
	s_wait_alu 0xfffe
	s_and_b32 vcc_lo, exec_lo, s5
	s_wait_alu 0xfffe
	s_cbranch_vccnz .LBB794_86
.LBB794_70:                             ; =>This Loop Header: Depth=1
                                        ;     Child Loop BB794_73 Depth 2
	v_and_b32_e32 v11, 0xff, v15
	s_mov_b32 s5, -1
	s_delay_alu instid0(VALU_DEP_1)
	v_cmp_ne_u16_e32 vcc_lo, 2, v11
	s_wait_dscnt 0x0
	v_dual_mov_b32 v11, v13 :: v_dual_mov_b32 v12, v14
                                        ; implicit-def: $vgpr13_vgpr14
	s_cmp_lg_u32 vcc_lo, exec_lo
	s_cbranch_scc1 .LBB794_69
; %bb.71:                               ;   in Loop: Header=BB794_70 Depth=1
	v_lshlrev_b64_e32 v[13:14], 4, v[23:24]
	s_mov_b32 s5, exec_lo
	s_delay_alu instid0(VALU_DEP_1) | instskip(SKIP_1) | instid1(VALU_DEP_2)
	v_add_co_u32 v25, vcc_lo, s10, v13
	s_wait_alu 0xfffd
	v_add_co_ci_u32_e64 v26, null, s11, v14, vcc_lo
	;;#ASMSTART
	global_load_b128 v[13:16], v[25:26] off scope:SCOPE_DEV	
s_wait_loadcnt 0x0
	;;#ASMEND
	v_and_b32_e32 v16, 0xff, v15
	s_delay_alu instid0(VALU_DEP_1)
	v_cmpx_eq_u16_e32 0, v16
	s_cbranch_execz .LBB794_75
; %bb.72:                               ;   in Loop: Header=BB794_70 Depth=1
	s_mov_b32 s12, 0
.LBB794_73:                             ;   Parent Loop BB794_70 Depth=1
                                        ; =>  This Inner Loop Header: Depth=2
	;;#ASMSTART
	global_load_b128 v[13:16], v[25:26] off scope:SCOPE_DEV	
s_wait_loadcnt 0x0
	;;#ASMEND
	v_and_b32_e32 v16, 0xff, v15
	s_delay_alu instid0(VALU_DEP_1)
	v_cmp_ne_u16_e32 vcc_lo, 0, v16
	s_wait_alu 0xfffe
	s_or_b32 s12, vcc_lo, s12
	s_wait_alu 0xfffe
	s_and_not1_b32 exec_lo, exec_lo, s12
	s_cbranch_execnz .LBB794_73
; %bb.74:                               ;   in Loop: Header=BB794_70 Depth=1
	s_or_b32 exec_lo, exec_lo, s12
.LBB794_75:                             ;   in Loop: Header=BB794_70 Depth=1
	s_wait_alu 0xfffe
	s_or_b32 exec_lo, exec_lo, s5
	v_dual_mov_b32 v25, v13 :: v_dual_and_b32 v16, 0xff, v15
	ds_bpermute_b32 v47, v37, v13
	ds_bpermute_b32 v26, v37, v14
	s_mov_b32 s5, exec_lo
	v_cmp_eq_u16_e32 vcc_lo, 2, v16
	s_wait_alu 0xfffd
	v_and_or_b32 v16, vcc_lo, v38, 0x80000000
	s_delay_alu instid0(VALU_DEP_1) | instskip(NEXT) | instid1(VALU_DEP_1)
	v_ctz_i32_b32_e32 v16, v16
	v_cmpx_lt_u32_e64 v32, v16
	s_cbranch_execz .LBB794_77
; %bb.76:                               ;   in Loop: Header=BB794_70 Depth=1
	s_wait_dscnt 0x1
	v_add_co_u32 v25, vcc_lo, v13, v47
	s_wait_alu 0xfffd
	v_add_co_ci_u32_e64 v14, null, 0, v14, vcc_lo
	s_delay_alu instid0(VALU_DEP_2) | instskip(SKIP_2) | instid1(VALU_DEP_2)
	v_add_co_u32 v13, vcc_lo, 0, v25
	s_wait_dscnt 0x0
	s_wait_alu 0xfffd
	v_add_co_ci_u32_e64 v14, null, v26, v14, vcc_lo
.LBB794_77:                             ;   in Loop: Header=BB794_70 Depth=1
	s_wait_alu 0xfffe
	s_or_b32 exec_lo, exec_lo, s5
	s_wait_dscnt 0x1
	ds_bpermute_b32 v47, v39, v25
	s_wait_dscnt 0x1
	ds_bpermute_b32 v26, v39, v14
	s_mov_b32 s5, exec_lo
	v_cmpx_le_u32_e64 v40, v16
	s_cbranch_execz .LBB794_79
; %bb.78:                               ;   in Loop: Header=BB794_70 Depth=1
	s_wait_dscnt 0x1
	v_add_co_u32 v25, vcc_lo, v13, v47
	s_wait_alu 0xfffd
	v_add_co_ci_u32_e64 v14, null, 0, v14, vcc_lo
	s_delay_alu instid0(VALU_DEP_2) | instskip(SKIP_2) | instid1(VALU_DEP_2)
	v_add_co_u32 v13, vcc_lo, 0, v25
	s_wait_dscnt 0x0
	s_wait_alu 0xfffd
	v_add_co_ci_u32_e64 v14, null, v26, v14, vcc_lo
.LBB794_79:                             ;   in Loop: Header=BB794_70 Depth=1
	s_wait_alu 0xfffe
	s_or_b32 exec_lo, exec_lo, s5
	s_wait_dscnt 0x1
	ds_bpermute_b32 v47, v41, v25
	s_wait_dscnt 0x1
	ds_bpermute_b32 v26, v41, v14
	s_mov_b32 s5, exec_lo
	v_cmpx_le_u32_e64 v42, v16
	;; [unrolled: 20-line block ×3, first 2 shown]
	s_cbranch_execz .LBB794_83
; %bb.82:                               ;   in Loop: Header=BB794_70 Depth=1
	s_wait_dscnt 0x1
	v_add_co_u32 v25, vcc_lo, v13, v47
	s_wait_alu 0xfffd
	v_add_co_ci_u32_e64 v14, null, 0, v14, vcc_lo
	s_delay_alu instid0(VALU_DEP_2) | instskip(SKIP_2) | instid1(VALU_DEP_2)
	v_add_co_u32 v13, vcc_lo, 0, v25
	s_wait_dscnt 0x0
	s_wait_alu 0xfffd
	v_add_co_ci_u32_e64 v14, null, v26, v14, vcc_lo
.LBB794_83:                             ;   in Loop: Header=BB794_70 Depth=1
	s_wait_alu 0xfffe
	s_or_b32 exec_lo, exec_lo, s5
	s_wait_dscnt 0x0
	ds_bpermute_b32 v26, v45, v25
	ds_bpermute_b32 v25, v45, v14
	s_mov_b32 s5, exec_lo
	v_cmpx_le_u32_e64 v46, v16
	s_cbranch_execz .LBB794_68
; %bb.84:                               ;   in Loop: Header=BB794_70 Depth=1
	s_wait_dscnt 0x1
	v_add_co_u32 v13, vcc_lo, v13, v26
	s_wait_alu 0xfffd
	v_add_co_ci_u32_e64 v14, null, 0, v14, vcc_lo
	s_delay_alu instid0(VALU_DEP_2) | instskip(SKIP_2) | instid1(VALU_DEP_2)
	v_add_co_u32 v13, vcc_lo, v13, 0
	s_wait_dscnt 0x0
	s_wait_alu 0xfffd
	v_add_co_ci_u32_e64 v14, null, v14, v25, vcc_lo
	s_branch .LBB794_68
.LBB794_85:
                                        ; implicit-def: $vgpr15_vgpr16
                                        ; implicit-def: $vgpr13_vgpr14
                                        ; implicit-def: $vgpr21_vgpr22
                                        ; implicit-def: $vgpr23_vgpr24
                                        ; implicit-def: $vgpr25_vgpr26
                                        ; implicit-def: $vgpr11_vgpr12
	s_load_b64 s[4:5], s[0:1], 0x30
	s_and_b32 vcc_lo, exec_lo, s3
	s_wait_alu 0xfffe
	s_cbranch_vccnz .LBB794_91
	s_branch .LBB794_116
.LBB794_86:
	s_and_saveexec_b32 s5, s3
	s_cbranch_execz .LBB794_88
; %bb.87:
	s_add_co_i32 s12, ttmp9, 32
	s_mov_b32 s13, 0
	v_add_co_u32 v13, vcc_lo, v11, v9
	s_wait_alu 0xfffe
	s_lshl_b64 s[12:13], s[12:13], 4
	v_dual_mov_b32 v15, 2 :: v_dual_mov_b32 v16, 0
	s_wait_alu 0xfffe
	s_add_nc_u64 s[12:13], s[10:11], s[12:13]
	s_wait_alu 0xfffd
	v_add_co_ci_u32_e64 v14, null, v12, v10, vcc_lo
	s_wait_alu 0xfffe
	v_dual_mov_b32 v24, s13 :: v_dual_mov_b32 v23, s12
	;;#ASMSTART
	global_store_b128 v[23:24], v[13:16] off scope:SCOPE_DEV	
s_wait_storecnt 0x0
	;;#ASMEND
	ds_store_b128 v16, v[9:12] offset:10240
.LBB794_88:
	s_wait_alu 0xfffe
	s_or_b32 exec_lo, exec_lo, s5
	v_cmp_eq_u32_e32 vcc_lo, 0, v0
	s_and_b32 exec_lo, exec_lo, vcc_lo
; %bb.89:
	v_mov_b32_e32 v9, 0
	ds_store_b64 v9, v[11:12] offset:56
.LBB794_90:
	s_wait_alu 0xfffe
	s_or_b32 exec_lo, exec_lo, s4
	s_wait_dscnt 0x1
	v_cndmask_b32_e64 v12, v35, v21, s3
	v_cmp_ne_u32_e32 vcc_lo, 0, v0
	v_mov_b32_e32 v11, 0
	s_wait_loadcnt_dscnt 0x0
	s_barrier_signal -1
	s_barrier_wait -1
	global_inv scope:SCOPE_SE
	s_wait_alu 0xfffd
	v_cndmask_b32_e32 v12, 0, v12, vcc_lo
	ds_load_b64 v[9:10], v11 offset:56
	v_cndmask_b32_e64 v13, v36, v22, s3
	s_wait_loadcnt_dscnt 0x0
	s_barrier_signal -1
	s_barrier_wait -1
	global_inv scope:SCOPE_SE
	v_cndmask_b32_e32 v13, 0, v13, vcc_lo
	v_add_co_u32 v25, vcc_lo, v9, v12
	s_wait_alu 0xfffd
	s_delay_alu instid0(VALU_DEP_2) | instskip(SKIP_4) | instid1(VALU_DEP_2)
	v_add_co_ci_u32_e64 v26, null, v10, v13, vcc_lo
	ds_load_b128 v[9:12], v11 offset:10240
	v_add_co_u32 v23, vcc_lo, v25, v31
	s_wait_alu 0xfffd
	v_add_co_ci_u32_e64 v24, null, 0, v26, vcc_lo
	v_add_co_u32 v21, vcc_lo, v23, v30
	s_wait_alu 0xfffd
	s_delay_alu instid0(VALU_DEP_2) | instskip(NEXT) | instid1(VALU_DEP_2)
	v_add_co_ci_u32_e64 v22, null, 0, v24, vcc_lo
	v_add_co_u32 v13, vcc_lo, v21, v29
	s_wait_alu 0xfffd
	s_delay_alu instid0(VALU_DEP_2) | instskip(NEXT) | instid1(VALU_DEP_2)
	v_add_co_ci_u32_e64 v14, null, 0, v22, vcc_lo
	v_add_co_u32 v15, vcc_lo, v13, v27
	s_wait_alu 0xfffd
	s_delay_alu instid0(VALU_DEP_2)
	v_add_co_ci_u32_e64 v16, null, 0, v14, vcc_lo
	s_load_b64 s[4:5], s[0:1], 0x30
	s_branch .LBB794_116
.LBB794_91:
	s_wait_dscnt 0x0
	v_dual_mov_b32 v10, 0 :: v_dual_mov_b32 v11, v19
	v_mov_b32_dpp v12, v19 row_shr:1 row_mask:0xf bank_mask:0xf
	s_delay_alu instid0(VALU_DEP_2)
	v_mov_b32_dpp v9, v10 row_shr:1 row_mask:0xf bank_mask:0xf
	s_and_saveexec_b32 s0, s2
; %bb.92:
	s_delay_alu instid0(VALU_DEP_2) | instskip(SKIP_2) | instid1(VALU_DEP_2)
	v_add_co_u32 v11, vcc_lo, v19, v12
	s_wait_alu 0xfffd
	v_add_co_ci_u32_e64 v10, null, 0, v20, vcc_lo
	v_add_co_u32 v19, vcc_lo, 0, v11
	s_wait_alu 0xfffd
	s_delay_alu instid0(VALU_DEP_2) | instskip(NEXT) | instid1(VALU_DEP_1)
	v_add_co_ci_u32_e64 v20, null, v9, v10, vcc_lo
	v_mov_b32_e32 v10, v20
; %bb.93:
	s_or_b32 exec_lo, exec_lo, s0
	v_mov_b32_dpp v9, v11 row_shr:2 row_mask:0xf bank_mask:0xf
	s_delay_alu instid0(VALU_DEP_2)
	v_mov_b32_dpp v12, v10 row_shr:2 row_mask:0xf bank_mask:0xf
	s_mov_b32 s0, exec_lo
	v_cmpx_lt_u32_e32 1, v34
; %bb.94:
	s_delay_alu instid0(VALU_DEP_3) | instskip(SKIP_2) | instid1(VALU_DEP_2)
	v_add_co_u32 v11, vcc_lo, v19, v9
	s_wait_alu 0xfffd
	v_add_co_ci_u32_e64 v10, null, 0, v20, vcc_lo
	v_add_co_u32 v9, vcc_lo, 0, v11
	s_wait_alu 0xfffd
	s_delay_alu instid0(VALU_DEP_2) | instskip(NEXT) | instid1(VALU_DEP_1)
	v_add_co_ci_u32_e64 v10, null, v12, v10, vcc_lo
	v_dual_mov_b32 v20, v10 :: v_dual_mov_b32 v19, v9
; %bb.95:
	s_or_b32 exec_lo, exec_lo, s0
	v_mov_b32_dpp v9, v11 row_shr:4 row_mask:0xf bank_mask:0xf
	v_mov_b32_dpp v12, v10 row_shr:4 row_mask:0xf bank_mask:0xf
	s_mov_b32 s0, exec_lo
	v_cmpx_lt_u32_e32 3, v34
; %bb.96:
	s_delay_alu instid0(VALU_DEP_3) | instskip(SKIP_2) | instid1(VALU_DEP_2)
	v_add_co_u32 v11, vcc_lo, v19, v9
	s_wait_alu 0xfffd
	v_add_co_ci_u32_e64 v10, null, 0, v20, vcc_lo
	v_add_co_u32 v9, vcc_lo, 0, v11
	s_wait_alu 0xfffd
	s_delay_alu instid0(VALU_DEP_2) | instskip(NEXT) | instid1(VALU_DEP_1)
	v_add_co_ci_u32_e64 v10, null, v12, v10, vcc_lo
	v_dual_mov_b32 v20, v10 :: v_dual_mov_b32 v19, v9
; %bb.97:
	s_or_b32 exec_lo, exec_lo, s0
	v_mov_b32_dpp v12, v11 row_shr:8 row_mask:0xf bank_mask:0xf
	v_mov_b32_dpp v9, v10 row_shr:8 row_mask:0xf bank_mask:0xf
	s_mov_b32 s0, exec_lo
	v_cmpx_lt_u32_e32 7, v34
; %bb.98:
	s_delay_alu instid0(VALU_DEP_3) | instskip(SKIP_2) | instid1(VALU_DEP_2)
	v_add_co_u32 v11, vcc_lo, v19, v12
	s_wait_alu 0xfffd
	v_add_co_ci_u32_e64 v10, null, 0, v20, vcc_lo
	v_add_co_u32 v19, vcc_lo, 0, v11
	s_wait_alu 0xfffd
	s_delay_alu instid0(VALU_DEP_2) | instskip(NEXT) | instid1(VALU_DEP_1)
	v_add_co_ci_u32_e64 v20, null, v9, v10, vcc_lo
	v_mov_b32_e32 v10, v20
; %bb.99:
	s_or_b32 exec_lo, exec_lo, s0
	ds_swizzle_b32 v11, v11 offset:swizzle(BROADCAST,32,15)
	ds_swizzle_b32 v9, v10 offset:swizzle(BROADCAST,32,15)
	v_and_b32_e32 v10, 16, v32
	s_mov_b32 s0, exec_lo
	s_delay_alu instid0(VALU_DEP_1)
	v_cmpx_ne_u32_e32 0, v10
	s_cbranch_execz .LBB794_101
; %bb.100:
	s_wait_dscnt 0x1
	v_add_co_u32 v10, vcc_lo, v19, v11
	s_wait_alu 0xfffd
	v_add_co_ci_u32_e64 v11, null, 0, v20, vcc_lo
	s_delay_alu instid0(VALU_DEP_2) | instskip(SKIP_2) | instid1(VALU_DEP_2)
	v_add_co_u32 v19, vcc_lo, v10, 0
	s_wait_dscnt 0x0
	s_wait_alu 0xfffd
	v_add_co_ci_u32_e64 v20, null, v11, v9, vcc_lo
.LBB794_101:
	s_or_b32 exec_lo, exec_lo, s0
	s_wait_dscnt 0x0
	v_or_b32_e32 v9, 31, v0
	v_lshrrev_b32_e32 v11, 5, v0
	s_mov_b32 s0, exec_lo
	s_delay_alu instid0(VALU_DEP_2)
	v_cmpx_eq_u32_e64 v0, v9
; %bb.102:
	s_delay_alu instid0(VALU_DEP_2)
	v_lshlrev_b32_e32 v9, 3, v11
	ds_store_b64 v9, v[19:20]
; %bb.103:
	s_or_b32 exec_lo, exec_lo, s0
	s_delay_alu instid0(SALU_CYCLE_1)
	s_mov_b32 s0, exec_lo
	s_wait_loadcnt_dscnt 0x0
	s_barrier_signal -1
	s_barrier_wait -1
	global_inv scope:SCOPE_SE
	v_cmpx_gt_u32_e32 8, v0
	s_cbranch_execz .LBB794_111
; %bb.104:
	v_mad_u32_u24 v9, v0, 3, v33
	s_mov_b32 s1, exec_lo
	ds_load_b64 v[9:10], v9
	s_wait_dscnt 0x0
	v_dual_mov_b32 v13, v9 :: v_dual_and_b32 v12, 7, v32
	v_mov_b32_dpp v15, v9 row_shr:1 row_mask:0xf bank_mask:0xf
	v_mov_b32_dpp v14, v10 row_shr:1 row_mask:0xf bank_mask:0xf
	s_delay_alu instid0(VALU_DEP_3)
	v_cmpx_ne_u32_e32 0, v12
; %bb.105:
	s_delay_alu instid0(VALU_DEP_3) | instskip(SKIP_2) | instid1(VALU_DEP_2)
	v_add_co_u32 v13, vcc_lo, v9, v15
	s_wait_alu 0xfffd
	v_add_co_ci_u32_e64 v10, null, 0, v10, vcc_lo
	v_add_co_u32 v9, vcc_lo, 0, v13
	s_wait_alu 0xfffd
	s_delay_alu instid0(VALU_DEP_2)
	v_add_co_ci_u32_e64 v10, null, v14, v10, vcc_lo
; %bb.106:
	s_or_b32 exec_lo, exec_lo, s1
	v_mov_b32_dpp v15, v13 row_shr:2 row_mask:0xf bank_mask:0xf
	s_delay_alu instid0(VALU_DEP_2)
	v_mov_b32_dpp v14, v10 row_shr:2 row_mask:0xf bank_mask:0xf
	s_mov_b32 s1, exec_lo
	v_cmpx_lt_u32_e32 1, v12
; %bb.107:
	s_delay_alu instid0(VALU_DEP_3) | instskip(SKIP_2) | instid1(VALU_DEP_2)
	v_add_co_u32 v13, vcc_lo, v9, v15
	s_wait_alu 0xfffd
	v_add_co_ci_u32_e64 v10, null, 0, v10, vcc_lo
	v_add_co_u32 v9, vcc_lo, 0, v13
	s_wait_alu 0xfffd
	s_delay_alu instid0(VALU_DEP_2)
	v_add_co_ci_u32_e64 v10, null, v14, v10, vcc_lo
; %bb.108:
	s_or_b32 exec_lo, exec_lo, s1
	v_mul_u32_u24_e32 v14, 3, v0
	v_mov_b32_dpp v15, v13 row_shr:4 row_mask:0xf bank_mask:0xf
	s_delay_alu instid0(VALU_DEP_3)
	v_mov_b32_dpp v13, v10 row_shr:4 row_mask:0xf bank_mask:0xf
	s_mov_b32 s1, exec_lo
	v_cmpx_lt_u32_e32 3, v12
; %bb.109:
	s_delay_alu instid0(VALU_DEP_3) | instskip(SKIP_2) | instid1(VALU_DEP_2)
	v_add_co_u32 v9, vcc_lo, v9, v15
	s_wait_alu 0xfffd
	v_add_co_ci_u32_e64 v10, null, 0, v10, vcc_lo
	v_add_co_u32 v9, vcc_lo, v9, 0
	s_wait_alu 0xfffd
	s_delay_alu instid0(VALU_DEP_2)
	v_add_co_ci_u32_e64 v10, null, v10, v13, vcc_lo
; %bb.110:
	s_or_b32 exec_lo, exec_lo, s1
	v_add_nc_u32_e32 v12, v33, v14
	ds_store_b64 v12, v[9:10]
.LBB794_111:
	s_or_b32 exec_lo, exec_lo, s0
	v_mov_b32_e32 v13, 0
	v_mov_b32_e32 v14, 0
	s_mov_b32 s0, exec_lo
	s_wait_loadcnt_dscnt 0x0
	s_barrier_signal -1
	s_barrier_wait -1
	global_inv scope:SCOPE_SE
	v_cmpx_lt_u32_e32 31, v0
; %bb.112:
	v_lshl_add_u32 v9, v11, 3, -8
	ds_load_b64 v[13:14], v9
; %bb.113:
	s_or_b32 exec_lo, exec_lo, s0
	v_sub_co_u32 v9, vcc_lo, v32, 1
	v_mov_b32_e32 v12, 0
	s_delay_alu instid0(VALU_DEP_2) | instskip(NEXT) | instid1(VALU_DEP_1)
	v_cmp_gt_i32_e64 s0, 0, v9
	v_cndmask_b32_e64 v9, v9, v32, s0
	s_wait_dscnt 0x0
	v_add_co_u32 v10, s0, v13, v19
	s_wait_alu 0xf1ff
	v_add_co_ci_u32_e64 v11, null, v14, v20, s0
	v_lshlrev_b32_e32 v9, 2, v9
	v_cmp_eq_u32_e64 s0, 0, v0
	ds_bpermute_b32 v15, v9, v10
	ds_bpermute_b32 v16, v9, v11
	ds_load_b64 v[9:10], v12 offset:56
	s_and_saveexec_b32 s1, s0
	s_cbranch_execz .LBB794_115
; %bb.114:
	s_wait_kmcnt 0x0
	s_add_nc_u64 s[2:3], s[10:11], 0x200
	s_wait_alu 0xfffe
	v_dual_mov_b32 v11, 2 :: v_dual_mov_b32 v20, s3
	v_mov_b32_e32 v19, s2
	s_wait_dscnt 0x0
	;;#ASMSTART
	global_store_b128 v[19:20], v[9:12] off scope:SCOPE_DEV	
s_wait_storecnt 0x0
	;;#ASMEND
.LBB794_115:
	s_wait_alu 0xfffe
	s_or_b32 exec_lo, exec_lo, s1
	s_wait_dscnt 0x1
	s_wait_alu 0xfffd
	v_dual_cndmask_b32 v11, v15, v13 :: v_dual_cndmask_b32 v12, v16, v14
	s_wait_loadcnt_dscnt 0x0
	s_barrier_signal -1
	s_barrier_wait -1
	s_delay_alu instid0(VALU_DEP_1)
	v_cndmask_b32_e64 v25, v11, 0, s0
	v_cndmask_b32_e64 v26, v12, 0, s0
	v_mov_b32_e32 v11, 0
	v_mov_b32_e32 v12, 0
	global_inv scope:SCOPE_SE
	v_add_co_u32 v23, vcc_lo, v25, v31
	s_wait_alu 0xfffd
	v_add_co_ci_u32_e64 v24, null, 0, v26, vcc_lo
	s_delay_alu instid0(VALU_DEP_2) | instskip(SKIP_1) | instid1(VALU_DEP_2)
	v_add_co_u32 v21, vcc_lo, v23, v30
	s_wait_alu 0xfffd
	v_add_co_ci_u32_e64 v22, null, 0, v24, vcc_lo
	s_delay_alu instid0(VALU_DEP_2) | instskip(SKIP_1) | instid1(VALU_DEP_2)
	;; [unrolled: 4-line block ×3, first 2 shown]
	v_add_co_u32 v15, vcc_lo, v13, v27
	s_wait_alu 0xfffd
	v_add_co_ci_u32_e64 v16, null, 0, v14, vcc_lo
.LBB794_116:
	s_wait_dscnt 0x0
	v_cmp_gt_u64_e32 vcc_lo, 0x101, v[9:10]
	v_cmp_eq_u32_e64 s0, 1, v31
	s_mov_b32 s1, -1
	s_cbranch_vccnz .LBB794_120
; %bb.117:
	s_wait_alu 0xfffe
	s_and_b32 vcc_lo, exec_lo, s1
	s_wait_alu 0xfffe
	s_cbranch_vccnz .LBB794_131
.LBB794_118:
	v_cmp_eq_u32_e32 vcc_lo, 0, v0
	s_and_b32 s0, vcc_lo, s16
	s_wait_alu 0xfffe
	s_and_saveexec_b32 s1, s0
	s_cbranch_execnz .LBB794_144
.LBB794_119:
	s_endpgm
.LBB794_120:
	v_add_co_u32 v19, vcc_lo, v11, v9
	s_wait_alu 0xfffd
	v_add_co_ci_u32_e64 v20, null, v12, v10, vcc_lo
	s_lshl_b64 s[2:3], s[6:7], 3
	s_wait_kmcnt 0x0
	s_wait_alu 0xfffe
	s_add_nc_u64 s[2:3], s[4:5], s[2:3]
	v_cmp_lt_u64_e32 vcc_lo, v[25:26], v[19:20]
	s_or_b32 s1, s17, vcc_lo
	s_wait_alu 0xfffe
	s_and_b32 s1, s1, s0
	s_wait_alu 0xfffe
	s_and_saveexec_b32 s0, s1
	s_cbranch_execz .LBB794_122
; %bb.121:
	v_lshlrev_b64_e32 v[32:33], 3, v[25:26]
	s_delay_alu instid0(VALU_DEP_1) | instskip(SKIP_1) | instid1(VALU_DEP_2)
	v_add_co_u32 v32, vcc_lo, s2, v32
	s_wait_alu 0xfffd
	v_add_co_ci_u32_e64 v33, null, s3, v33, vcc_lo
	global_store_b64 v[32:33], v[5:6], off
.LBB794_122:
	s_wait_alu 0xfffe
	s_or_b32 exec_lo, exec_lo, s0
	v_cmp_lt_u64_e32 vcc_lo, v[23:24], v[19:20]
	v_cmp_eq_u32_e64 s0, 1, v30
	s_or_b32 s1, s17, vcc_lo
	s_wait_alu 0xfffe
	s_and_b32 s1, s1, s0
	s_wait_alu 0xfffe
	s_and_saveexec_b32 s0, s1
	s_cbranch_execz .LBB794_124
; %bb.123:
	v_lshlrev_b64_e32 v[32:33], 3, v[23:24]
	s_delay_alu instid0(VALU_DEP_1) | instskip(SKIP_1) | instid1(VALU_DEP_2)
	v_add_co_u32 v32, vcc_lo, s2, v32
	s_wait_alu 0xfffd
	v_add_co_ci_u32_e64 v33, null, s3, v33, vcc_lo
	global_store_b64 v[32:33], v[7:8], off
.LBB794_124:
	s_wait_alu 0xfffe
	s_or_b32 exec_lo, exec_lo, s0
	v_cmp_lt_u64_e32 vcc_lo, v[21:22], v[19:20]
	v_cmp_eq_u32_e64 s0, 1, v29
	;; [unrolled: 18-line block ×4, first 2 shown]
	s_or_b32 s1, s17, vcc_lo
	s_wait_alu 0xfffe
	s_and_b32 s1, s1, s0
	s_wait_alu 0xfffe
	s_and_saveexec_b32 s0, s1
	s_cbranch_execz .LBB794_130
; %bb.129:
	v_lshlrev_b64_e32 v[19:20], 3, v[15:16]
	s_delay_alu instid0(VALU_DEP_1) | instskip(SKIP_1) | instid1(VALU_DEP_2)
	v_add_co_u32 v19, vcc_lo, s2, v19
	s_wait_alu 0xfffd
	v_add_co_ci_u32_e64 v20, null, s3, v20, vcc_lo
	global_store_b64 v[19:20], v[17:18], off
.LBB794_130:
	s_wait_alu 0xfffe
	s_or_b32 exec_lo, exec_lo, s0
	s_branch .LBB794_118
.LBB794_131:
	s_mov_b32 s0, exec_lo
	v_cmpx_eq_u32_e32 1, v31
; %bb.132:
	v_sub_nc_u32_e32 v14, v25, v11
	s_delay_alu instid0(VALU_DEP_1)
	v_lshlrev_b32_e32 v14, 3, v14
	ds_store_b64 v14, v[5:6]
; %bb.133:
	s_wait_alu 0xfffe
	s_or_b32 exec_lo, exec_lo, s0
	s_delay_alu instid0(SALU_CYCLE_1)
	s_mov_b32 s0, exec_lo
	v_cmpx_eq_u32_e32 1, v30
; %bb.134:
	v_sub_nc_u32_e32 v5, v23, v11
	s_delay_alu instid0(VALU_DEP_1)
	v_lshlrev_b32_e32 v5, 3, v5
	ds_store_b64 v5, v[7:8]
; %bb.135:
	s_wait_alu 0xfffe
	s_or_b32 exec_lo, exec_lo, s0
	s_delay_alu instid0(SALU_CYCLE_1)
	;; [unrolled: 11-line block ×4, first 2 shown]
	s_mov_b32 s0, exec_lo
	v_cmpx_eq_u32_e32 1, v28
; %bb.140:
	v_sub_nc_u32_e32 v1, v15, v11
	s_delay_alu instid0(VALU_DEP_1)
	v_lshlrev_b32_e32 v1, 3, v1
	ds_store_b64 v1, v[17:18]
; %bb.141:
	s_wait_alu 0xfffe
	s_or_b32 exec_lo, exec_lo, s0
	v_lshlrev_b64_e32 v[1:2], 3, v[11:12]
	v_mov_b32_e32 v3, 0
	s_lshl_b64 s[0:1], s[6:7], 3
	s_wait_storecnt 0x0
	s_wait_loadcnt_dscnt 0x0
	s_barrier_signal -1
	s_barrier_wait -1
	s_wait_kmcnt 0x0
	v_add_co_u32 v4, vcc_lo, s4, v1
	v_mov_b32_e32 v1, v3
	s_wait_alu 0xfffd
	v_add_co_ci_u32_e64 v2, null, s5, v2, vcc_lo
	s_wait_alu 0xfffe
	v_add_co_u32 v6, vcc_lo, v4, s0
	v_mov_b32_e32 v5, v1
	s_wait_alu 0xfffd
	v_add_co_ci_u32_e64 v7, null, s1, v2, vcc_lo
	v_or_b32_e32 v2, 0x100, v0
	v_mov_b32_e32 v4, v0
	s_mov_b32 s1, 0
	global_inv scope:SCOPE_SE
.LBB794_142:                            ; =>This Inner Loop Header: Depth=1
	v_lshlrev_b32_e32 v1, 3, v4
	v_lshlrev_b64_e32 v[15:16], 3, v[4:5]
	v_dual_mov_b32 v5, v3 :: v_dual_mov_b32 v4, v2
	v_cmp_le_u64_e32 vcc_lo, v[9:10], v[2:3]
	ds_load_b64 v[13:14], v1
	v_add_nc_u32_e32 v2, 0x100, v2
	v_add_co_u32 v15, s0, v6, v15
	s_wait_alu 0xf1ff
	v_add_co_ci_u32_e64 v16, null, v7, v16, s0
	s_wait_alu 0xfffe
	s_or_b32 s1, vcc_lo, s1
	s_wait_dscnt 0x0
	global_store_b64 v[15:16], v[13:14], off
	s_wait_alu 0xfffe
	s_and_not1_b32 exec_lo, exec_lo, s1
	s_cbranch_execnz .LBB794_142
; %bb.143:
	s_or_b32 exec_lo, exec_lo, s1
	v_cmp_eq_u32_e32 vcc_lo, 0, v0
	s_and_b32 s0, vcc_lo, s16
	s_wait_alu 0xfffe
	s_and_saveexec_b32 s1, s0
	s_cbranch_execz .LBB794_119
.LBB794_144:
	v_add_co_u32 v0, vcc_lo, v11, v9
	s_wait_alu 0xfffd
	v_add_co_ci_u32_e64 v1, null, v12, v10, vcc_lo
	v_mov_b32_e32 v2, 0
	s_delay_alu instid0(VALU_DEP_3) | instskip(SKIP_1) | instid1(VALU_DEP_3)
	v_add_co_u32 v0, vcc_lo, v0, s6
	s_wait_alu 0xfffd
	v_add_co_ci_u32_e64 v1, null, s7, v1, vcc_lo
	global_store_b64 v2, v[0:1], s[8:9]
	s_endpgm
	.section	.rodata,"a",@progbits
	.p2align	6, 0x0
	.amdhsa_kernel _ZN7rocprim17ROCPRIM_400000_NS6detail17trampoline_kernelINS0_14default_configENS1_25partition_config_selectorILNS1_17partition_subalgoE5EdNS0_10empty_typeEbEEZZNS1_14partition_implILS5_5ELb0ES3_mN6thrust23THRUST_200600_302600_NS6detail15normal_iteratorINSA_10device_ptrIdEEEEPS6_NSA_18transform_iteratorINSB_9not_fun_tINSA_8identityIdEEEESF_NSA_11use_defaultESM_EENS0_5tupleIJSF_S6_EEENSO_IJSG_SG_EEES6_PlJS6_EEE10hipError_tPvRmT3_T4_T5_T6_T7_T9_mT8_P12ihipStream_tbDpT10_ENKUlT_T0_E_clISt17integral_constantIbLb0EES1B_EEDaS16_S17_EUlS16_E_NS1_11comp_targetILNS1_3genE10ELNS1_11target_archE1200ELNS1_3gpuE4ELNS1_3repE0EEENS1_30default_config_static_selectorELNS0_4arch9wavefront6targetE0EEEvT1_
		.amdhsa_group_segment_fixed_size 10256
		.amdhsa_private_segment_fixed_size 0
		.amdhsa_kernarg_size 120
		.amdhsa_user_sgpr_count 2
		.amdhsa_user_sgpr_dispatch_ptr 0
		.amdhsa_user_sgpr_queue_ptr 0
		.amdhsa_user_sgpr_kernarg_segment_ptr 1
		.amdhsa_user_sgpr_dispatch_id 0
		.amdhsa_user_sgpr_private_segment_size 0
		.amdhsa_wavefront_size32 1
		.amdhsa_uses_dynamic_stack 0
		.amdhsa_enable_private_segment 0
		.amdhsa_system_sgpr_workgroup_id_x 1
		.amdhsa_system_sgpr_workgroup_id_y 0
		.amdhsa_system_sgpr_workgroup_id_z 0
		.amdhsa_system_sgpr_workgroup_info 0
		.amdhsa_system_vgpr_workitem_id 0
		.amdhsa_next_free_vgpr 48
		.amdhsa_next_free_sgpr 20
		.amdhsa_reserve_vcc 1
		.amdhsa_float_round_mode_32 0
		.amdhsa_float_round_mode_16_64 0
		.amdhsa_float_denorm_mode_32 3
		.amdhsa_float_denorm_mode_16_64 3
		.amdhsa_fp16_overflow 0
		.amdhsa_workgroup_processor_mode 1
		.amdhsa_memory_ordered 1
		.amdhsa_forward_progress 1
		.amdhsa_inst_pref_size 57
		.amdhsa_round_robin_scheduling 0
		.amdhsa_exception_fp_ieee_invalid_op 0
		.amdhsa_exception_fp_denorm_src 0
		.amdhsa_exception_fp_ieee_div_zero 0
		.amdhsa_exception_fp_ieee_overflow 0
		.amdhsa_exception_fp_ieee_underflow 0
		.amdhsa_exception_fp_ieee_inexact 0
		.amdhsa_exception_int_div_zero 0
	.end_amdhsa_kernel
	.section	.text._ZN7rocprim17ROCPRIM_400000_NS6detail17trampoline_kernelINS0_14default_configENS1_25partition_config_selectorILNS1_17partition_subalgoE5EdNS0_10empty_typeEbEEZZNS1_14partition_implILS5_5ELb0ES3_mN6thrust23THRUST_200600_302600_NS6detail15normal_iteratorINSA_10device_ptrIdEEEEPS6_NSA_18transform_iteratorINSB_9not_fun_tINSA_8identityIdEEEESF_NSA_11use_defaultESM_EENS0_5tupleIJSF_S6_EEENSO_IJSG_SG_EEES6_PlJS6_EEE10hipError_tPvRmT3_T4_T5_T6_T7_T9_mT8_P12ihipStream_tbDpT10_ENKUlT_T0_E_clISt17integral_constantIbLb0EES1B_EEDaS16_S17_EUlS16_E_NS1_11comp_targetILNS1_3genE10ELNS1_11target_archE1200ELNS1_3gpuE4ELNS1_3repE0EEENS1_30default_config_static_selectorELNS0_4arch9wavefront6targetE0EEEvT1_,"axG",@progbits,_ZN7rocprim17ROCPRIM_400000_NS6detail17trampoline_kernelINS0_14default_configENS1_25partition_config_selectorILNS1_17partition_subalgoE5EdNS0_10empty_typeEbEEZZNS1_14partition_implILS5_5ELb0ES3_mN6thrust23THRUST_200600_302600_NS6detail15normal_iteratorINSA_10device_ptrIdEEEEPS6_NSA_18transform_iteratorINSB_9not_fun_tINSA_8identityIdEEEESF_NSA_11use_defaultESM_EENS0_5tupleIJSF_S6_EEENSO_IJSG_SG_EEES6_PlJS6_EEE10hipError_tPvRmT3_T4_T5_T6_T7_T9_mT8_P12ihipStream_tbDpT10_ENKUlT_T0_E_clISt17integral_constantIbLb0EES1B_EEDaS16_S17_EUlS16_E_NS1_11comp_targetILNS1_3genE10ELNS1_11target_archE1200ELNS1_3gpuE4ELNS1_3repE0EEENS1_30default_config_static_selectorELNS0_4arch9wavefront6targetE0EEEvT1_,comdat
.Lfunc_end794:
	.size	_ZN7rocprim17ROCPRIM_400000_NS6detail17trampoline_kernelINS0_14default_configENS1_25partition_config_selectorILNS1_17partition_subalgoE5EdNS0_10empty_typeEbEEZZNS1_14partition_implILS5_5ELb0ES3_mN6thrust23THRUST_200600_302600_NS6detail15normal_iteratorINSA_10device_ptrIdEEEEPS6_NSA_18transform_iteratorINSB_9not_fun_tINSA_8identityIdEEEESF_NSA_11use_defaultESM_EENS0_5tupleIJSF_S6_EEENSO_IJSG_SG_EEES6_PlJS6_EEE10hipError_tPvRmT3_T4_T5_T6_T7_T9_mT8_P12ihipStream_tbDpT10_ENKUlT_T0_E_clISt17integral_constantIbLb0EES1B_EEDaS16_S17_EUlS16_E_NS1_11comp_targetILNS1_3genE10ELNS1_11target_archE1200ELNS1_3gpuE4ELNS1_3repE0EEENS1_30default_config_static_selectorELNS0_4arch9wavefront6targetE0EEEvT1_, .Lfunc_end794-_ZN7rocprim17ROCPRIM_400000_NS6detail17trampoline_kernelINS0_14default_configENS1_25partition_config_selectorILNS1_17partition_subalgoE5EdNS0_10empty_typeEbEEZZNS1_14partition_implILS5_5ELb0ES3_mN6thrust23THRUST_200600_302600_NS6detail15normal_iteratorINSA_10device_ptrIdEEEEPS6_NSA_18transform_iteratorINSB_9not_fun_tINSA_8identityIdEEEESF_NSA_11use_defaultESM_EENS0_5tupleIJSF_S6_EEENSO_IJSG_SG_EEES6_PlJS6_EEE10hipError_tPvRmT3_T4_T5_T6_T7_T9_mT8_P12ihipStream_tbDpT10_ENKUlT_T0_E_clISt17integral_constantIbLb0EES1B_EEDaS16_S17_EUlS16_E_NS1_11comp_targetILNS1_3genE10ELNS1_11target_archE1200ELNS1_3gpuE4ELNS1_3repE0EEENS1_30default_config_static_selectorELNS0_4arch9wavefront6targetE0EEEvT1_
                                        ; -- End function
	.set _ZN7rocprim17ROCPRIM_400000_NS6detail17trampoline_kernelINS0_14default_configENS1_25partition_config_selectorILNS1_17partition_subalgoE5EdNS0_10empty_typeEbEEZZNS1_14partition_implILS5_5ELb0ES3_mN6thrust23THRUST_200600_302600_NS6detail15normal_iteratorINSA_10device_ptrIdEEEEPS6_NSA_18transform_iteratorINSB_9not_fun_tINSA_8identityIdEEEESF_NSA_11use_defaultESM_EENS0_5tupleIJSF_S6_EEENSO_IJSG_SG_EEES6_PlJS6_EEE10hipError_tPvRmT3_T4_T5_T6_T7_T9_mT8_P12ihipStream_tbDpT10_ENKUlT_T0_E_clISt17integral_constantIbLb0EES1B_EEDaS16_S17_EUlS16_E_NS1_11comp_targetILNS1_3genE10ELNS1_11target_archE1200ELNS1_3gpuE4ELNS1_3repE0EEENS1_30default_config_static_selectorELNS0_4arch9wavefront6targetE0EEEvT1_.num_vgpr, 48
	.set _ZN7rocprim17ROCPRIM_400000_NS6detail17trampoline_kernelINS0_14default_configENS1_25partition_config_selectorILNS1_17partition_subalgoE5EdNS0_10empty_typeEbEEZZNS1_14partition_implILS5_5ELb0ES3_mN6thrust23THRUST_200600_302600_NS6detail15normal_iteratorINSA_10device_ptrIdEEEEPS6_NSA_18transform_iteratorINSB_9not_fun_tINSA_8identityIdEEEESF_NSA_11use_defaultESM_EENS0_5tupleIJSF_S6_EEENSO_IJSG_SG_EEES6_PlJS6_EEE10hipError_tPvRmT3_T4_T5_T6_T7_T9_mT8_P12ihipStream_tbDpT10_ENKUlT_T0_E_clISt17integral_constantIbLb0EES1B_EEDaS16_S17_EUlS16_E_NS1_11comp_targetILNS1_3genE10ELNS1_11target_archE1200ELNS1_3gpuE4ELNS1_3repE0EEENS1_30default_config_static_selectorELNS0_4arch9wavefront6targetE0EEEvT1_.num_agpr, 0
	.set _ZN7rocprim17ROCPRIM_400000_NS6detail17trampoline_kernelINS0_14default_configENS1_25partition_config_selectorILNS1_17partition_subalgoE5EdNS0_10empty_typeEbEEZZNS1_14partition_implILS5_5ELb0ES3_mN6thrust23THRUST_200600_302600_NS6detail15normal_iteratorINSA_10device_ptrIdEEEEPS6_NSA_18transform_iteratorINSB_9not_fun_tINSA_8identityIdEEEESF_NSA_11use_defaultESM_EENS0_5tupleIJSF_S6_EEENSO_IJSG_SG_EEES6_PlJS6_EEE10hipError_tPvRmT3_T4_T5_T6_T7_T9_mT8_P12ihipStream_tbDpT10_ENKUlT_T0_E_clISt17integral_constantIbLb0EES1B_EEDaS16_S17_EUlS16_E_NS1_11comp_targetILNS1_3genE10ELNS1_11target_archE1200ELNS1_3gpuE4ELNS1_3repE0EEENS1_30default_config_static_selectorELNS0_4arch9wavefront6targetE0EEEvT1_.numbered_sgpr, 20
	.set _ZN7rocprim17ROCPRIM_400000_NS6detail17trampoline_kernelINS0_14default_configENS1_25partition_config_selectorILNS1_17partition_subalgoE5EdNS0_10empty_typeEbEEZZNS1_14partition_implILS5_5ELb0ES3_mN6thrust23THRUST_200600_302600_NS6detail15normal_iteratorINSA_10device_ptrIdEEEEPS6_NSA_18transform_iteratorINSB_9not_fun_tINSA_8identityIdEEEESF_NSA_11use_defaultESM_EENS0_5tupleIJSF_S6_EEENSO_IJSG_SG_EEES6_PlJS6_EEE10hipError_tPvRmT3_T4_T5_T6_T7_T9_mT8_P12ihipStream_tbDpT10_ENKUlT_T0_E_clISt17integral_constantIbLb0EES1B_EEDaS16_S17_EUlS16_E_NS1_11comp_targetILNS1_3genE10ELNS1_11target_archE1200ELNS1_3gpuE4ELNS1_3repE0EEENS1_30default_config_static_selectorELNS0_4arch9wavefront6targetE0EEEvT1_.num_named_barrier, 0
	.set _ZN7rocprim17ROCPRIM_400000_NS6detail17trampoline_kernelINS0_14default_configENS1_25partition_config_selectorILNS1_17partition_subalgoE5EdNS0_10empty_typeEbEEZZNS1_14partition_implILS5_5ELb0ES3_mN6thrust23THRUST_200600_302600_NS6detail15normal_iteratorINSA_10device_ptrIdEEEEPS6_NSA_18transform_iteratorINSB_9not_fun_tINSA_8identityIdEEEESF_NSA_11use_defaultESM_EENS0_5tupleIJSF_S6_EEENSO_IJSG_SG_EEES6_PlJS6_EEE10hipError_tPvRmT3_T4_T5_T6_T7_T9_mT8_P12ihipStream_tbDpT10_ENKUlT_T0_E_clISt17integral_constantIbLb0EES1B_EEDaS16_S17_EUlS16_E_NS1_11comp_targetILNS1_3genE10ELNS1_11target_archE1200ELNS1_3gpuE4ELNS1_3repE0EEENS1_30default_config_static_selectorELNS0_4arch9wavefront6targetE0EEEvT1_.private_seg_size, 0
	.set _ZN7rocprim17ROCPRIM_400000_NS6detail17trampoline_kernelINS0_14default_configENS1_25partition_config_selectorILNS1_17partition_subalgoE5EdNS0_10empty_typeEbEEZZNS1_14partition_implILS5_5ELb0ES3_mN6thrust23THRUST_200600_302600_NS6detail15normal_iteratorINSA_10device_ptrIdEEEEPS6_NSA_18transform_iteratorINSB_9not_fun_tINSA_8identityIdEEEESF_NSA_11use_defaultESM_EENS0_5tupleIJSF_S6_EEENSO_IJSG_SG_EEES6_PlJS6_EEE10hipError_tPvRmT3_T4_T5_T6_T7_T9_mT8_P12ihipStream_tbDpT10_ENKUlT_T0_E_clISt17integral_constantIbLb0EES1B_EEDaS16_S17_EUlS16_E_NS1_11comp_targetILNS1_3genE10ELNS1_11target_archE1200ELNS1_3gpuE4ELNS1_3repE0EEENS1_30default_config_static_selectorELNS0_4arch9wavefront6targetE0EEEvT1_.uses_vcc, 1
	.set _ZN7rocprim17ROCPRIM_400000_NS6detail17trampoline_kernelINS0_14default_configENS1_25partition_config_selectorILNS1_17partition_subalgoE5EdNS0_10empty_typeEbEEZZNS1_14partition_implILS5_5ELb0ES3_mN6thrust23THRUST_200600_302600_NS6detail15normal_iteratorINSA_10device_ptrIdEEEEPS6_NSA_18transform_iteratorINSB_9not_fun_tINSA_8identityIdEEEESF_NSA_11use_defaultESM_EENS0_5tupleIJSF_S6_EEENSO_IJSG_SG_EEES6_PlJS6_EEE10hipError_tPvRmT3_T4_T5_T6_T7_T9_mT8_P12ihipStream_tbDpT10_ENKUlT_T0_E_clISt17integral_constantIbLb0EES1B_EEDaS16_S17_EUlS16_E_NS1_11comp_targetILNS1_3genE10ELNS1_11target_archE1200ELNS1_3gpuE4ELNS1_3repE0EEENS1_30default_config_static_selectorELNS0_4arch9wavefront6targetE0EEEvT1_.uses_flat_scratch, 1
	.set _ZN7rocprim17ROCPRIM_400000_NS6detail17trampoline_kernelINS0_14default_configENS1_25partition_config_selectorILNS1_17partition_subalgoE5EdNS0_10empty_typeEbEEZZNS1_14partition_implILS5_5ELb0ES3_mN6thrust23THRUST_200600_302600_NS6detail15normal_iteratorINSA_10device_ptrIdEEEEPS6_NSA_18transform_iteratorINSB_9not_fun_tINSA_8identityIdEEEESF_NSA_11use_defaultESM_EENS0_5tupleIJSF_S6_EEENSO_IJSG_SG_EEES6_PlJS6_EEE10hipError_tPvRmT3_T4_T5_T6_T7_T9_mT8_P12ihipStream_tbDpT10_ENKUlT_T0_E_clISt17integral_constantIbLb0EES1B_EEDaS16_S17_EUlS16_E_NS1_11comp_targetILNS1_3genE10ELNS1_11target_archE1200ELNS1_3gpuE4ELNS1_3repE0EEENS1_30default_config_static_selectorELNS0_4arch9wavefront6targetE0EEEvT1_.has_dyn_sized_stack, 0
	.set _ZN7rocprim17ROCPRIM_400000_NS6detail17trampoline_kernelINS0_14default_configENS1_25partition_config_selectorILNS1_17partition_subalgoE5EdNS0_10empty_typeEbEEZZNS1_14partition_implILS5_5ELb0ES3_mN6thrust23THRUST_200600_302600_NS6detail15normal_iteratorINSA_10device_ptrIdEEEEPS6_NSA_18transform_iteratorINSB_9not_fun_tINSA_8identityIdEEEESF_NSA_11use_defaultESM_EENS0_5tupleIJSF_S6_EEENSO_IJSG_SG_EEES6_PlJS6_EEE10hipError_tPvRmT3_T4_T5_T6_T7_T9_mT8_P12ihipStream_tbDpT10_ENKUlT_T0_E_clISt17integral_constantIbLb0EES1B_EEDaS16_S17_EUlS16_E_NS1_11comp_targetILNS1_3genE10ELNS1_11target_archE1200ELNS1_3gpuE4ELNS1_3repE0EEENS1_30default_config_static_selectorELNS0_4arch9wavefront6targetE0EEEvT1_.has_recursion, 0
	.set _ZN7rocprim17ROCPRIM_400000_NS6detail17trampoline_kernelINS0_14default_configENS1_25partition_config_selectorILNS1_17partition_subalgoE5EdNS0_10empty_typeEbEEZZNS1_14partition_implILS5_5ELb0ES3_mN6thrust23THRUST_200600_302600_NS6detail15normal_iteratorINSA_10device_ptrIdEEEEPS6_NSA_18transform_iteratorINSB_9not_fun_tINSA_8identityIdEEEESF_NSA_11use_defaultESM_EENS0_5tupleIJSF_S6_EEENSO_IJSG_SG_EEES6_PlJS6_EEE10hipError_tPvRmT3_T4_T5_T6_T7_T9_mT8_P12ihipStream_tbDpT10_ENKUlT_T0_E_clISt17integral_constantIbLb0EES1B_EEDaS16_S17_EUlS16_E_NS1_11comp_targetILNS1_3genE10ELNS1_11target_archE1200ELNS1_3gpuE4ELNS1_3repE0EEENS1_30default_config_static_selectorELNS0_4arch9wavefront6targetE0EEEvT1_.has_indirect_call, 0
	.section	.AMDGPU.csdata,"",@progbits
; Kernel info:
; codeLenInByte = 7180
; TotalNumSgprs: 22
; NumVgprs: 48
; ScratchSize: 0
; MemoryBound: 0
; FloatMode: 240
; IeeeMode: 1
; LDSByteSize: 10256 bytes/workgroup (compile time only)
; SGPRBlocks: 0
; VGPRBlocks: 5
; NumSGPRsForWavesPerEU: 22
; NumVGPRsForWavesPerEU: 48
; Occupancy: 16
; WaveLimiterHint : 1
; COMPUTE_PGM_RSRC2:SCRATCH_EN: 0
; COMPUTE_PGM_RSRC2:USER_SGPR: 2
; COMPUTE_PGM_RSRC2:TRAP_HANDLER: 0
; COMPUTE_PGM_RSRC2:TGID_X_EN: 1
; COMPUTE_PGM_RSRC2:TGID_Y_EN: 0
; COMPUTE_PGM_RSRC2:TGID_Z_EN: 0
; COMPUTE_PGM_RSRC2:TIDIG_COMP_CNT: 0
	.section	.text._ZN7rocprim17ROCPRIM_400000_NS6detail17trampoline_kernelINS0_14default_configENS1_25partition_config_selectorILNS1_17partition_subalgoE5EdNS0_10empty_typeEbEEZZNS1_14partition_implILS5_5ELb0ES3_mN6thrust23THRUST_200600_302600_NS6detail15normal_iteratorINSA_10device_ptrIdEEEEPS6_NSA_18transform_iteratorINSB_9not_fun_tINSA_8identityIdEEEESF_NSA_11use_defaultESM_EENS0_5tupleIJSF_S6_EEENSO_IJSG_SG_EEES6_PlJS6_EEE10hipError_tPvRmT3_T4_T5_T6_T7_T9_mT8_P12ihipStream_tbDpT10_ENKUlT_T0_E_clISt17integral_constantIbLb0EES1B_EEDaS16_S17_EUlS16_E_NS1_11comp_targetILNS1_3genE9ELNS1_11target_archE1100ELNS1_3gpuE3ELNS1_3repE0EEENS1_30default_config_static_selectorELNS0_4arch9wavefront6targetE0EEEvT1_,"axG",@progbits,_ZN7rocprim17ROCPRIM_400000_NS6detail17trampoline_kernelINS0_14default_configENS1_25partition_config_selectorILNS1_17partition_subalgoE5EdNS0_10empty_typeEbEEZZNS1_14partition_implILS5_5ELb0ES3_mN6thrust23THRUST_200600_302600_NS6detail15normal_iteratorINSA_10device_ptrIdEEEEPS6_NSA_18transform_iteratorINSB_9not_fun_tINSA_8identityIdEEEESF_NSA_11use_defaultESM_EENS0_5tupleIJSF_S6_EEENSO_IJSG_SG_EEES6_PlJS6_EEE10hipError_tPvRmT3_T4_T5_T6_T7_T9_mT8_P12ihipStream_tbDpT10_ENKUlT_T0_E_clISt17integral_constantIbLb0EES1B_EEDaS16_S17_EUlS16_E_NS1_11comp_targetILNS1_3genE9ELNS1_11target_archE1100ELNS1_3gpuE3ELNS1_3repE0EEENS1_30default_config_static_selectorELNS0_4arch9wavefront6targetE0EEEvT1_,comdat
	.protected	_ZN7rocprim17ROCPRIM_400000_NS6detail17trampoline_kernelINS0_14default_configENS1_25partition_config_selectorILNS1_17partition_subalgoE5EdNS0_10empty_typeEbEEZZNS1_14partition_implILS5_5ELb0ES3_mN6thrust23THRUST_200600_302600_NS6detail15normal_iteratorINSA_10device_ptrIdEEEEPS6_NSA_18transform_iteratorINSB_9not_fun_tINSA_8identityIdEEEESF_NSA_11use_defaultESM_EENS0_5tupleIJSF_S6_EEENSO_IJSG_SG_EEES6_PlJS6_EEE10hipError_tPvRmT3_T4_T5_T6_T7_T9_mT8_P12ihipStream_tbDpT10_ENKUlT_T0_E_clISt17integral_constantIbLb0EES1B_EEDaS16_S17_EUlS16_E_NS1_11comp_targetILNS1_3genE9ELNS1_11target_archE1100ELNS1_3gpuE3ELNS1_3repE0EEENS1_30default_config_static_selectorELNS0_4arch9wavefront6targetE0EEEvT1_ ; -- Begin function _ZN7rocprim17ROCPRIM_400000_NS6detail17trampoline_kernelINS0_14default_configENS1_25partition_config_selectorILNS1_17partition_subalgoE5EdNS0_10empty_typeEbEEZZNS1_14partition_implILS5_5ELb0ES3_mN6thrust23THRUST_200600_302600_NS6detail15normal_iteratorINSA_10device_ptrIdEEEEPS6_NSA_18transform_iteratorINSB_9not_fun_tINSA_8identityIdEEEESF_NSA_11use_defaultESM_EENS0_5tupleIJSF_S6_EEENSO_IJSG_SG_EEES6_PlJS6_EEE10hipError_tPvRmT3_T4_T5_T6_T7_T9_mT8_P12ihipStream_tbDpT10_ENKUlT_T0_E_clISt17integral_constantIbLb0EES1B_EEDaS16_S17_EUlS16_E_NS1_11comp_targetILNS1_3genE9ELNS1_11target_archE1100ELNS1_3gpuE3ELNS1_3repE0EEENS1_30default_config_static_selectorELNS0_4arch9wavefront6targetE0EEEvT1_
	.globl	_ZN7rocprim17ROCPRIM_400000_NS6detail17trampoline_kernelINS0_14default_configENS1_25partition_config_selectorILNS1_17partition_subalgoE5EdNS0_10empty_typeEbEEZZNS1_14partition_implILS5_5ELb0ES3_mN6thrust23THRUST_200600_302600_NS6detail15normal_iteratorINSA_10device_ptrIdEEEEPS6_NSA_18transform_iteratorINSB_9not_fun_tINSA_8identityIdEEEESF_NSA_11use_defaultESM_EENS0_5tupleIJSF_S6_EEENSO_IJSG_SG_EEES6_PlJS6_EEE10hipError_tPvRmT3_T4_T5_T6_T7_T9_mT8_P12ihipStream_tbDpT10_ENKUlT_T0_E_clISt17integral_constantIbLb0EES1B_EEDaS16_S17_EUlS16_E_NS1_11comp_targetILNS1_3genE9ELNS1_11target_archE1100ELNS1_3gpuE3ELNS1_3repE0EEENS1_30default_config_static_selectorELNS0_4arch9wavefront6targetE0EEEvT1_
	.p2align	8
	.type	_ZN7rocprim17ROCPRIM_400000_NS6detail17trampoline_kernelINS0_14default_configENS1_25partition_config_selectorILNS1_17partition_subalgoE5EdNS0_10empty_typeEbEEZZNS1_14partition_implILS5_5ELb0ES3_mN6thrust23THRUST_200600_302600_NS6detail15normal_iteratorINSA_10device_ptrIdEEEEPS6_NSA_18transform_iteratorINSB_9not_fun_tINSA_8identityIdEEEESF_NSA_11use_defaultESM_EENS0_5tupleIJSF_S6_EEENSO_IJSG_SG_EEES6_PlJS6_EEE10hipError_tPvRmT3_T4_T5_T6_T7_T9_mT8_P12ihipStream_tbDpT10_ENKUlT_T0_E_clISt17integral_constantIbLb0EES1B_EEDaS16_S17_EUlS16_E_NS1_11comp_targetILNS1_3genE9ELNS1_11target_archE1100ELNS1_3gpuE3ELNS1_3repE0EEENS1_30default_config_static_selectorELNS0_4arch9wavefront6targetE0EEEvT1_,@function
_ZN7rocprim17ROCPRIM_400000_NS6detail17trampoline_kernelINS0_14default_configENS1_25partition_config_selectorILNS1_17partition_subalgoE5EdNS0_10empty_typeEbEEZZNS1_14partition_implILS5_5ELb0ES3_mN6thrust23THRUST_200600_302600_NS6detail15normal_iteratorINSA_10device_ptrIdEEEEPS6_NSA_18transform_iteratorINSB_9not_fun_tINSA_8identityIdEEEESF_NSA_11use_defaultESM_EENS0_5tupleIJSF_S6_EEENSO_IJSG_SG_EEES6_PlJS6_EEE10hipError_tPvRmT3_T4_T5_T6_T7_T9_mT8_P12ihipStream_tbDpT10_ENKUlT_T0_E_clISt17integral_constantIbLb0EES1B_EEDaS16_S17_EUlS16_E_NS1_11comp_targetILNS1_3genE9ELNS1_11target_archE1100ELNS1_3gpuE3ELNS1_3repE0EEENS1_30default_config_static_selectorELNS0_4arch9wavefront6targetE0EEEvT1_: ; @_ZN7rocprim17ROCPRIM_400000_NS6detail17trampoline_kernelINS0_14default_configENS1_25partition_config_selectorILNS1_17partition_subalgoE5EdNS0_10empty_typeEbEEZZNS1_14partition_implILS5_5ELb0ES3_mN6thrust23THRUST_200600_302600_NS6detail15normal_iteratorINSA_10device_ptrIdEEEEPS6_NSA_18transform_iteratorINSB_9not_fun_tINSA_8identityIdEEEESF_NSA_11use_defaultESM_EENS0_5tupleIJSF_S6_EEENSO_IJSG_SG_EEES6_PlJS6_EEE10hipError_tPvRmT3_T4_T5_T6_T7_T9_mT8_P12ihipStream_tbDpT10_ENKUlT_T0_E_clISt17integral_constantIbLb0EES1B_EEDaS16_S17_EUlS16_E_NS1_11comp_targetILNS1_3genE9ELNS1_11target_archE1100ELNS1_3gpuE3ELNS1_3repE0EEENS1_30default_config_static_selectorELNS0_4arch9wavefront6targetE0EEEvT1_
; %bb.0:
	.section	.rodata,"a",@progbits
	.p2align	6, 0x0
	.amdhsa_kernel _ZN7rocprim17ROCPRIM_400000_NS6detail17trampoline_kernelINS0_14default_configENS1_25partition_config_selectorILNS1_17partition_subalgoE5EdNS0_10empty_typeEbEEZZNS1_14partition_implILS5_5ELb0ES3_mN6thrust23THRUST_200600_302600_NS6detail15normal_iteratorINSA_10device_ptrIdEEEEPS6_NSA_18transform_iteratorINSB_9not_fun_tINSA_8identityIdEEEESF_NSA_11use_defaultESM_EENS0_5tupleIJSF_S6_EEENSO_IJSG_SG_EEES6_PlJS6_EEE10hipError_tPvRmT3_T4_T5_T6_T7_T9_mT8_P12ihipStream_tbDpT10_ENKUlT_T0_E_clISt17integral_constantIbLb0EES1B_EEDaS16_S17_EUlS16_E_NS1_11comp_targetILNS1_3genE9ELNS1_11target_archE1100ELNS1_3gpuE3ELNS1_3repE0EEENS1_30default_config_static_selectorELNS0_4arch9wavefront6targetE0EEEvT1_
		.amdhsa_group_segment_fixed_size 0
		.amdhsa_private_segment_fixed_size 0
		.amdhsa_kernarg_size 120
		.amdhsa_user_sgpr_count 2
		.amdhsa_user_sgpr_dispatch_ptr 0
		.amdhsa_user_sgpr_queue_ptr 0
		.amdhsa_user_sgpr_kernarg_segment_ptr 1
		.amdhsa_user_sgpr_dispatch_id 0
		.amdhsa_user_sgpr_private_segment_size 0
		.amdhsa_wavefront_size32 1
		.amdhsa_uses_dynamic_stack 0
		.amdhsa_enable_private_segment 0
		.amdhsa_system_sgpr_workgroup_id_x 1
		.amdhsa_system_sgpr_workgroup_id_y 0
		.amdhsa_system_sgpr_workgroup_id_z 0
		.amdhsa_system_sgpr_workgroup_info 0
		.amdhsa_system_vgpr_workitem_id 0
		.amdhsa_next_free_vgpr 1
		.amdhsa_next_free_sgpr 1
		.amdhsa_reserve_vcc 0
		.amdhsa_float_round_mode_32 0
		.amdhsa_float_round_mode_16_64 0
		.amdhsa_float_denorm_mode_32 3
		.amdhsa_float_denorm_mode_16_64 3
		.amdhsa_fp16_overflow 0
		.amdhsa_workgroup_processor_mode 1
		.amdhsa_memory_ordered 1
		.amdhsa_forward_progress 1
		.amdhsa_inst_pref_size 0
		.amdhsa_round_robin_scheduling 0
		.amdhsa_exception_fp_ieee_invalid_op 0
		.amdhsa_exception_fp_denorm_src 0
		.amdhsa_exception_fp_ieee_div_zero 0
		.amdhsa_exception_fp_ieee_overflow 0
		.amdhsa_exception_fp_ieee_underflow 0
		.amdhsa_exception_fp_ieee_inexact 0
		.amdhsa_exception_int_div_zero 0
	.end_amdhsa_kernel
	.section	.text._ZN7rocprim17ROCPRIM_400000_NS6detail17trampoline_kernelINS0_14default_configENS1_25partition_config_selectorILNS1_17partition_subalgoE5EdNS0_10empty_typeEbEEZZNS1_14partition_implILS5_5ELb0ES3_mN6thrust23THRUST_200600_302600_NS6detail15normal_iteratorINSA_10device_ptrIdEEEEPS6_NSA_18transform_iteratorINSB_9not_fun_tINSA_8identityIdEEEESF_NSA_11use_defaultESM_EENS0_5tupleIJSF_S6_EEENSO_IJSG_SG_EEES6_PlJS6_EEE10hipError_tPvRmT3_T4_T5_T6_T7_T9_mT8_P12ihipStream_tbDpT10_ENKUlT_T0_E_clISt17integral_constantIbLb0EES1B_EEDaS16_S17_EUlS16_E_NS1_11comp_targetILNS1_3genE9ELNS1_11target_archE1100ELNS1_3gpuE3ELNS1_3repE0EEENS1_30default_config_static_selectorELNS0_4arch9wavefront6targetE0EEEvT1_,"axG",@progbits,_ZN7rocprim17ROCPRIM_400000_NS6detail17trampoline_kernelINS0_14default_configENS1_25partition_config_selectorILNS1_17partition_subalgoE5EdNS0_10empty_typeEbEEZZNS1_14partition_implILS5_5ELb0ES3_mN6thrust23THRUST_200600_302600_NS6detail15normal_iteratorINSA_10device_ptrIdEEEEPS6_NSA_18transform_iteratorINSB_9not_fun_tINSA_8identityIdEEEESF_NSA_11use_defaultESM_EENS0_5tupleIJSF_S6_EEENSO_IJSG_SG_EEES6_PlJS6_EEE10hipError_tPvRmT3_T4_T5_T6_T7_T9_mT8_P12ihipStream_tbDpT10_ENKUlT_T0_E_clISt17integral_constantIbLb0EES1B_EEDaS16_S17_EUlS16_E_NS1_11comp_targetILNS1_3genE9ELNS1_11target_archE1100ELNS1_3gpuE3ELNS1_3repE0EEENS1_30default_config_static_selectorELNS0_4arch9wavefront6targetE0EEEvT1_,comdat
.Lfunc_end795:
	.size	_ZN7rocprim17ROCPRIM_400000_NS6detail17trampoline_kernelINS0_14default_configENS1_25partition_config_selectorILNS1_17partition_subalgoE5EdNS0_10empty_typeEbEEZZNS1_14partition_implILS5_5ELb0ES3_mN6thrust23THRUST_200600_302600_NS6detail15normal_iteratorINSA_10device_ptrIdEEEEPS6_NSA_18transform_iteratorINSB_9not_fun_tINSA_8identityIdEEEESF_NSA_11use_defaultESM_EENS0_5tupleIJSF_S6_EEENSO_IJSG_SG_EEES6_PlJS6_EEE10hipError_tPvRmT3_T4_T5_T6_T7_T9_mT8_P12ihipStream_tbDpT10_ENKUlT_T0_E_clISt17integral_constantIbLb0EES1B_EEDaS16_S17_EUlS16_E_NS1_11comp_targetILNS1_3genE9ELNS1_11target_archE1100ELNS1_3gpuE3ELNS1_3repE0EEENS1_30default_config_static_selectorELNS0_4arch9wavefront6targetE0EEEvT1_, .Lfunc_end795-_ZN7rocprim17ROCPRIM_400000_NS6detail17trampoline_kernelINS0_14default_configENS1_25partition_config_selectorILNS1_17partition_subalgoE5EdNS0_10empty_typeEbEEZZNS1_14partition_implILS5_5ELb0ES3_mN6thrust23THRUST_200600_302600_NS6detail15normal_iteratorINSA_10device_ptrIdEEEEPS6_NSA_18transform_iteratorINSB_9not_fun_tINSA_8identityIdEEEESF_NSA_11use_defaultESM_EENS0_5tupleIJSF_S6_EEENSO_IJSG_SG_EEES6_PlJS6_EEE10hipError_tPvRmT3_T4_T5_T6_T7_T9_mT8_P12ihipStream_tbDpT10_ENKUlT_T0_E_clISt17integral_constantIbLb0EES1B_EEDaS16_S17_EUlS16_E_NS1_11comp_targetILNS1_3genE9ELNS1_11target_archE1100ELNS1_3gpuE3ELNS1_3repE0EEENS1_30default_config_static_selectorELNS0_4arch9wavefront6targetE0EEEvT1_
                                        ; -- End function
	.set _ZN7rocprim17ROCPRIM_400000_NS6detail17trampoline_kernelINS0_14default_configENS1_25partition_config_selectorILNS1_17partition_subalgoE5EdNS0_10empty_typeEbEEZZNS1_14partition_implILS5_5ELb0ES3_mN6thrust23THRUST_200600_302600_NS6detail15normal_iteratorINSA_10device_ptrIdEEEEPS6_NSA_18transform_iteratorINSB_9not_fun_tINSA_8identityIdEEEESF_NSA_11use_defaultESM_EENS0_5tupleIJSF_S6_EEENSO_IJSG_SG_EEES6_PlJS6_EEE10hipError_tPvRmT3_T4_T5_T6_T7_T9_mT8_P12ihipStream_tbDpT10_ENKUlT_T0_E_clISt17integral_constantIbLb0EES1B_EEDaS16_S17_EUlS16_E_NS1_11comp_targetILNS1_3genE9ELNS1_11target_archE1100ELNS1_3gpuE3ELNS1_3repE0EEENS1_30default_config_static_selectorELNS0_4arch9wavefront6targetE0EEEvT1_.num_vgpr, 0
	.set _ZN7rocprim17ROCPRIM_400000_NS6detail17trampoline_kernelINS0_14default_configENS1_25partition_config_selectorILNS1_17partition_subalgoE5EdNS0_10empty_typeEbEEZZNS1_14partition_implILS5_5ELb0ES3_mN6thrust23THRUST_200600_302600_NS6detail15normal_iteratorINSA_10device_ptrIdEEEEPS6_NSA_18transform_iteratorINSB_9not_fun_tINSA_8identityIdEEEESF_NSA_11use_defaultESM_EENS0_5tupleIJSF_S6_EEENSO_IJSG_SG_EEES6_PlJS6_EEE10hipError_tPvRmT3_T4_T5_T6_T7_T9_mT8_P12ihipStream_tbDpT10_ENKUlT_T0_E_clISt17integral_constantIbLb0EES1B_EEDaS16_S17_EUlS16_E_NS1_11comp_targetILNS1_3genE9ELNS1_11target_archE1100ELNS1_3gpuE3ELNS1_3repE0EEENS1_30default_config_static_selectorELNS0_4arch9wavefront6targetE0EEEvT1_.num_agpr, 0
	.set _ZN7rocprim17ROCPRIM_400000_NS6detail17trampoline_kernelINS0_14default_configENS1_25partition_config_selectorILNS1_17partition_subalgoE5EdNS0_10empty_typeEbEEZZNS1_14partition_implILS5_5ELb0ES3_mN6thrust23THRUST_200600_302600_NS6detail15normal_iteratorINSA_10device_ptrIdEEEEPS6_NSA_18transform_iteratorINSB_9not_fun_tINSA_8identityIdEEEESF_NSA_11use_defaultESM_EENS0_5tupleIJSF_S6_EEENSO_IJSG_SG_EEES6_PlJS6_EEE10hipError_tPvRmT3_T4_T5_T6_T7_T9_mT8_P12ihipStream_tbDpT10_ENKUlT_T0_E_clISt17integral_constantIbLb0EES1B_EEDaS16_S17_EUlS16_E_NS1_11comp_targetILNS1_3genE9ELNS1_11target_archE1100ELNS1_3gpuE3ELNS1_3repE0EEENS1_30default_config_static_selectorELNS0_4arch9wavefront6targetE0EEEvT1_.numbered_sgpr, 0
	.set _ZN7rocprim17ROCPRIM_400000_NS6detail17trampoline_kernelINS0_14default_configENS1_25partition_config_selectorILNS1_17partition_subalgoE5EdNS0_10empty_typeEbEEZZNS1_14partition_implILS5_5ELb0ES3_mN6thrust23THRUST_200600_302600_NS6detail15normal_iteratorINSA_10device_ptrIdEEEEPS6_NSA_18transform_iteratorINSB_9not_fun_tINSA_8identityIdEEEESF_NSA_11use_defaultESM_EENS0_5tupleIJSF_S6_EEENSO_IJSG_SG_EEES6_PlJS6_EEE10hipError_tPvRmT3_T4_T5_T6_T7_T9_mT8_P12ihipStream_tbDpT10_ENKUlT_T0_E_clISt17integral_constantIbLb0EES1B_EEDaS16_S17_EUlS16_E_NS1_11comp_targetILNS1_3genE9ELNS1_11target_archE1100ELNS1_3gpuE3ELNS1_3repE0EEENS1_30default_config_static_selectorELNS0_4arch9wavefront6targetE0EEEvT1_.num_named_barrier, 0
	.set _ZN7rocprim17ROCPRIM_400000_NS6detail17trampoline_kernelINS0_14default_configENS1_25partition_config_selectorILNS1_17partition_subalgoE5EdNS0_10empty_typeEbEEZZNS1_14partition_implILS5_5ELb0ES3_mN6thrust23THRUST_200600_302600_NS6detail15normal_iteratorINSA_10device_ptrIdEEEEPS6_NSA_18transform_iteratorINSB_9not_fun_tINSA_8identityIdEEEESF_NSA_11use_defaultESM_EENS0_5tupleIJSF_S6_EEENSO_IJSG_SG_EEES6_PlJS6_EEE10hipError_tPvRmT3_T4_T5_T6_T7_T9_mT8_P12ihipStream_tbDpT10_ENKUlT_T0_E_clISt17integral_constantIbLb0EES1B_EEDaS16_S17_EUlS16_E_NS1_11comp_targetILNS1_3genE9ELNS1_11target_archE1100ELNS1_3gpuE3ELNS1_3repE0EEENS1_30default_config_static_selectorELNS0_4arch9wavefront6targetE0EEEvT1_.private_seg_size, 0
	.set _ZN7rocprim17ROCPRIM_400000_NS6detail17trampoline_kernelINS0_14default_configENS1_25partition_config_selectorILNS1_17partition_subalgoE5EdNS0_10empty_typeEbEEZZNS1_14partition_implILS5_5ELb0ES3_mN6thrust23THRUST_200600_302600_NS6detail15normal_iteratorINSA_10device_ptrIdEEEEPS6_NSA_18transform_iteratorINSB_9not_fun_tINSA_8identityIdEEEESF_NSA_11use_defaultESM_EENS0_5tupleIJSF_S6_EEENSO_IJSG_SG_EEES6_PlJS6_EEE10hipError_tPvRmT3_T4_T5_T6_T7_T9_mT8_P12ihipStream_tbDpT10_ENKUlT_T0_E_clISt17integral_constantIbLb0EES1B_EEDaS16_S17_EUlS16_E_NS1_11comp_targetILNS1_3genE9ELNS1_11target_archE1100ELNS1_3gpuE3ELNS1_3repE0EEENS1_30default_config_static_selectorELNS0_4arch9wavefront6targetE0EEEvT1_.uses_vcc, 0
	.set _ZN7rocprim17ROCPRIM_400000_NS6detail17trampoline_kernelINS0_14default_configENS1_25partition_config_selectorILNS1_17partition_subalgoE5EdNS0_10empty_typeEbEEZZNS1_14partition_implILS5_5ELb0ES3_mN6thrust23THRUST_200600_302600_NS6detail15normal_iteratorINSA_10device_ptrIdEEEEPS6_NSA_18transform_iteratorINSB_9not_fun_tINSA_8identityIdEEEESF_NSA_11use_defaultESM_EENS0_5tupleIJSF_S6_EEENSO_IJSG_SG_EEES6_PlJS6_EEE10hipError_tPvRmT3_T4_T5_T6_T7_T9_mT8_P12ihipStream_tbDpT10_ENKUlT_T0_E_clISt17integral_constantIbLb0EES1B_EEDaS16_S17_EUlS16_E_NS1_11comp_targetILNS1_3genE9ELNS1_11target_archE1100ELNS1_3gpuE3ELNS1_3repE0EEENS1_30default_config_static_selectorELNS0_4arch9wavefront6targetE0EEEvT1_.uses_flat_scratch, 0
	.set _ZN7rocprim17ROCPRIM_400000_NS6detail17trampoline_kernelINS0_14default_configENS1_25partition_config_selectorILNS1_17partition_subalgoE5EdNS0_10empty_typeEbEEZZNS1_14partition_implILS5_5ELb0ES3_mN6thrust23THRUST_200600_302600_NS6detail15normal_iteratorINSA_10device_ptrIdEEEEPS6_NSA_18transform_iteratorINSB_9not_fun_tINSA_8identityIdEEEESF_NSA_11use_defaultESM_EENS0_5tupleIJSF_S6_EEENSO_IJSG_SG_EEES6_PlJS6_EEE10hipError_tPvRmT3_T4_T5_T6_T7_T9_mT8_P12ihipStream_tbDpT10_ENKUlT_T0_E_clISt17integral_constantIbLb0EES1B_EEDaS16_S17_EUlS16_E_NS1_11comp_targetILNS1_3genE9ELNS1_11target_archE1100ELNS1_3gpuE3ELNS1_3repE0EEENS1_30default_config_static_selectorELNS0_4arch9wavefront6targetE0EEEvT1_.has_dyn_sized_stack, 0
	.set _ZN7rocprim17ROCPRIM_400000_NS6detail17trampoline_kernelINS0_14default_configENS1_25partition_config_selectorILNS1_17partition_subalgoE5EdNS0_10empty_typeEbEEZZNS1_14partition_implILS5_5ELb0ES3_mN6thrust23THRUST_200600_302600_NS6detail15normal_iteratorINSA_10device_ptrIdEEEEPS6_NSA_18transform_iteratorINSB_9not_fun_tINSA_8identityIdEEEESF_NSA_11use_defaultESM_EENS0_5tupleIJSF_S6_EEENSO_IJSG_SG_EEES6_PlJS6_EEE10hipError_tPvRmT3_T4_T5_T6_T7_T9_mT8_P12ihipStream_tbDpT10_ENKUlT_T0_E_clISt17integral_constantIbLb0EES1B_EEDaS16_S17_EUlS16_E_NS1_11comp_targetILNS1_3genE9ELNS1_11target_archE1100ELNS1_3gpuE3ELNS1_3repE0EEENS1_30default_config_static_selectorELNS0_4arch9wavefront6targetE0EEEvT1_.has_recursion, 0
	.set _ZN7rocprim17ROCPRIM_400000_NS6detail17trampoline_kernelINS0_14default_configENS1_25partition_config_selectorILNS1_17partition_subalgoE5EdNS0_10empty_typeEbEEZZNS1_14partition_implILS5_5ELb0ES3_mN6thrust23THRUST_200600_302600_NS6detail15normal_iteratorINSA_10device_ptrIdEEEEPS6_NSA_18transform_iteratorINSB_9not_fun_tINSA_8identityIdEEEESF_NSA_11use_defaultESM_EENS0_5tupleIJSF_S6_EEENSO_IJSG_SG_EEES6_PlJS6_EEE10hipError_tPvRmT3_T4_T5_T6_T7_T9_mT8_P12ihipStream_tbDpT10_ENKUlT_T0_E_clISt17integral_constantIbLb0EES1B_EEDaS16_S17_EUlS16_E_NS1_11comp_targetILNS1_3genE9ELNS1_11target_archE1100ELNS1_3gpuE3ELNS1_3repE0EEENS1_30default_config_static_selectorELNS0_4arch9wavefront6targetE0EEEvT1_.has_indirect_call, 0
	.section	.AMDGPU.csdata,"",@progbits
; Kernel info:
; codeLenInByte = 0
; TotalNumSgprs: 0
; NumVgprs: 0
; ScratchSize: 0
; MemoryBound: 0
; FloatMode: 240
; IeeeMode: 1
; LDSByteSize: 0 bytes/workgroup (compile time only)
; SGPRBlocks: 0
; VGPRBlocks: 0
; NumSGPRsForWavesPerEU: 1
; NumVGPRsForWavesPerEU: 1
; Occupancy: 16
; WaveLimiterHint : 0
; COMPUTE_PGM_RSRC2:SCRATCH_EN: 0
; COMPUTE_PGM_RSRC2:USER_SGPR: 2
; COMPUTE_PGM_RSRC2:TRAP_HANDLER: 0
; COMPUTE_PGM_RSRC2:TGID_X_EN: 1
; COMPUTE_PGM_RSRC2:TGID_Y_EN: 0
; COMPUTE_PGM_RSRC2:TGID_Z_EN: 0
; COMPUTE_PGM_RSRC2:TIDIG_COMP_CNT: 0
	.section	.text._ZN7rocprim17ROCPRIM_400000_NS6detail17trampoline_kernelINS0_14default_configENS1_25partition_config_selectorILNS1_17partition_subalgoE5EdNS0_10empty_typeEbEEZZNS1_14partition_implILS5_5ELb0ES3_mN6thrust23THRUST_200600_302600_NS6detail15normal_iteratorINSA_10device_ptrIdEEEEPS6_NSA_18transform_iteratorINSB_9not_fun_tINSA_8identityIdEEEESF_NSA_11use_defaultESM_EENS0_5tupleIJSF_S6_EEENSO_IJSG_SG_EEES6_PlJS6_EEE10hipError_tPvRmT3_T4_T5_T6_T7_T9_mT8_P12ihipStream_tbDpT10_ENKUlT_T0_E_clISt17integral_constantIbLb0EES1B_EEDaS16_S17_EUlS16_E_NS1_11comp_targetILNS1_3genE8ELNS1_11target_archE1030ELNS1_3gpuE2ELNS1_3repE0EEENS1_30default_config_static_selectorELNS0_4arch9wavefront6targetE0EEEvT1_,"axG",@progbits,_ZN7rocprim17ROCPRIM_400000_NS6detail17trampoline_kernelINS0_14default_configENS1_25partition_config_selectorILNS1_17partition_subalgoE5EdNS0_10empty_typeEbEEZZNS1_14partition_implILS5_5ELb0ES3_mN6thrust23THRUST_200600_302600_NS6detail15normal_iteratorINSA_10device_ptrIdEEEEPS6_NSA_18transform_iteratorINSB_9not_fun_tINSA_8identityIdEEEESF_NSA_11use_defaultESM_EENS0_5tupleIJSF_S6_EEENSO_IJSG_SG_EEES6_PlJS6_EEE10hipError_tPvRmT3_T4_T5_T6_T7_T9_mT8_P12ihipStream_tbDpT10_ENKUlT_T0_E_clISt17integral_constantIbLb0EES1B_EEDaS16_S17_EUlS16_E_NS1_11comp_targetILNS1_3genE8ELNS1_11target_archE1030ELNS1_3gpuE2ELNS1_3repE0EEENS1_30default_config_static_selectorELNS0_4arch9wavefront6targetE0EEEvT1_,comdat
	.protected	_ZN7rocprim17ROCPRIM_400000_NS6detail17trampoline_kernelINS0_14default_configENS1_25partition_config_selectorILNS1_17partition_subalgoE5EdNS0_10empty_typeEbEEZZNS1_14partition_implILS5_5ELb0ES3_mN6thrust23THRUST_200600_302600_NS6detail15normal_iteratorINSA_10device_ptrIdEEEEPS6_NSA_18transform_iteratorINSB_9not_fun_tINSA_8identityIdEEEESF_NSA_11use_defaultESM_EENS0_5tupleIJSF_S6_EEENSO_IJSG_SG_EEES6_PlJS6_EEE10hipError_tPvRmT3_T4_T5_T6_T7_T9_mT8_P12ihipStream_tbDpT10_ENKUlT_T0_E_clISt17integral_constantIbLb0EES1B_EEDaS16_S17_EUlS16_E_NS1_11comp_targetILNS1_3genE8ELNS1_11target_archE1030ELNS1_3gpuE2ELNS1_3repE0EEENS1_30default_config_static_selectorELNS0_4arch9wavefront6targetE0EEEvT1_ ; -- Begin function _ZN7rocprim17ROCPRIM_400000_NS6detail17trampoline_kernelINS0_14default_configENS1_25partition_config_selectorILNS1_17partition_subalgoE5EdNS0_10empty_typeEbEEZZNS1_14partition_implILS5_5ELb0ES3_mN6thrust23THRUST_200600_302600_NS6detail15normal_iteratorINSA_10device_ptrIdEEEEPS6_NSA_18transform_iteratorINSB_9not_fun_tINSA_8identityIdEEEESF_NSA_11use_defaultESM_EENS0_5tupleIJSF_S6_EEENSO_IJSG_SG_EEES6_PlJS6_EEE10hipError_tPvRmT3_T4_T5_T6_T7_T9_mT8_P12ihipStream_tbDpT10_ENKUlT_T0_E_clISt17integral_constantIbLb0EES1B_EEDaS16_S17_EUlS16_E_NS1_11comp_targetILNS1_3genE8ELNS1_11target_archE1030ELNS1_3gpuE2ELNS1_3repE0EEENS1_30default_config_static_selectorELNS0_4arch9wavefront6targetE0EEEvT1_
	.globl	_ZN7rocprim17ROCPRIM_400000_NS6detail17trampoline_kernelINS0_14default_configENS1_25partition_config_selectorILNS1_17partition_subalgoE5EdNS0_10empty_typeEbEEZZNS1_14partition_implILS5_5ELb0ES3_mN6thrust23THRUST_200600_302600_NS6detail15normal_iteratorINSA_10device_ptrIdEEEEPS6_NSA_18transform_iteratorINSB_9not_fun_tINSA_8identityIdEEEESF_NSA_11use_defaultESM_EENS0_5tupleIJSF_S6_EEENSO_IJSG_SG_EEES6_PlJS6_EEE10hipError_tPvRmT3_T4_T5_T6_T7_T9_mT8_P12ihipStream_tbDpT10_ENKUlT_T0_E_clISt17integral_constantIbLb0EES1B_EEDaS16_S17_EUlS16_E_NS1_11comp_targetILNS1_3genE8ELNS1_11target_archE1030ELNS1_3gpuE2ELNS1_3repE0EEENS1_30default_config_static_selectorELNS0_4arch9wavefront6targetE0EEEvT1_
	.p2align	8
	.type	_ZN7rocprim17ROCPRIM_400000_NS6detail17trampoline_kernelINS0_14default_configENS1_25partition_config_selectorILNS1_17partition_subalgoE5EdNS0_10empty_typeEbEEZZNS1_14partition_implILS5_5ELb0ES3_mN6thrust23THRUST_200600_302600_NS6detail15normal_iteratorINSA_10device_ptrIdEEEEPS6_NSA_18transform_iteratorINSB_9not_fun_tINSA_8identityIdEEEESF_NSA_11use_defaultESM_EENS0_5tupleIJSF_S6_EEENSO_IJSG_SG_EEES6_PlJS6_EEE10hipError_tPvRmT3_T4_T5_T6_T7_T9_mT8_P12ihipStream_tbDpT10_ENKUlT_T0_E_clISt17integral_constantIbLb0EES1B_EEDaS16_S17_EUlS16_E_NS1_11comp_targetILNS1_3genE8ELNS1_11target_archE1030ELNS1_3gpuE2ELNS1_3repE0EEENS1_30default_config_static_selectorELNS0_4arch9wavefront6targetE0EEEvT1_,@function
_ZN7rocprim17ROCPRIM_400000_NS6detail17trampoline_kernelINS0_14default_configENS1_25partition_config_selectorILNS1_17partition_subalgoE5EdNS0_10empty_typeEbEEZZNS1_14partition_implILS5_5ELb0ES3_mN6thrust23THRUST_200600_302600_NS6detail15normal_iteratorINSA_10device_ptrIdEEEEPS6_NSA_18transform_iteratorINSB_9not_fun_tINSA_8identityIdEEEESF_NSA_11use_defaultESM_EENS0_5tupleIJSF_S6_EEENSO_IJSG_SG_EEES6_PlJS6_EEE10hipError_tPvRmT3_T4_T5_T6_T7_T9_mT8_P12ihipStream_tbDpT10_ENKUlT_T0_E_clISt17integral_constantIbLb0EES1B_EEDaS16_S17_EUlS16_E_NS1_11comp_targetILNS1_3genE8ELNS1_11target_archE1030ELNS1_3gpuE2ELNS1_3repE0EEENS1_30default_config_static_selectorELNS0_4arch9wavefront6targetE0EEEvT1_: ; @_ZN7rocprim17ROCPRIM_400000_NS6detail17trampoline_kernelINS0_14default_configENS1_25partition_config_selectorILNS1_17partition_subalgoE5EdNS0_10empty_typeEbEEZZNS1_14partition_implILS5_5ELb0ES3_mN6thrust23THRUST_200600_302600_NS6detail15normal_iteratorINSA_10device_ptrIdEEEEPS6_NSA_18transform_iteratorINSB_9not_fun_tINSA_8identityIdEEEESF_NSA_11use_defaultESM_EENS0_5tupleIJSF_S6_EEENSO_IJSG_SG_EEES6_PlJS6_EEE10hipError_tPvRmT3_T4_T5_T6_T7_T9_mT8_P12ihipStream_tbDpT10_ENKUlT_T0_E_clISt17integral_constantIbLb0EES1B_EEDaS16_S17_EUlS16_E_NS1_11comp_targetILNS1_3genE8ELNS1_11target_archE1030ELNS1_3gpuE2ELNS1_3repE0EEENS1_30default_config_static_selectorELNS0_4arch9wavefront6targetE0EEEvT1_
; %bb.0:
	.section	.rodata,"a",@progbits
	.p2align	6, 0x0
	.amdhsa_kernel _ZN7rocprim17ROCPRIM_400000_NS6detail17trampoline_kernelINS0_14default_configENS1_25partition_config_selectorILNS1_17partition_subalgoE5EdNS0_10empty_typeEbEEZZNS1_14partition_implILS5_5ELb0ES3_mN6thrust23THRUST_200600_302600_NS6detail15normal_iteratorINSA_10device_ptrIdEEEEPS6_NSA_18transform_iteratorINSB_9not_fun_tINSA_8identityIdEEEESF_NSA_11use_defaultESM_EENS0_5tupleIJSF_S6_EEENSO_IJSG_SG_EEES6_PlJS6_EEE10hipError_tPvRmT3_T4_T5_T6_T7_T9_mT8_P12ihipStream_tbDpT10_ENKUlT_T0_E_clISt17integral_constantIbLb0EES1B_EEDaS16_S17_EUlS16_E_NS1_11comp_targetILNS1_3genE8ELNS1_11target_archE1030ELNS1_3gpuE2ELNS1_3repE0EEENS1_30default_config_static_selectorELNS0_4arch9wavefront6targetE0EEEvT1_
		.amdhsa_group_segment_fixed_size 0
		.amdhsa_private_segment_fixed_size 0
		.amdhsa_kernarg_size 120
		.amdhsa_user_sgpr_count 2
		.amdhsa_user_sgpr_dispatch_ptr 0
		.amdhsa_user_sgpr_queue_ptr 0
		.amdhsa_user_sgpr_kernarg_segment_ptr 1
		.amdhsa_user_sgpr_dispatch_id 0
		.amdhsa_user_sgpr_private_segment_size 0
		.amdhsa_wavefront_size32 1
		.amdhsa_uses_dynamic_stack 0
		.amdhsa_enable_private_segment 0
		.amdhsa_system_sgpr_workgroup_id_x 1
		.amdhsa_system_sgpr_workgroup_id_y 0
		.amdhsa_system_sgpr_workgroup_id_z 0
		.amdhsa_system_sgpr_workgroup_info 0
		.amdhsa_system_vgpr_workitem_id 0
		.amdhsa_next_free_vgpr 1
		.amdhsa_next_free_sgpr 1
		.amdhsa_reserve_vcc 0
		.amdhsa_float_round_mode_32 0
		.amdhsa_float_round_mode_16_64 0
		.amdhsa_float_denorm_mode_32 3
		.amdhsa_float_denorm_mode_16_64 3
		.amdhsa_fp16_overflow 0
		.amdhsa_workgroup_processor_mode 1
		.amdhsa_memory_ordered 1
		.amdhsa_forward_progress 1
		.amdhsa_inst_pref_size 0
		.amdhsa_round_robin_scheduling 0
		.amdhsa_exception_fp_ieee_invalid_op 0
		.amdhsa_exception_fp_denorm_src 0
		.amdhsa_exception_fp_ieee_div_zero 0
		.amdhsa_exception_fp_ieee_overflow 0
		.amdhsa_exception_fp_ieee_underflow 0
		.amdhsa_exception_fp_ieee_inexact 0
		.amdhsa_exception_int_div_zero 0
	.end_amdhsa_kernel
	.section	.text._ZN7rocprim17ROCPRIM_400000_NS6detail17trampoline_kernelINS0_14default_configENS1_25partition_config_selectorILNS1_17partition_subalgoE5EdNS0_10empty_typeEbEEZZNS1_14partition_implILS5_5ELb0ES3_mN6thrust23THRUST_200600_302600_NS6detail15normal_iteratorINSA_10device_ptrIdEEEEPS6_NSA_18transform_iteratorINSB_9not_fun_tINSA_8identityIdEEEESF_NSA_11use_defaultESM_EENS0_5tupleIJSF_S6_EEENSO_IJSG_SG_EEES6_PlJS6_EEE10hipError_tPvRmT3_T4_T5_T6_T7_T9_mT8_P12ihipStream_tbDpT10_ENKUlT_T0_E_clISt17integral_constantIbLb0EES1B_EEDaS16_S17_EUlS16_E_NS1_11comp_targetILNS1_3genE8ELNS1_11target_archE1030ELNS1_3gpuE2ELNS1_3repE0EEENS1_30default_config_static_selectorELNS0_4arch9wavefront6targetE0EEEvT1_,"axG",@progbits,_ZN7rocprim17ROCPRIM_400000_NS6detail17trampoline_kernelINS0_14default_configENS1_25partition_config_selectorILNS1_17partition_subalgoE5EdNS0_10empty_typeEbEEZZNS1_14partition_implILS5_5ELb0ES3_mN6thrust23THRUST_200600_302600_NS6detail15normal_iteratorINSA_10device_ptrIdEEEEPS6_NSA_18transform_iteratorINSB_9not_fun_tINSA_8identityIdEEEESF_NSA_11use_defaultESM_EENS0_5tupleIJSF_S6_EEENSO_IJSG_SG_EEES6_PlJS6_EEE10hipError_tPvRmT3_T4_T5_T6_T7_T9_mT8_P12ihipStream_tbDpT10_ENKUlT_T0_E_clISt17integral_constantIbLb0EES1B_EEDaS16_S17_EUlS16_E_NS1_11comp_targetILNS1_3genE8ELNS1_11target_archE1030ELNS1_3gpuE2ELNS1_3repE0EEENS1_30default_config_static_selectorELNS0_4arch9wavefront6targetE0EEEvT1_,comdat
.Lfunc_end796:
	.size	_ZN7rocprim17ROCPRIM_400000_NS6detail17trampoline_kernelINS0_14default_configENS1_25partition_config_selectorILNS1_17partition_subalgoE5EdNS0_10empty_typeEbEEZZNS1_14partition_implILS5_5ELb0ES3_mN6thrust23THRUST_200600_302600_NS6detail15normal_iteratorINSA_10device_ptrIdEEEEPS6_NSA_18transform_iteratorINSB_9not_fun_tINSA_8identityIdEEEESF_NSA_11use_defaultESM_EENS0_5tupleIJSF_S6_EEENSO_IJSG_SG_EEES6_PlJS6_EEE10hipError_tPvRmT3_T4_T5_T6_T7_T9_mT8_P12ihipStream_tbDpT10_ENKUlT_T0_E_clISt17integral_constantIbLb0EES1B_EEDaS16_S17_EUlS16_E_NS1_11comp_targetILNS1_3genE8ELNS1_11target_archE1030ELNS1_3gpuE2ELNS1_3repE0EEENS1_30default_config_static_selectorELNS0_4arch9wavefront6targetE0EEEvT1_, .Lfunc_end796-_ZN7rocprim17ROCPRIM_400000_NS6detail17trampoline_kernelINS0_14default_configENS1_25partition_config_selectorILNS1_17partition_subalgoE5EdNS0_10empty_typeEbEEZZNS1_14partition_implILS5_5ELb0ES3_mN6thrust23THRUST_200600_302600_NS6detail15normal_iteratorINSA_10device_ptrIdEEEEPS6_NSA_18transform_iteratorINSB_9not_fun_tINSA_8identityIdEEEESF_NSA_11use_defaultESM_EENS0_5tupleIJSF_S6_EEENSO_IJSG_SG_EEES6_PlJS6_EEE10hipError_tPvRmT3_T4_T5_T6_T7_T9_mT8_P12ihipStream_tbDpT10_ENKUlT_T0_E_clISt17integral_constantIbLb0EES1B_EEDaS16_S17_EUlS16_E_NS1_11comp_targetILNS1_3genE8ELNS1_11target_archE1030ELNS1_3gpuE2ELNS1_3repE0EEENS1_30default_config_static_selectorELNS0_4arch9wavefront6targetE0EEEvT1_
                                        ; -- End function
	.set _ZN7rocprim17ROCPRIM_400000_NS6detail17trampoline_kernelINS0_14default_configENS1_25partition_config_selectorILNS1_17partition_subalgoE5EdNS0_10empty_typeEbEEZZNS1_14partition_implILS5_5ELb0ES3_mN6thrust23THRUST_200600_302600_NS6detail15normal_iteratorINSA_10device_ptrIdEEEEPS6_NSA_18transform_iteratorINSB_9not_fun_tINSA_8identityIdEEEESF_NSA_11use_defaultESM_EENS0_5tupleIJSF_S6_EEENSO_IJSG_SG_EEES6_PlJS6_EEE10hipError_tPvRmT3_T4_T5_T6_T7_T9_mT8_P12ihipStream_tbDpT10_ENKUlT_T0_E_clISt17integral_constantIbLb0EES1B_EEDaS16_S17_EUlS16_E_NS1_11comp_targetILNS1_3genE8ELNS1_11target_archE1030ELNS1_3gpuE2ELNS1_3repE0EEENS1_30default_config_static_selectorELNS0_4arch9wavefront6targetE0EEEvT1_.num_vgpr, 0
	.set _ZN7rocprim17ROCPRIM_400000_NS6detail17trampoline_kernelINS0_14default_configENS1_25partition_config_selectorILNS1_17partition_subalgoE5EdNS0_10empty_typeEbEEZZNS1_14partition_implILS5_5ELb0ES3_mN6thrust23THRUST_200600_302600_NS6detail15normal_iteratorINSA_10device_ptrIdEEEEPS6_NSA_18transform_iteratorINSB_9not_fun_tINSA_8identityIdEEEESF_NSA_11use_defaultESM_EENS0_5tupleIJSF_S6_EEENSO_IJSG_SG_EEES6_PlJS6_EEE10hipError_tPvRmT3_T4_T5_T6_T7_T9_mT8_P12ihipStream_tbDpT10_ENKUlT_T0_E_clISt17integral_constantIbLb0EES1B_EEDaS16_S17_EUlS16_E_NS1_11comp_targetILNS1_3genE8ELNS1_11target_archE1030ELNS1_3gpuE2ELNS1_3repE0EEENS1_30default_config_static_selectorELNS0_4arch9wavefront6targetE0EEEvT1_.num_agpr, 0
	.set _ZN7rocprim17ROCPRIM_400000_NS6detail17trampoline_kernelINS0_14default_configENS1_25partition_config_selectorILNS1_17partition_subalgoE5EdNS0_10empty_typeEbEEZZNS1_14partition_implILS5_5ELb0ES3_mN6thrust23THRUST_200600_302600_NS6detail15normal_iteratorINSA_10device_ptrIdEEEEPS6_NSA_18transform_iteratorINSB_9not_fun_tINSA_8identityIdEEEESF_NSA_11use_defaultESM_EENS0_5tupleIJSF_S6_EEENSO_IJSG_SG_EEES6_PlJS6_EEE10hipError_tPvRmT3_T4_T5_T6_T7_T9_mT8_P12ihipStream_tbDpT10_ENKUlT_T0_E_clISt17integral_constantIbLb0EES1B_EEDaS16_S17_EUlS16_E_NS1_11comp_targetILNS1_3genE8ELNS1_11target_archE1030ELNS1_3gpuE2ELNS1_3repE0EEENS1_30default_config_static_selectorELNS0_4arch9wavefront6targetE0EEEvT1_.numbered_sgpr, 0
	.set _ZN7rocprim17ROCPRIM_400000_NS6detail17trampoline_kernelINS0_14default_configENS1_25partition_config_selectorILNS1_17partition_subalgoE5EdNS0_10empty_typeEbEEZZNS1_14partition_implILS5_5ELb0ES3_mN6thrust23THRUST_200600_302600_NS6detail15normal_iteratorINSA_10device_ptrIdEEEEPS6_NSA_18transform_iteratorINSB_9not_fun_tINSA_8identityIdEEEESF_NSA_11use_defaultESM_EENS0_5tupleIJSF_S6_EEENSO_IJSG_SG_EEES6_PlJS6_EEE10hipError_tPvRmT3_T4_T5_T6_T7_T9_mT8_P12ihipStream_tbDpT10_ENKUlT_T0_E_clISt17integral_constantIbLb0EES1B_EEDaS16_S17_EUlS16_E_NS1_11comp_targetILNS1_3genE8ELNS1_11target_archE1030ELNS1_3gpuE2ELNS1_3repE0EEENS1_30default_config_static_selectorELNS0_4arch9wavefront6targetE0EEEvT1_.num_named_barrier, 0
	.set _ZN7rocprim17ROCPRIM_400000_NS6detail17trampoline_kernelINS0_14default_configENS1_25partition_config_selectorILNS1_17partition_subalgoE5EdNS0_10empty_typeEbEEZZNS1_14partition_implILS5_5ELb0ES3_mN6thrust23THRUST_200600_302600_NS6detail15normal_iteratorINSA_10device_ptrIdEEEEPS6_NSA_18transform_iteratorINSB_9not_fun_tINSA_8identityIdEEEESF_NSA_11use_defaultESM_EENS0_5tupleIJSF_S6_EEENSO_IJSG_SG_EEES6_PlJS6_EEE10hipError_tPvRmT3_T4_T5_T6_T7_T9_mT8_P12ihipStream_tbDpT10_ENKUlT_T0_E_clISt17integral_constantIbLb0EES1B_EEDaS16_S17_EUlS16_E_NS1_11comp_targetILNS1_3genE8ELNS1_11target_archE1030ELNS1_3gpuE2ELNS1_3repE0EEENS1_30default_config_static_selectorELNS0_4arch9wavefront6targetE0EEEvT1_.private_seg_size, 0
	.set _ZN7rocprim17ROCPRIM_400000_NS6detail17trampoline_kernelINS0_14default_configENS1_25partition_config_selectorILNS1_17partition_subalgoE5EdNS0_10empty_typeEbEEZZNS1_14partition_implILS5_5ELb0ES3_mN6thrust23THRUST_200600_302600_NS6detail15normal_iteratorINSA_10device_ptrIdEEEEPS6_NSA_18transform_iteratorINSB_9not_fun_tINSA_8identityIdEEEESF_NSA_11use_defaultESM_EENS0_5tupleIJSF_S6_EEENSO_IJSG_SG_EEES6_PlJS6_EEE10hipError_tPvRmT3_T4_T5_T6_T7_T9_mT8_P12ihipStream_tbDpT10_ENKUlT_T0_E_clISt17integral_constantIbLb0EES1B_EEDaS16_S17_EUlS16_E_NS1_11comp_targetILNS1_3genE8ELNS1_11target_archE1030ELNS1_3gpuE2ELNS1_3repE0EEENS1_30default_config_static_selectorELNS0_4arch9wavefront6targetE0EEEvT1_.uses_vcc, 0
	.set _ZN7rocprim17ROCPRIM_400000_NS6detail17trampoline_kernelINS0_14default_configENS1_25partition_config_selectorILNS1_17partition_subalgoE5EdNS0_10empty_typeEbEEZZNS1_14partition_implILS5_5ELb0ES3_mN6thrust23THRUST_200600_302600_NS6detail15normal_iteratorINSA_10device_ptrIdEEEEPS6_NSA_18transform_iteratorINSB_9not_fun_tINSA_8identityIdEEEESF_NSA_11use_defaultESM_EENS0_5tupleIJSF_S6_EEENSO_IJSG_SG_EEES6_PlJS6_EEE10hipError_tPvRmT3_T4_T5_T6_T7_T9_mT8_P12ihipStream_tbDpT10_ENKUlT_T0_E_clISt17integral_constantIbLb0EES1B_EEDaS16_S17_EUlS16_E_NS1_11comp_targetILNS1_3genE8ELNS1_11target_archE1030ELNS1_3gpuE2ELNS1_3repE0EEENS1_30default_config_static_selectorELNS0_4arch9wavefront6targetE0EEEvT1_.uses_flat_scratch, 0
	.set _ZN7rocprim17ROCPRIM_400000_NS6detail17trampoline_kernelINS0_14default_configENS1_25partition_config_selectorILNS1_17partition_subalgoE5EdNS0_10empty_typeEbEEZZNS1_14partition_implILS5_5ELb0ES3_mN6thrust23THRUST_200600_302600_NS6detail15normal_iteratorINSA_10device_ptrIdEEEEPS6_NSA_18transform_iteratorINSB_9not_fun_tINSA_8identityIdEEEESF_NSA_11use_defaultESM_EENS0_5tupleIJSF_S6_EEENSO_IJSG_SG_EEES6_PlJS6_EEE10hipError_tPvRmT3_T4_T5_T6_T7_T9_mT8_P12ihipStream_tbDpT10_ENKUlT_T0_E_clISt17integral_constantIbLb0EES1B_EEDaS16_S17_EUlS16_E_NS1_11comp_targetILNS1_3genE8ELNS1_11target_archE1030ELNS1_3gpuE2ELNS1_3repE0EEENS1_30default_config_static_selectorELNS0_4arch9wavefront6targetE0EEEvT1_.has_dyn_sized_stack, 0
	.set _ZN7rocprim17ROCPRIM_400000_NS6detail17trampoline_kernelINS0_14default_configENS1_25partition_config_selectorILNS1_17partition_subalgoE5EdNS0_10empty_typeEbEEZZNS1_14partition_implILS5_5ELb0ES3_mN6thrust23THRUST_200600_302600_NS6detail15normal_iteratorINSA_10device_ptrIdEEEEPS6_NSA_18transform_iteratorINSB_9not_fun_tINSA_8identityIdEEEESF_NSA_11use_defaultESM_EENS0_5tupleIJSF_S6_EEENSO_IJSG_SG_EEES6_PlJS6_EEE10hipError_tPvRmT3_T4_T5_T6_T7_T9_mT8_P12ihipStream_tbDpT10_ENKUlT_T0_E_clISt17integral_constantIbLb0EES1B_EEDaS16_S17_EUlS16_E_NS1_11comp_targetILNS1_3genE8ELNS1_11target_archE1030ELNS1_3gpuE2ELNS1_3repE0EEENS1_30default_config_static_selectorELNS0_4arch9wavefront6targetE0EEEvT1_.has_recursion, 0
	.set _ZN7rocprim17ROCPRIM_400000_NS6detail17trampoline_kernelINS0_14default_configENS1_25partition_config_selectorILNS1_17partition_subalgoE5EdNS0_10empty_typeEbEEZZNS1_14partition_implILS5_5ELb0ES3_mN6thrust23THRUST_200600_302600_NS6detail15normal_iteratorINSA_10device_ptrIdEEEEPS6_NSA_18transform_iteratorINSB_9not_fun_tINSA_8identityIdEEEESF_NSA_11use_defaultESM_EENS0_5tupleIJSF_S6_EEENSO_IJSG_SG_EEES6_PlJS6_EEE10hipError_tPvRmT3_T4_T5_T6_T7_T9_mT8_P12ihipStream_tbDpT10_ENKUlT_T0_E_clISt17integral_constantIbLb0EES1B_EEDaS16_S17_EUlS16_E_NS1_11comp_targetILNS1_3genE8ELNS1_11target_archE1030ELNS1_3gpuE2ELNS1_3repE0EEENS1_30default_config_static_selectorELNS0_4arch9wavefront6targetE0EEEvT1_.has_indirect_call, 0
	.section	.AMDGPU.csdata,"",@progbits
; Kernel info:
; codeLenInByte = 0
; TotalNumSgprs: 0
; NumVgprs: 0
; ScratchSize: 0
; MemoryBound: 0
; FloatMode: 240
; IeeeMode: 1
; LDSByteSize: 0 bytes/workgroup (compile time only)
; SGPRBlocks: 0
; VGPRBlocks: 0
; NumSGPRsForWavesPerEU: 1
; NumVGPRsForWavesPerEU: 1
; Occupancy: 16
; WaveLimiterHint : 0
; COMPUTE_PGM_RSRC2:SCRATCH_EN: 0
; COMPUTE_PGM_RSRC2:USER_SGPR: 2
; COMPUTE_PGM_RSRC2:TRAP_HANDLER: 0
; COMPUTE_PGM_RSRC2:TGID_X_EN: 1
; COMPUTE_PGM_RSRC2:TGID_Y_EN: 0
; COMPUTE_PGM_RSRC2:TGID_Z_EN: 0
; COMPUTE_PGM_RSRC2:TIDIG_COMP_CNT: 0
	.section	.text._ZN7rocprim17ROCPRIM_400000_NS6detail17trampoline_kernelINS0_14default_configENS1_25partition_config_selectorILNS1_17partition_subalgoE5EdNS0_10empty_typeEbEEZZNS1_14partition_implILS5_5ELb0ES3_mN6thrust23THRUST_200600_302600_NS6detail15normal_iteratorINSA_10device_ptrIdEEEEPS6_NSA_18transform_iteratorINSB_9not_fun_tINSA_8identityIdEEEESF_NSA_11use_defaultESM_EENS0_5tupleIJSF_S6_EEENSO_IJSG_SG_EEES6_PlJS6_EEE10hipError_tPvRmT3_T4_T5_T6_T7_T9_mT8_P12ihipStream_tbDpT10_ENKUlT_T0_E_clISt17integral_constantIbLb1EES1B_EEDaS16_S17_EUlS16_E_NS1_11comp_targetILNS1_3genE0ELNS1_11target_archE4294967295ELNS1_3gpuE0ELNS1_3repE0EEENS1_30default_config_static_selectorELNS0_4arch9wavefront6targetE0EEEvT1_,"axG",@progbits,_ZN7rocprim17ROCPRIM_400000_NS6detail17trampoline_kernelINS0_14default_configENS1_25partition_config_selectorILNS1_17partition_subalgoE5EdNS0_10empty_typeEbEEZZNS1_14partition_implILS5_5ELb0ES3_mN6thrust23THRUST_200600_302600_NS6detail15normal_iteratorINSA_10device_ptrIdEEEEPS6_NSA_18transform_iteratorINSB_9not_fun_tINSA_8identityIdEEEESF_NSA_11use_defaultESM_EENS0_5tupleIJSF_S6_EEENSO_IJSG_SG_EEES6_PlJS6_EEE10hipError_tPvRmT3_T4_T5_T6_T7_T9_mT8_P12ihipStream_tbDpT10_ENKUlT_T0_E_clISt17integral_constantIbLb1EES1B_EEDaS16_S17_EUlS16_E_NS1_11comp_targetILNS1_3genE0ELNS1_11target_archE4294967295ELNS1_3gpuE0ELNS1_3repE0EEENS1_30default_config_static_selectorELNS0_4arch9wavefront6targetE0EEEvT1_,comdat
	.protected	_ZN7rocprim17ROCPRIM_400000_NS6detail17trampoline_kernelINS0_14default_configENS1_25partition_config_selectorILNS1_17partition_subalgoE5EdNS0_10empty_typeEbEEZZNS1_14partition_implILS5_5ELb0ES3_mN6thrust23THRUST_200600_302600_NS6detail15normal_iteratorINSA_10device_ptrIdEEEEPS6_NSA_18transform_iteratorINSB_9not_fun_tINSA_8identityIdEEEESF_NSA_11use_defaultESM_EENS0_5tupleIJSF_S6_EEENSO_IJSG_SG_EEES6_PlJS6_EEE10hipError_tPvRmT3_T4_T5_T6_T7_T9_mT8_P12ihipStream_tbDpT10_ENKUlT_T0_E_clISt17integral_constantIbLb1EES1B_EEDaS16_S17_EUlS16_E_NS1_11comp_targetILNS1_3genE0ELNS1_11target_archE4294967295ELNS1_3gpuE0ELNS1_3repE0EEENS1_30default_config_static_selectorELNS0_4arch9wavefront6targetE0EEEvT1_ ; -- Begin function _ZN7rocprim17ROCPRIM_400000_NS6detail17trampoline_kernelINS0_14default_configENS1_25partition_config_selectorILNS1_17partition_subalgoE5EdNS0_10empty_typeEbEEZZNS1_14partition_implILS5_5ELb0ES3_mN6thrust23THRUST_200600_302600_NS6detail15normal_iteratorINSA_10device_ptrIdEEEEPS6_NSA_18transform_iteratorINSB_9not_fun_tINSA_8identityIdEEEESF_NSA_11use_defaultESM_EENS0_5tupleIJSF_S6_EEENSO_IJSG_SG_EEES6_PlJS6_EEE10hipError_tPvRmT3_T4_T5_T6_T7_T9_mT8_P12ihipStream_tbDpT10_ENKUlT_T0_E_clISt17integral_constantIbLb1EES1B_EEDaS16_S17_EUlS16_E_NS1_11comp_targetILNS1_3genE0ELNS1_11target_archE4294967295ELNS1_3gpuE0ELNS1_3repE0EEENS1_30default_config_static_selectorELNS0_4arch9wavefront6targetE0EEEvT1_
	.globl	_ZN7rocprim17ROCPRIM_400000_NS6detail17trampoline_kernelINS0_14default_configENS1_25partition_config_selectorILNS1_17partition_subalgoE5EdNS0_10empty_typeEbEEZZNS1_14partition_implILS5_5ELb0ES3_mN6thrust23THRUST_200600_302600_NS6detail15normal_iteratorINSA_10device_ptrIdEEEEPS6_NSA_18transform_iteratorINSB_9not_fun_tINSA_8identityIdEEEESF_NSA_11use_defaultESM_EENS0_5tupleIJSF_S6_EEENSO_IJSG_SG_EEES6_PlJS6_EEE10hipError_tPvRmT3_T4_T5_T6_T7_T9_mT8_P12ihipStream_tbDpT10_ENKUlT_T0_E_clISt17integral_constantIbLb1EES1B_EEDaS16_S17_EUlS16_E_NS1_11comp_targetILNS1_3genE0ELNS1_11target_archE4294967295ELNS1_3gpuE0ELNS1_3repE0EEENS1_30default_config_static_selectorELNS0_4arch9wavefront6targetE0EEEvT1_
	.p2align	8
	.type	_ZN7rocprim17ROCPRIM_400000_NS6detail17trampoline_kernelINS0_14default_configENS1_25partition_config_selectorILNS1_17partition_subalgoE5EdNS0_10empty_typeEbEEZZNS1_14partition_implILS5_5ELb0ES3_mN6thrust23THRUST_200600_302600_NS6detail15normal_iteratorINSA_10device_ptrIdEEEEPS6_NSA_18transform_iteratorINSB_9not_fun_tINSA_8identityIdEEEESF_NSA_11use_defaultESM_EENS0_5tupleIJSF_S6_EEENSO_IJSG_SG_EEES6_PlJS6_EEE10hipError_tPvRmT3_T4_T5_T6_T7_T9_mT8_P12ihipStream_tbDpT10_ENKUlT_T0_E_clISt17integral_constantIbLb1EES1B_EEDaS16_S17_EUlS16_E_NS1_11comp_targetILNS1_3genE0ELNS1_11target_archE4294967295ELNS1_3gpuE0ELNS1_3repE0EEENS1_30default_config_static_selectorELNS0_4arch9wavefront6targetE0EEEvT1_,@function
_ZN7rocprim17ROCPRIM_400000_NS6detail17trampoline_kernelINS0_14default_configENS1_25partition_config_selectorILNS1_17partition_subalgoE5EdNS0_10empty_typeEbEEZZNS1_14partition_implILS5_5ELb0ES3_mN6thrust23THRUST_200600_302600_NS6detail15normal_iteratorINSA_10device_ptrIdEEEEPS6_NSA_18transform_iteratorINSB_9not_fun_tINSA_8identityIdEEEESF_NSA_11use_defaultESM_EENS0_5tupleIJSF_S6_EEENSO_IJSG_SG_EEES6_PlJS6_EEE10hipError_tPvRmT3_T4_T5_T6_T7_T9_mT8_P12ihipStream_tbDpT10_ENKUlT_T0_E_clISt17integral_constantIbLb1EES1B_EEDaS16_S17_EUlS16_E_NS1_11comp_targetILNS1_3genE0ELNS1_11target_archE4294967295ELNS1_3gpuE0ELNS1_3repE0EEENS1_30default_config_static_selectorELNS0_4arch9wavefront6targetE0EEEvT1_: ; @_ZN7rocprim17ROCPRIM_400000_NS6detail17trampoline_kernelINS0_14default_configENS1_25partition_config_selectorILNS1_17partition_subalgoE5EdNS0_10empty_typeEbEEZZNS1_14partition_implILS5_5ELb0ES3_mN6thrust23THRUST_200600_302600_NS6detail15normal_iteratorINSA_10device_ptrIdEEEEPS6_NSA_18transform_iteratorINSB_9not_fun_tINSA_8identityIdEEEESF_NSA_11use_defaultESM_EENS0_5tupleIJSF_S6_EEENSO_IJSG_SG_EEES6_PlJS6_EEE10hipError_tPvRmT3_T4_T5_T6_T7_T9_mT8_P12ihipStream_tbDpT10_ENKUlT_T0_E_clISt17integral_constantIbLb1EES1B_EEDaS16_S17_EUlS16_E_NS1_11comp_targetILNS1_3genE0ELNS1_11target_archE4294967295ELNS1_3gpuE0ELNS1_3repE0EEENS1_30default_config_static_selectorELNS0_4arch9wavefront6targetE0EEEvT1_
; %bb.0:
	.section	.rodata,"a",@progbits
	.p2align	6, 0x0
	.amdhsa_kernel _ZN7rocprim17ROCPRIM_400000_NS6detail17trampoline_kernelINS0_14default_configENS1_25partition_config_selectorILNS1_17partition_subalgoE5EdNS0_10empty_typeEbEEZZNS1_14partition_implILS5_5ELb0ES3_mN6thrust23THRUST_200600_302600_NS6detail15normal_iteratorINSA_10device_ptrIdEEEEPS6_NSA_18transform_iteratorINSB_9not_fun_tINSA_8identityIdEEEESF_NSA_11use_defaultESM_EENS0_5tupleIJSF_S6_EEENSO_IJSG_SG_EEES6_PlJS6_EEE10hipError_tPvRmT3_T4_T5_T6_T7_T9_mT8_P12ihipStream_tbDpT10_ENKUlT_T0_E_clISt17integral_constantIbLb1EES1B_EEDaS16_S17_EUlS16_E_NS1_11comp_targetILNS1_3genE0ELNS1_11target_archE4294967295ELNS1_3gpuE0ELNS1_3repE0EEENS1_30default_config_static_selectorELNS0_4arch9wavefront6targetE0EEEvT1_
		.amdhsa_group_segment_fixed_size 0
		.amdhsa_private_segment_fixed_size 0
		.amdhsa_kernarg_size 136
		.amdhsa_user_sgpr_count 2
		.amdhsa_user_sgpr_dispatch_ptr 0
		.amdhsa_user_sgpr_queue_ptr 0
		.amdhsa_user_sgpr_kernarg_segment_ptr 1
		.amdhsa_user_sgpr_dispatch_id 0
		.amdhsa_user_sgpr_private_segment_size 0
		.amdhsa_wavefront_size32 1
		.amdhsa_uses_dynamic_stack 0
		.amdhsa_enable_private_segment 0
		.amdhsa_system_sgpr_workgroup_id_x 1
		.amdhsa_system_sgpr_workgroup_id_y 0
		.amdhsa_system_sgpr_workgroup_id_z 0
		.amdhsa_system_sgpr_workgroup_info 0
		.amdhsa_system_vgpr_workitem_id 0
		.amdhsa_next_free_vgpr 1
		.amdhsa_next_free_sgpr 1
		.amdhsa_reserve_vcc 0
		.amdhsa_float_round_mode_32 0
		.amdhsa_float_round_mode_16_64 0
		.amdhsa_float_denorm_mode_32 3
		.amdhsa_float_denorm_mode_16_64 3
		.amdhsa_fp16_overflow 0
		.amdhsa_workgroup_processor_mode 1
		.amdhsa_memory_ordered 1
		.amdhsa_forward_progress 1
		.amdhsa_inst_pref_size 0
		.amdhsa_round_robin_scheduling 0
		.amdhsa_exception_fp_ieee_invalid_op 0
		.amdhsa_exception_fp_denorm_src 0
		.amdhsa_exception_fp_ieee_div_zero 0
		.amdhsa_exception_fp_ieee_overflow 0
		.amdhsa_exception_fp_ieee_underflow 0
		.amdhsa_exception_fp_ieee_inexact 0
		.amdhsa_exception_int_div_zero 0
	.end_amdhsa_kernel
	.section	.text._ZN7rocprim17ROCPRIM_400000_NS6detail17trampoline_kernelINS0_14default_configENS1_25partition_config_selectorILNS1_17partition_subalgoE5EdNS0_10empty_typeEbEEZZNS1_14partition_implILS5_5ELb0ES3_mN6thrust23THRUST_200600_302600_NS6detail15normal_iteratorINSA_10device_ptrIdEEEEPS6_NSA_18transform_iteratorINSB_9not_fun_tINSA_8identityIdEEEESF_NSA_11use_defaultESM_EENS0_5tupleIJSF_S6_EEENSO_IJSG_SG_EEES6_PlJS6_EEE10hipError_tPvRmT3_T4_T5_T6_T7_T9_mT8_P12ihipStream_tbDpT10_ENKUlT_T0_E_clISt17integral_constantIbLb1EES1B_EEDaS16_S17_EUlS16_E_NS1_11comp_targetILNS1_3genE0ELNS1_11target_archE4294967295ELNS1_3gpuE0ELNS1_3repE0EEENS1_30default_config_static_selectorELNS0_4arch9wavefront6targetE0EEEvT1_,"axG",@progbits,_ZN7rocprim17ROCPRIM_400000_NS6detail17trampoline_kernelINS0_14default_configENS1_25partition_config_selectorILNS1_17partition_subalgoE5EdNS0_10empty_typeEbEEZZNS1_14partition_implILS5_5ELb0ES3_mN6thrust23THRUST_200600_302600_NS6detail15normal_iteratorINSA_10device_ptrIdEEEEPS6_NSA_18transform_iteratorINSB_9not_fun_tINSA_8identityIdEEEESF_NSA_11use_defaultESM_EENS0_5tupleIJSF_S6_EEENSO_IJSG_SG_EEES6_PlJS6_EEE10hipError_tPvRmT3_T4_T5_T6_T7_T9_mT8_P12ihipStream_tbDpT10_ENKUlT_T0_E_clISt17integral_constantIbLb1EES1B_EEDaS16_S17_EUlS16_E_NS1_11comp_targetILNS1_3genE0ELNS1_11target_archE4294967295ELNS1_3gpuE0ELNS1_3repE0EEENS1_30default_config_static_selectorELNS0_4arch9wavefront6targetE0EEEvT1_,comdat
.Lfunc_end797:
	.size	_ZN7rocprim17ROCPRIM_400000_NS6detail17trampoline_kernelINS0_14default_configENS1_25partition_config_selectorILNS1_17partition_subalgoE5EdNS0_10empty_typeEbEEZZNS1_14partition_implILS5_5ELb0ES3_mN6thrust23THRUST_200600_302600_NS6detail15normal_iteratorINSA_10device_ptrIdEEEEPS6_NSA_18transform_iteratorINSB_9not_fun_tINSA_8identityIdEEEESF_NSA_11use_defaultESM_EENS0_5tupleIJSF_S6_EEENSO_IJSG_SG_EEES6_PlJS6_EEE10hipError_tPvRmT3_T4_T5_T6_T7_T9_mT8_P12ihipStream_tbDpT10_ENKUlT_T0_E_clISt17integral_constantIbLb1EES1B_EEDaS16_S17_EUlS16_E_NS1_11comp_targetILNS1_3genE0ELNS1_11target_archE4294967295ELNS1_3gpuE0ELNS1_3repE0EEENS1_30default_config_static_selectorELNS0_4arch9wavefront6targetE0EEEvT1_, .Lfunc_end797-_ZN7rocprim17ROCPRIM_400000_NS6detail17trampoline_kernelINS0_14default_configENS1_25partition_config_selectorILNS1_17partition_subalgoE5EdNS0_10empty_typeEbEEZZNS1_14partition_implILS5_5ELb0ES3_mN6thrust23THRUST_200600_302600_NS6detail15normal_iteratorINSA_10device_ptrIdEEEEPS6_NSA_18transform_iteratorINSB_9not_fun_tINSA_8identityIdEEEESF_NSA_11use_defaultESM_EENS0_5tupleIJSF_S6_EEENSO_IJSG_SG_EEES6_PlJS6_EEE10hipError_tPvRmT3_T4_T5_T6_T7_T9_mT8_P12ihipStream_tbDpT10_ENKUlT_T0_E_clISt17integral_constantIbLb1EES1B_EEDaS16_S17_EUlS16_E_NS1_11comp_targetILNS1_3genE0ELNS1_11target_archE4294967295ELNS1_3gpuE0ELNS1_3repE0EEENS1_30default_config_static_selectorELNS0_4arch9wavefront6targetE0EEEvT1_
                                        ; -- End function
	.set _ZN7rocprim17ROCPRIM_400000_NS6detail17trampoline_kernelINS0_14default_configENS1_25partition_config_selectorILNS1_17partition_subalgoE5EdNS0_10empty_typeEbEEZZNS1_14partition_implILS5_5ELb0ES3_mN6thrust23THRUST_200600_302600_NS6detail15normal_iteratorINSA_10device_ptrIdEEEEPS6_NSA_18transform_iteratorINSB_9not_fun_tINSA_8identityIdEEEESF_NSA_11use_defaultESM_EENS0_5tupleIJSF_S6_EEENSO_IJSG_SG_EEES6_PlJS6_EEE10hipError_tPvRmT3_T4_T5_T6_T7_T9_mT8_P12ihipStream_tbDpT10_ENKUlT_T0_E_clISt17integral_constantIbLb1EES1B_EEDaS16_S17_EUlS16_E_NS1_11comp_targetILNS1_3genE0ELNS1_11target_archE4294967295ELNS1_3gpuE0ELNS1_3repE0EEENS1_30default_config_static_selectorELNS0_4arch9wavefront6targetE0EEEvT1_.num_vgpr, 0
	.set _ZN7rocprim17ROCPRIM_400000_NS6detail17trampoline_kernelINS0_14default_configENS1_25partition_config_selectorILNS1_17partition_subalgoE5EdNS0_10empty_typeEbEEZZNS1_14partition_implILS5_5ELb0ES3_mN6thrust23THRUST_200600_302600_NS6detail15normal_iteratorINSA_10device_ptrIdEEEEPS6_NSA_18transform_iteratorINSB_9not_fun_tINSA_8identityIdEEEESF_NSA_11use_defaultESM_EENS0_5tupleIJSF_S6_EEENSO_IJSG_SG_EEES6_PlJS6_EEE10hipError_tPvRmT3_T4_T5_T6_T7_T9_mT8_P12ihipStream_tbDpT10_ENKUlT_T0_E_clISt17integral_constantIbLb1EES1B_EEDaS16_S17_EUlS16_E_NS1_11comp_targetILNS1_3genE0ELNS1_11target_archE4294967295ELNS1_3gpuE0ELNS1_3repE0EEENS1_30default_config_static_selectorELNS0_4arch9wavefront6targetE0EEEvT1_.num_agpr, 0
	.set _ZN7rocprim17ROCPRIM_400000_NS6detail17trampoline_kernelINS0_14default_configENS1_25partition_config_selectorILNS1_17partition_subalgoE5EdNS0_10empty_typeEbEEZZNS1_14partition_implILS5_5ELb0ES3_mN6thrust23THRUST_200600_302600_NS6detail15normal_iteratorINSA_10device_ptrIdEEEEPS6_NSA_18transform_iteratorINSB_9not_fun_tINSA_8identityIdEEEESF_NSA_11use_defaultESM_EENS0_5tupleIJSF_S6_EEENSO_IJSG_SG_EEES6_PlJS6_EEE10hipError_tPvRmT3_T4_T5_T6_T7_T9_mT8_P12ihipStream_tbDpT10_ENKUlT_T0_E_clISt17integral_constantIbLb1EES1B_EEDaS16_S17_EUlS16_E_NS1_11comp_targetILNS1_3genE0ELNS1_11target_archE4294967295ELNS1_3gpuE0ELNS1_3repE0EEENS1_30default_config_static_selectorELNS0_4arch9wavefront6targetE0EEEvT1_.numbered_sgpr, 0
	.set _ZN7rocprim17ROCPRIM_400000_NS6detail17trampoline_kernelINS0_14default_configENS1_25partition_config_selectorILNS1_17partition_subalgoE5EdNS0_10empty_typeEbEEZZNS1_14partition_implILS5_5ELb0ES3_mN6thrust23THRUST_200600_302600_NS6detail15normal_iteratorINSA_10device_ptrIdEEEEPS6_NSA_18transform_iteratorINSB_9not_fun_tINSA_8identityIdEEEESF_NSA_11use_defaultESM_EENS0_5tupleIJSF_S6_EEENSO_IJSG_SG_EEES6_PlJS6_EEE10hipError_tPvRmT3_T4_T5_T6_T7_T9_mT8_P12ihipStream_tbDpT10_ENKUlT_T0_E_clISt17integral_constantIbLb1EES1B_EEDaS16_S17_EUlS16_E_NS1_11comp_targetILNS1_3genE0ELNS1_11target_archE4294967295ELNS1_3gpuE0ELNS1_3repE0EEENS1_30default_config_static_selectorELNS0_4arch9wavefront6targetE0EEEvT1_.num_named_barrier, 0
	.set _ZN7rocprim17ROCPRIM_400000_NS6detail17trampoline_kernelINS0_14default_configENS1_25partition_config_selectorILNS1_17partition_subalgoE5EdNS0_10empty_typeEbEEZZNS1_14partition_implILS5_5ELb0ES3_mN6thrust23THRUST_200600_302600_NS6detail15normal_iteratorINSA_10device_ptrIdEEEEPS6_NSA_18transform_iteratorINSB_9not_fun_tINSA_8identityIdEEEESF_NSA_11use_defaultESM_EENS0_5tupleIJSF_S6_EEENSO_IJSG_SG_EEES6_PlJS6_EEE10hipError_tPvRmT3_T4_T5_T6_T7_T9_mT8_P12ihipStream_tbDpT10_ENKUlT_T0_E_clISt17integral_constantIbLb1EES1B_EEDaS16_S17_EUlS16_E_NS1_11comp_targetILNS1_3genE0ELNS1_11target_archE4294967295ELNS1_3gpuE0ELNS1_3repE0EEENS1_30default_config_static_selectorELNS0_4arch9wavefront6targetE0EEEvT1_.private_seg_size, 0
	.set _ZN7rocprim17ROCPRIM_400000_NS6detail17trampoline_kernelINS0_14default_configENS1_25partition_config_selectorILNS1_17partition_subalgoE5EdNS0_10empty_typeEbEEZZNS1_14partition_implILS5_5ELb0ES3_mN6thrust23THRUST_200600_302600_NS6detail15normal_iteratorINSA_10device_ptrIdEEEEPS6_NSA_18transform_iteratorINSB_9not_fun_tINSA_8identityIdEEEESF_NSA_11use_defaultESM_EENS0_5tupleIJSF_S6_EEENSO_IJSG_SG_EEES6_PlJS6_EEE10hipError_tPvRmT3_T4_T5_T6_T7_T9_mT8_P12ihipStream_tbDpT10_ENKUlT_T0_E_clISt17integral_constantIbLb1EES1B_EEDaS16_S17_EUlS16_E_NS1_11comp_targetILNS1_3genE0ELNS1_11target_archE4294967295ELNS1_3gpuE0ELNS1_3repE0EEENS1_30default_config_static_selectorELNS0_4arch9wavefront6targetE0EEEvT1_.uses_vcc, 0
	.set _ZN7rocprim17ROCPRIM_400000_NS6detail17trampoline_kernelINS0_14default_configENS1_25partition_config_selectorILNS1_17partition_subalgoE5EdNS0_10empty_typeEbEEZZNS1_14partition_implILS5_5ELb0ES3_mN6thrust23THRUST_200600_302600_NS6detail15normal_iteratorINSA_10device_ptrIdEEEEPS6_NSA_18transform_iteratorINSB_9not_fun_tINSA_8identityIdEEEESF_NSA_11use_defaultESM_EENS0_5tupleIJSF_S6_EEENSO_IJSG_SG_EEES6_PlJS6_EEE10hipError_tPvRmT3_T4_T5_T6_T7_T9_mT8_P12ihipStream_tbDpT10_ENKUlT_T0_E_clISt17integral_constantIbLb1EES1B_EEDaS16_S17_EUlS16_E_NS1_11comp_targetILNS1_3genE0ELNS1_11target_archE4294967295ELNS1_3gpuE0ELNS1_3repE0EEENS1_30default_config_static_selectorELNS0_4arch9wavefront6targetE0EEEvT1_.uses_flat_scratch, 0
	.set _ZN7rocprim17ROCPRIM_400000_NS6detail17trampoline_kernelINS0_14default_configENS1_25partition_config_selectorILNS1_17partition_subalgoE5EdNS0_10empty_typeEbEEZZNS1_14partition_implILS5_5ELb0ES3_mN6thrust23THRUST_200600_302600_NS6detail15normal_iteratorINSA_10device_ptrIdEEEEPS6_NSA_18transform_iteratorINSB_9not_fun_tINSA_8identityIdEEEESF_NSA_11use_defaultESM_EENS0_5tupleIJSF_S6_EEENSO_IJSG_SG_EEES6_PlJS6_EEE10hipError_tPvRmT3_T4_T5_T6_T7_T9_mT8_P12ihipStream_tbDpT10_ENKUlT_T0_E_clISt17integral_constantIbLb1EES1B_EEDaS16_S17_EUlS16_E_NS1_11comp_targetILNS1_3genE0ELNS1_11target_archE4294967295ELNS1_3gpuE0ELNS1_3repE0EEENS1_30default_config_static_selectorELNS0_4arch9wavefront6targetE0EEEvT1_.has_dyn_sized_stack, 0
	.set _ZN7rocprim17ROCPRIM_400000_NS6detail17trampoline_kernelINS0_14default_configENS1_25partition_config_selectorILNS1_17partition_subalgoE5EdNS0_10empty_typeEbEEZZNS1_14partition_implILS5_5ELb0ES3_mN6thrust23THRUST_200600_302600_NS6detail15normal_iteratorINSA_10device_ptrIdEEEEPS6_NSA_18transform_iteratorINSB_9not_fun_tINSA_8identityIdEEEESF_NSA_11use_defaultESM_EENS0_5tupleIJSF_S6_EEENSO_IJSG_SG_EEES6_PlJS6_EEE10hipError_tPvRmT3_T4_T5_T6_T7_T9_mT8_P12ihipStream_tbDpT10_ENKUlT_T0_E_clISt17integral_constantIbLb1EES1B_EEDaS16_S17_EUlS16_E_NS1_11comp_targetILNS1_3genE0ELNS1_11target_archE4294967295ELNS1_3gpuE0ELNS1_3repE0EEENS1_30default_config_static_selectorELNS0_4arch9wavefront6targetE0EEEvT1_.has_recursion, 0
	.set _ZN7rocprim17ROCPRIM_400000_NS6detail17trampoline_kernelINS0_14default_configENS1_25partition_config_selectorILNS1_17partition_subalgoE5EdNS0_10empty_typeEbEEZZNS1_14partition_implILS5_5ELb0ES3_mN6thrust23THRUST_200600_302600_NS6detail15normal_iteratorINSA_10device_ptrIdEEEEPS6_NSA_18transform_iteratorINSB_9not_fun_tINSA_8identityIdEEEESF_NSA_11use_defaultESM_EENS0_5tupleIJSF_S6_EEENSO_IJSG_SG_EEES6_PlJS6_EEE10hipError_tPvRmT3_T4_T5_T6_T7_T9_mT8_P12ihipStream_tbDpT10_ENKUlT_T0_E_clISt17integral_constantIbLb1EES1B_EEDaS16_S17_EUlS16_E_NS1_11comp_targetILNS1_3genE0ELNS1_11target_archE4294967295ELNS1_3gpuE0ELNS1_3repE0EEENS1_30default_config_static_selectorELNS0_4arch9wavefront6targetE0EEEvT1_.has_indirect_call, 0
	.section	.AMDGPU.csdata,"",@progbits
; Kernel info:
; codeLenInByte = 0
; TotalNumSgprs: 0
; NumVgprs: 0
; ScratchSize: 0
; MemoryBound: 0
; FloatMode: 240
; IeeeMode: 1
; LDSByteSize: 0 bytes/workgroup (compile time only)
; SGPRBlocks: 0
; VGPRBlocks: 0
; NumSGPRsForWavesPerEU: 1
; NumVGPRsForWavesPerEU: 1
; Occupancy: 16
; WaveLimiterHint : 0
; COMPUTE_PGM_RSRC2:SCRATCH_EN: 0
; COMPUTE_PGM_RSRC2:USER_SGPR: 2
; COMPUTE_PGM_RSRC2:TRAP_HANDLER: 0
; COMPUTE_PGM_RSRC2:TGID_X_EN: 1
; COMPUTE_PGM_RSRC2:TGID_Y_EN: 0
; COMPUTE_PGM_RSRC2:TGID_Z_EN: 0
; COMPUTE_PGM_RSRC2:TIDIG_COMP_CNT: 0
	.section	.text._ZN7rocprim17ROCPRIM_400000_NS6detail17trampoline_kernelINS0_14default_configENS1_25partition_config_selectorILNS1_17partition_subalgoE5EdNS0_10empty_typeEbEEZZNS1_14partition_implILS5_5ELb0ES3_mN6thrust23THRUST_200600_302600_NS6detail15normal_iteratorINSA_10device_ptrIdEEEEPS6_NSA_18transform_iteratorINSB_9not_fun_tINSA_8identityIdEEEESF_NSA_11use_defaultESM_EENS0_5tupleIJSF_S6_EEENSO_IJSG_SG_EEES6_PlJS6_EEE10hipError_tPvRmT3_T4_T5_T6_T7_T9_mT8_P12ihipStream_tbDpT10_ENKUlT_T0_E_clISt17integral_constantIbLb1EES1B_EEDaS16_S17_EUlS16_E_NS1_11comp_targetILNS1_3genE5ELNS1_11target_archE942ELNS1_3gpuE9ELNS1_3repE0EEENS1_30default_config_static_selectorELNS0_4arch9wavefront6targetE0EEEvT1_,"axG",@progbits,_ZN7rocprim17ROCPRIM_400000_NS6detail17trampoline_kernelINS0_14default_configENS1_25partition_config_selectorILNS1_17partition_subalgoE5EdNS0_10empty_typeEbEEZZNS1_14partition_implILS5_5ELb0ES3_mN6thrust23THRUST_200600_302600_NS6detail15normal_iteratorINSA_10device_ptrIdEEEEPS6_NSA_18transform_iteratorINSB_9not_fun_tINSA_8identityIdEEEESF_NSA_11use_defaultESM_EENS0_5tupleIJSF_S6_EEENSO_IJSG_SG_EEES6_PlJS6_EEE10hipError_tPvRmT3_T4_T5_T6_T7_T9_mT8_P12ihipStream_tbDpT10_ENKUlT_T0_E_clISt17integral_constantIbLb1EES1B_EEDaS16_S17_EUlS16_E_NS1_11comp_targetILNS1_3genE5ELNS1_11target_archE942ELNS1_3gpuE9ELNS1_3repE0EEENS1_30default_config_static_selectorELNS0_4arch9wavefront6targetE0EEEvT1_,comdat
	.protected	_ZN7rocprim17ROCPRIM_400000_NS6detail17trampoline_kernelINS0_14default_configENS1_25partition_config_selectorILNS1_17partition_subalgoE5EdNS0_10empty_typeEbEEZZNS1_14partition_implILS5_5ELb0ES3_mN6thrust23THRUST_200600_302600_NS6detail15normal_iteratorINSA_10device_ptrIdEEEEPS6_NSA_18transform_iteratorINSB_9not_fun_tINSA_8identityIdEEEESF_NSA_11use_defaultESM_EENS0_5tupleIJSF_S6_EEENSO_IJSG_SG_EEES6_PlJS6_EEE10hipError_tPvRmT3_T4_T5_T6_T7_T9_mT8_P12ihipStream_tbDpT10_ENKUlT_T0_E_clISt17integral_constantIbLb1EES1B_EEDaS16_S17_EUlS16_E_NS1_11comp_targetILNS1_3genE5ELNS1_11target_archE942ELNS1_3gpuE9ELNS1_3repE0EEENS1_30default_config_static_selectorELNS0_4arch9wavefront6targetE0EEEvT1_ ; -- Begin function _ZN7rocprim17ROCPRIM_400000_NS6detail17trampoline_kernelINS0_14default_configENS1_25partition_config_selectorILNS1_17partition_subalgoE5EdNS0_10empty_typeEbEEZZNS1_14partition_implILS5_5ELb0ES3_mN6thrust23THRUST_200600_302600_NS6detail15normal_iteratorINSA_10device_ptrIdEEEEPS6_NSA_18transform_iteratorINSB_9not_fun_tINSA_8identityIdEEEESF_NSA_11use_defaultESM_EENS0_5tupleIJSF_S6_EEENSO_IJSG_SG_EEES6_PlJS6_EEE10hipError_tPvRmT3_T4_T5_T6_T7_T9_mT8_P12ihipStream_tbDpT10_ENKUlT_T0_E_clISt17integral_constantIbLb1EES1B_EEDaS16_S17_EUlS16_E_NS1_11comp_targetILNS1_3genE5ELNS1_11target_archE942ELNS1_3gpuE9ELNS1_3repE0EEENS1_30default_config_static_selectorELNS0_4arch9wavefront6targetE0EEEvT1_
	.globl	_ZN7rocprim17ROCPRIM_400000_NS6detail17trampoline_kernelINS0_14default_configENS1_25partition_config_selectorILNS1_17partition_subalgoE5EdNS0_10empty_typeEbEEZZNS1_14partition_implILS5_5ELb0ES3_mN6thrust23THRUST_200600_302600_NS6detail15normal_iteratorINSA_10device_ptrIdEEEEPS6_NSA_18transform_iteratorINSB_9not_fun_tINSA_8identityIdEEEESF_NSA_11use_defaultESM_EENS0_5tupleIJSF_S6_EEENSO_IJSG_SG_EEES6_PlJS6_EEE10hipError_tPvRmT3_T4_T5_T6_T7_T9_mT8_P12ihipStream_tbDpT10_ENKUlT_T0_E_clISt17integral_constantIbLb1EES1B_EEDaS16_S17_EUlS16_E_NS1_11comp_targetILNS1_3genE5ELNS1_11target_archE942ELNS1_3gpuE9ELNS1_3repE0EEENS1_30default_config_static_selectorELNS0_4arch9wavefront6targetE0EEEvT1_
	.p2align	8
	.type	_ZN7rocprim17ROCPRIM_400000_NS6detail17trampoline_kernelINS0_14default_configENS1_25partition_config_selectorILNS1_17partition_subalgoE5EdNS0_10empty_typeEbEEZZNS1_14partition_implILS5_5ELb0ES3_mN6thrust23THRUST_200600_302600_NS6detail15normal_iteratorINSA_10device_ptrIdEEEEPS6_NSA_18transform_iteratorINSB_9not_fun_tINSA_8identityIdEEEESF_NSA_11use_defaultESM_EENS0_5tupleIJSF_S6_EEENSO_IJSG_SG_EEES6_PlJS6_EEE10hipError_tPvRmT3_T4_T5_T6_T7_T9_mT8_P12ihipStream_tbDpT10_ENKUlT_T0_E_clISt17integral_constantIbLb1EES1B_EEDaS16_S17_EUlS16_E_NS1_11comp_targetILNS1_3genE5ELNS1_11target_archE942ELNS1_3gpuE9ELNS1_3repE0EEENS1_30default_config_static_selectorELNS0_4arch9wavefront6targetE0EEEvT1_,@function
_ZN7rocprim17ROCPRIM_400000_NS6detail17trampoline_kernelINS0_14default_configENS1_25partition_config_selectorILNS1_17partition_subalgoE5EdNS0_10empty_typeEbEEZZNS1_14partition_implILS5_5ELb0ES3_mN6thrust23THRUST_200600_302600_NS6detail15normal_iteratorINSA_10device_ptrIdEEEEPS6_NSA_18transform_iteratorINSB_9not_fun_tINSA_8identityIdEEEESF_NSA_11use_defaultESM_EENS0_5tupleIJSF_S6_EEENSO_IJSG_SG_EEES6_PlJS6_EEE10hipError_tPvRmT3_T4_T5_T6_T7_T9_mT8_P12ihipStream_tbDpT10_ENKUlT_T0_E_clISt17integral_constantIbLb1EES1B_EEDaS16_S17_EUlS16_E_NS1_11comp_targetILNS1_3genE5ELNS1_11target_archE942ELNS1_3gpuE9ELNS1_3repE0EEENS1_30default_config_static_selectorELNS0_4arch9wavefront6targetE0EEEvT1_: ; @_ZN7rocprim17ROCPRIM_400000_NS6detail17trampoline_kernelINS0_14default_configENS1_25partition_config_selectorILNS1_17partition_subalgoE5EdNS0_10empty_typeEbEEZZNS1_14partition_implILS5_5ELb0ES3_mN6thrust23THRUST_200600_302600_NS6detail15normal_iteratorINSA_10device_ptrIdEEEEPS6_NSA_18transform_iteratorINSB_9not_fun_tINSA_8identityIdEEEESF_NSA_11use_defaultESM_EENS0_5tupleIJSF_S6_EEENSO_IJSG_SG_EEES6_PlJS6_EEE10hipError_tPvRmT3_T4_T5_T6_T7_T9_mT8_P12ihipStream_tbDpT10_ENKUlT_T0_E_clISt17integral_constantIbLb1EES1B_EEDaS16_S17_EUlS16_E_NS1_11comp_targetILNS1_3genE5ELNS1_11target_archE942ELNS1_3gpuE9ELNS1_3repE0EEENS1_30default_config_static_selectorELNS0_4arch9wavefront6targetE0EEEvT1_
; %bb.0:
	.section	.rodata,"a",@progbits
	.p2align	6, 0x0
	.amdhsa_kernel _ZN7rocprim17ROCPRIM_400000_NS6detail17trampoline_kernelINS0_14default_configENS1_25partition_config_selectorILNS1_17partition_subalgoE5EdNS0_10empty_typeEbEEZZNS1_14partition_implILS5_5ELb0ES3_mN6thrust23THRUST_200600_302600_NS6detail15normal_iteratorINSA_10device_ptrIdEEEEPS6_NSA_18transform_iteratorINSB_9not_fun_tINSA_8identityIdEEEESF_NSA_11use_defaultESM_EENS0_5tupleIJSF_S6_EEENSO_IJSG_SG_EEES6_PlJS6_EEE10hipError_tPvRmT3_T4_T5_T6_T7_T9_mT8_P12ihipStream_tbDpT10_ENKUlT_T0_E_clISt17integral_constantIbLb1EES1B_EEDaS16_S17_EUlS16_E_NS1_11comp_targetILNS1_3genE5ELNS1_11target_archE942ELNS1_3gpuE9ELNS1_3repE0EEENS1_30default_config_static_selectorELNS0_4arch9wavefront6targetE0EEEvT1_
		.amdhsa_group_segment_fixed_size 0
		.amdhsa_private_segment_fixed_size 0
		.amdhsa_kernarg_size 136
		.amdhsa_user_sgpr_count 2
		.amdhsa_user_sgpr_dispatch_ptr 0
		.amdhsa_user_sgpr_queue_ptr 0
		.amdhsa_user_sgpr_kernarg_segment_ptr 1
		.amdhsa_user_sgpr_dispatch_id 0
		.amdhsa_user_sgpr_private_segment_size 0
		.amdhsa_wavefront_size32 1
		.amdhsa_uses_dynamic_stack 0
		.amdhsa_enable_private_segment 0
		.amdhsa_system_sgpr_workgroup_id_x 1
		.amdhsa_system_sgpr_workgroup_id_y 0
		.amdhsa_system_sgpr_workgroup_id_z 0
		.amdhsa_system_sgpr_workgroup_info 0
		.amdhsa_system_vgpr_workitem_id 0
		.amdhsa_next_free_vgpr 1
		.amdhsa_next_free_sgpr 1
		.amdhsa_reserve_vcc 0
		.amdhsa_float_round_mode_32 0
		.amdhsa_float_round_mode_16_64 0
		.amdhsa_float_denorm_mode_32 3
		.amdhsa_float_denorm_mode_16_64 3
		.amdhsa_fp16_overflow 0
		.amdhsa_workgroup_processor_mode 1
		.amdhsa_memory_ordered 1
		.amdhsa_forward_progress 1
		.amdhsa_inst_pref_size 0
		.amdhsa_round_robin_scheduling 0
		.amdhsa_exception_fp_ieee_invalid_op 0
		.amdhsa_exception_fp_denorm_src 0
		.amdhsa_exception_fp_ieee_div_zero 0
		.amdhsa_exception_fp_ieee_overflow 0
		.amdhsa_exception_fp_ieee_underflow 0
		.amdhsa_exception_fp_ieee_inexact 0
		.amdhsa_exception_int_div_zero 0
	.end_amdhsa_kernel
	.section	.text._ZN7rocprim17ROCPRIM_400000_NS6detail17trampoline_kernelINS0_14default_configENS1_25partition_config_selectorILNS1_17partition_subalgoE5EdNS0_10empty_typeEbEEZZNS1_14partition_implILS5_5ELb0ES3_mN6thrust23THRUST_200600_302600_NS6detail15normal_iteratorINSA_10device_ptrIdEEEEPS6_NSA_18transform_iteratorINSB_9not_fun_tINSA_8identityIdEEEESF_NSA_11use_defaultESM_EENS0_5tupleIJSF_S6_EEENSO_IJSG_SG_EEES6_PlJS6_EEE10hipError_tPvRmT3_T4_T5_T6_T7_T9_mT8_P12ihipStream_tbDpT10_ENKUlT_T0_E_clISt17integral_constantIbLb1EES1B_EEDaS16_S17_EUlS16_E_NS1_11comp_targetILNS1_3genE5ELNS1_11target_archE942ELNS1_3gpuE9ELNS1_3repE0EEENS1_30default_config_static_selectorELNS0_4arch9wavefront6targetE0EEEvT1_,"axG",@progbits,_ZN7rocprim17ROCPRIM_400000_NS6detail17trampoline_kernelINS0_14default_configENS1_25partition_config_selectorILNS1_17partition_subalgoE5EdNS0_10empty_typeEbEEZZNS1_14partition_implILS5_5ELb0ES3_mN6thrust23THRUST_200600_302600_NS6detail15normal_iteratorINSA_10device_ptrIdEEEEPS6_NSA_18transform_iteratorINSB_9not_fun_tINSA_8identityIdEEEESF_NSA_11use_defaultESM_EENS0_5tupleIJSF_S6_EEENSO_IJSG_SG_EEES6_PlJS6_EEE10hipError_tPvRmT3_T4_T5_T6_T7_T9_mT8_P12ihipStream_tbDpT10_ENKUlT_T0_E_clISt17integral_constantIbLb1EES1B_EEDaS16_S17_EUlS16_E_NS1_11comp_targetILNS1_3genE5ELNS1_11target_archE942ELNS1_3gpuE9ELNS1_3repE0EEENS1_30default_config_static_selectorELNS0_4arch9wavefront6targetE0EEEvT1_,comdat
.Lfunc_end798:
	.size	_ZN7rocprim17ROCPRIM_400000_NS6detail17trampoline_kernelINS0_14default_configENS1_25partition_config_selectorILNS1_17partition_subalgoE5EdNS0_10empty_typeEbEEZZNS1_14partition_implILS5_5ELb0ES3_mN6thrust23THRUST_200600_302600_NS6detail15normal_iteratorINSA_10device_ptrIdEEEEPS6_NSA_18transform_iteratorINSB_9not_fun_tINSA_8identityIdEEEESF_NSA_11use_defaultESM_EENS0_5tupleIJSF_S6_EEENSO_IJSG_SG_EEES6_PlJS6_EEE10hipError_tPvRmT3_T4_T5_T6_T7_T9_mT8_P12ihipStream_tbDpT10_ENKUlT_T0_E_clISt17integral_constantIbLb1EES1B_EEDaS16_S17_EUlS16_E_NS1_11comp_targetILNS1_3genE5ELNS1_11target_archE942ELNS1_3gpuE9ELNS1_3repE0EEENS1_30default_config_static_selectorELNS0_4arch9wavefront6targetE0EEEvT1_, .Lfunc_end798-_ZN7rocprim17ROCPRIM_400000_NS6detail17trampoline_kernelINS0_14default_configENS1_25partition_config_selectorILNS1_17partition_subalgoE5EdNS0_10empty_typeEbEEZZNS1_14partition_implILS5_5ELb0ES3_mN6thrust23THRUST_200600_302600_NS6detail15normal_iteratorINSA_10device_ptrIdEEEEPS6_NSA_18transform_iteratorINSB_9not_fun_tINSA_8identityIdEEEESF_NSA_11use_defaultESM_EENS0_5tupleIJSF_S6_EEENSO_IJSG_SG_EEES6_PlJS6_EEE10hipError_tPvRmT3_T4_T5_T6_T7_T9_mT8_P12ihipStream_tbDpT10_ENKUlT_T0_E_clISt17integral_constantIbLb1EES1B_EEDaS16_S17_EUlS16_E_NS1_11comp_targetILNS1_3genE5ELNS1_11target_archE942ELNS1_3gpuE9ELNS1_3repE0EEENS1_30default_config_static_selectorELNS0_4arch9wavefront6targetE0EEEvT1_
                                        ; -- End function
	.set _ZN7rocprim17ROCPRIM_400000_NS6detail17trampoline_kernelINS0_14default_configENS1_25partition_config_selectorILNS1_17partition_subalgoE5EdNS0_10empty_typeEbEEZZNS1_14partition_implILS5_5ELb0ES3_mN6thrust23THRUST_200600_302600_NS6detail15normal_iteratorINSA_10device_ptrIdEEEEPS6_NSA_18transform_iteratorINSB_9not_fun_tINSA_8identityIdEEEESF_NSA_11use_defaultESM_EENS0_5tupleIJSF_S6_EEENSO_IJSG_SG_EEES6_PlJS6_EEE10hipError_tPvRmT3_T4_T5_T6_T7_T9_mT8_P12ihipStream_tbDpT10_ENKUlT_T0_E_clISt17integral_constantIbLb1EES1B_EEDaS16_S17_EUlS16_E_NS1_11comp_targetILNS1_3genE5ELNS1_11target_archE942ELNS1_3gpuE9ELNS1_3repE0EEENS1_30default_config_static_selectorELNS0_4arch9wavefront6targetE0EEEvT1_.num_vgpr, 0
	.set _ZN7rocprim17ROCPRIM_400000_NS6detail17trampoline_kernelINS0_14default_configENS1_25partition_config_selectorILNS1_17partition_subalgoE5EdNS0_10empty_typeEbEEZZNS1_14partition_implILS5_5ELb0ES3_mN6thrust23THRUST_200600_302600_NS6detail15normal_iteratorINSA_10device_ptrIdEEEEPS6_NSA_18transform_iteratorINSB_9not_fun_tINSA_8identityIdEEEESF_NSA_11use_defaultESM_EENS0_5tupleIJSF_S6_EEENSO_IJSG_SG_EEES6_PlJS6_EEE10hipError_tPvRmT3_T4_T5_T6_T7_T9_mT8_P12ihipStream_tbDpT10_ENKUlT_T0_E_clISt17integral_constantIbLb1EES1B_EEDaS16_S17_EUlS16_E_NS1_11comp_targetILNS1_3genE5ELNS1_11target_archE942ELNS1_3gpuE9ELNS1_3repE0EEENS1_30default_config_static_selectorELNS0_4arch9wavefront6targetE0EEEvT1_.num_agpr, 0
	.set _ZN7rocprim17ROCPRIM_400000_NS6detail17trampoline_kernelINS0_14default_configENS1_25partition_config_selectorILNS1_17partition_subalgoE5EdNS0_10empty_typeEbEEZZNS1_14partition_implILS5_5ELb0ES3_mN6thrust23THRUST_200600_302600_NS6detail15normal_iteratorINSA_10device_ptrIdEEEEPS6_NSA_18transform_iteratorINSB_9not_fun_tINSA_8identityIdEEEESF_NSA_11use_defaultESM_EENS0_5tupleIJSF_S6_EEENSO_IJSG_SG_EEES6_PlJS6_EEE10hipError_tPvRmT3_T4_T5_T6_T7_T9_mT8_P12ihipStream_tbDpT10_ENKUlT_T0_E_clISt17integral_constantIbLb1EES1B_EEDaS16_S17_EUlS16_E_NS1_11comp_targetILNS1_3genE5ELNS1_11target_archE942ELNS1_3gpuE9ELNS1_3repE0EEENS1_30default_config_static_selectorELNS0_4arch9wavefront6targetE0EEEvT1_.numbered_sgpr, 0
	.set _ZN7rocprim17ROCPRIM_400000_NS6detail17trampoline_kernelINS0_14default_configENS1_25partition_config_selectorILNS1_17partition_subalgoE5EdNS0_10empty_typeEbEEZZNS1_14partition_implILS5_5ELb0ES3_mN6thrust23THRUST_200600_302600_NS6detail15normal_iteratorINSA_10device_ptrIdEEEEPS6_NSA_18transform_iteratorINSB_9not_fun_tINSA_8identityIdEEEESF_NSA_11use_defaultESM_EENS0_5tupleIJSF_S6_EEENSO_IJSG_SG_EEES6_PlJS6_EEE10hipError_tPvRmT3_T4_T5_T6_T7_T9_mT8_P12ihipStream_tbDpT10_ENKUlT_T0_E_clISt17integral_constantIbLb1EES1B_EEDaS16_S17_EUlS16_E_NS1_11comp_targetILNS1_3genE5ELNS1_11target_archE942ELNS1_3gpuE9ELNS1_3repE0EEENS1_30default_config_static_selectorELNS0_4arch9wavefront6targetE0EEEvT1_.num_named_barrier, 0
	.set _ZN7rocprim17ROCPRIM_400000_NS6detail17trampoline_kernelINS0_14default_configENS1_25partition_config_selectorILNS1_17partition_subalgoE5EdNS0_10empty_typeEbEEZZNS1_14partition_implILS5_5ELb0ES3_mN6thrust23THRUST_200600_302600_NS6detail15normal_iteratorINSA_10device_ptrIdEEEEPS6_NSA_18transform_iteratorINSB_9not_fun_tINSA_8identityIdEEEESF_NSA_11use_defaultESM_EENS0_5tupleIJSF_S6_EEENSO_IJSG_SG_EEES6_PlJS6_EEE10hipError_tPvRmT3_T4_T5_T6_T7_T9_mT8_P12ihipStream_tbDpT10_ENKUlT_T0_E_clISt17integral_constantIbLb1EES1B_EEDaS16_S17_EUlS16_E_NS1_11comp_targetILNS1_3genE5ELNS1_11target_archE942ELNS1_3gpuE9ELNS1_3repE0EEENS1_30default_config_static_selectorELNS0_4arch9wavefront6targetE0EEEvT1_.private_seg_size, 0
	.set _ZN7rocprim17ROCPRIM_400000_NS6detail17trampoline_kernelINS0_14default_configENS1_25partition_config_selectorILNS1_17partition_subalgoE5EdNS0_10empty_typeEbEEZZNS1_14partition_implILS5_5ELb0ES3_mN6thrust23THRUST_200600_302600_NS6detail15normal_iteratorINSA_10device_ptrIdEEEEPS6_NSA_18transform_iteratorINSB_9not_fun_tINSA_8identityIdEEEESF_NSA_11use_defaultESM_EENS0_5tupleIJSF_S6_EEENSO_IJSG_SG_EEES6_PlJS6_EEE10hipError_tPvRmT3_T4_T5_T6_T7_T9_mT8_P12ihipStream_tbDpT10_ENKUlT_T0_E_clISt17integral_constantIbLb1EES1B_EEDaS16_S17_EUlS16_E_NS1_11comp_targetILNS1_3genE5ELNS1_11target_archE942ELNS1_3gpuE9ELNS1_3repE0EEENS1_30default_config_static_selectorELNS0_4arch9wavefront6targetE0EEEvT1_.uses_vcc, 0
	.set _ZN7rocprim17ROCPRIM_400000_NS6detail17trampoline_kernelINS0_14default_configENS1_25partition_config_selectorILNS1_17partition_subalgoE5EdNS0_10empty_typeEbEEZZNS1_14partition_implILS5_5ELb0ES3_mN6thrust23THRUST_200600_302600_NS6detail15normal_iteratorINSA_10device_ptrIdEEEEPS6_NSA_18transform_iteratorINSB_9not_fun_tINSA_8identityIdEEEESF_NSA_11use_defaultESM_EENS0_5tupleIJSF_S6_EEENSO_IJSG_SG_EEES6_PlJS6_EEE10hipError_tPvRmT3_T4_T5_T6_T7_T9_mT8_P12ihipStream_tbDpT10_ENKUlT_T0_E_clISt17integral_constantIbLb1EES1B_EEDaS16_S17_EUlS16_E_NS1_11comp_targetILNS1_3genE5ELNS1_11target_archE942ELNS1_3gpuE9ELNS1_3repE0EEENS1_30default_config_static_selectorELNS0_4arch9wavefront6targetE0EEEvT1_.uses_flat_scratch, 0
	.set _ZN7rocprim17ROCPRIM_400000_NS6detail17trampoline_kernelINS0_14default_configENS1_25partition_config_selectorILNS1_17partition_subalgoE5EdNS0_10empty_typeEbEEZZNS1_14partition_implILS5_5ELb0ES3_mN6thrust23THRUST_200600_302600_NS6detail15normal_iteratorINSA_10device_ptrIdEEEEPS6_NSA_18transform_iteratorINSB_9not_fun_tINSA_8identityIdEEEESF_NSA_11use_defaultESM_EENS0_5tupleIJSF_S6_EEENSO_IJSG_SG_EEES6_PlJS6_EEE10hipError_tPvRmT3_T4_T5_T6_T7_T9_mT8_P12ihipStream_tbDpT10_ENKUlT_T0_E_clISt17integral_constantIbLb1EES1B_EEDaS16_S17_EUlS16_E_NS1_11comp_targetILNS1_3genE5ELNS1_11target_archE942ELNS1_3gpuE9ELNS1_3repE0EEENS1_30default_config_static_selectorELNS0_4arch9wavefront6targetE0EEEvT1_.has_dyn_sized_stack, 0
	.set _ZN7rocprim17ROCPRIM_400000_NS6detail17trampoline_kernelINS0_14default_configENS1_25partition_config_selectorILNS1_17partition_subalgoE5EdNS0_10empty_typeEbEEZZNS1_14partition_implILS5_5ELb0ES3_mN6thrust23THRUST_200600_302600_NS6detail15normal_iteratorINSA_10device_ptrIdEEEEPS6_NSA_18transform_iteratorINSB_9not_fun_tINSA_8identityIdEEEESF_NSA_11use_defaultESM_EENS0_5tupleIJSF_S6_EEENSO_IJSG_SG_EEES6_PlJS6_EEE10hipError_tPvRmT3_T4_T5_T6_T7_T9_mT8_P12ihipStream_tbDpT10_ENKUlT_T0_E_clISt17integral_constantIbLb1EES1B_EEDaS16_S17_EUlS16_E_NS1_11comp_targetILNS1_3genE5ELNS1_11target_archE942ELNS1_3gpuE9ELNS1_3repE0EEENS1_30default_config_static_selectorELNS0_4arch9wavefront6targetE0EEEvT1_.has_recursion, 0
	.set _ZN7rocprim17ROCPRIM_400000_NS6detail17trampoline_kernelINS0_14default_configENS1_25partition_config_selectorILNS1_17partition_subalgoE5EdNS0_10empty_typeEbEEZZNS1_14partition_implILS5_5ELb0ES3_mN6thrust23THRUST_200600_302600_NS6detail15normal_iteratorINSA_10device_ptrIdEEEEPS6_NSA_18transform_iteratorINSB_9not_fun_tINSA_8identityIdEEEESF_NSA_11use_defaultESM_EENS0_5tupleIJSF_S6_EEENSO_IJSG_SG_EEES6_PlJS6_EEE10hipError_tPvRmT3_T4_T5_T6_T7_T9_mT8_P12ihipStream_tbDpT10_ENKUlT_T0_E_clISt17integral_constantIbLb1EES1B_EEDaS16_S17_EUlS16_E_NS1_11comp_targetILNS1_3genE5ELNS1_11target_archE942ELNS1_3gpuE9ELNS1_3repE0EEENS1_30default_config_static_selectorELNS0_4arch9wavefront6targetE0EEEvT1_.has_indirect_call, 0
	.section	.AMDGPU.csdata,"",@progbits
; Kernel info:
; codeLenInByte = 0
; TotalNumSgprs: 0
; NumVgprs: 0
; ScratchSize: 0
; MemoryBound: 0
; FloatMode: 240
; IeeeMode: 1
; LDSByteSize: 0 bytes/workgroup (compile time only)
; SGPRBlocks: 0
; VGPRBlocks: 0
; NumSGPRsForWavesPerEU: 1
; NumVGPRsForWavesPerEU: 1
; Occupancy: 16
; WaveLimiterHint : 0
; COMPUTE_PGM_RSRC2:SCRATCH_EN: 0
; COMPUTE_PGM_RSRC2:USER_SGPR: 2
; COMPUTE_PGM_RSRC2:TRAP_HANDLER: 0
; COMPUTE_PGM_RSRC2:TGID_X_EN: 1
; COMPUTE_PGM_RSRC2:TGID_Y_EN: 0
; COMPUTE_PGM_RSRC2:TGID_Z_EN: 0
; COMPUTE_PGM_RSRC2:TIDIG_COMP_CNT: 0
	.section	.text._ZN7rocprim17ROCPRIM_400000_NS6detail17trampoline_kernelINS0_14default_configENS1_25partition_config_selectorILNS1_17partition_subalgoE5EdNS0_10empty_typeEbEEZZNS1_14partition_implILS5_5ELb0ES3_mN6thrust23THRUST_200600_302600_NS6detail15normal_iteratorINSA_10device_ptrIdEEEEPS6_NSA_18transform_iteratorINSB_9not_fun_tINSA_8identityIdEEEESF_NSA_11use_defaultESM_EENS0_5tupleIJSF_S6_EEENSO_IJSG_SG_EEES6_PlJS6_EEE10hipError_tPvRmT3_T4_T5_T6_T7_T9_mT8_P12ihipStream_tbDpT10_ENKUlT_T0_E_clISt17integral_constantIbLb1EES1B_EEDaS16_S17_EUlS16_E_NS1_11comp_targetILNS1_3genE4ELNS1_11target_archE910ELNS1_3gpuE8ELNS1_3repE0EEENS1_30default_config_static_selectorELNS0_4arch9wavefront6targetE0EEEvT1_,"axG",@progbits,_ZN7rocprim17ROCPRIM_400000_NS6detail17trampoline_kernelINS0_14default_configENS1_25partition_config_selectorILNS1_17partition_subalgoE5EdNS0_10empty_typeEbEEZZNS1_14partition_implILS5_5ELb0ES3_mN6thrust23THRUST_200600_302600_NS6detail15normal_iteratorINSA_10device_ptrIdEEEEPS6_NSA_18transform_iteratorINSB_9not_fun_tINSA_8identityIdEEEESF_NSA_11use_defaultESM_EENS0_5tupleIJSF_S6_EEENSO_IJSG_SG_EEES6_PlJS6_EEE10hipError_tPvRmT3_T4_T5_T6_T7_T9_mT8_P12ihipStream_tbDpT10_ENKUlT_T0_E_clISt17integral_constantIbLb1EES1B_EEDaS16_S17_EUlS16_E_NS1_11comp_targetILNS1_3genE4ELNS1_11target_archE910ELNS1_3gpuE8ELNS1_3repE0EEENS1_30default_config_static_selectorELNS0_4arch9wavefront6targetE0EEEvT1_,comdat
	.protected	_ZN7rocprim17ROCPRIM_400000_NS6detail17trampoline_kernelINS0_14default_configENS1_25partition_config_selectorILNS1_17partition_subalgoE5EdNS0_10empty_typeEbEEZZNS1_14partition_implILS5_5ELb0ES3_mN6thrust23THRUST_200600_302600_NS6detail15normal_iteratorINSA_10device_ptrIdEEEEPS6_NSA_18transform_iteratorINSB_9not_fun_tINSA_8identityIdEEEESF_NSA_11use_defaultESM_EENS0_5tupleIJSF_S6_EEENSO_IJSG_SG_EEES6_PlJS6_EEE10hipError_tPvRmT3_T4_T5_T6_T7_T9_mT8_P12ihipStream_tbDpT10_ENKUlT_T0_E_clISt17integral_constantIbLb1EES1B_EEDaS16_S17_EUlS16_E_NS1_11comp_targetILNS1_3genE4ELNS1_11target_archE910ELNS1_3gpuE8ELNS1_3repE0EEENS1_30default_config_static_selectorELNS0_4arch9wavefront6targetE0EEEvT1_ ; -- Begin function _ZN7rocprim17ROCPRIM_400000_NS6detail17trampoline_kernelINS0_14default_configENS1_25partition_config_selectorILNS1_17partition_subalgoE5EdNS0_10empty_typeEbEEZZNS1_14partition_implILS5_5ELb0ES3_mN6thrust23THRUST_200600_302600_NS6detail15normal_iteratorINSA_10device_ptrIdEEEEPS6_NSA_18transform_iteratorINSB_9not_fun_tINSA_8identityIdEEEESF_NSA_11use_defaultESM_EENS0_5tupleIJSF_S6_EEENSO_IJSG_SG_EEES6_PlJS6_EEE10hipError_tPvRmT3_T4_T5_T6_T7_T9_mT8_P12ihipStream_tbDpT10_ENKUlT_T0_E_clISt17integral_constantIbLb1EES1B_EEDaS16_S17_EUlS16_E_NS1_11comp_targetILNS1_3genE4ELNS1_11target_archE910ELNS1_3gpuE8ELNS1_3repE0EEENS1_30default_config_static_selectorELNS0_4arch9wavefront6targetE0EEEvT1_
	.globl	_ZN7rocprim17ROCPRIM_400000_NS6detail17trampoline_kernelINS0_14default_configENS1_25partition_config_selectorILNS1_17partition_subalgoE5EdNS0_10empty_typeEbEEZZNS1_14partition_implILS5_5ELb0ES3_mN6thrust23THRUST_200600_302600_NS6detail15normal_iteratorINSA_10device_ptrIdEEEEPS6_NSA_18transform_iteratorINSB_9not_fun_tINSA_8identityIdEEEESF_NSA_11use_defaultESM_EENS0_5tupleIJSF_S6_EEENSO_IJSG_SG_EEES6_PlJS6_EEE10hipError_tPvRmT3_T4_T5_T6_T7_T9_mT8_P12ihipStream_tbDpT10_ENKUlT_T0_E_clISt17integral_constantIbLb1EES1B_EEDaS16_S17_EUlS16_E_NS1_11comp_targetILNS1_3genE4ELNS1_11target_archE910ELNS1_3gpuE8ELNS1_3repE0EEENS1_30default_config_static_selectorELNS0_4arch9wavefront6targetE0EEEvT1_
	.p2align	8
	.type	_ZN7rocprim17ROCPRIM_400000_NS6detail17trampoline_kernelINS0_14default_configENS1_25partition_config_selectorILNS1_17partition_subalgoE5EdNS0_10empty_typeEbEEZZNS1_14partition_implILS5_5ELb0ES3_mN6thrust23THRUST_200600_302600_NS6detail15normal_iteratorINSA_10device_ptrIdEEEEPS6_NSA_18transform_iteratorINSB_9not_fun_tINSA_8identityIdEEEESF_NSA_11use_defaultESM_EENS0_5tupleIJSF_S6_EEENSO_IJSG_SG_EEES6_PlJS6_EEE10hipError_tPvRmT3_T4_T5_T6_T7_T9_mT8_P12ihipStream_tbDpT10_ENKUlT_T0_E_clISt17integral_constantIbLb1EES1B_EEDaS16_S17_EUlS16_E_NS1_11comp_targetILNS1_3genE4ELNS1_11target_archE910ELNS1_3gpuE8ELNS1_3repE0EEENS1_30default_config_static_selectorELNS0_4arch9wavefront6targetE0EEEvT1_,@function
_ZN7rocprim17ROCPRIM_400000_NS6detail17trampoline_kernelINS0_14default_configENS1_25partition_config_selectorILNS1_17partition_subalgoE5EdNS0_10empty_typeEbEEZZNS1_14partition_implILS5_5ELb0ES3_mN6thrust23THRUST_200600_302600_NS6detail15normal_iteratorINSA_10device_ptrIdEEEEPS6_NSA_18transform_iteratorINSB_9not_fun_tINSA_8identityIdEEEESF_NSA_11use_defaultESM_EENS0_5tupleIJSF_S6_EEENSO_IJSG_SG_EEES6_PlJS6_EEE10hipError_tPvRmT3_T4_T5_T6_T7_T9_mT8_P12ihipStream_tbDpT10_ENKUlT_T0_E_clISt17integral_constantIbLb1EES1B_EEDaS16_S17_EUlS16_E_NS1_11comp_targetILNS1_3genE4ELNS1_11target_archE910ELNS1_3gpuE8ELNS1_3repE0EEENS1_30default_config_static_selectorELNS0_4arch9wavefront6targetE0EEEvT1_: ; @_ZN7rocprim17ROCPRIM_400000_NS6detail17trampoline_kernelINS0_14default_configENS1_25partition_config_selectorILNS1_17partition_subalgoE5EdNS0_10empty_typeEbEEZZNS1_14partition_implILS5_5ELb0ES3_mN6thrust23THRUST_200600_302600_NS6detail15normal_iteratorINSA_10device_ptrIdEEEEPS6_NSA_18transform_iteratorINSB_9not_fun_tINSA_8identityIdEEEESF_NSA_11use_defaultESM_EENS0_5tupleIJSF_S6_EEENSO_IJSG_SG_EEES6_PlJS6_EEE10hipError_tPvRmT3_T4_T5_T6_T7_T9_mT8_P12ihipStream_tbDpT10_ENKUlT_T0_E_clISt17integral_constantIbLb1EES1B_EEDaS16_S17_EUlS16_E_NS1_11comp_targetILNS1_3genE4ELNS1_11target_archE910ELNS1_3gpuE8ELNS1_3repE0EEENS1_30default_config_static_selectorELNS0_4arch9wavefront6targetE0EEEvT1_
; %bb.0:
	.section	.rodata,"a",@progbits
	.p2align	6, 0x0
	.amdhsa_kernel _ZN7rocprim17ROCPRIM_400000_NS6detail17trampoline_kernelINS0_14default_configENS1_25partition_config_selectorILNS1_17partition_subalgoE5EdNS0_10empty_typeEbEEZZNS1_14partition_implILS5_5ELb0ES3_mN6thrust23THRUST_200600_302600_NS6detail15normal_iteratorINSA_10device_ptrIdEEEEPS6_NSA_18transform_iteratorINSB_9not_fun_tINSA_8identityIdEEEESF_NSA_11use_defaultESM_EENS0_5tupleIJSF_S6_EEENSO_IJSG_SG_EEES6_PlJS6_EEE10hipError_tPvRmT3_T4_T5_T6_T7_T9_mT8_P12ihipStream_tbDpT10_ENKUlT_T0_E_clISt17integral_constantIbLb1EES1B_EEDaS16_S17_EUlS16_E_NS1_11comp_targetILNS1_3genE4ELNS1_11target_archE910ELNS1_3gpuE8ELNS1_3repE0EEENS1_30default_config_static_selectorELNS0_4arch9wavefront6targetE0EEEvT1_
		.amdhsa_group_segment_fixed_size 0
		.amdhsa_private_segment_fixed_size 0
		.amdhsa_kernarg_size 136
		.amdhsa_user_sgpr_count 2
		.amdhsa_user_sgpr_dispatch_ptr 0
		.amdhsa_user_sgpr_queue_ptr 0
		.amdhsa_user_sgpr_kernarg_segment_ptr 1
		.amdhsa_user_sgpr_dispatch_id 0
		.amdhsa_user_sgpr_private_segment_size 0
		.amdhsa_wavefront_size32 1
		.amdhsa_uses_dynamic_stack 0
		.amdhsa_enable_private_segment 0
		.amdhsa_system_sgpr_workgroup_id_x 1
		.amdhsa_system_sgpr_workgroup_id_y 0
		.amdhsa_system_sgpr_workgroup_id_z 0
		.amdhsa_system_sgpr_workgroup_info 0
		.amdhsa_system_vgpr_workitem_id 0
		.amdhsa_next_free_vgpr 1
		.amdhsa_next_free_sgpr 1
		.amdhsa_reserve_vcc 0
		.amdhsa_float_round_mode_32 0
		.amdhsa_float_round_mode_16_64 0
		.amdhsa_float_denorm_mode_32 3
		.amdhsa_float_denorm_mode_16_64 3
		.amdhsa_fp16_overflow 0
		.amdhsa_workgroup_processor_mode 1
		.amdhsa_memory_ordered 1
		.amdhsa_forward_progress 1
		.amdhsa_inst_pref_size 0
		.amdhsa_round_robin_scheduling 0
		.amdhsa_exception_fp_ieee_invalid_op 0
		.amdhsa_exception_fp_denorm_src 0
		.amdhsa_exception_fp_ieee_div_zero 0
		.amdhsa_exception_fp_ieee_overflow 0
		.amdhsa_exception_fp_ieee_underflow 0
		.amdhsa_exception_fp_ieee_inexact 0
		.amdhsa_exception_int_div_zero 0
	.end_amdhsa_kernel
	.section	.text._ZN7rocprim17ROCPRIM_400000_NS6detail17trampoline_kernelINS0_14default_configENS1_25partition_config_selectorILNS1_17partition_subalgoE5EdNS0_10empty_typeEbEEZZNS1_14partition_implILS5_5ELb0ES3_mN6thrust23THRUST_200600_302600_NS6detail15normal_iteratorINSA_10device_ptrIdEEEEPS6_NSA_18transform_iteratorINSB_9not_fun_tINSA_8identityIdEEEESF_NSA_11use_defaultESM_EENS0_5tupleIJSF_S6_EEENSO_IJSG_SG_EEES6_PlJS6_EEE10hipError_tPvRmT3_T4_T5_T6_T7_T9_mT8_P12ihipStream_tbDpT10_ENKUlT_T0_E_clISt17integral_constantIbLb1EES1B_EEDaS16_S17_EUlS16_E_NS1_11comp_targetILNS1_3genE4ELNS1_11target_archE910ELNS1_3gpuE8ELNS1_3repE0EEENS1_30default_config_static_selectorELNS0_4arch9wavefront6targetE0EEEvT1_,"axG",@progbits,_ZN7rocprim17ROCPRIM_400000_NS6detail17trampoline_kernelINS0_14default_configENS1_25partition_config_selectorILNS1_17partition_subalgoE5EdNS0_10empty_typeEbEEZZNS1_14partition_implILS5_5ELb0ES3_mN6thrust23THRUST_200600_302600_NS6detail15normal_iteratorINSA_10device_ptrIdEEEEPS6_NSA_18transform_iteratorINSB_9not_fun_tINSA_8identityIdEEEESF_NSA_11use_defaultESM_EENS0_5tupleIJSF_S6_EEENSO_IJSG_SG_EEES6_PlJS6_EEE10hipError_tPvRmT3_T4_T5_T6_T7_T9_mT8_P12ihipStream_tbDpT10_ENKUlT_T0_E_clISt17integral_constantIbLb1EES1B_EEDaS16_S17_EUlS16_E_NS1_11comp_targetILNS1_3genE4ELNS1_11target_archE910ELNS1_3gpuE8ELNS1_3repE0EEENS1_30default_config_static_selectorELNS0_4arch9wavefront6targetE0EEEvT1_,comdat
.Lfunc_end799:
	.size	_ZN7rocprim17ROCPRIM_400000_NS6detail17trampoline_kernelINS0_14default_configENS1_25partition_config_selectorILNS1_17partition_subalgoE5EdNS0_10empty_typeEbEEZZNS1_14partition_implILS5_5ELb0ES3_mN6thrust23THRUST_200600_302600_NS6detail15normal_iteratorINSA_10device_ptrIdEEEEPS6_NSA_18transform_iteratorINSB_9not_fun_tINSA_8identityIdEEEESF_NSA_11use_defaultESM_EENS0_5tupleIJSF_S6_EEENSO_IJSG_SG_EEES6_PlJS6_EEE10hipError_tPvRmT3_T4_T5_T6_T7_T9_mT8_P12ihipStream_tbDpT10_ENKUlT_T0_E_clISt17integral_constantIbLb1EES1B_EEDaS16_S17_EUlS16_E_NS1_11comp_targetILNS1_3genE4ELNS1_11target_archE910ELNS1_3gpuE8ELNS1_3repE0EEENS1_30default_config_static_selectorELNS0_4arch9wavefront6targetE0EEEvT1_, .Lfunc_end799-_ZN7rocprim17ROCPRIM_400000_NS6detail17trampoline_kernelINS0_14default_configENS1_25partition_config_selectorILNS1_17partition_subalgoE5EdNS0_10empty_typeEbEEZZNS1_14partition_implILS5_5ELb0ES3_mN6thrust23THRUST_200600_302600_NS6detail15normal_iteratorINSA_10device_ptrIdEEEEPS6_NSA_18transform_iteratorINSB_9not_fun_tINSA_8identityIdEEEESF_NSA_11use_defaultESM_EENS0_5tupleIJSF_S6_EEENSO_IJSG_SG_EEES6_PlJS6_EEE10hipError_tPvRmT3_T4_T5_T6_T7_T9_mT8_P12ihipStream_tbDpT10_ENKUlT_T0_E_clISt17integral_constantIbLb1EES1B_EEDaS16_S17_EUlS16_E_NS1_11comp_targetILNS1_3genE4ELNS1_11target_archE910ELNS1_3gpuE8ELNS1_3repE0EEENS1_30default_config_static_selectorELNS0_4arch9wavefront6targetE0EEEvT1_
                                        ; -- End function
	.set _ZN7rocprim17ROCPRIM_400000_NS6detail17trampoline_kernelINS0_14default_configENS1_25partition_config_selectorILNS1_17partition_subalgoE5EdNS0_10empty_typeEbEEZZNS1_14partition_implILS5_5ELb0ES3_mN6thrust23THRUST_200600_302600_NS6detail15normal_iteratorINSA_10device_ptrIdEEEEPS6_NSA_18transform_iteratorINSB_9not_fun_tINSA_8identityIdEEEESF_NSA_11use_defaultESM_EENS0_5tupleIJSF_S6_EEENSO_IJSG_SG_EEES6_PlJS6_EEE10hipError_tPvRmT3_T4_T5_T6_T7_T9_mT8_P12ihipStream_tbDpT10_ENKUlT_T0_E_clISt17integral_constantIbLb1EES1B_EEDaS16_S17_EUlS16_E_NS1_11comp_targetILNS1_3genE4ELNS1_11target_archE910ELNS1_3gpuE8ELNS1_3repE0EEENS1_30default_config_static_selectorELNS0_4arch9wavefront6targetE0EEEvT1_.num_vgpr, 0
	.set _ZN7rocprim17ROCPRIM_400000_NS6detail17trampoline_kernelINS0_14default_configENS1_25partition_config_selectorILNS1_17partition_subalgoE5EdNS0_10empty_typeEbEEZZNS1_14partition_implILS5_5ELb0ES3_mN6thrust23THRUST_200600_302600_NS6detail15normal_iteratorINSA_10device_ptrIdEEEEPS6_NSA_18transform_iteratorINSB_9not_fun_tINSA_8identityIdEEEESF_NSA_11use_defaultESM_EENS0_5tupleIJSF_S6_EEENSO_IJSG_SG_EEES6_PlJS6_EEE10hipError_tPvRmT3_T4_T5_T6_T7_T9_mT8_P12ihipStream_tbDpT10_ENKUlT_T0_E_clISt17integral_constantIbLb1EES1B_EEDaS16_S17_EUlS16_E_NS1_11comp_targetILNS1_3genE4ELNS1_11target_archE910ELNS1_3gpuE8ELNS1_3repE0EEENS1_30default_config_static_selectorELNS0_4arch9wavefront6targetE0EEEvT1_.num_agpr, 0
	.set _ZN7rocprim17ROCPRIM_400000_NS6detail17trampoline_kernelINS0_14default_configENS1_25partition_config_selectorILNS1_17partition_subalgoE5EdNS0_10empty_typeEbEEZZNS1_14partition_implILS5_5ELb0ES3_mN6thrust23THRUST_200600_302600_NS6detail15normal_iteratorINSA_10device_ptrIdEEEEPS6_NSA_18transform_iteratorINSB_9not_fun_tINSA_8identityIdEEEESF_NSA_11use_defaultESM_EENS0_5tupleIJSF_S6_EEENSO_IJSG_SG_EEES6_PlJS6_EEE10hipError_tPvRmT3_T4_T5_T6_T7_T9_mT8_P12ihipStream_tbDpT10_ENKUlT_T0_E_clISt17integral_constantIbLb1EES1B_EEDaS16_S17_EUlS16_E_NS1_11comp_targetILNS1_3genE4ELNS1_11target_archE910ELNS1_3gpuE8ELNS1_3repE0EEENS1_30default_config_static_selectorELNS0_4arch9wavefront6targetE0EEEvT1_.numbered_sgpr, 0
	.set _ZN7rocprim17ROCPRIM_400000_NS6detail17trampoline_kernelINS0_14default_configENS1_25partition_config_selectorILNS1_17partition_subalgoE5EdNS0_10empty_typeEbEEZZNS1_14partition_implILS5_5ELb0ES3_mN6thrust23THRUST_200600_302600_NS6detail15normal_iteratorINSA_10device_ptrIdEEEEPS6_NSA_18transform_iteratorINSB_9not_fun_tINSA_8identityIdEEEESF_NSA_11use_defaultESM_EENS0_5tupleIJSF_S6_EEENSO_IJSG_SG_EEES6_PlJS6_EEE10hipError_tPvRmT3_T4_T5_T6_T7_T9_mT8_P12ihipStream_tbDpT10_ENKUlT_T0_E_clISt17integral_constantIbLb1EES1B_EEDaS16_S17_EUlS16_E_NS1_11comp_targetILNS1_3genE4ELNS1_11target_archE910ELNS1_3gpuE8ELNS1_3repE0EEENS1_30default_config_static_selectorELNS0_4arch9wavefront6targetE0EEEvT1_.num_named_barrier, 0
	.set _ZN7rocprim17ROCPRIM_400000_NS6detail17trampoline_kernelINS0_14default_configENS1_25partition_config_selectorILNS1_17partition_subalgoE5EdNS0_10empty_typeEbEEZZNS1_14partition_implILS5_5ELb0ES3_mN6thrust23THRUST_200600_302600_NS6detail15normal_iteratorINSA_10device_ptrIdEEEEPS6_NSA_18transform_iteratorINSB_9not_fun_tINSA_8identityIdEEEESF_NSA_11use_defaultESM_EENS0_5tupleIJSF_S6_EEENSO_IJSG_SG_EEES6_PlJS6_EEE10hipError_tPvRmT3_T4_T5_T6_T7_T9_mT8_P12ihipStream_tbDpT10_ENKUlT_T0_E_clISt17integral_constantIbLb1EES1B_EEDaS16_S17_EUlS16_E_NS1_11comp_targetILNS1_3genE4ELNS1_11target_archE910ELNS1_3gpuE8ELNS1_3repE0EEENS1_30default_config_static_selectorELNS0_4arch9wavefront6targetE0EEEvT1_.private_seg_size, 0
	.set _ZN7rocprim17ROCPRIM_400000_NS6detail17trampoline_kernelINS0_14default_configENS1_25partition_config_selectorILNS1_17partition_subalgoE5EdNS0_10empty_typeEbEEZZNS1_14partition_implILS5_5ELb0ES3_mN6thrust23THRUST_200600_302600_NS6detail15normal_iteratorINSA_10device_ptrIdEEEEPS6_NSA_18transform_iteratorINSB_9not_fun_tINSA_8identityIdEEEESF_NSA_11use_defaultESM_EENS0_5tupleIJSF_S6_EEENSO_IJSG_SG_EEES6_PlJS6_EEE10hipError_tPvRmT3_T4_T5_T6_T7_T9_mT8_P12ihipStream_tbDpT10_ENKUlT_T0_E_clISt17integral_constantIbLb1EES1B_EEDaS16_S17_EUlS16_E_NS1_11comp_targetILNS1_3genE4ELNS1_11target_archE910ELNS1_3gpuE8ELNS1_3repE0EEENS1_30default_config_static_selectorELNS0_4arch9wavefront6targetE0EEEvT1_.uses_vcc, 0
	.set _ZN7rocprim17ROCPRIM_400000_NS6detail17trampoline_kernelINS0_14default_configENS1_25partition_config_selectorILNS1_17partition_subalgoE5EdNS0_10empty_typeEbEEZZNS1_14partition_implILS5_5ELb0ES3_mN6thrust23THRUST_200600_302600_NS6detail15normal_iteratorINSA_10device_ptrIdEEEEPS6_NSA_18transform_iteratorINSB_9not_fun_tINSA_8identityIdEEEESF_NSA_11use_defaultESM_EENS0_5tupleIJSF_S6_EEENSO_IJSG_SG_EEES6_PlJS6_EEE10hipError_tPvRmT3_T4_T5_T6_T7_T9_mT8_P12ihipStream_tbDpT10_ENKUlT_T0_E_clISt17integral_constantIbLb1EES1B_EEDaS16_S17_EUlS16_E_NS1_11comp_targetILNS1_3genE4ELNS1_11target_archE910ELNS1_3gpuE8ELNS1_3repE0EEENS1_30default_config_static_selectorELNS0_4arch9wavefront6targetE0EEEvT1_.uses_flat_scratch, 0
	.set _ZN7rocprim17ROCPRIM_400000_NS6detail17trampoline_kernelINS0_14default_configENS1_25partition_config_selectorILNS1_17partition_subalgoE5EdNS0_10empty_typeEbEEZZNS1_14partition_implILS5_5ELb0ES3_mN6thrust23THRUST_200600_302600_NS6detail15normal_iteratorINSA_10device_ptrIdEEEEPS6_NSA_18transform_iteratorINSB_9not_fun_tINSA_8identityIdEEEESF_NSA_11use_defaultESM_EENS0_5tupleIJSF_S6_EEENSO_IJSG_SG_EEES6_PlJS6_EEE10hipError_tPvRmT3_T4_T5_T6_T7_T9_mT8_P12ihipStream_tbDpT10_ENKUlT_T0_E_clISt17integral_constantIbLb1EES1B_EEDaS16_S17_EUlS16_E_NS1_11comp_targetILNS1_3genE4ELNS1_11target_archE910ELNS1_3gpuE8ELNS1_3repE0EEENS1_30default_config_static_selectorELNS0_4arch9wavefront6targetE0EEEvT1_.has_dyn_sized_stack, 0
	.set _ZN7rocprim17ROCPRIM_400000_NS6detail17trampoline_kernelINS0_14default_configENS1_25partition_config_selectorILNS1_17partition_subalgoE5EdNS0_10empty_typeEbEEZZNS1_14partition_implILS5_5ELb0ES3_mN6thrust23THRUST_200600_302600_NS6detail15normal_iteratorINSA_10device_ptrIdEEEEPS6_NSA_18transform_iteratorINSB_9not_fun_tINSA_8identityIdEEEESF_NSA_11use_defaultESM_EENS0_5tupleIJSF_S6_EEENSO_IJSG_SG_EEES6_PlJS6_EEE10hipError_tPvRmT3_T4_T5_T6_T7_T9_mT8_P12ihipStream_tbDpT10_ENKUlT_T0_E_clISt17integral_constantIbLb1EES1B_EEDaS16_S17_EUlS16_E_NS1_11comp_targetILNS1_3genE4ELNS1_11target_archE910ELNS1_3gpuE8ELNS1_3repE0EEENS1_30default_config_static_selectorELNS0_4arch9wavefront6targetE0EEEvT1_.has_recursion, 0
	.set _ZN7rocprim17ROCPRIM_400000_NS6detail17trampoline_kernelINS0_14default_configENS1_25partition_config_selectorILNS1_17partition_subalgoE5EdNS0_10empty_typeEbEEZZNS1_14partition_implILS5_5ELb0ES3_mN6thrust23THRUST_200600_302600_NS6detail15normal_iteratorINSA_10device_ptrIdEEEEPS6_NSA_18transform_iteratorINSB_9not_fun_tINSA_8identityIdEEEESF_NSA_11use_defaultESM_EENS0_5tupleIJSF_S6_EEENSO_IJSG_SG_EEES6_PlJS6_EEE10hipError_tPvRmT3_T4_T5_T6_T7_T9_mT8_P12ihipStream_tbDpT10_ENKUlT_T0_E_clISt17integral_constantIbLb1EES1B_EEDaS16_S17_EUlS16_E_NS1_11comp_targetILNS1_3genE4ELNS1_11target_archE910ELNS1_3gpuE8ELNS1_3repE0EEENS1_30default_config_static_selectorELNS0_4arch9wavefront6targetE0EEEvT1_.has_indirect_call, 0
	.section	.AMDGPU.csdata,"",@progbits
; Kernel info:
; codeLenInByte = 0
; TotalNumSgprs: 0
; NumVgprs: 0
; ScratchSize: 0
; MemoryBound: 0
; FloatMode: 240
; IeeeMode: 1
; LDSByteSize: 0 bytes/workgroup (compile time only)
; SGPRBlocks: 0
; VGPRBlocks: 0
; NumSGPRsForWavesPerEU: 1
; NumVGPRsForWavesPerEU: 1
; Occupancy: 16
; WaveLimiterHint : 0
; COMPUTE_PGM_RSRC2:SCRATCH_EN: 0
; COMPUTE_PGM_RSRC2:USER_SGPR: 2
; COMPUTE_PGM_RSRC2:TRAP_HANDLER: 0
; COMPUTE_PGM_RSRC2:TGID_X_EN: 1
; COMPUTE_PGM_RSRC2:TGID_Y_EN: 0
; COMPUTE_PGM_RSRC2:TGID_Z_EN: 0
; COMPUTE_PGM_RSRC2:TIDIG_COMP_CNT: 0
	.section	.text._ZN7rocprim17ROCPRIM_400000_NS6detail17trampoline_kernelINS0_14default_configENS1_25partition_config_selectorILNS1_17partition_subalgoE5EdNS0_10empty_typeEbEEZZNS1_14partition_implILS5_5ELb0ES3_mN6thrust23THRUST_200600_302600_NS6detail15normal_iteratorINSA_10device_ptrIdEEEEPS6_NSA_18transform_iteratorINSB_9not_fun_tINSA_8identityIdEEEESF_NSA_11use_defaultESM_EENS0_5tupleIJSF_S6_EEENSO_IJSG_SG_EEES6_PlJS6_EEE10hipError_tPvRmT3_T4_T5_T6_T7_T9_mT8_P12ihipStream_tbDpT10_ENKUlT_T0_E_clISt17integral_constantIbLb1EES1B_EEDaS16_S17_EUlS16_E_NS1_11comp_targetILNS1_3genE3ELNS1_11target_archE908ELNS1_3gpuE7ELNS1_3repE0EEENS1_30default_config_static_selectorELNS0_4arch9wavefront6targetE0EEEvT1_,"axG",@progbits,_ZN7rocprim17ROCPRIM_400000_NS6detail17trampoline_kernelINS0_14default_configENS1_25partition_config_selectorILNS1_17partition_subalgoE5EdNS0_10empty_typeEbEEZZNS1_14partition_implILS5_5ELb0ES3_mN6thrust23THRUST_200600_302600_NS6detail15normal_iteratorINSA_10device_ptrIdEEEEPS6_NSA_18transform_iteratorINSB_9not_fun_tINSA_8identityIdEEEESF_NSA_11use_defaultESM_EENS0_5tupleIJSF_S6_EEENSO_IJSG_SG_EEES6_PlJS6_EEE10hipError_tPvRmT3_T4_T5_T6_T7_T9_mT8_P12ihipStream_tbDpT10_ENKUlT_T0_E_clISt17integral_constantIbLb1EES1B_EEDaS16_S17_EUlS16_E_NS1_11comp_targetILNS1_3genE3ELNS1_11target_archE908ELNS1_3gpuE7ELNS1_3repE0EEENS1_30default_config_static_selectorELNS0_4arch9wavefront6targetE0EEEvT1_,comdat
	.protected	_ZN7rocprim17ROCPRIM_400000_NS6detail17trampoline_kernelINS0_14default_configENS1_25partition_config_selectorILNS1_17partition_subalgoE5EdNS0_10empty_typeEbEEZZNS1_14partition_implILS5_5ELb0ES3_mN6thrust23THRUST_200600_302600_NS6detail15normal_iteratorINSA_10device_ptrIdEEEEPS6_NSA_18transform_iteratorINSB_9not_fun_tINSA_8identityIdEEEESF_NSA_11use_defaultESM_EENS0_5tupleIJSF_S6_EEENSO_IJSG_SG_EEES6_PlJS6_EEE10hipError_tPvRmT3_T4_T5_T6_T7_T9_mT8_P12ihipStream_tbDpT10_ENKUlT_T0_E_clISt17integral_constantIbLb1EES1B_EEDaS16_S17_EUlS16_E_NS1_11comp_targetILNS1_3genE3ELNS1_11target_archE908ELNS1_3gpuE7ELNS1_3repE0EEENS1_30default_config_static_selectorELNS0_4arch9wavefront6targetE0EEEvT1_ ; -- Begin function _ZN7rocprim17ROCPRIM_400000_NS6detail17trampoline_kernelINS0_14default_configENS1_25partition_config_selectorILNS1_17partition_subalgoE5EdNS0_10empty_typeEbEEZZNS1_14partition_implILS5_5ELb0ES3_mN6thrust23THRUST_200600_302600_NS6detail15normal_iteratorINSA_10device_ptrIdEEEEPS6_NSA_18transform_iteratorINSB_9not_fun_tINSA_8identityIdEEEESF_NSA_11use_defaultESM_EENS0_5tupleIJSF_S6_EEENSO_IJSG_SG_EEES6_PlJS6_EEE10hipError_tPvRmT3_T4_T5_T6_T7_T9_mT8_P12ihipStream_tbDpT10_ENKUlT_T0_E_clISt17integral_constantIbLb1EES1B_EEDaS16_S17_EUlS16_E_NS1_11comp_targetILNS1_3genE3ELNS1_11target_archE908ELNS1_3gpuE7ELNS1_3repE0EEENS1_30default_config_static_selectorELNS0_4arch9wavefront6targetE0EEEvT1_
	.globl	_ZN7rocprim17ROCPRIM_400000_NS6detail17trampoline_kernelINS0_14default_configENS1_25partition_config_selectorILNS1_17partition_subalgoE5EdNS0_10empty_typeEbEEZZNS1_14partition_implILS5_5ELb0ES3_mN6thrust23THRUST_200600_302600_NS6detail15normal_iteratorINSA_10device_ptrIdEEEEPS6_NSA_18transform_iteratorINSB_9not_fun_tINSA_8identityIdEEEESF_NSA_11use_defaultESM_EENS0_5tupleIJSF_S6_EEENSO_IJSG_SG_EEES6_PlJS6_EEE10hipError_tPvRmT3_T4_T5_T6_T7_T9_mT8_P12ihipStream_tbDpT10_ENKUlT_T0_E_clISt17integral_constantIbLb1EES1B_EEDaS16_S17_EUlS16_E_NS1_11comp_targetILNS1_3genE3ELNS1_11target_archE908ELNS1_3gpuE7ELNS1_3repE0EEENS1_30default_config_static_selectorELNS0_4arch9wavefront6targetE0EEEvT1_
	.p2align	8
	.type	_ZN7rocprim17ROCPRIM_400000_NS6detail17trampoline_kernelINS0_14default_configENS1_25partition_config_selectorILNS1_17partition_subalgoE5EdNS0_10empty_typeEbEEZZNS1_14partition_implILS5_5ELb0ES3_mN6thrust23THRUST_200600_302600_NS6detail15normal_iteratorINSA_10device_ptrIdEEEEPS6_NSA_18transform_iteratorINSB_9not_fun_tINSA_8identityIdEEEESF_NSA_11use_defaultESM_EENS0_5tupleIJSF_S6_EEENSO_IJSG_SG_EEES6_PlJS6_EEE10hipError_tPvRmT3_T4_T5_T6_T7_T9_mT8_P12ihipStream_tbDpT10_ENKUlT_T0_E_clISt17integral_constantIbLb1EES1B_EEDaS16_S17_EUlS16_E_NS1_11comp_targetILNS1_3genE3ELNS1_11target_archE908ELNS1_3gpuE7ELNS1_3repE0EEENS1_30default_config_static_selectorELNS0_4arch9wavefront6targetE0EEEvT1_,@function
_ZN7rocprim17ROCPRIM_400000_NS6detail17trampoline_kernelINS0_14default_configENS1_25partition_config_selectorILNS1_17partition_subalgoE5EdNS0_10empty_typeEbEEZZNS1_14partition_implILS5_5ELb0ES3_mN6thrust23THRUST_200600_302600_NS6detail15normal_iteratorINSA_10device_ptrIdEEEEPS6_NSA_18transform_iteratorINSB_9not_fun_tINSA_8identityIdEEEESF_NSA_11use_defaultESM_EENS0_5tupleIJSF_S6_EEENSO_IJSG_SG_EEES6_PlJS6_EEE10hipError_tPvRmT3_T4_T5_T6_T7_T9_mT8_P12ihipStream_tbDpT10_ENKUlT_T0_E_clISt17integral_constantIbLb1EES1B_EEDaS16_S17_EUlS16_E_NS1_11comp_targetILNS1_3genE3ELNS1_11target_archE908ELNS1_3gpuE7ELNS1_3repE0EEENS1_30default_config_static_selectorELNS0_4arch9wavefront6targetE0EEEvT1_: ; @_ZN7rocprim17ROCPRIM_400000_NS6detail17trampoline_kernelINS0_14default_configENS1_25partition_config_selectorILNS1_17partition_subalgoE5EdNS0_10empty_typeEbEEZZNS1_14partition_implILS5_5ELb0ES3_mN6thrust23THRUST_200600_302600_NS6detail15normal_iteratorINSA_10device_ptrIdEEEEPS6_NSA_18transform_iteratorINSB_9not_fun_tINSA_8identityIdEEEESF_NSA_11use_defaultESM_EENS0_5tupleIJSF_S6_EEENSO_IJSG_SG_EEES6_PlJS6_EEE10hipError_tPvRmT3_T4_T5_T6_T7_T9_mT8_P12ihipStream_tbDpT10_ENKUlT_T0_E_clISt17integral_constantIbLb1EES1B_EEDaS16_S17_EUlS16_E_NS1_11comp_targetILNS1_3genE3ELNS1_11target_archE908ELNS1_3gpuE7ELNS1_3repE0EEENS1_30default_config_static_selectorELNS0_4arch9wavefront6targetE0EEEvT1_
; %bb.0:
	.section	.rodata,"a",@progbits
	.p2align	6, 0x0
	.amdhsa_kernel _ZN7rocprim17ROCPRIM_400000_NS6detail17trampoline_kernelINS0_14default_configENS1_25partition_config_selectorILNS1_17partition_subalgoE5EdNS0_10empty_typeEbEEZZNS1_14partition_implILS5_5ELb0ES3_mN6thrust23THRUST_200600_302600_NS6detail15normal_iteratorINSA_10device_ptrIdEEEEPS6_NSA_18transform_iteratorINSB_9not_fun_tINSA_8identityIdEEEESF_NSA_11use_defaultESM_EENS0_5tupleIJSF_S6_EEENSO_IJSG_SG_EEES6_PlJS6_EEE10hipError_tPvRmT3_T4_T5_T6_T7_T9_mT8_P12ihipStream_tbDpT10_ENKUlT_T0_E_clISt17integral_constantIbLb1EES1B_EEDaS16_S17_EUlS16_E_NS1_11comp_targetILNS1_3genE3ELNS1_11target_archE908ELNS1_3gpuE7ELNS1_3repE0EEENS1_30default_config_static_selectorELNS0_4arch9wavefront6targetE0EEEvT1_
		.amdhsa_group_segment_fixed_size 0
		.amdhsa_private_segment_fixed_size 0
		.amdhsa_kernarg_size 136
		.amdhsa_user_sgpr_count 2
		.amdhsa_user_sgpr_dispatch_ptr 0
		.amdhsa_user_sgpr_queue_ptr 0
		.amdhsa_user_sgpr_kernarg_segment_ptr 1
		.amdhsa_user_sgpr_dispatch_id 0
		.amdhsa_user_sgpr_private_segment_size 0
		.amdhsa_wavefront_size32 1
		.amdhsa_uses_dynamic_stack 0
		.amdhsa_enable_private_segment 0
		.amdhsa_system_sgpr_workgroup_id_x 1
		.amdhsa_system_sgpr_workgroup_id_y 0
		.amdhsa_system_sgpr_workgroup_id_z 0
		.amdhsa_system_sgpr_workgroup_info 0
		.amdhsa_system_vgpr_workitem_id 0
		.amdhsa_next_free_vgpr 1
		.amdhsa_next_free_sgpr 1
		.amdhsa_reserve_vcc 0
		.amdhsa_float_round_mode_32 0
		.amdhsa_float_round_mode_16_64 0
		.amdhsa_float_denorm_mode_32 3
		.amdhsa_float_denorm_mode_16_64 3
		.amdhsa_fp16_overflow 0
		.amdhsa_workgroup_processor_mode 1
		.amdhsa_memory_ordered 1
		.amdhsa_forward_progress 1
		.amdhsa_inst_pref_size 0
		.amdhsa_round_robin_scheduling 0
		.amdhsa_exception_fp_ieee_invalid_op 0
		.amdhsa_exception_fp_denorm_src 0
		.amdhsa_exception_fp_ieee_div_zero 0
		.amdhsa_exception_fp_ieee_overflow 0
		.amdhsa_exception_fp_ieee_underflow 0
		.amdhsa_exception_fp_ieee_inexact 0
		.amdhsa_exception_int_div_zero 0
	.end_amdhsa_kernel
	.section	.text._ZN7rocprim17ROCPRIM_400000_NS6detail17trampoline_kernelINS0_14default_configENS1_25partition_config_selectorILNS1_17partition_subalgoE5EdNS0_10empty_typeEbEEZZNS1_14partition_implILS5_5ELb0ES3_mN6thrust23THRUST_200600_302600_NS6detail15normal_iteratorINSA_10device_ptrIdEEEEPS6_NSA_18transform_iteratorINSB_9not_fun_tINSA_8identityIdEEEESF_NSA_11use_defaultESM_EENS0_5tupleIJSF_S6_EEENSO_IJSG_SG_EEES6_PlJS6_EEE10hipError_tPvRmT3_T4_T5_T6_T7_T9_mT8_P12ihipStream_tbDpT10_ENKUlT_T0_E_clISt17integral_constantIbLb1EES1B_EEDaS16_S17_EUlS16_E_NS1_11comp_targetILNS1_3genE3ELNS1_11target_archE908ELNS1_3gpuE7ELNS1_3repE0EEENS1_30default_config_static_selectorELNS0_4arch9wavefront6targetE0EEEvT1_,"axG",@progbits,_ZN7rocprim17ROCPRIM_400000_NS6detail17trampoline_kernelINS0_14default_configENS1_25partition_config_selectorILNS1_17partition_subalgoE5EdNS0_10empty_typeEbEEZZNS1_14partition_implILS5_5ELb0ES3_mN6thrust23THRUST_200600_302600_NS6detail15normal_iteratorINSA_10device_ptrIdEEEEPS6_NSA_18transform_iteratorINSB_9not_fun_tINSA_8identityIdEEEESF_NSA_11use_defaultESM_EENS0_5tupleIJSF_S6_EEENSO_IJSG_SG_EEES6_PlJS6_EEE10hipError_tPvRmT3_T4_T5_T6_T7_T9_mT8_P12ihipStream_tbDpT10_ENKUlT_T0_E_clISt17integral_constantIbLb1EES1B_EEDaS16_S17_EUlS16_E_NS1_11comp_targetILNS1_3genE3ELNS1_11target_archE908ELNS1_3gpuE7ELNS1_3repE0EEENS1_30default_config_static_selectorELNS0_4arch9wavefront6targetE0EEEvT1_,comdat
.Lfunc_end800:
	.size	_ZN7rocprim17ROCPRIM_400000_NS6detail17trampoline_kernelINS0_14default_configENS1_25partition_config_selectorILNS1_17partition_subalgoE5EdNS0_10empty_typeEbEEZZNS1_14partition_implILS5_5ELb0ES3_mN6thrust23THRUST_200600_302600_NS6detail15normal_iteratorINSA_10device_ptrIdEEEEPS6_NSA_18transform_iteratorINSB_9not_fun_tINSA_8identityIdEEEESF_NSA_11use_defaultESM_EENS0_5tupleIJSF_S6_EEENSO_IJSG_SG_EEES6_PlJS6_EEE10hipError_tPvRmT3_T4_T5_T6_T7_T9_mT8_P12ihipStream_tbDpT10_ENKUlT_T0_E_clISt17integral_constantIbLb1EES1B_EEDaS16_S17_EUlS16_E_NS1_11comp_targetILNS1_3genE3ELNS1_11target_archE908ELNS1_3gpuE7ELNS1_3repE0EEENS1_30default_config_static_selectorELNS0_4arch9wavefront6targetE0EEEvT1_, .Lfunc_end800-_ZN7rocprim17ROCPRIM_400000_NS6detail17trampoline_kernelINS0_14default_configENS1_25partition_config_selectorILNS1_17partition_subalgoE5EdNS0_10empty_typeEbEEZZNS1_14partition_implILS5_5ELb0ES3_mN6thrust23THRUST_200600_302600_NS6detail15normal_iteratorINSA_10device_ptrIdEEEEPS6_NSA_18transform_iteratorINSB_9not_fun_tINSA_8identityIdEEEESF_NSA_11use_defaultESM_EENS0_5tupleIJSF_S6_EEENSO_IJSG_SG_EEES6_PlJS6_EEE10hipError_tPvRmT3_T4_T5_T6_T7_T9_mT8_P12ihipStream_tbDpT10_ENKUlT_T0_E_clISt17integral_constantIbLb1EES1B_EEDaS16_S17_EUlS16_E_NS1_11comp_targetILNS1_3genE3ELNS1_11target_archE908ELNS1_3gpuE7ELNS1_3repE0EEENS1_30default_config_static_selectorELNS0_4arch9wavefront6targetE0EEEvT1_
                                        ; -- End function
	.set _ZN7rocprim17ROCPRIM_400000_NS6detail17trampoline_kernelINS0_14default_configENS1_25partition_config_selectorILNS1_17partition_subalgoE5EdNS0_10empty_typeEbEEZZNS1_14partition_implILS5_5ELb0ES3_mN6thrust23THRUST_200600_302600_NS6detail15normal_iteratorINSA_10device_ptrIdEEEEPS6_NSA_18transform_iteratorINSB_9not_fun_tINSA_8identityIdEEEESF_NSA_11use_defaultESM_EENS0_5tupleIJSF_S6_EEENSO_IJSG_SG_EEES6_PlJS6_EEE10hipError_tPvRmT3_T4_T5_T6_T7_T9_mT8_P12ihipStream_tbDpT10_ENKUlT_T0_E_clISt17integral_constantIbLb1EES1B_EEDaS16_S17_EUlS16_E_NS1_11comp_targetILNS1_3genE3ELNS1_11target_archE908ELNS1_3gpuE7ELNS1_3repE0EEENS1_30default_config_static_selectorELNS0_4arch9wavefront6targetE0EEEvT1_.num_vgpr, 0
	.set _ZN7rocprim17ROCPRIM_400000_NS6detail17trampoline_kernelINS0_14default_configENS1_25partition_config_selectorILNS1_17partition_subalgoE5EdNS0_10empty_typeEbEEZZNS1_14partition_implILS5_5ELb0ES3_mN6thrust23THRUST_200600_302600_NS6detail15normal_iteratorINSA_10device_ptrIdEEEEPS6_NSA_18transform_iteratorINSB_9not_fun_tINSA_8identityIdEEEESF_NSA_11use_defaultESM_EENS0_5tupleIJSF_S6_EEENSO_IJSG_SG_EEES6_PlJS6_EEE10hipError_tPvRmT3_T4_T5_T6_T7_T9_mT8_P12ihipStream_tbDpT10_ENKUlT_T0_E_clISt17integral_constantIbLb1EES1B_EEDaS16_S17_EUlS16_E_NS1_11comp_targetILNS1_3genE3ELNS1_11target_archE908ELNS1_3gpuE7ELNS1_3repE0EEENS1_30default_config_static_selectorELNS0_4arch9wavefront6targetE0EEEvT1_.num_agpr, 0
	.set _ZN7rocprim17ROCPRIM_400000_NS6detail17trampoline_kernelINS0_14default_configENS1_25partition_config_selectorILNS1_17partition_subalgoE5EdNS0_10empty_typeEbEEZZNS1_14partition_implILS5_5ELb0ES3_mN6thrust23THRUST_200600_302600_NS6detail15normal_iteratorINSA_10device_ptrIdEEEEPS6_NSA_18transform_iteratorINSB_9not_fun_tINSA_8identityIdEEEESF_NSA_11use_defaultESM_EENS0_5tupleIJSF_S6_EEENSO_IJSG_SG_EEES6_PlJS6_EEE10hipError_tPvRmT3_T4_T5_T6_T7_T9_mT8_P12ihipStream_tbDpT10_ENKUlT_T0_E_clISt17integral_constantIbLb1EES1B_EEDaS16_S17_EUlS16_E_NS1_11comp_targetILNS1_3genE3ELNS1_11target_archE908ELNS1_3gpuE7ELNS1_3repE0EEENS1_30default_config_static_selectorELNS0_4arch9wavefront6targetE0EEEvT1_.numbered_sgpr, 0
	.set _ZN7rocprim17ROCPRIM_400000_NS6detail17trampoline_kernelINS0_14default_configENS1_25partition_config_selectorILNS1_17partition_subalgoE5EdNS0_10empty_typeEbEEZZNS1_14partition_implILS5_5ELb0ES3_mN6thrust23THRUST_200600_302600_NS6detail15normal_iteratorINSA_10device_ptrIdEEEEPS6_NSA_18transform_iteratorINSB_9not_fun_tINSA_8identityIdEEEESF_NSA_11use_defaultESM_EENS0_5tupleIJSF_S6_EEENSO_IJSG_SG_EEES6_PlJS6_EEE10hipError_tPvRmT3_T4_T5_T6_T7_T9_mT8_P12ihipStream_tbDpT10_ENKUlT_T0_E_clISt17integral_constantIbLb1EES1B_EEDaS16_S17_EUlS16_E_NS1_11comp_targetILNS1_3genE3ELNS1_11target_archE908ELNS1_3gpuE7ELNS1_3repE0EEENS1_30default_config_static_selectorELNS0_4arch9wavefront6targetE0EEEvT1_.num_named_barrier, 0
	.set _ZN7rocprim17ROCPRIM_400000_NS6detail17trampoline_kernelINS0_14default_configENS1_25partition_config_selectorILNS1_17partition_subalgoE5EdNS0_10empty_typeEbEEZZNS1_14partition_implILS5_5ELb0ES3_mN6thrust23THRUST_200600_302600_NS6detail15normal_iteratorINSA_10device_ptrIdEEEEPS6_NSA_18transform_iteratorINSB_9not_fun_tINSA_8identityIdEEEESF_NSA_11use_defaultESM_EENS0_5tupleIJSF_S6_EEENSO_IJSG_SG_EEES6_PlJS6_EEE10hipError_tPvRmT3_T4_T5_T6_T7_T9_mT8_P12ihipStream_tbDpT10_ENKUlT_T0_E_clISt17integral_constantIbLb1EES1B_EEDaS16_S17_EUlS16_E_NS1_11comp_targetILNS1_3genE3ELNS1_11target_archE908ELNS1_3gpuE7ELNS1_3repE0EEENS1_30default_config_static_selectorELNS0_4arch9wavefront6targetE0EEEvT1_.private_seg_size, 0
	.set _ZN7rocprim17ROCPRIM_400000_NS6detail17trampoline_kernelINS0_14default_configENS1_25partition_config_selectorILNS1_17partition_subalgoE5EdNS0_10empty_typeEbEEZZNS1_14partition_implILS5_5ELb0ES3_mN6thrust23THRUST_200600_302600_NS6detail15normal_iteratorINSA_10device_ptrIdEEEEPS6_NSA_18transform_iteratorINSB_9not_fun_tINSA_8identityIdEEEESF_NSA_11use_defaultESM_EENS0_5tupleIJSF_S6_EEENSO_IJSG_SG_EEES6_PlJS6_EEE10hipError_tPvRmT3_T4_T5_T6_T7_T9_mT8_P12ihipStream_tbDpT10_ENKUlT_T0_E_clISt17integral_constantIbLb1EES1B_EEDaS16_S17_EUlS16_E_NS1_11comp_targetILNS1_3genE3ELNS1_11target_archE908ELNS1_3gpuE7ELNS1_3repE0EEENS1_30default_config_static_selectorELNS0_4arch9wavefront6targetE0EEEvT1_.uses_vcc, 0
	.set _ZN7rocprim17ROCPRIM_400000_NS6detail17trampoline_kernelINS0_14default_configENS1_25partition_config_selectorILNS1_17partition_subalgoE5EdNS0_10empty_typeEbEEZZNS1_14partition_implILS5_5ELb0ES3_mN6thrust23THRUST_200600_302600_NS6detail15normal_iteratorINSA_10device_ptrIdEEEEPS6_NSA_18transform_iteratorINSB_9not_fun_tINSA_8identityIdEEEESF_NSA_11use_defaultESM_EENS0_5tupleIJSF_S6_EEENSO_IJSG_SG_EEES6_PlJS6_EEE10hipError_tPvRmT3_T4_T5_T6_T7_T9_mT8_P12ihipStream_tbDpT10_ENKUlT_T0_E_clISt17integral_constantIbLb1EES1B_EEDaS16_S17_EUlS16_E_NS1_11comp_targetILNS1_3genE3ELNS1_11target_archE908ELNS1_3gpuE7ELNS1_3repE0EEENS1_30default_config_static_selectorELNS0_4arch9wavefront6targetE0EEEvT1_.uses_flat_scratch, 0
	.set _ZN7rocprim17ROCPRIM_400000_NS6detail17trampoline_kernelINS0_14default_configENS1_25partition_config_selectorILNS1_17partition_subalgoE5EdNS0_10empty_typeEbEEZZNS1_14partition_implILS5_5ELb0ES3_mN6thrust23THRUST_200600_302600_NS6detail15normal_iteratorINSA_10device_ptrIdEEEEPS6_NSA_18transform_iteratorINSB_9not_fun_tINSA_8identityIdEEEESF_NSA_11use_defaultESM_EENS0_5tupleIJSF_S6_EEENSO_IJSG_SG_EEES6_PlJS6_EEE10hipError_tPvRmT3_T4_T5_T6_T7_T9_mT8_P12ihipStream_tbDpT10_ENKUlT_T0_E_clISt17integral_constantIbLb1EES1B_EEDaS16_S17_EUlS16_E_NS1_11comp_targetILNS1_3genE3ELNS1_11target_archE908ELNS1_3gpuE7ELNS1_3repE0EEENS1_30default_config_static_selectorELNS0_4arch9wavefront6targetE0EEEvT1_.has_dyn_sized_stack, 0
	.set _ZN7rocprim17ROCPRIM_400000_NS6detail17trampoline_kernelINS0_14default_configENS1_25partition_config_selectorILNS1_17partition_subalgoE5EdNS0_10empty_typeEbEEZZNS1_14partition_implILS5_5ELb0ES3_mN6thrust23THRUST_200600_302600_NS6detail15normal_iteratorINSA_10device_ptrIdEEEEPS6_NSA_18transform_iteratorINSB_9not_fun_tINSA_8identityIdEEEESF_NSA_11use_defaultESM_EENS0_5tupleIJSF_S6_EEENSO_IJSG_SG_EEES6_PlJS6_EEE10hipError_tPvRmT3_T4_T5_T6_T7_T9_mT8_P12ihipStream_tbDpT10_ENKUlT_T0_E_clISt17integral_constantIbLb1EES1B_EEDaS16_S17_EUlS16_E_NS1_11comp_targetILNS1_3genE3ELNS1_11target_archE908ELNS1_3gpuE7ELNS1_3repE0EEENS1_30default_config_static_selectorELNS0_4arch9wavefront6targetE0EEEvT1_.has_recursion, 0
	.set _ZN7rocprim17ROCPRIM_400000_NS6detail17trampoline_kernelINS0_14default_configENS1_25partition_config_selectorILNS1_17partition_subalgoE5EdNS0_10empty_typeEbEEZZNS1_14partition_implILS5_5ELb0ES3_mN6thrust23THRUST_200600_302600_NS6detail15normal_iteratorINSA_10device_ptrIdEEEEPS6_NSA_18transform_iteratorINSB_9not_fun_tINSA_8identityIdEEEESF_NSA_11use_defaultESM_EENS0_5tupleIJSF_S6_EEENSO_IJSG_SG_EEES6_PlJS6_EEE10hipError_tPvRmT3_T4_T5_T6_T7_T9_mT8_P12ihipStream_tbDpT10_ENKUlT_T0_E_clISt17integral_constantIbLb1EES1B_EEDaS16_S17_EUlS16_E_NS1_11comp_targetILNS1_3genE3ELNS1_11target_archE908ELNS1_3gpuE7ELNS1_3repE0EEENS1_30default_config_static_selectorELNS0_4arch9wavefront6targetE0EEEvT1_.has_indirect_call, 0
	.section	.AMDGPU.csdata,"",@progbits
; Kernel info:
; codeLenInByte = 0
; TotalNumSgprs: 0
; NumVgprs: 0
; ScratchSize: 0
; MemoryBound: 0
; FloatMode: 240
; IeeeMode: 1
; LDSByteSize: 0 bytes/workgroup (compile time only)
; SGPRBlocks: 0
; VGPRBlocks: 0
; NumSGPRsForWavesPerEU: 1
; NumVGPRsForWavesPerEU: 1
; Occupancy: 16
; WaveLimiterHint : 0
; COMPUTE_PGM_RSRC2:SCRATCH_EN: 0
; COMPUTE_PGM_RSRC2:USER_SGPR: 2
; COMPUTE_PGM_RSRC2:TRAP_HANDLER: 0
; COMPUTE_PGM_RSRC2:TGID_X_EN: 1
; COMPUTE_PGM_RSRC2:TGID_Y_EN: 0
; COMPUTE_PGM_RSRC2:TGID_Z_EN: 0
; COMPUTE_PGM_RSRC2:TIDIG_COMP_CNT: 0
	.section	.text._ZN7rocprim17ROCPRIM_400000_NS6detail17trampoline_kernelINS0_14default_configENS1_25partition_config_selectorILNS1_17partition_subalgoE5EdNS0_10empty_typeEbEEZZNS1_14partition_implILS5_5ELb0ES3_mN6thrust23THRUST_200600_302600_NS6detail15normal_iteratorINSA_10device_ptrIdEEEEPS6_NSA_18transform_iteratorINSB_9not_fun_tINSA_8identityIdEEEESF_NSA_11use_defaultESM_EENS0_5tupleIJSF_S6_EEENSO_IJSG_SG_EEES6_PlJS6_EEE10hipError_tPvRmT3_T4_T5_T6_T7_T9_mT8_P12ihipStream_tbDpT10_ENKUlT_T0_E_clISt17integral_constantIbLb1EES1B_EEDaS16_S17_EUlS16_E_NS1_11comp_targetILNS1_3genE2ELNS1_11target_archE906ELNS1_3gpuE6ELNS1_3repE0EEENS1_30default_config_static_selectorELNS0_4arch9wavefront6targetE0EEEvT1_,"axG",@progbits,_ZN7rocprim17ROCPRIM_400000_NS6detail17trampoline_kernelINS0_14default_configENS1_25partition_config_selectorILNS1_17partition_subalgoE5EdNS0_10empty_typeEbEEZZNS1_14partition_implILS5_5ELb0ES3_mN6thrust23THRUST_200600_302600_NS6detail15normal_iteratorINSA_10device_ptrIdEEEEPS6_NSA_18transform_iteratorINSB_9not_fun_tINSA_8identityIdEEEESF_NSA_11use_defaultESM_EENS0_5tupleIJSF_S6_EEENSO_IJSG_SG_EEES6_PlJS6_EEE10hipError_tPvRmT3_T4_T5_T6_T7_T9_mT8_P12ihipStream_tbDpT10_ENKUlT_T0_E_clISt17integral_constantIbLb1EES1B_EEDaS16_S17_EUlS16_E_NS1_11comp_targetILNS1_3genE2ELNS1_11target_archE906ELNS1_3gpuE6ELNS1_3repE0EEENS1_30default_config_static_selectorELNS0_4arch9wavefront6targetE0EEEvT1_,comdat
	.protected	_ZN7rocprim17ROCPRIM_400000_NS6detail17trampoline_kernelINS0_14default_configENS1_25partition_config_selectorILNS1_17partition_subalgoE5EdNS0_10empty_typeEbEEZZNS1_14partition_implILS5_5ELb0ES3_mN6thrust23THRUST_200600_302600_NS6detail15normal_iteratorINSA_10device_ptrIdEEEEPS6_NSA_18transform_iteratorINSB_9not_fun_tINSA_8identityIdEEEESF_NSA_11use_defaultESM_EENS0_5tupleIJSF_S6_EEENSO_IJSG_SG_EEES6_PlJS6_EEE10hipError_tPvRmT3_T4_T5_T6_T7_T9_mT8_P12ihipStream_tbDpT10_ENKUlT_T0_E_clISt17integral_constantIbLb1EES1B_EEDaS16_S17_EUlS16_E_NS1_11comp_targetILNS1_3genE2ELNS1_11target_archE906ELNS1_3gpuE6ELNS1_3repE0EEENS1_30default_config_static_selectorELNS0_4arch9wavefront6targetE0EEEvT1_ ; -- Begin function _ZN7rocprim17ROCPRIM_400000_NS6detail17trampoline_kernelINS0_14default_configENS1_25partition_config_selectorILNS1_17partition_subalgoE5EdNS0_10empty_typeEbEEZZNS1_14partition_implILS5_5ELb0ES3_mN6thrust23THRUST_200600_302600_NS6detail15normal_iteratorINSA_10device_ptrIdEEEEPS6_NSA_18transform_iteratorINSB_9not_fun_tINSA_8identityIdEEEESF_NSA_11use_defaultESM_EENS0_5tupleIJSF_S6_EEENSO_IJSG_SG_EEES6_PlJS6_EEE10hipError_tPvRmT3_T4_T5_T6_T7_T9_mT8_P12ihipStream_tbDpT10_ENKUlT_T0_E_clISt17integral_constantIbLb1EES1B_EEDaS16_S17_EUlS16_E_NS1_11comp_targetILNS1_3genE2ELNS1_11target_archE906ELNS1_3gpuE6ELNS1_3repE0EEENS1_30default_config_static_selectorELNS0_4arch9wavefront6targetE0EEEvT1_
	.globl	_ZN7rocprim17ROCPRIM_400000_NS6detail17trampoline_kernelINS0_14default_configENS1_25partition_config_selectorILNS1_17partition_subalgoE5EdNS0_10empty_typeEbEEZZNS1_14partition_implILS5_5ELb0ES3_mN6thrust23THRUST_200600_302600_NS6detail15normal_iteratorINSA_10device_ptrIdEEEEPS6_NSA_18transform_iteratorINSB_9not_fun_tINSA_8identityIdEEEESF_NSA_11use_defaultESM_EENS0_5tupleIJSF_S6_EEENSO_IJSG_SG_EEES6_PlJS6_EEE10hipError_tPvRmT3_T4_T5_T6_T7_T9_mT8_P12ihipStream_tbDpT10_ENKUlT_T0_E_clISt17integral_constantIbLb1EES1B_EEDaS16_S17_EUlS16_E_NS1_11comp_targetILNS1_3genE2ELNS1_11target_archE906ELNS1_3gpuE6ELNS1_3repE0EEENS1_30default_config_static_selectorELNS0_4arch9wavefront6targetE0EEEvT1_
	.p2align	8
	.type	_ZN7rocprim17ROCPRIM_400000_NS6detail17trampoline_kernelINS0_14default_configENS1_25partition_config_selectorILNS1_17partition_subalgoE5EdNS0_10empty_typeEbEEZZNS1_14partition_implILS5_5ELb0ES3_mN6thrust23THRUST_200600_302600_NS6detail15normal_iteratorINSA_10device_ptrIdEEEEPS6_NSA_18transform_iteratorINSB_9not_fun_tINSA_8identityIdEEEESF_NSA_11use_defaultESM_EENS0_5tupleIJSF_S6_EEENSO_IJSG_SG_EEES6_PlJS6_EEE10hipError_tPvRmT3_T4_T5_T6_T7_T9_mT8_P12ihipStream_tbDpT10_ENKUlT_T0_E_clISt17integral_constantIbLb1EES1B_EEDaS16_S17_EUlS16_E_NS1_11comp_targetILNS1_3genE2ELNS1_11target_archE906ELNS1_3gpuE6ELNS1_3repE0EEENS1_30default_config_static_selectorELNS0_4arch9wavefront6targetE0EEEvT1_,@function
_ZN7rocprim17ROCPRIM_400000_NS6detail17trampoline_kernelINS0_14default_configENS1_25partition_config_selectorILNS1_17partition_subalgoE5EdNS0_10empty_typeEbEEZZNS1_14partition_implILS5_5ELb0ES3_mN6thrust23THRUST_200600_302600_NS6detail15normal_iteratorINSA_10device_ptrIdEEEEPS6_NSA_18transform_iteratorINSB_9not_fun_tINSA_8identityIdEEEESF_NSA_11use_defaultESM_EENS0_5tupleIJSF_S6_EEENSO_IJSG_SG_EEES6_PlJS6_EEE10hipError_tPvRmT3_T4_T5_T6_T7_T9_mT8_P12ihipStream_tbDpT10_ENKUlT_T0_E_clISt17integral_constantIbLb1EES1B_EEDaS16_S17_EUlS16_E_NS1_11comp_targetILNS1_3genE2ELNS1_11target_archE906ELNS1_3gpuE6ELNS1_3repE0EEENS1_30default_config_static_selectorELNS0_4arch9wavefront6targetE0EEEvT1_: ; @_ZN7rocprim17ROCPRIM_400000_NS6detail17trampoline_kernelINS0_14default_configENS1_25partition_config_selectorILNS1_17partition_subalgoE5EdNS0_10empty_typeEbEEZZNS1_14partition_implILS5_5ELb0ES3_mN6thrust23THRUST_200600_302600_NS6detail15normal_iteratorINSA_10device_ptrIdEEEEPS6_NSA_18transform_iteratorINSB_9not_fun_tINSA_8identityIdEEEESF_NSA_11use_defaultESM_EENS0_5tupleIJSF_S6_EEENSO_IJSG_SG_EEES6_PlJS6_EEE10hipError_tPvRmT3_T4_T5_T6_T7_T9_mT8_P12ihipStream_tbDpT10_ENKUlT_T0_E_clISt17integral_constantIbLb1EES1B_EEDaS16_S17_EUlS16_E_NS1_11comp_targetILNS1_3genE2ELNS1_11target_archE906ELNS1_3gpuE6ELNS1_3repE0EEENS1_30default_config_static_selectorELNS0_4arch9wavefront6targetE0EEEvT1_
; %bb.0:
	.section	.rodata,"a",@progbits
	.p2align	6, 0x0
	.amdhsa_kernel _ZN7rocprim17ROCPRIM_400000_NS6detail17trampoline_kernelINS0_14default_configENS1_25partition_config_selectorILNS1_17partition_subalgoE5EdNS0_10empty_typeEbEEZZNS1_14partition_implILS5_5ELb0ES3_mN6thrust23THRUST_200600_302600_NS6detail15normal_iteratorINSA_10device_ptrIdEEEEPS6_NSA_18transform_iteratorINSB_9not_fun_tINSA_8identityIdEEEESF_NSA_11use_defaultESM_EENS0_5tupleIJSF_S6_EEENSO_IJSG_SG_EEES6_PlJS6_EEE10hipError_tPvRmT3_T4_T5_T6_T7_T9_mT8_P12ihipStream_tbDpT10_ENKUlT_T0_E_clISt17integral_constantIbLb1EES1B_EEDaS16_S17_EUlS16_E_NS1_11comp_targetILNS1_3genE2ELNS1_11target_archE906ELNS1_3gpuE6ELNS1_3repE0EEENS1_30default_config_static_selectorELNS0_4arch9wavefront6targetE0EEEvT1_
		.amdhsa_group_segment_fixed_size 0
		.amdhsa_private_segment_fixed_size 0
		.amdhsa_kernarg_size 136
		.amdhsa_user_sgpr_count 2
		.amdhsa_user_sgpr_dispatch_ptr 0
		.amdhsa_user_sgpr_queue_ptr 0
		.amdhsa_user_sgpr_kernarg_segment_ptr 1
		.amdhsa_user_sgpr_dispatch_id 0
		.amdhsa_user_sgpr_private_segment_size 0
		.amdhsa_wavefront_size32 1
		.amdhsa_uses_dynamic_stack 0
		.amdhsa_enable_private_segment 0
		.amdhsa_system_sgpr_workgroup_id_x 1
		.amdhsa_system_sgpr_workgroup_id_y 0
		.amdhsa_system_sgpr_workgroup_id_z 0
		.amdhsa_system_sgpr_workgroup_info 0
		.amdhsa_system_vgpr_workitem_id 0
		.amdhsa_next_free_vgpr 1
		.amdhsa_next_free_sgpr 1
		.amdhsa_reserve_vcc 0
		.amdhsa_float_round_mode_32 0
		.amdhsa_float_round_mode_16_64 0
		.amdhsa_float_denorm_mode_32 3
		.amdhsa_float_denorm_mode_16_64 3
		.amdhsa_fp16_overflow 0
		.amdhsa_workgroup_processor_mode 1
		.amdhsa_memory_ordered 1
		.amdhsa_forward_progress 1
		.amdhsa_inst_pref_size 0
		.amdhsa_round_robin_scheduling 0
		.amdhsa_exception_fp_ieee_invalid_op 0
		.amdhsa_exception_fp_denorm_src 0
		.amdhsa_exception_fp_ieee_div_zero 0
		.amdhsa_exception_fp_ieee_overflow 0
		.amdhsa_exception_fp_ieee_underflow 0
		.amdhsa_exception_fp_ieee_inexact 0
		.amdhsa_exception_int_div_zero 0
	.end_amdhsa_kernel
	.section	.text._ZN7rocprim17ROCPRIM_400000_NS6detail17trampoline_kernelINS0_14default_configENS1_25partition_config_selectorILNS1_17partition_subalgoE5EdNS0_10empty_typeEbEEZZNS1_14partition_implILS5_5ELb0ES3_mN6thrust23THRUST_200600_302600_NS6detail15normal_iteratorINSA_10device_ptrIdEEEEPS6_NSA_18transform_iteratorINSB_9not_fun_tINSA_8identityIdEEEESF_NSA_11use_defaultESM_EENS0_5tupleIJSF_S6_EEENSO_IJSG_SG_EEES6_PlJS6_EEE10hipError_tPvRmT3_T4_T5_T6_T7_T9_mT8_P12ihipStream_tbDpT10_ENKUlT_T0_E_clISt17integral_constantIbLb1EES1B_EEDaS16_S17_EUlS16_E_NS1_11comp_targetILNS1_3genE2ELNS1_11target_archE906ELNS1_3gpuE6ELNS1_3repE0EEENS1_30default_config_static_selectorELNS0_4arch9wavefront6targetE0EEEvT1_,"axG",@progbits,_ZN7rocprim17ROCPRIM_400000_NS6detail17trampoline_kernelINS0_14default_configENS1_25partition_config_selectorILNS1_17partition_subalgoE5EdNS0_10empty_typeEbEEZZNS1_14partition_implILS5_5ELb0ES3_mN6thrust23THRUST_200600_302600_NS6detail15normal_iteratorINSA_10device_ptrIdEEEEPS6_NSA_18transform_iteratorINSB_9not_fun_tINSA_8identityIdEEEESF_NSA_11use_defaultESM_EENS0_5tupleIJSF_S6_EEENSO_IJSG_SG_EEES6_PlJS6_EEE10hipError_tPvRmT3_T4_T5_T6_T7_T9_mT8_P12ihipStream_tbDpT10_ENKUlT_T0_E_clISt17integral_constantIbLb1EES1B_EEDaS16_S17_EUlS16_E_NS1_11comp_targetILNS1_3genE2ELNS1_11target_archE906ELNS1_3gpuE6ELNS1_3repE0EEENS1_30default_config_static_selectorELNS0_4arch9wavefront6targetE0EEEvT1_,comdat
.Lfunc_end801:
	.size	_ZN7rocprim17ROCPRIM_400000_NS6detail17trampoline_kernelINS0_14default_configENS1_25partition_config_selectorILNS1_17partition_subalgoE5EdNS0_10empty_typeEbEEZZNS1_14partition_implILS5_5ELb0ES3_mN6thrust23THRUST_200600_302600_NS6detail15normal_iteratorINSA_10device_ptrIdEEEEPS6_NSA_18transform_iteratorINSB_9not_fun_tINSA_8identityIdEEEESF_NSA_11use_defaultESM_EENS0_5tupleIJSF_S6_EEENSO_IJSG_SG_EEES6_PlJS6_EEE10hipError_tPvRmT3_T4_T5_T6_T7_T9_mT8_P12ihipStream_tbDpT10_ENKUlT_T0_E_clISt17integral_constantIbLb1EES1B_EEDaS16_S17_EUlS16_E_NS1_11comp_targetILNS1_3genE2ELNS1_11target_archE906ELNS1_3gpuE6ELNS1_3repE0EEENS1_30default_config_static_selectorELNS0_4arch9wavefront6targetE0EEEvT1_, .Lfunc_end801-_ZN7rocprim17ROCPRIM_400000_NS6detail17trampoline_kernelINS0_14default_configENS1_25partition_config_selectorILNS1_17partition_subalgoE5EdNS0_10empty_typeEbEEZZNS1_14partition_implILS5_5ELb0ES3_mN6thrust23THRUST_200600_302600_NS6detail15normal_iteratorINSA_10device_ptrIdEEEEPS6_NSA_18transform_iteratorINSB_9not_fun_tINSA_8identityIdEEEESF_NSA_11use_defaultESM_EENS0_5tupleIJSF_S6_EEENSO_IJSG_SG_EEES6_PlJS6_EEE10hipError_tPvRmT3_T4_T5_T6_T7_T9_mT8_P12ihipStream_tbDpT10_ENKUlT_T0_E_clISt17integral_constantIbLb1EES1B_EEDaS16_S17_EUlS16_E_NS1_11comp_targetILNS1_3genE2ELNS1_11target_archE906ELNS1_3gpuE6ELNS1_3repE0EEENS1_30default_config_static_selectorELNS0_4arch9wavefront6targetE0EEEvT1_
                                        ; -- End function
	.set _ZN7rocprim17ROCPRIM_400000_NS6detail17trampoline_kernelINS0_14default_configENS1_25partition_config_selectorILNS1_17partition_subalgoE5EdNS0_10empty_typeEbEEZZNS1_14partition_implILS5_5ELb0ES3_mN6thrust23THRUST_200600_302600_NS6detail15normal_iteratorINSA_10device_ptrIdEEEEPS6_NSA_18transform_iteratorINSB_9not_fun_tINSA_8identityIdEEEESF_NSA_11use_defaultESM_EENS0_5tupleIJSF_S6_EEENSO_IJSG_SG_EEES6_PlJS6_EEE10hipError_tPvRmT3_T4_T5_T6_T7_T9_mT8_P12ihipStream_tbDpT10_ENKUlT_T0_E_clISt17integral_constantIbLb1EES1B_EEDaS16_S17_EUlS16_E_NS1_11comp_targetILNS1_3genE2ELNS1_11target_archE906ELNS1_3gpuE6ELNS1_3repE0EEENS1_30default_config_static_selectorELNS0_4arch9wavefront6targetE0EEEvT1_.num_vgpr, 0
	.set _ZN7rocprim17ROCPRIM_400000_NS6detail17trampoline_kernelINS0_14default_configENS1_25partition_config_selectorILNS1_17partition_subalgoE5EdNS0_10empty_typeEbEEZZNS1_14partition_implILS5_5ELb0ES3_mN6thrust23THRUST_200600_302600_NS6detail15normal_iteratorINSA_10device_ptrIdEEEEPS6_NSA_18transform_iteratorINSB_9not_fun_tINSA_8identityIdEEEESF_NSA_11use_defaultESM_EENS0_5tupleIJSF_S6_EEENSO_IJSG_SG_EEES6_PlJS6_EEE10hipError_tPvRmT3_T4_T5_T6_T7_T9_mT8_P12ihipStream_tbDpT10_ENKUlT_T0_E_clISt17integral_constantIbLb1EES1B_EEDaS16_S17_EUlS16_E_NS1_11comp_targetILNS1_3genE2ELNS1_11target_archE906ELNS1_3gpuE6ELNS1_3repE0EEENS1_30default_config_static_selectorELNS0_4arch9wavefront6targetE0EEEvT1_.num_agpr, 0
	.set _ZN7rocprim17ROCPRIM_400000_NS6detail17trampoline_kernelINS0_14default_configENS1_25partition_config_selectorILNS1_17partition_subalgoE5EdNS0_10empty_typeEbEEZZNS1_14partition_implILS5_5ELb0ES3_mN6thrust23THRUST_200600_302600_NS6detail15normal_iteratorINSA_10device_ptrIdEEEEPS6_NSA_18transform_iteratorINSB_9not_fun_tINSA_8identityIdEEEESF_NSA_11use_defaultESM_EENS0_5tupleIJSF_S6_EEENSO_IJSG_SG_EEES6_PlJS6_EEE10hipError_tPvRmT3_T4_T5_T6_T7_T9_mT8_P12ihipStream_tbDpT10_ENKUlT_T0_E_clISt17integral_constantIbLb1EES1B_EEDaS16_S17_EUlS16_E_NS1_11comp_targetILNS1_3genE2ELNS1_11target_archE906ELNS1_3gpuE6ELNS1_3repE0EEENS1_30default_config_static_selectorELNS0_4arch9wavefront6targetE0EEEvT1_.numbered_sgpr, 0
	.set _ZN7rocprim17ROCPRIM_400000_NS6detail17trampoline_kernelINS0_14default_configENS1_25partition_config_selectorILNS1_17partition_subalgoE5EdNS0_10empty_typeEbEEZZNS1_14partition_implILS5_5ELb0ES3_mN6thrust23THRUST_200600_302600_NS6detail15normal_iteratorINSA_10device_ptrIdEEEEPS6_NSA_18transform_iteratorINSB_9not_fun_tINSA_8identityIdEEEESF_NSA_11use_defaultESM_EENS0_5tupleIJSF_S6_EEENSO_IJSG_SG_EEES6_PlJS6_EEE10hipError_tPvRmT3_T4_T5_T6_T7_T9_mT8_P12ihipStream_tbDpT10_ENKUlT_T0_E_clISt17integral_constantIbLb1EES1B_EEDaS16_S17_EUlS16_E_NS1_11comp_targetILNS1_3genE2ELNS1_11target_archE906ELNS1_3gpuE6ELNS1_3repE0EEENS1_30default_config_static_selectorELNS0_4arch9wavefront6targetE0EEEvT1_.num_named_barrier, 0
	.set _ZN7rocprim17ROCPRIM_400000_NS6detail17trampoline_kernelINS0_14default_configENS1_25partition_config_selectorILNS1_17partition_subalgoE5EdNS0_10empty_typeEbEEZZNS1_14partition_implILS5_5ELb0ES3_mN6thrust23THRUST_200600_302600_NS6detail15normal_iteratorINSA_10device_ptrIdEEEEPS6_NSA_18transform_iteratorINSB_9not_fun_tINSA_8identityIdEEEESF_NSA_11use_defaultESM_EENS0_5tupleIJSF_S6_EEENSO_IJSG_SG_EEES6_PlJS6_EEE10hipError_tPvRmT3_T4_T5_T6_T7_T9_mT8_P12ihipStream_tbDpT10_ENKUlT_T0_E_clISt17integral_constantIbLb1EES1B_EEDaS16_S17_EUlS16_E_NS1_11comp_targetILNS1_3genE2ELNS1_11target_archE906ELNS1_3gpuE6ELNS1_3repE0EEENS1_30default_config_static_selectorELNS0_4arch9wavefront6targetE0EEEvT1_.private_seg_size, 0
	.set _ZN7rocprim17ROCPRIM_400000_NS6detail17trampoline_kernelINS0_14default_configENS1_25partition_config_selectorILNS1_17partition_subalgoE5EdNS0_10empty_typeEbEEZZNS1_14partition_implILS5_5ELb0ES3_mN6thrust23THRUST_200600_302600_NS6detail15normal_iteratorINSA_10device_ptrIdEEEEPS6_NSA_18transform_iteratorINSB_9not_fun_tINSA_8identityIdEEEESF_NSA_11use_defaultESM_EENS0_5tupleIJSF_S6_EEENSO_IJSG_SG_EEES6_PlJS6_EEE10hipError_tPvRmT3_T4_T5_T6_T7_T9_mT8_P12ihipStream_tbDpT10_ENKUlT_T0_E_clISt17integral_constantIbLb1EES1B_EEDaS16_S17_EUlS16_E_NS1_11comp_targetILNS1_3genE2ELNS1_11target_archE906ELNS1_3gpuE6ELNS1_3repE0EEENS1_30default_config_static_selectorELNS0_4arch9wavefront6targetE0EEEvT1_.uses_vcc, 0
	.set _ZN7rocprim17ROCPRIM_400000_NS6detail17trampoline_kernelINS0_14default_configENS1_25partition_config_selectorILNS1_17partition_subalgoE5EdNS0_10empty_typeEbEEZZNS1_14partition_implILS5_5ELb0ES3_mN6thrust23THRUST_200600_302600_NS6detail15normal_iteratorINSA_10device_ptrIdEEEEPS6_NSA_18transform_iteratorINSB_9not_fun_tINSA_8identityIdEEEESF_NSA_11use_defaultESM_EENS0_5tupleIJSF_S6_EEENSO_IJSG_SG_EEES6_PlJS6_EEE10hipError_tPvRmT3_T4_T5_T6_T7_T9_mT8_P12ihipStream_tbDpT10_ENKUlT_T0_E_clISt17integral_constantIbLb1EES1B_EEDaS16_S17_EUlS16_E_NS1_11comp_targetILNS1_3genE2ELNS1_11target_archE906ELNS1_3gpuE6ELNS1_3repE0EEENS1_30default_config_static_selectorELNS0_4arch9wavefront6targetE0EEEvT1_.uses_flat_scratch, 0
	.set _ZN7rocprim17ROCPRIM_400000_NS6detail17trampoline_kernelINS0_14default_configENS1_25partition_config_selectorILNS1_17partition_subalgoE5EdNS0_10empty_typeEbEEZZNS1_14partition_implILS5_5ELb0ES3_mN6thrust23THRUST_200600_302600_NS6detail15normal_iteratorINSA_10device_ptrIdEEEEPS6_NSA_18transform_iteratorINSB_9not_fun_tINSA_8identityIdEEEESF_NSA_11use_defaultESM_EENS0_5tupleIJSF_S6_EEENSO_IJSG_SG_EEES6_PlJS6_EEE10hipError_tPvRmT3_T4_T5_T6_T7_T9_mT8_P12ihipStream_tbDpT10_ENKUlT_T0_E_clISt17integral_constantIbLb1EES1B_EEDaS16_S17_EUlS16_E_NS1_11comp_targetILNS1_3genE2ELNS1_11target_archE906ELNS1_3gpuE6ELNS1_3repE0EEENS1_30default_config_static_selectorELNS0_4arch9wavefront6targetE0EEEvT1_.has_dyn_sized_stack, 0
	.set _ZN7rocprim17ROCPRIM_400000_NS6detail17trampoline_kernelINS0_14default_configENS1_25partition_config_selectorILNS1_17partition_subalgoE5EdNS0_10empty_typeEbEEZZNS1_14partition_implILS5_5ELb0ES3_mN6thrust23THRUST_200600_302600_NS6detail15normal_iteratorINSA_10device_ptrIdEEEEPS6_NSA_18transform_iteratorINSB_9not_fun_tINSA_8identityIdEEEESF_NSA_11use_defaultESM_EENS0_5tupleIJSF_S6_EEENSO_IJSG_SG_EEES6_PlJS6_EEE10hipError_tPvRmT3_T4_T5_T6_T7_T9_mT8_P12ihipStream_tbDpT10_ENKUlT_T0_E_clISt17integral_constantIbLb1EES1B_EEDaS16_S17_EUlS16_E_NS1_11comp_targetILNS1_3genE2ELNS1_11target_archE906ELNS1_3gpuE6ELNS1_3repE0EEENS1_30default_config_static_selectorELNS0_4arch9wavefront6targetE0EEEvT1_.has_recursion, 0
	.set _ZN7rocprim17ROCPRIM_400000_NS6detail17trampoline_kernelINS0_14default_configENS1_25partition_config_selectorILNS1_17partition_subalgoE5EdNS0_10empty_typeEbEEZZNS1_14partition_implILS5_5ELb0ES3_mN6thrust23THRUST_200600_302600_NS6detail15normal_iteratorINSA_10device_ptrIdEEEEPS6_NSA_18transform_iteratorINSB_9not_fun_tINSA_8identityIdEEEESF_NSA_11use_defaultESM_EENS0_5tupleIJSF_S6_EEENSO_IJSG_SG_EEES6_PlJS6_EEE10hipError_tPvRmT3_T4_T5_T6_T7_T9_mT8_P12ihipStream_tbDpT10_ENKUlT_T0_E_clISt17integral_constantIbLb1EES1B_EEDaS16_S17_EUlS16_E_NS1_11comp_targetILNS1_3genE2ELNS1_11target_archE906ELNS1_3gpuE6ELNS1_3repE0EEENS1_30default_config_static_selectorELNS0_4arch9wavefront6targetE0EEEvT1_.has_indirect_call, 0
	.section	.AMDGPU.csdata,"",@progbits
; Kernel info:
; codeLenInByte = 0
; TotalNumSgprs: 0
; NumVgprs: 0
; ScratchSize: 0
; MemoryBound: 0
; FloatMode: 240
; IeeeMode: 1
; LDSByteSize: 0 bytes/workgroup (compile time only)
; SGPRBlocks: 0
; VGPRBlocks: 0
; NumSGPRsForWavesPerEU: 1
; NumVGPRsForWavesPerEU: 1
; Occupancy: 16
; WaveLimiterHint : 0
; COMPUTE_PGM_RSRC2:SCRATCH_EN: 0
; COMPUTE_PGM_RSRC2:USER_SGPR: 2
; COMPUTE_PGM_RSRC2:TRAP_HANDLER: 0
; COMPUTE_PGM_RSRC2:TGID_X_EN: 1
; COMPUTE_PGM_RSRC2:TGID_Y_EN: 0
; COMPUTE_PGM_RSRC2:TGID_Z_EN: 0
; COMPUTE_PGM_RSRC2:TIDIG_COMP_CNT: 0
	.section	.text._ZN7rocprim17ROCPRIM_400000_NS6detail17trampoline_kernelINS0_14default_configENS1_25partition_config_selectorILNS1_17partition_subalgoE5EdNS0_10empty_typeEbEEZZNS1_14partition_implILS5_5ELb0ES3_mN6thrust23THRUST_200600_302600_NS6detail15normal_iteratorINSA_10device_ptrIdEEEEPS6_NSA_18transform_iteratorINSB_9not_fun_tINSA_8identityIdEEEESF_NSA_11use_defaultESM_EENS0_5tupleIJSF_S6_EEENSO_IJSG_SG_EEES6_PlJS6_EEE10hipError_tPvRmT3_T4_T5_T6_T7_T9_mT8_P12ihipStream_tbDpT10_ENKUlT_T0_E_clISt17integral_constantIbLb1EES1B_EEDaS16_S17_EUlS16_E_NS1_11comp_targetILNS1_3genE10ELNS1_11target_archE1200ELNS1_3gpuE4ELNS1_3repE0EEENS1_30default_config_static_selectorELNS0_4arch9wavefront6targetE0EEEvT1_,"axG",@progbits,_ZN7rocprim17ROCPRIM_400000_NS6detail17trampoline_kernelINS0_14default_configENS1_25partition_config_selectorILNS1_17partition_subalgoE5EdNS0_10empty_typeEbEEZZNS1_14partition_implILS5_5ELb0ES3_mN6thrust23THRUST_200600_302600_NS6detail15normal_iteratorINSA_10device_ptrIdEEEEPS6_NSA_18transform_iteratorINSB_9not_fun_tINSA_8identityIdEEEESF_NSA_11use_defaultESM_EENS0_5tupleIJSF_S6_EEENSO_IJSG_SG_EEES6_PlJS6_EEE10hipError_tPvRmT3_T4_T5_T6_T7_T9_mT8_P12ihipStream_tbDpT10_ENKUlT_T0_E_clISt17integral_constantIbLb1EES1B_EEDaS16_S17_EUlS16_E_NS1_11comp_targetILNS1_3genE10ELNS1_11target_archE1200ELNS1_3gpuE4ELNS1_3repE0EEENS1_30default_config_static_selectorELNS0_4arch9wavefront6targetE0EEEvT1_,comdat
	.protected	_ZN7rocprim17ROCPRIM_400000_NS6detail17trampoline_kernelINS0_14default_configENS1_25partition_config_selectorILNS1_17partition_subalgoE5EdNS0_10empty_typeEbEEZZNS1_14partition_implILS5_5ELb0ES3_mN6thrust23THRUST_200600_302600_NS6detail15normal_iteratorINSA_10device_ptrIdEEEEPS6_NSA_18transform_iteratorINSB_9not_fun_tINSA_8identityIdEEEESF_NSA_11use_defaultESM_EENS0_5tupleIJSF_S6_EEENSO_IJSG_SG_EEES6_PlJS6_EEE10hipError_tPvRmT3_T4_T5_T6_T7_T9_mT8_P12ihipStream_tbDpT10_ENKUlT_T0_E_clISt17integral_constantIbLb1EES1B_EEDaS16_S17_EUlS16_E_NS1_11comp_targetILNS1_3genE10ELNS1_11target_archE1200ELNS1_3gpuE4ELNS1_3repE0EEENS1_30default_config_static_selectorELNS0_4arch9wavefront6targetE0EEEvT1_ ; -- Begin function _ZN7rocprim17ROCPRIM_400000_NS6detail17trampoline_kernelINS0_14default_configENS1_25partition_config_selectorILNS1_17partition_subalgoE5EdNS0_10empty_typeEbEEZZNS1_14partition_implILS5_5ELb0ES3_mN6thrust23THRUST_200600_302600_NS6detail15normal_iteratorINSA_10device_ptrIdEEEEPS6_NSA_18transform_iteratorINSB_9not_fun_tINSA_8identityIdEEEESF_NSA_11use_defaultESM_EENS0_5tupleIJSF_S6_EEENSO_IJSG_SG_EEES6_PlJS6_EEE10hipError_tPvRmT3_T4_T5_T6_T7_T9_mT8_P12ihipStream_tbDpT10_ENKUlT_T0_E_clISt17integral_constantIbLb1EES1B_EEDaS16_S17_EUlS16_E_NS1_11comp_targetILNS1_3genE10ELNS1_11target_archE1200ELNS1_3gpuE4ELNS1_3repE0EEENS1_30default_config_static_selectorELNS0_4arch9wavefront6targetE0EEEvT1_
	.globl	_ZN7rocprim17ROCPRIM_400000_NS6detail17trampoline_kernelINS0_14default_configENS1_25partition_config_selectorILNS1_17partition_subalgoE5EdNS0_10empty_typeEbEEZZNS1_14partition_implILS5_5ELb0ES3_mN6thrust23THRUST_200600_302600_NS6detail15normal_iteratorINSA_10device_ptrIdEEEEPS6_NSA_18transform_iteratorINSB_9not_fun_tINSA_8identityIdEEEESF_NSA_11use_defaultESM_EENS0_5tupleIJSF_S6_EEENSO_IJSG_SG_EEES6_PlJS6_EEE10hipError_tPvRmT3_T4_T5_T6_T7_T9_mT8_P12ihipStream_tbDpT10_ENKUlT_T0_E_clISt17integral_constantIbLb1EES1B_EEDaS16_S17_EUlS16_E_NS1_11comp_targetILNS1_3genE10ELNS1_11target_archE1200ELNS1_3gpuE4ELNS1_3repE0EEENS1_30default_config_static_selectorELNS0_4arch9wavefront6targetE0EEEvT1_
	.p2align	8
	.type	_ZN7rocprim17ROCPRIM_400000_NS6detail17trampoline_kernelINS0_14default_configENS1_25partition_config_selectorILNS1_17partition_subalgoE5EdNS0_10empty_typeEbEEZZNS1_14partition_implILS5_5ELb0ES3_mN6thrust23THRUST_200600_302600_NS6detail15normal_iteratorINSA_10device_ptrIdEEEEPS6_NSA_18transform_iteratorINSB_9not_fun_tINSA_8identityIdEEEESF_NSA_11use_defaultESM_EENS0_5tupleIJSF_S6_EEENSO_IJSG_SG_EEES6_PlJS6_EEE10hipError_tPvRmT3_T4_T5_T6_T7_T9_mT8_P12ihipStream_tbDpT10_ENKUlT_T0_E_clISt17integral_constantIbLb1EES1B_EEDaS16_S17_EUlS16_E_NS1_11comp_targetILNS1_3genE10ELNS1_11target_archE1200ELNS1_3gpuE4ELNS1_3repE0EEENS1_30default_config_static_selectorELNS0_4arch9wavefront6targetE0EEEvT1_,@function
_ZN7rocprim17ROCPRIM_400000_NS6detail17trampoline_kernelINS0_14default_configENS1_25partition_config_selectorILNS1_17partition_subalgoE5EdNS0_10empty_typeEbEEZZNS1_14partition_implILS5_5ELb0ES3_mN6thrust23THRUST_200600_302600_NS6detail15normal_iteratorINSA_10device_ptrIdEEEEPS6_NSA_18transform_iteratorINSB_9not_fun_tINSA_8identityIdEEEESF_NSA_11use_defaultESM_EENS0_5tupleIJSF_S6_EEENSO_IJSG_SG_EEES6_PlJS6_EEE10hipError_tPvRmT3_T4_T5_T6_T7_T9_mT8_P12ihipStream_tbDpT10_ENKUlT_T0_E_clISt17integral_constantIbLb1EES1B_EEDaS16_S17_EUlS16_E_NS1_11comp_targetILNS1_3genE10ELNS1_11target_archE1200ELNS1_3gpuE4ELNS1_3repE0EEENS1_30default_config_static_selectorELNS0_4arch9wavefront6targetE0EEEvT1_: ; @_ZN7rocprim17ROCPRIM_400000_NS6detail17trampoline_kernelINS0_14default_configENS1_25partition_config_selectorILNS1_17partition_subalgoE5EdNS0_10empty_typeEbEEZZNS1_14partition_implILS5_5ELb0ES3_mN6thrust23THRUST_200600_302600_NS6detail15normal_iteratorINSA_10device_ptrIdEEEEPS6_NSA_18transform_iteratorINSB_9not_fun_tINSA_8identityIdEEEESF_NSA_11use_defaultESM_EENS0_5tupleIJSF_S6_EEENSO_IJSG_SG_EEES6_PlJS6_EEE10hipError_tPvRmT3_T4_T5_T6_T7_T9_mT8_P12ihipStream_tbDpT10_ENKUlT_T0_E_clISt17integral_constantIbLb1EES1B_EEDaS16_S17_EUlS16_E_NS1_11comp_targetILNS1_3genE10ELNS1_11target_archE1200ELNS1_3gpuE4ELNS1_3repE0EEENS1_30default_config_static_selectorELNS0_4arch9wavefront6targetE0EEEvT1_
; %bb.0:
	s_endpgm
	.section	.rodata,"a",@progbits
	.p2align	6, 0x0
	.amdhsa_kernel _ZN7rocprim17ROCPRIM_400000_NS6detail17trampoline_kernelINS0_14default_configENS1_25partition_config_selectorILNS1_17partition_subalgoE5EdNS0_10empty_typeEbEEZZNS1_14partition_implILS5_5ELb0ES3_mN6thrust23THRUST_200600_302600_NS6detail15normal_iteratorINSA_10device_ptrIdEEEEPS6_NSA_18transform_iteratorINSB_9not_fun_tINSA_8identityIdEEEESF_NSA_11use_defaultESM_EENS0_5tupleIJSF_S6_EEENSO_IJSG_SG_EEES6_PlJS6_EEE10hipError_tPvRmT3_T4_T5_T6_T7_T9_mT8_P12ihipStream_tbDpT10_ENKUlT_T0_E_clISt17integral_constantIbLb1EES1B_EEDaS16_S17_EUlS16_E_NS1_11comp_targetILNS1_3genE10ELNS1_11target_archE1200ELNS1_3gpuE4ELNS1_3repE0EEENS1_30default_config_static_selectorELNS0_4arch9wavefront6targetE0EEEvT1_
		.amdhsa_group_segment_fixed_size 0
		.amdhsa_private_segment_fixed_size 0
		.amdhsa_kernarg_size 136
		.amdhsa_user_sgpr_count 2
		.amdhsa_user_sgpr_dispatch_ptr 0
		.amdhsa_user_sgpr_queue_ptr 0
		.amdhsa_user_sgpr_kernarg_segment_ptr 1
		.amdhsa_user_sgpr_dispatch_id 0
		.amdhsa_user_sgpr_private_segment_size 0
		.amdhsa_wavefront_size32 1
		.amdhsa_uses_dynamic_stack 0
		.amdhsa_enable_private_segment 0
		.amdhsa_system_sgpr_workgroup_id_x 1
		.amdhsa_system_sgpr_workgroup_id_y 0
		.amdhsa_system_sgpr_workgroup_id_z 0
		.amdhsa_system_sgpr_workgroup_info 0
		.amdhsa_system_vgpr_workitem_id 0
		.amdhsa_next_free_vgpr 1
		.amdhsa_next_free_sgpr 1
		.amdhsa_reserve_vcc 0
		.amdhsa_float_round_mode_32 0
		.amdhsa_float_round_mode_16_64 0
		.amdhsa_float_denorm_mode_32 3
		.amdhsa_float_denorm_mode_16_64 3
		.amdhsa_fp16_overflow 0
		.amdhsa_workgroup_processor_mode 1
		.amdhsa_memory_ordered 1
		.amdhsa_forward_progress 1
		.amdhsa_inst_pref_size 1
		.amdhsa_round_robin_scheduling 0
		.amdhsa_exception_fp_ieee_invalid_op 0
		.amdhsa_exception_fp_denorm_src 0
		.amdhsa_exception_fp_ieee_div_zero 0
		.amdhsa_exception_fp_ieee_overflow 0
		.amdhsa_exception_fp_ieee_underflow 0
		.amdhsa_exception_fp_ieee_inexact 0
		.amdhsa_exception_int_div_zero 0
	.end_amdhsa_kernel
	.section	.text._ZN7rocprim17ROCPRIM_400000_NS6detail17trampoline_kernelINS0_14default_configENS1_25partition_config_selectorILNS1_17partition_subalgoE5EdNS0_10empty_typeEbEEZZNS1_14partition_implILS5_5ELb0ES3_mN6thrust23THRUST_200600_302600_NS6detail15normal_iteratorINSA_10device_ptrIdEEEEPS6_NSA_18transform_iteratorINSB_9not_fun_tINSA_8identityIdEEEESF_NSA_11use_defaultESM_EENS0_5tupleIJSF_S6_EEENSO_IJSG_SG_EEES6_PlJS6_EEE10hipError_tPvRmT3_T4_T5_T6_T7_T9_mT8_P12ihipStream_tbDpT10_ENKUlT_T0_E_clISt17integral_constantIbLb1EES1B_EEDaS16_S17_EUlS16_E_NS1_11comp_targetILNS1_3genE10ELNS1_11target_archE1200ELNS1_3gpuE4ELNS1_3repE0EEENS1_30default_config_static_selectorELNS0_4arch9wavefront6targetE0EEEvT1_,"axG",@progbits,_ZN7rocprim17ROCPRIM_400000_NS6detail17trampoline_kernelINS0_14default_configENS1_25partition_config_selectorILNS1_17partition_subalgoE5EdNS0_10empty_typeEbEEZZNS1_14partition_implILS5_5ELb0ES3_mN6thrust23THRUST_200600_302600_NS6detail15normal_iteratorINSA_10device_ptrIdEEEEPS6_NSA_18transform_iteratorINSB_9not_fun_tINSA_8identityIdEEEESF_NSA_11use_defaultESM_EENS0_5tupleIJSF_S6_EEENSO_IJSG_SG_EEES6_PlJS6_EEE10hipError_tPvRmT3_T4_T5_T6_T7_T9_mT8_P12ihipStream_tbDpT10_ENKUlT_T0_E_clISt17integral_constantIbLb1EES1B_EEDaS16_S17_EUlS16_E_NS1_11comp_targetILNS1_3genE10ELNS1_11target_archE1200ELNS1_3gpuE4ELNS1_3repE0EEENS1_30default_config_static_selectorELNS0_4arch9wavefront6targetE0EEEvT1_,comdat
.Lfunc_end802:
	.size	_ZN7rocprim17ROCPRIM_400000_NS6detail17trampoline_kernelINS0_14default_configENS1_25partition_config_selectorILNS1_17partition_subalgoE5EdNS0_10empty_typeEbEEZZNS1_14partition_implILS5_5ELb0ES3_mN6thrust23THRUST_200600_302600_NS6detail15normal_iteratorINSA_10device_ptrIdEEEEPS6_NSA_18transform_iteratorINSB_9not_fun_tINSA_8identityIdEEEESF_NSA_11use_defaultESM_EENS0_5tupleIJSF_S6_EEENSO_IJSG_SG_EEES6_PlJS6_EEE10hipError_tPvRmT3_T4_T5_T6_T7_T9_mT8_P12ihipStream_tbDpT10_ENKUlT_T0_E_clISt17integral_constantIbLb1EES1B_EEDaS16_S17_EUlS16_E_NS1_11comp_targetILNS1_3genE10ELNS1_11target_archE1200ELNS1_3gpuE4ELNS1_3repE0EEENS1_30default_config_static_selectorELNS0_4arch9wavefront6targetE0EEEvT1_, .Lfunc_end802-_ZN7rocprim17ROCPRIM_400000_NS6detail17trampoline_kernelINS0_14default_configENS1_25partition_config_selectorILNS1_17partition_subalgoE5EdNS0_10empty_typeEbEEZZNS1_14partition_implILS5_5ELb0ES3_mN6thrust23THRUST_200600_302600_NS6detail15normal_iteratorINSA_10device_ptrIdEEEEPS6_NSA_18transform_iteratorINSB_9not_fun_tINSA_8identityIdEEEESF_NSA_11use_defaultESM_EENS0_5tupleIJSF_S6_EEENSO_IJSG_SG_EEES6_PlJS6_EEE10hipError_tPvRmT3_T4_T5_T6_T7_T9_mT8_P12ihipStream_tbDpT10_ENKUlT_T0_E_clISt17integral_constantIbLb1EES1B_EEDaS16_S17_EUlS16_E_NS1_11comp_targetILNS1_3genE10ELNS1_11target_archE1200ELNS1_3gpuE4ELNS1_3repE0EEENS1_30default_config_static_selectorELNS0_4arch9wavefront6targetE0EEEvT1_
                                        ; -- End function
	.set _ZN7rocprim17ROCPRIM_400000_NS6detail17trampoline_kernelINS0_14default_configENS1_25partition_config_selectorILNS1_17partition_subalgoE5EdNS0_10empty_typeEbEEZZNS1_14partition_implILS5_5ELb0ES3_mN6thrust23THRUST_200600_302600_NS6detail15normal_iteratorINSA_10device_ptrIdEEEEPS6_NSA_18transform_iteratorINSB_9not_fun_tINSA_8identityIdEEEESF_NSA_11use_defaultESM_EENS0_5tupleIJSF_S6_EEENSO_IJSG_SG_EEES6_PlJS6_EEE10hipError_tPvRmT3_T4_T5_T6_T7_T9_mT8_P12ihipStream_tbDpT10_ENKUlT_T0_E_clISt17integral_constantIbLb1EES1B_EEDaS16_S17_EUlS16_E_NS1_11comp_targetILNS1_3genE10ELNS1_11target_archE1200ELNS1_3gpuE4ELNS1_3repE0EEENS1_30default_config_static_selectorELNS0_4arch9wavefront6targetE0EEEvT1_.num_vgpr, 0
	.set _ZN7rocprim17ROCPRIM_400000_NS6detail17trampoline_kernelINS0_14default_configENS1_25partition_config_selectorILNS1_17partition_subalgoE5EdNS0_10empty_typeEbEEZZNS1_14partition_implILS5_5ELb0ES3_mN6thrust23THRUST_200600_302600_NS6detail15normal_iteratorINSA_10device_ptrIdEEEEPS6_NSA_18transform_iteratorINSB_9not_fun_tINSA_8identityIdEEEESF_NSA_11use_defaultESM_EENS0_5tupleIJSF_S6_EEENSO_IJSG_SG_EEES6_PlJS6_EEE10hipError_tPvRmT3_T4_T5_T6_T7_T9_mT8_P12ihipStream_tbDpT10_ENKUlT_T0_E_clISt17integral_constantIbLb1EES1B_EEDaS16_S17_EUlS16_E_NS1_11comp_targetILNS1_3genE10ELNS1_11target_archE1200ELNS1_3gpuE4ELNS1_3repE0EEENS1_30default_config_static_selectorELNS0_4arch9wavefront6targetE0EEEvT1_.num_agpr, 0
	.set _ZN7rocprim17ROCPRIM_400000_NS6detail17trampoline_kernelINS0_14default_configENS1_25partition_config_selectorILNS1_17partition_subalgoE5EdNS0_10empty_typeEbEEZZNS1_14partition_implILS5_5ELb0ES3_mN6thrust23THRUST_200600_302600_NS6detail15normal_iteratorINSA_10device_ptrIdEEEEPS6_NSA_18transform_iteratorINSB_9not_fun_tINSA_8identityIdEEEESF_NSA_11use_defaultESM_EENS0_5tupleIJSF_S6_EEENSO_IJSG_SG_EEES6_PlJS6_EEE10hipError_tPvRmT3_T4_T5_T6_T7_T9_mT8_P12ihipStream_tbDpT10_ENKUlT_T0_E_clISt17integral_constantIbLb1EES1B_EEDaS16_S17_EUlS16_E_NS1_11comp_targetILNS1_3genE10ELNS1_11target_archE1200ELNS1_3gpuE4ELNS1_3repE0EEENS1_30default_config_static_selectorELNS0_4arch9wavefront6targetE0EEEvT1_.numbered_sgpr, 0
	.set _ZN7rocprim17ROCPRIM_400000_NS6detail17trampoline_kernelINS0_14default_configENS1_25partition_config_selectorILNS1_17partition_subalgoE5EdNS0_10empty_typeEbEEZZNS1_14partition_implILS5_5ELb0ES3_mN6thrust23THRUST_200600_302600_NS6detail15normal_iteratorINSA_10device_ptrIdEEEEPS6_NSA_18transform_iteratorINSB_9not_fun_tINSA_8identityIdEEEESF_NSA_11use_defaultESM_EENS0_5tupleIJSF_S6_EEENSO_IJSG_SG_EEES6_PlJS6_EEE10hipError_tPvRmT3_T4_T5_T6_T7_T9_mT8_P12ihipStream_tbDpT10_ENKUlT_T0_E_clISt17integral_constantIbLb1EES1B_EEDaS16_S17_EUlS16_E_NS1_11comp_targetILNS1_3genE10ELNS1_11target_archE1200ELNS1_3gpuE4ELNS1_3repE0EEENS1_30default_config_static_selectorELNS0_4arch9wavefront6targetE0EEEvT1_.num_named_barrier, 0
	.set _ZN7rocprim17ROCPRIM_400000_NS6detail17trampoline_kernelINS0_14default_configENS1_25partition_config_selectorILNS1_17partition_subalgoE5EdNS0_10empty_typeEbEEZZNS1_14partition_implILS5_5ELb0ES3_mN6thrust23THRUST_200600_302600_NS6detail15normal_iteratorINSA_10device_ptrIdEEEEPS6_NSA_18transform_iteratorINSB_9not_fun_tINSA_8identityIdEEEESF_NSA_11use_defaultESM_EENS0_5tupleIJSF_S6_EEENSO_IJSG_SG_EEES6_PlJS6_EEE10hipError_tPvRmT3_T4_T5_T6_T7_T9_mT8_P12ihipStream_tbDpT10_ENKUlT_T0_E_clISt17integral_constantIbLb1EES1B_EEDaS16_S17_EUlS16_E_NS1_11comp_targetILNS1_3genE10ELNS1_11target_archE1200ELNS1_3gpuE4ELNS1_3repE0EEENS1_30default_config_static_selectorELNS0_4arch9wavefront6targetE0EEEvT1_.private_seg_size, 0
	.set _ZN7rocprim17ROCPRIM_400000_NS6detail17trampoline_kernelINS0_14default_configENS1_25partition_config_selectorILNS1_17partition_subalgoE5EdNS0_10empty_typeEbEEZZNS1_14partition_implILS5_5ELb0ES3_mN6thrust23THRUST_200600_302600_NS6detail15normal_iteratorINSA_10device_ptrIdEEEEPS6_NSA_18transform_iteratorINSB_9not_fun_tINSA_8identityIdEEEESF_NSA_11use_defaultESM_EENS0_5tupleIJSF_S6_EEENSO_IJSG_SG_EEES6_PlJS6_EEE10hipError_tPvRmT3_T4_T5_T6_T7_T9_mT8_P12ihipStream_tbDpT10_ENKUlT_T0_E_clISt17integral_constantIbLb1EES1B_EEDaS16_S17_EUlS16_E_NS1_11comp_targetILNS1_3genE10ELNS1_11target_archE1200ELNS1_3gpuE4ELNS1_3repE0EEENS1_30default_config_static_selectorELNS0_4arch9wavefront6targetE0EEEvT1_.uses_vcc, 0
	.set _ZN7rocprim17ROCPRIM_400000_NS6detail17trampoline_kernelINS0_14default_configENS1_25partition_config_selectorILNS1_17partition_subalgoE5EdNS0_10empty_typeEbEEZZNS1_14partition_implILS5_5ELb0ES3_mN6thrust23THRUST_200600_302600_NS6detail15normal_iteratorINSA_10device_ptrIdEEEEPS6_NSA_18transform_iteratorINSB_9not_fun_tINSA_8identityIdEEEESF_NSA_11use_defaultESM_EENS0_5tupleIJSF_S6_EEENSO_IJSG_SG_EEES6_PlJS6_EEE10hipError_tPvRmT3_T4_T5_T6_T7_T9_mT8_P12ihipStream_tbDpT10_ENKUlT_T0_E_clISt17integral_constantIbLb1EES1B_EEDaS16_S17_EUlS16_E_NS1_11comp_targetILNS1_3genE10ELNS1_11target_archE1200ELNS1_3gpuE4ELNS1_3repE0EEENS1_30default_config_static_selectorELNS0_4arch9wavefront6targetE0EEEvT1_.uses_flat_scratch, 0
	.set _ZN7rocprim17ROCPRIM_400000_NS6detail17trampoline_kernelINS0_14default_configENS1_25partition_config_selectorILNS1_17partition_subalgoE5EdNS0_10empty_typeEbEEZZNS1_14partition_implILS5_5ELb0ES3_mN6thrust23THRUST_200600_302600_NS6detail15normal_iteratorINSA_10device_ptrIdEEEEPS6_NSA_18transform_iteratorINSB_9not_fun_tINSA_8identityIdEEEESF_NSA_11use_defaultESM_EENS0_5tupleIJSF_S6_EEENSO_IJSG_SG_EEES6_PlJS6_EEE10hipError_tPvRmT3_T4_T5_T6_T7_T9_mT8_P12ihipStream_tbDpT10_ENKUlT_T0_E_clISt17integral_constantIbLb1EES1B_EEDaS16_S17_EUlS16_E_NS1_11comp_targetILNS1_3genE10ELNS1_11target_archE1200ELNS1_3gpuE4ELNS1_3repE0EEENS1_30default_config_static_selectorELNS0_4arch9wavefront6targetE0EEEvT1_.has_dyn_sized_stack, 0
	.set _ZN7rocprim17ROCPRIM_400000_NS6detail17trampoline_kernelINS0_14default_configENS1_25partition_config_selectorILNS1_17partition_subalgoE5EdNS0_10empty_typeEbEEZZNS1_14partition_implILS5_5ELb0ES3_mN6thrust23THRUST_200600_302600_NS6detail15normal_iteratorINSA_10device_ptrIdEEEEPS6_NSA_18transform_iteratorINSB_9not_fun_tINSA_8identityIdEEEESF_NSA_11use_defaultESM_EENS0_5tupleIJSF_S6_EEENSO_IJSG_SG_EEES6_PlJS6_EEE10hipError_tPvRmT3_T4_T5_T6_T7_T9_mT8_P12ihipStream_tbDpT10_ENKUlT_T0_E_clISt17integral_constantIbLb1EES1B_EEDaS16_S17_EUlS16_E_NS1_11comp_targetILNS1_3genE10ELNS1_11target_archE1200ELNS1_3gpuE4ELNS1_3repE0EEENS1_30default_config_static_selectorELNS0_4arch9wavefront6targetE0EEEvT1_.has_recursion, 0
	.set _ZN7rocprim17ROCPRIM_400000_NS6detail17trampoline_kernelINS0_14default_configENS1_25partition_config_selectorILNS1_17partition_subalgoE5EdNS0_10empty_typeEbEEZZNS1_14partition_implILS5_5ELb0ES3_mN6thrust23THRUST_200600_302600_NS6detail15normal_iteratorINSA_10device_ptrIdEEEEPS6_NSA_18transform_iteratorINSB_9not_fun_tINSA_8identityIdEEEESF_NSA_11use_defaultESM_EENS0_5tupleIJSF_S6_EEENSO_IJSG_SG_EEES6_PlJS6_EEE10hipError_tPvRmT3_T4_T5_T6_T7_T9_mT8_P12ihipStream_tbDpT10_ENKUlT_T0_E_clISt17integral_constantIbLb1EES1B_EEDaS16_S17_EUlS16_E_NS1_11comp_targetILNS1_3genE10ELNS1_11target_archE1200ELNS1_3gpuE4ELNS1_3repE0EEENS1_30default_config_static_selectorELNS0_4arch9wavefront6targetE0EEEvT1_.has_indirect_call, 0
	.section	.AMDGPU.csdata,"",@progbits
; Kernel info:
; codeLenInByte = 4
; TotalNumSgprs: 0
; NumVgprs: 0
; ScratchSize: 0
; MemoryBound: 0
; FloatMode: 240
; IeeeMode: 1
; LDSByteSize: 0 bytes/workgroup (compile time only)
; SGPRBlocks: 0
; VGPRBlocks: 0
; NumSGPRsForWavesPerEU: 1
; NumVGPRsForWavesPerEU: 1
; Occupancy: 16
; WaveLimiterHint : 0
; COMPUTE_PGM_RSRC2:SCRATCH_EN: 0
; COMPUTE_PGM_RSRC2:USER_SGPR: 2
; COMPUTE_PGM_RSRC2:TRAP_HANDLER: 0
; COMPUTE_PGM_RSRC2:TGID_X_EN: 1
; COMPUTE_PGM_RSRC2:TGID_Y_EN: 0
; COMPUTE_PGM_RSRC2:TGID_Z_EN: 0
; COMPUTE_PGM_RSRC2:TIDIG_COMP_CNT: 0
	.section	.text._ZN7rocprim17ROCPRIM_400000_NS6detail17trampoline_kernelINS0_14default_configENS1_25partition_config_selectorILNS1_17partition_subalgoE5EdNS0_10empty_typeEbEEZZNS1_14partition_implILS5_5ELb0ES3_mN6thrust23THRUST_200600_302600_NS6detail15normal_iteratorINSA_10device_ptrIdEEEEPS6_NSA_18transform_iteratorINSB_9not_fun_tINSA_8identityIdEEEESF_NSA_11use_defaultESM_EENS0_5tupleIJSF_S6_EEENSO_IJSG_SG_EEES6_PlJS6_EEE10hipError_tPvRmT3_T4_T5_T6_T7_T9_mT8_P12ihipStream_tbDpT10_ENKUlT_T0_E_clISt17integral_constantIbLb1EES1B_EEDaS16_S17_EUlS16_E_NS1_11comp_targetILNS1_3genE9ELNS1_11target_archE1100ELNS1_3gpuE3ELNS1_3repE0EEENS1_30default_config_static_selectorELNS0_4arch9wavefront6targetE0EEEvT1_,"axG",@progbits,_ZN7rocprim17ROCPRIM_400000_NS6detail17trampoline_kernelINS0_14default_configENS1_25partition_config_selectorILNS1_17partition_subalgoE5EdNS0_10empty_typeEbEEZZNS1_14partition_implILS5_5ELb0ES3_mN6thrust23THRUST_200600_302600_NS6detail15normal_iteratorINSA_10device_ptrIdEEEEPS6_NSA_18transform_iteratorINSB_9not_fun_tINSA_8identityIdEEEESF_NSA_11use_defaultESM_EENS0_5tupleIJSF_S6_EEENSO_IJSG_SG_EEES6_PlJS6_EEE10hipError_tPvRmT3_T4_T5_T6_T7_T9_mT8_P12ihipStream_tbDpT10_ENKUlT_T0_E_clISt17integral_constantIbLb1EES1B_EEDaS16_S17_EUlS16_E_NS1_11comp_targetILNS1_3genE9ELNS1_11target_archE1100ELNS1_3gpuE3ELNS1_3repE0EEENS1_30default_config_static_selectorELNS0_4arch9wavefront6targetE0EEEvT1_,comdat
	.protected	_ZN7rocprim17ROCPRIM_400000_NS6detail17trampoline_kernelINS0_14default_configENS1_25partition_config_selectorILNS1_17partition_subalgoE5EdNS0_10empty_typeEbEEZZNS1_14partition_implILS5_5ELb0ES3_mN6thrust23THRUST_200600_302600_NS6detail15normal_iteratorINSA_10device_ptrIdEEEEPS6_NSA_18transform_iteratorINSB_9not_fun_tINSA_8identityIdEEEESF_NSA_11use_defaultESM_EENS0_5tupleIJSF_S6_EEENSO_IJSG_SG_EEES6_PlJS6_EEE10hipError_tPvRmT3_T4_T5_T6_T7_T9_mT8_P12ihipStream_tbDpT10_ENKUlT_T0_E_clISt17integral_constantIbLb1EES1B_EEDaS16_S17_EUlS16_E_NS1_11comp_targetILNS1_3genE9ELNS1_11target_archE1100ELNS1_3gpuE3ELNS1_3repE0EEENS1_30default_config_static_selectorELNS0_4arch9wavefront6targetE0EEEvT1_ ; -- Begin function _ZN7rocprim17ROCPRIM_400000_NS6detail17trampoline_kernelINS0_14default_configENS1_25partition_config_selectorILNS1_17partition_subalgoE5EdNS0_10empty_typeEbEEZZNS1_14partition_implILS5_5ELb0ES3_mN6thrust23THRUST_200600_302600_NS6detail15normal_iteratorINSA_10device_ptrIdEEEEPS6_NSA_18transform_iteratorINSB_9not_fun_tINSA_8identityIdEEEESF_NSA_11use_defaultESM_EENS0_5tupleIJSF_S6_EEENSO_IJSG_SG_EEES6_PlJS6_EEE10hipError_tPvRmT3_T4_T5_T6_T7_T9_mT8_P12ihipStream_tbDpT10_ENKUlT_T0_E_clISt17integral_constantIbLb1EES1B_EEDaS16_S17_EUlS16_E_NS1_11comp_targetILNS1_3genE9ELNS1_11target_archE1100ELNS1_3gpuE3ELNS1_3repE0EEENS1_30default_config_static_selectorELNS0_4arch9wavefront6targetE0EEEvT1_
	.globl	_ZN7rocprim17ROCPRIM_400000_NS6detail17trampoline_kernelINS0_14default_configENS1_25partition_config_selectorILNS1_17partition_subalgoE5EdNS0_10empty_typeEbEEZZNS1_14partition_implILS5_5ELb0ES3_mN6thrust23THRUST_200600_302600_NS6detail15normal_iteratorINSA_10device_ptrIdEEEEPS6_NSA_18transform_iteratorINSB_9not_fun_tINSA_8identityIdEEEESF_NSA_11use_defaultESM_EENS0_5tupleIJSF_S6_EEENSO_IJSG_SG_EEES6_PlJS6_EEE10hipError_tPvRmT3_T4_T5_T6_T7_T9_mT8_P12ihipStream_tbDpT10_ENKUlT_T0_E_clISt17integral_constantIbLb1EES1B_EEDaS16_S17_EUlS16_E_NS1_11comp_targetILNS1_3genE9ELNS1_11target_archE1100ELNS1_3gpuE3ELNS1_3repE0EEENS1_30default_config_static_selectorELNS0_4arch9wavefront6targetE0EEEvT1_
	.p2align	8
	.type	_ZN7rocprim17ROCPRIM_400000_NS6detail17trampoline_kernelINS0_14default_configENS1_25partition_config_selectorILNS1_17partition_subalgoE5EdNS0_10empty_typeEbEEZZNS1_14partition_implILS5_5ELb0ES3_mN6thrust23THRUST_200600_302600_NS6detail15normal_iteratorINSA_10device_ptrIdEEEEPS6_NSA_18transform_iteratorINSB_9not_fun_tINSA_8identityIdEEEESF_NSA_11use_defaultESM_EENS0_5tupleIJSF_S6_EEENSO_IJSG_SG_EEES6_PlJS6_EEE10hipError_tPvRmT3_T4_T5_T6_T7_T9_mT8_P12ihipStream_tbDpT10_ENKUlT_T0_E_clISt17integral_constantIbLb1EES1B_EEDaS16_S17_EUlS16_E_NS1_11comp_targetILNS1_3genE9ELNS1_11target_archE1100ELNS1_3gpuE3ELNS1_3repE0EEENS1_30default_config_static_selectorELNS0_4arch9wavefront6targetE0EEEvT1_,@function
_ZN7rocprim17ROCPRIM_400000_NS6detail17trampoline_kernelINS0_14default_configENS1_25partition_config_selectorILNS1_17partition_subalgoE5EdNS0_10empty_typeEbEEZZNS1_14partition_implILS5_5ELb0ES3_mN6thrust23THRUST_200600_302600_NS6detail15normal_iteratorINSA_10device_ptrIdEEEEPS6_NSA_18transform_iteratorINSB_9not_fun_tINSA_8identityIdEEEESF_NSA_11use_defaultESM_EENS0_5tupleIJSF_S6_EEENSO_IJSG_SG_EEES6_PlJS6_EEE10hipError_tPvRmT3_T4_T5_T6_T7_T9_mT8_P12ihipStream_tbDpT10_ENKUlT_T0_E_clISt17integral_constantIbLb1EES1B_EEDaS16_S17_EUlS16_E_NS1_11comp_targetILNS1_3genE9ELNS1_11target_archE1100ELNS1_3gpuE3ELNS1_3repE0EEENS1_30default_config_static_selectorELNS0_4arch9wavefront6targetE0EEEvT1_: ; @_ZN7rocprim17ROCPRIM_400000_NS6detail17trampoline_kernelINS0_14default_configENS1_25partition_config_selectorILNS1_17partition_subalgoE5EdNS0_10empty_typeEbEEZZNS1_14partition_implILS5_5ELb0ES3_mN6thrust23THRUST_200600_302600_NS6detail15normal_iteratorINSA_10device_ptrIdEEEEPS6_NSA_18transform_iteratorINSB_9not_fun_tINSA_8identityIdEEEESF_NSA_11use_defaultESM_EENS0_5tupleIJSF_S6_EEENSO_IJSG_SG_EEES6_PlJS6_EEE10hipError_tPvRmT3_T4_T5_T6_T7_T9_mT8_P12ihipStream_tbDpT10_ENKUlT_T0_E_clISt17integral_constantIbLb1EES1B_EEDaS16_S17_EUlS16_E_NS1_11comp_targetILNS1_3genE9ELNS1_11target_archE1100ELNS1_3gpuE3ELNS1_3repE0EEENS1_30default_config_static_selectorELNS0_4arch9wavefront6targetE0EEEvT1_
; %bb.0:
	.section	.rodata,"a",@progbits
	.p2align	6, 0x0
	.amdhsa_kernel _ZN7rocprim17ROCPRIM_400000_NS6detail17trampoline_kernelINS0_14default_configENS1_25partition_config_selectorILNS1_17partition_subalgoE5EdNS0_10empty_typeEbEEZZNS1_14partition_implILS5_5ELb0ES3_mN6thrust23THRUST_200600_302600_NS6detail15normal_iteratorINSA_10device_ptrIdEEEEPS6_NSA_18transform_iteratorINSB_9not_fun_tINSA_8identityIdEEEESF_NSA_11use_defaultESM_EENS0_5tupleIJSF_S6_EEENSO_IJSG_SG_EEES6_PlJS6_EEE10hipError_tPvRmT3_T4_T5_T6_T7_T9_mT8_P12ihipStream_tbDpT10_ENKUlT_T0_E_clISt17integral_constantIbLb1EES1B_EEDaS16_S17_EUlS16_E_NS1_11comp_targetILNS1_3genE9ELNS1_11target_archE1100ELNS1_3gpuE3ELNS1_3repE0EEENS1_30default_config_static_selectorELNS0_4arch9wavefront6targetE0EEEvT1_
		.amdhsa_group_segment_fixed_size 0
		.amdhsa_private_segment_fixed_size 0
		.amdhsa_kernarg_size 136
		.amdhsa_user_sgpr_count 2
		.amdhsa_user_sgpr_dispatch_ptr 0
		.amdhsa_user_sgpr_queue_ptr 0
		.amdhsa_user_sgpr_kernarg_segment_ptr 1
		.amdhsa_user_sgpr_dispatch_id 0
		.amdhsa_user_sgpr_private_segment_size 0
		.amdhsa_wavefront_size32 1
		.amdhsa_uses_dynamic_stack 0
		.amdhsa_enable_private_segment 0
		.amdhsa_system_sgpr_workgroup_id_x 1
		.amdhsa_system_sgpr_workgroup_id_y 0
		.amdhsa_system_sgpr_workgroup_id_z 0
		.amdhsa_system_sgpr_workgroup_info 0
		.amdhsa_system_vgpr_workitem_id 0
		.amdhsa_next_free_vgpr 1
		.amdhsa_next_free_sgpr 1
		.amdhsa_reserve_vcc 0
		.amdhsa_float_round_mode_32 0
		.amdhsa_float_round_mode_16_64 0
		.amdhsa_float_denorm_mode_32 3
		.amdhsa_float_denorm_mode_16_64 3
		.amdhsa_fp16_overflow 0
		.amdhsa_workgroup_processor_mode 1
		.amdhsa_memory_ordered 1
		.amdhsa_forward_progress 1
		.amdhsa_inst_pref_size 0
		.amdhsa_round_robin_scheduling 0
		.amdhsa_exception_fp_ieee_invalid_op 0
		.amdhsa_exception_fp_denorm_src 0
		.amdhsa_exception_fp_ieee_div_zero 0
		.amdhsa_exception_fp_ieee_overflow 0
		.amdhsa_exception_fp_ieee_underflow 0
		.amdhsa_exception_fp_ieee_inexact 0
		.amdhsa_exception_int_div_zero 0
	.end_amdhsa_kernel
	.section	.text._ZN7rocprim17ROCPRIM_400000_NS6detail17trampoline_kernelINS0_14default_configENS1_25partition_config_selectorILNS1_17partition_subalgoE5EdNS0_10empty_typeEbEEZZNS1_14partition_implILS5_5ELb0ES3_mN6thrust23THRUST_200600_302600_NS6detail15normal_iteratorINSA_10device_ptrIdEEEEPS6_NSA_18transform_iteratorINSB_9not_fun_tINSA_8identityIdEEEESF_NSA_11use_defaultESM_EENS0_5tupleIJSF_S6_EEENSO_IJSG_SG_EEES6_PlJS6_EEE10hipError_tPvRmT3_T4_T5_T6_T7_T9_mT8_P12ihipStream_tbDpT10_ENKUlT_T0_E_clISt17integral_constantIbLb1EES1B_EEDaS16_S17_EUlS16_E_NS1_11comp_targetILNS1_3genE9ELNS1_11target_archE1100ELNS1_3gpuE3ELNS1_3repE0EEENS1_30default_config_static_selectorELNS0_4arch9wavefront6targetE0EEEvT1_,"axG",@progbits,_ZN7rocprim17ROCPRIM_400000_NS6detail17trampoline_kernelINS0_14default_configENS1_25partition_config_selectorILNS1_17partition_subalgoE5EdNS0_10empty_typeEbEEZZNS1_14partition_implILS5_5ELb0ES3_mN6thrust23THRUST_200600_302600_NS6detail15normal_iteratorINSA_10device_ptrIdEEEEPS6_NSA_18transform_iteratorINSB_9not_fun_tINSA_8identityIdEEEESF_NSA_11use_defaultESM_EENS0_5tupleIJSF_S6_EEENSO_IJSG_SG_EEES6_PlJS6_EEE10hipError_tPvRmT3_T4_T5_T6_T7_T9_mT8_P12ihipStream_tbDpT10_ENKUlT_T0_E_clISt17integral_constantIbLb1EES1B_EEDaS16_S17_EUlS16_E_NS1_11comp_targetILNS1_3genE9ELNS1_11target_archE1100ELNS1_3gpuE3ELNS1_3repE0EEENS1_30default_config_static_selectorELNS0_4arch9wavefront6targetE0EEEvT1_,comdat
.Lfunc_end803:
	.size	_ZN7rocprim17ROCPRIM_400000_NS6detail17trampoline_kernelINS0_14default_configENS1_25partition_config_selectorILNS1_17partition_subalgoE5EdNS0_10empty_typeEbEEZZNS1_14partition_implILS5_5ELb0ES3_mN6thrust23THRUST_200600_302600_NS6detail15normal_iteratorINSA_10device_ptrIdEEEEPS6_NSA_18transform_iteratorINSB_9not_fun_tINSA_8identityIdEEEESF_NSA_11use_defaultESM_EENS0_5tupleIJSF_S6_EEENSO_IJSG_SG_EEES6_PlJS6_EEE10hipError_tPvRmT3_T4_T5_T6_T7_T9_mT8_P12ihipStream_tbDpT10_ENKUlT_T0_E_clISt17integral_constantIbLb1EES1B_EEDaS16_S17_EUlS16_E_NS1_11comp_targetILNS1_3genE9ELNS1_11target_archE1100ELNS1_3gpuE3ELNS1_3repE0EEENS1_30default_config_static_selectorELNS0_4arch9wavefront6targetE0EEEvT1_, .Lfunc_end803-_ZN7rocprim17ROCPRIM_400000_NS6detail17trampoline_kernelINS0_14default_configENS1_25partition_config_selectorILNS1_17partition_subalgoE5EdNS0_10empty_typeEbEEZZNS1_14partition_implILS5_5ELb0ES3_mN6thrust23THRUST_200600_302600_NS6detail15normal_iteratorINSA_10device_ptrIdEEEEPS6_NSA_18transform_iteratorINSB_9not_fun_tINSA_8identityIdEEEESF_NSA_11use_defaultESM_EENS0_5tupleIJSF_S6_EEENSO_IJSG_SG_EEES6_PlJS6_EEE10hipError_tPvRmT3_T4_T5_T6_T7_T9_mT8_P12ihipStream_tbDpT10_ENKUlT_T0_E_clISt17integral_constantIbLb1EES1B_EEDaS16_S17_EUlS16_E_NS1_11comp_targetILNS1_3genE9ELNS1_11target_archE1100ELNS1_3gpuE3ELNS1_3repE0EEENS1_30default_config_static_selectorELNS0_4arch9wavefront6targetE0EEEvT1_
                                        ; -- End function
	.set _ZN7rocprim17ROCPRIM_400000_NS6detail17trampoline_kernelINS0_14default_configENS1_25partition_config_selectorILNS1_17partition_subalgoE5EdNS0_10empty_typeEbEEZZNS1_14partition_implILS5_5ELb0ES3_mN6thrust23THRUST_200600_302600_NS6detail15normal_iteratorINSA_10device_ptrIdEEEEPS6_NSA_18transform_iteratorINSB_9not_fun_tINSA_8identityIdEEEESF_NSA_11use_defaultESM_EENS0_5tupleIJSF_S6_EEENSO_IJSG_SG_EEES6_PlJS6_EEE10hipError_tPvRmT3_T4_T5_T6_T7_T9_mT8_P12ihipStream_tbDpT10_ENKUlT_T0_E_clISt17integral_constantIbLb1EES1B_EEDaS16_S17_EUlS16_E_NS1_11comp_targetILNS1_3genE9ELNS1_11target_archE1100ELNS1_3gpuE3ELNS1_3repE0EEENS1_30default_config_static_selectorELNS0_4arch9wavefront6targetE0EEEvT1_.num_vgpr, 0
	.set _ZN7rocprim17ROCPRIM_400000_NS6detail17trampoline_kernelINS0_14default_configENS1_25partition_config_selectorILNS1_17partition_subalgoE5EdNS0_10empty_typeEbEEZZNS1_14partition_implILS5_5ELb0ES3_mN6thrust23THRUST_200600_302600_NS6detail15normal_iteratorINSA_10device_ptrIdEEEEPS6_NSA_18transform_iteratorINSB_9not_fun_tINSA_8identityIdEEEESF_NSA_11use_defaultESM_EENS0_5tupleIJSF_S6_EEENSO_IJSG_SG_EEES6_PlJS6_EEE10hipError_tPvRmT3_T4_T5_T6_T7_T9_mT8_P12ihipStream_tbDpT10_ENKUlT_T0_E_clISt17integral_constantIbLb1EES1B_EEDaS16_S17_EUlS16_E_NS1_11comp_targetILNS1_3genE9ELNS1_11target_archE1100ELNS1_3gpuE3ELNS1_3repE0EEENS1_30default_config_static_selectorELNS0_4arch9wavefront6targetE0EEEvT1_.num_agpr, 0
	.set _ZN7rocprim17ROCPRIM_400000_NS6detail17trampoline_kernelINS0_14default_configENS1_25partition_config_selectorILNS1_17partition_subalgoE5EdNS0_10empty_typeEbEEZZNS1_14partition_implILS5_5ELb0ES3_mN6thrust23THRUST_200600_302600_NS6detail15normal_iteratorINSA_10device_ptrIdEEEEPS6_NSA_18transform_iteratorINSB_9not_fun_tINSA_8identityIdEEEESF_NSA_11use_defaultESM_EENS0_5tupleIJSF_S6_EEENSO_IJSG_SG_EEES6_PlJS6_EEE10hipError_tPvRmT3_T4_T5_T6_T7_T9_mT8_P12ihipStream_tbDpT10_ENKUlT_T0_E_clISt17integral_constantIbLb1EES1B_EEDaS16_S17_EUlS16_E_NS1_11comp_targetILNS1_3genE9ELNS1_11target_archE1100ELNS1_3gpuE3ELNS1_3repE0EEENS1_30default_config_static_selectorELNS0_4arch9wavefront6targetE0EEEvT1_.numbered_sgpr, 0
	.set _ZN7rocprim17ROCPRIM_400000_NS6detail17trampoline_kernelINS0_14default_configENS1_25partition_config_selectorILNS1_17partition_subalgoE5EdNS0_10empty_typeEbEEZZNS1_14partition_implILS5_5ELb0ES3_mN6thrust23THRUST_200600_302600_NS6detail15normal_iteratorINSA_10device_ptrIdEEEEPS6_NSA_18transform_iteratorINSB_9not_fun_tINSA_8identityIdEEEESF_NSA_11use_defaultESM_EENS0_5tupleIJSF_S6_EEENSO_IJSG_SG_EEES6_PlJS6_EEE10hipError_tPvRmT3_T4_T5_T6_T7_T9_mT8_P12ihipStream_tbDpT10_ENKUlT_T0_E_clISt17integral_constantIbLb1EES1B_EEDaS16_S17_EUlS16_E_NS1_11comp_targetILNS1_3genE9ELNS1_11target_archE1100ELNS1_3gpuE3ELNS1_3repE0EEENS1_30default_config_static_selectorELNS0_4arch9wavefront6targetE0EEEvT1_.num_named_barrier, 0
	.set _ZN7rocprim17ROCPRIM_400000_NS6detail17trampoline_kernelINS0_14default_configENS1_25partition_config_selectorILNS1_17partition_subalgoE5EdNS0_10empty_typeEbEEZZNS1_14partition_implILS5_5ELb0ES3_mN6thrust23THRUST_200600_302600_NS6detail15normal_iteratorINSA_10device_ptrIdEEEEPS6_NSA_18transform_iteratorINSB_9not_fun_tINSA_8identityIdEEEESF_NSA_11use_defaultESM_EENS0_5tupleIJSF_S6_EEENSO_IJSG_SG_EEES6_PlJS6_EEE10hipError_tPvRmT3_T4_T5_T6_T7_T9_mT8_P12ihipStream_tbDpT10_ENKUlT_T0_E_clISt17integral_constantIbLb1EES1B_EEDaS16_S17_EUlS16_E_NS1_11comp_targetILNS1_3genE9ELNS1_11target_archE1100ELNS1_3gpuE3ELNS1_3repE0EEENS1_30default_config_static_selectorELNS0_4arch9wavefront6targetE0EEEvT1_.private_seg_size, 0
	.set _ZN7rocprim17ROCPRIM_400000_NS6detail17trampoline_kernelINS0_14default_configENS1_25partition_config_selectorILNS1_17partition_subalgoE5EdNS0_10empty_typeEbEEZZNS1_14partition_implILS5_5ELb0ES3_mN6thrust23THRUST_200600_302600_NS6detail15normal_iteratorINSA_10device_ptrIdEEEEPS6_NSA_18transform_iteratorINSB_9not_fun_tINSA_8identityIdEEEESF_NSA_11use_defaultESM_EENS0_5tupleIJSF_S6_EEENSO_IJSG_SG_EEES6_PlJS6_EEE10hipError_tPvRmT3_T4_T5_T6_T7_T9_mT8_P12ihipStream_tbDpT10_ENKUlT_T0_E_clISt17integral_constantIbLb1EES1B_EEDaS16_S17_EUlS16_E_NS1_11comp_targetILNS1_3genE9ELNS1_11target_archE1100ELNS1_3gpuE3ELNS1_3repE0EEENS1_30default_config_static_selectorELNS0_4arch9wavefront6targetE0EEEvT1_.uses_vcc, 0
	.set _ZN7rocprim17ROCPRIM_400000_NS6detail17trampoline_kernelINS0_14default_configENS1_25partition_config_selectorILNS1_17partition_subalgoE5EdNS0_10empty_typeEbEEZZNS1_14partition_implILS5_5ELb0ES3_mN6thrust23THRUST_200600_302600_NS6detail15normal_iteratorINSA_10device_ptrIdEEEEPS6_NSA_18transform_iteratorINSB_9not_fun_tINSA_8identityIdEEEESF_NSA_11use_defaultESM_EENS0_5tupleIJSF_S6_EEENSO_IJSG_SG_EEES6_PlJS6_EEE10hipError_tPvRmT3_T4_T5_T6_T7_T9_mT8_P12ihipStream_tbDpT10_ENKUlT_T0_E_clISt17integral_constantIbLb1EES1B_EEDaS16_S17_EUlS16_E_NS1_11comp_targetILNS1_3genE9ELNS1_11target_archE1100ELNS1_3gpuE3ELNS1_3repE0EEENS1_30default_config_static_selectorELNS0_4arch9wavefront6targetE0EEEvT1_.uses_flat_scratch, 0
	.set _ZN7rocprim17ROCPRIM_400000_NS6detail17trampoline_kernelINS0_14default_configENS1_25partition_config_selectorILNS1_17partition_subalgoE5EdNS0_10empty_typeEbEEZZNS1_14partition_implILS5_5ELb0ES3_mN6thrust23THRUST_200600_302600_NS6detail15normal_iteratorINSA_10device_ptrIdEEEEPS6_NSA_18transform_iteratorINSB_9not_fun_tINSA_8identityIdEEEESF_NSA_11use_defaultESM_EENS0_5tupleIJSF_S6_EEENSO_IJSG_SG_EEES6_PlJS6_EEE10hipError_tPvRmT3_T4_T5_T6_T7_T9_mT8_P12ihipStream_tbDpT10_ENKUlT_T0_E_clISt17integral_constantIbLb1EES1B_EEDaS16_S17_EUlS16_E_NS1_11comp_targetILNS1_3genE9ELNS1_11target_archE1100ELNS1_3gpuE3ELNS1_3repE0EEENS1_30default_config_static_selectorELNS0_4arch9wavefront6targetE0EEEvT1_.has_dyn_sized_stack, 0
	.set _ZN7rocprim17ROCPRIM_400000_NS6detail17trampoline_kernelINS0_14default_configENS1_25partition_config_selectorILNS1_17partition_subalgoE5EdNS0_10empty_typeEbEEZZNS1_14partition_implILS5_5ELb0ES3_mN6thrust23THRUST_200600_302600_NS6detail15normal_iteratorINSA_10device_ptrIdEEEEPS6_NSA_18transform_iteratorINSB_9not_fun_tINSA_8identityIdEEEESF_NSA_11use_defaultESM_EENS0_5tupleIJSF_S6_EEENSO_IJSG_SG_EEES6_PlJS6_EEE10hipError_tPvRmT3_T4_T5_T6_T7_T9_mT8_P12ihipStream_tbDpT10_ENKUlT_T0_E_clISt17integral_constantIbLb1EES1B_EEDaS16_S17_EUlS16_E_NS1_11comp_targetILNS1_3genE9ELNS1_11target_archE1100ELNS1_3gpuE3ELNS1_3repE0EEENS1_30default_config_static_selectorELNS0_4arch9wavefront6targetE0EEEvT1_.has_recursion, 0
	.set _ZN7rocprim17ROCPRIM_400000_NS6detail17trampoline_kernelINS0_14default_configENS1_25partition_config_selectorILNS1_17partition_subalgoE5EdNS0_10empty_typeEbEEZZNS1_14partition_implILS5_5ELb0ES3_mN6thrust23THRUST_200600_302600_NS6detail15normal_iteratorINSA_10device_ptrIdEEEEPS6_NSA_18transform_iteratorINSB_9not_fun_tINSA_8identityIdEEEESF_NSA_11use_defaultESM_EENS0_5tupleIJSF_S6_EEENSO_IJSG_SG_EEES6_PlJS6_EEE10hipError_tPvRmT3_T4_T5_T6_T7_T9_mT8_P12ihipStream_tbDpT10_ENKUlT_T0_E_clISt17integral_constantIbLb1EES1B_EEDaS16_S17_EUlS16_E_NS1_11comp_targetILNS1_3genE9ELNS1_11target_archE1100ELNS1_3gpuE3ELNS1_3repE0EEENS1_30default_config_static_selectorELNS0_4arch9wavefront6targetE0EEEvT1_.has_indirect_call, 0
	.section	.AMDGPU.csdata,"",@progbits
; Kernel info:
; codeLenInByte = 0
; TotalNumSgprs: 0
; NumVgprs: 0
; ScratchSize: 0
; MemoryBound: 0
; FloatMode: 240
; IeeeMode: 1
; LDSByteSize: 0 bytes/workgroup (compile time only)
; SGPRBlocks: 0
; VGPRBlocks: 0
; NumSGPRsForWavesPerEU: 1
; NumVGPRsForWavesPerEU: 1
; Occupancy: 16
; WaveLimiterHint : 0
; COMPUTE_PGM_RSRC2:SCRATCH_EN: 0
; COMPUTE_PGM_RSRC2:USER_SGPR: 2
; COMPUTE_PGM_RSRC2:TRAP_HANDLER: 0
; COMPUTE_PGM_RSRC2:TGID_X_EN: 1
; COMPUTE_PGM_RSRC2:TGID_Y_EN: 0
; COMPUTE_PGM_RSRC2:TGID_Z_EN: 0
; COMPUTE_PGM_RSRC2:TIDIG_COMP_CNT: 0
	.section	.text._ZN7rocprim17ROCPRIM_400000_NS6detail17trampoline_kernelINS0_14default_configENS1_25partition_config_selectorILNS1_17partition_subalgoE5EdNS0_10empty_typeEbEEZZNS1_14partition_implILS5_5ELb0ES3_mN6thrust23THRUST_200600_302600_NS6detail15normal_iteratorINSA_10device_ptrIdEEEEPS6_NSA_18transform_iteratorINSB_9not_fun_tINSA_8identityIdEEEESF_NSA_11use_defaultESM_EENS0_5tupleIJSF_S6_EEENSO_IJSG_SG_EEES6_PlJS6_EEE10hipError_tPvRmT3_T4_T5_T6_T7_T9_mT8_P12ihipStream_tbDpT10_ENKUlT_T0_E_clISt17integral_constantIbLb1EES1B_EEDaS16_S17_EUlS16_E_NS1_11comp_targetILNS1_3genE8ELNS1_11target_archE1030ELNS1_3gpuE2ELNS1_3repE0EEENS1_30default_config_static_selectorELNS0_4arch9wavefront6targetE0EEEvT1_,"axG",@progbits,_ZN7rocprim17ROCPRIM_400000_NS6detail17trampoline_kernelINS0_14default_configENS1_25partition_config_selectorILNS1_17partition_subalgoE5EdNS0_10empty_typeEbEEZZNS1_14partition_implILS5_5ELb0ES3_mN6thrust23THRUST_200600_302600_NS6detail15normal_iteratorINSA_10device_ptrIdEEEEPS6_NSA_18transform_iteratorINSB_9not_fun_tINSA_8identityIdEEEESF_NSA_11use_defaultESM_EENS0_5tupleIJSF_S6_EEENSO_IJSG_SG_EEES6_PlJS6_EEE10hipError_tPvRmT3_T4_T5_T6_T7_T9_mT8_P12ihipStream_tbDpT10_ENKUlT_T0_E_clISt17integral_constantIbLb1EES1B_EEDaS16_S17_EUlS16_E_NS1_11comp_targetILNS1_3genE8ELNS1_11target_archE1030ELNS1_3gpuE2ELNS1_3repE0EEENS1_30default_config_static_selectorELNS0_4arch9wavefront6targetE0EEEvT1_,comdat
	.protected	_ZN7rocprim17ROCPRIM_400000_NS6detail17trampoline_kernelINS0_14default_configENS1_25partition_config_selectorILNS1_17partition_subalgoE5EdNS0_10empty_typeEbEEZZNS1_14partition_implILS5_5ELb0ES3_mN6thrust23THRUST_200600_302600_NS6detail15normal_iteratorINSA_10device_ptrIdEEEEPS6_NSA_18transform_iteratorINSB_9not_fun_tINSA_8identityIdEEEESF_NSA_11use_defaultESM_EENS0_5tupleIJSF_S6_EEENSO_IJSG_SG_EEES6_PlJS6_EEE10hipError_tPvRmT3_T4_T5_T6_T7_T9_mT8_P12ihipStream_tbDpT10_ENKUlT_T0_E_clISt17integral_constantIbLb1EES1B_EEDaS16_S17_EUlS16_E_NS1_11comp_targetILNS1_3genE8ELNS1_11target_archE1030ELNS1_3gpuE2ELNS1_3repE0EEENS1_30default_config_static_selectorELNS0_4arch9wavefront6targetE0EEEvT1_ ; -- Begin function _ZN7rocprim17ROCPRIM_400000_NS6detail17trampoline_kernelINS0_14default_configENS1_25partition_config_selectorILNS1_17partition_subalgoE5EdNS0_10empty_typeEbEEZZNS1_14partition_implILS5_5ELb0ES3_mN6thrust23THRUST_200600_302600_NS6detail15normal_iteratorINSA_10device_ptrIdEEEEPS6_NSA_18transform_iteratorINSB_9not_fun_tINSA_8identityIdEEEESF_NSA_11use_defaultESM_EENS0_5tupleIJSF_S6_EEENSO_IJSG_SG_EEES6_PlJS6_EEE10hipError_tPvRmT3_T4_T5_T6_T7_T9_mT8_P12ihipStream_tbDpT10_ENKUlT_T0_E_clISt17integral_constantIbLb1EES1B_EEDaS16_S17_EUlS16_E_NS1_11comp_targetILNS1_3genE8ELNS1_11target_archE1030ELNS1_3gpuE2ELNS1_3repE0EEENS1_30default_config_static_selectorELNS0_4arch9wavefront6targetE0EEEvT1_
	.globl	_ZN7rocprim17ROCPRIM_400000_NS6detail17trampoline_kernelINS0_14default_configENS1_25partition_config_selectorILNS1_17partition_subalgoE5EdNS0_10empty_typeEbEEZZNS1_14partition_implILS5_5ELb0ES3_mN6thrust23THRUST_200600_302600_NS6detail15normal_iteratorINSA_10device_ptrIdEEEEPS6_NSA_18transform_iteratorINSB_9not_fun_tINSA_8identityIdEEEESF_NSA_11use_defaultESM_EENS0_5tupleIJSF_S6_EEENSO_IJSG_SG_EEES6_PlJS6_EEE10hipError_tPvRmT3_T4_T5_T6_T7_T9_mT8_P12ihipStream_tbDpT10_ENKUlT_T0_E_clISt17integral_constantIbLb1EES1B_EEDaS16_S17_EUlS16_E_NS1_11comp_targetILNS1_3genE8ELNS1_11target_archE1030ELNS1_3gpuE2ELNS1_3repE0EEENS1_30default_config_static_selectorELNS0_4arch9wavefront6targetE0EEEvT1_
	.p2align	8
	.type	_ZN7rocprim17ROCPRIM_400000_NS6detail17trampoline_kernelINS0_14default_configENS1_25partition_config_selectorILNS1_17partition_subalgoE5EdNS0_10empty_typeEbEEZZNS1_14partition_implILS5_5ELb0ES3_mN6thrust23THRUST_200600_302600_NS6detail15normal_iteratorINSA_10device_ptrIdEEEEPS6_NSA_18transform_iteratorINSB_9not_fun_tINSA_8identityIdEEEESF_NSA_11use_defaultESM_EENS0_5tupleIJSF_S6_EEENSO_IJSG_SG_EEES6_PlJS6_EEE10hipError_tPvRmT3_T4_T5_T6_T7_T9_mT8_P12ihipStream_tbDpT10_ENKUlT_T0_E_clISt17integral_constantIbLb1EES1B_EEDaS16_S17_EUlS16_E_NS1_11comp_targetILNS1_3genE8ELNS1_11target_archE1030ELNS1_3gpuE2ELNS1_3repE0EEENS1_30default_config_static_selectorELNS0_4arch9wavefront6targetE0EEEvT1_,@function
_ZN7rocprim17ROCPRIM_400000_NS6detail17trampoline_kernelINS0_14default_configENS1_25partition_config_selectorILNS1_17partition_subalgoE5EdNS0_10empty_typeEbEEZZNS1_14partition_implILS5_5ELb0ES3_mN6thrust23THRUST_200600_302600_NS6detail15normal_iteratorINSA_10device_ptrIdEEEEPS6_NSA_18transform_iteratorINSB_9not_fun_tINSA_8identityIdEEEESF_NSA_11use_defaultESM_EENS0_5tupleIJSF_S6_EEENSO_IJSG_SG_EEES6_PlJS6_EEE10hipError_tPvRmT3_T4_T5_T6_T7_T9_mT8_P12ihipStream_tbDpT10_ENKUlT_T0_E_clISt17integral_constantIbLb1EES1B_EEDaS16_S17_EUlS16_E_NS1_11comp_targetILNS1_3genE8ELNS1_11target_archE1030ELNS1_3gpuE2ELNS1_3repE0EEENS1_30default_config_static_selectorELNS0_4arch9wavefront6targetE0EEEvT1_: ; @_ZN7rocprim17ROCPRIM_400000_NS6detail17trampoline_kernelINS0_14default_configENS1_25partition_config_selectorILNS1_17partition_subalgoE5EdNS0_10empty_typeEbEEZZNS1_14partition_implILS5_5ELb0ES3_mN6thrust23THRUST_200600_302600_NS6detail15normal_iteratorINSA_10device_ptrIdEEEEPS6_NSA_18transform_iteratorINSB_9not_fun_tINSA_8identityIdEEEESF_NSA_11use_defaultESM_EENS0_5tupleIJSF_S6_EEENSO_IJSG_SG_EEES6_PlJS6_EEE10hipError_tPvRmT3_T4_T5_T6_T7_T9_mT8_P12ihipStream_tbDpT10_ENKUlT_T0_E_clISt17integral_constantIbLb1EES1B_EEDaS16_S17_EUlS16_E_NS1_11comp_targetILNS1_3genE8ELNS1_11target_archE1030ELNS1_3gpuE2ELNS1_3repE0EEENS1_30default_config_static_selectorELNS0_4arch9wavefront6targetE0EEEvT1_
; %bb.0:
	.section	.rodata,"a",@progbits
	.p2align	6, 0x0
	.amdhsa_kernel _ZN7rocprim17ROCPRIM_400000_NS6detail17trampoline_kernelINS0_14default_configENS1_25partition_config_selectorILNS1_17partition_subalgoE5EdNS0_10empty_typeEbEEZZNS1_14partition_implILS5_5ELb0ES3_mN6thrust23THRUST_200600_302600_NS6detail15normal_iteratorINSA_10device_ptrIdEEEEPS6_NSA_18transform_iteratorINSB_9not_fun_tINSA_8identityIdEEEESF_NSA_11use_defaultESM_EENS0_5tupleIJSF_S6_EEENSO_IJSG_SG_EEES6_PlJS6_EEE10hipError_tPvRmT3_T4_T5_T6_T7_T9_mT8_P12ihipStream_tbDpT10_ENKUlT_T0_E_clISt17integral_constantIbLb1EES1B_EEDaS16_S17_EUlS16_E_NS1_11comp_targetILNS1_3genE8ELNS1_11target_archE1030ELNS1_3gpuE2ELNS1_3repE0EEENS1_30default_config_static_selectorELNS0_4arch9wavefront6targetE0EEEvT1_
		.amdhsa_group_segment_fixed_size 0
		.amdhsa_private_segment_fixed_size 0
		.amdhsa_kernarg_size 136
		.amdhsa_user_sgpr_count 2
		.amdhsa_user_sgpr_dispatch_ptr 0
		.amdhsa_user_sgpr_queue_ptr 0
		.amdhsa_user_sgpr_kernarg_segment_ptr 1
		.amdhsa_user_sgpr_dispatch_id 0
		.amdhsa_user_sgpr_private_segment_size 0
		.amdhsa_wavefront_size32 1
		.amdhsa_uses_dynamic_stack 0
		.amdhsa_enable_private_segment 0
		.amdhsa_system_sgpr_workgroup_id_x 1
		.amdhsa_system_sgpr_workgroup_id_y 0
		.amdhsa_system_sgpr_workgroup_id_z 0
		.amdhsa_system_sgpr_workgroup_info 0
		.amdhsa_system_vgpr_workitem_id 0
		.amdhsa_next_free_vgpr 1
		.amdhsa_next_free_sgpr 1
		.amdhsa_reserve_vcc 0
		.amdhsa_float_round_mode_32 0
		.amdhsa_float_round_mode_16_64 0
		.amdhsa_float_denorm_mode_32 3
		.amdhsa_float_denorm_mode_16_64 3
		.amdhsa_fp16_overflow 0
		.amdhsa_workgroup_processor_mode 1
		.amdhsa_memory_ordered 1
		.amdhsa_forward_progress 1
		.amdhsa_inst_pref_size 0
		.amdhsa_round_robin_scheduling 0
		.amdhsa_exception_fp_ieee_invalid_op 0
		.amdhsa_exception_fp_denorm_src 0
		.amdhsa_exception_fp_ieee_div_zero 0
		.amdhsa_exception_fp_ieee_overflow 0
		.amdhsa_exception_fp_ieee_underflow 0
		.amdhsa_exception_fp_ieee_inexact 0
		.amdhsa_exception_int_div_zero 0
	.end_amdhsa_kernel
	.section	.text._ZN7rocprim17ROCPRIM_400000_NS6detail17trampoline_kernelINS0_14default_configENS1_25partition_config_selectorILNS1_17partition_subalgoE5EdNS0_10empty_typeEbEEZZNS1_14partition_implILS5_5ELb0ES3_mN6thrust23THRUST_200600_302600_NS6detail15normal_iteratorINSA_10device_ptrIdEEEEPS6_NSA_18transform_iteratorINSB_9not_fun_tINSA_8identityIdEEEESF_NSA_11use_defaultESM_EENS0_5tupleIJSF_S6_EEENSO_IJSG_SG_EEES6_PlJS6_EEE10hipError_tPvRmT3_T4_T5_T6_T7_T9_mT8_P12ihipStream_tbDpT10_ENKUlT_T0_E_clISt17integral_constantIbLb1EES1B_EEDaS16_S17_EUlS16_E_NS1_11comp_targetILNS1_3genE8ELNS1_11target_archE1030ELNS1_3gpuE2ELNS1_3repE0EEENS1_30default_config_static_selectorELNS0_4arch9wavefront6targetE0EEEvT1_,"axG",@progbits,_ZN7rocprim17ROCPRIM_400000_NS6detail17trampoline_kernelINS0_14default_configENS1_25partition_config_selectorILNS1_17partition_subalgoE5EdNS0_10empty_typeEbEEZZNS1_14partition_implILS5_5ELb0ES3_mN6thrust23THRUST_200600_302600_NS6detail15normal_iteratorINSA_10device_ptrIdEEEEPS6_NSA_18transform_iteratorINSB_9not_fun_tINSA_8identityIdEEEESF_NSA_11use_defaultESM_EENS0_5tupleIJSF_S6_EEENSO_IJSG_SG_EEES6_PlJS6_EEE10hipError_tPvRmT3_T4_T5_T6_T7_T9_mT8_P12ihipStream_tbDpT10_ENKUlT_T0_E_clISt17integral_constantIbLb1EES1B_EEDaS16_S17_EUlS16_E_NS1_11comp_targetILNS1_3genE8ELNS1_11target_archE1030ELNS1_3gpuE2ELNS1_3repE0EEENS1_30default_config_static_selectorELNS0_4arch9wavefront6targetE0EEEvT1_,comdat
.Lfunc_end804:
	.size	_ZN7rocprim17ROCPRIM_400000_NS6detail17trampoline_kernelINS0_14default_configENS1_25partition_config_selectorILNS1_17partition_subalgoE5EdNS0_10empty_typeEbEEZZNS1_14partition_implILS5_5ELb0ES3_mN6thrust23THRUST_200600_302600_NS6detail15normal_iteratorINSA_10device_ptrIdEEEEPS6_NSA_18transform_iteratorINSB_9not_fun_tINSA_8identityIdEEEESF_NSA_11use_defaultESM_EENS0_5tupleIJSF_S6_EEENSO_IJSG_SG_EEES6_PlJS6_EEE10hipError_tPvRmT3_T4_T5_T6_T7_T9_mT8_P12ihipStream_tbDpT10_ENKUlT_T0_E_clISt17integral_constantIbLb1EES1B_EEDaS16_S17_EUlS16_E_NS1_11comp_targetILNS1_3genE8ELNS1_11target_archE1030ELNS1_3gpuE2ELNS1_3repE0EEENS1_30default_config_static_selectorELNS0_4arch9wavefront6targetE0EEEvT1_, .Lfunc_end804-_ZN7rocprim17ROCPRIM_400000_NS6detail17trampoline_kernelINS0_14default_configENS1_25partition_config_selectorILNS1_17partition_subalgoE5EdNS0_10empty_typeEbEEZZNS1_14partition_implILS5_5ELb0ES3_mN6thrust23THRUST_200600_302600_NS6detail15normal_iteratorINSA_10device_ptrIdEEEEPS6_NSA_18transform_iteratorINSB_9not_fun_tINSA_8identityIdEEEESF_NSA_11use_defaultESM_EENS0_5tupleIJSF_S6_EEENSO_IJSG_SG_EEES6_PlJS6_EEE10hipError_tPvRmT3_T4_T5_T6_T7_T9_mT8_P12ihipStream_tbDpT10_ENKUlT_T0_E_clISt17integral_constantIbLb1EES1B_EEDaS16_S17_EUlS16_E_NS1_11comp_targetILNS1_3genE8ELNS1_11target_archE1030ELNS1_3gpuE2ELNS1_3repE0EEENS1_30default_config_static_selectorELNS0_4arch9wavefront6targetE0EEEvT1_
                                        ; -- End function
	.set _ZN7rocprim17ROCPRIM_400000_NS6detail17trampoline_kernelINS0_14default_configENS1_25partition_config_selectorILNS1_17partition_subalgoE5EdNS0_10empty_typeEbEEZZNS1_14partition_implILS5_5ELb0ES3_mN6thrust23THRUST_200600_302600_NS6detail15normal_iteratorINSA_10device_ptrIdEEEEPS6_NSA_18transform_iteratorINSB_9not_fun_tINSA_8identityIdEEEESF_NSA_11use_defaultESM_EENS0_5tupleIJSF_S6_EEENSO_IJSG_SG_EEES6_PlJS6_EEE10hipError_tPvRmT3_T4_T5_T6_T7_T9_mT8_P12ihipStream_tbDpT10_ENKUlT_T0_E_clISt17integral_constantIbLb1EES1B_EEDaS16_S17_EUlS16_E_NS1_11comp_targetILNS1_3genE8ELNS1_11target_archE1030ELNS1_3gpuE2ELNS1_3repE0EEENS1_30default_config_static_selectorELNS0_4arch9wavefront6targetE0EEEvT1_.num_vgpr, 0
	.set _ZN7rocprim17ROCPRIM_400000_NS6detail17trampoline_kernelINS0_14default_configENS1_25partition_config_selectorILNS1_17partition_subalgoE5EdNS0_10empty_typeEbEEZZNS1_14partition_implILS5_5ELb0ES3_mN6thrust23THRUST_200600_302600_NS6detail15normal_iteratorINSA_10device_ptrIdEEEEPS6_NSA_18transform_iteratorINSB_9not_fun_tINSA_8identityIdEEEESF_NSA_11use_defaultESM_EENS0_5tupleIJSF_S6_EEENSO_IJSG_SG_EEES6_PlJS6_EEE10hipError_tPvRmT3_T4_T5_T6_T7_T9_mT8_P12ihipStream_tbDpT10_ENKUlT_T0_E_clISt17integral_constantIbLb1EES1B_EEDaS16_S17_EUlS16_E_NS1_11comp_targetILNS1_3genE8ELNS1_11target_archE1030ELNS1_3gpuE2ELNS1_3repE0EEENS1_30default_config_static_selectorELNS0_4arch9wavefront6targetE0EEEvT1_.num_agpr, 0
	.set _ZN7rocprim17ROCPRIM_400000_NS6detail17trampoline_kernelINS0_14default_configENS1_25partition_config_selectorILNS1_17partition_subalgoE5EdNS0_10empty_typeEbEEZZNS1_14partition_implILS5_5ELb0ES3_mN6thrust23THRUST_200600_302600_NS6detail15normal_iteratorINSA_10device_ptrIdEEEEPS6_NSA_18transform_iteratorINSB_9not_fun_tINSA_8identityIdEEEESF_NSA_11use_defaultESM_EENS0_5tupleIJSF_S6_EEENSO_IJSG_SG_EEES6_PlJS6_EEE10hipError_tPvRmT3_T4_T5_T6_T7_T9_mT8_P12ihipStream_tbDpT10_ENKUlT_T0_E_clISt17integral_constantIbLb1EES1B_EEDaS16_S17_EUlS16_E_NS1_11comp_targetILNS1_3genE8ELNS1_11target_archE1030ELNS1_3gpuE2ELNS1_3repE0EEENS1_30default_config_static_selectorELNS0_4arch9wavefront6targetE0EEEvT1_.numbered_sgpr, 0
	.set _ZN7rocprim17ROCPRIM_400000_NS6detail17trampoline_kernelINS0_14default_configENS1_25partition_config_selectorILNS1_17partition_subalgoE5EdNS0_10empty_typeEbEEZZNS1_14partition_implILS5_5ELb0ES3_mN6thrust23THRUST_200600_302600_NS6detail15normal_iteratorINSA_10device_ptrIdEEEEPS6_NSA_18transform_iteratorINSB_9not_fun_tINSA_8identityIdEEEESF_NSA_11use_defaultESM_EENS0_5tupleIJSF_S6_EEENSO_IJSG_SG_EEES6_PlJS6_EEE10hipError_tPvRmT3_T4_T5_T6_T7_T9_mT8_P12ihipStream_tbDpT10_ENKUlT_T0_E_clISt17integral_constantIbLb1EES1B_EEDaS16_S17_EUlS16_E_NS1_11comp_targetILNS1_3genE8ELNS1_11target_archE1030ELNS1_3gpuE2ELNS1_3repE0EEENS1_30default_config_static_selectorELNS0_4arch9wavefront6targetE0EEEvT1_.num_named_barrier, 0
	.set _ZN7rocprim17ROCPRIM_400000_NS6detail17trampoline_kernelINS0_14default_configENS1_25partition_config_selectorILNS1_17partition_subalgoE5EdNS0_10empty_typeEbEEZZNS1_14partition_implILS5_5ELb0ES3_mN6thrust23THRUST_200600_302600_NS6detail15normal_iteratorINSA_10device_ptrIdEEEEPS6_NSA_18transform_iteratorINSB_9not_fun_tINSA_8identityIdEEEESF_NSA_11use_defaultESM_EENS0_5tupleIJSF_S6_EEENSO_IJSG_SG_EEES6_PlJS6_EEE10hipError_tPvRmT3_T4_T5_T6_T7_T9_mT8_P12ihipStream_tbDpT10_ENKUlT_T0_E_clISt17integral_constantIbLb1EES1B_EEDaS16_S17_EUlS16_E_NS1_11comp_targetILNS1_3genE8ELNS1_11target_archE1030ELNS1_3gpuE2ELNS1_3repE0EEENS1_30default_config_static_selectorELNS0_4arch9wavefront6targetE0EEEvT1_.private_seg_size, 0
	.set _ZN7rocprim17ROCPRIM_400000_NS6detail17trampoline_kernelINS0_14default_configENS1_25partition_config_selectorILNS1_17partition_subalgoE5EdNS0_10empty_typeEbEEZZNS1_14partition_implILS5_5ELb0ES3_mN6thrust23THRUST_200600_302600_NS6detail15normal_iteratorINSA_10device_ptrIdEEEEPS6_NSA_18transform_iteratorINSB_9not_fun_tINSA_8identityIdEEEESF_NSA_11use_defaultESM_EENS0_5tupleIJSF_S6_EEENSO_IJSG_SG_EEES6_PlJS6_EEE10hipError_tPvRmT3_T4_T5_T6_T7_T9_mT8_P12ihipStream_tbDpT10_ENKUlT_T0_E_clISt17integral_constantIbLb1EES1B_EEDaS16_S17_EUlS16_E_NS1_11comp_targetILNS1_3genE8ELNS1_11target_archE1030ELNS1_3gpuE2ELNS1_3repE0EEENS1_30default_config_static_selectorELNS0_4arch9wavefront6targetE0EEEvT1_.uses_vcc, 0
	.set _ZN7rocprim17ROCPRIM_400000_NS6detail17trampoline_kernelINS0_14default_configENS1_25partition_config_selectorILNS1_17partition_subalgoE5EdNS0_10empty_typeEbEEZZNS1_14partition_implILS5_5ELb0ES3_mN6thrust23THRUST_200600_302600_NS6detail15normal_iteratorINSA_10device_ptrIdEEEEPS6_NSA_18transform_iteratorINSB_9not_fun_tINSA_8identityIdEEEESF_NSA_11use_defaultESM_EENS0_5tupleIJSF_S6_EEENSO_IJSG_SG_EEES6_PlJS6_EEE10hipError_tPvRmT3_T4_T5_T6_T7_T9_mT8_P12ihipStream_tbDpT10_ENKUlT_T0_E_clISt17integral_constantIbLb1EES1B_EEDaS16_S17_EUlS16_E_NS1_11comp_targetILNS1_3genE8ELNS1_11target_archE1030ELNS1_3gpuE2ELNS1_3repE0EEENS1_30default_config_static_selectorELNS0_4arch9wavefront6targetE0EEEvT1_.uses_flat_scratch, 0
	.set _ZN7rocprim17ROCPRIM_400000_NS6detail17trampoline_kernelINS0_14default_configENS1_25partition_config_selectorILNS1_17partition_subalgoE5EdNS0_10empty_typeEbEEZZNS1_14partition_implILS5_5ELb0ES3_mN6thrust23THRUST_200600_302600_NS6detail15normal_iteratorINSA_10device_ptrIdEEEEPS6_NSA_18transform_iteratorINSB_9not_fun_tINSA_8identityIdEEEESF_NSA_11use_defaultESM_EENS0_5tupleIJSF_S6_EEENSO_IJSG_SG_EEES6_PlJS6_EEE10hipError_tPvRmT3_T4_T5_T6_T7_T9_mT8_P12ihipStream_tbDpT10_ENKUlT_T0_E_clISt17integral_constantIbLb1EES1B_EEDaS16_S17_EUlS16_E_NS1_11comp_targetILNS1_3genE8ELNS1_11target_archE1030ELNS1_3gpuE2ELNS1_3repE0EEENS1_30default_config_static_selectorELNS0_4arch9wavefront6targetE0EEEvT1_.has_dyn_sized_stack, 0
	.set _ZN7rocprim17ROCPRIM_400000_NS6detail17trampoline_kernelINS0_14default_configENS1_25partition_config_selectorILNS1_17partition_subalgoE5EdNS0_10empty_typeEbEEZZNS1_14partition_implILS5_5ELb0ES3_mN6thrust23THRUST_200600_302600_NS6detail15normal_iteratorINSA_10device_ptrIdEEEEPS6_NSA_18transform_iteratorINSB_9not_fun_tINSA_8identityIdEEEESF_NSA_11use_defaultESM_EENS0_5tupleIJSF_S6_EEENSO_IJSG_SG_EEES6_PlJS6_EEE10hipError_tPvRmT3_T4_T5_T6_T7_T9_mT8_P12ihipStream_tbDpT10_ENKUlT_T0_E_clISt17integral_constantIbLb1EES1B_EEDaS16_S17_EUlS16_E_NS1_11comp_targetILNS1_3genE8ELNS1_11target_archE1030ELNS1_3gpuE2ELNS1_3repE0EEENS1_30default_config_static_selectorELNS0_4arch9wavefront6targetE0EEEvT1_.has_recursion, 0
	.set _ZN7rocprim17ROCPRIM_400000_NS6detail17trampoline_kernelINS0_14default_configENS1_25partition_config_selectorILNS1_17partition_subalgoE5EdNS0_10empty_typeEbEEZZNS1_14partition_implILS5_5ELb0ES3_mN6thrust23THRUST_200600_302600_NS6detail15normal_iteratorINSA_10device_ptrIdEEEEPS6_NSA_18transform_iteratorINSB_9not_fun_tINSA_8identityIdEEEESF_NSA_11use_defaultESM_EENS0_5tupleIJSF_S6_EEENSO_IJSG_SG_EEES6_PlJS6_EEE10hipError_tPvRmT3_T4_T5_T6_T7_T9_mT8_P12ihipStream_tbDpT10_ENKUlT_T0_E_clISt17integral_constantIbLb1EES1B_EEDaS16_S17_EUlS16_E_NS1_11comp_targetILNS1_3genE8ELNS1_11target_archE1030ELNS1_3gpuE2ELNS1_3repE0EEENS1_30default_config_static_selectorELNS0_4arch9wavefront6targetE0EEEvT1_.has_indirect_call, 0
	.section	.AMDGPU.csdata,"",@progbits
; Kernel info:
; codeLenInByte = 0
; TotalNumSgprs: 0
; NumVgprs: 0
; ScratchSize: 0
; MemoryBound: 0
; FloatMode: 240
; IeeeMode: 1
; LDSByteSize: 0 bytes/workgroup (compile time only)
; SGPRBlocks: 0
; VGPRBlocks: 0
; NumSGPRsForWavesPerEU: 1
; NumVGPRsForWavesPerEU: 1
; Occupancy: 16
; WaveLimiterHint : 0
; COMPUTE_PGM_RSRC2:SCRATCH_EN: 0
; COMPUTE_PGM_RSRC2:USER_SGPR: 2
; COMPUTE_PGM_RSRC2:TRAP_HANDLER: 0
; COMPUTE_PGM_RSRC2:TGID_X_EN: 1
; COMPUTE_PGM_RSRC2:TGID_Y_EN: 0
; COMPUTE_PGM_RSRC2:TGID_Z_EN: 0
; COMPUTE_PGM_RSRC2:TIDIG_COMP_CNT: 0
	.section	.text._ZN7rocprim17ROCPRIM_400000_NS6detail17trampoline_kernelINS0_14default_configENS1_25partition_config_selectorILNS1_17partition_subalgoE5EdNS0_10empty_typeEbEEZZNS1_14partition_implILS5_5ELb0ES3_mN6thrust23THRUST_200600_302600_NS6detail15normal_iteratorINSA_10device_ptrIdEEEEPS6_NSA_18transform_iteratorINSB_9not_fun_tINSA_8identityIdEEEESF_NSA_11use_defaultESM_EENS0_5tupleIJSF_S6_EEENSO_IJSG_SG_EEES6_PlJS6_EEE10hipError_tPvRmT3_T4_T5_T6_T7_T9_mT8_P12ihipStream_tbDpT10_ENKUlT_T0_E_clISt17integral_constantIbLb1EES1A_IbLb0EEEEDaS16_S17_EUlS16_E_NS1_11comp_targetILNS1_3genE0ELNS1_11target_archE4294967295ELNS1_3gpuE0ELNS1_3repE0EEENS1_30default_config_static_selectorELNS0_4arch9wavefront6targetE0EEEvT1_,"axG",@progbits,_ZN7rocprim17ROCPRIM_400000_NS6detail17trampoline_kernelINS0_14default_configENS1_25partition_config_selectorILNS1_17partition_subalgoE5EdNS0_10empty_typeEbEEZZNS1_14partition_implILS5_5ELb0ES3_mN6thrust23THRUST_200600_302600_NS6detail15normal_iteratorINSA_10device_ptrIdEEEEPS6_NSA_18transform_iteratorINSB_9not_fun_tINSA_8identityIdEEEESF_NSA_11use_defaultESM_EENS0_5tupleIJSF_S6_EEENSO_IJSG_SG_EEES6_PlJS6_EEE10hipError_tPvRmT3_T4_T5_T6_T7_T9_mT8_P12ihipStream_tbDpT10_ENKUlT_T0_E_clISt17integral_constantIbLb1EES1A_IbLb0EEEEDaS16_S17_EUlS16_E_NS1_11comp_targetILNS1_3genE0ELNS1_11target_archE4294967295ELNS1_3gpuE0ELNS1_3repE0EEENS1_30default_config_static_selectorELNS0_4arch9wavefront6targetE0EEEvT1_,comdat
	.protected	_ZN7rocprim17ROCPRIM_400000_NS6detail17trampoline_kernelINS0_14default_configENS1_25partition_config_selectorILNS1_17partition_subalgoE5EdNS0_10empty_typeEbEEZZNS1_14partition_implILS5_5ELb0ES3_mN6thrust23THRUST_200600_302600_NS6detail15normal_iteratorINSA_10device_ptrIdEEEEPS6_NSA_18transform_iteratorINSB_9not_fun_tINSA_8identityIdEEEESF_NSA_11use_defaultESM_EENS0_5tupleIJSF_S6_EEENSO_IJSG_SG_EEES6_PlJS6_EEE10hipError_tPvRmT3_T4_T5_T6_T7_T9_mT8_P12ihipStream_tbDpT10_ENKUlT_T0_E_clISt17integral_constantIbLb1EES1A_IbLb0EEEEDaS16_S17_EUlS16_E_NS1_11comp_targetILNS1_3genE0ELNS1_11target_archE4294967295ELNS1_3gpuE0ELNS1_3repE0EEENS1_30default_config_static_selectorELNS0_4arch9wavefront6targetE0EEEvT1_ ; -- Begin function _ZN7rocprim17ROCPRIM_400000_NS6detail17trampoline_kernelINS0_14default_configENS1_25partition_config_selectorILNS1_17partition_subalgoE5EdNS0_10empty_typeEbEEZZNS1_14partition_implILS5_5ELb0ES3_mN6thrust23THRUST_200600_302600_NS6detail15normal_iteratorINSA_10device_ptrIdEEEEPS6_NSA_18transform_iteratorINSB_9not_fun_tINSA_8identityIdEEEESF_NSA_11use_defaultESM_EENS0_5tupleIJSF_S6_EEENSO_IJSG_SG_EEES6_PlJS6_EEE10hipError_tPvRmT3_T4_T5_T6_T7_T9_mT8_P12ihipStream_tbDpT10_ENKUlT_T0_E_clISt17integral_constantIbLb1EES1A_IbLb0EEEEDaS16_S17_EUlS16_E_NS1_11comp_targetILNS1_3genE0ELNS1_11target_archE4294967295ELNS1_3gpuE0ELNS1_3repE0EEENS1_30default_config_static_selectorELNS0_4arch9wavefront6targetE0EEEvT1_
	.globl	_ZN7rocprim17ROCPRIM_400000_NS6detail17trampoline_kernelINS0_14default_configENS1_25partition_config_selectorILNS1_17partition_subalgoE5EdNS0_10empty_typeEbEEZZNS1_14partition_implILS5_5ELb0ES3_mN6thrust23THRUST_200600_302600_NS6detail15normal_iteratorINSA_10device_ptrIdEEEEPS6_NSA_18transform_iteratorINSB_9not_fun_tINSA_8identityIdEEEESF_NSA_11use_defaultESM_EENS0_5tupleIJSF_S6_EEENSO_IJSG_SG_EEES6_PlJS6_EEE10hipError_tPvRmT3_T4_T5_T6_T7_T9_mT8_P12ihipStream_tbDpT10_ENKUlT_T0_E_clISt17integral_constantIbLb1EES1A_IbLb0EEEEDaS16_S17_EUlS16_E_NS1_11comp_targetILNS1_3genE0ELNS1_11target_archE4294967295ELNS1_3gpuE0ELNS1_3repE0EEENS1_30default_config_static_selectorELNS0_4arch9wavefront6targetE0EEEvT1_
	.p2align	8
	.type	_ZN7rocprim17ROCPRIM_400000_NS6detail17trampoline_kernelINS0_14default_configENS1_25partition_config_selectorILNS1_17partition_subalgoE5EdNS0_10empty_typeEbEEZZNS1_14partition_implILS5_5ELb0ES3_mN6thrust23THRUST_200600_302600_NS6detail15normal_iteratorINSA_10device_ptrIdEEEEPS6_NSA_18transform_iteratorINSB_9not_fun_tINSA_8identityIdEEEESF_NSA_11use_defaultESM_EENS0_5tupleIJSF_S6_EEENSO_IJSG_SG_EEES6_PlJS6_EEE10hipError_tPvRmT3_T4_T5_T6_T7_T9_mT8_P12ihipStream_tbDpT10_ENKUlT_T0_E_clISt17integral_constantIbLb1EES1A_IbLb0EEEEDaS16_S17_EUlS16_E_NS1_11comp_targetILNS1_3genE0ELNS1_11target_archE4294967295ELNS1_3gpuE0ELNS1_3repE0EEENS1_30default_config_static_selectorELNS0_4arch9wavefront6targetE0EEEvT1_,@function
_ZN7rocprim17ROCPRIM_400000_NS6detail17trampoline_kernelINS0_14default_configENS1_25partition_config_selectorILNS1_17partition_subalgoE5EdNS0_10empty_typeEbEEZZNS1_14partition_implILS5_5ELb0ES3_mN6thrust23THRUST_200600_302600_NS6detail15normal_iteratorINSA_10device_ptrIdEEEEPS6_NSA_18transform_iteratorINSB_9not_fun_tINSA_8identityIdEEEESF_NSA_11use_defaultESM_EENS0_5tupleIJSF_S6_EEENSO_IJSG_SG_EEES6_PlJS6_EEE10hipError_tPvRmT3_T4_T5_T6_T7_T9_mT8_P12ihipStream_tbDpT10_ENKUlT_T0_E_clISt17integral_constantIbLb1EES1A_IbLb0EEEEDaS16_S17_EUlS16_E_NS1_11comp_targetILNS1_3genE0ELNS1_11target_archE4294967295ELNS1_3gpuE0ELNS1_3repE0EEENS1_30default_config_static_selectorELNS0_4arch9wavefront6targetE0EEEvT1_: ; @_ZN7rocprim17ROCPRIM_400000_NS6detail17trampoline_kernelINS0_14default_configENS1_25partition_config_selectorILNS1_17partition_subalgoE5EdNS0_10empty_typeEbEEZZNS1_14partition_implILS5_5ELb0ES3_mN6thrust23THRUST_200600_302600_NS6detail15normal_iteratorINSA_10device_ptrIdEEEEPS6_NSA_18transform_iteratorINSB_9not_fun_tINSA_8identityIdEEEESF_NSA_11use_defaultESM_EENS0_5tupleIJSF_S6_EEENSO_IJSG_SG_EEES6_PlJS6_EEE10hipError_tPvRmT3_T4_T5_T6_T7_T9_mT8_P12ihipStream_tbDpT10_ENKUlT_T0_E_clISt17integral_constantIbLb1EES1A_IbLb0EEEEDaS16_S17_EUlS16_E_NS1_11comp_targetILNS1_3genE0ELNS1_11target_archE4294967295ELNS1_3gpuE0ELNS1_3repE0EEENS1_30default_config_static_selectorELNS0_4arch9wavefront6targetE0EEEvT1_
; %bb.0:
	.section	.rodata,"a",@progbits
	.p2align	6, 0x0
	.amdhsa_kernel _ZN7rocprim17ROCPRIM_400000_NS6detail17trampoline_kernelINS0_14default_configENS1_25partition_config_selectorILNS1_17partition_subalgoE5EdNS0_10empty_typeEbEEZZNS1_14partition_implILS5_5ELb0ES3_mN6thrust23THRUST_200600_302600_NS6detail15normal_iteratorINSA_10device_ptrIdEEEEPS6_NSA_18transform_iteratorINSB_9not_fun_tINSA_8identityIdEEEESF_NSA_11use_defaultESM_EENS0_5tupleIJSF_S6_EEENSO_IJSG_SG_EEES6_PlJS6_EEE10hipError_tPvRmT3_T4_T5_T6_T7_T9_mT8_P12ihipStream_tbDpT10_ENKUlT_T0_E_clISt17integral_constantIbLb1EES1A_IbLb0EEEEDaS16_S17_EUlS16_E_NS1_11comp_targetILNS1_3genE0ELNS1_11target_archE4294967295ELNS1_3gpuE0ELNS1_3repE0EEENS1_30default_config_static_selectorELNS0_4arch9wavefront6targetE0EEEvT1_
		.amdhsa_group_segment_fixed_size 0
		.amdhsa_private_segment_fixed_size 0
		.amdhsa_kernarg_size 120
		.amdhsa_user_sgpr_count 2
		.amdhsa_user_sgpr_dispatch_ptr 0
		.amdhsa_user_sgpr_queue_ptr 0
		.amdhsa_user_sgpr_kernarg_segment_ptr 1
		.amdhsa_user_sgpr_dispatch_id 0
		.amdhsa_user_sgpr_private_segment_size 0
		.amdhsa_wavefront_size32 1
		.amdhsa_uses_dynamic_stack 0
		.amdhsa_enable_private_segment 0
		.amdhsa_system_sgpr_workgroup_id_x 1
		.amdhsa_system_sgpr_workgroup_id_y 0
		.amdhsa_system_sgpr_workgroup_id_z 0
		.amdhsa_system_sgpr_workgroup_info 0
		.amdhsa_system_vgpr_workitem_id 0
		.amdhsa_next_free_vgpr 1
		.amdhsa_next_free_sgpr 1
		.amdhsa_reserve_vcc 0
		.amdhsa_float_round_mode_32 0
		.amdhsa_float_round_mode_16_64 0
		.amdhsa_float_denorm_mode_32 3
		.amdhsa_float_denorm_mode_16_64 3
		.amdhsa_fp16_overflow 0
		.amdhsa_workgroup_processor_mode 1
		.amdhsa_memory_ordered 1
		.amdhsa_forward_progress 1
		.amdhsa_inst_pref_size 0
		.amdhsa_round_robin_scheduling 0
		.amdhsa_exception_fp_ieee_invalid_op 0
		.amdhsa_exception_fp_denorm_src 0
		.amdhsa_exception_fp_ieee_div_zero 0
		.amdhsa_exception_fp_ieee_overflow 0
		.amdhsa_exception_fp_ieee_underflow 0
		.amdhsa_exception_fp_ieee_inexact 0
		.amdhsa_exception_int_div_zero 0
	.end_amdhsa_kernel
	.section	.text._ZN7rocprim17ROCPRIM_400000_NS6detail17trampoline_kernelINS0_14default_configENS1_25partition_config_selectorILNS1_17partition_subalgoE5EdNS0_10empty_typeEbEEZZNS1_14partition_implILS5_5ELb0ES3_mN6thrust23THRUST_200600_302600_NS6detail15normal_iteratorINSA_10device_ptrIdEEEEPS6_NSA_18transform_iteratorINSB_9not_fun_tINSA_8identityIdEEEESF_NSA_11use_defaultESM_EENS0_5tupleIJSF_S6_EEENSO_IJSG_SG_EEES6_PlJS6_EEE10hipError_tPvRmT3_T4_T5_T6_T7_T9_mT8_P12ihipStream_tbDpT10_ENKUlT_T0_E_clISt17integral_constantIbLb1EES1A_IbLb0EEEEDaS16_S17_EUlS16_E_NS1_11comp_targetILNS1_3genE0ELNS1_11target_archE4294967295ELNS1_3gpuE0ELNS1_3repE0EEENS1_30default_config_static_selectorELNS0_4arch9wavefront6targetE0EEEvT1_,"axG",@progbits,_ZN7rocprim17ROCPRIM_400000_NS6detail17trampoline_kernelINS0_14default_configENS1_25partition_config_selectorILNS1_17partition_subalgoE5EdNS0_10empty_typeEbEEZZNS1_14partition_implILS5_5ELb0ES3_mN6thrust23THRUST_200600_302600_NS6detail15normal_iteratorINSA_10device_ptrIdEEEEPS6_NSA_18transform_iteratorINSB_9not_fun_tINSA_8identityIdEEEESF_NSA_11use_defaultESM_EENS0_5tupleIJSF_S6_EEENSO_IJSG_SG_EEES6_PlJS6_EEE10hipError_tPvRmT3_T4_T5_T6_T7_T9_mT8_P12ihipStream_tbDpT10_ENKUlT_T0_E_clISt17integral_constantIbLb1EES1A_IbLb0EEEEDaS16_S17_EUlS16_E_NS1_11comp_targetILNS1_3genE0ELNS1_11target_archE4294967295ELNS1_3gpuE0ELNS1_3repE0EEENS1_30default_config_static_selectorELNS0_4arch9wavefront6targetE0EEEvT1_,comdat
.Lfunc_end805:
	.size	_ZN7rocprim17ROCPRIM_400000_NS6detail17trampoline_kernelINS0_14default_configENS1_25partition_config_selectorILNS1_17partition_subalgoE5EdNS0_10empty_typeEbEEZZNS1_14partition_implILS5_5ELb0ES3_mN6thrust23THRUST_200600_302600_NS6detail15normal_iteratorINSA_10device_ptrIdEEEEPS6_NSA_18transform_iteratorINSB_9not_fun_tINSA_8identityIdEEEESF_NSA_11use_defaultESM_EENS0_5tupleIJSF_S6_EEENSO_IJSG_SG_EEES6_PlJS6_EEE10hipError_tPvRmT3_T4_T5_T6_T7_T9_mT8_P12ihipStream_tbDpT10_ENKUlT_T0_E_clISt17integral_constantIbLb1EES1A_IbLb0EEEEDaS16_S17_EUlS16_E_NS1_11comp_targetILNS1_3genE0ELNS1_11target_archE4294967295ELNS1_3gpuE0ELNS1_3repE0EEENS1_30default_config_static_selectorELNS0_4arch9wavefront6targetE0EEEvT1_, .Lfunc_end805-_ZN7rocprim17ROCPRIM_400000_NS6detail17trampoline_kernelINS0_14default_configENS1_25partition_config_selectorILNS1_17partition_subalgoE5EdNS0_10empty_typeEbEEZZNS1_14partition_implILS5_5ELb0ES3_mN6thrust23THRUST_200600_302600_NS6detail15normal_iteratorINSA_10device_ptrIdEEEEPS6_NSA_18transform_iteratorINSB_9not_fun_tINSA_8identityIdEEEESF_NSA_11use_defaultESM_EENS0_5tupleIJSF_S6_EEENSO_IJSG_SG_EEES6_PlJS6_EEE10hipError_tPvRmT3_T4_T5_T6_T7_T9_mT8_P12ihipStream_tbDpT10_ENKUlT_T0_E_clISt17integral_constantIbLb1EES1A_IbLb0EEEEDaS16_S17_EUlS16_E_NS1_11comp_targetILNS1_3genE0ELNS1_11target_archE4294967295ELNS1_3gpuE0ELNS1_3repE0EEENS1_30default_config_static_selectorELNS0_4arch9wavefront6targetE0EEEvT1_
                                        ; -- End function
	.set _ZN7rocprim17ROCPRIM_400000_NS6detail17trampoline_kernelINS0_14default_configENS1_25partition_config_selectorILNS1_17partition_subalgoE5EdNS0_10empty_typeEbEEZZNS1_14partition_implILS5_5ELb0ES3_mN6thrust23THRUST_200600_302600_NS6detail15normal_iteratorINSA_10device_ptrIdEEEEPS6_NSA_18transform_iteratorINSB_9not_fun_tINSA_8identityIdEEEESF_NSA_11use_defaultESM_EENS0_5tupleIJSF_S6_EEENSO_IJSG_SG_EEES6_PlJS6_EEE10hipError_tPvRmT3_T4_T5_T6_T7_T9_mT8_P12ihipStream_tbDpT10_ENKUlT_T0_E_clISt17integral_constantIbLb1EES1A_IbLb0EEEEDaS16_S17_EUlS16_E_NS1_11comp_targetILNS1_3genE0ELNS1_11target_archE4294967295ELNS1_3gpuE0ELNS1_3repE0EEENS1_30default_config_static_selectorELNS0_4arch9wavefront6targetE0EEEvT1_.num_vgpr, 0
	.set _ZN7rocprim17ROCPRIM_400000_NS6detail17trampoline_kernelINS0_14default_configENS1_25partition_config_selectorILNS1_17partition_subalgoE5EdNS0_10empty_typeEbEEZZNS1_14partition_implILS5_5ELb0ES3_mN6thrust23THRUST_200600_302600_NS6detail15normal_iteratorINSA_10device_ptrIdEEEEPS6_NSA_18transform_iteratorINSB_9not_fun_tINSA_8identityIdEEEESF_NSA_11use_defaultESM_EENS0_5tupleIJSF_S6_EEENSO_IJSG_SG_EEES6_PlJS6_EEE10hipError_tPvRmT3_T4_T5_T6_T7_T9_mT8_P12ihipStream_tbDpT10_ENKUlT_T0_E_clISt17integral_constantIbLb1EES1A_IbLb0EEEEDaS16_S17_EUlS16_E_NS1_11comp_targetILNS1_3genE0ELNS1_11target_archE4294967295ELNS1_3gpuE0ELNS1_3repE0EEENS1_30default_config_static_selectorELNS0_4arch9wavefront6targetE0EEEvT1_.num_agpr, 0
	.set _ZN7rocprim17ROCPRIM_400000_NS6detail17trampoline_kernelINS0_14default_configENS1_25partition_config_selectorILNS1_17partition_subalgoE5EdNS0_10empty_typeEbEEZZNS1_14partition_implILS5_5ELb0ES3_mN6thrust23THRUST_200600_302600_NS6detail15normal_iteratorINSA_10device_ptrIdEEEEPS6_NSA_18transform_iteratorINSB_9not_fun_tINSA_8identityIdEEEESF_NSA_11use_defaultESM_EENS0_5tupleIJSF_S6_EEENSO_IJSG_SG_EEES6_PlJS6_EEE10hipError_tPvRmT3_T4_T5_T6_T7_T9_mT8_P12ihipStream_tbDpT10_ENKUlT_T0_E_clISt17integral_constantIbLb1EES1A_IbLb0EEEEDaS16_S17_EUlS16_E_NS1_11comp_targetILNS1_3genE0ELNS1_11target_archE4294967295ELNS1_3gpuE0ELNS1_3repE0EEENS1_30default_config_static_selectorELNS0_4arch9wavefront6targetE0EEEvT1_.numbered_sgpr, 0
	.set _ZN7rocprim17ROCPRIM_400000_NS6detail17trampoline_kernelINS0_14default_configENS1_25partition_config_selectorILNS1_17partition_subalgoE5EdNS0_10empty_typeEbEEZZNS1_14partition_implILS5_5ELb0ES3_mN6thrust23THRUST_200600_302600_NS6detail15normal_iteratorINSA_10device_ptrIdEEEEPS6_NSA_18transform_iteratorINSB_9not_fun_tINSA_8identityIdEEEESF_NSA_11use_defaultESM_EENS0_5tupleIJSF_S6_EEENSO_IJSG_SG_EEES6_PlJS6_EEE10hipError_tPvRmT3_T4_T5_T6_T7_T9_mT8_P12ihipStream_tbDpT10_ENKUlT_T0_E_clISt17integral_constantIbLb1EES1A_IbLb0EEEEDaS16_S17_EUlS16_E_NS1_11comp_targetILNS1_3genE0ELNS1_11target_archE4294967295ELNS1_3gpuE0ELNS1_3repE0EEENS1_30default_config_static_selectorELNS0_4arch9wavefront6targetE0EEEvT1_.num_named_barrier, 0
	.set _ZN7rocprim17ROCPRIM_400000_NS6detail17trampoline_kernelINS0_14default_configENS1_25partition_config_selectorILNS1_17partition_subalgoE5EdNS0_10empty_typeEbEEZZNS1_14partition_implILS5_5ELb0ES3_mN6thrust23THRUST_200600_302600_NS6detail15normal_iteratorINSA_10device_ptrIdEEEEPS6_NSA_18transform_iteratorINSB_9not_fun_tINSA_8identityIdEEEESF_NSA_11use_defaultESM_EENS0_5tupleIJSF_S6_EEENSO_IJSG_SG_EEES6_PlJS6_EEE10hipError_tPvRmT3_T4_T5_T6_T7_T9_mT8_P12ihipStream_tbDpT10_ENKUlT_T0_E_clISt17integral_constantIbLb1EES1A_IbLb0EEEEDaS16_S17_EUlS16_E_NS1_11comp_targetILNS1_3genE0ELNS1_11target_archE4294967295ELNS1_3gpuE0ELNS1_3repE0EEENS1_30default_config_static_selectorELNS0_4arch9wavefront6targetE0EEEvT1_.private_seg_size, 0
	.set _ZN7rocprim17ROCPRIM_400000_NS6detail17trampoline_kernelINS0_14default_configENS1_25partition_config_selectorILNS1_17partition_subalgoE5EdNS0_10empty_typeEbEEZZNS1_14partition_implILS5_5ELb0ES3_mN6thrust23THRUST_200600_302600_NS6detail15normal_iteratorINSA_10device_ptrIdEEEEPS6_NSA_18transform_iteratorINSB_9not_fun_tINSA_8identityIdEEEESF_NSA_11use_defaultESM_EENS0_5tupleIJSF_S6_EEENSO_IJSG_SG_EEES6_PlJS6_EEE10hipError_tPvRmT3_T4_T5_T6_T7_T9_mT8_P12ihipStream_tbDpT10_ENKUlT_T0_E_clISt17integral_constantIbLb1EES1A_IbLb0EEEEDaS16_S17_EUlS16_E_NS1_11comp_targetILNS1_3genE0ELNS1_11target_archE4294967295ELNS1_3gpuE0ELNS1_3repE0EEENS1_30default_config_static_selectorELNS0_4arch9wavefront6targetE0EEEvT1_.uses_vcc, 0
	.set _ZN7rocprim17ROCPRIM_400000_NS6detail17trampoline_kernelINS0_14default_configENS1_25partition_config_selectorILNS1_17partition_subalgoE5EdNS0_10empty_typeEbEEZZNS1_14partition_implILS5_5ELb0ES3_mN6thrust23THRUST_200600_302600_NS6detail15normal_iteratorINSA_10device_ptrIdEEEEPS6_NSA_18transform_iteratorINSB_9not_fun_tINSA_8identityIdEEEESF_NSA_11use_defaultESM_EENS0_5tupleIJSF_S6_EEENSO_IJSG_SG_EEES6_PlJS6_EEE10hipError_tPvRmT3_T4_T5_T6_T7_T9_mT8_P12ihipStream_tbDpT10_ENKUlT_T0_E_clISt17integral_constantIbLb1EES1A_IbLb0EEEEDaS16_S17_EUlS16_E_NS1_11comp_targetILNS1_3genE0ELNS1_11target_archE4294967295ELNS1_3gpuE0ELNS1_3repE0EEENS1_30default_config_static_selectorELNS0_4arch9wavefront6targetE0EEEvT1_.uses_flat_scratch, 0
	.set _ZN7rocprim17ROCPRIM_400000_NS6detail17trampoline_kernelINS0_14default_configENS1_25partition_config_selectorILNS1_17partition_subalgoE5EdNS0_10empty_typeEbEEZZNS1_14partition_implILS5_5ELb0ES3_mN6thrust23THRUST_200600_302600_NS6detail15normal_iteratorINSA_10device_ptrIdEEEEPS6_NSA_18transform_iteratorINSB_9not_fun_tINSA_8identityIdEEEESF_NSA_11use_defaultESM_EENS0_5tupleIJSF_S6_EEENSO_IJSG_SG_EEES6_PlJS6_EEE10hipError_tPvRmT3_T4_T5_T6_T7_T9_mT8_P12ihipStream_tbDpT10_ENKUlT_T0_E_clISt17integral_constantIbLb1EES1A_IbLb0EEEEDaS16_S17_EUlS16_E_NS1_11comp_targetILNS1_3genE0ELNS1_11target_archE4294967295ELNS1_3gpuE0ELNS1_3repE0EEENS1_30default_config_static_selectorELNS0_4arch9wavefront6targetE0EEEvT1_.has_dyn_sized_stack, 0
	.set _ZN7rocprim17ROCPRIM_400000_NS6detail17trampoline_kernelINS0_14default_configENS1_25partition_config_selectorILNS1_17partition_subalgoE5EdNS0_10empty_typeEbEEZZNS1_14partition_implILS5_5ELb0ES3_mN6thrust23THRUST_200600_302600_NS6detail15normal_iteratorINSA_10device_ptrIdEEEEPS6_NSA_18transform_iteratorINSB_9not_fun_tINSA_8identityIdEEEESF_NSA_11use_defaultESM_EENS0_5tupleIJSF_S6_EEENSO_IJSG_SG_EEES6_PlJS6_EEE10hipError_tPvRmT3_T4_T5_T6_T7_T9_mT8_P12ihipStream_tbDpT10_ENKUlT_T0_E_clISt17integral_constantIbLb1EES1A_IbLb0EEEEDaS16_S17_EUlS16_E_NS1_11comp_targetILNS1_3genE0ELNS1_11target_archE4294967295ELNS1_3gpuE0ELNS1_3repE0EEENS1_30default_config_static_selectorELNS0_4arch9wavefront6targetE0EEEvT1_.has_recursion, 0
	.set _ZN7rocprim17ROCPRIM_400000_NS6detail17trampoline_kernelINS0_14default_configENS1_25partition_config_selectorILNS1_17partition_subalgoE5EdNS0_10empty_typeEbEEZZNS1_14partition_implILS5_5ELb0ES3_mN6thrust23THRUST_200600_302600_NS6detail15normal_iteratorINSA_10device_ptrIdEEEEPS6_NSA_18transform_iteratorINSB_9not_fun_tINSA_8identityIdEEEESF_NSA_11use_defaultESM_EENS0_5tupleIJSF_S6_EEENSO_IJSG_SG_EEES6_PlJS6_EEE10hipError_tPvRmT3_T4_T5_T6_T7_T9_mT8_P12ihipStream_tbDpT10_ENKUlT_T0_E_clISt17integral_constantIbLb1EES1A_IbLb0EEEEDaS16_S17_EUlS16_E_NS1_11comp_targetILNS1_3genE0ELNS1_11target_archE4294967295ELNS1_3gpuE0ELNS1_3repE0EEENS1_30default_config_static_selectorELNS0_4arch9wavefront6targetE0EEEvT1_.has_indirect_call, 0
	.section	.AMDGPU.csdata,"",@progbits
; Kernel info:
; codeLenInByte = 0
; TotalNumSgprs: 0
; NumVgprs: 0
; ScratchSize: 0
; MemoryBound: 0
; FloatMode: 240
; IeeeMode: 1
; LDSByteSize: 0 bytes/workgroup (compile time only)
; SGPRBlocks: 0
; VGPRBlocks: 0
; NumSGPRsForWavesPerEU: 1
; NumVGPRsForWavesPerEU: 1
; Occupancy: 16
; WaveLimiterHint : 0
; COMPUTE_PGM_RSRC2:SCRATCH_EN: 0
; COMPUTE_PGM_RSRC2:USER_SGPR: 2
; COMPUTE_PGM_RSRC2:TRAP_HANDLER: 0
; COMPUTE_PGM_RSRC2:TGID_X_EN: 1
; COMPUTE_PGM_RSRC2:TGID_Y_EN: 0
; COMPUTE_PGM_RSRC2:TGID_Z_EN: 0
; COMPUTE_PGM_RSRC2:TIDIG_COMP_CNT: 0
	.section	.text._ZN7rocprim17ROCPRIM_400000_NS6detail17trampoline_kernelINS0_14default_configENS1_25partition_config_selectorILNS1_17partition_subalgoE5EdNS0_10empty_typeEbEEZZNS1_14partition_implILS5_5ELb0ES3_mN6thrust23THRUST_200600_302600_NS6detail15normal_iteratorINSA_10device_ptrIdEEEEPS6_NSA_18transform_iteratorINSB_9not_fun_tINSA_8identityIdEEEESF_NSA_11use_defaultESM_EENS0_5tupleIJSF_S6_EEENSO_IJSG_SG_EEES6_PlJS6_EEE10hipError_tPvRmT3_T4_T5_T6_T7_T9_mT8_P12ihipStream_tbDpT10_ENKUlT_T0_E_clISt17integral_constantIbLb1EES1A_IbLb0EEEEDaS16_S17_EUlS16_E_NS1_11comp_targetILNS1_3genE5ELNS1_11target_archE942ELNS1_3gpuE9ELNS1_3repE0EEENS1_30default_config_static_selectorELNS0_4arch9wavefront6targetE0EEEvT1_,"axG",@progbits,_ZN7rocprim17ROCPRIM_400000_NS6detail17trampoline_kernelINS0_14default_configENS1_25partition_config_selectorILNS1_17partition_subalgoE5EdNS0_10empty_typeEbEEZZNS1_14partition_implILS5_5ELb0ES3_mN6thrust23THRUST_200600_302600_NS6detail15normal_iteratorINSA_10device_ptrIdEEEEPS6_NSA_18transform_iteratorINSB_9not_fun_tINSA_8identityIdEEEESF_NSA_11use_defaultESM_EENS0_5tupleIJSF_S6_EEENSO_IJSG_SG_EEES6_PlJS6_EEE10hipError_tPvRmT3_T4_T5_T6_T7_T9_mT8_P12ihipStream_tbDpT10_ENKUlT_T0_E_clISt17integral_constantIbLb1EES1A_IbLb0EEEEDaS16_S17_EUlS16_E_NS1_11comp_targetILNS1_3genE5ELNS1_11target_archE942ELNS1_3gpuE9ELNS1_3repE0EEENS1_30default_config_static_selectorELNS0_4arch9wavefront6targetE0EEEvT1_,comdat
	.protected	_ZN7rocprim17ROCPRIM_400000_NS6detail17trampoline_kernelINS0_14default_configENS1_25partition_config_selectorILNS1_17partition_subalgoE5EdNS0_10empty_typeEbEEZZNS1_14partition_implILS5_5ELb0ES3_mN6thrust23THRUST_200600_302600_NS6detail15normal_iteratorINSA_10device_ptrIdEEEEPS6_NSA_18transform_iteratorINSB_9not_fun_tINSA_8identityIdEEEESF_NSA_11use_defaultESM_EENS0_5tupleIJSF_S6_EEENSO_IJSG_SG_EEES6_PlJS6_EEE10hipError_tPvRmT3_T4_T5_T6_T7_T9_mT8_P12ihipStream_tbDpT10_ENKUlT_T0_E_clISt17integral_constantIbLb1EES1A_IbLb0EEEEDaS16_S17_EUlS16_E_NS1_11comp_targetILNS1_3genE5ELNS1_11target_archE942ELNS1_3gpuE9ELNS1_3repE0EEENS1_30default_config_static_selectorELNS0_4arch9wavefront6targetE0EEEvT1_ ; -- Begin function _ZN7rocprim17ROCPRIM_400000_NS6detail17trampoline_kernelINS0_14default_configENS1_25partition_config_selectorILNS1_17partition_subalgoE5EdNS0_10empty_typeEbEEZZNS1_14partition_implILS5_5ELb0ES3_mN6thrust23THRUST_200600_302600_NS6detail15normal_iteratorINSA_10device_ptrIdEEEEPS6_NSA_18transform_iteratorINSB_9not_fun_tINSA_8identityIdEEEESF_NSA_11use_defaultESM_EENS0_5tupleIJSF_S6_EEENSO_IJSG_SG_EEES6_PlJS6_EEE10hipError_tPvRmT3_T4_T5_T6_T7_T9_mT8_P12ihipStream_tbDpT10_ENKUlT_T0_E_clISt17integral_constantIbLb1EES1A_IbLb0EEEEDaS16_S17_EUlS16_E_NS1_11comp_targetILNS1_3genE5ELNS1_11target_archE942ELNS1_3gpuE9ELNS1_3repE0EEENS1_30default_config_static_selectorELNS0_4arch9wavefront6targetE0EEEvT1_
	.globl	_ZN7rocprim17ROCPRIM_400000_NS6detail17trampoline_kernelINS0_14default_configENS1_25partition_config_selectorILNS1_17partition_subalgoE5EdNS0_10empty_typeEbEEZZNS1_14partition_implILS5_5ELb0ES3_mN6thrust23THRUST_200600_302600_NS6detail15normal_iteratorINSA_10device_ptrIdEEEEPS6_NSA_18transform_iteratorINSB_9not_fun_tINSA_8identityIdEEEESF_NSA_11use_defaultESM_EENS0_5tupleIJSF_S6_EEENSO_IJSG_SG_EEES6_PlJS6_EEE10hipError_tPvRmT3_T4_T5_T6_T7_T9_mT8_P12ihipStream_tbDpT10_ENKUlT_T0_E_clISt17integral_constantIbLb1EES1A_IbLb0EEEEDaS16_S17_EUlS16_E_NS1_11comp_targetILNS1_3genE5ELNS1_11target_archE942ELNS1_3gpuE9ELNS1_3repE0EEENS1_30default_config_static_selectorELNS0_4arch9wavefront6targetE0EEEvT1_
	.p2align	8
	.type	_ZN7rocprim17ROCPRIM_400000_NS6detail17trampoline_kernelINS0_14default_configENS1_25partition_config_selectorILNS1_17partition_subalgoE5EdNS0_10empty_typeEbEEZZNS1_14partition_implILS5_5ELb0ES3_mN6thrust23THRUST_200600_302600_NS6detail15normal_iteratorINSA_10device_ptrIdEEEEPS6_NSA_18transform_iteratorINSB_9not_fun_tINSA_8identityIdEEEESF_NSA_11use_defaultESM_EENS0_5tupleIJSF_S6_EEENSO_IJSG_SG_EEES6_PlJS6_EEE10hipError_tPvRmT3_T4_T5_T6_T7_T9_mT8_P12ihipStream_tbDpT10_ENKUlT_T0_E_clISt17integral_constantIbLb1EES1A_IbLb0EEEEDaS16_S17_EUlS16_E_NS1_11comp_targetILNS1_3genE5ELNS1_11target_archE942ELNS1_3gpuE9ELNS1_3repE0EEENS1_30default_config_static_selectorELNS0_4arch9wavefront6targetE0EEEvT1_,@function
_ZN7rocprim17ROCPRIM_400000_NS6detail17trampoline_kernelINS0_14default_configENS1_25partition_config_selectorILNS1_17partition_subalgoE5EdNS0_10empty_typeEbEEZZNS1_14partition_implILS5_5ELb0ES3_mN6thrust23THRUST_200600_302600_NS6detail15normal_iteratorINSA_10device_ptrIdEEEEPS6_NSA_18transform_iteratorINSB_9not_fun_tINSA_8identityIdEEEESF_NSA_11use_defaultESM_EENS0_5tupleIJSF_S6_EEENSO_IJSG_SG_EEES6_PlJS6_EEE10hipError_tPvRmT3_T4_T5_T6_T7_T9_mT8_P12ihipStream_tbDpT10_ENKUlT_T0_E_clISt17integral_constantIbLb1EES1A_IbLb0EEEEDaS16_S17_EUlS16_E_NS1_11comp_targetILNS1_3genE5ELNS1_11target_archE942ELNS1_3gpuE9ELNS1_3repE0EEENS1_30default_config_static_selectorELNS0_4arch9wavefront6targetE0EEEvT1_: ; @_ZN7rocprim17ROCPRIM_400000_NS6detail17trampoline_kernelINS0_14default_configENS1_25partition_config_selectorILNS1_17partition_subalgoE5EdNS0_10empty_typeEbEEZZNS1_14partition_implILS5_5ELb0ES3_mN6thrust23THRUST_200600_302600_NS6detail15normal_iteratorINSA_10device_ptrIdEEEEPS6_NSA_18transform_iteratorINSB_9not_fun_tINSA_8identityIdEEEESF_NSA_11use_defaultESM_EENS0_5tupleIJSF_S6_EEENSO_IJSG_SG_EEES6_PlJS6_EEE10hipError_tPvRmT3_T4_T5_T6_T7_T9_mT8_P12ihipStream_tbDpT10_ENKUlT_T0_E_clISt17integral_constantIbLb1EES1A_IbLb0EEEEDaS16_S17_EUlS16_E_NS1_11comp_targetILNS1_3genE5ELNS1_11target_archE942ELNS1_3gpuE9ELNS1_3repE0EEENS1_30default_config_static_selectorELNS0_4arch9wavefront6targetE0EEEvT1_
; %bb.0:
	.section	.rodata,"a",@progbits
	.p2align	6, 0x0
	.amdhsa_kernel _ZN7rocprim17ROCPRIM_400000_NS6detail17trampoline_kernelINS0_14default_configENS1_25partition_config_selectorILNS1_17partition_subalgoE5EdNS0_10empty_typeEbEEZZNS1_14partition_implILS5_5ELb0ES3_mN6thrust23THRUST_200600_302600_NS6detail15normal_iteratorINSA_10device_ptrIdEEEEPS6_NSA_18transform_iteratorINSB_9not_fun_tINSA_8identityIdEEEESF_NSA_11use_defaultESM_EENS0_5tupleIJSF_S6_EEENSO_IJSG_SG_EEES6_PlJS6_EEE10hipError_tPvRmT3_T4_T5_T6_T7_T9_mT8_P12ihipStream_tbDpT10_ENKUlT_T0_E_clISt17integral_constantIbLb1EES1A_IbLb0EEEEDaS16_S17_EUlS16_E_NS1_11comp_targetILNS1_3genE5ELNS1_11target_archE942ELNS1_3gpuE9ELNS1_3repE0EEENS1_30default_config_static_selectorELNS0_4arch9wavefront6targetE0EEEvT1_
		.amdhsa_group_segment_fixed_size 0
		.amdhsa_private_segment_fixed_size 0
		.amdhsa_kernarg_size 120
		.amdhsa_user_sgpr_count 2
		.amdhsa_user_sgpr_dispatch_ptr 0
		.amdhsa_user_sgpr_queue_ptr 0
		.amdhsa_user_sgpr_kernarg_segment_ptr 1
		.amdhsa_user_sgpr_dispatch_id 0
		.amdhsa_user_sgpr_private_segment_size 0
		.amdhsa_wavefront_size32 1
		.amdhsa_uses_dynamic_stack 0
		.amdhsa_enable_private_segment 0
		.amdhsa_system_sgpr_workgroup_id_x 1
		.amdhsa_system_sgpr_workgroup_id_y 0
		.amdhsa_system_sgpr_workgroup_id_z 0
		.amdhsa_system_sgpr_workgroup_info 0
		.amdhsa_system_vgpr_workitem_id 0
		.amdhsa_next_free_vgpr 1
		.amdhsa_next_free_sgpr 1
		.amdhsa_reserve_vcc 0
		.amdhsa_float_round_mode_32 0
		.amdhsa_float_round_mode_16_64 0
		.amdhsa_float_denorm_mode_32 3
		.amdhsa_float_denorm_mode_16_64 3
		.amdhsa_fp16_overflow 0
		.amdhsa_workgroup_processor_mode 1
		.amdhsa_memory_ordered 1
		.amdhsa_forward_progress 1
		.amdhsa_inst_pref_size 0
		.amdhsa_round_robin_scheduling 0
		.amdhsa_exception_fp_ieee_invalid_op 0
		.amdhsa_exception_fp_denorm_src 0
		.amdhsa_exception_fp_ieee_div_zero 0
		.amdhsa_exception_fp_ieee_overflow 0
		.amdhsa_exception_fp_ieee_underflow 0
		.amdhsa_exception_fp_ieee_inexact 0
		.amdhsa_exception_int_div_zero 0
	.end_amdhsa_kernel
	.section	.text._ZN7rocprim17ROCPRIM_400000_NS6detail17trampoline_kernelINS0_14default_configENS1_25partition_config_selectorILNS1_17partition_subalgoE5EdNS0_10empty_typeEbEEZZNS1_14partition_implILS5_5ELb0ES3_mN6thrust23THRUST_200600_302600_NS6detail15normal_iteratorINSA_10device_ptrIdEEEEPS6_NSA_18transform_iteratorINSB_9not_fun_tINSA_8identityIdEEEESF_NSA_11use_defaultESM_EENS0_5tupleIJSF_S6_EEENSO_IJSG_SG_EEES6_PlJS6_EEE10hipError_tPvRmT3_T4_T5_T6_T7_T9_mT8_P12ihipStream_tbDpT10_ENKUlT_T0_E_clISt17integral_constantIbLb1EES1A_IbLb0EEEEDaS16_S17_EUlS16_E_NS1_11comp_targetILNS1_3genE5ELNS1_11target_archE942ELNS1_3gpuE9ELNS1_3repE0EEENS1_30default_config_static_selectorELNS0_4arch9wavefront6targetE0EEEvT1_,"axG",@progbits,_ZN7rocprim17ROCPRIM_400000_NS6detail17trampoline_kernelINS0_14default_configENS1_25partition_config_selectorILNS1_17partition_subalgoE5EdNS0_10empty_typeEbEEZZNS1_14partition_implILS5_5ELb0ES3_mN6thrust23THRUST_200600_302600_NS6detail15normal_iteratorINSA_10device_ptrIdEEEEPS6_NSA_18transform_iteratorINSB_9not_fun_tINSA_8identityIdEEEESF_NSA_11use_defaultESM_EENS0_5tupleIJSF_S6_EEENSO_IJSG_SG_EEES6_PlJS6_EEE10hipError_tPvRmT3_T4_T5_T6_T7_T9_mT8_P12ihipStream_tbDpT10_ENKUlT_T0_E_clISt17integral_constantIbLb1EES1A_IbLb0EEEEDaS16_S17_EUlS16_E_NS1_11comp_targetILNS1_3genE5ELNS1_11target_archE942ELNS1_3gpuE9ELNS1_3repE0EEENS1_30default_config_static_selectorELNS0_4arch9wavefront6targetE0EEEvT1_,comdat
.Lfunc_end806:
	.size	_ZN7rocprim17ROCPRIM_400000_NS6detail17trampoline_kernelINS0_14default_configENS1_25partition_config_selectorILNS1_17partition_subalgoE5EdNS0_10empty_typeEbEEZZNS1_14partition_implILS5_5ELb0ES3_mN6thrust23THRUST_200600_302600_NS6detail15normal_iteratorINSA_10device_ptrIdEEEEPS6_NSA_18transform_iteratorINSB_9not_fun_tINSA_8identityIdEEEESF_NSA_11use_defaultESM_EENS0_5tupleIJSF_S6_EEENSO_IJSG_SG_EEES6_PlJS6_EEE10hipError_tPvRmT3_T4_T5_T6_T7_T9_mT8_P12ihipStream_tbDpT10_ENKUlT_T0_E_clISt17integral_constantIbLb1EES1A_IbLb0EEEEDaS16_S17_EUlS16_E_NS1_11comp_targetILNS1_3genE5ELNS1_11target_archE942ELNS1_3gpuE9ELNS1_3repE0EEENS1_30default_config_static_selectorELNS0_4arch9wavefront6targetE0EEEvT1_, .Lfunc_end806-_ZN7rocprim17ROCPRIM_400000_NS6detail17trampoline_kernelINS0_14default_configENS1_25partition_config_selectorILNS1_17partition_subalgoE5EdNS0_10empty_typeEbEEZZNS1_14partition_implILS5_5ELb0ES3_mN6thrust23THRUST_200600_302600_NS6detail15normal_iteratorINSA_10device_ptrIdEEEEPS6_NSA_18transform_iteratorINSB_9not_fun_tINSA_8identityIdEEEESF_NSA_11use_defaultESM_EENS0_5tupleIJSF_S6_EEENSO_IJSG_SG_EEES6_PlJS6_EEE10hipError_tPvRmT3_T4_T5_T6_T7_T9_mT8_P12ihipStream_tbDpT10_ENKUlT_T0_E_clISt17integral_constantIbLb1EES1A_IbLb0EEEEDaS16_S17_EUlS16_E_NS1_11comp_targetILNS1_3genE5ELNS1_11target_archE942ELNS1_3gpuE9ELNS1_3repE0EEENS1_30default_config_static_selectorELNS0_4arch9wavefront6targetE0EEEvT1_
                                        ; -- End function
	.set _ZN7rocprim17ROCPRIM_400000_NS6detail17trampoline_kernelINS0_14default_configENS1_25partition_config_selectorILNS1_17partition_subalgoE5EdNS0_10empty_typeEbEEZZNS1_14partition_implILS5_5ELb0ES3_mN6thrust23THRUST_200600_302600_NS6detail15normal_iteratorINSA_10device_ptrIdEEEEPS6_NSA_18transform_iteratorINSB_9not_fun_tINSA_8identityIdEEEESF_NSA_11use_defaultESM_EENS0_5tupleIJSF_S6_EEENSO_IJSG_SG_EEES6_PlJS6_EEE10hipError_tPvRmT3_T4_T5_T6_T7_T9_mT8_P12ihipStream_tbDpT10_ENKUlT_T0_E_clISt17integral_constantIbLb1EES1A_IbLb0EEEEDaS16_S17_EUlS16_E_NS1_11comp_targetILNS1_3genE5ELNS1_11target_archE942ELNS1_3gpuE9ELNS1_3repE0EEENS1_30default_config_static_selectorELNS0_4arch9wavefront6targetE0EEEvT1_.num_vgpr, 0
	.set _ZN7rocprim17ROCPRIM_400000_NS6detail17trampoline_kernelINS0_14default_configENS1_25partition_config_selectorILNS1_17partition_subalgoE5EdNS0_10empty_typeEbEEZZNS1_14partition_implILS5_5ELb0ES3_mN6thrust23THRUST_200600_302600_NS6detail15normal_iteratorINSA_10device_ptrIdEEEEPS6_NSA_18transform_iteratorINSB_9not_fun_tINSA_8identityIdEEEESF_NSA_11use_defaultESM_EENS0_5tupleIJSF_S6_EEENSO_IJSG_SG_EEES6_PlJS6_EEE10hipError_tPvRmT3_T4_T5_T6_T7_T9_mT8_P12ihipStream_tbDpT10_ENKUlT_T0_E_clISt17integral_constantIbLb1EES1A_IbLb0EEEEDaS16_S17_EUlS16_E_NS1_11comp_targetILNS1_3genE5ELNS1_11target_archE942ELNS1_3gpuE9ELNS1_3repE0EEENS1_30default_config_static_selectorELNS0_4arch9wavefront6targetE0EEEvT1_.num_agpr, 0
	.set _ZN7rocprim17ROCPRIM_400000_NS6detail17trampoline_kernelINS0_14default_configENS1_25partition_config_selectorILNS1_17partition_subalgoE5EdNS0_10empty_typeEbEEZZNS1_14partition_implILS5_5ELb0ES3_mN6thrust23THRUST_200600_302600_NS6detail15normal_iteratorINSA_10device_ptrIdEEEEPS6_NSA_18transform_iteratorINSB_9not_fun_tINSA_8identityIdEEEESF_NSA_11use_defaultESM_EENS0_5tupleIJSF_S6_EEENSO_IJSG_SG_EEES6_PlJS6_EEE10hipError_tPvRmT3_T4_T5_T6_T7_T9_mT8_P12ihipStream_tbDpT10_ENKUlT_T0_E_clISt17integral_constantIbLb1EES1A_IbLb0EEEEDaS16_S17_EUlS16_E_NS1_11comp_targetILNS1_3genE5ELNS1_11target_archE942ELNS1_3gpuE9ELNS1_3repE0EEENS1_30default_config_static_selectorELNS0_4arch9wavefront6targetE0EEEvT1_.numbered_sgpr, 0
	.set _ZN7rocprim17ROCPRIM_400000_NS6detail17trampoline_kernelINS0_14default_configENS1_25partition_config_selectorILNS1_17partition_subalgoE5EdNS0_10empty_typeEbEEZZNS1_14partition_implILS5_5ELb0ES3_mN6thrust23THRUST_200600_302600_NS6detail15normal_iteratorINSA_10device_ptrIdEEEEPS6_NSA_18transform_iteratorINSB_9not_fun_tINSA_8identityIdEEEESF_NSA_11use_defaultESM_EENS0_5tupleIJSF_S6_EEENSO_IJSG_SG_EEES6_PlJS6_EEE10hipError_tPvRmT3_T4_T5_T6_T7_T9_mT8_P12ihipStream_tbDpT10_ENKUlT_T0_E_clISt17integral_constantIbLb1EES1A_IbLb0EEEEDaS16_S17_EUlS16_E_NS1_11comp_targetILNS1_3genE5ELNS1_11target_archE942ELNS1_3gpuE9ELNS1_3repE0EEENS1_30default_config_static_selectorELNS0_4arch9wavefront6targetE0EEEvT1_.num_named_barrier, 0
	.set _ZN7rocprim17ROCPRIM_400000_NS6detail17trampoline_kernelINS0_14default_configENS1_25partition_config_selectorILNS1_17partition_subalgoE5EdNS0_10empty_typeEbEEZZNS1_14partition_implILS5_5ELb0ES3_mN6thrust23THRUST_200600_302600_NS6detail15normal_iteratorINSA_10device_ptrIdEEEEPS6_NSA_18transform_iteratorINSB_9not_fun_tINSA_8identityIdEEEESF_NSA_11use_defaultESM_EENS0_5tupleIJSF_S6_EEENSO_IJSG_SG_EEES6_PlJS6_EEE10hipError_tPvRmT3_T4_T5_T6_T7_T9_mT8_P12ihipStream_tbDpT10_ENKUlT_T0_E_clISt17integral_constantIbLb1EES1A_IbLb0EEEEDaS16_S17_EUlS16_E_NS1_11comp_targetILNS1_3genE5ELNS1_11target_archE942ELNS1_3gpuE9ELNS1_3repE0EEENS1_30default_config_static_selectorELNS0_4arch9wavefront6targetE0EEEvT1_.private_seg_size, 0
	.set _ZN7rocprim17ROCPRIM_400000_NS6detail17trampoline_kernelINS0_14default_configENS1_25partition_config_selectorILNS1_17partition_subalgoE5EdNS0_10empty_typeEbEEZZNS1_14partition_implILS5_5ELb0ES3_mN6thrust23THRUST_200600_302600_NS6detail15normal_iteratorINSA_10device_ptrIdEEEEPS6_NSA_18transform_iteratorINSB_9not_fun_tINSA_8identityIdEEEESF_NSA_11use_defaultESM_EENS0_5tupleIJSF_S6_EEENSO_IJSG_SG_EEES6_PlJS6_EEE10hipError_tPvRmT3_T4_T5_T6_T7_T9_mT8_P12ihipStream_tbDpT10_ENKUlT_T0_E_clISt17integral_constantIbLb1EES1A_IbLb0EEEEDaS16_S17_EUlS16_E_NS1_11comp_targetILNS1_3genE5ELNS1_11target_archE942ELNS1_3gpuE9ELNS1_3repE0EEENS1_30default_config_static_selectorELNS0_4arch9wavefront6targetE0EEEvT1_.uses_vcc, 0
	.set _ZN7rocprim17ROCPRIM_400000_NS6detail17trampoline_kernelINS0_14default_configENS1_25partition_config_selectorILNS1_17partition_subalgoE5EdNS0_10empty_typeEbEEZZNS1_14partition_implILS5_5ELb0ES3_mN6thrust23THRUST_200600_302600_NS6detail15normal_iteratorINSA_10device_ptrIdEEEEPS6_NSA_18transform_iteratorINSB_9not_fun_tINSA_8identityIdEEEESF_NSA_11use_defaultESM_EENS0_5tupleIJSF_S6_EEENSO_IJSG_SG_EEES6_PlJS6_EEE10hipError_tPvRmT3_T4_T5_T6_T7_T9_mT8_P12ihipStream_tbDpT10_ENKUlT_T0_E_clISt17integral_constantIbLb1EES1A_IbLb0EEEEDaS16_S17_EUlS16_E_NS1_11comp_targetILNS1_3genE5ELNS1_11target_archE942ELNS1_3gpuE9ELNS1_3repE0EEENS1_30default_config_static_selectorELNS0_4arch9wavefront6targetE0EEEvT1_.uses_flat_scratch, 0
	.set _ZN7rocprim17ROCPRIM_400000_NS6detail17trampoline_kernelINS0_14default_configENS1_25partition_config_selectorILNS1_17partition_subalgoE5EdNS0_10empty_typeEbEEZZNS1_14partition_implILS5_5ELb0ES3_mN6thrust23THRUST_200600_302600_NS6detail15normal_iteratorINSA_10device_ptrIdEEEEPS6_NSA_18transform_iteratorINSB_9not_fun_tINSA_8identityIdEEEESF_NSA_11use_defaultESM_EENS0_5tupleIJSF_S6_EEENSO_IJSG_SG_EEES6_PlJS6_EEE10hipError_tPvRmT3_T4_T5_T6_T7_T9_mT8_P12ihipStream_tbDpT10_ENKUlT_T0_E_clISt17integral_constantIbLb1EES1A_IbLb0EEEEDaS16_S17_EUlS16_E_NS1_11comp_targetILNS1_3genE5ELNS1_11target_archE942ELNS1_3gpuE9ELNS1_3repE0EEENS1_30default_config_static_selectorELNS0_4arch9wavefront6targetE0EEEvT1_.has_dyn_sized_stack, 0
	.set _ZN7rocprim17ROCPRIM_400000_NS6detail17trampoline_kernelINS0_14default_configENS1_25partition_config_selectorILNS1_17partition_subalgoE5EdNS0_10empty_typeEbEEZZNS1_14partition_implILS5_5ELb0ES3_mN6thrust23THRUST_200600_302600_NS6detail15normal_iteratorINSA_10device_ptrIdEEEEPS6_NSA_18transform_iteratorINSB_9not_fun_tINSA_8identityIdEEEESF_NSA_11use_defaultESM_EENS0_5tupleIJSF_S6_EEENSO_IJSG_SG_EEES6_PlJS6_EEE10hipError_tPvRmT3_T4_T5_T6_T7_T9_mT8_P12ihipStream_tbDpT10_ENKUlT_T0_E_clISt17integral_constantIbLb1EES1A_IbLb0EEEEDaS16_S17_EUlS16_E_NS1_11comp_targetILNS1_3genE5ELNS1_11target_archE942ELNS1_3gpuE9ELNS1_3repE0EEENS1_30default_config_static_selectorELNS0_4arch9wavefront6targetE0EEEvT1_.has_recursion, 0
	.set _ZN7rocprim17ROCPRIM_400000_NS6detail17trampoline_kernelINS0_14default_configENS1_25partition_config_selectorILNS1_17partition_subalgoE5EdNS0_10empty_typeEbEEZZNS1_14partition_implILS5_5ELb0ES3_mN6thrust23THRUST_200600_302600_NS6detail15normal_iteratorINSA_10device_ptrIdEEEEPS6_NSA_18transform_iteratorINSB_9not_fun_tINSA_8identityIdEEEESF_NSA_11use_defaultESM_EENS0_5tupleIJSF_S6_EEENSO_IJSG_SG_EEES6_PlJS6_EEE10hipError_tPvRmT3_T4_T5_T6_T7_T9_mT8_P12ihipStream_tbDpT10_ENKUlT_T0_E_clISt17integral_constantIbLb1EES1A_IbLb0EEEEDaS16_S17_EUlS16_E_NS1_11comp_targetILNS1_3genE5ELNS1_11target_archE942ELNS1_3gpuE9ELNS1_3repE0EEENS1_30default_config_static_selectorELNS0_4arch9wavefront6targetE0EEEvT1_.has_indirect_call, 0
	.section	.AMDGPU.csdata,"",@progbits
; Kernel info:
; codeLenInByte = 0
; TotalNumSgprs: 0
; NumVgprs: 0
; ScratchSize: 0
; MemoryBound: 0
; FloatMode: 240
; IeeeMode: 1
; LDSByteSize: 0 bytes/workgroup (compile time only)
; SGPRBlocks: 0
; VGPRBlocks: 0
; NumSGPRsForWavesPerEU: 1
; NumVGPRsForWavesPerEU: 1
; Occupancy: 16
; WaveLimiterHint : 0
; COMPUTE_PGM_RSRC2:SCRATCH_EN: 0
; COMPUTE_PGM_RSRC2:USER_SGPR: 2
; COMPUTE_PGM_RSRC2:TRAP_HANDLER: 0
; COMPUTE_PGM_RSRC2:TGID_X_EN: 1
; COMPUTE_PGM_RSRC2:TGID_Y_EN: 0
; COMPUTE_PGM_RSRC2:TGID_Z_EN: 0
; COMPUTE_PGM_RSRC2:TIDIG_COMP_CNT: 0
	.section	.text._ZN7rocprim17ROCPRIM_400000_NS6detail17trampoline_kernelINS0_14default_configENS1_25partition_config_selectorILNS1_17partition_subalgoE5EdNS0_10empty_typeEbEEZZNS1_14partition_implILS5_5ELb0ES3_mN6thrust23THRUST_200600_302600_NS6detail15normal_iteratorINSA_10device_ptrIdEEEEPS6_NSA_18transform_iteratorINSB_9not_fun_tINSA_8identityIdEEEESF_NSA_11use_defaultESM_EENS0_5tupleIJSF_S6_EEENSO_IJSG_SG_EEES6_PlJS6_EEE10hipError_tPvRmT3_T4_T5_T6_T7_T9_mT8_P12ihipStream_tbDpT10_ENKUlT_T0_E_clISt17integral_constantIbLb1EES1A_IbLb0EEEEDaS16_S17_EUlS16_E_NS1_11comp_targetILNS1_3genE4ELNS1_11target_archE910ELNS1_3gpuE8ELNS1_3repE0EEENS1_30default_config_static_selectorELNS0_4arch9wavefront6targetE0EEEvT1_,"axG",@progbits,_ZN7rocprim17ROCPRIM_400000_NS6detail17trampoline_kernelINS0_14default_configENS1_25partition_config_selectorILNS1_17partition_subalgoE5EdNS0_10empty_typeEbEEZZNS1_14partition_implILS5_5ELb0ES3_mN6thrust23THRUST_200600_302600_NS6detail15normal_iteratorINSA_10device_ptrIdEEEEPS6_NSA_18transform_iteratorINSB_9not_fun_tINSA_8identityIdEEEESF_NSA_11use_defaultESM_EENS0_5tupleIJSF_S6_EEENSO_IJSG_SG_EEES6_PlJS6_EEE10hipError_tPvRmT3_T4_T5_T6_T7_T9_mT8_P12ihipStream_tbDpT10_ENKUlT_T0_E_clISt17integral_constantIbLb1EES1A_IbLb0EEEEDaS16_S17_EUlS16_E_NS1_11comp_targetILNS1_3genE4ELNS1_11target_archE910ELNS1_3gpuE8ELNS1_3repE0EEENS1_30default_config_static_selectorELNS0_4arch9wavefront6targetE0EEEvT1_,comdat
	.protected	_ZN7rocprim17ROCPRIM_400000_NS6detail17trampoline_kernelINS0_14default_configENS1_25partition_config_selectorILNS1_17partition_subalgoE5EdNS0_10empty_typeEbEEZZNS1_14partition_implILS5_5ELb0ES3_mN6thrust23THRUST_200600_302600_NS6detail15normal_iteratorINSA_10device_ptrIdEEEEPS6_NSA_18transform_iteratorINSB_9not_fun_tINSA_8identityIdEEEESF_NSA_11use_defaultESM_EENS0_5tupleIJSF_S6_EEENSO_IJSG_SG_EEES6_PlJS6_EEE10hipError_tPvRmT3_T4_T5_T6_T7_T9_mT8_P12ihipStream_tbDpT10_ENKUlT_T0_E_clISt17integral_constantIbLb1EES1A_IbLb0EEEEDaS16_S17_EUlS16_E_NS1_11comp_targetILNS1_3genE4ELNS1_11target_archE910ELNS1_3gpuE8ELNS1_3repE0EEENS1_30default_config_static_selectorELNS0_4arch9wavefront6targetE0EEEvT1_ ; -- Begin function _ZN7rocprim17ROCPRIM_400000_NS6detail17trampoline_kernelINS0_14default_configENS1_25partition_config_selectorILNS1_17partition_subalgoE5EdNS0_10empty_typeEbEEZZNS1_14partition_implILS5_5ELb0ES3_mN6thrust23THRUST_200600_302600_NS6detail15normal_iteratorINSA_10device_ptrIdEEEEPS6_NSA_18transform_iteratorINSB_9not_fun_tINSA_8identityIdEEEESF_NSA_11use_defaultESM_EENS0_5tupleIJSF_S6_EEENSO_IJSG_SG_EEES6_PlJS6_EEE10hipError_tPvRmT3_T4_T5_T6_T7_T9_mT8_P12ihipStream_tbDpT10_ENKUlT_T0_E_clISt17integral_constantIbLb1EES1A_IbLb0EEEEDaS16_S17_EUlS16_E_NS1_11comp_targetILNS1_3genE4ELNS1_11target_archE910ELNS1_3gpuE8ELNS1_3repE0EEENS1_30default_config_static_selectorELNS0_4arch9wavefront6targetE0EEEvT1_
	.globl	_ZN7rocprim17ROCPRIM_400000_NS6detail17trampoline_kernelINS0_14default_configENS1_25partition_config_selectorILNS1_17partition_subalgoE5EdNS0_10empty_typeEbEEZZNS1_14partition_implILS5_5ELb0ES3_mN6thrust23THRUST_200600_302600_NS6detail15normal_iteratorINSA_10device_ptrIdEEEEPS6_NSA_18transform_iteratorINSB_9not_fun_tINSA_8identityIdEEEESF_NSA_11use_defaultESM_EENS0_5tupleIJSF_S6_EEENSO_IJSG_SG_EEES6_PlJS6_EEE10hipError_tPvRmT3_T4_T5_T6_T7_T9_mT8_P12ihipStream_tbDpT10_ENKUlT_T0_E_clISt17integral_constantIbLb1EES1A_IbLb0EEEEDaS16_S17_EUlS16_E_NS1_11comp_targetILNS1_3genE4ELNS1_11target_archE910ELNS1_3gpuE8ELNS1_3repE0EEENS1_30default_config_static_selectorELNS0_4arch9wavefront6targetE0EEEvT1_
	.p2align	8
	.type	_ZN7rocprim17ROCPRIM_400000_NS6detail17trampoline_kernelINS0_14default_configENS1_25partition_config_selectorILNS1_17partition_subalgoE5EdNS0_10empty_typeEbEEZZNS1_14partition_implILS5_5ELb0ES3_mN6thrust23THRUST_200600_302600_NS6detail15normal_iteratorINSA_10device_ptrIdEEEEPS6_NSA_18transform_iteratorINSB_9not_fun_tINSA_8identityIdEEEESF_NSA_11use_defaultESM_EENS0_5tupleIJSF_S6_EEENSO_IJSG_SG_EEES6_PlJS6_EEE10hipError_tPvRmT3_T4_T5_T6_T7_T9_mT8_P12ihipStream_tbDpT10_ENKUlT_T0_E_clISt17integral_constantIbLb1EES1A_IbLb0EEEEDaS16_S17_EUlS16_E_NS1_11comp_targetILNS1_3genE4ELNS1_11target_archE910ELNS1_3gpuE8ELNS1_3repE0EEENS1_30default_config_static_selectorELNS0_4arch9wavefront6targetE0EEEvT1_,@function
_ZN7rocprim17ROCPRIM_400000_NS6detail17trampoline_kernelINS0_14default_configENS1_25partition_config_selectorILNS1_17partition_subalgoE5EdNS0_10empty_typeEbEEZZNS1_14partition_implILS5_5ELb0ES3_mN6thrust23THRUST_200600_302600_NS6detail15normal_iteratorINSA_10device_ptrIdEEEEPS6_NSA_18transform_iteratorINSB_9not_fun_tINSA_8identityIdEEEESF_NSA_11use_defaultESM_EENS0_5tupleIJSF_S6_EEENSO_IJSG_SG_EEES6_PlJS6_EEE10hipError_tPvRmT3_T4_T5_T6_T7_T9_mT8_P12ihipStream_tbDpT10_ENKUlT_T0_E_clISt17integral_constantIbLb1EES1A_IbLb0EEEEDaS16_S17_EUlS16_E_NS1_11comp_targetILNS1_3genE4ELNS1_11target_archE910ELNS1_3gpuE8ELNS1_3repE0EEENS1_30default_config_static_selectorELNS0_4arch9wavefront6targetE0EEEvT1_: ; @_ZN7rocprim17ROCPRIM_400000_NS6detail17trampoline_kernelINS0_14default_configENS1_25partition_config_selectorILNS1_17partition_subalgoE5EdNS0_10empty_typeEbEEZZNS1_14partition_implILS5_5ELb0ES3_mN6thrust23THRUST_200600_302600_NS6detail15normal_iteratorINSA_10device_ptrIdEEEEPS6_NSA_18transform_iteratorINSB_9not_fun_tINSA_8identityIdEEEESF_NSA_11use_defaultESM_EENS0_5tupleIJSF_S6_EEENSO_IJSG_SG_EEES6_PlJS6_EEE10hipError_tPvRmT3_T4_T5_T6_T7_T9_mT8_P12ihipStream_tbDpT10_ENKUlT_T0_E_clISt17integral_constantIbLb1EES1A_IbLb0EEEEDaS16_S17_EUlS16_E_NS1_11comp_targetILNS1_3genE4ELNS1_11target_archE910ELNS1_3gpuE8ELNS1_3repE0EEENS1_30default_config_static_selectorELNS0_4arch9wavefront6targetE0EEEvT1_
; %bb.0:
	.section	.rodata,"a",@progbits
	.p2align	6, 0x0
	.amdhsa_kernel _ZN7rocprim17ROCPRIM_400000_NS6detail17trampoline_kernelINS0_14default_configENS1_25partition_config_selectorILNS1_17partition_subalgoE5EdNS0_10empty_typeEbEEZZNS1_14partition_implILS5_5ELb0ES3_mN6thrust23THRUST_200600_302600_NS6detail15normal_iteratorINSA_10device_ptrIdEEEEPS6_NSA_18transform_iteratorINSB_9not_fun_tINSA_8identityIdEEEESF_NSA_11use_defaultESM_EENS0_5tupleIJSF_S6_EEENSO_IJSG_SG_EEES6_PlJS6_EEE10hipError_tPvRmT3_T4_T5_T6_T7_T9_mT8_P12ihipStream_tbDpT10_ENKUlT_T0_E_clISt17integral_constantIbLb1EES1A_IbLb0EEEEDaS16_S17_EUlS16_E_NS1_11comp_targetILNS1_3genE4ELNS1_11target_archE910ELNS1_3gpuE8ELNS1_3repE0EEENS1_30default_config_static_selectorELNS0_4arch9wavefront6targetE0EEEvT1_
		.amdhsa_group_segment_fixed_size 0
		.amdhsa_private_segment_fixed_size 0
		.amdhsa_kernarg_size 120
		.amdhsa_user_sgpr_count 2
		.amdhsa_user_sgpr_dispatch_ptr 0
		.amdhsa_user_sgpr_queue_ptr 0
		.amdhsa_user_sgpr_kernarg_segment_ptr 1
		.amdhsa_user_sgpr_dispatch_id 0
		.amdhsa_user_sgpr_private_segment_size 0
		.amdhsa_wavefront_size32 1
		.amdhsa_uses_dynamic_stack 0
		.amdhsa_enable_private_segment 0
		.amdhsa_system_sgpr_workgroup_id_x 1
		.amdhsa_system_sgpr_workgroup_id_y 0
		.amdhsa_system_sgpr_workgroup_id_z 0
		.amdhsa_system_sgpr_workgroup_info 0
		.amdhsa_system_vgpr_workitem_id 0
		.amdhsa_next_free_vgpr 1
		.amdhsa_next_free_sgpr 1
		.amdhsa_reserve_vcc 0
		.amdhsa_float_round_mode_32 0
		.amdhsa_float_round_mode_16_64 0
		.amdhsa_float_denorm_mode_32 3
		.amdhsa_float_denorm_mode_16_64 3
		.amdhsa_fp16_overflow 0
		.amdhsa_workgroup_processor_mode 1
		.amdhsa_memory_ordered 1
		.amdhsa_forward_progress 1
		.amdhsa_inst_pref_size 0
		.amdhsa_round_robin_scheduling 0
		.amdhsa_exception_fp_ieee_invalid_op 0
		.amdhsa_exception_fp_denorm_src 0
		.amdhsa_exception_fp_ieee_div_zero 0
		.amdhsa_exception_fp_ieee_overflow 0
		.amdhsa_exception_fp_ieee_underflow 0
		.amdhsa_exception_fp_ieee_inexact 0
		.amdhsa_exception_int_div_zero 0
	.end_amdhsa_kernel
	.section	.text._ZN7rocprim17ROCPRIM_400000_NS6detail17trampoline_kernelINS0_14default_configENS1_25partition_config_selectorILNS1_17partition_subalgoE5EdNS0_10empty_typeEbEEZZNS1_14partition_implILS5_5ELb0ES3_mN6thrust23THRUST_200600_302600_NS6detail15normal_iteratorINSA_10device_ptrIdEEEEPS6_NSA_18transform_iteratorINSB_9not_fun_tINSA_8identityIdEEEESF_NSA_11use_defaultESM_EENS0_5tupleIJSF_S6_EEENSO_IJSG_SG_EEES6_PlJS6_EEE10hipError_tPvRmT3_T4_T5_T6_T7_T9_mT8_P12ihipStream_tbDpT10_ENKUlT_T0_E_clISt17integral_constantIbLb1EES1A_IbLb0EEEEDaS16_S17_EUlS16_E_NS1_11comp_targetILNS1_3genE4ELNS1_11target_archE910ELNS1_3gpuE8ELNS1_3repE0EEENS1_30default_config_static_selectorELNS0_4arch9wavefront6targetE0EEEvT1_,"axG",@progbits,_ZN7rocprim17ROCPRIM_400000_NS6detail17trampoline_kernelINS0_14default_configENS1_25partition_config_selectorILNS1_17partition_subalgoE5EdNS0_10empty_typeEbEEZZNS1_14partition_implILS5_5ELb0ES3_mN6thrust23THRUST_200600_302600_NS6detail15normal_iteratorINSA_10device_ptrIdEEEEPS6_NSA_18transform_iteratorINSB_9not_fun_tINSA_8identityIdEEEESF_NSA_11use_defaultESM_EENS0_5tupleIJSF_S6_EEENSO_IJSG_SG_EEES6_PlJS6_EEE10hipError_tPvRmT3_T4_T5_T6_T7_T9_mT8_P12ihipStream_tbDpT10_ENKUlT_T0_E_clISt17integral_constantIbLb1EES1A_IbLb0EEEEDaS16_S17_EUlS16_E_NS1_11comp_targetILNS1_3genE4ELNS1_11target_archE910ELNS1_3gpuE8ELNS1_3repE0EEENS1_30default_config_static_selectorELNS0_4arch9wavefront6targetE0EEEvT1_,comdat
.Lfunc_end807:
	.size	_ZN7rocprim17ROCPRIM_400000_NS6detail17trampoline_kernelINS0_14default_configENS1_25partition_config_selectorILNS1_17partition_subalgoE5EdNS0_10empty_typeEbEEZZNS1_14partition_implILS5_5ELb0ES3_mN6thrust23THRUST_200600_302600_NS6detail15normal_iteratorINSA_10device_ptrIdEEEEPS6_NSA_18transform_iteratorINSB_9not_fun_tINSA_8identityIdEEEESF_NSA_11use_defaultESM_EENS0_5tupleIJSF_S6_EEENSO_IJSG_SG_EEES6_PlJS6_EEE10hipError_tPvRmT3_T4_T5_T6_T7_T9_mT8_P12ihipStream_tbDpT10_ENKUlT_T0_E_clISt17integral_constantIbLb1EES1A_IbLb0EEEEDaS16_S17_EUlS16_E_NS1_11comp_targetILNS1_3genE4ELNS1_11target_archE910ELNS1_3gpuE8ELNS1_3repE0EEENS1_30default_config_static_selectorELNS0_4arch9wavefront6targetE0EEEvT1_, .Lfunc_end807-_ZN7rocprim17ROCPRIM_400000_NS6detail17trampoline_kernelINS0_14default_configENS1_25partition_config_selectorILNS1_17partition_subalgoE5EdNS0_10empty_typeEbEEZZNS1_14partition_implILS5_5ELb0ES3_mN6thrust23THRUST_200600_302600_NS6detail15normal_iteratorINSA_10device_ptrIdEEEEPS6_NSA_18transform_iteratorINSB_9not_fun_tINSA_8identityIdEEEESF_NSA_11use_defaultESM_EENS0_5tupleIJSF_S6_EEENSO_IJSG_SG_EEES6_PlJS6_EEE10hipError_tPvRmT3_T4_T5_T6_T7_T9_mT8_P12ihipStream_tbDpT10_ENKUlT_T0_E_clISt17integral_constantIbLb1EES1A_IbLb0EEEEDaS16_S17_EUlS16_E_NS1_11comp_targetILNS1_3genE4ELNS1_11target_archE910ELNS1_3gpuE8ELNS1_3repE0EEENS1_30default_config_static_selectorELNS0_4arch9wavefront6targetE0EEEvT1_
                                        ; -- End function
	.set _ZN7rocprim17ROCPRIM_400000_NS6detail17trampoline_kernelINS0_14default_configENS1_25partition_config_selectorILNS1_17partition_subalgoE5EdNS0_10empty_typeEbEEZZNS1_14partition_implILS5_5ELb0ES3_mN6thrust23THRUST_200600_302600_NS6detail15normal_iteratorINSA_10device_ptrIdEEEEPS6_NSA_18transform_iteratorINSB_9not_fun_tINSA_8identityIdEEEESF_NSA_11use_defaultESM_EENS0_5tupleIJSF_S6_EEENSO_IJSG_SG_EEES6_PlJS6_EEE10hipError_tPvRmT3_T4_T5_T6_T7_T9_mT8_P12ihipStream_tbDpT10_ENKUlT_T0_E_clISt17integral_constantIbLb1EES1A_IbLb0EEEEDaS16_S17_EUlS16_E_NS1_11comp_targetILNS1_3genE4ELNS1_11target_archE910ELNS1_3gpuE8ELNS1_3repE0EEENS1_30default_config_static_selectorELNS0_4arch9wavefront6targetE0EEEvT1_.num_vgpr, 0
	.set _ZN7rocprim17ROCPRIM_400000_NS6detail17trampoline_kernelINS0_14default_configENS1_25partition_config_selectorILNS1_17partition_subalgoE5EdNS0_10empty_typeEbEEZZNS1_14partition_implILS5_5ELb0ES3_mN6thrust23THRUST_200600_302600_NS6detail15normal_iteratorINSA_10device_ptrIdEEEEPS6_NSA_18transform_iteratorINSB_9not_fun_tINSA_8identityIdEEEESF_NSA_11use_defaultESM_EENS0_5tupleIJSF_S6_EEENSO_IJSG_SG_EEES6_PlJS6_EEE10hipError_tPvRmT3_T4_T5_T6_T7_T9_mT8_P12ihipStream_tbDpT10_ENKUlT_T0_E_clISt17integral_constantIbLb1EES1A_IbLb0EEEEDaS16_S17_EUlS16_E_NS1_11comp_targetILNS1_3genE4ELNS1_11target_archE910ELNS1_3gpuE8ELNS1_3repE0EEENS1_30default_config_static_selectorELNS0_4arch9wavefront6targetE0EEEvT1_.num_agpr, 0
	.set _ZN7rocprim17ROCPRIM_400000_NS6detail17trampoline_kernelINS0_14default_configENS1_25partition_config_selectorILNS1_17partition_subalgoE5EdNS0_10empty_typeEbEEZZNS1_14partition_implILS5_5ELb0ES3_mN6thrust23THRUST_200600_302600_NS6detail15normal_iteratorINSA_10device_ptrIdEEEEPS6_NSA_18transform_iteratorINSB_9not_fun_tINSA_8identityIdEEEESF_NSA_11use_defaultESM_EENS0_5tupleIJSF_S6_EEENSO_IJSG_SG_EEES6_PlJS6_EEE10hipError_tPvRmT3_T4_T5_T6_T7_T9_mT8_P12ihipStream_tbDpT10_ENKUlT_T0_E_clISt17integral_constantIbLb1EES1A_IbLb0EEEEDaS16_S17_EUlS16_E_NS1_11comp_targetILNS1_3genE4ELNS1_11target_archE910ELNS1_3gpuE8ELNS1_3repE0EEENS1_30default_config_static_selectorELNS0_4arch9wavefront6targetE0EEEvT1_.numbered_sgpr, 0
	.set _ZN7rocprim17ROCPRIM_400000_NS6detail17trampoline_kernelINS0_14default_configENS1_25partition_config_selectorILNS1_17partition_subalgoE5EdNS0_10empty_typeEbEEZZNS1_14partition_implILS5_5ELb0ES3_mN6thrust23THRUST_200600_302600_NS6detail15normal_iteratorINSA_10device_ptrIdEEEEPS6_NSA_18transform_iteratorINSB_9not_fun_tINSA_8identityIdEEEESF_NSA_11use_defaultESM_EENS0_5tupleIJSF_S6_EEENSO_IJSG_SG_EEES6_PlJS6_EEE10hipError_tPvRmT3_T4_T5_T6_T7_T9_mT8_P12ihipStream_tbDpT10_ENKUlT_T0_E_clISt17integral_constantIbLb1EES1A_IbLb0EEEEDaS16_S17_EUlS16_E_NS1_11comp_targetILNS1_3genE4ELNS1_11target_archE910ELNS1_3gpuE8ELNS1_3repE0EEENS1_30default_config_static_selectorELNS0_4arch9wavefront6targetE0EEEvT1_.num_named_barrier, 0
	.set _ZN7rocprim17ROCPRIM_400000_NS6detail17trampoline_kernelINS0_14default_configENS1_25partition_config_selectorILNS1_17partition_subalgoE5EdNS0_10empty_typeEbEEZZNS1_14partition_implILS5_5ELb0ES3_mN6thrust23THRUST_200600_302600_NS6detail15normal_iteratorINSA_10device_ptrIdEEEEPS6_NSA_18transform_iteratorINSB_9not_fun_tINSA_8identityIdEEEESF_NSA_11use_defaultESM_EENS0_5tupleIJSF_S6_EEENSO_IJSG_SG_EEES6_PlJS6_EEE10hipError_tPvRmT3_T4_T5_T6_T7_T9_mT8_P12ihipStream_tbDpT10_ENKUlT_T0_E_clISt17integral_constantIbLb1EES1A_IbLb0EEEEDaS16_S17_EUlS16_E_NS1_11comp_targetILNS1_3genE4ELNS1_11target_archE910ELNS1_3gpuE8ELNS1_3repE0EEENS1_30default_config_static_selectorELNS0_4arch9wavefront6targetE0EEEvT1_.private_seg_size, 0
	.set _ZN7rocprim17ROCPRIM_400000_NS6detail17trampoline_kernelINS0_14default_configENS1_25partition_config_selectorILNS1_17partition_subalgoE5EdNS0_10empty_typeEbEEZZNS1_14partition_implILS5_5ELb0ES3_mN6thrust23THRUST_200600_302600_NS6detail15normal_iteratorINSA_10device_ptrIdEEEEPS6_NSA_18transform_iteratorINSB_9not_fun_tINSA_8identityIdEEEESF_NSA_11use_defaultESM_EENS0_5tupleIJSF_S6_EEENSO_IJSG_SG_EEES6_PlJS6_EEE10hipError_tPvRmT3_T4_T5_T6_T7_T9_mT8_P12ihipStream_tbDpT10_ENKUlT_T0_E_clISt17integral_constantIbLb1EES1A_IbLb0EEEEDaS16_S17_EUlS16_E_NS1_11comp_targetILNS1_3genE4ELNS1_11target_archE910ELNS1_3gpuE8ELNS1_3repE0EEENS1_30default_config_static_selectorELNS0_4arch9wavefront6targetE0EEEvT1_.uses_vcc, 0
	.set _ZN7rocprim17ROCPRIM_400000_NS6detail17trampoline_kernelINS0_14default_configENS1_25partition_config_selectorILNS1_17partition_subalgoE5EdNS0_10empty_typeEbEEZZNS1_14partition_implILS5_5ELb0ES3_mN6thrust23THRUST_200600_302600_NS6detail15normal_iteratorINSA_10device_ptrIdEEEEPS6_NSA_18transform_iteratorINSB_9not_fun_tINSA_8identityIdEEEESF_NSA_11use_defaultESM_EENS0_5tupleIJSF_S6_EEENSO_IJSG_SG_EEES6_PlJS6_EEE10hipError_tPvRmT3_T4_T5_T6_T7_T9_mT8_P12ihipStream_tbDpT10_ENKUlT_T0_E_clISt17integral_constantIbLb1EES1A_IbLb0EEEEDaS16_S17_EUlS16_E_NS1_11comp_targetILNS1_3genE4ELNS1_11target_archE910ELNS1_3gpuE8ELNS1_3repE0EEENS1_30default_config_static_selectorELNS0_4arch9wavefront6targetE0EEEvT1_.uses_flat_scratch, 0
	.set _ZN7rocprim17ROCPRIM_400000_NS6detail17trampoline_kernelINS0_14default_configENS1_25partition_config_selectorILNS1_17partition_subalgoE5EdNS0_10empty_typeEbEEZZNS1_14partition_implILS5_5ELb0ES3_mN6thrust23THRUST_200600_302600_NS6detail15normal_iteratorINSA_10device_ptrIdEEEEPS6_NSA_18transform_iteratorINSB_9not_fun_tINSA_8identityIdEEEESF_NSA_11use_defaultESM_EENS0_5tupleIJSF_S6_EEENSO_IJSG_SG_EEES6_PlJS6_EEE10hipError_tPvRmT3_T4_T5_T6_T7_T9_mT8_P12ihipStream_tbDpT10_ENKUlT_T0_E_clISt17integral_constantIbLb1EES1A_IbLb0EEEEDaS16_S17_EUlS16_E_NS1_11comp_targetILNS1_3genE4ELNS1_11target_archE910ELNS1_3gpuE8ELNS1_3repE0EEENS1_30default_config_static_selectorELNS0_4arch9wavefront6targetE0EEEvT1_.has_dyn_sized_stack, 0
	.set _ZN7rocprim17ROCPRIM_400000_NS6detail17trampoline_kernelINS0_14default_configENS1_25partition_config_selectorILNS1_17partition_subalgoE5EdNS0_10empty_typeEbEEZZNS1_14partition_implILS5_5ELb0ES3_mN6thrust23THRUST_200600_302600_NS6detail15normal_iteratorINSA_10device_ptrIdEEEEPS6_NSA_18transform_iteratorINSB_9not_fun_tINSA_8identityIdEEEESF_NSA_11use_defaultESM_EENS0_5tupleIJSF_S6_EEENSO_IJSG_SG_EEES6_PlJS6_EEE10hipError_tPvRmT3_T4_T5_T6_T7_T9_mT8_P12ihipStream_tbDpT10_ENKUlT_T0_E_clISt17integral_constantIbLb1EES1A_IbLb0EEEEDaS16_S17_EUlS16_E_NS1_11comp_targetILNS1_3genE4ELNS1_11target_archE910ELNS1_3gpuE8ELNS1_3repE0EEENS1_30default_config_static_selectorELNS0_4arch9wavefront6targetE0EEEvT1_.has_recursion, 0
	.set _ZN7rocprim17ROCPRIM_400000_NS6detail17trampoline_kernelINS0_14default_configENS1_25partition_config_selectorILNS1_17partition_subalgoE5EdNS0_10empty_typeEbEEZZNS1_14partition_implILS5_5ELb0ES3_mN6thrust23THRUST_200600_302600_NS6detail15normal_iteratorINSA_10device_ptrIdEEEEPS6_NSA_18transform_iteratorINSB_9not_fun_tINSA_8identityIdEEEESF_NSA_11use_defaultESM_EENS0_5tupleIJSF_S6_EEENSO_IJSG_SG_EEES6_PlJS6_EEE10hipError_tPvRmT3_T4_T5_T6_T7_T9_mT8_P12ihipStream_tbDpT10_ENKUlT_T0_E_clISt17integral_constantIbLb1EES1A_IbLb0EEEEDaS16_S17_EUlS16_E_NS1_11comp_targetILNS1_3genE4ELNS1_11target_archE910ELNS1_3gpuE8ELNS1_3repE0EEENS1_30default_config_static_selectorELNS0_4arch9wavefront6targetE0EEEvT1_.has_indirect_call, 0
	.section	.AMDGPU.csdata,"",@progbits
; Kernel info:
; codeLenInByte = 0
; TotalNumSgprs: 0
; NumVgprs: 0
; ScratchSize: 0
; MemoryBound: 0
; FloatMode: 240
; IeeeMode: 1
; LDSByteSize: 0 bytes/workgroup (compile time only)
; SGPRBlocks: 0
; VGPRBlocks: 0
; NumSGPRsForWavesPerEU: 1
; NumVGPRsForWavesPerEU: 1
; Occupancy: 16
; WaveLimiterHint : 0
; COMPUTE_PGM_RSRC2:SCRATCH_EN: 0
; COMPUTE_PGM_RSRC2:USER_SGPR: 2
; COMPUTE_PGM_RSRC2:TRAP_HANDLER: 0
; COMPUTE_PGM_RSRC2:TGID_X_EN: 1
; COMPUTE_PGM_RSRC2:TGID_Y_EN: 0
; COMPUTE_PGM_RSRC2:TGID_Z_EN: 0
; COMPUTE_PGM_RSRC2:TIDIG_COMP_CNT: 0
	.section	.text._ZN7rocprim17ROCPRIM_400000_NS6detail17trampoline_kernelINS0_14default_configENS1_25partition_config_selectorILNS1_17partition_subalgoE5EdNS0_10empty_typeEbEEZZNS1_14partition_implILS5_5ELb0ES3_mN6thrust23THRUST_200600_302600_NS6detail15normal_iteratorINSA_10device_ptrIdEEEEPS6_NSA_18transform_iteratorINSB_9not_fun_tINSA_8identityIdEEEESF_NSA_11use_defaultESM_EENS0_5tupleIJSF_S6_EEENSO_IJSG_SG_EEES6_PlJS6_EEE10hipError_tPvRmT3_T4_T5_T6_T7_T9_mT8_P12ihipStream_tbDpT10_ENKUlT_T0_E_clISt17integral_constantIbLb1EES1A_IbLb0EEEEDaS16_S17_EUlS16_E_NS1_11comp_targetILNS1_3genE3ELNS1_11target_archE908ELNS1_3gpuE7ELNS1_3repE0EEENS1_30default_config_static_selectorELNS0_4arch9wavefront6targetE0EEEvT1_,"axG",@progbits,_ZN7rocprim17ROCPRIM_400000_NS6detail17trampoline_kernelINS0_14default_configENS1_25partition_config_selectorILNS1_17partition_subalgoE5EdNS0_10empty_typeEbEEZZNS1_14partition_implILS5_5ELb0ES3_mN6thrust23THRUST_200600_302600_NS6detail15normal_iteratorINSA_10device_ptrIdEEEEPS6_NSA_18transform_iteratorINSB_9not_fun_tINSA_8identityIdEEEESF_NSA_11use_defaultESM_EENS0_5tupleIJSF_S6_EEENSO_IJSG_SG_EEES6_PlJS6_EEE10hipError_tPvRmT3_T4_T5_T6_T7_T9_mT8_P12ihipStream_tbDpT10_ENKUlT_T0_E_clISt17integral_constantIbLb1EES1A_IbLb0EEEEDaS16_S17_EUlS16_E_NS1_11comp_targetILNS1_3genE3ELNS1_11target_archE908ELNS1_3gpuE7ELNS1_3repE0EEENS1_30default_config_static_selectorELNS0_4arch9wavefront6targetE0EEEvT1_,comdat
	.protected	_ZN7rocprim17ROCPRIM_400000_NS6detail17trampoline_kernelINS0_14default_configENS1_25partition_config_selectorILNS1_17partition_subalgoE5EdNS0_10empty_typeEbEEZZNS1_14partition_implILS5_5ELb0ES3_mN6thrust23THRUST_200600_302600_NS6detail15normal_iteratorINSA_10device_ptrIdEEEEPS6_NSA_18transform_iteratorINSB_9not_fun_tINSA_8identityIdEEEESF_NSA_11use_defaultESM_EENS0_5tupleIJSF_S6_EEENSO_IJSG_SG_EEES6_PlJS6_EEE10hipError_tPvRmT3_T4_T5_T6_T7_T9_mT8_P12ihipStream_tbDpT10_ENKUlT_T0_E_clISt17integral_constantIbLb1EES1A_IbLb0EEEEDaS16_S17_EUlS16_E_NS1_11comp_targetILNS1_3genE3ELNS1_11target_archE908ELNS1_3gpuE7ELNS1_3repE0EEENS1_30default_config_static_selectorELNS0_4arch9wavefront6targetE0EEEvT1_ ; -- Begin function _ZN7rocprim17ROCPRIM_400000_NS6detail17trampoline_kernelINS0_14default_configENS1_25partition_config_selectorILNS1_17partition_subalgoE5EdNS0_10empty_typeEbEEZZNS1_14partition_implILS5_5ELb0ES3_mN6thrust23THRUST_200600_302600_NS6detail15normal_iteratorINSA_10device_ptrIdEEEEPS6_NSA_18transform_iteratorINSB_9not_fun_tINSA_8identityIdEEEESF_NSA_11use_defaultESM_EENS0_5tupleIJSF_S6_EEENSO_IJSG_SG_EEES6_PlJS6_EEE10hipError_tPvRmT3_T4_T5_T6_T7_T9_mT8_P12ihipStream_tbDpT10_ENKUlT_T0_E_clISt17integral_constantIbLb1EES1A_IbLb0EEEEDaS16_S17_EUlS16_E_NS1_11comp_targetILNS1_3genE3ELNS1_11target_archE908ELNS1_3gpuE7ELNS1_3repE0EEENS1_30default_config_static_selectorELNS0_4arch9wavefront6targetE0EEEvT1_
	.globl	_ZN7rocprim17ROCPRIM_400000_NS6detail17trampoline_kernelINS0_14default_configENS1_25partition_config_selectorILNS1_17partition_subalgoE5EdNS0_10empty_typeEbEEZZNS1_14partition_implILS5_5ELb0ES3_mN6thrust23THRUST_200600_302600_NS6detail15normal_iteratorINSA_10device_ptrIdEEEEPS6_NSA_18transform_iteratorINSB_9not_fun_tINSA_8identityIdEEEESF_NSA_11use_defaultESM_EENS0_5tupleIJSF_S6_EEENSO_IJSG_SG_EEES6_PlJS6_EEE10hipError_tPvRmT3_T4_T5_T6_T7_T9_mT8_P12ihipStream_tbDpT10_ENKUlT_T0_E_clISt17integral_constantIbLb1EES1A_IbLb0EEEEDaS16_S17_EUlS16_E_NS1_11comp_targetILNS1_3genE3ELNS1_11target_archE908ELNS1_3gpuE7ELNS1_3repE0EEENS1_30default_config_static_selectorELNS0_4arch9wavefront6targetE0EEEvT1_
	.p2align	8
	.type	_ZN7rocprim17ROCPRIM_400000_NS6detail17trampoline_kernelINS0_14default_configENS1_25partition_config_selectorILNS1_17partition_subalgoE5EdNS0_10empty_typeEbEEZZNS1_14partition_implILS5_5ELb0ES3_mN6thrust23THRUST_200600_302600_NS6detail15normal_iteratorINSA_10device_ptrIdEEEEPS6_NSA_18transform_iteratorINSB_9not_fun_tINSA_8identityIdEEEESF_NSA_11use_defaultESM_EENS0_5tupleIJSF_S6_EEENSO_IJSG_SG_EEES6_PlJS6_EEE10hipError_tPvRmT3_T4_T5_T6_T7_T9_mT8_P12ihipStream_tbDpT10_ENKUlT_T0_E_clISt17integral_constantIbLb1EES1A_IbLb0EEEEDaS16_S17_EUlS16_E_NS1_11comp_targetILNS1_3genE3ELNS1_11target_archE908ELNS1_3gpuE7ELNS1_3repE0EEENS1_30default_config_static_selectorELNS0_4arch9wavefront6targetE0EEEvT1_,@function
_ZN7rocprim17ROCPRIM_400000_NS6detail17trampoline_kernelINS0_14default_configENS1_25partition_config_selectorILNS1_17partition_subalgoE5EdNS0_10empty_typeEbEEZZNS1_14partition_implILS5_5ELb0ES3_mN6thrust23THRUST_200600_302600_NS6detail15normal_iteratorINSA_10device_ptrIdEEEEPS6_NSA_18transform_iteratorINSB_9not_fun_tINSA_8identityIdEEEESF_NSA_11use_defaultESM_EENS0_5tupleIJSF_S6_EEENSO_IJSG_SG_EEES6_PlJS6_EEE10hipError_tPvRmT3_T4_T5_T6_T7_T9_mT8_P12ihipStream_tbDpT10_ENKUlT_T0_E_clISt17integral_constantIbLb1EES1A_IbLb0EEEEDaS16_S17_EUlS16_E_NS1_11comp_targetILNS1_3genE3ELNS1_11target_archE908ELNS1_3gpuE7ELNS1_3repE0EEENS1_30default_config_static_selectorELNS0_4arch9wavefront6targetE0EEEvT1_: ; @_ZN7rocprim17ROCPRIM_400000_NS6detail17trampoline_kernelINS0_14default_configENS1_25partition_config_selectorILNS1_17partition_subalgoE5EdNS0_10empty_typeEbEEZZNS1_14partition_implILS5_5ELb0ES3_mN6thrust23THRUST_200600_302600_NS6detail15normal_iteratorINSA_10device_ptrIdEEEEPS6_NSA_18transform_iteratorINSB_9not_fun_tINSA_8identityIdEEEESF_NSA_11use_defaultESM_EENS0_5tupleIJSF_S6_EEENSO_IJSG_SG_EEES6_PlJS6_EEE10hipError_tPvRmT3_T4_T5_T6_T7_T9_mT8_P12ihipStream_tbDpT10_ENKUlT_T0_E_clISt17integral_constantIbLb1EES1A_IbLb0EEEEDaS16_S17_EUlS16_E_NS1_11comp_targetILNS1_3genE3ELNS1_11target_archE908ELNS1_3gpuE7ELNS1_3repE0EEENS1_30default_config_static_selectorELNS0_4arch9wavefront6targetE0EEEvT1_
; %bb.0:
	.section	.rodata,"a",@progbits
	.p2align	6, 0x0
	.amdhsa_kernel _ZN7rocprim17ROCPRIM_400000_NS6detail17trampoline_kernelINS0_14default_configENS1_25partition_config_selectorILNS1_17partition_subalgoE5EdNS0_10empty_typeEbEEZZNS1_14partition_implILS5_5ELb0ES3_mN6thrust23THRUST_200600_302600_NS6detail15normal_iteratorINSA_10device_ptrIdEEEEPS6_NSA_18transform_iteratorINSB_9not_fun_tINSA_8identityIdEEEESF_NSA_11use_defaultESM_EENS0_5tupleIJSF_S6_EEENSO_IJSG_SG_EEES6_PlJS6_EEE10hipError_tPvRmT3_T4_T5_T6_T7_T9_mT8_P12ihipStream_tbDpT10_ENKUlT_T0_E_clISt17integral_constantIbLb1EES1A_IbLb0EEEEDaS16_S17_EUlS16_E_NS1_11comp_targetILNS1_3genE3ELNS1_11target_archE908ELNS1_3gpuE7ELNS1_3repE0EEENS1_30default_config_static_selectorELNS0_4arch9wavefront6targetE0EEEvT1_
		.amdhsa_group_segment_fixed_size 0
		.amdhsa_private_segment_fixed_size 0
		.amdhsa_kernarg_size 120
		.amdhsa_user_sgpr_count 2
		.amdhsa_user_sgpr_dispatch_ptr 0
		.amdhsa_user_sgpr_queue_ptr 0
		.amdhsa_user_sgpr_kernarg_segment_ptr 1
		.amdhsa_user_sgpr_dispatch_id 0
		.amdhsa_user_sgpr_private_segment_size 0
		.amdhsa_wavefront_size32 1
		.amdhsa_uses_dynamic_stack 0
		.amdhsa_enable_private_segment 0
		.amdhsa_system_sgpr_workgroup_id_x 1
		.amdhsa_system_sgpr_workgroup_id_y 0
		.amdhsa_system_sgpr_workgroup_id_z 0
		.amdhsa_system_sgpr_workgroup_info 0
		.amdhsa_system_vgpr_workitem_id 0
		.amdhsa_next_free_vgpr 1
		.amdhsa_next_free_sgpr 1
		.amdhsa_reserve_vcc 0
		.amdhsa_float_round_mode_32 0
		.amdhsa_float_round_mode_16_64 0
		.amdhsa_float_denorm_mode_32 3
		.amdhsa_float_denorm_mode_16_64 3
		.amdhsa_fp16_overflow 0
		.amdhsa_workgroup_processor_mode 1
		.amdhsa_memory_ordered 1
		.amdhsa_forward_progress 1
		.amdhsa_inst_pref_size 0
		.amdhsa_round_robin_scheduling 0
		.amdhsa_exception_fp_ieee_invalid_op 0
		.amdhsa_exception_fp_denorm_src 0
		.amdhsa_exception_fp_ieee_div_zero 0
		.amdhsa_exception_fp_ieee_overflow 0
		.amdhsa_exception_fp_ieee_underflow 0
		.amdhsa_exception_fp_ieee_inexact 0
		.amdhsa_exception_int_div_zero 0
	.end_amdhsa_kernel
	.section	.text._ZN7rocprim17ROCPRIM_400000_NS6detail17trampoline_kernelINS0_14default_configENS1_25partition_config_selectorILNS1_17partition_subalgoE5EdNS0_10empty_typeEbEEZZNS1_14partition_implILS5_5ELb0ES3_mN6thrust23THRUST_200600_302600_NS6detail15normal_iteratorINSA_10device_ptrIdEEEEPS6_NSA_18transform_iteratorINSB_9not_fun_tINSA_8identityIdEEEESF_NSA_11use_defaultESM_EENS0_5tupleIJSF_S6_EEENSO_IJSG_SG_EEES6_PlJS6_EEE10hipError_tPvRmT3_T4_T5_T6_T7_T9_mT8_P12ihipStream_tbDpT10_ENKUlT_T0_E_clISt17integral_constantIbLb1EES1A_IbLb0EEEEDaS16_S17_EUlS16_E_NS1_11comp_targetILNS1_3genE3ELNS1_11target_archE908ELNS1_3gpuE7ELNS1_3repE0EEENS1_30default_config_static_selectorELNS0_4arch9wavefront6targetE0EEEvT1_,"axG",@progbits,_ZN7rocprim17ROCPRIM_400000_NS6detail17trampoline_kernelINS0_14default_configENS1_25partition_config_selectorILNS1_17partition_subalgoE5EdNS0_10empty_typeEbEEZZNS1_14partition_implILS5_5ELb0ES3_mN6thrust23THRUST_200600_302600_NS6detail15normal_iteratorINSA_10device_ptrIdEEEEPS6_NSA_18transform_iteratorINSB_9not_fun_tINSA_8identityIdEEEESF_NSA_11use_defaultESM_EENS0_5tupleIJSF_S6_EEENSO_IJSG_SG_EEES6_PlJS6_EEE10hipError_tPvRmT3_T4_T5_T6_T7_T9_mT8_P12ihipStream_tbDpT10_ENKUlT_T0_E_clISt17integral_constantIbLb1EES1A_IbLb0EEEEDaS16_S17_EUlS16_E_NS1_11comp_targetILNS1_3genE3ELNS1_11target_archE908ELNS1_3gpuE7ELNS1_3repE0EEENS1_30default_config_static_selectorELNS0_4arch9wavefront6targetE0EEEvT1_,comdat
.Lfunc_end808:
	.size	_ZN7rocprim17ROCPRIM_400000_NS6detail17trampoline_kernelINS0_14default_configENS1_25partition_config_selectorILNS1_17partition_subalgoE5EdNS0_10empty_typeEbEEZZNS1_14partition_implILS5_5ELb0ES3_mN6thrust23THRUST_200600_302600_NS6detail15normal_iteratorINSA_10device_ptrIdEEEEPS6_NSA_18transform_iteratorINSB_9not_fun_tINSA_8identityIdEEEESF_NSA_11use_defaultESM_EENS0_5tupleIJSF_S6_EEENSO_IJSG_SG_EEES6_PlJS6_EEE10hipError_tPvRmT3_T4_T5_T6_T7_T9_mT8_P12ihipStream_tbDpT10_ENKUlT_T0_E_clISt17integral_constantIbLb1EES1A_IbLb0EEEEDaS16_S17_EUlS16_E_NS1_11comp_targetILNS1_3genE3ELNS1_11target_archE908ELNS1_3gpuE7ELNS1_3repE0EEENS1_30default_config_static_selectorELNS0_4arch9wavefront6targetE0EEEvT1_, .Lfunc_end808-_ZN7rocprim17ROCPRIM_400000_NS6detail17trampoline_kernelINS0_14default_configENS1_25partition_config_selectorILNS1_17partition_subalgoE5EdNS0_10empty_typeEbEEZZNS1_14partition_implILS5_5ELb0ES3_mN6thrust23THRUST_200600_302600_NS6detail15normal_iteratorINSA_10device_ptrIdEEEEPS6_NSA_18transform_iteratorINSB_9not_fun_tINSA_8identityIdEEEESF_NSA_11use_defaultESM_EENS0_5tupleIJSF_S6_EEENSO_IJSG_SG_EEES6_PlJS6_EEE10hipError_tPvRmT3_T4_T5_T6_T7_T9_mT8_P12ihipStream_tbDpT10_ENKUlT_T0_E_clISt17integral_constantIbLb1EES1A_IbLb0EEEEDaS16_S17_EUlS16_E_NS1_11comp_targetILNS1_3genE3ELNS1_11target_archE908ELNS1_3gpuE7ELNS1_3repE0EEENS1_30default_config_static_selectorELNS0_4arch9wavefront6targetE0EEEvT1_
                                        ; -- End function
	.set _ZN7rocprim17ROCPRIM_400000_NS6detail17trampoline_kernelINS0_14default_configENS1_25partition_config_selectorILNS1_17partition_subalgoE5EdNS0_10empty_typeEbEEZZNS1_14partition_implILS5_5ELb0ES3_mN6thrust23THRUST_200600_302600_NS6detail15normal_iteratorINSA_10device_ptrIdEEEEPS6_NSA_18transform_iteratorINSB_9not_fun_tINSA_8identityIdEEEESF_NSA_11use_defaultESM_EENS0_5tupleIJSF_S6_EEENSO_IJSG_SG_EEES6_PlJS6_EEE10hipError_tPvRmT3_T4_T5_T6_T7_T9_mT8_P12ihipStream_tbDpT10_ENKUlT_T0_E_clISt17integral_constantIbLb1EES1A_IbLb0EEEEDaS16_S17_EUlS16_E_NS1_11comp_targetILNS1_3genE3ELNS1_11target_archE908ELNS1_3gpuE7ELNS1_3repE0EEENS1_30default_config_static_selectorELNS0_4arch9wavefront6targetE0EEEvT1_.num_vgpr, 0
	.set _ZN7rocprim17ROCPRIM_400000_NS6detail17trampoline_kernelINS0_14default_configENS1_25partition_config_selectorILNS1_17partition_subalgoE5EdNS0_10empty_typeEbEEZZNS1_14partition_implILS5_5ELb0ES3_mN6thrust23THRUST_200600_302600_NS6detail15normal_iteratorINSA_10device_ptrIdEEEEPS6_NSA_18transform_iteratorINSB_9not_fun_tINSA_8identityIdEEEESF_NSA_11use_defaultESM_EENS0_5tupleIJSF_S6_EEENSO_IJSG_SG_EEES6_PlJS6_EEE10hipError_tPvRmT3_T4_T5_T6_T7_T9_mT8_P12ihipStream_tbDpT10_ENKUlT_T0_E_clISt17integral_constantIbLb1EES1A_IbLb0EEEEDaS16_S17_EUlS16_E_NS1_11comp_targetILNS1_3genE3ELNS1_11target_archE908ELNS1_3gpuE7ELNS1_3repE0EEENS1_30default_config_static_selectorELNS0_4arch9wavefront6targetE0EEEvT1_.num_agpr, 0
	.set _ZN7rocprim17ROCPRIM_400000_NS6detail17trampoline_kernelINS0_14default_configENS1_25partition_config_selectorILNS1_17partition_subalgoE5EdNS0_10empty_typeEbEEZZNS1_14partition_implILS5_5ELb0ES3_mN6thrust23THRUST_200600_302600_NS6detail15normal_iteratorINSA_10device_ptrIdEEEEPS6_NSA_18transform_iteratorINSB_9not_fun_tINSA_8identityIdEEEESF_NSA_11use_defaultESM_EENS0_5tupleIJSF_S6_EEENSO_IJSG_SG_EEES6_PlJS6_EEE10hipError_tPvRmT3_T4_T5_T6_T7_T9_mT8_P12ihipStream_tbDpT10_ENKUlT_T0_E_clISt17integral_constantIbLb1EES1A_IbLb0EEEEDaS16_S17_EUlS16_E_NS1_11comp_targetILNS1_3genE3ELNS1_11target_archE908ELNS1_3gpuE7ELNS1_3repE0EEENS1_30default_config_static_selectorELNS0_4arch9wavefront6targetE0EEEvT1_.numbered_sgpr, 0
	.set _ZN7rocprim17ROCPRIM_400000_NS6detail17trampoline_kernelINS0_14default_configENS1_25partition_config_selectorILNS1_17partition_subalgoE5EdNS0_10empty_typeEbEEZZNS1_14partition_implILS5_5ELb0ES3_mN6thrust23THRUST_200600_302600_NS6detail15normal_iteratorINSA_10device_ptrIdEEEEPS6_NSA_18transform_iteratorINSB_9not_fun_tINSA_8identityIdEEEESF_NSA_11use_defaultESM_EENS0_5tupleIJSF_S6_EEENSO_IJSG_SG_EEES6_PlJS6_EEE10hipError_tPvRmT3_T4_T5_T6_T7_T9_mT8_P12ihipStream_tbDpT10_ENKUlT_T0_E_clISt17integral_constantIbLb1EES1A_IbLb0EEEEDaS16_S17_EUlS16_E_NS1_11comp_targetILNS1_3genE3ELNS1_11target_archE908ELNS1_3gpuE7ELNS1_3repE0EEENS1_30default_config_static_selectorELNS0_4arch9wavefront6targetE0EEEvT1_.num_named_barrier, 0
	.set _ZN7rocprim17ROCPRIM_400000_NS6detail17trampoline_kernelINS0_14default_configENS1_25partition_config_selectorILNS1_17partition_subalgoE5EdNS0_10empty_typeEbEEZZNS1_14partition_implILS5_5ELb0ES3_mN6thrust23THRUST_200600_302600_NS6detail15normal_iteratorINSA_10device_ptrIdEEEEPS6_NSA_18transform_iteratorINSB_9not_fun_tINSA_8identityIdEEEESF_NSA_11use_defaultESM_EENS0_5tupleIJSF_S6_EEENSO_IJSG_SG_EEES6_PlJS6_EEE10hipError_tPvRmT3_T4_T5_T6_T7_T9_mT8_P12ihipStream_tbDpT10_ENKUlT_T0_E_clISt17integral_constantIbLb1EES1A_IbLb0EEEEDaS16_S17_EUlS16_E_NS1_11comp_targetILNS1_3genE3ELNS1_11target_archE908ELNS1_3gpuE7ELNS1_3repE0EEENS1_30default_config_static_selectorELNS0_4arch9wavefront6targetE0EEEvT1_.private_seg_size, 0
	.set _ZN7rocprim17ROCPRIM_400000_NS6detail17trampoline_kernelINS0_14default_configENS1_25partition_config_selectorILNS1_17partition_subalgoE5EdNS0_10empty_typeEbEEZZNS1_14partition_implILS5_5ELb0ES3_mN6thrust23THRUST_200600_302600_NS6detail15normal_iteratorINSA_10device_ptrIdEEEEPS6_NSA_18transform_iteratorINSB_9not_fun_tINSA_8identityIdEEEESF_NSA_11use_defaultESM_EENS0_5tupleIJSF_S6_EEENSO_IJSG_SG_EEES6_PlJS6_EEE10hipError_tPvRmT3_T4_T5_T6_T7_T9_mT8_P12ihipStream_tbDpT10_ENKUlT_T0_E_clISt17integral_constantIbLb1EES1A_IbLb0EEEEDaS16_S17_EUlS16_E_NS1_11comp_targetILNS1_3genE3ELNS1_11target_archE908ELNS1_3gpuE7ELNS1_3repE0EEENS1_30default_config_static_selectorELNS0_4arch9wavefront6targetE0EEEvT1_.uses_vcc, 0
	.set _ZN7rocprim17ROCPRIM_400000_NS6detail17trampoline_kernelINS0_14default_configENS1_25partition_config_selectorILNS1_17partition_subalgoE5EdNS0_10empty_typeEbEEZZNS1_14partition_implILS5_5ELb0ES3_mN6thrust23THRUST_200600_302600_NS6detail15normal_iteratorINSA_10device_ptrIdEEEEPS6_NSA_18transform_iteratorINSB_9not_fun_tINSA_8identityIdEEEESF_NSA_11use_defaultESM_EENS0_5tupleIJSF_S6_EEENSO_IJSG_SG_EEES6_PlJS6_EEE10hipError_tPvRmT3_T4_T5_T6_T7_T9_mT8_P12ihipStream_tbDpT10_ENKUlT_T0_E_clISt17integral_constantIbLb1EES1A_IbLb0EEEEDaS16_S17_EUlS16_E_NS1_11comp_targetILNS1_3genE3ELNS1_11target_archE908ELNS1_3gpuE7ELNS1_3repE0EEENS1_30default_config_static_selectorELNS0_4arch9wavefront6targetE0EEEvT1_.uses_flat_scratch, 0
	.set _ZN7rocprim17ROCPRIM_400000_NS6detail17trampoline_kernelINS0_14default_configENS1_25partition_config_selectorILNS1_17partition_subalgoE5EdNS0_10empty_typeEbEEZZNS1_14partition_implILS5_5ELb0ES3_mN6thrust23THRUST_200600_302600_NS6detail15normal_iteratorINSA_10device_ptrIdEEEEPS6_NSA_18transform_iteratorINSB_9not_fun_tINSA_8identityIdEEEESF_NSA_11use_defaultESM_EENS0_5tupleIJSF_S6_EEENSO_IJSG_SG_EEES6_PlJS6_EEE10hipError_tPvRmT3_T4_T5_T6_T7_T9_mT8_P12ihipStream_tbDpT10_ENKUlT_T0_E_clISt17integral_constantIbLb1EES1A_IbLb0EEEEDaS16_S17_EUlS16_E_NS1_11comp_targetILNS1_3genE3ELNS1_11target_archE908ELNS1_3gpuE7ELNS1_3repE0EEENS1_30default_config_static_selectorELNS0_4arch9wavefront6targetE0EEEvT1_.has_dyn_sized_stack, 0
	.set _ZN7rocprim17ROCPRIM_400000_NS6detail17trampoline_kernelINS0_14default_configENS1_25partition_config_selectorILNS1_17partition_subalgoE5EdNS0_10empty_typeEbEEZZNS1_14partition_implILS5_5ELb0ES3_mN6thrust23THRUST_200600_302600_NS6detail15normal_iteratorINSA_10device_ptrIdEEEEPS6_NSA_18transform_iteratorINSB_9not_fun_tINSA_8identityIdEEEESF_NSA_11use_defaultESM_EENS0_5tupleIJSF_S6_EEENSO_IJSG_SG_EEES6_PlJS6_EEE10hipError_tPvRmT3_T4_T5_T6_T7_T9_mT8_P12ihipStream_tbDpT10_ENKUlT_T0_E_clISt17integral_constantIbLb1EES1A_IbLb0EEEEDaS16_S17_EUlS16_E_NS1_11comp_targetILNS1_3genE3ELNS1_11target_archE908ELNS1_3gpuE7ELNS1_3repE0EEENS1_30default_config_static_selectorELNS0_4arch9wavefront6targetE0EEEvT1_.has_recursion, 0
	.set _ZN7rocprim17ROCPRIM_400000_NS6detail17trampoline_kernelINS0_14default_configENS1_25partition_config_selectorILNS1_17partition_subalgoE5EdNS0_10empty_typeEbEEZZNS1_14partition_implILS5_5ELb0ES3_mN6thrust23THRUST_200600_302600_NS6detail15normal_iteratorINSA_10device_ptrIdEEEEPS6_NSA_18transform_iteratorINSB_9not_fun_tINSA_8identityIdEEEESF_NSA_11use_defaultESM_EENS0_5tupleIJSF_S6_EEENSO_IJSG_SG_EEES6_PlJS6_EEE10hipError_tPvRmT3_T4_T5_T6_T7_T9_mT8_P12ihipStream_tbDpT10_ENKUlT_T0_E_clISt17integral_constantIbLb1EES1A_IbLb0EEEEDaS16_S17_EUlS16_E_NS1_11comp_targetILNS1_3genE3ELNS1_11target_archE908ELNS1_3gpuE7ELNS1_3repE0EEENS1_30default_config_static_selectorELNS0_4arch9wavefront6targetE0EEEvT1_.has_indirect_call, 0
	.section	.AMDGPU.csdata,"",@progbits
; Kernel info:
; codeLenInByte = 0
; TotalNumSgprs: 0
; NumVgprs: 0
; ScratchSize: 0
; MemoryBound: 0
; FloatMode: 240
; IeeeMode: 1
; LDSByteSize: 0 bytes/workgroup (compile time only)
; SGPRBlocks: 0
; VGPRBlocks: 0
; NumSGPRsForWavesPerEU: 1
; NumVGPRsForWavesPerEU: 1
; Occupancy: 16
; WaveLimiterHint : 0
; COMPUTE_PGM_RSRC2:SCRATCH_EN: 0
; COMPUTE_PGM_RSRC2:USER_SGPR: 2
; COMPUTE_PGM_RSRC2:TRAP_HANDLER: 0
; COMPUTE_PGM_RSRC2:TGID_X_EN: 1
; COMPUTE_PGM_RSRC2:TGID_Y_EN: 0
; COMPUTE_PGM_RSRC2:TGID_Z_EN: 0
; COMPUTE_PGM_RSRC2:TIDIG_COMP_CNT: 0
	.section	.text._ZN7rocprim17ROCPRIM_400000_NS6detail17trampoline_kernelINS0_14default_configENS1_25partition_config_selectorILNS1_17partition_subalgoE5EdNS0_10empty_typeEbEEZZNS1_14partition_implILS5_5ELb0ES3_mN6thrust23THRUST_200600_302600_NS6detail15normal_iteratorINSA_10device_ptrIdEEEEPS6_NSA_18transform_iteratorINSB_9not_fun_tINSA_8identityIdEEEESF_NSA_11use_defaultESM_EENS0_5tupleIJSF_S6_EEENSO_IJSG_SG_EEES6_PlJS6_EEE10hipError_tPvRmT3_T4_T5_T6_T7_T9_mT8_P12ihipStream_tbDpT10_ENKUlT_T0_E_clISt17integral_constantIbLb1EES1A_IbLb0EEEEDaS16_S17_EUlS16_E_NS1_11comp_targetILNS1_3genE2ELNS1_11target_archE906ELNS1_3gpuE6ELNS1_3repE0EEENS1_30default_config_static_selectorELNS0_4arch9wavefront6targetE0EEEvT1_,"axG",@progbits,_ZN7rocprim17ROCPRIM_400000_NS6detail17trampoline_kernelINS0_14default_configENS1_25partition_config_selectorILNS1_17partition_subalgoE5EdNS0_10empty_typeEbEEZZNS1_14partition_implILS5_5ELb0ES3_mN6thrust23THRUST_200600_302600_NS6detail15normal_iteratorINSA_10device_ptrIdEEEEPS6_NSA_18transform_iteratorINSB_9not_fun_tINSA_8identityIdEEEESF_NSA_11use_defaultESM_EENS0_5tupleIJSF_S6_EEENSO_IJSG_SG_EEES6_PlJS6_EEE10hipError_tPvRmT3_T4_T5_T6_T7_T9_mT8_P12ihipStream_tbDpT10_ENKUlT_T0_E_clISt17integral_constantIbLb1EES1A_IbLb0EEEEDaS16_S17_EUlS16_E_NS1_11comp_targetILNS1_3genE2ELNS1_11target_archE906ELNS1_3gpuE6ELNS1_3repE0EEENS1_30default_config_static_selectorELNS0_4arch9wavefront6targetE0EEEvT1_,comdat
	.protected	_ZN7rocprim17ROCPRIM_400000_NS6detail17trampoline_kernelINS0_14default_configENS1_25partition_config_selectorILNS1_17partition_subalgoE5EdNS0_10empty_typeEbEEZZNS1_14partition_implILS5_5ELb0ES3_mN6thrust23THRUST_200600_302600_NS6detail15normal_iteratorINSA_10device_ptrIdEEEEPS6_NSA_18transform_iteratorINSB_9not_fun_tINSA_8identityIdEEEESF_NSA_11use_defaultESM_EENS0_5tupleIJSF_S6_EEENSO_IJSG_SG_EEES6_PlJS6_EEE10hipError_tPvRmT3_T4_T5_T6_T7_T9_mT8_P12ihipStream_tbDpT10_ENKUlT_T0_E_clISt17integral_constantIbLb1EES1A_IbLb0EEEEDaS16_S17_EUlS16_E_NS1_11comp_targetILNS1_3genE2ELNS1_11target_archE906ELNS1_3gpuE6ELNS1_3repE0EEENS1_30default_config_static_selectorELNS0_4arch9wavefront6targetE0EEEvT1_ ; -- Begin function _ZN7rocprim17ROCPRIM_400000_NS6detail17trampoline_kernelINS0_14default_configENS1_25partition_config_selectorILNS1_17partition_subalgoE5EdNS0_10empty_typeEbEEZZNS1_14partition_implILS5_5ELb0ES3_mN6thrust23THRUST_200600_302600_NS6detail15normal_iteratorINSA_10device_ptrIdEEEEPS6_NSA_18transform_iteratorINSB_9not_fun_tINSA_8identityIdEEEESF_NSA_11use_defaultESM_EENS0_5tupleIJSF_S6_EEENSO_IJSG_SG_EEES6_PlJS6_EEE10hipError_tPvRmT3_T4_T5_T6_T7_T9_mT8_P12ihipStream_tbDpT10_ENKUlT_T0_E_clISt17integral_constantIbLb1EES1A_IbLb0EEEEDaS16_S17_EUlS16_E_NS1_11comp_targetILNS1_3genE2ELNS1_11target_archE906ELNS1_3gpuE6ELNS1_3repE0EEENS1_30default_config_static_selectorELNS0_4arch9wavefront6targetE0EEEvT1_
	.globl	_ZN7rocprim17ROCPRIM_400000_NS6detail17trampoline_kernelINS0_14default_configENS1_25partition_config_selectorILNS1_17partition_subalgoE5EdNS0_10empty_typeEbEEZZNS1_14partition_implILS5_5ELb0ES3_mN6thrust23THRUST_200600_302600_NS6detail15normal_iteratorINSA_10device_ptrIdEEEEPS6_NSA_18transform_iteratorINSB_9not_fun_tINSA_8identityIdEEEESF_NSA_11use_defaultESM_EENS0_5tupleIJSF_S6_EEENSO_IJSG_SG_EEES6_PlJS6_EEE10hipError_tPvRmT3_T4_T5_T6_T7_T9_mT8_P12ihipStream_tbDpT10_ENKUlT_T0_E_clISt17integral_constantIbLb1EES1A_IbLb0EEEEDaS16_S17_EUlS16_E_NS1_11comp_targetILNS1_3genE2ELNS1_11target_archE906ELNS1_3gpuE6ELNS1_3repE0EEENS1_30default_config_static_selectorELNS0_4arch9wavefront6targetE0EEEvT1_
	.p2align	8
	.type	_ZN7rocprim17ROCPRIM_400000_NS6detail17trampoline_kernelINS0_14default_configENS1_25partition_config_selectorILNS1_17partition_subalgoE5EdNS0_10empty_typeEbEEZZNS1_14partition_implILS5_5ELb0ES3_mN6thrust23THRUST_200600_302600_NS6detail15normal_iteratorINSA_10device_ptrIdEEEEPS6_NSA_18transform_iteratorINSB_9not_fun_tINSA_8identityIdEEEESF_NSA_11use_defaultESM_EENS0_5tupleIJSF_S6_EEENSO_IJSG_SG_EEES6_PlJS6_EEE10hipError_tPvRmT3_T4_T5_T6_T7_T9_mT8_P12ihipStream_tbDpT10_ENKUlT_T0_E_clISt17integral_constantIbLb1EES1A_IbLb0EEEEDaS16_S17_EUlS16_E_NS1_11comp_targetILNS1_3genE2ELNS1_11target_archE906ELNS1_3gpuE6ELNS1_3repE0EEENS1_30default_config_static_selectorELNS0_4arch9wavefront6targetE0EEEvT1_,@function
_ZN7rocprim17ROCPRIM_400000_NS6detail17trampoline_kernelINS0_14default_configENS1_25partition_config_selectorILNS1_17partition_subalgoE5EdNS0_10empty_typeEbEEZZNS1_14partition_implILS5_5ELb0ES3_mN6thrust23THRUST_200600_302600_NS6detail15normal_iteratorINSA_10device_ptrIdEEEEPS6_NSA_18transform_iteratorINSB_9not_fun_tINSA_8identityIdEEEESF_NSA_11use_defaultESM_EENS0_5tupleIJSF_S6_EEENSO_IJSG_SG_EEES6_PlJS6_EEE10hipError_tPvRmT3_T4_T5_T6_T7_T9_mT8_P12ihipStream_tbDpT10_ENKUlT_T0_E_clISt17integral_constantIbLb1EES1A_IbLb0EEEEDaS16_S17_EUlS16_E_NS1_11comp_targetILNS1_3genE2ELNS1_11target_archE906ELNS1_3gpuE6ELNS1_3repE0EEENS1_30default_config_static_selectorELNS0_4arch9wavefront6targetE0EEEvT1_: ; @_ZN7rocprim17ROCPRIM_400000_NS6detail17trampoline_kernelINS0_14default_configENS1_25partition_config_selectorILNS1_17partition_subalgoE5EdNS0_10empty_typeEbEEZZNS1_14partition_implILS5_5ELb0ES3_mN6thrust23THRUST_200600_302600_NS6detail15normal_iteratorINSA_10device_ptrIdEEEEPS6_NSA_18transform_iteratorINSB_9not_fun_tINSA_8identityIdEEEESF_NSA_11use_defaultESM_EENS0_5tupleIJSF_S6_EEENSO_IJSG_SG_EEES6_PlJS6_EEE10hipError_tPvRmT3_T4_T5_T6_T7_T9_mT8_P12ihipStream_tbDpT10_ENKUlT_T0_E_clISt17integral_constantIbLb1EES1A_IbLb0EEEEDaS16_S17_EUlS16_E_NS1_11comp_targetILNS1_3genE2ELNS1_11target_archE906ELNS1_3gpuE6ELNS1_3repE0EEENS1_30default_config_static_selectorELNS0_4arch9wavefront6targetE0EEEvT1_
; %bb.0:
	.section	.rodata,"a",@progbits
	.p2align	6, 0x0
	.amdhsa_kernel _ZN7rocprim17ROCPRIM_400000_NS6detail17trampoline_kernelINS0_14default_configENS1_25partition_config_selectorILNS1_17partition_subalgoE5EdNS0_10empty_typeEbEEZZNS1_14partition_implILS5_5ELb0ES3_mN6thrust23THRUST_200600_302600_NS6detail15normal_iteratorINSA_10device_ptrIdEEEEPS6_NSA_18transform_iteratorINSB_9not_fun_tINSA_8identityIdEEEESF_NSA_11use_defaultESM_EENS0_5tupleIJSF_S6_EEENSO_IJSG_SG_EEES6_PlJS6_EEE10hipError_tPvRmT3_T4_T5_T6_T7_T9_mT8_P12ihipStream_tbDpT10_ENKUlT_T0_E_clISt17integral_constantIbLb1EES1A_IbLb0EEEEDaS16_S17_EUlS16_E_NS1_11comp_targetILNS1_3genE2ELNS1_11target_archE906ELNS1_3gpuE6ELNS1_3repE0EEENS1_30default_config_static_selectorELNS0_4arch9wavefront6targetE0EEEvT1_
		.amdhsa_group_segment_fixed_size 0
		.amdhsa_private_segment_fixed_size 0
		.amdhsa_kernarg_size 120
		.amdhsa_user_sgpr_count 2
		.amdhsa_user_sgpr_dispatch_ptr 0
		.amdhsa_user_sgpr_queue_ptr 0
		.amdhsa_user_sgpr_kernarg_segment_ptr 1
		.amdhsa_user_sgpr_dispatch_id 0
		.amdhsa_user_sgpr_private_segment_size 0
		.amdhsa_wavefront_size32 1
		.amdhsa_uses_dynamic_stack 0
		.amdhsa_enable_private_segment 0
		.amdhsa_system_sgpr_workgroup_id_x 1
		.amdhsa_system_sgpr_workgroup_id_y 0
		.amdhsa_system_sgpr_workgroup_id_z 0
		.amdhsa_system_sgpr_workgroup_info 0
		.amdhsa_system_vgpr_workitem_id 0
		.amdhsa_next_free_vgpr 1
		.amdhsa_next_free_sgpr 1
		.amdhsa_reserve_vcc 0
		.amdhsa_float_round_mode_32 0
		.amdhsa_float_round_mode_16_64 0
		.amdhsa_float_denorm_mode_32 3
		.amdhsa_float_denorm_mode_16_64 3
		.amdhsa_fp16_overflow 0
		.amdhsa_workgroup_processor_mode 1
		.amdhsa_memory_ordered 1
		.amdhsa_forward_progress 1
		.amdhsa_inst_pref_size 0
		.amdhsa_round_robin_scheduling 0
		.amdhsa_exception_fp_ieee_invalid_op 0
		.amdhsa_exception_fp_denorm_src 0
		.amdhsa_exception_fp_ieee_div_zero 0
		.amdhsa_exception_fp_ieee_overflow 0
		.amdhsa_exception_fp_ieee_underflow 0
		.amdhsa_exception_fp_ieee_inexact 0
		.amdhsa_exception_int_div_zero 0
	.end_amdhsa_kernel
	.section	.text._ZN7rocprim17ROCPRIM_400000_NS6detail17trampoline_kernelINS0_14default_configENS1_25partition_config_selectorILNS1_17partition_subalgoE5EdNS0_10empty_typeEbEEZZNS1_14partition_implILS5_5ELb0ES3_mN6thrust23THRUST_200600_302600_NS6detail15normal_iteratorINSA_10device_ptrIdEEEEPS6_NSA_18transform_iteratorINSB_9not_fun_tINSA_8identityIdEEEESF_NSA_11use_defaultESM_EENS0_5tupleIJSF_S6_EEENSO_IJSG_SG_EEES6_PlJS6_EEE10hipError_tPvRmT3_T4_T5_T6_T7_T9_mT8_P12ihipStream_tbDpT10_ENKUlT_T0_E_clISt17integral_constantIbLb1EES1A_IbLb0EEEEDaS16_S17_EUlS16_E_NS1_11comp_targetILNS1_3genE2ELNS1_11target_archE906ELNS1_3gpuE6ELNS1_3repE0EEENS1_30default_config_static_selectorELNS0_4arch9wavefront6targetE0EEEvT1_,"axG",@progbits,_ZN7rocprim17ROCPRIM_400000_NS6detail17trampoline_kernelINS0_14default_configENS1_25partition_config_selectorILNS1_17partition_subalgoE5EdNS0_10empty_typeEbEEZZNS1_14partition_implILS5_5ELb0ES3_mN6thrust23THRUST_200600_302600_NS6detail15normal_iteratorINSA_10device_ptrIdEEEEPS6_NSA_18transform_iteratorINSB_9not_fun_tINSA_8identityIdEEEESF_NSA_11use_defaultESM_EENS0_5tupleIJSF_S6_EEENSO_IJSG_SG_EEES6_PlJS6_EEE10hipError_tPvRmT3_T4_T5_T6_T7_T9_mT8_P12ihipStream_tbDpT10_ENKUlT_T0_E_clISt17integral_constantIbLb1EES1A_IbLb0EEEEDaS16_S17_EUlS16_E_NS1_11comp_targetILNS1_3genE2ELNS1_11target_archE906ELNS1_3gpuE6ELNS1_3repE0EEENS1_30default_config_static_selectorELNS0_4arch9wavefront6targetE0EEEvT1_,comdat
.Lfunc_end809:
	.size	_ZN7rocprim17ROCPRIM_400000_NS6detail17trampoline_kernelINS0_14default_configENS1_25partition_config_selectorILNS1_17partition_subalgoE5EdNS0_10empty_typeEbEEZZNS1_14partition_implILS5_5ELb0ES3_mN6thrust23THRUST_200600_302600_NS6detail15normal_iteratorINSA_10device_ptrIdEEEEPS6_NSA_18transform_iteratorINSB_9not_fun_tINSA_8identityIdEEEESF_NSA_11use_defaultESM_EENS0_5tupleIJSF_S6_EEENSO_IJSG_SG_EEES6_PlJS6_EEE10hipError_tPvRmT3_T4_T5_T6_T7_T9_mT8_P12ihipStream_tbDpT10_ENKUlT_T0_E_clISt17integral_constantIbLb1EES1A_IbLb0EEEEDaS16_S17_EUlS16_E_NS1_11comp_targetILNS1_3genE2ELNS1_11target_archE906ELNS1_3gpuE6ELNS1_3repE0EEENS1_30default_config_static_selectorELNS0_4arch9wavefront6targetE0EEEvT1_, .Lfunc_end809-_ZN7rocprim17ROCPRIM_400000_NS6detail17trampoline_kernelINS0_14default_configENS1_25partition_config_selectorILNS1_17partition_subalgoE5EdNS0_10empty_typeEbEEZZNS1_14partition_implILS5_5ELb0ES3_mN6thrust23THRUST_200600_302600_NS6detail15normal_iteratorINSA_10device_ptrIdEEEEPS6_NSA_18transform_iteratorINSB_9not_fun_tINSA_8identityIdEEEESF_NSA_11use_defaultESM_EENS0_5tupleIJSF_S6_EEENSO_IJSG_SG_EEES6_PlJS6_EEE10hipError_tPvRmT3_T4_T5_T6_T7_T9_mT8_P12ihipStream_tbDpT10_ENKUlT_T0_E_clISt17integral_constantIbLb1EES1A_IbLb0EEEEDaS16_S17_EUlS16_E_NS1_11comp_targetILNS1_3genE2ELNS1_11target_archE906ELNS1_3gpuE6ELNS1_3repE0EEENS1_30default_config_static_selectorELNS0_4arch9wavefront6targetE0EEEvT1_
                                        ; -- End function
	.set _ZN7rocprim17ROCPRIM_400000_NS6detail17trampoline_kernelINS0_14default_configENS1_25partition_config_selectorILNS1_17partition_subalgoE5EdNS0_10empty_typeEbEEZZNS1_14partition_implILS5_5ELb0ES3_mN6thrust23THRUST_200600_302600_NS6detail15normal_iteratorINSA_10device_ptrIdEEEEPS6_NSA_18transform_iteratorINSB_9not_fun_tINSA_8identityIdEEEESF_NSA_11use_defaultESM_EENS0_5tupleIJSF_S6_EEENSO_IJSG_SG_EEES6_PlJS6_EEE10hipError_tPvRmT3_T4_T5_T6_T7_T9_mT8_P12ihipStream_tbDpT10_ENKUlT_T0_E_clISt17integral_constantIbLb1EES1A_IbLb0EEEEDaS16_S17_EUlS16_E_NS1_11comp_targetILNS1_3genE2ELNS1_11target_archE906ELNS1_3gpuE6ELNS1_3repE0EEENS1_30default_config_static_selectorELNS0_4arch9wavefront6targetE0EEEvT1_.num_vgpr, 0
	.set _ZN7rocprim17ROCPRIM_400000_NS6detail17trampoline_kernelINS0_14default_configENS1_25partition_config_selectorILNS1_17partition_subalgoE5EdNS0_10empty_typeEbEEZZNS1_14partition_implILS5_5ELb0ES3_mN6thrust23THRUST_200600_302600_NS6detail15normal_iteratorINSA_10device_ptrIdEEEEPS6_NSA_18transform_iteratorINSB_9not_fun_tINSA_8identityIdEEEESF_NSA_11use_defaultESM_EENS0_5tupleIJSF_S6_EEENSO_IJSG_SG_EEES6_PlJS6_EEE10hipError_tPvRmT3_T4_T5_T6_T7_T9_mT8_P12ihipStream_tbDpT10_ENKUlT_T0_E_clISt17integral_constantIbLb1EES1A_IbLb0EEEEDaS16_S17_EUlS16_E_NS1_11comp_targetILNS1_3genE2ELNS1_11target_archE906ELNS1_3gpuE6ELNS1_3repE0EEENS1_30default_config_static_selectorELNS0_4arch9wavefront6targetE0EEEvT1_.num_agpr, 0
	.set _ZN7rocprim17ROCPRIM_400000_NS6detail17trampoline_kernelINS0_14default_configENS1_25partition_config_selectorILNS1_17partition_subalgoE5EdNS0_10empty_typeEbEEZZNS1_14partition_implILS5_5ELb0ES3_mN6thrust23THRUST_200600_302600_NS6detail15normal_iteratorINSA_10device_ptrIdEEEEPS6_NSA_18transform_iteratorINSB_9not_fun_tINSA_8identityIdEEEESF_NSA_11use_defaultESM_EENS0_5tupleIJSF_S6_EEENSO_IJSG_SG_EEES6_PlJS6_EEE10hipError_tPvRmT3_T4_T5_T6_T7_T9_mT8_P12ihipStream_tbDpT10_ENKUlT_T0_E_clISt17integral_constantIbLb1EES1A_IbLb0EEEEDaS16_S17_EUlS16_E_NS1_11comp_targetILNS1_3genE2ELNS1_11target_archE906ELNS1_3gpuE6ELNS1_3repE0EEENS1_30default_config_static_selectorELNS0_4arch9wavefront6targetE0EEEvT1_.numbered_sgpr, 0
	.set _ZN7rocprim17ROCPRIM_400000_NS6detail17trampoline_kernelINS0_14default_configENS1_25partition_config_selectorILNS1_17partition_subalgoE5EdNS0_10empty_typeEbEEZZNS1_14partition_implILS5_5ELb0ES3_mN6thrust23THRUST_200600_302600_NS6detail15normal_iteratorINSA_10device_ptrIdEEEEPS6_NSA_18transform_iteratorINSB_9not_fun_tINSA_8identityIdEEEESF_NSA_11use_defaultESM_EENS0_5tupleIJSF_S6_EEENSO_IJSG_SG_EEES6_PlJS6_EEE10hipError_tPvRmT3_T4_T5_T6_T7_T9_mT8_P12ihipStream_tbDpT10_ENKUlT_T0_E_clISt17integral_constantIbLb1EES1A_IbLb0EEEEDaS16_S17_EUlS16_E_NS1_11comp_targetILNS1_3genE2ELNS1_11target_archE906ELNS1_3gpuE6ELNS1_3repE0EEENS1_30default_config_static_selectorELNS0_4arch9wavefront6targetE0EEEvT1_.num_named_barrier, 0
	.set _ZN7rocprim17ROCPRIM_400000_NS6detail17trampoline_kernelINS0_14default_configENS1_25partition_config_selectorILNS1_17partition_subalgoE5EdNS0_10empty_typeEbEEZZNS1_14partition_implILS5_5ELb0ES3_mN6thrust23THRUST_200600_302600_NS6detail15normal_iteratorINSA_10device_ptrIdEEEEPS6_NSA_18transform_iteratorINSB_9not_fun_tINSA_8identityIdEEEESF_NSA_11use_defaultESM_EENS0_5tupleIJSF_S6_EEENSO_IJSG_SG_EEES6_PlJS6_EEE10hipError_tPvRmT3_T4_T5_T6_T7_T9_mT8_P12ihipStream_tbDpT10_ENKUlT_T0_E_clISt17integral_constantIbLb1EES1A_IbLb0EEEEDaS16_S17_EUlS16_E_NS1_11comp_targetILNS1_3genE2ELNS1_11target_archE906ELNS1_3gpuE6ELNS1_3repE0EEENS1_30default_config_static_selectorELNS0_4arch9wavefront6targetE0EEEvT1_.private_seg_size, 0
	.set _ZN7rocprim17ROCPRIM_400000_NS6detail17trampoline_kernelINS0_14default_configENS1_25partition_config_selectorILNS1_17partition_subalgoE5EdNS0_10empty_typeEbEEZZNS1_14partition_implILS5_5ELb0ES3_mN6thrust23THRUST_200600_302600_NS6detail15normal_iteratorINSA_10device_ptrIdEEEEPS6_NSA_18transform_iteratorINSB_9not_fun_tINSA_8identityIdEEEESF_NSA_11use_defaultESM_EENS0_5tupleIJSF_S6_EEENSO_IJSG_SG_EEES6_PlJS6_EEE10hipError_tPvRmT3_T4_T5_T6_T7_T9_mT8_P12ihipStream_tbDpT10_ENKUlT_T0_E_clISt17integral_constantIbLb1EES1A_IbLb0EEEEDaS16_S17_EUlS16_E_NS1_11comp_targetILNS1_3genE2ELNS1_11target_archE906ELNS1_3gpuE6ELNS1_3repE0EEENS1_30default_config_static_selectorELNS0_4arch9wavefront6targetE0EEEvT1_.uses_vcc, 0
	.set _ZN7rocprim17ROCPRIM_400000_NS6detail17trampoline_kernelINS0_14default_configENS1_25partition_config_selectorILNS1_17partition_subalgoE5EdNS0_10empty_typeEbEEZZNS1_14partition_implILS5_5ELb0ES3_mN6thrust23THRUST_200600_302600_NS6detail15normal_iteratorINSA_10device_ptrIdEEEEPS6_NSA_18transform_iteratorINSB_9not_fun_tINSA_8identityIdEEEESF_NSA_11use_defaultESM_EENS0_5tupleIJSF_S6_EEENSO_IJSG_SG_EEES6_PlJS6_EEE10hipError_tPvRmT3_T4_T5_T6_T7_T9_mT8_P12ihipStream_tbDpT10_ENKUlT_T0_E_clISt17integral_constantIbLb1EES1A_IbLb0EEEEDaS16_S17_EUlS16_E_NS1_11comp_targetILNS1_3genE2ELNS1_11target_archE906ELNS1_3gpuE6ELNS1_3repE0EEENS1_30default_config_static_selectorELNS0_4arch9wavefront6targetE0EEEvT1_.uses_flat_scratch, 0
	.set _ZN7rocprim17ROCPRIM_400000_NS6detail17trampoline_kernelINS0_14default_configENS1_25partition_config_selectorILNS1_17partition_subalgoE5EdNS0_10empty_typeEbEEZZNS1_14partition_implILS5_5ELb0ES3_mN6thrust23THRUST_200600_302600_NS6detail15normal_iteratorINSA_10device_ptrIdEEEEPS6_NSA_18transform_iteratorINSB_9not_fun_tINSA_8identityIdEEEESF_NSA_11use_defaultESM_EENS0_5tupleIJSF_S6_EEENSO_IJSG_SG_EEES6_PlJS6_EEE10hipError_tPvRmT3_T4_T5_T6_T7_T9_mT8_P12ihipStream_tbDpT10_ENKUlT_T0_E_clISt17integral_constantIbLb1EES1A_IbLb0EEEEDaS16_S17_EUlS16_E_NS1_11comp_targetILNS1_3genE2ELNS1_11target_archE906ELNS1_3gpuE6ELNS1_3repE0EEENS1_30default_config_static_selectorELNS0_4arch9wavefront6targetE0EEEvT1_.has_dyn_sized_stack, 0
	.set _ZN7rocprim17ROCPRIM_400000_NS6detail17trampoline_kernelINS0_14default_configENS1_25partition_config_selectorILNS1_17partition_subalgoE5EdNS0_10empty_typeEbEEZZNS1_14partition_implILS5_5ELb0ES3_mN6thrust23THRUST_200600_302600_NS6detail15normal_iteratorINSA_10device_ptrIdEEEEPS6_NSA_18transform_iteratorINSB_9not_fun_tINSA_8identityIdEEEESF_NSA_11use_defaultESM_EENS0_5tupleIJSF_S6_EEENSO_IJSG_SG_EEES6_PlJS6_EEE10hipError_tPvRmT3_T4_T5_T6_T7_T9_mT8_P12ihipStream_tbDpT10_ENKUlT_T0_E_clISt17integral_constantIbLb1EES1A_IbLb0EEEEDaS16_S17_EUlS16_E_NS1_11comp_targetILNS1_3genE2ELNS1_11target_archE906ELNS1_3gpuE6ELNS1_3repE0EEENS1_30default_config_static_selectorELNS0_4arch9wavefront6targetE0EEEvT1_.has_recursion, 0
	.set _ZN7rocprim17ROCPRIM_400000_NS6detail17trampoline_kernelINS0_14default_configENS1_25partition_config_selectorILNS1_17partition_subalgoE5EdNS0_10empty_typeEbEEZZNS1_14partition_implILS5_5ELb0ES3_mN6thrust23THRUST_200600_302600_NS6detail15normal_iteratorINSA_10device_ptrIdEEEEPS6_NSA_18transform_iteratorINSB_9not_fun_tINSA_8identityIdEEEESF_NSA_11use_defaultESM_EENS0_5tupleIJSF_S6_EEENSO_IJSG_SG_EEES6_PlJS6_EEE10hipError_tPvRmT3_T4_T5_T6_T7_T9_mT8_P12ihipStream_tbDpT10_ENKUlT_T0_E_clISt17integral_constantIbLb1EES1A_IbLb0EEEEDaS16_S17_EUlS16_E_NS1_11comp_targetILNS1_3genE2ELNS1_11target_archE906ELNS1_3gpuE6ELNS1_3repE0EEENS1_30default_config_static_selectorELNS0_4arch9wavefront6targetE0EEEvT1_.has_indirect_call, 0
	.section	.AMDGPU.csdata,"",@progbits
; Kernel info:
; codeLenInByte = 0
; TotalNumSgprs: 0
; NumVgprs: 0
; ScratchSize: 0
; MemoryBound: 0
; FloatMode: 240
; IeeeMode: 1
; LDSByteSize: 0 bytes/workgroup (compile time only)
; SGPRBlocks: 0
; VGPRBlocks: 0
; NumSGPRsForWavesPerEU: 1
; NumVGPRsForWavesPerEU: 1
; Occupancy: 16
; WaveLimiterHint : 0
; COMPUTE_PGM_RSRC2:SCRATCH_EN: 0
; COMPUTE_PGM_RSRC2:USER_SGPR: 2
; COMPUTE_PGM_RSRC2:TRAP_HANDLER: 0
; COMPUTE_PGM_RSRC2:TGID_X_EN: 1
; COMPUTE_PGM_RSRC2:TGID_Y_EN: 0
; COMPUTE_PGM_RSRC2:TGID_Z_EN: 0
; COMPUTE_PGM_RSRC2:TIDIG_COMP_CNT: 0
	.section	.text._ZN7rocprim17ROCPRIM_400000_NS6detail17trampoline_kernelINS0_14default_configENS1_25partition_config_selectorILNS1_17partition_subalgoE5EdNS0_10empty_typeEbEEZZNS1_14partition_implILS5_5ELb0ES3_mN6thrust23THRUST_200600_302600_NS6detail15normal_iteratorINSA_10device_ptrIdEEEEPS6_NSA_18transform_iteratorINSB_9not_fun_tINSA_8identityIdEEEESF_NSA_11use_defaultESM_EENS0_5tupleIJSF_S6_EEENSO_IJSG_SG_EEES6_PlJS6_EEE10hipError_tPvRmT3_T4_T5_T6_T7_T9_mT8_P12ihipStream_tbDpT10_ENKUlT_T0_E_clISt17integral_constantIbLb1EES1A_IbLb0EEEEDaS16_S17_EUlS16_E_NS1_11comp_targetILNS1_3genE10ELNS1_11target_archE1200ELNS1_3gpuE4ELNS1_3repE0EEENS1_30default_config_static_selectorELNS0_4arch9wavefront6targetE0EEEvT1_,"axG",@progbits,_ZN7rocprim17ROCPRIM_400000_NS6detail17trampoline_kernelINS0_14default_configENS1_25partition_config_selectorILNS1_17partition_subalgoE5EdNS0_10empty_typeEbEEZZNS1_14partition_implILS5_5ELb0ES3_mN6thrust23THRUST_200600_302600_NS6detail15normal_iteratorINSA_10device_ptrIdEEEEPS6_NSA_18transform_iteratorINSB_9not_fun_tINSA_8identityIdEEEESF_NSA_11use_defaultESM_EENS0_5tupleIJSF_S6_EEENSO_IJSG_SG_EEES6_PlJS6_EEE10hipError_tPvRmT3_T4_T5_T6_T7_T9_mT8_P12ihipStream_tbDpT10_ENKUlT_T0_E_clISt17integral_constantIbLb1EES1A_IbLb0EEEEDaS16_S17_EUlS16_E_NS1_11comp_targetILNS1_3genE10ELNS1_11target_archE1200ELNS1_3gpuE4ELNS1_3repE0EEENS1_30default_config_static_selectorELNS0_4arch9wavefront6targetE0EEEvT1_,comdat
	.protected	_ZN7rocprim17ROCPRIM_400000_NS6detail17trampoline_kernelINS0_14default_configENS1_25partition_config_selectorILNS1_17partition_subalgoE5EdNS0_10empty_typeEbEEZZNS1_14partition_implILS5_5ELb0ES3_mN6thrust23THRUST_200600_302600_NS6detail15normal_iteratorINSA_10device_ptrIdEEEEPS6_NSA_18transform_iteratorINSB_9not_fun_tINSA_8identityIdEEEESF_NSA_11use_defaultESM_EENS0_5tupleIJSF_S6_EEENSO_IJSG_SG_EEES6_PlJS6_EEE10hipError_tPvRmT3_T4_T5_T6_T7_T9_mT8_P12ihipStream_tbDpT10_ENKUlT_T0_E_clISt17integral_constantIbLb1EES1A_IbLb0EEEEDaS16_S17_EUlS16_E_NS1_11comp_targetILNS1_3genE10ELNS1_11target_archE1200ELNS1_3gpuE4ELNS1_3repE0EEENS1_30default_config_static_selectorELNS0_4arch9wavefront6targetE0EEEvT1_ ; -- Begin function _ZN7rocprim17ROCPRIM_400000_NS6detail17trampoline_kernelINS0_14default_configENS1_25partition_config_selectorILNS1_17partition_subalgoE5EdNS0_10empty_typeEbEEZZNS1_14partition_implILS5_5ELb0ES3_mN6thrust23THRUST_200600_302600_NS6detail15normal_iteratorINSA_10device_ptrIdEEEEPS6_NSA_18transform_iteratorINSB_9not_fun_tINSA_8identityIdEEEESF_NSA_11use_defaultESM_EENS0_5tupleIJSF_S6_EEENSO_IJSG_SG_EEES6_PlJS6_EEE10hipError_tPvRmT3_T4_T5_T6_T7_T9_mT8_P12ihipStream_tbDpT10_ENKUlT_T0_E_clISt17integral_constantIbLb1EES1A_IbLb0EEEEDaS16_S17_EUlS16_E_NS1_11comp_targetILNS1_3genE10ELNS1_11target_archE1200ELNS1_3gpuE4ELNS1_3repE0EEENS1_30default_config_static_selectorELNS0_4arch9wavefront6targetE0EEEvT1_
	.globl	_ZN7rocprim17ROCPRIM_400000_NS6detail17trampoline_kernelINS0_14default_configENS1_25partition_config_selectorILNS1_17partition_subalgoE5EdNS0_10empty_typeEbEEZZNS1_14partition_implILS5_5ELb0ES3_mN6thrust23THRUST_200600_302600_NS6detail15normal_iteratorINSA_10device_ptrIdEEEEPS6_NSA_18transform_iteratorINSB_9not_fun_tINSA_8identityIdEEEESF_NSA_11use_defaultESM_EENS0_5tupleIJSF_S6_EEENSO_IJSG_SG_EEES6_PlJS6_EEE10hipError_tPvRmT3_T4_T5_T6_T7_T9_mT8_P12ihipStream_tbDpT10_ENKUlT_T0_E_clISt17integral_constantIbLb1EES1A_IbLb0EEEEDaS16_S17_EUlS16_E_NS1_11comp_targetILNS1_3genE10ELNS1_11target_archE1200ELNS1_3gpuE4ELNS1_3repE0EEENS1_30default_config_static_selectorELNS0_4arch9wavefront6targetE0EEEvT1_
	.p2align	8
	.type	_ZN7rocprim17ROCPRIM_400000_NS6detail17trampoline_kernelINS0_14default_configENS1_25partition_config_selectorILNS1_17partition_subalgoE5EdNS0_10empty_typeEbEEZZNS1_14partition_implILS5_5ELb0ES3_mN6thrust23THRUST_200600_302600_NS6detail15normal_iteratorINSA_10device_ptrIdEEEEPS6_NSA_18transform_iteratorINSB_9not_fun_tINSA_8identityIdEEEESF_NSA_11use_defaultESM_EENS0_5tupleIJSF_S6_EEENSO_IJSG_SG_EEES6_PlJS6_EEE10hipError_tPvRmT3_T4_T5_T6_T7_T9_mT8_P12ihipStream_tbDpT10_ENKUlT_T0_E_clISt17integral_constantIbLb1EES1A_IbLb0EEEEDaS16_S17_EUlS16_E_NS1_11comp_targetILNS1_3genE10ELNS1_11target_archE1200ELNS1_3gpuE4ELNS1_3repE0EEENS1_30default_config_static_selectorELNS0_4arch9wavefront6targetE0EEEvT1_,@function
_ZN7rocprim17ROCPRIM_400000_NS6detail17trampoline_kernelINS0_14default_configENS1_25partition_config_selectorILNS1_17partition_subalgoE5EdNS0_10empty_typeEbEEZZNS1_14partition_implILS5_5ELb0ES3_mN6thrust23THRUST_200600_302600_NS6detail15normal_iteratorINSA_10device_ptrIdEEEEPS6_NSA_18transform_iteratorINSB_9not_fun_tINSA_8identityIdEEEESF_NSA_11use_defaultESM_EENS0_5tupleIJSF_S6_EEENSO_IJSG_SG_EEES6_PlJS6_EEE10hipError_tPvRmT3_T4_T5_T6_T7_T9_mT8_P12ihipStream_tbDpT10_ENKUlT_T0_E_clISt17integral_constantIbLb1EES1A_IbLb0EEEEDaS16_S17_EUlS16_E_NS1_11comp_targetILNS1_3genE10ELNS1_11target_archE1200ELNS1_3gpuE4ELNS1_3repE0EEENS1_30default_config_static_selectorELNS0_4arch9wavefront6targetE0EEEvT1_: ; @_ZN7rocprim17ROCPRIM_400000_NS6detail17trampoline_kernelINS0_14default_configENS1_25partition_config_selectorILNS1_17partition_subalgoE5EdNS0_10empty_typeEbEEZZNS1_14partition_implILS5_5ELb0ES3_mN6thrust23THRUST_200600_302600_NS6detail15normal_iteratorINSA_10device_ptrIdEEEEPS6_NSA_18transform_iteratorINSB_9not_fun_tINSA_8identityIdEEEESF_NSA_11use_defaultESM_EENS0_5tupleIJSF_S6_EEENSO_IJSG_SG_EEES6_PlJS6_EEE10hipError_tPvRmT3_T4_T5_T6_T7_T9_mT8_P12ihipStream_tbDpT10_ENKUlT_T0_E_clISt17integral_constantIbLb1EES1A_IbLb0EEEEDaS16_S17_EUlS16_E_NS1_11comp_targetILNS1_3genE10ELNS1_11target_archE1200ELNS1_3gpuE4ELNS1_3repE0EEENS1_30default_config_static_selectorELNS0_4arch9wavefront6targetE0EEEvT1_
; %bb.0:
	s_endpgm
	.section	.rodata,"a",@progbits
	.p2align	6, 0x0
	.amdhsa_kernel _ZN7rocprim17ROCPRIM_400000_NS6detail17trampoline_kernelINS0_14default_configENS1_25partition_config_selectorILNS1_17partition_subalgoE5EdNS0_10empty_typeEbEEZZNS1_14partition_implILS5_5ELb0ES3_mN6thrust23THRUST_200600_302600_NS6detail15normal_iteratorINSA_10device_ptrIdEEEEPS6_NSA_18transform_iteratorINSB_9not_fun_tINSA_8identityIdEEEESF_NSA_11use_defaultESM_EENS0_5tupleIJSF_S6_EEENSO_IJSG_SG_EEES6_PlJS6_EEE10hipError_tPvRmT3_T4_T5_T6_T7_T9_mT8_P12ihipStream_tbDpT10_ENKUlT_T0_E_clISt17integral_constantIbLb1EES1A_IbLb0EEEEDaS16_S17_EUlS16_E_NS1_11comp_targetILNS1_3genE10ELNS1_11target_archE1200ELNS1_3gpuE4ELNS1_3repE0EEENS1_30default_config_static_selectorELNS0_4arch9wavefront6targetE0EEEvT1_
		.amdhsa_group_segment_fixed_size 0
		.amdhsa_private_segment_fixed_size 0
		.amdhsa_kernarg_size 120
		.amdhsa_user_sgpr_count 2
		.amdhsa_user_sgpr_dispatch_ptr 0
		.amdhsa_user_sgpr_queue_ptr 0
		.amdhsa_user_sgpr_kernarg_segment_ptr 1
		.amdhsa_user_sgpr_dispatch_id 0
		.amdhsa_user_sgpr_private_segment_size 0
		.amdhsa_wavefront_size32 1
		.amdhsa_uses_dynamic_stack 0
		.amdhsa_enable_private_segment 0
		.amdhsa_system_sgpr_workgroup_id_x 1
		.amdhsa_system_sgpr_workgroup_id_y 0
		.amdhsa_system_sgpr_workgroup_id_z 0
		.amdhsa_system_sgpr_workgroup_info 0
		.amdhsa_system_vgpr_workitem_id 0
		.amdhsa_next_free_vgpr 1
		.amdhsa_next_free_sgpr 1
		.amdhsa_reserve_vcc 0
		.amdhsa_float_round_mode_32 0
		.amdhsa_float_round_mode_16_64 0
		.amdhsa_float_denorm_mode_32 3
		.amdhsa_float_denorm_mode_16_64 3
		.amdhsa_fp16_overflow 0
		.amdhsa_workgroup_processor_mode 1
		.amdhsa_memory_ordered 1
		.amdhsa_forward_progress 1
		.amdhsa_inst_pref_size 1
		.amdhsa_round_robin_scheduling 0
		.amdhsa_exception_fp_ieee_invalid_op 0
		.amdhsa_exception_fp_denorm_src 0
		.amdhsa_exception_fp_ieee_div_zero 0
		.amdhsa_exception_fp_ieee_overflow 0
		.amdhsa_exception_fp_ieee_underflow 0
		.amdhsa_exception_fp_ieee_inexact 0
		.amdhsa_exception_int_div_zero 0
	.end_amdhsa_kernel
	.section	.text._ZN7rocprim17ROCPRIM_400000_NS6detail17trampoline_kernelINS0_14default_configENS1_25partition_config_selectorILNS1_17partition_subalgoE5EdNS0_10empty_typeEbEEZZNS1_14partition_implILS5_5ELb0ES3_mN6thrust23THRUST_200600_302600_NS6detail15normal_iteratorINSA_10device_ptrIdEEEEPS6_NSA_18transform_iteratorINSB_9not_fun_tINSA_8identityIdEEEESF_NSA_11use_defaultESM_EENS0_5tupleIJSF_S6_EEENSO_IJSG_SG_EEES6_PlJS6_EEE10hipError_tPvRmT3_T4_T5_T6_T7_T9_mT8_P12ihipStream_tbDpT10_ENKUlT_T0_E_clISt17integral_constantIbLb1EES1A_IbLb0EEEEDaS16_S17_EUlS16_E_NS1_11comp_targetILNS1_3genE10ELNS1_11target_archE1200ELNS1_3gpuE4ELNS1_3repE0EEENS1_30default_config_static_selectorELNS0_4arch9wavefront6targetE0EEEvT1_,"axG",@progbits,_ZN7rocprim17ROCPRIM_400000_NS6detail17trampoline_kernelINS0_14default_configENS1_25partition_config_selectorILNS1_17partition_subalgoE5EdNS0_10empty_typeEbEEZZNS1_14partition_implILS5_5ELb0ES3_mN6thrust23THRUST_200600_302600_NS6detail15normal_iteratorINSA_10device_ptrIdEEEEPS6_NSA_18transform_iteratorINSB_9not_fun_tINSA_8identityIdEEEESF_NSA_11use_defaultESM_EENS0_5tupleIJSF_S6_EEENSO_IJSG_SG_EEES6_PlJS6_EEE10hipError_tPvRmT3_T4_T5_T6_T7_T9_mT8_P12ihipStream_tbDpT10_ENKUlT_T0_E_clISt17integral_constantIbLb1EES1A_IbLb0EEEEDaS16_S17_EUlS16_E_NS1_11comp_targetILNS1_3genE10ELNS1_11target_archE1200ELNS1_3gpuE4ELNS1_3repE0EEENS1_30default_config_static_selectorELNS0_4arch9wavefront6targetE0EEEvT1_,comdat
.Lfunc_end810:
	.size	_ZN7rocprim17ROCPRIM_400000_NS6detail17trampoline_kernelINS0_14default_configENS1_25partition_config_selectorILNS1_17partition_subalgoE5EdNS0_10empty_typeEbEEZZNS1_14partition_implILS5_5ELb0ES3_mN6thrust23THRUST_200600_302600_NS6detail15normal_iteratorINSA_10device_ptrIdEEEEPS6_NSA_18transform_iteratorINSB_9not_fun_tINSA_8identityIdEEEESF_NSA_11use_defaultESM_EENS0_5tupleIJSF_S6_EEENSO_IJSG_SG_EEES6_PlJS6_EEE10hipError_tPvRmT3_T4_T5_T6_T7_T9_mT8_P12ihipStream_tbDpT10_ENKUlT_T0_E_clISt17integral_constantIbLb1EES1A_IbLb0EEEEDaS16_S17_EUlS16_E_NS1_11comp_targetILNS1_3genE10ELNS1_11target_archE1200ELNS1_3gpuE4ELNS1_3repE0EEENS1_30default_config_static_selectorELNS0_4arch9wavefront6targetE0EEEvT1_, .Lfunc_end810-_ZN7rocprim17ROCPRIM_400000_NS6detail17trampoline_kernelINS0_14default_configENS1_25partition_config_selectorILNS1_17partition_subalgoE5EdNS0_10empty_typeEbEEZZNS1_14partition_implILS5_5ELb0ES3_mN6thrust23THRUST_200600_302600_NS6detail15normal_iteratorINSA_10device_ptrIdEEEEPS6_NSA_18transform_iteratorINSB_9not_fun_tINSA_8identityIdEEEESF_NSA_11use_defaultESM_EENS0_5tupleIJSF_S6_EEENSO_IJSG_SG_EEES6_PlJS6_EEE10hipError_tPvRmT3_T4_T5_T6_T7_T9_mT8_P12ihipStream_tbDpT10_ENKUlT_T0_E_clISt17integral_constantIbLb1EES1A_IbLb0EEEEDaS16_S17_EUlS16_E_NS1_11comp_targetILNS1_3genE10ELNS1_11target_archE1200ELNS1_3gpuE4ELNS1_3repE0EEENS1_30default_config_static_selectorELNS0_4arch9wavefront6targetE0EEEvT1_
                                        ; -- End function
	.set _ZN7rocprim17ROCPRIM_400000_NS6detail17trampoline_kernelINS0_14default_configENS1_25partition_config_selectorILNS1_17partition_subalgoE5EdNS0_10empty_typeEbEEZZNS1_14partition_implILS5_5ELb0ES3_mN6thrust23THRUST_200600_302600_NS6detail15normal_iteratorINSA_10device_ptrIdEEEEPS6_NSA_18transform_iteratorINSB_9not_fun_tINSA_8identityIdEEEESF_NSA_11use_defaultESM_EENS0_5tupleIJSF_S6_EEENSO_IJSG_SG_EEES6_PlJS6_EEE10hipError_tPvRmT3_T4_T5_T6_T7_T9_mT8_P12ihipStream_tbDpT10_ENKUlT_T0_E_clISt17integral_constantIbLb1EES1A_IbLb0EEEEDaS16_S17_EUlS16_E_NS1_11comp_targetILNS1_3genE10ELNS1_11target_archE1200ELNS1_3gpuE4ELNS1_3repE0EEENS1_30default_config_static_selectorELNS0_4arch9wavefront6targetE0EEEvT1_.num_vgpr, 0
	.set _ZN7rocprim17ROCPRIM_400000_NS6detail17trampoline_kernelINS0_14default_configENS1_25partition_config_selectorILNS1_17partition_subalgoE5EdNS0_10empty_typeEbEEZZNS1_14partition_implILS5_5ELb0ES3_mN6thrust23THRUST_200600_302600_NS6detail15normal_iteratorINSA_10device_ptrIdEEEEPS6_NSA_18transform_iteratorINSB_9not_fun_tINSA_8identityIdEEEESF_NSA_11use_defaultESM_EENS0_5tupleIJSF_S6_EEENSO_IJSG_SG_EEES6_PlJS6_EEE10hipError_tPvRmT3_T4_T5_T6_T7_T9_mT8_P12ihipStream_tbDpT10_ENKUlT_T0_E_clISt17integral_constantIbLb1EES1A_IbLb0EEEEDaS16_S17_EUlS16_E_NS1_11comp_targetILNS1_3genE10ELNS1_11target_archE1200ELNS1_3gpuE4ELNS1_3repE0EEENS1_30default_config_static_selectorELNS0_4arch9wavefront6targetE0EEEvT1_.num_agpr, 0
	.set _ZN7rocprim17ROCPRIM_400000_NS6detail17trampoline_kernelINS0_14default_configENS1_25partition_config_selectorILNS1_17partition_subalgoE5EdNS0_10empty_typeEbEEZZNS1_14partition_implILS5_5ELb0ES3_mN6thrust23THRUST_200600_302600_NS6detail15normal_iteratorINSA_10device_ptrIdEEEEPS6_NSA_18transform_iteratorINSB_9not_fun_tINSA_8identityIdEEEESF_NSA_11use_defaultESM_EENS0_5tupleIJSF_S6_EEENSO_IJSG_SG_EEES6_PlJS6_EEE10hipError_tPvRmT3_T4_T5_T6_T7_T9_mT8_P12ihipStream_tbDpT10_ENKUlT_T0_E_clISt17integral_constantIbLb1EES1A_IbLb0EEEEDaS16_S17_EUlS16_E_NS1_11comp_targetILNS1_3genE10ELNS1_11target_archE1200ELNS1_3gpuE4ELNS1_3repE0EEENS1_30default_config_static_selectorELNS0_4arch9wavefront6targetE0EEEvT1_.numbered_sgpr, 0
	.set _ZN7rocprim17ROCPRIM_400000_NS6detail17trampoline_kernelINS0_14default_configENS1_25partition_config_selectorILNS1_17partition_subalgoE5EdNS0_10empty_typeEbEEZZNS1_14partition_implILS5_5ELb0ES3_mN6thrust23THRUST_200600_302600_NS6detail15normal_iteratorINSA_10device_ptrIdEEEEPS6_NSA_18transform_iteratorINSB_9not_fun_tINSA_8identityIdEEEESF_NSA_11use_defaultESM_EENS0_5tupleIJSF_S6_EEENSO_IJSG_SG_EEES6_PlJS6_EEE10hipError_tPvRmT3_T4_T5_T6_T7_T9_mT8_P12ihipStream_tbDpT10_ENKUlT_T0_E_clISt17integral_constantIbLb1EES1A_IbLb0EEEEDaS16_S17_EUlS16_E_NS1_11comp_targetILNS1_3genE10ELNS1_11target_archE1200ELNS1_3gpuE4ELNS1_3repE0EEENS1_30default_config_static_selectorELNS0_4arch9wavefront6targetE0EEEvT1_.num_named_barrier, 0
	.set _ZN7rocprim17ROCPRIM_400000_NS6detail17trampoline_kernelINS0_14default_configENS1_25partition_config_selectorILNS1_17partition_subalgoE5EdNS0_10empty_typeEbEEZZNS1_14partition_implILS5_5ELb0ES3_mN6thrust23THRUST_200600_302600_NS6detail15normal_iteratorINSA_10device_ptrIdEEEEPS6_NSA_18transform_iteratorINSB_9not_fun_tINSA_8identityIdEEEESF_NSA_11use_defaultESM_EENS0_5tupleIJSF_S6_EEENSO_IJSG_SG_EEES6_PlJS6_EEE10hipError_tPvRmT3_T4_T5_T6_T7_T9_mT8_P12ihipStream_tbDpT10_ENKUlT_T0_E_clISt17integral_constantIbLb1EES1A_IbLb0EEEEDaS16_S17_EUlS16_E_NS1_11comp_targetILNS1_3genE10ELNS1_11target_archE1200ELNS1_3gpuE4ELNS1_3repE0EEENS1_30default_config_static_selectorELNS0_4arch9wavefront6targetE0EEEvT1_.private_seg_size, 0
	.set _ZN7rocprim17ROCPRIM_400000_NS6detail17trampoline_kernelINS0_14default_configENS1_25partition_config_selectorILNS1_17partition_subalgoE5EdNS0_10empty_typeEbEEZZNS1_14partition_implILS5_5ELb0ES3_mN6thrust23THRUST_200600_302600_NS6detail15normal_iteratorINSA_10device_ptrIdEEEEPS6_NSA_18transform_iteratorINSB_9not_fun_tINSA_8identityIdEEEESF_NSA_11use_defaultESM_EENS0_5tupleIJSF_S6_EEENSO_IJSG_SG_EEES6_PlJS6_EEE10hipError_tPvRmT3_T4_T5_T6_T7_T9_mT8_P12ihipStream_tbDpT10_ENKUlT_T0_E_clISt17integral_constantIbLb1EES1A_IbLb0EEEEDaS16_S17_EUlS16_E_NS1_11comp_targetILNS1_3genE10ELNS1_11target_archE1200ELNS1_3gpuE4ELNS1_3repE0EEENS1_30default_config_static_selectorELNS0_4arch9wavefront6targetE0EEEvT1_.uses_vcc, 0
	.set _ZN7rocprim17ROCPRIM_400000_NS6detail17trampoline_kernelINS0_14default_configENS1_25partition_config_selectorILNS1_17partition_subalgoE5EdNS0_10empty_typeEbEEZZNS1_14partition_implILS5_5ELb0ES3_mN6thrust23THRUST_200600_302600_NS6detail15normal_iteratorINSA_10device_ptrIdEEEEPS6_NSA_18transform_iteratorINSB_9not_fun_tINSA_8identityIdEEEESF_NSA_11use_defaultESM_EENS0_5tupleIJSF_S6_EEENSO_IJSG_SG_EEES6_PlJS6_EEE10hipError_tPvRmT3_T4_T5_T6_T7_T9_mT8_P12ihipStream_tbDpT10_ENKUlT_T0_E_clISt17integral_constantIbLb1EES1A_IbLb0EEEEDaS16_S17_EUlS16_E_NS1_11comp_targetILNS1_3genE10ELNS1_11target_archE1200ELNS1_3gpuE4ELNS1_3repE0EEENS1_30default_config_static_selectorELNS0_4arch9wavefront6targetE0EEEvT1_.uses_flat_scratch, 0
	.set _ZN7rocprim17ROCPRIM_400000_NS6detail17trampoline_kernelINS0_14default_configENS1_25partition_config_selectorILNS1_17partition_subalgoE5EdNS0_10empty_typeEbEEZZNS1_14partition_implILS5_5ELb0ES3_mN6thrust23THRUST_200600_302600_NS6detail15normal_iteratorINSA_10device_ptrIdEEEEPS6_NSA_18transform_iteratorINSB_9not_fun_tINSA_8identityIdEEEESF_NSA_11use_defaultESM_EENS0_5tupleIJSF_S6_EEENSO_IJSG_SG_EEES6_PlJS6_EEE10hipError_tPvRmT3_T4_T5_T6_T7_T9_mT8_P12ihipStream_tbDpT10_ENKUlT_T0_E_clISt17integral_constantIbLb1EES1A_IbLb0EEEEDaS16_S17_EUlS16_E_NS1_11comp_targetILNS1_3genE10ELNS1_11target_archE1200ELNS1_3gpuE4ELNS1_3repE0EEENS1_30default_config_static_selectorELNS0_4arch9wavefront6targetE0EEEvT1_.has_dyn_sized_stack, 0
	.set _ZN7rocprim17ROCPRIM_400000_NS6detail17trampoline_kernelINS0_14default_configENS1_25partition_config_selectorILNS1_17partition_subalgoE5EdNS0_10empty_typeEbEEZZNS1_14partition_implILS5_5ELb0ES3_mN6thrust23THRUST_200600_302600_NS6detail15normal_iteratorINSA_10device_ptrIdEEEEPS6_NSA_18transform_iteratorINSB_9not_fun_tINSA_8identityIdEEEESF_NSA_11use_defaultESM_EENS0_5tupleIJSF_S6_EEENSO_IJSG_SG_EEES6_PlJS6_EEE10hipError_tPvRmT3_T4_T5_T6_T7_T9_mT8_P12ihipStream_tbDpT10_ENKUlT_T0_E_clISt17integral_constantIbLb1EES1A_IbLb0EEEEDaS16_S17_EUlS16_E_NS1_11comp_targetILNS1_3genE10ELNS1_11target_archE1200ELNS1_3gpuE4ELNS1_3repE0EEENS1_30default_config_static_selectorELNS0_4arch9wavefront6targetE0EEEvT1_.has_recursion, 0
	.set _ZN7rocprim17ROCPRIM_400000_NS6detail17trampoline_kernelINS0_14default_configENS1_25partition_config_selectorILNS1_17partition_subalgoE5EdNS0_10empty_typeEbEEZZNS1_14partition_implILS5_5ELb0ES3_mN6thrust23THRUST_200600_302600_NS6detail15normal_iteratorINSA_10device_ptrIdEEEEPS6_NSA_18transform_iteratorINSB_9not_fun_tINSA_8identityIdEEEESF_NSA_11use_defaultESM_EENS0_5tupleIJSF_S6_EEENSO_IJSG_SG_EEES6_PlJS6_EEE10hipError_tPvRmT3_T4_T5_T6_T7_T9_mT8_P12ihipStream_tbDpT10_ENKUlT_T0_E_clISt17integral_constantIbLb1EES1A_IbLb0EEEEDaS16_S17_EUlS16_E_NS1_11comp_targetILNS1_3genE10ELNS1_11target_archE1200ELNS1_3gpuE4ELNS1_3repE0EEENS1_30default_config_static_selectorELNS0_4arch9wavefront6targetE0EEEvT1_.has_indirect_call, 0
	.section	.AMDGPU.csdata,"",@progbits
; Kernel info:
; codeLenInByte = 4
; TotalNumSgprs: 0
; NumVgprs: 0
; ScratchSize: 0
; MemoryBound: 0
; FloatMode: 240
; IeeeMode: 1
; LDSByteSize: 0 bytes/workgroup (compile time only)
; SGPRBlocks: 0
; VGPRBlocks: 0
; NumSGPRsForWavesPerEU: 1
; NumVGPRsForWavesPerEU: 1
; Occupancy: 16
; WaveLimiterHint : 0
; COMPUTE_PGM_RSRC2:SCRATCH_EN: 0
; COMPUTE_PGM_RSRC2:USER_SGPR: 2
; COMPUTE_PGM_RSRC2:TRAP_HANDLER: 0
; COMPUTE_PGM_RSRC2:TGID_X_EN: 1
; COMPUTE_PGM_RSRC2:TGID_Y_EN: 0
; COMPUTE_PGM_RSRC2:TGID_Z_EN: 0
; COMPUTE_PGM_RSRC2:TIDIG_COMP_CNT: 0
	.section	.text._ZN7rocprim17ROCPRIM_400000_NS6detail17trampoline_kernelINS0_14default_configENS1_25partition_config_selectorILNS1_17partition_subalgoE5EdNS0_10empty_typeEbEEZZNS1_14partition_implILS5_5ELb0ES3_mN6thrust23THRUST_200600_302600_NS6detail15normal_iteratorINSA_10device_ptrIdEEEEPS6_NSA_18transform_iteratorINSB_9not_fun_tINSA_8identityIdEEEESF_NSA_11use_defaultESM_EENS0_5tupleIJSF_S6_EEENSO_IJSG_SG_EEES6_PlJS6_EEE10hipError_tPvRmT3_T4_T5_T6_T7_T9_mT8_P12ihipStream_tbDpT10_ENKUlT_T0_E_clISt17integral_constantIbLb1EES1A_IbLb0EEEEDaS16_S17_EUlS16_E_NS1_11comp_targetILNS1_3genE9ELNS1_11target_archE1100ELNS1_3gpuE3ELNS1_3repE0EEENS1_30default_config_static_selectorELNS0_4arch9wavefront6targetE0EEEvT1_,"axG",@progbits,_ZN7rocprim17ROCPRIM_400000_NS6detail17trampoline_kernelINS0_14default_configENS1_25partition_config_selectorILNS1_17partition_subalgoE5EdNS0_10empty_typeEbEEZZNS1_14partition_implILS5_5ELb0ES3_mN6thrust23THRUST_200600_302600_NS6detail15normal_iteratorINSA_10device_ptrIdEEEEPS6_NSA_18transform_iteratorINSB_9not_fun_tINSA_8identityIdEEEESF_NSA_11use_defaultESM_EENS0_5tupleIJSF_S6_EEENSO_IJSG_SG_EEES6_PlJS6_EEE10hipError_tPvRmT3_T4_T5_T6_T7_T9_mT8_P12ihipStream_tbDpT10_ENKUlT_T0_E_clISt17integral_constantIbLb1EES1A_IbLb0EEEEDaS16_S17_EUlS16_E_NS1_11comp_targetILNS1_3genE9ELNS1_11target_archE1100ELNS1_3gpuE3ELNS1_3repE0EEENS1_30default_config_static_selectorELNS0_4arch9wavefront6targetE0EEEvT1_,comdat
	.protected	_ZN7rocprim17ROCPRIM_400000_NS6detail17trampoline_kernelINS0_14default_configENS1_25partition_config_selectorILNS1_17partition_subalgoE5EdNS0_10empty_typeEbEEZZNS1_14partition_implILS5_5ELb0ES3_mN6thrust23THRUST_200600_302600_NS6detail15normal_iteratorINSA_10device_ptrIdEEEEPS6_NSA_18transform_iteratorINSB_9not_fun_tINSA_8identityIdEEEESF_NSA_11use_defaultESM_EENS0_5tupleIJSF_S6_EEENSO_IJSG_SG_EEES6_PlJS6_EEE10hipError_tPvRmT3_T4_T5_T6_T7_T9_mT8_P12ihipStream_tbDpT10_ENKUlT_T0_E_clISt17integral_constantIbLb1EES1A_IbLb0EEEEDaS16_S17_EUlS16_E_NS1_11comp_targetILNS1_3genE9ELNS1_11target_archE1100ELNS1_3gpuE3ELNS1_3repE0EEENS1_30default_config_static_selectorELNS0_4arch9wavefront6targetE0EEEvT1_ ; -- Begin function _ZN7rocprim17ROCPRIM_400000_NS6detail17trampoline_kernelINS0_14default_configENS1_25partition_config_selectorILNS1_17partition_subalgoE5EdNS0_10empty_typeEbEEZZNS1_14partition_implILS5_5ELb0ES3_mN6thrust23THRUST_200600_302600_NS6detail15normal_iteratorINSA_10device_ptrIdEEEEPS6_NSA_18transform_iteratorINSB_9not_fun_tINSA_8identityIdEEEESF_NSA_11use_defaultESM_EENS0_5tupleIJSF_S6_EEENSO_IJSG_SG_EEES6_PlJS6_EEE10hipError_tPvRmT3_T4_T5_T6_T7_T9_mT8_P12ihipStream_tbDpT10_ENKUlT_T0_E_clISt17integral_constantIbLb1EES1A_IbLb0EEEEDaS16_S17_EUlS16_E_NS1_11comp_targetILNS1_3genE9ELNS1_11target_archE1100ELNS1_3gpuE3ELNS1_3repE0EEENS1_30default_config_static_selectorELNS0_4arch9wavefront6targetE0EEEvT1_
	.globl	_ZN7rocprim17ROCPRIM_400000_NS6detail17trampoline_kernelINS0_14default_configENS1_25partition_config_selectorILNS1_17partition_subalgoE5EdNS0_10empty_typeEbEEZZNS1_14partition_implILS5_5ELb0ES3_mN6thrust23THRUST_200600_302600_NS6detail15normal_iteratorINSA_10device_ptrIdEEEEPS6_NSA_18transform_iteratorINSB_9not_fun_tINSA_8identityIdEEEESF_NSA_11use_defaultESM_EENS0_5tupleIJSF_S6_EEENSO_IJSG_SG_EEES6_PlJS6_EEE10hipError_tPvRmT3_T4_T5_T6_T7_T9_mT8_P12ihipStream_tbDpT10_ENKUlT_T0_E_clISt17integral_constantIbLb1EES1A_IbLb0EEEEDaS16_S17_EUlS16_E_NS1_11comp_targetILNS1_3genE9ELNS1_11target_archE1100ELNS1_3gpuE3ELNS1_3repE0EEENS1_30default_config_static_selectorELNS0_4arch9wavefront6targetE0EEEvT1_
	.p2align	8
	.type	_ZN7rocprim17ROCPRIM_400000_NS6detail17trampoline_kernelINS0_14default_configENS1_25partition_config_selectorILNS1_17partition_subalgoE5EdNS0_10empty_typeEbEEZZNS1_14partition_implILS5_5ELb0ES3_mN6thrust23THRUST_200600_302600_NS6detail15normal_iteratorINSA_10device_ptrIdEEEEPS6_NSA_18transform_iteratorINSB_9not_fun_tINSA_8identityIdEEEESF_NSA_11use_defaultESM_EENS0_5tupleIJSF_S6_EEENSO_IJSG_SG_EEES6_PlJS6_EEE10hipError_tPvRmT3_T4_T5_T6_T7_T9_mT8_P12ihipStream_tbDpT10_ENKUlT_T0_E_clISt17integral_constantIbLb1EES1A_IbLb0EEEEDaS16_S17_EUlS16_E_NS1_11comp_targetILNS1_3genE9ELNS1_11target_archE1100ELNS1_3gpuE3ELNS1_3repE0EEENS1_30default_config_static_selectorELNS0_4arch9wavefront6targetE0EEEvT1_,@function
_ZN7rocprim17ROCPRIM_400000_NS6detail17trampoline_kernelINS0_14default_configENS1_25partition_config_selectorILNS1_17partition_subalgoE5EdNS0_10empty_typeEbEEZZNS1_14partition_implILS5_5ELb0ES3_mN6thrust23THRUST_200600_302600_NS6detail15normal_iteratorINSA_10device_ptrIdEEEEPS6_NSA_18transform_iteratorINSB_9not_fun_tINSA_8identityIdEEEESF_NSA_11use_defaultESM_EENS0_5tupleIJSF_S6_EEENSO_IJSG_SG_EEES6_PlJS6_EEE10hipError_tPvRmT3_T4_T5_T6_T7_T9_mT8_P12ihipStream_tbDpT10_ENKUlT_T0_E_clISt17integral_constantIbLb1EES1A_IbLb0EEEEDaS16_S17_EUlS16_E_NS1_11comp_targetILNS1_3genE9ELNS1_11target_archE1100ELNS1_3gpuE3ELNS1_3repE0EEENS1_30default_config_static_selectorELNS0_4arch9wavefront6targetE0EEEvT1_: ; @_ZN7rocprim17ROCPRIM_400000_NS6detail17trampoline_kernelINS0_14default_configENS1_25partition_config_selectorILNS1_17partition_subalgoE5EdNS0_10empty_typeEbEEZZNS1_14partition_implILS5_5ELb0ES3_mN6thrust23THRUST_200600_302600_NS6detail15normal_iteratorINSA_10device_ptrIdEEEEPS6_NSA_18transform_iteratorINSB_9not_fun_tINSA_8identityIdEEEESF_NSA_11use_defaultESM_EENS0_5tupleIJSF_S6_EEENSO_IJSG_SG_EEES6_PlJS6_EEE10hipError_tPvRmT3_T4_T5_T6_T7_T9_mT8_P12ihipStream_tbDpT10_ENKUlT_T0_E_clISt17integral_constantIbLb1EES1A_IbLb0EEEEDaS16_S17_EUlS16_E_NS1_11comp_targetILNS1_3genE9ELNS1_11target_archE1100ELNS1_3gpuE3ELNS1_3repE0EEENS1_30default_config_static_selectorELNS0_4arch9wavefront6targetE0EEEvT1_
; %bb.0:
	.section	.rodata,"a",@progbits
	.p2align	6, 0x0
	.amdhsa_kernel _ZN7rocprim17ROCPRIM_400000_NS6detail17trampoline_kernelINS0_14default_configENS1_25partition_config_selectorILNS1_17partition_subalgoE5EdNS0_10empty_typeEbEEZZNS1_14partition_implILS5_5ELb0ES3_mN6thrust23THRUST_200600_302600_NS6detail15normal_iteratorINSA_10device_ptrIdEEEEPS6_NSA_18transform_iteratorINSB_9not_fun_tINSA_8identityIdEEEESF_NSA_11use_defaultESM_EENS0_5tupleIJSF_S6_EEENSO_IJSG_SG_EEES6_PlJS6_EEE10hipError_tPvRmT3_T4_T5_T6_T7_T9_mT8_P12ihipStream_tbDpT10_ENKUlT_T0_E_clISt17integral_constantIbLb1EES1A_IbLb0EEEEDaS16_S17_EUlS16_E_NS1_11comp_targetILNS1_3genE9ELNS1_11target_archE1100ELNS1_3gpuE3ELNS1_3repE0EEENS1_30default_config_static_selectorELNS0_4arch9wavefront6targetE0EEEvT1_
		.amdhsa_group_segment_fixed_size 0
		.amdhsa_private_segment_fixed_size 0
		.amdhsa_kernarg_size 120
		.amdhsa_user_sgpr_count 2
		.amdhsa_user_sgpr_dispatch_ptr 0
		.amdhsa_user_sgpr_queue_ptr 0
		.amdhsa_user_sgpr_kernarg_segment_ptr 1
		.amdhsa_user_sgpr_dispatch_id 0
		.amdhsa_user_sgpr_private_segment_size 0
		.amdhsa_wavefront_size32 1
		.amdhsa_uses_dynamic_stack 0
		.amdhsa_enable_private_segment 0
		.amdhsa_system_sgpr_workgroup_id_x 1
		.amdhsa_system_sgpr_workgroup_id_y 0
		.amdhsa_system_sgpr_workgroup_id_z 0
		.amdhsa_system_sgpr_workgroup_info 0
		.amdhsa_system_vgpr_workitem_id 0
		.amdhsa_next_free_vgpr 1
		.amdhsa_next_free_sgpr 1
		.amdhsa_reserve_vcc 0
		.amdhsa_float_round_mode_32 0
		.amdhsa_float_round_mode_16_64 0
		.amdhsa_float_denorm_mode_32 3
		.amdhsa_float_denorm_mode_16_64 3
		.amdhsa_fp16_overflow 0
		.amdhsa_workgroup_processor_mode 1
		.amdhsa_memory_ordered 1
		.amdhsa_forward_progress 1
		.amdhsa_inst_pref_size 0
		.amdhsa_round_robin_scheduling 0
		.amdhsa_exception_fp_ieee_invalid_op 0
		.amdhsa_exception_fp_denorm_src 0
		.amdhsa_exception_fp_ieee_div_zero 0
		.amdhsa_exception_fp_ieee_overflow 0
		.amdhsa_exception_fp_ieee_underflow 0
		.amdhsa_exception_fp_ieee_inexact 0
		.amdhsa_exception_int_div_zero 0
	.end_amdhsa_kernel
	.section	.text._ZN7rocprim17ROCPRIM_400000_NS6detail17trampoline_kernelINS0_14default_configENS1_25partition_config_selectorILNS1_17partition_subalgoE5EdNS0_10empty_typeEbEEZZNS1_14partition_implILS5_5ELb0ES3_mN6thrust23THRUST_200600_302600_NS6detail15normal_iteratorINSA_10device_ptrIdEEEEPS6_NSA_18transform_iteratorINSB_9not_fun_tINSA_8identityIdEEEESF_NSA_11use_defaultESM_EENS0_5tupleIJSF_S6_EEENSO_IJSG_SG_EEES6_PlJS6_EEE10hipError_tPvRmT3_T4_T5_T6_T7_T9_mT8_P12ihipStream_tbDpT10_ENKUlT_T0_E_clISt17integral_constantIbLb1EES1A_IbLb0EEEEDaS16_S17_EUlS16_E_NS1_11comp_targetILNS1_3genE9ELNS1_11target_archE1100ELNS1_3gpuE3ELNS1_3repE0EEENS1_30default_config_static_selectorELNS0_4arch9wavefront6targetE0EEEvT1_,"axG",@progbits,_ZN7rocprim17ROCPRIM_400000_NS6detail17trampoline_kernelINS0_14default_configENS1_25partition_config_selectorILNS1_17partition_subalgoE5EdNS0_10empty_typeEbEEZZNS1_14partition_implILS5_5ELb0ES3_mN6thrust23THRUST_200600_302600_NS6detail15normal_iteratorINSA_10device_ptrIdEEEEPS6_NSA_18transform_iteratorINSB_9not_fun_tINSA_8identityIdEEEESF_NSA_11use_defaultESM_EENS0_5tupleIJSF_S6_EEENSO_IJSG_SG_EEES6_PlJS6_EEE10hipError_tPvRmT3_T4_T5_T6_T7_T9_mT8_P12ihipStream_tbDpT10_ENKUlT_T0_E_clISt17integral_constantIbLb1EES1A_IbLb0EEEEDaS16_S17_EUlS16_E_NS1_11comp_targetILNS1_3genE9ELNS1_11target_archE1100ELNS1_3gpuE3ELNS1_3repE0EEENS1_30default_config_static_selectorELNS0_4arch9wavefront6targetE0EEEvT1_,comdat
.Lfunc_end811:
	.size	_ZN7rocprim17ROCPRIM_400000_NS6detail17trampoline_kernelINS0_14default_configENS1_25partition_config_selectorILNS1_17partition_subalgoE5EdNS0_10empty_typeEbEEZZNS1_14partition_implILS5_5ELb0ES3_mN6thrust23THRUST_200600_302600_NS6detail15normal_iteratorINSA_10device_ptrIdEEEEPS6_NSA_18transform_iteratorINSB_9not_fun_tINSA_8identityIdEEEESF_NSA_11use_defaultESM_EENS0_5tupleIJSF_S6_EEENSO_IJSG_SG_EEES6_PlJS6_EEE10hipError_tPvRmT3_T4_T5_T6_T7_T9_mT8_P12ihipStream_tbDpT10_ENKUlT_T0_E_clISt17integral_constantIbLb1EES1A_IbLb0EEEEDaS16_S17_EUlS16_E_NS1_11comp_targetILNS1_3genE9ELNS1_11target_archE1100ELNS1_3gpuE3ELNS1_3repE0EEENS1_30default_config_static_selectorELNS0_4arch9wavefront6targetE0EEEvT1_, .Lfunc_end811-_ZN7rocprim17ROCPRIM_400000_NS6detail17trampoline_kernelINS0_14default_configENS1_25partition_config_selectorILNS1_17partition_subalgoE5EdNS0_10empty_typeEbEEZZNS1_14partition_implILS5_5ELb0ES3_mN6thrust23THRUST_200600_302600_NS6detail15normal_iteratorINSA_10device_ptrIdEEEEPS6_NSA_18transform_iteratorINSB_9not_fun_tINSA_8identityIdEEEESF_NSA_11use_defaultESM_EENS0_5tupleIJSF_S6_EEENSO_IJSG_SG_EEES6_PlJS6_EEE10hipError_tPvRmT3_T4_T5_T6_T7_T9_mT8_P12ihipStream_tbDpT10_ENKUlT_T0_E_clISt17integral_constantIbLb1EES1A_IbLb0EEEEDaS16_S17_EUlS16_E_NS1_11comp_targetILNS1_3genE9ELNS1_11target_archE1100ELNS1_3gpuE3ELNS1_3repE0EEENS1_30default_config_static_selectorELNS0_4arch9wavefront6targetE0EEEvT1_
                                        ; -- End function
	.set _ZN7rocprim17ROCPRIM_400000_NS6detail17trampoline_kernelINS0_14default_configENS1_25partition_config_selectorILNS1_17partition_subalgoE5EdNS0_10empty_typeEbEEZZNS1_14partition_implILS5_5ELb0ES3_mN6thrust23THRUST_200600_302600_NS6detail15normal_iteratorINSA_10device_ptrIdEEEEPS6_NSA_18transform_iteratorINSB_9not_fun_tINSA_8identityIdEEEESF_NSA_11use_defaultESM_EENS0_5tupleIJSF_S6_EEENSO_IJSG_SG_EEES6_PlJS6_EEE10hipError_tPvRmT3_T4_T5_T6_T7_T9_mT8_P12ihipStream_tbDpT10_ENKUlT_T0_E_clISt17integral_constantIbLb1EES1A_IbLb0EEEEDaS16_S17_EUlS16_E_NS1_11comp_targetILNS1_3genE9ELNS1_11target_archE1100ELNS1_3gpuE3ELNS1_3repE0EEENS1_30default_config_static_selectorELNS0_4arch9wavefront6targetE0EEEvT1_.num_vgpr, 0
	.set _ZN7rocprim17ROCPRIM_400000_NS6detail17trampoline_kernelINS0_14default_configENS1_25partition_config_selectorILNS1_17partition_subalgoE5EdNS0_10empty_typeEbEEZZNS1_14partition_implILS5_5ELb0ES3_mN6thrust23THRUST_200600_302600_NS6detail15normal_iteratorINSA_10device_ptrIdEEEEPS6_NSA_18transform_iteratorINSB_9not_fun_tINSA_8identityIdEEEESF_NSA_11use_defaultESM_EENS0_5tupleIJSF_S6_EEENSO_IJSG_SG_EEES6_PlJS6_EEE10hipError_tPvRmT3_T4_T5_T6_T7_T9_mT8_P12ihipStream_tbDpT10_ENKUlT_T0_E_clISt17integral_constantIbLb1EES1A_IbLb0EEEEDaS16_S17_EUlS16_E_NS1_11comp_targetILNS1_3genE9ELNS1_11target_archE1100ELNS1_3gpuE3ELNS1_3repE0EEENS1_30default_config_static_selectorELNS0_4arch9wavefront6targetE0EEEvT1_.num_agpr, 0
	.set _ZN7rocprim17ROCPRIM_400000_NS6detail17trampoline_kernelINS0_14default_configENS1_25partition_config_selectorILNS1_17partition_subalgoE5EdNS0_10empty_typeEbEEZZNS1_14partition_implILS5_5ELb0ES3_mN6thrust23THRUST_200600_302600_NS6detail15normal_iteratorINSA_10device_ptrIdEEEEPS6_NSA_18transform_iteratorINSB_9not_fun_tINSA_8identityIdEEEESF_NSA_11use_defaultESM_EENS0_5tupleIJSF_S6_EEENSO_IJSG_SG_EEES6_PlJS6_EEE10hipError_tPvRmT3_T4_T5_T6_T7_T9_mT8_P12ihipStream_tbDpT10_ENKUlT_T0_E_clISt17integral_constantIbLb1EES1A_IbLb0EEEEDaS16_S17_EUlS16_E_NS1_11comp_targetILNS1_3genE9ELNS1_11target_archE1100ELNS1_3gpuE3ELNS1_3repE0EEENS1_30default_config_static_selectorELNS0_4arch9wavefront6targetE0EEEvT1_.numbered_sgpr, 0
	.set _ZN7rocprim17ROCPRIM_400000_NS6detail17trampoline_kernelINS0_14default_configENS1_25partition_config_selectorILNS1_17partition_subalgoE5EdNS0_10empty_typeEbEEZZNS1_14partition_implILS5_5ELb0ES3_mN6thrust23THRUST_200600_302600_NS6detail15normal_iteratorINSA_10device_ptrIdEEEEPS6_NSA_18transform_iteratorINSB_9not_fun_tINSA_8identityIdEEEESF_NSA_11use_defaultESM_EENS0_5tupleIJSF_S6_EEENSO_IJSG_SG_EEES6_PlJS6_EEE10hipError_tPvRmT3_T4_T5_T6_T7_T9_mT8_P12ihipStream_tbDpT10_ENKUlT_T0_E_clISt17integral_constantIbLb1EES1A_IbLb0EEEEDaS16_S17_EUlS16_E_NS1_11comp_targetILNS1_3genE9ELNS1_11target_archE1100ELNS1_3gpuE3ELNS1_3repE0EEENS1_30default_config_static_selectorELNS0_4arch9wavefront6targetE0EEEvT1_.num_named_barrier, 0
	.set _ZN7rocprim17ROCPRIM_400000_NS6detail17trampoline_kernelINS0_14default_configENS1_25partition_config_selectorILNS1_17partition_subalgoE5EdNS0_10empty_typeEbEEZZNS1_14partition_implILS5_5ELb0ES3_mN6thrust23THRUST_200600_302600_NS6detail15normal_iteratorINSA_10device_ptrIdEEEEPS6_NSA_18transform_iteratorINSB_9not_fun_tINSA_8identityIdEEEESF_NSA_11use_defaultESM_EENS0_5tupleIJSF_S6_EEENSO_IJSG_SG_EEES6_PlJS6_EEE10hipError_tPvRmT3_T4_T5_T6_T7_T9_mT8_P12ihipStream_tbDpT10_ENKUlT_T0_E_clISt17integral_constantIbLb1EES1A_IbLb0EEEEDaS16_S17_EUlS16_E_NS1_11comp_targetILNS1_3genE9ELNS1_11target_archE1100ELNS1_3gpuE3ELNS1_3repE0EEENS1_30default_config_static_selectorELNS0_4arch9wavefront6targetE0EEEvT1_.private_seg_size, 0
	.set _ZN7rocprim17ROCPRIM_400000_NS6detail17trampoline_kernelINS0_14default_configENS1_25partition_config_selectorILNS1_17partition_subalgoE5EdNS0_10empty_typeEbEEZZNS1_14partition_implILS5_5ELb0ES3_mN6thrust23THRUST_200600_302600_NS6detail15normal_iteratorINSA_10device_ptrIdEEEEPS6_NSA_18transform_iteratorINSB_9not_fun_tINSA_8identityIdEEEESF_NSA_11use_defaultESM_EENS0_5tupleIJSF_S6_EEENSO_IJSG_SG_EEES6_PlJS6_EEE10hipError_tPvRmT3_T4_T5_T6_T7_T9_mT8_P12ihipStream_tbDpT10_ENKUlT_T0_E_clISt17integral_constantIbLb1EES1A_IbLb0EEEEDaS16_S17_EUlS16_E_NS1_11comp_targetILNS1_3genE9ELNS1_11target_archE1100ELNS1_3gpuE3ELNS1_3repE0EEENS1_30default_config_static_selectorELNS0_4arch9wavefront6targetE0EEEvT1_.uses_vcc, 0
	.set _ZN7rocprim17ROCPRIM_400000_NS6detail17trampoline_kernelINS0_14default_configENS1_25partition_config_selectorILNS1_17partition_subalgoE5EdNS0_10empty_typeEbEEZZNS1_14partition_implILS5_5ELb0ES3_mN6thrust23THRUST_200600_302600_NS6detail15normal_iteratorINSA_10device_ptrIdEEEEPS6_NSA_18transform_iteratorINSB_9not_fun_tINSA_8identityIdEEEESF_NSA_11use_defaultESM_EENS0_5tupleIJSF_S6_EEENSO_IJSG_SG_EEES6_PlJS6_EEE10hipError_tPvRmT3_T4_T5_T6_T7_T9_mT8_P12ihipStream_tbDpT10_ENKUlT_T0_E_clISt17integral_constantIbLb1EES1A_IbLb0EEEEDaS16_S17_EUlS16_E_NS1_11comp_targetILNS1_3genE9ELNS1_11target_archE1100ELNS1_3gpuE3ELNS1_3repE0EEENS1_30default_config_static_selectorELNS0_4arch9wavefront6targetE0EEEvT1_.uses_flat_scratch, 0
	.set _ZN7rocprim17ROCPRIM_400000_NS6detail17trampoline_kernelINS0_14default_configENS1_25partition_config_selectorILNS1_17partition_subalgoE5EdNS0_10empty_typeEbEEZZNS1_14partition_implILS5_5ELb0ES3_mN6thrust23THRUST_200600_302600_NS6detail15normal_iteratorINSA_10device_ptrIdEEEEPS6_NSA_18transform_iteratorINSB_9not_fun_tINSA_8identityIdEEEESF_NSA_11use_defaultESM_EENS0_5tupleIJSF_S6_EEENSO_IJSG_SG_EEES6_PlJS6_EEE10hipError_tPvRmT3_T4_T5_T6_T7_T9_mT8_P12ihipStream_tbDpT10_ENKUlT_T0_E_clISt17integral_constantIbLb1EES1A_IbLb0EEEEDaS16_S17_EUlS16_E_NS1_11comp_targetILNS1_3genE9ELNS1_11target_archE1100ELNS1_3gpuE3ELNS1_3repE0EEENS1_30default_config_static_selectorELNS0_4arch9wavefront6targetE0EEEvT1_.has_dyn_sized_stack, 0
	.set _ZN7rocprim17ROCPRIM_400000_NS6detail17trampoline_kernelINS0_14default_configENS1_25partition_config_selectorILNS1_17partition_subalgoE5EdNS0_10empty_typeEbEEZZNS1_14partition_implILS5_5ELb0ES3_mN6thrust23THRUST_200600_302600_NS6detail15normal_iteratorINSA_10device_ptrIdEEEEPS6_NSA_18transform_iteratorINSB_9not_fun_tINSA_8identityIdEEEESF_NSA_11use_defaultESM_EENS0_5tupleIJSF_S6_EEENSO_IJSG_SG_EEES6_PlJS6_EEE10hipError_tPvRmT3_T4_T5_T6_T7_T9_mT8_P12ihipStream_tbDpT10_ENKUlT_T0_E_clISt17integral_constantIbLb1EES1A_IbLb0EEEEDaS16_S17_EUlS16_E_NS1_11comp_targetILNS1_3genE9ELNS1_11target_archE1100ELNS1_3gpuE3ELNS1_3repE0EEENS1_30default_config_static_selectorELNS0_4arch9wavefront6targetE0EEEvT1_.has_recursion, 0
	.set _ZN7rocprim17ROCPRIM_400000_NS6detail17trampoline_kernelINS0_14default_configENS1_25partition_config_selectorILNS1_17partition_subalgoE5EdNS0_10empty_typeEbEEZZNS1_14partition_implILS5_5ELb0ES3_mN6thrust23THRUST_200600_302600_NS6detail15normal_iteratorINSA_10device_ptrIdEEEEPS6_NSA_18transform_iteratorINSB_9not_fun_tINSA_8identityIdEEEESF_NSA_11use_defaultESM_EENS0_5tupleIJSF_S6_EEENSO_IJSG_SG_EEES6_PlJS6_EEE10hipError_tPvRmT3_T4_T5_T6_T7_T9_mT8_P12ihipStream_tbDpT10_ENKUlT_T0_E_clISt17integral_constantIbLb1EES1A_IbLb0EEEEDaS16_S17_EUlS16_E_NS1_11comp_targetILNS1_3genE9ELNS1_11target_archE1100ELNS1_3gpuE3ELNS1_3repE0EEENS1_30default_config_static_selectorELNS0_4arch9wavefront6targetE0EEEvT1_.has_indirect_call, 0
	.section	.AMDGPU.csdata,"",@progbits
; Kernel info:
; codeLenInByte = 0
; TotalNumSgprs: 0
; NumVgprs: 0
; ScratchSize: 0
; MemoryBound: 0
; FloatMode: 240
; IeeeMode: 1
; LDSByteSize: 0 bytes/workgroup (compile time only)
; SGPRBlocks: 0
; VGPRBlocks: 0
; NumSGPRsForWavesPerEU: 1
; NumVGPRsForWavesPerEU: 1
; Occupancy: 16
; WaveLimiterHint : 0
; COMPUTE_PGM_RSRC2:SCRATCH_EN: 0
; COMPUTE_PGM_RSRC2:USER_SGPR: 2
; COMPUTE_PGM_RSRC2:TRAP_HANDLER: 0
; COMPUTE_PGM_RSRC2:TGID_X_EN: 1
; COMPUTE_PGM_RSRC2:TGID_Y_EN: 0
; COMPUTE_PGM_RSRC2:TGID_Z_EN: 0
; COMPUTE_PGM_RSRC2:TIDIG_COMP_CNT: 0
	.section	.text._ZN7rocprim17ROCPRIM_400000_NS6detail17trampoline_kernelINS0_14default_configENS1_25partition_config_selectorILNS1_17partition_subalgoE5EdNS0_10empty_typeEbEEZZNS1_14partition_implILS5_5ELb0ES3_mN6thrust23THRUST_200600_302600_NS6detail15normal_iteratorINSA_10device_ptrIdEEEEPS6_NSA_18transform_iteratorINSB_9not_fun_tINSA_8identityIdEEEESF_NSA_11use_defaultESM_EENS0_5tupleIJSF_S6_EEENSO_IJSG_SG_EEES6_PlJS6_EEE10hipError_tPvRmT3_T4_T5_T6_T7_T9_mT8_P12ihipStream_tbDpT10_ENKUlT_T0_E_clISt17integral_constantIbLb1EES1A_IbLb0EEEEDaS16_S17_EUlS16_E_NS1_11comp_targetILNS1_3genE8ELNS1_11target_archE1030ELNS1_3gpuE2ELNS1_3repE0EEENS1_30default_config_static_selectorELNS0_4arch9wavefront6targetE0EEEvT1_,"axG",@progbits,_ZN7rocprim17ROCPRIM_400000_NS6detail17trampoline_kernelINS0_14default_configENS1_25partition_config_selectorILNS1_17partition_subalgoE5EdNS0_10empty_typeEbEEZZNS1_14partition_implILS5_5ELb0ES3_mN6thrust23THRUST_200600_302600_NS6detail15normal_iteratorINSA_10device_ptrIdEEEEPS6_NSA_18transform_iteratorINSB_9not_fun_tINSA_8identityIdEEEESF_NSA_11use_defaultESM_EENS0_5tupleIJSF_S6_EEENSO_IJSG_SG_EEES6_PlJS6_EEE10hipError_tPvRmT3_T4_T5_T6_T7_T9_mT8_P12ihipStream_tbDpT10_ENKUlT_T0_E_clISt17integral_constantIbLb1EES1A_IbLb0EEEEDaS16_S17_EUlS16_E_NS1_11comp_targetILNS1_3genE8ELNS1_11target_archE1030ELNS1_3gpuE2ELNS1_3repE0EEENS1_30default_config_static_selectorELNS0_4arch9wavefront6targetE0EEEvT1_,comdat
	.protected	_ZN7rocprim17ROCPRIM_400000_NS6detail17trampoline_kernelINS0_14default_configENS1_25partition_config_selectorILNS1_17partition_subalgoE5EdNS0_10empty_typeEbEEZZNS1_14partition_implILS5_5ELb0ES3_mN6thrust23THRUST_200600_302600_NS6detail15normal_iteratorINSA_10device_ptrIdEEEEPS6_NSA_18transform_iteratorINSB_9not_fun_tINSA_8identityIdEEEESF_NSA_11use_defaultESM_EENS0_5tupleIJSF_S6_EEENSO_IJSG_SG_EEES6_PlJS6_EEE10hipError_tPvRmT3_T4_T5_T6_T7_T9_mT8_P12ihipStream_tbDpT10_ENKUlT_T0_E_clISt17integral_constantIbLb1EES1A_IbLb0EEEEDaS16_S17_EUlS16_E_NS1_11comp_targetILNS1_3genE8ELNS1_11target_archE1030ELNS1_3gpuE2ELNS1_3repE0EEENS1_30default_config_static_selectorELNS0_4arch9wavefront6targetE0EEEvT1_ ; -- Begin function _ZN7rocprim17ROCPRIM_400000_NS6detail17trampoline_kernelINS0_14default_configENS1_25partition_config_selectorILNS1_17partition_subalgoE5EdNS0_10empty_typeEbEEZZNS1_14partition_implILS5_5ELb0ES3_mN6thrust23THRUST_200600_302600_NS6detail15normal_iteratorINSA_10device_ptrIdEEEEPS6_NSA_18transform_iteratorINSB_9not_fun_tINSA_8identityIdEEEESF_NSA_11use_defaultESM_EENS0_5tupleIJSF_S6_EEENSO_IJSG_SG_EEES6_PlJS6_EEE10hipError_tPvRmT3_T4_T5_T6_T7_T9_mT8_P12ihipStream_tbDpT10_ENKUlT_T0_E_clISt17integral_constantIbLb1EES1A_IbLb0EEEEDaS16_S17_EUlS16_E_NS1_11comp_targetILNS1_3genE8ELNS1_11target_archE1030ELNS1_3gpuE2ELNS1_3repE0EEENS1_30default_config_static_selectorELNS0_4arch9wavefront6targetE0EEEvT1_
	.globl	_ZN7rocprim17ROCPRIM_400000_NS6detail17trampoline_kernelINS0_14default_configENS1_25partition_config_selectorILNS1_17partition_subalgoE5EdNS0_10empty_typeEbEEZZNS1_14partition_implILS5_5ELb0ES3_mN6thrust23THRUST_200600_302600_NS6detail15normal_iteratorINSA_10device_ptrIdEEEEPS6_NSA_18transform_iteratorINSB_9not_fun_tINSA_8identityIdEEEESF_NSA_11use_defaultESM_EENS0_5tupleIJSF_S6_EEENSO_IJSG_SG_EEES6_PlJS6_EEE10hipError_tPvRmT3_T4_T5_T6_T7_T9_mT8_P12ihipStream_tbDpT10_ENKUlT_T0_E_clISt17integral_constantIbLb1EES1A_IbLb0EEEEDaS16_S17_EUlS16_E_NS1_11comp_targetILNS1_3genE8ELNS1_11target_archE1030ELNS1_3gpuE2ELNS1_3repE0EEENS1_30default_config_static_selectorELNS0_4arch9wavefront6targetE0EEEvT1_
	.p2align	8
	.type	_ZN7rocprim17ROCPRIM_400000_NS6detail17trampoline_kernelINS0_14default_configENS1_25partition_config_selectorILNS1_17partition_subalgoE5EdNS0_10empty_typeEbEEZZNS1_14partition_implILS5_5ELb0ES3_mN6thrust23THRUST_200600_302600_NS6detail15normal_iteratorINSA_10device_ptrIdEEEEPS6_NSA_18transform_iteratorINSB_9not_fun_tINSA_8identityIdEEEESF_NSA_11use_defaultESM_EENS0_5tupleIJSF_S6_EEENSO_IJSG_SG_EEES6_PlJS6_EEE10hipError_tPvRmT3_T4_T5_T6_T7_T9_mT8_P12ihipStream_tbDpT10_ENKUlT_T0_E_clISt17integral_constantIbLb1EES1A_IbLb0EEEEDaS16_S17_EUlS16_E_NS1_11comp_targetILNS1_3genE8ELNS1_11target_archE1030ELNS1_3gpuE2ELNS1_3repE0EEENS1_30default_config_static_selectorELNS0_4arch9wavefront6targetE0EEEvT1_,@function
_ZN7rocprim17ROCPRIM_400000_NS6detail17trampoline_kernelINS0_14default_configENS1_25partition_config_selectorILNS1_17partition_subalgoE5EdNS0_10empty_typeEbEEZZNS1_14partition_implILS5_5ELb0ES3_mN6thrust23THRUST_200600_302600_NS6detail15normal_iteratorINSA_10device_ptrIdEEEEPS6_NSA_18transform_iteratorINSB_9not_fun_tINSA_8identityIdEEEESF_NSA_11use_defaultESM_EENS0_5tupleIJSF_S6_EEENSO_IJSG_SG_EEES6_PlJS6_EEE10hipError_tPvRmT3_T4_T5_T6_T7_T9_mT8_P12ihipStream_tbDpT10_ENKUlT_T0_E_clISt17integral_constantIbLb1EES1A_IbLb0EEEEDaS16_S17_EUlS16_E_NS1_11comp_targetILNS1_3genE8ELNS1_11target_archE1030ELNS1_3gpuE2ELNS1_3repE0EEENS1_30default_config_static_selectorELNS0_4arch9wavefront6targetE0EEEvT1_: ; @_ZN7rocprim17ROCPRIM_400000_NS6detail17trampoline_kernelINS0_14default_configENS1_25partition_config_selectorILNS1_17partition_subalgoE5EdNS0_10empty_typeEbEEZZNS1_14partition_implILS5_5ELb0ES3_mN6thrust23THRUST_200600_302600_NS6detail15normal_iteratorINSA_10device_ptrIdEEEEPS6_NSA_18transform_iteratorINSB_9not_fun_tINSA_8identityIdEEEESF_NSA_11use_defaultESM_EENS0_5tupleIJSF_S6_EEENSO_IJSG_SG_EEES6_PlJS6_EEE10hipError_tPvRmT3_T4_T5_T6_T7_T9_mT8_P12ihipStream_tbDpT10_ENKUlT_T0_E_clISt17integral_constantIbLb1EES1A_IbLb0EEEEDaS16_S17_EUlS16_E_NS1_11comp_targetILNS1_3genE8ELNS1_11target_archE1030ELNS1_3gpuE2ELNS1_3repE0EEENS1_30default_config_static_selectorELNS0_4arch9wavefront6targetE0EEEvT1_
; %bb.0:
	.section	.rodata,"a",@progbits
	.p2align	6, 0x0
	.amdhsa_kernel _ZN7rocprim17ROCPRIM_400000_NS6detail17trampoline_kernelINS0_14default_configENS1_25partition_config_selectorILNS1_17partition_subalgoE5EdNS0_10empty_typeEbEEZZNS1_14partition_implILS5_5ELb0ES3_mN6thrust23THRUST_200600_302600_NS6detail15normal_iteratorINSA_10device_ptrIdEEEEPS6_NSA_18transform_iteratorINSB_9not_fun_tINSA_8identityIdEEEESF_NSA_11use_defaultESM_EENS0_5tupleIJSF_S6_EEENSO_IJSG_SG_EEES6_PlJS6_EEE10hipError_tPvRmT3_T4_T5_T6_T7_T9_mT8_P12ihipStream_tbDpT10_ENKUlT_T0_E_clISt17integral_constantIbLb1EES1A_IbLb0EEEEDaS16_S17_EUlS16_E_NS1_11comp_targetILNS1_3genE8ELNS1_11target_archE1030ELNS1_3gpuE2ELNS1_3repE0EEENS1_30default_config_static_selectorELNS0_4arch9wavefront6targetE0EEEvT1_
		.amdhsa_group_segment_fixed_size 0
		.amdhsa_private_segment_fixed_size 0
		.amdhsa_kernarg_size 120
		.amdhsa_user_sgpr_count 2
		.amdhsa_user_sgpr_dispatch_ptr 0
		.amdhsa_user_sgpr_queue_ptr 0
		.amdhsa_user_sgpr_kernarg_segment_ptr 1
		.amdhsa_user_sgpr_dispatch_id 0
		.amdhsa_user_sgpr_private_segment_size 0
		.amdhsa_wavefront_size32 1
		.amdhsa_uses_dynamic_stack 0
		.amdhsa_enable_private_segment 0
		.amdhsa_system_sgpr_workgroup_id_x 1
		.amdhsa_system_sgpr_workgroup_id_y 0
		.amdhsa_system_sgpr_workgroup_id_z 0
		.amdhsa_system_sgpr_workgroup_info 0
		.amdhsa_system_vgpr_workitem_id 0
		.amdhsa_next_free_vgpr 1
		.amdhsa_next_free_sgpr 1
		.amdhsa_reserve_vcc 0
		.amdhsa_float_round_mode_32 0
		.amdhsa_float_round_mode_16_64 0
		.amdhsa_float_denorm_mode_32 3
		.amdhsa_float_denorm_mode_16_64 3
		.amdhsa_fp16_overflow 0
		.amdhsa_workgroup_processor_mode 1
		.amdhsa_memory_ordered 1
		.amdhsa_forward_progress 1
		.amdhsa_inst_pref_size 0
		.amdhsa_round_robin_scheduling 0
		.amdhsa_exception_fp_ieee_invalid_op 0
		.amdhsa_exception_fp_denorm_src 0
		.amdhsa_exception_fp_ieee_div_zero 0
		.amdhsa_exception_fp_ieee_overflow 0
		.amdhsa_exception_fp_ieee_underflow 0
		.amdhsa_exception_fp_ieee_inexact 0
		.amdhsa_exception_int_div_zero 0
	.end_amdhsa_kernel
	.section	.text._ZN7rocprim17ROCPRIM_400000_NS6detail17trampoline_kernelINS0_14default_configENS1_25partition_config_selectorILNS1_17partition_subalgoE5EdNS0_10empty_typeEbEEZZNS1_14partition_implILS5_5ELb0ES3_mN6thrust23THRUST_200600_302600_NS6detail15normal_iteratorINSA_10device_ptrIdEEEEPS6_NSA_18transform_iteratorINSB_9not_fun_tINSA_8identityIdEEEESF_NSA_11use_defaultESM_EENS0_5tupleIJSF_S6_EEENSO_IJSG_SG_EEES6_PlJS6_EEE10hipError_tPvRmT3_T4_T5_T6_T7_T9_mT8_P12ihipStream_tbDpT10_ENKUlT_T0_E_clISt17integral_constantIbLb1EES1A_IbLb0EEEEDaS16_S17_EUlS16_E_NS1_11comp_targetILNS1_3genE8ELNS1_11target_archE1030ELNS1_3gpuE2ELNS1_3repE0EEENS1_30default_config_static_selectorELNS0_4arch9wavefront6targetE0EEEvT1_,"axG",@progbits,_ZN7rocprim17ROCPRIM_400000_NS6detail17trampoline_kernelINS0_14default_configENS1_25partition_config_selectorILNS1_17partition_subalgoE5EdNS0_10empty_typeEbEEZZNS1_14partition_implILS5_5ELb0ES3_mN6thrust23THRUST_200600_302600_NS6detail15normal_iteratorINSA_10device_ptrIdEEEEPS6_NSA_18transform_iteratorINSB_9not_fun_tINSA_8identityIdEEEESF_NSA_11use_defaultESM_EENS0_5tupleIJSF_S6_EEENSO_IJSG_SG_EEES6_PlJS6_EEE10hipError_tPvRmT3_T4_T5_T6_T7_T9_mT8_P12ihipStream_tbDpT10_ENKUlT_T0_E_clISt17integral_constantIbLb1EES1A_IbLb0EEEEDaS16_S17_EUlS16_E_NS1_11comp_targetILNS1_3genE8ELNS1_11target_archE1030ELNS1_3gpuE2ELNS1_3repE0EEENS1_30default_config_static_selectorELNS0_4arch9wavefront6targetE0EEEvT1_,comdat
.Lfunc_end812:
	.size	_ZN7rocprim17ROCPRIM_400000_NS6detail17trampoline_kernelINS0_14default_configENS1_25partition_config_selectorILNS1_17partition_subalgoE5EdNS0_10empty_typeEbEEZZNS1_14partition_implILS5_5ELb0ES3_mN6thrust23THRUST_200600_302600_NS6detail15normal_iteratorINSA_10device_ptrIdEEEEPS6_NSA_18transform_iteratorINSB_9not_fun_tINSA_8identityIdEEEESF_NSA_11use_defaultESM_EENS0_5tupleIJSF_S6_EEENSO_IJSG_SG_EEES6_PlJS6_EEE10hipError_tPvRmT3_T4_T5_T6_T7_T9_mT8_P12ihipStream_tbDpT10_ENKUlT_T0_E_clISt17integral_constantIbLb1EES1A_IbLb0EEEEDaS16_S17_EUlS16_E_NS1_11comp_targetILNS1_3genE8ELNS1_11target_archE1030ELNS1_3gpuE2ELNS1_3repE0EEENS1_30default_config_static_selectorELNS0_4arch9wavefront6targetE0EEEvT1_, .Lfunc_end812-_ZN7rocprim17ROCPRIM_400000_NS6detail17trampoline_kernelINS0_14default_configENS1_25partition_config_selectorILNS1_17partition_subalgoE5EdNS0_10empty_typeEbEEZZNS1_14partition_implILS5_5ELb0ES3_mN6thrust23THRUST_200600_302600_NS6detail15normal_iteratorINSA_10device_ptrIdEEEEPS6_NSA_18transform_iteratorINSB_9not_fun_tINSA_8identityIdEEEESF_NSA_11use_defaultESM_EENS0_5tupleIJSF_S6_EEENSO_IJSG_SG_EEES6_PlJS6_EEE10hipError_tPvRmT3_T4_T5_T6_T7_T9_mT8_P12ihipStream_tbDpT10_ENKUlT_T0_E_clISt17integral_constantIbLb1EES1A_IbLb0EEEEDaS16_S17_EUlS16_E_NS1_11comp_targetILNS1_3genE8ELNS1_11target_archE1030ELNS1_3gpuE2ELNS1_3repE0EEENS1_30default_config_static_selectorELNS0_4arch9wavefront6targetE0EEEvT1_
                                        ; -- End function
	.set _ZN7rocprim17ROCPRIM_400000_NS6detail17trampoline_kernelINS0_14default_configENS1_25partition_config_selectorILNS1_17partition_subalgoE5EdNS0_10empty_typeEbEEZZNS1_14partition_implILS5_5ELb0ES3_mN6thrust23THRUST_200600_302600_NS6detail15normal_iteratorINSA_10device_ptrIdEEEEPS6_NSA_18transform_iteratorINSB_9not_fun_tINSA_8identityIdEEEESF_NSA_11use_defaultESM_EENS0_5tupleIJSF_S6_EEENSO_IJSG_SG_EEES6_PlJS6_EEE10hipError_tPvRmT3_T4_T5_T6_T7_T9_mT8_P12ihipStream_tbDpT10_ENKUlT_T0_E_clISt17integral_constantIbLb1EES1A_IbLb0EEEEDaS16_S17_EUlS16_E_NS1_11comp_targetILNS1_3genE8ELNS1_11target_archE1030ELNS1_3gpuE2ELNS1_3repE0EEENS1_30default_config_static_selectorELNS0_4arch9wavefront6targetE0EEEvT1_.num_vgpr, 0
	.set _ZN7rocprim17ROCPRIM_400000_NS6detail17trampoline_kernelINS0_14default_configENS1_25partition_config_selectorILNS1_17partition_subalgoE5EdNS0_10empty_typeEbEEZZNS1_14partition_implILS5_5ELb0ES3_mN6thrust23THRUST_200600_302600_NS6detail15normal_iteratorINSA_10device_ptrIdEEEEPS6_NSA_18transform_iteratorINSB_9not_fun_tINSA_8identityIdEEEESF_NSA_11use_defaultESM_EENS0_5tupleIJSF_S6_EEENSO_IJSG_SG_EEES6_PlJS6_EEE10hipError_tPvRmT3_T4_T5_T6_T7_T9_mT8_P12ihipStream_tbDpT10_ENKUlT_T0_E_clISt17integral_constantIbLb1EES1A_IbLb0EEEEDaS16_S17_EUlS16_E_NS1_11comp_targetILNS1_3genE8ELNS1_11target_archE1030ELNS1_3gpuE2ELNS1_3repE0EEENS1_30default_config_static_selectorELNS0_4arch9wavefront6targetE0EEEvT1_.num_agpr, 0
	.set _ZN7rocprim17ROCPRIM_400000_NS6detail17trampoline_kernelINS0_14default_configENS1_25partition_config_selectorILNS1_17partition_subalgoE5EdNS0_10empty_typeEbEEZZNS1_14partition_implILS5_5ELb0ES3_mN6thrust23THRUST_200600_302600_NS6detail15normal_iteratorINSA_10device_ptrIdEEEEPS6_NSA_18transform_iteratorINSB_9not_fun_tINSA_8identityIdEEEESF_NSA_11use_defaultESM_EENS0_5tupleIJSF_S6_EEENSO_IJSG_SG_EEES6_PlJS6_EEE10hipError_tPvRmT3_T4_T5_T6_T7_T9_mT8_P12ihipStream_tbDpT10_ENKUlT_T0_E_clISt17integral_constantIbLb1EES1A_IbLb0EEEEDaS16_S17_EUlS16_E_NS1_11comp_targetILNS1_3genE8ELNS1_11target_archE1030ELNS1_3gpuE2ELNS1_3repE0EEENS1_30default_config_static_selectorELNS0_4arch9wavefront6targetE0EEEvT1_.numbered_sgpr, 0
	.set _ZN7rocprim17ROCPRIM_400000_NS6detail17trampoline_kernelINS0_14default_configENS1_25partition_config_selectorILNS1_17partition_subalgoE5EdNS0_10empty_typeEbEEZZNS1_14partition_implILS5_5ELb0ES3_mN6thrust23THRUST_200600_302600_NS6detail15normal_iteratorINSA_10device_ptrIdEEEEPS6_NSA_18transform_iteratorINSB_9not_fun_tINSA_8identityIdEEEESF_NSA_11use_defaultESM_EENS0_5tupleIJSF_S6_EEENSO_IJSG_SG_EEES6_PlJS6_EEE10hipError_tPvRmT3_T4_T5_T6_T7_T9_mT8_P12ihipStream_tbDpT10_ENKUlT_T0_E_clISt17integral_constantIbLb1EES1A_IbLb0EEEEDaS16_S17_EUlS16_E_NS1_11comp_targetILNS1_3genE8ELNS1_11target_archE1030ELNS1_3gpuE2ELNS1_3repE0EEENS1_30default_config_static_selectorELNS0_4arch9wavefront6targetE0EEEvT1_.num_named_barrier, 0
	.set _ZN7rocprim17ROCPRIM_400000_NS6detail17trampoline_kernelINS0_14default_configENS1_25partition_config_selectorILNS1_17partition_subalgoE5EdNS0_10empty_typeEbEEZZNS1_14partition_implILS5_5ELb0ES3_mN6thrust23THRUST_200600_302600_NS6detail15normal_iteratorINSA_10device_ptrIdEEEEPS6_NSA_18transform_iteratorINSB_9not_fun_tINSA_8identityIdEEEESF_NSA_11use_defaultESM_EENS0_5tupleIJSF_S6_EEENSO_IJSG_SG_EEES6_PlJS6_EEE10hipError_tPvRmT3_T4_T5_T6_T7_T9_mT8_P12ihipStream_tbDpT10_ENKUlT_T0_E_clISt17integral_constantIbLb1EES1A_IbLb0EEEEDaS16_S17_EUlS16_E_NS1_11comp_targetILNS1_3genE8ELNS1_11target_archE1030ELNS1_3gpuE2ELNS1_3repE0EEENS1_30default_config_static_selectorELNS0_4arch9wavefront6targetE0EEEvT1_.private_seg_size, 0
	.set _ZN7rocprim17ROCPRIM_400000_NS6detail17trampoline_kernelINS0_14default_configENS1_25partition_config_selectorILNS1_17partition_subalgoE5EdNS0_10empty_typeEbEEZZNS1_14partition_implILS5_5ELb0ES3_mN6thrust23THRUST_200600_302600_NS6detail15normal_iteratorINSA_10device_ptrIdEEEEPS6_NSA_18transform_iteratorINSB_9not_fun_tINSA_8identityIdEEEESF_NSA_11use_defaultESM_EENS0_5tupleIJSF_S6_EEENSO_IJSG_SG_EEES6_PlJS6_EEE10hipError_tPvRmT3_T4_T5_T6_T7_T9_mT8_P12ihipStream_tbDpT10_ENKUlT_T0_E_clISt17integral_constantIbLb1EES1A_IbLb0EEEEDaS16_S17_EUlS16_E_NS1_11comp_targetILNS1_3genE8ELNS1_11target_archE1030ELNS1_3gpuE2ELNS1_3repE0EEENS1_30default_config_static_selectorELNS0_4arch9wavefront6targetE0EEEvT1_.uses_vcc, 0
	.set _ZN7rocprim17ROCPRIM_400000_NS6detail17trampoline_kernelINS0_14default_configENS1_25partition_config_selectorILNS1_17partition_subalgoE5EdNS0_10empty_typeEbEEZZNS1_14partition_implILS5_5ELb0ES3_mN6thrust23THRUST_200600_302600_NS6detail15normal_iteratorINSA_10device_ptrIdEEEEPS6_NSA_18transform_iteratorINSB_9not_fun_tINSA_8identityIdEEEESF_NSA_11use_defaultESM_EENS0_5tupleIJSF_S6_EEENSO_IJSG_SG_EEES6_PlJS6_EEE10hipError_tPvRmT3_T4_T5_T6_T7_T9_mT8_P12ihipStream_tbDpT10_ENKUlT_T0_E_clISt17integral_constantIbLb1EES1A_IbLb0EEEEDaS16_S17_EUlS16_E_NS1_11comp_targetILNS1_3genE8ELNS1_11target_archE1030ELNS1_3gpuE2ELNS1_3repE0EEENS1_30default_config_static_selectorELNS0_4arch9wavefront6targetE0EEEvT1_.uses_flat_scratch, 0
	.set _ZN7rocprim17ROCPRIM_400000_NS6detail17trampoline_kernelINS0_14default_configENS1_25partition_config_selectorILNS1_17partition_subalgoE5EdNS0_10empty_typeEbEEZZNS1_14partition_implILS5_5ELb0ES3_mN6thrust23THRUST_200600_302600_NS6detail15normal_iteratorINSA_10device_ptrIdEEEEPS6_NSA_18transform_iteratorINSB_9not_fun_tINSA_8identityIdEEEESF_NSA_11use_defaultESM_EENS0_5tupleIJSF_S6_EEENSO_IJSG_SG_EEES6_PlJS6_EEE10hipError_tPvRmT3_T4_T5_T6_T7_T9_mT8_P12ihipStream_tbDpT10_ENKUlT_T0_E_clISt17integral_constantIbLb1EES1A_IbLb0EEEEDaS16_S17_EUlS16_E_NS1_11comp_targetILNS1_3genE8ELNS1_11target_archE1030ELNS1_3gpuE2ELNS1_3repE0EEENS1_30default_config_static_selectorELNS0_4arch9wavefront6targetE0EEEvT1_.has_dyn_sized_stack, 0
	.set _ZN7rocprim17ROCPRIM_400000_NS6detail17trampoline_kernelINS0_14default_configENS1_25partition_config_selectorILNS1_17partition_subalgoE5EdNS0_10empty_typeEbEEZZNS1_14partition_implILS5_5ELb0ES3_mN6thrust23THRUST_200600_302600_NS6detail15normal_iteratorINSA_10device_ptrIdEEEEPS6_NSA_18transform_iteratorINSB_9not_fun_tINSA_8identityIdEEEESF_NSA_11use_defaultESM_EENS0_5tupleIJSF_S6_EEENSO_IJSG_SG_EEES6_PlJS6_EEE10hipError_tPvRmT3_T4_T5_T6_T7_T9_mT8_P12ihipStream_tbDpT10_ENKUlT_T0_E_clISt17integral_constantIbLb1EES1A_IbLb0EEEEDaS16_S17_EUlS16_E_NS1_11comp_targetILNS1_3genE8ELNS1_11target_archE1030ELNS1_3gpuE2ELNS1_3repE0EEENS1_30default_config_static_selectorELNS0_4arch9wavefront6targetE0EEEvT1_.has_recursion, 0
	.set _ZN7rocprim17ROCPRIM_400000_NS6detail17trampoline_kernelINS0_14default_configENS1_25partition_config_selectorILNS1_17partition_subalgoE5EdNS0_10empty_typeEbEEZZNS1_14partition_implILS5_5ELb0ES3_mN6thrust23THRUST_200600_302600_NS6detail15normal_iteratorINSA_10device_ptrIdEEEEPS6_NSA_18transform_iteratorINSB_9not_fun_tINSA_8identityIdEEEESF_NSA_11use_defaultESM_EENS0_5tupleIJSF_S6_EEENSO_IJSG_SG_EEES6_PlJS6_EEE10hipError_tPvRmT3_T4_T5_T6_T7_T9_mT8_P12ihipStream_tbDpT10_ENKUlT_T0_E_clISt17integral_constantIbLb1EES1A_IbLb0EEEEDaS16_S17_EUlS16_E_NS1_11comp_targetILNS1_3genE8ELNS1_11target_archE1030ELNS1_3gpuE2ELNS1_3repE0EEENS1_30default_config_static_selectorELNS0_4arch9wavefront6targetE0EEEvT1_.has_indirect_call, 0
	.section	.AMDGPU.csdata,"",@progbits
; Kernel info:
; codeLenInByte = 0
; TotalNumSgprs: 0
; NumVgprs: 0
; ScratchSize: 0
; MemoryBound: 0
; FloatMode: 240
; IeeeMode: 1
; LDSByteSize: 0 bytes/workgroup (compile time only)
; SGPRBlocks: 0
; VGPRBlocks: 0
; NumSGPRsForWavesPerEU: 1
; NumVGPRsForWavesPerEU: 1
; Occupancy: 16
; WaveLimiterHint : 0
; COMPUTE_PGM_RSRC2:SCRATCH_EN: 0
; COMPUTE_PGM_RSRC2:USER_SGPR: 2
; COMPUTE_PGM_RSRC2:TRAP_HANDLER: 0
; COMPUTE_PGM_RSRC2:TGID_X_EN: 1
; COMPUTE_PGM_RSRC2:TGID_Y_EN: 0
; COMPUTE_PGM_RSRC2:TGID_Z_EN: 0
; COMPUTE_PGM_RSRC2:TIDIG_COMP_CNT: 0
	.section	.text._ZN7rocprim17ROCPRIM_400000_NS6detail17trampoline_kernelINS0_14default_configENS1_25partition_config_selectorILNS1_17partition_subalgoE5EdNS0_10empty_typeEbEEZZNS1_14partition_implILS5_5ELb0ES3_mN6thrust23THRUST_200600_302600_NS6detail15normal_iteratorINSA_10device_ptrIdEEEEPS6_NSA_18transform_iteratorINSB_9not_fun_tINSA_8identityIdEEEESF_NSA_11use_defaultESM_EENS0_5tupleIJSF_S6_EEENSO_IJSG_SG_EEES6_PlJS6_EEE10hipError_tPvRmT3_T4_T5_T6_T7_T9_mT8_P12ihipStream_tbDpT10_ENKUlT_T0_E_clISt17integral_constantIbLb0EES1A_IbLb1EEEEDaS16_S17_EUlS16_E_NS1_11comp_targetILNS1_3genE0ELNS1_11target_archE4294967295ELNS1_3gpuE0ELNS1_3repE0EEENS1_30default_config_static_selectorELNS0_4arch9wavefront6targetE0EEEvT1_,"axG",@progbits,_ZN7rocprim17ROCPRIM_400000_NS6detail17trampoline_kernelINS0_14default_configENS1_25partition_config_selectorILNS1_17partition_subalgoE5EdNS0_10empty_typeEbEEZZNS1_14partition_implILS5_5ELb0ES3_mN6thrust23THRUST_200600_302600_NS6detail15normal_iteratorINSA_10device_ptrIdEEEEPS6_NSA_18transform_iteratorINSB_9not_fun_tINSA_8identityIdEEEESF_NSA_11use_defaultESM_EENS0_5tupleIJSF_S6_EEENSO_IJSG_SG_EEES6_PlJS6_EEE10hipError_tPvRmT3_T4_T5_T6_T7_T9_mT8_P12ihipStream_tbDpT10_ENKUlT_T0_E_clISt17integral_constantIbLb0EES1A_IbLb1EEEEDaS16_S17_EUlS16_E_NS1_11comp_targetILNS1_3genE0ELNS1_11target_archE4294967295ELNS1_3gpuE0ELNS1_3repE0EEENS1_30default_config_static_selectorELNS0_4arch9wavefront6targetE0EEEvT1_,comdat
	.protected	_ZN7rocprim17ROCPRIM_400000_NS6detail17trampoline_kernelINS0_14default_configENS1_25partition_config_selectorILNS1_17partition_subalgoE5EdNS0_10empty_typeEbEEZZNS1_14partition_implILS5_5ELb0ES3_mN6thrust23THRUST_200600_302600_NS6detail15normal_iteratorINSA_10device_ptrIdEEEEPS6_NSA_18transform_iteratorINSB_9not_fun_tINSA_8identityIdEEEESF_NSA_11use_defaultESM_EENS0_5tupleIJSF_S6_EEENSO_IJSG_SG_EEES6_PlJS6_EEE10hipError_tPvRmT3_T4_T5_T6_T7_T9_mT8_P12ihipStream_tbDpT10_ENKUlT_T0_E_clISt17integral_constantIbLb0EES1A_IbLb1EEEEDaS16_S17_EUlS16_E_NS1_11comp_targetILNS1_3genE0ELNS1_11target_archE4294967295ELNS1_3gpuE0ELNS1_3repE0EEENS1_30default_config_static_selectorELNS0_4arch9wavefront6targetE0EEEvT1_ ; -- Begin function _ZN7rocprim17ROCPRIM_400000_NS6detail17trampoline_kernelINS0_14default_configENS1_25partition_config_selectorILNS1_17partition_subalgoE5EdNS0_10empty_typeEbEEZZNS1_14partition_implILS5_5ELb0ES3_mN6thrust23THRUST_200600_302600_NS6detail15normal_iteratorINSA_10device_ptrIdEEEEPS6_NSA_18transform_iteratorINSB_9not_fun_tINSA_8identityIdEEEESF_NSA_11use_defaultESM_EENS0_5tupleIJSF_S6_EEENSO_IJSG_SG_EEES6_PlJS6_EEE10hipError_tPvRmT3_T4_T5_T6_T7_T9_mT8_P12ihipStream_tbDpT10_ENKUlT_T0_E_clISt17integral_constantIbLb0EES1A_IbLb1EEEEDaS16_S17_EUlS16_E_NS1_11comp_targetILNS1_3genE0ELNS1_11target_archE4294967295ELNS1_3gpuE0ELNS1_3repE0EEENS1_30default_config_static_selectorELNS0_4arch9wavefront6targetE0EEEvT1_
	.globl	_ZN7rocprim17ROCPRIM_400000_NS6detail17trampoline_kernelINS0_14default_configENS1_25partition_config_selectorILNS1_17partition_subalgoE5EdNS0_10empty_typeEbEEZZNS1_14partition_implILS5_5ELb0ES3_mN6thrust23THRUST_200600_302600_NS6detail15normal_iteratorINSA_10device_ptrIdEEEEPS6_NSA_18transform_iteratorINSB_9not_fun_tINSA_8identityIdEEEESF_NSA_11use_defaultESM_EENS0_5tupleIJSF_S6_EEENSO_IJSG_SG_EEES6_PlJS6_EEE10hipError_tPvRmT3_T4_T5_T6_T7_T9_mT8_P12ihipStream_tbDpT10_ENKUlT_T0_E_clISt17integral_constantIbLb0EES1A_IbLb1EEEEDaS16_S17_EUlS16_E_NS1_11comp_targetILNS1_3genE0ELNS1_11target_archE4294967295ELNS1_3gpuE0ELNS1_3repE0EEENS1_30default_config_static_selectorELNS0_4arch9wavefront6targetE0EEEvT1_
	.p2align	8
	.type	_ZN7rocprim17ROCPRIM_400000_NS6detail17trampoline_kernelINS0_14default_configENS1_25partition_config_selectorILNS1_17partition_subalgoE5EdNS0_10empty_typeEbEEZZNS1_14partition_implILS5_5ELb0ES3_mN6thrust23THRUST_200600_302600_NS6detail15normal_iteratorINSA_10device_ptrIdEEEEPS6_NSA_18transform_iteratorINSB_9not_fun_tINSA_8identityIdEEEESF_NSA_11use_defaultESM_EENS0_5tupleIJSF_S6_EEENSO_IJSG_SG_EEES6_PlJS6_EEE10hipError_tPvRmT3_T4_T5_T6_T7_T9_mT8_P12ihipStream_tbDpT10_ENKUlT_T0_E_clISt17integral_constantIbLb0EES1A_IbLb1EEEEDaS16_S17_EUlS16_E_NS1_11comp_targetILNS1_3genE0ELNS1_11target_archE4294967295ELNS1_3gpuE0ELNS1_3repE0EEENS1_30default_config_static_selectorELNS0_4arch9wavefront6targetE0EEEvT1_,@function
_ZN7rocprim17ROCPRIM_400000_NS6detail17trampoline_kernelINS0_14default_configENS1_25partition_config_selectorILNS1_17partition_subalgoE5EdNS0_10empty_typeEbEEZZNS1_14partition_implILS5_5ELb0ES3_mN6thrust23THRUST_200600_302600_NS6detail15normal_iteratorINSA_10device_ptrIdEEEEPS6_NSA_18transform_iteratorINSB_9not_fun_tINSA_8identityIdEEEESF_NSA_11use_defaultESM_EENS0_5tupleIJSF_S6_EEENSO_IJSG_SG_EEES6_PlJS6_EEE10hipError_tPvRmT3_T4_T5_T6_T7_T9_mT8_P12ihipStream_tbDpT10_ENKUlT_T0_E_clISt17integral_constantIbLb0EES1A_IbLb1EEEEDaS16_S17_EUlS16_E_NS1_11comp_targetILNS1_3genE0ELNS1_11target_archE4294967295ELNS1_3gpuE0ELNS1_3repE0EEENS1_30default_config_static_selectorELNS0_4arch9wavefront6targetE0EEEvT1_: ; @_ZN7rocprim17ROCPRIM_400000_NS6detail17trampoline_kernelINS0_14default_configENS1_25partition_config_selectorILNS1_17partition_subalgoE5EdNS0_10empty_typeEbEEZZNS1_14partition_implILS5_5ELb0ES3_mN6thrust23THRUST_200600_302600_NS6detail15normal_iteratorINSA_10device_ptrIdEEEEPS6_NSA_18transform_iteratorINSB_9not_fun_tINSA_8identityIdEEEESF_NSA_11use_defaultESM_EENS0_5tupleIJSF_S6_EEENSO_IJSG_SG_EEES6_PlJS6_EEE10hipError_tPvRmT3_T4_T5_T6_T7_T9_mT8_P12ihipStream_tbDpT10_ENKUlT_T0_E_clISt17integral_constantIbLb0EES1A_IbLb1EEEEDaS16_S17_EUlS16_E_NS1_11comp_targetILNS1_3genE0ELNS1_11target_archE4294967295ELNS1_3gpuE0ELNS1_3repE0EEENS1_30default_config_static_selectorELNS0_4arch9wavefront6targetE0EEEvT1_
; %bb.0:
	.section	.rodata,"a",@progbits
	.p2align	6, 0x0
	.amdhsa_kernel _ZN7rocprim17ROCPRIM_400000_NS6detail17trampoline_kernelINS0_14default_configENS1_25partition_config_selectorILNS1_17partition_subalgoE5EdNS0_10empty_typeEbEEZZNS1_14partition_implILS5_5ELb0ES3_mN6thrust23THRUST_200600_302600_NS6detail15normal_iteratorINSA_10device_ptrIdEEEEPS6_NSA_18transform_iteratorINSB_9not_fun_tINSA_8identityIdEEEESF_NSA_11use_defaultESM_EENS0_5tupleIJSF_S6_EEENSO_IJSG_SG_EEES6_PlJS6_EEE10hipError_tPvRmT3_T4_T5_T6_T7_T9_mT8_P12ihipStream_tbDpT10_ENKUlT_T0_E_clISt17integral_constantIbLb0EES1A_IbLb1EEEEDaS16_S17_EUlS16_E_NS1_11comp_targetILNS1_3genE0ELNS1_11target_archE4294967295ELNS1_3gpuE0ELNS1_3repE0EEENS1_30default_config_static_selectorELNS0_4arch9wavefront6targetE0EEEvT1_
		.amdhsa_group_segment_fixed_size 0
		.amdhsa_private_segment_fixed_size 0
		.amdhsa_kernarg_size 136
		.amdhsa_user_sgpr_count 2
		.amdhsa_user_sgpr_dispatch_ptr 0
		.amdhsa_user_sgpr_queue_ptr 0
		.amdhsa_user_sgpr_kernarg_segment_ptr 1
		.amdhsa_user_sgpr_dispatch_id 0
		.amdhsa_user_sgpr_private_segment_size 0
		.amdhsa_wavefront_size32 1
		.amdhsa_uses_dynamic_stack 0
		.amdhsa_enable_private_segment 0
		.amdhsa_system_sgpr_workgroup_id_x 1
		.amdhsa_system_sgpr_workgroup_id_y 0
		.amdhsa_system_sgpr_workgroup_id_z 0
		.amdhsa_system_sgpr_workgroup_info 0
		.amdhsa_system_vgpr_workitem_id 0
		.amdhsa_next_free_vgpr 1
		.amdhsa_next_free_sgpr 1
		.amdhsa_reserve_vcc 0
		.amdhsa_float_round_mode_32 0
		.amdhsa_float_round_mode_16_64 0
		.amdhsa_float_denorm_mode_32 3
		.amdhsa_float_denorm_mode_16_64 3
		.amdhsa_fp16_overflow 0
		.amdhsa_workgroup_processor_mode 1
		.amdhsa_memory_ordered 1
		.amdhsa_forward_progress 1
		.amdhsa_inst_pref_size 0
		.amdhsa_round_robin_scheduling 0
		.amdhsa_exception_fp_ieee_invalid_op 0
		.amdhsa_exception_fp_denorm_src 0
		.amdhsa_exception_fp_ieee_div_zero 0
		.amdhsa_exception_fp_ieee_overflow 0
		.amdhsa_exception_fp_ieee_underflow 0
		.amdhsa_exception_fp_ieee_inexact 0
		.amdhsa_exception_int_div_zero 0
	.end_amdhsa_kernel
	.section	.text._ZN7rocprim17ROCPRIM_400000_NS6detail17trampoline_kernelINS0_14default_configENS1_25partition_config_selectorILNS1_17partition_subalgoE5EdNS0_10empty_typeEbEEZZNS1_14partition_implILS5_5ELb0ES3_mN6thrust23THRUST_200600_302600_NS6detail15normal_iteratorINSA_10device_ptrIdEEEEPS6_NSA_18transform_iteratorINSB_9not_fun_tINSA_8identityIdEEEESF_NSA_11use_defaultESM_EENS0_5tupleIJSF_S6_EEENSO_IJSG_SG_EEES6_PlJS6_EEE10hipError_tPvRmT3_T4_T5_T6_T7_T9_mT8_P12ihipStream_tbDpT10_ENKUlT_T0_E_clISt17integral_constantIbLb0EES1A_IbLb1EEEEDaS16_S17_EUlS16_E_NS1_11comp_targetILNS1_3genE0ELNS1_11target_archE4294967295ELNS1_3gpuE0ELNS1_3repE0EEENS1_30default_config_static_selectorELNS0_4arch9wavefront6targetE0EEEvT1_,"axG",@progbits,_ZN7rocprim17ROCPRIM_400000_NS6detail17trampoline_kernelINS0_14default_configENS1_25partition_config_selectorILNS1_17partition_subalgoE5EdNS0_10empty_typeEbEEZZNS1_14partition_implILS5_5ELb0ES3_mN6thrust23THRUST_200600_302600_NS6detail15normal_iteratorINSA_10device_ptrIdEEEEPS6_NSA_18transform_iteratorINSB_9not_fun_tINSA_8identityIdEEEESF_NSA_11use_defaultESM_EENS0_5tupleIJSF_S6_EEENSO_IJSG_SG_EEES6_PlJS6_EEE10hipError_tPvRmT3_T4_T5_T6_T7_T9_mT8_P12ihipStream_tbDpT10_ENKUlT_T0_E_clISt17integral_constantIbLb0EES1A_IbLb1EEEEDaS16_S17_EUlS16_E_NS1_11comp_targetILNS1_3genE0ELNS1_11target_archE4294967295ELNS1_3gpuE0ELNS1_3repE0EEENS1_30default_config_static_selectorELNS0_4arch9wavefront6targetE0EEEvT1_,comdat
.Lfunc_end813:
	.size	_ZN7rocprim17ROCPRIM_400000_NS6detail17trampoline_kernelINS0_14default_configENS1_25partition_config_selectorILNS1_17partition_subalgoE5EdNS0_10empty_typeEbEEZZNS1_14partition_implILS5_5ELb0ES3_mN6thrust23THRUST_200600_302600_NS6detail15normal_iteratorINSA_10device_ptrIdEEEEPS6_NSA_18transform_iteratorINSB_9not_fun_tINSA_8identityIdEEEESF_NSA_11use_defaultESM_EENS0_5tupleIJSF_S6_EEENSO_IJSG_SG_EEES6_PlJS6_EEE10hipError_tPvRmT3_T4_T5_T6_T7_T9_mT8_P12ihipStream_tbDpT10_ENKUlT_T0_E_clISt17integral_constantIbLb0EES1A_IbLb1EEEEDaS16_S17_EUlS16_E_NS1_11comp_targetILNS1_3genE0ELNS1_11target_archE4294967295ELNS1_3gpuE0ELNS1_3repE0EEENS1_30default_config_static_selectorELNS0_4arch9wavefront6targetE0EEEvT1_, .Lfunc_end813-_ZN7rocprim17ROCPRIM_400000_NS6detail17trampoline_kernelINS0_14default_configENS1_25partition_config_selectorILNS1_17partition_subalgoE5EdNS0_10empty_typeEbEEZZNS1_14partition_implILS5_5ELb0ES3_mN6thrust23THRUST_200600_302600_NS6detail15normal_iteratorINSA_10device_ptrIdEEEEPS6_NSA_18transform_iteratorINSB_9not_fun_tINSA_8identityIdEEEESF_NSA_11use_defaultESM_EENS0_5tupleIJSF_S6_EEENSO_IJSG_SG_EEES6_PlJS6_EEE10hipError_tPvRmT3_T4_T5_T6_T7_T9_mT8_P12ihipStream_tbDpT10_ENKUlT_T0_E_clISt17integral_constantIbLb0EES1A_IbLb1EEEEDaS16_S17_EUlS16_E_NS1_11comp_targetILNS1_3genE0ELNS1_11target_archE4294967295ELNS1_3gpuE0ELNS1_3repE0EEENS1_30default_config_static_selectorELNS0_4arch9wavefront6targetE0EEEvT1_
                                        ; -- End function
	.set _ZN7rocprim17ROCPRIM_400000_NS6detail17trampoline_kernelINS0_14default_configENS1_25partition_config_selectorILNS1_17partition_subalgoE5EdNS0_10empty_typeEbEEZZNS1_14partition_implILS5_5ELb0ES3_mN6thrust23THRUST_200600_302600_NS6detail15normal_iteratorINSA_10device_ptrIdEEEEPS6_NSA_18transform_iteratorINSB_9not_fun_tINSA_8identityIdEEEESF_NSA_11use_defaultESM_EENS0_5tupleIJSF_S6_EEENSO_IJSG_SG_EEES6_PlJS6_EEE10hipError_tPvRmT3_T4_T5_T6_T7_T9_mT8_P12ihipStream_tbDpT10_ENKUlT_T0_E_clISt17integral_constantIbLb0EES1A_IbLb1EEEEDaS16_S17_EUlS16_E_NS1_11comp_targetILNS1_3genE0ELNS1_11target_archE4294967295ELNS1_3gpuE0ELNS1_3repE0EEENS1_30default_config_static_selectorELNS0_4arch9wavefront6targetE0EEEvT1_.num_vgpr, 0
	.set _ZN7rocprim17ROCPRIM_400000_NS6detail17trampoline_kernelINS0_14default_configENS1_25partition_config_selectorILNS1_17partition_subalgoE5EdNS0_10empty_typeEbEEZZNS1_14partition_implILS5_5ELb0ES3_mN6thrust23THRUST_200600_302600_NS6detail15normal_iteratorINSA_10device_ptrIdEEEEPS6_NSA_18transform_iteratorINSB_9not_fun_tINSA_8identityIdEEEESF_NSA_11use_defaultESM_EENS0_5tupleIJSF_S6_EEENSO_IJSG_SG_EEES6_PlJS6_EEE10hipError_tPvRmT3_T4_T5_T6_T7_T9_mT8_P12ihipStream_tbDpT10_ENKUlT_T0_E_clISt17integral_constantIbLb0EES1A_IbLb1EEEEDaS16_S17_EUlS16_E_NS1_11comp_targetILNS1_3genE0ELNS1_11target_archE4294967295ELNS1_3gpuE0ELNS1_3repE0EEENS1_30default_config_static_selectorELNS0_4arch9wavefront6targetE0EEEvT1_.num_agpr, 0
	.set _ZN7rocprim17ROCPRIM_400000_NS6detail17trampoline_kernelINS0_14default_configENS1_25partition_config_selectorILNS1_17partition_subalgoE5EdNS0_10empty_typeEbEEZZNS1_14partition_implILS5_5ELb0ES3_mN6thrust23THRUST_200600_302600_NS6detail15normal_iteratorINSA_10device_ptrIdEEEEPS6_NSA_18transform_iteratorINSB_9not_fun_tINSA_8identityIdEEEESF_NSA_11use_defaultESM_EENS0_5tupleIJSF_S6_EEENSO_IJSG_SG_EEES6_PlJS6_EEE10hipError_tPvRmT3_T4_T5_T6_T7_T9_mT8_P12ihipStream_tbDpT10_ENKUlT_T0_E_clISt17integral_constantIbLb0EES1A_IbLb1EEEEDaS16_S17_EUlS16_E_NS1_11comp_targetILNS1_3genE0ELNS1_11target_archE4294967295ELNS1_3gpuE0ELNS1_3repE0EEENS1_30default_config_static_selectorELNS0_4arch9wavefront6targetE0EEEvT1_.numbered_sgpr, 0
	.set _ZN7rocprim17ROCPRIM_400000_NS6detail17trampoline_kernelINS0_14default_configENS1_25partition_config_selectorILNS1_17partition_subalgoE5EdNS0_10empty_typeEbEEZZNS1_14partition_implILS5_5ELb0ES3_mN6thrust23THRUST_200600_302600_NS6detail15normal_iteratorINSA_10device_ptrIdEEEEPS6_NSA_18transform_iteratorINSB_9not_fun_tINSA_8identityIdEEEESF_NSA_11use_defaultESM_EENS0_5tupleIJSF_S6_EEENSO_IJSG_SG_EEES6_PlJS6_EEE10hipError_tPvRmT3_T4_T5_T6_T7_T9_mT8_P12ihipStream_tbDpT10_ENKUlT_T0_E_clISt17integral_constantIbLb0EES1A_IbLb1EEEEDaS16_S17_EUlS16_E_NS1_11comp_targetILNS1_3genE0ELNS1_11target_archE4294967295ELNS1_3gpuE0ELNS1_3repE0EEENS1_30default_config_static_selectorELNS0_4arch9wavefront6targetE0EEEvT1_.num_named_barrier, 0
	.set _ZN7rocprim17ROCPRIM_400000_NS6detail17trampoline_kernelINS0_14default_configENS1_25partition_config_selectorILNS1_17partition_subalgoE5EdNS0_10empty_typeEbEEZZNS1_14partition_implILS5_5ELb0ES3_mN6thrust23THRUST_200600_302600_NS6detail15normal_iteratorINSA_10device_ptrIdEEEEPS6_NSA_18transform_iteratorINSB_9not_fun_tINSA_8identityIdEEEESF_NSA_11use_defaultESM_EENS0_5tupleIJSF_S6_EEENSO_IJSG_SG_EEES6_PlJS6_EEE10hipError_tPvRmT3_T4_T5_T6_T7_T9_mT8_P12ihipStream_tbDpT10_ENKUlT_T0_E_clISt17integral_constantIbLb0EES1A_IbLb1EEEEDaS16_S17_EUlS16_E_NS1_11comp_targetILNS1_3genE0ELNS1_11target_archE4294967295ELNS1_3gpuE0ELNS1_3repE0EEENS1_30default_config_static_selectorELNS0_4arch9wavefront6targetE0EEEvT1_.private_seg_size, 0
	.set _ZN7rocprim17ROCPRIM_400000_NS6detail17trampoline_kernelINS0_14default_configENS1_25partition_config_selectorILNS1_17partition_subalgoE5EdNS0_10empty_typeEbEEZZNS1_14partition_implILS5_5ELb0ES3_mN6thrust23THRUST_200600_302600_NS6detail15normal_iteratorINSA_10device_ptrIdEEEEPS6_NSA_18transform_iteratorINSB_9not_fun_tINSA_8identityIdEEEESF_NSA_11use_defaultESM_EENS0_5tupleIJSF_S6_EEENSO_IJSG_SG_EEES6_PlJS6_EEE10hipError_tPvRmT3_T4_T5_T6_T7_T9_mT8_P12ihipStream_tbDpT10_ENKUlT_T0_E_clISt17integral_constantIbLb0EES1A_IbLb1EEEEDaS16_S17_EUlS16_E_NS1_11comp_targetILNS1_3genE0ELNS1_11target_archE4294967295ELNS1_3gpuE0ELNS1_3repE0EEENS1_30default_config_static_selectorELNS0_4arch9wavefront6targetE0EEEvT1_.uses_vcc, 0
	.set _ZN7rocprim17ROCPRIM_400000_NS6detail17trampoline_kernelINS0_14default_configENS1_25partition_config_selectorILNS1_17partition_subalgoE5EdNS0_10empty_typeEbEEZZNS1_14partition_implILS5_5ELb0ES3_mN6thrust23THRUST_200600_302600_NS6detail15normal_iteratorINSA_10device_ptrIdEEEEPS6_NSA_18transform_iteratorINSB_9not_fun_tINSA_8identityIdEEEESF_NSA_11use_defaultESM_EENS0_5tupleIJSF_S6_EEENSO_IJSG_SG_EEES6_PlJS6_EEE10hipError_tPvRmT3_T4_T5_T6_T7_T9_mT8_P12ihipStream_tbDpT10_ENKUlT_T0_E_clISt17integral_constantIbLb0EES1A_IbLb1EEEEDaS16_S17_EUlS16_E_NS1_11comp_targetILNS1_3genE0ELNS1_11target_archE4294967295ELNS1_3gpuE0ELNS1_3repE0EEENS1_30default_config_static_selectorELNS0_4arch9wavefront6targetE0EEEvT1_.uses_flat_scratch, 0
	.set _ZN7rocprim17ROCPRIM_400000_NS6detail17trampoline_kernelINS0_14default_configENS1_25partition_config_selectorILNS1_17partition_subalgoE5EdNS0_10empty_typeEbEEZZNS1_14partition_implILS5_5ELb0ES3_mN6thrust23THRUST_200600_302600_NS6detail15normal_iteratorINSA_10device_ptrIdEEEEPS6_NSA_18transform_iteratorINSB_9not_fun_tINSA_8identityIdEEEESF_NSA_11use_defaultESM_EENS0_5tupleIJSF_S6_EEENSO_IJSG_SG_EEES6_PlJS6_EEE10hipError_tPvRmT3_T4_T5_T6_T7_T9_mT8_P12ihipStream_tbDpT10_ENKUlT_T0_E_clISt17integral_constantIbLb0EES1A_IbLb1EEEEDaS16_S17_EUlS16_E_NS1_11comp_targetILNS1_3genE0ELNS1_11target_archE4294967295ELNS1_3gpuE0ELNS1_3repE0EEENS1_30default_config_static_selectorELNS0_4arch9wavefront6targetE0EEEvT1_.has_dyn_sized_stack, 0
	.set _ZN7rocprim17ROCPRIM_400000_NS6detail17trampoline_kernelINS0_14default_configENS1_25partition_config_selectorILNS1_17partition_subalgoE5EdNS0_10empty_typeEbEEZZNS1_14partition_implILS5_5ELb0ES3_mN6thrust23THRUST_200600_302600_NS6detail15normal_iteratorINSA_10device_ptrIdEEEEPS6_NSA_18transform_iteratorINSB_9not_fun_tINSA_8identityIdEEEESF_NSA_11use_defaultESM_EENS0_5tupleIJSF_S6_EEENSO_IJSG_SG_EEES6_PlJS6_EEE10hipError_tPvRmT3_T4_T5_T6_T7_T9_mT8_P12ihipStream_tbDpT10_ENKUlT_T0_E_clISt17integral_constantIbLb0EES1A_IbLb1EEEEDaS16_S17_EUlS16_E_NS1_11comp_targetILNS1_3genE0ELNS1_11target_archE4294967295ELNS1_3gpuE0ELNS1_3repE0EEENS1_30default_config_static_selectorELNS0_4arch9wavefront6targetE0EEEvT1_.has_recursion, 0
	.set _ZN7rocprim17ROCPRIM_400000_NS6detail17trampoline_kernelINS0_14default_configENS1_25partition_config_selectorILNS1_17partition_subalgoE5EdNS0_10empty_typeEbEEZZNS1_14partition_implILS5_5ELb0ES3_mN6thrust23THRUST_200600_302600_NS6detail15normal_iteratorINSA_10device_ptrIdEEEEPS6_NSA_18transform_iteratorINSB_9not_fun_tINSA_8identityIdEEEESF_NSA_11use_defaultESM_EENS0_5tupleIJSF_S6_EEENSO_IJSG_SG_EEES6_PlJS6_EEE10hipError_tPvRmT3_T4_T5_T6_T7_T9_mT8_P12ihipStream_tbDpT10_ENKUlT_T0_E_clISt17integral_constantIbLb0EES1A_IbLb1EEEEDaS16_S17_EUlS16_E_NS1_11comp_targetILNS1_3genE0ELNS1_11target_archE4294967295ELNS1_3gpuE0ELNS1_3repE0EEENS1_30default_config_static_selectorELNS0_4arch9wavefront6targetE0EEEvT1_.has_indirect_call, 0
	.section	.AMDGPU.csdata,"",@progbits
; Kernel info:
; codeLenInByte = 0
; TotalNumSgprs: 0
; NumVgprs: 0
; ScratchSize: 0
; MemoryBound: 0
; FloatMode: 240
; IeeeMode: 1
; LDSByteSize: 0 bytes/workgroup (compile time only)
; SGPRBlocks: 0
; VGPRBlocks: 0
; NumSGPRsForWavesPerEU: 1
; NumVGPRsForWavesPerEU: 1
; Occupancy: 16
; WaveLimiterHint : 0
; COMPUTE_PGM_RSRC2:SCRATCH_EN: 0
; COMPUTE_PGM_RSRC2:USER_SGPR: 2
; COMPUTE_PGM_RSRC2:TRAP_HANDLER: 0
; COMPUTE_PGM_RSRC2:TGID_X_EN: 1
; COMPUTE_PGM_RSRC2:TGID_Y_EN: 0
; COMPUTE_PGM_RSRC2:TGID_Z_EN: 0
; COMPUTE_PGM_RSRC2:TIDIG_COMP_CNT: 0
	.section	.text._ZN7rocprim17ROCPRIM_400000_NS6detail17trampoline_kernelINS0_14default_configENS1_25partition_config_selectorILNS1_17partition_subalgoE5EdNS0_10empty_typeEbEEZZNS1_14partition_implILS5_5ELb0ES3_mN6thrust23THRUST_200600_302600_NS6detail15normal_iteratorINSA_10device_ptrIdEEEEPS6_NSA_18transform_iteratorINSB_9not_fun_tINSA_8identityIdEEEESF_NSA_11use_defaultESM_EENS0_5tupleIJSF_S6_EEENSO_IJSG_SG_EEES6_PlJS6_EEE10hipError_tPvRmT3_T4_T5_T6_T7_T9_mT8_P12ihipStream_tbDpT10_ENKUlT_T0_E_clISt17integral_constantIbLb0EES1A_IbLb1EEEEDaS16_S17_EUlS16_E_NS1_11comp_targetILNS1_3genE5ELNS1_11target_archE942ELNS1_3gpuE9ELNS1_3repE0EEENS1_30default_config_static_selectorELNS0_4arch9wavefront6targetE0EEEvT1_,"axG",@progbits,_ZN7rocprim17ROCPRIM_400000_NS6detail17trampoline_kernelINS0_14default_configENS1_25partition_config_selectorILNS1_17partition_subalgoE5EdNS0_10empty_typeEbEEZZNS1_14partition_implILS5_5ELb0ES3_mN6thrust23THRUST_200600_302600_NS6detail15normal_iteratorINSA_10device_ptrIdEEEEPS6_NSA_18transform_iteratorINSB_9not_fun_tINSA_8identityIdEEEESF_NSA_11use_defaultESM_EENS0_5tupleIJSF_S6_EEENSO_IJSG_SG_EEES6_PlJS6_EEE10hipError_tPvRmT3_T4_T5_T6_T7_T9_mT8_P12ihipStream_tbDpT10_ENKUlT_T0_E_clISt17integral_constantIbLb0EES1A_IbLb1EEEEDaS16_S17_EUlS16_E_NS1_11comp_targetILNS1_3genE5ELNS1_11target_archE942ELNS1_3gpuE9ELNS1_3repE0EEENS1_30default_config_static_selectorELNS0_4arch9wavefront6targetE0EEEvT1_,comdat
	.protected	_ZN7rocprim17ROCPRIM_400000_NS6detail17trampoline_kernelINS0_14default_configENS1_25partition_config_selectorILNS1_17partition_subalgoE5EdNS0_10empty_typeEbEEZZNS1_14partition_implILS5_5ELb0ES3_mN6thrust23THRUST_200600_302600_NS6detail15normal_iteratorINSA_10device_ptrIdEEEEPS6_NSA_18transform_iteratorINSB_9not_fun_tINSA_8identityIdEEEESF_NSA_11use_defaultESM_EENS0_5tupleIJSF_S6_EEENSO_IJSG_SG_EEES6_PlJS6_EEE10hipError_tPvRmT3_T4_T5_T6_T7_T9_mT8_P12ihipStream_tbDpT10_ENKUlT_T0_E_clISt17integral_constantIbLb0EES1A_IbLb1EEEEDaS16_S17_EUlS16_E_NS1_11comp_targetILNS1_3genE5ELNS1_11target_archE942ELNS1_3gpuE9ELNS1_3repE0EEENS1_30default_config_static_selectorELNS0_4arch9wavefront6targetE0EEEvT1_ ; -- Begin function _ZN7rocprim17ROCPRIM_400000_NS6detail17trampoline_kernelINS0_14default_configENS1_25partition_config_selectorILNS1_17partition_subalgoE5EdNS0_10empty_typeEbEEZZNS1_14partition_implILS5_5ELb0ES3_mN6thrust23THRUST_200600_302600_NS6detail15normal_iteratorINSA_10device_ptrIdEEEEPS6_NSA_18transform_iteratorINSB_9not_fun_tINSA_8identityIdEEEESF_NSA_11use_defaultESM_EENS0_5tupleIJSF_S6_EEENSO_IJSG_SG_EEES6_PlJS6_EEE10hipError_tPvRmT3_T4_T5_T6_T7_T9_mT8_P12ihipStream_tbDpT10_ENKUlT_T0_E_clISt17integral_constantIbLb0EES1A_IbLb1EEEEDaS16_S17_EUlS16_E_NS1_11comp_targetILNS1_3genE5ELNS1_11target_archE942ELNS1_3gpuE9ELNS1_3repE0EEENS1_30default_config_static_selectorELNS0_4arch9wavefront6targetE0EEEvT1_
	.globl	_ZN7rocprim17ROCPRIM_400000_NS6detail17trampoline_kernelINS0_14default_configENS1_25partition_config_selectorILNS1_17partition_subalgoE5EdNS0_10empty_typeEbEEZZNS1_14partition_implILS5_5ELb0ES3_mN6thrust23THRUST_200600_302600_NS6detail15normal_iteratorINSA_10device_ptrIdEEEEPS6_NSA_18transform_iteratorINSB_9not_fun_tINSA_8identityIdEEEESF_NSA_11use_defaultESM_EENS0_5tupleIJSF_S6_EEENSO_IJSG_SG_EEES6_PlJS6_EEE10hipError_tPvRmT3_T4_T5_T6_T7_T9_mT8_P12ihipStream_tbDpT10_ENKUlT_T0_E_clISt17integral_constantIbLb0EES1A_IbLb1EEEEDaS16_S17_EUlS16_E_NS1_11comp_targetILNS1_3genE5ELNS1_11target_archE942ELNS1_3gpuE9ELNS1_3repE0EEENS1_30default_config_static_selectorELNS0_4arch9wavefront6targetE0EEEvT1_
	.p2align	8
	.type	_ZN7rocprim17ROCPRIM_400000_NS6detail17trampoline_kernelINS0_14default_configENS1_25partition_config_selectorILNS1_17partition_subalgoE5EdNS0_10empty_typeEbEEZZNS1_14partition_implILS5_5ELb0ES3_mN6thrust23THRUST_200600_302600_NS6detail15normal_iteratorINSA_10device_ptrIdEEEEPS6_NSA_18transform_iteratorINSB_9not_fun_tINSA_8identityIdEEEESF_NSA_11use_defaultESM_EENS0_5tupleIJSF_S6_EEENSO_IJSG_SG_EEES6_PlJS6_EEE10hipError_tPvRmT3_T4_T5_T6_T7_T9_mT8_P12ihipStream_tbDpT10_ENKUlT_T0_E_clISt17integral_constantIbLb0EES1A_IbLb1EEEEDaS16_S17_EUlS16_E_NS1_11comp_targetILNS1_3genE5ELNS1_11target_archE942ELNS1_3gpuE9ELNS1_3repE0EEENS1_30default_config_static_selectorELNS0_4arch9wavefront6targetE0EEEvT1_,@function
_ZN7rocprim17ROCPRIM_400000_NS6detail17trampoline_kernelINS0_14default_configENS1_25partition_config_selectorILNS1_17partition_subalgoE5EdNS0_10empty_typeEbEEZZNS1_14partition_implILS5_5ELb0ES3_mN6thrust23THRUST_200600_302600_NS6detail15normal_iteratorINSA_10device_ptrIdEEEEPS6_NSA_18transform_iteratorINSB_9not_fun_tINSA_8identityIdEEEESF_NSA_11use_defaultESM_EENS0_5tupleIJSF_S6_EEENSO_IJSG_SG_EEES6_PlJS6_EEE10hipError_tPvRmT3_T4_T5_T6_T7_T9_mT8_P12ihipStream_tbDpT10_ENKUlT_T0_E_clISt17integral_constantIbLb0EES1A_IbLb1EEEEDaS16_S17_EUlS16_E_NS1_11comp_targetILNS1_3genE5ELNS1_11target_archE942ELNS1_3gpuE9ELNS1_3repE0EEENS1_30default_config_static_selectorELNS0_4arch9wavefront6targetE0EEEvT1_: ; @_ZN7rocprim17ROCPRIM_400000_NS6detail17trampoline_kernelINS0_14default_configENS1_25partition_config_selectorILNS1_17partition_subalgoE5EdNS0_10empty_typeEbEEZZNS1_14partition_implILS5_5ELb0ES3_mN6thrust23THRUST_200600_302600_NS6detail15normal_iteratorINSA_10device_ptrIdEEEEPS6_NSA_18transform_iteratorINSB_9not_fun_tINSA_8identityIdEEEESF_NSA_11use_defaultESM_EENS0_5tupleIJSF_S6_EEENSO_IJSG_SG_EEES6_PlJS6_EEE10hipError_tPvRmT3_T4_T5_T6_T7_T9_mT8_P12ihipStream_tbDpT10_ENKUlT_T0_E_clISt17integral_constantIbLb0EES1A_IbLb1EEEEDaS16_S17_EUlS16_E_NS1_11comp_targetILNS1_3genE5ELNS1_11target_archE942ELNS1_3gpuE9ELNS1_3repE0EEENS1_30default_config_static_selectorELNS0_4arch9wavefront6targetE0EEEvT1_
; %bb.0:
	.section	.rodata,"a",@progbits
	.p2align	6, 0x0
	.amdhsa_kernel _ZN7rocprim17ROCPRIM_400000_NS6detail17trampoline_kernelINS0_14default_configENS1_25partition_config_selectorILNS1_17partition_subalgoE5EdNS0_10empty_typeEbEEZZNS1_14partition_implILS5_5ELb0ES3_mN6thrust23THRUST_200600_302600_NS6detail15normal_iteratorINSA_10device_ptrIdEEEEPS6_NSA_18transform_iteratorINSB_9not_fun_tINSA_8identityIdEEEESF_NSA_11use_defaultESM_EENS0_5tupleIJSF_S6_EEENSO_IJSG_SG_EEES6_PlJS6_EEE10hipError_tPvRmT3_T4_T5_T6_T7_T9_mT8_P12ihipStream_tbDpT10_ENKUlT_T0_E_clISt17integral_constantIbLb0EES1A_IbLb1EEEEDaS16_S17_EUlS16_E_NS1_11comp_targetILNS1_3genE5ELNS1_11target_archE942ELNS1_3gpuE9ELNS1_3repE0EEENS1_30default_config_static_selectorELNS0_4arch9wavefront6targetE0EEEvT1_
		.amdhsa_group_segment_fixed_size 0
		.amdhsa_private_segment_fixed_size 0
		.amdhsa_kernarg_size 136
		.amdhsa_user_sgpr_count 2
		.amdhsa_user_sgpr_dispatch_ptr 0
		.amdhsa_user_sgpr_queue_ptr 0
		.amdhsa_user_sgpr_kernarg_segment_ptr 1
		.amdhsa_user_sgpr_dispatch_id 0
		.amdhsa_user_sgpr_private_segment_size 0
		.amdhsa_wavefront_size32 1
		.amdhsa_uses_dynamic_stack 0
		.amdhsa_enable_private_segment 0
		.amdhsa_system_sgpr_workgroup_id_x 1
		.amdhsa_system_sgpr_workgroup_id_y 0
		.amdhsa_system_sgpr_workgroup_id_z 0
		.amdhsa_system_sgpr_workgroup_info 0
		.amdhsa_system_vgpr_workitem_id 0
		.amdhsa_next_free_vgpr 1
		.amdhsa_next_free_sgpr 1
		.amdhsa_reserve_vcc 0
		.amdhsa_float_round_mode_32 0
		.amdhsa_float_round_mode_16_64 0
		.amdhsa_float_denorm_mode_32 3
		.amdhsa_float_denorm_mode_16_64 3
		.amdhsa_fp16_overflow 0
		.amdhsa_workgroup_processor_mode 1
		.amdhsa_memory_ordered 1
		.amdhsa_forward_progress 1
		.amdhsa_inst_pref_size 0
		.amdhsa_round_robin_scheduling 0
		.amdhsa_exception_fp_ieee_invalid_op 0
		.amdhsa_exception_fp_denorm_src 0
		.amdhsa_exception_fp_ieee_div_zero 0
		.amdhsa_exception_fp_ieee_overflow 0
		.amdhsa_exception_fp_ieee_underflow 0
		.amdhsa_exception_fp_ieee_inexact 0
		.amdhsa_exception_int_div_zero 0
	.end_amdhsa_kernel
	.section	.text._ZN7rocprim17ROCPRIM_400000_NS6detail17trampoline_kernelINS0_14default_configENS1_25partition_config_selectorILNS1_17partition_subalgoE5EdNS0_10empty_typeEbEEZZNS1_14partition_implILS5_5ELb0ES3_mN6thrust23THRUST_200600_302600_NS6detail15normal_iteratorINSA_10device_ptrIdEEEEPS6_NSA_18transform_iteratorINSB_9not_fun_tINSA_8identityIdEEEESF_NSA_11use_defaultESM_EENS0_5tupleIJSF_S6_EEENSO_IJSG_SG_EEES6_PlJS6_EEE10hipError_tPvRmT3_T4_T5_T6_T7_T9_mT8_P12ihipStream_tbDpT10_ENKUlT_T0_E_clISt17integral_constantIbLb0EES1A_IbLb1EEEEDaS16_S17_EUlS16_E_NS1_11comp_targetILNS1_3genE5ELNS1_11target_archE942ELNS1_3gpuE9ELNS1_3repE0EEENS1_30default_config_static_selectorELNS0_4arch9wavefront6targetE0EEEvT1_,"axG",@progbits,_ZN7rocprim17ROCPRIM_400000_NS6detail17trampoline_kernelINS0_14default_configENS1_25partition_config_selectorILNS1_17partition_subalgoE5EdNS0_10empty_typeEbEEZZNS1_14partition_implILS5_5ELb0ES3_mN6thrust23THRUST_200600_302600_NS6detail15normal_iteratorINSA_10device_ptrIdEEEEPS6_NSA_18transform_iteratorINSB_9not_fun_tINSA_8identityIdEEEESF_NSA_11use_defaultESM_EENS0_5tupleIJSF_S6_EEENSO_IJSG_SG_EEES6_PlJS6_EEE10hipError_tPvRmT3_T4_T5_T6_T7_T9_mT8_P12ihipStream_tbDpT10_ENKUlT_T0_E_clISt17integral_constantIbLb0EES1A_IbLb1EEEEDaS16_S17_EUlS16_E_NS1_11comp_targetILNS1_3genE5ELNS1_11target_archE942ELNS1_3gpuE9ELNS1_3repE0EEENS1_30default_config_static_selectorELNS0_4arch9wavefront6targetE0EEEvT1_,comdat
.Lfunc_end814:
	.size	_ZN7rocprim17ROCPRIM_400000_NS6detail17trampoline_kernelINS0_14default_configENS1_25partition_config_selectorILNS1_17partition_subalgoE5EdNS0_10empty_typeEbEEZZNS1_14partition_implILS5_5ELb0ES3_mN6thrust23THRUST_200600_302600_NS6detail15normal_iteratorINSA_10device_ptrIdEEEEPS6_NSA_18transform_iteratorINSB_9not_fun_tINSA_8identityIdEEEESF_NSA_11use_defaultESM_EENS0_5tupleIJSF_S6_EEENSO_IJSG_SG_EEES6_PlJS6_EEE10hipError_tPvRmT3_T4_T5_T6_T7_T9_mT8_P12ihipStream_tbDpT10_ENKUlT_T0_E_clISt17integral_constantIbLb0EES1A_IbLb1EEEEDaS16_S17_EUlS16_E_NS1_11comp_targetILNS1_3genE5ELNS1_11target_archE942ELNS1_3gpuE9ELNS1_3repE0EEENS1_30default_config_static_selectorELNS0_4arch9wavefront6targetE0EEEvT1_, .Lfunc_end814-_ZN7rocprim17ROCPRIM_400000_NS6detail17trampoline_kernelINS0_14default_configENS1_25partition_config_selectorILNS1_17partition_subalgoE5EdNS0_10empty_typeEbEEZZNS1_14partition_implILS5_5ELb0ES3_mN6thrust23THRUST_200600_302600_NS6detail15normal_iteratorINSA_10device_ptrIdEEEEPS6_NSA_18transform_iteratorINSB_9not_fun_tINSA_8identityIdEEEESF_NSA_11use_defaultESM_EENS0_5tupleIJSF_S6_EEENSO_IJSG_SG_EEES6_PlJS6_EEE10hipError_tPvRmT3_T4_T5_T6_T7_T9_mT8_P12ihipStream_tbDpT10_ENKUlT_T0_E_clISt17integral_constantIbLb0EES1A_IbLb1EEEEDaS16_S17_EUlS16_E_NS1_11comp_targetILNS1_3genE5ELNS1_11target_archE942ELNS1_3gpuE9ELNS1_3repE0EEENS1_30default_config_static_selectorELNS0_4arch9wavefront6targetE0EEEvT1_
                                        ; -- End function
	.set _ZN7rocprim17ROCPRIM_400000_NS6detail17trampoline_kernelINS0_14default_configENS1_25partition_config_selectorILNS1_17partition_subalgoE5EdNS0_10empty_typeEbEEZZNS1_14partition_implILS5_5ELb0ES3_mN6thrust23THRUST_200600_302600_NS6detail15normal_iteratorINSA_10device_ptrIdEEEEPS6_NSA_18transform_iteratorINSB_9not_fun_tINSA_8identityIdEEEESF_NSA_11use_defaultESM_EENS0_5tupleIJSF_S6_EEENSO_IJSG_SG_EEES6_PlJS6_EEE10hipError_tPvRmT3_T4_T5_T6_T7_T9_mT8_P12ihipStream_tbDpT10_ENKUlT_T0_E_clISt17integral_constantIbLb0EES1A_IbLb1EEEEDaS16_S17_EUlS16_E_NS1_11comp_targetILNS1_3genE5ELNS1_11target_archE942ELNS1_3gpuE9ELNS1_3repE0EEENS1_30default_config_static_selectorELNS0_4arch9wavefront6targetE0EEEvT1_.num_vgpr, 0
	.set _ZN7rocprim17ROCPRIM_400000_NS6detail17trampoline_kernelINS0_14default_configENS1_25partition_config_selectorILNS1_17partition_subalgoE5EdNS0_10empty_typeEbEEZZNS1_14partition_implILS5_5ELb0ES3_mN6thrust23THRUST_200600_302600_NS6detail15normal_iteratorINSA_10device_ptrIdEEEEPS6_NSA_18transform_iteratorINSB_9not_fun_tINSA_8identityIdEEEESF_NSA_11use_defaultESM_EENS0_5tupleIJSF_S6_EEENSO_IJSG_SG_EEES6_PlJS6_EEE10hipError_tPvRmT3_T4_T5_T6_T7_T9_mT8_P12ihipStream_tbDpT10_ENKUlT_T0_E_clISt17integral_constantIbLb0EES1A_IbLb1EEEEDaS16_S17_EUlS16_E_NS1_11comp_targetILNS1_3genE5ELNS1_11target_archE942ELNS1_3gpuE9ELNS1_3repE0EEENS1_30default_config_static_selectorELNS0_4arch9wavefront6targetE0EEEvT1_.num_agpr, 0
	.set _ZN7rocprim17ROCPRIM_400000_NS6detail17trampoline_kernelINS0_14default_configENS1_25partition_config_selectorILNS1_17partition_subalgoE5EdNS0_10empty_typeEbEEZZNS1_14partition_implILS5_5ELb0ES3_mN6thrust23THRUST_200600_302600_NS6detail15normal_iteratorINSA_10device_ptrIdEEEEPS6_NSA_18transform_iteratorINSB_9not_fun_tINSA_8identityIdEEEESF_NSA_11use_defaultESM_EENS0_5tupleIJSF_S6_EEENSO_IJSG_SG_EEES6_PlJS6_EEE10hipError_tPvRmT3_T4_T5_T6_T7_T9_mT8_P12ihipStream_tbDpT10_ENKUlT_T0_E_clISt17integral_constantIbLb0EES1A_IbLb1EEEEDaS16_S17_EUlS16_E_NS1_11comp_targetILNS1_3genE5ELNS1_11target_archE942ELNS1_3gpuE9ELNS1_3repE0EEENS1_30default_config_static_selectorELNS0_4arch9wavefront6targetE0EEEvT1_.numbered_sgpr, 0
	.set _ZN7rocprim17ROCPRIM_400000_NS6detail17trampoline_kernelINS0_14default_configENS1_25partition_config_selectorILNS1_17partition_subalgoE5EdNS0_10empty_typeEbEEZZNS1_14partition_implILS5_5ELb0ES3_mN6thrust23THRUST_200600_302600_NS6detail15normal_iteratorINSA_10device_ptrIdEEEEPS6_NSA_18transform_iteratorINSB_9not_fun_tINSA_8identityIdEEEESF_NSA_11use_defaultESM_EENS0_5tupleIJSF_S6_EEENSO_IJSG_SG_EEES6_PlJS6_EEE10hipError_tPvRmT3_T4_T5_T6_T7_T9_mT8_P12ihipStream_tbDpT10_ENKUlT_T0_E_clISt17integral_constantIbLb0EES1A_IbLb1EEEEDaS16_S17_EUlS16_E_NS1_11comp_targetILNS1_3genE5ELNS1_11target_archE942ELNS1_3gpuE9ELNS1_3repE0EEENS1_30default_config_static_selectorELNS0_4arch9wavefront6targetE0EEEvT1_.num_named_barrier, 0
	.set _ZN7rocprim17ROCPRIM_400000_NS6detail17trampoline_kernelINS0_14default_configENS1_25partition_config_selectorILNS1_17partition_subalgoE5EdNS0_10empty_typeEbEEZZNS1_14partition_implILS5_5ELb0ES3_mN6thrust23THRUST_200600_302600_NS6detail15normal_iteratorINSA_10device_ptrIdEEEEPS6_NSA_18transform_iteratorINSB_9not_fun_tINSA_8identityIdEEEESF_NSA_11use_defaultESM_EENS0_5tupleIJSF_S6_EEENSO_IJSG_SG_EEES6_PlJS6_EEE10hipError_tPvRmT3_T4_T5_T6_T7_T9_mT8_P12ihipStream_tbDpT10_ENKUlT_T0_E_clISt17integral_constantIbLb0EES1A_IbLb1EEEEDaS16_S17_EUlS16_E_NS1_11comp_targetILNS1_3genE5ELNS1_11target_archE942ELNS1_3gpuE9ELNS1_3repE0EEENS1_30default_config_static_selectorELNS0_4arch9wavefront6targetE0EEEvT1_.private_seg_size, 0
	.set _ZN7rocprim17ROCPRIM_400000_NS6detail17trampoline_kernelINS0_14default_configENS1_25partition_config_selectorILNS1_17partition_subalgoE5EdNS0_10empty_typeEbEEZZNS1_14partition_implILS5_5ELb0ES3_mN6thrust23THRUST_200600_302600_NS6detail15normal_iteratorINSA_10device_ptrIdEEEEPS6_NSA_18transform_iteratorINSB_9not_fun_tINSA_8identityIdEEEESF_NSA_11use_defaultESM_EENS0_5tupleIJSF_S6_EEENSO_IJSG_SG_EEES6_PlJS6_EEE10hipError_tPvRmT3_T4_T5_T6_T7_T9_mT8_P12ihipStream_tbDpT10_ENKUlT_T0_E_clISt17integral_constantIbLb0EES1A_IbLb1EEEEDaS16_S17_EUlS16_E_NS1_11comp_targetILNS1_3genE5ELNS1_11target_archE942ELNS1_3gpuE9ELNS1_3repE0EEENS1_30default_config_static_selectorELNS0_4arch9wavefront6targetE0EEEvT1_.uses_vcc, 0
	.set _ZN7rocprim17ROCPRIM_400000_NS6detail17trampoline_kernelINS0_14default_configENS1_25partition_config_selectorILNS1_17partition_subalgoE5EdNS0_10empty_typeEbEEZZNS1_14partition_implILS5_5ELb0ES3_mN6thrust23THRUST_200600_302600_NS6detail15normal_iteratorINSA_10device_ptrIdEEEEPS6_NSA_18transform_iteratorINSB_9not_fun_tINSA_8identityIdEEEESF_NSA_11use_defaultESM_EENS0_5tupleIJSF_S6_EEENSO_IJSG_SG_EEES6_PlJS6_EEE10hipError_tPvRmT3_T4_T5_T6_T7_T9_mT8_P12ihipStream_tbDpT10_ENKUlT_T0_E_clISt17integral_constantIbLb0EES1A_IbLb1EEEEDaS16_S17_EUlS16_E_NS1_11comp_targetILNS1_3genE5ELNS1_11target_archE942ELNS1_3gpuE9ELNS1_3repE0EEENS1_30default_config_static_selectorELNS0_4arch9wavefront6targetE0EEEvT1_.uses_flat_scratch, 0
	.set _ZN7rocprim17ROCPRIM_400000_NS6detail17trampoline_kernelINS0_14default_configENS1_25partition_config_selectorILNS1_17partition_subalgoE5EdNS0_10empty_typeEbEEZZNS1_14partition_implILS5_5ELb0ES3_mN6thrust23THRUST_200600_302600_NS6detail15normal_iteratorINSA_10device_ptrIdEEEEPS6_NSA_18transform_iteratorINSB_9not_fun_tINSA_8identityIdEEEESF_NSA_11use_defaultESM_EENS0_5tupleIJSF_S6_EEENSO_IJSG_SG_EEES6_PlJS6_EEE10hipError_tPvRmT3_T4_T5_T6_T7_T9_mT8_P12ihipStream_tbDpT10_ENKUlT_T0_E_clISt17integral_constantIbLb0EES1A_IbLb1EEEEDaS16_S17_EUlS16_E_NS1_11comp_targetILNS1_3genE5ELNS1_11target_archE942ELNS1_3gpuE9ELNS1_3repE0EEENS1_30default_config_static_selectorELNS0_4arch9wavefront6targetE0EEEvT1_.has_dyn_sized_stack, 0
	.set _ZN7rocprim17ROCPRIM_400000_NS6detail17trampoline_kernelINS0_14default_configENS1_25partition_config_selectorILNS1_17partition_subalgoE5EdNS0_10empty_typeEbEEZZNS1_14partition_implILS5_5ELb0ES3_mN6thrust23THRUST_200600_302600_NS6detail15normal_iteratorINSA_10device_ptrIdEEEEPS6_NSA_18transform_iteratorINSB_9not_fun_tINSA_8identityIdEEEESF_NSA_11use_defaultESM_EENS0_5tupleIJSF_S6_EEENSO_IJSG_SG_EEES6_PlJS6_EEE10hipError_tPvRmT3_T4_T5_T6_T7_T9_mT8_P12ihipStream_tbDpT10_ENKUlT_T0_E_clISt17integral_constantIbLb0EES1A_IbLb1EEEEDaS16_S17_EUlS16_E_NS1_11comp_targetILNS1_3genE5ELNS1_11target_archE942ELNS1_3gpuE9ELNS1_3repE0EEENS1_30default_config_static_selectorELNS0_4arch9wavefront6targetE0EEEvT1_.has_recursion, 0
	.set _ZN7rocprim17ROCPRIM_400000_NS6detail17trampoline_kernelINS0_14default_configENS1_25partition_config_selectorILNS1_17partition_subalgoE5EdNS0_10empty_typeEbEEZZNS1_14partition_implILS5_5ELb0ES3_mN6thrust23THRUST_200600_302600_NS6detail15normal_iteratorINSA_10device_ptrIdEEEEPS6_NSA_18transform_iteratorINSB_9not_fun_tINSA_8identityIdEEEESF_NSA_11use_defaultESM_EENS0_5tupleIJSF_S6_EEENSO_IJSG_SG_EEES6_PlJS6_EEE10hipError_tPvRmT3_T4_T5_T6_T7_T9_mT8_P12ihipStream_tbDpT10_ENKUlT_T0_E_clISt17integral_constantIbLb0EES1A_IbLb1EEEEDaS16_S17_EUlS16_E_NS1_11comp_targetILNS1_3genE5ELNS1_11target_archE942ELNS1_3gpuE9ELNS1_3repE0EEENS1_30default_config_static_selectorELNS0_4arch9wavefront6targetE0EEEvT1_.has_indirect_call, 0
	.section	.AMDGPU.csdata,"",@progbits
; Kernel info:
; codeLenInByte = 0
; TotalNumSgprs: 0
; NumVgprs: 0
; ScratchSize: 0
; MemoryBound: 0
; FloatMode: 240
; IeeeMode: 1
; LDSByteSize: 0 bytes/workgroup (compile time only)
; SGPRBlocks: 0
; VGPRBlocks: 0
; NumSGPRsForWavesPerEU: 1
; NumVGPRsForWavesPerEU: 1
; Occupancy: 16
; WaveLimiterHint : 0
; COMPUTE_PGM_RSRC2:SCRATCH_EN: 0
; COMPUTE_PGM_RSRC2:USER_SGPR: 2
; COMPUTE_PGM_RSRC2:TRAP_HANDLER: 0
; COMPUTE_PGM_RSRC2:TGID_X_EN: 1
; COMPUTE_PGM_RSRC2:TGID_Y_EN: 0
; COMPUTE_PGM_RSRC2:TGID_Z_EN: 0
; COMPUTE_PGM_RSRC2:TIDIG_COMP_CNT: 0
	.section	.text._ZN7rocprim17ROCPRIM_400000_NS6detail17trampoline_kernelINS0_14default_configENS1_25partition_config_selectorILNS1_17partition_subalgoE5EdNS0_10empty_typeEbEEZZNS1_14partition_implILS5_5ELb0ES3_mN6thrust23THRUST_200600_302600_NS6detail15normal_iteratorINSA_10device_ptrIdEEEEPS6_NSA_18transform_iteratorINSB_9not_fun_tINSA_8identityIdEEEESF_NSA_11use_defaultESM_EENS0_5tupleIJSF_S6_EEENSO_IJSG_SG_EEES6_PlJS6_EEE10hipError_tPvRmT3_T4_T5_T6_T7_T9_mT8_P12ihipStream_tbDpT10_ENKUlT_T0_E_clISt17integral_constantIbLb0EES1A_IbLb1EEEEDaS16_S17_EUlS16_E_NS1_11comp_targetILNS1_3genE4ELNS1_11target_archE910ELNS1_3gpuE8ELNS1_3repE0EEENS1_30default_config_static_selectorELNS0_4arch9wavefront6targetE0EEEvT1_,"axG",@progbits,_ZN7rocprim17ROCPRIM_400000_NS6detail17trampoline_kernelINS0_14default_configENS1_25partition_config_selectorILNS1_17partition_subalgoE5EdNS0_10empty_typeEbEEZZNS1_14partition_implILS5_5ELb0ES3_mN6thrust23THRUST_200600_302600_NS6detail15normal_iteratorINSA_10device_ptrIdEEEEPS6_NSA_18transform_iteratorINSB_9not_fun_tINSA_8identityIdEEEESF_NSA_11use_defaultESM_EENS0_5tupleIJSF_S6_EEENSO_IJSG_SG_EEES6_PlJS6_EEE10hipError_tPvRmT3_T4_T5_T6_T7_T9_mT8_P12ihipStream_tbDpT10_ENKUlT_T0_E_clISt17integral_constantIbLb0EES1A_IbLb1EEEEDaS16_S17_EUlS16_E_NS1_11comp_targetILNS1_3genE4ELNS1_11target_archE910ELNS1_3gpuE8ELNS1_3repE0EEENS1_30default_config_static_selectorELNS0_4arch9wavefront6targetE0EEEvT1_,comdat
	.protected	_ZN7rocprim17ROCPRIM_400000_NS6detail17trampoline_kernelINS0_14default_configENS1_25partition_config_selectorILNS1_17partition_subalgoE5EdNS0_10empty_typeEbEEZZNS1_14partition_implILS5_5ELb0ES3_mN6thrust23THRUST_200600_302600_NS6detail15normal_iteratorINSA_10device_ptrIdEEEEPS6_NSA_18transform_iteratorINSB_9not_fun_tINSA_8identityIdEEEESF_NSA_11use_defaultESM_EENS0_5tupleIJSF_S6_EEENSO_IJSG_SG_EEES6_PlJS6_EEE10hipError_tPvRmT3_T4_T5_T6_T7_T9_mT8_P12ihipStream_tbDpT10_ENKUlT_T0_E_clISt17integral_constantIbLb0EES1A_IbLb1EEEEDaS16_S17_EUlS16_E_NS1_11comp_targetILNS1_3genE4ELNS1_11target_archE910ELNS1_3gpuE8ELNS1_3repE0EEENS1_30default_config_static_selectorELNS0_4arch9wavefront6targetE0EEEvT1_ ; -- Begin function _ZN7rocprim17ROCPRIM_400000_NS6detail17trampoline_kernelINS0_14default_configENS1_25partition_config_selectorILNS1_17partition_subalgoE5EdNS0_10empty_typeEbEEZZNS1_14partition_implILS5_5ELb0ES3_mN6thrust23THRUST_200600_302600_NS6detail15normal_iteratorINSA_10device_ptrIdEEEEPS6_NSA_18transform_iteratorINSB_9not_fun_tINSA_8identityIdEEEESF_NSA_11use_defaultESM_EENS0_5tupleIJSF_S6_EEENSO_IJSG_SG_EEES6_PlJS6_EEE10hipError_tPvRmT3_T4_T5_T6_T7_T9_mT8_P12ihipStream_tbDpT10_ENKUlT_T0_E_clISt17integral_constantIbLb0EES1A_IbLb1EEEEDaS16_S17_EUlS16_E_NS1_11comp_targetILNS1_3genE4ELNS1_11target_archE910ELNS1_3gpuE8ELNS1_3repE0EEENS1_30default_config_static_selectorELNS0_4arch9wavefront6targetE0EEEvT1_
	.globl	_ZN7rocprim17ROCPRIM_400000_NS6detail17trampoline_kernelINS0_14default_configENS1_25partition_config_selectorILNS1_17partition_subalgoE5EdNS0_10empty_typeEbEEZZNS1_14partition_implILS5_5ELb0ES3_mN6thrust23THRUST_200600_302600_NS6detail15normal_iteratorINSA_10device_ptrIdEEEEPS6_NSA_18transform_iteratorINSB_9not_fun_tINSA_8identityIdEEEESF_NSA_11use_defaultESM_EENS0_5tupleIJSF_S6_EEENSO_IJSG_SG_EEES6_PlJS6_EEE10hipError_tPvRmT3_T4_T5_T6_T7_T9_mT8_P12ihipStream_tbDpT10_ENKUlT_T0_E_clISt17integral_constantIbLb0EES1A_IbLb1EEEEDaS16_S17_EUlS16_E_NS1_11comp_targetILNS1_3genE4ELNS1_11target_archE910ELNS1_3gpuE8ELNS1_3repE0EEENS1_30default_config_static_selectorELNS0_4arch9wavefront6targetE0EEEvT1_
	.p2align	8
	.type	_ZN7rocprim17ROCPRIM_400000_NS6detail17trampoline_kernelINS0_14default_configENS1_25partition_config_selectorILNS1_17partition_subalgoE5EdNS0_10empty_typeEbEEZZNS1_14partition_implILS5_5ELb0ES3_mN6thrust23THRUST_200600_302600_NS6detail15normal_iteratorINSA_10device_ptrIdEEEEPS6_NSA_18transform_iteratorINSB_9not_fun_tINSA_8identityIdEEEESF_NSA_11use_defaultESM_EENS0_5tupleIJSF_S6_EEENSO_IJSG_SG_EEES6_PlJS6_EEE10hipError_tPvRmT3_T4_T5_T6_T7_T9_mT8_P12ihipStream_tbDpT10_ENKUlT_T0_E_clISt17integral_constantIbLb0EES1A_IbLb1EEEEDaS16_S17_EUlS16_E_NS1_11comp_targetILNS1_3genE4ELNS1_11target_archE910ELNS1_3gpuE8ELNS1_3repE0EEENS1_30default_config_static_selectorELNS0_4arch9wavefront6targetE0EEEvT1_,@function
_ZN7rocprim17ROCPRIM_400000_NS6detail17trampoline_kernelINS0_14default_configENS1_25partition_config_selectorILNS1_17partition_subalgoE5EdNS0_10empty_typeEbEEZZNS1_14partition_implILS5_5ELb0ES3_mN6thrust23THRUST_200600_302600_NS6detail15normal_iteratorINSA_10device_ptrIdEEEEPS6_NSA_18transform_iteratorINSB_9not_fun_tINSA_8identityIdEEEESF_NSA_11use_defaultESM_EENS0_5tupleIJSF_S6_EEENSO_IJSG_SG_EEES6_PlJS6_EEE10hipError_tPvRmT3_T4_T5_T6_T7_T9_mT8_P12ihipStream_tbDpT10_ENKUlT_T0_E_clISt17integral_constantIbLb0EES1A_IbLb1EEEEDaS16_S17_EUlS16_E_NS1_11comp_targetILNS1_3genE4ELNS1_11target_archE910ELNS1_3gpuE8ELNS1_3repE0EEENS1_30default_config_static_selectorELNS0_4arch9wavefront6targetE0EEEvT1_: ; @_ZN7rocprim17ROCPRIM_400000_NS6detail17trampoline_kernelINS0_14default_configENS1_25partition_config_selectorILNS1_17partition_subalgoE5EdNS0_10empty_typeEbEEZZNS1_14partition_implILS5_5ELb0ES3_mN6thrust23THRUST_200600_302600_NS6detail15normal_iteratorINSA_10device_ptrIdEEEEPS6_NSA_18transform_iteratorINSB_9not_fun_tINSA_8identityIdEEEESF_NSA_11use_defaultESM_EENS0_5tupleIJSF_S6_EEENSO_IJSG_SG_EEES6_PlJS6_EEE10hipError_tPvRmT3_T4_T5_T6_T7_T9_mT8_P12ihipStream_tbDpT10_ENKUlT_T0_E_clISt17integral_constantIbLb0EES1A_IbLb1EEEEDaS16_S17_EUlS16_E_NS1_11comp_targetILNS1_3genE4ELNS1_11target_archE910ELNS1_3gpuE8ELNS1_3repE0EEENS1_30default_config_static_selectorELNS0_4arch9wavefront6targetE0EEEvT1_
; %bb.0:
	.section	.rodata,"a",@progbits
	.p2align	6, 0x0
	.amdhsa_kernel _ZN7rocprim17ROCPRIM_400000_NS6detail17trampoline_kernelINS0_14default_configENS1_25partition_config_selectorILNS1_17partition_subalgoE5EdNS0_10empty_typeEbEEZZNS1_14partition_implILS5_5ELb0ES3_mN6thrust23THRUST_200600_302600_NS6detail15normal_iteratorINSA_10device_ptrIdEEEEPS6_NSA_18transform_iteratorINSB_9not_fun_tINSA_8identityIdEEEESF_NSA_11use_defaultESM_EENS0_5tupleIJSF_S6_EEENSO_IJSG_SG_EEES6_PlJS6_EEE10hipError_tPvRmT3_T4_T5_T6_T7_T9_mT8_P12ihipStream_tbDpT10_ENKUlT_T0_E_clISt17integral_constantIbLb0EES1A_IbLb1EEEEDaS16_S17_EUlS16_E_NS1_11comp_targetILNS1_3genE4ELNS1_11target_archE910ELNS1_3gpuE8ELNS1_3repE0EEENS1_30default_config_static_selectorELNS0_4arch9wavefront6targetE0EEEvT1_
		.amdhsa_group_segment_fixed_size 0
		.amdhsa_private_segment_fixed_size 0
		.amdhsa_kernarg_size 136
		.amdhsa_user_sgpr_count 2
		.amdhsa_user_sgpr_dispatch_ptr 0
		.amdhsa_user_sgpr_queue_ptr 0
		.amdhsa_user_sgpr_kernarg_segment_ptr 1
		.amdhsa_user_sgpr_dispatch_id 0
		.amdhsa_user_sgpr_private_segment_size 0
		.amdhsa_wavefront_size32 1
		.amdhsa_uses_dynamic_stack 0
		.amdhsa_enable_private_segment 0
		.amdhsa_system_sgpr_workgroup_id_x 1
		.amdhsa_system_sgpr_workgroup_id_y 0
		.amdhsa_system_sgpr_workgroup_id_z 0
		.amdhsa_system_sgpr_workgroup_info 0
		.amdhsa_system_vgpr_workitem_id 0
		.amdhsa_next_free_vgpr 1
		.amdhsa_next_free_sgpr 1
		.amdhsa_reserve_vcc 0
		.amdhsa_float_round_mode_32 0
		.amdhsa_float_round_mode_16_64 0
		.amdhsa_float_denorm_mode_32 3
		.amdhsa_float_denorm_mode_16_64 3
		.amdhsa_fp16_overflow 0
		.amdhsa_workgroup_processor_mode 1
		.amdhsa_memory_ordered 1
		.amdhsa_forward_progress 1
		.amdhsa_inst_pref_size 0
		.amdhsa_round_robin_scheduling 0
		.amdhsa_exception_fp_ieee_invalid_op 0
		.amdhsa_exception_fp_denorm_src 0
		.amdhsa_exception_fp_ieee_div_zero 0
		.amdhsa_exception_fp_ieee_overflow 0
		.amdhsa_exception_fp_ieee_underflow 0
		.amdhsa_exception_fp_ieee_inexact 0
		.amdhsa_exception_int_div_zero 0
	.end_amdhsa_kernel
	.section	.text._ZN7rocprim17ROCPRIM_400000_NS6detail17trampoline_kernelINS0_14default_configENS1_25partition_config_selectorILNS1_17partition_subalgoE5EdNS0_10empty_typeEbEEZZNS1_14partition_implILS5_5ELb0ES3_mN6thrust23THRUST_200600_302600_NS6detail15normal_iteratorINSA_10device_ptrIdEEEEPS6_NSA_18transform_iteratorINSB_9not_fun_tINSA_8identityIdEEEESF_NSA_11use_defaultESM_EENS0_5tupleIJSF_S6_EEENSO_IJSG_SG_EEES6_PlJS6_EEE10hipError_tPvRmT3_T4_T5_T6_T7_T9_mT8_P12ihipStream_tbDpT10_ENKUlT_T0_E_clISt17integral_constantIbLb0EES1A_IbLb1EEEEDaS16_S17_EUlS16_E_NS1_11comp_targetILNS1_3genE4ELNS1_11target_archE910ELNS1_3gpuE8ELNS1_3repE0EEENS1_30default_config_static_selectorELNS0_4arch9wavefront6targetE0EEEvT1_,"axG",@progbits,_ZN7rocprim17ROCPRIM_400000_NS6detail17trampoline_kernelINS0_14default_configENS1_25partition_config_selectorILNS1_17partition_subalgoE5EdNS0_10empty_typeEbEEZZNS1_14partition_implILS5_5ELb0ES3_mN6thrust23THRUST_200600_302600_NS6detail15normal_iteratorINSA_10device_ptrIdEEEEPS6_NSA_18transform_iteratorINSB_9not_fun_tINSA_8identityIdEEEESF_NSA_11use_defaultESM_EENS0_5tupleIJSF_S6_EEENSO_IJSG_SG_EEES6_PlJS6_EEE10hipError_tPvRmT3_T4_T5_T6_T7_T9_mT8_P12ihipStream_tbDpT10_ENKUlT_T0_E_clISt17integral_constantIbLb0EES1A_IbLb1EEEEDaS16_S17_EUlS16_E_NS1_11comp_targetILNS1_3genE4ELNS1_11target_archE910ELNS1_3gpuE8ELNS1_3repE0EEENS1_30default_config_static_selectorELNS0_4arch9wavefront6targetE0EEEvT1_,comdat
.Lfunc_end815:
	.size	_ZN7rocprim17ROCPRIM_400000_NS6detail17trampoline_kernelINS0_14default_configENS1_25partition_config_selectorILNS1_17partition_subalgoE5EdNS0_10empty_typeEbEEZZNS1_14partition_implILS5_5ELb0ES3_mN6thrust23THRUST_200600_302600_NS6detail15normal_iteratorINSA_10device_ptrIdEEEEPS6_NSA_18transform_iteratorINSB_9not_fun_tINSA_8identityIdEEEESF_NSA_11use_defaultESM_EENS0_5tupleIJSF_S6_EEENSO_IJSG_SG_EEES6_PlJS6_EEE10hipError_tPvRmT3_T4_T5_T6_T7_T9_mT8_P12ihipStream_tbDpT10_ENKUlT_T0_E_clISt17integral_constantIbLb0EES1A_IbLb1EEEEDaS16_S17_EUlS16_E_NS1_11comp_targetILNS1_3genE4ELNS1_11target_archE910ELNS1_3gpuE8ELNS1_3repE0EEENS1_30default_config_static_selectorELNS0_4arch9wavefront6targetE0EEEvT1_, .Lfunc_end815-_ZN7rocprim17ROCPRIM_400000_NS6detail17trampoline_kernelINS0_14default_configENS1_25partition_config_selectorILNS1_17partition_subalgoE5EdNS0_10empty_typeEbEEZZNS1_14partition_implILS5_5ELb0ES3_mN6thrust23THRUST_200600_302600_NS6detail15normal_iteratorINSA_10device_ptrIdEEEEPS6_NSA_18transform_iteratorINSB_9not_fun_tINSA_8identityIdEEEESF_NSA_11use_defaultESM_EENS0_5tupleIJSF_S6_EEENSO_IJSG_SG_EEES6_PlJS6_EEE10hipError_tPvRmT3_T4_T5_T6_T7_T9_mT8_P12ihipStream_tbDpT10_ENKUlT_T0_E_clISt17integral_constantIbLb0EES1A_IbLb1EEEEDaS16_S17_EUlS16_E_NS1_11comp_targetILNS1_3genE4ELNS1_11target_archE910ELNS1_3gpuE8ELNS1_3repE0EEENS1_30default_config_static_selectorELNS0_4arch9wavefront6targetE0EEEvT1_
                                        ; -- End function
	.set _ZN7rocprim17ROCPRIM_400000_NS6detail17trampoline_kernelINS0_14default_configENS1_25partition_config_selectorILNS1_17partition_subalgoE5EdNS0_10empty_typeEbEEZZNS1_14partition_implILS5_5ELb0ES3_mN6thrust23THRUST_200600_302600_NS6detail15normal_iteratorINSA_10device_ptrIdEEEEPS6_NSA_18transform_iteratorINSB_9not_fun_tINSA_8identityIdEEEESF_NSA_11use_defaultESM_EENS0_5tupleIJSF_S6_EEENSO_IJSG_SG_EEES6_PlJS6_EEE10hipError_tPvRmT3_T4_T5_T6_T7_T9_mT8_P12ihipStream_tbDpT10_ENKUlT_T0_E_clISt17integral_constantIbLb0EES1A_IbLb1EEEEDaS16_S17_EUlS16_E_NS1_11comp_targetILNS1_3genE4ELNS1_11target_archE910ELNS1_3gpuE8ELNS1_3repE0EEENS1_30default_config_static_selectorELNS0_4arch9wavefront6targetE0EEEvT1_.num_vgpr, 0
	.set _ZN7rocprim17ROCPRIM_400000_NS6detail17trampoline_kernelINS0_14default_configENS1_25partition_config_selectorILNS1_17partition_subalgoE5EdNS0_10empty_typeEbEEZZNS1_14partition_implILS5_5ELb0ES3_mN6thrust23THRUST_200600_302600_NS6detail15normal_iteratorINSA_10device_ptrIdEEEEPS6_NSA_18transform_iteratorINSB_9not_fun_tINSA_8identityIdEEEESF_NSA_11use_defaultESM_EENS0_5tupleIJSF_S6_EEENSO_IJSG_SG_EEES6_PlJS6_EEE10hipError_tPvRmT3_T4_T5_T6_T7_T9_mT8_P12ihipStream_tbDpT10_ENKUlT_T0_E_clISt17integral_constantIbLb0EES1A_IbLb1EEEEDaS16_S17_EUlS16_E_NS1_11comp_targetILNS1_3genE4ELNS1_11target_archE910ELNS1_3gpuE8ELNS1_3repE0EEENS1_30default_config_static_selectorELNS0_4arch9wavefront6targetE0EEEvT1_.num_agpr, 0
	.set _ZN7rocprim17ROCPRIM_400000_NS6detail17trampoline_kernelINS0_14default_configENS1_25partition_config_selectorILNS1_17partition_subalgoE5EdNS0_10empty_typeEbEEZZNS1_14partition_implILS5_5ELb0ES3_mN6thrust23THRUST_200600_302600_NS6detail15normal_iteratorINSA_10device_ptrIdEEEEPS6_NSA_18transform_iteratorINSB_9not_fun_tINSA_8identityIdEEEESF_NSA_11use_defaultESM_EENS0_5tupleIJSF_S6_EEENSO_IJSG_SG_EEES6_PlJS6_EEE10hipError_tPvRmT3_T4_T5_T6_T7_T9_mT8_P12ihipStream_tbDpT10_ENKUlT_T0_E_clISt17integral_constantIbLb0EES1A_IbLb1EEEEDaS16_S17_EUlS16_E_NS1_11comp_targetILNS1_3genE4ELNS1_11target_archE910ELNS1_3gpuE8ELNS1_3repE0EEENS1_30default_config_static_selectorELNS0_4arch9wavefront6targetE0EEEvT1_.numbered_sgpr, 0
	.set _ZN7rocprim17ROCPRIM_400000_NS6detail17trampoline_kernelINS0_14default_configENS1_25partition_config_selectorILNS1_17partition_subalgoE5EdNS0_10empty_typeEbEEZZNS1_14partition_implILS5_5ELb0ES3_mN6thrust23THRUST_200600_302600_NS6detail15normal_iteratorINSA_10device_ptrIdEEEEPS6_NSA_18transform_iteratorINSB_9not_fun_tINSA_8identityIdEEEESF_NSA_11use_defaultESM_EENS0_5tupleIJSF_S6_EEENSO_IJSG_SG_EEES6_PlJS6_EEE10hipError_tPvRmT3_T4_T5_T6_T7_T9_mT8_P12ihipStream_tbDpT10_ENKUlT_T0_E_clISt17integral_constantIbLb0EES1A_IbLb1EEEEDaS16_S17_EUlS16_E_NS1_11comp_targetILNS1_3genE4ELNS1_11target_archE910ELNS1_3gpuE8ELNS1_3repE0EEENS1_30default_config_static_selectorELNS0_4arch9wavefront6targetE0EEEvT1_.num_named_barrier, 0
	.set _ZN7rocprim17ROCPRIM_400000_NS6detail17trampoline_kernelINS0_14default_configENS1_25partition_config_selectorILNS1_17partition_subalgoE5EdNS0_10empty_typeEbEEZZNS1_14partition_implILS5_5ELb0ES3_mN6thrust23THRUST_200600_302600_NS6detail15normal_iteratorINSA_10device_ptrIdEEEEPS6_NSA_18transform_iteratorINSB_9not_fun_tINSA_8identityIdEEEESF_NSA_11use_defaultESM_EENS0_5tupleIJSF_S6_EEENSO_IJSG_SG_EEES6_PlJS6_EEE10hipError_tPvRmT3_T4_T5_T6_T7_T9_mT8_P12ihipStream_tbDpT10_ENKUlT_T0_E_clISt17integral_constantIbLb0EES1A_IbLb1EEEEDaS16_S17_EUlS16_E_NS1_11comp_targetILNS1_3genE4ELNS1_11target_archE910ELNS1_3gpuE8ELNS1_3repE0EEENS1_30default_config_static_selectorELNS0_4arch9wavefront6targetE0EEEvT1_.private_seg_size, 0
	.set _ZN7rocprim17ROCPRIM_400000_NS6detail17trampoline_kernelINS0_14default_configENS1_25partition_config_selectorILNS1_17partition_subalgoE5EdNS0_10empty_typeEbEEZZNS1_14partition_implILS5_5ELb0ES3_mN6thrust23THRUST_200600_302600_NS6detail15normal_iteratorINSA_10device_ptrIdEEEEPS6_NSA_18transform_iteratorINSB_9not_fun_tINSA_8identityIdEEEESF_NSA_11use_defaultESM_EENS0_5tupleIJSF_S6_EEENSO_IJSG_SG_EEES6_PlJS6_EEE10hipError_tPvRmT3_T4_T5_T6_T7_T9_mT8_P12ihipStream_tbDpT10_ENKUlT_T0_E_clISt17integral_constantIbLb0EES1A_IbLb1EEEEDaS16_S17_EUlS16_E_NS1_11comp_targetILNS1_3genE4ELNS1_11target_archE910ELNS1_3gpuE8ELNS1_3repE0EEENS1_30default_config_static_selectorELNS0_4arch9wavefront6targetE0EEEvT1_.uses_vcc, 0
	.set _ZN7rocprim17ROCPRIM_400000_NS6detail17trampoline_kernelINS0_14default_configENS1_25partition_config_selectorILNS1_17partition_subalgoE5EdNS0_10empty_typeEbEEZZNS1_14partition_implILS5_5ELb0ES3_mN6thrust23THRUST_200600_302600_NS6detail15normal_iteratorINSA_10device_ptrIdEEEEPS6_NSA_18transform_iteratorINSB_9not_fun_tINSA_8identityIdEEEESF_NSA_11use_defaultESM_EENS0_5tupleIJSF_S6_EEENSO_IJSG_SG_EEES6_PlJS6_EEE10hipError_tPvRmT3_T4_T5_T6_T7_T9_mT8_P12ihipStream_tbDpT10_ENKUlT_T0_E_clISt17integral_constantIbLb0EES1A_IbLb1EEEEDaS16_S17_EUlS16_E_NS1_11comp_targetILNS1_3genE4ELNS1_11target_archE910ELNS1_3gpuE8ELNS1_3repE0EEENS1_30default_config_static_selectorELNS0_4arch9wavefront6targetE0EEEvT1_.uses_flat_scratch, 0
	.set _ZN7rocprim17ROCPRIM_400000_NS6detail17trampoline_kernelINS0_14default_configENS1_25partition_config_selectorILNS1_17partition_subalgoE5EdNS0_10empty_typeEbEEZZNS1_14partition_implILS5_5ELb0ES3_mN6thrust23THRUST_200600_302600_NS6detail15normal_iteratorINSA_10device_ptrIdEEEEPS6_NSA_18transform_iteratorINSB_9not_fun_tINSA_8identityIdEEEESF_NSA_11use_defaultESM_EENS0_5tupleIJSF_S6_EEENSO_IJSG_SG_EEES6_PlJS6_EEE10hipError_tPvRmT3_T4_T5_T6_T7_T9_mT8_P12ihipStream_tbDpT10_ENKUlT_T0_E_clISt17integral_constantIbLb0EES1A_IbLb1EEEEDaS16_S17_EUlS16_E_NS1_11comp_targetILNS1_3genE4ELNS1_11target_archE910ELNS1_3gpuE8ELNS1_3repE0EEENS1_30default_config_static_selectorELNS0_4arch9wavefront6targetE0EEEvT1_.has_dyn_sized_stack, 0
	.set _ZN7rocprim17ROCPRIM_400000_NS6detail17trampoline_kernelINS0_14default_configENS1_25partition_config_selectorILNS1_17partition_subalgoE5EdNS0_10empty_typeEbEEZZNS1_14partition_implILS5_5ELb0ES3_mN6thrust23THRUST_200600_302600_NS6detail15normal_iteratorINSA_10device_ptrIdEEEEPS6_NSA_18transform_iteratorINSB_9not_fun_tINSA_8identityIdEEEESF_NSA_11use_defaultESM_EENS0_5tupleIJSF_S6_EEENSO_IJSG_SG_EEES6_PlJS6_EEE10hipError_tPvRmT3_T4_T5_T6_T7_T9_mT8_P12ihipStream_tbDpT10_ENKUlT_T0_E_clISt17integral_constantIbLb0EES1A_IbLb1EEEEDaS16_S17_EUlS16_E_NS1_11comp_targetILNS1_3genE4ELNS1_11target_archE910ELNS1_3gpuE8ELNS1_3repE0EEENS1_30default_config_static_selectorELNS0_4arch9wavefront6targetE0EEEvT1_.has_recursion, 0
	.set _ZN7rocprim17ROCPRIM_400000_NS6detail17trampoline_kernelINS0_14default_configENS1_25partition_config_selectorILNS1_17partition_subalgoE5EdNS0_10empty_typeEbEEZZNS1_14partition_implILS5_5ELb0ES3_mN6thrust23THRUST_200600_302600_NS6detail15normal_iteratorINSA_10device_ptrIdEEEEPS6_NSA_18transform_iteratorINSB_9not_fun_tINSA_8identityIdEEEESF_NSA_11use_defaultESM_EENS0_5tupleIJSF_S6_EEENSO_IJSG_SG_EEES6_PlJS6_EEE10hipError_tPvRmT3_T4_T5_T6_T7_T9_mT8_P12ihipStream_tbDpT10_ENKUlT_T0_E_clISt17integral_constantIbLb0EES1A_IbLb1EEEEDaS16_S17_EUlS16_E_NS1_11comp_targetILNS1_3genE4ELNS1_11target_archE910ELNS1_3gpuE8ELNS1_3repE0EEENS1_30default_config_static_selectorELNS0_4arch9wavefront6targetE0EEEvT1_.has_indirect_call, 0
	.section	.AMDGPU.csdata,"",@progbits
; Kernel info:
; codeLenInByte = 0
; TotalNumSgprs: 0
; NumVgprs: 0
; ScratchSize: 0
; MemoryBound: 0
; FloatMode: 240
; IeeeMode: 1
; LDSByteSize: 0 bytes/workgroup (compile time only)
; SGPRBlocks: 0
; VGPRBlocks: 0
; NumSGPRsForWavesPerEU: 1
; NumVGPRsForWavesPerEU: 1
; Occupancy: 16
; WaveLimiterHint : 0
; COMPUTE_PGM_RSRC2:SCRATCH_EN: 0
; COMPUTE_PGM_RSRC2:USER_SGPR: 2
; COMPUTE_PGM_RSRC2:TRAP_HANDLER: 0
; COMPUTE_PGM_RSRC2:TGID_X_EN: 1
; COMPUTE_PGM_RSRC2:TGID_Y_EN: 0
; COMPUTE_PGM_RSRC2:TGID_Z_EN: 0
; COMPUTE_PGM_RSRC2:TIDIG_COMP_CNT: 0
	.section	.text._ZN7rocprim17ROCPRIM_400000_NS6detail17trampoline_kernelINS0_14default_configENS1_25partition_config_selectorILNS1_17partition_subalgoE5EdNS0_10empty_typeEbEEZZNS1_14partition_implILS5_5ELb0ES3_mN6thrust23THRUST_200600_302600_NS6detail15normal_iteratorINSA_10device_ptrIdEEEEPS6_NSA_18transform_iteratorINSB_9not_fun_tINSA_8identityIdEEEESF_NSA_11use_defaultESM_EENS0_5tupleIJSF_S6_EEENSO_IJSG_SG_EEES6_PlJS6_EEE10hipError_tPvRmT3_T4_T5_T6_T7_T9_mT8_P12ihipStream_tbDpT10_ENKUlT_T0_E_clISt17integral_constantIbLb0EES1A_IbLb1EEEEDaS16_S17_EUlS16_E_NS1_11comp_targetILNS1_3genE3ELNS1_11target_archE908ELNS1_3gpuE7ELNS1_3repE0EEENS1_30default_config_static_selectorELNS0_4arch9wavefront6targetE0EEEvT1_,"axG",@progbits,_ZN7rocprim17ROCPRIM_400000_NS6detail17trampoline_kernelINS0_14default_configENS1_25partition_config_selectorILNS1_17partition_subalgoE5EdNS0_10empty_typeEbEEZZNS1_14partition_implILS5_5ELb0ES3_mN6thrust23THRUST_200600_302600_NS6detail15normal_iteratorINSA_10device_ptrIdEEEEPS6_NSA_18transform_iteratorINSB_9not_fun_tINSA_8identityIdEEEESF_NSA_11use_defaultESM_EENS0_5tupleIJSF_S6_EEENSO_IJSG_SG_EEES6_PlJS6_EEE10hipError_tPvRmT3_T4_T5_T6_T7_T9_mT8_P12ihipStream_tbDpT10_ENKUlT_T0_E_clISt17integral_constantIbLb0EES1A_IbLb1EEEEDaS16_S17_EUlS16_E_NS1_11comp_targetILNS1_3genE3ELNS1_11target_archE908ELNS1_3gpuE7ELNS1_3repE0EEENS1_30default_config_static_selectorELNS0_4arch9wavefront6targetE0EEEvT1_,comdat
	.protected	_ZN7rocprim17ROCPRIM_400000_NS6detail17trampoline_kernelINS0_14default_configENS1_25partition_config_selectorILNS1_17partition_subalgoE5EdNS0_10empty_typeEbEEZZNS1_14partition_implILS5_5ELb0ES3_mN6thrust23THRUST_200600_302600_NS6detail15normal_iteratorINSA_10device_ptrIdEEEEPS6_NSA_18transform_iteratorINSB_9not_fun_tINSA_8identityIdEEEESF_NSA_11use_defaultESM_EENS0_5tupleIJSF_S6_EEENSO_IJSG_SG_EEES6_PlJS6_EEE10hipError_tPvRmT3_T4_T5_T6_T7_T9_mT8_P12ihipStream_tbDpT10_ENKUlT_T0_E_clISt17integral_constantIbLb0EES1A_IbLb1EEEEDaS16_S17_EUlS16_E_NS1_11comp_targetILNS1_3genE3ELNS1_11target_archE908ELNS1_3gpuE7ELNS1_3repE0EEENS1_30default_config_static_selectorELNS0_4arch9wavefront6targetE0EEEvT1_ ; -- Begin function _ZN7rocprim17ROCPRIM_400000_NS6detail17trampoline_kernelINS0_14default_configENS1_25partition_config_selectorILNS1_17partition_subalgoE5EdNS0_10empty_typeEbEEZZNS1_14partition_implILS5_5ELb0ES3_mN6thrust23THRUST_200600_302600_NS6detail15normal_iteratorINSA_10device_ptrIdEEEEPS6_NSA_18transform_iteratorINSB_9not_fun_tINSA_8identityIdEEEESF_NSA_11use_defaultESM_EENS0_5tupleIJSF_S6_EEENSO_IJSG_SG_EEES6_PlJS6_EEE10hipError_tPvRmT3_T4_T5_T6_T7_T9_mT8_P12ihipStream_tbDpT10_ENKUlT_T0_E_clISt17integral_constantIbLb0EES1A_IbLb1EEEEDaS16_S17_EUlS16_E_NS1_11comp_targetILNS1_3genE3ELNS1_11target_archE908ELNS1_3gpuE7ELNS1_3repE0EEENS1_30default_config_static_selectorELNS0_4arch9wavefront6targetE0EEEvT1_
	.globl	_ZN7rocprim17ROCPRIM_400000_NS6detail17trampoline_kernelINS0_14default_configENS1_25partition_config_selectorILNS1_17partition_subalgoE5EdNS0_10empty_typeEbEEZZNS1_14partition_implILS5_5ELb0ES3_mN6thrust23THRUST_200600_302600_NS6detail15normal_iteratorINSA_10device_ptrIdEEEEPS6_NSA_18transform_iteratorINSB_9not_fun_tINSA_8identityIdEEEESF_NSA_11use_defaultESM_EENS0_5tupleIJSF_S6_EEENSO_IJSG_SG_EEES6_PlJS6_EEE10hipError_tPvRmT3_T4_T5_T6_T7_T9_mT8_P12ihipStream_tbDpT10_ENKUlT_T0_E_clISt17integral_constantIbLb0EES1A_IbLb1EEEEDaS16_S17_EUlS16_E_NS1_11comp_targetILNS1_3genE3ELNS1_11target_archE908ELNS1_3gpuE7ELNS1_3repE0EEENS1_30default_config_static_selectorELNS0_4arch9wavefront6targetE0EEEvT1_
	.p2align	8
	.type	_ZN7rocprim17ROCPRIM_400000_NS6detail17trampoline_kernelINS0_14default_configENS1_25partition_config_selectorILNS1_17partition_subalgoE5EdNS0_10empty_typeEbEEZZNS1_14partition_implILS5_5ELb0ES3_mN6thrust23THRUST_200600_302600_NS6detail15normal_iteratorINSA_10device_ptrIdEEEEPS6_NSA_18transform_iteratorINSB_9not_fun_tINSA_8identityIdEEEESF_NSA_11use_defaultESM_EENS0_5tupleIJSF_S6_EEENSO_IJSG_SG_EEES6_PlJS6_EEE10hipError_tPvRmT3_T4_T5_T6_T7_T9_mT8_P12ihipStream_tbDpT10_ENKUlT_T0_E_clISt17integral_constantIbLb0EES1A_IbLb1EEEEDaS16_S17_EUlS16_E_NS1_11comp_targetILNS1_3genE3ELNS1_11target_archE908ELNS1_3gpuE7ELNS1_3repE0EEENS1_30default_config_static_selectorELNS0_4arch9wavefront6targetE0EEEvT1_,@function
_ZN7rocprim17ROCPRIM_400000_NS6detail17trampoline_kernelINS0_14default_configENS1_25partition_config_selectorILNS1_17partition_subalgoE5EdNS0_10empty_typeEbEEZZNS1_14partition_implILS5_5ELb0ES3_mN6thrust23THRUST_200600_302600_NS6detail15normal_iteratorINSA_10device_ptrIdEEEEPS6_NSA_18transform_iteratorINSB_9not_fun_tINSA_8identityIdEEEESF_NSA_11use_defaultESM_EENS0_5tupleIJSF_S6_EEENSO_IJSG_SG_EEES6_PlJS6_EEE10hipError_tPvRmT3_T4_T5_T6_T7_T9_mT8_P12ihipStream_tbDpT10_ENKUlT_T0_E_clISt17integral_constantIbLb0EES1A_IbLb1EEEEDaS16_S17_EUlS16_E_NS1_11comp_targetILNS1_3genE3ELNS1_11target_archE908ELNS1_3gpuE7ELNS1_3repE0EEENS1_30default_config_static_selectorELNS0_4arch9wavefront6targetE0EEEvT1_: ; @_ZN7rocprim17ROCPRIM_400000_NS6detail17trampoline_kernelINS0_14default_configENS1_25partition_config_selectorILNS1_17partition_subalgoE5EdNS0_10empty_typeEbEEZZNS1_14partition_implILS5_5ELb0ES3_mN6thrust23THRUST_200600_302600_NS6detail15normal_iteratorINSA_10device_ptrIdEEEEPS6_NSA_18transform_iteratorINSB_9not_fun_tINSA_8identityIdEEEESF_NSA_11use_defaultESM_EENS0_5tupleIJSF_S6_EEENSO_IJSG_SG_EEES6_PlJS6_EEE10hipError_tPvRmT3_T4_T5_T6_T7_T9_mT8_P12ihipStream_tbDpT10_ENKUlT_T0_E_clISt17integral_constantIbLb0EES1A_IbLb1EEEEDaS16_S17_EUlS16_E_NS1_11comp_targetILNS1_3genE3ELNS1_11target_archE908ELNS1_3gpuE7ELNS1_3repE0EEENS1_30default_config_static_selectorELNS0_4arch9wavefront6targetE0EEEvT1_
; %bb.0:
	.section	.rodata,"a",@progbits
	.p2align	6, 0x0
	.amdhsa_kernel _ZN7rocprim17ROCPRIM_400000_NS6detail17trampoline_kernelINS0_14default_configENS1_25partition_config_selectorILNS1_17partition_subalgoE5EdNS0_10empty_typeEbEEZZNS1_14partition_implILS5_5ELb0ES3_mN6thrust23THRUST_200600_302600_NS6detail15normal_iteratorINSA_10device_ptrIdEEEEPS6_NSA_18transform_iteratorINSB_9not_fun_tINSA_8identityIdEEEESF_NSA_11use_defaultESM_EENS0_5tupleIJSF_S6_EEENSO_IJSG_SG_EEES6_PlJS6_EEE10hipError_tPvRmT3_T4_T5_T6_T7_T9_mT8_P12ihipStream_tbDpT10_ENKUlT_T0_E_clISt17integral_constantIbLb0EES1A_IbLb1EEEEDaS16_S17_EUlS16_E_NS1_11comp_targetILNS1_3genE3ELNS1_11target_archE908ELNS1_3gpuE7ELNS1_3repE0EEENS1_30default_config_static_selectorELNS0_4arch9wavefront6targetE0EEEvT1_
		.amdhsa_group_segment_fixed_size 0
		.amdhsa_private_segment_fixed_size 0
		.amdhsa_kernarg_size 136
		.amdhsa_user_sgpr_count 2
		.amdhsa_user_sgpr_dispatch_ptr 0
		.amdhsa_user_sgpr_queue_ptr 0
		.amdhsa_user_sgpr_kernarg_segment_ptr 1
		.amdhsa_user_sgpr_dispatch_id 0
		.amdhsa_user_sgpr_private_segment_size 0
		.amdhsa_wavefront_size32 1
		.amdhsa_uses_dynamic_stack 0
		.amdhsa_enable_private_segment 0
		.amdhsa_system_sgpr_workgroup_id_x 1
		.amdhsa_system_sgpr_workgroup_id_y 0
		.amdhsa_system_sgpr_workgroup_id_z 0
		.amdhsa_system_sgpr_workgroup_info 0
		.amdhsa_system_vgpr_workitem_id 0
		.amdhsa_next_free_vgpr 1
		.amdhsa_next_free_sgpr 1
		.amdhsa_reserve_vcc 0
		.amdhsa_float_round_mode_32 0
		.amdhsa_float_round_mode_16_64 0
		.amdhsa_float_denorm_mode_32 3
		.amdhsa_float_denorm_mode_16_64 3
		.amdhsa_fp16_overflow 0
		.amdhsa_workgroup_processor_mode 1
		.amdhsa_memory_ordered 1
		.amdhsa_forward_progress 1
		.amdhsa_inst_pref_size 0
		.amdhsa_round_robin_scheduling 0
		.amdhsa_exception_fp_ieee_invalid_op 0
		.amdhsa_exception_fp_denorm_src 0
		.amdhsa_exception_fp_ieee_div_zero 0
		.amdhsa_exception_fp_ieee_overflow 0
		.amdhsa_exception_fp_ieee_underflow 0
		.amdhsa_exception_fp_ieee_inexact 0
		.amdhsa_exception_int_div_zero 0
	.end_amdhsa_kernel
	.section	.text._ZN7rocprim17ROCPRIM_400000_NS6detail17trampoline_kernelINS0_14default_configENS1_25partition_config_selectorILNS1_17partition_subalgoE5EdNS0_10empty_typeEbEEZZNS1_14partition_implILS5_5ELb0ES3_mN6thrust23THRUST_200600_302600_NS6detail15normal_iteratorINSA_10device_ptrIdEEEEPS6_NSA_18transform_iteratorINSB_9not_fun_tINSA_8identityIdEEEESF_NSA_11use_defaultESM_EENS0_5tupleIJSF_S6_EEENSO_IJSG_SG_EEES6_PlJS6_EEE10hipError_tPvRmT3_T4_T5_T6_T7_T9_mT8_P12ihipStream_tbDpT10_ENKUlT_T0_E_clISt17integral_constantIbLb0EES1A_IbLb1EEEEDaS16_S17_EUlS16_E_NS1_11comp_targetILNS1_3genE3ELNS1_11target_archE908ELNS1_3gpuE7ELNS1_3repE0EEENS1_30default_config_static_selectorELNS0_4arch9wavefront6targetE0EEEvT1_,"axG",@progbits,_ZN7rocprim17ROCPRIM_400000_NS6detail17trampoline_kernelINS0_14default_configENS1_25partition_config_selectorILNS1_17partition_subalgoE5EdNS0_10empty_typeEbEEZZNS1_14partition_implILS5_5ELb0ES3_mN6thrust23THRUST_200600_302600_NS6detail15normal_iteratorINSA_10device_ptrIdEEEEPS6_NSA_18transform_iteratorINSB_9not_fun_tINSA_8identityIdEEEESF_NSA_11use_defaultESM_EENS0_5tupleIJSF_S6_EEENSO_IJSG_SG_EEES6_PlJS6_EEE10hipError_tPvRmT3_T4_T5_T6_T7_T9_mT8_P12ihipStream_tbDpT10_ENKUlT_T0_E_clISt17integral_constantIbLb0EES1A_IbLb1EEEEDaS16_S17_EUlS16_E_NS1_11comp_targetILNS1_3genE3ELNS1_11target_archE908ELNS1_3gpuE7ELNS1_3repE0EEENS1_30default_config_static_selectorELNS0_4arch9wavefront6targetE0EEEvT1_,comdat
.Lfunc_end816:
	.size	_ZN7rocprim17ROCPRIM_400000_NS6detail17trampoline_kernelINS0_14default_configENS1_25partition_config_selectorILNS1_17partition_subalgoE5EdNS0_10empty_typeEbEEZZNS1_14partition_implILS5_5ELb0ES3_mN6thrust23THRUST_200600_302600_NS6detail15normal_iteratorINSA_10device_ptrIdEEEEPS6_NSA_18transform_iteratorINSB_9not_fun_tINSA_8identityIdEEEESF_NSA_11use_defaultESM_EENS0_5tupleIJSF_S6_EEENSO_IJSG_SG_EEES6_PlJS6_EEE10hipError_tPvRmT3_T4_T5_T6_T7_T9_mT8_P12ihipStream_tbDpT10_ENKUlT_T0_E_clISt17integral_constantIbLb0EES1A_IbLb1EEEEDaS16_S17_EUlS16_E_NS1_11comp_targetILNS1_3genE3ELNS1_11target_archE908ELNS1_3gpuE7ELNS1_3repE0EEENS1_30default_config_static_selectorELNS0_4arch9wavefront6targetE0EEEvT1_, .Lfunc_end816-_ZN7rocprim17ROCPRIM_400000_NS6detail17trampoline_kernelINS0_14default_configENS1_25partition_config_selectorILNS1_17partition_subalgoE5EdNS0_10empty_typeEbEEZZNS1_14partition_implILS5_5ELb0ES3_mN6thrust23THRUST_200600_302600_NS6detail15normal_iteratorINSA_10device_ptrIdEEEEPS6_NSA_18transform_iteratorINSB_9not_fun_tINSA_8identityIdEEEESF_NSA_11use_defaultESM_EENS0_5tupleIJSF_S6_EEENSO_IJSG_SG_EEES6_PlJS6_EEE10hipError_tPvRmT3_T4_T5_T6_T7_T9_mT8_P12ihipStream_tbDpT10_ENKUlT_T0_E_clISt17integral_constantIbLb0EES1A_IbLb1EEEEDaS16_S17_EUlS16_E_NS1_11comp_targetILNS1_3genE3ELNS1_11target_archE908ELNS1_3gpuE7ELNS1_3repE0EEENS1_30default_config_static_selectorELNS0_4arch9wavefront6targetE0EEEvT1_
                                        ; -- End function
	.set _ZN7rocprim17ROCPRIM_400000_NS6detail17trampoline_kernelINS0_14default_configENS1_25partition_config_selectorILNS1_17partition_subalgoE5EdNS0_10empty_typeEbEEZZNS1_14partition_implILS5_5ELb0ES3_mN6thrust23THRUST_200600_302600_NS6detail15normal_iteratorINSA_10device_ptrIdEEEEPS6_NSA_18transform_iteratorINSB_9not_fun_tINSA_8identityIdEEEESF_NSA_11use_defaultESM_EENS0_5tupleIJSF_S6_EEENSO_IJSG_SG_EEES6_PlJS6_EEE10hipError_tPvRmT3_T4_T5_T6_T7_T9_mT8_P12ihipStream_tbDpT10_ENKUlT_T0_E_clISt17integral_constantIbLb0EES1A_IbLb1EEEEDaS16_S17_EUlS16_E_NS1_11comp_targetILNS1_3genE3ELNS1_11target_archE908ELNS1_3gpuE7ELNS1_3repE0EEENS1_30default_config_static_selectorELNS0_4arch9wavefront6targetE0EEEvT1_.num_vgpr, 0
	.set _ZN7rocprim17ROCPRIM_400000_NS6detail17trampoline_kernelINS0_14default_configENS1_25partition_config_selectorILNS1_17partition_subalgoE5EdNS0_10empty_typeEbEEZZNS1_14partition_implILS5_5ELb0ES3_mN6thrust23THRUST_200600_302600_NS6detail15normal_iteratorINSA_10device_ptrIdEEEEPS6_NSA_18transform_iteratorINSB_9not_fun_tINSA_8identityIdEEEESF_NSA_11use_defaultESM_EENS0_5tupleIJSF_S6_EEENSO_IJSG_SG_EEES6_PlJS6_EEE10hipError_tPvRmT3_T4_T5_T6_T7_T9_mT8_P12ihipStream_tbDpT10_ENKUlT_T0_E_clISt17integral_constantIbLb0EES1A_IbLb1EEEEDaS16_S17_EUlS16_E_NS1_11comp_targetILNS1_3genE3ELNS1_11target_archE908ELNS1_3gpuE7ELNS1_3repE0EEENS1_30default_config_static_selectorELNS0_4arch9wavefront6targetE0EEEvT1_.num_agpr, 0
	.set _ZN7rocprim17ROCPRIM_400000_NS6detail17trampoline_kernelINS0_14default_configENS1_25partition_config_selectorILNS1_17partition_subalgoE5EdNS0_10empty_typeEbEEZZNS1_14partition_implILS5_5ELb0ES3_mN6thrust23THRUST_200600_302600_NS6detail15normal_iteratorINSA_10device_ptrIdEEEEPS6_NSA_18transform_iteratorINSB_9not_fun_tINSA_8identityIdEEEESF_NSA_11use_defaultESM_EENS0_5tupleIJSF_S6_EEENSO_IJSG_SG_EEES6_PlJS6_EEE10hipError_tPvRmT3_T4_T5_T6_T7_T9_mT8_P12ihipStream_tbDpT10_ENKUlT_T0_E_clISt17integral_constantIbLb0EES1A_IbLb1EEEEDaS16_S17_EUlS16_E_NS1_11comp_targetILNS1_3genE3ELNS1_11target_archE908ELNS1_3gpuE7ELNS1_3repE0EEENS1_30default_config_static_selectorELNS0_4arch9wavefront6targetE0EEEvT1_.numbered_sgpr, 0
	.set _ZN7rocprim17ROCPRIM_400000_NS6detail17trampoline_kernelINS0_14default_configENS1_25partition_config_selectorILNS1_17partition_subalgoE5EdNS0_10empty_typeEbEEZZNS1_14partition_implILS5_5ELb0ES3_mN6thrust23THRUST_200600_302600_NS6detail15normal_iteratorINSA_10device_ptrIdEEEEPS6_NSA_18transform_iteratorINSB_9not_fun_tINSA_8identityIdEEEESF_NSA_11use_defaultESM_EENS0_5tupleIJSF_S6_EEENSO_IJSG_SG_EEES6_PlJS6_EEE10hipError_tPvRmT3_T4_T5_T6_T7_T9_mT8_P12ihipStream_tbDpT10_ENKUlT_T0_E_clISt17integral_constantIbLb0EES1A_IbLb1EEEEDaS16_S17_EUlS16_E_NS1_11comp_targetILNS1_3genE3ELNS1_11target_archE908ELNS1_3gpuE7ELNS1_3repE0EEENS1_30default_config_static_selectorELNS0_4arch9wavefront6targetE0EEEvT1_.num_named_barrier, 0
	.set _ZN7rocprim17ROCPRIM_400000_NS6detail17trampoline_kernelINS0_14default_configENS1_25partition_config_selectorILNS1_17partition_subalgoE5EdNS0_10empty_typeEbEEZZNS1_14partition_implILS5_5ELb0ES3_mN6thrust23THRUST_200600_302600_NS6detail15normal_iteratorINSA_10device_ptrIdEEEEPS6_NSA_18transform_iteratorINSB_9not_fun_tINSA_8identityIdEEEESF_NSA_11use_defaultESM_EENS0_5tupleIJSF_S6_EEENSO_IJSG_SG_EEES6_PlJS6_EEE10hipError_tPvRmT3_T4_T5_T6_T7_T9_mT8_P12ihipStream_tbDpT10_ENKUlT_T0_E_clISt17integral_constantIbLb0EES1A_IbLb1EEEEDaS16_S17_EUlS16_E_NS1_11comp_targetILNS1_3genE3ELNS1_11target_archE908ELNS1_3gpuE7ELNS1_3repE0EEENS1_30default_config_static_selectorELNS0_4arch9wavefront6targetE0EEEvT1_.private_seg_size, 0
	.set _ZN7rocprim17ROCPRIM_400000_NS6detail17trampoline_kernelINS0_14default_configENS1_25partition_config_selectorILNS1_17partition_subalgoE5EdNS0_10empty_typeEbEEZZNS1_14partition_implILS5_5ELb0ES3_mN6thrust23THRUST_200600_302600_NS6detail15normal_iteratorINSA_10device_ptrIdEEEEPS6_NSA_18transform_iteratorINSB_9not_fun_tINSA_8identityIdEEEESF_NSA_11use_defaultESM_EENS0_5tupleIJSF_S6_EEENSO_IJSG_SG_EEES6_PlJS6_EEE10hipError_tPvRmT3_T4_T5_T6_T7_T9_mT8_P12ihipStream_tbDpT10_ENKUlT_T0_E_clISt17integral_constantIbLb0EES1A_IbLb1EEEEDaS16_S17_EUlS16_E_NS1_11comp_targetILNS1_3genE3ELNS1_11target_archE908ELNS1_3gpuE7ELNS1_3repE0EEENS1_30default_config_static_selectorELNS0_4arch9wavefront6targetE0EEEvT1_.uses_vcc, 0
	.set _ZN7rocprim17ROCPRIM_400000_NS6detail17trampoline_kernelINS0_14default_configENS1_25partition_config_selectorILNS1_17partition_subalgoE5EdNS0_10empty_typeEbEEZZNS1_14partition_implILS5_5ELb0ES3_mN6thrust23THRUST_200600_302600_NS6detail15normal_iteratorINSA_10device_ptrIdEEEEPS6_NSA_18transform_iteratorINSB_9not_fun_tINSA_8identityIdEEEESF_NSA_11use_defaultESM_EENS0_5tupleIJSF_S6_EEENSO_IJSG_SG_EEES6_PlJS6_EEE10hipError_tPvRmT3_T4_T5_T6_T7_T9_mT8_P12ihipStream_tbDpT10_ENKUlT_T0_E_clISt17integral_constantIbLb0EES1A_IbLb1EEEEDaS16_S17_EUlS16_E_NS1_11comp_targetILNS1_3genE3ELNS1_11target_archE908ELNS1_3gpuE7ELNS1_3repE0EEENS1_30default_config_static_selectorELNS0_4arch9wavefront6targetE0EEEvT1_.uses_flat_scratch, 0
	.set _ZN7rocprim17ROCPRIM_400000_NS6detail17trampoline_kernelINS0_14default_configENS1_25partition_config_selectorILNS1_17partition_subalgoE5EdNS0_10empty_typeEbEEZZNS1_14partition_implILS5_5ELb0ES3_mN6thrust23THRUST_200600_302600_NS6detail15normal_iteratorINSA_10device_ptrIdEEEEPS6_NSA_18transform_iteratorINSB_9not_fun_tINSA_8identityIdEEEESF_NSA_11use_defaultESM_EENS0_5tupleIJSF_S6_EEENSO_IJSG_SG_EEES6_PlJS6_EEE10hipError_tPvRmT3_T4_T5_T6_T7_T9_mT8_P12ihipStream_tbDpT10_ENKUlT_T0_E_clISt17integral_constantIbLb0EES1A_IbLb1EEEEDaS16_S17_EUlS16_E_NS1_11comp_targetILNS1_3genE3ELNS1_11target_archE908ELNS1_3gpuE7ELNS1_3repE0EEENS1_30default_config_static_selectorELNS0_4arch9wavefront6targetE0EEEvT1_.has_dyn_sized_stack, 0
	.set _ZN7rocprim17ROCPRIM_400000_NS6detail17trampoline_kernelINS0_14default_configENS1_25partition_config_selectorILNS1_17partition_subalgoE5EdNS0_10empty_typeEbEEZZNS1_14partition_implILS5_5ELb0ES3_mN6thrust23THRUST_200600_302600_NS6detail15normal_iteratorINSA_10device_ptrIdEEEEPS6_NSA_18transform_iteratorINSB_9not_fun_tINSA_8identityIdEEEESF_NSA_11use_defaultESM_EENS0_5tupleIJSF_S6_EEENSO_IJSG_SG_EEES6_PlJS6_EEE10hipError_tPvRmT3_T4_T5_T6_T7_T9_mT8_P12ihipStream_tbDpT10_ENKUlT_T0_E_clISt17integral_constantIbLb0EES1A_IbLb1EEEEDaS16_S17_EUlS16_E_NS1_11comp_targetILNS1_3genE3ELNS1_11target_archE908ELNS1_3gpuE7ELNS1_3repE0EEENS1_30default_config_static_selectorELNS0_4arch9wavefront6targetE0EEEvT1_.has_recursion, 0
	.set _ZN7rocprim17ROCPRIM_400000_NS6detail17trampoline_kernelINS0_14default_configENS1_25partition_config_selectorILNS1_17partition_subalgoE5EdNS0_10empty_typeEbEEZZNS1_14partition_implILS5_5ELb0ES3_mN6thrust23THRUST_200600_302600_NS6detail15normal_iteratorINSA_10device_ptrIdEEEEPS6_NSA_18transform_iteratorINSB_9not_fun_tINSA_8identityIdEEEESF_NSA_11use_defaultESM_EENS0_5tupleIJSF_S6_EEENSO_IJSG_SG_EEES6_PlJS6_EEE10hipError_tPvRmT3_T4_T5_T6_T7_T9_mT8_P12ihipStream_tbDpT10_ENKUlT_T0_E_clISt17integral_constantIbLb0EES1A_IbLb1EEEEDaS16_S17_EUlS16_E_NS1_11comp_targetILNS1_3genE3ELNS1_11target_archE908ELNS1_3gpuE7ELNS1_3repE0EEENS1_30default_config_static_selectorELNS0_4arch9wavefront6targetE0EEEvT1_.has_indirect_call, 0
	.section	.AMDGPU.csdata,"",@progbits
; Kernel info:
; codeLenInByte = 0
; TotalNumSgprs: 0
; NumVgprs: 0
; ScratchSize: 0
; MemoryBound: 0
; FloatMode: 240
; IeeeMode: 1
; LDSByteSize: 0 bytes/workgroup (compile time only)
; SGPRBlocks: 0
; VGPRBlocks: 0
; NumSGPRsForWavesPerEU: 1
; NumVGPRsForWavesPerEU: 1
; Occupancy: 16
; WaveLimiterHint : 0
; COMPUTE_PGM_RSRC2:SCRATCH_EN: 0
; COMPUTE_PGM_RSRC2:USER_SGPR: 2
; COMPUTE_PGM_RSRC2:TRAP_HANDLER: 0
; COMPUTE_PGM_RSRC2:TGID_X_EN: 1
; COMPUTE_PGM_RSRC2:TGID_Y_EN: 0
; COMPUTE_PGM_RSRC2:TGID_Z_EN: 0
; COMPUTE_PGM_RSRC2:TIDIG_COMP_CNT: 0
	.section	.text._ZN7rocprim17ROCPRIM_400000_NS6detail17trampoline_kernelINS0_14default_configENS1_25partition_config_selectorILNS1_17partition_subalgoE5EdNS0_10empty_typeEbEEZZNS1_14partition_implILS5_5ELb0ES3_mN6thrust23THRUST_200600_302600_NS6detail15normal_iteratorINSA_10device_ptrIdEEEEPS6_NSA_18transform_iteratorINSB_9not_fun_tINSA_8identityIdEEEESF_NSA_11use_defaultESM_EENS0_5tupleIJSF_S6_EEENSO_IJSG_SG_EEES6_PlJS6_EEE10hipError_tPvRmT3_T4_T5_T6_T7_T9_mT8_P12ihipStream_tbDpT10_ENKUlT_T0_E_clISt17integral_constantIbLb0EES1A_IbLb1EEEEDaS16_S17_EUlS16_E_NS1_11comp_targetILNS1_3genE2ELNS1_11target_archE906ELNS1_3gpuE6ELNS1_3repE0EEENS1_30default_config_static_selectorELNS0_4arch9wavefront6targetE0EEEvT1_,"axG",@progbits,_ZN7rocprim17ROCPRIM_400000_NS6detail17trampoline_kernelINS0_14default_configENS1_25partition_config_selectorILNS1_17partition_subalgoE5EdNS0_10empty_typeEbEEZZNS1_14partition_implILS5_5ELb0ES3_mN6thrust23THRUST_200600_302600_NS6detail15normal_iteratorINSA_10device_ptrIdEEEEPS6_NSA_18transform_iteratorINSB_9not_fun_tINSA_8identityIdEEEESF_NSA_11use_defaultESM_EENS0_5tupleIJSF_S6_EEENSO_IJSG_SG_EEES6_PlJS6_EEE10hipError_tPvRmT3_T4_T5_T6_T7_T9_mT8_P12ihipStream_tbDpT10_ENKUlT_T0_E_clISt17integral_constantIbLb0EES1A_IbLb1EEEEDaS16_S17_EUlS16_E_NS1_11comp_targetILNS1_3genE2ELNS1_11target_archE906ELNS1_3gpuE6ELNS1_3repE0EEENS1_30default_config_static_selectorELNS0_4arch9wavefront6targetE0EEEvT1_,comdat
	.protected	_ZN7rocprim17ROCPRIM_400000_NS6detail17trampoline_kernelINS0_14default_configENS1_25partition_config_selectorILNS1_17partition_subalgoE5EdNS0_10empty_typeEbEEZZNS1_14partition_implILS5_5ELb0ES3_mN6thrust23THRUST_200600_302600_NS6detail15normal_iteratorINSA_10device_ptrIdEEEEPS6_NSA_18transform_iteratorINSB_9not_fun_tINSA_8identityIdEEEESF_NSA_11use_defaultESM_EENS0_5tupleIJSF_S6_EEENSO_IJSG_SG_EEES6_PlJS6_EEE10hipError_tPvRmT3_T4_T5_T6_T7_T9_mT8_P12ihipStream_tbDpT10_ENKUlT_T0_E_clISt17integral_constantIbLb0EES1A_IbLb1EEEEDaS16_S17_EUlS16_E_NS1_11comp_targetILNS1_3genE2ELNS1_11target_archE906ELNS1_3gpuE6ELNS1_3repE0EEENS1_30default_config_static_selectorELNS0_4arch9wavefront6targetE0EEEvT1_ ; -- Begin function _ZN7rocprim17ROCPRIM_400000_NS6detail17trampoline_kernelINS0_14default_configENS1_25partition_config_selectorILNS1_17partition_subalgoE5EdNS0_10empty_typeEbEEZZNS1_14partition_implILS5_5ELb0ES3_mN6thrust23THRUST_200600_302600_NS6detail15normal_iteratorINSA_10device_ptrIdEEEEPS6_NSA_18transform_iteratorINSB_9not_fun_tINSA_8identityIdEEEESF_NSA_11use_defaultESM_EENS0_5tupleIJSF_S6_EEENSO_IJSG_SG_EEES6_PlJS6_EEE10hipError_tPvRmT3_T4_T5_T6_T7_T9_mT8_P12ihipStream_tbDpT10_ENKUlT_T0_E_clISt17integral_constantIbLb0EES1A_IbLb1EEEEDaS16_S17_EUlS16_E_NS1_11comp_targetILNS1_3genE2ELNS1_11target_archE906ELNS1_3gpuE6ELNS1_3repE0EEENS1_30default_config_static_selectorELNS0_4arch9wavefront6targetE0EEEvT1_
	.globl	_ZN7rocprim17ROCPRIM_400000_NS6detail17trampoline_kernelINS0_14default_configENS1_25partition_config_selectorILNS1_17partition_subalgoE5EdNS0_10empty_typeEbEEZZNS1_14partition_implILS5_5ELb0ES3_mN6thrust23THRUST_200600_302600_NS6detail15normal_iteratorINSA_10device_ptrIdEEEEPS6_NSA_18transform_iteratorINSB_9not_fun_tINSA_8identityIdEEEESF_NSA_11use_defaultESM_EENS0_5tupleIJSF_S6_EEENSO_IJSG_SG_EEES6_PlJS6_EEE10hipError_tPvRmT3_T4_T5_T6_T7_T9_mT8_P12ihipStream_tbDpT10_ENKUlT_T0_E_clISt17integral_constantIbLb0EES1A_IbLb1EEEEDaS16_S17_EUlS16_E_NS1_11comp_targetILNS1_3genE2ELNS1_11target_archE906ELNS1_3gpuE6ELNS1_3repE0EEENS1_30default_config_static_selectorELNS0_4arch9wavefront6targetE0EEEvT1_
	.p2align	8
	.type	_ZN7rocprim17ROCPRIM_400000_NS6detail17trampoline_kernelINS0_14default_configENS1_25partition_config_selectorILNS1_17partition_subalgoE5EdNS0_10empty_typeEbEEZZNS1_14partition_implILS5_5ELb0ES3_mN6thrust23THRUST_200600_302600_NS6detail15normal_iteratorINSA_10device_ptrIdEEEEPS6_NSA_18transform_iteratorINSB_9not_fun_tINSA_8identityIdEEEESF_NSA_11use_defaultESM_EENS0_5tupleIJSF_S6_EEENSO_IJSG_SG_EEES6_PlJS6_EEE10hipError_tPvRmT3_T4_T5_T6_T7_T9_mT8_P12ihipStream_tbDpT10_ENKUlT_T0_E_clISt17integral_constantIbLb0EES1A_IbLb1EEEEDaS16_S17_EUlS16_E_NS1_11comp_targetILNS1_3genE2ELNS1_11target_archE906ELNS1_3gpuE6ELNS1_3repE0EEENS1_30default_config_static_selectorELNS0_4arch9wavefront6targetE0EEEvT1_,@function
_ZN7rocprim17ROCPRIM_400000_NS6detail17trampoline_kernelINS0_14default_configENS1_25partition_config_selectorILNS1_17partition_subalgoE5EdNS0_10empty_typeEbEEZZNS1_14partition_implILS5_5ELb0ES3_mN6thrust23THRUST_200600_302600_NS6detail15normal_iteratorINSA_10device_ptrIdEEEEPS6_NSA_18transform_iteratorINSB_9not_fun_tINSA_8identityIdEEEESF_NSA_11use_defaultESM_EENS0_5tupleIJSF_S6_EEENSO_IJSG_SG_EEES6_PlJS6_EEE10hipError_tPvRmT3_T4_T5_T6_T7_T9_mT8_P12ihipStream_tbDpT10_ENKUlT_T0_E_clISt17integral_constantIbLb0EES1A_IbLb1EEEEDaS16_S17_EUlS16_E_NS1_11comp_targetILNS1_3genE2ELNS1_11target_archE906ELNS1_3gpuE6ELNS1_3repE0EEENS1_30default_config_static_selectorELNS0_4arch9wavefront6targetE0EEEvT1_: ; @_ZN7rocprim17ROCPRIM_400000_NS6detail17trampoline_kernelINS0_14default_configENS1_25partition_config_selectorILNS1_17partition_subalgoE5EdNS0_10empty_typeEbEEZZNS1_14partition_implILS5_5ELb0ES3_mN6thrust23THRUST_200600_302600_NS6detail15normal_iteratorINSA_10device_ptrIdEEEEPS6_NSA_18transform_iteratorINSB_9not_fun_tINSA_8identityIdEEEESF_NSA_11use_defaultESM_EENS0_5tupleIJSF_S6_EEENSO_IJSG_SG_EEES6_PlJS6_EEE10hipError_tPvRmT3_T4_T5_T6_T7_T9_mT8_P12ihipStream_tbDpT10_ENKUlT_T0_E_clISt17integral_constantIbLb0EES1A_IbLb1EEEEDaS16_S17_EUlS16_E_NS1_11comp_targetILNS1_3genE2ELNS1_11target_archE906ELNS1_3gpuE6ELNS1_3repE0EEENS1_30default_config_static_selectorELNS0_4arch9wavefront6targetE0EEEvT1_
; %bb.0:
	.section	.rodata,"a",@progbits
	.p2align	6, 0x0
	.amdhsa_kernel _ZN7rocprim17ROCPRIM_400000_NS6detail17trampoline_kernelINS0_14default_configENS1_25partition_config_selectorILNS1_17partition_subalgoE5EdNS0_10empty_typeEbEEZZNS1_14partition_implILS5_5ELb0ES3_mN6thrust23THRUST_200600_302600_NS6detail15normal_iteratorINSA_10device_ptrIdEEEEPS6_NSA_18transform_iteratorINSB_9not_fun_tINSA_8identityIdEEEESF_NSA_11use_defaultESM_EENS0_5tupleIJSF_S6_EEENSO_IJSG_SG_EEES6_PlJS6_EEE10hipError_tPvRmT3_T4_T5_T6_T7_T9_mT8_P12ihipStream_tbDpT10_ENKUlT_T0_E_clISt17integral_constantIbLb0EES1A_IbLb1EEEEDaS16_S17_EUlS16_E_NS1_11comp_targetILNS1_3genE2ELNS1_11target_archE906ELNS1_3gpuE6ELNS1_3repE0EEENS1_30default_config_static_selectorELNS0_4arch9wavefront6targetE0EEEvT1_
		.amdhsa_group_segment_fixed_size 0
		.amdhsa_private_segment_fixed_size 0
		.amdhsa_kernarg_size 136
		.amdhsa_user_sgpr_count 2
		.amdhsa_user_sgpr_dispatch_ptr 0
		.amdhsa_user_sgpr_queue_ptr 0
		.amdhsa_user_sgpr_kernarg_segment_ptr 1
		.amdhsa_user_sgpr_dispatch_id 0
		.amdhsa_user_sgpr_private_segment_size 0
		.amdhsa_wavefront_size32 1
		.amdhsa_uses_dynamic_stack 0
		.amdhsa_enable_private_segment 0
		.amdhsa_system_sgpr_workgroup_id_x 1
		.amdhsa_system_sgpr_workgroup_id_y 0
		.amdhsa_system_sgpr_workgroup_id_z 0
		.amdhsa_system_sgpr_workgroup_info 0
		.amdhsa_system_vgpr_workitem_id 0
		.amdhsa_next_free_vgpr 1
		.amdhsa_next_free_sgpr 1
		.amdhsa_reserve_vcc 0
		.amdhsa_float_round_mode_32 0
		.amdhsa_float_round_mode_16_64 0
		.amdhsa_float_denorm_mode_32 3
		.amdhsa_float_denorm_mode_16_64 3
		.amdhsa_fp16_overflow 0
		.amdhsa_workgroup_processor_mode 1
		.amdhsa_memory_ordered 1
		.amdhsa_forward_progress 1
		.amdhsa_inst_pref_size 0
		.amdhsa_round_robin_scheduling 0
		.amdhsa_exception_fp_ieee_invalid_op 0
		.amdhsa_exception_fp_denorm_src 0
		.amdhsa_exception_fp_ieee_div_zero 0
		.amdhsa_exception_fp_ieee_overflow 0
		.amdhsa_exception_fp_ieee_underflow 0
		.amdhsa_exception_fp_ieee_inexact 0
		.amdhsa_exception_int_div_zero 0
	.end_amdhsa_kernel
	.section	.text._ZN7rocprim17ROCPRIM_400000_NS6detail17trampoline_kernelINS0_14default_configENS1_25partition_config_selectorILNS1_17partition_subalgoE5EdNS0_10empty_typeEbEEZZNS1_14partition_implILS5_5ELb0ES3_mN6thrust23THRUST_200600_302600_NS6detail15normal_iteratorINSA_10device_ptrIdEEEEPS6_NSA_18transform_iteratorINSB_9not_fun_tINSA_8identityIdEEEESF_NSA_11use_defaultESM_EENS0_5tupleIJSF_S6_EEENSO_IJSG_SG_EEES6_PlJS6_EEE10hipError_tPvRmT3_T4_T5_T6_T7_T9_mT8_P12ihipStream_tbDpT10_ENKUlT_T0_E_clISt17integral_constantIbLb0EES1A_IbLb1EEEEDaS16_S17_EUlS16_E_NS1_11comp_targetILNS1_3genE2ELNS1_11target_archE906ELNS1_3gpuE6ELNS1_3repE0EEENS1_30default_config_static_selectorELNS0_4arch9wavefront6targetE0EEEvT1_,"axG",@progbits,_ZN7rocprim17ROCPRIM_400000_NS6detail17trampoline_kernelINS0_14default_configENS1_25partition_config_selectorILNS1_17partition_subalgoE5EdNS0_10empty_typeEbEEZZNS1_14partition_implILS5_5ELb0ES3_mN6thrust23THRUST_200600_302600_NS6detail15normal_iteratorINSA_10device_ptrIdEEEEPS6_NSA_18transform_iteratorINSB_9not_fun_tINSA_8identityIdEEEESF_NSA_11use_defaultESM_EENS0_5tupleIJSF_S6_EEENSO_IJSG_SG_EEES6_PlJS6_EEE10hipError_tPvRmT3_T4_T5_T6_T7_T9_mT8_P12ihipStream_tbDpT10_ENKUlT_T0_E_clISt17integral_constantIbLb0EES1A_IbLb1EEEEDaS16_S17_EUlS16_E_NS1_11comp_targetILNS1_3genE2ELNS1_11target_archE906ELNS1_3gpuE6ELNS1_3repE0EEENS1_30default_config_static_selectorELNS0_4arch9wavefront6targetE0EEEvT1_,comdat
.Lfunc_end817:
	.size	_ZN7rocprim17ROCPRIM_400000_NS6detail17trampoline_kernelINS0_14default_configENS1_25partition_config_selectorILNS1_17partition_subalgoE5EdNS0_10empty_typeEbEEZZNS1_14partition_implILS5_5ELb0ES3_mN6thrust23THRUST_200600_302600_NS6detail15normal_iteratorINSA_10device_ptrIdEEEEPS6_NSA_18transform_iteratorINSB_9not_fun_tINSA_8identityIdEEEESF_NSA_11use_defaultESM_EENS0_5tupleIJSF_S6_EEENSO_IJSG_SG_EEES6_PlJS6_EEE10hipError_tPvRmT3_T4_T5_T6_T7_T9_mT8_P12ihipStream_tbDpT10_ENKUlT_T0_E_clISt17integral_constantIbLb0EES1A_IbLb1EEEEDaS16_S17_EUlS16_E_NS1_11comp_targetILNS1_3genE2ELNS1_11target_archE906ELNS1_3gpuE6ELNS1_3repE0EEENS1_30default_config_static_selectorELNS0_4arch9wavefront6targetE0EEEvT1_, .Lfunc_end817-_ZN7rocprim17ROCPRIM_400000_NS6detail17trampoline_kernelINS0_14default_configENS1_25partition_config_selectorILNS1_17partition_subalgoE5EdNS0_10empty_typeEbEEZZNS1_14partition_implILS5_5ELb0ES3_mN6thrust23THRUST_200600_302600_NS6detail15normal_iteratorINSA_10device_ptrIdEEEEPS6_NSA_18transform_iteratorINSB_9not_fun_tINSA_8identityIdEEEESF_NSA_11use_defaultESM_EENS0_5tupleIJSF_S6_EEENSO_IJSG_SG_EEES6_PlJS6_EEE10hipError_tPvRmT3_T4_T5_T6_T7_T9_mT8_P12ihipStream_tbDpT10_ENKUlT_T0_E_clISt17integral_constantIbLb0EES1A_IbLb1EEEEDaS16_S17_EUlS16_E_NS1_11comp_targetILNS1_3genE2ELNS1_11target_archE906ELNS1_3gpuE6ELNS1_3repE0EEENS1_30default_config_static_selectorELNS0_4arch9wavefront6targetE0EEEvT1_
                                        ; -- End function
	.set _ZN7rocprim17ROCPRIM_400000_NS6detail17trampoline_kernelINS0_14default_configENS1_25partition_config_selectorILNS1_17partition_subalgoE5EdNS0_10empty_typeEbEEZZNS1_14partition_implILS5_5ELb0ES3_mN6thrust23THRUST_200600_302600_NS6detail15normal_iteratorINSA_10device_ptrIdEEEEPS6_NSA_18transform_iteratorINSB_9not_fun_tINSA_8identityIdEEEESF_NSA_11use_defaultESM_EENS0_5tupleIJSF_S6_EEENSO_IJSG_SG_EEES6_PlJS6_EEE10hipError_tPvRmT3_T4_T5_T6_T7_T9_mT8_P12ihipStream_tbDpT10_ENKUlT_T0_E_clISt17integral_constantIbLb0EES1A_IbLb1EEEEDaS16_S17_EUlS16_E_NS1_11comp_targetILNS1_3genE2ELNS1_11target_archE906ELNS1_3gpuE6ELNS1_3repE0EEENS1_30default_config_static_selectorELNS0_4arch9wavefront6targetE0EEEvT1_.num_vgpr, 0
	.set _ZN7rocprim17ROCPRIM_400000_NS6detail17trampoline_kernelINS0_14default_configENS1_25partition_config_selectorILNS1_17partition_subalgoE5EdNS0_10empty_typeEbEEZZNS1_14partition_implILS5_5ELb0ES3_mN6thrust23THRUST_200600_302600_NS6detail15normal_iteratorINSA_10device_ptrIdEEEEPS6_NSA_18transform_iteratorINSB_9not_fun_tINSA_8identityIdEEEESF_NSA_11use_defaultESM_EENS0_5tupleIJSF_S6_EEENSO_IJSG_SG_EEES6_PlJS6_EEE10hipError_tPvRmT3_T4_T5_T6_T7_T9_mT8_P12ihipStream_tbDpT10_ENKUlT_T0_E_clISt17integral_constantIbLb0EES1A_IbLb1EEEEDaS16_S17_EUlS16_E_NS1_11comp_targetILNS1_3genE2ELNS1_11target_archE906ELNS1_3gpuE6ELNS1_3repE0EEENS1_30default_config_static_selectorELNS0_4arch9wavefront6targetE0EEEvT1_.num_agpr, 0
	.set _ZN7rocprim17ROCPRIM_400000_NS6detail17trampoline_kernelINS0_14default_configENS1_25partition_config_selectorILNS1_17partition_subalgoE5EdNS0_10empty_typeEbEEZZNS1_14partition_implILS5_5ELb0ES3_mN6thrust23THRUST_200600_302600_NS6detail15normal_iteratorINSA_10device_ptrIdEEEEPS6_NSA_18transform_iteratorINSB_9not_fun_tINSA_8identityIdEEEESF_NSA_11use_defaultESM_EENS0_5tupleIJSF_S6_EEENSO_IJSG_SG_EEES6_PlJS6_EEE10hipError_tPvRmT3_T4_T5_T6_T7_T9_mT8_P12ihipStream_tbDpT10_ENKUlT_T0_E_clISt17integral_constantIbLb0EES1A_IbLb1EEEEDaS16_S17_EUlS16_E_NS1_11comp_targetILNS1_3genE2ELNS1_11target_archE906ELNS1_3gpuE6ELNS1_3repE0EEENS1_30default_config_static_selectorELNS0_4arch9wavefront6targetE0EEEvT1_.numbered_sgpr, 0
	.set _ZN7rocprim17ROCPRIM_400000_NS6detail17trampoline_kernelINS0_14default_configENS1_25partition_config_selectorILNS1_17partition_subalgoE5EdNS0_10empty_typeEbEEZZNS1_14partition_implILS5_5ELb0ES3_mN6thrust23THRUST_200600_302600_NS6detail15normal_iteratorINSA_10device_ptrIdEEEEPS6_NSA_18transform_iteratorINSB_9not_fun_tINSA_8identityIdEEEESF_NSA_11use_defaultESM_EENS0_5tupleIJSF_S6_EEENSO_IJSG_SG_EEES6_PlJS6_EEE10hipError_tPvRmT3_T4_T5_T6_T7_T9_mT8_P12ihipStream_tbDpT10_ENKUlT_T0_E_clISt17integral_constantIbLb0EES1A_IbLb1EEEEDaS16_S17_EUlS16_E_NS1_11comp_targetILNS1_3genE2ELNS1_11target_archE906ELNS1_3gpuE6ELNS1_3repE0EEENS1_30default_config_static_selectorELNS0_4arch9wavefront6targetE0EEEvT1_.num_named_barrier, 0
	.set _ZN7rocprim17ROCPRIM_400000_NS6detail17trampoline_kernelINS0_14default_configENS1_25partition_config_selectorILNS1_17partition_subalgoE5EdNS0_10empty_typeEbEEZZNS1_14partition_implILS5_5ELb0ES3_mN6thrust23THRUST_200600_302600_NS6detail15normal_iteratorINSA_10device_ptrIdEEEEPS6_NSA_18transform_iteratorINSB_9not_fun_tINSA_8identityIdEEEESF_NSA_11use_defaultESM_EENS0_5tupleIJSF_S6_EEENSO_IJSG_SG_EEES6_PlJS6_EEE10hipError_tPvRmT3_T4_T5_T6_T7_T9_mT8_P12ihipStream_tbDpT10_ENKUlT_T0_E_clISt17integral_constantIbLb0EES1A_IbLb1EEEEDaS16_S17_EUlS16_E_NS1_11comp_targetILNS1_3genE2ELNS1_11target_archE906ELNS1_3gpuE6ELNS1_3repE0EEENS1_30default_config_static_selectorELNS0_4arch9wavefront6targetE0EEEvT1_.private_seg_size, 0
	.set _ZN7rocprim17ROCPRIM_400000_NS6detail17trampoline_kernelINS0_14default_configENS1_25partition_config_selectorILNS1_17partition_subalgoE5EdNS0_10empty_typeEbEEZZNS1_14partition_implILS5_5ELb0ES3_mN6thrust23THRUST_200600_302600_NS6detail15normal_iteratorINSA_10device_ptrIdEEEEPS6_NSA_18transform_iteratorINSB_9not_fun_tINSA_8identityIdEEEESF_NSA_11use_defaultESM_EENS0_5tupleIJSF_S6_EEENSO_IJSG_SG_EEES6_PlJS6_EEE10hipError_tPvRmT3_T4_T5_T6_T7_T9_mT8_P12ihipStream_tbDpT10_ENKUlT_T0_E_clISt17integral_constantIbLb0EES1A_IbLb1EEEEDaS16_S17_EUlS16_E_NS1_11comp_targetILNS1_3genE2ELNS1_11target_archE906ELNS1_3gpuE6ELNS1_3repE0EEENS1_30default_config_static_selectorELNS0_4arch9wavefront6targetE0EEEvT1_.uses_vcc, 0
	.set _ZN7rocprim17ROCPRIM_400000_NS6detail17trampoline_kernelINS0_14default_configENS1_25partition_config_selectorILNS1_17partition_subalgoE5EdNS0_10empty_typeEbEEZZNS1_14partition_implILS5_5ELb0ES3_mN6thrust23THRUST_200600_302600_NS6detail15normal_iteratorINSA_10device_ptrIdEEEEPS6_NSA_18transform_iteratorINSB_9not_fun_tINSA_8identityIdEEEESF_NSA_11use_defaultESM_EENS0_5tupleIJSF_S6_EEENSO_IJSG_SG_EEES6_PlJS6_EEE10hipError_tPvRmT3_T4_T5_T6_T7_T9_mT8_P12ihipStream_tbDpT10_ENKUlT_T0_E_clISt17integral_constantIbLb0EES1A_IbLb1EEEEDaS16_S17_EUlS16_E_NS1_11comp_targetILNS1_3genE2ELNS1_11target_archE906ELNS1_3gpuE6ELNS1_3repE0EEENS1_30default_config_static_selectorELNS0_4arch9wavefront6targetE0EEEvT1_.uses_flat_scratch, 0
	.set _ZN7rocprim17ROCPRIM_400000_NS6detail17trampoline_kernelINS0_14default_configENS1_25partition_config_selectorILNS1_17partition_subalgoE5EdNS0_10empty_typeEbEEZZNS1_14partition_implILS5_5ELb0ES3_mN6thrust23THRUST_200600_302600_NS6detail15normal_iteratorINSA_10device_ptrIdEEEEPS6_NSA_18transform_iteratorINSB_9not_fun_tINSA_8identityIdEEEESF_NSA_11use_defaultESM_EENS0_5tupleIJSF_S6_EEENSO_IJSG_SG_EEES6_PlJS6_EEE10hipError_tPvRmT3_T4_T5_T6_T7_T9_mT8_P12ihipStream_tbDpT10_ENKUlT_T0_E_clISt17integral_constantIbLb0EES1A_IbLb1EEEEDaS16_S17_EUlS16_E_NS1_11comp_targetILNS1_3genE2ELNS1_11target_archE906ELNS1_3gpuE6ELNS1_3repE0EEENS1_30default_config_static_selectorELNS0_4arch9wavefront6targetE0EEEvT1_.has_dyn_sized_stack, 0
	.set _ZN7rocprim17ROCPRIM_400000_NS6detail17trampoline_kernelINS0_14default_configENS1_25partition_config_selectorILNS1_17partition_subalgoE5EdNS0_10empty_typeEbEEZZNS1_14partition_implILS5_5ELb0ES3_mN6thrust23THRUST_200600_302600_NS6detail15normal_iteratorINSA_10device_ptrIdEEEEPS6_NSA_18transform_iteratorINSB_9not_fun_tINSA_8identityIdEEEESF_NSA_11use_defaultESM_EENS0_5tupleIJSF_S6_EEENSO_IJSG_SG_EEES6_PlJS6_EEE10hipError_tPvRmT3_T4_T5_T6_T7_T9_mT8_P12ihipStream_tbDpT10_ENKUlT_T0_E_clISt17integral_constantIbLb0EES1A_IbLb1EEEEDaS16_S17_EUlS16_E_NS1_11comp_targetILNS1_3genE2ELNS1_11target_archE906ELNS1_3gpuE6ELNS1_3repE0EEENS1_30default_config_static_selectorELNS0_4arch9wavefront6targetE0EEEvT1_.has_recursion, 0
	.set _ZN7rocprim17ROCPRIM_400000_NS6detail17trampoline_kernelINS0_14default_configENS1_25partition_config_selectorILNS1_17partition_subalgoE5EdNS0_10empty_typeEbEEZZNS1_14partition_implILS5_5ELb0ES3_mN6thrust23THRUST_200600_302600_NS6detail15normal_iteratorINSA_10device_ptrIdEEEEPS6_NSA_18transform_iteratorINSB_9not_fun_tINSA_8identityIdEEEESF_NSA_11use_defaultESM_EENS0_5tupleIJSF_S6_EEENSO_IJSG_SG_EEES6_PlJS6_EEE10hipError_tPvRmT3_T4_T5_T6_T7_T9_mT8_P12ihipStream_tbDpT10_ENKUlT_T0_E_clISt17integral_constantIbLb0EES1A_IbLb1EEEEDaS16_S17_EUlS16_E_NS1_11comp_targetILNS1_3genE2ELNS1_11target_archE906ELNS1_3gpuE6ELNS1_3repE0EEENS1_30default_config_static_selectorELNS0_4arch9wavefront6targetE0EEEvT1_.has_indirect_call, 0
	.section	.AMDGPU.csdata,"",@progbits
; Kernel info:
; codeLenInByte = 0
; TotalNumSgprs: 0
; NumVgprs: 0
; ScratchSize: 0
; MemoryBound: 0
; FloatMode: 240
; IeeeMode: 1
; LDSByteSize: 0 bytes/workgroup (compile time only)
; SGPRBlocks: 0
; VGPRBlocks: 0
; NumSGPRsForWavesPerEU: 1
; NumVGPRsForWavesPerEU: 1
; Occupancy: 16
; WaveLimiterHint : 0
; COMPUTE_PGM_RSRC2:SCRATCH_EN: 0
; COMPUTE_PGM_RSRC2:USER_SGPR: 2
; COMPUTE_PGM_RSRC2:TRAP_HANDLER: 0
; COMPUTE_PGM_RSRC2:TGID_X_EN: 1
; COMPUTE_PGM_RSRC2:TGID_Y_EN: 0
; COMPUTE_PGM_RSRC2:TGID_Z_EN: 0
; COMPUTE_PGM_RSRC2:TIDIG_COMP_CNT: 0
	.section	.text._ZN7rocprim17ROCPRIM_400000_NS6detail17trampoline_kernelINS0_14default_configENS1_25partition_config_selectorILNS1_17partition_subalgoE5EdNS0_10empty_typeEbEEZZNS1_14partition_implILS5_5ELb0ES3_mN6thrust23THRUST_200600_302600_NS6detail15normal_iteratorINSA_10device_ptrIdEEEEPS6_NSA_18transform_iteratorINSB_9not_fun_tINSA_8identityIdEEEESF_NSA_11use_defaultESM_EENS0_5tupleIJSF_S6_EEENSO_IJSG_SG_EEES6_PlJS6_EEE10hipError_tPvRmT3_T4_T5_T6_T7_T9_mT8_P12ihipStream_tbDpT10_ENKUlT_T0_E_clISt17integral_constantIbLb0EES1A_IbLb1EEEEDaS16_S17_EUlS16_E_NS1_11comp_targetILNS1_3genE10ELNS1_11target_archE1200ELNS1_3gpuE4ELNS1_3repE0EEENS1_30default_config_static_selectorELNS0_4arch9wavefront6targetE0EEEvT1_,"axG",@progbits,_ZN7rocprim17ROCPRIM_400000_NS6detail17trampoline_kernelINS0_14default_configENS1_25partition_config_selectorILNS1_17partition_subalgoE5EdNS0_10empty_typeEbEEZZNS1_14partition_implILS5_5ELb0ES3_mN6thrust23THRUST_200600_302600_NS6detail15normal_iteratorINSA_10device_ptrIdEEEEPS6_NSA_18transform_iteratorINSB_9not_fun_tINSA_8identityIdEEEESF_NSA_11use_defaultESM_EENS0_5tupleIJSF_S6_EEENSO_IJSG_SG_EEES6_PlJS6_EEE10hipError_tPvRmT3_T4_T5_T6_T7_T9_mT8_P12ihipStream_tbDpT10_ENKUlT_T0_E_clISt17integral_constantIbLb0EES1A_IbLb1EEEEDaS16_S17_EUlS16_E_NS1_11comp_targetILNS1_3genE10ELNS1_11target_archE1200ELNS1_3gpuE4ELNS1_3repE0EEENS1_30default_config_static_selectorELNS0_4arch9wavefront6targetE0EEEvT1_,comdat
	.protected	_ZN7rocprim17ROCPRIM_400000_NS6detail17trampoline_kernelINS0_14default_configENS1_25partition_config_selectorILNS1_17partition_subalgoE5EdNS0_10empty_typeEbEEZZNS1_14partition_implILS5_5ELb0ES3_mN6thrust23THRUST_200600_302600_NS6detail15normal_iteratorINSA_10device_ptrIdEEEEPS6_NSA_18transform_iteratorINSB_9not_fun_tINSA_8identityIdEEEESF_NSA_11use_defaultESM_EENS0_5tupleIJSF_S6_EEENSO_IJSG_SG_EEES6_PlJS6_EEE10hipError_tPvRmT3_T4_T5_T6_T7_T9_mT8_P12ihipStream_tbDpT10_ENKUlT_T0_E_clISt17integral_constantIbLb0EES1A_IbLb1EEEEDaS16_S17_EUlS16_E_NS1_11comp_targetILNS1_3genE10ELNS1_11target_archE1200ELNS1_3gpuE4ELNS1_3repE0EEENS1_30default_config_static_selectorELNS0_4arch9wavefront6targetE0EEEvT1_ ; -- Begin function _ZN7rocprim17ROCPRIM_400000_NS6detail17trampoline_kernelINS0_14default_configENS1_25partition_config_selectorILNS1_17partition_subalgoE5EdNS0_10empty_typeEbEEZZNS1_14partition_implILS5_5ELb0ES3_mN6thrust23THRUST_200600_302600_NS6detail15normal_iteratorINSA_10device_ptrIdEEEEPS6_NSA_18transform_iteratorINSB_9not_fun_tINSA_8identityIdEEEESF_NSA_11use_defaultESM_EENS0_5tupleIJSF_S6_EEENSO_IJSG_SG_EEES6_PlJS6_EEE10hipError_tPvRmT3_T4_T5_T6_T7_T9_mT8_P12ihipStream_tbDpT10_ENKUlT_T0_E_clISt17integral_constantIbLb0EES1A_IbLb1EEEEDaS16_S17_EUlS16_E_NS1_11comp_targetILNS1_3genE10ELNS1_11target_archE1200ELNS1_3gpuE4ELNS1_3repE0EEENS1_30default_config_static_selectorELNS0_4arch9wavefront6targetE0EEEvT1_
	.globl	_ZN7rocprim17ROCPRIM_400000_NS6detail17trampoline_kernelINS0_14default_configENS1_25partition_config_selectorILNS1_17partition_subalgoE5EdNS0_10empty_typeEbEEZZNS1_14partition_implILS5_5ELb0ES3_mN6thrust23THRUST_200600_302600_NS6detail15normal_iteratorINSA_10device_ptrIdEEEEPS6_NSA_18transform_iteratorINSB_9not_fun_tINSA_8identityIdEEEESF_NSA_11use_defaultESM_EENS0_5tupleIJSF_S6_EEENSO_IJSG_SG_EEES6_PlJS6_EEE10hipError_tPvRmT3_T4_T5_T6_T7_T9_mT8_P12ihipStream_tbDpT10_ENKUlT_T0_E_clISt17integral_constantIbLb0EES1A_IbLb1EEEEDaS16_S17_EUlS16_E_NS1_11comp_targetILNS1_3genE10ELNS1_11target_archE1200ELNS1_3gpuE4ELNS1_3repE0EEENS1_30default_config_static_selectorELNS0_4arch9wavefront6targetE0EEEvT1_
	.p2align	8
	.type	_ZN7rocprim17ROCPRIM_400000_NS6detail17trampoline_kernelINS0_14default_configENS1_25partition_config_selectorILNS1_17partition_subalgoE5EdNS0_10empty_typeEbEEZZNS1_14partition_implILS5_5ELb0ES3_mN6thrust23THRUST_200600_302600_NS6detail15normal_iteratorINSA_10device_ptrIdEEEEPS6_NSA_18transform_iteratorINSB_9not_fun_tINSA_8identityIdEEEESF_NSA_11use_defaultESM_EENS0_5tupleIJSF_S6_EEENSO_IJSG_SG_EEES6_PlJS6_EEE10hipError_tPvRmT3_T4_T5_T6_T7_T9_mT8_P12ihipStream_tbDpT10_ENKUlT_T0_E_clISt17integral_constantIbLb0EES1A_IbLb1EEEEDaS16_S17_EUlS16_E_NS1_11comp_targetILNS1_3genE10ELNS1_11target_archE1200ELNS1_3gpuE4ELNS1_3repE0EEENS1_30default_config_static_selectorELNS0_4arch9wavefront6targetE0EEEvT1_,@function
_ZN7rocprim17ROCPRIM_400000_NS6detail17trampoline_kernelINS0_14default_configENS1_25partition_config_selectorILNS1_17partition_subalgoE5EdNS0_10empty_typeEbEEZZNS1_14partition_implILS5_5ELb0ES3_mN6thrust23THRUST_200600_302600_NS6detail15normal_iteratorINSA_10device_ptrIdEEEEPS6_NSA_18transform_iteratorINSB_9not_fun_tINSA_8identityIdEEEESF_NSA_11use_defaultESM_EENS0_5tupleIJSF_S6_EEENSO_IJSG_SG_EEES6_PlJS6_EEE10hipError_tPvRmT3_T4_T5_T6_T7_T9_mT8_P12ihipStream_tbDpT10_ENKUlT_T0_E_clISt17integral_constantIbLb0EES1A_IbLb1EEEEDaS16_S17_EUlS16_E_NS1_11comp_targetILNS1_3genE10ELNS1_11target_archE1200ELNS1_3gpuE4ELNS1_3repE0EEENS1_30default_config_static_selectorELNS0_4arch9wavefront6targetE0EEEvT1_: ; @_ZN7rocprim17ROCPRIM_400000_NS6detail17trampoline_kernelINS0_14default_configENS1_25partition_config_selectorILNS1_17partition_subalgoE5EdNS0_10empty_typeEbEEZZNS1_14partition_implILS5_5ELb0ES3_mN6thrust23THRUST_200600_302600_NS6detail15normal_iteratorINSA_10device_ptrIdEEEEPS6_NSA_18transform_iteratorINSB_9not_fun_tINSA_8identityIdEEEESF_NSA_11use_defaultESM_EENS0_5tupleIJSF_S6_EEENSO_IJSG_SG_EEES6_PlJS6_EEE10hipError_tPvRmT3_T4_T5_T6_T7_T9_mT8_P12ihipStream_tbDpT10_ENKUlT_T0_E_clISt17integral_constantIbLb0EES1A_IbLb1EEEEDaS16_S17_EUlS16_E_NS1_11comp_targetILNS1_3genE10ELNS1_11target_archE1200ELNS1_3gpuE4ELNS1_3repE0EEENS1_30default_config_static_selectorELNS0_4arch9wavefront6targetE0EEEvT1_
; %bb.0:
	s_clause 0x3
	s_load_b64 s[12:13], s[0:1], 0x30
	s_load_b128 s[4:7], s[0:1], 0x48
	s_load_b64 s[18:19], s[0:1], 0x58
	s_load_b64 s[14:15], s[0:1], 0x68
	v_cmp_eq_u32_e64 s2, 0, v0
	s_and_saveexec_b32 s3, s2
	s_cbranch_execz .LBB818_4
; %bb.1:
	s_mov_b32 s9, exec_lo
	s_mov_b32 s8, exec_lo
	v_mbcnt_lo_u32_b32 v1, s9, 0
                                        ; implicit-def: $vgpr2
	s_delay_alu instid0(VALU_DEP_1)
	v_cmpx_eq_u32_e32 0, v1
	s_cbranch_execz .LBB818_3
; %bb.2:
	s_load_b64 s[10:11], s[0:1], 0x78
	s_bcnt1_i32_b32 s9, s9
	s_wait_alu 0xfffe
	v_dual_mov_b32 v2, 0 :: v_dual_mov_b32 v3, s9
	s_wait_kmcnt 0x0
	global_atomic_add_u32 v2, v2, v3, s[10:11] th:TH_ATOMIC_RETURN scope:SCOPE_DEV
.LBB818_3:
	s_or_b32 exec_lo, exec_lo, s8
	s_wait_loadcnt 0x0
	v_readfirstlane_b32 s8, v2
	s_wait_alu 0xf1ff
	s_delay_alu instid0(VALU_DEP_1)
	v_dual_mov_b32 v2, 0 :: v_dual_add_nc_u32 v1, s8, v1
	ds_store_b32 v2, v1
.LBB818_4:
	s_or_b32 exec_lo, exec_lo, s3
	v_mov_b32_e32 v1, 0
	s_clause 0x2
	s_load_b128 s[8:11], s[0:1], 0x8
	s_load_b64 s[16:17], s[0:1], 0x20
	s_load_b32 s0, s[0:1], 0x70
	s_wait_dscnt 0x0
	s_barrier_signal -1
	s_barrier_wait -1
	global_inv scope:SCOPE_SE
	ds_load_b32 v2, v1
	s_wait_loadcnt_dscnt 0x0
	s_barrier_signal -1
	s_barrier_wait -1
	global_inv scope:SCOPE_SE
	s_wait_kmcnt 0x0
	global_load_b64 v[17:18], v1, s[6:7]
	s_lshl_b64 s[6:7], s[10:11], 3
	s_delay_alu instid0(SALU_CYCLE_1)
	s_add_nc_u64 s[22:23], s[8:9], s[6:7]
	s_mul_i32 s8, s0, 0x500
	s_mov_b32 s9, 0
	s_wait_alu 0xfffe
	s_add_co_i32 s3, s8, s10
	s_add_co_i32 s21, s0, -1
	v_readfirstlane_b32 s20, v2
	s_add_nc_u64 s[0:1], s[10:11], s[8:9]
	s_sub_co_i32 s3, s18, s3
	v_cmp_le_u64_e64 s0, s[18:19], s[0:1]
	s_addk_co_i32 s3, 0x500
	s_cmp_eq_u32 s20, s21
	s_mul_i32 s8, s20, 0x500
	s_cselect_b32 s18, -1, 0
	s_wait_alu 0xfffe
	s_lshl_b64 s[8:9], s[8:9], 3
	s_and_b32 s0, s0, s18
	s_mov_b32 s1, -1
	s_wait_alu 0xfffe
	s_xor_b32 s19, s0, -1
	s_add_nc_u64 s[10:11], s[22:23], s[8:9]
	s_wait_alu 0xfffe
	s_and_b32 vcc_lo, exec_lo, s19
	s_cbranch_vccz .LBB818_6
; %bb.5:
	v_lshlrev_b32_e32 v11, 3, v0
	s_mov_b32 s1, 0
	s_delay_alu instid0(VALU_DEP_1)
	v_add_co_u32 v1, s0, s10, v11
	s_wait_alu 0xf1ff
	v_add_co_ci_u32_e64 v2, null, s11, 0, s0
	s_clause 0x4
	flat_load_b64 v[3:4], v[1:2]
	flat_load_b64 v[5:6], v[1:2] offset:2048
	flat_load_b64 v[7:8], v[1:2] offset:4096
	;; [unrolled: 1-line block ×4, first 2 shown]
	s_wait_loadcnt_dscnt 0x303
	ds_store_2addr_stride64_b64 v11, v[3:4], v[5:6] offset1:4
	s_wait_loadcnt_dscnt 0x102
	ds_store_2addr_stride64_b64 v11, v[7:8], v[9:10] offset0:8 offset1:12
	s_wait_loadcnt_dscnt 0x2
	ds_store_b64 v11, v[1:2] offset:8192
	s_wait_dscnt 0x0
	s_barrier_signal -1
	s_barrier_wait -1
.LBB818_6:
	v_cmp_gt_u32_e64 s0, s3, v0
	s_wait_alu 0xfffe
	s_and_not1_b32 vcc_lo, exec_lo, s1
	s_cbranch_vccnz .LBB818_18
; %bb.7:
	v_mov_b32_e32 v1, 0
	s_delay_alu instid0(VALU_DEP_1)
	v_dual_mov_b32 v2, v1 :: v_dual_mov_b32 v3, v1
	v_dual_mov_b32 v4, v1 :: v_dual_mov_b32 v5, v1
	;; [unrolled: 1-line block ×4, first 2 shown]
	v_mov_b32_e32 v10, v1
	s_and_saveexec_b32 s1, s0
	s_cbranch_execz .LBB818_9
; %bb.8:
	v_dual_mov_b32 v5, v1 :: v_dual_lshlrev_b32 v2, 3, v0
	v_dual_mov_b32 v4, v1 :: v_dual_mov_b32 v7, v1
	v_dual_mov_b32 v6, v1 :: v_dual_mov_b32 v9, v1
	s_delay_alu instid0(VALU_DEP_3)
	v_add_co_u32 v2, s0, s10, v2
	s_wait_alu 0xf1ff
	v_add_co_ci_u32_e64 v3, null, s11, 0, s0
	v_dual_mov_b32 v8, v1 :: v_dual_mov_b32 v11, v1
	v_mov_b32_e32 v10, v1
	flat_load_b64 v[2:3], v[2:3]
	s_wait_loadcnt_dscnt 0x0
	v_mov_b32_e32 v1, v2
	v_mov_b32_e32 v2, v3
	;; [unrolled: 1-line block ×16, first 2 shown]
.LBB818_9:
	s_wait_alu 0xfffe
	s_or_b32 exec_lo, exec_lo, s1
	v_or_b32_e32 v11, 0x100, v0
	s_mov_b32 s0, exec_lo
	s_delay_alu instid0(VALU_DEP_1)
	v_cmpx_gt_u32_e64 s3, v11
	s_cbranch_execz .LBB818_11
; %bb.10:
	v_lshlrev_b32_e32 v3, 3, v0
	s_delay_alu instid0(VALU_DEP_1)
	v_add_co_u32 v3, s1, s10, v3
	s_wait_alu 0xf1ff
	v_add_co_ci_u32_e64 v4, null, s11, 0, s1
	flat_load_b64 v[3:4], v[3:4] offset:2048
.LBB818_11:
	s_wait_alu 0xfffe
	s_or_b32 exec_lo, exec_lo, s0
	v_or_b32_e32 v11, 0x200, v0
	s_mov_b32 s0, exec_lo
	s_delay_alu instid0(VALU_DEP_1)
	v_cmpx_gt_u32_e64 s3, v11
	s_cbranch_execz .LBB818_13
; %bb.12:
	v_lshlrev_b32_e32 v5, 3, v0
	s_delay_alu instid0(VALU_DEP_1)
	v_add_co_u32 v5, s1, s10, v5
	s_wait_alu 0xf1ff
	v_add_co_ci_u32_e64 v6, null, s11, 0, s1
	flat_load_b64 v[5:6], v[5:6] offset:4096
.LBB818_13:
	;; [unrolled: 15-line block ×4, first 2 shown]
	s_wait_alu 0xfffe
	s_or_b32 exec_lo, exec_lo, s0
	v_lshlrev_b32_e32 v11, 3, v0
	s_wait_loadcnt_dscnt 0x0
	ds_store_2addr_stride64_b64 v11, v[1:2], v[3:4] offset1:4
	ds_store_2addr_stride64_b64 v11, v[5:6], v[7:8] offset0:8 offset1:12
	ds_store_b64 v11, v[9:10] offset:8192
	s_wait_dscnt 0x0
	s_barrier_signal -1
	s_barrier_wait -1
.LBB818_18:
	v_mul_u32_u24_e32 v1, 5, v0
	s_wait_loadcnt 0x0
	global_inv scope:SCOPE_SE
	s_add_nc_u64 s[0:1], s[16:17], s[6:7]
	s_and_b32 vcc_lo, exec_lo, s19
	s_wait_alu 0xfffe
	s_add_nc_u64 s[0:1], s[0:1], s[8:9]
	v_lshlrev_b32_e32 v9, 3, v1
	s_mov_b32 s6, -1
	ds_load_2addr_b64 v[5:8], v9 offset1:1
	ds_load_2addr_b64 v[1:4], v9 offset0:2 offset1:3
	ds_load_b64 v[19:20], v9 offset:32
	s_wait_loadcnt_dscnt 0x0
	s_barrier_signal -1
	s_barrier_wait -1
	global_inv scope:SCOPE_SE
	s_cbranch_vccz .LBB818_20
; %bb.19:
	v_lshlrev_b32_e32 v16, 3, v0
	s_mov_b32 s6, 0
	s_clause 0x4
	global_load_b64 v[10:11], v16, s[0:1]
	global_load_b64 v[12:13], v16, s[0:1] offset:2048
	global_load_b64 v[14:15], v16, s[0:1] offset:4096
	;; [unrolled: 1-line block ×4, first 2 shown]
	s_wait_loadcnt 0x4
	v_cmp_eq_f64_e32 vcc_lo, 0, v[10:11]
	v_cndmask_b32_e64 v10, 0, 1, vcc_lo
	s_wait_loadcnt 0x3
	v_cmp_eq_f64_e32 vcc_lo, 0, v[12:13]
	s_wait_alu 0xfffd
	v_cndmask_b32_e64 v11, 0, 1, vcc_lo
	s_wait_loadcnt 0x2
	v_cmp_eq_f64_e32 vcc_lo, 0, v[14:15]
	s_wait_alu 0xfffd
	;; [unrolled: 4-line block ×4, first 2 shown]
	v_cndmask_b32_e64 v14, 0, 1, vcc_lo
	ds_store_b8 v0, v10
	ds_store_b8 v0, v11 offset:256
	ds_store_b8 v0, v12 offset:512
	;; [unrolled: 1-line block ×4, first 2 shown]
	s_wait_dscnt 0x0
	s_barrier_signal -1
	s_barrier_wait -1
.LBB818_20:
	s_and_not1_b32 vcc_lo, exec_lo, s6
	s_wait_alu 0xfffe
	s_cbranch_vccnz .LBB818_32
; %bb.21:
	v_mov_b32_e32 v12, 0
	s_mov_b32 s7, 0
	s_mov_b32 s6, exec_lo
	s_delay_alu instid0(VALU_DEP_1)
	v_dual_mov_b32 v10, v12 :: v_dual_mov_b32 v11, v12
	v_cmpx_gt_u32_e64 s3, v0
	s_cbranch_execz .LBB818_23
; %bb.22:
	v_lshlrev_b32_e32 v10, 3, v0
	global_load_b64 v[10:11], v10, s[0:1]
	s_wait_loadcnt 0x0
	v_cmp_eq_f64_e32 vcc_lo, 0, v[10:11]
	v_mov_b32_e32 v10, s7
	s_wait_alu 0xfffd
	v_cndmask_b32_e64 v12, 0, 1, vcc_lo
	s_delay_alu instid0(VALU_DEP_1)
	v_mov_b32_e32 v11, v12
.LBB818_23:
	s_or_b32 exec_lo, exec_lo, s6
	v_or_b32_e32 v13, 0x100, v0
	s_mov_b32 s6, exec_lo
	s_delay_alu instid0(VALU_DEP_1)
	v_cmpx_gt_u32_e64 s3, v13
	s_cbranch_execz .LBB818_25
; %bb.24:
	v_lshlrev_b32_e32 v13, 3, v0
	v_lshrrev_b32_e32 v15, 24, v12
	v_lshrrev_b32_e32 v16, 16, v12
	v_and_b32_e32 v12, 0xff, v12
	v_and_b32_e32 v10, 0xff, v10
	global_load_b64 v[13:14], v13, s[0:1] offset:2048
	s_wait_loadcnt 0x0
	v_cmp_eq_f64_e32 vcc_lo, 0, v[13:14]
	v_lshlrev_b16 v14, 8, v15
	v_and_b32_e32 v15, 0xff, v16
	s_delay_alu instid0(VALU_DEP_1) | instskip(SKIP_2) | instid1(VALU_DEP_1)
	v_or_b32_e32 v14, v15, v14
	s_wait_alu 0xfffd
	v_cndmask_b32_e64 v13, 0, 1, vcc_lo
	v_lshlrev_b16 v13, 8, v13
	s_delay_alu instid0(VALU_DEP_1) | instskip(SKIP_1) | instid1(VALU_DEP_2)
	v_or_b32_e32 v12, v12, v13
	v_lshlrev_b32_e32 v13, 16, v14
	v_and_b32_e32 v12, 0xffff, v12
	s_delay_alu instid0(VALU_DEP_1)
	v_or_b32_e32 v12, v12, v13
.LBB818_25:
	s_wait_alu 0xfffe
	s_or_b32 exec_lo, exec_lo, s6
	v_or_b32_e32 v13, 0x200, v0
	s_mov_b32 s6, exec_lo
	s_delay_alu instid0(VALU_DEP_1)
	v_cmpx_gt_u32_e64 s3, v13
	s_cbranch_execz .LBB818_27
; %bb.26:
	v_lshlrev_b32_e32 v13, 3, v0
	v_lshrrev_b32_e32 v15, 24, v12
	v_perm_b32 v12, v12, v12, 0xc0c0104
	v_and_b32_e32 v10, 0xff, v10
	global_load_b64 v[13:14], v13, s[0:1] offset:4096
	v_lshlrev_b16 v15, 8, v15
	s_wait_loadcnt 0x0
	v_cmp_eq_f64_e32 vcc_lo, 0, v[13:14]
	s_wait_alu 0xfffd
	v_cndmask_b32_e64 v13, 0, 1, vcc_lo
	s_delay_alu instid0(VALU_DEP_1) | instskip(NEXT) | instid1(VALU_DEP_1)
	v_or_b32_e32 v13, v13, v15
	v_lshlrev_b32_e32 v13, 16, v13
	s_delay_alu instid0(VALU_DEP_1)
	v_or_b32_e32 v12, v12, v13
.LBB818_27:
	s_wait_alu 0xfffe
	s_or_b32 exec_lo, exec_lo, s6
	v_or_b32_e32 v13, 0x300, v0
	s_mov_b32 s6, exec_lo
	s_delay_alu instid0(VALU_DEP_1)
	v_cmpx_gt_u32_e64 s3, v13
	s_cbranch_execz .LBB818_29
; %bb.28:
	v_lshlrev_b32_e32 v13, 3, v0
	v_lshrrev_b32_e32 v15, 16, v12
	v_perm_b32 v12, v12, v12, 0xc0c0104
	v_and_b32_e32 v10, 0xff, v10
	global_load_b64 v[13:14], v13, s[0:1] offset:6144
	s_wait_loadcnt 0x0
	v_cmp_eq_f64_e32 vcc_lo, 0, v[13:14]
	v_and_b32_e32 v14, 0xff, v15
	s_wait_alu 0xfffd
	v_cndmask_b32_e64 v13, 0, 1, vcc_lo
	s_delay_alu instid0(VALU_DEP_1) | instskip(NEXT) | instid1(VALU_DEP_1)
	v_lshlrev_b16 v13, 8, v13
	v_or_b32_e32 v13, v14, v13
	s_delay_alu instid0(VALU_DEP_1) | instskip(NEXT) | instid1(VALU_DEP_1)
	v_lshlrev_b32_e32 v13, 16, v13
	v_or_b32_e32 v12, v12, v13
.LBB818_29:
	s_wait_alu 0xfffe
	s_or_b32 exec_lo, exec_lo, s6
	v_or_b32_e32 v13, 0x400, v0
	s_delay_alu instid0(VALU_DEP_1)
	v_cmp_gt_u32_e32 vcc_lo, s3, v13
	s_and_saveexec_b32 s3, vcc_lo
	s_cbranch_execz .LBB818_31
; %bb.30:
	v_lshlrev_b32_e32 v10, 3, v0
	v_perm_b32 v12, v12, v12, 0x3020104
	global_load_b64 v[13:14], v10, s[0:1] offset:8192
	s_wait_loadcnt 0x0
	v_cmp_eq_f64_e32 vcc_lo, 0, v[13:14]
	s_wait_alu 0xfffd
	v_cndmask_b32_e64 v10, 0, 1, vcc_lo
.LBB818_31:
	s_wait_alu 0xfffe
	s_or_b32 exec_lo, exec_lo, s3
	v_lshrrev_b32_e32 v13, 8, v12
	v_lshrrev_b32_e32 v14, 24, v12
	ds_store_b8 v0, v11
	ds_store_b8 v0, v13 offset:256
	ds_store_b8_d16_hi v0, v12 offset:512
	ds_store_b8 v0, v14 offset:768
	ds_store_b8 v0, v10 offset:1024
	s_wait_loadcnt_dscnt 0x0
	s_barrier_signal -1
	s_barrier_wait -1
.LBB818_32:
	v_mad_i32_i24 v30, 0xffffffdd, v0, v9
	s_wait_loadcnt 0x0
	global_inv scope:SCOPE_SE
	v_mbcnt_lo_u32_b32 v29, -1, 0
	s_cmp_lg_u32 s20, 0
	s_mov_b32 s1, -1
	ds_load_u8 v9, v30
	ds_load_u8 v10, v30 offset:1
	ds_load_u8 v11, v30 offset:2
	;; [unrolled: 1-line block ×4, first 2 shown]
	s_wait_loadcnt_dscnt 0x0
	v_and_b32_e32 v36, 15, v29
	s_barrier_signal -1
	s_barrier_wait -1
	global_inv scope:SCOPE_SE
	v_and_b32_e32 v35, 1, v9
	v_and_b32_e32 v34, 1, v10
	v_dual_mov_b32 v10, 0 :: v_dual_and_b32 v33, 1, v11
	v_and_b32_e32 v31, 1, v12
	v_and_b32_e32 v32, 1, v13
	s_delay_alu instid0(VALU_DEP_3) | instskip(NEXT) | instid1(VALU_DEP_1)
	v_add3_u32 v9, v34, v35, v33
	v_add_co_u32 v9, s0, v9, v31
	s_wait_alu 0xf1ff
	v_add_co_ci_u32_e64 v11, null, 0, 0, s0
	v_cmp_ne_u32_e64 s0, 0, v36
	s_delay_alu instid0(VALU_DEP_3) | instskip(SKIP_1) | instid1(VALU_DEP_3)
	v_add_co_u32 v21, vcc_lo, v9, v32
	s_wait_alu 0xfffd
	v_add_co_ci_u32_e64 v22, null, 0, v11, vcc_lo
	s_cbranch_scc0 .LBB818_89
; %bb.33:
	v_mov_b32_e32 v11, v21
	v_mov_b32_dpp v9, v21 row_shr:1 row_mask:0xf bank_mask:0xf
	v_mov_b32_dpp v14, v10 row_shr:1 row_mask:0xf bank_mask:0xf
	v_dual_mov_b32 v13, v21 :: v_dual_mov_b32 v12, v22
	s_and_saveexec_b32 s1, s0
; %bb.34:
	s_delay_alu instid0(VALU_DEP_3) | instskip(SKIP_2) | instid1(VALU_DEP_2)
	v_add_co_u32 v13, vcc_lo, v21, v9
	s_wait_alu 0xfffd
	v_add_co_ci_u32_e64 v10, null, 0, v22, vcc_lo
	v_add_co_u32 v9, vcc_lo, 0, v13
	s_wait_alu 0xfffd
	s_delay_alu instid0(VALU_DEP_2) | instskip(NEXT) | instid1(VALU_DEP_1)
	v_add_co_ci_u32_e64 v10, null, v14, v10, vcc_lo
	v_dual_mov_b32 v12, v10 :: v_dual_mov_b32 v11, v9
; %bb.35:
	s_wait_alu 0xfffe
	s_or_b32 exec_lo, exec_lo, s1
	v_mov_b32_dpp v9, v13 row_shr:2 row_mask:0xf bank_mask:0xf
	v_mov_b32_dpp v14, v10 row_shr:2 row_mask:0xf bank_mask:0xf
	s_mov_b32 s1, exec_lo
	v_cmpx_lt_u32_e32 1, v36
; %bb.36:
	s_delay_alu instid0(VALU_DEP_3) | instskip(SKIP_2) | instid1(VALU_DEP_2)
	v_add_co_u32 v13, vcc_lo, v11, v9
	s_wait_alu 0xfffd
	v_add_co_ci_u32_e64 v10, null, 0, v12, vcc_lo
	v_add_co_u32 v9, vcc_lo, 0, v13
	s_wait_alu 0xfffd
	s_delay_alu instid0(VALU_DEP_2) | instskip(NEXT) | instid1(VALU_DEP_1)
	v_add_co_ci_u32_e64 v10, null, v14, v10, vcc_lo
	v_dual_mov_b32 v12, v10 :: v_dual_mov_b32 v11, v9
; %bb.37:
	s_wait_alu 0xfffe
	s_or_b32 exec_lo, exec_lo, s1
	v_mov_b32_dpp v9, v13 row_shr:4 row_mask:0xf bank_mask:0xf
	v_mov_b32_dpp v14, v10 row_shr:4 row_mask:0xf bank_mask:0xf
	s_mov_b32 s1, exec_lo
	v_cmpx_lt_u32_e32 3, v36
	;; [unrolled: 17-line block ×3, first 2 shown]
; %bb.40:
	s_delay_alu instid0(VALU_DEP_3) | instskip(SKIP_2) | instid1(VALU_DEP_2)
	v_add_co_u32 v13, vcc_lo, v11, v14
	s_wait_alu 0xfffd
	v_add_co_ci_u32_e64 v10, null, 0, v12, vcc_lo
	v_add_co_u32 v11, vcc_lo, 0, v13
	s_wait_alu 0xfffd
	s_delay_alu instid0(VALU_DEP_2) | instskip(NEXT) | instid1(VALU_DEP_1)
	v_add_co_ci_u32_e64 v12, null, v9, v10, vcc_lo
	v_mov_b32_e32 v10, v12
; %bb.41:
	s_wait_alu 0xfffe
	s_or_b32 exec_lo, exec_lo, s1
	ds_swizzle_b32 v9, v13 offset:swizzle(BROADCAST,32,15)
	ds_swizzle_b32 v14, v10 offset:swizzle(BROADCAST,32,15)
	v_and_b32_e32 v15, 16, v29
	s_mov_b32 s1, exec_lo
	s_delay_alu instid0(VALU_DEP_1)
	v_cmpx_ne_u32_e32 0, v15
	s_cbranch_execz .LBB818_43
; %bb.42:
	s_wait_dscnt 0x1
	v_add_co_u32 v13, vcc_lo, v11, v9
	s_wait_alu 0xfffd
	v_add_co_ci_u32_e64 v10, null, 0, v12, vcc_lo
	s_delay_alu instid0(VALU_DEP_2) | instskip(SKIP_2) | instid1(VALU_DEP_2)
	v_add_co_u32 v9, vcc_lo, 0, v13
	s_wait_dscnt 0x0
	s_wait_alu 0xfffd
	v_add_co_ci_u32_e64 v10, null, v14, v10, vcc_lo
	s_delay_alu instid0(VALU_DEP_1)
	v_dual_mov_b32 v12, v10 :: v_dual_mov_b32 v11, v9
.LBB818_43:
	s_wait_alu 0xfffe
	s_or_b32 exec_lo, exec_lo, s1
	s_wait_dscnt 0x0
	v_or_b32_e32 v14, 31, v0
	v_lshrrev_b32_e32 v9, 5, v0
	s_mov_b32 s1, exec_lo
	s_delay_alu instid0(VALU_DEP_2)
	v_cmpx_eq_u32_e64 v0, v14
; %bb.44:
	s_delay_alu instid0(VALU_DEP_2)
	v_lshlrev_b32_e32 v14, 3, v9
	ds_store_b64 v14, v[11:12]
; %bb.45:
	s_wait_alu 0xfffe
	s_or_b32 exec_lo, exec_lo, s1
	s_delay_alu instid0(SALU_CYCLE_1)
	s_mov_b32 s1, exec_lo
	s_wait_loadcnt_dscnt 0x0
	s_barrier_signal -1
	s_barrier_wait -1
	global_inv scope:SCOPE_SE
	v_cmpx_gt_u32_e32 8, v0
	s_cbranch_execz .LBB818_53
; %bb.46:
	v_lshlrev_b32_e32 v14, 3, v0
	s_mov_b32 s3, exec_lo
	ds_load_b64 v[11:12], v14
	s_wait_dscnt 0x0
	v_dual_mov_b32 v16, v11 :: v_dual_and_b32 v15, 7, v29
	v_mov_b32_dpp v24, v11 row_shr:1 row_mask:0xf bank_mask:0xf
	v_mov_b32_dpp v23, v12 row_shr:1 row_mask:0xf bank_mask:0xf
	s_delay_alu instid0(VALU_DEP_3)
	v_cmpx_ne_u32_e32 0, v15
; %bb.47:
	s_delay_alu instid0(VALU_DEP_3) | instskip(SKIP_2) | instid1(VALU_DEP_2)
	v_add_co_u32 v16, vcc_lo, v11, v24
	s_wait_alu 0xfffd
	v_add_co_ci_u32_e64 v12, null, 0, v12, vcc_lo
	v_add_co_u32 v11, vcc_lo, 0, v16
	s_wait_alu 0xfffd
	s_delay_alu instid0(VALU_DEP_2)
	v_add_co_ci_u32_e64 v12, null, v23, v12, vcc_lo
; %bb.48:
	s_wait_alu 0xfffe
	s_or_b32 exec_lo, exec_lo, s3
	v_mov_b32_dpp v24, v16 row_shr:2 row_mask:0xf bank_mask:0xf
	s_delay_alu instid0(VALU_DEP_2)
	v_mov_b32_dpp v23, v12 row_shr:2 row_mask:0xf bank_mask:0xf
	s_mov_b32 s3, exec_lo
	v_cmpx_lt_u32_e32 1, v15
; %bb.49:
	s_delay_alu instid0(VALU_DEP_3) | instskip(SKIP_2) | instid1(VALU_DEP_2)
	v_add_co_u32 v16, vcc_lo, v11, v24
	s_wait_alu 0xfffd
	v_add_co_ci_u32_e64 v12, null, 0, v12, vcc_lo
	v_add_co_u32 v11, vcc_lo, 0, v16
	s_wait_alu 0xfffd
	s_delay_alu instid0(VALU_DEP_2)
	v_add_co_ci_u32_e64 v12, null, v23, v12, vcc_lo
; %bb.50:
	s_wait_alu 0xfffe
	s_or_b32 exec_lo, exec_lo, s3
	v_mov_b32_dpp v23, v16 row_shr:4 row_mask:0xf bank_mask:0xf
	s_delay_alu instid0(VALU_DEP_2)
	v_mov_b32_dpp v16, v12 row_shr:4 row_mask:0xf bank_mask:0xf
	s_mov_b32 s3, exec_lo
	v_cmpx_lt_u32_e32 3, v15
; %bb.51:
	s_delay_alu instid0(VALU_DEP_3) | instskip(SKIP_2) | instid1(VALU_DEP_2)
	v_add_co_u32 v11, vcc_lo, v11, v23
	s_wait_alu 0xfffd
	v_add_co_ci_u32_e64 v12, null, 0, v12, vcc_lo
	v_add_co_u32 v11, vcc_lo, v11, 0
	s_wait_alu 0xfffd
	s_delay_alu instid0(VALU_DEP_2)
	v_add_co_ci_u32_e64 v12, null, v12, v16, vcc_lo
; %bb.52:
	s_wait_alu 0xfffe
	s_or_b32 exec_lo, exec_lo, s3
	ds_store_b64 v14, v[11:12]
.LBB818_53:
	s_wait_alu 0xfffe
	s_or_b32 exec_lo, exec_lo, s1
	s_delay_alu instid0(SALU_CYCLE_1)
	s_mov_b32 s3, exec_lo
	v_cmp_gt_u32_e32 vcc_lo, 32, v0
	s_wait_loadcnt_dscnt 0x0
	s_barrier_signal -1
	s_barrier_wait -1
	global_inv scope:SCOPE_SE
                                        ; implicit-def: $vgpr23_vgpr24
	v_cmpx_lt_u32_e32 31, v0
	s_cbranch_execz .LBB818_55
; %bb.54:
	v_lshl_add_u32 v9, v9, 3, -8
	ds_load_b64 v[23:24], v9
	s_wait_dscnt 0x0
	v_add_co_u32 v13, s1, v13, v23
	s_wait_alu 0xf1ff
	v_add_co_ci_u32_e64 v10, null, v10, v24, s1
.LBB818_55:
	s_wait_alu 0xfffe
	s_or_b32 exec_lo, exec_lo, s3
	v_sub_co_u32 v9, s1, v29, 1
	s_delay_alu instid0(VALU_DEP_1) | instskip(SKIP_1) | instid1(VALU_DEP_1)
	v_cmp_gt_i32_e64 s3, 0, v9
	s_wait_alu 0xf1ff
	v_cndmask_b32_e64 v9, v9, v29, s3
	s_delay_alu instid0(VALU_DEP_1)
	v_lshlrev_b32_e32 v9, 2, v9
	ds_bpermute_b32 v37, v9, v13
	ds_bpermute_b32 v38, v9, v10
	s_and_saveexec_b32 s3, vcc_lo
	s_cbranch_execz .LBB818_94
; %bb.56:
	v_mov_b32_e32 v12, 0
	ds_load_b64 v[9:10], v12 offset:56
	s_and_saveexec_b32 s6, s1
	s_cbranch_execz .LBB818_58
; %bb.57:
	s_add_co_i32 s8, s20, 32
	s_mov_b32 s9, 0
	s_wait_alu 0xfffe
	s_lshl_b64 s[8:9], s[8:9], 4
	s_wait_alu 0xfffe
	s_add_nc_u64 s[8:9], s[14:15], s[8:9]
	s_wait_alu 0xfffe
	v_dual_mov_b32 v11, 1 :: v_dual_mov_b32 v14, s9
	v_mov_b32_e32 v13, s8
	s_wait_dscnt 0x0
	;;#ASMSTART
	global_store_b128 v[13:14], v[9:12] off scope:SCOPE_DEV	
s_wait_storecnt 0x0
	;;#ASMEND
.LBB818_58:
	s_wait_alu 0xfffe
	s_or_b32 exec_lo, exec_lo, s6
	v_xad_u32 v25, v29, -1, s20
	s_mov_b32 s7, 0
	s_mov_b32 s6, exec_lo
	s_delay_alu instid0(VALU_DEP_1) | instskip(NEXT) | instid1(VALU_DEP_1)
	v_add_nc_u32_e32 v11, 32, v25
	v_lshlrev_b64_e32 v[11:12], 4, v[11:12]
	s_delay_alu instid0(VALU_DEP_1) | instskip(SKIP_1) | instid1(VALU_DEP_2)
	v_add_co_u32 v11, vcc_lo, s14, v11
	s_wait_alu 0xfffd
	v_add_co_ci_u32_e64 v12, null, s15, v12, vcc_lo
	;;#ASMSTART
	global_load_b128 v[13:16], v[11:12] off scope:SCOPE_DEV	
s_wait_loadcnt 0x0
	;;#ASMEND
	v_and_b32_e32 v16, 0xff, v15
	s_delay_alu instid0(VALU_DEP_1)
	v_cmpx_eq_u16_e32 0, v16
	s_cbranch_execz .LBB818_61
.LBB818_59:                             ; =>This Inner Loop Header: Depth=1
	;;#ASMSTART
	global_load_b128 v[13:16], v[11:12] off scope:SCOPE_DEV	
s_wait_loadcnt 0x0
	;;#ASMEND
	v_and_b32_e32 v16, 0xff, v15
	s_delay_alu instid0(VALU_DEP_1)
	v_cmp_ne_u16_e32 vcc_lo, 0, v16
	s_wait_alu 0xfffe
	s_or_b32 s7, vcc_lo, s7
	s_wait_alu 0xfffe
	s_and_not1_b32 exec_lo, exec_lo, s7
	s_cbranch_execnz .LBB818_59
; %bb.60:
	s_or_b32 exec_lo, exec_lo, s7
.LBB818_61:
	s_wait_alu 0xfffe
	s_or_b32 exec_lo, exec_lo, s6
	v_cmp_ne_u32_e32 vcc_lo, 31, v29
	v_and_b32_e32 v12, 0xff, v15
	v_lshlrev_b32_e64 v40, v29, -1
	s_mov_b32 s6, exec_lo
	s_wait_alu 0xfffd
	v_add_co_ci_u32_e64 v11, null, 0, v29, vcc_lo
	v_cmp_eq_u16_e32 vcc_lo, 2, v12
	s_delay_alu instid0(VALU_DEP_2)
	v_dual_mov_b32 v12, v13 :: v_dual_lshlrev_b32 v39, 2, v11
	s_wait_alu 0xfffd
	v_and_or_b32 v11, vcc_lo, v40, 0x80000000
	ds_bpermute_b32 v26, v39, v13
	ds_bpermute_b32 v16, v39, v14
	v_ctz_i32_b32_e32 v11, v11
	s_delay_alu instid0(VALU_DEP_1)
	v_cmpx_lt_u32_e64 v29, v11
	s_cbranch_execz .LBB818_63
; %bb.62:
	s_wait_dscnt 0x1
	v_add_co_u32 v12, vcc_lo, v13, v26
	s_wait_alu 0xfffd
	v_add_co_ci_u32_e64 v14, null, 0, v14, vcc_lo
	s_delay_alu instid0(VALU_DEP_2) | instskip(SKIP_2) | instid1(VALU_DEP_2)
	v_add_co_u32 v13, vcc_lo, 0, v12
	s_wait_dscnt 0x0
	s_wait_alu 0xfffd
	v_add_co_ci_u32_e64 v14, null, v16, v14, vcc_lo
.LBB818_63:
	s_wait_alu 0xfffe
	s_or_b32 exec_lo, exec_lo, s6
	v_cmp_gt_u32_e32 vcc_lo, 30, v29
	v_add_nc_u32_e32 v42, 2, v29
	s_mov_b32 s6, exec_lo
	s_wait_dscnt 0x0
	s_wait_alu 0xfffd
	v_cndmask_b32_e64 v16, 0, 2, vcc_lo
	s_delay_alu instid0(VALU_DEP_1)
	v_add_lshl_u32 v41, v16, v29, 2
	ds_bpermute_b32 v26, v41, v12
	ds_bpermute_b32 v16, v41, v14
	v_cmpx_le_u32_e64 v42, v11
	s_cbranch_execz .LBB818_65
; %bb.64:
	s_wait_dscnt 0x1
	v_add_co_u32 v12, vcc_lo, v13, v26
	s_wait_alu 0xfffd
	v_add_co_ci_u32_e64 v14, null, 0, v14, vcc_lo
	s_delay_alu instid0(VALU_DEP_2) | instskip(SKIP_2) | instid1(VALU_DEP_2)
	v_add_co_u32 v13, vcc_lo, 0, v12
	s_wait_dscnt 0x0
	s_wait_alu 0xfffd
	v_add_co_ci_u32_e64 v14, null, v16, v14, vcc_lo
.LBB818_65:
	s_wait_alu 0xfffe
	s_or_b32 exec_lo, exec_lo, s6
	v_cmp_gt_u32_e32 vcc_lo, 28, v29
	v_add_nc_u32_e32 v44, 4, v29
	s_mov_b32 s6, exec_lo
	s_wait_dscnt 0x0
	s_wait_alu 0xfffd
	v_cndmask_b32_e64 v16, 0, 4, vcc_lo
	s_delay_alu instid0(VALU_DEP_1)
	v_add_lshl_u32 v43, v16, v29, 2
	ds_bpermute_b32 v26, v43, v12
	ds_bpermute_b32 v16, v43, v14
	v_cmpx_le_u32_e64 v44, v11
	;; [unrolled: 25-line block ×3, first 2 shown]
	s_cbranch_execz .LBB818_69
; %bb.68:
	s_wait_dscnt 0x1
	v_add_co_u32 v12, vcc_lo, v13, v26
	s_wait_alu 0xfffd
	v_add_co_ci_u32_e64 v14, null, 0, v14, vcc_lo
	s_delay_alu instid0(VALU_DEP_2) | instskip(SKIP_2) | instid1(VALU_DEP_2)
	v_add_co_u32 v13, vcc_lo, 0, v12
	s_wait_dscnt 0x0
	s_wait_alu 0xfffd
	v_add_co_ci_u32_e64 v14, null, v16, v14, vcc_lo
.LBB818_69:
	s_wait_alu 0xfffe
	s_or_b32 exec_lo, exec_lo, s6
	v_lshl_or_b32 v47, v29, 2, 64
	v_add_nc_u32_e32 v48, 16, v29
	s_mov_b32 s6, exec_lo
	s_wait_dscnt 0x0
	ds_bpermute_b32 v16, v47, v12
	ds_bpermute_b32 v12, v47, v14
	v_cmpx_le_u32_e64 v48, v11
	s_cbranch_execz .LBB818_71
; %bb.70:
	s_wait_dscnt 0x1
	v_add_co_u32 v11, vcc_lo, v13, v16
	s_wait_alu 0xfffd
	v_add_co_ci_u32_e64 v14, null, 0, v14, vcc_lo
	s_delay_alu instid0(VALU_DEP_2) | instskip(SKIP_2) | instid1(VALU_DEP_2)
	v_add_co_u32 v13, vcc_lo, v11, 0
	s_wait_dscnt 0x0
	s_wait_alu 0xfffd
	v_add_co_ci_u32_e64 v14, null, v14, v12, vcc_lo
.LBB818_71:
	s_wait_alu 0xfffe
	s_or_b32 exec_lo, exec_lo, s6
	v_mov_b32_e32 v26, 0
	s_branch .LBB818_74
.LBB818_72:                             ;   in Loop: Header=BB818_74 Depth=1
	s_wait_alu 0xfffe
	s_or_b32 exec_lo, exec_lo, s6
	v_add_co_u32 v13, vcc_lo, v13, v11
	v_subrev_nc_u32_e32 v25, 32, v25
	s_wait_alu 0xfffd
	v_add_co_ci_u32_e64 v14, null, v14, v12, vcc_lo
	s_mov_b32 s6, 0
.LBB818_73:                             ;   in Loop: Header=BB818_74 Depth=1
	s_wait_alu 0xfffe
	s_and_b32 vcc_lo, exec_lo, s6
	s_wait_alu 0xfffe
	s_cbranch_vccnz .LBB818_90
.LBB818_74:                             ; =>This Loop Header: Depth=1
                                        ;     Child Loop BB818_77 Depth 2
	v_and_b32_e32 v11, 0xff, v15
	s_mov_b32 s6, -1
	s_delay_alu instid0(VALU_DEP_1)
	v_cmp_ne_u16_e32 vcc_lo, 2, v11
	s_wait_dscnt 0x0
	v_dual_mov_b32 v11, v13 :: v_dual_mov_b32 v12, v14
                                        ; implicit-def: $vgpr13_vgpr14
	s_cmp_lg_u32 vcc_lo, exec_lo
	s_cbranch_scc1 .LBB818_73
; %bb.75:                               ;   in Loop: Header=BB818_74 Depth=1
	v_lshlrev_b64_e32 v[13:14], 4, v[25:26]
	s_mov_b32 s6, exec_lo
	s_delay_alu instid0(VALU_DEP_1) | instskip(SKIP_1) | instid1(VALU_DEP_2)
	v_add_co_u32 v27, vcc_lo, s14, v13
	s_wait_alu 0xfffd
	v_add_co_ci_u32_e64 v28, null, s15, v14, vcc_lo
	;;#ASMSTART
	global_load_b128 v[13:16], v[27:28] off scope:SCOPE_DEV	
s_wait_loadcnt 0x0
	;;#ASMEND
	v_and_b32_e32 v16, 0xff, v15
	s_delay_alu instid0(VALU_DEP_1)
	v_cmpx_eq_u16_e32 0, v16
	s_cbranch_execz .LBB818_79
; %bb.76:                               ;   in Loop: Header=BB818_74 Depth=1
	s_mov_b32 s7, 0
.LBB818_77:                             ;   Parent Loop BB818_74 Depth=1
                                        ; =>  This Inner Loop Header: Depth=2
	;;#ASMSTART
	global_load_b128 v[13:16], v[27:28] off scope:SCOPE_DEV	
s_wait_loadcnt 0x0
	;;#ASMEND
	v_and_b32_e32 v16, 0xff, v15
	s_delay_alu instid0(VALU_DEP_1)
	v_cmp_ne_u16_e32 vcc_lo, 0, v16
	s_wait_alu 0xfffe
	s_or_b32 s7, vcc_lo, s7
	s_wait_alu 0xfffe
	s_and_not1_b32 exec_lo, exec_lo, s7
	s_cbranch_execnz .LBB818_77
; %bb.78:                               ;   in Loop: Header=BB818_74 Depth=1
	s_or_b32 exec_lo, exec_lo, s7
.LBB818_79:                             ;   in Loop: Header=BB818_74 Depth=1
	s_wait_alu 0xfffe
	s_or_b32 exec_lo, exec_lo, s6
	v_dual_mov_b32 v27, v13 :: v_dual_and_b32 v16, 0xff, v15
	ds_bpermute_b32 v49, v39, v13
	ds_bpermute_b32 v28, v39, v14
	s_mov_b32 s6, exec_lo
	v_cmp_eq_u16_e32 vcc_lo, 2, v16
	s_wait_alu 0xfffd
	v_and_or_b32 v16, vcc_lo, v40, 0x80000000
	s_delay_alu instid0(VALU_DEP_1) | instskip(NEXT) | instid1(VALU_DEP_1)
	v_ctz_i32_b32_e32 v16, v16
	v_cmpx_lt_u32_e64 v29, v16
	s_cbranch_execz .LBB818_81
; %bb.80:                               ;   in Loop: Header=BB818_74 Depth=1
	s_wait_dscnt 0x1
	v_add_co_u32 v27, vcc_lo, v13, v49
	s_wait_alu 0xfffd
	v_add_co_ci_u32_e64 v14, null, 0, v14, vcc_lo
	s_delay_alu instid0(VALU_DEP_2) | instskip(SKIP_2) | instid1(VALU_DEP_2)
	v_add_co_u32 v13, vcc_lo, 0, v27
	s_wait_dscnt 0x0
	s_wait_alu 0xfffd
	v_add_co_ci_u32_e64 v14, null, v28, v14, vcc_lo
.LBB818_81:                             ;   in Loop: Header=BB818_74 Depth=1
	s_wait_alu 0xfffe
	s_or_b32 exec_lo, exec_lo, s6
	s_wait_dscnt 0x1
	ds_bpermute_b32 v49, v41, v27
	s_wait_dscnt 0x1
	ds_bpermute_b32 v28, v41, v14
	s_mov_b32 s6, exec_lo
	v_cmpx_le_u32_e64 v42, v16
	s_cbranch_execz .LBB818_83
; %bb.82:                               ;   in Loop: Header=BB818_74 Depth=1
	s_wait_dscnt 0x1
	v_add_co_u32 v27, vcc_lo, v13, v49
	s_wait_alu 0xfffd
	v_add_co_ci_u32_e64 v14, null, 0, v14, vcc_lo
	s_delay_alu instid0(VALU_DEP_2) | instskip(SKIP_2) | instid1(VALU_DEP_2)
	v_add_co_u32 v13, vcc_lo, 0, v27
	s_wait_dscnt 0x0
	s_wait_alu 0xfffd
	v_add_co_ci_u32_e64 v14, null, v28, v14, vcc_lo
.LBB818_83:                             ;   in Loop: Header=BB818_74 Depth=1
	s_wait_alu 0xfffe
	s_or_b32 exec_lo, exec_lo, s6
	s_wait_dscnt 0x1
	ds_bpermute_b32 v49, v43, v27
	s_wait_dscnt 0x1
	ds_bpermute_b32 v28, v43, v14
	s_mov_b32 s6, exec_lo
	v_cmpx_le_u32_e64 v44, v16
	;; [unrolled: 20-line block ×3, first 2 shown]
	s_cbranch_execz .LBB818_87
; %bb.86:                               ;   in Loop: Header=BB818_74 Depth=1
	s_wait_dscnt 0x1
	v_add_co_u32 v27, vcc_lo, v13, v49
	s_wait_alu 0xfffd
	v_add_co_ci_u32_e64 v14, null, 0, v14, vcc_lo
	s_delay_alu instid0(VALU_DEP_2) | instskip(SKIP_2) | instid1(VALU_DEP_2)
	v_add_co_u32 v13, vcc_lo, 0, v27
	s_wait_dscnt 0x0
	s_wait_alu 0xfffd
	v_add_co_ci_u32_e64 v14, null, v28, v14, vcc_lo
.LBB818_87:                             ;   in Loop: Header=BB818_74 Depth=1
	s_wait_alu 0xfffe
	s_or_b32 exec_lo, exec_lo, s6
	s_wait_dscnt 0x0
	ds_bpermute_b32 v28, v47, v27
	ds_bpermute_b32 v27, v47, v14
	s_mov_b32 s6, exec_lo
	v_cmpx_le_u32_e64 v48, v16
	s_cbranch_execz .LBB818_72
; %bb.88:                               ;   in Loop: Header=BB818_74 Depth=1
	s_wait_dscnt 0x1
	v_add_co_u32 v13, vcc_lo, v13, v28
	s_wait_alu 0xfffd
	v_add_co_ci_u32_e64 v14, null, 0, v14, vcc_lo
	s_delay_alu instid0(VALU_DEP_2) | instskip(SKIP_2) | instid1(VALU_DEP_2)
	v_add_co_u32 v13, vcc_lo, v13, 0
	s_wait_dscnt 0x0
	s_wait_alu 0xfffd
	v_add_co_ci_u32_e64 v14, null, v14, v27, vcc_lo
	s_branch .LBB818_72
.LBB818_89:
                                        ; implicit-def: $vgpr15_vgpr16
                                        ; implicit-def: $vgpr13_vgpr14
                                        ; implicit-def: $vgpr23_vgpr24
                                        ; implicit-def: $vgpr25_vgpr26
                                        ; implicit-def: $vgpr27_vgpr28
                                        ; implicit-def: $vgpr11_vgpr12
	s_wait_alu 0xfffe
	s_and_b32 vcc_lo, exec_lo, s1
	s_wait_alu 0xfffe
	s_cbranch_vccnz .LBB818_95
	s_branch .LBB818_120
.LBB818_90:
	s_and_saveexec_b32 s6, s1
	s_cbranch_execz .LBB818_92
; %bb.91:
	s_add_co_i32 s8, s20, 32
	s_mov_b32 s9, 0
	v_add_co_u32 v13, vcc_lo, v11, v9
	s_wait_alu 0xfffe
	s_lshl_b64 s[8:9], s[8:9], 4
	v_dual_mov_b32 v15, 2 :: v_dual_mov_b32 v16, 0
	s_wait_alu 0xfffe
	s_add_nc_u64 s[8:9], s[14:15], s[8:9]
	s_wait_alu 0xfffd
	v_add_co_ci_u32_e64 v14, null, v12, v10, vcc_lo
	s_wait_alu 0xfffe
	v_dual_mov_b32 v26, s9 :: v_dual_mov_b32 v25, s8
	;;#ASMSTART
	global_store_b128 v[25:26], v[13:16] off scope:SCOPE_DEV	
s_wait_storecnt 0x0
	;;#ASMEND
	ds_store_b128 v16, v[9:12] offset:10240
.LBB818_92:
	s_wait_alu 0xfffe
	s_or_b32 exec_lo, exec_lo, s6
	s_delay_alu instid0(SALU_CYCLE_1)
	s_and_b32 exec_lo, exec_lo, s2
; %bb.93:
	v_mov_b32_e32 v9, 0
	ds_store_b64 v9, v[11:12] offset:56
.LBB818_94:
	s_wait_alu 0xfffe
	s_or_b32 exec_lo, exec_lo, s3
	v_mov_b32_e32 v11, 0
	s_wait_loadcnt_dscnt 0x0
	s_barrier_signal -1
	s_barrier_wait -1
	global_inv scope:SCOPE_SE
	ds_load_b64 v[9:10], v11 offset:56
	v_cndmask_b32_e64 v13, v37, v23, s1
	v_cndmask_b32_e64 v12, v38, v24, s1
	s_wait_loadcnt_dscnt 0x0
	s_barrier_signal -1
	s_barrier_wait -1
	v_cndmask_b32_e64 v13, v13, 0, s2
	v_cndmask_b32_e64 v12, v12, 0, s2
	global_inv scope:SCOPE_SE
	v_add_co_u32 v27, vcc_lo, v9, v13
	s_wait_alu 0xfffd
	v_add_co_ci_u32_e64 v28, null, v10, v12, vcc_lo
	ds_load_b128 v[9:12], v11 offset:10240
	v_add_co_u32 v25, vcc_lo, v27, v35
	s_wait_alu 0xfffd
	v_add_co_ci_u32_e64 v26, null, 0, v28, vcc_lo
	s_delay_alu instid0(VALU_DEP_2) | instskip(SKIP_1) | instid1(VALU_DEP_2)
	v_add_co_u32 v23, vcc_lo, v25, v34
	s_wait_alu 0xfffd
	v_add_co_ci_u32_e64 v24, null, 0, v26, vcc_lo
	s_delay_alu instid0(VALU_DEP_2) | instskip(SKIP_1) | instid1(VALU_DEP_2)
	;; [unrolled: 4-line block ×3, first 2 shown]
	v_add_co_u32 v15, vcc_lo, v13, v31
	s_wait_alu 0xfffd
	v_add_co_ci_u32_e64 v16, null, 0, v14, vcc_lo
	s_branch .LBB818_120
.LBB818_95:
	s_wait_dscnt 0x0
	v_dual_mov_b32 v10, 0 :: v_dual_mov_b32 v11, v21
	v_mov_b32_dpp v12, v21 row_shr:1 row_mask:0xf bank_mask:0xf
	s_delay_alu instid0(VALU_DEP_2)
	v_mov_b32_dpp v9, v10 row_shr:1 row_mask:0xf bank_mask:0xf
	s_and_saveexec_b32 s1, s0
; %bb.96:
	s_delay_alu instid0(VALU_DEP_2) | instskip(SKIP_2) | instid1(VALU_DEP_2)
	v_add_co_u32 v11, vcc_lo, v21, v12
	s_wait_alu 0xfffd
	v_add_co_ci_u32_e64 v10, null, 0, v22, vcc_lo
	v_add_co_u32 v21, vcc_lo, 0, v11
	s_wait_alu 0xfffd
	s_delay_alu instid0(VALU_DEP_2) | instskip(NEXT) | instid1(VALU_DEP_1)
	v_add_co_ci_u32_e64 v22, null, v9, v10, vcc_lo
	v_mov_b32_e32 v10, v22
; %bb.97:
	s_wait_alu 0xfffe
	s_or_b32 exec_lo, exec_lo, s1
	v_mov_b32_dpp v9, v11 row_shr:2 row_mask:0xf bank_mask:0xf
	s_delay_alu instid0(VALU_DEP_2)
	v_mov_b32_dpp v12, v10 row_shr:2 row_mask:0xf bank_mask:0xf
	s_mov_b32 s0, exec_lo
	v_cmpx_lt_u32_e32 1, v36
; %bb.98:
	s_delay_alu instid0(VALU_DEP_3) | instskip(SKIP_2) | instid1(VALU_DEP_2)
	v_add_co_u32 v11, vcc_lo, v21, v9
	s_wait_alu 0xfffd
	v_add_co_ci_u32_e64 v10, null, 0, v22, vcc_lo
	v_add_co_u32 v9, vcc_lo, 0, v11
	s_wait_alu 0xfffd
	s_delay_alu instid0(VALU_DEP_2) | instskip(NEXT) | instid1(VALU_DEP_1)
	v_add_co_ci_u32_e64 v10, null, v12, v10, vcc_lo
	v_dual_mov_b32 v22, v10 :: v_dual_mov_b32 v21, v9
; %bb.99:
	s_wait_alu 0xfffe
	s_or_b32 exec_lo, exec_lo, s0
	v_mov_b32_dpp v9, v11 row_shr:4 row_mask:0xf bank_mask:0xf
	v_mov_b32_dpp v12, v10 row_shr:4 row_mask:0xf bank_mask:0xf
	s_mov_b32 s0, exec_lo
	v_cmpx_lt_u32_e32 3, v36
; %bb.100:
	s_delay_alu instid0(VALU_DEP_3) | instskip(SKIP_2) | instid1(VALU_DEP_2)
	v_add_co_u32 v11, vcc_lo, v21, v9
	s_wait_alu 0xfffd
	v_add_co_ci_u32_e64 v10, null, 0, v22, vcc_lo
	v_add_co_u32 v9, vcc_lo, 0, v11
	s_wait_alu 0xfffd
	s_delay_alu instid0(VALU_DEP_2) | instskip(NEXT) | instid1(VALU_DEP_1)
	v_add_co_ci_u32_e64 v10, null, v12, v10, vcc_lo
	v_dual_mov_b32 v22, v10 :: v_dual_mov_b32 v21, v9
; %bb.101:
	s_wait_alu 0xfffe
	s_or_b32 exec_lo, exec_lo, s0
	v_mov_b32_dpp v12, v11 row_shr:8 row_mask:0xf bank_mask:0xf
	v_mov_b32_dpp v9, v10 row_shr:8 row_mask:0xf bank_mask:0xf
	s_mov_b32 s0, exec_lo
	v_cmpx_lt_u32_e32 7, v36
; %bb.102:
	s_delay_alu instid0(VALU_DEP_3) | instskip(SKIP_2) | instid1(VALU_DEP_2)
	v_add_co_u32 v11, vcc_lo, v21, v12
	s_wait_alu 0xfffd
	v_add_co_ci_u32_e64 v10, null, 0, v22, vcc_lo
	v_add_co_u32 v21, vcc_lo, 0, v11
	s_wait_alu 0xfffd
	s_delay_alu instid0(VALU_DEP_2) | instskip(NEXT) | instid1(VALU_DEP_1)
	v_add_co_ci_u32_e64 v22, null, v9, v10, vcc_lo
	v_mov_b32_e32 v10, v22
; %bb.103:
	s_wait_alu 0xfffe
	s_or_b32 exec_lo, exec_lo, s0
	ds_swizzle_b32 v11, v11 offset:swizzle(BROADCAST,32,15)
	ds_swizzle_b32 v9, v10 offset:swizzle(BROADCAST,32,15)
	v_and_b32_e32 v10, 16, v29
	s_mov_b32 s0, exec_lo
	s_delay_alu instid0(VALU_DEP_1)
	v_cmpx_ne_u32_e32 0, v10
	s_cbranch_execz .LBB818_105
; %bb.104:
	s_wait_dscnt 0x1
	v_add_co_u32 v10, vcc_lo, v21, v11
	s_wait_alu 0xfffd
	v_add_co_ci_u32_e64 v11, null, 0, v22, vcc_lo
	s_delay_alu instid0(VALU_DEP_2) | instskip(SKIP_2) | instid1(VALU_DEP_2)
	v_add_co_u32 v21, vcc_lo, v10, 0
	s_wait_dscnt 0x0
	s_wait_alu 0xfffd
	v_add_co_ci_u32_e64 v22, null, v11, v9, vcc_lo
.LBB818_105:
	s_wait_alu 0xfffe
	s_or_b32 exec_lo, exec_lo, s0
	s_wait_dscnt 0x0
	v_or_b32_e32 v9, 31, v0
	v_lshrrev_b32_e32 v11, 5, v0
	s_mov_b32 s0, exec_lo
	s_delay_alu instid0(VALU_DEP_2)
	v_cmpx_eq_u32_e64 v0, v9
; %bb.106:
	s_delay_alu instid0(VALU_DEP_2)
	v_lshlrev_b32_e32 v9, 3, v11
	ds_store_b64 v9, v[21:22]
; %bb.107:
	s_wait_alu 0xfffe
	s_or_b32 exec_lo, exec_lo, s0
	s_delay_alu instid0(SALU_CYCLE_1)
	s_mov_b32 s0, exec_lo
	s_wait_loadcnt_dscnt 0x0
	s_barrier_signal -1
	s_barrier_wait -1
	global_inv scope:SCOPE_SE
	v_cmpx_gt_u32_e32 8, v0
	s_cbranch_execz .LBB818_115
; %bb.108:
	v_mad_u32_u24 v9, v0, 3, v30
	s_mov_b32 s1, exec_lo
	ds_load_b64 v[9:10], v9
	s_wait_dscnt 0x0
	v_dual_mov_b32 v13, v9 :: v_dual_and_b32 v12, 7, v29
	v_mov_b32_dpp v15, v9 row_shr:1 row_mask:0xf bank_mask:0xf
	v_mov_b32_dpp v14, v10 row_shr:1 row_mask:0xf bank_mask:0xf
	s_delay_alu instid0(VALU_DEP_3)
	v_cmpx_ne_u32_e32 0, v12
; %bb.109:
	s_delay_alu instid0(VALU_DEP_3) | instskip(SKIP_2) | instid1(VALU_DEP_2)
	v_add_co_u32 v13, vcc_lo, v9, v15
	s_wait_alu 0xfffd
	v_add_co_ci_u32_e64 v10, null, 0, v10, vcc_lo
	v_add_co_u32 v9, vcc_lo, 0, v13
	s_wait_alu 0xfffd
	s_delay_alu instid0(VALU_DEP_2)
	v_add_co_ci_u32_e64 v10, null, v14, v10, vcc_lo
; %bb.110:
	s_wait_alu 0xfffe
	s_or_b32 exec_lo, exec_lo, s1
	v_mov_b32_dpp v15, v13 row_shr:2 row_mask:0xf bank_mask:0xf
	s_delay_alu instid0(VALU_DEP_2)
	v_mov_b32_dpp v14, v10 row_shr:2 row_mask:0xf bank_mask:0xf
	s_mov_b32 s1, exec_lo
	v_cmpx_lt_u32_e32 1, v12
; %bb.111:
	s_delay_alu instid0(VALU_DEP_3) | instskip(SKIP_2) | instid1(VALU_DEP_2)
	v_add_co_u32 v13, vcc_lo, v9, v15
	s_wait_alu 0xfffd
	v_add_co_ci_u32_e64 v10, null, 0, v10, vcc_lo
	v_add_co_u32 v9, vcc_lo, 0, v13
	s_wait_alu 0xfffd
	s_delay_alu instid0(VALU_DEP_2)
	v_add_co_ci_u32_e64 v10, null, v14, v10, vcc_lo
; %bb.112:
	s_wait_alu 0xfffe
	s_or_b32 exec_lo, exec_lo, s1
	v_mul_u32_u24_e32 v14, 3, v0
	v_mov_b32_dpp v15, v13 row_shr:4 row_mask:0xf bank_mask:0xf
	v_mov_b32_dpp v13, v10 row_shr:4 row_mask:0xf bank_mask:0xf
	s_mov_b32 s1, exec_lo
	v_cmpx_lt_u32_e32 3, v12
; %bb.113:
	s_delay_alu instid0(VALU_DEP_3) | instskip(SKIP_2) | instid1(VALU_DEP_2)
	v_add_co_u32 v9, vcc_lo, v9, v15
	s_wait_alu 0xfffd
	v_add_co_ci_u32_e64 v10, null, 0, v10, vcc_lo
	v_add_co_u32 v9, vcc_lo, v9, 0
	s_wait_alu 0xfffd
	s_delay_alu instid0(VALU_DEP_2)
	v_add_co_ci_u32_e64 v10, null, v10, v13, vcc_lo
; %bb.114:
	s_wait_alu 0xfffe
	s_or_b32 exec_lo, exec_lo, s1
	v_add_nc_u32_e32 v12, v30, v14
	ds_store_b64 v12, v[9:10]
.LBB818_115:
	s_wait_alu 0xfffe
	s_or_b32 exec_lo, exec_lo, s0
	v_mov_b32_e32 v13, 0
	v_mov_b32_e32 v14, 0
	s_mov_b32 s0, exec_lo
	s_wait_loadcnt_dscnt 0x0
	s_barrier_signal -1
	s_barrier_wait -1
	global_inv scope:SCOPE_SE
	v_cmpx_lt_u32_e32 31, v0
; %bb.116:
	v_lshl_add_u32 v9, v11, 3, -8
	ds_load_b64 v[13:14], v9
; %bb.117:
	s_wait_alu 0xfffe
	s_or_b32 exec_lo, exec_lo, s0
	v_sub_co_u32 v9, vcc_lo, v29, 1
	v_mov_b32_e32 v12, 0
	s_delay_alu instid0(VALU_DEP_2) | instskip(SKIP_1) | instid1(VALU_DEP_1)
	v_cmp_gt_i32_e64 s0, 0, v9
	s_wait_alu 0xf1ff
	v_cndmask_b32_e64 v9, v9, v29, s0
	s_wait_dscnt 0x0
	v_add_co_u32 v10, s0, v13, v21
	s_wait_alu 0xf1ff
	v_add_co_ci_u32_e64 v11, null, v14, v22, s0
	v_lshlrev_b32_e32 v9, 2, v9
	ds_bpermute_b32 v15, v9, v10
	ds_bpermute_b32 v16, v9, v11
	ds_load_b64 v[9:10], v12 offset:56
	s_and_saveexec_b32 s0, s2
	s_cbranch_execz .LBB818_119
; %bb.118:
	s_add_nc_u64 s[6:7], s[14:15], 0x200
	s_wait_alu 0xfffe
	v_dual_mov_b32 v11, 2 :: v_dual_mov_b32 v22, s7
	v_mov_b32_e32 v21, s6
	s_wait_dscnt 0x0
	;;#ASMSTART
	global_store_b128 v[21:22], v[9:12] off scope:SCOPE_DEV	
s_wait_storecnt 0x0
	;;#ASMEND
.LBB818_119:
	s_wait_alu 0xfffe
	s_or_b32 exec_lo, exec_lo, s0
	s_wait_dscnt 0x1
	s_wait_alu 0xfffd
	v_dual_cndmask_b32 v11, v15, v13 :: v_dual_cndmask_b32 v12, v16, v14
	s_wait_loadcnt_dscnt 0x0
	s_barrier_signal -1
	s_barrier_wait -1
	s_delay_alu instid0(VALU_DEP_1)
	v_cndmask_b32_e64 v27, v11, 0, s2
	v_cndmask_b32_e64 v28, v12, 0, s2
	v_mov_b32_e32 v11, 0
	v_mov_b32_e32 v12, 0
	global_inv scope:SCOPE_SE
	v_add_co_u32 v25, vcc_lo, v27, v35
	s_wait_alu 0xfffd
	v_add_co_ci_u32_e64 v26, null, 0, v28, vcc_lo
	s_delay_alu instid0(VALU_DEP_2) | instskip(SKIP_1) | instid1(VALU_DEP_2)
	v_add_co_u32 v23, vcc_lo, v25, v34
	s_wait_alu 0xfffd
	v_add_co_ci_u32_e64 v24, null, 0, v26, vcc_lo
	s_delay_alu instid0(VALU_DEP_2) | instskip(SKIP_1) | instid1(VALU_DEP_2)
	;; [unrolled: 4-line block ×3, first 2 shown]
	v_add_co_u32 v15, vcc_lo, v13, v31
	s_wait_alu 0xfffd
	v_add_co_ci_u32_e64 v16, null, 0, v14, vcc_lo
.LBB818_120:
	s_wait_dscnt 0x0
	v_cmp_gt_u64_e32 vcc_lo, 0x101, v[9:10]
	v_lshlrev_b64_e32 v[21:22], 3, v[17:18]
	v_cmp_eq_u32_e64 s0, 1, v35
	s_mov_b32 s1, -1
	s_cbranch_vccnz .LBB818_124
; %bb.121:
	s_wait_alu 0xfffe
	s_and_b32 vcc_lo, exec_lo, s1
	s_wait_alu 0xfffe
	s_cbranch_vccnz .LBB818_135
.LBB818_122:
	s_and_b32 s0, s2, s18
	s_wait_alu 0xfffe
	s_and_saveexec_b32 s1, s0
	s_cbranch_execnz .LBB818_148
.LBB818_123:
	s_endpgm
.LBB818_124:
	v_add_co_u32 v29, vcc_lo, v11, v9
	s_wait_alu 0xfffd
	v_add_co_ci_u32_e64 v30, null, v12, v10, vcc_lo
	v_add_co_u32 v36, s1, s12, v21
	s_wait_alu 0xf1fe
	v_add_co_ci_u32_e64 v37, null, s13, v22, s1
	s_delay_alu instid0(VALU_DEP_3)
	v_cmp_lt_u64_e32 vcc_lo, v[27:28], v[29:30]
	s_or_b32 s1, s19, vcc_lo
	s_wait_alu 0xfffe
	s_and_b32 s1, s1, s0
	s_wait_alu 0xfffe
	s_and_saveexec_b32 s0, s1
	s_cbranch_execz .LBB818_126
; %bb.125:
	v_lshlrev_b64_e32 v[38:39], 3, v[27:28]
	s_delay_alu instid0(VALU_DEP_1) | instskip(SKIP_1) | instid1(VALU_DEP_2)
	v_add_co_u32 v38, vcc_lo, v36, v38
	s_wait_alu 0xfffd
	v_add_co_ci_u32_e64 v39, null, v37, v39, vcc_lo
	global_store_b64 v[38:39], v[5:6], off
.LBB818_126:
	s_wait_alu 0xfffe
	s_or_b32 exec_lo, exec_lo, s0
	v_cmp_lt_u64_e32 vcc_lo, v[25:26], v[29:30]
	v_cmp_eq_u32_e64 s0, 1, v34
	s_or_b32 s1, s19, vcc_lo
	s_wait_alu 0xfffe
	s_and_b32 s1, s1, s0
	s_wait_alu 0xfffe
	s_and_saveexec_b32 s0, s1
	s_cbranch_execz .LBB818_128
; %bb.127:
	v_lshlrev_b64_e32 v[38:39], 3, v[25:26]
	s_delay_alu instid0(VALU_DEP_1) | instskip(SKIP_1) | instid1(VALU_DEP_2)
	v_add_co_u32 v38, vcc_lo, v36, v38
	s_wait_alu 0xfffd
	v_add_co_ci_u32_e64 v39, null, v37, v39, vcc_lo
	global_store_b64 v[38:39], v[7:8], off
.LBB818_128:
	s_wait_alu 0xfffe
	s_or_b32 exec_lo, exec_lo, s0
	v_cmp_lt_u64_e32 vcc_lo, v[23:24], v[29:30]
	v_cmp_eq_u32_e64 s0, 1, v33
	;; [unrolled: 18-line block ×4, first 2 shown]
	s_or_b32 s1, s19, vcc_lo
	s_wait_alu 0xfffe
	s_and_b32 s1, s1, s0
	s_wait_alu 0xfffe
	s_and_saveexec_b32 s0, s1
	s_cbranch_execz .LBB818_134
; %bb.133:
	v_lshlrev_b64_e32 v[28:29], 3, v[15:16]
	s_delay_alu instid0(VALU_DEP_1) | instskip(SKIP_1) | instid1(VALU_DEP_2)
	v_add_co_u32 v28, vcc_lo, v36, v28
	s_wait_alu 0xfffd
	v_add_co_ci_u32_e64 v29, null, v37, v29, vcc_lo
	global_store_b64 v[28:29], v[19:20], off
.LBB818_134:
	s_wait_alu 0xfffe
	s_or_b32 exec_lo, exec_lo, s0
	s_branch .LBB818_122
.LBB818_135:
	s_mov_b32 s0, exec_lo
	v_cmpx_eq_u32_e32 1, v35
; %bb.136:
	v_sub_nc_u32_e32 v14, v27, v11
	s_delay_alu instid0(VALU_DEP_1)
	v_lshlrev_b32_e32 v14, 3, v14
	ds_store_b64 v14, v[5:6]
; %bb.137:
	s_wait_alu 0xfffe
	s_or_b32 exec_lo, exec_lo, s0
	s_delay_alu instid0(SALU_CYCLE_1)
	s_mov_b32 s0, exec_lo
	v_cmpx_eq_u32_e32 1, v34
; %bb.138:
	v_sub_nc_u32_e32 v5, v25, v11
	s_delay_alu instid0(VALU_DEP_1)
	v_lshlrev_b32_e32 v5, 3, v5
	ds_store_b64 v5, v[7:8]
; %bb.139:
	s_wait_alu 0xfffe
	s_or_b32 exec_lo, exec_lo, s0
	s_delay_alu instid0(SALU_CYCLE_1)
	;; [unrolled: 11-line block ×4, first 2 shown]
	s_mov_b32 s0, exec_lo
	v_cmpx_eq_u32_e32 1, v32
; %bb.144:
	v_sub_nc_u32_e32 v1, v15, v11
	s_delay_alu instid0(VALU_DEP_1)
	v_lshlrev_b32_e32 v1, 3, v1
	ds_store_b64 v1, v[19:20]
; %bb.145:
	s_wait_alu 0xfffe
	s_or_b32 exec_lo, exec_lo, s0
	v_lshlrev_b64_e32 v[2:3], 3, v[11:12]
	v_mov_b32_e32 v1, 0
	s_mov_b32 s1, 0
	s_wait_storecnt 0x0
	s_wait_loadcnt_dscnt 0x0
	s_barrier_signal -1
	s_barrier_wait -1
	v_add_co_u32 v4, vcc_lo, s12, v2
	s_wait_alu 0xfffd
	v_add_co_ci_u32_e64 v5, null, s13, v3, vcc_lo
	v_dual_mov_b32 v3, v1 :: v_dual_mov_b32 v2, v0
	s_delay_alu instid0(VALU_DEP_3) | instskip(SKIP_1) | instid1(VALU_DEP_3)
	v_add_co_u32 v4, vcc_lo, v4, v21
	s_wait_alu 0xfffd
	v_add_co_ci_u32_e64 v5, null, v5, v22, vcc_lo
	v_or_b32_e32 v0, 0x100, v0
	global_inv scope:SCOPE_SE
.LBB818_146:                            ; =>This Inner Loop Header: Depth=1
	v_lshlrev_b32_e32 v6, 3, v2
	v_lshlrev_b64_e32 v[13:14], 3, v[2:3]
	v_mov_b32_e32 v3, v1
	v_cmp_le_u64_e32 vcc_lo, v[9:10], v[0:1]
	v_mov_b32_e32 v2, v0
	ds_load_b64 v[6:7], v6
	v_add_nc_u32_e32 v0, 0x100, v0
	v_add_co_u32 v13, s0, v4, v13
	s_wait_alu 0xf1ff
	v_add_co_ci_u32_e64 v14, null, v5, v14, s0
	s_wait_alu 0xfffe
	s_or_b32 s1, vcc_lo, s1
	s_wait_dscnt 0x0
	global_store_b64 v[13:14], v[6:7], off
	s_wait_alu 0xfffe
	s_and_not1_b32 exec_lo, exec_lo, s1
	s_cbranch_execnz .LBB818_146
; %bb.147:
	s_or_b32 exec_lo, exec_lo, s1
	s_and_b32 s0, s2, s18
	s_wait_alu 0xfffe
	s_and_saveexec_b32 s1, s0
	s_cbranch_execz .LBB818_123
.LBB818_148:
	v_add_co_u32 v0, vcc_lo, v11, v9
	s_wait_alu 0xfffd
	v_add_co_ci_u32_e64 v1, null, v12, v10, vcc_lo
	v_mov_b32_e32 v2, 0
	s_delay_alu instid0(VALU_DEP_3) | instskip(SKIP_1) | instid1(VALU_DEP_3)
	v_add_co_u32 v0, vcc_lo, v0, v17
	s_wait_alu 0xfffd
	v_add_co_ci_u32_e64 v1, null, v1, v18, vcc_lo
	global_store_b64 v2, v[0:1], s[4:5]
	s_endpgm
	.section	.rodata,"a",@progbits
	.p2align	6, 0x0
	.amdhsa_kernel _ZN7rocprim17ROCPRIM_400000_NS6detail17trampoline_kernelINS0_14default_configENS1_25partition_config_selectorILNS1_17partition_subalgoE5EdNS0_10empty_typeEbEEZZNS1_14partition_implILS5_5ELb0ES3_mN6thrust23THRUST_200600_302600_NS6detail15normal_iteratorINSA_10device_ptrIdEEEEPS6_NSA_18transform_iteratorINSB_9not_fun_tINSA_8identityIdEEEESF_NSA_11use_defaultESM_EENS0_5tupleIJSF_S6_EEENSO_IJSG_SG_EEES6_PlJS6_EEE10hipError_tPvRmT3_T4_T5_T6_T7_T9_mT8_P12ihipStream_tbDpT10_ENKUlT_T0_E_clISt17integral_constantIbLb0EES1A_IbLb1EEEEDaS16_S17_EUlS16_E_NS1_11comp_targetILNS1_3genE10ELNS1_11target_archE1200ELNS1_3gpuE4ELNS1_3repE0EEENS1_30default_config_static_selectorELNS0_4arch9wavefront6targetE0EEEvT1_
		.amdhsa_group_segment_fixed_size 10256
		.amdhsa_private_segment_fixed_size 0
		.amdhsa_kernarg_size 136
		.amdhsa_user_sgpr_count 2
		.amdhsa_user_sgpr_dispatch_ptr 0
		.amdhsa_user_sgpr_queue_ptr 0
		.amdhsa_user_sgpr_kernarg_segment_ptr 1
		.amdhsa_user_sgpr_dispatch_id 0
		.amdhsa_user_sgpr_private_segment_size 0
		.amdhsa_wavefront_size32 1
		.amdhsa_uses_dynamic_stack 0
		.amdhsa_enable_private_segment 0
		.amdhsa_system_sgpr_workgroup_id_x 1
		.amdhsa_system_sgpr_workgroup_id_y 0
		.amdhsa_system_sgpr_workgroup_id_z 0
		.amdhsa_system_sgpr_workgroup_info 0
		.amdhsa_system_vgpr_workitem_id 0
		.amdhsa_next_free_vgpr 50
		.amdhsa_next_free_sgpr 24
		.amdhsa_reserve_vcc 1
		.amdhsa_float_round_mode_32 0
		.amdhsa_float_round_mode_16_64 0
		.amdhsa_float_denorm_mode_32 3
		.amdhsa_float_denorm_mode_16_64 3
		.amdhsa_fp16_overflow 0
		.amdhsa_workgroup_processor_mode 1
		.amdhsa_memory_ordered 1
		.amdhsa_forward_progress 1
		.amdhsa_inst_pref_size 58
		.amdhsa_round_robin_scheduling 0
		.amdhsa_exception_fp_ieee_invalid_op 0
		.amdhsa_exception_fp_denorm_src 0
		.amdhsa_exception_fp_ieee_div_zero 0
		.amdhsa_exception_fp_ieee_overflow 0
		.amdhsa_exception_fp_ieee_underflow 0
		.amdhsa_exception_fp_ieee_inexact 0
		.amdhsa_exception_int_div_zero 0
	.end_amdhsa_kernel
	.section	.text._ZN7rocprim17ROCPRIM_400000_NS6detail17trampoline_kernelINS0_14default_configENS1_25partition_config_selectorILNS1_17partition_subalgoE5EdNS0_10empty_typeEbEEZZNS1_14partition_implILS5_5ELb0ES3_mN6thrust23THRUST_200600_302600_NS6detail15normal_iteratorINSA_10device_ptrIdEEEEPS6_NSA_18transform_iteratorINSB_9not_fun_tINSA_8identityIdEEEESF_NSA_11use_defaultESM_EENS0_5tupleIJSF_S6_EEENSO_IJSG_SG_EEES6_PlJS6_EEE10hipError_tPvRmT3_T4_T5_T6_T7_T9_mT8_P12ihipStream_tbDpT10_ENKUlT_T0_E_clISt17integral_constantIbLb0EES1A_IbLb1EEEEDaS16_S17_EUlS16_E_NS1_11comp_targetILNS1_3genE10ELNS1_11target_archE1200ELNS1_3gpuE4ELNS1_3repE0EEENS1_30default_config_static_selectorELNS0_4arch9wavefront6targetE0EEEvT1_,"axG",@progbits,_ZN7rocprim17ROCPRIM_400000_NS6detail17trampoline_kernelINS0_14default_configENS1_25partition_config_selectorILNS1_17partition_subalgoE5EdNS0_10empty_typeEbEEZZNS1_14partition_implILS5_5ELb0ES3_mN6thrust23THRUST_200600_302600_NS6detail15normal_iteratorINSA_10device_ptrIdEEEEPS6_NSA_18transform_iteratorINSB_9not_fun_tINSA_8identityIdEEEESF_NSA_11use_defaultESM_EENS0_5tupleIJSF_S6_EEENSO_IJSG_SG_EEES6_PlJS6_EEE10hipError_tPvRmT3_T4_T5_T6_T7_T9_mT8_P12ihipStream_tbDpT10_ENKUlT_T0_E_clISt17integral_constantIbLb0EES1A_IbLb1EEEEDaS16_S17_EUlS16_E_NS1_11comp_targetILNS1_3genE10ELNS1_11target_archE1200ELNS1_3gpuE4ELNS1_3repE0EEENS1_30default_config_static_selectorELNS0_4arch9wavefront6targetE0EEEvT1_,comdat
.Lfunc_end818:
	.size	_ZN7rocprim17ROCPRIM_400000_NS6detail17trampoline_kernelINS0_14default_configENS1_25partition_config_selectorILNS1_17partition_subalgoE5EdNS0_10empty_typeEbEEZZNS1_14partition_implILS5_5ELb0ES3_mN6thrust23THRUST_200600_302600_NS6detail15normal_iteratorINSA_10device_ptrIdEEEEPS6_NSA_18transform_iteratorINSB_9not_fun_tINSA_8identityIdEEEESF_NSA_11use_defaultESM_EENS0_5tupleIJSF_S6_EEENSO_IJSG_SG_EEES6_PlJS6_EEE10hipError_tPvRmT3_T4_T5_T6_T7_T9_mT8_P12ihipStream_tbDpT10_ENKUlT_T0_E_clISt17integral_constantIbLb0EES1A_IbLb1EEEEDaS16_S17_EUlS16_E_NS1_11comp_targetILNS1_3genE10ELNS1_11target_archE1200ELNS1_3gpuE4ELNS1_3repE0EEENS1_30default_config_static_selectorELNS0_4arch9wavefront6targetE0EEEvT1_, .Lfunc_end818-_ZN7rocprim17ROCPRIM_400000_NS6detail17trampoline_kernelINS0_14default_configENS1_25partition_config_selectorILNS1_17partition_subalgoE5EdNS0_10empty_typeEbEEZZNS1_14partition_implILS5_5ELb0ES3_mN6thrust23THRUST_200600_302600_NS6detail15normal_iteratorINSA_10device_ptrIdEEEEPS6_NSA_18transform_iteratorINSB_9not_fun_tINSA_8identityIdEEEESF_NSA_11use_defaultESM_EENS0_5tupleIJSF_S6_EEENSO_IJSG_SG_EEES6_PlJS6_EEE10hipError_tPvRmT3_T4_T5_T6_T7_T9_mT8_P12ihipStream_tbDpT10_ENKUlT_T0_E_clISt17integral_constantIbLb0EES1A_IbLb1EEEEDaS16_S17_EUlS16_E_NS1_11comp_targetILNS1_3genE10ELNS1_11target_archE1200ELNS1_3gpuE4ELNS1_3repE0EEENS1_30default_config_static_selectorELNS0_4arch9wavefront6targetE0EEEvT1_
                                        ; -- End function
	.set _ZN7rocprim17ROCPRIM_400000_NS6detail17trampoline_kernelINS0_14default_configENS1_25partition_config_selectorILNS1_17partition_subalgoE5EdNS0_10empty_typeEbEEZZNS1_14partition_implILS5_5ELb0ES3_mN6thrust23THRUST_200600_302600_NS6detail15normal_iteratorINSA_10device_ptrIdEEEEPS6_NSA_18transform_iteratorINSB_9not_fun_tINSA_8identityIdEEEESF_NSA_11use_defaultESM_EENS0_5tupleIJSF_S6_EEENSO_IJSG_SG_EEES6_PlJS6_EEE10hipError_tPvRmT3_T4_T5_T6_T7_T9_mT8_P12ihipStream_tbDpT10_ENKUlT_T0_E_clISt17integral_constantIbLb0EES1A_IbLb1EEEEDaS16_S17_EUlS16_E_NS1_11comp_targetILNS1_3genE10ELNS1_11target_archE1200ELNS1_3gpuE4ELNS1_3repE0EEENS1_30default_config_static_selectorELNS0_4arch9wavefront6targetE0EEEvT1_.num_vgpr, 50
	.set _ZN7rocprim17ROCPRIM_400000_NS6detail17trampoline_kernelINS0_14default_configENS1_25partition_config_selectorILNS1_17partition_subalgoE5EdNS0_10empty_typeEbEEZZNS1_14partition_implILS5_5ELb0ES3_mN6thrust23THRUST_200600_302600_NS6detail15normal_iteratorINSA_10device_ptrIdEEEEPS6_NSA_18transform_iteratorINSB_9not_fun_tINSA_8identityIdEEEESF_NSA_11use_defaultESM_EENS0_5tupleIJSF_S6_EEENSO_IJSG_SG_EEES6_PlJS6_EEE10hipError_tPvRmT3_T4_T5_T6_T7_T9_mT8_P12ihipStream_tbDpT10_ENKUlT_T0_E_clISt17integral_constantIbLb0EES1A_IbLb1EEEEDaS16_S17_EUlS16_E_NS1_11comp_targetILNS1_3genE10ELNS1_11target_archE1200ELNS1_3gpuE4ELNS1_3repE0EEENS1_30default_config_static_selectorELNS0_4arch9wavefront6targetE0EEEvT1_.num_agpr, 0
	.set _ZN7rocprim17ROCPRIM_400000_NS6detail17trampoline_kernelINS0_14default_configENS1_25partition_config_selectorILNS1_17partition_subalgoE5EdNS0_10empty_typeEbEEZZNS1_14partition_implILS5_5ELb0ES3_mN6thrust23THRUST_200600_302600_NS6detail15normal_iteratorINSA_10device_ptrIdEEEEPS6_NSA_18transform_iteratorINSB_9not_fun_tINSA_8identityIdEEEESF_NSA_11use_defaultESM_EENS0_5tupleIJSF_S6_EEENSO_IJSG_SG_EEES6_PlJS6_EEE10hipError_tPvRmT3_T4_T5_T6_T7_T9_mT8_P12ihipStream_tbDpT10_ENKUlT_T0_E_clISt17integral_constantIbLb0EES1A_IbLb1EEEEDaS16_S17_EUlS16_E_NS1_11comp_targetILNS1_3genE10ELNS1_11target_archE1200ELNS1_3gpuE4ELNS1_3repE0EEENS1_30default_config_static_selectorELNS0_4arch9wavefront6targetE0EEEvT1_.numbered_sgpr, 24
	.set _ZN7rocprim17ROCPRIM_400000_NS6detail17trampoline_kernelINS0_14default_configENS1_25partition_config_selectorILNS1_17partition_subalgoE5EdNS0_10empty_typeEbEEZZNS1_14partition_implILS5_5ELb0ES3_mN6thrust23THRUST_200600_302600_NS6detail15normal_iteratorINSA_10device_ptrIdEEEEPS6_NSA_18transform_iteratorINSB_9not_fun_tINSA_8identityIdEEEESF_NSA_11use_defaultESM_EENS0_5tupleIJSF_S6_EEENSO_IJSG_SG_EEES6_PlJS6_EEE10hipError_tPvRmT3_T4_T5_T6_T7_T9_mT8_P12ihipStream_tbDpT10_ENKUlT_T0_E_clISt17integral_constantIbLb0EES1A_IbLb1EEEEDaS16_S17_EUlS16_E_NS1_11comp_targetILNS1_3genE10ELNS1_11target_archE1200ELNS1_3gpuE4ELNS1_3repE0EEENS1_30default_config_static_selectorELNS0_4arch9wavefront6targetE0EEEvT1_.num_named_barrier, 0
	.set _ZN7rocprim17ROCPRIM_400000_NS6detail17trampoline_kernelINS0_14default_configENS1_25partition_config_selectorILNS1_17partition_subalgoE5EdNS0_10empty_typeEbEEZZNS1_14partition_implILS5_5ELb0ES3_mN6thrust23THRUST_200600_302600_NS6detail15normal_iteratorINSA_10device_ptrIdEEEEPS6_NSA_18transform_iteratorINSB_9not_fun_tINSA_8identityIdEEEESF_NSA_11use_defaultESM_EENS0_5tupleIJSF_S6_EEENSO_IJSG_SG_EEES6_PlJS6_EEE10hipError_tPvRmT3_T4_T5_T6_T7_T9_mT8_P12ihipStream_tbDpT10_ENKUlT_T0_E_clISt17integral_constantIbLb0EES1A_IbLb1EEEEDaS16_S17_EUlS16_E_NS1_11comp_targetILNS1_3genE10ELNS1_11target_archE1200ELNS1_3gpuE4ELNS1_3repE0EEENS1_30default_config_static_selectorELNS0_4arch9wavefront6targetE0EEEvT1_.private_seg_size, 0
	.set _ZN7rocprim17ROCPRIM_400000_NS6detail17trampoline_kernelINS0_14default_configENS1_25partition_config_selectorILNS1_17partition_subalgoE5EdNS0_10empty_typeEbEEZZNS1_14partition_implILS5_5ELb0ES3_mN6thrust23THRUST_200600_302600_NS6detail15normal_iteratorINSA_10device_ptrIdEEEEPS6_NSA_18transform_iteratorINSB_9not_fun_tINSA_8identityIdEEEESF_NSA_11use_defaultESM_EENS0_5tupleIJSF_S6_EEENSO_IJSG_SG_EEES6_PlJS6_EEE10hipError_tPvRmT3_T4_T5_T6_T7_T9_mT8_P12ihipStream_tbDpT10_ENKUlT_T0_E_clISt17integral_constantIbLb0EES1A_IbLb1EEEEDaS16_S17_EUlS16_E_NS1_11comp_targetILNS1_3genE10ELNS1_11target_archE1200ELNS1_3gpuE4ELNS1_3repE0EEENS1_30default_config_static_selectorELNS0_4arch9wavefront6targetE0EEEvT1_.uses_vcc, 1
	.set _ZN7rocprim17ROCPRIM_400000_NS6detail17trampoline_kernelINS0_14default_configENS1_25partition_config_selectorILNS1_17partition_subalgoE5EdNS0_10empty_typeEbEEZZNS1_14partition_implILS5_5ELb0ES3_mN6thrust23THRUST_200600_302600_NS6detail15normal_iteratorINSA_10device_ptrIdEEEEPS6_NSA_18transform_iteratorINSB_9not_fun_tINSA_8identityIdEEEESF_NSA_11use_defaultESM_EENS0_5tupleIJSF_S6_EEENSO_IJSG_SG_EEES6_PlJS6_EEE10hipError_tPvRmT3_T4_T5_T6_T7_T9_mT8_P12ihipStream_tbDpT10_ENKUlT_T0_E_clISt17integral_constantIbLb0EES1A_IbLb1EEEEDaS16_S17_EUlS16_E_NS1_11comp_targetILNS1_3genE10ELNS1_11target_archE1200ELNS1_3gpuE4ELNS1_3repE0EEENS1_30default_config_static_selectorELNS0_4arch9wavefront6targetE0EEEvT1_.uses_flat_scratch, 1
	.set _ZN7rocprim17ROCPRIM_400000_NS6detail17trampoline_kernelINS0_14default_configENS1_25partition_config_selectorILNS1_17partition_subalgoE5EdNS0_10empty_typeEbEEZZNS1_14partition_implILS5_5ELb0ES3_mN6thrust23THRUST_200600_302600_NS6detail15normal_iteratorINSA_10device_ptrIdEEEEPS6_NSA_18transform_iteratorINSB_9not_fun_tINSA_8identityIdEEEESF_NSA_11use_defaultESM_EENS0_5tupleIJSF_S6_EEENSO_IJSG_SG_EEES6_PlJS6_EEE10hipError_tPvRmT3_T4_T5_T6_T7_T9_mT8_P12ihipStream_tbDpT10_ENKUlT_T0_E_clISt17integral_constantIbLb0EES1A_IbLb1EEEEDaS16_S17_EUlS16_E_NS1_11comp_targetILNS1_3genE10ELNS1_11target_archE1200ELNS1_3gpuE4ELNS1_3repE0EEENS1_30default_config_static_selectorELNS0_4arch9wavefront6targetE0EEEvT1_.has_dyn_sized_stack, 0
	.set _ZN7rocprim17ROCPRIM_400000_NS6detail17trampoline_kernelINS0_14default_configENS1_25partition_config_selectorILNS1_17partition_subalgoE5EdNS0_10empty_typeEbEEZZNS1_14partition_implILS5_5ELb0ES3_mN6thrust23THRUST_200600_302600_NS6detail15normal_iteratorINSA_10device_ptrIdEEEEPS6_NSA_18transform_iteratorINSB_9not_fun_tINSA_8identityIdEEEESF_NSA_11use_defaultESM_EENS0_5tupleIJSF_S6_EEENSO_IJSG_SG_EEES6_PlJS6_EEE10hipError_tPvRmT3_T4_T5_T6_T7_T9_mT8_P12ihipStream_tbDpT10_ENKUlT_T0_E_clISt17integral_constantIbLb0EES1A_IbLb1EEEEDaS16_S17_EUlS16_E_NS1_11comp_targetILNS1_3genE10ELNS1_11target_archE1200ELNS1_3gpuE4ELNS1_3repE0EEENS1_30default_config_static_selectorELNS0_4arch9wavefront6targetE0EEEvT1_.has_recursion, 0
	.set _ZN7rocprim17ROCPRIM_400000_NS6detail17trampoline_kernelINS0_14default_configENS1_25partition_config_selectorILNS1_17partition_subalgoE5EdNS0_10empty_typeEbEEZZNS1_14partition_implILS5_5ELb0ES3_mN6thrust23THRUST_200600_302600_NS6detail15normal_iteratorINSA_10device_ptrIdEEEEPS6_NSA_18transform_iteratorINSB_9not_fun_tINSA_8identityIdEEEESF_NSA_11use_defaultESM_EENS0_5tupleIJSF_S6_EEENSO_IJSG_SG_EEES6_PlJS6_EEE10hipError_tPvRmT3_T4_T5_T6_T7_T9_mT8_P12ihipStream_tbDpT10_ENKUlT_T0_E_clISt17integral_constantIbLb0EES1A_IbLb1EEEEDaS16_S17_EUlS16_E_NS1_11comp_targetILNS1_3genE10ELNS1_11target_archE1200ELNS1_3gpuE4ELNS1_3repE0EEENS1_30default_config_static_selectorELNS0_4arch9wavefront6targetE0EEEvT1_.has_indirect_call, 0
	.section	.AMDGPU.csdata,"",@progbits
; Kernel info:
; codeLenInByte = 7400
; TotalNumSgprs: 26
; NumVgprs: 50
; ScratchSize: 0
; MemoryBound: 0
; FloatMode: 240
; IeeeMode: 1
; LDSByteSize: 10256 bytes/workgroup (compile time only)
; SGPRBlocks: 0
; VGPRBlocks: 6
; NumSGPRsForWavesPerEU: 26
; NumVGPRsForWavesPerEU: 50
; Occupancy: 16
; WaveLimiterHint : 1
; COMPUTE_PGM_RSRC2:SCRATCH_EN: 0
; COMPUTE_PGM_RSRC2:USER_SGPR: 2
; COMPUTE_PGM_RSRC2:TRAP_HANDLER: 0
; COMPUTE_PGM_RSRC2:TGID_X_EN: 1
; COMPUTE_PGM_RSRC2:TGID_Y_EN: 0
; COMPUTE_PGM_RSRC2:TGID_Z_EN: 0
; COMPUTE_PGM_RSRC2:TIDIG_COMP_CNT: 0
	.section	.text._ZN7rocprim17ROCPRIM_400000_NS6detail17trampoline_kernelINS0_14default_configENS1_25partition_config_selectorILNS1_17partition_subalgoE5EdNS0_10empty_typeEbEEZZNS1_14partition_implILS5_5ELb0ES3_mN6thrust23THRUST_200600_302600_NS6detail15normal_iteratorINSA_10device_ptrIdEEEEPS6_NSA_18transform_iteratorINSB_9not_fun_tINSA_8identityIdEEEESF_NSA_11use_defaultESM_EENS0_5tupleIJSF_S6_EEENSO_IJSG_SG_EEES6_PlJS6_EEE10hipError_tPvRmT3_T4_T5_T6_T7_T9_mT8_P12ihipStream_tbDpT10_ENKUlT_T0_E_clISt17integral_constantIbLb0EES1A_IbLb1EEEEDaS16_S17_EUlS16_E_NS1_11comp_targetILNS1_3genE9ELNS1_11target_archE1100ELNS1_3gpuE3ELNS1_3repE0EEENS1_30default_config_static_selectorELNS0_4arch9wavefront6targetE0EEEvT1_,"axG",@progbits,_ZN7rocprim17ROCPRIM_400000_NS6detail17trampoline_kernelINS0_14default_configENS1_25partition_config_selectorILNS1_17partition_subalgoE5EdNS0_10empty_typeEbEEZZNS1_14partition_implILS5_5ELb0ES3_mN6thrust23THRUST_200600_302600_NS6detail15normal_iteratorINSA_10device_ptrIdEEEEPS6_NSA_18transform_iteratorINSB_9not_fun_tINSA_8identityIdEEEESF_NSA_11use_defaultESM_EENS0_5tupleIJSF_S6_EEENSO_IJSG_SG_EEES6_PlJS6_EEE10hipError_tPvRmT3_T4_T5_T6_T7_T9_mT8_P12ihipStream_tbDpT10_ENKUlT_T0_E_clISt17integral_constantIbLb0EES1A_IbLb1EEEEDaS16_S17_EUlS16_E_NS1_11comp_targetILNS1_3genE9ELNS1_11target_archE1100ELNS1_3gpuE3ELNS1_3repE0EEENS1_30default_config_static_selectorELNS0_4arch9wavefront6targetE0EEEvT1_,comdat
	.protected	_ZN7rocprim17ROCPRIM_400000_NS6detail17trampoline_kernelINS0_14default_configENS1_25partition_config_selectorILNS1_17partition_subalgoE5EdNS0_10empty_typeEbEEZZNS1_14partition_implILS5_5ELb0ES3_mN6thrust23THRUST_200600_302600_NS6detail15normal_iteratorINSA_10device_ptrIdEEEEPS6_NSA_18transform_iteratorINSB_9not_fun_tINSA_8identityIdEEEESF_NSA_11use_defaultESM_EENS0_5tupleIJSF_S6_EEENSO_IJSG_SG_EEES6_PlJS6_EEE10hipError_tPvRmT3_T4_T5_T6_T7_T9_mT8_P12ihipStream_tbDpT10_ENKUlT_T0_E_clISt17integral_constantIbLb0EES1A_IbLb1EEEEDaS16_S17_EUlS16_E_NS1_11comp_targetILNS1_3genE9ELNS1_11target_archE1100ELNS1_3gpuE3ELNS1_3repE0EEENS1_30default_config_static_selectorELNS0_4arch9wavefront6targetE0EEEvT1_ ; -- Begin function _ZN7rocprim17ROCPRIM_400000_NS6detail17trampoline_kernelINS0_14default_configENS1_25partition_config_selectorILNS1_17partition_subalgoE5EdNS0_10empty_typeEbEEZZNS1_14partition_implILS5_5ELb0ES3_mN6thrust23THRUST_200600_302600_NS6detail15normal_iteratorINSA_10device_ptrIdEEEEPS6_NSA_18transform_iteratorINSB_9not_fun_tINSA_8identityIdEEEESF_NSA_11use_defaultESM_EENS0_5tupleIJSF_S6_EEENSO_IJSG_SG_EEES6_PlJS6_EEE10hipError_tPvRmT3_T4_T5_T6_T7_T9_mT8_P12ihipStream_tbDpT10_ENKUlT_T0_E_clISt17integral_constantIbLb0EES1A_IbLb1EEEEDaS16_S17_EUlS16_E_NS1_11comp_targetILNS1_3genE9ELNS1_11target_archE1100ELNS1_3gpuE3ELNS1_3repE0EEENS1_30default_config_static_selectorELNS0_4arch9wavefront6targetE0EEEvT1_
	.globl	_ZN7rocprim17ROCPRIM_400000_NS6detail17trampoline_kernelINS0_14default_configENS1_25partition_config_selectorILNS1_17partition_subalgoE5EdNS0_10empty_typeEbEEZZNS1_14partition_implILS5_5ELb0ES3_mN6thrust23THRUST_200600_302600_NS6detail15normal_iteratorINSA_10device_ptrIdEEEEPS6_NSA_18transform_iteratorINSB_9not_fun_tINSA_8identityIdEEEESF_NSA_11use_defaultESM_EENS0_5tupleIJSF_S6_EEENSO_IJSG_SG_EEES6_PlJS6_EEE10hipError_tPvRmT3_T4_T5_T6_T7_T9_mT8_P12ihipStream_tbDpT10_ENKUlT_T0_E_clISt17integral_constantIbLb0EES1A_IbLb1EEEEDaS16_S17_EUlS16_E_NS1_11comp_targetILNS1_3genE9ELNS1_11target_archE1100ELNS1_3gpuE3ELNS1_3repE0EEENS1_30default_config_static_selectorELNS0_4arch9wavefront6targetE0EEEvT1_
	.p2align	8
	.type	_ZN7rocprim17ROCPRIM_400000_NS6detail17trampoline_kernelINS0_14default_configENS1_25partition_config_selectorILNS1_17partition_subalgoE5EdNS0_10empty_typeEbEEZZNS1_14partition_implILS5_5ELb0ES3_mN6thrust23THRUST_200600_302600_NS6detail15normal_iteratorINSA_10device_ptrIdEEEEPS6_NSA_18transform_iteratorINSB_9not_fun_tINSA_8identityIdEEEESF_NSA_11use_defaultESM_EENS0_5tupleIJSF_S6_EEENSO_IJSG_SG_EEES6_PlJS6_EEE10hipError_tPvRmT3_T4_T5_T6_T7_T9_mT8_P12ihipStream_tbDpT10_ENKUlT_T0_E_clISt17integral_constantIbLb0EES1A_IbLb1EEEEDaS16_S17_EUlS16_E_NS1_11comp_targetILNS1_3genE9ELNS1_11target_archE1100ELNS1_3gpuE3ELNS1_3repE0EEENS1_30default_config_static_selectorELNS0_4arch9wavefront6targetE0EEEvT1_,@function
_ZN7rocprim17ROCPRIM_400000_NS6detail17trampoline_kernelINS0_14default_configENS1_25partition_config_selectorILNS1_17partition_subalgoE5EdNS0_10empty_typeEbEEZZNS1_14partition_implILS5_5ELb0ES3_mN6thrust23THRUST_200600_302600_NS6detail15normal_iteratorINSA_10device_ptrIdEEEEPS6_NSA_18transform_iteratorINSB_9not_fun_tINSA_8identityIdEEEESF_NSA_11use_defaultESM_EENS0_5tupleIJSF_S6_EEENSO_IJSG_SG_EEES6_PlJS6_EEE10hipError_tPvRmT3_T4_T5_T6_T7_T9_mT8_P12ihipStream_tbDpT10_ENKUlT_T0_E_clISt17integral_constantIbLb0EES1A_IbLb1EEEEDaS16_S17_EUlS16_E_NS1_11comp_targetILNS1_3genE9ELNS1_11target_archE1100ELNS1_3gpuE3ELNS1_3repE0EEENS1_30default_config_static_selectorELNS0_4arch9wavefront6targetE0EEEvT1_: ; @_ZN7rocprim17ROCPRIM_400000_NS6detail17trampoline_kernelINS0_14default_configENS1_25partition_config_selectorILNS1_17partition_subalgoE5EdNS0_10empty_typeEbEEZZNS1_14partition_implILS5_5ELb0ES3_mN6thrust23THRUST_200600_302600_NS6detail15normal_iteratorINSA_10device_ptrIdEEEEPS6_NSA_18transform_iteratorINSB_9not_fun_tINSA_8identityIdEEEESF_NSA_11use_defaultESM_EENS0_5tupleIJSF_S6_EEENSO_IJSG_SG_EEES6_PlJS6_EEE10hipError_tPvRmT3_T4_T5_T6_T7_T9_mT8_P12ihipStream_tbDpT10_ENKUlT_T0_E_clISt17integral_constantIbLb0EES1A_IbLb1EEEEDaS16_S17_EUlS16_E_NS1_11comp_targetILNS1_3genE9ELNS1_11target_archE1100ELNS1_3gpuE3ELNS1_3repE0EEENS1_30default_config_static_selectorELNS0_4arch9wavefront6targetE0EEEvT1_
; %bb.0:
	.section	.rodata,"a",@progbits
	.p2align	6, 0x0
	.amdhsa_kernel _ZN7rocprim17ROCPRIM_400000_NS6detail17trampoline_kernelINS0_14default_configENS1_25partition_config_selectorILNS1_17partition_subalgoE5EdNS0_10empty_typeEbEEZZNS1_14partition_implILS5_5ELb0ES3_mN6thrust23THRUST_200600_302600_NS6detail15normal_iteratorINSA_10device_ptrIdEEEEPS6_NSA_18transform_iteratorINSB_9not_fun_tINSA_8identityIdEEEESF_NSA_11use_defaultESM_EENS0_5tupleIJSF_S6_EEENSO_IJSG_SG_EEES6_PlJS6_EEE10hipError_tPvRmT3_T4_T5_T6_T7_T9_mT8_P12ihipStream_tbDpT10_ENKUlT_T0_E_clISt17integral_constantIbLb0EES1A_IbLb1EEEEDaS16_S17_EUlS16_E_NS1_11comp_targetILNS1_3genE9ELNS1_11target_archE1100ELNS1_3gpuE3ELNS1_3repE0EEENS1_30default_config_static_selectorELNS0_4arch9wavefront6targetE0EEEvT1_
		.amdhsa_group_segment_fixed_size 0
		.amdhsa_private_segment_fixed_size 0
		.amdhsa_kernarg_size 136
		.amdhsa_user_sgpr_count 2
		.amdhsa_user_sgpr_dispatch_ptr 0
		.amdhsa_user_sgpr_queue_ptr 0
		.amdhsa_user_sgpr_kernarg_segment_ptr 1
		.amdhsa_user_sgpr_dispatch_id 0
		.amdhsa_user_sgpr_private_segment_size 0
		.amdhsa_wavefront_size32 1
		.amdhsa_uses_dynamic_stack 0
		.amdhsa_enable_private_segment 0
		.amdhsa_system_sgpr_workgroup_id_x 1
		.amdhsa_system_sgpr_workgroup_id_y 0
		.amdhsa_system_sgpr_workgroup_id_z 0
		.amdhsa_system_sgpr_workgroup_info 0
		.amdhsa_system_vgpr_workitem_id 0
		.amdhsa_next_free_vgpr 1
		.amdhsa_next_free_sgpr 1
		.amdhsa_reserve_vcc 0
		.amdhsa_float_round_mode_32 0
		.amdhsa_float_round_mode_16_64 0
		.amdhsa_float_denorm_mode_32 3
		.amdhsa_float_denorm_mode_16_64 3
		.amdhsa_fp16_overflow 0
		.amdhsa_workgroup_processor_mode 1
		.amdhsa_memory_ordered 1
		.amdhsa_forward_progress 1
		.amdhsa_inst_pref_size 0
		.amdhsa_round_robin_scheduling 0
		.amdhsa_exception_fp_ieee_invalid_op 0
		.amdhsa_exception_fp_denorm_src 0
		.amdhsa_exception_fp_ieee_div_zero 0
		.amdhsa_exception_fp_ieee_overflow 0
		.amdhsa_exception_fp_ieee_underflow 0
		.amdhsa_exception_fp_ieee_inexact 0
		.amdhsa_exception_int_div_zero 0
	.end_amdhsa_kernel
	.section	.text._ZN7rocprim17ROCPRIM_400000_NS6detail17trampoline_kernelINS0_14default_configENS1_25partition_config_selectorILNS1_17partition_subalgoE5EdNS0_10empty_typeEbEEZZNS1_14partition_implILS5_5ELb0ES3_mN6thrust23THRUST_200600_302600_NS6detail15normal_iteratorINSA_10device_ptrIdEEEEPS6_NSA_18transform_iteratorINSB_9not_fun_tINSA_8identityIdEEEESF_NSA_11use_defaultESM_EENS0_5tupleIJSF_S6_EEENSO_IJSG_SG_EEES6_PlJS6_EEE10hipError_tPvRmT3_T4_T5_T6_T7_T9_mT8_P12ihipStream_tbDpT10_ENKUlT_T0_E_clISt17integral_constantIbLb0EES1A_IbLb1EEEEDaS16_S17_EUlS16_E_NS1_11comp_targetILNS1_3genE9ELNS1_11target_archE1100ELNS1_3gpuE3ELNS1_3repE0EEENS1_30default_config_static_selectorELNS0_4arch9wavefront6targetE0EEEvT1_,"axG",@progbits,_ZN7rocprim17ROCPRIM_400000_NS6detail17trampoline_kernelINS0_14default_configENS1_25partition_config_selectorILNS1_17partition_subalgoE5EdNS0_10empty_typeEbEEZZNS1_14partition_implILS5_5ELb0ES3_mN6thrust23THRUST_200600_302600_NS6detail15normal_iteratorINSA_10device_ptrIdEEEEPS6_NSA_18transform_iteratorINSB_9not_fun_tINSA_8identityIdEEEESF_NSA_11use_defaultESM_EENS0_5tupleIJSF_S6_EEENSO_IJSG_SG_EEES6_PlJS6_EEE10hipError_tPvRmT3_T4_T5_T6_T7_T9_mT8_P12ihipStream_tbDpT10_ENKUlT_T0_E_clISt17integral_constantIbLb0EES1A_IbLb1EEEEDaS16_S17_EUlS16_E_NS1_11comp_targetILNS1_3genE9ELNS1_11target_archE1100ELNS1_3gpuE3ELNS1_3repE0EEENS1_30default_config_static_selectorELNS0_4arch9wavefront6targetE0EEEvT1_,comdat
.Lfunc_end819:
	.size	_ZN7rocprim17ROCPRIM_400000_NS6detail17trampoline_kernelINS0_14default_configENS1_25partition_config_selectorILNS1_17partition_subalgoE5EdNS0_10empty_typeEbEEZZNS1_14partition_implILS5_5ELb0ES3_mN6thrust23THRUST_200600_302600_NS6detail15normal_iteratorINSA_10device_ptrIdEEEEPS6_NSA_18transform_iteratorINSB_9not_fun_tINSA_8identityIdEEEESF_NSA_11use_defaultESM_EENS0_5tupleIJSF_S6_EEENSO_IJSG_SG_EEES6_PlJS6_EEE10hipError_tPvRmT3_T4_T5_T6_T7_T9_mT8_P12ihipStream_tbDpT10_ENKUlT_T0_E_clISt17integral_constantIbLb0EES1A_IbLb1EEEEDaS16_S17_EUlS16_E_NS1_11comp_targetILNS1_3genE9ELNS1_11target_archE1100ELNS1_3gpuE3ELNS1_3repE0EEENS1_30default_config_static_selectorELNS0_4arch9wavefront6targetE0EEEvT1_, .Lfunc_end819-_ZN7rocprim17ROCPRIM_400000_NS6detail17trampoline_kernelINS0_14default_configENS1_25partition_config_selectorILNS1_17partition_subalgoE5EdNS0_10empty_typeEbEEZZNS1_14partition_implILS5_5ELb0ES3_mN6thrust23THRUST_200600_302600_NS6detail15normal_iteratorINSA_10device_ptrIdEEEEPS6_NSA_18transform_iteratorINSB_9not_fun_tINSA_8identityIdEEEESF_NSA_11use_defaultESM_EENS0_5tupleIJSF_S6_EEENSO_IJSG_SG_EEES6_PlJS6_EEE10hipError_tPvRmT3_T4_T5_T6_T7_T9_mT8_P12ihipStream_tbDpT10_ENKUlT_T0_E_clISt17integral_constantIbLb0EES1A_IbLb1EEEEDaS16_S17_EUlS16_E_NS1_11comp_targetILNS1_3genE9ELNS1_11target_archE1100ELNS1_3gpuE3ELNS1_3repE0EEENS1_30default_config_static_selectorELNS0_4arch9wavefront6targetE0EEEvT1_
                                        ; -- End function
	.set _ZN7rocprim17ROCPRIM_400000_NS6detail17trampoline_kernelINS0_14default_configENS1_25partition_config_selectorILNS1_17partition_subalgoE5EdNS0_10empty_typeEbEEZZNS1_14partition_implILS5_5ELb0ES3_mN6thrust23THRUST_200600_302600_NS6detail15normal_iteratorINSA_10device_ptrIdEEEEPS6_NSA_18transform_iteratorINSB_9not_fun_tINSA_8identityIdEEEESF_NSA_11use_defaultESM_EENS0_5tupleIJSF_S6_EEENSO_IJSG_SG_EEES6_PlJS6_EEE10hipError_tPvRmT3_T4_T5_T6_T7_T9_mT8_P12ihipStream_tbDpT10_ENKUlT_T0_E_clISt17integral_constantIbLb0EES1A_IbLb1EEEEDaS16_S17_EUlS16_E_NS1_11comp_targetILNS1_3genE9ELNS1_11target_archE1100ELNS1_3gpuE3ELNS1_3repE0EEENS1_30default_config_static_selectorELNS0_4arch9wavefront6targetE0EEEvT1_.num_vgpr, 0
	.set _ZN7rocprim17ROCPRIM_400000_NS6detail17trampoline_kernelINS0_14default_configENS1_25partition_config_selectorILNS1_17partition_subalgoE5EdNS0_10empty_typeEbEEZZNS1_14partition_implILS5_5ELb0ES3_mN6thrust23THRUST_200600_302600_NS6detail15normal_iteratorINSA_10device_ptrIdEEEEPS6_NSA_18transform_iteratorINSB_9not_fun_tINSA_8identityIdEEEESF_NSA_11use_defaultESM_EENS0_5tupleIJSF_S6_EEENSO_IJSG_SG_EEES6_PlJS6_EEE10hipError_tPvRmT3_T4_T5_T6_T7_T9_mT8_P12ihipStream_tbDpT10_ENKUlT_T0_E_clISt17integral_constantIbLb0EES1A_IbLb1EEEEDaS16_S17_EUlS16_E_NS1_11comp_targetILNS1_3genE9ELNS1_11target_archE1100ELNS1_3gpuE3ELNS1_3repE0EEENS1_30default_config_static_selectorELNS0_4arch9wavefront6targetE0EEEvT1_.num_agpr, 0
	.set _ZN7rocprim17ROCPRIM_400000_NS6detail17trampoline_kernelINS0_14default_configENS1_25partition_config_selectorILNS1_17partition_subalgoE5EdNS0_10empty_typeEbEEZZNS1_14partition_implILS5_5ELb0ES3_mN6thrust23THRUST_200600_302600_NS6detail15normal_iteratorINSA_10device_ptrIdEEEEPS6_NSA_18transform_iteratorINSB_9not_fun_tINSA_8identityIdEEEESF_NSA_11use_defaultESM_EENS0_5tupleIJSF_S6_EEENSO_IJSG_SG_EEES6_PlJS6_EEE10hipError_tPvRmT3_T4_T5_T6_T7_T9_mT8_P12ihipStream_tbDpT10_ENKUlT_T0_E_clISt17integral_constantIbLb0EES1A_IbLb1EEEEDaS16_S17_EUlS16_E_NS1_11comp_targetILNS1_3genE9ELNS1_11target_archE1100ELNS1_3gpuE3ELNS1_3repE0EEENS1_30default_config_static_selectorELNS0_4arch9wavefront6targetE0EEEvT1_.numbered_sgpr, 0
	.set _ZN7rocprim17ROCPRIM_400000_NS6detail17trampoline_kernelINS0_14default_configENS1_25partition_config_selectorILNS1_17partition_subalgoE5EdNS0_10empty_typeEbEEZZNS1_14partition_implILS5_5ELb0ES3_mN6thrust23THRUST_200600_302600_NS6detail15normal_iteratorINSA_10device_ptrIdEEEEPS6_NSA_18transform_iteratorINSB_9not_fun_tINSA_8identityIdEEEESF_NSA_11use_defaultESM_EENS0_5tupleIJSF_S6_EEENSO_IJSG_SG_EEES6_PlJS6_EEE10hipError_tPvRmT3_T4_T5_T6_T7_T9_mT8_P12ihipStream_tbDpT10_ENKUlT_T0_E_clISt17integral_constantIbLb0EES1A_IbLb1EEEEDaS16_S17_EUlS16_E_NS1_11comp_targetILNS1_3genE9ELNS1_11target_archE1100ELNS1_3gpuE3ELNS1_3repE0EEENS1_30default_config_static_selectorELNS0_4arch9wavefront6targetE0EEEvT1_.num_named_barrier, 0
	.set _ZN7rocprim17ROCPRIM_400000_NS6detail17trampoline_kernelINS0_14default_configENS1_25partition_config_selectorILNS1_17partition_subalgoE5EdNS0_10empty_typeEbEEZZNS1_14partition_implILS5_5ELb0ES3_mN6thrust23THRUST_200600_302600_NS6detail15normal_iteratorINSA_10device_ptrIdEEEEPS6_NSA_18transform_iteratorINSB_9not_fun_tINSA_8identityIdEEEESF_NSA_11use_defaultESM_EENS0_5tupleIJSF_S6_EEENSO_IJSG_SG_EEES6_PlJS6_EEE10hipError_tPvRmT3_T4_T5_T6_T7_T9_mT8_P12ihipStream_tbDpT10_ENKUlT_T0_E_clISt17integral_constantIbLb0EES1A_IbLb1EEEEDaS16_S17_EUlS16_E_NS1_11comp_targetILNS1_3genE9ELNS1_11target_archE1100ELNS1_3gpuE3ELNS1_3repE0EEENS1_30default_config_static_selectorELNS0_4arch9wavefront6targetE0EEEvT1_.private_seg_size, 0
	.set _ZN7rocprim17ROCPRIM_400000_NS6detail17trampoline_kernelINS0_14default_configENS1_25partition_config_selectorILNS1_17partition_subalgoE5EdNS0_10empty_typeEbEEZZNS1_14partition_implILS5_5ELb0ES3_mN6thrust23THRUST_200600_302600_NS6detail15normal_iteratorINSA_10device_ptrIdEEEEPS6_NSA_18transform_iteratorINSB_9not_fun_tINSA_8identityIdEEEESF_NSA_11use_defaultESM_EENS0_5tupleIJSF_S6_EEENSO_IJSG_SG_EEES6_PlJS6_EEE10hipError_tPvRmT3_T4_T5_T6_T7_T9_mT8_P12ihipStream_tbDpT10_ENKUlT_T0_E_clISt17integral_constantIbLb0EES1A_IbLb1EEEEDaS16_S17_EUlS16_E_NS1_11comp_targetILNS1_3genE9ELNS1_11target_archE1100ELNS1_3gpuE3ELNS1_3repE0EEENS1_30default_config_static_selectorELNS0_4arch9wavefront6targetE0EEEvT1_.uses_vcc, 0
	.set _ZN7rocprim17ROCPRIM_400000_NS6detail17trampoline_kernelINS0_14default_configENS1_25partition_config_selectorILNS1_17partition_subalgoE5EdNS0_10empty_typeEbEEZZNS1_14partition_implILS5_5ELb0ES3_mN6thrust23THRUST_200600_302600_NS6detail15normal_iteratorINSA_10device_ptrIdEEEEPS6_NSA_18transform_iteratorINSB_9not_fun_tINSA_8identityIdEEEESF_NSA_11use_defaultESM_EENS0_5tupleIJSF_S6_EEENSO_IJSG_SG_EEES6_PlJS6_EEE10hipError_tPvRmT3_T4_T5_T6_T7_T9_mT8_P12ihipStream_tbDpT10_ENKUlT_T0_E_clISt17integral_constantIbLb0EES1A_IbLb1EEEEDaS16_S17_EUlS16_E_NS1_11comp_targetILNS1_3genE9ELNS1_11target_archE1100ELNS1_3gpuE3ELNS1_3repE0EEENS1_30default_config_static_selectorELNS0_4arch9wavefront6targetE0EEEvT1_.uses_flat_scratch, 0
	.set _ZN7rocprim17ROCPRIM_400000_NS6detail17trampoline_kernelINS0_14default_configENS1_25partition_config_selectorILNS1_17partition_subalgoE5EdNS0_10empty_typeEbEEZZNS1_14partition_implILS5_5ELb0ES3_mN6thrust23THRUST_200600_302600_NS6detail15normal_iteratorINSA_10device_ptrIdEEEEPS6_NSA_18transform_iteratorINSB_9not_fun_tINSA_8identityIdEEEESF_NSA_11use_defaultESM_EENS0_5tupleIJSF_S6_EEENSO_IJSG_SG_EEES6_PlJS6_EEE10hipError_tPvRmT3_T4_T5_T6_T7_T9_mT8_P12ihipStream_tbDpT10_ENKUlT_T0_E_clISt17integral_constantIbLb0EES1A_IbLb1EEEEDaS16_S17_EUlS16_E_NS1_11comp_targetILNS1_3genE9ELNS1_11target_archE1100ELNS1_3gpuE3ELNS1_3repE0EEENS1_30default_config_static_selectorELNS0_4arch9wavefront6targetE0EEEvT1_.has_dyn_sized_stack, 0
	.set _ZN7rocprim17ROCPRIM_400000_NS6detail17trampoline_kernelINS0_14default_configENS1_25partition_config_selectorILNS1_17partition_subalgoE5EdNS0_10empty_typeEbEEZZNS1_14partition_implILS5_5ELb0ES3_mN6thrust23THRUST_200600_302600_NS6detail15normal_iteratorINSA_10device_ptrIdEEEEPS6_NSA_18transform_iteratorINSB_9not_fun_tINSA_8identityIdEEEESF_NSA_11use_defaultESM_EENS0_5tupleIJSF_S6_EEENSO_IJSG_SG_EEES6_PlJS6_EEE10hipError_tPvRmT3_T4_T5_T6_T7_T9_mT8_P12ihipStream_tbDpT10_ENKUlT_T0_E_clISt17integral_constantIbLb0EES1A_IbLb1EEEEDaS16_S17_EUlS16_E_NS1_11comp_targetILNS1_3genE9ELNS1_11target_archE1100ELNS1_3gpuE3ELNS1_3repE0EEENS1_30default_config_static_selectorELNS0_4arch9wavefront6targetE0EEEvT1_.has_recursion, 0
	.set _ZN7rocprim17ROCPRIM_400000_NS6detail17trampoline_kernelINS0_14default_configENS1_25partition_config_selectorILNS1_17partition_subalgoE5EdNS0_10empty_typeEbEEZZNS1_14partition_implILS5_5ELb0ES3_mN6thrust23THRUST_200600_302600_NS6detail15normal_iteratorINSA_10device_ptrIdEEEEPS6_NSA_18transform_iteratorINSB_9not_fun_tINSA_8identityIdEEEESF_NSA_11use_defaultESM_EENS0_5tupleIJSF_S6_EEENSO_IJSG_SG_EEES6_PlJS6_EEE10hipError_tPvRmT3_T4_T5_T6_T7_T9_mT8_P12ihipStream_tbDpT10_ENKUlT_T0_E_clISt17integral_constantIbLb0EES1A_IbLb1EEEEDaS16_S17_EUlS16_E_NS1_11comp_targetILNS1_3genE9ELNS1_11target_archE1100ELNS1_3gpuE3ELNS1_3repE0EEENS1_30default_config_static_selectorELNS0_4arch9wavefront6targetE0EEEvT1_.has_indirect_call, 0
	.section	.AMDGPU.csdata,"",@progbits
; Kernel info:
; codeLenInByte = 0
; TotalNumSgprs: 0
; NumVgprs: 0
; ScratchSize: 0
; MemoryBound: 0
; FloatMode: 240
; IeeeMode: 1
; LDSByteSize: 0 bytes/workgroup (compile time only)
; SGPRBlocks: 0
; VGPRBlocks: 0
; NumSGPRsForWavesPerEU: 1
; NumVGPRsForWavesPerEU: 1
; Occupancy: 16
; WaveLimiterHint : 0
; COMPUTE_PGM_RSRC2:SCRATCH_EN: 0
; COMPUTE_PGM_RSRC2:USER_SGPR: 2
; COMPUTE_PGM_RSRC2:TRAP_HANDLER: 0
; COMPUTE_PGM_RSRC2:TGID_X_EN: 1
; COMPUTE_PGM_RSRC2:TGID_Y_EN: 0
; COMPUTE_PGM_RSRC2:TGID_Z_EN: 0
; COMPUTE_PGM_RSRC2:TIDIG_COMP_CNT: 0
	.section	.text._ZN7rocprim17ROCPRIM_400000_NS6detail17trampoline_kernelINS0_14default_configENS1_25partition_config_selectorILNS1_17partition_subalgoE5EdNS0_10empty_typeEbEEZZNS1_14partition_implILS5_5ELb0ES3_mN6thrust23THRUST_200600_302600_NS6detail15normal_iteratorINSA_10device_ptrIdEEEEPS6_NSA_18transform_iteratorINSB_9not_fun_tINSA_8identityIdEEEESF_NSA_11use_defaultESM_EENS0_5tupleIJSF_S6_EEENSO_IJSG_SG_EEES6_PlJS6_EEE10hipError_tPvRmT3_T4_T5_T6_T7_T9_mT8_P12ihipStream_tbDpT10_ENKUlT_T0_E_clISt17integral_constantIbLb0EES1A_IbLb1EEEEDaS16_S17_EUlS16_E_NS1_11comp_targetILNS1_3genE8ELNS1_11target_archE1030ELNS1_3gpuE2ELNS1_3repE0EEENS1_30default_config_static_selectorELNS0_4arch9wavefront6targetE0EEEvT1_,"axG",@progbits,_ZN7rocprim17ROCPRIM_400000_NS6detail17trampoline_kernelINS0_14default_configENS1_25partition_config_selectorILNS1_17partition_subalgoE5EdNS0_10empty_typeEbEEZZNS1_14partition_implILS5_5ELb0ES3_mN6thrust23THRUST_200600_302600_NS6detail15normal_iteratorINSA_10device_ptrIdEEEEPS6_NSA_18transform_iteratorINSB_9not_fun_tINSA_8identityIdEEEESF_NSA_11use_defaultESM_EENS0_5tupleIJSF_S6_EEENSO_IJSG_SG_EEES6_PlJS6_EEE10hipError_tPvRmT3_T4_T5_T6_T7_T9_mT8_P12ihipStream_tbDpT10_ENKUlT_T0_E_clISt17integral_constantIbLb0EES1A_IbLb1EEEEDaS16_S17_EUlS16_E_NS1_11comp_targetILNS1_3genE8ELNS1_11target_archE1030ELNS1_3gpuE2ELNS1_3repE0EEENS1_30default_config_static_selectorELNS0_4arch9wavefront6targetE0EEEvT1_,comdat
	.protected	_ZN7rocprim17ROCPRIM_400000_NS6detail17trampoline_kernelINS0_14default_configENS1_25partition_config_selectorILNS1_17partition_subalgoE5EdNS0_10empty_typeEbEEZZNS1_14partition_implILS5_5ELb0ES3_mN6thrust23THRUST_200600_302600_NS6detail15normal_iteratorINSA_10device_ptrIdEEEEPS6_NSA_18transform_iteratorINSB_9not_fun_tINSA_8identityIdEEEESF_NSA_11use_defaultESM_EENS0_5tupleIJSF_S6_EEENSO_IJSG_SG_EEES6_PlJS6_EEE10hipError_tPvRmT3_T4_T5_T6_T7_T9_mT8_P12ihipStream_tbDpT10_ENKUlT_T0_E_clISt17integral_constantIbLb0EES1A_IbLb1EEEEDaS16_S17_EUlS16_E_NS1_11comp_targetILNS1_3genE8ELNS1_11target_archE1030ELNS1_3gpuE2ELNS1_3repE0EEENS1_30default_config_static_selectorELNS0_4arch9wavefront6targetE0EEEvT1_ ; -- Begin function _ZN7rocprim17ROCPRIM_400000_NS6detail17trampoline_kernelINS0_14default_configENS1_25partition_config_selectorILNS1_17partition_subalgoE5EdNS0_10empty_typeEbEEZZNS1_14partition_implILS5_5ELb0ES3_mN6thrust23THRUST_200600_302600_NS6detail15normal_iteratorINSA_10device_ptrIdEEEEPS6_NSA_18transform_iteratorINSB_9not_fun_tINSA_8identityIdEEEESF_NSA_11use_defaultESM_EENS0_5tupleIJSF_S6_EEENSO_IJSG_SG_EEES6_PlJS6_EEE10hipError_tPvRmT3_T4_T5_T6_T7_T9_mT8_P12ihipStream_tbDpT10_ENKUlT_T0_E_clISt17integral_constantIbLb0EES1A_IbLb1EEEEDaS16_S17_EUlS16_E_NS1_11comp_targetILNS1_3genE8ELNS1_11target_archE1030ELNS1_3gpuE2ELNS1_3repE0EEENS1_30default_config_static_selectorELNS0_4arch9wavefront6targetE0EEEvT1_
	.globl	_ZN7rocprim17ROCPRIM_400000_NS6detail17trampoline_kernelINS0_14default_configENS1_25partition_config_selectorILNS1_17partition_subalgoE5EdNS0_10empty_typeEbEEZZNS1_14partition_implILS5_5ELb0ES3_mN6thrust23THRUST_200600_302600_NS6detail15normal_iteratorINSA_10device_ptrIdEEEEPS6_NSA_18transform_iteratorINSB_9not_fun_tINSA_8identityIdEEEESF_NSA_11use_defaultESM_EENS0_5tupleIJSF_S6_EEENSO_IJSG_SG_EEES6_PlJS6_EEE10hipError_tPvRmT3_T4_T5_T6_T7_T9_mT8_P12ihipStream_tbDpT10_ENKUlT_T0_E_clISt17integral_constantIbLb0EES1A_IbLb1EEEEDaS16_S17_EUlS16_E_NS1_11comp_targetILNS1_3genE8ELNS1_11target_archE1030ELNS1_3gpuE2ELNS1_3repE0EEENS1_30default_config_static_selectorELNS0_4arch9wavefront6targetE0EEEvT1_
	.p2align	8
	.type	_ZN7rocprim17ROCPRIM_400000_NS6detail17trampoline_kernelINS0_14default_configENS1_25partition_config_selectorILNS1_17partition_subalgoE5EdNS0_10empty_typeEbEEZZNS1_14partition_implILS5_5ELb0ES3_mN6thrust23THRUST_200600_302600_NS6detail15normal_iteratorINSA_10device_ptrIdEEEEPS6_NSA_18transform_iteratorINSB_9not_fun_tINSA_8identityIdEEEESF_NSA_11use_defaultESM_EENS0_5tupleIJSF_S6_EEENSO_IJSG_SG_EEES6_PlJS6_EEE10hipError_tPvRmT3_T4_T5_T6_T7_T9_mT8_P12ihipStream_tbDpT10_ENKUlT_T0_E_clISt17integral_constantIbLb0EES1A_IbLb1EEEEDaS16_S17_EUlS16_E_NS1_11comp_targetILNS1_3genE8ELNS1_11target_archE1030ELNS1_3gpuE2ELNS1_3repE0EEENS1_30default_config_static_selectorELNS0_4arch9wavefront6targetE0EEEvT1_,@function
_ZN7rocprim17ROCPRIM_400000_NS6detail17trampoline_kernelINS0_14default_configENS1_25partition_config_selectorILNS1_17partition_subalgoE5EdNS0_10empty_typeEbEEZZNS1_14partition_implILS5_5ELb0ES3_mN6thrust23THRUST_200600_302600_NS6detail15normal_iteratorINSA_10device_ptrIdEEEEPS6_NSA_18transform_iteratorINSB_9not_fun_tINSA_8identityIdEEEESF_NSA_11use_defaultESM_EENS0_5tupleIJSF_S6_EEENSO_IJSG_SG_EEES6_PlJS6_EEE10hipError_tPvRmT3_T4_T5_T6_T7_T9_mT8_P12ihipStream_tbDpT10_ENKUlT_T0_E_clISt17integral_constantIbLb0EES1A_IbLb1EEEEDaS16_S17_EUlS16_E_NS1_11comp_targetILNS1_3genE8ELNS1_11target_archE1030ELNS1_3gpuE2ELNS1_3repE0EEENS1_30default_config_static_selectorELNS0_4arch9wavefront6targetE0EEEvT1_: ; @_ZN7rocprim17ROCPRIM_400000_NS6detail17trampoline_kernelINS0_14default_configENS1_25partition_config_selectorILNS1_17partition_subalgoE5EdNS0_10empty_typeEbEEZZNS1_14partition_implILS5_5ELb0ES3_mN6thrust23THRUST_200600_302600_NS6detail15normal_iteratorINSA_10device_ptrIdEEEEPS6_NSA_18transform_iteratorINSB_9not_fun_tINSA_8identityIdEEEESF_NSA_11use_defaultESM_EENS0_5tupleIJSF_S6_EEENSO_IJSG_SG_EEES6_PlJS6_EEE10hipError_tPvRmT3_T4_T5_T6_T7_T9_mT8_P12ihipStream_tbDpT10_ENKUlT_T0_E_clISt17integral_constantIbLb0EES1A_IbLb1EEEEDaS16_S17_EUlS16_E_NS1_11comp_targetILNS1_3genE8ELNS1_11target_archE1030ELNS1_3gpuE2ELNS1_3repE0EEENS1_30default_config_static_selectorELNS0_4arch9wavefront6targetE0EEEvT1_
; %bb.0:
	.section	.rodata,"a",@progbits
	.p2align	6, 0x0
	.amdhsa_kernel _ZN7rocprim17ROCPRIM_400000_NS6detail17trampoline_kernelINS0_14default_configENS1_25partition_config_selectorILNS1_17partition_subalgoE5EdNS0_10empty_typeEbEEZZNS1_14partition_implILS5_5ELb0ES3_mN6thrust23THRUST_200600_302600_NS6detail15normal_iteratorINSA_10device_ptrIdEEEEPS6_NSA_18transform_iteratorINSB_9not_fun_tINSA_8identityIdEEEESF_NSA_11use_defaultESM_EENS0_5tupleIJSF_S6_EEENSO_IJSG_SG_EEES6_PlJS6_EEE10hipError_tPvRmT3_T4_T5_T6_T7_T9_mT8_P12ihipStream_tbDpT10_ENKUlT_T0_E_clISt17integral_constantIbLb0EES1A_IbLb1EEEEDaS16_S17_EUlS16_E_NS1_11comp_targetILNS1_3genE8ELNS1_11target_archE1030ELNS1_3gpuE2ELNS1_3repE0EEENS1_30default_config_static_selectorELNS0_4arch9wavefront6targetE0EEEvT1_
		.amdhsa_group_segment_fixed_size 0
		.amdhsa_private_segment_fixed_size 0
		.amdhsa_kernarg_size 136
		.amdhsa_user_sgpr_count 2
		.amdhsa_user_sgpr_dispatch_ptr 0
		.amdhsa_user_sgpr_queue_ptr 0
		.amdhsa_user_sgpr_kernarg_segment_ptr 1
		.amdhsa_user_sgpr_dispatch_id 0
		.amdhsa_user_sgpr_private_segment_size 0
		.amdhsa_wavefront_size32 1
		.amdhsa_uses_dynamic_stack 0
		.amdhsa_enable_private_segment 0
		.amdhsa_system_sgpr_workgroup_id_x 1
		.amdhsa_system_sgpr_workgroup_id_y 0
		.amdhsa_system_sgpr_workgroup_id_z 0
		.amdhsa_system_sgpr_workgroup_info 0
		.amdhsa_system_vgpr_workitem_id 0
		.amdhsa_next_free_vgpr 1
		.amdhsa_next_free_sgpr 1
		.amdhsa_reserve_vcc 0
		.amdhsa_float_round_mode_32 0
		.amdhsa_float_round_mode_16_64 0
		.amdhsa_float_denorm_mode_32 3
		.amdhsa_float_denorm_mode_16_64 3
		.amdhsa_fp16_overflow 0
		.amdhsa_workgroup_processor_mode 1
		.amdhsa_memory_ordered 1
		.amdhsa_forward_progress 1
		.amdhsa_inst_pref_size 0
		.amdhsa_round_robin_scheduling 0
		.amdhsa_exception_fp_ieee_invalid_op 0
		.amdhsa_exception_fp_denorm_src 0
		.amdhsa_exception_fp_ieee_div_zero 0
		.amdhsa_exception_fp_ieee_overflow 0
		.amdhsa_exception_fp_ieee_underflow 0
		.amdhsa_exception_fp_ieee_inexact 0
		.amdhsa_exception_int_div_zero 0
	.end_amdhsa_kernel
	.section	.text._ZN7rocprim17ROCPRIM_400000_NS6detail17trampoline_kernelINS0_14default_configENS1_25partition_config_selectorILNS1_17partition_subalgoE5EdNS0_10empty_typeEbEEZZNS1_14partition_implILS5_5ELb0ES3_mN6thrust23THRUST_200600_302600_NS6detail15normal_iteratorINSA_10device_ptrIdEEEEPS6_NSA_18transform_iteratorINSB_9not_fun_tINSA_8identityIdEEEESF_NSA_11use_defaultESM_EENS0_5tupleIJSF_S6_EEENSO_IJSG_SG_EEES6_PlJS6_EEE10hipError_tPvRmT3_T4_T5_T6_T7_T9_mT8_P12ihipStream_tbDpT10_ENKUlT_T0_E_clISt17integral_constantIbLb0EES1A_IbLb1EEEEDaS16_S17_EUlS16_E_NS1_11comp_targetILNS1_3genE8ELNS1_11target_archE1030ELNS1_3gpuE2ELNS1_3repE0EEENS1_30default_config_static_selectorELNS0_4arch9wavefront6targetE0EEEvT1_,"axG",@progbits,_ZN7rocprim17ROCPRIM_400000_NS6detail17trampoline_kernelINS0_14default_configENS1_25partition_config_selectorILNS1_17partition_subalgoE5EdNS0_10empty_typeEbEEZZNS1_14partition_implILS5_5ELb0ES3_mN6thrust23THRUST_200600_302600_NS6detail15normal_iteratorINSA_10device_ptrIdEEEEPS6_NSA_18transform_iteratorINSB_9not_fun_tINSA_8identityIdEEEESF_NSA_11use_defaultESM_EENS0_5tupleIJSF_S6_EEENSO_IJSG_SG_EEES6_PlJS6_EEE10hipError_tPvRmT3_T4_T5_T6_T7_T9_mT8_P12ihipStream_tbDpT10_ENKUlT_T0_E_clISt17integral_constantIbLb0EES1A_IbLb1EEEEDaS16_S17_EUlS16_E_NS1_11comp_targetILNS1_3genE8ELNS1_11target_archE1030ELNS1_3gpuE2ELNS1_3repE0EEENS1_30default_config_static_selectorELNS0_4arch9wavefront6targetE0EEEvT1_,comdat
.Lfunc_end820:
	.size	_ZN7rocprim17ROCPRIM_400000_NS6detail17trampoline_kernelINS0_14default_configENS1_25partition_config_selectorILNS1_17partition_subalgoE5EdNS0_10empty_typeEbEEZZNS1_14partition_implILS5_5ELb0ES3_mN6thrust23THRUST_200600_302600_NS6detail15normal_iteratorINSA_10device_ptrIdEEEEPS6_NSA_18transform_iteratorINSB_9not_fun_tINSA_8identityIdEEEESF_NSA_11use_defaultESM_EENS0_5tupleIJSF_S6_EEENSO_IJSG_SG_EEES6_PlJS6_EEE10hipError_tPvRmT3_T4_T5_T6_T7_T9_mT8_P12ihipStream_tbDpT10_ENKUlT_T0_E_clISt17integral_constantIbLb0EES1A_IbLb1EEEEDaS16_S17_EUlS16_E_NS1_11comp_targetILNS1_3genE8ELNS1_11target_archE1030ELNS1_3gpuE2ELNS1_3repE0EEENS1_30default_config_static_selectorELNS0_4arch9wavefront6targetE0EEEvT1_, .Lfunc_end820-_ZN7rocprim17ROCPRIM_400000_NS6detail17trampoline_kernelINS0_14default_configENS1_25partition_config_selectorILNS1_17partition_subalgoE5EdNS0_10empty_typeEbEEZZNS1_14partition_implILS5_5ELb0ES3_mN6thrust23THRUST_200600_302600_NS6detail15normal_iteratorINSA_10device_ptrIdEEEEPS6_NSA_18transform_iteratorINSB_9not_fun_tINSA_8identityIdEEEESF_NSA_11use_defaultESM_EENS0_5tupleIJSF_S6_EEENSO_IJSG_SG_EEES6_PlJS6_EEE10hipError_tPvRmT3_T4_T5_T6_T7_T9_mT8_P12ihipStream_tbDpT10_ENKUlT_T0_E_clISt17integral_constantIbLb0EES1A_IbLb1EEEEDaS16_S17_EUlS16_E_NS1_11comp_targetILNS1_3genE8ELNS1_11target_archE1030ELNS1_3gpuE2ELNS1_3repE0EEENS1_30default_config_static_selectorELNS0_4arch9wavefront6targetE0EEEvT1_
                                        ; -- End function
	.set _ZN7rocprim17ROCPRIM_400000_NS6detail17trampoline_kernelINS0_14default_configENS1_25partition_config_selectorILNS1_17partition_subalgoE5EdNS0_10empty_typeEbEEZZNS1_14partition_implILS5_5ELb0ES3_mN6thrust23THRUST_200600_302600_NS6detail15normal_iteratorINSA_10device_ptrIdEEEEPS6_NSA_18transform_iteratorINSB_9not_fun_tINSA_8identityIdEEEESF_NSA_11use_defaultESM_EENS0_5tupleIJSF_S6_EEENSO_IJSG_SG_EEES6_PlJS6_EEE10hipError_tPvRmT3_T4_T5_T6_T7_T9_mT8_P12ihipStream_tbDpT10_ENKUlT_T0_E_clISt17integral_constantIbLb0EES1A_IbLb1EEEEDaS16_S17_EUlS16_E_NS1_11comp_targetILNS1_3genE8ELNS1_11target_archE1030ELNS1_3gpuE2ELNS1_3repE0EEENS1_30default_config_static_selectorELNS0_4arch9wavefront6targetE0EEEvT1_.num_vgpr, 0
	.set _ZN7rocprim17ROCPRIM_400000_NS6detail17trampoline_kernelINS0_14default_configENS1_25partition_config_selectorILNS1_17partition_subalgoE5EdNS0_10empty_typeEbEEZZNS1_14partition_implILS5_5ELb0ES3_mN6thrust23THRUST_200600_302600_NS6detail15normal_iteratorINSA_10device_ptrIdEEEEPS6_NSA_18transform_iteratorINSB_9not_fun_tINSA_8identityIdEEEESF_NSA_11use_defaultESM_EENS0_5tupleIJSF_S6_EEENSO_IJSG_SG_EEES6_PlJS6_EEE10hipError_tPvRmT3_T4_T5_T6_T7_T9_mT8_P12ihipStream_tbDpT10_ENKUlT_T0_E_clISt17integral_constantIbLb0EES1A_IbLb1EEEEDaS16_S17_EUlS16_E_NS1_11comp_targetILNS1_3genE8ELNS1_11target_archE1030ELNS1_3gpuE2ELNS1_3repE0EEENS1_30default_config_static_selectorELNS0_4arch9wavefront6targetE0EEEvT1_.num_agpr, 0
	.set _ZN7rocprim17ROCPRIM_400000_NS6detail17trampoline_kernelINS0_14default_configENS1_25partition_config_selectorILNS1_17partition_subalgoE5EdNS0_10empty_typeEbEEZZNS1_14partition_implILS5_5ELb0ES3_mN6thrust23THRUST_200600_302600_NS6detail15normal_iteratorINSA_10device_ptrIdEEEEPS6_NSA_18transform_iteratorINSB_9not_fun_tINSA_8identityIdEEEESF_NSA_11use_defaultESM_EENS0_5tupleIJSF_S6_EEENSO_IJSG_SG_EEES6_PlJS6_EEE10hipError_tPvRmT3_T4_T5_T6_T7_T9_mT8_P12ihipStream_tbDpT10_ENKUlT_T0_E_clISt17integral_constantIbLb0EES1A_IbLb1EEEEDaS16_S17_EUlS16_E_NS1_11comp_targetILNS1_3genE8ELNS1_11target_archE1030ELNS1_3gpuE2ELNS1_3repE0EEENS1_30default_config_static_selectorELNS0_4arch9wavefront6targetE0EEEvT1_.numbered_sgpr, 0
	.set _ZN7rocprim17ROCPRIM_400000_NS6detail17trampoline_kernelINS0_14default_configENS1_25partition_config_selectorILNS1_17partition_subalgoE5EdNS0_10empty_typeEbEEZZNS1_14partition_implILS5_5ELb0ES3_mN6thrust23THRUST_200600_302600_NS6detail15normal_iteratorINSA_10device_ptrIdEEEEPS6_NSA_18transform_iteratorINSB_9not_fun_tINSA_8identityIdEEEESF_NSA_11use_defaultESM_EENS0_5tupleIJSF_S6_EEENSO_IJSG_SG_EEES6_PlJS6_EEE10hipError_tPvRmT3_T4_T5_T6_T7_T9_mT8_P12ihipStream_tbDpT10_ENKUlT_T0_E_clISt17integral_constantIbLb0EES1A_IbLb1EEEEDaS16_S17_EUlS16_E_NS1_11comp_targetILNS1_3genE8ELNS1_11target_archE1030ELNS1_3gpuE2ELNS1_3repE0EEENS1_30default_config_static_selectorELNS0_4arch9wavefront6targetE0EEEvT1_.num_named_barrier, 0
	.set _ZN7rocprim17ROCPRIM_400000_NS6detail17trampoline_kernelINS0_14default_configENS1_25partition_config_selectorILNS1_17partition_subalgoE5EdNS0_10empty_typeEbEEZZNS1_14partition_implILS5_5ELb0ES3_mN6thrust23THRUST_200600_302600_NS6detail15normal_iteratorINSA_10device_ptrIdEEEEPS6_NSA_18transform_iteratorINSB_9not_fun_tINSA_8identityIdEEEESF_NSA_11use_defaultESM_EENS0_5tupleIJSF_S6_EEENSO_IJSG_SG_EEES6_PlJS6_EEE10hipError_tPvRmT3_T4_T5_T6_T7_T9_mT8_P12ihipStream_tbDpT10_ENKUlT_T0_E_clISt17integral_constantIbLb0EES1A_IbLb1EEEEDaS16_S17_EUlS16_E_NS1_11comp_targetILNS1_3genE8ELNS1_11target_archE1030ELNS1_3gpuE2ELNS1_3repE0EEENS1_30default_config_static_selectorELNS0_4arch9wavefront6targetE0EEEvT1_.private_seg_size, 0
	.set _ZN7rocprim17ROCPRIM_400000_NS6detail17trampoline_kernelINS0_14default_configENS1_25partition_config_selectorILNS1_17partition_subalgoE5EdNS0_10empty_typeEbEEZZNS1_14partition_implILS5_5ELb0ES3_mN6thrust23THRUST_200600_302600_NS6detail15normal_iteratorINSA_10device_ptrIdEEEEPS6_NSA_18transform_iteratorINSB_9not_fun_tINSA_8identityIdEEEESF_NSA_11use_defaultESM_EENS0_5tupleIJSF_S6_EEENSO_IJSG_SG_EEES6_PlJS6_EEE10hipError_tPvRmT3_T4_T5_T6_T7_T9_mT8_P12ihipStream_tbDpT10_ENKUlT_T0_E_clISt17integral_constantIbLb0EES1A_IbLb1EEEEDaS16_S17_EUlS16_E_NS1_11comp_targetILNS1_3genE8ELNS1_11target_archE1030ELNS1_3gpuE2ELNS1_3repE0EEENS1_30default_config_static_selectorELNS0_4arch9wavefront6targetE0EEEvT1_.uses_vcc, 0
	.set _ZN7rocprim17ROCPRIM_400000_NS6detail17trampoline_kernelINS0_14default_configENS1_25partition_config_selectorILNS1_17partition_subalgoE5EdNS0_10empty_typeEbEEZZNS1_14partition_implILS5_5ELb0ES3_mN6thrust23THRUST_200600_302600_NS6detail15normal_iteratorINSA_10device_ptrIdEEEEPS6_NSA_18transform_iteratorINSB_9not_fun_tINSA_8identityIdEEEESF_NSA_11use_defaultESM_EENS0_5tupleIJSF_S6_EEENSO_IJSG_SG_EEES6_PlJS6_EEE10hipError_tPvRmT3_T4_T5_T6_T7_T9_mT8_P12ihipStream_tbDpT10_ENKUlT_T0_E_clISt17integral_constantIbLb0EES1A_IbLb1EEEEDaS16_S17_EUlS16_E_NS1_11comp_targetILNS1_3genE8ELNS1_11target_archE1030ELNS1_3gpuE2ELNS1_3repE0EEENS1_30default_config_static_selectorELNS0_4arch9wavefront6targetE0EEEvT1_.uses_flat_scratch, 0
	.set _ZN7rocprim17ROCPRIM_400000_NS6detail17trampoline_kernelINS0_14default_configENS1_25partition_config_selectorILNS1_17partition_subalgoE5EdNS0_10empty_typeEbEEZZNS1_14partition_implILS5_5ELb0ES3_mN6thrust23THRUST_200600_302600_NS6detail15normal_iteratorINSA_10device_ptrIdEEEEPS6_NSA_18transform_iteratorINSB_9not_fun_tINSA_8identityIdEEEESF_NSA_11use_defaultESM_EENS0_5tupleIJSF_S6_EEENSO_IJSG_SG_EEES6_PlJS6_EEE10hipError_tPvRmT3_T4_T5_T6_T7_T9_mT8_P12ihipStream_tbDpT10_ENKUlT_T0_E_clISt17integral_constantIbLb0EES1A_IbLb1EEEEDaS16_S17_EUlS16_E_NS1_11comp_targetILNS1_3genE8ELNS1_11target_archE1030ELNS1_3gpuE2ELNS1_3repE0EEENS1_30default_config_static_selectorELNS0_4arch9wavefront6targetE0EEEvT1_.has_dyn_sized_stack, 0
	.set _ZN7rocprim17ROCPRIM_400000_NS6detail17trampoline_kernelINS0_14default_configENS1_25partition_config_selectorILNS1_17partition_subalgoE5EdNS0_10empty_typeEbEEZZNS1_14partition_implILS5_5ELb0ES3_mN6thrust23THRUST_200600_302600_NS6detail15normal_iteratorINSA_10device_ptrIdEEEEPS6_NSA_18transform_iteratorINSB_9not_fun_tINSA_8identityIdEEEESF_NSA_11use_defaultESM_EENS0_5tupleIJSF_S6_EEENSO_IJSG_SG_EEES6_PlJS6_EEE10hipError_tPvRmT3_T4_T5_T6_T7_T9_mT8_P12ihipStream_tbDpT10_ENKUlT_T0_E_clISt17integral_constantIbLb0EES1A_IbLb1EEEEDaS16_S17_EUlS16_E_NS1_11comp_targetILNS1_3genE8ELNS1_11target_archE1030ELNS1_3gpuE2ELNS1_3repE0EEENS1_30default_config_static_selectorELNS0_4arch9wavefront6targetE0EEEvT1_.has_recursion, 0
	.set _ZN7rocprim17ROCPRIM_400000_NS6detail17trampoline_kernelINS0_14default_configENS1_25partition_config_selectorILNS1_17partition_subalgoE5EdNS0_10empty_typeEbEEZZNS1_14partition_implILS5_5ELb0ES3_mN6thrust23THRUST_200600_302600_NS6detail15normal_iteratorINSA_10device_ptrIdEEEEPS6_NSA_18transform_iteratorINSB_9not_fun_tINSA_8identityIdEEEESF_NSA_11use_defaultESM_EENS0_5tupleIJSF_S6_EEENSO_IJSG_SG_EEES6_PlJS6_EEE10hipError_tPvRmT3_T4_T5_T6_T7_T9_mT8_P12ihipStream_tbDpT10_ENKUlT_T0_E_clISt17integral_constantIbLb0EES1A_IbLb1EEEEDaS16_S17_EUlS16_E_NS1_11comp_targetILNS1_3genE8ELNS1_11target_archE1030ELNS1_3gpuE2ELNS1_3repE0EEENS1_30default_config_static_selectorELNS0_4arch9wavefront6targetE0EEEvT1_.has_indirect_call, 0
	.section	.AMDGPU.csdata,"",@progbits
; Kernel info:
; codeLenInByte = 0
; TotalNumSgprs: 0
; NumVgprs: 0
; ScratchSize: 0
; MemoryBound: 0
; FloatMode: 240
; IeeeMode: 1
; LDSByteSize: 0 bytes/workgroup (compile time only)
; SGPRBlocks: 0
; VGPRBlocks: 0
; NumSGPRsForWavesPerEU: 1
; NumVGPRsForWavesPerEU: 1
; Occupancy: 16
; WaveLimiterHint : 0
; COMPUTE_PGM_RSRC2:SCRATCH_EN: 0
; COMPUTE_PGM_RSRC2:USER_SGPR: 2
; COMPUTE_PGM_RSRC2:TRAP_HANDLER: 0
; COMPUTE_PGM_RSRC2:TGID_X_EN: 1
; COMPUTE_PGM_RSRC2:TGID_Y_EN: 0
; COMPUTE_PGM_RSRC2:TGID_Z_EN: 0
; COMPUTE_PGM_RSRC2:TIDIG_COMP_CNT: 0
	.section	.text._ZN7rocprim17ROCPRIM_400000_NS6detail17trampoline_kernelINS0_14default_configENS1_25partition_config_selectorILNS1_17partition_subalgoE5EfNS0_10empty_typeEbEEZZNS1_14partition_implILS5_5ELb0ES3_mN6thrust23THRUST_200600_302600_NS6detail15normal_iteratorINSA_10device_ptrIfEEEEPS6_NSA_18transform_iteratorINSB_9not_fun_tINSA_8identityIfEEEESF_NSA_11use_defaultESM_EENS0_5tupleIJSF_S6_EEENSO_IJSG_SG_EEES6_PlJS6_EEE10hipError_tPvRmT3_T4_T5_T6_T7_T9_mT8_P12ihipStream_tbDpT10_ENKUlT_T0_E_clISt17integral_constantIbLb0EES1B_EEDaS16_S17_EUlS16_E_NS1_11comp_targetILNS1_3genE0ELNS1_11target_archE4294967295ELNS1_3gpuE0ELNS1_3repE0EEENS1_30default_config_static_selectorELNS0_4arch9wavefront6targetE0EEEvT1_,"axG",@progbits,_ZN7rocprim17ROCPRIM_400000_NS6detail17trampoline_kernelINS0_14default_configENS1_25partition_config_selectorILNS1_17partition_subalgoE5EfNS0_10empty_typeEbEEZZNS1_14partition_implILS5_5ELb0ES3_mN6thrust23THRUST_200600_302600_NS6detail15normal_iteratorINSA_10device_ptrIfEEEEPS6_NSA_18transform_iteratorINSB_9not_fun_tINSA_8identityIfEEEESF_NSA_11use_defaultESM_EENS0_5tupleIJSF_S6_EEENSO_IJSG_SG_EEES6_PlJS6_EEE10hipError_tPvRmT3_T4_T5_T6_T7_T9_mT8_P12ihipStream_tbDpT10_ENKUlT_T0_E_clISt17integral_constantIbLb0EES1B_EEDaS16_S17_EUlS16_E_NS1_11comp_targetILNS1_3genE0ELNS1_11target_archE4294967295ELNS1_3gpuE0ELNS1_3repE0EEENS1_30default_config_static_selectorELNS0_4arch9wavefront6targetE0EEEvT1_,comdat
	.protected	_ZN7rocprim17ROCPRIM_400000_NS6detail17trampoline_kernelINS0_14default_configENS1_25partition_config_selectorILNS1_17partition_subalgoE5EfNS0_10empty_typeEbEEZZNS1_14partition_implILS5_5ELb0ES3_mN6thrust23THRUST_200600_302600_NS6detail15normal_iteratorINSA_10device_ptrIfEEEEPS6_NSA_18transform_iteratorINSB_9not_fun_tINSA_8identityIfEEEESF_NSA_11use_defaultESM_EENS0_5tupleIJSF_S6_EEENSO_IJSG_SG_EEES6_PlJS6_EEE10hipError_tPvRmT3_T4_T5_T6_T7_T9_mT8_P12ihipStream_tbDpT10_ENKUlT_T0_E_clISt17integral_constantIbLb0EES1B_EEDaS16_S17_EUlS16_E_NS1_11comp_targetILNS1_3genE0ELNS1_11target_archE4294967295ELNS1_3gpuE0ELNS1_3repE0EEENS1_30default_config_static_selectorELNS0_4arch9wavefront6targetE0EEEvT1_ ; -- Begin function _ZN7rocprim17ROCPRIM_400000_NS6detail17trampoline_kernelINS0_14default_configENS1_25partition_config_selectorILNS1_17partition_subalgoE5EfNS0_10empty_typeEbEEZZNS1_14partition_implILS5_5ELb0ES3_mN6thrust23THRUST_200600_302600_NS6detail15normal_iteratorINSA_10device_ptrIfEEEEPS6_NSA_18transform_iteratorINSB_9not_fun_tINSA_8identityIfEEEESF_NSA_11use_defaultESM_EENS0_5tupleIJSF_S6_EEENSO_IJSG_SG_EEES6_PlJS6_EEE10hipError_tPvRmT3_T4_T5_T6_T7_T9_mT8_P12ihipStream_tbDpT10_ENKUlT_T0_E_clISt17integral_constantIbLb0EES1B_EEDaS16_S17_EUlS16_E_NS1_11comp_targetILNS1_3genE0ELNS1_11target_archE4294967295ELNS1_3gpuE0ELNS1_3repE0EEENS1_30default_config_static_selectorELNS0_4arch9wavefront6targetE0EEEvT1_
	.globl	_ZN7rocprim17ROCPRIM_400000_NS6detail17trampoline_kernelINS0_14default_configENS1_25partition_config_selectorILNS1_17partition_subalgoE5EfNS0_10empty_typeEbEEZZNS1_14partition_implILS5_5ELb0ES3_mN6thrust23THRUST_200600_302600_NS6detail15normal_iteratorINSA_10device_ptrIfEEEEPS6_NSA_18transform_iteratorINSB_9not_fun_tINSA_8identityIfEEEESF_NSA_11use_defaultESM_EENS0_5tupleIJSF_S6_EEENSO_IJSG_SG_EEES6_PlJS6_EEE10hipError_tPvRmT3_T4_T5_T6_T7_T9_mT8_P12ihipStream_tbDpT10_ENKUlT_T0_E_clISt17integral_constantIbLb0EES1B_EEDaS16_S17_EUlS16_E_NS1_11comp_targetILNS1_3genE0ELNS1_11target_archE4294967295ELNS1_3gpuE0ELNS1_3repE0EEENS1_30default_config_static_selectorELNS0_4arch9wavefront6targetE0EEEvT1_
	.p2align	8
	.type	_ZN7rocprim17ROCPRIM_400000_NS6detail17trampoline_kernelINS0_14default_configENS1_25partition_config_selectorILNS1_17partition_subalgoE5EfNS0_10empty_typeEbEEZZNS1_14partition_implILS5_5ELb0ES3_mN6thrust23THRUST_200600_302600_NS6detail15normal_iteratorINSA_10device_ptrIfEEEEPS6_NSA_18transform_iteratorINSB_9not_fun_tINSA_8identityIfEEEESF_NSA_11use_defaultESM_EENS0_5tupleIJSF_S6_EEENSO_IJSG_SG_EEES6_PlJS6_EEE10hipError_tPvRmT3_T4_T5_T6_T7_T9_mT8_P12ihipStream_tbDpT10_ENKUlT_T0_E_clISt17integral_constantIbLb0EES1B_EEDaS16_S17_EUlS16_E_NS1_11comp_targetILNS1_3genE0ELNS1_11target_archE4294967295ELNS1_3gpuE0ELNS1_3repE0EEENS1_30default_config_static_selectorELNS0_4arch9wavefront6targetE0EEEvT1_,@function
_ZN7rocprim17ROCPRIM_400000_NS6detail17trampoline_kernelINS0_14default_configENS1_25partition_config_selectorILNS1_17partition_subalgoE5EfNS0_10empty_typeEbEEZZNS1_14partition_implILS5_5ELb0ES3_mN6thrust23THRUST_200600_302600_NS6detail15normal_iteratorINSA_10device_ptrIfEEEEPS6_NSA_18transform_iteratorINSB_9not_fun_tINSA_8identityIfEEEESF_NSA_11use_defaultESM_EENS0_5tupleIJSF_S6_EEENSO_IJSG_SG_EEES6_PlJS6_EEE10hipError_tPvRmT3_T4_T5_T6_T7_T9_mT8_P12ihipStream_tbDpT10_ENKUlT_T0_E_clISt17integral_constantIbLb0EES1B_EEDaS16_S17_EUlS16_E_NS1_11comp_targetILNS1_3genE0ELNS1_11target_archE4294967295ELNS1_3gpuE0ELNS1_3repE0EEENS1_30default_config_static_selectorELNS0_4arch9wavefront6targetE0EEEvT1_: ; @_ZN7rocprim17ROCPRIM_400000_NS6detail17trampoline_kernelINS0_14default_configENS1_25partition_config_selectorILNS1_17partition_subalgoE5EfNS0_10empty_typeEbEEZZNS1_14partition_implILS5_5ELb0ES3_mN6thrust23THRUST_200600_302600_NS6detail15normal_iteratorINSA_10device_ptrIfEEEEPS6_NSA_18transform_iteratorINSB_9not_fun_tINSA_8identityIfEEEESF_NSA_11use_defaultESM_EENS0_5tupleIJSF_S6_EEENSO_IJSG_SG_EEES6_PlJS6_EEE10hipError_tPvRmT3_T4_T5_T6_T7_T9_mT8_P12ihipStream_tbDpT10_ENKUlT_T0_E_clISt17integral_constantIbLb0EES1B_EEDaS16_S17_EUlS16_E_NS1_11comp_targetILNS1_3genE0ELNS1_11target_archE4294967295ELNS1_3gpuE0ELNS1_3repE0EEENS1_30default_config_static_selectorELNS0_4arch9wavefront6targetE0EEEvT1_
; %bb.0:
	.section	.rodata,"a",@progbits
	.p2align	6, 0x0
	.amdhsa_kernel _ZN7rocprim17ROCPRIM_400000_NS6detail17trampoline_kernelINS0_14default_configENS1_25partition_config_selectorILNS1_17partition_subalgoE5EfNS0_10empty_typeEbEEZZNS1_14partition_implILS5_5ELb0ES3_mN6thrust23THRUST_200600_302600_NS6detail15normal_iteratorINSA_10device_ptrIfEEEEPS6_NSA_18transform_iteratorINSB_9not_fun_tINSA_8identityIfEEEESF_NSA_11use_defaultESM_EENS0_5tupleIJSF_S6_EEENSO_IJSG_SG_EEES6_PlJS6_EEE10hipError_tPvRmT3_T4_T5_T6_T7_T9_mT8_P12ihipStream_tbDpT10_ENKUlT_T0_E_clISt17integral_constantIbLb0EES1B_EEDaS16_S17_EUlS16_E_NS1_11comp_targetILNS1_3genE0ELNS1_11target_archE4294967295ELNS1_3gpuE0ELNS1_3repE0EEENS1_30default_config_static_selectorELNS0_4arch9wavefront6targetE0EEEvT1_
		.amdhsa_group_segment_fixed_size 0
		.amdhsa_private_segment_fixed_size 0
		.amdhsa_kernarg_size 120
		.amdhsa_user_sgpr_count 2
		.amdhsa_user_sgpr_dispatch_ptr 0
		.amdhsa_user_sgpr_queue_ptr 0
		.amdhsa_user_sgpr_kernarg_segment_ptr 1
		.amdhsa_user_sgpr_dispatch_id 0
		.amdhsa_user_sgpr_private_segment_size 0
		.amdhsa_wavefront_size32 1
		.amdhsa_uses_dynamic_stack 0
		.amdhsa_enable_private_segment 0
		.amdhsa_system_sgpr_workgroup_id_x 1
		.amdhsa_system_sgpr_workgroup_id_y 0
		.amdhsa_system_sgpr_workgroup_id_z 0
		.amdhsa_system_sgpr_workgroup_info 0
		.amdhsa_system_vgpr_workitem_id 0
		.amdhsa_next_free_vgpr 1
		.amdhsa_next_free_sgpr 1
		.amdhsa_reserve_vcc 0
		.amdhsa_float_round_mode_32 0
		.amdhsa_float_round_mode_16_64 0
		.amdhsa_float_denorm_mode_32 3
		.amdhsa_float_denorm_mode_16_64 3
		.amdhsa_fp16_overflow 0
		.amdhsa_workgroup_processor_mode 1
		.amdhsa_memory_ordered 1
		.amdhsa_forward_progress 1
		.amdhsa_inst_pref_size 0
		.amdhsa_round_robin_scheduling 0
		.amdhsa_exception_fp_ieee_invalid_op 0
		.amdhsa_exception_fp_denorm_src 0
		.amdhsa_exception_fp_ieee_div_zero 0
		.amdhsa_exception_fp_ieee_overflow 0
		.amdhsa_exception_fp_ieee_underflow 0
		.amdhsa_exception_fp_ieee_inexact 0
		.amdhsa_exception_int_div_zero 0
	.end_amdhsa_kernel
	.section	.text._ZN7rocprim17ROCPRIM_400000_NS6detail17trampoline_kernelINS0_14default_configENS1_25partition_config_selectorILNS1_17partition_subalgoE5EfNS0_10empty_typeEbEEZZNS1_14partition_implILS5_5ELb0ES3_mN6thrust23THRUST_200600_302600_NS6detail15normal_iteratorINSA_10device_ptrIfEEEEPS6_NSA_18transform_iteratorINSB_9not_fun_tINSA_8identityIfEEEESF_NSA_11use_defaultESM_EENS0_5tupleIJSF_S6_EEENSO_IJSG_SG_EEES6_PlJS6_EEE10hipError_tPvRmT3_T4_T5_T6_T7_T9_mT8_P12ihipStream_tbDpT10_ENKUlT_T0_E_clISt17integral_constantIbLb0EES1B_EEDaS16_S17_EUlS16_E_NS1_11comp_targetILNS1_3genE0ELNS1_11target_archE4294967295ELNS1_3gpuE0ELNS1_3repE0EEENS1_30default_config_static_selectorELNS0_4arch9wavefront6targetE0EEEvT1_,"axG",@progbits,_ZN7rocprim17ROCPRIM_400000_NS6detail17trampoline_kernelINS0_14default_configENS1_25partition_config_selectorILNS1_17partition_subalgoE5EfNS0_10empty_typeEbEEZZNS1_14partition_implILS5_5ELb0ES3_mN6thrust23THRUST_200600_302600_NS6detail15normal_iteratorINSA_10device_ptrIfEEEEPS6_NSA_18transform_iteratorINSB_9not_fun_tINSA_8identityIfEEEESF_NSA_11use_defaultESM_EENS0_5tupleIJSF_S6_EEENSO_IJSG_SG_EEES6_PlJS6_EEE10hipError_tPvRmT3_T4_T5_T6_T7_T9_mT8_P12ihipStream_tbDpT10_ENKUlT_T0_E_clISt17integral_constantIbLb0EES1B_EEDaS16_S17_EUlS16_E_NS1_11comp_targetILNS1_3genE0ELNS1_11target_archE4294967295ELNS1_3gpuE0ELNS1_3repE0EEENS1_30default_config_static_selectorELNS0_4arch9wavefront6targetE0EEEvT1_,comdat
.Lfunc_end821:
	.size	_ZN7rocprim17ROCPRIM_400000_NS6detail17trampoline_kernelINS0_14default_configENS1_25partition_config_selectorILNS1_17partition_subalgoE5EfNS0_10empty_typeEbEEZZNS1_14partition_implILS5_5ELb0ES3_mN6thrust23THRUST_200600_302600_NS6detail15normal_iteratorINSA_10device_ptrIfEEEEPS6_NSA_18transform_iteratorINSB_9not_fun_tINSA_8identityIfEEEESF_NSA_11use_defaultESM_EENS0_5tupleIJSF_S6_EEENSO_IJSG_SG_EEES6_PlJS6_EEE10hipError_tPvRmT3_T4_T5_T6_T7_T9_mT8_P12ihipStream_tbDpT10_ENKUlT_T0_E_clISt17integral_constantIbLb0EES1B_EEDaS16_S17_EUlS16_E_NS1_11comp_targetILNS1_3genE0ELNS1_11target_archE4294967295ELNS1_3gpuE0ELNS1_3repE0EEENS1_30default_config_static_selectorELNS0_4arch9wavefront6targetE0EEEvT1_, .Lfunc_end821-_ZN7rocprim17ROCPRIM_400000_NS6detail17trampoline_kernelINS0_14default_configENS1_25partition_config_selectorILNS1_17partition_subalgoE5EfNS0_10empty_typeEbEEZZNS1_14partition_implILS5_5ELb0ES3_mN6thrust23THRUST_200600_302600_NS6detail15normal_iteratorINSA_10device_ptrIfEEEEPS6_NSA_18transform_iteratorINSB_9not_fun_tINSA_8identityIfEEEESF_NSA_11use_defaultESM_EENS0_5tupleIJSF_S6_EEENSO_IJSG_SG_EEES6_PlJS6_EEE10hipError_tPvRmT3_T4_T5_T6_T7_T9_mT8_P12ihipStream_tbDpT10_ENKUlT_T0_E_clISt17integral_constantIbLb0EES1B_EEDaS16_S17_EUlS16_E_NS1_11comp_targetILNS1_3genE0ELNS1_11target_archE4294967295ELNS1_3gpuE0ELNS1_3repE0EEENS1_30default_config_static_selectorELNS0_4arch9wavefront6targetE0EEEvT1_
                                        ; -- End function
	.set _ZN7rocprim17ROCPRIM_400000_NS6detail17trampoline_kernelINS0_14default_configENS1_25partition_config_selectorILNS1_17partition_subalgoE5EfNS0_10empty_typeEbEEZZNS1_14partition_implILS5_5ELb0ES3_mN6thrust23THRUST_200600_302600_NS6detail15normal_iteratorINSA_10device_ptrIfEEEEPS6_NSA_18transform_iteratorINSB_9not_fun_tINSA_8identityIfEEEESF_NSA_11use_defaultESM_EENS0_5tupleIJSF_S6_EEENSO_IJSG_SG_EEES6_PlJS6_EEE10hipError_tPvRmT3_T4_T5_T6_T7_T9_mT8_P12ihipStream_tbDpT10_ENKUlT_T0_E_clISt17integral_constantIbLb0EES1B_EEDaS16_S17_EUlS16_E_NS1_11comp_targetILNS1_3genE0ELNS1_11target_archE4294967295ELNS1_3gpuE0ELNS1_3repE0EEENS1_30default_config_static_selectorELNS0_4arch9wavefront6targetE0EEEvT1_.num_vgpr, 0
	.set _ZN7rocprim17ROCPRIM_400000_NS6detail17trampoline_kernelINS0_14default_configENS1_25partition_config_selectorILNS1_17partition_subalgoE5EfNS0_10empty_typeEbEEZZNS1_14partition_implILS5_5ELb0ES3_mN6thrust23THRUST_200600_302600_NS6detail15normal_iteratorINSA_10device_ptrIfEEEEPS6_NSA_18transform_iteratorINSB_9not_fun_tINSA_8identityIfEEEESF_NSA_11use_defaultESM_EENS0_5tupleIJSF_S6_EEENSO_IJSG_SG_EEES6_PlJS6_EEE10hipError_tPvRmT3_T4_T5_T6_T7_T9_mT8_P12ihipStream_tbDpT10_ENKUlT_T0_E_clISt17integral_constantIbLb0EES1B_EEDaS16_S17_EUlS16_E_NS1_11comp_targetILNS1_3genE0ELNS1_11target_archE4294967295ELNS1_3gpuE0ELNS1_3repE0EEENS1_30default_config_static_selectorELNS0_4arch9wavefront6targetE0EEEvT1_.num_agpr, 0
	.set _ZN7rocprim17ROCPRIM_400000_NS6detail17trampoline_kernelINS0_14default_configENS1_25partition_config_selectorILNS1_17partition_subalgoE5EfNS0_10empty_typeEbEEZZNS1_14partition_implILS5_5ELb0ES3_mN6thrust23THRUST_200600_302600_NS6detail15normal_iteratorINSA_10device_ptrIfEEEEPS6_NSA_18transform_iteratorINSB_9not_fun_tINSA_8identityIfEEEESF_NSA_11use_defaultESM_EENS0_5tupleIJSF_S6_EEENSO_IJSG_SG_EEES6_PlJS6_EEE10hipError_tPvRmT3_T4_T5_T6_T7_T9_mT8_P12ihipStream_tbDpT10_ENKUlT_T0_E_clISt17integral_constantIbLb0EES1B_EEDaS16_S17_EUlS16_E_NS1_11comp_targetILNS1_3genE0ELNS1_11target_archE4294967295ELNS1_3gpuE0ELNS1_3repE0EEENS1_30default_config_static_selectorELNS0_4arch9wavefront6targetE0EEEvT1_.numbered_sgpr, 0
	.set _ZN7rocprim17ROCPRIM_400000_NS6detail17trampoline_kernelINS0_14default_configENS1_25partition_config_selectorILNS1_17partition_subalgoE5EfNS0_10empty_typeEbEEZZNS1_14partition_implILS5_5ELb0ES3_mN6thrust23THRUST_200600_302600_NS6detail15normal_iteratorINSA_10device_ptrIfEEEEPS6_NSA_18transform_iteratorINSB_9not_fun_tINSA_8identityIfEEEESF_NSA_11use_defaultESM_EENS0_5tupleIJSF_S6_EEENSO_IJSG_SG_EEES6_PlJS6_EEE10hipError_tPvRmT3_T4_T5_T6_T7_T9_mT8_P12ihipStream_tbDpT10_ENKUlT_T0_E_clISt17integral_constantIbLb0EES1B_EEDaS16_S17_EUlS16_E_NS1_11comp_targetILNS1_3genE0ELNS1_11target_archE4294967295ELNS1_3gpuE0ELNS1_3repE0EEENS1_30default_config_static_selectorELNS0_4arch9wavefront6targetE0EEEvT1_.num_named_barrier, 0
	.set _ZN7rocprim17ROCPRIM_400000_NS6detail17trampoline_kernelINS0_14default_configENS1_25partition_config_selectorILNS1_17partition_subalgoE5EfNS0_10empty_typeEbEEZZNS1_14partition_implILS5_5ELb0ES3_mN6thrust23THRUST_200600_302600_NS6detail15normal_iteratorINSA_10device_ptrIfEEEEPS6_NSA_18transform_iteratorINSB_9not_fun_tINSA_8identityIfEEEESF_NSA_11use_defaultESM_EENS0_5tupleIJSF_S6_EEENSO_IJSG_SG_EEES6_PlJS6_EEE10hipError_tPvRmT3_T4_T5_T6_T7_T9_mT8_P12ihipStream_tbDpT10_ENKUlT_T0_E_clISt17integral_constantIbLb0EES1B_EEDaS16_S17_EUlS16_E_NS1_11comp_targetILNS1_3genE0ELNS1_11target_archE4294967295ELNS1_3gpuE0ELNS1_3repE0EEENS1_30default_config_static_selectorELNS0_4arch9wavefront6targetE0EEEvT1_.private_seg_size, 0
	.set _ZN7rocprim17ROCPRIM_400000_NS6detail17trampoline_kernelINS0_14default_configENS1_25partition_config_selectorILNS1_17partition_subalgoE5EfNS0_10empty_typeEbEEZZNS1_14partition_implILS5_5ELb0ES3_mN6thrust23THRUST_200600_302600_NS6detail15normal_iteratorINSA_10device_ptrIfEEEEPS6_NSA_18transform_iteratorINSB_9not_fun_tINSA_8identityIfEEEESF_NSA_11use_defaultESM_EENS0_5tupleIJSF_S6_EEENSO_IJSG_SG_EEES6_PlJS6_EEE10hipError_tPvRmT3_T4_T5_T6_T7_T9_mT8_P12ihipStream_tbDpT10_ENKUlT_T0_E_clISt17integral_constantIbLb0EES1B_EEDaS16_S17_EUlS16_E_NS1_11comp_targetILNS1_3genE0ELNS1_11target_archE4294967295ELNS1_3gpuE0ELNS1_3repE0EEENS1_30default_config_static_selectorELNS0_4arch9wavefront6targetE0EEEvT1_.uses_vcc, 0
	.set _ZN7rocprim17ROCPRIM_400000_NS6detail17trampoline_kernelINS0_14default_configENS1_25partition_config_selectorILNS1_17partition_subalgoE5EfNS0_10empty_typeEbEEZZNS1_14partition_implILS5_5ELb0ES3_mN6thrust23THRUST_200600_302600_NS6detail15normal_iteratorINSA_10device_ptrIfEEEEPS6_NSA_18transform_iteratorINSB_9not_fun_tINSA_8identityIfEEEESF_NSA_11use_defaultESM_EENS0_5tupleIJSF_S6_EEENSO_IJSG_SG_EEES6_PlJS6_EEE10hipError_tPvRmT3_T4_T5_T6_T7_T9_mT8_P12ihipStream_tbDpT10_ENKUlT_T0_E_clISt17integral_constantIbLb0EES1B_EEDaS16_S17_EUlS16_E_NS1_11comp_targetILNS1_3genE0ELNS1_11target_archE4294967295ELNS1_3gpuE0ELNS1_3repE0EEENS1_30default_config_static_selectorELNS0_4arch9wavefront6targetE0EEEvT1_.uses_flat_scratch, 0
	.set _ZN7rocprim17ROCPRIM_400000_NS6detail17trampoline_kernelINS0_14default_configENS1_25partition_config_selectorILNS1_17partition_subalgoE5EfNS0_10empty_typeEbEEZZNS1_14partition_implILS5_5ELb0ES3_mN6thrust23THRUST_200600_302600_NS6detail15normal_iteratorINSA_10device_ptrIfEEEEPS6_NSA_18transform_iteratorINSB_9not_fun_tINSA_8identityIfEEEESF_NSA_11use_defaultESM_EENS0_5tupleIJSF_S6_EEENSO_IJSG_SG_EEES6_PlJS6_EEE10hipError_tPvRmT3_T4_T5_T6_T7_T9_mT8_P12ihipStream_tbDpT10_ENKUlT_T0_E_clISt17integral_constantIbLb0EES1B_EEDaS16_S17_EUlS16_E_NS1_11comp_targetILNS1_3genE0ELNS1_11target_archE4294967295ELNS1_3gpuE0ELNS1_3repE0EEENS1_30default_config_static_selectorELNS0_4arch9wavefront6targetE0EEEvT1_.has_dyn_sized_stack, 0
	.set _ZN7rocprim17ROCPRIM_400000_NS6detail17trampoline_kernelINS0_14default_configENS1_25partition_config_selectorILNS1_17partition_subalgoE5EfNS0_10empty_typeEbEEZZNS1_14partition_implILS5_5ELb0ES3_mN6thrust23THRUST_200600_302600_NS6detail15normal_iteratorINSA_10device_ptrIfEEEEPS6_NSA_18transform_iteratorINSB_9not_fun_tINSA_8identityIfEEEESF_NSA_11use_defaultESM_EENS0_5tupleIJSF_S6_EEENSO_IJSG_SG_EEES6_PlJS6_EEE10hipError_tPvRmT3_T4_T5_T6_T7_T9_mT8_P12ihipStream_tbDpT10_ENKUlT_T0_E_clISt17integral_constantIbLb0EES1B_EEDaS16_S17_EUlS16_E_NS1_11comp_targetILNS1_3genE0ELNS1_11target_archE4294967295ELNS1_3gpuE0ELNS1_3repE0EEENS1_30default_config_static_selectorELNS0_4arch9wavefront6targetE0EEEvT1_.has_recursion, 0
	.set _ZN7rocprim17ROCPRIM_400000_NS6detail17trampoline_kernelINS0_14default_configENS1_25partition_config_selectorILNS1_17partition_subalgoE5EfNS0_10empty_typeEbEEZZNS1_14partition_implILS5_5ELb0ES3_mN6thrust23THRUST_200600_302600_NS6detail15normal_iteratorINSA_10device_ptrIfEEEEPS6_NSA_18transform_iteratorINSB_9not_fun_tINSA_8identityIfEEEESF_NSA_11use_defaultESM_EENS0_5tupleIJSF_S6_EEENSO_IJSG_SG_EEES6_PlJS6_EEE10hipError_tPvRmT3_T4_T5_T6_T7_T9_mT8_P12ihipStream_tbDpT10_ENKUlT_T0_E_clISt17integral_constantIbLb0EES1B_EEDaS16_S17_EUlS16_E_NS1_11comp_targetILNS1_3genE0ELNS1_11target_archE4294967295ELNS1_3gpuE0ELNS1_3repE0EEENS1_30default_config_static_selectorELNS0_4arch9wavefront6targetE0EEEvT1_.has_indirect_call, 0
	.section	.AMDGPU.csdata,"",@progbits
; Kernel info:
; codeLenInByte = 0
; TotalNumSgprs: 0
; NumVgprs: 0
; ScratchSize: 0
; MemoryBound: 0
; FloatMode: 240
; IeeeMode: 1
; LDSByteSize: 0 bytes/workgroup (compile time only)
; SGPRBlocks: 0
; VGPRBlocks: 0
; NumSGPRsForWavesPerEU: 1
; NumVGPRsForWavesPerEU: 1
; Occupancy: 16
; WaveLimiterHint : 0
; COMPUTE_PGM_RSRC2:SCRATCH_EN: 0
; COMPUTE_PGM_RSRC2:USER_SGPR: 2
; COMPUTE_PGM_RSRC2:TRAP_HANDLER: 0
; COMPUTE_PGM_RSRC2:TGID_X_EN: 1
; COMPUTE_PGM_RSRC2:TGID_Y_EN: 0
; COMPUTE_PGM_RSRC2:TGID_Z_EN: 0
; COMPUTE_PGM_RSRC2:TIDIG_COMP_CNT: 0
	.section	.text._ZN7rocprim17ROCPRIM_400000_NS6detail17trampoline_kernelINS0_14default_configENS1_25partition_config_selectorILNS1_17partition_subalgoE5EfNS0_10empty_typeEbEEZZNS1_14partition_implILS5_5ELb0ES3_mN6thrust23THRUST_200600_302600_NS6detail15normal_iteratorINSA_10device_ptrIfEEEEPS6_NSA_18transform_iteratorINSB_9not_fun_tINSA_8identityIfEEEESF_NSA_11use_defaultESM_EENS0_5tupleIJSF_S6_EEENSO_IJSG_SG_EEES6_PlJS6_EEE10hipError_tPvRmT3_T4_T5_T6_T7_T9_mT8_P12ihipStream_tbDpT10_ENKUlT_T0_E_clISt17integral_constantIbLb0EES1B_EEDaS16_S17_EUlS16_E_NS1_11comp_targetILNS1_3genE5ELNS1_11target_archE942ELNS1_3gpuE9ELNS1_3repE0EEENS1_30default_config_static_selectorELNS0_4arch9wavefront6targetE0EEEvT1_,"axG",@progbits,_ZN7rocprim17ROCPRIM_400000_NS6detail17trampoline_kernelINS0_14default_configENS1_25partition_config_selectorILNS1_17partition_subalgoE5EfNS0_10empty_typeEbEEZZNS1_14partition_implILS5_5ELb0ES3_mN6thrust23THRUST_200600_302600_NS6detail15normal_iteratorINSA_10device_ptrIfEEEEPS6_NSA_18transform_iteratorINSB_9not_fun_tINSA_8identityIfEEEESF_NSA_11use_defaultESM_EENS0_5tupleIJSF_S6_EEENSO_IJSG_SG_EEES6_PlJS6_EEE10hipError_tPvRmT3_T4_T5_T6_T7_T9_mT8_P12ihipStream_tbDpT10_ENKUlT_T0_E_clISt17integral_constantIbLb0EES1B_EEDaS16_S17_EUlS16_E_NS1_11comp_targetILNS1_3genE5ELNS1_11target_archE942ELNS1_3gpuE9ELNS1_3repE0EEENS1_30default_config_static_selectorELNS0_4arch9wavefront6targetE0EEEvT1_,comdat
	.protected	_ZN7rocprim17ROCPRIM_400000_NS6detail17trampoline_kernelINS0_14default_configENS1_25partition_config_selectorILNS1_17partition_subalgoE5EfNS0_10empty_typeEbEEZZNS1_14partition_implILS5_5ELb0ES3_mN6thrust23THRUST_200600_302600_NS6detail15normal_iteratorINSA_10device_ptrIfEEEEPS6_NSA_18transform_iteratorINSB_9not_fun_tINSA_8identityIfEEEESF_NSA_11use_defaultESM_EENS0_5tupleIJSF_S6_EEENSO_IJSG_SG_EEES6_PlJS6_EEE10hipError_tPvRmT3_T4_T5_T6_T7_T9_mT8_P12ihipStream_tbDpT10_ENKUlT_T0_E_clISt17integral_constantIbLb0EES1B_EEDaS16_S17_EUlS16_E_NS1_11comp_targetILNS1_3genE5ELNS1_11target_archE942ELNS1_3gpuE9ELNS1_3repE0EEENS1_30default_config_static_selectorELNS0_4arch9wavefront6targetE0EEEvT1_ ; -- Begin function _ZN7rocprim17ROCPRIM_400000_NS6detail17trampoline_kernelINS0_14default_configENS1_25partition_config_selectorILNS1_17partition_subalgoE5EfNS0_10empty_typeEbEEZZNS1_14partition_implILS5_5ELb0ES3_mN6thrust23THRUST_200600_302600_NS6detail15normal_iteratorINSA_10device_ptrIfEEEEPS6_NSA_18transform_iteratorINSB_9not_fun_tINSA_8identityIfEEEESF_NSA_11use_defaultESM_EENS0_5tupleIJSF_S6_EEENSO_IJSG_SG_EEES6_PlJS6_EEE10hipError_tPvRmT3_T4_T5_T6_T7_T9_mT8_P12ihipStream_tbDpT10_ENKUlT_T0_E_clISt17integral_constantIbLb0EES1B_EEDaS16_S17_EUlS16_E_NS1_11comp_targetILNS1_3genE5ELNS1_11target_archE942ELNS1_3gpuE9ELNS1_3repE0EEENS1_30default_config_static_selectorELNS0_4arch9wavefront6targetE0EEEvT1_
	.globl	_ZN7rocprim17ROCPRIM_400000_NS6detail17trampoline_kernelINS0_14default_configENS1_25partition_config_selectorILNS1_17partition_subalgoE5EfNS0_10empty_typeEbEEZZNS1_14partition_implILS5_5ELb0ES3_mN6thrust23THRUST_200600_302600_NS6detail15normal_iteratorINSA_10device_ptrIfEEEEPS6_NSA_18transform_iteratorINSB_9not_fun_tINSA_8identityIfEEEESF_NSA_11use_defaultESM_EENS0_5tupleIJSF_S6_EEENSO_IJSG_SG_EEES6_PlJS6_EEE10hipError_tPvRmT3_T4_T5_T6_T7_T9_mT8_P12ihipStream_tbDpT10_ENKUlT_T0_E_clISt17integral_constantIbLb0EES1B_EEDaS16_S17_EUlS16_E_NS1_11comp_targetILNS1_3genE5ELNS1_11target_archE942ELNS1_3gpuE9ELNS1_3repE0EEENS1_30default_config_static_selectorELNS0_4arch9wavefront6targetE0EEEvT1_
	.p2align	8
	.type	_ZN7rocprim17ROCPRIM_400000_NS6detail17trampoline_kernelINS0_14default_configENS1_25partition_config_selectorILNS1_17partition_subalgoE5EfNS0_10empty_typeEbEEZZNS1_14partition_implILS5_5ELb0ES3_mN6thrust23THRUST_200600_302600_NS6detail15normal_iteratorINSA_10device_ptrIfEEEEPS6_NSA_18transform_iteratorINSB_9not_fun_tINSA_8identityIfEEEESF_NSA_11use_defaultESM_EENS0_5tupleIJSF_S6_EEENSO_IJSG_SG_EEES6_PlJS6_EEE10hipError_tPvRmT3_T4_T5_T6_T7_T9_mT8_P12ihipStream_tbDpT10_ENKUlT_T0_E_clISt17integral_constantIbLb0EES1B_EEDaS16_S17_EUlS16_E_NS1_11comp_targetILNS1_3genE5ELNS1_11target_archE942ELNS1_3gpuE9ELNS1_3repE0EEENS1_30default_config_static_selectorELNS0_4arch9wavefront6targetE0EEEvT1_,@function
_ZN7rocprim17ROCPRIM_400000_NS6detail17trampoline_kernelINS0_14default_configENS1_25partition_config_selectorILNS1_17partition_subalgoE5EfNS0_10empty_typeEbEEZZNS1_14partition_implILS5_5ELb0ES3_mN6thrust23THRUST_200600_302600_NS6detail15normal_iteratorINSA_10device_ptrIfEEEEPS6_NSA_18transform_iteratorINSB_9not_fun_tINSA_8identityIfEEEESF_NSA_11use_defaultESM_EENS0_5tupleIJSF_S6_EEENSO_IJSG_SG_EEES6_PlJS6_EEE10hipError_tPvRmT3_T4_T5_T6_T7_T9_mT8_P12ihipStream_tbDpT10_ENKUlT_T0_E_clISt17integral_constantIbLb0EES1B_EEDaS16_S17_EUlS16_E_NS1_11comp_targetILNS1_3genE5ELNS1_11target_archE942ELNS1_3gpuE9ELNS1_3repE0EEENS1_30default_config_static_selectorELNS0_4arch9wavefront6targetE0EEEvT1_: ; @_ZN7rocprim17ROCPRIM_400000_NS6detail17trampoline_kernelINS0_14default_configENS1_25partition_config_selectorILNS1_17partition_subalgoE5EfNS0_10empty_typeEbEEZZNS1_14partition_implILS5_5ELb0ES3_mN6thrust23THRUST_200600_302600_NS6detail15normal_iteratorINSA_10device_ptrIfEEEEPS6_NSA_18transform_iteratorINSB_9not_fun_tINSA_8identityIfEEEESF_NSA_11use_defaultESM_EENS0_5tupleIJSF_S6_EEENSO_IJSG_SG_EEES6_PlJS6_EEE10hipError_tPvRmT3_T4_T5_T6_T7_T9_mT8_P12ihipStream_tbDpT10_ENKUlT_T0_E_clISt17integral_constantIbLb0EES1B_EEDaS16_S17_EUlS16_E_NS1_11comp_targetILNS1_3genE5ELNS1_11target_archE942ELNS1_3gpuE9ELNS1_3repE0EEENS1_30default_config_static_selectorELNS0_4arch9wavefront6targetE0EEEvT1_
; %bb.0:
	.section	.rodata,"a",@progbits
	.p2align	6, 0x0
	.amdhsa_kernel _ZN7rocprim17ROCPRIM_400000_NS6detail17trampoline_kernelINS0_14default_configENS1_25partition_config_selectorILNS1_17partition_subalgoE5EfNS0_10empty_typeEbEEZZNS1_14partition_implILS5_5ELb0ES3_mN6thrust23THRUST_200600_302600_NS6detail15normal_iteratorINSA_10device_ptrIfEEEEPS6_NSA_18transform_iteratorINSB_9not_fun_tINSA_8identityIfEEEESF_NSA_11use_defaultESM_EENS0_5tupleIJSF_S6_EEENSO_IJSG_SG_EEES6_PlJS6_EEE10hipError_tPvRmT3_T4_T5_T6_T7_T9_mT8_P12ihipStream_tbDpT10_ENKUlT_T0_E_clISt17integral_constantIbLb0EES1B_EEDaS16_S17_EUlS16_E_NS1_11comp_targetILNS1_3genE5ELNS1_11target_archE942ELNS1_3gpuE9ELNS1_3repE0EEENS1_30default_config_static_selectorELNS0_4arch9wavefront6targetE0EEEvT1_
		.amdhsa_group_segment_fixed_size 0
		.amdhsa_private_segment_fixed_size 0
		.amdhsa_kernarg_size 120
		.amdhsa_user_sgpr_count 2
		.amdhsa_user_sgpr_dispatch_ptr 0
		.amdhsa_user_sgpr_queue_ptr 0
		.amdhsa_user_sgpr_kernarg_segment_ptr 1
		.amdhsa_user_sgpr_dispatch_id 0
		.amdhsa_user_sgpr_private_segment_size 0
		.amdhsa_wavefront_size32 1
		.amdhsa_uses_dynamic_stack 0
		.amdhsa_enable_private_segment 0
		.amdhsa_system_sgpr_workgroup_id_x 1
		.amdhsa_system_sgpr_workgroup_id_y 0
		.amdhsa_system_sgpr_workgroup_id_z 0
		.amdhsa_system_sgpr_workgroup_info 0
		.amdhsa_system_vgpr_workitem_id 0
		.amdhsa_next_free_vgpr 1
		.amdhsa_next_free_sgpr 1
		.amdhsa_reserve_vcc 0
		.amdhsa_float_round_mode_32 0
		.amdhsa_float_round_mode_16_64 0
		.amdhsa_float_denorm_mode_32 3
		.amdhsa_float_denorm_mode_16_64 3
		.amdhsa_fp16_overflow 0
		.amdhsa_workgroup_processor_mode 1
		.amdhsa_memory_ordered 1
		.amdhsa_forward_progress 1
		.amdhsa_inst_pref_size 0
		.amdhsa_round_robin_scheduling 0
		.amdhsa_exception_fp_ieee_invalid_op 0
		.amdhsa_exception_fp_denorm_src 0
		.amdhsa_exception_fp_ieee_div_zero 0
		.amdhsa_exception_fp_ieee_overflow 0
		.amdhsa_exception_fp_ieee_underflow 0
		.amdhsa_exception_fp_ieee_inexact 0
		.amdhsa_exception_int_div_zero 0
	.end_amdhsa_kernel
	.section	.text._ZN7rocprim17ROCPRIM_400000_NS6detail17trampoline_kernelINS0_14default_configENS1_25partition_config_selectorILNS1_17partition_subalgoE5EfNS0_10empty_typeEbEEZZNS1_14partition_implILS5_5ELb0ES3_mN6thrust23THRUST_200600_302600_NS6detail15normal_iteratorINSA_10device_ptrIfEEEEPS6_NSA_18transform_iteratorINSB_9not_fun_tINSA_8identityIfEEEESF_NSA_11use_defaultESM_EENS0_5tupleIJSF_S6_EEENSO_IJSG_SG_EEES6_PlJS6_EEE10hipError_tPvRmT3_T4_T5_T6_T7_T9_mT8_P12ihipStream_tbDpT10_ENKUlT_T0_E_clISt17integral_constantIbLb0EES1B_EEDaS16_S17_EUlS16_E_NS1_11comp_targetILNS1_3genE5ELNS1_11target_archE942ELNS1_3gpuE9ELNS1_3repE0EEENS1_30default_config_static_selectorELNS0_4arch9wavefront6targetE0EEEvT1_,"axG",@progbits,_ZN7rocprim17ROCPRIM_400000_NS6detail17trampoline_kernelINS0_14default_configENS1_25partition_config_selectorILNS1_17partition_subalgoE5EfNS0_10empty_typeEbEEZZNS1_14partition_implILS5_5ELb0ES3_mN6thrust23THRUST_200600_302600_NS6detail15normal_iteratorINSA_10device_ptrIfEEEEPS6_NSA_18transform_iteratorINSB_9not_fun_tINSA_8identityIfEEEESF_NSA_11use_defaultESM_EENS0_5tupleIJSF_S6_EEENSO_IJSG_SG_EEES6_PlJS6_EEE10hipError_tPvRmT3_T4_T5_T6_T7_T9_mT8_P12ihipStream_tbDpT10_ENKUlT_T0_E_clISt17integral_constantIbLb0EES1B_EEDaS16_S17_EUlS16_E_NS1_11comp_targetILNS1_3genE5ELNS1_11target_archE942ELNS1_3gpuE9ELNS1_3repE0EEENS1_30default_config_static_selectorELNS0_4arch9wavefront6targetE0EEEvT1_,comdat
.Lfunc_end822:
	.size	_ZN7rocprim17ROCPRIM_400000_NS6detail17trampoline_kernelINS0_14default_configENS1_25partition_config_selectorILNS1_17partition_subalgoE5EfNS0_10empty_typeEbEEZZNS1_14partition_implILS5_5ELb0ES3_mN6thrust23THRUST_200600_302600_NS6detail15normal_iteratorINSA_10device_ptrIfEEEEPS6_NSA_18transform_iteratorINSB_9not_fun_tINSA_8identityIfEEEESF_NSA_11use_defaultESM_EENS0_5tupleIJSF_S6_EEENSO_IJSG_SG_EEES6_PlJS6_EEE10hipError_tPvRmT3_T4_T5_T6_T7_T9_mT8_P12ihipStream_tbDpT10_ENKUlT_T0_E_clISt17integral_constantIbLb0EES1B_EEDaS16_S17_EUlS16_E_NS1_11comp_targetILNS1_3genE5ELNS1_11target_archE942ELNS1_3gpuE9ELNS1_3repE0EEENS1_30default_config_static_selectorELNS0_4arch9wavefront6targetE0EEEvT1_, .Lfunc_end822-_ZN7rocprim17ROCPRIM_400000_NS6detail17trampoline_kernelINS0_14default_configENS1_25partition_config_selectorILNS1_17partition_subalgoE5EfNS0_10empty_typeEbEEZZNS1_14partition_implILS5_5ELb0ES3_mN6thrust23THRUST_200600_302600_NS6detail15normal_iteratorINSA_10device_ptrIfEEEEPS6_NSA_18transform_iteratorINSB_9not_fun_tINSA_8identityIfEEEESF_NSA_11use_defaultESM_EENS0_5tupleIJSF_S6_EEENSO_IJSG_SG_EEES6_PlJS6_EEE10hipError_tPvRmT3_T4_T5_T6_T7_T9_mT8_P12ihipStream_tbDpT10_ENKUlT_T0_E_clISt17integral_constantIbLb0EES1B_EEDaS16_S17_EUlS16_E_NS1_11comp_targetILNS1_3genE5ELNS1_11target_archE942ELNS1_3gpuE9ELNS1_3repE0EEENS1_30default_config_static_selectorELNS0_4arch9wavefront6targetE0EEEvT1_
                                        ; -- End function
	.set _ZN7rocprim17ROCPRIM_400000_NS6detail17trampoline_kernelINS0_14default_configENS1_25partition_config_selectorILNS1_17partition_subalgoE5EfNS0_10empty_typeEbEEZZNS1_14partition_implILS5_5ELb0ES3_mN6thrust23THRUST_200600_302600_NS6detail15normal_iteratorINSA_10device_ptrIfEEEEPS6_NSA_18transform_iteratorINSB_9not_fun_tINSA_8identityIfEEEESF_NSA_11use_defaultESM_EENS0_5tupleIJSF_S6_EEENSO_IJSG_SG_EEES6_PlJS6_EEE10hipError_tPvRmT3_T4_T5_T6_T7_T9_mT8_P12ihipStream_tbDpT10_ENKUlT_T0_E_clISt17integral_constantIbLb0EES1B_EEDaS16_S17_EUlS16_E_NS1_11comp_targetILNS1_3genE5ELNS1_11target_archE942ELNS1_3gpuE9ELNS1_3repE0EEENS1_30default_config_static_selectorELNS0_4arch9wavefront6targetE0EEEvT1_.num_vgpr, 0
	.set _ZN7rocprim17ROCPRIM_400000_NS6detail17trampoline_kernelINS0_14default_configENS1_25partition_config_selectorILNS1_17partition_subalgoE5EfNS0_10empty_typeEbEEZZNS1_14partition_implILS5_5ELb0ES3_mN6thrust23THRUST_200600_302600_NS6detail15normal_iteratorINSA_10device_ptrIfEEEEPS6_NSA_18transform_iteratorINSB_9not_fun_tINSA_8identityIfEEEESF_NSA_11use_defaultESM_EENS0_5tupleIJSF_S6_EEENSO_IJSG_SG_EEES6_PlJS6_EEE10hipError_tPvRmT3_T4_T5_T6_T7_T9_mT8_P12ihipStream_tbDpT10_ENKUlT_T0_E_clISt17integral_constantIbLb0EES1B_EEDaS16_S17_EUlS16_E_NS1_11comp_targetILNS1_3genE5ELNS1_11target_archE942ELNS1_3gpuE9ELNS1_3repE0EEENS1_30default_config_static_selectorELNS0_4arch9wavefront6targetE0EEEvT1_.num_agpr, 0
	.set _ZN7rocprim17ROCPRIM_400000_NS6detail17trampoline_kernelINS0_14default_configENS1_25partition_config_selectorILNS1_17partition_subalgoE5EfNS0_10empty_typeEbEEZZNS1_14partition_implILS5_5ELb0ES3_mN6thrust23THRUST_200600_302600_NS6detail15normal_iteratorINSA_10device_ptrIfEEEEPS6_NSA_18transform_iteratorINSB_9not_fun_tINSA_8identityIfEEEESF_NSA_11use_defaultESM_EENS0_5tupleIJSF_S6_EEENSO_IJSG_SG_EEES6_PlJS6_EEE10hipError_tPvRmT3_T4_T5_T6_T7_T9_mT8_P12ihipStream_tbDpT10_ENKUlT_T0_E_clISt17integral_constantIbLb0EES1B_EEDaS16_S17_EUlS16_E_NS1_11comp_targetILNS1_3genE5ELNS1_11target_archE942ELNS1_3gpuE9ELNS1_3repE0EEENS1_30default_config_static_selectorELNS0_4arch9wavefront6targetE0EEEvT1_.numbered_sgpr, 0
	.set _ZN7rocprim17ROCPRIM_400000_NS6detail17trampoline_kernelINS0_14default_configENS1_25partition_config_selectorILNS1_17partition_subalgoE5EfNS0_10empty_typeEbEEZZNS1_14partition_implILS5_5ELb0ES3_mN6thrust23THRUST_200600_302600_NS6detail15normal_iteratorINSA_10device_ptrIfEEEEPS6_NSA_18transform_iteratorINSB_9not_fun_tINSA_8identityIfEEEESF_NSA_11use_defaultESM_EENS0_5tupleIJSF_S6_EEENSO_IJSG_SG_EEES6_PlJS6_EEE10hipError_tPvRmT3_T4_T5_T6_T7_T9_mT8_P12ihipStream_tbDpT10_ENKUlT_T0_E_clISt17integral_constantIbLb0EES1B_EEDaS16_S17_EUlS16_E_NS1_11comp_targetILNS1_3genE5ELNS1_11target_archE942ELNS1_3gpuE9ELNS1_3repE0EEENS1_30default_config_static_selectorELNS0_4arch9wavefront6targetE0EEEvT1_.num_named_barrier, 0
	.set _ZN7rocprim17ROCPRIM_400000_NS6detail17trampoline_kernelINS0_14default_configENS1_25partition_config_selectorILNS1_17partition_subalgoE5EfNS0_10empty_typeEbEEZZNS1_14partition_implILS5_5ELb0ES3_mN6thrust23THRUST_200600_302600_NS6detail15normal_iteratorINSA_10device_ptrIfEEEEPS6_NSA_18transform_iteratorINSB_9not_fun_tINSA_8identityIfEEEESF_NSA_11use_defaultESM_EENS0_5tupleIJSF_S6_EEENSO_IJSG_SG_EEES6_PlJS6_EEE10hipError_tPvRmT3_T4_T5_T6_T7_T9_mT8_P12ihipStream_tbDpT10_ENKUlT_T0_E_clISt17integral_constantIbLb0EES1B_EEDaS16_S17_EUlS16_E_NS1_11comp_targetILNS1_3genE5ELNS1_11target_archE942ELNS1_3gpuE9ELNS1_3repE0EEENS1_30default_config_static_selectorELNS0_4arch9wavefront6targetE0EEEvT1_.private_seg_size, 0
	.set _ZN7rocprim17ROCPRIM_400000_NS6detail17trampoline_kernelINS0_14default_configENS1_25partition_config_selectorILNS1_17partition_subalgoE5EfNS0_10empty_typeEbEEZZNS1_14partition_implILS5_5ELb0ES3_mN6thrust23THRUST_200600_302600_NS6detail15normal_iteratorINSA_10device_ptrIfEEEEPS6_NSA_18transform_iteratorINSB_9not_fun_tINSA_8identityIfEEEESF_NSA_11use_defaultESM_EENS0_5tupleIJSF_S6_EEENSO_IJSG_SG_EEES6_PlJS6_EEE10hipError_tPvRmT3_T4_T5_T6_T7_T9_mT8_P12ihipStream_tbDpT10_ENKUlT_T0_E_clISt17integral_constantIbLb0EES1B_EEDaS16_S17_EUlS16_E_NS1_11comp_targetILNS1_3genE5ELNS1_11target_archE942ELNS1_3gpuE9ELNS1_3repE0EEENS1_30default_config_static_selectorELNS0_4arch9wavefront6targetE0EEEvT1_.uses_vcc, 0
	.set _ZN7rocprim17ROCPRIM_400000_NS6detail17trampoline_kernelINS0_14default_configENS1_25partition_config_selectorILNS1_17partition_subalgoE5EfNS0_10empty_typeEbEEZZNS1_14partition_implILS5_5ELb0ES3_mN6thrust23THRUST_200600_302600_NS6detail15normal_iteratorINSA_10device_ptrIfEEEEPS6_NSA_18transform_iteratorINSB_9not_fun_tINSA_8identityIfEEEESF_NSA_11use_defaultESM_EENS0_5tupleIJSF_S6_EEENSO_IJSG_SG_EEES6_PlJS6_EEE10hipError_tPvRmT3_T4_T5_T6_T7_T9_mT8_P12ihipStream_tbDpT10_ENKUlT_T0_E_clISt17integral_constantIbLb0EES1B_EEDaS16_S17_EUlS16_E_NS1_11comp_targetILNS1_3genE5ELNS1_11target_archE942ELNS1_3gpuE9ELNS1_3repE0EEENS1_30default_config_static_selectorELNS0_4arch9wavefront6targetE0EEEvT1_.uses_flat_scratch, 0
	.set _ZN7rocprim17ROCPRIM_400000_NS6detail17trampoline_kernelINS0_14default_configENS1_25partition_config_selectorILNS1_17partition_subalgoE5EfNS0_10empty_typeEbEEZZNS1_14partition_implILS5_5ELb0ES3_mN6thrust23THRUST_200600_302600_NS6detail15normal_iteratorINSA_10device_ptrIfEEEEPS6_NSA_18transform_iteratorINSB_9not_fun_tINSA_8identityIfEEEESF_NSA_11use_defaultESM_EENS0_5tupleIJSF_S6_EEENSO_IJSG_SG_EEES6_PlJS6_EEE10hipError_tPvRmT3_T4_T5_T6_T7_T9_mT8_P12ihipStream_tbDpT10_ENKUlT_T0_E_clISt17integral_constantIbLb0EES1B_EEDaS16_S17_EUlS16_E_NS1_11comp_targetILNS1_3genE5ELNS1_11target_archE942ELNS1_3gpuE9ELNS1_3repE0EEENS1_30default_config_static_selectorELNS0_4arch9wavefront6targetE0EEEvT1_.has_dyn_sized_stack, 0
	.set _ZN7rocprim17ROCPRIM_400000_NS6detail17trampoline_kernelINS0_14default_configENS1_25partition_config_selectorILNS1_17partition_subalgoE5EfNS0_10empty_typeEbEEZZNS1_14partition_implILS5_5ELb0ES3_mN6thrust23THRUST_200600_302600_NS6detail15normal_iteratorINSA_10device_ptrIfEEEEPS6_NSA_18transform_iteratorINSB_9not_fun_tINSA_8identityIfEEEESF_NSA_11use_defaultESM_EENS0_5tupleIJSF_S6_EEENSO_IJSG_SG_EEES6_PlJS6_EEE10hipError_tPvRmT3_T4_T5_T6_T7_T9_mT8_P12ihipStream_tbDpT10_ENKUlT_T0_E_clISt17integral_constantIbLb0EES1B_EEDaS16_S17_EUlS16_E_NS1_11comp_targetILNS1_3genE5ELNS1_11target_archE942ELNS1_3gpuE9ELNS1_3repE0EEENS1_30default_config_static_selectorELNS0_4arch9wavefront6targetE0EEEvT1_.has_recursion, 0
	.set _ZN7rocprim17ROCPRIM_400000_NS6detail17trampoline_kernelINS0_14default_configENS1_25partition_config_selectorILNS1_17partition_subalgoE5EfNS0_10empty_typeEbEEZZNS1_14partition_implILS5_5ELb0ES3_mN6thrust23THRUST_200600_302600_NS6detail15normal_iteratorINSA_10device_ptrIfEEEEPS6_NSA_18transform_iteratorINSB_9not_fun_tINSA_8identityIfEEEESF_NSA_11use_defaultESM_EENS0_5tupleIJSF_S6_EEENSO_IJSG_SG_EEES6_PlJS6_EEE10hipError_tPvRmT3_T4_T5_T6_T7_T9_mT8_P12ihipStream_tbDpT10_ENKUlT_T0_E_clISt17integral_constantIbLb0EES1B_EEDaS16_S17_EUlS16_E_NS1_11comp_targetILNS1_3genE5ELNS1_11target_archE942ELNS1_3gpuE9ELNS1_3repE0EEENS1_30default_config_static_selectorELNS0_4arch9wavefront6targetE0EEEvT1_.has_indirect_call, 0
	.section	.AMDGPU.csdata,"",@progbits
; Kernel info:
; codeLenInByte = 0
; TotalNumSgprs: 0
; NumVgprs: 0
; ScratchSize: 0
; MemoryBound: 0
; FloatMode: 240
; IeeeMode: 1
; LDSByteSize: 0 bytes/workgroup (compile time only)
; SGPRBlocks: 0
; VGPRBlocks: 0
; NumSGPRsForWavesPerEU: 1
; NumVGPRsForWavesPerEU: 1
; Occupancy: 16
; WaveLimiterHint : 0
; COMPUTE_PGM_RSRC2:SCRATCH_EN: 0
; COMPUTE_PGM_RSRC2:USER_SGPR: 2
; COMPUTE_PGM_RSRC2:TRAP_HANDLER: 0
; COMPUTE_PGM_RSRC2:TGID_X_EN: 1
; COMPUTE_PGM_RSRC2:TGID_Y_EN: 0
; COMPUTE_PGM_RSRC2:TGID_Z_EN: 0
; COMPUTE_PGM_RSRC2:TIDIG_COMP_CNT: 0
	.section	.text._ZN7rocprim17ROCPRIM_400000_NS6detail17trampoline_kernelINS0_14default_configENS1_25partition_config_selectorILNS1_17partition_subalgoE5EfNS0_10empty_typeEbEEZZNS1_14partition_implILS5_5ELb0ES3_mN6thrust23THRUST_200600_302600_NS6detail15normal_iteratorINSA_10device_ptrIfEEEEPS6_NSA_18transform_iteratorINSB_9not_fun_tINSA_8identityIfEEEESF_NSA_11use_defaultESM_EENS0_5tupleIJSF_S6_EEENSO_IJSG_SG_EEES6_PlJS6_EEE10hipError_tPvRmT3_T4_T5_T6_T7_T9_mT8_P12ihipStream_tbDpT10_ENKUlT_T0_E_clISt17integral_constantIbLb0EES1B_EEDaS16_S17_EUlS16_E_NS1_11comp_targetILNS1_3genE4ELNS1_11target_archE910ELNS1_3gpuE8ELNS1_3repE0EEENS1_30default_config_static_selectorELNS0_4arch9wavefront6targetE0EEEvT1_,"axG",@progbits,_ZN7rocprim17ROCPRIM_400000_NS6detail17trampoline_kernelINS0_14default_configENS1_25partition_config_selectorILNS1_17partition_subalgoE5EfNS0_10empty_typeEbEEZZNS1_14partition_implILS5_5ELb0ES3_mN6thrust23THRUST_200600_302600_NS6detail15normal_iteratorINSA_10device_ptrIfEEEEPS6_NSA_18transform_iteratorINSB_9not_fun_tINSA_8identityIfEEEESF_NSA_11use_defaultESM_EENS0_5tupleIJSF_S6_EEENSO_IJSG_SG_EEES6_PlJS6_EEE10hipError_tPvRmT3_T4_T5_T6_T7_T9_mT8_P12ihipStream_tbDpT10_ENKUlT_T0_E_clISt17integral_constantIbLb0EES1B_EEDaS16_S17_EUlS16_E_NS1_11comp_targetILNS1_3genE4ELNS1_11target_archE910ELNS1_3gpuE8ELNS1_3repE0EEENS1_30default_config_static_selectorELNS0_4arch9wavefront6targetE0EEEvT1_,comdat
	.protected	_ZN7rocprim17ROCPRIM_400000_NS6detail17trampoline_kernelINS0_14default_configENS1_25partition_config_selectorILNS1_17partition_subalgoE5EfNS0_10empty_typeEbEEZZNS1_14partition_implILS5_5ELb0ES3_mN6thrust23THRUST_200600_302600_NS6detail15normal_iteratorINSA_10device_ptrIfEEEEPS6_NSA_18transform_iteratorINSB_9not_fun_tINSA_8identityIfEEEESF_NSA_11use_defaultESM_EENS0_5tupleIJSF_S6_EEENSO_IJSG_SG_EEES6_PlJS6_EEE10hipError_tPvRmT3_T4_T5_T6_T7_T9_mT8_P12ihipStream_tbDpT10_ENKUlT_T0_E_clISt17integral_constantIbLb0EES1B_EEDaS16_S17_EUlS16_E_NS1_11comp_targetILNS1_3genE4ELNS1_11target_archE910ELNS1_3gpuE8ELNS1_3repE0EEENS1_30default_config_static_selectorELNS0_4arch9wavefront6targetE0EEEvT1_ ; -- Begin function _ZN7rocprim17ROCPRIM_400000_NS6detail17trampoline_kernelINS0_14default_configENS1_25partition_config_selectorILNS1_17partition_subalgoE5EfNS0_10empty_typeEbEEZZNS1_14partition_implILS5_5ELb0ES3_mN6thrust23THRUST_200600_302600_NS6detail15normal_iteratorINSA_10device_ptrIfEEEEPS6_NSA_18transform_iteratorINSB_9not_fun_tINSA_8identityIfEEEESF_NSA_11use_defaultESM_EENS0_5tupleIJSF_S6_EEENSO_IJSG_SG_EEES6_PlJS6_EEE10hipError_tPvRmT3_T4_T5_T6_T7_T9_mT8_P12ihipStream_tbDpT10_ENKUlT_T0_E_clISt17integral_constantIbLb0EES1B_EEDaS16_S17_EUlS16_E_NS1_11comp_targetILNS1_3genE4ELNS1_11target_archE910ELNS1_3gpuE8ELNS1_3repE0EEENS1_30default_config_static_selectorELNS0_4arch9wavefront6targetE0EEEvT1_
	.globl	_ZN7rocprim17ROCPRIM_400000_NS6detail17trampoline_kernelINS0_14default_configENS1_25partition_config_selectorILNS1_17partition_subalgoE5EfNS0_10empty_typeEbEEZZNS1_14partition_implILS5_5ELb0ES3_mN6thrust23THRUST_200600_302600_NS6detail15normal_iteratorINSA_10device_ptrIfEEEEPS6_NSA_18transform_iteratorINSB_9not_fun_tINSA_8identityIfEEEESF_NSA_11use_defaultESM_EENS0_5tupleIJSF_S6_EEENSO_IJSG_SG_EEES6_PlJS6_EEE10hipError_tPvRmT3_T4_T5_T6_T7_T9_mT8_P12ihipStream_tbDpT10_ENKUlT_T0_E_clISt17integral_constantIbLb0EES1B_EEDaS16_S17_EUlS16_E_NS1_11comp_targetILNS1_3genE4ELNS1_11target_archE910ELNS1_3gpuE8ELNS1_3repE0EEENS1_30default_config_static_selectorELNS0_4arch9wavefront6targetE0EEEvT1_
	.p2align	8
	.type	_ZN7rocprim17ROCPRIM_400000_NS6detail17trampoline_kernelINS0_14default_configENS1_25partition_config_selectorILNS1_17partition_subalgoE5EfNS0_10empty_typeEbEEZZNS1_14partition_implILS5_5ELb0ES3_mN6thrust23THRUST_200600_302600_NS6detail15normal_iteratorINSA_10device_ptrIfEEEEPS6_NSA_18transform_iteratorINSB_9not_fun_tINSA_8identityIfEEEESF_NSA_11use_defaultESM_EENS0_5tupleIJSF_S6_EEENSO_IJSG_SG_EEES6_PlJS6_EEE10hipError_tPvRmT3_T4_T5_T6_T7_T9_mT8_P12ihipStream_tbDpT10_ENKUlT_T0_E_clISt17integral_constantIbLb0EES1B_EEDaS16_S17_EUlS16_E_NS1_11comp_targetILNS1_3genE4ELNS1_11target_archE910ELNS1_3gpuE8ELNS1_3repE0EEENS1_30default_config_static_selectorELNS0_4arch9wavefront6targetE0EEEvT1_,@function
_ZN7rocprim17ROCPRIM_400000_NS6detail17trampoline_kernelINS0_14default_configENS1_25partition_config_selectorILNS1_17partition_subalgoE5EfNS0_10empty_typeEbEEZZNS1_14partition_implILS5_5ELb0ES3_mN6thrust23THRUST_200600_302600_NS6detail15normal_iteratorINSA_10device_ptrIfEEEEPS6_NSA_18transform_iteratorINSB_9not_fun_tINSA_8identityIfEEEESF_NSA_11use_defaultESM_EENS0_5tupleIJSF_S6_EEENSO_IJSG_SG_EEES6_PlJS6_EEE10hipError_tPvRmT3_T4_T5_T6_T7_T9_mT8_P12ihipStream_tbDpT10_ENKUlT_T0_E_clISt17integral_constantIbLb0EES1B_EEDaS16_S17_EUlS16_E_NS1_11comp_targetILNS1_3genE4ELNS1_11target_archE910ELNS1_3gpuE8ELNS1_3repE0EEENS1_30default_config_static_selectorELNS0_4arch9wavefront6targetE0EEEvT1_: ; @_ZN7rocprim17ROCPRIM_400000_NS6detail17trampoline_kernelINS0_14default_configENS1_25partition_config_selectorILNS1_17partition_subalgoE5EfNS0_10empty_typeEbEEZZNS1_14partition_implILS5_5ELb0ES3_mN6thrust23THRUST_200600_302600_NS6detail15normal_iteratorINSA_10device_ptrIfEEEEPS6_NSA_18transform_iteratorINSB_9not_fun_tINSA_8identityIfEEEESF_NSA_11use_defaultESM_EENS0_5tupleIJSF_S6_EEENSO_IJSG_SG_EEES6_PlJS6_EEE10hipError_tPvRmT3_T4_T5_T6_T7_T9_mT8_P12ihipStream_tbDpT10_ENKUlT_T0_E_clISt17integral_constantIbLb0EES1B_EEDaS16_S17_EUlS16_E_NS1_11comp_targetILNS1_3genE4ELNS1_11target_archE910ELNS1_3gpuE8ELNS1_3repE0EEENS1_30default_config_static_selectorELNS0_4arch9wavefront6targetE0EEEvT1_
; %bb.0:
	.section	.rodata,"a",@progbits
	.p2align	6, 0x0
	.amdhsa_kernel _ZN7rocprim17ROCPRIM_400000_NS6detail17trampoline_kernelINS0_14default_configENS1_25partition_config_selectorILNS1_17partition_subalgoE5EfNS0_10empty_typeEbEEZZNS1_14partition_implILS5_5ELb0ES3_mN6thrust23THRUST_200600_302600_NS6detail15normal_iteratorINSA_10device_ptrIfEEEEPS6_NSA_18transform_iteratorINSB_9not_fun_tINSA_8identityIfEEEESF_NSA_11use_defaultESM_EENS0_5tupleIJSF_S6_EEENSO_IJSG_SG_EEES6_PlJS6_EEE10hipError_tPvRmT3_T4_T5_T6_T7_T9_mT8_P12ihipStream_tbDpT10_ENKUlT_T0_E_clISt17integral_constantIbLb0EES1B_EEDaS16_S17_EUlS16_E_NS1_11comp_targetILNS1_3genE4ELNS1_11target_archE910ELNS1_3gpuE8ELNS1_3repE0EEENS1_30default_config_static_selectorELNS0_4arch9wavefront6targetE0EEEvT1_
		.amdhsa_group_segment_fixed_size 0
		.amdhsa_private_segment_fixed_size 0
		.amdhsa_kernarg_size 120
		.amdhsa_user_sgpr_count 2
		.amdhsa_user_sgpr_dispatch_ptr 0
		.amdhsa_user_sgpr_queue_ptr 0
		.amdhsa_user_sgpr_kernarg_segment_ptr 1
		.amdhsa_user_sgpr_dispatch_id 0
		.amdhsa_user_sgpr_private_segment_size 0
		.amdhsa_wavefront_size32 1
		.amdhsa_uses_dynamic_stack 0
		.amdhsa_enable_private_segment 0
		.amdhsa_system_sgpr_workgroup_id_x 1
		.amdhsa_system_sgpr_workgroup_id_y 0
		.amdhsa_system_sgpr_workgroup_id_z 0
		.amdhsa_system_sgpr_workgroup_info 0
		.amdhsa_system_vgpr_workitem_id 0
		.amdhsa_next_free_vgpr 1
		.amdhsa_next_free_sgpr 1
		.amdhsa_reserve_vcc 0
		.amdhsa_float_round_mode_32 0
		.amdhsa_float_round_mode_16_64 0
		.amdhsa_float_denorm_mode_32 3
		.amdhsa_float_denorm_mode_16_64 3
		.amdhsa_fp16_overflow 0
		.amdhsa_workgroup_processor_mode 1
		.amdhsa_memory_ordered 1
		.amdhsa_forward_progress 1
		.amdhsa_inst_pref_size 0
		.amdhsa_round_robin_scheduling 0
		.amdhsa_exception_fp_ieee_invalid_op 0
		.amdhsa_exception_fp_denorm_src 0
		.amdhsa_exception_fp_ieee_div_zero 0
		.amdhsa_exception_fp_ieee_overflow 0
		.amdhsa_exception_fp_ieee_underflow 0
		.amdhsa_exception_fp_ieee_inexact 0
		.amdhsa_exception_int_div_zero 0
	.end_amdhsa_kernel
	.section	.text._ZN7rocprim17ROCPRIM_400000_NS6detail17trampoline_kernelINS0_14default_configENS1_25partition_config_selectorILNS1_17partition_subalgoE5EfNS0_10empty_typeEbEEZZNS1_14partition_implILS5_5ELb0ES3_mN6thrust23THRUST_200600_302600_NS6detail15normal_iteratorINSA_10device_ptrIfEEEEPS6_NSA_18transform_iteratorINSB_9not_fun_tINSA_8identityIfEEEESF_NSA_11use_defaultESM_EENS0_5tupleIJSF_S6_EEENSO_IJSG_SG_EEES6_PlJS6_EEE10hipError_tPvRmT3_T4_T5_T6_T7_T9_mT8_P12ihipStream_tbDpT10_ENKUlT_T0_E_clISt17integral_constantIbLb0EES1B_EEDaS16_S17_EUlS16_E_NS1_11comp_targetILNS1_3genE4ELNS1_11target_archE910ELNS1_3gpuE8ELNS1_3repE0EEENS1_30default_config_static_selectorELNS0_4arch9wavefront6targetE0EEEvT1_,"axG",@progbits,_ZN7rocprim17ROCPRIM_400000_NS6detail17trampoline_kernelINS0_14default_configENS1_25partition_config_selectorILNS1_17partition_subalgoE5EfNS0_10empty_typeEbEEZZNS1_14partition_implILS5_5ELb0ES3_mN6thrust23THRUST_200600_302600_NS6detail15normal_iteratorINSA_10device_ptrIfEEEEPS6_NSA_18transform_iteratorINSB_9not_fun_tINSA_8identityIfEEEESF_NSA_11use_defaultESM_EENS0_5tupleIJSF_S6_EEENSO_IJSG_SG_EEES6_PlJS6_EEE10hipError_tPvRmT3_T4_T5_T6_T7_T9_mT8_P12ihipStream_tbDpT10_ENKUlT_T0_E_clISt17integral_constantIbLb0EES1B_EEDaS16_S17_EUlS16_E_NS1_11comp_targetILNS1_3genE4ELNS1_11target_archE910ELNS1_3gpuE8ELNS1_3repE0EEENS1_30default_config_static_selectorELNS0_4arch9wavefront6targetE0EEEvT1_,comdat
.Lfunc_end823:
	.size	_ZN7rocprim17ROCPRIM_400000_NS6detail17trampoline_kernelINS0_14default_configENS1_25partition_config_selectorILNS1_17partition_subalgoE5EfNS0_10empty_typeEbEEZZNS1_14partition_implILS5_5ELb0ES3_mN6thrust23THRUST_200600_302600_NS6detail15normal_iteratorINSA_10device_ptrIfEEEEPS6_NSA_18transform_iteratorINSB_9not_fun_tINSA_8identityIfEEEESF_NSA_11use_defaultESM_EENS0_5tupleIJSF_S6_EEENSO_IJSG_SG_EEES6_PlJS6_EEE10hipError_tPvRmT3_T4_T5_T6_T7_T9_mT8_P12ihipStream_tbDpT10_ENKUlT_T0_E_clISt17integral_constantIbLb0EES1B_EEDaS16_S17_EUlS16_E_NS1_11comp_targetILNS1_3genE4ELNS1_11target_archE910ELNS1_3gpuE8ELNS1_3repE0EEENS1_30default_config_static_selectorELNS0_4arch9wavefront6targetE0EEEvT1_, .Lfunc_end823-_ZN7rocprim17ROCPRIM_400000_NS6detail17trampoline_kernelINS0_14default_configENS1_25partition_config_selectorILNS1_17partition_subalgoE5EfNS0_10empty_typeEbEEZZNS1_14partition_implILS5_5ELb0ES3_mN6thrust23THRUST_200600_302600_NS6detail15normal_iteratorINSA_10device_ptrIfEEEEPS6_NSA_18transform_iteratorINSB_9not_fun_tINSA_8identityIfEEEESF_NSA_11use_defaultESM_EENS0_5tupleIJSF_S6_EEENSO_IJSG_SG_EEES6_PlJS6_EEE10hipError_tPvRmT3_T4_T5_T6_T7_T9_mT8_P12ihipStream_tbDpT10_ENKUlT_T0_E_clISt17integral_constantIbLb0EES1B_EEDaS16_S17_EUlS16_E_NS1_11comp_targetILNS1_3genE4ELNS1_11target_archE910ELNS1_3gpuE8ELNS1_3repE0EEENS1_30default_config_static_selectorELNS0_4arch9wavefront6targetE0EEEvT1_
                                        ; -- End function
	.set _ZN7rocprim17ROCPRIM_400000_NS6detail17trampoline_kernelINS0_14default_configENS1_25partition_config_selectorILNS1_17partition_subalgoE5EfNS0_10empty_typeEbEEZZNS1_14partition_implILS5_5ELb0ES3_mN6thrust23THRUST_200600_302600_NS6detail15normal_iteratorINSA_10device_ptrIfEEEEPS6_NSA_18transform_iteratorINSB_9not_fun_tINSA_8identityIfEEEESF_NSA_11use_defaultESM_EENS0_5tupleIJSF_S6_EEENSO_IJSG_SG_EEES6_PlJS6_EEE10hipError_tPvRmT3_T4_T5_T6_T7_T9_mT8_P12ihipStream_tbDpT10_ENKUlT_T0_E_clISt17integral_constantIbLb0EES1B_EEDaS16_S17_EUlS16_E_NS1_11comp_targetILNS1_3genE4ELNS1_11target_archE910ELNS1_3gpuE8ELNS1_3repE0EEENS1_30default_config_static_selectorELNS0_4arch9wavefront6targetE0EEEvT1_.num_vgpr, 0
	.set _ZN7rocprim17ROCPRIM_400000_NS6detail17trampoline_kernelINS0_14default_configENS1_25partition_config_selectorILNS1_17partition_subalgoE5EfNS0_10empty_typeEbEEZZNS1_14partition_implILS5_5ELb0ES3_mN6thrust23THRUST_200600_302600_NS6detail15normal_iteratorINSA_10device_ptrIfEEEEPS6_NSA_18transform_iteratorINSB_9not_fun_tINSA_8identityIfEEEESF_NSA_11use_defaultESM_EENS0_5tupleIJSF_S6_EEENSO_IJSG_SG_EEES6_PlJS6_EEE10hipError_tPvRmT3_T4_T5_T6_T7_T9_mT8_P12ihipStream_tbDpT10_ENKUlT_T0_E_clISt17integral_constantIbLb0EES1B_EEDaS16_S17_EUlS16_E_NS1_11comp_targetILNS1_3genE4ELNS1_11target_archE910ELNS1_3gpuE8ELNS1_3repE0EEENS1_30default_config_static_selectorELNS0_4arch9wavefront6targetE0EEEvT1_.num_agpr, 0
	.set _ZN7rocprim17ROCPRIM_400000_NS6detail17trampoline_kernelINS0_14default_configENS1_25partition_config_selectorILNS1_17partition_subalgoE5EfNS0_10empty_typeEbEEZZNS1_14partition_implILS5_5ELb0ES3_mN6thrust23THRUST_200600_302600_NS6detail15normal_iteratorINSA_10device_ptrIfEEEEPS6_NSA_18transform_iteratorINSB_9not_fun_tINSA_8identityIfEEEESF_NSA_11use_defaultESM_EENS0_5tupleIJSF_S6_EEENSO_IJSG_SG_EEES6_PlJS6_EEE10hipError_tPvRmT3_T4_T5_T6_T7_T9_mT8_P12ihipStream_tbDpT10_ENKUlT_T0_E_clISt17integral_constantIbLb0EES1B_EEDaS16_S17_EUlS16_E_NS1_11comp_targetILNS1_3genE4ELNS1_11target_archE910ELNS1_3gpuE8ELNS1_3repE0EEENS1_30default_config_static_selectorELNS0_4arch9wavefront6targetE0EEEvT1_.numbered_sgpr, 0
	.set _ZN7rocprim17ROCPRIM_400000_NS6detail17trampoline_kernelINS0_14default_configENS1_25partition_config_selectorILNS1_17partition_subalgoE5EfNS0_10empty_typeEbEEZZNS1_14partition_implILS5_5ELb0ES3_mN6thrust23THRUST_200600_302600_NS6detail15normal_iteratorINSA_10device_ptrIfEEEEPS6_NSA_18transform_iteratorINSB_9not_fun_tINSA_8identityIfEEEESF_NSA_11use_defaultESM_EENS0_5tupleIJSF_S6_EEENSO_IJSG_SG_EEES6_PlJS6_EEE10hipError_tPvRmT3_T4_T5_T6_T7_T9_mT8_P12ihipStream_tbDpT10_ENKUlT_T0_E_clISt17integral_constantIbLb0EES1B_EEDaS16_S17_EUlS16_E_NS1_11comp_targetILNS1_3genE4ELNS1_11target_archE910ELNS1_3gpuE8ELNS1_3repE0EEENS1_30default_config_static_selectorELNS0_4arch9wavefront6targetE0EEEvT1_.num_named_barrier, 0
	.set _ZN7rocprim17ROCPRIM_400000_NS6detail17trampoline_kernelINS0_14default_configENS1_25partition_config_selectorILNS1_17partition_subalgoE5EfNS0_10empty_typeEbEEZZNS1_14partition_implILS5_5ELb0ES3_mN6thrust23THRUST_200600_302600_NS6detail15normal_iteratorINSA_10device_ptrIfEEEEPS6_NSA_18transform_iteratorINSB_9not_fun_tINSA_8identityIfEEEESF_NSA_11use_defaultESM_EENS0_5tupleIJSF_S6_EEENSO_IJSG_SG_EEES6_PlJS6_EEE10hipError_tPvRmT3_T4_T5_T6_T7_T9_mT8_P12ihipStream_tbDpT10_ENKUlT_T0_E_clISt17integral_constantIbLb0EES1B_EEDaS16_S17_EUlS16_E_NS1_11comp_targetILNS1_3genE4ELNS1_11target_archE910ELNS1_3gpuE8ELNS1_3repE0EEENS1_30default_config_static_selectorELNS0_4arch9wavefront6targetE0EEEvT1_.private_seg_size, 0
	.set _ZN7rocprim17ROCPRIM_400000_NS6detail17trampoline_kernelINS0_14default_configENS1_25partition_config_selectorILNS1_17partition_subalgoE5EfNS0_10empty_typeEbEEZZNS1_14partition_implILS5_5ELb0ES3_mN6thrust23THRUST_200600_302600_NS6detail15normal_iteratorINSA_10device_ptrIfEEEEPS6_NSA_18transform_iteratorINSB_9not_fun_tINSA_8identityIfEEEESF_NSA_11use_defaultESM_EENS0_5tupleIJSF_S6_EEENSO_IJSG_SG_EEES6_PlJS6_EEE10hipError_tPvRmT3_T4_T5_T6_T7_T9_mT8_P12ihipStream_tbDpT10_ENKUlT_T0_E_clISt17integral_constantIbLb0EES1B_EEDaS16_S17_EUlS16_E_NS1_11comp_targetILNS1_3genE4ELNS1_11target_archE910ELNS1_3gpuE8ELNS1_3repE0EEENS1_30default_config_static_selectorELNS0_4arch9wavefront6targetE0EEEvT1_.uses_vcc, 0
	.set _ZN7rocprim17ROCPRIM_400000_NS6detail17trampoline_kernelINS0_14default_configENS1_25partition_config_selectorILNS1_17partition_subalgoE5EfNS0_10empty_typeEbEEZZNS1_14partition_implILS5_5ELb0ES3_mN6thrust23THRUST_200600_302600_NS6detail15normal_iteratorINSA_10device_ptrIfEEEEPS6_NSA_18transform_iteratorINSB_9not_fun_tINSA_8identityIfEEEESF_NSA_11use_defaultESM_EENS0_5tupleIJSF_S6_EEENSO_IJSG_SG_EEES6_PlJS6_EEE10hipError_tPvRmT3_T4_T5_T6_T7_T9_mT8_P12ihipStream_tbDpT10_ENKUlT_T0_E_clISt17integral_constantIbLb0EES1B_EEDaS16_S17_EUlS16_E_NS1_11comp_targetILNS1_3genE4ELNS1_11target_archE910ELNS1_3gpuE8ELNS1_3repE0EEENS1_30default_config_static_selectorELNS0_4arch9wavefront6targetE0EEEvT1_.uses_flat_scratch, 0
	.set _ZN7rocprim17ROCPRIM_400000_NS6detail17trampoline_kernelINS0_14default_configENS1_25partition_config_selectorILNS1_17partition_subalgoE5EfNS0_10empty_typeEbEEZZNS1_14partition_implILS5_5ELb0ES3_mN6thrust23THRUST_200600_302600_NS6detail15normal_iteratorINSA_10device_ptrIfEEEEPS6_NSA_18transform_iteratorINSB_9not_fun_tINSA_8identityIfEEEESF_NSA_11use_defaultESM_EENS0_5tupleIJSF_S6_EEENSO_IJSG_SG_EEES6_PlJS6_EEE10hipError_tPvRmT3_T4_T5_T6_T7_T9_mT8_P12ihipStream_tbDpT10_ENKUlT_T0_E_clISt17integral_constantIbLb0EES1B_EEDaS16_S17_EUlS16_E_NS1_11comp_targetILNS1_3genE4ELNS1_11target_archE910ELNS1_3gpuE8ELNS1_3repE0EEENS1_30default_config_static_selectorELNS0_4arch9wavefront6targetE0EEEvT1_.has_dyn_sized_stack, 0
	.set _ZN7rocprim17ROCPRIM_400000_NS6detail17trampoline_kernelINS0_14default_configENS1_25partition_config_selectorILNS1_17partition_subalgoE5EfNS0_10empty_typeEbEEZZNS1_14partition_implILS5_5ELb0ES3_mN6thrust23THRUST_200600_302600_NS6detail15normal_iteratorINSA_10device_ptrIfEEEEPS6_NSA_18transform_iteratorINSB_9not_fun_tINSA_8identityIfEEEESF_NSA_11use_defaultESM_EENS0_5tupleIJSF_S6_EEENSO_IJSG_SG_EEES6_PlJS6_EEE10hipError_tPvRmT3_T4_T5_T6_T7_T9_mT8_P12ihipStream_tbDpT10_ENKUlT_T0_E_clISt17integral_constantIbLb0EES1B_EEDaS16_S17_EUlS16_E_NS1_11comp_targetILNS1_3genE4ELNS1_11target_archE910ELNS1_3gpuE8ELNS1_3repE0EEENS1_30default_config_static_selectorELNS0_4arch9wavefront6targetE0EEEvT1_.has_recursion, 0
	.set _ZN7rocprim17ROCPRIM_400000_NS6detail17trampoline_kernelINS0_14default_configENS1_25partition_config_selectorILNS1_17partition_subalgoE5EfNS0_10empty_typeEbEEZZNS1_14partition_implILS5_5ELb0ES3_mN6thrust23THRUST_200600_302600_NS6detail15normal_iteratorINSA_10device_ptrIfEEEEPS6_NSA_18transform_iteratorINSB_9not_fun_tINSA_8identityIfEEEESF_NSA_11use_defaultESM_EENS0_5tupleIJSF_S6_EEENSO_IJSG_SG_EEES6_PlJS6_EEE10hipError_tPvRmT3_T4_T5_T6_T7_T9_mT8_P12ihipStream_tbDpT10_ENKUlT_T0_E_clISt17integral_constantIbLb0EES1B_EEDaS16_S17_EUlS16_E_NS1_11comp_targetILNS1_3genE4ELNS1_11target_archE910ELNS1_3gpuE8ELNS1_3repE0EEENS1_30default_config_static_selectorELNS0_4arch9wavefront6targetE0EEEvT1_.has_indirect_call, 0
	.section	.AMDGPU.csdata,"",@progbits
; Kernel info:
; codeLenInByte = 0
; TotalNumSgprs: 0
; NumVgprs: 0
; ScratchSize: 0
; MemoryBound: 0
; FloatMode: 240
; IeeeMode: 1
; LDSByteSize: 0 bytes/workgroup (compile time only)
; SGPRBlocks: 0
; VGPRBlocks: 0
; NumSGPRsForWavesPerEU: 1
; NumVGPRsForWavesPerEU: 1
; Occupancy: 16
; WaveLimiterHint : 0
; COMPUTE_PGM_RSRC2:SCRATCH_EN: 0
; COMPUTE_PGM_RSRC2:USER_SGPR: 2
; COMPUTE_PGM_RSRC2:TRAP_HANDLER: 0
; COMPUTE_PGM_RSRC2:TGID_X_EN: 1
; COMPUTE_PGM_RSRC2:TGID_Y_EN: 0
; COMPUTE_PGM_RSRC2:TGID_Z_EN: 0
; COMPUTE_PGM_RSRC2:TIDIG_COMP_CNT: 0
	.section	.text._ZN7rocprim17ROCPRIM_400000_NS6detail17trampoline_kernelINS0_14default_configENS1_25partition_config_selectorILNS1_17partition_subalgoE5EfNS0_10empty_typeEbEEZZNS1_14partition_implILS5_5ELb0ES3_mN6thrust23THRUST_200600_302600_NS6detail15normal_iteratorINSA_10device_ptrIfEEEEPS6_NSA_18transform_iteratorINSB_9not_fun_tINSA_8identityIfEEEESF_NSA_11use_defaultESM_EENS0_5tupleIJSF_S6_EEENSO_IJSG_SG_EEES6_PlJS6_EEE10hipError_tPvRmT3_T4_T5_T6_T7_T9_mT8_P12ihipStream_tbDpT10_ENKUlT_T0_E_clISt17integral_constantIbLb0EES1B_EEDaS16_S17_EUlS16_E_NS1_11comp_targetILNS1_3genE3ELNS1_11target_archE908ELNS1_3gpuE7ELNS1_3repE0EEENS1_30default_config_static_selectorELNS0_4arch9wavefront6targetE0EEEvT1_,"axG",@progbits,_ZN7rocprim17ROCPRIM_400000_NS6detail17trampoline_kernelINS0_14default_configENS1_25partition_config_selectorILNS1_17partition_subalgoE5EfNS0_10empty_typeEbEEZZNS1_14partition_implILS5_5ELb0ES3_mN6thrust23THRUST_200600_302600_NS6detail15normal_iteratorINSA_10device_ptrIfEEEEPS6_NSA_18transform_iteratorINSB_9not_fun_tINSA_8identityIfEEEESF_NSA_11use_defaultESM_EENS0_5tupleIJSF_S6_EEENSO_IJSG_SG_EEES6_PlJS6_EEE10hipError_tPvRmT3_T4_T5_T6_T7_T9_mT8_P12ihipStream_tbDpT10_ENKUlT_T0_E_clISt17integral_constantIbLb0EES1B_EEDaS16_S17_EUlS16_E_NS1_11comp_targetILNS1_3genE3ELNS1_11target_archE908ELNS1_3gpuE7ELNS1_3repE0EEENS1_30default_config_static_selectorELNS0_4arch9wavefront6targetE0EEEvT1_,comdat
	.protected	_ZN7rocprim17ROCPRIM_400000_NS6detail17trampoline_kernelINS0_14default_configENS1_25partition_config_selectorILNS1_17partition_subalgoE5EfNS0_10empty_typeEbEEZZNS1_14partition_implILS5_5ELb0ES3_mN6thrust23THRUST_200600_302600_NS6detail15normal_iteratorINSA_10device_ptrIfEEEEPS6_NSA_18transform_iteratorINSB_9not_fun_tINSA_8identityIfEEEESF_NSA_11use_defaultESM_EENS0_5tupleIJSF_S6_EEENSO_IJSG_SG_EEES6_PlJS6_EEE10hipError_tPvRmT3_T4_T5_T6_T7_T9_mT8_P12ihipStream_tbDpT10_ENKUlT_T0_E_clISt17integral_constantIbLb0EES1B_EEDaS16_S17_EUlS16_E_NS1_11comp_targetILNS1_3genE3ELNS1_11target_archE908ELNS1_3gpuE7ELNS1_3repE0EEENS1_30default_config_static_selectorELNS0_4arch9wavefront6targetE0EEEvT1_ ; -- Begin function _ZN7rocprim17ROCPRIM_400000_NS6detail17trampoline_kernelINS0_14default_configENS1_25partition_config_selectorILNS1_17partition_subalgoE5EfNS0_10empty_typeEbEEZZNS1_14partition_implILS5_5ELb0ES3_mN6thrust23THRUST_200600_302600_NS6detail15normal_iteratorINSA_10device_ptrIfEEEEPS6_NSA_18transform_iteratorINSB_9not_fun_tINSA_8identityIfEEEESF_NSA_11use_defaultESM_EENS0_5tupleIJSF_S6_EEENSO_IJSG_SG_EEES6_PlJS6_EEE10hipError_tPvRmT3_T4_T5_T6_T7_T9_mT8_P12ihipStream_tbDpT10_ENKUlT_T0_E_clISt17integral_constantIbLb0EES1B_EEDaS16_S17_EUlS16_E_NS1_11comp_targetILNS1_3genE3ELNS1_11target_archE908ELNS1_3gpuE7ELNS1_3repE0EEENS1_30default_config_static_selectorELNS0_4arch9wavefront6targetE0EEEvT1_
	.globl	_ZN7rocprim17ROCPRIM_400000_NS6detail17trampoline_kernelINS0_14default_configENS1_25partition_config_selectorILNS1_17partition_subalgoE5EfNS0_10empty_typeEbEEZZNS1_14partition_implILS5_5ELb0ES3_mN6thrust23THRUST_200600_302600_NS6detail15normal_iteratorINSA_10device_ptrIfEEEEPS6_NSA_18transform_iteratorINSB_9not_fun_tINSA_8identityIfEEEESF_NSA_11use_defaultESM_EENS0_5tupleIJSF_S6_EEENSO_IJSG_SG_EEES6_PlJS6_EEE10hipError_tPvRmT3_T4_T5_T6_T7_T9_mT8_P12ihipStream_tbDpT10_ENKUlT_T0_E_clISt17integral_constantIbLb0EES1B_EEDaS16_S17_EUlS16_E_NS1_11comp_targetILNS1_3genE3ELNS1_11target_archE908ELNS1_3gpuE7ELNS1_3repE0EEENS1_30default_config_static_selectorELNS0_4arch9wavefront6targetE0EEEvT1_
	.p2align	8
	.type	_ZN7rocprim17ROCPRIM_400000_NS6detail17trampoline_kernelINS0_14default_configENS1_25partition_config_selectorILNS1_17partition_subalgoE5EfNS0_10empty_typeEbEEZZNS1_14partition_implILS5_5ELb0ES3_mN6thrust23THRUST_200600_302600_NS6detail15normal_iteratorINSA_10device_ptrIfEEEEPS6_NSA_18transform_iteratorINSB_9not_fun_tINSA_8identityIfEEEESF_NSA_11use_defaultESM_EENS0_5tupleIJSF_S6_EEENSO_IJSG_SG_EEES6_PlJS6_EEE10hipError_tPvRmT3_T4_T5_T6_T7_T9_mT8_P12ihipStream_tbDpT10_ENKUlT_T0_E_clISt17integral_constantIbLb0EES1B_EEDaS16_S17_EUlS16_E_NS1_11comp_targetILNS1_3genE3ELNS1_11target_archE908ELNS1_3gpuE7ELNS1_3repE0EEENS1_30default_config_static_selectorELNS0_4arch9wavefront6targetE0EEEvT1_,@function
_ZN7rocprim17ROCPRIM_400000_NS6detail17trampoline_kernelINS0_14default_configENS1_25partition_config_selectorILNS1_17partition_subalgoE5EfNS0_10empty_typeEbEEZZNS1_14partition_implILS5_5ELb0ES3_mN6thrust23THRUST_200600_302600_NS6detail15normal_iteratorINSA_10device_ptrIfEEEEPS6_NSA_18transform_iteratorINSB_9not_fun_tINSA_8identityIfEEEESF_NSA_11use_defaultESM_EENS0_5tupleIJSF_S6_EEENSO_IJSG_SG_EEES6_PlJS6_EEE10hipError_tPvRmT3_T4_T5_T6_T7_T9_mT8_P12ihipStream_tbDpT10_ENKUlT_T0_E_clISt17integral_constantIbLb0EES1B_EEDaS16_S17_EUlS16_E_NS1_11comp_targetILNS1_3genE3ELNS1_11target_archE908ELNS1_3gpuE7ELNS1_3repE0EEENS1_30default_config_static_selectorELNS0_4arch9wavefront6targetE0EEEvT1_: ; @_ZN7rocprim17ROCPRIM_400000_NS6detail17trampoline_kernelINS0_14default_configENS1_25partition_config_selectorILNS1_17partition_subalgoE5EfNS0_10empty_typeEbEEZZNS1_14partition_implILS5_5ELb0ES3_mN6thrust23THRUST_200600_302600_NS6detail15normal_iteratorINSA_10device_ptrIfEEEEPS6_NSA_18transform_iteratorINSB_9not_fun_tINSA_8identityIfEEEESF_NSA_11use_defaultESM_EENS0_5tupleIJSF_S6_EEENSO_IJSG_SG_EEES6_PlJS6_EEE10hipError_tPvRmT3_T4_T5_T6_T7_T9_mT8_P12ihipStream_tbDpT10_ENKUlT_T0_E_clISt17integral_constantIbLb0EES1B_EEDaS16_S17_EUlS16_E_NS1_11comp_targetILNS1_3genE3ELNS1_11target_archE908ELNS1_3gpuE7ELNS1_3repE0EEENS1_30default_config_static_selectorELNS0_4arch9wavefront6targetE0EEEvT1_
; %bb.0:
	.section	.rodata,"a",@progbits
	.p2align	6, 0x0
	.amdhsa_kernel _ZN7rocprim17ROCPRIM_400000_NS6detail17trampoline_kernelINS0_14default_configENS1_25partition_config_selectorILNS1_17partition_subalgoE5EfNS0_10empty_typeEbEEZZNS1_14partition_implILS5_5ELb0ES3_mN6thrust23THRUST_200600_302600_NS6detail15normal_iteratorINSA_10device_ptrIfEEEEPS6_NSA_18transform_iteratorINSB_9not_fun_tINSA_8identityIfEEEESF_NSA_11use_defaultESM_EENS0_5tupleIJSF_S6_EEENSO_IJSG_SG_EEES6_PlJS6_EEE10hipError_tPvRmT3_T4_T5_T6_T7_T9_mT8_P12ihipStream_tbDpT10_ENKUlT_T0_E_clISt17integral_constantIbLb0EES1B_EEDaS16_S17_EUlS16_E_NS1_11comp_targetILNS1_3genE3ELNS1_11target_archE908ELNS1_3gpuE7ELNS1_3repE0EEENS1_30default_config_static_selectorELNS0_4arch9wavefront6targetE0EEEvT1_
		.amdhsa_group_segment_fixed_size 0
		.amdhsa_private_segment_fixed_size 0
		.amdhsa_kernarg_size 120
		.amdhsa_user_sgpr_count 2
		.amdhsa_user_sgpr_dispatch_ptr 0
		.amdhsa_user_sgpr_queue_ptr 0
		.amdhsa_user_sgpr_kernarg_segment_ptr 1
		.amdhsa_user_sgpr_dispatch_id 0
		.amdhsa_user_sgpr_private_segment_size 0
		.amdhsa_wavefront_size32 1
		.amdhsa_uses_dynamic_stack 0
		.amdhsa_enable_private_segment 0
		.amdhsa_system_sgpr_workgroup_id_x 1
		.amdhsa_system_sgpr_workgroup_id_y 0
		.amdhsa_system_sgpr_workgroup_id_z 0
		.amdhsa_system_sgpr_workgroup_info 0
		.amdhsa_system_vgpr_workitem_id 0
		.amdhsa_next_free_vgpr 1
		.amdhsa_next_free_sgpr 1
		.amdhsa_reserve_vcc 0
		.amdhsa_float_round_mode_32 0
		.amdhsa_float_round_mode_16_64 0
		.amdhsa_float_denorm_mode_32 3
		.amdhsa_float_denorm_mode_16_64 3
		.amdhsa_fp16_overflow 0
		.amdhsa_workgroup_processor_mode 1
		.amdhsa_memory_ordered 1
		.amdhsa_forward_progress 1
		.amdhsa_inst_pref_size 0
		.amdhsa_round_robin_scheduling 0
		.amdhsa_exception_fp_ieee_invalid_op 0
		.amdhsa_exception_fp_denorm_src 0
		.amdhsa_exception_fp_ieee_div_zero 0
		.amdhsa_exception_fp_ieee_overflow 0
		.amdhsa_exception_fp_ieee_underflow 0
		.amdhsa_exception_fp_ieee_inexact 0
		.amdhsa_exception_int_div_zero 0
	.end_amdhsa_kernel
	.section	.text._ZN7rocprim17ROCPRIM_400000_NS6detail17trampoline_kernelINS0_14default_configENS1_25partition_config_selectorILNS1_17partition_subalgoE5EfNS0_10empty_typeEbEEZZNS1_14partition_implILS5_5ELb0ES3_mN6thrust23THRUST_200600_302600_NS6detail15normal_iteratorINSA_10device_ptrIfEEEEPS6_NSA_18transform_iteratorINSB_9not_fun_tINSA_8identityIfEEEESF_NSA_11use_defaultESM_EENS0_5tupleIJSF_S6_EEENSO_IJSG_SG_EEES6_PlJS6_EEE10hipError_tPvRmT3_T4_T5_T6_T7_T9_mT8_P12ihipStream_tbDpT10_ENKUlT_T0_E_clISt17integral_constantIbLb0EES1B_EEDaS16_S17_EUlS16_E_NS1_11comp_targetILNS1_3genE3ELNS1_11target_archE908ELNS1_3gpuE7ELNS1_3repE0EEENS1_30default_config_static_selectorELNS0_4arch9wavefront6targetE0EEEvT1_,"axG",@progbits,_ZN7rocprim17ROCPRIM_400000_NS6detail17trampoline_kernelINS0_14default_configENS1_25partition_config_selectorILNS1_17partition_subalgoE5EfNS0_10empty_typeEbEEZZNS1_14partition_implILS5_5ELb0ES3_mN6thrust23THRUST_200600_302600_NS6detail15normal_iteratorINSA_10device_ptrIfEEEEPS6_NSA_18transform_iteratorINSB_9not_fun_tINSA_8identityIfEEEESF_NSA_11use_defaultESM_EENS0_5tupleIJSF_S6_EEENSO_IJSG_SG_EEES6_PlJS6_EEE10hipError_tPvRmT3_T4_T5_T6_T7_T9_mT8_P12ihipStream_tbDpT10_ENKUlT_T0_E_clISt17integral_constantIbLb0EES1B_EEDaS16_S17_EUlS16_E_NS1_11comp_targetILNS1_3genE3ELNS1_11target_archE908ELNS1_3gpuE7ELNS1_3repE0EEENS1_30default_config_static_selectorELNS0_4arch9wavefront6targetE0EEEvT1_,comdat
.Lfunc_end824:
	.size	_ZN7rocprim17ROCPRIM_400000_NS6detail17trampoline_kernelINS0_14default_configENS1_25partition_config_selectorILNS1_17partition_subalgoE5EfNS0_10empty_typeEbEEZZNS1_14partition_implILS5_5ELb0ES3_mN6thrust23THRUST_200600_302600_NS6detail15normal_iteratorINSA_10device_ptrIfEEEEPS6_NSA_18transform_iteratorINSB_9not_fun_tINSA_8identityIfEEEESF_NSA_11use_defaultESM_EENS0_5tupleIJSF_S6_EEENSO_IJSG_SG_EEES6_PlJS6_EEE10hipError_tPvRmT3_T4_T5_T6_T7_T9_mT8_P12ihipStream_tbDpT10_ENKUlT_T0_E_clISt17integral_constantIbLb0EES1B_EEDaS16_S17_EUlS16_E_NS1_11comp_targetILNS1_3genE3ELNS1_11target_archE908ELNS1_3gpuE7ELNS1_3repE0EEENS1_30default_config_static_selectorELNS0_4arch9wavefront6targetE0EEEvT1_, .Lfunc_end824-_ZN7rocprim17ROCPRIM_400000_NS6detail17trampoline_kernelINS0_14default_configENS1_25partition_config_selectorILNS1_17partition_subalgoE5EfNS0_10empty_typeEbEEZZNS1_14partition_implILS5_5ELb0ES3_mN6thrust23THRUST_200600_302600_NS6detail15normal_iteratorINSA_10device_ptrIfEEEEPS6_NSA_18transform_iteratorINSB_9not_fun_tINSA_8identityIfEEEESF_NSA_11use_defaultESM_EENS0_5tupleIJSF_S6_EEENSO_IJSG_SG_EEES6_PlJS6_EEE10hipError_tPvRmT3_T4_T5_T6_T7_T9_mT8_P12ihipStream_tbDpT10_ENKUlT_T0_E_clISt17integral_constantIbLb0EES1B_EEDaS16_S17_EUlS16_E_NS1_11comp_targetILNS1_3genE3ELNS1_11target_archE908ELNS1_3gpuE7ELNS1_3repE0EEENS1_30default_config_static_selectorELNS0_4arch9wavefront6targetE0EEEvT1_
                                        ; -- End function
	.set _ZN7rocprim17ROCPRIM_400000_NS6detail17trampoline_kernelINS0_14default_configENS1_25partition_config_selectorILNS1_17partition_subalgoE5EfNS0_10empty_typeEbEEZZNS1_14partition_implILS5_5ELb0ES3_mN6thrust23THRUST_200600_302600_NS6detail15normal_iteratorINSA_10device_ptrIfEEEEPS6_NSA_18transform_iteratorINSB_9not_fun_tINSA_8identityIfEEEESF_NSA_11use_defaultESM_EENS0_5tupleIJSF_S6_EEENSO_IJSG_SG_EEES6_PlJS6_EEE10hipError_tPvRmT3_T4_T5_T6_T7_T9_mT8_P12ihipStream_tbDpT10_ENKUlT_T0_E_clISt17integral_constantIbLb0EES1B_EEDaS16_S17_EUlS16_E_NS1_11comp_targetILNS1_3genE3ELNS1_11target_archE908ELNS1_3gpuE7ELNS1_3repE0EEENS1_30default_config_static_selectorELNS0_4arch9wavefront6targetE0EEEvT1_.num_vgpr, 0
	.set _ZN7rocprim17ROCPRIM_400000_NS6detail17trampoline_kernelINS0_14default_configENS1_25partition_config_selectorILNS1_17partition_subalgoE5EfNS0_10empty_typeEbEEZZNS1_14partition_implILS5_5ELb0ES3_mN6thrust23THRUST_200600_302600_NS6detail15normal_iteratorINSA_10device_ptrIfEEEEPS6_NSA_18transform_iteratorINSB_9not_fun_tINSA_8identityIfEEEESF_NSA_11use_defaultESM_EENS0_5tupleIJSF_S6_EEENSO_IJSG_SG_EEES6_PlJS6_EEE10hipError_tPvRmT3_T4_T5_T6_T7_T9_mT8_P12ihipStream_tbDpT10_ENKUlT_T0_E_clISt17integral_constantIbLb0EES1B_EEDaS16_S17_EUlS16_E_NS1_11comp_targetILNS1_3genE3ELNS1_11target_archE908ELNS1_3gpuE7ELNS1_3repE0EEENS1_30default_config_static_selectorELNS0_4arch9wavefront6targetE0EEEvT1_.num_agpr, 0
	.set _ZN7rocprim17ROCPRIM_400000_NS6detail17trampoline_kernelINS0_14default_configENS1_25partition_config_selectorILNS1_17partition_subalgoE5EfNS0_10empty_typeEbEEZZNS1_14partition_implILS5_5ELb0ES3_mN6thrust23THRUST_200600_302600_NS6detail15normal_iteratorINSA_10device_ptrIfEEEEPS6_NSA_18transform_iteratorINSB_9not_fun_tINSA_8identityIfEEEESF_NSA_11use_defaultESM_EENS0_5tupleIJSF_S6_EEENSO_IJSG_SG_EEES6_PlJS6_EEE10hipError_tPvRmT3_T4_T5_T6_T7_T9_mT8_P12ihipStream_tbDpT10_ENKUlT_T0_E_clISt17integral_constantIbLb0EES1B_EEDaS16_S17_EUlS16_E_NS1_11comp_targetILNS1_3genE3ELNS1_11target_archE908ELNS1_3gpuE7ELNS1_3repE0EEENS1_30default_config_static_selectorELNS0_4arch9wavefront6targetE0EEEvT1_.numbered_sgpr, 0
	.set _ZN7rocprim17ROCPRIM_400000_NS6detail17trampoline_kernelINS0_14default_configENS1_25partition_config_selectorILNS1_17partition_subalgoE5EfNS0_10empty_typeEbEEZZNS1_14partition_implILS5_5ELb0ES3_mN6thrust23THRUST_200600_302600_NS6detail15normal_iteratorINSA_10device_ptrIfEEEEPS6_NSA_18transform_iteratorINSB_9not_fun_tINSA_8identityIfEEEESF_NSA_11use_defaultESM_EENS0_5tupleIJSF_S6_EEENSO_IJSG_SG_EEES6_PlJS6_EEE10hipError_tPvRmT3_T4_T5_T6_T7_T9_mT8_P12ihipStream_tbDpT10_ENKUlT_T0_E_clISt17integral_constantIbLb0EES1B_EEDaS16_S17_EUlS16_E_NS1_11comp_targetILNS1_3genE3ELNS1_11target_archE908ELNS1_3gpuE7ELNS1_3repE0EEENS1_30default_config_static_selectorELNS0_4arch9wavefront6targetE0EEEvT1_.num_named_barrier, 0
	.set _ZN7rocprim17ROCPRIM_400000_NS6detail17trampoline_kernelINS0_14default_configENS1_25partition_config_selectorILNS1_17partition_subalgoE5EfNS0_10empty_typeEbEEZZNS1_14partition_implILS5_5ELb0ES3_mN6thrust23THRUST_200600_302600_NS6detail15normal_iteratorINSA_10device_ptrIfEEEEPS6_NSA_18transform_iteratorINSB_9not_fun_tINSA_8identityIfEEEESF_NSA_11use_defaultESM_EENS0_5tupleIJSF_S6_EEENSO_IJSG_SG_EEES6_PlJS6_EEE10hipError_tPvRmT3_T4_T5_T6_T7_T9_mT8_P12ihipStream_tbDpT10_ENKUlT_T0_E_clISt17integral_constantIbLb0EES1B_EEDaS16_S17_EUlS16_E_NS1_11comp_targetILNS1_3genE3ELNS1_11target_archE908ELNS1_3gpuE7ELNS1_3repE0EEENS1_30default_config_static_selectorELNS0_4arch9wavefront6targetE0EEEvT1_.private_seg_size, 0
	.set _ZN7rocprim17ROCPRIM_400000_NS6detail17trampoline_kernelINS0_14default_configENS1_25partition_config_selectorILNS1_17partition_subalgoE5EfNS0_10empty_typeEbEEZZNS1_14partition_implILS5_5ELb0ES3_mN6thrust23THRUST_200600_302600_NS6detail15normal_iteratorINSA_10device_ptrIfEEEEPS6_NSA_18transform_iteratorINSB_9not_fun_tINSA_8identityIfEEEESF_NSA_11use_defaultESM_EENS0_5tupleIJSF_S6_EEENSO_IJSG_SG_EEES6_PlJS6_EEE10hipError_tPvRmT3_T4_T5_T6_T7_T9_mT8_P12ihipStream_tbDpT10_ENKUlT_T0_E_clISt17integral_constantIbLb0EES1B_EEDaS16_S17_EUlS16_E_NS1_11comp_targetILNS1_3genE3ELNS1_11target_archE908ELNS1_3gpuE7ELNS1_3repE0EEENS1_30default_config_static_selectorELNS0_4arch9wavefront6targetE0EEEvT1_.uses_vcc, 0
	.set _ZN7rocprim17ROCPRIM_400000_NS6detail17trampoline_kernelINS0_14default_configENS1_25partition_config_selectorILNS1_17partition_subalgoE5EfNS0_10empty_typeEbEEZZNS1_14partition_implILS5_5ELb0ES3_mN6thrust23THRUST_200600_302600_NS6detail15normal_iteratorINSA_10device_ptrIfEEEEPS6_NSA_18transform_iteratorINSB_9not_fun_tINSA_8identityIfEEEESF_NSA_11use_defaultESM_EENS0_5tupleIJSF_S6_EEENSO_IJSG_SG_EEES6_PlJS6_EEE10hipError_tPvRmT3_T4_T5_T6_T7_T9_mT8_P12ihipStream_tbDpT10_ENKUlT_T0_E_clISt17integral_constantIbLb0EES1B_EEDaS16_S17_EUlS16_E_NS1_11comp_targetILNS1_3genE3ELNS1_11target_archE908ELNS1_3gpuE7ELNS1_3repE0EEENS1_30default_config_static_selectorELNS0_4arch9wavefront6targetE0EEEvT1_.uses_flat_scratch, 0
	.set _ZN7rocprim17ROCPRIM_400000_NS6detail17trampoline_kernelINS0_14default_configENS1_25partition_config_selectorILNS1_17partition_subalgoE5EfNS0_10empty_typeEbEEZZNS1_14partition_implILS5_5ELb0ES3_mN6thrust23THRUST_200600_302600_NS6detail15normal_iteratorINSA_10device_ptrIfEEEEPS6_NSA_18transform_iteratorINSB_9not_fun_tINSA_8identityIfEEEESF_NSA_11use_defaultESM_EENS0_5tupleIJSF_S6_EEENSO_IJSG_SG_EEES6_PlJS6_EEE10hipError_tPvRmT3_T4_T5_T6_T7_T9_mT8_P12ihipStream_tbDpT10_ENKUlT_T0_E_clISt17integral_constantIbLb0EES1B_EEDaS16_S17_EUlS16_E_NS1_11comp_targetILNS1_3genE3ELNS1_11target_archE908ELNS1_3gpuE7ELNS1_3repE0EEENS1_30default_config_static_selectorELNS0_4arch9wavefront6targetE0EEEvT1_.has_dyn_sized_stack, 0
	.set _ZN7rocprim17ROCPRIM_400000_NS6detail17trampoline_kernelINS0_14default_configENS1_25partition_config_selectorILNS1_17partition_subalgoE5EfNS0_10empty_typeEbEEZZNS1_14partition_implILS5_5ELb0ES3_mN6thrust23THRUST_200600_302600_NS6detail15normal_iteratorINSA_10device_ptrIfEEEEPS6_NSA_18transform_iteratorINSB_9not_fun_tINSA_8identityIfEEEESF_NSA_11use_defaultESM_EENS0_5tupleIJSF_S6_EEENSO_IJSG_SG_EEES6_PlJS6_EEE10hipError_tPvRmT3_T4_T5_T6_T7_T9_mT8_P12ihipStream_tbDpT10_ENKUlT_T0_E_clISt17integral_constantIbLb0EES1B_EEDaS16_S17_EUlS16_E_NS1_11comp_targetILNS1_3genE3ELNS1_11target_archE908ELNS1_3gpuE7ELNS1_3repE0EEENS1_30default_config_static_selectorELNS0_4arch9wavefront6targetE0EEEvT1_.has_recursion, 0
	.set _ZN7rocprim17ROCPRIM_400000_NS6detail17trampoline_kernelINS0_14default_configENS1_25partition_config_selectorILNS1_17partition_subalgoE5EfNS0_10empty_typeEbEEZZNS1_14partition_implILS5_5ELb0ES3_mN6thrust23THRUST_200600_302600_NS6detail15normal_iteratorINSA_10device_ptrIfEEEEPS6_NSA_18transform_iteratorINSB_9not_fun_tINSA_8identityIfEEEESF_NSA_11use_defaultESM_EENS0_5tupleIJSF_S6_EEENSO_IJSG_SG_EEES6_PlJS6_EEE10hipError_tPvRmT3_T4_T5_T6_T7_T9_mT8_P12ihipStream_tbDpT10_ENKUlT_T0_E_clISt17integral_constantIbLb0EES1B_EEDaS16_S17_EUlS16_E_NS1_11comp_targetILNS1_3genE3ELNS1_11target_archE908ELNS1_3gpuE7ELNS1_3repE0EEENS1_30default_config_static_selectorELNS0_4arch9wavefront6targetE0EEEvT1_.has_indirect_call, 0
	.section	.AMDGPU.csdata,"",@progbits
; Kernel info:
; codeLenInByte = 0
; TotalNumSgprs: 0
; NumVgprs: 0
; ScratchSize: 0
; MemoryBound: 0
; FloatMode: 240
; IeeeMode: 1
; LDSByteSize: 0 bytes/workgroup (compile time only)
; SGPRBlocks: 0
; VGPRBlocks: 0
; NumSGPRsForWavesPerEU: 1
; NumVGPRsForWavesPerEU: 1
; Occupancy: 16
; WaveLimiterHint : 0
; COMPUTE_PGM_RSRC2:SCRATCH_EN: 0
; COMPUTE_PGM_RSRC2:USER_SGPR: 2
; COMPUTE_PGM_RSRC2:TRAP_HANDLER: 0
; COMPUTE_PGM_RSRC2:TGID_X_EN: 1
; COMPUTE_PGM_RSRC2:TGID_Y_EN: 0
; COMPUTE_PGM_RSRC2:TGID_Z_EN: 0
; COMPUTE_PGM_RSRC2:TIDIG_COMP_CNT: 0
	.section	.text._ZN7rocprim17ROCPRIM_400000_NS6detail17trampoline_kernelINS0_14default_configENS1_25partition_config_selectorILNS1_17partition_subalgoE5EfNS0_10empty_typeEbEEZZNS1_14partition_implILS5_5ELb0ES3_mN6thrust23THRUST_200600_302600_NS6detail15normal_iteratorINSA_10device_ptrIfEEEEPS6_NSA_18transform_iteratorINSB_9not_fun_tINSA_8identityIfEEEESF_NSA_11use_defaultESM_EENS0_5tupleIJSF_S6_EEENSO_IJSG_SG_EEES6_PlJS6_EEE10hipError_tPvRmT3_T4_T5_T6_T7_T9_mT8_P12ihipStream_tbDpT10_ENKUlT_T0_E_clISt17integral_constantIbLb0EES1B_EEDaS16_S17_EUlS16_E_NS1_11comp_targetILNS1_3genE2ELNS1_11target_archE906ELNS1_3gpuE6ELNS1_3repE0EEENS1_30default_config_static_selectorELNS0_4arch9wavefront6targetE0EEEvT1_,"axG",@progbits,_ZN7rocprim17ROCPRIM_400000_NS6detail17trampoline_kernelINS0_14default_configENS1_25partition_config_selectorILNS1_17partition_subalgoE5EfNS0_10empty_typeEbEEZZNS1_14partition_implILS5_5ELb0ES3_mN6thrust23THRUST_200600_302600_NS6detail15normal_iteratorINSA_10device_ptrIfEEEEPS6_NSA_18transform_iteratorINSB_9not_fun_tINSA_8identityIfEEEESF_NSA_11use_defaultESM_EENS0_5tupleIJSF_S6_EEENSO_IJSG_SG_EEES6_PlJS6_EEE10hipError_tPvRmT3_T4_T5_T6_T7_T9_mT8_P12ihipStream_tbDpT10_ENKUlT_T0_E_clISt17integral_constantIbLb0EES1B_EEDaS16_S17_EUlS16_E_NS1_11comp_targetILNS1_3genE2ELNS1_11target_archE906ELNS1_3gpuE6ELNS1_3repE0EEENS1_30default_config_static_selectorELNS0_4arch9wavefront6targetE0EEEvT1_,comdat
	.protected	_ZN7rocprim17ROCPRIM_400000_NS6detail17trampoline_kernelINS0_14default_configENS1_25partition_config_selectorILNS1_17partition_subalgoE5EfNS0_10empty_typeEbEEZZNS1_14partition_implILS5_5ELb0ES3_mN6thrust23THRUST_200600_302600_NS6detail15normal_iteratorINSA_10device_ptrIfEEEEPS6_NSA_18transform_iteratorINSB_9not_fun_tINSA_8identityIfEEEESF_NSA_11use_defaultESM_EENS0_5tupleIJSF_S6_EEENSO_IJSG_SG_EEES6_PlJS6_EEE10hipError_tPvRmT3_T4_T5_T6_T7_T9_mT8_P12ihipStream_tbDpT10_ENKUlT_T0_E_clISt17integral_constantIbLb0EES1B_EEDaS16_S17_EUlS16_E_NS1_11comp_targetILNS1_3genE2ELNS1_11target_archE906ELNS1_3gpuE6ELNS1_3repE0EEENS1_30default_config_static_selectorELNS0_4arch9wavefront6targetE0EEEvT1_ ; -- Begin function _ZN7rocprim17ROCPRIM_400000_NS6detail17trampoline_kernelINS0_14default_configENS1_25partition_config_selectorILNS1_17partition_subalgoE5EfNS0_10empty_typeEbEEZZNS1_14partition_implILS5_5ELb0ES3_mN6thrust23THRUST_200600_302600_NS6detail15normal_iteratorINSA_10device_ptrIfEEEEPS6_NSA_18transform_iteratorINSB_9not_fun_tINSA_8identityIfEEEESF_NSA_11use_defaultESM_EENS0_5tupleIJSF_S6_EEENSO_IJSG_SG_EEES6_PlJS6_EEE10hipError_tPvRmT3_T4_T5_T6_T7_T9_mT8_P12ihipStream_tbDpT10_ENKUlT_T0_E_clISt17integral_constantIbLb0EES1B_EEDaS16_S17_EUlS16_E_NS1_11comp_targetILNS1_3genE2ELNS1_11target_archE906ELNS1_3gpuE6ELNS1_3repE0EEENS1_30default_config_static_selectorELNS0_4arch9wavefront6targetE0EEEvT1_
	.globl	_ZN7rocprim17ROCPRIM_400000_NS6detail17trampoline_kernelINS0_14default_configENS1_25partition_config_selectorILNS1_17partition_subalgoE5EfNS0_10empty_typeEbEEZZNS1_14partition_implILS5_5ELb0ES3_mN6thrust23THRUST_200600_302600_NS6detail15normal_iteratorINSA_10device_ptrIfEEEEPS6_NSA_18transform_iteratorINSB_9not_fun_tINSA_8identityIfEEEESF_NSA_11use_defaultESM_EENS0_5tupleIJSF_S6_EEENSO_IJSG_SG_EEES6_PlJS6_EEE10hipError_tPvRmT3_T4_T5_T6_T7_T9_mT8_P12ihipStream_tbDpT10_ENKUlT_T0_E_clISt17integral_constantIbLb0EES1B_EEDaS16_S17_EUlS16_E_NS1_11comp_targetILNS1_3genE2ELNS1_11target_archE906ELNS1_3gpuE6ELNS1_3repE0EEENS1_30default_config_static_selectorELNS0_4arch9wavefront6targetE0EEEvT1_
	.p2align	8
	.type	_ZN7rocprim17ROCPRIM_400000_NS6detail17trampoline_kernelINS0_14default_configENS1_25partition_config_selectorILNS1_17partition_subalgoE5EfNS0_10empty_typeEbEEZZNS1_14partition_implILS5_5ELb0ES3_mN6thrust23THRUST_200600_302600_NS6detail15normal_iteratorINSA_10device_ptrIfEEEEPS6_NSA_18transform_iteratorINSB_9not_fun_tINSA_8identityIfEEEESF_NSA_11use_defaultESM_EENS0_5tupleIJSF_S6_EEENSO_IJSG_SG_EEES6_PlJS6_EEE10hipError_tPvRmT3_T4_T5_T6_T7_T9_mT8_P12ihipStream_tbDpT10_ENKUlT_T0_E_clISt17integral_constantIbLb0EES1B_EEDaS16_S17_EUlS16_E_NS1_11comp_targetILNS1_3genE2ELNS1_11target_archE906ELNS1_3gpuE6ELNS1_3repE0EEENS1_30default_config_static_selectorELNS0_4arch9wavefront6targetE0EEEvT1_,@function
_ZN7rocprim17ROCPRIM_400000_NS6detail17trampoline_kernelINS0_14default_configENS1_25partition_config_selectorILNS1_17partition_subalgoE5EfNS0_10empty_typeEbEEZZNS1_14partition_implILS5_5ELb0ES3_mN6thrust23THRUST_200600_302600_NS6detail15normal_iteratorINSA_10device_ptrIfEEEEPS6_NSA_18transform_iteratorINSB_9not_fun_tINSA_8identityIfEEEESF_NSA_11use_defaultESM_EENS0_5tupleIJSF_S6_EEENSO_IJSG_SG_EEES6_PlJS6_EEE10hipError_tPvRmT3_T4_T5_T6_T7_T9_mT8_P12ihipStream_tbDpT10_ENKUlT_T0_E_clISt17integral_constantIbLb0EES1B_EEDaS16_S17_EUlS16_E_NS1_11comp_targetILNS1_3genE2ELNS1_11target_archE906ELNS1_3gpuE6ELNS1_3repE0EEENS1_30default_config_static_selectorELNS0_4arch9wavefront6targetE0EEEvT1_: ; @_ZN7rocprim17ROCPRIM_400000_NS6detail17trampoline_kernelINS0_14default_configENS1_25partition_config_selectorILNS1_17partition_subalgoE5EfNS0_10empty_typeEbEEZZNS1_14partition_implILS5_5ELb0ES3_mN6thrust23THRUST_200600_302600_NS6detail15normal_iteratorINSA_10device_ptrIfEEEEPS6_NSA_18transform_iteratorINSB_9not_fun_tINSA_8identityIfEEEESF_NSA_11use_defaultESM_EENS0_5tupleIJSF_S6_EEENSO_IJSG_SG_EEES6_PlJS6_EEE10hipError_tPvRmT3_T4_T5_T6_T7_T9_mT8_P12ihipStream_tbDpT10_ENKUlT_T0_E_clISt17integral_constantIbLb0EES1B_EEDaS16_S17_EUlS16_E_NS1_11comp_targetILNS1_3genE2ELNS1_11target_archE906ELNS1_3gpuE6ELNS1_3repE0EEENS1_30default_config_static_selectorELNS0_4arch9wavefront6targetE0EEEvT1_
; %bb.0:
	.section	.rodata,"a",@progbits
	.p2align	6, 0x0
	.amdhsa_kernel _ZN7rocprim17ROCPRIM_400000_NS6detail17trampoline_kernelINS0_14default_configENS1_25partition_config_selectorILNS1_17partition_subalgoE5EfNS0_10empty_typeEbEEZZNS1_14partition_implILS5_5ELb0ES3_mN6thrust23THRUST_200600_302600_NS6detail15normal_iteratorINSA_10device_ptrIfEEEEPS6_NSA_18transform_iteratorINSB_9not_fun_tINSA_8identityIfEEEESF_NSA_11use_defaultESM_EENS0_5tupleIJSF_S6_EEENSO_IJSG_SG_EEES6_PlJS6_EEE10hipError_tPvRmT3_T4_T5_T6_T7_T9_mT8_P12ihipStream_tbDpT10_ENKUlT_T0_E_clISt17integral_constantIbLb0EES1B_EEDaS16_S17_EUlS16_E_NS1_11comp_targetILNS1_3genE2ELNS1_11target_archE906ELNS1_3gpuE6ELNS1_3repE0EEENS1_30default_config_static_selectorELNS0_4arch9wavefront6targetE0EEEvT1_
		.amdhsa_group_segment_fixed_size 0
		.amdhsa_private_segment_fixed_size 0
		.amdhsa_kernarg_size 120
		.amdhsa_user_sgpr_count 2
		.amdhsa_user_sgpr_dispatch_ptr 0
		.amdhsa_user_sgpr_queue_ptr 0
		.amdhsa_user_sgpr_kernarg_segment_ptr 1
		.amdhsa_user_sgpr_dispatch_id 0
		.amdhsa_user_sgpr_private_segment_size 0
		.amdhsa_wavefront_size32 1
		.amdhsa_uses_dynamic_stack 0
		.amdhsa_enable_private_segment 0
		.amdhsa_system_sgpr_workgroup_id_x 1
		.amdhsa_system_sgpr_workgroup_id_y 0
		.amdhsa_system_sgpr_workgroup_id_z 0
		.amdhsa_system_sgpr_workgroup_info 0
		.amdhsa_system_vgpr_workitem_id 0
		.amdhsa_next_free_vgpr 1
		.amdhsa_next_free_sgpr 1
		.amdhsa_reserve_vcc 0
		.amdhsa_float_round_mode_32 0
		.amdhsa_float_round_mode_16_64 0
		.amdhsa_float_denorm_mode_32 3
		.amdhsa_float_denorm_mode_16_64 3
		.amdhsa_fp16_overflow 0
		.amdhsa_workgroup_processor_mode 1
		.amdhsa_memory_ordered 1
		.amdhsa_forward_progress 1
		.amdhsa_inst_pref_size 0
		.amdhsa_round_robin_scheduling 0
		.amdhsa_exception_fp_ieee_invalid_op 0
		.amdhsa_exception_fp_denorm_src 0
		.amdhsa_exception_fp_ieee_div_zero 0
		.amdhsa_exception_fp_ieee_overflow 0
		.amdhsa_exception_fp_ieee_underflow 0
		.amdhsa_exception_fp_ieee_inexact 0
		.amdhsa_exception_int_div_zero 0
	.end_amdhsa_kernel
	.section	.text._ZN7rocprim17ROCPRIM_400000_NS6detail17trampoline_kernelINS0_14default_configENS1_25partition_config_selectorILNS1_17partition_subalgoE5EfNS0_10empty_typeEbEEZZNS1_14partition_implILS5_5ELb0ES3_mN6thrust23THRUST_200600_302600_NS6detail15normal_iteratorINSA_10device_ptrIfEEEEPS6_NSA_18transform_iteratorINSB_9not_fun_tINSA_8identityIfEEEESF_NSA_11use_defaultESM_EENS0_5tupleIJSF_S6_EEENSO_IJSG_SG_EEES6_PlJS6_EEE10hipError_tPvRmT3_T4_T5_T6_T7_T9_mT8_P12ihipStream_tbDpT10_ENKUlT_T0_E_clISt17integral_constantIbLb0EES1B_EEDaS16_S17_EUlS16_E_NS1_11comp_targetILNS1_3genE2ELNS1_11target_archE906ELNS1_3gpuE6ELNS1_3repE0EEENS1_30default_config_static_selectorELNS0_4arch9wavefront6targetE0EEEvT1_,"axG",@progbits,_ZN7rocprim17ROCPRIM_400000_NS6detail17trampoline_kernelINS0_14default_configENS1_25partition_config_selectorILNS1_17partition_subalgoE5EfNS0_10empty_typeEbEEZZNS1_14partition_implILS5_5ELb0ES3_mN6thrust23THRUST_200600_302600_NS6detail15normal_iteratorINSA_10device_ptrIfEEEEPS6_NSA_18transform_iteratorINSB_9not_fun_tINSA_8identityIfEEEESF_NSA_11use_defaultESM_EENS0_5tupleIJSF_S6_EEENSO_IJSG_SG_EEES6_PlJS6_EEE10hipError_tPvRmT3_T4_T5_T6_T7_T9_mT8_P12ihipStream_tbDpT10_ENKUlT_T0_E_clISt17integral_constantIbLb0EES1B_EEDaS16_S17_EUlS16_E_NS1_11comp_targetILNS1_3genE2ELNS1_11target_archE906ELNS1_3gpuE6ELNS1_3repE0EEENS1_30default_config_static_selectorELNS0_4arch9wavefront6targetE0EEEvT1_,comdat
.Lfunc_end825:
	.size	_ZN7rocprim17ROCPRIM_400000_NS6detail17trampoline_kernelINS0_14default_configENS1_25partition_config_selectorILNS1_17partition_subalgoE5EfNS0_10empty_typeEbEEZZNS1_14partition_implILS5_5ELb0ES3_mN6thrust23THRUST_200600_302600_NS6detail15normal_iteratorINSA_10device_ptrIfEEEEPS6_NSA_18transform_iteratorINSB_9not_fun_tINSA_8identityIfEEEESF_NSA_11use_defaultESM_EENS0_5tupleIJSF_S6_EEENSO_IJSG_SG_EEES6_PlJS6_EEE10hipError_tPvRmT3_T4_T5_T6_T7_T9_mT8_P12ihipStream_tbDpT10_ENKUlT_T0_E_clISt17integral_constantIbLb0EES1B_EEDaS16_S17_EUlS16_E_NS1_11comp_targetILNS1_3genE2ELNS1_11target_archE906ELNS1_3gpuE6ELNS1_3repE0EEENS1_30default_config_static_selectorELNS0_4arch9wavefront6targetE0EEEvT1_, .Lfunc_end825-_ZN7rocprim17ROCPRIM_400000_NS6detail17trampoline_kernelINS0_14default_configENS1_25partition_config_selectorILNS1_17partition_subalgoE5EfNS0_10empty_typeEbEEZZNS1_14partition_implILS5_5ELb0ES3_mN6thrust23THRUST_200600_302600_NS6detail15normal_iteratorINSA_10device_ptrIfEEEEPS6_NSA_18transform_iteratorINSB_9not_fun_tINSA_8identityIfEEEESF_NSA_11use_defaultESM_EENS0_5tupleIJSF_S6_EEENSO_IJSG_SG_EEES6_PlJS6_EEE10hipError_tPvRmT3_T4_T5_T6_T7_T9_mT8_P12ihipStream_tbDpT10_ENKUlT_T0_E_clISt17integral_constantIbLb0EES1B_EEDaS16_S17_EUlS16_E_NS1_11comp_targetILNS1_3genE2ELNS1_11target_archE906ELNS1_3gpuE6ELNS1_3repE0EEENS1_30default_config_static_selectorELNS0_4arch9wavefront6targetE0EEEvT1_
                                        ; -- End function
	.set _ZN7rocprim17ROCPRIM_400000_NS6detail17trampoline_kernelINS0_14default_configENS1_25partition_config_selectorILNS1_17partition_subalgoE5EfNS0_10empty_typeEbEEZZNS1_14partition_implILS5_5ELb0ES3_mN6thrust23THRUST_200600_302600_NS6detail15normal_iteratorINSA_10device_ptrIfEEEEPS6_NSA_18transform_iteratorINSB_9not_fun_tINSA_8identityIfEEEESF_NSA_11use_defaultESM_EENS0_5tupleIJSF_S6_EEENSO_IJSG_SG_EEES6_PlJS6_EEE10hipError_tPvRmT3_T4_T5_T6_T7_T9_mT8_P12ihipStream_tbDpT10_ENKUlT_T0_E_clISt17integral_constantIbLb0EES1B_EEDaS16_S17_EUlS16_E_NS1_11comp_targetILNS1_3genE2ELNS1_11target_archE906ELNS1_3gpuE6ELNS1_3repE0EEENS1_30default_config_static_selectorELNS0_4arch9wavefront6targetE0EEEvT1_.num_vgpr, 0
	.set _ZN7rocprim17ROCPRIM_400000_NS6detail17trampoline_kernelINS0_14default_configENS1_25partition_config_selectorILNS1_17partition_subalgoE5EfNS0_10empty_typeEbEEZZNS1_14partition_implILS5_5ELb0ES3_mN6thrust23THRUST_200600_302600_NS6detail15normal_iteratorINSA_10device_ptrIfEEEEPS6_NSA_18transform_iteratorINSB_9not_fun_tINSA_8identityIfEEEESF_NSA_11use_defaultESM_EENS0_5tupleIJSF_S6_EEENSO_IJSG_SG_EEES6_PlJS6_EEE10hipError_tPvRmT3_T4_T5_T6_T7_T9_mT8_P12ihipStream_tbDpT10_ENKUlT_T0_E_clISt17integral_constantIbLb0EES1B_EEDaS16_S17_EUlS16_E_NS1_11comp_targetILNS1_3genE2ELNS1_11target_archE906ELNS1_3gpuE6ELNS1_3repE0EEENS1_30default_config_static_selectorELNS0_4arch9wavefront6targetE0EEEvT1_.num_agpr, 0
	.set _ZN7rocprim17ROCPRIM_400000_NS6detail17trampoline_kernelINS0_14default_configENS1_25partition_config_selectorILNS1_17partition_subalgoE5EfNS0_10empty_typeEbEEZZNS1_14partition_implILS5_5ELb0ES3_mN6thrust23THRUST_200600_302600_NS6detail15normal_iteratorINSA_10device_ptrIfEEEEPS6_NSA_18transform_iteratorINSB_9not_fun_tINSA_8identityIfEEEESF_NSA_11use_defaultESM_EENS0_5tupleIJSF_S6_EEENSO_IJSG_SG_EEES6_PlJS6_EEE10hipError_tPvRmT3_T4_T5_T6_T7_T9_mT8_P12ihipStream_tbDpT10_ENKUlT_T0_E_clISt17integral_constantIbLb0EES1B_EEDaS16_S17_EUlS16_E_NS1_11comp_targetILNS1_3genE2ELNS1_11target_archE906ELNS1_3gpuE6ELNS1_3repE0EEENS1_30default_config_static_selectorELNS0_4arch9wavefront6targetE0EEEvT1_.numbered_sgpr, 0
	.set _ZN7rocprim17ROCPRIM_400000_NS6detail17trampoline_kernelINS0_14default_configENS1_25partition_config_selectorILNS1_17partition_subalgoE5EfNS0_10empty_typeEbEEZZNS1_14partition_implILS5_5ELb0ES3_mN6thrust23THRUST_200600_302600_NS6detail15normal_iteratorINSA_10device_ptrIfEEEEPS6_NSA_18transform_iteratorINSB_9not_fun_tINSA_8identityIfEEEESF_NSA_11use_defaultESM_EENS0_5tupleIJSF_S6_EEENSO_IJSG_SG_EEES6_PlJS6_EEE10hipError_tPvRmT3_T4_T5_T6_T7_T9_mT8_P12ihipStream_tbDpT10_ENKUlT_T0_E_clISt17integral_constantIbLb0EES1B_EEDaS16_S17_EUlS16_E_NS1_11comp_targetILNS1_3genE2ELNS1_11target_archE906ELNS1_3gpuE6ELNS1_3repE0EEENS1_30default_config_static_selectorELNS0_4arch9wavefront6targetE0EEEvT1_.num_named_barrier, 0
	.set _ZN7rocprim17ROCPRIM_400000_NS6detail17trampoline_kernelINS0_14default_configENS1_25partition_config_selectorILNS1_17partition_subalgoE5EfNS0_10empty_typeEbEEZZNS1_14partition_implILS5_5ELb0ES3_mN6thrust23THRUST_200600_302600_NS6detail15normal_iteratorINSA_10device_ptrIfEEEEPS6_NSA_18transform_iteratorINSB_9not_fun_tINSA_8identityIfEEEESF_NSA_11use_defaultESM_EENS0_5tupleIJSF_S6_EEENSO_IJSG_SG_EEES6_PlJS6_EEE10hipError_tPvRmT3_T4_T5_T6_T7_T9_mT8_P12ihipStream_tbDpT10_ENKUlT_T0_E_clISt17integral_constantIbLb0EES1B_EEDaS16_S17_EUlS16_E_NS1_11comp_targetILNS1_3genE2ELNS1_11target_archE906ELNS1_3gpuE6ELNS1_3repE0EEENS1_30default_config_static_selectorELNS0_4arch9wavefront6targetE0EEEvT1_.private_seg_size, 0
	.set _ZN7rocprim17ROCPRIM_400000_NS6detail17trampoline_kernelINS0_14default_configENS1_25partition_config_selectorILNS1_17partition_subalgoE5EfNS0_10empty_typeEbEEZZNS1_14partition_implILS5_5ELb0ES3_mN6thrust23THRUST_200600_302600_NS6detail15normal_iteratorINSA_10device_ptrIfEEEEPS6_NSA_18transform_iteratorINSB_9not_fun_tINSA_8identityIfEEEESF_NSA_11use_defaultESM_EENS0_5tupleIJSF_S6_EEENSO_IJSG_SG_EEES6_PlJS6_EEE10hipError_tPvRmT3_T4_T5_T6_T7_T9_mT8_P12ihipStream_tbDpT10_ENKUlT_T0_E_clISt17integral_constantIbLb0EES1B_EEDaS16_S17_EUlS16_E_NS1_11comp_targetILNS1_3genE2ELNS1_11target_archE906ELNS1_3gpuE6ELNS1_3repE0EEENS1_30default_config_static_selectorELNS0_4arch9wavefront6targetE0EEEvT1_.uses_vcc, 0
	.set _ZN7rocprim17ROCPRIM_400000_NS6detail17trampoline_kernelINS0_14default_configENS1_25partition_config_selectorILNS1_17partition_subalgoE5EfNS0_10empty_typeEbEEZZNS1_14partition_implILS5_5ELb0ES3_mN6thrust23THRUST_200600_302600_NS6detail15normal_iteratorINSA_10device_ptrIfEEEEPS6_NSA_18transform_iteratorINSB_9not_fun_tINSA_8identityIfEEEESF_NSA_11use_defaultESM_EENS0_5tupleIJSF_S6_EEENSO_IJSG_SG_EEES6_PlJS6_EEE10hipError_tPvRmT3_T4_T5_T6_T7_T9_mT8_P12ihipStream_tbDpT10_ENKUlT_T0_E_clISt17integral_constantIbLb0EES1B_EEDaS16_S17_EUlS16_E_NS1_11comp_targetILNS1_3genE2ELNS1_11target_archE906ELNS1_3gpuE6ELNS1_3repE0EEENS1_30default_config_static_selectorELNS0_4arch9wavefront6targetE0EEEvT1_.uses_flat_scratch, 0
	.set _ZN7rocprim17ROCPRIM_400000_NS6detail17trampoline_kernelINS0_14default_configENS1_25partition_config_selectorILNS1_17partition_subalgoE5EfNS0_10empty_typeEbEEZZNS1_14partition_implILS5_5ELb0ES3_mN6thrust23THRUST_200600_302600_NS6detail15normal_iteratorINSA_10device_ptrIfEEEEPS6_NSA_18transform_iteratorINSB_9not_fun_tINSA_8identityIfEEEESF_NSA_11use_defaultESM_EENS0_5tupleIJSF_S6_EEENSO_IJSG_SG_EEES6_PlJS6_EEE10hipError_tPvRmT3_T4_T5_T6_T7_T9_mT8_P12ihipStream_tbDpT10_ENKUlT_T0_E_clISt17integral_constantIbLb0EES1B_EEDaS16_S17_EUlS16_E_NS1_11comp_targetILNS1_3genE2ELNS1_11target_archE906ELNS1_3gpuE6ELNS1_3repE0EEENS1_30default_config_static_selectorELNS0_4arch9wavefront6targetE0EEEvT1_.has_dyn_sized_stack, 0
	.set _ZN7rocprim17ROCPRIM_400000_NS6detail17trampoline_kernelINS0_14default_configENS1_25partition_config_selectorILNS1_17partition_subalgoE5EfNS0_10empty_typeEbEEZZNS1_14partition_implILS5_5ELb0ES3_mN6thrust23THRUST_200600_302600_NS6detail15normal_iteratorINSA_10device_ptrIfEEEEPS6_NSA_18transform_iteratorINSB_9not_fun_tINSA_8identityIfEEEESF_NSA_11use_defaultESM_EENS0_5tupleIJSF_S6_EEENSO_IJSG_SG_EEES6_PlJS6_EEE10hipError_tPvRmT3_T4_T5_T6_T7_T9_mT8_P12ihipStream_tbDpT10_ENKUlT_T0_E_clISt17integral_constantIbLb0EES1B_EEDaS16_S17_EUlS16_E_NS1_11comp_targetILNS1_3genE2ELNS1_11target_archE906ELNS1_3gpuE6ELNS1_3repE0EEENS1_30default_config_static_selectorELNS0_4arch9wavefront6targetE0EEEvT1_.has_recursion, 0
	.set _ZN7rocprim17ROCPRIM_400000_NS6detail17trampoline_kernelINS0_14default_configENS1_25partition_config_selectorILNS1_17partition_subalgoE5EfNS0_10empty_typeEbEEZZNS1_14partition_implILS5_5ELb0ES3_mN6thrust23THRUST_200600_302600_NS6detail15normal_iteratorINSA_10device_ptrIfEEEEPS6_NSA_18transform_iteratorINSB_9not_fun_tINSA_8identityIfEEEESF_NSA_11use_defaultESM_EENS0_5tupleIJSF_S6_EEENSO_IJSG_SG_EEES6_PlJS6_EEE10hipError_tPvRmT3_T4_T5_T6_T7_T9_mT8_P12ihipStream_tbDpT10_ENKUlT_T0_E_clISt17integral_constantIbLb0EES1B_EEDaS16_S17_EUlS16_E_NS1_11comp_targetILNS1_3genE2ELNS1_11target_archE906ELNS1_3gpuE6ELNS1_3repE0EEENS1_30default_config_static_selectorELNS0_4arch9wavefront6targetE0EEEvT1_.has_indirect_call, 0
	.section	.AMDGPU.csdata,"",@progbits
; Kernel info:
; codeLenInByte = 0
; TotalNumSgprs: 0
; NumVgprs: 0
; ScratchSize: 0
; MemoryBound: 0
; FloatMode: 240
; IeeeMode: 1
; LDSByteSize: 0 bytes/workgroup (compile time only)
; SGPRBlocks: 0
; VGPRBlocks: 0
; NumSGPRsForWavesPerEU: 1
; NumVGPRsForWavesPerEU: 1
; Occupancy: 16
; WaveLimiterHint : 0
; COMPUTE_PGM_RSRC2:SCRATCH_EN: 0
; COMPUTE_PGM_RSRC2:USER_SGPR: 2
; COMPUTE_PGM_RSRC2:TRAP_HANDLER: 0
; COMPUTE_PGM_RSRC2:TGID_X_EN: 1
; COMPUTE_PGM_RSRC2:TGID_Y_EN: 0
; COMPUTE_PGM_RSRC2:TGID_Z_EN: 0
; COMPUTE_PGM_RSRC2:TIDIG_COMP_CNT: 0
	.section	.text._ZN7rocprim17ROCPRIM_400000_NS6detail17trampoline_kernelINS0_14default_configENS1_25partition_config_selectorILNS1_17partition_subalgoE5EfNS0_10empty_typeEbEEZZNS1_14partition_implILS5_5ELb0ES3_mN6thrust23THRUST_200600_302600_NS6detail15normal_iteratorINSA_10device_ptrIfEEEEPS6_NSA_18transform_iteratorINSB_9not_fun_tINSA_8identityIfEEEESF_NSA_11use_defaultESM_EENS0_5tupleIJSF_S6_EEENSO_IJSG_SG_EEES6_PlJS6_EEE10hipError_tPvRmT3_T4_T5_T6_T7_T9_mT8_P12ihipStream_tbDpT10_ENKUlT_T0_E_clISt17integral_constantIbLb0EES1B_EEDaS16_S17_EUlS16_E_NS1_11comp_targetILNS1_3genE10ELNS1_11target_archE1200ELNS1_3gpuE4ELNS1_3repE0EEENS1_30default_config_static_selectorELNS0_4arch9wavefront6targetE0EEEvT1_,"axG",@progbits,_ZN7rocprim17ROCPRIM_400000_NS6detail17trampoline_kernelINS0_14default_configENS1_25partition_config_selectorILNS1_17partition_subalgoE5EfNS0_10empty_typeEbEEZZNS1_14partition_implILS5_5ELb0ES3_mN6thrust23THRUST_200600_302600_NS6detail15normal_iteratorINSA_10device_ptrIfEEEEPS6_NSA_18transform_iteratorINSB_9not_fun_tINSA_8identityIfEEEESF_NSA_11use_defaultESM_EENS0_5tupleIJSF_S6_EEENSO_IJSG_SG_EEES6_PlJS6_EEE10hipError_tPvRmT3_T4_T5_T6_T7_T9_mT8_P12ihipStream_tbDpT10_ENKUlT_T0_E_clISt17integral_constantIbLb0EES1B_EEDaS16_S17_EUlS16_E_NS1_11comp_targetILNS1_3genE10ELNS1_11target_archE1200ELNS1_3gpuE4ELNS1_3repE0EEENS1_30default_config_static_selectorELNS0_4arch9wavefront6targetE0EEEvT1_,comdat
	.protected	_ZN7rocprim17ROCPRIM_400000_NS6detail17trampoline_kernelINS0_14default_configENS1_25partition_config_selectorILNS1_17partition_subalgoE5EfNS0_10empty_typeEbEEZZNS1_14partition_implILS5_5ELb0ES3_mN6thrust23THRUST_200600_302600_NS6detail15normal_iteratorINSA_10device_ptrIfEEEEPS6_NSA_18transform_iteratorINSB_9not_fun_tINSA_8identityIfEEEESF_NSA_11use_defaultESM_EENS0_5tupleIJSF_S6_EEENSO_IJSG_SG_EEES6_PlJS6_EEE10hipError_tPvRmT3_T4_T5_T6_T7_T9_mT8_P12ihipStream_tbDpT10_ENKUlT_T0_E_clISt17integral_constantIbLb0EES1B_EEDaS16_S17_EUlS16_E_NS1_11comp_targetILNS1_3genE10ELNS1_11target_archE1200ELNS1_3gpuE4ELNS1_3repE0EEENS1_30default_config_static_selectorELNS0_4arch9wavefront6targetE0EEEvT1_ ; -- Begin function _ZN7rocprim17ROCPRIM_400000_NS6detail17trampoline_kernelINS0_14default_configENS1_25partition_config_selectorILNS1_17partition_subalgoE5EfNS0_10empty_typeEbEEZZNS1_14partition_implILS5_5ELb0ES3_mN6thrust23THRUST_200600_302600_NS6detail15normal_iteratorINSA_10device_ptrIfEEEEPS6_NSA_18transform_iteratorINSB_9not_fun_tINSA_8identityIfEEEESF_NSA_11use_defaultESM_EENS0_5tupleIJSF_S6_EEENSO_IJSG_SG_EEES6_PlJS6_EEE10hipError_tPvRmT3_T4_T5_T6_T7_T9_mT8_P12ihipStream_tbDpT10_ENKUlT_T0_E_clISt17integral_constantIbLb0EES1B_EEDaS16_S17_EUlS16_E_NS1_11comp_targetILNS1_3genE10ELNS1_11target_archE1200ELNS1_3gpuE4ELNS1_3repE0EEENS1_30default_config_static_selectorELNS0_4arch9wavefront6targetE0EEEvT1_
	.globl	_ZN7rocprim17ROCPRIM_400000_NS6detail17trampoline_kernelINS0_14default_configENS1_25partition_config_selectorILNS1_17partition_subalgoE5EfNS0_10empty_typeEbEEZZNS1_14partition_implILS5_5ELb0ES3_mN6thrust23THRUST_200600_302600_NS6detail15normal_iteratorINSA_10device_ptrIfEEEEPS6_NSA_18transform_iteratorINSB_9not_fun_tINSA_8identityIfEEEESF_NSA_11use_defaultESM_EENS0_5tupleIJSF_S6_EEENSO_IJSG_SG_EEES6_PlJS6_EEE10hipError_tPvRmT3_T4_T5_T6_T7_T9_mT8_P12ihipStream_tbDpT10_ENKUlT_T0_E_clISt17integral_constantIbLb0EES1B_EEDaS16_S17_EUlS16_E_NS1_11comp_targetILNS1_3genE10ELNS1_11target_archE1200ELNS1_3gpuE4ELNS1_3repE0EEENS1_30default_config_static_selectorELNS0_4arch9wavefront6targetE0EEEvT1_
	.p2align	8
	.type	_ZN7rocprim17ROCPRIM_400000_NS6detail17trampoline_kernelINS0_14default_configENS1_25partition_config_selectorILNS1_17partition_subalgoE5EfNS0_10empty_typeEbEEZZNS1_14partition_implILS5_5ELb0ES3_mN6thrust23THRUST_200600_302600_NS6detail15normal_iteratorINSA_10device_ptrIfEEEEPS6_NSA_18transform_iteratorINSB_9not_fun_tINSA_8identityIfEEEESF_NSA_11use_defaultESM_EENS0_5tupleIJSF_S6_EEENSO_IJSG_SG_EEES6_PlJS6_EEE10hipError_tPvRmT3_T4_T5_T6_T7_T9_mT8_P12ihipStream_tbDpT10_ENKUlT_T0_E_clISt17integral_constantIbLb0EES1B_EEDaS16_S17_EUlS16_E_NS1_11comp_targetILNS1_3genE10ELNS1_11target_archE1200ELNS1_3gpuE4ELNS1_3repE0EEENS1_30default_config_static_selectorELNS0_4arch9wavefront6targetE0EEEvT1_,@function
_ZN7rocprim17ROCPRIM_400000_NS6detail17trampoline_kernelINS0_14default_configENS1_25partition_config_selectorILNS1_17partition_subalgoE5EfNS0_10empty_typeEbEEZZNS1_14partition_implILS5_5ELb0ES3_mN6thrust23THRUST_200600_302600_NS6detail15normal_iteratorINSA_10device_ptrIfEEEEPS6_NSA_18transform_iteratorINSB_9not_fun_tINSA_8identityIfEEEESF_NSA_11use_defaultESM_EENS0_5tupleIJSF_S6_EEENSO_IJSG_SG_EEES6_PlJS6_EEE10hipError_tPvRmT3_T4_T5_T6_T7_T9_mT8_P12ihipStream_tbDpT10_ENKUlT_T0_E_clISt17integral_constantIbLb0EES1B_EEDaS16_S17_EUlS16_E_NS1_11comp_targetILNS1_3genE10ELNS1_11target_archE1200ELNS1_3gpuE4ELNS1_3repE0EEENS1_30default_config_static_selectorELNS0_4arch9wavefront6targetE0EEEvT1_: ; @_ZN7rocprim17ROCPRIM_400000_NS6detail17trampoline_kernelINS0_14default_configENS1_25partition_config_selectorILNS1_17partition_subalgoE5EfNS0_10empty_typeEbEEZZNS1_14partition_implILS5_5ELb0ES3_mN6thrust23THRUST_200600_302600_NS6detail15normal_iteratorINSA_10device_ptrIfEEEEPS6_NSA_18transform_iteratorINSB_9not_fun_tINSA_8identityIfEEEESF_NSA_11use_defaultESM_EENS0_5tupleIJSF_S6_EEENSO_IJSG_SG_EEES6_PlJS6_EEE10hipError_tPvRmT3_T4_T5_T6_T7_T9_mT8_P12ihipStream_tbDpT10_ENKUlT_T0_E_clISt17integral_constantIbLb0EES1B_EEDaS16_S17_EUlS16_E_NS1_11comp_targetILNS1_3genE10ELNS1_11target_archE1200ELNS1_3gpuE4ELNS1_3repE0EEENS1_30default_config_static_selectorELNS0_4arch9wavefront6targetE0EEEvT1_
; %bb.0:
	s_clause 0x3
	s_load_b128 s[12:15], s[0:1], 0x8
	s_load_b128 s[8:11], s[0:1], 0x48
	s_load_b32 s18, s[0:1], 0x70
	s_load_b64 s[2:3], s[0:1], 0x58
	s_mov_b32 s17, 0
	s_mul_i32 s20, ttmp9, 0xa80
	s_mov_b32 s21, s17
	v_lshlrev_b32_e32 v8, 2, v0
	s_wait_kmcnt 0x0
	s_lshl_b64 s[4:5], s[14:15], 2
	s_load_b64 s[6:7], s[10:11], 0x0
	s_mul_i32 s16, s18, 0xa80
	s_add_co_i32 s19, s18, -1
	s_add_co_i32 s18, s16, s14
	s_add_nc_u64 s[10:11], s[14:15], s[16:17]
	s_sub_co_i32 s18, s2, s18
	v_cmp_le_u64_e64 s2, s[2:3], s[10:11]
	s_addk_co_i32 s18, 0xa80
	s_cmp_eq_u32 ttmp9, s19
	s_add_nc_u64 s[12:13], s[12:13], s[4:5]
	s_cselect_b32 s16, -1, 0
	s_lshl_b64 s[10:11], s[20:21], 2
	s_and_b32 s2, s16, s2
	s_mov_b32 s3, -1
	s_wait_alu 0xfffe
	s_xor_b32 s17, s2, -1
	s_add_nc_u64 s[12:13], s[12:13], s[10:11]
	s_and_b32 vcc_lo, exec_lo, s17
	s_cbranch_vccz .LBB826_2
; %bb.1:
	v_add_co_u32 v1, s2, s12, v8
	s_wait_alu 0xf1ff
	v_add_co_ci_u32_e64 v2, null, s13, 0, s2
	s_mov_b32 s3, 0
	s_clause 0x6
	flat_load_b32 v3, v[1:2]
	flat_load_b32 v4, v[1:2] offset:1536
	flat_load_b32 v5, v[1:2] offset:3072
	;; [unrolled: 1-line block ×6, first 2 shown]
	s_wait_loadcnt_dscnt 0x505
	ds_store_2addr_stride64_b32 v8, v3, v4 offset1:6
	s_wait_loadcnt_dscnt 0x304
	ds_store_2addr_stride64_b32 v8, v5, v6 offset0:12 offset1:18
	s_wait_loadcnt_dscnt 0x103
	ds_store_2addr_stride64_b32 v8, v7, v9 offset0:24 offset1:30
	s_wait_loadcnt_dscnt 0x3
	ds_store_b32 v8, v1 offset:9216
	s_wait_dscnt 0x0
	s_barrier_signal -1
	s_barrier_wait -1
.LBB826_2:
	s_load_b64 s[14:15], s[0:1], 0x20
	v_cmp_gt_u32_e64 s2, s18, v0
	s_and_not1_b32 vcc_lo, exec_lo, s3
	s_cbranch_vccnz .LBB826_18
; %bb.3:
	v_mov_b32_e32 v1, 0
	s_delay_alu instid0(VALU_DEP_1)
	v_dual_mov_b32 v2, v1 :: v_dual_mov_b32 v3, v1
	v_dual_mov_b32 v4, v1 :: v_dual_mov_b32 v5, v1
	;; [unrolled: 1-line block ×3, first 2 shown]
	s_and_saveexec_b32 s3, s2
	s_cbranch_execz .LBB826_5
; %bb.4:
	v_add_co_u32 v2, s2, s12, v8
	s_wait_alu 0xf1ff
	v_add_co_ci_u32_e64 v3, null, s13, 0, s2
	v_dual_mov_b32 v10, v1 :: v_dual_mov_b32 v11, v1
	v_dual_mov_b32 v12, v1 :: v_dual_mov_b32 v13, v1
	flat_load_b32 v9, v[2:3]
	v_dual_mov_b32 v14, v1 :: v_dual_mov_b32 v15, v1
	s_wait_loadcnt_dscnt 0x0
	v_dual_mov_b32 v1, v9 :: v_dual_mov_b32 v2, v10
	v_dual_mov_b32 v3, v11 :: v_dual_mov_b32 v4, v12
	s_delay_alu instid0(VALU_DEP_3)
	v_dual_mov_b32 v5, v13 :: v_dual_mov_b32 v6, v14
	v_mov_b32_e32 v7, v15
.LBB826_5:
	s_wait_alu 0xfffe
	s_or_b32 exec_lo, exec_lo, s3
	v_add_nc_u32_e32 v9, 0x180, v0
	s_mov_b32 s2, exec_lo
	s_delay_alu instid0(VALU_DEP_1)
	v_cmpx_gt_u32_e64 s18, v9
	s_cbranch_execz .LBB826_7
; %bb.6:
	v_add_co_u32 v9, s3, s12, v8
	s_wait_alu 0xf1ff
	v_add_co_ci_u32_e64 v10, null, s13, 0, s3
	flat_load_b32 v2, v[9:10] offset:1536
.LBB826_7:
	s_wait_alu 0xfffe
	s_or_b32 exec_lo, exec_lo, s2
	v_add_nc_u32_e32 v9, 0x300, v0
	s_mov_b32 s2, exec_lo
	s_delay_alu instid0(VALU_DEP_1)
	v_cmpx_gt_u32_e64 s18, v9
	s_cbranch_execz .LBB826_9
; %bb.8:
	v_add_co_u32 v9, s3, s12, v8
	s_wait_alu 0xf1ff
	v_add_co_ci_u32_e64 v10, null, s13, 0, s3
	flat_load_b32 v3, v[9:10] offset:3072
.LBB826_9:
	;; [unrolled: 13-line block ×3, first 2 shown]
	s_wait_alu 0xfffe
	s_or_b32 exec_lo, exec_lo, s2
	v_or_b32_e32 v9, 0x600, v0
	s_mov_b32 s2, exec_lo
	s_delay_alu instid0(VALU_DEP_1)
	v_cmpx_gt_u32_e64 s18, v9
	s_cbranch_execz .LBB826_13
; %bb.12:
	v_add_co_u32 v9, s3, s12, v8
	s_wait_alu 0xf1ff
	v_add_co_ci_u32_e64 v10, null, s13, 0, s3
	flat_load_b32 v5, v[9:10] offset:6144
.LBB826_13:
	s_wait_alu 0xfffe
	s_or_b32 exec_lo, exec_lo, s2
	v_add_nc_u32_e32 v9, 0x780, v0
	s_mov_b32 s2, exec_lo
	s_delay_alu instid0(VALU_DEP_1)
	v_cmpx_gt_u32_e64 s18, v9
	s_cbranch_execz .LBB826_15
; %bb.14:
	v_add_co_u32 v9, s3, s12, v8
	s_wait_alu 0xf1ff
	v_add_co_ci_u32_e64 v10, null, s13, 0, s3
	flat_load_b32 v6, v[9:10] offset:7680
.LBB826_15:
	s_wait_alu 0xfffe
	s_or_b32 exec_lo, exec_lo, s2
	v_add_nc_u32_e32 v9, 0x900, v0
	s_mov_b32 s2, exec_lo
	s_delay_alu instid0(VALU_DEP_1)
	v_cmpx_gt_u32_e64 s18, v9
	s_cbranch_execz .LBB826_17
; %bb.16:
	v_add_co_u32 v9, s3, s12, v8
	s_wait_alu 0xf1ff
	v_add_co_ci_u32_e64 v10, null, s13, 0, s3
	flat_load_b32 v7, v[9:10] offset:9216
.LBB826_17:
	s_wait_alu 0xfffe
	s_or_b32 exec_lo, exec_lo, s2
	s_wait_loadcnt_dscnt 0x0
	ds_store_2addr_stride64_b32 v8, v1, v2 offset1:6
	ds_store_2addr_stride64_b32 v8, v3, v4 offset0:12 offset1:18
	ds_store_2addr_stride64_b32 v8, v5, v6 offset0:24 offset1:30
	ds_store_b32 v8, v7 offset:9216
	s_wait_dscnt 0x0
	s_barrier_signal -1
	s_barrier_wait -1
.LBB826_18:
	v_mul_u32_u24_e32 v1, 7, v0
	global_inv scope:SCOPE_SE
	s_wait_kmcnt 0x0
	s_add_nc_u64 s[2:3], s[14:15], s[4:5]
	s_and_b32 vcc_lo, exec_lo, s17
	s_wait_alu 0xfffe
	s_add_nc_u64 s[2:3], s[2:3], s[10:11]
	v_lshlrev_b32_e32 v1, 2, v1
	s_mov_b32 s4, -1
	ds_load_2addr_b32 v[13:14], v1 offset1:1
	ds_load_2addr_b32 v[11:12], v1 offset0:2 offset1:3
	ds_load_2addr_b32 v[9:10], v1 offset0:4 offset1:5
	ds_load_b32 v29, v1 offset:24
	s_wait_loadcnt_dscnt 0x0
	s_barrier_signal -1
	s_barrier_wait -1
	global_inv scope:SCOPE_SE
	s_cbranch_vccz .LBB826_20
; %bb.19:
	s_clause 0x6
	global_load_b32 v2, v8, s[2:3]
	global_load_b32 v3, v8, s[2:3] offset:1536
	global_load_b32 v4, v8, s[2:3] offset:3072
	;; [unrolled: 1-line block ×6, first 2 shown]
	s_mov_b32 s4, 0
	s_wait_loadcnt 0x6
	v_cmp_eq_f32_e32 vcc_lo, 0, v2
	v_cndmask_b32_e64 v2, 0, 1, vcc_lo
	s_wait_loadcnt 0x5
	v_cmp_eq_f32_e32 vcc_lo, 0, v3
	s_wait_alu 0xfffd
	v_cndmask_b32_e64 v3, 0, 1, vcc_lo
	s_wait_loadcnt 0x4
	v_cmp_eq_f32_e32 vcc_lo, 0, v4
	s_wait_alu 0xfffd
	;; [unrolled: 4-line block ×6, first 2 shown]
	v_cndmask_b32_e64 v15, 0, 1, vcc_lo
	ds_store_b8 v0, v2
	ds_store_b8 v0, v3 offset:384
	ds_store_b8 v0, v4 offset:768
	;; [unrolled: 1-line block ×6, first 2 shown]
	s_wait_dscnt 0x0
	s_barrier_signal -1
	s_barrier_wait -1
.LBB826_20:
	s_and_not1_b32 vcc_lo, exec_lo, s4
	s_wait_alu 0xfffe
	s_cbranch_vccnz .LBB826_36
; %bb.21:
	v_mov_b32_e32 v2, 0
	s_mov_b32 s5, 0
	s_mov_b32 s4, exec_lo
	s_delay_alu instid0(VALU_DEP_1)
	v_dual_mov_b32 v4, v2 :: v_dual_mov_b32 v3, v2
	v_cmpx_gt_u32_e64 s18, v0
	s_cbranch_execz .LBB826_23
; %bb.22:
	global_load_b32 v2, v8, s[2:3]
	s_wait_loadcnt 0x0
	v_cmp_eq_f32_e32 vcc_lo, 0, v2
	s_wait_alu 0xfffd
	v_cndmask_b32_e64 v2, 0, 1, vcc_lo
	s_delay_alu instid0(VALU_DEP_1)
	v_dual_mov_b32 v4, s5 :: v_dual_mov_b32 v3, v2
.LBB826_23:
	s_or_b32 exec_lo, exec_lo, s4
	v_add_nc_u32_e32 v5, 0x180, v0
	s_mov_b32 s4, exec_lo
	s_delay_alu instid0(VALU_DEP_1)
	v_cmpx_gt_u32_e64 s18, v5
	s_cbranch_execz .LBB826_25
; %bb.24:
	global_load_b32 v5, v8, s[2:3] offset:1536
	v_lshrrev_b32_e32 v6, 8, v4
	v_and_b32_e32 v7, 0xff, v4
	v_and_b32_e32 v15, 0xff, v2
	v_bfe_u32 v4, v4, 16, 8
	s_delay_alu instid0(VALU_DEP_4) | instskip(NEXT) | instid1(VALU_DEP_1)
	v_lshlrev_b16 v6, 8, v6
	v_or_b32_e32 v6, v7, v6
	v_lshrrev_b32_e32 v7, 16, v2
	s_delay_alu instid0(VALU_DEP_2) | instskip(NEXT) | instid1(VALU_DEP_2)
	v_and_b32_e32 v6, 0xffff, v6
	v_perm_b32 v2, v7, v2, 0xc0c0304
	s_delay_alu instid0(VALU_DEP_2) | instskip(SKIP_4) | instid1(VALU_DEP_1)
	v_lshl_or_b32 v4, v4, 16, v6
	s_wait_loadcnt 0x0
	v_cmp_eq_f32_e32 vcc_lo, 0, v5
	s_wait_alu 0xfffd
	v_cndmask_b32_e64 v5, 0, 1, vcc_lo
	v_lshlrev_b16 v5, 8, v5
	s_delay_alu instid0(VALU_DEP_1) | instskip(NEXT) | instid1(VALU_DEP_1)
	v_or_b32_e32 v5, v15, v5
	v_and_b32_e32 v5, 0xffff, v5
	s_delay_alu instid0(VALU_DEP_1)
	v_lshl_or_b32 v2, v2, 16, v5
.LBB826_25:
	s_wait_alu 0xfffe
	s_or_b32 exec_lo, exec_lo, s4
	v_add_nc_u32_e32 v5, 0x300, v0
	s_mov_b32 s4, exec_lo
	s_delay_alu instid0(VALU_DEP_1)
	v_cmpx_gt_u32_e64 s18, v5
	s_cbranch_execz .LBB826_27
; %bb.26:
	global_load_b32 v5, v8, s[2:3] offset:3072
	v_lshrrev_b32_e32 v6, 8, v4
	v_lshrrev_b32_e32 v7, 24, v2
	v_and_b32_e32 v15, 0xff, v4
	v_bfe_u32 v4, v4, 16, 8
	v_perm_b32 v2, v2, v2, 0xc0c0104
	v_lshlrev_b16 v6, 8, v6
	v_lshlrev_b16 v7, 8, v7
	s_delay_alu instid0(VALU_DEP_2) | instskip(NEXT) | instid1(VALU_DEP_1)
	v_or_b32_e32 v6, v15, v6
	v_and_b32_e32 v6, 0xffff, v6
	s_delay_alu instid0(VALU_DEP_1) | instskip(SKIP_4) | instid1(VALU_DEP_1)
	v_lshl_or_b32 v4, v4, 16, v6
	s_wait_loadcnt 0x0
	v_cmp_eq_f32_e32 vcc_lo, 0, v5
	s_wait_alu 0xfffd
	v_cndmask_b32_e64 v5, 0, 1, vcc_lo
	v_or_b32_e32 v5, v5, v7
	s_delay_alu instid0(VALU_DEP_1) | instskip(NEXT) | instid1(VALU_DEP_1)
	v_lshlrev_b32_e32 v5, 16, v5
	v_or_b32_e32 v2, v2, v5
.LBB826_27:
	s_wait_alu 0xfffe
	s_or_b32 exec_lo, exec_lo, s4
	v_add_nc_u32_e32 v5, 0x480, v0
	s_mov_b32 s4, exec_lo
	s_delay_alu instid0(VALU_DEP_1)
	v_cmpx_gt_u32_e64 s18, v5
	s_cbranch_execz .LBB826_29
; %bb.28:
	global_load_b32 v5, v8, s[2:3] offset:4608
	v_lshrrev_b32_e32 v6, 8, v4
	v_lshrrev_b32_e32 v7, 16, v2
	v_and_b32_e32 v15, 0xff, v4
	v_bfe_u32 v4, v4, 16, 8
	v_perm_b32 v2, v2, v2, 0xc0c0104
	v_lshlrev_b16 v6, 8, v6
	v_and_b32_e32 v7, 0xff, v7
	s_delay_alu instid0(VALU_DEP_2) | instskip(NEXT) | instid1(VALU_DEP_1)
	v_or_b32_e32 v6, v15, v6
	v_and_b32_e32 v6, 0xffff, v6
	s_delay_alu instid0(VALU_DEP_1) | instskip(SKIP_4) | instid1(VALU_DEP_1)
	v_lshl_or_b32 v4, v4, 16, v6
	s_wait_loadcnt 0x0
	v_cmp_eq_f32_e32 vcc_lo, 0, v5
	s_wait_alu 0xfffd
	v_cndmask_b32_e64 v5, 0, 1, vcc_lo
	v_lshlrev_b16 v5, 8, v5
	s_delay_alu instid0(VALU_DEP_1) | instskip(NEXT) | instid1(VALU_DEP_1)
	v_or_b32_e32 v5, v7, v5
	v_lshlrev_b32_e32 v5, 16, v5
	s_delay_alu instid0(VALU_DEP_1)
	v_or_b32_e32 v2, v2, v5
.LBB826_29:
	s_wait_alu 0xfffe
	s_or_b32 exec_lo, exec_lo, s4
	v_or_b32_e32 v5, 0x600, v0
	s_mov_b32 s4, exec_lo
	s_delay_alu instid0(VALU_DEP_1)
	v_cmpx_gt_u32_e64 s18, v5
	s_cbranch_execz .LBB826_31
; %bb.30:
	global_load_b32 v5, v8, s[2:3] offset:6144
	v_lshrrev_b32_e32 v6, 8, v4
	v_bfe_u32 v4, v4, 16, 8
	v_perm_b32 v2, v2, v2, 0x3020104
	s_delay_alu instid0(VALU_DEP_3) | instskip(SKIP_4) | instid1(VALU_DEP_1)
	v_lshlrev_b16 v6, 8, v6
	s_wait_loadcnt 0x0
	v_cmp_eq_f32_e32 vcc_lo, 0, v5
	s_wait_alu 0xfffd
	v_cndmask_b32_e64 v5, 0, 1, vcc_lo
	v_or_b32_e32 v5, v5, v6
	s_delay_alu instid0(VALU_DEP_1) | instskip(NEXT) | instid1(VALU_DEP_1)
	v_and_b32_e32 v5, 0xffff, v5
	v_lshl_or_b32 v4, v4, 16, v5
.LBB826_31:
	s_wait_alu 0xfffe
	s_or_b32 exec_lo, exec_lo, s4
	v_add_nc_u32_e32 v5, 0x780, v0
	s_mov_b32 s4, exec_lo
	s_delay_alu instid0(VALU_DEP_1)
	v_cmpx_gt_u32_e64 s18, v5
	s_cbranch_execz .LBB826_33
; %bb.32:
	global_load_b32 v5, v8, s[2:3] offset:7680
	v_and_b32_e32 v6, 0xff, v4
	v_bfe_u32 v4, v4, 16, 8
	v_perm_b32 v2, v2, v2, 0x3020104
	s_wait_loadcnt 0x0
	v_cmp_eq_f32_e32 vcc_lo, 0, v5
	s_wait_alu 0xfffd
	v_cndmask_b32_e64 v5, 0, 1, vcc_lo
	s_delay_alu instid0(VALU_DEP_1) | instskip(NEXT) | instid1(VALU_DEP_1)
	v_lshlrev_b16 v5, 8, v5
	v_or_b32_e32 v5, v6, v5
	s_delay_alu instid0(VALU_DEP_1) | instskip(NEXT) | instid1(VALU_DEP_1)
	v_and_b32_e32 v5, 0xffff, v5
	v_lshl_or_b32 v4, v4, 16, v5
.LBB826_33:
	s_wait_alu 0xfffe
	s_or_b32 exec_lo, exec_lo, s4
	v_add_nc_u32_e32 v5, 0x900, v0
	s_mov_b32 s4, exec_lo
	s_delay_alu instid0(VALU_DEP_1)
	v_cmpx_gt_u32_e64 s18, v5
	s_cbranch_execz .LBB826_35
; %bb.34:
	global_load_b32 v5, v8, s[2:3] offset:9216
	v_lshrrev_b32_e32 v6, 8, v4
	v_and_b32_e32 v4, 0xff, v4
	v_perm_b32 v2, v2, v2, 0x3020104
	s_delay_alu instid0(VALU_DEP_3) | instskip(NEXT) | instid1(VALU_DEP_1)
	v_lshlrev_b16 v6, 8, v6
	v_or_b32_e32 v4, v4, v6
	s_delay_alu instid0(VALU_DEP_1) | instskip(SKIP_4) | instid1(VALU_DEP_1)
	v_and_b32_e32 v4, 0xffff, v4
	s_wait_loadcnt 0x0
	v_cmp_eq_f32_e32 vcc_lo, 0, v5
	s_wait_alu 0xfffd
	v_cndmask_b32_e64 v5, 0, 1, vcc_lo
	v_lshl_or_b32 v4, v5, 16, v4
.LBB826_35:
	s_wait_alu 0xfffe
	s_or_b32 exec_lo, exec_lo, s4
	v_lshrrev_b32_e32 v5, 8, v2
	v_lshrrev_b32_e32 v6, 24, v2
	;; [unrolled: 1-line block ×3, first 2 shown]
	ds_store_b8 v0, v3
	ds_store_b8 v0, v5 offset:384
	ds_store_b8_d16_hi v0, v2 offset:768
	ds_store_b8 v0, v6 offset:1152
	ds_store_b8 v0, v4 offset:1536
	;; [unrolled: 1-line block ×3, first 2 shown]
	ds_store_b8_d16_hi v0, v4 offset:2304
	s_wait_loadcnt_dscnt 0x0
	s_barrier_signal -1
	s_barrier_wait -1
.LBB826_36:
	v_mad_i32_i24 v38, 0xffffffeb, v0, v1
	s_wait_loadcnt 0x0
	global_inv scope:SCOPE_SE
	s_load_b64 s[10:11], s[0:1], 0x68
	v_mbcnt_lo_u32_b32 v37, -1, 0
	s_cmp_lg_u32 ttmp9, 0
	ds_load_u8 v1, v38
	ds_load_u8 v2, v38 offset:1
	ds_load_u8 v3, v38 offset:2
	;; [unrolled: 1-line block ×6, first 2 shown]
	s_mov_b32 s3, -1
	s_wait_loadcnt_dscnt 0x0
	v_and_b32_e32 v39, 15, v37
	s_barrier_signal -1
	s_barrier_wait -1
	global_inv scope:SCOPE_SE
	v_and_b32_e32 v36, 1, v1
	v_dual_mov_b32 v2, 0 :: v_dual_and_b32 v35, 1, v2
	v_and_b32_e32 v33, 1, v3
	v_and_b32_e32 v32, 1, v4
	v_and_b32_e32 v34, 1, v5
	v_and_b32_e32 v31, 1, v6
	v_and_b32_e32 v30, 1, v7
	v_add3_u32 v1, v35, v36, v33
	s_delay_alu instid0(VALU_DEP_1) | instskip(SKIP_3) | instid1(VALU_DEP_3)
	v_add_co_u32 v1, s2, v1, v32
	s_wait_alu 0xf1ff
	v_add_co_ci_u32_e64 v3, null, 0, 0, s2
	v_cmp_ne_u32_e64 s2, 0, v39
	v_add_co_u32 v1, vcc_lo, v1, v34
	s_wait_alu 0xfffd
	s_delay_alu instid0(VALU_DEP_3) | instskip(NEXT) | instid1(VALU_DEP_2)
	v_add_co_ci_u32_e64 v3, null, 0, v3, vcc_lo
	v_add_co_u32 v1, vcc_lo, v1, v31
	s_wait_alu 0xfffd
	s_delay_alu instid0(VALU_DEP_2) | instskip(NEXT) | instid1(VALU_DEP_2)
	v_add_co_ci_u32_e64 v3, null, 0, v3, vcc_lo
	v_add_co_u32 v15, vcc_lo, v1, v30
	s_wait_alu 0xfffd
	s_delay_alu instid0(VALU_DEP_2)
	v_add_co_ci_u32_e64 v16, null, 0, v3, vcc_lo
	s_cbranch_scc0 .LBB826_95
; %bb.37:
	v_mov_b32_e32 v3, v15
	v_mov_b32_dpp v1, v15 row_shr:1 row_mask:0xf bank_mask:0xf
	v_mov_b32_dpp v6, v2 row_shr:1 row_mask:0xf bank_mask:0xf
	v_dual_mov_b32 v5, v15 :: v_dual_mov_b32 v4, v16
	s_and_saveexec_b32 s3, s2
; %bb.38:
	s_delay_alu instid0(VALU_DEP_3) | instskip(SKIP_2) | instid1(VALU_DEP_2)
	v_add_co_u32 v5, vcc_lo, v15, v1
	s_wait_alu 0xfffd
	v_add_co_ci_u32_e64 v2, null, 0, v16, vcc_lo
	v_add_co_u32 v1, vcc_lo, 0, v5
	s_wait_alu 0xfffd
	s_delay_alu instid0(VALU_DEP_2) | instskip(NEXT) | instid1(VALU_DEP_1)
	v_add_co_ci_u32_e64 v2, null, v6, v2, vcc_lo
	v_dual_mov_b32 v4, v2 :: v_dual_mov_b32 v3, v1
; %bb.39:
	s_wait_alu 0xfffe
	s_or_b32 exec_lo, exec_lo, s3
	v_mov_b32_dpp v1, v5 row_shr:2 row_mask:0xf bank_mask:0xf
	v_mov_b32_dpp v6, v2 row_shr:2 row_mask:0xf bank_mask:0xf
	v_cmp_lt_u32_e32 vcc_lo, 1, v39
	s_and_saveexec_b32 s4, vcc_lo
; %bb.40:
	s_delay_alu instid0(VALU_DEP_3) | instskip(SKIP_2) | instid1(VALU_DEP_2)
	v_add_co_u32 v5, s3, v3, v1
	s_wait_alu 0xf1ff
	v_add_co_ci_u32_e64 v2, null, 0, v4, s3
	v_add_co_u32 v1, s3, 0, v5
	s_wait_alu 0xf1ff
	s_delay_alu instid0(VALU_DEP_2) | instskip(NEXT) | instid1(VALU_DEP_1)
	v_add_co_ci_u32_e64 v2, null, v6, v2, s3
	v_dual_mov_b32 v4, v2 :: v_dual_mov_b32 v3, v1
; %bb.41:
	s_wait_alu 0xfffe
	s_or_b32 exec_lo, exec_lo, s4
	v_mov_b32_dpp v1, v5 row_shr:4 row_mask:0xf bank_mask:0xf
	v_mov_b32_dpp v6, v2 row_shr:4 row_mask:0xf bank_mask:0xf
	v_cmp_lt_u32_e64 s3, 3, v39
	s_and_saveexec_b32 s5, s3
; %bb.42:
	v_add_co_u32 v5, s4, v3, v1
	s_wait_alu 0xf1ff
	v_add_co_ci_u32_e64 v2, null, 0, v4, s4
	s_delay_alu instid0(VALU_DEP_2) | instskip(SKIP_1) | instid1(VALU_DEP_2)
	v_add_co_u32 v1, s4, 0, v5
	s_wait_alu 0xf1ff
	v_add_co_ci_u32_e64 v2, null, v6, v2, s4
	s_delay_alu instid0(VALU_DEP_1)
	v_dual_mov_b32 v4, v2 :: v_dual_mov_b32 v3, v1
; %bb.43:
	s_wait_alu 0xfffe
	s_or_b32 exec_lo, exec_lo, s5
	v_mov_b32_dpp v6, v5 row_shr:8 row_mask:0xf bank_mask:0xf
	v_mov_b32_dpp v1, v2 row_shr:8 row_mask:0xf bank_mask:0xf
	v_cmp_lt_u32_e64 s4, 7, v39
	s_and_saveexec_b32 s12, s4
; %bb.44:
	v_add_co_u32 v5, s5, v3, v6
	s_wait_alu 0xf1ff
	v_add_co_ci_u32_e64 v2, null, 0, v4, s5
	s_delay_alu instid0(VALU_DEP_2) | instskip(SKIP_1) | instid1(VALU_DEP_2)
	v_add_co_u32 v3, s5, 0, v5
	s_wait_alu 0xf1ff
	v_add_co_ci_u32_e64 v4, null, v1, v2, s5
	s_delay_alu instid0(VALU_DEP_1)
	v_mov_b32_e32 v2, v4
; %bb.45:
	s_wait_alu 0xfffe
	s_or_b32 exec_lo, exec_lo, s12
	ds_swizzle_b32 v1, v5 offset:swizzle(BROADCAST,32,15)
	ds_swizzle_b32 v6, v2 offset:swizzle(BROADCAST,32,15)
	v_and_b32_e32 v7, 16, v37
	s_mov_b32 s12, exec_lo
	s_delay_alu instid0(VALU_DEP_1)
	v_cmpx_ne_u32_e32 0, v7
	s_cbranch_execz .LBB826_47
; %bb.46:
	s_wait_dscnt 0x1
	v_add_co_u32 v5, s5, v3, v1
	s_wait_alu 0xf1ff
	v_add_co_ci_u32_e64 v2, null, 0, v4, s5
	s_delay_alu instid0(VALU_DEP_2) | instskip(SKIP_2) | instid1(VALU_DEP_2)
	v_add_co_u32 v1, s5, 0, v5
	s_wait_dscnt 0x0
	s_wait_alu 0xf1ff
	v_add_co_ci_u32_e64 v2, null, v6, v2, s5
	s_delay_alu instid0(VALU_DEP_1)
	v_dual_mov_b32 v4, v2 :: v_dual_mov_b32 v3, v1
.LBB826_47:
	s_wait_alu 0xfffe
	s_or_b32 exec_lo, exec_lo, s12
	s_wait_dscnt 0x1
	v_and_b32_e32 v1, 0x1e0, v0
	s_mov_b32 s12, exec_lo
	s_delay_alu instid0(VALU_DEP_1) | instskip(SKIP_1) | instid1(VALU_DEP_1)
	v_min_u32_e32 v1, 0x160, v1
	s_wait_dscnt 0x0
	v_or_b32_e32 v6, 31, v1
	v_lshrrev_b32_e32 v1, 5, v0
	s_delay_alu instid0(VALU_DEP_2)
	v_cmpx_eq_u32_e64 v0, v6
; %bb.48:
	s_delay_alu instid0(VALU_DEP_2)
	v_lshlrev_b32_e32 v6, 3, v1
	ds_store_b64 v6, v[3:4]
; %bb.49:
	s_wait_alu 0xfffe
	s_or_b32 exec_lo, exec_lo, s12
	s_delay_alu instid0(SALU_CYCLE_1)
	s_mov_b32 s12, exec_lo
	s_wait_loadcnt_dscnt 0x0
	s_barrier_signal -1
	s_barrier_wait -1
	global_inv scope:SCOPE_SE
	v_cmpx_gt_u32_e32 12, v0
	s_cbranch_execz .LBB826_59
; %bb.50:
	v_lshlrev_b32_e32 v6, 3, v0
	ds_load_b64 v[3:4], v6
	s_wait_dscnt 0x0
	v_mov_b32_dpp v17, v3 row_shr:1 row_mask:0xf bank_mask:0xf
	v_mov_b32_dpp v8, v4 row_shr:1 row_mask:0xf bank_mask:0xf
	v_mov_b32_e32 v7, v3
	s_and_saveexec_b32 s13, s2
; %bb.51:
	s_delay_alu instid0(VALU_DEP_3) | instskip(SKIP_2) | instid1(VALU_DEP_2)
	v_add_co_u32 v7, s5, v3, v17
	s_wait_alu 0xf1ff
	v_add_co_ci_u32_e64 v4, null, 0, v4, s5
	v_add_co_u32 v3, s5, 0, v7
	s_wait_alu 0xf1ff
	s_delay_alu instid0(VALU_DEP_2)
	v_add_co_ci_u32_e64 v4, null, v8, v4, s5
; %bb.52:
	s_wait_alu 0xfffe
	s_or_b32 exec_lo, exec_lo, s13
	v_mov_b32_dpp v17, v7 row_shr:2 row_mask:0xf bank_mask:0xf
	s_delay_alu instid0(VALU_DEP_2)
	v_mov_b32_dpp v8, v4 row_shr:2 row_mask:0xf bank_mask:0xf
	s_and_saveexec_b32 s5, vcc_lo
; %bb.53:
	s_delay_alu instid0(VALU_DEP_2) | instskip(SKIP_2) | instid1(VALU_DEP_2)
	v_add_co_u32 v7, vcc_lo, v3, v17
	s_wait_alu 0xfffd
	v_add_co_ci_u32_e64 v4, null, 0, v4, vcc_lo
	v_add_co_u32 v3, vcc_lo, 0, v7
	s_wait_alu 0xfffd
	s_delay_alu instid0(VALU_DEP_2)
	v_add_co_ci_u32_e64 v4, null, v8, v4, vcc_lo
; %bb.54:
	s_wait_alu 0xfffe
	s_or_b32 exec_lo, exec_lo, s5
	v_mov_b32_dpp v17, v7 row_shr:4 row_mask:0xf bank_mask:0xf
	s_delay_alu instid0(VALU_DEP_2)
	v_mov_b32_dpp v8, v4 row_shr:4 row_mask:0xf bank_mask:0xf
	s_and_saveexec_b32 s5, s3
; %bb.55:
	s_delay_alu instid0(VALU_DEP_2) | instskip(SKIP_2) | instid1(VALU_DEP_2)
	v_add_co_u32 v7, vcc_lo, v3, v17
	s_wait_alu 0xfffd
	v_add_co_ci_u32_e64 v4, null, 0, v4, vcc_lo
	v_add_co_u32 v3, vcc_lo, 0, v7
	s_wait_alu 0xfffd
	s_delay_alu instid0(VALU_DEP_2)
	v_add_co_ci_u32_e64 v4, null, v8, v4, vcc_lo
; %bb.56:
	s_wait_alu 0xfffe
	s_or_b32 exec_lo, exec_lo, s5
	v_mov_b32_dpp v8, v7 row_shr:8 row_mask:0xf bank_mask:0xf
	s_delay_alu instid0(VALU_DEP_2)
	v_mov_b32_dpp v7, v4 row_shr:8 row_mask:0xf bank_mask:0xf
	s_and_saveexec_b32 s3, s4
; %bb.57:
	s_delay_alu instid0(VALU_DEP_2) | instskip(SKIP_2) | instid1(VALU_DEP_2)
	v_add_co_u32 v3, vcc_lo, v3, v8
	s_wait_alu 0xfffd
	v_add_co_ci_u32_e64 v4, null, 0, v4, vcc_lo
	v_add_co_u32 v3, vcc_lo, v3, 0
	s_wait_alu 0xfffd
	s_delay_alu instid0(VALU_DEP_2)
	v_add_co_ci_u32_e64 v4, null, v4, v7, vcc_lo
; %bb.58:
	s_wait_alu 0xfffe
	s_or_b32 exec_lo, exec_lo, s3
	ds_store_b64 v6, v[3:4]
.LBB826_59:
	s_wait_alu 0xfffe
	s_or_b32 exec_lo, exec_lo, s12
	s_delay_alu instid0(SALU_CYCLE_1)
	s_mov_b32 s4, exec_lo
	v_cmp_gt_u32_e32 vcc_lo, 32, v0
	s_wait_loadcnt_dscnt 0x0
	s_barrier_signal -1
	s_barrier_wait -1
	global_inv scope:SCOPE_SE
                                        ; implicit-def: $vgpr17_vgpr18
	v_cmpx_lt_u32_e32 31, v0
	s_cbranch_execz .LBB826_61
; %bb.60:
	v_lshl_add_u32 v1, v1, 3, -8
	ds_load_b64 v[17:18], v1
	s_wait_dscnt 0x0
	v_add_co_u32 v5, s3, v5, v17
	s_wait_alu 0xf1ff
	v_add_co_ci_u32_e64 v2, null, v2, v18, s3
.LBB826_61:
	s_wait_alu 0xfffe
	s_or_b32 exec_lo, exec_lo, s4
	v_sub_co_u32 v1, s3, v37, 1
	s_delay_alu instid0(VALU_DEP_1) | instskip(SKIP_1) | instid1(VALU_DEP_1)
	v_cmp_gt_i32_e64 s4, 0, v1
	s_wait_alu 0xf1ff
	v_cndmask_b32_e64 v1, v1, v37, s4
	s_delay_alu instid0(VALU_DEP_1)
	v_lshlrev_b32_e32 v1, 2, v1
	ds_bpermute_b32 v23, v1, v5
	ds_bpermute_b32 v24, v1, v2
	s_and_saveexec_b32 s4, vcc_lo
	s_cbranch_execz .LBB826_100
; %bb.62:
	v_mov_b32_e32 v4, 0
	ds_load_b64 v[1:2], v4 offset:88
	s_and_saveexec_b32 s5, s3
	s_cbranch_execz .LBB826_64
; %bb.63:
	s_add_co_i32 s12, ttmp9, 32
	s_mov_b32 s13, 0
	s_wait_alu 0xfffe
	s_lshl_b64 s[12:13], s[12:13], 4
	s_wait_kmcnt 0x0
	s_wait_alu 0xfffe
	s_add_nc_u64 s[12:13], s[10:11], s[12:13]
	v_mov_b32_e32 v3, 1
	s_wait_alu 0xfffe
	v_dual_mov_b32 v5, s12 :: v_dual_mov_b32 v6, s13
	s_wait_dscnt 0x0
	;;#ASMSTART
	global_store_b128 v[5:6], v[1:4] off scope:SCOPE_DEV	
s_wait_storecnt 0x0
	;;#ASMEND
.LBB826_64:
	s_wait_alu 0xfffe
	s_or_b32 exec_lo, exec_lo, s5
	v_xad_u32 v19, v37, -1, ttmp9
	s_mov_b32 s12, 0
	s_mov_b32 s5, exec_lo
	s_delay_alu instid0(VALU_DEP_1) | instskip(NEXT) | instid1(VALU_DEP_1)
	v_add_nc_u32_e32 v3, 32, v19
	v_lshlrev_b64_e32 v[3:4], 4, v[3:4]
	s_wait_kmcnt 0x0
	s_delay_alu instid0(VALU_DEP_1) | instskip(SKIP_1) | instid1(VALU_DEP_2)
	v_add_co_u32 v3, vcc_lo, s10, v3
	s_wait_alu 0xfffd
	v_add_co_ci_u32_e64 v4, null, s11, v4, vcc_lo
	;;#ASMSTART
	global_load_b128 v[5:8], v[3:4] off scope:SCOPE_DEV	
s_wait_loadcnt 0x0
	;;#ASMEND
	v_and_b32_e32 v8, 0xff, v7
	s_delay_alu instid0(VALU_DEP_1)
	v_cmpx_eq_u16_e32 0, v8
	s_cbranch_execz .LBB826_67
.LBB826_65:                             ; =>This Inner Loop Header: Depth=1
	;;#ASMSTART
	global_load_b128 v[5:8], v[3:4] off scope:SCOPE_DEV	
s_wait_loadcnt 0x0
	;;#ASMEND
	v_and_b32_e32 v8, 0xff, v7
	s_delay_alu instid0(VALU_DEP_1)
	v_cmp_ne_u16_e32 vcc_lo, 0, v8
	s_wait_alu 0xfffe
	s_or_b32 s12, vcc_lo, s12
	s_wait_alu 0xfffe
	s_and_not1_b32 exec_lo, exec_lo, s12
	s_cbranch_execnz .LBB826_65
; %bb.66:
	s_or_b32 exec_lo, exec_lo, s12
.LBB826_67:
	s_wait_alu 0xfffe
	s_or_b32 exec_lo, exec_lo, s5
	v_cmp_ne_u32_e32 vcc_lo, 31, v37
	v_and_b32_e32 v4, 0xff, v7
	v_lshlrev_b32_e64 v26, v37, -1
	s_mov_b32 s5, exec_lo
	s_wait_alu 0xfffd
	v_add_co_ci_u32_e64 v3, null, 0, v37, vcc_lo
	v_cmp_eq_u16_e32 vcc_lo, 2, v4
	s_delay_alu instid0(VALU_DEP_2)
	v_dual_mov_b32 v4, v5 :: v_dual_lshlrev_b32 v25, 2, v3
	s_wait_alu 0xfffd
	v_and_or_b32 v3, vcc_lo, v26, 0x80000000
	ds_bpermute_b32 v20, v25, v5
	ds_bpermute_b32 v8, v25, v6
	v_ctz_i32_b32_e32 v3, v3
	s_delay_alu instid0(VALU_DEP_1)
	v_cmpx_lt_u32_e64 v37, v3
	s_cbranch_execz .LBB826_69
; %bb.68:
	s_wait_dscnt 0x1
	v_add_co_u32 v4, vcc_lo, v5, v20
	s_wait_alu 0xfffd
	v_add_co_ci_u32_e64 v6, null, 0, v6, vcc_lo
	s_delay_alu instid0(VALU_DEP_2) | instskip(SKIP_2) | instid1(VALU_DEP_2)
	v_add_co_u32 v5, vcc_lo, 0, v4
	s_wait_dscnt 0x0
	s_wait_alu 0xfffd
	v_add_co_ci_u32_e64 v6, null, v8, v6, vcc_lo
.LBB826_69:
	s_wait_alu 0xfffe
	s_or_b32 exec_lo, exec_lo, s5
	v_cmp_gt_u32_e32 vcc_lo, 30, v37
	v_add_nc_u32_e32 v28, 2, v37
	s_mov_b32 s5, exec_lo
	s_wait_dscnt 0x0
	s_wait_alu 0xfffd
	v_cndmask_b32_e64 v8, 0, 2, vcc_lo
	s_delay_alu instid0(VALU_DEP_1)
	v_add_lshl_u32 v27, v8, v37, 2
	ds_bpermute_b32 v20, v27, v4
	ds_bpermute_b32 v8, v27, v6
	v_cmpx_le_u32_e64 v28, v3
	s_cbranch_execz .LBB826_71
; %bb.70:
	s_wait_dscnt 0x1
	v_add_co_u32 v4, vcc_lo, v5, v20
	s_wait_alu 0xfffd
	v_add_co_ci_u32_e64 v6, null, 0, v6, vcc_lo
	s_delay_alu instid0(VALU_DEP_2) | instskip(SKIP_2) | instid1(VALU_DEP_2)
	v_add_co_u32 v5, vcc_lo, 0, v4
	s_wait_dscnt 0x0
	s_wait_alu 0xfffd
	v_add_co_ci_u32_e64 v6, null, v8, v6, vcc_lo
.LBB826_71:
	s_wait_alu 0xfffe
	s_or_b32 exec_lo, exec_lo, s5
	v_cmp_gt_u32_e32 vcc_lo, 28, v37
	v_add_nc_u32_e32 v41, 4, v37
	s_mov_b32 s5, exec_lo
	s_wait_dscnt 0x0
	s_wait_alu 0xfffd
	v_cndmask_b32_e64 v8, 0, 4, vcc_lo
	s_delay_alu instid0(VALU_DEP_1)
	v_add_lshl_u32 v40, v8, v37, 2
	ds_bpermute_b32 v20, v40, v4
	ds_bpermute_b32 v8, v40, v6
	v_cmpx_le_u32_e64 v41, v3
	;; [unrolled: 25-line block ×3, first 2 shown]
	s_cbranch_execz .LBB826_75
; %bb.74:
	s_wait_dscnt 0x1
	v_add_co_u32 v4, vcc_lo, v5, v20
	s_wait_alu 0xfffd
	v_add_co_ci_u32_e64 v6, null, 0, v6, vcc_lo
	s_delay_alu instid0(VALU_DEP_2) | instskip(SKIP_2) | instid1(VALU_DEP_2)
	v_add_co_u32 v5, vcc_lo, 0, v4
	s_wait_dscnt 0x0
	s_wait_alu 0xfffd
	v_add_co_ci_u32_e64 v6, null, v8, v6, vcc_lo
.LBB826_75:
	s_wait_alu 0xfffe
	s_or_b32 exec_lo, exec_lo, s5
	v_lshl_or_b32 v44, v37, 2, 64
	v_add_nc_u32_e32 v45, 16, v37
	s_mov_b32 s5, exec_lo
	s_wait_dscnt 0x0
	ds_bpermute_b32 v8, v44, v4
	ds_bpermute_b32 v4, v44, v6
	v_cmpx_le_u32_e64 v45, v3
	s_cbranch_execz .LBB826_77
; %bb.76:
	s_wait_dscnt 0x1
	v_add_co_u32 v3, vcc_lo, v5, v8
	s_wait_alu 0xfffd
	v_add_co_ci_u32_e64 v6, null, 0, v6, vcc_lo
	s_delay_alu instid0(VALU_DEP_2) | instskip(SKIP_2) | instid1(VALU_DEP_2)
	v_add_co_u32 v5, vcc_lo, v3, 0
	s_wait_dscnt 0x0
	s_wait_alu 0xfffd
	v_add_co_ci_u32_e64 v6, null, v6, v4, vcc_lo
.LBB826_77:
	s_wait_alu 0xfffe
	s_or_b32 exec_lo, exec_lo, s5
	v_mov_b32_e32 v20, 0
	s_branch .LBB826_80
.LBB826_78:                             ;   in Loop: Header=BB826_80 Depth=1
	s_wait_alu 0xfffe
	s_or_b32 exec_lo, exec_lo, s5
	v_add_co_u32 v5, vcc_lo, v5, v3
	v_subrev_nc_u32_e32 v19, 32, v19
	s_wait_alu 0xfffd
	v_add_co_ci_u32_e64 v6, null, v6, v4, vcc_lo
	s_mov_b32 s5, 0
.LBB826_79:                             ;   in Loop: Header=BB826_80 Depth=1
	s_wait_alu 0xfffe
	s_and_b32 vcc_lo, exec_lo, s5
	s_wait_alu 0xfffe
	s_cbranch_vccnz .LBB826_96
.LBB826_80:                             ; =>This Loop Header: Depth=1
                                        ;     Child Loop BB826_83 Depth 2
	v_and_b32_e32 v3, 0xff, v7
	s_mov_b32 s5, -1
	s_delay_alu instid0(VALU_DEP_1)
	v_cmp_ne_u16_e32 vcc_lo, 2, v3
	s_wait_dscnt 0x0
	v_dual_mov_b32 v3, v5 :: v_dual_mov_b32 v4, v6
                                        ; implicit-def: $vgpr5_vgpr6
	s_cmp_lg_u32 vcc_lo, exec_lo
	s_cbranch_scc1 .LBB826_79
; %bb.81:                               ;   in Loop: Header=BB826_80 Depth=1
	v_lshlrev_b64_e32 v[5:6], 4, v[19:20]
	s_mov_b32 s5, exec_lo
	s_delay_alu instid0(VALU_DEP_1) | instskip(SKIP_1) | instid1(VALU_DEP_2)
	v_add_co_u32 v21, vcc_lo, s10, v5
	s_wait_alu 0xfffd
	v_add_co_ci_u32_e64 v22, null, s11, v6, vcc_lo
	;;#ASMSTART
	global_load_b128 v[5:8], v[21:22] off scope:SCOPE_DEV	
s_wait_loadcnt 0x0
	;;#ASMEND
	v_and_b32_e32 v8, 0xff, v7
	s_delay_alu instid0(VALU_DEP_1)
	v_cmpx_eq_u16_e32 0, v8
	s_cbranch_execz .LBB826_85
; %bb.82:                               ;   in Loop: Header=BB826_80 Depth=1
	s_mov_b32 s12, 0
.LBB826_83:                             ;   Parent Loop BB826_80 Depth=1
                                        ; =>  This Inner Loop Header: Depth=2
	;;#ASMSTART
	global_load_b128 v[5:8], v[21:22] off scope:SCOPE_DEV	
s_wait_loadcnt 0x0
	;;#ASMEND
	v_and_b32_e32 v8, 0xff, v7
	s_delay_alu instid0(VALU_DEP_1)
	v_cmp_ne_u16_e32 vcc_lo, 0, v8
	s_wait_alu 0xfffe
	s_or_b32 s12, vcc_lo, s12
	s_wait_alu 0xfffe
	s_and_not1_b32 exec_lo, exec_lo, s12
	s_cbranch_execnz .LBB826_83
; %bb.84:                               ;   in Loop: Header=BB826_80 Depth=1
	s_or_b32 exec_lo, exec_lo, s12
.LBB826_85:                             ;   in Loop: Header=BB826_80 Depth=1
	s_wait_alu 0xfffe
	s_or_b32 exec_lo, exec_lo, s5
	v_dual_mov_b32 v21, v5 :: v_dual_and_b32 v8, 0xff, v7
	ds_bpermute_b32 v46, v25, v5
	ds_bpermute_b32 v22, v25, v6
	s_mov_b32 s5, exec_lo
	v_cmp_eq_u16_e32 vcc_lo, 2, v8
	s_wait_alu 0xfffd
	v_and_or_b32 v8, vcc_lo, v26, 0x80000000
	s_delay_alu instid0(VALU_DEP_1) | instskip(NEXT) | instid1(VALU_DEP_1)
	v_ctz_i32_b32_e32 v8, v8
	v_cmpx_lt_u32_e64 v37, v8
	s_cbranch_execz .LBB826_87
; %bb.86:                               ;   in Loop: Header=BB826_80 Depth=1
	s_wait_dscnt 0x1
	v_add_co_u32 v21, vcc_lo, v5, v46
	s_wait_alu 0xfffd
	v_add_co_ci_u32_e64 v6, null, 0, v6, vcc_lo
	s_delay_alu instid0(VALU_DEP_2) | instskip(SKIP_2) | instid1(VALU_DEP_2)
	v_add_co_u32 v5, vcc_lo, 0, v21
	s_wait_dscnt 0x0
	s_wait_alu 0xfffd
	v_add_co_ci_u32_e64 v6, null, v22, v6, vcc_lo
.LBB826_87:                             ;   in Loop: Header=BB826_80 Depth=1
	s_wait_alu 0xfffe
	s_or_b32 exec_lo, exec_lo, s5
	s_wait_dscnt 0x1
	ds_bpermute_b32 v46, v27, v21
	s_wait_dscnt 0x1
	ds_bpermute_b32 v22, v27, v6
	s_mov_b32 s5, exec_lo
	v_cmpx_le_u32_e64 v28, v8
	s_cbranch_execz .LBB826_89
; %bb.88:                               ;   in Loop: Header=BB826_80 Depth=1
	s_wait_dscnt 0x1
	v_add_co_u32 v21, vcc_lo, v5, v46
	s_wait_alu 0xfffd
	v_add_co_ci_u32_e64 v6, null, 0, v6, vcc_lo
	s_delay_alu instid0(VALU_DEP_2) | instskip(SKIP_2) | instid1(VALU_DEP_2)
	v_add_co_u32 v5, vcc_lo, 0, v21
	s_wait_dscnt 0x0
	s_wait_alu 0xfffd
	v_add_co_ci_u32_e64 v6, null, v22, v6, vcc_lo
.LBB826_89:                             ;   in Loop: Header=BB826_80 Depth=1
	s_wait_alu 0xfffe
	s_or_b32 exec_lo, exec_lo, s5
	s_wait_dscnt 0x1
	ds_bpermute_b32 v46, v40, v21
	s_wait_dscnt 0x1
	ds_bpermute_b32 v22, v40, v6
	s_mov_b32 s5, exec_lo
	v_cmpx_le_u32_e64 v41, v8
	;; [unrolled: 20-line block ×3, first 2 shown]
	s_cbranch_execz .LBB826_93
; %bb.92:                               ;   in Loop: Header=BB826_80 Depth=1
	s_wait_dscnt 0x1
	v_add_co_u32 v21, vcc_lo, v5, v46
	s_wait_alu 0xfffd
	v_add_co_ci_u32_e64 v6, null, 0, v6, vcc_lo
	s_delay_alu instid0(VALU_DEP_2) | instskip(SKIP_2) | instid1(VALU_DEP_2)
	v_add_co_u32 v5, vcc_lo, 0, v21
	s_wait_dscnt 0x0
	s_wait_alu 0xfffd
	v_add_co_ci_u32_e64 v6, null, v22, v6, vcc_lo
.LBB826_93:                             ;   in Loop: Header=BB826_80 Depth=1
	s_wait_alu 0xfffe
	s_or_b32 exec_lo, exec_lo, s5
	s_wait_dscnt 0x0
	ds_bpermute_b32 v22, v44, v21
	ds_bpermute_b32 v21, v44, v6
	s_mov_b32 s5, exec_lo
	v_cmpx_le_u32_e64 v45, v8
	s_cbranch_execz .LBB826_78
; %bb.94:                               ;   in Loop: Header=BB826_80 Depth=1
	s_wait_dscnt 0x1
	v_add_co_u32 v5, vcc_lo, v5, v22
	s_wait_alu 0xfffd
	v_add_co_ci_u32_e64 v6, null, 0, v6, vcc_lo
	s_delay_alu instid0(VALU_DEP_2) | instskip(SKIP_2) | instid1(VALU_DEP_2)
	v_add_co_u32 v5, vcc_lo, v5, 0
	s_wait_dscnt 0x0
	s_wait_alu 0xfffd
	v_add_co_ci_u32_e64 v6, null, v6, v21, vcc_lo
	s_branch .LBB826_78
.LBB826_95:
                                        ; implicit-def: $vgpr17_vgpr18
                                        ; implicit-def: $vgpr6_vgpr7
                                        ; implicit-def: $vgpr19_vgpr20
                                        ; implicit-def: $vgpr21_vgpr22
                                        ; implicit-def: $vgpr23_vgpr24
                                        ; implicit-def: $vgpr25_vgpr26
                                        ; implicit-def: $vgpr27_vgpr28
                                        ; implicit-def: $vgpr4_vgpr5
	s_load_b64 s[4:5], s[0:1], 0x30
	s_and_b32 vcc_lo, exec_lo, s3
	s_wait_alu 0xfffe
	s_cbranch_vccnz .LBB826_101
	s_branch .LBB826_128
.LBB826_96:
	s_and_saveexec_b32 s5, s3
	s_cbranch_execz .LBB826_98
; %bb.97:
	s_add_co_i32 s12, ttmp9, 32
	s_mov_b32 s13, 0
	v_add_co_u32 v5, vcc_lo, v3, v1
	s_wait_alu 0xfffe
	s_lshl_b64 s[12:13], s[12:13], 4
	v_dual_mov_b32 v7, 2 :: v_dual_mov_b32 v8, 0
	s_wait_alu 0xfffe
	s_add_nc_u64 s[12:13], s[10:11], s[12:13]
	s_wait_alu 0xfffd
	v_add_co_ci_u32_e64 v6, null, v4, v2, vcc_lo
	s_wait_alu 0xfffe
	v_dual_mov_b32 v20, s13 :: v_dual_mov_b32 v19, s12
	;;#ASMSTART
	global_store_b128 v[19:20], v[5:8] off scope:SCOPE_DEV	
s_wait_storecnt 0x0
	;;#ASMEND
	ds_store_b128 v8, v[1:4] offset:10752
.LBB826_98:
	s_wait_alu 0xfffe
	s_or_b32 exec_lo, exec_lo, s5
	v_cmp_eq_u32_e32 vcc_lo, 0, v0
	s_and_b32 exec_lo, exec_lo, vcc_lo
; %bb.99:
	v_mov_b32_e32 v1, 0
	ds_store_b64 v1, v[3:4] offset:88
.LBB826_100:
	s_wait_alu 0xfffe
	s_or_b32 exec_lo, exec_lo, s4
	s_wait_dscnt 0x1
	v_cndmask_b32_e64 v4, v23, v17, s3
	v_cmp_ne_u32_e32 vcc_lo, 0, v0
	v_mov_b32_e32 v3, 0
	s_wait_loadcnt_dscnt 0x0
	s_barrier_signal -1
	s_barrier_wait -1
	global_inv scope:SCOPE_SE
	s_wait_alu 0xfffd
	v_cndmask_b32_e32 v4, 0, v4, vcc_lo
	ds_load_b64 v[1:2], v3 offset:88
	v_cndmask_b32_e64 v5, v24, v18, s3
	s_wait_loadcnt_dscnt 0x0
	s_barrier_signal -1
	s_barrier_wait -1
	global_inv scope:SCOPE_SE
	v_cndmask_b32_e32 v5, 0, v5, vcc_lo
	v_add_co_u32 v27, vcc_lo, v1, v4
	s_wait_alu 0xfffd
	s_delay_alu instid0(VALU_DEP_2) | instskip(SKIP_4) | instid1(VALU_DEP_2)
	v_add_co_ci_u32_e64 v28, null, v2, v5, vcc_lo
	ds_load_b128 v[2:5], v3 offset:10752
	v_add_co_u32 v25, vcc_lo, v27, v36
	s_wait_alu 0xfffd
	v_add_co_ci_u32_e64 v26, null, 0, v28, vcc_lo
	v_add_co_u32 v23, vcc_lo, v25, v35
	s_wait_alu 0xfffd
	s_delay_alu instid0(VALU_DEP_2) | instskip(NEXT) | instid1(VALU_DEP_2)
	v_add_co_ci_u32_e64 v24, null, 0, v26, vcc_lo
	v_add_co_u32 v21, vcc_lo, v23, v33
	s_wait_alu 0xfffd
	s_delay_alu instid0(VALU_DEP_2) | instskip(NEXT) | instid1(VALU_DEP_2)
	;; [unrolled: 4-line block ×4, first 2 shown]
	v_add_co_ci_u32_e64 v7, null, 0, v20, vcc_lo
	v_add_co_u32 v17, vcc_lo, v6, v31
	s_wait_alu 0xfffd
	s_delay_alu instid0(VALU_DEP_2)
	v_add_co_ci_u32_e64 v18, null, 0, v7, vcc_lo
	s_load_b64 s[4:5], s[0:1], 0x30
	s_branch .LBB826_128
.LBB826_101:
	s_wait_dscnt 0x0
	v_dual_mov_b32 v2, 0 :: v_dual_mov_b32 v3, v15
	v_mov_b32_dpp v4, v15 row_shr:1 row_mask:0xf bank_mask:0xf
	s_delay_alu instid0(VALU_DEP_2)
	v_mov_b32_dpp v1, v2 row_shr:1 row_mask:0xf bank_mask:0xf
	s_and_saveexec_b32 s0, s2
; %bb.102:
	s_delay_alu instid0(VALU_DEP_2) | instskip(SKIP_2) | instid1(VALU_DEP_2)
	v_add_co_u32 v3, vcc_lo, v15, v4
	s_wait_alu 0xfffd
	v_add_co_ci_u32_e64 v2, null, 0, v16, vcc_lo
	v_add_co_u32 v15, vcc_lo, 0, v3
	s_wait_alu 0xfffd
	s_delay_alu instid0(VALU_DEP_2) | instskip(NEXT) | instid1(VALU_DEP_1)
	v_add_co_ci_u32_e64 v16, null, v1, v2, vcc_lo
	v_mov_b32_e32 v2, v16
; %bb.103:
	s_or_b32 exec_lo, exec_lo, s0
	v_mov_b32_dpp v1, v3 row_shr:2 row_mask:0xf bank_mask:0xf
	s_delay_alu instid0(VALU_DEP_2)
	v_mov_b32_dpp v4, v2 row_shr:2 row_mask:0xf bank_mask:0xf
	v_cmp_lt_u32_e32 vcc_lo, 1, v39
	s_and_saveexec_b32 s1, vcc_lo
; %bb.104:
	s_delay_alu instid0(VALU_DEP_3) | instskip(NEXT) | instid1(VALU_DEP_1)
	v_add_co_u32 v3, s0, v15, v1
	v_add_co_ci_u32_e64 v2, null, 0, v16, s0
	s_delay_alu instid0(VALU_DEP_2) | instskip(SKIP_1) | instid1(VALU_DEP_2)
	v_add_co_u32 v1, s0, 0, v3
	s_wait_alu 0xf1ff
	v_add_co_ci_u32_e64 v2, null, v4, v2, s0
	s_delay_alu instid0(VALU_DEP_1)
	v_dual_mov_b32 v16, v2 :: v_dual_mov_b32 v15, v1
; %bb.105:
	s_or_b32 exec_lo, exec_lo, s1
	v_mov_b32_dpp v1, v3 row_shr:4 row_mask:0xf bank_mask:0xf
	v_mov_b32_dpp v4, v2 row_shr:4 row_mask:0xf bank_mask:0xf
	v_cmp_lt_u32_e64 s0, 3, v39
	s_and_saveexec_b32 s3, s0
; %bb.106:
	v_add_co_u32 v3, s1, v15, v1
	s_wait_alu 0xf1ff
	v_add_co_ci_u32_e64 v2, null, 0, v16, s1
	s_delay_alu instid0(VALU_DEP_2) | instskip(SKIP_1) | instid1(VALU_DEP_2)
	v_add_co_u32 v1, s1, 0, v3
	s_wait_alu 0xf1ff
	v_add_co_ci_u32_e64 v2, null, v4, v2, s1
	s_delay_alu instid0(VALU_DEP_1)
	v_dual_mov_b32 v16, v2 :: v_dual_mov_b32 v15, v1
; %bb.107:
	s_wait_alu 0xfffe
	s_or_b32 exec_lo, exec_lo, s3
	v_mov_b32_dpp v4, v3 row_shr:8 row_mask:0xf bank_mask:0xf
	v_mov_b32_dpp v1, v2 row_shr:8 row_mask:0xf bank_mask:0xf
	v_cmp_lt_u32_e64 s1, 7, v39
	s_and_saveexec_b32 s12, s1
; %bb.108:
	v_add_co_u32 v3, s3, v15, v4
	s_wait_alu 0xf1ff
	v_add_co_ci_u32_e64 v2, null, 0, v16, s3
	s_delay_alu instid0(VALU_DEP_2) | instskip(SKIP_1) | instid1(VALU_DEP_2)
	v_add_co_u32 v15, s3, 0, v3
	s_wait_alu 0xf1ff
	v_add_co_ci_u32_e64 v16, null, v1, v2, s3
	s_delay_alu instid0(VALU_DEP_1)
	v_mov_b32_e32 v2, v16
; %bb.109:
	s_wait_alu 0xfffe
	s_or_b32 exec_lo, exec_lo, s12
	ds_swizzle_b32 v3, v3 offset:swizzle(BROADCAST,32,15)
	ds_swizzle_b32 v1, v2 offset:swizzle(BROADCAST,32,15)
	v_and_b32_e32 v2, 16, v37
	s_mov_b32 s12, exec_lo
	s_delay_alu instid0(VALU_DEP_1)
	v_cmpx_ne_u32_e32 0, v2
	s_cbranch_execz .LBB826_111
; %bb.110:
	s_wait_dscnt 0x1
	v_add_co_u32 v2, s3, v15, v3
	s_wait_alu 0xf1ff
	v_add_co_ci_u32_e64 v3, null, 0, v16, s3
	s_delay_alu instid0(VALU_DEP_2) | instskip(SKIP_2) | instid1(VALU_DEP_2)
	v_add_co_u32 v15, s3, v2, 0
	s_wait_dscnt 0x0
	s_wait_alu 0xf1ff
	v_add_co_ci_u32_e64 v16, null, v3, v1, s3
.LBB826_111:
	s_wait_alu 0xfffe
	s_or_b32 exec_lo, exec_lo, s12
	s_wait_dscnt 0x0
	v_and_b32_e32 v1, 0x1e0, v0
	v_lshrrev_b32_e32 v3, 5, v0
	s_mov_b32 s12, exec_lo
	s_delay_alu instid0(VALU_DEP_2) | instskip(NEXT) | instid1(VALU_DEP_1)
	v_min_u32_e32 v1, 0x160, v1
	v_or_b32_e32 v1, 31, v1
	s_delay_alu instid0(VALU_DEP_1)
	v_cmpx_eq_u32_e64 v0, v1
; %bb.112:
	v_lshlrev_b32_e32 v1, 3, v3
	ds_store_b64 v1, v[15:16]
; %bb.113:
	s_wait_alu 0xfffe
	s_or_b32 exec_lo, exec_lo, s12
	s_delay_alu instid0(SALU_CYCLE_1)
	s_mov_b32 s12, exec_lo
	s_wait_loadcnt_dscnt 0x0
	s_barrier_signal -1
	s_barrier_wait -1
	global_inv scope:SCOPE_SE
	v_cmpx_gt_u32_e32 12, v0
	s_cbranch_execz .LBB826_123
; %bb.114:
	v_add_nc_u32_e32 v4, v38, v0
	ds_load_b64 v[1:2], v4
	s_wait_dscnt 0x0
	v_mov_b32_dpp v7, v1 row_shr:1 row_mask:0xf bank_mask:0xf
	v_mov_b32_dpp v6, v2 row_shr:1 row_mask:0xf bank_mask:0xf
	v_mov_b32_e32 v5, v1
	s_and_saveexec_b32 s3, s2
; %bb.115:
	s_delay_alu instid0(VALU_DEP_3) | instskip(SKIP_2) | instid1(VALU_DEP_2)
	v_add_co_u32 v5, s2, v1, v7
	s_wait_alu 0xf1ff
	v_add_co_ci_u32_e64 v2, null, 0, v2, s2
	v_add_co_u32 v1, s2, 0, v5
	s_wait_alu 0xf1ff
	s_delay_alu instid0(VALU_DEP_2)
	v_add_co_ci_u32_e64 v2, null, v6, v2, s2
; %bb.116:
	s_wait_alu 0xfffe
	s_or_b32 exec_lo, exec_lo, s3
	v_mov_b32_dpp v7, v5 row_shr:2 row_mask:0xf bank_mask:0xf
	s_delay_alu instid0(VALU_DEP_2)
	v_mov_b32_dpp v6, v2 row_shr:2 row_mask:0xf bank_mask:0xf
	s_and_saveexec_b32 s2, vcc_lo
; %bb.117:
	s_delay_alu instid0(VALU_DEP_2) | instskip(SKIP_2) | instid1(VALU_DEP_2)
	v_add_co_u32 v5, vcc_lo, v1, v7
	s_wait_alu 0xfffd
	v_add_co_ci_u32_e64 v2, null, 0, v2, vcc_lo
	v_add_co_u32 v1, vcc_lo, 0, v5
	s_wait_alu 0xfffd
	s_delay_alu instid0(VALU_DEP_2)
	v_add_co_ci_u32_e64 v2, null, v6, v2, vcc_lo
; %bb.118:
	s_wait_alu 0xfffe
	s_or_b32 exec_lo, exec_lo, s2
	v_mov_b32_dpp v7, v5 row_shr:4 row_mask:0xf bank_mask:0xf
	s_delay_alu instid0(VALU_DEP_2)
	v_mov_b32_dpp v6, v2 row_shr:4 row_mask:0xf bank_mask:0xf
	s_and_saveexec_b32 s2, s0
; %bb.119:
	s_delay_alu instid0(VALU_DEP_2) | instskip(SKIP_2) | instid1(VALU_DEP_2)
	v_add_co_u32 v5, vcc_lo, v1, v7
	s_wait_alu 0xfffd
	v_add_co_ci_u32_e64 v2, null, 0, v2, vcc_lo
	v_add_co_u32 v1, vcc_lo, 0, v5
	s_wait_alu 0xfffd
	s_delay_alu instid0(VALU_DEP_2)
	v_add_co_ci_u32_e64 v2, null, v6, v2, vcc_lo
; %bb.120:
	s_wait_alu 0xfffe
	s_or_b32 exec_lo, exec_lo, s2
	v_mov_b32_dpp v6, v5 row_shr:8 row_mask:0xf bank_mask:0xf
	s_delay_alu instid0(VALU_DEP_2)
	v_mov_b32_dpp v5, v2 row_shr:8 row_mask:0xf bank_mask:0xf
	s_and_saveexec_b32 s0, s1
; %bb.121:
	s_delay_alu instid0(VALU_DEP_2) | instskip(SKIP_2) | instid1(VALU_DEP_2)
	v_add_co_u32 v1, vcc_lo, v1, v6
	s_wait_alu 0xfffd
	v_add_co_ci_u32_e64 v2, null, 0, v2, vcc_lo
	v_add_co_u32 v1, vcc_lo, v1, 0
	s_wait_alu 0xfffd
	s_delay_alu instid0(VALU_DEP_2)
	v_add_co_ci_u32_e64 v2, null, v2, v5, vcc_lo
; %bb.122:
	s_wait_alu 0xfffe
	s_or_b32 exec_lo, exec_lo, s0
	ds_store_b64 v4, v[1:2]
.LBB826_123:
	s_wait_alu 0xfffe
	s_or_b32 exec_lo, exec_lo, s12
	v_mov_b32_e32 v6, 0
	v_mov_b32_e32 v7, 0
	s_mov_b32 s0, exec_lo
	s_wait_loadcnt_dscnt 0x0
	s_barrier_signal -1
	s_barrier_wait -1
	global_inv scope:SCOPE_SE
	v_cmpx_lt_u32_e32 31, v0
; %bb.124:
	v_lshl_add_u32 v1, v3, 3, -8
	ds_load_b64 v[6:7], v1
; %bb.125:
	s_wait_alu 0xfffe
	s_or_b32 exec_lo, exec_lo, s0
	v_sub_co_u32 v1, vcc_lo, v37, 1
	v_mov_b32_e32 v5, 0
	s_delay_alu instid0(VALU_DEP_2) | instskip(SKIP_1) | instid1(VALU_DEP_1)
	v_cmp_gt_i32_e64 s0, 0, v1
	s_wait_alu 0xf1ff
	v_cndmask_b32_e64 v1, v1, v37, s0
	s_delay_alu instid0(VALU_DEP_1)
	v_lshlrev_b32_e32 v2, 2, v1
	s_wait_dscnt 0x0
	v_add_co_u32 v1, s0, v6, v15
	s_wait_alu 0xf1ff
	v_add_co_ci_u32_e64 v3, null, v7, v16, s0
	v_cmp_eq_u32_e64 s0, 0, v0
	ds_bpermute_b32 v1, v2, v1
	ds_bpermute_b32 v8, v2, v3
	ds_load_b64 v[2:3], v5 offset:88
	s_and_saveexec_b32 s1, s0
	s_cbranch_execz .LBB826_127
; %bb.126:
	s_wait_kmcnt 0x0
	s_add_nc_u64 s[2:3], s[10:11], 0x200
	v_mov_b32_e32 v4, 2
	s_wait_alu 0xfffe
	v_dual_mov_b32 v16, s3 :: v_dual_mov_b32 v15, s2
	s_wait_dscnt 0x0
	;;#ASMSTART
	global_store_b128 v[15:16], v[2:5] off scope:SCOPE_DEV	
s_wait_storecnt 0x0
	;;#ASMEND
.LBB826_127:
	s_wait_alu 0xfffe
	s_or_b32 exec_lo, exec_lo, s1
	s_wait_dscnt 0x1
	s_wait_alu 0xfffd
	v_dual_cndmask_b32 v1, v1, v6 :: v_dual_cndmask_b32 v4, v8, v7
	s_wait_loadcnt_dscnt 0x0
	s_barrier_signal -1
	s_barrier_wait -1
	s_delay_alu instid0(VALU_DEP_1)
	v_cndmask_b32_e64 v27, v1, 0, s0
	v_cndmask_b32_e64 v28, v4, 0, s0
	v_mov_b32_e32 v4, 0
	v_mov_b32_e32 v5, 0
	global_inv scope:SCOPE_SE
	v_add_co_u32 v25, vcc_lo, v27, v36
	s_wait_alu 0xfffd
	v_add_co_ci_u32_e64 v26, null, 0, v28, vcc_lo
	s_delay_alu instid0(VALU_DEP_2) | instskip(SKIP_1) | instid1(VALU_DEP_2)
	v_add_co_u32 v23, vcc_lo, v25, v35
	s_wait_alu 0xfffd
	v_add_co_ci_u32_e64 v24, null, 0, v26, vcc_lo
	s_delay_alu instid0(VALU_DEP_2) | instskip(SKIP_1) | instid1(VALU_DEP_2)
	;; [unrolled: 4-line block ×5, first 2 shown]
	v_add_co_u32 v17, vcc_lo, v6, v31
	s_wait_alu 0xfffd
	v_add_co_ci_u32_e64 v18, null, 0, v7, vcc_lo
.LBB826_128:
	s_wait_dscnt 0x0
	v_cmp_gt_u64_e32 vcc_lo, 0x181, v[2:3]
	v_cmp_eq_u32_e64 s0, 1, v36
	s_mov_b32 s1, -1
	s_cbranch_vccnz .LBB826_132
; %bb.129:
	s_wait_alu 0xfffe
	s_and_b32 vcc_lo, exec_lo, s1
	s_wait_alu 0xfffe
	s_cbranch_vccnz .LBB826_147
.LBB826_130:
	v_cmp_eq_u32_e32 vcc_lo, 0, v0
	s_and_b32 s0, vcc_lo, s16
	s_wait_alu 0xfffe
	s_and_saveexec_b32 s1, s0
	s_cbranch_execnz .LBB826_164
.LBB826_131:
	s_endpgm
.LBB826_132:
	v_add_co_u32 v15, vcc_lo, v4, v2
	s_wait_alu 0xfffd
	v_add_co_ci_u32_e64 v16, null, v5, v3, vcc_lo
	s_lshl_b64 s[2:3], s[6:7], 2
	s_wait_kmcnt 0x0
	s_wait_alu 0xfffe
	s_add_nc_u64 s[2:3], s[4:5], s[2:3]
	v_cmp_lt_u64_e32 vcc_lo, v[27:28], v[15:16]
	s_or_b32 s1, s17, vcc_lo
	s_wait_alu 0xfffe
	s_and_b32 s1, s1, s0
	s_wait_alu 0xfffe
	s_and_saveexec_b32 s0, s1
	s_cbranch_execz .LBB826_134
; %bb.133:
	v_lshlrev_b64_e32 v[37:38], 2, v[27:28]
	s_delay_alu instid0(VALU_DEP_1) | instskip(SKIP_1) | instid1(VALU_DEP_2)
	v_add_co_u32 v37, vcc_lo, s2, v37
	s_wait_alu 0xfffd
	v_add_co_ci_u32_e64 v38, null, s3, v38, vcc_lo
	global_store_b32 v[37:38], v13, off
.LBB826_134:
	s_wait_alu 0xfffe
	s_or_b32 exec_lo, exec_lo, s0
	v_cmp_lt_u64_e32 vcc_lo, v[25:26], v[15:16]
	v_cmp_eq_u32_e64 s0, 1, v35
	s_or_b32 s1, s17, vcc_lo
	s_wait_alu 0xfffe
	s_and_b32 s1, s1, s0
	s_wait_alu 0xfffe
	s_and_saveexec_b32 s0, s1
	s_cbranch_execz .LBB826_136
; %bb.135:
	v_lshlrev_b64_e32 v[37:38], 2, v[25:26]
	s_delay_alu instid0(VALU_DEP_1) | instskip(SKIP_1) | instid1(VALU_DEP_2)
	v_add_co_u32 v37, vcc_lo, s2, v37
	s_wait_alu 0xfffd
	v_add_co_ci_u32_e64 v38, null, s3, v38, vcc_lo
	global_store_b32 v[37:38], v14, off
.LBB826_136:
	s_wait_alu 0xfffe
	s_or_b32 exec_lo, exec_lo, s0
	v_cmp_lt_u64_e32 vcc_lo, v[23:24], v[15:16]
	v_cmp_eq_u32_e64 s0, 1, v33
	;; [unrolled: 18-line block ×6, first 2 shown]
	s_or_b32 s1, s17, vcc_lo
	s_wait_alu 0xfffe
	s_and_b32 s1, s1, s0
	s_wait_alu 0xfffe
	s_and_saveexec_b32 s0, s1
	s_cbranch_execz .LBB826_146
; %bb.145:
	v_lshlrev_b64_e32 v[7:8], 2, v[17:18]
	s_delay_alu instid0(VALU_DEP_1) | instskip(SKIP_1) | instid1(VALU_DEP_2)
	v_add_co_u32 v7, vcc_lo, s2, v7
	s_wait_alu 0xfffd
	v_add_co_ci_u32_e64 v8, null, s3, v8, vcc_lo
	global_store_b32 v[7:8], v29, off
.LBB826_146:
	s_wait_alu 0xfffe
	s_or_b32 exec_lo, exec_lo, s0
	s_branch .LBB826_130
.LBB826_147:
	s_mov_b32 s0, exec_lo
	v_cmpx_eq_u32_e32 1, v36
; %bb.148:
	v_sub_nc_u32_e32 v1, v27, v4
	s_delay_alu instid0(VALU_DEP_1)
	v_lshlrev_b32_e32 v1, 2, v1
	ds_store_b32 v1, v13
; %bb.149:
	s_wait_alu 0xfffe
	s_or_b32 exec_lo, exec_lo, s0
	s_delay_alu instid0(SALU_CYCLE_1)
	s_mov_b32 s0, exec_lo
	v_cmpx_eq_u32_e32 1, v35
; %bb.150:
	v_sub_nc_u32_e32 v1, v25, v4
	s_delay_alu instid0(VALU_DEP_1)
	v_lshlrev_b32_e32 v1, 2, v1
	ds_store_b32 v1, v14
; %bb.151:
	s_wait_alu 0xfffe
	s_or_b32 exec_lo, exec_lo, s0
	s_delay_alu instid0(SALU_CYCLE_1)
	;; [unrolled: 11-line block ×6, first 2 shown]
	s_mov_b32 s0, exec_lo
	v_cmpx_eq_u32_e32 1, v30
; %bb.160:
	v_sub_nc_u32_e32 v1, v17, v4
	s_delay_alu instid0(VALU_DEP_1)
	v_lshlrev_b32_e32 v1, 2, v1
	ds_store_b32 v1, v29
; %bb.161:
	s_wait_alu 0xfffe
	s_or_b32 exec_lo, exec_lo, s0
	v_lshlrev_b64_e32 v[8:9], 2, v[4:5]
	v_mov_b32_e32 v7, 0
	s_lshl_b64 s[0:1], s[6:7], 2
	s_wait_storecnt 0x0
	s_wait_loadcnt_dscnt 0x0
	s_barrier_signal -1
	s_barrier_wait -1
	s_wait_kmcnt 0x0
	v_add_co_u32 v6, vcc_lo, s4, v8
	s_wait_alu 0xfffd
	v_add_co_ci_u32_e64 v8, null, s5, v9, vcc_lo
	global_inv scope:SCOPE_SE
	s_wait_alu 0xfffe
	v_add_co_u32 v10, vcc_lo, v6, s0
	v_dual_mov_b32 v1, v7 :: v_dual_add_nc_u32 v6, 0x180, v0
	s_wait_alu 0xfffd
	v_add_co_ci_u32_e64 v11, null, s1, v8, vcc_lo
	s_mov_b32 s1, 0
	v_dual_mov_b32 v9, v1 :: v_dual_mov_b32 v8, v0
.LBB826_162:                            ; =>This Inner Loop Header: Depth=1
	s_delay_alu instid0(VALU_DEP_1) | instskip(NEXT) | instid1(VALU_DEP_2)
	v_lshlrev_b32_e32 v1, 2, v8
	v_lshlrev_b64_e32 v[12:13], 2, v[8:9]
	v_dual_mov_b32 v9, v7 :: v_dual_mov_b32 v8, v6
	v_cmp_le_u64_e32 vcc_lo, v[2:3], v[6:7]
	ds_load_b32 v1, v1
	v_add_nc_u32_e32 v6, 0x180, v6
	v_add_co_u32 v12, s0, v10, v12
	s_wait_alu 0xf1ff
	v_add_co_ci_u32_e64 v13, null, v11, v13, s0
	s_wait_alu 0xfffe
	s_or_b32 s1, vcc_lo, s1
	s_wait_dscnt 0x0
	global_store_b32 v[12:13], v1, off
	s_wait_alu 0xfffe
	s_and_not1_b32 exec_lo, exec_lo, s1
	s_cbranch_execnz .LBB826_162
; %bb.163:
	s_or_b32 exec_lo, exec_lo, s1
	v_cmp_eq_u32_e32 vcc_lo, 0, v0
	s_and_b32 s0, vcc_lo, s16
	s_wait_alu 0xfffe
	s_and_saveexec_b32 s1, s0
	s_cbranch_execz .LBB826_131
.LBB826_164:
	v_add_co_u32 v0, vcc_lo, v4, v2
	s_wait_alu 0xfffd
	v_add_co_ci_u32_e64 v1, null, v5, v3, vcc_lo
	v_mov_b32_e32 v2, 0
	s_delay_alu instid0(VALU_DEP_3) | instskip(SKIP_1) | instid1(VALU_DEP_3)
	v_add_co_u32 v0, vcc_lo, v0, s6
	s_wait_alu 0xfffd
	v_add_co_ci_u32_e64 v1, null, s7, v1, vcc_lo
	global_store_b64 v2, v[0:1], s[8:9]
	s_endpgm
	.section	.rodata,"a",@progbits
	.p2align	6, 0x0
	.amdhsa_kernel _ZN7rocprim17ROCPRIM_400000_NS6detail17trampoline_kernelINS0_14default_configENS1_25partition_config_selectorILNS1_17partition_subalgoE5EfNS0_10empty_typeEbEEZZNS1_14partition_implILS5_5ELb0ES3_mN6thrust23THRUST_200600_302600_NS6detail15normal_iteratorINSA_10device_ptrIfEEEEPS6_NSA_18transform_iteratorINSB_9not_fun_tINSA_8identityIfEEEESF_NSA_11use_defaultESM_EENS0_5tupleIJSF_S6_EEENSO_IJSG_SG_EEES6_PlJS6_EEE10hipError_tPvRmT3_T4_T5_T6_T7_T9_mT8_P12ihipStream_tbDpT10_ENKUlT_T0_E_clISt17integral_constantIbLb0EES1B_EEDaS16_S17_EUlS16_E_NS1_11comp_targetILNS1_3genE10ELNS1_11target_archE1200ELNS1_3gpuE4ELNS1_3repE0EEENS1_30default_config_static_selectorELNS0_4arch9wavefront6targetE0EEEvT1_
		.amdhsa_group_segment_fixed_size 10768
		.amdhsa_private_segment_fixed_size 0
		.amdhsa_kernarg_size 120
		.amdhsa_user_sgpr_count 2
		.amdhsa_user_sgpr_dispatch_ptr 0
		.amdhsa_user_sgpr_queue_ptr 0
		.amdhsa_user_sgpr_kernarg_segment_ptr 1
		.amdhsa_user_sgpr_dispatch_id 0
		.amdhsa_user_sgpr_private_segment_size 0
		.amdhsa_wavefront_size32 1
		.amdhsa_uses_dynamic_stack 0
		.amdhsa_enable_private_segment 0
		.amdhsa_system_sgpr_workgroup_id_x 1
		.amdhsa_system_sgpr_workgroup_id_y 0
		.amdhsa_system_sgpr_workgroup_id_z 0
		.amdhsa_system_sgpr_workgroup_info 0
		.amdhsa_system_vgpr_workitem_id 0
		.amdhsa_next_free_vgpr 47
		.amdhsa_next_free_sgpr 22
		.amdhsa_reserve_vcc 1
		.amdhsa_float_round_mode_32 0
		.amdhsa_float_round_mode_16_64 0
		.amdhsa_float_denorm_mode_32 3
		.amdhsa_float_denorm_mode_16_64 3
		.amdhsa_fp16_overflow 0
		.amdhsa_workgroup_processor_mode 1
		.amdhsa_memory_ordered 1
		.amdhsa_forward_progress 1
		.amdhsa_inst_pref_size 66
		.amdhsa_round_robin_scheduling 0
		.amdhsa_exception_fp_ieee_invalid_op 0
		.amdhsa_exception_fp_denorm_src 0
		.amdhsa_exception_fp_ieee_div_zero 0
		.amdhsa_exception_fp_ieee_overflow 0
		.amdhsa_exception_fp_ieee_underflow 0
		.amdhsa_exception_fp_ieee_inexact 0
		.amdhsa_exception_int_div_zero 0
	.end_amdhsa_kernel
	.section	.text._ZN7rocprim17ROCPRIM_400000_NS6detail17trampoline_kernelINS0_14default_configENS1_25partition_config_selectorILNS1_17partition_subalgoE5EfNS0_10empty_typeEbEEZZNS1_14partition_implILS5_5ELb0ES3_mN6thrust23THRUST_200600_302600_NS6detail15normal_iteratorINSA_10device_ptrIfEEEEPS6_NSA_18transform_iteratorINSB_9not_fun_tINSA_8identityIfEEEESF_NSA_11use_defaultESM_EENS0_5tupleIJSF_S6_EEENSO_IJSG_SG_EEES6_PlJS6_EEE10hipError_tPvRmT3_T4_T5_T6_T7_T9_mT8_P12ihipStream_tbDpT10_ENKUlT_T0_E_clISt17integral_constantIbLb0EES1B_EEDaS16_S17_EUlS16_E_NS1_11comp_targetILNS1_3genE10ELNS1_11target_archE1200ELNS1_3gpuE4ELNS1_3repE0EEENS1_30default_config_static_selectorELNS0_4arch9wavefront6targetE0EEEvT1_,"axG",@progbits,_ZN7rocprim17ROCPRIM_400000_NS6detail17trampoline_kernelINS0_14default_configENS1_25partition_config_selectorILNS1_17partition_subalgoE5EfNS0_10empty_typeEbEEZZNS1_14partition_implILS5_5ELb0ES3_mN6thrust23THRUST_200600_302600_NS6detail15normal_iteratorINSA_10device_ptrIfEEEEPS6_NSA_18transform_iteratorINSB_9not_fun_tINSA_8identityIfEEEESF_NSA_11use_defaultESM_EENS0_5tupleIJSF_S6_EEENSO_IJSG_SG_EEES6_PlJS6_EEE10hipError_tPvRmT3_T4_T5_T6_T7_T9_mT8_P12ihipStream_tbDpT10_ENKUlT_T0_E_clISt17integral_constantIbLb0EES1B_EEDaS16_S17_EUlS16_E_NS1_11comp_targetILNS1_3genE10ELNS1_11target_archE1200ELNS1_3gpuE4ELNS1_3repE0EEENS1_30default_config_static_selectorELNS0_4arch9wavefront6targetE0EEEvT1_,comdat
.Lfunc_end826:
	.size	_ZN7rocprim17ROCPRIM_400000_NS6detail17trampoline_kernelINS0_14default_configENS1_25partition_config_selectorILNS1_17partition_subalgoE5EfNS0_10empty_typeEbEEZZNS1_14partition_implILS5_5ELb0ES3_mN6thrust23THRUST_200600_302600_NS6detail15normal_iteratorINSA_10device_ptrIfEEEEPS6_NSA_18transform_iteratorINSB_9not_fun_tINSA_8identityIfEEEESF_NSA_11use_defaultESM_EENS0_5tupleIJSF_S6_EEENSO_IJSG_SG_EEES6_PlJS6_EEE10hipError_tPvRmT3_T4_T5_T6_T7_T9_mT8_P12ihipStream_tbDpT10_ENKUlT_T0_E_clISt17integral_constantIbLb0EES1B_EEDaS16_S17_EUlS16_E_NS1_11comp_targetILNS1_3genE10ELNS1_11target_archE1200ELNS1_3gpuE4ELNS1_3repE0EEENS1_30default_config_static_selectorELNS0_4arch9wavefront6targetE0EEEvT1_, .Lfunc_end826-_ZN7rocprim17ROCPRIM_400000_NS6detail17trampoline_kernelINS0_14default_configENS1_25partition_config_selectorILNS1_17partition_subalgoE5EfNS0_10empty_typeEbEEZZNS1_14partition_implILS5_5ELb0ES3_mN6thrust23THRUST_200600_302600_NS6detail15normal_iteratorINSA_10device_ptrIfEEEEPS6_NSA_18transform_iteratorINSB_9not_fun_tINSA_8identityIfEEEESF_NSA_11use_defaultESM_EENS0_5tupleIJSF_S6_EEENSO_IJSG_SG_EEES6_PlJS6_EEE10hipError_tPvRmT3_T4_T5_T6_T7_T9_mT8_P12ihipStream_tbDpT10_ENKUlT_T0_E_clISt17integral_constantIbLb0EES1B_EEDaS16_S17_EUlS16_E_NS1_11comp_targetILNS1_3genE10ELNS1_11target_archE1200ELNS1_3gpuE4ELNS1_3repE0EEENS1_30default_config_static_selectorELNS0_4arch9wavefront6targetE0EEEvT1_
                                        ; -- End function
	.set _ZN7rocprim17ROCPRIM_400000_NS6detail17trampoline_kernelINS0_14default_configENS1_25partition_config_selectorILNS1_17partition_subalgoE5EfNS0_10empty_typeEbEEZZNS1_14partition_implILS5_5ELb0ES3_mN6thrust23THRUST_200600_302600_NS6detail15normal_iteratorINSA_10device_ptrIfEEEEPS6_NSA_18transform_iteratorINSB_9not_fun_tINSA_8identityIfEEEESF_NSA_11use_defaultESM_EENS0_5tupleIJSF_S6_EEENSO_IJSG_SG_EEES6_PlJS6_EEE10hipError_tPvRmT3_T4_T5_T6_T7_T9_mT8_P12ihipStream_tbDpT10_ENKUlT_T0_E_clISt17integral_constantIbLb0EES1B_EEDaS16_S17_EUlS16_E_NS1_11comp_targetILNS1_3genE10ELNS1_11target_archE1200ELNS1_3gpuE4ELNS1_3repE0EEENS1_30default_config_static_selectorELNS0_4arch9wavefront6targetE0EEEvT1_.num_vgpr, 47
	.set _ZN7rocprim17ROCPRIM_400000_NS6detail17trampoline_kernelINS0_14default_configENS1_25partition_config_selectorILNS1_17partition_subalgoE5EfNS0_10empty_typeEbEEZZNS1_14partition_implILS5_5ELb0ES3_mN6thrust23THRUST_200600_302600_NS6detail15normal_iteratorINSA_10device_ptrIfEEEEPS6_NSA_18transform_iteratorINSB_9not_fun_tINSA_8identityIfEEEESF_NSA_11use_defaultESM_EENS0_5tupleIJSF_S6_EEENSO_IJSG_SG_EEES6_PlJS6_EEE10hipError_tPvRmT3_T4_T5_T6_T7_T9_mT8_P12ihipStream_tbDpT10_ENKUlT_T0_E_clISt17integral_constantIbLb0EES1B_EEDaS16_S17_EUlS16_E_NS1_11comp_targetILNS1_3genE10ELNS1_11target_archE1200ELNS1_3gpuE4ELNS1_3repE0EEENS1_30default_config_static_selectorELNS0_4arch9wavefront6targetE0EEEvT1_.num_agpr, 0
	.set _ZN7rocprim17ROCPRIM_400000_NS6detail17trampoline_kernelINS0_14default_configENS1_25partition_config_selectorILNS1_17partition_subalgoE5EfNS0_10empty_typeEbEEZZNS1_14partition_implILS5_5ELb0ES3_mN6thrust23THRUST_200600_302600_NS6detail15normal_iteratorINSA_10device_ptrIfEEEEPS6_NSA_18transform_iteratorINSB_9not_fun_tINSA_8identityIfEEEESF_NSA_11use_defaultESM_EENS0_5tupleIJSF_S6_EEENSO_IJSG_SG_EEES6_PlJS6_EEE10hipError_tPvRmT3_T4_T5_T6_T7_T9_mT8_P12ihipStream_tbDpT10_ENKUlT_T0_E_clISt17integral_constantIbLb0EES1B_EEDaS16_S17_EUlS16_E_NS1_11comp_targetILNS1_3genE10ELNS1_11target_archE1200ELNS1_3gpuE4ELNS1_3repE0EEENS1_30default_config_static_selectorELNS0_4arch9wavefront6targetE0EEEvT1_.numbered_sgpr, 22
	.set _ZN7rocprim17ROCPRIM_400000_NS6detail17trampoline_kernelINS0_14default_configENS1_25partition_config_selectorILNS1_17partition_subalgoE5EfNS0_10empty_typeEbEEZZNS1_14partition_implILS5_5ELb0ES3_mN6thrust23THRUST_200600_302600_NS6detail15normal_iteratorINSA_10device_ptrIfEEEEPS6_NSA_18transform_iteratorINSB_9not_fun_tINSA_8identityIfEEEESF_NSA_11use_defaultESM_EENS0_5tupleIJSF_S6_EEENSO_IJSG_SG_EEES6_PlJS6_EEE10hipError_tPvRmT3_T4_T5_T6_T7_T9_mT8_P12ihipStream_tbDpT10_ENKUlT_T0_E_clISt17integral_constantIbLb0EES1B_EEDaS16_S17_EUlS16_E_NS1_11comp_targetILNS1_3genE10ELNS1_11target_archE1200ELNS1_3gpuE4ELNS1_3repE0EEENS1_30default_config_static_selectorELNS0_4arch9wavefront6targetE0EEEvT1_.num_named_barrier, 0
	.set _ZN7rocprim17ROCPRIM_400000_NS6detail17trampoline_kernelINS0_14default_configENS1_25partition_config_selectorILNS1_17partition_subalgoE5EfNS0_10empty_typeEbEEZZNS1_14partition_implILS5_5ELb0ES3_mN6thrust23THRUST_200600_302600_NS6detail15normal_iteratorINSA_10device_ptrIfEEEEPS6_NSA_18transform_iteratorINSB_9not_fun_tINSA_8identityIfEEEESF_NSA_11use_defaultESM_EENS0_5tupleIJSF_S6_EEENSO_IJSG_SG_EEES6_PlJS6_EEE10hipError_tPvRmT3_T4_T5_T6_T7_T9_mT8_P12ihipStream_tbDpT10_ENKUlT_T0_E_clISt17integral_constantIbLb0EES1B_EEDaS16_S17_EUlS16_E_NS1_11comp_targetILNS1_3genE10ELNS1_11target_archE1200ELNS1_3gpuE4ELNS1_3repE0EEENS1_30default_config_static_selectorELNS0_4arch9wavefront6targetE0EEEvT1_.private_seg_size, 0
	.set _ZN7rocprim17ROCPRIM_400000_NS6detail17trampoline_kernelINS0_14default_configENS1_25partition_config_selectorILNS1_17partition_subalgoE5EfNS0_10empty_typeEbEEZZNS1_14partition_implILS5_5ELb0ES3_mN6thrust23THRUST_200600_302600_NS6detail15normal_iteratorINSA_10device_ptrIfEEEEPS6_NSA_18transform_iteratorINSB_9not_fun_tINSA_8identityIfEEEESF_NSA_11use_defaultESM_EENS0_5tupleIJSF_S6_EEENSO_IJSG_SG_EEES6_PlJS6_EEE10hipError_tPvRmT3_T4_T5_T6_T7_T9_mT8_P12ihipStream_tbDpT10_ENKUlT_T0_E_clISt17integral_constantIbLb0EES1B_EEDaS16_S17_EUlS16_E_NS1_11comp_targetILNS1_3genE10ELNS1_11target_archE1200ELNS1_3gpuE4ELNS1_3repE0EEENS1_30default_config_static_selectorELNS0_4arch9wavefront6targetE0EEEvT1_.uses_vcc, 1
	.set _ZN7rocprim17ROCPRIM_400000_NS6detail17trampoline_kernelINS0_14default_configENS1_25partition_config_selectorILNS1_17partition_subalgoE5EfNS0_10empty_typeEbEEZZNS1_14partition_implILS5_5ELb0ES3_mN6thrust23THRUST_200600_302600_NS6detail15normal_iteratorINSA_10device_ptrIfEEEEPS6_NSA_18transform_iteratorINSB_9not_fun_tINSA_8identityIfEEEESF_NSA_11use_defaultESM_EENS0_5tupleIJSF_S6_EEENSO_IJSG_SG_EEES6_PlJS6_EEE10hipError_tPvRmT3_T4_T5_T6_T7_T9_mT8_P12ihipStream_tbDpT10_ENKUlT_T0_E_clISt17integral_constantIbLb0EES1B_EEDaS16_S17_EUlS16_E_NS1_11comp_targetILNS1_3genE10ELNS1_11target_archE1200ELNS1_3gpuE4ELNS1_3repE0EEENS1_30default_config_static_selectorELNS0_4arch9wavefront6targetE0EEEvT1_.uses_flat_scratch, 1
	.set _ZN7rocprim17ROCPRIM_400000_NS6detail17trampoline_kernelINS0_14default_configENS1_25partition_config_selectorILNS1_17partition_subalgoE5EfNS0_10empty_typeEbEEZZNS1_14partition_implILS5_5ELb0ES3_mN6thrust23THRUST_200600_302600_NS6detail15normal_iteratorINSA_10device_ptrIfEEEEPS6_NSA_18transform_iteratorINSB_9not_fun_tINSA_8identityIfEEEESF_NSA_11use_defaultESM_EENS0_5tupleIJSF_S6_EEENSO_IJSG_SG_EEES6_PlJS6_EEE10hipError_tPvRmT3_T4_T5_T6_T7_T9_mT8_P12ihipStream_tbDpT10_ENKUlT_T0_E_clISt17integral_constantIbLb0EES1B_EEDaS16_S17_EUlS16_E_NS1_11comp_targetILNS1_3genE10ELNS1_11target_archE1200ELNS1_3gpuE4ELNS1_3repE0EEENS1_30default_config_static_selectorELNS0_4arch9wavefront6targetE0EEEvT1_.has_dyn_sized_stack, 0
	.set _ZN7rocprim17ROCPRIM_400000_NS6detail17trampoline_kernelINS0_14default_configENS1_25partition_config_selectorILNS1_17partition_subalgoE5EfNS0_10empty_typeEbEEZZNS1_14partition_implILS5_5ELb0ES3_mN6thrust23THRUST_200600_302600_NS6detail15normal_iteratorINSA_10device_ptrIfEEEEPS6_NSA_18transform_iteratorINSB_9not_fun_tINSA_8identityIfEEEESF_NSA_11use_defaultESM_EENS0_5tupleIJSF_S6_EEENSO_IJSG_SG_EEES6_PlJS6_EEE10hipError_tPvRmT3_T4_T5_T6_T7_T9_mT8_P12ihipStream_tbDpT10_ENKUlT_T0_E_clISt17integral_constantIbLb0EES1B_EEDaS16_S17_EUlS16_E_NS1_11comp_targetILNS1_3genE10ELNS1_11target_archE1200ELNS1_3gpuE4ELNS1_3repE0EEENS1_30default_config_static_selectorELNS0_4arch9wavefront6targetE0EEEvT1_.has_recursion, 0
	.set _ZN7rocprim17ROCPRIM_400000_NS6detail17trampoline_kernelINS0_14default_configENS1_25partition_config_selectorILNS1_17partition_subalgoE5EfNS0_10empty_typeEbEEZZNS1_14partition_implILS5_5ELb0ES3_mN6thrust23THRUST_200600_302600_NS6detail15normal_iteratorINSA_10device_ptrIfEEEEPS6_NSA_18transform_iteratorINSB_9not_fun_tINSA_8identityIfEEEESF_NSA_11use_defaultESM_EENS0_5tupleIJSF_S6_EEENSO_IJSG_SG_EEES6_PlJS6_EEE10hipError_tPvRmT3_T4_T5_T6_T7_T9_mT8_P12ihipStream_tbDpT10_ENKUlT_T0_E_clISt17integral_constantIbLb0EES1B_EEDaS16_S17_EUlS16_E_NS1_11comp_targetILNS1_3genE10ELNS1_11target_archE1200ELNS1_3gpuE4ELNS1_3repE0EEENS1_30default_config_static_selectorELNS0_4arch9wavefront6targetE0EEEvT1_.has_indirect_call, 0
	.section	.AMDGPU.csdata,"",@progbits
; Kernel info:
; codeLenInByte = 8416
; TotalNumSgprs: 24
; NumVgprs: 47
; ScratchSize: 0
; MemoryBound: 0
; FloatMode: 240
; IeeeMode: 1
; LDSByteSize: 10768 bytes/workgroup (compile time only)
; SGPRBlocks: 0
; VGPRBlocks: 5
; NumSGPRsForWavesPerEU: 24
; NumVGPRsForWavesPerEU: 47
; Occupancy: 15
; WaveLimiterHint : 1
; COMPUTE_PGM_RSRC2:SCRATCH_EN: 0
; COMPUTE_PGM_RSRC2:USER_SGPR: 2
; COMPUTE_PGM_RSRC2:TRAP_HANDLER: 0
; COMPUTE_PGM_RSRC2:TGID_X_EN: 1
; COMPUTE_PGM_RSRC2:TGID_Y_EN: 0
; COMPUTE_PGM_RSRC2:TGID_Z_EN: 0
; COMPUTE_PGM_RSRC2:TIDIG_COMP_CNT: 0
	.section	.text._ZN7rocprim17ROCPRIM_400000_NS6detail17trampoline_kernelINS0_14default_configENS1_25partition_config_selectorILNS1_17partition_subalgoE5EfNS0_10empty_typeEbEEZZNS1_14partition_implILS5_5ELb0ES3_mN6thrust23THRUST_200600_302600_NS6detail15normal_iteratorINSA_10device_ptrIfEEEEPS6_NSA_18transform_iteratorINSB_9not_fun_tINSA_8identityIfEEEESF_NSA_11use_defaultESM_EENS0_5tupleIJSF_S6_EEENSO_IJSG_SG_EEES6_PlJS6_EEE10hipError_tPvRmT3_T4_T5_T6_T7_T9_mT8_P12ihipStream_tbDpT10_ENKUlT_T0_E_clISt17integral_constantIbLb0EES1B_EEDaS16_S17_EUlS16_E_NS1_11comp_targetILNS1_3genE9ELNS1_11target_archE1100ELNS1_3gpuE3ELNS1_3repE0EEENS1_30default_config_static_selectorELNS0_4arch9wavefront6targetE0EEEvT1_,"axG",@progbits,_ZN7rocprim17ROCPRIM_400000_NS6detail17trampoline_kernelINS0_14default_configENS1_25partition_config_selectorILNS1_17partition_subalgoE5EfNS0_10empty_typeEbEEZZNS1_14partition_implILS5_5ELb0ES3_mN6thrust23THRUST_200600_302600_NS6detail15normal_iteratorINSA_10device_ptrIfEEEEPS6_NSA_18transform_iteratorINSB_9not_fun_tINSA_8identityIfEEEESF_NSA_11use_defaultESM_EENS0_5tupleIJSF_S6_EEENSO_IJSG_SG_EEES6_PlJS6_EEE10hipError_tPvRmT3_T4_T5_T6_T7_T9_mT8_P12ihipStream_tbDpT10_ENKUlT_T0_E_clISt17integral_constantIbLb0EES1B_EEDaS16_S17_EUlS16_E_NS1_11comp_targetILNS1_3genE9ELNS1_11target_archE1100ELNS1_3gpuE3ELNS1_3repE0EEENS1_30default_config_static_selectorELNS0_4arch9wavefront6targetE0EEEvT1_,comdat
	.protected	_ZN7rocprim17ROCPRIM_400000_NS6detail17trampoline_kernelINS0_14default_configENS1_25partition_config_selectorILNS1_17partition_subalgoE5EfNS0_10empty_typeEbEEZZNS1_14partition_implILS5_5ELb0ES3_mN6thrust23THRUST_200600_302600_NS6detail15normal_iteratorINSA_10device_ptrIfEEEEPS6_NSA_18transform_iteratorINSB_9not_fun_tINSA_8identityIfEEEESF_NSA_11use_defaultESM_EENS0_5tupleIJSF_S6_EEENSO_IJSG_SG_EEES6_PlJS6_EEE10hipError_tPvRmT3_T4_T5_T6_T7_T9_mT8_P12ihipStream_tbDpT10_ENKUlT_T0_E_clISt17integral_constantIbLb0EES1B_EEDaS16_S17_EUlS16_E_NS1_11comp_targetILNS1_3genE9ELNS1_11target_archE1100ELNS1_3gpuE3ELNS1_3repE0EEENS1_30default_config_static_selectorELNS0_4arch9wavefront6targetE0EEEvT1_ ; -- Begin function _ZN7rocprim17ROCPRIM_400000_NS6detail17trampoline_kernelINS0_14default_configENS1_25partition_config_selectorILNS1_17partition_subalgoE5EfNS0_10empty_typeEbEEZZNS1_14partition_implILS5_5ELb0ES3_mN6thrust23THRUST_200600_302600_NS6detail15normal_iteratorINSA_10device_ptrIfEEEEPS6_NSA_18transform_iteratorINSB_9not_fun_tINSA_8identityIfEEEESF_NSA_11use_defaultESM_EENS0_5tupleIJSF_S6_EEENSO_IJSG_SG_EEES6_PlJS6_EEE10hipError_tPvRmT3_T4_T5_T6_T7_T9_mT8_P12ihipStream_tbDpT10_ENKUlT_T0_E_clISt17integral_constantIbLb0EES1B_EEDaS16_S17_EUlS16_E_NS1_11comp_targetILNS1_3genE9ELNS1_11target_archE1100ELNS1_3gpuE3ELNS1_3repE0EEENS1_30default_config_static_selectorELNS0_4arch9wavefront6targetE0EEEvT1_
	.globl	_ZN7rocprim17ROCPRIM_400000_NS6detail17trampoline_kernelINS0_14default_configENS1_25partition_config_selectorILNS1_17partition_subalgoE5EfNS0_10empty_typeEbEEZZNS1_14partition_implILS5_5ELb0ES3_mN6thrust23THRUST_200600_302600_NS6detail15normal_iteratorINSA_10device_ptrIfEEEEPS6_NSA_18transform_iteratorINSB_9not_fun_tINSA_8identityIfEEEESF_NSA_11use_defaultESM_EENS0_5tupleIJSF_S6_EEENSO_IJSG_SG_EEES6_PlJS6_EEE10hipError_tPvRmT3_T4_T5_T6_T7_T9_mT8_P12ihipStream_tbDpT10_ENKUlT_T0_E_clISt17integral_constantIbLb0EES1B_EEDaS16_S17_EUlS16_E_NS1_11comp_targetILNS1_3genE9ELNS1_11target_archE1100ELNS1_3gpuE3ELNS1_3repE0EEENS1_30default_config_static_selectorELNS0_4arch9wavefront6targetE0EEEvT1_
	.p2align	8
	.type	_ZN7rocprim17ROCPRIM_400000_NS6detail17trampoline_kernelINS0_14default_configENS1_25partition_config_selectorILNS1_17partition_subalgoE5EfNS0_10empty_typeEbEEZZNS1_14partition_implILS5_5ELb0ES3_mN6thrust23THRUST_200600_302600_NS6detail15normal_iteratorINSA_10device_ptrIfEEEEPS6_NSA_18transform_iteratorINSB_9not_fun_tINSA_8identityIfEEEESF_NSA_11use_defaultESM_EENS0_5tupleIJSF_S6_EEENSO_IJSG_SG_EEES6_PlJS6_EEE10hipError_tPvRmT3_T4_T5_T6_T7_T9_mT8_P12ihipStream_tbDpT10_ENKUlT_T0_E_clISt17integral_constantIbLb0EES1B_EEDaS16_S17_EUlS16_E_NS1_11comp_targetILNS1_3genE9ELNS1_11target_archE1100ELNS1_3gpuE3ELNS1_3repE0EEENS1_30default_config_static_selectorELNS0_4arch9wavefront6targetE0EEEvT1_,@function
_ZN7rocprim17ROCPRIM_400000_NS6detail17trampoline_kernelINS0_14default_configENS1_25partition_config_selectorILNS1_17partition_subalgoE5EfNS0_10empty_typeEbEEZZNS1_14partition_implILS5_5ELb0ES3_mN6thrust23THRUST_200600_302600_NS6detail15normal_iteratorINSA_10device_ptrIfEEEEPS6_NSA_18transform_iteratorINSB_9not_fun_tINSA_8identityIfEEEESF_NSA_11use_defaultESM_EENS0_5tupleIJSF_S6_EEENSO_IJSG_SG_EEES6_PlJS6_EEE10hipError_tPvRmT3_T4_T5_T6_T7_T9_mT8_P12ihipStream_tbDpT10_ENKUlT_T0_E_clISt17integral_constantIbLb0EES1B_EEDaS16_S17_EUlS16_E_NS1_11comp_targetILNS1_3genE9ELNS1_11target_archE1100ELNS1_3gpuE3ELNS1_3repE0EEENS1_30default_config_static_selectorELNS0_4arch9wavefront6targetE0EEEvT1_: ; @_ZN7rocprim17ROCPRIM_400000_NS6detail17trampoline_kernelINS0_14default_configENS1_25partition_config_selectorILNS1_17partition_subalgoE5EfNS0_10empty_typeEbEEZZNS1_14partition_implILS5_5ELb0ES3_mN6thrust23THRUST_200600_302600_NS6detail15normal_iteratorINSA_10device_ptrIfEEEEPS6_NSA_18transform_iteratorINSB_9not_fun_tINSA_8identityIfEEEESF_NSA_11use_defaultESM_EENS0_5tupleIJSF_S6_EEENSO_IJSG_SG_EEES6_PlJS6_EEE10hipError_tPvRmT3_T4_T5_T6_T7_T9_mT8_P12ihipStream_tbDpT10_ENKUlT_T0_E_clISt17integral_constantIbLb0EES1B_EEDaS16_S17_EUlS16_E_NS1_11comp_targetILNS1_3genE9ELNS1_11target_archE1100ELNS1_3gpuE3ELNS1_3repE0EEENS1_30default_config_static_selectorELNS0_4arch9wavefront6targetE0EEEvT1_
; %bb.0:
	.section	.rodata,"a",@progbits
	.p2align	6, 0x0
	.amdhsa_kernel _ZN7rocprim17ROCPRIM_400000_NS6detail17trampoline_kernelINS0_14default_configENS1_25partition_config_selectorILNS1_17partition_subalgoE5EfNS0_10empty_typeEbEEZZNS1_14partition_implILS5_5ELb0ES3_mN6thrust23THRUST_200600_302600_NS6detail15normal_iteratorINSA_10device_ptrIfEEEEPS6_NSA_18transform_iteratorINSB_9not_fun_tINSA_8identityIfEEEESF_NSA_11use_defaultESM_EENS0_5tupleIJSF_S6_EEENSO_IJSG_SG_EEES6_PlJS6_EEE10hipError_tPvRmT3_T4_T5_T6_T7_T9_mT8_P12ihipStream_tbDpT10_ENKUlT_T0_E_clISt17integral_constantIbLb0EES1B_EEDaS16_S17_EUlS16_E_NS1_11comp_targetILNS1_3genE9ELNS1_11target_archE1100ELNS1_3gpuE3ELNS1_3repE0EEENS1_30default_config_static_selectorELNS0_4arch9wavefront6targetE0EEEvT1_
		.amdhsa_group_segment_fixed_size 0
		.amdhsa_private_segment_fixed_size 0
		.amdhsa_kernarg_size 120
		.amdhsa_user_sgpr_count 2
		.amdhsa_user_sgpr_dispatch_ptr 0
		.amdhsa_user_sgpr_queue_ptr 0
		.amdhsa_user_sgpr_kernarg_segment_ptr 1
		.amdhsa_user_sgpr_dispatch_id 0
		.amdhsa_user_sgpr_private_segment_size 0
		.amdhsa_wavefront_size32 1
		.amdhsa_uses_dynamic_stack 0
		.amdhsa_enable_private_segment 0
		.amdhsa_system_sgpr_workgroup_id_x 1
		.amdhsa_system_sgpr_workgroup_id_y 0
		.amdhsa_system_sgpr_workgroup_id_z 0
		.amdhsa_system_sgpr_workgroup_info 0
		.amdhsa_system_vgpr_workitem_id 0
		.amdhsa_next_free_vgpr 1
		.amdhsa_next_free_sgpr 1
		.amdhsa_reserve_vcc 0
		.amdhsa_float_round_mode_32 0
		.amdhsa_float_round_mode_16_64 0
		.amdhsa_float_denorm_mode_32 3
		.amdhsa_float_denorm_mode_16_64 3
		.amdhsa_fp16_overflow 0
		.amdhsa_workgroup_processor_mode 1
		.amdhsa_memory_ordered 1
		.amdhsa_forward_progress 1
		.amdhsa_inst_pref_size 0
		.amdhsa_round_robin_scheduling 0
		.amdhsa_exception_fp_ieee_invalid_op 0
		.amdhsa_exception_fp_denorm_src 0
		.amdhsa_exception_fp_ieee_div_zero 0
		.amdhsa_exception_fp_ieee_overflow 0
		.amdhsa_exception_fp_ieee_underflow 0
		.amdhsa_exception_fp_ieee_inexact 0
		.amdhsa_exception_int_div_zero 0
	.end_amdhsa_kernel
	.section	.text._ZN7rocprim17ROCPRIM_400000_NS6detail17trampoline_kernelINS0_14default_configENS1_25partition_config_selectorILNS1_17partition_subalgoE5EfNS0_10empty_typeEbEEZZNS1_14partition_implILS5_5ELb0ES3_mN6thrust23THRUST_200600_302600_NS6detail15normal_iteratorINSA_10device_ptrIfEEEEPS6_NSA_18transform_iteratorINSB_9not_fun_tINSA_8identityIfEEEESF_NSA_11use_defaultESM_EENS0_5tupleIJSF_S6_EEENSO_IJSG_SG_EEES6_PlJS6_EEE10hipError_tPvRmT3_T4_T5_T6_T7_T9_mT8_P12ihipStream_tbDpT10_ENKUlT_T0_E_clISt17integral_constantIbLb0EES1B_EEDaS16_S17_EUlS16_E_NS1_11comp_targetILNS1_3genE9ELNS1_11target_archE1100ELNS1_3gpuE3ELNS1_3repE0EEENS1_30default_config_static_selectorELNS0_4arch9wavefront6targetE0EEEvT1_,"axG",@progbits,_ZN7rocprim17ROCPRIM_400000_NS6detail17trampoline_kernelINS0_14default_configENS1_25partition_config_selectorILNS1_17partition_subalgoE5EfNS0_10empty_typeEbEEZZNS1_14partition_implILS5_5ELb0ES3_mN6thrust23THRUST_200600_302600_NS6detail15normal_iteratorINSA_10device_ptrIfEEEEPS6_NSA_18transform_iteratorINSB_9not_fun_tINSA_8identityIfEEEESF_NSA_11use_defaultESM_EENS0_5tupleIJSF_S6_EEENSO_IJSG_SG_EEES6_PlJS6_EEE10hipError_tPvRmT3_T4_T5_T6_T7_T9_mT8_P12ihipStream_tbDpT10_ENKUlT_T0_E_clISt17integral_constantIbLb0EES1B_EEDaS16_S17_EUlS16_E_NS1_11comp_targetILNS1_3genE9ELNS1_11target_archE1100ELNS1_3gpuE3ELNS1_3repE0EEENS1_30default_config_static_selectorELNS0_4arch9wavefront6targetE0EEEvT1_,comdat
.Lfunc_end827:
	.size	_ZN7rocprim17ROCPRIM_400000_NS6detail17trampoline_kernelINS0_14default_configENS1_25partition_config_selectorILNS1_17partition_subalgoE5EfNS0_10empty_typeEbEEZZNS1_14partition_implILS5_5ELb0ES3_mN6thrust23THRUST_200600_302600_NS6detail15normal_iteratorINSA_10device_ptrIfEEEEPS6_NSA_18transform_iteratorINSB_9not_fun_tINSA_8identityIfEEEESF_NSA_11use_defaultESM_EENS0_5tupleIJSF_S6_EEENSO_IJSG_SG_EEES6_PlJS6_EEE10hipError_tPvRmT3_T4_T5_T6_T7_T9_mT8_P12ihipStream_tbDpT10_ENKUlT_T0_E_clISt17integral_constantIbLb0EES1B_EEDaS16_S17_EUlS16_E_NS1_11comp_targetILNS1_3genE9ELNS1_11target_archE1100ELNS1_3gpuE3ELNS1_3repE0EEENS1_30default_config_static_selectorELNS0_4arch9wavefront6targetE0EEEvT1_, .Lfunc_end827-_ZN7rocprim17ROCPRIM_400000_NS6detail17trampoline_kernelINS0_14default_configENS1_25partition_config_selectorILNS1_17partition_subalgoE5EfNS0_10empty_typeEbEEZZNS1_14partition_implILS5_5ELb0ES3_mN6thrust23THRUST_200600_302600_NS6detail15normal_iteratorINSA_10device_ptrIfEEEEPS6_NSA_18transform_iteratorINSB_9not_fun_tINSA_8identityIfEEEESF_NSA_11use_defaultESM_EENS0_5tupleIJSF_S6_EEENSO_IJSG_SG_EEES6_PlJS6_EEE10hipError_tPvRmT3_T4_T5_T6_T7_T9_mT8_P12ihipStream_tbDpT10_ENKUlT_T0_E_clISt17integral_constantIbLb0EES1B_EEDaS16_S17_EUlS16_E_NS1_11comp_targetILNS1_3genE9ELNS1_11target_archE1100ELNS1_3gpuE3ELNS1_3repE0EEENS1_30default_config_static_selectorELNS0_4arch9wavefront6targetE0EEEvT1_
                                        ; -- End function
	.set _ZN7rocprim17ROCPRIM_400000_NS6detail17trampoline_kernelINS0_14default_configENS1_25partition_config_selectorILNS1_17partition_subalgoE5EfNS0_10empty_typeEbEEZZNS1_14partition_implILS5_5ELb0ES3_mN6thrust23THRUST_200600_302600_NS6detail15normal_iteratorINSA_10device_ptrIfEEEEPS6_NSA_18transform_iteratorINSB_9not_fun_tINSA_8identityIfEEEESF_NSA_11use_defaultESM_EENS0_5tupleIJSF_S6_EEENSO_IJSG_SG_EEES6_PlJS6_EEE10hipError_tPvRmT3_T4_T5_T6_T7_T9_mT8_P12ihipStream_tbDpT10_ENKUlT_T0_E_clISt17integral_constantIbLb0EES1B_EEDaS16_S17_EUlS16_E_NS1_11comp_targetILNS1_3genE9ELNS1_11target_archE1100ELNS1_3gpuE3ELNS1_3repE0EEENS1_30default_config_static_selectorELNS0_4arch9wavefront6targetE0EEEvT1_.num_vgpr, 0
	.set _ZN7rocprim17ROCPRIM_400000_NS6detail17trampoline_kernelINS0_14default_configENS1_25partition_config_selectorILNS1_17partition_subalgoE5EfNS0_10empty_typeEbEEZZNS1_14partition_implILS5_5ELb0ES3_mN6thrust23THRUST_200600_302600_NS6detail15normal_iteratorINSA_10device_ptrIfEEEEPS6_NSA_18transform_iteratorINSB_9not_fun_tINSA_8identityIfEEEESF_NSA_11use_defaultESM_EENS0_5tupleIJSF_S6_EEENSO_IJSG_SG_EEES6_PlJS6_EEE10hipError_tPvRmT3_T4_T5_T6_T7_T9_mT8_P12ihipStream_tbDpT10_ENKUlT_T0_E_clISt17integral_constantIbLb0EES1B_EEDaS16_S17_EUlS16_E_NS1_11comp_targetILNS1_3genE9ELNS1_11target_archE1100ELNS1_3gpuE3ELNS1_3repE0EEENS1_30default_config_static_selectorELNS0_4arch9wavefront6targetE0EEEvT1_.num_agpr, 0
	.set _ZN7rocprim17ROCPRIM_400000_NS6detail17trampoline_kernelINS0_14default_configENS1_25partition_config_selectorILNS1_17partition_subalgoE5EfNS0_10empty_typeEbEEZZNS1_14partition_implILS5_5ELb0ES3_mN6thrust23THRUST_200600_302600_NS6detail15normal_iteratorINSA_10device_ptrIfEEEEPS6_NSA_18transform_iteratorINSB_9not_fun_tINSA_8identityIfEEEESF_NSA_11use_defaultESM_EENS0_5tupleIJSF_S6_EEENSO_IJSG_SG_EEES6_PlJS6_EEE10hipError_tPvRmT3_T4_T5_T6_T7_T9_mT8_P12ihipStream_tbDpT10_ENKUlT_T0_E_clISt17integral_constantIbLb0EES1B_EEDaS16_S17_EUlS16_E_NS1_11comp_targetILNS1_3genE9ELNS1_11target_archE1100ELNS1_3gpuE3ELNS1_3repE0EEENS1_30default_config_static_selectorELNS0_4arch9wavefront6targetE0EEEvT1_.numbered_sgpr, 0
	.set _ZN7rocprim17ROCPRIM_400000_NS6detail17trampoline_kernelINS0_14default_configENS1_25partition_config_selectorILNS1_17partition_subalgoE5EfNS0_10empty_typeEbEEZZNS1_14partition_implILS5_5ELb0ES3_mN6thrust23THRUST_200600_302600_NS6detail15normal_iteratorINSA_10device_ptrIfEEEEPS6_NSA_18transform_iteratorINSB_9not_fun_tINSA_8identityIfEEEESF_NSA_11use_defaultESM_EENS0_5tupleIJSF_S6_EEENSO_IJSG_SG_EEES6_PlJS6_EEE10hipError_tPvRmT3_T4_T5_T6_T7_T9_mT8_P12ihipStream_tbDpT10_ENKUlT_T0_E_clISt17integral_constantIbLb0EES1B_EEDaS16_S17_EUlS16_E_NS1_11comp_targetILNS1_3genE9ELNS1_11target_archE1100ELNS1_3gpuE3ELNS1_3repE0EEENS1_30default_config_static_selectorELNS0_4arch9wavefront6targetE0EEEvT1_.num_named_barrier, 0
	.set _ZN7rocprim17ROCPRIM_400000_NS6detail17trampoline_kernelINS0_14default_configENS1_25partition_config_selectorILNS1_17partition_subalgoE5EfNS0_10empty_typeEbEEZZNS1_14partition_implILS5_5ELb0ES3_mN6thrust23THRUST_200600_302600_NS6detail15normal_iteratorINSA_10device_ptrIfEEEEPS6_NSA_18transform_iteratorINSB_9not_fun_tINSA_8identityIfEEEESF_NSA_11use_defaultESM_EENS0_5tupleIJSF_S6_EEENSO_IJSG_SG_EEES6_PlJS6_EEE10hipError_tPvRmT3_T4_T5_T6_T7_T9_mT8_P12ihipStream_tbDpT10_ENKUlT_T0_E_clISt17integral_constantIbLb0EES1B_EEDaS16_S17_EUlS16_E_NS1_11comp_targetILNS1_3genE9ELNS1_11target_archE1100ELNS1_3gpuE3ELNS1_3repE0EEENS1_30default_config_static_selectorELNS0_4arch9wavefront6targetE0EEEvT1_.private_seg_size, 0
	.set _ZN7rocprim17ROCPRIM_400000_NS6detail17trampoline_kernelINS0_14default_configENS1_25partition_config_selectorILNS1_17partition_subalgoE5EfNS0_10empty_typeEbEEZZNS1_14partition_implILS5_5ELb0ES3_mN6thrust23THRUST_200600_302600_NS6detail15normal_iteratorINSA_10device_ptrIfEEEEPS6_NSA_18transform_iteratorINSB_9not_fun_tINSA_8identityIfEEEESF_NSA_11use_defaultESM_EENS0_5tupleIJSF_S6_EEENSO_IJSG_SG_EEES6_PlJS6_EEE10hipError_tPvRmT3_T4_T5_T6_T7_T9_mT8_P12ihipStream_tbDpT10_ENKUlT_T0_E_clISt17integral_constantIbLb0EES1B_EEDaS16_S17_EUlS16_E_NS1_11comp_targetILNS1_3genE9ELNS1_11target_archE1100ELNS1_3gpuE3ELNS1_3repE0EEENS1_30default_config_static_selectorELNS0_4arch9wavefront6targetE0EEEvT1_.uses_vcc, 0
	.set _ZN7rocprim17ROCPRIM_400000_NS6detail17trampoline_kernelINS0_14default_configENS1_25partition_config_selectorILNS1_17partition_subalgoE5EfNS0_10empty_typeEbEEZZNS1_14partition_implILS5_5ELb0ES3_mN6thrust23THRUST_200600_302600_NS6detail15normal_iteratorINSA_10device_ptrIfEEEEPS6_NSA_18transform_iteratorINSB_9not_fun_tINSA_8identityIfEEEESF_NSA_11use_defaultESM_EENS0_5tupleIJSF_S6_EEENSO_IJSG_SG_EEES6_PlJS6_EEE10hipError_tPvRmT3_T4_T5_T6_T7_T9_mT8_P12ihipStream_tbDpT10_ENKUlT_T0_E_clISt17integral_constantIbLb0EES1B_EEDaS16_S17_EUlS16_E_NS1_11comp_targetILNS1_3genE9ELNS1_11target_archE1100ELNS1_3gpuE3ELNS1_3repE0EEENS1_30default_config_static_selectorELNS0_4arch9wavefront6targetE0EEEvT1_.uses_flat_scratch, 0
	.set _ZN7rocprim17ROCPRIM_400000_NS6detail17trampoline_kernelINS0_14default_configENS1_25partition_config_selectorILNS1_17partition_subalgoE5EfNS0_10empty_typeEbEEZZNS1_14partition_implILS5_5ELb0ES3_mN6thrust23THRUST_200600_302600_NS6detail15normal_iteratorINSA_10device_ptrIfEEEEPS6_NSA_18transform_iteratorINSB_9not_fun_tINSA_8identityIfEEEESF_NSA_11use_defaultESM_EENS0_5tupleIJSF_S6_EEENSO_IJSG_SG_EEES6_PlJS6_EEE10hipError_tPvRmT3_T4_T5_T6_T7_T9_mT8_P12ihipStream_tbDpT10_ENKUlT_T0_E_clISt17integral_constantIbLb0EES1B_EEDaS16_S17_EUlS16_E_NS1_11comp_targetILNS1_3genE9ELNS1_11target_archE1100ELNS1_3gpuE3ELNS1_3repE0EEENS1_30default_config_static_selectorELNS0_4arch9wavefront6targetE0EEEvT1_.has_dyn_sized_stack, 0
	.set _ZN7rocprim17ROCPRIM_400000_NS6detail17trampoline_kernelINS0_14default_configENS1_25partition_config_selectorILNS1_17partition_subalgoE5EfNS0_10empty_typeEbEEZZNS1_14partition_implILS5_5ELb0ES3_mN6thrust23THRUST_200600_302600_NS6detail15normal_iteratorINSA_10device_ptrIfEEEEPS6_NSA_18transform_iteratorINSB_9not_fun_tINSA_8identityIfEEEESF_NSA_11use_defaultESM_EENS0_5tupleIJSF_S6_EEENSO_IJSG_SG_EEES6_PlJS6_EEE10hipError_tPvRmT3_T4_T5_T6_T7_T9_mT8_P12ihipStream_tbDpT10_ENKUlT_T0_E_clISt17integral_constantIbLb0EES1B_EEDaS16_S17_EUlS16_E_NS1_11comp_targetILNS1_3genE9ELNS1_11target_archE1100ELNS1_3gpuE3ELNS1_3repE0EEENS1_30default_config_static_selectorELNS0_4arch9wavefront6targetE0EEEvT1_.has_recursion, 0
	.set _ZN7rocprim17ROCPRIM_400000_NS6detail17trampoline_kernelINS0_14default_configENS1_25partition_config_selectorILNS1_17partition_subalgoE5EfNS0_10empty_typeEbEEZZNS1_14partition_implILS5_5ELb0ES3_mN6thrust23THRUST_200600_302600_NS6detail15normal_iteratorINSA_10device_ptrIfEEEEPS6_NSA_18transform_iteratorINSB_9not_fun_tINSA_8identityIfEEEESF_NSA_11use_defaultESM_EENS0_5tupleIJSF_S6_EEENSO_IJSG_SG_EEES6_PlJS6_EEE10hipError_tPvRmT3_T4_T5_T6_T7_T9_mT8_P12ihipStream_tbDpT10_ENKUlT_T0_E_clISt17integral_constantIbLb0EES1B_EEDaS16_S17_EUlS16_E_NS1_11comp_targetILNS1_3genE9ELNS1_11target_archE1100ELNS1_3gpuE3ELNS1_3repE0EEENS1_30default_config_static_selectorELNS0_4arch9wavefront6targetE0EEEvT1_.has_indirect_call, 0
	.section	.AMDGPU.csdata,"",@progbits
; Kernel info:
; codeLenInByte = 0
; TotalNumSgprs: 0
; NumVgprs: 0
; ScratchSize: 0
; MemoryBound: 0
; FloatMode: 240
; IeeeMode: 1
; LDSByteSize: 0 bytes/workgroup (compile time only)
; SGPRBlocks: 0
; VGPRBlocks: 0
; NumSGPRsForWavesPerEU: 1
; NumVGPRsForWavesPerEU: 1
; Occupancy: 16
; WaveLimiterHint : 0
; COMPUTE_PGM_RSRC2:SCRATCH_EN: 0
; COMPUTE_PGM_RSRC2:USER_SGPR: 2
; COMPUTE_PGM_RSRC2:TRAP_HANDLER: 0
; COMPUTE_PGM_RSRC2:TGID_X_EN: 1
; COMPUTE_PGM_RSRC2:TGID_Y_EN: 0
; COMPUTE_PGM_RSRC2:TGID_Z_EN: 0
; COMPUTE_PGM_RSRC2:TIDIG_COMP_CNT: 0
	.section	.text._ZN7rocprim17ROCPRIM_400000_NS6detail17trampoline_kernelINS0_14default_configENS1_25partition_config_selectorILNS1_17partition_subalgoE5EfNS0_10empty_typeEbEEZZNS1_14partition_implILS5_5ELb0ES3_mN6thrust23THRUST_200600_302600_NS6detail15normal_iteratorINSA_10device_ptrIfEEEEPS6_NSA_18transform_iteratorINSB_9not_fun_tINSA_8identityIfEEEESF_NSA_11use_defaultESM_EENS0_5tupleIJSF_S6_EEENSO_IJSG_SG_EEES6_PlJS6_EEE10hipError_tPvRmT3_T4_T5_T6_T7_T9_mT8_P12ihipStream_tbDpT10_ENKUlT_T0_E_clISt17integral_constantIbLb0EES1B_EEDaS16_S17_EUlS16_E_NS1_11comp_targetILNS1_3genE8ELNS1_11target_archE1030ELNS1_3gpuE2ELNS1_3repE0EEENS1_30default_config_static_selectorELNS0_4arch9wavefront6targetE0EEEvT1_,"axG",@progbits,_ZN7rocprim17ROCPRIM_400000_NS6detail17trampoline_kernelINS0_14default_configENS1_25partition_config_selectorILNS1_17partition_subalgoE5EfNS0_10empty_typeEbEEZZNS1_14partition_implILS5_5ELb0ES3_mN6thrust23THRUST_200600_302600_NS6detail15normal_iteratorINSA_10device_ptrIfEEEEPS6_NSA_18transform_iteratorINSB_9not_fun_tINSA_8identityIfEEEESF_NSA_11use_defaultESM_EENS0_5tupleIJSF_S6_EEENSO_IJSG_SG_EEES6_PlJS6_EEE10hipError_tPvRmT3_T4_T5_T6_T7_T9_mT8_P12ihipStream_tbDpT10_ENKUlT_T0_E_clISt17integral_constantIbLb0EES1B_EEDaS16_S17_EUlS16_E_NS1_11comp_targetILNS1_3genE8ELNS1_11target_archE1030ELNS1_3gpuE2ELNS1_3repE0EEENS1_30default_config_static_selectorELNS0_4arch9wavefront6targetE0EEEvT1_,comdat
	.protected	_ZN7rocprim17ROCPRIM_400000_NS6detail17trampoline_kernelINS0_14default_configENS1_25partition_config_selectorILNS1_17partition_subalgoE5EfNS0_10empty_typeEbEEZZNS1_14partition_implILS5_5ELb0ES3_mN6thrust23THRUST_200600_302600_NS6detail15normal_iteratorINSA_10device_ptrIfEEEEPS6_NSA_18transform_iteratorINSB_9not_fun_tINSA_8identityIfEEEESF_NSA_11use_defaultESM_EENS0_5tupleIJSF_S6_EEENSO_IJSG_SG_EEES6_PlJS6_EEE10hipError_tPvRmT3_T4_T5_T6_T7_T9_mT8_P12ihipStream_tbDpT10_ENKUlT_T0_E_clISt17integral_constantIbLb0EES1B_EEDaS16_S17_EUlS16_E_NS1_11comp_targetILNS1_3genE8ELNS1_11target_archE1030ELNS1_3gpuE2ELNS1_3repE0EEENS1_30default_config_static_selectorELNS0_4arch9wavefront6targetE0EEEvT1_ ; -- Begin function _ZN7rocprim17ROCPRIM_400000_NS6detail17trampoline_kernelINS0_14default_configENS1_25partition_config_selectorILNS1_17partition_subalgoE5EfNS0_10empty_typeEbEEZZNS1_14partition_implILS5_5ELb0ES3_mN6thrust23THRUST_200600_302600_NS6detail15normal_iteratorINSA_10device_ptrIfEEEEPS6_NSA_18transform_iteratorINSB_9not_fun_tINSA_8identityIfEEEESF_NSA_11use_defaultESM_EENS0_5tupleIJSF_S6_EEENSO_IJSG_SG_EEES6_PlJS6_EEE10hipError_tPvRmT3_T4_T5_T6_T7_T9_mT8_P12ihipStream_tbDpT10_ENKUlT_T0_E_clISt17integral_constantIbLb0EES1B_EEDaS16_S17_EUlS16_E_NS1_11comp_targetILNS1_3genE8ELNS1_11target_archE1030ELNS1_3gpuE2ELNS1_3repE0EEENS1_30default_config_static_selectorELNS0_4arch9wavefront6targetE0EEEvT1_
	.globl	_ZN7rocprim17ROCPRIM_400000_NS6detail17trampoline_kernelINS0_14default_configENS1_25partition_config_selectorILNS1_17partition_subalgoE5EfNS0_10empty_typeEbEEZZNS1_14partition_implILS5_5ELb0ES3_mN6thrust23THRUST_200600_302600_NS6detail15normal_iteratorINSA_10device_ptrIfEEEEPS6_NSA_18transform_iteratorINSB_9not_fun_tINSA_8identityIfEEEESF_NSA_11use_defaultESM_EENS0_5tupleIJSF_S6_EEENSO_IJSG_SG_EEES6_PlJS6_EEE10hipError_tPvRmT3_T4_T5_T6_T7_T9_mT8_P12ihipStream_tbDpT10_ENKUlT_T0_E_clISt17integral_constantIbLb0EES1B_EEDaS16_S17_EUlS16_E_NS1_11comp_targetILNS1_3genE8ELNS1_11target_archE1030ELNS1_3gpuE2ELNS1_3repE0EEENS1_30default_config_static_selectorELNS0_4arch9wavefront6targetE0EEEvT1_
	.p2align	8
	.type	_ZN7rocprim17ROCPRIM_400000_NS6detail17trampoline_kernelINS0_14default_configENS1_25partition_config_selectorILNS1_17partition_subalgoE5EfNS0_10empty_typeEbEEZZNS1_14partition_implILS5_5ELb0ES3_mN6thrust23THRUST_200600_302600_NS6detail15normal_iteratorINSA_10device_ptrIfEEEEPS6_NSA_18transform_iteratorINSB_9not_fun_tINSA_8identityIfEEEESF_NSA_11use_defaultESM_EENS0_5tupleIJSF_S6_EEENSO_IJSG_SG_EEES6_PlJS6_EEE10hipError_tPvRmT3_T4_T5_T6_T7_T9_mT8_P12ihipStream_tbDpT10_ENKUlT_T0_E_clISt17integral_constantIbLb0EES1B_EEDaS16_S17_EUlS16_E_NS1_11comp_targetILNS1_3genE8ELNS1_11target_archE1030ELNS1_3gpuE2ELNS1_3repE0EEENS1_30default_config_static_selectorELNS0_4arch9wavefront6targetE0EEEvT1_,@function
_ZN7rocprim17ROCPRIM_400000_NS6detail17trampoline_kernelINS0_14default_configENS1_25partition_config_selectorILNS1_17partition_subalgoE5EfNS0_10empty_typeEbEEZZNS1_14partition_implILS5_5ELb0ES3_mN6thrust23THRUST_200600_302600_NS6detail15normal_iteratorINSA_10device_ptrIfEEEEPS6_NSA_18transform_iteratorINSB_9not_fun_tINSA_8identityIfEEEESF_NSA_11use_defaultESM_EENS0_5tupleIJSF_S6_EEENSO_IJSG_SG_EEES6_PlJS6_EEE10hipError_tPvRmT3_T4_T5_T6_T7_T9_mT8_P12ihipStream_tbDpT10_ENKUlT_T0_E_clISt17integral_constantIbLb0EES1B_EEDaS16_S17_EUlS16_E_NS1_11comp_targetILNS1_3genE8ELNS1_11target_archE1030ELNS1_3gpuE2ELNS1_3repE0EEENS1_30default_config_static_selectorELNS0_4arch9wavefront6targetE0EEEvT1_: ; @_ZN7rocprim17ROCPRIM_400000_NS6detail17trampoline_kernelINS0_14default_configENS1_25partition_config_selectorILNS1_17partition_subalgoE5EfNS0_10empty_typeEbEEZZNS1_14partition_implILS5_5ELb0ES3_mN6thrust23THRUST_200600_302600_NS6detail15normal_iteratorINSA_10device_ptrIfEEEEPS6_NSA_18transform_iteratorINSB_9not_fun_tINSA_8identityIfEEEESF_NSA_11use_defaultESM_EENS0_5tupleIJSF_S6_EEENSO_IJSG_SG_EEES6_PlJS6_EEE10hipError_tPvRmT3_T4_T5_T6_T7_T9_mT8_P12ihipStream_tbDpT10_ENKUlT_T0_E_clISt17integral_constantIbLb0EES1B_EEDaS16_S17_EUlS16_E_NS1_11comp_targetILNS1_3genE8ELNS1_11target_archE1030ELNS1_3gpuE2ELNS1_3repE0EEENS1_30default_config_static_selectorELNS0_4arch9wavefront6targetE0EEEvT1_
; %bb.0:
	.section	.rodata,"a",@progbits
	.p2align	6, 0x0
	.amdhsa_kernel _ZN7rocprim17ROCPRIM_400000_NS6detail17trampoline_kernelINS0_14default_configENS1_25partition_config_selectorILNS1_17partition_subalgoE5EfNS0_10empty_typeEbEEZZNS1_14partition_implILS5_5ELb0ES3_mN6thrust23THRUST_200600_302600_NS6detail15normal_iteratorINSA_10device_ptrIfEEEEPS6_NSA_18transform_iteratorINSB_9not_fun_tINSA_8identityIfEEEESF_NSA_11use_defaultESM_EENS0_5tupleIJSF_S6_EEENSO_IJSG_SG_EEES6_PlJS6_EEE10hipError_tPvRmT3_T4_T5_T6_T7_T9_mT8_P12ihipStream_tbDpT10_ENKUlT_T0_E_clISt17integral_constantIbLb0EES1B_EEDaS16_S17_EUlS16_E_NS1_11comp_targetILNS1_3genE8ELNS1_11target_archE1030ELNS1_3gpuE2ELNS1_3repE0EEENS1_30default_config_static_selectorELNS0_4arch9wavefront6targetE0EEEvT1_
		.amdhsa_group_segment_fixed_size 0
		.amdhsa_private_segment_fixed_size 0
		.amdhsa_kernarg_size 120
		.amdhsa_user_sgpr_count 2
		.amdhsa_user_sgpr_dispatch_ptr 0
		.amdhsa_user_sgpr_queue_ptr 0
		.amdhsa_user_sgpr_kernarg_segment_ptr 1
		.amdhsa_user_sgpr_dispatch_id 0
		.amdhsa_user_sgpr_private_segment_size 0
		.amdhsa_wavefront_size32 1
		.amdhsa_uses_dynamic_stack 0
		.amdhsa_enable_private_segment 0
		.amdhsa_system_sgpr_workgroup_id_x 1
		.amdhsa_system_sgpr_workgroup_id_y 0
		.amdhsa_system_sgpr_workgroup_id_z 0
		.amdhsa_system_sgpr_workgroup_info 0
		.amdhsa_system_vgpr_workitem_id 0
		.amdhsa_next_free_vgpr 1
		.amdhsa_next_free_sgpr 1
		.amdhsa_reserve_vcc 0
		.amdhsa_float_round_mode_32 0
		.amdhsa_float_round_mode_16_64 0
		.amdhsa_float_denorm_mode_32 3
		.amdhsa_float_denorm_mode_16_64 3
		.amdhsa_fp16_overflow 0
		.amdhsa_workgroup_processor_mode 1
		.amdhsa_memory_ordered 1
		.amdhsa_forward_progress 1
		.amdhsa_inst_pref_size 0
		.amdhsa_round_robin_scheduling 0
		.amdhsa_exception_fp_ieee_invalid_op 0
		.amdhsa_exception_fp_denorm_src 0
		.amdhsa_exception_fp_ieee_div_zero 0
		.amdhsa_exception_fp_ieee_overflow 0
		.amdhsa_exception_fp_ieee_underflow 0
		.amdhsa_exception_fp_ieee_inexact 0
		.amdhsa_exception_int_div_zero 0
	.end_amdhsa_kernel
	.section	.text._ZN7rocprim17ROCPRIM_400000_NS6detail17trampoline_kernelINS0_14default_configENS1_25partition_config_selectorILNS1_17partition_subalgoE5EfNS0_10empty_typeEbEEZZNS1_14partition_implILS5_5ELb0ES3_mN6thrust23THRUST_200600_302600_NS6detail15normal_iteratorINSA_10device_ptrIfEEEEPS6_NSA_18transform_iteratorINSB_9not_fun_tINSA_8identityIfEEEESF_NSA_11use_defaultESM_EENS0_5tupleIJSF_S6_EEENSO_IJSG_SG_EEES6_PlJS6_EEE10hipError_tPvRmT3_T4_T5_T6_T7_T9_mT8_P12ihipStream_tbDpT10_ENKUlT_T0_E_clISt17integral_constantIbLb0EES1B_EEDaS16_S17_EUlS16_E_NS1_11comp_targetILNS1_3genE8ELNS1_11target_archE1030ELNS1_3gpuE2ELNS1_3repE0EEENS1_30default_config_static_selectorELNS0_4arch9wavefront6targetE0EEEvT1_,"axG",@progbits,_ZN7rocprim17ROCPRIM_400000_NS6detail17trampoline_kernelINS0_14default_configENS1_25partition_config_selectorILNS1_17partition_subalgoE5EfNS0_10empty_typeEbEEZZNS1_14partition_implILS5_5ELb0ES3_mN6thrust23THRUST_200600_302600_NS6detail15normal_iteratorINSA_10device_ptrIfEEEEPS6_NSA_18transform_iteratorINSB_9not_fun_tINSA_8identityIfEEEESF_NSA_11use_defaultESM_EENS0_5tupleIJSF_S6_EEENSO_IJSG_SG_EEES6_PlJS6_EEE10hipError_tPvRmT3_T4_T5_T6_T7_T9_mT8_P12ihipStream_tbDpT10_ENKUlT_T0_E_clISt17integral_constantIbLb0EES1B_EEDaS16_S17_EUlS16_E_NS1_11comp_targetILNS1_3genE8ELNS1_11target_archE1030ELNS1_3gpuE2ELNS1_3repE0EEENS1_30default_config_static_selectorELNS0_4arch9wavefront6targetE0EEEvT1_,comdat
.Lfunc_end828:
	.size	_ZN7rocprim17ROCPRIM_400000_NS6detail17trampoline_kernelINS0_14default_configENS1_25partition_config_selectorILNS1_17partition_subalgoE5EfNS0_10empty_typeEbEEZZNS1_14partition_implILS5_5ELb0ES3_mN6thrust23THRUST_200600_302600_NS6detail15normal_iteratorINSA_10device_ptrIfEEEEPS6_NSA_18transform_iteratorINSB_9not_fun_tINSA_8identityIfEEEESF_NSA_11use_defaultESM_EENS0_5tupleIJSF_S6_EEENSO_IJSG_SG_EEES6_PlJS6_EEE10hipError_tPvRmT3_T4_T5_T6_T7_T9_mT8_P12ihipStream_tbDpT10_ENKUlT_T0_E_clISt17integral_constantIbLb0EES1B_EEDaS16_S17_EUlS16_E_NS1_11comp_targetILNS1_3genE8ELNS1_11target_archE1030ELNS1_3gpuE2ELNS1_3repE0EEENS1_30default_config_static_selectorELNS0_4arch9wavefront6targetE0EEEvT1_, .Lfunc_end828-_ZN7rocprim17ROCPRIM_400000_NS6detail17trampoline_kernelINS0_14default_configENS1_25partition_config_selectorILNS1_17partition_subalgoE5EfNS0_10empty_typeEbEEZZNS1_14partition_implILS5_5ELb0ES3_mN6thrust23THRUST_200600_302600_NS6detail15normal_iteratorINSA_10device_ptrIfEEEEPS6_NSA_18transform_iteratorINSB_9not_fun_tINSA_8identityIfEEEESF_NSA_11use_defaultESM_EENS0_5tupleIJSF_S6_EEENSO_IJSG_SG_EEES6_PlJS6_EEE10hipError_tPvRmT3_T4_T5_T6_T7_T9_mT8_P12ihipStream_tbDpT10_ENKUlT_T0_E_clISt17integral_constantIbLb0EES1B_EEDaS16_S17_EUlS16_E_NS1_11comp_targetILNS1_3genE8ELNS1_11target_archE1030ELNS1_3gpuE2ELNS1_3repE0EEENS1_30default_config_static_selectorELNS0_4arch9wavefront6targetE0EEEvT1_
                                        ; -- End function
	.set _ZN7rocprim17ROCPRIM_400000_NS6detail17trampoline_kernelINS0_14default_configENS1_25partition_config_selectorILNS1_17partition_subalgoE5EfNS0_10empty_typeEbEEZZNS1_14partition_implILS5_5ELb0ES3_mN6thrust23THRUST_200600_302600_NS6detail15normal_iteratorINSA_10device_ptrIfEEEEPS6_NSA_18transform_iteratorINSB_9not_fun_tINSA_8identityIfEEEESF_NSA_11use_defaultESM_EENS0_5tupleIJSF_S6_EEENSO_IJSG_SG_EEES6_PlJS6_EEE10hipError_tPvRmT3_T4_T5_T6_T7_T9_mT8_P12ihipStream_tbDpT10_ENKUlT_T0_E_clISt17integral_constantIbLb0EES1B_EEDaS16_S17_EUlS16_E_NS1_11comp_targetILNS1_3genE8ELNS1_11target_archE1030ELNS1_3gpuE2ELNS1_3repE0EEENS1_30default_config_static_selectorELNS0_4arch9wavefront6targetE0EEEvT1_.num_vgpr, 0
	.set _ZN7rocprim17ROCPRIM_400000_NS6detail17trampoline_kernelINS0_14default_configENS1_25partition_config_selectorILNS1_17partition_subalgoE5EfNS0_10empty_typeEbEEZZNS1_14partition_implILS5_5ELb0ES3_mN6thrust23THRUST_200600_302600_NS6detail15normal_iteratorINSA_10device_ptrIfEEEEPS6_NSA_18transform_iteratorINSB_9not_fun_tINSA_8identityIfEEEESF_NSA_11use_defaultESM_EENS0_5tupleIJSF_S6_EEENSO_IJSG_SG_EEES6_PlJS6_EEE10hipError_tPvRmT3_T4_T5_T6_T7_T9_mT8_P12ihipStream_tbDpT10_ENKUlT_T0_E_clISt17integral_constantIbLb0EES1B_EEDaS16_S17_EUlS16_E_NS1_11comp_targetILNS1_3genE8ELNS1_11target_archE1030ELNS1_3gpuE2ELNS1_3repE0EEENS1_30default_config_static_selectorELNS0_4arch9wavefront6targetE0EEEvT1_.num_agpr, 0
	.set _ZN7rocprim17ROCPRIM_400000_NS6detail17trampoline_kernelINS0_14default_configENS1_25partition_config_selectorILNS1_17partition_subalgoE5EfNS0_10empty_typeEbEEZZNS1_14partition_implILS5_5ELb0ES3_mN6thrust23THRUST_200600_302600_NS6detail15normal_iteratorINSA_10device_ptrIfEEEEPS6_NSA_18transform_iteratorINSB_9not_fun_tINSA_8identityIfEEEESF_NSA_11use_defaultESM_EENS0_5tupleIJSF_S6_EEENSO_IJSG_SG_EEES6_PlJS6_EEE10hipError_tPvRmT3_T4_T5_T6_T7_T9_mT8_P12ihipStream_tbDpT10_ENKUlT_T0_E_clISt17integral_constantIbLb0EES1B_EEDaS16_S17_EUlS16_E_NS1_11comp_targetILNS1_3genE8ELNS1_11target_archE1030ELNS1_3gpuE2ELNS1_3repE0EEENS1_30default_config_static_selectorELNS0_4arch9wavefront6targetE0EEEvT1_.numbered_sgpr, 0
	.set _ZN7rocprim17ROCPRIM_400000_NS6detail17trampoline_kernelINS0_14default_configENS1_25partition_config_selectorILNS1_17partition_subalgoE5EfNS0_10empty_typeEbEEZZNS1_14partition_implILS5_5ELb0ES3_mN6thrust23THRUST_200600_302600_NS6detail15normal_iteratorINSA_10device_ptrIfEEEEPS6_NSA_18transform_iteratorINSB_9not_fun_tINSA_8identityIfEEEESF_NSA_11use_defaultESM_EENS0_5tupleIJSF_S6_EEENSO_IJSG_SG_EEES6_PlJS6_EEE10hipError_tPvRmT3_T4_T5_T6_T7_T9_mT8_P12ihipStream_tbDpT10_ENKUlT_T0_E_clISt17integral_constantIbLb0EES1B_EEDaS16_S17_EUlS16_E_NS1_11comp_targetILNS1_3genE8ELNS1_11target_archE1030ELNS1_3gpuE2ELNS1_3repE0EEENS1_30default_config_static_selectorELNS0_4arch9wavefront6targetE0EEEvT1_.num_named_barrier, 0
	.set _ZN7rocprim17ROCPRIM_400000_NS6detail17trampoline_kernelINS0_14default_configENS1_25partition_config_selectorILNS1_17partition_subalgoE5EfNS0_10empty_typeEbEEZZNS1_14partition_implILS5_5ELb0ES3_mN6thrust23THRUST_200600_302600_NS6detail15normal_iteratorINSA_10device_ptrIfEEEEPS6_NSA_18transform_iteratorINSB_9not_fun_tINSA_8identityIfEEEESF_NSA_11use_defaultESM_EENS0_5tupleIJSF_S6_EEENSO_IJSG_SG_EEES6_PlJS6_EEE10hipError_tPvRmT3_T4_T5_T6_T7_T9_mT8_P12ihipStream_tbDpT10_ENKUlT_T0_E_clISt17integral_constantIbLb0EES1B_EEDaS16_S17_EUlS16_E_NS1_11comp_targetILNS1_3genE8ELNS1_11target_archE1030ELNS1_3gpuE2ELNS1_3repE0EEENS1_30default_config_static_selectorELNS0_4arch9wavefront6targetE0EEEvT1_.private_seg_size, 0
	.set _ZN7rocprim17ROCPRIM_400000_NS6detail17trampoline_kernelINS0_14default_configENS1_25partition_config_selectorILNS1_17partition_subalgoE5EfNS0_10empty_typeEbEEZZNS1_14partition_implILS5_5ELb0ES3_mN6thrust23THRUST_200600_302600_NS6detail15normal_iteratorINSA_10device_ptrIfEEEEPS6_NSA_18transform_iteratorINSB_9not_fun_tINSA_8identityIfEEEESF_NSA_11use_defaultESM_EENS0_5tupleIJSF_S6_EEENSO_IJSG_SG_EEES6_PlJS6_EEE10hipError_tPvRmT3_T4_T5_T6_T7_T9_mT8_P12ihipStream_tbDpT10_ENKUlT_T0_E_clISt17integral_constantIbLb0EES1B_EEDaS16_S17_EUlS16_E_NS1_11comp_targetILNS1_3genE8ELNS1_11target_archE1030ELNS1_3gpuE2ELNS1_3repE0EEENS1_30default_config_static_selectorELNS0_4arch9wavefront6targetE0EEEvT1_.uses_vcc, 0
	.set _ZN7rocprim17ROCPRIM_400000_NS6detail17trampoline_kernelINS0_14default_configENS1_25partition_config_selectorILNS1_17partition_subalgoE5EfNS0_10empty_typeEbEEZZNS1_14partition_implILS5_5ELb0ES3_mN6thrust23THRUST_200600_302600_NS6detail15normal_iteratorINSA_10device_ptrIfEEEEPS6_NSA_18transform_iteratorINSB_9not_fun_tINSA_8identityIfEEEESF_NSA_11use_defaultESM_EENS0_5tupleIJSF_S6_EEENSO_IJSG_SG_EEES6_PlJS6_EEE10hipError_tPvRmT3_T4_T5_T6_T7_T9_mT8_P12ihipStream_tbDpT10_ENKUlT_T0_E_clISt17integral_constantIbLb0EES1B_EEDaS16_S17_EUlS16_E_NS1_11comp_targetILNS1_3genE8ELNS1_11target_archE1030ELNS1_3gpuE2ELNS1_3repE0EEENS1_30default_config_static_selectorELNS0_4arch9wavefront6targetE0EEEvT1_.uses_flat_scratch, 0
	.set _ZN7rocprim17ROCPRIM_400000_NS6detail17trampoline_kernelINS0_14default_configENS1_25partition_config_selectorILNS1_17partition_subalgoE5EfNS0_10empty_typeEbEEZZNS1_14partition_implILS5_5ELb0ES3_mN6thrust23THRUST_200600_302600_NS6detail15normal_iteratorINSA_10device_ptrIfEEEEPS6_NSA_18transform_iteratorINSB_9not_fun_tINSA_8identityIfEEEESF_NSA_11use_defaultESM_EENS0_5tupleIJSF_S6_EEENSO_IJSG_SG_EEES6_PlJS6_EEE10hipError_tPvRmT3_T4_T5_T6_T7_T9_mT8_P12ihipStream_tbDpT10_ENKUlT_T0_E_clISt17integral_constantIbLb0EES1B_EEDaS16_S17_EUlS16_E_NS1_11comp_targetILNS1_3genE8ELNS1_11target_archE1030ELNS1_3gpuE2ELNS1_3repE0EEENS1_30default_config_static_selectorELNS0_4arch9wavefront6targetE0EEEvT1_.has_dyn_sized_stack, 0
	.set _ZN7rocprim17ROCPRIM_400000_NS6detail17trampoline_kernelINS0_14default_configENS1_25partition_config_selectorILNS1_17partition_subalgoE5EfNS0_10empty_typeEbEEZZNS1_14partition_implILS5_5ELb0ES3_mN6thrust23THRUST_200600_302600_NS6detail15normal_iteratorINSA_10device_ptrIfEEEEPS6_NSA_18transform_iteratorINSB_9not_fun_tINSA_8identityIfEEEESF_NSA_11use_defaultESM_EENS0_5tupleIJSF_S6_EEENSO_IJSG_SG_EEES6_PlJS6_EEE10hipError_tPvRmT3_T4_T5_T6_T7_T9_mT8_P12ihipStream_tbDpT10_ENKUlT_T0_E_clISt17integral_constantIbLb0EES1B_EEDaS16_S17_EUlS16_E_NS1_11comp_targetILNS1_3genE8ELNS1_11target_archE1030ELNS1_3gpuE2ELNS1_3repE0EEENS1_30default_config_static_selectorELNS0_4arch9wavefront6targetE0EEEvT1_.has_recursion, 0
	.set _ZN7rocprim17ROCPRIM_400000_NS6detail17trampoline_kernelINS0_14default_configENS1_25partition_config_selectorILNS1_17partition_subalgoE5EfNS0_10empty_typeEbEEZZNS1_14partition_implILS5_5ELb0ES3_mN6thrust23THRUST_200600_302600_NS6detail15normal_iteratorINSA_10device_ptrIfEEEEPS6_NSA_18transform_iteratorINSB_9not_fun_tINSA_8identityIfEEEESF_NSA_11use_defaultESM_EENS0_5tupleIJSF_S6_EEENSO_IJSG_SG_EEES6_PlJS6_EEE10hipError_tPvRmT3_T4_T5_T6_T7_T9_mT8_P12ihipStream_tbDpT10_ENKUlT_T0_E_clISt17integral_constantIbLb0EES1B_EEDaS16_S17_EUlS16_E_NS1_11comp_targetILNS1_3genE8ELNS1_11target_archE1030ELNS1_3gpuE2ELNS1_3repE0EEENS1_30default_config_static_selectorELNS0_4arch9wavefront6targetE0EEEvT1_.has_indirect_call, 0
	.section	.AMDGPU.csdata,"",@progbits
; Kernel info:
; codeLenInByte = 0
; TotalNumSgprs: 0
; NumVgprs: 0
; ScratchSize: 0
; MemoryBound: 0
; FloatMode: 240
; IeeeMode: 1
; LDSByteSize: 0 bytes/workgroup (compile time only)
; SGPRBlocks: 0
; VGPRBlocks: 0
; NumSGPRsForWavesPerEU: 1
; NumVGPRsForWavesPerEU: 1
; Occupancy: 16
; WaveLimiterHint : 0
; COMPUTE_PGM_RSRC2:SCRATCH_EN: 0
; COMPUTE_PGM_RSRC2:USER_SGPR: 2
; COMPUTE_PGM_RSRC2:TRAP_HANDLER: 0
; COMPUTE_PGM_RSRC2:TGID_X_EN: 1
; COMPUTE_PGM_RSRC2:TGID_Y_EN: 0
; COMPUTE_PGM_RSRC2:TGID_Z_EN: 0
; COMPUTE_PGM_RSRC2:TIDIG_COMP_CNT: 0
	.section	.text._ZN7rocprim17ROCPRIM_400000_NS6detail17trampoline_kernelINS0_14default_configENS1_25partition_config_selectorILNS1_17partition_subalgoE5EfNS0_10empty_typeEbEEZZNS1_14partition_implILS5_5ELb0ES3_mN6thrust23THRUST_200600_302600_NS6detail15normal_iteratorINSA_10device_ptrIfEEEEPS6_NSA_18transform_iteratorINSB_9not_fun_tINSA_8identityIfEEEESF_NSA_11use_defaultESM_EENS0_5tupleIJSF_S6_EEENSO_IJSG_SG_EEES6_PlJS6_EEE10hipError_tPvRmT3_T4_T5_T6_T7_T9_mT8_P12ihipStream_tbDpT10_ENKUlT_T0_E_clISt17integral_constantIbLb1EES1B_EEDaS16_S17_EUlS16_E_NS1_11comp_targetILNS1_3genE0ELNS1_11target_archE4294967295ELNS1_3gpuE0ELNS1_3repE0EEENS1_30default_config_static_selectorELNS0_4arch9wavefront6targetE0EEEvT1_,"axG",@progbits,_ZN7rocprim17ROCPRIM_400000_NS6detail17trampoline_kernelINS0_14default_configENS1_25partition_config_selectorILNS1_17partition_subalgoE5EfNS0_10empty_typeEbEEZZNS1_14partition_implILS5_5ELb0ES3_mN6thrust23THRUST_200600_302600_NS6detail15normal_iteratorINSA_10device_ptrIfEEEEPS6_NSA_18transform_iteratorINSB_9not_fun_tINSA_8identityIfEEEESF_NSA_11use_defaultESM_EENS0_5tupleIJSF_S6_EEENSO_IJSG_SG_EEES6_PlJS6_EEE10hipError_tPvRmT3_T4_T5_T6_T7_T9_mT8_P12ihipStream_tbDpT10_ENKUlT_T0_E_clISt17integral_constantIbLb1EES1B_EEDaS16_S17_EUlS16_E_NS1_11comp_targetILNS1_3genE0ELNS1_11target_archE4294967295ELNS1_3gpuE0ELNS1_3repE0EEENS1_30default_config_static_selectorELNS0_4arch9wavefront6targetE0EEEvT1_,comdat
	.protected	_ZN7rocprim17ROCPRIM_400000_NS6detail17trampoline_kernelINS0_14default_configENS1_25partition_config_selectorILNS1_17partition_subalgoE5EfNS0_10empty_typeEbEEZZNS1_14partition_implILS5_5ELb0ES3_mN6thrust23THRUST_200600_302600_NS6detail15normal_iteratorINSA_10device_ptrIfEEEEPS6_NSA_18transform_iteratorINSB_9not_fun_tINSA_8identityIfEEEESF_NSA_11use_defaultESM_EENS0_5tupleIJSF_S6_EEENSO_IJSG_SG_EEES6_PlJS6_EEE10hipError_tPvRmT3_T4_T5_T6_T7_T9_mT8_P12ihipStream_tbDpT10_ENKUlT_T0_E_clISt17integral_constantIbLb1EES1B_EEDaS16_S17_EUlS16_E_NS1_11comp_targetILNS1_3genE0ELNS1_11target_archE4294967295ELNS1_3gpuE0ELNS1_3repE0EEENS1_30default_config_static_selectorELNS0_4arch9wavefront6targetE0EEEvT1_ ; -- Begin function _ZN7rocprim17ROCPRIM_400000_NS6detail17trampoline_kernelINS0_14default_configENS1_25partition_config_selectorILNS1_17partition_subalgoE5EfNS0_10empty_typeEbEEZZNS1_14partition_implILS5_5ELb0ES3_mN6thrust23THRUST_200600_302600_NS6detail15normal_iteratorINSA_10device_ptrIfEEEEPS6_NSA_18transform_iteratorINSB_9not_fun_tINSA_8identityIfEEEESF_NSA_11use_defaultESM_EENS0_5tupleIJSF_S6_EEENSO_IJSG_SG_EEES6_PlJS6_EEE10hipError_tPvRmT3_T4_T5_T6_T7_T9_mT8_P12ihipStream_tbDpT10_ENKUlT_T0_E_clISt17integral_constantIbLb1EES1B_EEDaS16_S17_EUlS16_E_NS1_11comp_targetILNS1_3genE0ELNS1_11target_archE4294967295ELNS1_3gpuE0ELNS1_3repE0EEENS1_30default_config_static_selectorELNS0_4arch9wavefront6targetE0EEEvT1_
	.globl	_ZN7rocprim17ROCPRIM_400000_NS6detail17trampoline_kernelINS0_14default_configENS1_25partition_config_selectorILNS1_17partition_subalgoE5EfNS0_10empty_typeEbEEZZNS1_14partition_implILS5_5ELb0ES3_mN6thrust23THRUST_200600_302600_NS6detail15normal_iteratorINSA_10device_ptrIfEEEEPS6_NSA_18transform_iteratorINSB_9not_fun_tINSA_8identityIfEEEESF_NSA_11use_defaultESM_EENS0_5tupleIJSF_S6_EEENSO_IJSG_SG_EEES6_PlJS6_EEE10hipError_tPvRmT3_T4_T5_T6_T7_T9_mT8_P12ihipStream_tbDpT10_ENKUlT_T0_E_clISt17integral_constantIbLb1EES1B_EEDaS16_S17_EUlS16_E_NS1_11comp_targetILNS1_3genE0ELNS1_11target_archE4294967295ELNS1_3gpuE0ELNS1_3repE0EEENS1_30default_config_static_selectorELNS0_4arch9wavefront6targetE0EEEvT1_
	.p2align	8
	.type	_ZN7rocprim17ROCPRIM_400000_NS6detail17trampoline_kernelINS0_14default_configENS1_25partition_config_selectorILNS1_17partition_subalgoE5EfNS0_10empty_typeEbEEZZNS1_14partition_implILS5_5ELb0ES3_mN6thrust23THRUST_200600_302600_NS6detail15normal_iteratorINSA_10device_ptrIfEEEEPS6_NSA_18transform_iteratorINSB_9not_fun_tINSA_8identityIfEEEESF_NSA_11use_defaultESM_EENS0_5tupleIJSF_S6_EEENSO_IJSG_SG_EEES6_PlJS6_EEE10hipError_tPvRmT3_T4_T5_T6_T7_T9_mT8_P12ihipStream_tbDpT10_ENKUlT_T0_E_clISt17integral_constantIbLb1EES1B_EEDaS16_S17_EUlS16_E_NS1_11comp_targetILNS1_3genE0ELNS1_11target_archE4294967295ELNS1_3gpuE0ELNS1_3repE0EEENS1_30default_config_static_selectorELNS0_4arch9wavefront6targetE0EEEvT1_,@function
_ZN7rocprim17ROCPRIM_400000_NS6detail17trampoline_kernelINS0_14default_configENS1_25partition_config_selectorILNS1_17partition_subalgoE5EfNS0_10empty_typeEbEEZZNS1_14partition_implILS5_5ELb0ES3_mN6thrust23THRUST_200600_302600_NS6detail15normal_iteratorINSA_10device_ptrIfEEEEPS6_NSA_18transform_iteratorINSB_9not_fun_tINSA_8identityIfEEEESF_NSA_11use_defaultESM_EENS0_5tupleIJSF_S6_EEENSO_IJSG_SG_EEES6_PlJS6_EEE10hipError_tPvRmT3_T4_T5_T6_T7_T9_mT8_P12ihipStream_tbDpT10_ENKUlT_T0_E_clISt17integral_constantIbLb1EES1B_EEDaS16_S17_EUlS16_E_NS1_11comp_targetILNS1_3genE0ELNS1_11target_archE4294967295ELNS1_3gpuE0ELNS1_3repE0EEENS1_30default_config_static_selectorELNS0_4arch9wavefront6targetE0EEEvT1_: ; @_ZN7rocprim17ROCPRIM_400000_NS6detail17trampoline_kernelINS0_14default_configENS1_25partition_config_selectorILNS1_17partition_subalgoE5EfNS0_10empty_typeEbEEZZNS1_14partition_implILS5_5ELb0ES3_mN6thrust23THRUST_200600_302600_NS6detail15normal_iteratorINSA_10device_ptrIfEEEEPS6_NSA_18transform_iteratorINSB_9not_fun_tINSA_8identityIfEEEESF_NSA_11use_defaultESM_EENS0_5tupleIJSF_S6_EEENSO_IJSG_SG_EEES6_PlJS6_EEE10hipError_tPvRmT3_T4_T5_T6_T7_T9_mT8_P12ihipStream_tbDpT10_ENKUlT_T0_E_clISt17integral_constantIbLb1EES1B_EEDaS16_S17_EUlS16_E_NS1_11comp_targetILNS1_3genE0ELNS1_11target_archE4294967295ELNS1_3gpuE0ELNS1_3repE0EEENS1_30default_config_static_selectorELNS0_4arch9wavefront6targetE0EEEvT1_
; %bb.0:
	.section	.rodata,"a",@progbits
	.p2align	6, 0x0
	.amdhsa_kernel _ZN7rocprim17ROCPRIM_400000_NS6detail17trampoline_kernelINS0_14default_configENS1_25partition_config_selectorILNS1_17partition_subalgoE5EfNS0_10empty_typeEbEEZZNS1_14partition_implILS5_5ELb0ES3_mN6thrust23THRUST_200600_302600_NS6detail15normal_iteratorINSA_10device_ptrIfEEEEPS6_NSA_18transform_iteratorINSB_9not_fun_tINSA_8identityIfEEEESF_NSA_11use_defaultESM_EENS0_5tupleIJSF_S6_EEENSO_IJSG_SG_EEES6_PlJS6_EEE10hipError_tPvRmT3_T4_T5_T6_T7_T9_mT8_P12ihipStream_tbDpT10_ENKUlT_T0_E_clISt17integral_constantIbLb1EES1B_EEDaS16_S17_EUlS16_E_NS1_11comp_targetILNS1_3genE0ELNS1_11target_archE4294967295ELNS1_3gpuE0ELNS1_3repE0EEENS1_30default_config_static_selectorELNS0_4arch9wavefront6targetE0EEEvT1_
		.amdhsa_group_segment_fixed_size 0
		.amdhsa_private_segment_fixed_size 0
		.amdhsa_kernarg_size 136
		.amdhsa_user_sgpr_count 2
		.amdhsa_user_sgpr_dispatch_ptr 0
		.amdhsa_user_sgpr_queue_ptr 0
		.amdhsa_user_sgpr_kernarg_segment_ptr 1
		.amdhsa_user_sgpr_dispatch_id 0
		.amdhsa_user_sgpr_private_segment_size 0
		.amdhsa_wavefront_size32 1
		.amdhsa_uses_dynamic_stack 0
		.amdhsa_enable_private_segment 0
		.amdhsa_system_sgpr_workgroup_id_x 1
		.amdhsa_system_sgpr_workgroup_id_y 0
		.amdhsa_system_sgpr_workgroup_id_z 0
		.amdhsa_system_sgpr_workgroup_info 0
		.amdhsa_system_vgpr_workitem_id 0
		.amdhsa_next_free_vgpr 1
		.amdhsa_next_free_sgpr 1
		.amdhsa_reserve_vcc 0
		.amdhsa_float_round_mode_32 0
		.amdhsa_float_round_mode_16_64 0
		.amdhsa_float_denorm_mode_32 3
		.amdhsa_float_denorm_mode_16_64 3
		.amdhsa_fp16_overflow 0
		.amdhsa_workgroup_processor_mode 1
		.amdhsa_memory_ordered 1
		.amdhsa_forward_progress 1
		.amdhsa_inst_pref_size 0
		.amdhsa_round_robin_scheduling 0
		.amdhsa_exception_fp_ieee_invalid_op 0
		.amdhsa_exception_fp_denorm_src 0
		.amdhsa_exception_fp_ieee_div_zero 0
		.amdhsa_exception_fp_ieee_overflow 0
		.amdhsa_exception_fp_ieee_underflow 0
		.amdhsa_exception_fp_ieee_inexact 0
		.amdhsa_exception_int_div_zero 0
	.end_amdhsa_kernel
	.section	.text._ZN7rocprim17ROCPRIM_400000_NS6detail17trampoline_kernelINS0_14default_configENS1_25partition_config_selectorILNS1_17partition_subalgoE5EfNS0_10empty_typeEbEEZZNS1_14partition_implILS5_5ELb0ES3_mN6thrust23THRUST_200600_302600_NS6detail15normal_iteratorINSA_10device_ptrIfEEEEPS6_NSA_18transform_iteratorINSB_9not_fun_tINSA_8identityIfEEEESF_NSA_11use_defaultESM_EENS0_5tupleIJSF_S6_EEENSO_IJSG_SG_EEES6_PlJS6_EEE10hipError_tPvRmT3_T4_T5_T6_T7_T9_mT8_P12ihipStream_tbDpT10_ENKUlT_T0_E_clISt17integral_constantIbLb1EES1B_EEDaS16_S17_EUlS16_E_NS1_11comp_targetILNS1_3genE0ELNS1_11target_archE4294967295ELNS1_3gpuE0ELNS1_3repE0EEENS1_30default_config_static_selectorELNS0_4arch9wavefront6targetE0EEEvT1_,"axG",@progbits,_ZN7rocprim17ROCPRIM_400000_NS6detail17trampoline_kernelINS0_14default_configENS1_25partition_config_selectorILNS1_17partition_subalgoE5EfNS0_10empty_typeEbEEZZNS1_14partition_implILS5_5ELb0ES3_mN6thrust23THRUST_200600_302600_NS6detail15normal_iteratorINSA_10device_ptrIfEEEEPS6_NSA_18transform_iteratorINSB_9not_fun_tINSA_8identityIfEEEESF_NSA_11use_defaultESM_EENS0_5tupleIJSF_S6_EEENSO_IJSG_SG_EEES6_PlJS6_EEE10hipError_tPvRmT3_T4_T5_T6_T7_T9_mT8_P12ihipStream_tbDpT10_ENKUlT_T0_E_clISt17integral_constantIbLb1EES1B_EEDaS16_S17_EUlS16_E_NS1_11comp_targetILNS1_3genE0ELNS1_11target_archE4294967295ELNS1_3gpuE0ELNS1_3repE0EEENS1_30default_config_static_selectorELNS0_4arch9wavefront6targetE0EEEvT1_,comdat
.Lfunc_end829:
	.size	_ZN7rocprim17ROCPRIM_400000_NS6detail17trampoline_kernelINS0_14default_configENS1_25partition_config_selectorILNS1_17partition_subalgoE5EfNS0_10empty_typeEbEEZZNS1_14partition_implILS5_5ELb0ES3_mN6thrust23THRUST_200600_302600_NS6detail15normal_iteratorINSA_10device_ptrIfEEEEPS6_NSA_18transform_iteratorINSB_9not_fun_tINSA_8identityIfEEEESF_NSA_11use_defaultESM_EENS0_5tupleIJSF_S6_EEENSO_IJSG_SG_EEES6_PlJS6_EEE10hipError_tPvRmT3_T4_T5_T6_T7_T9_mT8_P12ihipStream_tbDpT10_ENKUlT_T0_E_clISt17integral_constantIbLb1EES1B_EEDaS16_S17_EUlS16_E_NS1_11comp_targetILNS1_3genE0ELNS1_11target_archE4294967295ELNS1_3gpuE0ELNS1_3repE0EEENS1_30default_config_static_selectorELNS0_4arch9wavefront6targetE0EEEvT1_, .Lfunc_end829-_ZN7rocprim17ROCPRIM_400000_NS6detail17trampoline_kernelINS0_14default_configENS1_25partition_config_selectorILNS1_17partition_subalgoE5EfNS0_10empty_typeEbEEZZNS1_14partition_implILS5_5ELb0ES3_mN6thrust23THRUST_200600_302600_NS6detail15normal_iteratorINSA_10device_ptrIfEEEEPS6_NSA_18transform_iteratorINSB_9not_fun_tINSA_8identityIfEEEESF_NSA_11use_defaultESM_EENS0_5tupleIJSF_S6_EEENSO_IJSG_SG_EEES6_PlJS6_EEE10hipError_tPvRmT3_T4_T5_T6_T7_T9_mT8_P12ihipStream_tbDpT10_ENKUlT_T0_E_clISt17integral_constantIbLb1EES1B_EEDaS16_S17_EUlS16_E_NS1_11comp_targetILNS1_3genE0ELNS1_11target_archE4294967295ELNS1_3gpuE0ELNS1_3repE0EEENS1_30default_config_static_selectorELNS0_4arch9wavefront6targetE0EEEvT1_
                                        ; -- End function
	.set _ZN7rocprim17ROCPRIM_400000_NS6detail17trampoline_kernelINS0_14default_configENS1_25partition_config_selectorILNS1_17partition_subalgoE5EfNS0_10empty_typeEbEEZZNS1_14partition_implILS5_5ELb0ES3_mN6thrust23THRUST_200600_302600_NS6detail15normal_iteratorINSA_10device_ptrIfEEEEPS6_NSA_18transform_iteratorINSB_9not_fun_tINSA_8identityIfEEEESF_NSA_11use_defaultESM_EENS0_5tupleIJSF_S6_EEENSO_IJSG_SG_EEES6_PlJS6_EEE10hipError_tPvRmT3_T4_T5_T6_T7_T9_mT8_P12ihipStream_tbDpT10_ENKUlT_T0_E_clISt17integral_constantIbLb1EES1B_EEDaS16_S17_EUlS16_E_NS1_11comp_targetILNS1_3genE0ELNS1_11target_archE4294967295ELNS1_3gpuE0ELNS1_3repE0EEENS1_30default_config_static_selectorELNS0_4arch9wavefront6targetE0EEEvT1_.num_vgpr, 0
	.set _ZN7rocprim17ROCPRIM_400000_NS6detail17trampoline_kernelINS0_14default_configENS1_25partition_config_selectorILNS1_17partition_subalgoE5EfNS0_10empty_typeEbEEZZNS1_14partition_implILS5_5ELb0ES3_mN6thrust23THRUST_200600_302600_NS6detail15normal_iteratorINSA_10device_ptrIfEEEEPS6_NSA_18transform_iteratorINSB_9not_fun_tINSA_8identityIfEEEESF_NSA_11use_defaultESM_EENS0_5tupleIJSF_S6_EEENSO_IJSG_SG_EEES6_PlJS6_EEE10hipError_tPvRmT3_T4_T5_T6_T7_T9_mT8_P12ihipStream_tbDpT10_ENKUlT_T0_E_clISt17integral_constantIbLb1EES1B_EEDaS16_S17_EUlS16_E_NS1_11comp_targetILNS1_3genE0ELNS1_11target_archE4294967295ELNS1_3gpuE0ELNS1_3repE0EEENS1_30default_config_static_selectorELNS0_4arch9wavefront6targetE0EEEvT1_.num_agpr, 0
	.set _ZN7rocprim17ROCPRIM_400000_NS6detail17trampoline_kernelINS0_14default_configENS1_25partition_config_selectorILNS1_17partition_subalgoE5EfNS0_10empty_typeEbEEZZNS1_14partition_implILS5_5ELb0ES3_mN6thrust23THRUST_200600_302600_NS6detail15normal_iteratorINSA_10device_ptrIfEEEEPS6_NSA_18transform_iteratorINSB_9not_fun_tINSA_8identityIfEEEESF_NSA_11use_defaultESM_EENS0_5tupleIJSF_S6_EEENSO_IJSG_SG_EEES6_PlJS6_EEE10hipError_tPvRmT3_T4_T5_T6_T7_T9_mT8_P12ihipStream_tbDpT10_ENKUlT_T0_E_clISt17integral_constantIbLb1EES1B_EEDaS16_S17_EUlS16_E_NS1_11comp_targetILNS1_3genE0ELNS1_11target_archE4294967295ELNS1_3gpuE0ELNS1_3repE0EEENS1_30default_config_static_selectorELNS0_4arch9wavefront6targetE0EEEvT1_.numbered_sgpr, 0
	.set _ZN7rocprim17ROCPRIM_400000_NS6detail17trampoline_kernelINS0_14default_configENS1_25partition_config_selectorILNS1_17partition_subalgoE5EfNS0_10empty_typeEbEEZZNS1_14partition_implILS5_5ELb0ES3_mN6thrust23THRUST_200600_302600_NS6detail15normal_iteratorINSA_10device_ptrIfEEEEPS6_NSA_18transform_iteratorINSB_9not_fun_tINSA_8identityIfEEEESF_NSA_11use_defaultESM_EENS0_5tupleIJSF_S6_EEENSO_IJSG_SG_EEES6_PlJS6_EEE10hipError_tPvRmT3_T4_T5_T6_T7_T9_mT8_P12ihipStream_tbDpT10_ENKUlT_T0_E_clISt17integral_constantIbLb1EES1B_EEDaS16_S17_EUlS16_E_NS1_11comp_targetILNS1_3genE0ELNS1_11target_archE4294967295ELNS1_3gpuE0ELNS1_3repE0EEENS1_30default_config_static_selectorELNS0_4arch9wavefront6targetE0EEEvT1_.num_named_barrier, 0
	.set _ZN7rocprim17ROCPRIM_400000_NS6detail17trampoline_kernelINS0_14default_configENS1_25partition_config_selectorILNS1_17partition_subalgoE5EfNS0_10empty_typeEbEEZZNS1_14partition_implILS5_5ELb0ES3_mN6thrust23THRUST_200600_302600_NS6detail15normal_iteratorINSA_10device_ptrIfEEEEPS6_NSA_18transform_iteratorINSB_9not_fun_tINSA_8identityIfEEEESF_NSA_11use_defaultESM_EENS0_5tupleIJSF_S6_EEENSO_IJSG_SG_EEES6_PlJS6_EEE10hipError_tPvRmT3_T4_T5_T6_T7_T9_mT8_P12ihipStream_tbDpT10_ENKUlT_T0_E_clISt17integral_constantIbLb1EES1B_EEDaS16_S17_EUlS16_E_NS1_11comp_targetILNS1_3genE0ELNS1_11target_archE4294967295ELNS1_3gpuE0ELNS1_3repE0EEENS1_30default_config_static_selectorELNS0_4arch9wavefront6targetE0EEEvT1_.private_seg_size, 0
	.set _ZN7rocprim17ROCPRIM_400000_NS6detail17trampoline_kernelINS0_14default_configENS1_25partition_config_selectorILNS1_17partition_subalgoE5EfNS0_10empty_typeEbEEZZNS1_14partition_implILS5_5ELb0ES3_mN6thrust23THRUST_200600_302600_NS6detail15normal_iteratorINSA_10device_ptrIfEEEEPS6_NSA_18transform_iteratorINSB_9not_fun_tINSA_8identityIfEEEESF_NSA_11use_defaultESM_EENS0_5tupleIJSF_S6_EEENSO_IJSG_SG_EEES6_PlJS6_EEE10hipError_tPvRmT3_T4_T5_T6_T7_T9_mT8_P12ihipStream_tbDpT10_ENKUlT_T0_E_clISt17integral_constantIbLb1EES1B_EEDaS16_S17_EUlS16_E_NS1_11comp_targetILNS1_3genE0ELNS1_11target_archE4294967295ELNS1_3gpuE0ELNS1_3repE0EEENS1_30default_config_static_selectorELNS0_4arch9wavefront6targetE0EEEvT1_.uses_vcc, 0
	.set _ZN7rocprim17ROCPRIM_400000_NS6detail17trampoline_kernelINS0_14default_configENS1_25partition_config_selectorILNS1_17partition_subalgoE5EfNS0_10empty_typeEbEEZZNS1_14partition_implILS5_5ELb0ES3_mN6thrust23THRUST_200600_302600_NS6detail15normal_iteratorINSA_10device_ptrIfEEEEPS6_NSA_18transform_iteratorINSB_9not_fun_tINSA_8identityIfEEEESF_NSA_11use_defaultESM_EENS0_5tupleIJSF_S6_EEENSO_IJSG_SG_EEES6_PlJS6_EEE10hipError_tPvRmT3_T4_T5_T6_T7_T9_mT8_P12ihipStream_tbDpT10_ENKUlT_T0_E_clISt17integral_constantIbLb1EES1B_EEDaS16_S17_EUlS16_E_NS1_11comp_targetILNS1_3genE0ELNS1_11target_archE4294967295ELNS1_3gpuE0ELNS1_3repE0EEENS1_30default_config_static_selectorELNS0_4arch9wavefront6targetE0EEEvT1_.uses_flat_scratch, 0
	.set _ZN7rocprim17ROCPRIM_400000_NS6detail17trampoline_kernelINS0_14default_configENS1_25partition_config_selectorILNS1_17partition_subalgoE5EfNS0_10empty_typeEbEEZZNS1_14partition_implILS5_5ELb0ES3_mN6thrust23THRUST_200600_302600_NS6detail15normal_iteratorINSA_10device_ptrIfEEEEPS6_NSA_18transform_iteratorINSB_9not_fun_tINSA_8identityIfEEEESF_NSA_11use_defaultESM_EENS0_5tupleIJSF_S6_EEENSO_IJSG_SG_EEES6_PlJS6_EEE10hipError_tPvRmT3_T4_T5_T6_T7_T9_mT8_P12ihipStream_tbDpT10_ENKUlT_T0_E_clISt17integral_constantIbLb1EES1B_EEDaS16_S17_EUlS16_E_NS1_11comp_targetILNS1_3genE0ELNS1_11target_archE4294967295ELNS1_3gpuE0ELNS1_3repE0EEENS1_30default_config_static_selectorELNS0_4arch9wavefront6targetE0EEEvT1_.has_dyn_sized_stack, 0
	.set _ZN7rocprim17ROCPRIM_400000_NS6detail17trampoline_kernelINS0_14default_configENS1_25partition_config_selectorILNS1_17partition_subalgoE5EfNS0_10empty_typeEbEEZZNS1_14partition_implILS5_5ELb0ES3_mN6thrust23THRUST_200600_302600_NS6detail15normal_iteratorINSA_10device_ptrIfEEEEPS6_NSA_18transform_iteratorINSB_9not_fun_tINSA_8identityIfEEEESF_NSA_11use_defaultESM_EENS0_5tupleIJSF_S6_EEENSO_IJSG_SG_EEES6_PlJS6_EEE10hipError_tPvRmT3_T4_T5_T6_T7_T9_mT8_P12ihipStream_tbDpT10_ENKUlT_T0_E_clISt17integral_constantIbLb1EES1B_EEDaS16_S17_EUlS16_E_NS1_11comp_targetILNS1_3genE0ELNS1_11target_archE4294967295ELNS1_3gpuE0ELNS1_3repE0EEENS1_30default_config_static_selectorELNS0_4arch9wavefront6targetE0EEEvT1_.has_recursion, 0
	.set _ZN7rocprim17ROCPRIM_400000_NS6detail17trampoline_kernelINS0_14default_configENS1_25partition_config_selectorILNS1_17partition_subalgoE5EfNS0_10empty_typeEbEEZZNS1_14partition_implILS5_5ELb0ES3_mN6thrust23THRUST_200600_302600_NS6detail15normal_iteratorINSA_10device_ptrIfEEEEPS6_NSA_18transform_iteratorINSB_9not_fun_tINSA_8identityIfEEEESF_NSA_11use_defaultESM_EENS0_5tupleIJSF_S6_EEENSO_IJSG_SG_EEES6_PlJS6_EEE10hipError_tPvRmT3_T4_T5_T6_T7_T9_mT8_P12ihipStream_tbDpT10_ENKUlT_T0_E_clISt17integral_constantIbLb1EES1B_EEDaS16_S17_EUlS16_E_NS1_11comp_targetILNS1_3genE0ELNS1_11target_archE4294967295ELNS1_3gpuE0ELNS1_3repE0EEENS1_30default_config_static_selectorELNS0_4arch9wavefront6targetE0EEEvT1_.has_indirect_call, 0
	.section	.AMDGPU.csdata,"",@progbits
; Kernel info:
; codeLenInByte = 0
; TotalNumSgprs: 0
; NumVgprs: 0
; ScratchSize: 0
; MemoryBound: 0
; FloatMode: 240
; IeeeMode: 1
; LDSByteSize: 0 bytes/workgroup (compile time only)
; SGPRBlocks: 0
; VGPRBlocks: 0
; NumSGPRsForWavesPerEU: 1
; NumVGPRsForWavesPerEU: 1
; Occupancy: 16
; WaveLimiterHint : 0
; COMPUTE_PGM_RSRC2:SCRATCH_EN: 0
; COMPUTE_PGM_RSRC2:USER_SGPR: 2
; COMPUTE_PGM_RSRC2:TRAP_HANDLER: 0
; COMPUTE_PGM_RSRC2:TGID_X_EN: 1
; COMPUTE_PGM_RSRC2:TGID_Y_EN: 0
; COMPUTE_PGM_RSRC2:TGID_Z_EN: 0
; COMPUTE_PGM_RSRC2:TIDIG_COMP_CNT: 0
	.section	.text._ZN7rocprim17ROCPRIM_400000_NS6detail17trampoline_kernelINS0_14default_configENS1_25partition_config_selectorILNS1_17partition_subalgoE5EfNS0_10empty_typeEbEEZZNS1_14partition_implILS5_5ELb0ES3_mN6thrust23THRUST_200600_302600_NS6detail15normal_iteratorINSA_10device_ptrIfEEEEPS6_NSA_18transform_iteratorINSB_9not_fun_tINSA_8identityIfEEEESF_NSA_11use_defaultESM_EENS0_5tupleIJSF_S6_EEENSO_IJSG_SG_EEES6_PlJS6_EEE10hipError_tPvRmT3_T4_T5_T6_T7_T9_mT8_P12ihipStream_tbDpT10_ENKUlT_T0_E_clISt17integral_constantIbLb1EES1B_EEDaS16_S17_EUlS16_E_NS1_11comp_targetILNS1_3genE5ELNS1_11target_archE942ELNS1_3gpuE9ELNS1_3repE0EEENS1_30default_config_static_selectorELNS0_4arch9wavefront6targetE0EEEvT1_,"axG",@progbits,_ZN7rocprim17ROCPRIM_400000_NS6detail17trampoline_kernelINS0_14default_configENS1_25partition_config_selectorILNS1_17partition_subalgoE5EfNS0_10empty_typeEbEEZZNS1_14partition_implILS5_5ELb0ES3_mN6thrust23THRUST_200600_302600_NS6detail15normal_iteratorINSA_10device_ptrIfEEEEPS6_NSA_18transform_iteratorINSB_9not_fun_tINSA_8identityIfEEEESF_NSA_11use_defaultESM_EENS0_5tupleIJSF_S6_EEENSO_IJSG_SG_EEES6_PlJS6_EEE10hipError_tPvRmT3_T4_T5_T6_T7_T9_mT8_P12ihipStream_tbDpT10_ENKUlT_T0_E_clISt17integral_constantIbLb1EES1B_EEDaS16_S17_EUlS16_E_NS1_11comp_targetILNS1_3genE5ELNS1_11target_archE942ELNS1_3gpuE9ELNS1_3repE0EEENS1_30default_config_static_selectorELNS0_4arch9wavefront6targetE0EEEvT1_,comdat
	.protected	_ZN7rocprim17ROCPRIM_400000_NS6detail17trampoline_kernelINS0_14default_configENS1_25partition_config_selectorILNS1_17partition_subalgoE5EfNS0_10empty_typeEbEEZZNS1_14partition_implILS5_5ELb0ES3_mN6thrust23THRUST_200600_302600_NS6detail15normal_iteratorINSA_10device_ptrIfEEEEPS6_NSA_18transform_iteratorINSB_9not_fun_tINSA_8identityIfEEEESF_NSA_11use_defaultESM_EENS0_5tupleIJSF_S6_EEENSO_IJSG_SG_EEES6_PlJS6_EEE10hipError_tPvRmT3_T4_T5_T6_T7_T9_mT8_P12ihipStream_tbDpT10_ENKUlT_T0_E_clISt17integral_constantIbLb1EES1B_EEDaS16_S17_EUlS16_E_NS1_11comp_targetILNS1_3genE5ELNS1_11target_archE942ELNS1_3gpuE9ELNS1_3repE0EEENS1_30default_config_static_selectorELNS0_4arch9wavefront6targetE0EEEvT1_ ; -- Begin function _ZN7rocprim17ROCPRIM_400000_NS6detail17trampoline_kernelINS0_14default_configENS1_25partition_config_selectorILNS1_17partition_subalgoE5EfNS0_10empty_typeEbEEZZNS1_14partition_implILS5_5ELb0ES3_mN6thrust23THRUST_200600_302600_NS6detail15normal_iteratorINSA_10device_ptrIfEEEEPS6_NSA_18transform_iteratorINSB_9not_fun_tINSA_8identityIfEEEESF_NSA_11use_defaultESM_EENS0_5tupleIJSF_S6_EEENSO_IJSG_SG_EEES6_PlJS6_EEE10hipError_tPvRmT3_T4_T5_T6_T7_T9_mT8_P12ihipStream_tbDpT10_ENKUlT_T0_E_clISt17integral_constantIbLb1EES1B_EEDaS16_S17_EUlS16_E_NS1_11comp_targetILNS1_3genE5ELNS1_11target_archE942ELNS1_3gpuE9ELNS1_3repE0EEENS1_30default_config_static_selectorELNS0_4arch9wavefront6targetE0EEEvT1_
	.globl	_ZN7rocprim17ROCPRIM_400000_NS6detail17trampoline_kernelINS0_14default_configENS1_25partition_config_selectorILNS1_17partition_subalgoE5EfNS0_10empty_typeEbEEZZNS1_14partition_implILS5_5ELb0ES3_mN6thrust23THRUST_200600_302600_NS6detail15normal_iteratorINSA_10device_ptrIfEEEEPS6_NSA_18transform_iteratorINSB_9not_fun_tINSA_8identityIfEEEESF_NSA_11use_defaultESM_EENS0_5tupleIJSF_S6_EEENSO_IJSG_SG_EEES6_PlJS6_EEE10hipError_tPvRmT3_T4_T5_T6_T7_T9_mT8_P12ihipStream_tbDpT10_ENKUlT_T0_E_clISt17integral_constantIbLb1EES1B_EEDaS16_S17_EUlS16_E_NS1_11comp_targetILNS1_3genE5ELNS1_11target_archE942ELNS1_3gpuE9ELNS1_3repE0EEENS1_30default_config_static_selectorELNS0_4arch9wavefront6targetE0EEEvT1_
	.p2align	8
	.type	_ZN7rocprim17ROCPRIM_400000_NS6detail17trampoline_kernelINS0_14default_configENS1_25partition_config_selectorILNS1_17partition_subalgoE5EfNS0_10empty_typeEbEEZZNS1_14partition_implILS5_5ELb0ES3_mN6thrust23THRUST_200600_302600_NS6detail15normal_iteratorINSA_10device_ptrIfEEEEPS6_NSA_18transform_iteratorINSB_9not_fun_tINSA_8identityIfEEEESF_NSA_11use_defaultESM_EENS0_5tupleIJSF_S6_EEENSO_IJSG_SG_EEES6_PlJS6_EEE10hipError_tPvRmT3_T4_T5_T6_T7_T9_mT8_P12ihipStream_tbDpT10_ENKUlT_T0_E_clISt17integral_constantIbLb1EES1B_EEDaS16_S17_EUlS16_E_NS1_11comp_targetILNS1_3genE5ELNS1_11target_archE942ELNS1_3gpuE9ELNS1_3repE0EEENS1_30default_config_static_selectorELNS0_4arch9wavefront6targetE0EEEvT1_,@function
_ZN7rocprim17ROCPRIM_400000_NS6detail17trampoline_kernelINS0_14default_configENS1_25partition_config_selectorILNS1_17partition_subalgoE5EfNS0_10empty_typeEbEEZZNS1_14partition_implILS5_5ELb0ES3_mN6thrust23THRUST_200600_302600_NS6detail15normal_iteratorINSA_10device_ptrIfEEEEPS6_NSA_18transform_iteratorINSB_9not_fun_tINSA_8identityIfEEEESF_NSA_11use_defaultESM_EENS0_5tupleIJSF_S6_EEENSO_IJSG_SG_EEES6_PlJS6_EEE10hipError_tPvRmT3_T4_T5_T6_T7_T9_mT8_P12ihipStream_tbDpT10_ENKUlT_T0_E_clISt17integral_constantIbLb1EES1B_EEDaS16_S17_EUlS16_E_NS1_11comp_targetILNS1_3genE5ELNS1_11target_archE942ELNS1_3gpuE9ELNS1_3repE0EEENS1_30default_config_static_selectorELNS0_4arch9wavefront6targetE0EEEvT1_: ; @_ZN7rocprim17ROCPRIM_400000_NS6detail17trampoline_kernelINS0_14default_configENS1_25partition_config_selectorILNS1_17partition_subalgoE5EfNS0_10empty_typeEbEEZZNS1_14partition_implILS5_5ELb0ES3_mN6thrust23THRUST_200600_302600_NS6detail15normal_iteratorINSA_10device_ptrIfEEEEPS6_NSA_18transform_iteratorINSB_9not_fun_tINSA_8identityIfEEEESF_NSA_11use_defaultESM_EENS0_5tupleIJSF_S6_EEENSO_IJSG_SG_EEES6_PlJS6_EEE10hipError_tPvRmT3_T4_T5_T6_T7_T9_mT8_P12ihipStream_tbDpT10_ENKUlT_T0_E_clISt17integral_constantIbLb1EES1B_EEDaS16_S17_EUlS16_E_NS1_11comp_targetILNS1_3genE5ELNS1_11target_archE942ELNS1_3gpuE9ELNS1_3repE0EEENS1_30default_config_static_selectorELNS0_4arch9wavefront6targetE0EEEvT1_
; %bb.0:
	.section	.rodata,"a",@progbits
	.p2align	6, 0x0
	.amdhsa_kernel _ZN7rocprim17ROCPRIM_400000_NS6detail17trampoline_kernelINS0_14default_configENS1_25partition_config_selectorILNS1_17partition_subalgoE5EfNS0_10empty_typeEbEEZZNS1_14partition_implILS5_5ELb0ES3_mN6thrust23THRUST_200600_302600_NS6detail15normal_iteratorINSA_10device_ptrIfEEEEPS6_NSA_18transform_iteratorINSB_9not_fun_tINSA_8identityIfEEEESF_NSA_11use_defaultESM_EENS0_5tupleIJSF_S6_EEENSO_IJSG_SG_EEES6_PlJS6_EEE10hipError_tPvRmT3_T4_T5_T6_T7_T9_mT8_P12ihipStream_tbDpT10_ENKUlT_T0_E_clISt17integral_constantIbLb1EES1B_EEDaS16_S17_EUlS16_E_NS1_11comp_targetILNS1_3genE5ELNS1_11target_archE942ELNS1_3gpuE9ELNS1_3repE0EEENS1_30default_config_static_selectorELNS0_4arch9wavefront6targetE0EEEvT1_
		.amdhsa_group_segment_fixed_size 0
		.amdhsa_private_segment_fixed_size 0
		.amdhsa_kernarg_size 136
		.amdhsa_user_sgpr_count 2
		.amdhsa_user_sgpr_dispatch_ptr 0
		.amdhsa_user_sgpr_queue_ptr 0
		.amdhsa_user_sgpr_kernarg_segment_ptr 1
		.amdhsa_user_sgpr_dispatch_id 0
		.amdhsa_user_sgpr_private_segment_size 0
		.amdhsa_wavefront_size32 1
		.amdhsa_uses_dynamic_stack 0
		.amdhsa_enable_private_segment 0
		.amdhsa_system_sgpr_workgroup_id_x 1
		.amdhsa_system_sgpr_workgroup_id_y 0
		.amdhsa_system_sgpr_workgroup_id_z 0
		.amdhsa_system_sgpr_workgroup_info 0
		.amdhsa_system_vgpr_workitem_id 0
		.amdhsa_next_free_vgpr 1
		.amdhsa_next_free_sgpr 1
		.amdhsa_reserve_vcc 0
		.amdhsa_float_round_mode_32 0
		.amdhsa_float_round_mode_16_64 0
		.amdhsa_float_denorm_mode_32 3
		.amdhsa_float_denorm_mode_16_64 3
		.amdhsa_fp16_overflow 0
		.amdhsa_workgroup_processor_mode 1
		.amdhsa_memory_ordered 1
		.amdhsa_forward_progress 1
		.amdhsa_inst_pref_size 0
		.amdhsa_round_robin_scheduling 0
		.amdhsa_exception_fp_ieee_invalid_op 0
		.amdhsa_exception_fp_denorm_src 0
		.amdhsa_exception_fp_ieee_div_zero 0
		.amdhsa_exception_fp_ieee_overflow 0
		.amdhsa_exception_fp_ieee_underflow 0
		.amdhsa_exception_fp_ieee_inexact 0
		.amdhsa_exception_int_div_zero 0
	.end_amdhsa_kernel
	.section	.text._ZN7rocprim17ROCPRIM_400000_NS6detail17trampoline_kernelINS0_14default_configENS1_25partition_config_selectorILNS1_17partition_subalgoE5EfNS0_10empty_typeEbEEZZNS1_14partition_implILS5_5ELb0ES3_mN6thrust23THRUST_200600_302600_NS6detail15normal_iteratorINSA_10device_ptrIfEEEEPS6_NSA_18transform_iteratorINSB_9not_fun_tINSA_8identityIfEEEESF_NSA_11use_defaultESM_EENS0_5tupleIJSF_S6_EEENSO_IJSG_SG_EEES6_PlJS6_EEE10hipError_tPvRmT3_T4_T5_T6_T7_T9_mT8_P12ihipStream_tbDpT10_ENKUlT_T0_E_clISt17integral_constantIbLb1EES1B_EEDaS16_S17_EUlS16_E_NS1_11comp_targetILNS1_3genE5ELNS1_11target_archE942ELNS1_3gpuE9ELNS1_3repE0EEENS1_30default_config_static_selectorELNS0_4arch9wavefront6targetE0EEEvT1_,"axG",@progbits,_ZN7rocprim17ROCPRIM_400000_NS6detail17trampoline_kernelINS0_14default_configENS1_25partition_config_selectorILNS1_17partition_subalgoE5EfNS0_10empty_typeEbEEZZNS1_14partition_implILS5_5ELb0ES3_mN6thrust23THRUST_200600_302600_NS6detail15normal_iteratorINSA_10device_ptrIfEEEEPS6_NSA_18transform_iteratorINSB_9not_fun_tINSA_8identityIfEEEESF_NSA_11use_defaultESM_EENS0_5tupleIJSF_S6_EEENSO_IJSG_SG_EEES6_PlJS6_EEE10hipError_tPvRmT3_T4_T5_T6_T7_T9_mT8_P12ihipStream_tbDpT10_ENKUlT_T0_E_clISt17integral_constantIbLb1EES1B_EEDaS16_S17_EUlS16_E_NS1_11comp_targetILNS1_3genE5ELNS1_11target_archE942ELNS1_3gpuE9ELNS1_3repE0EEENS1_30default_config_static_selectorELNS0_4arch9wavefront6targetE0EEEvT1_,comdat
.Lfunc_end830:
	.size	_ZN7rocprim17ROCPRIM_400000_NS6detail17trampoline_kernelINS0_14default_configENS1_25partition_config_selectorILNS1_17partition_subalgoE5EfNS0_10empty_typeEbEEZZNS1_14partition_implILS5_5ELb0ES3_mN6thrust23THRUST_200600_302600_NS6detail15normal_iteratorINSA_10device_ptrIfEEEEPS6_NSA_18transform_iteratorINSB_9not_fun_tINSA_8identityIfEEEESF_NSA_11use_defaultESM_EENS0_5tupleIJSF_S6_EEENSO_IJSG_SG_EEES6_PlJS6_EEE10hipError_tPvRmT3_T4_T5_T6_T7_T9_mT8_P12ihipStream_tbDpT10_ENKUlT_T0_E_clISt17integral_constantIbLb1EES1B_EEDaS16_S17_EUlS16_E_NS1_11comp_targetILNS1_3genE5ELNS1_11target_archE942ELNS1_3gpuE9ELNS1_3repE0EEENS1_30default_config_static_selectorELNS0_4arch9wavefront6targetE0EEEvT1_, .Lfunc_end830-_ZN7rocprim17ROCPRIM_400000_NS6detail17trampoline_kernelINS0_14default_configENS1_25partition_config_selectorILNS1_17partition_subalgoE5EfNS0_10empty_typeEbEEZZNS1_14partition_implILS5_5ELb0ES3_mN6thrust23THRUST_200600_302600_NS6detail15normal_iteratorINSA_10device_ptrIfEEEEPS6_NSA_18transform_iteratorINSB_9not_fun_tINSA_8identityIfEEEESF_NSA_11use_defaultESM_EENS0_5tupleIJSF_S6_EEENSO_IJSG_SG_EEES6_PlJS6_EEE10hipError_tPvRmT3_T4_T5_T6_T7_T9_mT8_P12ihipStream_tbDpT10_ENKUlT_T0_E_clISt17integral_constantIbLb1EES1B_EEDaS16_S17_EUlS16_E_NS1_11comp_targetILNS1_3genE5ELNS1_11target_archE942ELNS1_3gpuE9ELNS1_3repE0EEENS1_30default_config_static_selectorELNS0_4arch9wavefront6targetE0EEEvT1_
                                        ; -- End function
	.set _ZN7rocprim17ROCPRIM_400000_NS6detail17trampoline_kernelINS0_14default_configENS1_25partition_config_selectorILNS1_17partition_subalgoE5EfNS0_10empty_typeEbEEZZNS1_14partition_implILS5_5ELb0ES3_mN6thrust23THRUST_200600_302600_NS6detail15normal_iteratorINSA_10device_ptrIfEEEEPS6_NSA_18transform_iteratorINSB_9not_fun_tINSA_8identityIfEEEESF_NSA_11use_defaultESM_EENS0_5tupleIJSF_S6_EEENSO_IJSG_SG_EEES6_PlJS6_EEE10hipError_tPvRmT3_T4_T5_T6_T7_T9_mT8_P12ihipStream_tbDpT10_ENKUlT_T0_E_clISt17integral_constantIbLb1EES1B_EEDaS16_S17_EUlS16_E_NS1_11comp_targetILNS1_3genE5ELNS1_11target_archE942ELNS1_3gpuE9ELNS1_3repE0EEENS1_30default_config_static_selectorELNS0_4arch9wavefront6targetE0EEEvT1_.num_vgpr, 0
	.set _ZN7rocprim17ROCPRIM_400000_NS6detail17trampoline_kernelINS0_14default_configENS1_25partition_config_selectorILNS1_17partition_subalgoE5EfNS0_10empty_typeEbEEZZNS1_14partition_implILS5_5ELb0ES3_mN6thrust23THRUST_200600_302600_NS6detail15normal_iteratorINSA_10device_ptrIfEEEEPS6_NSA_18transform_iteratorINSB_9not_fun_tINSA_8identityIfEEEESF_NSA_11use_defaultESM_EENS0_5tupleIJSF_S6_EEENSO_IJSG_SG_EEES6_PlJS6_EEE10hipError_tPvRmT3_T4_T5_T6_T7_T9_mT8_P12ihipStream_tbDpT10_ENKUlT_T0_E_clISt17integral_constantIbLb1EES1B_EEDaS16_S17_EUlS16_E_NS1_11comp_targetILNS1_3genE5ELNS1_11target_archE942ELNS1_3gpuE9ELNS1_3repE0EEENS1_30default_config_static_selectorELNS0_4arch9wavefront6targetE0EEEvT1_.num_agpr, 0
	.set _ZN7rocprim17ROCPRIM_400000_NS6detail17trampoline_kernelINS0_14default_configENS1_25partition_config_selectorILNS1_17partition_subalgoE5EfNS0_10empty_typeEbEEZZNS1_14partition_implILS5_5ELb0ES3_mN6thrust23THRUST_200600_302600_NS6detail15normal_iteratorINSA_10device_ptrIfEEEEPS6_NSA_18transform_iteratorINSB_9not_fun_tINSA_8identityIfEEEESF_NSA_11use_defaultESM_EENS0_5tupleIJSF_S6_EEENSO_IJSG_SG_EEES6_PlJS6_EEE10hipError_tPvRmT3_T4_T5_T6_T7_T9_mT8_P12ihipStream_tbDpT10_ENKUlT_T0_E_clISt17integral_constantIbLb1EES1B_EEDaS16_S17_EUlS16_E_NS1_11comp_targetILNS1_3genE5ELNS1_11target_archE942ELNS1_3gpuE9ELNS1_3repE0EEENS1_30default_config_static_selectorELNS0_4arch9wavefront6targetE0EEEvT1_.numbered_sgpr, 0
	.set _ZN7rocprim17ROCPRIM_400000_NS6detail17trampoline_kernelINS0_14default_configENS1_25partition_config_selectorILNS1_17partition_subalgoE5EfNS0_10empty_typeEbEEZZNS1_14partition_implILS5_5ELb0ES3_mN6thrust23THRUST_200600_302600_NS6detail15normal_iteratorINSA_10device_ptrIfEEEEPS6_NSA_18transform_iteratorINSB_9not_fun_tINSA_8identityIfEEEESF_NSA_11use_defaultESM_EENS0_5tupleIJSF_S6_EEENSO_IJSG_SG_EEES6_PlJS6_EEE10hipError_tPvRmT3_T4_T5_T6_T7_T9_mT8_P12ihipStream_tbDpT10_ENKUlT_T0_E_clISt17integral_constantIbLb1EES1B_EEDaS16_S17_EUlS16_E_NS1_11comp_targetILNS1_3genE5ELNS1_11target_archE942ELNS1_3gpuE9ELNS1_3repE0EEENS1_30default_config_static_selectorELNS0_4arch9wavefront6targetE0EEEvT1_.num_named_barrier, 0
	.set _ZN7rocprim17ROCPRIM_400000_NS6detail17trampoline_kernelINS0_14default_configENS1_25partition_config_selectorILNS1_17partition_subalgoE5EfNS0_10empty_typeEbEEZZNS1_14partition_implILS5_5ELb0ES3_mN6thrust23THRUST_200600_302600_NS6detail15normal_iteratorINSA_10device_ptrIfEEEEPS6_NSA_18transform_iteratorINSB_9not_fun_tINSA_8identityIfEEEESF_NSA_11use_defaultESM_EENS0_5tupleIJSF_S6_EEENSO_IJSG_SG_EEES6_PlJS6_EEE10hipError_tPvRmT3_T4_T5_T6_T7_T9_mT8_P12ihipStream_tbDpT10_ENKUlT_T0_E_clISt17integral_constantIbLb1EES1B_EEDaS16_S17_EUlS16_E_NS1_11comp_targetILNS1_3genE5ELNS1_11target_archE942ELNS1_3gpuE9ELNS1_3repE0EEENS1_30default_config_static_selectorELNS0_4arch9wavefront6targetE0EEEvT1_.private_seg_size, 0
	.set _ZN7rocprim17ROCPRIM_400000_NS6detail17trampoline_kernelINS0_14default_configENS1_25partition_config_selectorILNS1_17partition_subalgoE5EfNS0_10empty_typeEbEEZZNS1_14partition_implILS5_5ELb0ES3_mN6thrust23THRUST_200600_302600_NS6detail15normal_iteratorINSA_10device_ptrIfEEEEPS6_NSA_18transform_iteratorINSB_9not_fun_tINSA_8identityIfEEEESF_NSA_11use_defaultESM_EENS0_5tupleIJSF_S6_EEENSO_IJSG_SG_EEES6_PlJS6_EEE10hipError_tPvRmT3_T4_T5_T6_T7_T9_mT8_P12ihipStream_tbDpT10_ENKUlT_T0_E_clISt17integral_constantIbLb1EES1B_EEDaS16_S17_EUlS16_E_NS1_11comp_targetILNS1_3genE5ELNS1_11target_archE942ELNS1_3gpuE9ELNS1_3repE0EEENS1_30default_config_static_selectorELNS0_4arch9wavefront6targetE0EEEvT1_.uses_vcc, 0
	.set _ZN7rocprim17ROCPRIM_400000_NS6detail17trampoline_kernelINS0_14default_configENS1_25partition_config_selectorILNS1_17partition_subalgoE5EfNS0_10empty_typeEbEEZZNS1_14partition_implILS5_5ELb0ES3_mN6thrust23THRUST_200600_302600_NS6detail15normal_iteratorINSA_10device_ptrIfEEEEPS6_NSA_18transform_iteratorINSB_9not_fun_tINSA_8identityIfEEEESF_NSA_11use_defaultESM_EENS0_5tupleIJSF_S6_EEENSO_IJSG_SG_EEES6_PlJS6_EEE10hipError_tPvRmT3_T4_T5_T6_T7_T9_mT8_P12ihipStream_tbDpT10_ENKUlT_T0_E_clISt17integral_constantIbLb1EES1B_EEDaS16_S17_EUlS16_E_NS1_11comp_targetILNS1_3genE5ELNS1_11target_archE942ELNS1_3gpuE9ELNS1_3repE0EEENS1_30default_config_static_selectorELNS0_4arch9wavefront6targetE0EEEvT1_.uses_flat_scratch, 0
	.set _ZN7rocprim17ROCPRIM_400000_NS6detail17trampoline_kernelINS0_14default_configENS1_25partition_config_selectorILNS1_17partition_subalgoE5EfNS0_10empty_typeEbEEZZNS1_14partition_implILS5_5ELb0ES3_mN6thrust23THRUST_200600_302600_NS6detail15normal_iteratorINSA_10device_ptrIfEEEEPS6_NSA_18transform_iteratorINSB_9not_fun_tINSA_8identityIfEEEESF_NSA_11use_defaultESM_EENS0_5tupleIJSF_S6_EEENSO_IJSG_SG_EEES6_PlJS6_EEE10hipError_tPvRmT3_T4_T5_T6_T7_T9_mT8_P12ihipStream_tbDpT10_ENKUlT_T0_E_clISt17integral_constantIbLb1EES1B_EEDaS16_S17_EUlS16_E_NS1_11comp_targetILNS1_3genE5ELNS1_11target_archE942ELNS1_3gpuE9ELNS1_3repE0EEENS1_30default_config_static_selectorELNS0_4arch9wavefront6targetE0EEEvT1_.has_dyn_sized_stack, 0
	.set _ZN7rocprim17ROCPRIM_400000_NS6detail17trampoline_kernelINS0_14default_configENS1_25partition_config_selectorILNS1_17partition_subalgoE5EfNS0_10empty_typeEbEEZZNS1_14partition_implILS5_5ELb0ES3_mN6thrust23THRUST_200600_302600_NS6detail15normal_iteratorINSA_10device_ptrIfEEEEPS6_NSA_18transform_iteratorINSB_9not_fun_tINSA_8identityIfEEEESF_NSA_11use_defaultESM_EENS0_5tupleIJSF_S6_EEENSO_IJSG_SG_EEES6_PlJS6_EEE10hipError_tPvRmT3_T4_T5_T6_T7_T9_mT8_P12ihipStream_tbDpT10_ENKUlT_T0_E_clISt17integral_constantIbLb1EES1B_EEDaS16_S17_EUlS16_E_NS1_11comp_targetILNS1_3genE5ELNS1_11target_archE942ELNS1_3gpuE9ELNS1_3repE0EEENS1_30default_config_static_selectorELNS0_4arch9wavefront6targetE0EEEvT1_.has_recursion, 0
	.set _ZN7rocprim17ROCPRIM_400000_NS6detail17trampoline_kernelINS0_14default_configENS1_25partition_config_selectorILNS1_17partition_subalgoE5EfNS0_10empty_typeEbEEZZNS1_14partition_implILS5_5ELb0ES3_mN6thrust23THRUST_200600_302600_NS6detail15normal_iteratorINSA_10device_ptrIfEEEEPS6_NSA_18transform_iteratorINSB_9not_fun_tINSA_8identityIfEEEESF_NSA_11use_defaultESM_EENS0_5tupleIJSF_S6_EEENSO_IJSG_SG_EEES6_PlJS6_EEE10hipError_tPvRmT3_T4_T5_T6_T7_T9_mT8_P12ihipStream_tbDpT10_ENKUlT_T0_E_clISt17integral_constantIbLb1EES1B_EEDaS16_S17_EUlS16_E_NS1_11comp_targetILNS1_3genE5ELNS1_11target_archE942ELNS1_3gpuE9ELNS1_3repE0EEENS1_30default_config_static_selectorELNS0_4arch9wavefront6targetE0EEEvT1_.has_indirect_call, 0
	.section	.AMDGPU.csdata,"",@progbits
; Kernel info:
; codeLenInByte = 0
; TotalNumSgprs: 0
; NumVgprs: 0
; ScratchSize: 0
; MemoryBound: 0
; FloatMode: 240
; IeeeMode: 1
; LDSByteSize: 0 bytes/workgroup (compile time only)
; SGPRBlocks: 0
; VGPRBlocks: 0
; NumSGPRsForWavesPerEU: 1
; NumVGPRsForWavesPerEU: 1
; Occupancy: 16
; WaveLimiterHint : 0
; COMPUTE_PGM_RSRC2:SCRATCH_EN: 0
; COMPUTE_PGM_RSRC2:USER_SGPR: 2
; COMPUTE_PGM_RSRC2:TRAP_HANDLER: 0
; COMPUTE_PGM_RSRC2:TGID_X_EN: 1
; COMPUTE_PGM_RSRC2:TGID_Y_EN: 0
; COMPUTE_PGM_RSRC2:TGID_Z_EN: 0
; COMPUTE_PGM_RSRC2:TIDIG_COMP_CNT: 0
	.section	.text._ZN7rocprim17ROCPRIM_400000_NS6detail17trampoline_kernelINS0_14default_configENS1_25partition_config_selectorILNS1_17partition_subalgoE5EfNS0_10empty_typeEbEEZZNS1_14partition_implILS5_5ELb0ES3_mN6thrust23THRUST_200600_302600_NS6detail15normal_iteratorINSA_10device_ptrIfEEEEPS6_NSA_18transform_iteratorINSB_9not_fun_tINSA_8identityIfEEEESF_NSA_11use_defaultESM_EENS0_5tupleIJSF_S6_EEENSO_IJSG_SG_EEES6_PlJS6_EEE10hipError_tPvRmT3_T4_T5_T6_T7_T9_mT8_P12ihipStream_tbDpT10_ENKUlT_T0_E_clISt17integral_constantIbLb1EES1B_EEDaS16_S17_EUlS16_E_NS1_11comp_targetILNS1_3genE4ELNS1_11target_archE910ELNS1_3gpuE8ELNS1_3repE0EEENS1_30default_config_static_selectorELNS0_4arch9wavefront6targetE0EEEvT1_,"axG",@progbits,_ZN7rocprim17ROCPRIM_400000_NS6detail17trampoline_kernelINS0_14default_configENS1_25partition_config_selectorILNS1_17partition_subalgoE5EfNS0_10empty_typeEbEEZZNS1_14partition_implILS5_5ELb0ES3_mN6thrust23THRUST_200600_302600_NS6detail15normal_iteratorINSA_10device_ptrIfEEEEPS6_NSA_18transform_iteratorINSB_9not_fun_tINSA_8identityIfEEEESF_NSA_11use_defaultESM_EENS0_5tupleIJSF_S6_EEENSO_IJSG_SG_EEES6_PlJS6_EEE10hipError_tPvRmT3_T4_T5_T6_T7_T9_mT8_P12ihipStream_tbDpT10_ENKUlT_T0_E_clISt17integral_constantIbLb1EES1B_EEDaS16_S17_EUlS16_E_NS1_11comp_targetILNS1_3genE4ELNS1_11target_archE910ELNS1_3gpuE8ELNS1_3repE0EEENS1_30default_config_static_selectorELNS0_4arch9wavefront6targetE0EEEvT1_,comdat
	.protected	_ZN7rocprim17ROCPRIM_400000_NS6detail17trampoline_kernelINS0_14default_configENS1_25partition_config_selectorILNS1_17partition_subalgoE5EfNS0_10empty_typeEbEEZZNS1_14partition_implILS5_5ELb0ES3_mN6thrust23THRUST_200600_302600_NS6detail15normal_iteratorINSA_10device_ptrIfEEEEPS6_NSA_18transform_iteratorINSB_9not_fun_tINSA_8identityIfEEEESF_NSA_11use_defaultESM_EENS0_5tupleIJSF_S6_EEENSO_IJSG_SG_EEES6_PlJS6_EEE10hipError_tPvRmT3_T4_T5_T6_T7_T9_mT8_P12ihipStream_tbDpT10_ENKUlT_T0_E_clISt17integral_constantIbLb1EES1B_EEDaS16_S17_EUlS16_E_NS1_11comp_targetILNS1_3genE4ELNS1_11target_archE910ELNS1_3gpuE8ELNS1_3repE0EEENS1_30default_config_static_selectorELNS0_4arch9wavefront6targetE0EEEvT1_ ; -- Begin function _ZN7rocprim17ROCPRIM_400000_NS6detail17trampoline_kernelINS0_14default_configENS1_25partition_config_selectorILNS1_17partition_subalgoE5EfNS0_10empty_typeEbEEZZNS1_14partition_implILS5_5ELb0ES3_mN6thrust23THRUST_200600_302600_NS6detail15normal_iteratorINSA_10device_ptrIfEEEEPS6_NSA_18transform_iteratorINSB_9not_fun_tINSA_8identityIfEEEESF_NSA_11use_defaultESM_EENS0_5tupleIJSF_S6_EEENSO_IJSG_SG_EEES6_PlJS6_EEE10hipError_tPvRmT3_T4_T5_T6_T7_T9_mT8_P12ihipStream_tbDpT10_ENKUlT_T0_E_clISt17integral_constantIbLb1EES1B_EEDaS16_S17_EUlS16_E_NS1_11comp_targetILNS1_3genE4ELNS1_11target_archE910ELNS1_3gpuE8ELNS1_3repE0EEENS1_30default_config_static_selectorELNS0_4arch9wavefront6targetE0EEEvT1_
	.globl	_ZN7rocprim17ROCPRIM_400000_NS6detail17trampoline_kernelINS0_14default_configENS1_25partition_config_selectorILNS1_17partition_subalgoE5EfNS0_10empty_typeEbEEZZNS1_14partition_implILS5_5ELb0ES3_mN6thrust23THRUST_200600_302600_NS6detail15normal_iteratorINSA_10device_ptrIfEEEEPS6_NSA_18transform_iteratorINSB_9not_fun_tINSA_8identityIfEEEESF_NSA_11use_defaultESM_EENS0_5tupleIJSF_S6_EEENSO_IJSG_SG_EEES6_PlJS6_EEE10hipError_tPvRmT3_T4_T5_T6_T7_T9_mT8_P12ihipStream_tbDpT10_ENKUlT_T0_E_clISt17integral_constantIbLb1EES1B_EEDaS16_S17_EUlS16_E_NS1_11comp_targetILNS1_3genE4ELNS1_11target_archE910ELNS1_3gpuE8ELNS1_3repE0EEENS1_30default_config_static_selectorELNS0_4arch9wavefront6targetE0EEEvT1_
	.p2align	8
	.type	_ZN7rocprim17ROCPRIM_400000_NS6detail17trampoline_kernelINS0_14default_configENS1_25partition_config_selectorILNS1_17partition_subalgoE5EfNS0_10empty_typeEbEEZZNS1_14partition_implILS5_5ELb0ES3_mN6thrust23THRUST_200600_302600_NS6detail15normal_iteratorINSA_10device_ptrIfEEEEPS6_NSA_18transform_iteratorINSB_9not_fun_tINSA_8identityIfEEEESF_NSA_11use_defaultESM_EENS0_5tupleIJSF_S6_EEENSO_IJSG_SG_EEES6_PlJS6_EEE10hipError_tPvRmT3_T4_T5_T6_T7_T9_mT8_P12ihipStream_tbDpT10_ENKUlT_T0_E_clISt17integral_constantIbLb1EES1B_EEDaS16_S17_EUlS16_E_NS1_11comp_targetILNS1_3genE4ELNS1_11target_archE910ELNS1_3gpuE8ELNS1_3repE0EEENS1_30default_config_static_selectorELNS0_4arch9wavefront6targetE0EEEvT1_,@function
_ZN7rocprim17ROCPRIM_400000_NS6detail17trampoline_kernelINS0_14default_configENS1_25partition_config_selectorILNS1_17partition_subalgoE5EfNS0_10empty_typeEbEEZZNS1_14partition_implILS5_5ELb0ES3_mN6thrust23THRUST_200600_302600_NS6detail15normal_iteratorINSA_10device_ptrIfEEEEPS6_NSA_18transform_iteratorINSB_9not_fun_tINSA_8identityIfEEEESF_NSA_11use_defaultESM_EENS0_5tupleIJSF_S6_EEENSO_IJSG_SG_EEES6_PlJS6_EEE10hipError_tPvRmT3_T4_T5_T6_T7_T9_mT8_P12ihipStream_tbDpT10_ENKUlT_T0_E_clISt17integral_constantIbLb1EES1B_EEDaS16_S17_EUlS16_E_NS1_11comp_targetILNS1_3genE4ELNS1_11target_archE910ELNS1_3gpuE8ELNS1_3repE0EEENS1_30default_config_static_selectorELNS0_4arch9wavefront6targetE0EEEvT1_: ; @_ZN7rocprim17ROCPRIM_400000_NS6detail17trampoline_kernelINS0_14default_configENS1_25partition_config_selectorILNS1_17partition_subalgoE5EfNS0_10empty_typeEbEEZZNS1_14partition_implILS5_5ELb0ES3_mN6thrust23THRUST_200600_302600_NS6detail15normal_iteratorINSA_10device_ptrIfEEEEPS6_NSA_18transform_iteratorINSB_9not_fun_tINSA_8identityIfEEEESF_NSA_11use_defaultESM_EENS0_5tupleIJSF_S6_EEENSO_IJSG_SG_EEES6_PlJS6_EEE10hipError_tPvRmT3_T4_T5_T6_T7_T9_mT8_P12ihipStream_tbDpT10_ENKUlT_T0_E_clISt17integral_constantIbLb1EES1B_EEDaS16_S17_EUlS16_E_NS1_11comp_targetILNS1_3genE4ELNS1_11target_archE910ELNS1_3gpuE8ELNS1_3repE0EEENS1_30default_config_static_selectorELNS0_4arch9wavefront6targetE0EEEvT1_
; %bb.0:
	.section	.rodata,"a",@progbits
	.p2align	6, 0x0
	.amdhsa_kernel _ZN7rocprim17ROCPRIM_400000_NS6detail17trampoline_kernelINS0_14default_configENS1_25partition_config_selectorILNS1_17partition_subalgoE5EfNS0_10empty_typeEbEEZZNS1_14partition_implILS5_5ELb0ES3_mN6thrust23THRUST_200600_302600_NS6detail15normal_iteratorINSA_10device_ptrIfEEEEPS6_NSA_18transform_iteratorINSB_9not_fun_tINSA_8identityIfEEEESF_NSA_11use_defaultESM_EENS0_5tupleIJSF_S6_EEENSO_IJSG_SG_EEES6_PlJS6_EEE10hipError_tPvRmT3_T4_T5_T6_T7_T9_mT8_P12ihipStream_tbDpT10_ENKUlT_T0_E_clISt17integral_constantIbLb1EES1B_EEDaS16_S17_EUlS16_E_NS1_11comp_targetILNS1_3genE4ELNS1_11target_archE910ELNS1_3gpuE8ELNS1_3repE0EEENS1_30default_config_static_selectorELNS0_4arch9wavefront6targetE0EEEvT1_
		.amdhsa_group_segment_fixed_size 0
		.amdhsa_private_segment_fixed_size 0
		.amdhsa_kernarg_size 136
		.amdhsa_user_sgpr_count 2
		.amdhsa_user_sgpr_dispatch_ptr 0
		.amdhsa_user_sgpr_queue_ptr 0
		.amdhsa_user_sgpr_kernarg_segment_ptr 1
		.amdhsa_user_sgpr_dispatch_id 0
		.amdhsa_user_sgpr_private_segment_size 0
		.amdhsa_wavefront_size32 1
		.amdhsa_uses_dynamic_stack 0
		.amdhsa_enable_private_segment 0
		.amdhsa_system_sgpr_workgroup_id_x 1
		.amdhsa_system_sgpr_workgroup_id_y 0
		.amdhsa_system_sgpr_workgroup_id_z 0
		.amdhsa_system_sgpr_workgroup_info 0
		.amdhsa_system_vgpr_workitem_id 0
		.amdhsa_next_free_vgpr 1
		.amdhsa_next_free_sgpr 1
		.amdhsa_reserve_vcc 0
		.amdhsa_float_round_mode_32 0
		.amdhsa_float_round_mode_16_64 0
		.amdhsa_float_denorm_mode_32 3
		.amdhsa_float_denorm_mode_16_64 3
		.amdhsa_fp16_overflow 0
		.amdhsa_workgroup_processor_mode 1
		.amdhsa_memory_ordered 1
		.amdhsa_forward_progress 1
		.amdhsa_inst_pref_size 0
		.amdhsa_round_robin_scheduling 0
		.amdhsa_exception_fp_ieee_invalid_op 0
		.amdhsa_exception_fp_denorm_src 0
		.amdhsa_exception_fp_ieee_div_zero 0
		.amdhsa_exception_fp_ieee_overflow 0
		.amdhsa_exception_fp_ieee_underflow 0
		.amdhsa_exception_fp_ieee_inexact 0
		.amdhsa_exception_int_div_zero 0
	.end_amdhsa_kernel
	.section	.text._ZN7rocprim17ROCPRIM_400000_NS6detail17trampoline_kernelINS0_14default_configENS1_25partition_config_selectorILNS1_17partition_subalgoE5EfNS0_10empty_typeEbEEZZNS1_14partition_implILS5_5ELb0ES3_mN6thrust23THRUST_200600_302600_NS6detail15normal_iteratorINSA_10device_ptrIfEEEEPS6_NSA_18transform_iteratorINSB_9not_fun_tINSA_8identityIfEEEESF_NSA_11use_defaultESM_EENS0_5tupleIJSF_S6_EEENSO_IJSG_SG_EEES6_PlJS6_EEE10hipError_tPvRmT3_T4_T5_T6_T7_T9_mT8_P12ihipStream_tbDpT10_ENKUlT_T0_E_clISt17integral_constantIbLb1EES1B_EEDaS16_S17_EUlS16_E_NS1_11comp_targetILNS1_3genE4ELNS1_11target_archE910ELNS1_3gpuE8ELNS1_3repE0EEENS1_30default_config_static_selectorELNS0_4arch9wavefront6targetE0EEEvT1_,"axG",@progbits,_ZN7rocprim17ROCPRIM_400000_NS6detail17trampoline_kernelINS0_14default_configENS1_25partition_config_selectorILNS1_17partition_subalgoE5EfNS0_10empty_typeEbEEZZNS1_14partition_implILS5_5ELb0ES3_mN6thrust23THRUST_200600_302600_NS6detail15normal_iteratorINSA_10device_ptrIfEEEEPS6_NSA_18transform_iteratorINSB_9not_fun_tINSA_8identityIfEEEESF_NSA_11use_defaultESM_EENS0_5tupleIJSF_S6_EEENSO_IJSG_SG_EEES6_PlJS6_EEE10hipError_tPvRmT3_T4_T5_T6_T7_T9_mT8_P12ihipStream_tbDpT10_ENKUlT_T0_E_clISt17integral_constantIbLb1EES1B_EEDaS16_S17_EUlS16_E_NS1_11comp_targetILNS1_3genE4ELNS1_11target_archE910ELNS1_3gpuE8ELNS1_3repE0EEENS1_30default_config_static_selectorELNS0_4arch9wavefront6targetE0EEEvT1_,comdat
.Lfunc_end831:
	.size	_ZN7rocprim17ROCPRIM_400000_NS6detail17trampoline_kernelINS0_14default_configENS1_25partition_config_selectorILNS1_17partition_subalgoE5EfNS0_10empty_typeEbEEZZNS1_14partition_implILS5_5ELb0ES3_mN6thrust23THRUST_200600_302600_NS6detail15normal_iteratorINSA_10device_ptrIfEEEEPS6_NSA_18transform_iteratorINSB_9not_fun_tINSA_8identityIfEEEESF_NSA_11use_defaultESM_EENS0_5tupleIJSF_S6_EEENSO_IJSG_SG_EEES6_PlJS6_EEE10hipError_tPvRmT3_T4_T5_T6_T7_T9_mT8_P12ihipStream_tbDpT10_ENKUlT_T0_E_clISt17integral_constantIbLb1EES1B_EEDaS16_S17_EUlS16_E_NS1_11comp_targetILNS1_3genE4ELNS1_11target_archE910ELNS1_3gpuE8ELNS1_3repE0EEENS1_30default_config_static_selectorELNS0_4arch9wavefront6targetE0EEEvT1_, .Lfunc_end831-_ZN7rocprim17ROCPRIM_400000_NS6detail17trampoline_kernelINS0_14default_configENS1_25partition_config_selectorILNS1_17partition_subalgoE5EfNS0_10empty_typeEbEEZZNS1_14partition_implILS5_5ELb0ES3_mN6thrust23THRUST_200600_302600_NS6detail15normal_iteratorINSA_10device_ptrIfEEEEPS6_NSA_18transform_iteratorINSB_9not_fun_tINSA_8identityIfEEEESF_NSA_11use_defaultESM_EENS0_5tupleIJSF_S6_EEENSO_IJSG_SG_EEES6_PlJS6_EEE10hipError_tPvRmT3_T4_T5_T6_T7_T9_mT8_P12ihipStream_tbDpT10_ENKUlT_T0_E_clISt17integral_constantIbLb1EES1B_EEDaS16_S17_EUlS16_E_NS1_11comp_targetILNS1_3genE4ELNS1_11target_archE910ELNS1_3gpuE8ELNS1_3repE0EEENS1_30default_config_static_selectorELNS0_4arch9wavefront6targetE0EEEvT1_
                                        ; -- End function
	.set _ZN7rocprim17ROCPRIM_400000_NS6detail17trampoline_kernelINS0_14default_configENS1_25partition_config_selectorILNS1_17partition_subalgoE5EfNS0_10empty_typeEbEEZZNS1_14partition_implILS5_5ELb0ES3_mN6thrust23THRUST_200600_302600_NS6detail15normal_iteratorINSA_10device_ptrIfEEEEPS6_NSA_18transform_iteratorINSB_9not_fun_tINSA_8identityIfEEEESF_NSA_11use_defaultESM_EENS0_5tupleIJSF_S6_EEENSO_IJSG_SG_EEES6_PlJS6_EEE10hipError_tPvRmT3_T4_T5_T6_T7_T9_mT8_P12ihipStream_tbDpT10_ENKUlT_T0_E_clISt17integral_constantIbLb1EES1B_EEDaS16_S17_EUlS16_E_NS1_11comp_targetILNS1_3genE4ELNS1_11target_archE910ELNS1_3gpuE8ELNS1_3repE0EEENS1_30default_config_static_selectorELNS0_4arch9wavefront6targetE0EEEvT1_.num_vgpr, 0
	.set _ZN7rocprim17ROCPRIM_400000_NS6detail17trampoline_kernelINS0_14default_configENS1_25partition_config_selectorILNS1_17partition_subalgoE5EfNS0_10empty_typeEbEEZZNS1_14partition_implILS5_5ELb0ES3_mN6thrust23THRUST_200600_302600_NS6detail15normal_iteratorINSA_10device_ptrIfEEEEPS6_NSA_18transform_iteratorINSB_9not_fun_tINSA_8identityIfEEEESF_NSA_11use_defaultESM_EENS0_5tupleIJSF_S6_EEENSO_IJSG_SG_EEES6_PlJS6_EEE10hipError_tPvRmT3_T4_T5_T6_T7_T9_mT8_P12ihipStream_tbDpT10_ENKUlT_T0_E_clISt17integral_constantIbLb1EES1B_EEDaS16_S17_EUlS16_E_NS1_11comp_targetILNS1_3genE4ELNS1_11target_archE910ELNS1_3gpuE8ELNS1_3repE0EEENS1_30default_config_static_selectorELNS0_4arch9wavefront6targetE0EEEvT1_.num_agpr, 0
	.set _ZN7rocprim17ROCPRIM_400000_NS6detail17trampoline_kernelINS0_14default_configENS1_25partition_config_selectorILNS1_17partition_subalgoE5EfNS0_10empty_typeEbEEZZNS1_14partition_implILS5_5ELb0ES3_mN6thrust23THRUST_200600_302600_NS6detail15normal_iteratorINSA_10device_ptrIfEEEEPS6_NSA_18transform_iteratorINSB_9not_fun_tINSA_8identityIfEEEESF_NSA_11use_defaultESM_EENS0_5tupleIJSF_S6_EEENSO_IJSG_SG_EEES6_PlJS6_EEE10hipError_tPvRmT3_T4_T5_T6_T7_T9_mT8_P12ihipStream_tbDpT10_ENKUlT_T0_E_clISt17integral_constantIbLb1EES1B_EEDaS16_S17_EUlS16_E_NS1_11comp_targetILNS1_3genE4ELNS1_11target_archE910ELNS1_3gpuE8ELNS1_3repE0EEENS1_30default_config_static_selectorELNS0_4arch9wavefront6targetE0EEEvT1_.numbered_sgpr, 0
	.set _ZN7rocprim17ROCPRIM_400000_NS6detail17trampoline_kernelINS0_14default_configENS1_25partition_config_selectorILNS1_17partition_subalgoE5EfNS0_10empty_typeEbEEZZNS1_14partition_implILS5_5ELb0ES3_mN6thrust23THRUST_200600_302600_NS6detail15normal_iteratorINSA_10device_ptrIfEEEEPS6_NSA_18transform_iteratorINSB_9not_fun_tINSA_8identityIfEEEESF_NSA_11use_defaultESM_EENS0_5tupleIJSF_S6_EEENSO_IJSG_SG_EEES6_PlJS6_EEE10hipError_tPvRmT3_T4_T5_T6_T7_T9_mT8_P12ihipStream_tbDpT10_ENKUlT_T0_E_clISt17integral_constantIbLb1EES1B_EEDaS16_S17_EUlS16_E_NS1_11comp_targetILNS1_3genE4ELNS1_11target_archE910ELNS1_3gpuE8ELNS1_3repE0EEENS1_30default_config_static_selectorELNS0_4arch9wavefront6targetE0EEEvT1_.num_named_barrier, 0
	.set _ZN7rocprim17ROCPRIM_400000_NS6detail17trampoline_kernelINS0_14default_configENS1_25partition_config_selectorILNS1_17partition_subalgoE5EfNS0_10empty_typeEbEEZZNS1_14partition_implILS5_5ELb0ES3_mN6thrust23THRUST_200600_302600_NS6detail15normal_iteratorINSA_10device_ptrIfEEEEPS6_NSA_18transform_iteratorINSB_9not_fun_tINSA_8identityIfEEEESF_NSA_11use_defaultESM_EENS0_5tupleIJSF_S6_EEENSO_IJSG_SG_EEES6_PlJS6_EEE10hipError_tPvRmT3_T4_T5_T6_T7_T9_mT8_P12ihipStream_tbDpT10_ENKUlT_T0_E_clISt17integral_constantIbLb1EES1B_EEDaS16_S17_EUlS16_E_NS1_11comp_targetILNS1_3genE4ELNS1_11target_archE910ELNS1_3gpuE8ELNS1_3repE0EEENS1_30default_config_static_selectorELNS0_4arch9wavefront6targetE0EEEvT1_.private_seg_size, 0
	.set _ZN7rocprim17ROCPRIM_400000_NS6detail17trampoline_kernelINS0_14default_configENS1_25partition_config_selectorILNS1_17partition_subalgoE5EfNS0_10empty_typeEbEEZZNS1_14partition_implILS5_5ELb0ES3_mN6thrust23THRUST_200600_302600_NS6detail15normal_iteratorINSA_10device_ptrIfEEEEPS6_NSA_18transform_iteratorINSB_9not_fun_tINSA_8identityIfEEEESF_NSA_11use_defaultESM_EENS0_5tupleIJSF_S6_EEENSO_IJSG_SG_EEES6_PlJS6_EEE10hipError_tPvRmT3_T4_T5_T6_T7_T9_mT8_P12ihipStream_tbDpT10_ENKUlT_T0_E_clISt17integral_constantIbLb1EES1B_EEDaS16_S17_EUlS16_E_NS1_11comp_targetILNS1_3genE4ELNS1_11target_archE910ELNS1_3gpuE8ELNS1_3repE0EEENS1_30default_config_static_selectorELNS0_4arch9wavefront6targetE0EEEvT1_.uses_vcc, 0
	.set _ZN7rocprim17ROCPRIM_400000_NS6detail17trampoline_kernelINS0_14default_configENS1_25partition_config_selectorILNS1_17partition_subalgoE5EfNS0_10empty_typeEbEEZZNS1_14partition_implILS5_5ELb0ES3_mN6thrust23THRUST_200600_302600_NS6detail15normal_iteratorINSA_10device_ptrIfEEEEPS6_NSA_18transform_iteratorINSB_9not_fun_tINSA_8identityIfEEEESF_NSA_11use_defaultESM_EENS0_5tupleIJSF_S6_EEENSO_IJSG_SG_EEES6_PlJS6_EEE10hipError_tPvRmT3_T4_T5_T6_T7_T9_mT8_P12ihipStream_tbDpT10_ENKUlT_T0_E_clISt17integral_constantIbLb1EES1B_EEDaS16_S17_EUlS16_E_NS1_11comp_targetILNS1_3genE4ELNS1_11target_archE910ELNS1_3gpuE8ELNS1_3repE0EEENS1_30default_config_static_selectorELNS0_4arch9wavefront6targetE0EEEvT1_.uses_flat_scratch, 0
	.set _ZN7rocprim17ROCPRIM_400000_NS6detail17trampoline_kernelINS0_14default_configENS1_25partition_config_selectorILNS1_17partition_subalgoE5EfNS0_10empty_typeEbEEZZNS1_14partition_implILS5_5ELb0ES3_mN6thrust23THRUST_200600_302600_NS6detail15normal_iteratorINSA_10device_ptrIfEEEEPS6_NSA_18transform_iteratorINSB_9not_fun_tINSA_8identityIfEEEESF_NSA_11use_defaultESM_EENS0_5tupleIJSF_S6_EEENSO_IJSG_SG_EEES6_PlJS6_EEE10hipError_tPvRmT3_T4_T5_T6_T7_T9_mT8_P12ihipStream_tbDpT10_ENKUlT_T0_E_clISt17integral_constantIbLb1EES1B_EEDaS16_S17_EUlS16_E_NS1_11comp_targetILNS1_3genE4ELNS1_11target_archE910ELNS1_3gpuE8ELNS1_3repE0EEENS1_30default_config_static_selectorELNS0_4arch9wavefront6targetE0EEEvT1_.has_dyn_sized_stack, 0
	.set _ZN7rocprim17ROCPRIM_400000_NS6detail17trampoline_kernelINS0_14default_configENS1_25partition_config_selectorILNS1_17partition_subalgoE5EfNS0_10empty_typeEbEEZZNS1_14partition_implILS5_5ELb0ES3_mN6thrust23THRUST_200600_302600_NS6detail15normal_iteratorINSA_10device_ptrIfEEEEPS6_NSA_18transform_iteratorINSB_9not_fun_tINSA_8identityIfEEEESF_NSA_11use_defaultESM_EENS0_5tupleIJSF_S6_EEENSO_IJSG_SG_EEES6_PlJS6_EEE10hipError_tPvRmT3_T4_T5_T6_T7_T9_mT8_P12ihipStream_tbDpT10_ENKUlT_T0_E_clISt17integral_constantIbLb1EES1B_EEDaS16_S17_EUlS16_E_NS1_11comp_targetILNS1_3genE4ELNS1_11target_archE910ELNS1_3gpuE8ELNS1_3repE0EEENS1_30default_config_static_selectorELNS0_4arch9wavefront6targetE0EEEvT1_.has_recursion, 0
	.set _ZN7rocprim17ROCPRIM_400000_NS6detail17trampoline_kernelINS0_14default_configENS1_25partition_config_selectorILNS1_17partition_subalgoE5EfNS0_10empty_typeEbEEZZNS1_14partition_implILS5_5ELb0ES3_mN6thrust23THRUST_200600_302600_NS6detail15normal_iteratorINSA_10device_ptrIfEEEEPS6_NSA_18transform_iteratorINSB_9not_fun_tINSA_8identityIfEEEESF_NSA_11use_defaultESM_EENS0_5tupleIJSF_S6_EEENSO_IJSG_SG_EEES6_PlJS6_EEE10hipError_tPvRmT3_T4_T5_T6_T7_T9_mT8_P12ihipStream_tbDpT10_ENKUlT_T0_E_clISt17integral_constantIbLb1EES1B_EEDaS16_S17_EUlS16_E_NS1_11comp_targetILNS1_3genE4ELNS1_11target_archE910ELNS1_3gpuE8ELNS1_3repE0EEENS1_30default_config_static_selectorELNS0_4arch9wavefront6targetE0EEEvT1_.has_indirect_call, 0
	.section	.AMDGPU.csdata,"",@progbits
; Kernel info:
; codeLenInByte = 0
; TotalNumSgprs: 0
; NumVgprs: 0
; ScratchSize: 0
; MemoryBound: 0
; FloatMode: 240
; IeeeMode: 1
; LDSByteSize: 0 bytes/workgroup (compile time only)
; SGPRBlocks: 0
; VGPRBlocks: 0
; NumSGPRsForWavesPerEU: 1
; NumVGPRsForWavesPerEU: 1
; Occupancy: 16
; WaveLimiterHint : 0
; COMPUTE_PGM_RSRC2:SCRATCH_EN: 0
; COMPUTE_PGM_RSRC2:USER_SGPR: 2
; COMPUTE_PGM_RSRC2:TRAP_HANDLER: 0
; COMPUTE_PGM_RSRC2:TGID_X_EN: 1
; COMPUTE_PGM_RSRC2:TGID_Y_EN: 0
; COMPUTE_PGM_RSRC2:TGID_Z_EN: 0
; COMPUTE_PGM_RSRC2:TIDIG_COMP_CNT: 0
	.section	.text._ZN7rocprim17ROCPRIM_400000_NS6detail17trampoline_kernelINS0_14default_configENS1_25partition_config_selectorILNS1_17partition_subalgoE5EfNS0_10empty_typeEbEEZZNS1_14partition_implILS5_5ELb0ES3_mN6thrust23THRUST_200600_302600_NS6detail15normal_iteratorINSA_10device_ptrIfEEEEPS6_NSA_18transform_iteratorINSB_9not_fun_tINSA_8identityIfEEEESF_NSA_11use_defaultESM_EENS0_5tupleIJSF_S6_EEENSO_IJSG_SG_EEES6_PlJS6_EEE10hipError_tPvRmT3_T4_T5_T6_T7_T9_mT8_P12ihipStream_tbDpT10_ENKUlT_T0_E_clISt17integral_constantIbLb1EES1B_EEDaS16_S17_EUlS16_E_NS1_11comp_targetILNS1_3genE3ELNS1_11target_archE908ELNS1_3gpuE7ELNS1_3repE0EEENS1_30default_config_static_selectorELNS0_4arch9wavefront6targetE0EEEvT1_,"axG",@progbits,_ZN7rocprim17ROCPRIM_400000_NS6detail17trampoline_kernelINS0_14default_configENS1_25partition_config_selectorILNS1_17partition_subalgoE5EfNS0_10empty_typeEbEEZZNS1_14partition_implILS5_5ELb0ES3_mN6thrust23THRUST_200600_302600_NS6detail15normal_iteratorINSA_10device_ptrIfEEEEPS6_NSA_18transform_iteratorINSB_9not_fun_tINSA_8identityIfEEEESF_NSA_11use_defaultESM_EENS0_5tupleIJSF_S6_EEENSO_IJSG_SG_EEES6_PlJS6_EEE10hipError_tPvRmT3_T4_T5_T6_T7_T9_mT8_P12ihipStream_tbDpT10_ENKUlT_T0_E_clISt17integral_constantIbLb1EES1B_EEDaS16_S17_EUlS16_E_NS1_11comp_targetILNS1_3genE3ELNS1_11target_archE908ELNS1_3gpuE7ELNS1_3repE0EEENS1_30default_config_static_selectorELNS0_4arch9wavefront6targetE0EEEvT1_,comdat
	.protected	_ZN7rocprim17ROCPRIM_400000_NS6detail17trampoline_kernelINS0_14default_configENS1_25partition_config_selectorILNS1_17partition_subalgoE5EfNS0_10empty_typeEbEEZZNS1_14partition_implILS5_5ELb0ES3_mN6thrust23THRUST_200600_302600_NS6detail15normal_iteratorINSA_10device_ptrIfEEEEPS6_NSA_18transform_iteratorINSB_9not_fun_tINSA_8identityIfEEEESF_NSA_11use_defaultESM_EENS0_5tupleIJSF_S6_EEENSO_IJSG_SG_EEES6_PlJS6_EEE10hipError_tPvRmT3_T4_T5_T6_T7_T9_mT8_P12ihipStream_tbDpT10_ENKUlT_T0_E_clISt17integral_constantIbLb1EES1B_EEDaS16_S17_EUlS16_E_NS1_11comp_targetILNS1_3genE3ELNS1_11target_archE908ELNS1_3gpuE7ELNS1_3repE0EEENS1_30default_config_static_selectorELNS0_4arch9wavefront6targetE0EEEvT1_ ; -- Begin function _ZN7rocprim17ROCPRIM_400000_NS6detail17trampoline_kernelINS0_14default_configENS1_25partition_config_selectorILNS1_17partition_subalgoE5EfNS0_10empty_typeEbEEZZNS1_14partition_implILS5_5ELb0ES3_mN6thrust23THRUST_200600_302600_NS6detail15normal_iteratorINSA_10device_ptrIfEEEEPS6_NSA_18transform_iteratorINSB_9not_fun_tINSA_8identityIfEEEESF_NSA_11use_defaultESM_EENS0_5tupleIJSF_S6_EEENSO_IJSG_SG_EEES6_PlJS6_EEE10hipError_tPvRmT3_T4_T5_T6_T7_T9_mT8_P12ihipStream_tbDpT10_ENKUlT_T0_E_clISt17integral_constantIbLb1EES1B_EEDaS16_S17_EUlS16_E_NS1_11comp_targetILNS1_3genE3ELNS1_11target_archE908ELNS1_3gpuE7ELNS1_3repE0EEENS1_30default_config_static_selectorELNS0_4arch9wavefront6targetE0EEEvT1_
	.globl	_ZN7rocprim17ROCPRIM_400000_NS6detail17trampoline_kernelINS0_14default_configENS1_25partition_config_selectorILNS1_17partition_subalgoE5EfNS0_10empty_typeEbEEZZNS1_14partition_implILS5_5ELb0ES3_mN6thrust23THRUST_200600_302600_NS6detail15normal_iteratorINSA_10device_ptrIfEEEEPS6_NSA_18transform_iteratorINSB_9not_fun_tINSA_8identityIfEEEESF_NSA_11use_defaultESM_EENS0_5tupleIJSF_S6_EEENSO_IJSG_SG_EEES6_PlJS6_EEE10hipError_tPvRmT3_T4_T5_T6_T7_T9_mT8_P12ihipStream_tbDpT10_ENKUlT_T0_E_clISt17integral_constantIbLb1EES1B_EEDaS16_S17_EUlS16_E_NS1_11comp_targetILNS1_3genE3ELNS1_11target_archE908ELNS1_3gpuE7ELNS1_3repE0EEENS1_30default_config_static_selectorELNS0_4arch9wavefront6targetE0EEEvT1_
	.p2align	8
	.type	_ZN7rocprim17ROCPRIM_400000_NS6detail17trampoline_kernelINS0_14default_configENS1_25partition_config_selectorILNS1_17partition_subalgoE5EfNS0_10empty_typeEbEEZZNS1_14partition_implILS5_5ELb0ES3_mN6thrust23THRUST_200600_302600_NS6detail15normal_iteratorINSA_10device_ptrIfEEEEPS6_NSA_18transform_iteratorINSB_9not_fun_tINSA_8identityIfEEEESF_NSA_11use_defaultESM_EENS0_5tupleIJSF_S6_EEENSO_IJSG_SG_EEES6_PlJS6_EEE10hipError_tPvRmT3_T4_T5_T6_T7_T9_mT8_P12ihipStream_tbDpT10_ENKUlT_T0_E_clISt17integral_constantIbLb1EES1B_EEDaS16_S17_EUlS16_E_NS1_11comp_targetILNS1_3genE3ELNS1_11target_archE908ELNS1_3gpuE7ELNS1_3repE0EEENS1_30default_config_static_selectorELNS0_4arch9wavefront6targetE0EEEvT1_,@function
_ZN7rocprim17ROCPRIM_400000_NS6detail17trampoline_kernelINS0_14default_configENS1_25partition_config_selectorILNS1_17partition_subalgoE5EfNS0_10empty_typeEbEEZZNS1_14partition_implILS5_5ELb0ES3_mN6thrust23THRUST_200600_302600_NS6detail15normal_iteratorINSA_10device_ptrIfEEEEPS6_NSA_18transform_iteratorINSB_9not_fun_tINSA_8identityIfEEEESF_NSA_11use_defaultESM_EENS0_5tupleIJSF_S6_EEENSO_IJSG_SG_EEES6_PlJS6_EEE10hipError_tPvRmT3_T4_T5_T6_T7_T9_mT8_P12ihipStream_tbDpT10_ENKUlT_T0_E_clISt17integral_constantIbLb1EES1B_EEDaS16_S17_EUlS16_E_NS1_11comp_targetILNS1_3genE3ELNS1_11target_archE908ELNS1_3gpuE7ELNS1_3repE0EEENS1_30default_config_static_selectorELNS0_4arch9wavefront6targetE0EEEvT1_: ; @_ZN7rocprim17ROCPRIM_400000_NS6detail17trampoline_kernelINS0_14default_configENS1_25partition_config_selectorILNS1_17partition_subalgoE5EfNS0_10empty_typeEbEEZZNS1_14partition_implILS5_5ELb0ES3_mN6thrust23THRUST_200600_302600_NS6detail15normal_iteratorINSA_10device_ptrIfEEEEPS6_NSA_18transform_iteratorINSB_9not_fun_tINSA_8identityIfEEEESF_NSA_11use_defaultESM_EENS0_5tupleIJSF_S6_EEENSO_IJSG_SG_EEES6_PlJS6_EEE10hipError_tPvRmT3_T4_T5_T6_T7_T9_mT8_P12ihipStream_tbDpT10_ENKUlT_T0_E_clISt17integral_constantIbLb1EES1B_EEDaS16_S17_EUlS16_E_NS1_11comp_targetILNS1_3genE3ELNS1_11target_archE908ELNS1_3gpuE7ELNS1_3repE0EEENS1_30default_config_static_selectorELNS0_4arch9wavefront6targetE0EEEvT1_
; %bb.0:
	.section	.rodata,"a",@progbits
	.p2align	6, 0x0
	.amdhsa_kernel _ZN7rocprim17ROCPRIM_400000_NS6detail17trampoline_kernelINS0_14default_configENS1_25partition_config_selectorILNS1_17partition_subalgoE5EfNS0_10empty_typeEbEEZZNS1_14partition_implILS5_5ELb0ES3_mN6thrust23THRUST_200600_302600_NS6detail15normal_iteratorINSA_10device_ptrIfEEEEPS6_NSA_18transform_iteratorINSB_9not_fun_tINSA_8identityIfEEEESF_NSA_11use_defaultESM_EENS0_5tupleIJSF_S6_EEENSO_IJSG_SG_EEES6_PlJS6_EEE10hipError_tPvRmT3_T4_T5_T6_T7_T9_mT8_P12ihipStream_tbDpT10_ENKUlT_T0_E_clISt17integral_constantIbLb1EES1B_EEDaS16_S17_EUlS16_E_NS1_11comp_targetILNS1_3genE3ELNS1_11target_archE908ELNS1_3gpuE7ELNS1_3repE0EEENS1_30default_config_static_selectorELNS0_4arch9wavefront6targetE0EEEvT1_
		.amdhsa_group_segment_fixed_size 0
		.amdhsa_private_segment_fixed_size 0
		.amdhsa_kernarg_size 136
		.amdhsa_user_sgpr_count 2
		.amdhsa_user_sgpr_dispatch_ptr 0
		.amdhsa_user_sgpr_queue_ptr 0
		.amdhsa_user_sgpr_kernarg_segment_ptr 1
		.amdhsa_user_sgpr_dispatch_id 0
		.amdhsa_user_sgpr_private_segment_size 0
		.amdhsa_wavefront_size32 1
		.amdhsa_uses_dynamic_stack 0
		.amdhsa_enable_private_segment 0
		.amdhsa_system_sgpr_workgroup_id_x 1
		.amdhsa_system_sgpr_workgroup_id_y 0
		.amdhsa_system_sgpr_workgroup_id_z 0
		.amdhsa_system_sgpr_workgroup_info 0
		.amdhsa_system_vgpr_workitem_id 0
		.amdhsa_next_free_vgpr 1
		.amdhsa_next_free_sgpr 1
		.amdhsa_reserve_vcc 0
		.amdhsa_float_round_mode_32 0
		.amdhsa_float_round_mode_16_64 0
		.amdhsa_float_denorm_mode_32 3
		.amdhsa_float_denorm_mode_16_64 3
		.amdhsa_fp16_overflow 0
		.amdhsa_workgroup_processor_mode 1
		.amdhsa_memory_ordered 1
		.amdhsa_forward_progress 1
		.amdhsa_inst_pref_size 0
		.amdhsa_round_robin_scheduling 0
		.amdhsa_exception_fp_ieee_invalid_op 0
		.amdhsa_exception_fp_denorm_src 0
		.amdhsa_exception_fp_ieee_div_zero 0
		.amdhsa_exception_fp_ieee_overflow 0
		.amdhsa_exception_fp_ieee_underflow 0
		.amdhsa_exception_fp_ieee_inexact 0
		.amdhsa_exception_int_div_zero 0
	.end_amdhsa_kernel
	.section	.text._ZN7rocprim17ROCPRIM_400000_NS6detail17trampoline_kernelINS0_14default_configENS1_25partition_config_selectorILNS1_17partition_subalgoE5EfNS0_10empty_typeEbEEZZNS1_14partition_implILS5_5ELb0ES3_mN6thrust23THRUST_200600_302600_NS6detail15normal_iteratorINSA_10device_ptrIfEEEEPS6_NSA_18transform_iteratorINSB_9not_fun_tINSA_8identityIfEEEESF_NSA_11use_defaultESM_EENS0_5tupleIJSF_S6_EEENSO_IJSG_SG_EEES6_PlJS6_EEE10hipError_tPvRmT3_T4_T5_T6_T7_T9_mT8_P12ihipStream_tbDpT10_ENKUlT_T0_E_clISt17integral_constantIbLb1EES1B_EEDaS16_S17_EUlS16_E_NS1_11comp_targetILNS1_3genE3ELNS1_11target_archE908ELNS1_3gpuE7ELNS1_3repE0EEENS1_30default_config_static_selectorELNS0_4arch9wavefront6targetE0EEEvT1_,"axG",@progbits,_ZN7rocprim17ROCPRIM_400000_NS6detail17trampoline_kernelINS0_14default_configENS1_25partition_config_selectorILNS1_17partition_subalgoE5EfNS0_10empty_typeEbEEZZNS1_14partition_implILS5_5ELb0ES3_mN6thrust23THRUST_200600_302600_NS6detail15normal_iteratorINSA_10device_ptrIfEEEEPS6_NSA_18transform_iteratorINSB_9not_fun_tINSA_8identityIfEEEESF_NSA_11use_defaultESM_EENS0_5tupleIJSF_S6_EEENSO_IJSG_SG_EEES6_PlJS6_EEE10hipError_tPvRmT3_T4_T5_T6_T7_T9_mT8_P12ihipStream_tbDpT10_ENKUlT_T0_E_clISt17integral_constantIbLb1EES1B_EEDaS16_S17_EUlS16_E_NS1_11comp_targetILNS1_3genE3ELNS1_11target_archE908ELNS1_3gpuE7ELNS1_3repE0EEENS1_30default_config_static_selectorELNS0_4arch9wavefront6targetE0EEEvT1_,comdat
.Lfunc_end832:
	.size	_ZN7rocprim17ROCPRIM_400000_NS6detail17trampoline_kernelINS0_14default_configENS1_25partition_config_selectorILNS1_17partition_subalgoE5EfNS0_10empty_typeEbEEZZNS1_14partition_implILS5_5ELb0ES3_mN6thrust23THRUST_200600_302600_NS6detail15normal_iteratorINSA_10device_ptrIfEEEEPS6_NSA_18transform_iteratorINSB_9not_fun_tINSA_8identityIfEEEESF_NSA_11use_defaultESM_EENS0_5tupleIJSF_S6_EEENSO_IJSG_SG_EEES6_PlJS6_EEE10hipError_tPvRmT3_T4_T5_T6_T7_T9_mT8_P12ihipStream_tbDpT10_ENKUlT_T0_E_clISt17integral_constantIbLb1EES1B_EEDaS16_S17_EUlS16_E_NS1_11comp_targetILNS1_3genE3ELNS1_11target_archE908ELNS1_3gpuE7ELNS1_3repE0EEENS1_30default_config_static_selectorELNS0_4arch9wavefront6targetE0EEEvT1_, .Lfunc_end832-_ZN7rocprim17ROCPRIM_400000_NS6detail17trampoline_kernelINS0_14default_configENS1_25partition_config_selectorILNS1_17partition_subalgoE5EfNS0_10empty_typeEbEEZZNS1_14partition_implILS5_5ELb0ES3_mN6thrust23THRUST_200600_302600_NS6detail15normal_iteratorINSA_10device_ptrIfEEEEPS6_NSA_18transform_iteratorINSB_9not_fun_tINSA_8identityIfEEEESF_NSA_11use_defaultESM_EENS0_5tupleIJSF_S6_EEENSO_IJSG_SG_EEES6_PlJS6_EEE10hipError_tPvRmT3_T4_T5_T6_T7_T9_mT8_P12ihipStream_tbDpT10_ENKUlT_T0_E_clISt17integral_constantIbLb1EES1B_EEDaS16_S17_EUlS16_E_NS1_11comp_targetILNS1_3genE3ELNS1_11target_archE908ELNS1_3gpuE7ELNS1_3repE0EEENS1_30default_config_static_selectorELNS0_4arch9wavefront6targetE0EEEvT1_
                                        ; -- End function
	.set _ZN7rocprim17ROCPRIM_400000_NS6detail17trampoline_kernelINS0_14default_configENS1_25partition_config_selectorILNS1_17partition_subalgoE5EfNS0_10empty_typeEbEEZZNS1_14partition_implILS5_5ELb0ES3_mN6thrust23THRUST_200600_302600_NS6detail15normal_iteratorINSA_10device_ptrIfEEEEPS6_NSA_18transform_iteratorINSB_9not_fun_tINSA_8identityIfEEEESF_NSA_11use_defaultESM_EENS0_5tupleIJSF_S6_EEENSO_IJSG_SG_EEES6_PlJS6_EEE10hipError_tPvRmT3_T4_T5_T6_T7_T9_mT8_P12ihipStream_tbDpT10_ENKUlT_T0_E_clISt17integral_constantIbLb1EES1B_EEDaS16_S17_EUlS16_E_NS1_11comp_targetILNS1_3genE3ELNS1_11target_archE908ELNS1_3gpuE7ELNS1_3repE0EEENS1_30default_config_static_selectorELNS0_4arch9wavefront6targetE0EEEvT1_.num_vgpr, 0
	.set _ZN7rocprim17ROCPRIM_400000_NS6detail17trampoline_kernelINS0_14default_configENS1_25partition_config_selectorILNS1_17partition_subalgoE5EfNS0_10empty_typeEbEEZZNS1_14partition_implILS5_5ELb0ES3_mN6thrust23THRUST_200600_302600_NS6detail15normal_iteratorINSA_10device_ptrIfEEEEPS6_NSA_18transform_iteratorINSB_9not_fun_tINSA_8identityIfEEEESF_NSA_11use_defaultESM_EENS0_5tupleIJSF_S6_EEENSO_IJSG_SG_EEES6_PlJS6_EEE10hipError_tPvRmT3_T4_T5_T6_T7_T9_mT8_P12ihipStream_tbDpT10_ENKUlT_T0_E_clISt17integral_constantIbLb1EES1B_EEDaS16_S17_EUlS16_E_NS1_11comp_targetILNS1_3genE3ELNS1_11target_archE908ELNS1_3gpuE7ELNS1_3repE0EEENS1_30default_config_static_selectorELNS0_4arch9wavefront6targetE0EEEvT1_.num_agpr, 0
	.set _ZN7rocprim17ROCPRIM_400000_NS6detail17trampoline_kernelINS0_14default_configENS1_25partition_config_selectorILNS1_17partition_subalgoE5EfNS0_10empty_typeEbEEZZNS1_14partition_implILS5_5ELb0ES3_mN6thrust23THRUST_200600_302600_NS6detail15normal_iteratorINSA_10device_ptrIfEEEEPS6_NSA_18transform_iteratorINSB_9not_fun_tINSA_8identityIfEEEESF_NSA_11use_defaultESM_EENS0_5tupleIJSF_S6_EEENSO_IJSG_SG_EEES6_PlJS6_EEE10hipError_tPvRmT3_T4_T5_T6_T7_T9_mT8_P12ihipStream_tbDpT10_ENKUlT_T0_E_clISt17integral_constantIbLb1EES1B_EEDaS16_S17_EUlS16_E_NS1_11comp_targetILNS1_3genE3ELNS1_11target_archE908ELNS1_3gpuE7ELNS1_3repE0EEENS1_30default_config_static_selectorELNS0_4arch9wavefront6targetE0EEEvT1_.numbered_sgpr, 0
	.set _ZN7rocprim17ROCPRIM_400000_NS6detail17trampoline_kernelINS0_14default_configENS1_25partition_config_selectorILNS1_17partition_subalgoE5EfNS0_10empty_typeEbEEZZNS1_14partition_implILS5_5ELb0ES3_mN6thrust23THRUST_200600_302600_NS6detail15normal_iteratorINSA_10device_ptrIfEEEEPS6_NSA_18transform_iteratorINSB_9not_fun_tINSA_8identityIfEEEESF_NSA_11use_defaultESM_EENS0_5tupleIJSF_S6_EEENSO_IJSG_SG_EEES6_PlJS6_EEE10hipError_tPvRmT3_T4_T5_T6_T7_T9_mT8_P12ihipStream_tbDpT10_ENKUlT_T0_E_clISt17integral_constantIbLb1EES1B_EEDaS16_S17_EUlS16_E_NS1_11comp_targetILNS1_3genE3ELNS1_11target_archE908ELNS1_3gpuE7ELNS1_3repE0EEENS1_30default_config_static_selectorELNS0_4arch9wavefront6targetE0EEEvT1_.num_named_barrier, 0
	.set _ZN7rocprim17ROCPRIM_400000_NS6detail17trampoline_kernelINS0_14default_configENS1_25partition_config_selectorILNS1_17partition_subalgoE5EfNS0_10empty_typeEbEEZZNS1_14partition_implILS5_5ELb0ES3_mN6thrust23THRUST_200600_302600_NS6detail15normal_iteratorINSA_10device_ptrIfEEEEPS6_NSA_18transform_iteratorINSB_9not_fun_tINSA_8identityIfEEEESF_NSA_11use_defaultESM_EENS0_5tupleIJSF_S6_EEENSO_IJSG_SG_EEES6_PlJS6_EEE10hipError_tPvRmT3_T4_T5_T6_T7_T9_mT8_P12ihipStream_tbDpT10_ENKUlT_T0_E_clISt17integral_constantIbLb1EES1B_EEDaS16_S17_EUlS16_E_NS1_11comp_targetILNS1_3genE3ELNS1_11target_archE908ELNS1_3gpuE7ELNS1_3repE0EEENS1_30default_config_static_selectorELNS0_4arch9wavefront6targetE0EEEvT1_.private_seg_size, 0
	.set _ZN7rocprim17ROCPRIM_400000_NS6detail17trampoline_kernelINS0_14default_configENS1_25partition_config_selectorILNS1_17partition_subalgoE5EfNS0_10empty_typeEbEEZZNS1_14partition_implILS5_5ELb0ES3_mN6thrust23THRUST_200600_302600_NS6detail15normal_iteratorINSA_10device_ptrIfEEEEPS6_NSA_18transform_iteratorINSB_9not_fun_tINSA_8identityIfEEEESF_NSA_11use_defaultESM_EENS0_5tupleIJSF_S6_EEENSO_IJSG_SG_EEES6_PlJS6_EEE10hipError_tPvRmT3_T4_T5_T6_T7_T9_mT8_P12ihipStream_tbDpT10_ENKUlT_T0_E_clISt17integral_constantIbLb1EES1B_EEDaS16_S17_EUlS16_E_NS1_11comp_targetILNS1_3genE3ELNS1_11target_archE908ELNS1_3gpuE7ELNS1_3repE0EEENS1_30default_config_static_selectorELNS0_4arch9wavefront6targetE0EEEvT1_.uses_vcc, 0
	.set _ZN7rocprim17ROCPRIM_400000_NS6detail17trampoline_kernelINS0_14default_configENS1_25partition_config_selectorILNS1_17partition_subalgoE5EfNS0_10empty_typeEbEEZZNS1_14partition_implILS5_5ELb0ES3_mN6thrust23THRUST_200600_302600_NS6detail15normal_iteratorINSA_10device_ptrIfEEEEPS6_NSA_18transform_iteratorINSB_9not_fun_tINSA_8identityIfEEEESF_NSA_11use_defaultESM_EENS0_5tupleIJSF_S6_EEENSO_IJSG_SG_EEES6_PlJS6_EEE10hipError_tPvRmT3_T4_T5_T6_T7_T9_mT8_P12ihipStream_tbDpT10_ENKUlT_T0_E_clISt17integral_constantIbLb1EES1B_EEDaS16_S17_EUlS16_E_NS1_11comp_targetILNS1_3genE3ELNS1_11target_archE908ELNS1_3gpuE7ELNS1_3repE0EEENS1_30default_config_static_selectorELNS0_4arch9wavefront6targetE0EEEvT1_.uses_flat_scratch, 0
	.set _ZN7rocprim17ROCPRIM_400000_NS6detail17trampoline_kernelINS0_14default_configENS1_25partition_config_selectorILNS1_17partition_subalgoE5EfNS0_10empty_typeEbEEZZNS1_14partition_implILS5_5ELb0ES3_mN6thrust23THRUST_200600_302600_NS6detail15normal_iteratorINSA_10device_ptrIfEEEEPS6_NSA_18transform_iteratorINSB_9not_fun_tINSA_8identityIfEEEESF_NSA_11use_defaultESM_EENS0_5tupleIJSF_S6_EEENSO_IJSG_SG_EEES6_PlJS6_EEE10hipError_tPvRmT3_T4_T5_T6_T7_T9_mT8_P12ihipStream_tbDpT10_ENKUlT_T0_E_clISt17integral_constantIbLb1EES1B_EEDaS16_S17_EUlS16_E_NS1_11comp_targetILNS1_3genE3ELNS1_11target_archE908ELNS1_3gpuE7ELNS1_3repE0EEENS1_30default_config_static_selectorELNS0_4arch9wavefront6targetE0EEEvT1_.has_dyn_sized_stack, 0
	.set _ZN7rocprim17ROCPRIM_400000_NS6detail17trampoline_kernelINS0_14default_configENS1_25partition_config_selectorILNS1_17partition_subalgoE5EfNS0_10empty_typeEbEEZZNS1_14partition_implILS5_5ELb0ES3_mN6thrust23THRUST_200600_302600_NS6detail15normal_iteratorINSA_10device_ptrIfEEEEPS6_NSA_18transform_iteratorINSB_9not_fun_tINSA_8identityIfEEEESF_NSA_11use_defaultESM_EENS0_5tupleIJSF_S6_EEENSO_IJSG_SG_EEES6_PlJS6_EEE10hipError_tPvRmT3_T4_T5_T6_T7_T9_mT8_P12ihipStream_tbDpT10_ENKUlT_T0_E_clISt17integral_constantIbLb1EES1B_EEDaS16_S17_EUlS16_E_NS1_11comp_targetILNS1_3genE3ELNS1_11target_archE908ELNS1_3gpuE7ELNS1_3repE0EEENS1_30default_config_static_selectorELNS0_4arch9wavefront6targetE0EEEvT1_.has_recursion, 0
	.set _ZN7rocprim17ROCPRIM_400000_NS6detail17trampoline_kernelINS0_14default_configENS1_25partition_config_selectorILNS1_17partition_subalgoE5EfNS0_10empty_typeEbEEZZNS1_14partition_implILS5_5ELb0ES3_mN6thrust23THRUST_200600_302600_NS6detail15normal_iteratorINSA_10device_ptrIfEEEEPS6_NSA_18transform_iteratorINSB_9not_fun_tINSA_8identityIfEEEESF_NSA_11use_defaultESM_EENS0_5tupleIJSF_S6_EEENSO_IJSG_SG_EEES6_PlJS6_EEE10hipError_tPvRmT3_T4_T5_T6_T7_T9_mT8_P12ihipStream_tbDpT10_ENKUlT_T0_E_clISt17integral_constantIbLb1EES1B_EEDaS16_S17_EUlS16_E_NS1_11comp_targetILNS1_3genE3ELNS1_11target_archE908ELNS1_3gpuE7ELNS1_3repE0EEENS1_30default_config_static_selectorELNS0_4arch9wavefront6targetE0EEEvT1_.has_indirect_call, 0
	.section	.AMDGPU.csdata,"",@progbits
; Kernel info:
; codeLenInByte = 0
; TotalNumSgprs: 0
; NumVgprs: 0
; ScratchSize: 0
; MemoryBound: 0
; FloatMode: 240
; IeeeMode: 1
; LDSByteSize: 0 bytes/workgroup (compile time only)
; SGPRBlocks: 0
; VGPRBlocks: 0
; NumSGPRsForWavesPerEU: 1
; NumVGPRsForWavesPerEU: 1
; Occupancy: 16
; WaveLimiterHint : 0
; COMPUTE_PGM_RSRC2:SCRATCH_EN: 0
; COMPUTE_PGM_RSRC2:USER_SGPR: 2
; COMPUTE_PGM_RSRC2:TRAP_HANDLER: 0
; COMPUTE_PGM_RSRC2:TGID_X_EN: 1
; COMPUTE_PGM_RSRC2:TGID_Y_EN: 0
; COMPUTE_PGM_RSRC2:TGID_Z_EN: 0
; COMPUTE_PGM_RSRC2:TIDIG_COMP_CNT: 0
	.section	.text._ZN7rocprim17ROCPRIM_400000_NS6detail17trampoline_kernelINS0_14default_configENS1_25partition_config_selectorILNS1_17partition_subalgoE5EfNS0_10empty_typeEbEEZZNS1_14partition_implILS5_5ELb0ES3_mN6thrust23THRUST_200600_302600_NS6detail15normal_iteratorINSA_10device_ptrIfEEEEPS6_NSA_18transform_iteratorINSB_9not_fun_tINSA_8identityIfEEEESF_NSA_11use_defaultESM_EENS0_5tupleIJSF_S6_EEENSO_IJSG_SG_EEES6_PlJS6_EEE10hipError_tPvRmT3_T4_T5_T6_T7_T9_mT8_P12ihipStream_tbDpT10_ENKUlT_T0_E_clISt17integral_constantIbLb1EES1B_EEDaS16_S17_EUlS16_E_NS1_11comp_targetILNS1_3genE2ELNS1_11target_archE906ELNS1_3gpuE6ELNS1_3repE0EEENS1_30default_config_static_selectorELNS0_4arch9wavefront6targetE0EEEvT1_,"axG",@progbits,_ZN7rocprim17ROCPRIM_400000_NS6detail17trampoline_kernelINS0_14default_configENS1_25partition_config_selectorILNS1_17partition_subalgoE5EfNS0_10empty_typeEbEEZZNS1_14partition_implILS5_5ELb0ES3_mN6thrust23THRUST_200600_302600_NS6detail15normal_iteratorINSA_10device_ptrIfEEEEPS6_NSA_18transform_iteratorINSB_9not_fun_tINSA_8identityIfEEEESF_NSA_11use_defaultESM_EENS0_5tupleIJSF_S6_EEENSO_IJSG_SG_EEES6_PlJS6_EEE10hipError_tPvRmT3_T4_T5_T6_T7_T9_mT8_P12ihipStream_tbDpT10_ENKUlT_T0_E_clISt17integral_constantIbLb1EES1B_EEDaS16_S17_EUlS16_E_NS1_11comp_targetILNS1_3genE2ELNS1_11target_archE906ELNS1_3gpuE6ELNS1_3repE0EEENS1_30default_config_static_selectorELNS0_4arch9wavefront6targetE0EEEvT1_,comdat
	.protected	_ZN7rocprim17ROCPRIM_400000_NS6detail17trampoline_kernelINS0_14default_configENS1_25partition_config_selectorILNS1_17partition_subalgoE5EfNS0_10empty_typeEbEEZZNS1_14partition_implILS5_5ELb0ES3_mN6thrust23THRUST_200600_302600_NS6detail15normal_iteratorINSA_10device_ptrIfEEEEPS6_NSA_18transform_iteratorINSB_9not_fun_tINSA_8identityIfEEEESF_NSA_11use_defaultESM_EENS0_5tupleIJSF_S6_EEENSO_IJSG_SG_EEES6_PlJS6_EEE10hipError_tPvRmT3_T4_T5_T6_T7_T9_mT8_P12ihipStream_tbDpT10_ENKUlT_T0_E_clISt17integral_constantIbLb1EES1B_EEDaS16_S17_EUlS16_E_NS1_11comp_targetILNS1_3genE2ELNS1_11target_archE906ELNS1_3gpuE6ELNS1_3repE0EEENS1_30default_config_static_selectorELNS0_4arch9wavefront6targetE0EEEvT1_ ; -- Begin function _ZN7rocprim17ROCPRIM_400000_NS6detail17trampoline_kernelINS0_14default_configENS1_25partition_config_selectorILNS1_17partition_subalgoE5EfNS0_10empty_typeEbEEZZNS1_14partition_implILS5_5ELb0ES3_mN6thrust23THRUST_200600_302600_NS6detail15normal_iteratorINSA_10device_ptrIfEEEEPS6_NSA_18transform_iteratorINSB_9not_fun_tINSA_8identityIfEEEESF_NSA_11use_defaultESM_EENS0_5tupleIJSF_S6_EEENSO_IJSG_SG_EEES6_PlJS6_EEE10hipError_tPvRmT3_T4_T5_T6_T7_T9_mT8_P12ihipStream_tbDpT10_ENKUlT_T0_E_clISt17integral_constantIbLb1EES1B_EEDaS16_S17_EUlS16_E_NS1_11comp_targetILNS1_3genE2ELNS1_11target_archE906ELNS1_3gpuE6ELNS1_3repE0EEENS1_30default_config_static_selectorELNS0_4arch9wavefront6targetE0EEEvT1_
	.globl	_ZN7rocprim17ROCPRIM_400000_NS6detail17trampoline_kernelINS0_14default_configENS1_25partition_config_selectorILNS1_17partition_subalgoE5EfNS0_10empty_typeEbEEZZNS1_14partition_implILS5_5ELb0ES3_mN6thrust23THRUST_200600_302600_NS6detail15normal_iteratorINSA_10device_ptrIfEEEEPS6_NSA_18transform_iteratorINSB_9not_fun_tINSA_8identityIfEEEESF_NSA_11use_defaultESM_EENS0_5tupleIJSF_S6_EEENSO_IJSG_SG_EEES6_PlJS6_EEE10hipError_tPvRmT3_T4_T5_T6_T7_T9_mT8_P12ihipStream_tbDpT10_ENKUlT_T0_E_clISt17integral_constantIbLb1EES1B_EEDaS16_S17_EUlS16_E_NS1_11comp_targetILNS1_3genE2ELNS1_11target_archE906ELNS1_3gpuE6ELNS1_3repE0EEENS1_30default_config_static_selectorELNS0_4arch9wavefront6targetE0EEEvT1_
	.p2align	8
	.type	_ZN7rocprim17ROCPRIM_400000_NS6detail17trampoline_kernelINS0_14default_configENS1_25partition_config_selectorILNS1_17partition_subalgoE5EfNS0_10empty_typeEbEEZZNS1_14partition_implILS5_5ELb0ES3_mN6thrust23THRUST_200600_302600_NS6detail15normal_iteratorINSA_10device_ptrIfEEEEPS6_NSA_18transform_iteratorINSB_9not_fun_tINSA_8identityIfEEEESF_NSA_11use_defaultESM_EENS0_5tupleIJSF_S6_EEENSO_IJSG_SG_EEES6_PlJS6_EEE10hipError_tPvRmT3_T4_T5_T6_T7_T9_mT8_P12ihipStream_tbDpT10_ENKUlT_T0_E_clISt17integral_constantIbLb1EES1B_EEDaS16_S17_EUlS16_E_NS1_11comp_targetILNS1_3genE2ELNS1_11target_archE906ELNS1_3gpuE6ELNS1_3repE0EEENS1_30default_config_static_selectorELNS0_4arch9wavefront6targetE0EEEvT1_,@function
_ZN7rocprim17ROCPRIM_400000_NS6detail17trampoline_kernelINS0_14default_configENS1_25partition_config_selectorILNS1_17partition_subalgoE5EfNS0_10empty_typeEbEEZZNS1_14partition_implILS5_5ELb0ES3_mN6thrust23THRUST_200600_302600_NS6detail15normal_iteratorINSA_10device_ptrIfEEEEPS6_NSA_18transform_iteratorINSB_9not_fun_tINSA_8identityIfEEEESF_NSA_11use_defaultESM_EENS0_5tupleIJSF_S6_EEENSO_IJSG_SG_EEES6_PlJS6_EEE10hipError_tPvRmT3_T4_T5_T6_T7_T9_mT8_P12ihipStream_tbDpT10_ENKUlT_T0_E_clISt17integral_constantIbLb1EES1B_EEDaS16_S17_EUlS16_E_NS1_11comp_targetILNS1_3genE2ELNS1_11target_archE906ELNS1_3gpuE6ELNS1_3repE0EEENS1_30default_config_static_selectorELNS0_4arch9wavefront6targetE0EEEvT1_: ; @_ZN7rocprim17ROCPRIM_400000_NS6detail17trampoline_kernelINS0_14default_configENS1_25partition_config_selectorILNS1_17partition_subalgoE5EfNS0_10empty_typeEbEEZZNS1_14partition_implILS5_5ELb0ES3_mN6thrust23THRUST_200600_302600_NS6detail15normal_iteratorINSA_10device_ptrIfEEEEPS6_NSA_18transform_iteratorINSB_9not_fun_tINSA_8identityIfEEEESF_NSA_11use_defaultESM_EENS0_5tupleIJSF_S6_EEENSO_IJSG_SG_EEES6_PlJS6_EEE10hipError_tPvRmT3_T4_T5_T6_T7_T9_mT8_P12ihipStream_tbDpT10_ENKUlT_T0_E_clISt17integral_constantIbLb1EES1B_EEDaS16_S17_EUlS16_E_NS1_11comp_targetILNS1_3genE2ELNS1_11target_archE906ELNS1_3gpuE6ELNS1_3repE0EEENS1_30default_config_static_selectorELNS0_4arch9wavefront6targetE0EEEvT1_
; %bb.0:
	.section	.rodata,"a",@progbits
	.p2align	6, 0x0
	.amdhsa_kernel _ZN7rocprim17ROCPRIM_400000_NS6detail17trampoline_kernelINS0_14default_configENS1_25partition_config_selectorILNS1_17partition_subalgoE5EfNS0_10empty_typeEbEEZZNS1_14partition_implILS5_5ELb0ES3_mN6thrust23THRUST_200600_302600_NS6detail15normal_iteratorINSA_10device_ptrIfEEEEPS6_NSA_18transform_iteratorINSB_9not_fun_tINSA_8identityIfEEEESF_NSA_11use_defaultESM_EENS0_5tupleIJSF_S6_EEENSO_IJSG_SG_EEES6_PlJS6_EEE10hipError_tPvRmT3_T4_T5_T6_T7_T9_mT8_P12ihipStream_tbDpT10_ENKUlT_T0_E_clISt17integral_constantIbLb1EES1B_EEDaS16_S17_EUlS16_E_NS1_11comp_targetILNS1_3genE2ELNS1_11target_archE906ELNS1_3gpuE6ELNS1_3repE0EEENS1_30default_config_static_selectorELNS0_4arch9wavefront6targetE0EEEvT1_
		.amdhsa_group_segment_fixed_size 0
		.amdhsa_private_segment_fixed_size 0
		.amdhsa_kernarg_size 136
		.amdhsa_user_sgpr_count 2
		.amdhsa_user_sgpr_dispatch_ptr 0
		.amdhsa_user_sgpr_queue_ptr 0
		.amdhsa_user_sgpr_kernarg_segment_ptr 1
		.amdhsa_user_sgpr_dispatch_id 0
		.amdhsa_user_sgpr_private_segment_size 0
		.amdhsa_wavefront_size32 1
		.amdhsa_uses_dynamic_stack 0
		.amdhsa_enable_private_segment 0
		.amdhsa_system_sgpr_workgroup_id_x 1
		.amdhsa_system_sgpr_workgroup_id_y 0
		.amdhsa_system_sgpr_workgroup_id_z 0
		.amdhsa_system_sgpr_workgroup_info 0
		.amdhsa_system_vgpr_workitem_id 0
		.amdhsa_next_free_vgpr 1
		.amdhsa_next_free_sgpr 1
		.amdhsa_reserve_vcc 0
		.amdhsa_float_round_mode_32 0
		.amdhsa_float_round_mode_16_64 0
		.amdhsa_float_denorm_mode_32 3
		.amdhsa_float_denorm_mode_16_64 3
		.amdhsa_fp16_overflow 0
		.amdhsa_workgroup_processor_mode 1
		.amdhsa_memory_ordered 1
		.amdhsa_forward_progress 1
		.amdhsa_inst_pref_size 0
		.amdhsa_round_robin_scheduling 0
		.amdhsa_exception_fp_ieee_invalid_op 0
		.amdhsa_exception_fp_denorm_src 0
		.amdhsa_exception_fp_ieee_div_zero 0
		.amdhsa_exception_fp_ieee_overflow 0
		.amdhsa_exception_fp_ieee_underflow 0
		.amdhsa_exception_fp_ieee_inexact 0
		.amdhsa_exception_int_div_zero 0
	.end_amdhsa_kernel
	.section	.text._ZN7rocprim17ROCPRIM_400000_NS6detail17trampoline_kernelINS0_14default_configENS1_25partition_config_selectorILNS1_17partition_subalgoE5EfNS0_10empty_typeEbEEZZNS1_14partition_implILS5_5ELb0ES3_mN6thrust23THRUST_200600_302600_NS6detail15normal_iteratorINSA_10device_ptrIfEEEEPS6_NSA_18transform_iteratorINSB_9not_fun_tINSA_8identityIfEEEESF_NSA_11use_defaultESM_EENS0_5tupleIJSF_S6_EEENSO_IJSG_SG_EEES6_PlJS6_EEE10hipError_tPvRmT3_T4_T5_T6_T7_T9_mT8_P12ihipStream_tbDpT10_ENKUlT_T0_E_clISt17integral_constantIbLb1EES1B_EEDaS16_S17_EUlS16_E_NS1_11comp_targetILNS1_3genE2ELNS1_11target_archE906ELNS1_3gpuE6ELNS1_3repE0EEENS1_30default_config_static_selectorELNS0_4arch9wavefront6targetE0EEEvT1_,"axG",@progbits,_ZN7rocprim17ROCPRIM_400000_NS6detail17trampoline_kernelINS0_14default_configENS1_25partition_config_selectorILNS1_17partition_subalgoE5EfNS0_10empty_typeEbEEZZNS1_14partition_implILS5_5ELb0ES3_mN6thrust23THRUST_200600_302600_NS6detail15normal_iteratorINSA_10device_ptrIfEEEEPS6_NSA_18transform_iteratorINSB_9not_fun_tINSA_8identityIfEEEESF_NSA_11use_defaultESM_EENS0_5tupleIJSF_S6_EEENSO_IJSG_SG_EEES6_PlJS6_EEE10hipError_tPvRmT3_T4_T5_T6_T7_T9_mT8_P12ihipStream_tbDpT10_ENKUlT_T0_E_clISt17integral_constantIbLb1EES1B_EEDaS16_S17_EUlS16_E_NS1_11comp_targetILNS1_3genE2ELNS1_11target_archE906ELNS1_3gpuE6ELNS1_3repE0EEENS1_30default_config_static_selectorELNS0_4arch9wavefront6targetE0EEEvT1_,comdat
.Lfunc_end833:
	.size	_ZN7rocprim17ROCPRIM_400000_NS6detail17trampoline_kernelINS0_14default_configENS1_25partition_config_selectorILNS1_17partition_subalgoE5EfNS0_10empty_typeEbEEZZNS1_14partition_implILS5_5ELb0ES3_mN6thrust23THRUST_200600_302600_NS6detail15normal_iteratorINSA_10device_ptrIfEEEEPS6_NSA_18transform_iteratorINSB_9not_fun_tINSA_8identityIfEEEESF_NSA_11use_defaultESM_EENS0_5tupleIJSF_S6_EEENSO_IJSG_SG_EEES6_PlJS6_EEE10hipError_tPvRmT3_T4_T5_T6_T7_T9_mT8_P12ihipStream_tbDpT10_ENKUlT_T0_E_clISt17integral_constantIbLb1EES1B_EEDaS16_S17_EUlS16_E_NS1_11comp_targetILNS1_3genE2ELNS1_11target_archE906ELNS1_3gpuE6ELNS1_3repE0EEENS1_30default_config_static_selectorELNS0_4arch9wavefront6targetE0EEEvT1_, .Lfunc_end833-_ZN7rocprim17ROCPRIM_400000_NS6detail17trampoline_kernelINS0_14default_configENS1_25partition_config_selectorILNS1_17partition_subalgoE5EfNS0_10empty_typeEbEEZZNS1_14partition_implILS5_5ELb0ES3_mN6thrust23THRUST_200600_302600_NS6detail15normal_iteratorINSA_10device_ptrIfEEEEPS6_NSA_18transform_iteratorINSB_9not_fun_tINSA_8identityIfEEEESF_NSA_11use_defaultESM_EENS0_5tupleIJSF_S6_EEENSO_IJSG_SG_EEES6_PlJS6_EEE10hipError_tPvRmT3_T4_T5_T6_T7_T9_mT8_P12ihipStream_tbDpT10_ENKUlT_T0_E_clISt17integral_constantIbLb1EES1B_EEDaS16_S17_EUlS16_E_NS1_11comp_targetILNS1_3genE2ELNS1_11target_archE906ELNS1_3gpuE6ELNS1_3repE0EEENS1_30default_config_static_selectorELNS0_4arch9wavefront6targetE0EEEvT1_
                                        ; -- End function
	.set _ZN7rocprim17ROCPRIM_400000_NS6detail17trampoline_kernelINS0_14default_configENS1_25partition_config_selectorILNS1_17partition_subalgoE5EfNS0_10empty_typeEbEEZZNS1_14partition_implILS5_5ELb0ES3_mN6thrust23THRUST_200600_302600_NS6detail15normal_iteratorINSA_10device_ptrIfEEEEPS6_NSA_18transform_iteratorINSB_9not_fun_tINSA_8identityIfEEEESF_NSA_11use_defaultESM_EENS0_5tupleIJSF_S6_EEENSO_IJSG_SG_EEES6_PlJS6_EEE10hipError_tPvRmT3_T4_T5_T6_T7_T9_mT8_P12ihipStream_tbDpT10_ENKUlT_T0_E_clISt17integral_constantIbLb1EES1B_EEDaS16_S17_EUlS16_E_NS1_11comp_targetILNS1_3genE2ELNS1_11target_archE906ELNS1_3gpuE6ELNS1_3repE0EEENS1_30default_config_static_selectorELNS0_4arch9wavefront6targetE0EEEvT1_.num_vgpr, 0
	.set _ZN7rocprim17ROCPRIM_400000_NS6detail17trampoline_kernelINS0_14default_configENS1_25partition_config_selectorILNS1_17partition_subalgoE5EfNS0_10empty_typeEbEEZZNS1_14partition_implILS5_5ELb0ES3_mN6thrust23THRUST_200600_302600_NS6detail15normal_iteratorINSA_10device_ptrIfEEEEPS6_NSA_18transform_iteratorINSB_9not_fun_tINSA_8identityIfEEEESF_NSA_11use_defaultESM_EENS0_5tupleIJSF_S6_EEENSO_IJSG_SG_EEES6_PlJS6_EEE10hipError_tPvRmT3_T4_T5_T6_T7_T9_mT8_P12ihipStream_tbDpT10_ENKUlT_T0_E_clISt17integral_constantIbLb1EES1B_EEDaS16_S17_EUlS16_E_NS1_11comp_targetILNS1_3genE2ELNS1_11target_archE906ELNS1_3gpuE6ELNS1_3repE0EEENS1_30default_config_static_selectorELNS0_4arch9wavefront6targetE0EEEvT1_.num_agpr, 0
	.set _ZN7rocprim17ROCPRIM_400000_NS6detail17trampoline_kernelINS0_14default_configENS1_25partition_config_selectorILNS1_17partition_subalgoE5EfNS0_10empty_typeEbEEZZNS1_14partition_implILS5_5ELb0ES3_mN6thrust23THRUST_200600_302600_NS6detail15normal_iteratorINSA_10device_ptrIfEEEEPS6_NSA_18transform_iteratorINSB_9not_fun_tINSA_8identityIfEEEESF_NSA_11use_defaultESM_EENS0_5tupleIJSF_S6_EEENSO_IJSG_SG_EEES6_PlJS6_EEE10hipError_tPvRmT3_T4_T5_T6_T7_T9_mT8_P12ihipStream_tbDpT10_ENKUlT_T0_E_clISt17integral_constantIbLb1EES1B_EEDaS16_S17_EUlS16_E_NS1_11comp_targetILNS1_3genE2ELNS1_11target_archE906ELNS1_3gpuE6ELNS1_3repE0EEENS1_30default_config_static_selectorELNS0_4arch9wavefront6targetE0EEEvT1_.numbered_sgpr, 0
	.set _ZN7rocprim17ROCPRIM_400000_NS6detail17trampoline_kernelINS0_14default_configENS1_25partition_config_selectorILNS1_17partition_subalgoE5EfNS0_10empty_typeEbEEZZNS1_14partition_implILS5_5ELb0ES3_mN6thrust23THRUST_200600_302600_NS6detail15normal_iteratorINSA_10device_ptrIfEEEEPS6_NSA_18transform_iteratorINSB_9not_fun_tINSA_8identityIfEEEESF_NSA_11use_defaultESM_EENS0_5tupleIJSF_S6_EEENSO_IJSG_SG_EEES6_PlJS6_EEE10hipError_tPvRmT3_T4_T5_T6_T7_T9_mT8_P12ihipStream_tbDpT10_ENKUlT_T0_E_clISt17integral_constantIbLb1EES1B_EEDaS16_S17_EUlS16_E_NS1_11comp_targetILNS1_3genE2ELNS1_11target_archE906ELNS1_3gpuE6ELNS1_3repE0EEENS1_30default_config_static_selectorELNS0_4arch9wavefront6targetE0EEEvT1_.num_named_barrier, 0
	.set _ZN7rocprim17ROCPRIM_400000_NS6detail17trampoline_kernelINS0_14default_configENS1_25partition_config_selectorILNS1_17partition_subalgoE5EfNS0_10empty_typeEbEEZZNS1_14partition_implILS5_5ELb0ES3_mN6thrust23THRUST_200600_302600_NS6detail15normal_iteratorINSA_10device_ptrIfEEEEPS6_NSA_18transform_iteratorINSB_9not_fun_tINSA_8identityIfEEEESF_NSA_11use_defaultESM_EENS0_5tupleIJSF_S6_EEENSO_IJSG_SG_EEES6_PlJS6_EEE10hipError_tPvRmT3_T4_T5_T6_T7_T9_mT8_P12ihipStream_tbDpT10_ENKUlT_T0_E_clISt17integral_constantIbLb1EES1B_EEDaS16_S17_EUlS16_E_NS1_11comp_targetILNS1_3genE2ELNS1_11target_archE906ELNS1_3gpuE6ELNS1_3repE0EEENS1_30default_config_static_selectorELNS0_4arch9wavefront6targetE0EEEvT1_.private_seg_size, 0
	.set _ZN7rocprim17ROCPRIM_400000_NS6detail17trampoline_kernelINS0_14default_configENS1_25partition_config_selectorILNS1_17partition_subalgoE5EfNS0_10empty_typeEbEEZZNS1_14partition_implILS5_5ELb0ES3_mN6thrust23THRUST_200600_302600_NS6detail15normal_iteratorINSA_10device_ptrIfEEEEPS6_NSA_18transform_iteratorINSB_9not_fun_tINSA_8identityIfEEEESF_NSA_11use_defaultESM_EENS0_5tupleIJSF_S6_EEENSO_IJSG_SG_EEES6_PlJS6_EEE10hipError_tPvRmT3_T4_T5_T6_T7_T9_mT8_P12ihipStream_tbDpT10_ENKUlT_T0_E_clISt17integral_constantIbLb1EES1B_EEDaS16_S17_EUlS16_E_NS1_11comp_targetILNS1_3genE2ELNS1_11target_archE906ELNS1_3gpuE6ELNS1_3repE0EEENS1_30default_config_static_selectorELNS0_4arch9wavefront6targetE0EEEvT1_.uses_vcc, 0
	.set _ZN7rocprim17ROCPRIM_400000_NS6detail17trampoline_kernelINS0_14default_configENS1_25partition_config_selectorILNS1_17partition_subalgoE5EfNS0_10empty_typeEbEEZZNS1_14partition_implILS5_5ELb0ES3_mN6thrust23THRUST_200600_302600_NS6detail15normal_iteratorINSA_10device_ptrIfEEEEPS6_NSA_18transform_iteratorINSB_9not_fun_tINSA_8identityIfEEEESF_NSA_11use_defaultESM_EENS0_5tupleIJSF_S6_EEENSO_IJSG_SG_EEES6_PlJS6_EEE10hipError_tPvRmT3_T4_T5_T6_T7_T9_mT8_P12ihipStream_tbDpT10_ENKUlT_T0_E_clISt17integral_constantIbLb1EES1B_EEDaS16_S17_EUlS16_E_NS1_11comp_targetILNS1_3genE2ELNS1_11target_archE906ELNS1_3gpuE6ELNS1_3repE0EEENS1_30default_config_static_selectorELNS0_4arch9wavefront6targetE0EEEvT1_.uses_flat_scratch, 0
	.set _ZN7rocprim17ROCPRIM_400000_NS6detail17trampoline_kernelINS0_14default_configENS1_25partition_config_selectorILNS1_17partition_subalgoE5EfNS0_10empty_typeEbEEZZNS1_14partition_implILS5_5ELb0ES3_mN6thrust23THRUST_200600_302600_NS6detail15normal_iteratorINSA_10device_ptrIfEEEEPS6_NSA_18transform_iteratorINSB_9not_fun_tINSA_8identityIfEEEESF_NSA_11use_defaultESM_EENS0_5tupleIJSF_S6_EEENSO_IJSG_SG_EEES6_PlJS6_EEE10hipError_tPvRmT3_T4_T5_T6_T7_T9_mT8_P12ihipStream_tbDpT10_ENKUlT_T0_E_clISt17integral_constantIbLb1EES1B_EEDaS16_S17_EUlS16_E_NS1_11comp_targetILNS1_3genE2ELNS1_11target_archE906ELNS1_3gpuE6ELNS1_3repE0EEENS1_30default_config_static_selectorELNS0_4arch9wavefront6targetE0EEEvT1_.has_dyn_sized_stack, 0
	.set _ZN7rocprim17ROCPRIM_400000_NS6detail17trampoline_kernelINS0_14default_configENS1_25partition_config_selectorILNS1_17partition_subalgoE5EfNS0_10empty_typeEbEEZZNS1_14partition_implILS5_5ELb0ES3_mN6thrust23THRUST_200600_302600_NS6detail15normal_iteratorINSA_10device_ptrIfEEEEPS6_NSA_18transform_iteratorINSB_9not_fun_tINSA_8identityIfEEEESF_NSA_11use_defaultESM_EENS0_5tupleIJSF_S6_EEENSO_IJSG_SG_EEES6_PlJS6_EEE10hipError_tPvRmT3_T4_T5_T6_T7_T9_mT8_P12ihipStream_tbDpT10_ENKUlT_T0_E_clISt17integral_constantIbLb1EES1B_EEDaS16_S17_EUlS16_E_NS1_11comp_targetILNS1_3genE2ELNS1_11target_archE906ELNS1_3gpuE6ELNS1_3repE0EEENS1_30default_config_static_selectorELNS0_4arch9wavefront6targetE0EEEvT1_.has_recursion, 0
	.set _ZN7rocprim17ROCPRIM_400000_NS6detail17trampoline_kernelINS0_14default_configENS1_25partition_config_selectorILNS1_17partition_subalgoE5EfNS0_10empty_typeEbEEZZNS1_14partition_implILS5_5ELb0ES3_mN6thrust23THRUST_200600_302600_NS6detail15normal_iteratorINSA_10device_ptrIfEEEEPS6_NSA_18transform_iteratorINSB_9not_fun_tINSA_8identityIfEEEESF_NSA_11use_defaultESM_EENS0_5tupleIJSF_S6_EEENSO_IJSG_SG_EEES6_PlJS6_EEE10hipError_tPvRmT3_T4_T5_T6_T7_T9_mT8_P12ihipStream_tbDpT10_ENKUlT_T0_E_clISt17integral_constantIbLb1EES1B_EEDaS16_S17_EUlS16_E_NS1_11comp_targetILNS1_3genE2ELNS1_11target_archE906ELNS1_3gpuE6ELNS1_3repE0EEENS1_30default_config_static_selectorELNS0_4arch9wavefront6targetE0EEEvT1_.has_indirect_call, 0
	.section	.AMDGPU.csdata,"",@progbits
; Kernel info:
; codeLenInByte = 0
; TotalNumSgprs: 0
; NumVgprs: 0
; ScratchSize: 0
; MemoryBound: 0
; FloatMode: 240
; IeeeMode: 1
; LDSByteSize: 0 bytes/workgroup (compile time only)
; SGPRBlocks: 0
; VGPRBlocks: 0
; NumSGPRsForWavesPerEU: 1
; NumVGPRsForWavesPerEU: 1
; Occupancy: 16
; WaveLimiterHint : 0
; COMPUTE_PGM_RSRC2:SCRATCH_EN: 0
; COMPUTE_PGM_RSRC2:USER_SGPR: 2
; COMPUTE_PGM_RSRC2:TRAP_HANDLER: 0
; COMPUTE_PGM_RSRC2:TGID_X_EN: 1
; COMPUTE_PGM_RSRC2:TGID_Y_EN: 0
; COMPUTE_PGM_RSRC2:TGID_Z_EN: 0
; COMPUTE_PGM_RSRC2:TIDIG_COMP_CNT: 0
	.section	.text._ZN7rocprim17ROCPRIM_400000_NS6detail17trampoline_kernelINS0_14default_configENS1_25partition_config_selectorILNS1_17partition_subalgoE5EfNS0_10empty_typeEbEEZZNS1_14partition_implILS5_5ELb0ES3_mN6thrust23THRUST_200600_302600_NS6detail15normal_iteratorINSA_10device_ptrIfEEEEPS6_NSA_18transform_iteratorINSB_9not_fun_tINSA_8identityIfEEEESF_NSA_11use_defaultESM_EENS0_5tupleIJSF_S6_EEENSO_IJSG_SG_EEES6_PlJS6_EEE10hipError_tPvRmT3_T4_T5_T6_T7_T9_mT8_P12ihipStream_tbDpT10_ENKUlT_T0_E_clISt17integral_constantIbLb1EES1B_EEDaS16_S17_EUlS16_E_NS1_11comp_targetILNS1_3genE10ELNS1_11target_archE1200ELNS1_3gpuE4ELNS1_3repE0EEENS1_30default_config_static_selectorELNS0_4arch9wavefront6targetE0EEEvT1_,"axG",@progbits,_ZN7rocprim17ROCPRIM_400000_NS6detail17trampoline_kernelINS0_14default_configENS1_25partition_config_selectorILNS1_17partition_subalgoE5EfNS0_10empty_typeEbEEZZNS1_14partition_implILS5_5ELb0ES3_mN6thrust23THRUST_200600_302600_NS6detail15normal_iteratorINSA_10device_ptrIfEEEEPS6_NSA_18transform_iteratorINSB_9not_fun_tINSA_8identityIfEEEESF_NSA_11use_defaultESM_EENS0_5tupleIJSF_S6_EEENSO_IJSG_SG_EEES6_PlJS6_EEE10hipError_tPvRmT3_T4_T5_T6_T7_T9_mT8_P12ihipStream_tbDpT10_ENKUlT_T0_E_clISt17integral_constantIbLb1EES1B_EEDaS16_S17_EUlS16_E_NS1_11comp_targetILNS1_3genE10ELNS1_11target_archE1200ELNS1_3gpuE4ELNS1_3repE0EEENS1_30default_config_static_selectorELNS0_4arch9wavefront6targetE0EEEvT1_,comdat
	.protected	_ZN7rocprim17ROCPRIM_400000_NS6detail17trampoline_kernelINS0_14default_configENS1_25partition_config_selectorILNS1_17partition_subalgoE5EfNS0_10empty_typeEbEEZZNS1_14partition_implILS5_5ELb0ES3_mN6thrust23THRUST_200600_302600_NS6detail15normal_iteratorINSA_10device_ptrIfEEEEPS6_NSA_18transform_iteratorINSB_9not_fun_tINSA_8identityIfEEEESF_NSA_11use_defaultESM_EENS0_5tupleIJSF_S6_EEENSO_IJSG_SG_EEES6_PlJS6_EEE10hipError_tPvRmT3_T4_T5_T6_T7_T9_mT8_P12ihipStream_tbDpT10_ENKUlT_T0_E_clISt17integral_constantIbLb1EES1B_EEDaS16_S17_EUlS16_E_NS1_11comp_targetILNS1_3genE10ELNS1_11target_archE1200ELNS1_3gpuE4ELNS1_3repE0EEENS1_30default_config_static_selectorELNS0_4arch9wavefront6targetE0EEEvT1_ ; -- Begin function _ZN7rocprim17ROCPRIM_400000_NS6detail17trampoline_kernelINS0_14default_configENS1_25partition_config_selectorILNS1_17partition_subalgoE5EfNS0_10empty_typeEbEEZZNS1_14partition_implILS5_5ELb0ES3_mN6thrust23THRUST_200600_302600_NS6detail15normal_iteratorINSA_10device_ptrIfEEEEPS6_NSA_18transform_iteratorINSB_9not_fun_tINSA_8identityIfEEEESF_NSA_11use_defaultESM_EENS0_5tupleIJSF_S6_EEENSO_IJSG_SG_EEES6_PlJS6_EEE10hipError_tPvRmT3_T4_T5_T6_T7_T9_mT8_P12ihipStream_tbDpT10_ENKUlT_T0_E_clISt17integral_constantIbLb1EES1B_EEDaS16_S17_EUlS16_E_NS1_11comp_targetILNS1_3genE10ELNS1_11target_archE1200ELNS1_3gpuE4ELNS1_3repE0EEENS1_30default_config_static_selectorELNS0_4arch9wavefront6targetE0EEEvT1_
	.globl	_ZN7rocprim17ROCPRIM_400000_NS6detail17trampoline_kernelINS0_14default_configENS1_25partition_config_selectorILNS1_17partition_subalgoE5EfNS0_10empty_typeEbEEZZNS1_14partition_implILS5_5ELb0ES3_mN6thrust23THRUST_200600_302600_NS6detail15normal_iteratorINSA_10device_ptrIfEEEEPS6_NSA_18transform_iteratorINSB_9not_fun_tINSA_8identityIfEEEESF_NSA_11use_defaultESM_EENS0_5tupleIJSF_S6_EEENSO_IJSG_SG_EEES6_PlJS6_EEE10hipError_tPvRmT3_T4_T5_T6_T7_T9_mT8_P12ihipStream_tbDpT10_ENKUlT_T0_E_clISt17integral_constantIbLb1EES1B_EEDaS16_S17_EUlS16_E_NS1_11comp_targetILNS1_3genE10ELNS1_11target_archE1200ELNS1_3gpuE4ELNS1_3repE0EEENS1_30default_config_static_selectorELNS0_4arch9wavefront6targetE0EEEvT1_
	.p2align	8
	.type	_ZN7rocprim17ROCPRIM_400000_NS6detail17trampoline_kernelINS0_14default_configENS1_25partition_config_selectorILNS1_17partition_subalgoE5EfNS0_10empty_typeEbEEZZNS1_14partition_implILS5_5ELb0ES3_mN6thrust23THRUST_200600_302600_NS6detail15normal_iteratorINSA_10device_ptrIfEEEEPS6_NSA_18transform_iteratorINSB_9not_fun_tINSA_8identityIfEEEESF_NSA_11use_defaultESM_EENS0_5tupleIJSF_S6_EEENSO_IJSG_SG_EEES6_PlJS6_EEE10hipError_tPvRmT3_T4_T5_T6_T7_T9_mT8_P12ihipStream_tbDpT10_ENKUlT_T0_E_clISt17integral_constantIbLb1EES1B_EEDaS16_S17_EUlS16_E_NS1_11comp_targetILNS1_3genE10ELNS1_11target_archE1200ELNS1_3gpuE4ELNS1_3repE0EEENS1_30default_config_static_selectorELNS0_4arch9wavefront6targetE0EEEvT1_,@function
_ZN7rocprim17ROCPRIM_400000_NS6detail17trampoline_kernelINS0_14default_configENS1_25partition_config_selectorILNS1_17partition_subalgoE5EfNS0_10empty_typeEbEEZZNS1_14partition_implILS5_5ELb0ES3_mN6thrust23THRUST_200600_302600_NS6detail15normal_iteratorINSA_10device_ptrIfEEEEPS6_NSA_18transform_iteratorINSB_9not_fun_tINSA_8identityIfEEEESF_NSA_11use_defaultESM_EENS0_5tupleIJSF_S6_EEENSO_IJSG_SG_EEES6_PlJS6_EEE10hipError_tPvRmT3_T4_T5_T6_T7_T9_mT8_P12ihipStream_tbDpT10_ENKUlT_T0_E_clISt17integral_constantIbLb1EES1B_EEDaS16_S17_EUlS16_E_NS1_11comp_targetILNS1_3genE10ELNS1_11target_archE1200ELNS1_3gpuE4ELNS1_3repE0EEENS1_30default_config_static_selectorELNS0_4arch9wavefront6targetE0EEEvT1_: ; @_ZN7rocprim17ROCPRIM_400000_NS6detail17trampoline_kernelINS0_14default_configENS1_25partition_config_selectorILNS1_17partition_subalgoE5EfNS0_10empty_typeEbEEZZNS1_14partition_implILS5_5ELb0ES3_mN6thrust23THRUST_200600_302600_NS6detail15normal_iteratorINSA_10device_ptrIfEEEEPS6_NSA_18transform_iteratorINSB_9not_fun_tINSA_8identityIfEEEESF_NSA_11use_defaultESM_EENS0_5tupleIJSF_S6_EEENSO_IJSG_SG_EEES6_PlJS6_EEE10hipError_tPvRmT3_T4_T5_T6_T7_T9_mT8_P12ihipStream_tbDpT10_ENKUlT_T0_E_clISt17integral_constantIbLb1EES1B_EEDaS16_S17_EUlS16_E_NS1_11comp_targetILNS1_3genE10ELNS1_11target_archE1200ELNS1_3gpuE4ELNS1_3repE0EEENS1_30default_config_static_selectorELNS0_4arch9wavefront6targetE0EEEvT1_
; %bb.0:
	s_endpgm
	.section	.rodata,"a",@progbits
	.p2align	6, 0x0
	.amdhsa_kernel _ZN7rocprim17ROCPRIM_400000_NS6detail17trampoline_kernelINS0_14default_configENS1_25partition_config_selectorILNS1_17partition_subalgoE5EfNS0_10empty_typeEbEEZZNS1_14partition_implILS5_5ELb0ES3_mN6thrust23THRUST_200600_302600_NS6detail15normal_iteratorINSA_10device_ptrIfEEEEPS6_NSA_18transform_iteratorINSB_9not_fun_tINSA_8identityIfEEEESF_NSA_11use_defaultESM_EENS0_5tupleIJSF_S6_EEENSO_IJSG_SG_EEES6_PlJS6_EEE10hipError_tPvRmT3_T4_T5_T6_T7_T9_mT8_P12ihipStream_tbDpT10_ENKUlT_T0_E_clISt17integral_constantIbLb1EES1B_EEDaS16_S17_EUlS16_E_NS1_11comp_targetILNS1_3genE10ELNS1_11target_archE1200ELNS1_3gpuE4ELNS1_3repE0EEENS1_30default_config_static_selectorELNS0_4arch9wavefront6targetE0EEEvT1_
		.amdhsa_group_segment_fixed_size 0
		.amdhsa_private_segment_fixed_size 0
		.amdhsa_kernarg_size 136
		.amdhsa_user_sgpr_count 2
		.amdhsa_user_sgpr_dispatch_ptr 0
		.amdhsa_user_sgpr_queue_ptr 0
		.amdhsa_user_sgpr_kernarg_segment_ptr 1
		.amdhsa_user_sgpr_dispatch_id 0
		.amdhsa_user_sgpr_private_segment_size 0
		.amdhsa_wavefront_size32 1
		.amdhsa_uses_dynamic_stack 0
		.amdhsa_enable_private_segment 0
		.amdhsa_system_sgpr_workgroup_id_x 1
		.amdhsa_system_sgpr_workgroup_id_y 0
		.amdhsa_system_sgpr_workgroup_id_z 0
		.amdhsa_system_sgpr_workgroup_info 0
		.amdhsa_system_vgpr_workitem_id 0
		.amdhsa_next_free_vgpr 1
		.amdhsa_next_free_sgpr 1
		.amdhsa_reserve_vcc 0
		.amdhsa_float_round_mode_32 0
		.amdhsa_float_round_mode_16_64 0
		.amdhsa_float_denorm_mode_32 3
		.amdhsa_float_denorm_mode_16_64 3
		.amdhsa_fp16_overflow 0
		.amdhsa_workgroup_processor_mode 1
		.amdhsa_memory_ordered 1
		.amdhsa_forward_progress 1
		.amdhsa_inst_pref_size 1
		.amdhsa_round_robin_scheduling 0
		.amdhsa_exception_fp_ieee_invalid_op 0
		.amdhsa_exception_fp_denorm_src 0
		.amdhsa_exception_fp_ieee_div_zero 0
		.amdhsa_exception_fp_ieee_overflow 0
		.amdhsa_exception_fp_ieee_underflow 0
		.amdhsa_exception_fp_ieee_inexact 0
		.amdhsa_exception_int_div_zero 0
	.end_amdhsa_kernel
	.section	.text._ZN7rocprim17ROCPRIM_400000_NS6detail17trampoline_kernelINS0_14default_configENS1_25partition_config_selectorILNS1_17partition_subalgoE5EfNS0_10empty_typeEbEEZZNS1_14partition_implILS5_5ELb0ES3_mN6thrust23THRUST_200600_302600_NS6detail15normal_iteratorINSA_10device_ptrIfEEEEPS6_NSA_18transform_iteratorINSB_9not_fun_tINSA_8identityIfEEEESF_NSA_11use_defaultESM_EENS0_5tupleIJSF_S6_EEENSO_IJSG_SG_EEES6_PlJS6_EEE10hipError_tPvRmT3_T4_T5_T6_T7_T9_mT8_P12ihipStream_tbDpT10_ENKUlT_T0_E_clISt17integral_constantIbLb1EES1B_EEDaS16_S17_EUlS16_E_NS1_11comp_targetILNS1_3genE10ELNS1_11target_archE1200ELNS1_3gpuE4ELNS1_3repE0EEENS1_30default_config_static_selectorELNS0_4arch9wavefront6targetE0EEEvT1_,"axG",@progbits,_ZN7rocprim17ROCPRIM_400000_NS6detail17trampoline_kernelINS0_14default_configENS1_25partition_config_selectorILNS1_17partition_subalgoE5EfNS0_10empty_typeEbEEZZNS1_14partition_implILS5_5ELb0ES3_mN6thrust23THRUST_200600_302600_NS6detail15normal_iteratorINSA_10device_ptrIfEEEEPS6_NSA_18transform_iteratorINSB_9not_fun_tINSA_8identityIfEEEESF_NSA_11use_defaultESM_EENS0_5tupleIJSF_S6_EEENSO_IJSG_SG_EEES6_PlJS6_EEE10hipError_tPvRmT3_T4_T5_T6_T7_T9_mT8_P12ihipStream_tbDpT10_ENKUlT_T0_E_clISt17integral_constantIbLb1EES1B_EEDaS16_S17_EUlS16_E_NS1_11comp_targetILNS1_3genE10ELNS1_11target_archE1200ELNS1_3gpuE4ELNS1_3repE0EEENS1_30default_config_static_selectorELNS0_4arch9wavefront6targetE0EEEvT1_,comdat
.Lfunc_end834:
	.size	_ZN7rocprim17ROCPRIM_400000_NS6detail17trampoline_kernelINS0_14default_configENS1_25partition_config_selectorILNS1_17partition_subalgoE5EfNS0_10empty_typeEbEEZZNS1_14partition_implILS5_5ELb0ES3_mN6thrust23THRUST_200600_302600_NS6detail15normal_iteratorINSA_10device_ptrIfEEEEPS6_NSA_18transform_iteratorINSB_9not_fun_tINSA_8identityIfEEEESF_NSA_11use_defaultESM_EENS0_5tupleIJSF_S6_EEENSO_IJSG_SG_EEES6_PlJS6_EEE10hipError_tPvRmT3_T4_T5_T6_T7_T9_mT8_P12ihipStream_tbDpT10_ENKUlT_T0_E_clISt17integral_constantIbLb1EES1B_EEDaS16_S17_EUlS16_E_NS1_11comp_targetILNS1_3genE10ELNS1_11target_archE1200ELNS1_3gpuE4ELNS1_3repE0EEENS1_30default_config_static_selectorELNS0_4arch9wavefront6targetE0EEEvT1_, .Lfunc_end834-_ZN7rocprim17ROCPRIM_400000_NS6detail17trampoline_kernelINS0_14default_configENS1_25partition_config_selectorILNS1_17partition_subalgoE5EfNS0_10empty_typeEbEEZZNS1_14partition_implILS5_5ELb0ES3_mN6thrust23THRUST_200600_302600_NS6detail15normal_iteratorINSA_10device_ptrIfEEEEPS6_NSA_18transform_iteratorINSB_9not_fun_tINSA_8identityIfEEEESF_NSA_11use_defaultESM_EENS0_5tupleIJSF_S6_EEENSO_IJSG_SG_EEES6_PlJS6_EEE10hipError_tPvRmT3_T4_T5_T6_T7_T9_mT8_P12ihipStream_tbDpT10_ENKUlT_T0_E_clISt17integral_constantIbLb1EES1B_EEDaS16_S17_EUlS16_E_NS1_11comp_targetILNS1_3genE10ELNS1_11target_archE1200ELNS1_3gpuE4ELNS1_3repE0EEENS1_30default_config_static_selectorELNS0_4arch9wavefront6targetE0EEEvT1_
                                        ; -- End function
	.set _ZN7rocprim17ROCPRIM_400000_NS6detail17trampoline_kernelINS0_14default_configENS1_25partition_config_selectorILNS1_17partition_subalgoE5EfNS0_10empty_typeEbEEZZNS1_14partition_implILS5_5ELb0ES3_mN6thrust23THRUST_200600_302600_NS6detail15normal_iteratorINSA_10device_ptrIfEEEEPS6_NSA_18transform_iteratorINSB_9not_fun_tINSA_8identityIfEEEESF_NSA_11use_defaultESM_EENS0_5tupleIJSF_S6_EEENSO_IJSG_SG_EEES6_PlJS6_EEE10hipError_tPvRmT3_T4_T5_T6_T7_T9_mT8_P12ihipStream_tbDpT10_ENKUlT_T0_E_clISt17integral_constantIbLb1EES1B_EEDaS16_S17_EUlS16_E_NS1_11comp_targetILNS1_3genE10ELNS1_11target_archE1200ELNS1_3gpuE4ELNS1_3repE0EEENS1_30default_config_static_selectorELNS0_4arch9wavefront6targetE0EEEvT1_.num_vgpr, 0
	.set _ZN7rocprim17ROCPRIM_400000_NS6detail17trampoline_kernelINS0_14default_configENS1_25partition_config_selectorILNS1_17partition_subalgoE5EfNS0_10empty_typeEbEEZZNS1_14partition_implILS5_5ELb0ES3_mN6thrust23THRUST_200600_302600_NS6detail15normal_iteratorINSA_10device_ptrIfEEEEPS6_NSA_18transform_iteratorINSB_9not_fun_tINSA_8identityIfEEEESF_NSA_11use_defaultESM_EENS0_5tupleIJSF_S6_EEENSO_IJSG_SG_EEES6_PlJS6_EEE10hipError_tPvRmT3_T4_T5_T6_T7_T9_mT8_P12ihipStream_tbDpT10_ENKUlT_T0_E_clISt17integral_constantIbLb1EES1B_EEDaS16_S17_EUlS16_E_NS1_11comp_targetILNS1_3genE10ELNS1_11target_archE1200ELNS1_3gpuE4ELNS1_3repE0EEENS1_30default_config_static_selectorELNS0_4arch9wavefront6targetE0EEEvT1_.num_agpr, 0
	.set _ZN7rocprim17ROCPRIM_400000_NS6detail17trampoline_kernelINS0_14default_configENS1_25partition_config_selectorILNS1_17partition_subalgoE5EfNS0_10empty_typeEbEEZZNS1_14partition_implILS5_5ELb0ES3_mN6thrust23THRUST_200600_302600_NS6detail15normal_iteratorINSA_10device_ptrIfEEEEPS6_NSA_18transform_iteratorINSB_9not_fun_tINSA_8identityIfEEEESF_NSA_11use_defaultESM_EENS0_5tupleIJSF_S6_EEENSO_IJSG_SG_EEES6_PlJS6_EEE10hipError_tPvRmT3_T4_T5_T6_T7_T9_mT8_P12ihipStream_tbDpT10_ENKUlT_T0_E_clISt17integral_constantIbLb1EES1B_EEDaS16_S17_EUlS16_E_NS1_11comp_targetILNS1_3genE10ELNS1_11target_archE1200ELNS1_3gpuE4ELNS1_3repE0EEENS1_30default_config_static_selectorELNS0_4arch9wavefront6targetE0EEEvT1_.numbered_sgpr, 0
	.set _ZN7rocprim17ROCPRIM_400000_NS6detail17trampoline_kernelINS0_14default_configENS1_25partition_config_selectorILNS1_17partition_subalgoE5EfNS0_10empty_typeEbEEZZNS1_14partition_implILS5_5ELb0ES3_mN6thrust23THRUST_200600_302600_NS6detail15normal_iteratorINSA_10device_ptrIfEEEEPS6_NSA_18transform_iteratorINSB_9not_fun_tINSA_8identityIfEEEESF_NSA_11use_defaultESM_EENS0_5tupleIJSF_S6_EEENSO_IJSG_SG_EEES6_PlJS6_EEE10hipError_tPvRmT3_T4_T5_T6_T7_T9_mT8_P12ihipStream_tbDpT10_ENKUlT_T0_E_clISt17integral_constantIbLb1EES1B_EEDaS16_S17_EUlS16_E_NS1_11comp_targetILNS1_3genE10ELNS1_11target_archE1200ELNS1_3gpuE4ELNS1_3repE0EEENS1_30default_config_static_selectorELNS0_4arch9wavefront6targetE0EEEvT1_.num_named_barrier, 0
	.set _ZN7rocprim17ROCPRIM_400000_NS6detail17trampoline_kernelINS0_14default_configENS1_25partition_config_selectorILNS1_17partition_subalgoE5EfNS0_10empty_typeEbEEZZNS1_14partition_implILS5_5ELb0ES3_mN6thrust23THRUST_200600_302600_NS6detail15normal_iteratorINSA_10device_ptrIfEEEEPS6_NSA_18transform_iteratorINSB_9not_fun_tINSA_8identityIfEEEESF_NSA_11use_defaultESM_EENS0_5tupleIJSF_S6_EEENSO_IJSG_SG_EEES6_PlJS6_EEE10hipError_tPvRmT3_T4_T5_T6_T7_T9_mT8_P12ihipStream_tbDpT10_ENKUlT_T0_E_clISt17integral_constantIbLb1EES1B_EEDaS16_S17_EUlS16_E_NS1_11comp_targetILNS1_3genE10ELNS1_11target_archE1200ELNS1_3gpuE4ELNS1_3repE0EEENS1_30default_config_static_selectorELNS0_4arch9wavefront6targetE0EEEvT1_.private_seg_size, 0
	.set _ZN7rocprim17ROCPRIM_400000_NS6detail17trampoline_kernelINS0_14default_configENS1_25partition_config_selectorILNS1_17partition_subalgoE5EfNS0_10empty_typeEbEEZZNS1_14partition_implILS5_5ELb0ES3_mN6thrust23THRUST_200600_302600_NS6detail15normal_iteratorINSA_10device_ptrIfEEEEPS6_NSA_18transform_iteratorINSB_9not_fun_tINSA_8identityIfEEEESF_NSA_11use_defaultESM_EENS0_5tupleIJSF_S6_EEENSO_IJSG_SG_EEES6_PlJS6_EEE10hipError_tPvRmT3_T4_T5_T6_T7_T9_mT8_P12ihipStream_tbDpT10_ENKUlT_T0_E_clISt17integral_constantIbLb1EES1B_EEDaS16_S17_EUlS16_E_NS1_11comp_targetILNS1_3genE10ELNS1_11target_archE1200ELNS1_3gpuE4ELNS1_3repE0EEENS1_30default_config_static_selectorELNS0_4arch9wavefront6targetE0EEEvT1_.uses_vcc, 0
	.set _ZN7rocprim17ROCPRIM_400000_NS6detail17trampoline_kernelINS0_14default_configENS1_25partition_config_selectorILNS1_17partition_subalgoE5EfNS0_10empty_typeEbEEZZNS1_14partition_implILS5_5ELb0ES3_mN6thrust23THRUST_200600_302600_NS6detail15normal_iteratorINSA_10device_ptrIfEEEEPS6_NSA_18transform_iteratorINSB_9not_fun_tINSA_8identityIfEEEESF_NSA_11use_defaultESM_EENS0_5tupleIJSF_S6_EEENSO_IJSG_SG_EEES6_PlJS6_EEE10hipError_tPvRmT3_T4_T5_T6_T7_T9_mT8_P12ihipStream_tbDpT10_ENKUlT_T0_E_clISt17integral_constantIbLb1EES1B_EEDaS16_S17_EUlS16_E_NS1_11comp_targetILNS1_3genE10ELNS1_11target_archE1200ELNS1_3gpuE4ELNS1_3repE0EEENS1_30default_config_static_selectorELNS0_4arch9wavefront6targetE0EEEvT1_.uses_flat_scratch, 0
	.set _ZN7rocprim17ROCPRIM_400000_NS6detail17trampoline_kernelINS0_14default_configENS1_25partition_config_selectorILNS1_17partition_subalgoE5EfNS0_10empty_typeEbEEZZNS1_14partition_implILS5_5ELb0ES3_mN6thrust23THRUST_200600_302600_NS6detail15normal_iteratorINSA_10device_ptrIfEEEEPS6_NSA_18transform_iteratorINSB_9not_fun_tINSA_8identityIfEEEESF_NSA_11use_defaultESM_EENS0_5tupleIJSF_S6_EEENSO_IJSG_SG_EEES6_PlJS6_EEE10hipError_tPvRmT3_T4_T5_T6_T7_T9_mT8_P12ihipStream_tbDpT10_ENKUlT_T0_E_clISt17integral_constantIbLb1EES1B_EEDaS16_S17_EUlS16_E_NS1_11comp_targetILNS1_3genE10ELNS1_11target_archE1200ELNS1_3gpuE4ELNS1_3repE0EEENS1_30default_config_static_selectorELNS0_4arch9wavefront6targetE0EEEvT1_.has_dyn_sized_stack, 0
	.set _ZN7rocprim17ROCPRIM_400000_NS6detail17trampoline_kernelINS0_14default_configENS1_25partition_config_selectorILNS1_17partition_subalgoE5EfNS0_10empty_typeEbEEZZNS1_14partition_implILS5_5ELb0ES3_mN6thrust23THRUST_200600_302600_NS6detail15normal_iteratorINSA_10device_ptrIfEEEEPS6_NSA_18transform_iteratorINSB_9not_fun_tINSA_8identityIfEEEESF_NSA_11use_defaultESM_EENS0_5tupleIJSF_S6_EEENSO_IJSG_SG_EEES6_PlJS6_EEE10hipError_tPvRmT3_T4_T5_T6_T7_T9_mT8_P12ihipStream_tbDpT10_ENKUlT_T0_E_clISt17integral_constantIbLb1EES1B_EEDaS16_S17_EUlS16_E_NS1_11comp_targetILNS1_3genE10ELNS1_11target_archE1200ELNS1_3gpuE4ELNS1_3repE0EEENS1_30default_config_static_selectorELNS0_4arch9wavefront6targetE0EEEvT1_.has_recursion, 0
	.set _ZN7rocprim17ROCPRIM_400000_NS6detail17trampoline_kernelINS0_14default_configENS1_25partition_config_selectorILNS1_17partition_subalgoE5EfNS0_10empty_typeEbEEZZNS1_14partition_implILS5_5ELb0ES3_mN6thrust23THRUST_200600_302600_NS6detail15normal_iteratorINSA_10device_ptrIfEEEEPS6_NSA_18transform_iteratorINSB_9not_fun_tINSA_8identityIfEEEESF_NSA_11use_defaultESM_EENS0_5tupleIJSF_S6_EEENSO_IJSG_SG_EEES6_PlJS6_EEE10hipError_tPvRmT3_T4_T5_T6_T7_T9_mT8_P12ihipStream_tbDpT10_ENKUlT_T0_E_clISt17integral_constantIbLb1EES1B_EEDaS16_S17_EUlS16_E_NS1_11comp_targetILNS1_3genE10ELNS1_11target_archE1200ELNS1_3gpuE4ELNS1_3repE0EEENS1_30default_config_static_selectorELNS0_4arch9wavefront6targetE0EEEvT1_.has_indirect_call, 0
	.section	.AMDGPU.csdata,"",@progbits
; Kernel info:
; codeLenInByte = 4
; TotalNumSgprs: 0
; NumVgprs: 0
; ScratchSize: 0
; MemoryBound: 0
; FloatMode: 240
; IeeeMode: 1
; LDSByteSize: 0 bytes/workgroup (compile time only)
; SGPRBlocks: 0
; VGPRBlocks: 0
; NumSGPRsForWavesPerEU: 1
; NumVGPRsForWavesPerEU: 1
; Occupancy: 16
; WaveLimiterHint : 0
; COMPUTE_PGM_RSRC2:SCRATCH_EN: 0
; COMPUTE_PGM_RSRC2:USER_SGPR: 2
; COMPUTE_PGM_RSRC2:TRAP_HANDLER: 0
; COMPUTE_PGM_RSRC2:TGID_X_EN: 1
; COMPUTE_PGM_RSRC2:TGID_Y_EN: 0
; COMPUTE_PGM_RSRC2:TGID_Z_EN: 0
; COMPUTE_PGM_RSRC2:TIDIG_COMP_CNT: 0
	.section	.text._ZN7rocprim17ROCPRIM_400000_NS6detail17trampoline_kernelINS0_14default_configENS1_25partition_config_selectorILNS1_17partition_subalgoE5EfNS0_10empty_typeEbEEZZNS1_14partition_implILS5_5ELb0ES3_mN6thrust23THRUST_200600_302600_NS6detail15normal_iteratorINSA_10device_ptrIfEEEEPS6_NSA_18transform_iteratorINSB_9not_fun_tINSA_8identityIfEEEESF_NSA_11use_defaultESM_EENS0_5tupleIJSF_S6_EEENSO_IJSG_SG_EEES6_PlJS6_EEE10hipError_tPvRmT3_T4_T5_T6_T7_T9_mT8_P12ihipStream_tbDpT10_ENKUlT_T0_E_clISt17integral_constantIbLb1EES1B_EEDaS16_S17_EUlS16_E_NS1_11comp_targetILNS1_3genE9ELNS1_11target_archE1100ELNS1_3gpuE3ELNS1_3repE0EEENS1_30default_config_static_selectorELNS0_4arch9wavefront6targetE0EEEvT1_,"axG",@progbits,_ZN7rocprim17ROCPRIM_400000_NS6detail17trampoline_kernelINS0_14default_configENS1_25partition_config_selectorILNS1_17partition_subalgoE5EfNS0_10empty_typeEbEEZZNS1_14partition_implILS5_5ELb0ES3_mN6thrust23THRUST_200600_302600_NS6detail15normal_iteratorINSA_10device_ptrIfEEEEPS6_NSA_18transform_iteratorINSB_9not_fun_tINSA_8identityIfEEEESF_NSA_11use_defaultESM_EENS0_5tupleIJSF_S6_EEENSO_IJSG_SG_EEES6_PlJS6_EEE10hipError_tPvRmT3_T4_T5_T6_T7_T9_mT8_P12ihipStream_tbDpT10_ENKUlT_T0_E_clISt17integral_constantIbLb1EES1B_EEDaS16_S17_EUlS16_E_NS1_11comp_targetILNS1_3genE9ELNS1_11target_archE1100ELNS1_3gpuE3ELNS1_3repE0EEENS1_30default_config_static_selectorELNS0_4arch9wavefront6targetE0EEEvT1_,comdat
	.protected	_ZN7rocprim17ROCPRIM_400000_NS6detail17trampoline_kernelINS0_14default_configENS1_25partition_config_selectorILNS1_17partition_subalgoE5EfNS0_10empty_typeEbEEZZNS1_14partition_implILS5_5ELb0ES3_mN6thrust23THRUST_200600_302600_NS6detail15normal_iteratorINSA_10device_ptrIfEEEEPS6_NSA_18transform_iteratorINSB_9not_fun_tINSA_8identityIfEEEESF_NSA_11use_defaultESM_EENS0_5tupleIJSF_S6_EEENSO_IJSG_SG_EEES6_PlJS6_EEE10hipError_tPvRmT3_T4_T5_T6_T7_T9_mT8_P12ihipStream_tbDpT10_ENKUlT_T0_E_clISt17integral_constantIbLb1EES1B_EEDaS16_S17_EUlS16_E_NS1_11comp_targetILNS1_3genE9ELNS1_11target_archE1100ELNS1_3gpuE3ELNS1_3repE0EEENS1_30default_config_static_selectorELNS0_4arch9wavefront6targetE0EEEvT1_ ; -- Begin function _ZN7rocprim17ROCPRIM_400000_NS6detail17trampoline_kernelINS0_14default_configENS1_25partition_config_selectorILNS1_17partition_subalgoE5EfNS0_10empty_typeEbEEZZNS1_14partition_implILS5_5ELb0ES3_mN6thrust23THRUST_200600_302600_NS6detail15normal_iteratorINSA_10device_ptrIfEEEEPS6_NSA_18transform_iteratorINSB_9not_fun_tINSA_8identityIfEEEESF_NSA_11use_defaultESM_EENS0_5tupleIJSF_S6_EEENSO_IJSG_SG_EEES6_PlJS6_EEE10hipError_tPvRmT3_T4_T5_T6_T7_T9_mT8_P12ihipStream_tbDpT10_ENKUlT_T0_E_clISt17integral_constantIbLb1EES1B_EEDaS16_S17_EUlS16_E_NS1_11comp_targetILNS1_3genE9ELNS1_11target_archE1100ELNS1_3gpuE3ELNS1_3repE0EEENS1_30default_config_static_selectorELNS0_4arch9wavefront6targetE0EEEvT1_
	.globl	_ZN7rocprim17ROCPRIM_400000_NS6detail17trampoline_kernelINS0_14default_configENS1_25partition_config_selectorILNS1_17partition_subalgoE5EfNS0_10empty_typeEbEEZZNS1_14partition_implILS5_5ELb0ES3_mN6thrust23THRUST_200600_302600_NS6detail15normal_iteratorINSA_10device_ptrIfEEEEPS6_NSA_18transform_iteratorINSB_9not_fun_tINSA_8identityIfEEEESF_NSA_11use_defaultESM_EENS0_5tupleIJSF_S6_EEENSO_IJSG_SG_EEES6_PlJS6_EEE10hipError_tPvRmT3_T4_T5_T6_T7_T9_mT8_P12ihipStream_tbDpT10_ENKUlT_T0_E_clISt17integral_constantIbLb1EES1B_EEDaS16_S17_EUlS16_E_NS1_11comp_targetILNS1_3genE9ELNS1_11target_archE1100ELNS1_3gpuE3ELNS1_3repE0EEENS1_30default_config_static_selectorELNS0_4arch9wavefront6targetE0EEEvT1_
	.p2align	8
	.type	_ZN7rocprim17ROCPRIM_400000_NS6detail17trampoline_kernelINS0_14default_configENS1_25partition_config_selectorILNS1_17partition_subalgoE5EfNS0_10empty_typeEbEEZZNS1_14partition_implILS5_5ELb0ES3_mN6thrust23THRUST_200600_302600_NS6detail15normal_iteratorINSA_10device_ptrIfEEEEPS6_NSA_18transform_iteratorINSB_9not_fun_tINSA_8identityIfEEEESF_NSA_11use_defaultESM_EENS0_5tupleIJSF_S6_EEENSO_IJSG_SG_EEES6_PlJS6_EEE10hipError_tPvRmT3_T4_T5_T6_T7_T9_mT8_P12ihipStream_tbDpT10_ENKUlT_T0_E_clISt17integral_constantIbLb1EES1B_EEDaS16_S17_EUlS16_E_NS1_11comp_targetILNS1_3genE9ELNS1_11target_archE1100ELNS1_3gpuE3ELNS1_3repE0EEENS1_30default_config_static_selectorELNS0_4arch9wavefront6targetE0EEEvT1_,@function
_ZN7rocprim17ROCPRIM_400000_NS6detail17trampoline_kernelINS0_14default_configENS1_25partition_config_selectorILNS1_17partition_subalgoE5EfNS0_10empty_typeEbEEZZNS1_14partition_implILS5_5ELb0ES3_mN6thrust23THRUST_200600_302600_NS6detail15normal_iteratorINSA_10device_ptrIfEEEEPS6_NSA_18transform_iteratorINSB_9not_fun_tINSA_8identityIfEEEESF_NSA_11use_defaultESM_EENS0_5tupleIJSF_S6_EEENSO_IJSG_SG_EEES6_PlJS6_EEE10hipError_tPvRmT3_T4_T5_T6_T7_T9_mT8_P12ihipStream_tbDpT10_ENKUlT_T0_E_clISt17integral_constantIbLb1EES1B_EEDaS16_S17_EUlS16_E_NS1_11comp_targetILNS1_3genE9ELNS1_11target_archE1100ELNS1_3gpuE3ELNS1_3repE0EEENS1_30default_config_static_selectorELNS0_4arch9wavefront6targetE0EEEvT1_: ; @_ZN7rocprim17ROCPRIM_400000_NS6detail17trampoline_kernelINS0_14default_configENS1_25partition_config_selectorILNS1_17partition_subalgoE5EfNS0_10empty_typeEbEEZZNS1_14partition_implILS5_5ELb0ES3_mN6thrust23THRUST_200600_302600_NS6detail15normal_iteratorINSA_10device_ptrIfEEEEPS6_NSA_18transform_iteratorINSB_9not_fun_tINSA_8identityIfEEEESF_NSA_11use_defaultESM_EENS0_5tupleIJSF_S6_EEENSO_IJSG_SG_EEES6_PlJS6_EEE10hipError_tPvRmT3_T4_T5_T6_T7_T9_mT8_P12ihipStream_tbDpT10_ENKUlT_T0_E_clISt17integral_constantIbLb1EES1B_EEDaS16_S17_EUlS16_E_NS1_11comp_targetILNS1_3genE9ELNS1_11target_archE1100ELNS1_3gpuE3ELNS1_3repE0EEENS1_30default_config_static_selectorELNS0_4arch9wavefront6targetE0EEEvT1_
; %bb.0:
	.section	.rodata,"a",@progbits
	.p2align	6, 0x0
	.amdhsa_kernel _ZN7rocprim17ROCPRIM_400000_NS6detail17trampoline_kernelINS0_14default_configENS1_25partition_config_selectorILNS1_17partition_subalgoE5EfNS0_10empty_typeEbEEZZNS1_14partition_implILS5_5ELb0ES3_mN6thrust23THRUST_200600_302600_NS6detail15normal_iteratorINSA_10device_ptrIfEEEEPS6_NSA_18transform_iteratorINSB_9not_fun_tINSA_8identityIfEEEESF_NSA_11use_defaultESM_EENS0_5tupleIJSF_S6_EEENSO_IJSG_SG_EEES6_PlJS6_EEE10hipError_tPvRmT3_T4_T5_T6_T7_T9_mT8_P12ihipStream_tbDpT10_ENKUlT_T0_E_clISt17integral_constantIbLb1EES1B_EEDaS16_S17_EUlS16_E_NS1_11comp_targetILNS1_3genE9ELNS1_11target_archE1100ELNS1_3gpuE3ELNS1_3repE0EEENS1_30default_config_static_selectorELNS0_4arch9wavefront6targetE0EEEvT1_
		.amdhsa_group_segment_fixed_size 0
		.amdhsa_private_segment_fixed_size 0
		.amdhsa_kernarg_size 136
		.amdhsa_user_sgpr_count 2
		.amdhsa_user_sgpr_dispatch_ptr 0
		.amdhsa_user_sgpr_queue_ptr 0
		.amdhsa_user_sgpr_kernarg_segment_ptr 1
		.amdhsa_user_sgpr_dispatch_id 0
		.amdhsa_user_sgpr_private_segment_size 0
		.amdhsa_wavefront_size32 1
		.amdhsa_uses_dynamic_stack 0
		.amdhsa_enable_private_segment 0
		.amdhsa_system_sgpr_workgroup_id_x 1
		.amdhsa_system_sgpr_workgroup_id_y 0
		.amdhsa_system_sgpr_workgroup_id_z 0
		.amdhsa_system_sgpr_workgroup_info 0
		.amdhsa_system_vgpr_workitem_id 0
		.amdhsa_next_free_vgpr 1
		.amdhsa_next_free_sgpr 1
		.amdhsa_reserve_vcc 0
		.amdhsa_float_round_mode_32 0
		.amdhsa_float_round_mode_16_64 0
		.amdhsa_float_denorm_mode_32 3
		.amdhsa_float_denorm_mode_16_64 3
		.amdhsa_fp16_overflow 0
		.amdhsa_workgroup_processor_mode 1
		.amdhsa_memory_ordered 1
		.amdhsa_forward_progress 1
		.amdhsa_inst_pref_size 0
		.amdhsa_round_robin_scheduling 0
		.amdhsa_exception_fp_ieee_invalid_op 0
		.amdhsa_exception_fp_denorm_src 0
		.amdhsa_exception_fp_ieee_div_zero 0
		.amdhsa_exception_fp_ieee_overflow 0
		.amdhsa_exception_fp_ieee_underflow 0
		.amdhsa_exception_fp_ieee_inexact 0
		.amdhsa_exception_int_div_zero 0
	.end_amdhsa_kernel
	.section	.text._ZN7rocprim17ROCPRIM_400000_NS6detail17trampoline_kernelINS0_14default_configENS1_25partition_config_selectorILNS1_17partition_subalgoE5EfNS0_10empty_typeEbEEZZNS1_14partition_implILS5_5ELb0ES3_mN6thrust23THRUST_200600_302600_NS6detail15normal_iteratorINSA_10device_ptrIfEEEEPS6_NSA_18transform_iteratorINSB_9not_fun_tINSA_8identityIfEEEESF_NSA_11use_defaultESM_EENS0_5tupleIJSF_S6_EEENSO_IJSG_SG_EEES6_PlJS6_EEE10hipError_tPvRmT3_T4_T5_T6_T7_T9_mT8_P12ihipStream_tbDpT10_ENKUlT_T0_E_clISt17integral_constantIbLb1EES1B_EEDaS16_S17_EUlS16_E_NS1_11comp_targetILNS1_3genE9ELNS1_11target_archE1100ELNS1_3gpuE3ELNS1_3repE0EEENS1_30default_config_static_selectorELNS0_4arch9wavefront6targetE0EEEvT1_,"axG",@progbits,_ZN7rocprim17ROCPRIM_400000_NS6detail17trampoline_kernelINS0_14default_configENS1_25partition_config_selectorILNS1_17partition_subalgoE5EfNS0_10empty_typeEbEEZZNS1_14partition_implILS5_5ELb0ES3_mN6thrust23THRUST_200600_302600_NS6detail15normal_iteratorINSA_10device_ptrIfEEEEPS6_NSA_18transform_iteratorINSB_9not_fun_tINSA_8identityIfEEEESF_NSA_11use_defaultESM_EENS0_5tupleIJSF_S6_EEENSO_IJSG_SG_EEES6_PlJS6_EEE10hipError_tPvRmT3_T4_T5_T6_T7_T9_mT8_P12ihipStream_tbDpT10_ENKUlT_T0_E_clISt17integral_constantIbLb1EES1B_EEDaS16_S17_EUlS16_E_NS1_11comp_targetILNS1_3genE9ELNS1_11target_archE1100ELNS1_3gpuE3ELNS1_3repE0EEENS1_30default_config_static_selectorELNS0_4arch9wavefront6targetE0EEEvT1_,comdat
.Lfunc_end835:
	.size	_ZN7rocprim17ROCPRIM_400000_NS6detail17trampoline_kernelINS0_14default_configENS1_25partition_config_selectorILNS1_17partition_subalgoE5EfNS0_10empty_typeEbEEZZNS1_14partition_implILS5_5ELb0ES3_mN6thrust23THRUST_200600_302600_NS6detail15normal_iteratorINSA_10device_ptrIfEEEEPS6_NSA_18transform_iteratorINSB_9not_fun_tINSA_8identityIfEEEESF_NSA_11use_defaultESM_EENS0_5tupleIJSF_S6_EEENSO_IJSG_SG_EEES6_PlJS6_EEE10hipError_tPvRmT3_T4_T5_T6_T7_T9_mT8_P12ihipStream_tbDpT10_ENKUlT_T0_E_clISt17integral_constantIbLb1EES1B_EEDaS16_S17_EUlS16_E_NS1_11comp_targetILNS1_3genE9ELNS1_11target_archE1100ELNS1_3gpuE3ELNS1_3repE0EEENS1_30default_config_static_selectorELNS0_4arch9wavefront6targetE0EEEvT1_, .Lfunc_end835-_ZN7rocprim17ROCPRIM_400000_NS6detail17trampoline_kernelINS0_14default_configENS1_25partition_config_selectorILNS1_17partition_subalgoE5EfNS0_10empty_typeEbEEZZNS1_14partition_implILS5_5ELb0ES3_mN6thrust23THRUST_200600_302600_NS6detail15normal_iteratorINSA_10device_ptrIfEEEEPS6_NSA_18transform_iteratorINSB_9not_fun_tINSA_8identityIfEEEESF_NSA_11use_defaultESM_EENS0_5tupleIJSF_S6_EEENSO_IJSG_SG_EEES6_PlJS6_EEE10hipError_tPvRmT3_T4_T5_T6_T7_T9_mT8_P12ihipStream_tbDpT10_ENKUlT_T0_E_clISt17integral_constantIbLb1EES1B_EEDaS16_S17_EUlS16_E_NS1_11comp_targetILNS1_3genE9ELNS1_11target_archE1100ELNS1_3gpuE3ELNS1_3repE0EEENS1_30default_config_static_selectorELNS0_4arch9wavefront6targetE0EEEvT1_
                                        ; -- End function
	.set _ZN7rocprim17ROCPRIM_400000_NS6detail17trampoline_kernelINS0_14default_configENS1_25partition_config_selectorILNS1_17partition_subalgoE5EfNS0_10empty_typeEbEEZZNS1_14partition_implILS5_5ELb0ES3_mN6thrust23THRUST_200600_302600_NS6detail15normal_iteratorINSA_10device_ptrIfEEEEPS6_NSA_18transform_iteratorINSB_9not_fun_tINSA_8identityIfEEEESF_NSA_11use_defaultESM_EENS0_5tupleIJSF_S6_EEENSO_IJSG_SG_EEES6_PlJS6_EEE10hipError_tPvRmT3_T4_T5_T6_T7_T9_mT8_P12ihipStream_tbDpT10_ENKUlT_T0_E_clISt17integral_constantIbLb1EES1B_EEDaS16_S17_EUlS16_E_NS1_11comp_targetILNS1_3genE9ELNS1_11target_archE1100ELNS1_3gpuE3ELNS1_3repE0EEENS1_30default_config_static_selectorELNS0_4arch9wavefront6targetE0EEEvT1_.num_vgpr, 0
	.set _ZN7rocprim17ROCPRIM_400000_NS6detail17trampoline_kernelINS0_14default_configENS1_25partition_config_selectorILNS1_17partition_subalgoE5EfNS0_10empty_typeEbEEZZNS1_14partition_implILS5_5ELb0ES3_mN6thrust23THRUST_200600_302600_NS6detail15normal_iteratorINSA_10device_ptrIfEEEEPS6_NSA_18transform_iteratorINSB_9not_fun_tINSA_8identityIfEEEESF_NSA_11use_defaultESM_EENS0_5tupleIJSF_S6_EEENSO_IJSG_SG_EEES6_PlJS6_EEE10hipError_tPvRmT3_T4_T5_T6_T7_T9_mT8_P12ihipStream_tbDpT10_ENKUlT_T0_E_clISt17integral_constantIbLb1EES1B_EEDaS16_S17_EUlS16_E_NS1_11comp_targetILNS1_3genE9ELNS1_11target_archE1100ELNS1_3gpuE3ELNS1_3repE0EEENS1_30default_config_static_selectorELNS0_4arch9wavefront6targetE0EEEvT1_.num_agpr, 0
	.set _ZN7rocprim17ROCPRIM_400000_NS6detail17trampoline_kernelINS0_14default_configENS1_25partition_config_selectorILNS1_17partition_subalgoE5EfNS0_10empty_typeEbEEZZNS1_14partition_implILS5_5ELb0ES3_mN6thrust23THRUST_200600_302600_NS6detail15normal_iteratorINSA_10device_ptrIfEEEEPS6_NSA_18transform_iteratorINSB_9not_fun_tINSA_8identityIfEEEESF_NSA_11use_defaultESM_EENS0_5tupleIJSF_S6_EEENSO_IJSG_SG_EEES6_PlJS6_EEE10hipError_tPvRmT3_T4_T5_T6_T7_T9_mT8_P12ihipStream_tbDpT10_ENKUlT_T0_E_clISt17integral_constantIbLb1EES1B_EEDaS16_S17_EUlS16_E_NS1_11comp_targetILNS1_3genE9ELNS1_11target_archE1100ELNS1_3gpuE3ELNS1_3repE0EEENS1_30default_config_static_selectorELNS0_4arch9wavefront6targetE0EEEvT1_.numbered_sgpr, 0
	.set _ZN7rocprim17ROCPRIM_400000_NS6detail17trampoline_kernelINS0_14default_configENS1_25partition_config_selectorILNS1_17partition_subalgoE5EfNS0_10empty_typeEbEEZZNS1_14partition_implILS5_5ELb0ES3_mN6thrust23THRUST_200600_302600_NS6detail15normal_iteratorINSA_10device_ptrIfEEEEPS6_NSA_18transform_iteratorINSB_9not_fun_tINSA_8identityIfEEEESF_NSA_11use_defaultESM_EENS0_5tupleIJSF_S6_EEENSO_IJSG_SG_EEES6_PlJS6_EEE10hipError_tPvRmT3_T4_T5_T6_T7_T9_mT8_P12ihipStream_tbDpT10_ENKUlT_T0_E_clISt17integral_constantIbLb1EES1B_EEDaS16_S17_EUlS16_E_NS1_11comp_targetILNS1_3genE9ELNS1_11target_archE1100ELNS1_3gpuE3ELNS1_3repE0EEENS1_30default_config_static_selectorELNS0_4arch9wavefront6targetE0EEEvT1_.num_named_barrier, 0
	.set _ZN7rocprim17ROCPRIM_400000_NS6detail17trampoline_kernelINS0_14default_configENS1_25partition_config_selectorILNS1_17partition_subalgoE5EfNS0_10empty_typeEbEEZZNS1_14partition_implILS5_5ELb0ES3_mN6thrust23THRUST_200600_302600_NS6detail15normal_iteratorINSA_10device_ptrIfEEEEPS6_NSA_18transform_iteratorINSB_9not_fun_tINSA_8identityIfEEEESF_NSA_11use_defaultESM_EENS0_5tupleIJSF_S6_EEENSO_IJSG_SG_EEES6_PlJS6_EEE10hipError_tPvRmT3_T4_T5_T6_T7_T9_mT8_P12ihipStream_tbDpT10_ENKUlT_T0_E_clISt17integral_constantIbLb1EES1B_EEDaS16_S17_EUlS16_E_NS1_11comp_targetILNS1_3genE9ELNS1_11target_archE1100ELNS1_3gpuE3ELNS1_3repE0EEENS1_30default_config_static_selectorELNS0_4arch9wavefront6targetE0EEEvT1_.private_seg_size, 0
	.set _ZN7rocprim17ROCPRIM_400000_NS6detail17trampoline_kernelINS0_14default_configENS1_25partition_config_selectorILNS1_17partition_subalgoE5EfNS0_10empty_typeEbEEZZNS1_14partition_implILS5_5ELb0ES3_mN6thrust23THRUST_200600_302600_NS6detail15normal_iteratorINSA_10device_ptrIfEEEEPS6_NSA_18transform_iteratorINSB_9not_fun_tINSA_8identityIfEEEESF_NSA_11use_defaultESM_EENS0_5tupleIJSF_S6_EEENSO_IJSG_SG_EEES6_PlJS6_EEE10hipError_tPvRmT3_T4_T5_T6_T7_T9_mT8_P12ihipStream_tbDpT10_ENKUlT_T0_E_clISt17integral_constantIbLb1EES1B_EEDaS16_S17_EUlS16_E_NS1_11comp_targetILNS1_3genE9ELNS1_11target_archE1100ELNS1_3gpuE3ELNS1_3repE0EEENS1_30default_config_static_selectorELNS0_4arch9wavefront6targetE0EEEvT1_.uses_vcc, 0
	.set _ZN7rocprim17ROCPRIM_400000_NS6detail17trampoline_kernelINS0_14default_configENS1_25partition_config_selectorILNS1_17partition_subalgoE5EfNS0_10empty_typeEbEEZZNS1_14partition_implILS5_5ELb0ES3_mN6thrust23THRUST_200600_302600_NS6detail15normal_iteratorINSA_10device_ptrIfEEEEPS6_NSA_18transform_iteratorINSB_9not_fun_tINSA_8identityIfEEEESF_NSA_11use_defaultESM_EENS0_5tupleIJSF_S6_EEENSO_IJSG_SG_EEES6_PlJS6_EEE10hipError_tPvRmT3_T4_T5_T6_T7_T9_mT8_P12ihipStream_tbDpT10_ENKUlT_T0_E_clISt17integral_constantIbLb1EES1B_EEDaS16_S17_EUlS16_E_NS1_11comp_targetILNS1_3genE9ELNS1_11target_archE1100ELNS1_3gpuE3ELNS1_3repE0EEENS1_30default_config_static_selectorELNS0_4arch9wavefront6targetE0EEEvT1_.uses_flat_scratch, 0
	.set _ZN7rocprim17ROCPRIM_400000_NS6detail17trampoline_kernelINS0_14default_configENS1_25partition_config_selectorILNS1_17partition_subalgoE5EfNS0_10empty_typeEbEEZZNS1_14partition_implILS5_5ELb0ES3_mN6thrust23THRUST_200600_302600_NS6detail15normal_iteratorINSA_10device_ptrIfEEEEPS6_NSA_18transform_iteratorINSB_9not_fun_tINSA_8identityIfEEEESF_NSA_11use_defaultESM_EENS0_5tupleIJSF_S6_EEENSO_IJSG_SG_EEES6_PlJS6_EEE10hipError_tPvRmT3_T4_T5_T6_T7_T9_mT8_P12ihipStream_tbDpT10_ENKUlT_T0_E_clISt17integral_constantIbLb1EES1B_EEDaS16_S17_EUlS16_E_NS1_11comp_targetILNS1_3genE9ELNS1_11target_archE1100ELNS1_3gpuE3ELNS1_3repE0EEENS1_30default_config_static_selectorELNS0_4arch9wavefront6targetE0EEEvT1_.has_dyn_sized_stack, 0
	.set _ZN7rocprim17ROCPRIM_400000_NS6detail17trampoline_kernelINS0_14default_configENS1_25partition_config_selectorILNS1_17partition_subalgoE5EfNS0_10empty_typeEbEEZZNS1_14partition_implILS5_5ELb0ES3_mN6thrust23THRUST_200600_302600_NS6detail15normal_iteratorINSA_10device_ptrIfEEEEPS6_NSA_18transform_iteratorINSB_9not_fun_tINSA_8identityIfEEEESF_NSA_11use_defaultESM_EENS0_5tupleIJSF_S6_EEENSO_IJSG_SG_EEES6_PlJS6_EEE10hipError_tPvRmT3_T4_T5_T6_T7_T9_mT8_P12ihipStream_tbDpT10_ENKUlT_T0_E_clISt17integral_constantIbLb1EES1B_EEDaS16_S17_EUlS16_E_NS1_11comp_targetILNS1_3genE9ELNS1_11target_archE1100ELNS1_3gpuE3ELNS1_3repE0EEENS1_30default_config_static_selectorELNS0_4arch9wavefront6targetE0EEEvT1_.has_recursion, 0
	.set _ZN7rocprim17ROCPRIM_400000_NS6detail17trampoline_kernelINS0_14default_configENS1_25partition_config_selectorILNS1_17partition_subalgoE5EfNS0_10empty_typeEbEEZZNS1_14partition_implILS5_5ELb0ES3_mN6thrust23THRUST_200600_302600_NS6detail15normal_iteratorINSA_10device_ptrIfEEEEPS6_NSA_18transform_iteratorINSB_9not_fun_tINSA_8identityIfEEEESF_NSA_11use_defaultESM_EENS0_5tupleIJSF_S6_EEENSO_IJSG_SG_EEES6_PlJS6_EEE10hipError_tPvRmT3_T4_T5_T6_T7_T9_mT8_P12ihipStream_tbDpT10_ENKUlT_T0_E_clISt17integral_constantIbLb1EES1B_EEDaS16_S17_EUlS16_E_NS1_11comp_targetILNS1_3genE9ELNS1_11target_archE1100ELNS1_3gpuE3ELNS1_3repE0EEENS1_30default_config_static_selectorELNS0_4arch9wavefront6targetE0EEEvT1_.has_indirect_call, 0
	.section	.AMDGPU.csdata,"",@progbits
; Kernel info:
; codeLenInByte = 0
; TotalNumSgprs: 0
; NumVgprs: 0
; ScratchSize: 0
; MemoryBound: 0
; FloatMode: 240
; IeeeMode: 1
; LDSByteSize: 0 bytes/workgroup (compile time only)
; SGPRBlocks: 0
; VGPRBlocks: 0
; NumSGPRsForWavesPerEU: 1
; NumVGPRsForWavesPerEU: 1
; Occupancy: 16
; WaveLimiterHint : 0
; COMPUTE_PGM_RSRC2:SCRATCH_EN: 0
; COMPUTE_PGM_RSRC2:USER_SGPR: 2
; COMPUTE_PGM_RSRC2:TRAP_HANDLER: 0
; COMPUTE_PGM_RSRC2:TGID_X_EN: 1
; COMPUTE_PGM_RSRC2:TGID_Y_EN: 0
; COMPUTE_PGM_RSRC2:TGID_Z_EN: 0
; COMPUTE_PGM_RSRC2:TIDIG_COMP_CNT: 0
	.section	.text._ZN7rocprim17ROCPRIM_400000_NS6detail17trampoline_kernelINS0_14default_configENS1_25partition_config_selectorILNS1_17partition_subalgoE5EfNS0_10empty_typeEbEEZZNS1_14partition_implILS5_5ELb0ES3_mN6thrust23THRUST_200600_302600_NS6detail15normal_iteratorINSA_10device_ptrIfEEEEPS6_NSA_18transform_iteratorINSB_9not_fun_tINSA_8identityIfEEEESF_NSA_11use_defaultESM_EENS0_5tupleIJSF_S6_EEENSO_IJSG_SG_EEES6_PlJS6_EEE10hipError_tPvRmT3_T4_T5_T6_T7_T9_mT8_P12ihipStream_tbDpT10_ENKUlT_T0_E_clISt17integral_constantIbLb1EES1B_EEDaS16_S17_EUlS16_E_NS1_11comp_targetILNS1_3genE8ELNS1_11target_archE1030ELNS1_3gpuE2ELNS1_3repE0EEENS1_30default_config_static_selectorELNS0_4arch9wavefront6targetE0EEEvT1_,"axG",@progbits,_ZN7rocprim17ROCPRIM_400000_NS6detail17trampoline_kernelINS0_14default_configENS1_25partition_config_selectorILNS1_17partition_subalgoE5EfNS0_10empty_typeEbEEZZNS1_14partition_implILS5_5ELb0ES3_mN6thrust23THRUST_200600_302600_NS6detail15normal_iteratorINSA_10device_ptrIfEEEEPS6_NSA_18transform_iteratorINSB_9not_fun_tINSA_8identityIfEEEESF_NSA_11use_defaultESM_EENS0_5tupleIJSF_S6_EEENSO_IJSG_SG_EEES6_PlJS6_EEE10hipError_tPvRmT3_T4_T5_T6_T7_T9_mT8_P12ihipStream_tbDpT10_ENKUlT_T0_E_clISt17integral_constantIbLb1EES1B_EEDaS16_S17_EUlS16_E_NS1_11comp_targetILNS1_3genE8ELNS1_11target_archE1030ELNS1_3gpuE2ELNS1_3repE0EEENS1_30default_config_static_selectorELNS0_4arch9wavefront6targetE0EEEvT1_,comdat
	.protected	_ZN7rocprim17ROCPRIM_400000_NS6detail17trampoline_kernelINS0_14default_configENS1_25partition_config_selectorILNS1_17partition_subalgoE5EfNS0_10empty_typeEbEEZZNS1_14partition_implILS5_5ELb0ES3_mN6thrust23THRUST_200600_302600_NS6detail15normal_iteratorINSA_10device_ptrIfEEEEPS6_NSA_18transform_iteratorINSB_9not_fun_tINSA_8identityIfEEEESF_NSA_11use_defaultESM_EENS0_5tupleIJSF_S6_EEENSO_IJSG_SG_EEES6_PlJS6_EEE10hipError_tPvRmT3_T4_T5_T6_T7_T9_mT8_P12ihipStream_tbDpT10_ENKUlT_T0_E_clISt17integral_constantIbLb1EES1B_EEDaS16_S17_EUlS16_E_NS1_11comp_targetILNS1_3genE8ELNS1_11target_archE1030ELNS1_3gpuE2ELNS1_3repE0EEENS1_30default_config_static_selectorELNS0_4arch9wavefront6targetE0EEEvT1_ ; -- Begin function _ZN7rocprim17ROCPRIM_400000_NS6detail17trampoline_kernelINS0_14default_configENS1_25partition_config_selectorILNS1_17partition_subalgoE5EfNS0_10empty_typeEbEEZZNS1_14partition_implILS5_5ELb0ES3_mN6thrust23THRUST_200600_302600_NS6detail15normal_iteratorINSA_10device_ptrIfEEEEPS6_NSA_18transform_iteratorINSB_9not_fun_tINSA_8identityIfEEEESF_NSA_11use_defaultESM_EENS0_5tupleIJSF_S6_EEENSO_IJSG_SG_EEES6_PlJS6_EEE10hipError_tPvRmT3_T4_T5_T6_T7_T9_mT8_P12ihipStream_tbDpT10_ENKUlT_T0_E_clISt17integral_constantIbLb1EES1B_EEDaS16_S17_EUlS16_E_NS1_11comp_targetILNS1_3genE8ELNS1_11target_archE1030ELNS1_3gpuE2ELNS1_3repE0EEENS1_30default_config_static_selectorELNS0_4arch9wavefront6targetE0EEEvT1_
	.globl	_ZN7rocprim17ROCPRIM_400000_NS6detail17trampoline_kernelINS0_14default_configENS1_25partition_config_selectorILNS1_17partition_subalgoE5EfNS0_10empty_typeEbEEZZNS1_14partition_implILS5_5ELb0ES3_mN6thrust23THRUST_200600_302600_NS6detail15normal_iteratorINSA_10device_ptrIfEEEEPS6_NSA_18transform_iteratorINSB_9not_fun_tINSA_8identityIfEEEESF_NSA_11use_defaultESM_EENS0_5tupleIJSF_S6_EEENSO_IJSG_SG_EEES6_PlJS6_EEE10hipError_tPvRmT3_T4_T5_T6_T7_T9_mT8_P12ihipStream_tbDpT10_ENKUlT_T0_E_clISt17integral_constantIbLb1EES1B_EEDaS16_S17_EUlS16_E_NS1_11comp_targetILNS1_3genE8ELNS1_11target_archE1030ELNS1_3gpuE2ELNS1_3repE0EEENS1_30default_config_static_selectorELNS0_4arch9wavefront6targetE0EEEvT1_
	.p2align	8
	.type	_ZN7rocprim17ROCPRIM_400000_NS6detail17trampoline_kernelINS0_14default_configENS1_25partition_config_selectorILNS1_17partition_subalgoE5EfNS0_10empty_typeEbEEZZNS1_14partition_implILS5_5ELb0ES3_mN6thrust23THRUST_200600_302600_NS6detail15normal_iteratorINSA_10device_ptrIfEEEEPS6_NSA_18transform_iteratorINSB_9not_fun_tINSA_8identityIfEEEESF_NSA_11use_defaultESM_EENS0_5tupleIJSF_S6_EEENSO_IJSG_SG_EEES6_PlJS6_EEE10hipError_tPvRmT3_T4_T5_T6_T7_T9_mT8_P12ihipStream_tbDpT10_ENKUlT_T0_E_clISt17integral_constantIbLb1EES1B_EEDaS16_S17_EUlS16_E_NS1_11comp_targetILNS1_3genE8ELNS1_11target_archE1030ELNS1_3gpuE2ELNS1_3repE0EEENS1_30default_config_static_selectorELNS0_4arch9wavefront6targetE0EEEvT1_,@function
_ZN7rocprim17ROCPRIM_400000_NS6detail17trampoline_kernelINS0_14default_configENS1_25partition_config_selectorILNS1_17partition_subalgoE5EfNS0_10empty_typeEbEEZZNS1_14partition_implILS5_5ELb0ES3_mN6thrust23THRUST_200600_302600_NS6detail15normal_iteratorINSA_10device_ptrIfEEEEPS6_NSA_18transform_iteratorINSB_9not_fun_tINSA_8identityIfEEEESF_NSA_11use_defaultESM_EENS0_5tupleIJSF_S6_EEENSO_IJSG_SG_EEES6_PlJS6_EEE10hipError_tPvRmT3_T4_T5_T6_T7_T9_mT8_P12ihipStream_tbDpT10_ENKUlT_T0_E_clISt17integral_constantIbLb1EES1B_EEDaS16_S17_EUlS16_E_NS1_11comp_targetILNS1_3genE8ELNS1_11target_archE1030ELNS1_3gpuE2ELNS1_3repE0EEENS1_30default_config_static_selectorELNS0_4arch9wavefront6targetE0EEEvT1_: ; @_ZN7rocprim17ROCPRIM_400000_NS6detail17trampoline_kernelINS0_14default_configENS1_25partition_config_selectorILNS1_17partition_subalgoE5EfNS0_10empty_typeEbEEZZNS1_14partition_implILS5_5ELb0ES3_mN6thrust23THRUST_200600_302600_NS6detail15normal_iteratorINSA_10device_ptrIfEEEEPS6_NSA_18transform_iteratorINSB_9not_fun_tINSA_8identityIfEEEESF_NSA_11use_defaultESM_EENS0_5tupleIJSF_S6_EEENSO_IJSG_SG_EEES6_PlJS6_EEE10hipError_tPvRmT3_T4_T5_T6_T7_T9_mT8_P12ihipStream_tbDpT10_ENKUlT_T0_E_clISt17integral_constantIbLb1EES1B_EEDaS16_S17_EUlS16_E_NS1_11comp_targetILNS1_3genE8ELNS1_11target_archE1030ELNS1_3gpuE2ELNS1_3repE0EEENS1_30default_config_static_selectorELNS0_4arch9wavefront6targetE0EEEvT1_
; %bb.0:
	.section	.rodata,"a",@progbits
	.p2align	6, 0x0
	.amdhsa_kernel _ZN7rocprim17ROCPRIM_400000_NS6detail17trampoline_kernelINS0_14default_configENS1_25partition_config_selectorILNS1_17partition_subalgoE5EfNS0_10empty_typeEbEEZZNS1_14partition_implILS5_5ELb0ES3_mN6thrust23THRUST_200600_302600_NS6detail15normal_iteratorINSA_10device_ptrIfEEEEPS6_NSA_18transform_iteratorINSB_9not_fun_tINSA_8identityIfEEEESF_NSA_11use_defaultESM_EENS0_5tupleIJSF_S6_EEENSO_IJSG_SG_EEES6_PlJS6_EEE10hipError_tPvRmT3_T4_T5_T6_T7_T9_mT8_P12ihipStream_tbDpT10_ENKUlT_T0_E_clISt17integral_constantIbLb1EES1B_EEDaS16_S17_EUlS16_E_NS1_11comp_targetILNS1_3genE8ELNS1_11target_archE1030ELNS1_3gpuE2ELNS1_3repE0EEENS1_30default_config_static_selectorELNS0_4arch9wavefront6targetE0EEEvT1_
		.amdhsa_group_segment_fixed_size 0
		.amdhsa_private_segment_fixed_size 0
		.amdhsa_kernarg_size 136
		.amdhsa_user_sgpr_count 2
		.amdhsa_user_sgpr_dispatch_ptr 0
		.amdhsa_user_sgpr_queue_ptr 0
		.amdhsa_user_sgpr_kernarg_segment_ptr 1
		.amdhsa_user_sgpr_dispatch_id 0
		.amdhsa_user_sgpr_private_segment_size 0
		.amdhsa_wavefront_size32 1
		.amdhsa_uses_dynamic_stack 0
		.amdhsa_enable_private_segment 0
		.amdhsa_system_sgpr_workgroup_id_x 1
		.amdhsa_system_sgpr_workgroup_id_y 0
		.amdhsa_system_sgpr_workgroup_id_z 0
		.amdhsa_system_sgpr_workgroup_info 0
		.amdhsa_system_vgpr_workitem_id 0
		.amdhsa_next_free_vgpr 1
		.amdhsa_next_free_sgpr 1
		.amdhsa_reserve_vcc 0
		.amdhsa_float_round_mode_32 0
		.amdhsa_float_round_mode_16_64 0
		.amdhsa_float_denorm_mode_32 3
		.amdhsa_float_denorm_mode_16_64 3
		.amdhsa_fp16_overflow 0
		.amdhsa_workgroup_processor_mode 1
		.amdhsa_memory_ordered 1
		.amdhsa_forward_progress 1
		.amdhsa_inst_pref_size 0
		.amdhsa_round_robin_scheduling 0
		.amdhsa_exception_fp_ieee_invalid_op 0
		.amdhsa_exception_fp_denorm_src 0
		.amdhsa_exception_fp_ieee_div_zero 0
		.amdhsa_exception_fp_ieee_overflow 0
		.amdhsa_exception_fp_ieee_underflow 0
		.amdhsa_exception_fp_ieee_inexact 0
		.amdhsa_exception_int_div_zero 0
	.end_amdhsa_kernel
	.section	.text._ZN7rocprim17ROCPRIM_400000_NS6detail17trampoline_kernelINS0_14default_configENS1_25partition_config_selectorILNS1_17partition_subalgoE5EfNS0_10empty_typeEbEEZZNS1_14partition_implILS5_5ELb0ES3_mN6thrust23THRUST_200600_302600_NS6detail15normal_iteratorINSA_10device_ptrIfEEEEPS6_NSA_18transform_iteratorINSB_9not_fun_tINSA_8identityIfEEEESF_NSA_11use_defaultESM_EENS0_5tupleIJSF_S6_EEENSO_IJSG_SG_EEES6_PlJS6_EEE10hipError_tPvRmT3_T4_T5_T6_T7_T9_mT8_P12ihipStream_tbDpT10_ENKUlT_T0_E_clISt17integral_constantIbLb1EES1B_EEDaS16_S17_EUlS16_E_NS1_11comp_targetILNS1_3genE8ELNS1_11target_archE1030ELNS1_3gpuE2ELNS1_3repE0EEENS1_30default_config_static_selectorELNS0_4arch9wavefront6targetE0EEEvT1_,"axG",@progbits,_ZN7rocprim17ROCPRIM_400000_NS6detail17trampoline_kernelINS0_14default_configENS1_25partition_config_selectorILNS1_17partition_subalgoE5EfNS0_10empty_typeEbEEZZNS1_14partition_implILS5_5ELb0ES3_mN6thrust23THRUST_200600_302600_NS6detail15normal_iteratorINSA_10device_ptrIfEEEEPS6_NSA_18transform_iteratorINSB_9not_fun_tINSA_8identityIfEEEESF_NSA_11use_defaultESM_EENS0_5tupleIJSF_S6_EEENSO_IJSG_SG_EEES6_PlJS6_EEE10hipError_tPvRmT3_T4_T5_T6_T7_T9_mT8_P12ihipStream_tbDpT10_ENKUlT_T0_E_clISt17integral_constantIbLb1EES1B_EEDaS16_S17_EUlS16_E_NS1_11comp_targetILNS1_3genE8ELNS1_11target_archE1030ELNS1_3gpuE2ELNS1_3repE0EEENS1_30default_config_static_selectorELNS0_4arch9wavefront6targetE0EEEvT1_,comdat
.Lfunc_end836:
	.size	_ZN7rocprim17ROCPRIM_400000_NS6detail17trampoline_kernelINS0_14default_configENS1_25partition_config_selectorILNS1_17partition_subalgoE5EfNS0_10empty_typeEbEEZZNS1_14partition_implILS5_5ELb0ES3_mN6thrust23THRUST_200600_302600_NS6detail15normal_iteratorINSA_10device_ptrIfEEEEPS6_NSA_18transform_iteratorINSB_9not_fun_tINSA_8identityIfEEEESF_NSA_11use_defaultESM_EENS0_5tupleIJSF_S6_EEENSO_IJSG_SG_EEES6_PlJS6_EEE10hipError_tPvRmT3_T4_T5_T6_T7_T9_mT8_P12ihipStream_tbDpT10_ENKUlT_T0_E_clISt17integral_constantIbLb1EES1B_EEDaS16_S17_EUlS16_E_NS1_11comp_targetILNS1_3genE8ELNS1_11target_archE1030ELNS1_3gpuE2ELNS1_3repE0EEENS1_30default_config_static_selectorELNS0_4arch9wavefront6targetE0EEEvT1_, .Lfunc_end836-_ZN7rocprim17ROCPRIM_400000_NS6detail17trampoline_kernelINS0_14default_configENS1_25partition_config_selectorILNS1_17partition_subalgoE5EfNS0_10empty_typeEbEEZZNS1_14partition_implILS5_5ELb0ES3_mN6thrust23THRUST_200600_302600_NS6detail15normal_iteratorINSA_10device_ptrIfEEEEPS6_NSA_18transform_iteratorINSB_9not_fun_tINSA_8identityIfEEEESF_NSA_11use_defaultESM_EENS0_5tupleIJSF_S6_EEENSO_IJSG_SG_EEES6_PlJS6_EEE10hipError_tPvRmT3_T4_T5_T6_T7_T9_mT8_P12ihipStream_tbDpT10_ENKUlT_T0_E_clISt17integral_constantIbLb1EES1B_EEDaS16_S17_EUlS16_E_NS1_11comp_targetILNS1_3genE8ELNS1_11target_archE1030ELNS1_3gpuE2ELNS1_3repE0EEENS1_30default_config_static_selectorELNS0_4arch9wavefront6targetE0EEEvT1_
                                        ; -- End function
	.set _ZN7rocprim17ROCPRIM_400000_NS6detail17trampoline_kernelINS0_14default_configENS1_25partition_config_selectorILNS1_17partition_subalgoE5EfNS0_10empty_typeEbEEZZNS1_14partition_implILS5_5ELb0ES3_mN6thrust23THRUST_200600_302600_NS6detail15normal_iteratorINSA_10device_ptrIfEEEEPS6_NSA_18transform_iteratorINSB_9not_fun_tINSA_8identityIfEEEESF_NSA_11use_defaultESM_EENS0_5tupleIJSF_S6_EEENSO_IJSG_SG_EEES6_PlJS6_EEE10hipError_tPvRmT3_T4_T5_T6_T7_T9_mT8_P12ihipStream_tbDpT10_ENKUlT_T0_E_clISt17integral_constantIbLb1EES1B_EEDaS16_S17_EUlS16_E_NS1_11comp_targetILNS1_3genE8ELNS1_11target_archE1030ELNS1_3gpuE2ELNS1_3repE0EEENS1_30default_config_static_selectorELNS0_4arch9wavefront6targetE0EEEvT1_.num_vgpr, 0
	.set _ZN7rocprim17ROCPRIM_400000_NS6detail17trampoline_kernelINS0_14default_configENS1_25partition_config_selectorILNS1_17partition_subalgoE5EfNS0_10empty_typeEbEEZZNS1_14partition_implILS5_5ELb0ES3_mN6thrust23THRUST_200600_302600_NS6detail15normal_iteratorINSA_10device_ptrIfEEEEPS6_NSA_18transform_iteratorINSB_9not_fun_tINSA_8identityIfEEEESF_NSA_11use_defaultESM_EENS0_5tupleIJSF_S6_EEENSO_IJSG_SG_EEES6_PlJS6_EEE10hipError_tPvRmT3_T4_T5_T6_T7_T9_mT8_P12ihipStream_tbDpT10_ENKUlT_T0_E_clISt17integral_constantIbLb1EES1B_EEDaS16_S17_EUlS16_E_NS1_11comp_targetILNS1_3genE8ELNS1_11target_archE1030ELNS1_3gpuE2ELNS1_3repE0EEENS1_30default_config_static_selectorELNS0_4arch9wavefront6targetE0EEEvT1_.num_agpr, 0
	.set _ZN7rocprim17ROCPRIM_400000_NS6detail17trampoline_kernelINS0_14default_configENS1_25partition_config_selectorILNS1_17partition_subalgoE5EfNS0_10empty_typeEbEEZZNS1_14partition_implILS5_5ELb0ES3_mN6thrust23THRUST_200600_302600_NS6detail15normal_iteratorINSA_10device_ptrIfEEEEPS6_NSA_18transform_iteratorINSB_9not_fun_tINSA_8identityIfEEEESF_NSA_11use_defaultESM_EENS0_5tupleIJSF_S6_EEENSO_IJSG_SG_EEES6_PlJS6_EEE10hipError_tPvRmT3_T4_T5_T6_T7_T9_mT8_P12ihipStream_tbDpT10_ENKUlT_T0_E_clISt17integral_constantIbLb1EES1B_EEDaS16_S17_EUlS16_E_NS1_11comp_targetILNS1_3genE8ELNS1_11target_archE1030ELNS1_3gpuE2ELNS1_3repE0EEENS1_30default_config_static_selectorELNS0_4arch9wavefront6targetE0EEEvT1_.numbered_sgpr, 0
	.set _ZN7rocprim17ROCPRIM_400000_NS6detail17trampoline_kernelINS0_14default_configENS1_25partition_config_selectorILNS1_17partition_subalgoE5EfNS0_10empty_typeEbEEZZNS1_14partition_implILS5_5ELb0ES3_mN6thrust23THRUST_200600_302600_NS6detail15normal_iteratorINSA_10device_ptrIfEEEEPS6_NSA_18transform_iteratorINSB_9not_fun_tINSA_8identityIfEEEESF_NSA_11use_defaultESM_EENS0_5tupleIJSF_S6_EEENSO_IJSG_SG_EEES6_PlJS6_EEE10hipError_tPvRmT3_T4_T5_T6_T7_T9_mT8_P12ihipStream_tbDpT10_ENKUlT_T0_E_clISt17integral_constantIbLb1EES1B_EEDaS16_S17_EUlS16_E_NS1_11comp_targetILNS1_3genE8ELNS1_11target_archE1030ELNS1_3gpuE2ELNS1_3repE0EEENS1_30default_config_static_selectorELNS0_4arch9wavefront6targetE0EEEvT1_.num_named_barrier, 0
	.set _ZN7rocprim17ROCPRIM_400000_NS6detail17trampoline_kernelINS0_14default_configENS1_25partition_config_selectorILNS1_17partition_subalgoE5EfNS0_10empty_typeEbEEZZNS1_14partition_implILS5_5ELb0ES3_mN6thrust23THRUST_200600_302600_NS6detail15normal_iteratorINSA_10device_ptrIfEEEEPS6_NSA_18transform_iteratorINSB_9not_fun_tINSA_8identityIfEEEESF_NSA_11use_defaultESM_EENS0_5tupleIJSF_S6_EEENSO_IJSG_SG_EEES6_PlJS6_EEE10hipError_tPvRmT3_T4_T5_T6_T7_T9_mT8_P12ihipStream_tbDpT10_ENKUlT_T0_E_clISt17integral_constantIbLb1EES1B_EEDaS16_S17_EUlS16_E_NS1_11comp_targetILNS1_3genE8ELNS1_11target_archE1030ELNS1_3gpuE2ELNS1_3repE0EEENS1_30default_config_static_selectorELNS0_4arch9wavefront6targetE0EEEvT1_.private_seg_size, 0
	.set _ZN7rocprim17ROCPRIM_400000_NS6detail17trampoline_kernelINS0_14default_configENS1_25partition_config_selectorILNS1_17partition_subalgoE5EfNS0_10empty_typeEbEEZZNS1_14partition_implILS5_5ELb0ES3_mN6thrust23THRUST_200600_302600_NS6detail15normal_iteratorINSA_10device_ptrIfEEEEPS6_NSA_18transform_iteratorINSB_9not_fun_tINSA_8identityIfEEEESF_NSA_11use_defaultESM_EENS0_5tupleIJSF_S6_EEENSO_IJSG_SG_EEES6_PlJS6_EEE10hipError_tPvRmT3_T4_T5_T6_T7_T9_mT8_P12ihipStream_tbDpT10_ENKUlT_T0_E_clISt17integral_constantIbLb1EES1B_EEDaS16_S17_EUlS16_E_NS1_11comp_targetILNS1_3genE8ELNS1_11target_archE1030ELNS1_3gpuE2ELNS1_3repE0EEENS1_30default_config_static_selectorELNS0_4arch9wavefront6targetE0EEEvT1_.uses_vcc, 0
	.set _ZN7rocprim17ROCPRIM_400000_NS6detail17trampoline_kernelINS0_14default_configENS1_25partition_config_selectorILNS1_17partition_subalgoE5EfNS0_10empty_typeEbEEZZNS1_14partition_implILS5_5ELb0ES3_mN6thrust23THRUST_200600_302600_NS6detail15normal_iteratorINSA_10device_ptrIfEEEEPS6_NSA_18transform_iteratorINSB_9not_fun_tINSA_8identityIfEEEESF_NSA_11use_defaultESM_EENS0_5tupleIJSF_S6_EEENSO_IJSG_SG_EEES6_PlJS6_EEE10hipError_tPvRmT3_T4_T5_T6_T7_T9_mT8_P12ihipStream_tbDpT10_ENKUlT_T0_E_clISt17integral_constantIbLb1EES1B_EEDaS16_S17_EUlS16_E_NS1_11comp_targetILNS1_3genE8ELNS1_11target_archE1030ELNS1_3gpuE2ELNS1_3repE0EEENS1_30default_config_static_selectorELNS0_4arch9wavefront6targetE0EEEvT1_.uses_flat_scratch, 0
	.set _ZN7rocprim17ROCPRIM_400000_NS6detail17trampoline_kernelINS0_14default_configENS1_25partition_config_selectorILNS1_17partition_subalgoE5EfNS0_10empty_typeEbEEZZNS1_14partition_implILS5_5ELb0ES3_mN6thrust23THRUST_200600_302600_NS6detail15normal_iteratorINSA_10device_ptrIfEEEEPS6_NSA_18transform_iteratorINSB_9not_fun_tINSA_8identityIfEEEESF_NSA_11use_defaultESM_EENS0_5tupleIJSF_S6_EEENSO_IJSG_SG_EEES6_PlJS6_EEE10hipError_tPvRmT3_T4_T5_T6_T7_T9_mT8_P12ihipStream_tbDpT10_ENKUlT_T0_E_clISt17integral_constantIbLb1EES1B_EEDaS16_S17_EUlS16_E_NS1_11comp_targetILNS1_3genE8ELNS1_11target_archE1030ELNS1_3gpuE2ELNS1_3repE0EEENS1_30default_config_static_selectorELNS0_4arch9wavefront6targetE0EEEvT1_.has_dyn_sized_stack, 0
	.set _ZN7rocprim17ROCPRIM_400000_NS6detail17trampoline_kernelINS0_14default_configENS1_25partition_config_selectorILNS1_17partition_subalgoE5EfNS0_10empty_typeEbEEZZNS1_14partition_implILS5_5ELb0ES3_mN6thrust23THRUST_200600_302600_NS6detail15normal_iteratorINSA_10device_ptrIfEEEEPS6_NSA_18transform_iteratorINSB_9not_fun_tINSA_8identityIfEEEESF_NSA_11use_defaultESM_EENS0_5tupleIJSF_S6_EEENSO_IJSG_SG_EEES6_PlJS6_EEE10hipError_tPvRmT3_T4_T5_T6_T7_T9_mT8_P12ihipStream_tbDpT10_ENKUlT_T0_E_clISt17integral_constantIbLb1EES1B_EEDaS16_S17_EUlS16_E_NS1_11comp_targetILNS1_3genE8ELNS1_11target_archE1030ELNS1_3gpuE2ELNS1_3repE0EEENS1_30default_config_static_selectorELNS0_4arch9wavefront6targetE0EEEvT1_.has_recursion, 0
	.set _ZN7rocprim17ROCPRIM_400000_NS6detail17trampoline_kernelINS0_14default_configENS1_25partition_config_selectorILNS1_17partition_subalgoE5EfNS0_10empty_typeEbEEZZNS1_14partition_implILS5_5ELb0ES3_mN6thrust23THRUST_200600_302600_NS6detail15normal_iteratorINSA_10device_ptrIfEEEEPS6_NSA_18transform_iteratorINSB_9not_fun_tINSA_8identityIfEEEESF_NSA_11use_defaultESM_EENS0_5tupleIJSF_S6_EEENSO_IJSG_SG_EEES6_PlJS6_EEE10hipError_tPvRmT3_T4_T5_T6_T7_T9_mT8_P12ihipStream_tbDpT10_ENKUlT_T0_E_clISt17integral_constantIbLb1EES1B_EEDaS16_S17_EUlS16_E_NS1_11comp_targetILNS1_3genE8ELNS1_11target_archE1030ELNS1_3gpuE2ELNS1_3repE0EEENS1_30default_config_static_selectorELNS0_4arch9wavefront6targetE0EEEvT1_.has_indirect_call, 0
	.section	.AMDGPU.csdata,"",@progbits
; Kernel info:
; codeLenInByte = 0
; TotalNumSgprs: 0
; NumVgprs: 0
; ScratchSize: 0
; MemoryBound: 0
; FloatMode: 240
; IeeeMode: 1
; LDSByteSize: 0 bytes/workgroup (compile time only)
; SGPRBlocks: 0
; VGPRBlocks: 0
; NumSGPRsForWavesPerEU: 1
; NumVGPRsForWavesPerEU: 1
; Occupancy: 16
; WaveLimiterHint : 0
; COMPUTE_PGM_RSRC2:SCRATCH_EN: 0
; COMPUTE_PGM_RSRC2:USER_SGPR: 2
; COMPUTE_PGM_RSRC2:TRAP_HANDLER: 0
; COMPUTE_PGM_RSRC2:TGID_X_EN: 1
; COMPUTE_PGM_RSRC2:TGID_Y_EN: 0
; COMPUTE_PGM_RSRC2:TGID_Z_EN: 0
; COMPUTE_PGM_RSRC2:TIDIG_COMP_CNT: 0
	.section	.text._ZN7rocprim17ROCPRIM_400000_NS6detail17trampoline_kernelINS0_14default_configENS1_25partition_config_selectorILNS1_17partition_subalgoE5EfNS0_10empty_typeEbEEZZNS1_14partition_implILS5_5ELb0ES3_mN6thrust23THRUST_200600_302600_NS6detail15normal_iteratorINSA_10device_ptrIfEEEEPS6_NSA_18transform_iteratorINSB_9not_fun_tINSA_8identityIfEEEESF_NSA_11use_defaultESM_EENS0_5tupleIJSF_S6_EEENSO_IJSG_SG_EEES6_PlJS6_EEE10hipError_tPvRmT3_T4_T5_T6_T7_T9_mT8_P12ihipStream_tbDpT10_ENKUlT_T0_E_clISt17integral_constantIbLb1EES1A_IbLb0EEEEDaS16_S17_EUlS16_E_NS1_11comp_targetILNS1_3genE0ELNS1_11target_archE4294967295ELNS1_3gpuE0ELNS1_3repE0EEENS1_30default_config_static_selectorELNS0_4arch9wavefront6targetE0EEEvT1_,"axG",@progbits,_ZN7rocprim17ROCPRIM_400000_NS6detail17trampoline_kernelINS0_14default_configENS1_25partition_config_selectorILNS1_17partition_subalgoE5EfNS0_10empty_typeEbEEZZNS1_14partition_implILS5_5ELb0ES3_mN6thrust23THRUST_200600_302600_NS6detail15normal_iteratorINSA_10device_ptrIfEEEEPS6_NSA_18transform_iteratorINSB_9not_fun_tINSA_8identityIfEEEESF_NSA_11use_defaultESM_EENS0_5tupleIJSF_S6_EEENSO_IJSG_SG_EEES6_PlJS6_EEE10hipError_tPvRmT3_T4_T5_T6_T7_T9_mT8_P12ihipStream_tbDpT10_ENKUlT_T0_E_clISt17integral_constantIbLb1EES1A_IbLb0EEEEDaS16_S17_EUlS16_E_NS1_11comp_targetILNS1_3genE0ELNS1_11target_archE4294967295ELNS1_3gpuE0ELNS1_3repE0EEENS1_30default_config_static_selectorELNS0_4arch9wavefront6targetE0EEEvT1_,comdat
	.protected	_ZN7rocprim17ROCPRIM_400000_NS6detail17trampoline_kernelINS0_14default_configENS1_25partition_config_selectorILNS1_17partition_subalgoE5EfNS0_10empty_typeEbEEZZNS1_14partition_implILS5_5ELb0ES3_mN6thrust23THRUST_200600_302600_NS6detail15normal_iteratorINSA_10device_ptrIfEEEEPS6_NSA_18transform_iteratorINSB_9not_fun_tINSA_8identityIfEEEESF_NSA_11use_defaultESM_EENS0_5tupleIJSF_S6_EEENSO_IJSG_SG_EEES6_PlJS6_EEE10hipError_tPvRmT3_T4_T5_T6_T7_T9_mT8_P12ihipStream_tbDpT10_ENKUlT_T0_E_clISt17integral_constantIbLb1EES1A_IbLb0EEEEDaS16_S17_EUlS16_E_NS1_11comp_targetILNS1_3genE0ELNS1_11target_archE4294967295ELNS1_3gpuE0ELNS1_3repE0EEENS1_30default_config_static_selectorELNS0_4arch9wavefront6targetE0EEEvT1_ ; -- Begin function _ZN7rocprim17ROCPRIM_400000_NS6detail17trampoline_kernelINS0_14default_configENS1_25partition_config_selectorILNS1_17partition_subalgoE5EfNS0_10empty_typeEbEEZZNS1_14partition_implILS5_5ELb0ES3_mN6thrust23THRUST_200600_302600_NS6detail15normal_iteratorINSA_10device_ptrIfEEEEPS6_NSA_18transform_iteratorINSB_9not_fun_tINSA_8identityIfEEEESF_NSA_11use_defaultESM_EENS0_5tupleIJSF_S6_EEENSO_IJSG_SG_EEES6_PlJS6_EEE10hipError_tPvRmT3_T4_T5_T6_T7_T9_mT8_P12ihipStream_tbDpT10_ENKUlT_T0_E_clISt17integral_constantIbLb1EES1A_IbLb0EEEEDaS16_S17_EUlS16_E_NS1_11comp_targetILNS1_3genE0ELNS1_11target_archE4294967295ELNS1_3gpuE0ELNS1_3repE0EEENS1_30default_config_static_selectorELNS0_4arch9wavefront6targetE0EEEvT1_
	.globl	_ZN7rocprim17ROCPRIM_400000_NS6detail17trampoline_kernelINS0_14default_configENS1_25partition_config_selectorILNS1_17partition_subalgoE5EfNS0_10empty_typeEbEEZZNS1_14partition_implILS5_5ELb0ES3_mN6thrust23THRUST_200600_302600_NS6detail15normal_iteratorINSA_10device_ptrIfEEEEPS6_NSA_18transform_iteratorINSB_9not_fun_tINSA_8identityIfEEEESF_NSA_11use_defaultESM_EENS0_5tupleIJSF_S6_EEENSO_IJSG_SG_EEES6_PlJS6_EEE10hipError_tPvRmT3_T4_T5_T6_T7_T9_mT8_P12ihipStream_tbDpT10_ENKUlT_T0_E_clISt17integral_constantIbLb1EES1A_IbLb0EEEEDaS16_S17_EUlS16_E_NS1_11comp_targetILNS1_3genE0ELNS1_11target_archE4294967295ELNS1_3gpuE0ELNS1_3repE0EEENS1_30default_config_static_selectorELNS0_4arch9wavefront6targetE0EEEvT1_
	.p2align	8
	.type	_ZN7rocprim17ROCPRIM_400000_NS6detail17trampoline_kernelINS0_14default_configENS1_25partition_config_selectorILNS1_17partition_subalgoE5EfNS0_10empty_typeEbEEZZNS1_14partition_implILS5_5ELb0ES3_mN6thrust23THRUST_200600_302600_NS6detail15normal_iteratorINSA_10device_ptrIfEEEEPS6_NSA_18transform_iteratorINSB_9not_fun_tINSA_8identityIfEEEESF_NSA_11use_defaultESM_EENS0_5tupleIJSF_S6_EEENSO_IJSG_SG_EEES6_PlJS6_EEE10hipError_tPvRmT3_T4_T5_T6_T7_T9_mT8_P12ihipStream_tbDpT10_ENKUlT_T0_E_clISt17integral_constantIbLb1EES1A_IbLb0EEEEDaS16_S17_EUlS16_E_NS1_11comp_targetILNS1_3genE0ELNS1_11target_archE4294967295ELNS1_3gpuE0ELNS1_3repE0EEENS1_30default_config_static_selectorELNS0_4arch9wavefront6targetE0EEEvT1_,@function
_ZN7rocprim17ROCPRIM_400000_NS6detail17trampoline_kernelINS0_14default_configENS1_25partition_config_selectorILNS1_17partition_subalgoE5EfNS0_10empty_typeEbEEZZNS1_14partition_implILS5_5ELb0ES3_mN6thrust23THRUST_200600_302600_NS6detail15normal_iteratorINSA_10device_ptrIfEEEEPS6_NSA_18transform_iteratorINSB_9not_fun_tINSA_8identityIfEEEESF_NSA_11use_defaultESM_EENS0_5tupleIJSF_S6_EEENSO_IJSG_SG_EEES6_PlJS6_EEE10hipError_tPvRmT3_T4_T5_T6_T7_T9_mT8_P12ihipStream_tbDpT10_ENKUlT_T0_E_clISt17integral_constantIbLb1EES1A_IbLb0EEEEDaS16_S17_EUlS16_E_NS1_11comp_targetILNS1_3genE0ELNS1_11target_archE4294967295ELNS1_3gpuE0ELNS1_3repE0EEENS1_30default_config_static_selectorELNS0_4arch9wavefront6targetE0EEEvT1_: ; @_ZN7rocprim17ROCPRIM_400000_NS6detail17trampoline_kernelINS0_14default_configENS1_25partition_config_selectorILNS1_17partition_subalgoE5EfNS0_10empty_typeEbEEZZNS1_14partition_implILS5_5ELb0ES3_mN6thrust23THRUST_200600_302600_NS6detail15normal_iteratorINSA_10device_ptrIfEEEEPS6_NSA_18transform_iteratorINSB_9not_fun_tINSA_8identityIfEEEESF_NSA_11use_defaultESM_EENS0_5tupleIJSF_S6_EEENSO_IJSG_SG_EEES6_PlJS6_EEE10hipError_tPvRmT3_T4_T5_T6_T7_T9_mT8_P12ihipStream_tbDpT10_ENKUlT_T0_E_clISt17integral_constantIbLb1EES1A_IbLb0EEEEDaS16_S17_EUlS16_E_NS1_11comp_targetILNS1_3genE0ELNS1_11target_archE4294967295ELNS1_3gpuE0ELNS1_3repE0EEENS1_30default_config_static_selectorELNS0_4arch9wavefront6targetE0EEEvT1_
; %bb.0:
	.section	.rodata,"a",@progbits
	.p2align	6, 0x0
	.amdhsa_kernel _ZN7rocprim17ROCPRIM_400000_NS6detail17trampoline_kernelINS0_14default_configENS1_25partition_config_selectorILNS1_17partition_subalgoE5EfNS0_10empty_typeEbEEZZNS1_14partition_implILS5_5ELb0ES3_mN6thrust23THRUST_200600_302600_NS6detail15normal_iteratorINSA_10device_ptrIfEEEEPS6_NSA_18transform_iteratorINSB_9not_fun_tINSA_8identityIfEEEESF_NSA_11use_defaultESM_EENS0_5tupleIJSF_S6_EEENSO_IJSG_SG_EEES6_PlJS6_EEE10hipError_tPvRmT3_T4_T5_T6_T7_T9_mT8_P12ihipStream_tbDpT10_ENKUlT_T0_E_clISt17integral_constantIbLb1EES1A_IbLb0EEEEDaS16_S17_EUlS16_E_NS1_11comp_targetILNS1_3genE0ELNS1_11target_archE4294967295ELNS1_3gpuE0ELNS1_3repE0EEENS1_30default_config_static_selectorELNS0_4arch9wavefront6targetE0EEEvT1_
		.amdhsa_group_segment_fixed_size 0
		.amdhsa_private_segment_fixed_size 0
		.amdhsa_kernarg_size 120
		.amdhsa_user_sgpr_count 2
		.amdhsa_user_sgpr_dispatch_ptr 0
		.amdhsa_user_sgpr_queue_ptr 0
		.amdhsa_user_sgpr_kernarg_segment_ptr 1
		.amdhsa_user_sgpr_dispatch_id 0
		.amdhsa_user_sgpr_private_segment_size 0
		.amdhsa_wavefront_size32 1
		.amdhsa_uses_dynamic_stack 0
		.amdhsa_enable_private_segment 0
		.amdhsa_system_sgpr_workgroup_id_x 1
		.amdhsa_system_sgpr_workgroup_id_y 0
		.amdhsa_system_sgpr_workgroup_id_z 0
		.amdhsa_system_sgpr_workgroup_info 0
		.amdhsa_system_vgpr_workitem_id 0
		.amdhsa_next_free_vgpr 1
		.amdhsa_next_free_sgpr 1
		.amdhsa_reserve_vcc 0
		.amdhsa_float_round_mode_32 0
		.amdhsa_float_round_mode_16_64 0
		.amdhsa_float_denorm_mode_32 3
		.amdhsa_float_denorm_mode_16_64 3
		.amdhsa_fp16_overflow 0
		.amdhsa_workgroup_processor_mode 1
		.amdhsa_memory_ordered 1
		.amdhsa_forward_progress 1
		.amdhsa_inst_pref_size 0
		.amdhsa_round_robin_scheduling 0
		.amdhsa_exception_fp_ieee_invalid_op 0
		.amdhsa_exception_fp_denorm_src 0
		.amdhsa_exception_fp_ieee_div_zero 0
		.amdhsa_exception_fp_ieee_overflow 0
		.amdhsa_exception_fp_ieee_underflow 0
		.amdhsa_exception_fp_ieee_inexact 0
		.amdhsa_exception_int_div_zero 0
	.end_amdhsa_kernel
	.section	.text._ZN7rocprim17ROCPRIM_400000_NS6detail17trampoline_kernelINS0_14default_configENS1_25partition_config_selectorILNS1_17partition_subalgoE5EfNS0_10empty_typeEbEEZZNS1_14partition_implILS5_5ELb0ES3_mN6thrust23THRUST_200600_302600_NS6detail15normal_iteratorINSA_10device_ptrIfEEEEPS6_NSA_18transform_iteratorINSB_9not_fun_tINSA_8identityIfEEEESF_NSA_11use_defaultESM_EENS0_5tupleIJSF_S6_EEENSO_IJSG_SG_EEES6_PlJS6_EEE10hipError_tPvRmT3_T4_T5_T6_T7_T9_mT8_P12ihipStream_tbDpT10_ENKUlT_T0_E_clISt17integral_constantIbLb1EES1A_IbLb0EEEEDaS16_S17_EUlS16_E_NS1_11comp_targetILNS1_3genE0ELNS1_11target_archE4294967295ELNS1_3gpuE0ELNS1_3repE0EEENS1_30default_config_static_selectorELNS0_4arch9wavefront6targetE0EEEvT1_,"axG",@progbits,_ZN7rocprim17ROCPRIM_400000_NS6detail17trampoline_kernelINS0_14default_configENS1_25partition_config_selectorILNS1_17partition_subalgoE5EfNS0_10empty_typeEbEEZZNS1_14partition_implILS5_5ELb0ES3_mN6thrust23THRUST_200600_302600_NS6detail15normal_iteratorINSA_10device_ptrIfEEEEPS6_NSA_18transform_iteratorINSB_9not_fun_tINSA_8identityIfEEEESF_NSA_11use_defaultESM_EENS0_5tupleIJSF_S6_EEENSO_IJSG_SG_EEES6_PlJS6_EEE10hipError_tPvRmT3_T4_T5_T6_T7_T9_mT8_P12ihipStream_tbDpT10_ENKUlT_T0_E_clISt17integral_constantIbLb1EES1A_IbLb0EEEEDaS16_S17_EUlS16_E_NS1_11comp_targetILNS1_3genE0ELNS1_11target_archE4294967295ELNS1_3gpuE0ELNS1_3repE0EEENS1_30default_config_static_selectorELNS0_4arch9wavefront6targetE0EEEvT1_,comdat
.Lfunc_end837:
	.size	_ZN7rocprim17ROCPRIM_400000_NS6detail17trampoline_kernelINS0_14default_configENS1_25partition_config_selectorILNS1_17partition_subalgoE5EfNS0_10empty_typeEbEEZZNS1_14partition_implILS5_5ELb0ES3_mN6thrust23THRUST_200600_302600_NS6detail15normal_iteratorINSA_10device_ptrIfEEEEPS6_NSA_18transform_iteratorINSB_9not_fun_tINSA_8identityIfEEEESF_NSA_11use_defaultESM_EENS0_5tupleIJSF_S6_EEENSO_IJSG_SG_EEES6_PlJS6_EEE10hipError_tPvRmT3_T4_T5_T6_T7_T9_mT8_P12ihipStream_tbDpT10_ENKUlT_T0_E_clISt17integral_constantIbLb1EES1A_IbLb0EEEEDaS16_S17_EUlS16_E_NS1_11comp_targetILNS1_3genE0ELNS1_11target_archE4294967295ELNS1_3gpuE0ELNS1_3repE0EEENS1_30default_config_static_selectorELNS0_4arch9wavefront6targetE0EEEvT1_, .Lfunc_end837-_ZN7rocprim17ROCPRIM_400000_NS6detail17trampoline_kernelINS0_14default_configENS1_25partition_config_selectorILNS1_17partition_subalgoE5EfNS0_10empty_typeEbEEZZNS1_14partition_implILS5_5ELb0ES3_mN6thrust23THRUST_200600_302600_NS6detail15normal_iteratorINSA_10device_ptrIfEEEEPS6_NSA_18transform_iteratorINSB_9not_fun_tINSA_8identityIfEEEESF_NSA_11use_defaultESM_EENS0_5tupleIJSF_S6_EEENSO_IJSG_SG_EEES6_PlJS6_EEE10hipError_tPvRmT3_T4_T5_T6_T7_T9_mT8_P12ihipStream_tbDpT10_ENKUlT_T0_E_clISt17integral_constantIbLb1EES1A_IbLb0EEEEDaS16_S17_EUlS16_E_NS1_11comp_targetILNS1_3genE0ELNS1_11target_archE4294967295ELNS1_3gpuE0ELNS1_3repE0EEENS1_30default_config_static_selectorELNS0_4arch9wavefront6targetE0EEEvT1_
                                        ; -- End function
	.set _ZN7rocprim17ROCPRIM_400000_NS6detail17trampoline_kernelINS0_14default_configENS1_25partition_config_selectorILNS1_17partition_subalgoE5EfNS0_10empty_typeEbEEZZNS1_14partition_implILS5_5ELb0ES3_mN6thrust23THRUST_200600_302600_NS6detail15normal_iteratorINSA_10device_ptrIfEEEEPS6_NSA_18transform_iteratorINSB_9not_fun_tINSA_8identityIfEEEESF_NSA_11use_defaultESM_EENS0_5tupleIJSF_S6_EEENSO_IJSG_SG_EEES6_PlJS6_EEE10hipError_tPvRmT3_T4_T5_T6_T7_T9_mT8_P12ihipStream_tbDpT10_ENKUlT_T0_E_clISt17integral_constantIbLb1EES1A_IbLb0EEEEDaS16_S17_EUlS16_E_NS1_11comp_targetILNS1_3genE0ELNS1_11target_archE4294967295ELNS1_3gpuE0ELNS1_3repE0EEENS1_30default_config_static_selectorELNS0_4arch9wavefront6targetE0EEEvT1_.num_vgpr, 0
	.set _ZN7rocprim17ROCPRIM_400000_NS6detail17trampoline_kernelINS0_14default_configENS1_25partition_config_selectorILNS1_17partition_subalgoE5EfNS0_10empty_typeEbEEZZNS1_14partition_implILS5_5ELb0ES3_mN6thrust23THRUST_200600_302600_NS6detail15normal_iteratorINSA_10device_ptrIfEEEEPS6_NSA_18transform_iteratorINSB_9not_fun_tINSA_8identityIfEEEESF_NSA_11use_defaultESM_EENS0_5tupleIJSF_S6_EEENSO_IJSG_SG_EEES6_PlJS6_EEE10hipError_tPvRmT3_T4_T5_T6_T7_T9_mT8_P12ihipStream_tbDpT10_ENKUlT_T0_E_clISt17integral_constantIbLb1EES1A_IbLb0EEEEDaS16_S17_EUlS16_E_NS1_11comp_targetILNS1_3genE0ELNS1_11target_archE4294967295ELNS1_3gpuE0ELNS1_3repE0EEENS1_30default_config_static_selectorELNS0_4arch9wavefront6targetE0EEEvT1_.num_agpr, 0
	.set _ZN7rocprim17ROCPRIM_400000_NS6detail17trampoline_kernelINS0_14default_configENS1_25partition_config_selectorILNS1_17partition_subalgoE5EfNS0_10empty_typeEbEEZZNS1_14partition_implILS5_5ELb0ES3_mN6thrust23THRUST_200600_302600_NS6detail15normal_iteratorINSA_10device_ptrIfEEEEPS6_NSA_18transform_iteratorINSB_9not_fun_tINSA_8identityIfEEEESF_NSA_11use_defaultESM_EENS0_5tupleIJSF_S6_EEENSO_IJSG_SG_EEES6_PlJS6_EEE10hipError_tPvRmT3_T4_T5_T6_T7_T9_mT8_P12ihipStream_tbDpT10_ENKUlT_T0_E_clISt17integral_constantIbLb1EES1A_IbLb0EEEEDaS16_S17_EUlS16_E_NS1_11comp_targetILNS1_3genE0ELNS1_11target_archE4294967295ELNS1_3gpuE0ELNS1_3repE0EEENS1_30default_config_static_selectorELNS0_4arch9wavefront6targetE0EEEvT1_.numbered_sgpr, 0
	.set _ZN7rocprim17ROCPRIM_400000_NS6detail17trampoline_kernelINS0_14default_configENS1_25partition_config_selectorILNS1_17partition_subalgoE5EfNS0_10empty_typeEbEEZZNS1_14partition_implILS5_5ELb0ES3_mN6thrust23THRUST_200600_302600_NS6detail15normal_iteratorINSA_10device_ptrIfEEEEPS6_NSA_18transform_iteratorINSB_9not_fun_tINSA_8identityIfEEEESF_NSA_11use_defaultESM_EENS0_5tupleIJSF_S6_EEENSO_IJSG_SG_EEES6_PlJS6_EEE10hipError_tPvRmT3_T4_T5_T6_T7_T9_mT8_P12ihipStream_tbDpT10_ENKUlT_T0_E_clISt17integral_constantIbLb1EES1A_IbLb0EEEEDaS16_S17_EUlS16_E_NS1_11comp_targetILNS1_3genE0ELNS1_11target_archE4294967295ELNS1_3gpuE0ELNS1_3repE0EEENS1_30default_config_static_selectorELNS0_4arch9wavefront6targetE0EEEvT1_.num_named_barrier, 0
	.set _ZN7rocprim17ROCPRIM_400000_NS6detail17trampoline_kernelINS0_14default_configENS1_25partition_config_selectorILNS1_17partition_subalgoE5EfNS0_10empty_typeEbEEZZNS1_14partition_implILS5_5ELb0ES3_mN6thrust23THRUST_200600_302600_NS6detail15normal_iteratorINSA_10device_ptrIfEEEEPS6_NSA_18transform_iteratorINSB_9not_fun_tINSA_8identityIfEEEESF_NSA_11use_defaultESM_EENS0_5tupleIJSF_S6_EEENSO_IJSG_SG_EEES6_PlJS6_EEE10hipError_tPvRmT3_T4_T5_T6_T7_T9_mT8_P12ihipStream_tbDpT10_ENKUlT_T0_E_clISt17integral_constantIbLb1EES1A_IbLb0EEEEDaS16_S17_EUlS16_E_NS1_11comp_targetILNS1_3genE0ELNS1_11target_archE4294967295ELNS1_3gpuE0ELNS1_3repE0EEENS1_30default_config_static_selectorELNS0_4arch9wavefront6targetE0EEEvT1_.private_seg_size, 0
	.set _ZN7rocprim17ROCPRIM_400000_NS6detail17trampoline_kernelINS0_14default_configENS1_25partition_config_selectorILNS1_17partition_subalgoE5EfNS0_10empty_typeEbEEZZNS1_14partition_implILS5_5ELb0ES3_mN6thrust23THRUST_200600_302600_NS6detail15normal_iteratorINSA_10device_ptrIfEEEEPS6_NSA_18transform_iteratorINSB_9not_fun_tINSA_8identityIfEEEESF_NSA_11use_defaultESM_EENS0_5tupleIJSF_S6_EEENSO_IJSG_SG_EEES6_PlJS6_EEE10hipError_tPvRmT3_T4_T5_T6_T7_T9_mT8_P12ihipStream_tbDpT10_ENKUlT_T0_E_clISt17integral_constantIbLb1EES1A_IbLb0EEEEDaS16_S17_EUlS16_E_NS1_11comp_targetILNS1_3genE0ELNS1_11target_archE4294967295ELNS1_3gpuE0ELNS1_3repE0EEENS1_30default_config_static_selectorELNS0_4arch9wavefront6targetE0EEEvT1_.uses_vcc, 0
	.set _ZN7rocprim17ROCPRIM_400000_NS6detail17trampoline_kernelINS0_14default_configENS1_25partition_config_selectorILNS1_17partition_subalgoE5EfNS0_10empty_typeEbEEZZNS1_14partition_implILS5_5ELb0ES3_mN6thrust23THRUST_200600_302600_NS6detail15normal_iteratorINSA_10device_ptrIfEEEEPS6_NSA_18transform_iteratorINSB_9not_fun_tINSA_8identityIfEEEESF_NSA_11use_defaultESM_EENS0_5tupleIJSF_S6_EEENSO_IJSG_SG_EEES6_PlJS6_EEE10hipError_tPvRmT3_T4_T5_T6_T7_T9_mT8_P12ihipStream_tbDpT10_ENKUlT_T0_E_clISt17integral_constantIbLb1EES1A_IbLb0EEEEDaS16_S17_EUlS16_E_NS1_11comp_targetILNS1_3genE0ELNS1_11target_archE4294967295ELNS1_3gpuE0ELNS1_3repE0EEENS1_30default_config_static_selectorELNS0_4arch9wavefront6targetE0EEEvT1_.uses_flat_scratch, 0
	.set _ZN7rocprim17ROCPRIM_400000_NS6detail17trampoline_kernelINS0_14default_configENS1_25partition_config_selectorILNS1_17partition_subalgoE5EfNS0_10empty_typeEbEEZZNS1_14partition_implILS5_5ELb0ES3_mN6thrust23THRUST_200600_302600_NS6detail15normal_iteratorINSA_10device_ptrIfEEEEPS6_NSA_18transform_iteratorINSB_9not_fun_tINSA_8identityIfEEEESF_NSA_11use_defaultESM_EENS0_5tupleIJSF_S6_EEENSO_IJSG_SG_EEES6_PlJS6_EEE10hipError_tPvRmT3_T4_T5_T6_T7_T9_mT8_P12ihipStream_tbDpT10_ENKUlT_T0_E_clISt17integral_constantIbLb1EES1A_IbLb0EEEEDaS16_S17_EUlS16_E_NS1_11comp_targetILNS1_3genE0ELNS1_11target_archE4294967295ELNS1_3gpuE0ELNS1_3repE0EEENS1_30default_config_static_selectorELNS0_4arch9wavefront6targetE0EEEvT1_.has_dyn_sized_stack, 0
	.set _ZN7rocprim17ROCPRIM_400000_NS6detail17trampoline_kernelINS0_14default_configENS1_25partition_config_selectorILNS1_17partition_subalgoE5EfNS0_10empty_typeEbEEZZNS1_14partition_implILS5_5ELb0ES3_mN6thrust23THRUST_200600_302600_NS6detail15normal_iteratorINSA_10device_ptrIfEEEEPS6_NSA_18transform_iteratorINSB_9not_fun_tINSA_8identityIfEEEESF_NSA_11use_defaultESM_EENS0_5tupleIJSF_S6_EEENSO_IJSG_SG_EEES6_PlJS6_EEE10hipError_tPvRmT3_T4_T5_T6_T7_T9_mT8_P12ihipStream_tbDpT10_ENKUlT_T0_E_clISt17integral_constantIbLb1EES1A_IbLb0EEEEDaS16_S17_EUlS16_E_NS1_11comp_targetILNS1_3genE0ELNS1_11target_archE4294967295ELNS1_3gpuE0ELNS1_3repE0EEENS1_30default_config_static_selectorELNS0_4arch9wavefront6targetE0EEEvT1_.has_recursion, 0
	.set _ZN7rocprim17ROCPRIM_400000_NS6detail17trampoline_kernelINS0_14default_configENS1_25partition_config_selectorILNS1_17partition_subalgoE5EfNS0_10empty_typeEbEEZZNS1_14partition_implILS5_5ELb0ES3_mN6thrust23THRUST_200600_302600_NS6detail15normal_iteratorINSA_10device_ptrIfEEEEPS6_NSA_18transform_iteratorINSB_9not_fun_tINSA_8identityIfEEEESF_NSA_11use_defaultESM_EENS0_5tupleIJSF_S6_EEENSO_IJSG_SG_EEES6_PlJS6_EEE10hipError_tPvRmT3_T4_T5_T6_T7_T9_mT8_P12ihipStream_tbDpT10_ENKUlT_T0_E_clISt17integral_constantIbLb1EES1A_IbLb0EEEEDaS16_S17_EUlS16_E_NS1_11comp_targetILNS1_3genE0ELNS1_11target_archE4294967295ELNS1_3gpuE0ELNS1_3repE0EEENS1_30default_config_static_selectorELNS0_4arch9wavefront6targetE0EEEvT1_.has_indirect_call, 0
	.section	.AMDGPU.csdata,"",@progbits
; Kernel info:
; codeLenInByte = 0
; TotalNumSgprs: 0
; NumVgprs: 0
; ScratchSize: 0
; MemoryBound: 0
; FloatMode: 240
; IeeeMode: 1
; LDSByteSize: 0 bytes/workgroup (compile time only)
; SGPRBlocks: 0
; VGPRBlocks: 0
; NumSGPRsForWavesPerEU: 1
; NumVGPRsForWavesPerEU: 1
; Occupancy: 16
; WaveLimiterHint : 0
; COMPUTE_PGM_RSRC2:SCRATCH_EN: 0
; COMPUTE_PGM_RSRC2:USER_SGPR: 2
; COMPUTE_PGM_RSRC2:TRAP_HANDLER: 0
; COMPUTE_PGM_RSRC2:TGID_X_EN: 1
; COMPUTE_PGM_RSRC2:TGID_Y_EN: 0
; COMPUTE_PGM_RSRC2:TGID_Z_EN: 0
; COMPUTE_PGM_RSRC2:TIDIG_COMP_CNT: 0
	.section	.text._ZN7rocprim17ROCPRIM_400000_NS6detail17trampoline_kernelINS0_14default_configENS1_25partition_config_selectorILNS1_17partition_subalgoE5EfNS0_10empty_typeEbEEZZNS1_14partition_implILS5_5ELb0ES3_mN6thrust23THRUST_200600_302600_NS6detail15normal_iteratorINSA_10device_ptrIfEEEEPS6_NSA_18transform_iteratorINSB_9not_fun_tINSA_8identityIfEEEESF_NSA_11use_defaultESM_EENS0_5tupleIJSF_S6_EEENSO_IJSG_SG_EEES6_PlJS6_EEE10hipError_tPvRmT3_T4_T5_T6_T7_T9_mT8_P12ihipStream_tbDpT10_ENKUlT_T0_E_clISt17integral_constantIbLb1EES1A_IbLb0EEEEDaS16_S17_EUlS16_E_NS1_11comp_targetILNS1_3genE5ELNS1_11target_archE942ELNS1_3gpuE9ELNS1_3repE0EEENS1_30default_config_static_selectorELNS0_4arch9wavefront6targetE0EEEvT1_,"axG",@progbits,_ZN7rocprim17ROCPRIM_400000_NS6detail17trampoline_kernelINS0_14default_configENS1_25partition_config_selectorILNS1_17partition_subalgoE5EfNS0_10empty_typeEbEEZZNS1_14partition_implILS5_5ELb0ES3_mN6thrust23THRUST_200600_302600_NS6detail15normal_iteratorINSA_10device_ptrIfEEEEPS6_NSA_18transform_iteratorINSB_9not_fun_tINSA_8identityIfEEEESF_NSA_11use_defaultESM_EENS0_5tupleIJSF_S6_EEENSO_IJSG_SG_EEES6_PlJS6_EEE10hipError_tPvRmT3_T4_T5_T6_T7_T9_mT8_P12ihipStream_tbDpT10_ENKUlT_T0_E_clISt17integral_constantIbLb1EES1A_IbLb0EEEEDaS16_S17_EUlS16_E_NS1_11comp_targetILNS1_3genE5ELNS1_11target_archE942ELNS1_3gpuE9ELNS1_3repE0EEENS1_30default_config_static_selectorELNS0_4arch9wavefront6targetE0EEEvT1_,comdat
	.protected	_ZN7rocprim17ROCPRIM_400000_NS6detail17trampoline_kernelINS0_14default_configENS1_25partition_config_selectorILNS1_17partition_subalgoE5EfNS0_10empty_typeEbEEZZNS1_14partition_implILS5_5ELb0ES3_mN6thrust23THRUST_200600_302600_NS6detail15normal_iteratorINSA_10device_ptrIfEEEEPS6_NSA_18transform_iteratorINSB_9not_fun_tINSA_8identityIfEEEESF_NSA_11use_defaultESM_EENS0_5tupleIJSF_S6_EEENSO_IJSG_SG_EEES6_PlJS6_EEE10hipError_tPvRmT3_T4_T5_T6_T7_T9_mT8_P12ihipStream_tbDpT10_ENKUlT_T0_E_clISt17integral_constantIbLb1EES1A_IbLb0EEEEDaS16_S17_EUlS16_E_NS1_11comp_targetILNS1_3genE5ELNS1_11target_archE942ELNS1_3gpuE9ELNS1_3repE0EEENS1_30default_config_static_selectorELNS0_4arch9wavefront6targetE0EEEvT1_ ; -- Begin function _ZN7rocprim17ROCPRIM_400000_NS6detail17trampoline_kernelINS0_14default_configENS1_25partition_config_selectorILNS1_17partition_subalgoE5EfNS0_10empty_typeEbEEZZNS1_14partition_implILS5_5ELb0ES3_mN6thrust23THRUST_200600_302600_NS6detail15normal_iteratorINSA_10device_ptrIfEEEEPS6_NSA_18transform_iteratorINSB_9not_fun_tINSA_8identityIfEEEESF_NSA_11use_defaultESM_EENS0_5tupleIJSF_S6_EEENSO_IJSG_SG_EEES6_PlJS6_EEE10hipError_tPvRmT3_T4_T5_T6_T7_T9_mT8_P12ihipStream_tbDpT10_ENKUlT_T0_E_clISt17integral_constantIbLb1EES1A_IbLb0EEEEDaS16_S17_EUlS16_E_NS1_11comp_targetILNS1_3genE5ELNS1_11target_archE942ELNS1_3gpuE9ELNS1_3repE0EEENS1_30default_config_static_selectorELNS0_4arch9wavefront6targetE0EEEvT1_
	.globl	_ZN7rocprim17ROCPRIM_400000_NS6detail17trampoline_kernelINS0_14default_configENS1_25partition_config_selectorILNS1_17partition_subalgoE5EfNS0_10empty_typeEbEEZZNS1_14partition_implILS5_5ELb0ES3_mN6thrust23THRUST_200600_302600_NS6detail15normal_iteratorINSA_10device_ptrIfEEEEPS6_NSA_18transform_iteratorINSB_9not_fun_tINSA_8identityIfEEEESF_NSA_11use_defaultESM_EENS0_5tupleIJSF_S6_EEENSO_IJSG_SG_EEES6_PlJS6_EEE10hipError_tPvRmT3_T4_T5_T6_T7_T9_mT8_P12ihipStream_tbDpT10_ENKUlT_T0_E_clISt17integral_constantIbLb1EES1A_IbLb0EEEEDaS16_S17_EUlS16_E_NS1_11comp_targetILNS1_3genE5ELNS1_11target_archE942ELNS1_3gpuE9ELNS1_3repE0EEENS1_30default_config_static_selectorELNS0_4arch9wavefront6targetE0EEEvT1_
	.p2align	8
	.type	_ZN7rocprim17ROCPRIM_400000_NS6detail17trampoline_kernelINS0_14default_configENS1_25partition_config_selectorILNS1_17partition_subalgoE5EfNS0_10empty_typeEbEEZZNS1_14partition_implILS5_5ELb0ES3_mN6thrust23THRUST_200600_302600_NS6detail15normal_iteratorINSA_10device_ptrIfEEEEPS6_NSA_18transform_iteratorINSB_9not_fun_tINSA_8identityIfEEEESF_NSA_11use_defaultESM_EENS0_5tupleIJSF_S6_EEENSO_IJSG_SG_EEES6_PlJS6_EEE10hipError_tPvRmT3_T4_T5_T6_T7_T9_mT8_P12ihipStream_tbDpT10_ENKUlT_T0_E_clISt17integral_constantIbLb1EES1A_IbLb0EEEEDaS16_S17_EUlS16_E_NS1_11comp_targetILNS1_3genE5ELNS1_11target_archE942ELNS1_3gpuE9ELNS1_3repE0EEENS1_30default_config_static_selectorELNS0_4arch9wavefront6targetE0EEEvT1_,@function
_ZN7rocprim17ROCPRIM_400000_NS6detail17trampoline_kernelINS0_14default_configENS1_25partition_config_selectorILNS1_17partition_subalgoE5EfNS0_10empty_typeEbEEZZNS1_14partition_implILS5_5ELb0ES3_mN6thrust23THRUST_200600_302600_NS6detail15normal_iteratorINSA_10device_ptrIfEEEEPS6_NSA_18transform_iteratorINSB_9not_fun_tINSA_8identityIfEEEESF_NSA_11use_defaultESM_EENS0_5tupleIJSF_S6_EEENSO_IJSG_SG_EEES6_PlJS6_EEE10hipError_tPvRmT3_T4_T5_T6_T7_T9_mT8_P12ihipStream_tbDpT10_ENKUlT_T0_E_clISt17integral_constantIbLb1EES1A_IbLb0EEEEDaS16_S17_EUlS16_E_NS1_11comp_targetILNS1_3genE5ELNS1_11target_archE942ELNS1_3gpuE9ELNS1_3repE0EEENS1_30default_config_static_selectorELNS0_4arch9wavefront6targetE0EEEvT1_: ; @_ZN7rocprim17ROCPRIM_400000_NS6detail17trampoline_kernelINS0_14default_configENS1_25partition_config_selectorILNS1_17partition_subalgoE5EfNS0_10empty_typeEbEEZZNS1_14partition_implILS5_5ELb0ES3_mN6thrust23THRUST_200600_302600_NS6detail15normal_iteratorINSA_10device_ptrIfEEEEPS6_NSA_18transform_iteratorINSB_9not_fun_tINSA_8identityIfEEEESF_NSA_11use_defaultESM_EENS0_5tupleIJSF_S6_EEENSO_IJSG_SG_EEES6_PlJS6_EEE10hipError_tPvRmT3_T4_T5_T6_T7_T9_mT8_P12ihipStream_tbDpT10_ENKUlT_T0_E_clISt17integral_constantIbLb1EES1A_IbLb0EEEEDaS16_S17_EUlS16_E_NS1_11comp_targetILNS1_3genE5ELNS1_11target_archE942ELNS1_3gpuE9ELNS1_3repE0EEENS1_30default_config_static_selectorELNS0_4arch9wavefront6targetE0EEEvT1_
; %bb.0:
	.section	.rodata,"a",@progbits
	.p2align	6, 0x0
	.amdhsa_kernel _ZN7rocprim17ROCPRIM_400000_NS6detail17trampoline_kernelINS0_14default_configENS1_25partition_config_selectorILNS1_17partition_subalgoE5EfNS0_10empty_typeEbEEZZNS1_14partition_implILS5_5ELb0ES3_mN6thrust23THRUST_200600_302600_NS6detail15normal_iteratorINSA_10device_ptrIfEEEEPS6_NSA_18transform_iteratorINSB_9not_fun_tINSA_8identityIfEEEESF_NSA_11use_defaultESM_EENS0_5tupleIJSF_S6_EEENSO_IJSG_SG_EEES6_PlJS6_EEE10hipError_tPvRmT3_T4_T5_T6_T7_T9_mT8_P12ihipStream_tbDpT10_ENKUlT_T0_E_clISt17integral_constantIbLb1EES1A_IbLb0EEEEDaS16_S17_EUlS16_E_NS1_11comp_targetILNS1_3genE5ELNS1_11target_archE942ELNS1_3gpuE9ELNS1_3repE0EEENS1_30default_config_static_selectorELNS0_4arch9wavefront6targetE0EEEvT1_
		.amdhsa_group_segment_fixed_size 0
		.amdhsa_private_segment_fixed_size 0
		.amdhsa_kernarg_size 120
		.amdhsa_user_sgpr_count 2
		.amdhsa_user_sgpr_dispatch_ptr 0
		.amdhsa_user_sgpr_queue_ptr 0
		.amdhsa_user_sgpr_kernarg_segment_ptr 1
		.amdhsa_user_sgpr_dispatch_id 0
		.amdhsa_user_sgpr_private_segment_size 0
		.amdhsa_wavefront_size32 1
		.amdhsa_uses_dynamic_stack 0
		.amdhsa_enable_private_segment 0
		.amdhsa_system_sgpr_workgroup_id_x 1
		.amdhsa_system_sgpr_workgroup_id_y 0
		.amdhsa_system_sgpr_workgroup_id_z 0
		.amdhsa_system_sgpr_workgroup_info 0
		.amdhsa_system_vgpr_workitem_id 0
		.amdhsa_next_free_vgpr 1
		.amdhsa_next_free_sgpr 1
		.amdhsa_reserve_vcc 0
		.amdhsa_float_round_mode_32 0
		.amdhsa_float_round_mode_16_64 0
		.amdhsa_float_denorm_mode_32 3
		.amdhsa_float_denorm_mode_16_64 3
		.amdhsa_fp16_overflow 0
		.amdhsa_workgroup_processor_mode 1
		.amdhsa_memory_ordered 1
		.amdhsa_forward_progress 1
		.amdhsa_inst_pref_size 0
		.amdhsa_round_robin_scheduling 0
		.amdhsa_exception_fp_ieee_invalid_op 0
		.amdhsa_exception_fp_denorm_src 0
		.amdhsa_exception_fp_ieee_div_zero 0
		.amdhsa_exception_fp_ieee_overflow 0
		.amdhsa_exception_fp_ieee_underflow 0
		.amdhsa_exception_fp_ieee_inexact 0
		.amdhsa_exception_int_div_zero 0
	.end_amdhsa_kernel
	.section	.text._ZN7rocprim17ROCPRIM_400000_NS6detail17trampoline_kernelINS0_14default_configENS1_25partition_config_selectorILNS1_17partition_subalgoE5EfNS0_10empty_typeEbEEZZNS1_14partition_implILS5_5ELb0ES3_mN6thrust23THRUST_200600_302600_NS6detail15normal_iteratorINSA_10device_ptrIfEEEEPS6_NSA_18transform_iteratorINSB_9not_fun_tINSA_8identityIfEEEESF_NSA_11use_defaultESM_EENS0_5tupleIJSF_S6_EEENSO_IJSG_SG_EEES6_PlJS6_EEE10hipError_tPvRmT3_T4_T5_T6_T7_T9_mT8_P12ihipStream_tbDpT10_ENKUlT_T0_E_clISt17integral_constantIbLb1EES1A_IbLb0EEEEDaS16_S17_EUlS16_E_NS1_11comp_targetILNS1_3genE5ELNS1_11target_archE942ELNS1_3gpuE9ELNS1_3repE0EEENS1_30default_config_static_selectorELNS0_4arch9wavefront6targetE0EEEvT1_,"axG",@progbits,_ZN7rocprim17ROCPRIM_400000_NS6detail17trampoline_kernelINS0_14default_configENS1_25partition_config_selectorILNS1_17partition_subalgoE5EfNS0_10empty_typeEbEEZZNS1_14partition_implILS5_5ELb0ES3_mN6thrust23THRUST_200600_302600_NS6detail15normal_iteratorINSA_10device_ptrIfEEEEPS6_NSA_18transform_iteratorINSB_9not_fun_tINSA_8identityIfEEEESF_NSA_11use_defaultESM_EENS0_5tupleIJSF_S6_EEENSO_IJSG_SG_EEES6_PlJS6_EEE10hipError_tPvRmT3_T4_T5_T6_T7_T9_mT8_P12ihipStream_tbDpT10_ENKUlT_T0_E_clISt17integral_constantIbLb1EES1A_IbLb0EEEEDaS16_S17_EUlS16_E_NS1_11comp_targetILNS1_3genE5ELNS1_11target_archE942ELNS1_3gpuE9ELNS1_3repE0EEENS1_30default_config_static_selectorELNS0_4arch9wavefront6targetE0EEEvT1_,comdat
.Lfunc_end838:
	.size	_ZN7rocprim17ROCPRIM_400000_NS6detail17trampoline_kernelINS0_14default_configENS1_25partition_config_selectorILNS1_17partition_subalgoE5EfNS0_10empty_typeEbEEZZNS1_14partition_implILS5_5ELb0ES3_mN6thrust23THRUST_200600_302600_NS6detail15normal_iteratorINSA_10device_ptrIfEEEEPS6_NSA_18transform_iteratorINSB_9not_fun_tINSA_8identityIfEEEESF_NSA_11use_defaultESM_EENS0_5tupleIJSF_S6_EEENSO_IJSG_SG_EEES6_PlJS6_EEE10hipError_tPvRmT3_T4_T5_T6_T7_T9_mT8_P12ihipStream_tbDpT10_ENKUlT_T0_E_clISt17integral_constantIbLb1EES1A_IbLb0EEEEDaS16_S17_EUlS16_E_NS1_11comp_targetILNS1_3genE5ELNS1_11target_archE942ELNS1_3gpuE9ELNS1_3repE0EEENS1_30default_config_static_selectorELNS0_4arch9wavefront6targetE0EEEvT1_, .Lfunc_end838-_ZN7rocprim17ROCPRIM_400000_NS6detail17trampoline_kernelINS0_14default_configENS1_25partition_config_selectorILNS1_17partition_subalgoE5EfNS0_10empty_typeEbEEZZNS1_14partition_implILS5_5ELb0ES3_mN6thrust23THRUST_200600_302600_NS6detail15normal_iteratorINSA_10device_ptrIfEEEEPS6_NSA_18transform_iteratorINSB_9not_fun_tINSA_8identityIfEEEESF_NSA_11use_defaultESM_EENS0_5tupleIJSF_S6_EEENSO_IJSG_SG_EEES6_PlJS6_EEE10hipError_tPvRmT3_T4_T5_T6_T7_T9_mT8_P12ihipStream_tbDpT10_ENKUlT_T0_E_clISt17integral_constantIbLb1EES1A_IbLb0EEEEDaS16_S17_EUlS16_E_NS1_11comp_targetILNS1_3genE5ELNS1_11target_archE942ELNS1_3gpuE9ELNS1_3repE0EEENS1_30default_config_static_selectorELNS0_4arch9wavefront6targetE0EEEvT1_
                                        ; -- End function
	.set _ZN7rocprim17ROCPRIM_400000_NS6detail17trampoline_kernelINS0_14default_configENS1_25partition_config_selectorILNS1_17partition_subalgoE5EfNS0_10empty_typeEbEEZZNS1_14partition_implILS5_5ELb0ES3_mN6thrust23THRUST_200600_302600_NS6detail15normal_iteratorINSA_10device_ptrIfEEEEPS6_NSA_18transform_iteratorINSB_9not_fun_tINSA_8identityIfEEEESF_NSA_11use_defaultESM_EENS0_5tupleIJSF_S6_EEENSO_IJSG_SG_EEES6_PlJS6_EEE10hipError_tPvRmT3_T4_T5_T6_T7_T9_mT8_P12ihipStream_tbDpT10_ENKUlT_T0_E_clISt17integral_constantIbLb1EES1A_IbLb0EEEEDaS16_S17_EUlS16_E_NS1_11comp_targetILNS1_3genE5ELNS1_11target_archE942ELNS1_3gpuE9ELNS1_3repE0EEENS1_30default_config_static_selectorELNS0_4arch9wavefront6targetE0EEEvT1_.num_vgpr, 0
	.set _ZN7rocprim17ROCPRIM_400000_NS6detail17trampoline_kernelINS0_14default_configENS1_25partition_config_selectorILNS1_17partition_subalgoE5EfNS0_10empty_typeEbEEZZNS1_14partition_implILS5_5ELb0ES3_mN6thrust23THRUST_200600_302600_NS6detail15normal_iteratorINSA_10device_ptrIfEEEEPS6_NSA_18transform_iteratorINSB_9not_fun_tINSA_8identityIfEEEESF_NSA_11use_defaultESM_EENS0_5tupleIJSF_S6_EEENSO_IJSG_SG_EEES6_PlJS6_EEE10hipError_tPvRmT3_T4_T5_T6_T7_T9_mT8_P12ihipStream_tbDpT10_ENKUlT_T0_E_clISt17integral_constantIbLb1EES1A_IbLb0EEEEDaS16_S17_EUlS16_E_NS1_11comp_targetILNS1_3genE5ELNS1_11target_archE942ELNS1_3gpuE9ELNS1_3repE0EEENS1_30default_config_static_selectorELNS0_4arch9wavefront6targetE0EEEvT1_.num_agpr, 0
	.set _ZN7rocprim17ROCPRIM_400000_NS6detail17trampoline_kernelINS0_14default_configENS1_25partition_config_selectorILNS1_17partition_subalgoE5EfNS0_10empty_typeEbEEZZNS1_14partition_implILS5_5ELb0ES3_mN6thrust23THRUST_200600_302600_NS6detail15normal_iteratorINSA_10device_ptrIfEEEEPS6_NSA_18transform_iteratorINSB_9not_fun_tINSA_8identityIfEEEESF_NSA_11use_defaultESM_EENS0_5tupleIJSF_S6_EEENSO_IJSG_SG_EEES6_PlJS6_EEE10hipError_tPvRmT3_T4_T5_T6_T7_T9_mT8_P12ihipStream_tbDpT10_ENKUlT_T0_E_clISt17integral_constantIbLb1EES1A_IbLb0EEEEDaS16_S17_EUlS16_E_NS1_11comp_targetILNS1_3genE5ELNS1_11target_archE942ELNS1_3gpuE9ELNS1_3repE0EEENS1_30default_config_static_selectorELNS0_4arch9wavefront6targetE0EEEvT1_.numbered_sgpr, 0
	.set _ZN7rocprim17ROCPRIM_400000_NS6detail17trampoline_kernelINS0_14default_configENS1_25partition_config_selectorILNS1_17partition_subalgoE5EfNS0_10empty_typeEbEEZZNS1_14partition_implILS5_5ELb0ES3_mN6thrust23THRUST_200600_302600_NS6detail15normal_iteratorINSA_10device_ptrIfEEEEPS6_NSA_18transform_iteratorINSB_9not_fun_tINSA_8identityIfEEEESF_NSA_11use_defaultESM_EENS0_5tupleIJSF_S6_EEENSO_IJSG_SG_EEES6_PlJS6_EEE10hipError_tPvRmT3_T4_T5_T6_T7_T9_mT8_P12ihipStream_tbDpT10_ENKUlT_T0_E_clISt17integral_constantIbLb1EES1A_IbLb0EEEEDaS16_S17_EUlS16_E_NS1_11comp_targetILNS1_3genE5ELNS1_11target_archE942ELNS1_3gpuE9ELNS1_3repE0EEENS1_30default_config_static_selectorELNS0_4arch9wavefront6targetE0EEEvT1_.num_named_barrier, 0
	.set _ZN7rocprim17ROCPRIM_400000_NS6detail17trampoline_kernelINS0_14default_configENS1_25partition_config_selectorILNS1_17partition_subalgoE5EfNS0_10empty_typeEbEEZZNS1_14partition_implILS5_5ELb0ES3_mN6thrust23THRUST_200600_302600_NS6detail15normal_iteratorINSA_10device_ptrIfEEEEPS6_NSA_18transform_iteratorINSB_9not_fun_tINSA_8identityIfEEEESF_NSA_11use_defaultESM_EENS0_5tupleIJSF_S6_EEENSO_IJSG_SG_EEES6_PlJS6_EEE10hipError_tPvRmT3_T4_T5_T6_T7_T9_mT8_P12ihipStream_tbDpT10_ENKUlT_T0_E_clISt17integral_constantIbLb1EES1A_IbLb0EEEEDaS16_S17_EUlS16_E_NS1_11comp_targetILNS1_3genE5ELNS1_11target_archE942ELNS1_3gpuE9ELNS1_3repE0EEENS1_30default_config_static_selectorELNS0_4arch9wavefront6targetE0EEEvT1_.private_seg_size, 0
	.set _ZN7rocprim17ROCPRIM_400000_NS6detail17trampoline_kernelINS0_14default_configENS1_25partition_config_selectorILNS1_17partition_subalgoE5EfNS0_10empty_typeEbEEZZNS1_14partition_implILS5_5ELb0ES3_mN6thrust23THRUST_200600_302600_NS6detail15normal_iteratorINSA_10device_ptrIfEEEEPS6_NSA_18transform_iteratorINSB_9not_fun_tINSA_8identityIfEEEESF_NSA_11use_defaultESM_EENS0_5tupleIJSF_S6_EEENSO_IJSG_SG_EEES6_PlJS6_EEE10hipError_tPvRmT3_T4_T5_T6_T7_T9_mT8_P12ihipStream_tbDpT10_ENKUlT_T0_E_clISt17integral_constantIbLb1EES1A_IbLb0EEEEDaS16_S17_EUlS16_E_NS1_11comp_targetILNS1_3genE5ELNS1_11target_archE942ELNS1_3gpuE9ELNS1_3repE0EEENS1_30default_config_static_selectorELNS0_4arch9wavefront6targetE0EEEvT1_.uses_vcc, 0
	.set _ZN7rocprim17ROCPRIM_400000_NS6detail17trampoline_kernelINS0_14default_configENS1_25partition_config_selectorILNS1_17partition_subalgoE5EfNS0_10empty_typeEbEEZZNS1_14partition_implILS5_5ELb0ES3_mN6thrust23THRUST_200600_302600_NS6detail15normal_iteratorINSA_10device_ptrIfEEEEPS6_NSA_18transform_iteratorINSB_9not_fun_tINSA_8identityIfEEEESF_NSA_11use_defaultESM_EENS0_5tupleIJSF_S6_EEENSO_IJSG_SG_EEES6_PlJS6_EEE10hipError_tPvRmT3_T4_T5_T6_T7_T9_mT8_P12ihipStream_tbDpT10_ENKUlT_T0_E_clISt17integral_constantIbLb1EES1A_IbLb0EEEEDaS16_S17_EUlS16_E_NS1_11comp_targetILNS1_3genE5ELNS1_11target_archE942ELNS1_3gpuE9ELNS1_3repE0EEENS1_30default_config_static_selectorELNS0_4arch9wavefront6targetE0EEEvT1_.uses_flat_scratch, 0
	.set _ZN7rocprim17ROCPRIM_400000_NS6detail17trampoline_kernelINS0_14default_configENS1_25partition_config_selectorILNS1_17partition_subalgoE5EfNS0_10empty_typeEbEEZZNS1_14partition_implILS5_5ELb0ES3_mN6thrust23THRUST_200600_302600_NS6detail15normal_iteratorINSA_10device_ptrIfEEEEPS6_NSA_18transform_iteratorINSB_9not_fun_tINSA_8identityIfEEEESF_NSA_11use_defaultESM_EENS0_5tupleIJSF_S6_EEENSO_IJSG_SG_EEES6_PlJS6_EEE10hipError_tPvRmT3_T4_T5_T6_T7_T9_mT8_P12ihipStream_tbDpT10_ENKUlT_T0_E_clISt17integral_constantIbLb1EES1A_IbLb0EEEEDaS16_S17_EUlS16_E_NS1_11comp_targetILNS1_3genE5ELNS1_11target_archE942ELNS1_3gpuE9ELNS1_3repE0EEENS1_30default_config_static_selectorELNS0_4arch9wavefront6targetE0EEEvT1_.has_dyn_sized_stack, 0
	.set _ZN7rocprim17ROCPRIM_400000_NS6detail17trampoline_kernelINS0_14default_configENS1_25partition_config_selectorILNS1_17partition_subalgoE5EfNS0_10empty_typeEbEEZZNS1_14partition_implILS5_5ELb0ES3_mN6thrust23THRUST_200600_302600_NS6detail15normal_iteratorINSA_10device_ptrIfEEEEPS6_NSA_18transform_iteratorINSB_9not_fun_tINSA_8identityIfEEEESF_NSA_11use_defaultESM_EENS0_5tupleIJSF_S6_EEENSO_IJSG_SG_EEES6_PlJS6_EEE10hipError_tPvRmT3_T4_T5_T6_T7_T9_mT8_P12ihipStream_tbDpT10_ENKUlT_T0_E_clISt17integral_constantIbLb1EES1A_IbLb0EEEEDaS16_S17_EUlS16_E_NS1_11comp_targetILNS1_3genE5ELNS1_11target_archE942ELNS1_3gpuE9ELNS1_3repE0EEENS1_30default_config_static_selectorELNS0_4arch9wavefront6targetE0EEEvT1_.has_recursion, 0
	.set _ZN7rocprim17ROCPRIM_400000_NS6detail17trampoline_kernelINS0_14default_configENS1_25partition_config_selectorILNS1_17partition_subalgoE5EfNS0_10empty_typeEbEEZZNS1_14partition_implILS5_5ELb0ES3_mN6thrust23THRUST_200600_302600_NS6detail15normal_iteratorINSA_10device_ptrIfEEEEPS6_NSA_18transform_iteratorINSB_9not_fun_tINSA_8identityIfEEEESF_NSA_11use_defaultESM_EENS0_5tupleIJSF_S6_EEENSO_IJSG_SG_EEES6_PlJS6_EEE10hipError_tPvRmT3_T4_T5_T6_T7_T9_mT8_P12ihipStream_tbDpT10_ENKUlT_T0_E_clISt17integral_constantIbLb1EES1A_IbLb0EEEEDaS16_S17_EUlS16_E_NS1_11comp_targetILNS1_3genE5ELNS1_11target_archE942ELNS1_3gpuE9ELNS1_3repE0EEENS1_30default_config_static_selectorELNS0_4arch9wavefront6targetE0EEEvT1_.has_indirect_call, 0
	.section	.AMDGPU.csdata,"",@progbits
; Kernel info:
; codeLenInByte = 0
; TotalNumSgprs: 0
; NumVgprs: 0
; ScratchSize: 0
; MemoryBound: 0
; FloatMode: 240
; IeeeMode: 1
; LDSByteSize: 0 bytes/workgroup (compile time only)
; SGPRBlocks: 0
; VGPRBlocks: 0
; NumSGPRsForWavesPerEU: 1
; NumVGPRsForWavesPerEU: 1
; Occupancy: 16
; WaveLimiterHint : 0
; COMPUTE_PGM_RSRC2:SCRATCH_EN: 0
; COMPUTE_PGM_RSRC2:USER_SGPR: 2
; COMPUTE_PGM_RSRC2:TRAP_HANDLER: 0
; COMPUTE_PGM_RSRC2:TGID_X_EN: 1
; COMPUTE_PGM_RSRC2:TGID_Y_EN: 0
; COMPUTE_PGM_RSRC2:TGID_Z_EN: 0
; COMPUTE_PGM_RSRC2:TIDIG_COMP_CNT: 0
	.section	.text._ZN7rocprim17ROCPRIM_400000_NS6detail17trampoline_kernelINS0_14default_configENS1_25partition_config_selectorILNS1_17partition_subalgoE5EfNS0_10empty_typeEbEEZZNS1_14partition_implILS5_5ELb0ES3_mN6thrust23THRUST_200600_302600_NS6detail15normal_iteratorINSA_10device_ptrIfEEEEPS6_NSA_18transform_iteratorINSB_9not_fun_tINSA_8identityIfEEEESF_NSA_11use_defaultESM_EENS0_5tupleIJSF_S6_EEENSO_IJSG_SG_EEES6_PlJS6_EEE10hipError_tPvRmT3_T4_T5_T6_T7_T9_mT8_P12ihipStream_tbDpT10_ENKUlT_T0_E_clISt17integral_constantIbLb1EES1A_IbLb0EEEEDaS16_S17_EUlS16_E_NS1_11comp_targetILNS1_3genE4ELNS1_11target_archE910ELNS1_3gpuE8ELNS1_3repE0EEENS1_30default_config_static_selectorELNS0_4arch9wavefront6targetE0EEEvT1_,"axG",@progbits,_ZN7rocprim17ROCPRIM_400000_NS6detail17trampoline_kernelINS0_14default_configENS1_25partition_config_selectorILNS1_17partition_subalgoE5EfNS0_10empty_typeEbEEZZNS1_14partition_implILS5_5ELb0ES3_mN6thrust23THRUST_200600_302600_NS6detail15normal_iteratorINSA_10device_ptrIfEEEEPS6_NSA_18transform_iteratorINSB_9not_fun_tINSA_8identityIfEEEESF_NSA_11use_defaultESM_EENS0_5tupleIJSF_S6_EEENSO_IJSG_SG_EEES6_PlJS6_EEE10hipError_tPvRmT3_T4_T5_T6_T7_T9_mT8_P12ihipStream_tbDpT10_ENKUlT_T0_E_clISt17integral_constantIbLb1EES1A_IbLb0EEEEDaS16_S17_EUlS16_E_NS1_11comp_targetILNS1_3genE4ELNS1_11target_archE910ELNS1_3gpuE8ELNS1_3repE0EEENS1_30default_config_static_selectorELNS0_4arch9wavefront6targetE0EEEvT1_,comdat
	.protected	_ZN7rocprim17ROCPRIM_400000_NS6detail17trampoline_kernelINS0_14default_configENS1_25partition_config_selectorILNS1_17partition_subalgoE5EfNS0_10empty_typeEbEEZZNS1_14partition_implILS5_5ELb0ES3_mN6thrust23THRUST_200600_302600_NS6detail15normal_iteratorINSA_10device_ptrIfEEEEPS6_NSA_18transform_iteratorINSB_9not_fun_tINSA_8identityIfEEEESF_NSA_11use_defaultESM_EENS0_5tupleIJSF_S6_EEENSO_IJSG_SG_EEES6_PlJS6_EEE10hipError_tPvRmT3_T4_T5_T6_T7_T9_mT8_P12ihipStream_tbDpT10_ENKUlT_T0_E_clISt17integral_constantIbLb1EES1A_IbLb0EEEEDaS16_S17_EUlS16_E_NS1_11comp_targetILNS1_3genE4ELNS1_11target_archE910ELNS1_3gpuE8ELNS1_3repE0EEENS1_30default_config_static_selectorELNS0_4arch9wavefront6targetE0EEEvT1_ ; -- Begin function _ZN7rocprim17ROCPRIM_400000_NS6detail17trampoline_kernelINS0_14default_configENS1_25partition_config_selectorILNS1_17partition_subalgoE5EfNS0_10empty_typeEbEEZZNS1_14partition_implILS5_5ELb0ES3_mN6thrust23THRUST_200600_302600_NS6detail15normal_iteratorINSA_10device_ptrIfEEEEPS6_NSA_18transform_iteratorINSB_9not_fun_tINSA_8identityIfEEEESF_NSA_11use_defaultESM_EENS0_5tupleIJSF_S6_EEENSO_IJSG_SG_EEES6_PlJS6_EEE10hipError_tPvRmT3_T4_T5_T6_T7_T9_mT8_P12ihipStream_tbDpT10_ENKUlT_T0_E_clISt17integral_constantIbLb1EES1A_IbLb0EEEEDaS16_S17_EUlS16_E_NS1_11comp_targetILNS1_3genE4ELNS1_11target_archE910ELNS1_3gpuE8ELNS1_3repE0EEENS1_30default_config_static_selectorELNS0_4arch9wavefront6targetE0EEEvT1_
	.globl	_ZN7rocprim17ROCPRIM_400000_NS6detail17trampoline_kernelINS0_14default_configENS1_25partition_config_selectorILNS1_17partition_subalgoE5EfNS0_10empty_typeEbEEZZNS1_14partition_implILS5_5ELb0ES3_mN6thrust23THRUST_200600_302600_NS6detail15normal_iteratorINSA_10device_ptrIfEEEEPS6_NSA_18transform_iteratorINSB_9not_fun_tINSA_8identityIfEEEESF_NSA_11use_defaultESM_EENS0_5tupleIJSF_S6_EEENSO_IJSG_SG_EEES6_PlJS6_EEE10hipError_tPvRmT3_T4_T5_T6_T7_T9_mT8_P12ihipStream_tbDpT10_ENKUlT_T0_E_clISt17integral_constantIbLb1EES1A_IbLb0EEEEDaS16_S17_EUlS16_E_NS1_11comp_targetILNS1_3genE4ELNS1_11target_archE910ELNS1_3gpuE8ELNS1_3repE0EEENS1_30default_config_static_selectorELNS0_4arch9wavefront6targetE0EEEvT1_
	.p2align	8
	.type	_ZN7rocprim17ROCPRIM_400000_NS6detail17trampoline_kernelINS0_14default_configENS1_25partition_config_selectorILNS1_17partition_subalgoE5EfNS0_10empty_typeEbEEZZNS1_14partition_implILS5_5ELb0ES3_mN6thrust23THRUST_200600_302600_NS6detail15normal_iteratorINSA_10device_ptrIfEEEEPS6_NSA_18transform_iteratorINSB_9not_fun_tINSA_8identityIfEEEESF_NSA_11use_defaultESM_EENS0_5tupleIJSF_S6_EEENSO_IJSG_SG_EEES6_PlJS6_EEE10hipError_tPvRmT3_T4_T5_T6_T7_T9_mT8_P12ihipStream_tbDpT10_ENKUlT_T0_E_clISt17integral_constantIbLb1EES1A_IbLb0EEEEDaS16_S17_EUlS16_E_NS1_11comp_targetILNS1_3genE4ELNS1_11target_archE910ELNS1_3gpuE8ELNS1_3repE0EEENS1_30default_config_static_selectorELNS0_4arch9wavefront6targetE0EEEvT1_,@function
_ZN7rocprim17ROCPRIM_400000_NS6detail17trampoline_kernelINS0_14default_configENS1_25partition_config_selectorILNS1_17partition_subalgoE5EfNS0_10empty_typeEbEEZZNS1_14partition_implILS5_5ELb0ES3_mN6thrust23THRUST_200600_302600_NS6detail15normal_iteratorINSA_10device_ptrIfEEEEPS6_NSA_18transform_iteratorINSB_9not_fun_tINSA_8identityIfEEEESF_NSA_11use_defaultESM_EENS0_5tupleIJSF_S6_EEENSO_IJSG_SG_EEES6_PlJS6_EEE10hipError_tPvRmT3_T4_T5_T6_T7_T9_mT8_P12ihipStream_tbDpT10_ENKUlT_T0_E_clISt17integral_constantIbLb1EES1A_IbLb0EEEEDaS16_S17_EUlS16_E_NS1_11comp_targetILNS1_3genE4ELNS1_11target_archE910ELNS1_3gpuE8ELNS1_3repE0EEENS1_30default_config_static_selectorELNS0_4arch9wavefront6targetE0EEEvT1_: ; @_ZN7rocprim17ROCPRIM_400000_NS6detail17trampoline_kernelINS0_14default_configENS1_25partition_config_selectorILNS1_17partition_subalgoE5EfNS0_10empty_typeEbEEZZNS1_14partition_implILS5_5ELb0ES3_mN6thrust23THRUST_200600_302600_NS6detail15normal_iteratorINSA_10device_ptrIfEEEEPS6_NSA_18transform_iteratorINSB_9not_fun_tINSA_8identityIfEEEESF_NSA_11use_defaultESM_EENS0_5tupleIJSF_S6_EEENSO_IJSG_SG_EEES6_PlJS6_EEE10hipError_tPvRmT3_T4_T5_T6_T7_T9_mT8_P12ihipStream_tbDpT10_ENKUlT_T0_E_clISt17integral_constantIbLb1EES1A_IbLb0EEEEDaS16_S17_EUlS16_E_NS1_11comp_targetILNS1_3genE4ELNS1_11target_archE910ELNS1_3gpuE8ELNS1_3repE0EEENS1_30default_config_static_selectorELNS0_4arch9wavefront6targetE0EEEvT1_
; %bb.0:
	.section	.rodata,"a",@progbits
	.p2align	6, 0x0
	.amdhsa_kernel _ZN7rocprim17ROCPRIM_400000_NS6detail17trampoline_kernelINS0_14default_configENS1_25partition_config_selectorILNS1_17partition_subalgoE5EfNS0_10empty_typeEbEEZZNS1_14partition_implILS5_5ELb0ES3_mN6thrust23THRUST_200600_302600_NS6detail15normal_iteratorINSA_10device_ptrIfEEEEPS6_NSA_18transform_iteratorINSB_9not_fun_tINSA_8identityIfEEEESF_NSA_11use_defaultESM_EENS0_5tupleIJSF_S6_EEENSO_IJSG_SG_EEES6_PlJS6_EEE10hipError_tPvRmT3_T4_T5_T6_T7_T9_mT8_P12ihipStream_tbDpT10_ENKUlT_T0_E_clISt17integral_constantIbLb1EES1A_IbLb0EEEEDaS16_S17_EUlS16_E_NS1_11comp_targetILNS1_3genE4ELNS1_11target_archE910ELNS1_3gpuE8ELNS1_3repE0EEENS1_30default_config_static_selectorELNS0_4arch9wavefront6targetE0EEEvT1_
		.amdhsa_group_segment_fixed_size 0
		.amdhsa_private_segment_fixed_size 0
		.amdhsa_kernarg_size 120
		.amdhsa_user_sgpr_count 2
		.amdhsa_user_sgpr_dispatch_ptr 0
		.amdhsa_user_sgpr_queue_ptr 0
		.amdhsa_user_sgpr_kernarg_segment_ptr 1
		.amdhsa_user_sgpr_dispatch_id 0
		.amdhsa_user_sgpr_private_segment_size 0
		.amdhsa_wavefront_size32 1
		.amdhsa_uses_dynamic_stack 0
		.amdhsa_enable_private_segment 0
		.amdhsa_system_sgpr_workgroup_id_x 1
		.amdhsa_system_sgpr_workgroup_id_y 0
		.amdhsa_system_sgpr_workgroup_id_z 0
		.amdhsa_system_sgpr_workgroup_info 0
		.amdhsa_system_vgpr_workitem_id 0
		.amdhsa_next_free_vgpr 1
		.amdhsa_next_free_sgpr 1
		.amdhsa_reserve_vcc 0
		.amdhsa_float_round_mode_32 0
		.amdhsa_float_round_mode_16_64 0
		.amdhsa_float_denorm_mode_32 3
		.amdhsa_float_denorm_mode_16_64 3
		.amdhsa_fp16_overflow 0
		.amdhsa_workgroup_processor_mode 1
		.amdhsa_memory_ordered 1
		.amdhsa_forward_progress 1
		.amdhsa_inst_pref_size 0
		.amdhsa_round_robin_scheduling 0
		.amdhsa_exception_fp_ieee_invalid_op 0
		.amdhsa_exception_fp_denorm_src 0
		.amdhsa_exception_fp_ieee_div_zero 0
		.amdhsa_exception_fp_ieee_overflow 0
		.amdhsa_exception_fp_ieee_underflow 0
		.amdhsa_exception_fp_ieee_inexact 0
		.amdhsa_exception_int_div_zero 0
	.end_amdhsa_kernel
	.section	.text._ZN7rocprim17ROCPRIM_400000_NS6detail17trampoline_kernelINS0_14default_configENS1_25partition_config_selectorILNS1_17partition_subalgoE5EfNS0_10empty_typeEbEEZZNS1_14partition_implILS5_5ELb0ES3_mN6thrust23THRUST_200600_302600_NS6detail15normal_iteratorINSA_10device_ptrIfEEEEPS6_NSA_18transform_iteratorINSB_9not_fun_tINSA_8identityIfEEEESF_NSA_11use_defaultESM_EENS0_5tupleIJSF_S6_EEENSO_IJSG_SG_EEES6_PlJS6_EEE10hipError_tPvRmT3_T4_T5_T6_T7_T9_mT8_P12ihipStream_tbDpT10_ENKUlT_T0_E_clISt17integral_constantIbLb1EES1A_IbLb0EEEEDaS16_S17_EUlS16_E_NS1_11comp_targetILNS1_3genE4ELNS1_11target_archE910ELNS1_3gpuE8ELNS1_3repE0EEENS1_30default_config_static_selectorELNS0_4arch9wavefront6targetE0EEEvT1_,"axG",@progbits,_ZN7rocprim17ROCPRIM_400000_NS6detail17trampoline_kernelINS0_14default_configENS1_25partition_config_selectorILNS1_17partition_subalgoE5EfNS0_10empty_typeEbEEZZNS1_14partition_implILS5_5ELb0ES3_mN6thrust23THRUST_200600_302600_NS6detail15normal_iteratorINSA_10device_ptrIfEEEEPS6_NSA_18transform_iteratorINSB_9not_fun_tINSA_8identityIfEEEESF_NSA_11use_defaultESM_EENS0_5tupleIJSF_S6_EEENSO_IJSG_SG_EEES6_PlJS6_EEE10hipError_tPvRmT3_T4_T5_T6_T7_T9_mT8_P12ihipStream_tbDpT10_ENKUlT_T0_E_clISt17integral_constantIbLb1EES1A_IbLb0EEEEDaS16_S17_EUlS16_E_NS1_11comp_targetILNS1_3genE4ELNS1_11target_archE910ELNS1_3gpuE8ELNS1_3repE0EEENS1_30default_config_static_selectorELNS0_4arch9wavefront6targetE0EEEvT1_,comdat
.Lfunc_end839:
	.size	_ZN7rocprim17ROCPRIM_400000_NS6detail17trampoline_kernelINS0_14default_configENS1_25partition_config_selectorILNS1_17partition_subalgoE5EfNS0_10empty_typeEbEEZZNS1_14partition_implILS5_5ELb0ES3_mN6thrust23THRUST_200600_302600_NS6detail15normal_iteratorINSA_10device_ptrIfEEEEPS6_NSA_18transform_iteratorINSB_9not_fun_tINSA_8identityIfEEEESF_NSA_11use_defaultESM_EENS0_5tupleIJSF_S6_EEENSO_IJSG_SG_EEES6_PlJS6_EEE10hipError_tPvRmT3_T4_T5_T6_T7_T9_mT8_P12ihipStream_tbDpT10_ENKUlT_T0_E_clISt17integral_constantIbLb1EES1A_IbLb0EEEEDaS16_S17_EUlS16_E_NS1_11comp_targetILNS1_3genE4ELNS1_11target_archE910ELNS1_3gpuE8ELNS1_3repE0EEENS1_30default_config_static_selectorELNS0_4arch9wavefront6targetE0EEEvT1_, .Lfunc_end839-_ZN7rocprim17ROCPRIM_400000_NS6detail17trampoline_kernelINS0_14default_configENS1_25partition_config_selectorILNS1_17partition_subalgoE5EfNS0_10empty_typeEbEEZZNS1_14partition_implILS5_5ELb0ES3_mN6thrust23THRUST_200600_302600_NS6detail15normal_iteratorINSA_10device_ptrIfEEEEPS6_NSA_18transform_iteratorINSB_9not_fun_tINSA_8identityIfEEEESF_NSA_11use_defaultESM_EENS0_5tupleIJSF_S6_EEENSO_IJSG_SG_EEES6_PlJS6_EEE10hipError_tPvRmT3_T4_T5_T6_T7_T9_mT8_P12ihipStream_tbDpT10_ENKUlT_T0_E_clISt17integral_constantIbLb1EES1A_IbLb0EEEEDaS16_S17_EUlS16_E_NS1_11comp_targetILNS1_3genE4ELNS1_11target_archE910ELNS1_3gpuE8ELNS1_3repE0EEENS1_30default_config_static_selectorELNS0_4arch9wavefront6targetE0EEEvT1_
                                        ; -- End function
	.set _ZN7rocprim17ROCPRIM_400000_NS6detail17trampoline_kernelINS0_14default_configENS1_25partition_config_selectorILNS1_17partition_subalgoE5EfNS0_10empty_typeEbEEZZNS1_14partition_implILS5_5ELb0ES3_mN6thrust23THRUST_200600_302600_NS6detail15normal_iteratorINSA_10device_ptrIfEEEEPS6_NSA_18transform_iteratorINSB_9not_fun_tINSA_8identityIfEEEESF_NSA_11use_defaultESM_EENS0_5tupleIJSF_S6_EEENSO_IJSG_SG_EEES6_PlJS6_EEE10hipError_tPvRmT3_T4_T5_T6_T7_T9_mT8_P12ihipStream_tbDpT10_ENKUlT_T0_E_clISt17integral_constantIbLb1EES1A_IbLb0EEEEDaS16_S17_EUlS16_E_NS1_11comp_targetILNS1_3genE4ELNS1_11target_archE910ELNS1_3gpuE8ELNS1_3repE0EEENS1_30default_config_static_selectorELNS0_4arch9wavefront6targetE0EEEvT1_.num_vgpr, 0
	.set _ZN7rocprim17ROCPRIM_400000_NS6detail17trampoline_kernelINS0_14default_configENS1_25partition_config_selectorILNS1_17partition_subalgoE5EfNS0_10empty_typeEbEEZZNS1_14partition_implILS5_5ELb0ES3_mN6thrust23THRUST_200600_302600_NS6detail15normal_iteratorINSA_10device_ptrIfEEEEPS6_NSA_18transform_iteratorINSB_9not_fun_tINSA_8identityIfEEEESF_NSA_11use_defaultESM_EENS0_5tupleIJSF_S6_EEENSO_IJSG_SG_EEES6_PlJS6_EEE10hipError_tPvRmT3_T4_T5_T6_T7_T9_mT8_P12ihipStream_tbDpT10_ENKUlT_T0_E_clISt17integral_constantIbLb1EES1A_IbLb0EEEEDaS16_S17_EUlS16_E_NS1_11comp_targetILNS1_3genE4ELNS1_11target_archE910ELNS1_3gpuE8ELNS1_3repE0EEENS1_30default_config_static_selectorELNS0_4arch9wavefront6targetE0EEEvT1_.num_agpr, 0
	.set _ZN7rocprim17ROCPRIM_400000_NS6detail17trampoline_kernelINS0_14default_configENS1_25partition_config_selectorILNS1_17partition_subalgoE5EfNS0_10empty_typeEbEEZZNS1_14partition_implILS5_5ELb0ES3_mN6thrust23THRUST_200600_302600_NS6detail15normal_iteratorINSA_10device_ptrIfEEEEPS6_NSA_18transform_iteratorINSB_9not_fun_tINSA_8identityIfEEEESF_NSA_11use_defaultESM_EENS0_5tupleIJSF_S6_EEENSO_IJSG_SG_EEES6_PlJS6_EEE10hipError_tPvRmT3_T4_T5_T6_T7_T9_mT8_P12ihipStream_tbDpT10_ENKUlT_T0_E_clISt17integral_constantIbLb1EES1A_IbLb0EEEEDaS16_S17_EUlS16_E_NS1_11comp_targetILNS1_3genE4ELNS1_11target_archE910ELNS1_3gpuE8ELNS1_3repE0EEENS1_30default_config_static_selectorELNS0_4arch9wavefront6targetE0EEEvT1_.numbered_sgpr, 0
	.set _ZN7rocprim17ROCPRIM_400000_NS6detail17trampoline_kernelINS0_14default_configENS1_25partition_config_selectorILNS1_17partition_subalgoE5EfNS0_10empty_typeEbEEZZNS1_14partition_implILS5_5ELb0ES3_mN6thrust23THRUST_200600_302600_NS6detail15normal_iteratorINSA_10device_ptrIfEEEEPS6_NSA_18transform_iteratorINSB_9not_fun_tINSA_8identityIfEEEESF_NSA_11use_defaultESM_EENS0_5tupleIJSF_S6_EEENSO_IJSG_SG_EEES6_PlJS6_EEE10hipError_tPvRmT3_T4_T5_T6_T7_T9_mT8_P12ihipStream_tbDpT10_ENKUlT_T0_E_clISt17integral_constantIbLb1EES1A_IbLb0EEEEDaS16_S17_EUlS16_E_NS1_11comp_targetILNS1_3genE4ELNS1_11target_archE910ELNS1_3gpuE8ELNS1_3repE0EEENS1_30default_config_static_selectorELNS0_4arch9wavefront6targetE0EEEvT1_.num_named_barrier, 0
	.set _ZN7rocprim17ROCPRIM_400000_NS6detail17trampoline_kernelINS0_14default_configENS1_25partition_config_selectorILNS1_17partition_subalgoE5EfNS0_10empty_typeEbEEZZNS1_14partition_implILS5_5ELb0ES3_mN6thrust23THRUST_200600_302600_NS6detail15normal_iteratorINSA_10device_ptrIfEEEEPS6_NSA_18transform_iteratorINSB_9not_fun_tINSA_8identityIfEEEESF_NSA_11use_defaultESM_EENS0_5tupleIJSF_S6_EEENSO_IJSG_SG_EEES6_PlJS6_EEE10hipError_tPvRmT3_T4_T5_T6_T7_T9_mT8_P12ihipStream_tbDpT10_ENKUlT_T0_E_clISt17integral_constantIbLb1EES1A_IbLb0EEEEDaS16_S17_EUlS16_E_NS1_11comp_targetILNS1_3genE4ELNS1_11target_archE910ELNS1_3gpuE8ELNS1_3repE0EEENS1_30default_config_static_selectorELNS0_4arch9wavefront6targetE0EEEvT1_.private_seg_size, 0
	.set _ZN7rocprim17ROCPRIM_400000_NS6detail17trampoline_kernelINS0_14default_configENS1_25partition_config_selectorILNS1_17partition_subalgoE5EfNS0_10empty_typeEbEEZZNS1_14partition_implILS5_5ELb0ES3_mN6thrust23THRUST_200600_302600_NS6detail15normal_iteratorINSA_10device_ptrIfEEEEPS6_NSA_18transform_iteratorINSB_9not_fun_tINSA_8identityIfEEEESF_NSA_11use_defaultESM_EENS0_5tupleIJSF_S6_EEENSO_IJSG_SG_EEES6_PlJS6_EEE10hipError_tPvRmT3_T4_T5_T6_T7_T9_mT8_P12ihipStream_tbDpT10_ENKUlT_T0_E_clISt17integral_constantIbLb1EES1A_IbLb0EEEEDaS16_S17_EUlS16_E_NS1_11comp_targetILNS1_3genE4ELNS1_11target_archE910ELNS1_3gpuE8ELNS1_3repE0EEENS1_30default_config_static_selectorELNS0_4arch9wavefront6targetE0EEEvT1_.uses_vcc, 0
	.set _ZN7rocprim17ROCPRIM_400000_NS6detail17trampoline_kernelINS0_14default_configENS1_25partition_config_selectorILNS1_17partition_subalgoE5EfNS0_10empty_typeEbEEZZNS1_14partition_implILS5_5ELb0ES3_mN6thrust23THRUST_200600_302600_NS6detail15normal_iteratorINSA_10device_ptrIfEEEEPS6_NSA_18transform_iteratorINSB_9not_fun_tINSA_8identityIfEEEESF_NSA_11use_defaultESM_EENS0_5tupleIJSF_S6_EEENSO_IJSG_SG_EEES6_PlJS6_EEE10hipError_tPvRmT3_T4_T5_T6_T7_T9_mT8_P12ihipStream_tbDpT10_ENKUlT_T0_E_clISt17integral_constantIbLb1EES1A_IbLb0EEEEDaS16_S17_EUlS16_E_NS1_11comp_targetILNS1_3genE4ELNS1_11target_archE910ELNS1_3gpuE8ELNS1_3repE0EEENS1_30default_config_static_selectorELNS0_4arch9wavefront6targetE0EEEvT1_.uses_flat_scratch, 0
	.set _ZN7rocprim17ROCPRIM_400000_NS6detail17trampoline_kernelINS0_14default_configENS1_25partition_config_selectorILNS1_17partition_subalgoE5EfNS0_10empty_typeEbEEZZNS1_14partition_implILS5_5ELb0ES3_mN6thrust23THRUST_200600_302600_NS6detail15normal_iteratorINSA_10device_ptrIfEEEEPS6_NSA_18transform_iteratorINSB_9not_fun_tINSA_8identityIfEEEESF_NSA_11use_defaultESM_EENS0_5tupleIJSF_S6_EEENSO_IJSG_SG_EEES6_PlJS6_EEE10hipError_tPvRmT3_T4_T5_T6_T7_T9_mT8_P12ihipStream_tbDpT10_ENKUlT_T0_E_clISt17integral_constantIbLb1EES1A_IbLb0EEEEDaS16_S17_EUlS16_E_NS1_11comp_targetILNS1_3genE4ELNS1_11target_archE910ELNS1_3gpuE8ELNS1_3repE0EEENS1_30default_config_static_selectorELNS0_4arch9wavefront6targetE0EEEvT1_.has_dyn_sized_stack, 0
	.set _ZN7rocprim17ROCPRIM_400000_NS6detail17trampoline_kernelINS0_14default_configENS1_25partition_config_selectorILNS1_17partition_subalgoE5EfNS0_10empty_typeEbEEZZNS1_14partition_implILS5_5ELb0ES3_mN6thrust23THRUST_200600_302600_NS6detail15normal_iteratorINSA_10device_ptrIfEEEEPS6_NSA_18transform_iteratorINSB_9not_fun_tINSA_8identityIfEEEESF_NSA_11use_defaultESM_EENS0_5tupleIJSF_S6_EEENSO_IJSG_SG_EEES6_PlJS6_EEE10hipError_tPvRmT3_T4_T5_T6_T7_T9_mT8_P12ihipStream_tbDpT10_ENKUlT_T0_E_clISt17integral_constantIbLb1EES1A_IbLb0EEEEDaS16_S17_EUlS16_E_NS1_11comp_targetILNS1_3genE4ELNS1_11target_archE910ELNS1_3gpuE8ELNS1_3repE0EEENS1_30default_config_static_selectorELNS0_4arch9wavefront6targetE0EEEvT1_.has_recursion, 0
	.set _ZN7rocprim17ROCPRIM_400000_NS6detail17trampoline_kernelINS0_14default_configENS1_25partition_config_selectorILNS1_17partition_subalgoE5EfNS0_10empty_typeEbEEZZNS1_14partition_implILS5_5ELb0ES3_mN6thrust23THRUST_200600_302600_NS6detail15normal_iteratorINSA_10device_ptrIfEEEEPS6_NSA_18transform_iteratorINSB_9not_fun_tINSA_8identityIfEEEESF_NSA_11use_defaultESM_EENS0_5tupleIJSF_S6_EEENSO_IJSG_SG_EEES6_PlJS6_EEE10hipError_tPvRmT3_T4_T5_T6_T7_T9_mT8_P12ihipStream_tbDpT10_ENKUlT_T0_E_clISt17integral_constantIbLb1EES1A_IbLb0EEEEDaS16_S17_EUlS16_E_NS1_11comp_targetILNS1_3genE4ELNS1_11target_archE910ELNS1_3gpuE8ELNS1_3repE0EEENS1_30default_config_static_selectorELNS0_4arch9wavefront6targetE0EEEvT1_.has_indirect_call, 0
	.section	.AMDGPU.csdata,"",@progbits
; Kernel info:
; codeLenInByte = 0
; TotalNumSgprs: 0
; NumVgprs: 0
; ScratchSize: 0
; MemoryBound: 0
; FloatMode: 240
; IeeeMode: 1
; LDSByteSize: 0 bytes/workgroup (compile time only)
; SGPRBlocks: 0
; VGPRBlocks: 0
; NumSGPRsForWavesPerEU: 1
; NumVGPRsForWavesPerEU: 1
; Occupancy: 16
; WaveLimiterHint : 0
; COMPUTE_PGM_RSRC2:SCRATCH_EN: 0
; COMPUTE_PGM_RSRC2:USER_SGPR: 2
; COMPUTE_PGM_RSRC2:TRAP_HANDLER: 0
; COMPUTE_PGM_RSRC2:TGID_X_EN: 1
; COMPUTE_PGM_RSRC2:TGID_Y_EN: 0
; COMPUTE_PGM_RSRC2:TGID_Z_EN: 0
; COMPUTE_PGM_RSRC2:TIDIG_COMP_CNT: 0
	.section	.text._ZN7rocprim17ROCPRIM_400000_NS6detail17trampoline_kernelINS0_14default_configENS1_25partition_config_selectorILNS1_17partition_subalgoE5EfNS0_10empty_typeEbEEZZNS1_14partition_implILS5_5ELb0ES3_mN6thrust23THRUST_200600_302600_NS6detail15normal_iteratorINSA_10device_ptrIfEEEEPS6_NSA_18transform_iteratorINSB_9not_fun_tINSA_8identityIfEEEESF_NSA_11use_defaultESM_EENS0_5tupleIJSF_S6_EEENSO_IJSG_SG_EEES6_PlJS6_EEE10hipError_tPvRmT3_T4_T5_T6_T7_T9_mT8_P12ihipStream_tbDpT10_ENKUlT_T0_E_clISt17integral_constantIbLb1EES1A_IbLb0EEEEDaS16_S17_EUlS16_E_NS1_11comp_targetILNS1_3genE3ELNS1_11target_archE908ELNS1_3gpuE7ELNS1_3repE0EEENS1_30default_config_static_selectorELNS0_4arch9wavefront6targetE0EEEvT1_,"axG",@progbits,_ZN7rocprim17ROCPRIM_400000_NS6detail17trampoline_kernelINS0_14default_configENS1_25partition_config_selectorILNS1_17partition_subalgoE5EfNS0_10empty_typeEbEEZZNS1_14partition_implILS5_5ELb0ES3_mN6thrust23THRUST_200600_302600_NS6detail15normal_iteratorINSA_10device_ptrIfEEEEPS6_NSA_18transform_iteratorINSB_9not_fun_tINSA_8identityIfEEEESF_NSA_11use_defaultESM_EENS0_5tupleIJSF_S6_EEENSO_IJSG_SG_EEES6_PlJS6_EEE10hipError_tPvRmT3_T4_T5_T6_T7_T9_mT8_P12ihipStream_tbDpT10_ENKUlT_T0_E_clISt17integral_constantIbLb1EES1A_IbLb0EEEEDaS16_S17_EUlS16_E_NS1_11comp_targetILNS1_3genE3ELNS1_11target_archE908ELNS1_3gpuE7ELNS1_3repE0EEENS1_30default_config_static_selectorELNS0_4arch9wavefront6targetE0EEEvT1_,comdat
	.protected	_ZN7rocprim17ROCPRIM_400000_NS6detail17trampoline_kernelINS0_14default_configENS1_25partition_config_selectorILNS1_17partition_subalgoE5EfNS0_10empty_typeEbEEZZNS1_14partition_implILS5_5ELb0ES3_mN6thrust23THRUST_200600_302600_NS6detail15normal_iteratorINSA_10device_ptrIfEEEEPS6_NSA_18transform_iteratorINSB_9not_fun_tINSA_8identityIfEEEESF_NSA_11use_defaultESM_EENS0_5tupleIJSF_S6_EEENSO_IJSG_SG_EEES6_PlJS6_EEE10hipError_tPvRmT3_T4_T5_T6_T7_T9_mT8_P12ihipStream_tbDpT10_ENKUlT_T0_E_clISt17integral_constantIbLb1EES1A_IbLb0EEEEDaS16_S17_EUlS16_E_NS1_11comp_targetILNS1_3genE3ELNS1_11target_archE908ELNS1_3gpuE7ELNS1_3repE0EEENS1_30default_config_static_selectorELNS0_4arch9wavefront6targetE0EEEvT1_ ; -- Begin function _ZN7rocprim17ROCPRIM_400000_NS6detail17trampoline_kernelINS0_14default_configENS1_25partition_config_selectorILNS1_17partition_subalgoE5EfNS0_10empty_typeEbEEZZNS1_14partition_implILS5_5ELb0ES3_mN6thrust23THRUST_200600_302600_NS6detail15normal_iteratorINSA_10device_ptrIfEEEEPS6_NSA_18transform_iteratorINSB_9not_fun_tINSA_8identityIfEEEESF_NSA_11use_defaultESM_EENS0_5tupleIJSF_S6_EEENSO_IJSG_SG_EEES6_PlJS6_EEE10hipError_tPvRmT3_T4_T5_T6_T7_T9_mT8_P12ihipStream_tbDpT10_ENKUlT_T0_E_clISt17integral_constantIbLb1EES1A_IbLb0EEEEDaS16_S17_EUlS16_E_NS1_11comp_targetILNS1_3genE3ELNS1_11target_archE908ELNS1_3gpuE7ELNS1_3repE0EEENS1_30default_config_static_selectorELNS0_4arch9wavefront6targetE0EEEvT1_
	.globl	_ZN7rocprim17ROCPRIM_400000_NS6detail17trampoline_kernelINS0_14default_configENS1_25partition_config_selectorILNS1_17partition_subalgoE5EfNS0_10empty_typeEbEEZZNS1_14partition_implILS5_5ELb0ES3_mN6thrust23THRUST_200600_302600_NS6detail15normal_iteratorINSA_10device_ptrIfEEEEPS6_NSA_18transform_iteratorINSB_9not_fun_tINSA_8identityIfEEEESF_NSA_11use_defaultESM_EENS0_5tupleIJSF_S6_EEENSO_IJSG_SG_EEES6_PlJS6_EEE10hipError_tPvRmT3_T4_T5_T6_T7_T9_mT8_P12ihipStream_tbDpT10_ENKUlT_T0_E_clISt17integral_constantIbLb1EES1A_IbLb0EEEEDaS16_S17_EUlS16_E_NS1_11comp_targetILNS1_3genE3ELNS1_11target_archE908ELNS1_3gpuE7ELNS1_3repE0EEENS1_30default_config_static_selectorELNS0_4arch9wavefront6targetE0EEEvT1_
	.p2align	8
	.type	_ZN7rocprim17ROCPRIM_400000_NS6detail17trampoline_kernelINS0_14default_configENS1_25partition_config_selectorILNS1_17partition_subalgoE5EfNS0_10empty_typeEbEEZZNS1_14partition_implILS5_5ELb0ES3_mN6thrust23THRUST_200600_302600_NS6detail15normal_iteratorINSA_10device_ptrIfEEEEPS6_NSA_18transform_iteratorINSB_9not_fun_tINSA_8identityIfEEEESF_NSA_11use_defaultESM_EENS0_5tupleIJSF_S6_EEENSO_IJSG_SG_EEES6_PlJS6_EEE10hipError_tPvRmT3_T4_T5_T6_T7_T9_mT8_P12ihipStream_tbDpT10_ENKUlT_T0_E_clISt17integral_constantIbLb1EES1A_IbLb0EEEEDaS16_S17_EUlS16_E_NS1_11comp_targetILNS1_3genE3ELNS1_11target_archE908ELNS1_3gpuE7ELNS1_3repE0EEENS1_30default_config_static_selectorELNS0_4arch9wavefront6targetE0EEEvT1_,@function
_ZN7rocprim17ROCPRIM_400000_NS6detail17trampoline_kernelINS0_14default_configENS1_25partition_config_selectorILNS1_17partition_subalgoE5EfNS0_10empty_typeEbEEZZNS1_14partition_implILS5_5ELb0ES3_mN6thrust23THRUST_200600_302600_NS6detail15normal_iteratorINSA_10device_ptrIfEEEEPS6_NSA_18transform_iteratorINSB_9not_fun_tINSA_8identityIfEEEESF_NSA_11use_defaultESM_EENS0_5tupleIJSF_S6_EEENSO_IJSG_SG_EEES6_PlJS6_EEE10hipError_tPvRmT3_T4_T5_T6_T7_T9_mT8_P12ihipStream_tbDpT10_ENKUlT_T0_E_clISt17integral_constantIbLb1EES1A_IbLb0EEEEDaS16_S17_EUlS16_E_NS1_11comp_targetILNS1_3genE3ELNS1_11target_archE908ELNS1_3gpuE7ELNS1_3repE0EEENS1_30default_config_static_selectorELNS0_4arch9wavefront6targetE0EEEvT1_: ; @_ZN7rocprim17ROCPRIM_400000_NS6detail17trampoline_kernelINS0_14default_configENS1_25partition_config_selectorILNS1_17partition_subalgoE5EfNS0_10empty_typeEbEEZZNS1_14partition_implILS5_5ELb0ES3_mN6thrust23THRUST_200600_302600_NS6detail15normal_iteratorINSA_10device_ptrIfEEEEPS6_NSA_18transform_iteratorINSB_9not_fun_tINSA_8identityIfEEEESF_NSA_11use_defaultESM_EENS0_5tupleIJSF_S6_EEENSO_IJSG_SG_EEES6_PlJS6_EEE10hipError_tPvRmT3_T4_T5_T6_T7_T9_mT8_P12ihipStream_tbDpT10_ENKUlT_T0_E_clISt17integral_constantIbLb1EES1A_IbLb0EEEEDaS16_S17_EUlS16_E_NS1_11comp_targetILNS1_3genE3ELNS1_11target_archE908ELNS1_3gpuE7ELNS1_3repE0EEENS1_30default_config_static_selectorELNS0_4arch9wavefront6targetE0EEEvT1_
; %bb.0:
	.section	.rodata,"a",@progbits
	.p2align	6, 0x0
	.amdhsa_kernel _ZN7rocprim17ROCPRIM_400000_NS6detail17trampoline_kernelINS0_14default_configENS1_25partition_config_selectorILNS1_17partition_subalgoE5EfNS0_10empty_typeEbEEZZNS1_14partition_implILS5_5ELb0ES3_mN6thrust23THRUST_200600_302600_NS6detail15normal_iteratorINSA_10device_ptrIfEEEEPS6_NSA_18transform_iteratorINSB_9not_fun_tINSA_8identityIfEEEESF_NSA_11use_defaultESM_EENS0_5tupleIJSF_S6_EEENSO_IJSG_SG_EEES6_PlJS6_EEE10hipError_tPvRmT3_T4_T5_T6_T7_T9_mT8_P12ihipStream_tbDpT10_ENKUlT_T0_E_clISt17integral_constantIbLb1EES1A_IbLb0EEEEDaS16_S17_EUlS16_E_NS1_11comp_targetILNS1_3genE3ELNS1_11target_archE908ELNS1_3gpuE7ELNS1_3repE0EEENS1_30default_config_static_selectorELNS0_4arch9wavefront6targetE0EEEvT1_
		.amdhsa_group_segment_fixed_size 0
		.amdhsa_private_segment_fixed_size 0
		.amdhsa_kernarg_size 120
		.amdhsa_user_sgpr_count 2
		.amdhsa_user_sgpr_dispatch_ptr 0
		.amdhsa_user_sgpr_queue_ptr 0
		.amdhsa_user_sgpr_kernarg_segment_ptr 1
		.amdhsa_user_sgpr_dispatch_id 0
		.amdhsa_user_sgpr_private_segment_size 0
		.amdhsa_wavefront_size32 1
		.amdhsa_uses_dynamic_stack 0
		.amdhsa_enable_private_segment 0
		.amdhsa_system_sgpr_workgroup_id_x 1
		.amdhsa_system_sgpr_workgroup_id_y 0
		.amdhsa_system_sgpr_workgroup_id_z 0
		.amdhsa_system_sgpr_workgroup_info 0
		.amdhsa_system_vgpr_workitem_id 0
		.amdhsa_next_free_vgpr 1
		.amdhsa_next_free_sgpr 1
		.amdhsa_reserve_vcc 0
		.amdhsa_float_round_mode_32 0
		.amdhsa_float_round_mode_16_64 0
		.amdhsa_float_denorm_mode_32 3
		.amdhsa_float_denorm_mode_16_64 3
		.amdhsa_fp16_overflow 0
		.amdhsa_workgroup_processor_mode 1
		.amdhsa_memory_ordered 1
		.amdhsa_forward_progress 1
		.amdhsa_inst_pref_size 0
		.amdhsa_round_robin_scheduling 0
		.amdhsa_exception_fp_ieee_invalid_op 0
		.amdhsa_exception_fp_denorm_src 0
		.amdhsa_exception_fp_ieee_div_zero 0
		.amdhsa_exception_fp_ieee_overflow 0
		.amdhsa_exception_fp_ieee_underflow 0
		.amdhsa_exception_fp_ieee_inexact 0
		.amdhsa_exception_int_div_zero 0
	.end_amdhsa_kernel
	.section	.text._ZN7rocprim17ROCPRIM_400000_NS6detail17trampoline_kernelINS0_14default_configENS1_25partition_config_selectorILNS1_17partition_subalgoE5EfNS0_10empty_typeEbEEZZNS1_14partition_implILS5_5ELb0ES3_mN6thrust23THRUST_200600_302600_NS6detail15normal_iteratorINSA_10device_ptrIfEEEEPS6_NSA_18transform_iteratorINSB_9not_fun_tINSA_8identityIfEEEESF_NSA_11use_defaultESM_EENS0_5tupleIJSF_S6_EEENSO_IJSG_SG_EEES6_PlJS6_EEE10hipError_tPvRmT3_T4_T5_T6_T7_T9_mT8_P12ihipStream_tbDpT10_ENKUlT_T0_E_clISt17integral_constantIbLb1EES1A_IbLb0EEEEDaS16_S17_EUlS16_E_NS1_11comp_targetILNS1_3genE3ELNS1_11target_archE908ELNS1_3gpuE7ELNS1_3repE0EEENS1_30default_config_static_selectorELNS0_4arch9wavefront6targetE0EEEvT1_,"axG",@progbits,_ZN7rocprim17ROCPRIM_400000_NS6detail17trampoline_kernelINS0_14default_configENS1_25partition_config_selectorILNS1_17partition_subalgoE5EfNS0_10empty_typeEbEEZZNS1_14partition_implILS5_5ELb0ES3_mN6thrust23THRUST_200600_302600_NS6detail15normal_iteratorINSA_10device_ptrIfEEEEPS6_NSA_18transform_iteratorINSB_9not_fun_tINSA_8identityIfEEEESF_NSA_11use_defaultESM_EENS0_5tupleIJSF_S6_EEENSO_IJSG_SG_EEES6_PlJS6_EEE10hipError_tPvRmT3_T4_T5_T6_T7_T9_mT8_P12ihipStream_tbDpT10_ENKUlT_T0_E_clISt17integral_constantIbLb1EES1A_IbLb0EEEEDaS16_S17_EUlS16_E_NS1_11comp_targetILNS1_3genE3ELNS1_11target_archE908ELNS1_3gpuE7ELNS1_3repE0EEENS1_30default_config_static_selectorELNS0_4arch9wavefront6targetE0EEEvT1_,comdat
.Lfunc_end840:
	.size	_ZN7rocprim17ROCPRIM_400000_NS6detail17trampoline_kernelINS0_14default_configENS1_25partition_config_selectorILNS1_17partition_subalgoE5EfNS0_10empty_typeEbEEZZNS1_14partition_implILS5_5ELb0ES3_mN6thrust23THRUST_200600_302600_NS6detail15normal_iteratorINSA_10device_ptrIfEEEEPS6_NSA_18transform_iteratorINSB_9not_fun_tINSA_8identityIfEEEESF_NSA_11use_defaultESM_EENS0_5tupleIJSF_S6_EEENSO_IJSG_SG_EEES6_PlJS6_EEE10hipError_tPvRmT3_T4_T5_T6_T7_T9_mT8_P12ihipStream_tbDpT10_ENKUlT_T0_E_clISt17integral_constantIbLb1EES1A_IbLb0EEEEDaS16_S17_EUlS16_E_NS1_11comp_targetILNS1_3genE3ELNS1_11target_archE908ELNS1_3gpuE7ELNS1_3repE0EEENS1_30default_config_static_selectorELNS0_4arch9wavefront6targetE0EEEvT1_, .Lfunc_end840-_ZN7rocprim17ROCPRIM_400000_NS6detail17trampoline_kernelINS0_14default_configENS1_25partition_config_selectorILNS1_17partition_subalgoE5EfNS0_10empty_typeEbEEZZNS1_14partition_implILS5_5ELb0ES3_mN6thrust23THRUST_200600_302600_NS6detail15normal_iteratorINSA_10device_ptrIfEEEEPS6_NSA_18transform_iteratorINSB_9not_fun_tINSA_8identityIfEEEESF_NSA_11use_defaultESM_EENS0_5tupleIJSF_S6_EEENSO_IJSG_SG_EEES6_PlJS6_EEE10hipError_tPvRmT3_T4_T5_T6_T7_T9_mT8_P12ihipStream_tbDpT10_ENKUlT_T0_E_clISt17integral_constantIbLb1EES1A_IbLb0EEEEDaS16_S17_EUlS16_E_NS1_11comp_targetILNS1_3genE3ELNS1_11target_archE908ELNS1_3gpuE7ELNS1_3repE0EEENS1_30default_config_static_selectorELNS0_4arch9wavefront6targetE0EEEvT1_
                                        ; -- End function
	.set _ZN7rocprim17ROCPRIM_400000_NS6detail17trampoline_kernelINS0_14default_configENS1_25partition_config_selectorILNS1_17partition_subalgoE5EfNS0_10empty_typeEbEEZZNS1_14partition_implILS5_5ELb0ES3_mN6thrust23THRUST_200600_302600_NS6detail15normal_iteratorINSA_10device_ptrIfEEEEPS6_NSA_18transform_iteratorINSB_9not_fun_tINSA_8identityIfEEEESF_NSA_11use_defaultESM_EENS0_5tupleIJSF_S6_EEENSO_IJSG_SG_EEES6_PlJS6_EEE10hipError_tPvRmT3_T4_T5_T6_T7_T9_mT8_P12ihipStream_tbDpT10_ENKUlT_T0_E_clISt17integral_constantIbLb1EES1A_IbLb0EEEEDaS16_S17_EUlS16_E_NS1_11comp_targetILNS1_3genE3ELNS1_11target_archE908ELNS1_3gpuE7ELNS1_3repE0EEENS1_30default_config_static_selectorELNS0_4arch9wavefront6targetE0EEEvT1_.num_vgpr, 0
	.set _ZN7rocprim17ROCPRIM_400000_NS6detail17trampoline_kernelINS0_14default_configENS1_25partition_config_selectorILNS1_17partition_subalgoE5EfNS0_10empty_typeEbEEZZNS1_14partition_implILS5_5ELb0ES3_mN6thrust23THRUST_200600_302600_NS6detail15normal_iteratorINSA_10device_ptrIfEEEEPS6_NSA_18transform_iteratorINSB_9not_fun_tINSA_8identityIfEEEESF_NSA_11use_defaultESM_EENS0_5tupleIJSF_S6_EEENSO_IJSG_SG_EEES6_PlJS6_EEE10hipError_tPvRmT3_T4_T5_T6_T7_T9_mT8_P12ihipStream_tbDpT10_ENKUlT_T0_E_clISt17integral_constantIbLb1EES1A_IbLb0EEEEDaS16_S17_EUlS16_E_NS1_11comp_targetILNS1_3genE3ELNS1_11target_archE908ELNS1_3gpuE7ELNS1_3repE0EEENS1_30default_config_static_selectorELNS0_4arch9wavefront6targetE0EEEvT1_.num_agpr, 0
	.set _ZN7rocprim17ROCPRIM_400000_NS6detail17trampoline_kernelINS0_14default_configENS1_25partition_config_selectorILNS1_17partition_subalgoE5EfNS0_10empty_typeEbEEZZNS1_14partition_implILS5_5ELb0ES3_mN6thrust23THRUST_200600_302600_NS6detail15normal_iteratorINSA_10device_ptrIfEEEEPS6_NSA_18transform_iteratorINSB_9not_fun_tINSA_8identityIfEEEESF_NSA_11use_defaultESM_EENS0_5tupleIJSF_S6_EEENSO_IJSG_SG_EEES6_PlJS6_EEE10hipError_tPvRmT3_T4_T5_T6_T7_T9_mT8_P12ihipStream_tbDpT10_ENKUlT_T0_E_clISt17integral_constantIbLb1EES1A_IbLb0EEEEDaS16_S17_EUlS16_E_NS1_11comp_targetILNS1_3genE3ELNS1_11target_archE908ELNS1_3gpuE7ELNS1_3repE0EEENS1_30default_config_static_selectorELNS0_4arch9wavefront6targetE0EEEvT1_.numbered_sgpr, 0
	.set _ZN7rocprim17ROCPRIM_400000_NS6detail17trampoline_kernelINS0_14default_configENS1_25partition_config_selectorILNS1_17partition_subalgoE5EfNS0_10empty_typeEbEEZZNS1_14partition_implILS5_5ELb0ES3_mN6thrust23THRUST_200600_302600_NS6detail15normal_iteratorINSA_10device_ptrIfEEEEPS6_NSA_18transform_iteratorINSB_9not_fun_tINSA_8identityIfEEEESF_NSA_11use_defaultESM_EENS0_5tupleIJSF_S6_EEENSO_IJSG_SG_EEES6_PlJS6_EEE10hipError_tPvRmT3_T4_T5_T6_T7_T9_mT8_P12ihipStream_tbDpT10_ENKUlT_T0_E_clISt17integral_constantIbLb1EES1A_IbLb0EEEEDaS16_S17_EUlS16_E_NS1_11comp_targetILNS1_3genE3ELNS1_11target_archE908ELNS1_3gpuE7ELNS1_3repE0EEENS1_30default_config_static_selectorELNS0_4arch9wavefront6targetE0EEEvT1_.num_named_barrier, 0
	.set _ZN7rocprim17ROCPRIM_400000_NS6detail17trampoline_kernelINS0_14default_configENS1_25partition_config_selectorILNS1_17partition_subalgoE5EfNS0_10empty_typeEbEEZZNS1_14partition_implILS5_5ELb0ES3_mN6thrust23THRUST_200600_302600_NS6detail15normal_iteratorINSA_10device_ptrIfEEEEPS6_NSA_18transform_iteratorINSB_9not_fun_tINSA_8identityIfEEEESF_NSA_11use_defaultESM_EENS0_5tupleIJSF_S6_EEENSO_IJSG_SG_EEES6_PlJS6_EEE10hipError_tPvRmT3_T4_T5_T6_T7_T9_mT8_P12ihipStream_tbDpT10_ENKUlT_T0_E_clISt17integral_constantIbLb1EES1A_IbLb0EEEEDaS16_S17_EUlS16_E_NS1_11comp_targetILNS1_3genE3ELNS1_11target_archE908ELNS1_3gpuE7ELNS1_3repE0EEENS1_30default_config_static_selectorELNS0_4arch9wavefront6targetE0EEEvT1_.private_seg_size, 0
	.set _ZN7rocprim17ROCPRIM_400000_NS6detail17trampoline_kernelINS0_14default_configENS1_25partition_config_selectorILNS1_17partition_subalgoE5EfNS0_10empty_typeEbEEZZNS1_14partition_implILS5_5ELb0ES3_mN6thrust23THRUST_200600_302600_NS6detail15normal_iteratorINSA_10device_ptrIfEEEEPS6_NSA_18transform_iteratorINSB_9not_fun_tINSA_8identityIfEEEESF_NSA_11use_defaultESM_EENS0_5tupleIJSF_S6_EEENSO_IJSG_SG_EEES6_PlJS6_EEE10hipError_tPvRmT3_T4_T5_T6_T7_T9_mT8_P12ihipStream_tbDpT10_ENKUlT_T0_E_clISt17integral_constantIbLb1EES1A_IbLb0EEEEDaS16_S17_EUlS16_E_NS1_11comp_targetILNS1_3genE3ELNS1_11target_archE908ELNS1_3gpuE7ELNS1_3repE0EEENS1_30default_config_static_selectorELNS0_4arch9wavefront6targetE0EEEvT1_.uses_vcc, 0
	.set _ZN7rocprim17ROCPRIM_400000_NS6detail17trampoline_kernelINS0_14default_configENS1_25partition_config_selectorILNS1_17partition_subalgoE5EfNS0_10empty_typeEbEEZZNS1_14partition_implILS5_5ELb0ES3_mN6thrust23THRUST_200600_302600_NS6detail15normal_iteratorINSA_10device_ptrIfEEEEPS6_NSA_18transform_iteratorINSB_9not_fun_tINSA_8identityIfEEEESF_NSA_11use_defaultESM_EENS0_5tupleIJSF_S6_EEENSO_IJSG_SG_EEES6_PlJS6_EEE10hipError_tPvRmT3_T4_T5_T6_T7_T9_mT8_P12ihipStream_tbDpT10_ENKUlT_T0_E_clISt17integral_constantIbLb1EES1A_IbLb0EEEEDaS16_S17_EUlS16_E_NS1_11comp_targetILNS1_3genE3ELNS1_11target_archE908ELNS1_3gpuE7ELNS1_3repE0EEENS1_30default_config_static_selectorELNS0_4arch9wavefront6targetE0EEEvT1_.uses_flat_scratch, 0
	.set _ZN7rocprim17ROCPRIM_400000_NS6detail17trampoline_kernelINS0_14default_configENS1_25partition_config_selectorILNS1_17partition_subalgoE5EfNS0_10empty_typeEbEEZZNS1_14partition_implILS5_5ELb0ES3_mN6thrust23THRUST_200600_302600_NS6detail15normal_iteratorINSA_10device_ptrIfEEEEPS6_NSA_18transform_iteratorINSB_9not_fun_tINSA_8identityIfEEEESF_NSA_11use_defaultESM_EENS0_5tupleIJSF_S6_EEENSO_IJSG_SG_EEES6_PlJS6_EEE10hipError_tPvRmT3_T4_T5_T6_T7_T9_mT8_P12ihipStream_tbDpT10_ENKUlT_T0_E_clISt17integral_constantIbLb1EES1A_IbLb0EEEEDaS16_S17_EUlS16_E_NS1_11comp_targetILNS1_3genE3ELNS1_11target_archE908ELNS1_3gpuE7ELNS1_3repE0EEENS1_30default_config_static_selectorELNS0_4arch9wavefront6targetE0EEEvT1_.has_dyn_sized_stack, 0
	.set _ZN7rocprim17ROCPRIM_400000_NS6detail17trampoline_kernelINS0_14default_configENS1_25partition_config_selectorILNS1_17partition_subalgoE5EfNS0_10empty_typeEbEEZZNS1_14partition_implILS5_5ELb0ES3_mN6thrust23THRUST_200600_302600_NS6detail15normal_iteratorINSA_10device_ptrIfEEEEPS6_NSA_18transform_iteratorINSB_9not_fun_tINSA_8identityIfEEEESF_NSA_11use_defaultESM_EENS0_5tupleIJSF_S6_EEENSO_IJSG_SG_EEES6_PlJS6_EEE10hipError_tPvRmT3_T4_T5_T6_T7_T9_mT8_P12ihipStream_tbDpT10_ENKUlT_T0_E_clISt17integral_constantIbLb1EES1A_IbLb0EEEEDaS16_S17_EUlS16_E_NS1_11comp_targetILNS1_3genE3ELNS1_11target_archE908ELNS1_3gpuE7ELNS1_3repE0EEENS1_30default_config_static_selectorELNS0_4arch9wavefront6targetE0EEEvT1_.has_recursion, 0
	.set _ZN7rocprim17ROCPRIM_400000_NS6detail17trampoline_kernelINS0_14default_configENS1_25partition_config_selectorILNS1_17partition_subalgoE5EfNS0_10empty_typeEbEEZZNS1_14partition_implILS5_5ELb0ES3_mN6thrust23THRUST_200600_302600_NS6detail15normal_iteratorINSA_10device_ptrIfEEEEPS6_NSA_18transform_iteratorINSB_9not_fun_tINSA_8identityIfEEEESF_NSA_11use_defaultESM_EENS0_5tupleIJSF_S6_EEENSO_IJSG_SG_EEES6_PlJS6_EEE10hipError_tPvRmT3_T4_T5_T6_T7_T9_mT8_P12ihipStream_tbDpT10_ENKUlT_T0_E_clISt17integral_constantIbLb1EES1A_IbLb0EEEEDaS16_S17_EUlS16_E_NS1_11comp_targetILNS1_3genE3ELNS1_11target_archE908ELNS1_3gpuE7ELNS1_3repE0EEENS1_30default_config_static_selectorELNS0_4arch9wavefront6targetE0EEEvT1_.has_indirect_call, 0
	.section	.AMDGPU.csdata,"",@progbits
; Kernel info:
; codeLenInByte = 0
; TotalNumSgprs: 0
; NumVgprs: 0
; ScratchSize: 0
; MemoryBound: 0
; FloatMode: 240
; IeeeMode: 1
; LDSByteSize: 0 bytes/workgroup (compile time only)
; SGPRBlocks: 0
; VGPRBlocks: 0
; NumSGPRsForWavesPerEU: 1
; NumVGPRsForWavesPerEU: 1
; Occupancy: 16
; WaveLimiterHint : 0
; COMPUTE_PGM_RSRC2:SCRATCH_EN: 0
; COMPUTE_PGM_RSRC2:USER_SGPR: 2
; COMPUTE_PGM_RSRC2:TRAP_HANDLER: 0
; COMPUTE_PGM_RSRC2:TGID_X_EN: 1
; COMPUTE_PGM_RSRC2:TGID_Y_EN: 0
; COMPUTE_PGM_RSRC2:TGID_Z_EN: 0
; COMPUTE_PGM_RSRC2:TIDIG_COMP_CNT: 0
	.section	.text._ZN7rocprim17ROCPRIM_400000_NS6detail17trampoline_kernelINS0_14default_configENS1_25partition_config_selectorILNS1_17partition_subalgoE5EfNS0_10empty_typeEbEEZZNS1_14partition_implILS5_5ELb0ES3_mN6thrust23THRUST_200600_302600_NS6detail15normal_iteratorINSA_10device_ptrIfEEEEPS6_NSA_18transform_iteratorINSB_9not_fun_tINSA_8identityIfEEEESF_NSA_11use_defaultESM_EENS0_5tupleIJSF_S6_EEENSO_IJSG_SG_EEES6_PlJS6_EEE10hipError_tPvRmT3_T4_T5_T6_T7_T9_mT8_P12ihipStream_tbDpT10_ENKUlT_T0_E_clISt17integral_constantIbLb1EES1A_IbLb0EEEEDaS16_S17_EUlS16_E_NS1_11comp_targetILNS1_3genE2ELNS1_11target_archE906ELNS1_3gpuE6ELNS1_3repE0EEENS1_30default_config_static_selectorELNS0_4arch9wavefront6targetE0EEEvT1_,"axG",@progbits,_ZN7rocprim17ROCPRIM_400000_NS6detail17trampoline_kernelINS0_14default_configENS1_25partition_config_selectorILNS1_17partition_subalgoE5EfNS0_10empty_typeEbEEZZNS1_14partition_implILS5_5ELb0ES3_mN6thrust23THRUST_200600_302600_NS6detail15normal_iteratorINSA_10device_ptrIfEEEEPS6_NSA_18transform_iteratorINSB_9not_fun_tINSA_8identityIfEEEESF_NSA_11use_defaultESM_EENS0_5tupleIJSF_S6_EEENSO_IJSG_SG_EEES6_PlJS6_EEE10hipError_tPvRmT3_T4_T5_T6_T7_T9_mT8_P12ihipStream_tbDpT10_ENKUlT_T0_E_clISt17integral_constantIbLb1EES1A_IbLb0EEEEDaS16_S17_EUlS16_E_NS1_11comp_targetILNS1_3genE2ELNS1_11target_archE906ELNS1_3gpuE6ELNS1_3repE0EEENS1_30default_config_static_selectorELNS0_4arch9wavefront6targetE0EEEvT1_,comdat
	.protected	_ZN7rocprim17ROCPRIM_400000_NS6detail17trampoline_kernelINS0_14default_configENS1_25partition_config_selectorILNS1_17partition_subalgoE5EfNS0_10empty_typeEbEEZZNS1_14partition_implILS5_5ELb0ES3_mN6thrust23THRUST_200600_302600_NS6detail15normal_iteratorINSA_10device_ptrIfEEEEPS6_NSA_18transform_iteratorINSB_9not_fun_tINSA_8identityIfEEEESF_NSA_11use_defaultESM_EENS0_5tupleIJSF_S6_EEENSO_IJSG_SG_EEES6_PlJS6_EEE10hipError_tPvRmT3_T4_T5_T6_T7_T9_mT8_P12ihipStream_tbDpT10_ENKUlT_T0_E_clISt17integral_constantIbLb1EES1A_IbLb0EEEEDaS16_S17_EUlS16_E_NS1_11comp_targetILNS1_3genE2ELNS1_11target_archE906ELNS1_3gpuE6ELNS1_3repE0EEENS1_30default_config_static_selectorELNS0_4arch9wavefront6targetE0EEEvT1_ ; -- Begin function _ZN7rocprim17ROCPRIM_400000_NS6detail17trampoline_kernelINS0_14default_configENS1_25partition_config_selectorILNS1_17partition_subalgoE5EfNS0_10empty_typeEbEEZZNS1_14partition_implILS5_5ELb0ES3_mN6thrust23THRUST_200600_302600_NS6detail15normal_iteratorINSA_10device_ptrIfEEEEPS6_NSA_18transform_iteratorINSB_9not_fun_tINSA_8identityIfEEEESF_NSA_11use_defaultESM_EENS0_5tupleIJSF_S6_EEENSO_IJSG_SG_EEES6_PlJS6_EEE10hipError_tPvRmT3_T4_T5_T6_T7_T9_mT8_P12ihipStream_tbDpT10_ENKUlT_T0_E_clISt17integral_constantIbLb1EES1A_IbLb0EEEEDaS16_S17_EUlS16_E_NS1_11comp_targetILNS1_3genE2ELNS1_11target_archE906ELNS1_3gpuE6ELNS1_3repE0EEENS1_30default_config_static_selectorELNS0_4arch9wavefront6targetE0EEEvT1_
	.globl	_ZN7rocprim17ROCPRIM_400000_NS6detail17trampoline_kernelINS0_14default_configENS1_25partition_config_selectorILNS1_17partition_subalgoE5EfNS0_10empty_typeEbEEZZNS1_14partition_implILS5_5ELb0ES3_mN6thrust23THRUST_200600_302600_NS6detail15normal_iteratorINSA_10device_ptrIfEEEEPS6_NSA_18transform_iteratorINSB_9not_fun_tINSA_8identityIfEEEESF_NSA_11use_defaultESM_EENS0_5tupleIJSF_S6_EEENSO_IJSG_SG_EEES6_PlJS6_EEE10hipError_tPvRmT3_T4_T5_T6_T7_T9_mT8_P12ihipStream_tbDpT10_ENKUlT_T0_E_clISt17integral_constantIbLb1EES1A_IbLb0EEEEDaS16_S17_EUlS16_E_NS1_11comp_targetILNS1_3genE2ELNS1_11target_archE906ELNS1_3gpuE6ELNS1_3repE0EEENS1_30default_config_static_selectorELNS0_4arch9wavefront6targetE0EEEvT1_
	.p2align	8
	.type	_ZN7rocprim17ROCPRIM_400000_NS6detail17trampoline_kernelINS0_14default_configENS1_25partition_config_selectorILNS1_17partition_subalgoE5EfNS0_10empty_typeEbEEZZNS1_14partition_implILS5_5ELb0ES3_mN6thrust23THRUST_200600_302600_NS6detail15normal_iteratorINSA_10device_ptrIfEEEEPS6_NSA_18transform_iteratorINSB_9not_fun_tINSA_8identityIfEEEESF_NSA_11use_defaultESM_EENS0_5tupleIJSF_S6_EEENSO_IJSG_SG_EEES6_PlJS6_EEE10hipError_tPvRmT3_T4_T5_T6_T7_T9_mT8_P12ihipStream_tbDpT10_ENKUlT_T0_E_clISt17integral_constantIbLb1EES1A_IbLb0EEEEDaS16_S17_EUlS16_E_NS1_11comp_targetILNS1_3genE2ELNS1_11target_archE906ELNS1_3gpuE6ELNS1_3repE0EEENS1_30default_config_static_selectorELNS0_4arch9wavefront6targetE0EEEvT1_,@function
_ZN7rocprim17ROCPRIM_400000_NS6detail17trampoline_kernelINS0_14default_configENS1_25partition_config_selectorILNS1_17partition_subalgoE5EfNS0_10empty_typeEbEEZZNS1_14partition_implILS5_5ELb0ES3_mN6thrust23THRUST_200600_302600_NS6detail15normal_iteratorINSA_10device_ptrIfEEEEPS6_NSA_18transform_iteratorINSB_9not_fun_tINSA_8identityIfEEEESF_NSA_11use_defaultESM_EENS0_5tupleIJSF_S6_EEENSO_IJSG_SG_EEES6_PlJS6_EEE10hipError_tPvRmT3_T4_T5_T6_T7_T9_mT8_P12ihipStream_tbDpT10_ENKUlT_T0_E_clISt17integral_constantIbLb1EES1A_IbLb0EEEEDaS16_S17_EUlS16_E_NS1_11comp_targetILNS1_3genE2ELNS1_11target_archE906ELNS1_3gpuE6ELNS1_3repE0EEENS1_30default_config_static_selectorELNS0_4arch9wavefront6targetE0EEEvT1_: ; @_ZN7rocprim17ROCPRIM_400000_NS6detail17trampoline_kernelINS0_14default_configENS1_25partition_config_selectorILNS1_17partition_subalgoE5EfNS0_10empty_typeEbEEZZNS1_14partition_implILS5_5ELb0ES3_mN6thrust23THRUST_200600_302600_NS6detail15normal_iteratorINSA_10device_ptrIfEEEEPS6_NSA_18transform_iteratorINSB_9not_fun_tINSA_8identityIfEEEESF_NSA_11use_defaultESM_EENS0_5tupleIJSF_S6_EEENSO_IJSG_SG_EEES6_PlJS6_EEE10hipError_tPvRmT3_T4_T5_T6_T7_T9_mT8_P12ihipStream_tbDpT10_ENKUlT_T0_E_clISt17integral_constantIbLb1EES1A_IbLb0EEEEDaS16_S17_EUlS16_E_NS1_11comp_targetILNS1_3genE2ELNS1_11target_archE906ELNS1_3gpuE6ELNS1_3repE0EEENS1_30default_config_static_selectorELNS0_4arch9wavefront6targetE0EEEvT1_
; %bb.0:
	.section	.rodata,"a",@progbits
	.p2align	6, 0x0
	.amdhsa_kernel _ZN7rocprim17ROCPRIM_400000_NS6detail17trampoline_kernelINS0_14default_configENS1_25partition_config_selectorILNS1_17partition_subalgoE5EfNS0_10empty_typeEbEEZZNS1_14partition_implILS5_5ELb0ES3_mN6thrust23THRUST_200600_302600_NS6detail15normal_iteratorINSA_10device_ptrIfEEEEPS6_NSA_18transform_iteratorINSB_9not_fun_tINSA_8identityIfEEEESF_NSA_11use_defaultESM_EENS0_5tupleIJSF_S6_EEENSO_IJSG_SG_EEES6_PlJS6_EEE10hipError_tPvRmT3_T4_T5_T6_T7_T9_mT8_P12ihipStream_tbDpT10_ENKUlT_T0_E_clISt17integral_constantIbLb1EES1A_IbLb0EEEEDaS16_S17_EUlS16_E_NS1_11comp_targetILNS1_3genE2ELNS1_11target_archE906ELNS1_3gpuE6ELNS1_3repE0EEENS1_30default_config_static_selectorELNS0_4arch9wavefront6targetE0EEEvT1_
		.amdhsa_group_segment_fixed_size 0
		.amdhsa_private_segment_fixed_size 0
		.amdhsa_kernarg_size 120
		.amdhsa_user_sgpr_count 2
		.amdhsa_user_sgpr_dispatch_ptr 0
		.amdhsa_user_sgpr_queue_ptr 0
		.amdhsa_user_sgpr_kernarg_segment_ptr 1
		.amdhsa_user_sgpr_dispatch_id 0
		.amdhsa_user_sgpr_private_segment_size 0
		.amdhsa_wavefront_size32 1
		.amdhsa_uses_dynamic_stack 0
		.amdhsa_enable_private_segment 0
		.amdhsa_system_sgpr_workgroup_id_x 1
		.amdhsa_system_sgpr_workgroup_id_y 0
		.amdhsa_system_sgpr_workgroup_id_z 0
		.amdhsa_system_sgpr_workgroup_info 0
		.amdhsa_system_vgpr_workitem_id 0
		.amdhsa_next_free_vgpr 1
		.amdhsa_next_free_sgpr 1
		.amdhsa_reserve_vcc 0
		.amdhsa_float_round_mode_32 0
		.amdhsa_float_round_mode_16_64 0
		.amdhsa_float_denorm_mode_32 3
		.amdhsa_float_denorm_mode_16_64 3
		.amdhsa_fp16_overflow 0
		.amdhsa_workgroup_processor_mode 1
		.amdhsa_memory_ordered 1
		.amdhsa_forward_progress 1
		.amdhsa_inst_pref_size 0
		.amdhsa_round_robin_scheduling 0
		.amdhsa_exception_fp_ieee_invalid_op 0
		.amdhsa_exception_fp_denorm_src 0
		.amdhsa_exception_fp_ieee_div_zero 0
		.amdhsa_exception_fp_ieee_overflow 0
		.amdhsa_exception_fp_ieee_underflow 0
		.amdhsa_exception_fp_ieee_inexact 0
		.amdhsa_exception_int_div_zero 0
	.end_amdhsa_kernel
	.section	.text._ZN7rocprim17ROCPRIM_400000_NS6detail17trampoline_kernelINS0_14default_configENS1_25partition_config_selectorILNS1_17partition_subalgoE5EfNS0_10empty_typeEbEEZZNS1_14partition_implILS5_5ELb0ES3_mN6thrust23THRUST_200600_302600_NS6detail15normal_iteratorINSA_10device_ptrIfEEEEPS6_NSA_18transform_iteratorINSB_9not_fun_tINSA_8identityIfEEEESF_NSA_11use_defaultESM_EENS0_5tupleIJSF_S6_EEENSO_IJSG_SG_EEES6_PlJS6_EEE10hipError_tPvRmT3_T4_T5_T6_T7_T9_mT8_P12ihipStream_tbDpT10_ENKUlT_T0_E_clISt17integral_constantIbLb1EES1A_IbLb0EEEEDaS16_S17_EUlS16_E_NS1_11comp_targetILNS1_3genE2ELNS1_11target_archE906ELNS1_3gpuE6ELNS1_3repE0EEENS1_30default_config_static_selectorELNS0_4arch9wavefront6targetE0EEEvT1_,"axG",@progbits,_ZN7rocprim17ROCPRIM_400000_NS6detail17trampoline_kernelINS0_14default_configENS1_25partition_config_selectorILNS1_17partition_subalgoE5EfNS0_10empty_typeEbEEZZNS1_14partition_implILS5_5ELb0ES3_mN6thrust23THRUST_200600_302600_NS6detail15normal_iteratorINSA_10device_ptrIfEEEEPS6_NSA_18transform_iteratorINSB_9not_fun_tINSA_8identityIfEEEESF_NSA_11use_defaultESM_EENS0_5tupleIJSF_S6_EEENSO_IJSG_SG_EEES6_PlJS6_EEE10hipError_tPvRmT3_T4_T5_T6_T7_T9_mT8_P12ihipStream_tbDpT10_ENKUlT_T0_E_clISt17integral_constantIbLb1EES1A_IbLb0EEEEDaS16_S17_EUlS16_E_NS1_11comp_targetILNS1_3genE2ELNS1_11target_archE906ELNS1_3gpuE6ELNS1_3repE0EEENS1_30default_config_static_selectorELNS0_4arch9wavefront6targetE0EEEvT1_,comdat
.Lfunc_end841:
	.size	_ZN7rocprim17ROCPRIM_400000_NS6detail17trampoline_kernelINS0_14default_configENS1_25partition_config_selectorILNS1_17partition_subalgoE5EfNS0_10empty_typeEbEEZZNS1_14partition_implILS5_5ELb0ES3_mN6thrust23THRUST_200600_302600_NS6detail15normal_iteratorINSA_10device_ptrIfEEEEPS6_NSA_18transform_iteratorINSB_9not_fun_tINSA_8identityIfEEEESF_NSA_11use_defaultESM_EENS0_5tupleIJSF_S6_EEENSO_IJSG_SG_EEES6_PlJS6_EEE10hipError_tPvRmT3_T4_T5_T6_T7_T9_mT8_P12ihipStream_tbDpT10_ENKUlT_T0_E_clISt17integral_constantIbLb1EES1A_IbLb0EEEEDaS16_S17_EUlS16_E_NS1_11comp_targetILNS1_3genE2ELNS1_11target_archE906ELNS1_3gpuE6ELNS1_3repE0EEENS1_30default_config_static_selectorELNS0_4arch9wavefront6targetE0EEEvT1_, .Lfunc_end841-_ZN7rocprim17ROCPRIM_400000_NS6detail17trampoline_kernelINS0_14default_configENS1_25partition_config_selectorILNS1_17partition_subalgoE5EfNS0_10empty_typeEbEEZZNS1_14partition_implILS5_5ELb0ES3_mN6thrust23THRUST_200600_302600_NS6detail15normal_iteratorINSA_10device_ptrIfEEEEPS6_NSA_18transform_iteratorINSB_9not_fun_tINSA_8identityIfEEEESF_NSA_11use_defaultESM_EENS0_5tupleIJSF_S6_EEENSO_IJSG_SG_EEES6_PlJS6_EEE10hipError_tPvRmT3_T4_T5_T6_T7_T9_mT8_P12ihipStream_tbDpT10_ENKUlT_T0_E_clISt17integral_constantIbLb1EES1A_IbLb0EEEEDaS16_S17_EUlS16_E_NS1_11comp_targetILNS1_3genE2ELNS1_11target_archE906ELNS1_3gpuE6ELNS1_3repE0EEENS1_30default_config_static_selectorELNS0_4arch9wavefront6targetE0EEEvT1_
                                        ; -- End function
	.set _ZN7rocprim17ROCPRIM_400000_NS6detail17trampoline_kernelINS0_14default_configENS1_25partition_config_selectorILNS1_17partition_subalgoE5EfNS0_10empty_typeEbEEZZNS1_14partition_implILS5_5ELb0ES3_mN6thrust23THRUST_200600_302600_NS6detail15normal_iteratorINSA_10device_ptrIfEEEEPS6_NSA_18transform_iteratorINSB_9not_fun_tINSA_8identityIfEEEESF_NSA_11use_defaultESM_EENS0_5tupleIJSF_S6_EEENSO_IJSG_SG_EEES6_PlJS6_EEE10hipError_tPvRmT3_T4_T5_T6_T7_T9_mT8_P12ihipStream_tbDpT10_ENKUlT_T0_E_clISt17integral_constantIbLb1EES1A_IbLb0EEEEDaS16_S17_EUlS16_E_NS1_11comp_targetILNS1_3genE2ELNS1_11target_archE906ELNS1_3gpuE6ELNS1_3repE0EEENS1_30default_config_static_selectorELNS0_4arch9wavefront6targetE0EEEvT1_.num_vgpr, 0
	.set _ZN7rocprim17ROCPRIM_400000_NS6detail17trampoline_kernelINS0_14default_configENS1_25partition_config_selectorILNS1_17partition_subalgoE5EfNS0_10empty_typeEbEEZZNS1_14partition_implILS5_5ELb0ES3_mN6thrust23THRUST_200600_302600_NS6detail15normal_iteratorINSA_10device_ptrIfEEEEPS6_NSA_18transform_iteratorINSB_9not_fun_tINSA_8identityIfEEEESF_NSA_11use_defaultESM_EENS0_5tupleIJSF_S6_EEENSO_IJSG_SG_EEES6_PlJS6_EEE10hipError_tPvRmT3_T4_T5_T6_T7_T9_mT8_P12ihipStream_tbDpT10_ENKUlT_T0_E_clISt17integral_constantIbLb1EES1A_IbLb0EEEEDaS16_S17_EUlS16_E_NS1_11comp_targetILNS1_3genE2ELNS1_11target_archE906ELNS1_3gpuE6ELNS1_3repE0EEENS1_30default_config_static_selectorELNS0_4arch9wavefront6targetE0EEEvT1_.num_agpr, 0
	.set _ZN7rocprim17ROCPRIM_400000_NS6detail17trampoline_kernelINS0_14default_configENS1_25partition_config_selectorILNS1_17partition_subalgoE5EfNS0_10empty_typeEbEEZZNS1_14partition_implILS5_5ELb0ES3_mN6thrust23THRUST_200600_302600_NS6detail15normal_iteratorINSA_10device_ptrIfEEEEPS6_NSA_18transform_iteratorINSB_9not_fun_tINSA_8identityIfEEEESF_NSA_11use_defaultESM_EENS0_5tupleIJSF_S6_EEENSO_IJSG_SG_EEES6_PlJS6_EEE10hipError_tPvRmT3_T4_T5_T6_T7_T9_mT8_P12ihipStream_tbDpT10_ENKUlT_T0_E_clISt17integral_constantIbLb1EES1A_IbLb0EEEEDaS16_S17_EUlS16_E_NS1_11comp_targetILNS1_3genE2ELNS1_11target_archE906ELNS1_3gpuE6ELNS1_3repE0EEENS1_30default_config_static_selectorELNS0_4arch9wavefront6targetE0EEEvT1_.numbered_sgpr, 0
	.set _ZN7rocprim17ROCPRIM_400000_NS6detail17trampoline_kernelINS0_14default_configENS1_25partition_config_selectorILNS1_17partition_subalgoE5EfNS0_10empty_typeEbEEZZNS1_14partition_implILS5_5ELb0ES3_mN6thrust23THRUST_200600_302600_NS6detail15normal_iteratorINSA_10device_ptrIfEEEEPS6_NSA_18transform_iteratorINSB_9not_fun_tINSA_8identityIfEEEESF_NSA_11use_defaultESM_EENS0_5tupleIJSF_S6_EEENSO_IJSG_SG_EEES6_PlJS6_EEE10hipError_tPvRmT3_T4_T5_T6_T7_T9_mT8_P12ihipStream_tbDpT10_ENKUlT_T0_E_clISt17integral_constantIbLb1EES1A_IbLb0EEEEDaS16_S17_EUlS16_E_NS1_11comp_targetILNS1_3genE2ELNS1_11target_archE906ELNS1_3gpuE6ELNS1_3repE0EEENS1_30default_config_static_selectorELNS0_4arch9wavefront6targetE0EEEvT1_.num_named_barrier, 0
	.set _ZN7rocprim17ROCPRIM_400000_NS6detail17trampoline_kernelINS0_14default_configENS1_25partition_config_selectorILNS1_17partition_subalgoE5EfNS0_10empty_typeEbEEZZNS1_14partition_implILS5_5ELb0ES3_mN6thrust23THRUST_200600_302600_NS6detail15normal_iteratorINSA_10device_ptrIfEEEEPS6_NSA_18transform_iteratorINSB_9not_fun_tINSA_8identityIfEEEESF_NSA_11use_defaultESM_EENS0_5tupleIJSF_S6_EEENSO_IJSG_SG_EEES6_PlJS6_EEE10hipError_tPvRmT3_T4_T5_T6_T7_T9_mT8_P12ihipStream_tbDpT10_ENKUlT_T0_E_clISt17integral_constantIbLb1EES1A_IbLb0EEEEDaS16_S17_EUlS16_E_NS1_11comp_targetILNS1_3genE2ELNS1_11target_archE906ELNS1_3gpuE6ELNS1_3repE0EEENS1_30default_config_static_selectorELNS0_4arch9wavefront6targetE0EEEvT1_.private_seg_size, 0
	.set _ZN7rocprim17ROCPRIM_400000_NS6detail17trampoline_kernelINS0_14default_configENS1_25partition_config_selectorILNS1_17partition_subalgoE5EfNS0_10empty_typeEbEEZZNS1_14partition_implILS5_5ELb0ES3_mN6thrust23THRUST_200600_302600_NS6detail15normal_iteratorINSA_10device_ptrIfEEEEPS6_NSA_18transform_iteratorINSB_9not_fun_tINSA_8identityIfEEEESF_NSA_11use_defaultESM_EENS0_5tupleIJSF_S6_EEENSO_IJSG_SG_EEES6_PlJS6_EEE10hipError_tPvRmT3_T4_T5_T6_T7_T9_mT8_P12ihipStream_tbDpT10_ENKUlT_T0_E_clISt17integral_constantIbLb1EES1A_IbLb0EEEEDaS16_S17_EUlS16_E_NS1_11comp_targetILNS1_3genE2ELNS1_11target_archE906ELNS1_3gpuE6ELNS1_3repE0EEENS1_30default_config_static_selectorELNS0_4arch9wavefront6targetE0EEEvT1_.uses_vcc, 0
	.set _ZN7rocprim17ROCPRIM_400000_NS6detail17trampoline_kernelINS0_14default_configENS1_25partition_config_selectorILNS1_17partition_subalgoE5EfNS0_10empty_typeEbEEZZNS1_14partition_implILS5_5ELb0ES3_mN6thrust23THRUST_200600_302600_NS6detail15normal_iteratorINSA_10device_ptrIfEEEEPS6_NSA_18transform_iteratorINSB_9not_fun_tINSA_8identityIfEEEESF_NSA_11use_defaultESM_EENS0_5tupleIJSF_S6_EEENSO_IJSG_SG_EEES6_PlJS6_EEE10hipError_tPvRmT3_T4_T5_T6_T7_T9_mT8_P12ihipStream_tbDpT10_ENKUlT_T0_E_clISt17integral_constantIbLb1EES1A_IbLb0EEEEDaS16_S17_EUlS16_E_NS1_11comp_targetILNS1_3genE2ELNS1_11target_archE906ELNS1_3gpuE6ELNS1_3repE0EEENS1_30default_config_static_selectorELNS0_4arch9wavefront6targetE0EEEvT1_.uses_flat_scratch, 0
	.set _ZN7rocprim17ROCPRIM_400000_NS6detail17trampoline_kernelINS0_14default_configENS1_25partition_config_selectorILNS1_17partition_subalgoE5EfNS0_10empty_typeEbEEZZNS1_14partition_implILS5_5ELb0ES3_mN6thrust23THRUST_200600_302600_NS6detail15normal_iteratorINSA_10device_ptrIfEEEEPS6_NSA_18transform_iteratorINSB_9not_fun_tINSA_8identityIfEEEESF_NSA_11use_defaultESM_EENS0_5tupleIJSF_S6_EEENSO_IJSG_SG_EEES6_PlJS6_EEE10hipError_tPvRmT3_T4_T5_T6_T7_T9_mT8_P12ihipStream_tbDpT10_ENKUlT_T0_E_clISt17integral_constantIbLb1EES1A_IbLb0EEEEDaS16_S17_EUlS16_E_NS1_11comp_targetILNS1_3genE2ELNS1_11target_archE906ELNS1_3gpuE6ELNS1_3repE0EEENS1_30default_config_static_selectorELNS0_4arch9wavefront6targetE0EEEvT1_.has_dyn_sized_stack, 0
	.set _ZN7rocprim17ROCPRIM_400000_NS6detail17trampoline_kernelINS0_14default_configENS1_25partition_config_selectorILNS1_17partition_subalgoE5EfNS0_10empty_typeEbEEZZNS1_14partition_implILS5_5ELb0ES3_mN6thrust23THRUST_200600_302600_NS6detail15normal_iteratorINSA_10device_ptrIfEEEEPS6_NSA_18transform_iteratorINSB_9not_fun_tINSA_8identityIfEEEESF_NSA_11use_defaultESM_EENS0_5tupleIJSF_S6_EEENSO_IJSG_SG_EEES6_PlJS6_EEE10hipError_tPvRmT3_T4_T5_T6_T7_T9_mT8_P12ihipStream_tbDpT10_ENKUlT_T0_E_clISt17integral_constantIbLb1EES1A_IbLb0EEEEDaS16_S17_EUlS16_E_NS1_11comp_targetILNS1_3genE2ELNS1_11target_archE906ELNS1_3gpuE6ELNS1_3repE0EEENS1_30default_config_static_selectorELNS0_4arch9wavefront6targetE0EEEvT1_.has_recursion, 0
	.set _ZN7rocprim17ROCPRIM_400000_NS6detail17trampoline_kernelINS0_14default_configENS1_25partition_config_selectorILNS1_17partition_subalgoE5EfNS0_10empty_typeEbEEZZNS1_14partition_implILS5_5ELb0ES3_mN6thrust23THRUST_200600_302600_NS6detail15normal_iteratorINSA_10device_ptrIfEEEEPS6_NSA_18transform_iteratorINSB_9not_fun_tINSA_8identityIfEEEESF_NSA_11use_defaultESM_EENS0_5tupleIJSF_S6_EEENSO_IJSG_SG_EEES6_PlJS6_EEE10hipError_tPvRmT3_T4_T5_T6_T7_T9_mT8_P12ihipStream_tbDpT10_ENKUlT_T0_E_clISt17integral_constantIbLb1EES1A_IbLb0EEEEDaS16_S17_EUlS16_E_NS1_11comp_targetILNS1_3genE2ELNS1_11target_archE906ELNS1_3gpuE6ELNS1_3repE0EEENS1_30default_config_static_selectorELNS0_4arch9wavefront6targetE0EEEvT1_.has_indirect_call, 0
	.section	.AMDGPU.csdata,"",@progbits
; Kernel info:
; codeLenInByte = 0
; TotalNumSgprs: 0
; NumVgprs: 0
; ScratchSize: 0
; MemoryBound: 0
; FloatMode: 240
; IeeeMode: 1
; LDSByteSize: 0 bytes/workgroup (compile time only)
; SGPRBlocks: 0
; VGPRBlocks: 0
; NumSGPRsForWavesPerEU: 1
; NumVGPRsForWavesPerEU: 1
; Occupancy: 16
; WaveLimiterHint : 0
; COMPUTE_PGM_RSRC2:SCRATCH_EN: 0
; COMPUTE_PGM_RSRC2:USER_SGPR: 2
; COMPUTE_PGM_RSRC2:TRAP_HANDLER: 0
; COMPUTE_PGM_RSRC2:TGID_X_EN: 1
; COMPUTE_PGM_RSRC2:TGID_Y_EN: 0
; COMPUTE_PGM_RSRC2:TGID_Z_EN: 0
; COMPUTE_PGM_RSRC2:TIDIG_COMP_CNT: 0
	.section	.text._ZN7rocprim17ROCPRIM_400000_NS6detail17trampoline_kernelINS0_14default_configENS1_25partition_config_selectorILNS1_17partition_subalgoE5EfNS0_10empty_typeEbEEZZNS1_14partition_implILS5_5ELb0ES3_mN6thrust23THRUST_200600_302600_NS6detail15normal_iteratorINSA_10device_ptrIfEEEEPS6_NSA_18transform_iteratorINSB_9not_fun_tINSA_8identityIfEEEESF_NSA_11use_defaultESM_EENS0_5tupleIJSF_S6_EEENSO_IJSG_SG_EEES6_PlJS6_EEE10hipError_tPvRmT3_T4_T5_T6_T7_T9_mT8_P12ihipStream_tbDpT10_ENKUlT_T0_E_clISt17integral_constantIbLb1EES1A_IbLb0EEEEDaS16_S17_EUlS16_E_NS1_11comp_targetILNS1_3genE10ELNS1_11target_archE1200ELNS1_3gpuE4ELNS1_3repE0EEENS1_30default_config_static_selectorELNS0_4arch9wavefront6targetE0EEEvT1_,"axG",@progbits,_ZN7rocprim17ROCPRIM_400000_NS6detail17trampoline_kernelINS0_14default_configENS1_25partition_config_selectorILNS1_17partition_subalgoE5EfNS0_10empty_typeEbEEZZNS1_14partition_implILS5_5ELb0ES3_mN6thrust23THRUST_200600_302600_NS6detail15normal_iteratorINSA_10device_ptrIfEEEEPS6_NSA_18transform_iteratorINSB_9not_fun_tINSA_8identityIfEEEESF_NSA_11use_defaultESM_EENS0_5tupleIJSF_S6_EEENSO_IJSG_SG_EEES6_PlJS6_EEE10hipError_tPvRmT3_T4_T5_T6_T7_T9_mT8_P12ihipStream_tbDpT10_ENKUlT_T0_E_clISt17integral_constantIbLb1EES1A_IbLb0EEEEDaS16_S17_EUlS16_E_NS1_11comp_targetILNS1_3genE10ELNS1_11target_archE1200ELNS1_3gpuE4ELNS1_3repE0EEENS1_30default_config_static_selectorELNS0_4arch9wavefront6targetE0EEEvT1_,comdat
	.protected	_ZN7rocprim17ROCPRIM_400000_NS6detail17trampoline_kernelINS0_14default_configENS1_25partition_config_selectorILNS1_17partition_subalgoE5EfNS0_10empty_typeEbEEZZNS1_14partition_implILS5_5ELb0ES3_mN6thrust23THRUST_200600_302600_NS6detail15normal_iteratorINSA_10device_ptrIfEEEEPS6_NSA_18transform_iteratorINSB_9not_fun_tINSA_8identityIfEEEESF_NSA_11use_defaultESM_EENS0_5tupleIJSF_S6_EEENSO_IJSG_SG_EEES6_PlJS6_EEE10hipError_tPvRmT3_T4_T5_T6_T7_T9_mT8_P12ihipStream_tbDpT10_ENKUlT_T0_E_clISt17integral_constantIbLb1EES1A_IbLb0EEEEDaS16_S17_EUlS16_E_NS1_11comp_targetILNS1_3genE10ELNS1_11target_archE1200ELNS1_3gpuE4ELNS1_3repE0EEENS1_30default_config_static_selectorELNS0_4arch9wavefront6targetE0EEEvT1_ ; -- Begin function _ZN7rocprim17ROCPRIM_400000_NS6detail17trampoline_kernelINS0_14default_configENS1_25partition_config_selectorILNS1_17partition_subalgoE5EfNS0_10empty_typeEbEEZZNS1_14partition_implILS5_5ELb0ES3_mN6thrust23THRUST_200600_302600_NS6detail15normal_iteratorINSA_10device_ptrIfEEEEPS6_NSA_18transform_iteratorINSB_9not_fun_tINSA_8identityIfEEEESF_NSA_11use_defaultESM_EENS0_5tupleIJSF_S6_EEENSO_IJSG_SG_EEES6_PlJS6_EEE10hipError_tPvRmT3_T4_T5_T6_T7_T9_mT8_P12ihipStream_tbDpT10_ENKUlT_T0_E_clISt17integral_constantIbLb1EES1A_IbLb0EEEEDaS16_S17_EUlS16_E_NS1_11comp_targetILNS1_3genE10ELNS1_11target_archE1200ELNS1_3gpuE4ELNS1_3repE0EEENS1_30default_config_static_selectorELNS0_4arch9wavefront6targetE0EEEvT1_
	.globl	_ZN7rocprim17ROCPRIM_400000_NS6detail17trampoline_kernelINS0_14default_configENS1_25partition_config_selectorILNS1_17partition_subalgoE5EfNS0_10empty_typeEbEEZZNS1_14partition_implILS5_5ELb0ES3_mN6thrust23THRUST_200600_302600_NS6detail15normal_iteratorINSA_10device_ptrIfEEEEPS6_NSA_18transform_iteratorINSB_9not_fun_tINSA_8identityIfEEEESF_NSA_11use_defaultESM_EENS0_5tupleIJSF_S6_EEENSO_IJSG_SG_EEES6_PlJS6_EEE10hipError_tPvRmT3_T4_T5_T6_T7_T9_mT8_P12ihipStream_tbDpT10_ENKUlT_T0_E_clISt17integral_constantIbLb1EES1A_IbLb0EEEEDaS16_S17_EUlS16_E_NS1_11comp_targetILNS1_3genE10ELNS1_11target_archE1200ELNS1_3gpuE4ELNS1_3repE0EEENS1_30default_config_static_selectorELNS0_4arch9wavefront6targetE0EEEvT1_
	.p2align	8
	.type	_ZN7rocprim17ROCPRIM_400000_NS6detail17trampoline_kernelINS0_14default_configENS1_25partition_config_selectorILNS1_17partition_subalgoE5EfNS0_10empty_typeEbEEZZNS1_14partition_implILS5_5ELb0ES3_mN6thrust23THRUST_200600_302600_NS6detail15normal_iteratorINSA_10device_ptrIfEEEEPS6_NSA_18transform_iteratorINSB_9not_fun_tINSA_8identityIfEEEESF_NSA_11use_defaultESM_EENS0_5tupleIJSF_S6_EEENSO_IJSG_SG_EEES6_PlJS6_EEE10hipError_tPvRmT3_T4_T5_T6_T7_T9_mT8_P12ihipStream_tbDpT10_ENKUlT_T0_E_clISt17integral_constantIbLb1EES1A_IbLb0EEEEDaS16_S17_EUlS16_E_NS1_11comp_targetILNS1_3genE10ELNS1_11target_archE1200ELNS1_3gpuE4ELNS1_3repE0EEENS1_30default_config_static_selectorELNS0_4arch9wavefront6targetE0EEEvT1_,@function
_ZN7rocprim17ROCPRIM_400000_NS6detail17trampoline_kernelINS0_14default_configENS1_25partition_config_selectorILNS1_17partition_subalgoE5EfNS0_10empty_typeEbEEZZNS1_14partition_implILS5_5ELb0ES3_mN6thrust23THRUST_200600_302600_NS6detail15normal_iteratorINSA_10device_ptrIfEEEEPS6_NSA_18transform_iteratorINSB_9not_fun_tINSA_8identityIfEEEESF_NSA_11use_defaultESM_EENS0_5tupleIJSF_S6_EEENSO_IJSG_SG_EEES6_PlJS6_EEE10hipError_tPvRmT3_T4_T5_T6_T7_T9_mT8_P12ihipStream_tbDpT10_ENKUlT_T0_E_clISt17integral_constantIbLb1EES1A_IbLb0EEEEDaS16_S17_EUlS16_E_NS1_11comp_targetILNS1_3genE10ELNS1_11target_archE1200ELNS1_3gpuE4ELNS1_3repE0EEENS1_30default_config_static_selectorELNS0_4arch9wavefront6targetE0EEEvT1_: ; @_ZN7rocprim17ROCPRIM_400000_NS6detail17trampoline_kernelINS0_14default_configENS1_25partition_config_selectorILNS1_17partition_subalgoE5EfNS0_10empty_typeEbEEZZNS1_14partition_implILS5_5ELb0ES3_mN6thrust23THRUST_200600_302600_NS6detail15normal_iteratorINSA_10device_ptrIfEEEEPS6_NSA_18transform_iteratorINSB_9not_fun_tINSA_8identityIfEEEESF_NSA_11use_defaultESM_EENS0_5tupleIJSF_S6_EEENSO_IJSG_SG_EEES6_PlJS6_EEE10hipError_tPvRmT3_T4_T5_T6_T7_T9_mT8_P12ihipStream_tbDpT10_ENKUlT_T0_E_clISt17integral_constantIbLb1EES1A_IbLb0EEEEDaS16_S17_EUlS16_E_NS1_11comp_targetILNS1_3genE10ELNS1_11target_archE1200ELNS1_3gpuE4ELNS1_3repE0EEENS1_30default_config_static_selectorELNS0_4arch9wavefront6targetE0EEEvT1_
; %bb.0:
	s_endpgm
	.section	.rodata,"a",@progbits
	.p2align	6, 0x0
	.amdhsa_kernel _ZN7rocprim17ROCPRIM_400000_NS6detail17trampoline_kernelINS0_14default_configENS1_25partition_config_selectorILNS1_17partition_subalgoE5EfNS0_10empty_typeEbEEZZNS1_14partition_implILS5_5ELb0ES3_mN6thrust23THRUST_200600_302600_NS6detail15normal_iteratorINSA_10device_ptrIfEEEEPS6_NSA_18transform_iteratorINSB_9not_fun_tINSA_8identityIfEEEESF_NSA_11use_defaultESM_EENS0_5tupleIJSF_S6_EEENSO_IJSG_SG_EEES6_PlJS6_EEE10hipError_tPvRmT3_T4_T5_T6_T7_T9_mT8_P12ihipStream_tbDpT10_ENKUlT_T0_E_clISt17integral_constantIbLb1EES1A_IbLb0EEEEDaS16_S17_EUlS16_E_NS1_11comp_targetILNS1_3genE10ELNS1_11target_archE1200ELNS1_3gpuE4ELNS1_3repE0EEENS1_30default_config_static_selectorELNS0_4arch9wavefront6targetE0EEEvT1_
		.amdhsa_group_segment_fixed_size 0
		.amdhsa_private_segment_fixed_size 0
		.amdhsa_kernarg_size 120
		.amdhsa_user_sgpr_count 2
		.amdhsa_user_sgpr_dispatch_ptr 0
		.amdhsa_user_sgpr_queue_ptr 0
		.amdhsa_user_sgpr_kernarg_segment_ptr 1
		.amdhsa_user_sgpr_dispatch_id 0
		.amdhsa_user_sgpr_private_segment_size 0
		.amdhsa_wavefront_size32 1
		.amdhsa_uses_dynamic_stack 0
		.amdhsa_enable_private_segment 0
		.amdhsa_system_sgpr_workgroup_id_x 1
		.amdhsa_system_sgpr_workgroup_id_y 0
		.amdhsa_system_sgpr_workgroup_id_z 0
		.amdhsa_system_sgpr_workgroup_info 0
		.amdhsa_system_vgpr_workitem_id 0
		.amdhsa_next_free_vgpr 1
		.amdhsa_next_free_sgpr 1
		.amdhsa_reserve_vcc 0
		.amdhsa_float_round_mode_32 0
		.amdhsa_float_round_mode_16_64 0
		.amdhsa_float_denorm_mode_32 3
		.amdhsa_float_denorm_mode_16_64 3
		.amdhsa_fp16_overflow 0
		.amdhsa_workgroup_processor_mode 1
		.amdhsa_memory_ordered 1
		.amdhsa_forward_progress 1
		.amdhsa_inst_pref_size 1
		.amdhsa_round_robin_scheduling 0
		.amdhsa_exception_fp_ieee_invalid_op 0
		.amdhsa_exception_fp_denorm_src 0
		.amdhsa_exception_fp_ieee_div_zero 0
		.amdhsa_exception_fp_ieee_overflow 0
		.amdhsa_exception_fp_ieee_underflow 0
		.amdhsa_exception_fp_ieee_inexact 0
		.amdhsa_exception_int_div_zero 0
	.end_amdhsa_kernel
	.section	.text._ZN7rocprim17ROCPRIM_400000_NS6detail17trampoline_kernelINS0_14default_configENS1_25partition_config_selectorILNS1_17partition_subalgoE5EfNS0_10empty_typeEbEEZZNS1_14partition_implILS5_5ELb0ES3_mN6thrust23THRUST_200600_302600_NS6detail15normal_iteratorINSA_10device_ptrIfEEEEPS6_NSA_18transform_iteratorINSB_9not_fun_tINSA_8identityIfEEEESF_NSA_11use_defaultESM_EENS0_5tupleIJSF_S6_EEENSO_IJSG_SG_EEES6_PlJS6_EEE10hipError_tPvRmT3_T4_T5_T6_T7_T9_mT8_P12ihipStream_tbDpT10_ENKUlT_T0_E_clISt17integral_constantIbLb1EES1A_IbLb0EEEEDaS16_S17_EUlS16_E_NS1_11comp_targetILNS1_3genE10ELNS1_11target_archE1200ELNS1_3gpuE4ELNS1_3repE0EEENS1_30default_config_static_selectorELNS0_4arch9wavefront6targetE0EEEvT1_,"axG",@progbits,_ZN7rocprim17ROCPRIM_400000_NS6detail17trampoline_kernelINS0_14default_configENS1_25partition_config_selectorILNS1_17partition_subalgoE5EfNS0_10empty_typeEbEEZZNS1_14partition_implILS5_5ELb0ES3_mN6thrust23THRUST_200600_302600_NS6detail15normal_iteratorINSA_10device_ptrIfEEEEPS6_NSA_18transform_iteratorINSB_9not_fun_tINSA_8identityIfEEEESF_NSA_11use_defaultESM_EENS0_5tupleIJSF_S6_EEENSO_IJSG_SG_EEES6_PlJS6_EEE10hipError_tPvRmT3_T4_T5_T6_T7_T9_mT8_P12ihipStream_tbDpT10_ENKUlT_T0_E_clISt17integral_constantIbLb1EES1A_IbLb0EEEEDaS16_S17_EUlS16_E_NS1_11comp_targetILNS1_3genE10ELNS1_11target_archE1200ELNS1_3gpuE4ELNS1_3repE0EEENS1_30default_config_static_selectorELNS0_4arch9wavefront6targetE0EEEvT1_,comdat
.Lfunc_end842:
	.size	_ZN7rocprim17ROCPRIM_400000_NS6detail17trampoline_kernelINS0_14default_configENS1_25partition_config_selectorILNS1_17partition_subalgoE5EfNS0_10empty_typeEbEEZZNS1_14partition_implILS5_5ELb0ES3_mN6thrust23THRUST_200600_302600_NS6detail15normal_iteratorINSA_10device_ptrIfEEEEPS6_NSA_18transform_iteratorINSB_9not_fun_tINSA_8identityIfEEEESF_NSA_11use_defaultESM_EENS0_5tupleIJSF_S6_EEENSO_IJSG_SG_EEES6_PlJS6_EEE10hipError_tPvRmT3_T4_T5_T6_T7_T9_mT8_P12ihipStream_tbDpT10_ENKUlT_T0_E_clISt17integral_constantIbLb1EES1A_IbLb0EEEEDaS16_S17_EUlS16_E_NS1_11comp_targetILNS1_3genE10ELNS1_11target_archE1200ELNS1_3gpuE4ELNS1_3repE0EEENS1_30default_config_static_selectorELNS0_4arch9wavefront6targetE0EEEvT1_, .Lfunc_end842-_ZN7rocprim17ROCPRIM_400000_NS6detail17trampoline_kernelINS0_14default_configENS1_25partition_config_selectorILNS1_17partition_subalgoE5EfNS0_10empty_typeEbEEZZNS1_14partition_implILS5_5ELb0ES3_mN6thrust23THRUST_200600_302600_NS6detail15normal_iteratorINSA_10device_ptrIfEEEEPS6_NSA_18transform_iteratorINSB_9not_fun_tINSA_8identityIfEEEESF_NSA_11use_defaultESM_EENS0_5tupleIJSF_S6_EEENSO_IJSG_SG_EEES6_PlJS6_EEE10hipError_tPvRmT3_T4_T5_T6_T7_T9_mT8_P12ihipStream_tbDpT10_ENKUlT_T0_E_clISt17integral_constantIbLb1EES1A_IbLb0EEEEDaS16_S17_EUlS16_E_NS1_11comp_targetILNS1_3genE10ELNS1_11target_archE1200ELNS1_3gpuE4ELNS1_3repE0EEENS1_30default_config_static_selectorELNS0_4arch9wavefront6targetE0EEEvT1_
                                        ; -- End function
	.set _ZN7rocprim17ROCPRIM_400000_NS6detail17trampoline_kernelINS0_14default_configENS1_25partition_config_selectorILNS1_17partition_subalgoE5EfNS0_10empty_typeEbEEZZNS1_14partition_implILS5_5ELb0ES3_mN6thrust23THRUST_200600_302600_NS6detail15normal_iteratorINSA_10device_ptrIfEEEEPS6_NSA_18transform_iteratorINSB_9not_fun_tINSA_8identityIfEEEESF_NSA_11use_defaultESM_EENS0_5tupleIJSF_S6_EEENSO_IJSG_SG_EEES6_PlJS6_EEE10hipError_tPvRmT3_T4_T5_T6_T7_T9_mT8_P12ihipStream_tbDpT10_ENKUlT_T0_E_clISt17integral_constantIbLb1EES1A_IbLb0EEEEDaS16_S17_EUlS16_E_NS1_11comp_targetILNS1_3genE10ELNS1_11target_archE1200ELNS1_3gpuE4ELNS1_3repE0EEENS1_30default_config_static_selectorELNS0_4arch9wavefront6targetE0EEEvT1_.num_vgpr, 0
	.set _ZN7rocprim17ROCPRIM_400000_NS6detail17trampoline_kernelINS0_14default_configENS1_25partition_config_selectorILNS1_17partition_subalgoE5EfNS0_10empty_typeEbEEZZNS1_14partition_implILS5_5ELb0ES3_mN6thrust23THRUST_200600_302600_NS6detail15normal_iteratorINSA_10device_ptrIfEEEEPS6_NSA_18transform_iteratorINSB_9not_fun_tINSA_8identityIfEEEESF_NSA_11use_defaultESM_EENS0_5tupleIJSF_S6_EEENSO_IJSG_SG_EEES6_PlJS6_EEE10hipError_tPvRmT3_T4_T5_T6_T7_T9_mT8_P12ihipStream_tbDpT10_ENKUlT_T0_E_clISt17integral_constantIbLb1EES1A_IbLb0EEEEDaS16_S17_EUlS16_E_NS1_11comp_targetILNS1_3genE10ELNS1_11target_archE1200ELNS1_3gpuE4ELNS1_3repE0EEENS1_30default_config_static_selectorELNS0_4arch9wavefront6targetE0EEEvT1_.num_agpr, 0
	.set _ZN7rocprim17ROCPRIM_400000_NS6detail17trampoline_kernelINS0_14default_configENS1_25partition_config_selectorILNS1_17partition_subalgoE5EfNS0_10empty_typeEbEEZZNS1_14partition_implILS5_5ELb0ES3_mN6thrust23THRUST_200600_302600_NS6detail15normal_iteratorINSA_10device_ptrIfEEEEPS6_NSA_18transform_iteratorINSB_9not_fun_tINSA_8identityIfEEEESF_NSA_11use_defaultESM_EENS0_5tupleIJSF_S6_EEENSO_IJSG_SG_EEES6_PlJS6_EEE10hipError_tPvRmT3_T4_T5_T6_T7_T9_mT8_P12ihipStream_tbDpT10_ENKUlT_T0_E_clISt17integral_constantIbLb1EES1A_IbLb0EEEEDaS16_S17_EUlS16_E_NS1_11comp_targetILNS1_3genE10ELNS1_11target_archE1200ELNS1_3gpuE4ELNS1_3repE0EEENS1_30default_config_static_selectorELNS0_4arch9wavefront6targetE0EEEvT1_.numbered_sgpr, 0
	.set _ZN7rocprim17ROCPRIM_400000_NS6detail17trampoline_kernelINS0_14default_configENS1_25partition_config_selectorILNS1_17partition_subalgoE5EfNS0_10empty_typeEbEEZZNS1_14partition_implILS5_5ELb0ES3_mN6thrust23THRUST_200600_302600_NS6detail15normal_iteratorINSA_10device_ptrIfEEEEPS6_NSA_18transform_iteratorINSB_9not_fun_tINSA_8identityIfEEEESF_NSA_11use_defaultESM_EENS0_5tupleIJSF_S6_EEENSO_IJSG_SG_EEES6_PlJS6_EEE10hipError_tPvRmT3_T4_T5_T6_T7_T9_mT8_P12ihipStream_tbDpT10_ENKUlT_T0_E_clISt17integral_constantIbLb1EES1A_IbLb0EEEEDaS16_S17_EUlS16_E_NS1_11comp_targetILNS1_3genE10ELNS1_11target_archE1200ELNS1_3gpuE4ELNS1_3repE0EEENS1_30default_config_static_selectorELNS0_4arch9wavefront6targetE0EEEvT1_.num_named_barrier, 0
	.set _ZN7rocprim17ROCPRIM_400000_NS6detail17trampoline_kernelINS0_14default_configENS1_25partition_config_selectorILNS1_17partition_subalgoE5EfNS0_10empty_typeEbEEZZNS1_14partition_implILS5_5ELb0ES3_mN6thrust23THRUST_200600_302600_NS6detail15normal_iteratorINSA_10device_ptrIfEEEEPS6_NSA_18transform_iteratorINSB_9not_fun_tINSA_8identityIfEEEESF_NSA_11use_defaultESM_EENS0_5tupleIJSF_S6_EEENSO_IJSG_SG_EEES6_PlJS6_EEE10hipError_tPvRmT3_T4_T5_T6_T7_T9_mT8_P12ihipStream_tbDpT10_ENKUlT_T0_E_clISt17integral_constantIbLb1EES1A_IbLb0EEEEDaS16_S17_EUlS16_E_NS1_11comp_targetILNS1_3genE10ELNS1_11target_archE1200ELNS1_3gpuE4ELNS1_3repE0EEENS1_30default_config_static_selectorELNS0_4arch9wavefront6targetE0EEEvT1_.private_seg_size, 0
	.set _ZN7rocprim17ROCPRIM_400000_NS6detail17trampoline_kernelINS0_14default_configENS1_25partition_config_selectorILNS1_17partition_subalgoE5EfNS0_10empty_typeEbEEZZNS1_14partition_implILS5_5ELb0ES3_mN6thrust23THRUST_200600_302600_NS6detail15normal_iteratorINSA_10device_ptrIfEEEEPS6_NSA_18transform_iteratorINSB_9not_fun_tINSA_8identityIfEEEESF_NSA_11use_defaultESM_EENS0_5tupleIJSF_S6_EEENSO_IJSG_SG_EEES6_PlJS6_EEE10hipError_tPvRmT3_T4_T5_T6_T7_T9_mT8_P12ihipStream_tbDpT10_ENKUlT_T0_E_clISt17integral_constantIbLb1EES1A_IbLb0EEEEDaS16_S17_EUlS16_E_NS1_11comp_targetILNS1_3genE10ELNS1_11target_archE1200ELNS1_3gpuE4ELNS1_3repE0EEENS1_30default_config_static_selectorELNS0_4arch9wavefront6targetE0EEEvT1_.uses_vcc, 0
	.set _ZN7rocprim17ROCPRIM_400000_NS6detail17trampoline_kernelINS0_14default_configENS1_25partition_config_selectorILNS1_17partition_subalgoE5EfNS0_10empty_typeEbEEZZNS1_14partition_implILS5_5ELb0ES3_mN6thrust23THRUST_200600_302600_NS6detail15normal_iteratorINSA_10device_ptrIfEEEEPS6_NSA_18transform_iteratorINSB_9not_fun_tINSA_8identityIfEEEESF_NSA_11use_defaultESM_EENS0_5tupleIJSF_S6_EEENSO_IJSG_SG_EEES6_PlJS6_EEE10hipError_tPvRmT3_T4_T5_T6_T7_T9_mT8_P12ihipStream_tbDpT10_ENKUlT_T0_E_clISt17integral_constantIbLb1EES1A_IbLb0EEEEDaS16_S17_EUlS16_E_NS1_11comp_targetILNS1_3genE10ELNS1_11target_archE1200ELNS1_3gpuE4ELNS1_3repE0EEENS1_30default_config_static_selectorELNS0_4arch9wavefront6targetE0EEEvT1_.uses_flat_scratch, 0
	.set _ZN7rocprim17ROCPRIM_400000_NS6detail17trampoline_kernelINS0_14default_configENS1_25partition_config_selectorILNS1_17partition_subalgoE5EfNS0_10empty_typeEbEEZZNS1_14partition_implILS5_5ELb0ES3_mN6thrust23THRUST_200600_302600_NS6detail15normal_iteratorINSA_10device_ptrIfEEEEPS6_NSA_18transform_iteratorINSB_9not_fun_tINSA_8identityIfEEEESF_NSA_11use_defaultESM_EENS0_5tupleIJSF_S6_EEENSO_IJSG_SG_EEES6_PlJS6_EEE10hipError_tPvRmT3_T4_T5_T6_T7_T9_mT8_P12ihipStream_tbDpT10_ENKUlT_T0_E_clISt17integral_constantIbLb1EES1A_IbLb0EEEEDaS16_S17_EUlS16_E_NS1_11comp_targetILNS1_3genE10ELNS1_11target_archE1200ELNS1_3gpuE4ELNS1_3repE0EEENS1_30default_config_static_selectorELNS0_4arch9wavefront6targetE0EEEvT1_.has_dyn_sized_stack, 0
	.set _ZN7rocprim17ROCPRIM_400000_NS6detail17trampoline_kernelINS0_14default_configENS1_25partition_config_selectorILNS1_17partition_subalgoE5EfNS0_10empty_typeEbEEZZNS1_14partition_implILS5_5ELb0ES3_mN6thrust23THRUST_200600_302600_NS6detail15normal_iteratorINSA_10device_ptrIfEEEEPS6_NSA_18transform_iteratorINSB_9not_fun_tINSA_8identityIfEEEESF_NSA_11use_defaultESM_EENS0_5tupleIJSF_S6_EEENSO_IJSG_SG_EEES6_PlJS6_EEE10hipError_tPvRmT3_T4_T5_T6_T7_T9_mT8_P12ihipStream_tbDpT10_ENKUlT_T0_E_clISt17integral_constantIbLb1EES1A_IbLb0EEEEDaS16_S17_EUlS16_E_NS1_11comp_targetILNS1_3genE10ELNS1_11target_archE1200ELNS1_3gpuE4ELNS1_3repE0EEENS1_30default_config_static_selectorELNS0_4arch9wavefront6targetE0EEEvT1_.has_recursion, 0
	.set _ZN7rocprim17ROCPRIM_400000_NS6detail17trampoline_kernelINS0_14default_configENS1_25partition_config_selectorILNS1_17partition_subalgoE5EfNS0_10empty_typeEbEEZZNS1_14partition_implILS5_5ELb0ES3_mN6thrust23THRUST_200600_302600_NS6detail15normal_iteratorINSA_10device_ptrIfEEEEPS6_NSA_18transform_iteratorINSB_9not_fun_tINSA_8identityIfEEEESF_NSA_11use_defaultESM_EENS0_5tupleIJSF_S6_EEENSO_IJSG_SG_EEES6_PlJS6_EEE10hipError_tPvRmT3_T4_T5_T6_T7_T9_mT8_P12ihipStream_tbDpT10_ENKUlT_T0_E_clISt17integral_constantIbLb1EES1A_IbLb0EEEEDaS16_S17_EUlS16_E_NS1_11comp_targetILNS1_3genE10ELNS1_11target_archE1200ELNS1_3gpuE4ELNS1_3repE0EEENS1_30default_config_static_selectorELNS0_4arch9wavefront6targetE0EEEvT1_.has_indirect_call, 0
	.section	.AMDGPU.csdata,"",@progbits
; Kernel info:
; codeLenInByte = 4
; TotalNumSgprs: 0
; NumVgprs: 0
; ScratchSize: 0
; MemoryBound: 0
; FloatMode: 240
; IeeeMode: 1
; LDSByteSize: 0 bytes/workgroup (compile time only)
; SGPRBlocks: 0
; VGPRBlocks: 0
; NumSGPRsForWavesPerEU: 1
; NumVGPRsForWavesPerEU: 1
; Occupancy: 16
; WaveLimiterHint : 0
; COMPUTE_PGM_RSRC2:SCRATCH_EN: 0
; COMPUTE_PGM_RSRC2:USER_SGPR: 2
; COMPUTE_PGM_RSRC2:TRAP_HANDLER: 0
; COMPUTE_PGM_RSRC2:TGID_X_EN: 1
; COMPUTE_PGM_RSRC2:TGID_Y_EN: 0
; COMPUTE_PGM_RSRC2:TGID_Z_EN: 0
; COMPUTE_PGM_RSRC2:TIDIG_COMP_CNT: 0
	.section	.text._ZN7rocprim17ROCPRIM_400000_NS6detail17trampoline_kernelINS0_14default_configENS1_25partition_config_selectorILNS1_17partition_subalgoE5EfNS0_10empty_typeEbEEZZNS1_14partition_implILS5_5ELb0ES3_mN6thrust23THRUST_200600_302600_NS6detail15normal_iteratorINSA_10device_ptrIfEEEEPS6_NSA_18transform_iteratorINSB_9not_fun_tINSA_8identityIfEEEESF_NSA_11use_defaultESM_EENS0_5tupleIJSF_S6_EEENSO_IJSG_SG_EEES6_PlJS6_EEE10hipError_tPvRmT3_T4_T5_T6_T7_T9_mT8_P12ihipStream_tbDpT10_ENKUlT_T0_E_clISt17integral_constantIbLb1EES1A_IbLb0EEEEDaS16_S17_EUlS16_E_NS1_11comp_targetILNS1_3genE9ELNS1_11target_archE1100ELNS1_3gpuE3ELNS1_3repE0EEENS1_30default_config_static_selectorELNS0_4arch9wavefront6targetE0EEEvT1_,"axG",@progbits,_ZN7rocprim17ROCPRIM_400000_NS6detail17trampoline_kernelINS0_14default_configENS1_25partition_config_selectorILNS1_17partition_subalgoE5EfNS0_10empty_typeEbEEZZNS1_14partition_implILS5_5ELb0ES3_mN6thrust23THRUST_200600_302600_NS6detail15normal_iteratorINSA_10device_ptrIfEEEEPS6_NSA_18transform_iteratorINSB_9not_fun_tINSA_8identityIfEEEESF_NSA_11use_defaultESM_EENS0_5tupleIJSF_S6_EEENSO_IJSG_SG_EEES6_PlJS6_EEE10hipError_tPvRmT3_T4_T5_T6_T7_T9_mT8_P12ihipStream_tbDpT10_ENKUlT_T0_E_clISt17integral_constantIbLb1EES1A_IbLb0EEEEDaS16_S17_EUlS16_E_NS1_11comp_targetILNS1_3genE9ELNS1_11target_archE1100ELNS1_3gpuE3ELNS1_3repE0EEENS1_30default_config_static_selectorELNS0_4arch9wavefront6targetE0EEEvT1_,comdat
	.protected	_ZN7rocprim17ROCPRIM_400000_NS6detail17trampoline_kernelINS0_14default_configENS1_25partition_config_selectorILNS1_17partition_subalgoE5EfNS0_10empty_typeEbEEZZNS1_14partition_implILS5_5ELb0ES3_mN6thrust23THRUST_200600_302600_NS6detail15normal_iteratorINSA_10device_ptrIfEEEEPS6_NSA_18transform_iteratorINSB_9not_fun_tINSA_8identityIfEEEESF_NSA_11use_defaultESM_EENS0_5tupleIJSF_S6_EEENSO_IJSG_SG_EEES6_PlJS6_EEE10hipError_tPvRmT3_T4_T5_T6_T7_T9_mT8_P12ihipStream_tbDpT10_ENKUlT_T0_E_clISt17integral_constantIbLb1EES1A_IbLb0EEEEDaS16_S17_EUlS16_E_NS1_11comp_targetILNS1_3genE9ELNS1_11target_archE1100ELNS1_3gpuE3ELNS1_3repE0EEENS1_30default_config_static_selectorELNS0_4arch9wavefront6targetE0EEEvT1_ ; -- Begin function _ZN7rocprim17ROCPRIM_400000_NS6detail17trampoline_kernelINS0_14default_configENS1_25partition_config_selectorILNS1_17partition_subalgoE5EfNS0_10empty_typeEbEEZZNS1_14partition_implILS5_5ELb0ES3_mN6thrust23THRUST_200600_302600_NS6detail15normal_iteratorINSA_10device_ptrIfEEEEPS6_NSA_18transform_iteratorINSB_9not_fun_tINSA_8identityIfEEEESF_NSA_11use_defaultESM_EENS0_5tupleIJSF_S6_EEENSO_IJSG_SG_EEES6_PlJS6_EEE10hipError_tPvRmT3_T4_T5_T6_T7_T9_mT8_P12ihipStream_tbDpT10_ENKUlT_T0_E_clISt17integral_constantIbLb1EES1A_IbLb0EEEEDaS16_S17_EUlS16_E_NS1_11comp_targetILNS1_3genE9ELNS1_11target_archE1100ELNS1_3gpuE3ELNS1_3repE0EEENS1_30default_config_static_selectorELNS0_4arch9wavefront6targetE0EEEvT1_
	.globl	_ZN7rocprim17ROCPRIM_400000_NS6detail17trampoline_kernelINS0_14default_configENS1_25partition_config_selectorILNS1_17partition_subalgoE5EfNS0_10empty_typeEbEEZZNS1_14partition_implILS5_5ELb0ES3_mN6thrust23THRUST_200600_302600_NS6detail15normal_iteratorINSA_10device_ptrIfEEEEPS6_NSA_18transform_iteratorINSB_9not_fun_tINSA_8identityIfEEEESF_NSA_11use_defaultESM_EENS0_5tupleIJSF_S6_EEENSO_IJSG_SG_EEES6_PlJS6_EEE10hipError_tPvRmT3_T4_T5_T6_T7_T9_mT8_P12ihipStream_tbDpT10_ENKUlT_T0_E_clISt17integral_constantIbLb1EES1A_IbLb0EEEEDaS16_S17_EUlS16_E_NS1_11comp_targetILNS1_3genE9ELNS1_11target_archE1100ELNS1_3gpuE3ELNS1_3repE0EEENS1_30default_config_static_selectorELNS0_4arch9wavefront6targetE0EEEvT1_
	.p2align	8
	.type	_ZN7rocprim17ROCPRIM_400000_NS6detail17trampoline_kernelINS0_14default_configENS1_25partition_config_selectorILNS1_17partition_subalgoE5EfNS0_10empty_typeEbEEZZNS1_14partition_implILS5_5ELb0ES3_mN6thrust23THRUST_200600_302600_NS6detail15normal_iteratorINSA_10device_ptrIfEEEEPS6_NSA_18transform_iteratorINSB_9not_fun_tINSA_8identityIfEEEESF_NSA_11use_defaultESM_EENS0_5tupleIJSF_S6_EEENSO_IJSG_SG_EEES6_PlJS6_EEE10hipError_tPvRmT3_T4_T5_T6_T7_T9_mT8_P12ihipStream_tbDpT10_ENKUlT_T0_E_clISt17integral_constantIbLb1EES1A_IbLb0EEEEDaS16_S17_EUlS16_E_NS1_11comp_targetILNS1_3genE9ELNS1_11target_archE1100ELNS1_3gpuE3ELNS1_3repE0EEENS1_30default_config_static_selectorELNS0_4arch9wavefront6targetE0EEEvT1_,@function
_ZN7rocprim17ROCPRIM_400000_NS6detail17trampoline_kernelINS0_14default_configENS1_25partition_config_selectorILNS1_17partition_subalgoE5EfNS0_10empty_typeEbEEZZNS1_14partition_implILS5_5ELb0ES3_mN6thrust23THRUST_200600_302600_NS6detail15normal_iteratorINSA_10device_ptrIfEEEEPS6_NSA_18transform_iteratorINSB_9not_fun_tINSA_8identityIfEEEESF_NSA_11use_defaultESM_EENS0_5tupleIJSF_S6_EEENSO_IJSG_SG_EEES6_PlJS6_EEE10hipError_tPvRmT3_T4_T5_T6_T7_T9_mT8_P12ihipStream_tbDpT10_ENKUlT_T0_E_clISt17integral_constantIbLb1EES1A_IbLb0EEEEDaS16_S17_EUlS16_E_NS1_11comp_targetILNS1_3genE9ELNS1_11target_archE1100ELNS1_3gpuE3ELNS1_3repE0EEENS1_30default_config_static_selectorELNS0_4arch9wavefront6targetE0EEEvT1_: ; @_ZN7rocprim17ROCPRIM_400000_NS6detail17trampoline_kernelINS0_14default_configENS1_25partition_config_selectorILNS1_17partition_subalgoE5EfNS0_10empty_typeEbEEZZNS1_14partition_implILS5_5ELb0ES3_mN6thrust23THRUST_200600_302600_NS6detail15normal_iteratorINSA_10device_ptrIfEEEEPS6_NSA_18transform_iteratorINSB_9not_fun_tINSA_8identityIfEEEESF_NSA_11use_defaultESM_EENS0_5tupleIJSF_S6_EEENSO_IJSG_SG_EEES6_PlJS6_EEE10hipError_tPvRmT3_T4_T5_T6_T7_T9_mT8_P12ihipStream_tbDpT10_ENKUlT_T0_E_clISt17integral_constantIbLb1EES1A_IbLb0EEEEDaS16_S17_EUlS16_E_NS1_11comp_targetILNS1_3genE9ELNS1_11target_archE1100ELNS1_3gpuE3ELNS1_3repE0EEENS1_30default_config_static_selectorELNS0_4arch9wavefront6targetE0EEEvT1_
; %bb.0:
	.section	.rodata,"a",@progbits
	.p2align	6, 0x0
	.amdhsa_kernel _ZN7rocprim17ROCPRIM_400000_NS6detail17trampoline_kernelINS0_14default_configENS1_25partition_config_selectorILNS1_17partition_subalgoE5EfNS0_10empty_typeEbEEZZNS1_14partition_implILS5_5ELb0ES3_mN6thrust23THRUST_200600_302600_NS6detail15normal_iteratorINSA_10device_ptrIfEEEEPS6_NSA_18transform_iteratorINSB_9not_fun_tINSA_8identityIfEEEESF_NSA_11use_defaultESM_EENS0_5tupleIJSF_S6_EEENSO_IJSG_SG_EEES6_PlJS6_EEE10hipError_tPvRmT3_T4_T5_T6_T7_T9_mT8_P12ihipStream_tbDpT10_ENKUlT_T0_E_clISt17integral_constantIbLb1EES1A_IbLb0EEEEDaS16_S17_EUlS16_E_NS1_11comp_targetILNS1_3genE9ELNS1_11target_archE1100ELNS1_3gpuE3ELNS1_3repE0EEENS1_30default_config_static_selectorELNS0_4arch9wavefront6targetE0EEEvT1_
		.amdhsa_group_segment_fixed_size 0
		.amdhsa_private_segment_fixed_size 0
		.amdhsa_kernarg_size 120
		.amdhsa_user_sgpr_count 2
		.amdhsa_user_sgpr_dispatch_ptr 0
		.amdhsa_user_sgpr_queue_ptr 0
		.amdhsa_user_sgpr_kernarg_segment_ptr 1
		.amdhsa_user_sgpr_dispatch_id 0
		.amdhsa_user_sgpr_private_segment_size 0
		.amdhsa_wavefront_size32 1
		.amdhsa_uses_dynamic_stack 0
		.amdhsa_enable_private_segment 0
		.amdhsa_system_sgpr_workgroup_id_x 1
		.amdhsa_system_sgpr_workgroup_id_y 0
		.amdhsa_system_sgpr_workgroup_id_z 0
		.amdhsa_system_sgpr_workgroup_info 0
		.amdhsa_system_vgpr_workitem_id 0
		.amdhsa_next_free_vgpr 1
		.amdhsa_next_free_sgpr 1
		.amdhsa_reserve_vcc 0
		.amdhsa_float_round_mode_32 0
		.amdhsa_float_round_mode_16_64 0
		.amdhsa_float_denorm_mode_32 3
		.amdhsa_float_denorm_mode_16_64 3
		.amdhsa_fp16_overflow 0
		.amdhsa_workgroup_processor_mode 1
		.amdhsa_memory_ordered 1
		.amdhsa_forward_progress 1
		.amdhsa_inst_pref_size 0
		.amdhsa_round_robin_scheduling 0
		.amdhsa_exception_fp_ieee_invalid_op 0
		.amdhsa_exception_fp_denorm_src 0
		.amdhsa_exception_fp_ieee_div_zero 0
		.amdhsa_exception_fp_ieee_overflow 0
		.amdhsa_exception_fp_ieee_underflow 0
		.amdhsa_exception_fp_ieee_inexact 0
		.amdhsa_exception_int_div_zero 0
	.end_amdhsa_kernel
	.section	.text._ZN7rocprim17ROCPRIM_400000_NS6detail17trampoline_kernelINS0_14default_configENS1_25partition_config_selectorILNS1_17partition_subalgoE5EfNS0_10empty_typeEbEEZZNS1_14partition_implILS5_5ELb0ES3_mN6thrust23THRUST_200600_302600_NS6detail15normal_iteratorINSA_10device_ptrIfEEEEPS6_NSA_18transform_iteratorINSB_9not_fun_tINSA_8identityIfEEEESF_NSA_11use_defaultESM_EENS0_5tupleIJSF_S6_EEENSO_IJSG_SG_EEES6_PlJS6_EEE10hipError_tPvRmT3_T4_T5_T6_T7_T9_mT8_P12ihipStream_tbDpT10_ENKUlT_T0_E_clISt17integral_constantIbLb1EES1A_IbLb0EEEEDaS16_S17_EUlS16_E_NS1_11comp_targetILNS1_3genE9ELNS1_11target_archE1100ELNS1_3gpuE3ELNS1_3repE0EEENS1_30default_config_static_selectorELNS0_4arch9wavefront6targetE0EEEvT1_,"axG",@progbits,_ZN7rocprim17ROCPRIM_400000_NS6detail17trampoline_kernelINS0_14default_configENS1_25partition_config_selectorILNS1_17partition_subalgoE5EfNS0_10empty_typeEbEEZZNS1_14partition_implILS5_5ELb0ES3_mN6thrust23THRUST_200600_302600_NS6detail15normal_iteratorINSA_10device_ptrIfEEEEPS6_NSA_18transform_iteratorINSB_9not_fun_tINSA_8identityIfEEEESF_NSA_11use_defaultESM_EENS0_5tupleIJSF_S6_EEENSO_IJSG_SG_EEES6_PlJS6_EEE10hipError_tPvRmT3_T4_T5_T6_T7_T9_mT8_P12ihipStream_tbDpT10_ENKUlT_T0_E_clISt17integral_constantIbLb1EES1A_IbLb0EEEEDaS16_S17_EUlS16_E_NS1_11comp_targetILNS1_3genE9ELNS1_11target_archE1100ELNS1_3gpuE3ELNS1_3repE0EEENS1_30default_config_static_selectorELNS0_4arch9wavefront6targetE0EEEvT1_,comdat
.Lfunc_end843:
	.size	_ZN7rocprim17ROCPRIM_400000_NS6detail17trampoline_kernelINS0_14default_configENS1_25partition_config_selectorILNS1_17partition_subalgoE5EfNS0_10empty_typeEbEEZZNS1_14partition_implILS5_5ELb0ES3_mN6thrust23THRUST_200600_302600_NS6detail15normal_iteratorINSA_10device_ptrIfEEEEPS6_NSA_18transform_iteratorINSB_9not_fun_tINSA_8identityIfEEEESF_NSA_11use_defaultESM_EENS0_5tupleIJSF_S6_EEENSO_IJSG_SG_EEES6_PlJS6_EEE10hipError_tPvRmT3_T4_T5_T6_T7_T9_mT8_P12ihipStream_tbDpT10_ENKUlT_T0_E_clISt17integral_constantIbLb1EES1A_IbLb0EEEEDaS16_S17_EUlS16_E_NS1_11comp_targetILNS1_3genE9ELNS1_11target_archE1100ELNS1_3gpuE3ELNS1_3repE0EEENS1_30default_config_static_selectorELNS0_4arch9wavefront6targetE0EEEvT1_, .Lfunc_end843-_ZN7rocprim17ROCPRIM_400000_NS6detail17trampoline_kernelINS0_14default_configENS1_25partition_config_selectorILNS1_17partition_subalgoE5EfNS0_10empty_typeEbEEZZNS1_14partition_implILS5_5ELb0ES3_mN6thrust23THRUST_200600_302600_NS6detail15normal_iteratorINSA_10device_ptrIfEEEEPS6_NSA_18transform_iteratorINSB_9not_fun_tINSA_8identityIfEEEESF_NSA_11use_defaultESM_EENS0_5tupleIJSF_S6_EEENSO_IJSG_SG_EEES6_PlJS6_EEE10hipError_tPvRmT3_T4_T5_T6_T7_T9_mT8_P12ihipStream_tbDpT10_ENKUlT_T0_E_clISt17integral_constantIbLb1EES1A_IbLb0EEEEDaS16_S17_EUlS16_E_NS1_11comp_targetILNS1_3genE9ELNS1_11target_archE1100ELNS1_3gpuE3ELNS1_3repE0EEENS1_30default_config_static_selectorELNS0_4arch9wavefront6targetE0EEEvT1_
                                        ; -- End function
	.set _ZN7rocprim17ROCPRIM_400000_NS6detail17trampoline_kernelINS0_14default_configENS1_25partition_config_selectorILNS1_17partition_subalgoE5EfNS0_10empty_typeEbEEZZNS1_14partition_implILS5_5ELb0ES3_mN6thrust23THRUST_200600_302600_NS6detail15normal_iteratorINSA_10device_ptrIfEEEEPS6_NSA_18transform_iteratorINSB_9not_fun_tINSA_8identityIfEEEESF_NSA_11use_defaultESM_EENS0_5tupleIJSF_S6_EEENSO_IJSG_SG_EEES6_PlJS6_EEE10hipError_tPvRmT3_T4_T5_T6_T7_T9_mT8_P12ihipStream_tbDpT10_ENKUlT_T0_E_clISt17integral_constantIbLb1EES1A_IbLb0EEEEDaS16_S17_EUlS16_E_NS1_11comp_targetILNS1_3genE9ELNS1_11target_archE1100ELNS1_3gpuE3ELNS1_3repE0EEENS1_30default_config_static_selectorELNS0_4arch9wavefront6targetE0EEEvT1_.num_vgpr, 0
	.set _ZN7rocprim17ROCPRIM_400000_NS6detail17trampoline_kernelINS0_14default_configENS1_25partition_config_selectorILNS1_17partition_subalgoE5EfNS0_10empty_typeEbEEZZNS1_14partition_implILS5_5ELb0ES3_mN6thrust23THRUST_200600_302600_NS6detail15normal_iteratorINSA_10device_ptrIfEEEEPS6_NSA_18transform_iteratorINSB_9not_fun_tINSA_8identityIfEEEESF_NSA_11use_defaultESM_EENS0_5tupleIJSF_S6_EEENSO_IJSG_SG_EEES6_PlJS6_EEE10hipError_tPvRmT3_T4_T5_T6_T7_T9_mT8_P12ihipStream_tbDpT10_ENKUlT_T0_E_clISt17integral_constantIbLb1EES1A_IbLb0EEEEDaS16_S17_EUlS16_E_NS1_11comp_targetILNS1_3genE9ELNS1_11target_archE1100ELNS1_3gpuE3ELNS1_3repE0EEENS1_30default_config_static_selectorELNS0_4arch9wavefront6targetE0EEEvT1_.num_agpr, 0
	.set _ZN7rocprim17ROCPRIM_400000_NS6detail17trampoline_kernelINS0_14default_configENS1_25partition_config_selectorILNS1_17partition_subalgoE5EfNS0_10empty_typeEbEEZZNS1_14partition_implILS5_5ELb0ES3_mN6thrust23THRUST_200600_302600_NS6detail15normal_iteratorINSA_10device_ptrIfEEEEPS6_NSA_18transform_iteratorINSB_9not_fun_tINSA_8identityIfEEEESF_NSA_11use_defaultESM_EENS0_5tupleIJSF_S6_EEENSO_IJSG_SG_EEES6_PlJS6_EEE10hipError_tPvRmT3_T4_T5_T6_T7_T9_mT8_P12ihipStream_tbDpT10_ENKUlT_T0_E_clISt17integral_constantIbLb1EES1A_IbLb0EEEEDaS16_S17_EUlS16_E_NS1_11comp_targetILNS1_3genE9ELNS1_11target_archE1100ELNS1_3gpuE3ELNS1_3repE0EEENS1_30default_config_static_selectorELNS0_4arch9wavefront6targetE0EEEvT1_.numbered_sgpr, 0
	.set _ZN7rocprim17ROCPRIM_400000_NS6detail17trampoline_kernelINS0_14default_configENS1_25partition_config_selectorILNS1_17partition_subalgoE5EfNS0_10empty_typeEbEEZZNS1_14partition_implILS5_5ELb0ES3_mN6thrust23THRUST_200600_302600_NS6detail15normal_iteratorINSA_10device_ptrIfEEEEPS6_NSA_18transform_iteratorINSB_9not_fun_tINSA_8identityIfEEEESF_NSA_11use_defaultESM_EENS0_5tupleIJSF_S6_EEENSO_IJSG_SG_EEES6_PlJS6_EEE10hipError_tPvRmT3_T4_T5_T6_T7_T9_mT8_P12ihipStream_tbDpT10_ENKUlT_T0_E_clISt17integral_constantIbLb1EES1A_IbLb0EEEEDaS16_S17_EUlS16_E_NS1_11comp_targetILNS1_3genE9ELNS1_11target_archE1100ELNS1_3gpuE3ELNS1_3repE0EEENS1_30default_config_static_selectorELNS0_4arch9wavefront6targetE0EEEvT1_.num_named_barrier, 0
	.set _ZN7rocprim17ROCPRIM_400000_NS6detail17trampoline_kernelINS0_14default_configENS1_25partition_config_selectorILNS1_17partition_subalgoE5EfNS0_10empty_typeEbEEZZNS1_14partition_implILS5_5ELb0ES3_mN6thrust23THRUST_200600_302600_NS6detail15normal_iteratorINSA_10device_ptrIfEEEEPS6_NSA_18transform_iteratorINSB_9not_fun_tINSA_8identityIfEEEESF_NSA_11use_defaultESM_EENS0_5tupleIJSF_S6_EEENSO_IJSG_SG_EEES6_PlJS6_EEE10hipError_tPvRmT3_T4_T5_T6_T7_T9_mT8_P12ihipStream_tbDpT10_ENKUlT_T0_E_clISt17integral_constantIbLb1EES1A_IbLb0EEEEDaS16_S17_EUlS16_E_NS1_11comp_targetILNS1_3genE9ELNS1_11target_archE1100ELNS1_3gpuE3ELNS1_3repE0EEENS1_30default_config_static_selectorELNS0_4arch9wavefront6targetE0EEEvT1_.private_seg_size, 0
	.set _ZN7rocprim17ROCPRIM_400000_NS6detail17trampoline_kernelINS0_14default_configENS1_25partition_config_selectorILNS1_17partition_subalgoE5EfNS0_10empty_typeEbEEZZNS1_14partition_implILS5_5ELb0ES3_mN6thrust23THRUST_200600_302600_NS6detail15normal_iteratorINSA_10device_ptrIfEEEEPS6_NSA_18transform_iteratorINSB_9not_fun_tINSA_8identityIfEEEESF_NSA_11use_defaultESM_EENS0_5tupleIJSF_S6_EEENSO_IJSG_SG_EEES6_PlJS6_EEE10hipError_tPvRmT3_T4_T5_T6_T7_T9_mT8_P12ihipStream_tbDpT10_ENKUlT_T0_E_clISt17integral_constantIbLb1EES1A_IbLb0EEEEDaS16_S17_EUlS16_E_NS1_11comp_targetILNS1_3genE9ELNS1_11target_archE1100ELNS1_3gpuE3ELNS1_3repE0EEENS1_30default_config_static_selectorELNS0_4arch9wavefront6targetE0EEEvT1_.uses_vcc, 0
	.set _ZN7rocprim17ROCPRIM_400000_NS6detail17trampoline_kernelINS0_14default_configENS1_25partition_config_selectorILNS1_17partition_subalgoE5EfNS0_10empty_typeEbEEZZNS1_14partition_implILS5_5ELb0ES3_mN6thrust23THRUST_200600_302600_NS6detail15normal_iteratorINSA_10device_ptrIfEEEEPS6_NSA_18transform_iteratorINSB_9not_fun_tINSA_8identityIfEEEESF_NSA_11use_defaultESM_EENS0_5tupleIJSF_S6_EEENSO_IJSG_SG_EEES6_PlJS6_EEE10hipError_tPvRmT3_T4_T5_T6_T7_T9_mT8_P12ihipStream_tbDpT10_ENKUlT_T0_E_clISt17integral_constantIbLb1EES1A_IbLb0EEEEDaS16_S17_EUlS16_E_NS1_11comp_targetILNS1_3genE9ELNS1_11target_archE1100ELNS1_3gpuE3ELNS1_3repE0EEENS1_30default_config_static_selectorELNS0_4arch9wavefront6targetE0EEEvT1_.uses_flat_scratch, 0
	.set _ZN7rocprim17ROCPRIM_400000_NS6detail17trampoline_kernelINS0_14default_configENS1_25partition_config_selectorILNS1_17partition_subalgoE5EfNS0_10empty_typeEbEEZZNS1_14partition_implILS5_5ELb0ES3_mN6thrust23THRUST_200600_302600_NS6detail15normal_iteratorINSA_10device_ptrIfEEEEPS6_NSA_18transform_iteratorINSB_9not_fun_tINSA_8identityIfEEEESF_NSA_11use_defaultESM_EENS0_5tupleIJSF_S6_EEENSO_IJSG_SG_EEES6_PlJS6_EEE10hipError_tPvRmT3_T4_T5_T6_T7_T9_mT8_P12ihipStream_tbDpT10_ENKUlT_T0_E_clISt17integral_constantIbLb1EES1A_IbLb0EEEEDaS16_S17_EUlS16_E_NS1_11comp_targetILNS1_3genE9ELNS1_11target_archE1100ELNS1_3gpuE3ELNS1_3repE0EEENS1_30default_config_static_selectorELNS0_4arch9wavefront6targetE0EEEvT1_.has_dyn_sized_stack, 0
	.set _ZN7rocprim17ROCPRIM_400000_NS6detail17trampoline_kernelINS0_14default_configENS1_25partition_config_selectorILNS1_17partition_subalgoE5EfNS0_10empty_typeEbEEZZNS1_14partition_implILS5_5ELb0ES3_mN6thrust23THRUST_200600_302600_NS6detail15normal_iteratorINSA_10device_ptrIfEEEEPS6_NSA_18transform_iteratorINSB_9not_fun_tINSA_8identityIfEEEESF_NSA_11use_defaultESM_EENS0_5tupleIJSF_S6_EEENSO_IJSG_SG_EEES6_PlJS6_EEE10hipError_tPvRmT3_T4_T5_T6_T7_T9_mT8_P12ihipStream_tbDpT10_ENKUlT_T0_E_clISt17integral_constantIbLb1EES1A_IbLb0EEEEDaS16_S17_EUlS16_E_NS1_11comp_targetILNS1_3genE9ELNS1_11target_archE1100ELNS1_3gpuE3ELNS1_3repE0EEENS1_30default_config_static_selectorELNS0_4arch9wavefront6targetE0EEEvT1_.has_recursion, 0
	.set _ZN7rocprim17ROCPRIM_400000_NS6detail17trampoline_kernelINS0_14default_configENS1_25partition_config_selectorILNS1_17partition_subalgoE5EfNS0_10empty_typeEbEEZZNS1_14partition_implILS5_5ELb0ES3_mN6thrust23THRUST_200600_302600_NS6detail15normal_iteratorINSA_10device_ptrIfEEEEPS6_NSA_18transform_iteratorINSB_9not_fun_tINSA_8identityIfEEEESF_NSA_11use_defaultESM_EENS0_5tupleIJSF_S6_EEENSO_IJSG_SG_EEES6_PlJS6_EEE10hipError_tPvRmT3_T4_T5_T6_T7_T9_mT8_P12ihipStream_tbDpT10_ENKUlT_T0_E_clISt17integral_constantIbLb1EES1A_IbLb0EEEEDaS16_S17_EUlS16_E_NS1_11comp_targetILNS1_3genE9ELNS1_11target_archE1100ELNS1_3gpuE3ELNS1_3repE0EEENS1_30default_config_static_selectorELNS0_4arch9wavefront6targetE0EEEvT1_.has_indirect_call, 0
	.section	.AMDGPU.csdata,"",@progbits
; Kernel info:
; codeLenInByte = 0
; TotalNumSgprs: 0
; NumVgprs: 0
; ScratchSize: 0
; MemoryBound: 0
; FloatMode: 240
; IeeeMode: 1
; LDSByteSize: 0 bytes/workgroup (compile time only)
; SGPRBlocks: 0
; VGPRBlocks: 0
; NumSGPRsForWavesPerEU: 1
; NumVGPRsForWavesPerEU: 1
; Occupancy: 16
; WaveLimiterHint : 0
; COMPUTE_PGM_RSRC2:SCRATCH_EN: 0
; COMPUTE_PGM_RSRC2:USER_SGPR: 2
; COMPUTE_PGM_RSRC2:TRAP_HANDLER: 0
; COMPUTE_PGM_RSRC2:TGID_X_EN: 1
; COMPUTE_PGM_RSRC2:TGID_Y_EN: 0
; COMPUTE_PGM_RSRC2:TGID_Z_EN: 0
; COMPUTE_PGM_RSRC2:TIDIG_COMP_CNT: 0
	.section	.text._ZN7rocprim17ROCPRIM_400000_NS6detail17trampoline_kernelINS0_14default_configENS1_25partition_config_selectorILNS1_17partition_subalgoE5EfNS0_10empty_typeEbEEZZNS1_14partition_implILS5_5ELb0ES3_mN6thrust23THRUST_200600_302600_NS6detail15normal_iteratorINSA_10device_ptrIfEEEEPS6_NSA_18transform_iteratorINSB_9not_fun_tINSA_8identityIfEEEESF_NSA_11use_defaultESM_EENS0_5tupleIJSF_S6_EEENSO_IJSG_SG_EEES6_PlJS6_EEE10hipError_tPvRmT3_T4_T5_T6_T7_T9_mT8_P12ihipStream_tbDpT10_ENKUlT_T0_E_clISt17integral_constantIbLb1EES1A_IbLb0EEEEDaS16_S17_EUlS16_E_NS1_11comp_targetILNS1_3genE8ELNS1_11target_archE1030ELNS1_3gpuE2ELNS1_3repE0EEENS1_30default_config_static_selectorELNS0_4arch9wavefront6targetE0EEEvT1_,"axG",@progbits,_ZN7rocprim17ROCPRIM_400000_NS6detail17trampoline_kernelINS0_14default_configENS1_25partition_config_selectorILNS1_17partition_subalgoE5EfNS0_10empty_typeEbEEZZNS1_14partition_implILS5_5ELb0ES3_mN6thrust23THRUST_200600_302600_NS6detail15normal_iteratorINSA_10device_ptrIfEEEEPS6_NSA_18transform_iteratorINSB_9not_fun_tINSA_8identityIfEEEESF_NSA_11use_defaultESM_EENS0_5tupleIJSF_S6_EEENSO_IJSG_SG_EEES6_PlJS6_EEE10hipError_tPvRmT3_T4_T5_T6_T7_T9_mT8_P12ihipStream_tbDpT10_ENKUlT_T0_E_clISt17integral_constantIbLb1EES1A_IbLb0EEEEDaS16_S17_EUlS16_E_NS1_11comp_targetILNS1_3genE8ELNS1_11target_archE1030ELNS1_3gpuE2ELNS1_3repE0EEENS1_30default_config_static_selectorELNS0_4arch9wavefront6targetE0EEEvT1_,comdat
	.protected	_ZN7rocprim17ROCPRIM_400000_NS6detail17trampoline_kernelINS0_14default_configENS1_25partition_config_selectorILNS1_17partition_subalgoE5EfNS0_10empty_typeEbEEZZNS1_14partition_implILS5_5ELb0ES3_mN6thrust23THRUST_200600_302600_NS6detail15normal_iteratorINSA_10device_ptrIfEEEEPS6_NSA_18transform_iteratorINSB_9not_fun_tINSA_8identityIfEEEESF_NSA_11use_defaultESM_EENS0_5tupleIJSF_S6_EEENSO_IJSG_SG_EEES6_PlJS6_EEE10hipError_tPvRmT3_T4_T5_T6_T7_T9_mT8_P12ihipStream_tbDpT10_ENKUlT_T0_E_clISt17integral_constantIbLb1EES1A_IbLb0EEEEDaS16_S17_EUlS16_E_NS1_11comp_targetILNS1_3genE8ELNS1_11target_archE1030ELNS1_3gpuE2ELNS1_3repE0EEENS1_30default_config_static_selectorELNS0_4arch9wavefront6targetE0EEEvT1_ ; -- Begin function _ZN7rocprim17ROCPRIM_400000_NS6detail17trampoline_kernelINS0_14default_configENS1_25partition_config_selectorILNS1_17partition_subalgoE5EfNS0_10empty_typeEbEEZZNS1_14partition_implILS5_5ELb0ES3_mN6thrust23THRUST_200600_302600_NS6detail15normal_iteratorINSA_10device_ptrIfEEEEPS6_NSA_18transform_iteratorINSB_9not_fun_tINSA_8identityIfEEEESF_NSA_11use_defaultESM_EENS0_5tupleIJSF_S6_EEENSO_IJSG_SG_EEES6_PlJS6_EEE10hipError_tPvRmT3_T4_T5_T6_T7_T9_mT8_P12ihipStream_tbDpT10_ENKUlT_T0_E_clISt17integral_constantIbLb1EES1A_IbLb0EEEEDaS16_S17_EUlS16_E_NS1_11comp_targetILNS1_3genE8ELNS1_11target_archE1030ELNS1_3gpuE2ELNS1_3repE0EEENS1_30default_config_static_selectorELNS0_4arch9wavefront6targetE0EEEvT1_
	.globl	_ZN7rocprim17ROCPRIM_400000_NS6detail17trampoline_kernelINS0_14default_configENS1_25partition_config_selectorILNS1_17partition_subalgoE5EfNS0_10empty_typeEbEEZZNS1_14partition_implILS5_5ELb0ES3_mN6thrust23THRUST_200600_302600_NS6detail15normal_iteratorINSA_10device_ptrIfEEEEPS6_NSA_18transform_iteratorINSB_9not_fun_tINSA_8identityIfEEEESF_NSA_11use_defaultESM_EENS0_5tupleIJSF_S6_EEENSO_IJSG_SG_EEES6_PlJS6_EEE10hipError_tPvRmT3_T4_T5_T6_T7_T9_mT8_P12ihipStream_tbDpT10_ENKUlT_T0_E_clISt17integral_constantIbLb1EES1A_IbLb0EEEEDaS16_S17_EUlS16_E_NS1_11comp_targetILNS1_3genE8ELNS1_11target_archE1030ELNS1_3gpuE2ELNS1_3repE0EEENS1_30default_config_static_selectorELNS0_4arch9wavefront6targetE0EEEvT1_
	.p2align	8
	.type	_ZN7rocprim17ROCPRIM_400000_NS6detail17trampoline_kernelINS0_14default_configENS1_25partition_config_selectorILNS1_17partition_subalgoE5EfNS0_10empty_typeEbEEZZNS1_14partition_implILS5_5ELb0ES3_mN6thrust23THRUST_200600_302600_NS6detail15normal_iteratorINSA_10device_ptrIfEEEEPS6_NSA_18transform_iteratorINSB_9not_fun_tINSA_8identityIfEEEESF_NSA_11use_defaultESM_EENS0_5tupleIJSF_S6_EEENSO_IJSG_SG_EEES6_PlJS6_EEE10hipError_tPvRmT3_T4_T5_T6_T7_T9_mT8_P12ihipStream_tbDpT10_ENKUlT_T0_E_clISt17integral_constantIbLb1EES1A_IbLb0EEEEDaS16_S17_EUlS16_E_NS1_11comp_targetILNS1_3genE8ELNS1_11target_archE1030ELNS1_3gpuE2ELNS1_3repE0EEENS1_30default_config_static_selectorELNS0_4arch9wavefront6targetE0EEEvT1_,@function
_ZN7rocprim17ROCPRIM_400000_NS6detail17trampoline_kernelINS0_14default_configENS1_25partition_config_selectorILNS1_17partition_subalgoE5EfNS0_10empty_typeEbEEZZNS1_14partition_implILS5_5ELb0ES3_mN6thrust23THRUST_200600_302600_NS6detail15normal_iteratorINSA_10device_ptrIfEEEEPS6_NSA_18transform_iteratorINSB_9not_fun_tINSA_8identityIfEEEESF_NSA_11use_defaultESM_EENS0_5tupleIJSF_S6_EEENSO_IJSG_SG_EEES6_PlJS6_EEE10hipError_tPvRmT3_T4_T5_T6_T7_T9_mT8_P12ihipStream_tbDpT10_ENKUlT_T0_E_clISt17integral_constantIbLb1EES1A_IbLb0EEEEDaS16_S17_EUlS16_E_NS1_11comp_targetILNS1_3genE8ELNS1_11target_archE1030ELNS1_3gpuE2ELNS1_3repE0EEENS1_30default_config_static_selectorELNS0_4arch9wavefront6targetE0EEEvT1_: ; @_ZN7rocprim17ROCPRIM_400000_NS6detail17trampoline_kernelINS0_14default_configENS1_25partition_config_selectorILNS1_17partition_subalgoE5EfNS0_10empty_typeEbEEZZNS1_14partition_implILS5_5ELb0ES3_mN6thrust23THRUST_200600_302600_NS6detail15normal_iteratorINSA_10device_ptrIfEEEEPS6_NSA_18transform_iteratorINSB_9not_fun_tINSA_8identityIfEEEESF_NSA_11use_defaultESM_EENS0_5tupleIJSF_S6_EEENSO_IJSG_SG_EEES6_PlJS6_EEE10hipError_tPvRmT3_T4_T5_T6_T7_T9_mT8_P12ihipStream_tbDpT10_ENKUlT_T0_E_clISt17integral_constantIbLb1EES1A_IbLb0EEEEDaS16_S17_EUlS16_E_NS1_11comp_targetILNS1_3genE8ELNS1_11target_archE1030ELNS1_3gpuE2ELNS1_3repE0EEENS1_30default_config_static_selectorELNS0_4arch9wavefront6targetE0EEEvT1_
; %bb.0:
	.section	.rodata,"a",@progbits
	.p2align	6, 0x0
	.amdhsa_kernel _ZN7rocprim17ROCPRIM_400000_NS6detail17trampoline_kernelINS0_14default_configENS1_25partition_config_selectorILNS1_17partition_subalgoE5EfNS0_10empty_typeEbEEZZNS1_14partition_implILS5_5ELb0ES3_mN6thrust23THRUST_200600_302600_NS6detail15normal_iteratorINSA_10device_ptrIfEEEEPS6_NSA_18transform_iteratorINSB_9not_fun_tINSA_8identityIfEEEESF_NSA_11use_defaultESM_EENS0_5tupleIJSF_S6_EEENSO_IJSG_SG_EEES6_PlJS6_EEE10hipError_tPvRmT3_T4_T5_T6_T7_T9_mT8_P12ihipStream_tbDpT10_ENKUlT_T0_E_clISt17integral_constantIbLb1EES1A_IbLb0EEEEDaS16_S17_EUlS16_E_NS1_11comp_targetILNS1_3genE8ELNS1_11target_archE1030ELNS1_3gpuE2ELNS1_3repE0EEENS1_30default_config_static_selectorELNS0_4arch9wavefront6targetE0EEEvT1_
		.amdhsa_group_segment_fixed_size 0
		.amdhsa_private_segment_fixed_size 0
		.amdhsa_kernarg_size 120
		.amdhsa_user_sgpr_count 2
		.amdhsa_user_sgpr_dispatch_ptr 0
		.amdhsa_user_sgpr_queue_ptr 0
		.amdhsa_user_sgpr_kernarg_segment_ptr 1
		.amdhsa_user_sgpr_dispatch_id 0
		.amdhsa_user_sgpr_private_segment_size 0
		.amdhsa_wavefront_size32 1
		.amdhsa_uses_dynamic_stack 0
		.amdhsa_enable_private_segment 0
		.amdhsa_system_sgpr_workgroup_id_x 1
		.amdhsa_system_sgpr_workgroup_id_y 0
		.amdhsa_system_sgpr_workgroup_id_z 0
		.amdhsa_system_sgpr_workgroup_info 0
		.amdhsa_system_vgpr_workitem_id 0
		.amdhsa_next_free_vgpr 1
		.amdhsa_next_free_sgpr 1
		.amdhsa_reserve_vcc 0
		.amdhsa_float_round_mode_32 0
		.amdhsa_float_round_mode_16_64 0
		.amdhsa_float_denorm_mode_32 3
		.amdhsa_float_denorm_mode_16_64 3
		.amdhsa_fp16_overflow 0
		.amdhsa_workgroup_processor_mode 1
		.amdhsa_memory_ordered 1
		.amdhsa_forward_progress 1
		.amdhsa_inst_pref_size 0
		.amdhsa_round_robin_scheduling 0
		.amdhsa_exception_fp_ieee_invalid_op 0
		.amdhsa_exception_fp_denorm_src 0
		.amdhsa_exception_fp_ieee_div_zero 0
		.amdhsa_exception_fp_ieee_overflow 0
		.amdhsa_exception_fp_ieee_underflow 0
		.amdhsa_exception_fp_ieee_inexact 0
		.amdhsa_exception_int_div_zero 0
	.end_amdhsa_kernel
	.section	.text._ZN7rocprim17ROCPRIM_400000_NS6detail17trampoline_kernelINS0_14default_configENS1_25partition_config_selectorILNS1_17partition_subalgoE5EfNS0_10empty_typeEbEEZZNS1_14partition_implILS5_5ELb0ES3_mN6thrust23THRUST_200600_302600_NS6detail15normal_iteratorINSA_10device_ptrIfEEEEPS6_NSA_18transform_iteratorINSB_9not_fun_tINSA_8identityIfEEEESF_NSA_11use_defaultESM_EENS0_5tupleIJSF_S6_EEENSO_IJSG_SG_EEES6_PlJS6_EEE10hipError_tPvRmT3_T4_T5_T6_T7_T9_mT8_P12ihipStream_tbDpT10_ENKUlT_T0_E_clISt17integral_constantIbLb1EES1A_IbLb0EEEEDaS16_S17_EUlS16_E_NS1_11comp_targetILNS1_3genE8ELNS1_11target_archE1030ELNS1_3gpuE2ELNS1_3repE0EEENS1_30default_config_static_selectorELNS0_4arch9wavefront6targetE0EEEvT1_,"axG",@progbits,_ZN7rocprim17ROCPRIM_400000_NS6detail17trampoline_kernelINS0_14default_configENS1_25partition_config_selectorILNS1_17partition_subalgoE5EfNS0_10empty_typeEbEEZZNS1_14partition_implILS5_5ELb0ES3_mN6thrust23THRUST_200600_302600_NS6detail15normal_iteratorINSA_10device_ptrIfEEEEPS6_NSA_18transform_iteratorINSB_9not_fun_tINSA_8identityIfEEEESF_NSA_11use_defaultESM_EENS0_5tupleIJSF_S6_EEENSO_IJSG_SG_EEES6_PlJS6_EEE10hipError_tPvRmT3_T4_T5_T6_T7_T9_mT8_P12ihipStream_tbDpT10_ENKUlT_T0_E_clISt17integral_constantIbLb1EES1A_IbLb0EEEEDaS16_S17_EUlS16_E_NS1_11comp_targetILNS1_3genE8ELNS1_11target_archE1030ELNS1_3gpuE2ELNS1_3repE0EEENS1_30default_config_static_selectorELNS0_4arch9wavefront6targetE0EEEvT1_,comdat
.Lfunc_end844:
	.size	_ZN7rocprim17ROCPRIM_400000_NS6detail17trampoline_kernelINS0_14default_configENS1_25partition_config_selectorILNS1_17partition_subalgoE5EfNS0_10empty_typeEbEEZZNS1_14partition_implILS5_5ELb0ES3_mN6thrust23THRUST_200600_302600_NS6detail15normal_iteratorINSA_10device_ptrIfEEEEPS6_NSA_18transform_iteratorINSB_9not_fun_tINSA_8identityIfEEEESF_NSA_11use_defaultESM_EENS0_5tupleIJSF_S6_EEENSO_IJSG_SG_EEES6_PlJS6_EEE10hipError_tPvRmT3_T4_T5_T6_T7_T9_mT8_P12ihipStream_tbDpT10_ENKUlT_T0_E_clISt17integral_constantIbLb1EES1A_IbLb0EEEEDaS16_S17_EUlS16_E_NS1_11comp_targetILNS1_3genE8ELNS1_11target_archE1030ELNS1_3gpuE2ELNS1_3repE0EEENS1_30default_config_static_selectorELNS0_4arch9wavefront6targetE0EEEvT1_, .Lfunc_end844-_ZN7rocprim17ROCPRIM_400000_NS6detail17trampoline_kernelINS0_14default_configENS1_25partition_config_selectorILNS1_17partition_subalgoE5EfNS0_10empty_typeEbEEZZNS1_14partition_implILS5_5ELb0ES3_mN6thrust23THRUST_200600_302600_NS6detail15normal_iteratorINSA_10device_ptrIfEEEEPS6_NSA_18transform_iteratorINSB_9not_fun_tINSA_8identityIfEEEESF_NSA_11use_defaultESM_EENS0_5tupleIJSF_S6_EEENSO_IJSG_SG_EEES6_PlJS6_EEE10hipError_tPvRmT3_T4_T5_T6_T7_T9_mT8_P12ihipStream_tbDpT10_ENKUlT_T0_E_clISt17integral_constantIbLb1EES1A_IbLb0EEEEDaS16_S17_EUlS16_E_NS1_11comp_targetILNS1_3genE8ELNS1_11target_archE1030ELNS1_3gpuE2ELNS1_3repE0EEENS1_30default_config_static_selectorELNS0_4arch9wavefront6targetE0EEEvT1_
                                        ; -- End function
	.set _ZN7rocprim17ROCPRIM_400000_NS6detail17trampoline_kernelINS0_14default_configENS1_25partition_config_selectorILNS1_17partition_subalgoE5EfNS0_10empty_typeEbEEZZNS1_14partition_implILS5_5ELb0ES3_mN6thrust23THRUST_200600_302600_NS6detail15normal_iteratorINSA_10device_ptrIfEEEEPS6_NSA_18transform_iteratorINSB_9not_fun_tINSA_8identityIfEEEESF_NSA_11use_defaultESM_EENS0_5tupleIJSF_S6_EEENSO_IJSG_SG_EEES6_PlJS6_EEE10hipError_tPvRmT3_T4_T5_T6_T7_T9_mT8_P12ihipStream_tbDpT10_ENKUlT_T0_E_clISt17integral_constantIbLb1EES1A_IbLb0EEEEDaS16_S17_EUlS16_E_NS1_11comp_targetILNS1_3genE8ELNS1_11target_archE1030ELNS1_3gpuE2ELNS1_3repE0EEENS1_30default_config_static_selectorELNS0_4arch9wavefront6targetE0EEEvT1_.num_vgpr, 0
	.set _ZN7rocprim17ROCPRIM_400000_NS6detail17trampoline_kernelINS0_14default_configENS1_25partition_config_selectorILNS1_17partition_subalgoE5EfNS0_10empty_typeEbEEZZNS1_14partition_implILS5_5ELb0ES3_mN6thrust23THRUST_200600_302600_NS6detail15normal_iteratorINSA_10device_ptrIfEEEEPS6_NSA_18transform_iteratorINSB_9not_fun_tINSA_8identityIfEEEESF_NSA_11use_defaultESM_EENS0_5tupleIJSF_S6_EEENSO_IJSG_SG_EEES6_PlJS6_EEE10hipError_tPvRmT3_T4_T5_T6_T7_T9_mT8_P12ihipStream_tbDpT10_ENKUlT_T0_E_clISt17integral_constantIbLb1EES1A_IbLb0EEEEDaS16_S17_EUlS16_E_NS1_11comp_targetILNS1_3genE8ELNS1_11target_archE1030ELNS1_3gpuE2ELNS1_3repE0EEENS1_30default_config_static_selectorELNS0_4arch9wavefront6targetE0EEEvT1_.num_agpr, 0
	.set _ZN7rocprim17ROCPRIM_400000_NS6detail17trampoline_kernelINS0_14default_configENS1_25partition_config_selectorILNS1_17partition_subalgoE5EfNS0_10empty_typeEbEEZZNS1_14partition_implILS5_5ELb0ES3_mN6thrust23THRUST_200600_302600_NS6detail15normal_iteratorINSA_10device_ptrIfEEEEPS6_NSA_18transform_iteratorINSB_9not_fun_tINSA_8identityIfEEEESF_NSA_11use_defaultESM_EENS0_5tupleIJSF_S6_EEENSO_IJSG_SG_EEES6_PlJS6_EEE10hipError_tPvRmT3_T4_T5_T6_T7_T9_mT8_P12ihipStream_tbDpT10_ENKUlT_T0_E_clISt17integral_constantIbLb1EES1A_IbLb0EEEEDaS16_S17_EUlS16_E_NS1_11comp_targetILNS1_3genE8ELNS1_11target_archE1030ELNS1_3gpuE2ELNS1_3repE0EEENS1_30default_config_static_selectorELNS0_4arch9wavefront6targetE0EEEvT1_.numbered_sgpr, 0
	.set _ZN7rocprim17ROCPRIM_400000_NS6detail17trampoline_kernelINS0_14default_configENS1_25partition_config_selectorILNS1_17partition_subalgoE5EfNS0_10empty_typeEbEEZZNS1_14partition_implILS5_5ELb0ES3_mN6thrust23THRUST_200600_302600_NS6detail15normal_iteratorINSA_10device_ptrIfEEEEPS6_NSA_18transform_iteratorINSB_9not_fun_tINSA_8identityIfEEEESF_NSA_11use_defaultESM_EENS0_5tupleIJSF_S6_EEENSO_IJSG_SG_EEES6_PlJS6_EEE10hipError_tPvRmT3_T4_T5_T6_T7_T9_mT8_P12ihipStream_tbDpT10_ENKUlT_T0_E_clISt17integral_constantIbLb1EES1A_IbLb0EEEEDaS16_S17_EUlS16_E_NS1_11comp_targetILNS1_3genE8ELNS1_11target_archE1030ELNS1_3gpuE2ELNS1_3repE0EEENS1_30default_config_static_selectorELNS0_4arch9wavefront6targetE0EEEvT1_.num_named_barrier, 0
	.set _ZN7rocprim17ROCPRIM_400000_NS6detail17trampoline_kernelINS0_14default_configENS1_25partition_config_selectorILNS1_17partition_subalgoE5EfNS0_10empty_typeEbEEZZNS1_14partition_implILS5_5ELb0ES3_mN6thrust23THRUST_200600_302600_NS6detail15normal_iteratorINSA_10device_ptrIfEEEEPS6_NSA_18transform_iteratorINSB_9not_fun_tINSA_8identityIfEEEESF_NSA_11use_defaultESM_EENS0_5tupleIJSF_S6_EEENSO_IJSG_SG_EEES6_PlJS6_EEE10hipError_tPvRmT3_T4_T5_T6_T7_T9_mT8_P12ihipStream_tbDpT10_ENKUlT_T0_E_clISt17integral_constantIbLb1EES1A_IbLb0EEEEDaS16_S17_EUlS16_E_NS1_11comp_targetILNS1_3genE8ELNS1_11target_archE1030ELNS1_3gpuE2ELNS1_3repE0EEENS1_30default_config_static_selectorELNS0_4arch9wavefront6targetE0EEEvT1_.private_seg_size, 0
	.set _ZN7rocprim17ROCPRIM_400000_NS6detail17trampoline_kernelINS0_14default_configENS1_25partition_config_selectorILNS1_17partition_subalgoE5EfNS0_10empty_typeEbEEZZNS1_14partition_implILS5_5ELb0ES3_mN6thrust23THRUST_200600_302600_NS6detail15normal_iteratorINSA_10device_ptrIfEEEEPS6_NSA_18transform_iteratorINSB_9not_fun_tINSA_8identityIfEEEESF_NSA_11use_defaultESM_EENS0_5tupleIJSF_S6_EEENSO_IJSG_SG_EEES6_PlJS6_EEE10hipError_tPvRmT3_T4_T5_T6_T7_T9_mT8_P12ihipStream_tbDpT10_ENKUlT_T0_E_clISt17integral_constantIbLb1EES1A_IbLb0EEEEDaS16_S17_EUlS16_E_NS1_11comp_targetILNS1_3genE8ELNS1_11target_archE1030ELNS1_3gpuE2ELNS1_3repE0EEENS1_30default_config_static_selectorELNS0_4arch9wavefront6targetE0EEEvT1_.uses_vcc, 0
	.set _ZN7rocprim17ROCPRIM_400000_NS6detail17trampoline_kernelINS0_14default_configENS1_25partition_config_selectorILNS1_17partition_subalgoE5EfNS0_10empty_typeEbEEZZNS1_14partition_implILS5_5ELb0ES3_mN6thrust23THRUST_200600_302600_NS6detail15normal_iteratorINSA_10device_ptrIfEEEEPS6_NSA_18transform_iteratorINSB_9not_fun_tINSA_8identityIfEEEESF_NSA_11use_defaultESM_EENS0_5tupleIJSF_S6_EEENSO_IJSG_SG_EEES6_PlJS6_EEE10hipError_tPvRmT3_T4_T5_T6_T7_T9_mT8_P12ihipStream_tbDpT10_ENKUlT_T0_E_clISt17integral_constantIbLb1EES1A_IbLb0EEEEDaS16_S17_EUlS16_E_NS1_11comp_targetILNS1_3genE8ELNS1_11target_archE1030ELNS1_3gpuE2ELNS1_3repE0EEENS1_30default_config_static_selectorELNS0_4arch9wavefront6targetE0EEEvT1_.uses_flat_scratch, 0
	.set _ZN7rocprim17ROCPRIM_400000_NS6detail17trampoline_kernelINS0_14default_configENS1_25partition_config_selectorILNS1_17partition_subalgoE5EfNS0_10empty_typeEbEEZZNS1_14partition_implILS5_5ELb0ES3_mN6thrust23THRUST_200600_302600_NS6detail15normal_iteratorINSA_10device_ptrIfEEEEPS6_NSA_18transform_iteratorINSB_9not_fun_tINSA_8identityIfEEEESF_NSA_11use_defaultESM_EENS0_5tupleIJSF_S6_EEENSO_IJSG_SG_EEES6_PlJS6_EEE10hipError_tPvRmT3_T4_T5_T6_T7_T9_mT8_P12ihipStream_tbDpT10_ENKUlT_T0_E_clISt17integral_constantIbLb1EES1A_IbLb0EEEEDaS16_S17_EUlS16_E_NS1_11comp_targetILNS1_3genE8ELNS1_11target_archE1030ELNS1_3gpuE2ELNS1_3repE0EEENS1_30default_config_static_selectorELNS0_4arch9wavefront6targetE0EEEvT1_.has_dyn_sized_stack, 0
	.set _ZN7rocprim17ROCPRIM_400000_NS6detail17trampoline_kernelINS0_14default_configENS1_25partition_config_selectorILNS1_17partition_subalgoE5EfNS0_10empty_typeEbEEZZNS1_14partition_implILS5_5ELb0ES3_mN6thrust23THRUST_200600_302600_NS6detail15normal_iteratorINSA_10device_ptrIfEEEEPS6_NSA_18transform_iteratorINSB_9not_fun_tINSA_8identityIfEEEESF_NSA_11use_defaultESM_EENS0_5tupleIJSF_S6_EEENSO_IJSG_SG_EEES6_PlJS6_EEE10hipError_tPvRmT3_T4_T5_T6_T7_T9_mT8_P12ihipStream_tbDpT10_ENKUlT_T0_E_clISt17integral_constantIbLb1EES1A_IbLb0EEEEDaS16_S17_EUlS16_E_NS1_11comp_targetILNS1_3genE8ELNS1_11target_archE1030ELNS1_3gpuE2ELNS1_3repE0EEENS1_30default_config_static_selectorELNS0_4arch9wavefront6targetE0EEEvT1_.has_recursion, 0
	.set _ZN7rocprim17ROCPRIM_400000_NS6detail17trampoline_kernelINS0_14default_configENS1_25partition_config_selectorILNS1_17partition_subalgoE5EfNS0_10empty_typeEbEEZZNS1_14partition_implILS5_5ELb0ES3_mN6thrust23THRUST_200600_302600_NS6detail15normal_iteratorINSA_10device_ptrIfEEEEPS6_NSA_18transform_iteratorINSB_9not_fun_tINSA_8identityIfEEEESF_NSA_11use_defaultESM_EENS0_5tupleIJSF_S6_EEENSO_IJSG_SG_EEES6_PlJS6_EEE10hipError_tPvRmT3_T4_T5_T6_T7_T9_mT8_P12ihipStream_tbDpT10_ENKUlT_T0_E_clISt17integral_constantIbLb1EES1A_IbLb0EEEEDaS16_S17_EUlS16_E_NS1_11comp_targetILNS1_3genE8ELNS1_11target_archE1030ELNS1_3gpuE2ELNS1_3repE0EEENS1_30default_config_static_selectorELNS0_4arch9wavefront6targetE0EEEvT1_.has_indirect_call, 0
	.section	.AMDGPU.csdata,"",@progbits
; Kernel info:
; codeLenInByte = 0
; TotalNumSgprs: 0
; NumVgprs: 0
; ScratchSize: 0
; MemoryBound: 0
; FloatMode: 240
; IeeeMode: 1
; LDSByteSize: 0 bytes/workgroup (compile time only)
; SGPRBlocks: 0
; VGPRBlocks: 0
; NumSGPRsForWavesPerEU: 1
; NumVGPRsForWavesPerEU: 1
; Occupancy: 16
; WaveLimiterHint : 0
; COMPUTE_PGM_RSRC2:SCRATCH_EN: 0
; COMPUTE_PGM_RSRC2:USER_SGPR: 2
; COMPUTE_PGM_RSRC2:TRAP_HANDLER: 0
; COMPUTE_PGM_RSRC2:TGID_X_EN: 1
; COMPUTE_PGM_RSRC2:TGID_Y_EN: 0
; COMPUTE_PGM_RSRC2:TGID_Z_EN: 0
; COMPUTE_PGM_RSRC2:TIDIG_COMP_CNT: 0
	.section	.text._ZN7rocprim17ROCPRIM_400000_NS6detail17trampoline_kernelINS0_14default_configENS1_25partition_config_selectorILNS1_17partition_subalgoE5EfNS0_10empty_typeEbEEZZNS1_14partition_implILS5_5ELb0ES3_mN6thrust23THRUST_200600_302600_NS6detail15normal_iteratorINSA_10device_ptrIfEEEEPS6_NSA_18transform_iteratorINSB_9not_fun_tINSA_8identityIfEEEESF_NSA_11use_defaultESM_EENS0_5tupleIJSF_S6_EEENSO_IJSG_SG_EEES6_PlJS6_EEE10hipError_tPvRmT3_T4_T5_T6_T7_T9_mT8_P12ihipStream_tbDpT10_ENKUlT_T0_E_clISt17integral_constantIbLb0EES1A_IbLb1EEEEDaS16_S17_EUlS16_E_NS1_11comp_targetILNS1_3genE0ELNS1_11target_archE4294967295ELNS1_3gpuE0ELNS1_3repE0EEENS1_30default_config_static_selectorELNS0_4arch9wavefront6targetE0EEEvT1_,"axG",@progbits,_ZN7rocprim17ROCPRIM_400000_NS6detail17trampoline_kernelINS0_14default_configENS1_25partition_config_selectorILNS1_17partition_subalgoE5EfNS0_10empty_typeEbEEZZNS1_14partition_implILS5_5ELb0ES3_mN6thrust23THRUST_200600_302600_NS6detail15normal_iteratorINSA_10device_ptrIfEEEEPS6_NSA_18transform_iteratorINSB_9not_fun_tINSA_8identityIfEEEESF_NSA_11use_defaultESM_EENS0_5tupleIJSF_S6_EEENSO_IJSG_SG_EEES6_PlJS6_EEE10hipError_tPvRmT3_T4_T5_T6_T7_T9_mT8_P12ihipStream_tbDpT10_ENKUlT_T0_E_clISt17integral_constantIbLb0EES1A_IbLb1EEEEDaS16_S17_EUlS16_E_NS1_11comp_targetILNS1_3genE0ELNS1_11target_archE4294967295ELNS1_3gpuE0ELNS1_3repE0EEENS1_30default_config_static_selectorELNS0_4arch9wavefront6targetE0EEEvT1_,comdat
	.protected	_ZN7rocprim17ROCPRIM_400000_NS6detail17trampoline_kernelINS0_14default_configENS1_25partition_config_selectorILNS1_17partition_subalgoE5EfNS0_10empty_typeEbEEZZNS1_14partition_implILS5_5ELb0ES3_mN6thrust23THRUST_200600_302600_NS6detail15normal_iteratorINSA_10device_ptrIfEEEEPS6_NSA_18transform_iteratorINSB_9not_fun_tINSA_8identityIfEEEESF_NSA_11use_defaultESM_EENS0_5tupleIJSF_S6_EEENSO_IJSG_SG_EEES6_PlJS6_EEE10hipError_tPvRmT3_T4_T5_T6_T7_T9_mT8_P12ihipStream_tbDpT10_ENKUlT_T0_E_clISt17integral_constantIbLb0EES1A_IbLb1EEEEDaS16_S17_EUlS16_E_NS1_11comp_targetILNS1_3genE0ELNS1_11target_archE4294967295ELNS1_3gpuE0ELNS1_3repE0EEENS1_30default_config_static_selectorELNS0_4arch9wavefront6targetE0EEEvT1_ ; -- Begin function _ZN7rocprim17ROCPRIM_400000_NS6detail17trampoline_kernelINS0_14default_configENS1_25partition_config_selectorILNS1_17partition_subalgoE5EfNS0_10empty_typeEbEEZZNS1_14partition_implILS5_5ELb0ES3_mN6thrust23THRUST_200600_302600_NS6detail15normal_iteratorINSA_10device_ptrIfEEEEPS6_NSA_18transform_iteratorINSB_9not_fun_tINSA_8identityIfEEEESF_NSA_11use_defaultESM_EENS0_5tupleIJSF_S6_EEENSO_IJSG_SG_EEES6_PlJS6_EEE10hipError_tPvRmT3_T4_T5_T6_T7_T9_mT8_P12ihipStream_tbDpT10_ENKUlT_T0_E_clISt17integral_constantIbLb0EES1A_IbLb1EEEEDaS16_S17_EUlS16_E_NS1_11comp_targetILNS1_3genE0ELNS1_11target_archE4294967295ELNS1_3gpuE0ELNS1_3repE0EEENS1_30default_config_static_selectorELNS0_4arch9wavefront6targetE0EEEvT1_
	.globl	_ZN7rocprim17ROCPRIM_400000_NS6detail17trampoline_kernelINS0_14default_configENS1_25partition_config_selectorILNS1_17partition_subalgoE5EfNS0_10empty_typeEbEEZZNS1_14partition_implILS5_5ELb0ES3_mN6thrust23THRUST_200600_302600_NS6detail15normal_iteratorINSA_10device_ptrIfEEEEPS6_NSA_18transform_iteratorINSB_9not_fun_tINSA_8identityIfEEEESF_NSA_11use_defaultESM_EENS0_5tupleIJSF_S6_EEENSO_IJSG_SG_EEES6_PlJS6_EEE10hipError_tPvRmT3_T4_T5_T6_T7_T9_mT8_P12ihipStream_tbDpT10_ENKUlT_T0_E_clISt17integral_constantIbLb0EES1A_IbLb1EEEEDaS16_S17_EUlS16_E_NS1_11comp_targetILNS1_3genE0ELNS1_11target_archE4294967295ELNS1_3gpuE0ELNS1_3repE0EEENS1_30default_config_static_selectorELNS0_4arch9wavefront6targetE0EEEvT1_
	.p2align	8
	.type	_ZN7rocprim17ROCPRIM_400000_NS6detail17trampoline_kernelINS0_14default_configENS1_25partition_config_selectorILNS1_17partition_subalgoE5EfNS0_10empty_typeEbEEZZNS1_14partition_implILS5_5ELb0ES3_mN6thrust23THRUST_200600_302600_NS6detail15normal_iteratorINSA_10device_ptrIfEEEEPS6_NSA_18transform_iteratorINSB_9not_fun_tINSA_8identityIfEEEESF_NSA_11use_defaultESM_EENS0_5tupleIJSF_S6_EEENSO_IJSG_SG_EEES6_PlJS6_EEE10hipError_tPvRmT3_T4_T5_T6_T7_T9_mT8_P12ihipStream_tbDpT10_ENKUlT_T0_E_clISt17integral_constantIbLb0EES1A_IbLb1EEEEDaS16_S17_EUlS16_E_NS1_11comp_targetILNS1_3genE0ELNS1_11target_archE4294967295ELNS1_3gpuE0ELNS1_3repE0EEENS1_30default_config_static_selectorELNS0_4arch9wavefront6targetE0EEEvT1_,@function
_ZN7rocprim17ROCPRIM_400000_NS6detail17trampoline_kernelINS0_14default_configENS1_25partition_config_selectorILNS1_17partition_subalgoE5EfNS0_10empty_typeEbEEZZNS1_14partition_implILS5_5ELb0ES3_mN6thrust23THRUST_200600_302600_NS6detail15normal_iteratorINSA_10device_ptrIfEEEEPS6_NSA_18transform_iteratorINSB_9not_fun_tINSA_8identityIfEEEESF_NSA_11use_defaultESM_EENS0_5tupleIJSF_S6_EEENSO_IJSG_SG_EEES6_PlJS6_EEE10hipError_tPvRmT3_T4_T5_T6_T7_T9_mT8_P12ihipStream_tbDpT10_ENKUlT_T0_E_clISt17integral_constantIbLb0EES1A_IbLb1EEEEDaS16_S17_EUlS16_E_NS1_11comp_targetILNS1_3genE0ELNS1_11target_archE4294967295ELNS1_3gpuE0ELNS1_3repE0EEENS1_30default_config_static_selectorELNS0_4arch9wavefront6targetE0EEEvT1_: ; @_ZN7rocprim17ROCPRIM_400000_NS6detail17trampoline_kernelINS0_14default_configENS1_25partition_config_selectorILNS1_17partition_subalgoE5EfNS0_10empty_typeEbEEZZNS1_14partition_implILS5_5ELb0ES3_mN6thrust23THRUST_200600_302600_NS6detail15normal_iteratorINSA_10device_ptrIfEEEEPS6_NSA_18transform_iteratorINSB_9not_fun_tINSA_8identityIfEEEESF_NSA_11use_defaultESM_EENS0_5tupleIJSF_S6_EEENSO_IJSG_SG_EEES6_PlJS6_EEE10hipError_tPvRmT3_T4_T5_T6_T7_T9_mT8_P12ihipStream_tbDpT10_ENKUlT_T0_E_clISt17integral_constantIbLb0EES1A_IbLb1EEEEDaS16_S17_EUlS16_E_NS1_11comp_targetILNS1_3genE0ELNS1_11target_archE4294967295ELNS1_3gpuE0ELNS1_3repE0EEENS1_30default_config_static_selectorELNS0_4arch9wavefront6targetE0EEEvT1_
; %bb.0:
	.section	.rodata,"a",@progbits
	.p2align	6, 0x0
	.amdhsa_kernel _ZN7rocprim17ROCPRIM_400000_NS6detail17trampoline_kernelINS0_14default_configENS1_25partition_config_selectorILNS1_17partition_subalgoE5EfNS0_10empty_typeEbEEZZNS1_14partition_implILS5_5ELb0ES3_mN6thrust23THRUST_200600_302600_NS6detail15normal_iteratorINSA_10device_ptrIfEEEEPS6_NSA_18transform_iteratorINSB_9not_fun_tINSA_8identityIfEEEESF_NSA_11use_defaultESM_EENS0_5tupleIJSF_S6_EEENSO_IJSG_SG_EEES6_PlJS6_EEE10hipError_tPvRmT3_T4_T5_T6_T7_T9_mT8_P12ihipStream_tbDpT10_ENKUlT_T0_E_clISt17integral_constantIbLb0EES1A_IbLb1EEEEDaS16_S17_EUlS16_E_NS1_11comp_targetILNS1_3genE0ELNS1_11target_archE4294967295ELNS1_3gpuE0ELNS1_3repE0EEENS1_30default_config_static_selectorELNS0_4arch9wavefront6targetE0EEEvT1_
		.amdhsa_group_segment_fixed_size 0
		.amdhsa_private_segment_fixed_size 0
		.amdhsa_kernarg_size 136
		.amdhsa_user_sgpr_count 2
		.amdhsa_user_sgpr_dispatch_ptr 0
		.amdhsa_user_sgpr_queue_ptr 0
		.amdhsa_user_sgpr_kernarg_segment_ptr 1
		.amdhsa_user_sgpr_dispatch_id 0
		.amdhsa_user_sgpr_private_segment_size 0
		.amdhsa_wavefront_size32 1
		.amdhsa_uses_dynamic_stack 0
		.amdhsa_enable_private_segment 0
		.amdhsa_system_sgpr_workgroup_id_x 1
		.amdhsa_system_sgpr_workgroup_id_y 0
		.amdhsa_system_sgpr_workgroup_id_z 0
		.amdhsa_system_sgpr_workgroup_info 0
		.amdhsa_system_vgpr_workitem_id 0
		.amdhsa_next_free_vgpr 1
		.amdhsa_next_free_sgpr 1
		.amdhsa_reserve_vcc 0
		.amdhsa_float_round_mode_32 0
		.amdhsa_float_round_mode_16_64 0
		.amdhsa_float_denorm_mode_32 3
		.amdhsa_float_denorm_mode_16_64 3
		.amdhsa_fp16_overflow 0
		.amdhsa_workgroup_processor_mode 1
		.amdhsa_memory_ordered 1
		.amdhsa_forward_progress 1
		.amdhsa_inst_pref_size 0
		.amdhsa_round_robin_scheduling 0
		.amdhsa_exception_fp_ieee_invalid_op 0
		.amdhsa_exception_fp_denorm_src 0
		.amdhsa_exception_fp_ieee_div_zero 0
		.amdhsa_exception_fp_ieee_overflow 0
		.amdhsa_exception_fp_ieee_underflow 0
		.amdhsa_exception_fp_ieee_inexact 0
		.amdhsa_exception_int_div_zero 0
	.end_amdhsa_kernel
	.section	.text._ZN7rocprim17ROCPRIM_400000_NS6detail17trampoline_kernelINS0_14default_configENS1_25partition_config_selectorILNS1_17partition_subalgoE5EfNS0_10empty_typeEbEEZZNS1_14partition_implILS5_5ELb0ES3_mN6thrust23THRUST_200600_302600_NS6detail15normal_iteratorINSA_10device_ptrIfEEEEPS6_NSA_18transform_iteratorINSB_9not_fun_tINSA_8identityIfEEEESF_NSA_11use_defaultESM_EENS0_5tupleIJSF_S6_EEENSO_IJSG_SG_EEES6_PlJS6_EEE10hipError_tPvRmT3_T4_T5_T6_T7_T9_mT8_P12ihipStream_tbDpT10_ENKUlT_T0_E_clISt17integral_constantIbLb0EES1A_IbLb1EEEEDaS16_S17_EUlS16_E_NS1_11comp_targetILNS1_3genE0ELNS1_11target_archE4294967295ELNS1_3gpuE0ELNS1_3repE0EEENS1_30default_config_static_selectorELNS0_4arch9wavefront6targetE0EEEvT1_,"axG",@progbits,_ZN7rocprim17ROCPRIM_400000_NS6detail17trampoline_kernelINS0_14default_configENS1_25partition_config_selectorILNS1_17partition_subalgoE5EfNS0_10empty_typeEbEEZZNS1_14partition_implILS5_5ELb0ES3_mN6thrust23THRUST_200600_302600_NS6detail15normal_iteratorINSA_10device_ptrIfEEEEPS6_NSA_18transform_iteratorINSB_9not_fun_tINSA_8identityIfEEEESF_NSA_11use_defaultESM_EENS0_5tupleIJSF_S6_EEENSO_IJSG_SG_EEES6_PlJS6_EEE10hipError_tPvRmT3_T4_T5_T6_T7_T9_mT8_P12ihipStream_tbDpT10_ENKUlT_T0_E_clISt17integral_constantIbLb0EES1A_IbLb1EEEEDaS16_S17_EUlS16_E_NS1_11comp_targetILNS1_3genE0ELNS1_11target_archE4294967295ELNS1_3gpuE0ELNS1_3repE0EEENS1_30default_config_static_selectorELNS0_4arch9wavefront6targetE0EEEvT1_,comdat
.Lfunc_end845:
	.size	_ZN7rocprim17ROCPRIM_400000_NS6detail17trampoline_kernelINS0_14default_configENS1_25partition_config_selectorILNS1_17partition_subalgoE5EfNS0_10empty_typeEbEEZZNS1_14partition_implILS5_5ELb0ES3_mN6thrust23THRUST_200600_302600_NS6detail15normal_iteratorINSA_10device_ptrIfEEEEPS6_NSA_18transform_iteratorINSB_9not_fun_tINSA_8identityIfEEEESF_NSA_11use_defaultESM_EENS0_5tupleIJSF_S6_EEENSO_IJSG_SG_EEES6_PlJS6_EEE10hipError_tPvRmT3_T4_T5_T6_T7_T9_mT8_P12ihipStream_tbDpT10_ENKUlT_T0_E_clISt17integral_constantIbLb0EES1A_IbLb1EEEEDaS16_S17_EUlS16_E_NS1_11comp_targetILNS1_3genE0ELNS1_11target_archE4294967295ELNS1_3gpuE0ELNS1_3repE0EEENS1_30default_config_static_selectorELNS0_4arch9wavefront6targetE0EEEvT1_, .Lfunc_end845-_ZN7rocprim17ROCPRIM_400000_NS6detail17trampoline_kernelINS0_14default_configENS1_25partition_config_selectorILNS1_17partition_subalgoE5EfNS0_10empty_typeEbEEZZNS1_14partition_implILS5_5ELb0ES3_mN6thrust23THRUST_200600_302600_NS6detail15normal_iteratorINSA_10device_ptrIfEEEEPS6_NSA_18transform_iteratorINSB_9not_fun_tINSA_8identityIfEEEESF_NSA_11use_defaultESM_EENS0_5tupleIJSF_S6_EEENSO_IJSG_SG_EEES6_PlJS6_EEE10hipError_tPvRmT3_T4_T5_T6_T7_T9_mT8_P12ihipStream_tbDpT10_ENKUlT_T0_E_clISt17integral_constantIbLb0EES1A_IbLb1EEEEDaS16_S17_EUlS16_E_NS1_11comp_targetILNS1_3genE0ELNS1_11target_archE4294967295ELNS1_3gpuE0ELNS1_3repE0EEENS1_30default_config_static_selectorELNS0_4arch9wavefront6targetE0EEEvT1_
                                        ; -- End function
	.set _ZN7rocprim17ROCPRIM_400000_NS6detail17trampoline_kernelINS0_14default_configENS1_25partition_config_selectorILNS1_17partition_subalgoE5EfNS0_10empty_typeEbEEZZNS1_14partition_implILS5_5ELb0ES3_mN6thrust23THRUST_200600_302600_NS6detail15normal_iteratorINSA_10device_ptrIfEEEEPS6_NSA_18transform_iteratorINSB_9not_fun_tINSA_8identityIfEEEESF_NSA_11use_defaultESM_EENS0_5tupleIJSF_S6_EEENSO_IJSG_SG_EEES6_PlJS6_EEE10hipError_tPvRmT3_T4_T5_T6_T7_T9_mT8_P12ihipStream_tbDpT10_ENKUlT_T0_E_clISt17integral_constantIbLb0EES1A_IbLb1EEEEDaS16_S17_EUlS16_E_NS1_11comp_targetILNS1_3genE0ELNS1_11target_archE4294967295ELNS1_3gpuE0ELNS1_3repE0EEENS1_30default_config_static_selectorELNS0_4arch9wavefront6targetE0EEEvT1_.num_vgpr, 0
	.set _ZN7rocprim17ROCPRIM_400000_NS6detail17trampoline_kernelINS0_14default_configENS1_25partition_config_selectorILNS1_17partition_subalgoE5EfNS0_10empty_typeEbEEZZNS1_14partition_implILS5_5ELb0ES3_mN6thrust23THRUST_200600_302600_NS6detail15normal_iteratorINSA_10device_ptrIfEEEEPS6_NSA_18transform_iteratorINSB_9not_fun_tINSA_8identityIfEEEESF_NSA_11use_defaultESM_EENS0_5tupleIJSF_S6_EEENSO_IJSG_SG_EEES6_PlJS6_EEE10hipError_tPvRmT3_T4_T5_T6_T7_T9_mT8_P12ihipStream_tbDpT10_ENKUlT_T0_E_clISt17integral_constantIbLb0EES1A_IbLb1EEEEDaS16_S17_EUlS16_E_NS1_11comp_targetILNS1_3genE0ELNS1_11target_archE4294967295ELNS1_3gpuE0ELNS1_3repE0EEENS1_30default_config_static_selectorELNS0_4arch9wavefront6targetE0EEEvT1_.num_agpr, 0
	.set _ZN7rocprim17ROCPRIM_400000_NS6detail17trampoline_kernelINS0_14default_configENS1_25partition_config_selectorILNS1_17partition_subalgoE5EfNS0_10empty_typeEbEEZZNS1_14partition_implILS5_5ELb0ES3_mN6thrust23THRUST_200600_302600_NS6detail15normal_iteratorINSA_10device_ptrIfEEEEPS6_NSA_18transform_iteratorINSB_9not_fun_tINSA_8identityIfEEEESF_NSA_11use_defaultESM_EENS0_5tupleIJSF_S6_EEENSO_IJSG_SG_EEES6_PlJS6_EEE10hipError_tPvRmT3_T4_T5_T6_T7_T9_mT8_P12ihipStream_tbDpT10_ENKUlT_T0_E_clISt17integral_constantIbLb0EES1A_IbLb1EEEEDaS16_S17_EUlS16_E_NS1_11comp_targetILNS1_3genE0ELNS1_11target_archE4294967295ELNS1_3gpuE0ELNS1_3repE0EEENS1_30default_config_static_selectorELNS0_4arch9wavefront6targetE0EEEvT1_.numbered_sgpr, 0
	.set _ZN7rocprim17ROCPRIM_400000_NS6detail17trampoline_kernelINS0_14default_configENS1_25partition_config_selectorILNS1_17partition_subalgoE5EfNS0_10empty_typeEbEEZZNS1_14partition_implILS5_5ELb0ES3_mN6thrust23THRUST_200600_302600_NS6detail15normal_iteratorINSA_10device_ptrIfEEEEPS6_NSA_18transform_iteratorINSB_9not_fun_tINSA_8identityIfEEEESF_NSA_11use_defaultESM_EENS0_5tupleIJSF_S6_EEENSO_IJSG_SG_EEES6_PlJS6_EEE10hipError_tPvRmT3_T4_T5_T6_T7_T9_mT8_P12ihipStream_tbDpT10_ENKUlT_T0_E_clISt17integral_constantIbLb0EES1A_IbLb1EEEEDaS16_S17_EUlS16_E_NS1_11comp_targetILNS1_3genE0ELNS1_11target_archE4294967295ELNS1_3gpuE0ELNS1_3repE0EEENS1_30default_config_static_selectorELNS0_4arch9wavefront6targetE0EEEvT1_.num_named_barrier, 0
	.set _ZN7rocprim17ROCPRIM_400000_NS6detail17trampoline_kernelINS0_14default_configENS1_25partition_config_selectorILNS1_17partition_subalgoE5EfNS0_10empty_typeEbEEZZNS1_14partition_implILS5_5ELb0ES3_mN6thrust23THRUST_200600_302600_NS6detail15normal_iteratorINSA_10device_ptrIfEEEEPS6_NSA_18transform_iteratorINSB_9not_fun_tINSA_8identityIfEEEESF_NSA_11use_defaultESM_EENS0_5tupleIJSF_S6_EEENSO_IJSG_SG_EEES6_PlJS6_EEE10hipError_tPvRmT3_T4_T5_T6_T7_T9_mT8_P12ihipStream_tbDpT10_ENKUlT_T0_E_clISt17integral_constantIbLb0EES1A_IbLb1EEEEDaS16_S17_EUlS16_E_NS1_11comp_targetILNS1_3genE0ELNS1_11target_archE4294967295ELNS1_3gpuE0ELNS1_3repE0EEENS1_30default_config_static_selectorELNS0_4arch9wavefront6targetE0EEEvT1_.private_seg_size, 0
	.set _ZN7rocprim17ROCPRIM_400000_NS6detail17trampoline_kernelINS0_14default_configENS1_25partition_config_selectorILNS1_17partition_subalgoE5EfNS0_10empty_typeEbEEZZNS1_14partition_implILS5_5ELb0ES3_mN6thrust23THRUST_200600_302600_NS6detail15normal_iteratorINSA_10device_ptrIfEEEEPS6_NSA_18transform_iteratorINSB_9not_fun_tINSA_8identityIfEEEESF_NSA_11use_defaultESM_EENS0_5tupleIJSF_S6_EEENSO_IJSG_SG_EEES6_PlJS6_EEE10hipError_tPvRmT3_T4_T5_T6_T7_T9_mT8_P12ihipStream_tbDpT10_ENKUlT_T0_E_clISt17integral_constantIbLb0EES1A_IbLb1EEEEDaS16_S17_EUlS16_E_NS1_11comp_targetILNS1_3genE0ELNS1_11target_archE4294967295ELNS1_3gpuE0ELNS1_3repE0EEENS1_30default_config_static_selectorELNS0_4arch9wavefront6targetE0EEEvT1_.uses_vcc, 0
	.set _ZN7rocprim17ROCPRIM_400000_NS6detail17trampoline_kernelINS0_14default_configENS1_25partition_config_selectorILNS1_17partition_subalgoE5EfNS0_10empty_typeEbEEZZNS1_14partition_implILS5_5ELb0ES3_mN6thrust23THRUST_200600_302600_NS6detail15normal_iteratorINSA_10device_ptrIfEEEEPS6_NSA_18transform_iteratorINSB_9not_fun_tINSA_8identityIfEEEESF_NSA_11use_defaultESM_EENS0_5tupleIJSF_S6_EEENSO_IJSG_SG_EEES6_PlJS6_EEE10hipError_tPvRmT3_T4_T5_T6_T7_T9_mT8_P12ihipStream_tbDpT10_ENKUlT_T0_E_clISt17integral_constantIbLb0EES1A_IbLb1EEEEDaS16_S17_EUlS16_E_NS1_11comp_targetILNS1_3genE0ELNS1_11target_archE4294967295ELNS1_3gpuE0ELNS1_3repE0EEENS1_30default_config_static_selectorELNS0_4arch9wavefront6targetE0EEEvT1_.uses_flat_scratch, 0
	.set _ZN7rocprim17ROCPRIM_400000_NS6detail17trampoline_kernelINS0_14default_configENS1_25partition_config_selectorILNS1_17partition_subalgoE5EfNS0_10empty_typeEbEEZZNS1_14partition_implILS5_5ELb0ES3_mN6thrust23THRUST_200600_302600_NS6detail15normal_iteratorINSA_10device_ptrIfEEEEPS6_NSA_18transform_iteratorINSB_9not_fun_tINSA_8identityIfEEEESF_NSA_11use_defaultESM_EENS0_5tupleIJSF_S6_EEENSO_IJSG_SG_EEES6_PlJS6_EEE10hipError_tPvRmT3_T4_T5_T6_T7_T9_mT8_P12ihipStream_tbDpT10_ENKUlT_T0_E_clISt17integral_constantIbLb0EES1A_IbLb1EEEEDaS16_S17_EUlS16_E_NS1_11comp_targetILNS1_3genE0ELNS1_11target_archE4294967295ELNS1_3gpuE0ELNS1_3repE0EEENS1_30default_config_static_selectorELNS0_4arch9wavefront6targetE0EEEvT1_.has_dyn_sized_stack, 0
	.set _ZN7rocprim17ROCPRIM_400000_NS6detail17trampoline_kernelINS0_14default_configENS1_25partition_config_selectorILNS1_17partition_subalgoE5EfNS0_10empty_typeEbEEZZNS1_14partition_implILS5_5ELb0ES3_mN6thrust23THRUST_200600_302600_NS6detail15normal_iteratorINSA_10device_ptrIfEEEEPS6_NSA_18transform_iteratorINSB_9not_fun_tINSA_8identityIfEEEESF_NSA_11use_defaultESM_EENS0_5tupleIJSF_S6_EEENSO_IJSG_SG_EEES6_PlJS6_EEE10hipError_tPvRmT3_T4_T5_T6_T7_T9_mT8_P12ihipStream_tbDpT10_ENKUlT_T0_E_clISt17integral_constantIbLb0EES1A_IbLb1EEEEDaS16_S17_EUlS16_E_NS1_11comp_targetILNS1_3genE0ELNS1_11target_archE4294967295ELNS1_3gpuE0ELNS1_3repE0EEENS1_30default_config_static_selectorELNS0_4arch9wavefront6targetE0EEEvT1_.has_recursion, 0
	.set _ZN7rocprim17ROCPRIM_400000_NS6detail17trampoline_kernelINS0_14default_configENS1_25partition_config_selectorILNS1_17partition_subalgoE5EfNS0_10empty_typeEbEEZZNS1_14partition_implILS5_5ELb0ES3_mN6thrust23THRUST_200600_302600_NS6detail15normal_iteratorINSA_10device_ptrIfEEEEPS6_NSA_18transform_iteratorINSB_9not_fun_tINSA_8identityIfEEEESF_NSA_11use_defaultESM_EENS0_5tupleIJSF_S6_EEENSO_IJSG_SG_EEES6_PlJS6_EEE10hipError_tPvRmT3_T4_T5_T6_T7_T9_mT8_P12ihipStream_tbDpT10_ENKUlT_T0_E_clISt17integral_constantIbLb0EES1A_IbLb1EEEEDaS16_S17_EUlS16_E_NS1_11comp_targetILNS1_3genE0ELNS1_11target_archE4294967295ELNS1_3gpuE0ELNS1_3repE0EEENS1_30default_config_static_selectorELNS0_4arch9wavefront6targetE0EEEvT1_.has_indirect_call, 0
	.section	.AMDGPU.csdata,"",@progbits
; Kernel info:
; codeLenInByte = 0
; TotalNumSgprs: 0
; NumVgprs: 0
; ScratchSize: 0
; MemoryBound: 0
; FloatMode: 240
; IeeeMode: 1
; LDSByteSize: 0 bytes/workgroup (compile time only)
; SGPRBlocks: 0
; VGPRBlocks: 0
; NumSGPRsForWavesPerEU: 1
; NumVGPRsForWavesPerEU: 1
; Occupancy: 16
; WaveLimiterHint : 0
; COMPUTE_PGM_RSRC2:SCRATCH_EN: 0
; COMPUTE_PGM_RSRC2:USER_SGPR: 2
; COMPUTE_PGM_RSRC2:TRAP_HANDLER: 0
; COMPUTE_PGM_RSRC2:TGID_X_EN: 1
; COMPUTE_PGM_RSRC2:TGID_Y_EN: 0
; COMPUTE_PGM_RSRC2:TGID_Z_EN: 0
; COMPUTE_PGM_RSRC2:TIDIG_COMP_CNT: 0
	.section	.text._ZN7rocprim17ROCPRIM_400000_NS6detail17trampoline_kernelINS0_14default_configENS1_25partition_config_selectorILNS1_17partition_subalgoE5EfNS0_10empty_typeEbEEZZNS1_14partition_implILS5_5ELb0ES3_mN6thrust23THRUST_200600_302600_NS6detail15normal_iteratorINSA_10device_ptrIfEEEEPS6_NSA_18transform_iteratorINSB_9not_fun_tINSA_8identityIfEEEESF_NSA_11use_defaultESM_EENS0_5tupleIJSF_S6_EEENSO_IJSG_SG_EEES6_PlJS6_EEE10hipError_tPvRmT3_T4_T5_T6_T7_T9_mT8_P12ihipStream_tbDpT10_ENKUlT_T0_E_clISt17integral_constantIbLb0EES1A_IbLb1EEEEDaS16_S17_EUlS16_E_NS1_11comp_targetILNS1_3genE5ELNS1_11target_archE942ELNS1_3gpuE9ELNS1_3repE0EEENS1_30default_config_static_selectorELNS0_4arch9wavefront6targetE0EEEvT1_,"axG",@progbits,_ZN7rocprim17ROCPRIM_400000_NS6detail17trampoline_kernelINS0_14default_configENS1_25partition_config_selectorILNS1_17partition_subalgoE5EfNS0_10empty_typeEbEEZZNS1_14partition_implILS5_5ELb0ES3_mN6thrust23THRUST_200600_302600_NS6detail15normal_iteratorINSA_10device_ptrIfEEEEPS6_NSA_18transform_iteratorINSB_9not_fun_tINSA_8identityIfEEEESF_NSA_11use_defaultESM_EENS0_5tupleIJSF_S6_EEENSO_IJSG_SG_EEES6_PlJS6_EEE10hipError_tPvRmT3_T4_T5_T6_T7_T9_mT8_P12ihipStream_tbDpT10_ENKUlT_T0_E_clISt17integral_constantIbLb0EES1A_IbLb1EEEEDaS16_S17_EUlS16_E_NS1_11comp_targetILNS1_3genE5ELNS1_11target_archE942ELNS1_3gpuE9ELNS1_3repE0EEENS1_30default_config_static_selectorELNS0_4arch9wavefront6targetE0EEEvT1_,comdat
	.protected	_ZN7rocprim17ROCPRIM_400000_NS6detail17trampoline_kernelINS0_14default_configENS1_25partition_config_selectorILNS1_17partition_subalgoE5EfNS0_10empty_typeEbEEZZNS1_14partition_implILS5_5ELb0ES3_mN6thrust23THRUST_200600_302600_NS6detail15normal_iteratorINSA_10device_ptrIfEEEEPS6_NSA_18transform_iteratorINSB_9not_fun_tINSA_8identityIfEEEESF_NSA_11use_defaultESM_EENS0_5tupleIJSF_S6_EEENSO_IJSG_SG_EEES6_PlJS6_EEE10hipError_tPvRmT3_T4_T5_T6_T7_T9_mT8_P12ihipStream_tbDpT10_ENKUlT_T0_E_clISt17integral_constantIbLb0EES1A_IbLb1EEEEDaS16_S17_EUlS16_E_NS1_11comp_targetILNS1_3genE5ELNS1_11target_archE942ELNS1_3gpuE9ELNS1_3repE0EEENS1_30default_config_static_selectorELNS0_4arch9wavefront6targetE0EEEvT1_ ; -- Begin function _ZN7rocprim17ROCPRIM_400000_NS6detail17trampoline_kernelINS0_14default_configENS1_25partition_config_selectorILNS1_17partition_subalgoE5EfNS0_10empty_typeEbEEZZNS1_14partition_implILS5_5ELb0ES3_mN6thrust23THRUST_200600_302600_NS6detail15normal_iteratorINSA_10device_ptrIfEEEEPS6_NSA_18transform_iteratorINSB_9not_fun_tINSA_8identityIfEEEESF_NSA_11use_defaultESM_EENS0_5tupleIJSF_S6_EEENSO_IJSG_SG_EEES6_PlJS6_EEE10hipError_tPvRmT3_T4_T5_T6_T7_T9_mT8_P12ihipStream_tbDpT10_ENKUlT_T0_E_clISt17integral_constantIbLb0EES1A_IbLb1EEEEDaS16_S17_EUlS16_E_NS1_11comp_targetILNS1_3genE5ELNS1_11target_archE942ELNS1_3gpuE9ELNS1_3repE0EEENS1_30default_config_static_selectorELNS0_4arch9wavefront6targetE0EEEvT1_
	.globl	_ZN7rocprim17ROCPRIM_400000_NS6detail17trampoline_kernelINS0_14default_configENS1_25partition_config_selectorILNS1_17partition_subalgoE5EfNS0_10empty_typeEbEEZZNS1_14partition_implILS5_5ELb0ES3_mN6thrust23THRUST_200600_302600_NS6detail15normal_iteratorINSA_10device_ptrIfEEEEPS6_NSA_18transform_iteratorINSB_9not_fun_tINSA_8identityIfEEEESF_NSA_11use_defaultESM_EENS0_5tupleIJSF_S6_EEENSO_IJSG_SG_EEES6_PlJS6_EEE10hipError_tPvRmT3_T4_T5_T6_T7_T9_mT8_P12ihipStream_tbDpT10_ENKUlT_T0_E_clISt17integral_constantIbLb0EES1A_IbLb1EEEEDaS16_S17_EUlS16_E_NS1_11comp_targetILNS1_3genE5ELNS1_11target_archE942ELNS1_3gpuE9ELNS1_3repE0EEENS1_30default_config_static_selectorELNS0_4arch9wavefront6targetE0EEEvT1_
	.p2align	8
	.type	_ZN7rocprim17ROCPRIM_400000_NS6detail17trampoline_kernelINS0_14default_configENS1_25partition_config_selectorILNS1_17partition_subalgoE5EfNS0_10empty_typeEbEEZZNS1_14partition_implILS5_5ELb0ES3_mN6thrust23THRUST_200600_302600_NS6detail15normal_iteratorINSA_10device_ptrIfEEEEPS6_NSA_18transform_iteratorINSB_9not_fun_tINSA_8identityIfEEEESF_NSA_11use_defaultESM_EENS0_5tupleIJSF_S6_EEENSO_IJSG_SG_EEES6_PlJS6_EEE10hipError_tPvRmT3_T4_T5_T6_T7_T9_mT8_P12ihipStream_tbDpT10_ENKUlT_T0_E_clISt17integral_constantIbLb0EES1A_IbLb1EEEEDaS16_S17_EUlS16_E_NS1_11comp_targetILNS1_3genE5ELNS1_11target_archE942ELNS1_3gpuE9ELNS1_3repE0EEENS1_30default_config_static_selectorELNS0_4arch9wavefront6targetE0EEEvT1_,@function
_ZN7rocprim17ROCPRIM_400000_NS6detail17trampoline_kernelINS0_14default_configENS1_25partition_config_selectorILNS1_17partition_subalgoE5EfNS0_10empty_typeEbEEZZNS1_14partition_implILS5_5ELb0ES3_mN6thrust23THRUST_200600_302600_NS6detail15normal_iteratorINSA_10device_ptrIfEEEEPS6_NSA_18transform_iteratorINSB_9not_fun_tINSA_8identityIfEEEESF_NSA_11use_defaultESM_EENS0_5tupleIJSF_S6_EEENSO_IJSG_SG_EEES6_PlJS6_EEE10hipError_tPvRmT3_T4_T5_T6_T7_T9_mT8_P12ihipStream_tbDpT10_ENKUlT_T0_E_clISt17integral_constantIbLb0EES1A_IbLb1EEEEDaS16_S17_EUlS16_E_NS1_11comp_targetILNS1_3genE5ELNS1_11target_archE942ELNS1_3gpuE9ELNS1_3repE0EEENS1_30default_config_static_selectorELNS0_4arch9wavefront6targetE0EEEvT1_: ; @_ZN7rocprim17ROCPRIM_400000_NS6detail17trampoline_kernelINS0_14default_configENS1_25partition_config_selectorILNS1_17partition_subalgoE5EfNS0_10empty_typeEbEEZZNS1_14partition_implILS5_5ELb0ES3_mN6thrust23THRUST_200600_302600_NS6detail15normal_iteratorINSA_10device_ptrIfEEEEPS6_NSA_18transform_iteratorINSB_9not_fun_tINSA_8identityIfEEEESF_NSA_11use_defaultESM_EENS0_5tupleIJSF_S6_EEENSO_IJSG_SG_EEES6_PlJS6_EEE10hipError_tPvRmT3_T4_T5_T6_T7_T9_mT8_P12ihipStream_tbDpT10_ENKUlT_T0_E_clISt17integral_constantIbLb0EES1A_IbLb1EEEEDaS16_S17_EUlS16_E_NS1_11comp_targetILNS1_3genE5ELNS1_11target_archE942ELNS1_3gpuE9ELNS1_3repE0EEENS1_30default_config_static_selectorELNS0_4arch9wavefront6targetE0EEEvT1_
; %bb.0:
	.section	.rodata,"a",@progbits
	.p2align	6, 0x0
	.amdhsa_kernel _ZN7rocprim17ROCPRIM_400000_NS6detail17trampoline_kernelINS0_14default_configENS1_25partition_config_selectorILNS1_17partition_subalgoE5EfNS0_10empty_typeEbEEZZNS1_14partition_implILS5_5ELb0ES3_mN6thrust23THRUST_200600_302600_NS6detail15normal_iteratorINSA_10device_ptrIfEEEEPS6_NSA_18transform_iteratorINSB_9not_fun_tINSA_8identityIfEEEESF_NSA_11use_defaultESM_EENS0_5tupleIJSF_S6_EEENSO_IJSG_SG_EEES6_PlJS6_EEE10hipError_tPvRmT3_T4_T5_T6_T7_T9_mT8_P12ihipStream_tbDpT10_ENKUlT_T0_E_clISt17integral_constantIbLb0EES1A_IbLb1EEEEDaS16_S17_EUlS16_E_NS1_11comp_targetILNS1_3genE5ELNS1_11target_archE942ELNS1_3gpuE9ELNS1_3repE0EEENS1_30default_config_static_selectorELNS0_4arch9wavefront6targetE0EEEvT1_
		.amdhsa_group_segment_fixed_size 0
		.amdhsa_private_segment_fixed_size 0
		.amdhsa_kernarg_size 136
		.amdhsa_user_sgpr_count 2
		.amdhsa_user_sgpr_dispatch_ptr 0
		.amdhsa_user_sgpr_queue_ptr 0
		.amdhsa_user_sgpr_kernarg_segment_ptr 1
		.amdhsa_user_sgpr_dispatch_id 0
		.amdhsa_user_sgpr_private_segment_size 0
		.amdhsa_wavefront_size32 1
		.amdhsa_uses_dynamic_stack 0
		.amdhsa_enable_private_segment 0
		.amdhsa_system_sgpr_workgroup_id_x 1
		.amdhsa_system_sgpr_workgroup_id_y 0
		.amdhsa_system_sgpr_workgroup_id_z 0
		.amdhsa_system_sgpr_workgroup_info 0
		.amdhsa_system_vgpr_workitem_id 0
		.amdhsa_next_free_vgpr 1
		.amdhsa_next_free_sgpr 1
		.amdhsa_reserve_vcc 0
		.amdhsa_float_round_mode_32 0
		.amdhsa_float_round_mode_16_64 0
		.amdhsa_float_denorm_mode_32 3
		.amdhsa_float_denorm_mode_16_64 3
		.amdhsa_fp16_overflow 0
		.amdhsa_workgroup_processor_mode 1
		.amdhsa_memory_ordered 1
		.amdhsa_forward_progress 1
		.amdhsa_inst_pref_size 0
		.amdhsa_round_robin_scheduling 0
		.amdhsa_exception_fp_ieee_invalid_op 0
		.amdhsa_exception_fp_denorm_src 0
		.amdhsa_exception_fp_ieee_div_zero 0
		.amdhsa_exception_fp_ieee_overflow 0
		.amdhsa_exception_fp_ieee_underflow 0
		.amdhsa_exception_fp_ieee_inexact 0
		.amdhsa_exception_int_div_zero 0
	.end_amdhsa_kernel
	.section	.text._ZN7rocprim17ROCPRIM_400000_NS6detail17trampoline_kernelINS0_14default_configENS1_25partition_config_selectorILNS1_17partition_subalgoE5EfNS0_10empty_typeEbEEZZNS1_14partition_implILS5_5ELb0ES3_mN6thrust23THRUST_200600_302600_NS6detail15normal_iteratorINSA_10device_ptrIfEEEEPS6_NSA_18transform_iteratorINSB_9not_fun_tINSA_8identityIfEEEESF_NSA_11use_defaultESM_EENS0_5tupleIJSF_S6_EEENSO_IJSG_SG_EEES6_PlJS6_EEE10hipError_tPvRmT3_T4_T5_T6_T7_T9_mT8_P12ihipStream_tbDpT10_ENKUlT_T0_E_clISt17integral_constantIbLb0EES1A_IbLb1EEEEDaS16_S17_EUlS16_E_NS1_11comp_targetILNS1_3genE5ELNS1_11target_archE942ELNS1_3gpuE9ELNS1_3repE0EEENS1_30default_config_static_selectorELNS0_4arch9wavefront6targetE0EEEvT1_,"axG",@progbits,_ZN7rocprim17ROCPRIM_400000_NS6detail17trampoline_kernelINS0_14default_configENS1_25partition_config_selectorILNS1_17partition_subalgoE5EfNS0_10empty_typeEbEEZZNS1_14partition_implILS5_5ELb0ES3_mN6thrust23THRUST_200600_302600_NS6detail15normal_iteratorINSA_10device_ptrIfEEEEPS6_NSA_18transform_iteratorINSB_9not_fun_tINSA_8identityIfEEEESF_NSA_11use_defaultESM_EENS0_5tupleIJSF_S6_EEENSO_IJSG_SG_EEES6_PlJS6_EEE10hipError_tPvRmT3_T4_T5_T6_T7_T9_mT8_P12ihipStream_tbDpT10_ENKUlT_T0_E_clISt17integral_constantIbLb0EES1A_IbLb1EEEEDaS16_S17_EUlS16_E_NS1_11comp_targetILNS1_3genE5ELNS1_11target_archE942ELNS1_3gpuE9ELNS1_3repE0EEENS1_30default_config_static_selectorELNS0_4arch9wavefront6targetE0EEEvT1_,comdat
.Lfunc_end846:
	.size	_ZN7rocprim17ROCPRIM_400000_NS6detail17trampoline_kernelINS0_14default_configENS1_25partition_config_selectorILNS1_17partition_subalgoE5EfNS0_10empty_typeEbEEZZNS1_14partition_implILS5_5ELb0ES3_mN6thrust23THRUST_200600_302600_NS6detail15normal_iteratorINSA_10device_ptrIfEEEEPS6_NSA_18transform_iteratorINSB_9not_fun_tINSA_8identityIfEEEESF_NSA_11use_defaultESM_EENS0_5tupleIJSF_S6_EEENSO_IJSG_SG_EEES6_PlJS6_EEE10hipError_tPvRmT3_T4_T5_T6_T7_T9_mT8_P12ihipStream_tbDpT10_ENKUlT_T0_E_clISt17integral_constantIbLb0EES1A_IbLb1EEEEDaS16_S17_EUlS16_E_NS1_11comp_targetILNS1_3genE5ELNS1_11target_archE942ELNS1_3gpuE9ELNS1_3repE0EEENS1_30default_config_static_selectorELNS0_4arch9wavefront6targetE0EEEvT1_, .Lfunc_end846-_ZN7rocprim17ROCPRIM_400000_NS6detail17trampoline_kernelINS0_14default_configENS1_25partition_config_selectorILNS1_17partition_subalgoE5EfNS0_10empty_typeEbEEZZNS1_14partition_implILS5_5ELb0ES3_mN6thrust23THRUST_200600_302600_NS6detail15normal_iteratorINSA_10device_ptrIfEEEEPS6_NSA_18transform_iteratorINSB_9not_fun_tINSA_8identityIfEEEESF_NSA_11use_defaultESM_EENS0_5tupleIJSF_S6_EEENSO_IJSG_SG_EEES6_PlJS6_EEE10hipError_tPvRmT3_T4_T5_T6_T7_T9_mT8_P12ihipStream_tbDpT10_ENKUlT_T0_E_clISt17integral_constantIbLb0EES1A_IbLb1EEEEDaS16_S17_EUlS16_E_NS1_11comp_targetILNS1_3genE5ELNS1_11target_archE942ELNS1_3gpuE9ELNS1_3repE0EEENS1_30default_config_static_selectorELNS0_4arch9wavefront6targetE0EEEvT1_
                                        ; -- End function
	.set _ZN7rocprim17ROCPRIM_400000_NS6detail17trampoline_kernelINS0_14default_configENS1_25partition_config_selectorILNS1_17partition_subalgoE5EfNS0_10empty_typeEbEEZZNS1_14partition_implILS5_5ELb0ES3_mN6thrust23THRUST_200600_302600_NS6detail15normal_iteratorINSA_10device_ptrIfEEEEPS6_NSA_18transform_iteratorINSB_9not_fun_tINSA_8identityIfEEEESF_NSA_11use_defaultESM_EENS0_5tupleIJSF_S6_EEENSO_IJSG_SG_EEES6_PlJS6_EEE10hipError_tPvRmT3_T4_T5_T6_T7_T9_mT8_P12ihipStream_tbDpT10_ENKUlT_T0_E_clISt17integral_constantIbLb0EES1A_IbLb1EEEEDaS16_S17_EUlS16_E_NS1_11comp_targetILNS1_3genE5ELNS1_11target_archE942ELNS1_3gpuE9ELNS1_3repE0EEENS1_30default_config_static_selectorELNS0_4arch9wavefront6targetE0EEEvT1_.num_vgpr, 0
	.set _ZN7rocprim17ROCPRIM_400000_NS6detail17trampoline_kernelINS0_14default_configENS1_25partition_config_selectorILNS1_17partition_subalgoE5EfNS0_10empty_typeEbEEZZNS1_14partition_implILS5_5ELb0ES3_mN6thrust23THRUST_200600_302600_NS6detail15normal_iteratorINSA_10device_ptrIfEEEEPS6_NSA_18transform_iteratorINSB_9not_fun_tINSA_8identityIfEEEESF_NSA_11use_defaultESM_EENS0_5tupleIJSF_S6_EEENSO_IJSG_SG_EEES6_PlJS6_EEE10hipError_tPvRmT3_T4_T5_T6_T7_T9_mT8_P12ihipStream_tbDpT10_ENKUlT_T0_E_clISt17integral_constantIbLb0EES1A_IbLb1EEEEDaS16_S17_EUlS16_E_NS1_11comp_targetILNS1_3genE5ELNS1_11target_archE942ELNS1_3gpuE9ELNS1_3repE0EEENS1_30default_config_static_selectorELNS0_4arch9wavefront6targetE0EEEvT1_.num_agpr, 0
	.set _ZN7rocprim17ROCPRIM_400000_NS6detail17trampoline_kernelINS0_14default_configENS1_25partition_config_selectorILNS1_17partition_subalgoE5EfNS0_10empty_typeEbEEZZNS1_14partition_implILS5_5ELb0ES3_mN6thrust23THRUST_200600_302600_NS6detail15normal_iteratorINSA_10device_ptrIfEEEEPS6_NSA_18transform_iteratorINSB_9not_fun_tINSA_8identityIfEEEESF_NSA_11use_defaultESM_EENS0_5tupleIJSF_S6_EEENSO_IJSG_SG_EEES6_PlJS6_EEE10hipError_tPvRmT3_T4_T5_T6_T7_T9_mT8_P12ihipStream_tbDpT10_ENKUlT_T0_E_clISt17integral_constantIbLb0EES1A_IbLb1EEEEDaS16_S17_EUlS16_E_NS1_11comp_targetILNS1_3genE5ELNS1_11target_archE942ELNS1_3gpuE9ELNS1_3repE0EEENS1_30default_config_static_selectorELNS0_4arch9wavefront6targetE0EEEvT1_.numbered_sgpr, 0
	.set _ZN7rocprim17ROCPRIM_400000_NS6detail17trampoline_kernelINS0_14default_configENS1_25partition_config_selectorILNS1_17partition_subalgoE5EfNS0_10empty_typeEbEEZZNS1_14partition_implILS5_5ELb0ES3_mN6thrust23THRUST_200600_302600_NS6detail15normal_iteratorINSA_10device_ptrIfEEEEPS6_NSA_18transform_iteratorINSB_9not_fun_tINSA_8identityIfEEEESF_NSA_11use_defaultESM_EENS0_5tupleIJSF_S6_EEENSO_IJSG_SG_EEES6_PlJS6_EEE10hipError_tPvRmT3_T4_T5_T6_T7_T9_mT8_P12ihipStream_tbDpT10_ENKUlT_T0_E_clISt17integral_constantIbLb0EES1A_IbLb1EEEEDaS16_S17_EUlS16_E_NS1_11comp_targetILNS1_3genE5ELNS1_11target_archE942ELNS1_3gpuE9ELNS1_3repE0EEENS1_30default_config_static_selectorELNS0_4arch9wavefront6targetE0EEEvT1_.num_named_barrier, 0
	.set _ZN7rocprim17ROCPRIM_400000_NS6detail17trampoline_kernelINS0_14default_configENS1_25partition_config_selectorILNS1_17partition_subalgoE5EfNS0_10empty_typeEbEEZZNS1_14partition_implILS5_5ELb0ES3_mN6thrust23THRUST_200600_302600_NS6detail15normal_iteratorINSA_10device_ptrIfEEEEPS6_NSA_18transform_iteratorINSB_9not_fun_tINSA_8identityIfEEEESF_NSA_11use_defaultESM_EENS0_5tupleIJSF_S6_EEENSO_IJSG_SG_EEES6_PlJS6_EEE10hipError_tPvRmT3_T4_T5_T6_T7_T9_mT8_P12ihipStream_tbDpT10_ENKUlT_T0_E_clISt17integral_constantIbLb0EES1A_IbLb1EEEEDaS16_S17_EUlS16_E_NS1_11comp_targetILNS1_3genE5ELNS1_11target_archE942ELNS1_3gpuE9ELNS1_3repE0EEENS1_30default_config_static_selectorELNS0_4arch9wavefront6targetE0EEEvT1_.private_seg_size, 0
	.set _ZN7rocprim17ROCPRIM_400000_NS6detail17trampoline_kernelINS0_14default_configENS1_25partition_config_selectorILNS1_17partition_subalgoE5EfNS0_10empty_typeEbEEZZNS1_14partition_implILS5_5ELb0ES3_mN6thrust23THRUST_200600_302600_NS6detail15normal_iteratorINSA_10device_ptrIfEEEEPS6_NSA_18transform_iteratorINSB_9not_fun_tINSA_8identityIfEEEESF_NSA_11use_defaultESM_EENS0_5tupleIJSF_S6_EEENSO_IJSG_SG_EEES6_PlJS6_EEE10hipError_tPvRmT3_T4_T5_T6_T7_T9_mT8_P12ihipStream_tbDpT10_ENKUlT_T0_E_clISt17integral_constantIbLb0EES1A_IbLb1EEEEDaS16_S17_EUlS16_E_NS1_11comp_targetILNS1_3genE5ELNS1_11target_archE942ELNS1_3gpuE9ELNS1_3repE0EEENS1_30default_config_static_selectorELNS0_4arch9wavefront6targetE0EEEvT1_.uses_vcc, 0
	.set _ZN7rocprim17ROCPRIM_400000_NS6detail17trampoline_kernelINS0_14default_configENS1_25partition_config_selectorILNS1_17partition_subalgoE5EfNS0_10empty_typeEbEEZZNS1_14partition_implILS5_5ELb0ES3_mN6thrust23THRUST_200600_302600_NS6detail15normal_iteratorINSA_10device_ptrIfEEEEPS6_NSA_18transform_iteratorINSB_9not_fun_tINSA_8identityIfEEEESF_NSA_11use_defaultESM_EENS0_5tupleIJSF_S6_EEENSO_IJSG_SG_EEES6_PlJS6_EEE10hipError_tPvRmT3_T4_T5_T6_T7_T9_mT8_P12ihipStream_tbDpT10_ENKUlT_T0_E_clISt17integral_constantIbLb0EES1A_IbLb1EEEEDaS16_S17_EUlS16_E_NS1_11comp_targetILNS1_3genE5ELNS1_11target_archE942ELNS1_3gpuE9ELNS1_3repE0EEENS1_30default_config_static_selectorELNS0_4arch9wavefront6targetE0EEEvT1_.uses_flat_scratch, 0
	.set _ZN7rocprim17ROCPRIM_400000_NS6detail17trampoline_kernelINS0_14default_configENS1_25partition_config_selectorILNS1_17partition_subalgoE5EfNS0_10empty_typeEbEEZZNS1_14partition_implILS5_5ELb0ES3_mN6thrust23THRUST_200600_302600_NS6detail15normal_iteratorINSA_10device_ptrIfEEEEPS6_NSA_18transform_iteratorINSB_9not_fun_tINSA_8identityIfEEEESF_NSA_11use_defaultESM_EENS0_5tupleIJSF_S6_EEENSO_IJSG_SG_EEES6_PlJS6_EEE10hipError_tPvRmT3_T4_T5_T6_T7_T9_mT8_P12ihipStream_tbDpT10_ENKUlT_T0_E_clISt17integral_constantIbLb0EES1A_IbLb1EEEEDaS16_S17_EUlS16_E_NS1_11comp_targetILNS1_3genE5ELNS1_11target_archE942ELNS1_3gpuE9ELNS1_3repE0EEENS1_30default_config_static_selectorELNS0_4arch9wavefront6targetE0EEEvT1_.has_dyn_sized_stack, 0
	.set _ZN7rocprim17ROCPRIM_400000_NS6detail17trampoline_kernelINS0_14default_configENS1_25partition_config_selectorILNS1_17partition_subalgoE5EfNS0_10empty_typeEbEEZZNS1_14partition_implILS5_5ELb0ES3_mN6thrust23THRUST_200600_302600_NS6detail15normal_iteratorINSA_10device_ptrIfEEEEPS6_NSA_18transform_iteratorINSB_9not_fun_tINSA_8identityIfEEEESF_NSA_11use_defaultESM_EENS0_5tupleIJSF_S6_EEENSO_IJSG_SG_EEES6_PlJS6_EEE10hipError_tPvRmT3_T4_T5_T6_T7_T9_mT8_P12ihipStream_tbDpT10_ENKUlT_T0_E_clISt17integral_constantIbLb0EES1A_IbLb1EEEEDaS16_S17_EUlS16_E_NS1_11comp_targetILNS1_3genE5ELNS1_11target_archE942ELNS1_3gpuE9ELNS1_3repE0EEENS1_30default_config_static_selectorELNS0_4arch9wavefront6targetE0EEEvT1_.has_recursion, 0
	.set _ZN7rocprim17ROCPRIM_400000_NS6detail17trampoline_kernelINS0_14default_configENS1_25partition_config_selectorILNS1_17partition_subalgoE5EfNS0_10empty_typeEbEEZZNS1_14partition_implILS5_5ELb0ES3_mN6thrust23THRUST_200600_302600_NS6detail15normal_iteratorINSA_10device_ptrIfEEEEPS6_NSA_18transform_iteratorINSB_9not_fun_tINSA_8identityIfEEEESF_NSA_11use_defaultESM_EENS0_5tupleIJSF_S6_EEENSO_IJSG_SG_EEES6_PlJS6_EEE10hipError_tPvRmT3_T4_T5_T6_T7_T9_mT8_P12ihipStream_tbDpT10_ENKUlT_T0_E_clISt17integral_constantIbLb0EES1A_IbLb1EEEEDaS16_S17_EUlS16_E_NS1_11comp_targetILNS1_3genE5ELNS1_11target_archE942ELNS1_3gpuE9ELNS1_3repE0EEENS1_30default_config_static_selectorELNS0_4arch9wavefront6targetE0EEEvT1_.has_indirect_call, 0
	.section	.AMDGPU.csdata,"",@progbits
; Kernel info:
; codeLenInByte = 0
; TotalNumSgprs: 0
; NumVgprs: 0
; ScratchSize: 0
; MemoryBound: 0
; FloatMode: 240
; IeeeMode: 1
; LDSByteSize: 0 bytes/workgroup (compile time only)
; SGPRBlocks: 0
; VGPRBlocks: 0
; NumSGPRsForWavesPerEU: 1
; NumVGPRsForWavesPerEU: 1
; Occupancy: 16
; WaveLimiterHint : 0
; COMPUTE_PGM_RSRC2:SCRATCH_EN: 0
; COMPUTE_PGM_RSRC2:USER_SGPR: 2
; COMPUTE_PGM_RSRC2:TRAP_HANDLER: 0
; COMPUTE_PGM_RSRC2:TGID_X_EN: 1
; COMPUTE_PGM_RSRC2:TGID_Y_EN: 0
; COMPUTE_PGM_RSRC2:TGID_Z_EN: 0
; COMPUTE_PGM_RSRC2:TIDIG_COMP_CNT: 0
	.section	.text._ZN7rocprim17ROCPRIM_400000_NS6detail17trampoline_kernelINS0_14default_configENS1_25partition_config_selectorILNS1_17partition_subalgoE5EfNS0_10empty_typeEbEEZZNS1_14partition_implILS5_5ELb0ES3_mN6thrust23THRUST_200600_302600_NS6detail15normal_iteratorINSA_10device_ptrIfEEEEPS6_NSA_18transform_iteratorINSB_9not_fun_tINSA_8identityIfEEEESF_NSA_11use_defaultESM_EENS0_5tupleIJSF_S6_EEENSO_IJSG_SG_EEES6_PlJS6_EEE10hipError_tPvRmT3_T4_T5_T6_T7_T9_mT8_P12ihipStream_tbDpT10_ENKUlT_T0_E_clISt17integral_constantIbLb0EES1A_IbLb1EEEEDaS16_S17_EUlS16_E_NS1_11comp_targetILNS1_3genE4ELNS1_11target_archE910ELNS1_3gpuE8ELNS1_3repE0EEENS1_30default_config_static_selectorELNS0_4arch9wavefront6targetE0EEEvT1_,"axG",@progbits,_ZN7rocprim17ROCPRIM_400000_NS6detail17trampoline_kernelINS0_14default_configENS1_25partition_config_selectorILNS1_17partition_subalgoE5EfNS0_10empty_typeEbEEZZNS1_14partition_implILS5_5ELb0ES3_mN6thrust23THRUST_200600_302600_NS6detail15normal_iteratorINSA_10device_ptrIfEEEEPS6_NSA_18transform_iteratorINSB_9not_fun_tINSA_8identityIfEEEESF_NSA_11use_defaultESM_EENS0_5tupleIJSF_S6_EEENSO_IJSG_SG_EEES6_PlJS6_EEE10hipError_tPvRmT3_T4_T5_T6_T7_T9_mT8_P12ihipStream_tbDpT10_ENKUlT_T0_E_clISt17integral_constantIbLb0EES1A_IbLb1EEEEDaS16_S17_EUlS16_E_NS1_11comp_targetILNS1_3genE4ELNS1_11target_archE910ELNS1_3gpuE8ELNS1_3repE0EEENS1_30default_config_static_selectorELNS0_4arch9wavefront6targetE0EEEvT1_,comdat
	.protected	_ZN7rocprim17ROCPRIM_400000_NS6detail17trampoline_kernelINS0_14default_configENS1_25partition_config_selectorILNS1_17partition_subalgoE5EfNS0_10empty_typeEbEEZZNS1_14partition_implILS5_5ELb0ES3_mN6thrust23THRUST_200600_302600_NS6detail15normal_iteratorINSA_10device_ptrIfEEEEPS6_NSA_18transform_iteratorINSB_9not_fun_tINSA_8identityIfEEEESF_NSA_11use_defaultESM_EENS0_5tupleIJSF_S6_EEENSO_IJSG_SG_EEES6_PlJS6_EEE10hipError_tPvRmT3_T4_T5_T6_T7_T9_mT8_P12ihipStream_tbDpT10_ENKUlT_T0_E_clISt17integral_constantIbLb0EES1A_IbLb1EEEEDaS16_S17_EUlS16_E_NS1_11comp_targetILNS1_3genE4ELNS1_11target_archE910ELNS1_3gpuE8ELNS1_3repE0EEENS1_30default_config_static_selectorELNS0_4arch9wavefront6targetE0EEEvT1_ ; -- Begin function _ZN7rocprim17ROCPRIM_400000_NS6detail17trampoline_kernelINS0_14default_configENS1_25partition_config_selectorILNS1_17partition_subalgoE5EfNS0_10empty_typeEbEEZZNS1_14partition_implILS5_5ELb0ES3_mN6thrust23THRUST_200600_302600_NS6detail15normal_iteratorINSA_10device_ptrIfEEEEPS6_NSA_18transform_iteratorINSB_9not_fun_tINSA_8identityIfEEEESF_NSA_11use_defaultESM_EENS0_5tupleIJSF_S6_EEENSO_IJSG_SG_EEES6_PlJS6_EEE10hipError_tPvRmT3_T4_T5_T6_T7_T9_mT8_P12ihipStream_tbDpT10_ENKUlT_T0_E_clISt17integral_constantIbLb0EES1A_IbLb1EEEEDaS16_S17_EUlS16_E_NS1_11comp_targetILNS1_3genE4ELNS1_11target_archE910ELNS1_3gpuE8ELNS1_3repE0EEENS1_30default_config_static_selectorELNS0_4arch9wavefront6targetE0EEEvT1_
	.globl	_ZN7rocprim17ROCPRIM_400000_NS6detail17trampoline_kernelINS0_14default_configENS1_25partition_config_selectorILNS1_17partition_subalgoE5EfNS0_10empty_typeEbEEZZNS1_14partition_implILS5_5ELb0ES3_mN6thrust23THRUST_200600_302600_NS6detail15normal_iteratorINSA_10device_ptrIfEEEEPS6_NSA_18transform_iteratorINSB_9not_fun_tINSA_8identityIfEEEESF_NSA_11use_defaultESM_EENS0_5tupleIJSF_S6_EEENSO_IJSG_SG_EEES6_PlJS6_EEE10hipError_tPvRmT3_T4_T5_T6_T7_T9_mT8_P12ihipStream_tbDpT10_ENKUlT_T0_E_clISt17integral_constantIbLb0EES1A_IbLb1EEEEDaS16_S17_EUlS16_E_NS1_11comp_targetILNS1_3genE4ELNS1_11target_archE910ELNS1_3gpuE8ELNS1_3repE0EEENS1_30default_config_static_selectorELNS0_4arch9wavefront6targetE0EEEvT1_
	.p2align	8
	.type	_ZN7rocprim17ROCPRIM_400000_NS6detail17trampoline_kernelINS0_14default_configENS1_25partition_config_selectorILNS1_17partition_subalgoE5EfNS0_10empty_typeEbEEZZNS1_14partition_implILS5_5ELb0ES3_mN6thrust23THRUST_200600_302600_NS6detail15normal_iteratorINSA_10device_ptrIfEEEEPS6_NSA_18transform_iteratorINSB_9not_fun_tINSA_8identityIfEEEESF_NSA_11use_defaultESM_EENS0_5tupleIJSF_S6_EEENSO_IJSG_SG_EEES6_PlJS6_EEE10hipError_tPvRmT3_T4_T5_T6_T7_T9_mT8_P12ihipStream_tbDpT10_ENKUlT_T0_E_clISt17integral_constantIbLb0EES1A_IbLb1EEEEDaS16_S17_EUlS16_E_NS1_11comp_targetILNS1_3genE4ELNS1_11target_archE910ELNS1_3gpuE8ELNS1_3repE0EEENS1_30default_config_static_selectorELNS0_4arch9wavefront6targetE0EEEvT1_,@function
_ZN7rocprim17ROCPRIM_400000_NS6detail17trampoline_kernelINS0_14default_configENS1_25partition_config_selectorILNS1_17partition_subalgoE5EfNS0_10empty_typeEbEEZZNS1_14partition_implILS5_5ELb0ES3_mN6thrust23THRUST_200600_302600_NS6detail15normal_iteratorINSA_10device_ptrIfEEEEPS6_NSA_18transform_iteratorINSB_9not_fun_tINSA_8identityIfEEEESF_NSA_11use_defaultESM_EENS0_5tupleIJSF_S6_EEENSO_IJSG_SG_EEES6_PlJS6_EEE10hipError_tPvRmT3_T4_T5_T6_T7_T9_mT8_P12ihipStream_tbDpT10_ENKUlT_T0_E_clISt17integral_constantIbLb0EES1A_IbLb1EEEEDaS16_S17_EUlS16_E_NS1_11comp_targetILNS1_3genE4ELNS1_11target_archE910ELNS1_3gpuE8ELNS1_3repE0EEENS1_30default_config_static_selectorELNS0_4arch9wavefront6targetE0EEEvT1_: ; @_ZN7rocprim17ROCPRIM_400000_NS6detail17trampoline_kernelINS0_14default_configENS1_25partition_config_selectorILNS1_17partition_subalgoE5EfNS0_10empty_typeEbEEZZNS1_14partition_implILS5_5ELb0ES3_mN6thrust23THRUST_200600_302600_NS6detail15normal_iteratorINSA_10device_ptrIfEEEEPS6_NSA_18transform_iteratorINSB_9not_fun_tINSA_8identityIfEEEESF_NSA_11use_defaultESM_EENS0_5tupleIJSF_S6_EEENSO_IJSG_SG_EEES6_PlJS6_EEE10hipError_tPvRmT3_T4_T5_T6_T7_T9_mT8_P12ihipStream_tbDpT10_ENKUlT_T0_E_clISt17integral_constantIbLb0EES1A_IbLb1EEEEDaS16_S17_EUlS16_E_NS1_11comp_targetILNS1_3genE4ELNS1_11target_archE910ELNS1_3gpuE8ELNS1_3repE0EEENS1_30default_config_static_selectorELNS0_4arch9wavefront6targetE0EEEvT1_
; %bb.0:
	.section	.rodata,"a",@progbits
	.p2align	6, 0x0
	.amdhsa_kernel _ZN7rocprim17ROCPRIM_400000_NS6detail17trampoline_kernelINS0_14default_configENS1_25partition_config_selectorILNS1_17partition_subalgoE5EfNS0_10empty_typeEbEEZZNS1_14partition_implILS5_5ELb0ES3_mN6thrust23THRUST_200600_302600_NS6detail15normal_iteratorINSA_10device_ptrIfEEEEPS6_NSA_18transform_iteratorINSB_9not_fun_tINSA_8identityIfEEEESF_NSA_11use_defaultESM_EENS0_5tupleIJSF_S6_EEENSO_IJSG_SG_EEES6_PlJS6_EEE10hipError_tPvRmT3_T4_T5_T6_T7_T9_mT8_P12ihipStream_tbDpT10_ENKUlT_T0_E_clISt17integral_constantIbLb0EES1A_IbLb1EEEEDaS16_S17_EUlS16_E_NS1_11comp_targetILNS1_3genE4ELNS1_11target_archE910ELNS1_3gpuE8ELNS1_3repE0EEENS1_30default_config_static_selectorELNS0_4arch9wavefront6targetE0EEEvT1_
		.amdhsa_group_segment_fixed_size 0
		.amdhsa_private_segment_fixed_size 0
		.amdhsa_kernarg_size 136
		.amdhsa_user_sgpr_count 2
		.amdhsa_user_sgpr_dispatch_ptr 0
		.amdhsa_user_sgpr_queue_ptr 0
		.amdhsa_user_sgpr_kernarg_segment_ptr 1
		.amdhsa_user_sgpr_dispatch_id 0
		.amdhsa_user_sgpr_private_segment_size 0
		.amdhsa_wavefront_size32 1
		.amdhsa_uses_dynamic_stack 0
		.amdhsa_enable_private_segment 0
		.amdhsa_system_sgpr_workgroup_id_x 1
		.amdhsa_system_sgpr_workgroup_id_y 0
		.amdhsa_system_sgpr_workgroup_id_z 0
		.amdhsa_system_sgpr_workgroup_info 0
		.amdhsa_system_vgpr_workitem_id 0
		.amdhsa_next_free_vgpr 1
		.amdhsa_next_free_sgpr 1
		.amdhsa_reserve_vcc 0
		.amdhsa_float_round_mode_32 0
		.amdhsa_float_round_mode_16_64 0
		.amdhsa_float_denorm_mode_32 3
		.amdhsa_float_denorm_mode_16_64 3
		.amdhsa_fp16_overflow 0
		.amdhsa_workgroup_processor_mode 1
		.amdhsa_memory_ordered 1
		.amdhsa_forward_progress 1
		.amdhsa_inst_pref_size 0
		.amdhsa_round_robin_scheduling 0
		.amdhsa_exception_fp_ieee_invalid_op 0
		.amdhsa_exception_fp_denorm_src 0
		.amdhsa_exception_fp_ieee_div_zero 0
		.amdhsa_exception_fp_ieee_overflow 0
		.amdhsa_exception_fp_ieee_underflow 0
		.amdhsa_exception_fp_ieee_inexact 0
		.amdhsa_exception_int_div_zero 0
	.end_amdhsa_kernel
	.section	.text._ZN7rocprim17ROCPRIM_400000_NS6detail17trampoline_kernelINS0_14default_configENS1_25partition_config_selectorILNS1_17partition_subalgoE5EfNS0_10empty_typeEbEEZZNS1_14partition_implILS5_5ELb0ES3_mN6thrust23THRUST_200600_302600_NS6detail15normal_iteratorINSA_10device_ptrIfEEEEPS6_NSA_18transform_iteratorINSB_9not_fun_tINSA_8identityIfEEEESF_NSA_11use_defaultESM_EENS0_5tupleIJSF_S6_EEENSO_IJSG_SG_EEES6_PlJS6_EEE10hipError_tPvRmT3_T4_T5_T6_T7_T9_mT8_P12ihipStream_tbDpT10_ENKUlT_T0_E_clISt17integral_constantIbLb0EES1A_IbLb1EEEEDaS16_S17_EUlS16_E_NS1_11comp_targetILNS1_3genE4ELNS1_11target_archE910ELNS1_3gpuE8ELNS1_3repE0EEENS1_30default_config_static_selectorELNS0_4arch9wavefront6targetE0EEEvT1_,"axG",@progbits,_ZN7rocprim17ROCPRIM_400000_NS6detail17trampoline_kernelINS0_14default_configENS1_25partition_config_selectorILNS1_17partition_subalgoE5EfNS0_10empty_typeEbEEZZNS1_14partition_implILS5_5ELb0ES3_mN6thrust23THRUST_200600_302600_NS6detail15normal_iteratorINSA_10device_ptrIfEEEEPS6_NSA_18transform_iteratorINSB_9not_fun_tINSA_8identityIfEEEESF_NSA_11use_defaultESM_EENS0_5tupleIJSF_S6_EEENSO_IJSG_SG_EEES6_PlJS6_EEE10hipError_tPvRmT3_T4_T5_T6_T7_T9_mT8_P12ihipStream_tbDpT10_ENKUlT_T0_E_clISt17integral_constantIbLb0EES1A_IbLb1EEEEDaS16_S17_EUlS16_E_NS1_11comp_targetILNS1_3genE4ELNS1_11target_archE910ELNS1_3gpuE8ELNS1_3repE0EEENS1_30default_config_static_selectorELNS0_4arch9wavefront6targetE0EEEvT1_,comdat
.Lfunc_end847:
	.size	_ZN7rocprim17ROCPRIM_400000_NS6detail17trampoline_kernelINS0_14default_configENS1_25partition_config_selectorILNS1_17partition_subalgoE5EfNS0_10empty_typeEbEEZZNS1_14partition_implILS5_5ELb0ES3_mN6thrust23THRUST_200600_302600_NS6detail15normal_iteratorINSA_10device_ptrIfEEEEPS6_NSA_18transform_iteratorINSB_9not_fun_tINSA_8identityIfEEEESF_NSA_11use_defaultESM_EENS0_5tupleIJSF_S6_EEENSO_IJSG_SG_EEES6_PlJS6_EEE10hipError_tPvRmT3_T4_T5_T6_T7_T9_mT8_P12ihipStream_tbDpT10_ENKUlT_T0_E_clISt17integral_constantIbLb0EES1A_IbLb1EEEEDaS16_S17_EUlS16_E_NS1_11comp_targetILNS1_3genE4ELNS1_11target_archE910ELNS1_3gpuE8ELNS1_3repE0EEENS1_30default_config_static_selectorELNS0_4arch9wavefront6targetE0EEEvT1_, .Lfunc_end847-_ZN7rocprim17ROCPRIM_400000_NS6detail17trampoline_kernelINS0_14default_configENS1_25partition_config_selectorILNS1_17partition_subalgoE5EfNS0_10empty_typeEbEEZZNS1_14partition_implILS5_5ELb0ES3_mN6thrust23THRUST_200600_302600_NS6detail15normal_iteratorINSA_10device_ptrIfEEEEPS6_NSA_18transform_iteratorINSB_9not_fun_tINSA_8identityIfEEEESF_NSA_11use_defaultESM_EENS0_5tupleIJSF_S6_EEENSO_IJSG_SG_EEES6_PlJS6_EEE10hipError_tPvRmT3_T4_T5_T6_T7_T9_mT8_P12ihipStream_tbDpT10_ENKUlT_T0_E_clISt17integral_constantIbLb0EES1A_IbLb1EEEEDaS16_S17_EUlS16_E_NS1_11comp_targetILNS1_3genE4ELNS1_11target_archE910ELNS1_3gpuE8ELNS1_3repE0EEENS1_30default_config_static_selectorELNS0_4arch9wavefront6targetE0EEEvT1_
                                        ; -- End function
	.set _ZN7rocprim17ROCPRIM_400000_NS6detail17trampoline_kernelINS0_14default_configENS1_25partition_config_selectorILNS1_17partition_subalgoE5EfNS0_10empty_typeEbEEZZNS1_14partition_implILS5_5ELb0ES3_mN6thrust23THRUST_200600_302600_NS6detail15normal_iteratorINSA_10device_ptrIfEEEEPS6_NSA_18transform_iteratorINSB_9not_fun_tINSA_8identityIfEEEESF_NSA_11use_defaultESM_EENS0_5tupleIJSF_S6_EEENSO_IJSG_SG_EEES6_PlJS6_EEE10hipError_tPvRmT3_T4_T5_T6_T7_T9_mT8_P12ihipStream_tbDpT10_ENKUlT_T0_E_clISt17integral_constantIbLb0EES1A_IbLb1EEEEDaS16_S17_EUlS16_E_NS1_11comp_targetILNS1_3genE4ELNS1_11target_archE910ELNS1_3gpuE8ELNS1_3repE0EEENS1_30default_config_static_selectorELNS0_4arch9wavefront6targetE0EEEvT1_.num_vgpr, 0
	.set _ZN7rocprim17ROCPRIM_400000_NS6detail17trampoline_kernelINS0_14default_configENS1_25partition_config_selectorILNS1_17partition_subalgoE5EfNS0_10empty_typeEbEEZZNS1_14partition_implILS5_5ELb0ES3_mN6thrust23THRUST_200600_302600_NS6detail15normal_iteratorINSA_10device_ptrIfEEEEPS6_NSA_18transform_iteratorINSB_9not_fun_tINSA_8identityIfEEEESF_NSA_11use_defaultESM_EENS0_5tupleIJSF_S6_EEENSO_IJSG_SG_EEES6_PlJS6_EEE10hipError_tPvRmT3_T4_T5_T6_T7_T9_mT8_P12ihipStream_tbDpT10_ENKUlT_T0_E_clISt17integral_constantIbLb0EES1A_IbLb1EEEEDaS16_S17_EUlS16_E_NS1_11comp_targetILNS1_3genE4ELNS1_11target_archE910ELNS1_3gpuE8ELNS1_3repE0EEENS1_30default_config_static_selectorELNS0_4arch9wavefront6targetE0EEEvT1_.num_agpr, 0
	.set _ZN7rocprim17ROCPRIM_400000_NS6detail17trampoline_kernelINS0_14default_configENS1_25partition_config_selectorILNS1_17partition_subalgoE5EfNS0_10empty_typeEbEEZZNS1_14partition_implILS5_5ELb0ES3_mN6thrust23THRUST_200600_302600_NS6detail15normal_iteratorINSA_10device_ptrIfEEEEPS6_NSA_18transform_iteratorINSB_9not_fun_tINSA_8identityIfEEEESF_NSA_11use_defaultESM_EENS0_5tupleIJSF_S6_EEENSO_IJSG_SG_EEES6_PlJS6_EEE10hipError_tPvRmT3_T4_T5_T6_T7_T9_mT8_P12ihipStream_tbDpT10_ENKUlT_T0_E_clISt17integral_constantIbLb0EES1A_IbLb1EEEEDaS16_S17_EUlS16_E_NS1_11comp_targetILNS1_3genE4ELNS1_11target_archE910ELNS1_3gpuE8ELNS1_3repE0EEENS1_30default_config_static_selectorELNS0_4arch9wavefront6targetE0EEEvT1_.numbered_sgpr, 0
	.set _ZN7rocprim17ROCPRIM_400000_NS6detail17trampoline_kernelINS0_14default_configENS1_25partition_config_selectorILNS1_17partition_subalgoE5EfNS0_10empty_typeEbEEZZNS1_14partition_implILS5_5ELb0ES3_mN6thrust23THRUST_200600_302600_NS6detail15normal_iteratorINSA_10device_ptrIfEEEEPS6_NSA_18transform_iteratorINSB_9not_fun_tINSA_8identityIfEEEESF_NSA_11use_defaultESM_EENS0_5tupleIJSF_S6_EEENSO_IJSG_SG_EEES6_PlJS6_EEE10hipError_tPvRmT3_T4_T5_T6_T7_T9_mT8_P12ihipStream_tbDpT10_ENKUlT_T0_E_clISt17integral_constantIbLb0EES1A_IbLb1EEEEDaS16_S17_EUlS16_E_NS1_11comp_targetILNS1_3genE4ELNS1_11target_archE910ELNS1_3gpuE8ELNS1_3repE0EEENS1_30default_config_static_selectorELNS0_4arch9wavefront6targetE0EEEvT1_.num_named_barrier, 0
	.set _ZN7rocprim17ROCPRIM_400000_NS6detail17trampoline_kernelINS0_14default_configENS1_25partition_config_selectorILNS1_17partition_subalgoE5EfNS0_10empty_typeEbEEZZNS1_14partition_implILS5_5ELb0ES3_mN6thrust23THRUST_200600_302600_NS6detail15normal_iteratorINSA_10device_ptrIfEEEEPS6_NSA_18transform_iteratorINSB_9not_fun_tINSA_8identityIfEEEESF_NSA_11use_defaultESM_EENS0_5tupleIJSF_S6_EEENSO_IJSG_SG_EEES6_PlJS6_EEE10hipError_tPvRmT3_T4_T5_T6_T7_T9_mT8_P12ihipStream_tbDpT10_ENKUlT_T0_E_clISt17integral_constantIbLb0EES1A_IbLb1EEEEDaS16_S17_EUlS16_E_NS1_11comp_targetILNS1_3genE4ELNS1_11target_archE910ELNS1_3gpuE8ELNS1_3repE0EEENS1_30default_config_static_selectorELNS0_4arch9wavefront6targetE0EEEvT1_.private_seg_size, 0
	.set _ZN7rocprim17ROCPRIM_400000_NS6detail17trampoline_kernelINS0_14default_configENS1_25partition_config_selectorILNS1_17partition_subalgoE5EfNS0_10empty_typeEbEEZZNS1_14partition_implILS5_5ELb0ES3_mN6thrust23THRUST_200600_302600_NS6detail15normal_iteratorINSA_10device_ptrIfEEEEPS6_NSA_18transform_iteratorINSB_9not_fun_tINSA_8identityIfEEEESF_NSA_11use_defaultESM_EENS0_5tupleIJSF_S6_EEENSO_IJSG_SG_EEES6_PlJS6_EEE10hipError_tPvRmT3_T4_T5_T6_T7_T9_mT8_P12ihipStream_tbDpT10_ENKUlT_T0_E_clISt17integral_constantIbLb0EES1A_IbLb1EEEEDaS16_S17_EUlS16_E_NS1_11comp_targetILNS1_3genE4ELNS1_11target_archE910ELNS1_3gpuE8ELNS1_3repE0EEENS1_30default_config_static_selectorELNS0_4arch9wavefront6targetE0EEEvT1_.uses_vcc, 0
	.set _ZN7rocprim17ROCPRIM_400000_NS6detail17trampoline_kernelINS0_14default_configENS1_25partition_config_selectorILNS1_17partition_subalgoE5EfNS0_10empty_typeEbEEZZNS1_14partition_implILS5_5ELb0ES3_mN6thrust23THRUST_200600_302600_NS6detail15normal_iteratorINSA_10device_ptrIfEEEEPS6_NSA_18transform_iteratorINSB_9not_fun_tINSA_8identityIfEEEESF_NSA_11use_defaultESM_EENS0_5tupleIJSF_S6_EEENSO_IJSG_SG_EEES6_PlJS6_EEE10hipError_tPvRmT3_T4_T5_T6_T7_T9_mT8_P12ihipStream_tbDpT10_ENKUlT_T0_E_clISt17integral_constantIbLb0EES1A_IbLb1EEEEDaS16_S17_EUlS16_E_NS1_11comp_targetILNS1_3genE4ELNS1_11target_archE910ELNS1_3gpuE8ELNS1_3repE0EEENS1_30default_config_static_selectorELNS0_4arch9wavefront6targetE0EEEvT1_.uses_flat_scratch, 0
	.set _ZN7rocprim17ROCPRIM_400000_NS6detail17trampoline_kernelINS0_14default_configENS1_25partition_config_selectorILNS1_17partition_subalgoE5EfNS0_10empty_typeEbEEZZNS1_14partition_implILS5_5ELb0ES3_mN6thrust23THRUST_200600_302600_NS6detail15normal_iteratorINSA_10device_ptrIfEEEEPS6_NSA_18transform_iteratorINSB_9not_fun_tINSA_8identityIfEEEESF_NSA_11use_defaultESM_EENS0_5tupleIJSF_S6_EEENSO_IJSG_SG_EEES6_PlJS6_EEE10hipError_tPvRmT3_T4_T5_T6_T7_T9_mT8_P12ihipStream_tbDpT10_ENKUlT_T0_E_clISt17integral_constantIbLb0EES1A_IbLb1EEEEDaS16_S17_EUlS16_E_NS1_11comp_targetILNS1_3genE4ELNS1_11target_archE910ELNS1_3gpuE8ELNS1_3repE0EEENS1_30default_config_static_selectorELNS0_4arch9wavefront6targetE0EEEvT1_.has_dyn_sized_stack, 0
	.set _ZN7rocprim17ROCPRIM_400000_NS6detail17trampoline_kernelINS0_14default_configENS1_25partition_config_selectorILNS1_17partition_subalgoE5EfNS0_10empty_typeEbEEZZNS1_14partition_implILS5_5ELb0ES3_mN6thrust23THRUST_200600_302600_NS6detail15normal_iteratorINSA_10device_ptrIfEEEEPS6_NSA_18transform_iteratorINSB_9not_fun_tINSA_8identityIfEEEESF_NSA_11use_defaultESM_EENS0_5tupleIJSF_S6_EEENSO_IJSG_SG_EEES6_PlJS6_EEE10hipError_tPvRmT3_T4_T5_T6_T7_T9_mT8_P12ihipStream_tbDpT10_ENKUlT_T0_E_clISt17integral_constantIbLb0EES1A_IbLb1EEEEDaS16_S17_EUlS16_E_NS1_11comp_targetILNS1_3genE4ELNS1_11target_archE910ELNS1_3gpuE8ELNS1_3repE0EEENS1_30default_config_static_selectorELNS0_4arch9wavefront6targetE0EEEvT1_.has_recursion, 0
	.set _ZN7rocprim17ROCPRIM_400000_NS6detail17trampoline_kernelINS0_14default_configENS1_25partition_config_selectorILNS1_17partition_subalgoE5EfNS0_10empty_typeEbEEZZNS1_14partition_implILS5_5ELb0ES3_mN6thrust23THRUST_200600_302600_NS6detail15normal_iteratorINSA_10device_ptrIfEEEEPS6_NSA_18transform_iteratorINSB_9not_fun_tINSA_8identityIfEEEESF_NSA_11use_defaultESM_EENS0_5tupleIJSF_S6_EEENSO_IJSG_SG_EEES6_PlJS6_EEE10hipError_tPvRmT3_T4_T5_T6_T7_T9_mT8_P12ihipStream_tbDpT10_ENKUlT_T0_E_clISt17integral_constantIbLb0EES1A_IbLb1EEEEDaS16_S17_EUlS16_E_NS1_11comp_targetILNS1_3genE4ELNS1_11target_archE910ELNS1_3gpuE8ELNS1_3repE0EEENS1_30default_config_static_selectorELNS0_4arch9wavefront6targetE0EEEvT1_.has_indirect_call, 0
	.section	.AMDGPU.csdata,"",@progbits
; Kernel info:
; codeLenInByte = 0
; TotalNumSgprs: 0
; NumVgprs: 0
; ScratchSize: 0
; MemoryBound: 0
; FloatMode: 240
; IeeeMode: 1
; LDSByteSize: 0 bytes/workgroup (compile time only)
; SGPRBlocks: 0
; VGPRBlocks: 0
; NumSGPRsForWavesPerEU: 1
; NumVGPRsForWavesPerEU: 1
; Occupancy: 16
; WaveLimiterHint : 0
; COMPUTE_PGM_RSRC2:SCRATCH_EN: 0
; COMPUTE_PGM_RSRC2:USER_SGPR: 2
; COMPUTE_PGM_RSRC2:TRAP_HANDLER: 0
; COMPUTE_PGM_RSRC2:TGID_X_EN: 1
; COMPUTE_PGM_RSRC2:TGID_Y_EN: 0
; COMPUTE_PGM_RSRC2:TGID_Z_EN: 0
; COMPUTE_PGM_RSRC2:TIDIG_COMP_CNT: 0
	.section	.text._ZN7rocprim17ROCPRIM_400000_NS6detail17trampoline_kernelINS0_14default_configENS1_25partition_config_selectorILNS1_17partition_subalgoE5EfNS0_10empty_typeEbEEZZNS1_14partition_implILS5_5ELb0ES3_mN6thrust23THRUST_200600_302600_NS6detail15normal_iteratorINSA_10device_ptrIfEEEEPS6_NSA_18transform_iteratorINSB_9not_fun_tINSA_8identityIfEEEESF_NSA_11use_defaultESM_EENS0_5tupleIJSF_S6_EEENSO_IJSG_SG_EEES6_PlJS6_EEE10hipError_tPvRmT3_T4_T5_T6_T7_T9_mT8_P12ihipStream_tbDpT10_ENKUlT_T0_E_clISt17integral_constantIbLb0EES1A_IbLb1EEEEDaS16_S17_EUlS16_E_NS1_11comp_targetILNS1_3genE3ELNS1_11target_archE908ELNS1_3gpuE7ELNS1_3repE0EEENS1_30default_config_static_selectorELNS0_4arch9wavefront6targetE0EEEvT1_,"axG",@progbits,_ZN7rocprim17ROCPRIM_400000_NS6detail17trampoline_kernelINS0_14default_configENS1_25partition_config_selectorILNS1_17partition_subalgoE5EfNS0_10empty_typeEbEEZZNS1_14partition_implILS5_5ELb0ES3_mN6thrust23THRUST_200600_302600_NS6detail15normal_iteratorINSA_10device_ptrIfEEEEPS6_NSA_18transform_iteratorINSB_9not_fun_tINSA_8identityIfEEEESF_NSA_11use_defaultESM_EENS0_5tupleIJSF_S6_EEENSO_IJSG_SG_EEES6_PlJS6_EEE10hipError_tPvRmT3_T4_T5_T6_T7_T9_mT8_P12ihipStream_tbDpT10_ENKUlT_T0_E_clISt17integral_constantIbLb0EES1A_IbLb1EEEEDaS16_S17_EUlS16_E_NS1_11comp_targetILNS1_3genE3ELNS1_11target_archE908ELNS1_3gpuE7ELNS1_3repE0EEENS1_30default_config_static_selectorELNS0_4arch9wavefront6targetE0EEEvT1_,comdat
	.protected	_ZN7rocprim17ROCPRIM_400000_NS6detail17trampoline_kernelINS0_14default_configENS1_25partition_config_selectorILNS1_17partition_subalgoE5EfNS0_10empty_typeEbEEZZNS1_14partition_implILS5_5ELb0ES3_mN6thrust23THRUST_200600_302600_NS6detail15normal_iteratorINSA_10device_ptrIfEEEEPS6_NSA_18transform_iteratorINSB_9not_fun_tINSA_8identityIfEEEESF_NSA_11use_defaultESM_EENS0_5tupleIJSF_S6_EEENSO_IJSG_SG_EEES6_PlJS6_EEE10hipError_tPvRmT3_T4_T5_T6_T7_T9_mT8_P12ihipStream_tbDpT10_ENKUlT_T0_E_clISt17integral_constantIbLb0EES1A_IbLb1EEEEDaS16_S17_EUlS16_E_NS1_11comp_targetILNS1_3genE3ELNS1_11target_archE908ELNS1_3gpuE7ELNS1_3repE0EEENS1_30default_config_static_selectorELNS0_4arch9wavefront6targetE0EEEvT1_ ; -- Begin function _ZN7rocprim17ROCPRIM_400000_NS6detail17trampoline_kernelINS0_14default_configENS1_25partition_config_selectorILNS1_17partition_subalgoE5EfNS0_10empty_typeEbEEZZNS1_14partition_implILS5_5ELb0ES3_mN6thrust23THRUST_200600_302600_NS6detail15normal_iteratorINSA_10device_ptrIfEEEEPS6_NSA_18transform_iteratorINSB_9not_fun_tINSA_8identityIfEEEESF_NSA_11use_defaultESM_EENS0_5tupleIJSF_S6_EEENSO_IJSG_SG_EEES6_PlJS6_EEE10hipError_tPvRmT3_T4_T5_T6_T7_T9_mT8_P12ihipStream_tbDpT10_ENKUlT_T0_E_clISt17integral_constantIbLb0EES1A_IbLb1EEEEDaS16_S17_EUlS16_E_NS1_11comp_targetILNS1_3genE3ELNS1_11target_archE908ELNS1_3gpuE7ELNS1_3repE0EEENS1_30default_config_static_selectorELNS0_4arch9wavefront6targetE0EEEvT1_
	.globl	_ZN7rocprim17ROCPRIM_400000_NS6detail17trampoline_kernelINS0_14default_configENS1_25partition_config_selectorILNS1_17partition_subalgoE5EfNS0_10empty_typeEbEEZZNS1_14partition_implILS5_5ELb0ES3_mN6thrust23THRUST_200600_302600_NS6detail15normal_iteratorINSA_10device_ptrIfEEEEPS6_NSA_18transform_iteratorINSB_9not_fun_tINSA_8identityIfEEEESF_NSA_11use_defaultESM_EENS0_5tupleIJSF_S6_EEENSO_IJSG_SG_EEES6_PlJS6_EEE10hipError_tPvRmT3_T4_T5_T6_T7_T9_mT8_P12ihipStream_tbDpT10_ENKUlT_T0_E_clISt17integral_constantIbLb0EES1A_IbLb1EEEEDaS16_S17_EUlS16_E_NS1_11comp_targetILNS1_3genE3ELNS1_11target_archE908ELNS1_3gpuE7ELNS1_3repE0EEENS1_30default_config_static_selectorELNS0_4arch9wavefront6targetE0EEEvT1_
	.p2align	8
	.type	_ZN7rocprim17ROCPRIM_400000_NS6detail17trampoline_kernelINS0_14default_configENS1_25partition_config_selectorILNS1_17partition_subalgoE5EfNS0_10empty_typeEbEEZZNS1_14partition_implILS5_5ELb0ES3_mN6thrust23THRUST_200600_302600_NS6detail15normal_iteratorINSA_10device_ptrIfEEEEPS6_NSA_18transform_iteratorINSB_9not_fun_tINSA_8identityIfEEEESF_NSA_11use_defaultESM_EENS0_5tupleIJSF_S6_EEENSO_IJSG_SG_EEES6_PlJS6_EEE10hipError_tPvRmT3_T4_T5_T6_T7_T9_mT8_P12ihipStream_tbDpT10_ENKUlT_T0_E_clISt17integral_constantIbLb0EES1A_IbLb1EEEEDaS16_S17_EUlS16_E_NS1_11comp_targetILNS1_3genE3ELNS1_11target_archE908ELNS1_3gpuE7ELNS1_3repE0EEENS1_30default_config_static_selectorELNS0_4arch9wavefront6targetE0EEEvT1_,@function
_ZN7rocprim17ROCPRIM_400000_NS6detail17trampoline_kernelINS0_14default_configENS1_25partition_config_selectorILNS1_17partition_subalgoE5EfNS0_10empty_typeEbEEZZNS1_14partition_implILS5_5ELb0ES3_mN6thrust23THRUST_200600_302600_NS6detail15normal_iteratorINSA_10device_ptrIfEEEEPS6_NSA_18transform_iteratorINSB_9not_fun_tINSA_8identityIfEEEESF_NSA_11use_defaultESM_EENS0_5tupleIJSF_S6_EEENSO_IJSG_SG_EEES6_PlJS6_EEE10hipError_tPvRmT3_T4_T5_T6_T7_T9_mT8_P12ihipStream_tbDpT10_ENKUlT_T0_E_clISt17integral_constantIbLb0EES1A_IbLb1EEEEDaS16_S17_EUlS16_E_NS1_11comp_targetILNS1_3genE3ELNS1_11target_archE908ELNS1_3gpuE7ELNS1_3repE0EEENS1_30default_config_static_selectorELNS0_4arch9wavefront6targetE0EEEvT1_: ; @_ZN7rocprim17ROCPRIM_400000_NS6detail17trampoline_kernelINS0_14default_configENS1_25partition_config_selectorILNS1_17partition_subalgoE5EfNS0_10empty_typeEbEEZZNS1_14partition_implILS5_5ELb0ES3_mN6thrust23THRUST_200600_302600_NS6detail15normal_iteratorINSA_10device_ptrIfEEEEPS6_NSA_18transform_iteratorINSB_9not_fun_tINSA_8identityIfEEEESF_NSA_11use_defaultESM_EENS0_5tupleIJSF_S6_EEENSO_IJSG_SG_EEES6_PlJS6_EEE10hipError_tPvRmT3_T4_T5_T6_T7_T9_mT8_P12ihipStream_tbDpT10_ENKUlT_T0_E_clISt17integral_constantIbLb0EES1A_IbLb1EEEEDaS16_S17_EUlS16_E_NS1_11comp_targetILNS1_3genE3ELNS1_11target_archE908ELNS1_3gpuE7ELNS1_3repE0EEENS1_30default_config_static_selectorELNS0_4arch9wavefront6targetE0EEEvT1_
; %bb.0:
	.section	.rodata,"a",@progbits
	.p2align	6, 0x0
	.amdhsa_kernel _ZN7rocprim17ROCPRIM_400000_NS6detail17trampoline_kernelINS0_14default_configENS1_25partition_config_selectorILNS1_17partition_subalgoE5EfNS0_10empty_typeEbEEZZNS1_14partition_implILS5_5ELb0ES3_mN6thrust23THRUST_200600_302600_NS6detail15normal_iteratorINSA_10device_ptrIfEEEEPS6_NSA_18transform_iteratorINSB_9not_fun_tINSA_8identityIfEEEESF_NSA_11use_defaultESM_EENS0_5tupleIJSF_S6_EEENSO_IJSG_SG_EEES6_PlJS6_EEE10hipError_tPvRmT3_T4_T5_T6_T7_T9_mT8_P12ihipStream_tbDpT10_ENKUlT_T0_E_clISt17integral_constantIbLb0EES1A_IbLb1EEEEDaS16_S17_EUlS16_E_NS1_11comp_targetILNS1_3genE3ELNS1_11target_archE908ELNS1_3gpuE7ELNS1_3repE0EEENS1_30default_config_static_selectorELNS0_4arch9wavefront6targetE0EEEvT1_
		.amdhsa_group_segment_fixed_size 0
		.amdhsa_private_segment_fixed_size 0
		.amdhsa_kernarg_size 136
		.amdhsa_user_sgpr_count 2
		.amdhsa_user_sgpr_dispatch_ptr 0
		.amdhsa_user_sgpr_queue_ptr 0
		.amdhsa_user_sgpr_kernarg_segment_ptr 1
		.amdhsa_user_sgpr_dispatch_id 0
		.amdhsa_user_sgpr_private_segment_size 0
		.amdhsa_wavefront_size32 1
		.amdhsa_uses_dynamic_stack 0
		.amdhsa_enable_private_segment 0
		.amdhsa_system_sgpr_workgroup_id_x 1
		.amdhsa_system_sgpr_workgroup_id_y 0
		.amdhsa_system_sgpr_workgroup_id_z 0
		.amdhsa_system_sgpr_workgroup_info 0
		.amdhsa_system_vgpr_workitem_id 0
		.amdhsa_next_free_vgpr 1
		.amdhsa_next_free_sgpr 1
		.amdhsa_reserve_vcc 0
		.amdhsa_float_round_mode_32 0
		.amdhsa_float_round_mode_16_64 0
		.amdhsa_float_denorm_mode_32 3
		.amdhsa_float_denorm_mode_16_64 3
		.amdhsa_fp16_overflow 0
		.amdhsa_workgroup_processor_mode 1
		.amdhsa_memory_ordered 1
		.amdhsa_forward_progress 1
		.amdhsa_inst_pref_size 0
		.amdhsa_round_robin_scheduling 0
		.amdhsa_exception_fp_ieee_invalid_op 0
		.amdhsa_exception_fp_denorm_src 0
		.amdhsa_exception_fp_ieee_div_zero 0
		.amdhsa_exception_fp_ieee_overflow 0
		.amdhsa_exception_fp_ieee_underflow 0
		.amdhsa_exception_fp_ieee_inexact 0
		.amdhsa_exception_int_div_zero 0
	.end_amdhsa_kernel
	.section	.text._ZN7rocprim17ROCPRIM_400000_NS6detail17trampoline_kernelINS0_14default_configENS1_25partition_config_selectorILNS1_17partition_subalgoE5EfNS0_10empty_typeEbEEZZNS1_14partition_implILS5_5ELb0ES3_mN6thrust23THRUST_200600_302600_NS6detail15normal_iteratorINSA_10device_ptrIfEEEEPS6_NSA_18transform_iteratorINSB_9not_fun_tINSA_8identityIfEEEESF_NSA_11use_defaultESM_EENS0_5tupleIJSF_S6_EEENSO_IJSG_SG_EEES6_PlJS6_EEE10hipError_tPvRmT3_T4_T5_T6_T7_T9_mT8_P12ihipStream_tbDpT10_ENKUlT_T0_E_clISt17integral_constantIbLb0EES1A_IbLb1EEEEDaS16_S17_EUlS16_E_NS1_11comp_targetILNS1_3genE3ELNS1_11target_archE908ELNS1_3gpuE7ELNS1_3repE0EEENS1_30default_config_static_selectorELNS0_4arch9wavefront6targetE0EEEvT1_,"axG",@progbits,_ZN7rocprim17ROCPRIM_400000_NS6detail17trampoline_kernelINS0_14default_configENS1_25partition_config_selectorILNS1_17partition_subalgoE5EfNS0_10empty_typeEbEEZZNS1_14partition_implILS5_5ELb0ES3_mN6thrust23THRUST_200600_302600_NS6detail15normal_iteratorINSA_10device_ptrIfEEEEPS6_NSA_18transform_iteratorINSB_9not_fun_tINSA_8identityIfEEEESF_NSA_11use_defaultESM_EENS0_5tupleIJSF_S6_EEENSO_IJSG_SG_EEES6_PlJS6_EEE10hipError_tPvRmT3_T4_T5_T6_T7_T9_mT8_P12ihipStream_tbDpT10_ENKUlT_T0_E_clISt17integral_constantIbLb0EES1A_IbLb1EEEEDaS16_S17_EUlS16_E_NS1_11comp_targetILNS1_3genE3ELNS1_11target_archE908ELNS1_3gpuE7ELNS1_3repE0EEENS1_30default_config_static_selectorELNS0_4arch9wavefront6targetE0EEEvT1_,comdat
.Lfunc_end848:
	.size	_ZN7rocprim17ROCPRIM_400000_NS6detail17trampoline_kernelINS0_14default_configENS1_25partition_config_selectorILNS1_17partition_subalgoE5EfNS0_10empty_typeEbEEZZNS1_14partition_implILS5_5ELb0ES3_mN6thrust23THRUST_200600_302600_NS6detail15normal_iteratorINSA_10device_ptrIfEEEEPS6_NSA_18transform_iteratorINSB_9not_fun_tINSA_8identityIfEEEESF_NSA_11use_defaultESM_EENS0_5tupleIJSF_S6_EEENSO_IJSG_SG_EEES6_PlJS6_EEE10hipError_tPvRmT3_T4_T5_T6_T7_T9_mT8_P12ihipStream_tbDpT10_ENKUlT_T0_E_clISt17integral_constantIbLb0EES1A_IbLb1EEEEDaS16_S17_EUlS16_E_NS1_11comp_targetILNS1_3genE3ELNS1_11target_archE908ELNS1_3gpuE7ELNS1_3repE0EEENS1_30default_config_static_selectorELNS0_4arch9wavefront6targetE0EEEvT1_, .Lfunc_end848-_ZN7rocprim17ROCPRIM_400000_NS6detail17trampoline_kernelINS0_14default_configENS1_25partition_config_selectorILNS1_17partition_subalgoE5EfNS0_10empty_typeEbEEZZNS1_14partition_implILS5_5ELb0ES3_mN6thrust23THRUST_200600_302600_NS6detail15normal_iteratorINSA_10device_ptrIfEEEEPS6_NSA_18transform_iteratorINSB_9not_fun_tINSA_8identityIfEEEESF_NSA_11use_defaultESM_EENS0_5tupleIJSF_S6_EEENSO_IJSG_SG_EEES6_PlJS6_EEE10hipError_tPvRmT3_T4_T5_T6_T7_T9_mT8_P12ihipStream_tbDpT10_ENKUlT_T0_E_clISt17integral_constantIbLb0EES1A_IbLb1EEEEDaS16_S17_EUlS16_E_NS1_11comp_targetILNS1_3genE3ELNS1_11target_archE908ELNS1_3gpuE7ELNS1_3repE0EEENS1_30default_config_static_selectorELNS0_4arch9wavefront6targetE0EEEvT1_
                                        ; -- End function
	.set _ZN7rocprim17ROCPRIM_400000_NS6detail17trampoline_kernelINS0_14default_configENS1_25partition_config_selectorILNS1_17partition_subalgoE5EfNS0_10empty_typeEbEEZZNS1_14partition_implILS5_5ELb0ES3_mN6thrust23THRUST_200600_302600_NS6detail15normal_iteratorINSA_10device_ptrIfEEEEPS6_NSA_18transform_iteratorINSB_9not_fun_tINSA_8identityIfEEEESF_NSA_11use_defaultESM_EENS0_5tupleIJSF_S6_EEENSO_IJSG_SG_EEES6_PlJS6_EEE10hipError_tPvRmT3_T4_T5_T6_T7_T9_mT8_P12ihipStream_tbDpT10_ENKUlT_T0_E_clISt17integral_constantIbLb0EES1A_IbLb1EEEEDaS16_S17_EUlS16_E_NS1_11comp_targetILNS1_3genE3ELNS1_11target_archE908ELNS1_3gpuE7ELNS1_3repE0EEENS1_30default_config_static_selectorELNS0_4arch9wavefront6targetE0EEEvT1_.num_vgpr, 0
	.set _ZN7rocprim17ROCPRIM_400000_NS6detail17trampoline_kernelINS0_14default_configENS1_25partition_config_selectorILNS1_17partition_subalgoE5EfNS0_10empty_typeEbEEZZNS1_14partition_implILS5_5ELb0ES3_mN6thrust23THRUST_200600_302600_NS6detail15normal_iteratorINSA_10device_ptrIfEEEEPS6_NSA_18transform_iteratorINSB_9not_fun_tINSA_8identityIfEEEESF_NSA_11use_defaultESM_EENS0_5tupleIJSF_S6_EEENSO_IJSG_SG_EEES6_PlJS6_EEE10hipError_tPvRmT3_T4_T5_T6_T7_T9_mT8_P12ihipStream_tbDpT10_ENKUlT_T0_E_clISt17integral_constantIbLb0EES1A_IbLb1EEEEDaS16_S17_EUlS16_E_NS1_11comp_targetILNS1_3genE3ELNS1_11target_archE908ELNS1_3gpuE7ELNS1_3repE0EEENS1_30default_config_static_selectorELNS0_4arch9wavefront6targetE0EEEvT1_.num_agpr, 0
	.set _ZN7rocprim17ROCPRIM_400000_NS6detail17trampoline_kernelINS0_14default_configENS1_25partition_config_selectorILNS1_17partition_subalgoE5EfNS0_10empty_typeEbEEZZNS1_14partition_implILS5_5ELb0ES3_mN6thrust23THRUST_200600_302600_NS6detail15normal_iteratorINSA_10device_ptrIfEEEEPS6_NSA_18transform_iteratorINSB_9not_fun_tINSA_8identityIfEEEESF_NSA_11use_defaultESM_EENS0_5tupleIJSF_S6_EEENSO_IJSG_SG_EEES6_PlJS6_EEE10hipError_tPvRmT3_T4_T5_T6_T7_T9_mT8_P12ihipStream_tbDpT10_ENKUlT_T0_E_clISt17integral_constantIbLb0EES1A_IbLb1EEEEDaS16_S17_EUlS16_E_NS1_11comp_targetILNS1_3genE3ELNS1_11target_archE908ELNS1_3gpuE7ELNS1_3repE0EEENS1_30default_config_static_selectorELNS0_4arch9wavefront6targetE0EEEvT1_.numbered_sgpr, 0
	.set _ZN7rocprim17ROCPRIM_400000_NS6detail17trampoline_kernelINS0_14default_configENS1_25partition_config_selectorILNS1_17partition_subalgoE5EfNS0_10empty_typeEbEEZZNS1_14partition_implILS5_5ELb0ES3_mN6thrust23THRUST_200600_302600_NS6detail15normal_iteratorINSA_10device_ptrIfEEEEPS6_NSA_18transform_iteratorINSB_9not_fun_tINSA_8identityIfEEEESF_NSA_11use_defaultESM_EENS0_5tupleIJSF_S6_EEENSO_IJSG_SG_EEES6_PlJS6_EEE10hipError_tPvRmT3_T4_T5_T6_T7_T9_mT8_P12ihipStream_tbDpT10_ENKUlT_T0_E_clISt17integral_constantIbLb0EES1A_IbLb1EEEEDaS16_S17_EUlS16_E_NS1_11comp_targetILNS1_3genE3ELNS1_11target_archE908ELNS1_3gpuE7ELNS1_3repE0EEENS1_30default_config_static_selectorELNS0_4arch9wavefront6targetE0EEEvT1_.num_named_barrier, 0
	.set _ZN7rocprim17ROCPRIM_400000_NS6detail17trampoline_kernelINS0_14default_configENS1_25partition_config_selectorILNS1_17partition_subalgoE5EfNS0_10empty_typeEbEEZZNS1_14partition_implILS5_5ELb0ES3_mN6thrust23THRUST_200600_302600_NS6detail15normal_iteratorINSA_10device_ptrIfEEEEPS6_NSA_18transform_iteratorINSB_9not_fun_tINSA_8identityIfEEEESF_NSA_11use_defaultESM_EENS0_5tupleIJSF_S6_EEENSO_IJSG_SG_EEES6_PlJS6_EEE10hipError_tPvRmT3_T4_T5_T6_T7_T9_mT8_P12ihipStream_tbDpT10_ENKUlT_T0_E_clISt17integral_constantIbLb0EES1A_IbLb1EEEEDaS16_S17_EUlS16_E_NS1_11comp_targetILNS1_3genE3ELNS1_11target_archE908ELNS1_3gpuE7ELNS1_3repE0EEENS1_30default_config_static_selectorELNS0_4arch9wavefront6targetE0EEEvT1_.private_seg_size, 0
	.set _ZN7rocprim17ROCPRIM_400000_NS6detail17trampoline_kernelINS0_14default_configENS1_25partition_config_selectorILNS1_17partition_subalgoE5EfNS0_10empty_typeEbEEZZNS1_14partition_implILS5_5ELb0ES3_mN6thrust23THRUST_200600_302600_NS6detail15normal_iteratorINSA_10device_ptrIfEEEEPS6_NSA_18transform_iteratorINSB_9not_fun_tINSA_8identityIfEEEESF_NSA_11use_defaultESM_EENS0_5tupleIJSF_S6_EEENSO_IJSG_SG_EEES6_PlJS6_EEE10hipError_tPvRmT3_T4_T5_T6_T7_T9_mT8_P12ihipStream_tbDpT10_ENKUlT_T0_E_clISt17integral_constantIbLb0EES1A_IbLb1EEEEDaS16_S17_EUlS16_E_NS1_11comp_targetILNS1_3genE3ELNS1_11target_archE908ELNS1_3gpuE7ELNS1_3repE0EEENS1_30default_config_static_selectorELNS0_4arch9wavefront6targetE0EEEvT1_.uses_vcc, 0
	.set _ZN7rocprim17ROCPRIM_400000_NS6detail17trampoline_kernelINS0_14default_configENS1_25partition_config_selectorILNS1_17partition_subalgoE5EfNS0_10empty_typeEbEEZZNS1_14partition_implILS5_5ELb0ES3_mN6thrust23THRUST_200600_302600_NS6detail15normal_iteratorINSA_10device_ptrIfEEEEPS6_NSA_18transform_iteratorINSB_9not_fun_tINSA_8identityIfEEEESF_NSA_11use_defaultESM_EENS0_5tupleIJSF_S6_EEENSO_IJSG_SG_EEES6_PlJS6_EEE10hipError_tPvRmT3_T4_T5_T6_T7_T9_mT8_P12ihipStream_tbDpT10_ENKUlT_T0_E_clISt17integral_constantIbLb0EES1A_IbLb1EEEEDaS16_S17_EUlS16_E_NS1_11comp_targetILNS1_3genE3ELNS1_11target_archE908ELNS1_3gpuE7ELNS1_3repE0EEENS1_30default_config_static_selectorELNS0_4arch9wavefront6targetE0EEEvT1_.uses_flat_scratch, 0
	.set _ZN7rocprim17ROCPRIM_400000_NS6detail17trampoline_kernelINS0_14default_configENS1_25partition_config_selectorILNS1_17partition_subalgoE5EfNS0_10empty_typeEbEEZZNS1_14partition_implILS5_5ELb0ES3_mN6thrust23THRUST_200600_302600_NS6detail15normal_iteratorINSA_10device_ptrIfEEEEPS6_NSA_18transform_iteratorINSB_9not_fun_tINSA_8identityIfEEEESF_NSA_11use_defaultESM_EENS0_5tupleIJSF_S6_EEENSO_IJSG_SG_EEES6_PlJS6_EEE10hipError_tPvRmT3_T4_T5_T6_T7_T9_mT8_P12ihipStream_tbDpT10_ENKUlT_T0_E_clISt17integral_constantIbLb0EES1A_IbLb1EEEEDaS16_S17_EUlS16_E_NS1_11comp_targetILNS1_3genE3ELNS1_11target_archE908ELNS1_3gpuE7ELNS1_3repE0EEENS1_30default_config_static_selectorELNS0_4arch9wavefront6targetE0EEEvT1_.has_dyn_sized_stack, 0
	.set _ZN7rocprim17ROCPRIM_400000_NS6detail17trampoline_kernelINS0_14default_configENS1_25partition_config_selectorILNS1_17partition_subalgoE5EfNS0_10empty_typeEbEEZZNS1_14partition_implILS5_5ELb0ES3_mN6thrust23THRUST_200600_302600_NS6detail15normal_iteratorINSA_10device_ptrIfEEEEPS6_NSA_18transform_iteratorINSB_9not_fun_tINSA_8identityIfEEEESF_NSA_11use_defaultESM_EENS0_5tupleIJSF_S6_EEENSO_IJSG_SG_EEES6_PlJS6_EEE10hipError_tPvRmT3_T4_T5_T6_T7_T9_mT8_P12ihipStream_tbDpT10_ENKUlT_T0_E_clISt17integral_constantIbLb0EES1A_IbLb1EEEEDaS16_S17_EUlS16_E_NS1_11comp_targetILNS1_3genE3ELNS1_11target_archE908ELNS1_3gpuE7ELNS1_3repE0EEENS1_30default_config_static_selectorELNS0_4arch9wavefront6targetE0EEEvT1_.has_recursion, 0
	.set _ZN7rocprim17ROCPRIM_400000_NS6detail17trampoline_kernelINS0_14default_configENS1_25partition_config_selectorILNS1_17partition_subalgoE5EfNS0_10empty_typeEbEEZZNS1_14partition_implILS5_5ELb0ES3_mN6thrust23THRUST_200600_302600_NS6detail15normal_iteratorINSA_10device_ptrIfEEEEPS6_NSA_18transform_iteratorINSB_9not_fun_tINSA_8identityIfEEEESF_NSA_11use_defaultESM_EENS0_5tupleIJSF_S6_EEENSO_IJSG_SG_EEES6_PlJS6_EEE10hipError_tPvRmT3_T4_T5_T6_T7_T9_mT8_P12ihipStream_tbDpT10_ENKUlT_T0_E_clISt17integral_constantIbLb0EES1A_IbLb1EEEEDaS16_S17_EUlS16_E_NS1_11comp_targetILNS1_3genE3ELNS1_11target_archE908ELNS1_3gpuE7ELNS1_3repE0EEENS1_30default_config_static_selectorELNS0_4arch9wavefront6targetE0EEEvT1_.has_indirect_call, 0
	.section	.AMDGPU.csdata,"",@progbits
; Kernel info:
; codeLenInByte = 0
; TotalNumSgprs: 0
; NumVgprs: 0
; ScratchSize: 0
; MemoryBound: 0
; FloatMode: 240
; IeeeMode: 1
; LDSByteSize: 0 bytes/workgroup (compile time only)
; SGPRBlocks: 0
; VGPRBlocks: 0
; NumSGPRsForWavesPerEU: 1
; NumVGPRsForWavesPerEU: 1
; Occupancy: 16
; WaveLimiterHint : 0
; COMPUTE_PGM_RSRC2:SCRATCH_EN: 0
; COMPUTE_PGM_RSRC2:USER_SGPR: 2
; COMPUTE_PGM_RSRC2:TRAP_HANDLER: 0
; COMPUTE_PGM_RSRC2:TGID_X_EN: 1
; COMPUTE_PGM_RSRC2:TGID_Y_EN: 0
; COMPUTE_PGM_RSRC2:TGID_Z_EN: 0
; COMPUTE_PGM_RSRC2:TIDIG_COMP_CNT: 0
	.section	.text._ZN7rocprim17ROCPRIM_400000_NS6detail17trampoline_kernelINS0_14default_configENS1_25partition_config_selectorILNS1_17partition_subalgoE5EfNS0_10empty_typeEbEEZZNS1_14partition_implILS5_5ELb0ES3_mN6thrust23THRUST_200600_302600_NS6detail15normal_iteratorINSA_10device_ptrIfEEEEPS6_NSA_18transform_iteratorINSB_9not_fun_tINSA_8identityIfEEEESF_NSA_11use_defaultESM_EENS0_5tupleIJSF_S6_EEENSO_IJSG_SG_EEES6_PlJS6_EEE10hipError_tPvRmT3_T4_T5_T6_T7_T9_mT8_P12ihipStream_tbDpT10_ENKUlT_T0_E_clISt17integral_constantIbLb0EES1A_IbLb1EEEEDaS16_S17_EUlS16_E_NS1_11comp_targetILNS1_3genE2ELNS1_11target_archE906ELNS1_3gpuE6ELNS1_3repE0EEENS1_30default_config_static_selectorELNS0_4arch9wavefront6targetE0EEEvT1_,"axG",@progbits,_ZN7rocprim17ROCPRIM_400000_NS6detail17trampoline_kernelINS0_14default_configENS1_25partition_config_selectorILNS1_17partition_subalgoE5EfNS0_10empty_typeEbEEZZNS1_14partition_implILS5_5ELb0ES3_mN6thrust23THRUST_200600_302600_NS6detail15normal_iteratorINSA_10device_ptrIfEEEEPS6_NSA_18transform_iteratorINSB_9not_fun_tINSA_8identityIfEEEESF_NSA_11use_defaultESM_EENS0_5tupleIJSF_S6_EEENSO_IJSG_SG_EEES6_PlJS6_EEE10hipError_tPvRmT3_T4_T5_T6_T7_T9_mT8_P12ihipStream_tbDpT10_ENKUlT_T0_E_clISt17integral_constantIbLb0EES1A_IbLb1EEEEDaS16_S17_EUlS16_E_NS1_11comp_targetILNS1_3genE2ELNS1_11target_archE906ELNS1_3gpuE6ELNS1_3repE0EEENS1_30default_config_static_selectorELNS0_4arch9wavefront6targetE0EEEvT1_,comdat
	.protected	_ZN7rocprim17ROCPRIM_400000_NS6detail17trampoline_kernelINS0_14default_configENS1_25partition_config_selectorILNS1_17partition_subalgoE5EfNS0_10empty_typeEbEEZZNS1_14partition_implILS5_5ELb0ES3_mN6thrust23THRUST_200600_302600_NS6detail15normal_iteratorINSA_10device_ptrIfEEEEPS6_NSA_18transform_iteratorINSB_9not_fun_tINSA_8identityIfEEEESF_NSA_11use_defaultESM_EENS0_5tupleIJSF_S6_EEENSO_IJSG_SG_EEES6_PlJS6_EEE10hipError_tPvRmT3_T4_T5_T6_T7_T9_mT8_P12ihipStream_tbDpT10_ENKUlT_T0_E_clISt17integral_constantIbLb0EES1A_IbLb1EEEEDaS16_S17_EUlS16_E_NS1_11comp_targetILNS1_3genE2ELNS1_11target_archE906ELNS1_3gpuE6ELNS1_3repE0EEENS1_30default_config_static_selectorELNS0_4arch9wavefront6targetE0EEEvT1_ ; -- Begin function _ZN7rocprim17ROCPRIM_400000_NS6detail17trampoline_kernelINS0_14default_configENS1_25partition_config_selectorILNS1_17partition_subalgoE5EfNS0_10empty_typeEbEEZZNS1_14partition_implILS5_5ELb0ES3_mN6thrust23THRUST_200600_302600_NS6detail15normal_iteratorINSA_10device_ptrIfEEEEPS6_NSA_18transform_iteratorINSB_9not_fun_tINSA_8identityIfEEEESF_NSA_11use_defaultESM_EENS0_5tupleIJSF_S6_EEENSO_IJSG_SG_EEES6_PlJS6_EEE10hipError_tPvRmT3_T4_T5_T6_T7_T9_mT8_P12ihipStream_tbDpT10_ENKUlT_T0_E_clISt17integral_constantIbLb0EES1A_IbLb1EEEEDaS16_S17_EUlS16_E_NS1_11comp_targetILNS1_3genE2ELNS1_11target_archE906ELNS1_3gpuE6ELNS1_3repE0EEENS1_30default_config_static_selectorELNS0_4arch9wavefront6targetE0EEEvT1_
	.globl	_ZN7rocprim17ROCPRIM_400000_NS6detail17trampoline_kernelINS0_14default_configENS1_25partition_config_selectorILNS1_17partition_subalgoE5EfNS0_10empty_typeEbEEZZNS1_14partition_implILS5_5ELb0ES3_mN6thrust23THRUST_200600_302600_NS6detail15normal_iteratorINSA_10device_ptrIfEEEEPS6_NSA_18transform_iteratorINSB_9not_fun_tINSA_8identityIfEEEESF_NSA_11use_defaultESM_EENS0_5tupleIJSF_S6_EEENSO_IJSG_SG_EEES6_PlJS6_EEE10hipError_tPvRmT3_T4_T5_T6_T7_T9_mT8_P12ihipStream_tbDpT10_ENKUlT_T0_E_clISt17integral_constantIbLb0EES1A_IbLb1EEEEDaS16_S17_EUlS16_E_NS1_11comp_targetILNS1_3genE2ELNS1_11target_archE906ELNS1_3gpuE6ELNS1_3repE0EEENS1_30default_config_static_selectorELNS0_4arch9wavefront6targetE0EEEvT1_
	.p2align	8
	.type	_ZN7rocprim17ROCPRIM_400000_NS6detail17trampoline_kernelINS0_14default_configENS1_25partition_config_selectorILNS1_17partition_subalgoE5EfNS0_10empty_typeEbEEZZNS1_14partition_implILS5_5ELb0ES3_mN6thrust23THRUST_200600_302600_NS6detail15normal_iteratorINSA_10device_ptrIfEEEEPS6_NSA_18transform_iteratorINSB_9not_fun_tINSA_8identityIfEEEESF_NSA_11use_defaultESM_EENS0_5tupleIJSF_S6_EEENSO_IJSG_SG_EEES6_PlJS6_EEE10hipError_tPvRmT3_T4_T5_T6_T7_T9_mT8_P12ihipStream_tbDpT10_ENKUlT_T0_E_clISt17integral_constantIbLb0EES1A_IbLb1EEEEDaS16_S17_EUlS16_E_NS1_11comp_targetILNS1_3genE2ELNS1_11target_archE906ELNS1_3gpuE6ELNS1_3repE0EEENS1_30default_config_static_selectorELNS0_4arch9wavefront6targetE0EEEvT1_,@function
_ZN7rocprim17ROCPRIM_400000_NS6detail17trampoline_kernelINS0_14default_configENS1_25partition_config_selectorILNS1_17partition_subalgoE5EfNS0_10empty_typeEbEEZZNS1_14partition_implILS5_5ELb0ES3_mN6thrust23THRUST_200600_302600_NS6detail15normal_iteratorINSA_10device_ptrIfEEEEPS6_NSA_18transform_iteratorINSB_9not_fun_tINSA_8identityIfEEEESF_NSA_11use_defaultESM_EENS0_5tupleIJSF_S6_EEENSO_IJSG_SG_EEES6_PlJS6_EEE10hipError_tPvRmT3_T4_T5_T6_T7_T9_mT8_P12ihipStream_tbDpT10_ENKUlT_T0_E_clISt17integral_constantIbLb0EES1A_IbLb1EEEEDaS16_S17_EUlS16_E_NS1_11comp_targetILNS1_3genE2ELNS1_11target_archE906ELNS1_3gpuE6ELNS1_3repE0EEENS1_30default_config_static_selectorELNS0_4arch9wavefront6targetE0EEEvT1_: ; @_ZN7rocprim17ROCPRIM_400000_NS6detail17trampoline_kernelINS0_14default_configENS1_25partition_config_selectorILNS1_17partition_subalgoE5EfNS0_10empty_typeEbEEZZNS1_14partition_implILS5_5ELb0ES3_mN6thrust23THRUST_200600_302600_NS6detail15normal_iteratorINSA_10device_ptrIfEEEEPS6_NSA_18transform_iteratorINSB_9not_fun_tINSA_8identityIfEEEESF_NSA_11use_defaultESM_EENS0_5tupleIJSF_S6_EEENSO_IJSG_SG_EEES6_PlJS6_EEE10hipError_tPvRmT3_T4_T5_T6_T7_T9_mT8_P12ihipStream_tbDpT10_ENKUlT_T0_E_clISt17integral_constantIbLb0EES1A_IbLb1EEEEDaS16_S17_EUlS16_E_NS1_11comp_targetILNS1_3genE2ELNS1_11target_archE906ELNS1_3gpuE6ELNS1_3repE0EEENS1_30default_config_static_selectorELNS0_4arch9wavefront6targetE0EEEvT1_
; %bb.0:
	.section	.rodata,"a",@progbits
	.p2align	6, 0x0
	.amdhsa_kernel _ZN7rocprim17ROCPRIM_400000_NS6detail17trampoline_kernelINS0_14default_configENS1_25partition_config_selectorILNS1_17partition_subalgoE5EfNS0_10empty_typeEbEEZZNS1_14partition_implILS5_5ELb0ES3_mN6thrust23THRUST_200600_302600_NS6detail15normal_iteratorINSA_10device_ptrIfEEEEPS6_NSA_18transform_iteratorINSB_9not_fun_tINSA_8identityIfEEEESF_NSA_11use_defaultESM_EENS0_5tupleIJSF_S6_EEENSO_IJSG_SG_EEES6_PlJS6_EEE10hipError_tPvRmT3_T4_T5_T6_T7_T9_mT8_P12ihipStream_tbDpT10_ENKUlT_T0_E_clISt17integral_constantIbLb0EES1A_IbLb1EEEEDaS16_S17_EUlS16_E_NS1_11comp_targetILNS1_3genE2ELNS1_11target_archE906ELNS1_3gpuE6ELNS1_3repE0EEENS1_30default_config_static_selectorELNS0_4arch9wavefront6targetE0EEEvT1_
		.amdhsa_group_segment_fixed_size 0
		.amdhsa_private_segment_fixed_size 0
		.amdhsa_kernarg_size 136
		.amdhsa_user_sgpr_count 2
		.amdhsa_user_sgpr_dispatch_ptr 0
		.amdhsa_user_sgpr_queue_ptr 0
		.amdhsa_user_sgpr_kernarg_segment_ptr 1
		.amdhsa_user_sgpr_dispatch_id 0
		.amdhsa_user_sgpr_private_segment_size 0
		.amdhsa_wavefront_size32 1
		.amdhsa_uses_dynamic_stack 0
		.amdhsa_enable_private_segment 0
		.amdhsa_system_sgpr_workgroup_id_x 1
		.amdhsa_system_sgpr_workgroup_id_y 0
		.amdhsa_system_sgpr_workgroup_id_z 0
		.amdhsa_system_sgpr_workgroup_info 0
		.amdhsa_system_vgpr_workitem_id 0
		.amdhsa_next_free_vgpr 1
		.amdhsa_next_free_sgpr 1
		.amdhsa_reserve_vcc 0
		.amdhsa_float_round_mode_32 0
		.amdhsa_float_round_mode_16_64 0
		.amdhsa_float_denorm_mode_32 3
		.amdhsa_float_denorm_mode_16_64 3
		.amdhsa_fp16_overflow 0
		.amdhsa_workgroup_processor_mode 1
		.amdhsa_memory_ordered 1
		.amdhsa_forward_progress 1
		.amdhsa_inst_pref_size 0
		.amdhsa_round_robin_scheduling 0
		.amdhsa_exception_fp_ieee_invalid_op 0
		.amdhsa_exception_fp_denorm_src 0
		.amdhsa_exception_fp_ieee_div_zero 0
		.amdhsa_exception_fp_ieee_overflow 0
		.amdhsa_exception_fp_ieee_underflow 0
		.amdhsa_exception_fp_ieee_inexact 0
		.amdhsa_exception_int_div_zero 0
	.end_amdhsa_kernel
	.section	.text._ZN7rocprim17ROCPRIM_400000_NS6detail17trampoline_kernelINS0_14default_configENS1_25partition_config_selectorILNS1_17partition_subalgoE5EfNS0_10empty_typeEbEEZZNS1_14partition_implILS5_5ELb0ES3_mN6thrust23THRUST_200600_302600_NS6detail15normal_iteratorINSA_10device_ptrIfEEEEPS6_NSA_18transform_iteratorINSB_9not_fun_tINSA_8identityIfEEEESF_NSA_11use_defaultESM_EENS0_5tupleIJSF_S6_EEENSO_IJSG_SG_EEES6_PlJS6_EEE10hipError_tPvRmT3_T4_T5_T6_T7_T9_mT8_P12ihipStream_tbDpT10_ENKUlT_T0_E_clISt17integral_constantIbLb0EES1A_IbLb1EEEEDaS16_S17_EUlS16_E_NS1_11comp_targetILNS1_3genE2ELNS1_11target_archE906ELNS1_3gpuE6ELNS1_3repE0EEENS1_30default_config_static_selectorELNS0_4arch9wavefront6targetE0EEEvT1_,"axG",@progbits,_ZN7rocprim17ROCPRIM_400000_NS6detail17trampoline_kernelINS0_14default_configENS1_25partition_config_selectorILNS1_17partition_subalgoE5EfNS0_10empty_typeEbEEZZNS1_14partition_implILS5_5ELb0ES3_mN6thrust23THRUST_200600_302600_NS6detail15normal_iteratorINSA_10device_ptrIfEEEEPS6_NSA_18transform_iteratorINSB_9not_fun_tINSA_8identityIfEEEESF_NSA_11use_defaultESM_EENS0_5tupleIJSF_S6_EEENSO_IJSG_SG_EEES6_PlJS6_EEE10hipError_tPvRmT3_T4_T5_T6_T7_T9_mT8_P12ihipStream_tbDpT10_ENKUlT_T0_E_clISt17integral_constantIbLb0EES1A_IbLb1EEEEDaS16_S17_EUlS16_E_NS1_11comp_targetILNS1_3genE2ELNS1_11target_archE906ELNS1_3gpuE6ELNS1_3repE0EEENS1_30default_config_static_selectorELNS0_4arch9wavefront6targetE0EEEvT1_,comdat
.Lfunc_end849:
	.size	_ZN7rocprim17ROCPRIM_400000_NS6detail17trampoline_kernelINS0_14default_configENS1_25partition_config_selectorILNS1_17partition_subalgoE5EfNS0_10empty_typeEbEEZZNS1_14partition_implILS5_5ELb0ES3_mN6thrust23THRUST_200600_302600_NS6detail15normal_iteratorINSA_10device_ptrIfEEEEPS6_NSA_18transform_iteratorINSB_9not_fun_tINSA_8identityIfEEEESF_NSA_11use_defaultESM_EENS0_5tupleIJSF_S6_EEENSO_IJSG_SG_EEES6_PlJS6_EEE10hipError_tPvRmT3_T4_T5_T6_T7_T9_mT8_P12ihipStream_tbDpT10_ENKUlT_T0_E_clISt17integral_constantIbLb0EES1A_IbLb1EEEEDaS16_S17_EUlS16_E_NS1_11comp_targetILNS1_3genE2ELNS1_11target_archE906ELNS1_3gpuE6ELNS1_3repE0EEENS1_30default_config_static_selectorELNS0_4arch9wavefront6targetE0EEEvT1_, .Lfunc_end849-_ZN7rocprim17ROCPRIM_400000_NS6detail17trampoline_kernelINS0_14default_configENS1_25partition_config_selectorILNS1_17partition_subalgoE5EfNS0_10empty_typeEbEEZZNS1_14partition_implILS5_5ELb0ES3_mN6thrust23THRUST_200600_302600_NS6detail15normal_iteratorINSA_10device_ptrIfEEEEPS6_NSA_18transform_iteratorINSB_9not_fun_tINSA_8identityIfEEEESF_NSA_11use_defaultESM_EENS0_5tupleIJSF_S6_EEENSO_IJSG_SG_EEES6_PlJS6_EEE10hipError_tPvRmT3_T4_T5_T6_T7_T9_mT8_P12ihipStream_tbDpT10_ENKUlT_T0_E_clISt17integral_constantIbLb0EES1A_IbLb1EEEEDaS16_S17_EUlS16_E_NS1_11comp_targetILNS1_3genE2ELNS1_11target_archE906ELNS1_3gpuE6ELNS1_3repE0EEENS1_30default_config_static_selectorELNS0_4arch9wavefront6targetE0EEEvT1_
                                        ; -- End function
	.set _ZN7rocprim17ROCPRIM_400000_NS6detail17trampoline_kernelINS0_14default_configENS1_25partition_config_selectorILNS1_17partition_subalgoE5EfNS0_10empty_typeEbEEZZNS1_14partition_implILS5_5ELb0ES3_mN6thrust23THRUST_200600_302600_NS6detail15normal_iteratorINSA_10device_ptrIfEEEEPS6_NSA_18transform_iteratorINSB_9not_fun_tINSA_8identityIfEEEESF_NSA_11use_defaultESM_EENS0_5tupleIJSF_S6_EEENSO_IJSG_SG_EEES6_PlJS6_EEE10hipError_tPvRmT3_T4_T5_T6_T7_T9_mT8_P12ihipStream_tbDpT10_ENKUlT_T0_E_clISt17integral_constantIbLb0EES1A_IbLb1EEEEDaS16_S17_EUlS16_E_NS1_11comp_targetILNS1_3genE2ELNS1_11target_archE906ELNS1_3gpuE6ELNS1_3repE0EEENS1_30default_config_static_selectorELNS0_4arch9wavefront6targetE0EEEvT1_.num_vgpr, 0
	.set _ZN7rocprim17ROCPRIM_400000_NS6detail17trampoline_kernelINS0_14default_configENS1_25partition_config_selectorILNS1_17partition_subalgoE5EfNS0_10empty_typeEbEEZZNS1_14partition_implILS5_5ELb0ES3_mN6thrust23THRUST_200600_302600_NS6detail15normal_iteratorINSA_10device_ptrIfEEEEPS6_NSA_18transform_iteratorINSB_9not_fun_tINSA_8identityIfEEEESF_NSA_11use_defaultESM_EENS0_5tupleIJSF_S6_EEENSO_IJSG_SG_EEES6_PlJS6_EEE10hipError_tPvRmT3_T4_T5_T6_T7_T9_mT8_P12ihipStream_tbDpT10_ENKUlT_T0_E_clISt17integral_constantIbLb0EES1A_IbLb1EEEEDaS16_S17_EUlS16_E_NS1_11comp_targetILNS1_3genE2ELNS1_11target_archE906ELNS1_3gpuE6ELNS1_3repE0EEENS1_30default_config_static_selectorELNS0_4arch9wavefront6targetE0EEEvT1_.num_agpr, 0
	.set _ZN7rocprim17ROCPRIM_400000_NS6detail17trampoline_kernelINS0_14default_configENS1_25partition_config_selectorILNS1_17partition_subalgoE5EfNS0_10empty_typeEbEEZZNS1_14partition_implILS5_5ELb0ES3_mN6thrust23THRUST_200600_302600_NS6detail15normal_iteratorINSA_10device_ptrIfEEEEPS6_NSA_18transform_iteratorINSB_9not_fun_tINSA_8identityIfEEEESF_NSA_11use_defaultESM_EENS0_5tupleIJSF_S6_EEENSO_IJSG_SG_EEES6_PlJS6_EEE10hipError_tPvRmT3_T4_T5_T6_T7_T9_mT8_P12ihipStream_tbDpT10_ENKUlT_T0_E_clISt17integral_constantIbLb0EES1A_IbLb1EEEEDaS16_S17_EUlS16_E_NS1_11comp_targetILNS1_3genE2ELNS1_11target_archE906ELNS1_3gpuE6ELNS1_3repE0EEENS1_30default_config_static_selectorELNS0_4arch9wavefront6targetE0EEEvT1_.numbered_sgpr, 0
	.set _ZN7rocprim17ROCPRIM_400000_NS6detail17trampoline_kernelINS0_14default_configENS1_25partition_config_selectorILNS1_17partition_subalgoE5EfNS0_10empty_typeEbEEZZNS1_14partition_implILS5_5ELb0ES3_mN6thrust23THRUST_200600_302600_NS6detail15normal_iteratorINSA_10device_ptrIfEEEEPS6_NSA_18transform_iteratorINSB_9not_fun_tINSA_8identityIfEEEESF_NSA_11use_defaultESM_EENS0_5tupleIJSF_S6_EEENSO_IJSG_SG_EEES6_PlJS6_EEE10hipError_tPvRmT3_T4_T5_T6_T7_T9_mT8_P12ihipStream_tbDpT10_ENKUlT_T0_E_clISt17integral_constantIbLb0EES1A_IbLb1EEEEDaS16_S17_EUlS16_E_NS1_11comp_targetILNS1_3genE2ELNS1_11target_archE906ELNS1_3gpuE6ELNS1_3repE0EEENS1_30default_config_static_selectorELNS0_4arch9wavefront6targetE0EEEvT1_.num_named_barrier, 0
	.set _ZN7rocprim17ROCPRIM_400000_NS6detail17trampoline_kernelINS0_14default_configENS1_25partition_config_selectorILNS1_17partition_subalgoE5EfNS0_10empty_typeEbEEZZNS1_14partition_implILS5_5ELb0ES3_mN6thrust23THRUST_200600_302600_NS6detail15normal_iteratorINSA_10device_ptrIfEEEEPS6_NSA_18transform_iteratorINSB_9not_fun_tINSA_8identityIfEEEESF_NSA_11use_defaultESM_EENS0_5tupleIJSF_S6_EEENSO_IJSG_SG_EEES6_PlJS6_EEE10hipError_tPvRmT3_T4_T5_T6_T7_T9_mT8_P12ihipStream_tbDpT10_ENKUlT_T0_E_clISt17integral_constantIbLb0EES1A_IbLb1EEEEDaS16_S17_EUlS16_E_NS1_11comp_targetILNS1_3genE2ELNS1_11target_archE906ELNS1_3gpuE6ELNS1_3repE0EEENS1_30default_config_static_selectorELNS0_4arch9wavefront6targetE0EEEvT1_.private_seg_size, 0
	.set _ZN7rocprim17ROCPRIM_400000_NS6detail17trampoline_kernelINS0_14default_configENS1_25partition_config_selectorILNS1_17partition_subalgoE5EfNS0_10empty_typeEbEEZZNS1_14partition_implILS5_5ELb0ES3_mN6thrust23THRUST_200600_302600_NS6detail15normal_iteratorINSA_10device_ptrIfEEEEPS6_NSA_18transform_iteratorINSB_9not_fun_tINSA_8identityIfEEEESF_NSA_11use_defaultESM_EENS0_5tupleIJSF_S6_EEENSO_IJSG_SG_EEES6_PlJS6_EEE10hipError_tPvRmT3_T4_T5_T6_T7_T9_mT8_P12ihipStream_tbDpT10_ENKUlT_T0_E_clISt17integral_constantIbLb0EES1A_IbLb1EEEEDaS16_S17_EUlS16_E_NS1_11comp_targetILNS1_3genE2ELNS1_11target_archE906ELNS1_3gpuE6ELNS1_3repE0EEENS1_30default_config_static_selectorELNS0_4arch9wavefront6targetE0EEEvT1_.uses_vcc, 0
	.set _ZN7rocprim17ROCPRIM_400000_NS6detail17trampoline_kernelINS0_14default_configENS1_25partition_config_selectorILNS1_17partition_subalgoE5EfNS0_10empty_typeEbEEZZNS1_14partition_implILS5_5ELb0ES3_mN6thrust23THRUST_200600_302600_NS6detail15normal_iteratorINSA_10device_ptrIfEEEEPS6_NSA_18transform_iteratorINSB_9not_fun_tINSA_8identityIfEEEESF_NSA_11use_defaultESM_EENS0_5tupleIJSF_S6_EEENSO_IJSG_SG_EEES6_PlJS6_EEE10hipError_tPvRmT3_T4_T5_T6_T7_T9_mT8_P12ihipStream_tbDpT10_ENKUlT_T0_E_clISt17integral_constantIbLb0EES1A_IbLb1EEEEDaS16_S17_EUlS16_E_NS1_11comp_targetILNS1_3genE2ELNS1_11target_archE906ELNS1_3gpuE6ELNS1_3repE0EEENS1_30default_config_static_selectorELNS0_4arch9wavefront6targetE0EEEvT1_.uses_flat_scratch, 0
	.set _ZN7rocprim17ROCPRIM_400000_NS6detail17trampoline_kernelINS0_14default_configENS1_25partition_config_selectorILNS1_17partition_subalgoE5EfNS0_10empty_typeEbEEZZNS1_14partition_implILS5_5ELb0ES3_mN6thrust23THRUST_200600_302600_NS6detail15normal_iteratorINSA_10device_ptrIfEEEEPS6_NSA_18transform_iteratorINSB_9not_fun_tINSA_8identityIfEEEESF_NSA_11use_defaultESM_EENS0_5tupleIJSF_S6_EEENSO_IJSG_SG_EEES6_PlJS6_EEE10hipError_tPvRmT3_T4_T5_T6_T7_T9_mT8_P12ihipStream_tbDpT10_ENKUlT_T0_E_clISt17integral_constantIbLb0EES1A_IbLb1EEEEDaS16_S17_EUlS16_E_NS1_11comp_targetILNS1_3genE2ELNS1_11target_archE906ELNS1_3gpuE6ELNS1_3repE0EEENS1_30default_config_static_selectorELNS0_4arch9wavefront6targetE0EEEvT1_.has_dyn_sized_stack, 0
	.set _ZN7rocprim17ROCPRIM_400000_NS6detail17trampoline_kernelINS0_14default_configENS1_25partition_config_selectorILNS1_17partition_subalgoE5EfNS0_10empty_typeEbEEZZNS1_14partition_implILS5_5ELb0ES3_mN6thrust23THRUST_200600_302600_NS6detail15normal_iteratorINSA_10device_ptrIfEEEEPS6_NSA_18transform_iteratorINSB_9not_fun_tINSA_8identityIfEEEESF_NSA_11use_defaultESM_EENS0_5tupleIJSF_S6_EEENSO_IJSG_SG_EEES6_PlJS6_EEE10hipError_tPvRmT3_T4_T5_T6_T7_T9_mT8_P12ihipStream_tbDpT10_ENKUlT_T0_E_clISt17integral_constantIbLb0EES1A_IbLb1EEEEDaS16_S17_EUlS16_E_NS1_11comp_targetILNS1_3genE2ELNS1_11target_archE906ELNS1_3gpuE6ELNS1_3repE0EEENS1_30default_config_static_selectorELNS0_4arch9wavefront6targetE0EEEvT1_.has_recursion, 0
	.set _ZN7rocprim17ROCPRIM_400000_NS6detail17trampoline_kernelINS0_14default_configENS1_25partition_config_selectorILNS1_17partition_subalgoE5EfNS0_10empty_typeEbEEZZNS1_14partition_implILS5_5ELb0ES3_mN6thrust23THRUST_200600_302600_NS6detail15normal_iteratorINSA_10device_ptrIfEEEEPS6_NSA_18transform_iteratorINSB_9not_fun_tINSA_8identityIfEEEESF_NSA_11use_defaultESM_EENS0_5tupleIJSF_S6_EEENSO_IJSG_SG_EEES6_PlJS6_EEE10hipError_tPvRmT3_T4_T5_T6_T7_T9_mT8_P12ihipStream_tbDpT10_ENKUlT_T0_E_clISt17integral_constantIbLb0EES1A_IbLb1EEEEDaS16_S17_EUlS16_E_NS1_11comp_targetILNS1_3genE2ELNS1_11target_archE906ELNS1_3gpuE6ELNS1_3repE0EEENS1_30default_config_static_selectorELNS0_4arch9wavefront6targetE0EEEvT1_.has_indirect_call, 0
	.section	.AMDGPU.csdata,"",@progbits
; Kernel info:
; codeLenInByte = 0
; TotalNumSgprs: 0
; NumVgprs: 0
; ScratchSize: 0
; MemoryBound: 0
; FloatMode: 240
; IeeeMode: 1
; LDSByteSize: 0 bytes/workgroup (compile time only)
; SGPRBlocks: 0
; VGPRBlocks: 0
; NumSGPRsForWavesPerEU: 1
; NumVGPRsForWavesPerEU: 1
; Occupancy: 16
; WaveLimiterHint : 0
; COMPUTE_PGM_RSRC2:SCRATCH_EN: 0
; COMPUTE_PGM_RSRC2:USER_SGPR: 2
; COMPUTE_PGM_RSRC2:TRAP_HANDLER: 0
; COMPUTE_PGM_RSRC2:TGID_X_EN: 1
; COMPUTE_PGM_RSRC2:TGID_Y_EN: 0
; COMPUTE_PGM_RSRC2:TGID_Z_EN: 0
; COMPUTE_PGM_RSRC2:TIDIG_COMP_CNT: 0
	.section	.text._ZN7rocprim17ROCPRIM_400000_NS6detail17trampoline_kernelINS0_14default_configENS1_25partition_config_selectorILNS1_17partition_subalgoE5EfNS0_10empty_typeEbEEZZNS1_14partition_implILS5_5ELb0ES3_mN6thrust23THRUST_200600_302600_NS6detail15normal_iteratorINSA_10device_ptrIfEEEEPS6_NSA_18transform_iteratorINSB_9not_fun_tINSA_8identityIfEEEESF_NSA_11use_defaultESM_EENS0_5tupleIJSF_S6_EEENSO_IJSG_SG_EEES6_PlJS6_EEE10hipError_tPvRmT3_T4_T5_T6_T7_T9_mT8_P12ihipStream_tbDpT10_ENKUlT_T0_E_clISt17integral_constantIbLb0EES1A_IbLb1EEEEDaS16_S17_EUlS16_E_NS1_11comp_targetILNS1_3genE10ELNS1_11target_archE1200ELNS1_3gpuE4ELNS1_3repE0EEENS1_30default_config_static_selectorELNS0_4arch9wavefront6targetE0EEEvT1_,"axG",@progbits,_ZN7rocprim17ROCPRIM_400000_NS6detail17trampoline_kernelINS0_14default_configENS1_25partition_config_selectorILNS1_17partition_subalgoE5EfNS0_10empty_typeEbEEZZNS1_14partition_implILS5_5ELb0ES3_mN6thrust23THRUST_200600_302600_NS6detail15normal_iteratorINSA_10device_ptrIfEEEEPS6_NSA_18transform_iteratorINSB_9not_fun_tINSA_8identityIfEEEESF_NSA_11use_defaultESM_EENS0_5tupleIJSF_S6_EEENSO_IJSG_SG_EEES6_PlJS6_EEE10hipError_tPvRmT3_T4_T5_T6_T7_T9_mT8_P12ihipStream_tbDpT10_ENKUlT_T0_E_clISt17integral_constantIbLb0EES1A_IbLb1EEEEDaS16_S17_EUlS16_E_NS1_11comp_targetILNS1_3genE10ELNS1_11target_archE1200ELNS1_3gpuE4ELNS1_3repE0EEENS1_30default_config_static_selectorELNS0_4arch9wavefront6targetE0EEEvT1_,comdat
	.protected	_ZN7rocprim17ROCPRIM_400000_NS6detail17trampoline_kernelINS0_14default_configENS1_25partition_config_selectorILNS1_17partition_subalgoE5EfNS0_10empty_typeEbEEZZNS1_14partition_implILS5_5ELb0ES3_mN6thrust23THRUST_200600_302600_NS6detail15normal_iteratorINSA_10device_ptrIfEEEEPS6_NSA_18transform_iteratorINSB_9not_fun_tINSA_8identityIfEEEESF_NSA_11use_defaultESM_EENS0_5tupleIJSF_S6_EEENSO_IJSG_SG_EEES6_PlJS6_EEE10hipError_tPvRmT3_T4_T5_T6_T7_T9_mT8_P12ihipStream_tbDpT10_ENKUlT_T0_E_clISt17integral_constantIbLb0EES1A_IbLb1EEEEDaS16_S17_EUlS16_E_NS1_11comp_targetILNS1_3genE10ELNS1_11target_archE1200ELNS1_3gpuE4ELNS1_3repE0EEENS1_30default_config_static_selectorELNS0_4arch9wavefront6targetE0EEEvT1_ ; -- Begin function _ZN7rocprim17ROCPRIM_400000_NS6detail17trampoline_kernelINS0_14default_configENS1_25partition_config_selectorILNS1_17partition_subalgoE5EfNS0_10empty_typeEbEEZZNS1_14partition_implILS5_5ELb0ES3_mN6thrust23THRUST_200600_302600_NS6detail15normal_iteratorINSA_10device_ptrIfEEEEPS6_NSA_18transform_iteratorINSB_9not_fun_tINSA_8identityIfEEEESF_NSA_11use_defaultESM_EENS0_5tupleIJSF_S6_EEENSO_IJSG_SG_EEES6_PlJS6_EEE10hipError_tPvRmT3_T4_T5_T6_T7_T9_mT8_P12ihipStream_tbDpT10_ENKUlT_T0_E_clISt17integral_constantIbLb0EES1A_IbLb1EEEEDaS16_S17_EUlS16_E_NS1_11comp_targetILNS1_3genE10ELNS1_11target_archE1200ELNS1_3gpuE4ELNS1_3repE0EEENS1_30default_config_static_selectorELNS0_4arch9wavefront6targetE0EEEvT1_
	.globl	_ZN7rocprim17ROCPRIM_400000_NS6detail17trampoline_kernelINS0_14default_configENS1_25partition_config_selectorILNS1_17partition_subalgoE5EfNS0_10empty_typeEbEEZZNS1_14partition_implILS5_5ELb0ES3_mN6thrust23THRUST_200600_302600_NS6detail15normal_iteratorINSA_10device_ptrIfEEEEPS6_NSA_18transform_iteratorINSB_9not_fun_tINSA_8identityIfEEEESF_NSA_11use_defaultESM_EENS0_5tupleIJSF_S6_EEENSO_IJSG_SG_EEES6_PlJS6_EEE10hipError_tPvRmT3_T4_T5_T6_T7_T9_mT8_P12ihipStream_tbDpT10_ENKUlT_T0_E_clISt17integral_constantIbLb0EES1A_IbLb1EEEEDaS16_S17_EUlS16_E_NS1_11comp_targetILNS1_3genE10ELNS1_11target_archE1200ELNS1_3gpuE4ELNS1_3repE0EEENS1_30default_config_static_selectorELNS0_4arch9wavefront6targetE0EEEvT1_
	.p2align	8
	.type	_ZN7rocprim17ROCPRIM_400000_NS6detail17trampoline_kernelINS0_14default_configENS1_25partition_config_selectorILNS1_17partition_subalgoE5EfNS0_10empty_typeEbEEZZNS1_14partition_implILS5_5ELb0ES3_mN6thrust23THRUST_200600_302600_NS6detail15normal_iteratorINSA_10device_ptrIfEEEEPS6_NSA_18transform_iteratorINSB_9not_fun_tINSA_8identityIfEEEESF_NSA_11use_defaultESM_EENS0_5tupleIJSF_S6_EEENSO_IJSG_SG_EEES6_PlJS6_EEE10hipError_tPvRmT3_T4_T5_T6_T7_T9_mT8_P12ihipStream_tbDpT10_ENKUlT_T0_E_clISt17integral_constantIbLb0EES1A_IbLb1EEEEDaS16_S17_EUlS16_E_NS1_11comp_targetILNS1_3genE10ELNS1_11target_archE1200ELNS1_3gpuE4ELNS1_3repE0EEENS1_30default_config_static_selectorELNS0_4arch9wavefront6targetE0EEEvT1_,@function
_ZN7rocprim17ROCPRIM_400000_NS6detail17trampoline_kernelINS0_14default_configENS1_25partition_config_selectorILNS1_17partition_subalgoE5EfNS0_10empty_typeEbEEZZNS1_14partition_implILS5_5ELb0ES3_mN6thrust23THRUST_200600_302600_NS6detail15normal_iteratorINSA_10device_ptrIfEEEEPS6_NSA_18transform_iteratorINSB_9not_fun_tINSA_8identityIfEEEESF_NSA_11use_defaultESM_EENS0_5tupleIJSF_S6_EEENSO_IJSG_SG_EEES6_PlJS6_EEE10hipError_tPvRmT3_T4_T5_T6_T7_T9_mT8_P12ihipStream_tbDpT10_ENKUlT_T0_E_clISt17integral_constantIbLb0EES1A_IbLb1EEEEDaS16_S17_EUlS16_E_NS1_11comp_targetILNS1_3genE10ELNS1_11target_archE1200ELNS1_3gpuE4ELNS1_3repE0EEENS1_30default_config_static_selectorELNS0_4arch9wavefront6targetE0EEEvT1_: ; @_ZN7rocprim17ROCPRIM_400000_NS6detail17trampoline_kernelINS0_14default_configENS1_25partition_config_selectorILNS1_17partition_subalgoE5EfNS0_10empty_typeEbEEZZNS1_14partition_implILS5_5ELb0ES3_mN6thrust23THRUST_200600_302600_NS6detail15normal_iteratorINSA_10device_ptrIfEEEEPS6_NSA_18transform_iteratorINSB_9not_fun_tINSA_8identityIfEEEESF_NSA_11use_defaultESM_EENS0_5tupleIJSF_S6_EEENSO_IJSG_SG_EEES6_PlJS6_EEE10hipError_tPvRmT3_T4_T5_T6_T7_T9_mT8_P12ihipStream_tbDpT10_ENKUlT_T0_E_clISt17integral_constantIbLb0EES1A_IbLb1EEEEDaS16_S17_EUlS16_E_NS1_11comp_targetILNS1_3genE10ELNS1_11target_archE1200ELNS1_3gpuE4ELNS1_3repE0EEENS1_30default_config_static_selectorELNS0_4arch9wavefront6targetE0EEEvT1_
; %bb.0:
	s_clause 0x3
	s_load_b64 s[12:13], s[0:1], 0x30
	s_load_b128 s[8:11], s[0:1], 0x48
	s_load_b64 s[18:19], s[0:1], 0x58
	s_load_b64 s[14:15], s[0:1], 0x68
	v_cmp_eq_u32_e64 s2, 0, v0
	s_and_saveexec_b32 s3, s2
	s_cbranch_execz .LBB850_4
; %bb.1:
	s_mov_b32 s5, exec_lo
	s_mov_b32 s4, exec_lo
	v_mbcnt_lo_u32_b32 v1, s5, 0
                                        ; implicit-def: $vgpr2
	s_delay_alu instid0(VALU_DEP_1)
	v_cmpx_eq_u32_e32 0, v1
	s_cbranch_execz .LBB850_3
; %bb.2:
	s_load_b64 s[6:7], s[0:1], 0x78
	s_bcnt1_i32_b32 s5, s5
	s_wait_alu 0xfffe
	v_dual_mov_b32 v2, 0 :: v_dual_mov_b32 v3, s5
	s_wait_kmcnt 0x0
	global_atomic_add_u32 v2, v2, v3, s[6:7] th:TH_ATOMIC_RETURN scope:SCOPE_DEV
.LBB850_3:
	s_or_b32 exec_lo, exec_lo, s4
	s_wait_loadcnt 0x0
	v_readfirstlane_b32 s4, v2
	s_wait_alu 0xf1ff
	s_delay_alu instid0(VALU_DEP_1)
	v_dual_mov_b32 v2, 0 :: v_dual_add_nc_u32 v1, s4, v1
	ds_store_b32 v2, v1
.LBB850_4:
	s_or_b32 exec_lo, exec_lo, s3
	v_dual_mov_b32 v1, 0 :: v_dual_lshlrev_b32 v8, 2, v0
	s_clause 0x2
	s_load_b128 s[4:7], s[0:1], 0x8
	s_load_b64 s[16:17], s[0:1], 0x20
	s_load_b32 s0, s[0:1], 0x70
	s_wait_dscnt 0x0
	s_barrier_signal -1
	s_barrier_wait -1
	global_inv scope:SCOPE_SE
	ds_load_b32 v2, v1
	s_wait_loadcnt_dscnt 0x0
	s_barrier_signal -1
	s_barrier_wait -1
	global_inv scope:SCOPE_SE
	s_wait_kmcnt 0x0
	global_load_b64 v[9:10], v1, s[10:11]
	s_lshl_b64 s[10:11], s[6:7], 2
	s_delay_alu instid0(SALU_CYCLE_1)
	s_add_nc_u64 s[22:23], s[4:5], s[10:11]
	s_mul_i32 s4, s0, 0xa80
	s_mov_b32 s5, 0
	s_wait_alu 0xfffe
	s_add_co_i32 s3, s4, s6
	s_add_co_i32 s21, s0, -1
	v_readfirstlane_b32 s20, v2
	s_add_nc_u64 s[0:1], s[6:7], s[4:5]
	s_sub_co_i32 s3, s18, s3
	v_cmp_le_u64_e64 s0, s[18:19], s[0:1]
	s_addk_co_i32 s3, 0xa80
	s_cmp_eq_u32 s20, s21
	s_mul_i32 s4, s20, 0xa80
	s_cselect_b32 s18, -1, 0
	s_wait_alu 0xfffe
	s_lshl_b64 s[4:5], s[4:5], 2
	s_and_b32 s0, s0, s18
	s_mov_b32 s1, -1
	s_wait_alu 0xfffe
	s_xor_b32 s19, s0, -1
	s_add_nc_u64 s[6:7], s[22:23], s[4:5]
	s_wait_alu 0xfffe
	s_and_b32 vcc_lo, exec_lo, s19
	s_cbranch_vccz .LBB850_6
; %bb.5:
	v_add_co_u32 v1, s0, s6, v8
	s_wait_alu 0xf1ff
	v_add_co_ci_u32_e64 v2, null, s7, 0, s0
	s_mov_b32 s1, 0
	s_clause 0x6
	flat_load_b32 v3, v[1:2]
	flat_load_b32 v4, v[1:2] offset:1536
	flat_load_b32 v5, v[1:2] offset:3072
	flat_load_b32 v6, v[1:2] offset:4608
	flat_load_b32 v7, v[1:2] offset:6144
	flat_load_b32 v11, v[1:2] offset:7680
	flat_load_b32 v1, v[1:2] offset:9216
	s_wait_loadcnt_dscnt 0x505
	ds_store_2addr_stride64_b32 v8, v3, v4 offset1:6
	s_wait_loadcnt_dscnt 0x304
	ds_store_2addr_stride64_b32 v8, v5, v6 offset0:12 offset1:18
	s_wait_loadcnt_dscnt 0x103
	ds_store_2addr_stride64_b32 v8, v7, v11 offset0:24 offset1:30
	s_wait_loadcnt_dscnt 0x3
	ds_store_b32 v8, v1 offset:9216
	s_wait_dscnt 0x0
	s_barrier_signal -1
	s_barrier_wait -1
.LBB850_6:
	v_cmp_gt_u32_e64 s0, s3, v0
	s_wait_alu 0xfffe
	s_and_not1_b32 vcc_lo, exec_lo, s1
	s_cbranch_vccnz .LBB850_22
; %bb.7:
	v_mov_b32_e32 v1, 0
	s_delay_alu instid0(VALU_DEP_1)
	v_dual_mov_b32 v2, v1 :: v_dual_mov_b32 v3, v1
	v_dual_mov_b32 v4, v1 :: v_dual_mov_b32 v5, v1
	;; [unrolled: 1-line block ×3, first 2 shown]
	s_and_saveexec_b32 s1, s0
	s_cbranch_execz .LBB850_9
; %bb.8:
	v_add_co_u32 v2, s0, s6, v8
	s_wait_alu 0xf1ff
	v_add_co_ci_u32_e64 v3, null, s7, 0, s0
	v_dual_mov_b32 v12, v1 :: v_dual_mov_b32 v13, v1
	v_dual_mov_b32 v14, v1 :: v_dual_mov_b32 v15, v1
	flat_load_b32 v11, v[2:3]
	v_dual_mov_b32 v16, v1 :: v_dual_mov_b32 v17, v1
	s_wait_loadcnt_dscnt 0x0
	v_dual_mov_b32 v1, v11 :: v_dual_mov_b32 v2, v12
	v_dual_mov_b32 v3, v13 :: v_dual_mov_b32 v4, v14
	s_delay_alu instid0(VALU_DEP_3)
	v_dual_mov_b32 v5, v15 :: v_dual_mov_b32 v6, v16
	v_mov_b32_e32 v7, v17
.LBB850_9:
	s_wait_alu 0xfffe
	s_or_b32 exec_lo, exec_lo, s1
	v_add_nc_u32_e32 v11, 0x180, v0
	s_mov_b32 s0, exec_lo
	s_delay_alu instid0(VALU_DEP_1)
	v_cmpx_gt_u32_e64 s3, v11
	s_cbranch_execz .LBB850_11
; %bb.10:
	v_add_co_u32 v11, s1, s6, v8
	s_wait_alu 0xf1ff
	v_add_co_ci_u32_e64 v12, null, s7, 0, s1
	flat_load_b32 v2, v[11:12] offset:1536
.LBB850_11:
	s_wait_alu 0xfffe
	s_or_b32 exec_lo, exec_lo, s0
	v_add_nc_u32_e32 v11, 0x300, v0
	s_mov_b32 s0, exec_lo
	s_delay_alu instid0(VALU_DEP_1)
	v_cmpx_gt_u32_e64 s3, v11
	s_cbranch_execz .LBB850_13
; %bb.12:
	v_add_co_u32 v11, s1, s6, v8
	s_wait_alu 0xf1ff
	v_add_co_ci_u32_e64 v12, null, s7, 0, s1
	flat_load_b32 v3, v[11:12] offset:3072
.LBB850_13:
	;; [unrolled: 13-line block ×3, first 2 shown]
	s_wait_alu 0xfffe
	s_or_b32 exec_lo, exec_lo, s0
	v_or_b32_e32 v11, 0x600, v0
	s_mov_b32 s0, exec_lo
	s_delay_alu instid0(VALU_DEP_1)
	v_cmpx_gt_u32_e64 s3, v11
	s_cbranch_execz .LBB850_17
; %bb.16:
	v_add_co_u32 v11, s1, s6, v8
	s_wait_alu 0xf1ff
	v_add_co_ci_u32_e64 v12, null, s7, 0, s1
	flat_load_b32 v5, v[11:12] offset:6144
.LBB850_17:
	s_wait_alu 0xfffe
	s_or_b32 exec_lo, exec_lo, s0
	v_add_nc_u32_e32 v11, 0x780, v0
	s_mov_b32 s0, exec_lo
	s_delay_alu instid0(VALU_DEP_1)
	v_cmpx_gt_u32_e64 s3, v11
	s_cbranch_execz .LBB850_19
; %bb.18:
	v_add_co_u32 v11, s1, s6, v8
	s_wait_alu 0xf1ff
	v_add_co_ci_u32_e64 v12, null, s7, 0, s1
	flat_load_b32 v6, v[11:12] offset:7680
.LBB850_19:
	s_wait_alu 0xfffe
	s_or_b32 exec_lo, exec_lo, s0
	v_add_nc_u32_e32 v11, 0x900, v0
	s_mov_b32 s0, exec_lo
	s_delay_alu instid0(VALU_DEP_1)
	v_cmpx_gt_u32_e64 s3, v11
	s_cbranch_execz .LBB850_21
; %bb.20:
	v_add_co_u32 v11, s1, s6, v8
	s_wait_alu 0xf1ff
	v_add_co_ci_u32_e64 v12, null, s7, 0, s1
	flat_load_b32 v7, v[11:12] offset:9216
.LBB850_21:
	s_wait_alu 0xfffe
	s_or_b32 exec_lo, exec_lo, s0
	s_wait_loadcnt_dscnt 0x0
	ds_store_2addr_stride64_b32 v8, v1, v2 offset1:6
	ds_store_2addr_stride64_b32 v8, v3, v4 offset0:12 offset1:18
	ds_store_2addr_stride64_b32 v8, v5, v6 offset0:24 offset1:30
	ds_store_b32 v8, v7 offset:9216
	s_wait_dscnt 0x0
	s_barrier_signal -1
	s_barrier_wait -1
.LBB850_22:
	v_mul_u32_u24_e32 v1, 7, v0
	s_wait_loadcnt 0x0
	global_inv scope:SCOPE_SE
	s_add_nc_u64 s[0:1], s[16:17], s[10:11]
	s_and_b32 vcc_lo, exec_lo, s19
	s_wait_alu 0xfffe
	s_add_nc_u64 s[0:1], s[0:1], s[4:5]
	v_lshlrev_b32_e32 v1, 2, v1
	s_mov_b32 s4, -1
	ds_load_2addr_b32 v[15:16], v1 offset1:1
	ds_load_2addr_b32 v[13:14], v1 offset0:2 offset1:3
	ds_load_2addr_b32 v[11:12], v1 offset0:4 offset1:5
	ds_load_b32 v33, v1 offset:24
	s_wait_loadcnt_dscnt 0x0
	s_barrier_signal -1
	s_barrier_wait -1
	global_inv scope:SCOPE_SE
	s_cbranch_vccz .LBB850_24
; %bb.23:
	s_clause 0x6
	global_load_b32 v2, v8, s[0:1]
	global_load_b32 v3, v8, s[0:1] offset:1536
	global_load_b32 v4, v8, s[0:1] offset:3072
	;; [unrolled: 1-line block ×6, first 2 shown]
	s_mov_b32 s4, 0
	s_wait_loadcnt 0x6
	v_cmp_eq_f32_e32 vcc_lo, 0, v2
	v_cndmask_b32_e64 v2, 0, 1, vcc_lo
	s_wait_loadcnt 0x5
	v_cmp_eq_f32_e32 vcc_lo, 0, v3
	s_wait_alu 0xfffd
	v_cndmask_b32_e64 v3, 0, 1, vcc_lo
	s_wait_loadcnt 0x4
	v_cmp_eq_f32_e32 vcc_lo, 0, v4
	s_wait_alu 0xfffd
	;; [unrolled: 4-line block ×6, first 2 shown]
	v_cndmask_b32_e64 v17, 0, 1, vcc_lo
	ds_store_b8 v0, v2
	ds_store_b8 v0, v3 offset:384
	ds_store_b8 v0, v4 offset:768
	;; [unrolled: 1-line block ×6, first 2 shown]
	s_wait_dscnt 0x0
	s_barrier_signal -1
	s_barrier_wait -1
.LBB850_24:
	s_wait_alu 0xfffe
	s_and_not1_b32 vcc_lo, exec_lo, s4
	s_wait_alu 0xfffe
	s_cbranch_vccnz .LBB850_40
; %bb.25:
	v_mov_b32_e32 v2, 0
	s_mov_b32 s5, 0
	s_mov_b32 s4, exec_lo
	s_delay_alu instid0(VALU_DEP_1)
	v_dual_mov_b32 v4, v2 :: v_dual_mov_b32 v3, v2
	v_cmpx_gt_u32_e64 s3, v0
	s_cbranch_execz .LBB850_27
; %bb.26:
	global_load_b32 v2, v8, s[0:1]
	s_wait_loadcnt 0x0
	v_cmp_eq_f32_e32 vcc_lo, 0, v2
	s_wait_alu 0xfffd
	v_cndmask_b32_e64 v2, 0, 1, vcc_lo
	s_wait_alu 0xfffe
	s_delay_alu instid0(VALU_DEP_1)
	v_dual_mov_b32 v4, s5 :: v_dual_mov_b32 v3, v2
.LBB850_27:
	s_wait_alu 0xfffe
	s_or_b32 exec_lo, exec_lo, s4
	v_add_nc_u32_e32 v5, 0x180, v0
	s_mov_b32 s4, exec_lo
	s_delay_alu instid0(VALU_DEP_1)
	v_cmpx_gt_u32_e64 s3, v5
	s_cbranch_execz .LBB850_29
; %bb.28:
	global_load_b32 v5, v8, s[0:1] offset:1536
	v_lshrrev_b32_e32 v6, 8, v4
	v_and_b32_e32 v7, 0xff, v4
	v_and_b32_e32 v17, 0xff, v2
	v_bfe_u32 v4, v4, 16, 8
	s_delay_alu instid0(VALU_DEP_4) | instskip(NEXT) | instid1(VALU_DEP_1)
	v_lshlrev_b16 v6, 8, v6
	v_or_b32_e32 v6, v7, v6
	v_lshrrev_b32_e32 v7, 16, v2
	s_delay_alu instid0(VALU_DEP_2) | instskip(NEXT) | instid1(VALU_DEP_2)
	v_and_b32_e32 v6, 0xffff, v6
	v_perm_b32 v2, v7, v2, 0xc0c0304
	s_delay_alu instid0(VALU_DEP_2) | instskip(SKIP_4) | instid1(VALU_DEP_1)
	v_lshl_or_b32 v4, v4, 16, v6
	s_wait_loadcnt 0x0
	v_cmp_eq_f32_e32 vcc_lo, 0, v5
	s_wait_alu 0xfffd
	v_cndmask_b32_e64 v5, 0, 1, vcc_lo
	v_lshlrev_b16 v5, 8, v5
	s_delay_alu instid0(VALU_DEP_1) | instskip(NEXT) | instid1(VALU_DEP_1)
	v_or_b32_e32 v5, v17, v5
	v_and_b32_e32 v5, 0xffff, v5
	s_delay_alu instid0(VALU_DEP_1)
	v_lshl_or_b32 v2, v2, 16, v5
.LBB850_29:
	s_wait_alu 0xfffe
	s_or_b32 exec_lo, exec_lo, s4
	v_add_nc_u32_e32 v5, 0x300, v0
	s_mov_b32 s4, exec_lo
	s_delay_alu instid0(VALU_DEP_1)
	v_cmpx_gt_u32_e64 s3, v5
	s_cbranch_execz .LBB850_31
; %bb.30:
	global_load_b32 v5, v8, s[0:1] offset:3072
	v_lshrrev_b32_e32 v6, 8, v4
	v_lshrrev_b32_e32 v7, 24, v2
	v_and_b32_e32 v17, 0xff, v4
	v_bfe_u32 v4, v4, 16, 8
	v_perm_b32 v2, v2, v2, 0xc0c0104
	v_lshlrev_b16 v6, 8, v6
	v_lshlrev_b16 v7, 8, v7
	s_delay_alu instid0(VALU_DEP_2) | instskip(NEXT) | instid1(VALU_DEP_1)
	v_or_b32_e32 v6, v17, v6
	v_and_b32_e32 v6, 0xffff, v6
	s_delay_alu instid0(VALU_DEP_1) | instskip(SKIP_4) | instid1(VALU_DEP_1)
	v_lshl_or_b32 v4, v4, 16, v6
	s_wait_loadcnt 0x0
	v_cmp_eq_f32_e32 vcc_lo, 0, v5
	s_wait_alu 0xfffd
	v_cndmask_b32_e64 v5, 0, 1, vcc_lo
	v_or_b32_e32 v5, v5, v7
	s_delay_alu instid0(VALU_DEP_1) | instskip(NEXT) | instid1(VALU_DEP_1)
	v_lshlrev_b32_e32 v5, 16, v5
	v_or_b32_e32 v2, v2, v5
.LBB850_31:
	s_wait_alu 0xfffe
	s_or_b32 exec_lo, exec_lo, s4
	v_add_nc_u32_e32 v5, 0x480, v0
	s_mov_b32 s4, exec_lo
	s_delay_alu instid0(VALU_DEP_1)
	v_cmpx_gt_u32_e64 s3, v5
	s_cbranch_execz .LBB850_33
; %bb.32:
	global_load_b32 v5, v8, s[0:1] offset:4608
	v_lshrrev_b32_e32 v6, 8, v4
	v_lshrrev_b32_e32 v7, 16, v2
	v_and_b32_e32 v17, 0xff, v4
	v_bfe_u32 v4, v4, 16, 8
	v_perm_b32 v2, v2, v2, 0xc0c0104
	v_lshlrev_b16 v6, 8, v6
	v_and_b32_e32 v7, 0xff, v7
	s_delay_alu instid0(VALU_DEP_2) | instskip(NEXT) | instid1(VALU_DEP_1)
	v_or_b32_e32 v6, v17, v6
	v_and_b32_e32 v6, 0xffff, v6
	s_delay_alu instid0(VALU_DEP_1) | instskip(SKIP_4) | instid1(VALU_DEP_1)
	v_lshl_or_b32 v4, v4, 16, v6
	s_wait_loadcnt 0x0
	v_cmp_eq_f32_e32 vcc_lo, 0, v5
	s_wait_alu 0xfffd
	v_cndmask_b32_e64 v5, 0, 1, vcc_lo
	v_lshlrev_b16 v5, 8, v5
	s_delay_alu instid0(VALU_DEP_1) | instskip(NEXT) | instid1(VALU_DEP_1)
	v_or_b32_e32 v5, v7, v5
	v_lshlrev_b32_e32 v5, 16, v5
	s_delay_alu instid0(VALU_DEP_1)
	v_or_b32_e32 v2, v2, v5
.LBB850_33:
	s_wait_alu 0xfffe
	s_or_b32 exec_lo, exec_lo, s4
	v_or_b32_e32 v5, 0x600, v0
	s_mov_b32 s4, exec_lo
	s_delay_alu instid0(VALU_DEP_1)
	v_cmpx_gt_u32_e64 s3, v5
	s_cbranch_execz .LBB850_35
; %bb.34:
	global_load_b32 v5, v8, s[0:1] offset:6144
	v_lshrrev_b32_e32 v6, 8, v4
	v_bfe_u32 v4, v4, 16, 8
	v_perm_b32 v2, v2, v2, 0x3020104
	s_delay_alu instid0(VALU_DEP_3) | instskip(SKIP_4) | instid1(VALU_DEP_1)
	v_lshlrev_b16 v6, 8, v6
	s_wait_loadcnt 0x0
	v_cmp_eq_f32_e32 vcc_lo, 0, v5
	s_wait_alu 0xfffd
	v_cndmask_b32_e64 v5, 0, 1, vcc_lo
	v_or_b32_e32 v5, v5, v6
	s_delay_alu instid0(VALU_DEP_1) | instskip(NEXT) | instid1(VALU_DEP_1)
	v_and_b32_e32 v5, 0xffff, v5
	v_lshl_or_b32 v4, v4, 16, v5
.LBB850_35:
	s_wait_alu 0xfffe
	s_or_b32 exec_lo, exec_lo, s4
	v_add_nc_u32_e32 v5, 0x780, v0
	s_mov_b32 s4, exec_lo
	s_delay_alu instid0(VALU_DEP_1)
	v_cmpx_gt_u32_e64 s3, v5
	s_cbranch_execz .LBB850_37
; %bb.36:
	global_load_b32 v5, v8, s[0:1] offset:7680
	v_and_b32_e32 v6, 0xff, v4
	v_bfe_u32 v4, v4, 16, 8
	v_perm_b32 v2, v2, v2, 0x3020104
	s_wait_loadcnt 0x0
	v_cmp_eq_f32_e32 vcc_lo, 0, v5
	s_wait_alu 0xfffd
	v_cndmask_b32_e64 v5, 0, 1, vcc_lo
	s_delay_alu instid0(VALU_DEP_1) | instskip(NEXT) | instid1(VALU_DEP_1)
	v_lshlrev_b16 v5, 8, v5
	v_or_b32_e32 v5, v6, v5
	s_delay_alu instid0(VALU_DEP_1) | instskip(NEXT) | instid1(VALU_DEP_1)
	v_and_b32_e32 v5, 0xffff, v5
	v_lshl_or_b32 v4, v4, 16, v5
.LBB850_37:
	s_wait_alu 0xfffe
	s_or_b32 exec_lo, exec_lo, s4
	v_add_nc_u32_e32 v5, 0x900, v0
	s_delay_alu instid0(VALU_DEP_1)
	v_cmp_gt_u32_e32 vcc_lo, s3, v5
	s_and_saveexec_b32 s3, vcc_lo
	s_cbranch_execz .LBB850_39
; %bb.38:
	global_load_b32 v5, v8, s[0:1] offset:9216
	v_lshrrev_b32_e32 v6, 8, v4
	v_and_b32_e32 v4, 0xff, v4
	v_perm_b32 v2, v2, v2, 0x3020104
	s_delay_alu instid0(VALU_DEP_3) | instskip(NEXT) | instid1(VALU_DEP_1)
	v_lshlrev_b16 v6, 8, v6
	v_or_b32_e32 v4, v4, v6
	s_delay_alu instid0(VALU_DEP_1) | instskip(SKIP_4) | instid1(VALU_DEP_1)
	v_and_b32_e32 v4, 0xffff, v4
	s_wait_loadcnt 0x0
	v_cmp_eq_f32_e32 vcc_lo, 0, v5
	s_wait_alu 0xfffd
	v_cndmask_b32_e64 v5, 0, 1, vcc_lo
	v_lshl_or_b32 v4, v5, 16, v4
.LBB850_39:
	s_wait_alu 0xfffe
	s_or_b32 exec_lo, exec_lo, s3
	v_lshrrev_b32_e32 v5, 8, v2
	v_lshrrev_b32_e32 v6, 24, v2
	;; [unrolled: 1-line block ×3, first 2 shown]
	ds_store_b8 v0, v3
	ds_store_b8 v0, v5 offset:384
	ds_store_b8_d16_hi v0, v2 offset:768
	ds_store_b8 v0, v6 offset:1152
	ds_store_b8 v0, v4 offset:1536
	;; [unrolled: 1-line block ×3, first 2 shown]
	ds_store_b8_d16_hi v0, v4 offset:2304
	s_wait_loadcnt_dscnt 0x0
	s_barrier_signal -1
	s_barrier_wait -1
.LBB850_40:
	v_mad_i32_i24 v32, 0xffffffeb, v0, v1
	s_wait_loadcnt 0x0
	global_inv scope:SCOPE_SE
	v_mbcnt_lo_u32_b32 v31, -1, 0
	s_cmp_lg_u32 s20, 0
	s_mov_b32 s1, -1
	ds_load_u8 v1, v32
	ds_load_u8 v2, v32 offset:1
	ds_load_u8 v3, v32 offset:2
	;; [unrolled: 1-line block ×6, first 2 shown]
	s_wait_loadcnt_dscnt 0x0
	v_and_b32_e32 v41, 15, v31
	s_barrier_signal -1
	s_barrier_wait -1
	global_inv scope:SCOPE_SE
	v_and_b32_e32 v40, 1, v1
	v_dual_mov_b32 v2, 0 :: v_dual_and_b32 v39, 1, v2
	v_and_b32_e32 v37, 1, v3
	v_and_b32_e32 v36, 1, v4
	;; [unrolled: 1-line block ×5, first 2 shown]
	v_add3_u32 v1, v39, v40, v37
	s_delay_alu instid0(VALU_DEP_1) | instskip(SKIP_3) | instid1(VALU_DEP_3)
	v_add_co_u32 v1, s0, v1, v36
	s_wait_alu 0xf1ff
	v_add_co_ci_u32_e64 v3, null, 0, 0, s0
	v_cmp_ne_u32_e64 s0, 0, v41
	v_add_co_u32 v1, vcc_lo, v1, v38
	s_wait_alu 0xfffd
	s_delay_alu instid0(VALU_DEP_3) | instskip(NEXT) | instid1(VALU_DEP_2)
	v_add_co_ci_u32_e64 v3, null, 0, v3, vcc_lo
	v_add_co_u32 v1, vcc_lo, v1, v35
	s_wait_alu 0xfffd
	s_delay_alu instid0(VALU_DEP_2) | instskip(NEXT) | instid1(VALU_DEP_2)
	v_add_co_ci_u32_e64 v3, null, 0, v3, vcc_lo
	v_add_co_u32 v17, vcc_lo, v1, v34
	s_wait_alu 0xfffd
	s_delay_alu instid0(VALU_DEP_2)
	v_add_co_ci_u32_e64 v18, null, 0, v3, vcc_lo
	s_cbranch_scc0 .LBB850_99
; %bb.41:
	v_mov_b32_e32 v3, v17
	v_mov_b32_dpp v1, v17 row_shr:1 row_mask:0xf bank_mask:0xf
	v_mov_b32_dpp v6, v2 row_shr:1 row_mask:0xf bank_mask:0xf
	v_dual_mov_b32 v5, v17 :: v_dual_mov_b32 v4, v18
	s_and_saveexec_b32 s1, s0
; %bb.42:
	s_delay_alu instid0(VALU_DEP_3) | instskip(SKIP_2) | instid1(VALU_DEP_2)
	v_add_co_u32 v5, vcc_lo, v17, v1
	s_wait_alu 0xfffd
	v_add_co_ci_u32_e64 v2, null, 0, v18, vcc_lo
	v_add_co_u32 v1, vcc_lo, 0, v5
	s_wait_alu 0xfffd
	s_delay_alu instid0(VALU_DEP_2) | instskip(NEXT) | instid1(VALU_DEP_1)
	v_add_co_ci_u32_e64 v2, null, v6, v2, vcc_lo
	v_dual_mov_b32 v4, v2 :: v_dual_mov_b32 v3, v1
; %bb.43:
	s_wait_alu 0xfffe
	s_or_b32 exec_lo, exec_lo, s1
	v_mov_b32_dpp v1, v5 row_shr:2 row_mask:0xf bank_mask:0xf
	v_mov_b32_dpp v6, v2 row_shr:2 row_mask:0xf bank_mask:0xf
	v_cmp_lt_u32_e32 vcc_lo, 1, v41
	s_and_saveexec_b32 s3, vcc_lo
; %bb.44:
	s_delay_alu instid0(VALU_DEP_3) | instskip(SKIP_2) | instid1(VALU_DEP_2)
	v_add_co_u32 v5, s1, v3, v1
	s_wait_alu 0xf1ff
	v_add_co_ci_u32_e64 v2, null, 0, v4, s1
	v_add_co_u32 v1, s1, 0, v5
	s_wait_alu 0xf1ff
	s_delay_alu instid0(VALU_DEP_2) | instskip(NEXT) | instid1(VALU_DEP_1)
	v_add_co_ci_u32_e64 v2, null, v6, v2, s1
	v_dual_mov_b32 v4, v2 :: v_dual_mov_b32 v3, v1
; %bb.45:
	s_wait_alu 0xfffe
	s_or_b32 exec_lo, exec_lo, s3
	v_mov_b32_dpp v1, v5 row_shr:4 row_mask:0xf bank_mask:0xf
	v_mov_b32_dpp v6, v2 row_shr:4 row_mask:0xf bank_mask:0xf
	v_cmp_lt_u32_e64 s1, 3, v41
	s_and_saveexec_b32 s4, s1
; %bb.46:
	v_add_co_u32 v5, s3, v3, v1
	s_wait_alu 0xf1ff
	v_add_co_ci_u32_e64 v2, null, 0, v4, s3
	s_delay_alu instid0(VALU_DEP_2) | instskip(SKIP_1) | instid1(VALU_DEP_2)
	v_add_co_u32 v1, s3, 0, v5
	s_wait_alu 0xf1ff
	v_add_co_ci_u32_e64 v2, null, v6, v2, s3
	s_delay_alu instid0(VALU_DEP_1)
	v_dual_mov_b32 v4, v2 :: v_dual_mov_b32 v3, v1
; %bb.47:
	s_wait_alu 0xfffe
	s_or_b32 exec_lo, exec_lo, s4
	v_mov_b32_dpp v6, v5 row_shr:8 row_mask:0xf bank_mask:0xf
	v_mov_b32_dpp v1, v2 row_shr:8 row_mask:0xf bank_mask:0xf
	v_cmp_lt_u32_e64 s3, 7, v41
	s_and_saveexec_b32 s5, s3
; %bb.48:
	v_add_co_u32 v5, s4, v3, v6
	s_wait_alu 0xf1ff
	v_add_co_ci_u32_e64 v2, null, 0, v4, s4
	s_delay_alu instid0(VALU_DEP_2) | instskip(SKIP_1) | instid1(VALU_DEP_2)
	v_add_co_u32 v3, s4, 0, v5
	s_wait_alu 0xf1ff
	v_add_co_ci_u32_e64 v4, null, v1, v2, s4
	s_delay_alu instid0(VALU_DEP_1)
	v_mov_b32_e32 v2, v4
; %bb.49:
	s_wait_alu 0xfffe
	s_or_b32 exec_lo, exec_lo, s5
	ds_swizzle_b32 v1, v5 offset:swizzle(BROADCAST,32,15)
	ds_swizzle_b32 v6, v2 offset:swizzle(BROADCAST,32,15)
	v_and_b32_e32 v7, 16, v31
	s_mov_b32 s5, exec_lo
	s_delay_alu instid0(VALU_DEP_1)
	v_cmpx_ne_u32_e32 0, v7
	s_cbranch_execz .LBB850_51
; %bb.50:
	s_wait_dscnt 0x1
	v_add_co_u32 v5, s4, v3, v1
	s_wait_alu 0xf1ff
	v_add_co_ci_u32_e64 v2, null, 0, v4, s4
	s_delay_alu instid0(VALU_DEP_2) | instskip(SKIP_2) | instid1(VALU_DEP_2)
	v_add_co_u32 v1, s4, 0, v5
	s_wait_dscnt 0x0
	s_wait_alu 0xf1ff
	v_add_co_ci_u32_e64 v2, null, v6, v2, s4
	s_delay_alu instid0(VALU_DEP_1)
	v_dual_mov_b32 v4, v2 :: v_dual_mov_b32 v3, v1
.LBB850_51:
	s_wait_alu 0xfffe
	s_or_b32 exec_lo, exec_lo, s5
	s_wait_dscnt 0x1
	v_and_b32_e32 v1, 0x1e0, v0
	s_mov_b32 s5, exec_lo
	s_delay_alu instid0(VALU_DEP_1) | instskip(SKIP_1) | instid1(VALU_DEP_1)
	v_min_u32_e32 v1, 0x160, v1
	s_wait_dscnt 0x0
	v_or_b32_e32 v6, 31, v1
	v_lshrrev_b32_e32 v1, 5, v0
	s_delay_alu instid0(VALU_DEP_2)
	v_cmpx_eq_u32_e64 v0, v6
; %bb.52:
	s_delay_alu instid0(VALU_DEP_2)
	v_lshlrev_b32_e32 v6, 3, v1
	ds_store_b64 v6, v[3:4]
; %bb.53:
	s_wait_alu 0xfffe
	s_or_b32 exec_lo, exec_lo, s5
	s_delay_alu instid0(SALU_CYCLE_1)
	s_mov_b32 s5, exec_lo
	s_wait_loadcnt_dscnt 0x0
	s_barrier_signal -1
	s_barrier_wait -1
	global_inv scope:SCOPE_SE
	v_cmpx_gt_u32_e32 12, v0
	s_cbranch_execz .LBB850_63
; %bb.54:
	v_lshlrev_b32_e32 v6, 3, v0
	ds_load_b64 v[3:4], v6
	s_wait_dscnt 0x0
	v_mov_b32_dpp v19, v3 row_shr:1 row_mask:0xf bank_mask:0xf
	v_mov_b32_dpp v8, v4 row_shr:1 row_mask:0xf bank_mask:0xf
	v_mov_b32_e32 v7, v3
	s_and_saveexec_b32 s6, s0
; %bb.55:
	s_delay_alu instid0(VALU_DEP_3) | instskip(SKIP_2) | instid1(VALU_DEP_2)
	v_add_co_u32 v7, s4, v3, v19
	s_wait_alu 0xf1ff
	v_add_co_ci_u32_e64 v4, null, 0, v4, s4
	v_add_co_u32 v3, s4, 0, v7
	s_wait_alu 0xf1ff
	s_delay_alu instid0(VALU_DEP_2)
	v_add_co_ci_u32_e64 v4, null, v8, v4, s4
; %bb.56:
	s_wait_alu 0xfffe
	s_or_b32 exec_lo, exec_lo, s6
	v_mov_b32_dpp v19, v7 row_shr:2 row_mask:0xf bank_mask:0xf
	s_delay_alu instid0(VALU_DEP_2)
	v_mov_b32_dpp v8, v4 row_shr:2 row_mask:0xf bank_mask:0xf
	s_and_saveexec_b32 s4, vcc_lo
; %bb.57:
	s_delay_alu instid0(VALU_DEP_2) | instskip(SKIP_2) | instid1(VALU_DEP_2)
	v_add_co_u32 v7, vcc_lo, v3, v19
	s_wait_alu 0xfffd
	v_add_co_ci_u32_e64 v4, null, 0, v4, vcc_lo
	v_add_co_u32 v3, vcc_lo, 0, v7
	s_wait_alu 0xfffd
	s_delay_alu instid0(VALU_DEP_2)
	v_add_co_ci_u32_e64 v4, null, v8, v4, vcc_lo
; %bb.58:
	s_wait_alu 0xfffe
	s_or_b32 exec_lo, exec_lo, s4
	v_mov_b32_dpp v19, v7 row_shr:4 row_mask:0xf bank_mask:0xf
	s_delay_alu instid0(VALU_DEP_2)
	v_mov_b32_dpp v8, v4 row_shr:4 row_mask:0xf bank_mask:0xf
	s_and_saveexec_b32 s4, s1
; %bb.59:
	s_delay_alu instid0(VALU_DEP_2) | instskip(SKIP_2) | instid1(VALU_DEP_2)
	v_add_co_u32 v7, vcc_lo, v3, v19
	s_wait_alu 0xfffd
	v_add_co_ci_u32_e64 v4, null, 0, v4, vcc_lo
	v_add_co_u32 v3, vcc_lo, 0, v7
	s_wait_alu 0xfffd
	s_delay_alu instid0(VALU_DEP_2)
	v_add_co_ci_u32_e64 v4, null, v8, v4, vcc_lo
; %bb.60:
	s_wait_alu 0xfffe
	s_or_b32 exec_lo, exec_lo, s4
	v_mov_b32_dpp v8, v7 row_shr:8 row_mask:0xf bank_mask:0xf
	s_delay_alu instid0(VALU_DEP_2)
	v_mov_b32_dpp v7, v4 row_shr:8 row_mask:0xf bank_mask:0xf
	s_and_saveexec_b32 s1, s3
; %bb.61:
	s_delay_alu instid0(VALU_DEP_2) | instskip(SKIP_2) | instid1(VALU_DEP_2)
	v_add_co_u32 v3, vcc_lo, v3, v8
	s_wait_alu 0xfffd
	v_add_co_ci_u32_e64 v4, null, 0, v4, vcc_lo
	v_add_co_u32 v3, vcc_lo, v3, 0
	s_wait_alu 0xfffd
	s_delay_alu instid0(VALU_DEP_2)
	v_add_co_ci_u32_e64 v4, null, v4, v7, vcc_lo
; %bb.62:
	s_wait_alu 0xfffe
	s_or_b32 exec_lo, exec_lo, s1
	ds_store_b64 v6, v[3:4]
.LBB850_63:
	s_wait_alu 0xfffe
	s_or_b32 exec_lo, exec_lo, s5
	s_delay_alu instid0(SALU_CYCLE_1)
	s_mov_b32 s3, exec_lo
	v_cmp_gt_u32_e32 vcc_lo, 32, v0
	s_wait_loadcnt_dscnt 0x0
	s_barrier_signal -1
	s_barrier_wait -1
	global_inv scope:SCOPE_SE
                                        ; implicit-def: $vgpr19_vgpr20
	v_cmpx_lt_u32_e32 31, v0
	s_cbranch_execz .LBB850_65
; %bb.64:
	v_lshl_add_u32 v1, v1, 3, -8
	ds_load_b64 v[19:20], v1
	s_wait_dscnt 0x0
	v_add_co_u32 v5, s1, v5, v19
	s_wait_alu 0xf1ff
	v_add_co_ci_u32_e64 v2, null, v2, v20, s1
.LBB850_65:
	s_wait_alu 0xfffe
	s_or_b32 exec_lo, exec_lo, s3
	v_sub_co_u32 v1, s1, v31, 1
	s_delay_alu instid0(VALU_DEP_1) | instskip(SKIP_1) | instid1(VALU_DEP_1)
	v_cmp_gt_i32_e64 s3, 0, v1
	s_wait_alu 0xf1ff
	v_cndmask_b32_e64 v1, v1, v31, s3
	s_delay_alu instid0(VALU_DEP_1)
	v_lshlrev_b32_e32 v1, 2, v1
	ds_bpermute_b32 v25, v1, v5
	ds_bpermute_b32 v26, v1, v2
	s_and_saveexec_b32 s3, vcc_lo
	s_cbranch_execz .LBB850_104
; %bb.66:
	v_mov_b32_e32 v4, 0
	ds_load_b64 v[1:2], v4 offset:88
	s_and_saveexec_b32 s4, s1
	s_cbranch_execz .LBB850_68
; %bb.67:
	s_add_co_i32 s6, s20, 32
	s_mov_b32 s7, 0
	s_wait_alu 0xfffe
	s_lshl_b64 s[6:7], s[6:7], 4
	s_wait_alu 0xfffe
	s_add_nc_u64 s[6:7], s[14:15], s[6:7]
	v_mov_b32_e32 v3, 1
	s_wait_alu 0xfffe
	v_dual_mov_b32 v5, s6 :: v_dual_mov_b32 v6, s7
	s_wait_dscnt 0x0
	;;#ASMSTART
	global_store_b128 v[5:6], v[1:4] off scope:SCOPE_DEV	
s_wait_storecnt 0x0
	;;#ASMEND
.LBB850_68:
	s_wait_alu 0xfffe
	s_or_b32 exec_lo, exec_lo, s4
	v_xad_u32 v21, v31, -1, s20
	s_mov_b32 s5, 0
	s_mov_b32 s4, exec_lo
	s_delay_alu instid0(VALU_DEP_1) | instskip(NEXT) | instid1(VALU_DEP_1)
	v_add_nc_u32_e32 v3, 32, v21
	v_lshlrev_b64_e32 v[3:4], 4, v[3:4]
	s_delay_alu instid0(VALU_DEP_1) | instskip(SKIP_1) | instid1(VALU_DEP_2)
	v_add_co_u32 v3, vcc_lo, s14, v3
	s_wait_alu 0xfffd
	v_add_co_ci_u32_e64 v4, null, s15, v4, vcc_lo
	;;#ASMSTART
	global_load_b128 v[5:8], v[3:4] off scope:SCOPE_DEV	
s_wait_loadcnt 0x0
	;;#ASMEND
	v_and_b32_e32 v8, 0xff, v7
	s_delay_alu instid0(VALU_DEP_1)
	v_cmpx_eq_u16_e32 0, v8
	s_cbranch_execz .LBB850_71
.LBB850_69:                             ; =>This Inner Loop Header: Depth=1
	;;#ASMSTART
	global_load_b128 v[5:8], v[3:4] off scope:SCOPE_DEV	
s_wait_loadcnt 0x0
	;;#ASMEND
	v_and_b32_e32 v8, 0xff, v7
	s_delay_alu instid0(VALU_DEP_1)
	v_cmp_ne_u16_e32 vcc_lo, 0, v8
	s_wait_alu 0xfffe
	s_or_b32 s5, vcc_lo, s5
	s_wait_alu 0xfffe
	s_and_not1_b32 exec_lo, exec_lo, s5
	s_cbranch_execnz .LBB850_69
; %bb.70:
	s_or_b32 exec_lo, exec_lo, s5
.LBB850_71:
	s_wait_alu 0xfffe
	s_or_b32 exec_lo, exec_lo, s4
	v_cmp_ne_u32_e32 vcc_lo, 31, v31
	v_and_b32_e32 v4, 0xff, v7
	v_lshlrev_b32_e64 v28, v31, -1
	s_mov_b32 s4, exec_lo
	s_wait_alu 0xfffd
	v_add_co_ci_u32_e64 v3, null, 0, v31, vcc_lo
	v_cmp_eq_u16_e32 vcc_lo, 2, v4
	s_delay_alu instid0(VALU_DEP_2)
	v_dual_mov_b32 v4, v5 :: v_dual_lshlrev_b32 v27, 2, v3
	s_wait_alu 0xfffd
	v_and_or_b32 v3, vcc_lo, v28, 0x80000000
	ds_bpermute_b32 v22, v27, v5
	ds_bpermute_b32 v8, v27, v6
	v_ctz_i32_b32_e32 v3, v3
	s_delay_alu instid0(VALU_DEP_1)
	v_cmpx_lt_u32_e64 v31, v3
	s_cbranch_execz .LBB850_73
; %bb.72:
	s_wait_dscnt 0x1
	v_add_co_u32 v4, vcc_lo, v5, v22
	s_wait_alu 0xfffd
	v_add_co_ci_u32_e64 v6, null, 0, v6, vcc_lo
	s_delay_alu instid0(VALU_DEP_2) | instskip(SKIP_2) | instid1(VALU_DEP_2)
	v_add_co_u32 v5, vcc_lo, 0, v4
	s_wait_dscnt 0x0
	s_wait_alu 0xfffd
	v_add_co_ci_u32_e64 v6, null, v8, v6, vcc_lo
.LBB850_73:
	s_wait_alu 0xfffe
	s_or_b32 exec_lo, exec_lo, s4
	v_cmp_gt_u32_e32 vcc_lo, 30, v31
	v_add_nc_u32_e32 v30, 2, v31
	s_mov_b32 s4, exec_lo
	s_wait_dscnt 0x0
	s_wait_alu 0xfffd
	v_cndmask_b32_e64 v8, 0, 2, vcc_lo
	s_delay_alu instid0(VALU_DEP_1)
	v_add_lshl_u32 v29, v8, v31, 2
	ds_bpermute_b32 v22, v29, v4
	ds_bpermute_b32 v8, v29, v6
	v_cmpx_le_u32_e64 v30, v3
	s_cbranch_execz .LBB850_75
; %bb.74:
	s_wait_dscnt 0x1
	v_add_co_u32 v4, vcc_lo, v5, v22
	s_wait_alu 0xfffd
	v_add_co_ci_u32_e64 v6, null, 0, v6, vcc_lo
	s_delay_alu instid0(VALU_DEP_2) | instskip(SKIP_2) | instid1(VALU_DEP_2)
	v_add_co_u32 v5, vcc_lo, 0, v4
	s_wait_dscnt 0x0
	s_wait_alu 0xfffd
	v_add_co_ci_u32_e64 v6, null, v8, v6, vcc_lo
.LBB850_75:
	s_wait_alu 0xfffe
	s_or_b32 exec_lo, exec_lo, s4
	v_cmp_gt_u32_e32 vcc_lo, 28, v31
	v_add_nc_u32_e32 v43, 4, v31
	s_mov_b32 s4, exec_lo
	s_wait_dscnt 0x0
	s_wait_alu 0xfffd
	v_cndmask_b32_e64 v8, 0, 4, vcc_lo
	s_delay_alu instid0(VALU_DEP_1)
	v_add_lshl_u32 v42, v8, v31, 2
	ds_bpermute_b32 v22, v42, v4
	ds_bpermute_b32 v8, v42, v6
	v_cmpx_le_u32_e64 v43, v3
	;; [unrolled: 25-line block ×3, first 2 shown]
	s_cbranch_execz .LBB850_79
; %bb.78:
	s_wait_dscnt 0x1
	v_add_co_u32 v4, vcc_lo, v5, v22
	s_wait_alu 0xfffd
	v_add_co_ci_u32_e64 v6, null, 0, v6, vcc_lo
	s_delay_alu instid0(VALU_DEP_2) | instskip(SKIP_2) | instid1(VALU_DEP_2)
	v_add_co_u32 v5, vcc_lo, 0, v4
	s_wait_dscnt 0x0
	s_wait_alu 0xfffd
	v_add_co_ci_u32_e64 v6, null, v8, v6, vcc_lo
.LBB850_79:
	s_wait_alu 0xfffe
	s_or_b32 exec_lo, exec_lo, s4
	v_lshl_or_b32 v46, v31, 2, 64
	v_add_nc_u32_e32 v47, 16, v31
	s_mov_b32 s4, exec_lo
	s_wait_dscnt 0x0
	ds_bpermute_b32 v8, v46, v4
	ds_bpermute_b32 v4, v46, v6
	v_cmpx_le_u32_e64 v47, v3
	s_cbranch_execz .LBB850_81
; %bb.80:
	s_wait_dscnt 0x1
	v_add_co_u32 v3, vcc_lo, v5, v8
	s_wait_alu 0xfffd
	v_add_co_ci_u32_e64 v6, null, 0, v6, vcc_lo
	s_delay_alu instid0(VALU_DEP_2) | instskip(SKIP_2) | instid1(VALU_DEP_2)
	v_add_co_u32 v5, vcc_lo, v3, 0
	s_wait_dscnt 0x0
	s_wait_alu 0xfffd
	v_add_co_ci_u32_e64 v6, null, v6, v4, vcc_lo
.LBB850_81:
	s_wait_alu 0xfffe
	s_or_b32 exec_lo, exec_lo, s4
	v_mov_b32_e32 v22, 0
	s_branch .LBB850_84
.LBB850_82:                             ;   in Loop: Header=BB850_84 Depth=1
	s_wait_alu 0xfffe
	s_or_b32 exec_lo, exec_lo, s4
	v_add_co_u32 v5, vcc_lo, v5, v3
	v_subrev_nc_u32_e32 v21, 32, v21
	s_wait_alu 0xfffd
	v_add_co_ci_u32_e64 v6, null, v6, v4, vcc_lo
	s_mov_b32 s4, 0
.LBB850_83:                             ;   in Loop: Header=BB850_84 Depth=1
	s_wait_alu 0xfffe
	s_and_b32 vcc_lo, exec_lo, s4
	s_wait_alu 0xfffe
	s_cbranch_vccnz .LBB850_100
.LBB850_84:                             ; =>This Loop Header: Depth=1
                                        ;     Child Loop BB850_87 Depth 2
	v_and_b32_e32 v3, 0xff, v7
	s_mov_b32 s4, -1
	s_delay_alu instid0(VALU_DEP_1)
	v_cmp_ne_u16_e32 vcc_lo, 2, v3
	s_wait_dscnt 0x0
	v_dual_mov_b32 v3, v5 :: v_dual_mov_b32 v4, v6
                                        ; implicit-def: $vgpr5_vgpr6
	s_cmp_lg_u32 vcc_lo, exec_lo
	s_cbranch_scc1 .LBB850_83
; %bb.85:                               ;   in Loop: Header=BB850_84 Depth=1
	v_lshlrev_b64_e32 v[5:6], 4, v[21:22]
	s_mov_b32 s4, exec_lo
	s_delay_alu instid0(VALU_DEP_1) | instskip(SKIP_1) | instid1(VALU_DEP_2)
	v_add_co_u32 v23, vcc_lo, s14, v5
	s_wait_alu 0xfffd
	v_add_co_ci_u32_e64 v24, null, s15, v6, vcc_lo
	;;#ASMSTART
	global_load_b128 v[5:8], v[23:24] off scope:SCOPE_DEV	
s_wait_loadcnt 0x0
	;;#ASMEND
	v_and_b32_e32 v8, 0xff, v7
	s_delay_alu instid0(VALU_DEP_1)
	v_cmpx_eq_u16_e32 0, v8
	s_cbranch_execz .LBB850_89
; %bb.86:                               ;   in Loop: Header=BB850_84 Depth=1
	s_mov_b32 s5, 0
.LBB850_87:                             ;   Parent Loop BB850_84 Depth=1
                                        ; =>  This Inner Loop Header: Depth=2
	;;#ASMSTART
	global_load_b128 v[5:8], v[23:24] off scope:SCOPE_DEV	
s_wait_loadcnt 0x0
	;;#ASMEND
	v_and_b32_e32 v8, 0xff, v7
	s_delay_alu instid0(VALU_DEP_1)
	v_cmp_ne_u16_e32 vcc_lo, 0, v8
	s_wait_alu 0xfffe
	s_or_b32 s5, vcc_lo, s5
	s_wait_alu 0xfffe
	s_and_not1_b32 exec_lo, exec_lo, s5
	s_cbranch_execnz .LBB850_87
; %bb.88:                               ;   in Loop: Header=BB850_84 Depth=1
	s_or_b32 exec_lo, exec_lo, s5
.LBB850_89:                             ;   in Loop: Header=BB850_84 Depth=1
	s_wait_alu 0xfffe
	s_or_b32 exec_lo, exec_lo, s4
	v_dual_mov_b32 v23, v5 :: v_dual_and_b32 v8, 0xff, v7
	ds_bpermute_b32 v48, v27, v5
	ds_bpermute_b32 v24, v27, v6
	s_mov_b32 s4, exec_lo
	v_cmp_eq_u16_e32 vcc_lo, 2, v8
	s_wait_alu 0xfffd
	v_and_or_b32 v8, vcc_lo, v28, 0x80000000
	s_delay_alu instid0(VALU_DEP_1) | instskip(NEXT) | instid1(VALU_DEP_1)
	v_ctz_i32_b32_e32 v8, v8
	v_cmpx_lt_u32_e64 v31, v8
	s_cbranch_execz .LBB850_91
; %bb.90:                               ;   in Loop: Header=BB850_84 Depth=1
	s_wait_dscnt 0x1
	v_add_co_u32 v23, vcc_lo, v5, v48
	s_wait_alu 0xfffd
	v_add_co_ci_u32_e64 v6, null, 0, v6, vcc_lo
	s_delay_alu instid0(VALU_DEP_2) | instskip(SKIP_2) | instid1(VALU_DEP_2)
	v_add_co_u32 v5, vcc_lo, 0, v23
	s_wait_dscnt 0x0
	s_wait_alu 0xfffd
	v_add_co_ci_u32_e64 v6, null, v24, v6, vcc_lo
.LBB850_91:                             ;   in Loop: Header=BB850_84 Depth=1
	s_wait_alu 0xfffe
	s_or_b32 exec_lo, exec_lo, s4
	s_wait_dscnt 0x1
	ds_bpermute_b32 v48, v29, v23
	s_wait_dscnt 0x1
	ds_bpermute_b32 v24, v29, v6
	s_mov_b32 s4, exec_lo
	v_cmpx_le_u32_e64 v30, v8
	s_cbranch_execz .LBB850_93
; %bb.92:                               ;   in Loop: Header=BB850_84 Depth=1
	s_wait_dscnt 0x1
	v_add_co_u32 v23, vcc_lo, v5, v48
	s_wait_alu 0xfffd
	v_add_co_ci_u32_e64 v6, null, 0, v6, vcc_lo
	s_delay_alu instid0(VALU_DEP_2) | instskip(SKIP_2) | instid1(VALU_DEP_2)
	v_add_co_u32 v5, vcc_lo, 0, v23
	s_wait_dscnt 0x0
	s_wait_alu 0xfffd
	v_add_co_ci_u32_e64 v6, null, v24, v6, vcc_lo
.LBB850_93:                             ;   in Loop: Header=BB850_84 Depth=1
	s_wait_alu 0xfffe
	s_or_b32 exec_lo, exec_lo, s4
	s_wait_dscnt 0x1
	ds_bpermute_b32 v48, v42, v23
	s_wait_dscnt 0x1
	ds_bpermute_b32 v24, v42, v6
	s_mov_b32 s4, exec_lo
	v_cmpx_le_u32_e64 v43, v8
	;; [unrolled: 20-line block ×3, first 2 shown]
	s_cbranch_execz .LBB850_97
; %bb.96:                               ;   in Loop: Header=BB850_84 Depth=1
	s_wait_dscnt 0x1
	v_add_co_u32 v23, vcc_lo, v5, v48
	s_wait_alu 0xfffd
	v_add_co_ci_u32_e64 v6, null, 0, v6, vcc_lo
	s_delay_alu instid0(VALU_DEP_2) | instskip(SKIP_2) | instid1(VALU_DEP_2)
	v_add_co_u32 v5, vcc_lo, 0, v23
	s_wait_dscnt 0x0
	s_wait_alu 0xfffd
	v_add_co_ci_u32_e64 v6, null, v24, v6, vcc_lo
.LBB850_97:                             ;   in Loop: Header=BB850_84 Depth=1
	s_wait_alu 0xfffe
	s_or_b32 exec_lo, exec_lo, s4
	s_wait_dscnt 0x0
	ds_bpermute_b32 v24, v46, v23
	ds_bpermute_b32 v23, v46, v6
	s_mov_b32 s4, exec_lo
	v_cmpx_le_u32_e64 v47, v8
	s_cbranch_execz .LBB850_82
; %bb.98:                               ;   in Loop: Header=BB850_84 Depth=1
	s_wait_dscnt 0x1
	v_add_co_u32 v5, vcc_lo, v5, v24
	s_wait_alu 0xfffd
	v_add_co_ci_u32_e64 v6, null, 0, v6, vcc_lo
	s_delay_alu instid0(VALU_DEP_2) | instskip(SKIP_2) | instid1(VALU_DEP_2)
	v_add_co_u32 v5, vcc_lo, v5, 0
	s_wait_dscnt 0x0
	s_wait_alu 0xfffd
	v_add_co_ci_u32_e64 v6, null, v6, v23, vcc_lo
	s_branch .LBB850_82
.LBB850_99:
                                        ; implicit-def: $vgpr19_vgpr20
                                        ; implicit-def: $vgpr6_vgpr7
                                        ; implicit-def: $vgpr21_vgpr22
                                        ; implicit-def: $vgpr23_vgpr24
                                        ; implicit-def: $vgpr25_vgpr26
                                        ; implicit-def: $vgpr27_vgpr28
                                        ; implicit-def: $vgpr29_vgpr30
                                        ; implicit-def: $vgpr4_vgpr5
	s_wait_alu 0xfffe
	s_and_b32 vcc_lo, exec_lo, s1
	s_wait_alu 0xfffe
	s_cbranch_vccnz .LBB850_105
	s_branch .LBB850_132
.LBB850_100:
	s_and_saveexec_b32 s4, s1
	s_cbranch_execz .LBB850_102
; %bb.101:
	s_add_co_i32 s6, s20, 32
	s_mov_b32 s7, 0
	v_add_co_u32 v5, vcc_lo, v3, v1
	s_wait_alu 0xfffe
	s_lshl_b64 s[6:7], s[6:7], 4
	v_dual_mov_b32 v7, 2 :: v_dual_mov_b32 v8, 0
	s_wait_alu 0xfffe
	s_add_nc_u64 s[6:7], s[14:15], s[6:7]
	s_wait_alu 0xfffd
	v_add_co_ci_u32_e64 v6, null, v4, v2, vcc_lo
	s_wait_alu 0xfffe
	v_dual_mov_b32 v22, s7 :: v_dual_mov_b32 v21, s6
	;;#ASMSTART
	global_store_b128 v[21:22], v[5:8] off scope:SCOPE_DEV	
s_wait_storecnt 0x0
	;;#ASMEND
	ds_store_b128 v8, v[1:4] offset:10752
.LBB850_102:
	s_wait_alu 0xfffe
	s_or_b32 exec_lo, exec_lo, s4
	s_delay_alu instid0(SALU_CYCLE_1)
	s_and_b32 exec_lo, exec_lo, s2
; %bb.103:
	v_mov_b32_e32 v1, 0
	ds_store_b64 v1, v[3:4] offset:88
.LBB850_104:
	s_wait_alu 0xfffe
	s_or_b32 exec_lo, exec_lo, s3
	v_mov_b32_e32 v3, 0
	s_wait_loadcnt_dscnt 0x0
	s_barrier_signal -1
	s_barrier_wait -1
	global_inv scope:SCOPE_SE
	ds_load_b64 v[1:2], v3 offset:88
	v_cndmask_b32_e64 v4, v25, v19, s1
	v_cndmask_b32_e64 v5, v26, v20, s1
	s_wait_loadcnt_dscnt 0x0
	s_barrier_signal -1
	s_barrier_wait -1
	v_cndmask_b32_e64 v4, v4, 0, s2
	v_cndmask_b32_e64 v5, v5, 0, s2
	global_inv scope:SCOPE_SE
	v_add_co_u32 v29, vcc_lo, v1, v4
	s_wait_alu 0xfffd
	v_add_co_ci_u32_e64 v30, null, v2, v5, vcc_lo
	ds_load_b128 v[2:5], v3 offset:10752
	v_add_co_u32 v27, vcc_lo, v29, v40
	s_wait_alu 0xfffd
	v_add_co_ci_u32_e64 v28, null, 0, v30, vcc_lo
	s_delay_alu instid0(VALU_DEP_2) | instskip(SKIP_1) | instid1(VALU_DEP_2)
	v_add_co_u32 v25, vcc_lo, v27, v39
	s_wait_alu 0xfffd
	v_add_co_ci_u32_e64 v26, null, 0, v28, vcc_lo
	s_delay_alu instid0(VALU_DEP_2) | instskip(SKIP_1) | instid1(VALU_DEP_2)
	;; [unrolled: 4-line block ×5, first 2 shown]
	v_add_co_u32 v19, vcc_lo, v6, v35
	s_wait_alu 0xfffd
	v_add_co_ci_u32_e64 v20, null, 0, v7, vcc_lo
	s_branch .LBB850_132
.LBB850_105:
	s_wait_dscnt 0x0
	v_dual_mov_b32 v2, 0 :: v_dual_mov_b32 v3, v17
	v_mov_b32_dpp v4, v17 row_shr:1 row_mask:0xf bank_mask:0xf
	s_delay_alu instid0(VALU_DEP_2)
	v_mov_b32_dpp v1, v2 row_shr:1 row_mask:0xf bank_mask:0xf
	s_and_saveexec_b32 s1, s0
; %bb.106:
	s_delay_alu instid0(VALU_DEP_2) | instskip(SKIP_2) | instid1(VALU_DEP_2)
	v_add_co_u32 v3, vcc_lo, v17, v4
	s_wait_alu 0xfffd
	v_add_co_ci_u32_e64 v2, null, 0, v18, vcc_lo
	v_add_co_u32 v17, vcc_lo, 0, v3
	s_wait_alu 0xfffd
	s_delay_alu instid0(VALU_DEP_2) | instskip(NEXT) | instid1(VALU_DEP_1)
	v_add_co_ci_u32_e64 v18, null, v1, v2, vcc_lo
	v_mov_b32_e32 v2, v18
; %bb.107:
	s_wait_alu 0xfffe
	s_or_b32 exec_lo, exec_lo, s1
	v_mov_b32_dpp v1, v3 row_shr:2 row_mask:0xf bank_mask:0xf
	s_delay_alu instid0(VALU_DEP_2)
	v_mov_b32_dpp v4, v2 row_shr:2 row_mask:0xf bank_mask:0xf
	v_cmp_lt_u32_e32 vcc_lo, 1, v41
	s_and_saveexec_b32 s3, vcc_lo
; %bb.108:
	s_delay_alu instid0(VALU_DEP_3) | instskip(SKIP_2) | instid1(VALU_DEP_2)
	v_add_co_u32 v3, s1, v17, v1
	s_wait_alu 0xf1ff
	v_add_co_ci_u32_e64 v2, null, 0, v18, s1
	v_add_co_u32 v1, s1, 0, v3
	s_wait_alu 0xf1ff
	s_delay_alu instid0(VALU_DEP_2) | instskip(NEXT) | instid1(VALU_DEP_1)
	v_add_co_ci_u32_e64 v2, null, v4, v2, s1
	v_dual_mov_b32 v18, v2 :: v_dual_mov_b32 v17, v1
; %bb.109:
	s_wait_alu 0xfffe
	s_or_b32 exec_lo, exec_lo, s3
	v_mov_b32_dpp v1, v3 row_shr:4 row_mask:0xf bank_mask:0xf
	v_mov_b32_dpp v4, v2 row_shr:4 row_mask:0xf bank_mask:0xf
	v_cmp_lt_u32_e64 s1, 3, v41
	s_and_saveexec_b32 s4, s1
; %bb.110:
	v_add_co_u32 v3, s3, v17, v1
	s_wait_alu 0xf1ff
	v_add_co_ci_u32_e64 v2, null, 0, v18, s3
	s_delay_alu instid0(VALU_DEP_2) | instskip(SKIP_1) | instid1(VALU_DEP_2)
	v_add_co_u32 v1, s3, 0, v3
	s_wait_alu 0xf1ff
	v_add_co_ci_u32_e64 v2, null, v4, v2, s3
	s_delay_alu instid0(VALU_DEP_1)
	v_dual_mov_b32 v18, v2 :: v_dual_mov_b32 v17, v1
; %bb.111:
	s_wait_alu 0xfffe
	s_or_b32 exec_lo, exec_lo, s4
	v_mov_b32_dpp v4, v3 row_shr:8 row_mask:0xf bank_mask:0xf
	v_mov_b32_dpp v1, v2 row_shr:8 row_mask:0xf bank_mask:0xf
	v_cmp_lt_u32_e64 s3, 7, v41
	s_and_saveexec_b32 s5, s3
; %bb.112:
	v_add_co_u32 v3, s4, v17, v4
	s_wait_alu 0xf1ff
	v_add_co_ci_u32_e64 v2, null, 0, v18, s4
	s_delay_alu instid0(VALU_DEP_2) | instskip(SKIP_1) | instid1(VALU_DEP_2)
	v_add_co_u32 v17, s4, 0, v3
	s_wait_alu 0xf1ff
	v_add_co_ci_u32_e64 v18, null, v1, v2, s4
	s_delay_alu instid0(VALU_DEP_1)
	v_mov_b32_e32 v2, v18
; %bb.113:
	s_wait_alu 0xfffe
	s_or_b32 exec_lo, exec_lo, s5
	ds_swizzle_b32 v3, v3 offset:swizzle(BROADCAST,32,15)
	ds_swizzle_b32 v1, v2 offset:swizzle(BROADCAST,32,15)
	v_and_b32_e32 v2, 16, v31
	s_mov_b32 s5, exec_lo
	s_delay_alu instid0(VALU_DEP_1)
	v_cmpx_ne_u32_e32 0, v2
	s_cbranch_execz .LBB850_115
; %bb.114:
	s_wait_dscnt 0x1
	v_add_co_u32 v2, s4, v17, v3
	s_wait_alu 0xf1ff
	v_add_co_ci_u32_e64 v3, null, 0, v18, s4
	s_delay_alu instid0(VALU_DEP_2) | instskip(SKIP_2) | instid1(VALU_DEP_2)
	v_add_co_u32 v17, s4, v2, 0
	s_wait_dscnt 0x0
	s_wait_alu 0xf1ff
	v_add_co_ci_u32_e64 v18, null, v3, v1, s4
.LBB850_115:
	s_wait_alu 0xfffe
	s_or_b32 exec_lo, exec_lo, s5
	s_wait_dscnt 0x0
	v_and_b32_e32 v1, 0x1e0, v0
	v_lshrrev_b32_e32 v3, 5, v0
	s_mov_b32 s5, exec_lo
	s_delay_alu instid0(VALU_DEP_2) | instskip(NEXT) | instid1(VALU_DEP_1)
	v_min_u32_e32 v1, 0x160, v1
	v_or_b32_e32 v1, 31, v1
	s_delay_alu instid0(VALU_DEP_1)
	v_cmpx_eq_u32_e64 v0, v1
; %bb.116:
	v_lshlrev_b32_e32 v1, 3, v3
	ds_store_b64 v1, v[17:18]
; %bb.117:
	s_wait_alu 0xfffe
	s_or_b32 exec_lo, exec_lo, s5
	s_delay_alu instid0(SALU_CYCLE_1)
	s_mov_b32 s5, exec_lo
	s_wait_loadcnt_dscnt 0x0
	s_barrier_signal -1
	s_barrier_wait -1
	global_inv scope:SCOPE_SE
	v_cmpx_gt_u32_e32 12, v0
	s_cbranch_execz .LBB850_127
; %bb.118:
	v_add_nc_u32_e32 v4, v32, v0
	ds_load_b64 v[1:2], v4
	s_wait_dscnt 0x0
	v_mov_b32_dpp v7, v1 row_shr:1 row_mask:0xf bank_mask:0xf
	v_mov_b32_dpp v6, v2 row_shr:1 row_mask:0xf bank_mask:0xf
	v_mov_b32_e32 v5, v1
	s_and_saveexec_b32 s4, s0
; %bb.119:
	s_delay_alu instid0(VALU_DEP_3) | instskip(SKIP_2) | instid1(VALU_DEP_2)
	v_add_co_u32 v5, s0, v1, v7
	s_wait_alu 0xf1ff
	v_add_co_ci_u32_e64 v2, null, 0, v2, s0
	v_add_co_u32 v1, s0, 0, v5
	s_wait_alu 0xf1ff
	s_delay_alu instid0(VALU_DEP_2)
	v_add_co_ci_u32_e64 v2, null, v6, v2, s0
; %bb.120:
	s_wait_alu 0xfffe
	s_or_b32 exec_lo, exec_lo, s4
	v_mov_b32_dpp v7, v5 row_shr:2 row_mask:0xf bank_mask:0xf
	s_delay_alu instid0(VALU_DEP_2)
	v_mov_b32_dpp v6, v2 row_shr:2 row_mask:0xf bank_mask:0xf
	s_and_saveexec_b32 s0, vcc_lo
; %bb.121:
	s_delay_alu instid0(VALU_DEP_2) | instskip(SKIP_2) | instid1(VALU_DEP_2)
	v_add_co_u32 v5, vcc_lo, v1, v7
	s_wait_alu 0xfffd
	v_add_co_ci_u32_e64 v2, null, 0, v2, vcc_lo
	v_add_co_u32 v1, vcc_lo, 0, v5
	s_wait_alu 0xfffd
	s_delay_alu instid0(VALU_DEP_2)
	v_add_co_ci_u32_e64 v2, null, v6, v2, vcc_lo
; %bb.122:
	s_wait_alu 0xfffe
	s_or_b32 exec_lo, exec_lo, s0
	v_mov_b32_dpp v7, v5 row_shr:4 row_mask:0xf bank_mask:0xf
	s_delay_alu instid0(VALU_DEP_2)
	v_mov_b32_dpp v6, v2 row_shr:4 row_mask:0xf bank_mask:0xf
	s_and_saveexec_b32 s0, s1
; %bb.123:
	s_delay_alu instid0(VALU_DEP_2) | instskip(SKIP_2) | instid1(VALU_DEP_2)
	v_add_co_u32 v5, vcc_lo, v1, v7
	s_wait_alu 0xfffd
	v_add_co_ci_u32_e64 v2, null, 0, v2, vcc_lo
	v_add_co_u32 v1, vcc_lo, 0, v5
	s_wait_alu 0xfffd
	s_delay_alu instid0(VALU_DEP_2)
	v_add_co_ci_u32_e64 v2, null, v6, v2, vcc_lo
; %bb.124:
	s_wait_alu 0xfffe
	s_or_b32 exec_lo, exec_lo, s0
	v_mov_b32_dpp v6, v5 row_shr:8 row_mask:0xf bank_mask:0xf
	s_delay_alu instid0(VALU_DEP_2)
	v_mov_b32_dpp v5, v2 row_shr:8 row_mask:0xf bank_mask:0xf
	s_and_saveexec_b32 s0, s3
; %bb.125:
	s_delay_alu instid0(VALU_DEP_2) | instskip(SKIP_2) | instid1(VALU_DEP_2)
	v_add_co_u32 v1, vcc_lo, v1, v6
	s_wait_alu 0xfffd
	v_add_co_ci_u32_e64 v2, null, 0, v2, vcc_lo
	v_add_co_u32 v1, vcc_lo, v1, 0
	s_wait_alu 0xfffd
	s_delay_alu instid0(VALU_DEP_2)
	v_add_co_ci_u32_e64 v2, null, v2, v5, vcc_lo
; %bb.126:
	s_wait_alu 0xfffe
	s_or_b32 exec_lo, exec_lo, s0
	ds_store_b64 v4, v[1:2]
.LBB850_127:
	s_wait_alu 0xfffe
	s_or_b32 exec_lo, exec_lo, s5
	v_mov_b32_e32 v6, 0
	v_mov_b32_e32 v7, 0
	s_mov_b32 s0, exec_lo
	s_wait_loadcnt_dscnt 0x0
	s_barrier_signal -1
	s_barrier_wait -1
	global_inv scope:SCOPE_SE
	v_cmpx_lt_u32_e32 31, v0
; %bb.128:
	v_lshl_add_u32 v1, v3, 3, -8
	ds_load_b64 v[6:7], v1
; %bb.129:
	s_wait_alu 0xfffe
	s_or_b32 exec_lo, exec_lo, s0
	v_sub_co_u32 v1, vcc_lo, v31, 1
	v_mov_b32_e32 v5, 0
	s_delay_alu instid0(VALU_DEP_2) | instskip(SKIP_1) | instid1(VALU_DEP_1)
	v_cmp_gt_i32_e64 s0, 0, v1
	s_wait_alu 0xf1ff
	v_cndmask_b32_e64 v1, v1, v31, s0
	s_delay_alu instid0(VALU_DEP_1)
	v_lshlrev_b32_e32 v2, 2, v1
	s_wait_dscnt 0x0
	v_add_co_u32 v1, s0, v6, v17
	s_wait_alu 0xf1ff
	v_add_co_ci_u32_e64 v3, null, v7, v18, s0
	ds_bpermute_b32 v1, v2, v1
	ds_bpermute_b32 v8, v2, v3
	ds_load_b64 v[2:3], v5 offset:88
	s_and_saveexec_b32 s0, s2
	s_cbranch_execz .LBB850_131
; %bb.130:
	s_add_nc_u64 s[4:5], s[14:15], 0x200
	v_mov_b32_e32 v4, 2
	s_wait_alu 0xfffe
	v_dual_mov_b32 v18, s5 :: v_dual_mov_b32 v17, s4
	s_wait_dscnt 0x0
	;;#ASMSTART
	global_store_b128 v[17:18], v[2:5] off scope:SCOPE_DEV	
s_wait_storecnt 0x0
	;;#ASMEND
.LBB850_131:
	s_wait_alu 0xfffe
	s_or_b32 exec_lo, exec_lo, s0
	s_wait_dscnt 0x1
	s_wait_alu 0xfffd
	v_dual_cndmask_b32 v1, v1, v6 :: v_dual_cndmask_b32 v4, v8, v7
	s_wait_loadcnt_dscnt 0x0
	s_barrier_signal -1
	s_barrier_wait -1
	s_delay_alu instid0(VALU_DEP_1)
	v_cndmask_b32_e64 v29, v1, 0, s2
	v_cndmask_b32_e64 v30, v4, 0, s2
	v_mov_b32_e32 v4, 0
	v_mov_b32_e32 v5, 0
	global_inv scope:SCOPE_SE
	v_add_co_u32 v27, vcc_lo, v29, v40
	s_wait_alu 0xfffd
	v_add_co_ci_u32_e64 v28, null, 0, v30, vcc_lo
	s_delay_alu instid0(VALU_DEP_2) | instskip(SKIP_1) | instid1(VALU_DEP_2)
	v_add_co_u32 v25, vcc_lo, v27, v39
	s_wait_alu 0xfffd
	v_add_co_ci_u32_e64 v26, null, 0, v28, vcc_lo
	s_delay_alu instid0(VALU_DEP_2) | instskip(SKIP_1) | instid1(VALU_DEP_2)
	;; [unrolled: 4-line block ×5, first 2 shown]
	v_add_co_u32 v19, vcc_lo, v6, v35
	s_wait_alu 0xfffd
	v_add_co_ci_u32_e64 v20, null, 0, v7, vcc_lo
.LBB850_132:
	s_wait_dscnt 0x0
	v_cmp_gt_u64_e32 vcc_lo, 0x181, v[2:3]
	v_lshlrev_b64_e32 v[17:18], 2, v[9:10]
	v_cmp_eq_u32_e64 s0, 1, v40
	s_mov_b32 s1, -1
	s_cbranch_vccnz .LBB850_136
; %bb.133:
	s_wait_alu 0xfffe
	s_and_b32 vcc_lo, exec_lo, s1
	s_wait_alu 0xfffe
	s_cbranch_vccnz .LBB850_151
.LBB850_134:
	s_and_b32 s0, s2, s18
	s_wait_alu 0xfffe
	s_and_saveexec_b32 s1, s0
	s_cbranch_execnz .LBB850_168
.LBB850_135:
	s_endpgm
.LBB850_136:
	v_add_co_u32 v31, vcc_lo, v4, v2
	s_wait_alu 0xfffd
	v_add_co_ci_u32_e64 v32, null, v5, v3, vcc_lo
	v_add_co_u32 v1, s1, s12, v17
	s_wait_alu 0xf1fe
	v_add_co_ci_u32_e64 v8, null, s13, v18, s1
	s_delay_alu instid0(VALU_DEP_3)
	v_cmp_lt_u64_e32 vcc_lo, v[29:30], v[31:32]
	s_or_b32 s1, s19, vcc_lo
	s_wait_alu 0xfffe
	s_and_b32 s1, s1, s0
	s_wait_alu 0xfffe
	s_and_saveexec_b32 s0, s1
	s_cbranch_execz .LBB850_138
; %bb.137:
	v_lshlrev_b64_e32 v[41:42], 2, v[29:30]
	s_delay_alu instid0(VALU_DEP_1) | instskip(SKIP_1) | instid1(VALU_DEP_2)
	v_add_co_u32 v41, vcc_lo, v1, v41
	s_wait_alu 0xfffd
	v_add_co_ci_u32_e64 v42, null, v8, v42, vcc_lo
	global_store_b32 v[41:42], v15, off
.LBB850_138:
	s_wait_alu 0xfffe
	s_or_b32 exec_lo, exec_lo, s0
	v_cmp_lt_u64_e32 vcc_lo, v[27:28], v[31:32]
	v_cmp_eq_u32_e64 s0, 1, v39
	s_or_b32 s1, s19, vcc_lo
	s_wait_alu 0xfffe
	s_and_b32 s1, s1, s0
	s_wait_alu 0xfffe
	s_and_saveexec_b32 s0, s1
	s_cbranch_execz .LBB850_140
; %bb.139:
	v_lshlrev_b64_e32 v[41:42], 2, v[27:28]
	s_delay_alu instid0(VALU_DEP_1) | instskip(SKIP_1) | instid1(VALU_DEP_2)
	v_add_co_u32 v41, vcc_lo, v1, v41
	s_wait_alu 0xfffd
	v_add_co_ci_u32_e64 v42, null, v8, v42, vcc_lo
	global_store_b32 v[41:42], v16, off
.LBB850_140:
	s_wait_alu 0xfffe
	s_or_b32 exec_lo, exec_lo, s0
	v_cmp_lt_u64_e32 vcc_lo, v[25:26], v[31:32]
	v_cmp_eq_u32_e64 s0, 1, v37
	;; [unrolled: 18-line block ×6, first 2 shown]
	s_or_b32 s1, s19, vcc_lo
	s_wait_alu 0xfffe
	s_and_b32 s1, s1, s0
	s_wait_alu 0xfffe
	s_and_saveexec_b32 s0, s1
	s_cbranch_execz .LBB850_150
; %bb.149:
	v_lshlrev_b64_e32 v[30:31], 2, v[19:20]
	s_delay_alu instid0(VALU_DEP_1) | instskip(SKIP_1) | instid1(VALU_DEP_2)
	v_add_co_u32 v7, vcc_lo, v1, v30
	s_wait_alu 0xfffd
	v_add_co_ci_u32_e64 v8, null, v8, v31, vcc_lo
	global_store_b32 v[7:8], v33, off
.LBB850_150:
	s_wait_alu 0xfffe
	s_or_b32 exec_lo, exec_lo, s0
	s_branch .LBB850_134
.LBB850_151:
	s_mov_b32 s0, exec_lo
	v_cmpx_eq_u32_e32 1, v40
; %bb.152:
	v_sub_nc_u32_e32 v1, v29, v4
	s_delay_alu instid0(VALU_DEP_1)
	v_lshlrev_b32_e32 v1, 2, v1
	ds_store_b32 v1, v15
; %bb.153:
	s_wait_alu 0xfffe
	s_or_b32 exec_lo, exec_lo, s0
	s_delay_alu instid0(SALU_CYCLE_1)
	s_mov_b32 s0, exec_lo
	v_cmpx_eq_u32_e32 1, v39
; %bb.154:
	v_sub_nc_u32_e32 v1, v27, v4
	s_delay_alu instid0(VALU_DEP_1)
	v_lshlrev_b32_e32 v1, 2, v1
	ds_store_b32 v1, v16
; %bb.155:
	s_wait_alu 0xfffe
	s_or_b32 exec_lo, exec_lo, s0
	s_delay_alu instid0(SALU_CYCLE_1)
	;; [unrolled: 11-line block ×6, first 2 shown]
	s_mov_b32 s0, exec_lo
	v_cmpx_eq_u32_e32 1, v34
; %bb.164:
	v_sub_nc_u32_e32 v1, v19, v4
	s_delay_alu instid0(VALU_DEP_1)
	v_lshlrev_b32_e32 v1, 2, v1
	ds_store_b32 v1, v33
; %bb.165:
	s_wait_alu 0xfffe
	s_or_b32 exec_lo, exec_lo, s0
	v_lshlrev_b64_e32 v[6:7], 2, v[4:5]
	v_mov_b32_e32 v1, 0
	s_mov_b32 s1, 0
	s_wait_storecnt 0x0
	s_wait_loadcnt_dscnt 0x0
	s_barrier_signal -1
	s_barrier_wait -1
	v_add_co_u32 v8, vcc_lo, s12, v6
	s_wait_alu 0xfffd
	v_add_co_ci_u32_e64 v11, null, s13, v7, vcc_lo
	v_dual_mov_b32 v7, v1 :: v_dual_mov_b32 v6, v0
	s_delay_alu instid0(VALU_DEP_3) | instskip(SKIP_1) | instid1(VALU_DEP_3)
	v_add_co_u32 v8, vcc_lo, v8, v17
	s_wait_alu 0xfffd
	v_add_co_ci_u32_e64 v11, null, v11, v18, vcc_lo
	v_add_nc_u32_e32 v0, 0x180, v0
	global_inv scope:SCOPE_SE
.LBB850_166:                            ; =>This Inner Loop Header: Depth=1
	v_lshlrev_b32_e32 v12, 2, v6
	v_cmp_le_u64_e32 vcc_lo, v[2:3], v[0:1]
	ds_load_b32 v14, v12
	v_lshlrev_b64_e32 v[12:13], 2, v[6:7]
	v_dual_mov_b32 v7, v1 :: v_dual_mov_b32 v6, v0
	v_add_nc_u32_e32 v0, 0x180, v0
	s_wait_alu 0xfffe
	s_or_b32 s1, vcc_lo, s1
	s_delay_alu instid0(VALU_DEP_3)
	v_add_co_u32 v12, s0, v8, v12
	s_wait_alu 0xf1ff
	v_add_co_ci_u32_e64 v13, null, v11, v13, s0
	s_wait_dscnt 0x0
	global_store_b32 v[12:13], v14, off
	s_wait_alu 0xfffe
	s_and_not1_b32 exec_lo, exec_lo, s1
	s_cbranch_execnz .LBB850_166
; %bb.167:
	s_or_b32 exec_lo, exec_lo, s1
	s_and_b32 s0, s2, s18
	s_wait_alu 0xfffe
	s_and_saveexec_b32 s1, s0
	s_cbranch_execz .LBB850_135
.LBB850_168:
	v_add_co_u32 v0, vcc_lo, v4, v2
	s_wait_alu 0xfffd
	v_add_co_ci_u32_e64 v1, null, v5, v3, vcc_lo
	v_mov_b32_e32 v2, 0
	s_delay_alu instid0(VALU_DEP_3) | instskip(SKIP_1) | instid1(VALU_DEP_3)
	v_add_co_u32 v0, vcc_lo, v0, v9
	s_wait_alu 0xfffd
	v_add_co_ci_u32_e64 v1, null, v1, v10, vcc_lo
	global_store_b64 v2, v[0:1], s[8:9]
	s_endpgm
	.section	.rodata,"a",@progbits
	.p2align	6, 0x0
	.amdhsa_kernel _ZN7rocprim17ROCPRIM_400000_NS6detail17trampoline_kernelINS0_14default_configENS1_25partition_config_selectorILNS1_17partition_subalgoE5EfNS0_10empty_typeEbEEZZNS1_14partition_implILS5_5ELb0ES3_mN6thrust23THRUST_200600_302600_NS6detail15normal_iteratorINSA_10device_ptrIfEEEEPS6_NSA_18transform_iteratorINSB_9not_fun_tINSA_8identityIfEEEESF_NSA_11use_defaultESM_EENS0_5tupleIJSF_S6_EEENSO_IJSG_SG_EEES6_PlJS6_EEE10hipError_tPvRmT3_T4_T5_T6_T7_T9_mT8_P12ihipStream_tbDpT10_ENKUlT_T0_E_clISt17integral_constantIbLb0EES1A_IbLb1EEEEDaS16_S17_EUlS16_E_NS1_11comp_targetILNS1_3genE10ELNS1_11target_archE1200ELNS1_3gpuE4ELNS1_3repE0EEENS1_30default_config_static_selectorELNS0_4arch9wavefront6targetE0EEEvT1_
		.amdhsa_group_segment_fixed_size 10768
		.amdhsa_private_segment_fixed_size 0
		.amdhsa_kernarg_size 136
		.amdhsa_user_sgpr_count 2
		.amdhsa_user_sgpr_dispatch_ptr 0
		.amdhsa_user_sgpr_queue_ptr 0
		.amdhsa_user_sgpr_kernarg_segment_ptr 1
		.amdhsa_user_sgpr_dispatch_id 0
		.amdhsa_user_sgpr_private_segment_size 0
		.amdhsa_wavefront_size32 1
		.amdhsa_uses_dynamic_stack 0
		.amdhsa_enable_private_segment 0
		.amdhsa_system_sgpr_workgroup_id_x 1
		.amdhsa_system_sgpr_workgroup_id_y 0
		.amdhsa_system_sgpr_workgroup_id_z 0
		.amdhsa_system_sgpr_workgroup_info 0
		.amdhsa_system_vgpr_workitem_id 0
		.amdhsa_next_free_vgpr 49
		.amdhsa_next_free_sgpr 24
		.amdhsa_reserve_vcc 1
		.amdhsa_float_round_mode_32 0
		.amdhsa_float_round_mode_16_64 0
		.amdhsa_float_denorm_mode_32 3
		.amdhsa_float_denorm_mode_16_64 3
		.amdhsa_fp16_overflow 0
		.amdhsa_workgroup_processor_mode 1
		.amdhsa_memory_ordered 1
		.amdhsa_forward_progress 1
		.amdhsa_inst_pref_size 68
		.amdhsa_round_robin_scheduling 0
		.amdhsa_exception_fp_ieee_invalid_op 0
		.amdhsa_exception_fp_denorm_src 0
		.amdhsa_exception_fp_ieee_div_zero 0
		.amdhsa_exception_fp_ieee_overflow 0
		.amdhsa_exception_fp_ieee_underflow 0
		.amdhsa_exception_fp_ieee_inexact 0
		.amdhsa_exception_int_div_zero 0
	.end_amdhsa_kernel
	.section	.text._ZN7rocprim17ROCPRIM_400000_NS6detail17trampoline_kernelINS0_14default_configENS1_25partition_config_selectorILNS1_17partition_subalgoE5EfNS0_10empty_typeEbEEZZNS1_14partition_implILS5_5ELb0ES3_mN6thrust23THRUST_200600_302600_NS6detail15normal_iteratorINSA_10device_ptrIfEEEEPS6_NSA_18transform_iteratorINSB_9not_fun_tINSA_8identityIfEEEESF_NSA_11use_defaultESM_EENS0_5tupleIJSF_S6_EEENSO_IJSG_SG_EEES6_PlJS6_EEE10hipError_tPvRmT3_T4_T5_T6_T7_T9_mT8_P12ihipStream_tbDpT10_ENKUlT_T0_E_clISt17integral_constantIbLb0EES1A_IbLb1EEEEDaS16_S17_EUlS16_E_NS1_11comp_targetILNS1_3genE10ELNS1_11target_archE1200ELNS1_3gpuE4ELNS1_3repE0EEENS1_30default_config_static_selectorELNS0_4arch9wavefront6targetE0EEEvT1_,"axG",@progbits,_ZN7rocprim17ROCPRIM_400000_NS6detail17trampoline_kernelINS0_14default_configENS1_25partition_config_selectorILNS1_17partition_subalgoE5EfNS0_10empty_typeEbEEZZNS1_14partition_implILS5_5ELb0ES3_mN6thrust23THRUST_200600_302600_NS6detail15normal_iteratorINSA_10device_ptrIfEEEEPS6_NSA_18transform_iteratorINSB_9not_fun_tINSA_8identityIfEEEESF_NSA_11use_defaultESM_EENS0_5tupleIJSF_S6_EEENSO_IJSG_SG_EEES6_PlJS6_EEE10hipError_tPvRmT3_T4_T5_T6_T7_T9_mT8_P12ihipStream_tbDpT10_ENKUlT_T0_E_clISt17integral_constantIbLb0EES1A_IbLb1EEEEDaS16_S17_EUlS16_E_NS1_11comp_targetILNS1_3genE10ELNS1_11target_archE1200ELNS1_3gpuE4ELNS1_3repE0EEENS1_30default_config_static_selectorELNS0_4arch9wavefront6targetE0EEEvT1_,comdat
.Lfunc_end850:
	.size	_ZN7rocprim17ROCPRIM_400000_NS6detail17trampoline_kernelINS0_14default_configENS1_25partition_config_selectorILNS1_17partition_subalgoE5EfNS0_10empty_typeEbEEZZNS1_14partition_implILS5_5ELb0ES3_mN6thrust23THRUST_200600_302600_NS6detail15normal_iteratorINSA_10device_ptrIfEEEEPS6_NSA_18transform_iteratorINSB_9not_fun_tINSA_8identityIfEEEESF_NSA_11use_defaultESM_EENS0_5tupleIJSF_S6_EEENSO_IJSG_SG_EEES6_PlJS6_EEE10hipError_tPvRmT3_T4_T5_T6_T7_T9_mT8_P12ihipStream_tbDpT10_ENKUlT_T0_E_clISt17integral_constantIbLb0EES1A_IbLb1EEEEDaS16_S17_EUlS16_E_NS1_11comp_targetILNS1_3genE10ELNS1_11target_archE1200ELNS1_3gpuE4ELNS1_3repE0EEENS1_30default_config_static_selectorELNS0_4arch9wavefront6targetE0EEEvT1_, .Lfunc_end850-_ZN7rocprim17ROCPRIM_400000_NS6detail17trampoline_kernelINS0_14default_configENS1_25partition_config_selectorILNS1_17partition_subalgoE5EfNS0_10empty_typeEbEEZZNS1_14partition_implILS5_5ELb0ES3_mN6thrust23THRUST_200600_302600_NS6detail15normal_iteratorINSA_10device_ptrIfEEEEPS6_NSA_18transform_iteratorINSB_9not_fun_tINSA_8identityIfEEEESF_NSA_11use_defaultESM_EENS0_5tupleIJSF_S6_EEENSO_IJSG_SG_EEES6_PlJS6_EEE10hipError_tPvRmT3_T4_T5_T6_T7_T9_mT8_P12ihipStream_tbDpT10_ENKUlT_T0_E_clISt17integral_constantIbLb0EES1A_IbLb1EEEEDaS16_S17_EUlS16_E_NS1_11comp_targetILNS1_3genE10ELNS1_11target_archE1200ELNS1_3gpuE4ELNS1_3repE0EEENS1_30default_config_static_selectorELNS0_4arch9wavefront6targetE0EEEvT1_
                                        ; -- End function
	.set _ZN7rocprim17ROCPRIM_400000_NS6detail17trampoline_kernelINS0_14default_configENS1_25partition_config_selectorILNS1_17partition_subalgoE5EfNS0_10empty_typeEbEEZZNS1_14partition_implILS5_5ELb0ES3_mN6thrust23THRUST_200600_302600_NS6detail15normal_iteratorINSA_10device_ptrIfEEEEPS6_NSA_18transform_iteratorINSB_9not_fun_tINSA_8identityIfEEEESF_NSA_11use_defaultESM_EENS0_5tupleIJSF_S6_EEENSO_IJSG_SG_EEES6_PlJS6_EEE10hipError_tPvRmT3_T4_T5_T6_T7_T9_mT8_P12ihipStream_tbDpT10_ENKUlT_T0_E_clISt17integral_constantIbLb0EES1A_IbLb1EEEEDaS16_S17_EUlS16_E_NS1_11comp_targetILNS1_3genE10ELNS1_11target_archE1200ELNS1_3gpuE4ELNS1_3repE0EEENS1_30default_config_static_selectorELNS0_4arch9wavefront6targetE0EEEvT1_.num_vgpr, 49
	.set _ZN7rocprim17ROCPRIM_400000_NS6detail17trampoline_kernelINS0_14default_configENS1_25partition_config_selectorILNS1_17partition_subalgoE5EfNS0_10empty_typeEbEEZZNS1_14partition_implILS5_5ELb0ES3_mN6thrust23THRUST_200600_302600_NS6detail15normal_iteratorINSA_10device_ptrIfEEEEPS6_NSA_18transform_iteratorINSB_9not_fun_tINSA_8identityIfEEEESF_NSA_11use_defaultESM_EENS0_5tupleIJSF_S6_EEENSO_IJSG_SG_EEES6_PlJS6_EEE10hipError_tPvRmT3_T4_T5_T6_T7_T9_mT8_P12ihipStream_tbDpT10_ENKUlT_T0_E_clISt17integral_constantIbLb0EES1A_IbLb1EEEEDaS16_S17_EUlS16_E_NS1_11comp_targetILNS1_3genE10ELNS1_11target_archE1200ELNS1_3gpuE4ELNS1_3repE0EEENS1_30default_config_static_selectorELNS0_4arch9wavefront6targetE0EEEvT1_.num_agpr, 0
	.set _ZN7rocprim17ROCPRIM_400000_NS6detail17trampoline_kernelINS0_14default_configENS1_25partition_config_selectorILNS1_17partition_subalgoE5EfNS0_10empty_typeEbEEZZNS1_14partition_implILS5_5ELb0ES3_mN6thrust23THRUST_200600_302600_NS6detail15normal_iteratorINSA_10device_ptrIfEEEEPS6_NSA_18transform_iteratorINSB_9not_fun_tINSA_8identityIfEEEESF_NSA_11use_defaultESM_EENS0_5tupleIJSF_S6_EEENSO_IJSG_SG_EEES6_PlJS6_EEE10hipError_tPvRmT3_T4_T5_T6_T7_T9_mT8_P12ihipStream_tbDpT10_ENKUlT_T0_E_clISt17integral_constantIbLb0EES1A_IbLb1EEEEDaS16_S17_EUlS16_E_NS1_11comp_targetILNS1_3genE10ELNS1_11target_archE1200ELNS1_3gpuE4ELNS1_3repE0EEENS1_30default_config_static_selectorELNS0_4arch9wavefront6targetE0EEEvT1_.numbered_sgpr, 24
	.set _ZN7rocprim17ROCPRIM_400000_NS6detail17trampoline_kernelINS0_14default_configENS1_25partition_config_selectorILNS1_17partition_subalgoE5EfNS0_10empty_typeEbEEZZNS1_14partition_implILS5_5ELb0ES3_mN6thrust23THRUST_200600_302600_NS6detail15normal_iteratorINSA_10device_ptrIfEEEEPS6_NSA_18transform_iteratorINSB_9not_fun_tINSA_8identityIfEEEESF_NSA_11use_defaultESM_EENS0_5tupleIJSF_S6_EEENSO_IJSG_SG_EEES6_PlJS6_EEE10hipError_tPvRmT3_T4_T5_T6_T7_T9_mT8_P12ihipStream_tbDpT10_ENKUlT_T0_E_clISt17integral_constantIbLb0EES1A_IbLb1EEEEDaS16_S17_EUlS16_E_NS1_11comp_targetILNS1_3genE10ELNS1_11target_archE1200ELNS1_3gpuE4ELNS1_3repE0EEENS1_30default_config_static_selectorELNS0_4arch9wavefront6targetE0EEEvT1_.num_named_barrier, 0
	.set _ZN7rocprim17ROCPRIM_400000_NS6detail17trampoline_kernelINS0_14default_configENS1_25partition_config_selectorILNS1_17partition_subalgoE5EfNS0_10empty_typeEbEEZZNS1_14partition_implILS5_5ELb0ES3_mN6thrust23THRUST_200600_302600_NS6detail15normal_iteratorINSA_10device_ptrIfEEEEPS6_NSA_18transform_iteratorINSB_9not_fun_tINSA_8identityIfEEEESF_NSA_11use_defaultESM_EENS0_5tupleIJSF_S6_EEENSO_IJSG_SG_EEES6_PlJS6_EEE10hipError_tPvRmT3_T4_T5_T6_T7_T9_mT8_P12ihipStream_tbDpT10_ENKUlT_T0_E_clISt17integral_constantIbLb0EES1A_IbLb1EEEEDaS16_S17_EUlS16_E_NS1_11comp_targetILNS1_3genE10ELNS1_11target_archE1200ELNS1_3gpuE4ELNS1_3repE0EEENS1_30default_config_static_selectorELNS0_4arch9wavefront6targetE0EEEvT1_.private_seg_size, 0
	.set _ZN7rocprim17ROCPRIM_400000_NS6detail17trampoline_kernelINS0_14default_configENS1_25partition_config_selectorILNS1_17partition_subalgoE5EfNS0_10empty_typeEbEEZZNS1_14partition_implILS5_5ELb0ES3_mN6thrust23THRUST_200600_302600_NS6detail15normal_iteratorINSA_10device_ptrIfEEEEPS6_NSA_18transform_iteratorINSB_9not_fun_tINSA_8identityIfEEEESF_NSA_11use_defaultESM_EENS0_5tupleIJSF_S6_EEENSO_IJSG_SG_EEES6_PlJS6_EEE10hipError_tPvRmT3_T4_T5_T6_T7_T9_mT8_P12ihipStream_tbDpT10_ENKUlT_T0_E_clISt17integral_constantIbLb0EES1A_IbLb1EEEEDaS16_S17_EUlS16_E_NS1_11comp_targetILNS1_3genE10ELNS1_11target_archE1200ELNS1_3gpuE4ELNS1_3repE0EEENS1_30default_config_static_selectorELNS0_4arch9wavefront6targetE0EEEvT1_.uses_vcc, 1
	.set _ZN7rocprim17ROCPRIM_400000_NS6detail17trampoline_kernelINS0_14default_configENS1_25partition_config_selectorILNS1_17partition_subalgoE5EfNS0_10empty_typeEbEEZZNS1_14partition_implILS5_5ELb0ES3_mN6thrust23THRUST_200600_302600_NS6detail15normal_iteratorINSA_10device_ptrIfEEEEPS6_NSA_18transform_iteratorINSB_9not_fun_tINSA_8identityIfEEEESF_NSA_11use_defaultESM_EENS0_5tupleIJSF_S6_EEENSO_IJSG_SG_EEES6_PlJS6_EEE10hipError_tPvRmT3_T4_T5_T6_T7_T9_mT8_P12ihipStream_tbDpT10_ENKUlT_T0_E_clISt17integral_constantIbLb0EES1A_IbLb1EEEEDaS16_S17_EUlS16_E_NS1_11comp_targetILNS1_3genE10ELNS1_11target_archE1200ELNS1_3gpuE4ELNS1_3repE0EEENS1_30default_config_static_selectorELNS0_4arch9wavefront6targetE0EEEvT1_.uses_flat_scratch, 1
	.set _ZN7rocprim17ROCPRIM_400000_NS6detail17trampoline_kernelINS0_14default_configENS1_25partition_config_selectorILNS1_17partition_subalgoE5EfNS0_10empty_typeEbEEZZNS1_14partition_implILS5_5ELb0ES3_mN6thrust23THRUST_200600_302600_NS6detail15normal_iteratorINSA_10device_ptrIfEEEEPS6_NSA_18transform_iteratorINSB_9not_fun_tINSA_8identityIfEEEESF_NSA_11use_defaultESM_EENS0_5tupleIJSF_S6_EEENSO_IJSG_SG_EEES6_PlJS6_EEE10hipError_tPvRmT3_T4_T5_T6_T7_T9_mT8_P12ihipStream_tbDpT10_ENKUlT_T0_E_clISt17integral_constantIbLb0EES1A_IbLb1EEEEDaS16_S17_EUlS16_E_NS1_11comp_targetILNS1_3genE10ELNS1_11target_archE1200ELNS1_3gpuE4ELNS1_3repE0EEENS1_30default_config_static_selectorELNS0_4arch9wavefront6targetE0EEEvT1_.has_dyn_sized_stack, 0
	.set _ZN7rocprim17ROCPRIM_400000_NS6detail17trampoline_kernelINS0_14default_configENS1_25partition_config_selectorILNS1_17partition_subalgoE5EfNS0_10empty_typeEbEEZZNS1_14partition_implILS5_5ELb0ES3_mN6thrust23THRUST_200600_302600_NS6detail15normal_iteratorINSA_10device_ptrIfEEEEPS6_NSA_18transform_iteratorINSB_9not_fun_tINSA_8identityIfEEEESF_NSA_11use_defaultESM_EENS0_5tupleIJSF_S6_EEENSO_IJSG_SG_EEES6_PlJS6_EEE10hipError_tPvRmT3_T4_T5_T6_T7_T9_mT8_P12ihipStream_tbDpT10_ENKUlT_T0_E_clISt17integral_constantIbLb0EES1A_IbLb1EEEEDaS16_S17_EUlS16_E_NS1_11comp_targetILNS1_3genE10ELNS1_11target_archE1200ELNS1_3gpuE4ELNS1_3repE0EEENS1_30default_config_static_selectorELNS0_4arch9wavefront6targetE0EEEvT1_.has_recursion, 0
	.set _ZN7rocprim17ROCPRIM_400000_NS6detail17trampoline_kernelINS0_14default_configENS1_25partition_config_selectorILNS1_17partition_subalgoE5EfNS0_10empty_typeEbEEZZNS1_14partition_implILS5_5ELb0ES3_mN6thrust23THRUST_200600_302600_NS6detail15normal_iteratorINSA_10device_ptrIfEEEEPS6_NSA_18transform_iteratorINSB_9not_fun_tINSA_8identityIfEEEESF_NSA_11use_defaultESM_EENS0_5tupleIJSF_S6_EEENSO_IJSG_SG_EEES6_PlJS6_EEE10hipError_tPvRmT3_T4_T5_T6_T7_T9_mT8_P12ihipStream_tbDpT10_ENKUlT_T0_E_clISt17integral_constantIbLb0EES1A_IbLb1EEEEDaS16_S17_EUlS16_E_NS1_11comp_targetILNS1_3genE10ELNS1_11target_archE1200ELNS1_3gpuE4ELNS1_3repE0EEENS1_30default_config_static_selectorELNS0_4arch9wavefront6targetE0EEEvT1_.has_indirect_call, 0
	.section	.AMDGPU.csdata,"",@progbits
; Kernel info:
; codeLenInByte = 8604
; TotalNumSgprs: 26
; NumVgprs: 49
; ScratchSize: 0
; MemoryBound: 0
; FloatMode: 240
; IeeeMode: 1
; LDSByteSize: 10768 bytes/workgroup (compile time only)
; SGPRBlocks: 0
; VGPRBlocks: 6
; NumSGPRsForWavesPerEU: 26
; NumVGPRsForWavesPerEU: 49
; Occupancy: 15
; WaveLimiterHint : 1
; COMPUTE_PGM_RSRC2:SCRATCH_EN: 0
; COMPUTE_PGM_RSRC2:USER_SGPR: 2
; COMPUTE_PGM_RSRC2:TRAP_HANDLER: 0
; COMPUTE_PGM_RSRC2:TGID_X_EN: 1
; COMPUTE_PGM_RSRC2:TGID_Y_EN: 0
; COMPUTE_PGM_RSRC2:TGID_Z_EN: 0
; COMPUTE_PGM_RSRC2:TIDIG_COMP_CNT: 0
	.section	.text._ZN7rocprim17ROCPRIM_400000_NS6detail17trampoline_kernelINS0_14default_configENS1_25partition_config_selectorILNS1_17partition_subalgoE5EfNS0_10empty_typeEbEEZZNS1_14partition_implILS5_5ELb0ES3_mN6thrust23THRUST_200600_302600_NS6detail15normal_iteratorINSA_10device_ptrIfEEEEPS6_NSA_18transform_iteratorINSB_9not_fun_tINSA_8identityIfEEEESF_NSA_11use_defaultESM_EENS0_5tupleIJSF_S6_EEENSO_IJSG_SG_EEES6_PlJS6_EEE10hipError_tPvRmT3_T4_T5_T6_T7_T9_mT8_P12ihipStream_tbDpT10_ENKUlT_T0_E_clISt17integral_constantIbLb0EES1A_IbLb1EEEEDaS16_S17_EUlS16_E_NS1_11comp_targetILNS1_3genE9ELNS1_11target_archE1100ELNS1_3gpuE3ELNS1_3repE0EEENS1_30default_config_static_selectorELNS0_4arch9wavefront6targetE0EEEvT1_,"axG",@progbits,_ZN7rocprim17ROCPRIM_400000_NS6detail17trampoline_kernelINS0_14default_configENS1_25partition_config_selectorILNS1_17partition_subalgoE5EfNS0_10empty_typeEbEEZZNS1_14partition_implILS5_5ELb0ES3_mN6thrust23THRUST_200600_302600_NS6detail15normal_iteratorINSA_10device_ptrIfEEEEPS6_NSA_18transform_iteratorINSB_9not_fun_tINSA_8identityIfEEEESF_NSA_11use_defaultESM_EENS0_5tupleIJSF_S6_EEENSO_IJSG_SG_EEES6_PlJS6_EEE10hipError_tPvRmT3_T4_T5_T6_T7_T9_mT8_P12ihipStream_tbDpT10_ENKUlT_T0_E_clISt17integral_constantIbLb0EES1A_IbLb1EEEEDaS16_S17_EUlS16_E_NS1_11comp_targetILNS1_3genE9ELNS1_11target_archE1100ELNS1_3gpuE3ELNS1_3repE0EEENS1_30default_config_static_selectorELNS0_4arch9wavefront6targetE0EEEvT1_,comdat
	.protected	_ZN7rocprim17ROCPRIM_400000_NS6detail17trampoline_kernelINS0_14default_configENS1_25partition_config_selectorILNS1_17partition_subalgoE5EfNS0_10empty_typeEbEEZZNS1_14partition_implILS5_5ELb0ES3_mN6thrust23THRUST_200600_302600_NS6detail15normal_iteratorINSA_10device_ptrIfEEEEPS6_NSA_18transform_iteratorINSB_9not_fun_tINSA_8identityIfEEEESF_NSA_11use_defaultESM_EENS0_5tupleIJSF_S6_EEENSO_IJSG_SG_EEES6_PlJS6_EEE10hipError_tPvRmT3_T4_T5_T6_T7_T9_mT8_P12ihipStream_tbDpT10_ENKUlT_T0_E_clISt17integral_constantIbLb0EES1A_IbLb1EEEEDaS16_S17_EUlS16_E_NS1_11comp_targetILNS1_3genE9ELNS1_11target_archE1100ELNS1_3gpuE3ELNS1_3repE0EEENS1_30default_config_static_selectorELNS0_4arch9wavefront6targetE0EEEvT1_ ; -- Begin function _ZN7rocprim17ROCPRIM_400000_NS6detail17trampoline_kernelINS0_14default_configENS1_25partition_config_selectorILNS1_17partition_subalgoE5EfNS0_10empty_typeEbEEZZNS1_14partition_implILS5_5ELb0ES3_mN6thrust23THRUST_200600_302600_NS6detail15normal_iteratorINSA_10device_ptrIfEEEEPS6_NSA_18transform_iteratorINSB_9not_fun_tINSA_8identityIfEEEESF_NSA_11use_defaultESM_EENS0_5tupleIJSF_S6_EEENSO_IJSG_SG_EEES6_PlJS6_EEE10hipError_tPvRmT3_T4_T5_T6_T7_T9_mT8_P12ihipStream_tbDpT10_ENKUlT_T0_E_clISt17integral_constantIbLb0EES1A_IbLb1EEEEDaS16_S17_EUlS16_E_NS1_11comp_targetILNS1_3genE9ELNS1_11target_archE1100ELNS1_3gpuE3ELNS1_3repE0EEENS1_30default_config_static_selectorELNS0_4arch9wavefront6targetE0EEEvT1_
	.globl	_ZN7rocprim17ROCPRIM_400000_NS6detail17trampoline_kernelINS0_14default_configENS1_25partition_config_selectorILNS1_17partition_subalgoE5EfNS0_10empty_typeEbEEZZNS1_14partition_implILS5_5ELb0ES3_mN6thrust23THRUST_200600_302600_NS6detail15normal_iteratorINSA_10device_ptrIfEEEEPS6_NSA_18transform_iteratorINSB_9not_fun_tINSA_8identityIfEEEESF_NSA_11use_defaultESM_EENS0_5tupleIJSF_S6_EEENSO_IJSG_SG_EEES6_PlJS6_EEE10hipError_tPvRmT3_T4_T5_T6_T7_T9_mT8_P12ihipStream_tbDpT10_ENKUlT_T0_E_clISt17integral_constantIbLb0EES1A_IbLb1EEEEDaS16_S17_EUlS16_E_NS1_11comp_targetILNS1_3genE9ELNS1_11target_archE1100ELNS1_3gpuE3ELNS1_3repE0EEENS1_30default_config_static_selectorELNS0_4arch9wavefront6targetE0EEEvT1_
	.p2align	8
	.type	_ZN7rocprim17ROCPRIM_400000_NS6detail17trampoline_kernelINS0_14default_configENS1_25partition_config_selectorILNS1_17partition_subalgoE5EfNS0_10empty_typeEbEEZZNS1_14partition_implILS5_5ELb0ES3_mN6thrust23THRUST_200600_302600_NS6detail15normal_iteratorINSA_10device_ptrIfEEEEPS6_NSA_18transform_iteratorINSB_9not_fun_tINSA_8identityIfEEEESF_NSA_11use_defaultESM_EENS0_5tupleIJSF_S6_EEENSO_IJSG_SG_EEES6_PlJS6_EEE10hipError_tPvRmT3_T4_T5_T6_T7_T9_mT8_P12ihipStream_tbDpT10_ENKUlT_T0_E_clISt17integral_constantIbLb0EES1A_IbLb1EEEEDaS16_S17_EUlS16_E_NS1_11comp_targetILNS1_3genE9ELNS1_11target_archE1100ELNS1_3gpuE3ELNS1_3repE0EEENS1_30default_config_static_selectorELNS0_4arch9wavefront6targetE0EEEvT1_,@function
_ZN7rocprim17ROCPRIM_400000_NS6detail17trampoline_kernelINS0_14default_configENS1_25partition_config_selectorILNS1_17partition_subalgoE5EfNS0_10empty_typeEbEEZZNS1_14partition_implILS5_5ELb0ES3_mN6thrust23THRUST_200600_302600_NS6detail15normal_iteratorINSA_10device_ptrIfEEEEPS6_NSA_18transform_iteratorINSB_9not_fun_tINSA_8identityIfEEEESF_NSA_11use_defaultESM_EENS0_5tupleIJSF_S6_EEENSO_IJSG_SG_EEES6_PlJS6_EEE10hipError_tPvRmT3_T4_T5_T6_T7_T9_mT8_P12ihipStream_tbDpT10_ENKUlT_T0_E_clISt17integral_constantIbLb0EES1A_IbLb1EEEEDaS16_S17_EUlS16_E_NS1_11comp_targetILNS1_3genE9ELNS1_11target_archE1100ELNS1_3gpuE3ELNS1_3repE0EEENS1_30default_config_static_selectorELNS0_4arch9wavefront6targetE0EEEvT1_: ; @_ZN7rocprim17ROCPRIM_400000_NS6detail17trampoline_kernelINS0_14default_configENS1_25partition_config_selectorILNS1_17partition_subalgoE5EfNS0_10empty_typeEbEEZZNS1_14partition_implILS5_5ELb0ES3_mN6thrust23THRUST_200600_302600_NS6detail15normal_iteratorINSA_10device_ptrIfEEEEPS6_NSA_18transform_iteratorINSB_9not_fun_tINSA_8identityIfEEEESF_NSA_11use_defaultESM_EENS0_5tupleIJSF_S6_EEENSO_IJSG_SG_EEES6_PlJS6_EEE10hipError_tPvRmT3_T4_T5_T6_T7_T9_mT8_P12ihipStream_tbDpT10_ENKUlT_T0_E_clISt17integral_constantIbLb0EES1A_IbLb1EEEEDaS16_S17_EUlS16_E_NS1_11comp_targetILNS1_3genE9ELNS1_11target_archE1100ELNS1_3gpuE3ELNS1_3repE0EEENS1_30default_config_static_selectorELNS0_4arch9wavefront6targetE0EEEvT1_
; %bb.0:
	.section	.rodata,"a",@progbits
	.p2align	6, 0x0
	.amdhsa_kernel _ZN7rocprim17ROCPRIM_400000_NS6detail17trampoline_kernelINS0_14default_configENS1_25partition_config_selectorILNS1_17partition_subalgoE5EfNS0_10empty_typeEbEEZZNS1_14partition_implILS5_5ELb0ES3_mN6thrust23THRUST_200600_302600_NS6detail15normal_iteratorINSA_10device_ptrIfEEEEPS6_NSA_18transform_iteratorINSB_9not_fun_tINSA_8identityIfEEEESF_NSA_11use_defaultESM_EENS0_5tupleIJSF_S6_EEENSO_IJSG_SG_EEES6_PlJS6_EEE10hipError_tPvRmT3_T4_T5_T6_T7_T9_mT8_P12ihipStream_tbDpT10_ENKUlT_T0_E_clISt17integral_constantIbLb0EES1A_IbLb1EEEEDaS16_S17_EUlS16_E_NS1_11comp_targetILNS1_3genE9ELNS1_11target_archE1100ELNS1_3gpuE3ELNS1_3repE0EEENS1_30default_config_static_selectorELNS0_4arch9wavefront6targetE0EEEvT1_
		.amdhsa_group_segment_fixed_size 0
		.amdhsa_private_segment_fixed_size 0
		.amdhsa_kernarg_size 136
		.amdhsa_user_sgpr_count 2
		.amdhsa_user_sgpr_dispatch_ptr 0
		.amdhsa_user_sgpr_queue_ptr 0
		.amdhsa_user_sgpr_kernarg_segment_ptr 1
		.amdhsa_user_sgpr_dispatch_id 0
		.amdhsa_user_sgpr_private_segment_size 0
		.amdhsa_wavefront_size32 1
		.amdhsa_uses_dynamic_stack 0
		.amdhsa_enable_private_segment 0
		.amdhsa_system_sgpr_workgroup_id_x 1
		.amdhsa_system_sgpr_workgroup_id_y 0
		.amdhsa_system_sgpr_workgroup_id_z 0
		.amdhsa_system_sgpr_workgroup_info 0
		.amdhsa_system_vgpr_workitem_id 0
		.amdhsa_next_free_vgpr 1
		.amdhsa_next_free_sgpr 1
		.amdhsa_reserve_vcc 0
		.amdhsa_float_round_mode_32 0
		.amdhsa_float_round_mode_16_64 0
		.amdhsa_float_denorm_mode_32 3
		.amdhsa_float_denorm_mode_16_64 3
		.amdhsa_fp16_overflow 0
		.amdhsa_workgroup_processor_mode 1
		.amdhsa_memory_ordered 1
		.amdhsa_forward_progress 1
		.amdhsa_inst_pref_size 0
		.amdhsa_round_robin_scheduling 0
		.amdhsa_exception_fp_ieee_invalid_op 0
		.amdhsa_exception_fp_denorm_src 0
		.amdhsa_exception_fp_ieee_div_zero 0
		.amdhsa_exception_fp_ieee_overflow 0
		.amdhsa_exception_fp_ieee_underflow 0
		.amdhsa_exception_fp_ieee_inexact 0
		.amdhsa_exception_int_div_zero 0
	.end_amdhsa_kernel
	.section	.text._ZN7rocprim17ROCPRIM_400000_NS6detail17trampoline_kernelINS0_14default_configENS1_25partition_config_selectorILNS1_17partition_subalgoE5EfNS0_10empty_typeEbEEZZNS1_14partition_implILS5_5ELb0ES3_mN6thrust23THRUST_200600_302600_NS6detail15normal_iteratorINSA_10device_ptrIfEEEEPS6_NSA_18transform_iteratorINSB_9not_fun_tINSA_8identityIfEEEESF_NSA_11use_defaultESM_EENS0_5tupleIJSF_S6_EEENSO_IJSG_SG_EEES6_PlJS6_EEE10hipError_tPvRmT3_T4_T5_T6_T7_T9_mT8_P12ihipStream_tbDpT10_ENKUlT_T0_E_clISt17integral_constantIbLb0EES1A_IbLb1EEEEDaS16_S17_EUlS16_E_NS1_11comp_targetILNS1_3genE9ELNS1_11target_archE1100ELNS1_3gpuE3ELNS1_3repE0EEENS1_30default_config_static_selectorELNS0_4arch9wavefront6targetE0EEEvT1_,"axG",@progbits,_ZN7rocprim17ROCPRIM_400000_NS6detail17trampoline_kernelINS0_14default_configENS1_25partition_config_selectorILNS1_17partition_subalgoE5EfNS0_10empty_typeEbEEZZNS1_14partition_implILS5_5ELb0ES3_mN6thrust23THRUST_200600_302600_NS6detail15normal_iteratorINSA_10device_ptrIfEEEEPS6_NSA_18transform_iteratorINSB_9not_fun_tINSA_8identityIfEEEESF_NSA_11use_defaultESM_EENS0_5tupleIJSF_S6_EEENSO_IJSG_SG_EEES6_PlJS6_EEE10hipError_tPvRmT3_T4_T5_T6_T7_T9_mT8_P12ihipStream_tbDpT10_ENKUlT_T0_E_clISt17integral_constantIbLb0EES1A_IbLb1EEEEDaS16_S17_EUlS16_E_NS1_11comp_targetILNS1_3genE9ELNS1_11target_archE1100ELNS1_3gpuE3ELNS1_3repE0EEENS1_30default_config_static_selectorELNS0_4arch9wavefront6targetE0EEEvT1_,comdat
.Lfunc_end851:
	.size	_ZN7rocprim17ROCPRIM_400000_NS6detail17trampoline_kernelINS0_14default_configENS1_25partition_config_selectorILNS1_17partition_subalgoE5EfNS0_10empty_typeEbEEZZNS1_14partition_implILS5_5ELb0ES3_mN6thrust23THRUST_200600_302600_NS6detail15normal_iteratorINSA_10device_ptrIfEEEEPS6_NSA_18transform_iteratorINSB_9not_fun_tINSA_8identityIfEEEESF_NSA_11use_defaultESM_EENS0_5tupleIJSF_S6_EEENSO_IJSG_SG_EEES6_PlJS6_EEE10hipError_tPvRmT3_T4_T5_T6_T7_T9_mT8_P12ihipStream_tbDpT10_ENKUlT_T0_E_clISt17integral_constantIbLb0EES1A_IbLb1EEEEDaS16_S17_EUlS16_E_NS1_11comp_targetILNS1_3genE9ELNS1_11target_archE1100ELNS1_3gpuE3ELNS1_3repE0EEENS1_30default_config_static_selectorELNS0_4arch9wavefront6targetE0EEEvT1_, .Lfunc_end851-_ZN7rocprim17ROCPRIM_400000_NS6detail17trampoline_kernelINS0_14default_configENS1_25partition_config_selectorILNS1_17partition_subalgoE5EfNS0_10empty_typeEbEEZZNS1_14partition_implILS5_5ELb0ES3_mN6thrust23THRUST_200600_302600_NS6detail15normal_iteratorINSA_10device_ptrIfEEEEPS6_NSA_18transform_iteratorINSB_9not_fun_tINSA_8identityIfEEEESF_NSA_11use_defaultESM_EENS0_5tupleIJSF_S6_EEENSO_IJSG_SG_EEES6_PlJS6_EEE10hipError_tPvRmT3_T4_T5_T6_T7_T9_mT8_P12ihipStream_tbDpT10_ENKUlT_T0_E_clISt17integral_constantIbLb0EES1A_IbLb1EEEEDaS16_S17_EUlS16_E_NS1_11comp_targetILNS1_3genE9ELNS1_11target_archE1100ELNS1_3gpuE3ELNS1_3repE0EEENS1_30default_config_static_selectorELNS0_4arch9wavefront6targetE0EEEvT1_
                                        ; -- End function
	.set _ZN7rocprim17ROCPRIM_400000_NS6detail17trampoline_kernelINS0_14default_configENS1_25partition_config_selectorILNS1_17partition_subalgoE5EfNS0_10empty_typeEbEEZZNS1_14partition_implILS5_5ELb0ES3_mN6thrust23THRUST_200600_302600_NS6detail15normal_iteratorINSA_10device_ptrIfEEEEPS6_NSA_18transform_iteratorINSB_9not_fun_tINSA_8identityIfEEEESF_NSA_11use_defaultESM_EENS0_5tupleIJSF_S6_EEENSO_IJSG_SG_EEES6_PlJS6_EEE10hipError_tPvRmT3_T4_T5_T6_T7_T9_mT8_P12ihipStream_tbDpT10_ENKUlT_T0_E_clISt17integral_constantIbLb0EES1A_IbLb1EEEEDaS16_S17_EUlS16_E_NS1_11comp_targetILNS1_3genE9ELNS1_11target_archE1100ELNS1_3gpuE3ELNS1_3repE0EEENS1_30default_config_static_selectorELNS0_4arch9wavefront6targetE0EEEvT1_.num_vgpr, 0
	.set _ZN7rocprim17ROCPRIM_400000_NS6detail17trampoline_kernelINS0_14default_configENS1_25partition_config_selectorILNS1_17partition_subalgoE5EfNS0_10empty_typeEbEEZZNS1_14partition_implILS5_5ELb0ES3_mN6thrust23THRUST_200600_302600_NS6detail15normal_iteratorINSA_10device_ptrIfEEEEPS6_NSA_18transform_iteratorINSB_9not_fun_tINSA_8identityIfEEEESF_NSA_11use_defaultESM_EENS0_5tupleIJSF_S6_EEENSO_IJSG_SG_EEES6_PlJS6_EEE10hipError_tPvRmT3_T4_T5_T6_T7_T9_mT8_P12ihipStream_tbDpT10_ENKUlT_T0_E_clISt17integral_constantIbLb0EES1A_IbLb1EEEEDaS16_S17_EUlS16_E_NS1_11comp_targetILNS1_3genE9ELNS1_11target_archE1100ELNS1_3gpuE3ELNS1_3repE0EEENS1_30default_config_static_selectorELNS0_4arch9wavefront6targetE0EEEvT1_.num_agpr, 0
	.set _ZN7rocprim17ROCPRIM_400000_NS6detail17trampoline_kernelINS0_14default_configENS1_25partition_config_selectorILNS1_17partition_subalgoE5EfNS0_10empty_typeEbEEZZNS1_14partition_implILS5_5ELb0ES3_mN6thrust23THRUST_200600_302600_NS6detail15normal_iteratorINSA_10device_ptrIfEEEEPS6_NSA_18transform_iteratorINSB_9not_fun_tINSA_8identityIfEEEESF_NSA_11use_defaultESM_EENS0_5tupleIJSF_S6_EEENSO_IJSG_SG_EEES6_PlJS6_EEE10hipError_tPvRmT3_T4_T5_T6_T7_T9_mT8_P12ihipStream_tbDpT10_ENKUlT_T0_E_clISt17integral_constantIbLb0EES1A_IbLb1EEEEDaS16_S17_EUlS16_E_NS1_11comp_targetILNS1_3genE9ELNS1_11target_archE1100ELNS1_3gpuE3ELNS1_3repE0EEENS1_30default_config_static_selectorELNS0_4arch9wavefront6targetE0EEEvT1_.numbered_sgpr, 0
	.set _ZN7rocprim17ROCPRIM_400000_NS6detail17trampoline_kernelINS0_14default_configENS1_25partition_config_selectorILNS1_17partition_subalgoE5EfNS0_10empty_typeEbEEZZNS1_14partition_implILS5_5ELb0ES3_mN6thrust23THRUST_200600_302600_NS6detail15normal_iteratorINSA_10device_ptrIfEEEEPS6_NSA_18transform_iteratorINSB_9not_fun_tINSA_8identityIfEEEESF_NSA_11use_defaultESM_EENS0_5tupleIJSF_S6_EEENSO_IJSG_SG_EEES6_PlJS6_EEE10hipError_tPvRmT3_T4_T5_T6_T7_T9_mT8_P12ihipStream_tbDpT10_ENKUlT_T0_E_clISt17integral_constantIbLb0EES1A_IbLb1EEEEDaS16_S17_EUlS16_E_NS1_11comp_targetILNS1_3genE9ELNS1_11target_archE1100ELNS1_3gpuE3ELNS1_3repE0EEENS1_30default_config_static_selectorELNS0_4arch9wavefront6targetE0EEEvT1_.num_named_barrier, 0
	.set _ZN7rocprim17ROCPRIM_400000_NS6detail17trampoline_kernelINS0_14default_configENS1_25partition_config_selectorILNS1_17partition_subalgoE5EfNS0_10empty_typeEbEEZZNS1_14partition_implILS5_5ELb0ES3_mN6thrust23THRUST_200600_302600_NS6detail15normal_iteratorINSA_10device_ptrIfEEEEPS6_NSA_18transform_iteratorINSB_9not_fun_tINSA_8identityIfEEEESF_NSA_11use_defaultESM_EENS0_5tupleIJSF_S6_EEENSO_IJSG_SG_EEES6_PlJS6_EEE10hipError_tPvRmT3_T4_T5_T6_T7_T9_mT8_P12ihipStream_tbDpT10_ENKUlT_T0_E_clISt17integral_constantIbLb0EES1A_IbLb1EEEEDaS16_S17_EUlS16_E_NS1_11comp_targetILNS1_3genE9ELNS1_11target_archE1100ELNS1_3gpuE3ELNS1_3repE0EEENS1_30default_config_static_selectorELNS0_4arch9wavefront6targetE0EEEvT1_.private_seg_size, 0
	.set _ZN7rocprim17ROCPRIM_400000_NS6detail17trampoline_kernelINS0_14default_configENS1_25partition_config_selectorILNS1_17partition_subalgoE5EfNS0_10empty_typeEbEEZZNS1_14partition_implILS5_5ELb0ES3_mN6thrust23THRUST_200600_302600_NS6detail15normal_iteratorINSA_10device_ptrIfEEEEPS6_NSA_18transform_iteratorINSB_9not_fun_tINSA_8identityIfEEEESF_NSA_11use_defaultESM_EENS0_5tupleIJSF_S6_EEENSO_IJSG_SG_EEES6_PlJS6_EEE10hipError_tPvRmT3_T4_T5_T6_T7_T9_mT8_P12ihipStream_tbDpT10_ENKUlT_T0_E_clISt17integral_constantIbLb0EES1A_IbLb1EEEEDaS16_S17_EUlS16_E_NS1_11comp_targetILNS1_3genE9ELNS1_11target_archE1100ELNS1_3gpuE3ELNS1_3repE0EEENS1_30default_config_static_selectorELNS0_4arch9wavefront6targetE0EEEvT1_.uses_vcc, 0
	.set _ZN7rocprim17ROCPRIM_400000_NS6detail17trampoline_kernelINS0_14default_configENS1_25partition_config_selectorILNS1_17partition_subalgoE5EfNS0_10empty_typeEbEEZZNS1_14partition_implILS5_5ELb0ES3_mN6thrust23THRUST_200600_302600_NS6detail15normal_iteratorINSA_10device_ptrIfEEEEPS6_NSA_18transform_iteratorINSB_9not_fun_tINSA_8identityIfEEEESF_NSA_11use_defaultESM_EENS0_5tupleIJSF_S6_EEENSO_IJSG_SG_EEES6_PlJS6_EEE10hipError_tPvRmT3_T4_T5_T6_T7_T9_mT8_P12ihipStream_tbDpT10_ENKUlT_T0_E_clISt17integral_constantIbLb0EES1A_IbLb1EEEEDaS16_S17_EUlS16_E_NS1_11comp_targetILNS1_3genE9ELNS1_11target_archE1100ELNS1_3gpuE3ELNS1_3repE0EEENS1_30default_config_static_selectorELNS0_4arch9wavefront6targetE0EEEvT1_.uses_flat_scratch, 0
	.set _ZN7rocprim17ROCPRIM_400000_NS6detail17trampoline_kernelINS0_14default_configENS1_25partition_config_selectorILNS1_17partition_subalgoE5EfNS0_10empty_typeEbEEZZNS1_14partition_implILS5_5ELb0ES3_mN6thrust23THRUST_200600_302600_NS6detail15normal_iteratorINSA_10device_ptrIfEEEEPS6_NSA_18transform_iteratorINSB_9not_fun_tINSA_8identityIfEEEESF_NSA_11use_defaultESM_EENS0_5tupleIJSF_S6_EEENSO_IJSG_SG_EEES6_PlJS6_EEE10hipError_tPvRmT3_T4_T5_T6_T7_T9_mT8_P12ihipStream_tbDpT10_ENKUlT_T0_E_clISt17integral_constantIbLb0EES1A_IbLb1EEEEDaS16_S17_EUlS16_E_NS1_11comp_targetILNS1_3genE9ELNS1_11target_archE1100ELNS1_3gpuE3ELNS1_3repE0EEENS1_30default_config_static_selectorELNS0_4arch9wavefront6targetE0EEEvT1_.has_dyn_sized_stack, 0
	.set _ZN7rocprim17ROCPRIM_400000_NS6detail17trampoline_kernelINS0_14default_configENS1_25partition_config_selectorILNS1_17partition_subalgoE5EfNS0_10empty_typeEbEEZZNS1_14partition_implILS5_5ELb0ES3_mN6thrust23THRUST_200600_302600_NS6detail15normal_iteratorINSA_10device_ptrIfEEEEPS6_NSA_18transform_iteratorINSB_9not_fun_tINSA_8identityIfEEEESF_NSA_11use_defaultESM_EENS0_5tupleIJSF_S6_EEENSO_IJSG_SG_EEES6_PlJS6_EEE10hipError_tPvRmT3_T4_T5_T6_T7_T9_mT8_P12ihipStream_tbDpT10_ENKUlT_T0_E_clISt17integral_constantIbLb0EES1A_IbLb1EEEEDaS16_S17_EUlS16_E_NS1_11comp_targetILNS1_3genE9ELNS1_11target_archE1100ELNS1_3gpuE3ELNS1_3repE0EEENS1_30default_config_static_selectorELNS0_4arch9wavefront6targetE0EEEvT1_.has_recursion, 0
	.set _ZN7rocprim17ROCPRIM_400000_NS6detail17trampoline_kernelINS0_14default_configENS1_25partition_config_selectorILNS1_17partition_subalgoE5EfNS0_10empty_typeEbEEZZNS1_14partition_implILS5_5ELb0ES3_mN6thrust23THRUST_200600_302600_NS6detail15normal_iteratorINSA_10device_ptrIfEEEEPS6_NSA_18transform_iteratorINSB_9not_fun_tINSA_8identityIfEEEESF_NSA_11use_defaultESM_EENS0_5tupleIJSF_S6_EEENSO_IJSG_SG_EEES6_PlJS6_EEE10hipError_tPvRmT3_T4_T5_T6_T7_T9_mT8_P12ihipStream_tbDpT10_ENKUlT_T0_E_clISt17integral_constantIbLb0EES1A_IbLb1EEEEDaS16_S17_EUlS16_E_NS1_11comp_targetILNS1_3genE9ELNS1_11target_archE1100ELNS1_3gpuE3ELNS1_3repE0EEENS1_30default_config_static_selectorELNS0_4arch9wavefront6targetE0EEEvT1_.has_indirect_call, 0
	.section	.AMDGPU.csdata,"",@progbits
; Kernel info:
; codeLenInByte = 0
; TotalNumSgprs: 0
; NumVgprs: 0
; ScratchSize: 0
; MemoryBound: 0
; FloatMode: 240
; IeeeMode: 1
; LDSByteSize: 0 bytes/workgroup (compile time only)
; SGPRBlocks: 0
; VGPRBlocks: 0
; NumSGPRsForWavesPerEU: 1
; NumVGPRsForWavesPerEU: 1
; Occupancy: 16
; WaveLimiterHint : 0
; COMPUTE_PGM_RSRC2:SCRATCH_EN: 0
; COMPUTE_PGM_RSRC2:USER_SGPR: 2
; COMPUTE_PGM_RSRC2:TRAP_HANDLER: 0
; COMPUTE_PGM_RSRC2:TGID_X_EN: 1
; COMPUTE_PGM_RSRC2:TGID_Y_EN: 0
; COMPUTE_PGM_RSRC2:TGID_Z_EN: 0
; COMPUTE_PGM_RSRC2:TIDIG_COMP_CNT: 0
	.section	.text._ZN7rocprim17ROCPRIM_400000_NS6detail17trampoline_kernelINS0_14default_configENS1_25partition_config_selectorILNS1_17partition_subalgoE5EfNS0_10empty_typeEbEEZZNS1_14partition_implILS5_5ELb0ES3_mN6thrust23THRUST_200600_302600_NS6detail15normal_iteratorINSA_10device_ptrIfEEEEPS6_NSA_18transform_iteratorINSB_9not_fun_tINSA_8identityIfEEEESF_NSA_11use_defaultESM_EENS0_5tupleIJSF_S6_EEENSO_IJSG_SG_EEES6_PlJS6_EEE10hipError_tPvRmT3_T4_T5_T6_T7_T9_mT8_P12ihipStream_tbDpT10_ENKUlT_T0_E_clISt17integral_constantIbLb0EES1A_IbLb1EEEEDaS16_S17_EUlS16_E_NS1_11comp_targetILNS1_3genE8ELNS1_11target_archE1030ELNS1_3gpuE2ELNS1_3repE0EEENS1_30default_config_static_selectorELNS0_4arch9wavefront6targetE0EEEvT1_,"axG",@progbits,_ZN7rocprim17ROCPRIM_400000_NS6detail17trampoline_kernelINS0_14default_configENS1_25partition_config_selectorILNS1_17partition_subalgoE5EfNS0_10empty_typeEbEEZZNS1_14partition_implILS5_5ELb0ES3_mN6thrust23THRUST_200600_302600_NS6detail15normal_iteratorINSA_10device_ptrIfEEEEPS6_NSA_18transform_iteratorINSB_9not_fun_tINSA_8identityIfEEEESF_NSA_11use_defaultESM_EENS0_5tupleIJSF_S6_EEENSO_IJSG_SG_EEES6_PlJS6_EEE10hipError_tPvRmT3_T4_T5_T6_T7_T9_mT8_P12ihipStream_tbDpT10_ENKUlT_T0_E_clISt17integral_constantIbLb0EES1A_IbLb1EEEEDaS16_S17_EUlS16_E_NS1_11comp_targetILNS1_3genE8ELNS1_11target_archE1030ELNS1_3gpuE2ELNS1_3repE0EEENS1_30default_config_static_selectorELNS0_4arch9wavefront6targetE0EEEvT1_,comdat
	.protected	_ZN7rocprim17ROCPRIM_400000_NS6detail17trampoline_kernelINS0_14default_configENS1_25partition_config_selectorILNS1_17partition_subalgoE5EfNS0_10empty_typeEbEEZZNS1_14partition_implILS5_5ELb0ES3_mN6thrust23THRUST_200600_302600_NS6detail15normal_iteratorINSA_10device_ptrIfEEEEPS6_NSA_18transform_iteratorINSB_9not_fun_tINSA_8identityIfEEEESF_NSA_11use_defaultESM_EENS0_5tupleIJSF_S6_EEENSO_IJSG_SG_EEES6_PlJS6_EEE10hipError_tPvRmT3_T4_T5_T6_T7_T9_mT8_P12ihipStream_tbDpT10_ENKUlT_T0_E_clISt17integral_constantIbLb0EES1A_IbLb1EEEEDaS16_S17_EUlS16_E_NS1_11comp_targetILNS1_3genE8ELNS1_11target_archE1030ELNS1_3gpuE2ELNS1_3repE0EEENS1_30default_config_static_selectorELNS0_4arch9wavefront6targetE0EEEvT1_ ; -- Begin function _ZN7rocprim17ROCPRIM_400000_NS6detail17trampoline_kernelINS0_14default_configENS1_25partition_config_selectorILNS1_17partition_subalgoE5EfNS0_10empty_typeEbEEZZNS1_14partition_implILS5_5ELb0ES3_mN6thrust23THRUST_200600_302600_NS6detail15normal_iteratorINSA_10device_ptrIfEEEEPS6_NSA_18transform_iteratorINSB_9not_fun_tINSA_8identityIfEEEESF_NSA_11use_defaultESM_EENS0_5tupleIJSF_S6_EEENSO_IJSG_SG_EEES6_PlJS6_EEE10hipError_tPvRmT3_T4_T5_T6_T7_T9_mT8_P12ihipStream_tbDpT10_ENKUlT_T0_E_clISt17integral_constantIbLb0EES1A_IbLb1EEEEDaS16_S17_EUlS16_E_NS1_11comp_targetILNS1_3genE8ELNS1_11target_archE1030ELNS1_3gpuE2ELNS1_3repE0EEENS1_30default_config_static_selectorELNS0_4arch9wavefront6targetE0EEEvT1_
	.globl	_ZN7rocprim17ROCPRIM_400000_NS6detail17trampoline_kernelINS0_14default_configENS1_25partition_config_selectorILNS1_17partition_subalgoE5EfNS0_10empty_typeEbEEZZNS1_14partition_implILS5_5ELb0ES3_mN6thrust23THRUST_200600_302600_NS6detail15normal_iteratorINSA_10device_ptrIfEEEEPS6_NSA_18transform_iteratorINSB_9not_fun_tINSA_8identityIfEEEESF_NSA_11use_defaultESM_EENS0_5tupleIJSF_S6_EEENSO_IJSG_SG_EEES6_PlJS6_EEE10hipError_tPvRmT3_T4_T5_T6_T7_T9_mT8_P12ihipStream_tbDpT10_ENKUlT_T0_E_clISt17integral_constantIbLb0EES1A_IbLb1EEEEDaS16_S17_EUlS16_E_NS1_11comp_targetILNS1_3genE8ELNS1_11target_archE1030ELNS1_3gpuE2ELNS1_3repE0EEENS1_30default_config_static_selectorELNS0_4arch9wavefront6targetE0EEEvT1_
	.p2align	8
	.type	_ZN7rocprim17ROCPRIM_400000_NS6detail17trampoline_kernelINS0_14default_configENS1_25partition_config_selectorILNS1_17partition_subalgoE5EfNS0_10empty_typeEbEEZZNS1_14partition_implILS5_5ELb0ES3_mN6thrust23THRUST_200600_302600_NS6detail15normal_iteratorINSA_10device_ptrIfEEEEPS6_NSA_18transform_iteratorINSB_9not_fun_tINSA_8identityIfEEEESF_NSA_11use_defaultESM_EENS0_5tupleIJSF_S6_EEENSO_IJSG_SG_EEES6_PlJS6_EEE10hipError_tPvRmT3_T4_T5_T6_T7_T9_mT8_P12ihipStream_tbDpT10_ENKUlT_T0_E_clISt17integral_constantIbLb0EES1A_IbLb1EEEEDaS16_S17_EUlS16_E_NS1_11comp_targetILNS1_3genE8ELNS1_11target_archE1030ELNS1_3gpuE2ELNS1_3repE0EEENS1_30default_config_static_selectorELNS0_4arch9wavefront6targetE0EEEvT1_,@function
_ZN7rocprim17ROCPRIM_400000_NS6detail17trampoline_kernelINS0_14default_configENS1_25partition_config_selectorILNS1_17partition_subalgoE5EfNS0_10empty_typeEbEEZZNS1_14partition_implILS5_5ELb0ES3_mN6thrust23THRUST_200600_302600_NS6detail15normal_iteratorINSA_10device_ptrIfEEEEPS6_NSA_18transform_iteratorINSB_9not_fun_tINSA_8identityIfEEEESF_NSA_11use_defaultESM_EENS0_5tupleIJSF_S6_EEENSO_IJSG_SG_EEES6_PlJS6_EEE10hipError_tPvRmT3_T4_T5_T6_T7_T9_mT8_P12ihipStream_tbDpT10_ENKUlT_T0_E_clISt17integral_constantIbLb0EES1A_IbLb1EEEEDaS16_S17_EUlS16_E_NS1_11comp_targetILNS1_3genE8ELNS1_11target_archE1030ELNS1_3gpuE2ELNS1_3repE0EEENS1_30default_config_static_selectorELNS0_4arch9wavefront6targetE0EEEvT1_: ; @_ZN7rocprim17ROCPRIM_400000_NS6detail17trampoline_kernelINS0_14default_configENS1_25partition_config_selectorILNS1_17partition_subalgoE5EfNS0_10empty_typeEbEEZZNS1_14partition_implILS5_5ELb0ES3_mN6thrust23THRUST_200600_302600_NS6detail15normal_iteratorINSA_10device_ptrIfEEEEPS6_NSA_18transform_iteratorINSB_9not_fun_tINSA_8identityIfEEEESF_NSA_11use_defaultESM_EENS0_5tupleIJSF_S6_EEENSO_IJSG_SG_EEES6_PlJS6_EEE10hipError_tPvRmT3_T4_T5_T6_T7_T9_mT8_P12ihipStream_tbDpT10_ENKUlT_T0_E_clISt17integral_constantIbLb0EES1A_IbLb1EEEEDaS16_S17_EUlS16_E_NS1_11comp_targetILNS1_3genE8ELNS1_11target_archE1030ELNS1_3gpuE2ELNS1_3repE0EEENS1_30default_config_static_selectorELNS0_4arch9wavefront6targetE0EEEvT1_
; %bb.0:
	.section	.rodata,"a",@progbits
	.p2align	6, 0x0
	.amdhsa_kernel _ZN7rocprim17ROCPRIM_400000_NS6detail17trampoline_kernelINS0_14default_configENS1_25partition_config_selectorILNS1_17partition_subalgoE5EfNS0_10empty_typeEbEEZZNS1_14partition_implILS5_5ELb0ES3_mN6thrust23THRUST_200600_302600_NS6detail15normal_iteratorINSA_10device_ptrIfEEEEPS6_NSA_18transform_iteratorINSB_9not_fun_tINSA_8identityIfEEEESF_NSA_11use_defaultESM_EENS0_5tupleIJSF_S6_EEENSO_IJSG_SG_EEES6_PlJS6_EEE10hipError_tPvRmT3_T4_T5_T6_T7_T9_mT8_P12ihipStream_tbDpT10_ENKUlT_T0_E_clISt17integral_constantIbLb0EES1A_IbLb1EEEEDaS16_S17_EUlS16_E_NS1_11comp_targetILNS1_3genE8ELNS1_11target_archE1030ELNS1_3gpuE2ELNS1_3repE0EEENS1_30default_config_static_selectorELNS0_4arch9wavefront6targetE0EEEvT1_
		.amdhsa_group_segment_fixed_size 0
		.amdhsa_private_segment_fixed_size 0
		.amdhsa_kernarg_size 136
		.amdhsa_user_sgpr_count 2
		.amdhsa_user_sgpr_dispatch_ptr 0
		.amdhsa_user_sgpr_queue_ptr 0
		.amdhsa_user_sgpr_kernarg_segment_ptr 1
		.amdhsa_user_sgpr_dispatch_id 0
		.amdhsa_user_sgpr_private_segment_size 0
		.amdhsa_wavefront_size32 1
		.amdhsa_uses_dynamic_stack 0
		.amdhsa_enable_private_segment 0
		.amdhsa_system_sgpr_workgroup_id_x 1
		.amdhsa_system_sgpr_workgroup_id_y 0
		.amdhsa_system_sgpr_workgroup_id_z 0
		.amdhsa_system_sgpr_workgroup_info 0
		.amdhsa_system_vgpr_workitem_id 0
		.amdhsa_next_free_vgpr 1
		.amdhsa_next_free_sgpr 1
		.amdhsa_reserve_vcc 0
		.amdhsa_float_round_mode_32 0
		.amdhsa_float_round_mode_16_64 0
		.amdhsa_float_denorm_mode_32 3
		.amdhsa_float_denorm_mode_16_64 3
		.amdhsa_fp16_overflow 0
		.amdhsa_workgroup_processor_mode 1
		.amdhsa_memory_ordered 1
		.amdhsa_forward_progress 1
		.amdhsa_inst_pref_size 0
		.amdhsa_round_robin_scheduling 0
		.amdhsa_exception_fp_ieee_invalid_op 0
		.amdhsa_exception_fp_denorm_src 0
		.amdhsa_exception_fp_ieee_div_zero 0
		.amdhsa_exception_fp_ieee_overflow 0
		.amdhsa_exception_fp_ieee_underflow 0
		.amdhsa_exception_fp_ieee_inexact 0
		.amdhsa_exception_int_div_zero 0
	.end_amdhsa_kernel
	.section	.text._ZN7rocprim17ROCPRIM_400000_NS6detail17trampoline_kernelINS0_14default_configENS1_25partition_config_selectorILNS1_17partition_subalgoE5EfNS0_10empty_typeEbEEZZNS1_14partition_implILS5_5ELb0ES3_mN6thrust23THRUST_200600_302600_NS6detail15normal_iteratorINSA_10device_ptrIfEEEEPS6_NSA_18transform_iteratorINSB_9not_fun_tINSA_8identityIfEEEESF_NSA_11use_defaultESM_EENS0_5tupleIJSF_S6_EEENSO_IJSG_SG_EEES6_PlJS6_EEE10hipError_tPvRmT3_T4_T5_T6_T7_T9_mT8_P12ihipStream_tbDpT10_ENKUlT_T0_E_clISt17integral_constantIbLb0EES1A_IbLb1EEEEDaS16_S17_EUlS16_E_NS1_11comp_targetILNS1_3genE8ELNS1_11target_archE1030ELNS1_3gpuE2ELNS1_3repE0EEENS1_30default_config_static_selectorELNS0_4arch9wavefront6targetE0EEEvT1_,"axG",@progbits,_ZN7rocprim17ROCPRIM_400000_NS6detail17trampoline_kernelINS0_14default_configENS1_25partition_config_selectorILNS1_17partition_subalgoE5EfNS0_10empty_typeEbEEZZNS1_14partition_implILS5_5ELb0ES3_mN6thrust23THRUST_200600_302600_NS6detail15normal_iteratorINSA_10device_ptrIfEEEEPS6_NSA_18transform_iteratorINSB_9not_fun_tINSA_8identityIfEEEESF_NSA_11use_defaultESM_EENS0_5tupleIJSF_S6_EEENSO_IJSG_SG_EEES6_PlJS6_EEE10hipError_tPvRmT3_T4_T5_T6_T7_T9_mT8_P12ihipStream_tbDpT10_ENKUlT_T0_E_clISt17integral_constantIbLb0EES1A_IbLb1EEEEDaS16_S17_EUlS16_E_NS1_11comp_targetILNS1_3genE8ELNS1_11target_archE1030ELNS1_3gpuE2ELNS1_3repE0EEENS1_30default_config_static_selectorELNS0_4arch9wavefront6targetE0EEEvT1_,comdat
.Lfunc_end852:
	.size	_ZN7rocprim17ROCPRIM_400000_NS6detail17trampoline_kernelINS0_14default_configENS1_25partition_config_selectorILNS1_17partition_subalgoE5EfNS0_10empty_typeEbEEZZNS1_14partition_implILS5_5ELb0ES3_mN6thrust23THRUST_200600_302600_NS6detail15normal_iteratorINSA_10device_ptrIfEEEEPS6_NSA_18transform_iteratorINSB_9not_fun_tINSA_8identityIfEEEESF_NSA_11use_defaultESM_EENS0_5tupleIJSF_S6_EEENSO_IJSG_SG_EEES6_PlJS6_EEE10hipError_tPvRmT3_T4_T5_T6_T7_T9_mT8_P12ihipStream_tbDpT10_ENKUlT_T0_E_clISt17integral_constantIbLb0EES1A_IbLb1EEEEDaS16_S17_EUlS16_E_NS1_11comp_targetILNS1_3genE8ELNS1_11target_archE1030ELNS1_3gpuE2ELNS1_3repE0EEENS1_30default_config_static_selectorELNS0_4arch9wavefront6targetE0EEEvT1_, .Lfunc_end852-_ZN7rocprim17ROCPRIM_400000_NS6detail17trampoline_kernelINS0_14default_configENS1_25partition_config_selectorILNS1_17partition_subalgoE5EfNS0_10empty_typeEbEEZZNS1_14partition_implILS5_5ELb0ES3_mN6thrust23THRUST_200600_302600_NS6detail15normal_iteratorINSA_10device_ptrIfEEEEPS6_NSA_18transform_iteratorINSB_9not_fun_tINSA_8identityIfEEEESF_NSA_11use_defaultESM_EENS0_5tupleIJSF_S6_EEENSO_IJSG_SG_EEES6_PlJS6_EEE10hipError_tPvRmT3_T4_T5_T6_T7_T9_mT8_P12ihipStream_tbDpT10_ENKUlT_T0_E_clISt17integral_constantIbLb0EES1A_IbLb1EEEEDaS16_S17_EUlS16_E_NS1_11comp_targetILNS1_3genE8ELNS1_11target_archE1030ELNS1_3gpuE2ELNS1_3repE0EEENS1_30default_config_static_selectorELNS0_4arch9wavefront6targetE0EEEvT1_
                                        ; -- End function
	.set _ZN7rocprim17ROCPRIM_400000_NS6detail17trampoline_kernelINS0_14default_configENS1_25partition_config_selectorILNS1_17partition_subalgoE5EfNS0_10empty_typeEbEEZZNS1_14partition_implILS5_5ELb0ES3_mN6thrust23THRUST_200600_302600_NS6detail15normal_iteratorINSA_10device_ptrIfEEEEPS6_NSA_18transform_iteratorINSB_9not_fun_tINSA_8identityIfEEEESF_NSA_11use_defaultESM_EENS0_5tupleIJSF_S6_EEENSO_IJSG_SG_EEES6_PlJS6_EEE10hipError_tPvRmT3_T4_T5_T6_T7_T9_mT8_P12ihipStream_tbDpT10_ENKUlT_T0_E_clISt17integral_constantIbLb0EES1A_IbLb1EEEEDaS16_S17_EUlS16_E_NS1_11comp_targetILNS1_3genE8ELNS1_11target_archE1030ELNS1_3gpuE2ELNS1_3repE0EEENS1_30default_config_static_selectorELNS0_4arch9wavefront6targetE0EEEvT1_.num_vgpr, 0
	.set _ZN7rocprim17ROCPRIM_400000_NS6detail17trampoline_kernelINS0_14default_configENS1_25partition_config_selectorILNS1_17partition_subalgoE5EfNS0_10empty_typeEbEEZZNS1_14partition_implILS5_5ELb0ES3_mN6thrust23THRUST_200600_302600_NS6detail15normal_iteratorINSA_10device_ptrIfEEEEPS6_NSA_18transform_iteratorINSB_9not_fun_tINSA_8identityIfEEEESF_NSA_11use_defaultESM_EENS0_5tupleIJSF_S6_EEENSO_IJSG_SG_EEES6_PlJS6_EEE10hipError_tPvRmT3_T4_T5_T6_T7_T9_mT8_P12ihipStream_tbDpT10_ENKUlT_T0_E_clISt17integral_constantIbLb0EES1A_IbLb1EEEEDaS16_S17_EUlS16_E_NS1_11comp_targetILNS1_3genE8ELNS1_11target_archE1030ELNS1_3gpuE2ELNS1_3repE0EEENS1_30default_config_static_selectorELNS0_4arch9wavefront6targetE0EEEvT1_.num_agpr, 0
	.set _ZN7rocprim17ROCPRIM_400000_NS6detail17trampoline_kernelINS0_14default_configENS1_25partition_config_selectorILNS1_17partition_subalgoE5EfNS0_10empty_typeEbEEZZNS1_14partition_implILS5_5ELb0ES3_mN6thrust23THRUST_200600_302600_NS6detail15normal_iteratorINSA_10device_ptrIfEEEEPS6_NSA_18transform_iteratorINSB_9not_fun_tINSA_8identityIfEEEESF_NSA_11use_defaultESM_EENS0_5tupleIJSF_S6_EEENSO_IJSG_SG_EEES6_PlJS6_EEE10hipError_tPvRmT3_T4_T5_T6_T7_T9_mT8_P12ihipStream_tbDpT10_ENKUlT_T0_E_clISt17integral_constantIbLb0EES1A_IbLb1EEEEDaS16_S17_EUlS16_E_NS1_11comp_targetILNS1_3genE8ELNS1_11target_archE1030ELNS1_3gpuE2ELNS1_3repE0EEENS1_30default_config_static_selectorELNS0_4arch9wavefront6targetE0EEEvT1_.numbered_sgpr, 0
	.set _ZN7rocprim17ROCPRIM_400000_NS6detail17trampoline_kernelINS0_14default_configENS1_25partition_config_selectorILNS1_17partition_subalgoE5EfNS0_10empty_typeEbEEZZNS1_14partition_implILS5_5ELb0ES3_mN6thrust23THRUST_200600_302600_NS6detail15normal_iteratorINSA_10device_ptrIfEEEEPS6_NSA_18transform_iteratorINSB_9not_fun_tINSA_8identityIfEEEESF_NSA_11use_defaultESM_EENS0_5tupleIJSF_S6_EEENSO_IJSG_SG_EEES6_PlJS6_EEE10hipError_tPvRmT3_T4_T5_T6_T7_T9_mT8_P12ihipStream_tbDpT10_ENKUlT_T0_E_clISt17integral_constantIbLb0EES1A_IbLb1EEEEDaS16_S17_EUlS16_E_NS1_11comp_targetILNS1_3genE8ELNS1_11target_archE1030ELNS1_3gpuE2ELNS1_3repE0EEENS1_30default_config_static_selectorELNS0_4arch9wavefront6targetE0EEEvT1_.num_named_barrier, 0
	.set _ZN7rocprim17ROCPRIM_400000_NS6detail17trampoline_kernelINS0_14default_configENS1_25partition_config_selectorILNS1_17partition_subalgoE5EfNS0_10empty_typeEbEEZZNS1_14partition_implILS5_5ELb0ES3_mN6thrust23THRUST_200600_302600_NS6detail15normal_iteratorINSA_10device_ptrIfEEEEPS6_NSA_18transform_iteratorINSB_9not_fun_tINSA_8identityIfEEEESF_NSA_11use_defaultESM_EENS0_5tupleIJSF_S6_EEENSO_IJSG_SG_EEES6_PlJS6_EEE10hipError_tPvRmT3_T4_T5_T6_T7_T9_mT8_P12ihipStream_tbDpT10_ENKUlT_T0_E_clISt17integral_constantIbLb0EES1A_IbLb1EEEEDaS16_S17_EUlS16_E_NS1_11comp_targetILNS1_3genE8ELNS1_11target_archE1030ELNS1_3gpuE2ELNS1_3repE0EEENS1_30default_config_static_selectorELNS0_4arch9wavefront6targetE0EEEvT1_.private_seg_size, 0
	.set _ZN7rocprim17ROCPRIM_400000_NS6detail17trampoline_kernelINS0_14default_configENS1_25partition_config_selectorILNS1_17partition_subalgoE5EfNS0_10empty_typeEbEEZZNS1_14partition_implILS5_5ELb0ES3_mN6thrust23THRUST_200600_302600_NS6detail15normal_iteratorINSA_10device_ptrIfEEEEPS6_NSA_18transform_iteratorINSB_9not_fun_tINSA_8identityIfEEEESF_NSA_11use_defaultESM_EENS0_5tupleIJSF_S6_EEENSO_IJSG_SG_EEES6_PlJS6_EEE10hipError_tPvRmT3_T4_T5_T6_T7_T9_mT8_P12ihipStream_tbDpT10_ENKUlT_T0_E_clISt17integral_constantIbLb0EES1A_IbLb1EEEEDaS16_S17_EUlS16_E_NS1_11comp_targetILNS1_3genE8ELNS1_11target_archE1030ELNS1_3gpuE2ELNS1_3repE0EEENS1_30default_config_static_selectorELNS0_4arch9wavefront6targetE0EEEvT1_.uses_vcc, 0
	.set _ZN7rocprim17ROCPRIM_400000_NS6detail17trampoline_kernelINS0_14default_configENS1_25partition_config_selectorILNS1_17partition_subalgoE5EfNS0_10empty_typeEbEEZZNS1_14partition_implILS5_5ELb0ES3_mN6thrust23THRUST_200600_302600_NS6detail15normal_iteratorINSA_10device_ptrIfEEEEPS6_NSA_18transform_iteratorINSB_9not_fun_tINSA_8identityIfEEEESF_NSA_11use_defaultESM_EENS0_5tupleIJSF_S6_EEENSO_IJSG_SG_EEES6_PlJS6_EEE10hipError_tPvRmT3_T4_T5_T6_T7_T9_mT8_P12ihipStream_tbDpT10_ENKUlT_T0_E_clISt17integral_constantIbLb0EES1A_IbLb1EEEEDaS16_S17_EUlS16_E_NS1_11comp_targetILNS1_3genE8ELNS1_11target_archE1030ELNS1_3gpuE2ELNS1_3repE0EEENS1_30default_config_static_selectorELNS0_4arch9wavefront6targetE0EEEvT1_.uses_flat_scratch, 0
	.set _ZN7rocprim17ROCPRIM_400000_NS6detail17trampoline_kernelINS0_14default_configENS1_25partition_config_selectorILNS1_17partition_subalgoE5EfNS0_10empty_typeEbEEZZNS1_14partition_implILS5_5ELb0ES3_mN6thrust23THRUST_200600_302600_NS6detail15normal_iteratorINSA_10device_ptrIfEEEEPS6_NSA_18transform_iteratorINSB_9not_fun_tINSA_8identityIfEEEESF_NSA_11use_defaultESM_EENS0_5tupleIJSF_S6_EEENSO_IJSG_SG_EEES6_PlJS6_EEE10hipError_tPvRmT3_T4_T5_T6_T7_T9_mT8_P12ihipStream_tbDpT10_ENKUlT_T0_E_clISt17integral_constantIbLb0EES1A_IbLb1EEEEDaS16_S17_EUlS16_E_NS1_11comp_targetILNS1_3genE8ELNS1_11target_archE1030ELNS1_3gpuE2ELNS1_3repE0EEENS1_30default_config_static_selectorELNS0_4arch9wavefront6targetE0EEEvT1_.has_dyn_sized_stack, 0
	.set _ZN7rocprim17ROCPRIM_400000_NS6detail17trampoline_kernelINS0_14default_configENS1_25partition_config_selectorILNS1_17partition_subalgoE5EfNS0_10empty_typeEbEEZZNS1_14partition_implILS5_5ELb0ES3_mN6thrust23THRUST_200600_302600_NS6detail15normal_iteratorINSA_10device_ptrIfEEEEPS6_NSA_18transform_iteratorINSB_9not_fun_tINSA_8identityIfEEEESF_NSA_11use_defaultESM_EENS0_5tupleIJSF_S6_EEENSO_IJSG_SG_EEES6_PlJS6_EEE10hipError_tPvRmT3_T4_T5_T6_T7_T9_mT8_P12ihipStream_tbDpT10_ENKUlT_T0_E_clISt17integral_constantIbLb0EES1A_IbLb1EEEEDaS16_S17_EUlS16_E_NS1_11comp_targetILNS1_3genE8ELNS1_11target_archE1030ELNS1_3gpuE2ELNS1_3repE0EEENS1_30default_config_static_selectorELNS0_4arch9wavefront6targetE0EEEvT1_.has_recursion, 0
	.set _ZN7rocprim17ROCPRIM_400000_NS6detail17trampoline_kernelINS0_14default_configENS1_25partition_config_selectorILNS1_17partition_subalgoE5EfNS0_10empty_typeEbEEZZNS1_14partition_implILS5_5ELb0ES3_mN6thrust23THRUST_200600_302600_NS6detail15normal_iteratorINSA_10device_ptrIfEEEEPS6_NSA_18transform_iteratorINSB_9not_fun_tINSA_8identityIfEEEESF_NSA_11use_defaultESM_EENS0_5tupleIJSF_S6_EEENSO_IJSG_SG_EEES6_PlJS6_EEE10hipError_tPvRmT3_T4_T5_T6_T7_T9_mT8_P12ihipStream_tbDpT10_ENKUlT_T0_E_clISt17integral_constantIbLb0EES1A_IbLb1EEEEDaS16_S17_EUlS16_E_NS1_11comp_targetILNS1_3genE8ELNS1_11target_archE1030ELNS1_3gpuE2ELNS1_3repE0EEENS1_30default_config_static_selectorELNS0_4arch9wavefront6targetE0EEEvT1_.has_indirect_call, 0
	.section	.AMDGPU.csdata,"",@progbits
; Kernel info:
; codeLenInByte = 0
; TotalNumSgprs: 0
; NumVgprs: 0
; ScratchSize: 0
; MemoryBound: 0
; FloatMode: 240
; IeeeMode: 1
; LDSByteSize: 0 bytes/workgroup (compile time only)
; SGPRBlocks: 0
; VGPRBlocks: 0
; NumSGPRsForWavesPerEU: 1
; NumVGPRsForWavesPerEU: 1
; Occupancy: 16
; WaveLimiterHint : 0
; COMPUTE_PGM_RSRC2:SCRATCH_EN: 0
; COMPUTE_PGM_RSRC2:USER_SGPR: 2
; COMPUTE_PGM_RSRC2:TRAP_HANDLER: 0
; COMPUTE_PGM_RSRC2:TGID_X_EN: 1
; COMPUTE_PGM_RSRC2:TGID_Y_EN: 0
; COMPUTE_PGM_RSRC2:TGID_Z_EN: 0
; COMPUTE_PGM_RSRC2:TIDIG_COMP_CNT: 0
	.section	.text._ZN7rocprim17ROCPRIM_400000_NS6detail17trampoline_kernelINS0_14default_configENS1_25partition_config_selectorILNS1_17partition_subalgoE5EyNS0_10empty_typeEbEEZZNS1_14partition_implILS5_5ELb0ES3_mN6thrust23THRUST_200600_302600_NS6detail15normal_iteratorINSA_10device_ptrIyEEEEPS6_NSA_18transform_iteratorINSB_9not_fun_tINSA_8identityIyEEEESF_NSA_11use_defaultESM_EENS0_5tupleIJSF_S6_EEENSO_IJSG_SG_EEES6_PlJS6_EEE10hipError_tPvRmT3_T4_T5_T6_T7_T9_mT8_P12ihipStream_tbDpT10_ENKUlT_T0_E_clISt17integral_constantIbLb0EES1B_EEDaS16_S17_EUlS16_E_NS1_11comp_targetILNS1_3genE0ELNS1_11target_archE4294967295ELNS1_3gpuE0ELNS1_3repE0EEENS1_30default_config_static_selectorELNS0_4arch9wavefront6targetE0EEEvT1_,"axG",@progbits,_ZN7rocprim17ROCPRIM_400000_NS6detail17trampoline_kernelINS0_14default_configENS1_25partition_config_selectorILNS1_17partition_subalgoE5EyNS0_10empty_typeEbEEZZNS1_14partition_implILS5_5ELb0ES3_mN6thrust23THRUST_200600_302600_NS6detail15normal_iteratorINSA_10device_ptrIyEEEEPS6_NSA_18transform_iteratorINSB_9not_fun_tINSA_8identityIyEEEESF_NSA_11use_defaultESM_EENS0_5tupleIJSF_S6_EEENSO_IJSG_SG_EEES6_PlJS6_EEE10hipError_tPvRmT3_T4_T5_T6_T7_T9_mT8_P12ihipStream_tbDpT10_ENKUlT_T0_E_clISt17integral_constantIbLb0EES1B_EEDaS16_S17_EUlS16_E_NS1_11comp_targetILNS1_3genE0ELNS1_11target_archE4294967295ELNS1_3gpuE0ELNS1_3repE0EEENS1_30default_config_static_selectorELNS0_4arch9wavefront6targetE0EEEvT1_,comdat
	.protected	_ZN7rocprim17ROCPRIM_400000_NS6detail17trampoline_kernelINS0_14default_configENS1_25partition_config_selectorILNS1_17partition_subalgoE5EyNS0_10empty_typeEbEEZZNS1_14partition_implILS5_5ELb0ES3_mN6thrust23THRUST_200600_302600_NS6detail15normal_iteratorINSA_10device_ptrIyEEEEPS6_NSA_18transform_iteratorINSB_9not_fun_tINSA_8identityIyEEEESF_NSA_11use_defaultESM_EENS0_5tupleIJSF_S6_EEENSO_IJSG_SG_EEES6_PlJS6_EEE10hipError_tPvRmT3_T4_T5_T6_T7_T9_mT8_P12ihipStream_tbDpT10_ENKUlT_T0_E_clISt17integral_constantIbLb0EES1B_EEDaS16_S17_EUlS16_E_NS1_11comp_targetILNS1_3genE0ELNS1_11target_archE4294967295ELNS1_3gpuE0ELNS1_3repE0EEENS1_30default_config_static_selectorELNS0_4arch9wavefront6targetE0EEEvT1_ ; -- Begin function _ZN7rocprim17ROCPRIM_400000_NS6detail17trampoline_kernelINS0_14default_configENS1_25partition_config_selectorILNS1_17partition_subalgoE5EyNS0_10empty_typeEbEEZZNS1_14partition_implILS5_5ELb0ES3_mN6thrust23THRUST_200600_302600_NS6detail15normal_iteratorINSA_10device_ptrIyEEEEPS6_NSA_18transform_iteratorINSB_9not_fun_tINSA_8identityIyEEEESF_NSA_11use_defaultESM_EENS0_5tupleIJSF_S6_EEENSO_IJSG_SG_EEES6_PlJS6_EEE10hipError_tPvRmT3_T4_T5_T6_T7_T9_mT8_P12ihipStream_tbDpT10_ENKUlT_T0_E_clISt17integral_constantIbLb0EES1B_EEDaS16_S17_EUlS16_E_NS1_11comp_targetILNS1_3genE0ELNS1_11target_archE4294967295ELNS1_3gpuE0ELNS1_3repE0EEENS1_30default_config_static_selectorELNS0_4arch9wavefront6targetE0EEEvT1_
	.globl	_ZN7rocprim17ROCPRIM_400000_NS6detail17trampoline_kernelINS0_14default_configENS1_25partition_config_selectorILNS1_17partition_subalgoE5EyNS0_10empty_typeEbEEZZNS1_14partition_implILS5_5ELb0ES3_mN6thrust23THRUST_200600_302600_NS6detail15normal_iteratorINSA_10device_ptrIyEEEEPS6_NSA_18transform_iteratorINSB_9not_fun_tINSA_8identityIyEEEESF_NSA_11use_defaultESM_EENS0_5tupleIJSF_S6_EEENSO_IJSG_SG_EEES6_PlJS6_EEE10hipError_tPvRmT3_T4_T5_T6_T7_T9_mT8_P12ihipStream_tbDpT10_ENKUlT_T0_E_clISt17integral_constantIbLb0EES1B_EEDaS16_S17_EUlS16_E_NS1_11comp_targetILNS1_3genE0ELNS1_11target_archE4294967295ELNS1_3gpuE0ELNS1_3repE0EEENS1_30default_config_static_selectorELNS0_4arch9wavefront6targetE0EEEvT1_
	.p2align	8
	.type	_ZN7rocprim17ROCPRIM_400000_NS6detail17trampoline_kernelINS0_14default_configENS1_25partition_config_selectorILNS1_17partition_subalgoE5EyNS0_10empty_typeEbEEZZNS1_14partition_implILS5_5ELb0ES3_mN6thrust23THRUST_200600_302600_NS6detail15normal_iteratorINSA_10device_ptrIyEEEEPS6_NSA_18transform_iteratorINSB_9not_fun_tINSA_8identityIyEEEESF_NSA_11use_defaultESM_EENS0_5tupleIJSF_S6_EEENSO_IJSG_SG_EEES6_PlJS6_EEE10hipError_tPvRmT3_T4_T5_T6_T7_T9_mT8_P12ihipStream_tbDpT10_ENKUlT_T0_E_clISt17integral_constantIbLb0EES1B_EEDaS16_S17_EUlS16_E_NS1_11comp_targetILNS1_3genE0ELNS1_11target_archE4294967295ELNS1_3gpuE0ELNS1_3repE0EEENS1_30default_config_static_selectorELNS0_4arch9wavefront6targetE0EEEvT1_,@function
_ZN7rocprim17ROCPRIM_400000_NS6detail17trampoline_kernelINS0_14default_configENS1_25partition_config_selectorILNS1_17partition_subalgoE5EyNS0_10empty_typeEbEEZZNS1_14partition_implILS5_5ELb0ES3_mN6thrust23THRUST_200600_302600_NS6detail15normal_iteratorINSA_10device_ptrIyEEEEPS6_NSA_18transform_iteratorINSB_9not_fun_tINSA_8identityIyEEEESF_NSA_11use_defaultESM_EENS0_5tupleIJSF_S6_EEENSO_IJSG_SG_EEES6_PlJS6_EEE10hipError_tPvRmT3_T4_T5_T6_T7_T9_mT8_P12ihipStream_tbDpT10_ENKUlT_T0_E_clISt17integral_constantIbLb0EES1B_EEDaS16_S17_EUlS16_E_NS1_11comp_targetILNS1_3genE0ELNS1_11target_archE4294967295ELNS1_3gpuE0ELNS1_3repE0EEENS1_30default_config_static_selectorELNS0_4arch9wavefront6targetE0EEEvT1_: ; @_ZN7rocprim17ROCPRIM_400000_NS6detail17trampoline_kernelINS0_14default_configENS1_25partition_config_selectorILNS1_17partition_subalgoE5EyNS0_10empty_typeEbEEZZNS1_14partition_implILS5_5ELb0ES3_mN6thrust23THRUST_200600_302600_NS6detail15normal_iteratorINSA_10device_ptrIyEEEEPS6_NSA_18transform_iteratorINSB_9not_fun_tINSA_8identityIyEEEESF_NSA_11use_defaultESM_EENS0_5tupleIJSF_S6_EEENSO_IJSG_SG_EEES6_PlJS6_EEE10hipError_tPvRmT3_T4_T5_T6_T7_T9_mT8_P12ihipStream_tbDpT10_ENKUlT_T0_E_clISt17integral_constantIbLb0EES1B_EEDaS16_S17_EUlS16_E_NS1_11comp_targetILNS1_3genE0ELNS1_11target_archE4294967295ELNS1_3gpuE0ELNS1_3repE0EEENS1_30default_config_static_selectorELNS0_4arch9wavefront6targetE0EEEvT1_
; %bb.0:
	.section	.rodata,"a",@progbits
	.p2align	6, 0x0
	.amdhsa_kernel _ZN7rocprim17ROCPRIM_400000_NS6detail17trampoline_kernelINS0_14default_configENS1_25partition_config_selectorILNS1_17partition_subalgoE5EyNS0_10empty_typeEbEEZZNS1_14partition_implILS5_5ELb0ES3_mN6thrust23THRUST_200600_302600_NS6detail15normal_iteratorINSA_10device_ptrIyEEEEPS6_NSA_18transform_iteratorINSB_9not_fun_tINSA_8identityIyEEEESF_NSA_11use_defaultESM_EENS0_5tupleIJSF_S6_EEENSO_IJSG_SG_EEES6_PlJS6_EEE10hipError_tPvRmT3_T4_T5_T6_T7_T9_mT8_P12ihipStream_tbDpT10_ENKUlT_T0_E_clISt17integral_constantIbLb0EES1B_EEDaS16_S17_EUlS16_E_NS1_11comp_targetILNS1_3genE0ELNS1_11target_archE4294967295ELNS1_3gpuE0ELNS1_3repE0EEENS1_30default_config_static_selectorELNS0_4arch9wavefront6targetE0EEEvT1_
		.amdhsa_group_segment_fixed_size 0
		.amdhsa_private_segment_fixed_size 0
		.amdhsa_kernarg_size 120
		.amdhsa_user_sgpr_count 2
		.amdhsa_user_sgpr_dispatch_ptr 0
		.amdhsa_user_sgpr_queue_ptr 0
		.amdhsa_user_sgpr_kernarg_segment_ptr 1
		.amdhsa_user_sgpr_dispatch_id 0
		.amdhsa_user_sgpr_private_segment_size 0
		.amdhsa_wavefront_size32 1
		.amdhsa_uses_dynamic_stack 0
		.amdhsa_enable_private_segment 0
		.amdhsa_system_sgpr_workgroup_id_x 1
		.amdhsa_system_sgpr_workgroup_id_y 0
		.amdhsa_system_sgpr_workgroup_id_z 0
		.amdhsa_system_sgpr_workgroup_info 0
		.amdhsa_system_vgpr_workitem_id 0
		.amdhsa_next_free_vgpr 1
		.amdhsa_next_free_sgpr 1
		.amdhsa_reserve_vcc 0
		.amdhsa_float_round_mode_32 0
		.amdhsa_float_round_mode_16_64 0
		.amdhsa_float_denorm_mode_32 3
		.amdhsa_float_denorm_mode_16_64 3
		.amdhsa_fp16_overflow 0
		.amdhsa_workgroup_processor_mode 1
		.amdhsa_memory_ordered 1
		.amdhsa_forward_progress 1
		.amdhsa_inst_pref_size 0
		.amdhsa_round_robin_scheduling 0
		.amdhsa_exception_fp_ieee_invalid_op 0
		.amdhsa_exception_fp_denorm_src 0
		.amdhsa_exception_fp_ieee_div_zero 0
		.amdhsa_exception_fp_ieee_overflow 0
		.amdhsa_exception_fp_ieee_underflow 0
		.amdhsa_exception_fp_ieee_inexact 0
		.amdhsa_exception_int_div_zero 0
	.end_amdhsa_kernel
	.section	.text._ZN7rocprim17ROCPRIM_400000_NS6detail17trampoline_kernelINS0_14default_configENS1_25partition_config_selectorILNS1_17partition_subalgoE5EyNS0_10empty_typeEbEEZZNS1_14partition_implILS5_5ELb0ES3_mN6thrust23THRUST_200600_302600_NS6detail15normal_iteratorINSA_10device_ptrIyEEEEPS6_NSA_18transform_iteratorINSB_9not_fun_tINSA_8identityIyEEEESF_NSA_11use_defaultESM_EENS0_5tupleIJSF_S6_EEENSO_IJSG_SG_EEES6_PlJS6_EEE10hipError_tPvRmT3_T4_T5_T6_T7_T9_mT8_P12ihipStream_tbDpT10_ENKUlT_T0_E_clISt17integral_constantIbLb0EES1B_EEDaS16_S17_EUlS16_E_NS1_11comp_targetILNS1_3genE0ELNS1_11target_archE4294967295ELNS1_3gpuE0ELNS1_3repE0EEENS1_30default_config_static_selectorELNS0_4arch9wavefront6targetE0EEEvT1_,"axG",@progbits,_ZN7rocprim17ROCPRIM_400000_NS6detail17trampoline_kernelINS0_14default_configENS1_25partition_config_selectorILNS1_17partition_subalgoE5EyNS0_10empty_typeEbEEZZNS1_14partition_implILS5_5ELb0ES3_mN6thrust23THRUST_200600_302600_NS6detail15normal_iteratorINSA_10device_ptrIyEEEEPS6_NSA_18transform_iteratorINSB_9not_fun_tINSA_8identityIyEEEESF_NSA_11use_defaultESM_EENS0_5tupleIJSF_S6_EEENSO_IJSG_SG_EEES6_PlJS6_EEE10hipError_tPvRmT3_T4_T5_T6_T7_T9_mT8_P12ihipStream_tbDpT10_ENKUlT_T0_E_clISt17integral_constantIbLb0EES1B_EEDaS16_S17_EUlS16_E_NS1_11comp_targetILNS1_3genE0ELNS1_11target_archE4294967295ELNS1_3gpuE0ELNS1_3repE0EEENS1_30default_config_static_selectorELNS0_4arch9wavefront6targetE0EEEvT1_,comdat
.Lfunc_end853:
	.size	_ZN7rocprim17ROCPRIM_400000_NS6detail17trampoline_kernelINS0_14default_configENS1_25partition_config_selectorILNS1_17partition_subalgoE5EyNS0_10empty_typeEbEEZZNS1_14partition_implILS5_5ELb0ES3_mN6thrust23THRUST_200600_302600_NS6detail15normal_iteratorINSA_10device_ptrIyEEEEPS6_NSA_18transform_iteratorINSB_9not_fun_tINSA_8identityIyEEEESF_NSA_11use_defaultESM_EENS0_5tupleIJSF_S6_EEENSO_IJSG_SG_EEES6_PlJS6_EEE10hipError_tPvRmT3_T4_T5_T6_T7_T9_mT8_P12ihipStream_tbDpT10_ENKUlT_T0_E_clISt17integral_constantIbLb0EES1B_EEDaS16_S17_EUlS16_E_NS1_11comp_targetILNS1_3genE0ELNS1_11target_archE4294967295ELNS1_3gpuE0ELNS1_3repE0EEENS1_30default_config_static_selectorELNS0_4arch9wavefront6targetE0EEEvT1_, .Lfunc_end853-_ZN7rocprim17ROCPRIM_400000_NS6detail17trampoline_kernelINS0_14default_configENS1_25partition_config_selectorILNS1_17partition_subalgoE5EyNS0_10empty_typeEbEEZZNS1_14partition_implILS5_5ELb0ES3_mN6thrust23THRUST_200600_302600_NS6detail15normal_iteratorINSA_10device_ptrIyEEEEPS6_NSA_18transform_iteratorINSB_9not_fun_tINSA_8identityIyEEEESF_NSA_11use_defaultESM_EENS0_5tupleIJSF_S6_EEENSO_IJSG_SG_EEES6_PlJS6_EEE10hipError_tPvRmT3_T4_T5_T6_T7_T9_mT8_P12ihipStream_tbDpT10_ENKUlT_T0_E_clISt17integral_constantIbLb0EES1B_EEDaS16_S17_EUlS16_E_NS1_11comp_targetILNS1_3genE0ELNS1_11target_archE4294967295ELNS1_3gpuE0ELNS1_3repE0EEENS1_30default_config_static_selectorELNS0_4arch9wavefront6targetE0EEEvT1_
                                        ; -- End function
	.set _ZN7rocprim17ROCPRIM_400000_NS6detail17trampoline_kernelINS0_14default_configENS1_25partition_config_selectorILNS1_17partition_subalgoE5EyNS0_10empty_typeEbEEZZNS1_14partition_implILS5_5ELb0ES3_mN6thrust23THRUST_200600_302600_NS6detail15normal_iteratorINSA_10device_ptrIyEEEEPS6_NSA_18transform_iteratorINSB_9not_fun_tINSA_8identityIyEEEESF_NSA_11use_defaultESM_EENS0_5tupleIJSF_S6_EEENSO_IJSG_SG_EEES6_PlJS6_EEE10hipError_tPvRmT3_T4_T5_T6_T7_T9_mT8_P12ihipStream_tbDpT10_ENKUlT_T0_E_clISt17integral_constantIbLb0EES1B_EEDaS16_S17_EUlS16_E_NS1_11comp_targetILNS1_3genE0ELNS1_11target_archE4294967295ELNS1_3gpuE0ELNS1_3repE0EEENS1_30default_config_static_selectorELNS0_4arch9wavefront6targetE0EEEvT1_.num_vgpr, 0
	.set _ZN7rocprim17ROCPRIM_400000_NS6detail17trampoline_kernelINS0_14default_configENS1_25partition_config_selectorILNS1_17partition_subalgoE5EyNS0_10empty_typeEbEEZZNS1_14partition_implILS5_5ELb0ES3_mN6thrust23THRUST_200600_302600_NS6detail15normal_iteratorINSA_10device_ptrIyEEEEPS6_NSA_18transform_iteratorINSB_9not_fun_tINSA_8identityIyEEEESF_NSA_11use_defaultESM_EENS0_5tupleIJSF_S6_EEENSO_IJSG_SG_EEES6_PlJS6_EEE10hipError_tPvRmT3_T4_T5_T6_T7_T9_mT8_P12ihipStream_tbDpT10_ENKUlT_T0_E_clISt17integral_constantIbLb0EES1B_EEDaS16_S17_EUlS16_E_NS1_11comp_targetILNS1_3genE0ELNS1_11target_archE4294967295ELNS1_3gpuE0ELNS1_3repE0EEENS1_30default_config_static_selectorELNS0_4arch9wavefront6targetE0EEEvT1_.num_agpr, 0
	.set _ZN7rocprim17ROCPRIM_400000_NS6detail17trampoline_kernelINS0_14default_configENS1_25partition_config_selectorILNS1_17partition_subalgoE5EyNS0_10empty_typeEbEEZZNS1_14partition_implILS5_5ELb0ES3_mN6thrust23THRUST_200600_302600_NS6detail15normal_iteratorINSA_10device_ptrIyEEEEPS6_NSA_18transform_iteratorINSB_9not_fun_tINSA_8identityIyEEEESF_NSA_11use_defaultESM_EENS0_5tupleIJSF_S6_EEENSO_IJSG_SG_EEES6_PlJS6_EEE10hipError_tPvRmT3_T4_T5_T6_T7_T9_mT8_P12ihipStream_tbDpT10_ENKUlT_T0_E_clISt17integral_constantIbLb0EES1B_EEDaS16_S17_EUlS16_E_NS1_11comp_targetILNS1_3genE0ELNS1_11target_archE4294967295ELNS1_3gpuE0ELNS1_3repE0EEENS1_30default_config_static_selectorELNS0_4arch9wavefront6targetE0EEEvT1_.numbered_sgpr, 0
	.set _ZN7rocprim17ROCPRIM_400000_NS6detail17trampoline_kernelINS0_14default_configENS1_25partition_config_selectorILNS1_17partition_subalgoE5EyNS0_10empty_typeEbEEZZNS1_14partition_implILS5_5ELb0ES3_mN6thrust23THRUST_200600_302600_NS6detail15normal_iteratorINSA_10device_ptrIyEEEEPS6_NSA_18transform_iteratorINSB_9not_fun_tINSA_8identityIyEEEESF_NSA_11use_defaultESM_EENS0_5tupleIJSF_S6_EEENSO_IJSG_SG_EEES6_PlJS6_EEE10hipError_tPvRmT3_T4_T5_T6_T7_T9_mT8_P12ihipStream_tbDpT10_ENKUlT_T0_E_clISt17integral_constantIbLb0EES1B_EEDaS16_S17_EUlS16_E_NS1_11comp_targetILNS1_3genE0ELNS1_11target_archE4294967295ELNS1_3gpuE0ELNS1_3repE0EEENS1_30default_config_static_selectorELNS0_4arch9wavefront6targetE0EEEvT1_.num_named_barrier, 0
	.set _ZN7rocprim17ROCPRIM_400000_NS6detail17trampoline_kernelINS0_14default_configENS1_25partition_config_selectorILNS1_17partition_subalgoE5EyNS0_10empty_typeEbEEZZNS1_14partition_implILS5_5ELb0ES3_mN6thrust23THRUST_200600_302600_NS6detail15normal_iteratorINSA_10device_ptrIyEEEEPS6_NSA_18transform_iteratorINSB_9not_fun_tINSA_8identityIyEEEESF_NSA_11use_defaultESM_EENS0_5tupleIJSF_S6_EEENSO_IJSG_SG_EEES6_PlJS6_EEE10hipError_tPvRmT3_T4_T5_T6_T7_T9_mT8_P12ihipStream_tbDpT10_ENKUlT_T0_E_clISt17integral_constantIbLb0EES1B_EEDaS16_S17_EUlS16_E_NS1_11comp_targetILNS1_3genE0ELNS1_11target_archE4294967295ELNS1_3gpuE0ELNS1_3repE0EEENS1_30default_config_static_selectorELNS0_4arch9wavefront6targetE0EEEvT1_.private_seg_size, 0
	.set _ZN7rocprim17ROCPRIM_400000_NS6detail17trampoline_kernelINS0_14default_configENS1_25partition_config_selectorILNS1_17partition_subalgoE5EyNS0_10empty_typeEbEEZZNS1_14partition_implILS5_5ELb0ES3_mN6thrust23THRUST_200600_302600_NS6detail15normal_iteratorINSA_10device_ptrIyEEEEPS6_NSA_18transform_iteratorINSB_9not_fun_tINSA_8identityIyEEEESF_NSA_11use_defaultESM_EENS0_5tupleIJSF_S6_EEENSO_IJSG_SG_EEES6_PlJS6_EEE10hipError_tPvRmT3_T4_T5_T6_T7_T9_mT8_P12ihipStream_tbDpT10_ENKUlT_T0_E_clISt17integral_constantIbLb0EES1B_EEDaS16_S17_EUlS16_E_NS1_11comp_targetILNS1_3genE0ELNS1_11target_archE4294967295ELNS1_3gpuE0ELNS1_3repE0EEENS1_30default_config_static_selectorELNS0_4arch9wavefront6targetE0EEEvT1_.uses_vcc, 0
	.set _ZN7rocprim17ROCPRIM_400000_NS6detail17trampoline_kernelINS0_14default_configENS1_25partition_config_selectorILNS1_17partition_subalgoE5EyNS0_10empty_typeEbEEZZNS1_14partition_implILS5_5ELb0ES3_mN6thrust23THRUST_200600_302600_NS6detail15normal_iteratorINSA_10device_ptrIyEEEEPS6_NSA_18transform_iteratorINSB_9not_fun_tINSA_8identityIyEEEESF_NSA_11use_defaultESM_EENS0_5tupleIJSF_S6_EEENSO_IJSG_SG_EEES6_PlJS6_EEE10hipError_tPvRmT3_T4_T5_T6_T7_T9_mT8_P12ihipStream_tbDpT10_ENKUlT_T0_E_clISt17integral_constantIbLb0EES1B_EEDaS16_S17_EUlS16_E_NS1_11comp_targetILNS1_3genE0ELNS1_11target_archE4294967295ELNS1_3gpuE0ELNS1_3repE0EEENS1_30default_config_static_selectorELNS0_4arch9wavefront6targetE0EEEvT1_.uses_flat_scratch, 0
	.set _ZN7rocprim17ROCPRIM_400000_NS6detail17trampoline_kernelINS0_14default_configENS1_25partition_config_selectorILNS1_17partition_subalgoE5EyNS0_10empty_typeEbEEZZNS1_14partition_implILS5_5ELb0ES3_mN6thrust23THRUST_200600_302600_NS6detail15normal_iteratorINSA_10device_ptrIyEEEEPS6_NSA_18transform_iteratorINSB_9not_fun_tINSA_8identityIyEEEESF_NSA_11use_defaultESM_EENS0_5tupleIJSF_S6_EEENSO_IJSG_SG_EEES6_PlJS6_EEE10hipError_tPvRmT3_T4_T5_T6_T7_T9_mT8_P12ihipStream_tbDpT10_ENKUlT_T0_E_clISt17integral_constantIbLb0EES1B_EEDaS16_S17_EUlS16_E_NS1_11comp_targetILNS1_3genE0ELNS1_11target_archE4294967295ELNS1_3gpuE0ELNS1_3repE0EEENS1_30default_config_static_selectorELNS0_4arch9wavefront6targetE0EEEvT1_.has_dyn_sized_stack, 0
	.set _ZN7rocprim17ROCPRIM_400000_NS6detail17trampoline_kernelINS0_14default_configENS1_25partition_config_selectorILNS1_17partition_subalgoE5EyNS0_10empty_typeEbEEZZNS1_14partition_implILS5_5ELb0ES3_mN6thrust23THRUST_200600_302600_NS6detail15normal_iteratorINSA_10device_ptrIyEEEEPS6_NSA_18transform_iteratorINSB_9not_fun_tINSA_8identityIyEEEESF_NSA_11use_defaultESM_EENS0_5tupleIJSF_S6_EEENSO_IJSG_SG_EEES6_PlJS6_EEE10hipError_tPvRmT3_T4_T5_T6_T7_T9_mT8_P12ihipStream_tbDpT10_ENKUlT_T0_E_clISt17integral_constantIbLb0EES1B_EEDaS16_S17_EUlS16_E_NS1_11comp_targetILNS1_3genE0ELNS1_11target_archE4294967295ELNS1_3gpuE0ELNS1_3repE0EEENS1_30default_config_static_selectorELNS0_4arch9wavefront6targetE0EEEvT1_.has_recursion, 0
	.set _ZN7rocprim17ROCPRIM_400000_NS6detail17trampoline_kernelINS0_14default_configENS1_25partition_config_selectorILNS1_17partition_subalgoE5EyNS0_10empty_typeEbEEZZNS1_14partition_implILS5_5ELb0ES3_mN6thrust23THRUST_200600_302600_NS6detail15normal_iteratorINSA_10device_ptrIyEEEEPS6_NSA_18transform_iteratorINSB_9not_fun_tINSA_8identityIyEEEESF_NSA_11use_defaultESM_EENS0_5tupleIJSF_S6_EEENSO_IJSG_SG_EEES6_PlJS6_EEE10hipError_tPvRmT3_T4_T5_T6_T7_T9_mT8_P12ihipStream_tbDpT10_ENKUlT_T0_E_clISt17integral_constantIbLb0EES1B_EEDaS16_S17_EUlS16_E_NS1_11comp_targetILNS1_3genE0ELNS1_11target_archE4294967295ELNS1_3gpuE0ELNS1_3repE0EEENS1_30default_config_static_selectorELNS0_4arch9wavefront6targetE0EEEvT1_.has_indirect_call, 0
	.section	.AMDGPU.csdata,"",@progbits
; Kernel info:
; codeLenInByte = 0
; TotalNumSgprs: 0
; NumVgprs: 0
; ScratchSize: 0
; MemoryBound: 0
; FloatMode: 240
; IeeeMode: 1
; LDSByteSize: 0 bytes/workgroup (compile time only)
; SGPRBlocks: 0
; VGPRBlocks: 0
; NumSGPRsForWavesPerEU: 1
; NumVGPRsForWavesPerEU: 1
; Occupancy: 16
; WaveLimiterHint : 0
; COMPUTE_PGM_RSRC2:SCRATCH_EN: 0
; COMPUTE_PGM_RSRC2:USER_SGPR: 2
; COMPUTE_PGM_RSRC2:TRAP_HANDLER: 0
; COMPUTE_PGM_RSRC2:TGID_X_EN: 1
; COMPUTE_PGM_RSRC2:TGID_Y_EN: 0
; COMPUTE_PGM_RSRC2:TGID_Z_EN: 0
; COMPUTE_PGM_RSRC2:TIDIG_COMP_CNT: 0
	.section	.text._ZN7rocprim17ROCPRIM_400000_NS6detail17trampoline_kernelINS0_14default_configENS1_25partition_config_selectorILNS1_17partition_subalgoE5EyNS0_10empty_typeEbEEZZNS1_14partition_implILS5_5ELb0ES3_mN6thrust23THRUST_200600_302600_NS6detail15normal_iteratorINSA_10device_ptrIyEEEEPS6_NSA_18transform_iteratorINSB_9not_fun_tINSA_8identityIyEEEESF_NSA_11use_defaultESM_EENS0_5tupleIJSF_S6_EEENSO_IJSG_SG_EEES6_PlJS6_EEE10hipError_tPvRmT3_T4_T5_T6_T7_T9_mT8_P12ihipStream_tbDpT10_ENKUlT_T0_E_clISt17integral_constantIbLb0EES1B_EEDaS16_S17_EUlS16_E_NS1_11comp_targetILNS1_3genE5ELNS1_11target_archE942ELNS1_3gpuE9ELNS1_3repE0EEENS1_30default_config_static_selectorELNS0_4arch9wavefront6targetE0EEEvT1_,"axG",@progbits,_ZN7rocprim17ROCPRIM_400000_NS6detail17trampoline_kernelINS0_14default_configENS1_25partition_config_selectorILNS1_17partition_subalgoE5EyNS0_10empty_typeEbEEZZNS1_14partition_implILS5_5ELb0ES3_mN6thrust23THRUST_200600_302600_NS6detail15normal_iteratorINSA_10device_ptrIyEEEEPS6_NSA_18transform_iteratorINSB_9not_fun_tINSA_8identityIyEEEESF_NSA_11use_defaultESM_EENS0_5tupleIJSF_S6_EEENSO_IJSG_SG_EEES6_PlJS6_EEE10hipError_tPvRmT3_T4_T5_T6_T7_T9_mT8_P12ihipStream_tbDpT10_ENKUlT_T0_E_clISt17integral_constantIbLb0EES1B_EEDaS16_S17_EUlS16_E_NS1_11comp_targetILNS1_3genE5ELNS1_11target_archE942ELNS1_3gpuE9ELNS1_3repE0EEENS1_30default_config_static_selectorELNS0_4arch9wavefront6targetE0EEEvT1_,comdat
	.protected	_ZN7rocprim17ROCPRIM_400000_NS6detail17trampoline_kernelINS0_14default_configENS1_25partition_config_selectorILNS1_17partition_subalgoE5EyNS0_10empty_typeEbEEZZNS1_14partition_implILS5_5ELb0ES3_mN6thrust23THRUST_200600_302600_NS6detail15normal_iteratorINSA_10device_ptrIyEEEEPS6_NSA_18transform_iteratorINSB_9not_fun_tINSA_8identityIyEEEESF_NSA_11use_defaultESM_EENS0_5tupleIJSF_S6_EEENSO_IJSG_SG_EEES6_PlJS6_EEE10hipError_tPvRmT3_T4_T5_T6_T7_T9_mT8_P12ihipStream_tbDpT10_ENKUlT_T0_E_clISt17integral_constantIbLb0EES1B_EEDaS16_S17_EUlS16_E_NS1_11comp_targetILNS1_3genE5ELNS1_11target_archE942ELNS1_3gpuE9ELNS1_3repE0EEENS1_30default_config_static_selectorELNS0_4arch9wavefront6targetE0EEEvT1_ ; -- Begin function _ZN7rocprim17ROCPRIM_400000_NS6detail17trampoline_kernelINS0_14default_configENS1_25partition_config_selectorILNS1_17partition_subalgoE5EyNS0_10empty_typeEbEEZZNS1_14partition_implILS5_5ELb0ES3_mN6thrust23THRUST_200600_302600_NS6detail15normal_iteratorINSA_10device_ptrIyEEEEPS6_NSA_18transform_iteratorINSB_9not_fun_tINSA_8identityIyEEEESF_NSA_11use_defaultESM_EENS0_5tupleIJSF_S6_EEENSO_IJSG_SG_EEES6_PlJS6_EEE10hipError_tPvRmT3_T4_T5_T6_T7_T9_mT8_P12ihipStream_tbDpT10_ENKUlT_T0_E_clISt17integral_constantIbLb0EES1B_EEDaS16_S17_EUlS16_E_NS1_11comp_targetILNS1_3genE5ELNS1_11target_archE942ELNS1_3gpuE9ELNS1_3repE0EEENS1_30default_config_static_selectorELNS0_4arch9wavefront6targetE0EEEvT1_
	.globl	_ZN7rocprim17ROCPRIM_400000_NS6detail17trampoline_kernelINS0_14default_configENS1_25partition_config_selectorILNS1_17partition_subalgoE5EyNS0_10empty_typeEbEEZZNS1_14partition_implILS5_5ELb0ES3_mN6thrust23THRUST_200600_302600_NS6detail15normal_iteratorINSA_10device_ptrIyEEEEPS6_NSA_18transform_iteratorINSB_9not_fun_tINSA_8identityIyEEEESF_NSA_11use_defaultESM_EENS0_5tupleIJSF_S6_EEENSO_IJSG_SG_EEES6_PlJS6_EEE10hipError_tPvRmT3_T4_T5_T6_T7_T9_mT8_P12ihipStream_tbDpT10_ENKUlT_T0_E_clISt17integral_constantIbLb0EES1B_EEDaS16_S17_EUlS16_E_NS1_11comp_targetILNS1_3genE5ELNS1_11target_archE942ELNS1_3gpuE9ELNS1_3repE0EEENS1_30default_config_static_selectorELNS0_4arch9wavefront6targetE0EEEvT1_
	.p2align	8
	.type	_ZN7rocprim17ROCPRIM_400000_NS6detail17trampoline_kernelINS0_14default_configENS1_25partition_config_selectorILNS1_17partition_subalgoE5EyNS0_10empty_typeEbEEZZNS1_14partition_implILS5_5ELb0ES3_mN6thrust23THRUST_200600_302600_NS6detail15normal_iteratorINSA_10device_ptrIyEEEEPS6_NSA_18transform_iteratorINSB_9not_fun_tINSA_8identityIyEEEESF_NSA_11use_defaultESM_EENS0_5tupleIJSF_S6_EEENSO_IJSG_SG_EEES6_PlJS6_EEE10hipError_tPvRmT3_T4_T5_T6_T7_T9_mT8_P12ihipStream_tbDpT10_ENKUlT_T0_E_clISt17integral_constantIbLb0EES1B_EEDaS16_S17_EUlS16_E_NS1_11comp_targetILNS1_3genE5ELNS1_11target_archE942ELNS1_3gpuE9ELNS1_3repE0EEENS1_30default_config_static_selectorELNS0_4arch9wavefront6targetE0EEEvT1_,@function
_ZN7rocprim17ROCPRIM_400000_NS6detail17trampoline_kernelINS0_14default_configENS1_25partition_config_selectorILNS1_17partition_subalgoE5EyNS0_10empty_typeEbEEZZNS1_14partition_implILS5_5ELb0ES3_mN6thrust23THRUST_200600_302600_NS6detail15normal_iteratorINSA_10device_ptrIyEEEEPS6_NSA_18transform_iteratorINSB_9not_fun_tINSA_8identityIyEEEESF_NSA_11use_defaultESM_EENS0_5tupleIJSF_S6_EEENSO_IJSG_SG_EEES6_PlJS6_EEE10hipError_tPvRmT3_T4_T5_T6_T7_T9_mT8_P12ihipStream_tbDpT10_ENKUlT_T0_E_clISt17integral_constantIbLb0EES1B_EEDaS16_S17_EUlS16_E_NS1_11comp_targetILNS1_3genE5ELNS1_11target_archE942ELNS1_3gpuE9ELNS1_3repE0EEENS1_30default_config_static_selectorELNS0_4arch9wavefront6targetE0EEEvT1_: ; @_ZN7rocprim17ROCPRIM_400000_NS6detail17trampoline_kernelINS0_14default_configENS1_25partition_config_selectorILNS1_17partition_subalgoE5EyNS0_10empty_typeEbEEZZNS1_14partition_implILS5_5ELb0ES3_mN6thrust23THRUST_200600_302600_NS6detail15normal_iteratorINSA_10device_ptrIyEEEEPS6_NSA_18transform_iteratorINSB_9not_fun_tINSA_8identityIyEEEESF_NSA_11use_defaultESM_EENS0_5tupleIJSF_S6_EEENSO_IJSG_SG_EEES6_PlJS6_EEE10hipError_tPvRmT3_T4_T5_T6_T7_T9_mT8_P12ihipStream_tbDpT10_ENKUlT_T0_E_clISt17integral_constantIbLb0EES1B_EEDaS16_S17_EUlS16_E_NS1_11comp_targetILNS1_3genE5ELNS1_11target_archE942ELNS1_3gpuE9ELNS1_3repE0EEENS1_30default_config_static_selectorELNS0_4arch9wavefront6targetE0EEEvT1_
; %bb.0:
	.section	.rodata,"a",@progbits
	.p2align	6, 0x0
	.amdhsa_kernel _ZN7rocprim17ROCPRIM_400000_NS6detail17trampoline_kernelINS0_14default_configENS1_25partition_config_selectorILNS1_17partition_subalgoE5EyNS0_10empty_typeEbEEZZNS1_14partition_implILS5_5ELb0ES3_mN6thrust23THRUST_200600_302600_NS6detail15normal_iteratorINSA_10device_ptrIyEEEEPS6_NSA_18transform_iteratorINSB_9not_fun_tINSA_8identityIyEEEESF_NSA_11use_defaultESM_EENS0_5tupleIJSF_S6_EEENSO_IJSG_SG_EEES6_PlJS6_EEE10hipError_tPvRmT3_T4_T5_T6_T7_T9_mT8_P12ihipStream_tbDpT10_ENKUlT_T0_E_clISt17integral_constantIbLb0EES1B_EEDaS16_S17_EUlS16_E_NS1_11comp_targetILNS1_3genE5ELNS1_11target_archE942ELNS1_3gpuE9ELNS1_3repE0EEENS1_30default_config_static_selectorELNS0_4arch9wavefront6targetE0EEEvT1_
		.amdhsa_group_segment_fixed_size 0
		.amdhsa_private_segment_fixed_size 0
		.amdhsa_kernarg_size 120
		.amdhsa_user_sgpr_count 2
		.amdhsa_user_sgpr_dispatch_ptr 0
		.amdhsa_user_sgpr_queue_ptr 0
		.amdhsa_user_sgpr_kernarg_segment_ptr 1
		.amdhsa_user_sgpr_dispatch_id 0
		.amdhsa_user_sgpr_private_segment_size 0
		.amdhsa_wavefront_size32 1
		.amdhsa_uses_dynamic_stack 0
		.amdhsa_enable_private_segment 0
		.amdhsa_system_sgpr_workgroup_id_x 1
		.amdhsa_system_sgpr_workgroup_id_y 0
		.amdhsa_system_sgpr_workgroup_id_z 0
		.amdhsa_system_sgpr_workgroup_info 0
		.amdhsa_system_vgpr_workitem_id 0
		.amdhsa_next_free_vgpr 1
		.amdhsa_next_free_sgpr 1
		.amdhsa_reserve_vcc 0
		.amdhsa_float_round_mode_32 0
		.amdhsa_float_round_mode_16_64 0
		.amdhsa_float_denorm_mode_32 3
		.amdhsa_float_denorm_mode_16_64 3
		.amdhsa_fp16_overflow 0
		.amdhsa_workgroup_processor_mode 1
		.amdhsa_memory_ordered 1
		.amdhsa_forward_progress 1
		.amdhsa_inst_pref_size 0
		.amdhsa_round_robin_scheduling 0
		.amdhsa_exception_fp_ieee_invalid_op 0
		.amdhsa_exception_fp_denorm_src 0
		.amdhsa_exception_fp_ieee_div_zero 0
		.amdhsa_exception_fp_ieee_overflow 0
		.amdhsa_exception_fp_ieee_underflow 0
		.amdhsa_exception_fp_ieee_inexact 0
		.amdhsa_exception_int_div_zero 0
	.end_amdhsa_kernel
	.section	.text._ZN7rocprim17ROCPRIM_400000_NS6detail17trampoline_kernelINS0_14default_configENS1_25partition_config_selectorILNS1_17partition_subalgoE5EyNS0_10empty_typeEbEEZZNS1_14partition_implILS5_5ELb0ES3_mN6thrust23THRUST_200600_302600_NS6detail15normal_iteratorINSA_10device_ptrIyEEEEPS6_NSA_18transform_iteratorINSB_9not_fun_tINSA_8identityIyEEEESF_NSA_11use_defaultESM_EENS0_5tupleIJSF_S6_EEENSO_IJSG_SG_EEES6_PlJS6_EEE10hipError_tPvRmT3_T4_T5_T6_T7_T9_mT8_P12ihipStream_tbDpT10_ENKUlT_T0_E_clISt17integral_constantIbLb0EES1B_EEDaS16_S17_EUlS16_E_NS1_11comp_targetILNS1_3genE5ELNS1_11target_archE942ELNS1_3gpuE9ELNS1_3repE0EEENS1_30default_config_static_selectorELNS0_4arch9wavefront6targetE0EEEvT1_,"axG",@progbits,_ZN7rocprim17ROCPRIM_400000_NS6detail17trampoline_kernelINS0_14default_configENS1_25partition_config_selectorILNS1_17partition_subalgoE5EyNS0_10empty_typeEbEEZZNS1_14partition_implILS5_5ELb0ES3_mN6thrust23THRUST_200600_302600_NS6detail15normal_iteratorINSA_10device_ptrIyEEEEPS6_NSA_18transform_iteratorINSB_9not_fun_tINSA_8identityIyEEEESF_NSA_11use_defaultESM_EENS0_5tupleIJSF_S6_EEENSO_IJSG_SG_EEES6_PlJS6_EEE10hipError_tPvRmT3_T4_T5_T6_T7_T9_mT8_P12ihipStream_tbDpT10_ENKUlT_T0_E_clISt17integral_constantIbLb0EES1B_EEDaS16_S17_EUlS16_E_NS1_11comp_targetILNS1_3genE5ELNS1_11target_archE942ELNS1_3gpuE9ELNS1_3repE0EEENS1_30default_config_static_selectorELNS0_4arch9wavefront6targetE0EEEvT1_,comdat
.Lfunc_end854:
	.size	_ZN7rocprim17ROCPRIM_400000_NS6detail17trampoline_kernelINS0_14default_configENS1_25partition_config_selectorILNS1_17partition_subalgoE5EyNS0_10empty_typeEbEEZZNS1_14partition_implILS5_5ELb0ES3_mN6thrust23THRUST_200600_302600_NS6detail15normal_iteratorINSA_10device_ptrIyEEEEPS6_NSA_18transform_iteratorINSB_9not_fun_tINSA_8identityIyEEEESF_NSA_11use_defaultESM_EENS0_5tupleIJSF_S6_EEENSO_IJSG_SG_EEES6_PlJS6_EEE10hipError_tPvRmT3_T4_T5_T6_T7_T9_mT8_P12ihipStream_tbDpT10_ENKUlT_T0_E_clISt17integral_constantIbLb0EES1B_EEDaS16_S17_EUlS16_E_NS1_11comp_targetILNS1_3genE5ELNS1_11target_archE942ELNS1_3gpuE9ELNS1_3repE0EEENS1_30default_config_static_selectorELNS0_4arch9wavefront6targetE0EEEvT1_, .Lfunc_end854-_ZN7rocprim17ROCPRIM_400000_NS6detail17trampoline_kernelINS0_14default_configENS1_25partition_config_selectorILNS1_17partition_subalgoE5EyNS0_10empty_typeEbEEZZNS1_14partition_implILS5_5ELb0ES3_mN6thrust23THRUST_200600_302600_NS6detail15normal_iteratorINSA_10device_ptrIyEEEEPS6_NSA_18transform_iteratorINSB_9not_fun_tINSA_8identityIyEEEESF_NSA_11use_defaultESM_EENS0_5tupleIJSF_S6_EEENSO_IJSG_SG_EEES6_PlJS6_EEE10hipError_tPvRmT3_T4_T5_T6_T7_T9_mT8_P12ihipStream_tbDpT10_ENKUlT_T0_E_clISt17integral_constantIbLb0EES1B_EEDaS16_S17_EUlS16_E_NS1_11comp_targetILNS1_3genE5ELNS1_11target_archE942ELNS1_3gpuE9ELNS1_3repE0EEENS1_30default_config_static_selectorELNS0_4arch9wavefront6targetE0EEEvT1_
                                        ; -- End function
	.set _ZN7rocprim17ROCPRIM_400000_NS6detail17trampoline_kernelINS0_14default_configENS1_25partition_config_selectorILNS1_17partition_subalgoE5EyNS0_10empty_typeEbEEZZNS1_14partition_implILS5_5ELb0ES3_mN6thrust23THRUST_200600_302600_NS6detail15normal_iteratorINSA_10device_ptrIyEEEEPS6_NSA_18transform_iteratorINSB_9not_fun_tINSA_8identityIyEEEESF_NSA_11use_defaultESM_EENS0_5tupleIJSF_S6_EEENSO_IJSG_SG_EEES6_PlJS6_EEE10hipError_tPvRmT3_T4_T5_T6_T7_T9_mT8_P12ihipStream_tbDpT10_ENKUlT_T0_E_clISt17integral_constantIbLb0EES1B_EEDaS16_S17_EUlS16_E_NS1_11comp_targetILNS1_3genE5ELNS1_11target_archE942ELNS1_3gpuE9ELNS1_3repE0EEENS1_30default_config_static_selectorELNS0_4arch9wavefront6targetE0EEEvT1_.num_vgpr, 0
	.set _ZN7rocprim17ROCPRIM_400000_NS6detail17trampoline_kernelINS0_14default_configENS1_25partition_config_selectorILNS1_17partition_subalgoE5EyNS0_10empty_typeEbEEZZNS1_14partition_implILS5_5ELb0ES3_mN6thrust23THRUST_200600_302600_NS6detail15normal_iteratorINSA_10device_ptrIyEEEEPS6_NSA_18transform_iteratorINSB_9not_fun_tINSA_8identityIyEEEESF_NSA_11use_defaultESM_EENS0_5tupleIJSF_S6_EEENSO_IJSG_SG_EEES6_PlJS6_EEE10hipError_tPvRmT3_T4_T5_T6_T7_T9_mT8_P12ihipStream_tbDpT10_ENKUlT_T0_E_clISt17integral_constantIbLb0EES1B_EEDaS16_S17_EUlS16_E_NS1_11comp_targetILNS1_3genE5ELNS1_11target_archE942ELNS1_3gpuE9ELNS1_3repE0EEENS1_30default_config_static_selectorELNS0_4arch9wavefront6targetE0EEEvT1_.num_agpr, 0
	.set _ZN7rocprim17ROCPRIM_400000_NS6detail17trampoline_kernelINS0_14default_configENS1_25partition_config_selectorILNS1_17partition_subalgoE5EyNS0_10empty_typeEbEEZZNS1_14partition_implILS5_5ELb0ES3_mN6thrust23THRUST_200600_302600_NS6detail15normal_iteratorINSA_10device_ptrIyEEEEPS6_NSA_18transform_iteratorINSB_9not_fun_tINSA_8identityIyEEEESF_NSA_11use_defaultESM_EENS0_5tupleIJSF_S6_EEENSO_IJSG_SG_EEES6_PlJS6_EEE10hipError_tPvRmT3_T4_T5_T6_T7_T9_mT8_P12ihipStream_tbDpT10_ENKUlT_T0_E_clISt17integral_constantIbLb0EES1B_EEDaS16_S17_EUlS16_E_NS1_11comp_targetILNS1_3genE5ELNS1_11target_archE942ELNS1_3gpuE9ELNS1_3repE0EEENS1_30default_config_static_selectorELNS0_4arch9wavefront6targetE0EEEvT1_.numbered_sgpr, 0
	.set _ZN7rocprim17ROCPRIM_400000_NS6detail17trampoline_kernelINS0_14default_configENS1_25partition_config_selectorILNS1_17partition_subalgoE5EyNS0_10empty_typeEbEEZZNS1_14partition_implILS5_5ELb0ES3_mN6thrust23THRUST_200600_302600_NS6detail15normal_iteratorINSA_10device_ptrIyEEEEPS6_NSA_18transform_iteratorINSB_9not_fun_tINSA_8identityIyEEEESF_NSA_11use_defaultESM_EENS0_5tupleIJSF_S6_EEENSO_IJSG_SG_EEES6_PlJS6_EEE10hipError_tPvRmT3_T4_T5_T6_T7_T9_mT8_P12ihipStream_tbDpT10_ENKUlT_T0_E_clISt17integral_constantIbLb0EES1B_EEDaS16_S17_EUlS16_E_NS1_11comp_targetILNS1_3genE5ELNS1_11target_archE942ELNS1_3gpuE9ELNS1_3repE0EEENS1_30default_config_static_selectorELNS0_4arch9wavefront6targetE0EEEvT1_.num_named_barrier, 0
	.set _ZN7rocprim17ROCPRIM_400000_NS6detail17trampoline_kernelINS0_14default_configENS1_25partition_config_selectorILNS1_17partition_subalgoE5EyNS0_10empty_typeEbEEZZNS1_14partition_implILS5_5ELb0ES3_mN6thrust23THRUST_200600_302600_NS6detail15normal_iteratorINSA_10device_ptrIyEEEEPS6_NSA_18transform_iteratorINSB_9not_fun_tINSA_8identityIyEEEESF_NSA_11use_defaultESM_EENS0_5tupleIJSF_S6_EEENSO_IJSG_SG_EEES6_PlJS6_EEE10hipError_tPvRmT3_T4_T5_T6_T7_T9_mT8_P12ihipStream_tbDpT10_ENKUlT_T0_E_clISt17integral_constantIbLb0EES1B_EEDaS16_S17_EUlS16_E_NS1_11comp_targetILNS1_3genE5ELNS1_11target_archE942ELNS1_3gpuE9ELNS1_3repE0EEENS1_30default_config_static_selectorELNS0_4arch9wavefront6targetE0EEEvT1_.private_seg_size, 0
	.set _ZN7rocprim17ROCPRIM_400000_NS6detail17trampoline_kernelINS0_14default_configENS1_25partition_config_selectorILNS1_17partition_subalgoE5EyNS0_10empty_typeEbEEZZNS1_14partition_implILS5_5ELb0ES3_mN6thrust23THRUST_200600_302600_NS6detail15normal_iteratorINSA_10device_ptrIyEEEEPS6_NSA_18transform_iteratorINSB_9not_fun_tINSA_8identityIyEEEESF_NSA_11use_defaultESM_EENS0_5tupleIJSF_S6_EEENSO_IJSG_SG_EEES6_PlJS6_EEE10hipError_tPvRmT3_T4_T5_T6_T7_T9_mT8_P12ihipStream_tbDpT10_ENKUlT_T0_E_clISt17integral_constantIbLb0EES1B_EEDaS16_S17_EUlS16_E_NS1_11comp_targetILNS1_3genE5ELNS1_11target_archE942ELNS1_3gpuE9ELNS1_3repE0EEENS1_30default_config_static_selectorELNS0_4arch9wavefront6targetE0EEEvT1_.uses_vcc, 0
	.set _ZN7rocprim17ROCPRIM_400000_NS6detail17trampoline_kernelINS0_14default_configENS1_25partition_config_selectorILNS1_17partition_subalgoE5EyNS0_10empty_typeEbEEZZNS1_14partition_implILS5_5ELb0ES3_mN6thrust23THRUST_200600_302600_NS6detail15normal_iteratorINSA_10device_ptrIyEEEEPS6_NSA_18transform_iteratorINSB_9not_fun_tINSA_8identityIyEEEESF_NSA_11use_defaultESM_EENS0_5tupleIJSF_S6_EEENSO_IJSG_SG_EEES6_PlJS6_EEE10hipError_tPvRmT3_T4_T5_T6_T7_T9_mT8_P12ihipStream_tbDpT10_ENKUlT_T0_E_clISt17integral_constantIbLb0EES1B_EEDaS16_S17_EUlS16_E_NS1_11comp_targetILNS1_3genE5ELNS1_11target_archE942ELNS1_3gpuE9ELNS1_3repE0EEENS1_30default_config_static_selectorELNS0_4arch9wavefront6targetE0EEEvT1_.uses_flat_scratch, 0
	.set _ZN7rocprim17ROCPRIM_400000_NS6detail17trampoline_kernelINS0_14default_configENS1_25partition_config_selectorILNS1_17partition_subalgoE5EyNS0_10empty_typeEbEEZZNS1_14partition_implILS5_5ELb0ES3_mN6thrust23THRUST_200600_302600_NS6detail15normal_iteratorINSA_10device_ptrIyEEEEPS6_NSA_18transform_iteratorINSB_9not_fun_tINSA_8identityIyEEEESF_NSA_11use_defaultESM_EENS0_5tupleIJSF_S6_EEENSO_IJSG_SG_EEES6_PlJS6_EEE10hipError_tPvRmT3_T4_T5_T6_T7_T9_mT8_P12ihipStream_tbDpT10_ENKUlT_T0_E_clISt17integral_constantIbLb0EES1B_EEDaS16_S17_EUlS16_E_NS1_11comp_targetILNS1_3genE5ELNS1_11target_archE942ELNS1_3gpuE9ELNS1_3repE0EEENS1_30default_config_static_selectorELNS0_4arch9wavefront6targetE0EEEvT1_.has_dyn_sized_stack, 0
	.set _ZN7rocprim17ROCPRIM_400000_NS6detail17trampoline_kernelINS0_14default_configENS1_25partition_config_selectorILNS1_17partition_subalgoE5EyNS0_10empty_typeEbEEZZNS1_14partition_implILS5_5ELb0ES3_mN6thrust23THRUST_200600_302600_NS6detail15normal_iteratorINSA_10device_ptrIyEEEEPS6_NSA_18transform_iteratorINSB_9not_fun_tINSA_8identityIyEEEESF_NSA_11use_defaultESM_EENS0_5tupleIJSF_S6_EEENSO_IJSG_SG_EEES6_PlJS6_EEE10hipError_tPvRmT3_T4_T5_T6_T7_T9_mT8_P12ihipStream_tbDpT10_ENKUlT_T0_E_clISt17integral_constantIbLb0EES1B_EEDaS16_S17_EUlS16_E_NS1_11comp_targetILNS1_3genE5ELNS1_11target_archE942ELNS1_3gpuE9ELNS1_3repE0EEENS1_30default_config_static_selectorELNS0_4arch9wavefront6targetE0EEEvT1_.has_recursion, 0
	.set _ZN7rocprim17ROCPRIM_400000_NS6detail17trampoline_kernelINS0_14default_configENS1_25partition_config_selectorILNS1_17partition_subalgoE5EyNS0_10empty_typeEbEEZZNS1_14partition_implILS5_5ELb0ES3_mN6thrust23THRUST_200600_302600_NS6detail15normal_iteratorINSA_10device_ptrIyEEEEPS6_NSA_18transform_iteratorINSB_9not_fun_tINSA_8identityIyEEEESF_NSA_11use_defaultESM_EENS0_5tupleIJSF_S6_EEENSO_IJSG_SG_EEES6_PlJS6_EEE10hipError_tPvRmT3_T4_T5_T6_T7_T9_mT8_P12ihipStream_tbDpT10_ENKUlT_T0_E_clISt17integral_constantIbLb0EES1B_EEDaS16_S17_EUlS16_E_NS1_11comp_targetILNS1_3genE5ELNS1_11target_archE942ELNS1_3gpuE9ELNS1_3repE0EEENS1_30default_config_static_selectorELNS0_4arch9wavefront6targetE0EEEvT1_.has_indirect_call, 0
	.section	.AMDGPU.csdata,"",@progbits
; Kernel info:
; codeLenInByte = 0
; TotalNumSgprs: 0
; NumVgprs: 0
; ScratchSize: 0
; MemoryBound: 0
; FloatMode: 240
; IeeeMode: 1
; LDSByteSize: 0 bytes/workgroup (compile time only)
; SGPRBlocks: 0
; VGPRBlocks: 0
; NumSGPRsForWavesPerEU: 1
; NumVGPRsForWavesPerEU: 1
; Occupancy: 16
; WaveLimiterHint : 0
; COMPUTE_PGM_RSRC2:SCRATCH_EN: 0
; COMPUTE_PGM_RSRC2:USER_SGPR: 2
; COMPUTE_PGM_RSRC2:TRAP_HANDLER: 0
; COMPUTE_PGM_RSRC2:TGID_X_EN: 1
; COMPUTE_PGM_RSRC2:TGID_Y_EN: 0
; COMPUTE_PGM_RSRC2:TGID_Z_EN: 0
; COMPUTE_PGM_RSRC2:TIDIG_COMP_CNT: 0
	.section	.text._ZN7rocprim17ROCPRIM_400000_NS6detail17trampoline_kernelINS0_14default_configENS1_25partition_config_selectorILNS1_17partition_subalgoE5EyNS0_10empty_typeEbEEZZNS1_14partition_implILS5_5ELb0ES3_mN6thrust23THRUST_200600_302600_NS6detail15normal_iteratorINSA_10device_ptrIyEEEEPS6_NSA_18transform_iteratorINSB_9not_fun_tINSA_8identityIyEEEESF_NSA_11use_defaultESM_EENS0_5tupleIJSF_S6_EEENSO_IJSG_SG_EEES6_PlJS6_EEE10hipError_tPvRmT3_T4_T5_T6_T7_T9_mT8_P12ihipStream_tbDpT10_ENKUlT_T0_E_clISt17integral_constantIbLb0EES1B_EEDaS16_S17_EUlS16_E_NS1_11comp_targetILNS1_3genE4ELNS1_11target_archE910ELNS1_3gpuE8ELNS1_3repE0EEENS1_30default_config_static_selectorELNS0_4arch9wavefront6targetE0EEEvT1_,"axG",@progbits,_ZN7rocprim17ROCPRIM_400000_NS6detail17trampoline_kernelINS0_14default_configENS1_25partition_config_selectorILNS1_17partition_subalgoE5EyNS0_10empty_typeEbEEZZNS1_14partition_implILS5_5ELb0ES3_mN6thrust23THRUST_200600_302600_NS6detail15normal_iteratorINSA_10device_ptrIyEEEEPS6_NSA_18transform_iteratorINSB_9not_fun_tINSA_8identityIyEEEESF_NSA_11use_defaultESM_EENS0_5tupleIJSF_S6_EEENSO_IJSG_SG_EEES6_PlJS6_EEE10hipError_tPvRmT3_T4_T5_T6_T7_T9_mT8_P12ihipStream_tbDpT10_ENKUlT_T0_E_clISt17integral_constantIbLb0EES1B_EEDaS16_S17_EUlS16_E_NS1_11comp_targetILNS1_3genE4ELNS1_11target_archE910ELNS1_3gpuE8ELNS1_3repE0EEENS1_30default_config_static_selectorELNS0_4arch9wavefront6targetE0EEEvT1_,comdat
	.protected	_ZN7rocprim17ROCPRIM_400000_NS6detail17trampoline_kernelINS0_14default_configENS1_25partition_config_selectorILNS1_17partition_subalgoE5EyNS0_10empty_typeEbEEZZNS1_14partition_implILS5_5ELb0ES3_mN6thrust23THRUST_200600_302600_NS6detail15normal_iteratorINSA_10device_ptrIyEEEEPS6_NSA_18transform_iteratorINSB_9not_fun_tINSA_8identityIyEEEESF_NSA_11use_defaultESM_EENS0_5tupleIJSF_S6_EEENSO_IJSG_SG_EEES6_PlJS6_EEE10hipError_tPvRmT3_T4_T5_T6_T7_T9_mT8_P12ihipStream_tbDpT10_ENKUlT_T0_E_clISt17integral_constantIbLb0EES1B_EEDaS16_S17_EUlS16_E_NS1_11comp_targetILNS1_3genE4ELNS1_11target_archE910ELNS1_3gpuE8ELNS1_3repE0EEENS1_30default_config_static_selectorELNS0_4arch9wavefront6targetE0EEEvT1_ ; -- Begin function _ZN7rocprim17ROCPRIM_400000_NS6detail17trampoline_kernelINS0_14default_configENS1_25partition_config_selectorILNS1_17partition_subalgoE5EyNS0_10empty_typeEbEEZZNS1_14partition_implILS5_5ELb0ES3_mN6thrust23THRUST_200600_302600_NS6detail15normal_iteratorINSA_10device_ptrIyEEEEPS6_NSA_18transform_iteratorINSB_9not_fun_tINSA_8identityIyEEEESF_NSA_11use_defaultESM_EENS0_5tupleIJSF_S6_EEENSO_IJSG_SG_EEES6_PlJS6_EEE10hipError_tPvRmT3_T4_T5_T6_T7_T9_mT8_P12ihipStream_tbDpT10_ENKUlT_T0_E_clISt17integral_constantIbLb0EES1B_EEDaS16_S17_EUlS16_E_NS1_11comp_targetILNS1_3genE4ELNS1_11target_archE910ELNS1_3gpuE8ELNS1_3repE0EEENS1_30default_config_static_selectorELNS0_4arch9wavefront6targetE0EEEvT1_
	.globl	_ZN7rocprim17ROCPRIM_400000_NS6detail17trampoline_kernelINS0_14default_configENS1_25partition_config_selectorILNS1_17partition_subalgoE5EyNS0_10empty_typeEbEEZZNS1_14partition_implILS5_5ELb0ES3_mN6thrust23THRUST_200600_302600_NS6detail15normal_iteratorINSA_10device_ptrIyEEEEPS6_NSA_18transform_iteratorINSB_9not_fun_tINSA_8identityIyEEEESF_NSA_11use_defaultESM_EENS0_5tupleIJSF_S6_EEENSO_IJSG_SG_EEES6_PlJS6_EEE10hipError_tPvRmT3_T4_T5_T6_T7_T9_mT8_P12ihipStream_tbDpT10_ENKUlT_T0_E_clISt17integral_constantIbLb0EES1B_EEDaS16_S17_EUlS16_E_NS1_11comp_targetILNS1_3genE4ELNS1_11target_archE910ELNS1_3gpuE8ELNS1_3repE0EEENS1_30default_config_static_selectorELNS0_4arch9wavefront6targetE0EEEvT1_
	.p2align	8
	.type	_ZN7rocprim17ROCPRIM_400000_NS6detail17trampoline_kernelINS0_14default_configENS1_25partition_config_selectorILNS1_17partition_subalgoE5EyNS0_10empty_typeEbEEZZNS1_14partition_implILS5_5ELb0ES3_mN6thrust23THRUST_200600_302600_NS6detail15normal_iteratorINSA_10device_ptrIyEEEEPS6_NSA_18transform_iteratorINSB_9not_fun_tINSA_8identityIyEEEESF_NSA_11use_defaultESM_EENS0_5tupleIJSF_S6_EEENSO_IJSG_SG_EEES6_PlJS6_EEE10hipError_tPvRmT3_T4_T5_T6_T7_T9_mT8_P12ihipStream_tbDpT10_ENKUlT_T0_E_clISt17integral_constantIbLb0EES1B_EEDaS16_S17_EUlS16_E_NS1_11comp_targetILNS1_3genE4ELNS1_11target_archE910ELNS1_3gpuE8ELNS1_3repE0EEENS1_30default_config_static_selectorELNS0_4arch9wavefront6targetE0EEEvT1_,@function
_ZN7rocprim17ROCPRIM_400000_NS6detail17trampoline_kernelINS0_14default_configENS1_25partition_config_selectorILNS1_17partition_subalgoE5EyNS0_10empty_typeEbEEZZNS1_14partition_implILS5_5ELb0ES3_mN6thrust23THRUST_200600_302600_NS6detail15normal_iteratorINSA_10device_ptrIyEEEEPS6_NSA_18transform_iteratorINSB_9not_fun_tINSA_8identityIyEEEESF_NSA_11use_defaultESM_EENS0_5tupleIJSF_S6_EEENSO_IJSG_SG_EEES6_PlJS6_EEE10hipError_tPvRmT3_T4_T5_T6_T7_T9_mT8_P12ihipStream_tbDpT10_ENKUlT_T0_E_clISt17integral_constantIbLb0EES1B_EEDaS16_S17_EUlS16_E_NS1_11comp_targetILNS1_3genE4ELNS1_11target_archE910ELNS1_3gpuE8ELNS1_3repE0EEENS1_30default_config_static_selectorELNS0_4arch9wavefront6targetE0EEEvT1_: ; @_ZN7rocprim17ROCPRIM_400000_NS6detail17trampoline_kernelINS0_14default_configENS1_25partition_config_selectorILNS1_17partition_subalgoE5EyNS0_10empty_typeEbEEZZNS1_14partition_implILS5_5ELb0ES3_mN6thrust23THRUST_200600_302600_NS6detail15normal_iteratorINSA_10device_ptrIyEEEEPS6_NSA_18transform_iteratorINSB_9not_fun_tINSA_8identityIyEEEESF_NSA_11use_defaultESM_EENS0_5tupleIJSF_S6_EEENSO_IJSG_SG_EEES6_PlJS6_EEE10hipError_tPvRmT3_T4_T5_T6_T7_T9_mT8_P12ihipStream_tbDpT10_ENKUlT_T0_E_clISt17integral_constantIbLb0EES1B_EEDaS16_S17_EUlS16_E_NS1_11comp_targetILNS1_3genE4ELNS1_11target_archE910ELNS1_3gpuE8ELNS1_3repE0EEENS1_30default_config_static_selectorELNS0_4arch9wavefront6targetE0EEEvT1_
; %bb.0:
	.section	.rodata,"a",@progbits
	.p2align	6, 0x0
	.amdhsa_kernel _ZN7rocprim17ROCPRIM_400000_NS6detail17trampoline_kernelINS0_14default_configENS1_25partition_config_selectorILNS1_17partition_subalgoE5EyNS0_10empty_typeEbEEZZNS1_14partition_implILS5_5ELb0ES3_mN6thrust23THRUST_200600_302600_NS6detail15normal_iteratorINSA_10device_ptrIyEEEEPS6_NSA_18transform_iteratorINSB_9not_fun_tINSA_8identityIyEEEESF_NSA_11use_defaultESM_EENS0_5tupleIJSF_S6_EEENSO_IJSG_SG_EEES6_PlJS6_EEE10hipError_tPvRmT3_T4_T5_T6_T7_T9_mT8_P12ihipStream_tbDpT10_ENKUlT_T0_E_clISt17integral_constantIbLb0EES1B_EEDaS16_S17_EUlS16_E_NS1_11comp_targetILNS1_3genE4ELNS1_11target_archE910ELNS1_3gpuE8ELNS1_3repE0EEENS1_30default_config_static_selectorELNS0_4arch9wavefront6targetE0EEEvT1_
		.amdhsa_group_segment_fixed_size 0
		.amdhsa_private_segment_fixed_size 0
		.amdhsa_kernarg_size 120
		.amdhsa_user_sgpr_count 2
		.amdhsa_user_sgpr_dispatch_ptr 0
		.amdhsa_user_sgpr_queue_ptr 0
		.amdhsa_user_sgpr_kernarg_segment_ptr 1
		.amdhsa_user_sgpr_dispatch_id 0
		.amdhsa_user_sgpr_private_segment_size 0
		.amdhsa_wavefront_size32 1
		.amdhsa_uses_dynamic_stack 0
		.amdhsa_enable_private_segment 0
		.amdhsa_system_sgpr_workgroup_id_x 1
		.amdhsa_system_sgpr_workgroup_id_y 0
		.amdhsa_system_sgpr_workgroup_id_z 0
		.amdhsa_system_sgpr_workgroup_info 0
		.amdhsa_system_vgpr_workitem_id 0
		.amdhsa_next_free_vgpr 1
		.amdhsa_next_free_sgpr 1
		.amdhsa_reserve_vcc 0
		.amdhsa_float_round_mode_32 0
		.amdhsa_float_round_mode_16_64 0
		.amdhsa_float_denorm_mode_32 3
		.amdhsa_float_denorm_mode_16_64 3
		.amdhsa_fp16_overflow 0
		.amdhsa_workgroup_processor_mode 1
		.amdhsa_memory_ordered 1
		.amdhsa_forward_progress 1
		.amdhsa_inst_pref_size 0
		.amdhsa_round_robin_scheduling 0
		.amdhsa_exception_fp_ieee_invalid_op 0
		.amdhsa_exception_fp_denorm_src 0
		.amdhsa_exception_fp_ieee_div_zero 0
		.amdhsa_exception_fp_ieee_overflow 0
		.amdhsa_exception_fp_ieee_underflow 0
		.amdhsa_exception_fp_ieee_inexact 0
		.amdhsa_exception_int_div_zero 0
	.end_amdhsa_kernel
	.section	.text._ZN7rocprim17ROCPRIM_400000_NS6detail17trampoline_kernelINS0_14default_configENS1_25partition_config_selectorILNS1_17partition_subalgoE5EyNS0_10empty_typeEbEEZZNS1_14partition_implILS5_5ELb0ES3_mN6thrust23THRUST_200600_302600_NS6detail15normal_iteratorINSA_10device_ptrIyEEEEPS6_NSA_18transform_iteratorINSB_9not_fun_tINSA_8identityIyEEEESF_NSA_11use_defaultESM_EENS0_5tupleIJSF_S6_EEENSO_IJSG_SG_EEES6_PlJS6_EEE10hipError_tPvRmT3_T4_T5_T6_T7_T9_mT8_P12ihipStream_tbDpT10_ENKUlT_T0_E_clISt17integral_constantIbLb0EES1B_EEDaS16_S17_EUlS16_E_NS1_11comp_targetILNS1_3genE4ELNS1_11target_archE910ELNS1_3gpuE8ELNS1_3repE0EEENS1_30default_config_static_selectorELNS0_4arch9wavefront6targetE0EEEvT1_,"axG",@progbits,_ZN7rocprim17ROCPRIM_400000_NS6detail17trampoline_kernelINS0_14default_configENS1_25partition_config_selectorILNS1_17partition_subalgoE5EyNS0_10empty_typeEbEEZZNS1_14partition_implILS5_5ELb0ES3_mN6thrust23THRUST_200600_302600_NS6detail15normal_iteratorINSA_10device_ptrIyEEEEPS6_NSA_18transform_iteratorINSB_9not_fun_tINSA_8identityIyEEEESF_NSA_11use_defaultESM_EENS0_5tupleIJSF_S6_EEENSO_IJSG_SG_EEES6_PlJS6_EEE10hipError_tPvRmT3_T4_T5_T6_T7_T9_mT8_P12ihipStream_tbDpT10_ENKUlT_T0_E_clISt17integral_constantIbLb0EES1B_EEDaS16_S17_EUlS16_E_NS1_11comp_targetILNS1_3genE4ELNS1_11target_archE910ELNS1_3gpuE8ELNS1_3repE0EEENS1_30default_config_static_selectorELNS0_4arch9wavefront6targetE0EEEvT1_,comdat
.Lfunc_end855:
	.size	_ZN7rocprim17ROCPRIM_400000_NS6detail17trampoline_kernelINS0_14default_configENS1_25partition_config_selectorILNS1_17partition_subalgoE5EyNS0_10empty_typeEbEEZZNS1_14partition_implILS5_5ELb0ES3_mN6thrust23THRUST_200600_302600_NS6detail15normal_iteratorINSA_10device_ptrIyEEEEPS6_NSA_18transform_iteratorINSB_9not_fun_tINSA_8identityIyEEEESF_NSA_11use_defaultESM_EENS0_5tupleIJSF_S6_EEENSO_IJSG_SG_EEES6_PlJS6_EEE10hipError_tPvRmT3_T4_T5_T6_T7_T9_mT8_P12ihipStream_tbDpT10_ENKUlT_T0_E_clISt17integral_constantIbLb0EES1B_EEDaS16_S17_EUlS16_E_NS1_11comp_targetILNS1_3genE4ELNS1_11target_archE910ELNS1_3gpuE8ELNS1_3repE0EEENS1_30default_config_static_selectorELNS0_4arch9wavefront6targetE0EEEvT1_, .Lfunc_end855-_ZN7rocprim17ROCPRIM_400000_NS6detail17trampoline_kernelINS0_14default_configENS1_25partition_config_selectorILNS1_17partition_subalgoE5EyNS0_10empty_typeEbEEZZNS1_14partition_implILS5_5ELb0ES3_mN6thrust23THRUST_200600_302600_NS6detail15normal_iteratorINSA_10device_ptrIyEEEEPS6_NSA_18transform_iteratorINSB_9not_fun_tINSA_8identityIyEEEESF_NSA_11use_defaultESM_EENS0_5tupleIJSF_S6_EEENSO_IJSG_SG_EEES6_PlJS6_EEE10hipError_tPvRmT3_T4_T5_T6_T7_T9_mT8_P12ihipStream_tbDpT10_ENKUlT_T0_E_clISt17integral_constantIbLb0EES1B_EEDaS16_S17_EUlS16_E_NS1_11comp_targetILNS1_3genE4ELNS1_11target_archE910ELNS1_3gpuE8ELNS1_3repE0EEENS1_30default_config_static_selectorELNS0_4arch9wavefront6targetE0EEEvT1_
                                        ; -- End function
	.set _ZN7rocprim17ROCPRIM_400000_NS6detail17trampoline_kernelINS0_14default_configENS1_25partition_config_selectorILNS1_17partition_subalgoE5EyNS0_10empty_typeEbEEZZNS1_14partition_implILS5_5ELb0ES3_mN6thrust23THRUST_200600_302600_NS6detail15normal_iteratorINSA_10device_ptrIyEEEEPS6_NSA_18transform_iteratorINSB_9not_fun_tINSA_8identityIyEEEESF_NSA_11use_defaultESM_EENS0_5tupleIJSF_S6_EEENSO_IJSG_SG_EEES6_PlJS6_EEE10hipError_tPvRmT3_T4_T5_T6_T7_T9_mT8_P12ihipStream_tbDpT10_ENKUlT_T0_E_clISt17integral_constantIbLb0EES1B_EEDaS16_S17_EUlS16_E_NS1_11comp_targetILNS1_3genE4ELNS1_11target_archE910ELNS1_3gpuE8ELNS1_3repE0EEENS1_30default_config_static_selectorELNS0_4arch9wavefront6targetE0EEEvT1_.num_vgpr, 0
	.set _ZN7rocprim17ROCPRIM_400000_NS6detail17trampoline_kernelINS0_14default_configENS1_25partition_config_selectorILNS1_17partition_subalgoE5EyNS0_10empty_typeEbEEZZNS1_14partition_implILS5_5ELb0ES3_mN6thrust23THRUST_200600_302600_NS6detail15normal_iteratorINSA_10device_ptrIyEEEEPS6_NSA_18transform_iteratorINSB_9not_fun_tINSA_8identityIyEEEESF_NSA_11use_defaultESM_EENS0_5tupleIJSF_S6_EEENSO_IJSG_SG_EEES6_PlJS6_EEE10hipError_tPvRmT3_T4_T5_T6_T7_T9_mT8_P12ihipStream_tbDpT10_ENKUlT_T0_E_clISt17integral_constantIbLb0EES1B_EEDaS16_S17_EUlS16_E_NS1_11comp_targetILNS1_3genE4ELNS1_11target_archE910ELNS1_3gpuE8ELNS1_3repE0EEENS1_30default_config_static_selectorELNS0_4arch9wavefront6targetE0EEEvT1_.num_agpr, 0
	.set _ZN7rocprim17ROCPRIM_400000_NS6detail17trampoline_kernelINS0_14default_configENS1_25partition_config_selectorILNS1_17partition_subalgoE5EyNS0_10empty_typeEbEEZZNS1_14partition_implILS5_5ELb0ES3_mN6thrust23THRUST_200600_302600_NS6detail15normal_iteratorINSA_10device_ptrIyEEEEPS6_NSA_18transform_iteratorINSB_9not_fun_tINSA_8identityIyEEEESF_NSA_11use_defaultESM_EENS0_5tupleIJSF_S6_EEENSO_IJSG_SG_EEES6_PlJS6_EEE10hipError_tPvRmT3_T4_T5_T6_T7_T9_mT8_P12ihipStream_tbDpT10_ENKUlT_T0_E_clISt17integral_constantIbLb0EES1B_EEDaS16_S17_EUlS16_E_NS1_11comp_targetILNS1_3genE4ELNS1_11target_archE910ELNS1_3gpuE8ELNS1_3repE0EEENS1_30default_config_static_selectorELNS0_4arch9wavefront6targetE0EEEvT1_.numbered_sgpr, 0
	.set _ZN7rocprim17ROCPRIM_400000_NS6detail17trampoline_kernelINS0_14default_configENS1_25partition_config_selectorILNS1_17partition_subalgoE5EyNS0_10empty_typeEbEEZZNS1_14partition_implILS5_5ELb0ES3_mN6thrust23THRUST_200600_302600_NS6detail15normal_iteratorINSA_10device_ptrIyEEEEPS6_NSA_18transform_iteratorINSB_9not_fun_tINSA_8identityIyEEEESF_NSA_11use_defaultESM_EENS0_5tupleIJSF_S6_EEENSO_IJSG_SG_EEES6_PlJS6_EEE10hipError_tPvRmT3_T4_T5_T6_T7_T9_mT8_P12ihipStream_tbDpT10_ENKUlT_T0_E_clISt17integral_constantIbLb0EES1B_EEDaS16_S17_EUlS16_E_NS1_11comp_targetILNS1_3genE4ELNS1_11target_archE910ELNS1_3gpuE8ELNS1_3repE0EEENS1_30default_config_static_selectorELNS0_4arch9wavefront6targetE0EEEvT1_.num_named_barrier, 0
	.set _ZN7rocprim17ROCPRIM_400000_NS6detail17trampoline_kernelINS0_14default_configENS1_25partition_config_selectorILNS1_17partition_subalgoE5EyNS0_10empty_typeEbEEZZNS1_14partition_implILS5_5ELb0ES3_mN6thrust23THRUST_200600_302600_NS6detail15normal_iteratorINSA_10device_ptrIyEEEEPS6_NSA_18transform_iteratorINSB_9not_fun_tINSA_8identityIyEEEESF_NSA_11use_defaultESM_EENS0_5tupleIJSF_S6_EEENSO_IJSG_SG_EEES6_PlJS6_EEE10hipError_tPvRmT3_T4_T5_T6_T7_T9_mT8_P12ihipStream_tbDpT10_ENKUlT_T0_E_clISt17integral_constantIbLb0EES1B_EEDaS16_S17_EUlS16_E_NS1_11comp_targetILNS1_3genE4ELNS1_11target_archE910ELNS1_3gpuE8ELNS1_3repE0EEENS1_30default_config_static_selectorELNS0_4arch9wavefront6targetE0EEEvT1_.private_seg_size, 0
	.set _ZN7rocprim17ROCPRIM_400000_NS6detail17trampoline_kernelINS0_14default_configENS1_25partition_config_selectorILNS1_17partition_subalgoE5EyNS0_10empty_typeEbEEZZNS1_14partition_implILS5_5ELb0ES3_mN6thrust23THRUST_200600_302600_NS6detail15normal_iteratorINSA_10device_ptrIyEEEEPS6_NSA_18transform_iteratorINSB_9not_fun_tINSA_8identityIyEEEESF_NSA_11use_defaultESM_EENS0_5tupleIJSF_S6_EEENSO_IJSG_SG_EEES6_PlJS6_EEE10hipError_tPvRmT3_T4_T5_T6_T7_T9_mT8_P12ihipStream_tbDpT10_ENKUlT_T0_E_clISt17integral_constantIbLb0EES1B_EEDaS16_S17_EUlS16_E_NS1_11comp_targetILNS1_3genE4ELNS1_11target_archE910ELNS1_3gpuE8ELNS1_3repE0EEENS1_30default_config_static_selectorELNS0_4arch9wavefront6targetE0EEEvT1_.uses_vcc, 0
	.set _ZN7rocprim17ROCPRIM_400000_NS6detail17trampoline_kernelINS0_14default_configENS1_25partition_config_selectorILNS1_17partition_subalgoE5EyNS0_10empty_typeEbEEZZNS1_14partition_implILS5_5ELb0ES3_mN6thrust23THRUST_200600_302600_NS6detail15normal_iteratorINSA_10device_ptrIyEEEEPS6_NSA_18transform_iteratorINSB_9not_fun_tINSA_8identityIyEEEESF_NSA_11use_defaultESM_EENS0_5tupleIJSF_S6_EEENSO_IJSG_SG_EEES6_PlJS6_EEE10hipError_tPvRmT3_T4_T5_T6_T7_T9_mT8_P12ihipStream_tbDpT10_ENKUlT_T0_E_clISt17integral_constantIbLb0EES1B_EEDaS16_S17_EUlS16_E_NS1_11comp_targetILNS1_3genE4ELNS1_11target_archE910ELNS1_3gpuE8ELNS1_3repE0EEENS1_30default_config_static_selectorELNS0_4arch9wavefront6targetE0EEEvT1_.uses_flat_scratch, 0
	.set _ZN7rocprim17ROCPRIM_400000_NS6detail17trampoline_kernelINS0_14default_configENS1_25partition_config_selectorILNS1_17partition_subalgoE5EyNS0_10empty_typeEbEEZZNS1_14partition_implILS5_5ELb0ES3_mN6thrust23THRUST_200600_302600_NS6detail15normal_iteratorINSA_10device_ptrIyEEEEPS6_NSA_18transform_iteratorINSB_9not_fun_tINSA_8identityIyEEEESF_NSA_11use_defaultESM_EENS0_5tupleIJSF_S6_EEENSO_IJSG_SG_EEES6_PlJS6_EEE10hipError_tPvRmT3_T4_T5_T6_T7_T9_mT8_P12ihipStream_tbDpT10_ENKUlT_T0_E_clISt17integral_constantIbLb0EES1B_EEDaS16_S17_EUlS16_E_NS1_11comp_targetILNS1_3genE4ELNS1_11target_archE910ELNS1_3gpuE8ELNS1_3repE0EEENS1_30default_config_static_selectorELNS0_4arch9wavefront6targetE0EEEvT1_.has_dyn_sized_stack, 0
	.set _ZN7rocprim17ROCPRIM_400000_NS6detail17trampoline_kernelINS0_14default_configENS1_25partition_config_selectorILNS1_17partition_subalgoE5EyNS0_10empty_typeEbEEZZNS1_14partition_implILS5_5ELb0ES3_mN6thrust23THRUST_200600_302600_NS6detail15normal_iteratorINSA_10device_ptrIyEEEEPS6_NSA_18transform_iteratorINSB_9not_fun_tINSA_8identityIyEEEESF_NSA_11use_defaultESM_EENS0_5tupleIJSF_S6_EEENSO_IJSG_SG_EEES6_PlJS6_EEE10hipError_tPvRmT3_T4_T5_T6_T7_T9_mT8_P12ihipStream_tbDpT10_ENKUlT_T0_E_clISt17integral_constantIbLb0EES1B_EEDaS16_S17_EUlS16_E_NS1_11comp_targetILNS1_3genE4ELNS1_11target_archE910ELNS1_3gpuE8ELNS1_3repE0EEENS1_30default_config_static_selectorELNS0_4arch9wavefront6targetE0EEEvT1_.has_recursion, 0
	.set _ZN7rocprim17ROCPRIM_400000_NS6detail17trampoline_kernelINS0_14default_configENS1_25partition_config_selectorILNS1_17partition_subalgoE5EyNS0_10empty_typeEbEEZZNS1_14partition_implILS5_5ELb0ES3_mN6thrust23THRUST_200600_302600_NS6detail15normal_iteratorINSA_10device_ptrIyEEEEPS6_NSA_18transform_iteratorINSB_9not_fun_tINSA_8identityIyEEEESF_NSA_11use_defaultESM_EENS0_5tupleIJSF_S6_EEENSO_IJSG_SG_EEES6_PlJS6_EEE10hipError_tPvRmT3_T4_T5_T6_T7_T9_mT8_P12ihipStream_tbDpT10_ENKUlT_T0_E_clISt17integral_constantIbLb0EES1B_EEDaS16_S17_EUlS16_E_NS1_11comp_targetILNS1_3genE4ELNS1_11target_archE910ELNS1_3gpuE8ELNS1_3repE0EEENS1_30default_config_static_selectorELNS0_4arch9wavefront6targetE0EEEvT1_.has_indirect_call, 0
	.section	.AMDGPU.csdata,"",@progbits
; Kernel info:
; codeLenInByte = 0
; TotalNumSgprs: 0
; NumVgprs: 0
; ScratchSize: 0
; MemoryBound: 0
; FloatMode: 240
; IeeeMode: 1
; LDSByteSize: 0 bytes/workgroup (compile time only)
; SGPRBlocks: 0
; VGPRBlocks: 0
; NumSGPRsForWavesPerEU: 1
; NumVGPRsForWavesPerEU: 1
; Occupancy: 16
; WaveLimiterHint : 0
; COMPUTE_PGM_RSRC2:SCRATCH_EN: 0
; COMPUTE_PGM_RSRC2:USER_SGPR: 2
; COMPUTE_PGM_RSRC2:TRAP_HANDLER: 0
; COMPUTE_PGM_RSRC2:TGID_X_EN: 1
; COMPUTE_PGM_RSRC2:TGID_Y_EN: 0
; COMPUTE_PGM_RSRC2:TGID_Z_EN: 0
; COMPUTE_PGM_RSRC2:TIDIG_COMP_CNT: 0
	.section	.text._ZN7rocprim17ROCPRIM_400000_NS6detail17trampoline_kernelINS0_14default_configENS1_25partition_config_selectorILNS1_17partition_subalgoE5EyNS0_10empty_typeEbEEZZNS1_14partition_implILS5_5ELb0ES3_mN6thrust23THRUST_200600_302600_NS6detail15normal_iteratorINSA_10device_ptrIyEEEEPS6_NSA_18transform_iteratorINSB_9not_fun_tINSA_8identityIyEEEESF_NSA_11use_defaultESM_EENS0_5tupleIJSF_S6_EEENSO_IJSG_SG_EEES6_PlJS6_EEE10hipError_tPvRmT3_T4_T5_T6_T7_T9_mT8_P12ihipStream_tbDpT10_ENKUlT_T0_E_clISt17integral_constantIbLb0EES1B_EEDaS16_S17_EUlS16_E_NS1_11comp_targetILNS1_3genE3ELNS1_11target_archE908ELNS1_3gpuE7ELNS1_3repE0EEENS1_30default_config_static_selectorELNS0_4arch9wavefront6targetE0EEEvT1_,"axG",@progbits,_ZN7rocprim17ROCPRIM_400000_NS6detail17trampoline_kernelINS0_14default_configENS1_25partition_config_selectorILNS1_17partition_subalgoE5EyNS0_10empty_typeEbEEZZNS1_14partition_implILS5_5ELb0ES3_mN6thrust23THRUST_200600_302600_NS6detail15normal_iteratorINSA_10device_ptrIyEEEEPS6_NSA_18transform_iteratorINSB_9not_fun_tINSA_8identityIyEEEESF_NSA_11use_defaultESM_EENS0_5tupleIJSF_S6_EEENSO_IJSG_SG_EEES6_PlJS6_EEE10hipError_tPvRmT3_T4_T5_T6_T7_T9_mT8_P12ihipStream_tbDpT10_ENKUlT_T0_E_clISt17integral_constantIbLb0EES1B_EEDaS16_S17_EUlS16_E_NS1_11comp_targetILNS1_3genE3ELNS1_11target_archE908ELNS1_3gpuE7ELNS1_3repE0EEENS1_30default_config_static_selectorELNS0_4arch9wavefront6targetE0EEEvT1_,comdat
	.protected	_ZN7rocprim17ROCPRIM_400000_NS6detail17trampoline_kernelINS0_14default_configENS1_25partition_config_selectorILNS1_17partition_subalgoE5EyNS0_10empty_typeEbEEZZNS1_14partition_implILS5_5ELb0ES3_mN6thrust23THRUST_200600_302600_NS6detail15normal_iteratorINSA_10device_ptrIyEEEEPS6_NSA_18transform_iteratorINSB_9not_fun_tINSA_8identityIyEEEESF_NSA_11use_defaultESM_EENS0_5tupleIJSF_S6_EEENSO_IJSG_SG_EEES6_PlJS6_EEE10hipError_tPvRmT3_T4_T5_T6_T7_T9_mT8_P12ihipStream_tbDpT10_ENKUlT_T0_E_clISt17integral_constantIbLb0EES1B_EEDaS16_S17_EUlS16_E_NS1_11comp_targetILNS1_3genE3ELNS1_11target_archE908ELNS1_3gpuE7ELNS1_3repE0EEENS1_30default_config_static_selectorELNS0_4arch9wavefront6targetE0EEEvT1_ ; -- Begin function _ZN7rocprim17ROCPRIM_400000_NS6detail17trampoline_kernelINS0_14default_configENS1_25partition_config_selectorILNS1_17partition_subalgoE5EyNS0_10empty_typeEbEEZZNS1_14partition_implILS5_5ELb0ES3_mN6thrust23THRUST_200600_302600_NS6detail15normal_iteratorINSA_10device_ptrIyEEEEPS6_NSA_18transform_iteratorINSB_9not_fun_tINSA_8identityIyEEEESF_NSA_11use_defaultESM_EENS0_5tupleIJSF_S6_EEENSO_IJSG_SG_EEES6_PlJS6_EEE10hipError_tPvRmT3_T4_T5_T6_T7_T9_mT8_P12ihipStream_tbDpT10_ENKUlT_T0_E_clISt17integral_constantIbLb0EES1B_EEDaS16_S17_EUlS16_E_NS1_11comp_targetILNS1_3genE3ELNS1_11target_archE908ELNS1_3gpuE7ELNS1_3repE0EEENS1_30default_config_static_selectorELNS0_4arch9wavefront6targetE0EEEvT1_
	.globl	_ZN7rocprim17ROCPRIM_400000_NS6detail17trampoline_kernelINS0_14default_configENS1_25partition_config_selectorILNS1_17partition_subalgoE5EyNS0_10empty_typeEbEEZZNS1_14partition_implILS5_5ELb0ES3_mN6thrust23THRUST_200600_302600_NS6detail15normal_iteratorINSA_10device_ptrIyEEEEPS6_NSA_18transform_iteratorINSB_9not_fun_tINSA_8identityIyEEEESF_NSA_11use_defaultESM_EENS0_5tupleIJSF_S6_EEENSO_IJSG_SG_EEES6_PlJS6_EEE10hipError_tPvRmT3_T4_T5_T6_T7_T9_mT8_P12ihipStream_tbDpT10_ENKUlT_T0_E_clISt17integral_constantIbLb0EES1B_EEDaS16_S17_EUlS16_E_NS1_11comp_targetILNS1_3genE3ELNS1_11target_archE908ELNS1_3gpuE7ELNS1_3repE0EEENS1_30default_config_static_selectorELNS0_4arch9wavefront6targetE0EEEvT1_
	.p2align	8
	.type	_ZN7rocprim17ROCPRIM_400000_NS6detail17trampoline_kernelINS0_14default_configENS1_25partition_config_selectorILNS1_17partition_subalgoE5EyNS0_10empty_typeEbEEZZNS1_14partition_implILS5_5ELb0ES3_mN6thrust23THRUST_200600_302600_NS6detail15normal_iteratorINSA_10device_ptrIyEEEEPS6_NSA_18transform_iteratorINSB_9not_fun_tINSA_8identityIyEEEESF_NSA_11use_defaultESM_EENS0_5tupleIJSF_S6_EEENSO_IJSG_SG_EEES6_PlJS6_EEE10hipError_tPvRmT3_T4_T5_T6_T7_T9_mT8_P12ihipStream_tbDpT10_ENKUlT_T0_E_clISt17integral_constantIbLb0EES1B_EEDaS16_S17_EUlS16_E_NS1_11comp_targetILNS1_3genE3ELNS1_11target_archE908ELNS1_3gpuE7ELNS1_3repE0EEENS1_30default_config_static_selectorELNS0_4arch9wavefront6targetE0EEEvT1_,@function
_ZN7rocprim17ROCPRIM_400000_NS6detail17trampoline_kernelINS0_14default_configENS1_25partition_config_selectorILNS1_17partition_subalgoE5EyNS0_10empty_typeEbEEZZNS1_14partition_implILS5_5ELb0ES3_mN6thrust23THRUST_200600_302600_NS6detail15normal_iteratorINSA_10device_ptrIyEEEEPS6_NSA_18transform_iteratorINSB_9not_fun_tINSA_8identityIyEEEESF_NSA_11use_defaultESM_EENS0_5tupleIJSF_S6_EEENSO_IJSG_SG_EEES6_PlJS6_EEE10hipError_tPvRmT3_T4_T5_T6_T7_T9_mT8_P12ihipStream_tbDpT10_ENKUlT_T0_E_clISt17integral_constantIbLb0EES1B_EEDaS16_S17_EUlS16_E_NS1_11comp_targetILNS1_3genE3ELNS1_11target_archE908ELNS1_3gpuE7ELNS1_3repE0EEENS1_30default_config_static_selectorELNS0_4arch9wavefront6targetE0EEEvT1_: ; @_ZN7rocprim17ROCPRIM_400000_NS6detail17trampoline_kernelINS0_14default_configENS1_25partition_config_selectorILNS1_17partition_subalgoE5EyNS0_10empty_typeEbEEZZNS1_14partition_implILS5_5ELb0ES3_mN6thrust23THRUST_200600_302600_NS6detail15normal_iteratorINSA_10device_ptrIyEEEEPS6_NSA_18transform_iteratorINSB_9not_fun_tINSA_8identityIyEEEESF_NSA_11use_defaultESM_EENS0_5tupleIJSF_S6_EEENSO_IJSG_SG_EEES6_PlJS6_EEE10hipError_tPvRmT3_T4_T5_T6_T7_T9_mT8_P12ihipStream_tbDpT10_ENKUlT_T0_E_clISt17integral_constantIbLb0EES1B_EEDaS16_S17_EUlS16_E_NS1_11comp_targetILNS1_3genE3ELNS1_11target_archE908ELNS1_3gpuE7ELNS1_3repE0EEENS1_30default_config_static_selectorELNS0_4arch9wavefront6targetE0EEEvT1_
; %bb.0:
	.section	.rodata,"a",@progbits
	.p2align	6, 0x0
	.amdhsa_kernel _ZN7rocprim17ROCPRIM_400000_NS6detail17trampoline_kernelINS0_14default_configENS1_25partition_config_selectorILNS1_17partition_subalgoE5EyNS0_10empty_typeEbEEZZNS1_14partition_implILS5_5ELb0ES3_mN6thrust23THRUST_200600_302600_NS6detail15normal_iteratorINSA_10device_ptrIyEEEEPS6_NSA_18transform_iteratorINSB_9not_fun_tINSA_8identityIyEEEESF_NSA_11use_defaultESM_EENS0_5tupleIJSF_S6_EEENSO_IJSG_SG_EEES6_PlJS6_EEE10hipError_tPvRmT3_T4_T5_T6_T7_T9_mT8_P12ihipStream_tbDpT10_ENKUlT_T0_E_clISt17integral_constantIbLb0EES1B_EEDaS16_S17_EUlS16_E_NS1_11comp_targetILNS1_3genE3ELNS1_11target_archE908ELNS1_3gpuE7ELNS1_3repE0EEENS1_30default_config_static_selectorELNS0_4arch9wavefront6targetE0EEEvT1_
		.amdhsa_group_segment_fixed_size 0
		.amdhsa_private_segment_fixed_size 0
		.amdhsa_kernarg_size 120
		.amdhsa_user_sgpr_count 2
		.amdhsa_user_sgpr_dispatch_ptr 0
		.amdhsa_user_sgpr_queue_ptr 0
		.amdhsa_user_sgpr_kernarg_segment_ptr 1
		.amdhsa_user_sgpr_dispatch_id 0
		.amdhsa_user_sgpr_private_segment_size 0
		.amdhsa_wavefront_size32 1
		.amdhsa_uses_dynamic_stack 0
		.amdhsa_enable_private_segment 0
		.amdhsa_system_sgpr_workgroup_id_x 1
		.amdhsa_system_sgpr_workgroup_id_y 0
		.amdhsa_system_sgpr_workgroup_id_z 0
		.amdhsa_system_sgpr_workgroup_info 0
		.amdhsa_system_vgpr_workitem_id 0
		.amdhsa_next_free_vgpr 1
		.amdhsa_next_free_sgpr 1
		.amdhsa_reserve_vcc 0
		.amdhsa_float_round_mode_32 0
		.amdhsa_float_round_mode_16_64 0
		.amdhsa_float_denorm_mode_32 3
		.amdhsa_float_denorm_mode_16_64 3
		.amdhsa_fp16_overflow 0
		.amdhsa_workgroup_processor_mode 1
		.amdhsa_memory_ordered 1
		.amdhsa_forward_progress 1
		.amdhsa_inst_pref_size 0
		.amdhsa_round_robin_scheduling 0
		.amdhsa_exception_fp_ieee_invalid_op 0
		.amdhsa_exception_fp_denorm_src 0
		.amdhsa_exception_fp_ieee_div_zero 0
		.amdhsa_exception_fp_ieee_overflow 0
		.amdhsa_exception_fp_ieee_underflow 0
		.amdhsa_exception_fp_ieee_inexact 0
		.amdhsa_exception_int_div_zero 0
	.end_amdhsa_kernel
	.section	.text._ZN7rocprim17ROCPRIM_400000_NS6detail17trampoline_kernelINS0_14default_configENS1_25partition_config_selectorILNS1_17partition_subalgoE5EyNS0_10empty_typeEbEEZZNS1_14partition_implILS5_5ELb0ES3_mN6thrust23THRUST_200600_302600_NS6detail15normal_iteratorINSA_10device_ptrIyEEEEPS6_NSA_18transform_iteratorINSB_9not_fun_tINSA_8identityIyEEEESF_NSA_11use_defaultESM_EENS0_5tupleIJSF_S6_EEENSO_IJSG_SG_EEES6_PlJS6_EEE10hipError_tPvRmT3_T4_T5_T6_T7_T9_mT8_P12ihipStream_tbDpT10_ENKUlT_T0_E_clISt17integral_constantIbLb0EES1B_EEDaS16_S17_EUlS16_E_NS1_11comp_targetILNS1_3genE3ELNS1_11target_archE908ELNS1_3gpuE7ELNS1_3repE0EEENS1_30default_config_static_selectorELNS0_4arch9wavefront6targetE0EEEvT1_,"axG",@progbits,_ZN7rocprim17ROCPRIM_400000_NS6detail17trampoline_kernelINS0_14default_configENS1_25partition_config_selectorILNS1_17partition_subalgoE5EyNS0_10empty_typeEbEEZZNS1_14partition_implILS5_5ELb0ES3_mN6thrust23THRUST_200600_302600_NS6detail15normal_iteratorINSA_10device_ptrIyEEEEPS6_NSA_18transform_iteratorINSB_9not_fun_tINSA_8identityIyEEEESF_NSA_11use_defaultESM_EENS0_5tupleIJSF_S6_EEENSO_IJSG_SG_EEES6_PlJS6_EEE10hipError_tPvRmT3_T4_T5_T6_T7_T9_mT8_P12ihipStream_tbDpT10_ENKUlT_T0_E_clISt17integral_constantIbLb0EES1B_EEDaS16_S17_EUlS16_E_NS1_11comp_targetILNS1_3genE3ELNS1_11target_archE908ELNS1_3gpuE7ELNS1_3repE0EEENS1_30default_config_static_selectorELNS0_4arch9wavefront6targetE0EEEvT1_,comdat
.Lfunc_end856:
	.size	_ZN7rocprim17ROCPRIM_400000_NS6detail17trampoline_kernelINS0_14default_configENS1_25partition_config_selectorILNS1_17partition_subalgoE5EyNS0_10empty_typeEbEEZZNS1_14partition_implILS5_5ELb0ES3_mN6thrust23THRUST_200600_302600_NS6detail15normal_iteratorINSA_10device_ptrIyEEEEPS6_NSA_18transform_iteratorINSB_9not_fun_tINSA_8identityIyEEEESF_NSA_11use_defaultESM_EENS0_5tupleIJSF_S6_EEENSO_IJSG_SG_EEES6_PlJS6_EEE10hipError_tPvRmT3_T4_T5_T6_T7_T9_mT8_P12ihipStream_tbDpT10_ENKUlT_T0_E_clISt17integral_constantIbLb0EES1B_EEDaS16_S17_EUlS16_E_NS1_11comp_targetILNS1_3genE3ELNS1_11target_archE908ELNS1_3gpuE7ELNS1_3repE0EEENS1_30default_config_static_selectorELNS0_4arch9wavefront6targetE0EEEvT1_, .Lfunc_end856-_ZN7rocprim17ROCPRIM_400000_NS6detail17trampoline_kernelINS0_14default_configENS1_25partition_config_selectorILNS1_17partition_subalgoE5EyNS0_10empty_typeEbEEZZNS1_14partition_implILS5_5ELb0ES3_mN6thrust23THRUST_200600_302600_NS6detail15normal_iteratorINSA_10device_ptrIyEEEEPS6_NSA_18transform_iteratorINSB_9not_fun_tINSA_8identityIyEEEESF_NSA_11use_defaultESM_EENS0_5tupleIJSF_S6_EEENSO_IJSG_SG_EEES6_PlJS6_EEE10hipError_tPvRmT3_T4_T5_T6_T7_T9_mT8_P12ihipStream_tbDpT10_ENKUlT_T0_E_clISt17integral_constantIbLb0EES1B_EEDaS16_S17_EUlS16_E_NS1_11comp_targetILNS1_3genE3ELNS1_11target_archE908ELNS1_3gpuE7ELNS1_3repE0EEENS1_30default_config_static_selectorELNS0_4arch9wavefront6targetE0EEEvT1_
                                        ; -- End function
	.set _ZN7rocprim17ROCPRIM_400000_NS6detail17trampoline_kernelINS0_14default_configENS1_25partition_config_selectorILNS1_17partition_subalgoE5EyNS0_10empty_typeEbEEZZNS1_14partition_implILS5_5ELb0ES3_mN6thrust23THRUST_200600_302600_NS6detail15normal_iteratorINSA_10device_ptrIyEEEEPS6_NSA_18transform_iteratorINSB_9not_fun_tINSA_8identityIyEEEESF_NSA_11use_defaultESM_EENS0_5tupleIJSF_S6_EEENSO_IJSG_SG_EEES6_PlJS6_EEE10hipError_tPvRmT3_T4_T5_T6_T7_T9_mT8_P12ihipStream_tbDpT10_ENKUlT_T0_E_clISt17integral_constantIbLb0EES1B_EEDaS16_S17_EUlS16_E_NS1_11comp_targetILNS1_3genE3ELNS1_11target_archE908ELNS1_3gpuE7ELNS1_3repE0EEENS1_30default_config_static_selectorELNS0_4arch9wavefront6targetE0EEEvT1_.num_vgpr, 0
	.set _ZN7rocprim17ROCPRIM_400000_NS6detail17trampoline_kernelINS0_14default_configENS1_25partition_config_selectorILNS1_17partition_subalgoE5EyNS0_10empty_typeEbEEZZNS1_14partition_implILS5_5ELb0ES3_mN6thrust23THRUST_200600_302600_NS6detail15normal_iteratorINSA_10device_ptrIyEEEEPS6_NSA_18transform_iteratorINSB_9not_fun_tINSA_8identityIyEEEESF_NSA_11use_defaultESM_EENS0_5tupleIJSF_S6_EEENSO_IJSG_SG_EEES6_PlJS6_EEE10hipError_tPvRmT3_T4_T5_T6_T7_T9_mT8_P12ihipStream_tbDpT10_ENKUlT_T0_E_clISt17integral_constantIbLb0EES1B_EEDaS16_S17_EUlS16_E_NS1_11comp_targetILNS1_3genE3ELNS1_11target_archE908ELNS1_3gpuE7ELNS1_3repE0EEENS1_30default_config_static_selectorELNS0_4arch9wavefront6targetE0EEEvT1_.num_agpr, 0
	.set _ZN7rocprim17ROCPRIM_400000_NS6detail17trampoline_kernelINS0_14default_configENS1_25partition_config_selectorILNS1_17partition_subalgoE5EyNS0_10empty_typeEbEEZZNS1_14partition_implILS5_5ELb0ES3_mN6thrust23THRUST_200600_302600_NS6detail15normal_iteratorINSA_10device_ptrIyEEEEPS6_NSA_18transform_iteratorINSB_9not_fun_tINSA_8identityIyEEEESF_NSA_11use_defaultESM_EENS0_5tupleIJSF_S6_EEENSO_IJSG_SG_EEES6_PlJS6_EEE10hipError_tPvRmT3_T4_T5_T6_T7_T9_mT8_P12ihipStream_tbDpT10_ENKUlT_T0_E_clISt17integral_constantIbLb0EES1B_EEDaS16_S17_EUlS16_E_NS1_11comp_targetILNS1_3genE3ELNS1_11target_archE908ELNS1_3gpuE7ELNS1_3repE0EEENS1_30default_config_static_selectorELNS0_4arch9wavefront6targetE0EEEvT1_.numbered_sgpr, 0
	.set _ZN7rocprim17ROCPRIM_400000_NS6detail17trampoline_kernelINS0_14default_configENS1_25partition_config_selectorILNS1_17partition_subalgoE5EyNS0_10empty_typeEbEEZZNS1_14partition_implILS5_5ELb0ES3_mN6thrust23THRUST_200600_302600_NS6detail15normal_iteratorINSA_10device_ptrIyEEEEPS6_NSA_18transform_iteratorINSB_9not_fun_tINSA_8identityIyEEEESF_NSA_11use_defaultESM_EENS0_5tupleIJSF_S6_EEENSO_IJSG_SG_EEES6_PlJS6_EEE10hipError_tPvRmT3_T4_T5_T6_T7_T9_mT8_P12ihipStream_tbDpT10_ENKUlT_T0_E_clISt17integral_constantIbLb0EES1B_EEDaS16_S17_EUlS16_E_NS1_11comp_targetILNS1_3genE3ELNS1_11target_archE908ELNS1_3gpuE7ELNS1_3repE0EEENS1_30default_config_static_selectorELNS0_4arch9wavefront6targetE0EEEvT1_.num_named_barrier, 0
	.set _ZN7rocprim17ROCPRIM_400000_NS6detail17trampoline_kernelINS0_14default_configENS1_25partition_config_selectorILNS1_17partition_subalgoE5EyNS0_10empty_typeEbEEZZNS1_14partition_implILS5_5ELb0ES3_mN6thrust23THRUST_200600_302600_NS6detail15normal_iteratorINSA_10device_ptrIyEEEEPS6_NSA_18transform_iteratorINSB_9not_fun_tINSA_8identityIyEEEESF_NSA_11use_defaultESM_EENS0_5tupleIJSF_S6_EEENSO_IJSG_SG_EEES6_PlJS6_EEE10hipError_tPvRmT3_T4_T5_T6_T7_T9_mT8_P12ihipStream_tbDpT10_ENKUlT_T0_E_clISt17integral_constantIbLb0EES1B_EEDaS16_S17_EUlS16_E_NS1_11comp_targetILNS1_3genE3ELNS1_11target_archE908ELNS1_3gpuE7ELNS1_3repE0EEENS1_30default_config_static_selectorELNS0_4arch9wavefront6targetE0EEEvT1_.private_seg_size, 0
	.set _ZN7rocprim17ROCPRIM_400000_NS6detail17trampoline_kernelINS0_14default_configENS1_25partition_config_selectorILNS1_17partition_subalgoE5EyNS0_10empty_typeEbEEZZNS1_14partition_implILS5_5ELb0ES3_mN6thrust23THRUST_200600_302600_NS6detail15normal_iteratorINSA_10device_ptrIyEEEEPS6_NSA_18transform_iteratorINSB_9not_fun_tINSA_8identityIyEEEESF_NSA_11use_defaultESM_EENS0_5tupleIJSF_S6_EEENSO_IJSG_SG_EEES6_PlJS6_EEE10hipError_tPvRmT3_T4_T5_T6_T7_T9_mT8_P12ihipStream_tbDpT10_ENKUlT_T0_E_clISt17integral_constantIbLb0EES1B_EEDaS16_S17_EUlS16_E_NS1_11comp_targetILNS1_3genE3ELNS1_11target_archE908ELNS1_3gpuE7ELNS1_3repE0EEENS1_30default_config_static_selectorELNS0_4arch9wavefront6targetE0EEEvT1_.uses_vcc, 0
	.set _ZN7rocprim17ROCPRIM_400000_NS6detail17trampoline_kernelINS0_14default_configENS1_25partition_config_selectorILNS1_17partition_subalgoE5EyNS0_10empty_typeEbEEZZNS1_14partition_implILS5_5ELb0ES3_mN6thrust23THRUST_200600_302600_NS6detail15normal_iteratorINSA_10device_ptrIyEEEEPS6_NSA_18transform_iteratorINSB_9not_fun_tINSA_8identityIyEEEESF_NSA_11use_defaultESM_EENS0_5tupleIJSF_S6_EEENSO_IJSG_SG_EEES6_PlJS6_EEE10hipError_tPvRmT3_T4_T5_T6_T7_T9_mT8_P12ihipStream_tbDpT10_ENKUlT_T0_E_clISt17integral_constantIbLb0EES1B_EEDaS16_S17_EUlS16_E_NS1_11comp_targetILNS1_3genE3ELNS1_11target_archE908ELNS1_3gpuE7ELNS1_3repE0EEENS1_30default_config_static_selectorELNS0_4arch9wavefront6targetE0EEEvT1_.uses_flat_scratch, 0
	.set _ZN7rocprim17ROCPRIM_400000_NS6detail17trampoline_kernelINS0_14default_configENS1_25partition_config_selectorILNS1_17partition_subalgoE5EyNS0_10empty_typeEbEEZZNS1_14partition_implILS5_5ELb0ES3_mN6thrust23THRUST_200600_302600_NS6detail15normal_iteratorINSA_10device_ptrIyEEEEPS6_NSA_18transform_iteratorINSB_9not_fun_tINSA_8identityIyEEEESF_NSA_11use_defaultESM_EENS0_5tupleIJSF_S6_EEENSO_IJSG_SG_EEES6_PlJS6_EEE10hipError_tPvRmT3_T4_T5_T6_T7_T9_mT8_P12ihipStream_tbDpT10_ENKUlT_T0_E_clISt17integral_constantIbLb0EES1B_EEDaS16_S17_EUlS16_E_NS1_11comp_targetILNS1_3genE3ELNS1_11target_archE908ELNS1_3gpuE7ELNS1_3repE0EEENS1_30default_config_static_selectorELNS0_4arch9wavefront6targetE0EEEvT1_.has_dyn_sized_stack, 0
	.set _ZN7rocprim17ROCPRIM_400000_NS6detail17trampoline_kernelINS0_14default_configENS1_25partition_config_selectorILNS1_17partition_subalgoE5EyNS0_10empty_typeEbEEZZNS1_14partition_implILS5_5ELb0ES3_mN6thrust23THRUST_200600_302600_NS6detail15normal_iteratorINSA_10device_ptrIyEEEEPS6_NSA_18transform_iteratorINSB_9not_fun_tINSA_8identityIyEEEESF_NSA_11use_defaultESM_EENS0_5tupleIJSF_S6_EEENSO_IJSG_SG_EEES6_PlJS6_EEE10hipError_tPvRmT3_T4_T5_T6_T7_T9_mT8_P12ihipStream_tbDpT10_ENKUlT_T0_E_clISt17integral_constantIbLb0EES1B_EEDaS16_S17_EUlS16_E_NS1_11comp_targetILNS1_3genE3ELNS1_11target_archE908ELNS1_3gpuE7ELNS1_3repE0EEENS1_30default_config_static_selectorELNS0_4arch9wavefront6targetE0EEEvT1_.has_recursion, 0
	.set _ZN7rocprim17ROCPRIM_400000_NS6detail17trampoline_kernelINS0_14default_configENS1_25partition_config_selectorILNS1_17partition_subalgoE5EyNS0_10empty_typeEbEEZZNS1_14partition_implILS5_5ELb0ES3_mN6thrust23THRUST_200600_302600_NS6detail15normal_iteratorINSA_10device_ptrIyEEEEPS6_NSA_18transform_iteratorINSB_9not_fun_tINSA_8identityIyEEEESF_NSA_11use_defaultESM_EENS0_5tupleIJSF_S6_EEENSO_IJSG_SG_EEES6_PlJS6_EEE10hipError_tPvRmT3_T4_T5_T6_T7_T9_mT8_P12ihipStream_tbDpT10_ENKUlT_T0_E_clISt17integral_constantIbLb0EES1B_EEDaS16_S17_EUlS16_E_NS1_11comp_targetILNS1_3genE3ELNS1_11target_archE908ELNS1_3gpuE7ELNS1_3repE0EEENS1_30default_config_static_selectorELNS0_4arch9wavefront6targetE0EEEvT1_.has_indirect_call, 0
	.section	.AMDGPU.csdata,"",@progbits
; Kernel info:
; codeLenInByte = 0
; TotalNumSgprs: 0
; NumVgprs: 0
; ScratchSize: 0
; MemoryBound: 0
; FloatMode: 240
; IeeeMode: 1
; LDSByteSize: 0 bytes/workgroup (compile time only)
; SGPRBlocks: 0
; VGPRBlocks: 0
; NumSGPRsForWavesPerEU: 1
; NumVGPRsForWavesPerEU: 1
; Occupancy: 16
; WaveLimiterHint : 0
; COMPUTE_PGM_RSRC2:SCRATCH_EN: 0
; COMPUTE_PGM_RSRC2:USER_SGPR: 2
; COMPUTE_PGM_RSRC2:TRAP_HANDLER: 0
; COMPUTE_PGM_RSRC2:TGID_X_EN: 1
; COMPUTE_PGM_RSRC2:TGID_Y_EN: 0
; COMPUTE_PGM_RSRC2:TGID_Z_EN: 0
; COMPUTE_PGM_RSRC2:TIDIG_COMP_CNT: 0
	.section	.text._ZN7rocprim17ROCPRIM_400000_NS6detail17trampoline_kernelINS0_14default_configENS1_25partition_config_selectorILNS1_17partition_subalgoE5EyNS0_10empty_typeEbEEZZNS1_14partition_implILS5_5ELb0ES3_mN6thrust23THRUST_200600_302600_NS6detail15normal_iteratorINSA_10device_ptrIyEEEEPS6_NSA_18transform_iteratorINSB_9not_fun_tINSA_8identityIyEEEESF_NSA_11use_defaultESM_EENS0_5tupleIJSF_S6_EEENSO_IJSG_SG_EEES6_PlJS6_EEE10hipError_tPvRmT3_T4_T5_T6_T7_T9_mT8_P12ihipStream_tbDpT10_ENKUlT_T0_E_clISt17integral_constantIbLb0EES1B_EEDaS16_S17_EUlS16_E_NS1_11comp_targetILNS1_3genE2ELNS1_11target_archE906ELNS1_3gpuE6ELNS1_3repE0EEENS1_30default_config_static_selectorELNS0_4arch9wavefront6targetE0EEEvT1_,"axG",@progbits,_ZN7rocprim17ROCPRIM_400000_NS6detail17trampoline_kernelINS0_14default_configENS1_25partition_config_selectorILNS1_17partition_subalgoE5EyNS0_10empty_typeEbEEZZNS1_14partition_implILS5_5ELb0ES3_mN6thrust23THRUST_200600_302600_NS6detail15normal_iteratorINSA_10device_ptrIyEEEEPS6_NSA_18transform_iteratorINSB_9not_fun_tINSA_8identityIyEEEESF_NSA_11use_defaultESM_EENS0_5tupleIJSF_S6_EEENSO_IJSG_SG_EEES6_PlJS6_EEE10hipError_tPvRmT3_T4_T5_T6_T7_T9_mT8_P12ihipStream_tbDpT10_ENKUlT_T0_E_clISt17integral_constantIbLb0EES1B_EEDaS16_S17_EUlS16_E_NS1_11comp_targetILNS1_3genE2ELNS1_11target_archE906ELNS1_3gpuE6ELNS1_3repE0EEENS1_30default_config_static_selectorELNS0_4arch9wavefront6targetE0EEEvT1_,comdat
	.protected	_ZN7rocprim17ROCPRIM_400000_NS6detail17trampoline_kernelINS0_14default_configENS1_25partition_config_selectorILNS1_17partition_subalgoE5EyNS0_10empty_typeEbEEZZNS1_14partition_implILS5_5ELb0ES3_mN6thrust23THRUST_200600_302600_NS6detail15normal_iteratorINSA_10device_ptrIyEEEEPS6_NSA_18transform_iteratorINSB_9not_fun_tINSA_8identityIyEEEESF_NSA_11use_defaultESM_EENS0_5tupleIJSF_S6_EEENSO_IJSG_SG_EEES6_PlJS6_EEE10hipError_tPvRmT3_T4_T5_T6_T7_T9_mT8_P12ihipStream_tbDpT10_ENKUlT_T0_E_clISt17integral_constantIbLb0EES1B_EEDaS16_S17_EUlS16_E_NS1_11comp_targetILNS1_3genE2ELNS1_11target_archE906ELNS1_3gpuE6ELNS1_3repE0EEENS1_30default_config_static_selectorELNS0_4arch9wavefront6targetE0EEEvT1_ ; -- Begin function _ZN7rocprim17ROCPRIM_400000_NS6detail17trampoline_kernelINS0_14default_configENS1_25partition_config_selectorILNS1_17partition_subalgoE5EyNS0_10empty_typeEbEEZZNS1_14partition_implILS5_5ELb0ES3_mN6thrust23THRUST_200600_302600_NS6detail15normal_iteratorINSA_10device_ptrIyEEEEPS6_NSA_18transform_iteratorINSB_9not_fun_tINSA_8identityIyEEEESF_NSA_11use_defaultESM_EENS0_5tupleIJSF_S6_EEENSO_IJSG_SG_EEES6_PlJS6_EEE10hipError_tPvRmT3_T4_T5_T6_T7_T9_mT8_P12ihipStream_tbDpT10_ENKUlT_T0_E_clISt17integral_constantIbLb0EES1B_EEDaS16_S17_EUlS16_E_NS1_11comp_targetILNS1_3genE2ELNS1_11target_archE906ELNS1_3gpuE6ELNS1_3repE0EEENS1_30default_config_static_selectorELNS0_4arch9wavefront6targetE0EEEvT1_
	.globl	_ZN7rocprim17ROCPRIM_400000_NS6detail17trampoline_kernelINS0_14default_configENS1_25partition_config_selectorILNS1_17partition_subalgoE5EyNS0_10empty_typeEbEEZZNS1_14partition_implILS5_5ELb0ES3_mN6thrust23THRUST_200600_302600_NS6detail15normal_iteratorINSA_10device_ptrIyEEEEPS6_NSA_18transform_iteratorINSB_9not_fun_tINSA_8identityIyEEEESF_NSA_11use_defaultESM_EENS0_5tupleIJSF_S6_EEENSO_IJSG_SG_EEES6_PlJS6_EEE10hipError_tPvRmT3_T4_T5_T6_T7_T9_mT8_P12ihipStream_tbDpT10_ENKUlT_T0_E_clISt17integral_constantIbLb0EES1B_EEDaS16_S17_EUlS16_E_NS1_11comp_targetILNS1_3genE2ELNS1_11target_archE906ELNS1_3gpuE6ELNS1_3repE0EEENS1_30default_config_static_selectorELNS0_4arch9wavefront6targetE0EEEvT1_
	.p2align	8
	.type	_ZN7rocprim17ROCPRIM_400000_NS6detail17trampoline_kernelINS0_14default_configENS1_25partition_config_selectorILNS1_17partition_subalgoE5EyNS0_10empty_typeEbEEZZNS1_14partition_implILS5_5ELb0ES3_mN6thrust23THRUST_200600_302600_NS6detail15normal_iteratorINSA_10device_ptrIyEEEEPS6_NSA_18transform_iteratorINSB_9not_fun_tINSA_8identityIyEEEESF_NSA_11use_defaultESM_EENS0_5tupleIJSF_S6_EEENSO_IJSG_SG_EEES6_PlJS6_EEE10hipError_tPvRmT3_T4_T5_T6_T7_T9_mT8_P12ihipStream_tbDpT10_ENKUlT_T0_E_clISt17integral_constantIbLb0EES1B_EEDaS16_S17_EUlS16_E_NS1_11comp_targetILNS1_3genE2ELNS1_11target_archE906ELNS1_3gpuE6ELNS1_3repE0EEENS1_30default_config_static_selectorELNS0_4arch9wavefront6targetE0EEEvT1_,@function
_ZN7rocprim17ROCPRIM_400000_NS6detail17trampoline_kernelINS0_14default_configENS1_25partition_config_selectorILNS1_17partition_subalgoE5EyNS0_10empty_typeEbEEZZNS1_14partition_implILS5_5ELb0ES3_mN6thrust23THRUST_200600_302600_NS6detail15normal_iteratorINSA_10device_ptrIyEEEEPS6_NSA_18transform_iteratorINSB_9not_fun_tINSA_8identityIyEEEESF_NSA_11use_defaultESM_EENS0_5tupleIJSF_S6_EEENSO_IJSG_SG_EEES6_PlJS6_EEE10hipError_tPvRmT3_T4_T5_T6_T7_T9_mT8_P12ihipStream_tbDpT10_ENKUlT_T0_E_clISt17integral_constantIbLb0EES1B_EEDaS16_S17_EUlS16_E_NS1_11comp_targetILNS1_3genE2ELNS1_11target_archE906ELNS1_3gpuE6ELNS1_3repE0EEENS1_30default_config_static_selectorELNS0_4arch9wavefront6targetE0EEEvT1_: ; @_ZN7rocprim17ROCPRIM_400000_NS6detail17trampoline_kernelINS0_14default_configENS1_25partition_config_selectorILNS1_17partition_subalgoE5EyNS0_10empty_typeEbEEZZNS1_14partition_implILS5_5ELb0ES3_mN6thrust23THRUST_200600_302600_NS6detail15normal_iteratorINSA_10device_ptrIyEEEEPS6_NSA_18transform_iteratorINSB_9not_fun_tINSA_8identityIyEEEESF_NSA_11use_defaultESM_EENS0_5tupleIJSF_S6_EEENSO_IJSG_SG_EEES6_PlJS6_EEE10hipError_tPvRmT3_T4_T5_T6_T7_T9_mT8_P12ihipStream_tbDpT10_ENKUlT_T0_E_clISt17integral_constantIbLb0EES1B_EEDaS16_S17_EUlS16_E_NS1_11comp_targetILNS1_3genE2ELNS1_11target_archE906ELNS1_3gpuE6ELNS1_3repE0EEENS1_30default_config_static_selectorELNS0_4arch9wavefront6targetE0EEEvT1_
; %bb.0:
	.section	.rodata,"a",@progbits
	.p2align	6, 0x0
	.amdhsa_kernel _ZN7rocprim17ROCPRIM_400000_NS6detail17trampoline_kernelINS0_14default_configENS1_25partition_config_selectorILNS1_17partition_subalgoE5EyNS0_10empty_typeEbEEZZNS1_14partition_implILS5_5ELb0ES3_mN6thrust23THRUST_200600_302600_NS6detail15normal_iteratorINSA_10device_ptrIyEEEEPS6_NSA_18transform_iteratorINSB_9not_fun_tINSA_8identityIyEEEESF_NSA_11use_defaultESM_EENS0_5tupleIJSF_S6_EEENSO_IJSG_SG_EEES6_PlJS6_EEE10hipError_tPvRmT3_T4_T5_T6_T7_T9_mT8_P12ihipStream_tbDpT10_ENKUlT_T0_E_clISt17integral_constantIbLb0EES1B_EEDaS16_S17_EUlS16_E_NS1_11comp_targetILNS1_3genE2ELNS1_11target_archE906ELNS1_3gpuE6ELNS1_3repE0EEENS1_30default_config_static_selectorELNS0_4arch9wavefront6targetE0EEEvT1_
		.amdhsa_group_segment_fixed_size 0
		.amdhsa_private_segment_fixed_size 0
		.amdhsa_kernarg_size 120
		.amdhsa_user_sgpr_count 2
		.amdhsa_user_sgpr_dispatch_ptr 0
		.amdhsa_user_sgpr_queue_ptr 0
		.amdhsa_user_sgpr_kernarg_segment_ptr 1
		.amdhsa_user_sgpr_dispatch_id 0
		.amdhsa_user_sgpr_private_segment_size 0
		.amdhsa_wavefront_size32 1
		.amdhsa_uses_dynamic_stack 0
		.amdhsa_enable_private_segment 0
		.amdhsa_system_sgpr_workgroup_id_x 1
		.amdhsa_system_sgpr_workgroup_id_y 0
		.amdhsa_system_sgpr_workgroup_id_z 0
		.amdhsa_system_sgpr_workgroup_info 0
		.amdhsa_system_vgpr_workitem_id 0
		.amdhsa_next_free_vgpr 1
		.amdhsa_next_free_sgpr 1
		.amdhsa_reserve_vcc 0
		.amdhsa_float_round_mode_32 0
		.amdhsa_float_round_mode_16_64 0
		.amdhsa_float_denorm_mode_32 3
		.amdhsa_float_denorm_mode_16_64 3
		.amdhsa_fp16_overflow 0
		.amdhsa_workgroup_processor_mode 1
		.amdhsa_memory_ordered 1
		.amdhsa_forward_progress 1
		.amdhsa_inst_pref_size 0
		.amdhsa_round_robin_scheduling 0
		.amdhsa_exception_fp_ieee_invalid_op 0
		.amdhsa_exception_fp_denorm_src 0
		.amdhsa_exception_fp_ieee_div_zero 0
		.amdhsa_exception_fp_ieee_overflow 0
		.amdhsa_exception_fp_ieee_underflow 0
		.amdhsa_exception_fp_ieee_inexact 0
		.amdhsa_exception_int_div_zero 0
	.end_amdhsa_kernel
	.section	.text._ZN7rocprim17ROCPRIM_400000_NS6detail17trampoline_kernelINS0_14default_configENS1_25partition_config_selectorILNS1_17partition_subalgoE5EyNS0_10empty_typeEbEEZZNS1_14partition_implILS5_5ELb0ES3_mN6thrust23THRUST_200600_302600_NS6detail15normal_iteratorINSA_10device_ptrIyEEEEPS6_NSA_18transform_iteratorINSB_9not_fun_tINSA_8identityIyEEEESF_NSA_11use_defaultESM_EENS0_5tupleIJSF_S6_EEENSO_IJSG_SG_EEES6_PlJS6_EEE10hipError_tPvRmT3_T4_T5_T6_T7_T9_mT8_P12ihipStream_tbDpT10_ENKUlT_T0_E_clISt17integral_constantIbLb0EES1B_EEDaS16_S17_EUlS16_E_NS1_11comp_targetILNS1_3genE2ELNS1_11target_archE906ELNS1_3gpuE6ELNS1_3repE0EEENS1_30default_config_static_selectorELNS0_4arch9wavefront6targetE0EEEvT1_,"axG",@progbits,_ZN7rocprim17ROCPRIM_400000_NS6detail17trampoline_kernelINS0_14default_configENS1_25partition_config_selectorILNS1_17partition_subalgoE5EyNS0_10empty_typeEbEEZZNS1_14partition_implILS5_5ELb0ES3_mN6thrust23THRUST_200600_302600_NS6detail15normal_iteratorINSA_10device_ptrIyEEEEPS6_NSA_18transform_iteratorINSB_9not_fun_tINSA_8identityIyEEEESF_NSA_11use_defaultESM_EENS0_5tupleIJSF_S6_EEENSO_IJSG_SG_EEES6_PlJS6_EEE10hipError_tPvRmT3_T4_T5_T6_T7_T9_mT8_P12ihipStream_tbDpT10_ENKUlT_T0_E_clISt17integral_constantIbLb0EES1B_EEDaS16_S17_EUlS16_E_NS1_11comp_targetILNS1_3genE2ELNS1_11target_archE906ELNS1_3gpuE6ELNS1_3repE0EEENS1_30default_config_static_selectorELNS0_4arch9wavefront6targetE0EEEvT1_,comdat
.Lfunc_end857:
	.size	_ZN7rocprim17ROCPRIM_400000_NS6detail17trampoline_kernelINS0_14default_configENS1_25partition_config_selectorILNS1_17partition_subalgoE5EyNS0_10empty_typeEbEEZZNS1_14partition_implILS5_5ELb0ES3_mN6thrust23THRUST_200600_302600_NS6detail15normal_iteratorINSA_10device_ptrIyEEEEPS6_NSA_18transform_iteratorINSB_9not_fun_tINSA_8identityIyEEEESF_NSA_11use_defaultESM_EENS0_5tupleIJSF_S6_EEENSO_IJSG_SG_EEES6_PlJS6_EEE10hipError_tPvRmT3_T4_T5_T6_T7_T9_mT8_P12ihipStream_tbDpT10_ENKUlT_T0_E_clISt17integral_constantIbLb0EES1B_EEDaS16_S17_EUlS16_E_NS1_11comp_targetILNS1_3genE2ELNS1_11target_archE906ELNS1_3gpuE6ELNS1_3repE0EEENS1_30default_config_static_selectorELNS0_4arch9wavefront6targetE0EEEvT1_, .Lfunc_end857-_ZN7rocprim17ROCPRIM_400000_NS6detail17trampoline_kernelINS0_14default_configENS1_25partition_config_selectorILNS1_17partition_subalgoE5EyNS0_10empty_typeEbEEZZNS1_14partition_implILS5_5ELb0ES3_mN6thrust23THRUST_200600_302600_NS6detail15normal_iteratorINSA_10device_ptrIyEEEEPS6_NSA_18transform_iteratorINSB_9not_fun_tINSA_8identityIyEEEESF_NSA_11use_defaultESM_EENS0_5tupleIJSF_S6_EEENSO_IJSG_SG_EEES6_PlJS6_EEE10hipError_tPvRmT3_T4_T5_T6_T7_T9_mT8_P12ihipStream_tbDpT10_ENKUlT_T0_E_clISt17integral_constantIbLb0EES1B_EEDaS16_S17_EUlS16_E_NS1_11comp_targetILNS1_3genE2ELNS1_11target_archE906ELNS1_3gpuE6ELNS1_3repE0EEENS1_30default_config_static_selectorELNS0_4arch9wavefront6targetE0EEEvT1_
                                        ; -- End function
	.set _ZN7rocprim17ROCPRIM_400000_NS6detail17trampoline_kernelINS0_14default_configENS1_25partition_config_selectorILNS1_17partition_subalgoE5EyNS0_10empty_typeEbEEZZNS1_14partition_implILS5_5ELb0ES3_mN6thrust23THRUST_200600_302600_NS6detail15normal_iteratorINSA_10device_ptrIyEEEEPS6_NSA_18transform_iteratorINSB_9not_fun_tINSA_8identityIyEEEESF_NSA_11use_defaultESM_EENS0_5tupleIJSF_S6_EEENSO_IJSG_SG_EEES6_PlJS6_EEE10hipError_tPvRmT3_T4_T5_T6_T7_T9_mT8_P12ihipStream_tbDpT10_ENKUlT_T0_E_clISt17integral_constantIbLb0EES1B_EEDaS16_S17_EUlS16_E_NS1_11comp_targetILNS1_3genE2ELNS1_11target_archE906ELNS1_3gpuE6ELNS1_3repE0EEENS1_30default_config_static_selectorELNS0_4arch9wavefront6targetE0EEEvT1_.num_vgpr, 0
	.set _ZN7rocprim17ROCPRIM_400000_NS6detail17trampoline_kernelINS0_14default_configENS1_25partition_config_selectorILNS1_17partition_subalgoE5EyNS0_10empty_typeEbEEZZNS1_14partition_implILS5_5ELb0ES3_mN6thrust23THRUST_200600_302600_NS6detail15normal_iteratorINSA_10device_ptrIyEEEEPS6_NSA_18transform_iteratorINSB_9not_fun_tINSA_8identityIyEEEESF_NSA_11use_defaultESM_EENS0_5tupleIJSF_S6_EEENSO_IJSG_SG_EEES6_PlJS6_EEE10hipError_tPvRmT3_T4_T5_T6_T7_T9_mT8_P12ihipStream_tbDpT10_ENKUlT_T0_E_clISt17integral_constantIbLb0EES1B_EEDaS16_S17_EUlS16_E_NS1_11comp_targetILNS1_3genE2ELNS1_11target_archE906ELNS1_3gpuE6ELNS1_3repE0EEENS1_30default_config_static_selectorELNS0_4arch9wavefront6targetE0EEEvT1_.num_agpr, 0
	.set _ZN7rocprim17ROCPRIM_400000_NS6detail17trampoline_kernelINS0_14default_configENS1_25partition_config_selectorILNS1_17partition_subalgoE5EyNS0_10empty_typeEbEEZZNS1_14partition_implILS5_5ELb0ES3_mN6thrust23THRUST_200600_302600_NS6detail15normal_iteratorINSA_10device_ptrIyEEEEPS6_NSA_18transform_iteratorINSB_9not_fun_tINSA_8identityIyEEEESF_NSA_11use_defaultESM_EENS0_5tupleIJSF_S6_EEENSO_IJSG_SG_EEES6_PlJS6_EEE10hipError_tPvRmT3_T4_T5_T6_T7_T9_mT8_P12ihipStream_tbDpT10_ENKUlT_T0_E_clISt17integral_constantIbLb0EES1B_EEDaS16_S17_EUlS16_E_NS1_11comp_targetILNS1_3genE2ELNS1_11target_archE906ELNS1_3gpuE6ELNS1_3repE0EEENS1_30default_config_static_selectorELNS0_4arch9wavefront6targetE0EEEvT1_.numbered_sgpr, 0
	.set _ZN7rocprim17ROCPRIM_400000_NS6detail17trampoline_kernelINS0_14default_configENS1_25partition_config_selectorILNS1_17partition_subalgoE5EyNS0_10empty_typeEbEEZZNS1_14partition_implILS5_5ELb0ES3_mN6thrust23THRUST_200600_302600_NS6detail15normal_iteratorINSA_10device_ptrIyEEEEPS6_NSA_18transform_iteratorINSB_9not_fun_tINSA_8identityIyEEEESF_NSA_11use_defaultESM_EENS0_5tupleIJSF_S6_EEENSO_IJSG_SG_EEES6_PlJS6_EEE10hipError_tPvRmT3_T4_T5_T6_T7_T9_mT8_P12ihipStream_tbDpT10_ENKUlT_T0_E_clISt17integral_constantIbLb0EES1B_EEDaS16_S17_EUlS16_E_NS1_11comp_targetILNS1_3genE2ELNS1_11target_archE906ELNS1_3gpuE6ELNS1_3repE0EEENS1_30default_config_static_selectorELNS0_4arch9wavefront6targetE0EEEvT1_.num_named_barrier, 0
	.set _ZN7rocprim17ROCPRIM_400000_NS6detail17trampoline_kernelINS0_14default_configENS1_25partition_config_selectorILNS1_17partition_subalgoE5EyNS0_10empty_typeEbEEZZNS1_14partition_implILS5_5ELb0ES3_mN6thrust23THRUST_200600_302600_NS6detail15normal_iteratorINSA_10device_ptrIyEEEEPS6_NSA_18transform_iteratorINSB_9not_fun_tINSA_8identityIyEEEESF_NSA_11use_defaultESM_EENS0_5tupleIJSF_S6_EEENSO_IJSG_SG_EEES6_PlJS6_EEE10hipError_tPvRmT3_T4_T5_T6_T7_T9_mT8_P12ihipStream_tbDpT10_ENKUlT_T0_E_clISt17integral_constantIbLb0EES1B_EEDaS16_S17_EUlS16_E_NS1_11comp_targetILNS1_3genE2ELNS1_11target_archE906ELNS1_3gpuE6ELNS1_3repE0EEENS1_30default_config_static_selectorELNS0_4arch9wavefront6targetE0EEEvT1_.private_seg_size, 0
	.set _ZN7rocprim17ROCPRIM_400000_NS6detail17trampoline_kernelINS0_14default_configENS1_25partition_config_selectorILNS1_17partition_subalgoE5EyNS0_10empty_typeEbEEZZNS1_14partition_implILS5_5ELb0ES3_mN6thrust23THRUST_200600_302600_NS6detail15normal_iteratorINSA_10device_ptrIyEEEEPS6_NSA_18transform_iteratorINSB_9not_fun_tINSA_8identityIyEEEESF_NSA_11use_defaultESM_EENS0_5tupleIJSF_S6_EEENSO_IJSG_SG_EEES6_PlJS6_EEE10hipError_tPvRmT3_T4_T5_T6_T7_T9_mT8_P12ihipStream_tbDpT10_ENKUlT_T0_E_clISt17integral_constantIbLb0EES1B_EEDaS16_S17_EUlS16_E_NS1_11comp_targetILNS1_3genE2ELNS1_11target_archE906ELNS1_3gpuE6ELNS1_3repE0EEENS1_30default_config_static_selectorELNS0_4arch9wavefront6targetE0EEEvT1_.uses_vcc, 0
	.set _ZN7rocprim17ROCPRIM_400000_NS6detail17trampoline_kernelINS0_14default_configENS1_25partition_config_selectorILNS1_17partition_subalgoE5EyNS0_10empty_typeEbEEZZNS1_14partition_implILS5_5ELb0ES3_mN6thrust23THRUST_200600_302600_NS6detail15normal_iteratorINSA_10device_ptrIyEEEEPS6_NSA_18transform_iteratorINSB_9not_fun_tINSA_8identityIyEEEESF_NSA_11use_defaultESM_EENS0_5tupleIJSF_S6_EEENSO_IJSG_SG_EEES6_PlJS6_EEE10hipError_tPvRmT3_T4_T5_T6_T7_T9_mT8_P12ihipStream_tbDpT10_ENKUlT_T0_E_clISt17integral_constantIbLb0EES1B_EEDaS16_S17_EUlS16_E_NS1_11comp_targetILNS1_3genE2ELNS1_11target_archE906ELNS1_3gpuE6ELNS1_3repE0EEENS1_30default_config_static_selectorELNS0_4arch9wavefront6targetE0EEEvT1_.uses_flat_scratch, 0
	.set _ZN7rocprim17ROCPRIM_400000_NS6detail17trampoline_kernelINS0_14default_configENS1_25partition_config_selectorILNS1_17partition_subalgoE5EyNS0_10empty_typeEbEEZZNS1_14partition_implILS5_5ELb0ES3_mN6thrust23THRUST_200600_302600_NS6detail15normal_iteratorINSA_10device_ptrIyEEEEPS6_NSA_18transform_iteratorINSB_9not_fun_tINSA_8identityIyEEEESF_NSA_11use_defaultESM_EENS0_5tupleIJSF_S6_EEENSO_IJSG_SG_EEES6_PlJS6_EEE10hipError_tPvRmT3_T4_T5_T6_T7_T9_mT8_P12ihipStream_tbDpT10_ENKUlT_T0_E_clISt17integral_constantIbLb0EES1B_EEDaS16_S17_EUlS16_E_NS1_11comp_targetILNS1_3genE2ELNS1_11target_archE906ELNS1_3gpuE6ELNS1_3repE0EEENS1_30default_config_static_selectorELNS0_4arch9wavefront6targetE0EEEvT1_.has_dyn_sized_stack, 0
	.set _ZN7rocprim17ROCPRIM_400000_NS6detail17trampoline_kernelINS0_14default_configENS1_25partition_config_selectorILNS1_17partition_subalgoE5EyNS0_10empty_typeEbEEZZNS1_14partition_implILS5_5ELb0ES3_mN6thrust23THRUST_200600_302600_NS6detail15normal_iteratorINSA_10device_ptrIyEEEEPS6_NSA_18transform_iteratorINSB_9not_fun_tINSA_8identityIyEEEESF_NSA_11use_defaultESM_EENS0_5tupleIJSF_S6_EEENSO_IJSG_SG_EEES6_PlJS6_EEE10hipError_tPvRmT3_T4_T5_T6_T7_T9_mT8_P12ihipStream_tbDpT10_ENKUlT_T0_E_clISt17integral_constantIbLb0EES1B_EEDaS16_S17_EUlS16_E_NS1_11comp_targetILNS1_3genE2ELNS1_11target_archE906ELNS1_3gpuE6ELNS1_3repE0EEENS1_30default_config_static_selectorELNS0_4arch9wavefront6targetE0EEEvT1_.has_recursion, 0
	.set _ZN7rocprim17ROCPRIM_400000_NS6detail17trampoline_kernelINS0_14default_configENS1_25partition_config_selectorILNS1_17partition_subalgoE5EyNS0_10empty_typeEbEEZZNS1_14partition_implILS5_5ELb0ES3_mN6thrust23THRUST_200600_302600_NS6detail15normal_iteratorINSA_10device_ptrIyEEEEPS6_NSA_18transform_iteratorINSB_9not_fun_tINSA_8identityIyEEEESF_NSA_11use_defaultESM_EENS0_5tupleIJSF_S6_EEENSO_IJSG_SG_EEES6_PlJS6_EEE10hipError_tPvRmT3_T4_T5_T6_T7_T9_mT8_P12ihipStream_tbDpT10_ENKUlT_T0_E_clISt17integral_constantIbLb0EES1B_EEDaS16_S17_EUlS16_E_NS1_11comp_targetILNS1_3genE2ELNS1_11target_archE906ELNS1_3gpuE6ELNS1_3repE0EEENS1_30default_config_static_selectorELNS0_4arch9wavefront6targetE0EEEvT1_.has_indirect_call, 0
	.section	.AMDGPU.csdata,"",@progbits
; Kernel info:
; codeLenInByte = 0
; TotalNumSgprs: 0
; NumVgprs: 0
; ScratchSize: 0
; MemoryBound: 0
; FloatMode: 240
; IeeeMode: 1
; LDSByteSize: 0 bytes/workgroup (compile time only)
; SGPRBlocks: 0
; VGPRBlocks: 0
; NumSGPRsForWavesPerEU: 1
; NumVGPRsForWavesPerEU: 1
; Occupancy: 16
; WaveLimiterHint : 0
; COMPUTE_PGM_RSRC2:SCRATCH_EN: 0
; COMPUTE_PGM_RSRC2:USER_SGPR: 2
; COMPUTE_PGM_RSRC2:TRAP_HANDLER: 0
; COMPUTE_PGM_RSRC2:TGID_X_EN: 1
; COMPUTE_PGM_RSRC2:TGID_Y_EN: 0
; COMPUTE_PGM_RSRC2:TGID_Z_EN: 0
; COMPUTE_PGM_RSRC2:TIDIG_COMP_CNT: 0
	.section	.text._ZN7rocprim17ROCPRIM_400000_NS6detail17trampoline_kernelINS0_14default_configENS1_25partition_config_selectorILNS1_17partition_subalgoE5EyNS0_10empty_typeEbEEZZNS1_14partition_implILS5_5ELb0ES3_mN6thrust23THRUST_200600_302600_NS6detail15normal_iteratorINSA_10device_ptrIyEEEEPS6_NSA_18transform_iteratorINSB_9not_fun_tINSA_8identityIyEEEESF_NSA_11use_defaultESM_EENS0_5tupleIJSF_S6_EEENSO_IJSG_SG_EEES6_PlJS6_EEE10hipError_tPvRmT3_T4_T5_T6_T7_T9_mT8_P12ihipStream_tbDpT10_ENKUlT_T0_E_clISt17integral_constantIbLb0EES1B_EEDaS16_S17_EUlS16_E_NS1_11comp_targetILNS1_3genE10ELNS1_11target_archE1200ELNS1_3gpuE4ELNS1_3repE0EEENS1_30default_config_static_selectorELNS0_4arch9wavefront6targetE0EEEvT1_,"axG",@progbits,_ZN7rocprim17ROCPRIM_400000_NS6detail17trampoline_kernelINS0_14default_configENS1_25partition_config_selectorILNS1_17partition_subalgoE5EyNS0_10empty_typeEbEEZZNS1_14partition_implILS5_5ELb0ES3_mN6thrust23THRUST_200600_302600_NS6detail15normal_iteratorINSA_10device_ptrIyEEEEPS6_NSA_18transform_iteratorINSB_9not_fun_tINSA_8identityIyEEEESF_NSA_11use_defaultESM_EENS0_5tupleIJSF_S6_EEENSO_IJSG_SG_EEES6_PlJS6_EEE10hipError_tPvRmT3_T4_T5_T6_T7_T9_mT8_P12ihipStream_tbDpT10_ENKUlT_T0_E_clISt17integral_constantIbLb0EES1B_EEDaS16_S17_EUlS16_E_NS1_11comp_targetILNS1_3genE10ELNS1_11target_archE1200ELNS1_3gpuE4ELNS1_3repE0EEENS1_30default_config_static_selectorELNS0_4arch9wavefront6targetE0EEEvT1_,comdat
	.protected	_ZN7rocprim17ROCPRIM_400000_NS6detail17trampoline_kernelINS0_14default_configENS1_25partition_config_selectorILNS1_17partition_subalgoE5EyNS0_10empty_typeEbEEZZNS1_14partition_implILS5_5ELb0ES3_mN6thrust23THRUST_200600_302600_NS6detail15normal_iteratorINSA_10device_ptrIyEEEEPS6_NSA_18transform_iteratorINSB_9not_fun_tINSA_8identityIyEEEESF_NSA_11use_defaultESM_EENS0_5tupleIJSF_S6_EEENSO_IJSG_SG_EEES6_PlJS6_EEE10hipError_tPvRmT3_T4_T5_T6_T7_T9_mT8_P12ihipStream_tbDpT10_ENKUlT_T0_E_clISt17integral_constantIbLb0EES1B_EEDaS16_S17_EUlS16_E_NS1_11comp_targetILNS1_3genE10ELNS1_11target_archE1200ELNS1_3gpuE4ELNS1_3repE0EEENS1_30default_config_static_selectorELNS0_4arch9wavefront6targetE0EEEvT1_ ; -- Begin function _ZN7rocprim17ROCPRIM_400000_NS6detail17trampoline_kernelINS0_14default_configENS1_25partition_config_selectorILNS1_17partition_subalgoE5EyNS0_10empty_typeEbEEZZNS1_14partition_implILS5_5ELb0ES3_mN6thrust23THRUST_200600_302600_NS6detail15normal_iteratorINSA_10device_ptrIyEEEEPS6_NSA_18transform_iteratorINSB_9not_fun_tINSA_8identityIyEEEESF_NSA_11use_defaultESM_EENS0_5tupleIJSF_S6_EEENSO_IJSG_SG_EEES6_PlJS6_EEE10hipError_tPvRmT3_T4_T5_T6_T7_T9_mT8_P12ihipStream_tbDpT10_ENKUlT_T0_E_clISt17integral_constantIbLb0EES1B_EEDaS16_S17_EUlS16_E_NS1_11comp_targetILNS1_3genE10ELNS1_11target_archE1200ELNS1_3gpuE4ELNS1_3repE0EEENS1_30default_config_static_selectorELNS0_4arch9wavefront6targetE0EEEvT1_
	.globl	_ZN7rocprim17ROCPRIM_400000_NS6detail17trampoline_kernelINS0_14default_configENS1_25partition_config_selectorILNS1_17partition_subalgoE5EyNS0_10empty_typeEbEEZZNS1_14partition_implILS5_5ELb0ES3_mN6thrust23THRUST_200600_302600_NS6detail15normal_iteratorINSA_10device_ptrIyEEEEPS6_NSA_18transform_iteratorINSB_9not_fun_tINSA_8identityIyEEEESF_NSA_11use_defaultESM_EENS0_5tupleIJSF_S6_EEENSO_IJSG_SG_EEES6_PlJS6_EEE10hipError_tPvRmT3_T4_T5_T6_T7_T9_mT8_P12ihipStream_tbDpT10_ENKUlT_T0_E_clISt17integral_constantIbLb0EES1B_EEDaS16_S17_EUlS16_E_NS1_11comp_targetILNS1_3genE10ELNS1_11target_archE1200ELNS1_3gpuE4ELNS1_3repE0EEENS1_30default_config_static_selectorELNS0_4arch9wavefront6targetE0EEEvT1_
	.p2align	8
	.type	_ZN7rocprim17ROCPRIM_400000_NS6detail17trampoline_kernelINS0_14default_configENS1_25partition_config_selectorILNS1_17partition_subalgoE5EyNS0_10empty_typeEbEEZZNS1_14partition_implILS5_5ELb0ES3_mN6thrust23THRUST_200600_302600_NS6detail15normal_iteratorINSA_10device_ptrIyEEEEPS6_NSA_18transform_iteratorINSB_9not_fun_tINSA_8identityIyEEEESF_NSA_11use_defaultESM_EENS0_5tupleIJSF_S6_EEENSO_IJSG_SG_EEES6_PlJS6_EEE10hipError_tPvRmT3_T4_T5_T6_T7_T9_mT8_P12ihipStream_tbDpT10_ENKUlT_T0_E_clISt17integral_constantIbLb0EES1B_EEDaS16_S17_EUlS16_E_NS1_11comp_targetILNS1_3genE10ELNS1_11target_archE1200ELNS1_3gpuE4ELNS1_3repE0EEENS1_30default_config_static_selectorELNS0_4arch9wavefront6targetE0EEEvT1_,@function
_ZN7rocprim17ROCPRIM_400000_NS6detail17trampoline_kernelINS0_14default_configENS1_25partition_config_selectorILNS1_17partition_subalgoE5EyNS0_10empty_typeEbEEZZNS1_14partition_implILS5_5ELb0ES3_mN6thrust23THRUST_200600_302600_NS6detail15normal_iteratorINSA_10device_ptrIyEEEEPS6_NSA_18transform_iteratorINSB_9not_fun_tINSA_8identityIyEEEESF_NSA_11use_defaultESM_EENS0_5tupleIJSF_S6_EEENSO_IJSG_SG_EEES6_PlJS6_EEE10hipError_tPvRmT3_T4_T5_T6_T7_T9_mT8_P12ihipStream_tbDpT10_ENKUlT_T0_E_clISt17integral_constantIbLb0EES1B_EEDaS16_S17_EUlS16_E_NS1_11comp_targetILNS1_3genE10ELNS1_11target_archE1200ELNS1_3gpuE4ELNS1_3repE0EEENS1_30default_config_static_selectorELNS0_4arch9wavefront6targetE0EEEvT1_: ; @_ZN7rocprim17ROCPRIM_400000_NS6detail17trampoline_kernelINS0_14default_configENS1_25partition_config_selectorILNS1_17partition_subalgoE5EyNS0_10empty_typeEbEEZZNS1_14partition_implILS5_5ELb0ES3_mN6thrust23THRUST_200600_302600_NS6detail15normal_iteratorINSA_10device_ptrIyEEEEPS6_NSA_18transform_iteratorINSB_9not_fun_tINSA_8identityIyEEEESF_NSA_11use_defaultESM_EENS0_5tupleIJSF_S6_EEENSO_IJSG_SG_EEES6_PlJS6_EEE10hipError_tPvRmT3_T4_T5_T6_T7_T9_mT8_P12ihipStream_tbDpT10_ENKUlT_T0_E_clISt17integral_constantIbLb0EES1B_EEDaS16_S17_EUlS16_E_NS1_11comp_targetILNS1_3genE10ELNS1_11target_archE1200ELNS1_3gpuE4ELNS1_3repE0EEENS1_30default_config_static_selectorELNS0_4arch9wavefront6targetE0EEEvT1_
; %bb.0:
	s_clause 0x3
	s_load_b128 s[4:7], s[0:1], 0x8
	s_load_b128 s[8:11], s[0:1], 0x48
	s_load_b32 s2, s[0:1], 0x70
	s_load_b64 s[14:15], s[0:1], 0x58
	s_mov_b32 s17, 0
	s_lshl_b32 s20, ttmp9, 10
	s_mov_b32 s21, s17
	v_lshrrev_b32_e32 v11, 2, v0
	v_or_b32_e32 v9, 0x200, v0
	v_or_b32_e32 v10, 0x300, v0
	s_mov_b32 s3, -1
	s_wait_kmcnt 0x0
	s_lshl_b64 s[12:13], s[6:7], 3
	s_load_b64 s[10:11], s[10:11], 0x0
	s_add_co_i32 s19, s2, -1
	s_lshl_b32 s16, s2, 10
	s_lshl_b32 s2, s19, 10
	s_add_nc_u64 s[16:17], s[6:7], s[16:17]
	s_add_co_i32 s2, s6, s2
	v_cmp_le_u64_e64 s6, s[14:15], s[16:17]
	s_sub_co_i32 s18, s14, s2
	s_cmp_eq_u32 ttmp9, s19
	s_cselect_b32 s16, -1, 0
	s_wait_alu 0xfffe
	s_and_b32 s2, s16, s6
	s_add_nc_u64 s[6:7], s[4:5], s[12:13]
	s_xor_b32 s17, s2, -1
	s_lshl_b64 s[4:5], s[20:21], 3
	s_wait_alu 0xfffe
	s_and_b32 vcc_lo, exec_lo, s17
	s_add_nc_u64 s[14:15], s[6:7], s[4:5]
	s_cbranch_vccz .LBB858_2
; %bb.1:
	v_lshlrev_b32_e32 v12, 3, v0
	v_or_b32_e32 v13, 0x100, v0
	v_lshrrev_b32_e32 v14, 2, v9
	v_lshrrev_b32_e32 v15, 2, v10
	v_and_b32_e32 v16, 56, v11
	s_wait_alu 0xfffe
	v_add_co_u32 v1, s2, s14, v12
	s_delay_alu instid0(VALU_DEP_1)
	v_add_co_ci_u32_e64 v2, null, s15, 0, s2
	v_lshrrev_b32_e32 v13, 2, v13
	v_and_b32_e32 v14, 0xb8, v14
	v_and_b32_e32 v15, 0xf8, v15
	s_clause 0x3
	flat_load_b64 v[3:4], v[1:2]
	flat_load_b64 v[5:6], v[1:2] offset:2048
	flat_load_b64 v[7:8], v[1:2] offset:4096
	;; [unrolled: 1-line block ×3, first 2 shown]
	v_add_nc_u32_e32 v16, v16, v12
	v_and_b32_e32 v13, 0x78, v13
	v_add_nc_u32_e32 v14, v14, v12
	s_mov_b32 s3, 0
	s_delay_alu instid0(VALU_DEP_2)
	v_add_nc_u32_e32 v13, v13, v12
	v_add_nc_u32_e32 v12, v15, v12
	s_wait_loadcnt_dscnt 0x303
	ds_store_b64 v16, v[3:4]
	s_wait_loadcnt_dscnt 0x203
	ds_store_b64 v13, v[5:6] offset:2048
	s_wait_loadcnt_dscnt 0x103
	ds_store_b64 v14, v[7:8] offset:4096
	;; [unrolled: 2-line block ×3, first 2 shown]
	s_wait_dscnt 0x0
	s_barrier_signal -1
	s_barrier_wait -1
.LBB858_2:
	s_load_b64 s[6:7], s[0:1], 0x20
	v_cmp_gt_u32_e64 s2, s18, v0
	s_and_not1_b32 vcc_lo, exec_lo, s3
	s_cbranch_vccnz .LBB858_10
; %bb.3:
	v_mov_b32_e32 v1, 0
	s_delay_alu instid0(VALU_DEP_1)
	v_dual_mov_b32 v2, v1 :: v_dual_mov_b32 v3, v1
	v_dual_mov_b32 v4, v1 :: v_dual_mov_b32 v5, v1
	;; [unrolled: 1-line block ×3, first 2 shown]
	v_mov_b32_e32 v8, v1
	s_and_saveexec_b32 s3, s2
	s_cbranch_execz .LBB858_5
; %bb.4:
	v_dual_mov_b32 v15, v1 :: v_dual_lshlrev_b32 v2, 3, v0
	v_dual_mov_b32 v14, v1 :: v_dual_mov_b32 v17, v1
	v_dual_mov_b32 v16, v1 :: v_dual_mov_b32 v19, v1
	s_delay_alu instid0(VALU_DEP_3)
	v_add_co_u32 v2, s2, s14, v2
	s_wait_alu 0xf1ff
	v_add_co_ci_u32_e64 v3, null, s15, 0, s2
	v_mov_b32_e32 v18, v1
	flat_load_b64 v[12:13], v[2:3]
	s_wait_loadcnt_dscnt 0x0
	v_dual_mov_b32 v1, v12 :: v_dual_mov_b32 v2, v13
	v_dual_mov_b32 v3, v14 :: v_dual_mov_b32 v4, v15
	;; [unrolled: 1-line block ×4, first 2 shown]
.LBB858_5:
	s_wait_alu 0xfffe
	s_or_b32 exec_lo, exec_lo, s3
	v_or_b32_e32 v12, 0x100, v0
	s_mov_b32 s2, exec_lo
	s_delay_alu instid0(VALU_DEP_1)
	v_cmpx_gt_u32_e64 s18, v12
	s_cbranch_execnz .LBB858_134
; %bb.6:
	s_wait_alu 0xfffe
	s_or_b32 exec_lo, exec_lo, s2
	s_delay_alu instid0(SALU_CYCLE_1)
	s_mov_b32 s2, exec_lo
	v_cmpx_gt_u32_e64 s18, v9
	s_cbranch_execnz .LBB858_135
.LBB858_7:
	s_wait_alu 0xfffe
	s_or_b32 exec_lo, exec_lo, s2
	s_delay_alu instid0(SALU_CYCLE_1)
	s_mov_b32 s2, exec_lo
	v_cmpx_gt_u32_e64 s18, v10
	s_cbranch_execz .LBB858_9
.LBB858_8:
	v_lshlrev_b32_e32 v7, 3, v0
	s_delay_alu instid0(VALU_DEP_1)
	v_add_co_u32 v7, s3, s14, v7
	s_wait_alu 0xf1ff
	v_add_co_ci_u32_e64 v8, null, s15, 0, s3
	flat_load_b64 v[7:8], v[7:8] offset:6144
.LBB858_9:
	s_wait_alu 0xfffe
	s_or_b32 exec_lo, exec_lo, s2
	v_lshrrev_b32_e32 v12, 2, v12
	v_lshrrev_b32_e32 v13, 2, v9
	;; [unrolled: 1-line block ×3, first 2 shown]
	v_and_b32_e32 v11, 56, v11
	v_lshlrev_b32_e32 v15, 3, v0
	v_and_b32_e32 v12, 0x78, v12
	v_and_b32_e32 v13, 0xf8, v13
	;; [unrolled: 1-line block ×3, first 2 shown]
	s_delay_alu instid0(VALU_DEP_4) | instskip(NEXT) | instid1(VALU_DEP_4)
	v_add_nc_u32_e32 v11, v11, v15
	v_add_nc_u32_e32 v12, v12, v15
	s_delay_alu instid0(VALU_DEP_4) | instskip(NEXT) | instid1(VALU_DEP_4)
	v_add_nc_u32_e32 v13, v13, v15
	v_add_nc_u32_e32 v14, v14, v15
	ds_store_b64 v11, v[1:2]
	s_wait_loadcnt_dscnt 0x1
	ds_store_b64 v12, v[3:4] offset:2048
	ds_store_b64 v13, v[5:6] offset:4096
	;; [unrolled: 1-line block ×3, first 2 shown]
	s_wait_dscnt 0x0
	s_barrier_signal -1
	s_barrier_wait -1
.LBB858_10:
	v_and_b32_e32 v1, 0xf8, v0
	global_inv scope:SCOPE_SE
	v_lshrrev_b32_e32 v26, 5, v0
	s_wait_kmcnt 0x0
	s_add_nc_u64 s[2:3], s[6:7], s[12:13]
	s_and_b32 vcc_lo, exec_lo, s17
	v_lshl_add_u32 v1, v0, 5, v1
	s_wait_alu 0xfffe
	s_add_nc_u64 s[2:3], s[2:3], s[4:5]
	s_mov_b32 s4, -1
	ds_load_2addr_b64 v[5:8], v1 offset1:1
	ds_load_2addr_b64 v[1:4], v1 offset0:2 offset1:3
	s_wait_loadcnt_dscnt 0x0
	s_barrier_signal -1
	s_barrier_wait -1
	global_inv scope:SCOPE_SE
	s_cbranch_vccz .LBB858_12
; %bb.11:
	v_lshlrev_b32_e32 v17, 3, v0
	v_or_b32_e32 v19, 0x100, v0
	v_lshrrev_b32_e32 v20, 5, v9
	v_lshrrev_b32_e32 v21, 5, v10
	v_and_b32_e32 v22, 4, v26
	s_clause 0x3
	global_load_b64 v[11:12], v17, s[2:3]
	global_load_b64 v[13:14], v17, s[2:3] offset:2048
	global_load_b64 v[15:16], v17, s[2:3] offset:4096
	;; [unrolled: 1-line block ×3, first 2 shown]
	v_lshrrev_b32_e32 v19, 5, v19
	v_and_b32_e32 v20, 20, v20
	v_and_b32_e32 v21, 28, v21
	v_add_nc_u32_e32 v22, v22, v0
	s_mov_b32 s4, 0
	v_and_b32_e32 v19, 12, v19
	v_add_nc_u32_e32 v20, v20, v0
	v_add_nc_u32_e32 v21, v21, v0
	s_delay_alu instid0(VALU_DEP_3)
	v_add_nc_u32_e32 v19, v19, v0
	s_wait_loadcnt 0x3
	v_cmp_eq_u64_e32 vcc_lo, 0, v[11:12]
	v_cndmask_b32_e64 v11, 0, 1, vcc_lo
	s_wait_loadcnt 0x2
	v_cmp_eq_u64_e32 vcc_lo, 0, v[13:14]
	s_wait_alu 0xfffd
	v_cndmask_b32_e64 v12, 0, 1, vcc_lo
	s_wait_loadcnt 0x1
	v_cmp_eq_u64_e32 vcc_lo, 0, v[15:16]
	s_wait_alu 0xfffd
	;; [unrolled: 4-line block ×3, first 2 shown]
	v_cndmask_b32_e64 v14, 0, 1, vcc_lo
	ds_store_b8 v22, v11
	ds_store_b8 v19, v12 offset:256
	ds_store_b8 v20, v13 offset:512
	;; [unrolled: 1-line block ×3, first 2 shown]
	s_wait_dscnt 0x0
	s_barrier_signal -1
	s_barrier_wait -1
.LBB858_12:
	v_lshlrev_b32_e32 v11, 2, v0
	v_lshrrev_b32_e32 v12, 3, v0
	s_and_not1_b32 vcc_lo, exec_lo, s4
	s_wait_alu 0xfffe
	s_cbranch_vccnz .LBB858_20
; %bb.13:
	v_dual_mov_b32 v13, 0 :: v_dual_mov_b32 v14, 0
	s_mov_b32 s4, exec_lo
	v_cmpx_gt_u32_e64 s18, v0
	s_cbranch_execz .LBB858_15
; %bb.14:
	v_lshlrev_b32_e32 v13, 3, v0
	global_load_b64 v[13:14], v13, s[2:3]
	s_wait_loadcnt 0x0
	v_cmp_eq_u64_e32 vcc_lo, 0, v[13:14]
	s_wait_alu 0xfffd
	v_cndmask_b32_e64 v13, 0, 1, vcc_lo
	v_cndmask_b32_e64 v14, 0, 1, vcc_lo
.LBB858_15:
	s_or_b32 exec_lo, exec_lo, s4
	v_or_b32_e32 v15, 0x100, v0
	s_mov_b32 s4, exec_lo
	s_delay_alu instid0(VALU_DEP_1)
	v_cmpx_gt_u32_e64 s18, v15
	s_cbranch_execnz .LBB858_136
; %bb.16:
	s_or_b32 exec_lo, exec_lo, s4
	s_delay_alu instid0(SALU_CYCLE_1)
	s_mov_b32 s4, exec_lo
	v_cmpx_gt_u32_e64 s18, v9
	s_cbranch_execnz .LBB858_137
.LBB858_17:
	s_or_b32 exec_lo, exec_lo, s4
	s_delay_alu instid0(SALU_CYCLE_1)
	s_mov_b32 s4, exec_lo
	v_cmpx_gt_u32_e64 s18, v10
	s_cbranch_execz .LBB858_19
.LBB858_18:
	v_lshlrev_b32_e32 v16, 3, v0
	global_load_b64 v[16:17], v16, s[2:3] offset:6144
	s_wait_loadcnt 0x0
	v_cmp_eq_u64_e32 vcc_lo, 0, v[16:17]
	v_lshrrev_b32_e32 v17, 16, v14
	s_wait_alu 0xfffd
	v_cndmask_b32_e64 v16, 0, 1, vcc_lo
	s_delay_alu instid0(VALU_DEP_1) | instskip(NEXT) | instid1(VALU_DEP_1)
	v_lshlrev_b16 v16, 8, v16
	v_or_b32_e32 v16, v17, v16
	s_delay_alu instid0(VALU_DEP_1) | instskip(NEXT) | instid1(VALU_DEP_1)
	v_lshlrev_b32_e32 v16, 16, v16
	v_and_or_b32 v14, 0xffff, v14, v16
.LBB858_19:
	s_or_b32 exec_lo, exec_lo, s4
	v_lshrrev_b32_e32 v15, 5, v15
	v_lshrrev_b32_e32 v9, 5, v9
	;; [unrolled: 1-line block ×3, first 2 shown]
	v_and_b32_e32 v16, 4, v26
	v_lshrrev_b32_e32 v17, 8, v14
	v_and_b32_e32 v15, 12, v15
	v_and_b32_e32 v9, 28, v9
	v_and_b32_e32 v10, 28, v10
	v_add_nc_u32_e32 v16, v16, v0
	v_lshrrev_b32_e32 v18, 24, v14
	v_add_nc_u32_e32 v15, v15, v0
	v_add_nc_u32_e32 v9, v9, v0
	;; [unrolled: 1-line block ×3, first 2 shown]
	ds_store_b8 v16, v13
	ds_store_b8 v15, v17 offset:256
	ds_store_b8_d16_hi v9, v14 offset:512
	ds_store_b8 v10, v18 offset:768
	s_wait_loadcnt_dscnt 0x0
	s_barrier_signal -1
	s_barrier_wait -1
.LBB858_20:
	s_delay_alu instid0(VALU_DEP_1)
	v_dual_mov_b32 v10, 0 :: v_dual_and_b32 v9, 28, v12
	s_wait_loadcnt 0x0
	global_inv scope:SCOPE_SE
	s_load_b64 s[6:7], s[0:1], 0x68
	v_mbcnt_lo_u32_b32 v31, -1, 0
	v_add_nc_u32_e32 v9, v9, v11
	s_cmp_lg_u32 ttmp9, 0
	s_mov_b32 s3, -1
	s_delay_alu instid0(VALU_DEP_2)
	v_and_b32_e32 v32, 15, v31
	ds_load_b32 v27, v9
	s_wait_loadcnt_dscnt 0x0
	s_barrier_signal -1
	s_barrier_wait -1
	global_inv scope:SCOPE_SE
	v_and_b32_e32 v30, 0xff, v27
	v_bfe_u32 v29, v27, 8, 8
	v_bfe_u32 v28, v27, 16, 8
	v_lshrrev_b32_e32 v25, 24, v27
	s_delay_alu instid0(VALU_DEP_2) | instskip(NEXT) | instid1(VALU_DEP_1)
	v_add3_u32 v9, v29, v30, v28
	v_add_co_u32 v17, s2, v9, v25
	s_wait_alu 0xf1ff
	v_add_co_ci_u32_e64 v18, null, 0, 0, s2
	v_cmp_ne_u32_e64 s2, 0, v32
	s_cbranch_scc0 .LBB858_77
; %bb.21:
	v_mov_b32_e32 v11, v17
	v_mov_b32_dpp v9, v17 row_shr:1 row_mask:0xf bank_mask:0xf
	v_mov_b32_dpp v14, v10 row_shr:1 row_mask:0xf bank_mask:0xf
	v_dual_mov_b32 v13, v17 :: v_dual_mov_b32 v12, v18
	s_and_saveexec_b32 s3, s2
; %bb.22:
	s_delay_alu instid0(VALU_DEP_3) | instskip(SKIP_2) | instid1(VALU_DEP_2)
	v_add_co_u32 v13, vcc_lo, v17, v9
	s_wait_alu 0xfffd
	v_add_co_ci_u32_e64 v10, null, 0, v18, vcc_lo
	v_add_co_u32 v9, vcc_lo, 0, v13
	s_wait_alu 0xfffd
	s_delay_alu instid0(VALU_DEP_2) | instskip(NEXT) | instid1(VALU_DEP_1)
	v_add_co_ci_u32_e64 v10, null, v14, v10, vcc_lo
	v_dual_mov_b32 v12, v10 :: v_dual_mov_b32 v11, v9
; %bb.23:
	s_wait_alu 0xfffe
	s_or_b32 exec_lo, exec_lo, s3
	v_mov_b32_dpp v9, v13 row_shr:2 row_mask:0xf bank_mask:0xf
	v_mov_b32_dpp v14, v10 row_shr:2 row_mask:0xf bank_mask:0xf
	s_mov_b32 s3, exec_lo
	v_cmpx_lt_u32_e32 1, v32
; %bb.24:
	s_delay_alu instid0(VALU_DEP_3) | instskip(SKIP_2) | instid1(VALU_DEP_2)
	v_add_co_u32 v13, vcc_lo, v11, v9
	s_wait_alu 0xfffd
	v_add_co_ci_u32_e64 v10, null, 0, v12, vcc_lo
	v_add_co_u32 v9, vcc_lo, 0, v13
	s_wait_alu 0xfffd
	s_delay_alu instid0(VALU_DEP_2) | instskip(NEXT) | instid1(VALU_DEP_1)
	v_add_co_ci_u32_e64 v10, null, v14, v10, vcc_lo
	v_dual_mov_b32 v12, v10 :: v_dual_mov_b32 v11, v9
; %bb.25:
	s_wait_alu 0xfffe
	s_or_b32 exec_lo, exec_lo, s3
	v_mov_b32_dpp v9, v13 row_shr:4 row_mask:0xf bank_mask:0xf
	v_mov_b32_dpp v14, v10 row_shr:4 row_mask:0xf bank_mask:0xf
	s_mov_b32 s3, exec_lo
	v_cmpx_lt_u32_e32 3, v32
; %bb.26:
	s_delay_alu instid0(VALU_DEP_3) | instskip(SKIP_2) | instid1(VALU_DEP_2)
	v_add_co_u32 v13, vcc_lo, v11, v9
	s_wait_alu 0xfffd
	v_add_co_ci_u32_e64 v10, null, 0, v12, vcc_lo
	v_add_co_u32 v9, vcc_lo, 0, v13
	s_wait_alu 0xfffd
	s_delay_alu instid0(VALU_DEP_2) | instskip(NEXT) | instid1(VALU_DEP_1)
	v_add_co_ci_u32_e64 v10, null, v14, v10, vcc_lo
	v_dual_mov_b32 v12, v10 :: v_dual_mov_b32 v11, v9
; %bb.27:
	s_wait_alu 0xfffe
	s_or_b32 exec_lo, exec_lo, s3
	v_mov_b32_dpp v14, v13 row_shr:8 row_mask:0xf bank_mask:0xf
	v_mov_b32_dpp v9, v10 row_shr:8 row_mask:0xf bank_mask:0xf
	s_mov_b32 s3, exec_lo
	v_cmpx_lt_u32_e32 7, v32
; %bb.28:
	s_delay_alu instid0(VALU_DEP_3) | instskip(SKIP_2) | instid1(VALU_DEP_2)
	v_add_co_u32 v13, vcc_lo, v11, v14
	s_wait_alu 0xfffd
	v_add_co_ci_u32_e64 v10, null, 0, v12, vcc_lo
	v_add_co_u32 v11, vcc_lo, 0, v13
	s_wait_alu 0xfffd
	s_delay_alu instid0(VALU_DEP_2) | instskip(NEXT) | instid1(VALU_DEP_1)
	v_add_co_ci_u32_e64 v12, null, v9, v10, vcc_lo
	v_mov_b32_e32 v10, v12
; %bb.29:
	s_wait_alu 0xfffe
	s_or_b32 exec_lo, exec_lo, s3
	ds_swizzle_b32 v9, v13 offset:swizzle(BROADCAST,32,15)
	ds_swizzle_b32 v14, v10 offset:swizzle(BROADCAST,32,15)
	v_and_b32_e32 v15, 16, v31
	s_mov_b32 s3, exec_lo
	s_delay_alu instid0(VALU_DEP_1)
	v_cmpx_ne_u32_e32 0, v15
	s_cbranch_execz .LBB858_31
; %bb.30:
	s_wait_dscnt 0x1
	v_add_co_u32 v13, vcc_lo, v11, v9
	s_wait_alu 0xfffd
	v_add_co_ci_u32_e64 v10, null, 0, v12, vcc_lo
	s_delay_alu instid0(VALU_DEP_2) | instskip(SKIP_2) | instid1(VALU_DEP_2)
	v_add_co_u32 v9, vcc_lo, 0, v13
	s_wait_dscnt 0x0
	s_wait_alu 0xfffd
	v_add_co_ci_u32_e64 v10, null, v14, v10, vcc_lo
	s_delay_alu instid0(VALU_DEP_1)
	v_dual_mov_b32 v12, v10 :: v_dual_mov_b32 v11, v9
.LBB858_31:
	s_wait_alu 0xfffe
	s_or_b32 exec_lo, exec_lo, s3
	s_wait_dscnt 0x1
	v_or_b32_e32 v9, 31, v0
	s_mov_b32 s3, exec_lo
	s_delay_alu instid0(VALU_DEP_1)
	v_cmpx_eq_u32_e64 v0, v9
; %bb.32:
	v_lshlrev_b32_e32 v9, 3, v26
	ds_store_b64 v9, v[11:12]
; %bb.33:
	s_wait_alu 0xfffe
	s_or_b32 exec_lo, exec_lo, s3
	s_delay_alu instid0(SALU_CYCLE_1)
	s_mov_b32 s3, exec_lo
	s_wait_loadcnt_dscnt 0x0
	s_barrier_signal -1
	s_barrier_wait -1
	global_inv scope:SCOPE_SE
	v_cmpx_gt_u32_e32 8, v0
	s_cbranch_execz .LBB858_41
; %bb.34:
	v_lshlrev_b32_e32 v9, 3, v0
	s_mov_b32 s4, exec_lo
	ds_load_b64 v[11:12], v9
	s_wait_dscnt 0x0
	v_dual_mov_b32 v15, v11 :: v_dual_and_b32 v14, 7, v31
	v_mov_b32_dpp v19, v11 row_shr:1 row_mask:0xf bank_mask:0xf
	v_mov_b32_dpp v16, v12 row_shr:1 row_mask:0xf bank_mask:0xf
	s_delay_alu instid0(VALU_DEP_3)
	v_cmpx_ne_u32_e32 0, v14
; %bb.35:
	s_delay_alu instid0(VALU_DEP_3) | instskip(SKIP_2) | instid1(VALU_DEP_2)
	v_add_co_u32 v15, vcc_lo, v11, v19
	s_wait_alu 0xfffd
	v_add_co_ci_u32_e64 v12, null, 0, v12, vcc_lo
	v_add_co_u32 v11, vcc_lo, 0, v15
	s_wait_alu 0xfffd
	s_delay_alu instid0(VALU_DEP_2)
	v_add_co_ci_u32_e64 v12, null, v16, v12, vcc_lo
; %bb.36:
	s_or_b32 exec_lo, exec_lo, s4
	v_mov_b32_dpp v19, v15 row_shr:2 row_mask:0xf bank_mask:0xf
	s_delay_alu instid0(VALU_DEP_2)
	v_mov_b32_dpp v16, v12 row_shr:2 row_mask:0xf bank_mask:0xf
	s_mov_b32 s4, exec_lo
	v_cmpx_lt_u32_e32 1, v14
; %bb.37:
	s_delay_alu instid0(VALU_DEP_3) | instskip(SKIP_2) | instid1(VALU_DEP_2)
	v_add_co_u32 v15, vcc_lo, v11, v19
	s_wait_alu 0xfffd
	v_add_co_ci_u32_e64 v12, null, 0, v12, vcc_lo
	v_add_co_u32 v11, vcc_lo, 0, v15
	s_wait_alu 0xfffd
	s_delay_alu instid0(VALU_DEP_2)
	v_add_co_ci_u32_e64 v12, null, v16, v12, vcc_lo
; %bb.38:
	s_or_b32 exec_lo, exec_lo, s4
	v_mov_b32_dpp v16, v15 row_shr:4 row_mask:0xf bank_mask:0xf
	s_delay_alu instid0(VALU_DEP_2)
	v_mov_b32_dpp v15, v12 row_shr:4 row_mask:0xf bank_mask:0xf
	s_mov_b32 s4, exec_lo
	v_cmpx_lt_u32_e32 3, v14
; %bb.39:
	s_delay_alu instid0(VALU_DEP_3) | instskip(SKIP_2) | instid1(VALU_DEP_2)
	v_add_co_u32 v11, vcc_lo, v11, v16
	s_wait_alu 0xfffd
	v_add_co_ci_u32_e64 v12, null, 0, v12, vcc_lo
	v_add_co_u32 v11, vcc_lo, v11, 0
	s_wait_alu 0xfffd
	s_delay_alu instid0(VALU_DEP_2)
	v_add_co_ci_u32_e64 v12, null, v12, v15, vcc_lo
; %bb.40:
	s_or_b32 exec_lo, exec_lo, s4
	ds_store_b64 v9, v[11:12]
.LBB858_41:
	s_wait_alu 0xfffe
	s_or_b32 exec_lo, exec_lo, s3
	s_delay_alu instid0(SALU_CYCLE_1)
	s_mov_b32 s4, exec_lo
	v_cmp_gt_u32_e32 vcc_lo, 32, v0
	s_wait_loadcnt_dscnt 0x0
	s_barrier_signal -1
	s_barrier_wait -1
	global_inv scope:SCOPE_SE
                                        ; implicit-def: $vgpr19_vgpr20
	v_cmpx_lt_u32_e32 31, v0
	s_cbranch_execz .LBB858_43
; %bb.42:
	v_lshl_add_u32 v9, v26, 3, -8
	ds_load_b64 v[19:20], v9
	s_wait_dscnt 0x0
	v_add_co_u32 v13, s3, v13, v19
	s_wait_alu 0xf1ff
	v_add_co_ci_u32_e64 v10, null, v10, v20, s3
.LBB858_43:
	s_or_b32 exec_lo, exec_lo, s4
	v_sub_co_u32 v9, s3, v31, 1
	s_delay_alu instid0(VALU_DEP_1) | instskip(NEXT) | instid1(VALU_DEP_1)
	v_cmp_gt_i32_e64 s4, 0, v9
	v_cndmask_b32_e64 v9, v9, v31, s4
	s_delay_alu instid0(VALU_DEP_1)
	v_lshlrev_b32_e32 v9, 2, v9
	ds_bpermute_b32 v33, v9, v13
	ds_bpermute_b32 v34, v9, v10
	s_and_saveexec_b32 s4, vcc_lo
	s_cbranch_execz .LBB858_82
; %bb.44:
	v_mov_b32_e32 v12, 0
	ds_load_b64 v[9:10], v12 offset:56
	s_and_saveexec_b32 s5, s3
	s_cbranch_execz .LBB858_46
; %bb.45:
	s_add_co_i32 s12, ttmp9, 32
	s_mov_b32 s13, 0
	s_delay_alu instid0(SALU_CYCLE_1) | instskip(SKIP_2) | instid1(SALU_CYCLE_1)
	s_lshl_b64 s[12:13], s[12:13], 4
	s_wait_kmcnt 0x0
	s_add_nc_u64 s[12:13], s[6:7], s[12:13]
	v_dual_mov_b32 v11, 1 :: v_dual_mov_b32 v14, s13
	v_mov_b32_e32 v13, s12
	s_wait_dscnt 0x0
	;;#ASMSTART
	global_store_b128 v[13:14], v[9:12] off scope:SCOPE_DEV	
s_wait_storecnt 0x0
	;;#ASMEND
.LBB858_46:
	s_wait_alu 0xfffe
	s_or_b32 exec_lo, exec_lo, s5
	v_xad_u32 v21, v31, -1, ttmp9
	s_mov_b32 s12, 0
	s_mov_b32 s5, exec_lo
	s_delay_alu instid0(VALU_DEP_1) | instskip(NEXT) | instid1(VALU_DEP_1)
	v_add_nc_u32_e32 v11, 32, v21
	v_lshlrev_b64_e32 v[11:12], 4, v[11:12]
	s_wait_kmcnt 0x0
	s_delay_alu instid0(VALU_DEP_1) | instskip(SKIP_1) | instid1(VALU_DEP_2)
	v_add_co_u32 v11, vcc_lo, s6, v11
	s_wait_alu 0xfffd
	v_add_co_ci_u32_e64 v12, null, s7, v12, vcc_lo
	;;#ASMSTART
	global_load_b128 v[13:16], v[11:12] off scope:SCOPE_DEV	
s_wait_loadcnt 0x0
	;;#ASMEND
	v_and_b32_e32 v16, 0xff, v15
	s_delay_alu instid0(VALU_DEP_1)
	v_cmpx_eq_u16_e32 0, v16
	s_cbranch_execz .LBB858_49
.LBB858_47:                             ; =>This Inner Loop Header: Depth=1
	;;#ASMSTART
	global_load_b128 v[13:16], v[11:12] off scope:SCOPE_DEV	
s_wait_loadcnt 0x0
	;;#ASMEND
	v_and_b32_e32 v16, 0xff, v15
	s_delay_alu instid0(VALU_DEP_1)
	v_cmp_ne_u16_e32 vcc_lo, 0, v16
	s_wait_alu 0xfffe
	s_or_b32 s12, vcc_lo, s12
	s_wait_alu 0xfffe
	s_and_not1_b32 exec_lo, exec_lo, s12
	s_cbranch_execnz .LBB858_47
; %bb.48:
	s_or_b32 exec_lo, exec_lo, s12
.LBB858_49:
	s_wait_alu 0xfffe
	s_or_b32 exec_lo, exec_lo, s5
	v_cmp_ne_u32_e32 vcc_lo, 31, v31
	v_and_b32_e32 v12, 0xff, v15
	v_lshlrev_b32_e64 v36, v31, -1
	s_mov_b32 s5, exec_lo
	s_wait_alu 0xfffd
	v_add_co_ci_u32_e64 v11, null, 0, v31, vcc_lo
	v_cmp_eq_u16_e32 vcc_lo, 2, v12
	s_delay_alu instid0(VALU_DEP_2)
	v_dual_mov_b32 v12, v13 :: v_dual_lshlrev_b32 v35, 2, v11
	s_wait_alu 0xfffd
	v_and_or_b32 v11, vcc_lo, v36, 0x80000000
	ds_bpermute_b32 v22, v35, v13
	ds_bpermute_b32 v16, v35, v14
	v_ctz_i32_b32_e32 v11, v11
	s_delay_alu instid0(VALU_DEP_1)
	v_cmpx_lt_u32_e64 v31, v11
	s_cbranch_execz .LBB858_51
; %bb.50:
	s_wait_dscnt 0x1
	v_add_co_u32 v12, vcc_lo, v13, v22
	s_wait_alu 0xfffd
	v_add_co_ci_u32_e64 v14, null, 0, v14, vcc_lo
	s_delay_alu instid0(VALU_DEP_2) | instskip(SKIP_2) | instid1(VALU_DEP_2)
	v_add_co_u32 v13, vcc_lo, 0, v12
	s_wait_dscnt 0x0
	s_wait_alu 0xfffd
	v_add_co_ci_u32_e64 v14, null, v16, v14, vcc_lo
.LBB858_51:
	s_wait_alu 0xfffe
	s_or_b32 exec_lo, exec_lo, s5
	v_cmp_gt_u32_e32 vcc_lo, 30, v31
	v_add_nc_u32_e32 v38, 2, v31
	s_mov_b32 s5, exec_lo
	s_wait_dscnt 0x0
	s_wait_alu 0xfffd
	v_cndmask_b32_e64 v16, 0, 2, vcc_lo
	s_delay_alu instid0(VALU_DEP_1)
	v_add_lshl_u32 v37, v16, v31, 2
	ds_bpermute_b32 v22, v37, v12
	ds_bpermute_b32 v16, v37, v14
	v_cmpx_le_u32_e64 v38, v11
	s_cbranch_execz .LBB858_53
; %bb.52:
	s_wait_dscnt 0x1
	v_add_co_u32 v12, vcc_lo, v13, v22
	s_wait_alu 0xfffd
	v_add_co_ci_u32_e64 v14, null, 0, v14, vcc_lo
	s_delay_alu instid0(VALU_DEP_2) | instskip(SKIP_2) | instid1(VALU_DEP_2)
	v_add_co_u32 v13, vcc_lo, 0, v12
	s_wait_dscnt 0x0
	s_wait_alu 0xfffd
	v_add_co_ci_u32_e64 v14, null, v16, v14, vcc_lo
.LBB858_53:
	s_wait_alu 0xfffe
	s_or_b32 exec_lo, exec_lo, s5
	v_cmp_gt_u32_e32 vcc_lo, 28, v31
	v_add_nc_u32_e32 v40, 4, v31
	s_mov_b32 s5, exec_lo
	s_wait_dscnt 0x0
	s_wait_alu 0xfffd
	v_cndmask_b32_e64 v16, 0, 4, vcc_lo
	s_delay_alu instid0(VALU_DEP_1)
	v_add_lshl_u32 v39, v16, v31, 2
	ds_bpermute_b32 v22, v39, v12
	ds_bpermute_b32 v16, v39, v14
	v_cmpx_le_u32_e64 v40, v11
	s_cbranch_execz .LBB858_55
; %bb.54:
	s_wait_dscnt 0x1
	v_add_co_u32 v12, vcc_lo, v13, v22
	s_wait_alu 0xfffd
	v_add_co_ci_u32_e64 v14, null, 0, v14, vcc_lo
	s_delay_alu instid0(VALU_DEP_2) | instskip(SKIP_2) | instid1(VALU_DEP_2)
	v_add_co_u32 v13, vcc_lo, 0, v12
	s_wait_dscnt 0x0
	s_wait_alu 0xfffd
	v_add_co_ci_u32_e64 v14, null, v16, v14, vcc_lo
.LBB858_55:
	s_wait_alu 0xfffe
	s_or_b32 exec_lo, exec_lo, s5
	v_cmp_gt_u32_e32 vcc_lo, 24, v31
	v_add_nc_u32_e32 v42, 8, v31
	s_mov_b32 s5, exec_lo
	s_wait_dscnt 0x0
	s_wait_alu 0xfffd
	v_cndmask_b32_e64 v16, 0, 8, vcc_lo
	s_delay_alu instid0(VALU_DEP_1)
	v_add_lshl_u32 v41, v16, v31, 2
	ds_bpermute_b32 v22, v41, v12
	ds_bpermute_b32 v16, v41, v14
	v_cmpx_le_u32_e64 v42, v11
	s_cbranch_execz .LBB858_57
; %bb.56:
	s_wait_dscnt 0x1
	v_add_co_u32 v12, vcc_lo, v13, v22
	s_wait_alu 0xfffd
	v_add_co_ci_u32_e64 v14, null, 0, v14, vcc_lo
	s_delay_alu instid0(VALU_DEP_2) | instskip(SKIP_2) | instid1(VALU_DEP_2)
	v_add_co_u32 v13, vcc_lo, 0, v12
	s_wait_dscnt 0x0
	s_wait_alu 0xfffd
	v_add_co_ci_u32_e64 v14, null, v16, v14, vcc_lo
.LBB858_57:
	s_wait_alu 0xfffe
	s_or_b32 exec_lo, exec_lo, s5
	v_lshl_or_b32 v43, v31, 2, 64
	v_add_nc_u32_e32 v44, 16, v31
	s_mov_b32 s5, exec_lo
	s_wait_dscnt 0x0
	ds_bpermute_b32 v16, v43, v12
	ds_bpermute_b32 v12, v43, v14
	v_cmpx_le_u32_e64 v44, v11
	s_cbranch_execz .LBB858_59
; %bb.58:
	s_wait_dscnt 0x1
	v_add_co_u32 v11, vcc_lo, v13, v16
	s_wait_alu 0xfffd
	v_add_co_ci_u32_e64 v14, null, 0, v14, vcc_lo
	s_delay_alu instid0(VALU_DEP_2) | instskip(SKIP_2) | instid1(VALU_DEP_2)
	v_add_co_u32 v13, vcc_lo, v11, 0
	s_wait_dscnt 0x0
	s_wait_alu 0xfffd
	v_add_co_ci_u32_e64 v14, null, v14, v12, vcc_lo
.LBB858_59:
	s_wait_alu 0xfffe
	s_or_b32 exec_lo, exec_lo, s5
	v_mov_b32_e32 v22, 0
	s_branch .LBB858_62
.LBB858_60:                             ;   in Loop: Header=BB858_62 Depth=1
	s_wait_alu 0xfffe
	s_or_b32 exec_lo, exec_lo, s5
	v_add_co_u32 v13, vcc_lo, v13, v11
	v_subrev_nc_u32_e32 v21, 32, v21
	s_wait_alu 0xfffd
	v_add_co_ci_u32_e64 v14, null, v14, v12, vcc_lo
	s_mov_b32 s5, 0
.LBB858_61:                             ;   in Loop: Header=BB858_62 Depth=1
	s_wait_alu 0xfffe
	s_and_b32 vcc_lo, exec_lo, s5
	s_wait_alu 0xfffe
	s_cbranch_vccnz .LBB858_78
.LBB858_62:                             ; =>This Loop Header: Depth=1
                                        ;     Child Loop BB858_65 Depth 2
	v_and_b32_e32 v11, 0xff, v15
	s_mov_b32 s5, -1
	s_delay_alu instid0(VALU_DEP_1)
	v_cmp_ne_u16_e32 vcc_lo, 2, v11
	s_wait_dscnt 0x0
	v_dual_mov_b32 v11, v13 :: v_dual_mov_b32 v12, v14
                                        ; implicit-def: $vgpr13_vgpr14
	s_cmp_lg_u32 vcc_lo, exec_lo
	s_cbranch_scc1 .LBB858_61
; %bb.63:                               ;   in Loop: Header=BB858_62 Depth=1
	v_lshlrev_b64_e32 v[13:14], 4, v[21:22]
	s_mov_b32 s5, exec_lo
	s_delay_alu instid0(VALU_DEP_1) | instskip(SKIP_1) | instid1(VALU_DEP_2)
	v_add_co_u32 v23, vcc_lo, s6, v13
	s_wait_alu 0xfffd
	v_add_co_ci_u32_e64 v24, null, s7, v14, vcc_lo
	;;#ASMSTART
	global_load_b128 v[13:16], v[23:24] off scope:SCOPE_DEV	
s_wait_loadcnt 0x0
	;;#ASMEND
	v_and_b32_e32 v16, 0xff, v15
	s_delay_alu instid0(VALU_DEP_1)
	v_cmpx_eq_u16_e32 0, v16
	s_cbranch_execz .LBB858_67
; %bb.64:                               ;   in Loop: Header=BB858_62 Depth=1
	s_mov_b32 s12, 0
.LBB858_65:                             ;   Parent Loop BB858_62 Depth=1
                                        ; =>  This Inner Loop Header: Depth=2
	;;#ASMSTART
	global_load_b128 v[13:16], v[23:24] off scope:SCOPE_DEV	
s_wait_loadcnt 0x0
	;;#ASMEND
	v_and_b32_e32 v16, 0xff, v15
	s_delay_alu instid0(VALU_DEP_1)
	v_cmp_ne_u16_e32 vcc_lo, 0, v16
	s_wait_alu 0xfffe
	s_or_b32 s12, vcc_lo, s12
	s_wait_alu 0xfffe
	s_and_not1_b32 exec_lo, exec_lo, s12
	s_cbranch_execnz .LBB858_65
; %bb.66:                               ;   in Loop: Header=BB858_62 Depth=1
	s_or_b32 exec_lo, exec_lo, s12
.LBB858_67:                             ;   in Loop: Header=BB858_62 Depth=1
	s_wait_alu 0xfffe
	s_or_b32 exec_lo, exec_lo, s5
	v_dual_mov_b32 v23, v13 :: v_dual_and_b32 v16, 0xff, v15
	ds_bpermute_b32 v45, v35, v13
	ds_bpermute_b32 v24, v35, v14
	s_mov_b32 s5, exec_lo
	v_cmp_eq_u16_e32 vcc_lo, 2, v16
	s_wait_alu 0xfffd
	v_and_or_b32 v16, vcc_lo, v36, 0x80000000
	s_delay_alu instid0(VALU_DEP_1) | instskip(NEXT) | instid1(VALU_DEP_1)
	v_ctz_i32_b32_e32 v16, v16
	v_cmpx_lt_u32_e64 v31, v16
	s_cbranch_execz .LBB858_69
; %bb.68:                               ;   in Loop: Header=BB858_62 Depth=1
	s_wait_dscnt 0x1
	v_add_co_u32 v23, vcc_lo, v13, v45
	s_wait_alu 0xfffd
	v_add_co_ci_u32_e64 v14, null, 0, v14, vcc_lo
	s_delay_alu instid0(VALU_DEP_2) | instskip(SKIP_2) | instid1(VALU_DEP_2)
	v_add_co_u32 v13, vcc_lo, 0, v23
	s_wait_dscnt 0x0
	s_wait_alu 0xfffd
	v_add_co_ci_u32_e64 v14, null, v24, v14, vcc_lo
.LBB858_69:                             ;   in Loop: Header=BB858_62 Depth=1
	s_wait_alu 0xfffe
	s_or_b32 exec_lo, exec_lo, s5
	s_wait_dscnt 0x1
	ds_bpermute_b32 v45, v37, v23
	s_wait_dscnt 0x1
	ds_bpermute_b32 v24, v37, v14
	s_mov_b32 s5, exec_lo
	v_cmpx_le_u32_e64 v38, v16
	s_cbranch_execz .LBB858_71
; %bb.70:                               ;   in Loop: Header=BB858_62 Depth=1
	s_wait_dscnt 0x1
	v_add_co_u32 v23, vcc_lo, v13, v45
	s_wait_alu 0xfffd
	v_add_co_ci_u32_e64 v14, null, 0, v14, vcc_lo
	s_delay_alu instid0(VALU_DEP_2) | instskip(SKIP_2) | instid1(VALU_DEP_2)
	v_add_co_u32 v13, vcc_lo, 0, v23
	s_wait_dscnt 0x0
	s_wait_alu 0xfffd
	v_add_co_ci_u32_e64 v14, null, v24, v14, vcc_lo
.LBB858_71:                             ;   in Loop: Header=BB858_62 Depth=1
	s_wait_alu 0xfffe
	s_or_b32 exec_lo, exec_lo, s5
	s_wait_dscnt 0x1
	ds_bpermute_b32 v45, v39, v23
	s_wait_dscnt 0x1
	ds_bpermute_b32 v24, v39, v14
	s_mov_b32 s5, exec_lo
	v_cmpx_le_u32_e64 v40, v16
	;; [unrolled: 20-line block ×3, first 2 shown]
	s_cbranch_execz .LBB858_75
; %bb.74:                               ;   in Loop: Header=BB858_62 Depth=1
	s_wait_dscnt 0x1
	v_add_co_u32 v23, vcc_lo, v13, v45
	s_wait_alu 0xfffd
	v_add_co_ci_u32_e64 v14, null, 0, v14, vcc_lo
	s_delay_alu instid0(VALU_DEP_2) | instskip(SKIP_2) | instid1(VALU_DEP_2)
	v_add_co_u32 v13, vcc_lo, 0, v23
	s_wait_dscnt 0x0
	s_wait_alu 0xfffd
	v_add_co_ci_u32_e64 v14, null, v24, v14, vcc_lo
.LBB858_75:                             ;   in Loop: Header=BB858_62 Depth=1
	s_wait_alu 0xfffe
	s_or_b32 exec_lo, exec_lo, s5
	s_wait_dscnt 0x0
	ds_bpermute_b32 v24, v43, v23
	ds_bpermute_b32 v23, v43, v14
	s_mov_b32 s5, exec_lo
	v_cmpx_le_u32_e64 v44, v16
	s_cbranch_execz .LBB858_60
; %bb.76:                               ;   in Loop: Header=BB858_62 Depth=1
	s_wait_dscnt 0x1
	v_add_co_u32 v13, vcc_lo, v13, v24
	s_wait_alu 0xfffd
	v_add_co_ci_u32_e64 v14, null, 0, v14, vcc_lo
	s_delay_alu instid0(VALU_DEP_2) | instskip(SKIP_2) | instid1(VALU_DEP_2)
	v_add_co_u32 v13, vcc_lo, v13, 0
	s_wait_dscnt 0x0
	s_wait_alu 0xfffd
	v_add_co_ci_u32_e64 v14, null, v14, v23, vcc_lo
	s_branch .LBB858_60
.LBB858_77:
                                        ; implicit-def: $vgpr15_vgpr16
                                        ; implicit-def: $vgpr13_vgpr14
                                        ; implicit-def: $vgpr19_vgpr20
                                        ; implicit-def: $vgpr21_vgpr22
                                        ; implicit-def: $vgpr11_vgpr12
	s_wait_alu 0xfffe
	s_and_b32 vcc_lo, exec_lo, s3
	s_wait_alu 0xfffe
	s_cbranch_vccnz .LBB858_83
	s_branch .LBB858_108
.LBB858_78:
	s_and_saveexec_b32 s5, s3
	s_cbranch_execz .LBB858_80
; %bb.79:
	s_add_co_i32 s12, ttmp9, 32
	s_mov_b32 s13, 0
	v_add_co_u32 v13, vcc_lo, v11, v9
	s_wait_alu 0xfffe
	s_lshl_b64 s[12:13], s[12:13], 4
	v_dual_mov_b32 v15, 2 :: v_dual_mov_b32 v16, 0
	s_wait_alu 0xfffe
	s_add_nc_u64 s[12:13], s[6:7], s[12:13]
	s_wait_alu 0xfffd
	v_add_co_ci_u32_e64 v14, null, v12, v10, vcc_lo
	s_wait_alu 0xfffe
	v_dual_mov_b32 v22, s13 :: v_dual_mov_b32 v21, s12
	;;#ASMSTART
	global_store_b128 v[21:22], v[13:16] off scope:SCOPE_DEV	
s_wait_storecnt 0x0
	;;#ASMEND
	ds_store_b128 v16, v[9:12] offset:8448
.LBB858_80:
	s_wait_alu 0xfffe
	s_or_b32 exec_lo, exec_lo, s5
	v_cmp_eq_u32_e32 vcc_lo, 0, v0
	s_and_b32 exec_lo, exec_lo, vcc_lo
; %bb.81:
	v_mov_b32_e32 v9, 0
	ds_store_b64 v9, v[11:12] offset:56
.LBB858_82:
	s_wait_alu 0xfffe
	s_or_b32 exec_lo, exec_lo, s4
	s_wait_dscnt 0x1
	v_cndmask_b32_e64 v10, v33, v19, s3
	v_cmp_ne_u32_e32 vcc_lo, 0, v0
	v_mov_b32_e32 v9, 0
	s_wait_loadcnt_dscnt 0x0
	s_barrier_signal -1
	s_barrier_wait -1
	global_inv scope:SCOPE_SE
	s_wait_alu 0xfffd
	v_cndmask_b32_e32 v16, 0, v10, vcc_lo
	ds_load_b64 v[13:14], v9 offset:56
	v_cndmask_b32_e64 v11, v34, v20, s3
	s_wait_loadcnt_dscnt 0x0
	s_barrier_signal -1
	s_barrier_wait -1
	global_inv scope:SCOPE_SE
	v_cndmask_b32_e32 v15, 0, v11, vcc_lo
	ds_load_b128 v[9:12], v9 offset:8448
	v_add_co_u32 v21, vcc_lo, v13, v16
	s_wait_alu 0xfffd
	v_add_co_ci_u32_e64 v22, null, v14, v15, vcc_lo
	s_delay_alu instid0(VALU_DEP_2) | instskip(SKIP_1) | instid1(VALU_DEP_2)
	v_add_co_u32 v19, vcc_lo, v21, v30
	s_wait_alu 0xfffd
	v_add_co_ci_u32_e64 v20, null, 0, v22, vcc_lo
	s_delay_alu instid0(VALU_DEP_2) | instskip(SKIP_1) | instid1(VALU_DEP_2)
	;; [unrolled: 4-line block ×3, first 2 shown]
	v_add_co_u32 v15, vcc_lo, v13, v28
	s_wait_alu 0xfffd
	v_add_co_ci_u32_e64 v16, null, 0, v14, vcc_lo
	s_branch .LBB858_108
.LBB858_83:
	s_wait_dscnt 0x0
	v_dual_mov_b32 v10, 0 :: v_dual_mov_b32 v11, v17
	v_mov_b32_dpp v12, v17 row_shr:1 row_mask:0xf bank_mask:0xf
	s_delay_alu instid0(VALU_DEP_2)
	v_mov_b32_dpp v9, v10 row_shr:1 row_mask:0xf bank_mask:0xf
	s_and_saveexec_b32 s3, s2
; %bb.84:
	s_delay_alu instid0(VALU_DEP_2) | instskip(SKIP_2) | instid1(VALU_DEP_2)
	v_add_co_u32 v11, vcc_lo, v17, v12
	s_wait_alu 0xfffd
	v_add_co_ci_u32_e64 v10, null, 0, v18, vcc_lo
	v_add_co_u32 v17, vcc_lo, 0, v11
	s_wait_alu 0xfffd
	s_delay_alu instid0(VALU_DEP_2) | instskip(NEXT) | instid1(VALU_DEP_1)
	v_add_co_ci_u32_e64 v18, null, v9, v10, vcc_lo
	v_mov_b32_e32 v10, v18
; %bb.85:
	s_wait_alu 0xfffe
	s_or_b32 exec_lo, exec_lo, s3
	v_mov_b32_dpp v9, v11 row_shr:2 row_mask:0xf bank_mask:0xf
	s_delay_alu instid0(VALU_DEP_2)
	v_mov_b32_dpp v12, v10 row_shr:2 row_mask:0xf bank_mask:0xf
	s_mov_b32 s2, exec_lo
	v_cmpx_lt_u32_e32 1, v32
; %bb.86:
	s_delay_alu instid0(VALU_DEP_3) | instskip(SKIP_2) | instid1(VALU_DEP_2)
	v_add_co_u32 v11, vcc_lo, v17, v9
	s_wait_alu 0xfffd
	v_add_co_ci_u32_e64 v10, null, 0, v18, vcc_lo
	v_add_co_u32 v9, vcc_lo, 0, v11
	s_wait_alu 0xfffd
	s_delay_alu instid0(VALU_DEP_2) | instskip(NEXT) | instid1(VALU_DEP_1)
	v_add_co_ci_u32_e64 v10, null, v12, v10, vcc_lo
	v_dual_mov_b32 v18, v10 :: v_dual_mov_b32 v17, v9
; %bb.87:
	s_wait_alu 0xfffe
	s_or_b32 exec_lo, exec_lo, s2
	v_mov_b32_dpp v9, v11 row_shr:4 row_mask:0xf bank_mask:0xf
	v_mov_b32_dpp v12, v10 row_shr:4 row_mask:0xf bank_mask:0xf
	s_mov_b32 s2, exec_lo
	v_cmpx_lt_u32_e32 3, v32
; %bb.88:
	s_delay_alu instid0(VALU_DEP_3) | instskip(SKIP_2) | instid1(VALU_DEP_2)
	v_add_co_u32 v11, vcc_lo, v17, v9
	s_wait_alu 0xfffd
	v_add_co_ci_u32_e64 v10, null, 0, v18, vcc_lo
	v_add_co_u32 v9, vcc_lo, 0, v11
	s_wait_alu 0xfffd
	s_delay_alu instid0(VALU_DEP_2) | instskip(NEXT) | instid1(VALU_DEP_1)
	v_add_co_ci_u32_e64 v10, null, v12, v10, vcc_lo
	v_dual_mov_b32 v18, v10 :: v_dual_mov_b32 v17, v9
; %bb.89:
	s_wait_alu 0xfffe
	s_or_b32 exec_lo, exec_lo, s2
	v_mov_b32_dpp v12, v11 row_shr:8 row_mask:0xf bank_mask:0xf
	v_mov_b32_dpp v9, v10 row_shr:8 row_mask:0xf bank_mask:0xf
	s_mov_b32 s2, exec_lo
	v_cmpx_lt_u32_e32 7, v32
; %bb.90:
	s_delay_alu instid0(VALU_DEP_3) | instskip(SKIP_2) | instid1(VALU_DEP_2)
	v_add_co_u32 v11, vcc_lo, v17, v12
	s_wait_alu 0xfffd
	v_add_co_ci_u32_e64 v10, null, 0, v18, vcc_lo
	v_add_co_u32 v17, vcc_lo, 0, v11
	s_wait_alu 0xfffd
	s_delay_alu instid0(VALU_DEP_2) | instskip(NEXT) | instid1(VALU_DEP_1)
	v_add_co_ci_u32_e64 v18, null, v9, v10, vcc_lo
	v_mov_b32_e32 v10, v18
; %bb.91:
	s_wait_alu 0xfffe
	s_or_b32 exec_lo, exec_lo, s2
	ds_swizzle_b32 v11, v11 offset:swizzle(BROADCAST,32,15)
	ds_swizzle_b32 v9, v10 offset:swizzle(BROADCAST,32,15)
	v_and_b32_e32 v10, 16, v31
	s_mov_b32 s2, exec_lo
	s_delay_alu instid0(VALU_DEP_1)
	v_cmpx_ne_u32_e32 0, v10
	s_cbranch_execz .LBB858_93
; %bb.92:
	s_wait_dscnt 0x1
	v_add_co_u32 v10, vcc_lo, v17, v11
	s_wait_alu 0xfffd
	v_add_co_ci_u32_e64 v11, null, 0, v18, vcc_lo
	s_delay_alu instid0(VALU_DEP_2) | instskip(SKIP_2) | instid1(VALU_DEP_2)
	v_add_co_u32 v17, vcc_lo, v10, 0
	s_wait_dscnt 0x0
	s_wait_alu 0xfffd
	v_add_co_ci_u32_e64 v18, null, v11, v9, vcc_lo
.LBB858_93:
	s_wait_alu 0xfffe
	s_or_b32 exec_lo, exec_lo, s2
	s_wait_dscnt 0x0
	v_or_b32_e32 v9, 31, v0
	s_mov_b32 s2, exec_lo
	s_delay_alu instid0(VALU_DEP_1)
	v_cmpx_eq_u32_e64 v0, v9
; %bb.94:
	v_lshlrev_b32_e32 v9, 3, v26
	ds_store_b64 v9, v[17:18]
; %bb.95:
	s_wait_alu 0xfffe
	s_or_b32 exec_lo, exec_lo, s2
	s_delay_alu instid0(SALU_CYCLE_1)
	s_mov_b32 s2, exec_lo
	s_wait_loadcnt_dscnt 0x0
	s_barrier_signal -1
	s_barrier_wait -1
	global_inv scope:SCOPE_SE
	v_cmpx_gt_u32_e32 8, v0
	s_cbranch_execz .LBB858_103
; %bb.96:
	v_lshlrev_b32_e32 v11, 3, v0
	s_mov_b32 s3, exec_lo
	ds_load_b64 v[9:10], v11
	s_wait_dscnt 0x0
	v_dual_mov_b32 v13, v9 :: v_dual_and_b32 v12, 7, v31
	v_mov_b32_dpp v15, v9 row_shr:1 row_mask:0xf bank_mask:0xf
	v_mov_b32_dpp v14, v10 row_shr:1 row_mask:0xf bank_mask:0xf
	s_delay_alu instid0(VALU_DEP_3)
	v_cmpx_ne_u32_e32 0, v12
; %bb.97:
	s_delay_alu instid0(VALU_DEP_3) | instskip(SKIP_2) | instid1(VALU_DEP_2)
	v_add_co_u32 v13, vcc_lo, v9, v15
	s_wait_alu 0xfffd
	v_add_co_ci_u32_e64 v10, null, 0, v10, vcc_lo
	v_add_co_u32 v9, vcc_lo, 0, v13
	s_wait_alu 0xfffd
	s_delay_alu instid0(VALU_DEP_2)
	v_add_co_ci_u32_e64 v10, null, v14, v10, vcc_lo
; %bb.98:
	s_wait_alu 0xfffe
	s_or_b32 exec_lo, exec_lo, s3
	v_mov_b32_dpp v15, v13 row_shr:2 row_mask:0xf bank_mask:0xf
	s_delay_alu instid0(VALU_DEP_2)
	v_mov_b32_dpp v14, v10 row_shr:2 row_mask:0xf bank_mask:0xf
	s_mov_b32 s3, exec_lo
	v_cmpx_lt_u32_e32 1, v12
; %bb.99:
	s_delay_alu instid0(VALU_DEP_3) | instskip(SKIP_2) | instid1(VALU_DEP_2)
	v_add_co_u32 v13, vcc_lo, v9, v15
	s_wait_alu 0xfffd
	v_add_co_ci_u32_e64 v10, null, 0, v10, vcc_lo
	v_add_co_u32 v9, vcc_lo, 0, v13
	s_wait_alu 0xfffd
	s_delay_alu instid0(VALU_DEP_2)
	v_add_co_ci_u32_e64 v10, null, v14, v10, vcc_lo
; %bb.100:
	s_wait_alu 0xfffe
	s_or_b32 exec_lo, exec_lo, s3
	v_mov_b32_dpp v14, v13 row_shr:4 row_mask:0xf bank_mask:0xf
	s_delay_alu instid0(VALU_DEP_2)
	v_mov_b32_dpp v13, v10 row_shr:4 row_mask:0xf bank_mask:0xf
	s_mov_b32 s3, exec_lo
	v_cmpx_lt_u32_e32 3, v12
; %bb.101:
	s_delay_alu instid0(VALU_DEP_3) | instskip(SKIP_2) | instid1(VALU_DEP_2)
	v_add_co_u32 v9, vcc_lo, v9, v14
	s_wait_alu 0xfffd
	v_add_co_ci_u32_e64 v10, null, 0, v10, vcc_lo
	v_add_co_u32 v9, vcc_lo, v9, 0
	s_wait_alu 0xfffd
	s_delay_alu instid0(VALU_DEP_2)
	v_add_co_ci_u32_e64 v10, null, v10, v13, vcc_lo
; %bb.102:
	s_wait_alu 0xfffe
	s_or_b32 exec_lo, exec_lo, s3
	ds_store_b64 v11, v[9:10]
.LBB858_103:
	s_wait_alu 0xfffe
	s_or_b32 exec_lo, exec_lo, s2
	v_mov_b32_e32 v13, 0
	v_mov_b32_e32 v14, 0
	s_mov_b32 s2, exec_lo
	s_wait_loadcnt_dscnt 0x0
	s_barrier_signal -1
	s_barrier_wait -1
	global_inv scope:SCOPE_SE
	v_cmpx_lt_u32_e32 31, v0
; %bb.104:
	v_lshl_add_u32 v9, v26, 3, -8
	ds_load_b64 v[13:14], v9
; %bb.105:
	s_wait_alu 0xfffe
	s_or_b32 exec_lo, exec_lo, s2
	v_sub_co_u32 v9, vcc_lo, v31, 1
	v_mov_b32_e32 v12, 0
	s_delay_alu instid0(VALU_DEP_2) | instskip(SKIP_1) | instid1(VALU_DEP_1)
	v_cmp_gt_i32_e64 s2, 0, v9
	s_wait_alu 0xf1ff
	v_cndmask_b32_e64 v9, v9, v31, s2
	s_wait_dscnt 0x0
	v_add_co_u32 v10, s2, v13, v17
	s_wait_alu 0xf1ff
	v_add_co_ci_u32_e64 v11, null, v14, v18, s2
	v_lshlrev_b32_e32 v9, 2, v9
	v_cmp_eq_u32_e64 s2, 0, v0
	ds_bpermute_b32 v15, v9, v10
	ds_bpermute_b32 v16, v9, v11
	ds_load_b64 v[9:10], v12 offset:56
	s_and_saveexec_b32 s3, s2
	s_cbranch_execz .LBB858_107
; %bb.106:
	s_wait_kmcnt 0x0
	s_add_nc_u64 s[4:5], s[6:7], 0x200
	s_delay_alu instid0(SALU_CYCLE_1)
	v_dual_mov_b32 v11, 2 :: v_dual_mov_b32 v18, s5
	v_mov_b32_e32 v17, s4
	s_wait_dscnt 0x0
	;;#ASMSTART
	global_store_b128 v[17:18], v[9:12] off scope:SCOPE_DEV	
s_wait_storecnt 0x0
	;;#ASMEND
.LBB858_107:
	s_wait_alu 0xfffe
	s_or_b32 exec_lo, exec_lo, s3
	s_wait_dscnt 0x1
	s_wait_alu 0xfffd
	v_dual_cndmask_b32 v11, v15, v13 :: v_dual_cndmask_b32 v12, v16, v14
	s_wait_loadcnt_dscnt 0x0
	s_barrier_signal -1
	s_barrier_wait -1
	s_delay_alu instid0(VALU_DEP_1)
	v_cndmask_b32_e64 v21, v11, 0, s2
	v_cndmask_b32_e64 v22, v12, 0, s2
	v_mov_b32_e32 v11, 0
	v_mov_b32_e32 v12, 0
	global_inv scope:SCOPE_SE
	v_add_co_u32 v19, vcc_lo, v21, v30
	s_wait_alu 0xfffd
	v_add_co_ci_u32_e64 v20, null, 0, v22, vcc_lo
	s_delay_alu instid0(VALU_DEP_2) | instskip(SKIP_1) | instid1(VALU_DEP_2)
	v_add_co_u32 v13, vcc_lo, v19, v29
	s_wait_alu 0xfffd
	v_add_co_ci_u32_e64 v14, null, 0, v20, vcc_lo
	s_delay_alu instid0(VALU_DEP_2) | instskip(SKIP_1) | instid1(VALU_DEP_2)
	v_add_co_u32 v15, vcc_lo, v13, v28
	s_wait_alu 0xfffd
	v_add_co_ci_u32_e64 v16, null, 0, v14, vcc_lo
.LBB858_108:
	s_load_b64 s[2:3], s[0:1], 0x30
	v_and_b32_e32 v26, 1, v27
	s_wait_dscnt 0x0
	v_cmp_gt_u64_e32 vcc_lo, 0x101, v[9:10]
	v_lshrrev_b32_e32 v23, 16, v27
	v_lshrrev_b32_e32 v24, 8, v27
	s_mov_b32 s1, -1
	v_cmp_eq_u32_e64 s0, 1, v26
	s_cbranch_vccnz .LBB858_112
; %bb.109:
	s_wait_alu 0xfffe
	s_and_b32 vcc_lo, exec_lo, s1
	s_wait_alu 0xfffe
	s_cbranch_vccnz .LBB858_121
.LBB858_110:
	v_cmp_eq_u32_e32 vcc_lo, 0, v0
	s_and_b32 s0, vcc_lo, s16
	s_wait_alu 0xfffe
	s_and_saveexec_b32 s1, s0
	s_cbranch_execnz .LBB858_133
.LBB858_111:
	s_endpgm
.LBB858_112:
	v_add_co_u32 v17, vcc_lo, v11, v9
	s_wait_alu 0xfffd
	v_add_co_ci_u32_e64 v18, null, v12, v10, vcc_lo
	s_lshl_b64 s[4:5], s[10:11], 3
	s_wait_kmcnt 0x0
	s_wait_alu 0xfffe
	s_add_nc_u64 s[4:5], s[2:3], s[4:5]
	v_cmp_lt_u64_e32 vcc_lo, v[21:22], v[17:18]
	s_or_b32 s1, s17, vcc_lo
	s_wait_alu 0xfffe
	s_and_b32 s1, s1, s0
	s_wait_alu 0xfffe
	s_and_saveexec_b32 s0, s1
	s_cbranch_execz .LBB858_114
; %bb.113:
	v_lshlrev_b64_e32 v[27:28], 3, v[21:22]
	s_delay_alu instid0(VALU_DEP_1) | instskip(SKIP_1) | instid1(VALU_DEP_2)
	v_add_co_u32 v27, vcc_lo, s4, v27
	s_wait_alu 0xfffd
	v_add_co_ci_u32_e64 v28, null, s5, v28, vcc_lo
	global_store_b64 v[27:28], v[5:6], off
.LBB858_114:
	s_wait_alu 0xfffe
	s_or_b32 exec_lo, exec_lo, s0
	v_and_b32_e32 v22, 1, v24
	v_cmp_lt_u64_e32 vcc_lo, v[19:20], v[17:18]
	s_delay_alu instid0(VALU_DEP_2)
	v_cmp_eq_u32_e64 s0, 1, v22
	s_or_b32 s1, s17, vcc_lo
	s_wait_alu 0xfffe
	s_and_b32 s1, s1, s0
	s_wait_alu 0xfffe
	s_and_saveexec_b32 s0, s1
	s_cbranch_execz .LBB858_116
; %bb.115:
	v_lshlrev_b64_e32 v[27:28], 3, v[19:20]
	s_delay_alu instid0(VALU_DEP_1) | instskip(SKIP_1) | instid1(VALU_DEP_2)
	v_add_co_u32 v27, vcc_lo, s4, v27
	s_wait_alu 0xfffd
	v_add_co_ci_u32_e64 v28, null, s5, v28, vcc_lo
	global_store_b64 v[27:28], v[7:8], off
.LBB858_116:
	s_wait_alu 0xfffe
	s_or_b32 exec_lo, exec_lo, s0
	v_and_b32_e32 v20, 1, v23
	v_cmp_lt_u64_e32 vcc_lo, v[13:14], v[17:18]
	s_delay_alu instid0(VALU_DEP_2)
	v_cmp_eq_u32_e64 s0, 1, v20
	;; [unrolled: 20-line block ×3, first 2 shown]
	s_or_b32 s1, s17, vcc_lo
	s_wait_alu 0xfffe
	s_and_b32 s1, s1, s0
	s_wait_alu 0xfffe
	s_and_saveexec_b32 s0, s1
	s_cbranch_execz .LBB858_120
; %bb.119:
	v_lshlrev_b64_e32 v[16:17], 3, v[15:16]
	s_delay_alu instid0(VALU_DEP_1) | instskip(SKIP_1) | instid1(VALU_DEP_2)
	v_add_co_u32 v16, vcc_lo, s4, v16
	s_wait_alu 0xfffd
	v_add_co_ci_u32_e64 v17, null, s5, v17, vcc_lo
	global_store_b64 v[16:17], v[3:4], off
.LBB858_120:
	s_wait_alu 0xfffe
	s_or_b32 exec_lo, exec_lo, s0
	s_branch .LBB858_110
.LBB858_121:
	s_mov_b32 s0, exec_lo
	v_cmpx_eq_u32_e32 1, v26
; %bb.122:
	v_sub_nc_u32_e32 v14, v21, v11
	s_delay_alu instid0(VALU_DEP_1)
	v_lshlrev_b32_e32 v14, 3, v14
	ds_store_b64 v14, v[5:6]
; %bb.123:
	s_wait_alu 0xfffe
	s_or_b32 exec_lo, exec_lo, s0
	v_and_b32_e32 v5, 1, v24
	s_mov_b32 s0, exec_lo
	s_delay_alu instid0(VALU_DEP_1)
	v_cmpx_eq_u32_e32 1, v5
; %bb.124:
	v_sub_nc_u32_e32 v5, v19, v11
	s_delay_alu instid0(VALU_DEP_1)
	v_lshlrev_b32_e32 v5, 3, v5
	ds_store_b64 v5, v[7:8]
; %bb.125:
	s_wait_alu 0xfffe
	s_or_b32 exec_lo, exec_lo, s0
	v_and_b32_e32 v5, 1, v23
	s_mov_b32 s0, exec_lo
	s_delay_alu instid0(VALU_DEP_1)
	;; [unrolled: 12-line block ×3, first 2 shown]
	v_cmpx_eq_u32_e32 1, v1
; %bb.128:
	v_sub_nc_u32_e32 v1, v15, v11
	s_delay_alu instid0(VALU_DEP_1)
	v_lshlrev_b32_e32 v1, 3, v1
	ds_store_b64 v1, v[3:4]
; %bb.129:
	s_wait_alu 0xfffe
	s_or_b32 exec_lo, exec_lo, s0
	v_mov_b32_e32 v3, 0
	s_mov_b32 s1, exec_lo
	s_wait_storecnt 0x0
	s_wait_loadcnt_dscnt 0x0
	s_barrier_signal -1
	s_barrier_wait -1
	v_mov_b32_e32 v1, v3
	global_inv scope:SCOPE_SE
	v_cmpx_gt_u64_e64 v[9:10], v[0:1]
	s_cbranch_execz .LBB858_132
; %bb.130:
	v_lshlrev_b64_e32 v[4:5], 3, v[11:12]
	s_lshl_b64 s[4:5], s[10:11], 3
	v_or_b32_e32 v2, 0x100, v0
	s_wait_kmcnt 0x0
	s_wait_alu 0xfffe
	s_add_nc_u64 s[2:3], s[2:3], s[4:5]
	s_wait_alu 0xfffe
	v_add_co_u32 v6, vcc_lo, s2, v4
	s_wait_alu 0xfffd
	v_add_co_ci_u32_e64 v7, null, s3, v5, vcc_lo
	v_dual_mov_b32 v5, v1 :: v_dual_mov_b32 v4, v0
	s_mov_b32 s2, 0
.LBB858_131:                            ; =>This Inner Loop Header: Depth=1
	s_delay_alu instid0(VALU_DEP_1) | instskip(NEXT) | instid1(VALU_DEP_2)
	v_lshlrev_b32_e32 v1, 3, v4
	v_lshlrev_b64_e32 v[15:16], 3, v[4:5]
	v_dual_mov_b32 v5, v3 :: v_dual_mov_b32 v4, v2
	v_cmp_le_u64_e32 vcc_lo, v[9:10], v[2:3]
	ds_load_b64 v[13:14], v1
	v_add_nc_u32_e32 v2, 0x100, v2
	v_add_co_u32 v15, s0, v6, v15
	s_wait_alu 0xf1ff
	v_add_co_ci_u32_e64 v16, null, v7, v16, s0
	s_wait_alu 0xfffe
	s_or_b32 s2, vcc_lo, s2
	s_wait_dscnt 0x0
	global_store_b64 v[15:16], v[13:14], off
	s_wait_alu 0xfffe
	s_and_not1_b32 exec_lo, exec_lo, s2
	s_cbranch_execnz .LBB858_131
.LBB858_132:
	s_wait_alu 0xfffe
	s_or_b32 exec_lo, exec_lo, s1
	v_cmp_eq_u32_e32 vcc_lo, 0, v0
	s_and_b32 s0, vcc_lo, s16
	s_wait_alu 0xfffe
	s_and_saveexec_b32 s1, s0
	s_cbranch_execz .LBB858_111
.LBB858_133:
	v_add_co_u32 v0, vcc_lo, v11, v9
	s_wait_alu 0xfffd
	v_add_co_ci_u32_e64 v1, null, v12, v10, vcc_lo
	v_mov_b32_e32 v2, 0
	s_delay_alu instid0(VALU_DEP_3) | instskip(SKIP_1) | instid1(VALU_DEP_3)
	v_add_co_u32 v0, vcc_lo, v0, s10
	s_wait_alu 0xfffd
	v_add_co_ci_u32_e64 v1, null, s11, v1, vcc_lo
	global_store_b64 v2, v[0:1], s[8:9]
	s_endpgm
.LBB858_134:
	v_lshlrev_b32_e32 v3, 3, v0
	s_delay_alu instid0(VALU_DEP_1)
	v_add_co_u32 v3, s3, s14, v3
	s_wait_alu 0xf1ff
	v_add_co_ci_u32_e64 v4, null, s15, 0, s3
	flat_load_b64 v[3:4], v[3:4] offset:2048
	s_wait_alu 0xfffe
	s_or_b32 exec_lo, exec_lo, s2
	s_delay_alu instid0(SALU_CYCLE_1)
	s_mov_b32 s2, exec_lo
	v_cmpx_gt_u32_e64 s18, v9
	s_cbranch_execz .LBB858_7
.LBB858_135:
	v_lshlrev_b32_e32 v5, 3, v0
	s_delay_alu instid0(VALU_DEP_1)
	v_add_co_u32 v5, s3, s14, v5
	s_wait_alu 0xf1ff
	v_add_co_ci_u32_e64 v6, null, s15, 0, s3
	flat_load_b64 v[5:6], v[5:6] offset:4096
	s_wait_alu 0xfffe
	s_or_b32 exec_lo, exec_lo, s2
	s_delay_alu instid0(SALU_CYCLE_1)
	s_mov_b32 s2, exec_lo
	v_cmpx_gt_u32_e64 s18, v10
	s_cbranch_execnz .LBB858_8
	s_branch .LBB858_9
.LBB858_136:
	v_lshlrev_b32_e32 v16, 3, v0
	global_load_b64 v[16:17], v16, s[2:3] offset:2048
	s_wait_loadcnt 0x0
	v_cmp_eq_u64_e32 vcc_lo, 0, v[16:17]
	s_wait_alu 0xfffd
	v_cndmask_b32_e64 v16, 0, 1, vcc_lo
	s_delay_alu instid0(VALU_DEP_1) | instskip(NEXT) | instid1(VALU_DEP_1)
	v_lshlrev_b16 v16, 8, v16
	v_or_b32_e32 v14, v14, v16
	s_delay_alu instid0(VALU_DEP_1) | instskip(SKIP_1) | instid1(SALU_CYCLE_1)
	v_and_b32_e32 v14, 0xffff, v14
	s_or_b32 exec_lo, exec_lo, s4
	s_mov_b32 s4, exec_lo
	v_cmpx_gt_u32_e64 s18, v9
	s_cbranch_execz .LBB858_17
.LBB858_137:
	v_lshlrev_b32_e32 v16, 3, v0
	global_load_b64 v[16:17], v16, s[2:3] offset:4096
	s_wait_loadcnt 0x0
	v_cmp_eq_u64_e32 vcc_lo, 0, v[16:17]
	s_wait_alu 0xfffd
	v_cndmask_b32_e64 v16, 0, 1, vcc_lo
	s_delay_alu instid0(VALU_DEP_1) | instskip(SKIP_1) | instid1(SALU_CYCLE_1)
	v_lshl_or_b32 v14, v16, 16, v14
	s_or_b32 exec_lo, exec_lo, s4
	s_mov_b32 s4, exec_lo
	v_cmpx_gt_u32_e64 s18, v10
	s_cbranch_execnz .LBB858_18
	s_branch .LBB858_19
	.section	.rodata,"a",@progbits
	.p2align	6, 0x0
	.amdhsa_kernel _ZN7rocprim17ROCPRIM_400000_NS6detail17trampoline_kernelINS0_14default_configENS1_25partition_config_selectorILNS1_17partition_subalgoE5EyNS0_10empty_typeEbEEZZNS1_14partition_implILS5_5ELb0ES3_mN6thrust23THRUST_200600_302600_NS6detail15normal_iteratorINSA_10device_ptrIyEEEEPS6_NSA_18transform_iteratorINSB_9not_fun_tINSA_8identityIyEEEESF_NSA_11use_defaultESM_EENS0_5tupleIJSF_S6_EEENSO_IJSG_SG_EEES6_PlJS6_EEE10hipError_tPvRmT3_T4_T5_T6_T7_T9_mT8_P12ihipStream_tbDpT10_ENKUlT_T0_E_clISt17integral_constantIbLb0EES1B_EEDaS16_S17_EUlS16_E_NS1_11comp_targetILNS1_3genE10ELNS1_11target_archE1200ELNS1_3gpuE4ELNS1_3repE0EEENS1_30default_config_static_selectorELNS0_4arch9wavefront6targetE0EEEvT1_
		.amdhsa_group_segment_fixed_size 8464
		.amdhsa_private_segment_fixed_size 0
		.amdhsa_kernarg_size 120
		.amdhsa_user_sgpr_count 2
		.amdhsa_user_sgpr_dispatch_ptr 0
		.amdhsa_user_sgpr_queue_ptr 0
		.amdhsa_user_sgpr_kernarg_segment_ptr 1
		.amdhsa_user_sgpr_dispatch_id 0
		.amdhsa_user_sgpr_private_segment_size 0
		.amdhsa_wavefront_size32 1
		.amdhsa_uses_dynamic_stack 0
		.amdhsa_enable_private_segment 0
		.amdhsa_system_sgpr_workgroup_id_x 1
		.amdhsa_system_sgpr_workgroup_id_y 0
		.amdhsa_system_sgpr_workgroup_id_z 0
		.amdhsa_system_sgpr_workgroup_info 0
		.amdhsa_system_vgpr_workitem_id 0
		.amdhsa_next_free_vgpr 46
		.amdhsa_next_free_sgpr 22
		.amdhsa_reserve_vcc 1
		.amdhsa_float_round_mode_32 0
		.amdhsa_float_round_mode_16_64 0
		.amdhsa_float_denorm_mode_32 3
		.amdhsa_float_denorm_mode_16_64 3
		.amdhsa_fp16_overflow 0
		.amdhsa_workgroup_processor_mode 1
		.amdhsa_memory_ordered 1
		.amdhsa_forward_progress 1
		.amdhsa_inst_pref_size 55
		.amdhsa_round_robin_scheduling 0
		.amdhsa_exception_fp_ieee_invalid_op 0
		.amdhsa_exception_fp_denorm_src 0
		.amdhsa_exception_fp_ieee_div_zero 0
		.amdhsa_exception_fp_ieee_overflow 0
		.amdhsa_exception_fp_ieee_underflow 0
		.amdhsa_exception_fp_ieee_inexact 0
		.amdhsa_exception_int_div_zero 0
	.end_amdhsa_kernel
	.section	.text._ZN7rocprim17ROCPRIM_400000_NS6detail17trampoline_kernelINS0_14default_configENS1_25partition_config_selectorILNS1_17partition_subalgoE5EyNS0_10empty_typeEbEEZZNS1_14partition_implILS5_5ELb0ES3_mN6thrust23THRUST_200600_302600_NS6detail15normal_iteratorINSA_10device_ptrIyEEEEPS6_NSA_18transform_iteratorINSB_9not_fun_tINSA_8identityIyEEEESF_NSA_11use_defaultESM_EENS0_5tupleIJSF_S6_EEENSO_IJSG_SG_EEES6_PlJS6_EEE10hipError_tPvRmT3_T4_T5_T6_T7_T9_mT8_P12ihipStream_tbDpT10_ENKUlT_T0_E_clISt17integral_constantIbLb0EES1B_EEDaS16_S17_EUlS16_E_NS1_11comp_targetILNS1_3genE10ELNS1_11target_archE1200ELNS1_3gpuE4ELNS1_3repE0EEENS1_30default_config_static_selectorELNS0_4arch9wavefront6targetE0EEEvT1_,"axG",@progbits,_ZN7rocprim17ROCPRIM_400000_NS6detail17trampoline_kernelINS0_14default_configENS1_25partition_config_selectorILNS1_17partition_subalgoE5EyNS0_10empty_typeEbEEZZNS1_14partition_implILS5_5ELb0ES3_mN6thrust23THRUST_200600_302600_NS6detail15normal_iteratorINSA_10device_ptrIyEEEEPS6_NSA_18transform_iteratorINSB_9not_fun_tINSA_8identityIyEEEESF_NSA_11use_defaultESM_EENS0_5tupleIJSF_S6_EEENSO_IJSG_SG_EEES6_PlJS6_EEE10hipError_tPvRmT3_T4_T5_T6_T7_T9_mT8_P12ihipStream_tbDpT10_ENKUlT_T0_E_clISt17integral_constantIbLb0EES1B_EEDaS16_S17_EUlS16_E_NS1_11comp_targetILNS1_3genE10ELNS1_11target_archE1200ELNS1_3gpuE4ELNS1_3repE0EEENS1_30default_config_static_selectorELNS0_4arch9wavefront6targetE0EEEvT1_,comdat
.Lfunc_end858:
	.size	_ZN7rocprim17ROCPRIM_400000_NS6detail17trampoline_kernelINS0_14default_configENS1_25partition_config_selectorILNS1_17partition_subalgoE5EyNS0_10empty_typeEbEEZZNS1_14partition_implILS5_5ELb0ES3_mN6thrust23THRUST_200600_302600_NS6detail15normal_iteratorINSA_10device_ptrIyEEEEPS6_NSA_18transform_iteratorINSB_9not_fun_tINSA_8identityIyEEEESF_NSA_11use_defaultESM_EENS0_5tupleIJSF_S6_EEENSO_IJSG_SG_EEES6_PlJS6_EEE10hipError_tPvRmT3_T4_T5_T6_T7_T9_mT8_P12ihipStream_tbDpT10_ENKUlT_T0_E_clISt17integral_constantIbLb0EES1B_EEDaS16_S17_EUlS16_E_NS1_11comp_targetILNS1_3genE10ELNS1_11target_archE1200ELNS1_3gpuE4ELNS1_3repE0EEENS1_30default_config_static_selectorELNS0_4arch9wavefront6targetE0EEEvT1_, .Lfunc_end858-_ZN7rocprim17ROCPRIM_400000_NS6detail17trampoline_kernelINS0_14default_configENS1_25partition_config_selectorILNS1_17partition_subalgoE5EyNS0_10empty_typeEbEEZZNS1_14partition_implILS5_5ELb0ES3_mN6thrust23THRUST_200600_302600_NS6detail15normal_iteratorINSA_10device_ptrIyEEEEPS6_NSA_18transform_iteratorINSB_9not_fun_tINSA_8identityIyEEEESF_NSA_11use_defaultESM_EENS0_5tupleIJSF_S6_EEENSO_IJSG_SG_EEES6_PlJS6_EEE10hipError_tPvRmT3_T4_T5_T6_T7_T9_mT8_P12ihipStream_tbDpT10_ENKUlT_T0_E_clISt17integral_constantIbLb0EES1B_EEDaS16_S17_EUlS16_E_NS1_11comp_targetILNS1_3genE10ELNS1_11target_archE1200ELNS1_3gpuE4ELNS1_3repE0EEENS1_30default_config_static_selectorELNS0_4arch9wavefront6targetE0EEEvT1_
                                        ; -- End function
	.set _ZN7rocprim17ROCPRIM_400000_NS6detail17trampoline_kernelINS0_14default_configENS1_25partition_config_selectorILNS1_17partition_subalgoE5EyNS0_10empty_typeEbEEZZNS1_14partition_implILS5_5ELb0ES3_mN6thrust23THRUST_200600_302600_NS6detail15normal_iteratorINSA_10device_ptrIyEEEEPS6_NSA_18transform_iteratorINSB_9not_fun_tINSA_8identityIyEEEESF_NSA_11use_defaultESM_EENS0_5tupleIJSF_S6_EEENSO_IJSG_SG_EEES6_PlJS6_EEE10hipError_tPvRmT3_T4_T5_T6_T7_T9_mT8_P12ihipStream_tbDpT10_ENKUlT_T0_E_clISt17integral_constantIbLb0EES1B_EEDaS16_S17_EUlS16_E_NS1_11comp_targetILNS1_3genE10ELNS1_11target_archE1200ELNS1_3gpuE4ELNS1_3repE0EEENS1_30default_config_static_selectorELNS0_4arch9wavefront6targetE0EEEvT1_.num_vgpr, 46
	.set _ZN7rocprim17ROCPRIM_400000_NS6detail17trampoline_kernelINS0_14default_configENS1_25partition_config_selectorILNS1_17partition_subalgoE5EyNS0_10empty_typeEbEEZZNS1_14partition_implILS5_5ELb0ES3_mN6thrust23THRUST_200600_302600_NS6detail15normal_iteratorINSA_10device_ptrIyEEEEPS6_NSA_18transform_iteratorINSB_9not_fun_tINSA_8identityIyEEEESF_NSA_11use_defaultESM_EENS0_5tupleIJSF_S6_EEENSO_IJSG_SG_EEES6_PlJS6_EEE10hipError_tPvRmT3_T4_T5_T6_T7_T9_mT8_P12ihipStream_tbDpT10_ENKUlT_T0_E_clISt17integral_constantIbLb0EES1B_EEDaS16_S17_EUlS16_E_NS1_11comp_targetILNS1_3genE10ELNS1_11target_archE1200ELNS1_3gpuE4ELNS1_3repE0EEENS1_30default_config_static_selectorELNS0_4arch9wavefront6targetE0EEEvT1_.num_agpr, 0
	.set _ZN7rocprim17ROCPRIM_400000_NS6detail17trampoline_kernelINS0_14default_configENS1_25partition_config_selectorILNS1_17partition_subalgoE5EyNS0_10empty_typeEbEEZZNS1_14partition_implILS5_5ELb0ES3_mN6thrust23THRUST_200600_302600_NS6detail15normal_iteratorINSA_10device_ptrIyEEEEPS6_NSA_18transform_iteratorINSB_9not_fun_tINSA_8identityIyEEEESF_NSA_11use_defaultESM_EENS0_5tupleIJSF_S6_EEENSO_IJSG_SG_EEES6_PlJS6_EEE10hipError_tPvRmT3_T4_T5_T6_T7_T9_mT8_P12ihipStream_tbDpT10_ENKUlT_T0_E_clISt17integral_constantIbLb0EES1B_EEDaS16_S17_EUlS16_E_NS1_11comp_targetILNS1_3genE10ELNS1_11target_archE1200ELNS1_3gpuE4ELNS1_3repE0EEENS1_30default_config_static_selectorELNS0_4arch9wavefront6targetE0EEEvT1_.numbered_sgpr, 22
	.set _ZN7rocprim17ROCPRIM_400000_NS6detail17trampoline_kernelINS0_14default_configENS1_25partition_config_selectorILNS1_17partition_subalgoE5EyNS0_10empty_typeEbEEZZNS1_14partition_implILS5_5ELb0ES3_mN6thrust23THRUST_200600_302600_NS6detail15normal_iteratorINSA_10device_ptrIyEEEEPS6_NSA_18transform_iteratorINSB_9not_fun_tINSA_8identityIyEEEESF_NSA_11use_defaultESM_EENS0_5tupleIJSF_S6_EEENSO_IJSG_SG_EEES6_PlJS6_EEE10hipError_tPvRmT3_T4_T5_T6_T7_T9_mT8_P12ihipStream_tbDpT10_ENKUlT_T0_E_clISt17integral_constantIbLb0EES1B_EEDaS16_S17_EUlS16_E_NS1_11comp_targetILNS1_3genE10ELNS1_11target_archE1200ELNS1_3gpuE4ELNS1_3repE0EEENS1_30default_config_static_selectorELNS0_4arch9wavefront6targetE0EEEvT1_.num_named_barrier, 0
	.set _ZN7rocprim17ROCPRIM_400000_NS6detail17trampoline_kernelINS0_14default_configENS1_25partition_config_selectorILNS1_17partition_subalgoE5EyNS0_10empty_typeEbEEZZNS1_14partition_implILS5_5ELb0ES3_mN6thrust23THRUST_200600_302600_NS6detail15normal_iteratorINSA_10device_ptrIyEEEEPS6_NSA_18transform_iteratorINSB_9not_fun_tINSA_8identityIyEEEESF_NSA_11use_defaultESM_EENS0_5tupleIJSF_S6_EEENSO_IJSG_SG_EEES6_PlJS6_EEE10hipError_tPvRmT3_T4_T5_T6_T7_T9_mT8_P12ihipStream_tbDpT10_ENKUlT_T0_E_clISt17integral_constantIbLb0EES1B_EEDaS16_S17_EUlS16_E_NS1_11comp_targetILNS1_3genE10ELNS1_11target_archE1200ELNS1_3gpuE4ELNS1_3repE0EEENS1_30default_config_static_selectorELNS0_4arch9wavefront6targetE0EEEvT1_.private_seg_size, 0
	.set _ZN7rocprim17ROCPRIM_400000_NS6detail17trampoline_kernelINS0_14default_configENS1_25partition_config_selectorILNS1_17partition_subalgoE5EyNS0_10empty_typeEbEEZZNS1_14partition_implILS5_5ELb0ES3_mN6thrust23THRUST_200600_302600_NS6detail15normal_iteratorINSA_10device_ptrIyEEEEPS6_NSA_18transform_iteratorINSB_9not_fun_tINSA_8identityIyEEEESF_NSA_11use_defaultESM_EENS0_5tupleIJSF_S6_EEENSO_IJSG_SG_EEES6_PlJS6_EEE10hipError_tPvRmT3_T4_T5_T6_T7_T9_mT8_P12ihipStream_tbDpT10_ENKUlT_T0_E_clISt17integral_constantIbLb0EES1B_EEDaS16_S17_EUlS16_E_NS1_11comp_targetILNS1_3genE10ELNS1_11target_archE1200ELNS1_3gpuE4ELNS1_3repE0EEENS1_30default_config_static_selectorELNS0_4arch9wavefront6targetE0EEEvT1_.uses_vcc, 1
	.set _ZN7rocprim17ROCPRIM_400000_NS6detail17trampoline_kernelINS0_14default_configENS1_25partition_config_selectorILNS1_17partition_subalgoE5EyNS0_10empty_typeEbEEZZNS1_14partition_implILS5_5ELb0ES3_mN6thrust23THRUST_200600_302600_NS6detail15normal_iteratorINSA_10device_ptrIyEEEEPS6_NSA_18transform_iteratorINSB_9not_fun_tINSA_8identityIyEEEESF_NSA_11use_defaultESM_EENS0_5tupleIJSF_S6_EEENSO_IJSG_SG_EEES6_PlJS6_EEE10hipError_tPvRmT3_T4_T5_T6_T7_T9_mT8_P12ihipStream_tbDpT10_ENKUlT_T0_E_clISt17integral_constantIbLb0EES1B_EEDaS16_S17_EUlS16_E_NS1_11comp_targetILNS1_3genE10ELNS1_11target_archE1200ELNS1_3gpuE4ELNS1_3repE0EEENS1_30default_config_static_selectorELNS0_4arch9wavefront6targetE0EEEvT1_.uses_flat_scratch, 1
	.set _ZN7rocprim17ROCPRIM_400000_NS6detail17trampoline_kernelINS0_14default_configENS1_25partition_config_selectorILNS1_17partition_subalgoE5EyNS0_10empty_typeEbEEZZNS1_14partition_implILS5_5ELb0ES3_mN6thrust23THRUST_200600_302600_NS6detail15normal_iteratorINSA_10device_ptrIyEEEEPS6_NSA_18transform_iteratorINSB_9not_fun_tINSA_8identityIyEEEESF_NSA_11use_defaultESM_EENS0_5tupleIJSF_S6_EEENSO_IJSG_SG_EEES6_PlJS6_EEE10hipError_tPvRmT3_T4_T5_T6_T7_T9_mT8_P12ihipStream_tbDpT10_ENKUlT_T0_E_clISt17integral_constantIbLb0EES1B_EEDaS16_S17_EUlS16_E_NS1_11comp_targetILNS1_3genE10ELNS1_11target_archE1200ELNS1_3gpuE4ELNS1_3repE0EEENS1_30default_config_static_selectorELNS0_4arch9wavefront6targetE0EEEvT1_.has_dyn_sized_stack, 0
	.set _ZN7rocprim17ROCPRIM_400000_NS6detail17trampoline_kernelINS0_14default_configENS1_25partition_config_selectorILNS1_17partition_subalgoE5EyNS0_10empty_typeEbEEZZNS1_14partition_implILS5_5ELb0ES3_mN6thrust23THRUST_200600_302600_NS6detail15normal_iteratorINSA_10device_ptrIyEEEEPS6_NSA_18transform_iteratorINSB_9not_fun_tINSA_8identityIyEEEESF_NSA_11use_defaultESM_EENS0_5tupleIJSF_S6_EEENSO_IJSG_SG_EEES6_PlJS6_EEE10hipError_tPvRmT3_T4_T5_T6_T7_T9_mT8_P12ihipStream_tbDpT10_ENKUlT_T0_E_clISt17integral_constantIbLb0EES1B_EEDaS16_S17_EUlS16_E_NS1_11comp_targetILNS1_3genE10ELNS1_11target_archE1200ELNS1_3gpuE4ELNS1_3repE0EEENS1_30default_config_static_selectorELNS0_4arch9wavefront6targetE0EEEvT1_.has_recursion, 0
	.set _ZN7rocprim17ROCPRIM_400000_NS6detail17trampoline_kernelINS0_14default_configENS1_25partition_config_selectorILNS1_17partition_subalgoE5EyNS0_10empty_typeEbEEZZNS1_14partition_implILS5_5ELb0ES3_mN6thrust23THRUST_200600_302600_NS6detail15normal_iteratorINSA_10device_ptrIyEEEEPS6_NSA_18transform_iteratorINSB_9not_fun_tINSA_8identityIyEEEESF_NSA_11use_defaultESM_EENS0_5tupleIJSF_S6_EEENSO_IJSG_SG_EEES6_PlJS6_EEE10hipError_tPvRmT3_T4_T5_T6_T7_T9_mT8_P12ihipStream_tbDpT10_ENKUlT_T0_E_clISt17integral_constantIbLb0EES1B_EEDaS16_S17_EUlS16_E_NS1_11comp_targetILNS1_3genE10ELNS1_11target_archE1200ELNS1_3gpuE4ELNS1_3repE0EEENS1_30default_config_static_selectorELNS0_4arch9wavefront6targetE0EEEvT1_.has_indirect_call, 0
	.section	.AMDGPU.csdata,"",@progbits
; Kernel info:
; codeLenInByte = 6960
; TotalNumSgprs: 24
; NumVgprs: 46
; ScratchSize: 0
; MemoryBound: 0
; FloatMode: 240
; IeeeMode: 1
; LDSByteSize: 8464 bytes/workgroup (compile time only)
; SGPRBlocks: 0
; VGPRBlocks: 5
; NumSGPRsForWavesPerEU: 24
; NumVGPRsForWavesPerEU: 46
; Occupancy: 16
; WaveLimiterHint : 1
; COMPUTE_PGM_RSRC2:SCRATCH_EN: 0
; COMPUTE_PGM_RSRC2:USER_SGPR: 2
; COMPUTE_PGM_RSRC2:TRAP_HANDLER: 0
; COMPUTE_PGM_RSRC2:TGID_X_EN: 1
; COMPUTE_PGM_RSRC2:TGID_Y_EN: 0
; COMPUTE_PGM_RSRC2:TGID_Z_EN: 0
; COMPUTE_PGM_RSRC2:TIDIG_COMP_CNT: 0
	.section	.text._ZN7rocprim17ROCPRIM_400000_NS6detail17trampoline_kernelINS0_14default_configENS1_25partition_config_selectorILNS1_17partition_subalgoE5EyNS0_10empty_typeEbEEZZNS1_14partition_implILS5_5ELb0ES3_mN6thrust23THRUST_200600_302600_NS6detail15normal_iteratorINSA_10device_ptrIyEEEEPS6_NSA_18transform_iteratorINSB_9not_fun_tINSA_8identityIyEEEESF_NSA_11use_defaultESM_EENS0_5tupleIJSF_S6_EEENSO_IJSG_SG_EEES6_PlJS6_EEE10hipError_tPvRmT3_T4_T5_T6_T7_T9_mT8_P12ihipStream_tbDpT10_ENKUlT_T0_E_clISt17integral_constantIbLb0EES1B_EEDaS16_S17_EUlS16_E_NS1_11comp_targetILNS1_3genE9ELNS1_11target_archE1100ELNS1_3gpuE3ELNS1_3repE0EEENS1_30default_config_static_selectorELNS0_4arch9wavefront6targetE0EEEvT1_,"axG",@progbits,_ZN7rocprim17ROCPRIM_400000_NS6detail17trampoline_kernelINS0_14default_configENS1_25partition_config_selectorILNS1_17partition_subalgoE5EyNS0_10empty_typeEbEEZZNS1_14partition_implILS5_5ELb0ES3_mN6thrust23THRUST_200600_302600_NS6detail15normal_iteratorINSA_10device_ptrIyEEEEPS6_NSA_18transform_iteratorINSB_9not_fun_tINSA_8identityIyEEEESF_NSA_11use_defaultESM_EENS0_5tupleIJSF_S6_EEENSO_IJSG_SG_EEES6_PlJS6_EEE10hipError_tPvRmT3_T4_T5_T6_T7_T9_mT8_P12ihipStream_tbDpT10_ENKUlT_T0_E_clISt17integral_constantIbLb0EES1B_EEDaS16_S17_EUlS16_E_NS1_11comp_targetILNS1_3genE9ELNS1_11target_archE1100ELNS1_3gpuE3ELNS1_3repE0EEENS1_30default_config_static_selectorELNS0_4arch9wavefront6targetE0EEEvT1_,comdat
	.protected	_ZN7rocprim17ROCPRIM_400000_NS6detail17trampoline_kernelINS0_14default_configENS1_25partition_config_selectorILNS1_17partition_subalgoE5EyNS0_10empty_typeEbEEZZNS1_14partition_implILS5_5ELb0ES3_mN6thrust23THRUST_200600_302600_NS6detail15normal_iteratorINSA_10device_ptrIyEEEEPS6_NSA_18transform_iteratorINSB_9not_fun_tINSA_8identityIyEEEESF_NSA_11use_defaultESM_EENS0_5tupleIJSF_S6_EEENSO_IJSG_SG_EEES6_PlJS6_EEE10hipError_tPvRmT3_T4_T5_T6_T7_T9_mT8_P12ihipStream_tbDpT10_ENKUlT_T0_E_clISt17integral_constantIbLb0EES1B_EEDaS16_S17_EUlS16_E_NS1_11comp_targetILNS1_3genE9ELNS1_11target_archE1100ELNS1_3gpuE3ELNS1_3repE0EEENS1_30default_config_static_selectorELNS0_4arch9wavefront6targetE0EEEvT1_ ; -- Begin function _ZN7rocprim17ROCPRIM_400000_NS6detail17trampoline_kernelINS0_14default_configENS1_25partition_config_selectorILNS1_17partition_subalgoE5EyNS0_10empty_typeEbEEZZNS1_14partition_implILS5_5ELb0ES3_mN6thrust23THRUST_200600_302600_NS6detail15normal_iteratorINSA_10device_ptrIyEEEEPS6_NSA_18transform_iteratorINSB_9not_fun_tINSA_8identityIyEEEESF_NSA_11use_defaultESM_EENS0_5tupleIJSF_S6_EEENSO_IJSG_SG_EEES6_PlJS6_EEE10hipError_tPvRmT3_T4_T5_T6_T7_T9_mT8_P12ihipStream_tbDpT10_ENKUlT_T0_E_clISt17integral_constantIbLb0EES1B_EEDaS16_S17_EUlS16_E_NS1_11comp_targetILNS1_3genE9ELNS1_11target_archE1100ELNS1_3gpuE3ELNS1_3repE0EEENS1_30default_config_static_selectorELNS0_4arch9wavefront6targetE0EEEvT1_
	.globl	_ZN7rocprim17ROCPRIM_400000_NS6detail17trampoline_kernelINS0_14default_configENS1_25partition_config_selectorILNS1_17partition_subalgoE5EyNS0_10empty_typeEbEEZZNS1_14partition_implILS5_5ELb0ES3_mN6thrust23THRUST_200600_302600_NS6detail15normal_iteratorINSA_10device_ptrIyEEEEPS6_NSA_18transform_iteratorINSB_9not_fun_tINSA_8identityIyEEEESF_NSA_11use_defaultESM_EENS0_5tupleIJSF_S6_EEENSO_IJSG_SG_EEES6_PlJS6_EEE10hipError_tPvRmT3_T4_T5_T6_T7_T9_mT8_P12ihipStream_tbDpT10_ENKUlT_T0_E_clISt17integral_constantIbLb0EES1B_EEDaS16_S17_EUlS16_E_NS1_11comp_targetILNS1_3genE9ELNS1_11target_archE1100ELNS1_3gpuE3ELNS1_3repE0EEENS1_30default_config_static_selectorELNS0_4arch9wavefront6targetE0EEEvT1_
	.p2align	8
	.type	_ZN7rocprim17ROCPRIM_400000_NS6detail17trampoline_kernelINS0_14default_configENS1_25partition_config_selectorILNS1_17partition_subalgoE5EyNS0_10empty_typeEbEEZZNS1_14partition_implILS5_5ELb0ES3_mN6thrust23THRUST_200600_302600_NS6detail15normal_iteratorINSA_10device_ptrIyEEEEPS6_NSA_18transform_iteratorINSB_9not_fun_tINSA_8identityIyEEEESF_NSA_11use_defaultESM_EENS0_5tupleIJSF_S6_EEENSO_IJSG_SG_EEES6_PlJS6_EEE10hipError_tPvRmT3_T4_T5_T6_T7_T9_mT8_P12ihipStream_tbDpT10_ENKUlT_T0_E_clISt17integral_constantIbLb0EES1B_EEDaS16_S17_EUlS16_E_NS1_11comp_targetILNS1_3genE9ELNS1_11target_archE1100ELNS1_3gpuE3ELNS1_3repE0EEENS1_30default_config_static_selectorELNS0_4arch9wavefront6targetE0EEEvT1_,@function
_ZN7rocprim17ROCPRIM_400000_NS6detail17trampoline_kernelINS0_14default_configENS1_25partition_config_selectorILNS1_17partition_subalgoE5EyNS0_10empty_typeEbEEZZNS1_14partition_implILS5_5ELb0ES3_mN6thrust23THRUST_200600_302600_NS6detail15normal_iteratorINSA_10device_ptrIyEEEEPS6_NSA_18transform_iteratorINSB_9not_fun_tINSA_8identityIyEEEESF_NSA_11use_defaultESM_EENS0_5tupleIJSF_S6_EEENSO_IJSG_SG_EEES6_PlJS6_EEE10hipError_tPvRmT3_T4_T5_T6_T7_T9_mT8_P12ihipStream_tbDpT10_ENKUlT_T0_E_clISt17integral_constantIbLb0EES1B_EEDaS16_S17_EUlS16_E_NS1_11comp_targetILNS1_3genE9ELNS1_11target_archE1100ELNS1_3gpuE3ELNS1_3repE0EEENS1_30default_config_static_selectorELNS0_4arch9wavefront6targetE0EEEvT1_: ; @_ZN7rocprim17ROCPRIM_400000_NS6detail17trampoline_kernelINS0_14default_configENS1_25partition_config_selectorILNS1_17partition_subalgoE5EyNS0_10empty_typeEbEEZZNS1_14partition_implILS5_5ELb0ES3_mN6thrust23THRUST_200600_302600_NS6detail15normal_iteratorINSA_10device_ptrIyEEEEPS6_NSA_18transform_iteratorINSB_9not_fun_tINSA_8identityIyEEEESF_NSA_11use_defaultESM_EENS0_5tupleIJSF_S6_EEENSO_IJSG_SG_EEES6_PlJS6_EEE10hipError_tPvRmT3_T4_T5_T6_T7_T9_mT8_P12ihipStream_tbDpT10_ENKUlT_T0_E_clISt17integral_constantIbLb0EES1B_EEDaS16_S17_EUlS16_E_NS1_11comp_targetILNS1_3genE9ELNS1_11target_archE1100ELNS1_3gpuE3ELNS1_3repE0EEENS1_30default_config_static_selectorELNS0_4arch9wavefront6targetE0EEEvT1_
; %bb.0:
	.section	.rodata,"a",@progbits
	.p2align	6, 0x0
	.amdhsa_kernel _ZN7rocprim17ROCPRIM_400000_NS6detail17trampoline_kernelINS0_14default_configENS1_25partition_config_selectorILNS1_17partition_subalgoE5EyNS0_10empty_typeEbEEZZNS1_14partition_implILS5_5ELb0ES3_mN6thrust23THRUST_200600_302600_NS6detail15normal_iteratorINSA_10device_ptrIyEEEEPS6_NSA_18transform_iteratorINSB_9not_fun_tINSA_8identityIyEEEESF_NSA_11use_defaultESM_EENS0_5tupleIJSF_S6_EEENSO_IJSG_SG_EEES6_PlJS6_EEE10hipError_tPvRmT3_T4_T5_T6_T7_T9_mT8_P12ihipStream_tbDpT10_ENKUlT_T0_E_clISt17integral_constantIbLb0EES1B_EEDaS16_S17_EUlS16_E_NS1_11comp_targetILNS1_3genE9ELNS1_11target_archE1100ELNS1_3gpuE3ELNS1_3repE0EEENS1_30default_config_static_selectorELNS0_4arch9wavefront6targetE0EEEvT1_
		.amdhsa_group_segment_fixed_size 0
		.amdhsa_private_segment_fixed_size 0
		.amdhsa_kernarg_size 120
		.amdhsa_user_sgpr_count 2
		.amdhsa_user_sgpr_dispatch_ptr 0
		.amdhsa_user_sgpr_queue_ptr 0
		.amdhsa_user_sgpr_kernarg_segment_ptr 1
		.amdhsa_user_sgpr_dispatch_id 0
		.amdhsa_user_sgpr_private_segment_size 0
		.amdhsa_wavefront_size32 1
		.amdhsa_uses_dynamic_stack 0
		.amdhsa_enable_private_segment 0
		.amdhsa_system_sgpr_workgroup_id_x 1
		.amdhsa_system_sgpr_workgroup_id_y 0
		.amdhsa_system_sgpr_workgroup_id_z 0
		.amdhsa_system_sgpr_workgroup_info 0
		.amdhsa_system_vgpr_workitem_id 0
		.amdhsa_next_free_vgpr 1
		.amdhsa_next_free_sgpr 1
		.amdhsa_reserve_vcc 0
		.amdhsa_float_round_mode_32 0
		.amdhsa_float_round_mode_16_64 0
		.amdhsa_float_denorm_mode_32 3
		.amdhsa_float_denorm_mode_16_64 3
		.amdhsa_fp16_overflow 0
		.amdhsa_workgroup_processor_mode 1
		.amdhsa_memory_ordered 1
		.amdhsa_forward_progress 1
		.amdhsa_inst_pref_size 0
		.amdhsa_round_robin_scheduling 0
		.amdhsa_exception_fp_ieee_invalid_op 0
		.amdhsa_exception_fp_denorm_src 0
		.amdhsa_exception_fp_ieee_div_zero 0
		.amdhsa_exception_fp_ieee_overflow 0
		.amdhsa_exception_fp_ieee_underflow 0
		.amdhsa_exception_fp_ieee_inexact 0
		.amdhsa_exception_int_div_zero 0
	.end_amdhsa_kernel
	.section	.text._ZN7rocprim17ROCPRIM_400000_NS6detail17trampoline_kernelINS0_14default_configENS1_25partition_config_selectorILNS1_17partition_subalgoE5EyNS0_10empty_typeEbEEZZNS1_14partition_implILS5_5ELb0ES3_mN6thrust23THRUST_200600_302600_NS6detail15normal_iteratorINSA_10device_ptrIyEEEEPS6_NSA_18transform_iteratorINSB_9not_fun_tINSA_8identityIyEEEESF_NSA_11use_defaultESM_EENS0_5tupleIJSF_S6_EEENSO_IJSG_SG_EEES6_PlJS6_EEE10hipError_tPvRmT3_T4_T5_T6_T7_T9_mT8_P12ihipStream_tbDpT10_ENKUlT_T0_E_clISt17integral_constantIbLb0EES1B_EEDaS16_S17_EUlS16_E_NS1_11comp_targetILNS1_3genE9ELNS1_11target_archE1100ELNS1_3gpuE3ELNS1_3repE0EEENS1_30default_config_static_selectorELNS0_4arch9wavefront6targetE0EEEvT1_,"axG",@progbits,_ZN7rocprim17ROCPRIM_400000_NS6detail17trampoline_kernelINS0_14default_configENS1_25partition_config_selectorILNS1_17partition_subalgoE5EyNS0_10empty_typeEbEEZZNS1_14partition_implILS5_5ELb0ES3_mN6thrust23THRUST_200600_302600_NS6detail15normal_iteratorINSA_10device_ptrIyEEEEPS6_NSA_18transform_iteratorINSB_9not_fun_tINSA_8identityIyEEEESF_NSA_11use_defaultESM_EENS0_5tupleIJSF_S6_EEENSO_IJSG_SG_EEES6_PlJS6_EEE10hipError_tPvRmT3_T4_T5_T6_T7_T9_mT8_P12ihipStream_tbDpT10_ENKUlT_T0_E_clISt17integral_constantIbLb0EES1B_EEDaS16_S17_EUlS16_E_NS1_11comp_targetILNS1_3genE9ELNS1_11target_archE1100ELNS1_3gpuE3ELNS1_3repE0EEENS1_30default_config_static_selectorELNS0_4arch9wavefront6targetE0EEEvT1_,comdat
.Lfunc_end859:
	.size	_ZN7rocprim17ROCPRIM_400000_NS6detail17trampoline_kernelINS0_14default_configENS1_25partition_config_selectorILNS1_17partition_subalgoE5EyNS0_10empty_typeEbEEZZNS1_14partition_implILS5_5ELb0ES3_mN6thrust23THRUST_200600_302600_NS6detail15normal_iteratorINSA_10device_ptrIyEEEEPS6_NSA_18transform_iteratorINSB_9not_fun_tINSA_8identityIyEEEESF_NSA_11use_defaultESM_EENS0_5tupleIJSF_S6_EEENSO_IJSG_SG_EEES6_PlJS6_EEE10hipError_tPvRmT3_T4_T5_T6_T7_T9_mT8_P12ihipStream_tbDpT10_ENKUlT_T0_E_clISt17integral_constantIbLb0EES1B_EEDaS16_S17_EUlS16_E_NS1_11comp_targetILNS1_3genE9ELNS1_11target_archE1100ELNS1_3gpuE3ELNS1_3repE0EEENS1_30default_config_static_selectorELNS0_4arch9wavefront6targetE0EEEvT1_, .Lfunc_end859-_ZN7rocprim17ROCPRIM_400000_NS6detail17trampoline_kernelINS0_14default_configENS1_25partition_config_selectorILNS1_17partition_subalgoE5EyNS0_10empty_typeEbEEZZNS1_14partition_implILS5_5ELb0ES3_mN6thrust23THRUST_200600_302600_NS6detail15normal_iteratorINSA_10device_ptrIyEEEEPS6_NSA_18transform_iteratorINSB_9not_fun_tINSA_8identityIyEEEESF_NSA_11use_defaultESM_EENS0_5tupleIJSF_S6_EEENSO_IJSG_SG_EEES6_PlJS6_EEE10hipError_tPvRmT3_T4_T5_T6_T7_T9_mT8_P12ihipStream_tbDpT10_ENKUlT_T0_E_clISt17integral_constantIbLb0EES1B_EEDaS16_S17_EUlS16_E_NS1_11comp_targetILNS1_3genE9ELNS1_11target_archE1100ELNS1_3gpuE3ELNS1_3repE0EEENS1_30default_config_static_selectorELNS0_4arch9wavefront6targetE0EEEvT1_
                                        ; -- End function
	.set _ZN7rocprim17ROCPRIM_400000_NS6detail17trampoline_kernelINS0_14default_configENS1_25partition_config_selectorILNS1_17partition_subalgoE5EyNS0_10empty_typeEbEEZZNS1_14partition_implILS5_5ELb0ES3_mN6thrust23THRUST_200600_302600_NS6detail15normal_iteratorINSA_10device_ptrIyEEEEPS6_NSA_18transform_iteratorINSB_9not_fun_tINSA_8identityIyEEEESF_NSA_11use_defaultESM_EENS0_5tupleIJSF_S6_EEENSO_IJSG_SG_EEES6_PlJS6_EEE10hipError_tPvRmT3_T4_T5_T6_T7_T9_mT8_P12ihipStream_tbDpT10_ENKUlT_T0_E_clISt17integral_constantIbLb0EES1B_EEDaS16_S17_EUlS16_E_NS1_11comp_targetILNS1_3genE9ELNS1_11target_archE1100ELNS1_3gpuE3ELNS1_3repE0EEENS1_30default_config_static_selectorELNS0_4arch9wavefront6targetE0EEEvT1_.num_vgpr, 0
	.set _ZN7rocprim17ROCPRIM_400000_NS6detail17trampoline_kernelINS0_14default_configENS1_25partition_config_selectorILNS1_17partition_subalgoE5EyNS0_10empty_typeEbEEZZNS1_14partition_implILS5_5ELb0ES3_mN6thrust23THRUST_200600_302600_NS6detail15normal_iteratorINSA_10device_ptrIyEEEEPS6_NSA_18transform_iteratorINSB_9not_fun_tINSA_8identityIyEEEESF_NSA_11use_defaultESM_EENS0_5tupleIJSF_S6_EEENSO_IJSG_SG_EEES6_PlJS6_EEE10hipError_tPvRmT3_T4_T5_T6_T7_T9_mT8_P12ihipStream_tbDpT10_ENKUlT_T0_E_clISt17integral_constantIbLb0EES1B_EEDaS16_S17_EUlS16_E_NS1_11comp_targetILNS1_3genE9ELNS1_11target_archE1100ELNS1_3gpuE3ELNS1_3repE0EEENS1_30default_config_static_selectorELNS0_4arch9wavefront6targetE0EEEvT1_.num_agpr, 0
	.set _ZN7rocprim17ROCPRIM_400000_NS6detail17trampoline_kernelINS0_14default_configENS1_25partition_config_selectorILNS1_17partition_subalgoE5EyNS0_10empty_typeEbEEZZNS1_14partition_implILS5_5ELb0ES3_mN6thrust23THRUST_200600_302600_NS6detail15normal_iteratorINSA_10device_ptrIyEEEEPS6_NSA_18transform_iteratorINSB_9not_fun_tINSA_8identityIyEEEESF_NSA_11use_defaultESM_EENS0_5tupleIJSF_S6_EEENSO_IJSG_SG_EEES6_PlJS6_EEE10hipError_tPvRmT3_T4_T5_T6_T7_T9_mT8_P12ihipStream_tbDpT10_ENKUlT_T0_E_clISt17integral_constantIbLb0EES1B_EEDaS16_S17_EUlS16_E_NS1_11comp_targetILNS1_3genE9ELNS1_11target_archE1100ELNS1_3gpuE3ELNS1_3repE0EEENS1_30default_config_static_selectorELNS0_4arch9wavefront6targetE0EEEvT1_.numbered_sgpr, 0
	.set _ZN7rocprim17ROCPRIM_400000_NS6detail17trampoline_kernelINS0_14default_configENS1_25partition_config_selectorILNS1_17partition_subalgoE5EyNS0_10empty_typeEbEEZZNS1_14partition_implILS5_5ELb0ES3_mN6thrust23THRUST_200600_302600_NS6detail15normal_iteratorINSA_10device_ptrIyEEEEPS6_NSA_18transform_iteratorINSB_9not_fun_tINSA_8identityIyEEEESF_NSA_11use_defaultESM_EENS0_5tupleIJSF_S6_EEENSO_IJSG_SG_EEES6_PlJS6_EEE10hipError_tPvRmT3_T4_T5_T6_T7_T9_mT8_P12ihipStream_tbDpT10_ENKUlT_T0_E_clISt17integral_constantIbLb0EES1B_EEDaS16_S17_EUlS16_E_NS1_11comp_targetILNS1_3genE9ELNS1_11target_archE1100ELNS1_3gpuE3ELNS1_3repE0EEENS1_30default_config_static_selectorELNS0_4arch9wavefront6targetE0EEEvT1_.num_named_barrier, 0
	.set _ZN7rocprim17ROCPRIM_400000_NS6detail17trampoline_kernelINS0_14default_configENS1_25partition_config_selectorILNS1_17partition_subalgoE5EyNS0_10empty_typeEbEEZZNS1_14partition_implILS5_5ELb0ES3_mN6thrust23THRUST_200600_302600_NS6detail15normal_iteratorINSA_10device_ptrIyEEEEPS6_NSA_18transform_iteratorINSB_9not_fun_tINSA_8identityIyEEEESF_NSA_11use_defaultESM_EENS0_5tupleIJSF_S6_EEENSO_IJSG_SG_EEES6_PlJS6_EEE10hipError_tPvRmT3_T4_T5_T6_T7_T9_mT8_P12ihipStream_tbDpT10_ENKUlT_T0_E_clISt17integral_constantIbLb0EES1B_EEDaS16_S17_EUlS16_E_NS1_11comp_targetILNS1_3genE9ELNS1_11target_archE1100ELNS1_3gpuE3ELNS1_3repE0EEENS1_30default_config_static_selectorELNS0_4arch9wavefront6targetE0EEEvT1_.private_seg_size, 0
	.set _ZN7rocprim17ROCPRIM_400000_NS6detail17trampoline_kernelINS0_14default_configENS1_25partition_config_selectorILNS1_17partition_subalgoE5EyNS0_10empty_typeEbEEZZNS1_14partition_implILS5_5ELb0ES3_mN6thrust23THRUST_200600_302600_NS6detail15normal_iteratorINSA_10device_ptrIyEEEEPS6_NSA_18transform_iteratorINSB_9not_fun_tINSA_8identityIyEEEESF_NSA_11use_defaultESM_EENS0_5tupleIJSF_S6_EEENSO_IJSG_SG_EEES6_PlJS6_EEE10hipError_tPvRmT3_T4_T5_T6_T7_T9_mT8_P12ihipStream_tbDpT10_ENKUlT_T0_E_clISt17integral_constantIbLb0EES1B_EEDaS16_S17_EUlS16_E_NS1_11comp_targetILNS1_3genE9ELNS1_11target_archE1100ELNS1_3gpuE3ELNS1_3repE0EEENS1_30default_config_static_selectorELNS0_4arch9wavefront6targetE0EEEvT1_.uses_vcc, 0
	.set _ZN7rocprim17ROCPRIM_400000_NS6detail17trampoline_kernelINS0_14default_configENS1_25partition_config_selectorILNS1_17partition_subalgoE5EyNS0_10empty_typeEbEEZZNS1_14partition_implILS5_5ELb0ES3_mN6thrust23THRUST_200600_302600_NS6detail15normal_iteratorINSA_10device_ptrIyEEEEPS6_NSA_18transform_iteratorINSB_9not_fun_tINSA_8identityIyEEEESF_NSA_11use_defaultESM_EENS0_5tupleIJSF_S6_EEENSO_IJSG_SG_EEES6_PlJS6_EEE10hipError_tPvRmT3_T4_T5_T6_T7_T9_mT8_P12ihipStream_tbDpT10_ENKUlT_T0_E_clISt17integral_constantIbLb0EES1B_EEDaS16_S17_EUlS16_E_NS1_11comp_targetILNS1_3genE9ELNS1_11target_archE1100ELNS1_3gpuE3ELNS1_3repE0EEENS1_30default_config_static_selectorELNS0_4arch9wavefront6targetE0EEEvT1_.uses_flat_scratch, 0
	.set _ZN7rocprim17ROCPRIM_400000_NS6detail17trampoline_kernelINS0_14default_configENS1_25partition_config_selectorILNS1_17partition_subalgoE5EyNS0_10empty_typeEbEEZZNS1_14partition_implILS5_5ELb0ES3_mN6thrust23THRUST_200600_302600_NS6detail15normal_iteratorINSA_10device_ptrIyEEEEPS6_NSA_18transform_iteratorINSB_9not_fun_tINSA_8identityIyEEEESF_NSA_11use_defaultESM_EENS0_5tupleIJSF_S6_EEENSO_IJSG_SG_EEES6_PlJS6_EEE10hipError_tPvRmT3_T4_T5_T6_T7_T9_mT8_P12ihipStream_tbDpT10_ENKUlT_T0_E_clISt17integral_constantIbLb0EES1B_EEDaS16_S17_EUlS16_E_NS1_11comp_targetILNS1_3genE9ELNS1_11target_archE1100ELNS1_3gpuE3ELNS1_3repE0EEENS1_30default_config_static_selectorELNS0_4arch9wavefront6targetE0EEEvT1_.has_dyn_sized_stack, 0
	.set _ZN7rocprim17ROCPRIM_400000_NS6detail17trampoline_kernelINS0_14default_configENS1_25partition_config_selectorILNS1_17partition_subalgoE5EyNS0_10empty_typeEbEEZZNS1_14partition_implILS5_5ELb0ES3_mN6thrust23THRUST_200600_302600_NS6detail15normal_iteratorINSA_10device_ptrIyEEEEPS6_NSA_18transform_iteratorINSB_9not_fun_tINSA_8identityIyEEEESF_NSA_11use_defaultESM_EENS0_5tupleIJSF_S6_EEENSO_IJSG_SG_EEES6_PlJS6_EEE10hipError_tPvRmT3_T4_T5_T6_T7_T9_mT8_P12ihipStream_tbDpT10_ENKUlT_T0_E_clISt17integral_constantIbLb0EES1B_EEDaS16_S17_EUlS16_E_NS1_11comp_targetILNS1_3genE9ELNS1_11target_archE1100ELNS1_3gpuE3ELNS1_3repE0EEENS1_30default_config_static_selectorELNS0_4arch9wavefront6targetE0EEEvT1_.has_recursion, 0
	.set _ZN7rocprim17ROCPRIM_400000_NS6detail17trampoline_kernelINS0_14default_configENS1_25partition_config_selectorILNS1_17partition_subalgoE5EyNS0_10empty_typeEbEEZZNS1_14partition_implILS5_5ELb0ES3_mN6thrust23THRUST_200600_302600_NS6detail15normal_iteratorINSA_10device_ptrIyEEEEPS6_NSA_18transform_iteratorINSB_9not_fun_tINSA_8identityIyEEEESF_NSA_11use_defaultESM_EENS0_5tupleIJSF_S6_EEENSO_IJSG_SG_EEES6_PlJS6_EEE10hipError_tPvRmT3_T4_T5_T6_T7_T9_mT8_P12ihipStream_tbDpT10_ENKUlT_T0_E_clISt17integral_constantIbLb0EES1B_EEDaS16_S17_EUlS16_E_NS1_11comp_targetILNS1_3genE9ELNS1_11target_archE1100ELNS1_3gpuE3ELNS1_3repE0EEENS1_30default_config_static_selectorELNS0_4arch9wavefront6targetE0EEEvT1_.has_indirect_call, 0
	.section	.AMDGPU.csdata,"",@progbits
; Kernel info:
; codeLenInByte = 0
; TotalNumSgprs: 0
; NumVgprs: 0
; ScratchSize: 0
; MemoryBound: 0
; FloatMode: 240
; IeeeMode: 1
; LDSByteSize: 0 bytes/workgroup (compile time only)
; SGPRBlocks: 0
; VGPRBlocks: 0
; NumSGPRsForWavesPerEU: 1
; NumVGPRsForWavesPerEU: 1
; Occupancy: 16
; WaveLimiterHint : 0
; COMPUTE_PGM_RSRC2:SCRATCH_EN: 0
; COMPUTE_PGM_RSRC2:USER_SGPR: 2
; COMPUTE_PGM_RSRC2:TRAP_HANDLER: 0
; COMPUTE_PGM_RSRC2:TGID_X_EN: 1
; COMPUTE_PGM_RSRC2:TGID_Y_EN: 0
; COMPUTE_PGM_RSRC2:TGID_Z_EN: 0
; COMPUTE_PGM_RSRC2:TIDIG_COMP_CNT: 0
	.section	.text._ZN7rocprim17ROCPRIM_400000_NS6detail17trampoline_kernelINS0_14default_configENS1_25partition_config_selectorILNS1_17partition_subalgoE5EyNS0_10empty_typeEbEEZZNS1_14partition_implILS5_5ELb0ES3_mN6thrust23THRUST_200600_302600_NS6detail15normal_iteratorINSA_10device_ptrIyEEEEPS6_NSA_18transform_iteratorINSB_9not_fun_tINSA_8identityIyEEEESF_NSA_11use_defaultESM_EENS0_5tupleIJSF_S6_EEENSO_IJSG_SG_EEES6_PlJS6_EEE10hipError_tPvRmT3_T4_T5_T6_T7_T9_mT8_P12ihipStream_tbDpT10_ENKUlT_T0_E_clISt17integral_constantIbLb0EES1B_EEDaS16_S17_EUlS16_E_NS1_11comp_targetILNS1_3genE8ELNS1_11target_archE1030ELNS1_3gpuE2ELNS1_3repE0EEENS1_30default_config_static_selectorELNS0_4arch9wavefront6targetE0EEEvT1_,"axG",@progbits,_ZN7rocprim17ROCPRIM_400000_NS6detail17trampoline_kernelINS0_14default_configENS1_25partition_config_selectorILNS1_17partition_subalgoE5EyNS0_10empty_typeEbEEZZNS1_14partition_implILS5_5ELb0ES3_mN6thrust23THRUST_200600_302600_NS6detail15normal_iteratorINSA_10device_ptrIyEEEEPS6_NSA_18transform_iteratorINSB_9not_fun_tINSA_8identityIyEEEESF_NSA_11use_defaultESM_EENS0_5tupleIJSF_S6_EEENSO_IJSG_SG_EEES6_PlJS6_EEE10hipError_tPvRmT3_T4_T5_T6_T7_T9_mT8_P12ihipStream_tbDpT10_ENKUlT_T0_E_clISt17integral_constantIbLb0EES1B_EEDaS16_S17_EUlS16_E_NS1_11comp_targetILNS1_3genE8ELNS1_11target_archE1030ELNS1_3gpuE2ELNS1_3repE0EEENS1_30default_config_static_selectorELNS0_4arch9wavefront6targetE0EEEvT1_,comdat
	.protected	_ZN7rocprim17ROCPRIM_400000_NS6detail17trampoline_kernelINS0_14default_configENS1_25partition_config_selectorILNS1_17partition_subalgoE5EyNS0_10empty_typeEbEEZZNS1_14partition_implILS5_5ELb0ES3_mN6thrust23THRUST_200600_302600_NS6detail15normal_iteratorINSA_10device_ptrIyEEEEPS6_NSA_18transform_iteratorINSB_9not_fun_tINSA_8identityIyEEEESF_NSA_11use_defaultESM_EENS0_5tupleIJSF_S6_EEENSO_IJSG_SG_EEES6_PlJS6_EEE10hipError_tPvRmT3_T4_T5_T6_T7_T9_mT8_P12ihipStream_tbDpT10_ENKUlT_T0_E_clISt17integral_constantIbLb0EES1B_EEDaS16_S17_EUlS16_E_NS1_11comp_targetILNS1_3genE8ELNS1_11target_archE1030ELNS1_3gpuE2ELNS1_3repE0EEENS1_30default_config_static_selectorELNS0_4arch9wavefront6targetE0EEEvT1_ ; -- Begin function _ZN7rocprim17ROCPRIM_400000_NS6detail17trampoline_kernelINS0_14default_configENS1_25partition_config_selectorILNS1_17partition_subalgoE5EyNS0_10empty_typeEbEEZZNS1_14partition_implILS5_5ELb0ES3_mN6thrust23THRUST_200600_302600_NS6detail15normal_iteratorINSA_10device_ptrIyEEEEPS6_NSA_18transform_iteratorINSB_9not_fun_tINSA_8identityIyEEEESF_NSA_11use_defaultESM_EENS0_5tupleIJSF_S6_EEENSO_IJSG_SG_EEES6_PlJS6_EEE10hipError_tPvRmT3_T4_T5_T6_T7_T9_mT8_P12ihipStream_tbDpT10_ENKUlT_T0_E_clISt17integral_constantIbLb0EES1B_EEDaS16_S17_EUlS16_E_NS1_11comp_targetILNS1_3genE8ELNS1_11target_archE1030ELNS1_3gpuE2ELNS1_3repE0EEENS1_30default_config_static_selectorELNS0_4arch9wavefront6targetE0EEEvT1_
	.globl	_ZN7rocprim17ROCPRIM_400000_NS6detail17trampoline_kernelINS0_14default_configENS1_25partition_config_selectorILNS1_17partition_subalgoE5EyNS0_10empty_typeEbEEZZNS1_14partition_implILS5_5ELb0ES3_mN6thrust23THRUST_200600_302600_NS6detail15normal_iteratorINSA_10device_ptrIyEEEEPS6_NSA_18transform_iteratorINSB_9not_fun_tINSA_8identityIyEEEESF_NSA_11use_defaultESM_EENS0_5tupleIJSF_S6_EEENSO_IJSG_SG_EEES6_PlJS6_EEE10hipError_tPvRmT3_T4_T5_T6_T7_T9_mT8_P12ihipStream_tbDpT10_ENKUlT_T0_E_clISt17integral_constantIbLb0EES1B_EEDaS16_S17_EUlS16_E_NS1_11comp_targetILNS1_3genE8ELNS1_11target_archE1030ELNS1_3gpuE2ELNS1_3repE0EEENS1_30default_config_static_selectorELNS0_4arch9wavefront6targetE0EEEvT1_
	.p2align	8
	.type	_ZN7rocprim17ROCPRIM_400000_NS6detail17trampoline_kernelINS0_14default_configENS1_25partition_config_selectorILNS1_17partition_subalgoE5EyNS0_10empty_typeEbEEZZNS1_14partition_implILS5_5ELb0ES3_mN6thrust23THRUST_200600_302600_NS6detail15normal_iteratorINSA_10device_ptrIyEEEEPS6_NSA_18transform_iteratorINSB_9not_fun_tINSA_8identityIyEEEESF_NSA_11use_defaultESM_EENS0_5tupleIJSF_S6_EEENSO_IJSG_SG_EEES6_PlJS6_EEE10hipError_tPvRmT3_T4_T5_T6_T7_T9_mT8_P12ihipStream_tbDpT10_ENKUlT_T0_E_clISt17integral_constantIbLb0EES1B_EEDaS16_S17_EUlS16_E_NS1_11comp_targetILNS1_3genE8ELNS1_11target_archE1030ELNS1_3gpuE2ELNS1_3repE0EEENS1_30default_config_static_selectorELNS0_4arch9wavefront6targetE0EEEvT1_,@function
_ZN7rocprim17ROCPRIM_400000_NS6detail17trampoline_kernelINS0_14default_configENS1_25partition_config_selectorILNS1_17partition_subalgoE5EyNS0_10empty_typeEbEEZZNS1_14partition_implILS5_5ELb0ES3_mN6thrust23THRUST_200600_302600_NS6detail15normal_iteratorINSA_10device_ptrIyEEEEPS6_NSA_18transform_iteratorINSB_9not_fun_tINSA_8identityIyEEEESF_NSA_11use_defaultESM_EENS0_5tupleIJSF_S6_EEENSO_IJSG_SG_EEES6_PlJS6_EEE10hipError_tPvRmT3_T4_T5_T6_T7_T9_mT8_P12ihipStream_tbDpT10_ENKUlT_T0_E_clISt17integral_constantIbLb0EES1B_EEDaS16_S17_EUlS16_E_NS1_11comp_targetILNS1_3genE8ELNS1_11target_archE1030ELNS1_3gpuE2ELNS1_3repE0EEENS1_30default_config_static_selectorELNS0_4arch9wavefront6targetE0EEEvT1_: ; @_ZN7rocprim17ROCPRIM_400000_NS6detail17trampoline_kernelINS0_14default_configENS1_25partition_config_selectorILNS1_17partition_subalgoE5EyNS0_10empty_typeEbEEZZNS1_14partition_implILS5_5ELb0ES3_mN6thrust23THRUST_200600_302600_NS6detail15normal_iteratorINSA_10device_ptrIyEEEEPS6_NSA_18transform_iteratorINSB_9not_fun_tINSA_8identityIyEEEESF_NSA_11use_defaultESM_EENS0_5tupleIJSF_S6_EEENSO_IJSG_SG_EEES6_PlJS6_EEE10hipError_tPvRmT3_T4_T5_T6_T7_T9_mT8_P12ihipStream_tbDpT10_ENKUlT_T0_E_clISt17integral_constantIbLb0EES1B_EEDaS16_S17_EUlS16_E_NS1_11comp_targetILNS1_3genE8ELNS1_11target_archE1030ELNS1_3gpuE2ELNS1_3repE0EEENS1_30default_config_static_selectorELNS0_4arch9wavefront6targetE0EEEvT1_
; %bb.0:
	.section	.rodata,"a",@progbits
	.p2align	6, 0x0
	.amdhsa_kernel _ZN7rocprim17ROCPRIM_400000_NS6detail17trampoline_kernelINS0_14default_configENS1_25partition_config_selectorILNS1_17partition_subalgoE5EyNS0_10empty_typeEbEEZZNS1_14partition_implILS5_5ELb0ES3_mN6thrust23THRUST_200600_302600_NS6detail15normal_iteratorINSA_10device_ptrIyEEEEPS6_NSA_18transform_iteratorINSB_9not_fun_tINSA_8identityIyEEEESF_NSA_11use_defaultESM_EENS0_5tupleIJSF_S6_EEENSO_IJSG_SG_EEES6_PlJS6_EEE10hipError_tPvRmT3_T4_T5_T6_T7_T9_mT8_P12ihipStream_tbDpT10_ENKUlT_T0_E_clISt17integral_constantIbLb0EES1B_EEDaS16_S17_EUlS16_E_NS1_11comp_targetILNS1_3genE8ELNS1_11target_archE1030ELNS1_3gpuE2ELNS1_3repE0EEENS1_30default_config_static_selectorELNS0_4arch9wavefront6targetE0EEEvT1_
		.amdhsa_group_segment_fixed_size 0
		.amdhsa_private_segment_fixed_size 0
		.amdhsa_kernarg_size 120
		.amdhsa_user_sgpr_count 2
		.amdhsa_user_sgpr_dispatch_ptr 0
		.amdhsa_user_sgpr_queue_ptr 0
		.amdhsa_user_sgpr_kernarg_segment_ptr 1
		.amdhsa_user_sgpr_dispatch_id 0
		.amdhsa_user_sgpr_private_segment_size 0
		.amdhsa_wavefront_size32 1
		.amdhsa_uses_dynamic_stack 0
		.amdhsa_enable_private_segment 0
		.amdhsa_system_sgpr_workgroup_id_x 1
		.amdhsa_system_sgpr_workgroup_id_y 0
		.amdhsa_system_sgpr_workgroup_id_z 0
		.amdhsa_system_sgpr_workgroup_info 0
		.amdhsa_system_vgpr_workitem_id 0
		.amdhsa_next_free_vgpr 1
		.amdhsa_next_free_sgpr 1
		.amdhsa_reserve_vcc 0
		.amdhsa_float_round_mode_32 0
		.amdhsa_float_round_mode_16_64 0
		.amdhsa_float_denorm_mode_32 3
		.amdhsa_float_denorm_mode_16_64 3
		.amdhsa_fp16_overflow 0
		.amdhsa_workgroup_processor_mode 1
		.amdhsa_memory_ordered 1
		.amdhsa_forward_progress 1
		.amdhsa_inst_pref_size 0
		.amdhsa_round_robin_scheduling 0
		.amdhsa_exception_fp_ieee_invalid_op 0
		.amdhsa_exception_fp_denorm_src 0
		.amdhsa_exception_fp_ieee_div_zero 0
		.amdhsa_exception_fp_ieee_overflow 0
		.amdhsa_exception_fp_ieee_underflow 0
		.amdhsa_exception_fp_ieee_inexact 0
		.amdhsa_exception_int_div_zero 0
	.end_amdhsa_kernel
	.section	.text._ZN7rocprim17ROCPRIM_400000_NS6detail17trampoline_kernelINS0_14default_configENS1_25partition_config_selectorILNS1_17partition_subalgoE5EyNS0_10empty_typeEbEEZZNS1_14partition_implILS5_5ELb0ES3_mN6thrust23THRUST_200600_302600_NS6detail15normal_iteratorINSA_10device_ptrIyEEEEPS6_NSA_18transform_iteratorINSB_9not_fun_tINSA_8identityIyEEEESF_NSA_11use_defaultESM_EENS0_5tupleIJSF_S6_EEENSO_IJSG_SG_EEES6_PlJS6_EEE10hipError_tPvRmT3_T4_T5_T6_T7_T9_mT8_P12ihipStream_tbDpT10_ENKUlT_T0_E_clISt17integral_constantIbLb0EES1B_EEDaS16_S17_EUlS16_E_NS1_11comp_targetILNS1_3genE8ELNS1_11target_archE1030ELNS1_3gpuE2ELNS1_3repE0EEENS1_30default_config_static_selectorELNS0_4arch9wavefront6targetE0EEEvT1_,"axG",@progbits,_ZN7rocprim17ROCPRIM_400000_NS6detail17trampoline_kernelINS0_14default_configENS1_25partition_config_selectorILNS1_17partition_subalgoE5EyNS0_10empty_typeEbEEZZNS1_14partition_implILS5_5ELb0ES3_mN6thrust23THRUST_200600_302600_NS6detail15normal_iteratorINSA_10device_ptrIyEEEEPS6_NSA_18transform_iteratorINSB_9not_fun_tINSA_8identityIyEEEESF_NSA_11use_defaultESM_EENS0_5tupleIJSF_S6_EEENSO_IJSG_SG_EEES6_PlJS6_EEE10hipError_tPvRmT3_T4_T5_T6_T7_T9_mT8_P12ihipStream_tbDpT10_ENKUlT_T0_E_clISt17integral_constantIbLb0EES1B_EEDaS16_S17_EUlS16_E_NS1_11comp_targetILNS1_3genE8ELNS1_11target_archE1030ELNS1_3gpuE2ELNS1_3repE0EEENS1_30default_config_static_selectorELNS0_4arch9wavefront6targetE0EEEvT1_,comdat
.Lfunc_end860:
	.size	_ZN7rocprim17ROCPRIM_400000_NS6detail17trampoline_kernelINS0_14default_configENS1_25partition_config_selectorILNS1_17partition_subalgoE5EyNS0_10empty_typeEbEEZZNS1_14partition_implILS5_5ELb0ES3_mN6thrust23THRUST_200600_302600_NS6detail15normal_iteratorINSA_10device_ptrIyEEEEPS6_NSA_18transform_iteratorINSB_9not_fun_tINSA_8identityIyEEEESF_NSA_11use_defaultESM_EENS0_5tupleIJSF_S6_EEENSO_IJSG_SG_EEES6_PlJS6_EEE10hipError_tPvRmT3_T4_T5_T6_T7_T9_mT8_P12ihipStream_tbDpT10_ENKUlT_T0_E_clISt17integral_constantIbLb0EES1B_EEDaS16_S17_EUlS16_E_NS1_11comp_targetILNS1_3genE8ELNS1_11target_archE1030ELNS1_3gpuE2ELNS1_3repE0EEENS1_30default_config_static_selectorELNS0_4arch9wavefront6targetE0EEEvT1_, .Lfunc_end860-_ZN7rocprim17ROCPRIM_400000_NS6detail17trampoline_kernelINS0_14default_configENS1_25partition_config_selectorILNS1_17partition_subalgoE5EyNS0_10empty_typeEbEEZZNS1_14partition_implILS5_5ELb0ES3_mN6thrust23THRUST_200600_302600_NS6detail15normal_iteratorINSA_10device_ptrIyEEEEPS6_NSA_18transform_iteratorINSB_9not_fun_tINSA_8identityIyEEEESF_NSA_11use_defaultESM_EENS0_5tupleIJSF_S6_EEENSO_IJSG_SG_EEES6_PlJS6_EEE10hipError_tPvRmT3_T4_T5_T6_T7_T9_mT8_P12ihipStream_tbDpT10_ENKUlT_T0_E_clISt17integral_constantIbLb0EES1B_EEDaS16_S17_EUlS16_E_NS1_11comp_targetILNS1_3genE8ELNS1_11target_archE1030ELNS1_3gpuE2ELNS1_3repE0EEENS1_30default_config_static_selectorELNS0_4arch9wavefront6targetE0EEEvT1_
                                        ; -- End function
	.set _ZN7rocprim17ROCPRIM_400000_NS6detail17trampoline_kernelINS0_14default_configENS1_25partition_config_selectorILNS1_17partition_subalgoE5EyNS0_10empty_typeEbEEZZNS1_14partition_implILS5_5ELb0ES3_mN6thrust23THRUST_200600_302600_NS6detail15normal_iteratorINSA_10device_ptrIyEEEEPS6_NSA_18transform_iteratorINSB_9not_fun_tINSA_8identityIyEEEESF_NSA_11use_defaultESM_EENS0_5tupleIJSF_S6_EEENSO_IJSG_SG_EEES6_PlJS6_EEE10hipError_tPvRmT3_T4_T5_T6_T7_T9_mT8_P12ihipStream_tbDpT10_ENKUlT_T0_E_clISt17integral_constantIbLb0EES1B_EEDaS16_S17_EUlS16_E_NS1_11comp_targetILNS1_3genE8ELNS1_11target_archE1030ELNS1_3gpuE2ELNS1_3repE0EEENS1_30default_config_static_selectorELNS0_4arch9wavefront6targetE0EEEvT1_.num_vgpr, 0
	.set _ZN7rocprim17ROCPRIM_400000_NS6detail17trampoline_kernelINS0_14default_configENS1_25partition_config_selectorILNS1_17partition_subalgoE5EyNS0_10empty_typeEbEEZZNS1_14partition_implILS5_5ELb0ES3_mN6thrust23THRUST_200600_302600_NS6detail15normal_iteratorINSA_10device_ptrIyEEEEPS6_NSA_18transform_iteratorINSB_9not_fun_tINSA_8identityIyEEEESF_NSA_11use_defaultESM_EENS0_5tupleIJSF_S6_EEENSO_IJSG_SG_EEES6_PlJS6_EEE10hipError_tPvRmT3_T4_T5_T6_T7_T9_mT8_P12ihipStream_tbDpT10_ENKUlT_T0_E_clISt17integral_constantIbLb0EES1B_EEDaS16_S17_EUlS16_E_NS1_11comp_targetILNS1_3genE8ELNS1_11target_archE1030ELNS1_3gpuE2ELNS1_3repE0EEENS1_30default_config_static_selectorELNS0_4arch9wavefront6targetE0EEEvT1_.num_agpr, 0
	.set _ZN7rocprim17ROCPRIM_400000_NS6detail17trampoline_kernelINS0_14default_configENS1_25partition_config_selectorILNS1_17partition_subalgoE5EyNS0_10empty_typeEbEEZZNS1_14partition_implILS5_5ELb0ES3_mN6thrust23THRUST_200600_302600_NS6detail15normal_iteratorINSA_10device_ptrIyEEEEPS6_NSA_18transform_iteratorINSB_9not_fun_tINSA_8identityIyEEEESF_NSA_11use_defaultESM_EENS0_5tupleIJSF_S6_EEENSO_IJSG_SG_EEES6_PlJS6_EEE10hipError_tPvRmT3_T4_T5_T6_T7_T9_mT8_P12ihipStream_tbDpT10_ENKUlT_T0_E_clISt17integral_constantIbLb0EES1B_EEDaS16_S17_EUlS16_E_NS1_11comp_targetILNS1_3genE8ELNS1_11target_archE1030ELNS1_3gpuE2ELNS1_3repE0EEENS1_30default_config_static_selectorELNS0_4arch9wavefront6targetE0EEEvT1_.numbered_sgpr, 0
	.set _ZN7rocprim17ROCPRIM_400000_NS6detail17trampoline_kernelINS0_14default_configENS1_25partition_config_selectorILNS1_17partition_subalgoE5EyNS0_10empty_typeEbEEZZNS1_14partition_implILS5_5ELb0ES3_mN6thrust23THRUST_200600_302600_NS6detail15normal_iteratorINSA_10device_ptrIyEEEEPS6_NSA_18transform_iteratorINSB_9not_fun_tINSA_8identityIyEEEESF_NSA_11use_defaultESM_EENS0_5tupleIJSF_S6_EEENSO_IJSG_SG_EEES6_PlJS6_EEE10hipError_tPvRmT3_T4_T5_T6_T7_T9_mT8_P12ihipStream_tbDpT10_ENKUlT_T0_E_clISt17integral_constantIbLb0EES1B_EEDaS16_S17_EUlS16_E_NS1_11comp_targetILNS1_3genE8ELNS1_11target_archE1030ELNS1_3gpuE2ELNS1_3repE0EEENS1_30default_config_static_selectorELNS0_4arch9wavefront6targetE0EEEvT1_.num_named_barrier, 0
	.set _ZN7rocprim17ROCPRIM_400000_NS6detail17trampoline_kernelINS0_14default_configENS1_25partition_config_selectorILNS1_17partition_subalgoE5EyNS0_10empty_typeEbEEZZNS1_14partition_implILS5_5ELb0ES3_mN6thrust23THRUST_200600_302600_NS6detail15normal_iteratorINSA_10device_ptrIyEEEEPS6_NSA_18transform_iteratorINSB_9not_fun_tINSA_8identityIyEEEESF_NSA_11use_defaultESM_EENS0_5tupleIJSF_S6_EEENSO_IJSG_SG_EEES6_PlJS6_EEE10hipError_tPvRmT3_T4_T5_T6_T7_T9_mT8_P12ihipStream_tbDpT10_ENKUlT_T0_E_clISt17integral_constantIbLb0EES1B_EEDaS16_S17_EUlS16_E_NS1_11comp_targetILNS1_3genE8ELNS1_11target_archE1030ELNS1_3gpuE2ELNS1_3repE0EEENS1_30default_config_static_selectorELNS0_4arch9wavefront6targetE0EEEvT1_.private_seg_size, 0
	.set _ZN7rocprim17ROCPRIM_400000_NS6detail17trampoline_kernelINS0_14default_configENS1_25partition_config_selectorILNS1_17partition_subalgoE5EyNS0_10empty_typeEbEEZZNS1_14partition_implILS5_5ELb0ES3_mN6thrust23THRUST_200600_302600_NS6detail15normal_iteratorINSA_10device_ptrIyEEEEPS6_NSA_18transform_iteratorINSB_9not_fun_tINSA_8identityIyEEEESF_NSA_11use_defaultESM_EENS0_5tupleIJSF_S6_EEENSO_IJSG_SG_EEES6_PlJS6_EEE10hipError_tPvRmT3_T4_T5_T6_T7_T9_mT8_P12ihipStream_tbDpT10_ENKUlT_T0_E_clISt17integral_constantIbLb0EES1B_EEDaS16_S17_EUlS16_E_NS1_11comp_targetILNS1_3genE8ELNS1_11target_archE1030ELNS1_3gpuE2ELNS1_3repE0EEENS1_30default_config_static_selectorELNS0_4arch9wavefront6targetE0EEEvT1_.uses_vcc, 0
	.set _ZN7rocprim17ROCPRIM_400000_NS6detail17trampoline_kernelINS0_14default_configENS1_25partition_config_selectorILNS1_17partition_subalgoE5EyNS0_10empty_typeEbEEZZNS1_14partition_implILS5_5ELb0ES3_mN6thrust23THRUST_200600_302600_NS6detail15normal_iteratorINSA_10device_ptrIyEEEEPS6_NSA_18transform_iteratorINSB_9not_fun_tINSA_8identityIyEEEESF_NSA_11use_defaultESM_EENS0_5tupleIJSF_S6_EEENSO_IJSG_SG_EEES6_PlJS6_EEE10hipError_tPvRmT3_T4_T5_T6_T7_T9_mT8_P12ihipStream_tbDpT10_ENKUlT_T0_E_clISt17integral_constantIbLb0EES1B_EEDaS16_S17_EUlS16_E_NS1_11comp_targetILNS1_3genE8ELNS1_11target_archE1030ELNS1_3gpuE2ELNS1_3repE0EEENS1_30default_config_static_selectorELNS0_4arch9wavefront6targetE0EEEvT1_.uses_flat_scratch, 0
	.set _ZN7rocprim17ROCPRIM_400000_NS6detail17trampoline_kernelINS0_14default_configENS1_25partition_config_selectorILNS1_17partition_subalgoE5EyNS0_10empty_typeEbEEZZNS1_14partition_implILS5_5ELb0ES3_mN6thrust23THRUST_200600_302600_NS6detail15normal_iteratorINSA_10device_ptrIyEEEEPS6_NSA_18transform_iteratorINSB_9not_fun_tINSA_8identityIyEEEESF_NSA_11use_defaultESM_EENS0_5tupleIJSF_S6_EEENSO_IJSG_SG_EEES6_PlJS6_EEE10hipError_tPvRmT3_T4_T5_T6_T7_T9_mT8_P12ihipStream_tbDpT10_ENKUlT_T0_E_clISt17integral_constantIbLb0EES1B_EEDaS16_S17_EUlS16_E_NS1_11comp_targetILNS1_3genE8ELNS1_11target_archE1030ELNS1_3gpuE2ELNS1_3repE0EEENS1_30default_config_static_selectorELNS0_4arch9wavefront6targetE0EEEvT1_.has_dyn_sized_stack, 0
	.set _ZN7rocprim17ROCPRIM_400000_NS6detail17trampoline_kernelINS0_14default_configENS1_25partition_config_selectorILNS1_17partition_subalgoE5EyNS0_10empty_typeEbEEZZNS1_14partition_implILS5_5ELb0ES3_mN6thrust23THRUST_200600_302600_NS6detail15normal_iteratorINSA_10device_ptrIyEEEEPS6_NSA_18transform_iteratorINSB_9not_fun_tINSA_8identityIyEEEESF_NSA_11use_defaultESM_EENS0_5tupleIJSF_S6_EEENSO_IJSG_SG_EEES6_PlJS6_EEE10hipError_tPvRmT3_T4_T5_T6_T7_T9_mT8_P12ihipStream_tbDpT10_ENKUlT_T0_E_clISt17integral_constantIbLb0EES1B_EEDaS16_S17_EUlS16_E_NS1_11comp_targetILNS1_3genE8ELNS1_11target_archE1030ELNS1_3gpuE2ELNS1_3repE0EEENS1_30default_config_static_selectorELNS0_4arch9wavefront6targetE0EEEvT1_.has_recursion, 0
	.set _ZN7rocprim17ROCPRIM_400000_NS6detail17trampoline_kernelINS0_14default_configENS1_25partition_config_selectorILNS1_17partition_subalgoE5EyNS0_10empty_typeEbEEZZNS1_14partition_implILS5_5ELb0ES3_mN6thrust23THRUST_200600_302600_NS6detail15normal_iteratorINSA_10device_ptrIyEEEEPS6_NSA_18transform_iteratorINSB_9not_fun_tINSA_8identityIyEEEESF_NSA_11use_defaultESM_EENS0_5tupleIJSF_S6_EEENSO_IJSG_SG_EEES6_PlJS6_EEE10hipError_tPvRmT3_T4_T5_T6_T7_T9_mT8_P12ihipStream_tbDpT10_ENKUlT_T0_E_clISt17integral_constantIbLb0EES1B_EEDaS16_S17_EUlS16_E_NS1_11comp_targetILNS1_3genE8ELNS1_11target_archE1030ELNS1_3gpuE2ELNS1_3repE0EEENS1_30default_config_static_selectorELNS0_4arch9wavefront6targetE0EEEvT1_.has_indirect_call, 0
	.section	.AMDGPU.csdata,"",@progbits
; Kernel info:
; codeLenInByte = 0
; TotalNumSgprs: 0
; NumVgprs: 0
; ScratchSize: 0
; MemoryBound: 0
; FloatMode: 240
; IeeeMode: 1
; LDSByteSize: 0 bytes/workgroup (compile time only)
; SGPRBlocks: 0
; VGPRBlocks: 0
; NumSGPRsForWavesPerEU: 1
; NumVGPRsForWavesPerEU: 1
; Occupancy: 16
; WaveLimiterHint : 0
; COMPUTE_PGM_RSRC2:SCRATCH_EN: 0
; COMPUTE_PGM_RSRC2:USER_SGPR: 2
; COMPUTE_PGM_RSRC2:TRAP_HANDLER: 0
; COMPUTE_PGM_RSRC2:TGID_X_EN: 1
; COMPUTE_PGM_RSRC2:TGID_Y_EN: 0
; COMPUTE_PGM_RSRC2:TGID_Z_EN: 0
; COMPUTE_PGM_RSRC2:TIDIG_COMP_CNT: 0
	.section	.text._ZN7rocprim17ROCPRIM_400000_NS6detail17trampoline_kernelINS0_14default_configENS1_25partition_config_selectorILNS1_17partition_subalgoE5EyNS0_10empty_typeEbEEZZNS1_14partition_implILS5_5ELb0ES3_mN6thrust23THRUST_200600_302600_NS6detail15normal_iteratorINSA_10device_ptrIyEEEEPS6_NSA_18transform_iteratorINSB_9not_fun_tINSA_8identityIyEEEESF_NSA_11use_defaultESM_EENS0_5tupleIJSF_S6_EEENSO_IJSG_SG_EEES6_PlJS6_EEE10hipError_tPvRmT3_T4_T5_T6_T7_T9_mT8_P12ihipStream_tbDpT10_ENKUlT_T0_E_clISt17integral_constantIbLb1EES1B_EEDaS16_S17_EUlS16_E_NS1_11comp_targetILNS1_3genE0ELNS1_11target_archE4294967295ELNS1_3gpuE0ELNS1_3repE0EEENS1_30default_config_static_selectorELNS0_4arch9wavefront6targetE0EEEvT1_,"axG",@progbits,_ZN7rocprim17ROCPRIM_400000_NS6detail17trampoline_kernelINS0_14default_configENS1_25partition_config_selectorILNS1_17partition_subalgoE5EyNS0_10empty_typeEbEEZZNS1_14partition_implILS5_5ELb0ES3_mN6thrust23THRUST_200600_302600_NS6detail15normal_iteratorINSA_10device_ptrIyEEEEPS6_NSA_18transform_iteratorINSB_9not_fun_tINSA_8identityIyEEEESF_NSA_11use_defaultESM_EENS0_5tupleIJSF_S6_EEENSO_IJSG_SG_EEES6_PlJS6_EEE10hipError_tPvRmT3_T4_T5_T6_T7_T9_mT8_P12ihipStream_tbDpT10_ENKUlT_T0_E_clISt17integral_constantIbLb1EES1B_EEDaS16_S17_EUlS16_E_NS1_11comp_targetILNS1_3genE0ELNS1_11target_archE4294967295ELNS1_3gpuE0ELNS1_3repE0EEENS1_30default_config_static_selectorELNS0_4arch9wavefront6targetE0EEEvT1_,comdat
	.protected	_ZN7rocprim17ROCPRIM_400000_NS6detail17trampoline_kernelINS0_14default_configENS1_25partition_config_selectorILNS1_17partition_subalgoE5EyNS0_10empty_typeEbEEZZNS1_14partition_implILS5_5ELb0ES3_mN6thrust23THRUST_200600_302600_NS6detail15normal_iteratorINSA_10device_ptrIyEEEEPS6_NSA_18transform_iteratorINSB_9not_fun_tINSA_8identityIyEEEESF_NSA_11use_defaultESM_EENS0_5tupleIJSF_S6_EEENSO_IJSG_SG_EEES6_PlJS6_EEE10hipError_tPvRmT3_T4_T5_T6_T7_T9_mT8_P12ihipStream_tbDpT10_ENKUlT_T0_E_clISt17integral_constantIbLb1EES1B_EEDaS16_S17_EUlS16_E_NS1_11comp_targetILNS1_3genE0ELNS1_11target_archE4294967295ELNS1_3gpuE0ELNS1_3repE0EEENS1_30default_config_static_selectorELNS0_4arch9wavefront6targetE0EEEvT1_ ; -- Begin function _ZN7rocprim17ROCPRIM_400000_NS6detail17trampoline_kernelINS0_14default_configENS1_25partition_config_selectorILNS1_17partition_subalgoE5EyNS0_10empty_typeEbEEZZNS1_14partition_implILS5_5ELb0ES3_mN6thrust23THRUST_200600_302600_NS6detail15normal_iteratorINSA_10device_ptrIyEEEEPS6_NSA_18transform_iteratorINSB_9not_fun_tINSA_8identityIyEEEESF_NSA_11use_defaultESM_EENS0_5tupleIJSF_S6_EEENSO_IJSG_SG_EEES6_PlJS6_EEE10hipError_tPvRmT3_T4_T5_T6_T7_T9_mT8_P12ihipStream_tbDpT10_ENKUlT_T0_E_clISt17integral_constantIbLb1EES1B_EEDaS16_S17_EUlS16_E_NS1_11comp_targetILNS1_3genE0ELNS1_11target_archE4294967295ELNS1_3gpuE0ELNS1_3repE0EEENS1_30default_config_static_selectorELNS0_4arch9wavefront6targetE0EEEvT1_
	.globl	_ZN7rocprim17ROCPRIM_400000_NS6detail17trampoline_kernelINS0_14default_configENS1_25partition_config_selectorILNS1_17partition_subalgoE5EyNS0_10empty_typeEbEEZZNS1_14partition_implILS5_5ELb0ES3_mN6thrust23THRUST_200600_302600_NS6detail15normal_iteratorINSA_10device_ptrIyEEEEPS6_NSA_18transform_iteratorINSB_9not_fun_tINSA_8identityIyEEEESF_NSA_11use_defaultESM_EENS0_5tupleIJSF_S6_EEENSO_IJSG_SG_EEES6_PlJS6_EEE10hipError_tPvRmT3_T4_T5_T6_T7_T9_mT8_P12ihipStream_tbDpT10_ENKUlT_T0_E_clISt17integral_constantIbLb1EES1B_EEDaS16_S17_EUlS16_E_NS1_11comp_targetILNS1_3genE0ELNS1_11target_archE4294967295ELNS1_3gpuE0ELNS1_3repE0EEENS1_30default_config_static_selectorELNS0_4arch9wavefront6targetE0EEEvT1_
	.p2align	8
	.type	_ZN7rocprim17ROCPRIM_400000_NS6detail17trampoline_kernelINS0_14default_configENS1_25partition_config_selectorILNS1_17partition_subalgoE5EyNS0_10empty_typeEbEEZZNS1_14partition_implILS5_5ELb0ES3_mN6thrust23THRUST_200600_302600_NS6detail15normal_iteratorINSA_10device_ptrIyEEEEPS6_NSA_18transform_iteratorINSB_9not_fun_tINSA_8identityIyEEEESF_NSA_11use_defaultESM_EENS0_5tupleIJSF_S6_EEENSO_IJSG_SG_EEES6_PlJS6_EEE10hipError_tPvRmT3_T4_T5_T6_T7_T9_mT8_P12ihipStream_tbDpT10_ENKUlT_T0_E_clISt17integral_constantIbLb1EES1B_EEDaS16_S17_EUlS16_E_NS1_11comp_targetILNS1_3genE0ELNS1_11target_archE4294967295ELNS1_3gpuE0ELNS1_3repE0EEENS1_30default_config_static_selectorELNS0_4arch9wavefront6targetE0EEEvT1_,@function
_ZN7rocprim17ROCPRIM_400000_NS6detail17trampoline_kernelINS0_14default_configENS1_25partition_config_selectorILNS1_17partition_subalgoE5EyNS0_10empty_typeEbEEZZNS1_14partition_implILS5_5ELb0ES3_mN6thrust23THRUST_200600_302600_NS6detail15normal_iteratorINSA_10device_ptrIyEEEEPS6_NSA_18transform_iteratorINSB_9not_fun_tINSA_8identityIyEEEESF_NSA_11use_defaultESM_EENS0_5tupleIJSF_S6_EEENSO_IJSG_SG_EEES6_PlJS6_EEE10hipError_tPvRmT3_T4_T5_T6_T7_T9_mT8_P12ihipStream_tbDpT10_ENKUlT_T0_E_clISt17integral_constantIbLb1EES1B_EEDaS16_S17_EUlS16_E_NS1_11comp_targetILNS1_3genE0ELNS1_11target_archE4294967295ELNS1_3gpuE0ELNS1_3repE0EEENS1_30default_config_static_selectorELNS0_4arch9wavefront6targetE0EEEvT1_: ; @_ZN7rocprim17ROCPRIM_400000_NS6detail17trampoline_kernelINS0_14default_configENS1_25partition_config_selectorILNS1_17partition_subalgoE5EyNS0_10empty_typeEbEEZZNS1_14partition_implILS5_5ELb0ES3_mN6thrust23THRUST_200600_302600_NS6detail15normal_iteratorINSA_10device_ptrIyEEEEPS6_NSA_18transform_iteratorINSB_9not_fun_tINSA_8identityIyEEEESF_NSA_11use_defaultESM_EENS0_5tupleIJSF_S6_EEENSO_IJSG_SG_EEES6_PlJS6_EEE10hipError_tPvRmT3_T4_T5_T6_T7_T9_mT8_P12ihipStream_tbDpT10_ENKUlT_T0_E_clISt17integral_constantIbLb1EES1B_EEDaS16_S17_EUlS16_E_NS1_11comp_targetILNS1_3genE0ELNS1_11target_archE4294967295ELNS1_3gpuE0ELNS1_3repE0EEENS1_30default_config_static_selectorELNS0_4arch9wavefront6targetE0EEEvT1_
; %bb.0:
	.section	.rodata,"a",@progbits
	.p2align	6, 0x0
	.amdhsa_kernel _ZN7rocprim17ROCPRIM_400000_NS6detail17trampoline_kernelINS0_14default_configENS1_25partition_config_selectorILNS1_17partition_subalgoE5EyNS0_10empty_typeEbEEZZNS1_14partition_implILS5_5ELb0ES3_mN6thrust23THRUST_200600_302600_NS6detail15normal_iteratorINSA_10device_ptrIyEEEEPS6_NSA_18transform_iteratorINSB_9not_fun_tINSA_8identityIyEEEESF_NSA_11use_defaultESM_EENS0_5tupleIJSF_S6_EEENSO_IJSG_SG_EEES6_PlJS6_EEE10hipError_tPvRmT3_T4_T5_T6_T7_T9_mT8_P12ihipStream_tbDpT10_ENKUlT_T0_E_clISt17integral_constantIbLb1EES1B_EEDaS16_S17_EUlS16_E_NS1_11comp_targetILNS1_3genE0ELNS1_11target_archE4294967295ELNS1_3gpuE0ELNS1_3repE0EEENS1_30default_config_static_selectorELNS0_4arch9wavefront6targetE0EEEvT1_
		.amdhsa_group_segment_fixed_size 0
		.amdhsa_private_segment_fixed_size 0
		.amdhsa_kernarg_size 136
		.amdhsa_user_sgpr_count 2
		.amdhsa_user_sgpr_dispatch_ptr 0
		.amdhsa_user_sgpr_queue_ptr 0
		.amdhsa_user_sgpr_kernarg_segment_ptr 1
		.amdhsa_user_sgpr_dispatch_id 0
		.amdhsa_user_sgpr_private_segment_size 0
		.amdhsa_wavefront_size32 1
		.amdhsa_uses_dynamic_stack 0
		.amdhsa_enable_private_segment 0
		.amdhsa_system_sgpr_workgroup_id_x 1
		.amdhsa_system_sgpr_workgroup_id_y 0
		.amdhsa_system_sgpr_workgroup_id_z 0
		.amdhsa_system_sgpr_workgroup_info 0
		.amdhsa_system_vgpr_workitem_id 0
		.amdhsa_next_free_vgpr 1
		.amdhsa_next_free_sgpr 1
		.amdhsa_reserve_vcc 0
		.amdhsa_float_round_mode_32 0
		.amdhsa_float_round_mode_16_64 0
		.amdhsa_float_denorm_mode_32 3
		.amdhsa_float_denorm_mode_16_64 3
		.amdhsa_fp16_overflow 0
		.amdhsa_workgroup_processor_mode 1
		.amdhsa_memory_ordered 1
		.amdhsa_forward_progress 1
		.amdhsa_inst_pref_size 0
		.amdhsa_round_robin_scheduling 0
		.amdhsa_exception_fp_ieee_invalid_op 0
		.amdhsa_exception_fp_denorm_src 0
		.amdhsa_exception_fp_ieee_div_zero 0
		.amdhsa_exception_fp_ieee_overflow 0
		.amdhsa_exception_fp_ieee_underflow 0
		.amdhsa_exception_fp_ieee_inexact 0
		.amdhsa_exception_int_div_zero 0
	.end_amdhsa_kernel
	.section	.text._ZN7rocprim17ROCPRIM_400000_NS6detail17trampoline_kernelINS0_14default_configENS1_25partition_config_selectorILNS1_17partition_subalgoE5EyNS0_10empty_typeEbEEZZNS1_14partition_implILS5_5ELb0ES3_mN6thrust23THRUST_200600_302600_NS6detail15normal_iteratorINSA_10device_ptrIyEEEEPS6_NSA_18transform_iteratorINSB_9not_fun_tINSA_8identityIyEEEESF_NSA_11use_defaultESM_EENS0_5tupleIJSF_S6_EEENSO_IJSG_SG_EEES6_PlJS6_EEE10hipError_tPvRmT3_T4_T5_T6_T7_T9_mT8_P12ihipStream_tbDpT10_ENKUlT_T0_E_clISt17integral_constantIbLb1EES1B_EEDaS16_S17_EUlS16_E_NS1_11comp_targetILNS1_3genE0ELNS1_11target_archE4294967295ELNS1_3gpuE0ELNS1_3repE0EEENS1_30default_config_static_selectorELNS0_4arch9wavefront6targetE0EEEvT1_,"axG",@progbits,_ZN7rocprim17ROCPRIM_400000_NS6detail17trampoline_kernelINS0_14default_configENS1_25partition_config_selectorILNS1_17partition_subalgoE5EyNS0_10empty_typeEbEEZZNS1_14partition_implILS5_5ELb0ES3_mN6thrust23THRUST_200600_302600_NS6detail15normal_iteratorINSA_10device_ptrIyEEEEPS6_NSA_18transform_iteratorINSB_9not_fun_tINSA_8identityIyEEEESF_NSA_11use_defaultESM_EENS0_5tupleIJSF_S6_EEENSO_IJSG_SG_EEES6_PlJS6_EEE10hipError_tPvRmT3_T4_T5_T6_T7_T9_mT8_P12ihipStream_tbDpT10_ENKUlT_T0_E_clISt17integral_constantIbLb1EES1B_EEDaS16_S17_EUlS16_E_NS1_11comp_targetILNS1_3genE0ELNS1_11target_archE4294967295ELNS1_3gpuE0ELNS1_3repE0EEENS1_30default_config_static_selectorELNS0_4arch9wavefront6targetE0EEEvT1_,comdat
.Lfunc_end861:
	.size	_ZN7rocprim17ROCPRIM_400000_NS6detail17trampoline_kernelINS0_14default_configENS1_25partition_config_selectorILNS1_17partition_subalgoE5EyNS0_10empty_typeEbEEZZNS1_14partition_implILS5_5ELb0ES3_mN6thrust23THRUST_200600_302600_NS6detail15normal_iteratorINSA_10device_ptrIyEEEEPS6_NSA_18transform_iteratorINSB_9not_fun_tINSA_8identityIyEEEESF_NSA_11use_defaultESM_EENS0_5tupleIJSF_S6_EEENSO_IJSG_SG_EEES6_PlJS6_EEE10hipError_tPvRmT3_T4_T5_T6_T7_T9_mT8_P12ihipStream_tbDpT10_ENKUlT_T0_E_clISt17integral_constantIbLb1EES1B_EEDaS16_S17_EUlS16_E_NS1_11comp_targetILNS1_3genE0ELNS1_11target_archE4294967295ELNS1_3gpuE0ELNS1_3repE0EEENS1_30default_config_static_selectorELNS0_4arch9wavefront6targetE0EEEvT1_, .Lfunc_end861-_ZN7rocprim17ROCPRIM_400000_NS6detail17trampoline_kernelINS0_14default_configENS1_25partition_config_selectorILNS1_17partition_subalgoE5EyNS0_10empty_typeEbEEZZNS1_14partition_implILS5_5ELb0ES3_mN6thrust23THRUST_200600_302600_NS6detail15normal_iteratorINSA_10device_ptrIyEEEEPS6_NSA_18transform_iteratorINSB_9not_fun_tINSA_8identityIyEEEESF_NSA_11use_defaultESM_EENS0_5tupleIJSF_S6_EEENSO_IJSG_SG_EEES6_PlJS6_EEE10hipError_tPvRmT3_T4_T5_T6_T7_T9_mT8_P12ihipStream_tbDpT10_ENKUlT_T0_E_clISt17integral_constantIbLb1EES1B_EEDaS16_S17_EUlS16_E_NS1_11comp_targetILNS1_3genE0ELNS1_11target_archE4294967295ELNS1_3gpuE0ELNS1_3repE0EEENS1_30default_config_static_selectorELNS0_4arch9wavefront6targetE0EEEvT1_
                                        ; -- End function
	.set _ZN7rocprim17ROCPRIM_400000_NS6detail17trampoline_kernelINS0_14default_configENS1_25partition_config_selectorILNS1_17partition_subalgoE5EyNS0_10empty_typeEbEEZZNS1_14partition_implILS5_5ELb0ES3_mN6thrust23THRUST_200600_302600_NS6detail15normal_iteratorINSA_10device_ptrIyEEEEPS6_NSA_18transform_iteratorINSB_9not_fun_tINSA_8identityIyEEEESF_NSA_11use_defaultESM_EENS0_5tupleIJSF_S6_EEENSO_IJSG_SG_EEES6_PlJS6_EEE10hipError_tPvRmT3_T4_T5_T6_T7_T9_mT8_P12ihipStream_tbDpT10_ENKUlT_T0_E_clISt17integral_constantIbLb1EES1B_EEDaS16_S17_EUlS16_E_NS1_11comp_targetILNS1_3genE0ELNS1_11target_archE4294967295ELNS1_3gpuE0ELNS1_3repE0EEENS1_30default_config_static_selectorELNS0_4arch9wavefront6targetE0EEEvT1_.num_vgpr, 0
	.set _ZN7rocprim17ROCPRIM_400000_NS6detail17trampoline_kernelINS0_14default_configENS1_25partition_config_selectorILNS1_17partition_subalgoE5EyNS0_10empty_typeEbEEZZNS1_14partition_implILS5_5ELb0ES3_mN6thrust23THRUST_200600_302600_NS6detail15normal_iteratorINSA_10device_ptrIyEEEEPS6_NSA_18transform_iteratorINSB_9not_fun_tINSA_8identityIyEEEESF_NSA_11use_defaultESM_EENS0_5tupleIJSF_S6_EEENSO_IJSG_SG_EEES6_PlJS6_EEE10hipError_tPvRmT3_T4_T5_T6_T7_T9_mT8_P12ihipStream_tbDpT10_ENKUlT_T0_E_clISt17integral_constantIbLb1EES1B_EEDaS16_S17_EUlS16_E_NS1_11comp_targetILNS1_3genE0ELNS1_11target_archE4294967295ELNS1_3gpuE0ELNS1_3repE0EEENS1_30default_config_static_selectorELNS0_4arch9wavefront6targetE0EEEvT1_.num_agpr, 0
	.set _ZN7rocprim17ROCPRIM_400000_NS6detail17trampoline_kernelINS0_14default_configENS1_25partition_config_selectorILNS1_17partition_subalgoE5EyNS0_10empty_typeEbEEZZNS1_14partition_implILS5_5ELb0ES3_mN6thrust23THRUST_200600_302600_NS6detail15normal_iteratorINSA_10device_ptrIyEEEEPS6_NSA_18transform_iteratorINSB_9not_fun_tINSA_8identityIyEEEESF_NSA_11use_defaultESM_EENS0_5tupleIJSF_S6_EEENSO_IJSG_SG_EEES6_PlJS6_EEE10hipError_tPvRmT3_T4_T5_T6_T7_T9_mT8_P12ihipStream_tbDpT10_ENKUlT_T0_E_clISt17integral_constantIbLb1EES1B_EEDaS16_S17_EUlS16_E_NS1_11comp_targetILNS1_3genE0ELNS1_11target_archE4294967295ELNS1_3gpuE0ELNS1_3repE0EEENS1_30default_config_static_selectorELNS0_4arch9wavefront6targetE0EEEvT1_.numbered_sgpr, 0
	.set _ZN7rocprim17ROCPRIM_400000_NS6detail17trampoline_kernelINS0_14default_configENS1_25partition_config_selectorILNS1_17partition_subalgoE5EyNS0_10empty_typeEbEEZZNS1_14partition_implILS5_5ELb0ES3_mN6thrust23THRUST_200600_302600_NS6detail15normal_iteratorINSA_10device_ptrIyEEEEPS6_NSA_18transform_iteratorINSB_9not_fun_tINSA_8identityIyEEEESF_NSA_11use_defaultESM_EENS0_5tupleIJSF_S6_EEENSO_IJSG_SG_EEES6_PlJS6_EEE10hipError_tPvRmT3_T4_T5_T6_T7_T9_mT8_P12ihipStream_tbDpT10_ENKUlT_T0_E_clISt17integral_constantIbLb1EES1B_EEDaS16_S17_EUlS16_E_NS1_11comp_targetILNS1_3genE0ELNS1_11target_archE4294967295ELNS1_3gpuE0ELNS1_3repE0EEENS1_30default_config_static_selectorELNS0_4arch9wavefront6targetE0EEEvT1_.num_named_barrier, 0
	.set _ZN7rocprim17ROCPRIM_400000_NS6detail17trampoline_kernelINS0_14default_configENS1_25partition_config_selectorILNS1_17partition_subalgoE5EyNS0_10empty_typeEbEEZZNS1_14partition_implILS5_5ELb0ES3_mN6thrust23THRUST_200600_302600_NS6detail15normal_iteratorINSA_10device_ptrIyEEEEPS6_NSA_18transform_iteratorINSB_9not_fun_tINSA_8identityIyEEEESF_NSA_11use_defaultESM_EENS0_5tupleIJSF_S6_EEENSO_IJSG_SG_EEES6_PlJS6_EEE10hipError_tPvRmT3_T4_T5_T6_T7_T9_mT8_P12ihipStream_tbDpT10_ENKUlT_T0_E_clISt17integral_constantIbLb1EES1B_EEDaS16_S17_EUlS16_E_NS1_11comp_targetILNS1_3genE0ELNS1_11target_archE4294967295ELNS1_3gpuE0ELNS1_3repE0EEENS1_30default_config_static_selectorELNS0_4arch9wavefront6targetE0EEEvT1_.private_seg_size, 0
	.set _ZN7rocprim17ROCPRIM_400000_NS6detail17trampoline_kernelINS0_14default_configENS1_25partition_config_selectorILNS1_17partition_subalgoE5EyNS0_10empty_typeEbEEZZNS1_14partition_implILS5_5ELb0ES3_mN6thrust23THRUST_200600_302600_NS6detail15normal_iteratorINSA_10device_ptrIyEEEEPS6_NSA_18transform_iteratorINSB_9not_fun_tINSA_8identityIyEEEESF_NSA_11use_defaultESM_EENS0_5tupleIJSF_S6_EEENSO_IJSG_SG_EEES6_PlJS6_EEE10hipError_tPvRmT3_T4_T5_T6_T7_T9_mT8_P12ihipStream_tbDpT10_ENKUlT_T0_E_clISt17integral_constantIbLb1EES1B_EEDaS16_S17_EUlS16_E_NS1_11comp_targetILNS1_3genE0ELNS1_11target_archE4294967295ELNS1_3gpuE0ELNS1_3repE0EEENS1_30default_config_static_selectorELNS0_4arch9wavefront6targetE0EEEvT1_.uses_vcc, 0
	.set _ZN7rocprim17ROCPRIM_400000_NS6detail17trampoline_kernelINS0_14default_configENS1_25partition_config_selectorILNS1_17partition_subalgoE5EyNS0_10empty_typeEbEEZZNS1_14partition_implILS5_5ELb0ES3_mN6thrust23THRUST_200600_302600_NS6detail15normal_iteratorINSA_10device_ptrIyEEEEPS6_NSA_18transform_iteratorINSB_9not_fun_tINSA_8identityIyEEEESF_NSA_11use_defaultESM_EENS0_5tupleIJSF_S6_EEENSO_IJSG_SG_EEES6_PlJS6_EEE10hipError_tPvRmT3_T4_T5_T6_T7_T9_mT8_P12ihipStream_tbDpT10_ENKUlT_T0_E_clISt17integral_constantIbLb1EES1B_EEDaS16_S17_EUlS16_E_NS1_11comp_targetILNS1_3genE0ELNS1_11target_archE4294967295ELNS1_3gpuE0ELNS1_3repE0EEENS1_30default_config_static_selectorELNS0_4arch9wavefront6targetE0EEEvT1_.uses_flat_scratch, 0
	.set _ZN7rocprim17ROCPRIM_400000_NS6detail17trampoline_kernelINS0_14default_configENS1_25partition_config_selectorILNS1_17partition_subalgoE5EyNS0_10empty_typeEbEEZZNS1_14partition_implILS5_5ELb0ES3_mN6thrust23THRUST_200600_302600_NS6detail15normal_iteratorINSA_10device_ptrIyEEEEPS6_NSA_18transform_iteratorINSB_9not_fun_tINSA_8identityIyEEEESF_NSA_11use_defaultESM_EENS0_5tupleIJSF_S6_EEENSO_IJSG_SG_EEES6_PlJS6_EEE10hipError_tPvRmT3_T4_T5_T6_T7_T9_mT8_P12ihipStream_tbDpT10_ENKUlT_T0_E_clISt17integral_constantIbLb1EES1B_EEDaS16_S17_EUlS16_E_NS1_11comp_targetILNS1_3genE0ELNS1_11target_archE4294967295ELNS1_3gpuE0ELNS1_3repE0EEENS1_30default_config_static_selectorELNS0_4arch9wavefront6targetE0EEEvT1_.has_dyn_sized_stack, 0
	.set _ZN7rocprim17ROCPRIM_400000_NS6detail17trampoline_kernelINS0_14default_configENS1_25partition_config_selectorILNS1_17partition_subalgoE5EyNS0_10empty_typeEbEEZZNS1_14partition_implILS5_5ELb0ES3_mN6thrust23THRUST_200600_302600_NS6detail15normal_iteratorINSA_10device_ptrIyEEEEPS6_NSA_18transform_iteratorINSB_9not_fun_tINSA_8identityIyEEEESF_NSA_11use_defaultESM_EENS0_5tupleIJSF_S6_EEENSO_IJSG_SG_EEES6_PlJS6_EEE10hipError_tPvRmT3_T4_T5_T6_T7_T9_mT8_P12ihipStream_tbDpT10_ENKUlT_T0_E_clISt17integral_constantIbLb1EES1B_EEDaS16_S17_EUlS16_E_NS1_11comp_targetILNS1_3genE0ELNS1_11target_archE4294967295ELNS1_3gpuE0ELNS1_3repE0EEENS1_30default_config_static_selectorELNS0_4arch9wavefront6targetE0EEEvT1_.has_recursion, 0
	.set _ZN7rocprim17ROCPRIM_400000_NS6detail17trampoline_kernelINS0_14default_configENS1_25partition_config_selectorILNS1_17partition_subalgoE5EyNS0_10empty_typeEbEEZZNS1_14partition_implILS5_5ELb0ES3_mN6thrust23THRUST_200600_302600_NS6detail15normal_iteratorINSA_10device_ptrIyEEEEPS6_NSA_18transform_iteratorINSB_9not_fun_tINSA_8identityIyEEEESF_NSA_11use_defaultESM_EENS0_5tupleIJSF_S6_EEENSO_IJSG_SG_EEES6_PlJS6_EEE10hipError_tPvRmT3_T4_T5_T6_T7_T9_mT8_P12ihipStream_tbDpT10_ENKUlT_T0_E_clISt17integral_constantIbLb1EES1B_EEDaS16_S17_EUlS16_E_NS1_11comp_targetILNS1_3genE0ELNS1_11target_archE4294967295ELNS1_3gpuE0ELNS1_3repE0EEENS1_30default_config_static_selectorELNS0_4arch9wavefront6targetE0EEEvT1_.has_indirect_call, 0
	.section	.AMDGPU.csdata,"",@progbits
; Kernel info:
; codeLenInByte = 0
; TotalNumSgprs: 0
; NumVgprs: 0
; ScratchSize: 0
; MemoryBound: 0
; FloatMode: 240
; IeeeMode: 1
; LDSByteSize: 0 bytes/workgroup (compile time only)
; SGPRBlocks: 0
; VGPRBlocks: 0
; NumSGPRsForWavesPerEU: 1
; NumVGPRsForWavesPerEU: 1
; Occupancy: 16
; WaveLimiterHint : 0
; COMPUTE_PGM_RSRC2:SCRATCH_EN: 0
; COMPUTE_PGM_RSRC2:USER_SGPR: 2
; COMPUTE_PGM_RSRC2:TRAP_HANDLER: 0
; COMPUTE_PGM_RSRC2:TGID_X_EN: 1
; COMPUTE_PGM_RSRC2:TGID_Y_EN: 0
; COMPUTE_PGM_RSRC2:TGID_Z_EN: 0
; COMPUTE_PGM_RSRC2:TIDIG_COMP_CNT: 0
	.section	.text._ZN7rocprim17ROCPRIM_400000_NS6detail17trampoline_kernelINS0_14default_configENS1_25partition_config_selectorILNS1_17partition_subalgoE5EyNS0_10empty_typeEbEEZZNS1_14partition_implILS5_5ELb0ES3_mN6thrust23THRUST_200600_302600_NS6detail15normal_iteratorINSA_10device_ptrIyEEEEPS6_NSA_18transform_iteratorINSB_9not_fun_tINSA_8identityIyEEEESF_NSA_11use_defaultESM_EENS0_5tupleIJSF_S6_EEENSO_IJSG_SG_EEES6_PlJS6_EEE10hipError_tPvRmT3_T4_T5_T6_T7_T9_mT8_P12ihipStream_tbDpT10_ENKUlT_T0_E_clISt17integral_constantIbLb1EES1B_EEDaS16_S17_EUlS16_E_NS1_11comp_targetILNS1_3genE5ELNS1_11target_archE942ELNS1_3gpuE9ELNS1_3repE0EEENS1_30default_config_static_selectorELNS0_4arch9wavefront6targetE0EEEvT1_,"axG",@progbits,_ZN7rocprim17ROCPRIM_400000_NS6detail17trampoline_kernelINS0_14default_configENS1_25partition_config_selectorILNS1_17partition_subalgoE5EyNS0_10empty_typeEbEEZZNS1_14partition_implILS5_5ELb0ES3_mN6thrust23THRUST_200600_302600_NS6detail15normal_iteratorINSA_10device_ptrIyEEEEPS6_NSA_18transform_iteratorINSB_9not_fun_tINSA_8identityIyEEEESF_NSA_11use_defaultESM_EENS0_5tupleIJSF_S6_EEENSO_IJSG_SG_EEES6_PlJS6_EEE10hipError_tPvRmT3_T4_T5_T6_T7_T9_mT8_P12ihipStream_tbDpT10_ENKUlT_T0_E_clISt17integral_constantIbLb1EES1B_EEDaS16_S17_EUlS16_E_NS1_11comp_targetILNS1_3genE5ELNS1_11target_archE942ELNS1_3gpuE9ELNS1_3repE0EEENS1_30default_config_static_selectorELNS0_4arch9wavefront6targetE0EEEvT1_,comdat
	.protected	_ZN7rocprim17ROCPRIM_400000_NS6detail17trampoline_kernelINS0_14default_configENS1_25partition_config_selectorILNS1_17partition_subalgoE5EyNS0_10empty_typeEbEEZZNS1_14partition_implILS5_5ELb0ES3_mN6thrust23THRUST_200600_302600_NS6detail15normal_iteratorINSA_10device_ptrIyEEEEPS6_NSA_18transform_iteratorINSB_9not_fun_tINSA_8identityIyEEEESF_NSA_11use_defaultESM_EENS0_5tupleIJSF_S6_EEENSO_IJSG_SG_EEES6_PlJS6_EEE10hipError_tPvRmT3_T4_T5_T6_T7_T9_mT8_P12ihipStream_tbDpT10_ENKUlT_T0_E_clISt17integral_constantIbLb1EES1B_EEDaS16_S17_EUlS16_E_NS1_11comp_targetILNS1_3genE5ELNS1_11target_archE942ELNS1_3gpuE9ELNS1_3repE0EEENS1_30default_config_static_selectorELNS0_4arch9wavefront6targetE0EEEvT1_ ; -- Begin function _ZN7rocprim17ROCPRIM_400000_NS6detail17trampoline_kernelINS0_14default_configENS1_25partition_config_selectorILNS1_17partition_subalgoE5EyNS0_10empty_typeEbEEZZNS1_14partition_implILS5_5ELb0ES3_mN6thrust23THRUST_200600_302600_NS6detail15normal_iteratorINSA_10device_ptrIyEEEEPS6_NSA_18transform_iteratorINSB_9not_fun_tINSA_8identityIyEEEESF_NSA_11use_defaultESM_EENS0_5tupleIJSF_S6_EEENSO_IJSG_SG_EEES6_PlJS6_EEE10hipError_tPvRmT3_T4_T5_T6_T7_T9_mT8_P12ihipStream_tbDpT10_ENKUlT_T0_E_clISt17integral_constantIbLb1EES1B_EEDaS16_S17_EUlS16_E_NS1_11comp_targetILNS1_3genE5ELNS1_11target_archE942ELNS1_3gpuE9ELNS1_3repE0EEENS1_30default_config_static_selectorELNS0_4arch9wavefront6targetE0EEEvT1_
	.globl	_ZN7rocprim17ROCPRIM_400000_NS6detail17trampoline_kernelINS0_14default_configENS1_25partition_config_selectorILNS1_17partition_subalgoE5EyNS0_10empty_typeEbEEZZNS1_14partition_implILS5_5ELb0ES3_mN6thrust23THRUST_200600_302600_NS6detail15normal_iteratorINSA_10device_ptrIyEEEEPS6_NSA_18transform_iteratorINSB_9not_fun_tINSA_8identityIyEEEESF_NSA_11use_defaultESM_EENS0_5tupleIJSF_S6_EEENSO_IJSG_SG_EEES6_PlJS6_EEE10hipError_tPvRmT3_T4_T5_T6_T7_T9_mT8_P12ihipStream_tbDpT10_ENKUlT_T0_E_clISt17integral_constantIbLb1EES1B_EEDaS16_S17_EUlS16_E_NS1_11comp_targetILNS1_3genE5ELNS1_11target_archE942ELNS1_3gpuE9ELNS1_3repE0EEENS1_30default_config_static_selectorELNS0_4arch9wavefront6targetE0EEEvT1_
	.p2align	8
	.type	_ZN7rocprim17ROCPRIM_400000_NS6detail17trampoline_kernelINS0_14default_configENS1_25partition_config_selectorILNS1_17partition_subalgoE5EyNS0_10empty_typeEbEEZZNS1_14partition_implILS5_5ELb0ES3_mN6thrust23THRUST_200600_302600_NS6detail15normal_iteratorINSA_10device_ptrIyEEEEPS6_NSA_18transform_iteratorINSB_9not_fun_tINSA_8identityIyEEEESF_NSA_11use_defaultESM_EENS0_5tupleIJSF_S6_EEENSO_IJSG_SG_EEES6_PlJS6_EEE10hipError_tPvRmT3_T4_T5_T6_T7_T9_mT8_P12ihipStream_tbDpT10_ENKUlT_T0_E_clISt17integral_constantIbLb1EES1B_EEDaS16_S17_EUlS16_E_NS1_11comp_targetILNS1_3genE5ELNS1_11target_archE942ELNS1_3gpuE9ELNS1_3repE0EEENS1_30default_config_static_selectorELNS0_4arch9wavefront6targetE0EEEvT1_,@function
_ZN7rocprim17ROCPRIM_400000_NS6detail17trampoline_kernelINS0_14default_configENS1_25partition_config_selectorILNS1_17partition_subalgoE5EyNS0_10empty_typeEbEEZZNS1_14partition_implILS5_5ELb0ES3_mN6thrust23THRUST_200600_302600_NS6detail15normal_iteratorINSA_10device_ptrIyEEEEPS6_NSA_18transform_iteratorINSB_9not_fun_tINSA_8identityIyEEEESF_NSA_11use_defaultESM_EENS0_5tupleIJSF_S6_EEENSO_IJSG_SG_EEES6_PlJS6_EEE10hipError_tPvRmT3_T4_T5_T6_T7_T9_mT8_P12ihipStream_tbDpT10_ENKUlT_T0_E_clISt17integral_constantIbLb1EES1B_EEDaS16_S17_EUlS16_E_NS1_11comp_targetILNS1_3genE5ELNS1_11target_archE942ELNS1_3gpuE9ELNS1_3repE0EEENS1_30default_config_static_selectorELNS0_4arch9wavefront6targetE0EEEvT1_: ; @_ZN7rocprim17ROCPRIM_400000_NS6detail17trampoline_kernelINS0_14default_configENS1_25partition_config_selectorILNS1_17partition_subalgoE5EyNS0_10empty_typeEbEEZZNS1_14partition_implILS5_5ELb0ES3_mN6thrust23THRUST_200600_302600_NS6detail15normal_iteratorINSA_10device_ptrIyEEEEPS6_NSA_18transform_iteratorINSB_9not_fun_tINSA_8identityIyEEEESF_NSA_11use_defaultESM_EENS0_5tupleIJSF_S6_EEENSO_IJSG_SG_EEES6_PlJS6_EEE10hipError_tPvRmT3_T4_T5_T6_T7_T9_mT8_P12ihipStream_tbDpT10_ENKUlT_T0_E_clISt17integral_constantIbLb1EES1B_EEDaS16_S17_EUlS16_E_NS1_11comp_targetILNS1_3genE5ELNS1_11target_archE942ELNS1_3gpuE9ELNS1_3repE0EEENS1_30default_config_static_selectorELNS0_4arch9wavefront6targetE0EEEvT1_
; %bb.0:
	.section	.rodata,"a",@progbits
	.p2align	6, 0x0
	.amdhsa_kernel _ZN7rocprim17ROCPRIM_400000_NS6detail17trampoline_kernelINS0_14default_configENS1_25partition_config_selectorILNS1_17partition_subalgoE5EyNS0_10empty_typeEbEEZZNS1_14partition_implILS5_5ELb0ES3_mN6thrust23THRUST_200600_302600_NS6detail15normal_iteratorINSA_10device_ptrIyEEEEPS6_NSA_18transform_iteratorINSB_9not_fun_tINSA_8identityIyEEEESF_NSA_11use_defaultESM_EENS0_5tupleIJSF_S6_EEENSO_IJSG_SG_EEES6_PlJS6_EEE10hipError_tPvRmT3_T4_T5_T6_T7_T9_mT8_P12ihipStream_tbDpT10_ENKUlT_T0_E_clISt17integral_constantIbLb1EES1B_EEDaS16_S17_EUlS16_E_NS1_11comp_targetILNS1_3genE5ELNS1_11target_archE942ELNS1_3gpuE9ELNS1_3repE0EEENS1_30default_config_static_selectorELNS0_4arch9wavefront6targetE0EEEvT1_
		.amdhsa_group_segment_fixed_size 0
		.amdhsa_private_segment_fixed_size 0
		.amdhsa_kernarg_size 136
		.amdhsa_user_sgpr_count 2
		.amdhsa_user_sgpr_dispatch_ptr 0
		.amdhsa_user_sgpr_queue_ptr 0
		.amdhsa_user_sgpr_kernarg_segment_ptr 1
		.amdhsa_user_sgpr_dispatch_id 0
		.amdhsa_user_sgpr_private_segment_size 0
		.amdhsa_wavefront_size32 1
		.amdhsa_uses_dynamic_stack 0
		.amdhsa_enable_private_segment 0
		.amdhsa_system_sgpr_workgroup_id_x 1
		.amdhsa_system_sgpr_workgroup_id_y 0
		.amdhsa_system_sgpr_workgroup_id_z 0
		.amdhsa_system_sgpr_workgroup_info 0
		.amdhsa_system_vgpr_workitem_id 0
		.amdhsa_next_free_vgpr 1
		.amdhsa_next_free_sgpr 1
		.amdhsa_reserve_vcc 0
		.amdhsa_float_round_mode_32 0
		.amdhsa_float_round_mode_16_64 0
		.amdhsa_float_denorm_mode_32 3
		.amdhsa_float_denorm_mode_16_64 3
		.amdhsa_fp16_overflow 0
		.amdhsa_workgroup_processor_mode 1
		.amdhsa_memory_ordered 1
		.amdhsa_forward_progress 1
		.amdhsa_inst_pref_size 0
		.amdhsa_round_robin_scheduling 0
		.amdhsa_exception_fp_ieee_invalid_op 0
		.amdhsa_exception_fp_denorm_src 0
		.amdhsa_exception_fp_ieee_div_zero 0
		.amdhsa_exception_fp_ieee_overflow 0
		.amdhsa_exception_fp_ieee_underflow 0
		.amdhsa_exception_fp_ieee_inexact 0
		.amdhsa_exception_int_div_zero 0
	.end_amdhsa_kernel
	.section	.text._ZN7rocprim17ROCPRIM_400000_NS6detail17trampoline_kernelINS0_14default_configENS1_25partition_config_selectorILNS1_17partition_subalgoE5EyNS0_10empty_typeEbEEZZNS1_14partition_implILS5_5ELb0ES3_mN6thrust23THRUST_200600_302600_NS6detail15normal_iteratorINSA_10device_ptrIyEEEEPS6_NSA_18transform_iteratorINSB_9not_fun_tINSA_8identityIyEEEESF_NSA_11use_defaultESM_EENS0_5tupleIJSF_S6_EEENSO_IJSG_SG_EEES6_PlJS6_EEE10hipError_tPvRmT3_T4_T5_T6_T7_T9_mT8_P12ihipStream_tbDpT10_ENKUlT_T0_E_clISt17integral_constantIbLb1EES1B_EEDaS16_S17_EUlS16_E_NS1_11comp_targetILNS1_3genE5ELNS1_11target_archE942ELNS1_3gpuE9ELNS1_3repE0EEENS1_30default_config_static_selectorELNS0_4arch9wavefront6targetE0EEEvT1_,"axG",@progbits,_ZN7rocprim17ROCPRIM_400000_NS6detail17trampoline_kernelINS0_14default_configENS1_25partition_config_selectorILNS1_17partition_subalgoE5EyNS0_10empty_typeEbEEZZNS1_14partition_implILS5_5ELb0ES3_mN6thrust23THRUST_200600_302600_NS6detail15normal_iteratorINSA_10device_ptrIyEEEEPS6_NSA_18transform_iteratorINSB_9not_fun_tINSA_8identityIyEEEESF_NSA_11use_defaultESM_EENS0_5tupleIJSF_S6_EEENSO_IJSG_SG_EEES6_PlJS6_EEE10hipError_tPvRmT3_T4_T5_T6_T7_T9_mT8_P12ihipStream_tbDpT10_ENKUlT_T0_E_clISt17integral_constantIbLb1EES1B_EEDaS16_S17_EUlS16_E_NS1_11comp_targetILNS1_3genE5ELNS1_11target_archE942ELNS1_3gpuE9ELNS1_3repE0EEENS1_30default_config_static_selectorELNS0_4arch9wavefront6targetE0EEEvT1_,comdat
.Lfunc_end862:
	.size	_ZN7rocprim17ROCPRIM_400000_NS6detail17trampoline_kernelINS0_14default_configENS1_25partition_config_selectorILNS1_17partition_subalgoE5EyNS0_10empty_typeEbEEZZNS1_14partition_implILS5_5ELb0ES3_mN6thrust23THRUST_200600_302600_NS6detail15normal_iteratorINSA_10device_ptrIyEEEEPS6_NSA_18transform_iteratorINSB_9not_fun_tINSA_8identityIyEEEESF_NSA_11use_defaultESM_EENS0_5tupleIJSF_S6_EEENSO_IJSG_SG_EEES6_PlJS6_EEE10hipError_tPvRmT3_T4_T5_T6_T7_T9_mT8_P12ihipStream_tbDpT10_ENKUlT_T0_E_clISt17integral_constantIbLb1EES1B_EEDaS16_S17_EUlS16_E_NS1_11comp_targetILNS1_3genE5ELNS1_11target_archE942ELNS1_3gpuE9ELNS1_3repE0EEENS1_30default_config_static_selectorELNS0_4arch9wavefront6targetE0EEEvT1_, .Lfunc_end862-_ZN7rocprim17ROCPRIM_400000_NS6detail17trampoline_kernelINS0_14default_configENS1_25partition_config_selectorILNS1_17partition_subalgoE5EyNS0_10empty_typeEbEEZZNS1_14partition_implILS5_5ELb0ES3_mN6thrust23THRUST_200600_302600_NS6detail15normal_iteratorINSA_10device_ptrIyEEEEPS6_NSA_18transform_iteratorINSB_9not_fun_tINSA_8identityIyEEEESF_NSA_11use_defaultESM_EENS0_5tupleIJSF_S6_EEENSO_IJSG_SG_EEES6_PlJS6_EEE10hipError_tPvRmT3_T4_T5_T6_T7_T9_mT8_P12ihipStream_tbDpT10_ENKUlT_T0_E_clISt17integral_constantIbLb1EES1B_EEDaS16_S17_EUlS16_E_NS1_11comp_targetILNS1_3genE5ELNS1_11target_archE942ELNS1_3gpuE9ELNS1_3repE0EEENS1_30default_config_static_selectorELNS0_4arch9wavefront6targetE0EEEvT1_
                                        ; -- End function
	.set _ZN7rocprim17ROCPRIM_400000_NS6detail17trampoline_kernelINS0_14default_configENS1_25partition_config_selectorILNS1_17partition_subalgoE5EyNS0_10empty_typeEbEEZZNS1_14partition_implILS5_5ELb0ES3_mN6thrust23THRUST_200600_302600_NS6detail15normal_iteratorINSA_10device_ptrIyEEEEPS6_NSA_18transform_iteratorINSB_9not_fun_tINSA_8identityIyEEEESF_NSA_11use_defaultESM_EENS0_5tupleIJSF_S6_EEENSO_IJSG_SG_EEES6_PlJS6_EEE10hipError_tPvRmT3_T4_T5_T6_T7_T9_mT8_P12ihipStream_tbDpT10_ENKUlT_T0_E_clISt17integral_constantIbLb1EES1B_EEDaS16_S17_EUlS16_E_NS1_11comp_targetILNS1_3genE5ELNS1_11target_archE942ELNS1_3gpuE9ELNS1_3repE0EEENS1_30default_config_static_selectorELNS0_4arch9wavefront6targetE0EEEvT1_.num_vgpr, 0
	.set _ZN7rocprim17ROCPRIM_400000_NS6detail17trampoline_kernelINS0_14default_configENS1_25partition_config_selectorILNS1_17partition_subalgoE5EyNS0_10empty_typeEbEEZZNS1_14partition_implILS5_5ELb0ES3_mN6thrust23THRUST_200600_302600_NS6detail15normal_iteratorINSA_10device_ptrIyEEEEPS6_NSA_18transform_iteratorINSB_9not_fun_tINSA_8identityIyEEEESF_NSA_11use_defaultESM_EENS0_5tupleIJSF_S6_EEENSO_IJSG_SG_EEES6_PlJS6_EEE10hipError_tPvRmT3_T4_T5_T6_T7_T9_mT8_P12ihipStream_tbDpT10_ENKUlT_T0_E_clISt17integral_constantIbLb1EES1B_EEDaS16_S17_EUlS16_E_NS1_11comp_targetILNS1_3genE5ELNS1_11target_archE942ELNS1_3gpuE9ELNS1_3repE0EEENS1_30default_config_static_selectorELNS0_4arch9wavefront6targetE0EEEvT1_.num_agpr, 0
	.set _ZN7rocprim17ROCPRIM_400000_NS6detail17trampoline_kernelINS0_14default_configENS1_25partition_config_selectorILNS1_17partition_subalgoE5EyNS0_10empty_typeEbEEZZNS1_14partition_implILS5_5ELb0ES3_mN6thrust23THRUST_200600_302600_NS6detail15normal_iteratorINSA_10device_ptrIyEEEEPS6_NSA_18transform_iteratorINSB_9not_fun_tINSA_8identityIyEEEESF_NSA_11use_defaultESM_EENS0_5tupleIJSF_S6_EEENSO_IJSG_SG_EEES6_PlJS6_EEE10hipError_tPvRmT3_T4_T5_T6_T7_T9_mT8_P12ihipStream_tbDpT10_ENKUlT_T0_E_clISt17integral_constantIbLb1EES1B_EEDaS16_S17_EUlS16_E_NS1_11comp_targetILNS1_3genE5ELNS1_11target_archE942ELNS1_3gpuE9ELNS1_3repE0EEENS1_30default_config_static_selectorELNS0_4arch9wavefront6targetE0EEEvT1_.numbered_sgpr, 0
	.set _ZN7rocprim17ROCPRIM_400000_NS6detail17trampoline_kernelINS0_14default_configENS1_25partition_config_selectorILNS1_17partition_subalgoE5EyNS0_10empty_typeEbEEZZNS1_14partition_implILS5_5ELb0ES3_mN6thrust23THRUST_200600_302600_NS6detail15normal_iteratorINSA_10device_ptrIyEEEEPS6_NSA_18transform_iteratorINSB_9not_fun_tINSA_8identityIyEEEESF_NSA_11use_defaultESM_EENS0_5tupleIJSF_S6_EEENSO_IJSG_SG_EEES6_PlJS6_EEE10hipError_tPvRmT3_T4_T5_T6_T7_T9_mT8_P12ihipStream_tbDpT10_ENKUlT_T0_E_clISt17integral_constantIbLb1EES1B_EEDaS16_S17_EUlS16_E_NS1_11comp_targetILNS1_3genE5ELNS1_11target_archE942ELNS1_3gpuE9ELNS1_3repE0EEENS1_30default_config_static_selectorELNS0_4arch9wavefront6targetE0EEEvT1_.num_named_barrier, 0
	.set _ZN7rocprim17ROCPRIM_400000_NS6detail17trampoline_kernelINS0_14default_configENS1_25partition_config_selectorILNS1_17partition_subalgoE5EyNS0_10empty_typeEbEEZZNS1_14partition_implILS5_5ELb0ES3_mN6thrust23THRUST_200600_302600_NS6detail15normal_iteratorINSA_10device_ptrIyEEEEPS6_NSA_18transform_iteratorINSB_9not_fun_tINSA_8identityIyEEEESF_NSA_11use_defaultESM_EENS0_5tupleIJSF_S6_EEENSO_IJSG_SG_EEES6_PlJS6_EEE10hipError_tPvRmT3_T4_T5_T6_T7_T9_mT8_P12ihipStream_tbDpT10_ENKUlT_T0_E_clISt17integral_constantIbLb1EES1B_EEDaS16_S17_EUlS16_E_NS1_11comp_targetILNS1_3genE5ELNS1_11target_archE942ELNS1_3gpuE9ELNS1_3repE0EEENS1_30default_config_static_selectorELNS0_4arch9wavefront6targetE0EEEvT1_.private_seg_size, 0
	.set _ZN7rocprim17ROCPRIM_400000_NS6detail17trampoline_kernelINS0_14default_configENS1_25partition_config_selectorILNS1_17partition_subalgoE5EyNS0_10empty_typeEbEEZZNS1_14partition_implILS5_5ELb0ES3_mN6thrust23THRUST_200600_302600_NS6detail15normal_iteratorINSA_10device_ptrIyEEEEPS6_NSA_18transform_iteratorINSB_9not_fun_tINSA_8identityIyEEEESF_NSA_11use_defaultESM_EENS0_5tupleIJSF_S6_EEENSO_IJSG_SG_EEES6_PlJS6_EEE10hipError_tPvRmT3_T4_T5_T6_T7_T9_mT8_P12ihipStream_tbDpT10_ENKUlT_T0_E_clISt17integral_constantIbLb1EES1B_EEDaS16_S17_EUlS16_E_NS1_11comp_targetILNS1_3genE5ELNS1_11target_archE942ELNS1_3gpuE9ELNS1_3repE0EEENS1_30default_config_static_selectorELNS0_4arch9wavefront6targetE0EEEvT1_.uses_vcc, 0
	.set _ZN7rocprim17ROCPRIM_400000_NS6detail17trampoline_kernelINS0_14default_configENS1_25partition_config_selectorILNS1_17partition_subalgoE5EyNS0_10empty_typeEbEEZZNS1_14partition_implILS5_5ELb0ES3_mN6thrust23THRUST_200600_302600_NS6detail15normal_iteratorINSA_10device_ptrIyEEEEPS6_NSA_18transform_iteratorINSB_9not_fun_tINSA_8identityIyEEEESF_NSA_11use_defaultESM_EENS0_5tupleIJSF_S6_EEENSO_IJSG_SG_EEES6_PlJS6_EEE10hipError_tPvRmT3_T4_T5_T6_T7_T9_mT8_P12ihipStream_tbDpT10_ENKUlT_T0_E_clISt17integral_constantIbLb1EES1B_EEDaS16_S17_EUlS16_E_NS1_11comp_targetILNS1_3genE5ELNS1_11target_archE942ELNS1_3gpuE9ELNS1_3repE0EEENS1_30default_config_static_selectorELNS0_4arch9wavefront6targetE0EEEvT1_.uses_flat_scratch, 0
	.set _ZN7rocprim17ROCPRIM_400000_NS6detail17trampoline_kernelINS0_14default_configENS1_25partition_config_selectorILNS1_17partition_subalgoE5EyNS0_10empty_typeEbEEZZNS1_14partition_implILS5_5ELb0ES3_mN6thrust23THRUST_200600_302600_NS6detail15normal_iteratorINSA_10device_ptrIyEEEEPS6_NSA_18transform_iteratorINSB_9not_fun_tINSA_8identityIyEEEESF_NSA_11use_defaultESM_EENS0_5tupleIJSF_S6_EEENSO_IJSG_SG_EEES6_PlJS6_EEE10hipError_tPvRmT3_T4_T5_T6_T7_T9_mT8_P12ihipStream_tbDpT10_ENKUlT_T0_E_clISt17integral_constantIbLb1EES1B_EEDaS16_S17_EUlS16_E_NS1_11comp_targetILNS1_3genE5ELNS1_11target_archE942ELNS1_3gpuE9ELNS1_3repE0EEENS1_30default_config_static_selectorELNS0_4arch9wavefront6targetE0EEEvT1_.has_dyn_sized_stack, 0
	.set _ZN7rocprim17ROCPRIM_400000_NS6detail17trampoline_kernelINS0_14default_configENS1_25partition_config_selectorILNS1_17partition_subalgoE5EyNS0_10empty_typeEbEEZZNS1_14partition_implILS5_5ELb0ES3_mN6thrust23THRUST_200600_302600_NS6detail15normal_iteratorINSA_10device_ptrIyEEEEPS6_NSA_18transform_iteratorINSB_9not_fun_tINSA_8identityIyEEEESF_NSA_11use_defaultESM_EENS0_5tupleIJSF_S6_EEENSO_IJSG_SG_EEES6_PlJS6_EEE10hipError_tPvRmT3_T4_T5_T6_T7_T9_mT8_P12ihipStream_tbDpT10_ENKUlT_T0_E_clISt17integral_constantIbLb1EES1B_EEDaS16_S17_EUlS16_E_NS1_11comp_targetILNS1_3genE5ELNS1_11target_archE942ELNS1_3gpuE9ELNS1_3repE0EEENS1_30default_config_static_selectorELNS0_4arch9wavefront6targetE0EEEvT1_.has_recursion, 0
	.set _ZN7rocprim17ROCPRIM_400000_NS6detail17trampoline_kernelINS0_14default_configENS1_25partition_config_selectorILNS1_17partition_subalgoE5EyNS0_10empty_typeEbEEZZNS1_14partition_implILS5_5ELb0ES3_mN6thrust23THRUST_200600_302600_NS6detail15normal_iteratorINSA_10device_ptrIyEEEEPS6_NSA_18transform_iteratorINSB_9not_fun_tINSA_8identityIyEEEESF_NSA_11use_defaultESM_EENS0_5tupleIJSF_S6_EEENSO_IJSG_SG_EEES6_PlJS6_EEE10hipError_tPvRmT3_T4_T5_T6_T7_T9_mT8_P12ihipStream_tbDpT10_ENKUlT_T0_E_clISt17integral_constantIbLb1EES1B_EEDaS16_S17_EUlS16_E_NS1_11comp_targetILNS1_3genE5ELNS1_11target_archE942ELNS1_3gpuE9ELNS1_3repE0EEENS1_30default_config_static_selectorELNS0_4arch9wavefront6targetE0EEEvT1_.has_indirect_call, 0
	.section	.AMDGPU.csdata,"",@progbits
; Kernel info:
; codeLenInByte = 0
; TotalNumSgprs: 0
; NumVgprs: 0
; ScratchSize: 0
; MemoryBound: 0
; FloatMode: 240
; IeeeMode: 1
; LDSByteSize: 0 bytes/workgroup (compile time only)
; SGPRBlocks: 0
; VGPRBlocks: 0
; NumSGPRsForWavesPerEU: 1
; NumVGPRsForWavesPerEU: 1
; Occupancy: 16
; WaveLimiterHint : 0
; COMPUTE_PGM_RSRC2:SCRATCH_EN: 0
; COMPUTE_PGM_RSRC2:USER_SGPR: 2
; COMPUTE_PGM_RSRC2:TRAP_HANDLER: 0
; COMPUTE_PGM_RSRC2:TGID_X_EN: 1
; COMPUTE_PGM_RSRC2:TGID_Y_EN: 0
; COMPUTE_PGM_RSRC2:TGID_Z_EN: 0
; COMPUTE_PGM_RSRC2:TIDIG_COMP_CNT: 0
	.section	.text._ZN7rocprim17ROCPRIM_400000_NS6detail17trampoline_kernelINS0_14default_configENS1_25partition_config_selectorILNS1_17partition_subalgoE5EyNS0_10empty_typeEbEEZZNS1_14partition_implILS5_5ELb0ES3_mN6thrust23THRUST_200600_302600_NS6detail15normal_iteratorINSA_10device_ptrIyEEEEPS6_NSA_18transform_iteratorINSB_9not_fun_tINSA_8identityIyEEEESF_NSA_11use_defaultESM_EENS0_5tupleIJSF_S6_EEENSO_IJSG_SG_EEES6_PlJS6_EEE10hipError_tPvRmT3_T4_T5_T6_T7_T9_mT8_P12ihipStream_tbDpT10_ENKUlT_T0_E_clISt17integral_constantIbLb1EES1B_EEDaS16_S17_EUlS16_E_NS1_11comp_targetILNS1_3genE4ELNS1_11target_archE910ELNS1_3gpuE8ELNS1_3repE0EEENS1_30default_config_static_selectorELNS0_4arch9wavefront6targetE0EEEvT1_,"axG",@progbits,_ZN7rocprim17ROCPRIM_400000_NS6detail17trampoline_kernelINS0_14default_configENS1_25partition_config_selectorILNS1_17partition_subalgoE5EyNS0_10empty_typeEbEEZZNS1_14partition_implILS5_5ELb0ES3_mN6thrust23THRUST_200600_302600_NS6detail15normal_iteratorINSA_10device_ptrIyEEEEPS6_NSA_18transform_iteratorINSB_9not_fun_tINSA_8identityIyEEEESF_NSA_11use_defaultESM_EENS0_5tupleIJSF_S6_EEENSO_IJSG_SG_EEES6_PlJS6_EEE10hipError_tPvRmT3_T4_T5_T6_T7_T9_mT8_P12ihipStream_tbDpT10_ENKUlT_T0_E_clISt17integral_constantIbLb1EES1B_EEDaS16_S17_EUlS16_E_NS1_11comp_targetILNS1_3genE4ELNS1_11target_archE910ELNS1_3gpuE8ELNS1_3repE0EEENS1_30default_config_static_selectorELNS0_4arch9wavefront6targetE0EEEvT1_,comdat
	.protected	_ZN7rocprim17ROCPRIM_400000_NS6detail17trampoline_kernelINS0_14default_configENS1_25partition_config_selectorILNS1_17partition_subalgoE5EyNS0_10empty_typeEbEEZZNS1_14partition_implILS5_5ELb0ES3_mN6thrust23THRUST_200600_302600_NS6detail15normal_iteratorINSA_10device_ptrIyEEEEPS6_NSA_18transform_iteratorINSB_9not_fun_tINSA_8identityIyEEEESF_NSA_11use_defaultESM_EENS0_5tupleIJSF_S6_EEENSO_IJSG_SG_EEES6_PlJS6_EEE10hipError_tPvRmT3_T4_T5_T6_T7_T9_mT8_P12ihipStream_tbDpT10_ENKUlT_T0_E_clISt17integral_constantIbLb1EES1B_EEDaS16_S17_EUlS16_E_NS1_11comp_targetILNS1_3genE4ELNS1_11target_archE910ELNS1_3gpuE8ELNS1_3repE0EEENS1_30default_config_static_selectorELNS0_4arch9wavefront6targetE0EEEvT1_ ; -- Begin function _ZN7rocprim17ROCPRIM_400000_NS6detail17trampoline_kernelINS0_14default_configENS1_25partition_config_selectorILNS1_17partition_subalgoE5EyNS0_10empty_typeEbEEZZNS1_14partition_implILS5_5ELb0ES3_mN6thrust23THRUST_200600_302600_NS6detail15normal_iteratorINSA_10device_ptrIyEEEEPS6_NSA_18transform_iteratorINSB_9not_fun_tINSA_8identityIyEEEESF_NSA_11use_defaultESM_EENS0_5tupleIJSF_S6_EEENSO_IJSG_SG_EEES6_PlJS6_EEE10hipError_tPvRmT3_T4_T5_T6_T7_T9_mT8_P12ihipStream_tbDpT10_ENKUlT_T0_E_clISt17integral_constantIbLb1EES1B_EEDaS16_S17_EUlS16_E_NS1_11comp_targetILNS1_3genE4ELNS1_11target_archE910ELNS1_3gpuE8ELNS1_3repE0EEENS1_30default_config_static_selectorELNS0_4arch9wavefront6targetE0EEEvT1_
	.globl	_ZN7rocprim17ROCPRIM_400000_NS6detail17trampoline_kernelINS0_14default_configENS1_25partition_config_selectorILNS1_17partition_subalgoE5EyNS0_10empty_typeEbEEZZNS1_14partition_implILS5_5ELb0ES3_mN6thrust23THRUST_200600_302600_NS6detail15normal_iteratorINSA_10device_ptrIyEEEEPS6_NSA_18transform_iteratorINSB_9not_fun_tINSA_8identityIyEEEESF_NSA_11use_defaultESM_EENS0_5tupleIJSF_S6_EEENSO_IJSG_SG_EEES6_PlJS6_EEE10hipError_tPvRmT3_T4_T5_T6_T7_T9_mT8_P12ihipStream_tbDpT10_ENKUlT_T0_E_clISt17integral_constantIbLb1EES1B_EEDaS16_S17_EUlS16_E_NS1_11comp_targetILNS1_3genE4ELNS1_11target_archE910ELNS1_3gpuE8ELNS1_3repE0EEENS1_30default_config_static_selectorELNS0_4arch9wavefront6targetE0EEEvT1_
	.p2align	8
	.type	_ZN7rocprim17ROCPRIM_400000_NS6detail17trampoline_kernelINS0_14default_configENS1_25partition_config_selectorILNS1_17partition_subalgoE5EyNS0_10empty_typeEbEEZZNS1_14partition_implILS5_5ELb0ES3_mN6thrust23THRUST_200600_302600_NS6detail15normal_iteratorINSA_10device_ptrIyEEEEPS6_NSA_18transform_iteratorINSB_9not_fun_tINSA_8identityIyEEEESF_NSA_11use_defaultESM_EENS0_5tupleIJSF_S6_EEENSO_IJSG_SG_EEES6_PlJS6_EEE10hipError_tPvRmT3_T4_T5_T6_T7_T9_mT8_P12ihipStream_tbDpT10_ENKUlT_T0_E_clISt17integral_constantIbLb1EES1B_EEDaS16_S17_EUlS16_E_NS1_11comp_targetILNS1_3genE4ELNS1_11target_archE910ELNS1_3gpuE8ELNS1_3repE0EEENS1_30default_config_static_selectorELNS0_4arch9wavefront6targetE0EEEvT1_,@function
_ZN7rocprim17ROCPRIM_400000_NS6detail17trampoline_kernelINS0_14default_configENS1_25partition_config_selectorILNS1_17partition_subalgoE5EyNS0_10empty_typeEbEEZZNS1_14partition_implILS5_5ELb0ES3_mN6thrust23THRUST_200600_302600_NS6detail15normal_iteratorINSA_10device_ptrIyEEEEPS6_NSA_18transform_iteratorINSB_9not_fun_tINSA_8identityIyEEEESF_NSA_11use_defaultESM_EENS0_5tupleIJSF_S6_EEENSO_IJSG_SG_EEES6_PlJS6_EEE10hipError_tPvRmT3_T4_T5_T6_T7_T9_mT8_P12ihipStream_tbDpT10_ENKUlT_T0_E_clISt17integral_constantIbLb1EES1B_EEDaS16_S17_EUlS16_E_NS1_11comp_targetILNS1_3genE4ELNS1_11target_archE910ELNS1_3gpuE8ELNS1_3repE0EEENS1_30default_config_static_selectorELNS0_4arch9wavefront6targetE0EEEvT1_: ; @_ZN7rocprim17ROCPRIM_400000_NS6detail17trampoline_kernelINS0_14default_configENS1_25partition_config_selectorILNS1_17partition_subalgoE5EyNS0_10empty_typeEbEEZZNS1_14partition_implILS5_5ELb0ES3_mN6thrust23THRUST_200600_302600_NS6detail15normal_iteratorINSA_10device_ptrIyEEEEPS6_NSA_18transform_iteratorINSB_9not_fun_tINSA_8identityIyEEEESF_NSA_11use_defaultESM_EENS0_5tupleIJSF_S6_EEENSO_IJSG_SG_EEES6_PlJS6_EEE10hipError_tPvRmT3_T4_T5_T6_T7_T9_mT8_P12ihipStream_tbDpT10_ENKUlT_T0_E_clISt17integral_constantIbLb1EES1B_EEDaS16_S17_EUlS16_E_NS1_11comp_targetILNS1_3genE4ELNS1_11target_archE910ELNS1_3gpuE8ELNS1_3repE0EEENS1_30default_config_static_selectorELNS0_4arch9wavefront6targetE0EEEvT1_
; %bb.0:
	.section	.rodata,"a",@progbits
	.p2align	6, 0x0
	.amdhsa_kernel _ZN7rocprim17ROCPRIM_400000_NS6detail17trampoline_kernelINS0_14default_configENS1_25partition_config_selectorILNS1_17partition_subalgoE5EyNS0_10empty_typeEbEEZZNS1_14partition_implILS5_5ELb0ES3_mN6thrust23THRUST_200600_302600_NS6detail15normal_iteratorINSA_10device_ptrIyEEEEPS6_NSA_18transform_iteratorINSB_9not_fun_tINSA_8identityIyEEEESF_NSA_11use_defaultESM_EENS0_5tupleIJSF_S6_EEENSO_IJSG_SG_EEES6_PlJS6_EEE10hipError_tPvRmT3_T4_T5_T6_T7_T9_mT8_P12ihipStream_tbDpT10_ENKUlT_T0_E_clISt17integral_constantIbLb1EES1B_EEDaS16_S17_EUlS16_E_NS1_11comp_targetILNS1_3genE4ELNS1_11target_archE910ELNS1_3gpuE8ELNS1_3repE0EEENS1_30default_config_static_selectorELNS0_4arch9wavefront6targetE0EEEvT1_
		.amdhsa_group_segment_fixed_size 0
		.amdhsa_private_segment_fixed_size 0
		.amdhsa_kernarg_size 136
		.amdhsa_user_sgpr_count 2
		.amdhsa_user_sgpr_dispatch_ptr 0
		.amdhsa_user_sgpr_queue_ptr 0
		.amdhsa_user_sgpr_kernarg_segment_ptr 1
		.amdhsa_user_sgpr_dispatch_id 0
		.amdhsa_user_sgpr_private_segment_size 0
		.amdhsa_wavefront_size32 1
		.amdhsa_uses_dynamic_stack 0
		.amdhsa_enable_private_segment 0
		.amdhsa_system_sgpr_workgroup_id_x 1
		.amdhsa_system_sgpr_workgroup_id_y 0
		.amdhsa_system_sgpr_workgroup_id_z 0
		.amdhsa_system_sgpr_workgroup_info 0
		.amdhsa_system_vgpr_workitem_id 0
		.amdhsa_next_free_vgpr 1
		.amdhsa_next_free_sgpr 1
		.amdhsa_reserve_vcc 0
		.amdhsa_float_round_mode_32 0
		.amdhsa_float_round_mode_16_64 0
		.amdhsa_float_denorm_mode_32 3
		.amdhsa_float_denorm_mode_16_64 3
		.amdhsa_fp16_overflow 0
		.amdhsa_workgroup_processor_mode 1
		.amdhsa_memory_ordered 1
		.amdhsa_forward_progress 1
		.amdhsa_inst_pref_size 0
		.amdhsa_round_robin_scheduling 0
		.amdhsa_exception_fp_ieee_invalid_op 0
		.amdhsa_exception_fp_denorm_src 0
		.amdhsa_exception_fp_ieee_div_zero 0
		.amdhsa_exception_fp_ieee_overflow 0
		.amdhsa_exception_fp_ieee_underflow 0
		.amdhsa_exception_fp_ieee_inexact 0
		.amdhsa_exception_int_div_zero 0
	.end_amdhsa_kernel
	.section	.text._ZN7rocprim17ROCPRIM_400000_NS6detail17trampoline_kernelINS0_14default_configENS1_25partition_config_selectorILNS1_17partition_subalgoE5EyNS0_10empty_typeEbEEZZNS1_14partition_implILS5_5ELb0ES3_mN6thrust23THRUST_200600_302600_NS6detail15normal_iteratorINSA_10device_ptrIyEEEEPS6_NSA_18transform_iteratorINSB_9not_fun_tINSA_8identityIyEEEESF_NSA_11use_defaultESM_EENS0_5tupleIJSF_S6_EEENSO_IJSG_SG_EEES6_PlJS6_EEE10hipError_tPvRmT3_T4_T5_T6_T7_T9_mT8_P12ihipStream_tbDpT10_ENKUlT_T0_E_clISt17integral_constantIbLb1EES1B_EEDaS16_S17_EUlS16_E_NS1_11comp_targetILNS1_3genE4ELNS1_11target_archE910ELNS1_3gpuE8ELNS1_3repE0EEENS1_30default_config_static_selectorELNS0_4arch9wavefront6targetE0EEEvT1_,"axG",@progbits,_ZN7rocprim17ROCPRIM_400000_NS6detail17trampoline_kernelINS0_14default_configENS1_25partition_config_selectorILNS1_17partition_subalgoE5EyNS0_10empty_typeEbEEZZNS1_14partition_implILS5_5ELb0ES3_mN6thrust23THRUST_200600_302600_NS6detail15normal_iteratorINSA_10device_ptrIyEEEEPS6_NSA_18transform_iteratorINSB_9not_fun_tINSA_8identityIyEEEESF_NSA_11use_defaultESM_EENS0_5tupleIJSF_S6_EEENSO_IJSG_SG_EEES6_PlJS6_EEE10hipError_tPvRmT3_T4_T5_T6_T7_T9_mT8_P12ihipStream_tbDpT10_ENKUlT_T0_E_clISt17integral_constantIbLb1EES1B_EEDaS16_S17_EUlS16_E_NS1_11comp_targetILNS1_3genE4ELNS1_11target_archE910ELNS1_3gpuE8ELNS1_3repE0EEENS1_30default_config_static_selectorELNS0_4arch9wavefront6targetE0EEEvT1_,comdat
.Lfunc_end863:
	.size	_ZN7rocprim17ROCPRIM_400000_NS6detail17trampoline_kernelINS0_14default_configENS1_25partition_config_selectorILNS1_17partition_subalgoE5EyNS0_10empty_typeEbEEZZNS1_14partition_implILS5_5ELb0ES3_mN6thrust23THRUST_200600_302600_NS6detail15normal_iteratorINSA_10device_ptrIyEEEEPS6_NSA_18transform_iteratorINSB_9not_fun_tINSA_8identityIyEEEESF_NSA_11use_defaultESM_EENS0_5tupleIJSF_S6_EEENSO_IJSG_SG_EEES6_PlJS6_EEE10hipError_tPvRmT3_T4_T5_T6_T7_T9_mT8_P12ihipStream_tbDpT10_ENKUlT_T0_E_clISt17integral_constantIbLb1EES1B_EEDaS16_S17_EUlS16_E_NS1_11comp_targetILNS1_3genE4ELNS1_11target_archE910ELNS1_3gpuE8ELNS1_3repE0EEENS1_30default_config_static_selectorELNS0_4arch9wavefront6targetE0EEEvT1_, .Lfunc_end863-_ZN7rocprim17ROCPRIM_400000_NS6detail17trampoline_kernelINS0_14default_configENS1_25partition_config_selectorILNS1_17partition_subalgoE5EyNS0_10empty_typeEbEEZZNS1_14partition_implILS5_5ELb0ES3_mN6thrust23THRUST_200600_302600_NS6detail15normal_iteratorINSA_10device_ptrIyEEEEPS6_NSA_18transform_iteratorINSB_9not_fun_tINSA_8identityIyEEEESF_NSA_11use_defaultESM_EENS0_5tupleIJSF_S6_EEENSO_IJSG_SG_EEES6_PlJS6_EEE10hipError_tPvRmT3_T4_T5_T6_T7_T9_mT8_P12ihipStream_tbDpT10_ENKUlT_T0_E_clISt17integral_constantIbLb1EES1B_EEDaS16_S17_EUlS16_E_NS1_11comp_targetILNS1_3genE4ELNS1_11target_archE910ELNS1_3gpuE8ELNS1_3repE0EEENS1_30default_config_static_selectorELNS0_4arch9wavefront6targetE0EEEvT1_
                                        ; -- End function
	.set _ZN7rocprim17ROCPRIM_400000_NS6detail17trampoline_kernelINS0_14default_configENS1_25partition_config_selectorILNS1_17partition_subalgoE5EyNS0_10empty_typeEbEEZZNS1_14partition_implILS5_5ELb0ES3_mN6thrust23THRUST_200600_302600_NS6detail15normal_iteratorINSA_10device_ptrIyEEEEPS6_NSA_18transform_iteratorINSB_9not_fun_tINSA_8identityIyEEEESF_NSA_11use_defaultESM_EENS0_5tupleIJSF_S6_EEENSO_IJSG_SG_EEES6_PlJS6_EEE10hipError_tPvRmT3_T4_T5_T6_T7_T9_mT8_P12ihipStream_tbDpT10_ENKUlT_T0_E_clISt17integral_constantIbLb1EES1B_EEDaS16_S17_EUlS16_E_NS1_11comp_targetILNS1_3genE4ELNS1_11target_archE910ELNS1_3gpuE8ELNS1_3repE0EEENS1_30default_config_static_selectorELNS0_4arch9wavefront6targetE0EEEvT1_.num_vgpr, 0
	.set _ZN7rocprim17ROCPRIM_400000_NS6detail17trampoline_kernelINS0_14default_configENS1_25partition_config_selectorILNS1_17partition_subalgoE5EyNS0_10empty_typeEbEEZZNS1_14partition_implILS5_5ELb0ES3_mN6thrust23THRUST_200600_302600_NS6detail15normal_iteratorINSA_10device_ptrIyEEEEPS6_NSA_18transform_iteratorINSB_9not_fun_tINSA_8identityIyEEEESF_NSA_11use_defaultESM_EENS0_5tupleIJSF_S6_EEENSO_IJSG_SG_EEES6_PlJS6_EEE10hipError_tPvRmT3_T4_T5_T6_T7_T9_mT8_P12ihipStream_tbDpT10_ENKUlT_T0_E_clISt17integral_constantIbLb1EES1B_EEDaS16_S17_EUlS16_E_NS1_11comp_targetILNS1_3genE4ELNS1_11target_archE910ELNS1_3gpuE8ELNS1_3repE0EEENS1_30default_config_static_selectorELNS0_4arch9wavefront6targetE0EEEvT1_.num_agpr, 0
	.set _ZN7rocprim17ROCPRIM_400000_NS6detail17trampoline_kernelINS0_14default_configENS1_25partition_config_selectorILNS1_17partition_subalgoE5EyNS0_10empty_typeEbEEZZNS1_14partition_implILS5_5ELb0ES3_mN6thrust23THRUST_200600_302600_NS6detail15normal_iteratorINSA_10device_ptrIyEEEEPS6_NSA_18transform_iteratorINSB_9not_fun_tINSA_8identityIyEEEESF_NSA_11use_defaultESM_EENS0_5tupleIJSF_S6_EEENSO_IJSG_SG_EEES6_PlJS6_EEE10hipError_tPvRmT3_T4_T5_T6_T7_T9_mT8_P12ihipStream_tbDpT10_ENKUlT_T0_E_clISt17integral_constantIbLb1EES1B_EEDaS16_S17_EUlS16_E_NS1_11comp_targetILNS1_3genE4ELNS1_11target_archE910ELNS1_3gpuE8ELNS1_3repE0EEENS1_30default_config_static_selectorELNS0_4arch9wavefront6targetE0EEEvT1_.numbered_sgpr, 0
	.set _ZN7rocprim17ROCPRIM_400000_NS6detail17trampoline_kernelINS0_14default_configENS1_25partition_config_selectorILNS1_17partition_subalgoE5EyNS0_10empty_typeEbEEZZNS1_14partition_implILS5_5ELb0ES3_mN6thrust23THRUST_200600_302600_NS6detail15normal_iteratorINSA_10device_ptrIyEEEEPS6_NSA_18transform_iteratorINSB_9not_fun_tINSA_8identityIyEEEESF_NSA_11use_defaultESM_EENS0_5tupleIJSF_S6_EEENSO_IJSG_SG_EEES6_PlJS6_EEE10hipError_tPvRmT3_T4_T5_T6_T7_T9_mT8_P12ihipStream_tbDpT10_ENKUlT_T0_E_clISt17integral_constantIbLb1EES1B_EEDaS16_S17_EUlS16_E_NS1_11comp_targetILNS1_3genE4ELNS1_11target_archE910ELNS1_3gpuE8ELNS1_3repE0EEENS1_30default_config_static_selectorELNS0_4arch9wavefront6targetE0EEEvT1_.num_named_barrier, 0
	.set _ZN7rocprim17ROCPRIM_400000_NS6detail17trampoline_kernelINS0_14default_configENS1_25partition_config_selectorILNS1_17partition_subalgoE5EyNS0_10empty_typeEbEEZZNS1_14partition_implILS5_5ELb0ES3_mN6thrust23THRUST_200600_302600_NS6detail15normal_iteratorINSA_10device_ptrIyEEEEPS6_NSA_18transform_iteratorINSB_9not_fun_tINSA_8identityIyEEEESF_NSA_11use_defaultESM_EENS0_5tupleIJSF_S6_EEENSO_IJSG_SG_EEES6_PlJS6_EEE10hipError_tPvRmT3_T4_T5_T6_T7_T9_mT8_P12ihipStream_tbDpT10_ENKUlT_T0_E_clISt17integral_constantIbLb1EES1B_EEDaS16_S17_EUlS16_E_NS1_11comp_targetILNS1_3genE4ELNS1_11target_archE910ELNS1_3gpuE8ELNS1_3repE0EEENS1_30default_config_static_selectorELNS0_4arch9wavefront6targetE0EEEvT1_.private_seg_size, 0
	.set _ZN7rocprim17ROCPRIM_400000_NS6detail17trampoline_kernelINS0_14default_configENS1_25partition_config_selectorILNS1_17partition_subalgoE5EyNS0_10empty_typeEbEEZZNS1_14partition_implILS5_5ELb0ES3_mN6thrust23THRUST_200600_302600_NS6detail15normal_iteratorINSA_10device_ptrIyEEEEPS6_NSA_18transform_iteratorINSB_9not_fun_tINSA_8identityIyEEEESF_NSA_11use_defaultESM_EENS0_5tupleIJSF_S6_EEENSO_IJSG_SG_EEES6_PlJS6_EEE10hipError_tPvRmT3_T4_T5_T6_T7_T9_mT8_P12ihipStream_tbDpT10_ENKUlT_T0_E_clISt17integral_constantIbLb1EES1B_EEDaS16_S17_EUlS16_E_NS1_11comp_targetILNS1_3genE4ELNS1_11target_archE910ELNS1_3gpuE8ELNS1_3repE0EEENS1_30default_config_static_selectorELNS0_4arch9wavefront6targetE0EEEvT1_.uses_vcc, 0
	.set _ZN7rocprim17ROCPRIM_400000_NS6detail17trampoline_kernelINS0_14default_configENS1_25partition_config_selectorILNS1_17partition_subalgoE5EyNS0_10empty_typeEbEEZZNS1_14partition_implILS5_5ELb0ES3_mN6thrust23THRUST_200600_302600_NS6detail15normal_iteratorINSA_10device_ptrIyEEEEPS6_NSA_18transform_iteratorINSB_9not_fun_tINSA_8identityIyEEEESF_NSA_11use_defaultESM_EENS0_5tupleIJSF_S6_EEENSO_IJSG_SG_EEES6_PlJS6_EEE10hipError_tPvRmT3_T4_T5_T6_T7_T9_mT8_P12ihipStream_tbDpT10_ENKUlT_T0_E_clISt17integral_constantIbLb1EES1B_EEDaS16_S17_EUlS16_E_NS1_11comp_targetILNS1_3genE4ELNS1_11target_archE910ELNS1_3gpuE8ELNS1_3repE0EEENS1_30default_config_static_selectorELNS0_4arch9wavefront6targetE0EEEvT1_.uses_flat_scratch, 0
	.set _ZN7rocprim17ROCPRIM_400000_NS6detail17trampoline_kernelINS0_14default_configENS1_25partition_config_selectorILNS1_17partition_subalgoE5EyNS0_10empty_typeEbEEZZNS1_14partition_implILS5_5ELb0ES3_mN6thrust23THRUST_200600_302600_NS6detail15normal_iteratorINSA_10device_ptrIyEEEEPS6_NSA_18transform_iteratorINSB_9not_fun_tINSA_8identityIyEEEESF_NSA_11use_defaultESM_EENS0_5tupleIJSF_S6_EEENSO_IJSG_SG_EEES6_PlJS6_EEE10hipError_tPvRmT3_T4_T5_T6_T7_T9_mT8_P12ihipStream_tbDpT10_ENKUlT_T0_E_clISt17integral_constantIbLb1EES1B_EEDaS16_S17_EUlS16_E_NS1_11comp_targetILNS1_3genE4ELNS1_11target_archE910ELNS1_3gpuE8ELNS1_3repE0EEENS1_30default_config_static_selectorELNS0_4arch9wavefront6targetE0EEEvT1_.has_dyn_sized_stack, 0
	.set _ZN7rocprim17ROCPRIM_400000_NS6detail17trampoline_kernelINS0_14default_configENS1_25partition_config_selectorILNS1_17partition_subalgoE5EyNS0_10empty_typeEbEEZZNS1_14partition_implILS5_5ELb0ES3_mN6thrust23THRUST_200600_302600_NS6detail15normal_iteratorINSA_10device_ptrIyEEEEPS6_NSA_18transform_iteratorINSB_9not_fun_tINSA_8identityIyEEEESF_NSA_11use_defaultESM_EENS0_5tupleIJSF_S6_EEENSO_IJSG_SG_EEES6_PlJS6_EEE10hipError_tPvRmT3_T4_T5_T6_T7_T9_mT8_P12ihipStream_tbDpT10_ENKUlT_T0_E_clISt17integral_constantIbLb1EES1B_EEDaS16_S17_EUlS16_E_NS1_11comp_targetILNS1_3genE4ELNS1_11target_archE910ELNS1_3gpuE8ELNS1_3repE0EEENS1_30default_config_static_selectorELNS0_4arch9wavefront6targetE0EEEvT1_.has_recursion, 0
	.set _ZN7rocprim17ROCPRIM_400000_NS6detail17trampoline_kernelINS0_14default_configENS1_25partition_config_selectorILNS1_17partition_subalgoE5EyNS0_10empty_typeEbEEZZNS1_14partition_implILS5_5ELb0ES3_mN6thrust23THRUST_200600_302600_NS6detail15normal_iteratorINSA_10device_ptrIyEEEEPS6_NSA_18transform_iteratorINSB_9not_fun_tINSA_8identityIyEEEESF_NSA_11use_defaultESM_EENS0_5tupleIJSF_S6_EEENSO_IJSG_SG_EEES6_PlJS6_EEE10hipError_tPvRmT3_T4_T5_T6_T7_T9_mT8_P12ihipStream_tbDpT10_ENKUlT_T0_E_clISt17integral_constantIbLb1EES1B_EEDaS16_S17_EUlS16_E_NS1_11comp_targetILNS1_3genE4ELNS1_11target_archE910ELNS1_3gpuE8ELNS1_3repE0EEENS1_30default_config_static_selectorELNS0_4arch9wavefront6targetE0EEEvT1_.has_indirect_call, 0
	.section	.AMDGPU.csdata,"",@progbits
; Kernel info:
; codeLenInByte = 0
; TotalNumSgprs: 0
; NumVgprs: 0
; ScratchSize: 0
; MemoryBound: 0
; FloatMode: 240
; IeeeMode: 1
; LDSByteSize: 0 bytes/workgroup (compile time only)
; SGPRBlocks: 0
; VGPRBlocks: 0
; NumSGPRsForWavesPerEU: 1
; NumVGPRsForWavesPerEU: 1
; Occupancy: 16
; WaveLimiterHint : 0
; COMPUTE_PGM_RSRC2:SCRATCH_EN: 0
; COMPUTE_PGM_RSRC2:USER_SGPR: 2
; COMPUTE_PGM_RSRC2:TRAP_HANDLER: 0
; COMPUTE_PGM_RSRC2:TGID_X_EN: 1
; COMPUTE_PGM_RSRC2:TGID_Y_EN: 0
; COMPUTE_PGM_RSRC2:TGID_Z_EN: 0
; COMPUTE_PGM_RSRC2:TIDIG_COMP_CNT: 0
	.section	.text._ZN7rocprim17ROCPRIM_400000_NS6detail17trampoline_kernelINS0_14default_configENS1_25partition_config_selectorILNS1_17partition_subalgoE5EyNS0_10empty_typeEbEEZZNS1_14partition_implILS5_5ELb0ES3_mN6thrust23THRUST_200600_302600_NS6detail15normal_iteratorINSA_10device_ptrIyEEEEPS6_NSA_18transform_iteratorINSB_9not_fun_tINSA_8identityIyEEEESF_NSA_11use_defaultESM_EENS0_5tupleIJSF_S6_EEENSO_IJSG_SG_EEES6_PlJS6_EEE10hipError_tPvRmT3_T4_T5_T6_T7_T9_mT8_P12ihipStream_tbDpT10_ENKUlT_T0_E_clISt17integral_constantIbLb1EES1B_EEDaS16_S17_EUlS16_E_NS1_11comp_targetILNS1_3genE3ELNS1_11target_archE908ELNS1_3gpuE7ELNS1_3repE0EEENS1_30default_config_static_selectorELNS0_4arch9wavefront6targetE0EEEvT1_,"axG",@progbits,_ZN7rocprim17ROCPRIM_400000_NS6detail17trampoline_kernelINS0_14default_configENS1_25partition_config_selectorILNS1_17partition_subalgoE5EyNS0_10empty_typeEbEEZZNS1_14partition_implILS5_5ELb0ES3_mN6thrust23THRUST_200600_302600_NS6detail15normal_iteratorINSA_10device_ptrIyEEEEPS6_NSA_18transform_iteratorINSB_9not_fun_tINSA_8identityIyEEEESF_NSA_11use_defaultESM_EENS0_5tupleIJSF_S6_EEENSO_IJSG_SG_EEES6_PlJS6_EEE10hipError_tPvRmT3_T4_T5_T6_T7_T9_mT8_P12ihipStream_tbDpT10_ENKUlT_T0_E_clISt17integral_constantIbLb1EES1B_EEDaS16_S17_EUlS16_E_NS1_11comp_targetILNS1_3genE3ELNS1_11target_archE908ELNS1_3gpuE7ELNS1_3repE0EEENS1_30default_config_static_selectorELNS0_4arch9wavefront6targetE0EEEvT1_,comdat
	.protected	_ZN7rocprim17ROCPRIM_400000_NS6detail17trampoline_kernelINS0_14default_configENS1_25partition_config_selectorILNS1_17partition_subalgoE5EyNS0_10empty_typeEbEEZZNS1_14partition_implILS5_5ELb0ES3_mN6thrust23THRUST_200600_302600_NS6detail15normal_iteratorINSA_10device_ptrIyEEEEPS6_NSA_18transform_iteratorINSB_9not_fun_tINSA_8identityIyEEEESF_NSA_11use_defaultESM_EENS0_5tupleIJSF_S6_EEENSO_IJSG_SG_EEES6_PlJS6_EEE10hipError_tPvRmT3_T4_T5_T6_T7_T9_mT8_P12ihipStream_tbDpT10_ENKUlT_T0_E_clISt17integral_constantIbLb1EES1B_EEDaS16_S17_EUlS16_E_NS1_11comp_targetILNS1_3genE3ELNS1_11target_archE908ELNS1_3gpuE7ELNS1_3repE0EEENS1_30default_config_static_selectorELNS0_4arch9wavefront6targetE0EEEvT1_ ; -- Begin function _ZN7rocprim17ROCPRIM_400000_NS6detail17trampoline_kernelINS0_14default_configENS1_25partition_config_selectorILNS1_17partition_subalgoE5EyNS0_10empty_typeEbEEZZNS1_14partition_implILS5_5ELb0ES3_mN6thrust23THRUST_200600_302600_NS6detail15normal_iteratorINSA_10device_ptrIyEEEEPS6_NSA_18transform_iteratorINSB_9not_fun_tINSA_8identityIyEEEESF_NSA_11use_defaultESM_EENS0_5tupleIJSF_S6_EEENSO_IJSG_SG_EEES6_PlJS6_EEE10hipError_tPvRmT3_T4_T5_T6_T7_T9_mT8_P12ihipStream_tbDpT10_ENKUlT_T0_E_clISt17integral_constantIbLb1EES1B_EEDaS16_S17_EUlS16_E_NS1_11comp_targetILNS1_3genE3ELNS1_11target_archE908ELNS1_3gpuE7ELNS1_3repE0EEENS1_30default_config_static_selectorELNS0_4arch9wavefront6targetE0EEEvT1_
	.globl	_ZN7rocprim17ROCPRIM_400000_NS6detail17trampoline_kernelINS0_14default_configENS1_25partition_config_selectorILNS1_17partition_subalgoE5EyNS0_10empty_typeEbEEZZNS1_14partition_implILS5_5ELb0ES3_mN6thrust23THRUST_200600_302600_NS6detail15normal_iteratorINSA_10device_ptrIyEEEEPS6_NSA_18transform_iteratorINSB_9not_fun_tINSA_8identityIyEEEESF_NSA_11use_defaultESM_EENS0_5tupleIJSF_S6_EEENSO_IJSG_SG_EEES6_PlJS6_EEE10hipError_tPvRmT3_T4_T5_T6_T7_T9_mT8_P12ihipStream_tbDpT10_ENKUlT_T0_E_clISt17integral_constantIbLb1EES1B_EEDaS16_S17_EUlS16_E_NS1_11comp_targetILNS1_3genE3ELNS1_11target_archE908ELNS1_3gpuE7ELNS1_3repE0EEENS1_30default_config_static_selectorELNS0_4arch9wavefront6targetE0EEEvT1_
	.p2align	8
	.type	_ZN7rocprim17ROCPRIM_400000_NS6detail17trampoline_kernelINS0_14default_configENS1_25partition_config_selectorILNS1_17partition_subalgoE5EyNS0_10empty_typeEbEEZZNS1_14partition_implILS5_5ELb0ES3_mN6thrust23THRUST_200600_302600_NS6detail15normal_iteratorINSA_10device_ptrIyEEEEPS6_NSA_18transform_iteratorINSB_9not_fun_tINSA_8identityIyEEEESF_NSA_11use_defaultESM_EENS0_5tupleIJSF_S6_EEENSO_IJSG_SG_EEES6_PlJS6_EEE10hipError_tPvRmT3_T4_T5_T6_T7_T9_mT8_P12ihipStream_tbDpT10_ENKUlT_T0_E_clISt17integral_constantIbLb1EES1B_EEDaS16_S17_EUlS16_E_NS1_11comp_targetILNS1_3genE3ELNS1_11target_archE908ELNS1_3gpuE7ELNS1_3repE0EEENS1_30default_config_static_selectorELNS0_4arch9wavefront6targetE0EEEvT1_,@function
_ZN7rocprim17ROCPRIM_400000_NS6detail17trampoline_kernelINS0_14default_configENS1_25partition_config_selectorILNS1_17partition_subalgoE5EyNS0_10empty_typeEbEEZZNS1_14partition_implILS5_5ELb0ES3_mN6thrust23THRUST_200600_302600_NS6detail15normal_iteratorINSA_10device_ptrIyEEEEPS6_NSA_18transform_iteratorINSB_9not_fun_tINSA_8identityIyEEEESF_NSA_11use_defaultESM_EENS0_5tupleIJSF_S6_EEENSO_IJSG_SG_EEES6_PlJS6_EEE10hipError_tPvRmT3_T4_T5_T6_T7_T9_mT8_P12ihipStream_tbDpT10_ENKUlT_T0_E_clISt17integral_constantIbLb1EES1B_EEDaS16_S17_EUlS16_E_NS1_11comp_targetILNS1_3genE3ELNS1_11target_archE908ELNS1_3gpuE7ELNS1_3repE0EEENS1_30default_config_static_selectorELNS0_4arch9wavefront6targetE0EEEvT1_: ; @_ZN7rocprim17ROCPRIM_400000_NS6detail17trampoline_kernelINS0_14default_configENS1_25partition_config_selectorILNS1_17partition_subalgoE5EyNS0_10empty_typeEbEEZZNS1_14partition_implILS5_5ELb0ES3_mN6thrust23THRUST_200600_302600_NS6detail15normal_iteratorINSA_10device_ptrIyEEEEPS6_NSA_18transform_iteratorINSB_9not_fun_tINSA_8identityIyEEEESF_NSA_11use_defaultESM_EENS0_5tupleIJSF_S6_EEENSO_IJSG_SG_EEES6_PlJS6_EEE10hipError_tPvRmT3_T4_T5_T6_T7_T9_mT8_P12ihipStream_tbDpT10_ENKUlT_T0_E_clISt17integral_constantIbLb1EES1B_EEDaS16_S17_EUlS16_E_NS1_11comp_targetILNS1_3genE3ELNS1_11target_archE908ELNS1_3gpuE7ELNS1_3repE0EEENS1_30default_config_static_selectorELNS0_4arch9wavefront6targetE0EEEvT1_
; %bb.0:
	.section	.rodata,"a",@progbits
	.p2align	6, 0x0
	.amdhsa_kernel _ZN7rocprim17ROCPRIM_400000_NS6detail17trampoline_kernelINS0_14default_configENS1_25partition_config_selectorILNS1_17partition_subalgoE5EyNS0_10empty_typeEbEEZZNS1_14partition_implILS5_5ELb0ES3_mN6thrust23THRUST_200600_302600_NS6detail15normal_iteratorINSA_10device_ptrIyEEEEPS6_NSA_18transform_iteratorINSB_9not_fun_tINSA_8identityIyEEEESF_NSA_11use_defaultESM_EENS0_5tupleIJSF_S6_EEENSO_IJSG_SG_EEES6_PlJS6_EEE10hipError_tPvRmT3_T4_T5_T6_T7_T9_mT8_P12ihipStream_tbDpT10_ENKUlT_T0_E_clISt17integral_constantIbLb1EES1B_EEDaS16_S17_EUlS16_E_NS1_11comp_targetILNS1_3genE3ELNS1_11target_archE908ELNS1_3gpuE7ELNS1_3repE0EEENS1_30default_config_static_selectorELNS0_4arch9wavefront6targetE0EEEvT1_
		.amdhsa_group_segment_fixed_size 0
		.amdhsa_private_segment_fixed_size 0
		.amdhsa_kernarg_size 136
		.amdhsa_user_sgpr_count 2
		.amdhsa_user_sgpr_dispatch_ptr 0
		.amdhsa_user_sgpr_queue_ptr 0
		.amdhsa_user_sgpr_kernarg_segment_ptr 1
		.amdhsa_user_sgpr_dispatch_id 0
		.amdhsa_user_sgpr_private_segment_size 0
		.amdhsa_wavefront_size32 1
		.amdhsa_uses_dynamic_stack 0
		.amdhsa_enable_private_segment 0
		.amdhsa_system_sgpr_workgroup_id_x 1
		.amdhsa_system_sgpr_workgroup_id_y 0
		.amdhsa_system_sgpr_workgroup_id_z 0
		.amdhsa_system_sgpr_workgroup_info 0
		.amdhsa_system_vgpr_workitem_id 0
		.amdhsa_next_free_vgpr 1
		.amdhsa_next_free_sgpr 1
		.amdhsa_reserve_vcc 0
		.amdhsa_float_round_mode_32 0
		.amdhsa_float_round_mode_16_64 0
		.amdhsa_float_denorm_mode_32 3
		.amdhsa_float_denorm_mode_16_64 3
		.amdhsa_fp16_overflow 0
		.amdhsa_workgroup_processor_mode 1
		.amdhsa_memory_ordered 1
		.amdhsa_forward_progress 1
		.amdhsa_inst_pref_size 0
		.amdhsa_round_robin_scheduling 0
		.amdhsa_exception_fp_ieee_invalid_op 0
		.amdhsa_exception_fp_denorm_src 0
		.amdhsa_exception_fp_ieee_div_zero 0
		.amdhsa_exception_fp_ieee_overflow 0
		.amdhsa_exception_fp_ieee_underflow 0
		.amdhsa_exception_fp_ieee_inexact 0
		.amdhsa_exception_int_div_zero 0
	.end_amdhsa_kernel
	.section	.text._ZN7rocprim17ROCPRIM_400000_NS6detail17trampoline_kernelINS0_14default_configENS1_25partition_config_selectorILNS1_17partition_subalgoE5EyNS0_10empty_typeEbEEZZNS1_14partition_implILS5_5ELb0ES3_mN6thrust23THRUST_200600_302600_NS6detail15normal_iteratorINSA_10device_ptrIyEEEEPS6_NSA_18transform_iteratorINSB_9not_fun_tINSA_8identityIyEEEESF_NSA_11use_defaultESM_EENS0_5tupleIJSF_S6_EEENSO_IJSG_SG_EEES6_PlJS6_EEE10hipError_tPvRmT3_T4_T5_T6_T7_T9_mT8_P12ihipStream_tbDpT10_ENKUlT_T0_E_clISt17integral_constantIbLb1EES1B_EEDaS16_S17_EUlS16_E_NS1_11comp_targetILNS1_3genE3ELNS1_11target_archE908ELNS1_3gpuE7ELNS1_3repE0EEENS1_30default_config_static_selectorELNS0_4arch9wavefront6targetE0EEEvT1_,"axG",@progbits,_ZN7rocprim17ROCPRIM_400000_NS6detail17trampoline_kernelINS0_14default_configENS1_25partition_config_selectorILNS1_17partition_subalgoE5EyNS0_10empty_typeEbEEZZNS1_14partition_implILS5_5ELb0ES3_mN6thrust23THRUST_200600_302600_NS6detail15normal_iteratorINSA_10device_ptrIyEEEEPS6_NSA_18transform_iteratorINSB_9not_fun_tINSA_8identityIyEEEESF_NSA_11use_defaultESM_EENS0_5tupleIJSF_S6_EEENSO_IJSG_SG_EEES6_PlJS6_EEE10hipError_tPvRmT3_T4_T5_T6_T7_T9_mT8_P12ihipStream_tbDpT10_ENKUlT_T0_E_clISt17integral_constantIbLb1EES1B_EEDaS16_S17_EUlS16_E_NS1_11comp_targetILNS1_3genE3ELNS1_11target_archE908ELNS1_3gpuE7ELNS1_3repE0EEENS1_30default_config_static_selectorELNS0_4arch9wavefront6targetE0EEEvT1_,comdat
.Lfunc_end864:
	.size	_ZN7rocprim17ROCPRIM_400000_NS6detail17trampoline_kernelINS0_14default_configENS1_25partition_config_selectorILNS1_17partition_subalgoE5EyNS0_10empty_typeEbEEZZNS1_14partition_implILS5_5ELb0ES3_mN6thrust23THRUST_200600_302600_NS6detail15normal_iteratorINSA_10device_ptrIyEEEEPS6_NSA_18transform_iteratorINSB_9not_fun_tINSA_8identityIyEEEESF_NSA_11use_defaultESM_EENS0_5tupleIJSF_S6_EEENSO_IJSG_SG_EEES6_PlJS6_EEE10hipError_tPvRmT3_T4_T5_T6_T7_T9_mT8_P12ihipStream_tbDpT10_ENKUlT_T0_E_clISt17integral_constantIbLb1EES1B_EEDaS16_S17_EUlS16_E_NS1_11comp_targetILNS1_3genE3ELNS1_11target_archE908ELNS1_3gpuE7ELNS1_3repE0EEENS1_30default_config_static_selectorELNS0_4arch9wavefront6targetE0EEEvT1_, .Lfunc_end864-_ZN7rocprim17ROCPRIM_400000_NS6detail17trampoline_kernelINS0_14default_configENS1_25partition_config_selectorILNS1_17partition_subalgoE5EyNS0_10empty_typeEbEEZZNS1_14partition_implILS5_5ELb0ES3_mN6thrust23THRUST_200600_302600_NS6detail15normal_iteratorINSA_10device_ptrIyEEEEPS6_NSA_18transform_iteratorINSB_9not_fun_tINSA_8identityIyEEEESF_NSA_11use_defaultESM_EENS0_5tupleIJSF_S6_EEENSO_IJSG_SG_EEES6_PlJS6_EEE10hipError_tPvRmT3_T4_T5_T6_T7_T9_mT8_P12ihipStream_tbDpT10_ENKUlT_T0_E_clISt17integral_constantIbLb1EES1B_EEDaS16_S17_EUlS16_E_NS1_11comp_targetILNS1_3genE3ELNS1_11target_archE908ELNS1_3gpuE7ELNS1_3repE0EEENS1_30default_config_static_selectorELNS0_4arch9wavefront6targetE0EEEvT1_
                                        ; -- End function
	.set _ZN7rocprim17ROCPRIM_400000_NS6detail17trampoline_kernelINS0_14default_configENS1_25partition_config_selectorILNS1_17partition_subalgoE5EyNS0_10empty_typeEbEEZZNS1_14partition_implILS5_5ELb0ES3_mN6thrust23THRUST_200600_302600_NS6detail15normal_iteratorINSA_10device_ptrIyEEEEPS6_NSA_18transform_iteratorINSB_9not_fun_tINSA_8identityIyEEEESF_NSA_11use_defaultESM_EENS0_5tupleIJSF_S6_EEENSO_IJSG_SG_EEES6_PlJS6_EEE10hipError_tPvRmT3_T4_T5_T6_T7_T9_mT8_P12ihipStream_tbDpT10_ENKUlT_T0_E_clISt17integral_constantIbLb1EES1B_EEDaS16_S17_EUlS16_E_NS1_11comp_targetILNS1_3genE3ELNS1_11target_archE908ELNS1_3gpuE7ELNS1_3repE0EEENS1_30default_config_static_selectorELNS0_4arch9wavefront6targetE0EEEvT1_.num_vgpr, 0
	.set _ZN7rocprim17ROCPRIM_400000_NS6detail17trampoline_kernelINS0_14default_configENS1_25partition_config_selectorILNS1_17partition_subalgoE5EyNS0_10empty_typeEbEEZZNS1_14partition_implILS5_5ELb0ES3_mN6thrust23THRUST_200600_302600_NS6detail15normal_iteratorINSA_10device_ptrIyEEEEPS6_NSA_18transform_iteratorINSB_9not_fun_tINSA_8identityIyEEEESF_NSA_11use_defaultESM_EENS0_5tupleIJSF_S6_EEENSO_IJSG_SG_EEES6_PlJS6_EEE10hipError_tPvRmT3_T4_T5_T6_T7_T9_mT8_P12ihipStream_tbDpT10_ENKUlT_T0_E_clISt17integral_constantIbLb1EES1B_EEDaS16_S17_EUlS16_E_NS1_11comp_targetILNS1_3genE3ELNS1_11target_archE908ELNS1_3gpuE7ELNS1_3repE0EEENS1_30default_config_static_selectorELNS0_4arch9wavefront6targetE0EEEvT1_.num_agpr, 0
	.set _ZN7rocprim17ROCPRIM_400000_NS6detail17trampoline_kernelINS0_14default_configENS1_25partition_config_selectorILNS1_17partition_subalgoE5EyNS0_10empty_typeEbEEZZNS1_14partition_implILS5_5ELb0ES3_mN6thrust23THRUST_200600_302600_NS6detail15normal_iteratorINSA_10device_ptrIyEEEEPS6_NSA_18transform_iteratorINSB_9not_fun_tINSA_8identityIyEEEESF_NSA_11use_defaultESM_EENS0_5tupleIJSF_S6_EEENSO_IJSG_SG_EEES6_PlJS6_EEE10hipError_tPvRmT3_T4_T5_T6_T7_T9_mT8_P12ihipStream_tbDpT10_ENKUlT_T0_E_clISt17integral_constantIbLb1EES1B_EEDaS16_S17_EUlS16_E_NS1_11comp_targetILNS1_3genE3ELNS1_11target_archE908ELNS1_3gpuE7ELNS1_3repE0EEENS1_30default_config_static_selectorELNS0_4arch9wavefront6targetE0EEEvT1_.numbered_sgpr, 0
	.set _ZN7rocprim17ROCPRIM_400000_NS6detail17trampoline_kernelINS0_14default_configENS1_25partition_config_selectorILNS1_17partition_subalgoE5EyNS0_10empty_typeEbEEZZNS1_14partition_implILS5_5ELb0ES3_mN6thrust23THRUST_200600_302600_NS6detail15normal_iteratorINSA_10device_ptrIyEEEEPS6_NSA_18transform_iteratorINSB_9not_fun_tINSA_8identityIyEEEESF_NSA_11use_defaultESM_EENS0_5tupleIJSF_S6_EEENSO_IJSG_SG_EEES6_PlJS6_EEE10hipError_tPvRmT3_T4_T5_T6_T7_T9_mT8_P12ihipStream_tbDpT10_ENKUlT_T0_E_clISt17integral_constantIbLb1EES1B_EEDaS16_S17_EUlS16_E_NS1_11comp_targetILNS1_3genE3ELNS1_11target_archE908ELNS1_3gpuE7ELNS1_3repE0EEENS1_30default_config_static_selectorELNS0_4arch9wavefront6targetE0EEEvT1_.num_named_barrier, 0
	.set _ZN7rocprim17ROCPRIM_400000_NS6detail17trampoline_kernelINS0_14default_configENS1_25partition_config_selectorILNS1_17partition_subalgoE5EyNS0_10empty_typeEbEEZZNS1_14partition_implILS5_5ELb0ES3_mN6thrust23THRUST_200600_302600_NS6detail15normal_iteratorINSA_10device_ptrIyEEEEPS6_NSA_18transform_iteratorINSB_9not_fun_tINSA_8identityIyEEEESF_NSA_11use_defaultESM_EENS0_5tupleIJSF_S6_EEENSO_IJSG_SG_EEES6_PlJS6_EEE10hipError_tPvRmT3_T4_T5_T6_T7_T9_mT8_P12ihipStream_tbDpT10_ENKUlT_T0_E_clISt17integral_constantIbLb1EES1B_EEDaS16_S17_EUlS16_E_NS1_11comp_targetILNS1_3genE3ELNS1_11target_archE908ELNS1_3gpuE7ELNS1_3repE0EEENS1_30default_config_static_selectorELNS0_4arch9wavefront6targetE0EEEvT1_.private_seg_size, 0
	.set _ZN7rocprim17ROCPRIM_400000_NS6detail17trampoline_kernelINS0_14default_configENS1_25partition_config_selectorILNS1_17partition_subalgoE5EyNS0_10empty_typeEbEEZZNS1_14partition_implILS5_5ELb0ES3_mN6thrust23THRUST_200600_302600_NS6detail15normal_iteratorINSA_10device_ptrIyEEEEPS6_NSA_18transform_iteratorINSB_9not_fun_tINSA_8identityIyEEEESF_NSA_11use_defaultESM_EENS0_5tupleIJSF_S6_EEENSO_IJSG_SG_EEES6_PlJS6_EEE10hipError_tPvRmT3_T4_T5_T6_T7_T9_mT8_P12ihipStream_tbDpT10_ENKUlT_T0_E_clISt17integral_constantIbLb1EES1B_EEDaS16_S17_EUlS16_E_NS1_11comp_targetILNS1_3genE3ELNS1_11target_archE908ELNS1_3gpuE7ELNS1_3repE0EEENS1_30default_config_static_selectorELNS0_4arch9wavefront6targetE0EEEvT1_.uses_vcc, 0
	.set _ZN7rocprim17ROCPRIM_400000_NS6detail17trampoline_kernelINS0_14default_configENS1_25partition_config_selectorILNS1_17partition_subalgoE5EyNS0_10empty_typeEbEEZZNS1_14partition_implILS5_5ELb0ES3_mN6thrust23THRUST_200600_302600_NS6detail15normal_iteratorINSA_10device_ptrIyEEEEPS6_NSA_18transform_iteratorINSB_9not_fun_tINSA_8identityIyEEEESF_NSA_11use_defaultESM_EENS0_5tupleIJSF_S6_EEENSO_IJSG_SG_EEES6_PlJS6_EEE10hipError_tPvRmT3_T4_T5_T6_T7_T9_mT8_P12ihipStream_tbDpT10_ENKUlT_T0_E_clISt17integral_constantIbLb1EES1B_EEDaS16_S17_EUlS16_E_NS1_11comp_targetILNS1_3genE3ELNS1_11target_archE908ELNS1_3gpuE7ELNS1_3repE0EEENS1_30default_config_static_selectorELNS0_4arch9wavefront6targetE0EEEvT1_.uses_flat_scratch, 0
	.set _ZN7rocprim17ROCPRIM_400000_NS6detail17trampoline_kernelINS0_14default_configENS1_25partition_config_selectorILNS1_17partition_subalgoE5EyNS0_10empty_typeEbEEZZNS1_14partition_implILS5_5ELb0ES3_mN6thrust23THRUST_200600_302600_NS6detail15normal_iteratorINSA_10device_ptrIyEEEEPS6_NSA_18transform_iteratorINSB_9not_fun_tINSA_8identityIyEEEESF_NSA_11use_defaultESM_EENS0_5tupleIJSF_S6_EEENSO_IJSG_SG_EEES6_PlJS6_EEE10hipError_tPvRmT3_T4_T5_T6_T7_T9_mT8_P12ihipStream_tbDpT10_ENKUlT_T0_E_clISt17integral_constantIbLb1EES1B_EEDaS16_S17_EUlS16_E_NS1_11comp_targetILNS1_3genE3ELNS1_11target_archE908ELNS1_3gpuE7ELNS1_3repE0EEENS1_30default_config_static_selectorELNS0_4arch9wavefront6targetE0EEEvT1_.has_dyn_sized_stack, 0
	.set _ZN7rocprim17ROCPRIM_400000_NS6detail17trampoline_kernelINS0_14default_configENS1_25partition_config_selectorILNS1_17partition_subalgoE5EyNS0_10empty_typeEbEEZZNS1_14partition_implILS5_5ELb0ES3_mN6thrust23THRUST_200600_302600_NS6detail15normal_iteratorINSA_10device_ptrIyEEEEPS6_NSA_18transform_iteratorINSB_9not_fun_tINSA_8identityIyEEEESF_NSA_11use_defaultESM_EENS0_5tupleIJSF_S6_EEENSO_IJSG_SG_EEES6_PlJS6_EEE10hipError_tPvRmT3_T4_T5_T6_T7_T9_mT8_P12ihipStream_tbDpT10_ENKUlT_T0_E_clISt17integral_constantIbLb1EES1B_EEDaS16_S17_EUlS16_E_NS1_11comp_targetILNS1_3genE3ELNS1_11target_archE908ELNS1_3gpuE7ELNS1_3repE0EEENS1_30default_config_static_selectorELNS0_4arch9wavefront6targetE0EEEvT1_.has_recursion, 0
	.set _ZN7rocprim17ROCPRIM_400000_NS6detail17trampoline_kernelINS0_14default_configENS1_25partition_config_selectorILNS1_17partition_subalgoE5EyNS0_10empty_typeEbEEZZNS1_14partition_implILS5_5ELb0ES3_mN6thrust23THRUST_200600_302600_NS6detail15normal_iteratorINSA_10device_ptrIyEEEEPS6_NSA_18transform_iteratorINSB_9not_fun_tINSA_8identityIyEEEESF_NSA_11use_defaultESM_EENS0_5tupleIJSF_S6_EEENSO_IJSG_SG_EEES6_PlJS6_EEE10hipError_tPvRmT3_T4_T5_T6_T7_T9_mT8_P12ihipStream_tbDpT10_ENKUlT_T0_E_clISt17integral_constantIbLb1EES1B_EEDaS16_S17_EUlS16_E_NS1_11comp_targetILNS1_3genE3ELNS1_11target_archE908ELNS1_3gpuE7ELNS1_3repE0EEENS1_30default_config_static_selectorELNS0_4arch9wavefront6targetE0EEEvT1_.has_indirect_call, 0
	.section	.AMDGPU.csdata,"",@progbits
; Kernel info:
; codeLenInByte = 0
; TotalNumSgprs: 0
; NumVgprs: 0
; ScratchSize: 0
; MemoryBound: 0
; FloatMode: 240
; IeeeMode: 1
; LDSByteSize: 0 bytes/workgroup (compile time only)
; SGPRBlocks: 0
; VGPRBlocks: 0
; NumSGPRsForWavesPerEU: 1
; NumVGPRsForWavesPerEU: 1
; Occupancy: 16
; WaveLimiterHint : 0
; COMPUTE_PGM_RSRC2:SCRATCH_EN: 0
; COMPUTE_PGM_RSRC2:USER_SGPR: 2
; COMPUTE_PGM_RSRC2:TRAP_HANDLER: 0
; COMPUTE_PGM_RSRC2:TGID_X_EN: 1
; COMPUTE_PGM_RSRC2:TGID_Y_EN: 0
; COMPUTE_PGM_RSRC2:TGID_Z_EN: 0
; COMPUTE_PGM_RSRC2:TIDIG_COMP_CNT: 0
	.section	.text._ZN7rocprim17ROCPRIM_400000_NS6detail17trampoline_kernelINS0_14default_configENS1_25partition_config_selectorILNS1_17partition_subalgoE5EyNS0_10empty_typeEbEEZZNS1_14partition_implILS5_5ELb0ES3_mN6thrust23THRUST_200600_302600_NS6detail15normal_iteratorINSA_10device_ptrIyEEEEPS6_NSA_18transform_iteratorINSB_9not_fun_tINSA_8identityIyEEEESF_NSA_11use_defaultESM_EENS0_5tupleIJSF_S6_EEENSO_IJSG_SG_EEES6_PlJS6_EEE10hipError_tPvRmT3_T4_T5_T6_T7_T9_mT8_P12ihipStream_tbDpT10_ENKUlT_T0_E_clISt17integral_constantIbLb1EES1B_EEDaS16_S17_EUlS16_E_NS1_11comp_targetILNS1_3genE2ELNS1_11target_archE906ELNS1_3gpuE6ELNS1_3repE0EEENS1_30default_config_static_selectorELNS0_4arch9wavefront6targetE0EEEvT1_,"axG",@progbits,_ZN7rocprim17ROCPRIM_400000_NS6detail17trampoline_kernelINS0_14default_configENS1_25partition_config_selectorILNS1_17partition_subalgoE5EyNS0_10empty_typeEbEEZZNS1_14partition_implILS5_5ELb0ES3_mN6thrust23THRUST_200600_302600_NS6detail15normal_iteratorINSA_10device_ptrIyEEEEPS6_NSA_18transform_iteratorINSB_9not_fun_tINSA_8identityIyEEEESF_NSA_11use_defaultESM_EENS0_5tupleIJSF_S6_EEENSO_IJSG_SG_EEES6_PlJS6_EEE10hipError_tPvRmT3_T4_T5_T6_T7_T9_mT8_P12ihipStream_tbDpT10_ENKUlT_T0_E_clISt17integral_constantIbLb1EES1B_EEDaS16_S17_EUlS16_E_NS1_11comp_targetILNS1_3genE2ELNS1_11target_archE906ELNS1_3gpuE6ELNS1_3repE0EEENS1_30default_config_static_selectorELNS0_4arch9wavefront6targetE0EEEvT1_,comdat
	.protected	_ZN7rocprim17ROCPRIM_400000_NS6detail17trampoline_kernelINS0_14default_configENS1_25partition_config_selectorILNS1_17partition_subalgoE5EyNS0_10empty_typeEbEEZZNS1_14partition_implILS5_5ELb0ES3_mN6thrust23THRUST_200600_302600_NS6detail15normal_iteratorINSA_10device_ptrIyEEEEPS6_NSA_18transform_iteratorINSB_9not_fun_tINSA_8identityIyEEEESF_NSA_11use_defaultESM_EENS0_5tupleIJSF_S6_EEENSO_IJSG_SG_EEES6_PlJS6_EEE10hipError_tPvRmT3_T4_T5_T6_T7_T9_mT8_P12ihipStream_tbDpT10_ENKUlT_T0_E_clISt17integral_constantIbLb1EES1B_EEDaS16_S17_EUlS16_E_NS1_11comp_targetILNS1_3genE2ELNS1_11target_archE906ELNS1_3gpuE6ELNS1_3repE0EEENS1_30default_config_static_selectorELNS0_4arch9wavefront6targetE0EEEvT1_ ; -- Begin function _ZN7rocprim17ROCPRIM_400000_NS6detail17trampoline_kernelINS0_14default_configENS1_25partition_config_selectorILNS1_17partition_subalgoE5EyNS0_10empty_typeEbEEZZNS1_14partition_implILS5_5ELb0ES3_mN6thrust23THRUST_200600_302600_NS6detail15normal_iteratorINSA_10device_ptrIyEEEEPS6_NSA_18transform_iteratorINSB_9not_fun_tINSA_8identityIyEEEESF_NSA_11use_defaultESM_EENS0_5tupleIJSF_S6_EEENSO_IJSG_SG_EEES6_PlJS6_EEE10hipError_tPvRmT3_T4_T5_T6_T7_T9_mT8_P12ihipStream_tbDpT10_ENKUlT_T0_E_clISt17integral_constantIbLb1EES1B_EEDaS16_S17_EUlS16_E_NS1_11comp_targetILNS1_3genE2ELNS1_11target_archE906ELNS1_3gpuE6ELNS1_3repE0EEENS1_30default_config_static_selectorELNS0_4arch9wavefront6targetE0EEEvT1_
	.globl	_ZN7rocprim17ROCPRIM_400000_NS6detail17trampoline_kernelINS0_14default_configENS1_25partition_config_selectorILNS1_17partition_subalgoE5EyNS0_10empty_typeEbEEZZNS1_14partition_implILS5_5ELb0ES3_mN6thrust23THRUST_200600_302600_NS6detail15normal_iteratorINSA_10device_ptrIyEEEEPS6_NSA_18transform_iteratorINSB_9not_fun_tINSA_8identityIyEEEESF_NSA_11use_defaultESM_EENS0_5tupleIJSF_S6_EEENSO_IJSG_SG_EEES6_PlJS6_EEE10hipError_tPvRmT3_T4_T5_T6_T7_T9_mT8_P12ihipStream_tbDpT10_ENKUlT_T0_E_clISt17integral_constantIbLb1EES1B_EEDaS16_S17_EUlS16_E_NS1_11comp_targetILNS1_3genE2ELNS1_11target_archE906ELNS1_3gpuE6ELNS1_3repE0EEENS1_30default_config_static_selectorELNS0_4arch9wavefront6targetE0EEEvT1_
	.p2align	8
	.type	_ZN7rocprim17ROCPRIM_400000_NS6detail17trampoline_kernelINS0_14default_configENS1_25partition_config_selectorILNS1_17partition_subalgoE5EyNS0_10empty_typeEbEEZZNS1_14partition_implILS5_5ELb0ES3_mN6thrust23THRUST_200600_302600_NS6detail15normal_iteratorINSA_10device_ptrIyEEEEPS6_NSA_18transform_iteratorINSB_9not_fun_tINSA_8identityIyEEEESF_NSA_11use_defaultESM_EENS0_5tupleIJSF_S6_EEENSO_IJSG_SG_EEES6_PlJS6_EEE10hipError_tPvRmT3_T4_T5_T6_T7_T9_mT8_P12ihipStream_tbDpT10_ENKUlT_T0_E_clISt17integral_constantIbLb1EES1B_EEDaS16_S17_EUlS16_E_NS1_11comp_targetILNS1_3genE2ELNS1_11target_archE906ELNS1_3gpuE6ELNS1_3repE0EEENS1_30default_config_static_selectorELNS0_4arch9wavefront6targetE0EEEvT1_,@function
_ZN7rocprim17ROCPRIM_400000_NS6detail17trampoline_kernelINS0_14default_configENS1_25partition_config_selectorILNS1_17partition_subalgoE5EyNS0_10empty_typeEbEEZZNS1_14partition_implILS5_5ELb0ES3_mN6thrust23THRUST_200600_302600_NS6detail15normal_iteratorINSA_10device_ptrIyEEEEPS6_NSA_18transform_iteratorINSB_9not_fun_tINSA_8identityIyEEEESF_NSA_11use_defaultESM_EENS0_5tupleIJSF_S6_EEENSO_IJSG_SG_EEES6_PlJS6_EEE10hipError_tPvRmT3_T4_T5_T6_T7_T9_mT8_P12ihipStream_tbDpT10_ENKUlT_T0_E_clISt17integral_constantIbLb1EES1B_EEDaS16_S17_EUlS16_E_NS1_11comp_targetILNS1_3genE2ELNS1_11target_archE906ELNS1_3gpuE6ELNS1_3repE0EEENS1_30default_config_static_selectorELNS0_4arch9wavefront6targetE0EEEvT1_: ; @_ZN7rocprim17ROCPRIM_400000_NS6detail17trampoline_kernelINS0_14default_configENS1_25partition_config_selectorILNS1_17partition_subalgoE5EyNS0_10empty_typeEbEEZZNS1_14partition_implILS5_5ELb0ES3_mN6thrust23THRUST_200600_302600_NS6detail15normal_iteratorINSA_10device_ptrIyEEEEPS6_NSA_18transform_iteratorINSB_9not_fun_tINSA_8identityIyEEEESF_NSA_11use_defaultESM_EENS0_5tupleIJSF_S6_EEENSO_IJSG_SG_EEES6_PlJS6_EEE10hipError_tPvRmT3_T4_T5_T6_T7_T9_mT8_P12ihipStream_tbDpT10_ENKUlT_T0_E_clISt17integral_constantIbLb1EES1B_EEDaS16_S17_EUlS16_E_NS1_11comp_targetILNS1_3genE2ELNS1_11target_archE906ELNS1_3gpuE6ELNS1_3repE0EEENS1_30default_config_static_selectorELNS0_4arch9wavefront6targetE0EEEvT1_
; %bb.0:
	.section	.rodata,"a",@progbits
	.p2align	6, 0x0
	.amdhsa_kernel _ZN7rocprim17ROCPRIM_400000_NS6detail17trampoline_kernelINS0_14default_configENS1_25partition_config_selectorILNS1_17partition_subalgoE5EyNS0_10empty_typeEbEEZZNS1_14partition_implILS5_5ELb0ES3_mN6thrust23THRUST_200600_302600_NS6detail15normal_iteratorINSA_10device_ptrIyEEEEPS6_NSA_18transform_iteratorINSB_9not_fun_tINSA_8identityIyEEEESF_NSA_11use_defaultESM_EENS0_5tupleIJSF_S6_EEENSO_IJSG_SG_EEES6_PlJS6_EEE10hipError_tPvRmT3_T4_T5_T6_T7_T9_mT8_P12ihipStream_tbDpT10_ENKUlT_T0_E_clISt17integral_constantIbLb1EES1B_EEDaS16_S17_EUlS16_E_NS1_11comp_targetILNS1_3genE2ELNS1_11target_archE906ELNS1_3gpuE6ELNS1_3repE0EEENS1_30default_config_static_selectorELNS0_4arch9wavefront6targetE0EEEvT1_
		.amdhsa_group_segment_fixed_size 0
		.amdhsa_private_segment_fixed_size 0
		.amdhsa_kernarg_size 136
		.amdhsa_user_sgpr_count 2
		.amdhsa_user_sgpr_dispatch_ptr 0
		.amdhsa_user_sgpr_queue_ptr 0
		.amdhsa_user_sgpr_kernarg_segment_ptr 1
		.amdhsa_user_sgpr_dispatch_id 0
		.amdhsa_user_sgpr_private_segment_size 0
		.amdhsa_wavefront_size32 1
		.amdhsa_uses_dynamic_stack 0
		.amdhsa_enable_private_segment 0
		.amdhsa_system_sgpr_workgroup_id_x 1
		.amdhsa_system_sgpr_workgroup_id_y 0
		.amdhsa_system_sgpr_workgroup_id_z 0
		.amdhsa_system_sgpr_workgroup_info 0
		.amdhsa_system_vgpr_workitem_id 0
		.amdhsa_next_free_vgpr 1
		.amdhsa_next_free_sgpr 1
		.amdhsa_reserve_vcc 0
		.amdhsa_float_round_mode_32 0
		.amdhsa_float_round_mode_16_64 0
		.amdhsa_float_denorm_mode_32 3
		.amdhsa_float_denorm_mode_16_64 3
		.amdhsa_fp16_overflow 0
		.amdhsa_workgroup_processor_mode 1
		.amdhsa_memory_ordered 1
		.amdhsa_forward_progress 1
		.amdhsa_inst_pref_size 0
		.amdhsa_round_robin_scheduling 0
		.amdhsa_exception_fp_ieee_invalid_op 0
		.amdhsa_exception_fp_denorm_src 0
		.amdhsa_exception_fp_ieee_div_zero 0
		.amdhsa_exception_fp_ieee_overflow 0
		.amdhsa_exception_fp_ieee_underflow 0
		.amdhsa_exception_fp_ieee_inexact 0
		.amdhsa_exception_int_div_zero 0
	.end_amdhsa_kernel
	.section	.text._ZN7rocprim17ROCPRIM_400000_NS6detail17trampoline_kernelINS0_14default_configENS1_25partition_config_selectorILNS1_17partition_subalgoE5EyNS0_10empty_typeEbEEZZNS1_14partition_implILS5_5ELb0ES3_mN6thrust23THRUST_200600_302600_NS6detail15normal_iteratorINSA_10device_ptrIyEEEEPS6_NSA_18transform_iteratorINSB_9not_fun_tINSA_8identityIyEEEESF_NSA_11use_defaultESM_EENS0_5tupleIJSF_S6_EEENSO_IJSG_SG_EEES6_PlJS6_EEE10hipError_tPvRmT3_T4_T5_T6_T7_T9_mT8_P12ihipStream_tbDpT10_ENKUlT_T0_E_clISt17integral_constantIbLb1EES1B_EEDaS16_S17_EUlS16_E_NS1_11comp_targetILNS1_3genE2ELNS1_11target_archE906ELNS1_3gpuE6ELNS1_3repE0EEENS1_30default_config_static_selectorELNS0_4arch9wavefront6targetE0EEEvT1_,"axG",@progbits,_ZN7rocprim17ROCPRIM_400000_NS6detail17trampoline_kernelINS0_14default_configENS1_25partition_config_selectorILNS1_17partition_subalgoE5EyNS0_10empty_typeEbEEZZNS1_14partition_implILS5_5ELb0ES3_mN6thrust23THRUST_200600_302600_NS6detail15normal_iteratorINSA_10device_ptrIyEEEEPS6_NSA_18transform_iteratorINSB_9not_fun_tINSA_8identityIyEEEESF_NSA_11use_defaultESM_EENS0_5tupleIJSF_S6_EEENSO_IJSG_SG_EEES6_PlJS6_EEE10hipError_tPvRmT3_T4_T5_T6_T7_T9_mT8_P12ihipStream_tbDpT10_ENKUlT_T0_E_clISt17integral_constantIbLb1EES1B_EEDaS16_S17_EUlS16_E_NS1_11comp_targetILNS1_3genE2ELNS1_11target_archE906ELNS1_3gpuE6ELNS1_3repE0EEENS1_30default_config_static_selectorELNS0_4arch9wavefront6targetE0EEEvT1_,comdat
.Lfunc_end865:
	.size	_ZN7rocprim17ROCPRIM_400000_NS6detail17trampoline_kernelINS0_14default_configENS1_25partition_config_selectorILNS1_17partition_subalgoE5EyNS0_10empty_typeEbEEZZNS1_14partition_implILS5_5ELb0ES3_mN6thrust23THRUST_200600_302600_NS6detail15normal_iteratorINSA_10device_ptrIyEEEEPS6_NSA_18transform_iteratorINSB_9not_fun_tINSA_8identityIyEEEESF_NSA_11use_defaultESM_EENS0_5tupleIJSF_S6_EEENSO_IJSG_SG_EEES6_PlJS6_EEE10hipError_tPvRmT3_T4_T5_T6_T7_T9_mT8_P12ihipStream_tbDpT10_ENKUlT_T0_E_clISt17integral_constantIbLb1EES1B_EEDaS16_S17_EUlS16_E_NS1_11comp_targetILNS1_3genE2ELNS1_11target_archE906ELNS1_3gpuE6ELNS1_3repE0EEENS1_30default_config_static_selectorELNS0_4arch9wavefront6targetE0EEEvT1_, .Lfunc_end865-_ZN7rocprim17ROCPRIM_400000_NS6detail17trampoline_kernelINS0_14default_configENS1_25partition_config_selectorILNS1_17partition_subalgoE5EyNS0_10empty_typeEbEEZZNS1_14partition_implILS5_5ELb0ES3_mN6thrust23THRUST_200600_302600_NS6detail15normal_iteratorINSA_10device_ptrIyEEEEPS6_NSA_18transform_iteratorINSB_9not_fun_tINSA_8identityIyEEEESF_NSA_11use_defaultESM_EENS0_5tupleIJSF_S6_EEENSO_IJSG_SG_EEES6_PlJS6_EEE10hipError_tPvRmT3_T4_T5_T6_T7_T9_mT8_P12ihipStream_tbDpT10_ENKUlT_T0_E_clISt17integral_constantIbLb1EES1B_EEDaS16_S17_EUlS16_E_NS1_11comp_targetILNS1_3genE2ELNS1_11target_archE906ELNS1_3gpuE6ELNS1_3repE0EEENS1_30default_config_static_selectorELNS0_4arch9wavefront6targetE0EEEvT1_
                                        ; -- End function
	.set _ZN7rocprim17ROCPRIM_400000_NS6detail17trampoline_kernelINS0_14default_configENS1_25partition_config_selectorILNS1_17partition_subalgoE5EyNS0_10empty_typeEbEEZZNS1_14partition_implILS5_5ELb0ES3_mN6thrust23THRUST_200600_302600_NS6detail15normal_iteratorINSA_10device_ptrIyEEEEPS6_NSA_18transform_iteratorINSB_9not_fun_tINSA_8identityIyEEEESF_NSA_11use_defaultESM_EENS0_5tupleIJSF_S6_EEENSO_IJSG_SG_EEES6_PlJS6_EEE10hipError_tPvRmT3_T4_T5_T6_T7_T9_mT8_P12ihipStream_tbDpT10_ENKUlT_T0_E_clISt17integral_constantIbLb1EES1B_EEDaS16_S17_EUlS16_E_NS1_11comp_targetILNS1_3genE2ELNS1_11target_archE906ELNS1_3gpuE6ELNS1_3repE0EEENS1_30default_config_static_selectorELNS0_4arch9wavefront6targetE0EEEvT1_.num_vgpr, 0
	.set _ZN7rocprim17ROCPRIM_400000_NS6detail17trampoline_kernelINS0_14default_configENS1_25partition_config_selectorILNS1_17partition_subalgoE5EyNS0_10empty_typeEbEEZZNS1_14partition_implILS5_5ELb0ES3_mN6thrust23THRUST_200600_302600_NS6detail15normal_iteratorINSA_10device_ptrIyEEEEPS6_NSA_18transform_iteratorINSB_9not_fun_tINSA_8identityIyEEEESF_NSA_11use_defaultESM_EENS0_5tupleIJSF_S6_EEENSO_IJSG_SG_EEES6_PlJS6_EEE10hipError_tPvRmT3_T4_T5_T6_T7_T9_mT8_P12ihipStream_tbDpT10_ENKUlT_T0_E_clISt17integral_constantIbLb1EES1B_EEDaS16_S17_EUlS16_E_NS1_11comp_targetILNS1_3genE2ELNS1_11target_archE906ELNS1_3gpuE6ELNS1_3repE0EEENS1_30default_config_static_selectorELNS0_4arch9wavefront6targetE0EEEvT1_.num_agpr, 0
	.set _ZN7rocprim17ROCPRIM_400000_NS6detail17trampoline_kernelINS0_14default_configENS1_25partition_config_selectorILNS1_17partition_subalgoE5EyNS0_10empty_typeEbEEZZNS1_14partition_implILS5_5ELb0ES3_mN6thrust23THRUST_200600_302600_NS6detail15normal_iteratorINSA_10device_ptrIyEEEEPS6_NSA_18transform_iteratorINSB_9not_fun_tINSA_8identityIyEEEESF_NSA_11use_defaultESM_EENS0_5tupleIJSF_S6_EEENSO_IJSG_SG_EEES6_PlJS6_EEE10hipError_tPvRmT3_T4_T5_T6_T7_T9_mT8_P12ihipStream_tbDpT10_ENKUlT_T0_E_clISt17integral_constantIbLb1EES1B_EEDaS16_S17_EUlS16_E_NS1_11comp_targetILNS1_3genE2ELNS1_11target_archE906ELNS1_3gpuE6ELNS1_3repE0EEENS1_30default_config_static_selectorELNS0_4arch9wavefront6targetE0EEEvT1_.numbered_sgpr, 0
	.set _ZN7rocprim17ROCPRIM_400000_NS6detail17trampoline_kernelINS0_14default_configENS1_25partition_config_selectorILNS1_17partition_subalgoE5EyNS0_10empty_typeEbEEZZNS1_14partition_implILS5_5ELb0ES3_mN6thrust23THRUST_200600_302600_NS6detail15normal_iteratorINSA_10device_ptrIyEEEEPS6_NSA_18transform_iteratorINSB_9not_fun_tINSA_8identityIyEEEESF_NSA_11use_defaultESM_EENS0_5tupleIJSF_S6_EEENSO_IJSG_SG_EEES6_PlJS6_EEE10hipError_tPvRmT3_T4_T5_T6_T7_T9_mT8_P12ihipStream_tbDpT10_ENKUlT_T0_E_clISt17integral_constantIbLb1EES1B_EEDaS16_S17_EUlS16_E_NS1_11comp_targetILNS1_3genE2ELNS1_11target_archE906ELNS1_3gpuE6ELNS1_3repE0EEENS1_30default_config_static_selectorELNS0_4arch9wavefront6targetE0EEEvT1_.num_named_barrier, 0
	.set _ZN7rocprim17ROCPRIM_400000_NS6detail17trampoline_kernelINS0_14default_configENS1_25partition_config_selectorILNS1_17partition_subalgoE5EyNS0_10empty_typeEbEEZZNS1_14partition_implILS5_5ELb0ES3_mN6thrust23THRUST_200600_302600_NS6detail15normal_iteratorINSA_10device_ptrIyEEEEPS6_NSA_18transform_iteratorINSB_9not_fun_tINSA_8identityIyEEEESF_NSA_11use_defaultESM_EENS0_5tupleIJSF_S6_EEENSO_IJSG_SG_EEES6_PlJS6_EEE10hipError_tPvRmT3_T4_T5_T6_T7_T9_mT8_P12ihipStream_tbDpT10_ENKUlT_T0_E_clISt17integral_constantIbLb1EES1B_EEDaS16_S17_EUlS16_E_NS1_11comp_targetILNS1_3genE2ELNS1_11target_archE906ELNS1_3gpuE6ELNS1_3repE0EEENS1_30default_config_static_selectorELNS0_4arch9wavefront6targetE0EEEvT1_.private_seg_size, 0
	.set _ZN7rocprim17ROCPRIM_400000_NS6detail17trampoline_kernelINS0_14default_configENS1_25partition_config_selectorILNS1_17partition_subalgoE5EyNS0_10empty_typeEbEEZZNS1_14partition_implILS5_5ELb0ES3_mN6thrust23THRUST_200600_302600_NS6detail15normal_iteratorINSA_10device_ptrIyEEEEPS6_NSA_18transform_iteratorINSB_9not_fun_tINSA_8identityIyEEEESF_NSA_11use_defaultESM_EENS0_5tupleIJSF_S6_EEENSO_IJSG_SG_EEES6_PlJS6_EEE10hipError_tPvRmT3_T4_T5_T6_T7_T9_mT8_P12ihipStream_tbDpT10_ENKUlT_T0_E_clISt17integral_constantIbLb1EES1B_EEDaS16_S17_EUlS16_E_NS1_11comp_targetILNS1_3genE2ELNS1_11target_archE906ELNS1_3gpuE6ELNS1_3repE0EEENS1_30default_config_static_selectorELNS0_4arch9wavefront6targetE0EEEvT1_.uses_vcc, 0
	.set _ZN7rocprim17ROCPRIM_400000_NS6detail17trampoline_kernelINS0_14default_configENS1_25partition_config_selectorILNS1_17partition_subalgoE5EyNS0_10empty_typeEbEEZZNS1_14partition_implILS5_5ELb0ES3_mN6thrust23THRUST_200600_302600_NS6detail15normal_iteratorINSA_10device_ptrIyEEEEPS6_NSA_18transform_iteratorINSB_9not_fun_tINSA_8identityIyEEEESF_NSA_11use_defaultESM_EENS0_5tupleIJSF_S6_EEENSO_IJSG_SG_EEES6_PlJS6_EEE10hipError_tPvRmT3_T4_T5_T6_T7_T9_mT8_P12ihipStream_tbDpT10_ENKUlT_T0_E_clISt17integral_constantIbLb1EES1B_EEDaS16_S17_EUlS16_E_NS1_11comp_targetILNS1_3genE2ELNS1_11target_archE906ELNS1_3gpuE6ELNS1_3repE0EEENS1_30default_config_static_selectorELNS0_4arch9wavefront6targetE0EEEvT1_.uses_flat_scratch, 0
	.set _ZN7rocprim17ROCPRIM_400000_NS6detail17trampoline_kernelINS0_14default_configENS1_25partition_config_selectorILNS1_17partition_subalgoE5EyNS0_10empty_typeEbEEZZNS1_14partition_implILS5_5ELb0ES3_mN6thrust23THRUST_200600_302600_NS6detail15normal_iteratorINSA_10device_ptrIyEEEEPS6_NSA_18transform_iteratorINSB_9not_fun_tINSA_8identityIyEEEESF_NSA_11use_defaultESM_EENS0_5tupleIJSF_S6_EEENSO_IJSG_SG_EEES6_PlJS6_EEE10hipError_tPvRmT3_T4_T5_T6_T7_T9_mT8_P12ihipStream_tbDpT10_ENKUlT_T0_E_clISt17integral_constantIbLb1EES1B_EEDaS16_S17_EUlS16_E_NS1_11comp_targetILNS1_3genE2ELNS1_11target_archE906ELNS1_3gpuE6ELNS1_3repE0EEENS1_30default_config_static_selectorELNS0_4arch9wavefront6targetE0EEEvT1_.has_dyn_sized_stack, 0
	.set _ZN7rocprim17ROCPRIM_400000_NS6detail17trampoline_kernelINS0_14default_configENS1_25partition_config_selectorILNS1_17partition_subalgoE5EyNS0_10empty_typeEbEEZZNS1_14partition_implILS5_5ELb0ES3_mN6thrust23THRUST_200600_302600_NS6detail15normal_iteratorINSA_10device_ptrIyEEEEPS6_NSA_18transform_iteratorINSB_9not_fun_tINSA_8identityIyEEEESF_NSA_11use_defaultESM_EENS0_5tupleIJSF_S6_EEENSO_IJSG_SG_EEES6_PlJS6_EEE10hipError_tPvRmT3_T4_T5_T6_T7_T9_mT8_P12ihipStream_tbDpT10_ENKUlT_T0_E_clISt17integral_constantIbLb1EES1B_EEDaS16_S17_EUlS16_E_NS1_11comp_targetILNS1_3genE2ELNS1_11target_archE906ELNS1_3gpuE6ELNS1_3repE0EEENS1_30default_config_static_selectorELNS0_4arch9wavefront6targetE0EEEvT1_.has_recursion, 0
	.set _ZN7rocprim17ROCPRIM_400000_NS6detail17trampoline_kernelINS0_14default_configENS1_25partition_config_selectorILNS1_17partition_subalgoE5EyNS0_10empty_typeEbEEZZNS1_14partition_implILS5_5ELb0ES3_mN6thrust23THRUST_200600_302600_NS6detail15normal_iteratorINSA_10device_ptrIyEEEEPS6_NSA_18transform_iteratorINSB_9not_fun_tINSA_8identityIyEEEESF_NSA_11use_defaultESM_EENS0_5tupleIJSF_S6_EEENSO_IJSG_SG_EEES6_PlJS6_EEE10hipError_tPvRmT3_T4_T5_T6_T7_T9_mT8_P12ihipStream_tbDpT10_ENKUlT_T0_E_clISt17integral_constantIbLb1EES1B_EEDaS16_S17_EUlS16_E_NS1_11comp_targetILNS1_3genE2ELNS1_11target_archE906ELNS1_3gpuE6ELNS1_3repE0EEENS1_30default_config_static_selectorELNS0_4arch9wavefront6targetE0EEEvT1_.has_indirect_call, 0
	.section	.AMDGPU.csdata,"",@progbits
; Kernel info:
; codeLenInByte = 0
; TotalNumSgprs: 0
; NumVgprs: 0
; ScratchSize: 0
; MemoryBound: 0
; FloatMode: 240
; IeeeMode: 1
; LDSByteSize: 0 bytes/workgroup (compile time only)
; SGPRBlocks: 0
; VGPRBlocks: 0
; NumSGPRsForWavesPerEU: 1
; NumVGPRsForWavesPerEU: 1
; Occupancy: 16
; WaveLimiterHint : 0
; COMPUTE_PGM_RSRC2:SCRATCH_EN: 0
; COMPUTE_PGM_RSRC2:USER_SGPR: 2
; COMPUTE_PGM_RSRC2:TRAP_HANDLER: 0
; COMPUTE_PGM_RSRC2:TGID_X_EN: 1
; COMPUTE_PGM_RSRC2:TGID_Y_EN: 0
; COMPUTE_PGM_RSRC2:TGID_Z_EN: 0
; COMPUTE_PGM_RSRC2:TIDIG_COMP_CNT: 0
	.section	.text._ZN7rocprim17ROCPRIM_400000_NS6detail17trampoline_kernelINS0_14default_configENS1_25partition_config_selectorILNS1_17partition_subalgoE5EyNS0_10empty_typeEbEEZZNS1_14partition_implILS5_5ELb0ES3_mN6thrust23THRUST_200600_302600_NS6detail15normal_iteratorINSA_10device_ptrIyEEEEPS6_NSA_18transform_iteratorINSB_9not_fun_tINSA_8identityIyEEEESF_NSA_11use_defaultESM_EENS0_5tupleIJSF_S6_EEENSO_IJSG_SG_EEES6_PlJS6_EEE10hipError_tPvRmT3_T4_T5_T6_T7_T9_mT8_P12ihipStream_tbDpT10_ENKUlT_T0_E_clISt17integral_constantIbLb1EES1B_EEDaS16_S17_EUlS16_E_NS1_11comp_targetILNS1_3genE10ELNS1_11target_archE1200ELNS1_3gpuE4ELNS1_3repE0EEENS1_30default_config_static_selectorELNS0_4arch9wavefront6targetE0EEEvT1_,"axG",@progbits,_ZN7rocprim17ROCPRIM_400000_NS6detail17trampoline_kernelINS0_14default_configENS1_25partition_config_selectorILNS1_17partition_subalgoE5EyNS0_10empty_typeEbEEZZNS1_14partition_implILS5_5ELb0ES3_mN6thrust23THRUST_200600_302600_NS6detail15normal_iteratorINSA_10device_ptrIyEEEEPS6_NSA_18transform_iteratorINSB_9not_fun_tINSA_8identityIyEEEESF_NSA_11use_defaultESM_EENS0_5tupleIJSF_S6_EEENSO_IJSG_SG_EEES6_PlJS6_EEE10hipError_tPvRmT3_T4_T5_T6_T7_T9_mT8_P12ihipStream_tbDpT10_ENKUlT_T0_E_clISt17integral_constantIbLb1EES1B_EEDaS16_S17_EUlS16_E_NS1_11comp_targetILNS1_3genE10ELNS1_11target_archE1200ELNS1_3gpuE4ELNS1_3repE0EEENS1_30default_config_static_selectorELNS0_4arch9wavefront6targetE0EEEvT1_,comdat
	.protected	_ZN7rocprim17ROCPRIM_400000_NS6detail17trampoline_kernelINS0_14default_configENS1_25partition_config_selectorILNS1_17partition_subalgoE5EyNS0_10empty_typeEbEEZZNS1_14partition_implILS5_5ELb0ES3_mN6thrust23THRUST_200600_302600_NS6detail15normal_iteratorINSA_10device_ptrIyEEEEPS6_NSA_18transform_iteratorINSB_9not_fun_tINSA_8identityIyEEEESF_NSA_11use_defaultESM_EENS0_5tupleIJSF_S6_EEENSO_IJSG_SG_EEES6_PlJS6_EEE10hipError_tPvRmT3_T4_T5_T6_T7_T9_mT8_P12ihipStream_tbDpT10_ENKUlT_T0_E_clISt17integral_constantIbLb1EES1B_EEDaS16_S17_EUlS16_E_NS1_11comp_targetILNS1_3genE10ELNS1_11target_archE1200ELNS1_3gpuE4ELNS1_3repE0EEENS1_30default_config_static_selectorELNS0_4arch9wavefront6targetE0EEEvT1_ ; -- Begin function _ZN7rocprim17ROCPRIM_400000_NS6detail17trampoline_kernelINS0_14default_configENS1_25partition_config_selectorILNS1_17partition_subalgoE5EyNS0_10empty_typeEbEEZZNS1_14partition_implILS5_5ELb0ES3_mN6thrust23THRUST_200600_302600_NS6detail15normal_iteratorINSA_10device_ptrIyEEEEPS6_NSA_18transform_iteratorINSB_9not_fun_tINSA_8identityIyEEEESF_NSA_11use_defaultESM_EENS0_5tupleIJSF_S6_EEENSO_IJSG_SG_EEES6_PlJS6_EEE10hipError_tPvRmT3_T4_T5_T6_T7_T9_mT8_P12ihipStream_tbDpT10_ENKUlT_T0_E_clISt17integral_constantIbLb1EES1B_EEDaS16_S17_EUlS16_E_NS1_11comp_targetILNS1_3genE10ELNS1_11target_archE1200ELNS1_3gpuE4ELNS1_3repE0EEENS1_30default_config_static_selectorELNS0_4arch9wavefront6targetE0EEEvT1_
	.globl	_ZN7rocprim17ROCPRIM_400000_NS6detail17trampoline_kernelINS0_14default_configENS1_25partition_config_selectorILNS1_17partition_subalgoE5EyNS0_10empty_typeEbEEZZNS1_14partition_implILS5_5ELb0ES3_mN6thrust23THRUST_200600_302600_NS6detail15normal_iteratorINSA_10device_ptrIyEEEEPS6_NSA_18transform_iteratorINSB_9not_fun_tINSA_8identityIyEEEESF_NSA_11use_defaultESM_EENS0_5tupleIJSF_S6_EEENSO_IJSG_SG_EEES6_PlJS6_EEE10hipError_tPvRmT3_T4_T5_T6_T7_T9_mT8_P12ihipStream_tbDpT10_ENKUlT_T0_E_clISt17integral_constantIbLb1EES1B_EEDaS16_S17_EUlS16_E_NS1_11comp_targetILNS1_3genE10ELNS1_11target_archE1200ELNS1_3gpuE4ELNS1_3repE0EEENS1_30default_config_static_selectorELNS0_4arch9wavefront6targetE0EEEvT1_
	.p2align	8
	.type	_ZN7rocprim17ROCPRIM_400000_NS6detail17trampoline_kernelINS0_14default_configENS1_25partition_config_selectorILNS1_17partition_subalgoE5EyNS0_10empty_typeEbEEZZNS1_14partition_implILS5_5ELb0ES3_mN6thrust23THRUST_200600_302600_NS6detail15normal_iteratorINSA_10device_ptrIyEEEEPS6_NSA_18transform_iteratorINSB_9not_fun_tINSA_8identityIyEEEESF_NSA_11use_defaultESM_EENS0_5tupleIJSF_S6_EEENSO_IJSG_SG_EEES6_PlJS6_EEE10hipError_tPvRmT3_T4_T5_T6_T7_T9_mT8_P12ihipStream_tbDpT10_ENKUlT_T0_E_clISt17integral_constantIbLb1EES1B_EEDaS16_S17_EUlS16_E_NS1_11comp_targetILNS1_3genE10ELNS1_11target_archE1200ELNS1_3gpuE4ELNS1_3repE0EEENS1_30default_config_static_selectorELNS0_4arch9wavefront6targetE0EEEvT1_,@function
_ZN7rocprim17ROCPRIM_400000_NS6detail17trampoline_kernelINS0_14default_configENS1_25partition_config_selectorILNS1_17partition_subalgoE5EyNS0_10empty_typeEbEEZZNS1_14partition_implILS5_5ELb0ES3_mN6thrust23THRUST_200600_302600_NS6detail15normal_iteratorINSA_10device_ptrIyEEEEPS6_NSA_18transform_iteratorINSB_9not_fun_tINSA_8identityIyEEEESF_NSA_11use_defaultESM_EENS0_5tupleIJSF_S6_EEENSO_IJSG_SG_EEES6_PlJS6_EEE10hipError_tPvRmT3_T4_T5_T6_T7_T9_mT8_P12ihipStream_tbDpT10_ENKUlT_T0_E_clISt17integral_constantIbLb1EES1B_EEDaS16_S17_EUlS16_E_NS1_11comp_targetILNS1_3genE10ELNS1_11target_archE1200ELNS1_3gpuE4ELNS1_3repE0EEENS1_30default_config_static_selectorELNS0_4arch9wavefront6targetE0EEEvT1_: ; @_ZN7rocprim17ROCPRIM_400000_NS6detail17trampoline_kernelINS0_14default_configENS1_25partition_config_selectorILNS1_17partition_subalgoE5EyNS0_10empty_typeEbEEZZNS1_14partition_implILS5_5ELb0ES3_mN6thrust23THRUST_200600_302600_NS6detail15normal_iteratorINSA_10device_ptrIyEEEEPS6_NSA_18transform_iteratorINSB_9not_fun_tINSA_8identityIyEEEESF_NSA_11use_defaultESM_EENS0_5tupleIJSF_S6_EEENSO_IJSG_SG_EEES6_PlJS6_EEE10hipError_tPvRmT3_T4_T5_T6_T7_T9_mT8_P12ihipStream_tbDpT10_ENKUlT_T0_E_clISt17integral_constantIbLb1EES1B_EEDaS16_S17_EUlS16_E_NS1_11comp_targetILNS1_3genE10ELNS1_11target_archE1200ELNS1_3gpuE4ELNS1_3repE0EEENS1_30default_config_static_selectorELNS0_4arch9wavefront6targetE0EEEvT1_
; %bb.0:
	s_endpgm
	.section	.rodata,"a",@progbits
	.p2align	6, 0x0
	.amdhsa_kernel _ZN7rocprim17ROCPRIM_400000_NS6detail17trampoline_kernelINS0_14default_configENS1_25partition_config_selectorILNS1_17partition_subalgoE5EyNS0_10empty_typeEbEEZZNS1_14partition_implILS5_5ELb0ES3_mN6thrust23THRUST_200600_302600_NS6detail15normal_iteratorINSA_10device_ptrIyEEEEPS6_NSA_18transform_iteratorINSB_9not_fun_tINSA_8identityIyEEEESF_NSA_11use_defaultESM_EENS0_5tupleIJSF_S6_EEENSO_IJSG_SG_EEES6_PlJS6_EEE10hipError_tPvRmT3_T4_T5_T6_T7_T9_mT8_P12ihipStream_tbDpT10_ENKUlT_T0_E_clISt17integral_constantIbLb1EES1B_EEDaS16_S17_EUlS16_E_NS1_11comp_targetILNS1_3genE10ELNS1_11target_archE1200ELNS1_3gpuE4ELNS1_3repE0EEENS1_30default_config_static_selectorELNS0_4arch9wavefront6targetE0EEEvT1_
		.amdhsa_group_segment_fixed_size 0
		.amdhsa_private_segment_fixed_size 0
		.amdhsa_kernarg_size 136
		.amdhsa_user_sgpr_count 2
		.amdhsa_user_sgpr_dispatch_ptr 0
		.amdhsa_user_sgpr_queue_ptr 0
		.amdhsa_user_sgpr_kernarg_segment_ptr 1
		.amdhsa_user_sgpr_dispatch_id 0
		.amdhsa_user_sgpr_private_segment_size 0
		.amdhsa_wavefront_size32 1
		.amdhsa_uses_dynamic_stack 0
		.amdhsa_enable_private_segment 0
		.amdhsa_system_sgpr_workgroup_id_x 1
		.amdhsa_system_sgpr_workgroup_id_y 0
		.amdhsa_system_sgpr_workgroup_id_z 0
		.amdhsa_system_sgpr_workgroup_info 0
		.amdhsa_system_vgpr_workitem_id 0
		.amdhsa_next_free_vgpr 1
		.amdhsa_next_free_sgpr 1
		.amdhsa_reserve_vcc 0
		.amdhsa_float_round_mode_32 0
		.amdhsa_float_round_mode_16_64 0
		.amdhsa_float_denorm_mode_32 3
		.amdhsa_float_denorm_mode_16_64 3
		.amdhsa_fp16_overflow 0
		.amdhsa_workgroup_processor_mode 1
		.amdhsa_memory_ordered 1
		.amdhsa_forward_progress 1
		.amdhsa_inst_pref_size 1
		.amdhsa_round_robin_scheduling 0
		.amdhsa_exception_fp_ieee_invalid_op 0
		.amdhsa_exception_fp_denorm_src 0
		.amdhsa_exception_fp_ieee_div_zero 0
		.amdhsa_exception_fp_ieee_overflow 0
		.amdhsa_exception_fp_ieee_underflow 0
		.amdhsa_exception_fp_ieee_inexact 0
		.amdhsa_exception_int_div_zero 0
	.end_amdhsa_kernel
	.section	.text._ZN7rocprim17ROCPRIM_400000_NS6detail17trampoline_kernelINS0_14default_configENS1_25partition_config_selectorILNS1_17partition_subalgoE5EyNS0_10empty_typeEbEEZZNS1_14partition_implILS5_5ELb0ES3_mN6thrust23THRUST_200600_302600_NS6detail15normal_iteratorINSA_10device_ptrIyEEEEPS6_NSA_18transform_iteratorINSB_9not_fun_tINSA_8identityIyEEEESF_NSA_11use_defaultESM_EENS0_5tupleIJSF_S6_EEENSO_IJSG_SG_EEES6_PlJS6_EEE10hipError_tPvRmT3_T4_T5_T6_T7_T9_mT8_P12ihipStream_tbDpT10_ENKUlT_T0_E_clISt17integral_constantIbLb1EES1B_EEDaS16_S17_EUlS16_E_NS1_11comp_targetILNS1_3genE10ELNS1_11target_archE1200ELNS1_3gpuE4ELNS1_3repE0EEENS1_30default_config_static_selectorELNS0_4arch9wavefront6targetE0EEEvT1_,"axG",@progbits,_ZN7rocprim17ROCPRIM_400000_NS6detail17trampoline_kernelINS0_14default_configENS1_25partition_config_selectorILNS1_17partition_subalgoE5EyNS0_10empty_typeEbEEZZNS1_14partition_implILS5_5ELb0ES3_mN6thrust23THRUST_200600_302600_NS6detail15normal_iteratorINSA_10device_ptrIyEEEEPS6_NSA_18transform_iteratorINSB_9not_fun_tINSA_8identityIyEEEESF_NSA_11use_defaultESM_EENS0_5tupleIJSF_S6_EEENSO_IJSG_SG_EEES6_PlJS6_EEE10hipError_tPvRmT3_T4_T5_T6_T7_T9_mT8_P12ihipStream_tbDpT10_ENKUlT_T0_E_clISt17integral_constantIbLb1EES1B_EEDaS16_S17_EUlS16_E_NS1_11comp_targetILNS1_3genE10ELNS1_11target_archE1200ELNS1_3gpuE4ELNS1_3repE0EEENS1_30default_config_static_selectorELNS0_4arch9wavefront6targetE0EEEvT1_,comdat
.Lfunc_end866:
	.size	_ZN7rocprim17ROCPRIM_400000_NS6detail17trampoline_kernelINS0_14default_configENS1_25partition_config_selectorILNS1_17partition_subalgoE5EyNS0_10empty_typeEbEEZZNS1_14partition_implILS5_5ELb0ES3_mN6thrust23THRUST_200600_302600_NS6detail15normal_iteratorINSA_10device_ptrIyEEEEPS6_NSA_18transform_iteratorINSB_9not_fun_tINSA_8identityIyEEEESF_NSA_11use_defaultESM_EENS0_5tupleIJSF_S6_EEENSO_IJSG_SG_EEES6_PlJS6_EEE10hipError_tPvRmT3_T4_T5_T6_T7_T9_mT8_P12ihipStream_tbDpT10_ENKUlT_T0_E_clISt17integral_constantIbLb1EES1B_EEDaS16_S17_EUlS16_E_NS1_11comp_targetILNS1_3genE10ELNS1_11target_archE1200ELNS1_3gpuE4ELNS1_3repE0EEENS1_30default_config_static_selectorELNS0_4arch9wavefront6targetE0EEEvT1_, .Lfunc_end866-_ZN7rocprim17ROCPRIM_400000_NS6detail17trampoline_kernelINS0_14default_configENS1_25partition_config_selectorILNS1_17partition_subalgoE5EyNS0_10empty_typeEbEEZZNS1_14partition_implILS5_5ELb0ES3_mN6thrust23THRUST_200600_302600_NS6detail15normal_iteratorINSA_10device_ptrIyEEEEPS6_NSA_18transform_iteratorINSB_9not_fun_tINSA_8identityIyEEEESF_NSA_11use_defaultESM_EENS0_5tupleIJSF_S6_EEENSO_IJSG_SG_EEES6_PlJS6_EEE10hipError_tPvRmT3_T4_T5_T6_T7_T9_mT8_P12ihipStream_tbDpT10_ENKUlT_T0_E_clISt17integral_constantIbLb1EES1B_EEDaS16_S17_EUlS16_E_NS1_11comp_targetILNS1_3genE10ELNS1_11target_archE1200ELNS1_3gpuE4ELNS1_3repE0EEENS1_30default_config_static_selectorELNS0_4arch9wavefront6targetE0EEEvT1_
                                        ; -- End function
	.set _ZN7rocprim17ROCPRIM_400000_NS6detail17trampoline_kernelINS0_14default_configENS1_25partition_config_selectorILNS1_17partition_subalgoE5EyNS0_10empty_typeEbEEZZNS1_14partition_implILS5_5ELb0ES3_mN6thrust23THRUST_200600_302600_NS6detail15normal_iteratorINSA_10device_ptrIyEEEEPS6_NSA_18transform_iteratorINSB_9not_fun_tINSA_8identityIyEEEESF_NSA_11use_defaultESM_EENS0_5tupleIJSF_S6_EEENSO_IJSG_SG_EEES6_PlJS6_EEE10hipError_tPvRmT3_T4_T5_T6_T7_T9_mT8_P12ihipStream_tbDpT10_ENKUlT_T0_E_clISt17integral_constantIbLb1EES1B_EEDaS16_S17_EUlS16_E_NS1_11comp_targetILNS1_3genE10ELNS1_11target_archE1200ELNS1_3gpuE4ELNS1_3repE0EEENS1_30default_config_static_selectorELNS0_4arch9wavefront6targetE0EEEvT1_.num_vgpr, 0
	.set _ZN7rocprim17ROCPRIM_400000_NS6detail17trampoline_kernelINS0_14default_configENS1_25partition_config_selectorILNS1_17partition_subalgoE5EyNS0_10empty_typeEbEEZZNS1_14partition_implILS5_5ELb0ES3_mN6thrust23THRUST_200600_302600_NS6detail15normal_iteratorINSA_10device_ptrIyEEEEPS6_NSA_18transform_iteratorINSB_9not_fun_tINSA_8identityIyEEEESF_NSA_11use_defaultESM_EENS0_5tupleIJSF_S6_EEENSO_IJSG_SG_EEES6_PlJS6_EEE10hipError_tPvRmT3_T4_T5_T6_T7_T9_mT8_P12ihipStream_tbDpT10_ENKUlT_T0_E_clISt17integral_constantIbLb1EES1B_EEDaS16_S17_EUlS16_E_NS1_11comp_targetILNS1_3genE10ELNS1_11target_archE1200ELNS1_3gpuE4ELNS1_3repE0EEENS1_30default_config_static_selectorELNS0_4arch9wavefront6targetE0EEEvT1_.num_agpr, 0
	.set _ZN7rocprim17ROCPRIM_400000_NS6detail17trampoline_kernelINS0_14default_configENS1_25partition_config_selectorILNS1_17partition_subalgoE5EyNS0_10empty_typeEbEEZZNS1_14partition_implILS5_5ELb0ES3_mN6thrust23THRUST_200600_302600_NS6detail15normal_iteratorINSA_10device_ptrIyEEEEPS6_NSA_18transform_iteratorINSB_9not_fun_tINSA_8identityIyEEEESF_NSA_11use_defaultESM_EENS0_5tupleIJSF_S6_EEENSO_IJSG_SG_EEES6_PlJS6_EEE10hipError_tPvRmT3_T4_T5_T6_T7_T9_mT8_P12ihipStream_tbDpT10_ENKUlT_T0_E_clISt17integral_constantIbLb1EES1B_EEDaS16_S17_EUlS16_E_NS1_11comp_targetILNS1_3genE10ELNS1_11target_archE1200ELNS1_3gpuE4ELNS1_3repE0EEENS1_30default_config_static_selectorELNS0_4arch9wavefront6targetE0EEEvT1_.numbered_sgpr, 0
	.set _ZN7rocprim17ROCPRIM_400000_NS6detail17trampoline_kernelINS0_14default_configENS1_25partition_config_selectorILNS1_17partition_subalgoE5EyNS0_10empty_typeEbEEZZNS1_14partition_implILS5_5ELb0ES3_mN6thrust23THRUST_200600_302600_NS6detail15normal_iteratorINSA_10device_ptrIyEEEEPS6_NSA_18transform_iteratorINSB_9not_fun_tINSA_8identityIyEEEESF_NSA_11use_defaultESM_EENS0_5tupleIJSF_S6_EEENSO_IJSG_SG_EEES6_PlJS6_EEE10hipError_tPvRmT3_T4_T5_T6_T7_T9_mT8_P12ihipStream_tbDpT10_ENKUlT_T0_E_clISt17integral_constantIbLb1EES1B_EEDaS16_S17_EUlS16_E_NS1_11comp_targetILNS1_3genE10ELNS1_11target_archE1200ELNS1_3gpuE4ELNS1_3repE0EEENS1_30default_config_static_selectorELNS0_4arch9wavefront6targetE0EEEvT1_.num_named_barrier, 0
	.set _ZN7rocprim17ROCPRIM_400000_NS6detail17trampoline_kernelINS0_14default_configENS1_25partition_config_selectorILNS1_17partition_subalgoE5EyNS0_10empty_typeEbEEZZNS1_14partition_implILS5_5ELb0ES3_mN6thrust23THRUST_200600_302600_NS6detail15normal_iteratorINSA_10device_ptrIyEEEEPS6_NSA_18transform_iteratorINSB_9not_fun_tINSA_8identityIyEEEESF_NSA_11use_defaultESM_EENS0_5tupleIJSF_S6_EEENSO_IJSG_SG_EEES6_PlJS6_EEE10hipError_tPvRmT3_T4_T5_T6_T7_T9_mT8_P12ihipStream_tbDpT10_ENKUlT_T0_E_clISt17integral_constantIbLb1EES1B_EEDaS16_S17_EUlS16_E_NS1_11comp_targetILNS1_3genE10ELNS1_11target_archE1200ELNS1_3gpuE4ELNS1_3repE0EEENS1_30default_config_static_selectorELNS0_4arch9wavefront6targetE0EEEvT1_.private_seg_size, 0
	.set _ZN7rocprim17ROCPRIM_400000_NS6detail17trampoline_kernelINS0_14default_configENS1_25partition_config_selectorILNS1_17partition_subalgoE5EyNS0_10empty_typeEbEEZZNS1_14partition_implILS5_5ELb0ES3_mN6thrust23THRUST_200600_302600_NS6detail15normal_iteratorINSA_10device_ptrIyEEEEPS6_NSA_18transform_iteratorINSB_9not_fun_tINSA_8identityIyEEEESF_NSA_11use_defaultESM_EENS0_5tupleIJSF_S6_EEENSO_IJSG_SG_EEES6_PlJS6_EEE10hipError_tPvRmT3_T4_T5_T6_T7_T9_mT8_P12ihipStream_tbDpT10_ENKUlT_T0_E_clISt17integral_constantIbLb1EES1B_EEDaS16_S17_EUlS16_E_NS1_11comp_targetILNS1_3genE10ELNS1_11target_archE1200ELNS1_3gpuE4ELNS1_3repE0EEENS1_30default_config_static_selectorELNS0_4arch9wavefront6targetE0EEEvT1_.uses_vcc, 0
	.set _ZN7rocprim17ROCPRIM_400000_NS6detail17trampoline_kernelINS0_14default_configENS1_25partition_config_selectorILNS1_17partition_subalgoE5EyNS0_10empty_typeEbEEZZNS1_14partition_implILS5_5ELb0ES3_mN6thrust23THRUST_200600_302600_NS6detail15normal_iteratorINSA_10device_ptrIyEEEEPS6_NSA_18transform_iteratorINSB_9not_fun_tINSA_8identityIyEEEESF_NSA_11use_defaultESM_EENS0_5tupleIJSF_S6_EEENSO_IJSG_SG_EEES6_PlJS6_EEE10hipError_tPvRmT3_T4_T5_T6_T7_T9_mT8_P12ihipStream_tbDpT10_ENKUlT_T0_E_clISt17integral_constantIbLb1EES1B_EEDaS16_S17_EUlS16_E_NS1_11comp_targetILNS1_3genE10ELNS1_11target_archE1200ELNS1_3gpuE4ELNS1_3repE0EEENS1_30default_config_static_selectorELNS0_4arch9wavefront6targetE0EEEvT1_.uses_flat_scratch, 0
	.set _ZN7rocprim17ROCPRIM_400000_NS6detail17trampoline_kernelINS0_14default_configENS1_25partition_config_selectorILNS1_17partition_subalgoE5EyNS0_10empty_typeEbEEZZNS1_14partition_implILS5_5ELb0ES3_mN6thrust23THRUST_200600_302600_NS6detail15normal_iteratorINSA_10device_ptrIyEEEEPS6_NSA_18transform_iteratorINSB_9not_fun_tINSA_8identityIyEEEESF_NSA_11use_defaultESM_EENS0_5tupleIJSF_S6_EEENSO_IJSG_SG_EEES6_PlJS6_EEE10hipError_tPvRmT3_T4_T5_T6_T7_T9_mT8_P12ihipStream_tbDpT10_ENKUlT_T0_E_clISt17integral_constantIbLb1EES1B_EEDaS16_S17_EUlS16_E_NS1_11comp_targetILNS1_3genE10ELNS1_11target_archE1200ELNS1_3gpuE4ELNS1_3repE0EEENS1_30default_config_static_selectorELNS0_4arch9wavefront6targetE0EEEvT1_.has_dyn_sized_stack, 0
	.set _ZN7rocprim17ROCPRIM_400000_NS6detail17trampoline_kernelINS0_14default_configENS1_25partition_config_selectorILNS1_17partition_subalgoE5EyNS0_10empty_typeEbEEZZNS1_14partition_implILS5_5ELb0ES3_mN6thrust23THRUST_200600_302600_NS6detail15normal_iteratorINSA_10device_ptrIyEEEEPS6_NSA_18transform_iteratorINSB_9not_fun_tINSA_8identityIyEEEESF_NSA_11use_defaultESM_EENS0_5tupleIJSF_S6_EEENSO_IJSG_SG_EEES6_PlJS6_EEE10hipError_tPvRmT3_T4_T5_T6_T7_T9_mT8_P12ihipStream_tbDpT10_ENKUlT_T0_E_clISt17integral_constantIbLb1EES1B_EEDaS16_S17_EUlS16_E_NS1_11comp_targetILNS1_3genE10ELNS1_11target_archE1200ELNS1_3gpuE4ELNS1_3repE0EEENS1_30default_config_static_selectorELNS0_4arch9wavefront6targetE0EEEvT1_.has_recursion, 0
	.set _ZN7rocprim17ROCPRIM_400000_NS6detail17trampoline_kernelINS0_14default_configENS1_25partition_config_selectorILNS1_17partition_subalgoE5EyNS0_10empty_typeEbEEZZNS1_14partition_implILS5_5ELb0ES3_mN6thrust23THRUST_200600_302600_NS6detail15normal_iteratorINSA_10device_ptrIyEEEEPS6_NSA_18transform_iteratorINSB_9not_fun_tINSA_8identityIyEEEESF_NSA_11use_defaultESM_EENS0_5tupleIJSF_S6_EEENSO_IJSG_SG_EEES6_PlJS6_EEE10hipError_tPvRmT3_T4_T5_T6_T7_T9_mT8_P12ihipStream_tbDpT10_ENKUlT_T0_E_clISt17integral_constantIbLb1EES1B_EEDaS16_S17_EUlS16_E_NS1_11comp_targetILNS1_3genE10ELNS1_11target_archE1200ELNS1_3gpuE4ELNS1_3repE0EEENS1_30default_config_static_selectorELNS0_4arch9wavefront6targetE0EEEvT1_.has_indirect_call, 0
	.section	.AMDGPU.csdata,"",@progbits
; Kernel info:
; codeLenInByte = 4
; TotalNumSgprs: 0
; NumVgprs: 0
; ScratchSize: 0
; MemoryBound: 0
; FloatMode: 240
; IeeeMode: 1
; LDSByteSize: 0 bytes/workgroup (compile time only)
; SGPRBlocks: 0
; VGPRBlocks: 0
; NumSGPRsForWavesPerEU: 1
; NumVGPRsForWavesPerEU: 1
; Occupancy: 16
; WaveLimiterHint : 0
; COMPUTE_PGM_RSRC2:SCRATCH_EN: 0
; COMPUTE_PGM_RSRC2:USER_SGPR: 2
; COMPUTE_PGM_RSRC2:TRAP_HANDLER: 0
; COMPUTE_PGM_RSRC2:TGID_X_EN: 1
; COMPUTE_PGM_RSRC2:TGID_Y_EN: 0
; COMPUTE_PGM_RSRC2:TGID_Z_EN: 0
; COMPUTE_PGM_RSRC2:TIDIG_COMP_CNT: 0
	.section	.text._ZN7rocprim17ROCPRIM_400000_NS6detail17trampoline_kernelINS0_14default_configENS1_25partition_config_selectorILNS1_17partition_subalgoE5EyNS0_10empty_typeEbEEZZNS1_14partition_implILS5_5ELb0ES3_mN6thrust23THRUST_200600_302600_NS6detail15normal_iteratorINSA_10device_ptrIyEEEEPS6_NSA_18transform_iteratorINSB_9not_fun_tINSA_8identityIyEEEESF_NSA_11use_defaultESM_EENS0_5tupleIJSF_S6_EEENSO_IJSG_SG_EEES6_PlJS6_EEE10hipError_tPvRmT3_T4_T5_T6_T7_T9_mT8_P12ihipStream_tbDpT10_ENKUlT_T0_E_clISt17integral_constantIbLb1EES1B_EEDaS16_S17_EUlS16_E_NS1_11comp_targetILNS1_3genE9ELNS1_11target_archE1100ELNS1_3gpuE3ELNS1_3repE0EEENS1_30default_config_static_selectorELNS0_4arch9wavefront6targetE0EEEvT1_,"axG",@progbits,_ZN7rocprim17ROCPRIM_400000_NS6detail17trampoline_kernelINS0_14default_configENS1_25partition_config_selectorILNS1_17partition_subalgoE5EyNS0_10empty_typeEbEEZZNS1_14partition_implILS5_5ELb0ES3_mN6thrust23THRUST_200600_302600_NS6detail15normal_iteratorINSA_10device_ptrIyEEEEPS6_NSA_18transform_iteratorINSB_9not_fun_tINSA_8identityIyEEEESF_NSA_11use_defaultESM_EENS0_5tupleIJSF_S6_EEENSO_IJSG_SG_EEES6_PlJS6_EEE10hipError_tPvRmT3_T4_T5_T6_T7_T9_mT8_P12ihipStream_tbDpT10_ENKUlT_T0_E_clISt17integral_constantIbLb1EES1B_EEDaS16_S17_EUlS16_E_NS1_11comp_targetILNS1_3genE9ELNS1_11target_archE1100ELNS1_3gpuE3ELNS1_3repE0EEENS1_30default_config_static_selectorELNS0_4arch9wavefront6targetE0EEEvT1_,comdat
	.protected	_ZN7rocprim17ROCPRIM_400000_NS6detail17trampoline_kernelINS0_14default_configENS1_25partition_config_selectorILNS1_17partition_subalgoE5EyNS0_10empty_typeEbEEZZNS1_14partition_implILS5_5ELb0ES3_mN6thrust23THRUST_200600_302600_NS6detail15normal_iteratorINSA_10device_ptrIyEEEEPS6_NSA_18transform_iteratorINSB_9not_fun_tINSA_8identityIyEEEESF_NSA_11use_defaultESM_EENS0_5tupleIJSF_S6_EEENSO_IJSG_SG_EEES6_PlJS6_EEE10hipError_tPvRmT3_T4_T5_T6_T7_T9_mT8_P12ihipStream_tbDpT10_ENKUlT_T0_E_clISt17integral_constantIbLb1EES1B_EEDaS16_S17_EUlS16_E_NS1_11comp_targetILNS1_3genE9ELNS1_11target_archE1100ELNS1_3gpuE3ELNS1_3repE0EEENS1_30default_config_static_selectorELNS0_4arch9wavefront6targetE0EEEvT1_ ; -- Begin function _ZN7rocprim17ROCPRIM_400000_NS6detail17trampoline_kernelINS0_14default_configENS1_25partition_config_selectorILNS1_17partition_subalgoE5EyNS0_10empty_typeEbEEZZNS1_14partition_implILS5_5ELb0ES3_mN6thrust23THRUST_200600_302600_NS6detail15normal_iteratorINSA_10device_ptrIyEEEEPS6_NSA_18transform_iteratorINSB_9not_fun_tINSA_8identityIyEEEESF_NSA_11use_defaultESM_EENS0_5tupleIJSF_S6_EEENSO_IJSG_SG_EEES6_PlJS6_EEE10hipError_tPvRmT3_T4_T5_T6_T7_T9_mT8_P12ihipStream_tbDpT10_ENKUlT_T0_E_clISt17integral_constantIbLb1EES1B_EEDaS16_S17_EUlS16_E_NS1_11comp_targetILNS1_3genE9ELNS1_11target_archE1100ELNS1_3gpuE3ELNS1_3repE0EEENS1_30default_config_static_selectorELNS0_4arch9wavefront6targetE0EEEvT1_
	.globl	_ZN7rocprim17ROCPRIM_400000_NS6detail17trampoline_kernelINS0_14default_configENS1_25partition_config_selectorILNS1_17partition_subalgoE5EyNS0_10empty_typeEbEEZZNS1_14partition_implILS5_5ELb0ES3_mN6thrust23THRUST_200600_302600_NS6detail15normal_iteratorINSA_10device_ptrIyEEEEPS6_NSA_18transform_iteratorINSB_9not_fun_tINSA_8identityIyEEEESF_NSA_11use_defaultESM_EENS0_5tupleIJSF_S6_EEENSO_IJSG_SG_EEES6_PlJS6_EEE10hipError_tPvRmT3_T4_T5_T6_T7_T9_mT8_P12ihipStream_tbDpT10_ENKUlT_T0_E_clISt17integral_constantIbLb1EES1B_EEDaS16_S17_EUlS16_E_NS1_11comp_targetILNS1_3genE9ELNS1_11target_archE1100ELNS1_3gpuE3ELNS1_3repE0EEENS1_30default_config_static_selectorELNS0_4arch9wavefront6targetE0EEEvT1_
	.p2align	8
	.type	_ZN7rocprim17ROCPRIM_400000_NS6detail17trampoline_kernelINS0_14default_configENS1_25partition_config_selectorILNS1_17partition_subalgoE5EyNS0_10empty_typeEbEEZZNS1_14partition_implILS5_5ELb0ES3_mN6thrust23THRUST_200600_302600_NS6detail15normal_iteratorINSA_10device_ptrIyEEEEPS6_NSA_18transform_iteratorINSB_9not_fun_tINSA_8identityIyEEEESF_NSA_11use_defaultESM_EENS0_5tupleIJSF_S6_EEENSO_IJSG_SG_EEES6_PlJS6_EEE10hipError_tPvRmT3_T4_T5_T6_T7_T9_mT8_P12ihipStream_tbDpT10_ENKUlT_T0_E_clISt17integral_constantIbLb1EES1B_EEDaS16_S17_EUlS16_E_NS1_11comp_targetILNS1_3genE9ELNS1_11target_archE1100ELNS1_3gpuE3ELNS1_3repE0EEENS1_30default_config_static_selectorELNS0_4arch9wavefront6targetE0EEEvT1_,@function
_ZN7rocprim17ROCPRIM_400000_NS6detail17trampoline_kernelINS0_14default_configENS1_25partition_config_selectorILNS1_17partition_subalgoE5EyNS0_10empty_typeEbEEZZNS1_14partition_implILS5_5ELb0ES3_mN6thrust23THRUST_200600_302600_NS6detail15normal_iteratorINSA_10device_ptrIyEEEEPS6_NSA_18transform_iteratorINSB_9not_fun_tINSA_8identityIyEEEESF_NSA_11use_defaultESM_EENS0_5tupleIJSF_S6_EEENSO_IJSG_SG_EEES6_PlJS6_EEE10hipError_tPvRmT3_T4_T5_T6_T7_T9_mT8_P12ihipStream_tbDpT10_ENKUlT_T0_E_clISt17integral_constantIbLb1EES1B_EEDaS16_S17_EUlS16_E_NS1_11comp_targetILNS1_3genE9ELNS1_11target_archE1100ELNS1_3gpuE3ELNS1_3repE0EEENS1_30default_config_static_selectorELNS0_4arch9wavefront6targetE0EEEvT1_: ; @_ZN7rocprim17ROCPRIM_400000_NS6detail17trampoline_kernelINS0_14default_configENS1_25partition_config_selectorILNS1_17partition_subalgoE5EyNS0_10empty_typeEbEEZZNS1_14partition_implILS5_5ELb0ES3_mN6thrust23THRUST_200600_302600_NS6detail15normal_iteratorINSA_10device_ptrIyEEEEPS6_NSA_18transform_iteratorINSB_9not_fun_tINSA_8identityIyEEEESF_NSA_11use_defaultESM_EENS0_5tupleIJSF_S6_EEENSO_IJSG_SG_EEES6_PlJS6_EEE10hipError_tPvRmT3_T4_T5_T6_T7_T9_mT8_P12ihipStream_tbDpT10_ENKUlT_T0_E_clISt17integral_constantIbLb1EES1B_EEDaS16_S17_EUlS16_E_NS1_11comp_targetILNS1_3genE9ELNS1_11target_archE1100ELNS1_3gpuE3ELNS1_3repE0EEENS1_30default_config_static_selectorELNS0_4arch9wavefront6targetE0EEEvT1_
; %bb.0:
	.section	.rodata,"a",@progbits
	.p2align	6, 0x0
	.amdhsa_kernel _ZN7rocprim17ROCPRIM_400000_NS6detail17trampoline_kernelINS0_14default_configENS1_25partition_config_selectorILNS1_17partition_subalgoE5EyNS0_10empty_typeEbEEZZNS1_14partition_implILS5_5ELb0ES3_mN6thrust23THRUST_200600_302600_NS6detail15normal_iteratorINSA_10device_ptrIyEEEEPS6_NSA_18transform_iteratorINSB_9not_fun_tINSA_8identityIyEEEESF_NSA_11use_defaultESM_EENS0_5tupleIJSF_S6_EEENSO_IJSG_SG_EEES6_PlJS6_EEE10hipError_tPvRmT3_T4_T5_T6_T7_T9_mT8_P12ihipStream_tbDpT10_ENKUlT_T0_E_clISt17integral_constantIbLb1EES1B_EEDaS16_S17_EUlS16_E_NS1_11comp_targetILNS1_3genE9ELNS1_11target_archE1100ELNS1_3gpuE3ELNS1_3repE0EEENS1_30default_config_static_selectorELNS0_4arch9wavefront6targetE0EEEvT1_
		.amdhsa_group_segment_fixed_size 0
		.amdhsa_private_segment_fixed_size 0
		.amdhsa_kernarg_size 136
		.amdhsa_user_sgpr_count 2
		.amdhsa_user_sgpr_dispatch_ptr 0
		.amdhsa_user_sgpr_queue_ptr 0
		.amdhsa_user_sgpr_kernarg_segment_ptr 1
		.amdhsa_user_sgpr_dispatch_id 0
		.amdhsa_user_sgpr_private_segment_size 0
		.amdhsa_wavefront_size32 1
		.amdhsa_uses_dynamic_stack 0
		.amdhsa_enable_private_segment 0
		.amdhsa_system_sgpr_workgroup_id_x 1
		.amdhsa_system_sgpr_workgroup_id_y 0
		.amdhsa_system_sgpr_workgroup_id_z 0
		.amdhsa_system_sgpr_workgroup_info 0
		.amdhsa_system_vgpr_workitem_id 0
		.amdhsa_next_free_vgpr 1
		.amdhsa_next_free_sgpr 1
		.amdhsa_reserve_vcc 0
		.amdhsa_float_round_mode_32 0
		.amdhsa_float_round_mode_16_64 0
		.amdhsa_float_denorm_mode_32 3
		.amdhsa_float_denorm_mode_16_64 3
		.amdhsa_fp16_overflow 0
		.amdhsa_workgroup_processor_mode 1
		.amdhsa_memory_ordered 1
		.amdhsa_forward_progress 1
		.amdhsa_inst_pref_size 0
		.amdhsa_round_robin_scheduling 0
		.amdhsa_exception_fp_ieee_invalid_op 0
		.amdhsa_exception_fp_denorm_src 0
		.amdhsa_exception_fp_ieee_div_zero 0
		.amdhsa_exception_fp_ieee_overflow 0
		.amdhsa_exception_fp_ieee_underflow 0
		.amdhsa_exception_fp_ieee_inexact 0
		.amdhsa_exception_int_div_zero 0
	.end_amdhsa_kernel
	.section	.text._ZN7rocprim17ROCPRIM_400000_NS6detail17trampoline_kernelINS0_14default_configENS1_25partition_config_selectorILNS1_17partition_subalgoE5EyNS0_10empty_typeEbEEZZNS1_14partition_implILS5_5ELb0ES3_mN6thrust23THRUST_200600_302600_NS6detail15normal_iteratorINSA_10device_ptrIyEEEEPS6_NSA_18transform_iteratorINSB_9not_fun_tINSA_8identityIyEEEESF_NSA_11use_defaultESM_EENS0_5tupleIJSF_S6_EEENSO_IJSG_SG_EEES6_PlJS6_EEE10hipError_tPvRmT3_T4_T5_T6_T7_T9_mT8_P12ihipStream_tbDpT10_ENKUlT_T0_E_clISt17integral_constantIbLb1EES1B_EEDaS16_S17_EUlS16_E_NS1_11comp_targetILNS1_3genE9ELNS1_11target_archE1100ELNS1_3gpuE3ELNS1_3repE0EEENS1_30default_config_static_selectorELNS0_4arch9wavefront6targetE0EEEvT1_,"axG",@progbits,_ZN7rocprim17ROCPRIM_400000_NS6detail17trampoline_kernelINS0_14default_configENS1_25partition_config_selectorILNS1_17partition_subalgoE5EyNS0_10empty_typeEbEEZZNS1_14partition_implILS5_5ELb0ES3_mN6thrust23THRUST_200600_302600_NS6detail15normal_iteratorINSA_10device_ptrIyEEEEPS6_NSA_18transform_iteratorINSB_9not_fun_tINSA_8identityIyEEEESF_NSA_11use_defaultESM_EENS0_5tupleIJSF_S6_EEENSO_IJSG_SG_EEES6_PlJS6_EEE10hipError_tPvRmT3_T4_T5_T6_T7_T9_mT8_P12ihipStream_tbDpT10_ENKUlT_T0_E_clISt17integral_constantIbLb1EES1B_EEDaS16_S17_EUlS16_E_NS1_11comp_targetILNS1_3genE9ELNS1_11target_archE1100ELNS1_3gpuE3ELNS1_3repE0EEENS1_30default_config_static_selectorELNS0_4arch9wavefront6targetE0EEEvT1_,comdat
.Lfunc_end867:
	.size	_ZN7rocprim17ROCPRIM_400000_NS6detail17trampoline_kernelINS0_14default_configENS1_25partition_config_selectorILNS1_17partition_subalgoE5EyNS0_10empty_typeEbEEZZNS1_14partition_implILS5_5ELb0ES3_mN6thrust23THRUST_200600_302600_NS6detail15normal_iteratorINSA_10device_ptrIyEEEEPS6_NSA_18transform_iteratorINSB_9not_fun_tINSA_8identityIyEEEESF_NSA_11use_defaultESM_EENS0_5tupleIJSF_S6_EEENSO_IJSG_SG_EEES6_PlJS6_EEE10hipError_tPvRmT3_T4_T5_T6_T7_T9_mT8_P12ihipStream_tbDpT10_ENKUlT_T0_E_clISt17integral_constantIbLb1EES1B_EEDaS16_S17_EUlS16_E_NS1_11comp_targetILNS1_3genE9ELNS1_11target_archE1100ELNS1_3gpuE3ELNS1_3repE0EEENS1_30default_config_static_selectorELNS0_4arch9wavefront6targetE0EEEvT1_, .Lfunc_end867-_ZN7rocprim17ROCPRIM_400000_NS6detail17trampoline_kernelINS0_14default_configENS1_25partition_config_selectorILNS1_17partition_subalgoE5EyNS0_10empty_typeEbEEZZNS1_14partition_implILS5_5ELb0ES3_mN6thrust23THRUST_200600_302600_NS6detail15normal_iteratorINSA_10device_ptrIyEEEEPS6_NSA_18transform_iteratorINSB_9not_fun_tINSA_8identityIyEEEESF_NSA_11use_defaultESM_EENS0_5tupleIJSF_S6_EEENSO_IJSG_SG_EEES6_PlJS6_EEE10hipError_tPvRmT3_T4_T5_T6_T7_T9_mT8_P12ihipStream_tbDpT10_ENKUlT_T0_E_clISt17integral_constantIbLb1EES1B_EEDaS16_S17_EUlS16_E_NS1_11comp_targetILNS1_3genE9ELNS1_11target_archE1100ELNS1_3gpuE3ELNS1_3repE0EEENS1_30default_config_static_selectorELNS0_4arch9wavefront6targetE0EEEvT1_
                                        ; -- End function
	.set _ZN7rocprim17ROCPRIM_400000_NS6detail17trampoline_kernelINS0_14default_configENS1_25partition_config_selectorILNS1_17partition_subalgoE5EyNS0_10empty_typeEbEEZZNS1_14partition_implILS5_5ELb0ES3_mN6thrust23THRUST_200600_302600_NS6detail15normal_iteratorINSA_10device_ptrIyEEEEPS6_NSA_18transform_iteratorINSB_9not_fun_tINSA_8identityIyEEEESF_NSA_11use_defaultESM_EENS0_5tupleIJSF_S6_EEENSO_IJSG_SG_EEES6_PlJS6_EEE10hipError_tPvRmT3_T4_T5_T6_T7_T9_mT8_P12ihipStream_tbDpT10_ENKUlT_T0_E_clISt17integral_constantIbLb1EES1B_EEDaS16_S17_EUlS16_E_NS1_11comp_targetILNS1_3genE9ELNS1_11target_archE1100ELNS1_3gpuE3ELNS1_3repE0EEENS1_30default_config_static_selectorELNS0_4arch9wavefront6targetE0EEEvT1_.num_vgpr, 0
	.set _ZN7rocprim17ROCPRIM_400000_NS6detail17trampoline_kernelINS0_14default_configENS1_25partition_config_selectorILNS1_17partition_subalgoE5EyNS0_10empty_typeEbEEZZNS1_14partition_implILS5_5ELb0ES3_mN6thrust23THRUST_200600_302600_NS6detail15normal_iteratorINSA_10device_ptrIyEEEEPS6_NSA_18transform_iteratorINSB_9not_fun_tINSA_8identityIyEEEESF_NSA_11use_defaultESM_EENS0_5tupleIJSF_S6_EEENSO_IJSG_SG_EEES6_PlJS6_EEE10hipError_tPvRmT3_T4_T5_T6_T7_T9_mT8_P12ihipStream_tbDpT10_ENKUlT_T0_E_clISt17integral_constantIbLb1EES1B_EEDaS16_S17_EUlS16_E_NS1_11comp_targetILNS1_3genE9ELNS1_11target_archE1100ELNS1_3gpuE3ELNS1_3repE0EEENS1_30default_config_static_selectorELNS0_4arch9wavefront6targetE0EEEvT1_.num_agpr, 0
	.set _ZN7rocprim17ROCPRIM_400000_NS6detail17trampoline_kernelINS0_14default_configENS1_25partition_config_selectorILNS1_17partition_subalgoE5EyNS0_10empty_typeEbEEZZNS1_14partition_implILS5_5ELb0ES3_mN6thrust23THRUST_200600_302600_NS6detail15normal_iteratorINSA_10device_ptrIyEEEEPS6_NSA_18transform_iteratorINSB_9not_fun_tINSA_8identityIyEEEESF_NSA_11use_defaultESM_EENS0_5tupleIJSF_S6_EEENSO_IJSG_SG_EEES6_PlJS6_EEE10hipError_tPvRmT3_T4_T5_T6_T7_T9_mT8_P12ihipStream_tbDpT10_ENKUlT_T0_E_clISt17integral_constantIbLb1EES1B_EEDaS16_S17_EUlS16_E_NS1_11comp_targetILNS1_3genE9ELNS1_11target_archE1100ELNS1_3gpuE3ELNS1_3repE0EEENS1_30default_config_static_selectorELNS0_4arch9wavefront6targetE0EEEvT1_.numbered_sgpr, 0
	.set _ZN7rocprim17ROCPRIM_400000_NS6detail17trampoline_kernelINS0_14default_configENS1_25partition_config_selectorILNS1_17partition_subalgoE5EyNS0_10empty_typeEbEEZZNS1_14partition_implILS5_5ELb0ES3_mN6thrust23THRUST_200600_302600_NS6detail15normal_iteratorINSA_10device_ptrIyEEEEPS6_NSA_18transform_iteratorINSB_9not_fun_tINSA_8identityIyEEEESF_NSA_11use_defaultESM_EENS0_5tupleIJSF_S6_EEENSO_IJSG_SG_EEES6_PlJS6_EEE10hipError_tPvRmT3_T4_T5_T6_T7_T9_mT8_P12ihipStream_tbDpT10_ENKUlT_T0_E_clISt17integral_constantIbLb1EES1B_EEDaS16_S17_EUlS16_E_NS1_11comp_targetILNS1_3genE9ELNS1_11target_archE1100ELNS1_3gpuE3ELNS1_3repE0EEENS1_30default_config_static_selectorELNS0_4arch9wavefront6targetE0EEEvT1_.num_named_barrier, 0
	.set _ZN7rocprim17ROCPRIM_400000_NS6detail17trampoline_kernelINS0_14default_configENS1_25partition_config_selectorILNS1_17partition_subalgoE5EyNS0_10empty_typeEbEEZZNS1_14partition_implILS5_5ELb0ES3_mN6thrust23THRUST_200600_302600_NS6detail15normal_iteratorINSA_10device_ptrIyEEEEPS6_NSA_18transform_iteratorINSB_9not_fun_tINSA_8identityIyEEEESF_NSA_11use_defaultESM_EENS0_5tupleIJSF_S6_EEENSO_IJSG_SG_EEES6_PlJS6_EEE10hipError_tPvRmT3_T4_T5_T6_T7_T9_mT8_P12ihipStream_tbDpT10_ENKUlT_T0_E_clISt17integral_constantIbLb1EES1B_EEDaS16_S17_EUlS16_E_NS1_11comp_targetILNS1_3genE9ELNS1_11target_archE1100ELNS1_3gpuE3ELNS1_3repE0EEENS1_30default_config_static_selectorELNS0_4arch9wavefront6targetE0EEEvT1_.private_seg_size, 0
	.set _ZN7rocprim17ROCPRIM_400000_NS6detail17trampoline_kernelINS0_14default_configENS1_25partition_config_selectorILNS1_17partition_subalgoE5EyNS0_10empty_typeEbEEZZNS1_14partition_implILS5_5ELb0ES3_mN6thrust23THRUST_200600_302600_NS6detail15normal_iteratorINSA_10device_ptrIyEEEEPS6_NSA_18transform_iteratorINSB_9not_fun_tINSA_8identityIyEEEESF_NSA_11use_defaultESM_EENS0_5tupleIJSF_S6_EEENSO_IJSG_SG_EEES6_PlJS6_EEE10hipError_tPvRmT3_T4_T5_T6_T7_T9_mT8_P12ihipStream_tbDpT10_ENKUlT_T0_E_clISt17integral_constantIbLb1EES1B_EEDaS16_S17_EUlS16_E_NS1_11comp_targetILNS1_3genE9ELNS1_11target_archE1100ELNS1_3gpuE3ELNS1_3repE0EEENS1_30default_config_static_selectorELNS0_4arch9wavefront6targetE0EEEvT1_.uses_vcc, 0
	.set _ZN7rocprim17ROCPRIM_400000_NS6detail17trampoline_kernelINS0_14default_configENS1_25partition_config_selectorILNS1_17partition_subalgoE5EyNS0_10empty_typeEbEEZZNS1_14partition_implILS5_5ELb0ES3_mN6thrust23THRUST_200600_302600_NS6detail15normal_iteratorINSA_10device_ptrIyEEEEPS6_NSA_18transform_iteratorINSB_9not_fun_tINSA_8identityIyEEEESF_NSA_11use_defaultESM_EENS0_5tupleIJSF_S6_EEENSO_IJSG_SG_EEES6_PlJS6_EEE10hipError_tPvRmT3_T4_T5_T6_T7_T9_mT8_P12ihipStream_tbDpT10_ENKUlT_T0_E_clISt17integral_constantIbLb1EES1B_EEDaS16_S17_EUlS16_E_NS1_11comp_targetILNS1_3genE9ELNS1_11target_archE1100ELNS1_3gpuE3ELNS1_3repE0EEENS1_30default_config_static_selectorELNS0_4arch9wavefront6targetE0EEEvT1_.uses_flat_scratch, 0
	.set _ZN7rocprim17ROCPRIM_400000_NS6detail17trampoline_kernelINS0_14default_configENS1_25partition_config_selectorILNS1_17partition_subalgoE5EyNS0_10empty_typeEbEEZZNS1_14partition_implILS5_5ELb0ES3_mN6thrust23THRUST_200600_302600_NS6detail15normal_iteratorINSA_10device_ptrIyEEEEPS6_NSA_18transform_iteratorINSB_9not_fun_tINSA_8identityIyEEEESF_NSA_11use_defaultESM_EENS0_5tupleIJSF_S6_EEENSO_IJSG_SG_EEES6_PlJS6_EEE10hipError_tPvRmT3_T4_T5_T6_T7_T9_mT8_P12ihipStream_tbDpT10_ENKUlT_T0_E_clISt17integral_constantIbLb1EES1B_EEDaS16_S17_EUlS16_E_NS1_11comp_targetILNS1_3genE9ELNS1_11target_archE1100ELNS1_3gpuE3ELNS1_3repE0EEENS1_30default_config_static_selectorELNS0_4arch9wavefront6targetE0EEEvT1_.has_dyn_sized_stack, 0
	.set _ZN7rocprim17ROCPRIM_400000_NS6detail17trampoline_kernelINS0_14default_configENS1_25partition_config_selectorILNS1_17partition_subalgoE5EyNS0_10empty_typeEbEEZZNS1_14partition_implILS5_5ELb0ES3_mN6thrust23THRUST_200600_302600_NS6detail15normal_iteratorINSA_10device_ptrIyEEEEPS6_NSA_18transform_iteratorINSB_9not_fun_tINSA_8identityIyEEEESF_NSA_11use_defaultESM_EENS0_5tupleIJSF_S6_EEENSO_IJSG_SG_EEES6_PlJS6_EEE10hipError_tPvRmT3_T4_T5_T6_T7_T9_mT8_P12ihipStream_tbDpT10_ENKUlT_T0_E_clISt17integral_constantIbLb1EES1B_EEDaS16_S17_EUlS16_E_NS1_11comp_targetILNS1_3genE9ELNS1_11target_archE1100ELNS1_3gpuE3ELNS1_3repE0EEENS1_30default_config_static_selectorELNS0_4arch9wavefront6targetE0EEEvT1_.has_recursion, 0
	.set _ZN7rocprim17ROCPRIM_400000_NS6detail17trampoline_kernelINS0_14default_configENS1_25partition_config_selectorILNS1_17partition_subalgoE5EyNS0_10empty_typeEbEEZZNS1_14partition_implILS5_5ELb0ES3_mN6thrust23THRUST_200600_302600_NS6detail15normal_iteratorINSA_10device_ptrIyEEEEPS6_NSA_18transform_iteratorINSB_9not_fun_tINSA_8identityIyEEEESF_NSA_11use_defaultESM_EENS0_5tupleIJSF_S6_EEENSO_IJSG_SG_EEES6_PlJS6_EEE10hipError_tPvRmT3_T4_T5_T6_T7_T9_mT8_P12ihipStream_tbDpT10_ENKUlT_T0_E_clISt17integral_constantIbLb1EES1B_EEDaS16_S17_EUlS16_E_NS1_11comp_targetILNS1_3genE9ELNS1_11target_archE1100ELNS1_3gpuE3ELNS1_3repE0EEENS1_30default_config_static_selectorELNS0_4arch9wavefront6targetE0EEEvT1_.has_indirect_call, 0
	.section	.AMDGPU.csdata,"",@progbits
; Kernel info:
; codeLenInByte = 0
; TotalNumSgprs: 0
; NumVgprs: 0
; ScratchSize: 0
; MemoryBound: 0
; FloatMode: 240
; IeeeMode: 1
; LDSByteSize: 0 bytes/workgroup (compile time only)
; SGPRBlocks: 0
; VGPRBlocks: 0
; NumSGPRsForWavesPerEU: 1
; NumVGPRsForWavesPerEU: 1
; Occupancy: 16
; WaveLimiterHint : 0
; COMPUTE_PGM_RSRC2:SCRATCH_EN: 0
; COMPUTE_PGM_RSRC2:USER_SGPR: 2
; COMPUTE_PGM_RSRC2:TRAP_HANDLER: 0
; COMPUTE_PGM_RSRC2:TGID_X_EN: 1
; COMPUTE_PGM_RSRC2:TGID_Y_EN: 0
; COMPUTE_PGM_RSRC2:TGID_Z_EN: 0
; COMPUTE_PGM_RSRC2:TIDIG_COMP_CNT: 0
	.section	.text._ZN7rocprim17ROCPRIM_400000_NS6detail17trampoline_kernelINS0_14default_configENS1_25partition_config_selectorILNS1_17partition_subalgoE5EyNS0_10empty_typeEbEEZZNS1_14partition_implILS5_5ELb0ES3_mN6thrust23THRUST_200600_302600_NS6detail15normal_iteratorINSA_10device_ptrIyEEEEPS6_NSA_18transform_iteratorINSB_9not_fun_tINSA_8identityIyEEEESF_NSA_11use_defaultESM_EENS0_5tupleIJSF_S6_EEENSO_IJSG_SG_EEES6_PlJS6_EEE10hipError_tPvRmT3_T4_T5_T6_T7_T9_mT8_P12ihipStream_tbDpT10_ENKUlT_T0_E_clISt17integral_constantIbLb1EES1B_EEDaS16_S17_EUlS16_E_NS1_11comp_targetILNS1_3genE8ELNS1_11target_archE1030ELNS1_3gpuE2ELNS1_3repE0EEENS1_30default_config_static_selectorELNS0_4arch9wavefront6targetE0EEEvT1_,"axG",@progbits,_ZN7rocprim17ROCPRIM_400000_NS6detail17trampoline_kernelINS0_14default_configENS1_25partition_config_selectorILNS1_17partition_subalgoE5EyNS0_10empty_typeEbEEZZNS1_14partition_implILS5_5ELb0ES3_mN6thrust23THRUST_200600_302600_NS6detail15normal_iteratorINSA_10device_ptrIyEEEEPS6_NSA_18transform_iteratorINSB_9not_fun_tINSA_8identityIyEEEESF_NSA_11use_defaultESM_EENS0_5tupleIJSF_S6_EEENSO_IJSG_SG_EEES6_PlJS6_EEE10hipError_tPvRmT3_T4_T5_T6_T7_T9_mT8_P12ihipStream_tbDpT10_ENKUlT_T0_E_clISt17integral_constantIbLb1EES1B_EEDaS16_S17_EUlS16_E_NS1_11comp_targetILNS1_3genE8ELNS1_11target_archE1030ELNS1_3gpuE2ELNS1_3repE0EEENS1_30default_config_static_selectorELNS0_4arch9wavefront6targetE0EEEvT1_,comdat
	.protected	_ZN7rocprim17ROCPRIM_400000_NS6detail17trampoline_kernelINS0_14default_configENS1_25partition_config_selectorILNS1_17partition_subalgoE5EyNS0_10empty_typeEbEEZZNS1_14partition_implILS5_5ELb0ES3_mN6thrust23THRUST_200600_302600_NS6detail15normal_iteratorINSA_10device_ptrIyEEEEPS6_NSA_18transform_iteratorINSB_9not_fun_tINSA_8identityIyEEEESF_NSA_11use_defaultESM_EENS0_5tupleIJSF_S6_EEENSO_IJSG_SG_EEES6_PlJS6_EEE10hipError_tPvRmT3_T4_T5_T6_T7_T9_mT8_P12ihipStream_tbDpT10_ENKUlT_T0_E_clISt17integral_constantIbLb1EES1B_EEDaS16_S17_EUlS16_E_NS1_11comp_targetILNS1_3genE8ELNS1_11target_archE1030ELNS1_3gpuE2ELNS1_3repE0EEENS1_30default_config_static_selectorELNS0_4arch9wavefront6targetE0EEEvT1_ ; -- Begin function _ZN7rocprim17ROCPRIM_400000_NS6detail17trampoline_kernelINS0_14default_configENS1_25partition_config_selectorILNS1_17partition_subalgoE5EyNS0_10empty_typeEbEEZZNS1_14partition_implILS5_5ELb0ES3_mN6thrust23THRUST_200600_302600_NS6detail15normal_iteratorINSA_10device_ptrIyEEEEPS6_NSA_18transform_iteratorINSB_9not_fun_tINSA_8identityIyEEEESF_NSA_11use_defaultESM_EENS0_5tupleIJSF_S6_EEENSO_IJSG_SG_EEES6_PlJS6_EEE10hipError_tPvRmT3_T4_T5_T6_T7_T9_mT8_P12ihipStream_tbDpT10_ENKUlT_T0_E_clISt17integral_constantIbLb1EES1B_EEDaS16_S17_EUlS16_E_NS1_11comp_targetILNS1_3genE8ELNS1_11target_archE1030ELNS1_3gpuE2ELNS1_3repE0EEENS1_30default_config_static_selectorELNS0_4arch9wavefront6targetE0EEEvT1_
	.globl	_ZN7rocprim17ROCPRIM_400000_NS6detail17trampoline_kernelINS0_14default_configENS1_25partition_config_selectorILNS1_17partition_subalgoE5EyNS0_10empty_typeEbEEZZNS1_14partition_implILS5_5ELb0ES3_mN6thrust23THRUST_200600_302600_NS6detail15normal_iteratorINSA_10device_ptrIyEEEEPS6_NSA_18transform_iteratorINSB_9not_fun_tINSA_8identityIyEEEESF_NSA_11use_defaultESM_EENS0_5tupleIJSF_S6_EEENSO_IJSG_SG_EEES6_PlJS6_EEE10hipError_tPvRmT3_T4_T5_T6_T7_T9_mT8_P12ihipStream_tbDpT10_ENKUlT_T0_E_clISt17integral_constantIbLb1EES1B_EEDaS16_S17_EUlS16_E_NS1_11comp_targetILNS1_3genE8ELNS1_11target_archE1030ELNS1_3gpuE2ELNS1_3repE0EEENS1_30default_config_static_selectorELNS0_4arch9wavefront6targetE0EEEvT1_
	.p2align	8
	.type	_ZN7rocprim17ROCPRIM_400000_NS6detail17trampoline_kernelINS0_14default_configENS1_25partition_config_selectorILNS1_17partition_subalgoE5EyNS0_10empty_typeEbEEZZNS1_14partition_implILS5_5ELb0ES3_mN6thrust23THRUST_200600_302600_NS6detail15normal_iteratorINSA_10device_ptrIyEEEEPS6_NSA_18transform_iteratorINSB_9not_fun_tINSA_8identityIyEEEESF_NSA_11use_defaultESM_EENS0_5tupleIJSF_S6_EEENSO_IJSG_SG_EEES6_PlJS6_EEE10hipError_tPvRmT3_T4_T5_T6_T7_T9_mT8_P12ihipStream_tbDpT10_ENKUlT_T0_E_clISt17integral_constantIbLb1EES1B_EEDaS16_S17_EUlS16_E_NS1_11comp_targetILNS1_3genE8ELNS1_11target_archE1030ELNS1_3gpuE2ELNS1_3repE0EEENS1_30default_config_static_selectorELNS0_4arch9wavefront6targetE0EEEvT1_,@function
_ZN7rocprim17ROCPRIM_400000_NS6detail17trampoline_kernelINS0_14default_configENS1_25partition_config_selectorILNS1_17partition_subalgoE5EyNS0_10empty_typeEbEEZZNS1_14partition_implILS5_5ELb0ES3_mN6thrust23THRUST_200600_302600_NS6detail15normal_iteratorINSA_10device_ptrIyEEEEPS6_NSA_18transform_iteratorINSB_9not_fun_tINSA_8identityIyEEEESF_NSA_11use_defaultESM_EENS0_5tupleIJSF_S6_EEENSO_IJSG_SG_EEES6_PlJS6_EEE10hipError_tPvRmT3_T4_T5_T6_T7_T9_mT8_P12ihipStream_tbDpT10_ENKUlT_T0_E_clISt17integral_constantIbLb1EES1B_EEDaS16_S17_EUlS16_E_NS1_11comp_targetILNS1_3genE8ELNS1_11target_archE1030ELNS1_3gpuE2ELNS1_3repE0EEENS1_30default_config_static_selectorELNS0_4arch9wavefront6targetE0EEEvT1_: ; @_ZN7rocprim17ROCPRIM_400000_NS6detail17trampoline_kernelINS0_14default_configENS1_25partition_config_selectorILNS1_17partition_subalgoE5EyNS0_10empty_typeEbEEZZNS1_14partition_implILS5_5ELb0ES3_mN6thrust23THRUST_200600_302600_NS6detail15normal_iteratorINSA_10device_ptrIyEEEEPS6_NSA_18transform_iteratorINSB_9not_fun_tINSA_8identityIyEEEESF_NSA_11use_defaultESM_EENS0_5tupleIJSF_S6_EEENSO_IJSG_SG_EEES6_PlJS6_EEE10hipError_tPvRmT3_T4_T5_T6_T7_T9_mT8_P12ihipStream_tbDpT10_ENKUlT_T0_E_clISt17integral_constantIbLb1EES1B_EEDaS16_S17_EUlS16_E_NS1_11comp_targetILNS1_3genE8ELNS1_11target_archE1030ELNS1_3gpuE2ELNS1_3repE0EEENS1_30default_config_static_selectorELNS0_4arch9wavefront6targetE0EEEvT1_
; %bb.0:
	.section	.rodata,"a",@progbits
	.p2align	6, 0x0
	.amdhsa_kernel _ZN7rocprim17ROCPRIM_400000_NS6detail17trampoline_kernelINS0_14default_configENS1_25partition_config_selectorILNS1_17partition_subalgoE5EyNS0_10empty_typeEbEEZZNS1_14partition_implILS5_5ELb0ES3_mN6thrust23THRUST_200600_302600_NS6detail15normal_iteratorINSA_10device_ptrIyEEEEPS6_NSA_18transform_iteratorINSB_9not_fun_tINSA_8identityIyEEEESF_NSA_11use_defaultESM_EENS0_5tupleIJSF_S6_EEENSO_IJSG_SG_EEES6_PlJS6_EEE10hipError_tPvRmT3_T4_T5_T6_T7_T9_mT8_P12ihipStream_tbDpT10_ENKUlT_T0_E_clISt17integral_constantIbLb1EES1B_EEDaS16_S17_EUlS16_E_NS1_11comp_targetILNS1_3genE8ELNS1_11target_archE1030ELNS1_3gpuE2ELNS1_3repE0EEENS1_30default_config_static_selectorELNS0_4arch9wavefront6targetE0EEEvT1_
		.amdhsa_group_segment_fixed_size 0
		.amdhsa_private_segment_fixed_size 0
		.amdhsa_kernarg_size 136
		.amdhsa_user_sgpr_count 2
		.amdhsa_user_sgpr_dispatch_ptr 0
		.amdhsa_user_sgpr_queue_ptr 0
		.amdhsa_user_sgpr_kernarg_segment_ptr 1
		.amdhsa_user_sgpr_dispatch_id 0
		.amdhsa_user_sgpr_private_segment_size 0
		.amdhsa_wavefront_size32 1
		.amdhsa_uses_dynamic_stack 0
		.amdhsa_enable_private_segment 0
		.amdhsa_system_sgpr_workgroup_id_x 1
		.amdhsa_system_sgpr_workgroup_id_y 0
		.amdhsa_system_sgpr_workgroup_id_z 0
		.amdhsa_system_sgpr_workgroup_info 0
		.amdhsa_system_vgpr_workitem_id 0
		.amdhsa_next_free_vgpr 1
		.amdhsa_next_free_sgpr 1
		.amdhsa_reserve_vcc 0
		.amdhsa_float_round_mode_32 0
		.amdhsa_float_round_mode_16_64 0
		.amdhsa_float_denorm_mode_32 3
		.amdhsa_float_denorm_mode_16_64 3
		.amdhsa_fp16_overflow 0
		.amdhsa_workgroup_processor_mode 1
		.amdhsa_memory_ordered 1
		.amdhsa_forward_progress 1
		.amdhsa_inst_pref_size 0
		.amdhsa_round_robin_scheduling 0
		.amdhsa_exception_fp_ieee_invalid_op 0
		.amdhsa_exception_fp_denorm_src 0
		.amdhsa_exception_fp_ieee_div_zero 0
		.amdhsa_exception_fp_ieee_overflow 0
		.amdhsa_exception_fp_ieee_underflow 0
		.amdhsa_exception_fp_ieee_inexact 0
		.amdhsa_exception_int_div_zero 0
	.end_amdhsa_kernel
	.section	.text._ZN7rocprim17ROCPRIM_400000_NS6detail17trampoline_kernelINS0_14default_configENS1_25partition_config_selectorILNS1_17partition_subalgoE5EyNS0_10empty_typeEbEEZZNS1_14partition_implILS5_5ELb0ES3_mN6thrust23THRUST_200600_302600_NS6detail15normal_iteratorINSA_10device_ptrIyEEEEPS6_NSA_18transform_iteratorINSB_9not_fun_tINSA_8identityIyEEEESF_NSA_11use_defaultESM_EENS0_5tupleIJSF_S6_EEENSO_IJSG_SG_EEES6_PlJS6_EEE10hipError_tPvRmT3_T4_T5_T6_T7_T9_mT8_P12ihipStream_tbDpT10_ENKUlT_T0_E_clISt17integral_constantIbLb1EES1B_EEDaS16_S17_EUlS16_E_NS1_11comp_targetILNS1_3genE8ELNS1_11target_archE1030ELNS1_3gpuE2ELNS1_3repE0EEENS1_30default_config_static_selectorELNS0_4arch9wavefront6targetE0EEEvT1_,"axG",@progbits,_ZN7rocprim17ROCPRIM_400000_NS6detail17trampoline_kernelINS0_14default_configENS1_25partition_config_selectorILNS1_17partition_subalgoE5EyNS0_10empty_typeEbEEZZNS1_14partition_implILS5_5ELb0ES3_mN6thrust23THRUST_200600_302600_NS6detail15normal_iteratorINSA_10device_ptrIyEEEEPS6_NSA_18transform_iteratorINSB_9not_fun_tINSA_8identityIyEEEESF_NSA_11use_defaultESM_EENS0_5tupleIJSF_S6_EEENSO_IJSG_SG_EEES6_PlJS6_EEE10hipError_tPvRmT3_T4_T5_T6_T7_T9_mT8_P12ihipStream_tbDpT10_ENKUlT_T0_E_clISt17integral_constantIbLb1EES1B_EEDaS16_S17_EUlS16_E_NS1_11comp_targetILNS1_3genE8ELNS1_11target_archE1030ELNS1_3gpuE2ELNS1_3repE0EEENS1_30default_config_static_selectorELNS0_4arch9wavefront6targetE0EEEvT1_,comdat
.Lfunc_end868:
	.size	_ZN7rocprim17ROCPRIM_400000_NS6detail17trampoline_kernelINS0_14default_configENS1_25partition_config_selectorILNS1_17partition_subalgoE5EyNS0_10empty_typeEbEEZZNS1_14partition_implILS5_5ELb0ES3_mN6thrust23THRUST_200600_302600_NS6detail15normal_iteratorINSA_10device_ptrIyEEEEPS6_NSA_18transform_iteratorINSB_9not_fun_tINSA_8identityIyEEEESF_NSA_11use_defaultESM_EENS0_5tupleIJSF_S6_EEENSO_IJSG_SG_EEES6_PlJS6_EEE10hipError_tPvRmT3_T4_T5_T6_T7_T9_mT8_P12ihipStream_tbDpT10_ENKUlT_T0_E_clISt17integral_constantIbLb1EES1B_EEDaS16_S17_EUlS16_E_NS1_11comp_targetILNS1_3genE8ELNS1_11target_archE1030ELNS1_3gpuE2ELNS1_3repE0EEENS1_30default_config_static_selectorELNS0_4arch9wavefront6targetE0EEEvT1_, .Lfunc_end868-_ZN7rocprim17ROCPRIM_400000_NS6detail17trampoline_kernelINS0_14default_configENS1_25partition_config_selectorILNS1_17partition_subalgoE5EyNS0_10empty_typeEbEEZZNS1_14partition_implILS5_5ELb0ES3_mN6thrust23THRUST_200600_302600_NS6detail15normal_iteratorINSA_10device_ptrIyEEEEPS6_NSA_18transform_iteratorINSB_9not_fun_tINSA_8identityIyEEEESF_NSA_11use_defaultESM_EENS0_5tupleIJSF_S6_EEENSO_IJSG_SG_EEES6_PlJS6_EEE10hipError_tPvRmT3_T4_T5_T6_T7_T9_mT8_P12ihipStream_tbDpT10_ENKUlT_T0_E_clISt17integral_constantIbLb1EES1B_EEDaS16_S17_EUlS16_E_NS1_11comp_targetILNS1_3genE8ELNS1_11target_archE1030ELNS1_3gpuE2ELNS1_3repE0EEENS1_30default_config_static_selectorELNS0_4arch9wavefront6targetE0EEEvT1_
                                        ; -- End function
	.set _ZN7rocprim17ROCPRIM_400000_NS6detail17trampoline_kernelINS0_14default_configENS1_25partition_config_selectorILNS1_17partition_subalgoE5EyNS0_10empty_typeEbEEZZNS1_14partition_implILS5_5ELb0ES3_mN6thrust23THRUST_200600_302600_NS6detail15normal_iteratorINSA_10device_ptrIyEEEEPS6_NSA_18transform_iteratorINSB_9not_fun_tINSA_8identityIyEEEESF_NSA_11use_defaultESM_EENS0_5tupleIJSF_S6_EEENSO_IJSG_SG_EEES6_PlJS6_EEE10hipError_tPvRmT3_T4_T5_T6_T7_T9_mT8_P12ihipStream_tbDpT10_ENKUlT_T0_E_clISt17integral_constantIbLb1EES1B_EEDaS16_S17_EUlS16_E_NS1_11comp_targetILNS1_3genE8ELNS1_11target_archE1030ELNS1_3gpuE2ELNS1_3repE0EEENS1_30default_config_static_selectorELNS0_4arch9wavefront6targetE0EEEvT1_.num_vgpr, 0
	.set _ZN7rocprim17ROCPRIM_400000_NS6detail17trampoline_kernelINS0_14default_configENS1_25partition_config_selectorILNS1_17partition_subalgoE5EyNS0_10empty_typeEbEEZZNS1_14partition_implILS5_5ELb0ES3_mN6thrust23THRUST_200600_302600_NS6detail15normal_iteratorINSA_10device_ptrIyEEEEPS6_NSA_18transform_iteratorINSB_9not_fun_tINSA_8identityIyEEEESF_NSA_11use_defaultESM_EENS0_5tupleIJSF_S6_EEENSO_IJSG_SG_EEES6_PlJS6_EEE10hipError_tPvRmT3_T4_T5_T6_T7_T9_mT8_P12ihipStream_tbDpT10_ENKUlT_T0_E_clISt17integral_constantIbLb1EES1B_EEDaS16_S17_EUlS16_E_NS1_11comp_targetILNS1_3genE8ELNS1_11target_archE1030ELNS1_3gpuE2ELNS1_3repE0EEENS1_30default_config_static_selectorELNS0_4arch9wavefront6targetE0EEEvT1_.num_agpr, 0
	.set _ZN7rocprim17ROCPRIM_400000_NS6detail17trampoline_kernelINS0_14default_configENS1_25partition_config_selectorILNS1_17partition_subalgoE5EyNS0_10empty_typeEbEEZZNS1_14partition_implILS5_5ELb0ES3_mN6thrust23THRUST_200600_302600_NS6detail15normal_iteratorINSA_10device_ptrIyEEEEPS6_NSA_18transform_iteratorINSB_9not_fun_tINSA_8identityIyEEEESF_NSA_11use_defaultESM_EENS0_5tupleIJSF_S6_EEENSO_IJSG_SG_EEES6_PlJS6_EEE10hipError_tPvRmT3_T4_T5_T6_T7_T9_mT8_P12ihipStream_tbDpT10_ENKUlT_T0_E_clISt17integral_constantIbLb1EES1B_EEDaS16_S17_EUlS16_E_NS1_11comp_targetILNS1_3genE8ELNS1_11target_archE1030ELNS1_3gpuE2ELNS1_3repE0EEENS1_30default_config_static_selectorELNS0_4arch9wavefront6targetE0EEEvT1_.numbered_sgpr, 0
	.set _ZN7rocprim17ROCPRIM_400000_NS6detail17trampoline_kernelINS0_14default_configENS1_25partition_config_selectorILNS1_17partition_subalgoE5EyNS0_10empty_typeEbEEZZNS1_14partition_implILS5_5ELb0ES3_mN6thrust23THRUST_200600_302600_NS6detail15normal_iteratorINSA_10device_ptrIyEEEEPS6_NSA_18transform_iteratorINSB_9not_fun_tINSA_8identityIyEEEESF_NSA_11use_defaultESM_EENS0_5tupleIJSF_S6_EEENSO_IJSG_SG_EEES6_PlJS6_EEE10hipError_tPvRmT3_T4_T5_T6_T7_T9_mT8_P12ihipStream_tbDpT10_ENKUlT_T0_E_clISt17integral_constantIbLb1EES1B_EEDaS16_S17_EUlS16_E_NS1_11comp_targetILNS1_3genE8ELNS1_11target_archE1030ELNS1_3gpuE2ELNS1_3repE0EEENS1_30default_config_static_selectorELNS0_4arch9wavefront6targetE0EEEvT1_.num_named_barrier, 0
	.set _ZN7rocprim17ROCPRIM_400000_NS6detail17trampoline_kernelINS0_14default_configENS1_25partition_config_selectorILNS1_17partition_subalgoE5EyNS0_10empty_typeEbEEZZNS1_14partition_implILS5_5ELb0ES3_mN6thrust23THRUST_200600_302600_NS6detail15normal_iteratorINSA_10device_ptrIyEEEEPS6_NSA_18transform_iteratorINSB_9not_fun_tINSA_8identityIyEEEESF_NSA_11use_defaultESM_EENS0_5tupleIJSF_S6_EEENSO_IJSG_SG_EEES6_PlJS6_EEE10hipError_tPvRmT3_T4_T5_T6_T7_T9_mT8_P12ihipStream_tbDpT10_ENKUlT_T0_E_clISt17integral_constantIbLb1EES1B_EEDaS16_S17_EUlS16_E_NS1_11comp_targetILNS1_3genE8ELNS1_11target_archE1030ELNS1_3gpuE2ELNS1_3repE0EEENS1_30default_config_static_selectorELNS0_4arch9wavefront6targetE0EEEvT1_.private_seg_size, 0
	.set _ZN7rocprim17ROCPRIM_400000_NS6detail17trampoline_kernelINS0_14default_configENS1_25partition_config_selectorILNS1_17partition_subalgoE5EyNS0_10empty_typeEbEEZZNS1_14partition_implILS5_5ELb0ES3_mN6thrust23THRUST_200600_302600_NS6detail15normal_iteratorINSA_10device_ptrIyEEEEPS6_NSA_18transform_iteratorINSB_9not_fun_tINSA_8identityIyEEEESF_NSA_11use_defaultESM_EENS0_5tupleIJSF_S6_EEENSO_IJSG_SG_EEES6_PlJS6_EEE10hipError_tPvRmT3_T4_T5_T6_T7_T9_mT8_P12ihipStream_tbDpT10_ENKUlT_T0_E_clISt17integral_constantIbLb1EES1B_EEDaS16_S17_EUlS16_E_NS1_11comp_targetILNS1_3genE8ELNS1_11target_archE1030ELNS1_3gpuE2ELNS1_3repE0EEENS1_30default_config_static_selectorELNS0_4arch9wavefront6targetE0EEEvT1_.uses_vcc, 0
	.set _ZN7rocprim17ROCPRIM_400000_NS6detail17trampoline_kernelINS0_14default_configENS1_25partition_config_selectorILNS1_17partition_subalgoE5EyNS0_10empty_typeEbEEZZNS1_14partition_implILS5_5ELb0ES3_mN6thrust23THRUST_200600_302600_NS6detail15normal_iteratorINSA_10device_ptrIyEEEEPS6_NSA_18transform_iteratorINSB_9not_fun_tINSA_8identityIyEEEESF_NSA_11use_defaultESM_EENS0_5tupleIJSF_S6_EEENSO_IJSG_SG_EEES6_PlJS6_EEE10hipError_tPvRmT3_T4_T5_T6_T7_T9_mT8_P12ihipStream_tbDpT10_ENKUlT_T0_E_clISt17integral_constantIbLb1EES1B_EEDaS16_S17_EUlS16_E_NS1_11comp_targetILNS1_3genE8ELNS1_11target_archE1030ELNS1_3gpuE2ELNS1_3repE0EEENS1_30default_config_static_selectorELNS0_4arch9wavefront6targetE0EEEvT1_.uses_flat_scratch, 0
	.set _ZN7rocprim17ROCPRIM_400000_NS6detail17trampoline_kernelINS0_14default_configENS1_25partition_config_selectorILNS1_17partition_subalgoE5EyNS0_10empty_typeEbEEZZNS1_14partition_implILS5_5ELb0ES3_mN6thrust23THRUST_200600_302600_NS6detail15normal_iteratorINSA_10device_ptrIyEEEEPS6_NSA_18transform_iteratorINSB_9not_fun_tINSA_8identityIyEEEESF_NSA_11use_defaultESM_EENS0_5tupleIJSF_S6_EEENSO_IJSG_SG_EEES6_PlJS6_EEE10hipError_tPvRmT3_T4_T5_T6_T7_T9_mT8_P12ihipStream_tbDpT10_ENKUlT_T0_E_clISt17integral_constantIbLb1EES1B_EEDaS16_S17_EUlS16_E_NS1_11comp_targetILNS1_3genE8ELNS1_11target_archE1030ELNS1_3gpuE2ELNS1_3repE0EEENS1_30default_config_static_selectorELNS0_4arch9wavefront6targetE0EEEvT1_.has_dyn_sized_stack, 0
	.set _ZN7rocprim17ROCPRIM_400000_NS6detail17trampoline_kernelINS0_14default_configENS1_25partition_config_selectorILNS1_17partition_subalgoE5EyNS0_10empty_typeEbEEZZNS1_14partition_implILS5_5ELb0ES3_mN6thrust23THRUST_200600_302600_NS6detail15normal_iteratorINSA_10device_ptrIyEEEEPS6_NSA_18transform_iteratorINSB_9not_fun_tINSA_8identityIyEEEESF_NSA_11use_defaultESM_EENS0_5tupleIJSF_S6_EEENSO_IJSG_SG_EEES6_PlJS6_EEE10hipError_tPvRmT3_T4_T5_T6_T7_T9_mT8_P12ihipStream_tbDpT10_ENKUlT_T0_E_clISt17integral_constantIbLb1EES1B_EEDaS16_S17_EUlS16_E_NS1_11comp_targetILNS1_3genE8ELNS1_11target_archE1030ELNS1_3gpuE2ELNS1_3repE0EEENS1_30default_config_static_selectorELNS0_4arch9wavefront6targetE0EEEvT1_.has_recursion, 0
	.set _ZN7rocprim17ROCPRIM_400000_NS6detail17trampoline_kernelINS0_14default_configENS1_25partition_config_selectorILNS1_17partition_subalgoE5EyNS0_10empty_typeEbEEZZNS1_14partition_implILS5_5ELb0ES3_mN6thrust23THRUST_200600_302600_NS6detail15normal_iteratorINSA_10device_ptrIyEEEEPS6_NSA_18transform_iteratorINSB_9not_fun_tINSA_8identityIyEEEESF_NSA_11use_defaultESM_EENS0_5tupleIJSF_S6_EEENSO_IJSG_SG_EEES6_PlJS6_EEE10hipError_tPvRmT3_T4_T5_T6_T7_T9_mT8_P12ihipStream_tbDpT10_ENKUlT_T0_E_clISt17integral_constantIbLb1EES1B_EEDaS16_S17_EUlS16_E_NS1_11comp_targetILNS1_3genE8ELNS1_11target_archE1030ELNS1_3gpuE2ELNS1_3repE0EEENS1_30default_config_static_selectorELNS0_4arch9wavefront6targetE0EEEvT1_.has_indirect_call, 0
	.section	.AMDGPU.csdata,"",@progbits
; Kernel info:
; codeLenInByte = 0
; TotalNumSgprs: 0
; NumVgprs: 0
; ScratchSize: 0
; MemoryBound: 0
; FloatMode: 240
; IeeeMode: 1
; LDSByteSize: 0 bytes/workgroup (compile time only)
; SGPRBlocks: 0
; VGPRBlocks: 0
; NumSGPRsForWavesPerEU: 1
; NumVGPRsForWavesPerEU: 1
; Occupancy: 16
; WaveLimiterHint : 0
; COMPUTE_PGM_RSRC2:SCRATCH_EN: 0
; COMPUTE_PGM_RSRC2:USER_SGPR: 2
; COMPUTE_PGM_RSRC2:TRAP_HANDLER: 0
; COMPUTE_PGM_RSRC2:TGID_X_EN: 1
; COMPUTE_PGM_RSRC2:TGID_Y_EN: 0
; COMPUTE_PGM_RSRC2:TGID_Z_EN: 0
; COMPUTE_PGM_RSRC2:TIDIG_COMP_CNT: 0
	.section	.text._ZN7rocprim17ROCPRIM_400000_NS6detail17trampoline_kernelINS0_14default_configENS1_25partition_config_selectorILNS1_17partition_subalgoE5EyNS0_10empty_typeEbEEZZNS1_14partition_implILS5_5ELb0ES3_mN6thrust23THRUST_200600_302600_NS6detail15normal_iteratorINSA_10device_ptrIyEEEEPS6_NSA_18transform_iteratorINSB_9not_fun_tINSA_8identityIyEEEESF_NSA_11use_defaultESM_EENS0_5tupleIJSF_S6_EEENSO_IJSG_SG_EEES6_PlJS6_EEE10hipError_tPvRmT3_T4_T5_T6_T7_T9_mT8_P12ihipStream_tbDpT10_ENKUlT_T0_E_clISt17integral_constantIbLb1EES1A_IbLb0EEEEDaS16_S17_EUlS16_E_NS1_11comp_targetILNS1_3genE0ELNS1_11target_archE4294967295ELNS1_3gpuE0ELNS1_3repE0EEENS1_30default_config_static_selectorELNS0_4arch9wavefront6targetE0EEEvT1_,"axG",@progbits,_ZN7rocprim17ROCPRIM_400000_NS6detail17trampoline_kernelINS0_14default_configENS1_25partition_config_selectorILNS1_17partition_subalgoE5EyNS0_10empty_typeEbEEZZNS1_14partition_implILS5_5ELb0ES3_mN6thrust23THRUST_200600_302600_NS6detail15normal_iteratorINSA_10device_ptrIyEEEEPS6_NSA_18transform_iteratorINSB_9not_fun_tINSA_8identityIyEEEESF_NSA_11use_defaultESM_EENS0_5tupleIJSF_S6_EEENSO_IJSG_SG_EEES6_PlJS6_EEE10hipError_tPvRmT3_T4_T5_T6_T7_T9_mT8_P12ihipStream_tbDpT10_ENKUlT_T0_E_clISt17integral_constantIbLb1EES1A_IbLb0EEEEDaS16_S17_EUlS16_E_NS1_11comp_targetILNS1_3genE0ELNS1_11target_archE4294967295ELNS1_3gpuE0ELNS1_3repE0EEENS1_30default_config_static_selectorELNS0_4arch9wavefront6targetE0EEEvT1_,comdat
	.protected	_ZN7rocprim17ROCPRIM_400000_NS6detail17trampoline_kernelINS0_14default_configENS1_25partition_config_selectorILNS1_17partition_subalgoE5EyNS0_10empty_typeEbEEZZNS1_14partition_implILS5_5ELb0ES3_mN6thrust23THRUST_200600_302600_NS6detail15normal_iteratorINSA_10device_ptrIyEEEEPS6_NSA_18transform_iteratorINSB_9not_fun_tINSA_8identityIyEEEESF_NSA_11use_defaultESM_EENS0_5tupleIJSF_S6_EEENSO_IJSG_SG_EEES6_PlJS6_EEE10hipError_tPvRmT3_T4_T5_T6_T7_T9_mT8_P12ihipStream_tbDpT10_ENKUlT_T0_E_clISt17integral_constantIbLb1EES1A_IbLb0EEEEDaS16_S17_EUlS16_E_NS1_11comp_targetILNS1_3genE0ELNS1_11target_archE4294967295ELNS1_3gpuE0ELNS1_3repE0EEENS1_30default_config_static_selectorELNS0_4arch9wavefront6targetE0EEEvT1_ ; -- Begin function _ZN7rocprim17ROCPRIM_400000_NS6detail17trampoline_kernelINS0_14default_configENS1_25partition_config_selectorILNS1_17partition_subalgoE5EyNS0_10empty_typeEbEEZZNS1_14partition_implILS5_5ELb0ES3_mN6thrust23THRUST_200600_302600_NS6detail15normal_iteratorINSA_10device_ptrIyEEEEPS6_NSA_18transform_iteratorINSB_9not_fun_tINSA_8identityIyEEEESF_NSA_11use_defaultESM_EENS0_5tupleIJSF_S6_EEENSO_IJSG_SG_EEES6_PlJS6_EEE10hipError_tPvRmT3_T4_T5_T6_T7_T9_mT8_P12ihipStream_tbDpT10_ENKUlT_T0_E_clISt17integral_constantIbLb1EES1A_IbLb0EEEEDaS16_S17_EUlS16_E_NS1_11comp_targetILNS1_3genE0ELNS1_11target_archE4294967295ELNS1_3gpuE0ELNS1_3repE0EEENS1_30default_config_static_selectorELNS0_4arch9wavefront6targetE0EEEvT1_
	.globl	_ZN7rocprim17ROCPRIM_400000_NS6detail17trampoline_kernelINS0_14default_configENS1_25partition_config_selectorILNS1_17partition_subalgoE5EyNS0_10empty_typeEbEEZZNS1_14partition_implILS5_5ELb0ES3_mN6thrust23THRUST_200600_302600_NS6detail15normal_iteratorINSA_10device_ptrIyEEEEPS6_NSA_18transform_iteratorINSB_9not_fun_tINSA_8identityIyEEEESF_NSA_11use_defaultESM_EENS0_5tupleIJSF_S6_EEENSO_IJSG_SG_EEES6_PlJS6_EEE10hipError_tPvRmT3_T4_T5_T6_T7_T9_mT8_P12ihipStream_tbDpT10_ENKUlT_T0_E_clISt17integral_constantIbLb1EES1A_IbLb0EEEEDaS16_S17_EUlS16_E_NS1_11comp_targetILNS1_3genE0ELNS1_11target_archE4294967295ELNS1_3gpuE0ELNS1_3repE0EEENS1_30default_config_static_selectorELNS0_4arch9wavefront6targetE0EEEvT1_
	.p2align	8
	.type	_ZN7rocprim17ROCPRIM_400000_NS6detail17trampoline_kernelINS0_14default_configENS1_25partition_config_selectorILNS1_17partition_subalgoE5EyNS0_10empty_typeEbEEZZNS1_14partition_implILS5_5ELb0ES3_mN6thrust23THRUST_200600_302600_NS6detail15normal_iteratorINSA_10device_ptrIyEEEEPS6_NSA_18transform_iteratorINSB_9not_fun_tINSA_8identityIyEEEESF_NSA_11use_defaultESM_EENS0_5tupleIJSF_S6_EEENSO_IJSG_SG_EEES6_PlJS6_EEE10hipError_tPvRmT3_T4_T5_T6_T7_T9_mT8_P12ihipStream_tbDpT10_ENKUlT_T0_E_clISt17integral_constantIbLb1EES1A_IbLb0EEEEDaS16_S17_EUlS16_E_NS1_11comp_targetILNS1_3genE0ELNS1_11target_archE4294967295ELNS1_3gpuE0ELNS1_3repE0EEENS1_30default_config_static_selectorELNS0_4arch9wavefront6targetE0EEEvT1_,@function
_ZN7rocprim17ROCPRIM_400000_NS6detail17trampoline_kernelINS0_14default_configENS1_25partition_config_selectorILNS1_17partition_subalgoE5EyNS0_10empty_typeEbEEZZNS1_14partition_implILS5_5ELb0ES3_mN6thrust23THRUST_200600_302600_NS6detail15normal_iteratorINSA_10device_ptrIyEEEEPS6_NSA_18transform_iteratorINSB_9not_fun_tINSA_8identityIyEEEESF_NSA_11use_defaultESM_EENS0_5tupleIJSF_S6_EEENSO_IJSG_SG_EEES6_PlJS6_EEE10hipError_tPvRmT3_T4_T5_T6_T7_T9_mT8_P12ihipStream_tbDpT10_ENKUlT_T0_E_clISt17integral_constantIbLb1EES1A_IbLb0EEEEDaS16_S17_EUlS16_E_NS1_11comp_targetILNS1_3genE0ELNS1_11target_archE4294967295ELNS1_3gpuE0ELNS1_3repE0EEENS1_30default_config_static_selectorELNS0_4arch9wavefront6targetE0EEEvT1_: ; @_ZN7rocprim17ROCPRIM_400000_NS6detail17trampoline_kernelINS0_14default_configENS1_25partition_config_selectorILNS1_17partition_subalgoE5EyNS0_10empty_typeEbEEZZNS1_14partition_implILS5_5ELb0ES3_mN6thrust23THRUST_200600_302600_NS6detail15normal_iteratorINSA_10device_ptrIyEEEEPS6_NSA_18transform_iteratorINSB_9not_fun_tINSA_8identityIyEEEESF_NSA_11use_defaultESM_EENS0_5tupleIJSF_S6_EEENSO_IJSG_SG_EEES6_PlJS6_EEE10hipError_tPvRmT3_T4_T5_T6_T7_T9_mT8_P12ihipStream_tbDpT10_ENKUlT_T0_E_clISt17integral_constantIbLb1EES1A_IbLb0EEEEDaS16_S17_EUlS16_E_NS1_11comp_targetILNS1_3genE0ELNS1_11target_archE4294967295ELNS1_3gpuE0ELNS1_3repE0EEENS1_30default_config_static_selectorELNS0_4arch9wavefront6targetE0EEEvT1_
; %bb.0:
	.section	.rodata,"a",@progbits
	.p2align	6, 0x0
	.amdhsa_kernel _ZN7rocprim17ROCPRIM_400000_NS6detail17trampoline_kernelINS0_14default_configENS1_25partition_config_selectorILNS1_17partition_subalgoE5EyNS0_10empty_typeEbEEZZNS1_14partition_implILS5_5ELb0ES3_mN6thrust23THRUST_200600_302600_NS6detail15normal_iteratorINSA_10device_ptrIyEEEEPS6_NSA_18transform_iteratorINSB_9not_fun_tINSA_8identityIyEEEESF_NSA_11use_defaultESM_EENS0_5tupleIJSF_S6_EEENSO_IJSG_SG_EEES6_PlJS6_EEE10hipError_tPvRmT3_T4_T5_T6_T7_T9_mT8_P12ihipStream_tbDpT10_ENKUlT_T0_E_clISt17integral_constantIbLb1EES1A_IbLb0EEEEDaS16_S17_EUlS16_E_NS1_11comp_targetILNS1_3genE0ELNS1_11target_archE4294967295ELNS1_3gpuE0ELNS1_3repE0EEENS1_30default_config_static_selectorELNS0_4arch9wavefront6targetE0EEEvT1_
		.amdhsa_group_segment_fixed_size 0
		.amdhsa_private_segment_fixed_size 0
		.amdhsa_kernarg_size 120
		.amdhsa_user_sgpr_count 2
		.amdhsa_user_sgpr_dispatch_ptr 0
		.amdhsa_user_sgpr_queue_ptr 0
		.amdhsa_user_sgpr_kernarg_segment_ptr 1
		.amdhsa_user_sgpr_dispatch_id 0
		.amdhsa_user_sgpr_private_segment_size 0
		.amdhsa_wavefront_size32 1
		.amdhsa_uses_dynamic_stack 0
		.amdhsa_enable_private_segment 0
		.amdhsa_system_sgpr_workgroup_id_x 1
		.amdhsa_system_sgpr_workgroup_id_y 0
		.amdhsa_system_sgpr_workgroup_id_z 0
		.amdhsa_system_sgpr_workgroup_info 0
		.amdhsa_system_vgpr_workitem_id 0
		.amdhsa_next_free_vgpr 1
		.amdhsa_next_free_sgpr 1
		.amdhsa_reserve_vcc 0
		.amdhsa_float_round_mode_32 0
		.amdhsa_float_round_mode_16_64 0
		.amdhsa_float_denorm_mode_32 3
		.amdhsa_float_denorm_mode_16_64 3
		.amdhsa_fp16_overflow 0
		.amdhsa_workgroup_processor_mode 1
		.amdhsa_memory_ordered 1
		.amdhsa_forward_progress 1
		.amdhsa_inst_pref_size 0
		.amdhsa_round_robin_scheduling 0
		.amdhsa_exception_fp_ieee_invalid_op 0
		.amdhsa_exception_fp_denorm_src 0
		.amdhsa_exception_fp_ieee_div_zero 0
		.amdhsa_exception_fp_ieee_overflow 0
		.amdhsa_exception_fp_ieee_underflow 0
		.amdhsa_exception_fp_ieee_inexact 0
		.amdhsa_exception_int_div_zero 0
	.end_amdhsa_kernel
	.section	.text._ZN7rocprim17ROCPRIM_400000_NS6detail17trampoline_kernelINS0_14default_configENS1_25partition_config_selectorILNS1_17partition_subalgoE5EyNS0_10empty_typeEbEEZZNS1_14partition_implILS5_5ELb0ES3_mN6thrust23THRUST_200600_302600_NS6detail15normal_iteratorINSA_10device_ptrIyEEEEPS6_NSA_18transform_iteratorINSB_9not_fun_tINSA_8identityIyEEEESF_NSA_11use_defaultESM_EENS0_5tupleIJSF_S6_EEENSO_IJSG_SG_EEES6_PlJS6_EEE10hipError_tPvRmT3_T4_T5_T6_T7_T9_mT8_P12ihipStream_tbDpT10_ENKUlT_T0_E_clISt17integral_constantIbLb1EES1A_IbLb0EEEEDaS16_S17_EUlS16_E_NS1_11comp_targetILNS1_3genE0ELNS1_11target_archE4294967295ELNS1_3gpuE0ELNS1_3repE0EEENS1_30default_config_static_selectorELNS0_4arch9wavefront6targetE0EEEvT1_,"axG",@progbits,_ZN7rocprim17ROCPRIM_400000_NS6detail17trampoline_kernelINS0_14default_configENS1_25partition_config_selectorILNS1_17partition_subalgoE5EyNS0_10empty_typeEbEEZZNS1_14partition_implILS5_5ELb0ES3_mN6thrust23THRUST_200600_302600_NS6detail15normal_iteratorINSA_10device_ptrIyEEEEPS6_NSA_18transform_iteratorINSB_9not_fun_tINSA_8identityIyEEEESF_NSA_11use_defaultESM_EENS0_5tupleIJSF_S6_EEENSO_IJSG_SG_EEES6_PlJS6_EEE10hipError_tPvRmT3_T4_T5_T6_T7_T9_mT8_P12ihipStream_tbDpT10_ENKUlT_T0_E_clISt17integral_constantIbLb1EES1A_IbLb0EEEEDaS16_S17_EUlS16_E_NS1_11comp_targetILNS1_3genE0ELNS1_11target_archE4294967295ELNS1_3gpuE0ELNS1_3repE0EEENS1_30default_config_static_selectorELNS0_4arch9wavefront6targetE0EEEvT1_,comdat
.Lfunc_end869:
	.size	_ZN7rocprim17ROCPRIM_400000_NS6detail17trampoline_kernelINS0_14default_configENS1_25partition_config_selectorILNS1_17partition_subalgoE5EyNS0_10empty_typeEbEEZZNS1_14partition_implILS5_5ELb0ES3_mN6thrust23THRUST_200600_302600_NS6detail15normal_iteratorINSA_10device_ptrIyEEEEPS6_NSA_18transform_iteratorINSB_9not_fun_tINSA_8identityIyEEEESF_NSA_11use_defaultESM_EENS0_5tupleIJSF_S6_EEENSO_IJSG_SG_EEES6_PlJS6_EEE10hipError_tPvRmT3_T4_T5_T6_T7_T9_mT8_P12ihipStream_tbDpT10_ENKUlT_T0_E_clISt17integral_constantIbLb1EES1A_IbLb0EEEEDaS16_S17_EUlS16_E_NS1_11comp_targetILNS1_3genE0ELNS1_11target_archE4294967295ELNS1_3gpuE0ELNS1_3repE0EEENS1_30default_config_static_selectorELNS0_4arch9wavefront6targetE0EEEvT1_, .Lfunc_end869-_ZN7rocprim17ROCPRIM_400000_NS6detail17trampoline_kernelINS0_14default_configENS1_25partition_config_selectorILNS1_17partition_subalgoE5EyNS0_10empty_typeEbEEZZNS1_14partition_implILS5_5ELb0ES3_mN6thrust23THRUST_200600_302600_NS6detail15normal_iteratorINSA_10device_ptrIyEEEEPS6_NSA_18transform_iteratorINSB_9not_fun_tINSA_8identityIyEEEESF_NSA_11use_defaultESM_EENS0_5tupleIJSF_S6_EEENSO_IJSG_SG_EEES6_PlJS6_EEE10hipError_tPvRmT3_T4_T5_T6_T7_T9_mT8_P12ihipStream_tbDpT10_ENKUlT_T0_E_clISt17integral_constantIbLb1EES1A_IbLb0EEEEDaS16_S17_EUlS16_E_NS1_11comp_targetILNS1_3genE0ELNS1_11target_archE4294967295ELNS1_3gpuE0ELNS1_3repE0EEENS1_30default_config_static_selectorELNS0_4arch9wavefront6targetE0EEEvT1_
                                        ; -- End function
	.set _ZN7rocprim17ROCPRIM_400000_NS6detail17trampoline_kernelINS0_14default_configENS1_25partition_config_selectorILNS1_17partition_subalgoE5EyNS0_10empty_typeEbEEZZNS1_14partition_implILS5_5ELb0ES3_mN6thrust23THRUST_200600_302600_NS6detail15normal_iteratorINSA_10device_ptrIyEEEEPS6_NSA_18transform_iteratorINSB_9not_fun_tINSA_8identityIyEEEESF_NSA_11use_defaultESM_EENS0_5tupleIJSF_S6_EEENSO_IJSG_SG_EEES6_PlJS6_EEE10hipError_tPvRmT3_T4_T5_T6_T7_T9_mT8_P12ihipStream_tbDpT10_ENKUlT_T0_E_clISt17integral_constantIbLb1EES1A_IbLb0EEEEDaS16_S17_EUlS16_E_NS1_11comp_targetILNS1_3genE0ELNS1_11target_archE4294967295ELNS1_3gpuE0ELNS1_3repE0EEENS1_30default_config_static_selectorELNS0_4arch9wavefront6targetE0EEEvT1_.num_vgpr, 0
	.set _ZN7rocprim17ROCPRIM_400000_NS6detail17trampoline_kernelINS0_14default_configENS1_25partition_config_selectorILNS1_17partition_subalgoE5EyNS0_10empty_typeEbEEZZNS1_14partition_implILS5_5ELb0ES3_mN6thrust23THRUST_200600_302600_NS6detail15normal_iteratorINSA_10device_ptrIyEEEEPS6_NSA_18transform_iteratorINSB_9not_fun_tINSA_8identityIyEEEESF_NSA_11use_defaultESM_EENS0_5tupleIJSF_S6_EEENSO_IJSG_SG_EEES6_PlJS6_EEE10hipError_tPvRmT3_T4_T5_T6_T7_T9_mT8_P12ihipStream_tbDpT10_ENKUlT_T0_E_clISt17integral_constantIbLb1EES1A_IbLb0EEEEDaS16_S17_EUlS16_E_NS1_11comp_targetILNS1_3genE0ELNS1_11target_archE4294967295ELNS1_3gpuE0ELNS1_3repE0EEENS1_30default_config_static_selectorELNS0_4arch9wavefront6targetE0EEEvT1_.num_agpr, 0
	.set _ZN7rocprim17ROCPRIM_400000_NS6detail17trampoline_kernelINS0_14default_configENS1_25partition_config_selectorILNS1_17partition_subalgoE5EyNS0_10empty_typeEbEEZZNS1_14partition_implILS5_5ELb0ES3_mN6thrust23THRUST_200600_302600_NS6detail15normal_iteratorINSA_10device_ptrIyEEEEPS6_NSA_18transform_iteratorINSB_9not_fun_tINSA_8identityIyEEEESF_NSA_11use_defaultESM_EENS0_5tupleIJSF_S6_EEENSO_IJSG_SG_EEES6_PlJS6_EEE10hipError_tPvRmT3_T4_T5_T6_T7_T9_mT8_P12ihipStream_tbDpT10_ENKUlT_T0_E_clISt17integral_constantIbLb1EES1A_IbLb0EEEEDaS16_S17_EUlS16_E_NS1_11comp_targetILNS1_3genE0ELNS1_11target_archE4294967295ELNS1_3gpuE0ELNS1_3repE0EEENS1_30default_config_static_selectorELNS0_4arch9wavefront6targetE0EEEvT1_.numbered_sgpr, 0
	.set _ZN7rocprim17ROCPRIM_400000_NS6detail17trampoline_kernelINS0_14default_configENS1_25partition_config_selectorILNS1_17partition_subalgoE5EyNS0_10empty_typeEbEEZZNS1_14partition_implILS5_5ELb0ES3_mN6thrust23THRUST_200600_302600_NS6detail15normal_iteratorINSA_10device_ptrIyEEEEPS6_NSA_18transform_iteratorINSB_9not_fun_tINSA_8identityIyEEEESF_NSA_11use_defaultESM_EENS0_5tupleIJSF_S6_EEENSO_IJSG_SG_EEES6_PlJS6_EEE10hipError_tPvRmT3_T4_T5_T6_T7_T9_mT8_P12ihipStream_tbDpT10_ENKUlT_T0_E_clISt17integral_constantIbLb1EES1A_IbLb0EEEEDaS16_S17_EUlS16_E_NS1_11comp_targetILNS1_3genE0ELNS1_11target_archE4294967295ELNS1_3gpuE0ELNS1_3repE0EEENS1_30default_config_static_selectorELNS0_4arch9wavefront6targetE0EEEvT1_.num_named_barrier, 0
	.set _ZN7rocprim17ROCPRIM_400000_NS6detail17trampoline_kernelINS0_14default_configENS1_25partition_config_selectorILNS1_17partition_subalgoE5EyNS0_10empty_typeEbEEZZNS1_14partition_implILS5_5ELb0ES3_mN6thrust23THRUST_200600_302600_NS6detail15normal_iteratorINSA_10device_ptrIyEEEEPS6_NSA_18transform_iteratorINSB_9not_fun_tINSA_8identityIyEEEESF_NSA_11use_defaultESM_EENS0_5tupleIJSF_S6_EEENSO_IJSG_SG_EEES6_PlJS6_EEE10hipError_tPvRmT3_T4_T5_T6_T7_T9_mT8_P12ihipStream_tbDpT10_ENKUlT_T0_E_clISt17integral_constantIbLb1EES1A_IbLb0EEEEDaS16_S17_EUlS16_E_NS1_11comp_targetILNS1_3genE0ELNS1_11target_archE4294967295ELNS1_3gpuE0ELNS1_3repE0EEENS1_30default_config_static_selectorELNS0_4arch9wavefront6targetE0EEEvT1_.private_seg_size, 0
	.set _ZN7rocprim17ROCPRIM_400000_NS6detail17trampoline_kernelINS0_14default_configENS1_25partition_config_selectorILNS1_17partition_subalgoE5EyNS0_10empty_typeEbEEZZNS1_14partition_implILS5_5ELb0ES3_mN6thrust23THRUST_200600_302600_NS6detail15normal_iteratorINSA_10device_ptrIyEEEEPS6_NSA_18transform_iteratorINSB_9not_fun_tINSA_8identityIyEEEESF_NSA_11use_defaultESM_EENS0_5tupleIJSF_S6_EEENSO_IJSG_SG_EEES6_PlJS6_EEE10hipError_tPvRmT3_T4_T5_T6_T7_T9_mT8_P12ihipStream_tbDpT10_ENKUlT_T0_E_clISt17integral_constantIbLb1EES1A_IbLb0EEEEDaS16_S17_EUlS16_E_NS1_11comp_targetILNS1_3genE0ELNS1_11target_archE4294967295ELNS1_3gpuE0ELNS1_3repE0EEENS1_30default_config_static_selectorELNS0_4arch9wavefront6targetE0EEEvT1_.uses_vcc, 0
	.set _ZN7rocprim17ROCPRIM_400000_NS6detail17trampoline_kernelINS0_14default_configENS1_25partition_config_selectorILNS1_17partition_subalgoE5EyNS0_10empty_typeEbEEZZNS1_14partition_implILS5_5ELb0ES3_mN6thrust23THRUST_200600_302600_NS6detail15normal_iteratorINSA_10device_ptrIyEEEEPS6_NSA_18transform_iteratorINSB_9not_fun_tINSA_8identityIyEEEESF_NSA_11use_defaultESM_EENS0_5tupleIJSF_S6_EEENSO_IJSG_SG_EEES6_PlJS6_EEE10hipError_tPvRmT3_T4_T5_T6_T7_T9_mT8_P12ihipStream_tbDpT10_ENKUlT_T0_E_clISt17integral_constantIbLb1EES1A_IbLb0EEEEDaS16_S17_EUlS16_E_NS1_11comp_targetILNS1_3genE0ELNS1_11target_archE4294967295ELNS1_3gpuE0ELNS1_3repE0EEENS1_30default_config_static_selectorELNS0_4arch9wavefront6targetE0EEEvT1_.uses_flat_scratch, 0
	.set _ZN7rocprim17ROCPRIM_400000_NS6detail17trampoline_kernelINS0_14default_configENS1_25partition_config_selectorILNS1_17partition_subalgoE5EyNS0_10empty_typeEbEEZZNS1_14partition_implILS5_5ELb0ES3_mN6thrust23THRUST_200600_302600_NS6detail15normal_iteratorINSA_10device_ptrIyEEEEPS6_NSA_18transform_iteratorINSB_9not_fun_tINSA_8identityIyEEEESF_NSA_11use_defaultESM_EENS0_5tupleIJSF_S6_EEENSO_IJSG_SG_EEES6_PlJS6_EEE10hipError_tPvRmT3_T4_T5_T6_T7_T9_mT8_P12ihipStream_tbDpT10_ENKUlT_T0_E_clISt17integral_constantIbLb1EES1A_IbLb0EEEEDaS16_S17_EUlS16_E_NS1_11comp_targetILNS1_3genE0ELNS1_11target_archE4294967295ELNS1_3gpuE0ELNS1_3repE0EEENS1_30default_config_static_selectorELNS0_4arch9wavefront6targetE0EEEvT1_.has_dyn_sized_stack, 0
	.set _ZN7rocprim17ROCPRIM_400000_NS6detail17trampoline_kernelINS0_14default_configENS1_25partition_config_selectorILNS1_17partition_subalgoE5EyNS0_10empty_typeEbEEZZNS1_14partition_implILS5_5ELb0ES3_mN6thrust23THRUST_200600_302600_NS6detail15normal_iteratorINSA_10device_ptrIyEEEEPS6_NSA_18transform_iteratorINSB_9not_fun_tINSA_8identityIyEEEESF_NSA_11use_defaultESM_EENS0_5tupleIJSF_S6_EEENSO_IJSG_SG_EEES6_PlJS6_EEE10hipError_tPvRmT3_T4_T5_T6_T7_T9_mT8_P12ihipStream_tbDpT10_ENKUlT_T0_E_clISt17integral_constantIbLb1EES1A_IbLb0EEEEDaS16_S17_EUlS16_E_NS1_11comp_targetILNS1_3genE0ELNS1_11target_archE4294967295ELNS1_3gpuE0ELNS1_3repE0EEENS1_30default_config_static_selectorELNS0_4arch9wavefront6targetE0EEEvT1_.has_recursion, 0
	.set _ZN7rocprim17ROCPRIM_400000_NS6detail17trampoline_kernelINS0_14default_configENS1_25partition_config_selectorILNS1_17partition_subalgoE5EyNS0_10empty_typeEbEEZZNS1_14partition_implILS5_5ELb0ES3_mN6thrust23THRUST_200600_302600_NS6detail15normal_iteratorINSA_10device_ptrIyEEEEPS6_NSA_18transform_iteratorINSB_9not_fun_tINSA_8identityIyEEEESF_NSA_11use_defaultESM_EENS0_5tupleIJSF_S6_EEENSO_IJSG_SG_EEES6_PlJS6_EEE10hipError_tPvRmT3_T4_T5_T6_T7_T9_mT8_P12ihipStream_tbDpT10_ENKUlT_T0_E_clISt17integral_constantIbLb1EES1A_IbLb0EEEEDaS16_S17_EUlS16_E_NS1_11comp_targetILNS1_3genE0ELNS1_11target_archE4294967295ELNS1_3gpuE0ELNS1_3repE0EEENS1_30default_config_static_selectorELNS0_4arch9wavefront6targetE0EEEvT1_.has_indirect_call, 0
	.section	.AMDGPU.csdata,"",@progbits
; Kernel info:
; codeLenInByte = 0
; TotalNumSgprs: 0
; NumVgprs: 0
; ScratchSize: 0
; MemoryBound: 0
; FloatMode: 240
; IeeeMode: 1
; LDSByteSize: 0 bytes/workgroup (compile time only)
; SGPRBlocks: 0
; VGPRBlocks: 0
; NumSGPRsForWavesPerEU: 1
; NumVGPRsForWavesPerEU: 1
; Occupancy: 16
; WaveLimiterHint : 0
; COMPUTE_PGM_RSRC2:SCRATCH_EN: 0
; COMPUTE_PGM_RSRC2:USER_SGPR: 2
; COMPUTE_PGM_RSRC2:TRAP_HANDLER: 0
; COMPUTE_PGM_RSRC2:TGID_X_EN: 1
; COMPUTE_PGM_RSRC2:TGID_Y_EN: 0
; COMPUTE_PGM_RSRC2:TGID_Z_EN: 0
; COMPUTE_PGM_RSRC2:TIDIG_COMP_CNT: 0
	.section	.text._ZN7rocprim17ROCPRIM_400000_NS6detail17trampoline_kernelINS0_14default_configENS1_25partition_config_selectorILNS1_17partition_subalgoE5EyNS0_10empty_typeEbEEZZNS1_14partition_implILS5_5ELb0ES3_mN6thrust23THRUST_200600_302600_NS6detail15normal_iteratorINSA_10device_ptrIyEEEEPS6_NSA_18transform_iteratorINSB_9not_fun_tINSA_8identityIyEEEESF_NSA_11use_defaultESM_EENS0_5tupleIJSF_S6_EEENSO_IJSG_SG_EEES6_PlJS6_EEE10hipError_tPvRmT3_T4_T5_T6_T7_T9_mT8_P12ihipStream_tbDpT10_ENKUlT_T0_E_clISt17integral_constantIbLb1EES1A_IbLb0EEEEDaS16_S17_EUlS16_E_NS1_11comp_targetILNS1_3genE5ELNS1_11target_archE942ELNS1_3gpuE9ELNS1_3repE0EEENS1_30default_config_static_selectorELNS0_4arch9wavefront6targetE0EEEvT1_,"axG",@progbits,_ZN7rocprim17ROCPRIM_400000_NS6detail17trampoline_kernelINS0_14default_configENS1_25partition_config_selectorILNS1_17partition_subalgoE5EyNS0_10empty_typeEbEEZZNS1_14partition_implILS5_5ELb0ES3_mN6thrust23THRUST_200600_302600_NS6detail15normal_iteratorINSA_10device_ptrIyEEEEPS6_NSA_18transform_iteratorINSB_9not_fun_tINSA_8identityIyEEEESF_NSA_11use_defaultESM_EENS0_5tupleIJSF_S6_EEENSO_IJSG_SG_EEES6_PlJS6_EEE10hipError_tPvRmT3_T4_T5_T6_T7_T9_mT8_P12ihipStream_tbDpT10_ENKUlT_T0_E_clISt17integral_constantIbLb1EES1A_IbLb0EEEEDaS16_S17_EUlS16_E_NS1_11comp_targetILNS1_3genE5ELNS1_11target_archE942ELNS1_3gpuE9ELNS1_3repE0EEENS1_30default_config_static_selectorELNS0_4arch9wavefront6targetE0EEEvT1_,comdat
	.protected	_ZN7rocprim17ROCPRIM_400000_NS6detail17trampoline_kernelINS0_14default_configENS1_25partition_config_selectorILNS1_17partition_subalgoE5EyNS0_10empty_typeEbEEZZNS1_14partition_implILS5_5ELb0ES3_mN6thrust23THRUST_200600_302600_NS6detail15normal_iteratorINSA_10device_ptrIyEEEEPS6_NSA_18transform_iteratorINSB_9not_fun_tINSA_8identityIyEEEESF_NSA_11use_defaultESM_EENS0_5tupleIJSF_S6_EEENSO_IJSG_SG_EEES6_PlJS6_EEE10hipError_tPvRmT3_T4_T5_T6_T7_T9_mT8_P12ihipStream_tbDpT10_ENKUlT_T0_E_clISt17integral_constantIbLb1EES1A_IbLb0EEEEDaS16_S17_EUlS16_E_NS1_11comp_targetILNS1_3genE5ELNS1_11target_archE942ELNS1_3gpuE9ELNS1_3repE0EEENS1_30default_config_static_selectorELNS0_4arch9wavefront6targetE0EEEvT1_ ; -- Begin function _ZN7rocprim17ROCPRIM_400000_NS6detail17trampoline_kernelINS0_14default_configENS1_25partition_config_selectorILNS1_17partition_subalgoE5EyNS0_10empty_typeEbEEZZNS1_14partition_implILS5_5ELb0ES3_mN6thrust23THRUST_200600_302600_NS6detail15normal_iteratorINSA_10device_ptrIyEEEEPS6_NSA_18transform_iteratorINSB_9not_fun_tINSA_8identityIyEEEESF_NSA_11use_defaultESM_EENS0_5tupleIJSF_S6_EEENSO_IJSG_SG_EEES6_PlJS6_EEE10hipError_tPvRmT3_T4_T5_T6_T7_T9_mT8_P12ihipStream_tbDpT10_ENKUlT_T0_E_clISt17integral_constantIbLb1EES1A_IbLb0EEEEDaS16_S17_EUlS16_E_NS1_11comp_targetILNS1_3genE5ELNS1_11target_archE942ELNS1_3gpuE9ELNS1_3repE0EEENS1_30default_config_static_selectorELNS0_4arch9wavefront6targetE0EEEvT1_
	.globl	_ZN7rocprim17ROCPRIM_400000_NS6detail17trampoline_kernelINS0_14default_configENS1_25partition_config_selectorILNS1_17partition_subalgoE5EyNS0_10empty_typeEbEEZZNS1_14partition_implILS5_5ELb0ES3_mN6thrust23THRUST_200600_302600_NS6detail15normal_iteratorINSA_10device_ptrIyEEEEPS6_NSA_18transform_iteratorINSB_9not_fun_tINSA_8identityIyEEEESF_NSA_11use_defaultESM_EENS0_5tupleIJSF_S6_EEENSO_IJSG_SG_EEES6_PlJS6_EEE10hipError_tPvRmT3_T4_T5_T6_T7_T9_mT8_P12ihipStream_tbDpT10_ENKUlT_T0_E_clISt17integral_constantIbLb1EES1A_IbLb0EEEEDaS16_S17_EUlS16_E_NS1_11comp_targetILNS1_3genE5ELNS1_11target_archE942ELNS1_3gpuE9ELNS1_3repE0EEENS1_30default_config_static_selectorELNS0_4arch9wavefront6targetE0EEEvT1_
	.p2align	8
	.type	_ZN7rocprim17ROCPRIM_400000_NS6detail17trampoline_kernelINS0_14default_configENS1_25partition_config_selectorILNS1_17partition_subalgoE5EyNS0_10empty_typeEbEEZZNS1_14partition_implILS5_5ELb0ES3_mN6thrust23THRUST_200600_302600_NS6detail15normal_iteratorINSA_10device_ptrIyEEEEPS6_NSA_18transform_iteratorINSB_9not_fun_tINSA_8identityIyEEEESF_NSA_11use_defaultESM_EENS0_5tupleIJSF_S6_EEENSO_IJSG_SG_EEES6_PlJS6_EEE10hipError_tPvRmT3_T4_T5_T6_T7_T9_mT8_P12ihipStream_tbDpT10_ENKUlT_T0_E_clISt17integral_constantIbLb1EES1A_IbLb0EEEEDaS16_S17_EUlS16_E_NS1_11comp_targetILNS1_3genE5ELNS1_11target_archE942ELNS1_3gpuE9ELNS1_3repE0EEENS1_30default_config_static_selectorELNS0_4arch9wavefront6targetE0EEEvT1_,@function
_ZN7rocprim17ROCPRIM_400000_NS6detail17trampoline_kernelINS0_14default_configENS1_25partition_config_selectorILNS1_17partition_subalgoE5EyNS0_10empty_typeEbEEZZNS1_14partition_implILS5_5ELb0ES3_mN6thrust23THRUST_200600_302600_NS6detail15normal_iteratorINSA_10device_ptrIyEEEEPS6_NSA_18transform_iteratorINSB_9not_fun_tINSA_8identityIyEEEESF_NSA_11use_defaultESM_EENS0_5tupleIJSF_S6_EEENSO_IJSG_SG_EEES6_PlJS6_EEE10hipError_tPvRmT3_T4_T5_T6_T7_T9_mT8_P12ihipStream_tbDpT10_ENKUlT_T0_E_clISt17integral_constantIbLb1EES1A_IbLb0EEEEDaS16_S17_EUlS16_E_NS1_11comp_targetILNS1_3genE5ELNS1_11target_archE942ELNS1_3gpuE9ELNS1_3repE0EEENS1_30default_config_static_selectorELNS0_4arch9wavefront6targetE0EEEvT1_: ; @_ZN7rocprim17ROCPRIM_400000_NS6detail17trampoline_kernelINS0_14default_configENS1_25partition_config_selectorILNS1_17partition_subalgoE5EyNS0_10empty_typeEbEEZZNS1_14partition_implILS5_5ELb0ES3_mN6thrust23THRUST_200600_302600_NS6detail15normal_iteratorINSA_10device_ptrIyEEEEPS6_NSA_18transform_iteratorINSB_9not_fun_tINSA_8identityIyEEEESF_NSA_11use_defaultESM_EENS0_5tupleIJSF_S6_EEENSO_IJSG_SG_EEES6_PlJS6_EEE10hipError_tPvRmT3_T4_T5_T6_T7_T9_mT8_P12ihipStream_tbDpT10_ENKUlT_T0_E_clISt17integral_constantIbLb1EES1A_IbLb0EEEEDaS16_S17_EUlS16_E_NS1_11comp_targetILNS1_3genE5ELNS1_11target_archE942ELNS1_3gpuE9ELNS1_3repE0EEENS1_30default_config_static_selectorELNS0_4arch9wavefront6targetE0EEEvT1_
; %bb.0:
	.section	.rodata,"a",@progbits
	.p2align	6, 0x0
	.amdhsa_kernel _ZN7rocprim17ROCPRIM_400000_NS6detail17trampoline_kernelINS0_14default_configENS1_25partition_config_selectorILNS1_17partition_subalgoE5EyNS0_10empty_typeEbEEZZNS1_14partition_implILS5_5ELb0ES3_mN6thrust23THRUST_200600_302600_NS6detail15normal_iteratorINSA_10device_ptrIyEEEEPS6_NSA_18transform_iteratorINSB_9not_fun_tINSA_8identityIyEEEESF_NSA_11use_defaultESM_EENS0_5tupleIJSF_S6_EEENSO_IJSG_SG_EEES6_PlJS6_EEE10hipError_tPvRmT3_T4_T5_T6_T7_T9_mT8_P12ihipStream_tbDpT10_ENKUlT_T0_E_clISt17integral_constantIbLb1EES1A_IbLb0EEEEDaS16_S17_EUlS16_E_NS1_11comp_targetILNS1_3genE5ELNS1_11target_archE942ELNS1_3gpuE9ELNS1_3repE0EEENS1_30default_config_static_selectorELNS0_4arch9wavefront6targetE0EEEvT1_
		.amdhsa_group_segment_fixed_size 0
		.amdhsa_private_segment_fixed_size 0
		.amdhsa_kernarg_size 120
		.amdhsa_user_sgpr_count 2
		.amdhsa_user_sgpr_dispatch_ptr 0
		.amdhsa_user_sgpr_queue_ptr 0
		.amdhsa_user_sgpr_kernarg_segment_ptr 1
		.amdhsa_user_sgpr_dispatch_id 0
		.amdhsa_user_sgpr_private_segment_size 0
		.amdhsa_wavefront_size32 1
		.amdhsa_uses_dynamic_stack 0
		.amdhsa_enable_private_segment 0
		.amdhsa_system_sgpr_workgroup_id_x 1
		.amdhsa_system_sgpr_workgroup_id_y 0
		.amdhsa_system_sgpr_workgroup_id_z 0
		.amdhsa_system_sgpr_workgroup_info 0
		.amdhsa_system_vgpr_workitem_id 0
		.amdhsa_next_free_vgpr 1
		.amdhsa_next_free_sgpr 1
		.amdhsa_reserve_vcc 0
		.amdhsa_float_round_mode_32 0
		.amdhsa_float_round_mode_16_64 0
		.amdhsa_float_denorm_mode_32 3
		.amdhsa_float_denorm_mode_16_64 3
		.amdhsa_fp16_overflow 0
		.amdhsa_workgroup_processor_mode 1
		.amdhsa_memory_ordered 1
		.amdhsa_forward_progress 1
		.amdhsa_inst_pref_size 0
		.amdhsa_round_robin_scheduling 0
		.amdhsa_exception_fp_ieee_invalid_op 0
		.amdhsa_exception_fp_denorm_src 0
		.amdhsa_exception_fp_ieee_div_zero 0
		.amdhsa_exception_fp_ieee_overflow 0
		.amdhsa_exception_fp_ieee_underflow 0
		.amdhsa_exception_fp_ieee_inexact 0
		.amdhsa_exception_int_div_zero 0
	.end_amdhsa_kernel
	.section	.text._ZN7rocprim17ROCPRIM_400000_NS6detail17trampoline_kernelINS0_14default_configENS1_25partition_config_selectorILNS1_17partition_subalgoE5EyNS0_10empty_typeEbEEZZNS1_14partition_implILS5_5ELb0ES3_mN6thrust23THRUST_200600_302600_NS6detail15normal_iteratorINSA_10device_ptrIyEEEEPS6_NSA_18transform_iteratorINSB_9not_fun_tINSA_8identityIyEEEESF_NSA_11use_defaultESM_EENS0_5tupleIJSF_S6_EEENSO_IJSG_SG_EEES6_PlJS6_EEE10hipError_tPvRmT3_T4_T5_T6_T7_T9_mT8_P12ihipStream_tbDpT10_ENKUlT_T0_E_clISt17integral_constantIbLb1EES1A_IbLb0EEEEDaS16_S17_EUlS16_E_NS1_11comp_targetILNS1_3genE5ELNS1_11target_archE942ELNS1_3gpuE9ELNS1_3repE0EEENS1_30default_config_static_selectorELNS0_4arch9wavefront6targetE0EEEvT1_,"axG",@progbits,_ZN7rocprim17ROCPRIM_400000_NS6detail17trampoline_kernelINS0_14default_configENS1_25partition_config_selectorILNS1_17partition_subalgoE5EyNS0_10empty_typeEbEEZZNS1_14partition_implILS5_5ELb0ES3_mN6thrust23THRUST_200600_302600_NS6detail15normal_iteratorINSA_10device_ptrIyEEEEPS6_NSA_18transform_iteratorINSB_9not_fun_tINSA_8identityIyEEEESF_NSA_11use_defaultESM_EENS0_5tupleIJSF_S6_EEENSO_IJSG_SG_EEES6_PlJS6_EEE10hipError_tPvRmT3_T4_T5_T6_T7_T9_mT8_P12ihipStream_tbDpT10_ENKUlT_T0_E_clISt17integral_constantIbLb1EES1A_IbLb0EEEEDaS16_S17_EUlS16_E_NS1_11comp_targetILNS1_3genE5ELNS1_11target_archE942ELNS1_3gpuE9ELNS1_3repE0EEENS1_30default_config_static_selectorELNS0_4arch9wavefront6targetE0EEEvT1_,comdat
.Lfunc_end870:
	.size	_ZN7rocprim17ROCPRIM_400000_NS6detail17trampoline_kernelINS0_14default_configENS1_25partition_config_selectorILNS1_17partition_subalgoE5EyNS0_10empty_typeEbEEZZNS1_14partition_implILS5_5ELb0ES3_mN6thrust23THRUST_200600_302600_NS6detail15normal_iteratorINSA_10device_ptrIyEEEEPS6_NSA_18transform_iteratorINSB_9not_fun_tINSA_8identityIyEEEESF_NSA_11use_defaultESM_EENS0_5tupleIJSF_S6_EEENSO_IJSG_SG_EEES6_PlJS6_EEE10hipError_tPvRmT3_T4_T5_T6_T7_T9_mT8_P12ihipStream_tbDpT10_ENKUlT_T0_E_clISt17integral_constantIbLb1EES1A_IbLb0EEEEDaS16_S17_EUlS16_E_NS1_11comp_targetILNS1_3genE5ELNS1_11target_archE942ELNS1_3gpuE9ELNS1_3repE0EEENS1_30default_config_static_selectorELNS0_4arch9wavefront6targetE0EEEvT1_, .Lfunc_end870-_ZN7rocprim17ROCPRIM_400000_NS6detail17trampoline_kernelINS0_14default_configENS1_25partition_config_selectorILNS1_17partition_subalgoE5EyNS0_10empty_typeEbEEZZNS1_14partition_implILS5_5ELb0ES3_mN6thrust23THRUST_200600_302600_NS6detail15normal_iteratorINSA_10device_ptrIyEEEEPS6_NSA_18transform_iteratorINSB_9not_fun_tINSA_8identityIyEEEESF_NSA_11use_defaultESM_EENS0_5tupleIJSF_S6_EEENSO_IJSG_SG_EEES6_PlJS6_EEE10hipError_tPvRmT3_T4_T5_T6_T7_T9_mT8_P12ihipStream_tbDpT10_ENKUlT_T0_E_clISt17integral_constantIbLb1EES1A_IbLb0EEEEDaS16_S17_EUlS16_E_NS1_11comp_targetILNS1_3genE5ELNS1_11target_archE942ELNS1_3gpuE9ELNS1_3repE0EEENS1_30default_config_static_selectorELNS0_4arch9wavefront6targetE0EEEvT1_
                                        ; -- End function
	.set _ZN7rocprim17ROCPRIM_400000_NS6detail17trampoline_kernelINS0_14default_configENS1_25partition_config_selectorILNS1_17partition_subalgoE5EyNS0_10empty_typeEbEEZZNS1_14partition_implILS5_5ELb0ES3_mN6thrust23THRUST_200600_302600_NS6detail15normal_iteratorINSA_10device_ptrIyEEEEPS6_NSA_18transform_iteratorINSB_9not_fun_tINSA_8identityIyEEEESF_NSA_11use_defaultESM_EENS0_5tupleIJSF_S6_EEENSO_IJSG_SG_EEES6_PlJS6_EEE10hipError_tPvRmT3_T4_T5_T6_T7_T9_mT8_P12ihipStream_tbDpT10_ENKUlT_T0_E_clISt17integral_constantIbLb1EES1A_IbLb0EEEEDaS16_S17_EUlS16_E_NS1_11comp_targetILNS1_3genE5ELNS1_11target_archE942ELNS1_3gpuE9ELNS1_3repE0EEENS1_30default_config_static_selectorELNS0_4arch9wavefront6targetE0EEEvT1_.num_vgpr, 0
	.set _ZN7rocprim17ROCPRIM_400000_NS6detail17trampoline_kernelINS0_14default_configENS1_25partition_config_selectorILNS1_17partition_subalgoE5EyNS0_10empty_typeEbEEZZNS1_14partition_implILS5_5ELb0ES3_mN6thrust23THRUST_200600_302600_NS6detail15normal_iteratorINSA_10device_ptrIyEEEEPS6_NSA_18transform_iteratorINSB_9not_fun_tINSA_8identityIyEEEESF_NSA_11use_defaultESM_EENS0_5tupleIJSF_S6_EEENSO_IJSG_SG_EEES6_PlJS6_EEE10hipError_tPvRmT3_T4_T5_T6_T7_T9_mT8_P12ihipStream_tbDpT10_ENKUlT_T0_E_clISt17integral_constantIbLb1EES1A_IbLb0EEEEDaS16_S17_EUlS16_E_NS1_11comp_targetILNS1_3genE5ELNS1_11target_archE942ELNS1_3gpuE9ELNS1_3repE0EEENS1_30default_config_static_selectorELNS0_4arch9wavefront6targetE0EEEvT1_.num_agpr, 0
	.set _ZN7rocprim17ROCPRIM_400000_NS6detail17trampoline_kernelINS0_14default_configENS1_25partition_config_selectorILNS1_17partition_subalgoE5EyNS0_10empty_typeEbEEZZNS1_14partition_implILS5_5ELb0ES3_mN6thrust23THRUST_200600_302600_NS6detail15normal_iteratorINSA_10device_ptrIyEEEEPS6_NSA_18transform_iteratorINSB_9not_fun_tINSA_8identityIyEEEESF_NSA_11use_defaultESM_EENS0_5tupleIJSF_S6_EEENSO_IJSG_SG_EEES6_PlJS6_EEE10hipError_tPvRmT3_T4_T5_T6_T7_T9_mT8_P12ihipStream_tbDpT10_ENKUlT_T0_E_clISt17integral_constantIbLb1EES1A_IbLb0EEEEDaS16_S17_EUlS16_E_NS1_11comp_targetILNS1_3genE5ELNS1_11target_archE942ELNS1_3gpuE9ELNS1_3repE0EEENS1_30default_config_static_selectorELNS0_4arch9wavefront6targetE0EEEvT1_.numbered_sgpr, 0
	.set _ZN7rocprim17ROCPRIM_400000_NS6detail17trampoline_kernelINS0_14default_configENS1_25partition_config_selectorILNS1_17partition_subalgoE5EyNS0_10empty_typeEbEEZZNS1_14partition_implILS5_5ELb0ES3_mN6thrust23THRUST_200600_302600_NS6detail15normal_iteratorINSA_10device_ptrIyEEEEPS6_NSA_18transform_iteratorINSB_9not_fun_tINSA_8identityIyEEEESF_NSA_11use_defaultESM_EENS0_5tupleIJSF_S6_EEENSO_IJSG_SG_EEES6_PlJS6_EEE10hipError_tPvRmT3_T4_T5_T6_T7_T9_mT8_P12ihipStream_tbDpT10_ENKUlT_T0_E_clISt17integral_constantIbLb1EES1A_IbLb0EEEEDaS16_S17_EUlS16_E_NS1_11comp_targetILNS1_3genE5ELNS1_11target_archE942ELNS1_3gpuE9ELNS1_3repE0EEENS1_30default_config_static_selectorELNS0_4arch9wavefront6targetE0EEEvT1_.num_named_barrier, 0
	.set _ZN7rocprim17ROCPRIM_400000_NS6detail17trampoline_kernelINS0_14default_configENS1_25partition_config_selectorILNS1_17partition_subalgoE5EyNS0_10empty_typeEbEEZZNS1_14partition_implILS5_5ELb0ES3_mN6thrust23THRUST_200600_302600_NS6detail15normal_iteratorINSA_10device_ptrIyEEEEPS6_NSA_18transform_iteratorINSB_9not_fun_tINSA_8identityIyEEEESF_NSA_11use_defaultESM_EENS0_5tupleIJSF_S6_EEENSO_IJSG_SG_EEES6_PlJS6_EEE10hipError_tPvRmT3_T4_T5_T6_T7_T9_mT8_P12ihipStream_tbDpT10_ENKUlT_T0_E_clISt17integral_constantIbLb1EES1A_IbLb0EEEEDaS16_S17_EUlS16_E_NS1_11comp_targetILNS1_3genE5ELNS1_11target_archE942ELNS1_3gpuE9ELNS1_3repE0EEENS1_30default_config_static_selectorELNS0_4arch9wavefront6targetE0EEEvT1_.private_seg_size, 0
	.set _ZN7rocprim17ROCPRIM_400000_NS6detail17trampoline_kernelINS0_14default_configENS1_25partition_config_selectorILNS1_17partition_subalgoE5EyNS0_10empty_typeEbEEZZNS1_14partition_implILS5_5ELb0ES3_mN6thrust23THRUST_200600_302600_NS6detail15normal_iteratorINSA_10device_ptrIyEEEEPS6_NSA_18transform_iteratorINSB_9not_fun_tINSA_8identityIyEEEESF_NSA_11use_defaultESM_EENS0_5tupleIJSF_S6_EEENSO_IJSG_SG_EEES6_PlJS6_EEE10hipError_tPvRmT3_T4_T5_T6_T7_T9_mT8_P12ihipStream_tbDpT10_ENKUlT_T0_E_clISt17integral_constantIbLb1EES1A_IbLb0EEEEDaS16_S17_EUlS16_E_NS1_11comp_targetILNS1_3genE5ELNS1_11target_archE942ELNS1_3gpuE9ELNS1_3repE0EEENS1_30default_config_static_selectorELNS0_4arch9wavefront6targetE0EEEvT1_.uses_vcc, 0
	.set _ZN7rocprim17ROCPRIM_400000_NS6detail17trampoline_kernelINS0_14default_configENS1_25partition_config_selectorILNS1_17partition_subalgoE5EyNS0_10empty_typeEbEEZZNS1_14partition_implILS5_5ELb0ES3_mN6thrust23THRUST_200600_302600_NS6detail15normal_iteratorINSA_10device_ptrIyEEEEPS6_NSA_18transform_iteratorINSB_9not_fun_tINSA_8identityIyEEEESF_NSA_11use_defaultESM_EENS0_5tupleIJSF_S6_EEENSO_IJSG_SG_EEES6_PlJS6_EEE10hipError_tPvRmT3_T4_T5_T6_T7_T9_mT8_P12ihipStream_tbDpT10_ENKUlT_T0_E_clISt17integral_constantIbLb1EES1A_IbLb0EEEEDaS16_S17_EUlS16_E_NS1_11comp_targetILNS1_3genE5ELNS1_11target_archE942ELNS1_3gpuE9ELNS1_3repE0EEENS1_30default_config_static_selectorELNS0_4arch9wavefront6targetE0EEEvT1_.uses_flat_scratch, 0
	.set _ZN7rocprim17ROCPRIM_400000_NS6detail17trampoline_kernelINS0_14default_configENS1_25partition_config_selectorILNS1_17partition_subalgoE5EyNS0_10empty_typeEbEEZZNS1_14partition_implILS5_5ELb0ES3_mN6thrust23THRUST_200600_302600_NS6detail15normal_iteratorINSA_10device_ptrIyEEEEPS6_NSA_18transform_iteratorINSB_9not_fun_tINSA_8identityIyEEEESF_NSA_11use_defaultESM_EENS0_5tupleIJSF_S6_EEENSO_IJSG_SG_EEES6_PlJS6_EEE10hipError_tPvRmT3_T4_T5_T6_T7_T9_mT8_P12ihipStream_tbDpT10_ENKUlT_T0_E_clISt17integral_constantIbLb1EES1A_IbLb0EEEEDaS16_S17_EUlS16_E_NS1_11comp_targetILNS1_3genE5ELNS1_11target_archE942ELNS1_3gpuE9ELNS1_3repE0EEENS1_30default_config_static_selectorELNS0_4arch9wavefront6targetE0EEEvT1_.has_dyn_sized_stack, 0
	.set _ZN7rocprim17ROCPRIM_400000_NS6detail17trampoline_kernelINS0_14default_configENS1_25partition_config_selectorILNS1_17partition_subalgoE5EyNS0_10empty_typeEbEEZZNS1_14partition_implILS5_5ELb0ES3_mN6thrust23THRUST_200600_302600_NS6detail15normal_iteratorINSA_10device_ptrIyEEEEPS6_NSA_18transform_iteratorINSB_9not_fun_tINSA_8identityIyEEEESF_NSA_11use_defaultESM_EENS0_5tupleIJSF_S6_EEENSO_IJSG_SG_EEES6_PlJS6_EEE10hipError_tPvRmT3_T4_T5_T6_T7_T9_mT8_P12ihipStream_tbDpT10_ENKUlT_T0_E_clISt17integral_constantIbLb1EES1A_IbLb0EEEEDaS16_S17_EUlS16_E_NS1_11comp_targetILNS1_3genE5ELNS1_11target_archE942ELNS1_3gpuE9ELNS1_3repE0EEENS1_30default_config_static_selectorELNS0_4arch9wavefront6targetE0EEEvT1_.has_recursion, 0
	.set _ZN7rocprim17ROCPRIM_400000_NS6detail17trampoline_kernelINS0_14default_configENS1_25partition_config_selectorILNS1_17partition_subalgoE5EyNS0_10empty_typeEbEEZZNS1_14partition_implILS5_5ELb0ES3_mN6thrust23THRUST_200600_302600_NS6detail15normal_iteratorINSA_10device_ptrIyEEEEPS6_NSA_18transform_iteratorINSB_9not_fun_tINSA_8identityIyEEEESF_NSA_11use_defaultESM_EENS0_5tupleIJSF_S6_EEENSO_IJSG_SG_EEES6_PlJS6_EEE10hipError_tPvRmT3_T4_T5_T6_T7_T9_mT8_P12ihipStream_tbDpT10_ENKUlT_T0_E_clISt17integral_constantIbLb1EES1A_IbLb0EEEEDaS16_S17_EUlS16_E_NS1_11comp_targetILNS1_3genE5ELNS1_11target_archE942ELNS1_3gpuE9ELNS1_3repE0EEENS1_30default_config_static_selectorELNS0_4arch9wavefront6targetE0EEEvT1_.has_indirect_call, 0
	.section	.AMDGPU.csdata,"",@progbits
; Kernel info:
; codeLenInByte = 0
; TotalNumSgprs: 0
; NumVgprs: 0
; ScratchSize: 0
; MemoryBound: 0
; FloatMode: 240
; IeeeMode: 1
; LDSByteSize: 0 bytes/workgroup (compile time only)
; SGPRBlocks: 0
; VGPRBlocks: 0
; NumSGPRsForWavesPerEU: 1
; NumVGPRsForWavesPerEU: 1
; Occupancy: 16
; WaveLimiterHint : 0
; COMPUTE_PGM_RSRC2:SCRATCH_EN: 0
; COMPUTE_PGM_RSRC2:USER_SGPR: 2
; COMPUTE_PGM_RSRC2:TRAP_HANDLER: 0
; COMPUTE_PGM_RSRC2:TGID_X_EN: 1
; COMPUTE_PGM_RSRC2:TGID_Y_EN: 0
; COMPUTE_PGM_RSRC2:TGID_Z_EN: 0
; COMPUTE_PGM_RSRC2:TIDIG_COMP_CNT: 0
	.section	.text._ZN7rocprim17ROCPRIM_400000_NS6detail17trampoline_kernelINS0_14default_configENS1_25partition_config_selectorILNS1_17partition_subalgoE5EyNS0_10empty_typeEbEEZZNS1_14partition_implILS5_5ELb0ES3_mN6thrust23THRUST_200600_302600_NS6detail15normal_iteratorINSA_10device_ptrIyEEEEPS6_NSA_18transform_iteratorINSB_9not_fun_tINSA_8identityIyEEEESF_NSA_11use_defaultESM_EENS0_5tupleIJSF_S6_EEENSO_IJSG_SG_EEES6_PlJS6_EEE10hipError_tPvRmT3_T4_T5_T6_T7_T9_mT8_P12ihipStream_tbDpT10_ENKUlT_T0_E_clISt17integral_constantIbLb1EES1A_IbLb0EEEEDaS16_S17_EUlS16_E_NS1_11comp_targetILNS1_3genE4ELNS1_11target_archE910ELNS1_3gpuE8ELNS1_3repE0EEENS1_30default_config_static_selectorELNS0_4arch9wavefront6targetE0EEEvT1_,"axG",@progbits,_ZN7rocprim17ROCPRIM_400000_NS6detail17trampoline_kernelINS0_14default_configENS1_25partition_config_selectorILNS1_17partition_subalgoE5EyNS0_10empty_typeEbEEZZNS1_14partition_implILS5_5ELb0ES3_mN6thrust23THRUST_200600_302600_NS6detail15normal_iteratorINSA_10device_ptrIyEEEEPS6_NSA_18transform_iteratorINSB_9not_fun_tINSA_8identityIyEEEESF_NSA_11use_defaultESM_EENS0_5tupleIJSF_S6_EEENSO_IJSG_SG_EEES6_PlJS6_EEE10hipError_tPvRmT3_T4_T5_T6_T7_T9_mT8_P12ihipStream_tbDpT10_ENKUlT_T0_E_clISt17integral_constantIbLb1EES1A_IbLb0EEEEDaS16_S17_EUlS16_E_NS1_11comp_targetILNS1_3genE4ELNS1_11target_archE910ELNS1_3gpuE8ELNS1_3repE0EEENS1_30default_config_static_selectorELNS0_4arch9wavefront6targetE0EEEvT1_,comdat
	.protected	_ZN7rocprim17ROCPRIM_400000_NS6detail17trampoline_kernelINS0_14default_configENS1_25partition_config_selectorILNS1_17partition_subalgoE5EyNS0_10empty_typeEbEEZZNS1_14partition_implILS5_5ELb0ES3_mN6thrust23THRUST_200600_302600_NS6detail15normal_iteratorINSA_10device_ptrIyEEEEPS6_NSA_18transform_iteratorINSB_9not_fun_tINSA_8identityIyEEEESF_NSA_11use_defaultESM_EENS0_5tupleIJSF_S6_EEENSO_IJSG_SG_EEES6_PlJS6_EEE10hipError_tPvRmT3_T4_T5_T6_T7_T9_mT8_P12ihipStream_tbDpT10_ENKUlT_T0_E_clISt17integral_constantIbLb1EES1A_IbLb0EEEEDaS16_S17_EUlS16_E_NS1_11comp_targetILNS1_3genE4ELNS1_11target_archE910ELNS1_3gpuE8ELNS1_3repE0EEENS1_30default_config_static_selectorELNS0_4arch9wavefront6targetE0EEEvT1_ ; -- Begin function _ZN7rocprim17ROCPRIM_400000_NS6detail17trampoline_kernelINS0_14default_configENS1_25partition_config_selectorILNS1_17partition_subalgoE5EyNS0_10empty_typeEbEEZZNS1_14partition_implILS5_5ELb0ES3_mN6thrust23THRUST_200600_302600_NS6detail15normal_iteratorINSA_10device_ptrIyEEEEPS6_NSA_18transform_iteratorINSB_9not_fun_tINSA_8identityIyEEEESF_NSA_11use_defaultESM_EENS0_5tupleIJSF_S6_EEENSO_IJSG_SG_EEES6_PlJS6_EEE10hipError_tPvRmT3_T4_T5_T6_T7_T9_mT8_P12ihipStream_tbDpT10_ENKUlT_T0_E_clISt17integral_constantIbLb1EES1A_IbLb0EEEEDaS16_S17_EUlS16_E_NS1_11comp_targetILNS1_3genE4ELNS1_11target_archE910ELNS1_3gpuE8ELNS1_3repE0EEENS1_30default_config_static_selectorELNS0_4arch9wavefront6targetE0EEEvT1_
	.globl	_ZN7rocprim17ROCPRIM_400000_NS6detail17trampoline_kernelINS0_14default_configENS1_25partition_config_selectorILNS1_17partition_subalgoE5EyNS0_10empty_typeEbEEZZNS1_14partition_implILS5_5ELb0ES3_mN6thrust23THRUST_200600_302600_NS6detail15normal_iteratorINSA_10device_ptrIyEEEEPS6_NSA_18transform_iteratorINSB_9not_fun_tINSA_8identityIyEEEESF_NSA_11use_defaultESM_EENS0_5tupleIJSF_S6_EEENSO_IJSG_SG_EEES6_PlJS6_EEE10hipError_tPvRmT3_T4_T5_T6_T7_T9_mT8_P12ihipStream_tbDpT10_ENKUlT_T0_E_clISt17integral_constantIbLb1EES1A_IbLb0EEEEDaS16_S17_EUlS16_E_NS1_11comp_targetILNS1_3genE4ELNS1_11target_archE910ELNS1_3gpuE8ELNS1_3repE0EEENS1_30default_config_static_selectorELNS0_4arch9wavefront6targetE0EEEvT1_
	.p2align	8
	.type	_ZN7rocprim17ROCPRIM_400000_NS6detail17trampoline_kernelINS0_14default_configENS1_25partition_config_selectorILNS1_17partition_subalgoE5EyNS0_10empty_typeEbEEZZNS1_14partition_implILS5_5ELb0ES3_mN6thrust23THRUST_200600_302600_NS6detail15normal_iteratorINSA_10device_ptrIyEEEEPS6_NSA_18transform_iteratorINSB_9not_fun_tINSA_8identityIyEEEESF_NSA_11use_defaultESM_EENS0_5tupleIJSF_S6_EEENSO_IJSG_SG_EEES6_PlJS6_EEE10hipError_tPvRmT3_T4_T5_T6_T7_T9_mT8_P12ihipStream_tbDpT10_ENKUlT_T0_E_clISt17integral_constantIbLb1EES1A_IbLb0EEEEDaS16_S17_EUlS16_E_NS1_11comp_targetILNS1_3genE4ELNS1_11target_archE910ELNS1_3gpuE8ELNS1_3repE0EEENS1_30default_config_static_selectorELNS0_4arch9wavefront6targetE0EEEvT1_,@function
_ZN7rocprim17ROCPRIM_400000_NS6detail17trampoline_kernelINS0_14default_configENS1_25partition_config_selectorILNS1_17partition_subalgoE5EyNS0_10empty_typeEbEEZZNS1_14partition_implILS5_5ELb0ES3_mN6thrust23THRUST_200600_302600_NS6detail15normal_iteratorINSA_10device_ptrIyEEEEPS6_NSA_18transform_iteratorINSB_9not_fun_tINSA_8identityIyEEEESF_NSA_11use_defaultESM_EENS0_5tupleIJSF_S6_EEENSO_IJSG_SG_EEES6_PlJS6_EEE10hipError_tPvRmT3_T4_T5_T6_T7_T9_mT8_P12ihipStream_tbDpT10_ENKUlT_T0_E_clISt17integral_constantIbLb1EES1A_IbLb0EEEEDaS16_S17_EUlS16_E_NS1_11comp_targetILNS1_3genE4ELNS1_11target_archE910ELNS1_3gpuE8ELNS1_3repE0EEENS1_30default_config_static_selectorELNS0_4arch9wavefront6targetE0EEEvT1_: ; @_ZN7rocprim17ROCPRIM_400000_NS6detail17trampoline_kernelINS0_14default_configENS1_25partition_config_selectorILNS1_17partition_subalgoE5EyNS0_10empty_typeEbEEZZNS1_14partition_implILS5_5ELb0ES3_mN6thrust23THRUST_200600_302600_NS6detail15normal_iteratorINSA_10device_ptrIyEEEEPS6_NSA_18transform_iteratorINSB_9not_fun_tINSA_8identityIyEEEESF_NSA_11use_defaultESM_EENS0_5tupleIJSF_S6_EEENSO_IJSG_SG_EEES6_PlJS6_EEE10hipError_tPvRmT3_T4_T5_T6_T7_T9_mT8_P12ihipStream_tbDpT10_ENKUlT_T0_E_clISt17integral_constantIbLb1EES1A_IbLb0EEEEDaS16_S17_EUlS16_E_NS1_11comp_targetILNS1_3genE4ELNS1_11target_archE910ELNS1_3gpuE8ELNS1_3repE0EEENS1_30default_config_static_selectorELNS0_4arch9wavefront6targetE0EEEvT1_
; %bb.0:
	.section	.rodata,"a",@progbits
	.p2align	6, 0x0
	.amdhsa_kernel _ZN7rocprim17ROCPRIM_400000_NS6detail17trampoline_kernelINS0_14default_configENS1_25partition_config_selectorILNS1_17partition_subalgoE5EyNS0_10empty_typeEbEEZZNS1_14partition_implILS5_5ELb0ES3_mN6thrust23THRUST_200600_302600_NS6detail15normal_iteratorINSA_10device_ptrIyEEEEPS6_NSA_18transform_iteratorINSB_9not_fun_tINSA_8identityIyEEEESF_NSA_11use_defaultESM_EENS0_5tupleIJSF_S6_EEENSO_IJSG_SG_EEES6_PlJS6_EEE10hipError_tPvRmT3_T4_T5_T6_T7_T9_mT8_P12ihipStream_tbDpT10_ENKUlT_T0_E_clISt17integral_constantIbLb1EES1A_IbLb0EEEEDaS16_S17_EUlS16_E_NS1_11comp_targetILNS1_3genE4ELNS1_11target_archE910ELNS1_3gpuE8ELNS1_3repE0EEENS1_30default_config_static_selectorELNS0_4arch9wavefront6targetE0EEEvT1_
		.amdhsa_group_segment_fixed_size 0
		.amdhsa_private_segment_fixed_size 0
		.amdhsa_kernarg_size 120
		.amdhsa_user_sgpr_count 2
		.amdhsa_user_sgpr_dispatch_ptr 0
		.amdhsa_user_sgpr_queue_ptr 0
		.amdhsa_user_sgpr_kernarg_segment_ptr 1
		.amdhsa_user_sgpr_dispatch_id 0
		.amdhsa_user_sgpr_private_segment_size 0
		.amdhsa_wavefront_size32 1
		.amdhsa_uses_dynamic_stack 0
		.amdhsa_enable_private_segment 0
		.amdhsa_system_sgpr_workgroup_id_x 1
		.amdhsa_system_sgpr_workgroup_id_y 0
		.amdhsa_system_sgpr_workgroup_id_z 0
		.amdhsa_system_sgpr_workgroup_info 0
		.amdhsa_system_vgpr_workitem_id 0
		.amdhsa_next_free_vgpr 1
		.amdhsa_next_free_sgpr 1
		.amdhsa_reserve_vcc 0
		.amdhsa_float_round_mode_32 0
		.amdhsa_float_round_mode_16_64 0
		.amdhsa_float_denorm_mode_32 3
		.amdhsa_float_denorm_mode_16_64 3
		.amdhsa_fp16_overflow 0
		.amdhsa_workgroup_processor_mode 1
		.amdhsa_memory_ordered 1
		.amdhsa_forward_progress 1
		.amdhsa_inst_pref_size 0
		.amdhsa_round_robin_scheduling 0
		.amdhsa_exception_fp_ieee_invalid_op 0
		.amdhsa_exception_fp_denorm_src 0
		.amdhsa_exception_fp_ieee_div_zero 0
		.amdhsa_exception_fp_ieee_overflow 0
		.amdhsa_exception_fp_ieee_underflow 0
		.amdhsa_exception_fp_ieee_inexact 0
		.amdhsa_exception_int_div_zero 0
	.end_amdhsa_kernel
	.section	.text._ZN7rocprim17ROCPRIM_400000_NS6detail17trampoline_kernelINS0_14default_configENS1_25partition_config_selectorILNS1_17partition_subalgoE5EyNS0_10empty_typeEbEEZZNS1_14partition_implILS5_5ELb0ES3_mN6thrust23THRUST_200600_302600_NS6detail15normal_iteratorINSA_10device_ptrIyEEEEPS6_NSA_18transform_iteratorINSB_9not_fun_tINSA_8identityIyEEEESF_NSA_11use_defaultESM_EENS0_5tupleIJSF_S6_EEENSO_IJSG_SG_EEES6_PlJS6_EEE10hipError_tPvRmT3_T4_T5_T6_T7_T9_mT8_P12ihipStream_tbDpT10_ENKUlT_T0_E_clISt17integral_constantIbLb1EES1A_IbLb0EEEEDaS16_S17_EUlS16_E_NS1_11comp_targetILNS1_3genE4ELNS1_11target_archE910ELNS1_3gpuE8ELNS1_3repE0EEENS1_30default_config_static_selectorELNS0_4arch9wavefront6targetE0EEEvT1_,"axG",@progbits,_ZN7rocprim17ROCPRIM_400000_NS6detail17trampoline_kernelINS0_14default_configENS1_25partition_config_selectorILNS1_17partition_subalgoE5EyNS0_10empty_typeEbEEZZNS1_14partition_implILS5_5ELb0ES3_mN6thrust23THRUST_200600_302600_NS6detail15normal_iteratorINSA_10device_ptrIyEEEEPS6_NSA_18transform_iteratorINSB_9not_fun_tINSA_8identityIyEEEESF_NSA_11use_defaultESM_EENS0_5tupleIJSF_S6_EEENSO_IJSG_SG_EEES6_PlJS6_EEE10hipError_tPvRmT3_T4_T5_T6_T7_T9_mT8_P12ihipStream_tbDpT10_ENKUlT_T0_E_clISt17integral_constantIbLb1EES1A_IbLb0EEEEDaS16_S17_EUlS16_E_NS1_11comp_targetILNS1_3genE4ELNS1_11target_archE910ELNS1_3gpuE8ELNS1_3repE0EEENS1_30default_config_static_selectorELNS0_4arch9wavefront6targetE0EEEvT1_,comdat
.Lfunc_end871:
	.size	_ZN7rocprim17ROCPRIM_400000_NS6detail17trampoline_kernelINS0_14default_configENS1_25partition_config_selectorILNS1_17partition_subalgoE5EyNS0_10empty_typeEbEEZZNS1_14partition_implILS5_5ELb0ES3_mN6thrust23THRUST_200600_302600_NS6detail15normal_iteratorINSA_10device_ptrIyEEEEPS6_NSA_18transform_iteratorINSB_9not_fun_tINSA_8identityIyEEEESF_NSA_11use_defaultESM_EENS0_5tupleIJSF_S6_EEENSO_IJSG_SG_EEES6_PlJS6_EEE10hipError_tPvRmT3_T4_T5_T6_T7_T9_mT8_P12ihipStream_tbDpT10_ENKUlT_T0_E_clISt17integral_constantIbLb1EES1A_IbLb0EEEEDaS16_S17_EUlS16_E_NS1_11comp_targetILNS1_3genE4ELNS1_11target_archE910ELNS1_3gpuE8ELNS1_3repE0EEENS1_30default_config_static_selectorELNS0_4arch9wavefront6targetE0EEEvT1_, .Lfunc_end871-_ZN7rocprim17ROCPRIM_400000_NS6detail17trampoline_kernelINS0_14default_configENS1_25partition_config_selectorILNS1_17partition_subalgoE5EyNS0_10empty_typeEbEEZZNS1_14partition_implILS5_5ELb0ES3_mN6thrust23THRUST_200600_302600_NS6detail15normal_iteratorINSA_10device_ptrIyEEEEPS6_NSA_18transform_iteratorINSB_9not_fun_tINSA_8identityIyEEEESF_NSA_11use_defaultESM_EENS0_5tupleIJSF_S6_EEENSO_IJSG_SG_EEES6_PlJS6_EEE10hipError_tPvRmT3_T4_T5_T6_T7_T9_mT8_P12ihipStream_tbDpT10_ENKUlT_T0_E_clISt17integral_constantIbLb1EES1A_IbLb0EEEEDaS16_S17_EUlS16_E_NS1_11comp_targetILNS1_3genE4ELNS1_11target_archE910ELNS1_3gpuE8ELNS1_3repE0EEENS1_30default_config_static_selectorELNS0_4arch9wavefront6targetE0EEEvT1_
                                        ; -- End function
	.set _ZN7rocprim17ROCPRIM_400000_NS6detail17trampoline_kernelINS0_14default_configENS1_25partition_config_selectorILNS1_17partition_subalgoE5EyNS0_10empty_typeEbEEZZNS1_14partition_implILS5_5ELb0ES3_mN6thrust23THRUST_200600_302600_NS6detail15normal_iteratorINSA_10device_ptrIyEEEEPS6_NSA_18transform_iteratorINSB_9not_fun_tINSA_8identityIyEEEESF_NSA_11use_defaultESM_EENS0_5tupleIJSF_S6_EEENSO_IJSG_SG_EEES6_PlJS6_EEE10hipError_tPvRmT3_T4_T5_T6_T7_T9_mT8_P12ihipStream_tbDpT10_ENKUlT_T0_E_clISt17integral_constantIbLb1EES1A_IbLb0EEEEDaS16_S17_EUlS16_E_NS1_11comp_targetILNS1_3genE4ELNS1_11target_archE910ELNS1_3gpuE8ELNS1_3repE0EEENS1_30default_config_static_selectorELNS0_4arch9wavefront6targetE0EEEvT1_.num_vgpr, 0
	.set _ZN7rocprim17ROCPRIM_400000_NS6detail17trampoline_kernelINS0_14default_configENS1_25partition_config_selectorILNS1_17partition_subalgoE5EyNS0_10empty_typeEbEEZZNS1_14partition_implILS5_5ELb0ES3_mN6thrust23THRUST_200600_302600_NS6detail15normal_iteratorINSA_10device_ptrIyEEEEPS6_NSA_18transform_iteratorINSB_9not_fun_tINSA_8identityIyEEEESF_NSA_11use_defaultESM_EENS0_5tupleIJSF_S6_EEENSO_IJSG_SG_EEES6_PlJS6_EEE10hipError_tPvRmT3_T4_T5_T6_T7_T9_mT8_P12ihipStream_tbDpT10_ENKUlT_T0_E_clISt17integral_constantIbLb1EES1A_IbLb0EEEEDaS16_S17_EUlS16_E_NS1_11comp_targetILNS1_3genE4ELNS1_11target_archE910ELNS1_3gpuE8ELNS1_3repE0EEENS1_30default_config_static_selectorELNS0_4arch9wavefront6targetE0EEEvT1_.num_agpr, 0
	.set _ZN7rocprim17ROCPRIM_400000_NS6detail17trampoline_kernelINS0_14default_configENS1_25partition_config_selectorILNS1_17partition_subalgoE5EyNS0_10empty_typeEbEEZZNS1_14partition_implILS5_5ELb0ES3_mN6thrust23THRUST_200600_302600_NS6detail15normal_iteratorINSA_10device_ptrIyEEEEPS6_NSA_18transform_iteratorINSB_9not_fun_tINSA_8identityIyEEEESF_NSA_11use_defaultESM_EENS0_5tupleIJSF_S6_EEENSO_IJSG_SG_EEES6_PlJS6_EEE10hipError_tPvRmT3_T4_T5_T6_T7_T9_mT8_P12ihipStream_tbDpT10_ENKUlT_T0_E_clISt17integral_constantIbLb1EES1A_IbLb0EEEEDaS16_S17_EUlS16_E_NS1_11comp_targetILNS1_3genE4ELNS1_11target_archE910ELNS1_3gpuE8ELNS1_3repE0EEENS1_30default_config_static_selectorELNS0_4arch9wavefront6targetE0EEEvT1_.numbered_sgpr, 0
	.set _ZN7rocprim17ROCPRIM_400000_NS6detail17trampoline_kernelINS0_14default_configENS1_25partition_config_selectorILNS1_17partition_subalgoE5EyNS0_10empty_typeEbEEZZNS1_14partition_implILS5_5ELb0ES3_mN6thrust23THRUST_200600_302600_NS6detail15normal_iteratorINSA_10device_ptrIyEEEEPS6_NSA_18transform_iteratorINSB_9not_fun_tINSA_8identityIyEEEESF_NSA_11use_defaultESM_EENS0_5tupleIJSF_S6_EEENSO_IJSG_SG_EEES6_PlJS6_EEE10hipError_tPvRmT3_T4_T5_T6_T7_T9_mT8_P12ihipStream_tbDpT10_ENKUlT_T0_E_clISt17integral_constantIbLb1EES1A_IbLb0EEEEDaS16_S17_EUlS16_E_NS1_11comp_targetILNS1_3genE4ELNS1_11target_archE910ELNS1_3gpuE8ELNS1_3repE0EEENS1_30default_config_static_selectorELNS0_4arch9wavefront6targetE0EEEvT1_.num_named_barrier, 0
	.set _ZN7rocprim17ROCPRIM_400000_NS6detail17trampoline_kernelINS0_14default_configENS1_25partition_config_selectorILNS1_17partition_subalgoE5EyNS0_10empty_typeEbEEZZNS1_14partition_implILS5_5ELb0ES3_mN6thrust23THRUST_200600_302600_NS6detail15normal_iteratorINSA_10device_ptrIyEEEEPS6_NSA_18transform_iteratorINSB_9not_fun_tINSA_8identityIyEEEESF_NSA_11use_defaultESM_EENS0_5tupleIJSF_S6_EEENSO_IJSG_SG_EEES6_PlJS6_EEE10hipError_tPvRmT3_T4_T5_T6_T7_T9_mT8_P12ihipStream_tbDpT10_ENKUlT_T0_E_clISt17integral_constantIbLb1EES1A_IbLb0EEEEDaS16_S17_EUlS16_E_NS1_11comp_targetILNS1_3genE4ELNS1_11target_archE910ELNS1_3gpuE8ELNS1_3repE0EEENS1_30default_config_static_selectorELNS0_4arch9wavefront6targetE0EEEvT1_.private_seg_size, 0
	.set _ZN7rocprim17ROCPRIM_400000_NS6detail17trampoline_kernelINS0_14default_configENS1_25partition_config_selectorILNS1_17partition_subalgoE5EyNS0_10empty_typeEbEEZZNS1_14partition_implILS5_5ELb0ES3_mN6thrust23THRUST_200600_302600_NS6detail15normal_iteratorINSA_10device_ptrIyEEEEPS6_NSA_18transform_iteratorINSB_9not_fun_tINSA_8identityIyEEEESF_NSA_11use_defaultESM_EENS0_5tupleIJSF_S6_EEENSO_IJSG_SG_EEES6_PlJS6_EEE10hipError_tPvRmT3_T4_T5_T6_T7_T9_mT8_P12ihipStream_tbDpT10_ENKUlT_T0_E_clISt17integral_constantIbLb1EES1A_IbLb0EEEEDaS16_S17_EUlS16_E_NS1_11comp_targetILNS1_3genE4ELNS1_11target_archE910ELNS1_3gpuE8ELNS1_3repE0EEENS1_30default_config_static_selectorELNS0_4arch9wavefront6targetE0EEEvT1_.uses_vcc, 0
	.set _ZN7rocprim17ROCPRIM_400000_NS6detail17trampoline_kernelINS0_14default_configENS1_25partition_config_selectorILNS1_17partition_subalgoE5EyNS0_10empty_typeEbEEZZNS1_14partition_implILS5_5ELb0ES3_mN6thrust23THRUST_200600_302600_NS6detail15normal_iteratorINSA_10device_ptrIyEEEEPS6_NSA_18transform_iteratorINSB_9not_fun_tINSA_8identityIyEEEESF_NSA_11use_defaultESM_EENS0_5tupleIJSF_S6_EEENSO_IJSG_SG_EEES6_PlJS6_EEE10hipError_tPvRmT3_T4_T5_T6_T7_T9_mT8_P12ihipStream_tbDpT10_ENKUlT_T0_E_clISt17integral_constantIbLb1EES1A_IbLb0EEEEDaS16_S17_EUlS16_E_NS1_11comp_targetILNS1_3genE4ELNS1_11target_archE910ELNS1_3gpuE8ELNS1_3repE0EEENS1_30default_config_static_selectorELNS0_4arch9wavefront6targetE0EEEvT1_.uses_flat_scratch, 0
	.set _ZN7rocprim17ROCPRIM_400000_NS6detail17trampoline_kernelINS0_14default_configENS1_25partition_config_selectorILNS1_17partition_subalgoE5EyNS0_10empty_typeEbEEZZNS1_14partition_implILS5_5ELb0ES3_mN6thrust23THRUST_200600_302600_NS6detail15normal_iteratorINSA_10device_ptrIyEEEEPS6_NSA_18transform_iteratorINSB_9not_fun_tINSA_8identityIyEEEESF_NSA_11use_defaultESM_EENS0_5tupleIJSF_S6_EEENSO_IJSG_SG_EEES6_PlJS6_EEE10hipError_tPvRmT3_T4_T5_T6_T7_T9_mT8_P12ihipStream_tbDpT10_ENKUlT_T0_E_clISt17integral_constantIbLb1EES1A_IbLb0EEEEDaS16_S17_EUlS16_E_NS1_11comp_targetILNS1_3genE4ELNS1_11target_archE910ELNS1_3gpuE8ELNS1_3repE0EEENS1_30default_config_static_selectorELNS0_4arch9wavefront6targetE0EEEvT1_.has_dyn_sized_stack, 0
	.set _ZN7rocprim17ROCPRIM_400000_NS6detail17trampoline_kernelINS0_14default_configENS1_25partition_config_selectorILNS1_17partition_subalgoE5EyNS0_10empty_typeEbEEZZNS1_14partition_implILS5_5ELb0ES3_mN6thrust23THRUST_200600_302600_NS6detail15normal_iteratorINSA_10device_ptrIyEEEEPS6_NSA_18transform_iteratorINSB_9not_fun_tINSA_8identityIyEEEESF_NSA_11use_defaultESM_EENS0_5tupleIJSF_S6_EEENSO_IJSG_SG_EEES6_PlJS6_EEE10hipError_tPvRmT3_T4_T5_T6_T7_T9_mT8_P12ihipStream_tbDpT10_ENKUlT_T0_E_clISt17integral_constantIbLb1EES1A_IbLb0EEEEDaS16_S17_EUlS16_E_NS1_11comp_targetILNS1_3genE4ELNS1_11target_archE910ELNS1_3gpuE8ELNS1_3repE0EEENS1_30default_config_static_selectorELNS0_4arch9wavefront6targetE0EEEvT1_.has_recursion, 0
	.set _ZN7rocprim17ROCPRIM_400000_NS6detail17trampoline_kernelINS0_14default_configENS1_25partition_config_selectorILNS1_17partition_subalgoE5EyNS0_10empty_typeEbEEZZNS1_14partition_implILS5_5ELb0ES3_mN6thrust23THRUST_200600_302600_NS6detail15normal_iteratorINSA_10device_ptrIyEEEEPS6_NSA_18transform_iteratorINSB_9not_fun_tINSA_8identityIyEEEESF_NSA_11use_defaultESM_EENS0_5tupleIJSF_S6_EEENSO_IJSG_SG_EEES6_PlJS6_EEE10hipError_tPvRmT3_T4_T5_T6_T7_T9_mT8_P12ihipStream_tbDpT10_ENKUlT_T0_E_clISt17integral_constantIbLb1EES1A_IbLb0EEEEDaS16_S17_EUlS16_E_NS1_11comp_targetILNS1_3genE4ELNS1_11target_archE910ELNS1_3gpuE8ELNS1_3repE0EEENS1_30default_config_static_selectorELNS0_4arch9wavefront6targetE0EEEvT1_.has_indirect_call, 0
	.section	.AMDGPU.csdata,"",@progbits
; Kernel info:
; codeLenInByte = 0
; TotalNumSgprs: 0
; NumVgprs: 0
; ScratchSize: 0
; MemoryBound: 0
; FloatMode: 240
; IeeeMode: 1
; LDSByteSize: 0 bytes/workgroup (compile time only)
; SGPRBlocks: 0
; VGPRBlocks: 0
; NumSGPRsForWavesPerEU: 1
; NumVGPRsForWavesPerEU: 1
; Occupancy: 16
; WaveLimiterHint : 0
; COMPUTE_PGM_RSRC2:SCRATCH_EN: 0
; COMPUTE_PGM_RSRC2:USER_SGPR: 2
; COMPUTE_PGM_RSRC2:TRAP_HANDLER: 0
; COMPUTE_PGM_RSRC2:TGID_X_EN: 1
; COMPUTE_PGM_RSRC2:TGID_Y_EN: 0
; COMPUTE_PGM_RSRC2:TGID_Z_EN: 0
; COMPUTE_PGM_RSRC2:TIDIG_COMP_CNT: 0
	.section	.text._ZN7rocprim17ROCPRIM_400000_NS6detail17trampoline_kernelINS0_14default_configENS1_25partition_config_selectorILNS1_17partition_subalgoE5EyNS0_10empty_typeEbEEZZNS1_14partition_implILS5_5ELb0ES3_mN6thrust23THRUST_200600_302600_NS6detail15normal_iteratorINSA_10device_ptrIyEEEEPS6_NSA_18transform_iteratorINSB_9not_fun_tINSA_8identityIyEEEESF_NSA_11use_defaultESM_EENS0_5tupleIJSF_S6_EEENSO_IJSG_SG_EEES6_PlJS6_EEE10hipError_tPvRmT3_T4_T5_T6_T7_T9_mT8_P12ihipStream_tbDpT10_ENKUlT_T0_E_clISt17integral_constantIbLb1EES1A_IbLb0EEEEDaS16_S17_EUlS16_E_NS1_11comp_targetILNS1_3genE3ELNS1_11target_archE908ELNS1_3gpuE7ELNS1_3repE0EEENS1_30default_config_static_selectorELNS0_4arch9wavefront6targetE0EEEvT1_,"axG",@progbits,_ZN7rocprim17ROCPRIM_400000_NS6detail17trampoline_kernelINS0_14default_configENS1_25partition_config_selectorILNS1_17partition_subalgoE5EyNS0_10empty_typeEbEEZZNS1_14partition_implILS5_5ELb0ES3_mN6thrust23THRUST_200600_302600_NS6detail15normal_iteratorINSA_10device_ptrIyEEEEPS6_NSA_18transform_iteratorINSB_9not_fun_tINSA_8identityIyEEEESF_NSA_11use_defaultESM_EENS0_5tupleIJSF_S6_EEENSO_IJSG_SG_EEES6_PlJS6_EEE10hipError_tPvRmT3_T4_T5_T6_T7_T9_mT8_P12ihipStream_tbDpT10_ENKUlT_T0_E_clISt17integral_constantIbLb1EES1A_IbLb0EEEEDaS16_S17_EUlS16_E_NS1_11comp_targetILNS1_3genE3ELNS1_11target_archE908ELNS1_3gpuE7ELNS1_3repE0EEENS1_30default_config_static_selectorELNS0_4arch9wavefront6targetE0EEEvT1_,comdat
	.protected	_ZN7rocprim17ROCPRIM_400000_NS6detail17trampoline_kernelINS0_14default_configENS1_25partition_config_selectorILNS1_17partition_subalgoE5EyNS0_10empty_typeEbEEZZNS1_14partition_implILS5_5ELb0ES3_mN6thrust23THRUST_200600_302600_NS6detail15normal_iteratorINSA_10device_ptrIyEEEEPS6_NSA_18transform_iteratorINSB_9not_fun_tINSA_8identityIyEEEESF_NSA_11use_defaultESM_EENS0_5tupleIJSF_S6_EEENSO_IJSG_SG_EEES6_PlJS6_EEE10hipError_tPvRmT3_T4_T5_T6_T7_T9_mT8_P12ihipStream_tbDpT10_ENKUlT_T0_E_clISt17integral_constantIbLb1EES1A_IbLb0EEEEDaS16_S17_EUlS16_E_NS1_11comp_targetILNS1_3genE3ELNS1_11target_archE908ELNS1_3gpuE7ELNS1_3repE0EEENS1_30default_config_static_selectorELNS0_4arch9wavefront6targetE0EEEvT1_ ; -- Begin function _ZN7rocprim17ROCPRIM_400000_NS6detail17trampoline_kernelINS0_14default_configENS1_25partition_config_selectorILNS1_17partition_subalgoE5EyNS0_10empty_typeEbEEZZNS1_14partition_implILS5_5ELb0ES3_mN6thrust23THRUST_200600_302600_NS6detail15normal_iteratorINSA_10device_ptrIyEEEEPS6_NSA_18transform_iteratorINSB_9not_fun_tINSA_8identityIyEEEESF_NSA_11use_defaultESM_EENS0_5tupleIJSF_S6_EEENSO_IJSG_SG_EEES6_PlJS6_EEE10hipError_tPvRmT3_T4_T5_T6_T7_T9_mT8_P12ihipStream_tbDpT10_ENKUlT_T0_E_clISt17integral_constantIbLb1EES1A_IbLb0EEEEDaS16_S17_EUlS16_E_NS1_11comp_targetILNS1_3genE3ELNS1_11target_archE908ELNS1_3gpuE7ELNS1_3repE0EEENS1_30default_config_static_selectorELNS0_4arch9wavefront6targetE0EEEvT1_
	.globl	_ZN7rocprim17ROCPRIM_400000_NS6detail17trampoline_kernelINS0_14default_configENS1_25partition_config_selectorILNS1_17partition_subalgoE5EyNS0_10empty_typeEbEEZZNS1_14partition_implILS5_5ELb0ES3_mN6thrust23THRUST_200600_302600_NS6detail15normal_iteratorINSA_10device_ptrIyEEEEPS6_NSA_18transform_iteratorINSB_9not_fun_tINSA_8identityIyEEEESF_NSA_11use_defaultESM_EENS0_5tupleIJSF_S6_EEENSO_IJSG_SG_EEES6_PlJS6_EEE10hipError_tPvRmT3_T4_T5_T6_T7_T9_mT8_P12ihipStream_tbDpT10_ENKUlT_T0_E_clISt17integral_constantIbLb1EES1A_IbLb0EEEEDaS16_S17_EUlS16_E_NS1_11comp_targetILNS1_3genE3ELNS1_11target_archE908ELNS1_3gpuE7ELNS1_3repE0EEENS1_30default_config_static_selectorELNS0_4arch9wavefront6targetE0EEEvT1_
	.p2align	8
	.type	_ZN7rocprim17ROCPRIM_400000_NS6detail17trampoline_kernelINS0_14default_configENS1_25partition_config_selectorILNS1_17partition_subalgoE5EyNS0_10empty_typeEbEEZZNS1_14partition_implILS5_5ELb0ES3_mN6thrust23THRUST_200600_302600_NS6detail15normal_iteratorINSA_10device_ptrIyEEEEPS6_NSA_18transform_iteratorINSB_9not_fun_tINSA_8identityIyEEEESF_NSA_11use_defaultESM_EENS0_5tupleIJSF_S6_EEENSO_IJSG_SG_EEES6_PlJS6_EEE10hipError_tPvRmT3_T4_T5_T6_T7_T9_mT8_P12ihipStream_tbDpT10_ENKUlT_T0_E_clISt17integral_constantIbLb1EES1A_IbLb0EEEEDaS16_S17_EUlS16_E_NS1_11comp_targetILNS1_3genE3ELNS1_11target_archE908ELNS1_3gpuE7ELNS1_3repE0EEENS1_30default_config_static_selectorELNS0_4arch9wavefront6targetE0EEEvT1_,@function
_ZN7rocprim17ROCPRIM_400000_NS6detail17trampoline_kernelINS0_14default_configENS1_25partition_config_selectorILNS1_17partition_subalgoE5EyNS0_10empty_typeEbEEZZNS1_14partition_implILS5_5ELb0ES3_mN6thrust23THRUST_200600_302600_NS6detail15normal_iteratorINSA_10device_ptrIyEEEEPS6_NSA_18transform_iteratorINSB_9not_fun_tINSA_8identityIyEEEESF_NSA_11use_defaultESM_EENS0_5tupleIJSF_S6_EEENSO_IJSG_SG_EEES6_PlJS6_EEE10hipError_tPvRmT3_T4_T5_T6_T7_T9_mT8_P12ihipStream_tbDpT10_ENKUlT_T0_E_clISt17integral_constantIbLb1EES1A_IbLb0EEEEDaS16_S17_EUlS16_E_NS1_11comp_targetILNS1_3genE3ELNS1_11target_archE908ELNS1_3gpuE7ELNS1_3repE0EEENS1_30default_config_static_selectorELNS0_4arch9wavefront6targetE0EEEvT1_: ; @_ZN7rocprim17ROCPRIM_400000_NS6detail17trampoline_kernelINS0_14default_configENS1_25partition_config_selectorILNS1_17partition_subalgoE5EyNS0_10empty_typeEbEEZZNS1_14partition_implILS5_5ELb0ES3_mN6thrust23THRUST_200600_302600_NS6detail15normal_iteratorINSA_10device_ptrIyEEEEPS6_NSA_18transform_iteratorINSB_9not_fun_tINSA_8identityIyEEEESF_NSA_11use_defaultESM_EENS0_5tupleIJSF_S6_EEENSO_IJSG_SG_EEES6_PlJS6_EEE10hipError_tPvRmT3_T4_T5_T6_T7_T9_mT8_P12ihipStream_tbDpT10_ENKUlT_T0_E_clISt17integral_constantIbLb1EES1A_IbLb0EEEEDaS16_S17_EUlS16_E_NS1_11comp_targetILNS1_3genE3ELNS1_11target_archE908ELNS1_3gpuE7ELNS1_3repE0EEENS1_30default_config_static_selectorELNS0_4arch9wavefront6targetE0EEEvT1_
; %bb.0:
	.section	.rodata,"a",@progbits
	.p2align	6, 0x0
	.amdhsa_kernel _ZN7rocprim17ROCPRIM_400000_NS6detail17trampoline_kernelINS0_14default_configENS1_25partition_config_selectorILNS1_17partition_subalgoE5EyNS0_10empty_typeEbEEZZNS1_14partition_implILS5_5ELb0ES3_mN6thrust23THRUST_200600_302600_NS6detail15normal_iteratorINSA_10device_ptrIyEEEEPS6_NSA_18transform_iteratorINSB_9not_fun_tINSA_8identityIyEEEESF_NSA_11use_defaultESM_EENS0_5tupleIJSF_S6_EEENSO_IJSG_SG_EEES6_PlJS6_EEE10hipError_tPvRmT3_T4_T5_T6_T7_T9_mT8_P12ihipStream_tbDpT10_ENKUlT_T0_E_clISt17integral_constantIbLb1EES1A_IbLb0EEEEDaS16_S17_EUlS16_E_NS1_11comp_targetILNS1_3genE3ELNS1_11target_archE908ELNS1_3gpuE7ELNS1_3repE0EEENS1_30default_config_static_selectorELNS0_4arch9wavefront6targetE0EEEvT1_
		.amdhsa_group_segment_fixed_size 0
		.amdhsa_private_segment_fixed_size 0
		.amdhsa_kernarg_size 120
		.amdhsa_user_sgpr_count 2
		.amdhsa_user_sgpr_dispatch_ptr 0
		.amdhsa_user_sgpr_queue_ptr 0
		.amdhsa_user_sgpr_kernarg_segment_ptr 1
		.amdhsa_user_sgpr_dispatch_id 0
		.amdhsa_user_sgpr_private_segment_size 0
		.amdhsa_wavefront_size32 1
		.amdhsa_uses_dynamic_stack 0
		.amdhsa_enable_private_segment 0
		.amdhsa_system_sgpr_workgroup_id_x 1
		.amdhsa_system_sgpr_workgroup_id_y 0
		.amdhsa_system_sgpr_workgroup_id_z 0
		.amdhsa_system_sgpr_workgroup_info 0
		.amdhsa_system_vgpr_workitem_id 0
		.amdhsa_next_free_vgpr 1
		.amdhsa_next_free_sgpr 1
		.amdhsa_reserve_vcc 0
		.amdhsa_float_round_mode_32 0
		.amdhsa_float_round_mode_16_64 0
		.amdhsa_float_denorm_mode_32 3
		.amdhsa_float_denorm_mode_16_64 3
		.amdhsa_fp16_overflow 0
		.amdhsa_workgroup_processor_mode 1
		.amdhsa_memory_ordered 1
		.amdhsa_forward_progress 1
		.amdhsa_inst_pref_size 0
		.amdhsa_round_robin_scheduling 0
		.amdhsa_exception_fp_ieee_invalid_op 0
		.amdhsa_exception_fp_denorm_src 0
		.amdhsa_exception_fp_ieee_div_zero 0
		.amdhsa_exception_fp_ieee_overflow 0
		.amdhsa_exception_fp_ieee_underflow 0
		.amdhsa_exception_fp_ieee_inexact 0
		.amdhsa_exception_int_div_zero 0
	.end_amdhsa_kernel
	.section	.text._ZN7rocprim17ROCPRIM_400000_NS6detail17trampoline_kernelINS0_14default_configENS1_25partition_config_selectorILNS1_17partition_subalgoE5EyNS0_10empty_typeEbEEZZNS1_14partition_implILS5_5ELb0ES3_mN6thrust23THRUST_200600_302600_NS6detail15normal_iteratorINSA_10device_ptrIyEEEEPS6_NSA_18transform_iteratorINSB_9not_fun_tINSA_8identityIyEEEESF_NSA_11use_defaultESM_EENS0_5tupleIJSF_S6_EEENSO_IJSG_SG_EEES6_PlJS6_EEE10hipError_tPvRmT3_T4_T5_T6_T7_T9_mT8_P12ihipStream_tbDpT10_ENKUlT_T0_E_clISt17integral_constantIbLb1EES1A_IbLb0EEEEDaS16_S17_EUlS16_E_NS1_11comp_targetILNS1_3genE3ELNS1_11target_archE908ELNS1_3gpuE7ELNS1_3repE0EEENS1_30default_config_static_selectorELNS0_4arch9wavefront6targetE0EEEvT1_,"axG",@progbits,_ZN7rocprim17ROCPRIM_400000_NS6detail17trampoline_kernelINS0_14default_configENS1_25partition_config_selectorILNS1_17partition_subalgoE5EyNS0_10empty_typeEbEEZZNS1_14partition_implILS5_5ELb0ES3_mN6thrust23THRUST_200600_302600_NS6detail15normal_iteratorINSA_10device_ptrIyEEEEPS6_NSA_18transform_iteratorINSB_9not_fun_tINSA_8identityIyEEEESF_NSA_11use_defaultESM_EENS0_5tupleIJSF_S6_EEENSO_IJSG_SG_EEES6_PlJS6_EEE10hipError_tPvRmT3_T4_T5_T6_T7_T9_mT8_P12ihipStream_tbDpT10_ENKUlT_T0_E_clISt17integral_constantIbLb1EES1A_IbLb0EEEEDaS16_S17_EUlS16_E_NS1_11comp_targetILNS1_3genE3ELNS1_11target_archE908ELNS1_3gpuE7ELNS1_3repE0EEENS1_30default_config_static_selectorELNS0_4arch9wavefront6targetE0EEEvT1_,comdat
.Lfunc_end872:
	.size	_ZN7rocprim17ROCPRIM_400000_NS6detail17trampoline_kernelINS0_14default_configENS1_25partition_config_selectorILNS1_17partition_subalgoE5EyNS0_10empty_typeEbEEZZNS1_14partition_implILS5_5ELb0ES3_mN6thrust23THRUST_200600_302600_NS6detail15normal_iteratorINSA_10device_ptrIyEEEEPS6_NSA_18transform_iteratorINSB_9not_fun_tINSA_8identityIyEEEESF_NSA_11use_defaultESM_EENS0_5tupleIJSF_S6_EEENSO_IJSG_SG_EEES6_PlJS6_EEE10hipError_tPvRmT3_T4_T5_T6_T7_T9_mT8_P12ihipStream_tbDpT10_ENKUlT_T0_E_clISt17integral_constantIbLb1EES1A_IbLb0EEEEDaS16_S17_EUlS16_E_NS1_11comp_targetILNS1_3genE3ELNS1_11target_archE908ELNS1_3gpuE7ELNS1_3repE0EEENS1_30default_config_static_selectorELNS0_4arch9wavefront6targetE0EEEvT1_, .Lfunc_end872-_ZN7rocprim17ROCPRIM_400000_NS6detail17trampoline_kernelINS0_14default_configENS1_25partition_config_selectorILNS1_17partition_subalgoE5EyNS0_10empty_typeEbEEZZNS1_14partition_implILS5_5ELb0ES3_mN6thrust23THRUST_200600_302600_NS6detail15normal_iteratorINSA_10device_ptrIyEEEEPS6_NSA_18transform_iteratorINSB_9not_fun_tINSA_8identityIyEEEESF_NSA_11use_defaultESM_EENS0_5tupleIJSF_S6_EEENSO_IJSG_SG_EEES6_PlJS6_EEE10hipError_tPvRmT3_T4_T5_T6_T7_T9_mT8_P12ihipStream_tbDpT10_ENKUlT_T0_E_clISt17integral_constantIbLb1EES1A_IbLb0EEEEDaS16_S17_EUlS16_E_NS1_11comp_targetILNS1_3genE3ELNS1_11target_archE908ELNS1_3gpuE7ELNS1_3repE0EEENS1_30default_config_static_selectorELNS0_4arch9wavefront6targetE0EEEvT1_
                                        ; -- End function
	.set _ZN7rocprim17ROCPRIM_400000_NS6detail17trampoline_kernelINS0_14default_configENS1_25partition_config_selectorILNS1_17partition_subalgoE5EyNS0_10empty_typeEbEEZZNS1_14partition_implILS5_5ELb0ES3_mN6thrust23THRUST_200600_302600_NS6detail15normal_iteratorINSA_10device_ptrIyEEEEPS6_NSA_18transform_iteratorINSB_9not_fun_tINSA_8identityIyEEEESF_NSA_11use_defaultESM_EENS0_5tupleIJSF_S6_EEENSO_IJSG_SG_EEES6_PlJS6_EEE10hipError_tPvRmT3_T4_T5_T6_T7_T9_mT8_P12ihipStream_tbDpT10_ENKUlT_T0_E_clISt17integral_constantIbLb1EES1A_IbLb0EEEEDaS16_S17_EUlS16_E_NS1_11comp_targetILNS1_3genE3ELNS1_11target_archE908ELNS1_3gpuE7ELNS1_3repE0EEENS1_30default_config_static_selectorELNS0_4arch9wavefront6targetE0EEEvT1_.num_vgpr, 0
	.set _ZN7rocprim17ROCPRIM_400000_NS6detail17trampoline_kernelINS0_14default_configENS1_25partition_config_selectorILNS1_17partition_subalgoE5EyNS0_10empty_typeEbEEZZNS1_14partition_implILS5_5ELb0ES3_mN6thrust23THRUST_200600_302600_NS6detail15normal_iteratorINSA_10device_ptrIyEEEEPS6_NSA_18transform_iteratorINSB_9not_fun_tINSA_8identityIyEEEESF_NSA_11use_defaultESM_EENS0_5tupleIJSF_S6_EEENSO_IJSG_SG_EEES6_PlJS6_EEE10hipError_tPvRmT3_T4_T5_T6_T7_T9_mT8_P12ihipStream_tbDpT10_ENKUlT_T0_E_clISt17integral_constantIbLb1EES1A_IbLb0EEEEDaS16_S17_EUlS16_E_NS1_11comp_targetILNS1_3genE3ELNS1_11target_archE908ELNS1_3gpuE7ELNS1_3repE0EEENS1_30default_config_static_selectorELNS0_4arch9wavefront6targetE0EEEvT1_.num_agpr, 0
	.set _ZN7rocprim17ROCPRIM_400000_NS6detail17trampoline_kernelINS0_14default_configENS1_25partition_config_selectorILNS1_17partition_subalgoE5EyNS0_10empty_typeEbEEZZNS1_14partition_implILS5_5ELb0ES3_mN6thrust23THRUST_200600_302600_NS6detail15normal_iteratorINSA_10device_ptrIyEEEEPS6_NSA_18transform_iteratorINSB_9not_fun_tINSA_8identityIyEEEESF_NSA_11use_defaultESM_EENS0_5tupleIJSF_S6_EEENSO_IJSG_SG_EEES6_PlJS6_EEE10hipError_tPvRmT3_T4_T5_T6_T7_T9_mT8_P12ihipStream_tbDpT10_ENKUlT_T0_E_clISt17integral_constantIbLb1EES1A_IbLb0EEEEDaS16_S17_EUlS16_E_NS1_11comp_targetILNS1_3genE3ELNS1_11target_archE908ELNS1_3gpuE7ELNS1_3repE0EEENS1_30default_config_static_selectorELNS0_4arch9wavefront6targetE0EEEvT1_.numbered_sgpr, 0
	.set _ZN7rocprim17ROCPRIM_400000_NS6detail17trampoline_kernelINS0_14default_configENS1_25partition_config_selectorILNS1_17partition_subalgoE5EyNS0_10empty_typeEbEEZZNS1_14partition_implILS5_5ELb0ES3_mN6thrust23THRUST_200600_302600_NS6detail15normal_iteratorINSA_10device_ptrIyEEEEPS6_NSA_18transform_iteratorINSB_9not_fun_tINSA_8identityIyEEEESF_NSA_11use_defaultESM_EENS0_5tupleIJSF_S6_EEENSO_IJSG_SG_EEES6_PlJS6_EEE10hipError_tPvRmT3_T4_T5_T6_T7_T9_mT8_P12ihipStream_tbDpT10_ENKUlT_T0_E_clISt17integral_constantIbLb1EES1A_IbLb0EEEEDaS16_S17_EUlS16_E_NS1_11comp_targetILNS1_3genE3ELNS1_11target_archE908ELNS1_3gpuE7ELNS1_3repE0EEENS1_30default_config_static_selectorELNS0_4arch9wavefront6targetE0EEEvT1_.num_named_barrier, 0
	.set _ZN7rocprim17ROCPRIM_400000_NS6detail17trampoline_kernelINS0_14default_configENS1_25partition_config_selectorILNS1_17partition_subalgoE5EyNS0_10empty_typeEbEEZZNS1_14partition_implILS5_5ELb0ES3_mN6thrust23THRUST_200600_302600_NS6detail15normal_iteratorINSA_10device_ptrIyEEEEPS6_NSA_18transform_iteratorINSB_9not_fun_tINSA_8identityIyEEEESF_NSA_11use_defaultESM_EENS0_5tupleIJSF_S6_EEENSO_IJSG_SG_EEES6_PlJS6_EEE10hipError_tPvRmT3_T4_T5_T6_T7_T9_mT8_P12ihipStream_tbDpT10_ENKUlT_T0_E_clISt17integral_constantIbLb1EES1A_IbLb0EEEEDaS16_S17_EUlS16_E_NS1_11comp_targetILNS1_3genE3ELNS1_11target_archE908ELNS1_3gpuE7ELNS1_3repE0EEENS1_30default_config_static_selectorELNS0_4arch9wavefront6targetE0EEEvT1_.private_seg_size, 0
	.set _ZN7rocprim17ROCPRIM_400000_NS6detail17trampoline_kernelINS0_14default_configENS1_25partition_config_selectorILNS1_17partition_subalgoE5EyNS0_10empty_typeEbEEZZNS1_14partition_implILS5_5ELb0ES3_mN6thrust23THRUST_200600_302600_NS6detail15normal_iteratorINSA_10device_ptrIyEEEEPS6_NSA_18transform_iteratorINSB_9not_fun_tINSA_8identityIyEEEESF_NSA_11use_defaultESM_EENS0_5tupleIJSF_S6_EEENSO_IJSG_SG_EEES6_PlJS6_EEE10hipError_tPvRmT3_T4_T5_T6_T7_T9_mT8_P12ihipStream_tbDpT10_ENKUlT_T0_E_clISt17integral_constantIbLb1EES1A_IbLb0EEEEDaS16_S17_EUlS16_E_NS1_11comp_targetILNS1_3genE3ELNS1_11target_archE908ELNS1_3gpuE7ELNS1_3repE0EEENS1_30default_config_static_selectorELNS0_4arch9wavefront6targetE0EEEvT1_.uses_vcc, 0
	.set _ZN7rocprim17ROCPRIM_400000_NS6detail17trampoline_kernelINS0_14default_configENS1_25partition_config_selectorILNS1_17partition_subalgoE5EyNS0_10empty_typeEbEEZZNS1_14partition_implILS5_5ELb0ES3_mN6thrust23THRUST_200600_302600_NS6detail15normal_iteratorINSA_10device_ptrIyEEEEPS6_NSA_18transform_iteratorINSB_9not_fun_tINSA_8identityIyEEEESF_NSA_11use_defaultESM_EENS0_5tupleIJSF_S6_EEENSO_IJSG_SG_EEES6_PlJS6_EEE10hipError_tPvRmT3_T4_T5_T6_T7_T9_mT8_P12ihipStream_tbDpT10_ENKUlT_T0_E_clISt17integral_constantIbLb1EES1A_IbLb0EEEEDaS16_S17_EUlS16_E_NS1_11comp_targetILNS1_3genE3ELNS1_11target_archE908ELNS1_3gpuE7ELNS1_3repE0EEENS1_30default_config_static_selectorELNS0_4arch9wavefront6targetE0EEEvT1_.uses_flat_scratch, 0
	.set _ZN7rocprim17ROCPRIM_400000_NS6detail17trampoline_kernelINS0_14default_configENS1_25partition_config_selectorILNS1_17partition_subalgoE5EyNS0_10empty_typeEbEEZZNS1_14partition_implILS5_5ELb0ES3_mN6thrust23THRUST_200600_302600_NS6detail15normal_iteratorINSA_10device_ptrIyEEEEPS6_NSA_18transform_iteratorINSB_9not_fun_tINSA_8identityIyEEEESF_NSA_11use_defaultESM_EENS0_5tupleIJSF_S6_EEENSO_IJSG_SG_EEES6_PlJS6_EEE10hipError_tPvRmT3_T4_T5_T6_T7_T9_mT8_P12ihipStream_tbDpT10_ENKUlT_T0_E_clISt17integral_constantIbLb1EES1A_IbLb0EEEEDaS16_S17_EUlS16_E_NS1_11comp_targetILNS1_3genE3ELNS1_11target_archE908ELNS1_3gpuE7ELNS1_3repE0EEENS1_30default_config_static_selectorELNS0_4arch9wavefront6targetE0EEEvT1_.has_dyn_sized_stack, 0
	.set _ZN7rocprim17ROCPRIM_400000_NS6detail17trampoline_kernelINS0_14default_configENS1_25partition_config_selectorILNS1_17partition_subalgoE5EyNS0_10empty_typeEbEEZZNS1_14partition_implILS5_5ELb0ES3_mN6thrust23THRUST_200600_302600_NS6detail15normal_iteratorINSA_10device_ptrIyEEEEPS6_NSA_18transform_iteratorINSB_9not_fun_tINSA_8identityIyEEEESF_NSA_11use_defaultESM_EENS0_5tupleIJSF_S6_EEENSO_IJSG_SG_EEES6_PlJS6_EEE10hipError_tPvRmT3_T4_T5_T6_T7_T9_mT8_P12ihipStream_tbDpT10_ENKUlT_T0_E_clISt17integral_constantIbLb1EES1A_IbLb0EEEEDaS16_S17_EUlS16_E_NS1_11comp_targetILNS1_3genE3ELNS1_11target_archE908ELNS1_3gpuE7ELNS1_3repE0EEENS1_30default_config_static_selectorELNS0_4arch9wavefront6targetE0EEEvT1_.has_recursion, 0
	.set _ZN7rocprim17ROCPRIM_400000_NS6detail17trampoline_kernelINS0_14default_configENS1_25partition_config_selectorILNS1_17partition_subalgoE5EyNS0_10empty_typeEbEEZZNS1_14partition_implILS5_5ELb0ES3_mN6thrust23THRUST_200600_302600_NS6detail15normal_iteratorINSA_10device_ptrIyEEEEPS6_NSA_18transform_iteratorINSB_9not_fun_tINSA_8identityIyEEEESF_NSA_11use_defaultESM_EENS0_5tupleIJSF_S6_EEENSO_IJSG_SG_EEES6_PlJS6_EEE10hipError_tPvRmT3_T4_T5_T6_T7_T9_mT8_P12ihipStream_tbDpT10_ENKUlT_T0_E_clISt17integral_constantIbLb1EES1A_IbLb0EEEEDaS16_S17_EUlS16_E_NS1_11comp_targetILNS1_3genE3ELNS1_11target_archE908ELNS1_3gpuE7ELNS1_3repE0EEENS1_30default_config_static_selectorELNS0_4arch9wavefront6targetE0EEEvT1_.has_indirect_call, 0
	.section	.AMDGPU.csdata,"",@progbits
; Kernel info:
; codeLenInByte = 0
; TotalNumSgprs: 0
; NumVgprs: 0
; ScratchSize: 0
; MemoryBound: 0
; FloatMode: 240
; IeeeMode: 1
; LDSByteSize: 0 bytes/workgroup (compile time only)
; SGPRBlocks: 0
; VGPRBlocks: 0
; NumSGPRsForWavesPerEU: 1
; NumVGPRsForWavesPerEU: 1
; Occupancy: 16
; WaveLimiterHint : 0
; COMPUTE_PGM_RSRC2:SCRATCH_EN: 0
; COMPUTE_PGM_RSRC2:USER_SGPR: 2
; COMPUTE_PGM_RSRC2:TRAP_HANDLER: 0
; COMPUTE_PGM_RSRC2:TGID_X_EN: 1
; COMPUTE_PGM_RSRC2:TGID_Y_EN: 0
; COMPUTE_PGM_RSRC2:TGID_Z_EN: 0
; COMPUTE_PGM_RSRC2:TIDIG_COMP_CNT: 0
	.section	.text._ZN7rocprim17ROCPRIM_400000_NS6detail17trampoline_kernelINS0_14default_configENS1_25partition_config_selectorILNS1_17partition_subalgoE5EyNS0_10empty_typeEbEEZZNS1_14partition_implILS5_5ELb0ES3_mN6thrust23THRUST_200600_302600_NS6detail15normal_iteratorINSA_10device_ptrIyEEEEPS6_NSA_18transform_iteratorINSB_9not_fun_tINSA_8identityIyEEEESF_NSA_11use_defaultESM_EENS0_5tupleIJSF_S6_EEENSO_IJSG_SG_EEES6_PlJS6_EEE10hipError_tPvRmT3_T4_T5_T6_T7_T9_mT8_P12ihipStream_tbDpT10_ENKUlT_T0_E_clISt17integral_constantIbLb1EES1A_IbLb0EEEEDaS16_S17_EUlS16_E_NS1_11comp_targetILNS1_3genE2ELNS1_11target_archE906ELNS1_3gpuE6ELNS1_3repE0EEENS1_30default_config_static_selectorELNS0_4arch9wavefront6targetE0EEEvT1_,"axG",@progbits,_ZN7rocprim17ROCPRIM_400000_NS6detail17trampoline_kernelINS0_14default_configENS1_25partition_config_selectorILNS1_17partition_subalgoE5EyNS0_10empty_typeEbEEZZNS1_14partition_implILS5_5ELb0ES3_mN6thrust23THRUST_200600_302600_NS6detail15normal_iteratorINSA_10device_ptrIyEEEEPS6_NSA_18transform_iteratorINSB_9not_fun_tINSA_8identityIyEEEESF_NSA_11use_defaultESM_EENS0_5tupleIJSF_S6_EEENSO_IJSG_SG_EEES6_PlJS6_EEE10hipError_tPvRmT3_T4_T5_T6_T7_T9_mT8_P12ihipStream_tbDpT10_ENKUlT_T0_E_clISt17integral_constantIbLb1EES1A_IbLb0EEEEDaS16_S17_EUlS16_E_NS1_11comp_targetILNS1_3genE2ELNS1_11target_archE906ELNS1_3gpuE6ELNS1_3repE0EEENS1_30default_config_static_selectorELNS0_4arch9wavefront6targetE0EEEvT1_,comdat
	.protected	_ZN7rocprim17ROCPRIM_400000_NS6detail17trampoline_kernelINS0_14default_configENS1_25partition_config_selectorILNS1_17partition_subalgoE5EyNS0_10empty_typeEbEEZZNS1_14partition_implILS5_5ELb0ES3_mN6thrust23THRUST_200600_302600_NS6detail15normal_iteratorINSA_10device_ptrIyEEEEPS6_NSA_18transform_iteratorINSB_9not_fun_tINSA_8identityIyEEEESF_NSA_11use_defaultESM_EENS0_5tupleIJSF_S6_EEENSO_IJSG_SG_EEES6_PlJS6_EEE10hipError_tPvRmT3_T4_T5_T6_T7_T9_mT8_P12ihipStream_tbDpT10_ENKUlT_T0_E_clISt17integral_constantIbLb1EES1A_IbLb0EEEEDaS16_S17_EUlS16_E_NS1_11comp_targetILNS1_3genE2ELNS1_11target_archE906ELNS1_3gpuE6ELNS1_3repE0EEENS1_30default_config_static_selectorELNS0_4arch9wavefront6targetE0EEEvT1_ ; -- Begin function _ZN7rocprim17ROCPRIM_400000_NS6detail17trampoline_kernelINS0_14default_configENS1_25partition_config_selectorILNS1_17partition_subalgoE5EyNS0_10empty_typeEbEEZZNS1_14partition_implILS5_5ELb0ES3_mN6thrust23THRUST_200600_302600_NS6detail15normal_iteratorINSA_10device_ptrIyEEEEPS6_NSA_18transform_iteratorINSB_9not_fun_tINSA_8identityIyEEEESF_NSA_11use_defaultESM_EENS0_5tupleIJSF_S6_EEENSO_IJSG_SG_EEES6_PlJS6_EEE10hipError_tPvRmT3_T4_T5_T6_T7_T9_mT8_P12ihipStream_tbDpT10_ENKUlT_T0_E_clISt17integral_constantIbLb1EES1A_IbLb0EEEEDaS16_S17_EUlS16_E_NS1_11comp_targetILNS1_3genE2ELNS1_11target_archE906ELNS1_3gpuE6ELNS1_3repE0EEENS1_30default_config_static_selectorELNS0_4arch9wavefront6targetE0EEEvT1_
	.globl	_ZN7rocprim17ROCPRIM_400000_NS6detail17trampoline_kernelINS0_14default_configENS1_25partition_config_selectorILNS1_17partition_subalgoE5EyNS0_10empty_typeEbEEZZNS1_14partition_implILS5_5ELb0ES3_mN6thrust23THRUST_200600_302600_NS6detail15normal_iteratorINSA_10device_ptrIyEEEEPS6_NSA_18transform_iteratorINSB_9not_fun_tINSA_8identityIyEEEESF_NSA_11use_defaultESM_EENS0_5tupleIJSF_S6_EEENSO_IJSG_SG_EEES6_PlJS6_EEE10hipError_tPvRmT3_T4_T5_T6_T7_T9_mT8_P12ihipStream_tbDpT10_ENKUlT_T0_E_clISt17integral_constantIbLb1EES1A_IbLb0EEEEDaS16_S17_EUlS16_E_NS1_11comp_targetILNS1_3genE2ELNS1_11target_archE906ELNS1_3gpuE6ELNS1_3repE0EEENS1_30default_config_static_selectorELNS0_4arch9wavefront6targetE0EEEvT1_
	.p2align	8
	.type	_ZN7rocprim17ROCPRIM_400000_NS6detail17trampoline_kernelINS0_14default_configENS1_25partition_config_selectorILNS1_17partition_subalgoE5EyNS0_10empty_typeEbEEZZNS1_14partition_implILS5_5ELb0ES3_mN6thrust23THRUST_200600_302600_NS6detail15normal_iteratorINSA_10device_ptrIyEEEEPS6_NSA_18transform_iteratorINSB_9not_fun_tINSA_8identityIyEEEESF_NSA_11use_defaultESM_EENS0_5tupleIJSF_S6_EEENSO_IJSG_SG_EEES6_PlJS6_EEE10hipError_tPvRmT3_T4_T5_T6_T7_T9_mT8_P12ihipStream_tbDpT10_ENKUlT_T0_E_clISt17integral_constantIbLb1EES1A_IbLb0EEEEDaS16_S17_EUlS16_E_NS1_11comp_targetILNS1_3genE2ELNS1_11target_archE906ELNS1_3gpuE6ELNS1_3repE0EEENS1_30default_config_static_selectorELNS0_4arch9wavefront6targetE0EEEvT1_,@function
_ZN7rocprim17ROCPRIM_400000_NS6detail17trampoline_kernelINS0_14default_configENS1_25partition_config_selectorILNS1_17partition_subalgoE5EyNS0_10empty_typeEbEEZZNS1_14partition_implILS5_5ELb0ES3_mN6thrust23THRUST_200600_302600_NS6detail15normal_iteratorINSA_10device_ptrIyEEEEPS6_NSA_18transform_iteratorINSB_9not_fun_tINSA_8identityIyEEEESF_NSA_11use_defaultESM_EENS0_5tupleIJSF_S6_EEENSO_IJSG_SG_EEES6_PlJS6_EEE10hipError_tPvRmT3_T4_T5_T6_T7_T9_mT8_P12ihipStream_tbDpT10_ENKUlT_T0_E_clISt17integral_constantIbLb1EES1A_IbLb0EEEEDaS16_S17_EUlS16_E_NS1_11comp_targetILNS1_3genE2ELNS1_11target_archE906ELNS1_3gpuE6ELNS1_3repE0EEENS1_30default_config_static_selectorELNS0_4arch9wavefront6targetE0EEEvT1_: ; @_ZN7rocprim17ROCPRIM_400000_NS6detail17trampoline_kernelINS0_14default_configENS1_25partition_config_selectorILNS1_17partition_subalgoE5EyNS0_10empty_typeEbEEZZNS1_14partition_implILS5_5ELb0ES3_mN6thrust23THRUST_200600_302600_NS6detail15normal_iteratorINSA_10device_ptrIyEEEEPS6_NSA_18transform_iteratorINSB_9not_fun_tINSA_8identityIyEEEESF_NSA_11use_defaultESM_EENS0_5tupleIJSF_S6_EEENSO_IJSG_SG_EEES6_PlJS6_EEE10hipError_tPvRmT3_T4_T5_T6_T7_T9_mT8_P12ihipStream_tbDpT10_ENKUlT_T0_E_clISt17integral_constantIbLb1EES1A_IbLb0EEEEDaS16_S17_EUlS16_E_NS1_11comp_targetILNS1_3genE2ELNS1_11target_archE906ELNS1_3gpuE6ELNS1_3repE0EEENS1_30default_config_static_selectorELNS0_4arch9wavefront6targetE0EEEvT1_
; %bb.0:
	.section	.rodata,"a",@progbits
	.p2align	6, 0x0
	.amdhsa_kernel _ZN7rocprim17ROCPRIM_400000_NS6detail17trampoline_kernelINS0_14default_configENS1_25partition_config_selectorILNS1_17partition_subalgoE5EyNS0_10empty_typeEbEEZZNS1_14partition_implILS5_5ELb0ES3_mN6thrust23THRUST_200600_302600_NS6detail15normal_iteratorINSA_10device_ptrIyEEEEPS6_NSA_18transform_iteratorINSB_9not_fun_tINSA_8identityIyEEEESF_NSA_11use_defaultESM_EENS0_5tupleIJSF_S6_EEENSO_IJSG_SG_EEES6_PlJS6_EEE10hipError_tPvRmT3_T4_T5_T6_T7_T9_mT8_P12ihipStream_tbDpT10_ENKUlT_T0_E_clISt17integral_constantIbLb1EES1A_IbLb0EEEEDaS16_S17_EUlS16_E_NS1_11comp_targetILNS1_3genE2ELNS1_11target_archE906ELNS1_3gpuE6ELNS1_3repE0EEENS1_30default_config_static_selectorELNS0_4arch9wavefront6targetE0EEEvT1_
		.amdhsa_group_segment_fixed_size 0
		.amdhsa_private_segment_fixed_size 0
		.amdhsa_kernarg_size 120
		.amdhsa_user_sgpr_count 2
		.amdhsa_user_sgpr_dispatch_ptr 0
		.amdhsa_user_sgpr_queue_ptr 0
		.amdhsa_user_sgpr_kernarg_segment_ptr 1
		.amdhsa_user_sgpr_dispatch_id 0
		.amdhsa_user_sgpr_private_segment_size 0
		.amdhsa_wavefront_size32 1
		.amdhsa_uses_dynamic_stack 0
		.amdhsa_enable_private_segment 0
		.amdhsa_system_sgpr_workgroup_id_x 1
		.amdhsa_system_sgpr_workgroup_id_y 0
		.amdhsa_system_sgpr_workgroup_id_z 0
		.amdhsa_system_sgpr_workgroup_info 0
		.amdhsa_system_vgpr_workitem_id 0
		.amdhsa_next_free_vgpr 1
		.amdhsa_next_free_sgpr 1
		.amdhsa_reserve_vcc 0
		.amdhsa_float_round_mode_32 0
		.amdhsa_float_round_mode_16_64 0
		.amdhsa_float_denorm_mode_32 3
		.amdhsa_float_denorm_mode_16_64 3
		.amdhsa_fp16_overflow 0
		.amdhsa_workgroup_processor_mode 1
		.amdhsa_memory_ordered 1
		.amdhsa_forward_progress 1
		.amdhsa_inst_pref_size 0
		.amdhsa_round_robin_scheduling 0
		.amdhsa_exception_fp_ieee_invalid_op 0
		.amdhsa_exception_fp_denorm_src 0
		.amdhsa_exception_fp_ieee_div_zero 0
		.amdhsa_exception_fp_ieee_overflow 0
		.amdhsa_exception_fp_ieee_underflow 0
		.amdhsa_exception_fp_ieee_inexact 0
		.amdhsa_exception_int_div_zero 0
	.end_amdhsa_kernel
	.section	.text._ZN7rocprim17ROCPRIM_400000_NS6detail17trampoline_kernelINS0_14default_configENS1_25partition_config_selectorILNS1_17partition_subalgoE5EyNS0_10empty_typeEbEEZZNS1_14partition_implILS5_5ELb0ES3_mN6thrust23THRUST_200600_302600_NS6detail15normal_iteratorINSA_10device_ptrIyEEEEPS6_NSA_18transform_iteratorINSB_9not_fun_tINSA_8identityIyEEEESF_NSA_11use_defaultESM_EENS0_5tupleIJSF_S6_EEENSO_IJSG_SG_EEES6_PlJS6_EEE10hipError_tPvRmT3_T4_T5_T6_T7_T9_mT8_P12ihipStream_tbDpT10_ENKUlT_T0_E_clISt17integral_constantIbLb1EES1A_IbLb0EEEEDaS16_S17_EUlS16_E_NS1_11comp_targetILNS1_3genE2ELNS1_11target_archE906ELNS1_3gpuE6ELNS1_3repE0EEENS1_30default_config_static_selectorELNS0_4arch9wavefront6targetE0EEEvT1_,"axG",@progbits,_ZN7rocprim17ROCPRIM_400000_NS6detail17trampoline_kernelINS0_14default_configENS1_25partition_config_selectorILNS1_17partition_subalgoE5EyNS0_10empty_typeEbEEZZNS1_14partition_implILS5_5ELb0ES3_mN6thrust23THRUST_200600_302600_NS6detail15normal_iteratorINSA_10device_ptrIyEEEEPS6_NSA_18transform_iteratorINSB_9not_fun_tINSA_8identityIyEEEESF_NSA_11use_defaultESM_EENS0_5tupleIJSF_S6_EEENSO_IJSG_SG_EEES6_PlJS6_EEE10hipError_tPvRmT3_T4_T5_T6_T7_T9_mT8_P12ihipStream_tbDpT10_ENKUlT_T0_E_clISt17integral_constantIbLb1EES1A_IbLb0EEEEDaS16_S17_EUlS16_E_NS1_11comp_targetILNS1_3genE2ELNS1_11target_archE906ELNS1_3gpuE6ELNS1_3repE0EEENS1_30default_config_static_selectorELNS0_4arch9wavefront6targetE0EEEvT1_,comdat
.Lfunc_end873:
	.size	_ZN7rocprim17ROCPRIM_400000_NS6detail17trampoline_kernelINS0_14default_configENS1_25partition_config_selectorILNS1_17partition_subalgoE5EyNS0_10empty_typeEbEEZZNS1_14partition_implILS5_5ELb0ES3_mN6thrust23THRUST_200600_302600_NS6detail15normal_iteratorINSA_10device_ptrIyEEEEPS6_NSA_18transform_iteratorINSB_9not_fun_tINSA_8identityIyEEEESF_NSA_11use_defaultESM_EENS0_5tupleIJSF_S6_EEENSO_IJSG_SG_EEES6_PlJS6_EEE10hipError_tPvRmT3_T4_T5_T6_T7_T9_mT8_P12ihipStream_tbDpT10_ENKUlT_T0_E_clISt17integral_constantIbLb1EES1A_IbLb0EEEEDaS16_S17_EUlS16_E_NS1_11comp_targetILNS1_3genE2ELNS1_11target_archE906ELNS1_3gpuE6ELNS1_3repE0EEENS1_30default_config_static_selectorELNS0_4arch9wavefront6targetE0EEEvT1_, .Lfunc_end873-_ZN7rocprim17ROCPRIM_400000_NS6detail17trampoline_kernelINS0_14default_configENS1_25partition_config_selectorILNS1_17partition_subalgoE5EyNS0_10empty_typeEbEEZZNS1_14partition_implILS5_5ELb0ES3_mN6thrust23THRUST_200600_302600_NS6detail15normal_iteratorINSA_10device_ptrIyEEEEPS6_NSA_18transform_iteratorINSB_9not_fun_tINSA_8identityIyEEEESF_NSA_11use_defaultESM_EENS0_5tupleIJSF_S6_EEENSO_IJSG_SG_EEES6_PlJS6_EEE10hipError_tPvRmT3_T4_T5_T6_T7_T9_mT8_P12ihipStream_tbDpT10_ENKUlT_T0_E_clISt17integral_constantIbLb1EES1A_IbLb0EEEEDaS16_S17_EUlS16_E_NS1_11comp_targetILNS1_3genE2ELNS1_11target_archE906ELNS1_3gpuE6ELNS1_3repE0EEENS1_30default_config_static_selectorELNS0_4arch9wavefront6targetE0EEEvT1_
                                        ; -- End function
	.set _ZN7rocprim17ROCPRIM_400000_NS6detail17trampoline_kernelINS0_14default_configENS1_25partition_config_selectorILNS1_17partition_subalgoE5EyNS0_10empty_typeEbEEZZNS1_14partition_implILS5_5ELb0ES3_mN6thrust23THRUST_200600_302600_NS6detail15normal_iteratorINSA_10device_ptrIyEEEEPS6_NSA_18transform_iteratorINSB_9not_fun_tINSA_8identityIyEEEESF_NSA_11use_defaultESM_EENS0_5tupleIJSF_S6_EEENSO_IJSG_SG_EEES6_PlJS6_EEE10hipError_tPvRmT3_T4_T5_T6_T7_T9_mT8_P12ihipStream_tbDpT10_ENKUlT_T0_E_clISt17integral_constantIbLb1EES1A_IbLb0EEEEDaS16_S17_EUlS16_E_NS1_11comp_targetILNS1_3genE2ELNS1_11target_archE906ELNS1_3gpuE6ELNS1_3repE0EEENS1_30default_config_static_selectorELNS0_4arch9wavefront6targetE0EEEvT1_.num_vgpr, 0
	.set _ZN7rocprim17ROCPRIM_400000_NS6detail17trampoline_kernelINS0_14default_configENS1_25partition_config_selectorILNS1_17partition_subalgoE5EyNS0_10empty_typeEbEEZZNS1_14partition_implILS5_5ELb0ES3_mN6thrust23THRUST_200600_302600_NS6detail15normal_iteratorINSA_10device_ptrIyEEEEPS6_NSA_18transform_iteratorINSB_9not_fun_tINSA_8identityIyEEEESF_NSA_11use_defaultESM_EENS0_5tupleIJSF_S6_EEENSO_IJSG_SG_EEES6_PlJS6_EEE10hipError_tPvRmT3_T4_T5_T6_T7_T9_mT8_P12ihipStream_tbDpT10_ENKUlT_T0_E_clISt17integral_constantIbLb1EES1A_IbLb0EEEEDaS16_S17_EUlS16_E_NS1_11comp_targetILNS1_3genE2ELNS1_11target_archE906ELNS1_3gpuE6ELNS1_3repE0EEENS1_30default_config_static_selectorELNS0_4arch9wavefront6targetE0EEEvT1_.num_agpr, 0
	.set _ZN7rocprim17ROCPRIM_400000_NS6detail17trampoline_kernelINS0_14default_configENS1_25partition_config_selectorILNS1_17partition_subalgoE5EyNS0_10empty_typeEbEEZZNS1_14partition_implILS5_5ELb0ES3_mN6thrust23THRUST_200600_302600_NS6detail15normal_iteratorINSA_10device_ptrIyEEEEPS6_NSA_18transform_iteratorINSB_9not_fun_tINSA_8identityIyEEEESF_NSA_11use_defaultESM_EENS0_5tupleIJSF_S6_EEENSO_IJSG_SG_EEES6_PlJS6_EEE10hipError_tPvRmT3_T4_T5_T6_T7_T9_mT8_P12ihipStream_tbDpT10_ENKUlT_T0_E_clISt17integral_constantIbLb1EES1A_IbLb0EEEEDaS16_S17_EUlS16_E_NS1_11comp_targetILNS1_3genE2ELNS1_11target_archE906ELNS1_3gpuE6ELNS1_3repE0EEENS1_30default_config_static_selectorELNS0_4arch9wavefront6targetE0EEEvT1_.numbered_sgpr, 0
	.set _ZN7rocprim17ROCPRIM_400000_NS6detail17trampoline_kernelINS0_14default_configENS1_25partition_config_selectorILNS1_17partition_subalgoE5EyNS0_10empty_typeEbEEZZNS1_14partition_implILS5_5ELb0ES3_mN6thrust23THRUST_200600_302600_NS6detail15normal_iteratorINSA_10device_ptrIyEEEEPS6_NSA_18transform_iteratorINSB_9not_fun_tINSA_8identityIyEEEESF_NSA_11use_defaultESM_EENS0_5tupleIJSF_S6_EEENSO_IJSG_SG_EEES6_PlJS6_EEE10hipError_tPvRmT3_T4_T5_T6_T7_T9_mT8_P12ihipStream_tbDpT10_ENKUlT_T0_E_clISt17integral_constantIbLb1EES1A_IbLb0EEEEDaS16_S17_EUlS16_E_NS1_11comp_targetILNS1_3genE2ELNS1_11target_archE906ELNS1_3gpuE6ELNS1_3repE0EEENS1_30default_config_static_selectorELNS0_4arch9wavefront6targetE0EEEvT1_.num_named_barrier, 0
	.set _ZN7rocprim17ROCPRIM_400000_NS6detail17trampoline_kernelINS0_14default_configENS1_25partition_config_selectorILNS1_17partition_subalgoE5EyNS0_10empty_typeEbEEZZNS1_14partition_implILS5_5ELb0ES3_mN6thrust23THRUST_200600_302600_NS6detail15normal_iteratorINSA_10device_ptrIyEEEEPS6_NSA_18transform_iteratorINSB_9not_fun_tINSA_8identityIyEEEESF_NSA_11use_defaultESM_EENS0_5tupleIJSF_S6_EEENSO_IJSG_SG_EEES6_PlJS6_EEE10hipError_tPvRmT3_T4_T5_T6_T7_T9_mT8_P12ihipStream_tbDpT10_ENKUlT_T0_E_clISt17integral_constantIbLb1EES1A_IbLb0EEEEDaS16_S17_EUlS16_E_NS1_11comp_targetILNS1_3genE2ELNS1_11target_archE906ELNS1_3gpuE6ELNS1_3repE0EEENS1_30default_config_static_selectorELNS0_4arch9wavefront6targetE0EEEvT1_.private_seg_size, 0
	.set _ZN7rocprim17ROCPRIM_400000_NS6detail17trampoline_kernelINS0_14default_configENS1_25partition_config_selectorILNS1_17partition_subalgoE5EyNS0_10empty_typeEbEEZZNS1_14partition_implILS5_5ELb0ES3_mN6thrust23THRUST_200600_302600_NS6detail15normal_iteratorINSA_10device_ptrIyEEEEPS6_NSA_18transform_iteratorINSB_9not_fun_tINSA_8identityIyEEEESF_NSA_11use_defaultESM_EENS0_5tupleIJSF_S6_EEENSO_IJSG_SG_EEES6_PlJS6_EEE10hipError_tPvRmT3_T4_T5_T6_T7_T9_mT8_P12ihipStream_tbDpT10_ENKUlT_T0_E_clISt17integral_constantIbLb1EES1A_IbLb0EEEEDaS16_S17_EUlS16_E_NS1_11comp_targetILNS1_3genE2ELNS1_11target_archE906ELNS1_3gpuE6ELNS1_3repE0EEENS1_30default_config_static_selectorELNS0_4arch9wavefront6targetE0EEEvT1_.uses_vcc, 0
	.set _ZN7rocprim17ROCPRIM_400000_NS6detail17trampoline_kernelINS0_14default_configENS1_25partition_config_selectorILNS1_17partition_subalgoE5EyNS0_10empty_typeEbEEZZNS1_14partition_implILS5_5ELb0ES3_mN6thrust23THRUST_200600_302600_NS6detail15normal_iteratorINSA_10device_ptrIyEEEEPS6_NSA_18transform_iteratorINSB_9not_fun_tINSA_8identityIyEEEESF_NSA_11use_defaultESM_EENS0_5tupleIJSF_S6_EEENSO_IJSG_SG_EEES6_PlJS6_EEE10hipError_tPvRmT3_T4_T5_T6_T7_T9_mT8_P12ihipStream_tbDpT10_ENKUlT_T0_E_clISt17integral_constantIbLb1EES1A_IbLb0EEEEDaS16_S17_EUlS16_E_NS1_11comp_targetILNS1_3genE2ELNS1_11target_archE906ELNS1_3gpuE6ELNS1_3repE0EEENS1_30default_config_static_selectorELNS0_4arch9wavefront6targetE0EEEvT1_.uses_flat_scratch, 0
	.set _ZN7rocprim17ROCPRIM_400000_NS6detail17trampoline_kernelINS0_14default_configENS1_25partition_config_selectorILNS1_17partition_subalgoE5EyNS0_10empty_typeEbEEZZNS1_14partition_implILS5_5ELb0ES3_mN6thrust23THRUST_200600_302600_NS6detail15normal_iteratorINSA_10device_ptrIyEEEEPS6_NSA_18transform_iteratorINSB_9not_fun_tINSA_8identityIyEEEESF_NSA_11use_defaultESM_EENS0_5tupleIJSF_S6_EEENSO_IJSG_SG_EEES6_PlJS6_EEE10hipError_tPvRmT3_T4_T5_T6_T7_T9_mT8_P12ihipStream_tbDpT10_ENKUlT_T0_E_clISt17integral_constantIbLb1EES1A_IbLb0EEEEDaS16_S17_EUlS16_E_NS1_11comp_targetILNS1_3genE2ELNS1_11target_archE906ELNS1_3gpuE6ELNS1_3repE0EEENS1_30default_config_static_selectorELNS0_4arch9wavefront6targetE0EEEvT1_.has_dyn_sized_stack, 0
	.set _ZN7rocprim17ROCPRIM_400000_NS6detail17trampoline_kernelINS0_14default_configENS1_25partition_config_selectorILNS1_17partition_subalgoE5EyNS0_10empty_typeEbEEZZNS1_14partition_implILS5_5ELb0ES3_mN6thrust23THRUST_200600_302600_NS6detail15normal_iteratorINSA_10device_ptrIyEEEEPS6_NSA_18transform_iteratorINSB_9not_fun_tINSA_8identityIyEEEESF_NSA_11use_defaultESM_EENS0_5tupleIJSF_S6_EEENSO_IJSG_SG_EEES6_PlJS6_EEE10hipError_tPvRmT3_T4_T5_T6_T7_T9_mT8_P12ihipStream_tbDpT10_ENKUlT_T0_E_clISt17integral_constantIbLb1EES1A_IbLb0EEEEDaS16_S17_EUlS16_E_NS1_11comp_targetILNS1_3genE2ELNS1_11target_archE906ELNS1_3gpuE6ELNS1_3repE0EEENS1_30default_config_static_selectorELNS0_4arch9wavefront6targetE0EEEvT1_.has_recursion, 0
	.set _ZN7rocprim17ROCPRIM_400000_NS6detail17trampoline_kernelINS0_14default_configENS1_25partition_config_selectorILNS1_17partition_subalgoE5EyNS0_10empty_typeEbEEZZNS1_14partition_implILS5_5ELb0ES3_mN6thrust23THRUST_200600_302600_NS6detail15normal_iteratorINSA_10device_ptrIyEEEEPS6_NSA_18transform_iteratorINSB_9not_fun_tINSA_8identityIyEEEESF_NSA_11use_defaultESM_EENS0_5tupleIJSF_S6_EEENSO_IJSG_SG_EEES6_PlJS6_EEE10hipError_tPvRmT3_T4_T5_T6_T7_T9_mT8_P12ihipStream_tbDpT10_ENKUlT_T0_E_clISt17integral_constantIbLb1EES1A_IbLb0EEEEDaS16_S17_EUlS16_E_NS1_11comp_targetILNS1_3genE2ELNS1_11target_archE906ELNS1_3gpuE6ELNS1_3repE0EEENS1_30default_config_static_selectorELNS0_4arch9wavefront6targetE0EEEvT1_.has_indirect_call, 0
	.section	.AMDGPU.csdata,"",@progbits
; Kernel info:
; codeLenInByte = 0
; TotalNumSgprs: 0
; NumVgprs: 0
; ScratchSize: 0
; MemoryBound: 0
; FloatMode: 240
; IeeeMode: 1
; LDSByteSize: 0 bytes/workgroup (compile time only)
; SGPRBlocks: 0
; VGPRBlocks: 0
; NumSGPRsForWavesPerEU: 1
; NumVGPRsForWavesPerEU: 1
; Occupancy: 16
; WaveLimiterHint : 0
; COMPUTE_PGM_RSRC2:SCRATCH_EN: 0
; COMPUTE_PGM_RSRC2:USER_SGPR: 2
; COMPUTE_PGM_RSRC2:TRAP_HANDLER: 0
; COMPUTE_PGM_RSRC2:TGID_X_EN: 1
; COMPUTE_PGM_RSRC2:TGID_Y_EN: 0
; COMPUTE_PGM_RSRC2:TGID_Z_EN: 0
; COMPUTE_PGM_RSRC2:TIDIG_COMP_CNT: 0
	.section	.text._ZN7rocprim17ROCPRIM_400000_NS6detail17trampoline_kernelINS0_14default_configENS1_25partition_config_selectorILNS1_17partition_subalgoE5EyNS0_10empty_typeEbEEZZNS1_14partition_implILS5_5ELb0ES3_mN6thrust23THRUST_200600_302600_NS6detail15normal_iteratorINSA_10device_ptrIyEEEEPS6_NSA_18transform_iteratorINSB_9not_fun_tINSA_8identityIyEEEESF_NSA_11use_defaultESM_EENS0_5tupleIJSF_S6_EEENSO_IJSG_SG_EEES6_PlJS6_EEE10hipError_tPvRmT3_T4_T5_T6_T7_T9_mT8_P12ihipStream_tbDpT10_ENKUlT_T0_E_clISt17integral_constantIbLb1EES1A_IbLb0EEEEDaS16_S17_EUlS16_E_NS1_11comp_targetILNS1_3genE10ELNS1_11target_archE1200ELNS1_3gpuE4ELNS1_3repE0EEENS1_30default_config_static_selectorELNS0_4arch9wavefront6targetE0EEEvT1_,"axG",@progbits,_ZN7rocprim17ROCPRIM_400000_NS6detail17trampoline_kernelINS0_14default_configENS1_25partition_config_selectorILNS1_17partition_subalgoE5EyNS0_10empty_typeEbEEZZNS1_14partition_implILS5_5ELb0ES3_mN6thrust23THRUST_200600_302600_NS6detail15normal_iteratorINSA_10device_ptrIyEEEEPS6_NSA_18transform_iteratorINSB_9not_fun_tINSA_8identityIyEEEESF_NSA_11use_defaultESM_EENS0_5tupleIJSF_S6_EEENSO_IJSG_SG_EEES6_PlJS6_EEE10hipError_tPvRmT3_T4_T5_T6_T7_T9_mT8_P12ihipStream_tbDpT10_ENKUlT_T0_E_clISt17integral_constantIbLb1EES1A_IbLb0EEEEDaS16_S17_EUlS16_E_NS1_11comp_targetILNS1_3genE10ELNS1_11target_archE1200ELNS1_3gpuE4ELNS1_3repE0EEENS1_30default_config_static_selectorELNS0_4arch9wavefront6targetE0EEEvT1_,comdat
	.protected	_ZN7rocprim17ROCPRIM_400000_NS6detail17trampoline_kernelINS0_14default_configENS1_25partition_config_selectorILNS1_17partition_subalgoE5EyNS0_10empty_typeEbEEZZNS1_14partition_implILS5_5ELb0ES3_mN6thrust23THRUST_200600_302600_NS6detail15normal_iteratorINSA_10device_ptrIyEEEEPS6_NSA_18transform_iteratorINSB_9not_fun_tINSA_8identityIyEEEESF_NSA_11use_defaultESM_EENS0_5tupleIJSF_S6_EEENSO_IJSG_SG_EEES6_PlJS6_EEE10hipError_tPvRmT3_T4_T5_T6_T7_T9_mT8_P12ihipStream_tbDpT10_ENKUlT_T0_E_clISt17integral_constantIbLb1EES1A_IbLb0EEEEDaS16_S17_EUlS16_E_NS1_11comp_targetILNS1_3genE10ELNS1_11target_archE1200ELNS1_3gpuE4ELNS1_3repE0EEENS1_30default_config_static_selectorELNS0_4arch9wavefront6targetE0EEEvT1_ ; -- Begin function _ZN7rocprim17ROCPRIM_400000_NS6detail17trampoline_kernelINS0_14default_configENS1_25partition_config_selectorILNS1_17partition_subalgoE5EyNS0_10empty_typeEbEEZZNS1_14partition_implILS5_5ELb0ES3_mN6thrust23THRUST_200600_302600_NS6detail15normal_iteratorINSA_10device_ptrIyEEEEPS6_NSA_18transform_iteratorINSB_9not_fun_tINSA_8identityIyEEEESF_NSA_11use_defaultESM_EENS0_5tupleIJSF_S6_EEENSO_IJSG_SG_EEES6_PlJS6_EEE10hipError_tPvRmT3_T4_T5_T6_T7_T9_mT8_P12ihipStream_tbDpT10_ENKUlT_T0_E_clISt17integral_constantIbLb1EES1A_IbLb0EEEEDaS16_S17_EUlS16_E_NS1_11comp_targetILNS1_3genE10ELNS1_11target_archE1200ELNS1_3gpuE4ELNS1_3repE0EEENS1_30default_config_static_selectorELNS0_4arch9wavefront6targetE0EEEvT1_
	.globl	_ZN7rocprim17ROCPRIM_400000_NS6detail17trampoline_kernelINS0_14default_configENS1_25partition_config_selectorILNS1_17partition_subalgoE5EyNS0_10empty_typeEbEEZZNS1_14partition_implILS5_5ELb0ES3_mN6thrust23THRUST_200600_302600_NS6detail15normal_iteratorINSA_10device_ptrIyEEEEPS6_NSA_18transform_iteratorINSB_9not_fun_tINSA_8identityIyEEEESF_NSA_11use_defaultESM_EENS0_5tupleIJSF_S6_EEENSO_IJSG_SG_EEES6_PlJS6_EEE10hipError_tPvRmT3_T4_T5_T6_T7_T9_mT8_P12ihipStream_tbDpT10_ENKUlT_T0_E_clISt17integral_constantIbLb1EES1A_IbLb0EEEEDaS16_S17_EUlS16_E_NS1_11comp_targetILNS1_3genE10ELNS1_11target_archE1200ELNS1_3gpuE4ELNS1_3repE0EEENS1_30default_config_static_selectorELNS0_4arch9wavefront6targetE0EEEvT1_
	.p2align	8
	.type	_ZN7rocprim17ROCPRIM_400000_NS6detail17trampoline_kernelINS0_14default_configENS1_25partition_config_selectorILNS1_17partition_subalgoE5EyNS0_10empty_typeEbEEZZNS1_14partition_implILS5_5ELb0ES3_mN6thrust23THRUST_200600_302600_NS6detail15normal_iteratorINSA_10device_ptrIyEEEEPS6_NSA_18transform_iteratorINSB_9not_fun_tINSA_8identityIyEEEESF_NSA_11use_defaultESM_EENS0_5tupleIJSF_S6_EEENSO_IJSG_SG_EEES6_PlJS6_EEE10hipError_tPvRmT3_T4_T5_T6_T7_T9_mT8_P12ihipStream_tbDpT10_ENKUlT_T0_E_clISt17integral_constantIbLb1EES1A_IbLb0EEEEDaS16_S17_EUlS16_E_NS1_11comp_targetILNS1_3genE10ELNS1_11target_archE1200ELNS1_3gpuE4ELNS1_3repE0EEENS1_30default_config_static_selectorELNS0_4arch9wavefront6targetE0EEEvT1_,@function
_ZN7rocprim17ROCPRIM_400000_NS6detail17trampoline_kernelINS0_14default_configENS1_25partition_config_selectorILNS1_17partition_subalgoE5EyNS0_10empty_typeEbEEZZNS1_14partition_implILS5_5ELb0ES3_mN6thrust23THRUST_200600_302600_NS6detail15normal_iteratorINSA_10device_ptrIyEEEEPS6_NSA_18transform_iteratorINSB_9not_fun_tINSA_8identityIyEEEESF_NSA_11use_defaultESM_EENS0_5tupleIJSF_S6_EEENSO_IJSG_SG_EEES6_PlJS6_EEE10hipError_tPvRmT3_T4_T5_T6_T7_T9_mT8_P12ihipStream_tbDpT10_ENKUlT_T0_E_clISt17integral_constantIbLb1EES1A_IbLb0EEEEDaS16_S17_EUlS16_E_NS1_11comp_targetILNS1_3genE10ELNS1_11target_archE1200ELNS1_3gpuE4ELNS1_3repE0EEENS1_30default_config_static_selectorELNS0_4arch9wavefront6targetE0EEEvT1_: ; @_ZN7rocprim17ROCPRIM_400000_NS6detail17trampoline_kernelINS0_14default_configENS1_25partition_config_selectorILNS1_17partition_subalgoE5EyNS0_10empty_typeEbEEZZNS1_14partition_implILS5_5ELb0ES3_mN6thrust23THRUST_200600_302600_NS6detail15normal_iteratorINSA_10device_ptrIyEEEEPS6_NSA_18transform_iteratorINSB_9not_fun_tINSA_8identityIyEEEESF_NSA_11use_defaultESM_EENS0_5tupleIJSF_S6_EEENSO_IJSG_SG_EEES6_PlJS6_EEE10hipError_tPvRmT3_T4_T5_T6_T7_T9_mT8_P12ihipStream_tbDpT10_ENKUlT_T0_E_clISt17integral_constantIbLb1EES1A_IbLb0EEEEDaS16_S17_EUlS16_E_NS1_11comp_targetILNS1_3genE10ELNS1_11target_archE1200ELNS1_3gpuE4ELNS1_3repE0EEENS1_30default_config_static_selectorELNS0_4arch9wavefront6targetE0EEEvT1_
; %bb.0:
	s_endpgm
	.section	.rodata,"a",@progbits
	.p2align	6, 0x0
	.amdhsa_kernel _ZN7rocprim17ROCPRIM_400000_NS6detail17trampoline_kernelINS0_14default_configENS1_25partition_config_selectorILNS1_17partition_subalgoE5EyNS0_10empty_typeEbEEZZNS1_14partition_implILS5_5ELb0ES3_mN6thrust23THRUST_200600_302600_NS6detail15normal_iteratorINSA_10device_ptrIyEEEEPS6_NSA_18transform_iteratorINSB_9not_fun_tINSA_8identityIyEEEESF_NSA_11use_defaultESM_EENS0_5tupleIJSF_S6_EEENSO_IJSG_SG_EEES6_PlJS6_EEE10hipError_tPvRmT3_T4_T5_T6_T7_T9_mT8_P12ihipStream_tbDpT10_ENKUlT_T0_E_clISt17integral_constantIbLb1EES1A_IbLb0EEEEDaS16_S17_EUlS16_E_NS1_11comp_targetILNS1_3genE10ELNS1_11target_archE1200ELNS1_3gpuE4ELNS1_3repE0EEENS1_30default_config_static_selectorELNS0_4arch9wavefront6targetE0EEEvT1_
		.amdhsa_group_segment_fixed_size 0
		.amdhsa_private_segment_fixed_size 0
		.amdhsa_kernarg_size 120
		.amdhsa_user_sgpr_count 2
		.amdhsa_user_sgpr_dispatch_ptr 0
		.amdhsa_user_sgpr_queue_ptr 0
		.amdhsa_user_sgpr_kernarg_segment_ptr 1
		.amdhsa_user_sgpr_dispatch_id 0
		.amdhsa_user_sgpr_private_segment_size 0
		.amdhsa_wavefront_size32 1
		.amdhsa_uses_dynamic_stack 0
		.amdhsa_enable_private_segment 0
		.amdhsa_system_sgpr_workgroup_id_x 1
		.amdhsa_system_sgpr_workgroup_id_y 0
		.amdhsa_system_sgpr_workgroup_id_z 0
		.amdhsa_system_sgpr_workgroup_info 0
		.amdhsa_system_vgpr_workitem_id 0
		.amdhsa_next_free_vgpr 1
		.amdhsa_next_free_sgpr 1
		.amdhsa_reserve_vcc 0
		.amdhsa_float_round_mode_32 0
		.amdhsa_float_round_mode_16_64 0
		.amdhsa_float_denorm_mode_32 3
		.amdhsa_float_denorm_mode_16_64 3
		.amdhsa_fp16_overflow 0
		.amdhsa_workgroup_processor_mode 1
		.amdhsa_memory_ordered 1
		.amdhsa_forward_progress 1
		.amdhsa_inst_pref_size 1
		.amdhsa_round_robin_scheduling 0
		.amdhsa_exception_fp_ieee_invalid_op 0
		.amdhsa_exception_fp_denorm_src 0
		.amdhsa_exception_fp_ieee_div_zero 0
		.amdhsa_exception_fp_ieee_overflow 0
		.amdhsa_exception_fp_ieee_underflow 0
		.amdhsa_exception_fp_ieee_inexact 0
		.amdhsa_exception_int_div_zero 0
	.end_amdhsa_kernel
	.section	.text._ZN7rocprim17ROCPRIM_400000_NS6detail17trampoline_kernelINS0_14default_configENS1_25partition_config_selectorILNS1_17partition_subalgoE5EyNS0_10empty_typeEbEEZZNS1_14partition_implILS5_5ELb0ES3_mN6thrust23THRUST_200600_302600_NS6detail15normal_iteratorINSA_10device_ptrIyEEEEPS6_NSA_18transform_iteratorINSB_9not_fun_tINSA_8identityIyEEEESF_NSA_11use_defaultESM_EENS0_5tupleIJSF_S6_EEENSO_IJSG_SG_EEES6_PlJS6_EEE10hipError_tPvRmT3_T4_T5_T6_T7_T9_mT8_P12ihipStream_tbDpT10_ENKUlT_T0_E_clISt17integral_constantIbLb1EES1A_IbLb0EEEEDaS16_S17_EUlS16_E_NS1_11comp_targetILNS1_3genE10ELNS1_11target_archE1200ELNS1_3gpuE4ELNS1_3repE0EEENS1_30default_config_static_selectorELNS0_4arch9wavefront6targetE0EEEvT1_,"axG",@progbits,_ZN7rocprim17ROCPRIM_400000_NS6detail17trampoline_kernelINS0_14default_configENS1_25partition_config_selectorILNS1_17partition_subalgoE5EyNS0_10empty_typeEbEEZZNS1_14partition_implILS5_5ELb0ES3_mN6thrust23THRUST_200600_302600_NS6detail15normal_iteratorINSA_10device_ptrIyEEEEPS6_NSA_18transform_iteratorINSB_9not_fun_tINSA_8identityIyEEEESF_NSA_11use_defaultESM_EENS0_5tupleIJSF_S6_EEENSO_IJSG_SG_EEES6_PlJS6_EEE10hipError_tPvRmT3_T4_T5_T6_T7_T9_mT8_P12ihipStream_tbDpT10_ENKUlT_T0_E_clISt17integral_constantIbLb1EES1A_IbLb0EEEEDaS16_S17_EUlS16_E_NS1_11comp_targetILNS1_3genE10ELNS1_11target_archE1200ELNS1_3gpuE4ELNS1_3repE0EEENS1_30default_config_static_selectorELNS0_4arch9wavefront6targetE0EEEvT1_,comdat
.Lfunc_end874:
	.size	_ZN7rocprim17ROCPRIM_400000_NS6detail17trampoline_kernelINS0_14default_configENS1_25partition_config_selectorILNS1_17partition_subalgoE5EyNS0_10empty_typeEbEEZZNS1_14partition_implILS5_5ELb0ES3_mN6thrust23THRUST_200600_302600_NS6detail15normal_iteratorINSA_10device_ptrIyEEEEPS6_NSA_18transform_iteratorINSB_9not_fun_tINSA_8identityIyEEEESF_NSA_11use_defaultESM_EENS0_5tupleIJSF_S6_EEENSO_IJSG_SG_EEES6_PlJS6_EEE10hipError_tPvRmT3_T4_T5_T6_T7_T9_mT8_P12ihipStream_tbDpT10_ENKUlT_T0_E_clISt17integral_constantIbLb1EES1A_IbLb0EEEEDaS16_S17_EUlS16_E_NS1_11comp_targetILNS1_3genE10ELNS1_11target_archE1200ELNS1_3gpuE4ELNS1_3repE0EEENS1_30default_config_static_selectorELNS0_4arch9wavefront6targetE0EEEvT1_, .Lfunc_end874-_ZN7rocprim17ROCPRIM_400000_NS6detail17trampoline_kernelINS0_14default_configENS1_25partition_config_selectorILNS1_17partition_subalgoE5EyNS0_10empty_typeEbEEZZNS1_14partition_implILS5_5ELb0ES3_mN6thrust23THRUST_200600_302600_NS6detail15normal_iteratorINSA_10device_ptrIyEEEEPS6_NSA_18transform_iteratorINSB_9not_fun_tINSA_8identityIyEEEESF_NSA_11use_defaultESM_EENS0_5tupleIJSF_S6_EEENSO_IJSG_SG_EEES6_PlJS6_EEE10hipError_tPvRmT3_T4_T5_T6_T7_T9_mT8_P12ihipStream_tbDpT10_ENKUlT_T0_E_clISt17integral_constantIbLb1EES1A_IbLb0EEEEDaS16_S17_EUlS16_E_NS1_11comp_targetILNS1_3genE10ELNS1_11target_archE1200ELNS1_3gpuE4ELNS1_3repE0EEENS1_30default_config_static_selectorELNS0_4arch9wavefront6targetE0EEEvT1_
                                        ; -- End function
	.set _ZN7rocprim17ROCPRIM_400000_NS6detail17trampoline_kernelINS0_14default_configENS1_25partition_config_selectorILNS1_17partition_subalgoE5EyNS0_10empty_typeEbEEZZNS1_14partition_implILS5_5ELb0ES3_mN6thrust23THRUST_200600_302600_NS6detail15normal_iteratorINSA_10device_ptrIyEEEEPS6_NSA_18transform_iteratorINSB_9not_fun_tINSA_8identityIyEEEESF_NSA_11use_defaultESM_EENS0_5tupleIJSF_S6_EEENSO_IJSG_SG_EEES6_PlJS6_EEE10hipError_tPvRmT3_T4_T5_T6_T7_T9_mT8_P12ihipStream_tbDpT10_ENKUlT_T0_E_clISt17integral_constantIbLb1EES1A_IbLb0EEEEDaS16_S17_EUlS16_E_NS1_11comp_targetILNS1_3genE10ELNS1_11target_archE1200ELNS1_3gpuE4ELNS1_3repE0EEENS1_30default_config_static_selectorELNS0_4arch9wavefront6targetE0EEEvT1_.num_vgpr, 0
	.set _ZN7rocprim17ROCPRIM_400000_NS6detail17trampoline_kernelINS0_14default_configENS1_25partition_config_selectorILNS1_17partition_subalgoE5EyNS0_10empty_typeEbEEZZNS1_14partition_implILS5_5ELb0ES3_mN6thrust23THRUST_200600_302600_NS6detail15normal_iteratorINSA_10device_ptrIyEEEEPS6_NSA_18transform_iteratorINSB_9not_fun_tINSA_8identityIyEEEESF_NSA_11use_defaultESM_EENS0_5tupleIJSF_S6_EEENSO_IJSG_SG_EEES6_PlJS6_EEE10hipError_tPvRmT3_T4_T5_T6_T7_T9_mT8_P12ihipStream_tbDpT10_ENKUlT_T0_E_clISt17integral_constantIbLb1EES1A_IbLb0EEEEDaS16_S17_EUlS16_E_NS1_11comp_targetILNS1_3genE10ELNS1_11target_archE1200ELNS1_3gpuE4ELNS1_3repE0EEENS1_30default_config_static_selectorELNS0_4arch9wavefront6targetE0EEEvT1_.num_agpr, 0
	.set _ZN7rocprim17ROCPRIM_400000_NS6detail17trampoline_kernelINS0_14default_configENS1_25partition_config_selectorILNS1_17partition_subalgoE5EyNS0_10empty_typeEbEEZZNS1_14partition_implILS5_5ELb0ES3_mN6thrust23THRUST_200600_302600_NS6detail15normal_iteratorINSA_10device_ptrIyEEEEPS6_NSA_18transform_iteratorINSB_9not_fun_tINSA_8identityIyEEEESF_NSA_11use_defaultESM_EENS0_5tupleIJSF_S6_EEENSO_IJSG_SG_EEES6_PlJS6_EEE10hipError_tPvRmT3_T4_T5_T6_T7_T9_mT8_P12ihipStream_tbDpT10_ENKUlT_T0_E_clISt17integral_constantIbLb1EES1A_IbLb0EEEEDaS16_S17_EUlS16_E_NS1_11comp_targetILNS1_3genE10ELNS1_11target_archE1200ELNS1_3gpuE4ELNS1_3repE0EEENS1_30default_config_static_selectorELNS0_4arch9wavefront6targetE0EEEvT1_.numbered_sgpr, 0
	.set _ZN7rocprim17ROCPRIM_400000_NS6detail17trampoline_kernelINS0_14default_configENS1_25partition_config_selectorILNS1_17partition_subalgoE5EyNS0_10empty_typeEbEEZZNS1_14partition_implILS5_5ELb0ES3_mN6thrust23THRUST_200600_302600_NS6detail15normal_iteratorINSA_10device_ptrIyEEEEPS6_NSA_18transform_iteratorINSB_9not_fun_tINSA_8identityIyEEEESF_NSA_11use_defaultESM_EENS0_5tupleIJSF_S6_EEENSO_IJSG_SG_EEES6_PlJS6_EEE10hipError_tPvRmT3_T4_T5_T6_T7_T9_mT8_P12ihipStream_tbDpT10_ENKUlT_T0_E_clISt17integral_constantIbLb1EES1A_IbLb0EEEEDaS16_S17_EUlS16_E_NS1_11comp_targetILNS1_3genE10ELNS1_11target_archE1200ELNS1_3gpuE4ELNS1_3repE0EEENS1_30default_config_static_selectorELNS0_4arch9wavefront6targetE0EEEvT1_.num_named_barrier, 0
	.set _ZN7rocprim17ROCPRIM_400000_NS6detail17trampoline_kernelINS0_14default_configENS1_25partition_config_selectorILNS1_17partition_subalgoE5EyNS0_10empty_typeEbEEZZNS1_14partition_implILS5_5ELb0ES3_mN6thrust23THRUST_200600_302600_NS6detail15normal_iteratorINSA_10device_ptrIyEEEEPS6_NSA_18transform_iteratorINSB_9not_fun_tINSA_8identityIyEEEESF_NSA_11use_defaultESM_EENS0_5tupleIJSF_S6_EEENSO_IJSG_SG_EEES6_PlJS6_EEE10hipError_tPvRmT3_T4_T5_T6_T7_T9_mT8_P12ihipStream_tbDpT10_ENKUlT_T0_E_clISt17integral_constantIbLb1EES1A_IbLb0EEEEDaS16_S17_EUlS16_E_NS1_11comp_targetILNS1_3genE10ELNS1_11target_archE1200ELNS1_3gpuE4ELNS1_3repE0EEENS1_30default_config_static_selectorELNS0_4arch9wavefront6targetE0EEEvT1_.private_seg_size, 0
	.set _ZN7rocprim17ROCPRIM_400000_NS6detail17trampoline_kernelINS0_14default_configENS1_25partition_config_selectorILNS1_17partition_subalgoE5EyNS0_10empty_typeEbEEZZNS1_14partition_implILS5_5ELb0ES3_mN6thrust23THRUST_200600_302600_NS6detail15normal_iteratorINSA_10device_ptrIyEEEEPS6_NSA_18transform_iteratorINSB_9not_fun_tINSA_8identityIyEEEESF_NSA_11use_defaultESM_EENS0_5tupleIJSF_S6_EEENSO_IJSG_SG_EEES6_PlJS6_EEE10hipError_tPvRmT3_T4_T5_T6_T7_T9_mT8_P12ihipStream_tbDpT10_ENKUlT_T0_E_clISt17integral_constantIbLb1EES1A_IbLb0EEEEDaS16_S17_EUlS16_E_NS1_11comp_targetILNS1_3genE10ELNS1_11target_archE1200ELNS1_3gpuE4ELNS1_3repE0EEENS1_30default_config_static_selectorELNS0_4arch9wavefront6targetE0EEEvT1_.uses_vcc, 0
	.set _ZN7rocprim17ROCPRIM_400000_NS6detail17trampoline_kernelINS0_14default_configENS1_25partition_config_selectorILNS1_17partition_subalgoE5EyNS0_10empty_typeEbEEZZNS1_14partition_implILS5_5ELb0ES3_mN6thrust23THRUST_200600_302600_NS6detail15normal_iteratorINSA_10device_ptrIyEEEEPS6_NSA_18transform_iteratorINSB_9not_fun_tINSA_8identityIyEEEESF_NSA_11use_defaultESM_EENS0_5tupleIJSF_S6_EEENSO_IJSG_SG_EEES6_PlJS6_EEE10hipError_tPvRmT3_T4_T5_T6_T7_T9_mT8_P12ihipStream_tbDpT10_ENKUlT_T0_E_clISt17integral_constantIbLb1EES1A_IbLb0EEEEDaS16_S17_EUlS16_E_NS1_11comp_targetILNS1_3genE10ELNS1_11target_archE1200ELNS1_3gpuE4ELNS1_3repE0EEENS1_30default_config_static_selectorELNS0_4arch9wavefront6targetE0EEEvT1_.uses_flat_scratch, 0
	.set _ZN7rocprim17ROCPRIM_400000_NS6detail17trampoline_kernelINS0_14default_configENS1_25partition_config_selectorILNS1_17partition_subalgoE5EyNS0_10empty_typeEbEEZZNS1_14partition_implILS5_5ELb0ES3_mN6thrust23THRUST_200600_302600_NS6detail15normal_iteratorINSA_10device_ptrIyEEEEPS6_NSA_18transform_iteratorINSB_9not_fun_tINSA_8identityIyEEEESF_NSA_11use_defaultESM_EENS0_5tupleIJSF_S6_EEENSO_IJSG_SG_EEES6_PlJS6_EEE10hipError_tPvRmT3_T4_T5_T6_T7_T9_mT8_P12ihipStream_tbDpT10_ENKUlT_T0_E_clISt17integral_constantIbLb1EES1A_IbLb0EEEEDaS16_S17_EUlS16_E_NS1_11comp_targetILNS1_3genE10ELNS1_11target_archE1200ELNS1_3gpuE4ELNS1_3repE0EEENS1_30default_config_static_selectorELNS0_4arch9wavefront6targetE0EEEvT1_.has_dyn_sized_stack, 0
	.set _ZN7rocprim17ROCPRIM_400000_NS6detail17trampoline_kernelINS0_14default_configENS1_25partition_config_selectorILNS1_17partition_subalgoE5EyNS0_10empty_typeEbEEZZNS1_14partition_implILS5_5ELb0ES3_mN6thrust23THRUST_200600_302600_NS6detail15normal_iteratorINSA_10device_ptrIyEEEEPS6_NSA_18transform_iteratorINSB_9not_fun_tINSA_8identityIyEEEESF_NSA_11use_defaultESM_EENS0_5tupleIJSF_S6_EEENSO_IJSG_SG_EEES6_PlJS6_EEE10hipError_tPvRmT3_T4_T5_T6_T7_T9_mT8_P12ihipStream_tbDpT10_ENKUlT_T0_E_clISt17integral_constantIbLb1EES1A_IbLb0EEEEDaS16_S17_EUlS16_E_NS1_11comp_targetILNS1_3genE10ELNS1_11target_archE1200ELNS1_3gpuE4ELNS1_3repE0EEENS1_30default_config_static_selectorELNS0_4arch9wavefront6targetE0EEEvT1_.has_recursion, 0
	.set _ZN7rocprim17ROCPRIM_400000_NS6detail17trampoline_kernelINS0_14default_configENS1_25partition_config_selectorILNS1_17partition_subalgoE5EyNS0_10empty_typeEbEEZZNS1_14partition_implILS5_5ELb0ES3_mN6thrust23THRUST_200600_302600_NS6detail15normal_iteratorINSA_10device_ptrIyEEEEPS6_NSA_18transform_iteratorINSB_9not_fun_tINSA_8identityIyEEEESF_NSA_11use_defaultESM_EENS0_5tupleIJSF_S6_EEENSO_IJSG_SG_EEES6_PlJS6_EEE10hipError_tPvRmT3_T4_T5_T6_T7_T9_mT8_P12ihipStream_tbDpT10_ENKUlT_T0_E_clISt17integral_constantIbLb1EES1A_IbLb0EEEEDaS16_S17_EUlS16_E_NS1_11comp_targetILNS1_3genE10ELNS1_11target_archE1200ELNS1_3gpuE4ELNS1_3repE0EEENS1_30default_config_static_selectorELNS0_4arch9wavefront6targetE0EEEvT1_.has_indirect_call, 0
	.section	.AMDGPU.csdata,"",@progbits
; Kernel info:
; codeLenInByte = 4
; TotalNumSgprs: 0
; NumVgprs: 0
; ScratchSize: 0
; MemoryBound: 0
; FloatMode: 240
; IeeeMode: 1
; LDSByteSize: 0 bytes/workgroup (compile time only)
; SGPRBlocks: 0
; VGPRBlocks: 0
; NumSGPRsForWavesPerEU: 1
; NumVGPRsForWavesPerEU: 1
; Occupancy: 16
; WaveLimiterHint : 0
; COMPUTE_PGM_RSRC2:SCRATCH_EN: 0
; COMPUTE_PGM_RSRC2:USER_SGPR: 2
; COMPUTE_PGM_RSRC2:TRAP_HANDLER: 0
; COMPUTE_PGM_RSRC2:TGID_X_EN: 1
; COMPUTE_PGM_RSRC2:TGID_Y_EN: 0
; COMPUTE_PGM_RSRC2:TGID_Z_EN: 0
; COMPUTE_PGM_RSRC2:TIDIG_COMP_CNT: 0
	.section	.text._ZN7rocprim17ROCPRIM_400000_NS6detail17trampoline_kernelINS0_14default_configENS1_25partition_config_selectorILNS1_17partition_subalgoE5EyNS0_10empty_typeEbEEZZNS1_14partition_implILS5_5ELb0ES3_mN6thrust23THRUST_200600_302600_NS6detail15normal_iteratorINSA_10device_ptrIyEEEEPS6_NSA_18transform_iteratorINSB_9not_fun_tINSA_8identityIyEEEESF_NSA_11use_defaultESM_EENS0_5tupleIJSF_S6_EEENSO_IJSG_SG_EEES6_PlJS6_EEE10hipError_tPvRmT3_T4_T5_T6_T7_T9_mT8_P12ihipStream_tbDpT10_ENKUlT_T0_E_clISt17integral_constantIbLb1EES1A_IbLb0EEEEDaS16_S17_EUlS16_E_NS1_11comp_targetILNS1_3genE9ELNS1_11target_archE1100ELNS1_3gpuE3ELNS1_3repE0EEENS1_30default_config_static_selectorELNS0_4arch9wavefront6targetE0EEEvT1_,"axG",@progbits,_ZN7rocprim17ROCPRIM_400000_NS6detail17trampoline_kernelINS0_14default_configENS1_25partition_config_selectorILNS1_17partition_subalgoE5EyNS0_10empty_typeEbEEZZNS1_14partition_implILS5_5ELb0ES3_mN6thrust23THRUST_200600_302600_NS6detail15normal_iteratorINSA_10device_ptrIyEEEEPS6_NSA_18transform_iteratorINSB_9not_fun_tINSA_8identityIyEEEESF_NSA_11use_defaultESM_EENS0_5tupleIJSF_S6_EEENSO_IJSG_SG_EEES6_PlJS6_EEE10hipError_tPvRmT3_T4_T5_T6_T7_T9_mT8_P12ihipStream_tbDpT10_ENKUlT_T0_E_clISt17integral_constantIbLb1EES1A_IbLb0EEEEDaS16_S17_EUlS16_E_NS1_11comp_targetILNS1_3genE9ELNS1_11target_archE1100ELNS1_3gpuE3ELNS1_3repE0EEENS1_30default_config_static_selectorELNS0_4arch9wavefront6targetE0EEEvT1_,comdat
	.protected	_ZN7rocprim17ROCPRIM_400000_NS6detail17trampoline_kernelINS0_14default_configENS1_25partition_config_selectorILNS1_17partition_subalgoE5EyNS0_10empty_typeEbEEZZNS1_14partition_implILS5_5ELb0ES3_mN6thrust23THRUST_200600_302600_NS6detail15normal_iteratorINSA_10device_ptrIyEEEEPS6_NSA_18transform_iteratorINSB_9not_fun_tINSA_8identityIyEEEESF_NSA_11use_defaultESM_EENS0_5tupleIJSF_S6_EEENSO_IJSG_SG_EEES6_PlJS6_EEE10hipError_tPvRmT3_T4_T5_T6_T7_T9_mT8_P12ihipStream_tbDpT10_ENKUlT_T0_E_clISt17integral_constantIbLb1EES1A_IbLb0EEEEDaS16_S17_EUlS16_E_NS1_11comp_targetILNS1_3genE9ELNS1_11target_archE1100ELNS1_3gpuE3ELNS1_3repE0EEENS1_30default_config_static_selectorELNS0_4arch9wavefront6targetE0EEEvT1_ ; -- Begin function _ZN7rocprim17ROCPRIM_400000_NS6detail17trampoline_kernelINS0_14default_configENS1_25partition_config_selectorILNS1_17partition_subalgoE5EyNS0_10empty_typeEbEEZZNS1_14partition_implILS5_5ELb0ES3_mN6thrust23THRUST_200600_302600_NS6detail15normal_iteratorINSA_10device_ptrIyEEEEPS6_NSA_18transform_iteratorINSB_9not_fun_tINSA_8identityIyEEEESF_NSA_11use_defaultESM_EENS0_5tupleIJSF_S6_EEENSO_IJSG_SG_EEES6_PlJS6_EEE10hipError_tPvRmT3_T4_T5_T6_T7_T9_mT8_P12ihipStream_tbDpT10_ENKUlT_T0_E_clISt17integral_constantIbLb1EES1A_IbLb0EEEEDaS16_S17_EUlS16_E_NS1_11comp_targetILNS1_3genE9ELNS1_11target_archE1100ELNS1_3gpuE3ELNS1_3repE0EEENS1_30default_config_static_selectorELNS0_4arch9wavefront6targetE0EEEvT1_
	.globl	_ZN7rocprim17ROCPRIM_400000_NS6detail17trampoline_kernelINS0_14default_configENS1_25partition_config_selectorILNS1_17partition_subalgoE5EyNS0_10empty_typeEbEEZZNS1_14partition_implILS5_5ELb0ES3_mN6thrust23THRUST_200600_302600_NS6detail15normal_iteratorINSA_10device_ptrIyEEEEPS6_NSA_18transform_iteratorINSB_9not_fun_tINSA_8identityIyEEEESF_NSA_11use_defaultESM_EENS0_5tupleIJSF_S6_EEENSO_IJSG_SG_EEES6_PlJS6_EEE10hipError_tPvRmT3_T4_T5_T6_T7_T9_mT8_P12ihipStream_tbDpT10_ENKUlT_T0_E_clISt17integral_constantIbLb1EES1A_IbLb0EEEEDaS16_S17_EUlS16_E_NS1_11comp_targetILNS1_3genE9ELNS1_11target_archE1100ELNS1_3gpuE3ELNS1_3repE0EEENS1_30default_config_static_selectorELNS0_4arch9wavefront6targetE0EEEvT1_
	.p2align	8
	.type	_ZN7rocprim17ROCPRIM_400000_NS6detail17trampoline_kernelINS0_14default_configENS1_25partition_config_selectorILNS1_17partition_subalgoE5EyNS0_10empty_typeEbEEZZNS1_14partition_implILS5_5ELb0ES3_mN6thrust23THRUST_200600_302600_NS6detail15normal_iteratorINSA_10device_ptrIyEEEEPS6_NSA_18transform_iteratorINSB_9not_fun_tINSA_8identityIyEEEESF_NSA_11use_defaultESM_EENS0_5tupleIJSF_S6_EEENSO_IJSG_SG_EEES6_PlJS6_EEE10hipError_tPvRmT3_T4_T5_T6_T7_T9_mT8_P12ihipStream_tbDpT10_ENKUlT_T0_E_clISt17integral_constantIbLb1EES1A_IbLb0EEEEDaS16_S17_EUlS16_E_NS1_11comp_targetILNS1_3genE9ELNS1_11target_archE1100ELNS1_3gpuE3ELNS1_3repE0EEENS1_30default_config_static_selectorELNS0_4arch9wavefront6targetE0EEEvT1_,@function
_ZN7rocprim17ROCPRIM_400000_NS6detail17trampoline_kernelINS0_14default_configENS1_25partition_config_selectorILNS1_17partition_subalgoE5EyNS0_10empty_typeEbEEZZNS1_14partition_implILS5_5ELb0ES3_mN6thrust23THRUST_200600_302600_NS6detail15normal_iteratorINSA_10device_ptrIyEEEEPS6_NSA_18transform_iteratorINSB_9not_fun_tINSA_8identityIyEEEESF_NSA_11use_defaultESM_EENS0_5tupleIJSF_S6_EEENSO_IJSG_SG_EEES6_PlJS6_EEE10hipError_tPvRmT3_T4_T5_T6_T7_T9_mT8_P12ihipStream_tbDpT10_ENKUlT_T0_E_clISt17integral_constantIbLb1EES1A_IbLb0EEEEDaS16_S17_EUlS16_E_NS1_11comp_targetILNS1_3genE9ELNS1_11target_archE1100ELNS1_3gpuE3ELNS1_3repE0EEENS1_30default_config_static_selectorELNS0_4arch9wavefront6targetE0EEEvT1_: ; @_ZN7rocprim17ROCPRIM_400000_NS6detail17trampoline_kernelINS0_14default_configENS1_25partition_config_selectorILNS1_17partition_subalgoE5EyNS0_10empty_typeEbEEZZNS1_14partition_implILS5_5ELb0ES3_mN6thrust23THRUST_200600_302600_NS6detail15normal_iteratorINSA_10device_ptrIyEEEEPS6_NSA_18transform_iteratorINSB_9not_fun_tINSA_8identityIyEEEESF_NSA_11use_defaultESM_EENS0_5tupleIJSF_S6_EEENSO_IJSG_SG_EEES6_PlJS6_EEE10hipError_tPvRmT3_T4_T5_T6_T7_T9_mT8_P12ihipStream_tbDpT10_ENKUlT_T0_E_clISt17integral_constantIbLb1EES1A_IbLb0EEEEDaS16_S17_EUlS16_E_NS1_11comp_targetILNS1_3genE9ELNS1_11target_archE1100ELNS1_3gpuE3ELNS1_3repE0EEENS1_30default_config_static_selectorELNS0_4arch9wavefront6targetE0EEEvT1_
; %bb.0:
	.section	.rodata,"a",@progbits
	.p2align	6, 0x0
	.amdhsa_kernel _ZN7rocprim17ROCPRIM_400000_NS6detail17trampoline_kernelINS0_14default_configENS1_25partition_config_selectorILNS1_17partition_subalgoE5EyNS0_10empty_typeEbEEZZNS1_14partition_implILS5_5ELb0ES3_mN6thrust23THRUST_200600_302600_NS6detail15normal_iteratorINSA_10device_ptrIyEEEEPS6_NSA_18transform_iteratorINSB_9not_fun_tINSA_8identityIyEEEESF_NSA_11use_defaultESM_EENS0_5tupleIJSF_S6_EEENSO_IJSG_SG_EEES6_PlJS6_EEE10hipError_tPvRmT3_T4_T5_T6_T7_T9_mT8_P12ihipStream_tbDpT10_ENKUlT_T0_E_clISt17integral_constantIbLb1EES1A_IbLb0EEEEDaS16_S17_EUlS16_E_NS1_11comp_targetILNS1_3genE9ELNS1_11target_archE1100ELNS1_3gpuE3ELNS1_3repE0EEENS1_30default_config_static_selectorELNS0_4arch9wavefront6targetE0EEEvT1_
		.amdhsa_group_segment_fixed_size 0
		.amdhsa_private_segment_fixed_size 0
		.amdhsa_kernarg_size 120
		.amdhsa_user_sgpr_count 2
		.amdhsa_user_sgpr_dispatch_ptr 0
		.amdhsa_user_sgpr_queue_ptr 0
		.amdhsa_user_sgpr_kernarg_segment_ptr 1
		.amdhsa_user_sgpr_dispatch_id 0
		.amdhsa_user_sgpr_private_segment_size 0
		.amdhsa_wavefront_size32 1
		.amdhsa_uses_dynamic_stack 0
		.amdhsa_enable_private_segment 0
		.amdhsa_system_sgpr_workgroup_id_x 1
		.amdhsa_system_sgpr_workgroup_id_y 0
		.amdhsa_system_sgpr_workgroup_id_z 0
		.amdhsa_system_sgpr_workgroup_info 0
		.amdhsa_system_vgpr_workitem_id 0
		.amdhsa_next_free_vgpr 1
		.amdhsa_next_free_sgpr 1
		.amdhsa_reserve_vcc 0
		.amdhsa_float_round_mode_32 0
		.amdhsa_float_round_mode_16_64 0
		.amdhsa_float_denorm_mode_32 3
		.amdhsa_float_denorm_mode_16_64 3
		.amdhsa_fp16_overflow 0
		.amdhsa_workgroup_processor_mode 1
		.amdhsa_memory_ordered 1
		.amdhsa_forward_progress 1
		.amdhsa_inst_pref_size 0
		.amdhsa_round_robin_scheduling 0
		.amdhsa_exception_fp_ieee_invalid_op 0
		.amdhsa_exception_fp_denorm_src 0
		.amdhsa_exception_fp_ieee_div_zero 0
		.amdhsa_exception_fp_ieee_overflow 0
		.amdhsa_exception_fp_ieee_underflow 0
		.amdhsa_exception_fp_ieee_inexact 0
		.amdhsa_exception_int_div_zero 0
	.end_amdhsa_kernel
	.section	.text._ZN7rocprim17ROCPRIM_400000_NS6detail17trampoline_kernelINS0_14default_configENS1_25partition_config_selectorILNS1_17partition_subalgoE5EyNS0_10empty_typeEbEEZZNS1_14partition_implILS5_5ELb0ES3_mN6thrust23THRUST_200600_302600_NS6detail15normal_iteratorINSA_10device_ptrIyEEEEPS6_NSA_18transform_iteratorINSB_9not_fun_tINSA_8identityIyEEEESF_NSA_11use_defaultESM_EENS0_5tupleIJSF_S6_EEENSO_IJSG_SG_EEES6_PlJS6_EEE10hipError_tPvRmT3_T4_T5_T6_T7_T9_mT8_P12ihipStream_tbDpT10_ENKUlT_T0_E_clISt17integral_constantIbLb1EES1A_IbLb0EEEEDaS16_S17_EUlS16_E_NS1_11comp_targetILNS1_3genE9ELNS1_11target_archE1100ELNS1_3gpuE3ELNS1_3repE0EEENS1_30default_config_static_selectorELNS0_4arch9wavefront6targetE0EEEvT1_,"axG",@progbits,_ZN7rocprim17ROCPRIM_400000_NS6detail17trampoline_kernelINS0_14default_configENS1_25partition_config_selectorILNS1_17partition_subalgoE5EyNS0_10empty_typeEbEEZZNS1_14partition_implILS5_5ELb0ES3_mN6thrust23THRUST_200600_302600_NS6detail15normal_iteratorINSA_10device_ptrIyEEEEPS6_NSA_18transform_iteratorINSB_9not_fun_tINSA_8identityIyEEEESF_NSA_11use_defaultESM_EENS0_5tupleIJSF_S6_EEENSO_IJSG_SG_EEES6_PlJS6_EEE10hipError_tPvRmT3_T4_T5_T6_T7_T9_mT8_P12ihipStream_tbDpT10_ENKUlT_T0_E_clISt17integral_constantIbLb1EES1A_IbLb0EEEEDaS16_S17_EUlS16_E_NS1_11comp_targetILNS1_3genE9ELNS1_11target_archE1100ELNS1_3gpuE3ELNS1_3repE0EEENS1_30default_config_static_selectorELNS0_4arch9wavefront6targetE0EEEvT1_,comdat
.Lfunc_end875:
	.size	_ZN7rocprim17ROCPRIM_400000_NS6detail17trampoline_kernelINS0_14default_configENS1_25partition_config_selectorILNS1_17partition_subalgoE5EyNS0_10empty_typeEbEEZZNS1_14partition_implILS5_5ELb0ES3_mN6thrust23THRUST_200600_302600_NS6detail15normal_iteratorINSA_10device_ptrIyEEEEPS6_NSA_18transform_iteratorINSB_9not_fun_tINSA_8identityIyEEEESF_NSA_11use_defaultESM_EENS0_5tupleIJSF_S6_EEENSO_IJSG_SG_EEES6_PlJS6_EEE10hipError_tPvRmT3_T4_T5_T6_T7_T9_mT8_P12ihipStream_tbDpT10_ENKUlT_T0_E_clISt17integral_constantIbLb1EES1A_IbLb0EEEEDaS16_S17_EUlS16_E_NS1_11comp_targetILNS1_3genE9ELNS1_11target_archE1100ELNS1_3gpuE3ELNS1_3repE0EEENS1_30default_config_static_selectorELNS0_4arch9wavefront6targetE0EEEvT1_, .Lfunc_end875-_ZN7rocprim17ROCPRIM_400000_NS6detail17trampoline_kernelINS0_14default_configENS1_25partition_config_selectorILNS1_17partition_subalgoE5EyNS0_10empty_typeEbEEZZNS1_14partition_implILS5_5ELb0ES3_mN6thrust23THRUST_200600_302600_NS6detail15normal_iteratorINSA_10device_ptrIyEEEEPS6_NSA_18transform_iteratorINSB_9not_fun_tINSA_8identityIyEEEESF_NSA_11use_defaultESM_EENS0_5tupleIJSF_S6_EEENSO_IJSG_SG_EEES6_PlJS6_EEE10hipError_tPvRmT3_T4_T5_T6_T7_T9_mT8_P12ihipStream_tbDpT10_ENKUlT_T0_E_clISt17integral_constantIbLb1EES1A_IbLb0EEEEDaS16_S17_EUlS16_E_NS1_11comp_targetILNS1_3genE9ELNS1_11target_archE1100ELNS1_3gpuE3ELNS1_3repE0EEENS1_30default_config_static_selectorELNS0_4arch9wavefront6targetE0EEEvT1_
                                        ; -- End function
	.set _ZN7rocprim17ROCPRIM_400000_NS6detail17trampoline_kernelINS0_14default_configENS1_25partition_config_selectorILNS1_17partition_subalgoE5EyNS0_10empty_typeEbEEZZNS1_14partition_implILS5_5ELb0ES3_mN6thrust23THRUST_200600_302600_NS6detail15normal_iteratorINSA_10device_ptrIyEEEEPS6_NSA_18transform_iteratorINSB_9not_fun_tINSA_8identityIyEEEESF_NSA_11use_defaultESM_EENS0_5tupleIJSF_S6_EEENSO_IJSG_SG_EEES6_PlJS6_EEE10hipError_tPvRmT3_T4_T5_T6_T7_T9_mT8_P12ihipStream_tbDpT10_ENKUlT_T0_E_clISt17integral_constantIbLb1EES1A_IbLb0EEEEDaS16_S17_EUlS16_E_NS1_11comp_targetILNS1_3genE9ELNS1_11target_archE1100ELNS1_3gpuE3ELNS1_3repE0EEENS1_30default_config_static_selectorELNS0_4arch9wavefront6targetE0EEEvT1_.num_vgpr, 0
	.set _ZN7rocprim17ROCPRIM_400000_NS6detail17trampoline_kernelINS0_14default_configENS1_25partition_config_selectorILNS1_17partition_subalgoE5EyNS0_10empty_typeEbEEZZNS1_14partition_implILS5_5ELb0ES3_mN6thrust23THRUST_200600_302600_NS6detail15normal_iteratorINSA_10device_ptrIyEEEEPS6_NSA_18transform_iteratorINSB_9not_fun_tINSA_8identityIyEEEESF_NSA_11use_defaultESM_EENS0_5tupleIJSF_S6_EEENSO_IJSG_SG_EEES6_PlJS6_EEE10hipError_tPvRmT3_T4_T5_T6_T7_T9_mT8_P12ihipStream_tbDpT10_ENKUlT_T0_E_clISt17integral_constantIbLb1EES1A_IbLb0EEEEDaS16_S17_EUlS16_E_NS1_11comp_targetILNS1_3genE9ELNS1_11target_archE1100ELNS1_3gpuE3ELNS1_3repE0EEENS1_30default_config_static_selectorELNS0_4arch9wavefront6targetE0EEEvT1_.num_agpr, 0
	.set _ZN7rocprim17ROCPRIM_400000_NS6detail17trampoline_kernelINS0_14default_configENS1_25partition_config_selectorILNS1_17partition_subalgoE5EyNS0_10empty_typeEbEEZZNS1_14partition_implILS5_5ELb0ES3_mN6thrust23THRUST_200600_302600_NS6detail15normal_iteratorINSA_10device_ptrIyEEEEPS6_NSA_18transform_iteratorINSB_9not_fun_tINSA_8identityIyEEEESF_NSA_11use_defaultESM_EENS0_5tupleIJSF_S6_EEENSO_IJSG_SG_EEES6_PlJS6_EEE10hipError_tPvRmT3_T4_T5_T6_T7_T9_mT8_P12ihipStream_tbDpT10_ENKUlT_T0_E_clISt17integral_constantIbLb1EES1A_IbLb0EEEEDaS16_S17_EUlS16_E_NS1_11comp_targetILNS1_3genE9ELNS1_11target_archE1100ELNS1_3gpuE3ELNS1_3repE0EEENS1_30default_config_static_selectorELNS0_4arch9wavefront6targetE0EEEvT1_.numbered_sgpr, 0
	.set _ZN7rocprim17ROCPRIM_400000_NS6detail17trampoline_kernelINS0_14default_configENS1_25partition_config_selectorILNS1_17partition_subalgoE5EyNS0_10empty_typeEbEEZZNS1_14partition_implILS5_5ELb0ES3_mN6thrust23THRUST_200600_302600_NS6detail15normal_iteratorINSA_10device_ptrIyEEEEPS6_NSA_18transform_iteratorINSB_9not_fun_tINSA_8identityIyEEEESF_NSA_11use_defaultESM_EENS0_5tupleIJSF_S6_EEENSO_IJSG_SG_EEES6_PlJS6_EEE10hipError_tPvRmT3_T4_T5_T6_T7_T9_mT8_P12ihipStream_tbDpT10_ENKUlT_T0_E_clISt17integral_constantIbLb1EES1A_IbLb0EEEEDaS16_S17_EUlS16_E_NS1_11comp_targetILNS1_3genE9ELNS1_11target_archE1100ELNS1_3gpuE3ELNS1_3repE0EEENS1_30default_config_static_selectorELNS0_4arch9wavefront6targetE0EEEvT1_.num_named_barrier, 0
	.set _ZN7rocprim17ROCPRIM_400000_NS6detail17trampoline_kernelINS0_14default_configENS1_25partition_config_selectorILNS1_17partition_subalgoE5EyNS0_10empty_typeEbEEZZNS1_14partition_implILS5_5ELb0ES3_mN6thrust23THRUST_200600_302600_NS6detail15normal_iteratorINSA_10device_ptrIyEEEEPS6_NSA_18transform_iteratorINSB_9not_fun_tINSA_8identityIyEEEESF_NSA_11use_defaultESM_EENS0_5tupleIJSF_S6_EEENSO_IJSG_SG_EEES6_PlJS6_EEE10hipError_tPvRmT3_T4_T5_T6_T7_T9_mT8_P12ihipStream_tbDpT10_ENKUlT_T0_E_clISt17integral_constantIbLb1EES1A_IbLb0EEEEDaS16_S17_EUlS16_E_NS1_11comp_targetILNS1_3genE9ELNS1_11target_archE1100ELNS1_3gpuE3ELNS1_3repE0EEENS1_30default_config_static_selectorELNS0_4arch9wavefront6targetE0EEEvT1_.private_seg_size, 0
	.set _ZN7rocprim17ROCPRIM_400000_NS6detail17trampoline_kernelINS0_14default_configENS1_25partition_config_selectorILNS1_17partition_subalgoE5EyNS0_10empty_typeEbEEZZNS1_14partition_implILS5_5ELb0ES3_mN6thrust23THRUST_200600_302600_NS6detail15normal_iteratorINSA_10device_ptrIyEEEEPS6_NSA_18transform_iteratorINSB_9not_fun_tINSA_8identityIyEEEESF_NSA_11use_defaultESM_EENS0_5tupleIJSF_S6_EEENSO_IJSG_SG_EEES6_PlJS6_EEE10hipError_tPvRmT3_T4_T5_T6_T7_T9_mT8_P12ihipStream_tbDpT10_ENKUlT_T0_E_clISt17integral_constantIbLb1EES1A_IbLb0EEEEDaS16_S17_EUlS16_E_NS1_11comp_targetILNS1_3genE9ELNS1_11target_archE1100ELNS1_3gpuE3ELNS1_3repE0EEENS1_30default_config_static_selectorELNS0_4arch9wavefront6targetE0EEEvT1_.uses_vcc, 0
	.set _ZN7rocprim17ROCPRIM_400000_NS6detail17trampoline_kernelINS0_14default_configENS1_25partition_config_selectorILNS1_17partition_subalgoE5EyNS0_10empty_typeEbEEZZNS1_14partition_implILS5_5ELb0ES3_mN6thrust23THRUST_200600_302600_NS6detail15normal_iteratorINSA_10device_ptrIyEEEEPS6_NSA_18transform_iteratorINSB_9not_fun_tINSA_8identityIyEEEESF_NSA_11use_defaultESM_EENS0_5tupleIJSF_S6_EEENSO_IJSG_SG_EEES6_PlJS6_EEE10hipError_tPvRmT3_T4_T5_T6_T7_T9_mT8_P12ihipStream_tbDpT10_ENKUlT_T0_E_clISt17integral_constantIbLb1EES1A_IbLb0EEEEDaS16_S17_EUlS16_E_NS1_11comp_targetILNS1_3genE9ELNS1_11target_archE1100ELNS1_3gpuE3ELNS1_3repE0EEENS1_30default_config_static_selectorELNS0_4arch9wavefront6targetE0EEEvT1_.uses_flat_scratch, 0
	.set _ZN7rocprim17ROCPRIM_400000_NS6detail17trampoline_kernelINS0_14default_configENS1_25partition_config_selectorILNS1_17partition_subalgoE5EyNS0_10empty_typeEbEEZZNS1_14partition_implILS5_5ELb0ES3_mN6thrust23THRUST_200600_302600_NS6detail15normal_iteratorINSA_10device_ptrIyEEEEPS6_NSA_18transform_iteratorINSB_9not_fun_tINSA_8identityIyEEEESF_NSA_11use_defaultESM_EENS0_5tupleIJSF_S6_EEENSO_IJSG_SG_EEES6_PlJS6_EEE10hipError_tPvRmT3_T4_T5_T6_T7_T9_mT8_P12ihipStream_tbDpT10_ENKUlT_T0_E_clISt17integral_constantIbLb1EES1A_IbLb0EEEEDaS16_S17_EUlS16_E_NS1_11comp_targetILNS1_3genE9ELNS1_11target_archE1100ELNS1_3gpuE3ELNS1_3repE0EEENS1_30default_config_static_selectorELNS0_4arch9wavefront6targetE0EEEvT1_.has_dyn_sized_stack, 0
	.set _ZN7rocprim17ROCPRIM_400000_NS6detail17trampoline_kernelINS0_14default_configENS1_25partition_config_selectorILNS1_17partition_subalgoE5EyNS0_10empty_typeEbEEZZNS1_14partition_implILS5_5ELb0ES3_mN6thrust23THRUST_200600_302600_NS6detail15normal_iteratorINSA_10device_ptrIyEEEEPS6_NSA_18transform_iteratorINSB_9not_fun_tINSA_8identityIyEEEESF_NSA_11use_defaultESM_EENS0_5tupleIJSF_S6_EEENSO_IJSG_SG_EEES6_PlJS6_EEE10hipError_tPvRmT3_T4_T5_T6_T7_T9_mT8_P12ihipStream_tbDpT10_ENKUlT_T0_E_clISt17integral_constantIbLb1EES1A_IbLb0EEEEDaS16_S17_EUlS16_E_NS1_11comp_targetILNS1_3genE9ELNS1_11target_archE1100ELNS1_3gpuE3ELNS1_3repE0EEENS1_30default_config_static_selectorELNS0_4arch9wavefront6targetE0EEEvT1_.has_recursion, 0
	.set _ZN7rocprim17ROCPRIM_400000_NS6detail17trampoline_kernelINS0_14default_configENS1_25partition_config_selectorILNS1_17partition_subalgoE5EyNS0_10empty_typeEbEEZZNS1_14partition_implILS5_5ELb0ES3_mN6thrust23THRUST_200600_302600_NS6detail15normal_iteratorINSA_10device_ptrIyEEEEPS6_NSA_18transform_iteratorINSB_9not_fun_tINSA_8identityIyEEEESF_NSA_11use_defaultESM_EENS0_5tupleIJSF_S6_EEENSO_IJSG_SG_EEES6_PlJS6_EEE10hipError_tPvRmT3_T4_T5_T6_T7_T9_mT8_P12ihipStream_tbDpT10_ENKUlT_T0_E_clISt17integral_constantIbLb1EES1A_IbLb0EEEEDaS16_S17_EUlS16_E_NS1_11comp_targetILNS1_3genE9ELNS1_11target_archE1100ELNS1_3gpuE3ELNS1_3repE0EEENS1_30default_config_static_selectorELNS0_4arch9wavefront6targetE0EEEvT1_.has_indirect_call, 0
	.section	.AMDGPU.csdata,"",@progbits
; Kernel info:
; codeLenInByte = 0
; TotalNumSgprs: 0
; NumVgprs: 0
; ScratchSize: 0
; MemoryBound: 0
; FloatMode: 240
; IeeeMode: 1
; LDSByteSize: 0 bytes/workgroup (compile time only)
; SGPRBlocks: 0
; VGPRBlocks: 0
; NumSGPRsForWavesPerEU: 1
; NumVGPRsForWavesPerEU: 1
; Occupancy: 16
; WaveLimiterHint : 0
; COMPUTE_PGM_RSRC2:SCRATCH_EN: 0
; COMPUTE_PGM_RSRC2:USER_SGPR: 2
; COMPUTE_PGM_RSRC2:TRAP_HANDLER: 0
; COMPUTE_PGM_RSRC2:TGID_X_EN: 1
; COMPUTE_PGM_RSRC2:TGID_Y_EN: 0
; COMPUTE_PGM_RSRC2:TGID_Z_EN: 0
; COMPUTE_PGM_RSRC2:TIDIG_COMP_CNT: 0
	.section	.text._ZN7rocprim17ROCPRIM_400000_NS6detail17trampoline_kernelINS0_14default_configENS1_25partition_config_selectorILNS1_17partition_subalgoE5EyNS0_10empty_typeEbEEZZNS1_14partition_implILS5_5ELb0ES3_mN6thrust23THRUST_200600_302600_NS6detail15normal_iteratorINSA_10device_ptrIyEEEEPS6_NSA_18transform_iteratorINSB_9not_fun_tINSA_8identityIyEEEESF_NSA_11use_defaultESM_EENS0_5tupleIJSF_S6_EEENSO_IJSG_SG_EEES6_PlJS6_EEE10hipError_tPvRmT3_T4_T5_T6_T7_T9_mT8_P12ihipStream_tbDpT10_ENKUlT_T0_E_clISt17integral_constantIbLb1EES1A_IbLb0EEEEDaS16_S17_EUlS16_E_NS1_11comp_targetILNS1_3genE8ELNS1_11target_archE1030ELNS1_3gpuE2ELNS1_3repE0EEENS1_30default_config_static_selectorELNS0_4arch9wavefront6targetE0EEEvT1_,"axG",@progbits,_ZN7rocprim17ROCPRIM_400000_NS6detail17trampoline_kernelINS0_14default_configENS1_25partition_config_selectorILNS1_17partition_subalgoE5EyNS0_10empty_typeEbEEZZNS1_14partition_implILS5_5ELb0ES3_mN6thrust23THRUST_200600_302600_NS6detail15normal_iteratorINSA_10device_ptrIyEEEEPS6_NSA_18transform_iteratorINSB_9not_fun_tINSA_8identityIyEEEESF_NSA_11use_defaultESM_EENS0_5tupleIJSF_S6_EEENSO_IJSG_SG_EEES6_PlJS6_EEE10hipError_tPvRmT3_T4_T5_T6_T7_T9_mT8_P12ihipStream_tbDpT10_ENKUlT_T0_E_clISt17integral_constantIbLb1EES1A_IbLb0EEEEDaS16_S17_EUlS16_E_NS1_11comp_targetILNS1_3genE8ELNS1_11target_archE1030ELNS1_3gpuE2ELNS1_3repE0EEENS1_30default_config_static_selectorELNS0_4arch9wavefront6targetE0EEEvT1_,comdat
	.protected	_ZN7rocprim17ROCPRIM_400000_NS6detail17trampoline_kernelINS0_14default_configENS1_25partition_config_selectorILNS1_17partition_subalgoE5EyNS0_10empty_typeEbEEZZNS1_14partition_implILS5_5ELb0ES3_mN6thrust23THRUST_200600_302600_NS6detail15normal_iteratorINSA_10device_ptrIyEEEEPS6_NSA_18transform_iteratorINSB_9not_fun_tINSA_8identityIyEEEESF_NSA_11use_defaultESM_EENS0_5tupleIJSF_S6_EEENSO_IJSG_SG_EEES6_PlJS6_EEE10hipError_tPvRmT3_T4_T5_T6_T7_T9_mT8_P12ihipStream_tbDpT10_ENKUlT_T0_E_clISt17integral_constantIbLb1EES1A_IbLb0EEEEDaS16_S17_EUlS16_E_NS1_11comp_targetILNS1_3genE8ELNS1_11target_archE1030ELNS1_3gpuE2ELNS1_3repE0EEENS1_30default_config_static_selectorELNS0_4arch9wavefront6targetE0EEEvT1_ ; -- Begin function _ZN7rocprim17ROCPRIM_400000_NS6detail17trampoline_kernelINS0_14default_configENS1_25partition_config_selectorILNS1_17partition_subalgoE5EyNS0_10empty_typeEbEEZZNS1_14partition_implILS5_5ELb0ES3_mN6thrust23THRUST_200600_302600_NS6detail15normal_iteratorINSA_10device_ptrIyEEEEPS6_NSA_18transform_iteratorINSB_9not_fun_tINSA_8identityIyEEEESF_NSA_11use_defaultESM_EENS0_5tupleIJSF_S6_EEENSO_IJSG_SG_EEES6_PlJS6_EEE10hipError_tPvRmT3_T4_T5_T6_T7_T9_mT8_P12ihipStream_tbDpT10_ENKUlT_T0_E_clISt17integral_constantIbLb1EES1A_IbLb0EEEEDaS16_S17_EUlS16_E_NS1_11comp_targetILNS1_3genE8ELNS1_11target_archE1030ELNS1_3gpuE2ELNS1_3repE0EEENS1_30default_config_static_selectorELNS0_4arch9wavefront6targetE0EEEvT1_
	.globl	_ZN7rocprim17ROCPRIM_400000_NS6detail17trampoline_kernelINS0_14default_configENS1_25partition_config_selectorILNS1_17partition_subalgoE5EyNS0_10empty_typeEbEEZZNS1_14partition_implILS5_5ELb0ES3_mN6thrust23THRUST_200600_302600_NS6detail15normal_iteratorINSA_10device_ptrIyEEEEPS6_NSA_18transform_iteratorINSB_9not_fun_tINSA_8identityIyEEEESF_NSA_11use_defaultESM_EENS0_5tupleIJSF_S6_EEENSO_IJSG_SG_EEES6_PlJS6_EEE10hipError_tPvRmT3_T4_T5_T6_T7_T9_mT8_P12ihipStream_tbDpT10_ENKUlT_T0_E_clISt17integral_constantIbLb1EES1A_IbLb0EEEEDaS16_S17_EUlS16_E_NS1_11comp_targetILNS1_3genE8ELNS1_11target_archE1030ELNS1_3gpuE2ELNS1_3repE0EEENS1_30default_config_static_selectorELNS0_4arch9wavefront6targetE0EEEvT1_
	.p2align	8
	.type	_ZN7rocprim17ROCPRIM_400000_NS6detail17trampoline_kernelINS0_14default_configENS1_25partition_config_selectorILNS1_17partition_subalgoE5EyNS0_10empty_typeEbEEZZNS1_14partition_implILS5_5ELb0ES3_mN6thrust23THRUST_200600_302600_NS6detail15normal_iteratorINSA_10device_ptrIyEEEEPS6_NSA_18transform_iteratorINSB_9not_fun_tINSA_8identityIyEEEESF_NSA_11use_defaultESM_EENS0_5tupleIJSF_S6_EEENSO_IJSG_SG_EEES6_PlJS6_EEE10hipError_tPvRmT3_T4_T5_T6_T7_T9_mT8_P12ihipStream_tbDpT10_ENKUlT_T0_E_clISt17integral_constantIbLb1EES1A_IbLb0EEEEDaS16_S17_EUlS16_E_NS1_11comp_targetILNS1_3genE8ELNS1_11target_archE1030ELNS1_3gpuE2ELNS1_3repE0EEENS1_30default_config_static_selectorELNS0_4arch9wavefront6targetE0EEEvT1_,@function
_ZN7rocprim17ROCPRIM_400000_NS6detail17trampoline_kernelINS0_14default_configENS1_25partition_config_selectorILNS1_17partition_subalgoE5EyNS0_10empty_typeEbEEZZNS1_14partition_implILS5_5ELb0ES3_mN6thrust23THRUST_200600_302600_NS6detail15normal_iteratorINSA_10device_ptrIyEEEEPS6_NSA_18transform_iteratorINSB_9not_fun_tINSA_8identityIyEEEESF_NSA_11use_defaultESM_EENS0_5tupleIJSF_S6_EEENSO_IJSG_SG_EEES6_PlJS6_EEE10hipError_tPvRmT3_T4_T5_T6_T7_T9_mT8_P12ihipStream_tbDpT10_ENKUlT_T0_E_clISt17integral_constantIbLb1EES1A_IbLb0EEEEDaS16_S17_EUlS16_E_NS1_11comp_targetILNS1_3genE8ELNS1_11target_archE1030ELNS1_3gpuE2ELNS1_3repE0EEENS1_30default_config_static_selectorELNS0_4arch9wavefront6targetE0EEEvT1_: ; @_ZN7rocprim17ROCPRIM_400000_NS6detail17trampoline_kernelINS0_14default_configENS1_25partition_config_selectorILNS1_17partition_subalgoE5EyNS0_10empty_typeEbEEZZNS1_14partition_implILS5_5ELb0ES3_mN6thrust23THRUST_200600_302600_NS6detail15normal_iteratorINSA_10device_ptrIyEEEEPS6_NSA_18transform_iteratorINSB_9not_fun_tINSA_8identityIyEEEESF_NSA_11use_defaultESM_EENS0_5tupleIJSF_S6_EEENSO_IJSG_SG_EEES6_PlJS6_EEE10hipError_tPvRmT3_T4_T5_T6_T7_T9_mT8_P12ihipStream_tbDpT10_ENKUlT_T0_E_clISt17integral_constantIbLb1EES1A_IbLb0EEEEDaS16_S17_EUlS16_E_NS1_11comp_targetILNS1_3genE8ELNS1_11target_archE1030ELNS1_3gpuE2ELNS1_3repE0EEENS1_30default_config_static_selectorELNS0_4arch9wavefront6targetE0EEEvT1_
; %bb.0:
	.section	.rodata,"a",@progbits
	.p2align	6, 0x0
	.amdhsa_kernel _ZN7rocprim17ROCPRIM_400000_NS6detail17trampoline_kernelINS0_14default_configENS1_25partition_config_selectorILNS1_17partition_subalgoE5EyNS0_10empty_typeEbEEZZNS1_14partition_implILS5_5ELb0ES3_mN6thrust23THRUST_200600_302600_NS6detail15normal_iteratorINSA_10device_ptrIyEEEEPS6_NSA_18transform_iteratorINSB_9not_fun_tINSA_8identityIyEEEESF_NSA_11use_defaultESM_EENS0_5tupleIJSF_S6_EEENSO_IJSG_SG_EEES6_PlJS6_EEE10hipError_tPvRmT3_T4_T5_T6_T7_T9_mT8_P12ihipStream_tbDpT10_ENKUlT_T0_E_clISt17integral_constantIbLb1EES1A_IbLb0EEEEDaS16_S17_EUlS16_E_NS1_11comp_targetILNS1_3genE8ELNS1_11target_archE1030ELNS1_3gpuE2ELNS1_3repE0EEENS1_30default_config_static_selectorELNS0_4arch9wavefront6targetE0EEEvT1_
		.amdhsa_group_segment_fixed_size 0
		.amdhsa_private_segment_fixed_size 0
		.amdhsa_kernarg_size 120
		.amdhsa_user_sgpr_count 2
		.amdhsa_user_sgpr_dispatch_ptr 0
		.amdhsa_user_sgpr_queue_ptr 0
		.amdhsa_user_sgpr_kernarg_segment_ptr 1
		.amdhsa_user_sgpr_dispatch_id 0
		.amdhsa_user_sgpr_private_segment_size 0
		.amdhsa_wavefront_size32 1
		.amdhsa_uses_dynamic_stack 0
		.amdhsa_enable_private_segment 0
		.amdhsa_system_sgpr_workgroup_id_x 1
		.amdhsa_system_sgpr_workgroup_id_y 0
		.amdhsa_system_sgpr_workgroup_id_z 0
		.amdhsa_system_sgpr_workgroup_info 0
		.amdhsa_system_vgpr_workitem_id 0
		.amdhsa_next_free_vgpr 1
		.amdhsa_next_free_sgpr 1
		.amdhsa_reserve_vcc 0
		.amdhsa_float_round_mode_32 0
		.amdhsa_float_round_mode_16_64 0
		.amdhsa_float_denorm_mode_32 3
		.amdhsa_float_denorm_mode_16_64 3
		.amdhsa_fp16_overflow 0
		.amdhsa_workgroup_processor_mode 1
		.amdhsa_memory_ordered 1
		.amdhsa_forward_progress 1
		.amdhsa_inst_pref_size 0
		.amdhsa_round_robin_scheduling 0
		.amdhsa_exception_fp_ieee_invalid_op 0
		.amdhsa_exception_fp_denorm_src 0
		.amdhsa_exception_fp_ieee_div_zero 0
		.amdhsa_exception_fp_ieee_overflow 0
		.amdhsa_exception_fp_ieee_underflow 0
		.amdhsa_exception_fp_ieee_inexact 0
		.amdhsa_exception_int_div_zero 0
	.end_amdhsa_kernel
	.section	.text._ZN7rocprim17ROCPRIM_400000_NS6detail17trampoline_kernelINS0_14default_configENS1_25partition_config_selectorILNS1_17partition_subalgoE5EyNS0_10empty_typeEbEEZZNS1_14partition_implILS5_5ELb0ES3_mN6thrust23THRUST_200600_302600_NS6detail15normal_iteratorINSA_10device_ptrIyEEEEPS6_NSA_18transform_iteratorINSB_9not_fun_tINSA_8identityIyEEEESF_NSA_11use_defaultESM_EENS0_5tupleIJSF_S6_EEENSO_IJSG_SG_EEES6_PlJS6_EEE10hipError_tPvRmT3_T4_T5_T6_T7_T9_mT8_P12ihipStream_tbDpT10_ENKUlT_T0_E_clISt17integral_constantIbLb1EES1A_IbLb0EEEEDaS16_S17_EUlS16_E_NS1_11comp_targetILNS1_3genE8ELNS1_11target_archE1030ELNS1_3gpuE2ELNS1_3repE0EEENS1_30default_config_static_selectorELNS0_4arch9wavefront6targetE0EEEvT1_,"axG",@progbits,_ZN7rocprim17ROCPRIM_400000_NS6detail17trampoline_kernelINS0_14default_configENS1_25partition_config_selectorILNS1_17partition_subalgoE5EyNS0_10empty_typeEbEEZZNS1_14partition_implILS5_5ELb0ES3_mN6thrust23THRUST_200600_302600_NS6detail15normal_iteratorINSA_10device_ptrIyEEEEPS6_NSA_18transform_iteratorINSB_9not_fun_tINSA_8identityIyEEEESF_NSA_11use_defaultESM_EENS0_5tupleIJSF_S6_EEENSO_IJSG_SG_EEES6_PlJS6_EEE10hipError_tPvRmT3_T4_T5_T6_T7_T9_mT8_P12ihipStream_tbDpT10_ENKUlT_T0_E_clISt17integral_constantIbLb1EES1A_IbLb0EEEEDaS16_S17_EUlS16_E_NS1_11comp_targetILNS1_3genE8ELNS1_11target_archE1030ELNS1_3gpuE2ELNS1_3repE0EEENS1_30default_config_static_selectorELNS0_4arch9wavefront6targetE0EEEvT1_,comdat
.Lfunc_end876:
	.size	_ZN7rocprim17ROCPRIM_400000_NS6detail17trampoline_kernelINS0_14default_configENS1_25partition_config_selectorILNS1_17partition_subalgoE5EyNS0_10empty_typeEbEEZZNS1_14partition_implILS5_5ELb0ES3_mN6thrust23THRUST_200600_302600_NS6detail15normal_iteratorINSA_10device_ptrIyEEEEPS6_NSA_18transform_iteratorINSB_9not_fun_tINSA_8identityIyEEEESF_NSA_11use_defaultESM_EENS0_5tupleIJSF_S6_EEENSO_IJSG_SG_EEES6_PlJS6_EEE10hipError_tPvRmT3_T4_T5_T6_T7_T9_mT8_P12ihipStream_tbDpT10_ENKUlT_T0_E_clISt17integral_constantIbLb1EES1A_IbLb0EEEEDaS16_S17_EUlS16_E_NS1_11comp_targetILNS1_3genE8ELNS1_11target_archE1030ELNS1_3gpuE2ELNS1_3repE0EEENS1_30default_config_static_selectorELNS0_4arch9wavefront6targetE0EEEvT1_, .Lfunc_end876-_ZN7rocprim17ROCPRIM_400000_NS6detail17trampoline_kernelINS0_14default_configENS1_25partition_config_selectorILNS1_17partition_subalgoE5EyNS0_10empty_typeEbEEZZNS1_14partition_implILS5_5ELb0ES3_mN6thrust23THRUST_200600_302600_NS6detail15normal_iteratorINSA_10device_ptrIyEEEEPS6_NSA_18transform_iteratorINSB_9not_fun_tINSA_8identityIyEEEESF_NSA_11use_defaultESM_EENS0_5tupleIJSF_S6_EEENSO_IJSG_SG_EEES6_PlJS6_EEE10hipError_tPvRmT3_T4_T5_T6_T7_T9_mT8_P12ihipStream_tbDpT10_ENKUlT_T0_E_clISt17integral_constantIbLb1EES1A_IbLb0EEEEDaS16_S17_EUlS16_E_NS1_11comp_targetILNS1_3genE8ELNS1_11target_archE1030ELNS1_3gpuE2ELNS1_3repE0EEENS1_30default_config_static_selectorELNS0_4arch9wavefront6targetE0EEEvT1_
                                        ; -- End function
	.set _ZN7rocprim17ROCPRIM_400000_NS6detail17trampoline_kernelINS0_14default_configENS1_25partition_config_selectorILNS1_17partition_subalgoE5EyNS0_10empty_typeEbEEZZNS1_14partition_implILS5_5ELb0ES3_mN6thrust23THRUST_200600_302600_NS6detail15normal_iteratorINSA_10device_ptrIyEEEEPS6_NSA_18transform_iteratorINSB_9not_fun_tINSA_8identityIyEEEESF_NSA_11use_defaultESM_EENS0_5tupleIJSF_S6_EEENSO_IJSG_SG_EEES6_PlJS6_EEE10hipError_tPvRmT3_T4_T5_T6_T7_T9_mT8_P12ihipStream_tbDpT10_ENKUlT_T0_E_clISt17integral_constantIbLb1EES1A_IbLb0EEEEDaS16_S17_EUlS16_E_NS1_11comp_targetILNS1_3genE8ELNS1_11target_archE1030ELNS1_3gpuE2ELNS1_3repE0EEENS1_30default_config_static_selectorELNS0_4arch9wavefront6targetE0EEEvT1_.num_vgpr, 0
	.set _ZN7rocprim17ROCPRIM_400000_NS6detail17trampoline_kernelINS0_14default_configENS1_25partition_config_selectorILNS1_17partition_subalgoE5EyNS0_10empty_typeEbEEZZNS1_14partition_implILS5_5ELb0ES3_mN6thrust23THRUST_200600_302600_NS6detail15normal_iteratorINSA_10device_ptrIyEEEEPS6_NSA_18transform_iteratorINSB_9not_fun_tINSA_8identityIyEEEESF_NSA_11use_defaultESM_EENS0_5tupleIJSF_S6_EEENSO_IJSG_SG_EEES6_PlJS6_EEE10hipError_tPvRmT3_T4_T5_T6_T7_T9_mT8_P12ihipStream_tbDpT10_ENKUlT_T0_E_clISt17integral_constantIbLb1EES1A_IbLb0EEEEDaS16_S17_EUlS16_E_NS1_11comp_targetILNS1_3genE8ELNS1_11target_archE1030ELNS1_3gpuE2ELNS1_3repE0EEENS1_30default_config_static_selectorELNS0_4arch9wavefront6targetE0EEEvT1_.num_agpr, 0
	.set _ZN7rocprim17ROCPRIM_400000_NS6detail17trampoline_kernelINS0_14default_configENS1_25partition_config_selectorILNS1_17partition_subalgoE5EyNS0_10empty_typeEbEEZZNS1_14partition_implILS5_5ELb0ES3_mN6thrust23THRUST_200600_302600_NS6detail15normal_iteratorINSA_10device_ptrIyEEEEPS6_NSA_18transform_iteratorINSB_9not_fun_tINSA_8identityIyEEEESF_NSA_11use_defaultESM_EENS0_5tupleIJSF_S6_EEENSO_IJSG_SG_EEES6_PlJS6_EEE10hipError_tPvRmT3_T4_T5_T6_T7_T9_mT8_P12ihipStream_tbDpT10_ENKUlT_T0_E_clISt17integral_constantIbLb1EES1A_IbLb0EEEEDaS16_S17_EUlS16_E_NS1_11comp_targetILNS1_3genE8ELNS1_11target_archE1030ELNS1_3gpuE2ELNS1_3repE0EEENS1_30default_config_static_selectorELNS0_4arch9wavefront6targetE0EEEvT1_.numbered_sgpr, 0
	.set _ZN7rocprim17ROCPRIM_400000_NS6detail17trampoline_kernelINS0_14default_configENS1_25partition_config_selectorILNS1_17partition_subalgoE5EyNS0_10empty_typeEbEEZZNS1_14partition_implILS5_5ELb0ES3_mN6thrust23THRUST_200600_302600_NS6detail15normal_iteratorINSA_10device_ptrIyEEEEPS6_NSA_18transform_iteratorINSB_9not_fun_tINSA_8identityIyEEEESF_NSA_11use_defaultESM_EENS0_5tupleIJSF_S6_EEENSO_IJSG_SG_EEES6_PlJS6_EEE10hipError_tPvRmT3_T4_T5_T6_T7_T9_mT8_P12ihipStream_tbDpT10_ENKUlT_T0_E_clISt17integral_constantIbLb1EES1A_IbLb0EEEEDaS16_S17_EUlS16_E_NS1_11comp_targetILNS1_3genE8ELNS1_11target_archE1030ELNS1_3gpuE2ELNS1_3repE0EEENS1_30default_config_static_selectorELNS0_4arch9wavefront6targetE0EEEvT1_.num_named_barrier, 0
	.set _ZN7rocprim17ROCPRIM_400000_NS6detail17trampoline_kernelINS0_14default_configENS1_25partition_config_selectorILNS1_17partition_subalgoE5EyNS0_10empty_typeEbEEZZNS1_14partition_implILS5_5ELb0ES3_mN6thrust23THRUST_200600_302600_NS6detail15normal_iteratorINSA_10device_ptrIyEEEEPS6_NSA_18transform_iteratorINSB_9not_fun_tINSA_8identityIyEEEESF_NSA_11use_defaultESM_EENS0_5tupleIJSF_S6_EEENSO_IJSG_SG_EEES6_PlJS6_EEE10hipError_tPvRmT3_T4_T5_T6_T7_T9_mT8_P12ihipStream_tbDpT10_ENKUlT_T0_E_clISt17integral_constantIbLb1EES1A_IbLb0EEEEDaS16_S17_EUlS16_E_NS1_11comp_targetILNS1_3genE8ELNS1_11target_archE1030ELNS1_3gpuE2ELNS1_3repE0EEENS1_30default_config_static_selectorELNS0_4arch9wavefront6targetE0EEEvT1_.private_seg_size, 0
	.set _ZN7rocprim17ROCPRIM_400000_NS6detail17trampoline_kernelINS0_14default_configENS1_25partition_config_selectorILNS1_17partition_subalgoE5EyNS0_10empty_typeEbEEZZNS1_14partition_implILS5_5ELb0ES3_mN6thrust23THRUST_200600_302600_NS6detail15normal_iteratorINSA_10device_ptrIyEEEEPS6_NSA_18transform_iteratorINSB_9not_fun_tINSA_8identityIyEEEESF_NSA_11use_defaultESM_EENS0_5tupleIJSF_S6_EEENSO_IJSG_SG_EEES6_PlJS6_EEE10hipError_tPvRmT3_T4_T5_T6_T7_T9_mT8_P12ihipStream_tbDpT10_ENKUlT_T0_E_clISt17integral_constantIbLb1EES1A_IbLb0EEEEDaS16_S17_EUlS16_E_NS1_11comp_targetILNS1_3genE8ELNS1_11target_archE1030ELNS1_3gpuE2ELNS1_3repE0EEENS1_30default_config_static_selectorELNS0_4arch9wavefront6targetE0EEEvT1_.uses_vcc, 0
	.set _ZN7rocprim17ROCPRIM_400000_NS6detail17trampoline_kernelINS0_14default_configENS1_25partition_config_selectorILNS1_17partition_subalgoE5EyNS0_10empty_typeEbEEZZNS1_14partition_implILS5_5ELb0ES3_mN6thrust23THRUST_200600_302600_NS6detail15normal_iteratorINSA_10device_ptrIyEEEEPS6_NSA_18transform_iteratorINSB_9not_fun_tINSA_8identityIyEEEESF_NSA_11use_defaultESM_EENS0_5tupleIJSF_S6_EEENSO_IJSG_SG_EEES6_PlJS6_EEE10hipError_tPvRmT3_T4_T5_T6_T7_T9_mT8_P12ihipStream_tbDpT10_ENKUlT_T0_E_clISt17integral_constantIbLb1EES1A_IbLb0EEEEDaS16_S17_EUlS16_E_NS1_11comp_targetILNS1_3genE8ELNS1_11target_archE1030ELNS1_3gpuE2ELNS1_3repE0EEENS1_30default_config_static_selectorELNS0_4arch9wavefront6targetE0EEEvT1_.uses_flat_scratch, 0
	.set _ZN7rocprim17ROCPRIM_400000_NS6detail17trampoline_kernelINS0_14default_configENS1_25partition_config_selectorILNS1_17partition_subalgoE5EyNS0_10empty_typeEbEEZZNS1_14partition_implILS5_5ELb0ES3_mN6thrust23THRUST_200600_302600_NS6detail15normal_iteratorINSA_10device_ptrIyEEEEPS6_NSA_18transform_iteratorINSB_9not_fun_tINSA_8identityIyEEEESF_NSA_11use_defaultESM_EENS0_5tupleIJSF_S6_EEENSO_IJSG_SG_EEES6_PlJS6_EEE10hipError_tPvRmT3_T4_T5_T6_T7_T9_mT8_P12ihipStream_tbDpT10_ENKUlT_T0_E_clISt17integral_constantIbLb1EES1A_IbLb0EEEEDaS16_S17_EUlS16_E_NS1_11comp_targetILNS1_3genE8ELNS1_11target_archE1030ELNS1_3gpuE2ELNS1_3repE0EEENS1_30default_config_static_selectorELNS0_4arch9wavefront6targetE0EEEvT1_.has_dyn_sized_stack, 0
	.set _ZN7rocprim17ROCPRIM_400000_NS6detail17trampoline_kernelINS0_14default_configENS1_25partition_config_selectorILNS1_17partition_subalgoE5EyNS0_10empty_typeEbEEZZNS1_14partition_implILS5_5ELb0ES3_mN6thrust23THRUST_200600_302600_NS6detail15normal_iteratorINSA_10device_ptrIyEEEEPS6_NSA_18transform_iteratorINSB_9not_fun_tINSA_8identityIyEEEESF_NSA_11use_defaultESM_EENS0_5tupleIJSF_S6_EEENSO_IJSG_SG_EEES6_PlJS6_EEE10hipError_tPvRmT3_T4_T5_T6_T7_T9_mT8_P12ihipStream_tbDpT10_ENKUlT_T0_E_clISt17integral_constantIbLb1EES1A_IbLb0EEEEDaS16_S17_EUlS16_E_NS1_11comp_targetILNS1_3genE8ELNS1_11target_archE1030ELNS1_3gpuE2ELNS1_3repE0EEENS1_30default_config_static_selectorELNS0_4arch9wavefront6targetE0EEEvT1_.has_recursion, 0
	.set _ZN7rocprim17ROCPRIM_400000_NS6detail17trampoline_kernelINS0_14default_configENS1_25partition_config_selectorILNS1_17partition_subalgoE5EyNS0_10empty_typeEbEEZZNS1_14partition_implILS5_5ELb0ES3_mN6thrust23THRUST_200600_302600_NS6detail15normal_iteratorINSA_10device_ptrIyEEEEPS6_NSA_18transform_iteratorINSB_9not_fun_tINSA_8identityIyEEEESF_NSA_11use_defaultESM_EENS0_5tupleIJSF_S6_EEENSO_IJSG_SG_EEES6_PlJS6_EEE10hipError_tPvRmT3_T4_T5_T6_T7_T9_mT8_P12ihipStream_tbDpT10_ENKUlT_T0_E_clISt17integral_constantIbLb1EES1A_IbLb0EEEEDaS16_S17_EUlS16_E_NS1_11comp_targetILNS1_3genE8ELNS1_11target_archE1030ELNS1_3gpuE2ELNS1_3repE0EEENS1_30default_config_static_selectorELNS0_4arch9wavefront6targetE0EEEvT1_.has_indirect_call, 0
	.section	.AMDGPU.csdata,"",@progbits
; Kernel info:
; codeLenInByte = 0
; TotalNumSgprs: 0
; NumVgprs: 0
; ScratchSize: 0
; MemoryBound: 0
; FloatMode: 240
; IeeeMode: 1
; LDSByteSize: 0 bytes/workgroup (compile time only)
; SGPRBlocks: 0
; VGPRBlocks: 0
; NumSGPRsForWavesPerEU: 1
; NumVGPRsForWavesPerEU: 1
; Occupancy: 16
; WaveLimiterHint : 0
; COMPUTE_PGM_RSRC2:SCRATCH_EN: 0
; COMPUTE_PGM_RSRC2:USER_SGPR: 2
; COMPUTE_PGM_RSRC2:TRAP_HANDLER: 0
; COMPUTE_PGM_RSRC2:TGID_X_EN: 1
; COMPUTE_PGM_RSRC2:TGID_Y_EN: 0
; COMPUTE_PGM_RSRC2:TGID_Z_EN: 0
; COMPUTE_PGM_RSRC2:TIDIG_COMP_CNT: 0
	.section	.text._ZN7rocprim17ROCPRIM_400000_NS6detail17trampoline_kernelINS0_14default_configENS1_25partition_config_selectorILNS1_17partition_subalgoE5EyNS0_10empty_typeEbEEZZNS1_14partition_implILS5_5ELb0ES3_mN6thrust23THRUST_200600_302600_NS6detail15normal_iteratorINSA_10device_ptrIyEEEEPS6_NSA_18transform_iteratorINSB_9not_fun_tINSA_8identityIyEEEESF_NSA_11use_defaultESM_EENS0_5tupleIJSF_S6_EEENSO_IJSG_SG_EEES6_PlJS6_EEE10hipError_tPvRmT3_T4_T5_T6_T7_T9_mT8_P12ihipStream_tbDpT10_ENKUlT_T0_E_clISt17integral_constantIbLb0EES1A_IbLb1EEEEDaS16_S17_EUlS16_E_NS1_11comp_targetILNS1_3genE0ELNS1_11target_archE4294967295ELNS1_3gpuE0ELNS1_3repE0EEENS1_30default_config_static_selectorELNS0_4arch9wavefront6targetE0EEEvT1_,"axG",@progbits,_ZN7rocprim17ROCPRIM_400000_NS6detail17trampoline_kernelINS0_14default_configENS1_25partition_config_selectorILNS1_17partition_subalgoE5EyNS0_10empty_typeEbEEZZNS1_14partition_implILS5_5ELb0ES3_mN6thrust23THRUST_200600_302600_NS6detail15normal_iteratorINSA_10device_ptrIyEEEEPS6_NSA_18transform_iteratorINSB_9not_fun_tINSA_8identityIyEEEESF_NSA_11use_defaultESM_EENS0_5tupleIJSF_S6_EEENSO_IJSG_SG_EEES6_PlJS6_EEE10hipError_tPvRmT3_T4_T5_T6_T7_T9_mT8_P12ihipStream_tbDpT10_ENKUlT_T0_E_clISt17integral_constantIbLb0EES1A_IbLb1EEEEDaS16_S17_EUlS16_E_NS1_11comp_targetILNS1_3genE0ELNS1_11target_archE4294967295ELNS1_3gpuE0ELNS1_3repE0EEENS1_30default_config_static_selectorELNS0_4arch9wavefront6targetE0EEEvT1_,comdat
	.protected	_ZN7rocprim17ROCPRIM_400000_NS6detail17trampoline_kernelINS0_14default_configENS1_25partition_config_selectorILNS1_17partition_subalgoE5EyNS0_10empty_typeEbEEZZNS1_14partition_implILS5_5ELb0ES3_mN6thrust23THRUST_200600_302600_NS6detail15normal_iteratorINSA_10device_ptrIyEEEEPS6_NSA_18transform_iteratorINSB_9not_fun_tINSA_8identityIyEEEESF_NSA_11use_defaultESM_EENS0_5tupleIJSF_S6_EEENSO_IJSG_SG_EEES6_PlJS6_EEE10hipError_tPvRmT3_T4_T5_T6_T7_T9_mT8_P12ihipStream_tbDpT10_ENKUlT_T0_E_clISt17integral_constantIbLb0EES1A_IbLb1EEEEDaS16_S17_EUlS16_E_NS1_11comp_targetILNS1_3genE0ELNS1_11target_archE4294967295ELNS1_3gpuE0ELNS1_3repE0EEENS1_30default_config_static_selectorELNS0_4arch9wavefront6targetE0EEEvT1_ ; -- Begin function _ZN7rocprim17ROCPRIM_400000_NS6detail17trampoline_kernelINS0_14default_configENS1_25partition_config_selectorILNS1_17partition_subalgoE5EyNS0_10empty_typeEbEEZZNS1_14partition_implILS5_5ELb0ES3_mN6thrust23THRUST_200600_302600_NS6detail15normal_iteratorINSA_10device_ptrIyEEEEPS6_NSA_18transform_iteratorINSB_9not_fun_tINSA_8identityIyEEEESF_NSA_11use_defaultESM_EENS0_5tupleIJSF_S6_EEENSO_IJSG_SG_EEES6_PlJS6_EEE10hipError_tPvRmT3_T4_T5_T6_T7_T9_mT8_P12ihipStream_tbDpT10_ENKUlT_T0_E_clISt17integral_constantIbLb0EES1A_IbLb1EEEEDaS16_S17_EUlS16_E_NS1_11comp_targetILNS1_3genE0ELNS1_11target_archE4294967295ELNS1_3gpuE0ELNS1_3repE0EEENS1_30default_config_static_selectorELNS0_4arch9wavefront6targetE0EEEvT1_
	.globl	_ZN7rocprim17ROCPRIM_400000_NS6detail17trampoline_kernelINS0_14default_configENS1_25partition_config_selectorILNS1_17partition_subalgoE5EyNS0_10empty_typeEbEEZZNS1_14partition_implILS5_5ELb0ES3_mN6thrust23THRUST_200600_302600_NS6detail15normal_iteratorINSA_10device_ptrIyEEEEPS6_NSA_18transform_iteratorINSB_9not_fun_tINSA_8identityIyEEEESF_NSA_11use_defaultESM_EENS0_5tupleIJSF_S6_EEENSO_IJSG_SG_EEES6_PlJS6_EEE10hipError_tPvRmT3_T4_T5_T6_T7_T9_mT8_P12ihipStream_tbDpT10_ENKUlT_T0_E_clISt17integral_constantIbLb0EES1A_IbLb1EEEEDaS16_S17_EUlS16_E_NS1_11comp_targetILNS1_3genE0ELNS1_11target_archE4294967295ELNS1_3gpuE0ELNS1_3repE0EEENS1_30default_config_static_selectorELNS0_4arch9wavefront6targetE0EEEvT1_
	.p2align	8
	.type	_ZN7rocprim17ROCPRIM_400000_NS6detail17trampoline_kernelINS0_14default_configENS1_25partition_config_selectorILNS1_17partition_subalgoE5EyNS0_10empty_typeEbEEZZNS1_14partition_implILS5_5ELb0ES3_mN6thrust23THRUST_200600_302600_NS6detail15normal_iteratorINSA_10device_ptrIyEEEEPS6_NSA_18transform_iteratorINSB_9not_fun_tINSA_8identityIyEEEESF_NSA_11use_defaultESM_EENS0_5tupleIJSF_S6_EEENSO_IJSG_SG_EEES6_PlJS6_EEE10hipError_tPvRmT3_T4_T5_T6_T7_T9_mT8_P12ihipStream_tbDpT10_ENKUlT_T0_E_clISt17integral_constantIbLb0EES1A_IbLb1EEEEDaS16_S17_EUlS16_E_NS1_11comp_targetILNS1_3genE0ELNS1_11target_archE4294967295ELNS1_3gpuE0ELNS1_3repE0EEENS1_30default_config_static_selectorELNS0_4arch9wavefront6targetE0EEEvT1_,@function
_ZN7rocprim17ROCPRIM_400000_NS6detail17trampoline_kernelINS0_14default_configENS1_25partition_config_selectorILNS1_17partition_subalgoE5EyNS0_10empty_typeEbEEZZNS1_14partition_implILS5_5ELb0ES3_mN6thrust23THRUST_200600_302600_NS6detail15normal_iteratorINSA_10device_ptrIyEEEEPS6_NSA_18transform_iteratorINSB_9not_fun_tINSA_8identityIyEEEESF_NSA_11use_defaultESM_EENS0_5tupleIJSF_S6_EEENSO_IJSG_SG_EEES6_PlJS6_EEE10hipError_tPvRmT3_T4_T5_T6_T7_T9_mT8_P12ihipStream_tbDpT10_ENKUlT_T0_E_clISt17integral_constantIbLb0EES1A_IbLb1EEEEDaS16_S17_EUlS16_E_NS1_11comp_targetILNS1_3genE0ELNS1_11target_archE4294967295ELNS1_3gpuE0ELNS1_3repE0EEENS1_30default_config_static_selectorELNS0_4arch9wavefront6targetE0EEEvT1_: ; @_ZN7rocprim17ROCPRIM_400000_NS6detail17trampoline_kernelINS0_14default_configENS1_25partition_config_selectorILNS1_17partition_subalgoE5EyNS0_10empty_typeEbEEZZNS1_14partition_implILS5_5ELb0ES3_mN6thrust23THRUST_200600_302600_NS6detail15normal_iteratorINSA_10device_ptrIyEEEEPS6_NSA_18transform_iteratorINSB_9not_fun_tINSA_8identityIyEEEESF_NSA_11use_defaultESM_EENS0_5tupleIJSF_S6_EEENSO_IJSG_SG_EEES6_PlJS6_EEE10hipError_tPvRmT3_T4_T5_T6_T7_T9_mT8_P12ihipStream_tbDpT10_ENKUlT_T0_E_clISt17integral_constantIbLb0EES1A_IbLb1EEEEDaS16_S17_EUlS16_E_NS1_11comp_targetILNS1_3genE0ELNS1_11target_archE4294967295ELNS1_3gpuE0ELNS1_3repE0EEENS1_30default_config_static_selectorELNS0_4arch9wavefront6targetE0EEEvT1_
; %bb.0:
	.section	.rodata,"a",@progbits
	.p2align	6, 0x0
	.amdhsa_kernel _ZN7rocprim17ROCPRIM_400000_NS6detail17trampoline_kernelINS0_14default_configENS1_25partition_config_selectorILNS1_17partition_subalgoE5EyNS0_10empty_typeEbEEZZNS1_14partition_implILS5_5ELb0ES3_mN6thrust23THRUST_200600_302600_NS6detail15normal_iteratorINSA_10device_ptrIyEEEEPS6_NSA_18transform_iteratorINSB_9not_fun_tINSA_8identityIyEEEESF_NSA_11use_defaultESM_EENS0_5tupleIJSF_S6_EEENSO_IJSG_SG_EEES6_PlJS6_EEE10hipError_tPvRmT3_T4_T5_T6_T7_T9_mT8_P12ihipStream_tbDpT10_ENKUlT_T0_E_clISt17integral_constantIbLb0EES1A_IbLb1EEEEDaS16_S17_EUlS16_E_NS1_11comp_targetILNS1_3genE0ELNS1_11target_archE4294967295ELNS1_3gpuE0ELNS1_3repE0EEENS1_30default_config_static_selectorELNS0_4arch9wavefront6targetE0EEEvT1_
		.amdhsa_group_segment_fixed_size 0
		.amdhsa_private_segment_fixed_size 0
		.amdhsa_kernarg_size 136
		.amdhsa_user_sgpr_count 2
		.amdhsa_user_sgpr_dispatch_ptr 0
		.amdhsa_user_sgpr_queue_ptr 0
		.amdhsa_user_sgpr_kernarg_segment_ptr 1
		.amdhsa_user_sgpr_dispatch_id 0
		.amdhsa_user_sgpr_private_segment_size 0
		.amdhsa_wavefront_size32 1
		.amdhsa_uses_dynamic_stack 0
		.amdhsa_enable_private_segment 0
		.amdhsa_system_sgpr_workgroup_id_x 1
		.amdhsa_system_sgpr_workgroup_id_y 0
		.amdhsa_system_sgpr_workgroup_id_z 0
		.amdhsa_system_sgpr_workgroup_info 0
		.amdhsa_system_vgpr_workitem_id 0
		.amdhsa_next_free_vgpr 1
		.amdhsa_next_free_sgpr 1
		.amdhsa_reserve_vcc 0
		.amdhsa_float_round_mode_32 0
		.amdhsa_float_round_mode_16_64 0
		.amdhsa_float_denorm_mode_32 3
		.amdhsa_float_denorm_mode_16_64 3
		.amdhsa_fp16_overflow 0
		.amdhsa_workgroup_processor_mode 1
		.amdhsa_memory_ordered 1
		.amdhsa_forward_progress 1
		.amdhsa_inst_pref_size 0
		.amdhsa_round_robin_scheduling 0
		.amdhsa_exception_fp_ieee_invalid_op 0
		.amdhsa_exception_fp_denorm_src 0
		.amdhsa_exception_fp_ieee_div_zero 0
		.amdhsa_exception_fp_ieee_overflow 0
		.amdhsa_exception_fp_ieee_underflow 0
		.amdhsa_exception_fp_ieee_inexact 0
		.amdhsa_exception_int_div_zero 0
	.end_amdhsa_kernel
	.section	.text._ZN7rocprim17ROCPRIM_400000_NS6detail17trampoline_kernelINS0_14default_configENS1_25partition_config_selectorILNS1_17partition_subalgoE5EyNS0_10empty_typeEbEEZZNS1_14partition_implILS5_5ELb0ES3_mN6thrust23THRUST_200600_302600_NS6detail15normal_iteratorINSA_10device_ptrIyEEEEPS6_NSA_18transform_iteratorINSB_9not_fun_tINSA_8identityIyEEEESF_NSA_11use_defaultESM_EENS0_5tupleIJSF_S6_EEENSO_IJSG_SG_EEES6_PlJS6_EEE10hipError_tPvRmT3_T4_T5_T6_T7_T9_mT8_P12ihipStream_tbDpT10_ENKUlT_T0_E_clISt17integral_constantIbLb0EES1A_IbLb1EEEEDaS16_S17_EUlS16_E_NS1_11comp_targetILNS1_3genE0ELNS1_11target_archE4294967295ELNS1_3gpuE0ELNS1_3repE0EEENS1_30default_config_static_selectorELNS0_4arch9wavefront6targetE0EEEvT1_,"axG",@progbits,_ZN7rocprim17ROCPRIM_400000_NS6detail17trampoline_kernelINS0_14default_configENS1_25partition_config_selectorILNS1_17partition_subalgoE5EyNS0_10empty_typeEbEEZZNS1_14partition_implILS5_5ELb0ES3_mN6thrust23THRUST_200600_302600_NS6detail15normal_iteratorINSA_10device_ptrIyEEEEPS6_NSA_18transform_iteratorINSB_9not_fun_tINSA_8identityIyEEEESF_NSA_11use_defaultESM_EENS0_5tupleIJSF_S6_EEENSO_IJSG_SG_EEES6_PlJS6_EEE10hipError_tPvRmT3_T4_T5_T6_T7_T9_mT8_P12ihipStream_tbDpT10_ENKUlT_T0_E_clISt17integral_constantIbLb0EES1A_IbLb1EEEEDaS16_S17_EUlS16_E_NS1_11comp_targetILNS1_3genE0ELNS1_11target_archE4294967295ELNS1_3gpuE0ELNS1_3repE0EEENS1_30default_config_static_selectorELNS0_4arch9wavefront6targetE0EEEvT1_,comdat
.Lfunc_end877:
	.size	_ZN7rocprim17ROCPRIM_400000_NS6detail17trampoline_kernelINS0_14default_configENS1_25partition_config_selectorILNS1_17partition_subalgoE5EyNS0_10empty_typeEbEEZZNS1_14partition_implILS5_5ELb0ES3_mN6thrust23THRUST_200600_302600_NS6detail15normal_iteratorINSA_10device_ptrIyEEEEPS6_NSA_18transform_iteratorINSB_9not_fun_tINSA_8identityIyEEEESF_NSA_11use_defaultESM_EENS0_5tupleIJSF_S6_EEENSO_IJSG_SG_EEES6_PlJS6_EEE10hipError_tPvRmT3_T4_T5_T6_T7_T9_mT8_P12ihipStream_tbDpT10_ENKUlT_T0_E_clISt17integral_constantIbLb0EES1A_IbLb1EEEEDaS16_S17_EUlS16_E_NS1_11comp_targetILNS1_3genE0ELNS1_11target_archE4294967295ELNS1_3gpuE0ELNS1_3repE0EEENS1_30default_config_static_selectorELNS0_4arch9wavefront6targetE0EEEvT1_, .Lfunc_end877-_ZN7rocprim17ROCPRIM_400000_NS6detail17trampoline_kernelINS0_14default_configENS1_25partition_config_selectorILNS1_17partition_subalgoE5EyNS0_10empty_typeEbEEZZNS1_14partition_implILS5_5ELb0ES3_mN6thrust23THRUST_200600_302600_NS6detail15normal_iteratorINSA_10device_ptrIyEEEEPS6_NSA_18transform_iteratorINSB_9not_fun_tINSA_8identityIyEEEESF_NSA_11use_defaultESM_EENS0_5tupleIJSF_S6_EEENSO_IJSG_SG_EEES6_PlJS6_EEE10hipError_tPvRmT3_T4_T5_T6_T7_T9_mT8_P12ihipStream_tbDpT10_ENKUlT_T0_E_clISt17integral_constantIbLb0EES1A_IbLb1EEEEDaS16_S17_EUlS16_E_NS1_11comp_targetILNS1_3genE0ELNS1_11target_archE4294967295ELNS1_3gpuE0ELNS1_3repE0EEENS1_30default_config_static_selectorELNS0_4arch9wavefront6targetE0EEEvT1_
                                        ; -- End function
	.set _ZN7rocprim17ROCPRIM_400000_NS6detail17trampoline_kernelINS0_14default_configENS1_25partition_config_selectorILNS1_17partition_subalgoE5EyNS0_10empty_typeEbEEZZNS1_14partition_implILS5_5ELb0ES3_mN6thrust23THRUST_200600_302600_NS6detail15normal_iteratorINSA_10device_ptrIyEEEEPS6_NSA_18transform_iteratorINSB_9not_fun_tINSA_8identityIyEEEESF_NSA_11use_defaultESM_EENS0_5tupleIJSF_S6_EEENSO_IJSG_SG_EEES6_PlJS6_EEE10hipError_tPvRmT3_T4_T5_T6_T7_T9_mT8_P12ihipStream_tbDpT10_ENKUlT_T0_E_clISt17integral_constantIbLb0EES1A_IbLb1EEEEDaS16_S17_EUlS16_E_NS1_11comp_targetILNS1_3genE0ELNS1_11target_archE4294967295ELNS1_3gpuE0ELNS1_3repE0EEENS1_30default_config_static_selectorELNS0_4arch9wavefront6targetE0EEEvT1_.num_vgpr, 0
	.set _ZN7rocprim17ROCPRIM_400000_NS6detail17trampoline_kernelINS0_14default_configENS1_25partition_config_selectorILNS1_17partition_subalgoE5EyNS0_10empty_typeEbEEZZNS1_14partition_implILS5_5ELb0ES3_mN6thrust23THRUST_200600_302600_NS6detail15normal_iteratorINSA_10device_ptrIyEEEEPS6_NSA_18transform_iteratorINSB_9not_fun_tINSA_8identityIyEEEESF_NSA_11use_defaultESM_EENS0_5tupleIJSF_S6_EEENSO_IJSG_SG_EEES6_PlJS6_EEE10hipError_tPvRmT3_T4_T5_T6_T7_T9_mT8_P12ihipStream_tbDpT10_ENKUlT_T0_E_clISt17integral_constantIbLb0EES1A_IbLb1EEEEDaS16_S17_EUlS16_E_NS1_11comp_targetILNS1_3genE0ELNS1_11target_archE4294967295ELNS1_3gpuE0ELNS1_3repE0EEENS1_30default_config_static_selectorELNS0_4arch9wavefront6targetE0EEEvT1_.num_agpr, 0
	.set _ZN7rocprim17ROCPRIM_400000_NS6detail17trampoline_kernelINS0_14default_configENS1_25partition_config_selectorILNS1_17partition_subalgoE5EyNS0_10empty_typeEbEEZZNS1_14partition_implILS5_5ELb0ES3_mN6thrust23THRUST_200600_302600_NS6detail15normal_iteratorINSA_10device_ptrIyEEEEPS6_NSA_18transform_iteratorINSB_9not_fun_tINSA_8identityIyEEEESF_NSA_11use_defaultESM_EENS0_5tupleIJSF_S6_EEENSO_IJSG_SG_EEES6_PlJS6_EEE10hipError_tPvRmT3_T4_T5_T6_T7_T9_mT8_P12ihipStream_tbDpT10_ENKUlT_T0_E_clISt17integral_constantIbLb0EES1A_IbLb1EEEEDaS16_S17_EUlS16_E_NS1_11comp_targetILNS1_3genE0ELNS1_11target_archE4294967295ELNS1_3gpuE0ELNS1_3repE0EEENS1_30default_config_static_selectorELNS0_4arch9wavefront6targetE0EEEvT1_.numbered_sgpr, 0
	.set _ZN7rocprim17ROCPRIM_400000_NS6detail17trampoline_kernelINS0_14default_configENS1_25partition_config_selectorILNS1_17partition_subalgoE5EyNS0_10empty_typeEbEEZZNS1_14partition_implILS5_5ELb0ES3_mN6thrust23THRUST_200600_302600_NS6detail15normal_iteratorINSA_10device_ptrIyEEEEPS6_NSA_18transform_iteratorINSB_9not_fun_tINSA_8identityIyEEEESF_NSA_11use_defaultESM_EENS0_5tupleIJSF_S6_EEENSO_IJSG_SG_EEES6_PlJS6_EEE10hipError_tPvRmT3_T4_T5_T6_T7_T9_mT8_P12ihipStream_tbDpT10_ENKUlT_T0_E_clISt17integral_constantIbLb0EES1A_IbLb1EEEEDaS16_S17_EUlS16_E_NS1_11comp_targetILNS1_3genE0ELNS1_11target_archE4294967295ELNS1_3gpuE0ELNS1_3repE0EEENS1_30default_config_static_selectorELNS0_4arch9wavefront6targetE0EEEvT1_.num_named_barrier, 0
	.set _ZN7rocprim17ROCPRIM_400000_NS6detail17trampoline_kernelINS0_14default_configENS1_25partition_config_selectorILNS1_17partition_subalgoE5EyNS0_10empty_typeEbEEZZNS1_14partition_implILS5_5ELb0ES3_mN6thrust23THRUST_200600_302600_NS6detail15normal_iteratorINSA_10device_ptrIyEEEEPS6_NSA_18transform_iteratorINSB_9not_fun_tINSA_8identityIyEEEESF_NSA_11use_defaultESM_EENS0_5tupleIJSF_S6_EEENSO_IJSG_SG_EEES6_PlJS6_EEE10hipError_tPvRmT3_T4_T5_T6_T7_T9_mT8_P12ihipStream_tbDpT10_ENKUlT_T0_E_clISt17integral_constantIbLb0EES1A_IbLb1EEEEDaS16_S17_EUlS16_E_NS1_11comp_targetILNS1_3genE0ELNS1_11target_archE4294967295ELNS1_3gpuE0ELNS1_3repE0EEENS1_30default_config_static_selectorELNS0_4arch9wavefront6targetE0EEEvT1_.private_seg_size, 0
	.set _ZN7rocprim17ROCPRIM_400000_NS6detail17trampoline_kernelINS0_14default_configENS1_25partition_config_selectorILNS1_17partition_subalgoE5EyNS0_10empty_typeEbEEZZNS1_14partition_implILS5_5ELb0ES3_mN6thrust23THRUST_200600_302600_NS6detail15normal_iteratorINSA_10device_ptrIyEEEEPS6_NSA_18transform_iteratorINSB_9not_fun_tINSA_8identityIyEEEESF_NSA_11use_defaultESM_EENS0_5tupleIJSF_S6_EEENSO_IJSG_SG_EEES6_PlJS6_EEE10hipError_tPvRmT3_T4_T5_T6_T7_T9_mT8_P12ihipStream_tbDpT10_ENKUlT_T0_E_clISt17integral_constantIbLb0EES1A_IbLb1EEEEDaS16_S17_EUlS16_E_NS1_11comp_targetILNS1_3genE0ELNS1_11target_archE4294967295ELNS1_3gpuE0ELNS1_3repE0EEENS1_30default_config_static_selectorELNS0_4arch9wavefront6targetE0EEEvT1_.uses_vcc, 0
	.set _ZN7rocprim17ROCPRIM_400000_NS6detail17trampoline_kernelINS0_14default_configENS1_25partition_config_selectorILNS1_17partition_subalgoE5EyNS0_10empty_typeEbEEZZNS1_14partition_implILS5_5ELb0ES3_mN6thrust23THRUST_200600_302600_NS6detail15normal_iteratorINSA_10device_ptrIyEEEEPS6_NSA_18transform_iteratorINSB_9not_fun_tINSA_8identityIyEEEESF_NSA_11use_defaultESM_EENS0_5tupleIJSF_S6_EEENSO_IJSG_SG_EEES6_PlJS6_EEE10hipError_tPvRmT3_T4_T5_T6_T7_T9_mT8_P12ihipStream_tbDpT10_ENKUlT_T0_E_clISt17integral_constantIbLb0EES1A_IbLb1EEEEDaS16_S17_EUlS16_E_NS1_11comp_targetILNS1_3genE0ELNS1_11target_archE4294967295ELNS1_3gpuE0ELNS1_3repE0EEENS1_30default_config_static_selectorELNS0_4arch9wavefront6targetE0EEEvT1_.uses_flat_scratch, 0
	.set _ZN7rocprim17ROCPRIM_400000_NS6detail17trampoline_kernelINS0_14default_configENS1_25partition_config_selectorILNS1_17partition_subalgoE5EyNS0_10empty_typeEbEEZZNS1_14partition_implILS5_5ELb0ES3_mN6thrust23THRUST_200600_302600_NS6detail15normal_iteratorINSA_10device_ptrIyEEEEPS6_NSA_18transform_iteratorINSB_9not_fun_tINSA_8identityIyEEEESF_NSA_11use_defaultESM_EENS0_5tupleIJSF_S6_EEENSO_IJSG_SG_EEES6_PlJS6_EEE10hipError_tPvRmT3_T4_T5_T6_T7_T9_mT8_P12ihipStream_tbDpT10_ENKUlT_T0_E_clISt17integral_constantIbLb0EES1A_IbLb1EEEEDaS16_S17_EUlS16_E_NS1_11comp_targetILNS1_3genE0ELNS1_11target_archE4294967295ELNS1_3gpuE0ELNS1_3repE0EEENS1_30default_config_static_selectorELNS0_4arch9wavefront6targetE0EEEvT1_.has_dyn_sized_stack, 0
	.set _ZN7rocprim17ROCPRIM_400000_NS6detail17trampoline_kernelINS0_14default_configENS1_25partition_config_selectorILNS1_17partition_subalgoE5EyNS0_10empty_typeEbEEZZNS1_14partition_implILS5_5ELb0ES3_mN6thrust23THRUST_200600_302600_NS6detail15normal_iteratorINSA_10device_ptrIyEEEEPS6_NSA_18transform_iteratorINSB_9not_fun_tINSA_8identityIyEEEESF_NSA_11use_defaultESM_EENS0_5tupleIJSF_S6_EEENSO_IJSG_SG_EEES6_PlJS6_EEE10hipError_tPvRmT3_T4_T5_T6_T7_T9_mT8_P12ihipStream_tbDpT10_ENKUlT_T0_E_clISt17integral_constantIbLb0EES1A_IbLb1EEEEDaS16_S17_EUlS16_E_NS1_11comp_targetILNS1_3genE0ELNS1_11target_archE4294967295ELNS1_3gpuE0ELNS1_3repE0EEENS1_30default_config_static_selectorELNS0_4arch9wavefront6targetE0EEEvT1_.has_recursion, 0
	.set _ZN7rocprim17ROCPRIM_400000_NS6detail17trampoline_kernelINS0_14default_configENS1_25partition_config_selectorILNS1_17partition_subalgoE5EyNS0_10empty_typeEbEEZZNS1_14partition_implILS5_5ELb0ES3_mN6thrust23THRUST_200600_302600_NS6detail15normal_iteratorINSA_10device_ptrIyEEEEPS6_NSA_18transform_iteratorINSB_9not_fun_tINSA_8identityIyEEEESF_NSA_11use_defaultESM_EENS0_5tupleIJSF_S6_EEENSO_IJSG_SG_EEES6_PlJS6_EEE10hipError_tPvRmT3_T4_T5_T6_T7_T9_mT8_P12ihipStream_tbDpT10_ENKUlT_T0_E_clISt17integral_constantIbLb0EES1A_IbLb1EEEEDaS16_S17_EUlS16_E_NS1_11comp_targetILNS1_3genE0ELNS1_11target_archE4294967295ELNS1_3gpuE0ELNS1_3repE0EEENS1_30default_config_static_selectorELNS0_4arch9wavefront6targetE0EEEvT1_.has_indirect_call, 0
	.section	.AMDGPU.csdata,"",@progbits
; Kernel info:
; codeLenInByte = 0
; TotalNumSgprs: 0
; NumVgprs: 0
; ScratchSize: 0
; MemoryBound: 0
; FloatMode: 240
; IeeeMode: 1
; LDSByteSize: 0 bytes/workgroup (compile time only)
; SGPRBlocks: 0
; VGPRBlocks: 0
; NumSGPRsForWavesPerEU: 1
; NumVGPRsForWavesPerEU: 1
; Occupancy: 16
; WaveLimiterHint : 0
; COMPUTE_PGM_RSRC2:SCRATCH_EN: 0
; COMPUTE_PGM_RSRC2:USER_SGPR: 2
; COMPUTE_PGM_RSRC2:TRAP_HANDLER: 0
; COMPUTE_PGM_RSRC2:TGID_X_EN: 1
; COMPUTE_PGM_RSRC2:TGID_Y_EN: 0
; COMPUTE_PGM_RSRC2:TGID_Z_EN: 0
; COMPUTE_PGM_RSRC2:TIDIG_COMP_CNT: 0
	.section	.text._ZN7rocprim17ROCPRIM_400000_NS6detail17trampoline_kernelINS0_14default_configENS1_25partition_config_selectorILNS1_17partition_subalgoE5EyNS0_10empty_typeEbEEZZNS1_14partition_implILS5_5ELb0ES3_mN6thrust23THRUST_200600_302600_NS6detail15normal_iteratorINSA_10device_ptrIyEEEEPS6_NSA_18transform_iteratorINSB_9not_fun_tINSA_8identityIyEEEESF_NSA_11use_defaultESM_EENS0_5tupleIJSF_S6_EEENSO_IJSG_SG_EEES6_PlJS6_EEE10hipError_tPvRmT3_T4_T5_T6_T7_T9_mT8_P12ihipStream_tbDpT10_ENKUlT_T0_E_clISt17integral_constantIbLb0EES1A_IbLb1EEEEDaS16_S17_EUlS16_E_NS1_11comp_targetILNS1_3genE5ELNS1_11target_archE942ELNS1_3gpuE9ELNS1_3repE0EEENS1_30default_config_static_selectorELNS0_4arch9wavefront6targetE0EEEvT1_,"axG",@progbits,_ZN7rocprim17ROCPRIM_400000_NS6detail17trampoline_kernelINS0_14default_configENS1_25partition_config_selectorILNS1_17partition_subalgoE5EyNS0_10empty_typeEbEEZZNS1_14partition_implILS5_5ELb0ES3_mN6thrust23THRUST_200600_302600_NS6detail15normal_iteratorINSA_10device_ptrIyEEEEPS6_NSA_18transform_iteratorINSB_9not_fun_tINSA_8identityIyEEEESF_NSA_11use_defaultESM_EENS0_5tupleIJSF_S6_EEENSO_IJSG_SG_EEES6_PlJS6_EEE10hipError_tPvRmT3_T4_T5_T6_T7_T9_mT8_P12ihipStream_tbDpT10_ENKUlT_T0_E_clISt17integral_constantIbLb0EES1A_IbLb1EEEEDaS16_S17_EUlS16_E_NS1_11comp_targetILNS1_3genE5ELNS1_11target_archE942ELNS1_3gpuE9ELNS1_3repE0EEENS1_30default_config_static_selectorELNS0_4arch9wavefront6targetE0EEEvT1_,comdat
	.protected	_ZN7rocprim17ROCPRIM_400000_NS6detail17trampoline_kernelINS0_14default_configENS1_25partition_config_selectorILNS1_17partition_subalgoE5EyNS0_10empty_typeEbEEZZNS1_14partition_implILS5_5ELb0ES3_mN6thrust23THRUST_200600_302600_NS6detail15normal_iteratorINSA_10device_ptrIyEEEEPS6_NSA_18transform_iteratorINSB_9not_fun_tINSA_8identityIyEEEESF_NSA_11use_defaultESM_EENS0_5tupleIJSF_S6_EEENSO_IJSG_SG_EEES6_PlJS6_EEE10hipError_tPvRmT3_T4_T5_T6_T7_T9_mT8_P12ihipStream_tbDpT10_ENKUlT_T0_E_clISt17integral_constantIbLb0EES1A_IbLb1EEEEDaS16_S17_EUlS16_E_NS1_11comp_targetILNS1_3genE5ELNS1_11target_archE942ELNS1_3gpuE9ELNS1_3repE0EEENS1_30default_config_static_selectorELNS0_4arch9wavefront6targetE0EEEvT1_ ; -- Begin function _ZN7rocprim17ROCPRIM_400000_NS6detail17trampoline_kernelINS0_14default_configENS1_25partition_config_selectorILNS1_17partition_subalgoE5EyNS0_10empty_typeEbEEZZNS1_14partition_implILS5_5ELb0ES3_mN6thrust23THRUST_200600_302600_NS6detail15normal_iteratorINSA_10device_ptrIyEEEEPS6_NSA_18transform_iteratorINSB_9not_fun_tINSA_8identityIyEEEESF_NSA_11use_defaultESM_EENS0_5tupleIJSF_S6_EEENSO_IJSG_SG_EEES6_PlJS6_EEE10hipError_tPvRmT3_T4_T5_T6_T7_T9_mT8_P12ihipStream_tbDpT10_ENKUlT_T0_E_clISt17integral_constantIbLb0EES1A_IbLb1EEEEDaS16_S17_EUlS16_E_NS1_11comp_targetILNS1_3genE5ELNS1_11target_archE942ELNS1_3gpuE9ELNS1_3repE0EEENS1_30default_config_static_selectorELNS0_4arch9wavefront6targetE0EEEvT1_
	.globl	_ZN7rocprim17ROCPRIM_400000_NS6detail17trampoline_kernelINS0_14default_configENS1_25partition_config_selectorILNS1_17partition_subalgoE5EyNS0_10empty_typeEbEEZZNS1_14partition_implILS5_5ELb0ES3_mN6thrust23THRUST_200600_302600_NS6detail15normal_iteratorINSA_10device_ptrIyEEEEPS6_NSA_18transform_iteratorINSB_9not_fun_tINSA_8identityIyEEEESF_NSA_11use_defaultESM_EENS0_5tupleIJSF_S6_EEENSO_IJSG_SG_EEES6_PlJS6_EEE10hipError_tPvRmT3_T4_T5_T6_T7_T9_mT8_P12ihipStream_tbDpT10_ENKUlT_T0_E_clISt17integral_constantIbLb0EES1A_IbLb1EEEEDaS16_S17_EUlS16_E_NS1_11comp_targetILNS1_3genE5ELNS1_11target_archE942ELNS1_3gpuE9ELNS1_3repE0EEENS1_30default_config_static_selectorELNS0_4arch9wavefront6targetE0EEEvT1_
	.p2align	8
	.type	_ZN7rocprim17ROCPRIM_400000_NS6detail17trampoline_kernelINS0_14default_configENS1_25partition_config_selectorILNS1_17partition_subalgoE5EyNS0_10empty_typeEbEEZZNS1_14partition_implILS5_5ELb0ES3_mN6thrust23THRUST_200600_302600_NS6detail15normal_iteratorINSA_10device_ptrIyEEEEPS6_NSA_18transform_iteratorINSB_9not_fun_tINSA_8identityIyEEEESF_NSA_11use_defaultESM_EENS0_5tupleIJSF_S6_EEENSO_IJSG_SG_EEES6_PlJS6_EEE10hipError_tPvRmT3_T4_T5_T6_T7_T9_mT8_P12ihipStream_tbDpT10_ENKUlT_T0_E_clISt17integral_constantIbLb0EES1A_IbLb1EEEEDaS16_S17_EUlS16_E_NS1_11comp_targetILNS1_3genE5ELNS1_11target_archE942ELNS1_3gpuE9ELNS1_3repE0EEENS1_30default_config_static_selectorELNS0_4arch9wavefront6targetE0EEEvT1_,@function
_ZN7rocprim17ROCPRIM_400000_NS6detail17trampoline_kernelINS0_14default_configENS1_25partition_config_selectorILNS1_17partition_subalgoE5EyNS0_10empty_typeEbEEZZNS1_14partition_implILS5_5ELb0ES3_mN6thrust23THRUST_200600_302600_NS6detail15normal_iteratorINSA_10device_ptrIyEEEEPS6_NSA_18transform_iteratorINSB_9not_fun_tINSA_8identityIyEEEESF_NSA_11use_defaultESM_EENS0_5tupleIJSF_S6_EEENSO_IJSG_SG_EEES6_PlJS6_EEE10hipError_tPvRmT3_T4_T5_T6_T7_T9_mT8_P12ihipStream_tbDpT10_ENKUlT_T0_E_clISt17integral_constantIbLb0EES1A_IbLb1EEEEDaS16_S17_EUlS16_E_NS1_11comp_targetILNS1_3genE5ELNS1_11target_archE942ELNS1_3gpuE9ELNS1_3repE0EEENS1_30default_config_static_selectorELNS0_4arch9wavefront6targetE0EEEvT1_: ; @_ZN7rocprim17ROCPRIM_400000_NS6detail17trampoline_kernelINS0_14default_configENS1_25partition_config_selectorILNS1_17partition_subalgoE5EyNS0_10empty_typeEbEEZZNS1_14partition_implILS5_5ELb0ES3_mN6thrust23THRUST_200600_302600_NS6detail15normal_iteratorINSA_10device_ptrIyEEEEPS6_NSA_18transform_iteratorINSB_9not_fun_tINSA_8identityIyEEEESF_NSA_11use_defaultESM_EENS0_5tupleIJSF_S6_EEENSO_IJSG_SG_EEES6_PlJS6_EEE10hipError_tPvRmT3_T4_T5_T6_T7_T9_mT8_P12ihipStream_tbDpT10_ENKUlT_T0_E_clISt17integral_constantIbLb0EES1A_IbLb1EEEEDaS16_S17_EUlS16_E_NS1_11comp_targetILNS1_3genE5ELNS1_11target_archE942ELNS1_3gpuE9ELNS1_3repE0EEENS1_30default_config_static_selectorELNS0_4arch9wavefront6targetE0EEEvT1_
; %bb.0:
	.section	.rodata,"a",@progbits
	.p2align	6, 0x0
	.amdhsa_kernel _ZN7rocprim17ROCPRIM_400000_NS6detail17trampoline_kernelINS0_14default_configENS1_25partition_config_selectorILNS1_17partition_subalgoE5EyNS0_10empty_typeEbEEZZNS1_14partition_implILS5_5ELb0ES3_mN6thrust23THRUST_200600_302600_NS6detail15normal_iteratorINSA_10device_ptrIyEEEEPS6_NSA_18transform_iteratorINSB_9not_fun_tINSA_8identityIyEEEESF_NSA_11use_defaultESM_EENS0_5tupleIJSF_S6_EEENSO_IJSG_SG_EEES6_PlJS6_EEE10hipError_tPvRmT3_T4_T5_T6_T7_T9_mT8_P12ihipStream_tbDpT10_ENKUlT_T0_E_clISt17integral_constantIbLb0EES1A_IbLb1EEEEDaS16_S17_EUlS16_E_NS1_11comp_targetILNS1_3genE5ELNS1_11target_archE942ELNS1_3gpuE9ELNS1_3repE0EEENS1_30default_config_static_selectorELNS0_4arch9wavefront6targetE0EEEvT1_
		.amdhsa_group_segment_fixed_size 0
		.amdhsa_private_segment_fixed_size 0
		.amdhsa_kernarg_size 136
		.amdhsa_user_sgpr_count 2
		.amdhsa_user_sgpr_dispatch_ptr 0
		.amdhsa_user_sgpr_queue_ptr 0
		.amdhsa_user_sgpr_kernarg_segment_ptr 1
		.amdhsa_user_sgpr_dispatch_id 0
		.amdhsa_user_sgpr_private_segment_size 0
		.amdhsa_wavefront_size32 1
		.amdhsa_uses_dynamic_stack 0
		.amdhsa_enable_private_segment 0
		.amdhsa_system_sgpr_workgroup_id_x 1
		.amdhsa_system_sgpr_workgroup_id_y 0
		.amdhsa_system_sgpr_workgroup_id_z 0
		.amdhsa_system_sgpr_workgroup_info 0
		.amdhsa_system_vgpr_workitem_id 0
		.amdhsa_next_free_vgpr 1
		.amdhsa_next_free_sgpr 1
		.amdhsa_reserve_vcc 0
		.amdhsa_float_round_mode_32 0
		.amdhsa_float_round_mode_16_64 0
		.amdhsa_float_denorm_mode_32 3
		.amdhsa_float_denorm_mode_16_64 3
		.amdhsa_fp16_overflow 0
		.amdhsa_workgroup_processor_mode 1
		.amdhsa_memory_ordered 1
		.amdhsa_forward_progress 1
		.amdhsa_inst_pref_size 0
		.amdhsa_round_robin_scheduling 0
		.amdhsa_exception_fp_ieee_invalid_op 0
		.amdhsa_exception_fp_denorm_src 0
		.amdhsa_exception_fp_ieee_div_zero 0
		.amdhsa_exception_fp_ieee_overflow 0
		.amdhsa_exception_fp_ieee_underflow 0
		.amdhsa_exception_fp_ieee_inexact 0
		.amdhsa_exception_int_div_zero 0
	.end_amdhsa_kernel
	.section	.text._ZN7rocprim17ROCPRIM_400000_NS6detail17trampoline_kernelINS0_14default_configENS1_25partition_config_selectorILNS1_17partition_subalgoE5EyNS0_10empty_typeEbEEZZNS1_14partition_implILS5_5ELb0ES3_mN6thrust23THRUST_200600_302600_NS6detail15normal_iteratorINSA_10device_ptrIyEEEEPS6_NSA_18transform_iteratorINSB_9not_fun_tINSA_8identityIyEEEESF_NSA_11use_defaultESM_EENS0_5tupleIJSF_S6_EEENSO_IJSG_SG_EEES6_PlJS6_EEE10hipError_tPvRmT3_T4_T5_T6_T7_T9_mT8_P12ihipStream_tbDpT10_ENKUlT_T0_E_clISt17integral_constantIbLb0EES1A_IbLb1EEEEDaS16_S17_EUlS16_E_NS1_11comp_targetILNS1_3genE5ELNS1_11target_archE942ELNS1_3gpuE9ELNS1_3repE0EEENS1_30default_config_static_selectorELNS0_4arch9wavefront6targetE0EEEvT1_,"axG",@progbits,_ZN7rocprim17ROCPRIM_400000_NS6detail17trampoline_kernelINS0_14default_configENS1_25partition_config_selectorILNS1_17partition_subalgoE5EyNS0_10empty_typeEbEEZZNS1_14partition_implILS5_5ELb0ES3_mN6thrust23THRUST_200600_302600_NS6detail15normal_iteratorINSA_10device_ptrIyEEEEPS6_NSA_18transform_iteratorINSB_9not_fun_tINSA_8identityIyEEEESF_NSA_11use_defaultESM_EENS0_5tupleIJSF_S6_EEENSO_IJSG_SG_EEES6_PlJS6_EEE10hipError_tPvRmT3_T4_T5_T6_T7_T9_mT8_P12ihipStream_tbDpT10_ENKUlT_T0_E_clISt17integral_constantIbLb0EES1A_IbLb1EEEEDaS16_S17_EUlS16_E_NS1_11comp_targetILNS1_3genE5ELNS1_11target_archE942ELNS1_3gpuE9ELNS1_3repE0EEENS1_30default_config_static_selectorELNS0_4arch9wavefront6targetE0EEEvT1_,comdat
.Lfunc_end878:
	.size	_ZN7rocprim17ROCPRIM_400000_NS6detail17trampoline_kernelINS0_14default_configENS1_25partition_config_selectorILNS1_17partition_subalgoE5EyNS0_10empty_typeEbEEZZNS1_14partition_implILS5_5ELb0ES3_mN6thrust23THRUST_200600_302600_NS6detail15normal_iteratorINSA_10device_ptrIyEEEEPS6_NSA_18transform_iteratorINSB_9not_fun_tINSA_8identityIyEEEESF_NSA_11use_defaultESM_EENS0_5tupleIJSF_S6_EEENSO_IJSG_SG_EEES6_PlJS6_EEE10hipError_tPvRmT3_T4_T5_T6_T7_T9_mT8_P12ihipStream_tbDpT10_ENKUlT_T0_E_clISt17integral_constantIbLb0EES1A_IbLb1EEEEDaS16_S17_EUlS16_E_NS1_11comp_targetILNS1_3genE5ELNS1_11target_archE942ELNS1_3gpuE9ELNS1_3repE0EEENS1_30default_config_static_selectorELNS0_4arch9wavefront6targetE0EEEvT1_, .Lfunc_end878-_ZN7rocprim17ROCPRIM_400000_NS6detail17trampoline_kernelINS0_14default_configENS1_25partition_config_selectorILNS1_17partition_subalgoE5EyNS0_10empty_typeEbEEZZNS1_14partition_implILS5_5ELb0ES3_mN6thrust23THRUST_200600_302600_NS6detail15normal_iteratorINSA_10device_ptrIyEEEEPS6_NSA_18transform_iteratorINSB_9not_fun_tINSA_8identityIyEEEESF_NSA_11use_defaultESM_EENS0_5tupleIJSF_S6_EEENSO_IJSG_SG_EEES6_PlJS6_EEE10hipError_tPvRmT3_T4_T5_T6_T7_T9_mT8_P12ihipStream_tbDpT10_ENKUlT_T0_E_clISt17integral_constantIbLb0EES1A_IbLb1EEEEDaS16_S17_EUlS16_E_NS1_11comp_targetILNS1_3genE5ELNS1_11target_archE942ELNS1_3gpuE9ELNS1_3repE0EEENS1_30default_config_static_selectorELNS0_4arch9wavefront6targetE0EEEvT1_
                                        ; -- End function
	.set _ZN7rocprim17ROCPRIM_400000_NS6detail17trampoline_kernelINS0_14default_configENS1_25partition_config_selectorILNS1_17partition_subalgoE5EyNS0_10empty_typeEbEEZZNS1_14partition_implILS5_5ELb0ES3_mN6thrust23THRUST_200600_302600_NS6detail15normal_iteratorINSA_10device_ptrIyEEEEPS6_NSA_18transform_iteratorINSB_9not_fun_tINSA_8identityIyEEEESF_NSA_11use_defaultESM_EENS0_5tupleIJSF_S6_EEENSO_IJSG_SG_EEES6_PlJS6_EEE10hipError_tPvRmT3_T4_T5_T6_T7_T9_mT8_P12ihipStream_tbDpT10_ENKUlT_T0_E_clISt17integral_constantIbLb0EES1A_IbLb1EEEEDaS16_S17_EUlS16_E_NS1_11comp_targetILNS1_3genE5ELNS1_11target_archE942ELNS1_3gpuE9ELNS1_3repE0EEENS1_30default_config_static_selectorELNS0_4arch9wavefront6targetE0EEEvT1_.num_vgpr, 0
	.set _ZN7rocprim17ROCPRIM_400000_NS6detail17trampoline_kernelINS0_14default_configENS1_25partition_config_selectorILNS1_17partition_subalgoE5EyNS0_10empty_typeEbEEZZNS1_14partition_implILS5_5ELb0ES3_mN6thrust23THRUST_200600_302600_NS6detail15normal_iteratorINSA_10device_ptrIyEEEEPS6_NSA_18transform_iteratorINSB_9not_fun_tINSA_8identityIyEEEESF_NSA_11use_defaultESM_EENS0_5tupleIJSF_S6_EEENSO_IJSG_SG_EEES6_PlJS6_EEE10hipError_tPvRmT3_T4_T5_T6_T7_T9_mT8_P12ihipStream_tbDpT10_ENKUlT_T0_E_clISt17integral_constantIbLb0EES1A_IbLb1EEEEDaS16_S17_EUlS16_E_NS1_11comp_targetILNS1_3genE5ELNS1_11target_archE942ELNS1_3gpuE9ELNS1_3repE0EEENS1_30default_config_static_selectorELNS0_4arch9wavefront6targetE0EEEvT1_.num_agpr, 0
	.set _ZN7rocprim17ROCPRIM_400000_NS6detail17trampoline_kernelINS0_14default_configENS1_25partition_config_selectorILNS1_17partition_subalgoE5EyNS0_10empty_typeEbEEZZNS1_14partition_implILS5_5ELb0ES3_mN6thrust23THRUST_200600_302600_NS6detail15normal_iteratorINSA_10device_ptrIyEEEEPS6_NSA_18transform_iteratorINSB_9not_fun_tINSA_8identityIyEEEESF_NSA_11use_defaultESM_EENS0_5tupleIJSF_S6_EEENSO_IJSG_SG_EEES6_PlJS6_EEE10hipError_tPvRmT3_T4_T5_T6_T7_T9_mT8_P12ihipStream_tbDpT10_ENKUlT_T0_E_clISt17integral_constantIbLb0EES1A_IbLb1EEEEDaS16_S17_EUlS16_E_NS1_11comp_targetILNS1_3genE5ELNS1_11target_archE942ELNS1_3gpuE9ELNS1_3repE0EEENS1_30default_config_static_selectorELNS0_4arch9wavefront6targetE0EEEvT1_.numbered_sgpr, 0
	.set _ZN7rocprim17ROCPRIM_400000_NS6detail17trampoline_kernelINS0_14default_configENS1_25partition_config_selectorILNS1_17partition_subalgoE5EyNS0_10empty_typeEbEEZZNS1_14partition_implILS5_5ELb0ES3_mN6thrust23THRUST_200600_302600_NS6detail15normal_iteratorINSA_10device_ptrIyEEEEPS6_NSA_18transform_iteratorINSB_9not_fun_tINSA_8identityIyEEEESF_NSA_11use_defaultESM_EENS0_5tupleIJSF_S6_EEENSO_IJSG_SG_EEES6_PlJS6_EEE10hipError_tPvRmT3_T4_T5_T6_T7_T9_mT8_P12ihipStream_tbDpT10_ENKUlT_T0_E_clISt17integral_constantIbLb0EES1A_IbLb1EEEEDaS16_S17_EUlS16_E_NS1_11comp_targetILNS1_3genE5ELNS1_11target_archE942ELNS1_3gpuE9ELNS1_3repE0EEENS1_30default_config_static_selectorELNS0_4arch9wavefront6targetE0EEEvT1_.num_named_barrier, 0
	.set _ZN7rocprim17ROCPRIM_400000_NS6detail17trampoline_kernelINS0_14default_configENS1_25partition_config_selectorILNS1_17partition_subalgoE5EyNS0_10empty_typeEbEEZZNS1_14partition_implILS5_5ELb0ES3_mN6thrust23THRUST_200600_302600_NS6detail15normal_iteratorINSA_10device_ptrIyEEEEPS6_NSA_18transform_iteratorINSB_9not_fun_tINSA_8identityIyEEEESF_NSA_11use_defaultESM_EENS0_5tupleIJSF_S6_EEENSO_IJSG_SG_EEES6_PlJS6_EEE10hipError_tPvRmT3_T4_T5_T6_T7_T9_mT8_P12ihipStream_tbDpT10_ENKUlT_T0_E_clISt17integral_constantIbLb0EES1A_IbLb1EEEEDaS16_S17_EUlS16_E_NS1_11comp_targetILNS1_3genE5ELNS1_11target_archE942ELNS1_3gpuE9ELNS1_3repE0EEENS1_30default_config_static_selectorELNS0_4arch9wavefront6targetE0EEEvT1_.private_seg_size, 0
	.set _ZN7rocprim17ROCPRIM_400000_NS6detail17trampoline_kernelINS0_14default_configENS1_25partition_config_selectorILNS1_17partition_subalgoE5EyNS0_10empty_typeEbEEZZNS1_14partition_implILS5_5ELb0ES3_mN6thrust23THRUST_200600_302600_NS6detail15normal_iteratorINSA_10device_ptrIyEEEEPS6_NSA_18transform_iteratorINSB_9not_fun_tINSA_8identityIyEEEESF_NSA_11use_defaultESM_EENS0_5tupleIJSF_S6_EEENSO_IJSG_SG_EEES6_PlJS6_EEE10hipError_tPvRmT3_T4_T5_T6_T7_T9_mT8_P12ihipStream_tbDpT10_ENKUlT_T0_E_clISt17integral_constantIbLb0EES1A_IbLb1EEEEDaS16_S17_EUlS16_E_NS1_11comp_targetILNS1_3genE5ELNS1_11target_archE942ELNS1_3gpuE9ELNS1_3repE0EEENS1_30default_config_static_selectorELNS0_4arch9wavefront6targetE0EEEvT1_.uses_vcc, 0
	.set _ZN7rocprim17ROCPRIM_400000_NS6detail17trampoline_kernelINS0_14default_configENS1_25partition_config_selectorILNS1_17partition_subalgoE5EyNS0_10empty_typeEbEEZZNS1_14partition_implILS5_5ELb0ES3_mN6thrust23THRUST_200600_302600_NS6detail15normal_iteratorINSA_10device_ptrIyEEEEPS6_NSA_18transform_iteratorINSB_9not_fun_tINSA_8identityIyEEEESF_NSA_11use_defaultESM_EENS0_5tupleIJSF_S6_EEENSO_IJSG_SG_EEES6_PlJS6_EEE10hipError_tPvRmT3_T4_T5_T6_T7_T9_mT8_P12ihipStream_tbDpT10_ENKUlT_T0_E_clISt17integral_constantIbLb0EES1A_IbLb1EEEEDaS16_S17_EUlS16_E_NS1_11comp_targetILNS1_3genE5ELNS1_11target_archE942ELNS1_3gpuE9ELNS1_3repE0EEENS1_30default_config_static_selectorELNS0_4arch9wavefront6targetE0EEEvT1_.uses_flat_scratch, 0
	.set _ZN7rocprim17ROCPRIM_400000_NS6detail17trampoline_kernelINS0_14default_configENS1_25partition_config_selectorILNS1_17partition_subalgoE5EyNS0_10empty_typeEbEEZZNS1_14partition_implILS5_5ELb0ES3_mN6thrust23THRUST_200600_302600_NS6detail15normal_iteratorINSA_10device_ptrIyEEEEPS6_NSA_18transform_iteratorINSB_9not_fun_tINSA_8identityIyEEEESF_NSA_11use_defaultESM_EENS0_5tupleIJSF_S6_EEENSO_IJSG_SG_EEES6_PlJS6_EEE10hipError_tPvRmT3_T4_T5_T6_T7_T9_mT8_P12ihipStream_tbDpT10_ENKUlT_T0_E_clISt17integral_constantIbLb0EES1A_IbLb1EEEEDaS16_S17_EUlS16_E_NS1_11comp_targetILNS1_3genE5ELNS1_11target_archE942ELNS1_3gpuE9ELNS1_3repE0EEENS1_30default_config_static_selectorELNS0_4arch9wavefront6targetE0EEEvT1_.has_dyn_sized_stack, 0
	.set _ZN7rocprim17ROCPRIM_400000_NS6detail17trampoline_kernelINS0_14default_configENS1_25partition_config_selectorILNS1_17partition_subalgoE5EyNS0_10empty_typeEbEEZZNS1_14partition_implILS5_5ELb0ES3_mN6thrust23THRUST_200600_302600_NS6detail15normal_iteratorINSA_10device_ptrIyEEEEPS6_NSA_18transform_iteratorINSB_9not_fun_tINSA_8identityIyEEEESF_NSA_11use_defaultESM_EENS0_5tupleIJSF_S6_EEENSO_IJSG_SG_EEES6_PlJS6_EEE10hipError_tPvRmT3_T4_T5_T6_T7_T9_mT8_P12ihipStream_tbDpT10_ENKUlT_T0_E_clISt17integral_constantIbLb0EES1A_IbLb1EEEEDaS16_S17_EUlS16_E_NS1_11comp_targetILNS1_3genE5ELNS1_11target_archE942ELNS1_3gpuE9ELNS1_3repE0EEENS1_30default_config_static_selectorELNS0_4arch9wavefront6targetE0EEEvT1_.has_recursion, 0
	.set _ZN7rocprim17ROCPRIM_400000_NS6detail17trampoline_kernelINS0_14default_configENS1_25partition_config_selectorILNS1_17partition_subalgoE5EyNS0_10empty_typeEbEEZZNS1_14partition_implILS5_5ELb0ES3_mN6thrust23THRUST_200600_302600_NS6detail15normal_iteratorINSA_10device_ptrIyEEEEPS6_NSA_18transform_iteratorINSB_9not_fun_tINSA_8identityIyEEEESF_NSA_11use_defaultESM_EENS0_5tupleIJSF_S6_EEENSO_IJSG_SG_EEES6_PlJS6_EEE10hipError_tPvRmT3_T4_T5_T6_T7_T9_mT8_P12ihipStream_tbDpT10_ENKUlT_T0_E_clISt17integral_constantIbLb0EES1A_IbLb1EEEEDaS16_S17_EUlS16_E_NS1_11comp_targetILNS1_3genE5ELNS1_11target_archE942ELNS1_3gpuE9ELNS1_3repE0EEENS1_30default_config_static_selectorELNS0_4arch9wavefront6targetE0EEEvT1_.has_indirect_call, 0
	.section	.AMDGPU.csdata,"",@progbits
; Kernel info:
; codeLenInByte = 0
; TotalNumSgprs: 0
; NumVgprs: 0
; ScratchSize: 0
; MemoryBound: 0
; FloatMode: 240
; IeeeMode: 1
; LDSByteSize: 0 bytes/workgroup (compile time only)
; SGPRBlocks: 0
; VGPRBlocks: 0
; NumSGPRsForWavesPerEU: 1
; NumVGPRsForWavesPerEU: 1
; Occupancy: 16
; WaveLimiterHint : 0
; COMPUTE_PGM_RSRC2:SCRATCH_EN: 0
; COMPUTE_PGM_RSRC2:USER_SGPR: 2
; COMPUTE_PGM_RSRC2:TRAP_HANDLER: 0
; COMPUTE_PGM_RSRC2:TGID_X_EN: 1
; COMPUTE_PGM_RSRC2:TGID_Y_EN: 0
; COMPUTE_PGM_RSRC2:TGID_Z_EN: 0
; COMPUTE_PGM_RSRC2:TIDIG_COMP_CNT: 0
	.section	.text._ZN7rocprim17ROCPRIM_400000_NS6detail17trampoline_kernelINS0_14default_configENS1_25partition_config_selectorILNS1_17partition_subalgoE5EyNS0_10empty_typeEbEEZZNS1_14partition_implILS5_5ELb0ES3_mN6thrust23THRUST_200600_302600_NS6detail15normal_iteratorINSA_10device_ptrIyEEEEPS6_NSA_18transform_iteratorINSB_9not_fun_tINSA_8identityIyEEEESF_NSA_11use_defaultESM_EENS0_5tupleIJSF_S6_EEENSO_IJSG_SG_EEES6_PlJS6_EEE10hipError_tPvRmT3_T4_T5_T6_T7_T9_mT8_P12ihipStream_tbDpT10_ENKUlT_T0_E_clISt17integral_constantIbLb0EES1A_IbLb1EEEEDaS16_S17_EUlS16_E_NS1_11comp_targetILNS1_3genE4ELNS1_11target_archE910ELNS1_3gpuE8ELNS1_3repE0EEENS1_30default_config_static_selectorELNS0_4arch9wavefront6targetE0EEEvT1_,"axG",@progbits,_ZN7rocprim17ROCPRIM_400000_NS6detail17trampoline_kernelINS0_14default_configENS1_25partition_config_selectorILNS1_17partition_subalgoE5EyNS0_10empty_typeEbEEZZNS1_14partition_implILS5_5ELb0ES3_mN6thrust23THRUST_200600_302600_NS6detail15normal_iteratorINSA_10device_ptrIyEEEEPS6_NSA_18transform_iteratorINSB_9not_fun_tINSA_8identityIyEEEESF_NSA_11use_defaultESM_EENS0_5tupleIJSF_S6_EEENSO_IJSG_SG_EEES6_PlJS6_EEE10hipError_tPvRmT3_T4_T5_T6_T7_T9_mT8_P12ihipStream_tbDpT10_ENKUlT_T0_E_clISt17integral_constantIbLb0EES1A_IbLb1EEEEDaS16_S17_EUlS16_E_NS1_11comp_targetILNS1_3genE4ELNS1_11target_archE910ELNS1_3gpuE8ELNS1_3repE0EEENS1_30default_config_static_selectorELNS0_4arch9wavefront6targetE0EEEvT1_,comdat
	.protected	_ZN7rocprim17ROCPRIM_400000_NS6detail17trampoline_kernelINS0_14default_configENS1_25partition_config_selectorILNS1_17partition_subalgoE5EyNS0_10empty_typeEbEEZZNS1_14partition_implILS5_5ELb0ES3_mN6thrust23THRUST_200600_302600_NS6detail15normal_iteratorINSA_10device_ptrIyEEEEPS6_NSA_18transform_iteratorINSB_9not_fun_tINSA_8identityIyEEEESF_NSA_11use_defaultESM_EENS0_5tupleIJSF_S6_EEENSO_IJSG_SG_EEES6_PlJS6_EEE10hipError_tPvRmT3_T4_T5_T6_T7_T9_mT8_P12ihipStream_tbDpT10_ENKUlT_T0_E_clISt17integral_constantIbLb0EES1A_IbLb1EEEEDaS16_S17_EUlS16_E_NS1_11comp_targetILNS1_3genE4ELNS1_11target_archE910ELNS1_3gpuE8ELNS1_3repE0EEENS1_30default_config_static_selectorELNS0_4arch9wavefront6targetE0EEEvT1_ ; -- Begin function _ZN7rocprim17ROCPRIM_400000_NS6detail17trampoline_kernelINS0_14default_configENS1_25partition_config_selectorILNS1_17partition_subalgoE5EyNS0_10empty_typeEbEEZZNS1_14partition_implILS5_5ELb0ES3_mN6thrust23THRUST_200600_302600_NS6detail15normal_iteratorINSA_10device_ptrIyEEEEPS6_NSA_18transform_iteratorINSB_9not_fun_tINSA_8identityIyEEEESF_NSA_11use_defaultESM_EENS0_5tupleIJSF_S6_EEENSO_IJSG_SG_EEES6_PlJS6_EEE10hipError_tPvRmT3_T4_T5_T6_T7_T9_mT8_P12ihipStream_tbDpT10_ENKUlT_T0_E_clISt17integral_constantIbLb0EES1A_IbLb1EEEEDaS16_S17_EUlS16_E_NS1_11comp_targetILNS1_3genE4ELNS1_11target_archE910ELNS1_3gpuE8ELNS1_3repE0EEENS1_30default_config_static_selectorELNS0_4arch9wavefront6targetE0EEEvT1_
	.globl	_ZN7rocprim17ROCPRIM_400000_NS6detail17trampoline_kernelINS0_14default_configENS1_25partition_config_selectorILNS1_17partition_subalgoE5EyNS0_10empty_typeEbEEZZNS1_14partition_implILS5_5ELb0ES3_mN6thrust23THRUST_200600_302600_NS6detail15normal_iteratorINSA_10device_ptrIyEEEEPS6_NSA_18transform_iteratorINSB_9not_fun_tINSA_8identityIyEEEESF_NSA_11use_defaultESM_EENS0_5tupleIJSF_S6_EEENSO_IJSG_SG_EEES6_PlJS6_EEE10hipError_tPvRmT3_T4_T5_T6_T7_T9_mT8_P12ihipStream_tbDpT10_ENKUlT_T0_E_clISt17integral_constantIbLb0EES1A_IbLb1EEEEDaS16_S17_EUlS16_E_NS1_11comp_targetILNS1_3genE4ELNS1_11target_archE910ELNS1_3gpuE8ELNS1_3repE0EEENS1_30default_config_static_selectorELNS0_4arch9wavefront6targetE0EEEvT1_
	.p2align	8
	.type	_ZN7rocprim17ROCPRIM_400000_NS6detail17trampoline_kernelINS0_14default_configENS1_25partition_config_selectorILNS1_17partition_subalgoE5EyNS0_10empty_typeEbEEZZNS1_14partition_implILS5_5ELb0ES3_mN6thrust23THRUST_200600_302600_NS6detail15normal_iteratorINSA_10device_ptrIyEEEEPS6_NSA_18transform_iteratorINSB_9not_fun_tINSA_8identityIyEEEESF_NSA_11use_defaultESM_EENS0_5tupleIJSF_S6_EEENSO_IJSG_SG_EEES6_PlJS6_EEE10hipError_tPvRmT3_T4_T5_T6_T7_T9_mT8_P12ihipStream_tbDpT10_ENKUlT_T0_E_clISt17integral_constantIbLb0EES1A_IbLb1EEEEDaS16_S17_EUlS16_E_NS1_11comp_targetILNS1_3genE4ELNS1_11target_archE910ELNS1_3gpuE8ELNS1_3repE0EEENS1_30default_config_static_selectorELNS0_4arch9wavefront6targetE0EEEvT1_,@function
_ZN7rocprim17ROCPRIM_400000_NS6detail17trampoline_kernelINS0_14default_configENS1_25partition_config_selectorILNS1_17partition_subalgoE5EyNS0_10empty_typeEbEEZZNS1_14partition_implILS5_5ELb0ES3_mN6thrust23THRUST_200600_302600_NS6detail15normal_iteratorINSA_10device_ptrIyEEEEPS6_NSA_18transform_iteratorINSB_9not_fun_tINSA_8identityIyEEEESF_NSA_11use_defaultESM_EENS0_5tupleIJSF_S6_EEENSO_IJSG_SG_EEES6_PlJS6_EEE10hipError_tPvRmT3_T4_T5_T6_T7_T9_mT8_P12ihipStream_tbDpT10_ENKUlT_T0_E_clISt17integral_constantIbLb0EES1A_IbLb1EEEEDaS16_S17_EUlS16_E_NS1_11comp_targetILNS1_3genE4ELNS1_11target_archE910ELNS1_3gpuE8ELNS1_3repE0EEENS1_30default_config_static_selectorELNS0_4arch9wavefront6targetE0EEEvT1_: ; @_ZN7rocprim17ROCPRIM_400000_NS6detail17trampoline_kernelINS0_14default_configENS1_25partition_config_selectorILNS1_17partition_subalgoE5EyNS0_10empty_typeEbEEZZNS1_14partition_implILS5_5ELb0ES3_mN6thrust23THRUST_200600_302600_NS6detail15normal_iteratorINSA_10device_ptrIyEEEEPS6_NSA_18transform_iteratorINSB_9not_fun_tINSA_8identityIyEEEESF_NSA_11use_defaultESM_EENS0_5tupleIJSF_S6_EEENSO_IJSG_SG_EEES6_PlJS6_EEE10hipError_tPvRmT3_T4_T5_T6_T7_T9_mT8_P12ihipStream_tbDpT10_ENKUlT_T0_E_clISt17integral_constantIbLb0EES1A_IbLb1EEEEDaS16_S17_EUlS16_E_NS1_11comp_targetILNS1_3genE4ELNS1_11target_archE910ELNS1_3gpuE8ELNS1_3repE0EEENS1_30default_config_static_selectorELNS0_4arch9wavefront6targetE0EEEvT1_
; %bb.0:
	.section	.rodata,"a",@progbits
	.p2align	6, 0x0
	.amdhsa_kernel _ZN7rocprim17ROCPRIM_400000_NS6detail17trampoline_kernelINS0_14default_configENS1_25partition_config_selectorILNS1_17partition_subalgoE5EyNS0_10empty_typeEbEEZZNS1_14partition_implILS5_5ELb0ES3_mN6thrust23THRUST_200600_302600_NS6detail15normal_iteratorINSA_10device_ptrIyEEEEPS6_NSA_18transform_iteratorINSB_9not_fun_tINSA_8identityIyEEEESF_NSA_11use_defaultESM_EENS0_5tupleIJSF_S6_EEENSO_IJSG_SG_EEES6_PlJS6_EEE10hipError_tPvRmT3_T4_T5_T6_T7_T9_mT8_P12ihipStream_tbDpT10_ENKUlT_T0_E_clISt17integral_constantIbLb0EES1A_IbLb1EEEEDaS16_S17_EUlS16_E_NS1_11comp_targetILNS1_3genE4ELNS1_11target_archE910ELNS1_3gpuE8ELNS1_3repE0EEENS1_30default_config_static_selectorELNS0_4arch9wavefront6targetE0EEEvT1_
		.amdhsa_group_segment_fixed_size 0
		.amdhsa_private_segment_fixed_size 0
		.amdhsa_kernarg_size 136
		.amdhsa_user_sgpr_count 2
		.amdhsa_user_sgpr_dispatch_ptr 0
		.amdhsa_user_sgpr_queue_ptr 0
		.amdhsa_user_sgpr_kernarg_segment_ptr 1
		.amdhsa_user_sgpr_dispatch_id 0
		.amdhsa_user_sgpr_private_segment_size 0
		.amdhsa_wavefront_size32 1
		.amdhsa_uses_dynamic_stack 0
		.amdhsa_enable_private_segment 0
		.amdhsa_system_sgpr_workgroup_id_x 1
		.amdhsa_system_sgpr_workgroup_id_y 0
		.amdhsa_system_sgpr_workgroup_id_z 0
		.amdhsa_system_sgpr_workgroup_info 0
		.amdhsa_system_vgpr_workitem_id 0
		.amdhsa_next_free_vgpr 1
		.amdhsa_next_free_sgpr 1
		.amdhsa_reserve_vcc 0
		.amdhsa_float_round_mode_32 0
		.amdhsa_float_round_mode_16_64 0
		.amdhsa_float_denorm_mode_32 3
		.amdhsa_float_denorm_mode_16_64 3
		.amdhsa_fp16_overflow 0
		.amdhsa_workgroup_processor_mode 1
		.amdhsa_memory_ordered 1
		.amdhsa_forward_progress 1
		.amdhsa_inst_pref_size 0
		.amdhsa_round_robin_scheduling 0
		.amdhsa_exception_fp_ieee_invalid_op 0
		.amdhsa_exception_fp_denorm_src 0
		.amdhsa_exception_fp_ieee_div_zero 0
		.amdhsa_exception_fp_ieee_overflow 0
		.amdhsa_exception_fp_ieee_underflow 0
		.amdhsa_exception_fp_ieee_inexact 0
		.amdhsa_exception_int_div_zero 0
	.end_amdhsa_kernel
	.section	.text._ZN7rocprim17ROCPRIM_400000_NS6detail17trampoline_kernelINS0_14default_configENS1_25partition_config_selectorILNS1_17partition_subalgoE5EyNS0_10empty_typeEbEEZZNS1_14partition_implILS5_5ELb0ES3_mN6thrust23THRUST_200600_302600_NS6detail15normal_iteratorINSA_10device_ptrIyEEEEPS6_NSA_18transform_iteratorINSB_9not_fun_tINSA_8identityIyEEEESF_NSA_11use_defaultESM_EENS0_5tupleIJSF_S6_EEENSO_IJSG_SG_EEES6_PlJS6_EEE10hipError_tPvRmT3_T4_T5_T6_T7_T9_mT8_P12ihipStream_tbDpT10_ENKUlT_T0_E_clISt17integral_constantIbLb0EES1A_IbLb1EEEEDaS16_S17_EUlS16_E_NS1_11comp_targetILNS1_3genE4ELNS1_11target_archE910ELNS1_3gpuE8ELNS1_3repE0EEENS1_30default_config_static_selectorELNS0_4arch9wavefront6targetE0EEEvT1_,"axG",@progbits,_ZN7rocprim17ROCPRIM_400000_NS6detail17trampoline_kernelINS0_14default_configENS1_25partition_config_selectorILNS1_17partition_subalgoE5EyNS0_10empty_typeEbEEZZNS1_14partition_implILS5_5ELb0ES3_mN6thrust23THRUST_200600_302600_NS6detail15normal_iteratorINSA_10device_ptrIyEEEEPS6_NSA_18transform_iteratorINSB_9not_fun_tINSA_8identityIyEEEESF_NSA_11use_defaultESM_EENS0_5tupleIJSF_S6_EEENSO_IJSG_SG_EEES6_PlJS6_EEE10hipError_tPvRmT3_T4_T5_T6_T7_T9_mT8_P12ihipStream_tbDpT10_ENKUlT_T0_E_clISt17integral_constantIbLb0EES1A_IbLb1EEEEDaS16_S17_EUlS16_E_NS1_11comp_targetILNS1_3genE4ELNS1_11target_archE910ELNS1_3gpuE8ELNS1_3repE0EEENS1_30default_config_static_selectorELNS0_4arch9wavefront6targetE0EEEvT1_,comdat
.Lfunc_end879:
	.size	_ZN7rocprim17ROCPRIM_400000_NS6detail17trampoline_kernelINS0_14default_configENS1_25partition_config_selectorILNS1_17partition_subalgoE5EyNS0_10empty_typeEbEEZZNS1_14partition_implILS5_5ELb0ES3_mN6thrust23THRUST_200600_302600_NS6detail15normal_iteratorINSA_10device_ptrIyEEEEPS6_NSA_18transform_iteratorINSB_9not_fun_tINSA_8identityIyEEEESF_NSA_11use_defaultESM_EENS0_5tupleIJSF_S6_EEENSO_IJSG_SG_EEES6_PlJS6_EEE10hipError_tPvRmT3_T4_T5_T6_T7_T9_mT8_P12ihipStream_tbDpT10_ENKUlT_T0_E_clISt17integral_constantIbLb0EES1A_IbLb1EEEEDaS16_S17_EUlS16_E_NS1_11comp_targetILNS1_3genE4ELNS1_11target_archE910ELNS1_3gpuE8ELNS1_3repE0EEENS1_30default_config_static_selectorELNS0_4arch9wavefront6targetE0EEEvT1_, .Lfunc_end879-_ZN7rocprim17ROCPRIM_400000_NS6detail17trampoline_kernelINS0_14default_configENS1_25partition_config_selectorILNS1_17partition_subalgoE5EyNS0_10empty_typeEbEEZZNS1_14partition_implILS5_5ELb0ES3_mN6thrust23THRUST_200600_302600_NS6detail15normal_iteratorINSA_10device_ptrIyEEEEPS6_NSA_18transform_iteratorINSB_9not_fun_tINSA_8identityIyEEEESF_NSA_11use_defaultESM_EENS0_5tupleIJSF_S6_EEENSO_IJSG_SG_EEES6_PlJS6_EEE10hipError_tPvRmT3_T4_T5_T6_T7_T9_mT8_P12ihipStream_tbDpT10_ENKUlT_T0_E_clISt17integral_constantIbLb0EES1A_IbLb1EEEEDaS16_S17_EUlS16_E_NS1_11comp_targetILNS1_3genE4ELNS1_11target_archE910ELNS1_3gpuE8ELNS1_3repE0EEENS1_30default_config_static_selectorELNS0_4arch9wavefront6targetE0EEEvT1_
                                        ; -- End function
	.set _ZN7rocprim17ROCPRIM_400000_NS6detail17trampoline_kernelINS0_14default_configENS1_25partition_config_selectorILNS1_17partition_subalgoE5EyNS0_10empty_typeEbEEZZNS1_14partition_implILS5_5ELb0ES3_mN6thrust23THRUST_200600_302600_NS6detail15normal_iteratorINSA_10device_ptrIyEEEEPS6_NSA_18transform_iteratorINSB_9not_fun_tINSA_8identityIyEEEESF_NSA_11use_defaultESM_EENS0_5tupleIJSF_S6_EEENSO_IJSG_SG_EEES6_PlJS6_EEE10hipError_tPvRmT3_T4_T5_T6_T7_T9_mT8_P12ihipStream_tbDpT10_ENKUlT_T0_E_clISt17integral_constantIbLb0EES1A_IbLb1EEEEDaS16_S17_EUlS16_E_NS1_11comp_targetILNS1_3genE4ELNS1_11target_archE910ELNS1_3gpuE8ELNS1_3repE0EEENS1_30default_config_static_selectorELNS0_4arch9wavefront6targetE0EEEvT1_.num_vgpr, 0
	.set _ZN7rocprim17ROCPRIM_400000_NS6detail17trampoline_kernelINS0_14default_configENS1_25partition_config_selectorILNS1_17partition_subalgoE5EyNS0_10empty_typeEbEEZZNS1_14partition_implILS5_5ELb0ES3_mN6thrust23THRUST_200600_302600_NS6detail15normal_iteratorINSA_10device_ptrIyEEEEPS6_NSA_18transform_iteratorINSB_9not_fun_tINSA_8identityIyEEEESF_NSA_11use_defaultESM_EENS0_5tupleIJSF_S6_EEENSO_IJSG_SG_EEES6_PlJS6_EEE10hipError_tPvRmT3_T4_T5_T6_T7_T9_mT8_P12ihipStream_tbDpT10_ENKUlT_T0_E_clISt17integral_constantIbLb0EES1A_IbLb1EEEEDaS16_S17_EUlS16_E_NS1_11comp_targetILNS1_3genE4ELNS1_11target_archE910ELNS1_3gpuE8ELNS1_3repE0EEENS1_30default_config_static_selectorELNS0_4arch9wavefront6targetE0EEEvT1_.num_agpr, 0
	.set _ZN7rocprim17ROCPRIM_400000_NS6detail17trampoline_kernelINS0_14default_configENS1_25partition_config_selectorILNS1_17partition_subalgoE5EyNS0_10empty_typeEbEEZZNS1_14partition_implILS5_5ELb0ES3_mN6thrust23THRUST_200600_302600_NS6detail15normal_iteratorINSA_10device_ptrIyEEEEPS6_NSA_18transform_iteratorINSB_9not_fun_tINSA_8identityIyEEEESF_NSA_11use_defaultESM_EENS0_5tupleIJSF_S6_EEENSO_IJSG_SG_EEES6_PlJS6_EEE10hipError_tPvRmT3_T4_T5_T6_T7_T9_mT8_P12ihipStream_tbDpT10_ENKUlT_T0_E_clISt17integral_constantIbLb0EES1A_IbLb1EEEEDaS16_S17_EUlS16_E_NS1_11comp_targetILNS1_3genE4ELNS1_11target_archE910ELNS1_3gpuE8ELNS1_3repE0EEENS1_30default_config_static_selectorELNS0_4arch9wavefront6targetE0EEEvT1_.numbered_sgpr, 0
	.set _ZN7rocprim17ROCPRIM_400000_NS6detail17trampoline_kernelINS0_14default_configENS1_25partition_config_selectorILNS1_17partition_subalgoE5EyNS0_10empty_typeEbEEZZNS1_14partition_implILS5_5ELb0ES3_mN6thrust23THRUST_200600_302600_NS6detail15normal_iteratorINSA_10device_ptrIyEEEEPS6_NSA_18transform_iteratorINSB_9not_fun_tINSA_8identityIyEEEESF_NSA_11use_defaultESM_EENS0_5tupleIJSF_S6_EEENSO_IJSG_SG_EEES6_PlJS6_EEE10hipError_tPvRmT3_T4_T5_T6_T7_T9_mT8_P12ihipStream_tbDpT10_ENKUlT_T0_E_clISt17integral_constantIbLb0EES1A_IbLb1EEEEDaS16_S17_EUlS16_E_NS1_11comp_targetILNS1_3genE4ELNS1_11target_archE910ELNS1_3gpuE8ELNS1_3repE0EEENS1_30default_config_static_selectorELNS0_4arch9wavefront6targetE0EEEvT1_.num_named_barrier, 0
	.set _ZN7rocprim17ROCPRIM_400000_NS6detail17trampoline_kernelINS0_14default_configENS1_25partition_config_selectorILNS1_17partition_subalgoE5EyNS0_10empty_typeEbEEZZNS1_14partition_implILS5_5ELb0ES3_mN6thrust23THRUST_200600_302600_NS6detail15normal_iteratorINSA_10device_ptrIyEEEEPS6_NSA_18transform_iteratorINSB_9not_fun_tINSA_8identityIyEEEESF_NSA_11use_defaultESM_EENS0_5tupleIJSF_S6_EEENSO_IJSG_SG_EEES6_PlJS6_EEE10hipError_tPvRmT3_T4_T5_T6_T7_T9_mT8_P12ihipStream_tbDpT10_ENKUlT_T0_E_clISt17integral_constantIbLb0EES1A_IbLb1EEEEDaS16_S17_EUlS16_E_NS1_11comp_targetILNS1_3genE4ELNS1_11target_archE910ELNS1_3gpuE8ELNS1_3repE0EEENS1_30default_config_static_selectorELNS0_4arch9wavefront6targetE0EEEvT1_.private_seg_size, 0
	.set _ZN7rocprim17ROCPRIM_400000_NS6detail17trampoline_kernelINS0_14default_configENS1_25partition_config_selectorILNS1_17partition_subalgoE5EyNS0_10empty_typeEbEEZZNS1_14partition_implILS5_5ELb0ES3_mN6thrust23THRUST_200600_302600_NS6detail15normal_iteratorINSA_10device_ptrIyEEEEPS6_NSA_18transform_iteratorINSB_9not_fun_tINSA_8identityIyEEEESF_NSA_11use_defaultESM_EENS0_5tupleIJSF_S6_EEENSO_IJSG_SG_EEES6_PlJS6_EEE10hipError_tPvRmT3_T4_T5_T6_T7_T9_mT8_P12ihipStream_tbDpT10_ENKUlT_T0_E_clISt17integral_constantIbLb0EES1A_IbLb1EEEEDaS16_S17_EUlS16_E_NS1_11comp_targetILNS1_3genE4ELNS1_11target_archE910ELNS1_3gpuE8ELNS1_3repE0EEENS1_30default_config_static_selectorELNS0_4arch9wavefront6targetE0EEEvT1_.uses_vcc, 0
	.set _ZN7rocprim17ROCPRIM_400000_NS6detail17trampoline_kernelINS0_14default_configENS1_25partition_config_selectorILNS1_17partition_subalgoE5EyNS0_10empty_typeEbEEZZNS1_14partition_implILS5_5ELb0ES3_mN6thrust23THRUST_200600_302600_NS6detail15normal_iteratorINSA_10device_ptrIyEEEEPS6_NSA_18transform_iteratorINSB_9not_fun_tINSA_8identityIyEEEESF_NSA_11use_defaultESM_EENS0_5tupleIJSF_S6_EEENSO_IJSG_SG_EEES6_PlJS6_EEE10hipError_tPvRmT3_T4_T5_T6_T7_T9_mT8_P12ihipStream_tbDpT10_ENKUlT_T0_E_clISt17integral_constantIbLb0EES1A_IbLb1EEEEDaS16_S17_EUlS16_E_NS1_11comp_targetILNS1_3genE4ELNS1_11target_archE910ELNS1_3gpuE8ELNS1_3repE0EEENS1_30default_config_static_selectorELNS0_4arch9wavefront6targetE0EEEvT1_.uses_flat_scratch, 0
	.set _ZN7rocprim17ROCPRIM_400000_NS6detail17trampoline_kernelINS0_14default_configENS1_25partition_config_selectorILNS1_17partition_subalgoE5EyNS0_10empty_typeEbEEZZNS1_14partition_implILS5_5ELb0ES3_mN6thrust23THRUST_200600_302600_NS6detail15normal_iteratorINSA_10device_ptrIyEEEEPS6_NSA_18transform_iteratorINSB_9not_fun_tINSA_8identityIyEEEESF_NSA_11use_defaultESM_EENS0_5tupleIJSF_S6_EEENSO_IJSG_SG_EEES6_PlJS6_EEE10hipError_tPvRmT3_T4_T5_T6_T7_T9_mT8_P12ihipStream_tbDpT10_ENKUlT_T0_E_clISt17integral_constantIbLb0EES1A_IbLb1EEEEDaS16_S17_EUlS16_E_NS1_11comp_targetILNS1_3genE4ELNS1_11target_archE910ELNS1_3gpuE8ELNS1_3repE0EEENS1_30default_config_static_selectorELNS0_4arch9wavefront6targetE0EEEvT1_.has_dyn_sized_stack, 0
	.set _ZN7rocprim17ROCPRIM_400000_NS6detail17trampoline_kernelINS0_14default_configENS1_25partition_config_selectorILNS1_17partition_subalgoE5EyNS0_10empty_typeEbEEZZNS1_14partition_implILS5_5ELb0ES3_mN6thrust23THRUST_200600_302600_NS6detail15normal_iteratorINSA_10device_ptrIyEEEEPS6_NSA_18transform_iteratorINSB_9not_fun_tINSA_8identityIyEEEESF_NSA_11use_defaultESM_EENS0_5tupleIJSF_S6_EEENSO_IJSG_SG_EEES6_PlJS6_EEE10hipError_tPvRmT3_T4_T5_T6_T7_T9_mT8_P12ihipStream_tbDpT10_ENKUlT_T0_E_clISt17integral_constantIbLb0EES1A_IbLb1EEEEDaS16_S17_EUlS16_E_NS1_11comp_targetILNS1_3genE4ELNS1_11target_archE910ELNS1_3gpuE8ELNS1_3repE0EEENS1_30default_config_static_selectorELNS0_4arch9wavefront6targetE0EEEvT1_.has_recursion, 0
	.set _ZN7rocprim17ROCPRIM_400000_NS6detail17trampoline_kernelINS0_14default_configENS1_25partition_config_selectorILNS1_17partition_subalgoE5EyNS0_10empty_typeEbEEZZNS1_14partition_implILS5_5ELb0ES3_mN6thrust23THRUST_200600_302600_NS6detail15normal_iteratorINSA_10device_ptrIyEEEEPS6_NSA_18transform_iteratorINSB_9not_fun_tINSA_8identityIyEEEESF_NSA_11use_defaultESM_EENS0_5tupleIJSF_S6_EEENSO_IJSG_SG_EEES6_PlJS6_EEE10hipError_tPvRmT3_T4_T5_T6_T7_T9_mT8_P12ihipStream_tbDpT10_ENKUlT_T0_E_clISt17integral_constantIbLb0EES1A_IbLb1EEEEDaS16_S17_EUlS16_E_NS1_11comp_targetILNS1_3genE4ELNS1_11target_archE910ELNS1_3gpuE8ELNS1_3repE0EEENS1_30default_config_static_selectorELNS0_4arch9wavefront6targetE0EEEvT1_.has_indirect_call, 0
	.section	.AMDGPU.csdata,"",@progbits
; Kernel info:
; codeLenInByte = 0
; TotalNumSgprs: 0
; NumVgprs: 0
; ScratchSize: 0
; MemoryBound: 0
; FloatMode: 240
; IeeeMode: 1
; LDSByteSize: 0 bytes/workgroup (compile time only)
; SGPRBlocks: 0
; VGPRBlocks: 0
; NumSGPRsForWavesPerEU: 1
; NumVGPRsForWavesPerEU: 1
; Occupancy: 16
; WaveLimiterHint : 0
; COMPUTE_PGM_RSRC2:SCRATCH_EN: 0
; COMPUTE_PGM_RSRC2:USER_SGPR: 2
; COMPUTE_PGM_RSRC2:TRAP_HANDLER: 0
; COMPUTE_PGM_RSRC2:TGID_X_EN: 1
; COMPUTE_PGM_RSRC2:TGID_Y_EN: 0
; COMPUTE_PGM_RSRC2:TGID_Z_EN: 0
; COMPUTE_PGM_RSRC2:TIDIG_COMP_CNT: 0
	.section	.text._ZN7rocprim17ROCPRIM_400000_NS6detail17trampoline_kernelINS0_14default_configENS1_25partition_config_selectorILNS1_17partition_subalgoE5EyNS0_10empty_typeEbEEZZNS1_14partition_implILS5_5ELb0ES3_mN6thrust23THRUST_200600_302600_NS6detail15normal_iteratorINSA_10device_ptrIyEEEEPS6_NSA_18transform_iteratorINSB_9not_fun_tINSA_8identityIyEEEESF_NSA_11use_defaultESM_EENS0_5tupleIJSF_S6_EEENSO_IJSG_SG_EEES6_PlJS6_EEE10hipError_tPvRmT3_T4_T5_T6_T7_T9_mT8_P12ihipStream_tbDpT10_ENKUlT_T0_E_clISt17integral_constantIbLb0EES1A_IbLb1EEEEDaS16_S17_EUlS16_E_NS1_11comp_targetILNS1_3genE3ELNS1_11target_archE908ELNS1_3gpuE7ELNS1_3repE0EEENS1_30default_config_static_selectorELNS0_4arch9wavefront6targetE0EEEvT1_,"axG",@progbits,_ZN7rocprim17ROCPRIM_400000_NS6detail17trampoline_kernelINS0_14default_configENS1_25partition_config_selectorILNS1_17partition_subalgoE5EyNS0_10empty_typeEbEEZZNS1_14partition_implILS5_5ELb0ES3_mN6thrust23THRUST_200600_302600_NS6detail15normal_iteratorINSA_10device_ptrIyEEEEPS6_NSA_18transform_iteratorINSB_9not_fun_tINSA_8identityIyEEEESF_NSA_11use_defaultESM_EENS0_5tupleIJSF_S6_EEENSO_IJSG_SG_EEES6_PlJS6_EEE10hipError_tPvRmT3_T4_T5_T6_T7_T9_mT8_P12ihipStream_tbDpT10_ENKUlT_T0_E_clISt17integral_constantIbLb0EES1A_IbLb1EEEEDaS16_S17_EUlS16_E_NS1_11comp_targetILNS1_3genE3ELNS1_11target_archE908ELNS1_3gpuE7ELNS1_3repE0EEENS1_30default_config_static_selectorELNS0_4arch9wavefront6targetE0EEEvT1_,comdat
	.protected	_ZN7rocprim17ROCPRIM_400000_NS6detail17trampoline_kernelINS0_14default_configENS1_25partition_config_selectorILNS1_17partition_subalgoE5EyNS0_10empty_typeEbEEZZNS1_14partition_implILS5_5ELb0ES3_mN6thrust23THRUST_200600_302600_NS6detail15normal_iteratorINSA_10device_ptrIyEEEEPS6_NSA_18transform_iteratorINSB_9not_fun_tINSA_8identityIyEEEESF_NSA_11use_defaultESM_EENS0_5tupleIJSF_S6_EEENSO_IJSG_SG_EEES6_PlJS6_EEE10hipError_tPvRmT3_T4_T5_T6_T7_T9_mT8_P12ihipStream_tbDpT10_ENKUlT_T0_E_clISt17integral_constantIbLb0EES1A_IbLb1EEEEDaS16_S17_EUlS16_E_NS1_11comp_targetILNS1_3genE3ELNS1_11target_archE908ELNS1_3gpuE7ELNS1_3repE0EEENS1_30default_config_static_selectorELNS0_4arch9wavefront6targetE0EEEvT1_ ; -- Begin function _ZN7rocprim17ROCPRIM_400000_NS6detail17trampoline_kernelINS0_14default_configENS1_25partition_config_selectorILNS1_17partition_subalgoE5EyNS0_10empty_typeEbEEZZNS1_14partition_implILS5_5ELb0ES3_mN6thrust23THRUST_200600_302600_NS6detail15normal_iteratorINSA_10device_ptrIyEEEEPS6_NSA_18transform_iteratorINSB_9not_fun_tINSA_8identityIyEEEESF_NSA_11use_defaultESM_EENS0_5tupleIJSF_S6_EEENSO_IJSG_SG_EEES6_PlJS6_EEE10hipError_tPvRmT3_T4_T5_T6_T7_T9_mT8_P12ihipStream_tbDpT10_ENKUlT_T0_E_clISt17integral_constantIbLb0EES1A_IbLb1EEEEDaS16_S17_EUlS16_E_NS1_11comp_targetILNS1_3genE3ELNS1_11target_archE908ELNS1_3gpuE7ELNS1_3repE0EEENS1_30default_config_static_selectorELNS0_4arch9wavefront6targetE0EEEvT1_
	.globl	_ZN7rocprim17ROCPRIM_400000_NS6detail17trampoline_kernelINS0_14default_configENS1_25partition_config_selectorILNS1_17partition_subalgoE5EyNS0_10empty_typeEbEEZZNS1_14partition_implILS5_5ELb0ES3_mN6thrust23THRUST_200600_302600_NS6detail15normal_iteratorINSA_10device_ptrIyEEEEPS6_NSA_18transform_iteratorINSB_9not_fun_tINSA_8identityIyEEEESF_NSA_11use_defaultESM_EENS0_5tupleIJSF_S6_EEENSO_IJSG_SG_EEES6_PlJS6_EEE10hipError_tPvRmT3_T4_T5_T6_T7_T9_mT8_P12ihipStream_tbDpT10_ENKUlT_T0_E_clISt17integral_constantIbLb0EES1A_IbLb1EEEEDaS16_S17_EUlS16_E_NS1_11comp_targetILNS1_3genE3ELNS1_11target_archE908ELNS1_3gpuE7ELNS1_3repE0EEENS1_30default_config_static_selectorELNS0_4arch9wavefront6targetE0EEEvT1_
	.p2align	8
	.type	_ZN7rocprim17ROCPRIM_400000_NS6detail17trampoline_kernelINS0_14default_configENS1_25partition_config_selectorILNS1_17partition_subalgoE5EyNS0_10empty_typeEbEEZZNS1_14partition_implILS5_5ELb0ES3_mN6thrust23THRUST_200600_302600_NS6detail15normal_iteratorINSA_10device_ptrIyEEEEPS6_NSA_18transform_iteratorINSB_9not_fun_tINSA_8identityIyEEEESF_NSA_11use_defaultESM_EENS0_5tupleIJSF_S6_EEENSO_IJSG_SG_EEES6_PlJS6_EEE10hipError_tPvRmT3_T4_T5_T6_T7_T9_mT8_P12ihipStream_tbDpT10_ENKUlT_T0_E_clISt17integral_constantIbLb0EES1A_IbLb1EEEEDaS16_S17_EUlS16_E_NS1_11comp_targetILNS1_3genE3ELNS1_11target_archE908ELNS1_3gpuE7ELNS1_3repE0EEENS1_30default_config_static_selectorELNS0_4arch9wavefront6targetE0EEEvT1_,@function
_ZN7rocprim17ROCPRIM_400000_NS6detail17trampoline_kernelINS0_14default_configENS1_25partition_config_selectorILNS1_17partition_subalgoE5EyNS0_10empty_typeEbEEZZNS1_14partition_implILS5_5ELb0ES3_mN6thrust23THRUST_200600_302600_NS6detail15normal_iteratorINSA_10device_ptrIyEEEEPS6_NSA_18transform_iteratorINSB_9not_fun_tINSA_8identityIyEEEESF_NSA_11use_defaultESM_EENS0_5tupleIJSF_S6_EEENSO_IJSG_SG_EEES6_PlJS6_EEE10hipError_tPvRmT3_T4_T5_T6_T7_T9_mT8_P12ihipStream_tbDpT10_ENKUlT_T0_E_clISt17integral_constantIbLb0EES1A_IbLb1EEEEDaS16_S17_EUlS16_E_NS1_11comp_targetILNS1_3genE3ELNS1_11target_archE908ELNS1_3gpuE7ELNS1_3repE0EEENS1_30default_config_static_selectorELNS0_4arch9wavefront6targetE0EEEvT1_: ; @_ZN7rocprim17ROCPRIM_400000_NS6detail17trampoline_kernelINS0_14default_configENS1_25partition_config_selectorILNS1_17partition_subalgoE5EyNS0_10empty_typeEbEEZZNS1_14partition_implILS5_5ELb0ES3_mN6thrust23THRUST_200600_302600_NS6detail15normal_iteratorINSA_10device_ptrIyEEEEPS6_NSA_18transform_iteratorINSB_9not_fun_tINSA_8identityIyEEEESF_NSA_11use_defaultESM_EENS0_5tupleIJSF_S6_EEENSO_IJSG_SG_EEES6_PlJS6_EEE10hipError_tPvRmT3_T4_T5_T6_T7_T9_mT8_P12ihipStream_tbDpT10_ENKUlT_T0_E_clISt17integral_constantIbLb0EES1A_IbLb1EEEEDaS16_S17_EUlS16_E_NS1_11comp_targetILNS1_3genE3ELNS1_11target_archE908ELNS1_3gpuE7ELNS1_3repE0EEENS1_30default_config_static_selectorELNS0_4arch9wavefront6targetE0EEEvT1_
; %bb.0:
	.section	.rodata,"a",@progbits
	.p2align	6, 0x0
	.amdhsa_kernel _ZN7rocprim17ROCPRIM_400000_NS6detail17trampoline_kernelINS0_14default_configENS1_25partition_config_selectorILNS1_17partition_subalgoE5EyNS0_10empty_typeEbEEZZNS1_14partition_implILS5_5ELb0ES3_mN6thrust23THRUST_200600_302600_NS6detail15normal_iteratorINSA_10device_ptrIyEEEEPS6_NSA_18transform_iteratorINSB_9not_fun_tINSA_8identityIyEEEESF_NSA_11use_defaultESM_EENS0_5tupleIJSF_S6_EEENSO_IJSG_SG_EEES6_PlJS6_EEE10hipError_tPvRmT3_T4_T5_T6_T7_T9_mT8_P12ihipStream_tbDpT10_ENKUlT_T0_E_clISt17integral_constantIbLb0EES1A_IbLb1EEEEDaS16_S17_EUlS16_E_NS1_11comp_targetILNS1_3genE3ELNS1_11target_archE908ELNS1_3gpuE7ELNS1_3repE0EEENS1_30default_config_static_selectorELNS0_4arch9wavefront6targetE0EEEvT1_
		.amdhsa_group_segment_fixed_size 0
		.amdhsa_private_segment_fixed_size 0
		.amdhsa_kernarg_size 136
		.amdhsa_user_sgpr_count 2
		.amdhsa_user_sgpr_dispatch_ptr 0
		.amdhsa_user_sgpr_queue_ptr 0
		.amdhsa_user_sgpr_kernarg_segment_ptr 1
		.amdhsa_user_sgpr_dispatch_id 0
		.amdhsa_user_sgpr_private_segment_size 0
		.amdhsa_wavefront_size32 1
		.amdhsa_uses_dynamic_stack 0
		.amdhsa_enable_private_segment 0
		.amdhsa_system_sgpr_workgroup_id_x 1
		.amdhsa_system_sgpr_workgroup_id_y 0
		.amdhsa_system_sgpr_workgroup_id_z 0
		.amdhsa_system_sgpr_workgroup_info 0
		.amdhsa_system_vgpr_workitem_id 0
		.amdhsa_next_free_vgpr 1
		.amdhsa_next_free_sgpr 1
		.amdhsa_reserve_vcc 0
		.amdhsa_float_round_mode_32 0
		.amdhsa_float_round_mode_16_64 0
		.amdhsa_float_denorm_mode_32 3
		.amdhsa_float_denorm_mode_16_64 3
		.amdhsa_fp16_overflow 0
		.amdhsa_workgroup_processor_mode 1
		.amdhsa_memory_ordered 1
		.amdhsa_forward_progress 1
		.amdhsa_inst_pref_size 0
		.amdhsa_round_robin_scheduling 0
		.amdhsa_exception_fp_ieee_invalid_op 0
		.amdhsa_exception_fp_denorm_src 0
		.amdhsa_exception_fp_ieee_div_zero 0
		.amdhsa_exception_fp_ieee_overflow 0
		.amdhsa_exception_fp_ieee_underflow 0
		.amdhsa_exception_fp_ieee_inexact 0
		.amdhsa_exception_int_div_zero 0
	.end_amdhsa_kernel
	.section	.text._ZN7rocprim17ROCPRIM_400000_NS6detail17trampoline_kernelINS0_14default_configENS1_25partition_config_selectorILNS1_17partition_subalgoE5EyNS0_10empty_typeEbEEZZNS1_14partition_implILS5_5ELb0ES3_mN6thrust23THRUST_200600_302600_NS6detail15normal_iteratorINSA_10device_ptrIyEEEEPS6_NSA_18transform_iteratorINSB_9not_fun_tINSA_8identityIyEEEESF_NSA_11use_defaultESM_EENS0_5tupleIJSF_S6_EEENSO_IJSG_SG_EEES6_PlJS6_EEE10hipError_tPvRmT3_T4_T5_T6_T7_T9_mT8_P12ihipStream_tbDpT10_ENKUlT_T0_E_clISt17integral_constantIbLb0EES1A_IbLb1EEEEDaS16_S17_EUlS16_E_NS1_11comp_targetILNS1_3genE3ELNS1_11target_archE908ELNS1_3gpuE7ELNS1_3repE0EEENS1_30default_config_static_selectorELNS0_4arch9wavefront6targetE0EEEvT1_,"axG",@progbits,_ZN7rocprim17ROCPRIM_400000_NS6detail17trampoline_kernelINS0_14default_configENS1_25partition_config_selectorILNS1_17partition_subalgoE5EyNS0_10empty_typeEbEEZZNS1_14partition_implILS5_5ELb0ES3_mN6thrust23THRUST_200600_302600_NS6detail15normal_iteratorINSA_10device_ptrIyEEEEPS6_NSA_18transform_iteratorINSB_9not_fun_tINSA_8identityIyEEEESF_NSA_11use_defaultESM_EENS0_5tupleIJSF_S6_EEENSO_IJSG_SG_EEES6_PlJS6_EEE10hipError_tPvRmT3_T4_T5_T6_T7_T9_mT8_P12ihipStream_tbDpT10_ENKUlT_T0_E_clISt17integral_constantIbLb0EES1A_IbLb1EEEEDaS16_S17_EUlS16_E_NS1_11comp_targetILNS1_3genE3ELNS1_11target_archE908ELNS1_3gpuE7ELNS1_3repE0EEENS1_30default_config_static_selectorELNS0_4arch9wavefront6targetE0EEEvT1_,comdat
.Lfunc_end880:
	.size	_ZN7rocprim17ROCPRIM_400000_NS6detail17trampoline_kernelINS0_14default_configENS1_25partition_config_selectorILNS1_17partition_subalgoE5EyNS0_10empty_typeEbEEZZNS1_14partition_implILS5_5ELb0ES3_mN6thrust23THRUST_200600_302600_NS6detail15normal_iteratorINSA_10device_ptrIyEEEEPS6_NSA_18transform_iteratorINSB_9not_fun_tINSA_8identityIyEEEESF_NSA_11use_defaultESM_EENS0_5tupleIJSF_S6_EEENSO_IJSG_SG_EEES6_PlJS6_EEE10hipError_tPvRmT3_T4_T5_T6_T7_T9_mT8_P12ihipStream_tbDpT10_ENKUlT_T0_E_clISt17integral_constantIbLb0EES1A_IbLb1EEEEDaS16_S17_EUlS16_E_NS1_11comp_targetILNS1_3genE3ELNS1_11target_archE908ELNS1_3gpuE7ELNS1_3repE0EEENS1_30default_config_static_selectorELNS0_4arch9wavefront6targetE0EEEvT1_, .Lfunc_end880-_ZN7rocprim17ROCPRIM_400000_NS6detail17trampoline_kernelINS0_14default_configENS1_25partition_config_selectorILNS1_17partition_subalgoE5EyNS0_10empty_typeEbEEZZNS1_14partition_implILS5_5ELb0ES3_mN6thrust23THRUST_200600_302600_NS6detail15normal_iteratorINSA_10device_ptrIyEEEEPS6_NSA_18transform_iteratorINSB_9not_fun_tINSA_8identityIyEEEESF_NSA_11use_defaultESM_EENS0_5tupleIJSF_S6_EEENSO_IJSG_SG_EEES6_PlJS6_EEE10hipError_tPvRmT3_T4_T5_T6_T7_T9_mT8_P12ihipStream_tbDpT10_ENKUlT_T0_E_clISt17integral_constantIbLb0EES1A_IbLb1EEEEDaS16_S17_EUlS16_E_NS1_11comp_targetILNS1_3genE3ELNS1_11target_archE908ELNS1_3gpuE7ELNS1_3repE0EEENS1_30default_config_static_selectorELNS0_4arch9wavefront6targetE0EEEvT1_
                                        ; -- End function
	.set _ZN7rocprim17ROCPRIM_400000_NS6detail17trampoline_kernelINS0_14default_configENS1_25partition_config_selectorILNS1_17partition_subalgoE5EyNS0_10empty_typeEbEEZZNS1_14partition_implILS5_5ELb0ES3_mN6thrust23THRUST_200600_302600_NS6detail15normal_iteratorINSA_10device_ptrIyEEEEPS6_NSA_18transform_iteratorINSB_9not_fun_tINSA_8identityIyEEEESF_NSA_11use_defaultESM_EENS0_5tupleIJSF_S6_EEENSO_IJSG_SG_EEES6_PlJS6_EEE10hipError_tPvRmT3_T4_T5_T6_T7_T9_mT8_P12ihipStream_tbDpT10_ENKUlT_T0_E_clISt17integral_constantIbLb0EES1A_IbLb1EEEEDaS16_S17_EUlS16_E_NS1_11comp_targetILNS1_3genE3ELNS1_11target_archE908ELNS1_3gpuE7ELNS1_3repE0EEENS1_30default_config_static_selectorELNS0_4arch9wavefront6targetE0EEEvT1_.num_vgpr, 0
	.set _ZN7rocprim17ROCPRIM_400000_NS6detail17trampoline_kernelINS0_14default_configENS1_25partition_config_selectorILNS1_17partition_subalgoE5EyNS0_10empty_typeEbEEZZNS1_14partition_implILS5_5ELb0ES3_mN6thrust23THRUST_200600_302600_NS6detail15normal_iteratorINSA_10device_ptrIyEEEEPS6_NSA_18transform_iteratorINSB_9not_fun_tINSA_8identityIyEEEESF_NSA_11use_defaultESM_EENS0_5tupleIJSF_S6_EEENSO_IJSG_SG_EEES6_PlJS6_EEE10hipError_tPvRmT3_T4_T5_T6_T7_T9_mT8_P12ihipStream_tbDpT10_ENKUlT_T0_E_clISt17integral_constantIbLb0EES1A_IbLb1EEEEDaS16_S17_EUlS16_E_NS1_11comp_targetILNS1_3genE3ELNS1_11target_archE908ELNS1_3gpuE7ELNS1_3repE0EEENS1_30default_config_static_selectorELNS0_4arch9wavefront6targetE0EEEvT1_.num_agpr, 0
	.set _ZN7rocprim17ROCPRIM_400000_NS6detail17trampoline_kernelINS0_14default_configENS1_25partition_config_selectorILNS1_17partition_subalgoE5EyNS0_10empty_typeEbEEZZNS1_14partition_implILS5_5ELb0ES3_mN6thrust23THRUST_200600_302600_NS6detail15normal_iteratorINSA_10device_ptrIyEEEEPS6_NSA_18transform_iteratorINSB_9not_fun_tINSA_8identityIyEEEESF_NSA_11use_defaultESM_EENS0_5tupleIJSF_S6_EEENSO_IJSG_SG_EEES6_PlJS6_EEE10hipError_tPvRmT3_T4_T5_T6_T7_T9_mT8_P12ihipStream_tbDpT10_ENKUlT_T0_E_clISt17integral_constantIbLb0EES1A_IbLb1EEEEDaS16_S17_EUlS16_E_NS1_11comp_targetILNS1_3genE3ELNS1_11target_archE908ELNS1_3gpuE7ELNS1_3repE0EEENS1_30default_config_static_selectorELNS0_4arch9wavefront6targetE0EEEvT1_.numbered_sgpr, 0
	.set _ZN7rocprim17ROCPRIM_400000_NS6detail17trampoline_kernelINS0_14default_configENS1_25partition_config_selectorILNS1_17partition_subalgoE5EyNS0_10empty_typeEbEEZZNS1_14partition_implILS5_5ELb0ES3_mN6thrust23THRUST_200600_302600_NS6detail15normal_iteratorINSA_10device_ptrIyEEEEPS6_NSA_18transform_iteratorINSB_9not_fun_tINSA_8identityIyEEEESF_NSA_11use_defaultESM_EENS0_5tupleIJSF_S6_EEENSO_IJSG_SG_EEES6_PlJS6_EEE10hipError_tPvRmT3_T4_T5_T6_T7_T9_mT8_P12ihipStream_tbDpT10_ENKUlT_T0_E_clISt17integral_constantIbLb0EES1A_IbLb1EEEEDaS16_S17_EUlS16_E_NS1_11comp_targetILNS1_3genE3ELNS1_11target_archE908ELNS1_3gpuE7ELNS1_3repE0EEENS1_30default_config_static_selectorELNS0_4arch9wavefront6targetE0EEEvT1_.num_named_barrier, 0
	.set _ZN7rocprim17ROCPRIM_400000_NS6detail17trampoline_kernelINS0_14default_configENS1_25partition_config_selectorILNS1_17partition_subalgoE5EyNS0_10empty_typeEbEEZZNS1_14partition_implILS5_5ELb0ES3_mN6thrust23THRUST_200600_302600_NS6detail15normal_iteratorINSA_10device_ptrIyEEEEPS6_NSA_18transform_iteratorINSB_9not_fun_tINSA_8identityIyEEEESF_NSA_11use_defaultESM_EENS0_5tupleIJSF_S6_EEENSO_IJSG_SG_EEES6_PlJS6_EEE10hipError_tPvRmT3_T4_T5_T6_T7_T9_mT8_P12ihipStream_tbDpT10_ENKUlT_T0_E_clISt17integral_constantIbLb0EES1A_IbLb1EEEEDaS16_S17_EUlS16_E_NS1_11comp_targetILNS1_3genE3ELNS1_11target_archE908ELNS1_3gpuE7ELNS1_3repE0EEENS1_30default_config_static_selectorELNS0_4arch9wavefront6targetE0EEEvT1_.private_seg_size, 0
	.set _ZN7rocprim17ROCPRIM_400000_NS6detail17trampoline_kernelINS0_14default_configENS1_25partition_config_selectorILNS1_17partition_subalgoE5EyNS0_10empty_typeEbEEZZNS1_14partition_implILS5_5ELb0ES3_mN6thrust23THRUST_200600_302600_NS6detail15normal_iteratorINSA_10device_ptrIyEEEEPS6_NSA_18transform_iteratorINSB_9not_fun_tINSA_8identityIyEEEESF_NSA_11use_defaultESM_EENS0_5tupleIJSF_S6_EEENSO_IJSG_SG_EEES6_PlJS6_EEE10hipError_tPvRmT3_T4_T5_T6_T7_T9_mT8_P12ihipStream_tbDpT10_ENKUlT_T0_E_clISt17integral_constantIbLb0EES1A_IbLb1EEEEDaS16_S17_EUlS16_E_NS1_11comp_targetILNS1_3genE3ELNS1_11target_archE908ELNS1_3gpuE7ELNS1_3repE0EEENS1_30default_config_static_selectorELNS0_4arch9wavefront6targetE0EEEvT1_.uses_vcc, 0
	.set _ZN7rocprim17ROCPRIM_400000_NS6detail17trampoline_kernelINS0_14default_configENS1_25partition_config_selectorILNS1_17partition_subalgoE5EyNS0_10empty_typeEbEEZZNS1_14partition_implILS5_5ELb0ES3_mN6thrust23THRUST_200600_302600_NS6detail15normal_iteratorINSA_10device_ptrIyEEEEPS6_NSA_18transform_iteratorINSB_9not_fun_tINSA_8identityIyEEEESF_NSA_11use_defaultESM_EENS0_5tupleIJSF_S6_EEENSO_IJSG_SG_EEES6_PlJS6_EEE10hipError_tPvRmT3_T4_T5_T6_T7_T9_mT8_P12ihipStream_tbDpT10_ENKUlT_T0_E_clISt17integral_constantIbLb0EES1A_IbLb1EEEEDaS16_S17_EUlS16_E_NS1_11comp_targetILNS1_3genE3ELNS1_11target_archE908ELNS1_3gpuE7ELNS1_3repE0EEENS1_30default_config_static_selectorELNS0_4arch9wavefront6targetE0EEEvT1_.uses_flat_scratch, 0
	.set _ZN7rocprim17ROCPRIM_400000_NS6detail17trampoline_kernelINS0_14default_configENS1_25partition_config_selectorILNS1_17partition_subalgoE5EyNS0_10empty_typeEbEEZZNS1_14partition_implILS5_5ELb0ES3_mN6thrust23THRUST_200600_302600_NS6detail15normal_iteratorINSA_10device_ptrIyEEEEPS6_NSA_18transform_iteratorINSB_9not_fun_tINSA_8identityIyEEEESF_NSA_11use_defaultESM_EENS0_5tupleIJSF_S6_EEENSO_IJSG_SG_EEES6_PlJS6_EEE10hipError_tPvRmT3_T4_T5_T6_T7_T9_mT8_P12ihipStream_tbDpT10_ENKUlT_T0_E_clISt17integral_constantIbLb0EES1A_IbLb1EEEEDaS16_S17_EUlS16_E_NS1_11comp_targetILNS1_3genE3ELNS1_11target_archE908ELNS1_3gpuE7ELNS1_3repE0EEENS1_30default_config_static_selectorELNS0_4arch9wavefront6targetE0EEEvT1_.has_dyn_sized_stack, 0
	.set _ZN7rocprim17ROCPRIM_400000_NS6detail17trampoline_kernelINS0_14default_configENS1_25partition_config_selectorILNS1_17partition_subalgoE5EyNS0_10empty_typeEbEEZZNS1_14partition_implILS5_5ELb0ES3_mN6thrust23THRUST_200600_302600_NS6detail15normal_iteratorINSA_10device_ptrIyEEEEPS6_NSA_18transform_iteratorINSB_9not_fun_tINSA_8identityIyEEEESF_NSA_11use_defaultESM_EENS0_5tupleIJSF_S6_EEENSO_IJSG_SG_EEES6_PlJS6_EEE10hipError_tPvRmT3_T4_T5_T6_T7_T9_mT8_P12ihipStream_tbDpT10_ENKUlT_T0_E_clISt17integral_constantIbLb0EES1A_IbLb1EEEEDaS16_S17_EUlS16_E_NS1_11comp_targetILNS1_3genE3ELNS1_11target_archE908ELNS1_3gpuE7ELNS1_3repE0EEENS1_30default_config_static_selectorELNS0_4arch9wavefront6targetE0EEEvT1_.has_recursion, 0
	.set _ZN7rocprim17ROCPRIM_400000_NS6detail17trampoline_kernelINS0_14default_configENS1_25partition_config_selectorILNS1_17partition_subalgoE5EyNS0_10empty_typeEbEEZZNS1_14partition_implILS5_5ELb0ES3_mN6thrust23THRUST_200600_302600_NS6detail15normal_iteratorINSA_10device_ptrIyEEEEPS6_NSA_18transform_iteratorINSB_9not_fun_tINSA_8identityIyEEEESF_NSA_11use_defaultESM_EENS0_5tupleIJSF_S6_EEENSO_IJSG_SG_EEES6_PlJS6_EEE10hipError_tPvRmT3_T4_T5_T6_T7_T9_mT8_P12ihipStream_tbDpT10_ENKUlT_T0_E_clISt17integral_constantIbLb0EES1A_IbLb1EEEEDaS16_S17_EUlS16_E_NS1_11comp_targetILNS1_3genE3ELNS1_11target_archE908ELNS1_3gpuE7ELNS1_3repE0EEENS1_30default_config_static_selectorELNS0_4arch9wavefront6targetE0EEEvT1_.has_indirect_call, 0
	.section	.AMDGPU.csdata,"",@progbits
; Kernel info:
; codeLenInByte = 0
; TotalNumSgprs: 0
; NumVgprs: 0
; ScratchSize: 0
; MemoryBound: 0
; FloatMode: 240
; IeeeMode: 1
; LDSByteSize: 0 bytes/workgroup (compile time only)
; SGPRBlocks: 0
; VGPRBlocks: 0
; NumSGPRsForWavesPerEU: 1
; NumVGPRsForWavesPerEU: 1
; Occupancy: 16
; WaveLimiterHint : 0
; COMPUTE_PGM_RSRC2:SCRATCH_EN: 0
; COMPUTE_PGM_RSRC2:USER_SGPR: 2
; COMPUTE_PGM_RSRC2:TRAP_HANDLER: 0
; COMPUTE_PGM_RSRC2:TGID_X_EN: 1
; COMPUTE_PGM_RSRC2:TGID_Y_EN: 0
; COMPUTE_PGM_RSRC2:TGID_Z_EN: 0
; COMPUTE_PGM_RSRC2:TIDIG_COMP_CNT: 0
	.section	.text._ZN7rocprim17ROCPRIM_400000_NS6detail17trampoline_kernelINS0_14default_configENS1_25partition_config_selectorILNS1_17partition_subalgoE5EyNS0_10empty_typeEbEEZZNS1_14partition_implILS5_5ELb0ES3_mN6thrust23THRUST_200600_302600_NS6detail15normal_iteratorINSA_10device_ptrIyEEEEPS6_NSA_18transform_iteratorINSB_9not_fun_tINSA_8identityIyEEEESF_NSA_11use_defaultESM_EENS0_5tupleIJSF_S6_EEENSO_IJSG_SG_EEES6_PlJS6_EEE10hipError_tPvRmT3_T4_T5_T6_T7_T9_mT8_P12ihipStream_tbDpT10_ENKUlT_T0_E_clISt17integral_constantIbLb0EES1A_IbLb1EEEEDaS16_S17_EUlS16_E_NS1_11comp_targetILNS1_3genE2ELNS1_11target_archE906ELNS1_3gpuE6ELNS1_3repE0EEENS1_30default_config_static_selectorELNS0_4arch9wavefront6targetE0EEEvT1_,"axG",@progbits,_ZN7rocprim17ROCPRIM_400000_NS6detail17trampoline_kernelINS0_14default_configENS1_25partition_config_selectorILNS1_17partition_subalgoE5EyNS0_10empty_typeEbEEZZNS1_14partition_implILS5_5ELb0ES3_mN6thrust23THRUST_200600_302600_NS6detail15normal_iteratorINSA_10device_ptrIyEEEEPS6_NSA_18transform_iteratorINSB_9not_fun_tINSA_8identityIyEEEESF_NSA_11use_defaultESM_EENS0_5tupleIJSF_S6_EEENSO_IJSG_SG_EEES6_PlJS6_EEE10hipError_tPvRmT3_T4_T5_T6_T7_T9_mT8_P12ihipStream_tbDpT10_ENKUlT_T0_E_clISt17integral_constantIbLb0EES1A_IbLb1EEEEDaS16_S17_EUlS16_E_NS1_11comp_targetILNS1_3genE2ELNS1_11target_archE906ELNS1_3gpuE6ELNS1_3repE0EEENS1_30default_config_static_selectorELNS0_4arch9wavefront6targetE0EEEvT1_,comdat
	.protected	_ZN7rocprim17ROCPRIM_400000_NS6detail17trampoline_kernelINS0_14default_configENS1_25partition_config_selectorILNS1_17partition_subalgoE5EyNS0_10empty_typeEbEEZZNS1_14partition_implILS5_5ELb0ES3_mN6thrust23THRUST_200600_302600_NS6detail15normal_iteratorINSA_10device_ptrIyEEEEPS6_NSA_18transform_iteratorINSB_9not_fun_tINSA_8identityIyEEEESF_NSA_11use_defaultESM_EENS0_5tupleIJSF_S6_EEENSO_IJSG_SG_EEES6_PlJS6_EEE10hipError_tPvRmT3_T4_T5_T6_T7_T9_mT8_P12ihipStream_tbDpT10_ENKUlT_T0_E_clISt17integral_constantIbLb0EES1A_IbLb1EEEEDaS16_S17_EUlS16_E_NS1_11comp_targetILNS1_3genE2ELNS1_11target_archE906ELNS1_3gpuE6ELNS1_3repE0EEENS1_30default_config_static_selectorELNS0_4arch9wavefront6targetE0EEEvT1_ ; -- Begin function _ZN7rocprim17ROCPRIM_400000_NS6detail17trampoline_kernelINS0_14default_configENS1_25partition_config_selectorILNS1_17partition_subalgoE5EyNS0_10empty_typeEbEEZZNS1_14partition_implILS5_5ELb0ES3_mN6thrust23THRUST_200600_302600_NS6detail15normal_iteratorINSA_10device_ptrIyEEEEPS6_NSA_18transform_iteratorINSB_9not_fun_tINSA_8identityIyEEEESF_NSA_11use_defaultESM_EENS0_5tupleIJSF_S6_EEENSO_IJSG_SG_EEES6_PlJS6_EEE10hipError_tPvRmT3_T4_T5_T6_T7_T9_mT8_P12ihipStream_tbDpT10_ENKUlT_T0_E_clISt17integral_constantIbLb0EES1A_IbLb1EEEEDaS16_S17_EUlS16_E_NS1_11comp_targetILNS1_3genE2ELNS1_11target_archE906ELNS1_3gpuE6ELNS1_3repE0EEENS1_30default_config_static_selectorELNS0_4arch9wavefront6targetE0EEEvT1_
	.globl	_ZN7rocprim17ROCPRIM_400000_NS6detail17trampoline_kernelINS0_14default_configENS1_25partition_config_selectorILNS1_17partition_subalgoE5EyNS0_10empty_typeEbEEZZNS1_14partition_implILS5_5ELb0ES3_mN6thrust23THRUST_200600_302600_NS6detail15normal_iteratorINSA_10device_ptrIyEEEEPS6_NSA_18transform_iteratorINSB_9not_fun_tINSA_8identityIyEEEESF_NSA_11use_defaultESM_EENS0_5tupleIJSF_S6_EEENSO_IJSG_SG_EEES6_PlJS6_EEE10hipError_tPvRmT3_T4_T5_T6_T7_T9_mT8_P12ihipStream_tbDpT10_ENKUlT_T0_E_clISt17integral_constantIbLb0EES1A_IbLb1EEEEDaS16_S17_EUlS16_E_NS1_11comp_targetILNS1_3genE2ELNS1_11target_archE906ELNS1_3gpuE6ELNS1_3repE0EEENS1_30default_config_static_selectorELNS0_4arch9wavefront6targetE0EEEvT1_
	.p2align	8
	.type	_ZN7rocprim17ROCPRIM_400000_NS6detail17trampoline_kernelINS0_14default_configENS1_25partition_config_selectorILNS1_17partition_subalgoE5EyNS0_10empty_typeEbEEZZNS1_14partition_implILS5_5ELb0ES3_mN6thrust23THRUST_200600_302600_NS6detail15normal_iteratorINSA_10device_ptrIyEEEEPS6_NSA_18transform_iteratorINSB_9not_fun_tINSA_8identityIyEEEESF_NSA_11use_defaultESM_EENS0_5tupleIJSF_S6_EEENSO_IJSG_SG_EEES6_PlJS6_EEE10hipError_tPvRmT3_T4_T5_T6_T7_T9_mT8_P12ihipStream_tbDpT10_ENKUlT_T0_E_clISt17integral_constantIbLb0EES1A_IbLb1EEEEDaS16_S17_EUlS16_E_NS1_11comp_targetILNS1_3genE2ELNS1_11target_archE906ELNS1_3gpuE6ELNS1_3repE0EEENS1_30default_config_static_selectorELNS0_4arch9wavefront6targetE0EEEvT1_,@function
_ZN7rocprim17ROCPRIM_400000_NS6detail17trampoline_kernelINS0_14default_configENS1_25partition_config_selectorILNS1_17partition_subalgoE5EyNS0_10empty_typeEbEEZZNS1_14partition_implILS5_5ELb0ES3_mN6thrust23THRUST_200600_302600_NS6detail15normal_iteratorINSA_10device_ptrIyEEEEPS6_NSA_18transform_iteratorINSB_9not_fun_tINSA_8identityIyEEEESF_NSA_11use_defaultESM_EENS0_5tupleIJSF_S6_EEENSO_IJSG_SG_EEES6_PlJS6_EEE10hipError_tPvRmT3_T4_T5_T6_T7_T9_mT8_P12ihipStream_tbDpT10_ENKUlT_T0_E_clISt17integral_constantIbLb0EES1A_IbLb1EEEEDaS16_S17_EUlS16_E_NS1_11comp_targetILNS1_3genE2ELNS1_11target_archE906ELNS1_3gpuE6ELNS1_3repE0EEENS1_30default_config_static_selectorELNS0_4arch9wavefront6targetE0EEEvT1_: ; @_ZN7rocprim17ROCPRIM_400000_NS6detail17trampoline_kernelINS0_14default_configENS1_25partition_config_selectorILNS1_17partition_subalgoE5EyNS0_10empty_typeEbEEZZNS1_14partition_implILS5_5ELb0ES3_mN6thrust23THRUST_200600_302600_NS6detail15normal_iteratorINSA_10device_ptrIyEEEEPS6_NSA_18transform_iteratorINSB_9not_fun_tINSA_8identityIyEEEESF_NSA_11use_defaultESM_EENS0_5tupleIJSF_S6_EEENSO_IJSG_SG_EEES6_PlJS6_EEE10hipError_tPvRmT3_T4_T5_T6_T7_T9_mT8_P12ihipStream_tbDpT10_ENKUlT_T0_E_clISt17integral_constantIbLb0EES1A_IbLb1EEEEDaS16_S17_EUlS16_E_NS1_11comp_targetILNS1_3genE2ELNS1_11target_archE906ELNS1_3gpuE6ELNS1_3repE0EEENS1_30default_config_static_selectorELNS0_4arch9wavefront6targetE0EEEvT1_
; %bb.0:
	.section	.rodata,"a",@progbits
	.p2align	6, 0x0
	.amdhsa_kernel _ZN7rocprim17ROCPRIM_400000_NS6detail17trampoline_kernelINS0_14default_configENS1_25partition_config_selectorILNS1_17partition_subalgoE5EyNS0_10empty_typeEbEEZZNS1_14partition_implILS5_5ELb0ES3_mN6thrust23THRUST_200600_302600_NS6detail15normal_iteratorINSA_10device_ptrIyEEEEPS6_NSA_18transform_iteratorINSB_9not_fun_tINSA_8identityIyEEEESF_NSA_11use_defaultESM_EENS0_5tupleIJSF_S6_EEENSO_IJSG_SG_EEES6_PlJS6_EEE10hipError_tPvRmT3_T4_T5_T6_T7_T9_mT8_P12ihipStream_tbDpT10_ENKUlT_T0_E_clISt17integral_constantIbLb0EES1A_IbLb1EEEEDaS16_S17_EUlS16_E_NS1_11comp_targetILNS1_3genE2ELNS1_11target_archE906ELNS1_3gpuE6ELNS1_3repE0EEENS1_30default_config_static_selectorELNS0_4arch9wavefront6targetE0EEEvT1_
		.amdhsa_group_segment_fixed_size 0
		.amdhsa_private_segment_fixed_size 0
		.amdhsa_kernarg_size 136
		.amdhsa_user_sgpr_count 2
		.amdhsa_user_sgpr_dispatch_ptr 0
		.amdhsa_user_sgpr_queue_ptr 0
		.amdhsa_user_sgpr_kernarg_segment_ptr 1
		.amdhsa_user_sgpr_dispatch_id 0
		.amdhsa_user_sgpr_private_segment_size 0
		.amdhsa_wavefront_size32 1
		.amdhsa_uses_dynamic_stack 0
		.amdhsa_enable_private_segment 0
		.amdhsa_system_sgpr_workgroup_id_x 1
		.amdhsa_system_sgpr_workgroup_id_y 0
		.amdhsa_system_sgpr_workgroup_id_z 0
		.amdhsa_system_sgpr_workgroup_info 0
		.amdhsa_system_vgpr_workitem_id 0
		.amdhsa_next_free_vgpr 1
		.amdhsa_next_free_sgpr 1
		.amdhsa_reserve_vcc 0
		.amdhsa_float_round_mode_32 0
		.amdhsa_float_round_mode_16_64 0
		.amdhsa_float_denorm_mode_32 3
		.amdhsa_float_denorm_mode_16_64 3
		.amdhsa_fp16_overflow 0
		.amdhsa_workgroup_processor_mode 1
		.amdhsa_memory_ordered 1
		.amdhsa_forward_progress 1
		.amdhsa_inst_pref_size 0
		.amdhsa_round_robin_scheduling 0
		.amdhsa_exception_fp_ieee_invalid_op 0
		.amdhsa_exception_fp_denorm_src 0
		.amdhsa_exception_fp_ieee_div_zero 0
		.amdhsa_exception_fp_ieee_overflow 0
		.amdhsa_exception_fp_ieee_underflow 0
		.amdhsa_exception_fp_ieee_inexact 0
		.amdhsa_exception_int_div_zero 0
	.end_amdhsa_kernel
	.section	.text._ZN7rocprim17ROCPRIM_400000_NS6detail17trampoline_kernelINS0_14default_configENS1_25partition_config_selectorILNS1_17partition_subalgoE5EyNS0_10empty_typeEbEEZZNS1_14partition_implILS5_5ELb0ES3_mN6thrust23THRUST_200600_302600_NS6detail15normal_iteratorINSA_10device_ptrIyEEEEPS6_NSA_18transform_iteratorINSB_9not_fun_tINSA_8identityIyEEEESF_NSA_11use_defaultESM_EENS0_5tupleIJSF_S6_EEENSO_IJSG_SG_EEES6_PlJS6_EEE10hipError_tPvRmT3_T4_T5_T6_T7_T9_mT8_P12ihipStream_tbDpT10_ENKUlT_T0_E_clISt17integral_constantIbLb0EES1A_IbLb1EEEEDaS16_S17_EUlS16_E_NS1_11comp_targetILNS1_3genE2ELNS1_11target_archE906ELNS1_3gpuE6ELNS1_3repE0EEENS1_30default_config_static_selectorELNS0_4arch9wavefront6targetE0EEEvT1_,"axG",@progbits,_ZN7rocprim17ROCPRIM_400000_NS6detail17trampoline_kernelINS0_14default_configENS1_25partition_config_selectorILNS1_17partition_subalgoE5EyNS0_10empty_typeEbEEZZNS1_14partition_implILS5_5ELb0ES3_mN6thrust23THRUST_200600_302600_NS6detail15normal_iteratorINSA_10device_ptrIyEEEEPS6_NSA_18transform_iteratorINSB_9not_fun_tINSA_8identityIyEEEESF_NSA_11use_defaultESM_EENS0_5tupleIJSF_S6_EEENSO_IJSG_SG_EEES6_PlJS6_EEE10hipError_tPvRmT3_T4_T5_T6_T7_T9_mT8_P12ihipStream_tbDpT10_ENKUlT_T0_E_clISt17integral_constantIbLb0EES1A_IbLb1EEEEDaS16_S17_EUlS16_E_NS1_11comp_targetILNS1_3genE2ELNS1_11target_archE906ELNS1_3gpuE6ELNS1_3repE0EEENS1_30default_config_static_selectorELNS0_4arch9wavefront6targetE0EEEvT1_,comdat
.Lfunc_end881:
	.size	_ZN7rocprim17ROCPRIM_400000_NS6detail17trampoline_kernelINS0_14default_configENS1_25partition_config_selectorILNS1_17partition_subalgoE5EyNS0_10empty_typeEbEEZZNS1_14partition_implILS5_5ELb0ES3_mN6thrust23THRUST_200600_302600_NS6detail15normal_iteratorINSA_10device_ptrIyEEEEPS6_NSA_18transform_iteratorINSB_9not_fun_tINSA_8identityIyEEEESF_NSA_11use_defaultESM_EENS0_5tupleIJSF_S6_EEENSO_IJSG_SG_EEES6_PlJS6_EEE10hipError_tPvRmT3_T4_T5_T6_T7_T9_mT8_P12ihipStream_tbDpT10_ENKUlT_T0_E_clISt17integral_constantIbLb0EES1A_IbLb1EEEEDaS16_S17_EUlS16_E_NS1_11comp_targetILNS1_3genE2ELNS1_11target_archE906ELNS1_3gpuE6ELNS1_3repE0EEENS1_30default_config_static_selectorELNS0_4arch9wavefront6targetE0EEEvT1_, .Lfunc_end881-_ZN7rocprim17ROCPRIM_400000_NS6detail17trampoline_kernelINS0_14default_configENS1_25partition_config_selectorILNS1_17partition_subalgoE5EyNS0_10empty_typeEbEEZZNS1_14partition_implILS5_5ELb0ES3_mN6thrust23THRUST_200600_302600_NS6detail15normal_iteratorINSA_10device_ptrIyEEEEPS6_NSA_18transform_iteratorINSB_9not_fun_tINSA_8identityIyEEEESF_NSA_11use_defaultESM_EENS0_5tupleIJSF_S6_EEENSO_IJSG_SG_EEES6_PlJS6_EEE10hipError_tPvRmT3_T4_T5_T6_T7_T9_mT8_P12ihipStream_tbDpT10_ENKUlT_T0_E_clISt17integral_constantIbLb0EES1A_IbLb1EEEEDaS16_S17_EUlS16_E_NS1_11comp_targetILNS1_3genE2ELNS1_11target_archE906ELNS1_3gpuE6ELNS1_3repE0EEENS1_30default_config_static_selectorELNS0_4arch9wavefront6targetE0EEEvT1_
                                        ; -- End function
	.set _ZN7rocprim17ROCPRIM_400000_NS6detail17trampoline_kernelINS0_14default_configENS1_25partition_config_selectorILNS1_17partition_subalgoE5EyNS0_10empty_typeEbEEZZNS1_14partition_implILS5_5ELb0ES3_mN6thrust23THRUST_200600_302600_NS6detail15normal_iteratorINSA_10device_ptrIyEEEEPS6_NSA_18transform_iteratorINSB_9not_fun_tINSA_8identityIyEEEESF_NSA_11use_defaultESM_EENS0_5tupleIJSF_S6_EEENSO_IJSG_SG_EEES6_PlJS6_EEE10hipError_tPvRmT3_T4_T5_T6_T7_T9_mT8_P12ihipStream_tbDpT10_ENKUlT_T0_E_clISt17integral_constantIbLb0EES1A_IbLb1EEEEDaS16_S17_EUlS16_E_NS1_11comp_targetILNS1_3genE2ELNS1_11target_archE906ELNS1_3gpuE6ELNS1_3repE0EEENS1_30default_config_static_selectorELNS0_4arch9wavefront6targetE0EEEvT1_.num_vgpr, 0
	.set _ZN7rocprim17ROCPRIM_400000_NS6detail17trampoline_kernelINS0_14default_configENS1_25partition_config_selectorILNS1_17partition_subalgoE5EyNS0_10empty_typeEbEEZZNS1_14partition_implILS5_5ELb0ES3_mN6thrust23THRUST_200600_302600_NS6detail15normal_iteratorINSA_10device_ptrIyEEEEPS6_NSA_18transform_iteratorINSB_9not_fun_tINSA_8identityIyEEEESF_NSA_11use_defaultESM_EENS0_5tupleIJSF_S6_EEENSO_IJSG_SG_EEES6_PlJS6_EEE10hipError_tPvRmT3_T4_T5_T6_T7_T9_mT8_P12ihipStream_tbDpT10_ENKUlT_T0_E_clISt17integral_constantIbLb0EES1A_IbLb1EEEEDaS16_S17_EUlS16_E_NS1_11comp_targetILNS1_3genE2ELNS1_11target_archE906ELNS1_3gpuE6ELNS1_3repE0EEENS1_30default_config_static_selectorELNS0_4arch9wavefront6targetE0EEEvT1_.num_agpr, 0
	.set _ZN7rocprim17ROCPRIM_400000_NS6detail17trampoline_kernelINS0_14default_configENS1_25partition_config_selectorILNS1_17partition_subalgoE5EyNS0_10empty_typeEbEEZZNS1_14partition_implILS5_5ELb0ES3_mN6thrust23THRUST_200600_302600_NS6detail15normal_iteratorINSA_10device_ptrIyEEEEPS6_NSA_18transform_iteratorINSB_9not_fun_tINSA_8identityIyEEEESF_NSA_11use_defaultESM_EENS0_5tupleIJSF_S6_EEENSO_IJSG_SG_EEES6_PlJS6_EEE10hipError_tPvRmT3_T4_T5_T6_T7_T9_mT8_P12ihipStream_tbDpT10_ENKUlT_T0_E_clISt17integral_constantIbLb0EES1A_IbLb1EEEEDaS16_S17_EUlS16_E_NS1_11comp_targetILNS1_3genE2ELNS1_11target_archE906ELNS1_3gpuE6ELNS1_3repE0EEENS1_30default_config_static_selectorELNS0_4arch9wavefront6targetE0EEEvT1_.numbered_sgpr, 0
	.set _ZN7rocprim17ROCPRIM_400000_NS6detail17trampoline_kernelINS0_14default_configENS1_25partition_config_selectorILNS1_17partition_subalgoE5EyNS0_10empty_typeEbEEZZNS1_14partition_implILS5_5ELb0ES3_mN6thrust23THRUST_200600_302600_NS6detail15normal_iteratorINSA_10device_ptrIyEEEEPS6_NSA_18transform_iteratorINSB_9not_fun_tINSA_8identityIyEEEESF_NSA_11use_defaultESM_EENS0_5tupleIJSF_S6_EEENSO_IJSG_SG_EEES6_PlJS6_EEE10hipError_tPvRmT3_T4_T5_T6_T7_T9_mT8_P12ihipStream_tbDpT10_ENKUlT_T0_E_clISt17integral_constantIbLb0EES1A_IbLb1EEEEDaS16_S17_EUlS16_E_NS1_11comp_targetILNS1_3genE2ELNS1_11target_archE906ELNS1_3gpuE6ELNS1_3repE0EEENS1_30default_config_static_selectorELNS0_4arch9wavefront6targetE0EEEvT1_.num_named_barrier, 0
	.set _ZN7rocprim17ROCPRIM_400000_NS6detail17trampoline_kernelINS0_14default_configENS1_25partition_config_selectorILNS1_17partition_subalgoE5EyNS0_10empty_typeEbEEZZNS1_14partition_implILS5_5ELb0ES3_mN6thrust23THRUST_200600_302600_NS6detail15normal_iteratorINSA_10device_ptrIyEEEEPS6_NSA_18transform_iteratorINSB_9not_fun_tINSA_8identityIyEEEESF_NSA_11use_defaultESM_EENS0_5tupleIJSF_S6_EEENSO_IJSG_SG_EEES6_PlJS6_EEE10hipError_tPvRmT3_T4_T5_T6_T7_T9_mT8_P12ihipStream_tbDpT10_ENKUlT_T0_E_clISt17integral_constantIbLb0EES1A_IbLb1EEEEDaS16_S17_EUlS16_E_NS1_11comp_targetILNS1_3genE2ELNS1_11target_archE906ELNS1_3gpuE6ELNS1_3repE0EEENS1_30default_config_static_selectorELNS0_4arch9wavefront6targetE0EEEvT1_.private_seg_size, 0
	.set _ZN7rocprim17ROCPRIM_400000_NS6detail17trampoline_kernelINS0_14default_configENS1_25partition_config_selectorILNS1_17partition_subalgoE5EyNS0_10empty_typeEbEEZZNS1_14partition_implILS5_5ELb0ES3_mN6thrust23THRUST_200600_302600_NS6detail15normal_iteratorINSA_10device_ptrIyEEEEPS6_NSA_18transform_iteratorINSB_9not_fun_tINSA_8identityIyEEEESF_NSA_11use_defaultESM_EENS0_5tupleIJSF_S6_EEENSO_IJSG_SG_EEES6_PlJS6_EEE10hipError_tPvRmT3_T4_T5_T6_T7_T9_mT8_P12ihipStream_tbDpT10_ENKUlT_T0_E_clISt17integral_constantIbLb0EES1A_IbLb1EEEEDaS16_S17_EUlS16_E_NS1_11comp_targetILNS1_3genE2ELNS1_11target_archE906ELNS1_3gpuE6ELNS1_3repE0EEENS1_30default_config_static_selectorELNS0_4arch9wavefront6targetE0EEEvT1_.uses_vcc, 0
	.set _ZN7rocprim17ROCPRIM_400000_NS6detail17trampoline_kernelINS0_14default_configENS1_25partition_config_selectorILNS1_17partition_subalgoE5EyNS0_10empty_typeEbEEZZNS1_14partition_implILS5_5ELb0ES3_mN6thrust23THRUST_200600_302600_NS6detail15normal_iteratorINSA_10device_ptrIyEEEEPS6_NSA_18transform_iteratorINSB_9not_fun_tINSA_8identityIyEEEESF_NSA_11use_defaultESM_EENS0_5tupleIJSF_S6_EEENSO_IJSG_SG_EEES6_PlJS6_EEE10hipError_tPvRmT3_T4_T5_T6_T7_T9_mT8_P12ihipStream_tbDpT10_ENKUlT_T0_E_clISt17integral_constantIbLb0EES1A_IbLb1EEEEDaS16_S17_EUlS16_E_NS1_11comp_targetILNS1_3genE2ELNS1_11target_archE906ELNS1_3gpuE6ELNS1_3repE0EEENS1_30default_config_static_selectorELNS0_4arch9wavefront6targetE0EEEvT1_.uses_flat_scratch, 0
	.set _ZN7rocprim17ROCPRIM_400000_NS6detail17trampoline_kernelINS0_14default_configENS1_25partition_config_selectorILNS1_17partition_subalgoE5EyNS0_10empty_typeEbEEZZNS1_14partition_implILS5_5ELb0ES3_mN6thrust23THRUST_200600_302600_NS6detail15normal_iteratorINSA_10device_ptrIyEEEEPS6_NSA_18transform_iteratorINSB_9not_fun_tINSA_8identityIyEEEESF_NSA_11use_defaultESM_EENS0_5tupleIJSF_S6_EEENSO_IJSG_SG_EEES6_PlJS6_EEE10hipError_tPvRmT3_T4_T5_T6_T7_T9_mT8_P12ihipStream_tbDpT10_ENKUlT_T0_E_clISt17integral_constantIbLb0EES1A_IbLb1EEEEDaS16_S17_EUlS16_E_NS1_11comp_targetILNS1_3genE2ELNS1_11target_archE906ELNS1_3gpuE6ELNS1_3repE0EEENS1_30default_config_static_selectorELNS0_4arch9wavefront6targetE0EEEvT1_.has_dyn_sized_stack, 0
	.set _ZN7rocprim17ROCPRIM_400000_NS6detail17trampoline_kernelINS0_14default_configENS1_25partition_config_selectorILNS1_17partition_subalgoE5EyNS0_10empty_typeEbEEZZNS1_14partition_implILS5_5ELb0ES3_mN6thrust23THRUST_200600_302600_NS6detail15normal_iteratorINSA_10device_ptrIyEEEEPS6_NSA_18transform_iteratorINSB_9not_fun_tINSA_8identityIyEEEESF_NSA_11use_defaultESM_EENS0_5tupleIJSF_S6_EEENSO_IJSG_SG_EEES6_PlJS6_EEE10hipError_tPvRmT3_T4_T5_T6_T7_T9_mT8_P12ihipStream_tbDpT10_ENKUlT_T0_E_clISt17integral_constantIbLb0EES1A_IbLb1EEEEDaS16_S17_EUlS16_E_NS1_11comp_targetILNS1_3genE2ELNS1_11target_archE906ELNS1_3gpuE6ELNS1_3repE0EEENS1_30default_config_static_selectorELNS0_4arch9wavefront6targetE0EEEvT1_.has_recursion, 0
	.set _ZN7rocprim17ROCPRIM_400000_NS6detail17trampoline_kernelINS0_14default_configENS1_25partition_config_selectorILNS1_17partition_subalgoE5EyNS0_10empty_typeEbEEZZNS1_14partition_implILS5_5ELb0ES3_mN6thrust23THRUST_200600_302600_NS6detail15normal_iteratorINSA_10device_ptrIyEEEEPS6_NSA_18transform_iteratorINSB_9not_fun_tINSA_8identityIyEEEESF_NSA_11use_defaultESM_EENS0_5tupleIJSF_S6_EEENSO_IJSG_SG_EEES6_PlJS6_EEE10hipError_tPvRmT3_T4_T5_T6_T7_T9_mT8_P12ihipStream_tbDpT10_ENKUlT_T0_E_clISt17integral_constantIbLb0EES1A_IbLb1EEEEDaS16_S17_EUlS16_E_NS1_11comp_targetILNS1_3genE2ELNS1_11target_archE906ELNS1_3gpuE6ELNS1_3repE0EEENS1_30default_config_static_selectorELNS0_4arch9wavefront6targetE0EEEvT1_.has_indirect_call, 0
	.section	.AMDGPU.csdata,"",@progbits
; Kernel info:
; codeLenInByte = 0
; TotalNumSgprs: 0
; NumVgprs: 0
; ScratchSize: 0
; MemoryBound: 0
; FloatMode: 240
; IeeeMode: 1
; LDSByteSize: 0 bytes/workgroup (compile time only)
; SGPRBlocks: 0
; VGPRBlocks: 0
; NumSGPRsForWavesPerEU: 1
; NumVGPRsForWavesPerEU: 1
; Occupancy: 16
; WaveLimiterHint : 0
; COMPUTE_PGM_RSRC2:SCRATCH_EN: 0
; COMPUTE_PGM_RSRC2:USER_SGPR: 2
; COMPUTE_PGM_RSRC2:TRAP_HANDLER: 0
; COMPUTE_PGM_RSRC2:TGID_X_EN: 1
; COMPUTE_PGM_RSRC2:TGID_Y_EN: 0
; COMPUTE_PGM_RSRC2:TGID_Z_EN: 0
; COMPUTE_PGM_RSRC2:TIDIG_COMP_CNT: 0
	.section	.text._ZN7rocprim17ROCPRIM_400000_NS6detail17trampoline_kernelINS0_14default_configENS1_25partition_config_selectorILNS1_17partition_subalgoE5EyNS0_10empty_typeEbEEZZNS1_14partition_implILS5_5ELb0ES3_mN6thrust23THRUST_200600_302600_NS6detail15normal_iteratorINSA_10device_ptrIyEEEEPS6_NSA_18transform_iteratorINSB_9not_fun_tINSA_8identityIyEEEESF_NSA_11use_defaultESM_EENS0_5tupleIJSF_S6_EEENSO_IJSG_SG_EEES6_PlJS6_EEE10hipError_tPvRmT3_T4_T5_T6_T7_T9_mT8_P12ihipStream_tbDpT10_ENKUlT_T0_E_clISt17integral_constantIbLb0EES1A_IbLb1EEEEDaS16_S17_EUlS16_E_NS1_11comp_targetILNS1_3genE10ELNS1_11target_archE1200ELNS1_3gpuE4ELNS1_3repE0EEENS1_30default_config_static_selectorELNS0_4arch9wavefront6targetE0EEEvT1_,"axG",@progbits,_ZN7rocprim17ROCPRIM_400000_NS6detail17trampoline_kernelINS0_14default_configENS1_25partition_config_selectorILNS1_17partition_subalgoE5EyNS0_10empty_typeEbEEZZNS1_14partition_implILS5_5ELb0ES3_mN6thrust23THRUST_200600_302600_NS6detail15normal_iteratorINSA_10device_ptrIyEEEEPS6_NSA_18transform_iteratorINSB_9not_fun_tINSA_8identityIyEEEESF_NSA_11use_defaultESM_EENS0_5tupleIJSF_S6_EEENSO_IJSG_SG_EEES6_PlJS6_EEE10hipError_tPvRmT3_T4_T5_T6_T7_T9_mT8_P12ihipStream_tbDpT10_ENKUlT_T0_E_clISt17integral_constantIbLb0EES1A_IbLb1EEEEDaS16_S17_EUlS16_E_NS1_11comp_targetILNS1_3genE10ELNS1_11target_archE1200ELNS1_3gpuE4ELNS1_3repE0EEENS1_30default_config_static_selectorELNS0_4arch9wavefront6targetE0EEEvT1_,comdat
	.protected	_ZN7rocprim17ROCPRIM_400000_NS6detail17trampoline_kernelINS0_14default_configENS1_25partition_config_selectorILNS1_17partition_subalgoE5EyNS0_10empty_typeEbEEZZNS1_14partition_implILS5_5ELb0ES3_mN6thrust23THRUST_200600_302600_NS6detail15normal_iteratorINSA_10device_ptrIyEEEEPS6_NSA_18transform_iteratorINSB_9not_fun_tINSA_8identityIyEEEESF_NSA_11use_defaultESM_EENS0_5tupleIJSF_S6_EEENSO_IJSG_SG_EEES6_PlJS6_EEE10hipError_tPvRmT3_T4_T5_T6_T7_T9_mT8_P12ihipStream_tbDpT10_ENKUlT_T0_E_clISt17integral_constantIbLb0EES1A_IbLb1EEEEDaS16_S17_EUlS16_E_NS1_11comp_targetILNS1_3genE10ELNS1_11target_archE1200ELNS1_3gpuE4ELNS1_3repE0EEENS1_30default_config_static_selectorELNS0_4arch9wavefront6targetE0EEEvT1_ ; -- Begin function _ZN7rocprim17ROCPRIM_400000_NS6detail17trampoline_kernelINS0_14default_configENS1_25partition_config_selectorILNS1_17partition_subalgoE5EyNS0_10empty_typeEbEEZZNS1_14partition_implILS5_5ELb0ES3_mN6thrust23THRUST_200600_302600_NS6detail15normal_iteratorINSA_10device_ptrIyEEEEPS6_NSA_18transform_iteratorINSB_9not_fun_tINSA_8identityIyEEEESF_NSA_11use_defaultESM_EENS0_5tupleIJSF_S6_EEENSO_IJSG_SG_EEES6_PlJS6_EEE10hipError_tPvRmT3_T4_T5_T6_T7_T9_mT8_P12ihipStream_tbDpT10_ENKUlT_T0_E_clISt17integral_constantIbLb0EES1A_IbLb1EEEEDaS16_S17_EUlS16_E_NS1_11comp_targetILNS1_3genE10ELNS1_11target_archE1200ELNS1_3gpuE4ELNS1_3repE0EEENS1_30default_config_static_selectorELNS0_4arch9wavefront6targetE0EEEvT1_
	.globl	_ZN7rocprim17ROCPRIM_400000_NS6detail17trampoline_kernelINS0_14default_configENS1_25partition_config_selectorILNS1_17partition_subalgoE5EyNS0_10empty_typeEbEEZZNS1_14partition_implILS5_5ELb0ES3_mN6thrust23THRUST_200600_302600_NS6detail15normal_iteratorINSA_10device_ptrIyEEEEPS6_NSA_18transform_iteratorINSB_9not_fun_tINSA_8identityIyEEEESF_NSA_11use_defaultESM_EENS0_5tupleIJSF_S6_EEENSO_IJSG_SG_EEES6_PlJS6_EEE10hipError_tPvRmT3_T4_T5_T6_T7_T9_mT8_P12ihipStream_tbDpT10_ENKUlT_T0_E_clISt17integral_constantIbLb0EES1A_IbLb1EEEEDaS16_S17_EUlS16_E_NS1_11comp_targetILNS1_3genE10ELNS1_11target_archE1200ELNS1_3gpuE4ELNS1_3repE0EEENS1_30default_config_static_selectorELNS0_4arch9wavefront6targetE0EEEvT1_
	.p2align	8
	.type	_ZN7rocprim17ROCPRIM_400000_NS6detail17trampoline_kernelINS0_14default_configENS1_25partition_config_selectorILNS1_17partition_subalgoE5EyNS0_10empty_typeEbEEZZNS1_14partition_implILS5_5ELb0ES3_mN6thrust23THRUST_200600_302600_NS6detail15normal_iteratorINSA_10device_ptrIyEEEEPS6_NSA_18transform_iteratorINSB_9not_fun_tINSA_8identityIyEEEESF_NSA_11use_defaultESM_EENS0_5tupleIJSF_S6_EEENSO_IJSG_SG_EEES6_PlJS6_EEE10hipError_tPvRmT3_T4_T5_T6_T7_T9_mT8_P12ihipStream_tbDpT10_ENKUlT_T0_E_clISt17integral_constantIbLb0EES1A_IbLb1EEEEDaS16_S17_EUlS16_E_NS1_11comp_targetILNS1_3genE10ELNS1_11target_archE1200ELNS1_3gpuE4ELNS1_3repE0EEENS1_30default_config_static_selectorELNS0_4arch9wavefront6targetE0EEEvT1_,@function
_ZN7rocprim17ROCPRIM_400000_NS6detail17trampoline_kernelINS0_14default_configENS1_25partition_config_selectorILNS1_17partition_subalgoE5EyNS0_10empty_typeEbEEZZNS1_14partition_implILS5_5ELb0ES3_mN6thrust23THRUST_200600_302600_NS6detail15normal_iteratorINSA_10device_ptrIyEEEEPS6_NSA_18transform_iteratorINSB_9not_fun_tINSA_8identityIyEEEESF_NSA_11use_defaultESM_EENS0_5tupleIJSF_S6_EEENSO_IJSG_SG_EEES6_PlJS6_EEE10hipError_tPvRmT3_T4_T5_T6_T7_T9_mT8_P12ihipStream_tbDpT10_ENKUlT_T0_E_clISt17integral_constantIbLb0EES1A_IbLb1EEEEDaS16_S17_EUlS16_E_NS1_11comp_targetILNS1_3genE10ELNS1_11target_archE1200ELNS1_3gpuE4ELNS1_3repE0EEENS1_30default_config_static_selectorELNS0_4arch9wavefront6targetE0EEEvT1_: ; @_ZN7rocprim17ROCPRIM_400000_NS6detail17trampoline_kernelINS0_14default_configENS1_25partition_config_selectorILNS1_17partition_subalgoE5EyNS0_10empty_typeEbEEZZNS1_14partition_implILS5_5ELb0ES3_mN6thrust23THRUST_200600_302600_NS6detail15normal_iteratorINSA_10device_ptrIyEEEEPS6_NSA_18transform_iteratorINSB_9not_fun_tINSA_8identityIyEEEESF_NSA_11use_defaultESM_EENS0_5tupleIJSF_S6_EEENSO_IJSG_SG_EEES6_PlJS6_EEE10hipError_tPvRmT3_T4_T5_T6_T7_T9_mT8_P12ihipStream_tbDpT10_ENKUlT_T0_E_clISt17integral_constantIbLb0EES1A_IbLb1EEEEDaS16_S17_EUlS16_E_NS1_11comp_targetILNS1_3genE10ELNS1_11target_archE1200ELNS1_3gpuE4ELNS1_3repE0EEENS1_30default_config_static_selectorELNS0_4arch9wavefront6targetE0EEEvT1_
; %bb.0:
	s_clause 0x3
	s_load_b64 s[12:13], s[0:1], 0x30
	s_load_b128 s[4:7], s[0:1], 0x48
	s_load_b64 s[18:19], s[0:1], 0x58
	s_load_b64 s[14:15], s[0:1], 0x68
	v_cmp_eq_u32_e64 s2, 0, v0
	s_and_saveexec_b32 s3, s2
	s_cbranch_execz .LBB882_4
; %bb.1:
	s_mov_b32 s9, exec_lo
	s_mov_b32 s8, exec_lo
	v_mbcnt_lo_u32_b32 v1, s9, 0
                                        ; implicit-def: $vgpr2
	s_delay_alu instid0(VALU_DEP_1)
	v_cmpx_eq_u32_e32 0, v1
	s_cbranch_execz .LBB882_3
; %bb.2:
	s_load_b64 s[10:11], s[0:1], 0x78
	s_bcnt1_i32_b32 s9, s9
	s_wait_alu 0xfffe
	v_dual_mov_b32 v2, 0 :: v_dual_mov_b32 v3, s9
	s_wait_kmcnt 0x0
	global_atomic_add_u32 v2, v2, v3, s[10:11] th:TH_ATOMIC_RETURN scope:SCOPE_DEV
.LBB882_3:
	s_or_b32 exec_lo, exec_lo, s8
	s_wait_loadcnt 0x0
	v_readfirstlane_b32 s8, v2
	s_wait_alu 0xf1ff
	s_delay_alu instid0(VALU_DEP_1)
	v_dual_mov_b32 v2, 0 :: v_dual_add_nc_u32 v1, s8, v1
	ds_store_b32 v2, v1
.LBB882_4:
	s_or_b32 exec_lo, exec_lo, s3
	v_mov_b32_e32 v1, 0
	s_clause 0x2
	s_load_b128 s[8:11], s[0:1], 0x8
	s_load_b64 s[16:17], s[0:1], 0x20
	s_load_b32 s0, s[0:1], 0x70
	s_wait_dscnt 0x0
	s_barrier_signal -1
	s_barrier_wait -1
	global_inv scope:SCOPE_SE
	ds_load_b32 v2, v1
	s_wait_loadcnt_dscnt 0x0
	s_barrier_signal -1
	s_barrier_wait -1
	global_inv scope:SCOPE_SE
	s_wait_kmcnt 0x0
	global_load_b64 v[17:18], v1, s[6:7]
	s_mov_b32 s25, 0
	v_lshrrev_b32_e32 v11, 2, v0
	s_mov_b32 s23, s25
	v_or_b32_e32 v10, 0x200, v0
	v_or_b32_e32 v9, 0x300, v0
	s_lshl_b64 s[6:7], s[10:11], 3
	s_add_co_i32 s21, s0, -1
	s_lshl_b32 s24, s0, 10
	s_lshl_b32 s3, s21, 10
	s_add_nc_u64 s[0:1], s[10:11], s[24:25]
	s_add_co_i32 s3, s10, s3
	v_readfirstlane_b32 s20, v2
	v_cmp_le_u64_e64 s0, s[18:19], s[0:1]
	s_sub_co_i32 s3, s18, s3
	s_add_nc_u64 s[10:11], s[8:9], s[6:7]
	s_mov_b32 s1, -1
	s_lshl_b32 s22, s20, 10
	s_cmp_eq_u32 s20, s21
	s_cselect_b32 s18, -1, 0
	s_lshl_b64 s[8:9], s[22:23], 3
	s_wait_alu 0xfffe
	s_and_b32 s0, s0, s18
	s_add_nc_u64 s[10:11], s[10:11], s[8:9]
	s_wait_alu 0xfffe
	s_xor_b32 s19, s0, -1
	s_wait_alu 0xfffe
	s_and_b32 vcc_lo, exec_lo, s19
	s_cbranch_vccz .LBB882_6
; %bb.5:
	v_lshlrev_b32_e32 v12, 3, v0
	v_or_b32_e32 v13, 0x100, v0
	v_lshrrev_b32_e32 v14, 2, v10
	v_lshrrev_b32_e32 v15, 2, v9
	v_and_b32_e32 v16, 56, v11
	v_add_co_u32 v1, s0, s10, v12
	s_wait_alu 0xf1ff
	v_add_co_ci_u32_e64 v2, null, s11, 0, s0
	v_lshrrev_b32_e32 v13, 2, v13
	v_and_b32_e32 v14, 0xb8, v14
	v_and_b32_e32 v15, 0xf8, v15
	s_clause 0x3
	flat_load_b64 v[3:4], v[1:2]
	flat_load_b64 v[5:6], v[1:2] offset:2048
	flat_load_b64 v[7:8], v[1:2] offset:4096
	;; [unrolled: 1-line block ×3, first 2 shown]
	v_add_nc_u32_e32 v16, v16, v12
	v_and_b32_e32 v13, 0x78, v13
	v_add_nc_u32_e32 v14, v14, v12
	s_mov_b32 s1, 0
	s_delay_alu instid0(VALU_DEP_2)
	v_add_nc_u32_e32 v13, v13, v12
	v_add_nc_u32_e32 v12, v15, v12
	s_wait_loadcnt_dscnt 0x303
	ds_store_b64 v16, v[3:4]
	s_wait_loadcnt_dscnt 0x203
	ds_store_b64 v13, v[5:6] offset:2048
	s_wait_loadcnt_dscnt 0x103
	ds_store_b64 v14, v[7:8] offset:4096
	;; [unrolled: 2-line block ×3, first 2 shown]
	s_wait_dscnt 0x0
	s_barrier_signal -1
	s_barrier_wait -1
.LBB882_6:
	v_cmp_gt_u32_e64 s0, s3, v0
	s_wait_alu 0xfffe
	s_and_not1_b32 vcc_lo, exec_lo, s1
	s_cbranch_vccnz .LBB882_14
; %bb.7:
	v_mov_b32_e32 v1, 0
	s_delay_alu instid0(VALU_DEP_1)
	v_dual_mov_b32 v2, v1 :: v_dual_mov_b32 v3, v1
	v_dual_mov_b32 v4, v1 :: v_dual_mov_b32 v5, v1
	;; [unrolled: 1-line block ×3, first 2 shown]
	v_mov_b32_e32 v8, v1
	s_and_saveexec_b32 s1, s0
	s_cbranch_execz .LBB882_9
; %bb.8:
	v_dual_mov_b32 v21, v1 :: v_dual_lshlrev_b32 v2, 3, v0
	v_dual_mov_b32 v22, v1 :: v_dual_mov_b32 v23, v1
	v_dual_mov_b32 v24, v1 :: v_dual_mov_b32 v25, v1
	s_delay_alu instid0(VALU_DEP_3)
	v_add_co_u32 v2, s0, s10, v2
	s_wait_alu 0xf1ff
	v_add_co_ci_u32_e64 v3, null, s11, 0, s0
	v_mov_b32_e32 v26, v1
	flat_load_b64 v[19:20], v[2:3]
	s_wait_loadcnt_dscnt 0x0
	v_dual_mov_b32 v1, v19 :: v_dual_mov_b32 v2, v20
	v_dual_mov_b32 v3, v21 :: v_dual_mov_b32 v4, v22
	;; [unrolled: 1-line block ×4, first 2 shown]
.LBB882_9:
	s_wait_alu 0xfffe
	s_or_b32 exec_lo, exec_lo, s1
	v_or_b32_e32 v12, 0x100, v0
	s_mov_b32 s0, exec_lo
	s_delay_alu instid0(VALU_DEP_1)
	v_cmpx_gt_u32_e64 s3, v12
	s_cbranch_execnz .LBB882_138
; %bb.10:
	s_wait_alu 0xfffe
	s_or_b32 exec_lo, exec_lo, s0
	s_delay_alu instid0(SALU_CYCLE_1)
	s_mov_b32 s0, exec_lo
	v_cmpx_gt_u32_e64 s3, v10
	s_cbranch_execnz .LBB882_139
.LBB882_11:
	s_wait_alu 0xfffe
	s_or_b32 exec_lo, exec_lo, s0
	s_delay_alu instid0(SALU_CYCLE_1)
	s_mov_b32 s0, exec_lo
	v_cmpx_gt_u32_e64 s3, v9
	s_cbranch_execz .LBB882_13
.LBB882_12:
	v_lshlrev_b32_e32 v7, 3, v0
	s_delay_alu instid0(VALU_DEP_1)
	v_add_co_u32 v7, s1, s10, v7
	s_wait_alu 0xf1ff
	v_add_co_ci_u32_e64 v8, null, s11, 0, s1
	flat_load_b64 v[7:8], v[7:8] offset:6144
.LBB882_13:
	s_wait_alu 0xfffe
	s_or_b32 exec_lo, exec_lo, s0
	v_lshrrev_b32_e32 v12, 2, v12
	v_lshrrev_b32_e32 v13, 2, v10
	;; [unrolled: 1-line block ×3, first 2 shown]
	v_and_b32_e32 v11, 56, v11
	v_lshlrev_b32_e32 v15, 3, v0
	v_and_b32_e32 v12, 0x78, v12
	v_and_b32_e32 v13, 0xf8, v13
	;; [unrolled: 1-line block ×3, first 2 shown]
	s_delay_alu instid0(VALU_DEP_4) | instskip(NEXT) | instid1(VALU_DEP_4)
	v_add_nc_u32_e32 v11, v11, v15
	v_add_nc_u32_e32 v12, v12, v15
	s_delay_alu instid0(VALU_DEP_4) | instskip(NEXT) | instid1(VALU_DEP_4)
	v_add_nc_u32_e32 v13, v13, v15
	v_add_nc_u32_e32 v14, v14, v15
	ds_store_b64 v11, v[1:2]
	s_wait_loadcnt_dscnt 0x1
	ds_store_b64 v12, v[3:4] offset:2048
	ds_store_b64 v13, v[5:6] offset:4096
	;; [unrolled: 1-line block ×3, first 2 shown]
	s_wait_dscnt 0x0
	s_barrier_signal -1
	s_barrier_wait -1
.LBB882_14:
	v_and_b32_e32 v1, 0xf8, v0
	s_wait_loadcnt 0x0
	global_inv scope:SCOPE_SE
	v_lshrrev_b32_e32 v28, 5, v0
	s_add_nc_u64 s[0:1], s[16:17], s[6:7]
	s_and_b32 vcc_lo, exec_lo, s19
	v_lshl_add_u32 v1, v0, 5, v1
	s_wait_alu 0xfffe
	s_add_nc_u64 s[0:1], s[0:1], s[8:9]
	s_mov_b32 s6, -1
	ds_load_2addr_b64 v[5:8], v1 offset1:1
	ds_load_2addr_b64 v[1:4], v1 offset0:2 offset1:3
	s_wait_loadcnt_dscnt 0x0
	s_barrier_signal -1
	s_barrier_wait -1
	global_inv scope:SCOPE_SE
	s_cbranch_vccz .LBB882_16
; %bb.15:
	v_lshlrev_b32_e32 v19, 3, v0
	v_or_b32_e32 v21, 0x100, v0
	v_lshrrev_b32_e32 v22, 5, v10
	v_lshrrev_b32_e32 v23, 5, v9
	v_and_b32_e32 v24, 4, v28
	s_clause 0x3
	global_load_b64 v[11:12], v19, s[0:1]
	global_load_b64 v[13:14], v19, s[0:1] offset:2048
	global_load_b64 v[15:16], v19, s[0:1] offset:4096
	;; [unrolled: 1-line block ×3, first 2 shown]
	v_lshrrev_b32_e32 v21, 5, v21
	v_and_b32_e32 v22, 20, v22
	v_and_b32_e32 v23, 28, v23
	v_add_nc_u32_e32 v24, v24, v0
	s_mov_b32 s6, 0
	v_and_b32_e32 v21, 12, v21
	v_add_nc_u32_e32 v22, v22, v0
	v_add_nc_u32_e32 v23, v23, v0
	s_delay_alu instid0(VALU_DEP_3)
	v_add_nc_u32_e32 v21, v21, v0
	s_wait_loadcnt 0x3
	v_cmp_eq_u64_e32 vcc_lo, 0, v[11:12]
	v_cndmask_b32_e64 v11, 0, 1, vcc_lo
	s_wait_loadcnt 0x2
	v_cmp_eq_u64_e32 vcc_lo, 0, v[13:14]
	s_wait_alu 0xfffd
	v_cndmask_b32_e64 v12, 0, 1, vcc_lo
	s_wait_loadcnt 0x1
	v_cmp_eq_u64_e32 vcc_lo, 0, v[15:16]
	s_wait_alu 0xfffd
	;; [unrolled: 4-line block ×3, first 2 shown]
	v_cndmask_b32_e64 v14, 0, 1, vcc_lo
	ds_store_b8 v24, v11
	ds_store_b8 v21, v12 offset:256
	ds_store_b8 v22, v13 offset:512
	;; [unrolled: 1-line block ×3, first 2 shown]
	s_wait_dscnt 0x0
	s_barrier_signal -1
	s_barrier_wait -1
.LBB882_16:
	v_lshlrev_b32_e32 v11, 2, v0
	v_lshrrev_b32_e32 v12, 3, v0
	s_and_not1_b32 vcc_lo, exec_lo, s6
	s_wait_alu 0xfffe
	s_cbranch_vccnz .LBB882_24
; %bb.17:
	v_dual_mov_b32 v13, 0 :: v_dual_mov_b32 v14, 0
	s_mov_b32 s6, exec_lo
	v_cmpx_gt_u32_e64 s3, v0
	s_cbranch_execz .LBB882_19
; %bb.18:
	v_lshlrev_b32_e32 v13, 3, v0
	global_load_b64 v[13:14], v13, s[0:1]
	s_wait_loadcnt 0x0
	v_cmp_eq_u64_e32 vcc_lo, 0, v[13:14]
	s_wait_alu 0xfffd
	v_cndmask_b32_e64 v13, 0, 1, vcc_lo
	v_cndmask_b32_e64 v14, 0, 1, vcc_lo
.LBB882_19:
	s_or_b32 exec_lo, exec_lo, s6
	v_or_b32_e32 v15, 0x100, v0
	s_mov_b32 s6, exec_lo
	s_delay_alu instid0(VALU_DEP_1)
	v_cmpx_gt_u32_e64 s3, v15
	s_cbranch_execnz .LBB882_140
; %bb.20:
	s_or_b32 exec_lo, exec_lo, s6
	s_delay_alu instid0(SALU_CYCLE_1)
	s_mov_b32 s6, exec_lo
	v_cmpx_gt_u32_e64 s3, v10
	s_cbranch_execnz .LBB882_141
.LBB882_21:
	s_or_b32 exec_lo, exec_lo, s6
	v_cmp_gt_u32_e32 vcc_lo, s3, v9
	s_and_saveexec_b32 s3, vcc_lo
	s_cbranch_execz .LBB882_23
.LBB882_22:
	v_lshlrev_b32_e32 v16, 3, v0
	global_load_b64 v[19:20], v16, s[0:1] offset:6144
	s_wait_loadcnt 0x0
	v_cmp_eq_u64_e32 vcc_lo, 0, v[19:20]
	v_lshrrev_b32_e32 v19, 16, v14
	s_wait_alu 0xfffd
	v_cndmask_b32_e64 v16, 0, 1, vcc_lo
	s_delay_alu instid0(VALU_DEP_1) | instskip(NEXT) | instid1(VALU_DEP_1)
	v_lshlrev_b16 v16, 8, v16
	v_or_b32_e32 v16, v19, v16
	s_delay_alu instid0(VALU_DEP_1) | instskip(NEXT) | instid1(VALU_DEP_1)
	v_lshlrev_b32_e32 v16, 16, v16
	v_and_or_b32 v14, 0xffff, v14, v16
.LBB882_23:
	s_wait_alu 0xfffe
	s_or_b32 exec_lo, exec_lo, s3
	v_lshrrev_b32_e32 v15, 5, v15
	v_lshrrev_b32_e32 v10, 5, v10
	;; [unrolled: 1-line block ×3, first 2 shown]
	v_and_b32_e32 v16, 4, v28
	v_lshrrev_b32_e32 v19, 8, v14
	v_and_b32_e32 v15, 12, v15
	v_and_b32_e32 v10, 28, v10
	;; [unrolled: 1-line block ×3, first 2 shown]
	v_add_nc_u32_e32 v16, v16, v0
	v_lshrrev_b32_e32 v20, 24, v14
	v_add_nc_u32_e32 v15, v15, v0
	v_add_nc_u32_e32 v10, v10, v0
	;; [unrolled: 1-line block ×3, first 2 shown]
	ds_store_b8 v16, v13
	ds_store_b8 v15, v19 offset:256
	ds_store_b8_d16_hi v10, v14 offset:512
	ds_store_b8 v9, v20 offset:768
	s_wait_loadcnt_dscnt 0x0
	s_barrier_signal -1
	s_barrier_wait -1
.LBB882_24:
	s_delay_alu instid0(VALU_DEP_1)
	v_dual_mov_b32 v10, 0 :: v_dual_and_b32 v9, 28, v12
	s_wait_loadcnt 0x0
	global_inv scope:SCOPE_SE
	v_mbcnt_lo_u32_b32 v33, -1, 0
	s_cmp_lg_u32 s20, 0
	v_add_nc_u32_e32 v9, v9, v11
	s_mov_b32 s1, -1
	s_delay_alu instid0(VALU_DEP_2)
	v_and_b32_e32 v34, 15, v33
	ds_load_b32 v29, v9
	s_wait_loadcnt_dscnt 0x0
	s_barrier_signal -1
	s_barrier_wait -1
	global_inv scope:SCOPE_SE
	v_and_b32_e32 v32, 0xff, v29
	v_bfe_u32 v31, v29, 8, 8
	v_bfe_u32 v30, v29, 16, 8
	v_lshrrev_b32_e32 v27, 24, v29
	s_delay_alu instid0(VALU_DEP_2) | instskip(NEXT) | instid1(VALU_DEP_1)
	v_add3_u32 v9, v31, v32, v30
	v_add_co_u32 v19, s0, v9, v27
	s_wait_alu 0xf1ff
	v_add_co_ci_u32_e64 v20, null, 0, 0, s0
	v_cmp_ne_u32_e64 s0, 0, v34
	s_cbranch_scc0 .LBB882_81
; %bb.25:
	v_mov_b32_e32 v11, v19
	v_mov_b32_dpp v9, v19 row_shr:1 row_mask:0xf bank_mask:0xf
	v_mov_b32_dpp v14, v10 row_shr:1 row_mask:0xf bank_mask:0xf
	v_dual_mov_b32 v13, v19 :: v_dual_mov_b32 v12, v20
	s_and_saveexec_b32 s1, s0
; %bb.26:
	s_delay_alu instid0(VALU_DEP_3) | instskip(SKIP_2) | instid1(VALU_DEP_2)
	v_add_co_u32 v13, vcc_lo, v19, v9
	s_wait_alu 0xfffd
	v_add_co_ci_u32_e64 v10, null, 0, v20, vcc_lo
	v_add_co_u32 v9, vcc_lo, 0, v13
	s_wait_alu 0xfffd
	s_delay_alu instid0(VALU_DEP_2) | instskip(NEXT) | instid1(VALU_DEP_1)
	v_add_co_ci_u32_e64 v10, null, v14, v10, vcc_lo
	v_dual_mov_b32 v12, v10 :: v_dual_mov_b32 v11, v9
; %bb.27:
	s_wait_alu 0xfffe
	s_or_b32 exec_lo, exec_lo, s1
	v_mov_b32_dpp v9, v13 row_shr:2 row_mask:0xf bank_mask:0xf
	v_mov_b32_dpp v14, v10 row_shr:2 row_mask:0xf bank_mask:0xf
	s_mov_b32 s1, exec_lo
	v_cmpx_lt_u32_e32 1, v34
; %bb.28:
	s_delay_alu instid0(VALU_DEP_3) | instskip(SKIP_2) | instid1(VALU_DEP_2)
	v_add_co_u32 v13, vcc_lo, v11, v9
	s_wait_alu 0xfffd
	v_add_co_ci_u32_e64 v10, null, 0, v12, vcc_lo
	v_add_co_u32 v9, vcc_lo, 0, v13
	s_wait_alu 0xfffd
	s_delay_alu instid0(VALU_DEP_2) | instskip(NEXT) | instid1(VALU_DEP_1)
	v_add_co_ci_u32_e64 v10, null, v14, v10, vcc_lo
	v_dual_mov_b32 v12, v10 :: v_dual_mov_b32 v11, v9
; %bb.29:
	s_wait_alu 0xfffe
	s_or_b32 exec_lo, exec_lo, s1
	v_mov_b32_dpp v9, v13 row_shr:4 row_mask:0xf bank_mask:0xf
	v_mov_b32_dpp v14, v10 row_shr:4 row_mask:0xf bank_mask:0xf
	s_mov_b32 s1, exec_lo
	v_cmpx_lt_u32_e32 3, v34
	;; [unrolled: 17-line block ×3, first 2 shown]
; %bb.32:
	s_delay_alu instid0(VALU_DEP_3) | instskip(SKIP_2) | instid1(VALU_DEP_2)
	v_add_co_u32 v13, vcc_lo, v11, v14
	s_wait_alu 0xfffd
	v_add_co_ci_u32_e64 v10, null, 0, v12, vcc_lo
	v_add_co_u32 v11, vcc_lo, 0, v13
	s_wait_alu 0xfffd
	s_delay_alu instid0(VALU_DEP_2) | instskip(NEXT) | instid1(VALU_DEP_1)
	v_add_co_ci_u32_e64 v12, null, v9, v10, vcc_lo
	v_mov_b32_e32 v10, v12
; %bb.33:
	s_wait_alu 0xfffe
	s_or_b32 exec_lo, exec_lo, s1
	ds_swizzle_b32 v9, v13 offset:swizzle(BROADCAST,32,15)
	ds_swizzle_b32 v14, v10 offset:swizzle(BROADCAST,32,15)
	v_and_b32_e32 v15, 16, v33
	s_mov_b32 s1, exec_lo
	s_delay_alu instid0(VALU_DEP_1)
	v_cmpx_ne_u32_e32 0, v15
	s_cbranch_execz .LBB882_35
; %bb.34:
	s_wait_dscnt 0x1
	v_add_co_u32 v13, vcc_lo, v11, v9
	s_wait_alu 0xfffd
	v_add_co_ci_u32_e64 v10, null, 0, v12, vcc_lo
	s_delay_alu instid0(VALU_DEP_2) | instskip(SKIP_2) | instid1(VALU_DEP_2)
	v_add_co_u32 v9, vcc_lo, 0, v13
	s_wait_dscnt 0x0
	s_wait_alu 0xfffd
	v_add_co_ci_u32_e64 v10, null, v14, v10, vcc_lo
	s_delay_alu instid0(VALU_DEP_1)
	v_dual_mov_b32 v12, v10 :: v_dual_mov_b32 v11, v9
.LBB882_35:
	s_wait_alu 0xfffe
	s_or_b32 exec_lo, exec_lo, s1
	s_wait_dscnt 0x1
	v_or_b32_e32 v9, 31, v0
	s_mov_b32 s1, exec_lo
	s_delay_alu instid0(VALU_DEP_1)
	v_cmpx_eq_u32_e64 v0, v9
; %bb.36:
	v_lshlrev_b32_e32 v9, 3, v28
	ds_store_b64 v9, v[11:12]
; %bb.37:
	s_wait_alu 0xfffe
	s_or_b32 exec_lo, exec_lo, s1
	s_delay_alu instid0(SALU_CYCLE_1)
	s_mov_b32 s1, exec_lo
	s_wait_loadcnt_dscnt 0x0
	s_barrier_signal -1
	s_barrier_wait -1
	global_inv scope:SCOPE_SE
	v_cmpx_gt_u32_e32 8, v0
	s_cbranch_execz .LBB882_45
; %bb.38:
	v_lshlrev_b32_e32 v9, 3, v0
	s_mov_b32 s3, exec_lo
	ds_load_b64 v[11:12], v9
	s_wait_dscnt 0x0
	v_dual_mov_b32 v15, v11 :: v_dual_and_b32 v14, 7, v33
	v_mov_b32_dpp v21, v11 row_shr:1 row_mask:0xf bank_mask:0xf
	v_mov_b32_dpp v16, v12 row_shr:1 row_mask:0xf bank_mask:0xf
	s_delay_alu instid0(VALU_DEP_3)
	v_cmpx_ne_u32_e32 0, v14
; %bb.39:
	s_delay_alu instid0(VALU_DEP_3) | instskip(SKIP_2) | instid1(VALU_DEP_2)
	v_add_co_u32 v15, vcc_lo, v11, v21
	s_wait_alu 0xfffd
	v_add_co_ci_u32_e64 v12, null, 0, v12, vcc_lo
	v_add_co_u32 v11, vcc_lo, 0, v15
	s_wait_alu 0xfffd
	s_delay_alu instid0(VALU_DEP_2)
	v_add_co_ci_u32_e64 v12, null, v16, v12, vcc_lo
; %bb.40:
	s_wait_alu 0xfffe
	s_or_b32 exec_lo, exec_lo, s3
	v_mov_b32_dpp v21, v15 row_shr:2 row_mask:0xf bank_mask:0xf
	s_delay_alu instid0(VALU_DEP_2)
	v_mov_b32_dpp v16, v12 row_shr:2 row_mask:0xf bank_mask:0xf
	s_mov_b32 s3, exec_lo
	v_cmpx_lt_u32_e32 1, v14
; %bb.41:
	s_delay_alu instid0(VALU_DEP_3) | instskip(SKIP_2) | instid1(VALU_DEP_2)
	v_add_co_u32 v15, vcc_lo, v11, v21
	s_wait_alu 0xfffd
	v_add_co_ci_u32_e64 v12, null, 0, v12, vcc_lo
	v_add_co_u32 v11, vcc_lo, 0, v15
	s_wait_alu 0xfffd
	s_delay_alu instid0(VALU_DEP_2)
	v_add_co_ci_u32_e64 v12, null, v16, v12, vcc_lo
; %bb.42:
	s_wait_alu 0xfffe
	s_or_b32 exec_lo, exec_lo, s3
	v_mov_b32_dpp v16, v15 row_shr:4 row_mask:0xf bank_mask:0xf
	s_delay_alu instid0(VALU_DEP_2)
	v_mov_b32_dpp v15, v12 row_shr:4 row_mask:0xf bank_mask:0xf
	s_mov_b32 s3, exec_lo
	v_cmpx_lt_u32_e32 3, v14
; %bb.43:
	s_delay_alu instid0(VALU_DEP_3) | instskip(SKIP_2) | instid1(VALU_DEP_2)
	v_add_co_u32 v11, vcc_lo, v11, v16
	s_wait_alu 0xfffd
	v_add_co_ci_u32_e64 v12, null, 0, v12, vcc_lo
	v_add_co_u32 v11, vcc_lo, v11, 0
	s_wait_alu 0xfffd
	s_delay_alu instid0(VALU_DEP_2)
	v_add_co_ci_u32_e64 v12, null, v12, v15, vcc_lo
; %bb.44:
	s_wait_alu 0xfffe
	s_or_b32 exec_lo, exec_lo, s3
	ds_store_b64 v9, v[11:12]
.LBB882_45:
	s_wait_alu 0xfffe
	s_or_b32 exec_lo, exec_lo, s1
	s_delay_alu instid0(SALU_CYCLE_1)
	s_mov_b32 s3, exec_lo
	v_cmp_gt_u32_e32 vcc_lo, 32, v0
	s_wait_loadcnt_dscnt 0x0
	s_barrier_signal -1
	s_barrier_wait -1
	global_inv scope:SCOPE_SE
                                        ; implicit-def: $vgpr21_vgpr22
	v_cmpx_lt_u32_e32 31, v0
	s_cbranch_execz .LBB882_47
; %bb.46:
	v_lshl_add_u32 v9, v28, 3, -8
	ds_load_b64 v[21:22], v9
	s_wait_dscnt 0x0
	v_add_co_u32 v13, s1, v13, v21
	s_wait_alu 0xf1ff
	v_add_co_ci_u32_e64 v10, null, v10, v22, s1
.LBB882_47:
	s_wait_alu 0xfffe
	s_or_b32 exec_lo, exec_lo, s3
	v_sub_co_u32 v9, s1, v33, 1
	s_delay_alu instid0(VALU_DEP_1) | instskip(SKIP_1) | instid1(VALU_DEP_1)
	v_cmp_gt_i32_e64 s3, 0, v9
	s_wait_alu 0xf1ff
	v_cndmask_b32_e64 v9, v9, v33, s3
	s_delay_alu instid0(VALU_DEP_1)
	v_lshlrev_b32_e32 v9, 2, v9
	ds_bpermute_b32 v35, v9, v13
	ds_bpermute_b32 v36, v9, v10
	s_and_saveexec_b32 s3, vcc_lo
	s_cbranch_execz .LBB882_86
; %bb.48:
	v_mov_b32_e32 v12, 0
	ds_load_b64 v[9:10], v12 offset:56
	s_and_saveexec_b32 s6, s1
	s_cbranch_execz .LBB882_50
; %bb.49:
	s_add_co_i32 s8, s20, 32
	s_mov_b32 s9, 0
	s_wait_alu 0xfffe
	s_lshl_b64 s[8:9], s[8:9], 4
	s_wait_alu 0xfffe
	s_add_nc_u64 s[8:9], s[14:15], s[8:9]
	s_wait_alu 0xfffe
	v_dual_mov_b32 v11, 1 :: v_dual_mov_b32 v14, s9
	v_mov_b32_e32 v13, s8
	s_wait_dscnt 0x0
	;;#ASMSTART
	global_store_b128 v[13:14], v[9:12] off scope:SCOPE_DEV	
s_wait_storecnt 0x0
	;;#ASMEND
.LBB882_50:
	s_or_b32 exec_lo, exec_lo, s6
	v_xad_u32 v23, v33, -1, s20
	s_mov_b32 s7, 0
	s_mov_b32 s6, exec_lo
	s_delay_alu instid0(VALU_DEP_1) | instskip(NEXT) | instid1(VALU_DEP_1)
	v_add_nc_u32_e32 v11, 32, v23
	v_lshlrev_b64_e32 v[11:12], 4, v[11:12]
	s_delay_alu instid0(VALU_DEP_1) | instskip(SKIP_1) | instid1(VALU_DEP_2)
	v_add_co_u32 v11, vcc_lo, s14, v11
	s_wait_alu 0xfffd
	v_add_co_ci_u32_e64 v12, null, s15, v12, vcc_lo
	;;#ASMSTART
	global_load_b128 v[13:16], v[11:12] off scope:SCOPE_DEV	
s_wait_loadcnt 0x0
	;;#ASMEND
	v_and_b32_e32 v16, 0xff, v15
	s_delay_alu instid0(VALU_DEP_1)
	v_cmpx_eq_u16_e32 0, v16
	s_cbranch_execz .LBB882_53
.LBB882_51:                             ; =>This Inner Loop Header: Depth=1
	;;#ASMSTART
	global_load_b128 v[13:16], v[11:12] off scope:SCOPE_DEV	
s_wait_loadcnt 0x0
	;;#ASMEND
	v_and_b32_e32 v16, 0xff, v15
	s_delay_alu instid0(VALU_DEP_1) | instskip(SKIP_1) | instid1(SALU_CYCLE_1)
	v_cmp_ne_u16_e32 vcc_lo, 0, v16
	s_or_b32 s7, vcc_lo, s7
	s_and_not1_b32 exec_lo, exec_lo, s7
	s_cbranch_execnz .LBB882_51
; %bb.52:
	s_or_b32 exec_lo, exec_lo, s7
.LBB882_53:
	s_delay_alu instid0(SALU_CYCLE_1)
	s_or_b32 exec_lo, exec_lo, s6
	v_cmp_ne_u32_e32 vcc_lo, 31, v33
	v_and_b32_e32 v12, 0xff, v15
	v_lshlrev_b32_e64 v38, v33, -1
	s_mov_b32 s6, exec_lo
	s_wait_alu 0xfffd
	v_add_co_ci_u32_e64 v11, null, 0, v33, vcc_lo
	v_cmp_eq_u16_e32 vcc_lo, 2, v12
	s_delay_alu instid0(VALU_DEP_2)
	v_dual_mov_b32 v12, v13 :: v_dual_lshlrev_b32 v37, 2, v11
	s_wait_alu 0xfffd
	v_and_or_b32 v11, vcc_lo, v38, 0x80000000
	ds_bpermute_b32 v24, v37, v13
	ds_bpermute_b32 v16, v37, v14
	v_ctz_i32_b32_e32 v11, v11
	s_delay_alu instid0(VALU_DEP_1)
	v_cmpx_lt_u32_e64 v33, v11
	s_cbranch_execz .LBB882_55
; %bb.54:
	s_wait_dscnt 0x1
	v_add_co_u32 v12, vcc_lo, v13, v24
	s_wait_alu 0xfffd
	v_add_co_ci_u32_e64 v14, null, 0, v14, vcc_lo
	s_delay_alu instid0(VALU_DEP_2) | instskip(SKIP_2) | instid1(VALU_DEP_2)
	v_add_co_u32 v13, vcc_lo, 0, v12
	s_wait_dscnt 0x0
	s_wait_alu 0xfffd
	v_add_co_ci_u32_e64 v14, null, v16, v14, vcc_lo
.LBB882_55:
	s_or_b32 exec_lo, exec_lo, s6
	v_cmp_gt_u32_e32 vcc_lo, 30, v33
	v_add_nc_u32_e32 v40, 2, v33
	s_mov_b32 s6, exec_lo
	s_wait_dscnt 0x0
	s_wait_alu 0xfffd
	v_cndmask_b32_e64 v16, 0, 2, vcc_lo
	s_delay_alu instid0(VALU_DEP_1)
	v_add_lshl_u32 v39, v16, v33, 2
	ds_bpermute_b32 v24, v39, v12
	ds_bpermute_b32 v16, v39, v14
	v_cmpx_le_u32_e64 v40, v11
	s_cbranch_execz .LBB882_57
; %bb.56:
	s_wait_dscnt 0x1
	v_add_co_u32 v12, vcc_lo, v13, v24
	s_wait_alu 0xfffd
	v_add_co_ci_u32_e64 v14, null, 0, v14, vcc_lo
	s_delay_alu instid0(VALU_DEP_2) | instskip(SKIP_2) | instid1(VALU_DEP_2)
	v_add_co_u32 v13, vcc_lo, 0, v12
	s_wait_dscnt 0x0
	s_wait_alu 0xfffd
	v_add_co_ci_u32_e64 v14, null, v16, v14, vcc_lo
.LBB882_57:
	s_or_b32 exec_lo, exec_lo, s6
	v_cmp_gt_u32_e32 vcc_lo, 28, v33
	v_add_nc_u32_e32 v42, 4, v33
	s_mov_b32 s6, exec_lo
	s_wait_dscnt 0x0
	s_wait_alu 0xfffd
	v_cndmask_b32_e64 v16, 0, 4, vcc_lo
	s_delay_alu instid0(VALU_DEP_1)
	v_add_lshl_u32 v41, v16, v33, 2
	ds_bpermute_b32 v24, v41, v12
	ds_bpermute_b32 v16, v41, v14
	v_cmpx_le_u32_e64 v42, v11
	;; [unrolled: 24-line block ×3, first 2 shown]
	s_cbranch_execz .LBB882_61
; %bb.60:
	s_wait_dscnt 0x1
	v_add_co_u32 v12, vcc_lo, v13, v24
	s_wait_alu 0xfffd
	v_add_co_ci_u32_e64 v14, null, 0, v14, vcc_lo
	s_delay_alu instid0(VALU_DEP_2) | instskip(SKIP_2) | instid1(VALU_DEP_2)
	v_add_co_u32 v13, vcc_lo, 0, v12
	s_wait_dscnt 0x0
	s_wait_alu 0xfffd
	v_add_co_ci_u32_e64 v14, null, v16, v14, vcc_lo
.LBB882_61:
	s_or_b32 exec_lo, exec_lo, s6
	v_lshl_or_b32 v45, v33, 2, 64
	v_add_nc_u32_e32 v46, 16, v33
	s_mov_b32 s6, exec_lo
	s_wait_dscnt 0x0
	ds_bpermute_b32 v16, v45, v12
	ds_bpermute_b32 v12, v45, v14
	v_cmpx_le_u32_e64 v46, v11
	s_cbranch_execz .LBB882_63
; %bb.62:
	s_wait_dscnt 0x1
	v_add_co_u32 v11, vcc_lo, v13, v16
	s_wait_alu 0xfffd
	v_add_co_ci_u32_e64 v14, null, 0, v14, vcc_lo
	s_delay_alu instid0(VALU_DEP_2) | instskip(SKIP_2) | instid1(VALU_DEP_2)
	v_add_co_u32 v13, vcc_lo, v11, 0
	s_wait_dscnt 0x0
	s_wait_alu 0xfffd
	v_add_co_ci_u32_e64 v14, null, v14, v12, vcc_lo
.LBB882_63:
	s_or_b32 exec_lo, exec_lo, s6
	v_mov_b32_e32 v24, 0
	s_branch .LBB882_66
.LBB882_64:                             ;   in Loop: Header=BB882_66 Depth=1
	s_or_b32 exec_lo, exec_lo, s6
	v_add_co_u32 v13, vcc_lo, v13, v11
	v_subrev_nc_u32_e32 v23, 32, v23
	s_wait_alu 0xfffd
	v_add_co_ci_u32_e64 v14, null, v14, v12, vcc_lo
	s_mov_b32 s6, 0
.LBB882_65:                             ;   in Loop: Header=BB882_66 Depth=1
	s_delay_alu instid0(SALU_CYCLE_1)
	s_and_b32 vcc_lo, exec_lo, s6
	s_wait_alu 0xfffe
	s_cbranch_vccnz .LBB882_82
.LBB882_66:                             ; =>This Loop Header: Depth=1
                                        ;     Child Loop BB882_69 Depth 2
	v_and_b32_e32 v11, 0xff, v15
	s_mov_b32 s6, -1
	s_delay_alu instid0(VALU_DEP_1)
	v_cmp_ne_u16_e32 vcc_lo, 2, v11
	s_wait_dscnt 0x0
	v_dual_mov_b32 v11, v13 :: v_dual_mov_b32 v12, v14
                                        ; implicit-def: $vgpr13_vgpr14
	s_cmp_lg_u32 vcc_lo, exec_lo
	s_cbranch_scc1 .LBB882_65
; %bb.67:                               ;   in Loop: Header=BB882_66 Depth=1
	v_lshlrev_b64_e32 v[13:14], 4, v[23:24]
	s_mov_b32 s6, exec_lo
	s_delay_alu instid0(VALU_DEP_1) | instskip(SKIP_1) | instid1(VALU_DEP_2)
	v_add_co_u32 v25, vcc_lo, s14, v13
	s_wait_alu 0xfffd
	v_add_co_ci_u32_e64 v26, null, s15, v14, vcc_lo
	;;#ASMSTART
	global_load_b128 v[13:16], v[25:26] off scope:SCOPE_DEV	
s_wait_loadcnt 0x0
	;;#ASMEND
	v_and_b32_e32 v16, 0xff, v15
	s_delay_alu instid0(VALU_DEP_1)
	v_cmpx_eq_u16_e32 0, v16
	s_cbranch_execz .LBB882_71
; %bb.68:                               ;   in Loop: Header=BB882_66 Depth=1
	s_mov_b32 s7, 0
.LBB882_69:                             ;   Parent Loop BB882_66 Depth=1
                                        ; =>  This Inner Loop Header: Depth=2
	;;#ASMSTART
	global_load_b128 v[13:16], v[25:26] off scope:SCOPE_DEV	
s_wait_loadcnt 0x0
	;;#ASMEND
	v_and_b32_e32 v16, 0xff, v15
	s_delay_alu instid0(VALU_DEP_1) | instskip(SKIP_1) | instid1(SALU_CYCLE_1)
	v_cmp_ne_u16_e32 vcc_lo, 0, v16
	s_or_b32 s7, vcc_lo, s7
	s_and_not1_b32 exec_lo, exec_lo, s7
	s_cbranch_execnz .LBB882_69
; %bb.70:                               ;   in Loop: Header=BB882_66 Depth=1
	s_or_b32 exec_lo, exec_lo, s7
.LBB882_71:                             ;   in Loop: Header=BB882_66 Depth=1
	s_delay_alu instid0(SALU_CYCLE_1)
	s_or_b32 exec_lo, exec_lo, s6
	v_dual_mov_b32 v25, v13 :: v_dual_and_b32 v16, 0xff, v15
	ds_bpermute_b32 v47, v37, v13
	ds_bpermute_b32 v26, v37, v14
	s_mov_b32 s6, exec_lo
	v_cmp_eq_u16_e32 vcc_lo, 2, v16
	s_wait_alu 0xfffd
	v_and_or_b32 v16, vcc_lo, v38, 0x80000000
	s_delay_alu instid0(VALU_DEP_1) | instskip(NEXT) | instid1(VALU_DEP_1)
	v_ctz_i32_b32_e32 v16, v16
	v_cmpx_lt_u32_e64 v33, v16
	s_cbranch_execz .LBB882_73
; %bb.72:                               ;   in Loop: Header=BB882_66 Depth=1
	s_wait_dscnt 0x1
	v_add_co_u32 v25, vcc_lo, v13, v47
	s_wait_alu 0xfffd
	v_add_co_ci_u32_e64 v14, null, 0, v14, vcc_lo
	s_delay_alu instid0(VALU_DEP_2) | instskip(SKIP_2) | instid1(VALU_DEP_2)
	v_add_co_u32 v13, vcc_lo, 0, v25
	s_wait_dscnt 0x0
	s_wait_alu 0xfffd
	v_add_co_ci_u32_e64 v14, null, v26, v14, vcc_lo
.LBB882_73:                             ;   in Loop: Header=BB882_66 Depth=1
	s_or_b32 exec_lo, exec_lo, s6
	s_wait_dscnt 0x1
	ds_bpermute_b32 v47, v39, v25
	s_wait_dscnt 0x1
	ds_bpermute_b32 v26, v39, v14
	s_mov_b32 s6, exec_lo
	v_cmpx_le_u32_e64 v40, v16
	s_cbranch_execz .LBB882_75
; %bb.74:                               ;   in Loop: Header=BB882_66 Depth=1
	s_wait_dscnt 0x1
	v_add_co_u32 v25, vcc_lo, v13, v47
	s_wait_alu 0xfffd
	v_add_co_ci_u32_e64 v14, null, 0, v14, vcc_lo
	s_delay_alu instid0(VALU_DEP_2) | instskip(SKIP_2) | instid1(VALU_DEP_2)
	v_add_co_u32 v13, vcc_lo, 0, v25
	s_wait_dscnt 0x0
	s_wait_alu 0xfffd
	v_add_co_ci_u32_e64 v14, null, v26, v14, vcc_lo
.LBB882_75:                             ;   in Loop: Header=BB882_66 Depth=1
	s_or_b32 exec_lo, exec_lo, s6
	s_wait_dscnt 0x1
	ds_bpermute_b32 v47, v41, v25
	s_wait_dscnt 0x1
	ds_bpermute_b32 v26, v41, v14
	s_mov_b32 s6, exec_lo
	v_cmpx_le_u32_e64 v42, v16
	;; [unrolled: 19-line block ×3, first 2 shown]
	s_cbranch_execz .LBB882_79
; %bb.78:                               ;   in Loop: Header=BB882_66 Depth=1
	s_wait_dscnt 0x1
	v_add_co_u32 v25, vcc_lo, v13, v47
	s_wait_alu 0xfffd
	v_add_co_ci_u32_e64 v14, null, 0, v14, vcc_lo
	s_delay_alu instid0(VALU_DEP_2) | instskip(SKIP_2) | instid1(VALU_DEP_2)
	v_add_co_u32 v13, vcc_lo, 0, v25
	s_wait_dscnt 0x0
	s_wait_alu 0xfffd
	v_add_co_ci_u32_e64 v14, null, v26, v14, vcc_lo
.LBB882_79:                             ;   in Loop: Header=BB882_66 Depth=1
	s_or_b32 exec_lo, exec_lo, s6
	s_wait_dscnt 0x0
	ds_bpermute_b32 v26, v45, v25
	ds_bpermute_b32 v25, v45, v14
	s_mov_b32 s6, exec_lo
	v_cmpx_le_u32_e64 v46, v16
	s_cbranch_execz .LBB882_64
; %bb.80:                               ;   in Loop: Header=BB882_66 Depth=1
	s_wait_dscnt 0x1
	v_add_co_u32 v13, vcc_lo, v13, v26
	s_wait_alu 0xfffd
	v_add_co_ci_u32_e64 v14, null, 0, v14, vcc_lo
	s_delay_alu instid0(VALU_DEP_2) | instskip(SKIP_2) | instid1(VALU_DEP_2)
	v_add_co_u32 v13, vcc_lo, v13, 0
	s_wait_dscnt 0x0
	s_wait_alu 0xfffd
	v_add_co_ci_u32_e64 v14, null, v14, v25, vcc_lo
	s_branch .LBB882_64
.LBB882_81:
                                        ; implicit-def: $vgpr15_vgpr16
                                        ; implicit-def: $vgpr13_vgpr14
                                        ; implicit-def: $vgpr21_vgpr22
                                        ; implicit-def: $vgpr23_vgpr24
                                        ; implicit-def: $vgpr11_vgpr12
	s_wait_alu 0xfffe
	s_and_b32 vcc_lo, exec_lo, s1
	s_wait_alu 0xfffe
	s_cbranch_vccnz .LBB882_87
	s_branch .LBB882_112
.LBB882_82:
	s_and_saveexec_b32 s6, s1
	s_cbranch_execz .LBB882_84
; %bb.83:
	s_add_co_i32 s8, s20, 32
	s_mov_b32 s9, 0
	v_add_co_u32 v13, vcc_lo, v11, v9
	s_wait_alu 0xfffe
	s_lshl_b64 s[8:9], s[8:9], 4
	v_dual_mov_b32 v15, 2 :: v_dual_mov_b32 v16, 0
	s_wait_alu 0xfffe
	s_add_nc_u64 s[8:9], s[14:15], s[8:9]
	s_wait_alu 0xfffd
	v_add_co_ci_u32_e64 v14, null, v12, v10, vcc_lo
	s_wait_alu 0xfffe
	v_dual_mov_b32 v24, s9 :: v_dual_mov_b32 v23, s8
	;;#ASMSTART
	global_store_b128 v[23:24], v[13:16] off scope:SCOPE_DEV	
s_wait_storecnt 0x0
	;;#ASMEND
	ds_store_b128 v16, v[9:12] offset:8448
.LBB882_84:
	s_or_b32 exec_lo, exec_lo, s6
	s_delay_alu instid0(SALU_CYCLE_1)
	s_and_b32 exec_lo, exec_lo, s2
; %bb.85:
	v_mov_b32_e32 v9, 0
	ds_store_b64 v9, v[11:12] offset:56
.LBB882_86:
	s_wait_alu 0xfffe
	s_or_b32 exec_lo, exec_lo, s3
	v_mov_b32_e32 v9, 0
	s_wait_loadcnt_dscnt 0x0
	s_barrier_signal -1
	s_barrier_wait -1
	global_inv scope:SCOPE_SE
	ds_load_b64 v[13:14], v9 offset:56
	v_cndmask_b32_e64 v11, v35, v21, s1
	v_cndmask_b32_e64 v10, v36, v22, s1
	s_wait_loadcnt_dscnt 0x0
	s_barrier_signal -1
	s_barrier_wait -1
	v_cndmask_b32_e64 v16, v11, 0, s2
	v_cndmask_b32_e64 v15, v10, 0, s2
	global_inv scope:SCOPE_SE
	ds_load_b128 v[9:12], v9 offset:8448
	v_add_co_u32 v23, vcc_lo, v13, v16
	s_wait_alu 0xfffd
	v_add_co_ci_u32_e64 v24, null, v14, v15, vcc_lo
	s_delay_alu instid0(VALU_DEP_2) | instskip(SKIP_1) | instid1(VALU_DEP_2)
	v_add_co_u32 v21, vcc_lo, v23, v32
	s_wait_alu 0xfffd
	v_add_co_ci_u32_e64 v22, null, 0, v24, vcc_lo
	s_delay_alu instid0(VALU_DEP_2) | instskip(SKIP_1) | instid1(VALU_DEP_2)
	;; [unrolled: 4-line block ×3, first 2 shown]
	v_add_co_u32 v15, vcc_lo, v13, v30
	s_wait_alu 0xfffd
	v_add_co_ci_u32_e64 v16, null, 0, v14, vcc_lo
	s_branch .LBB882_112
.LBB882_87:
	s_wait_dscnt 0x0
	v_dual_mov_b32 v10, 0 :: v_dual_mov_b32 v11, v19
	v_mov_b32_dpp v12, v19 row_shr:1 row_mask:0xf bank_mask:0xf
	s_delay_alu instid0(VALU_DEP_2)
	v_mov_b32_dpp v9, v10 row_shr:1 row_mask:0xf bank_mask:0xf
	s_and_saveexec_b32 s1, s0
; %bb.88:
	s_delay_alu instid0(VALU_DEP_2) | instskip(SKIP_2) | instid1(VALU_DEP_2)
	v_add_co_u32 v11, vcc_lo, v19, v12
	s_wait_alu 0xfffd
	v_add_co_ci_u32_e64 v10, null, 0, v20, vcc_lo
	v_add_co_u32 v19, vcc_lo, 0, v11
	s_wait_alu 0xfffd
	s_delay_alu instid0(VALU_DEP_2) | instskip(NEXT) | instid1(VALU_DEP_1)
	v_add_co_ci_u32_e64 v20, null, v9, v10, vcc_lo
	v_mov_b32_e32 v10, v20
; %bb.89:
	s_wait_alu 0xfffe
	s_or_b32 exec_lo, exec_lo, s1
	v_mov_b32_dpp v9, v11 row_shr:2 row_mask:0xf bank_mask:0xf
	s_delay_alu instid0(VALU_DEP_2)
	v_mov_b32_dpp v12, v10 row_shr:2 row_mask:0xf bank_mask:0xf
	s_mov_b32 s0, exec_lo
	v_cmpx_lt_u32_e32 1, v34
; %bb.90:
	s_delay_alu instid0(VALU_DEP_3) | instskip(SKIP_2) | instid1(VALU_DEP_2)
	v_add_co_u32 v11, vcc_lo, v19, v9
	s_wait_alu 0xfffd
	v_add_co_ci_u32_e64 v10, null, 0, v20, vcc_lo
	v_add_co_u32 v9, vcc_lo, 0, v11
	s_wait_alu 0xfffd
	s_delay_alu instid0(VALU_DEP_2) | instskip(NEXT) | instid1(VALU_DEP_1)
	v_add_co_ci_u32_e64 v10, null, v12, v10, vcc_lo
	v_dual_mov_b32 v20, v10 :: v_dual_mov_b32 v19, v9
; %bb.91:
	s_wait_alu 0xfffe
	s_or_b32 exec_lo, exec_lo, s0
	v_mov_b32_dpp v9, v11 row_shr:4 row_mask:0xf bank_mask:0xf
	v_mov_b32_dpp v12, v10 row_shr:4 row_mask:0xf bank_mask:0xf
	s_mov_b32 s0, exec_lo
	v_cmpx_lt_u32_e32 3, v34
; %bb.92:
	s_delay_alu instid0(VALU_DEP_3) | instskip(SKIP_2) | instid1(VALU_DEP_2)
	v_add_co_u32 v11, vcc_lo, v19, v9
	s_wait_alu 0xfffd
	v_add_co_ci_u32_e64 v10, null, 0, v20, vcc_lo
	v_add_co_u32 v9, vcc_lo, 0, v11
	s_wait_alu 0xfffd
	s_delay_alu instid0(VALU_DEP_2) | instskip(NEXT) | instid1(VALU_DEP_1)
	v_add_co_ci_u32_e64 v10, null, v12, v10, vcc_lo
	v_dual_mov_b32 v20, v10 :: v_dual_mov_b32 v19, v9
; %bb.93:
	s_wait_alu 0xfffe
	s_or_b32 exec_lo, exec_lo, s0
	v_mov_b32_dpp v12, v11 row_shr:8 row_mask:0xf bank_mask:0xf
	v_mov_b32_dpp v9, v10 row_shr:8 row_mask:0xf bank_mask:0xf
	s_mov_b32 s0, exec_lo
	v_cmpx_lt_u32_e32 7, v34
; %bb.94:
	s_delay_alu instid0(VALU_DEP_3) | instskip(SKIP_2) | instid1(VALU_DEP_2)
	v_add_co_u32 v11, vcc_lo, v19, v12
	s_wait_alu 0xfffd
	v_add_co_ci_u32_e64 v10, null, 0, v20, vcc_lo
	v_add_co_u32 v19, vcc_lo, 0, v11
	s_wait_alu 0xfffd
	s_delay_alu instid0(VALU_DEP_2) | instskip(NEXT) | instid1(VALU_DEP_1)
	v_add_co_ci_u32_e64 v20, null, v9, v10, vcc_lo
	v_mov_b32_e32 v10, v20
; %bb.95:
	s_wait_alu 0xfffe
	s_or_b32 exec_lo, exec_lo, s0
	ds_swizzle_b32 v11, v11 offset:swizzle(BROADCAST,32,15)
	ds_swizzle_b32 v9, v10 offset:swizzle(BROADCAST,32,15)
	v_and_b32_e32 v10, 16, v33
	s_mov_b32 s0, exec_lo
	s_delay_alu instid0(VALU_DEP_1)
	v_cmpx_ne_u32_e32 0, v10
	s_cbranch_execz .LBB882_97
; %bb.96:
	s_wait_dscnt 0x1
	v_add_co_u32 v10, vcc_lo, v19, v11
	s_wait_alu 0xfffd
	v_add_co_ci_u32_e64 v11, null, 0, v20, vcc_lo
	s_delay_alu instid0(VALU_DEP_2) | instskip(SKIP_2) | instid1(VALU_DEP_2)
	v_add_co_u32 v19, vcc_lo, v10, 0
	s_wait_dscnt 0x0
	s_wait_alu 0xfffd
	v_add_co_ci_u32_e64 v20, null, v11, v9, vcc_lo
.LBB882_97:
	s_wait_alu 0xfffe
	s_or_b32 exec_lo, exec_lo, s0
	s_wait_dscnt 0x0
	v_or_b32_e32 v9, 31, v0
	s_mov_b32 s0, exec_lo
	s_delay_alu instid0(VALU_DEP_1)
	v_cmpx_eq_u32_e64 v0, v9
; %bb.98:
	v_lshlrev_b32_e32 v9, 3, v28
	ds_store_b64 v9, v[19:20]
; %bb.99:
	s_wait_alu 0xfffe
	s_or_b32 exec_lo, exec_lo, s0
	s_delay_alu instid0(SALU_CYCLE_1)
	s_mov_b32 s0, exec_lo
	s_wait_loadcnt_dscnt 0x0
	s_barrier_signal -1
	s_barrier_wait -1
	global_inv scope:SCOPE_SE
	v_cmpx_gt_u32_e32 8, v0
	s_cbranch_execz .LBB882_107
; %bb.100:
	v_lshlrev_b32_e32 v11, 3, v0
	s_mov_b32 s1, exec_lo
	ds_load_b64 v[9:10], v11
	s_wait_dscnt 0x0
	v_dual_mov_b32 v13, v9 :: v_dual_and_b32 v12, 7, v33
	v_mov_b32_dpp v15, v9 row_shr:1 row_mask:0xf bank_mask:0xf
	v_mov_b32_dpp v14, v10 row_shr:1 row_mask:0xf bank_mask:0xf
	s_delay_alu instid0(VALU_DEP_3)
	v_cmpx_ne_u32_e32 0, v12
; %bb.101:
	s_delay_alu instid0(VALU_DEP_3) | instskip(SKIP_2) | instid1(VALU_DEP_2)
	v_add_co_u32 v13, vcc_lo, v9, v15
	s_wait_alu 0xfffd
	v_add_co_ci_u32_e64 v10, null, 0, v10, vcc_lo
	v_add_co_u32 v9, vcc_lo, 0, v13
	s_wait_alu 0xfffd
	s_delay_alu instid0(VALU_DEP_2)
	v_add_co_ci_u32_e64 v10, null, v14, v10, vcc_lo
; %bb.102:
	s_wait_alu 0xfffe
	s_or_b32 exec_lo, exec_lo, s1
	v_mov_b32_dpp v15, v13 row_shr:2 row_mask:0xf bank_mask:0xf
	s_delay_alu instid0(VALU_DEP_2)
	v_mov_b32_dpp v14, v10 row_shr:2 row_mask:0xf bank_mask:0xf
	s_mov_b32 s1, exec_lo
	v_cmpx_lt_u32_e32 1, v12
; %bb.103:
	s_delay_alu instid0(VALU_DEP_3) | instskip(SKIP_2) | instid1(VALU_DEP_2)
	v_add_co_u32 v13, vcc_lo, v9, v15
	s_wait_alu 0xfffd
	v_add_co_ci_u32_e64 v10, null, 0, v10, vcc_lo
	v_add_co_u32 v9, vcc_lo, 0, v13
	s_wait_alu 0xfffd
	s_delay_alu instid0(VALU_DEP_2)
	v_add_co_ci_u32_e64 v10, null, v14, v10, vcc_lo
; %bb.104:
	s_wait_alu 0xfffe
	s_or_b32 exec_lo, exec_lo, s1
	v_mov_b32_dpp v14, v13 row_shr:4 row_mask:0xf bank_mask:0xf
	s_delay_alu instid0(VALU_DEP_2)
	v_mov_b32_dpp v13, v10 row_shr:4 row_mask:0xf bank_mask:0xf
	s_mov_b32 s1, exec_lo
	v_cmpx_lt_u32_e32 3, v12
; %bb.105:
	s_delay_alu instid0(VALU_DEP_3) | instskip(SKIP_2) | instid1(VALU_DEP_2)
	v_add_co_u32 v9, vcc_lo, v9, v14
	s_wait_alu 0xfffd
	v_add_co_ci_u32_e64 v10, null, 0, v10, vcc_lo
	v_add_co_u32 v9, vcc_lo, v9, 0
	s_wait_alu 0xfffd
	s_delay_alu instid0(VALU_DEP_2)
	v_add_co_ci_u32_e64 v10, null, v10, v13, vcc_lo
; %bb.106:
	s_wait_alu 0xfffe
	s_or_b32 exec_lo, exec_lo, s1
	ds_store_b64 v11, v[9:10]
.LBB882_107:
	s_wait_alu 0xfffe
	s_or_b32 exec_lo, exec_lo, s0
	v_mov_b32_e32 v13, 0
	v_mov_b32_e32 v14, 0
	s_mov_b32 s0, exec_lo
	s_wait_loadcnt_dscnt 0x0
	s_barrier_signal -1
	s_barrier_wait -1
	global_inv scope:SCOPE_SE
	v_cmpx_lt_u32_e32 31, v0
; %bb.108:
	v_lshl_add_u32 v9, v28, 3, -8
	ds_load_b64 v[13:14], v9
; %bb.109:
	s_wait_alu 0xfffe
	s_or_b32 exec_lo, exec_lo, s0
	v_sub_co_u32 v9, vcc_lo, v33, 1
	v_mov_b32_e32 v12, 0
	s_delay_alu instid0(VALU_DEP_2) | instskip(SKIP_1) | instid1(VALU_DEP_1)
	v_cmp_gt_i32_e64 s0, 0, v9
	s_wait_alu 0xf1ff
	v_cndmask_b32_e64 v9, v9, v33, s0
	s_wait_dscnt 0x0
	v_add_co_u32 v10, s0, v13, v19
	s_wait_alu 0xf1ff
	v_add_co_ci_u32_e64 v11, null, v14, v20, s0
	v_lshlrev_b32_e32 v9, 2, v9
	ds_bpermute_b32 v15, v9, v10
	ds_bpermute_b32 v16, v9, v11
	ds_load_b64 v[9:10], v12 offset:56
	s_and_saveexec_b32 s0, s2
	s_cbranch_execz .LBB882_111
; %bb.110:
	s_add_nc_u64 s[6:7], s[14:15], 0x200
	s_delay_alu instid0(SALU_CYCLE_1)
	v_dual_mov_b32 v11, 2 :: v_dual_mov_b32 v20, s7
	v_mov_b32_e32 v19, s6
	s_wait_dscnt 0x0
	;;#ASMSTART
	global_store_b128 v[19:20], v[9:12] off scope:SCOPE_DEV	
s_wait_storecnt 0x0
	;;#ASMEND
.LBB882_111:
	s_wait_alu 0xfffe
	s_or_b32 exec_lo, exec_lo, s0
	s_wait_dscnt 0x1
	s_wait_alu 0xfffd
	v_dual_cndmask_b32 v11, v15, v13 :: v_dual_cndmask_b32 v12, v16, v14
	s_wait_loadcnt_dscnt 0x0
	s_barrier_signal -1
	s_barrier_wait -1
	s_delay_alu instid0(VALU_DEP_1)
	v_cndmask_b32_e64 v23, v11, 0, s2
	v_cndmask_b32_e64 v24, v12, 0, s2
	v_mov_b32_e32 v11, 0
	v_mov_b32_e32 v12, 0
	global_inv scope:SCOPE_SE
	v_add_co_u32 v21, vcc_lo, v23, v32
	s_wait_alu 0xfffd
	v_add_co_ci_u32_e64 v22, null, 0, v24, vcc_lo
	s_delay_alu instid0(VALU_DEP_2) | instskip(SKIP_1) | instid1(VALU_DEP_2)
	v_add_co_u32 v13, vcc_lo, v21, v31
	s_wait_alu 0xfffd
	v_add_co_ci_u32_e64 v14, null, 0, v22, vcc_lo
	s_delay_alu instid0(VALU_DEP_2) | instskip(SKIP_1) | instid1(VALU_DEP_2)
	v_add_co_u32 v15, vcc_lo, v13, v30
	s_wait_alu 0xfffd
	v_add_co_ci_u32_e64 v16, null, 0, v14, vcc_lo
.LBB882_112:
	v_and_b32_e32 v28, 1, v29
	s_wait_dscnt 0x0
	v_cmp_gt_u64_e32 vcc_lo, 0x101, v[9:10]
	v_lshrrev_b32_e32 v25, 16, v29
	v_lshrrev_b32_e32 v26, 8, v29
	s_mov_b32 s1, -1
	v_cmp_eq_u32_e64 s0, 1, v28
	s_cbranch_vccnz .LBB882_116
; %bb.113:
	s_wait_alu 0xfffe
	s_and_b32 vcc_lo, exec_lo, s1
	s_wait_alu 0xfffe
	s_cbranch_vccnz .LBB882_125
.LBB882_114:
	s_and_b32 s0, s2, s18
	s_wait_alu 0xfffe
	s_and_saveexec_b32 s1, s0
	s_cbranch_execnz .LBB882_137
.LBB882_115:
	s_endpgm
.LBB882_116:
	v_add_co_u32 v19, vcc_lo, v11, v9
	s_wait_alu 0xfffd
	v_add_co_ci_u32_e64 v20, null, v12, v10, vcc_lo
	v_lshlrev_b64_e32 v[29:30], 3, v[17:18]
	s_delay_alu instid0(VALU_DEP_2) | instskip(NEXT) | instid1(VALU_DEP_2)
	v_cmp_lt_u64_e32 vcc_lo, v[23:24], v[19:20]
	v_add_co_u32 v29, s1, s12, v29
	s_wait_alu 0xf1fe
	s_delay_alu instid0(VALU_DEP_3)
	v_add_co_ci_u32_e64 v30, null, s13, v30, s1
	s_or_b32 s1, s19, vcc_lo
	s_wait_alu 0xfffe
	s_and_b32 s1, s1, s0
	s_wait_alu 0xfffe
	s_and_saveexec_b32 s0, s1
	s_cbranch_execz .LBB882_118
; %bb.117:
	v_lshlrev_b64_e32 v[31:32], 3, v[23:24]
	s_delay_alu instid0(VALU_DEP_1) | instskip(SKIP_1) | instid1(VALU_DEP_2)
	v_add_co_u32 v31, vcc_lo, v29, v31
	s_wait_alu 0xfffd
	v_add_co_ci_u32_e64 v32, null, v30, v32, vcc_lo
	global_store_b64 v[31:32], v[5:6], off
.LBB882_118:
	s_wait_alu 0xfffe
	s_or_b32 exec_lo, exec_lo, s0
	v_and_b32_e32 v24, 1, v26
	v_cmp_lt_u64_e32 vcc_lo, v[21:22], v[19:20]
	s_delay_alu instid0(VALU_DEP_2)
	v_cmp_eq_u32_e64 s0, 1, v24
	s_or_b32 s1, s19, vcc_lo
	s_wait_alu 0xfffe
	s_and_b32 s1, s1, s0
	s_wait_alu 0xfffe
	s_and_saveexec_b32 s0, s1
	s_cbranch_execz .LBB882_120
; %bb.119:
	v_lshlrev_b64_e32 v[31:32], 3, v[21:22]
	s_delay_alu instid0(VALU_DEP_1) | instskip(SKIP_1) | instid1(VALU_DEP_2)
	v_add_co_u32 v31, vcc_lo, v29, v31
	s_wait_alu 0xfffd
	v_add_co_ci_u32_e64 v32, null, v30, v32, vcc_lo
	global_store_b64 v[31:32], v[7:8], off
.LBB882_120:
	s_wait_alu 0xfffe
	s_or_b32 exec_lo, exec_lo, s0
	v_and_b32_e32 v22, 1, v25
	v_cmp_lt_u64_e32 vcc_lo, v[13:14], v[19:20]
	s_delay_alu instid0(VALU_DEP_2)
	v_cmp_eq_u32_e64 s0, 1, v22
	;; [unrolled: 20-line block ×3, first 2 shown]
	s_or_b32 s1, s19, vcc_lo
	s_wait_alu 0xfffe
	s_and_b32 s1, s1, s0
	s_wait_alu 0xfffe
	s_and_saveexec_b32 s0, s1
	s_cbranch_execz .LBB882_124
; %bb.123:
	v_lshlrev_b64_e32 v[19:20], 3, v[15:16]
	s_delay_alu instid0(VALU_DEP_1) | instskip(SKIP_1) | instid1(VALU_DEP_2)
	v_add_co_u32 v19, vcc_lo, v29, v19
	s_wait_alu 0xfffd
	v_add_co_ci_u32_e64 v20, null, v30, v20, vcc_lo
	global_store_b64 v[19:20], v[3:4], off
.LBB882_124:
	s_wait_alu 0xfffe
	s_or_b32 exec_lo, exec_lo, s0
	s_branch .LBB882_114
.LBB882_125:
	s_mov_b32 s0, exec_lo
	v_cmpx_eq_u32_e32 1, v28
; %bb.126:
	v_sub_nc_u32_e32 v14, v23, v11
	s_delay_alu instid0(VALU_DEP_1)
	v_lshlrev_b32_e32 v14, 3, v14
	ds_store_b64 v14, v[5:6]
; %bb.127:
	s_wait_alu 0xfffe
	s_or_b32 exec_lo, exec_lo, s0
	v_and_b32_e32 v5, 1, v26
	s_mov_b32 s0, exec_lo
	s_delay_alu instid0(VALU_DEP_1)
	v_cmpx_eq_u32_e32 1, v5
; %bb.128:
	v_sub_nc_u32_e32 v5, v21, v11
	s_delay_alu instid0(VALU_DEP_1)
	v_lshlrev_b32_e32 v5, 3, v5
	ds_store_b64 v5, v[7:8]
; %bb.129:
	s_wait_alu 0xfffe
	s_or_b32 exec_lo, exec_lo, s0
	v_and_b32_e32 v5, 1, v25
	s_mov_b32 s0, exec_lo
	s_delay_alu instid0(VALU_DEP_1)
	;; [unrolled: 12-line block ×3, first 2 shown]
	v_cmpx_eq_u32_e32 1, v1
; %bb.132:
	v_sub_nc_u32_e32 v1, v15, v11
	s_delay_alu instid0(VALU_DEP_1)
	v_lshlrev_b32_e32 v1, 3, v1
	ds_store_b64 v1, v[3:4]
; %bb.133:
	s_wait_alu 0xfffe
	s_or_b32 exec_lo, exec_lo, s0
	v_mov_b32_e32 v1, 0
	s_mov_b32 s1, exec_lo
	s_wait_storecnt 0x0
	s_wait_loadcnt_dscnt 0x0
	s_barrier_signal -1
	s_barrier_wait -1
	global_inv scope:SCOPE_SE
	v_cmpx_gt_u64_e64 v[9:10], v[0:1]
	s_cbranch_execz .LBB882_136
; %bb.134:
	v_lshlrev_b64_e32 v[2:3], 3, v[17:18]
	v_lshlrev_b64_e32 v[4:5], 3, v[11:12]
	s_mov_b32 s3, 0
	s_delay_alu instid0(VALU_DEP_2) | instskip(SKIP_1) | instid1(VALU_DEP_3)
	v_add_co_u32 v6, vcc_lo, s12, v2
	s_wait_alu 0xfffd
	v_add_co_ci_u32_e64 v7, null, s13, v3, vcc_lo
	v_dual_mov_b32 v3, v1 :: v_dual_mov_b32 v2, v0
	s_delay_alu instid0(VALU_DEP_3) | instskip(SKIP_1) | instid1(VALU_DEP_3)
	v_add_co_u32 v4, vcc_lo, v6, v4
	s_wait_alu 0xfffd
	v_add_co_ci_u32_e64 v5, null, v7, v5, vcc_lo
	v_or_b32_e32 v0, 0x100, v0
.LBB882_135:                            ; =>This Inner Loop Header: Depth=1
	v_lshlrev_b32_e32 v6, 3, v2
	v_lshlrev_b64_e32 v[13:14], 3, v[2:3]
	v_mov_b32_e32 v3, v1
	s_delay_alu instid0(VALU_DEP_4)
	v_cmp_le_u64_e32 vcc_lo, v[9:10], v[0:1]
	v_mov_b32_e32 v2, v0
	ds_load_b64 v[6:7], v6
	v_add_nc_u32_e32 v0, 0x100, v0
	v_add_co_u32 v13, s0, v4, v13
	s_wait_alu 0xf1ff
	v_add_co_ci_u32_e64 v14, null, v5, v14, s0
	s_wait_alu 0xfffe
	s_or_b32 s3, vcc_lo, s3
	s_wait_dscnt 0x0
	global_store_b64 v[13:14], v[6:7], off
	s_wait_alu 0xfffe
	s_and_not1_b32 exec_lo, exec_lo, s3
	s_cbranch_execnz .LBB882_135
.LBB882_136:
	s_wait_alu 0xfffe
	s_or_b32 exec_lo, exec_lo, s1
	s_and_b32 s0, s2, s18
	s_wait_alu 0xfffe
	s_and_saveexec_b32 s1, s0
	s_cbranch_execz .LBB882_115
.LBB882_137:
	v_add_co_u32 v0, vcc_lo, v11, v9
	s_wait_alu 0xfffd
	v_add_co_ci_u32_e64 v1, null, v12, v10, vcc_lo
	v_mov_b32_e32 v2, 0
	s_delay_alu instid0(VALU_DEP_3) | instskip(SKIP_1) | instid1(VALU_DEP_3)
	v_add_co_u32 v0, vcc_lo, v0, v17
	s_wait_alu 0xfffd
	v_add_co_ci_u32_e64 v1, null, v1, v18, vcc_lo
	global_store_b64 v2, v[0:1], s[4:5]
	s_endpgm
.LBB882_138:
	v_lshlrev_b32_e32 v3, 3, v0
	s_delay_alu instid0(VALU_DEP_1)
	v_add_co_u32 v3, s1, s10, v3
	s_wait_alu 0xf1ff
	v_add_co_ci_u32_e64 v4, null, s11, 0, s1
	flat_load_b64 v[3:4], v[3:4] offset:2048
	s_wait_alu 0xfffe
	s_or_b32 exec_lo, exec_lo, s0
	s_delay_alu instid0(SALU_CYCLE_1)
	s_mov_b32 s0, exec_lo
	v_cmpx_gt_u32_e64 s3, v10
	s_cbranch_execz .LBB882_11
.LBB882_139:
	v_lshlrev_b32_e32 v5, 3, v0
	s_delay_alu instid0(VALU_DEP_1)
	v_add_co_u32 v5, s1, s10, v5
	s_wait_alu 0xf1ff
	v_add_co_ci_u32_e64 v6, null, s11, 0, s1
	flat_load_b64 v[5:6], v[5:6] offset:4096
	s_wait_alu 0xfffe
	s_or_b32 exec_lo, exec_lo, s0
	s_delay_alu instid0(SALU_CYCLE_1)
	s_mov_b32 s0, exec_lo
	v_cmpx_gt_u32_e64 s3, v9
	s_cbranch_execnz .LBB882_12
	s_branch .LBB882_13
.LBB882_140:
	v_lshlrev_b32_e32 v16, 3, v0
	global_load_b64 v[19:20], v16, s[0:1] offset:2048
	s_wait_loadcnt 0x0
	v_cmp_eq_u64_e32 vcc_lo, 0, v[19:20]
	s_wait_alu 0xfffd
	v_cndmask_b32_e64 v16, 0, 1, vcc_lo
	s_delay_alu instid0(VALU_DEP_1) | instskip(NEXT) | instid1(VALU_DEP_1)
	v_lshlrev_b16 v16, 8, v16
	v_or_b32_e32 v14, v14, v16
	s_delay_alu instid0(VALU_DEP_1) | instskip(SKIP_1) | instid1(SALU_CYCLE_1)
	v_and_b32_e32 v14, 0xffff, v14
	s_or_b32 exec_lo, exec_lo, s6
	s_mov_b32 s6, exec_lo
	v_cmpx_gt_u32_e64 s3, v10
	s_cbranch_execz .LBB882_21
.LBB882_141:
	v_lshlrev_b32_e32 v16, 3, v0
	global_load_b64 v[19:20], v16, s[0:1] offset:4096
	s_wait_loadcnt 0x0
	v_cmp_eq_u64_e32 vcc_lo, 0, v[19:20]
	s_wait_alu 0xfffd
	v_cndmask_b32_e64 v16, 0, 1, vcc_lo
	s_delay_alu instid0(VALU_DEP_1)
	v_lshl_or_b32 v14, v16, 16, v14
	s_or_b32 exec_lo, exec_lo, s6
	v_cmp_gt_u32_e32 vcc_lo, s3, v9
	s_and_saveexec_b32 s3, vcc_lo
	s_cbranch_execnz .LBB882_22
	s_branch .LBB882_23
	.section	.rodata,"a",@progbits
	.p2align	6, 0x0
	.amdhsa_kernel _ZN7rocprim17ROCPRIM_400000_NS6detail17trampoline_kernelINS0_14default_configENS1_25partition_config_selectorILNS1_17partition_subalgoE5EyNS0_10empty_typeEbEEZZNS1_14partition_implILS5_5ELb0ES3_mN6thrust23THRUST_200600_302600_NS6detail15normal_iteratorINSA_10device_ptrIyEEEEPS6_NSA_18transform_iteratorINSB_9not_fun_tINSA_8identityIyEEEESF_NSA_11use_defaultESM_EENS0_5tupleIJSF_S6_EEENSO_IJSG_SG_EEES6_PlJS6_EEE10hipError_tPvRmT3_T4_T5_T6_T7_T9_mT8_P12ihipStream_tbDpT10_ENKUlT_T0_E_clISt17integral_constantIbLb0EES1A_IbLb1EEEEDaS16_S17_EUlS16_E_NS1_11comp_targetILNS1_3genE10ELNS1_11target_archE1200ELNS1_3gpuE4ELNS1_3repE0EEENS1_30default_config_static_selectorELNS0_4arch9wavefront6targetE0EEEvT1_
		.amdhsa_group_segment_fixed_size 8464
		.amdhsa_private_segment_fixed_size 0
		.amdhsa_kernarg_size 136
		.amdhsa_user_sgpr_count 2
		.amdhsa_user_sgpr_dispatch_ptr 0
		.amdhsa_user_sgpr_queue_ptr 0
		.amdhsa_user_sgpr_kernarg_segment_ptr 1
		.amdhsa_user_sgpr_dispatch_id 0
		.amdhsa_user_sgpr_private_segment_size 0
		.amdhsa_wavefront_size32 1
		.amdhsa_uses_dynamic_stack 0
		.amdhsa_enable_private_segment 0
		.amdhsa_system_sgpr_workgroup_id_x 1
		.amdhsa_system_sgpr_workgroup_id_y 0
		.amdhsa_system_sgpr_workgroup_id_z 0
		.amdhsa_system_sgpr_workgroup_info 0
		.amdhsa_system_vgpr_workitem_id 0
		.amdhsa_next_free_vgpr 48
		.amdhsa_next_free_sgpr 26
		.amdhsa_reserve_vcc 1
		.amdhsa_float_round_mode_32 0
		.amdhsa_float_round_mode_16_64 0
		.amdhsa_float_denorm_mode_32 3
		.amdhsa_float_denorm_mode_16_64 3
		.amdhsa_fp16_overflow 0
		.amdhsa_workgroup_processor_mode 1
		.amdhsa_memory_ordered 1
		.amdhsa_forward_progress 1
		.amdhsa_inst_pref_size 56
		.amdhsa_round_robin_scheduling 0
		.amdhsa_exception_fp_ieee_invalid_op 0
		.amdhsa_exception_fp_denorm_src 0
		.amdhsa_exception_fp_ieee_div_zero 0
		.amdhsa_exception_fp_ieee_overflow 0
		.amdhsa_exception_fp_ieee_underflow 0
		.amdhsa_exception_fp_ieee_inexact 0
		.amdhsa_exception_int_div_zero 0
	.end_amdhsa_kernel
	.section	.text._ZN7rocprim17ROCPRIM_400000_NS6detail17trampoline_kernelINS0_14default_configENS1_25partition_config_selectorILNS1_17partition_subalgoE5EyNS0_10empty_typeEbEEZZNS1_14partition_implILS5_5ELb0ES3_mN6thrust23THRUST_200600_302600_NS6detail15normal_iteratorINSA_10device_ptrIyEEEEPS6_NSA_18transform_iteratorINSB_9not_fun_tINSA_8identityIyEEEESF_NSA_11use_defaultESM_EENS0_5tupleIJSF_S6_EEENSO_IJSG_SG_EEES6_PlJS6_EEE10hipError_tPvRmT3_T4_T5_T6_T7_T9_mT8_P12ihipStream_tbDpT10_ENKUlT_T0_E_clISt17integral_constantIbLb0EES1A_IbLb1EEEEDaS16_S17_EUlS16_E_NS1_11comp_targetILNS1_3genE10ELNS1_11target_archE1200ELNS1_3gpuE4ELNS1_3repE0EEENS1_30default_config_static_selectorELNS0_4arch9wavefront6targetE0EEEvT1_,"axG",@progbits,_ZN7rocprim17ROCPRIM_400000_NS6detail17trampoline_kernelINS0_14default_configENS1_25partition_config_selectorILNS1_17partition_subalgoE5EyNS0_10empty_typeEbEEZZNS1_14partition_implILS5_5ELb0ES3_mN6thrust23THRUST_200600_302600_NS6detail15normal_iteratorINSA_10device_ptrIyEEEEPS6_NSA_18transform_iteratorINSB_9not_fun_tINSA_8identityIyEEEESF_NSA_11use_defaultESM_EENS0_5tupleIJSF_S6_EEENSO_IJSG_SG_EEES6_PlJS6_EEE10hipError_tPvRmT3_T4_T5_T6_T7_T9_mT8_P12ihipStream_tbDpT10_ENKUlT_T0_E_clISt17integral_constantIbLb0EES1A_IbLb1EEEEDaS16_S17_EUlS16_E_NS1_11comp_targetILNS1_3genE10ELNS1_11target_archE1200ELNS1_3gpuE4ELNS1_3repE0EEENS1_30default_config_static_selectorELNS0_4arch9wavefront6targetE0EEEvT1_,comdat
.Lfunc_end882:
	.size	_ZN7rocprim17ROCPRIM_400000_NS6detail17trampoline_kernelINS0_14default_configENS1_25partition_config_selectorILNS1_17partition_subalgoE5EyNS0_10empty_typeEbEEZZNS1_14partition_implILS5_5ELb0ES3_mN6thrust23THRUST_200600_302600_NS6detail15normal_iteratorINSA_10device_ptrIyEEEEPS6_NSA_18transform_iteratorINSB_9not_fun_tINSA_8identityIyEEEESF_NSA_11use_defaultESM_EENS0_5tupleIJSF_S6_EEENSO_IJSG_SG_EEES6_PlJS6_EEE10hipError_tPvRmT3_T4_T5_T6_T7_T9_mT8_P12ihipStream_tbDpT10_ENKUlT_T0_E_clISt17integral_constantIbLb0EES1A_IbLb1EEEEDaS16_S17_EUlS16_E_NS1_11comp_targetILNS1_3genE10ELNS1_11target_archE1200ELNS1_3gpuE4ELNS1_3repE0EEENS1_30default_config_static_selectorELNS0_4arch9wavefront6targetE0EEEvT1_, .Lfunc_end882-_ZN7rocprim17ROCPRIM_400000_NS6detail17trampoline_kernelINS0_14default_configENS1_25partition_config_selectorILNS1_17partition_subalgoE5EyNS0_10empty_typeEbEEZZNS1_14partition_implILS5_5ELb0ES3_mN6thrust23THRUST_200600_302600_NS6detail15normal_iteratorINSA_10device_ptrIyEEEEPS6_NSA_18transform_iteratorINSB_9not_fun_tINSA_8identityIyEEEESF_NSA_11use_defaultESM_EENS0_5tupleIJSF_S6_EEENSO_IJSG_SG_EEES6_PlJS6_EEE10hipError_tPvRmT3_T4_T5_T6_T7_T9_mT8_P12ihipStream_tbDpT10_ENKUlT_T0_E_clISt17integral_constantIbLb0EES1A_IbLb1EEEEDaS16_S17_EUlS16_E_NS1_11comp_targetILNS1_3genE10ELNS1_11target_archE1200ELNS1_3gpuE4ELNS1_3repE0EEENS1_30default_config_static_selectorELNS0_4arch9wavefront6targetE0EEEvT1_
                                        ; -- End function
	.set _ZN7rocprim17ROCPRIM_400000_NS6detail17trampoline_kernelINS0_14default_configENS1_25partition_config_selectorILNS1_17partition_subalgoE5EyNS0_10empty_typeEbEEZZNS1_14partition_implILS5_5ELb0ES3_mN6thrust23THRUST_200600_302600_NS6detail15normal_iteratorINSA_10device_ptrIyEEEEPS6_NSA_18transform_iteratorINSB_9not_fun_tINSA_8identityIyEEEESF_NSA_11use_defaultESM_EENS0_5tupleIJSF_S6_EEENSO_IJSG_SG_EEES6_PlJS6_EEE10hipError_tPvRmT3_T4_T5_T6_T7_T9_mT8_P12ihipStream_tbDpT10_ENKUlT_T0_E_clISt17integral_constantIbLb0EES1A_IbLb1EEEEDaS16_S17_EUlS16_E_NS1_11comp_targetILNS1_3genE10ELNS1_11target_archE1200ELNS1_3gpuE4ELNS1_3repE0EEENS1_30default_config_static_selectorELNS0_4arch9wavefront6targetE0EEEvT1_.num_vgpr, 48
	.set _ZN7rocprim17ROCPRIM_400000_NS6detail17trampoline_kernelINS0_14default_configENS1_25partition_config_selectorILNS1_17partition_subalgoE5EyNS0_10empty_typeEbEEZZNS1_14partition_implILS5_5ELb0ES3_mN6thrust23THRUST_200600_302600_NS6detail15normal_iteratorINSA_10device_ptrIyEEEEPS6_NSA_18transform_iteratorINSB_9not_fun_tINSA_8identityIyEEEESF_NSA_11use_defaultESM_EENS0_5tupleIJSF_S6_EEENSO_IJSG_SG_EEES6_PlJS6_EEE10hipError_tPvRmT3_T4_T5_T6_T7_T9_mT8_P12ihipStream_tbDpT10_ENKUlT_T0_E_clISt17integral_constantIbLb0EES1A_IbLb1EEEEDaS16_S17_EUlS16_E_NS1_11comp_targetILNS1_3genE10ELNS1_11target_archE1200ELNS1_3gpuE4ELNS1_3repE0EEENS1_30default_config_static_selectorELNS0_4arch9wavefront6targetE0EEEvT1_.num_agpr, 0
	.set _ZN7rocprim17ROCPRIM_400000_NS6detail17trampoline_kernelINS0_14default_configENS1_25partition_config_selectorILNS1_17partition_subalgoE5EyNS0_10empty_typeEbEEZZNS1_14partition_implILS5_5ELb0ES3_mN6thrust23THRUST_200600_302600_NS6detail15normal_iteratorINSA_10device_ptrIyEEEEPS6_NSA_18transform_iteratorINSB_9not_fun_tINSA_8identityIyEEEESF_NSA_11use_defaultESM_EENS0_5tupleIJSF_S6_EEENSO_IJSG_SG_EEES6_PlJS6_EEE10hipError_tPvRmT3_T4_T5_T6_T7_T9_mT8_P12ihipStream_tbDpT10_ENKUlT_T0_E_clISt17integral_constantIbLb0EES1A_IbLb1EEEEDaS16_S17_EUlS16_E_NS1_11comp_targetILNS1_3genE10ELNS1_11target_archE1200ELNS1_3gpuE4ELNS1_3repE0EEENS1_30default_config_static_selectorELNS0_4arch9wavefront6targetE0EEEvT1_.numbered_sgpr, 26
	.set _ZN7rocprim17ROCPRIM_400000_NS6detail17trampoline_kernelINS0_14default_configENS1_25partition_config_selectorILNS1_17partition_subalgoE5EyNS0_10empty_typeEbEEZZNS1_14partition_implILS5_5ELb0ES3_mN6thrust23THRUST_200600_302600_NS6detail15normal_iteratorINSA_10device_ptrIyEEEEPS6_NSA_18transform_iteratorINSB_9not_fun_tINSA_8identityIyEEEESF_NSA_11use_defaultESM_EENS0_5tupleIJSF_S6_EEENSO_IJSG_SG_EEES6_PlJS6_EEE10hipError_tPvRmT3_T4_T5_T6_T7_T9_mT8_P12ihipStream_tbDpT10_ENKUlT_T0_E_clISt17integral_constantIbLb0EES1A_IbLb1EEEEDaS16_S17_EUlS16_E_NS1_11comp_targetILNS1_3genE10ELNS1_11target_archE1200ELNS1_3gpuE4ELNS1_3repE0EEENS1_30default_config_static_selectorELNS0_4arch9wavefront6targetE0EEEvT1_.num_named_barrier, 0
	.set _ZN7rocprim17ROCPRIM_400000_NS6detail17trampoline_kernelINS0_14default_configENS1_25partition_config_selectorILNS1_17partition_subalgoE5EyNS0_10empty_typeEbEEZZNS1_14partition_implILS5_5ELb0ES3_mN6thrust23THRUST_200600_302600_NS6detail15normal_iteratorINSA_10device_ptrIyEEEEPS6_NSA_18transform_iteratorINSB_9not_fun_tINSA_8identityIyEEEESF_NSA_11use_defaultESM_EENS0_5tupleIJSF_S6_EEENSO_IJSG_SG_EEES6_PlJS6_EEE10hipError_tPvRmT3_T4_T5_T6_T7_T9_mT8_P12ihipStream_tbDpT10_ENKUlT_T0_E_clISt17integral_constantIbLb0EES1A_IbLb1EEEEDaS16_S17_EUlS16_E_NS1_11comp_targetILNS1_3genE10ELNS1_11target_archE1200ELNS1_3gpuE4ELNS1_3repE0EEENS1_30default_config_static_selectorELNS0_4arch9wavefront6targetE0EEEvT1_.private_seg_size, 0
	.set _ZN7rocprim17ROCPRIM_400000_NS6detail17trampoline_kernelINS0_14default_configENS1_25partition_config_selectorILNS1_17partition_subalgoE5EyNS0_10empty_typeEbEEZZNS1_14partition_implILS5_5ELb0ES3_mN6thrust23THRUST_200600_302600_NS6detail15normal_iteratorINSA_10device_ptrIyEEEEPS6_NSA_18transform_iteratorINSB_9not_fun_tINSA_8identityIyEEEESF_NSA_11use_defaultESM_EENS0_5tupleIJSF_S6_EEENSO_IJSG_SG_EEES6_PlJS6_EEE10hipError_tPvRmT3_T4_T5_T6_T7_T9_mT8_P12ihipStream_tbDpT10_ENKUlT_T0_E_clISt17integral_constantIbLb0EES1A_IbLb1EEEEDaS16_S17_EUlS16_E_NS1_11comp_targetILNS1_3genE10ELNS1_11target_archE1200ELNS1_3gpuE4ELNS1_3repE0EEENS1_30default_config_static_selectorELNS0_4arch9wavefront6targetE0EEEvT1_.uses_vcc, 1
	.set _ZN7rocprim17ROCPRIM_400000_NS6detail17trampoline_kernelINS0_14default_configENS1_25partition_config_selectorILNS1_17partition_subalgoE5EyNS0_10empty_typeEbEEZZNS1_14partition_implILS5_5ELb0ES3_mN6thrust23THRUST_200600_302600_NS6detail15normal_iteratorINSA_10device_ptrIyEEEEPS6_NSA_18transform_iteratorINSB_9not_fun_tINSA_8identityIyEEEESF_NSA_11use_defaultESM_EENS0_5tupleIJSF_S6_EEENSO_IJSG_SG_EEES6_PlJS6_EEE10hipError_tPvRmT3_T4_T5_T6_T7_T9_mT8_P12ihipStream_tbDpT10_ENKUlT_T0_E_clISt17integral_constantIbLb0EES1A_IbLb1EEEEDaS16_S17_EUlS16_E_NS1_11comp_targetILNS1_3genE10ELNS1_11target_archE1200ELNS1_3gpuE4ELNS1_3repE0EEENS1_30default_config_static_selectorELNS0_4arch9wavefront6targetE0EEEvT1_.uses_flat_scratch, 1
	.set _ZN7rocprim17ROCPRIM_400000_NS6detail17trampoline_kernelINS0_14default_configENS1_25partition_config_selectorILNS1_17partition_subalgoE5EyNS0_10empty_typeEbEEZZNS1_14partition_implILS5_5ELb0ES3_mN6thrust23THRUST_200600_302600_NS6detail15normal_iteratorINSA_10device_ptrIyEEEEPS6_NSA_18transform_iteratorINSB_9not_fun_tINSA_8identityIyEEEESF_NSA_11use_defaultESM_EENS0_5tupleIJSF_S6_EEENSO_IJSG_SG_EEES6_PlJS6_EEE10hipError_tPvRmT3_T4_T5_T6_T7_T9_mT8_P12ihipStream_tbDpT10_ENKUlT_T0_E_clISt17integral_constantIbLb0EES1A_IbLb1EEEEDaS16_S17_EUlS16_E_NS1_11comp_targetILNS1_3genE10ELNS1_11target_archE1200ELNS1_3gpuE4ELNS1_3repE0EEENS1_30default_config_static_selectorELNS0_4arch9wavefront6targetE0EEEvT1_.has_dyn_sized_stack, 0
	.set _ZN7rocprim17ROCPRIM_400000_NS6detail17trampoline_kernelINS0_14default_configENS1_25partition_config_selectorILNS1_17partition_subalgoE5EyNS0_10empty_typeEbEEZZNS1_14partition_implILS5_5ELb0ES3_mN6thrust23THRUST_200600_302600_NS6detail15normal_iteratorINSA_10device_ptrIyEEEEPS6_NSA_18transform_iteratorINSB_9not_fun_tINSA_8identityIyEEEESF_NSA_11use_defaultESM_EENS0_5tupleIJSF_S6_EEENSO_IJSG_SG_EEES6_PlJS6_EEE10hipError_tPvRmT3_T4_T5_T6_T7_T9_mT8_P12ihipStream_tbDpT10_ENKUlT_T0_E_clISt17integral_constantIbLb0EES1A_IbLb1EEEEDaS16_S17_EUlS16_E_NS1_11comp_targetILNS1_3genE10ELNS1_11target_archE1200ELNS1_3gpuE4ELNS1_3repE0EEENS1_30default_config_static_selectorELNS0_4arch9wavefront6targetE0EEEvT1_.has_recursion, 0
	.set _ZN7rocprim17ROCPRIM_400000_NS6detail17trampoline_kernelINS0_14default_configENS1_25partition_config_selectorILNS1_17partition_subalgoE5EyNS0_10empty_typeEbEEZZNS1_14partition_implILS5_5ELb0ES3_mN6thrust23THRUST_200600_302600_NS6detail15normal_iteratorINSA_10device_ptrIyEEEEPS6_NSA_18transform_iteratorINSB_9not_fun_tINSA_8identityIyEEEESF_NSA_11use_defaultESM_EENS0_5tupleIJSF_S6_EEENSO_IJSG_SG_EEES6_PlJS6_EEE10hipError_tPvRmT3_T4_T5_T6_T7_T9_mT8_P12ihipStream_tbDpT10_ENKUlT_T0_E_clISt17integral_constantIbLb0EES1A_IbLb1EEEEDaS16_S17_EUlS16_E_NS1_11comp_targetILNS1_3genE10ELNS1_11target_archE1200ELNS1_3gpuE4ELNS1_3repE0EEENS1_30default_config_static_selectorELNS0_4arch9wavefront6targetE0EEEvT1_.has_indirect_call, 0
	.section	.AMDGPU.csdata,"",@progbits
; Kernel info:
; codeLenInByte = 7108
; TotalNumSgprs: 28
; NumVgprs: 48
; ScratchSize: 0
; MemoryBound: 0
; FloatMode: 240
; IeeeMode: 1
; LDSByteSize: 8464 bytes/workgroup (compile time only)
; SGPRBlocks: 0
; VGPRBlocks: 5
; NumSGPRsForWavesPerEU: 28
; NumVGPRsForWavesPerEU: 48
; Occupancy: 16
; WaveLimiterHint : 1
; COMPUTE_PGM_RSRC2:SCRATCH_EN: 0
; COMPUTE_PGM_RSRC2:USER_SGPR: 2
; COMPUTE_PGM_RSRC2:TRAP_HANDLER: 0
; COMPUTE_PGM_RSRC2:TGID_X_EN: 1
; COMPUTE_PGM_RSRC2:TGID_Y_EN: 0
; COMPUTE_PGM_RSRC2:TGID_Z_EN: 0
; COMPUTE_PGM_RSRC2:TIDIG_COMP_CNT: 0
	.section	.text._ZN7rocprim17ROCPRIM_400000_NS6detail17trampoline_kernelINS0_14default_configENS1_25partition_config_selectorILNS1_17partition_subalgoE5EyNS0_10empty_typeEbEEZZNS1_14partition_implILS5_5ELb0ES3_mN6thrust23THRUST_200600_302600_NS6detail15normal_iteratorINSA_10device_ptrIyEEEEPS6_NSA_18transform_iteratorINSB_9not_fun_tINSA_8identityIyEEEESF_NSA_11use_defaultESM_EENS0_5tupleIJSF_S6_EEENSO_IJSG_SG_EEES6_PlJS6_EEE10hipError_tPvRmT3_T4_T5_T6_T7_T9_mT8_P12ihipStream_tbDpT10_ENKUlT_T0_E_clISt17integral_constantIbLb0EES1A_IbLb1EEEEDaS16_S17_EUlS16_E_NS1_11comp_targetILNS1_3genE9ELNS1_11target_archE1100ELNS1_3gpuE3ELNS1_3repE0EEENS1_30default_config_static_selectorELNS0_4arch9wavefront6targetE0EEEvT1_,"axG",@progbits,_ZN7rocprim17ROCPRIM_400000_NS6detail17trampoline_kernelINS0_14default_configENS1_25partition_config_selectorILNS1_17partition_subalgoE5EyNS0_10empty_typeEbEEZZNS1_14partition_implILS5_5ELb0ES3_mN6thrust23THRUST_200600_302600_NS6detail15normal_iteratorINSA_10device_ptrIyEEEEPS6_NSA_18transform_iteratorINSB_9not_fun_tINSA_8identityIyEEEESF_NSA_11use_defaultESM_EENS0_5tupleIJSF_S6_EEENSO_IJSG_SG_EEES6_PlJS6_EEE10hipError_tPvRmT3_T4_T5_T6_T7_T9_mT8_P12ihipStream_tbDpT10_ENKUlT_T0_E_clISt17integral_constantIbLb0EES1A_IbLb1EEEEDaS16_S17_EUlS16_E_NS1_11comp_targetILNS1_3genE9ELNS1_11target_archE1100ELNS1_3gpuE3ELNS1_3repE0EEENS1_30default_config_static_selectorELNS0_4arch9wavefront6targetE0EEEvT1_,comdat
	.protected	_ZN7rocprim17ROCPRIM_400000_NS6detail17trampoline_kernelINS0_14default_configENS1_25partition_config_selectorILNS1_17partition_subalgoE5EyNS0_10empty_typeEbEEZZNS1_14partition_implILS5_5ELb0ES3_mN6thrust23THRUST_200600_302600_NS6detail15normal_iteratorINSA_10device_ptrIyEEEEPS6_NSA_18transform_iteratorINSB_9not_fun_tINSA_8identityIyEEEESF_NSA_11use_defaultESM_EENS0_5tupleIJSF_S6_EEENSO_IJSG_SG_EEES6_PlJS6_EEE10hipError_tPvRmT3_T4_T5_T6_T7_T9_mT8_P12ihipStream_tbDpT10_ENKUlT_T0_E_clISt17integral_constantIbLb0EES1A_IbLb1EEEEDaS16_S17_EUlS16_E_NS1_11comp_targetILNS1_3genE9ELNS1_11target_archE1100ELNS1_3gpuE3ELNS1_3repE0EEENS1_30default_config_static_selectorELNS0_4arch9wavefront6targetE0EEEvT1_ ; -- Begin function _ZN7rocprim17ROCPRIM_400000_NS6detail17trampoline_kernelINS0_14default_configENS1_25partition_config_selectorILNS1_17partition_subalgoE5EyNS0_10empty_typeEbEEZZNS1_14partition_implILS5_5ELb0ES3_mN6thrust23THRUST_200600_302600_NS6detail15normal_iteratorINSA_10device_ptrIyEEEEPS6_NSA_18transform_iteratorINSB_9not_fun_tINSA_8identityIyEEEESF_NSA_11use_defaultESM_EENS0_5tupleIJSF_S6_EEENSO_IJSG_SG_EEES6_PlJS6_EEE10hipError_tPvRmT3_T4_T5_T6_T7_T9_mT8_P12ihipStream_tbDpT10_ENKUlT_T0_E_clISt17integral_constantIbLb0EES1A_IbLb1EEEEDaS16_S17_EUlS16_E_NS1_11comp_targetILNS1_3genE9ELNS1_11target_archE1100ELNS1_3gpuE3ELNS1_3repE0EEENS1_30default_config_static_selectorELNS0_4arch9wavefront6targetE0EEEvT1_
	.globl	_ZN7rocprim17ROCPRIM_400000_NS6detail17trampoline_kernelINS0_14default_configENS1_25partition_config_selectorILNS1_17partition_subalgoE5EyNS0_10empty_typeEbEEZZNS1_14partition_implILS5_5ELb0ES3_mN6thrust23THRUST_200600_302600_NS6detail15normal_iteratorINSA_10device_ptrIyEEEEPS6_NSA_18transform_iteratorINSB_9not_fun_tINSA_8identityIyEEEESF_NSA_11use_defaultESM_EENS0_5tupleIJSF_S6_EEENSO_IJSG_SG_EEES6_PlJS6_EEE10hipError_tPvRmT3_T4_T5_T6_T7_T9_mT8_P12ihipStream_tbDpT10_ENKUlT_T0_E_clISt17integral_constantIbLb0EES1A_IbLb1EEEEDaS16_S17_EUlS16_E_NS1_11comp_targetILNS1_3genE9ELNS1_11target_archE1100ELNS1_3gpuE3ELNS1_3repE0EEENS1_30default_config_static_selectorELNS0_4arch9wavefront6targetE0EEEvT1_
	.p2align	8
	.type	_ZN7rocprim17ROCPRIM_400000_NS6detail17trampoline_kernelINS0_14default_configENS1_25partition_config_selectorILNS1_17partition_subalgoE5EyNS0_10empty_typeEbEEZZNS1_14partition_implILS5_5ELb0ES3_mN6thrust23THRUST_200600_302600_NS6detail15normal_iteratorINSA_10device_ptrIyEEEEPS6_NSA_18transform_iteratorINSB_9not_fun_tINSA_8identityIyEEEESF_NSA_11use_defaultESM_EENS0_5tupleIJSF_S6_EEENSO_IJSG_SG_EEES6_PlJS6_EEE10hipError_tPvRmT3_T4_T5_T6_T7_T9_mT8_P12ihipStream_tbDpT10_ENKUlT_T0_E_clISt17integral_constantIbLb0EES1A_IbLb1EEEEDaS16_S17_EUlS16_E_NS1_11comp_targetILNS1_3genE9ELNS1_11target_archE1100ELNS1_3gpuE3ELNS1_3repE0EEENS1_30default_config_static_selectorELNS0_4arch9wavefront6targetE0EEEvT1_,@function
_ZN7rocprim17ROCPRIM_400000_NS6detail17trampoline_kernelINS0_14default_configENS1_25partition_config_selectorILNS1_17partition_subalgoE5EyNS0_10empty_typeEbEEZZNS1_14partition_implILS5_5ELb0ES3_mN6thrust23THRUST_200600_302600_NS6detail15normal_iteratorINSA_10device_ptrIyEEEEPS6_NSA_18transform_iteratorINSB_9not_fun_tINSA_8identityIyEEEESF_NSA_11use_defaultESM_EENS0_5tupleIJSF_S6_EEENSO_IJSG_SG_EEES6_PlJS6_EEE10hipError_tPvRmT3_T4_T5_T6_T7_T9_mT8_P12ihipStream_tbDpT10_ENKUlT_T0_E_clISt17integral_constantIbLb0EES1A_IbLb1EEEEDaS16_S17_EUlS16_E_NS1_11comp_targetILNS1_3genE9ELNS1_11target_archE1100ELNS1_3gpuE3ELNS1_3repE0EEENS1_30default_config_static_selectorELNS0_4arch9wavefront6targetE0EEEvT1_: ; @_ZN7rocprim17ROCPRIM_400000_NS6detail17trampoline_kernelINS0_14default_configENS1_25partition_config_selectorILNS1_17partition_subalgoE5EyNS0_10empty_typeEbEEZZNS1_14partition_implILS5_5ELb0ES3_mN6thrust23THRUST_200600_302600_NS6detail15normal_iteratorINSA_10device_ptrIyEEEEPS6_NSA_18transform_iteratorINSB_9not_fun_tINSA_8identityIyEEEESF_NSA_11use_defaultESM_EENS0_5tupleIJSF_S6_EEENSO_IJSG_SG_EEES6_PlJS6_EEE10hipError_tPvRmT3_T4_T5_T6_T7_T9_mT8_P12ihipStream_tbDpT10_ENKUlT_T0_E_clISt17integral_constantIbLb0EES1A_IbLb1EEEEDaS16_S17_EUlS16_E_NS1_11comp_targetILNS1_3genE9ELNS1_11target_archE1100ELNS1_3gpuE3ELNS1_3repE0EEENS1_30default_config_static_selectorELNS0_4arch9wavefront6targetE0EEEvT1_
; %bb.0:
	.section	.rodata,"a",@progbits
	.p2align	6, 0x0
	.amdhsa_kernel _ZN7rocprim17ROCPRIM_400000_NS6detail17trampoline_kernelINS0_14default_configENS1_25partition_config_selectorILNS1_17partition_subalgoE5EyNS0_10empty_typeEbEEZZNS1_14partition_implILS5_5ELb0ES3_mN6thrust23THRUST_200600_302600_NS6detail15normal_iteratorINSA_10device_ptrIyEEEEPS6_NSA_18transform_iteratorINSB_9not_fun_tINSA_8identityIyEEEESF_NSA_11use_defaultESM_EENS0_5tupleIJSF_S6_EEENSO_IJSG_SG_EEES6_PlJS6_EEE10hipError_tPvRmT3_T4_T5_T6_T7_T9_mT8_P12ihipStream_tbDpT10_ENKUlT_T0_E_clISt17integral_constantIbLb0EES1A_IbLb1EEEEDaS16_S17_EUlS16_E_NS1_11comp_targetILNS1_3genE9ELNS1_11target_archE1100ELNS1_3gpuE3ELNS1_3repE0EEENS1_30default_config_static_selectorELNS0_4arch9wavefront6targetE0EEEvT1_
		.amdhsa_group_segment_fixed_size 0
		.amdhsa_private_segment_fixed_size 0
		.amdhsa_kernarg_size 136
		.amdhsa_user_sgpr_count 2
		.amdhsa_user_sgpr_dispatch_ptr 0
		.amdhsa_user_sgpr_queue_ptr 0
		.amdhsa_user_sgpr_kernarg_segment_ptr 1
		.amdhsa_user_sgpr_dispatch_id 0
		.amdhsa_user_sgpr_private_segment_size 0
		.amdhsa_wavefront_size32 1
		.amdhsa_uses_dynamic_stack 0
		.amdhsa_enable_private_segment 0
		.amdhsa_system_sgpr_workgroup_id_x 1
		.amdhsa_system_sgpr_workgroup_id_y 0
		.amdhsa_system_sgpr_workgroup_id_z 0
		.amdhsa_system_sgpr_workgroup_info 0
		.amdhsa_system_vgpr_workitem_id 0
		.amdhsa_next_free_vgpr 1
		.amdhsa_next_free_sgpr 1
		.amdhsa_reserve_vcc 0
		.amdhsa_float_round_mode_32 0
		.amdhsa_float_round_mode_16_64 0
		.amdhsa_float_denorm_mode_32 3
		.amdhsa_float_denorm_mode_16_64 3
		.amdhsa_fp16_overflow 0
		.amdhsa_workgroup_processor_mode 1
		.amdhsa_memory_ordered 1
		.amdhsa_forward_progress 1
		.amdhsa_inst_pref_size 0
		.amdhsa_round_robin_scheduling 0
		.amdhsa_exception_fp_ieee_invalid_op 0
		.amdhsa_exception_fp_denorm_src 0
		.amdhsa_exception_fp_ieee_div_zero 0
		.amdhsa_exception_fp_ieee_overflow 0
		.amdhsa_exception_fp_ieee_underflow 0
		.amdhsa_exception_fp_ieee_inexact 0
		.amdhsa_exception_int_div_zero 0
	.end_amdhsa_kernel
	.section	.text._ZN7rocprim17ROCPRIM_400000_NS6detail17trampoline_kernelINS0_14default_configENS1_25partition_config_selectorILNS1_17partition_subalgoE5EyNS0_10empty_typeEbEEZZNS1_14partition_implILS5_5ELb0ES3_mN6thrust23THRUST_200600_302600_NS6detail15normal_iteratorINSA_10device_ptrIyEEEEPS6_NSA_18transform_iteratorINSB_9not_fun_tINSA_8identityIyEEEESF_NSA_11use_defaultESM_EENS0_5tupleIJSF_S6_EEENSO_IJSG_SG_EEES6_PlJS6_EEE10hipError_tPvRmT3_T4_T5_T6_T7_T9_mT8_P12ihipStream_tbDpT10_ENKUlT_T0_E_clISt17integral_constantIbLb0EES1A_IbLb1EEEEDaS16_S17_EUlS16_E_NS1_11comp_targetILNS1_3genE9ELNS1_11target_archE1100ELNS1_3gpuE3ELNS1_3repE0EEENS1_30default_config_static_selectorELNS0_4arch9wavefront6targetE0EEEvT1_,"axG",@progbits,_ZN7rocprim17ROCPRIM_400000_NS6detail17trampoline_kernelINS0_14default_configENS1_25partition_config_selectorILNS1_17partition_subalgoE5EyNS0_10empty_typeEbEEZZNS1_14partition_implILS5_5ELb0ES3_mN6thrust23THRUST_200600_302600_NS6detail15normal_iteratorINSA_10device_ptrIyEEEEPS6_NSA_18transform_iteratorINSB_9not_fun_tINSA_8identityIyEEEESF_NSA_11use_defaultESM_EENS0_5tupleIJSF_S6_EEENSO_IJSG_SG_EEES6_PlJS6_EEE10hipError_tPvRmT3_T4_T5_T6_T7_T9_mT8_P12ihipStream_tbDpT10_ENKUlT_T0_E_clISt17integral_constantIbLb0EES1A_IbLb1EEEEDaS16_S17_EUlS16_E_NS1_11comp_targetILNS1_3genE9ELNS1_11target_archE1100ELNS1_3gpuE3ELNS1_3repE0EEENS1_30default_config_static_selectorELNS0_4arch9wavefront6targetE0EEEvT1_,comdat
.Lfunc_end883:
	.size	_ZN7rocprim17ROCPRIM_400000_NS6detail17trampoline_kernelINS0_14default_configENS1_25partition_config_selectorILNS1_17partition_subalgoE5EyNS0_10empty_typeEbEEZZNS1_14partition_implILS5_5ELb0ES3_mN6thrust23THRUST_200600_302600_NS6detail15normal_iteratorINSA_10device_ptrIyEEEEPS6_NSA_18transform_iteratorINSB_9not_fun_tINSA_8identityIyEEEESF_NSA_11use_defaultESM_EENS0_5tupleIJSF_S6_EEENSO_IJSG_SG_EEES6_PlJS6_EEE10hipError_tPvRmT3_T4_T5_T6_T7_T9_mT8_P12ihipStream_tbDpT10_ENKUlT_T0_E_clISt17integral_constantIbLb0EES1A_IbLb1EEEEDaS16_S17_EUlS16_E_NS1_11comp_targetILNS1_3genE9ELNS1_11target_archE1100ELNS1_3gpuE3ELNS1_3repE0EEENS1_30default_config_static_selectorELNS0_4arch9wavefront6targetE0EEEvT1_, .Lfunc_end883-_ZN7rocprim17ROCPRIM_400000_NS6detail17trampoline_kernelINS0_14default_configENS1_25partition_config_selectorILNS1_17partition_subalgoE5EyNS0_10empty_typeEbEEZZNS1_14partition_implILS5_5ELb0ES3_mN6thrust23THRUST_200600_302600_NS6detail15normal_iteratorINSA_10device_ptrIyEEEEPS6_NSA_18transform_iteratorINSB_9not_fun_tINSA_8identityIyEEEESF_NSA_11use_defaultESM_EENS0_5tupleIJSF_S6_EEENSO_IJSG_SG_EEES6_PlJS6_EEE10hipError_tPvRmT3_T4_T5_T6_T7_T9_mT8_P12ihipStream_tbDpT10_ENKUlT_T0_E_clISt17integral_constantIbLb0EES1A_IbLb1EEEEDaS16_S17_EUlS16_E_NS1_11comp_targetILNS1_3genE9ELNS1_11target_archE1100ELNS1_3gpuE3ELNS1_3repE0EEENS1_30default_config_static_selectorELNS0_4arch9wavefront6targetE0EEEvT1_
                                        ; -- End function
	.set _ZN7rocprim17ROCPRIM_400000_NS6detail17trampoline_kernelINS0_14default_configENS1_25partition_config_selectorILNS1_17partition_subalgoE5EyNS0_10empty_typeEbEEZZNS1_14partition_implILS5_5ELb0ES3_mN6thrust23THRUST_200600_302600_NS6detail15normal_iteratorINSA_10device_ptrIyEEEEPS6_NSA_18transform_iteratorINSB_9not_fun_tINSA_8identityIyEEEESF_NSA_11use_defaultESM_EENS0_5tupleIJSF_S6_EEENSO_IJSG_SG_EEES6_PlJS6_EEE10hipError_tPvRmT3_T4_T5_T6_T7_T9_mT8_P12ihipStream_tbDpT10_ENKUlT_T0_E_clISt17integral_constantIbLb0EES1A_IbLb1EEEEDaS16_S17_EUlS16_E_NS1_11comp_targetILNS1_3genE9ELNS1_11target_archE1100ELNS1_3gpuE3ELNS1_3repE0EEENS1_30default_config_static_selectorELNS0_4arch9wavefront6targetE0EEEvT1_.num_vgpr, 0
	.set _ZN7rocprim17ROCPRIM_400000_NS6detail17trampoline_kernelINS0_14default_configENS1_25partition_config_selectorILNS1_17partition_subalgoE5EyNS0_10empty_typeEbEEZZNS1_14partition_implILS5_5ELb0ES3_mN6thrust23THRUST_200600_302600_NS6detail15normal_iteratorINSA_10device_ptrIyEEEEPS6_NSA_18transform_iteratorINSB_9not_fun_tINSA_8identityIyEEEESF_NSA_11use_defaultESM_EENS0_5tupleIJSF_S6_EEENSO_IJSG_SG_EEES6_PlJS6_EEE10hipError_tPvRmT3_T4_T5_T6_T7_T9_mT8_P12ihipStream_tbDpT10_ENKUlT_T0_E_clISt17integral_constantIbLb0EES1A_IbLb1EEEEDaS16_S17_EUlS16_E_NS1_11comp_targetILNS1_3genE9ELNS1_11target_archE1100ELNS1_3gpuE3ELNS1_3repE0EEENS1_30default_config_static_selectorELNS0_4arch9wavefront6targetE0EEEvT1_.num_agpr, 0
	.set _ZN7rocprim17ROCPRIM_400000_NS6detail17trampoline_kernelINS0_14default_configENS1_25partition_config_selectorILNS1_17partition_subalgoE5EyNS0_10empty_typeEbEEZZNS1_14partition_implILS5_5ELb0ES3_mN6thrust23THRUST_200600_302600_NS6detail15normal_iteratorINSA_10device_ptrIyEEEEPS6_NSA_18transform_iteratorINSB_9not_fun_tINSA_8identityIyEEEESF_NSA_11use_defaultESM_EENS0_5tupleIJSF_S6_EEENSO_IJSG_SG_EEES6_PlJS6_EEE10hipError_tPvRmT3_T4_T5_T6_T7_T9_mT8_P12ihipStream_tbDpT10_ENKUlT_T0_E_clISt17integral_constantIbLb0EES1A_IbLb1EEEEDaS16_S17_EUlS16_E_NS1_11comp_targetILNS1_3genE9ELNS1_11target_archE1100ELNS1_3gpuE3ELNS1_3repE0EEENS1_30default_config_static_selectorELNS0_4arch9wavefront6targetE0EEEvT1_.numbered_sgpr, 0
	.set _ZN7rocprim17ROCPRIM_400000_NS6detail17trampoline_kernelINS0_14default_configENS1_25partition_config_selectorILNS1_17partition_subalgoE5EyNS0_10empty_typeEbEEZZNS1_14partition_implILS5_5ELb0ES3_mN6thrust23THRUST_200600_302600_NS6detail15normal_iteratorINSA_10device_ptrIyEEEEPS6_NSA_18transform_iteratorINSB_9not_fun_tINSA_8identityIyEEEESF_NSA_11use_defaultESM_EENS0_5tupleIJSF_S6_EEENSO_IJSG_SG_EEES6_PlJS6_EEE10hipError_tPvRmT3_T4_T5_T6_T7_T9_mT8_P12ihipStream_tbDpT10_ENKUlT_T0_E_clISt17integral_constantIbLb0EES1A_IbLb1EEEEDaS16_S17_EUlS16_E_NS1_11comp_targetILNS1_3genE9ELNS1_11target_archE1100ELNS1_3gpuE3ELNS1_3repE0EEENS1_30default_config_static_selectorELNS0_4arch9wavefront6targetE0EEEvT1_.num_named_barrier, 0
	.set _ZN7rocprim17ROCPRIM_400000_NS6detail17trampoline_kernelINS0_14default_configENS1_25partition_config_selectorILNS1_17partition_subalgoE5EyNS0_10empty_typeEbEEZZNS1_14partition_implILS5_5ELb0ES3_mN6thrust23THRUST_200600_302600_NS6detail15normal_iteratorINSA_10device_ptrIyEEEEPS6_NSA_18transform_iteratorINSB_9not_fun_tINSA_8identityIyEEEESF_NSA_11use_defaultESM_EENS0_5tupleIJSF_S6_EEENSO_IJSG_SG_EEES6_PlJS6_EEE10hipError_tPvRmT3_T4_T5_T6_T7_T9_mT8_P12ihipStream_tbDpT10_ENKUlT_T0_E_clISt17integral_constantIbLb0EES1A_IbLb1EEEEDaS16_S17_EUlS16_E_NS1_11comp_targetILNS1_3genE9ELNS1_11target_archE1100ELNS1_3gpuE3ELNS1_3repE0EEENS1_30default_config_static_selectorELNS0_4arch9wavefront6targetE0EEEvT1_.private_seg_size, 0
	.set _ZN7rocprim17ROCPRIM_400000_NS6detail17trampoline_kernelINS0_14default_configENS1_25partition_config_selectorILNS1_17partition_subalgoE5EyNS0_10empty_typeEbEEZZNS1_14partition_implILS5_5ELb0ES3_mN6thrust23THRUST_200600_302600_NS6detail15normal_iteratorINSA_10device_ptrIyEEEEPS6_NSA_18transform_iteratorINSB_9not_fun_tINSA_8identityIyEEEESF_NSA_11use_defaultESM_EENS0_5tupleIJSF_S6_EEENSO_IJSG_SG_EEES6_PlJS6_EEE10hipError_tPvRmT3_T4_T5_T6_T7_T9_mT8_P12ihipStream_tbDpT10_ENKUlT_T0_E_clISt17integral_constantIbLb0EES1A_IbLb1EEEEDaS16_S17_EUlS16_E_NS1_11comp_targetILNS1_3genE9ELNS1_11target_archE1100ELNS1_3gpuE3ELNS1_3repE0EEENS1_30default_config_static_selectorELNS0_4arch9wavefront6targetE0EEEvT1_.uses_vcc, 0
	.set _ZN7rocprim17ROCPRIM_400000_NS6detail17trampoline_kernelINS0_14default_configENS1_25partition_config_selectorILNS1_17partition_subalgoE5EyNS0_10empty_typeEbEEZZNS1_14partition_implILS5_5ELb0ES3_mN6thrust23THRUST_200600_302600_NS6detail15normal_iteratorINSA_10device_ptrIyEEEEPS6_NSA_18transform_iteratorINSB_9not_fun_tINSA_8identityIyEEEESF_NSA_11use_defaultESM_EENS0_5tupleIJSF_S6_EEENSO_IJSG_SG_EEES6_PlJS6_EEE10hipError_tPvRmT3_T4_T5_T6_T7_T9_mT8_P12ihipStream_tbDpT10_ENKUlT_T0_E_clISt17integral_constantIbLb0EES1A_IbLb1EEEEDaS16_S17_EUlS16_E_NS1_11comp_targetILNS1_3genE9ELNS1_11target_archE1100ELNS1_3gpuE3ELNS1_3repE0EEENS1_30default_config_static_selectorELNS0_4arch9wavefront6targetE0EEEvT1_.uses_flat_scratch, 0
	.set _ZN7rocprim17ROCPRIM_400000_NS6detail17trampoline_kernelINS0_14default_configENS1_25partition_config_selectorILNS1_17partition_subalgoE5EyNS0_10empty_typeEbEEZZNS1_14partition_implILS5_5ELb0ES3_mN6thrust23THRUST_200600_302600_NS6detail15normal_iteratorINSA_10device_ptrIyEEEEPS6_NSA_18transform_iteratorINSB_9not_fun_tINSA_8identityIyEEEESF_NSA_11use_defaultESM_EENS0_5tupleIJSF_S6_EEENSO_IJSG_SG_EEES6_PlJS6_EEE10hipError_tPvRmT3_T4_T5_T6_T7_T9_mT8_P12ihipStream_tbDpT10_ENKUlT_T0_E_clISt17integral_constantIbLb0EES1A_IbLb1EEEEDaS16_S17_EUlS16_E_NS1_11comp_targetILNS1_3genE9ELNS1_11target_archE1100ELNS1_3gpuE3ELNS1_3repE0EEENS1_30default_config_static_selectorELNS0_4arch9wavefront6targetE0EEEvT1_.has_dyn_sized_stack, 0
	.set _ZN7rocprim17ROCPRIM_400000_NS6detail17trampoline_kernelINS0_14default_configENS1_25partition_config_selectorILNS1_17partition_subalgoE5EyNS0_10empty_typeEbEEZZNS1_14partition_implILS5_5ELb0ES3_mN6thrust23THRUST_200600_302600_NS6detail15normal_iteratorINSA_10device_ptrIyEEEEPS6_NSA_18transform_iteratorINSB_9not_fun_tINSA_8identityIyEEEESF_NSA_11use_defaultESM_EENS0_5tupleIJSF_S6_EEENSO_IJSG_SG_EEES6_PlJS6_EEE10hipError_tPvRmT3_T4_T5_T6_T7_T9_mT8_P12ihipStream_tbDpT10_ENKUlT_T0_E_clISt17integral_constantIbLb0EES1A_IbLb1EEEEDaS16_S17_EUlS16_E_NS1_11comp_targetILNS1_3genE9ELNS1_11target_archE1100ELNS1_3gpuE3ELNS1_3repE0EEENS1_30default_config_static_selectorELNS0_4arch9wavefront6targetE0EEEvT1_.has_recursion, 0
	.set _ZN7rocprim17ROCPRIM_400000_NS6detail17trampoline_kernelINS0_14default_configENS1_25partition_config_selectorILNS1_17partition_subalgoE5EyNS0_10empty_typeEbEEZZNS1_14partition_implILS5_5ELb0ES3_mN6thrust23THRUST_200600_302600_NS6detail15normal_iteratorINSA_10device_ptrIyEEEEPS6_NSA_18transform_iteratorINSB_9not_fun_tINSA_8identityIyEEEESF_NSA_11use_defaultESM_EENS0_5tupleIJSF_S6_EEENSO_IJSG_SG_EEES6_PlJS6_EEE10hipError_tPvRmT3_T4_T5_T6_T7_T9_mT8_P12ihipStream_tbDpT10_ENKUlT_T0_E_clISt17integral_constantIbLb0EES1A_IbLb1EEEEDaS16_S17_EUlS16_E_NS1_11comp_targetILNS1_3genE9ELNS1_11target_archE1100ELNS1_3gpuE3ELNS1_3repE0EEENS1_30default_config_static_selectorELNS0_4arch9wavefront6targetE0EEEvT1_.has_indirect_call, 0
	.section	.AMDGPU.csdata,"",@progbits
; Kernel info:
; codeLenInByte = 0
; TotalNumSgprs: 0
; NumVgprs: 0
; ScratchSize: 0
; MemoryBound: 0
; FloatMode: 240
; IeeeMode: 1
; LDSByteSize: 0 bytes/workgroup (compile time only)
; SGPRBlocks: 0
; VGPRBlocks: 0
; NumSGPRsForWavesPerEU: 1
; NumVGPRsForWavesPerEU: 1
; Occupancy: 16
; WaveLimiterHint : 0
; COMPUTE_PGM_RSRC2:SCRATCH_EN: 0
; COMPUTE_PGM_RSRC2:USER_SGPR: 2
; COMPUTE_PGM_RSRC2:TRAP_HANDLER: 0
; COMPUTE_PGM_RSRC2:TGID_X_EN: 1
; COMPUTE_PGM_RSRC2:TGID_Y_EN: 0
; COMPUTE_PGM_RSRC2:TGID_Z_EN: 0
; COMPUTE_PGM_RSRC2:TIDIG_COMP_CNT: 0
	.section	.text._ZN7rocprim17ROCPRIM_400000_NS6detail17trampoline_kernelINS0_14default_configENS1_25partition_config_selectorILNS1_17partition_subalgoE5EyNS0_10empty_typeEbEEZZNS1_14partition_implILS5_5ELb0ES3_mN6thrust23THRUST_200600_302600_NS6detail15normal_iteratorINSA_10device_ptrIyEEEEPS6_NSA_18transform_iteratorINSB_9not_fun_tINSA_8identityIyEEEESF_NSA_11use_defaultESM_EENS0_5tupleIJSF_S6_EEENSO_IJSG_SG_EEES6_PlJS6_EEE10hipError_tPvRmT3_T4_T5_T6_T7_T9_mT8_P12ihipStream_tbDpT10_ENKUlT_T0_E_clISt17integral_constantIbLb0EES1A_IbLb1EEEEDaS16_S17_EUlS16_E_NS1_11comp_targetILNS1_3genE8ELNS1_11target_archE1030ELNS1_3gpuE2ELNS1_3repE0EEENS1_30default_config_static_selectorELNS0_4arch9wavefront6targetE0EEEvT1_,"axG",@progbits,_ZN7rocprim17ROCPRIM_400000_NS6detail17trampoline_kernelINS0_14default_configENS1_25partition_config_selectorILNS1_17partition_subalgoE5EyNS0_10empty_typeEbEEZZNS1_14partition_implILS5_5ELb0ES3_mN6thrust23THRUST_200600_302600_NS6detail15normal_iteratorINSA_10device_ptrIyEEEEPS6_NSA_18transform_iteratorINSB_9not_fun_tINSA_8identityIyEEEESF_NSA_11use_defaultESM_EENS0_5tupleIJSF_S6_EEENSO_IJSG_SG_EEES6_PlJS6_EEE10hipError_tPvRmT3_T4_T5_T6_T7_T9_mT8_P12ihipStream_tbDpT10_ENKUlT_T0_E_clISt17integral_constantIbLb0EES1A_IbLb1EEEEDaS16_S17_EUlS16_E_NS1_11comp_targetILNS1_3genE8ELNS1_11target_archE1030ELNS1_3gpuE2ELNS1_3repE0EEENS1_30default_config_static_selectorELNS0_4arch9wavefront6targetE0EEEvT1_,comdat
	.protected	_ZN7rocprim17ROCPRIM_400000_NS6detail17trampoline_kernelINS0_14default_configENS1_25partition_config_selectorILNS1_17partition_subalgoE5EyNS0_10empty_typeEbEEZZNS1_14partition_implILS5_5ELb0ES3_mN6thrust23THRUST_200600_302600_NS6detail15normal_iteratorINSA_10device_ptrIyEEEEPS6_NSA_18transform_iteratorINSB_9not_fun_tINSA_8identityIyEEEESF_NSA_11use_defaultESM_EENS0_5tupleIJSF_S6_EEENSO_IJSG_SG_EEES6_PlJS6_EEE10hipError_tPvRmT3_T4_T5_T6_T7_T9_mT8_P12ihipStream_tbDpT10_ENKUlT_T0_E_clISt17integral_constantIbLb0EES1A_IbLb1EEEEDaS16_S17_EUlS16_E_NS1_11comp_targetILNS1_3genE8ELNS1_11target_archE1030ELNS1_3gpuE2ELNS1_3repE0EEENS1_30default_config_static_selectorELNS0_4arch9wavefront6targetE0EEEvT1_ ; -- Begin function _ZN7rocprim17ROCPRIM_400000_NS6detail17trampoline_kernelINS0_14default_configENS1_25partition_config_selectorILNS1_17partition_subalgoE5EyNS0_10empty_typeEbEEZZNS1_14partition_implILS5_5ELb0ES3_mN6thrust23THRUST_200600_302600_NS6detail15normal_iteratorINSA_10device_ptrIyEEEEPS6_NSA_18transform_iteratorINSB_9not_fun_tINSA_8identityIyEEEESF_NSA_11use_defaultESM_EENS0_5tupleIJSF_S6_EEENSO_IJSG_SG_EEES6_PlJS6_EEE10hipError_tPvRmT3_T4_T5_T6_T7_T9_mT8_P12ihipStream_tbDpT10_ENKUlT_T0_E_clISt17integral_constantIbLb0EES1A_IbLb1EEEEDaS16_S17_EUlS16_E_NS1_11comp_targetILNS1_3genE8ELNS1_11target_archE1030ELNS1_3gpuE2ELNS1_3repE0EEENS1_30default_config_static_selectorELNS0_4arch9wavefront6targetE0EEEvT1_
	.globl	_ZN7rocprim17ROCPRIM_400000_NS6detail17trampoline_kernelINS0_14default_configENS1_25partition_config_selectorILNS1_17partition_subalgoE5EyNS0_10empty_typeEbEEZZNS1_14partition_implILS5_5ELb0ES3_mN6thrust23THRUST_200600_302600_NS6detail15normal_iteratorINSA_10device_ptrIyEEEEPS6_NSA_18transform_iteratorINSB_9not_fun_tINSA_8identityIyEEEESF_NSA_11use_defaultESM_EENS0_5tupleIJSF_S6_EEENSO_IJSG_SG_EEES6_PlJS6_EEE10hipError_tPvRmT3_T4_T5_T6_T7_T9_mT8_P12ihipStream_tbDpT10_ENKUlT_T0_E_clISt17integral_constantIbLb0EES1A_IbLb1EEEEDaS16_S17_EUlS16_E_NS1_11comp_targetILNS1_3genE8ELNS1_11target_archE1030ELNS1_3gpuE2ELNS1_3repE0EEENS1_30default_config_static_selectorELNS0_4arch9wavefront6targetE0EEEvT1_
	.p2align	8
	.type	_ZN7rocprim17ROCPRIM_400000_NS6detail17trampoline_kernelINS0_14default_configENS1_25partition_config_selectorILNS1_17partition_subalgoE5EyNS0_10empty_typeEbEEZZNS1_14partition_implILS5_5ELb0ES3_mN6thrust23THRUST_200600_302600_NS6detail15normal_iteratorINSA_10device_ptrIyEEEEPS6_NSA_18transform_iteratorINSB_9not_fun_tINSA_8identityIyEEEESF_NSA_11use_defaultESM_EENS0_5tupleIJSF_S6_EEENSO_IJSG_SG_EEES6_PlJS6_EEE10hipError_tPvRmT3_T4_T5_T6_T7_T9_mT8_P12ihipStream_tbDpT10_ENKUlT_T0_E_clISt17integral_constantIbLb0EES1A_IbLb1EEEEDaS16_S17_EUlS16_E_NS1_11comp_targetILNS1_3genE8ELNS1_11target_archE1030ELNS1_3gpuE2ELNS1_3repE0EEENS1_30default_config_static_selectorELNS0_4arch9wavefront6targetE0EEEvT1_,@function
_ZN7rocprim17ROCPRIM_400000_NS6detail17trampoline_kernelINS0_14default_configENS1_25partition_config_selectorILNS1_17partition_subalgoE5EyNS0_10empty_typeEbEEZZNS1_14partition_implILS5_5ELb0ES3_mN6thrust23THRUST_200600_302600_NS6detail15normal_iteratorINSA_10device_ptrIyEEEEPS6_NSA_18transform_iteratorINSB_9not_fun_tINSA_8identityIyEEEESF_NSA_11use_defaultESM_EENS0_5tupleIJSF_S6_EEENSO_IJSG_SG_EEES6_PlJS6_EEE10hipError_tPvRmT3_T4_T5_T6_T7_T9_mT8_P12ihipStream_tbDpT10_ENKUlT_T0_E_clISt17integral_constantIbLb0EES1A_IbLb1EEEEDaS16_S17_EUlS16_E_NS1_11comp_targetILNS1_3genE8ELNS1_11target_archE1030ELNS1_3gpuE2ELNS1_3repE0EEENS1_30default_config_static_selectorELNS0_4arch9wavefront6targetE0EEEvT1_: ; @_ZN7rocprim17ROCPRIM_400000_NS6detail17trampoline_kernelINS0_14default_configENS1_25partition_config_selectorILNS1_17partition_subalgoE5EyNS0_10empty_typeEbEEZZNS1_14partition_implILS5_5ELb0ES3_mN6thrust23THRUST_200600_302600_NS6detail15normal_iteratorINSA_10device_ptrIyEEEEPS6_NSA_18transform_iteratorINSB_9not_fun_tINSA_8identityIyEEEESF_NSA_11use_defaultESM_EENS0_5tupleIJSF_S6_EEENSO_IJSG_SG_EEES6_PlJS6_EEE10hipError_tPvRmT3_T4_T5_T6_T7_T9_mT8_P12ihipStream_tbDpT10_ENKUlT_T0_E_clISt17integral_constantIbLb0EES1A_IbLb1EEEEDaS16_S17_EUlS16_E_NS1_11comp_targetILNS1_3genE8ELNS1_11target_archE1030ELNS1_3gpuE2ELNS1_3repE0EEENS1_30default_config_static_selectorELNS0_4arch9wavefront6targetE0EEEvT1_
; %bb.0:
	.section	.rodata,"a",@progbits
	.p2align	6, 0x0
	.amdhsa_kernel _ZN7rocprim17ROCPRIM_400000_NS6detail17trampoline_kernelINS0_14default_configENS1_25partition_config_selectorILNS1_17partition_subalgoE5EyNS0_10empty_typeEbEEZZNS1_14partition_implILS5_5ELb0ES3_mN6thrust23THRUST_200600_302600_NS6detail15normal_iteratorINSA_10device_ptrIyEEEEPS6_NSA_18transform_iteratorINSB_9not_fun_tINSA_8identityIyEEEESF_NSA_11use_defaultESM_EENS0_5tupleIJSF_S6_EEENSO_IJSG_SG_EEES6_PlJS6_EEE10hipError_tPvRmT3_T4_T5_T6_T7_T9_mT8_P12ihipStream_tbDpT10_ENKUlT_T0_E_clISt17integral_constantIbLb0EES1A_IbLb1EEEEDaS16_S17_EUlS16_E_NS1_11comp_targetILNS1_3genE8ELNS1_11target_archE1030ELNS1_3gpuE2ELNS1_3repE0EEENS1_30default_config_static_selectorELNS0_4arch9wavefront6targetE0EEEvT1_
		.amdhsa_group_segment_fixed_size 0
		.amdhsa_private_segment_fixed_size 0
		.amdhsa_kernarg_size 136
		.amdhsa_user_sgpr_count 2
		.amdhsa_user_sgpr_dispatch_ptr 0
		.amdhsa_user_sgpr_queue_ptr 0
		.amdhsa_user_sgpr_kernarg_segment_ptr 1
		.amdhsa_user_sgpr_dispatch_id 0
		.amdhsa_user_sgpr_private_segment_size 0
		.amdhsa_wavefront_size32 1
		.amdhsa_uses_dynamic_stack 0
		.amdhsa_enable_private_segment 0
		.amdhsa_system_sgpr_workgroup_id_x 1
		.amdhsa_system_sgpr_workgroup_id_y 0
		.amdhsa_system_sgpr_workgroup_id_z 0
		.amdhsa_system_sgpr_workgroup_info 0
		.amdhsa_system_vgpr_workitem_id 0
		.amdhsa_next_free_vgpr 1
		.amdhsa_next_free_sgpr 1
		.amdhsa_reserve_vcc 0
		.amdhsa_float_round_mode_32 0
		.amdhsa_float_round_mode_16_64 0
		.amdhsa_float_denorm_mode_32 3
		.amdhsa_float_denorm_mode_16_64 3
		.amdhsa_fp16_overflow 0
		.amdhsa_workgroup_processor_mode 1
		.amdhsa_memory_ordered 1
		.amdhsa_forward_progress 1
		.amdhsa_inst_pref_size 0
		.amdhsa_round_robin_scheduling 0
		.amdhsa_exception_fp_ieee_invalid_op 0
		.amdhsa_exception_fp_denorm_src 0
		.amdhsa_exception_fp_ieee_div_zero 0
		.amdhsa_exception_fp_ieee_overflow 0
		.amdhsa_exception_fp_ieee_underflow 0
		.amdhsa_exception_fp_ieee_inexact 0
		.amdhsa_exception_int_div_zero 0
	.end_amdhsa_kernel
	.section	.text._ZN7rocprim17ROCPRIM_400000_NS6detail17trampoline_kernelINS0_14default_configENS1_25partition_config_selectorILNS1_17partition_subalgoE5EyNS0_10empty_typeEbEEZZNS1_14partition_implILS5_5ELb0ES3_mN6thrust23THRUST_200600_302600_NS6detail15normal_iteratorINSA_10device_ptrIyEEEEPS6_NSA_18transform_iteratorINSB_9not_fun_tINSA_8identityIyEEEESF_NSA_11use_defaultESM_EENS0_5tupleIJSF_S6_EEENSO_IJSG_SG_EEES6_PlJS6_EEE10hipError_tPvRmT3_T4_T5_T6_T7_T9_mT8_P12ihipStream_tbDpT10_ENKUlT_T0_E_clISt17integral_constantIbLb0EES1A_IbLb1EEEEDaS16_S17_EUlS16_E_NS1_11comp_targetILNS1_3genE8ELNS1_11target_archE1030ELNS1_3gpuE2ELNS1_3repE0EEENS1_30default_config_static_selectorELNS0_4arch9wavefront6targetE0EEEvT1_,"axG",@progbits,_ZN7rocprim17ROCPRIM_400000_NS6detail17trampoline_kernelINS0_14default_configENS1_25partition_config_selectorILNS1_17partition_subalgoE5EyNS0_10empty_typeEbEEZZNS1_14partition_implILS5_5ELb0ES3_mN6thrust23THRUST_200600_302600_NS6detail15normal_iteratorINSA_10device_ptrIyEEEEPS6_NSA_18transform_iteratorINSB_9not_fun_tINSA_8identityIyEEEESF_NSA_11use_defaultESM_EENS0_5tupleIJSF_S6_EEENSO_IJSG_SG_EEES6_PlJS6_EEE10hipError_tPvRmT3_T4_T5_T6_T7_T9_mT8_P12ihipStream_tbDpT10_ENKUlT_T0_E_clISt17integral_constantIbLb0EES1A_IbLb1EEEEDaS16_S17_EUlS16_E_NS1_11comp_targetILNS1_3genE8ELNS1_11target_archE1030ELNS1_3gpuE2ELNS1_3repE0EEENS1_30default_config_static_selectorELNS0_4arch9wavefront6targetE0EEEvT1_,comdat
.Lfunc_end884:
	.size	_ZN7rocprim17ROCPRIM_400000_NS6detail17trampoline_kernelINS0_14default_configENS1_25partition_config_selectorILNS1_17partition_subalgoE5EyNS0_10empty_typeEbEEZZNS1_14partition_implILS5_5ELb0ES3_mN6thrust23THRUST_200600_302600_NS6detail15normal_iteratorINSA_10device_ptrIyEEEEPS6_NSA_18transform_iteratorINSB_9not_fun_tINSA_8identityIyEEEESF_NSA_11use_defaultESM_EENS0_5tupleIJSF_S6_EEENSO_IJSG_SG_EEES6_PlJS6_EEE10hipError_tPvRmT3_T4_T5_T6_T7_T9_mT8_P12ihipStream_tbDpT10_ENKUlT_T0_E_clISt17integral_constantIbLb0EES1A_IbLb1EEEEDaS16_S17_EUlS16_E_NS1_11comp_targetILNS1_3genE8ELNS1_11target_archE1030ELNS1_3gpuE2ELNS1_3repE0EEENS1_30default_config_static_selectorELNS0_4arch9wavefront6targetE0EEEvT1_, .Lfunc_end884-_ZN7rocprim17ROCPRIM_400000_NS6detail17trampoline_kernelINS0_14default_configENS1_25partition_config_selectorILNS1_17partition_subalgoE5EyNS0_10empty_typeEbEEZZNS1_14partition_implILS5_5ELb0ES3_mN6thrust23THRUST_200600_302600_NS6detail15normal_iteratorINSA_10device_ptrIyEEEEPS6_NSA_18transform_iteratorINSB_9not_fun_tINSA_8identityIyEEEESF_NSA_11use_defaultESM_EENS0_5tupleIJSF_S6_EEENSO_IJSG_SG_EEES6_PlJS6_EEE10hipError_tPvRmT3_T4_T5_T6_T7_T9_mT8_P12ihipStream_tbDpT10_ENKUlT_T0_E_clISt17integral_constantIbLb0EES1A_IbLb1EEEEDaS16_S17_EUlS16_E_NS1_11comp_targetILNS1_3genE8ELNS1_11target_archE1030ELNS1_3gpuE2ELNS1_3repE0EEENS1_30default_config_static_selectorELNS0_4arch9wavefront6targetE0EEEvT1_
                                        ; -- End function
	.set _ZN7rocprim17ROCPRIM_400000_NS6detail17trampoline_kernelINS0_14default_configENS1_25partition_config_selectorILNS1_17partition_subalgoE5EyNS0_10empty_typeEbEEZZNS1_14partition_implILS5_5ELb0ES3_mN6thrust23THRUST_200600_302600_NS6detail15normal_iteratorINSA_10device_ptrIyEEEEPS6_NSA_18transform_iteratorINSB_9not_fun_tINSA_8identityIyEEEESF_NSA_11use_defaultESM_EENS0_5tupleIJSF_S6_EEENSO_IJSG_SG_EEES6_PlJS6_EEE10hipError_tPvRmT3_T4_T5_T6_T7_T9_mT8_P12ihipStream_tbDpT10_ENKUlT_T0_E_clISt17integral_constantIbLb0EES1A_IbLb1EEEEDaS16_S17_EUlS16_E_NS1_11comp_targetILNS1_3genE8ELNS1_11target_archE1030ELNS1_3gpuE2ELNS1_3repE0EEENS1_30default_config_static_selectorELNS0_4arch9wavefront6targetE0EEEvT1_.num_vgpr, 0
	.set _ZN7rocprim17ROCPRIM_400000_NS6detail17trampoline_kernelINS0_14default_configENS1_25partition_config_selectorILNS1_17partition_subalgoE5EyNS0_10empty_typeEbEEZZNS1_14partition_implILS5_5ELb0ES3_mN6thrust23THRUST_200600_302600_NS6detail15normal_iteratorINSA_10device_ptrIyEEEEPS6_NSA_18transform_iteratorINSB_9not_fun_tINSA_8identityIyEEEESF_NSA_11use_defaultESM_EENS0_5tupleIJSF_S6_EEENSO_IJSG_SG_EEES6_PlJS6_EEE10hipError_tPvRmT3_T4_T5_T6_T7_T9_mT8_P12ihipStream_tbDpT10_ENKUlT_T0_E_clISt17integral_constantIbLb0EES1A_IbLb1EEEEDaS16_S17_EUlS16_E_NS1_11comp_targetILNS1_3genE8ELNS1_11target_archE1030ELNS1_3gpuE2ELNS1_3repE0EEENS1_30default_config_static_selectorELNS0_4arch9wavefront6targetE0EEEvT1_.num_agpr, 0
	.set _ZN7rocprim17ROCPRIM_400000_NS6detail17trampoline_kernelINS0_14default_configENS1_25partition_config_selectorILNS1_17partition_subalgoE5EyNS0_10empty_typeEbEEZZNS1_14partition_implILS5_5ELb0ES3_mN6thrust23THRUST_200600_302600_NS6detail15normal_iteratorINSA_10device_ptrIyEEEEPS6_NSA_18transform_iteratorINSB_9not_fun_tINSA_8identityIyEEEESF_NSA_11use_defaultESM_EENS0_5tupleIJSF_S6_EEENSO_IJSG_SG_EEES6_PlJS6_EEE10hipError_tPvRmT3_T4_T5_T6_T7_T9_mT8_P12ihipStream_tbDpT10_ENKUlT_T0_E_clISt17integral_constantIbLb0EES1A_IbLb1EEEEDaS16_S17_EUlS16_E_NS1_11comp_targetILNS1_3genE8ELNS1_11target_archE1030ELNS1_3gpuE2ELNS1_3repE0EEENS1_30default_config_static_selectorELNS0_4arch9wavefront6targetE0EEEvT1_.numbered_sgpr, 0
	.set _ZN7rocprim17ROCPRIM_400000_NS6detail17trampoline_kernelINS0_14default_configENS1_25partition_config_selectorILNS1_17partition_subalgoE5EyNS0_10empty_typeEbEEZZNS1_14partition_implILS5_5ELb0ES3_mN6thrust23THRUST_200600_302600_NS6detail15normal_iteratorINSA_10device_ptrIyEEEEPS6_NSA_18transform_iteratorINSB_9not_fun_tINSA_8identityIyEEEESF_NSA_11use_defaultESM_EENS0_5tupleIJSF_S6_EEENSO_IJSG_SG_EEES6_PlJS6_EEE10hipError_tPvRmT3_T4_T5_T6_T7_T9_mT8_P12ihipStream_tbDpT10_ENKUlT_T0_E_clISt17integral_constantIbLb0EES1A_IbLb1EEEEDaS16_S17_EUlS16_E_NS1_11comp_targetILNS1_3genE8ELNS1_11target_archE1030ELNS1_3gpuE2ELNS1_3repE0EEENS1_30default_config_static_selectorELNS0_4arch9wavefront6targetE0EEEvT1_.num_named_barrier, 0
	.set _ZN7rocprim17ROCPRIM_400000_NS6detail17trampoline_kernelINS0_14default_configENS1_25partition_config_selectorILNS1_17partition_subalgoE5EyNS0_10empty_typeEbEEZZNS1_14partition_implILS5_5ELb0ES3_mN6thrust23THRUST_200600_302600_NS6detail15normal_iteratorINSA_10device_ptrIyEEEEPS6_NSA_18transform_iteratorINSB_9not_fun_tINSA_8identityIyEEEESF_NSA_11use_defaultESM_EENS0_5tupleIJSF_S6_EEENSO_IJSG_SG_EEES6_PlJS6_EEE10hipError_tPvRmT3_T4_T5_T6_T7_T9_mT8_P12ihipStream_tbDpT10_ENKUlT_T0_E_clISt17integral_constantIbLb0EES1A_IbLb1EEEEDaS16_S17_EUlS16_E_NS1_11comp_targetILNS1_3genE8ELNS1_11target_archE1030ELNS1_3gpuE2ELNS1_3repE0EEENS1_30default_config_static_selectorELNS0_4arch9wavefront6targetE0EEEvT1_.private_seg_size, 0
	.set _ZN7rocprim17ROCPRIM_400000_NS6detail17trampoline_kernelINS0_14default_configENS1_25partition_config_selectorILNS1_17partition_subalgoE5EyNS0_10empty_typeEbEEZZNS1_14partition_implILS5_5ELb0ES3_mN6thrust23THRUST_200600_302600_NS6detail15normal_iteratorINSA_10device_ptrIyEEEEPS6_NSA_18transform_iteratorINSB_9not_fun_tINSA_8identityIyEEEESF_NSA_11use_defaultESM_EENS0_5tupleIJSF_S6_EEENSO_IJSG_SG_EEES6_PlJS6_EEE10hipError_tPvRmT3_T4_T5_T6_T7_T9_mT8_P12ihipStream_tbDpT10_ENKUlT_T0_E_clISt17integral_constantIbLb0EES1A_IbLb1EEEEDaS16_S17_EUlS16_E_NS1_11comp_targetILNS1_3genE8ELNS1_11target_archE1030ELNS1_3gpuE2ELNS1_3repE0EEENS1_30default_config_static_selectorELNS0_4arch9wavefront6targetE0EEEvT1_.uses_vcc, 0
	.set _ZN7rocprim17ROCPRIM_400000_NS6detail17trampoline_kernelINS0_14default_configENS1_25partition_config_selectorILNS1_17partition_subalgoE5EyNS0_10empty_typeEbEEZZNS1_14partition_implILS5_5ELb0ES3_mN6thrust23THRUST_200600_302600_NS6detail15normal_iteratorINSA_10device_ptrIyEEEEPS6_NSA_18transform_iteratorINSB_9not_fun_tINSA_8identityIyEEEESF_NSA_11use_defaultESM_EENS0_5tupleIJSF_S6_EEENSO_IJSG_SG_EEES6_PlJS6_EEE10hipError_tPvRmT3_T4_T5_T6_T7_T9_mT8_P12ihipStream_tbDpT10_ENKUlT_T0_E_clISt17integral_constantIbLb0EES1A_IbLb1EEEEDaS16_S17_EUlS16_E_NS1_11comp_targetILNS1_3genE8ELNS1_11target_archE1030ELNS1_3gpuE2ELNS1_3repE0EEENS1_30default_config_static_selectorELNS0_4arch9wavefront6targetE0EEEvT1_.uses_flat_scratch, 0
	.set _ZN7rocprim17ROCPRIM_400000_NS6detail17trampoline_kernelINS0_14default_configENS1_25partition_config_selectorILNS1_17partition_subalgoE5EyNS0_10empty_typeEbEEZZNS1_14partition_implILS5_5ELb0ES3_mN6thrust23THRUST_200600_302600_NS6detail15normal_iteratorINSA_10device_ptrIyEEEEPS6_NSA_18transform_iteratorINSB_9not_fun_tINSA_8identityIyEEEESF_NSA_11use_defaultESM_EENS0_5tupleIJSF_S6_EEENSO_IJSG_SG_EEES6_PlJS6_EEE10hipError_tPvRmT3_T4_T5_T6_T7_T9_mT8_P12ihipStream_tbDpT10_ENKUlT_T0_E_clISt17integral_constantIbLb0EES1A_IbLb1EEEEDaS16_S17_EUlS16_E_NS1_11comp_targetILNS1_3genE8ELNS1_11target_archE1030ELNS1_3gpuE2ELNS1_3repE0EEENS1_30default_config_static_selectorELNS0_4arch9wavefront6targetE0EEEvT1_.has_dyn_sized_stack, 0
	.set _ZN7rocprim17ROCPRIM_400000_NS6detail17trampoline_kernelINS0_14default_configENS1_25partition_config_selectorILNS1_17partition_subalgoE5EyNS0_10empty_typeEbEEZZNS1_14partition_implILS5_5ELb0ES3_mN6thrust23THRUST_200600_302600_NS6detail15normal_iteratorINSA_10device_ptrIyEEEEPS6_NSA_18transform_iteratorINSB_9not_fun_tINSA_8identityIyEEEESF_NSA_11use_defaultESM_EENS0_5tupleIJSF_S6_EEENSO_IJSG_SG_EEES6_PlJS6_EEE10hipError_tPvRmT3_T4_T5_T6_T7_T9_mT8_P12ihipStream_tbDpT10_ENKUlT_T0_E_clISt17integral_constantIbLb0EES1A_IbLb1EEEEDaS16_S17_EUlS16_E_NS1_11comp_targetILNS1_3genE8ELNS1_11target_archE1030ELNS1_3gpuE2ELNS1_3repE0EEENS1_30default_config_static_selectorELNS0_4arch9wavefront6targetE0EEEvT1_.has_recursion, 0
	.set _ZN7rocprim17ROCPRIM_400000_NS6detail17trampoline_kernelINS0_14default_configENS1_25partition_config_selectorILNS1_17partition_subalgoE5EyNS0_10empty_typeEbEEZZNS1_14partition_implILS5_5ELb0ES3_mN6thrust23THRUST_200600_302600_NS6detail15normal_iteratorINSA_10device_ptrIyEEEEPS6_NSA_18transform_iteratorINSB_9not_fun_tINSA_8identityIyEEEESF_NSA_11use_defaultESM_EENS0_5tupleIJSF_S6_EEENSO_IJSG_SG_EEES6_PlJS6_EEE10hipError_tPvRmT3_T4_T5_T6_T7_T9_mT8_P12ihipStream_tbDpT10_ENKUlT_T0_E_clISt17integral_constantIbLb0EES1A_IbLb1EEEEDaS16_S17_EUlS16_E_NS1_11comp_targetILNS1_3genE8ELNS1_11target_archE1030ELNS1_3gpuE2ELNS1_3repE0EEENS1_30default_config_static_selectorELNS0_4arch9wavefront6targetE0EEEvT1_.has_indirect_call, 0
	.section	.AMDGPU.csdata,"",@progbits
; Kernel info:
; codeLenInByte = 0
; TotalNumSgprs: 0
; NumVgprs: 0
; ScratchSize: 0
; MemoryBound: 0
; FloatMode: 240
; IeeeMode: 1
; LDSByteSize: 0 bytes/workgroup (compile time only)
; SGPRBlocks: 0
; VGPRBlocks: 0
; NumSGPRsForWavesPerEU: 1
; NumVGPRsForWavesPerEU: 1
; Occupancy: 16
; WaveLimiterHint : 0
; COMPUTE_PGM_RSRC2:SCRATCH_EN: 0
; COMPUTE_PGM_RSRC2:USER_SGPR: 2
; COMPUTE_PGM_RSRC2:TRAP_HANDLER: 0
; COMPUTE_PGM_RSRC2:TGID_X_EN: 1
; COMPUTE_PGM_RSRC2:TGID_Y_EN: 0
; COMPUTE_PGM_RSRC2:TGID_Z_EN: 0
; COMPUTE_PGM_RSRC2:TIDIG_COMP_CNT: 0
	.section	.text._ZN7rocprim17ROCPRIM_400000_NS6detail17trampoline_kernelINS0_14default_configENS1_25partition_config_selectorILNS1_17partition_subalgoE5EjNS0_10empty_typeEbEEZZNS1_14partition_implILS5_5ELb0ES3_mN6thrust23THRUST_200600_302600_NS6detail15normal_iteratorINSA_10device_ptrIjEEEEPS6_NSA_18transform_iteratorINSB_9not_fun_tINSA_8identityIjEEEESF_NSA_11use_defaultESM_EENS0_5tupleIJSF_S6_EEENSO_IJSG_SG_EEES6_PlJS6_EEE10hipError_tPvRmT3_T4_T5_T6_T7_T9_mT8_P12ihipStream_tbDpT10_ENKUlT_T0_E_clISt17integral_constantIbLb0EES1B_EEDaS16_S17_EUlS16_E_NS1_11comp_targetILNS1_3genE0ELNS1_11target_archE4294967295ELNS1_3gpuE0ELNS1_3repE0EEENS1_30default_config_static_selectorELNS0_4arch9wavefront6targetE0EEEvT1_,"axG",@progbits,_ZN7rocprim17ROCPRIM_400000_NS6detail17trampoline_kernelINS0_14default_configENS1_25partition_config_selectorILNS1_17partition_subalgoE5EjNS0_10empty_typeEbEEZZNS1_14partition_implILS5_5ELb0ES3_mN6thrust23THRUST_200600_302600_NS6detail15normal_iteratorINSA_10device_ptrIjEEEEPS6_NSA_18transform_iteratorINSB_9not_fun_tINSA_8identityIjEEEESF_NSA_11use_defaultESM_EENS0_5tupleIJSF_S6_EEENSO_IJSG_SG_EEES6_PlJS6_EEE10hipError_tPvRmT3_T4_T5_T6_T7_T9_mT8_P12ihipStream_tbDpT10_ENKUlT_T0_E_clISt17integral_constantIbLb0EES1B_EEDaS16_S17_EUlS16_E_NS1_11comp_targetILNS1_3genE0ELNS1_11target_archE4294967295ELNS1_3gpuE0ELNS1_3repE0EEENS1_30default_config_static_selectorELNS0_4arch9wavefront6targetE0EEEvT1_,comdat
	.protected	_ZN7rocprim17ROCPRIM_400000_NS6detail17trampoline_kernelINS0_14default_configENS1_25partition_config_selectorILNS1_17partition_subalgoE5EjNS0_10empty_typeEbEEZZNS1_14partition_implILS5_5ELb0ES3_mN6thrust23THRUST_200600_302600_NS6detail15normal_iteratorINSA_10device_ptrIjEEEEPS6_NSA_18transform_iteratorINSB_9not_fun_tINSA_8identityIjEEEESF_NSA_11use_defaultESM_EENS0_5tupleIJSF_S6_EEENSO_IJSG_SG_EEES6_PlJS6_EEE10hipError_tPvRmT3_T4_T5_T6_T7_T9_mT8_P12ihipStream_tbDpT10_ENKUlT_T0_E_clISt17integral_constantIbLb0EES1B_EEDaS16_S17_EUlS16_E_NS1_11comp_targetILNS1_3genE0ELNS1_11target_archE4294967295ELNS1_3gpuE0ELNS1_3repE0EEENS1_30default_config_static_selectorELNS0_4arch9wavefront6targetE0EEEvT1_ ; -- Begin function _ZN7rocprim17ROCPRIM_400000_NS6detail17trampoline_kernelINS0_14default_configENS1_25partition_config_selectorILNS1_17partition_subalgoE5EjNS0_10empty_typeEbEEZZNS1_14partition_implILS5_5ELb0ES3_mN6thrust23THRUST_200600_302600_NS6detail15normal_iteratorINSA_10device_ptrIjEEEEPS6_NSA_18transform_iteratorINSB_9not_fun_tINSA_8identityIjEEEESF_NSA_11use_defaultESM_EENS0_5tupleIJSF_S6_EEENSO_IJSG_SG_EEES6_PlJS6_EEE10hipError_tPvRmT3_T4_T5_T6_T7_T9_mT8_P12ihipStream_tbDpT10_ENKUlT_T0_E_clISt17integral_constantIbLb0EES1B_EEDaS16_S17_EUlS16_E_NS1_11comp_targetILNS1_3genE0ELNS1_11target_archE4294967295ELNS1_3gpuE0ELNS1_3repE0EEENS1_30default_config_static_selectorELNS0_4arch9wavefront6targetE0EEEvT1_
	.globl	_ZN7rocprim17ROCPRIM_400000_NS6detail17trampoline_kernelINS0_14default_configENS1_25partition_config_selectorILNS1_17partition_subalgoE5EjNS0_10empty_typeEbEEZZNS1_14partition_implILS5_5ELb0ES3_mN6thrust23THRUST_200600_302600_NS6detail15normal_iteratorINSA_10device_ptrIjEEEEPS6_NSA_18transform_iteratorINSB_9not_fun_tINSA_8identityIjEEEESF_NSA_11use_defaultESM_EENS0_5tupleIJSF_S6_EEENSO_IJSG_SG_EEES6_PlJS6_EEE10hipError_tPvRmT3_T4_T5_T6_T7_T9_mT8_P12ihipStream_tbDpT10_ENKUlT_T0_E_clISt17integral_constantIbLb0EES1B_EEDaS16_S17_EUlS16_E_NS1_11comp_targetILNS1_3genE0ELNS1_11target_archE4294967295ELNS1_3gpuE0ELNS1_3repE0EEENS1_30default_config_static_selectorELNS0_4arch9wavefront6targetE0EEEvT1_
	.p2align	8
	.type	_ZN7rocprim17ROCPRIM_400000_NS6detail17trampoline_kernelINS0_14default_configENS1_25partition_config_selectorILNS1_17partition_subalgoE5EjNS0_10empty_typeEbEEZZNS1_14partition_implILS5_5ELb0ES3_mN6thrust23THRUST_200600_302600_NS6detail15normal_iteratorINSA_10device_ptrIjEEEEPS6_NSA_18transform_iteratorINSB_9not_fun_tINSA_8identityIjEEEESF_NSA_11use_defaultESM_EENS0_5tupleIJSF_S6_EEENSO_IJSG_SG_EEES6_PlJS6_EEE10hipError_tPvRmT3_T4_T5_T6_T7_T9_mT8_P12ihipStream_tbDpT10_ENKUlT_T0_E_clISt17integral_constantIbLb0EES1B_EEDaS16_S17_EUlS16_E_NS1_11comp_targetILNS1_3genE0ELNS1_11target_archE4294967295ELNS1_3gpuE0ELNS1_3repE0EEENS1_30default_config_static_selectorELNS0_4arch9wavefront6targetE0EEEvT1_,@function
_ZN7rocprim17ROCPRIM_400000_NS6detail17trampoline_kernelINS0_14default_configENS1_25partition_config_selectorILNS1_17partition_subalgoE5EjNS0_10empty_typeEbEEZZNS1_14partition_implILS5_5ELb0ES3_mN6thrust23THRUST_200600_302600_NS6detail15normal_iteratorINSA_10device_ptrIjEEEEPS6_NSA_18transform_iteratorINSB_9not_fun_tINSA_8identityIjEEEESF_NSA_11use_defaultESM_EENS0_5tupleIJSF_S6_EEENSO_IJSG_SG_EEES6_PlJS6_EEE10hipError_tPvRmT3_T4_T5_T6_T7_T9_mT8_P12ihipStream_tbDpT10_ENKUlT_T0_E_clISt17integral_constantIbLb0EES1B_EEDaS16_S17_EUlS16_E_NS1_11comp_targetILNS1_3genE0ELNS1_11target_archE4294967295ELNS1_3gpuE0ELNS1_3repE0EEENS1_30default_config_static_selectorELNS0_4arch9wavefront6targetE0EEEvT1_: ; @_ZN7rocprim17ROCPRIM_400000_NS6detail17trampoline_kernelINS0_14default_configENS1_25partition_config_selectorILNS1_17partition_subalgoE5EjNS0_10empty_typeEbEEZZNS1_14partition_implILS5_5ELb0ES3_mN6thrust23THRUST_200600_302600_NS6detail15normal_iteratorINSA_10device_ptrIjEEEEPS6_NSA_18transform_iteratorINSB_9not_fun_tINSA_8identityIjEEEESF_NSA_11use_defaultESM_EENS0_5tupleIJSF_S6_EEENSO_IJSG_SG_EEES6_PlJS6_EEE10hipError_tPvRmT3_T4_T5_T6_T7_T9_mT8_P12ihipStream_tbDpT10_ENKUlT_T0_E_clISt17integral_constantIbLb0EES1B_EEDaS16_S17_EUlS16_E_NS1_11comp_targetILNS1_3genE0ELNS1_11target_archE4294967295ELNS1_3gpuE0ELNS1_3repE0EEENS1_30default_config_static_selectorELNS0_4arch9wavefront6targetE0EEEvT1_
; %bb.0:
	.section	.rodata,"a",@progbits
	.p2align	6, 0x0
	.amdhsa_kernel _ZN7rocprim17ROCPRIM_400000_NS6detail17trampoline_kernelINS0_14default_configENS1_25partition_config_selectorILNS1_17partition_subalgoE5EjNS0_10empty_typeEbEEZZNS1_14partition_implILS5_5ELb0ES3_mN6thrust23THRUST_200600_302600_NS6detail15normal_iteratorINSA_10device_ptrIjEEEEPS6_NSA_18transform_iteratorINSB_9not_fun_tINSA_8identityIjEEEESF_NSA_11use_defaultESM_EENS0_5tupleIJSF_S6_EEENSO_IJSG_SG_EEES6_PlJS6_EEE10hipError_tPvRmT3_T4_T5_T6_T7_T9_mT8_P12ihipStream_tbDpT10_ENKUlT_T0_E_clISt17integral_constantIbLb0EES1B_EEDaS16_S17_EUlS16_E_NS1_11comp_targetILNS1_3genE0ELNS1_11target_archE4294967295ELNS1_3gpuE0ELNS1_3repE0EEENS1_30default_config_static_selectorELNS0_4arch9wavefront6targetE0EEEvT1_
		.amdhsa_group_segment_fixed_size 0
		.amdhsa_private_segment_fixed_size 0
		.amdhsa_kernarg_size 120
		.amdhsa_user_sgpr_count 2
		.amdhsa_user_sgpr_dispatch_ptr 0
		.amdhsa_user_sgpr_queue_ptr 0
		.amdhsa_user_sgpr_kernarg_segment_ptr 1
		.amdhsa_user_sgpr_dispatch_id 0
		.amdhsa_user_sgpr_private_segment_size 0
		.amdhsa_wavefront_size32 1
		.amdhsa_uses_dynamic_stack 0
		.amdhsa_enable_private_segment 0
		.amdhsa_system_sgpr_workgroup_id_x 1
		.amdhsa_system_sgpr_workgroup_id_y 0
		.amdhsa_system_sgpr_workgroup_id_z 0
		.amdhsa_system_sgpr_workgroup_info 0
		.amdhsa_system_vgpr_workitem_id 0
		.amdhsa_next_free_vgpr 1
		.amdhsa_next_free_sgpr 1
		.amdhsa_reserve_vcc 0
		.amdhsa_float_round_mode_32 0
		.amdhsa_float_round_mode_16_64 0
		.amdhsa_float_denorm_mode_32 3
		.amdhsa_float_denorm_mode_16_64 3
		.amdhsa_fp16_overflow 0
		.amdhsa_workgroup_processor_mode 1
		.amdhsa_memory_ordered 1
		.amdhsa_forward_progress 1
		.amdhsa_inst_pref_size 0
		.amdhsa_round_robin_scheduling 0
		.amdhsa_exception_fp_ieee_invalid_op 0
		.amdhsa_exception_fp_denorm_src 0
		.amdhsa_exception_fp_ieee_div_zero 0
		.amdhsa_exception_fp_ieee_overflow 0
		.amdhsa_exception_fp_ieee_underflow 0
		.amdhsa_exception_fp_ieee_inexact 0
		.amdhsa_exception_int_div_zero 0
	.end_amdhsa_kernel
	.section	.text._ZN7rocprim17ROCPRIM_400000_NS6detail17trampoline_kernelINS0_14default_configENS1_25partition_config_selectorILNS1_17partition_subalgoE5EjNS0_10empty_typeEbEEZZNS1_14partition_implILS5_5ELb0ES3_mN6thrust23THRUST_200600_302600_NS6detail15normal_iteratorINSA_10device_ptrIjEEEEPS6_NSA_18transform_iteratorINSB_9not_fun_tINSA_8identityIjEEEESF_NSA_11use_defaultESM_EENS0_5tupleIJSF_S6_EEENSO_IJSG_SG_EEES6_PlJS6_EEE10hipError_tPvRmT3_T4_T5_T6_T7_T9_mT8_P12ihipStream_tbDpT10_ENKUlT_T0_E_clISt17integral_constantIbLb0EES1B_EEDaS16_S17_EUlS16_E_NS1_11comp_targetILNS1_3genE0ELNS1_11target_archE4294967295ELNS1_3gpuE0ELNS1_3repE0EEENS1_30default_config_static_selectorELNS0_4arch9wavefront6targetE0EEEvT1_,"axG",@progbits,_ZN7rocprim17ROCPRIM_400000_NS6detail17trampoline_kernelINS0_14default_configENS1_25partition_config_selectorILNS1_17partition_subalgoE5EjNS0_10empty_typeEbEEZZNS1_14partition_implILS5_5ELb0ES3_mN6thrust23THRUST_200600_302600_NS6detail15normal_iteratorINSA_10device_ptrIjEEEEPS6_NSA_18transform_iteratorINSB_9not_fun_tINSA_8identityIjEEEESF_NSA_11use_defaultESM_EENS0_5tupleIJSF_S6_EEENSO_IJSG_SG_EEES6_PlJS6_EEE10hipError_tPvRmT3_T4_T5_T6_T7_T9_mT8_P12ihipStream_tbDpT10_ENKUlT_T0_E_clISt17integral_constantIbLb0EES1B_EEDaS16_S17_EUlS16_E_NS1_11comp_targetILNS1_3genE0ELNS1_11target_archE4294967295ELNS1_3gpuE0ELNS1_3repE0EEENS1_30default_config_static_selectorELNS0_4arch9wavefront6targetE0EEEvT1_,comdat
.Lfunc_end885:
	.size	_ZN7rocprim17ROCPRIM_400000_NS6detail17trampoline_kernelINS0_14default_configENS1_25partition_config_selectorILNS1_17partition_subalgoE5EjNS0_10empty_typeEbEEZZNS1_14partition_implILS5_5ELb0ES3_mN6thrust23THRUST_200600_302600_NS6detail15normal_iteratorINSA_10device_ptrIjEEEEPS6_NSA_18transform_iteratorINSB_9not_fun_tINSA_8identityIjEEEESF_NSA_11use_defaultESM_EENS0_5tupleIJSF_S6_EEENSO_IJSG_SG_EEES6_PlJS6_EEE10hipError_tPvRmT3_T4_T5_T6_T7_T9_mT8_P12ihipStream_tbDpT10_ENKUlT_T0_E_clISt17integral_constantIbLb0EES1B_EEDaS16_S17_EUlS16_E_NS1_11comp_targetILNS1_3genE0ELNS1_11target_archE4294967295ELNS1_3gpuE0ELNS1_3repE0EEENS1_30default_config_static_selectorELNS0_4arch9wavefront6targetE0EEEvT1_, .Lfunc_end885-_ZN7rocprim17ROCPRIM_400000_NS6detail17trampoline_kernelINS0_14default_configENS1_25partition_config_selectorILNS1_17partition_subalgoE5EjNS0_10empty_typeEbEEZZNS1_14partition_implILS5_5ELb0ES3_mN6thrust23THRUST_200600_302600_NS6detail15normal_iteratorINSA_10device_ptrIjEEEEPS6_NSA_18transform_iteratorINSB_9not_fun_tINSA_8identityIjEEEESF_NSA_11use_defaultESM_EENS0_5tupleIJSF_S6_EEENSO_IJSG_SG_EEES6_PlJS6_EEE10hipError_tPvRmT3_T4_T5_T6_T7_T9_mT8_P12ihipStream_tbDpT10_ENKUlT_T0_E_clISt17integral_constantIbLb0EES1B_EEDaS16_S17_EUlS16_E_NS1_11comp_targetILNS1_3genE0ELNS1_11target_archE4294967295ELNS1_3gpuE0ELNS1_3repE0EEENS1_30default_config_static_selectorELNS0_4arch9wavefront6targetE0EEEvT1_
                                        ; -- End function
	.set _ZN7rocprim17ROCPRIM_400000_NS6detail17trampoline_kernelINS0_14default_configENS1_25partition_config_selectorILNS1_17partition_subalgoE5EjNS0_10empty_typeEbEEZZNS1_14partition_implILS5_5ELb0ES3_mN6thrust23THRUST_200600_302600_NS6detail15normal_iteratorINSA_10device_ptrIjEEEEPS6_NSA_18transform_iteratorINSB_9not_fun_tINSA_8identityIjEEEESF_NSA_11use_defaultESM_EENS0_5tupleIJSF_S6_EEENSO_IJSG_SG_EEES6_PlJS6_EEE10hipError_tPvRmT3_T4_T5_T6_T7_T9_mT8_P12ihipStream_tbDpT10_ENKUlT_T0_E_clISt17integral_constantIbLb0EES1B_EEDaS16_S17_EUlS16_E_NS1_11comp_targetILNS1_3genE0ELNS1_11target_archE4294967295ELNS1_3gpuE0ELNS1_3repE0EEENS1_30default_config_static_selectorELNS0_4arch9wavefront6targetE0EEEvT1_.num_vgpr, 0
	.set _ZN7rocprim17ROCPRIM_400000_NS6detail17trampoline_kernelINS0_14default_configENS1_25partition_config_selectorILNS1_17partition_subalgoE5EjNS0_10empty_typeEbEEZZNS1_14partition_implILS5_5ELb0ES3_mN6thrust23THRUST_200600_302600_NS6detail15normal_iteratorINSA_10device_ptrIjEEEEPS6_NSA_18transform_iteratorINSB_9not_fun_tINSA_8identityIjEEEESF_NSA_11use_defaultESM_EENS0_5tupleIJSF_S6_EEENSO_IJSG_SG_EEES6_PlJS6_EEE10hipError_tPvRmT3_T4_T5_T6_T7_T9_mT8_P12ihipStream_tbDpT10_ENKUlT_T0_E_clISt17integral_constantIbLb0EES1B_EEDaS16_S17_EUlS16_E_NS1_11comp_targetILNS1_3genE0ELNS1_11target_archE4294967295ELNS1_3gpuE0ELNS1_3repE0EEENS1_30default_config_static_selectorELNS0_4arch9wavefront6targetE0EEEvT1_.num_agpr, 0
	.set _ZN7rocprim17ROCPRIM_400000_NS6detail17trampoline_kernelINS0_14default_configENS1_25partition_config_selectorILNS1_17partition_subalgoE5EjNS0_10empty_typeEbEEZZNS1_14partition_implILS5_5ELb0ES3_mN6thrust23THRUST_200600_302600_NS6detail15normal_iteratorINSA_10device_ptrIjEEEEPS6_NSA_18transform_iteratorINSB_9not_fun_tINSA_8identityIjEEEESF_NSA_11use_defaultESM_EENS0_5tupleIJSF_S6_EEENSO_IJSG_SG_EEES6_PlJS6_EEE10hipError_tPvRmT3_T4_T5_T6_T7_T9_mT8_P12ihipStream_tbDpT10_ENKUlT_T0_E_clISt17integral_constantIbLb0EES1B_EEDaS16_S17_EUlS16_E_NS1_11comp_targetILNS1_3genE0ELNS1_11target_archE4294967295ELNS1_3gpuE0ELNS1_3repE0EEENS1_30default_config_static_selectorELNS0_4arch9wavefront6targetE0EEEvT1_.numbered_sgpr, 0
	.set _ZN7rocprim17ROCPRIM_400000_NS6detail17trampoline_kernelINS0_14default_configENS1_25partition_config_selectorILNS1_17partition_subalgoE5EjNS0_10empty_typeEbEEZZNS1_14partition_implILS5_5ELb0ES3_mN6thrust23THRUST_200600_302600_NS6detail15normal_iteratorINSA_10device_ptrIjEEEEPS6_NSA_18transform_iteratorINSB_9not_fun_tINSA_8identityIjEEEESF_NSA_11use_defaultESM_EENS0_5tupleIJSF_S6_EEENSO_IJSG_SG_EEES6_PlJS6_EEE10hipError_tPvRmT3_T4_T5_T6_T7_T9_mT8_P12ihipStream_tbDpT10_ENKUlT_T0_E_clISt17integral_constantIbLb0EES1B_EEDaS16_S17_EUlS16_E_NS1_11comp_targetILNS1_3genE0ELNS1_11target_archE4294967295ELNS1_3gpuE0ELNS1_3repE0EEENS1_30default_config_static_selectorELNS0_4arch9wavefront6targetE0EEEvT1_.num_named_barrier, 0
	.set _ZN7rocprim17ROCPRIM_400000_NS6detail17trampoline_kernelINS0_14default_configENS1_25partition_config_selectorILNS1_17partition_subalgoE5EjNS0_10empty_typeEbEEZZNS1_14partition_implILS5_5ELb0ES3_mN6thrust23THRUST_200600_302600_NS6detail15normal_iteratorINSA_10device_ptrIjEEEEPS6_NSA_18transform_iteratorINSB_9not_fun_tINSA_8identityIjEEEESF_NSA_11use_defaultESM_EENS0_5tupleIJSF_S6_EEENSO_IJSG_SG_EEES6_PlJS6_EEE10hipError_tPvRmT3_T4_T5_T6_T7_T9_mT8_P12ihipStream_tbDpT10_ENKUlT_T0_E_clISt17integral_constantIbLb0EES1B_EEDaS16_S17_EUlS16_E_NS1_11comp_targetILNS1_3genE0ELNS1_11target_archE4294967295ELNS1_3gpuE0ELNS1_3repE0EEENS1_30default_config_static_selectorELNS0_4arch9wavefront6targetE0EEEvT1_.private_seg_size, 0
	.set _ZN7rocprim17ROCPRIM_400000_NS6detail17trampoline_kernelINS0_14default_configENS1_25partition_config_selectorILNS1_17partition_subalgoE5EjNS0_10empty_typeEbEEZZNS1_14partition_implILS5_5ELb0ES3_mN6thrust23THRUST_200600_302600_NS6detail15normal_iteratorINSA_10device_ptrIjEEEEPS6_NSA_18transform_iteratorINSB_9not_fun_tINSA_8identityIjEEEESF_NSA_11use_defaultESM_EENS0_5tupleIJSF_S6_EEENSO_IJSG_SG_EEES6_PlJS6_EEE10hipError_tPvRmT3_T4_T5_T6_T7_T9_mT8_P12ihipStream_tbDpT10_ENKUlT_T0_E_clISt17integral_constantIbLb0EES1B_EEDaS16_S17_EUlS16_E_NS1_11comp_targetILNS1_3genE0ELNS1_11target_archE4294967295ELNS1_3gpuE0ELNS1_3repE0EEENS1_30default_config_static_selectorELNS0_4arch9wavefront6targetE0EEEvT1_.uses_vcc, 0
	.set _ZN7rocprim17ROCPRIM_400000_NS6detail17trampoline_kernelINS0_14default_configENS1_25partition_config_selectorILNS1_17partition_subalgoE5EjNS0_10empty_typeEbEEZZNS1_14partition_implILS5_5ELb0ES3_mN6thrust23THRUST_200600_302600_NS6detail15normal_iteratorINSA_10device_ptrIjEEEEPS6_NSA_18transform_iteratorINSB_9not_fun_tINSA_8identityIjEEEESF_NSA_11use_defaultESM_EENS0_5tupleIJSF_S6_EEENSO_IJSG_SG_EEES6_PlJS6_EEE10hipError_tPvRmT3_T4_T5_T6_T7_T9_mT8_P12ihipStream_tbDpT10_ENKUlT_T0_E_clISt17integral_constantIbLb0EES1B_EEDaS16_S17_EUlS16_E_NS1_11comp_targetILNS1_3genE0ELNS1_11target_archE4294967295ELNS1_3gpuE0ELNS1_3repE0EEENS1_30default_config_static_selectorELNS0_4arch9wavefront6targetE0EEEvT1_.uses_flat_scratch, 0
	.set _ZN7rocprim17ROCPRIM_400000_NS6detail17trampoline_kernelINS0_14default_configENS1_25partition_config_selectorILNS1_17partition_subalgoE5EjNS0_10empty_typeEbEEZZNS1_14partition_implILS5_5ELb0ES3_mN6thrust23THRUST_200600_302600_NS6detail15normal_iteratorINSA_10device_ptrIjEEEEPS6_NSA_18transform_iteratorINSB_9not_fun_tINSA_8identityIjEEEESF_NSA_11use_defaultESM_EENS0_5tupleIJSF_S6_EEENSO_IJSG_SG_EEES6_PlJS6_EEE10hipError_tPvRmT3_T4_T5_T6_T7_T9_mT8_P12ihipStream_tbDpT10_ENKUlT_T0_E_clISt17integral_constantIbLb0EES1B_EEDaS16_S17_EUlS16_E_NS1_11comp_targetILNS1_3genE0ELNS1_11target_archE4294967295ELNS1_3gpuE0ELNS1_3repE0EEENS1_30default_config_static_selectorELNS0_4arch9wavefront6targetE0EEEvT1_.has_dyn_sized_stack, 0
	.set _ZN7rocprim17ROCPRIM_400000_NS6detail17trampoline_kernelINS0_14default_configENS1_25partition_config_selectorILNS1_17partition_subalgoE5EjNS0_10empty_typeEbEEZZNS1_14partition_implILS5_5ELb0ES3_mN6thrust23THRUST_200600_302600_NS6detail15normal_iteratorINSA_10device_ptrIjEEEEPS6_NSA_18transform_iteratorINSB_9not_fun_tINSA_8identityIjEEEESF_NSA_11use_defaultESM_EENS0_5tupleIJSF_S6_EEENSO_IJSG_SG_EEES6_PlJS6_EEE10hipError_tPvRmT3_T4_T5_T6_T7_T9_mT8_P12ihipStream_tbDpT10_ENKUlT_T0_E_clISt17integral_constantIbLb0EES1B_EEDaS16_S17_EUlS16_E_NS1_11comp_targetILNS1_3genE0ELNS1_11target_archE4294967295ELNS1_3gpuE0ELNS1_3repE0EEENS1_30default_config_static_selectorELNS0_4arch9wavefront6targetE0EEEvT1_.has_recursion, 0
	.set _ZN7rocprim17ROCPRIM_400000_NS6detail17trampoline_kernelINS0_14default_configENS1_25partition_config_selectorILNS1_17partition_subalgoE5EjNS0_10empty_typeEbEEZZNS1_14partition_implILS5_5ELb0ES3_mN6thrust23THRUST_200600_302600_NS6detail15normal_iteratorINSA_10device_ptrIjEEEEPS6_NSA_18transform_iteratorINSB_9not_fun_tINSA_8identityIjEEEESF_NSA_11use_defaultESM_EENS0_5tupleIJSF_S6_EEENSO_IJSG_SG_EEES6_PlJS6_EEE10hipError_tPvRmT3_T4_T5_T6_T7_T9_mT8_P12ihipStream_tbDpT10_ENKUlT_T0_E_clISt17integral_constantIbLb0EES1B_EEDaS16_S17_EUlS16_E_NS1_11comp_targetILNS1_3genE0ELNS1_11target_archE4294967295ELNS1_3gpuE0ELNS1_3repE0EEENS1_30default_config_static_selectorELNS0_4arch9wavefront6targetE0EEEvT1_.has_indirect_call, 0
	.section	.AMDGPU.csdata,"",@progbits
; Kernel info:
; codeLenInByte = 0
; TotalNumSgprs: 0
; NumVgprs: 0
; ScratchSize: 0
; MemoryBound: 0
; FloatMode: 240
; IeeeMode: 1
; LDSByteSize: 0 bytes/workgroup (compile time only)
; SGPRBlocks: 0
; VGPRBlocks: 0
; NumSGPRsForWavesPerEU: 1
; NumVGPRsForWavesPerEU: 1
; Occupancy: 16
; WaveLimiterHint : 0
; COMPUTE_PGM_RSRC2:SCRATCH_EN: 0
; COMPUTE_PGM_RSRC2:USER_SGPR: 2
; COMPUTE_PGM_RSRC2:TRAP_HANDLER: 0
; COMPUTE_PGM_RSRC2:TGID_X_EN: 1
; COMPUTE_PGM_RSRC2:TGID_Y_EN: 0
; COMPUTE_PGM_RSRC2:TGID_Z_EN: 0
; COMPUTE_PGM_RSRC2:TIDIG_COMP_CNT: 0
	.section	.text._ZN7rocprim17ROCPRIM_400000_NS6detail17trampoline_kernelINS0_14default_configENS1_25partition_config_selectorILNS1_17partition_subalgoE5EjNS0_10empty_typeEbEEZZNS1_14partition_implILS5_5ELb0ES3_mN6thrust23THRUST_200600_302600_NS6detail15normal_iteratorINSA_10device_ptrIjEEEEPS6_NSA_18transform_iteratorINSB_9not_fun_tINSA_8identityIjEEEESF_NSA_11use_defaultESM_EENS0_5tupleIJSF_S6_EEENSO_IJSG_SG_EEES6_PlJS6_EEE10hipError_tPvRmT3_T4_T5_T6_T7_T9_mT8_P12ihipStream_tbDpT10_ENKUlT_T0_E_clISt17integral_constantIbLb0EES1B_EEDaS16_S17_EUlS16_E_NS1_11comp_targetILNS1_3genE5ELNS1_11target_archE942ELNS1_3gpuE9ELNS1_3repE0EEENS1_30default_config_static_selectorELNS0_4arch9wavefront6targetE0EEEvT1_,"axG",@progbits,_ZN7rocprim17ROCPRIM_400000_NS6detail17trampoline_kernelINS0_14default_configENS1_25partition_config_selectorILNS1_17partition_subalgoE5EjNS0_10empty_typeEbEEZZNS1_14partition_implILS5_5ELb0ES3_mN6thrust23THRUST_200600_302600_NS6detail15normal_iteratorINSA_10device_ptrIjEEEEPS6_NSA_18transform_iteratorINSB_9not_fun_tINSA_8identityIjEEEESF_NSA_11use_defaultESM_EENS0_5tupleIJSF_S6_EEENSO_IJSG_SG_EEES6_PlJS6_EEE10hipError_tPvRmT3_T4_T5_T6_T7_T9_mT8_P12ihipStream_tbDpT10_ENKUlT_T0_E_clISt17integral_constantIbLb0EES1B_EEDaS16_S17_EUlS16_E_NS1_11comp_targetILNS1_3genE5ELNS1_11target_archE942ELNS1_3gpuE9ELNS1_3repE0EEENS1_30default_config_static_selectorELNS0_4arch9wavefront6targetE0EEEvT1_,comdat
	.protected	_ZN7rocprim17ROCPRIM_400000_NS6detail17trampoline_kernelINS0_14default_configENS1_25partition_config_selectorILNS1_17partition_subalgoE5EjNS0_10empty_typeEbEEZZNS1_14partition_implILS5_5ELb0ES3_mN6thrust23THRUST_200600_302600_NS6detail15normal_iteratorINSA_10device_ptrIjEEEEPS6_NSA_18transform_iteratorINSB_9not_fun_tINSA_8identityIjEEEESF_NSA_11use_defaultESM_EENS0_5tupleIJSF_S6_EEENSO_IJSG_SG_EEES6_PlJS6_EEE10hipError_tPvRmT3_T4_T5_T6_T7_T9_mT8_P12ihipStream_tbDpT10_ENKUlT_T0_E_clISt17integral_constantIbLb0EES1B_EEDaS16_S17_EUlS16_E_NS1_11comp_targetILNS1_3genE5ELNS1_11target_archE942ELNS1_3gpuE9ELNS1_3repE0EEENS1_30default_config_static_selectorELNS0_4arch9wavefront6targetE0EEEvT1_ ; -- Begin function _ZN7rocprim17ROCPRIM_400000_NS6detail17trampoline_kernelINS0_14default_configENS1_25partition_config_selectorILNS1_17partition_subalgoE5EjNS0_10empty_typeEbEEZZNS1_14partition_implILS5_5ELb0ES3_mN6thrust23THRUST_200600_302600_NS6detail15normal_iteratorINSA_10device_ptrIjEEEEPS6_NSA_18transform_iteratorINSB_9not_fun_tINSA_8identityIjEEEESF_NSA_11use_defaultESM_EENS0_5tupleIJSF_S6_EEENSO_IJSG_SG_EEES6_PlJS6_EEE10hipError_tPvRmT3_T4_T5_T6_T7_T9_mT8_P12ihipStream_tbDpT10_ENKUlT_T0_E_clISt17integral_constantIbLb0EES1B_EEDaS16_S17_EUlS16_E_NS1_11comp_targetILNS1_3genE5ELNS1_11target_archE942ELNS1_3gpuE9ELNS1_3repE0EEENS1_30default_config_static_selectorELNS0_4arch9wavefront6targetE0EEEvT1_
	.globl	_ZN7rocprim17ROCPRIM_400000_NS6detail17trampoline_kernelINS0_14default_configENS1_25partition_config_selectorILNS1_17partition_subalgoE5EjNS0_10empty_typeEbEEZZNS1_14partition_implILS5_5ELb0ES3_mN6thrust23THRUST_200600_302600_NS6detail15normal_iteratorINSA_10device_ptrIjEEEEPS6_NSA_18transform_iteratorINSB_9not_fun_tINSA_8identityIjEEEESF_NSA_11use_defaultESM_EENS0_5tupleIJSF_S6_EEENSO_IJSG_SG_EEES6_PlJS6_EEE10hipError_tPvRmT3_T4_T5_T6_T7_T9_mT8_P12ihipStream_tbDpT10_ENKUlT_T0_E_clISt17integral_constantIbLb0EES1B_EEDaS16_S17_EUlS16_E_NS1_11comp_targetILNS1_3genE5ELNS1_11target_archE942ELNS1_3gpuE9ELNS1_3repE0EEENS1_30default_config_static_selectorELNS0_4arch9wavefront6targetE0EEEvT1_
	.p2align	8
	.type	_ZN7rocprim17ROCPRIM_400000_NS6detail17trampoline_kernelINS0_14default_configENS1_25partition_config_selectorILNS1_17partition_subalgoE5EjNS0_10empty_typeEbEEZZNS1_14partition_implILS5_5ELb0ES3_mN6thrust23THRUST_200600_302600_NS6detail15normal_iteratorINSA_10device_ptrIjEEEEPS6_NSA_18transform_iteratorINSB_9not_fun_tINSA_8identityIjEEEESF_NSA_11use_defaultESM_EENS0_5tupleIJSF_S6_EEENSO_IJSG_SG_EEES6_PlJS6_EEE10hipError_tPvRmT3_T4_T5_T6_T7_T9_mT8_P12ihipStream_tbDpT10_ENKUlT_T0_E_clISt17integral_constantIbLb0EES1B_EEDaS16_S17_EUlS16_E_NS1_11comp_targetILNS1_3genE5ELNS1_11target_archE942ELNS1_3gpuE9ELNS1_3repE0EEENS1_30default_config_static_selectorELNS0_4arch9wavefront6targetE0EEEvT1_,@function
_ZN7rocprim17ROCPRIM_400000_NS6detail17trampoline_kernelINS0_14default_configENS1_25partition_config_selectorILNS1_17partition_subalgoE5EjNS0_10empty_typeEbEEZZNS1_14partition_implILS5_5ELb0ES3_mN6thrust23THRUST_200600_302600_NS6detail15normal_iteratorINSA_10device_ptrIjEEEEPS6_NSA_18transform_iteratorINSB_9not_fun_tINSA_8identityIjEEEESF_NSA_11use_defaultESM_EENS0_5tupleIJSF_S6_EEENSO_IJSG_SG_EEES6_PlJS6_EEE10hipError_tPvRmT3_T4_T5_T6_T7_T9_mT8_P12ihipStream_tbDpT10_ENKUlT_T0_E_clISt17integral_constantIbLb0EES1B_EEDaS16_S17_EUlS16_E_NS1_11comp_targetILNS1_3genE5ELNS1_11target_archE942ELNS1_3gpuE9ELNS1_3repE0EEENS1_30default_config_static_selectorELNS0_4arch9wavefront6targetE0EEEvT1_: ; @_ZN7rocprim17ROCPRIM_400000_NS6detail17trampoline_kernelINS0_14default_configENS1_25partition_config_selectorILNS1_17partition_subalgoE5EjNS0_10empty_typeEbEEZZNS1_14partition_implILS5_5ELb0ES3_mN6thrust23THRUST_200600_302600_NS6detail15normal_iteratorINSA_10device_ptrIjEEEEPS6_NSA_18transform_iteratorINSB_9not_fun_tINSA_8identityIjEEEESF_NSA_11use_defaultESM_EENS0_5tupleIJSF_S6_EEENSO_IJSG_SG_EEES6_PlJS6_EEE10hipError_tPvRmT3_T4_T5_T6_T7_T9_mT8_P12ihipStream_tbDpT10_ENKUlT_T0_E_clISt17integral_constantIbLb0EES1B_EEDaS16_S17_EUlS16_E_NS1_11comp_targetILNS1_3genE5ELNS1_11target_archE942ELNS1_3gpuE9ELNS1_3repE0EEENS1_30default_config_static_selectorELNS0_4arch9wavefront6targetE0EEEvT1_
; %bb.0:
	.section	.rodata,"a",@progbits
	.p2align	6, 0x0
	.amdhsa_kernel _ZN7rocprim17ROCPRIM_400000_NS6detail17trampoline_kernelINS0_14default_configENS1_25partition_config_selectorILNS1_17partition_subalgoE5EjNS0_10empty_typeEbEEZZNS1_14partition_implILS5_5ELb0ES3_mN6thrust23THRUST_200600_302600_NS6detail15normal_iteratorINSA_10device_ptrIjEEEEPS6_NSA_18transform_iteratorINSB_9not_fun_tINSA_8identityIjEEEESF_NSA_11use_defaultESM_EENS0_5tupleIJSF_S6_EEENSO_IJSG_SG_EEES6_PlJS6_EEE10hipError_tPvRmT3_T4_T5_T6_T7_T9_mT8_P12ihipStream_tbDpT10_ENKUlT_T0_E_clISt17integral_constantIbLb0EES1B_EEDaS16_S17_EUlS16_E_NS1_11comp_targetILNS1_3genE5ELNS1_11target_archE942ELNS1_3gpuE9ELNS1_3repE0EEENS1_30default_config_static_selectorELNS0_4arch9wavefront6targetE0EEEvT1_
		.amdhsa_group_segment_fixed_size 0
		.amdhsa_private_segment_fixed_size 0
		.amdhsa_kernarg_size 120
		.amdhsa_user_sgpr_count 2
		.amdhsa_user_sgpr_dispatch_ptr 0
		.amdhsa_user_sgpr_queue_ptr 0
		.amdhsa_user_sgpr_kernarg_segment_ptr 1
		.amdhsa_user_sgpr_dispatch_id 0
		.amdhsa_user_sgpr_private_segment_size 0
		.amdhsa_wavefront_size32 1
		.amdhsa_uses_dynamic_stack 0
		.amdhsa_enable_private_segment 0
		.amdhsa_system_sgpr_workgroup_id_x 1
		.amdhsa_system_sgpr_workgroup_id_y 0
		.amdhsa_system_sgpr_workgroup_id_z 0
		.amdhsa_system_sgpr_workgroup_info 0
		.amdhsa_system_vgpr_workitem_id 0
		.amdhsa_next_free_vgpr 1
		.amdhsa_next_free_sgpr 1
		.amdhsa_reserve_vcc 0
		.amdhsa_float_round_mode_32 0
		.amdhsa_float_round_mode_16_64 0
		.amdhsa_float_denorm_mode_32 3
		.amdhsa_float_denorm_mode_16_64 3
		.amdhsa_fp16_overflow 0
		.amdhsa_workgroup_processor_mode 1
		.amdhsa_memory_ordered 1
		.amdhsa_forward_progress 1
		.amdhsa_inst_pref_size 0
		.amdhsa_round_robin_scheduling 0
		.amdhsa_exception_fp_ieee_invalid_op 0
		.amdhsa_exception_fp_denorm_src 0
		.amdhsa_exception_fp_ieee_div_zero 0
		.amdhsa_exception_fp_ieee_overflow 0
		.amdhsa_exception_fp_ieee_underflow 0
		.amdhsa_exception_fp_ieee_inexact 0
		.amdhsa_exception_int_div_zero 0
	.end_amdhsa_kernel
	.section	.text._ZN7rocprim17ROCPRIM_400000_NS6detail17trampoline_kernelINS0_14default_configENS1_25partition_config_selectorILNS1_17partition_subalgoE5EjNS0_10empty_typeEbEEZZNS1_14partition_implILS5_5ELb0ES3_mN6thrust23THRUST_200600_302600_NS6detail15normal_iteratorINSA_10device_ptrIjEEEEPS6_NSA_18transform_iteratorINSB_9not_fun_tINSA_8identityIjEEEESF_NSA_11use_defaultESM_EENS0_5tupleIJSF_S6_EEENSO_IJSG_SG_EEES6_PlJS6_EEE10hipError_tPvRmT3_T4_T5_T6_T7_T9_mT8_P12ihipStream_tbDpT10_ENKUlT_T0_E_clISt17integral_constantIbLb0EES1B_EEDaS16_S17_EUlS16_E_NS1_11comp_targetILNS1_3genE5ELNS1_11target_archE942ELNS1_3gpuE9ELNS1_3repE0EEENS1_30default_config_static_selectorELNS0_4arch9wavefront6targetE0EEEvT1_,"axG",@progbits,_ZN7rocprim17ROCPRIM_400000_NS6detail17trampoline_kernelINS0_14default_configENS1_25partition_config_selectorILNS1_17partition_subalgoE5EjNS0_10empty_typeEbEEZZNS1_14partition_implILS5_5ELb0ES3_mN6thrust23THRUST_200600_302600_NS6detail15normal_iteratorINSA_10device_ptrIjEEEEPS6_NSA_18transform_iteratorINSB_9not_fun_tINSA_8identityIjEEEESF_NSA_11use_defaultESM_EENS0_5tupleIJSF_S6_EEENSO_IJSG_SG_EEES6_PlJS6_EEE10hipError_tPvRmT3_T4_T5_T6_T7_T9_mT8_P12ihipStream_tbDpT10_ENKUlT_T0_E_clISt17integral_constantIbLb0EES1B_EEDaS16_S17_EUlS16_E_NS1_11comp_targetILNS1_3genE5ELNS1_11target_archE942ELNS1_3gpuE9ELNS1_3repE0EEENS1_30default_config_static_selectorELNS0_4arch9wavefront6targetE0EEEvT1_,comdat
.Lfunc_end886:
	.size	_ZN7rocprim17ROCPRIM_400000_NS6detail17trampoline_kernelINS0_14default_configENS1_25partition_config_selectorILNS1_17partition_subalgoE5EjNS0_10empty_typeEbEEZZNS1_14partition_implILS5_5ELb0ES3_mN6thrust23THRUST_200600_302600_NS6detail15normal_iteratorINSA_10device_ptrIjEEEEPS6_NSA_18transform_iteratorINSB_9not_fun_tINSA_8identityIjEEEESF_NSA_11use_defaultESM_EENS0_5tupleIJSF_S6_EEENSO_IJSG_SG_EEES6_PlJS6_EEE10hipError_tPvRmT3_T4_T5_T6_T7_T9_mT8_P12ihipStream_tbDpT10_ENKUlT_T0_E_clISt17integral_constantIbLb0EES1B_EEDaS16_S17_EUlS16_E_NS1_11comp_targetILNS1_3genE5ELNS1_11target_archE942ELNS1_3gpuE9ELNS1_3repE0EEENS1_30default_config_static_selectorELNS0_4arch9wavefront6targetE0EEEvT1_, .Lfunc_end886-_ZN7rocprim17ROCPRIM_400000_NS6detail17trampoline_kernelINS0_14default_configENS1_25partition_config_selectorILNS1_17partition_subalgoE5EjNS0_10empty_typeEbEEZZNS1_14partition_implILS5_5ELb0ES3_mN6thrust23THRUST_200600_302600_NS6detail15normal_iteratorINSA_10device_ptrIjEEEEPS6_NSA_18transform_iteratorINSB_9not_fun_tINSA_8identityIjEEEESF_NSA_11use_defaultESM_EENS0_5tupleIJSF_S6_EEENSO_IJSG_SG_EEES6_PlJS6_EEE10hipError_tPvRmT3_T4_T5_T6_T7_T9_mT8_P12ihipStream_tbDpT10_ENKUlT_T0_E_clISt17integral_constantIbLb0EES1B_EEDaS16_S17_EUlS16_E_NS1_11comp_targetILNS1_3genE5ELNS1_11target_archE942ELNS1_3gpuE9ELNS1_3repE0EEENS1_30default_config_static_selectorELNS0_4arch9wavefront6targetE0EEEvT1_
                                        ; -- End function
	.set _ZN7rocprim17ROCPRIM_400000_NS6detail17trampoline_kernelINS0_14default_configENS1_25partition_config_selectorILNS1_17partition_subalgoE5EjNS0_10empty_typeEbEEZZNS1_14partition_implILS5_5ELb0ES3_mN6thrust23THRUST_200600_302600_NS6detail15normal_iteratorINSA_10device_ptrIjEEEEPS6_NSA_18transform_iteratorINSB_9not_fun_tINSA_8identityIjEEEESF_NSA_11use_defaultESM_EENS0_5tupleIJSF_S6_EEENSO_IJSG_SG_EEES6_PlJS6_EEE10hipError_tPvRmT3_T4_T5_T6_T7_T9_mT8_P12ihipStream_tbDpT10_ENKUlT_T0_E_clISt17integral_constantIbLb0EES1B_EEDaS16_S17_EUlS16_E_NS1_11comp_targetILNS1_3genE5ELNS1_11target_archE942ELNS1_3gpuE9ELNS1_3repE0EEENS1_30default_config_static_selectorELNS0_4arch9wavefront6targetE0EEEvT1_.num_vgpr, 0
	.set _ZN7rocprim17ROCPRIM_400000_NS6detail17trampoline_kernelINS0_14default_configENS1_25partition_config_selectorILNS1_17partition_subalgoE5EjNS0_10empty_typeEbEEZZNS1_14partition_implILS5_5ELb0ES3_mN6thrust23THRUST_200600_302600_NS6detail15normal_iteratorINSA_10device_ptrIjEEEEPS6_NSA_18transform_iteratorINSB_9not_fun_tINSA_8identityIjEEEESF_NSA_11use_defaultESM_EENS0_5tupleIJSF_S6_EEENSO_IJSG_SG_EEES6_PlJS6_EEE10hipError_tPvRmT3_T4_T5_T6_T7_T9_mT8_P12ihipStream_tbDpT10_ENKUlT_T0_E_clISt17integral_constantIbLb0EES1B_EEDaS16_S17_EUlS16_E_NS1_11comp_targetILNS1_3genE5ELNS1_11target_archE942ELNS1_3gpuE9ELNS1_3repE0EEENS1_30default_config_static_selectorELNS0_4arch9wavefront6targetE0EEEvT1_.num_agpr, 0
	.set _ZN7rocprim17ROCPRIM_400000_NS6detail17trampoline_kernelINS0_14default_configENS1_25partition_config_selectorILNS1_17partition_subalgoE5EjNS0_10empty_typeEbEEZZNS1_14partition_implILS5_5ELb0ES3_mN6thrust23THRUST_200600_302600_NS6detail15normal_iteratorINSA_10device_ptrIjEEEEPS6_NSA_18transform_iteratorINSB_9not_fun_tINSA_8identityIjEEEESF_NSA_11use_defaultESM_EENS0_5tupleIJSF_S6_EEENSO_IJSG_SG_EEES6_PlJS6_EEE10hipError_tPvRmT3_T4_T5_T6_T7_T9_mT8_P12ihipStream_tbDpT10_ENKUlT_T0_E_clISt17integral_constantIbLb0EES1B_EEDaS16_S17_EUlS16_E_NS1_11comp_targetILNS1_3genE5ELNS1_11target_archE942ELNS1_3gpuE9ELNS1_3repE0EEENS1_30default_config_static_selectorELNS0_4arch9wavefront6targetE0EEEvT1_.numbered_sgpr, 0
	.set _ZN7rocprim17ROCPRIM_400000_NS6detail17trampoline_kernelINS0_14default_configENS1_25partition_config_selectorILNS1_17partition_subalgoE5EjNS0_10empty_typeEbEEZZNS1_14partition_implILS5_5ELb0ES3_mN6thrust23THRUST_200600_302600_NS6detail15normal_iteratorINSA_10device_ptrIjEEEEPS6_NSA_18transform_iteratorINSB_9not_fun_tINSA_8identityIjEEEESF_NSA_11use_defaultESM_EENS0_5tupleIJSF_S6_EEENSO_IJSG_SG_EEES6_PlJS6_EEE10hipError_tPvRmT3_T4_T5_T6_T7_T9_mT8_P12ihipStream_tbDpT10_ENKUlT_T0_E_clISt17integral_constantIbLb0EES1B_EEDaS16_S17_EUlS16_E_NS1_11comp_targetILNS1_3genE5ELNS1_11target_archE942ELNS1_3gpuE9ELNS1_3repE0EEENS1_30default_config_static_selectorELNS0_4arch9wavefront6targetE0EEEvT1_.num_named_barrier, 0
	.set _ZN7rocprim17ROCPRIM_400000_NS6detail17trampoline_kernelINS0_14default_configENS1_25partition_config_selectorILNS1_17partition_subalgoE5EjNS0_10empty_typeEbEEZZNS1_14partition_implILS5_5ELb0ES3_mN6thrust23THRUST_200600_302600_NS6detail15normal_iteratorINSA_10device_ptrIjEEEEPS6_NSA_18transform_iteratorINSB_9not_fun_tINSA_8identityIjEEEESF_NSA_11use_defaultESM_EENS0_5tupleIJSF_S6_EEENSO_IJSG_SG_EEES6_PlJS6_EEE10hipError_tPvRmT3_T4_T5_T6_T7_T9_mT8_P12ihipStream_tbDpT10_ENKUlT_T0_E_clISt17integral_constantIbLb0EES1B_EEDaS16_S17_EUlS16_E_NS1_11comp_targetILNS1_3genE5ELNS1_11target_archE942ELNS1_3gpuE9ELNS1_3repE0EEENS1_30default_config_static_selectorELNS0_4arch9wavefront6targetE0EEEvT1_.private_seg_size, 0
	.set _ZN7rocprim17ROCPRIM_400000_NS6detail17trampoline_kernelINS0_14default_configENS1_25partition_config_selectorILNS1_17partition_subalgoE5EjNS0_10empty_typeEbEEZZNS1_14partition_implILS5_5ELb0ES3_mN6thrust23THRUST_200600_302600_NS6detail15normal_iteratorINSA_10device_ptrIjEEEEPS6_NSA_18transform_iteratorINSB_9not_fun_tINSA_8identityIjEEEESF_NSA_11use_defaultESM_EENS0_5tupleIJSF_S6_EEENSO_IJSG_SG_EEES6_PlJS6_EEE10hipError_tPvRmT3_T4_T5_T6_T7_T9_mT8_P12ihipStream_tbDpT10_ENKUlT_T0_E_clISt17integral_constantIbLb0EES1B_EEDaS16_S17_EUlS16_E_NS1_11comp_targetILNS1_3genE5ELNS1_11target_archE942ELNS1_3gpuE9ELNS1_3repE0EEENS1_30default_config_static_selectorELNS0_4arch9wavefront6targetE0EEEvT1_.uses_vcc, 0
	.set _ZN7rocprim17ROCPRIM_400000_NS6detail17trampoline_kernelINS0_14default_configENS1_25partition_config_selectorILNS1_17partition_subalgoE5EjNS0_10empty_typeEbEEZZNS1_14partition_implILS5_5ELb0ES3_mN6thrust23THRUST_200600_302600_NS6detail15normal_iteratorINSA_10device_ptrIjEEEEPS6_NSA_18transform_iteratorINSB_9not_fun_tINSA_8identityIjEEEESF_NSA_11use_defaultESM_EENS0_5tupleIJSF_S6_EEENSO_IJSG_SG_EEES6_PlJS6_EEE10hipError_tPvRmT3_T4_T5_T6_T7_T9_mT8_P12ihipStream_tbDpT10_ENKUlT_T0_E_clISt17integral_constantIbLb0EES1B_EEDaS16_S17_EUlS16_E_NS1_11comp_targetILNS1_3genE5ELNS1_11target_archE942ELNS1_3gpuE9ELNS1_3repE0EEENS1_30default_config_static_selectorELNS0_4arch9wavefront6targetE0EEEvT1_.uses_flat_scratch, 0
	.set _ZN7rocprim17ROCPRIM_400000_NS6detail17trampoline_kernelINS0_14default_configENS1_25partition_config_selectorILNS1_17partition_subalgoE5EjNS0_10empty_typeEbEEZZNS1_14partition_implILS5_5ELb0ES3_mN6thrust23THRUST_200600_302600_NS6detail15normal_iteratorINSA_10device_ptrIjEEEEPS6_NSA_18transform_iteratorINSB_9not_fun_tINSA_8identityIjEEEESF_NSA_11use_defaultESM_EENS0_5tupleIJSF_S6_EEENSO_IJSG_SG_EEES6_PlJS6_EEE10hipError_tPvRmT3_T4_T5_T6_T7_T9_mT8_P12ihipStream_tbDpT10_ENKUlT_T0_E_clISt17integral_constantIbLb0EES1B_EEDaS16_S17_EUlS16_E_NS1_11comp_targetILNS1_3genE5ELNS1_11target_archE942ELNS1_3gpuE9ELNS1_3repE0EEENS1_30default_config_static_selectorELNS0_4arch9wavefront6targetE0EEEvT1_.has_dyn_sized_stack, 0
	.set _ZN7rocprim17ROCPRIM_400000_NS6detail17trampoline_kernelINS0_14default_configENS1_25partition_config_selectorILNS1_17partition_subalgoE5EjNS0_10empty_typeEbEEZZNS1_14partition_implILS5_5ELb0ES3_mN6thrust23THRUST_200600_302600_NS6detail15normal_iteratorINSA_10device_ptrIjEEEEPS6_NSA_18transform_iteratorINSB_9not_fun_tINSA_8identityIjEEEESF_NSA_11use_defaultESM_EENS0_5tupleIJSF_S6_EEENSO_IJSG_SG_EEES6_PlJS6_EEE10hipError_tPvRmT3_T4_T5_T6_T7_T9_mT8_P12ihipStream_tbDpT10_ENKUlT_T0_E_clISt17integral_constantIbLb0EES1B_EEDaS16_S17_EUlS16_E_NS1_11comp_targetILNS1_3genE5ELNS1_11target_archE942ELNS1_3gpuE9ELNS1_3repE0EEENS1_30default_config_static_selectorELNS0_4arch9wavefront6targetE0EEEvT1_.has_recursion, 0
	.set _ZN7rocprim17ROCPRIM_400000_NS6detail17trampoline_kernelINS0_14default_configENS1_25partition_config_selectorILNS1_17partition_subalgoE5EjNS0_10empty_typeEbEEZZNS1_14partition_implILS5_5ELb0ES3_mN6thrust23THRUST_200600_302600_NS6detail15normal_iteratorINSA_10device_ptrIjEEEEPS6_NSA_18transform_iteratorINSB_9not_fun_tINSA_8identityIjEEEESF_NSA_11use_defaultESM_EENS0_5tupleIJSF_S6_EEENSO_IJSG_SG_EEES6_PlJS6_EEE10hipError_tPvRmT3_T4_T5_T6_T7_T9_mT8_P12ihipStream_tbDpT10_ENKUlT_T0_E_clISt17integral_constantIbLb0EES1B_EEDaS16_S17_EUlS16_E_NS1_11comp_targetILNS1_3genE5ELNS1_11target_archE942ELNS1_3gpuE9ELNS1_3repE0EEENS1_30default_config_static_selectorELNS0_4arch9wavefront6targetE0EEEvT1_.has_indirect_call, 0
	.section	.AMDGPU.csdata,"",@progbits
; Kernel info:
; codeLenInByte = 0
; TotalNumSgprs: 0
; NumVgprs: 0
; ScratchSize: 0
; MemoryBound: 0
; FloatMode: 240
; IeeeMode: 1
; LDSByteSize: 0 bytes/workgroup (compile time only)
; SGPRBlocks: 0
; VGPRBlocks: 0
; NumSGPRsForWavesPerEU: 1
; NumVGPRsForWavesPerEU: 1
; Occupancy: 16
; WaveLimiterHint : 0
; COMPUTE_PGM_RSRC2:SCRATCH_EN: 0
; COMPUTE_PGM_RSRC2:USER_SGPR: 2
; COMPUTE_PGM_RSRC2:TRAP_HANDLER: 0
; COMPUTE_PGM_RSRC2:TGID_X_EN: 1
; COMPUTE_PGM_RSRC2:TGID_Y_EN: 0
; COMPUTE_PGM_RSRC2:TGID_Z_EN: 0
; COMPUTE_PGM_RSRC2:TIDIG_COMP_CNT: 0
	.section	.text._ZN7rocprim17ROCPRIM_400000_NS6detail17trampoline_kernelINS0_14default_configENS1_25partition_config_selectorILNS1_17partition_subalgoE5EjNS0_10empty_typeEbEEZZNS1_14partition_implILS5_5ELb0ES3_mN6thrust23THRUST_200600_302600_NS6detail15normal_iteratorINSA_10device_ptrIjEEEEPS6_NSA_18transform_iteratorINSB_9not_fun_tINSA_8identityIjEEEESF_NSA_11use_defaultESM_EENS0_5tupleIJSF_S6_EEENSO_IJSG_SG_EEES6_PlJS6_EEE10hipError_tPvRmT3_T4_T5_T6_T7_T9_mT8_P12ihipStream_tbDpT10_ENKUlT_T0_E_clISt17integral_constantIbLb0EES1B_EEDaS16_S17_EUlS16_E_NS1_11comp_targetILNS1_3genE4ELNS1_11target_archE910ELNS1_3gpuE8ELNS1_3repE0EEENS1_30default_config_static_selectorELNS0_4arch9wavefront6targetE0EEEvT1_,"axG",@progbits,_ZN7rocprim17ROCPRIM_400000_NS6detail17trampoline_kernelINS0_14default_configENS1_25partition_config_selectorILNS1_17partition_subalgoE5EjNS0_10empty_typeEbEEZZNS1_14partition_implILS5_5ELb0ES3_mN6thrust23THRUST_200600_302600_NS6detail15normal_iteratorINSA_10device_ptrIjEEEEPS6_NSA_18transform_iteratorINSB_9not_fun_tINSA_8identityIjEEEESF_NSA_11use_defaultESM_EENS0_5tupleIJSF_S6_EEENSO_IJSG_SG_EEES6_PlJS6_EEE10hipError_tPvRmT3_T4_T5_T6_T7_T9_mT8_P12ihipStream_tbDpT10_ENKUlT_T0_E_clISt17integral_constantIbLb0EES1B_EEDaS16_S17_EUlS16_E_NS1_11comp_targetILNS1_3genE4ELNS1_11target_archE910ELNS1_3gpuE8ELNS1_3repE0EEENS1_30default_config_static_selectorELNS0_4arch9wavefront6targetE0EEEvT1_,comdat
	.protected	_ZN7rocprim17ROCPRIM_400000_NS6detail17trampoline_kernelINS0_14default_configENS1_25partition_config_selectorILNS1_17partition_subalgoE5EjNS0_10empty_typeEbEEZZNS1_14partition_implILS5_5ELb0ES3_mN6thrust23THRUST_200600_302600_NS6detail15normal_iteratorINSA_10device_ptrIjEEEEPS6_NSA_18transform_iteratorINSB_9not_fun_tINSA_8identityIjEEEESF_NSA_11use_defaultESM_EENS0_5tupleIJSF_S6_EEENSO_IJSG_SG_EEES6_PlJS6_EEE10hipError_tPvRmT3_T4_T5_T6_T7_T9_mT8_P12ihipStream_tbDpT10_ENKUlT_T0_E_clISt17integral_constantIbLb0EES1B_EEDaS16_S17_EUlS16_E_NS1_11comp_targetILNS1_3genE4ELNS1_11target_archE910ELNS1_3gpuE8ELNS1_3repE0EEENS1_30default_config_static_selectorELNS0_4arch9wavefront6targetE0EEEvT1_ ; -- Begin function _ZN7rocprim17ROCPRIM_400000_NS6detail17trampoline_kernelINS0_14default_configENS1_25partition_config_selectorILNS1_17partition_subalgoE5EjNS0_10empty_typeEbEEZZNS1_14partition_implILS5_5ELb0ES3_mN6thrust23THRUST_200600_302600_NS6detail15normal_iteratorINSA_10device_ptrIjEEEEPS6_NSA_18transform_iteratorINSB_9not_fun_tINSA_8identityIjEEEESF_NSA_11use_defaultESM_EENS0_5tupleIJSF_S6_EEENSO_IJSG_SG_EEES6_PlJS6_EEE10hipError_tPvRmT3_T4_T5_T6_T7_T9_mT8_P12ihipStream_tbDpT10_ENKUlT_T0_E_clISt17integral_constantIbLb0EES1B_EEDaS16_S17_EUlS16_E_NS1_11comp_targetILNS1_3genE4ELNS1_11target_archE910ELNS1_3gpuE8ELNS1_3repE0EEENS1_30default_config_static_selectorELNS0_4arch9wavefront6targetE0EEEvT1_
	.globl	_ZN7rocprim17ROCPRIM_400000_NS6detail17trampoline_kernelINS0_14default_configENS1_25partition_config_selectorILNS1_17partition_subalgoE5EjNS0_10empty_typeEbEEZZNS1_14partition_implILS5_5ELb0ES3_mN6thrust23THRUST_200600_302600_NS6detail15normal_iteratorINSA_10device_ptrIjEEEEPS6_NSA_18transform_iteratorINSB_9not_fun_tINSA_8identityIjEEEESF_NSA_11use_defaultESM_EENS0_5tupleIJSF_S6_EEENSO_IJSG_SG_EEES6_PlJS6_EEE10hipError_tPvRmT3_T4_T5_T6_T7_T9_mT8_P12ihipStream_tbDpT10_ENKUlT_T0_E_clISt17integral_constantIbLb0EES1B_EEDaS16_S17_EUlS16_E_NS1_11comp_targetILNS1_3genE4ELNS1_11target_archE910ELNS1_3gpuE8ELNS1_3repE0EEENS1_30default_config_static_selectorELNS0_4arch9wavefront6targetE0EEEvT1_
	.p2align	8
	.type	_ZN7rocprim17ROCPRIM_400000_NS6detail17trampoline_kernelINS0_14default_configENS1_25partition_config_selectorILNS1_17partition_subalgoE5EjNS0_10empty_typeEbEEZZNS1_14partition_implILS5_5ELb0ES3_mN6thrust23THRUST_200600_302600_NS6detail15normal_iteratorINSA_10device_ptrIjEEEEPS6_NSA_18transform_iteratorINSB_9not_fun_tINSA_8identityIjEEEESF_NSA_11use_defaultESM_EENS0_5tupleIJSF_S6_EEENSO_IJSG_SG_EEES6_PlJS6_EEE10hipError_tPvRmT3_T4_T5_T6_T7_T9_mT8_P12ihipStream_tbDpT10_ENKUlT_T0_E_clISt17integral_constantIbLb0EES1B_EEDaS16_S17_EUlS16_E_NS1_11comp_targetILNS1_3genE4ELNS1_11target_archE910ELNS1_3gpuE8ELNS1_3repE0EEENS1_30default_config_static_selectorELNS0_4arch9wavefront6targetE0EEEvT1_,@function
_ZN7rocprim17ROCPRIM_400000_NS6detail17trampoline_kernelINS0_14default_configENS1_25partition_config_selectorILNS1_17partition_subalgoE5EjNS0_10empty_typeEbEEZZNS1_14partition_implILS5_5ELb0ES3_mN6thrust23THRUST_200600_302600_NS6detail15normal_iteratorINSA_10device_ptrIjEEEEPS6_NSA_18transform_iteratorINSB_9not_fun_tINSA_8identityIjEEEESF_NSA_11use_defaultESM_EENS0_5tupleIJSF_S6_EEENSO_IJSG_SG_EEES6_PlJS6_EEE10hipError_tPvRmT3_T4_T5_T6_T7_T9_mT8_P12ihipStream_tbDpT10_ENKUlT_T0_E_clISt17integral_constantIbLb0EES1B_EEDaS16_S17_EUlS16_E_NS1_11comp_targetILNS1_3genE4ELNS1_11target_archE910ELNS1_3gpuE8ELNS1_3repE0EEENS1_30default_config_static_selectorELNS0_4arch9wavefront6targetE0EEEvT1_: ; @_ZN7rocprim17ROCPRIM_400000_NS6detail17trampoline_kernelINS0_14default_configENS1_25partition_config_selectorILNS1_17partition_subalgoE5EjNS0_10empty_typeEbEEZZNS1_14partition_implILS5_5ELb0ES3_mN6thrust23THRUST_200600_302600_NS6detail15normal_iteratorINSA_10device_ptrIjEEEEPS6_NSA_18transform_iteratorINSB_9not_fun_tINSA_8identityIjEEEESF_NSA_11use_defaultESM_EENS0_5tupleIJSF_S6_EEENSO_IJSG_SG_EEES6_PlJS6_EEE10hipError_tPvRmT3_T4_T5_T6_T7_T9_mT8_P12ihipStream_tbDpT10_ENKUlT_T0_E_clISt17integral_constantIbLb0EES1B_EEDaS16_S17_EUlS16_E_NS1_11comp_targetILNS1_3genE4ELNS1_11target_archE910ELNS1_3gpuE8ELNS1_3repE0EEENS1_30default_config_static_selectorELNS0_4arch9wavefront6targetE0EEEvT1_
; %bb.0:
	.section	.rodata,"a",@progbits
	.p2align	6, 0x0
	.amdhsa_kernel _ZN7rocprim17ROCPRIM_400000_NS6detail17trampoline_kernelINS0_14default_configENS1_25partition_config_selectorILNS1_17partition_subalgoE5EjNS0_10empty_typeEbEEZZNS1_14partition_implILS5_5ELb0ES3_mN6thrust23THRUST_200600_302600_NS6detail15normal_iteratorINSA_10device_ptrIjEEEEPS6_NSA_18transform_iteratorINSB_9not_fun_tINSA_8identityIjEEEESF_NSA_11use_defaultESM_EENS0_5tupleIJSF_S6_EEENSO_IJSG_SG_EEES6_PlJS6_EEE10hipError_tPvRmT3_T4_T5_T6_T7_T9_mT8_P12ihipStream_tbDpT10_ENKUlT_T0_E_clISt17integral_constantIbLb0EES1B_EEDaS16_S17_EUlS16_E_NS1_11comp_targetILNS1_3genE4ELNS1_11target_archE910ELNS1_3gpuE8ELNS1_3repE0EEENS1_30default_config_static_selectorELNS0_4arch9wavefront6targetE0EEEvT1_
		.amdhsa_group_segment_fixed_size 0
		.amdhsa_private_segment_fixed_size 0
		.amdhsa_kernarg_size 120
		.amdhsa_user_sgpr_count 2
		.amdhsa_user_sgpr_dispatch_ptr 0
		.amdhsa_user_sgpr_queue_ptr 0
		.amdhsa_user_sgpr_kernarg_segment_ptr 1
		.amdhsa_user_sgpr_dispatch_id 0
		.amdhsa_user_sgpr_private_segment_size 0
		.amdhsa_wavefront_size32 1
		.amdhsa_uses_dynamic_stack 0
		.amdhsa_enable_private_segment 0
		.amdhsa_system_sgpr_workgroup_id_x 1
		.amdhsa_system_sgpr_workgroup_id_y 0
		.amdhsa_system_sgpr_workgroup_id_z 0
		.amdhsa_system_sgpr_workgroup_info 0
		.amdhsa_system_vgpr_workitem_id 0
		.amdhsa_next_free_vgpr 1
		.amdhsa_next_free_sgpr 1
		.amdhsa_reserve_vcc 0
		.amdhsa_float_round_mode_32 0
		.amdhsa_float_round_mode_16_64 0
		.amdhsa_float_denorm_mode_32 3
		.amdhsa_float_denorm_mode_16_64 3
		.amdhsa_fp16_overflow 0
		.amdhsa_workgroup_processor_mode 1
		.amdhsa_memory_ordered 1
		.amdhsa_forward_progress 1
		.amdhsa_inst_pref_size 0
		.amdhsa_round_robin_scheduling 0
		.amdhsa_exception_fp_ieee_invalid_op 0
		.amdhsa_exception_fp_denorm_src 0
		.amdhsa_exception_fp_ieee_div_zero 0
		.amdhsa_exception_fp_ieee_overflow 0
		.amdhsa_exception_fp_ieee_underflow 0
		.amdhsa_exception_fp_ieee_inexact 0
		.amdhsa_exception_int_div_zero 0
	.end_amdhsa_kernel
	.section	.text._ZN7rocprim17ROCPRIM_400000_NS6detail17trampoline_kernelINS0_14default_configENS1_25partition_config_selectorILNS1_17partition_subalgoE5EjNS0_10empty_typeEbEEZZNS1_14partition_implILS5_5ELb0ES3_mN6thrust23THRUST_200600_302600_NS6detail15normal_iteratorINSA_10device_ptrIjEEEEPS6_NSA_18transform_iteratorINSB_9not_fun_tINSA_8identityIjEEEESF_NSA_11use_defaultESM_EENS0_5tupleIJSF_S6_EEENSO_IJSG_SG_EEES6_PlJS6_EEE10hipError_tPvRmT3_T4_T5_T6_T7_T9_mT8_P12ihipStream_tbDpT10_ENKUlT_T0_E_clISt17integral_constantIbLb0EES1B_EEDaS16_S17_EUlS16_E_NS1_11comp_targetILNS1_3genE4ELNS1_11target_archE910ELNS1_3gpuE8ELNS1_3repE0EEENS1_30default_config_static_selectorELNS0_4arch9wavefront6targetE0EEEvT1_,"axG",@progbits,_ZN7rocprim17ROCPRIM_400000_NS6detail17trampoline_kernelINS0_14default_configENS1_25partition_config_selectorILNS1_17partition_subalgoE5EjNS0_10empty_typeEbEEZZNS1_14partition_implILS5_5ELb0ES3_mN6thrust23THRUST_200600_302600_NS6detail15normal_iteratorINSA_10device_ptrIjEEEEPS6_NSA_18transform_iteratorINSB_9not_fun_tINSA_8identityIjEEEESF_NSA_11use_defaultESM_EENS0_5tupleIJSF_S6_EEENSO_IJSG_SG_EEES6_PlJS6_EEE10hipError_tPvRmT3_T4_T5_T6_T7_T9_mT8_P12ihipStream_tbDpT10_ENKUlT_T0_E_clISt17integral_constantIbLb0EES1B_EEDaS16_S17_EUlS16_E_NS1_11comp_targetILNS1_3genE4ELNS1_11target_archE910ELNS1_3gpuE8ELNS1_3repE0EEENS1_30default_config_static_selectorELNS0_4arch9wavefront6targetE0EEEvT1_,comdat
.Lfunc_end887:
	.size	_ZN7rocprim17ROCPRIM_400000_NS6detail17trampoline_kernelINS0_14default_configENS1_25partition_config_selectorILNS1_17partition_subalgoE5EjNS0_10empty_typeEbEEZZNS1_14partition_implILS5_5ELb0ES3_mN6thrust23THRUST_200600_302600_NS6detail15normal_iteratorINSA_10device_ptrIjEEEEPS6_NSA_18transform_iteratorINSB_9not_fun_tINSA_8identityIjEEEESF_NSA_11use_defaultESM_EENS0_5tupleIJSF_S6_EEENSO_IJSG_SG_EEES6_PlJS6_EEE10hipError_tPvRmT3_T4_T5_T6_T7_T9_mT8_P12ihipStream_tbDpT10_ENKUlT_T0_E_clISt17integral_constantIbLb0EES1B_EEDaS16_S17_EUlS16_E_NS1_11comp_targetILNS1_3genE4ELNS1_11target_archE910ELNS1_3gpuE8ELNS1_3repE0EEENS1_30default_config_static_selectorELNS0_4arch9wavefront6targetE0EEEvT1_, .Lfunc_end887-_ZN7rocprim17ROCPRIM_400000_NS6detail17trampoline_kernelINS0_14default_configENS1_25partition_config_selectorILNS1_17partition_subalgoE5EjNS0_10empty_typeEbEEZZNS1_14partition_implILS5_5ELb0ES3_mN6thrust23THRUST_200600_302600_NS6detail15normal_iteratorINSA_10device_ptrIjEEEEPS6_NSA_18transform_iteratorINSB_9not_fun_tINSA_8identityIjEEEESF_NSA_11use_defaultESM_EENS0_5tupleIJSF_S6_EEENSO_IJSG_SG_EEES6_PlJS6_EEE10hipError_tPvRmT3_T4_T5_T6_T7_T9_mT8_P12ihipStream_tbDpT10_ENKUlT_T0_E_clISt17integral_constantIbLb0EES1B_EEDaS16_S17_EUlS16_E_NS1_11comp_targetILNS1_3genE4ELNS1_11target_archE910ELNS1_3gpuE8ELNS1_3repE0EEENS1_30default_config_static_selectorELNS0_4arch9wavefront6targetE0EEEvT1_
                                        ; -- End function
	.set _ZN7rocprim17ROCPRIM_400000_NS6detail17trampoline_kernelINS0_14default_configENS1_25partition_config_selectorILNS1_17partition_subalgoE5EjNS0_10empty_typeEbEEZZNS1_14partition_implILS5_5ELb0ES3_mN6thrust23THRUST_200600_302600_NS6detail15normal_iteratorINSA_10device_ptrIjEEEEPS6_NSA_18transform_iteratorINSB_9not_fun_tINSA_8identityIjEEEESF_NSA_11use_defaultESM_EENS0_5tupleIJSF_S6_EEENSO_IJSG_SG_EEES6_PlJS6_EEE10hipError_tPvRmT3_T4_T5_T6_T7_T9_mT8_P12ihipStream_tbDpT10_ENKUlT_T0_E_clISt17integral_constantIbLb0EES1B_EEDaS16_S17_EUlS16_E_NS1_11comp_targetILNS1_3genE4ELNS1_11target_archE910ELNS1_3gpuE8ELNS1_3repE0EEENS1_30default_config_static_selectorELNS0_4arch9wavefront6targetE0EEEvT1_.num_vgpr, 0
	.set _ZN7rocprim17ROCPRIM_400000_NS6detail17trampoline_kernelINS0_14default_configENS1_25partition_config_selectorILNS1_17partition_subalgoE5EjNS0_10empty_typeEbEEZZNS1_14partition_implILS5_5ELb0ES3_mN6thrust23THRUST_200600_302600_NS6detail15normal_iteratorINSA_10device_ptrIjEEEEPS6_NSA_18transform_iteratorINSB_9not_fun_tINSA_8identityIjEEEESF_NSA_11use_defaultESM_EENS0_5tupleIJSF_S6_EEENSO_IJSG_SG_EEES6_PlJS6_EEE10hipError_tPvRmT3_T4_T5_T6_T7_T9_mT8_P12ihipStream_tbDpT10_ENKUlT_T0_E_clISt17integral_constantIbLb0EES1B_EEDaS16_S17_EUlS16_E_NS1_11comp_targetILNS1_3genE4ELNS1_11target_archE910ELNS1_3gpuE8ELNS1_3repE0EEENS1_30default_config_static_selectorELNS0_4arch9wavefront6targetE0EEEvT1_.num_agpr, 0
	.set _ZN7rocprim17ROCPRIM_400000_NS6detail17trampoline_kernelINS0_14default_configENS1_25partition_config_selectorILNS1_17partition_subalgoE5EjNS0_10empty_typeEbEEZZNS1_14partition_implILS5_5ELb0ES3_mN6thrust23THRUST_200600_302600_NS6detail15normal_iteratorINSA_10device_ptrIjEEEEPS6_NSA_18transform_iteratorINSB_9not_fun_tINSA_8identityIjEEEESF_NSA_11use_defaultESM_EENS0_5tupleIJSF_S6_EEENSO_IJSG_SG_EEES6_PlJS6_EEE10hipError_tPvRmT3_T4_T5_T6_T7_T9_mT8_P12ihipStream_tbDpT10_ENKUlT_T0_E_clISt17integral_constantIbLb0EES1B_EEDaS16_S17_EUlS16_E_NS1_11comp_targetILNS1_3genE4ELNS1_11target_archE910ELNS1_3gpuE8ELNS1_3repE0EEENS1_30default_config_static_selectorELNS0_4arch9wavefront6targetE0EEEvT1_.numbered_sgpr, 0
	.set _ZN7rocprim17ROCPRIM_400000_NS6detail17trampoline_kernelINS0_14default_configENS1_25partition_config_selectorILNS1_17partition_subalgoE5EjNS0_10empty_typeEbEEZZNS1_14partition_implILS5_5ELb0ES3_mN6thrust23THRUST_200600_302600_NS6detail15normal_iteratorINSA_10device_ptrIjEEEEPS6_NSA_18transform_iteratorINSB_9not_fun_tINSA_8identityIjEEEESF_NSA_11use_defaultESM_EENS0_5tupleIJSF_S6_EEENSO_IJSG_SG_EEES6_PlJS6_EEE10hipError_tPvRmT3_T4_T5_T6_T7_T9_mT8_P12ihipStream_tbDpT10_ENKUlT_T0_E_clISt17integral_constantIbLb0EES1B_EEDaS16_S17_EUlS16_E_NS1_11comp_targetILNS1_3genE4ELNS1_11target_archE910ELNS1_3gpuE8ELNS1_3repE0EEENS1_30default_config_static_selectorELNS0_4arch9wavefront6targetE0EEEvT1_.num_named_barrier, 0
	.set _ZN7rocprim17ROCPRIM_400000_NS6detail17trampoline_kernelINS0_14default_configENS1_25partition_config_selectorILNS1_17partition_subalgoE5EjNS0_10empty_typeEbEEZZNS1_14partition_implILS5_5ELb0ES3_mN6thrust23THRUST_200600_302600_NS6detail15normal_iteratorINSA_10device_ptrIjEEEEPS6_NSA_18transform_iteratorINSB_9not_fun_tINSA_8identityIjEEEESF_NSA_11use_defaultESM_EENS0_5tupleIJSF_S6_EEENSO_IJSG_SG_EEES6_PlJS6_EEE10hipError_tPvRmT3_T4_T5_T6_T7_T9_mT8_P12ihipStream_tbDpT10_ENKUlT_T0_E_clISt17integral_constantIbLb0EES1B_EEDaS16_S17_EUlS16_E_NS1_11comp_targetILNS1_3genE4ELNS1_11target_archE910ELNS1_3gpuE8ELNS1_3repE0EEENS1_30default_config_static_selectorELNS0_4arch9wavefront6targetE0EEEvT1_.private_seg_size, 0
	.set _ZN7rocprim17ROCPRIM_400000_NS6detail17trampoline_kernelINS0_14default_configENS1_25partition_config_selectorILNS1_17partition_subalgoE5EjNS0_10empty_typeEbEEZZNS1_14partition_implILS5_5ELb0ES3_mN6thrust23THRUST_200600_302600_NS6detail15normal_iteratorINSA_10device_ptrIjEEEEPS6_NSA_18transform_iteratorINSB_9not_fun_tINSA_8identityIjEEEESF_NSA_11use_defaultESM_EENS0_5tupleIJSF_S6_EEENSO_IJSG_SG_EEES6_PlJS6_EEE10hipError_tPvRmT3_T4_T5_T6_T7_T9_mT8_P12ihipStream_tbDpT10_ENKUlT_T0_E_clISt17integral_constantIbLb0EES1B_EEDaS16_S17_EUlS16_E_NS1_11comp_targetILNS1_3genE4ELNS1_11target_archE910ELNS1_3gpuE8ELNS1_3repE0EEENS1_30default_config_static_selectorELNS0_4arch9wavefront6targetE0EEEvT1_.uses_vcc, 0
	.set _ZN7rocprim17ROCPRIM_400000_NS6detail17trampoline_kernelINS0_14default_configENS1_25partition_config_selectorILNS1_17partition_subalgoE5EjNS0_10empty_typeEbEEZZNS1_14partition_implILS5_5ELb0ES3_mN6thrust23THRUST_200600_302600_NS6detail15normal_iteratorINSA_10device_ptrIjEEEEPS6_NSA_18transform_iteratorINSB_9not_fun_tINSA_8identityIjEEEESF_NSA_11use_defaultESM_EENS0_5tupleIJSF_S6_EEENSO_IJSG_SG_EEES6_PlJS6_EEE10hipError_tPvRmT3_T4_T5_T6_T7_T9_mT8_P12ihipStream_tbDpT10_ENKUlT_T0_E_clISt17integral_constantIbLb0EES1B_EEDaS16_S17_EUlS16_E_NS1_11comp_targetILNS1_3genE4ELNS1_11target_archE910ELNS1_3gpuE8ELNS1_3repE0EEENS1_30default_config_static_selectorELNS0_4arch9wavefront6targetE0EEEvT1_.uses_flat_scratch, 0
	.set _ZN7rocprim17ROCPRIM_400000_NS6detail17trampoline_kernelINS0_14default_configENS1_25partition_config_selectorILNS1_17partition_subalgoE5EjNS0_10empty_typeEbEEZZNS1_14partition_implILS5_5ELb0ES3_mN6thrust23THRUST_200600_302600_NS6detail15normal_iteratorINSA_10device_ptrIjEEEEPS6_NSA_18transform_iteratorINSB_9not_fun_tINSA_8identityIjEEEESF_NSA_11use_defaultESM_EENS0_5tupleIJSF_S6_EEENSO_IJSG_SG_EEES6_PlJS6_EEE10hipError_tPvRmT3_T4_T5_T6_T7_T9_mT8_P12ihipStream_tbDpT10_ENKUlT_T0_E_clISt17integral_constantIbLb0EES1B_EEDaS16_S17_EUlS16_E_NS1_11comp_targetILNS1_3genE4ELNS1_11target_archE910ELNS1_3gpuE8ELNS1_3repE0EEENS1_30default_config_static_selectorELNS0_4arch9wavefront6targetE0EEEvT1_.has_dyn_sized_stack, 0
	.set _ZN7rocprim17ROCPRIM_400000_NS6detail17trampoline_kernelINS0_14default_configENS1_25partition_config_selectorILNS1_17partition_subalgoE5EjNS0_10empty_typeEbEEZZNS1_14partition_implILS5_5ELb0ES3_mN6thrust23THRUST_200600_302600_NS6detail15normal_iteratorINSA_10device_ptrIjEEEEPS6_NSA_18transform_iteratorINSB_9not_fun_tINSA_8identityIjEEEESF_NSA_11use_defaultESM_EENS0_5tupleIJSF_S6_EEENSO_IJSG_SG_EEES6_PlJS6_EEE10hipError_tPvRmT3_T4_T5_T6_T7_T9_mT8_P12ihipStream_tbDpT10_ENKUlT_T0_E_clISt17integral_constantIbLb0EES1B_EEDaS16_S17_EUlS16_E_NS1_11comp_targetILNS1_3genE4ELNS1_11target_archE910ELNS1_3gpuE8ELNS1_3repE0EEENS1_30default_config_static_selectorELNS0_4arch9wavefront6targetE0EEEvT1_.has_recursion, 0
	.set _ZN7rocprim17ROCPRIM_400000_NS6detail17trampoline_kernelINS0_14default_configENS1_25partition_config_selectorILNS1_17partition_subalgoE5EjNS0_10empty_typeEbEEZZNS1_14partition_implILS5_5ELb0ES3_mN6thrust23THRUST_200600_302600_NS6detail15normal_iteratorINSA_10device_ptrIjEEEEPS6_NSA_18transform_iteratorINSB_9not_fun_tINSA_8identityIjEEEESF_NSA_11use_defaultESM_EENS0_5tupleIJSF_S6_EEENSO_IJSG_SG_EEES6_PlJS6_EEE10hipError_tPvRmT3_T4_T5_T6_T7_T9_mT8_P12ihipStream_tbDpT10_ENKUlT_T0_E_clISt17integral_constantIbLb0EES1B_EEDaS16_S17_EUlS16_E_NS1_11comp_targetILNS1_3genE4ELNS1_11target_archE910ELNS1_3gpuE8ELNS1_3repE0EEENS1_30default_config_static_selectorELNS0_4arch9wavefront6targetE0EEEvT1_.has_indirect_call, 0
	.section	.AMDGPU.csdata,"",@progbits
; Kernel info:
; codeLenInByte = 0
; TotalNumSgprs: 0
; NumVgprs: 0
; ScratchSize: 0
; MemoryBound: 0
; FloatMode: 240
; IeeeMode: 1
; LDSByteSize: 0 bytes/workgroup (compile time only)
; SGPRBlocks: 0
; VGPRBlocks: 0
; NumSGPRsForWavesPerEU: 1
; NumVGPRsForWavesPerEU: 1
; Occupancy: 16
; WaveLimiterHint : 0
; COMPUTE_PGM_RSRC2:SCRATCH_EN: 0
; COMPUTE_PGM_RSRC2:USER_SGPR: 2
; COMPUTE_PGM_RSRC2:TRAP_HANDLER: 0
; COMPUTE_PGM_RSRC2:TGID_X_EN: 1
; COMPUTE_PGM_RSRC2:TGID_Y_EN: 0
; COMPUTE_PGM_RSRC2:TGID_Z_EN: 0
; COMPUTE_PGM_RSRC2:TIDIG_COMP_CNT: 0
	.section	.text._ZN7rocprim17ROCPRIM_400000_NS6detail17trampoline_kernelINS0_14default_configENS1_25partition_config_selectorILNS1_17partition_subalgoE5EjNS0_10empty_typeEbEEZZNS1_14partition_implILS5_5ELb0ES3_mN6thrust23THRUST_200600_302600_NS6detail15normal_iteratorINSA_10device_ptrIjEEEEPS6_NSA_18transform_iteratorINSB_9not_fun_tINSA_8identityIjEEEESF_NSA_11use_defaultESM_EENS0_5tupleIJSF_S6_EEENSO_IJSG_SG_EEES6_PlJS6_EEE10hipError_tPvRmT3_T4_T5_T6_T7_T9_mT8_P12ihipStream_tbDpT10_ENKUlT_T0_E_clISt17integral_constantIbLb0EES1B_EEDaS16_S17_EUlS16_E_NS1_11comp_targetILNS1_3genE3ELNS1_11target_archE908ELNS1_3gpuE7ELNS1_3repE0EEENS1_30default_config_static_selectorELNS0_4arch9wavefront6targetE0EEEvT1_,"axG",@progbits,_ZN7rocprim17ROCPRIM_400000_NS6detail17trampoline_kernelINS0_14default_configENS1_25partition_config_selectorILNS1_17partition_subalgoE5EjNS0_10empty_typeEbEEZZNS1_14partition_implILS5_5ELb0ES3_mN6thrust23THRUST_200600_302600_NS6detail15normal_iteratorINSA_10device_ptrIjEEEEPS6_NSA_18transform_iteratorINSB_9not_fun_tINSA_8identityIjEEEESF_NSA_11use_defaultESM_EENS0_5tupleIJSF_S6_EEENSO_IJSG_SG_EEES6_PlJS6_EEE10hipError_tPvRmT3_T4_T5_T6_T7_T9_mT8_P12ihipStream_tbDpT10_ENKUlT_T0_E_clISt17integral_constantIbLb0EES1B_EEDaS16_S17_EUlS16_E_NS1_11comp_targetILNS1_3genE3ELNS1_11target_archE908ELNS1_3gpuE7ELNS1_3repE0EEENS1_30default_config_static_selectorELNS0_4arch9wavefront6targetE0EEEvT1_,comdat
	.protected	_ZN7rocprim17ROCPRIM_400000_NS6detail17trampoline_kernelINS0_14default_configENS1_25partition_config_selectorILNS1_17partition_subalgoE5EjNS0_10empty_typeEbEEZZNS1_14partition_implILS5_5ELb0ES3_mN6thrust23THRUST_200600_302600_NS6detail15normal_iteratorINSA_10device_ptrIjEEEEPS6_NSA_18transform_iteratorINSB_9not_fun_tINSA_8identityIjEEEESF_NSA_11use_defaultESM_EENS0_5tupleIJSF_S6_EEENSO_IJSG_SG_EEES6_PlJS6_EEE10hipError_tPvRmT3_T4_T5_T6_T7_T9_mT8_P12ihipStream_tbDpT10_ENKUlT_T0_E_clISt17integral_constantIbLb0EES1B_EEDaS16_S17_EUlS16_E_NS1_11comp_targetILNS1_3genE3ELNS1_11target_archE908ELNS1_3gpuE7ELNS1_3repE0EEENS1_30default_config_static_selectorELNS0_4arch9wavefront6targetE0EEEvT1_ ; -- Begin function _ZN7rocprim17ROCPRIM_400000_NS6detail17trampoline_kernelINS0_14default_configENS1_25partition_config_selectorILNS1_17partition_subalgoE5EjNS0_10empty_typeEbEEZZNS1_14partition_implILS5_5ELb0ES3_mN6thrust23THRUST_200600_302600_NS6detail15normal_iteratorINSA_10device_ptrIjEEEEPS6_NSA_18transform_iteratorINSB_9not_fun_tINSA_8identityIjEEEESF_NSA_11use_defaultESM_EENS0_5tupleIJSF_S6_EEENSO_IJSG_SG_EEES6_PlJS6_EEE10hipError_tPvRmT3_T4_T5_T6_T7_T9_mT8_P12ihipStream_tbDpT10_ENKUlT_T0_E_clISt17integral_constantIbLb0EES1B_EEDaS16_S17_EUlS16_E_NS1_11comp_targetILNS1_3genE3ELNS1_11target_archE908ELNS1_3gpuE7ELNS1_3repE0EEENS1_30default_config_static_selectorELNS0_4arch9wavefront6targetE0EEEvT1_
	.globl	_ZN7rocprim17ROCPRIM_400000_NS6detail17trampoline_kernelINS0_14default_configENS1_25partition_config_selectorILNS1_17partition_subalgoE5EjNS0_10empty_typeEbEEZZNS1_14partition_implILS5_5ELb0ES3_mN6thrust23THRUST_200600_302600_NS6detail15normal_iteratorINSA_10device_ptrIjEEEEPS6_NSA_18transform_iteratorINSB_9not_fun_tINSA_8identityIjEEEESF_NSA_11use_defaultESM_EENS0_5tupleIJSF_S6_EEENSO_IJSG_SG_EEES6_PlJS6_EEE10hipError_tPvRmT3_T4_T5_T6_T7_T9_mT8_P12ihipStream_tbDpT10_ENKUlT_T0_E_clISt17integral_constantIbLb0EES1B_EEDaS16_S17_EUlS16_E_NS1_11comp_targetILNS1_3genE3ELNS1_11target_archE908ELNS1_3gpuE7ELNS1_3repE0EEENS1_30default_config_static_selectorELNS0_4arch9wavefront6targetE0EEEvT1_
	.p2align	8
	.type	_ZN7rocprim17ROCPRIM_400000_NS6detail17trampoline_kernelINS0_14default_configENS1_25partition_config_selectorILNS1_17partition_subalgoE5EjNS0_10empty_typeEbEEZZNS1_14partition_implILS5_5ELb0ES3_mN6thrust23THRUST_200600_302600_NS6detail15normal_iteratorINSA_10device_ptrIjEEEEPS6_NSA_18transform_iteratorINSB_9not_fun_tINSA_8identityIjEEEESF_NSA_11use_defaultESM_EENS0_5tupleIJSF_S6_EEENSO_IJSG_SG_EEES6_PlJS6_EEE10hipError_tPvRmT3_T4_T5_T6_T7_T9_mT8_P12ihipStream_tbDpT10_ENKUlT_T0_E_clISt17integral_constantIbLb0EES1B_EEDaS16_S17_EUlS16_E_NS1_11comp_targetILNS1_3genE3ELNS1_11target_archE908ELNS1_3gpuE7ELNS1_3repE0EEENS1_30default_config_static_selectorELNS0_4arch9wavefront6targetE0EEEvT1_,@function
_ZN7rocprim17ROCPRIM_400000_NS6detail17trampoline_kernelINS0_14default_configENS1_25partition_config_selectorILNS1_17partition_subalgoE5EjNS0_10empty_typeEbEEZZNS1_14partition_implILS5_5ELb0ES3_mN6thrust23THRUST_200600_302600_NS6detail15normal_iteratorINSA_10device_ptrIjEEEEPS6_NSA_18transform_iteratorINSB_9not_fun_tINSA_8identityIjEEEESF_NSA_11use_defaultESM_EENS0_5tupleIJSF_S6_EEENSO_IJSG_SG_EEES6_PlJS6_EEE10hipError_tPvRmT3_T4_T5_T6_T7_T9_mT8_P12ihipStream_tbDpT10_ENKUlT_T0_E_clISt17integral_constantIbLb0EES1B_EEDaS16_S17_EUlS16_E_NS1_11comp_targetILNS1_3genE3ELNS1_11target_archE908ELNS1_3gpuE7ELNS1_3repE0EEENS1_30default_config_static_selectorELNS0_4arch9wavefront6targetE0EEEvT1_: ; @_ZN7rocprim17ROCPRIM_400000_NS6detail17trampoline_kernelINS0_14default_configENS1_25partition_config_selectorILNS1_17partition_subalgoE5EjNS0_10empty_typeEbEEZZNS1_14partition_implILS5_5ELb0ES3_mN6thrust23THRUST_200600_302600_NS6detail15normal_iteratorINSA_10device_ptrIjEEEEPS6_NSA_18transform_iteratorINSB_9not_fun_tINSA_8identityIjEEEESF_NSA_11use_defaultESM_EENS0_5tupleIJSF_S6_EEENSO_IJSG_SG_EEES6_PlJS6_EEE10hipError_tPvRmT3_T4_T5_T6_T7_T9_mT8_P12ihipStream_tbDpT10_ENKUlT_T0_E_clISt17integral_constantIbLb0EES1B_EEDaS16_S17_EUlS16_E_NS1_11comp_targetILNS1_3genE3ELNS1_11target_archE908ELNS1_3gpuE7ELNS1_3repE0EEENS1_30default_config_static_selectorELNS0_4arch9wavefront6targetE0EEEvT1_
; %bb.0:
	.section	.rodata,"a",@progbits
	.p2align	6, 0x0
	.amdhsa_kernel _ZN7rocprim17ROCPRIM_400000_NS6detail17trampoline_kernelINS0_14default_configENS1_25partition_config_selectorILNS1_17partition_subalgoE5EjNS0_10empty_typeEbEEZZNS1_14partition_implILS5_5ELb0ES3_mN6thrust23THRUST_200600_302600_NS6detail15normal_iteratorINSA_10device_ptrIjEEEEPS6_NSA_18transform_iteratorINSB_9not_fun_tINSA_8identityIjEEEESF_NSA_11use_defaultESM_EENS0_5tupleIJSF_S6_EEENSO_IJSG_SG_EEES6_PlJS6_EEE10hipError_tPvRmT3_T4_T5_T6_T7_T9_mT8_P12ihipStream_tbDpT10_ENKUlT_T0_E_clISt17integral_constantIbLb0EES1B_EEDaS16_S17_EUlS16_E_NS1_11comp_targetILNS1_3genE3ELNS1_11target_archE908ELNS1_3gpuE7ELNS1_3repE0EEENS1_30default_config_static_selectorELNS0_4arch9wavefront6targetE0EEEvT1_
		.amdhsa_group_segment_fixed_size 0
		.amdhsa_private_segment_fixed_size 0
		.amdhsa_kernarg_size 120
		.amdhsa_user_sgpr_count 2
		.amdhsa_user_sgpr_dispatch_ptr 0
		.amdhsa_user_sgpr_queue_ptr 0
		.amdhsa_user_sgpr_kernarg_segment_ptr 1
		.amdhsa_user_sgpr_dispatch_id 0
		.amdhsa_user_sgpr_private_segment_size 0
		.amdhsa_wavefront_size32 1
		.amdhsa_uses_dynamic_stack 0
		.amdhsa_enable_private_segment 0
		.amdhsa_system_sgpr_workgroup_id_x 1
		.amdhsa_system_sgpr_workgroup_id_y 0
		.amdhsa_system_sgpr_workgroup_id_z 0
		.amdhsa_system_sgpr_workgroup_info 0
		.amdhsa_system_vgpr_workitem_id 0
		.amdhsa_next_free_vgpr 1
		.amdhsa_next_free_sgpr 1
		.amdhsa_reserve_vcc 0
		.amdhsa_float_round_mode_32 0
		.amdhsa_float_round_mode_16_64 0
		.amdhsa_float_denorm_mode_32 3
		.amdhsa_float_denorm_mode_16_64 3
		.amdhsa_fp16_overflow 0
		.amdhsa_workgroup_processor_mode 1
		.amdhsa_memory_ordered 1
		.amdhsa_forward_progress 1
		.amdhsa_inst_pref_size 0
		.amdhsa_round_robin_scheduling 0
		.amdhsa_exception_fp_ieee_invalid_op 0
		.amdhsa_exception_fp_denorm_src 0
		.amdhsa_exception_fp_ieee_div_zero 0
		.amdhsa_exception_fp_ieee_overflow 0
		.amdhsa_exception_fp_ieee_underflow 0
		.amdhsa_exception_fp_ieee_inexact 0
		.amdhsa_exception_int_div_zero 0
	.end_amdhsa_kernel
	.section	.text._ZN7rocprim17ROCPRIM_400000_NS6detail17trampoline_kernelINS0_14default_configENS1_25partition_config_selectorILNS1_17partition_subalgoE5EjNS0_10empty_typeEbEEZZNS1_14partition_implILS5_5ELb0ES3_mN6thrust23THRUST_200600_302600_NS6detail15normal_iteratorINSA_10device_ptrIjEEEEPS6_NSA_18transform_iteratorINSB_9not_fun_tINSA_8identityIjEEEESF_NSA_11use_defaultESM_EENS0_5tupleIJSF_S6_EEENSO_IJSG_SG_EEES6_PlJS6_EEE10hipError_tPvRmT3_T4_T5_T6_T7_T9_mT8_P12ihipStream_tbDpT10_ENKUlT_T0_E_clISt17integral_constantIbLb0EES1B_EEDaS16_S17_EUlS16_E_NS1_11comp_targetILNS1_3genE3ELNS1_11target_archE908ELNS1_3gpuE7ELNS1_3repE0EEENS1_30default_config_static_selectorELNS0_4arch9wavefront6targetE0EEEvT1_,"axG",@progbits,_ZN7rocprim17ROCPRIM_400000_NS6detail17trampoline_kernelINS0_14default_configENS1_25partition_config_selectorILNS1_17partition_subalgoE5EjNS0_10empty_typeEbEEZZNS1_14partition_implILS5_5ELb0ES3_mN6thrust23THRUST_200600_302600_NS6detail15normal_iteratorINSA_10device_ptrIjEEEEPS6_NSA_18transform_iteratorINSB_9not_fun_tINSA_8identityIjEEEESF_NSA_11use_defaultESM_EENS0_5tupleIJSF_S6_EEENSO_IJSG_SG_EEES6_PlJS6_EEE10hipError_tPvRmT3_T4_T5_T6_T7_T9_mT8_P12ihipStream_tbDpT10_ENKUlT_T0_E_clISt17integral_constantIbLb0EES1B_EEDaS16_S17_EUlS16_E_NS1_11comp_targetILNS1_3genE3ELNS1_11target_archE908ELNS1_3gpuE7ELNS1_3repE0EEENS1_30default_config_static_selectorELNS0_4arch9wavefront6targetE0EEEvT1_,comdat
.Lfunc_end888:
	.size	_ZN7rocprim17ROCPRIM_400000_NS6detail17trampoline_kernelINS0_14default_configENS1_25partition_config_selectorILNS1_17partition_subalgoE5EjNS0_10empty_typeEbEEZZNS1_14partition_implILS5_5ELb0ES3_mN6thrust23THRUST_200600_302600_NS6detail15normal_iteratorINSA_10device_ptrIjEEEEPS6_NSA_18transform_iteratorINSB_9not_fun_tINSA_8identityIjEEEESF_NSA_11use_defaultESM_EENS0_5tupleIJSF_S6_EEENSO_IJSG_SG_EEES6_PlJS6_EEE10hipError_tPvRmT3_T4_T5_T6_T7_T9_mT8_P12ihipStream_tbDpT10_ENKUlT_T0_E_clISt17integral_constantIbLb0EES1B_EEDaS16_S17_EUlS16_E_NS1_11comp_targetILNS1_3genE3ELNS1_11target_archE908ELNS1_3gpuE7ELNS1_3repE0EEENS1_30default_config_static_selectorELNS0_4arch9wavefront6targetE0EEEvT1_, .Lfunc_end888-_ZN7rocprim17ROCPRIM_400000_NS6detail17trampoline_kernelINS0_14default_configENS1_25partition_config_selectorILNS1_17partition_subalgoE5EjNS0_10empty_typeEbEEZZNS1_14partition_implILS5_5ELb0ES3_mN6thrust23THRUST_200600_302600_NS6detail15normal_iteratorINSA_10device_ptrIjEEEEPS6_NSA_18transform_iteratorINSB_9not_fun_tINSA_8identityIjEEEESF_NSA_11use_defaultESM_EENS0_5tupleIJSF_S6_EEENSO_IJSG_SG_EEES6_PlJS6_EEE10hipError_tPvRmT3_T4_T5_T6_T7_T9_mT8_P12ihipStream_tbDpT10_ENKUlT_T0_E_clISt17integral_constantIbLb0EES1B_EEDaS16_S17_EUlS16_E_NS1_11comp_targetILNS1_3genE3ELNS1_11target_archE908ELNS1_3gpuE7ELNS1_3repE0EEENS1_30default_config_static_selectorELNS0_4arch9wavefront6targetE0EEEvT1_
                                        ; -- End function
	.set _ZN7rocprim17ROCPRIM_400000_NS6detail17trampoline_kernelINS0_14default_configENS1_25partition_config_selectorILNS1_17partition_subalgoE5EjNS0_10empty_typeEbEEZZNS1_14partition_implILS5_5ELb0ES3_mN6thrust23THRUST_200600_302600_NS6detail15normal_iteratorINSA_10device_ptrIjEEEEPS6_NSA_18transform_iteratorINSB_9not_fun_tINSA_8identityIjEEEESF_NSA_11use_defaultESM_EENS0_5tupleIJSF_S6_EEENSO_IJSG_SG_EEES6_PlJS6_EEE10hipError_tPvRmT3_T4_T5_T6_T7_T9_mT8_P12ihipStream_tbDpT10_ENKUlT_T0_E_clISt17integral_constantIbLb0EES1B_EEDaS16_S17_EUlS16_E_NS1_11comp_targetILNS1_3genE3ELNS1_11target_archE908ELNS1_3gpuE7ELNS1_3repE0EEENS1_30default_config_static_selectorELNS0_4arch9wavefront6targetE0EEEvT1_.num_vgpr, 0
	.set _ZN7rocprim17ROCPRIM_400000_NS6detail17trampoline_kernelINS0_14default_configENS1_25partition_config_selectorILNS1_17partition_subalgoE5EjNS0_10empty_typeEbEEZZNS1_14partition_implILS5_5ELb0ES3_mN6thrust23THRUST_200600_302600_NS6detail15normal_iteratorINSA_10device_ptrIjEEEEPS6_NSA_18transform_iteratorINSB_9not_fun_tINSA_8identityIjEEEESF_NSA_11use_defaultESM_EENS0_5tupleIJSF_S6_EEENSO_IJSG_SG_EEES6_PlJS6_EEE10hipError_tPvRmT3_T4_T5_T6_T7_T9_mT8_P12ihipStream_tbDpT10_ENKUlT_T0_E_clISt17integral_constantIbLb0EES1B_EEDaS16_S17_EUlS16_E_NS1_11comp_targetILNS1_3genE3ELNS1_11target_archE908ELNS1_3gpuE7ELNS1_3repE0EEENS1_30default_config_static_selectorELNS0_4arch9wavefront6targetE0EEEvT1_.num_agpr, 0
	.set _ZN7rocprim17ROCPRIM_400000_NS6detail17trampoline_kernelINS0_14default_configENS1_25partition_config_selectorILNS1_17partition_subalgoE5EjNS0_10empty_typeEbEEZZNS1_14partition_implILS5_5ELb0ES3_mN6thrust23THRUST_200600_302600_NS6detail15normal_iteratorINSA_10device_ptrIjEEEEPS6_NSA_18transform_iteratorINSB_9not_fun_tINSA_8identityIjEEEESF_NSA_11use_defaultESM_EENS0_5tupleIJSF_S6_EEENSO_IJSG_SG_EEES6_PlJS6_EEE10hipError_tPvRmT3_T4_T5_T6_T7_T9_mT8_P12ihipStream_tbDpT10_ENKUlT_T0_E_clISt17integral_constantIbLb0EES1B_EEDaS16_S17_EUlS16_E_NS1_11comp_targetILNS1_3genE3ELNS1_11target_archE908ELNS1_3gpuE7ELNS1_3repE0EEENS1_30default_config_static_selectorELNS0_4arch9wavefront6targetE0EEEvT1_.numbered_sgpr, 0
	.set _ZN7rocprim17ROCPRIM_400000_NS6detail17trampoline_kernelINS0_14default_configENS1_25partition_config_selectorILNS1_17partition_subalgoE5EjNS0_10empty_typeEbEEZZNS1_14partition_implILS5_5ELb0ES3_mN6thrust23THRUST_200600_302600_NS6detail15normal_iteratorINSA_10device_ptrIjEEEEPS6_NSA_18transform_iteratorINSB_9not_fun_tINSA_8identityIjEEEESF_NSA_11use_defaultESM_EENS0_5tupleIJSF_S6_EEENSO_IJSG_SG_EEES6_PlJS6_EEE10hipError_tPvRmT3_T4_T5_T6_T7_T9_mT8_P12ihipStream_tbDpT10_ENKUlT_T0_E_clISt17integral_constantIbLb0EES1B_EEDaS16_S17_EUlS16_E_NS1_11comp_targetILNS1_3genE3ELNS1_11target_archE908ELNS1_3gpuE7ELNS1_3repE0EEENS1_30default_config_static_selectorELNS0_4arch9wavefront6targetE0EEEvT1_.num_named_barrier, 0
	.set _ZN7rocprim17ROCPRIM_400000_NS6detail17trampoline_kernelINS0_14default_configENS1_25partition_config_selectorILNS1_17partition_subalgoE5EjNS0_10empty_typeEbEEZZNS1_14partition_implILS5_5ELb0ES3_mN6thrust23THRUST_200600_302600_NS6detail15normal_iteratorINSA_10device_ptrIjEEEEPS6_NSA_18transform_iteratorINSB_9not_fun_tINSA_8identityIjEEEESF_NSA_11use_defaultESM_EENS0_5tupleIJSF_S6_EEENSO_IJSG_SG_EEES6_PlJS6_EEE10hipError_tPvRmT3_T4_T5_T6_T7_T9_mT8_P12ihipStream_tbDpT10_ENKUlT_T0_E_clISt17integral_constantIbLb0EES1B_EEDaS16_S17_EUlS16_E_NS1_11comp_targetILNS1_3genE3ELNS1_11target_archE908ELNS1_3gpuE7ELNS1_3repE0EEENS1_30default_config_static_selectorELNS0_4arch9wavefront6targetE0EEEvT1_.private_seg_size, 0
	.set _ZN7rocprim17ROCPRIM_400000_NS6detail17trampoline_kernelINS0_14default_configENS1_25partition_config_selectorILNS1_17partition_subalgoE5EjNS0_10empty_typeEbEEZZNS1_14partition_implILS5_5ELb0ES3_mN6thrust23THRUST_200600_302600_NS6detail15normal_iteratorINSA_10device_ptrIjEEEEPS6_NSA_18transform_iteratorINSB_9not_fun_tINSA_8identityIjEEEESF_NSA_11use_defaultESM_EENS0_5tupleIJSF_S6_EEENSO_IJSG_SG_EEES6_PlJS6_EEE10hipError_tPvRmT3_T4_T5_T6_T7_T9_mT8_P12ihipStream_tbDpT10_ENKUlT_T0_E_clISt17integral_constantIbLb0EES1B_EEDaS16_S17_EUlS16_E_NS1_11comp_targetILNS1_3genE3ELNS1_11target_archE908ELNS1_3gpuE7ELNS1_3repE0EEENS1_30default_config_static_selectorELNS0_4arch9wavefront6targetE0EEEvT1_.uses_vcc, 0
	.set _ZN7rocprim17ROCPRIM_400000_NS6detail17trampoline_kernelINS0_14default_configENS1_25partition_config_selectorILNS1_17partition_subalgoE5EjNS0_10empty_typeEbEEZZNS1_14partition_implILS5_5ELb0ES3_mN6thrust23THRUST_200600_302600_NS6detail15normal_iteratorINSA_10device_ptrIjEEEEPS6_NSA_18transform_iteratorINSB_9not_fun_tINSA_8identityIjEEEESF_NSA_11use_defaultESM_EENS0_5tupleIJSF_S6_EEENSO_IJSG_SG_EEES6_PlJS6_EEE10hipError_tPvRmT3_T4_T5_T6_T7_T9_mT8_P12ihipStream_tbDpT10_ENKUlT_T0_E_clISt17integral_constantIbLb0EES1B_EEDaS16_S17_EUlS16_E_NS1_11comp_targetILNS1_3genE3ELNS1_11target_archE908ELNS1_3gpuE7ELNS1_3repE0EEENS1_30default_config_static_selectorELNS0_4arch9wavefront6targetE0EEEvT1_.uses_flat_scratch, 0
	.set _ZN7rocprim17ROCPRIM_400000_NS6detail17trampoline_kernelINS0_14default_configENS1_25partition_config_selectorILNS1_17partition_subalgoE5EjNS0_10empty_typeEbEEZZNS1_14partition_implILS5_5ELb0ES3_mN6thrust23THRUST_200600_302600_NS6detail15normal_iteratorINSA_10device_ptrIjEEEEPS6_NSA_18transform_iteratorINSB_9not_fun_tINSA_8identityIjEEEESF_NSA_11use_defaultESM_EENS0_5tupleIJSF_S6_EEENSO_IJSG_SG_EEES6_PlJS6_EEE10hipError_tPvRmT3_T4_T5_T6_T7_T9_mT8_P12ihipStream_tbDpT10_ENKUlT_T0_E_clISt17integral_constantIbLb0EES1B_EEDaS16_S17_EUlS16_E_NS1_11comp_targetILNS1_3genE3ELNS1_11target_archE908ELNS1_3gpuE7ELNS1_3repE0EEENS1_30default_config_static_selectorELNS0_4arch9wavefront6targetE0EEEvT1_.has_dyn_sized_stack, 0
	.set _ZN7rocprim17ROCPRIM_400000_NS6detail17trampoline_kernelINS0_14default_configENS1_25partition_config_selectorILNS1_17partition_subalgoE5EjNS0_10empty_typeEbEEZZNS1_14partition_implILS5_5ELb0ES3_mN6thrust23THRUST_200600_302600_NS6detail15normal_iteratorINSA_10device_ptrIjEEEEPS6_NSA_18transform_iteratorINSB_9not_fun_tINSA_8identityIjEEEESF_NSA_11use_defaultESM_EENS0_5tupleIJSF_S6_EEENSO_IJSG_SG_EEES6_PlJS6_EEE10hipError_tPvRmT3_T4_T5_T6_T7_T9_mT8_P12ihipStream_tbDpT10_ENKUlT_T0_E_clISt17integral_constantIbLb0EES1B_EEDaS16_S17_EUlS16_E_NS1_11comp_targetILNS1_3genE3ELNS1_11target_archE908ELNS1_3gpuE7ELNS1_3repE0EEENS1_30default_config_static_selectorELNS0_4arch9wavefront6targetE0EEEvT1_.has_recursion, 0
	.set _ZN7rocprim17ROCPRIM_400000_NS6detail17trampoline_kernelINS0_14default_configENS1_25partition_config_selectorILNS1_17partition_subalgoE5EjNS0_10empty_typeEbEEZZNS1_14partition_implILS5_5ELb0ES3_mN6thrust23THRUST_200600_302600_NS6detail15normal_iteratorINSA_10device_ptrIjEEEEPS6_NSA_18transform_iteratorINSB_9not_fun_tINSA_8identityIjEEEESF_NSA_11use_defaultESM_EENS0_5tupleIJSF_S6_EEENSO_IJSG_SG_EEES6_PlJS6_EEE10hipError_tPvRmT3_T4_T5_T6_T7_T9_mT8_P12ihipStream_tbDpT10_ENKUlT_T0_E_clISt17integral_constantIbLb0EES1B_EEDaS16_S17_EUlS16_E_NS1_11comp_targetILNS1_3genE3ELNS1_11target_archE908ELNS1_3gpuE7ELNS1_3repE0EEENS1_30default_config_static_selectorELNS0_4arch9wavefront6targetE0EEEvT1_.has_indirect_call, 0
	.section	.AMDGPU.csdata,"",@progbits
; Kernel info:
; codeLenInByte = 0
; TotalNumSgprs: 0
; NumVgprs: 0
; ScratchSize: 0
; MemoryBound: 0
; FloatMode: 240
; IeeeMode: 1
; LDSByteSize: 0 bytes/workgroup (compile time only)
; SGPRBlocks: 0
; VGPRBlocks: 0
; NumSGPRsForWavesPerEU: 1
; NumVGPRsForWavesPerEU: 1
; Occupancy: 16
; WaveLimiterHint : 0
; COMPUTE_PGM_RSRC2:SCRATCH_EN: 0
; COMPUTE_PGM_RSRC2:USER_SGPR: 2
; COMPUTE_PGM_RSRC2:TRAP_HANDLER: 0
; COMPUTE_PGM_RSRC2:TGID_X_EN: 1
; COMPUTE_PGM_RSRC2:TGID_Y_EN: 0
; COMPUTE_PGM_RSRC2:TGID_Z_EN: 0
; COMPUTE_PGM_RSRC2:TIDIG_COMP_CNT: 0
	.section	.text._ZN7rocprim17ROCPRIM_400000_NS6detail17trampoline_kernelINS0_14default_configENS1_25partition_config_selectorILNS1_17partition_subalgoE5EjNS0_10empty_typeEbEEZZNS1_14partition_implILS5_5ELb0ES3_mN6thrust23THRUST_200600_302600_NS6detail15normal_iteratorINSA_10device_ptrIjEEEEPS6_NSA_18transform_iteratorINSB_9not_fun_tINSA_8identityIjEEEESF_NSA_11use_defaultESM_EENS0_5tupleIJSF_S6_EEENSO_IJSG_SG_EEES6_PlJS6_EEE10hipError_tPvRmT3_T4_T5_T6_T7_T9_mT8_P12ihipStream_tbDpT10_ENKUlT_T0_E_clISt17integral_constantIbLb0EES1B_EEDaS16_S17_EUlS16_E_NS1_11comp_targetILNS1_3genE2ELNS1_11target_archE906ELNS1_3gpuE6ELNS1_3repE0EEENS1_30default_config_static_selectorELNS0_4arch9wavefront6targetE0EEEvT1_,"axG",@progbits,_ZN7rocprim17ROCPRIM_400000_NS6detail17trampoline_kernelINS0_14default_configENS1_25partition_config_selectorILNS1_17partition_subalgoE5EjNS0_10empty_typeEbEEZZNS1_14partition_implILS5_5ELb0ES3_mN6thrust23THRUST_200600_302600_NS6detail15normal_iteratorINSA_10device_ptrIjEEEEPS6_NSA_18transform_iteratorINSB_9not_fun_tINSA_8identityIjEEEESF_NSA_11use_defaultESM_EENS0_5tupleIJSF_S6_EEENSO_IJSG_SG_EEES6_PlJS6_EEE10hipError_tPvRmT3_T4_T5_T6_T7_T9_mT8_P12ihipStream_tbDpT10_ENKUlT_T0_E_clISt17integral_constantIbLb0EES1B_EEDaS16_S17_EUlS16_E_NS1_11comp_targetILNS1_3genE2ELNS1_11target_archE906ELNS1_3gpuE6ELNS1_3repE0EEENS1_30default_config_static_selectorELNS0_4arch9wavefront6targetE0EEEvT1_,comdat
	.protected	_ZN7rocprim17ROCPRIM_400000_NS6detail17trampoline_kernelINS0_14default_configENS1_25partition_config_selectorILNS1_17partition_subalgoE5EjNS0_10empty_typeEbEEZZNS1_14partition_implILS5_5ELb0ES3_mN6thrust23THRUST_200600_302600_NS6detail15normal_iteratorINSA_10device_ptrIjEEEEPS6_NSA_18transform_iteratorINSB_9not_fun_tINSA_8identityIjEEEESF_NSA_11use_defaultESM_EENS0_5tupleIJSF_S6_EEENSO_IJSG_SG_EEES6_PlJS6_EEE10hipError_tPvRmT3_T4_T5_T6_T7_T9_mT8_P12ihipStream_tbDpT10_ENKUlT_T0_E_clISt17integral_constantIbLb0EES1B_EEDaS16_S17_EUlS16_E_NS1_11comp_targetILNS1_3genE2ELNS1_11target_archE906ELNS1_3gpuE6ELNS1_3repE0EEENS1_30default_config_static_selectorELNS0_4arch9wavefront6targetE0EEEvT1_ ; -- Begin function _ZN7rocprim17ROCPRIM_400000_NS6detail17trampoline_kernelINS0_14default_configENS1_25partition_config_selectorILNS1_17partition_subalgoE5EjNS0_10empty_typeEbEEZZNS1_14partition_implILS5_5ELb0ES3_mN6thrust23THRUST_200600_302600_NS6detail15normal_iteratorINSA_10device_ptrIjEEEEPS6_NSA_18transform_iteratorINSB_9not_fun_tINSA_8identityIjEEEESF_NSA_11use_defaultESM_EENS0_5tupleIJSF_S6_EEENSO_IJSG_SG_EEES6_PlJS6_EEE10hipError_tPvRmT3_T4_T5_T6_T7_T9_mT8_P12ihipStream_tbDpT10_ENKUlT_T0_E_clISt17integral_constantIbLb0EES1B_EEDaS16_S17_EUlS16_E_NS1_11comp_targetILNS1_3genE2ELNS1_11target_archE906ELNS1_3gpuE6ELNS1_3repE0EEENS1_30default_config_static_selectorELNS0_4arch9wavefront6targetE0EEEvT1_
	.globl	_ZN7rocprim17ROCPRIM_400000_NS6detail17trampoline_kernelINS0_14default_configENS1_25partition_config_selectorILNS1_17partition_subalgoE5EjNS0_10empty_typeEbEEZZNS1_14partition_implILS5_5ELb0ES3_mN6thrust23THRUST_200600_302600_NS6detail15normal_iteratorINSA_10device_ptrIjEEEEPS6_NSA_18transform_iteratorINSB_9not_fun_tINSA_8identityIjEEEESF_NSA_11use_defaultESM_EENS0_5tupleIJSF_S6_EEENSO_IJSG_SG_EEES6_PlJS6_EEE10hipError_tPvRmT3_T4_T5_T6_T7_T9_mT8_P12ihipStream_tbDpT10_ENKUlT_T0_E_clISt17integral_constantIbLb0EES1B_EEDaS16_S17_EUlS16_E_NS1_11comp_targetILNS1_3genE2ELNS1_11target_archE906ELNS1_3gpuE6ELNS1_3repE0EEENS1_30default_config_static_selectorELNS0_4arch9wavefront6targetE0EEEvT1_
	.p2align	8
	.type	_ZN7rocprim17ROCPRIM_400000_NS6detail17trampoline_kernelINS0_14default_configENS1_25partition_config_selectorILNS1_17partition_subalgoE5EjNS0_10empty_typeEbEEZZNS1_14partition_implILS5_5ELb0ES3_mN6thrust23THRUST_200600_302600_NS6detail15normal_iteratorINSA_10device_ptrIjEEEEPS6_NSA_18transform_iteratorINSB_9not_fun_tINSA_8identityIjEEEESF_NSA_11use_defaultESM_EENS0_5tupleIJSF_S6_EEENSO_IJSG_SG_EEES6_PlJS6_EEE10hipError_tPvRmT3_T4_T5_T6_T7_T9_mT8_P12ihipStream_tbDpT10_ENKUlT_T0_E_clISt17integral_constantIbLb0EES1B_EEDaS16_S17_EUlS16_E_NS1_11comp_targetILNS1_3genE2ELNS1_11target_archE906ELNS1_3gpuE6ELNS1_3repE0EEENS1_30default_config_static_selectorELNS0_4arch9wavefront6targetE0EEEvT1_,@function
_ZN7rocprim17ROCPRIM_400000_NS6detail17trampoline_kernelINS0_14default_configENS1_25partition_config_selectorILNS1_17partition_subalgoE5EjNS0_10empty_typeEbEEZZNS1_14partition_implILS5_5ELb0ES3_mN6thrust23THRUST_200600_302600_NS6detail15normal_iteratorINSA_10device_ptrIjEEEEPS6_NSA_18transform_iteratorINSB_9not_fun_tINSA_8identityIjEEEESF_NSA_11use_defaultESM_EENS0_5tupleIJSF_S6_EEENSO_IJSG_SG_EEES6_PlJS6_EEE10hipError_tPvRmT3_T4_T5_T6_T7_T9_mT8_P12ihipStream_tbDpT10_ENKUlT_T0_E_clISt17integral_constantIbLb0EES1B_EEDaS16_S17_EUlS16_E_NS1_11comp_targetILNS1_3genE2ELNS1_11target_archE906ELNS1_3gpuE6ELNS1_3repE0EEENS1_30default_config_static_selectorELNS0_4arch9wavefront6targetE0EEEvT1_: ; @_ZN7rocprim17ROCPRIM_400000_NS6detail17trampoline_kernelINS0_14default_configENS1_25partition_config_selectorILNS1_17partition_subalgoE5EjNS0_10empty_typeEbEEZZNS1_14partition_implILS5_5ELb0ES3_mN6thrust23THRUST_200600_302600_NS6detail15normal_iteratorINSA_10device_ptrIjEEEEPS6_NSA_18transform_iteratorINSB_9not_fun_tINSA_8identityIjEEEESF_NSA_11use_defaultESM_EENS0_5tupleIJSF_S6_EEENSO_IJSG_SG_EEES6_PlJS6_EEE10hipError_tPvRmT3_T4_T5_T6_T7_T9_mT8_P12ihipStream_tbDpT10_ENKUlT_T0_E_clISt17integral_constantIbLb0EES1B_EEDaS16_S17_EUlS16_E_NS1_11comp_targetILNS1_3genE2ELNS1_11target_archE906ELNS1_3gpuE6ELNS1_3repE0EEENS1_30default_config_static_selectorELNS0_4arch9wavefront6targetE0EEEvT1_
; %bb.0:
	.section	.rodata,"a",@progbits
	.p2align	6, 0x0
	.amdhsa_kernel _ZN7rocprim17ROCPRIM_400000_NS6detail17trampoline_kernelINS0_14default_configENS1_25partition_config_selectorILNS1_17partition_subalgoE5EjNS0_10empty_typeEbEEZZNS1_14partition_implILS5_5ELb0ES3_mN6thrust23THRUST_200600_302600_NS6detail15normal_iteratorINSA_10device_ptrIjEEEEPS6_NSA_18transform_iteratorINSB_9not_fun_tINSA_8identityIjEEEESF_NSA_11use_defaultESM_EENS0_5tupleIJSF_S6_EEENSO_IJSG_SG_EEES6_PlJS6_EEE10hipError_tPvRmT3_T4_T5_T6_T7_T9_mT8_P12ihipStream_tbDpT10_ENKUlT_T0_E_clISt17integral_constantIbLb0EES1B_EEDaS16_S17_EUlS16_E_NS1_11comp_targetILNS1_3genE2ELNS1_11target_archE906ELNS1_3gpuE6ELNS1_3repE0EEENS1_30default_config_static_selectorELNS0_4arch9wavefront6targetE0EEEvT1_
		.amdhsa_group_segment_fixed_size 0
		.amdhsa_private_segment_fixed_size 0
		.amdhsa_kernarg_size 120
		.amdhsa_user_sgpr_count 2
		.amdhsa_user_sgpr_dispatch_ptr 0
		.amdhsa_user_sgpr_queue_ptr 0
		.amdhsa_user_sgpr_kernarg_segment_ptr 1
		.amdhsa_user_sgpr_dispatch_id 0
		.amdhsa_user_sgpr_private_segment_size 0
		.amdhsa_wavefront_size32 1
		.amdhsa_uses_dynamic_stack 0
		.amdhsa_enable_private_segment 0
		.amdhsa_system_sgpr_workgroup_id_x 1
		.amdhsa_system_sgpr_workgroup_id_y 0
		.amdhsa_system_sgpr_workgroup_id_z 0
		.amdhsa_system_sgpr_workgroup_info 0
		.amdhsa_system_vgpr_workitem_id 0
		.amdhsa_next_free_vgpr 1
		.amdhsa_next_free_sgpr 1
		.amdhsa_reserve_vcc 0
		.amdhsa_float_round_mode_32 0
		.amdhsa_float_round_mode_16_64 0
		.amdhsa_float_denorm_mode_32 3
		.amdhsa_float_denorm_mode_16_64 3
		.amdhsa_fp16_overflow 0
		.amdhsa_workgroup_processor_mode 1
		.amdhsa_memory_ordered 1
		.amdhsa_forward_progress 1
		.amdhsa_inst_pref_size 0
		.amdhsa_round_robin_scheduling 0
		.amdhsa_exception_fp_ieee_invalid_op 0
		.amdhsa_exception_fp_denorm_src 0
		.amdhsa_exception_fp_ieee_div_zero 0
		.amdhsa_exception_fp_ieee_overflow 0
		.amdhsa_exception_fp_ieee_underflow 0
		.amdhsa_exception_fp_ieee_inexact 0
		.amdhsa_exception_int_div_zero 0
	.end_amdhsa_kernel
	.section	.text._ZN7rocprim17ROCPRIM_400000_NS6detail17trampoline_kernelINS0_14default_configENS1_25partition_config_selectorILNS1_17partition_subalgoE5EjNS0_10empty_typeEbEEZZNS1_14partition_implILS5_5ELb0ES3_mN6thrust23THRUST_200600_302600_NS6detail15normal_iteratorINSA_10device_ptrIjEEEEPS6_NSA_18transform_iteratorINSB_9not_fun_tINSA_8identityIjEEEESF_NSA_11use_defaultESM_EENS0_5tupleIJSF_S6_EEENSO_IJSG_SG_EEES6_PlJS6_EEE10hipError_tPvRmT3_T4_T5_T6_T7_T9_mT8_P12ihipStream_tbDpT10_ENKUlT_T0_E_clISt17integral_constantIbLb0EES1B_EEDaS16_S17_EUlS16_E_NS1_11comp_targetILNS1_3genE2ELNS1_11target_archE906ELNS1_3gpuE6ELNS1_3repE0EEENS1_30default_config_static_selectorELNS0_4arch9wavefront6targetE0EEEvT1_,"axG",@progbits,_ZN7rocprim17ROCPRIM_400000_NS6detail17trampoline_kernelINS0_14default_configENS1_25partition_config_selectorILNS1_17partition_subalgoE5EjNS0_10empty_typeEbEEZZNS1_14partition_implILS5_5ELb0ES3_mN6thrust23THRUST_200600_302600_NS6detail15normal_iteratorINSA_10device_ptrIjEEEEPS6_NSA_18transform_iteratorINSB_9not_fun_tINSA_8identityIjEEEESF_NSA_11use_defaultESM_EENS0_5tupleIJSF_S6_EEENSO_IJSG_SG_EEES6_PlJS6_EEE10hipError_tPvRmT3_T4_T5_T6_T7_T9_mT8_P12ihipStream_tbDpT10_ENKUlT_T0_E_clISt17integral_constantIbLb0EES1B_EEDaS16_S17_EUlS16_E_NS1_11comp_targetILNS1_3genE2ELNS1_11target_archE906ELNS1_3gpuE6ELNS1_3repE0EEENS1_30default_config_static_selectorELNS0_4arch9wavefront6targetE0EEEvT1_,comdat
.Lfunc_end889:
	.size	_ZN7rocprim17ROCPRIM_400000_NS6detail17trampoline_kernelINS0_14default_configENS1_25partition_config_selectorILNS1_17partition_subalgoE5EjNS0_10empty_typeEbEEZZNS1_14partition_implILS5_5ELb0ES3_mN6thrust23THRUST_200600_302600_NS6detail15normal_iteratorINSA_10device_ptrIjEEEEPS6_NSA_18transform_iteratorINSB_9not_fun_tINSA_8identityIjEEEESF_NSA_11use_defaultESM_EENS0_5tupleIJSF_S6_EEENSO_IJSG_SG_EEES6_PlJS6_EEE10hipError_tPvRmT3_T4_T5_T6_T7_T9_mT8_P12ihipStream_tbDpT10_ENKUlT_T0_E_clISt17integral_constantIbLb0EES1B_EEDaS16_S17_EUlS16_E_NS1_11comp_targetILNS1_3genE2ELNS1_11target_archE906ELNS1_3gpuE6ELNS1_3repE0EEENS1_30default_config_static_selectorELNS0_4arch9wavefront6targetE0EEEvT1_, .Lfunc_end889-_ZN7rocprim17ROCPRIM_400000_NS6detail17trampoline_kernelINS0_14default_configENS1_25partition_config_selectorILNS1_17partition_subalgoE5EjNS0_10empty_typeEbEEZZNS1_14partition_implILS5_5ELb0ES3_mN6thrust23THRUST_200600_302600_NS6detail15normal_iteratorINSA_10device_ptrIjEEEEPS6_NSA_18transform_iteratorINSB_9not_fun_tINSA_8identityIjEEEESF_NSA_11use_defaultESM_EENS0_5tupleIJSF_S6_EEENSO_IJSG_SG_EEES6_PlJS6_EEE10hipError_tPvRmT3_T4_T5_T6_T7_T9_mT8_P12ihipStream_tbDpT10_ENKUlT_T0_E_clISt17integral_constantIbLb0EES1B_EEDaS16_S17_EUlS16_E_NS1_11comp_targetILNS1_3genE2ELNS1_11target_archE906ELNS1_3gpuE6ELNS1_3repE0EEENS1_30default_config_static_selectorELNS0_4arch9wavefront6targetE0EEEvT1_
                                        ; -- End function
	.set _ZN7rocprim17ROCPRIM_400000_NS6detail17trampoline_kernelINS0_14default_configENS1_25partition_config_selectorILNS1_17partition_subalgoE5EjNS0_10empty_typeEbEEZZNS1_14partition_implILS5_5ELb0ES3_mN6thrust23THRUST_200600_302600_NS6detail15normal_iteratorINSA_10device_ptrIjEEEEPS6_NSA_18transform_iteratorINSB_9not_fun_tINSA_8identityIjEEEESF_NSA_11use_defaultESM_EENS0_5tupleIJSF_S6_EEENSO_IJSG_SG_EEES6_PlJS6_EEE10hipError_tPvRmT3_T4_T5_T6_T7_T9_mT8_P12ihipStream_tbDpT10_ENKUlT_T0_E_clISt17integral_constantIbLb0EES1B_EEDaS16_S17_EUlS16_E_NS1_11comp_targetILNS1_3genE2ELNS1_11target_archE906ELNS1_3gpuE6ELNS1_3repE0EEENS1_30default_config_static_selectorELNS0_4arch9wavefront6targetE0EEEvT1_.num_vgpr, 0
	.set _ZN7rocprim17ROCPRIM_400000_NS6detail17trampoline_kernelINS0_14default_configENS1_25partition_config_selectorILNS1_17partition_subalgoE5EjNS0_10empty_typeEbEEZZNS1_14partition_implILS5_5ELb0ES3_mN6thrust23THRUST_200600_302600_NS6detail15normal_iteratorINSA_10device_ptrIjEEEEPS6_NSA_18transform_iteratorINSB_9not_fun_tINSA_8identityIjEEEESF_NSA_11use_defaultESM_EENS0_5tupleIJSF_S6_EEENSO_IJSG_SG_EEES6_PlJS6_EEE10hipError_tPvRmT3_T4_T5_T6_T7_T9_mT8_P12ihipStream_tbDpT10_ENKUlT_T0_E_clISt17integral_constantIbLb0EES1B_EEDaS16_S17_EUlS16_E_NS1_11comp_targetILNS1_3genE2ELNS1_11target_archE906ELNS1_3gpuE6ELNS1_3repE0EEENS1_30default_config_static_selectorELNS0_4arch9wavefront6targetE0EEEvT1_.num_agpr, 0
	.set _ZN7rocprim17ROCPRIM_400000_NS6detail17trampoline_kernelINS0_14default_configENS1_25partition_config_selectorILNS1_17partition_subalgoE5EjNS0_10empty_typeEbEEZZNS1_14partition_implILS5_5ELb0ES3_mN6thrust23THRUST_200600_302600_NS6detail15normal_iteratorINSA_10device_ptrIjEEEEPS6_NSA_18transform_iteratorINSB_9not_fun_tINSA_8identityIjEEEESF_NSA_11use_defaultESM_EENS0_5tupleIJSF_S6_EEENSO_IJSG_SG_EEES6_PlJS6_EEE10hipError_tPvRmT3_T4_T5_T6_T7_T9_mT8_P12ihipStream_tbDpT10_ENKUlT_T0_E_clISt17integral_constantIbLb0EES1B_EEDaS16_S17_EUlS16_E_NS1_11comp_targetILNS1_3genE2ELNS1_11target_archE906ELNS1_3gpuE6ELNS1_3repE0EEENS1_30default_config_static_selectorELNS0_4arch9wavefront6targetE0EEEvT1_.numbered_sgpr, 0
	.set _ZN7rocprim17ROCPRIM_400000_NS6detail17trampoline_kernelINS0_14default_configENS1_25partition_config_selectorILNS1_17partition_subalgoE5EjNS0_10empty_typeEbEEZZNS1_14partition_implILS5_5ELb0ES3_mN6thrust23THRUST_200600_302600_NS6detail15normal_iteratorINSA_10device_ptrIjEEEEPS6_NSA_18transform_iteratorINSB_9not_fun_tINSA_8identityIjEEEESF_NSA_11use_defaultESM_EENS0_5tupleIJSF_S6_EEENSO_IJSG_SG_EEES6_PlJS6_EEE10hipError_tPvRmT3_T4_T5_T6_T7_T9_mT8_P12ihipStream_tbDpT10_ENKUlT_T0_E_clISt17integral_constantIbLb0EES1B_EEDaS16_S17_EUlS16_E_NS1_11comp_targetILNS1_3genE2ELNS1_11target_archE906ELNS1_3gpuE6ELNS1_3repE0EEENS1_30default_config_static_selectorELNS0_4arch9wavefront6targetE0EEEvT1_.num_named_barrier, 0
	.set _ZN7rocprim17ROCPRIM_400000_NS6detail17trampoline_kernelINS0_14default_configENS1_25partition_config_selectorILNS1_17partition_subalgoE5EjNS0_10empty_typeEbEEZZNS1_14partition_implILS5_5ELb0ES3_mN6thrust23THRUST_200600_302600_NS6detail15normal_iteratorINSA_10device_ptrIjEEEEPS6_NSA_18transform_iteratorINSB_9not_fun_tINSA_8identityIjEEEESF_NSA_11use_defaultESM_EENS0_5tupleIJSF_S6_EEENSO_IJSG_SG_EEES6_PlJS6_EEE10hipError_tPvRmT3_T4_T5_T6_T7_T9_mT8_P12ihipStream_tbDpT10_ENKUlT_T0_E_clISt17integral_constantIbLb0EES1B_EEDaS16_S17_EUlS16_E_NS1_11comp_targetILNS1_3genE2ELNS1_11target_archE906ELNS1_3gpuE6ELNS1_3repE0EEENS1_30default_config_static_selectorELNS0_4arch9wavefront6targetE0EEEvT1_.private_seg_size, 0
	.set _ZN7rocprim17ROCPRIM_400000_NS6detail17trampoline_kernelINS0_14default_configENS1_25partition_config_selectorILNS1_17partition_subalgoE5EjNS0_10empty_typeEbEEZZNS1_14partition_implILS5_5ELb0ES3_mN6thrust23THRUST_200600_302600_NS6detail15normal_iteratorINSA_10device_ptrIjEEEEPS6_NSA_18transform_iteratorINSB_9not_fun_tINSA_8identityIjEEEESF_NSA_11use_defaultESM_EENS0_5tupleIJSF_S6_EEENSO_IJSG_SG_EEES6_PlJS6_EEE10hipError_tPvRmT3_T4_T5_T6_T7_T9_mT8_P12ihipStream_tbDpT10_ENKUlT_T0_E_clISt17integral_constantIbLb0EES1B_EEDaS16_S17_EUlS16_E_NS1_11comp_targetILNS1_3genE2ELNS1_11target_archE906ELNS1_3gpuE6ELNS1_3repE0EEENS1_30default_config_static_selectorELNS0_4arch9wavefront6targetE0EEEvT1_.uses_vcc, 0
	.set _ZN7rocprim17ROCPRIM_400000_NS6detail17trampoline_kernelINS0_14default_configENS1_25partition_config_selectorILNS1_17partition_subalgoE5EjNS0_10empty_typeEbEEZZNS1_14partition_implILS5_5ELb0ES3_mN6thrust23THRUST_200600_302600_NS6detail15normal_iteratorINSA_10device_ptrIjEEEEPS6_NSA_18transform_iteratorINSB_9not_fun_tINSA_8identityIjEEEESF_NSA_11use_defaultESM_EENS0_5tupleIJSF_S6_EEENSO_IJSG_SG_EEES6_PlJS6_EEE10hipError_tPvRmT3_T4_T5_T6_T7_T9_mT8_P12ihipStream_tbDpT10_ENKUlT_T0_E_clISt17integral_constantIbLb0EES1B_EEDaS16_S17_EUlS16_E_NS1_11comp_targetILNS1_3genE2ELNS1_11target_archE906ELNS1_3gpuE6ELNS1_3repE0EEENS1_30default_config_static_selectorELNS0_4arch9wavefront6targetE0EEEvT1_.uses_flat_scratch, 0
	.set _ZN7rocprim17ROCPRIM_400000_NS6detail17trampoline_kernelINS0_14default_configENS1_25partition_config_selectorILNS1_17partition_subalgoE5EjNS0_10empty_typeEbEEZZNS1_14partition_implILS5_5ELb0ES3_mN6thrust23THRUST_200600_302600_NS6detail15normal_iteratorINSA_10device_ptrIjEEEEPS6_NSA_18transform_iteratorINSB_9not_fun_tINSA_8identityIjEEEESF_NSA_11use_defaultESM_EENS0_5tupleIJSF_S6_EEENSO_IJSG_SG_EEES6_PlJS6_EEE10hipError_tPvRmT3_T4_T5_T6_T7_T9_mT8_P12ihipStream_tbDpT10_ENKUlT_T0_E_clISt17integral_constantIbLb0EES1B_EEDaS16_S17_EUlS16_E_NS1_11comp_targetILNS1_3genE2ELNS1_11target_archE906ELNS1_3gpuE6ELNS1_3repE0EEENS1_30default_config_static_selectorELNS0_4arch9wavefront6targetE0EEEvT1_.has_dyn_sized_stack, 0
	.set _ZN7rocprim17ROCPRIM_400000_NS6detail17trampoline_kernelINS0_14default_configENS1_25partition_config_selectorILNS1_17partition_subalgoE5EjNS0_10empty_typeEbEEZZNS1_14partition_implILS5_5ELb0ES3_mN6thrust23THRUST_200600_302600_NS6detail15normal_iteratorINSA_10device_ptrIjEEEEPS6_NSA_18transform_iteratorINSB_9not_fun_tINSA_8identityIjEEEESF_NSA_11use_defaultESM_EENS0_5tupleIJSF_S6_EEENSO_IJSG_SG_EEES6_PlJS6_EEE10hipError_tPvRmT3_T4_T5_T6_T7_T9_mT8_P12ihipStream_tbDpT10_ENKUlT_T0_E_clISt17integral_constantIbLb0EES1B_EEDaS16_S17_EUlS16_E_NS1_11comp_targetILNS1_3genE2ELNS1_11target_archE906ELNS1_3gpuE6ELNS1_3repE0EEENS1_30default_config_static_selectorELNS0_4arch9wavefront6targetE0EEEvT1_.has_recursion, 0
	.set _ZN7rocprim17ROCPRIM_400000_NS6detail17trampoline_kernelINS0_14default_configENS1_25partition_config_selectorILNS1_17partition_subalgoE5EjNS0_10empty_typeEbEEZZNS1_14partition_implILS5_5ELb0ES3_mN6thrust23THRUST_200600_302600_NS6detail15normal_iteratorINSA_10device_ptrIjEEEEPS6_NSA_18transform_iteratorINSB_9not_fun_tINSA_8identityIjEEEESF_NSA_11use_defaultESM_EENS0_5tupleIJSF_S6_EEENSO_IJSG_SG_EEES6_PlJS6_EEE10hipError_tPvRmT3_T4_T5_T6_T7_T9_mT8_P12ihipStream_tbDpT10_ENKUlT_T0_E_clISt17integral_constantIbLb0EES1B_EEDaS16_S17_EUlS16_E_NS1_11comp_targetILNS1_3genE2ELNS1_11target_archE906ELNS1_3gpuE6ELNS1_3repE0EEENS1_30default_config_static_selectorELNS0_4arch9wavefront6targetE0EEEvT1_.has_indirect_call, 0
	.section	.AMDGPU.csdata,"",@progbits
; Kernel info:
; codeLenInByte = 0
; TotalNumSgprs: 0
; NumVgprs: 0
; ScratchSize: 0
; MemoryBound: 0
; FloatMode: 240
; IeeeMode: 1
; LDSByteSize: 0 bytes/workgroup (compile time only)
; SGPRBlocks: 0
; VGPRBlocks: 0
; NumSGPRsForWavesPerEU: 1
; NumVGPRsForWavesPerEU: 1
; Occupancy: 16
; WaveLimiterHint : 0
; COMPUTE_PGM_RSRC2:SCRATCH_EN: 0
; COMPUTE_PGM_RSRC2:USER_SGPR: 2
; COMPUTE_PGM_RSRC2:TRAP_HANDLER: 0
; COMPUTE_PGM_RSRC2:TGID_X_EN: 1
; COMPUTE_PGM_RSRC2:TGID_Y_EN: 0
; COMPUTE_PGM_RSRC2:TGID_Z_EN: 0
; COMPUTE_PGM_RSRC2:TIDIG_COMP_CNT: 0
	.section	.text._ZN7rocprim17ROCPRIM_400000_NS6detail17trampoline_kernelINS0_14default_configENS1_25partition_config_selectorILNS1_17partition_subalgoE5EjNS0_10empty_typeEbEEZZNS1_14partition_implILS5_5ELb0ES3_mN6thrust23THRUST_200600_302600_NS6detail15normal_iteratorINSA_10device_ptrIjEEEEPS6_NSA_18transform_iteratorINSB_9not_fun_tINSA_8identityIjEEEESF_NSA_11use_defaultESM_EENS0_5tupleIJSF_S6_EEENSO_IJSG_SG_EEES6_PlJS6_EEE10hipError_tPvRmT3_T4_T5_T6_T7_T9_mT8_P12ihipStream_tbDpT10_ENKUlT_T0_E_clISt17integral_constantIbLb0EES1B_EEDaS16_S17_EUlS16_E_NS1_11comp_targetILNS1_3genE10ELNS1_11target_archE1200ELNS1_3gpuE4ELNS1_3repE0EEENS1_30default_config_static_selectorELNS0_4arch9wavefront6targetE0EEEvT1_,"axG",@progbits,_ZN7rocprim17ROCPRIM_400000_NS6detail17trampoline_kernelINS0_14default_configENS1_25partition_config_selectorILNS1_17partition_subalgoE5EjNS0_10empty_typeEbEEZZNS1_14partition_implILS5_5ELb0ES3_mN6thrust23THRUST_200600_302600_NS6detail15normal_iteratorINSA_10device_ptrIjEEEEPS6_NSA_18transform_iteratorINSB_9not_fun_tINSA_8identityIjEEEESF_NSA_11use_defaultESM_EENS0_5tupleIJSF_S6_EEENSO_IJSG_SG_EEES6_PlJS6_EEE10hipError_tPvRmT3_T4_T5_T6_T7_T9_mT8_P12ihipStream_tbDpT10_ENKUlT_T0_E_clISt17integral_constantIbLb0EES1B_EEDaS16_S17_EUlS16_E_NS1_11comp_targetILNS1_3genE10ELNS1_11target_archE1200ELNS1_3gpuE4ELNS1_3repE0EEENS1_30default_config_static_selectorELNS0_4arch9wavefront6targetE0EEEvT1_,comdat
	.protected	_ZN7rocprim17ROCPRIM_400000_NS6detail17trampoline_kernelINS0_14default_configENS1_25partition_config_selectorILNS1_17partition_subalgoE5EjNS0_10empty_typeEbEEZZNS1_14partition_implILS5_5ELb0ES3_mN6thrust23THRUST_200600_302600_NS6detail15normal_iteratorINSA_10device_ptrIjEEEEPS6_NSA_18transform_iteratorINSB_9not_fun_tINSA_8identityIjEEEESF_NSA_11use_defaultESM_EENS0_5tupleIJSF_S6_EEENSO_IJSG_SG_EEES6_PlJS6_EEE10hipError_tPvRmT3_T4_T5_T6_T7_T9_mT8_P12ihipStream_tbDpT10_ENKUlT_T0_E_clISt17integral_constantIbLb0EES1B_EEDaS16_S17_EUlS16_E_NS1_11comp_targetILNS1_3genE10ELNS1_11target_archE1200ELNS1_3gpuE4ELNS1_3repE0EEENS1_30default_config_static_selectorELNS0_4arch9wavefront6targetE0EEEvT1_ ; -- Begin function _ZN7rocprim17ROCPRIM_400000_NS6detail17trampoline_kernelINS0_14default_configENS1_25partition_config_selectorILNS1_17partition_subalgoE5EjNS0_10empty_typeEbEEZZNS1_14partition_implILS5_5ELb0ES3_mN6thrust23THRUST_200600_302600_NS6detail15normal_iteratorINSA_10device_ptrIjEEEEPS6_NSA_18transform_iteratorINSB_9not_fun_tINSA_8identityIjEEEESF_NSA_11use_defaultESM_EENS0_5tupleIJSF_S6_EEENSO_IJSG_SG_EEES6_PlJS6_EEE10hipError_tPvRmT3_T4_T5_T6_T7_T9_mT8_P12ihipStream_tbDpT10_ENKUlT_T0_E_clISt17integral_constantIbLb0EES1B_EEDaS16_S17_EUlS16_E_NS1_11comp_targetILNS1_3genE10ELNS1_11target_archE1200ELNS1_3gpuE4ELNS1_3repE0EEENS1_30default_config_static_selectorELNS0_4arch9wavefront6targetE0EEEvT1_
	.globl	_ZN7rocprim17ROCPRIM_400000_NS6detail17trampoline_kernelINS0_14default_configENS1_25partition_config_selectorILNS1_17partition_subalgoE5EjNS0_10empty_typeEbEEZZNS1_14partition_implILS5_5ELb0ES3_mN6thrust23THRUST_200600_302600_NS6detail15normal_iteratorINSA_10device_ptrIjEEEEPS6_NSA_18transform_iteratorINSB_9not_fun_tINSA_8identityIjEEEESF_NSA_11use_defaultESM_EENS0_5tupleIJSF_S6_EEENSO_IJSG_SG_EEES6_PlJS6_EEE10hipError_tPvRmT3_T4_T5_T6_T7_T9_mT8_P12ihipStream_tbDpT10_ENKUlT_T0_E_clISt17integral_constantIbLb0EES1B_EEDaS16_S17_EUlS16_E_NS1_11comp_targetILNS1_3genE10ELNS1_11target_archE1200ELNS1_3gpuE4ELNS1_3repE0EEENS1_30default_config_static_selectorELNS0_4arch9wavefront6targetE0EEEvT1_
	.p2align	8
	.type	_ZN7rocprim17ROCPRIM_400000_NS6detail17trampoline_kernelINS0_14default_configENS1_25partition_config_selectorILNS1_17partition_subalgoE5EjNS0_10empty_typeEbEEZZNS1_14partition_implILS5_5ELb0ES3_mN6thrust23THRUST_200600_302600_NS6detail15normal_iteratorINSA_10device_ptrIjEEEEPS6_NSA_18transform_iteratorINSB_9not_fun_tINSA_8identityIjEEEESF_NSA_11use_defaultESM_EENS0_5tupleIJSF_S6_EEENSO_IJSG_SG_EEES6_PlJS6_EEE10hipError_tPvRmT3_T4_T5_T6_T7_T9_mT8_P12ihipStream_tbDpT10_ENKUlT_T0_E_clISt17integral_constantIbLb0EES1B_EEDaS16_S17_EUlS16_E_NS1_11comp_targetILNS1_3genE10ELNS1_11target_archE1200ELNS1_3gpuE4ELNS1_3repE0EEENS1_30default_config_static_selectorELNS0_4arch9wavefront6targetE0EEEvT1_,@function
_ZN7rocprim17ROCPRIM_400000_NS6detail17trampoline_kernelINS0_14default_configENS1_25partition_config_selectorILNS1_17partition_subalgoE5EjNS0_10empty_typeEbEEZZNS1_14partition_implILS5_5ELb0ES3_mN6thrust23THRUST_200600_302600_NS6detail15normal_iteratorINSA_10device_ptrIjEEEEPS6_NSA_18transform_iteratorINSB_9not_fun_tINSA_8identityIjEEEESF_NSA_11use_defaultESM_EENS0_5tupleIJSF_S6_EEENSO_IJSG_SG_EEES6_PlJS6_EEE10hipError_tPvRmT3_T4_T5_T6_T7_T9_mT8_P12ihipStream_tbDpT10_ENKUlT_T0_E_clISt17integral_constantIbLb0EES1B_EEDaS16_S17_EUlS16_E_NS1_11comp_targetILNS1_3genE10ELNS1_11target_archE1200ELNS1_3gpuE4ELNS1_3repE0EEENS1_30default_config_static_selectorELNS0_4arch9wavefront6targetE0EEEvT1_: ; @_ZN7rocprim17ROCPRIM_400000_NS6detail17trampoline_kernelINS0_14default_configENS1_25partition_config_selectorILNS1_17partition_subalgoE5EjNS0_10empty_typeEbEEZZNS1_14partition_implILS5_5ELb0ES3_mN6thrust23THRUST_200600_302600_NS6detail15normal_iteratorINSA_10device_ptrIjEEEEPS6_NSA_18transform_iteratorINSB_9not_fun_tINSA_8identityIjEEEESF_NSA_11use_defaultESM_EENS0_5tupleIJSF_S6_EEENSO_IJSG_SG_EEES6_PlJS6_EEE10hipError_tPvRmT3_T4_T5_T6_T7_T9_mT8_P12ihipStream_tbDpT10_ENKUlT_T0_E_clISt17integral_constantIbLb0EES1B_EEDaS16_S17_EUlS16_E_NS1_11comp_targetILNS1_3genE10ELNS1_11target_archE1200ELNS1_3gpuE4ELNS1_3repE0EEENS1_30default_config_static_selectorELNS0_4arch9wavefront6targetE0EEEvT1_
; %bb.0:
	s_clause 0x3
	s_load_b128 s[4:7], s[0:1], 0x8
	s_load_b128 s[8:11], s[0:1], 0x48
	s_load_b32 s2, s[0:1], 0x70
	s_load_b64 s[14:15], s[0:1], 0x58
	s_mov_b32 s17, 0
	s_mul_i32 s20, ttmp9, 0x600
	s_mov_b32 s21, s17
	v_lshlrev_b32_e32 v23, 2, v0
	v_lshrrev_b32_e32 v9, 3, v0
	v_add_nc_u32_e32 v22, 0x180, v0
	v_add_nc_u32_e32 v21, 0x240, v0
	v_or_b32_e32 v18, 0x300, v0
	v_add_nc_u32_e32 v20, 0x3c0, v0
	v_add_nc_u32_e32 v17, 0x480, v0
	;; [unrolled: 1-line block ×3, first 2 shown]
	s_mov_b32 s3, -1
	s_wait_kmcnt 0x0
	s_lshl_b64 s[12:13], s[6:7], 2
	s_load_b64 s[10:11], s[10:11], 0x0
	s_mul_i32 s16, s2, 0x600
	s_add_co_i32 s2, s2, -1
	s_add_co_i32 s18, s16, s6
	s_add_nc_u64 s[6:7], s[6:7], s[16:17]
	s_sub_co_i32 s18, s14, s18
	v_cmp_le_u64_e64 s6, s[14:15], s[6:7]
	s_addk_co_i32 s18, 0x600
	s_cmp_eq_u32 ttmp9, s2
	s_cselect_b32 s16, -1, 0
	s_delay_alu instid0(SALU_CYCLE_1)
	s_and_b32 s2, s16, s6
	s_add_nc_u64 s[6:7], s[4:5], s[12:13]
	s_xor_b32 s17, s2, -1
	s_lshl_b64 s[4:5], s[20:21], 2
	s_and_b32 vcc_lo, exec_lo, s17
	s_wait_alu 0xfffe
	s_add_nc_u64 s[6:7], s[6:7], s[4:5]
	s_cbranch_vccz .LBB890_2
; %bb.1:
	s_wait_alu 0xfffe
	v_add_co_u32 v1, s2, s6, v23
	s_delay_alu instid0(VALU_DEP_1)
	v_add_co_ci_u32_e64 v2, null, s7, 0, s2
	v_add_nc_u32_e32 v11, 0xc0, v0
	v_lshrrev_b32_e32 v12, 3, v22
	v_lshrrev_b32_e32 v13, 3, v21
	s_clause 0x7
	flat_load_b32 v3, v[1:2]
	flat_load_b32 v4, v[1:2] offset:768
	flat_load_b32 v5, v[1:2] offset:1536
	;; [unrolled: 1-line block ×7, first 2 shown]
	v_lshrrev_b32_e32 v14, 3, v18
	v_lshrrev_b32_e32 v11, 3, v11
	v_and_b32_e32 v2, 28, v9
	v_lshrrev_b32_e32 v15, 3, v20
	v_lshrrev_b32_e32 v16, 3, v17
	;; [unrolled: 1-line block ×3, first 2 shown]
	v_and_b32_e32 v11, 60, v11
	v_and_b32_e32 v12, 0x7c, v12
	;; [unrolled: 1-line block ×4, first 2 shown]
	v_add_nc_u32_e32 v2, v2, v23
	v_and_b32_e32 v15, 0xfc, v15
	v_and_b32_e32 v16, 0xbc, v16
	;; [unrolled: 1-line block ×3, first 2 shown]
	v_add_nc_u32_e32 v11, v11, v23
	v_add_nc_u32_e32 v12, v12, v23
	;; [unrolled: 1-line block ×4, first 2 shown]
	s_mov_b32 s3, 0
	v_add_nc_u32_e32 v15, v15, v23
	v_add_nc_u32_e32 v16, v16, v23
	;; [unrolled: 1-line block ×3, first 2 shown]
	s_wait_loadcnt_dscnt 0x707
	ds_store_b32 v2, v3
	s_wait_loadcnt_dscnt 0x607
	ds_store_b32 v11, v4 offset:768
	s_wait_loadcnt_dscnt 0x507
	ds_store_b32 v12, v5 offset:1536
	;; [unrolled: 2-line block ×7, first 2 shown]
	s_wait_dscnt 0x0
	s_barrier_signal -1
	s_barrier_wait -1
.LBB890_2:
	s_load_b64 s[14:15], s[0:1], 0x20
	v_cmp_gt_u32_e64 s2, s18, v0
	s_and_not1_b32 vcc_lo, exec_lo, s3
	s_cbranch_vccnz .LBB890_14
; %bb.3:
	v_mov_b32_e32 v1, 0
	s_delay_alu instid0(VALU_DEP_1)
	v_dual_mov_b32 v2, v1 :: v_dual_mov_b32 v3, v1
	v_dual_mov_b32 v4, v1 :: v_dual_mov_b32 v5, v1
	;; [unrolled: 1-line block ×3, first 2 shown]
	v_mov_b32_e32 v8, v1
	s_and_saveexec_b32 s3, s2
	s_cbranch_execz .LBB890_5
; %bb.4:
	v_add_co_u32 v2, s2, s6, v23
	s_wait_alu 0xf1ff
	v_add_co_ci_u32_e64 v3, null, s7, 0, s2
	v_dual_mov_b32 v25, v1 :: v_dual_mov_b32 v26, v1
	v_dual_mov_b32 v27, v1 :: v_dual_mov_b32 v28, v1
	flat_load_b32 v24, v[2:3]
	v_dual_mov_b32 v29, v1 :: v_dual_mov_b32 v30, v1
	v_mov_b32_e32 v31, v1
	s_wait_loadcnt_dscnt 0x0
	v_dual_mov_b32 v1, v24 :: v_dual_mov_b32 v2, v25
	v_dual_mov_b32 v3, v26 :: v_dual_mov_b32 v4, v27
	;; [unrolled: 1-line block ×4, first 2 shown]
.LBB890_5:
	s_wait_alu 0xfffe
	s_or_b32 exec_lo, exec_lo, s3
	v_add_nc_u32_e32 v10, 0xc0, v0
	s_mov_b32 s2, exec_lo
	s_delay_alu instid0(VALU_DEP_1)
	v_cmpx_gt_u32_e64 s18, v10
	s_cbranch_execnz .LBB890_158
; %bb.6:
	s_wait_alu 0xfffe
	s_or_b32 exec_lo, exec_lo, s2
	s_delay_alu instid0(SALU_CYCLE_1)
	s_mov_b32 s2, exec_lo
	v_cmpx_gt_u32_e64 s18, v22
	s_cbranch_execnz .LBB890_159
.LBB890_7:
	s_wait_alu 0xfffe
	s_or_b32 exec_lo, exec_lo, s2
	s_delay_alu instid0(SALU_CYCLE_1)
	s_mov_b32 s2, exec_lo
	v_cmpx_gt_u32_e64 s18, v21
	s_cbranch_execnz .LBB890_160
.LBB890_8:
	s_wait_alu 0xfffe
	s_or_b32 exec_lo, exec_lo, s2
	s_delay_alu instid0(SALU_CYCLE_1)
	s_mov_b32 s2, exec_lo
	v_cmpx_gt_u32_e64 s18, v18
	s_cbranch_execnz .LBB890_161
.LBB890_9:
	s_wait_alu 0xfffe
	s_or_b32 exec_lo, exec_lo, s2
	s_delay_alu instid0(SALU_CYCLE_1)
	s_mov_b32 s2, exec_lo
	v_cmpx_gt_u32_e64 s18, v20
	s_cbranch_execnz .LBB890_162
.LBB890_10:
	s_wait_alu 0xfffe
	s_or_b32 exec_lo, exec_lo, s2
	s_delay_alu instid0(SALU_CYCLE_1)
	s_mov_b32 s2, exec_lo
	v_cmpx_gt_u32_e64 s18, v17
	s_cbranch_execnz .LBB890_163
.LBB890_11:
	s_wait_alu 0xfffe
	s_or_b32 exec_lo, exec_lo, s2
	s_delay_alu instid0(SALU_CYCLE_1)
	s_mov_b32 s2, exec_lo
	v_cmpx_gt_u32_e64 s18, v19
	s_cbranch_execz .LBB890_13
.LBB890_12:
	v_add_co_u32 v11, s3, s6, v23
	s_wait_alu 0xf1ff
	v_add_co_ci_u32_e64 v12, null, s7, 0, s3
	flat_load_b32 v8, v[11:12] offset:5376
.LBB890_13:
	s_wait_alu 0xfffe
	s_or_b32 exec_lo, exec_lo, s2
	v_lshrrev_b32_e32 v10, 3, v10
	v_lshrrev_b32_e32 v11, 3, v22
	;; [unrolled: 1-line block ×4, first 2 shown]
	v_and_b32_e32 v9, 28, v9
	v_lshrrev_b32_e32 v14, 3, v20
	v_lshrrev_b32_e32 v15, 3, v17
	;; [unrolled: 1-line block ×3, first 2 shown]
	v_and_b32_e32 v10, 60, v10
	v_and_b32_e32 v11, 0x7c, v11
	;; [unrolled: 1-line block ×4, first 2 shown]
	v_add_nc_u32_e32 v9, v9, v23
	v_and_b32_e32 v14, 0xfc, v14
	v_and_b32_e32 v15, 0xfc, v15
	;; [unrolled: 1-line block ×3, first 2 shown]
	v_add_nc_u32_e32 v10, v10, v23
	v_add_nc_u32_e32 v11, v11, v23
	;; [unrolled: 1-line block ×7, first 2 shown]
	ds_store_b32 v9, v1
	s_wait_loadcnt_dscnt 0x1
	ds_store_b32 v10, v2 offset:768
	ds_store_b32 v11, v3 offset:1536
	ds_store_b32 v12, v4 offset:2304
	ds_store_b32 v13, v5 offset:3072
	ds_store_b32 v14, v6 offset:3840
	ds_store_b32 v15, v7 offset:4608
	ds_store_b32 v16, v8 offset:5376
	s_wait_dscnt 0x0
	s_barrier_signal -1
	s_barrier_wait -1
.LBB890_14:
	v_and_b32_e32 v1, 0xfc, v0
	global_inv scope:SCOPE_SE
	v_lshrrev_b32_e32 v35, 5, v0
	s_wait_kmcnt 0x0
	s_add_nc_u64 s[2:3], s[14:15], s[12:13]
	s_and_b32 vcc_lo, exec_lo, s17
	v_lshl_add_u32 v1, v0, 5, v1
	s_wait_alu 0xfffe
	s_add_nc_u64 s[2:3], s[2:3], s[4:5]
	s_mov_b32 s4, -1
	ds_load_2addr_b32 v[15:16], v1 offset1:1
	ds_load_2addr_b32 v[13:14], v1 offset0:2 offset1:3
	ds_load_2addr_b32 v[11:12], v1 offset0:4 offset1:5
	;; [unrolled: 1-line block ×3, first 2 shown]
	s_wait_loadcnt_dscnt 0x0
	s_barrier_signal -1
	s_barrier_wait -1
	global_inv scope:SCOPE_SE
	s_cbranch_vccz .LBB890_16
; %bb.15:
	s_clause 0x7
	global_load_b32 v1, v23, s[2:3]
	global_load_b32 v2, v23, s[2:3] offset:768
	global_load_b32 v3, v23, s[2:3] offset:1536
	global_load_b32 v4, v23, s[2:3] offset:2304
	global_load_b32 v5, v23, s[2:3] offset:3072
	global_load_b32 v6, v23, s[2:3] offset:3840
	global_load_b32 v7, v23, s[2:3] offset:4608
	global_load_b32 v8, v23, s[2:3] offset:5376
	v_add_nc_u32_e32 v25, 0xc0, v0
	v_lshrrev_b32_e32 v26, 5, v22
	v_lshrrev_b32_e32 v27, 5, v21
	;; [unrolled: 1-line block ×3, first 2 shown]
	v_and_b32_e32 v24, 4, v35
	v_lshrrev_b32_e32 v25, 5, v25
	v_lshrrev_b32_e32 v29, 5, v20
	;; [unrolled: 1-line block ×4, first 2 shown]
	v_and_b32_e32 v26, 28, v26
	v_and_b32_e32 v25, 12, v25
	;; [unrolled: 1-line block ×4, first 2 shown]
	v_add_nc_u32_e32 v24, v24, v0
	v_and_b32_e32 v29, 60, v29
	v_and_b32_e32 v30, 44, v30
	;; [unrolled: 1-line block ×3, first 2 shown]
	v_add_nc_u32_e32 v25, v25, v0
	v_add_nc_u32_e32 v26, v26, v0
	;; [unrolled: 1-line block ×4, first 2 shown]
	s_mov_b32 s4, 0
	v_add_nc_u32_e32 v29, v29, v0
	v_add_nc_u32_e32 v30, v30, v0
	;; [unrolled: 1-line block ×3, first 2 shown]
	s_wait_loadcnt 0x7
	v_cmp_eq_u32_e32 vcc_lo, 0, v1
	v_cndmask_b32_e64 v1, 0, 1, vcc_lo
	s_wait_loadcnt 0x6
	v_cmp_eq_u32_e32 vcc_lo, 0, v2
	s_wait_alu 0xfffd
	v_cndmask_b32_e64 v2, 0, 1, vcc_lo
	s_wait_loadcnt 0x5
	v_cmp_eq_u32_e32 vcc_lo, 0, v3
	s_wait_alu 0xfffd
	v_cndmask_b32_e64 v3, 0, 1, vcc_lo
	s_wait_loadcnt 0x4
	v_cmp_eq_u32_e32 vcc_lo, 0, v4
	s_wait_alu 0xfffd
	v_cndmask_b32_e64 v4, 0, 1, vcc_lo
	s_wait_loadcnt 0x3
	v_cmp_eq_u32_e32 vcc_lo, 0, v5
	s_wait_alu 0xfffd
	v_cndmask_b32_e64 v5, 0, 1, vcc_lo
	s_wait_loadcnt 0x2
	v_cmp_eq_u32_e32 vcc_lo, 0, v6
	s_wait_alu 0xfffd
	v_cndmask_b32_e64 v6, 0, 1, vcc_lo
	s_wait_loadcnt 0x1
	v_cmp_eq_u32_e32 vcc_lo, 0, v7
	s_wait_alu 0xfffd
	v_cndmask_b32_e64 v7, 0, 1, vcc_lo
	s_wait_loadcnt 0x0
	v_cmp_eq_u32_e32 vcc_lo, 0, v8
	s_wait_alu 0xfffd
	v_cndmask_b32_e64 v8, 0, 1, vcc_lo
	ds_store_b8 v24, v1
	ds_store_b8 v25, v2 offset:192
	ds_store_b8 v26, v3 offset:384
	;; [unrolled: 1-line block ×7, first 2 shown]
	s_wait_dscnt 0x0
	s_barrier_signal -1
	s_barrier_wait -1
.LBB890_16:
	v_lshlrev_b32_e32 v38, 3, v0
	v_lshrrev_b32_e32 v1, 2, v0
	s_and_not1_b32 vcc_lo, exec_lo, s4
	s_wait_alu 0xfffe
	s_cbranch_vccnz .LBB890_28
; %bb.17:
	v_mov_b32_e32 v2, 0
	s_mov_b32 s5, 0
	s_mov_b32 s4, exec_lo
	s_delay_alu instid0(VALU_DEP_1)
	v_dual_mov_b32 v3, v2 :: v_dual_mov_b32 v4, v2
	v_cmpx_gt_u32_e64 s18, v0
	s_cbranch_execz .LBB890_19
; %bb.18:
	global_load_b32 v2, v23, s[2:3]
	s_wait_loadcnt 0x0
	v_cmp_eq_u32_e32 vcc_lo, 0, v2
	s_wait_alu 0xfffd
	v_cndmask_b32_e64 v2, 0, 1, vcc_lo
	s_delay_alu instid0(VALU_DEP_1)
	v_dual_mov_b32 v3, s5 :: v_dual_mov_b32 v4, v2
.LBB890_19:
	s_or_b32 exec_lo, exec_lo, s4
	v_add_nc_u32_e32 v5, 0xc0, v0
	s_mov_b32 s4, exec_lo
	s_delay_alu instid0(VALU_DEP_1)
	v_cmpx_gt_u32_e64 s18, v5
	s_cbranch_execnz .LBB890_164
; %bb.20:
	s_wait_alu 0xfffe
	s_or_b32 exec_lo, exec_lo, s4
	s_delay_alu instid0(SALU_CYCLE_1)
	s_mov_b32 s4, exec_lo
	v_cmpx_gt_u32_e64 s18, v22
	s_cbranch_execnz .LBB890_165
.LBB890_21:
	s_wait_alu 0xfffe
	s_or_b32 exec_lo, exec_lo, s4
	s_delay_alu instid0(SALU_CYCLE_1)
	s_mov_b32 s4, exec_lo
	v_cmpx_gt_u32_e64 s18, v21
	s_cbranch_execnz .LBB890_166
.LBB890_22:
	s_wait_alu 0xfffe
	s_or_b32 exec_lo, exec_lo, s4
	s_delay_alu instid0(SALU_CYCLE_1)
	s_mov_b32 s4, exec_lo
	v_cmpx_gt_u32_e64 s18, v18
	s_cbranch_execnz .LBB890_167
.LBB890_23:
	s_wait_alu 0xfffe
	s_or_b32 exec_lo, exec_lo, s4
	s_delay_alu instid0(SALU_CYCLE_1)
	s_mov_b32 s4, exec_lo
	v_cmpx_gt_u32_e64 s18, v20
	s_cbranch_execnz .LBB890_168
.LBB890_24:
	s_wait_alu 0xfffe
	s_or_b32 exec_lo, exec_lo, s4
	s_delay_alu instid0(SALU_CYCLE_1)
	s_mov_b32 s4, exec_lo
	v_cmpx_gt_u32_e64 s18, v17
	s_cbranch_execnz .LBB890_169
.LBB890_25:
	s_wait_alu 0xfffe
	s_or_b32 exec_lo, exec_lo, s4
	s_delay_alu instid0(SALU_CYCLE_1)
	s_mov_b32 s4, exec_lo
	v_cmpx_gt_u32_e64 s18, v19
	s_cbranch_execz .LBB890_27
.LBB890_26:
	global_load_b32 v6, v23, s[2:3] offset:5376
	v_lshrrev_b32_e32 v7, 16, v3
	s_delay_alu instid0(VALU_DEP_1) | instskip(SKIP_4) | instid1(VALU_DEP_1)
	v_and_b32_e32 v7, 0xff, v7
	s_wait_loadcnt 0x0
	v_cmp_eq_u32_e32 vcc_lo, 0, v6
	s_wait_alu 0xfffd
	v_cndmask_b32_e64 v6, 0, 1, vcc_lo
	v_lshlrev_b16 v6, 8, v6
	s_delay_alu instid0(VALU_DEP_1) | instskip(NEXT) | instid1(VALU_DEP_1)
	v_or_b32_e32 v6, v7, v6
	v_lshlrev_b32_e32 v6, 16, v6
	s_delay_alu instid0(VALU_DEP_1)
	v_and_or_b32 v3, 0xffff, v3, v6
.LBB890_27:
	s_wait_alu 0xfffe
	s_or_b32 exec_lo, exec_lo, s4
	v_lshrrev_b32_e32 v5, 5, v5
	v_lshrrev_b32_e32 v6, 5, v22
	;; [unrolled: 1-line block ×4, first 2 shown]
	v_and_b32_e32 v7, 4, v35
	v_lshrrev_b32_e32 v20, 5, v20
	v_lshrrev_b32_e32 v17, 5, v17
	;; [unrolled: 1-line block ×3, first 2 shown]
	v_and_b32_e32 v5, 12, v5
	v_and_b32_e32 v6, 28, v6
	;; [unrolled: 1-line block ×4, first 2 shown]
	v_add_nc_u32_e32 v7, v7, v0
	v_and_b32_e32 v20, 60, v20
	v_and_b32_e32 v17, 60, v17
	;; [unrolled: 1-line block ×3, first 2 shown]
	v_lshrrev_b32_e32 v8, 8, v2
	v_add_nc_u32_e32 v5, v5, v0
	v_add_nc_u32_e32 v6, v6, v0
	v_lshrrev_b32_e32 v22, 24, v2
	v_add_nc_u32_e32 v21, v21, v0
	v_add_nc_u32_e32 v18, v18, v0
	;; [unrolled: 3-line block ×3, first 2 shown]
	v_lshrrev_b32_e32 v24, 24, v3
	v_add_nc_u32_e32 v19, v19, v0
	ds_store_b8 v7, v4
	ds_store_b8 v5, v8 offset:192
	ds_store_b8_d16_hi v6, v2 offset:384
	ds_store_b8 v21, v22 offset:576
	ds_store_b8 v18, v3 offset:768
	;; [unrolled: 1-line block ×3, first 2 shown]
	ds_store_b8_d16_hi v17, v3 offset:1152
	ds_store_b8 v19, v24 offset:1344
	s_wait_loadcnt_dscnt 0x0
	s_barrier_signal -1
	s_barrier_wait -1
.LBB890_28:
	s_delay_alu instid0(VALU_DEP_1)
	v_dual_mov_b32 v2, 0 :: v_dual_and_b32 v1, 60, v1
	s_wait_loadcnt 0x0
	global_inv scope:SCOPE_SE
	s_load_b64 s[6:7], s[0:1], 0x68
	v_mbcnt_lo_u32_b32 v45, -1, 0
	v_add_nc_u32_e32 v1, v1, v38
	s_cmp_lg_u32 ttmp9, 0
	s_mov_b32 s3, -1
	s_delay_alu instid0(VALU_DEP_2)
	v_and_b32_e32 v46, 15, v45
	ds_load_2addr_b32 v[17:18], v1 offset1:1
	s_wait_loadcnt_dscnt 0x0
	s_barrier_signal -1
	s_barrier_wait -1
	global_inv scope:SCOPE_SE
	v_and_b32_e32 v41, 0xff, v17
	v_bfe_u32 v40, v17, 8, 8
	v_bfe_u32 v39, v17, 16, 8
	v_lshrrev_b32_e32 v37, 24, v17
	v_and_b32_e32 v44, 0xff, v18
	v_bfe_u32 v43, v18, 8, 8
	v_bfe_u32 v42, v18, 16, 8
	v_add3_u32 v1, v40, v41, v39
	v_lshrrev_b32_e32 v36, 24, v18
	s_delay_alu instid0(VALU_DEP_2) | instskip(SKIP_3) | instid1(VALU_DEP_3)
	v_add_co_u32 v1, s2, v1, v37
	s_wait_alu 0xf1ff
	v_add_co_ci_u32_e64 v3, null, 0, 0, s2
	v_cmp_ne_u32_e64 s2, 0, v46
	v_add_co_u32 v1, vcc_lo, v1, v44
	s_wait_alu 0xfffd
	s_delay_alu instid0(VALU_DEP_3) | instskip(NEXT) | instid1(VALU_DEP_2)
	v_add_co_ci_u32_e64 v3, null, 0, v3, vcc_lo
	v_add_co_u32 v1, vcc_lo, v1, v43
	s_wait_alu 0xfffd
	s_delay_alu instid0(VALU_DEP_2) | instskip(NEXT) | instid1(VALU_DEP_2)
	v_add_co_ci_u32_e64 v3, null, 0, v3, vcc_lo
	v_add_co_u32 v1, vcc_lo, v1, v42
	s_wait_alu 0xfffd
	s_delay_alu instid0(VALU_DEP_2) | instskip(NEXT) | instid1(VALU_DEP_2)
	v_add_co_ci_u32_e64 v3, null, 0, v3, vcc_lo
	v_add_co_u32 v19, vcc_lo, v1, v36
	s_wait_alu 0xfffd
	s_delay_alu instid0(VALU_DEP_2)
	v_add_co_ci_u32_e64 v20, null, 0, v3, vcc_lo
	s_cbranch_scc0 .LBB890_85
; %bb.29:
	v_mov_b32_e32 v3, v19
	v_mov_b32_dpp v1, v19 row_shr:1 row_mask:0xf bank_mask:0xf
	v_mov_b32_dpp v6, v2 row_shr:1 row_mask:0xf bank_mask:0xf
	v_dual_mov_b32 v5, v19 :: v_dual_mov_b32 v4, v20
	s_and_saveexec_b32 s3, s2
; %bb.30:
	s_delay_alu instid0(VALU_DEP_3) | instskip(SKIP_2) | instid1(VALU_DEP_2)
	v_add_co_u32 v5, vcc_lo, v19, v1
	s_wait_alu 0xfffd
	v_add_co_ci_u32_e64 v2, null, 0, v20, vcc_lo
	v_add_co_u32 v1, vcc_lo, 0, v5
	s_wait_alu 0xfffd
	s_delay_alu instid0(VALU_DEP_2) | instskip(NEXT) | instid1(VALU_DEP_1)
	v_add_co_ci_u32_e64 v2, null, v6, v2, vcc_lo
	v_dual_mov_b32 v4, v2 :: v_dual_mov_b32 v3, v1
; %bb.31:
	s_wait_alu 0xfffe
	s_or_b32 exec_lo, exec_lo, s3
	v_mov_b32_dpp v1, v5 row_shr:2 row_mask:0xf bank_mask:0xf
	v_mov_b32_dpp v6, v2 row_shr:2 row_mask:0xf bank_mask:0xf
	s_mov_b32 s3, exec_lo
	v_cmpx_lt_u32_e32 1, v46
; %bb.32:
	s_delay_alu instid0(VALU_DEP_3) | instskip(SKIP_2) | instid1(VALU_DEP_2)
	v_add_co_u32 v5, vcc_lo, v3, v1
	s_wait_alu 0xfffd
	v_add_co_ci_u32_e64 v2, null, 0, v4, vcc_lo
	v_add_co_u32 v1, vcc_lo, 0, v5
	s_wait_alu 0xfffd
	s_delay_alu instid0(VALU_DEP_2) | instskip(NEXT) | instid1(VALU_DEP_1)
	v_add_co_ci_u32_e64 v2, null, v6, v2, vcc_lo
	v_dual_mov_b32 v4, v2 :: v_dual_mov_b32 v3, v1
; %bb.33:
	s_wait_alu 0xfffe
	s_or_b32 exec_lo, exec_lo, s3
	v_mov_b32_dpp v1, v5 row_shr:4 row_mask:0xf bank_mask:0xf
	v_mov_b32_dpp v6, v2 row_shr:4 row_mask:0xf bank_mask:0xf
	s_mov_b32 s3, exec_lo
	v_cmpx_lt_u32_e32 3, v46
	;; [unrolled: 17-line block ×3, first 2 shown]
; %bb.36:
	s_delay_alu instid0(VALU_DEP_3) | instskip(SKIP_2) | instid1(VALU_DEP_2)
	v_add_co_u32 v5, vcc_lo, v3, v6
	s_wait_alu 0xfffd
	v_add_co_ci_u32_e64 v2, null, 0, v4, vcc_lo
	v_add_co_u32 v3, vcc_lo, 0, v5
	s_wait_alu 0xfffd
	s_delay_alu instid0(VALU_DEP_2) | instskip(NEXT) | instid1(VALU_DEP_1)
	v_add_co_ci_u32_e64 v4, null, v1, v2, vcc_lo
	v_mov_b32_e32 v2, v4
; %bb.37:
	s_wait_alu 0xfffe
	s_or_b32 exec_lo, exec_lo, s3
	ds_swizzle_b32 v1, v5 offset:swizzle(BROADCAST,32,15)
	ds_swizzle_b32 v6, v2 offset:swizzle(BROADCAST,32,15)
	v_and_b32_e32 v7, 16, v45
	s_mov_b32 s3, exec_lo
	s_delay_alu instid0(VALU_DEP_1)
	v_cmpx_ne_u32_e32 0, v7
	s_cbranch_execz .LBB890_39
; %bb.38:
	s_wait_dscnt 0x1
	v_add_co_u32 v5, vcc_lo, v3, v1
	s_wait_alu 0xfffd
	v_add_co_ci_u32_e64 v2, null, 0, v4, vcc_lo
	s_delay_alu instid0(VALU_DEP_2) | instskip(SKIP_2) | instid1(VALU_DEP_2)
	v_add_co_u32 v1, vcc_lo, 0, v5
	s_wait_dscnt 0x0
	s_wait_alu 0xfffd
	v_add_co_ci_u32_e64 v2, null, v6, v2, vcc_lo
	s_delay_alu instid0(VALU_DEP_1)
	v_dual_mov_b32 v4, v2 :: v_dual_mov_b32 v3, v1
.LBB890_39:
	s_wait_alu 0xfffe
	s_or_b32 exec_lo, exec_lo, s3
	s_wait_dscnt 0x1
	v_and_b32_e32 v1, 0xe0, v0
	s_mov_b32 s3, exec_lo
	s_delay_alu instid0(VALU_DEP_1) | instskip(NEXT) | instid1(VALU_DEP_1)
	v_min_u32_e32 v1, 0xa0, v1
	v_or_b32_e32 v1, 31, v1
	s_delay_alu instid0(VALU_DEP_1)
	v_cmpx_eq_u32_e64 v0, v1
; %bb.40:
	v_lshlrev_b32_e32 v1, 3, v35
	ds_store_b64 v1, v[3:4]
; %bb.41:
	s_wait_alu 0xfffe
	s_or_b32 exec_lo, exec_lo, s3
	s_delay_alu instid0(SALU_CYCLE_1)
	s_mov_b32 s3, exec_lo
	s_wait_loadcnt_dscnt 0x0
	s_barrier_signal -1
	s_barrier_wait -1
	global_inv scope:SCOPE_SE
	v_cmpx_gt_u32_e32 6, v0
	s_cbranch_execz .LBB890_49
; %bb.42:
	ds_load_b64 v[3:4], v38
	v_and_b32_e32 v1, 7, v45
	s_mov_b32 s4, exec_lo
	s_wait_dscnt 0x0
	v_mov_b32_dpp v8, v3 row_shr:1 row_mask:0xf bank_mask:0xf
	v_mov_b32_dpp v7, v4 row_shr:1 row_mask:0xf bank_mask:0xf
	v_mov_b32_e32 v6, v3
	v_cmpx_ne_u32_e32 0, v1
; %bb.43:
	s_delay_alu instid0(VALU_DEP_4) | instskip(SKIP_2) | instid1(VALU_DEP_2)
	v_add_co_u32 v6, vcc_lo, v3, v8
	s_wait_alu 0xfffd
	v_add_co_ci_u32_e64 v4, null, 0, v4, vcc_lo
	v_add_co_u32 v3, vcc_lo, 0, v6
	s_wait_alu 0xfffd
	s_delay_alu instid0(VALU_DEP_2)
	v_add_co_ci_u32_e64 v4, null, v7, v4, vcc_lo
; %bb.44:
	s_wait_alu 0xfffe
	s_or_b32 exec_lo, exec_lo, s4
	v_mov_b32_dpp v8, v6 row_shr:2 row_mask:0xf bank_mask:0xf
	s_delay_alu instid0(VALU_DEP_2)
	v_mov_b32_dpp v7, v4 row_shr:2 row_mask:0xf bank_mask:0xf
	s_mov_b32 s4, exec_lo
	v_cmpx_lt_u32_e32 1, v1
; %bb.45:
	s_delay_alu instid0(VALU_DEP_3) | instskip(SKIP_2) | instid1(VALU_DEP_2)
	v_add_co_u32 v6, vcc_lo, v3, v8
	s_wait_alu 0xfffd
	v_add_co_ci_u32_e64 v4, null, 0, v4, vcc_lo
	v_add_co_u32 v3, vcc_lo, 0, v6
	s_wait_alu 0xfffd
	s_delay_alu instid0(VALU_DEP_2)
	v_add_co_ci_u32_e64 v4, null, v7, v4, vcc_lo
; %bb.46:
	s_wait_alu 0xfffe
	s_or_b32 exec_lo, exec_lo, s4
	v_mov_b32_dpp v7, v6 row_shr:4 row_mask:0xf bank_mask:0xf
	s_delay_alu instid0(VALU_DEP_2)
	v_mov_b32_dpp v6, v4 row_shr:4 row_mask:0xf bank_mask:0xf
	s_mov_b32 s4, exec_lo
	v_cmpx_lt_u32_e32 3, v1
; %bb.47:
	s_delay_alu instid0(VALU_DEP_3) | instskip(SKIP_2) | instid1(VALU_DEP_2)
	v_add_co_u32 v1, vcc_lo, v3, v7
	s_wait_alu 0xfffd
	v_add_co_ci_u32_e64 v4, null, 0, v4, vcc_lo
	v_add_co_u32 v3, vcc_lo, v1, 0
	s_wait_alu 0xfffd
	s_delay_alu instid0(VALU_DEP_2)
	v_add_co_ci_u32_e64 v4, null, v4, v6, vcc_lo
; %bb.48:
	s_wait_alu 0xfffe
	s_or_b32 exec_lo, exec_lo, s4
	ds_store_b64 v38, v[3:4]
.LBB890_49:
	s_wait_alu 0xfffe
	s_or_b32 exec_lo, exec_lo, s3
	s_delay_alu instid0(SALU_CYCLE_1)
	s_mov_b32 s4, exec_lo
	v_cmp_gt_u32_e32 vcc_lo, 32, v0
	s_wait_loadcnt_dscnt 0x0
	s_barrier_signal -1
	s_barrier_wait -1
	global_inv scope:SCOPE_SE
                                        ; implicit-def: $vgpr21_vgpr22
	v_cmpx_lt_u32_e32 31, v0
	s_cbranch_execz .LBB890_51
; %bb.50:
	v_lshl_add_u32 v1, v35, 3, -8
	ds_load_b64 v[21:22], v1
	s_wait_dscnt 0x0
	v_add_co_u32 v5, s3, v5, v21
	s_wait_alu 0xf1ff
	v_add_co_ci_u32_e64 v2, null, v2, v22, s3
.LBB890_51:
	s_wait_alu 0xfffe
	s_or_b32 exec_lo, exec_lo, s4
	v_sub_co_u32 v1, s3, v45, 1
	s_delay_alu instid0(VALU_DEP_1) | instskip(SKIP_1) | instid1(VALU_DEP_1)
	v_cmp_gt_i32_e64 s4, 0, v1
	s_wait_alu 0xf1ff
	v_cndmask_b32_e64 v1, v1, v45, s4
	s_delay_alu instid0(VALU_DEP_1)
	v_lshlrev_b32_e32 v1, 2, v1
	ds_bpermute_b32 v27, v1, v5
	ds_bpermute_b32 v28, v1, v2
	s_and_saveexec_b32 s4, vcc_lo
	s_cbranch_execz .LBB890_90
; %bb.52:
	v_mov_b32_e32 v4, 0
	ds_load_b64 v[1:2], v4 offset:40
	s_and_saveexec_b32 s5, s3
	s_cbranch_execz .LBB890_54
; %bb.53:
	s_add_co_i32 s12, ttmp9, 32
	s_mov_b32 s13, 0
	s_delay_alu instid0(SALU_CYCLE_1)
	s_lshl_b64 s[12:13], s[12:13], 4
	s_wait_kmcnt 0x0
	s_add_nc_u64 s[12:13], s[6:7], s[12:13]
	v_mov_b32_e32 v3, 1
	v_dual_mov_b32 v5, s12 :: v_dual_mov_b32 v6, s13
	s_wait_dscnt 0x0
	;;#ASMSTART
	global_store_b128 v[5:6], v[1:4] off scope:SCOPE_DEV	
s_wait_storecnt 0x0
	;;#ASMEND
.LBB890_54:
	s_wait_alu 0xfffe
	s_or_b32 exec_lo, exec_lo, s5
	v_xad_u32 v23, v45, -1, ttmp9
	s_mov_b32 s12, 0
	s_mov_b32 s5, exec_lo
	s_delay_alu instid0(VALU_DEP_1) | instskip(NEXT) | instid1(VALU_DEP_1)
	v_add_nc_u32_e32 v3, 32, v23
	v_lshlrev_b64_e32 v[3:4], 4, v[3:4]
	s_wait_kmcnt 0x0
	s_delay_alu instid0(VALU_DEP_1) | instskip(SKIP_1) | instid1(VALU_DEP_2)
	v_add_co_u32 v3, vcc_lo, s6, v3
	s_wait_alu 0xfffd
	v_add_co_ci_u32_e64 v4, null, s7, v4, vcc_lo
	;;#ASMSTART
	global_load_b128 v[5:8], v[3:4] off scope:SCOPE_DEV	
s_wait_loadcnt 0x0
	;;#ASMEND
	v_and_b32_e32 v8, 0xff, v7
	s_delay_alu instid0(VALU_DEP_1)
	v_cmpx_eq_u16_e32 0, v8
	s_cbranch_execz .LBB890_57
.LBB890_55:                             ; =>This Inner Loop Header: Depth=1
	;;#ASMSTART
	global_load_b128 v[5:8], v[3:4] off scope:SCOPE_DEV	
s_wait_loadcnt 0x0
	;;#ASMEND
	v_and_b32_e32 v8, 0xff, v7
	s_delay_alu instid0(VALU_DEP_1)
	v_cmp_ne_u16_e32 vcc_lo, 0, v8
	s_wait_alu 0xfffe
	s_or_b32 s12, vcc_lo, s12
	s_wait_alu 0xfffe
	s_and_not1_b32 exec_lo, exec_lo, s12
	s_cbranch_execnz .LBB890_55
; %bb.56:
	s_or_b32 exec_lo, exec_lo, s12
.LBB890_57:
	s_wait_alu 0xfffe
	s_or_b32 exec_lo, exec_lo, s5
	v_cmp_ne_u32_e32 vcc_lo, 31, v45
	v_and_b32_e32 v4, 0xff, v7
	v_lshlrev_b32_e64 v30, v45, -1
	s_mov_b32 s5, exec_lo
	s_wait_alu 0xfffd
	v_add_co_ci_u32_e64 v3, null, 0, v45, vcc_lo
	v_cmp_eq_u16_e32 vcc_lo, 2, v4
	s_delay_alu instid0(VALU_DEP_2)
	v_dual_mov_b32 v4, v5 :: v_dual_lshlrev_b32 v29, 2, v3
	s_wait_alu 0xfffd
	v_and_or_b32 v3, vcc_lo, v30, 0x80000000
	ds_bpermute_b32 v24, v29, v5
	ds_bpermute_b32 v8, v29, v6
	v_ctz_i32_b32_e32 v3, v3
	s_delay_alu instid0(VALU_DEP_1)
	v_cmpx_lt_u32_e64 v45, v3
	s_cbranch_execz .LBB890_59
; %bb.58:
	s_wait_dscnt 0x1
	v_add_co_u32 v4, vcc_lo, v5, v24
	s_wait_alu 0xfffd
	v_add_co_ci_u32_e64 v6, null, 0, v6, vcc_lo
	s_delay_alu instid0(VALU_DEP_2) | instskip(SKIP_2) | instid1(VALU_DEP_2)
	v_add_co_u32 v5, vcc_lo, 0, v4
	s_wait_dscnt 0x0
	s_wait_alu 0xfffd
	v_add_co_ci_u32_e64 v6, null, v8, v6, vcc_lo
.LBB890_59:
	s_wait_alu 0xfffe
	s_or_b32 exec_lo, exec_lo, s5
	v_cmp_gt_u32_e32 vcc_lo, 30, v45
	v_add_nc_u32_e32 v32, 2, v45
	s_mov_b32 s5, exec_lo
	s_wait_dscnt 0x0
	s_wait_alu 0xfffd
	v_cndmask_b32_e64 v8, 0, 2, vcc_lo
	s_delay_alu instid0(VALU_DEP_1)
	v_add_lshl_u32 v31, v8, v45, 2
	ds_bpermute_b32 v24, v31, v4
	ds_bpermute_b32 v8, v31, v6
	v_cmpx_le_u32_e64 v32, v3
	s_cbranch_execz .LBB890_61
; %bb.60:
	s_wait_dscnt 0x1
	v_add_co_u32 v4, vcc_lo, v5, v24
	s_wait_alu 0xfffd
	v_add_co_ci_u32_e64 v6, null, 0, v6, vcc_lo
	s_delay_alu instid0(VALU_DEP_2) | instskip(SKIP_2) | instid1(VALU_DEP_2)
	v_add_co_u32 v5, vcc_lo, 0, v4
	s_wait_dscnt 0x0
	s_wait_alu 0xfffd
	v_add_co_ci_u32_e64 v6, null, v8, v6, vcc_lo
.LBB890_61:
	s_wait_alu 0xfffe
	s_or_b32 exec_lo, exec_lo, s5
	v_cmp_gt_u32_e32 vcc_lo, 28, v45
	v_add_nc_u32_e32 v34, 4, v45
	s_mov_b32 s5, exec_lo
	s_wait_dscnt 0x0
	s_wait_alu 0xfffd
	v_cndmask_b32_e64 v8, 0, 4, vcc_lo
	s_delay_alu instid0(VALU_DEP_1)
	v_add_lshl_u32 v33, v8, v45, 2
	ds_bpermute_b32 v24, v33, v4
	ds_bpermute_b32 v8, v33, v6
	v_cmpx_le_u32_e64 v34, v3
	;; [unrolled: 25-line block ×3, first 2 shown]
	s_cbranch_execz .LBB890_65
; %bb.64:
	s_wait_dscnt 0x1
	v_add_co_u32 v4, vcc_lo, v5, v24
	s_wait_alu 0xfffd
	v_add_co_ci_u32_e64 v6, null, 0, v6, vcc_lo
	s_delay_alu instid0(VALU_DEP_2) | instskip(SKIP_2) | instid1(VALU_DEP_2)
	v_add_co_u32 v5, vcc_lo, 0, v4
	s_wait_dscnt 0x0
	s_wait_alu 0xfffd
	v_add_co_ci_u32_e64 v6, null, v8, v6, vcc_lo
.LBB890_65:
	s_wait_alu 0xfffe
	s_or_b32 exec_lo, exec_lo, s5
	v_lshl_or_b32 v49, v45, 2, 64
	v_add_nc_u32_e32 v50, 16, v45
	s_mov_b32 s5, exec_lo
	s_wait_dscnt 0x0
	ds_bpermute_b32 v8, v49, v4
	ds_bpermute_b32 v4, v49, v6
	v_cmpx_le_u32_e64 v50, v3
	s_cbranch_execz .LBB890_67
; %bb.66:
	s_wait_dscnt 0x1
	v_add_co_u32 v3, vcc_lo, v5, v8
	s_wait_alu 0xfffd
	v_add_co_ci_u32_e64 v6, null, 0, v6, vcc_lo
	s_delay_alu instid0(VALU_DEP_2) | instskip(SKIP_2) | instid1(VALU_DEP_2)
	v_add_co_u32 v5, vcc_lo, v3, 0
	s_wait_dscnt 0x0
	s_wait_alu 0xfffd
	v_add_co_ci_u32_e64 v6, null, v6, v4, vcc_lo
.LBB890_67:
	s_wait_alu 0xfffe
	s_or_b32 exec_lo, exec_lo, s5
	v_mov_b32_e32 v24, 0
	s_branch .LBB890_70
.LBB890_68:                             ;   in Loop: Header=BB890_70 Depth=1
	s_wait_alu 0xfffe
	s_or_b32 exec_lo, exec_lo, s5
	v_add_co_u32 v5, vcc_lo, v5, v3
	v_subrev_nc_u32_e32 v23, 32, v23
	s_wait_alu 0xfffd
	v_add_co_ci_u32_e64 v6, null, v6, v4, vcc_lo
	s_mov_b32 s5, 0
.LBB890_69:                             ;   in Loop: Header=BB890_70 Depth=1
	s_wait_alu 0xfffe
	s_and_b32 vcc_lo, exec_lo, s5
	s_wait_alu 0xfffe
	s_cbranch_vccnz .LBB890_86
.LBB890_70:                             ; =>This Loop Header: Depth=1
                                        ;     Child Loop BB890_73 Depth 2
	v_and_b32_e32 v3, 0xff, v7
	s_mov_b32 s5, -1
	s_delay_alu instid0(VALU_DEP_1)
	v_cmp_ne_u16_e32 vcc_lo, 2, v3
	s_wait_dscnt 0x0
	v_dual_mov_b32 v3, v5 :: v_dual_mov_b32 v4, v6
                                        ; implicit-def: $vgpr5_vgpr6
	s_cmp_lg_u32 vcc_lo, exec_lo
	s_cbranch_scc1 .LBB890_69
; %bb.71:                               ;   in Loop: Header=BB890_70 Depth=1
	v_lshlrev_b64_e32 v[5:6], 4, v[23:24]
	s_mov_b32 s5, exec_lo
	s_delay_alu instid0(VALU_DEP_1) | instskip(SKIP_1) | instid1(VALU_DEP_2)
	v_add_co_u32 v25, vcc_lo, s6, v5
	s_wait_alu 0xfffd
	v_add_co_ci_u32_e64 v26, null, s7, v6, vcc_lo
	;;#ASMSTART
	global_load_b128 v[5:8], v[25:26] off scope:SCOPE_DEV	
s_wait_loadcnt 0x0
	;;#ASMEND
	v_and_b32_e32 v8, 0xff, v7
	s_delay_alu instid0(VALU_DEP_1)
	v_cmpx_eq_u16_e32 0, v8
	s_cbranch_execz .LBB890_75
; %bb.72:                               ;   in Loop: Header=BB890_70 Depth=1
	s_mov_b32 s12, 0
.LBB890_73:                             ;   Parent Loop BB890_70 Depth=1
                                        ; =>  This Inner Loop Header: Depth=2
	;;#ASMSTART
	global_load_b128 v[5:8], v[25:26] off scope:SCOPE_DEV	
s_wait_loadcnt 0x0
	;;#ASMEND
	v_and_b32_e32 v8, 0xff, v7
	s_delay_alu instid0(VALU_DEP_1)
	v_cmp_ne_u16_e32 vcc_lo, 0, v8
	s_wait_alu 0xfffe
	s_or_b32 s12, vcc_lo, s12
	s_wait_alu 0xfffe
	s_and_not1_b32 exec_lo, exec_lo, s12
	s_cbranch_execnz .LBB890_73
; %bb.74:                               ;   in Loop: Header=BB890_70 Depth=1
	s_or_b32 exec_lo, exec_lo, s12
.LBB890_75:                             ;   in Loop: Header=BB890_70 Depth=1
	s_wait_alu 0xfffe
	s_or_b32 exec_lo, exec_lo, s5
	v_dual_mov_b32 v25, v5 :: v_dual_and_b32 v8, 0xff, v7
	ds_bpermute_b32 v51, v29, v5
	ds_bpermute_b32 v26, v29, v6
	s_mov_b32 s5, exec_lo
	v_cmp_eq_u16_e32 vcc_lo, 2, v8
	s_wait_alu 0xfffd
	v_and_or_b32 v8, vcc_lo, v30, 0x80000000
	s_delay_alu instid0(VALU_DEP_1) | instskip(NEXT) | instid1(VALU_DEP_1)
	v_ctz_i32_b32_e32 v8, v8
	v_cmpx_lt_u32_e64 v45, v8
	s_cbranch_execz .LBB890_77
; %bb.76:                               ;   in Loop: Header=BB890_70 Depth=1
	s_wait_dscnt 0x1
	v_add_co_u32 v25, vcc_lo, v5, v51
	s_wait_alu 0xfffd
	v_add_co_ci_u32_e64 v6, null, 0, v6, vcc_lo
	s_delay_alu instid0(VALU_DEP_2) | instskip(SKIP_2) | instid1(VALU_DEP_2)
	v_add_co_u32 v5, vcc_lo, 0, v25
	s_wait_dscnt 0x0
	s_wait_alu 0xfffd
	v_add_co_ci_u32_e64 v6, null, v26, v6, vcc_lo
.LBB890_77:                             ;   in Loop: Header=BB890_70 Depth=1
	s_wait_alu 0xfffe
	s_or_b32 exec_lo, exec_lo, s5
	s_wait_dscnt 0x1
	ds_bpermute_b32 v51, v31, v25
	s_wait_dscnt 0x1
	ds_bpermute_b32 v26, v31, v6
	s_mov_b32 s5, exec_lo
	v_cmpx_le_u32_e64 v32, v8
	s_cbranch_execz .LBB890_79
; %bb.78:                               ;   in Loop: Header=BB890_70 Depth=1
	s_wait_dscnt 0x1
	v_add_co_u32 v25, vcc_lo, v5, v51
	s_wait_alu 0xfffd
	v_add_co_ci_u32_e64 v6, null, 0, v6, vcc_lo
	s_delay_alu instid0(VALU_DEP_2) | instskip(SKIP_2) | instid1(VALU_DEP_2)
	v_add_co_u32 v5, vcc_lo, 0, v25
	s_wait_dscnt 0x0
	s_wait_alu 0xfffd
	v_add_co_ci_u32_e64 v6, null, v26, v6, vcc_lo
.LBB890_79:                             ;   in Loop: Header=BB890_70 Depth=1
	s_wait_alu 0xfffe
	s_or_b32 exec_lo, exec_lo, s5
	s_wait_dscnt 0x1
	ds_bpermute_b32 v51, v33, v25
	s_wait_dscnt 0x1
	ds_bpermute_b32 v26, v33, v6
	s_mov_b32 s5, exec_lo
	v_cmpx_le_u32_e64 v34, v8
	;; [unrolled: 20-line block ×3, first 2 shown]
	s_cbranch_execz .LBB890_83
; %bb.82:                               ;   in Loop: Header=BB890_70 Depth=1
	s_wait_dscnt 0x1
	v_add_co_u32 v25, vcc_lo, v5, v51
	s_wait_alu 0xfffd
	v_add_co_ci_u32_e64 v6, null, 0, v6, vcc_lo
	s_delay_alu instid0(VALU_DEP_2) | instskip(SKIP_2) | instid1(VALU_DEP_2)
	v_add_co_u32 v5, vcc_lo, 0, v25
	s_wait_dscnt 0x0
	s_wait_alu 0xfffd
	v_add_co_ci_u32_e64 v6, null, v26, v6, vcc_lo
.LBB890_83:                             ;   in Loop: Header=BB890_70 Depth=1
	s_wait_alu 0xfffe
	s_or_b32 exec_lo, exec_lo, s5
	s_wait_dscnt 0x0
	ds_bpermute_b32 v26, v49, v25
	ds_bpermute_b32 v25, v49, v6
	s_mov_b32 s5, exec_lo
	v_cmpx_le_u32_e64 v50, v8
	s_cbranch_execz .LBB890_68
; %bb.84:                               ;   in Loop: Header=BB890_70 Depth=1
	s_wait_dscnt 0x1
	v_add_co_u32 v5, vcc_lo, v5, v26
	s_wait_alu 0xfffd
	v_add_co_ci_u32_e64 v6, null, 0, v6, vcc_lo
	s_delay_alu instid0(VALU_DEP_2) | instskip(SKIP_2) | instid1(VALU_DEP_2)
	v_add_co_u32 v5, vcc_lo, v5, 0
	s_wait_dscnt 0x0
	s_wait_alu 0xfffd
	v_add_co_ci_u32_e64 v6, null, v6, v25, vcc_lo
	s_branch .LBB890_68
.LBB890_85:
                                        ; implicit-def: $vgpr21_vgpr22
                                        ; implicit-def: $vgpr6_vgpr7
                                        ; implicit-def: $vgpr23_vgpr24
                                        ; implicit-def: $vgpr25_vgpr26
                                        ; implicit-def: $vgpr27_vgpr28
                                        ; implicit-def: $vgpr29_vgpr30
                                        ; implicit-def: $vgpr31_vgpr32
                                        ; implicit-def: $vgpr33_vgpr34
                                        ; implicit-def: $vgpr4_vgpr5
	s_load_b64 s[4:5], s[0:1], 0x30
	s_and_b32 vcc_lo, exec_lo, s3
	s_wait_alu 0xfffe
	s_cbranch_vccnz .LBB890_91
	s_branch .LBB890_116
.LBB890_86:
	s_and_saveexec_b32 s5, s3
	s_cbranch_execz .LBB890_88
; %bb.87:
	s_add_co_i32 s12, ttmp9, 32
	s_mov_b32 s13, 0
	v_add_co_u32 v5, vcc_lo, v3, v1
	s_wait_alu 0xfffe
	s_lshl_b64 s[12:13], s[12:13], 4
	v_dual_mov_b32 v7, 2 :: v_dual_mov_b32 v8, 0
	s_wait_alu 0xfffe
	s_add_nc_u64 s[12:13], s[6:7], s[12:13]
	s_wait_alu 0xfffd
	v_add_co_ci_u32_e64 v6, null, v4, v2, vcc_lo
	s_wait_alu 0xfffe
	v_dual_mov_b32 v24, s13 :: v_dual_mov_b32 v23, s12
	;;#ASMSTART
	global_store_b128 v[23:24], v[5:8] off scope:SCOPE_DEV	
s_wait_storecnt 0x0
	;;#ASMEND
	ds_store_b128 v8, v[1:4] offset:6336
.LBB890_88:
	s_wait_alu 0xfffe
	s_or_b32 exec_lo, exec_lo, s5
	v_cmp_eq_u32_e32 vcc_lo, 0, v0
	s_and_b32 exec_lo, exec_lo, vcc_lo
; %bb.89:
	v_mov_b32_e32 v1, 0
	ds_store_b64 v1, v[3:4] offset:40
.LBB890_90:
	s_wait_alu 0xfffe
	s_or_b32 exec_lo, exec_lo, s4
	s_wait_dscnt 0x1
	v_cndmask_b32_e64 v4, v27, v21, s3
	v_cmp_ne_u32_e32 vcc_lo, 0, v0
	v_mov_b32_e32 v3, 0
	s_wait_loadcnt_dscnt 0x0
	s_barrier_signal -1
	s_barrier_wait -1
	global_inv scope:SCOPE_SE
	s_wait_alu 0xfffd
	v_cndmask_b32_e32 v4, 0, v4, vcc_lo
	ds_load_b64 v[1:2], v3 offset:40
	v_cndmask_b32_e64 v5, v28, v22, s3
	s_wait_loadcnt_dscnt 0x0
	s_barrier_signal -1
	s_barrier_wait -1
	global_inv scope:SCOPE_SE
	v_cndmask_b32_e32 v5, 0, v5, vcc_lo
	v_add_co_u32 v33, vcc_lo, v1, v4
	s_wait_alu 0xfffd
	s_delay_alu instid0(VALU_DEP_2) | instskip(SKIP_4) | instid1(VALU_DEP_2)
	v_add_co_ci_u32_e64 v34, null, v2, v5, vcc_lo
	ds_load_b128 v[2:5], v3 offset:6336
	v_add_co_u32 v31, vcc_lo, v33, v41
	s_wait_alu 0xfffd
	v_add_co_ci_u32_e64 v32, null, 0, v34, vcc_lo
	v_add_co_u32 v29, vcc_lo, v31, v40
	s_wait_alu 0xfffd
	s_delay_alu instid0(VALU_DEP_2) | instskip(NEXT) | instid1(VALU_DEP_2)
	v_add_co_ci_u32_e64 v30, null, 0, v32, vcc_lo
	v_add_co_u32 v27, vcc_lo, v29, v39
	s_wait_alu 0xfffd
	s_delay_alu instid0(VALU_DEP_2) | instskip(NEXT) | instid1(VALU_DEP_2)
	;; [unrolled: 4-line block ×5, first 2 shown]
	v_add_co_ci_u32_e64 v7, null, 0, v24, vcc_lo
	v_add_co_u32 v21, vcc_lo, v6, v42
	s_wait_alu 0xfffd
	s_delay_alu instid0(VALU_DEP_2)
	v_add_co_ci_u32_e64 v22, null, 0, v7, vcc_lo
	s_load_b64 s[4:5], s[0:1], 0x30
	s_branch .LBB890_116
.LBB890_91:
	s_wait_dscnt 0x0
	v_dual_mov_b32 v2, 0 :: v_dual_mov_b32 v3, v19
	v_mov_b32_dpp v4, v19 row_shr:1 row_mask:0xf bank_mask:0xf
	s_delay_alu instid0(VALU_DEP_2)
	v_mov_b32_dpp v1, v2 row_shr:1 row_mask:0xf bank_mask:0xf
	s_and_saveexec_b32 s0, s2
; %bb.92:
	s_delay_alu instid0(VALU_DEP_2) | instskip(SKIP_2) | instid1(VALU_DEP_2)
	v_add_co_u32 v3, vcc_lo, v19, v4
	s_wait_alu 0xfffd
	v_add_co_ci_u32_e64 v2, null, 0, v20, vcc_lo
	v_add_co_u32 v19, vcc_lo, 0, v3
	s_wait_alu 0xfffd
	s_delay_alu instid0(VALU_DEP_2) | instskip(NEXT) | instid1(VALU_DEP_1)
	v_add_co_ci_u32_e64 v20, null, v1, v2, vcc_lo
	v_mov_b32_e32 v2, v20
; %bb.93:
	s_or_b32 exec_lo, exec_lo, s0
	v_mov_b32_dpp v1, v3 row_shr:2 row_mask:0xf bank_mask:0xf
	s_delay_alu instid0(VALU_DEP_2)
	v_mov_b32_dpp v4, v2 row_shr:2 row_mask:0xf bank_mask:0xf
	s_mov_b32 s0, exec_lo
	v_cmpx_lt_u32_e32 1, v46
; %bb.94:
	s_delay_alu instid0(VALU_DEP_3) | instskip(SKIP_2) | instid1(VALU_DEP_2)
	v_add_co_u32 v3, vcc_lo, v19, v1
	s_wait_alu 0xfffd
	v_add_co_ci_u32_e64 v2, null, 0, v20, vcc_lo
	v_add_co_u32 v1, vcc_lo, 0, v3
	s_wait_alu 0xfffd
	s_delay_alu instid0(VALU_DEP_2) | instskip(NEXT) | instid1(VALU_DEP_1)
	v_add_co_ci_u32_e64 v2, null, v4, v2, vcc_lo
	v_dual_mov_b32 v20, v2 :: v_dual_mov_b32 v19, v1
; %bb.95:
	s_or_b32 exec_lo, exec_lo, s0
	v_mov_b32_dpp v1, v3 row_shr:4 row_mask:0xf bank_mask:0xf
	v_mov_b32_dpp v4, v2 row_shr:4 row_mask:0xf bank_mask:0xf
	s_mov_b32 s0, exec_lo
	v_cmpx_lt_u32_e32 3, v46
; %bb.96:
	s_delay_alu instid0(VALU_DEP_3) | instskip(SKIP_2) | instid1(VALU_DEP_2)
	v_add_co_u32 v3, vcc_lo, v19, v1
	s_wait_alu 0xfffd
	v_add_co_ci_u32_e64 v2, null, 0, v20, vcc_lo
	v_add_co_u32 v1, vcc_lo, 0, v3
	s_wait_alu 0xfffd
	s_delay_alu instid0(VALU_DEP_2) | instskip(NEXT) | instid1(VALU_DEP_1)
	v_add_co_ci_u32_e64 v2, null, v4, v2, vcc_lo
	v_dual_mov_b32 v20, v2 :: v_dual_mov_b32 v19, v1
; %bb.97:
	s_or_b32 exec_lo, exec_lo, s0
	v_mov_b32_dpp v4, v3 row_shr:8 row_mask:0xf bank_mask:0xf
	v_mov_b32_dpp v1, v2 row_shr:8 row_mask:0xf bank_mask:0xf
	s_mov_b32 s0, exec_lo
	v_cmpx_lt_u32_e32 7, v46
; %bb.98:
	s_delay_alu instid0(VALU_DEP_3) | instskip(SKIP_2) | instid1(VALU_DEP_2)
	v_add_co_u32 v3, vcc_lo, v19, v4
	s_wait_alu 0xfffd
	v_add_co_ci_u32_e64 v2, null, 0, v20, vcc_lo
	v_add_co_u32 v19, vcc_lo, 0, v3
	s_wait_alu 0xfffd
	s_delay_alu instid0(VALU_DEP_2) | instskip(NEXT) | instid1(VALU_DEP_1)
	v_add_co_ci_u32_e64 v20, null, v1, v2, vcc_lo
	v_mov_b32_e32 v2, v20
; %bb.99:
	s_or_b32 exec_lo, exec_lo, s0
	ds_swizzle_b32 v3, v3 offset:swizzle(BROADCAST,32,15)
	ds_swizzle_b32 v1, v2 offset:swizzle(BROADCAST,32,15)
	v_and_b32_e32 v2, 16, v45
	s_mov_b32 s0, exec_lo
	s_delay_alu instid0(VALU_DEP_1)
	v_cmpx_ne_u32_e32 0, v2
	s_cbranch_execz .LBB890_101
; %bb.100:
	s_wait_dscnt 0x1
	v_add_co_u32 v2, vcc_lo, v19, v3
	s_wait_alu 0xfffd
	v_add_co_ci_u32_e64 v3, null, 0, v20, vcc_lo
	s_delay_alu instid0(VALU_DEP_2) | instskip(SKIP_2) | instid1(VALU_DEP_2)
	v_add_co_u32 v19, vcc_lo, v2, 0
	s_wait_dscnt 0x0
	s_wait_alu 0xfffd
	v_add_co_ci_u32_e64 v20, null, v3, v1, vcc_lo
.LBB890_101:
	s_or_b32 exec_lo, exec_lo, s0
	s_wait_dscnt 0x0
	v_and_b32_e32 v1, 0xe0, v0
	s_mov_b32 s0, exec_lo
	s_delay_alu instid0(VALU_DEP_1) | instskip(NEXT) | instid1(VALU_DEP_1)
	v_min_u32_e32 v1, 0xa0, v1
	v_or_b32_e32 v1, 31, v1
	s_delay_alu instid0(VALU_DEP_1)
	v_cmpx_eq_u32_e64 v0, v1
; %bb.102:
	v_lshlrev_b32_e32 v1, 3, v35
	ds_store_b64 v1, v[19:20]
; %bb.103:
	s_or_b32 exec_lo, exec_lo, s0
	s_delay_alu instid0(SALU_CYCLE_1)
	s_mov_b32 s0, exec_lo
	s_wait_loadcnt_dscnt 0x0
	s_barrier_signal -1
	s_barrier_wait -1
	global_inv scope:SCOPE_SE
	v_cmpx_gt_u32_e32 6, v0
	s_cbranch_execz .LBB890_111
; %bb.104:
	ds_load_b64 v[1:2], v38
	v_and_b32_e32 v3, 7, v45
	s_mov_b32 s1, exec_lo
	s_wait_dscnt 0x0
	v_mov_b32_dpp v6, v1 row_shr:1 row_mask:0xf bank_mask:0xf
	v_mov_b32_dpp v5, v2 row_shr:1 row_mask:0xf bank_mask:0xf
	v_mov_b32_e32 v4, v1
	v_cmpx_ne_u32_e32 0, v3
; %bb.105:
	s_delay_alu instid0(VALU_DEP_4) | instskip(SKIP_2) | instid1(VALU_DEP_2)
	v_add_co_u32 v4, vcc_lo, v1, v6
	s_wait_alu 0xfffd
	v_add_co_ci_u32_e64 v2, null, 0, v2, vcc_lo
	v_add_co_u32 v1, vcc_lo, 0, v4
	s_wait_alu 0xfffd
	s_delay_alu instid0(VALU_DEP_2)
	v_add_co_ci_u32_e64 v2, null, v5, v2, vcc_lo
; %bb.106:
	s_or_b32 exec_lo, exec_lo, s1
	v_mov_b32_dpp v6, v4 row_shr:2 row_mask:0xf bank_mask:0xf
	s_delay_alu instid0(VALU_DEP_2)
	v_mov_b32_dpp v5, v2 row_shr:2 row_mask:0xf bank_mask:0xf
	s_mov_b32 s1, exec_lo
	v_cmpx_lt_u32_e32 1, v3
; %bb.107:
	s_delay_alu instid0(VALU_DEP_3) | instskip(SKIP_2) | instid1(VALU_DEP_2)
	v_add_co_u32 v4, vcc_lo, v1, v6
	s_wait_alu 0xfffd
	v_add_co_ci_u32_e64 v2, null, 0, v2, vcc_lo
	v_add_co_u32 v1, vcc_lo, 0, v4
	s_wait_alu 0xfffd
	s_delay_alu instid0(VALU_DEP_2)
	v_add_co_ci_u32_e64 v2, null, v5, v2, vcc_lo
; %bb.108:
	s_or_b32 exec_lo, exec_lo, s1
	v_mov_b32_dpp v5, v4 row_shr:4 row_mask:0xf bank_mask:0xf
	s_delay_alu instid0(VALU_DEP_2)
	v_mov_b32_dpp v4, v2 row_shr:4 row_mask:0xf bank_mask:0xf
	s_mov_b32 s1, exec_lo
	v_cmpx_lt_u32_e32 3, v3
; %bb.109:
	s_delay_alu instid0(VALU_DEP_3) | instskip(SKIP_2) | instid1(VALU_DEP_2)
	v_add_co_u32 v1, vcc_lo, v1, v5
	s_wait_alu 0xfffd
	v_add_co_ci_u32_e64 v2, null, 0, v2, vcc_lo
	v_add_co_u32 v1, vcc_lo, v1, 0
	s_wait_alu 0xfffd
	s_delay_alu instid0(VALU_DEP_2)
	v_add_co_ci_u32_e64 v2, null, v2, v4, vcc_lo
; %bb.110:
	s_or_b32 exec_lo, exec_lo, s1
	ds_store_b64 v38, v[1:2]
.LBB890_111:
	s_or_b32 exec_lo, exec_lo, s0
	v_mov_b32_e32 v6, 0
	v_mov_b32_e32 v7, 0
	s_mov_b32 s0, exec_lo
	s_wait_loadcnt_dscnt 0x0
	s_barrier_signal -1
	s_barrier_wait -1
	global_inv scope:SCOPE_SE
	v_cmpx_lt_u32_e32 31, v0
; %bb.112:
	v_lshl_add_u32 v1, v35, 3, -8
	ds_load_b64 v[6:7], v1
; %bb.113:
	s_or_b32 exec_lo, exec_lo, s0
	v_sub_co_u32 v1, vcc_lo, v45, 1
	v_mov_b32_e32 v5, 0
	s_delay_alu instid0(VALU_DEP_2) | instskip(NEXT) | instid1(VALU_DEP_1)
	v_cmp_gt_i32_e64 s0, 0, v1
	v_cndmask_b32_e64 v1, v1, v45, s0
	s_delay_alu instid0(VALU_DEP_1)
	v_lshlrev_b32_e32 v2, 2, v1
	s_wait_dscnt 0x0
	v_add_co_u32 v1, s0, v6, v19
	s_wait_alu 0xf1ff
	v_add_co_ci_u32_e64 v3, null, v7, v20, s0
	v_cmp_eq_u32_e64 s0, 0, v0
	ds_bpermute_b32 v1, v2, v1
	ds_bpermute_b32 v8, v2, v3
	ds_load_b64 v[2:3], v5 offset:40
	s_and_saveexec_b32 s1, s0
	s_cbranch_execz .LBB890_115
; %bb.114:
	s_wait_kmcnt 0x0
	s_add_nc_u64 s[2:3], s[6:7], 0x200
	v_mov_b32_e32 v4, 2
	s_wait_alu 0xfffe
	v_dual_mov_b32 v20, s3 :: v_dual_mov_b32 v19, s2
	s_wait_dscnt 0x0
	;;#ASMSTART
	global_store_b128 v[19:20], v[2:5] off scope:SCOPE_DEV	
s_wait_storecnt 0x0
	;;#ASMEND
.LBB890_115:
	s_wait_alu 0xfffe
	s_or_b32 exec_lo, exec_lo, s1
	s_wait_dscnt 0x1
	s_wait_alu 0xfffd
	v_dual_cndmask_b32 v1, v1, v6 :: v_dual_cndmask_b32 v4, v8, v7
	s_wait_loadcnt_dscnt 0x0
	s_barrier_signal -1
	s_barrier_wait -1
	s_delay_alu instid0(VALU_DEP_1)
	v_cndmask_b32_e64 v33, v1, 0, s0
	v_cndmask_b32_e64 v34, v4, 0, s0
	v_mov_b32_e32 v4, 0
	v_mov_b32_e32 v5, 0
	global_inv scope:SCOPE_SE
	v_add_co_u32 v31, vcc_lo, v33, v41
	s_wait_alu 0xfffd
	v_add_co_ci_u32_e64 v32, null, 0, v34, vcc_lo
	s_delay_alu instid0(VALU_DEP_2) | instskip(SKIP_1) | instid1(VALU_DEP_2)
	v_add_co_u32 v29, vcc_lo, v31, v40
	s_wait_alu 0xfffd
	v_add_co_ci_u32_e64 v30, null, 0, v32, vcc_lo
	s_delay_alu instid0(VALU_DEP_2) | instskip(SKIP_1) | instid1(VALU_DEP_2)
	;; [unrolled: 4-line block ×6, first 2 shown]
	v_add_co_u32 v21, vcc_lo, v6, v42
	s_wait_alu 0xfffd
	v_add_co_ci_u32_e64 v22, null, 0, v7, vcc_lo
.LBB890_116:
	v_lshrrev_b32_e32 v38, 8, v17
	v_lshrrev_b32_e32 v35, 16, v17
	v_and_b32_e32 v17, 1, v17
	s_wait_dscnt 0x0
	v_cmp_gt_u64_e32 vcc_lo, 0xc1, v[2:3]
	v_lshrrev_b32_e32 v8, 8, v18
	v_lshrrev_b32_e32 v1, 16, v18
	s_mov_b32 s1, -1
	v_cmp_eq_u32_e64 s0, 1, v17
	s_cbranch_vccnz .LBB890_120
; %bb.117:
	s_wait_alu 0xfffe
	s_and_b32 vcc_lo, exec_lo, s1
	s_wait_alu 0xfffe
	s_cbranch_vccnz .LBB890_137
.LBB890_118:
	v_cmp_eq_u32_e32 vcc_lo, 0, v0
	s_and_b32 s0, vcc_lo, s16
	s_wait_alu 0xfffe
	s_and_saveexec_b32 s1, s0
	s_cbranch_execnz .LBB890_157
.LBB890_119:
	s_endpgm
.LBB890_120:
	v_add_co_u32 v19, vcc_lo, v4, v2
	s_wait_alu 0xfffd
	v_add_co_ci_u32_e64 v20, null, v5, v3, vcc_lo
	s_lshl_b64 s[2:3], s[10:11], 2
	s_wait_kmcnt 0x0
	s_wait_alu 0xfffe
	s_add_nc_u64 s[2:3], s[4:5], s[2:3]
	v_cmp_lt_u64_e32 vcc_lo, v[33:34], v[19:20]
	s_or_b32 s1, s17, vcc_lo
	s_wait_alu 0xfffe
	s_and_b32 s1, s1, s0
	s_wait_alu 0xfffe
	s_and_saveexec_b32 s0, s1
	s_cbranch_execz .LBB890_122
; %bb.121:
	v_lshlrev_b64_e32 v[39:40], 2, v[33:34]
	s_delay_alu instid0(VALU_DEP_1) | instskip(SKIP_1) | instid1(VALU_DEP_2)
	v_add_co_u32 v39, vcc_lo, s2, v39
	s_wait_alu 0xfffd
	v_add_co_ci_u32_e64 v40, null, s3, v40, vcc_lo
	global_store_b32 v[39:40], v15, off
.LBB890_122:
	s_wait_alu 0xfffe
	s_or_b32 exec_lo, exec_lo, s0
	v_and_b32_e32 v34, 1, v38
	v_cmp_lt_u64_e32 vcc_lo, v[31:32], v[19:20]
	s_delay_alu instid0(VALU_DEP_2)
	v_cmp_eq_u32_e64 s0, 1, v34
	s_or_b32 s1, s17, vcc_lo
	s_wait_alu 0xfffe
	s_and_b32 s1, s1, s0
	s_wait_alu 0xfffe
	s_and_saveexec_b32 s0, s1
	s_cbranch_execz .LBB890_124
; %bb.123:
	v_lshlrev_b64_e32 v[39:40], 2, v[31:32]
	s_delay_alu instid0(VALU_DEP_1) | instskip(SKIP_1) | instid1(VALU_DEP_2)
	v_add_co_u32 v39, vcc_lo, s2, v39
	s_wait_alu 0xfffd
	v_add_co_ci_u32_e64 v40, null, s3, v40, vcc_lo
	global_store_b32 v[39:40], v16, off
.LBB890_124:
	s_wait_alu 0xfffe
	s_or_b32 exec_lo, exec_lo, s0
	v_and_b32_e32 v32, 1, v35
	v_cmp_lt_u64_e32 vcc_lo, v[29:30], v[19:20]
	s_delay_alu instid0(VALU_DEP_2)
	v_cmp_eq_u32_e64 s0, 1, v32
	;; [unrolled: 20-line block ×7, first 2 shown]
	s_or_b32 s1, s17, vcc_lo
	s_wait_alu 0xfffe
	s_and_b32 s1, s1, s0
	s_wait_alu 0xfffe
	s_and_saveexec_b32 s0, s1
	s_cbranch_execz .LBB890_136
; %bb.135:
	v_lshlrev_b64_e32 v[19:20], 2, v[21:22]
	s_delay_alu instid0(VALU_DEP_1) | instskip(SKIP_1) | instid1(VALU_DEP_2)
	v_add_co_u32 v19, vcc_lo, s2, v19
	s_wait_alu 0xfffd
	v_add_co_ci_u32_e64 v20, null, s3, v20, vcc_lo
	global_store_b32 v[19:20], v10, off
.LBB890_136:
	s_wait_alu 0xfffe
	s_or_b32 exec_lo, exec_lo, s0
	s_branch .LBB890_118
.LBB890_137:
	s_mov_b32 s0, exec_lo
	v_cmpx_eq_u32_e32 1, v17
; %bb.138:
	v_sub_nc_u32_e32 v7, v33, v4
	s_delay_alu instid0(VALU_DEP_1)
	v_lshlrev_b32_e32 v7, 2, v7
	ds_store_b32 v7, v15
; %bb.139:
	s_wait_alu 0xfffe
	s_or_b32 exec_lo, exec_lo, s0
	v_and_b32_e32 v7, 1, v38
	s_mov_b32 s0, exec_lo
	s_delay_alu instid0(VALU_DEP_1)
	v_cmpx_eq_u32_e32 1, v7
; %bb.140:
	v_sub_nc_u32_e32 v7, v31, v4
	s_delay_alu instid0(VALU_DEP_1)
	v_lshlrev_b32_e32 v7, 2, v7
	ds_store_b32 v7, v16
; %bb.141:
	s_wait_alu 0xfffe
	s_or_b32 exec_lo, exec_lo, s0
	v_and_b32_e32 v7, 1, v35
	s_mov_b32 s0, exec_lo
	s_delay_alu instid0(VALU_DEP_1)
	;; [unrolled: 12-line block ×7, first 2 shown]
	v_cmpx_eq_u32_e32 1, v1
; %bb.152:
	v_sub_nc_u32_e32 v1, v21, v4
	s_delay_alu instid0(VALU_DEP_1)
	v_lshlrev_b32_e32 v1, 2, v1
	ds_store_b32 v1, v10
; %bb.153:
	s_wait_alu 0xfffe
	s_or_b32 exec_lo, exec_lo, s0
	v_mov_b32_e32 v7, 0
	s_mov_b32 s1, exec_lo
	s_wait_storecnt 0x0
	s_wait_loadcnt_dscnt 0x0
	s_barrier_signal -1
	s_barrier_wait -1
	v_mov_b32_e32 v1, v7
	global_inv scope:SCOPE_SE
	v_cmpx_gt_u64_e64 v[2:3], v[0:1]
	s_cbranch_execz .LBB890_156
; %bb.154:
	v_lshlrev_b64_e32 v[8:9], 2, v[4:5]
	s_lshl_b64 s[2:3], s[10:11], 2
	v_add_nc_u32_e32 v6, 0xc0, v0
	s_wait_kmcnt 0x0
	s_delay_alu instid0(VALU_DEP_2) | instskip(SKIP_3) | instid1(VALU_DEP_2)
	v_add_co_u32 v8, vcc_lo, s4, v8
	s_wait_alu 0xfffd
	v_add_co_ci_u32_e64 v9, null, s5, v9, vcc_lo
	s_wait_alu 0xfffe
	v_add_co_u32 v10, vcc_lo, v8, s2
	s_wait_alu 0xfffd
	s_delay_alu instid0(VALU_DEP_2)
	v_add_co_ci_u32_e64 v11, null, s3, v9, vcc_lo
	v_dual_mov_b32 v9, v1 :: v_dual_mov_b32 v8, v0
	s_mov_b32 s2, 0
.LBB890_155:                            ; =>This Inner Loop Header: Depth=1
	s_delay_alu instid0(VALU_DEP_1) | instskip(NEXT) | instid1(VALU_DEP_2)
	v_lshlrev_b32_e32 v1, 2, v8
	v_lshlrev_b64_e32 v[12:13], 2, v[8:9]
	v_dual_mov_b32 v9, v7 :: v_dual_mov_b32 v8, v6
	v_cmp_le_u64_e32 vcc_lo, v[2:3], v[6:7]
	ds_load_b32 v1, v1
	v_add_nc_u32_e32 v6, 0xc0, v6
	v_add_co_u32 v12, s0, v10, v12
	s_wait_alu 0xf1ff
	v_add_co_ci_u32_e64 v13, null, v11, v13, s0
	s_wait_alu 0xfffe
	s_or_b32 s2, vcc_lo, s2
	s_wait_dscnt 0x0
	global_store_b32 v[12:13], v1, off
	s_wait_alu 0xfffe
	s_and_not1_b32 exec_lo, exec_lo, s2
	s_cbranch_execnz .LBB890_155
.LBB890_156:
	s_wait_alu 0xfffe
	s_or_b32 exec_lo, exec_lo, s1
	v_cmp_eq_u32_e32 vcc_lo, 0, v0
	s_and_b32 s0, vcc_lo, s16
	s_wait_alu 0xfffe
	s_and_saveexec_b32 s1, s0
	s_cbranch_execz .LBB890_119
.LBB890_157:
	v_add_co_u32 v0, vcc_lo, v4, v2
	s_wait_alu 0xfffd
	v_add_co_ci_u32_e64 v1, null, v5, v3, vcc_lo
	v_mov_b32_e32 v2, 0
	s_delay_alu instid0(VALU_DEP_3) | instskip(SKIP_1) | instid1(VALU_DEP_3)
	v_add_co_u32 v0, vcc_lo, v0, s10
	s_wait_alu 0xfffd
	v_add_co_ci_u32_e64 v1, null, s11, v1, vcc_lo
	global_store_b64 v2, v[0:1], s[8:9]
	s_endpgm
.LBB890_158:
	v_add_co_u32 v11, s3, s6, v23
	s_wait_alu 0xf1ff
	v_add_co_ci_u32_e64 v12, null, s7, 0, s3
	flat_load_b32 v2, v[11:12] offset:768
	s_wait_alu 0xfffe
	s_or_b32 exec_lo, exec_lo, s2
	s_delay_alu instid0(SALU_CYCLE_1)
	s_mov_b32 s2, exec_lo
	v_cmpx_gt_u32_e64 s18, v22
	s_cbranch_execz .LBB890_7
.LBB890_159:
	v_add_co_u32 v11, s3, s6, v23
	s_wait_alu 0xf1ff
	v_add_co_ci_u32_e64 v12, null, s7, 0, s3
	flat_load_b32 v3, v[11:12] offset:1536
	s_wait_alu 0xfffe
	s_or_b32 exec_lo, exec_lo, s2
	s_delay_alu instid0(SALU_CYCLE_1)
	s_mov_b32 s2, exec_lo
	v_cmpx_gt_u32_e64 s18, v21
	s_cbranch_execz .LBB890_8
.LBB890_160:
	v_add_co_u32 v11, s3, s6, v23
	s_wait_alu 0xf1ff
	v_add_co_ci_u32_e64 v12, null, s7, 0, s3
	flat_load_b32 v4, v[11:12] offset:2304
	s_wait_alu 0xfffe
	s_or_b32 exec_lo, exec_lo, s2
	s_delay_alu instid0(SALU_CYCLE_1)
	s_mov_b32 s2, exec_lo
	v_cmpx_gt_u32_e64 s18, v18
	s_cbranch_execz .LBB890_9
.LBB890_161:
	v_add_co_u32 v11, s3, s6, v23
	s_wait_alu 0xf1ff
	v_add_co_ci_u32_e64 v12, null, s7, 0, s3
	flat_load_b32 v5, v[11:12] offset:3072
	s_wait_alu 0xfffe
	s_or_b32 exec_lo, exec_lo, s2
	s_delay_alu instid0(SALU_CYCLE_1)
	s_mov_b32 s2, exec_lo
	v_cmpx_gt_u32_e64 s18, v20
	s_cbranch_execz .LBB890_10
.LBB890_162:
	v_add_co_u32 v11, s3, s6, v23
	s_wait_alu 0xf1ff
	v_add_co_ci_u32_e64 v12, null, s7, 0, s3
	flat_load_b32 v6, v[11:12] offset:3840
	s_wait_alu 0xfffe
	s_or_b32 exec_lo, exec_lo, s2
	s_delay_alu instid0(SALU_CYCLE_1)
	s_mov_b32 s2, exec_lo
	v_cmpx_gt_u32_e64 s18, v17
	s_cbranch_execz .LBB890_11
.LBB890_163:
	v_add_co_u32 v11, s3, s6, v23
	s_wait_alu 0xf1ff
	v_add_co_ci_u32_e64 v12, null, s7, 0, s3
	flat_load_b32 v7, v[11:12] offset:4608
	s_wait_alu 0xfffe
	s_or_b32 exec_lo, exec_lo, s2
	s_delay_alu instid0(SALU_CYCLE_1)
	s_mov_b32 s2, exec_lo
	v_cmpx_gt_u32_e64 s18, v19
	s_cbranch_execnz .LBB890_12
	s_branch .LBB890_13
.LBB890_164:
	global_load_b32 v6, v23, s[2:3] offset:768
	v_and_b32_e32 v7, 0xff, v2
	s_wait_loadcnt 0x0
	v_cmp_eq_u32_e32 vcc_lo, 0, v6
	s_wait_alu 0xfffd
	v_cndmask_b32_e64 v6, 0, 1, vcc_lo
	s_delay_alu instid0(VALU_DEP_1) | instskip(NEXT) | instid1(VALU_DEP_1)
	v_lshlrev_b16 v6, 8, v6
	v_or_b32_e32 v6, v7, v6
	s_delay_alu instid0(VALU_DEP_1) | instskip(NEXT) | instid1(VALU_DEP_1)
	v_and_b32_e32 v6, 0xffff, v6
	v_and_or_b32 v2, 0xffff0000, v2, v6
	s_wait_alu 0xfffe
	s_or_b32 exec_lo, exec_lo, s4
	s_delay_alu instid0(SALU_CYCLE_1)
	s_mov_b32 s4, exec_lo
	v_cmpx_gt_u32_e64 s18, v22
	s_cbranch_execz .LBB890_21
.LBB890_165:
	global_load_b32 v6, v23, s[2:3] offset:1536
	v_lshrrev_b32_e32 v7, 16, v2
	s_delay_alu instid0(VALU_DEP_1) | instskip(SKIP_4) | instid1(VALU_DEP_1)
	v_and_b32_e32 v7, 0xffffff00, v7
	s_wait_loadcnt 0x0
	v_cmp_eq_u32_e32 vcc_lo, 0, v6
	s_wait_alu 0xfffd
	v_cndmask_b32_e64 v6, 0, 1, vcc_lo
	v_or_b32_e32 v6, v6, v7
	s_delay_alu instid0(VALU_DEP_1) | instskip(NEXT) | instid1(VALU_DEP_1)
	v_lshlrev_b32_e32 v6, 16, v6
	v_and_or_b32 v2, 0xffff, v2, v6
	s_wait_alu 0xfffe
	s_or_b32 exec_lo, exec_lo, s4
	s_delay_alu instid0(SALU_CYCLE_1)
	s_mov_b32 s4, exec_lo
	v_cmpx_gt_u32_e64 s18, v21
	s_cbranch_execz .LBB890_22
.LBB890_166:
	global_load_b32 v6, v23, s[2:3] offset:2304
	v_lshrrev_b32_e32 v7, 16, v2
	s_delay_alu instid0(VALU_DEP_1) | instskip(SKIP_4) | instid1(VALU_DEP_1)
	v_and_b32_e32 v7, 0xff, v7
	s_wait_loadcnt 0x0
	v_cmp_eq_u32_e32 vcc_lo, 0, v6
	s_wait_alu 0xfffd
	v_cndmask_b32_e64 v6, 0, 1, vcc_lo
	v_lshlrev_b16 v6, 8, v6
	s_delay_alu instid0(VALU_DEP_1) | instskip(NEXT) | instid1(VALU_DEP_1)
	v_or_b32_e32 v6, v7, v6
	v_lshlrev_b32_e32 v6, 16, v6
	s_delay_alu instid0(VALU_DEP_1) | instskip(SKIP_2) | instid1(SALU_CYCLE_1)
	v_and_or_b32 v2, 0xffff, v2, v6
	s_wait_alu 0xfffe
	s_or_b32 exec_lo, exec_lo, s4
	s_mov_b32 s4, exec_lo
	v_cmpx_gt_u32_e64 s18, v18
	s_cbranch_execz .LBB890_23
.LBB890_167:
	global_load_b32 v6, v23, s[2:3] offset:3072
	v_and_b32_e32 v7, 0xffffff00, v3
	s_wait_loadcnt 0x0
	v_cmp_eq_u32_e32 vcc_lo, 0, v6
	s_wait_alu 0xfffd
	v_cndmask_b32_e64 v6, 0, 1, vcc_lo
	s_delay_alu instid0(VALU_DEP_1) | instskip(NEXT) | instid1(VALU_DEP_1)
	v_or_b32_e32 v6, v6, v7
	v_and_b32_e32 v6, 0xffff, v6
	s_delay_alu instid0(VALU_DEP_1) | instskip(SKIP_2) | instid1(SALU_CYCLE_1)
	v_and_or_b32 v3, 0xffff0000, v3, v6
	s_wait_alu 0xfffe
	s_or_b32 exec_lo, exec_lo, s4
	s_mov_b32 s4, exec_lo
	v_cmpx_gt_u32_e64 s18, v20
	s_cbranch_execz .LBB890_24
.LBB890_168:
	global_load_b32 v6, v23, s[2:3] offset:3840
	v_and_b32_e32 v7, 0xff, v3
	s_wait_loadcnt 0x0
	v_cmp_eq_u32_e32 vcc_lo, 0, v6
	s_wait_alu 0xfffd
	v_cndmask_b32_e64 v6, 0, 1, vcc_lo
	s_delay_alu instid0(VALU_DEP_1) | instskip(NEXT) | instid1(VALU_DEP_1)
	v_lshlrev_b16 v6, 8, v6
	v_or_b32_e32 v6, v7, v6
	s_delay_alu instid0(VALU_DEP_1) | instskip(NEXT) | instid1(VALU_DEP_1)
	v_and_b32_e32 v6, 0xffff, v6
	v_and_or_b32 v3, 0xffff0000, v3, v6
	s_wait_alu 0xfffe
	s_or_b32 exec_lo, exec_lo, s4
	s_delay_alu instid0(SALU_CYCLE_1)
	s_mov_b32 s4, exec_lo
	v_cmpx_gt_u32_e64 s18, v17
	s_cbranch_execz .LBB890_25
.LBB890_169:
	global_load_b32 v6, v23, s[2:3] offset:4608
	v_lshrrev_b32_e32 v7, 16, v3
	s_delay_alu instid0(VALU_DEP_1) | instskip(SKIP_4) | instid1(VALU_DEP_1)
	v_and_b32_e32 v7, 0xffffff00, v7
	s_wait_loadcnt 0x0
	v_cmp_eq_u32_e32 vcc_lo, 0, v6
	s_wait_alu 0xfffd
	v_cndmask_b32_e64 v6, 0, 1, vcc_lo
	v_or_b32_e32 v6, v6, v7
	s_delay_alu instid0(VALU_DEP_1) | instskip(NEXT) | instid1(VALU_DEP_1)
	v_lshlrev_b32_e32 v6, 16, v6
	v_and_or_b32 v3, 0xffff, v3, v6
	s_wait_alu 0xfffe
	s_or_b32 exec_lo, exec_lo, s4
	s_delay_alu instid0(SALU_CYCLE_1)
	s_mov_b32 s4, exec_lo
	v_cmpx_gt_u32_e64 s18, v19
	s_cbranch_execnz .LBB890_26
	s_branch .LBB890_27
	.section	.rodata,"a",@progbits
	.p2align	6, 0x0
	.amdhsa_kernel _ZN7rocprim17ROCPRIM_400000_NS6detail17trampoline_kernelINS0_14default_configENS1_25partition_config_selectorILNS1_17partition_subalgoE5EjNS0_10empty_typeEbEEZZNS1_14partition_implILS5_5ELb0ES3_mN6thrust23THRUST_200600_302600_NS6detail15normal_iteratorINSA_10device_ptrIjEEEEPS6_NSA_18transform_iteratorINSB_9not_fun_tINSA_8identityIjEEEESF_NSA_11use_defaultESM_EENS0_5tupleIJSF_S6_EEENSO_IJSG_SG_EEES6_PlJS6_EEE10hipError_tPvRmT3_T4_T5_T6_T7_T9_mT8_P12ihipStream_tbDpT10_ENKUlT_T0_E_clISt17integral_constantIbLb0EES1B_EEDaS16_S17_EUlS16_E_NS1_11comp_targetILNS1_3genE10ELNS1_11target_archE1200ELNS1_3gpuE4ELNS1_3repE0EEENS1_30default_config_static_selectorELNS0_4arch9wavefront6targetE0EEEvT1_
		.amdhsa_group_segment_fixed_size 6352
		.amdhsa_private_segment_fixed_size 0
		.amdhsa_kernarg_size 120
		.amdhsa_user_sgpr_count 2
		.amdhsa_user_sgpr_dispatch_ptr 0
		.amdhsa_user_sgpr_queue_ptr 0
		.amdhsa_user_sgpr_kernarg_segment_ptr 1
		.amdhsa_user_sgpr_dispatch_id 0
		.amdhsa_user_sgpr_private_segment_size 0
		.amdhsa_wavefront_size32 1
		.amdhsa_uses_dynamic_stack 0
		.amdhsa_enable_private_segment 0
		.amdhsa_system_sgpr_workgroup_id_x 1
		.amdhsa_system_sgpr_workgroup_id_y 0
		.amdhsa_system_sgpr_workgroup_id_z 0
		.amdhsa_system_sgpr_workgroup_info 0
		.amdhsa_system_vgpr_workitem_id 0
		.amdhsa_next_free_vgpr 52
		.amdhsa_next_free_sgpr 22
		.amdhsa_reserve_vcc 1
		.amdhsa_float_round_mode_32 0
		.amdhsa_float_round_mode_16_64 0
		.amdhsa_float_denorm_mode_32 3
		.amdhsa_float_denorm_mode_16_64 3
		.amdhsa_fp16_overflow 0
		.amdhsa_workgroup_processor_mode 1
		.amdhsa_memory_ordered 1
		.amdhsa_forward_progress 1
		.amdhsa_inst_pref_size 74
		.amdhsa_round_robin_scheduling 0
		.amdhsa_exception_fp_ieee_invalid_op 0
		.amdhsa_exception_fp_denorm_src 0
		.amdhsa_exception_fp_ieee_div_zero 0
		.amdhsa_exception_fp_ieee_overflow 0
		.amdhsa_exception_fp_ieee_underflow 0
		.amdhsa_exception_fp_ieee_inexact 0
		.amdhsa_exception_int_div_zero 0
	.end_amdhsa_kernel
	.section	.text._ZN7rocprim17ROCPRIM_400000_NS6detail17trampoline_kernelINS0_14default_configENS1_25partition_config_selectorILNS1_17partition_subalgoE5EjNS0_10empty_typeEbEEZZNS1_14partition_implILS5_5ELb0ES3_mN6thrust23THRUST_200600_302600_NS6detail15normal_iteratorINSA_10device_ptrIjEEEEPS6_NSA_18transform_iteratorINSB_9not_fun_tINSA_8identityIjEEEESF_NSA_11use_defaultESM_EENS0_5tupleIJSF_S6_EEENSO_IJSG_SG_EEES6_PlJS6_EEE10hipError_tPvRmT3_T4_T5_T6_T7_T9_mT8_P12ihipStream_tbDpT10_ENKUlT_T0_E_clISt17integral_constantIbLb0EES1B_EEDaS16_S17_EUlS16_E_NS1_11comp_targetILNS1_3genE10ELNS1_11target_archE1200ELNS1_3gpuE4ELNS1_3repE0EEENS1_30default_config_static_selectorELNS0_4arch9wavefront6targetE0EEEvT1_,"axG",@progbits,_ZN7rocprim17ROCPRIM_400000_NS6detail17trampoline_kernelINS0_14default_configENS1_25partition_config_selectorILNS1_17partition_subalgoE5EjNS0_10empty_typeEbEEZZNS1_14partition_implILS5_5ELb0ES3_mN6thrust23THRUST_200600_302600_NS6detail15normal_iteratorINSA_10device_ptrIjEEEEPS6_NSA_18transform_iteratorINSB_9not_fun_tINSA_8identityIjEEEESF_NSA_11use_defaultESM_EENS0_5tupleIJSF_S6_EEENSO_IJSG_SG_EEES6_PlJS6_EEE10hipError_tPvRmT3_T4_T5_T6_T7_T9_mT8_P12ihipStream_tbDpT10_ENKUlT_T0_E_clISt17integral_constantIbLb0EES1B_EEDaS16_S17_EUlS16_E_NS1_11comp_targetILNS1_3genE10ELNS1_11target_archE1200ELNS1_3gpuE4ELNS1_3repE0EEENS1_30default_config_static_selectorELNS0_4arch9wavefront6targetE0EEEvT1_,comdat
.Lfunc_end890:
	.size	_ZN7rocprim17ROCPRIM_400000_NS6detail17trampoline_kernelINS0_14default_configENS1_25partition_config_selectorILNS1_17partition_subalgoE5EjNS0_10empty_typeEbEEZZNS1_14partition_implILS5_5ELb0ES3_mN6thrust23THRUST_200600_302600_NS6detail15normal_iteratorINSA_10device_ptrIjEEEEPS6_NSA_18transform_iteratorINSB_9not_fun_tINSA_8identityIjEEEESF_NSA_11use_defaultESM_EENS0_5tupleIJSF_S6_EEENSO_IJSG_SG_EEES6_PlJS6_EEE10hipError_tPvRmT3_T4_T5_T6_T7_T9_mT8_P12ihipStream_tbDpT10_ENKUlT_T0_E_clISt17integral_constantIbLb0EES1B_EEDaS16_S17_EUlS16_E_NS1_11comp_targetILNS1_3genE10ELNS1_11target_archE1200ELNS1_3gpuE4ELNS1_3repE0EEENS1_30default_config_static_selectorELNS0_4arch9wavefront6targetE0EEEvT1_, .Lfunc_end890-_ZN7rocprim17ROCPRIM_400000_NS6detail17trampoline_kernelINS0_14default_configENS1_25partition_config_selectorILNS1_17partition_subalgoE5EjNS0_10empty_typeEbEEZZNS1_14partition_implILS5_5ELb0ES3_mN6thrust23THRUST_200600_302600_NS6detail15normal_iteratorINSA_10device_ptrIjEEEEPS6_NSA_18transform_iteratorINSB_9not_fun_tINSA_8identityIjEEEESF_NSA_11use_defaultESM_EENS0_5tupleIJSF_S6_EEENSO_IJSG_SG_EEES6_PlJS6_EEE10hipError_tPvRmT3_T4_T5_T6_T7_T9_mT8_P12ihipStream_tbDpT10_ENKUlT_T0_E_clISt17integral_constantIbLb0EES1B_EEDaS16_S17_EUlS16_E_NS1_11comp_targetILNS1_3genE10ELNS1_11target_archE1200ELNS1_3gpuE4ELNS1_3repE0EEENS1_30default_config_static_selectorELNS0_4arch9wavefront6targetE0EEEvT1_
                                        ; -- End function
	.set _ZN7rocprim17ROCPRIM_400000_NS6detail17trampoline_kernelINS0_14default_configENS1_25partition_config_selectorILNS1_17partition_subalgoE5EjNS0_10empty_typeEbEEZZNS1_14partition_implILS5_5ELb0ES3_mN6thrust23THRUST_200600_302600_NS6detail15normal_iteratorINSA_10device_ptrIjEEEEPS6_NSA_18transform_iteratorINSB_9not_fun_tINSA_8identityIjEEEESF_NSA_11use_defaultESM_EENS0_5tupleIJSF_S6_EEENSO_IJSG_SG_EEES6_PlJS6_EEE10hipError_tPvRmT3_T4_T5_T6_T7_T9_mT8_P12ihipStream_tbDpT10_ENKUlT_T0_E_clISt17integral_constantIbLb0EES1B_EEDaS16_S17_EUlS16_E_NS1_11comp_targetILNS1_3genE10ELNS1_11target_archE1200ELNS1_3gpuE4ELNS1_3repE0EEENS1_30default_config_static_selectorELNS0_4arch9wavefront6targetE0EEEvT1_.num_vgpr, 52
	.set _ZN7rocprim17ROCPRIM_400000_NS6detail17trampoline_kernelINS0_14default_configENS1_25partition_config_selectorILNS1_17partition_subalgoE5EjNS0_10empty_typeEbEEZZNS1_14partition_implILS5_5ELb0ES3_mN6thrust23THRUST_200600_302600_NS6detail15normal_iteratorINSA_10device_ptrIjEEEEPS6_NSA_18transform_iteratorINSB_9not_fun_tINSA_8identityIjEEEESF_NSA_11use_defaultESM_EENS0_5tupleIJSF_S6_EEENSO_IJSG_SG_EEES6_PlJS6_EEE10hipError_tPvRmT3_T4_T5_T6_T7_T9_mT8_P12ihipStream_tbDpT10_ENKUlT_T0_E_clISt17integral_constantIbLb0EES1B_EEDaS16_S17_EUlS16_E_NS1_11comp_targetILNS1_3genE10ELNS1_11target_archE1200ELNS1_3gpuE4ELNS1_3repE0EEENS1_30default_config_static_selectorELNS0_4arch9wavefront6targetE0EEEvT1_.num_agpr, 0
	.set _ZN7rocprim17ROCPRIM_400000_NS6detail17trampoline_kernelINS0_14default_configENS1_25partition_config_selectorILNS1_17partition_subalgoE5EjNS0_10empty_typeEbEEZZNS1_14partition_implILS5_5ELb0ES3_mN6thrust23THRUST_200600_302600_NS6detail15normal_iteratorINSA_10device_ptrIjEEEEPS6_NSA_18transform_iteratorINSB_9not_fun_tINSA_8identityIjEEEESF_NSA_11use_defaultESM_EENS0_5tupleIJSF_S6_EEENSO_IJSG_SG_EEES6_PlJS6_EEE10hipError_tPvRmT3_T4_T5_T6_T7_T9_mT8_P12ihipStream_tbDpT10_ENKUlT_T0_E_clISt17integral_constantIbLb0EES1B_EEDaS16_S17_EUlS16_E_NS1_11comp_targetILNS1_3genE10ELNS1_11target_archE1200ELNS1_3gpuE4ELNS1_3repE0EEENS1_30default_config_static_selectorELNS0_4arch9wavefront6targetE0EEEvT1_.numbered_sgpr, 22
	.set _ZN7rocprim17ROCPRIM_400000_NS6detail17trampoline_kernelINS0_14default_configENS1_25partition_config_selectorILNS1_17partition_subalgoE5EjNS0_10empty_typeEbEEZZNS1_14partition_implILS5_5ELb0ES3_mN6thrust23THRUST_200600_302600_NS6detail15normal_iteratorINSA_10device_ptrIjEEEEPS6_NSA_18transform_iteratorINSB_9not_fun_tINSA_8identityIjEEEESF_NSA_11use_defaultESM_EENS0_5tupleIJSF_S6_EEENSO_IJSG_SG_EEES6_PlJS6_EEE10hipError_tPvRmT3_T4_T5_T6_T7_T9_mT8_P12ihipStream_tbDpT10_ENKUlT_T0_E_clISt17integral_constantIbLb0EES1B_EEDaS16_S17_EUlS16_E_NS1_11comp_targetILNS1_3genE10ELNS1_11target_archE1200ELNS1_3gpuE4ELNS1_3repE0EEENS1_30default_config_static_selectorELNS0_4arch9wavefront6targetE0EEEvT1_.num_named_barrier, 0
	.set _ZN7rocprim17ROCPRIM_400000_NS6detail17trampoline_kernelINS0_14default_configENS1_25partition_config_selectorILNS1_17partition_subalgoE5EjNS0_10empty_typeEbEEZZNS1_14partition_implILS5_5ELb0ES3_mN6thrust23THRUST_200600_302600_NS6detail15normal_iteratorINSA_10device_ptrIjEEEEPS6_NSA_18transform_iteratorINSB_9not_fun_tINSA_8identityIjEEEESF_NSA_11use_defaultESM_EENS0_5tupleIJSF_S6_EEENSO_IJSG_SG_EEES6_PlJS6_EEE10hipError_tPvRmT3_T4_T5_T6_T7_T9_mT8_P12ihipStream_tbDpT10_ENKUlT_T0_E_clISt17integral_constantIbLb0EES1B_EEDaS16_S17_EUlS16_E_NS1_11comp_targetILNS1_3genE10ELNS1_11target_archE1200ELNS1_3gpuE4ELNS1_3repE0EEENS1_30default_config_static_selectorELNS0_4arch9wavefront6targetE0EEEvT1_.private_seg_size, 0
	.set _ZN7rocprim17ROCPRIM_400000_NS6detail17trampoline_kernelINS0_14default_configENS1_25partition_config_selectorILNS1_17partition_subalgoE5EjNS0_10empty_typeEbEEZZNS1_14partition_implILS5_5ELb0ES3_mN6thrust23THRUST_200600_302600_NS6detail15normal_iteratorINSA_10device_ptrIjEEEEPS6_NSA_18transform_iteratorINSB_9not_fun_tINSA_8identityIjEEEESF_NSA_11use_defaultESM_EENS0_5tupleIJSF_S6_EEENSO_IJSG_SG_EEES6_PlJS6_EEE10hipError_tPvRmT3_T4_T5_T6_T7_T9_mT8_P12ihipStream_tbDpT10_ENKUlT_T0_E_clISt17integral_constantIbLb0EES1B_EEDaS16_S17_EUlS16_E_NS1_11comp_targetILNS1_3genE10ELNS1_11target_archE1200ELNS1_3gpuE4ELNS1_3repE0EEENS1_30default_config_static_selectorELNS0_4arch9wavefront6targetE0EEEvT1_.uses_vcc, 1
	.set _ZN7rocprim17ROCPRIM_400000_NS6detail17trampoline_kernelINS0_14default_configENS1_25partition_config_selectorILNS1_17partition_subalgoE5EjNS0_10empty_typeEbEEZZNS1_14partition_implILS5_5ELb0ES3_mN6thrust23THRUST_200600_302600_NS6detail15normal_iteratorINSA_10device_ptrIjEEEEPS6_NSA_18transform_iteratorINSB_9not_fun_tINSA_8identityIjEEEESF_NSA_11use_defaultESM_EENS0_5tupleIJSF_S6_EEENSO_IJSG_SG_EEES6_PlJS6_EEE10hipError_tPvRmT3_T4_T5_T6_T7_T9_mT8_P12ihipStream_tbDpT10_ENKUlT_T0_E_clISt17integral_constantIbLb0EES1B_EEDaS16_S17_EUlS16_E_NS1_11comp_targetILNS1_3genE10ELNS1_11target_archE1200ELNS1_3gpuE4ELNS1_3repE0EEENS1_30default_config_static_selectorELNS0_4arch9wavefront6targetE0EEEvT1_.uses_flat_scratch, 1
	.set _ZN7rocprim17ROCPRIM_400000_NS6detail17trampoline_kernelINS0_14default_configENS1_25partition_config_selectorILNS1_17partition_subalgoE5EjNS0_10empty_typeEbEEZZNS1_14partition_implILS5_5ELb0ES3_mN6thrust23THRUST_200600_302600_NS6detail15normal_iteratorINSA_10device_ptrIjEEEEPS6_NSA_18transform_iteratorINSB_9not_fun_tINSA_8identityIjEEEESF_NSA_11use_defaultESM_EENS0_5tupleIJSF_S6_EEENSO_IJSG_SG_EEES6_PlJS6_EEE10hipError_tPvRmT3_T4_T5_T6_T7_T9_mT8_P12ihipStream_tbDpT10_ENKUlT_T0_E_clISt17integral_constantIbLb0EES1B_EEDaS16_S17_EUlS16_E_NS1_11comp_targetILNS1_3genE10ELNS1_11target_archE1200ELNS1_3gpuE4ELNS1_3repE0EEENS1_30default_config_static_selectorELNS0_4arch9wavefront6targetE0EEEvT1_.has_dyn_sized_stack, 0
	.set _ZN7rocprim17ROCPRIM_400000_NS6detail17trampoline_kernelINS0_14default_configENS1_25partition_config_selectorILNS1_17partition_subalgoE5EjNS0_10empty_typeEbEEZZNS1_14partition_implILS5_5ELb0ES3_mN6thrust23THRUST_200600_302600_NS6detail15normal_iteratorINSA_10device_ptrIjEEEEPS6_NSA_18transform_iteratorINSB_9not_fun_tINSA_8identityIjEEEESF_NSA_11use_defaultESM_EENS0_5tupleIJSF_S6_EEENSO_IJSG_SG_EEES6_PlJS6_EEE10hipError_tPvRmT3_T4_T5_T6_T7_T9_mT8_P12ihipStream_tbDpT10_ENKUlT_T0_E_clISt17integral_constantIbLb0EES1B_EEDaS16_S17_EUlS16_E_NS1_11comp_targetILNS1_3genE10ELNS1_11target_archE1200ELNS1_3gpuE4ELNS1_3repE0EEENS1_30default_config_static_selectorELNS0_4arch9wavefront6targetE0EEEvT1_.has_recursion, 0
	.set _ZN7rocprim17ROCPRIM_400000_NS6detail17trampoline_kernelINS0_14default_configENS1_25partition_config_selectorILNS1_17partition_subalgoE5EjNS0_10empty_typeEbEEZZNS1_14partition_implILS5_5ELb0ES3_mN6thrust23THRUST_200600_302600_NS6detail15normal_iteratorINSA_10device_ptrIjEEEEPS6_NSA_18transform_iteratorINSB_9not_fun_tINSA_8identityIjEEEESF_NSA_11use_defaultESM_EENS0_5tupleIJSF_S6_EEENSO_IJSG_SG_EEES6_PlJS6_EEE10hipError_tPvRmT3_T4_T5_T6_T7_T9_mT8_P12ihipStream_tbDpT10_ENKUlT_T0_E_clISt17integral_constantIbLb0EES1B_EEDaS16_S17_EUlS16_E_NS1_11comp_targetILNS1_3genE10ELNS1_11target_archE1200ELNS1_3gpuE4ELNS1_3repE0EEENS1_30default_config_static_selectorELNS0_4arch9wavefront6targetE0EEEvT1_.has_indirect_call, 0
	.section	.AMDGPU.csdata,"",@progbits
; Kernel info:
; codeLenInByte = 9364
; TotalNumSgprs: 24
; NumVgprs: 52
; ScratchSize: 0
; MemoryBound: 0
; FloatMode: 240
; IeeeMode: 1
; LDSByteSize: 6352 bytes/workgroup (compile time only)
; SGPRBlocks: 0
; VGPRBlocks: 6
; NumSGPRsForWavesPerEU: 24
; NumVGPRsForWavesPerEU: 52
; Occupancy: 15
; WaveLimiterHint : 1
; COMPUTE_PGM_RSRC2:SCRATCH_EN: 0
; COMPUTE_PGM_RSRC2:USER_SGPR: 2
; COMPUTE_PGM_RSRC2:TRAP_HANDLER: 0
; COMPUTE_PGM_RSRC2:TGID_X_EN: 1
; COMPUTE_PGM_RSRC2:TGID_Y_EN: 0
; COMPUTE_PGM_RSRC2:TGID_Z_EN: 0
; COMPUTE_PGM_RSRC2:TIDIG_COMP_CNT: 0
	.section	.text._ZN7rocprim17ROCPRIM_400000_NS6detail17trampoline_kernelINS0_14default_configENS1_25partition_config_selectorILNS1_17partition_subalgoE5EjNS0_10empty_typeEbEEZZNS1_14partition_implILS5_5ELb0ES3_mN6thrust23THRUST_200600_302600_NS6detail15normal_iteratorINSA_10device_ptrIjEEEEPS6_NSA_18transform_iteratorINSB_9not_fun_tINSA_8identityIjEEEESF_NSA_11use_defaultESM_EENS0_5tupleIJSF_S6_EEENSO_IJSG_SG_EEES6_PlJS6_EEE10hipError_tPvRmT3_T4_T5_T6_T7_T9_mT8_P12ihipStream_tbDpT10_ENKUlT_T0_E_clISt17integral_constantIbLb0EES1B_EEDaS16_S17_EUlS16_E_NS1_11comp_targetILNS1_3genE9ELNS1_11target_archE1100ELNS1_3gpuE3ELNS1_3repE0EEENS1_30default_config_static_selectorELNS0_4arch9wavefront6targetE0EEEvT1_,"axG",@progbits,_ZN7rocprim17ROCPRIM_400000_NS6detail17trampoline_kernelINS0_14default_configENS1_25partition_config_selectorILNS1_17partition_subalgoE5EjNS0_10empty_typeEbEEZZNS1_14partition_implILS5_5ELb0ES3_mN6thrust23THRUST_200600_302600_NS6detail15normal_iteratorINSA_10device_ptrIjEEEEPS6_NSA_18transform_iteratorINSB_9not_fun_tINSA_8identityIjEEEESF_NSA_11use_defaultESM_EENS0_5tupleIJSF_S6_EEENSO_IJSG_SG_EEES6_PlJS6_EEE10hipError_tPvRmT3_T4_T5_T6_T7_T9_mT8_P12ihipStream_tbDpT10_ENKUlT_T0_E_clISt17integral_constantIbLb0EES1B_EEDaS16_S17_EUlS16_E_NS1_11comp_targetILNS1_3genE9ELNS1_11target_archE1100ELNS1_3gpuE3ELNS1_3repE0EEENS1_30default_config_static_selectorELNS0_4arch9wavefront6targetE0EEEvT1_,comdat
	.protected	_ZN7rocprim17ROCPRIM_400000_NS6detail17trampoline_kernelINS0_14default_configENS1_25partition_config_selectorILNS1_17partition_subalgoE5EjNS0_10empty_typeEbEEZZNS1_14partition_implILS5_5ELb0ES3_mN6thrust23THRUST_200600_302600_NS6detail15normal_iteratorINSA_10device_ptrIjEEEEPS6_NSA_18transform_iteratorINSB_9not_fun_tINSA_8identityIjEEEESF_NSA_11use_defaultESM_EENS0_5tupleIJSF_S6_EEENSO_IJSG_SG_EEES6_PlJS6_EEE10hipError_tPvRmT3_T4_T5_T6_T7_T9_mT8_P12ihipStream_tbDpT10_ENKUlT_T0_E_clISt17integral_constantIbLb0EES1B_EEDaS16_S17_EUlS16_E_NS1_11comp_targetILNS1_3genE9ELNS1_11target_archE1100ELNS1_3gpuE3ELNS1_3repE0EEENS1_30default_config_static_selectorELNS0_4arch9wavefront6targetE0EEEvT1_ ; -- Begin function _ZN7rocprim17ROCPRIM_400000_NS6detail17trampoline_kernelINS0_14default_configENS1_25partition_config_selectorILNS1_17partition_subalgoE5EjNS0_10empty_typeEbEEZZNS1_14partition_implILS5_5ELb0ES3_mN6thrust23THRUST_200600_302600_NS6detail15normal_iteratorINSA_10device_ptrIjEEEEPS6_NSA_18transform_iteratorINSB_9not_fun_tINSA_8identityIjEEEESF_NSA_11use_defaultESM_EENS0_5tupleIJSF_S6_EEENSO_IJSG_SG_EEES6_PlJS6_EEE10hipError_tPvRmT3_T4_T5_T6_T7_T9_mT8_P12ihipStream_tbDpT10_ENKUlT_T0_E_clISt17integral_constantIbLb0EES1B_EEDaS16_S17_EUlS16_E_NS1_11comp_targetILNS1_3genE9ELNS1_11target_archE1100ELNS1_3gpuE3ELNS1_3repE0EEENS1_30default_config_static_selectorELNS0_4arch9wavefront6targetE0EEEvT1_
	.globl	_ZN7rocprim17ROCPRIM_400000_NS6detail17trampoline_kernelINS0_14default_configENS1_25partition_config_selectorILNS1_17partition_subalgoE5EjNS0_10empty_typeEbEEZZNS1_14partition_implILS5_5ELb0ES3_mN6thrust23THRUST_200600_302600_NS6detail15normal_iteratorINSA_10device_ptrIjEEEEPS6_NSA_18transform_iteratorINSB_9not_fun_tINSA_8identityIjEEEESF_NSA_11use_defaultESM_EENS0_5tupleIJSF_S6_EEENSO_IJSG_SG_EEES6_PlJS6_EEE10hipError_tPvRmT3_T4_T5_T6_T7_T9_mT8_P12ihipStream_tbDpT10_ENKUlT_T0_E_clISt17integral_constantIbLb0EES1B_EEDaS16_S17_EUlS16_E_NS1_11comp_targetILNS1_3genE9ELNS1_11target_archE1100ELNS1_3gpuE3ELNS1_3repE0EEENS1_30default_config_static_selectorELNS0_4arch9wavefront6targetE0EEEvT1_
	.p2align	8
	.type	_ZN7rocprim17ROCPRIM_400000_NS6detail17trampoline_kernelINS0_14default_configENS1_25partition_config_selectorILNS1_17partition_subalgoE5EjNS0_10empty_typeEbEEZZNS1_14partition_implILS5_5ELb0ES3_mN6thrust23THRUST_200600_302600_NS6detail15normal_iteratorINSA_10device_ptrIjEEEEPS6_NSA_18transform_iteratorINSB_9not_fun_tINSA_8identityIjEEEESF_NSA_11use_defaultESM_EENS0_5tupleIJSF_S6_EEENSO_IJSG_SG_EEES6_PlJS6_EEE10hipError_tPvRmT3_T4_T5_T6_T7_T9_mT8_P12ihipStream_tbDpT10_ENKUlT_T0_E_clISt17integral_constantIbLb0EES1B_EEDaS16_S17_EUlS16_E_NS1_11comp_targetILNS1_3genE9ELNS1_11target_archE1100ELNS1_3gpuE3ELNS1_3repE0EEENS1_30default_config_static_selectorELNS0_4arch9wavefront6targetE0EEEvT1_,@function
_ZN7rocprim17ROCPRIM_400000_NS6detail17trampoline_kernelINS0_14default_configENS1_25partition_config_selectorILNS1_17partition_subalgoE5EjNS0_10empty_typeEbEEZZNS1_14partition_implILS5_5ELb0ES3_mN6thrust23THRUST_200600_302600_NS6detail15normal_iteratorINSA_10device_ptrIjEEEEPS6_NSA_18transform_iteratorINSB_9not_fun_tINSA_8identityIjEEEESF_NSA_11use_defaultESM_EENS0_5tupleIJSF_S6_EEENSO_IJSG_SG_EEES6_PlJS6_EEE10hipError_tPvRmT3_T4_T5_T6_T7_T9_mT8_P12ihipStream_tbDpT10_ENKUlT_T0_E_clISt17integral_constantIbLb0EES1B_EEDaS16_S17_EUlS16_E_NS1_11comp_targetILNS1_3genE9ELNS1_11target_archE1100ELNS1_3gpuE3ELNS1_3repE0EEENS1_30default_config_static_selectorELNS0_4arch9wavefront6targetE0EEEvT1_: ; @_ZN7rocprim17ROCPRIM_400000_NS6detail17trampoline_kernelINS0_14default_configENS1_25partition_config_selectorILNS1_17partition_subalgoE5EjNS0_10empty_typeEbEEZZNS1_14partition_implILS5_5ELb0ES3_mN6thrust23THRUST_200600_302600_NS6detail15normal_iteratorINSA_10device_ptrIjEEEEPS6_NSA_18transform_iteratorINSB_9not_fun_tINSA_8identityIjEEEESF_NSA_11use_defaultESM_EENS0_5tupleIJSF_S6_EEENSO_IJSG_SG_EEES6_PlJS6_EEE10hipError_tPvRmT3_T4_T5_T6_T7_T9_mT8_P12ihipStream_tbDpT10_ENKUlT_T0_E_clISt17integral_constantIbLb0EES1B_EEDaS16_S17_EUlS16_E_NS1_11comp_targetILNS1_3genE9ELNS1_11target_archE1100ELNS1_3gpuE3ELNS1_3repE0EEENS1_30default_config_static_selectorELNS0_4arch9wavefront6targetE0EEEvT1_
; %bb.0:
	.section	.rodata,"a",@progbits
	.p2align	6, 0x0
	.amdhsa_kernel _ZN7rocprim17ROCPRIM_400000_NS6detail17trampoline_kernelINS0_14default_configENS1_25partition_config_selectorILNS1_17partition_subalgoE5EjNS0_10empty_typeEbEEZZNS1_14partition_implILS5_5ELb0ES3_mN6thrust23THRUST_200600_302600_NS6detail15normal_iteratorINSA_10device_ptrIjEEEEPS6_NSA_18transform_iteratorINSB_9not_fun_tINSA_8identityIjEEEESF_NSA_11use_defaultESM_EENS0_5tupleIJSF_S6_EEENSO_IJSG_SG_EEES6_PlJS6_EEE10hipError_tPvRmT3_T4_T5_T6_T7_T9_mT8_P12ihipStream_tbDpT10_ENKUlT_T0_E_clISt17integral_constantIbLb0EES1B_EEDaS16_S17_EUlS16_E_NS1_11comp_targetILNS1_3genE9ELNS1_11target_archE1100ELNS1_3gpuE3ELNS1_3repE0EEENS1_30default_config_static_selectorELNS0_4arch9wavefront6targetE0EEEvT1_
		.amdhsa_group_segment_fixed_size 0
		.amdhsa_private_segment_fixed_size 0
		.amdhsa_kernarg_size 120
		.amdhsa_user_sgpr_count 2
		.amdhsa_user_sgpr_dispatch_ptr 0
		.amdhsa_user_sgpr_queue_ptr 0
		.amdhsa_user_sgpr_kernarg_segment_ptr 1
		.amdhsa_user_sgpr_dispatch_id 0
		.amdhsa_user_sgpr_private_segment_size 0
		.amdhsa_wavefront_size32 1
		.amdhsa_uses_dynamic_stack 0
		.amdhsa_enable_private_segment 0
		.amdhsa_system_sgpr_workgroup_id_x 1
		.amdhsa_system_sgpr_workgroup_id_y 0
		.amdhsa_system_sgpr_workgroup_id_z 0
		.amdhsa_system_sgpr_workgroup_info 0
		.amdhsa_system_vgpr_workitem_id 0
		.amdhsa_next_free_vgpr 1
		.amdhsa_next_free_sgpr 1
		.amdhsa_reserve_vcc 0
		.amdhsa_float_round_mode_32 0
		.amdhsa_float_round_mode_16_64 0
		.amdhsa_float_denorm_mode_32 3
		.amdhsa_float_denorm_mode_16_64 3
		.amdhsa_fp16_overflow 0
		.amdhsa_workgroup_processor_mode 1
		.amdhsa_memory_ordered 1
		.amdhsa_forward_progress 1
		.amdhsa_inst_pref_size 0
		.amdhsa_round_robin_scheduling 0
		.amdhsa_exception_fp_ieee_invalid_op 0
		.amdhsa_exception_fp_denorm_src 0
		.amdhsa_exception_fp_ieee_div_zero 0
		.amdhsa_exception_fp_ieee_overflow 0
		.amdhsa_exception_fp_ieee_underflow 0
		.amdhsa_exception_fp_ieee_inexact 0
		.amdhsa_exception_int_div_zero 0
	.end_amdhsa_kernel
	.section	.text._ZN7rocprim17ROCPRIM_400000_NS6detail17trampoline_kernelINS0_14default_configENS1_25partition_config_selectorILNS1_17partition_subalgoE5EjNS0_10empty_typeEbEEZZNS1_14partition_implILS5_5ELb0ES3_mN6thrust23THRUST_200600_302600_NS6detail15normal_iteratorINSA_10device_ptrIjEEEEPS6_NSA_18transform_iteratorINSB_9not_fun_tINSA_8identityIjEEEESF_NSA_11use_defaultESM_EENS0_5tupleIJSF_S6_EEENSO_IJSG_SG_EEES6_PlJS6_EEE10hipError_tPvRmT3_T4_T5_T6_T7_T9_mT8_P12ihipStream_tbDpT10_ENKUlT_T0_E_clISt17integral_constantIbLb0EES1B_EEDaS16_S17_EUlS16_E_NS1_11comp_targetILNS1_3genE9ELNS1_11target_archE1100ELNS1_3gpuE3ELNS1_3repE0EEENS1_30default_config_static_selectorELNS0_4arch9wavefront6targetE0EEEvT1_,"axG",@progbits,_ZN7rocprim17ROCPRIM_400000_NS6detail17trampoline_kernelINS0_14default_configENS1_25partition_config_selectorILNS1_17partition_subalgoE5EjNS0_10empty_typeEbEEZZNS1_14partition_implILS5_5ELb0ES3_mN6thrust23THRUST_200600_302600_NS6detail15normal_iteratorINSA_10device_ptrIjEEEEPS6_NSA_18transform_iteratorINSB_9not_fun_tINSA_8identityIjEEEESF_NSA_11use_defaultESM_EENS0_5tupleIJSF_S6_EEENSO_IJSG_SG_EEES6_PlJS6_EEE10hipError_tPvRmT3_T4_T5_T6_T7_T9_mT8_P12ihipStream_tbDpT10_ENKUlT_T0_E_clISt17integral_constantIbLb0EES1B_EEDaS16_S17_EUlS16_E_NS1_11comp_targetILNS1_3genE9ELNS1_11target_archE1100ELNS1_3gpuE3ELNS1_3repE0EEENS1_30default_config_static_selectorELNS0_4arch9wavefront6targetE0EEEvT1_,comdat
.Lfunc_end891:
	.size	_ZN7rocprim17ROCPRIM_400000_NS6detail17trampoline_kernelINS0_14default_configENS1_25partition_config_selectorILNS1_17partition_subalgoE5EjNS0_10empty_typeEbEEZZNS1_14partition_implILS5_5ELb0ES3_mN6thrust23THRUST_200600_302600_NS6detail15normal_iteratorINSA_10device_ptrIjEEEEPS6_NSA_18transform_iteratorINSB_9not_fun_tINSA_8identityIjEEEESF_NSA_11use_defaultESM_EENS0_5tupleIJSF_S6_EEENSO_IJSG_SG_EEES6_PlJS6_EEE10hipError_tPvRmT3_T4_T5_T6_T7_T9_mT8_P12ihipStream_tbDpT10_ENKUlT_T0_E_clISt17integral_constantIbLb0EES1B_EEDaS16_S17_EUlS16_E_NS1_11comp_targetILNS1_3genE9ELNS1_11target_archE1100ELNS1_3gpuE3ELNS1_3repE0EEENS1_30default_config_static_selectorELNS0_4arch9wavefront6targetE0EEEvT1_, .Lfunc_end891-_ZN7rocprim17ROCPRIM_400000_NS6detail17trampoline_kernelINS0_14default_configENS1_25partition_config_selectorILNS1_17partition_subalgoE5EjNS0_10empty_typeEbEEZZNS1_14partition_implILS5_5ELb0ES3_mN6thrust23THRUST_200600_302600_NS6detail15normal_iteratorINSA_10device_ptrIjEEEEPS6_NSA_18transform_iteratorINSB_9not_fun_tINSA_8identityIjEEEESF_NSA_11use_defaultESM_EENS0_5tupleIJSF_S6_EEENSO_IJSG_SG_EEES6_PlJS6_EEE10hipError_tPvRmT3_T4_T5_T6_T7_T9_mT8_P12ihipStream_tbDpT10_ENKUlT_T0_E_clISt17integral_constantIbLb0EES1B_EEDaS16_S17_EUlS16_E_NS1_11comp_targetILNS1_3genE9ELNS1_11target_archE1100ELNS1_3gpuE3ELNS1_3repE0EEENS1_30default_config_static_selectorELNS0_4arch9wavefront6targetE0EEEvT1_
                                        ; -- End function
	.set _ZN7rocprim17ROCPRIM_400000_NS6detail17trampoline_kernelINS0_14default_configENS1_25partition_config_selectorILNS1_17partition_subalgoE5EjNS0_10empty_typeEbEEZZNS1_14partition_implILS5_5ELb0ES3_mN6thrust23THRUST_200600_302600_NS6detail15normal_iteratorINSA_10device_ptrIjEEEEPS6_NSA_18transform_iteratorINSB_9not_fun_tINSA_8identityIjEEEESF_NSA_11use_defaultESM_EENS0_5tupleIJSF_S6_EEENSO_IJSG_SG_EEES6_PlJS6_EEE10hipError_tPvRmT3_T4_T5_T6_T7_T9_mT8_P12ihipStream_tbDpT10_ENKUlT_T0_E_clISt17integral_constantIbLb0EES1B_EEDaS16_S17_EUlS16_E_NS1_11comp_targetILNS1_3genE9ELNS1_11target_archE1100ELNS1_3gpuE3ELNS1_3repE0EEENS1_30default_config_static_selectorELNS0_4arch9wavefront6targetE0EEEvT1_.num_vgpr, 0
	.set _ZN7rocprim17ROCPRIM_400000_NS6detail17trampoline_kernelINS0_14default_configENS1_25partition_config_selectorILNS1_17partition_subalgoE5EjNS0_10empty_typeEbEEZZNS1_14partition_implILS5_5ELb0ES3_mN6thrust23THRUST_200600_302600_NS6detail15normal_iteratorINSA_10device_ptrIjEEEEPS6_NSA_18transform_iteratorINSB_9not_fun_tINSA_8identityIjEEEESF_NSA_11use_defaultESM_EENS0_5tupleIJSF_S6_EEENSO_IJSG_SG_EEES6_PlJS6_EEE10hipError_tPvRmT3_T4_T5_T6_T7_T9_mT8_P12ihipStream_tbDpT10_ENKUlT_T0_E_clISt17integral_constantIbLb0EES1B_EEDaS16_S17_EUlS16_E_NS1_11comp_targetILNS1_3genE9ELNS1_11target_archE1100ELNS1_3gpuE3ELNS1_3repE0EEENS1_30default_config_static_selectorELNS0_4arch9wavefront6targetE0EEEvT1_.num_agpr, 0
	.set _ZN7rocprim17ROCPRIM_400000_NS6detail17trampoline_kernelINS0_14default_configENS1_25partition_config_selectorILNS1_17partition_subalgoE5EjNS0_10empty_typeEbEEZZNS1_14partition_implILS5_5ELb0ES3_mN6thrust23THRUST_200600_302600_NS6detail15normal_iteratorINSA_10device_ptrIjEEEEPS6_NSA_18transform_iteratorINSB_9not_fun_tINSA_8identityIjEEEESF_NSA_11use_defaultESM_EENS0_5tupleIJSF_S6_EEENSO_IJSG_SG_EEES6_PlJS6_EEE10hipError_tPvRmT3_T4_T5_T6_T7_T9_mT8_P12ihipStream_tbDpT10_ENKUlT_T0_E_clISt17integral_constantIbLb0EES1B_EEDaS16_S17_EUlS16_E_NS1_11comp_targetILNS1_3genE9ELNS1_11target_archE1100ELNS1_3gpuE3ELNS1_3repE0EEENS1_30default_config_static_selectorELNS0_4arch9wavefront6targetE0EEEvT1_.numbered_sgpr, 0
	.set _ZN7rocprim17ROCPRIM_400000_NS6detail17trampoline_kernelINS0_14default_configENS1_25partition_config_selectorILNS1_17partition_subalgoE5EjNS0_10empty_typeEbEEZZNS1_14partition_implILS5_5ELb0ES3_mN6thrust23THRUST_200600_302600_NS6detail15normal_iteratorINSA_10device_ptrIjEEEEPS6_NSA_18transform_iteratorINSB_9not_fun_tINSA_8identityIjEEEESF_NSA_11use_defaultESM_EENS0_5tupleIJSF_S6_EEENSO_IJSG_SG_EEES6_PlJS6_EEE10hipError_tPvRmT3_T4_T5_T6_T7_T9_mT8_P12ihipStream_tbDpT10_ENKUlT_T0_E_clISt17integral_constantIbLb0EES1B_EEDaS16_S17_EUlS16_E_NS1_11comp_targetILNS1_3genE9ELNS1_11target_archE1100ELNS1_3gpuE3ELNS1_3repE0EEENS1_30default_config_static_selectorELNS0_4arch9wavefront6targetE0EEEvT1_.num_named_barrier, 0
	.set _ZN7rocprim17ROCPRIM_400000_NS6detail17trampoline_kernelINS0_14default_configENS1_25partition_config_selectorILNS1_17partition_subalgoE5EjNS0_10empty_typeEbEEZZNS1_14partition_implILS5_5ELb0ES3_mN6thrust23THRUST_200600_302600_NS6detail15normal_iteratorINSA_10device_ptrIjEEEEPS6_NSA_18transform_iteratorINSB_9not_fun_tINSA_8identityIjEEEESF_NSA_11use_defaultESM_EENS0_5tupleIJSF_S6_EEENSO_IJSG_SG_EEES6_PlJS6_EEE10hipError_tPvRmT3_T4_T5_T6_T7_T9_mT8_P12ihipStream_tbDpT10_ENKUlT_T0_E_clISt17integral_constantIbLb0EES1B_EEDaS16_S17_EUlS16_E_NS1_11comp_targetILNS1_3genE9ELNS1_11target_archE1100ELNS1_3gpuE3ELNS1_3repE0EEENS1_30default_config_static_selectorELNS0_4arch9wavefront6targetE0EEEvT1_.private_seg_size, 0
	.set _ZN7rocprim17ROCPRIM_400000_NS6detail17trampoline_kernelINS0_14default_configENS1_25partition_config_selectorILNS1_17partition_subalgoE5EjNS0_10empty_typeEbEEZZNS1_14partition_implILS5_5ELb0ES3_mN6thrust23THRUST_200600_302600_NS6detail15normal_iteratorINSA_10device_ptrIjEEEEPS6_NSA_18transform_iteratorINSB_9not_fun_tINSA_8identityIjEEEESF_NSA_11use_defaultESM_EENS0_5tupleIJSF_S6_EEENSO_IJSG_SG_EEES6_PlJS6_EEE10hipError_tPvRmT3_T4_T5_T6_T7_T9_mT8_P12ihipStream_tbDpT10_ENKUlT_T0_E_clISt17integral_constantIbLb0EES1B_EEDaS16_S17_EUlS16_E_NS1_11comp_targetILNS1_3genE9ELNS1_11target_archE1100ELNS1_3gpuE3ELNS1_3repE0EEENS1_30default_config_static_selectorELNS0_4arch9wavefront6targetE0EEEvT1_.uses_vcc, 0
	.set _ZN7rocprim17ROCPRIM_400000_NS6detail17trampoline_kernelINS0_14default_configENS1_25partition_config_selectorILNS1_17partition_subalgoE5EjNS0_10empty_typeEbEEZZNS1_14partition_implILS5_5ELb0ES3_mN6thrust23THRUST_200600_302600_NS6detail15normal_iteratorINSA_10device_ptrIjEEEEPS6_NSA_18transform_iteratorINSB_9not_fun_tINSA_8identityIjEEEESF_NSA_11use_defaultESM_EENS0_5tupleIJSF_S6_EEENSO_IJSG_SG_EEES6_PlJS6_EEE10hipError_tPvRmT3_T4_T5_T6_T7_T9_mT8_P12ihipStream_tbDpT10_ENKUlT_T0_E_clISt17integral_constantIbLb0EES1B_EEDaS16_S17_EUlS16_E_NS1_11comp_targetILNS1_3genE9ELNS1_11target_archE1100ELNS1_3gpuE3ELNS1_3repE0EEENS1_30default_config_static_selectorELNS0_4arch9wavefront6targetE0EEEvT1_.uses_flat_scratch, 0
	.set _ZN7rocprim17ROCPRIM_400000_NS6detail17trampoline_kernelINS0_14default_configENS1_25partition_config_selectorILNS1_17partition_subalgoE5EjNS0_10empty_typeEbEEZZNS1_14partition_implILS5_5ELb0ES3_mN6thrust23THRUST_200600_302600_NS6detail15normal_iteratorINSA_10device_ptrIjEEEEPS6_NSA_18transform_iteratorINSB_9not_fun_tINSA_8identityIjEEEESF_NSA_11use_defaultESM_EENS0_5tupleIJSF_S6_EEENSO_IJSG_SG_EEES6_PlJS6_EEE10hipError_tPvRmT3_T4_T5_T6_T7_T9_mT8_P12ihipStream_tbDpT10_ENKUlT_T0_E_clISt17integral_constantIbLb0EES1B_EEDaS16_S17_EUlS16_E_NS1_11comp_targetILNS1_3genE9ELNS1_11target_archE1100ELNS1_3gpuE3ELNS1_3repE0EEENS1_30default_config_static_selectorELNS0_4arch9wavefront6targetE0EEEvT1_.has_dyn_sized_stack, 0
	.set _ZN7rocprim17ROCPRIM_400000_NS6detail17trampoline_kernelINS0_14default_configENS1_25partition_config_selectorILNS1_17partition_subalgoE5EjNS0_10empty_typeEbEEZZNS1_14partition_implILS5_5ELb0ES3_mN6thrust23THRUST_200600_302600_NS6detail15normal_iteratorINSA_10device_ptrIjEEEEPS6_NSA_18transform_iteratorINSB_9not_fun_tINSA_8identityIjEEEESF_NSA_11use_defaultESM_EENS0_5tupleIJSF_S6_EEENSO_IJSG_SG_EEES6_PlJS6_EEE10hipError_tPvRmT3_T4_T5_T6_T7_T9_mT8_P12ihipStream_tbDpT10_ENKUlT_T0_E_clISt17integral_constantIbLb0EES1B_EEDaS16_S17_EUlS16_E_NS1_11comp_targetILNS1_3genE9ELNS1_11target_archE1100ELNS1_3gpuE3ELNS1_3repE0EEENS1_30default_config_static_selectorELNS0_4arch9wavefront6targetE0EEEvT1_.has_recursion, 0
	.set _ZN7rocprim17ROCPRIM_400000_NS6detail17trampoline_kernelINS0_14default_configENS1_25partition_config_selectorILNS1_17partition_subalgoE5EjNS0_10empty_typeEbEEZZNS1_14partition_implILS5_5ELb0ES3_mN6thrust23THRUST_200600_302600_NS6detail15normal_iteratorINSA_10device_ptrIjEEEEPS6_NSA_18transform_iteratorINSB_9not_fun_tINSA_8identityIjEEEESF_NSA_11use_defaultESM_EENS0_5tupleIJSF_S6_EEENSO_IJSG_SG_EEES6_PlJS6_EEE10hipError_tPvRmT3_T4_T5_T6_T7_T9_mT8_P12ihipStream_tbDpT10_ENKUlT_T0_E_clISt17integral_constantIbLb0EES1B_EEDaS16_S17_EUlS16_E_NS1_11comp_targetILNS1_3genE9ELNS1_11target_archE1100ELNS1_3gpuE3ELNS1_3repE0EEENS1_30default_config_static_selectorELNS0_4arch9wavefront6targetE0EEEvT1_.has_indirect_call, 0
	.section	.AMDGPU.csdata,"",@progbits
; Kernel info:
; codeLenInByte = 0
; TotalNumSgprs: 0
; NumVgprs: 0
; ScratchSize: 0
; MemoryBound: 0
; FloatMode: 240
; IeeeMode: 1
; LDSByteSize: 0 bytes/workgroup (compile time only)
; SGPRBlocks: 0
; VGPRBlocks: 0
; NumSGPRsForWavesPerEU: 1
; NumVGPRsForWavesPerEU: 1
; Occupancy: 16
; WaveLimiterHint : 0
; COMPUTE_PGM_RSRC2:SCRATCH_EN: 0
; COMPUTE_PGM_RSRC2:USER_SGPR: 2
; COMPUTE_PGM_RSRC2:TRAP_HANDLER: 0
; COMPUTE_PGM_RSRC2:TGID_X_EN: 1
; COMPUTE_PGM_RSRC2:TGID_Y_EN: 0
; COMPUTE_PGM_RSRC2:TGID_Z_EN: 0
; COMPUTE_PGM_RSRC2:TIDIG_COMP_CNT: 0
	.section	.text._ZN7rocprim17ROCPRIM_400000_NS6detail17trampoline_kernelINS0_14default_configENS1_25partition_config_selectorILNS1_17partition_subalgoE5EjNS0_10empty_typeEbEEZZNS1_14partition_implILS5_5ELb0ES3_mN6thrust23THRUST_200600_302600_NS6detail15normal_iteratorINSA_10device_ptrIjEEEEPS6_NSA_18transform_iteratorINSB_9not_fun_tINSA_8identityIjEEEESF_NSA_11use_defaultESM_EENS0_5tupleIJSF_S6_EEENSO_IJSG_SG_EEES6_PlJS6_EEE10hipError_tPvRmT3_T4_T5_T6_T7_T9_mT8_P12ihipStream_tbDpT10_ENKUlT_T0_E_clISt17integral_constantIbLb0EES1B_EEDaS16_S17_EUlS16_E_NS1_11comp_targetILNS1_3genE8ELNS1_11target_archE1030ELNS1_3gpuE2ELNS1_3repE0EEENS1_30default_config_static_selectorELNS0_4arch9wavefront6targetE0EEEvT1_,"axG",@progbits,_ZN7rocprim17ROCPRIM_400000_NS6detail17trampoline_kernelINS0_14default_configENS1_25partition_config_selectorILNS1_17partition_subalgoE5EjNS0_10empty_typeEbEEZZNS1_14partition_implILS5_5ELb0ES3_mN6thrust23THRUST_200600_302600_NS6detail15normal_iteratorINSA_10device_ptrIjEEEEPS6_NSA_18transform_iteratorINSB_9not_fun_tINSA_8identityIjEEEESF_NSA_11use_defaultESM_EENS0_5tupleIJSF_S6_EEENSO_IJSG_SG_EEES6_PlJS6_EEE10hipError_tPvRmT3_T4_T5_T6_T7_T9_mT8_P12ihipStream_tbDpT10_ENKUlT_T0_E_clISt17integral_constantIbLb0EES1B_EEDaS16_S17_EUlS16_E_NS1_11comp_targetILNS1_3genE8ELNS1_11target_archE1030ELNS1_3gpuE2ELNS1_3repE0EEENS1_30default_config_static_selectorELNS0_4arch9wavefront6targetE0EEEvT1_,comdat
	.protected	_ZN7rocprim17ROCPRIM_400000_NS6detail17trampoline_kernelINS0_14default_configENS1_25partition_config_selectorILNS1_17partition_subalgoE5EjNS0_10empty_typeEbEEZZNS1_14partition_implILS5_5ELb0ES3_mN6thrust23THRUST_200600_302600_NS6detail15normal_iteratorINSA_10device_ptrIjEEEEPS6_NSA_18transform_iteratorINSB_9not_fun_tINSA_8identityIjEEEESF_NSA_11use_defaultESM_EENS0_5tupleIJSF_S6_EEENSO_IJSG_SG_EEES6_PlJS6_EEE10hipError_tPvRmT3_T4_T5_T6_T7_T9_mT8_P12ihipStream_tbDpT10_ENKUlT_T0_E_clISt17integral_constantIbLb0EES1B_EEDaS16_S17_EUlS16_E_NS1_11comp_targetILNS1_3genE8ELNS1_11target_archE1030ELNS1_3gpuE2ELNS1_3repE0EEENS1_30default_config_static_selectorELNS0_4arch9wavefront6targetE0EEEvT1_ ; -- Begin function _ZN7rocprim17ROCPRIM_400000_NS6detail17trampoline_kernelINS0_14default_configENS1_25partition_config_selectorILNS1_17partition_subalgoE5EjNS0_10empty_typeEbEEZZNS1_14partition_implILS5_5ELb0ES3_mN6thrust23THRUST_200600_302600_NS6detail15normal_iteratorINSA_10device_ptrIjEEEEPS6_NSA_18transform_iteratorINSB_9not_fun_tINSA_8identityIjEEEESF_NSA_11use_defaultESM_EENS0_5tupleIJSF_S6_EEENSO_IJSG_SG_EEES6_PlJS6_EEE10hipError_tPvRmT3_T4_T5_T6_T7_T9_mT8_P12ihipStream_tbDpT10_ENKUlT_T0_E_clISt17integral_constantIbLb0EES1B_EEDaS16_S17_EUlS16_E_NS1_11comp_targetILNS1_3genE8ELNS1_11target_archE1030ELNS1_3gpuE2ELNS1_3repE0EEENS1_30default_config_static_selectorELNS0_4arch9wavefront6targetE0EEEvT1_
	.globl	_ZN7rocprim17ROCPRIM_400000_NS6detail17trampoline_kernelINS0_14default_configENS1_25partition_config_selectorILNS1_17partition_subalgoE5EjNS0_10empty_typeEbEEZZNS1_14partition_implILS5_5ELb0ES3_mN6thrust23THRUST_200600_302600_NS6detail15normal_iteratorINSA_10device_ptrIjEEEEPS6_NSA_18transform_iteratorINSB_9not_fun_tINSA_8identityIjEEEESF_NSA_11use_defaultESM_EENS0_5tupleIJSF_S6_EEENSO_IJSG_SG_EEES6_PlJS6_EEE10hipError_tPvRmT3_T4_T5_T6_T7_T9_mT8_P12ihipStream_tbDpT10_ENKUlT_T0_E_clISt17integral_constantIbLb0EES1B_EEDaS16_S17_EUlS16_E_NS1_11comp_targetILNS1_3genE8ELNS1_11target_archE1030ELNS1_3gpuE2ELNS1_3repE0EEENS1_30default_config_static_selectorELNS0_4arch9wavefront6targetE0EEEvT1_
	.p2align	8
	.type	_ZN7rocprim17ROCPRIM_400000_NS6detail17trampoline_kernelINS0_14default_configENS1_25partition_config_selectorILNS1_17partition_subalgoE5EjNS0_10empty_typeEbEEZZNS1_14partition_implILS5_5ELb0ES3_mN6thrust23THRUST_200600_302600_NS6detail15normal_iteratorINSA_10device_ptrIjEEEEPS6_NSA_18transform_iteratorINSB_9not_fun_tINSA_8identityIjEEEESF_NSA_11use_defaultESM_EENS0_5tupleIJSF_S6_EEENSO_IJSG_SG_EEES6_PlJS6_EEE10hipError_tPvRmT3_T4_T5_T6_T7_T9_mT8_P12ihipStream_tbDpT10_ENKUlT_T0_E_clISt17integral_constantIbLb0EES1B_EEDaS16_S17_EUlS16_E_NS1_11comp_targetILNS1_3genE8ELNS1_11target_archE1030ELNS1_3gpuE2ELNS1_3repE0EEENS1_30default_config_static_selectorELNS0_4arch9wavefront6targetE0EEEvT1_,@function
_ZN7rocprim17ROCPRIM_400000_NS6detail17trampoline_kernelINS0_14default_configENS1_25partition_config_selectorILNS1_17partition_subalgoE5EjNS0_10empty_typeEbEEZZNS1_14partition_implILS5_5ELb0ES3_mN6thrust23THRUST_200600_302600_NS6detail15normal_iteratorINSA_10device_ptrIjEEEEPS6_NSA_18transform_iteratorINSB_9not_fun_tINSA_8identityIjEEEESF_NSA_11use_defaultESM_EENS0_5tupleIJSF_S6_EEENSO_IJSG_SG_EEES6_PlJS6_EEE10hipError_tPvRmT3_T4_T5_T6_T7_T9_mT8_P12ihipStream_tbDpT10_ENKUlT_T0_E_clISt17integral_constantIbLb0EES1B_EEDaS16_S17_EUlS16_E_NS1_11comp_targetILNS1_3genE8ELNS1_11target_archE1030ELNS1_3gpuE2ELNS1_3repE0EEENS1_30default_config_static_selectorELNS0_4arch9wavefront6targetE0EEEvT1_: ; @_ZN7rocprim17ROCPRIM_400000_NS6detail17trampoline_kernelINS0_14default_configENS1_25partition_config_selectorILNS1_17partition_subalgoE5EjNS0_10empty_typeEbEEZZNS1_14partition_implILS5_5ELb0ES3_mN6thrust23THRUST_200600_302600_NS6detail15normal_iteratorINSA_10device_ptrIjEEEEPS6_NSA_18transform_iteratorINSB_9not_fun_tINSA_8identityIjEEEESF_NSA_11use_defaultESM_EENS0_5tupleIJSF_S6_EEENSO_IJSG_SG_EEES6_PlJS6_EEE10hipError_tPvRmT3_T4_T5_T6_T7_T9_mT8_P12ihipStream_tbDpT10_ENKUlT_T0_E_clISt17integral_constantIbLb0EES1B_EEDaS16_S17_EUlS16_E_NS1_11comp_targetILNS1_3genE8ELNS1_11target_archE1030ELNS1_3gpuE2ELNS1_3repE0EEENS1_30default_config_static_selectorELNS0_4arch9wavefront6targetE0EEEvT1_
; %bb.0:
	.section	.rodata,"a",@progbits
	.p2align	6, 0x0
	.amdhsa_kernel _ZN7rocprim17ROCPRIM_400000_NS6detail17trampoline_kernelINS0_14default_configENS1_25partition_config_selectorILNS1_17partition_subalgoE5EjNS0_10empty_typeEbEEZZNS1_14partition_implILS5_5ELb0ES3_mN6thrust23THRUST_200600_302600_NS6detail15normal_iteratorINSA_10device_ptrIjEEEEPS6_NSA_18transform_iteratorINSB_9not_fun_tINSA_8identityIjEEEESF_NSA_11use_defaultESM_EENS0_5tupleIJSF_S6_EEENSO_IJSG_SG_EEES6_PlJS6_EEE10hipError_tPvRmT3_T4_T5_T6_T7_T9_mT8_P12ihipStream_tbDpT10_ENKUlT_T0_E_clISt17integral_constantIbLb0EES1B_EEDaS16_S17_EUlS16_E_NS1_11comp_targetILNS1_3genE8ELNS1_11target_archE1030ELNS1_3gpuE2ELNS1_3repE0EEENS1_30default_config_static_selectorELNS0_4arch9wavefront6targetE0EEEvT1_
		.amdhsa_group_segment_fixed_size 0
		.amdhsa_private_segment_fixed_size 0
		.amdhsa_kernarg_size 120
		.amdhsa_user_sgpr_count 2
		.amdhsa_user_sgpr_dispatch_ptr 0
		.amdhsa_user_sgpr_queue_ptr 0
		.amdhsa_user_sgpr_kernarg_segment_ptr 1
		.amdhsa_user_sgpr_dispatch_id 0
		.amdhsa_user_sgpr_private_segment_size 0
		.amdhsa_wavefront_size32 1
		.amdhsa_uses_dynamic_stack 0
		.amdhsa_enable_private_segment 0
		.amdhsa_system_sgpr_workgroup_id_x 1
		.amdhsa_system_sgpr_workgroup_id_y 0
		.amdhsa_system_sgpr_workgroup_id_z 0
		.amdhsa_system_sgpr_workgroup_info 0
		.amdhsa_system_vgpr_workitem_id 0
		.amdhsa_next_free_vgpr 1
		.amdhsa_next_free_sgpr 1
		.amdhsa_reserve_vcc 0
		.amdhsa_float_round_mode_32 0
		.amdhsa_float_round_mode_16_64 0
		.amdhsa_float_denorm_mode_32 3
		.amdhsa_float_denorm_mode_16_64 3
		.amdhsa_fp16_overflow 0
		.amdhsa_workgroup_processor_mode 1
		.amdhsa_memory_ordered 1
		.amdhsa_forward_progress 1
		.amdhsa_inst_pref_size 0
		.amdhsa_round_robin_scheduling 0
		.amdhsa_exception_fp_ieee_invalid_op 0
		.amdhsa_exception_fp_denorm_src 0
		.amdhsa_exception_fp_ieee_div_zero 0
		.amdhsa_exception_fp_ieee_overflow 0
		.amdhsa_exception_fp_ieee_underflow 0
		.amdhsa_exception_fp_ieee_inexact 0
		.amdhsa_exception_int_div_zero 0
	.end_amdhsa_kernel
	.section	.text._ZN7rocprim17ROCPRIM_400000_NS6detail17trampoline_kernelINS0_14default_configENS1_25partition_config_selectorILNS1_17partition_subalgoE5EjNS0_10empty_typeEbEEZZNS1_14partition_implILS5_5ELb0ES3_mN6thrust23THRUST_200600_302600_NS6detail15normal_iteratorINSA_10device_ptrIjEEEEPS6_NSA_18transform_iteratorINSB_9not_fun_tINSA_8identityIjEEEESF_NSA_11use_defaultESM_EENS0_5tupleIJSF_S6_EEENSO_IJSG_SG_EEES6_PlJS6_EEE10hipError_tPvRmT3_T4_T5_T6_T7_T9_mT8_P12ihipStream_tbDpT10_ENKUlT_T0_E_clISt17integral_constantIbLb0EES1B_EEDaS16_S17_EUlS16_E_NS1_11comp_targetILNS1_3genE8ELNS1_11target_archE1030ELNS1_3gpuE2ELNS1_3repE0EEENS1_30default_config_static_selectorELNS0_4arch9wavefront6targetE0EEEvT1_,"axG",@progbits,_ZN7rocprim17ROCPRIM_400000_NS6detail17trampoline_kernelINS0_14default_configENS1_25partition_config_selectorILNS1_17partition_subalgoE5EjNS0_10empty_typeEbEEZZNS1_14partition_implILS5_5ELb0ES3_mN6thrust23THRUST_200600_302600_NS6detail15normal_iteratorINSA_10device_ptrIjEEEEPS6_NSA_18transform_iteratorINSB_9not_fun_tINSA_8identityIjEEEESF_NSA_11use_defaultESM_EENS0_5tupleIJSF_S6_EEENSO_IJSG_SG_EEES6_PlJS6_EEE10hipError_tPvRmT3_T4_T5_T6_T7_T9_mT8_P12ihipStream_tbDpT10_ENKUlT_T0_E_clISt17integral_constantIbLb0EES1B_EEDaS16_S17_EUlS16_E_NS1_11comp_targetILNS1_3genE8ELNS1_11target_archE1030ELNS1_3gpuE2ELNS1_3repE0EEENS1_30default_config_static_selectorELNS0_4arch9wavefront6targetE0EEEvT1_,comdat
.Lfunc_end892:
	.size	_ZN7rocprim17ROCPRIM_400000_NS6detail17trampoline_kernelINS0_14default_configENS1_25partition_config_selectorILNS1_17partition_subalgoE5EjNS0_10empty_typeEbEEZZNS1_14partition_implILS5_5ELb0ES3_mN6thrust23THRUST_200600_302600_NS6detail15normal_iteratorINSA_10device_ptrIjEEEEPS6_NSA_18transform_iteratorINSB_9not_fun_tINSA_8identityIjEEEESF_NSA_11use_defaultESM_EENS0_5tupleIJSF_S6_EEENSO_IJSG_SG_EEES6_PlJS6_EEE10hipError_tPvRmT3_T4_T5_T6_T7_T9_mT8_P12ihipStream_tbDpT10_ENKUlT_T0_E_clISt17integral_constantIbLb0EES1B_EEDaS16_S17_EUlS16_E_NS1_11comp_targetILNS1_3genE8ELNS1_11target_archE1030ELNS1_3gpuE2ELNS1_3repE0EEENS1_30default_config_static_selectorELNS0_4arch9wavefront6targetE0EEEvT1_, .Lfunc_end892-_ZN7rocprim17ROCPRIM_400000_NS6detail17trampoline_kernelINS0_14default_configENS1_25partition_config_selectorILNS1_17partition_subalgoE5EjNS0_10empty_typeEbEEZZNS1_14partition_implILS5_5ELb0ES3_mN6thrust23THRUST_200600_302600_NS6detail15normal_iteratorINSA_10device_ptrIjEEEEPS6_NSA_18transform_iteratorINSB_9not_fun_tINSA_8identityIjEEEESF_NSA_11use_defaultESM_EENS0_5tupleIJSF_S6_EEENSO_IJSG_SG_EEES6_PlJS6_EEE10hipError_tPvRmT3_T4_T5_T6_T7_T9_mT8_P12ihipStream_tbDpT10_ENKUlT_T0_E_clISt17integral_constantIbLb0EES1B_EEDaS16_S17_EUlS16_E_NS1_11comp_targetILNS1_3genE8ELNS1_11target_archE1030ELNS1_3gpuE2ELNS1_3repE0EEENS1_30default_config_static_selectorELNS0_4arch9wavefront6targetE0EEEvT1_
                                        ; -- End function
	.set _ZN7rocprim17ROCPRIM_400000_NS6detail17trampoline_kernelINS0_14default_configENS1_25partition_config_selectorILNS1_17partition_subalgoE5EjNS0_10empty_typeEbEEZZNS1_14partition_implILS5_5ELb0ES3_mN6thrust23THRUST_200600_302600_NS6detail15normal_iteratorINSA_10device_ptrIjEEEEPS6_NSA_18transform_iteratorINSB_9not_fun_tINSA_8identityIjEEEESF_NSA_11use_defaultESM_EENS0_5tupleIJSF_S6_EEENSO_IJSG_SG_EEES6_PlJS6_EEE10hipError_tPvRmT3_T4_T5_T6_T7_T9_mT8_P12ihipStream_tbDpT10_ENKUlT_T0_E_clISt17integral_constantIbLb0EES1B_EEDaS16_S17_EUlS16_E_NS1_11comp_targetILNS1_3genE8ELNS1_11target_archE1030ELNS1_3gpuE2ELNS1_3repE0EEENS1_30default_config_static_selectorELNS0_4arch9wavefront6targetE0EEEvT1_.num_vgpr, 0
	.set _ZN7rocprim17ROCPRIM_400000_NS6detail17trampoline_kernelINS0_14default_configENS1_25partition_config_selectorILNS1_17partition_subalgoE5EjNS0_10empty_typeEbEEZZNS1_14partition_implILS5_5ELb0ES3_mN6thrust23THRUST_200600_302600_NS6detail15normal_iteratorINSA_10device_ptrIjEEEEPS6_NSA_18transform_iteratorINSB_9not_fun_tINSA_8identityIjEEEESF_NSA_11use_defaultESM_EENS0_5tupleIJSF_S6_EEENSO_IJSG_SG_EEES6_PlJS6_EEE10hipError_tPvRmT3_T4_T5_T6_T7_T9_mT8_P12ihipStream_tbDpT10_ENKUlT_T0_E_clISt17integral_constantIbLb0EES1B_EEDaS16_S17_EUlS16_E_NS1_11comp_targetILNS1_3genE8ELNS1_11target_archE1030ELNS1_3gpuE2ELNS1_3repE0EEENS1_30default_config_static_selectorELNS0_4arch9wavefront6targetE0EEEvT1_.num_agpr, 0
	.set _ZN7rocprim17ROCPRIM_400000_NS6detail17trampoline_kernelINS0_14default_configENS1_25partition_config_selectorILNS1_17partition_subalgoE5EjNS0_10empty_typeEbEEZZNS1_14partition_implILS5_5ELb0ES3_mN6thrust23THRUST_200600_302600_NS6detail15normal_iteratorINSA_10device_ptrIjEEEEPS6_NSA_18transform_iteratorINSB_9not_fun_tINSA_8identityIjEEEESF_NSA_11use_defaultESM_EENS0_5tupleIJSF_S6_EEENSO_IJSG_SG_EEES6_PlJS6_EEE10hipError_tPvRmT3_T4_T5_T6_T7_T9_mT8_P12ihipStream_tbDpT10_ENKUlT_T0_E_clISt17integral_constantIbLb0EES1B_EEDaS16_S17_EUlS16_E_NS1_11comp_targetILNS1_3genE8ELNS1_11target_archE1030ELNS1_3gpuE2ELNS1_3repE0EEENS1_30default_config_static_selectorELNS0_4arch9wavefront6targetE0EEEvT1_.numbered_sgpr, 0
	.set _ZN7rocprim17ROCPRIM_400000_NS6detail17trampoline_kernelINS0_14default_configENS1_25partition_config_selectorILNS1_17partition_subalgoE5EjNS0_10empty_typeEbEEZZNS1_14partition_implILS5_5ELb0ES3_mN6thrust23THRUST_200600_302600_NS6detail15normal_iteratorINSA_10device_ptrIjEEEEPS6_NSA_18transform_iteratorINSB_9not_fun_tINSA_8identityIjEEEESF_NSA_11use_defaultESM_EENS0_5tupleIJSF_S6_EEENSO_IJSG_SG_EEES6_PlJS6_EEE10hipError_tPvRmT3_T4_T5_T6_T7_T9_mT8_P12ihipStream_tbDpT10_ENKUlT_T0_E_clISt17integral_constantIbLb0EES1B_EEDaS16_S17_EUlS16_E_NS1_11comp_targetILNS1_3genE8ELNS1_11target_archE1030ELNS1_3gpuE2ELNS1_3repE0EEENS1_30default_config_static_selectorELNS0_4arch9wavefront6targetE0EEEvT1_.num_named_barrier, 0
	.set _ZN7rocprim17ROCPRIM_400000_NS6detail17trampoline_kernelINS0_14default_configENS1_25partition_config_selectorILNS1_17partition_subalgoE5EjNS0_10empty_typeEbEEZZNS1_14partition_implILS5_5ELb0ES3_mN6thrust23THRUST_200600_302600_NS6detail15normal_iteratorINSA_10device_ptrIjEEEEPS6_NSA_18transform_iteratorINSB_9not_fun_tINSA_8identityIjEEEESF_NSA_11use_defaultESM_EENS0_5tupleIJSF_S6_EEENSO_IJSG_SG_EEES6_PlJS6_EEE10hipError_tPvRmT3_T4_T5_T6_T7_T9_mT8_P12ihipStream_tbDpT10_ENKUlT_T0_E_clISt17integral_constantIbLb0EES1B_EEDaS16_S17_EUlS16_E_NS1_11comp_targetILNS1_3genE8ELNS1_11target_archE1030ELNS1_3gpuE2ELNS1_3repE0EEENS1_30default_config_static_selectorELNS0_4arch9wavefront6targetE0EEEvT1_.private_seg_size, 0
	.set _ZN7rocprim17ROCPRIM_400000_NS6detail17trampoline_kernelINS0_14default_configENS1_25partition_config_selectorILNS1_17partition_subalgoE5EjNS0_10empty_typeEbEEZZNS1_14partition_implILS5_5ELb0ES3_mN6thrust23THRUST_200600_302600_NS6detail15normal_iteratorINSA_10device_ptrIjEEEEPS6_NSA_18transform_iteratorINSB_9not_fun_tINSA_8identityIjEEEESF_NSA_11use_defaultESM_EENS0_5tupleIJSF_S6_EEENSO_IJSG_SG_EEES6_PlJS6_EEE10hipError_tPvRmT3_T4_T5_T6_T7_T9_mT8_P12ihipStream_tbDpT10_ENKUlT_T0_E_clISt17integral_constantIbLb0EES1B_EEDaS16_S17_EUlS16_E_NS1_11comp_targetILNS1_3genE8ELNS1_11target_archE1030ELNS1_3gpuE2ELNS1_3repE0EEENS1_30default_config_static_selectorELNS0_4arch9wavefront6targetE0EEEvT1_.uses_vcc, 0
	.set _ZN7rocprim17ROCPRIM_400000_NS6detail17trampoline_kernelINS0_14default_configENS1_25partition_config_selectorILNS1_17partition_subalgoE5EjNS0_10empty_typeEbEEZZNS1_14partition_implILS5_5ELb0ES3_mN6thrust23THRUST_200600_302600_NS6detail15normal_iteratorINSA_10device_ptrIjEEEEPS6_NSA_18transform_iteratorINSB_9not_fun_tINSA_8identityIjEEEESF_NSA_11use_defaultESM_EENS0_5tupleIJSF_S6_EEENSO_IJSG_SG_EEES6_PlJS6_EEE10hipError_tPvRmT3_T4_T5_T6_T7_T9_mT8_P12ihipStream_tbDpT10_ENKUlT_T0_E_clISt17integral_constantIbLb0EES1B_EEDaS16_S17_EUlS16_E_NS1_11comp_targetILNS1_3genE8ELNS1_11target_archE1030ELNS1_3gpuE2ELNS1_3repE0EEENS1_30default_config_static_selectorELNS0_4arch9wavefront6targetE0EEEvT1_.uses_flat_scratch, 0
	.set _ZN7rocprim17ROCPRIM_400000_NS6detail17trampoline_kernelINS0_14default_configENS1_25partition_config_selectorILNS1_17partition_subalgoE5EjNS0_10empty_typeEbEEZZNS1_14partition_implILS5_5ELb0ES3_mN6thrust23THRUST_200600_302600_NS6detail15normal_iteratorINSA_10device_ptrIjEEEEPS6_NSA_18transform_iteratorINSB_9not_fun_tINSA_8identityIjEEEESF_NSA_11use_defaultESM_EENS0_5tupleIJSF_S6_EEENSO_IJSG_SG_EEES6_PlJS6_EEE10hipError_tPvRmT3_T4_T5_T6_T7_T9_mT8_P12ihipStream_tbDpT10_ENKUlT_T0_E_clISt17integral_constantIbLb0EES1B_EEDaS16_S17_EUlS16_E_NS1_11comp_targetILNS1_3genE8ELNS1_11target_archE1030ELNS1_3gpuE2ELNS1_3repE0EEENS1_30default_config_static_selectorELNS0_4arch9wavefront6targetE0EEEvT1_.has_dyn_sized_stack, 0
	.set _ZN7rocprim17ROCPRIM_400000_NS6detail17trampoline_kernelINS0_14default_configENS1_25partition_config_selectorILNS1_17partition_subalgoE5EjNS0_10empty_typeEbEEZZNS1_14partition_implILS5_5ELb0ES3_mN6thrust23THRUST_200600_302600_NS6detail15normal_iteratorINSA_10device_ptrIjEEEEPS6_NSA_18transform_iteratorINSB_9not_fun_tINSA_8identityIjEEEESF_NSA_11use_defaultESM_EENS0_5tupleIJSF_S6_EEENSO_IJSG_SG_EEES6_PlJS6_EEE10hipError_tPvRmT3_T4_T5_T6_T7_T9_mT8_P12ihipStream_tbDpT10_ENKUlT_T0_E_clISt17integral_constantIbLb0EES1B_EEDaS16_S17_EUlS16_E_NS1_11comp_targetILNS1_3genE8ELNS1_11target_archE1030ELNS1_3gpuE2ELNS1_3repE0EEENS1_30default_config_static_selectorELNS0_4arch9wavefront6targetE0EEEvT1_.has_recursion, 0
	.set _ZN7rocprim17ROCPRIM_400000_NS6detail17trampoline_kernelINS0_14default_configENS1_25partition_config_selectorILNS1_17partition_subalgoE5EjNS0_10empty_typeEbEEZZNS1_14partition_implILS5_5ELb0ES3_mN6thrust23THRUST_200600_302600_NS6detail15normal_iteratorINSA_10device_ptrIjEEEEPS6_NSA_18transform_iteratorINSB_9not_fun_tINSA_8identityIjEEEESF_NSA_11use_defaultESM_EENS0_5tupleIJSF_S6_EEENSO_IJSG_SG_EEES6_PlJS6_EEE10hipError_tPvRmT3_T4_T5_T6_T7_T9_mT8_P12ihipStream_tbDpT10_ENKUlT_T0_E_clISt17integral_constantIbLb0EES1B_EEDaS16_S17_EUlS16_E_NS1_11comp_targetILNS1_3genE8ELNS1_11target_archE1030ELNS1_3gpuE2ELNS1_3repE0EEENS1_30default_config_static_selectorELNS0_4arch9wavefront6targetE0EEEvT1_.has_indirect_call, 0
	.section	.AMDGPU.csdata,"",@progbits
; Kernel info:
; codeLenInByte = 0
; TotalNumSgprs: 0
; NumVgprs: 0
; ScratchSize: 0
; MemoryBound: 0
; FloatMode: 240
; IeeeMode: 1
; LDSByteSize: 0 bytes/workgroup (compile time only)
; SGPRBlocks: 0
; VGPRBlocks: 0
; NumSGPRsForWavesPerEU: 1
; NumVGPRsForWavesPerEU: 1
; Occupancy: 16
; WaveLimiterHint : 0
; COMPUTE_PGM_RSRC2:SCRATCH_EN: 0
; COMPUTE_PGM_RSRC2:USER_SGPR: 2
; COMPUTE_PGM_RSRC2:TRAP_HANDLER: 0
; COMPUTE_PGM_RSRC2:TGID_X_EN: 1
; COMPUTE_PGM_RSRC2:TGID_Y_EN: 0
; COMPUTE_PGM_RSRC2:TGID_Z_EN: 0
; COMPUTE_PGM_RSRC2:TIDIG_COMP_CNT: 0
	.section	.text._ZN7rocprim17ROCPRIM_400000_NS6detail17trampoline_kernelINS0_14default_configENS1_25partition_config_selectorILNS1_17partition_subalgoE5EjNS0_10empty_typeEbEEZZNS1_14partition_implILS5_5ELb0ES3_mN6thrust23THRUST_200600_302600_NS6detail15normal_iteratorINSA_10device_ptrIjEEEEPS6_NSA_18transform_iteratorINSB_9not_fun_tINSA_8identityIjEEEESF_NSA_11use_defaultESM_EENS0_5tupleIJSF_S6_EEENSO_IJSG_SG_EEES6_PlJS6_EEE10hipError_tPvRmT3_T4_T5_T6_T7_T9_mT8_P12ihipStream_tbDpT10_ENKUlT_T0_E_clISt17integral_constantIbLb1EES1B_EEDaS16_S17_EUlS16_E_NS1_11comp_targetILNS1_3genE0ELNS1_11target_archE4294967295ELNS1_3gpuE0ELNS1_3repE0EEENS1_30default_config_static_selectorELNS0_4arch9wavefront6targetE0EEEvT1_,"axG",@progbits,_ZN7rocprim17ROCPRIM_400000_NS6detail17trampoline_kernelINS0_14default_configENS1_25partition_config_selectorILNS1_17partition_subalgoE5EjNS0_10empty_typeEbEEZZNS1_14partition_implILS5_5ELb0ES3_mN6thrust23THRUST_200600_302600_NS6detail15normal_iteratorINSA_10device_ptrIjEEEEPS6_NSA_18transform_iteratorINSB_9not_fun_tINSA_8identityIjEEEESF_NSA_11use_defaultESM_EENS0_5tupleIJSF_S6_EEENSO_IJSG_SG_EEES6_PlJS6_EEE10hipError_tPvRmT3_T4_T5_T6_T7_T9_mT8_P12ihipStream_tbDpT10_ENKUlT_T0_E_clISt17integral_constantIbLb1EES1B_EEDaS16_S17_EUlS16_E_NS1_11comp_targetILNS1_3genE0ELNS1_11target_archE4294967295ELNS1_3gpuE0ELNS1_3repE0EEENS1_30default_config_static_selectorELNS0_4arch9wavefront6targetE0EEEvT1_,comdat
	.protected	_ZN7rocprim17ROCPRIM_400000_NS6detail17trampoline_kernelINS0_14default_configENS1_25partition_config_selectorILNS1_17partition_subalgoE5EjNS0_10empty_typeEbEEZZNS1_14partition_implILS5_5ELb0ES3_mN6thrust23THRUST_200600_302600_NS6detail15normal_iteratorINSA_10device_ptrIjEEEEPS6_NSA_18transform_iteratorINSB_9not_fun_tINSA_8identityIjEEEESF_NSA_11use_defaultESM_EENS0_5tupleIJSF_S6_EEENSO_IJSG_SG_EEES6_PlJS6_EEE10hipError_tPvRmT3_T4_T5_T6_T7_T9_mT8_P12ihipStream_tbDpT10_ENKUlT_T0_E_clISt17integral_constantIbLb1EES1B_EEDaS16_S17_EUlS16_E_NS1_11comp_targetILNS1_3genE0ELNS1_11target_archE4294967295ELNS1_3gpuE0ELNS1_3repE0EEENS1_30default_config_static_selectorELNS0_4arch9wavefront6targetE0EEEvT1_ ; -- Begin function _ZN7rocprim17ROCPRIM_400000_NS6detail17trampoline_kernelINS0_14default_configENS1_25partition_config_selectorILNS1_17partition_subalgoE5EjNS0_10empty_typeEbEEZZNS1_14partition_implILS5_5ELb0ES3_mN6thrust23THRUST_200600_302600_NS6detail15normal_iteratorINSA_10device_ptrIjEEEEPS6_NSA_18transform_iteratorINSB_9not_fun_tINSA_8identityIjEEEESF_NSA_11use_defaultESM_EENS0_5tupleIJSF_S6_EEENSO_IJSG_SG_EEES6_PlJS6_EEE10hipError_tPvRmT3_T4_T5_T6_T7_T9_mT8_P12ihipStream_tbDpT10_ENKUlT_T0_E_clISt17integral_constantIbLb1EES1B_EEDaS16_S17_EUlS16_E_NS1_11comp_targetILNS1_3genE0ELNS1_11target_archE4294967295ELNS1_3gpuE0ELNS1_3repE0EEENS1_30default_config_static_selectorELNS0_4arch9wavefront6targetE0EEEvT1_
	.globl	_ZN7rocprim17ROCPRIM_400000_NS6detail17trampoline_kernelINS0_14default_configENS1_25partition_config_selectorILNS1_17partition_subalgoE5EjNS0_10empty_typeEbEEZZNS1_14partition_implILS5_5ELb0ES3_mN6thrust23THRUST_200600_302600_NS6detail15normal_iteratorINSA_10device_ptrIjEEEEPS6_NSA_18transform_iteratorINSB_9not_fun_tINSA_8identityIjEEEESF_NSA_11use_defaultESM_EENS0_5tupleIJSF_S6_EEENSO_IJSG_SG_EEES6_PlJS6_EEE10hipError_tPvRmT3_T4_T5_T6_T7_T9_mT8_P12ihipStream_tbDpT10_ENKUlT_T0_E_clISt17integral_constantIbLb1EES1B_EEDaS16_S17_EUlS16_E_NS1_11comp_targetILNS1_3genE0ELNS1_11target_archE4294967295ELNS1_3gpuE0ELNS1_3repE0EEENS1_30default_config_static_selectorELNS0_4arch9wavefront6targetE0EEEvT1_
	.p2align	8
	.type	_ZN7rocprim17ROCPRIM_400000_NS6detail17trampoline_kernelINS0_14default_configENS1_25partition_config_selectorILNS1_17partition_subalgoE5EjNS0_10empty_typeEbEEZZNS1_14partition_implILS5_5ELb0ES3_mN6thrust23THRUST_200600_302600_NS6detail15normal_iteratorINSA_10device_ptrIjEEEEPS6_NSA_18transform_iteratorINSB_9not_fun_tINSA_8identityIjEEEESF_NSA_11use_defaultESM_EENS0_5tupleIJSF_S6_EEENSO_IJSG_SG_EEES6_PlJS6_EEE10hipError_tPvRmT3_T4_T5_T6_T7_T9_mT8_P12ihipStream_tbDpT10_ENKUlT_T0_E_clISt17integral_constantIbLb1EES1B_EEDaS16_S17_EUlS16_E_NS1_11comp_targetILNS1_3genE0ELNS1_11target_archE4294967295ELNS1_3gpuE0ELNS1_3repE0EEENS1_30default_config_static_selectorELNS0_4arch9wavefront6targetE0EEEvT1_,@function
_ZN7rocprim17ROCPRIM_400000_NS6detail17trampoline_kernelINS0_14default_configENS1_25partition_config_selectorILNS1_17partition_subalgoE5EjNS0_10empty_typeEbEEZZNS1_14partition_implILS5_5ELb0ES3_mN6thrust23THRUST_200600_302600_NS6detail15normal_iteratorINSA_10device_ptrIjEEEEPS6_NSA_18transform_iteratorINSB_9not_fun_tINSA_8identityIjEEEESF_NSA_11use_defaultESM_EENS0_5tupleIJSF_S6_EEENSO_IJSG_SG_EEES6_PlJS6_EEE10hipError_tPvRmT3_T4_T5_T6_T7_T9_mT8_P12ihipStream_tbDpT10_ENKUlT_T0_E_clISt17integral_constantIbLb1EES1B_EEDaS16_S17_EUlS16_E_NS1_11comp_targetILNS1_3genE0ELNS1_11target_archE4294967295ELNS1_3gpuE0ELNS1_3repE0EEENS1_30default_config_static_selectorELNS0_4arch9wavefront6targetE0EEEvT1_: ; @_ZN7rocprim17ROCPRIM_400000_NS6detail17trampoline_kernelINS0_14default_configENS1_25partition_config_selectorILNS1_17partition_subalgoE5EjNS0_10empty_typeEbEEZZNS1_14partition_implILS5_5ELb0ES3_mN6thrust23THRUST_200600_302600_NS6detail15normal_iteratorINSA_10device_ptrIjEEEEPS6_NSA_18transform_iteratorINSB_9not_fun_tINSA_8identityIjEEEESF_NSA_11use_defaultESM_EENS0_5tupleIJSF_S6_EEENSO_IJSG_SG_EEES6_PlJS6_EEE10hipError_tPvRmT3_T4_T5_T6_T7_T9_mT8_P12ihipStream_tbDpT10_ENKUlT_T0_E_clISt17integral_constantIbLb1EES1B_EEDaS16_S17_EUlS16_E_NS1_11comp_targetILNS1_3genE0ELNS1_11target_archE4294967295ELNS1_3gpuE0ELNS1_3repE0EEENS1_30default_config_static_selectorELNS0_4arch9wavefront6targetE0EEEvT1_
; %bb.0:
	.section	.rodata,"a",@progbits
	.p2align	6, 0x0
	.amdhsa_kernel _ZN7rocprim17ROCPRIM_400000_NS6detail17trampoline_kernelINS0_14default_configENS1_25partition_config_selectorILNS1_17partition_subalgoE5EjNS0_10empty_typeEbEEZZNS1_14partition_implILS5_5ELb0ES3_mN6thrust23THRUST_200600_302600_NS6detail15normal_iteratorINSA_10device_ptrIjEEEEPS6_NSA_18transform_iteratorINSB_9not_fun_tINSA_8identityIjEEEESF_NSA_11use_defaultESM_EENS0_5tupleIJSF_S6_EEENSO_IJSG_SG_EEES6_PlJS6_EEE10hipError_tPvRmT3_T4_T5_T6_T7_T9_mT8_P12ihipStream_tbDpT10_ENKUlT_T0_E_clISt17integral_constantIbLb1EES1B_EEDaS16_S17_EUlS16_E_NS1_11comp_targetILNS1_3genE0ELNS1_11target_archE4294967295ELNS1_3gpuE0ELNS1_3repE0EEENS1_30default_config_static_selectorELNS0_4arch9wavefront6targetE0EEEvT1_
		.amdhsa_group_segment_fixed_size 0
		.amdhsa_private_segment_fixed_size 0
		.amdhsa_kernarg_size 136
		.amdhsa_user_sgpr_count 2
		.amdhsa_user_sgpr_dispatch_ptr 0
		.amdhsa_user_sgpr_queue_ptr 0
		.amdhsa_user_sgpr_kernarg_segment_ptr 1
		.amdhsa_user_sgpr_dispatch_id 0
		.amdhsa_user_sgpr_private_segment_size 0
		.amdhsa_wavefront_size32 1
		.amdhsa_uses_dynamic_stack 0
		.amdhsa_enable_private_segment 0
		.amdhsa_system_sgpr_workgroup_id_x 1
		.amdhsa_system_sgpr_workgroup_id_y 0
		.amdhsa_system_sgpr_workgroup_id_z 0
		.amdhsa_system_sgpr_workgroup_info 0
		.amdhsa_system_vgpr_workitem_id 0
		.amdhsa_next_free_vgpr 1
		.amdhsa_next_free_sgpr 1
		.amdhsa_reserve_vcc 0
		.amdhsa_float_round_mode_32 0
		.amdhsa_float_round_mode_16_64 0
		.amdhsa_float_denorm_mode_32 3
		.amdhsa_float_denorm_mode_16_64 3
		.amdhsa_fp16_overflow 0
		.amdhsa_workgroup_processor_mode 1
		.amdhsa_memory_ordered 1
		.amdhsa_forward_progress 1
		.amdhsa_inst_pref_size 0
		.amdhsa_round_robin_scheduling 0
		.amdhsa_exception_fp_ieee_invalid_op 0
		.amdhsa_exception_fp_denorm_src 0
		.amdhsa_exception_fp_ieee_div_zero 0
		.amdhsa_exception_fp_ieee_overflow 0
		.amdhsa_exception_fp_ieee_underflow 0
		.amdhsa_exception_fp_ieee_inexact 0
		.amdhsa_exception_int_div_zero 0
	.end_amdhsa_kernel
	.section	.text._ZN7rocprim17ROCPRIM_400000_NS6detail17trampoline_kernelINS0_14default_configENS1_25partition_config_selectorILNS1_17partition_subalgoE5EjNS0_10empty_typeEbEEZZNS1_14partition_implILS5_5ELb0ES3_mN6thrust23THRUST_200600_302600_NS6detail15normal_iteratorINSA_10device_ptrIjEEEEPS6_NSA_18transform_iteratorINSB_9not_fun_tINSA_8identityIjEEEESF_NSA_11use_defaultESM_EENS0_5tupleIJSF_S6_EEENSO_IJSG_SG_EEES6_PlJS6_EEE10hipError_tPvRmT3_T4_T5_T6_T7_T9_mT8_P12ihipStream_tbDpT10_ENKUlT_T0_E_clISt17integral_constantIbLb1EES1B_EEDaS16_S17_EUlS16_E_NS1_11comp_targetILNS1_3genE0ELNS1_11target_archE4294967295ELNS1_3gpuE0ELNS1_3repE0EEENS1_30default_config_static_selectorELNS0_4arch9wavefront6targetE0EEEvT1_,"axG",@progbits,_ZN7rocprim17ROCPRIM_400000_NS6detail17trampoline_kernelINS0_14default_configENS1_25partition_config_selectorILNS1_17partition_subalgoE5EjNS0_10empty_typeEbEEZZNS1_14partition_implILS5_5ELb0ES3_mN6thrust23THRUST_200600_302600_NS6detail15normal_iteratorINSA_10device_ptrIjEEEEPS6_NSA_18transform_iteratorINSB_9not_fun_tINSA_8identityIjEEEESF_NSA_11use_defaultESM_EENS0_5tupleIJSF_S6_EEENSO_IJSG_SG_EEES6_PlJS6_EEE10hipError_tPvRmT3_T4_T5_T6_T7_T9_mT8_P12ihipStream_tbDpT10_ENKUlT_T0_E_clISt17integral_constantIbLb1EES1B_EEDaS16_S17_EUlS16_E_NS1_11comp_targetILNS1_3genE0ELNS1_11target_archE4294967295ELNS1_3gpuE0ELNS1_3repE0EEENS1_30default_config_static_selectorELNS0_4arch9wavefront6targetE0EEEvT1_,comdat
.Lfunc_end893:
	.size	_ZN7rocprim17ROCPRIM_400000_NS6detail17trampoline_kernelINS0_14default_configENS1_25partition_config_selectorILNS1_17partition_subalgoE5EjNS0_10empty_typeEbEEZZNS1_14partition_implILS5_5ELb0ES3_mN6thrust23THRUST_200600_302600_NS6detail15normal_iteratorINSA_10device_ptrIjEEEEPS6_NSA_18transform_iteratorINSB_9not_fun_tINSA_8identityIjEEEESF_NSA_11use_defaultESM_EENS0_5tupleIJSF_S6_EEENSO_IJSG_SG_EEES6_PlJS6_EEE10hipError_tPvRmT3_T4_T5_T6_T7_T9_mT8_P12ihipStream_tbDpT10_ENKUlT_T0_E_clISt17integral_constantIbLb1EES1B_EEDaS16_S17_EUlS16_E_NS1_11comp_targetILNS1_3genE0ELNS1_11target_archE4294967295ELNS1_3gpuE0ELNS1_3repE0EEENS1_30default_config_static_selectorELNS0_4arch9wavefront6targetE0EEEvT1_, .Lfunc_end893-_ZN7rocprim17ROCPRIM_400000_NS6detail17trampoline_kernelINS0_14default_configENS1_25partition_config_selectorILNS1_17partition_subalgoE5EjNS0_10empty_typeEbEEZZNS1_14partition_implILS5_5ELb0ES3_mN6thrust23THRUST_200600_302600_NS6detail15normal_iteratorINSA_10device_ptrIjEEEEPS6_NSA_18transform_iteratorINSB_9not_fun_tINSA_8identityIjEEEESF_NSA_11use_defaultESM_EENS0_5tupleIJSF_S6_EEENSO_IJSG_SG_EEES6_PlJS6_EEE10hipError_tPvRmT3_T4_T5_T6_T7_T9_mT8_P12ihipStream_tbDpT10_ENKUlT_T0_E_clISt17integral_constantIbLb1EES1B_EEDaS16_S17_EUlS16_E_NS1_11comp_targetILNS1_3genE0ELNS1_11target_archE4294967295ELNS1_3gpuE0ELNS1_3repE0EEENS1_30default_config_static_selectorELNS0_4arch9wavefront6targetE0EEEvT1_
                                        ; -- End function
	.set _ZN7rocprim17ROCPRIM_400000_NS6detail17trampoline_kernelINS0_14default_configENS1_25partition_config_selectorILNS1_17partition_subalgoE5EjNS0_10empty_typeEbEEZZNS1_14partition_implILS5_5ELb0ES3_mN6thrust23THRUST_200600_302600_NS6detail15normal_iteratorINSA_10device_ptrIjEEEEPS6_NSA_18transform_iteratorINSB_9not_fun_tINSA_8identityIjEEEESF_NSA_11use_defaultESM_EENS0_5tupleIJSF_S6_EEENSO_IJSG_SG_EEES6_PlJS6_EEE10hipError_tPvRmT3_T4_T5_T6_T7_T9_mT8_P12ihipStream_tbDpT10_ENKUlT_T0_E_clISt17integral_constantIbLb1EES1B_EEDaS16_S17_EUlS16_E_NS1_11comp_targetILNS1_3genE0ELNS1_11target_archE4294967295ELNS1_3gpuE0ELNS1_3repE0EEENS1_30default_config_static_selectorELNS0_4arch9wavefront6targetE0EEEvT1_.num_vgpr, 0
	.set _ZN7rocprim17ROCPRIM_400000_NS6detail17trampoline_kernelINS0_14default_configENS1_25partition_config_selectorILNS1_17partition_subalgoE5EjNS0_10empty_typeEbEEZZNS1_14partition_implILS5_5ELb0ES3_mN6thrust23THRUST_200600_302600_NS6detail15normal_iteratorINSA_10device_ptrIjEEEEPS6_NSA_18transform_iteratorINSB_9not_fun_tINSA_8identityIjEEEESF_NSA_11use_defaultESM_EENS0_5tupleIJSF_S6_EEENSO_IJSG_SG_EEES6_PlJS6_EEE10hipError_tPvRmT3_T4_T5_T6_T7_T9_mT8_P12ihipStream_tbDpT10_ENKUlT_T0_E_clISt17integral_constantIbLb1EES1B_EEDaS16_S17_EUlS16_E_NS1_11comp_targetILNS1_3genE0ELNS1_11target_archE4294967295ELNS1_3gpuE0ELNS1_3repE0EEENS1_30default_config_static_selectorELNS0_4arch9wavefront6targetE0EEEvT1_.num_agpr, 0
	.set _ZN7rocprim17ROCPRIM_400000_NS6detail17trampoline_kernelINS0_14default_configENS1_25partition_config_selectorILNS1_17partition_subalgoE5EjNS0_10empty_typeEbEEZZNS1_14partition_implILS5_5ELb0ES3_mN6thrust23THRUST_200600_302600_NS6detail15normal_iteratorINSA_10device_ptrIjEEEEPS6_NSA_18transform_iteratorINSB_9not_fun_tINSA_8identityIjEEEESF_NSA_11use_defaultESM_EENS0_5tupleIJSF_S6_EEENSO_IJSG_SG_EEES6_PlJS6_EEE10hipError_tPvRmT3_T4_T5_T6_T7_T9_mT8_P12ihipStream_tbDpT10_ENKUlT_T0_E_clISt17integral_constantIbLb1EES1B_EEDaS16_S17_EUlS16_E_NS1_11comp_targetILNS1_3genE0ELNS1_11target_archE4294967295ELNS1_3gpuE0ELNS1_3repE0EEENS1_30default_config_static_selectorELNS0_4arch9wavefront6targetE0EEEvT1_.numbered_sgpr, 0
	.set _ZN7rocprim17ROCPRIM_400000_NS6detail17trampoline_kernelINS0_14default_configENS1_25partition_config_selectorILNS1_17partition_subalgoE5EjNS0_10empty_typeEbEEZZNS1_14partition_implILS5_5ELb0ES3_mN6thrust23THRUST_200600_302600_NS6detail15normal_iteratorINSA_10device_ptrIjEEEEPS6_NSA_18transform_iteratorINSB_9not_fun_tINSA_8identityIjEEEESF_NSA_11use_defaultESM_EENS0_5tupleIJSF_S6_EEENSO_IJSG_SG_EEES6_PlJS6_EEE10hipError_tPvRmT3_T4_T5_T6_T7_T9_mT8_P12ihipStream_tbDpT10_ENKUlT_T0_E_clISt17integral_constantIbLb1EES1B_EEDaS16_S17_EUlS16_E_NS1_11comp_targetILNS1_3genE0ELNS1_11target_archE4294967295ELNS1_3gpuE0ELNS1_3repE0EEENS1_30default_config_static_selectorELNS0_4arch9wavefront6targetE0EEEvT1_.num_named_barrier, 0
	.set _ZN7rocprim17ROCPRIM_400000_NS6detail17trampoline_kernelINS0_14default_configENS1_25partition_config_selectorILNS1_17partition_subalgoE5EjNS0_10empty_typeEbEEZZNS1_14partition_implILS5_5ELb0ES3_mN6thrust23THRUST_200600_302600_NS6detail15normal_iteratorINSA_10device_ptrIjEEEEPS6_NSA_18transform_iteratorINSB_9not_fun_tINSA_8identityIjEEEESF_NSA_11use_defaultESM_EENS0_5tupleIJSF_S6_EEENSO_IJSG_SG_EEES6_PlJS6_EEE10hipError_tPvRmT3_T4_T5_T6_T7_T9_mT8_P12ihipStream_tbDpT10_ENKUlT_T0_E_clISt17integral_constantIbLb1EES1B_EEDaS16_S17_EUlS16_E_NS1_11comp_targetILNS1_3genE0ELNS1_11target_archE4294967295ELNS1_3gpuE0ELNS1_3repE0EEENS1_30default_config_static_selectorELNS0_4arch9wavefront6targetE0EEEvT1_.private_seg_size, 0
	.set _ZN7rocprim17ROCPRIM_400000_NS6detail17trampoline_kernelINS0_14default_configENS1_25partition_config_selectorILNS1_17partition_subalgoE5EjNS0_10empty_typeEbEEZZNS1_14partition_implILS5_5ELb0ES3_mN6thrust23THRUST_200600_302600_NS6detail15normal_iteratorINSA_10device_ptrIjEEEEPS6_NSA_18transform_iteratorINSB_9not_fun_tINSA_8identityIjEEEESF_NSA_11use_defaultESM_EENS0_5tupleIJSF_S6_EEENSO_IJSG_SG_EEES6_PlJS6_EEE10hipError_tPvRmT3_T4_T5_T6_T7_T9_mT8_P12ihipStream_tbDpT10_ENKUlT_T0_E_clISt17integral_constantIbLb1EES1B_EEDaS16_S17_EUlS16_E_NS1_11comp_targetILNS1_3genE0ELNS1_11target_archE4294967295ELNS1_3gpuE0ELNS1_3repE0EEENS1_30default_config_static_selectorELNS0_4arch9wavefront6targetE0EEEvT1_.uses_vcc, 0
	.set _ZN7rocprim17ROCPRIM_400000_NS6detail17trampoline_kernelINS0_14default_configENS1_25partition_config_selectorILNS1_17partition_subalgoE5EjNS0_10empty_typeEbEEZZNS1_14partition_implILS5_5ELb0ES3_mN6thrust23THRUST_200600_302600_NS6detail15normal_iteratorINSA_10device_ptrIjEEEEPS6_NSA_18transform_iteratorINSB_9not_fun_tINSA_8identityIjEEEESF_NSA_11use_defaultESM_EENS0_5tupleIJSF_S6_EEENSO_IJSG_SG_EEES6_PlJS6_EEE10hipError_tPvRmT3_T4_T5_T6_T7_T9_mT8_P12ihipStream_tbDpT10_ENKUlT_T0_E_clISt17integral_constantIbLb1EES1B_EEDaS16_S17_EUlS16_E_NS1_11comp_targetILNS1_3genE0ELNS1_11target_archE4294967295ELNS1_3gpuE0ELNS1_3repE0EEENS1_30default_config_static_selectorELNS0_4arch9wavefront6targetE0EEEvT1_.uses_flat_scratch, 0
	.set _ZN7rocprim17ROCPRIM_400000_NS6detail17trampoline_kernelINS0_14default_configENS1_25partition_config_selectorILNS1_17partition_subalgoE5EjNS0_10empty_typeEbEEZZNS1_14partition_implILS5_5ELb0ES3_mN6thrust23THRUST_200600_302600_NS6detail15normal_iteratorINSA_10device_ptrIjEEEEPS6_NSA_18transform_iteratorINSB_9not_fun_tINSA_8identityIjEEEESF_NSA_11use_defaultESM_EENS0_5tupleIJSF_S6_EEENSO_IJSG_SG_EEES6_PlJS6_EEE10hipError_tPvRmT3_T4_T5_T6_T7_T9_mT8_P12ihipStream_tbDpT10_ENKUlT_T0_E_clISt17integral_constantIbLb1EES1B_EEDaS16_S17_EUlS16_E_NS1_11comp_targetILNS1_3genE0ELNS1_11target_archE4294967295ELNS1_3gpuE0ELNS1_3repE0EEENS1_30default_config_static_selectorELNS0_4arch9wavefront6targetE0EEEvT1_.has_dyn_sized_stack, 0
	.set _ZN7rocprim17ROCPRIM_400000_NS6detail17trampoline_kernelINS0_14default_configENS1_25partition_config_selectorILNS1_17partition_subalgoE5EjNS0_10empty_typeEbEEZZNS1_14partition_implILS5_5ELb0ES3_mN6thrust23THRUST_200600_302600_NS6detail15normal_iteratorINSA_10device_ptrIjEEEEPS6_NSA_18transform_iteratorINSB_9not_fun_tINSA_8identityIjEEEESF_NSA_11use_defaultESM_EENS0_5tupleIJSF_S6_EEENSO_IJSG_SG_EEES6_PlJS6_EEE10hipError_tPvRmT3_T4_T5_T6_T7_T9_mT8_P12ihipStream_tbDpT10_ENKUlT_T0_E_clISt17integral_constantIbLb1EES1B_EEDaS16_S17_EUlS16_E_NS1_11comp_targetILNS1_3genE0ELNS1_11target_archE4294967295ELNS1_3gpuE0ELNS1_3repE0EEENS1_30default_config_static_selectorELNS0_4arch9wavefront6targetE0EEEvT1_.has_recursion, 0
	.set _ZN7rocprim17ROCPRIM_400000_NS6detail17trampoline_kernelINS0_14default_configENS1_25partition_config_selectorILNS1_17partition_subalgoE5EjNS0_10empty_typeEbEEZZNS1_14partition_implILS5_5ELb0ES3_mN6thrust23THRUST_200600_302600_NS6detail15normal_iteratorINSA_10device_ptrIjEEEEPS6_NSA_18transform_iteratorINSB_9not_fun_tINSA_8identityIjEEEESF_NSA_11use_defaultESM_EENS0_5tupleIJSF_S6_EEENSO_IJSG_SG_EEES6_PlJS6_EEE10hipError_tPvRmT3_T4_T5_T6_T7_T9_mT8_P12ihipStream_tbDpT10_ENKUlT_T0_E_clISt17integral_constantIbLb1EES1B_EEDaS16_S17_EUlS16_E_NS1_11comp_targetILNS1_3genE0ELNS1_11target_archE4294967295ELNS1_3gpuE0ELNS1_3repE0EEENS1_30default_config_static_selectorELNS0_4arch9wavefront6targetE0EEEvT1_.has_indirect_call, 0
	.section	.AMDGPU.csdata,"",@progbits
; Kernel info:
; codeLenInByte = 0
; TotalNumSgprs: 0
; NumVgprs: 0
; ScratchSize: 0
; MemoryBound: 0
; FloatMode: 240
; IeeeMode: 1
; LDSByteSize: 0 bytes/workgroup (compile time only)
; SGPRBlocks: 0
; VGPRBlocks: 0
; NumSGPRsForWavesPerEU: 1
; NumVGPRsForWavesPerEU: 1
; Occupancy: 16
; WaveLimiterHint : 0
; COMPUTE_PGM_RSRC2:SCRATCH_EN: 0
; COMPUTE_PGM_RSRC2:USER_SGPR: 2
; COMPUTE_PGM_RSRC2:TRAP_HANDLER: 0
; COMPUTE_PGM_RSRC2:TGID_X_EN: 1
; COMPUTE_PGM_RSRC2:TGID_Y_EN: 0
; COMPUTE_PGM_RSRC2:TGID_Z_EN: 0
; COMPUTE_PGM_RSRC2:TIDIG_COMP_CNT: 0
	.section	.text._ZN7rocprim17ROCPRIM_400000_NS6detail17trampoline_kernelINS0_14default_configENS1_25partition_config_selectorILNS1_17partition_subalgoE5EjNS0_10empty_typeEbEEZZNS1_14partition_implILS5_5ELb0ES3_mN6thrust23THRUST_200600_302600_NS6detail15normal_iteratorINSA_10device_ptrIjEEEEPS6_NSA_18transform_iteratorINSB_9not_fun_tINSA_8identityIjEEEESF_NSA_11use_defaultESM_EENS0_5tupleIJSF_S6_EEENSO_IJSG_SG_EEES6_PlJS6_EEE10hipError_tPvRmT3_T4_T5_T6_T7_T9_mT8_P12ihipStream_tbDpT10_ENKUlT_T0_E_clISt17integral_constantIbLb1EES1B_EEDaS16_S17_EUlS16_E_NS1_11comp_targetILNS1_3genE5ELNS1_11target_archE942ELNS1_3gpuE9ELNS1_3repE0EEENS1_30default_config_static_selectorELNS0_4arch9wavefront6targetE0EEEvT1_,"axG",@progbits,_ZN7rocprim17ROCPRIM_400000_NS6detail17trampoline_kernelINS0_14default_configENS1_25partition_config_selectorILNS1_17partition_subalgoE5EjNS0_10empty_typeEbEEZZNS1_14partition_implILS5_5ELb0ES3_mN6thrust23THRUST_200600_302600_NS6detail15normal_iteratorINSA_10device_ptrIjEEEEPS6_NSA_18transform_iteratorINSB_9not_fun_tINSA_8identityIjEEEESF_NSA_11use_defaultESM_EENS0_5tupleIJSF_S6_EEENSO_IJSG_SG_EEES6_PlJS6_EEE10hipError_tPvRmT3_T4_T5_T6_T7_T9_mT8_P12ihipStream_tbDpT10_ENKUlT_T0_E_clISt17integral_constantIbLb1EES1B_EEDaS16_S17_EUlS16_E_NS1_11comp_targetILNS1_3genE5ELNS1_11target_archE942ELNS1_3gpuE9ELNS1_3repE0EEENS1_30default_config_static_selectorELNS0_4arch9wavefront6targetE0EEEvT1_,comdat
	.protected	_ZN7rocprim17ROCPRIM_400000_NS6detail17trampoline_kernelINS0_14default_configENS1_25partition_config_selectorILNS1_17partition_subalgoE5EjNS0_10empty_typeEbEEZZNS1_14partition_implILS5_5ELb0ES3_mN6thrust23THRUST_200600_302600_NS6detail15normal_iteratorINSA_10device_ptrIjEEEEPS6_NSA_18transform_iteratorINSB_9not_fun_tINSA_8identityIjEEEESF_NSA_11use_defaultESM_EENS0_5tupleIJSF_S6_EEENSO_IJSG_SG_EEES6_PlJS6_EEE10hipError_tPvRmT3_T4_T5_T6_T7_T9_mT8_P12ihipStream_tbDpT10_ENKUlT_T0_E_clISt17integral_constantIbLb1EES1B_EEDaS16_S17_EUlS16_E_NS1_11comp_targetILNS1_3genE5ELNS1_11target_archE942ELNS1_3gpuE9ELNS1_3repE0EEENS1_30default_config_static_selectorELNS0_4arch9wavefront6targetE0EEEvT1_ ; -- Begin function _ZN7rocprim17ROCPRIM_400000_NS6detail17trampoline_kernelINS0_14default_configENS1_25partition_config_selectorILNS1_17partition_subalgoE5EjNS0_10empty_typeEbEEZZNS1_14partition_implILS5_5ELb0ES3_mN6thrust23THRUST_200600_302600_NS6detail15normal_iteratorINSA_10device_ptrIjEEEEPS6_NSA_18transform_iteratorINSB_9not_fun_tINSA_8identityIjEEEESF_NSA_11use_defaultESM_EENS0_5tupleIJSF_S6_EEENSO_IJSG_SG_EEES6_PlJS6_EEE10hipError_tPvRmT3_T4_T5_T6_T7_T9_mT8_P12ihipStream_tbDpT10_ENKUlT_T0_E_clISt17integral_constantIbLb1EES1B_EEDaS16_S17_EUlS16_E_NS1_11comp_targetILNS1_3genE5ELNS1_11target_archE942ELNS1_3gpuE9ELNS1_3repE0EEENS1_30default_config_static_selectorELNS0_4arch9wavefront6targetE0EEEvT1_
	.globl	_ZN7rocprim17ROCPRIM_400000_NS6detail17trampoline_kernelINS0_14default_configENS1_25partition_config_selectorILNS1_17partition_subalgoE5EjNS0_10empty_typeEbEEZZNS1_14partition_implILS5_5ELb0ES3_mN6thrust23THRUST_200600_302600_NS6detail15normal_iteratorINSA_10device_ptrIjEEEEPS6_NSA_18transform_iteratorINSB_9not_fun_tINSA_8identityIjEEEESF_NSA_11use_defaultESM_EENS0_5tupleIJSF_S6_EEENSO_IJSG_SG_EEES6_PlJS6_EEE10hipError_tPvRmT3_T4_T5_T6_T7_T9_mT8_P12ihipStream_tbDpT10_ENKUlT_T0_E_clISt17integral_constantIbLb1EES1B_EEDaS16_S17_EUlS16_E_NS1_11comp_targetILNS1_3genE5ELNS1_11target_archE942ELNS1_3gpuE9ELNS1_3repE0EEENS1_30default_config_static_selectorELNS0_4arch9wavefront6targetE0EEEvT1_
	.p2align	8
	.type	_ZN7rocprim17ROCPRIM_400000_NS6detail17trampoline_kernelINS0_14default_configENS1_25partition_config_selectorILNS1_17partition_subalgoE5EjNS0_10empty_typeEbEEZZNS1_14partition_implILS5_5ELb0ES3_mN6thrust23THRUST_200600_302600_NS6detail15normal_iteratorINSA_10device_ptrIjEEEEPS6_NSA_18transform_iteratorINSB_9not_fun_tINSA_8identityIjEEEESF_NSA_11use_defaultESM_EENS0_5tupleIJSF_S6_EEENSO_IJSG_SG_EEES6_PlJS6_EEE10hipError_tPvRmT3_T4_T5_T6_T7_T9_mT8_P12ihipStream_tbDpT10_ENKUlT_T0_E_clISt17integral_constantIbLb1EES1B_EEDaS16_S17_EUlS16_E_NS1_11comp_targetILNS1_3genE5ELNS1_11target_archE942ELNS1_3gpuE9ELNS1_3repE0EEENS1_30default_config_static_selectorELNS0_4arch9wavefront6targetE0EEEvT1_,@function
_ZN7rocprim17ROCPRIM_400000_NS6detail17trampoline_kernelINS0_14default_configENS1_25partition_config_selectorILNS1_17partition_subalgoE5EjNS0_10empty_typeEbEEZZNS1_14partition_implILS5_5ELb0ES3_mN6thrust23THRUST_200600_302600_NS6detail15normal_iteratorINSA_10device_ptrIjEEEEPS6_NSA_18transform_iteratorINSB_9not_fun_tINSA_8identityIjEEEESF_NSA_11use_defaultESM_EENS0_5tupleIJSF_S6_EEENSO_IJSG_SG_EEES6_PlJS6_EEE10hipError_tPvRmT3_T4_T5_T6_T7_T9_mT8_P12ihipStream_tbDpT10_ENKUlT_T0_E_clISt17integral_constantIbLb1EES1B_EEDaS16_S17_EUlS16_E_NS1_11comp_targetILNS1_3genE5ELNS1_11target_archE942ELNS1_3gpuE9ELNS1_3repE0EEENS1_30default_config_static_selectorELNS0_4arch9wavefront6targetE0EEEvT1_: ; @_ZN7rocprim17ROCPRIM_400000_NS6detail17trampoline_kernelINS0_14default_configENS1_25partition_config_selectorILNS1_17partition_subalgoE5EjNS0_10empty_typeEbEEZZNS1_14partition_implILS5_5ELb0ES3_mN6thrust23THRUST_200600_302600_NS6detail15normal_iteratorINSA_10device_ptrIjEEEEPS6_NSA_18transform_iteratorINSB_9not_fun_tINSA_8identityIjEEEESF_NSA_11use_defaultESM_EENS0_5tupleIJSF_S6_EEENSO_IJSG_SG_EEES6_PlJS6_EEE10hipError_tPvRmT3_T4_T5_T6_T7_T9_mT8_P12ihipStream_tbDpT10_ENKUlT_T0_E_clISt17integral_constantIbLb1EES1B_EEDaS16_S17_EUlS16_E_NS1_11comp_targetILNS1_3genE5ELNS1_11target_archE942ELNS1_3gpuE9ELNS1_3repE0EEENS1_30default_config_static_selectorELNS0_4arch9wavefront6targetE0EEEvT1_
; %bb.0:
	.section	.rodata,"a",@progbits
	.p2align	6, 0x0
	.amdhsa_kernel _ZN7rocprim17ROCPRIM_400000_NS6detail17trampoline_kernelINS0_14default_configENS1_25partition_config_selectorILNS1_17partition_subalgoE5EjNS0_10empty_typeEbEEZZNS1_14partition_implILS5_5ELb0ES3_mN6thrust23THRUST_200600_302600_NS6detail15normal_iteratorINSA_10device_ptrIjEEEEPS6_NSA_18transform_iteratorINSB_9not_fun_tINSA_8identityIjEEEESF_NSA_11use_defaultESM_EENS0_5tupleIJSF_S6_EEENSO_IJSG_SG_EEES6_PlJS6_EEE10hipError_tPvRmT3_T4_T5_T6_T7_T9_mT8_P12ihipStream_tbDpT10_ENKUlT_T0_E_clISt17integral_constantIbLb1EES1B_EEDaS16_S17_EUlS16_E_NS1_11comp_targetILNS1_3genE5ELNS1_11target_archE942ELNS1_3gpuE9ELNS1_3repE0EEENS1_30default_config_static_selectorELNS0_4arch9wavefront6targetE0EEEvT1_
		.amdhsa_group_segment_fixed_size 0
		.amdhsa_private_segment_fixed_size 0
		.amdhsa_kernarg_size 136
		.amdhsa_user_sgpr_count 2
		.amdhsa_user_sgpr_dispatch_ptr 0
		.amdhsa_user_sgpr_queue_ptr 0
		.amdhsa_user_sgpr_kernarg_segment_ptr 1
		.amdhsa_user_sgpr_dispatch_id 0
		.amdhsa_user_sgpr_private_segment_size 0
		.amdhsa_wavefront_size32 1
		.amdhsa_uses_dynamic_stack 0
		.amdhsa_enable_private_segment 0
		.amdhsa_system_sgpr_workgroup_id_x 1
		.amdhsa_system_sgpr_workgroup_id_y 0
		.amdhsa_system_sgpr_workgroup_id_z 0
		.amdhsa_system_sgpr_workgroup_info 0
		.amdhsa_system_vgpr_workitem_id 0
		.amdhsa_next_free_vgpr 1
		.amdhsa_next_free_sgpr 1
		.amdhsa_reserve_vcc 0
		.amdhsa_float_round_mode_32 0
		.amdhsa_float_round_mode_16_64 0
		.amdhsa_float_denorm_mode_32 3
		.amdhsa_float_denorm_mode_16_64 3
		.amdhsa_fp16_overflow 0
		.amdhsa_workgroup_processor_mode 1
		.amdhsa_memory_ordered 1
		.amdhsa_forward_progress 1
		.amdhsa_inst_pref_size 0
		.amdhsa_round_robin_scheduling 0
		.amdhsa_exception_fp_ieee_invalid_op 0
		.amdhsa_exception_fp_denorm_src 0
		.amdhsa_exception_fp_ieee_div_zero 0
		.amdhsa_exception_fp_ieee_overflow 0
		.amdhsa_exception_fp_ieee_underflow 0
		.amdhsa_exception_fp_ieee_inexact 0
		.amdhsa_exception_int_div_zero 0
	.end_amdhsa_kernel
	.section	.text._ZN7rocprim17ROCPRIM_400000_NS6detail17trampoline_kernelINS0_14default_configENS1_25partition_config_selectorILNS1_17partition_subalgoE5EjNS0_10empty_typeEbEEZZNS1_14partition_implILS5_5ELb0ES3_mN6thrust23THRUST_200600_302600_NS6detail15normal_iteratorINSA_10device_ptrIjEEEEPS6_NSA_18transform_iteratorINSB_9not_fun_tINSA_8identityIjEEEESF_NSA_11use_defaultESM_EENS0_5tupleIJSF_S6_EEENSO_IJSG_SG_EEES6_PlJS6_EEE10hipError_tPvRmT3_T4_T5_T6_T7_T9_mT8_P12ihipStream_tbDpT10_ENKUlT_T0_E_clISt17integral_constantIbLb1EES1B_EEDaS16_S17_EUlS16_E_NS1_11comp_targetILNS1_3genE5ELNS1_11target_archE942ELNS1_3gpuE9ELNS1_3repE0EEENS1_30default_config_static_selectorELNS0_4arch9wavefront6targetE0EEEvT1_,"axG",@progbits,_ZN7rocprim17ROCPRIM_400000_NS6detail17trampoline_kernelINS0_14default_configENS1_25partition_config_selectorILNS1_17partition_subalgoE5EjNS0_10empty_typeEbEEZZNS1_14partition_implILS5_5ELb0ES3_mN6thrust23THRUST_200600_302600_NS6detail15normal_iteratorINSA_10device_ptrIjEEEEPS6_NSA_18transform_iteratorINSB_9not_fun_tINSA_8identityIjEEEESF_NSA_11use_defaultESM_EENS0_5tupleIJSF_S6_EEENSO_IJSG_SG_EEES6_PlJS6_EEE10hipError_tPvRmT3_T4_T5_T6_T7_T9_mT8_P12ihipStream_tbDpT10_ENKUlT_T0_E_clISt17integral_constantIbLb1EES1B_EEDaS16_S17_EUlS16_E_NS1_11comp_targetILNS1_3genE5ELNS1_11target_archE942ELNS1_3gpuE9ELNS1_3repE0EEENS1_30default_config_static_selectorELNS0_4arch9wavefront6targetE0EEEvT1_,comdat
.Lfunc_end894:
	.size	_ZN7rocprim17ROCPRIM_400000_NS6detail17trampoline_kernelINS0_14default_configENS1_25partition_config_selectorILNS1_17partition_subalgoE5EjNS0_10empty_typeEbEEZZNS1_14partition_implILS5_5ELb0ES3_mN6thrust23THRUST_200600_302600_NS6detail15normal_iteratorINSA_10device_ptrIjEEEEPS6_NSA_18transform_iteratorINSB_9not_fun_tINSA_8identityIjEEEESF_NSA_11use_defaultESM_EENS0_5tupleIJSF_S6_EEENSO_IJSG_SG_EEES6_PlJS6_EEE10hipError_tPvRmT3_T4_T5_T6_T7_T9_mT8_P12ihipStream_tbDpT10_ENKUlT_T0_E_clISt17integral_constantIbLb1EES1B_EEDaS16_S17_EUlS16_E_NS1_11comp_targetILNS1_3genE5ELNS1_11target_archE942ELNS1_3gpuE9ELNS1_3repE0EEENS1_30default_config_static_selectorELNS0_4arch9wavefront6targetE0EEEvT1_, .Lfunc_end894-_ZN7rocprim17ROCPRIM_400000_NS6detail17trampoline_kernelINS0_14default_configENS1_25partition_config_selectorILNS1_17partition_subalgoE5EjNS0_10empty_typeEbEEZZNS1_14partition_implILS5_5ELb0ES3_mN6thrust23THRUST_200600_302600_NS6detail15normal_iteratorINSA_10device_ptrIjEEEEPS6_NSA_18transform_iteratorINSB_9not_fun_tINSA_8identityIjEEEESF_NSA_11use_defaultESM_EENS0_5tupleIJSF_S6_EEENSO_IJSG_SG_EEES6_PlJS6_EEE10hipError_tPvRmT3_T4_T5_T6_T7_T9_mT8_P12ihipStream_tbDpT10_ENKUlT_T0_E_clISt17integral_constantIbLb1EES1B_EEDaS16_S17_EUlS16_E_NS1_11comp_targetILNS1_3genE5ELNS1_11target_archE942ELNS1_3gpuE9ELNS1_3repE0EEENS1_30default_config_static_selectorELNS0_4arch9wavefront6targetE0EEEvT1_
                                        ; -- End function
	.set _ZN7rocprim17ROCPRIM_400000_NS6detail17trampoline_kernelINS0_14default_configENS1_25partition_config_selectorILNS1_17partition_subalgoE5EjNS0_10empty_typeEbEEZZNS1_14partition_implILS5_5ELb0ES3_mN6thrust23THRUST_200600_302600_NS6detail15normal_iteratorINSA_10device_ptrIjEEEEPS6_NSA_18transform_iteratorINSB_9not_fun_tINSA_8identityIjEEEESF_NSA_11use_defaultESM_EENS0_5tupleIJSF_S6_EEENSO_IJSG_SG_EEES6_PlJS6_EEE10hipError_tPvRmT3_T4_T5_T6_T7_T9_mT8_P12ihipStream_tbDpT10_ENKUlT_T0_E_clISt17integral_constantIbLb1EES1B_EEDaS16_S17_EUlS16_E_NS1_11comp_targetILNS1_3genE5ELNS1_11target_archE942ELNS1_3gpuE9ELNS1_3repE0EEENS1_30default_config_static_selectorELNS0_4arch9wavefront6targetE0EEEvT1_.num_vgpr, 0
	.set _ZN7rocprim17ROCPRIM_400000_NS6detail17trampoline_kernelINS0_14default_configENS1_25partition_config_selectorILNS1_17partition_subalgoE5EjNS0_10empty_typeEbEEZZNS1_14partition_implILS5_5ELb0ES3_mN6thrust23THRUST_200600_302600_NS6detail15normal_iteratorINSA_10device_ptrIjEEEEPS6_NSA_18transform_iteratorINSB_9not_fun_tINSA_8identityIjEEEESF_NSA_11use_defaultESM_EENS0_5tupleIJSF_S6_EEENSO_IJSG_SG_EEES6_PlJS6_EEE10hipError_tPvRmT3_T4_T5_T6_T7_T9_mT8_P12ihipStream_tbDpT10_ENKUlT_T0_E_clISt17integral_constantIbLb1EES1B_EEDaS16_S17_EUlS16_E_NS1_11comp_targetILNS1_3genE5ELNS1_11target_archE942ELNS1_3gpuE9ELNS1_3repE0EEENS1_30default_config_static_selectorELNS0_4arch9wavefront6targetE0EEEvT1_.num_agpr, 0
	.set _ZN7rocprim17ROCPRIM_400000_NS6detail17trampoline_kernelINS0_14default_configENS1_25partition_config_selectorILNS1_17partition_subalgoE5EjNS0_10empty_typeEbEEZZNS1_14partition_implILS5_5ELb0ES3_mN6thrust23THRUST_200600_302600_NS6detail15normal_iteratorINSA_10device_ptrIjEEEEPS6_NSA_18transform_iteratorINSB_9not_fun_tINSA_8identityIjEEEESF_NSA_11use_defaultESM_EENS0_5tupleIJSF_S6_EEENSO_IJSG_SG_EEES6_PlJS6_EEE10hipError_tPvRmT3_T4_T5_T6_T7_T9_mT8_P12ihipStream_tbDpT10_ENKUlT_T0_E_clISt17integral_constantIbLb1EES1B_EEDaS16_S17_EUlS16_E_NS1_11comp_targetILNS1_3genE5ELNS1_11target_archE942ELNS1_3gpuE9ELNS1_3repE0EEENS1_30default_config_static_selectorELNS0_4arch9wavefront6targetE0EEEvT1_.numbered_sgpr, 0
	.set _ZN7rocprim17ROCPRIM_400000_NS6detail17trampoline_kernelINS0_14default_configENS1_25partition_config_selectorILNS1_17partition_subalgoE5EjNS0_10empty_typeEbEEZZNS1_14partition_implILS5_5ELb0ES3_mN6thrust23THRUST_200600_302600_NS6detail15normal_iteratorINSA_10device_ptrIjEEEEPS6_NSA_18transform_iteratorINSB_9not_fun_tINSA_8identityIjEEEESF_NSA_11use_defaultESM_EENS0_5tupleIJSF_S6_EEENSO_IJSG_SG_EEES6_PlJS6_EEE10hipError_tPvRmT3_T4_T5_T6_T7_T9_mT8_P12ihipStream_tbDpT10_ENKUlT_T0_E_clISt17integral_constantIbLb1EES1B_EEDaS16_S17_EUlS16_E_NS1_11comp_targetILNS1_3genE5ELNS1_11target_archE942ELNS1_3gpuE9ELNS1_3repE0EEENS1_30default_config_static_selectorELNS0_4arch9wavefront6targetE0EEEvT1_.num_named_barrier, 0
	.set _ZN7rocprim17ROCPRIM_400000_NS6detail17trampoline_kernelINS0_14default_configENS1_25partition_config_selectorILNS1_17partition_subalgoE5EjNS0_10empty_typeEbEEZZNS1_14partition_implILS5_5ELb0ES3_mN6thrust23THRUST_200600_302600_NS6detail15normal_iteratorINSA_10device_ptrIjEEEEPS6_NSA_18transform_iteratorINSB_9not_fun_tINSA_8identityIjEEEESF_NSA_11use_defaultESM_EENS0_5tupleIJSF_S6_EEENSO_IJSG_SG_EEES6_PlJS6_EEE10hipError_tPvRmT3_T4_T5_T6_T7_T9_mT8_P12ihipStream_tbDpT10_ENKUlT_T0_E_clISt17integral_constantIbLb1EES1B_EEDaS16_S17_EUlS16_E_NS1_11comp_targetILNS1_3genE5ELNS1_11target_archE942ELNS1_3gpuE9ELNS1_3repE0EEENS1_30default_config_static_selectorELNS0_4arch9wavefront6targetE0EEEvT1_.private_seg_size, 0
	.set _ZN7rocprim17ROCPRIM_400000_NS6detail17trampoline_kernelINS0_14default_configENS1_25partition_config_selectorILNS1_17partition_subalgoE5EjNS0_10empty_typeEbEEZZNS1_14partition_implILS5_5ELb0ES3_mN6thrust23THRUST_200600_302600_NS6detail15normal_iteratorINSA_10device_ptrIjEEEEPS6_NSA_18transform_iteratorINSB_9not_fun_tINSA_8identityIjEEEESF_NSA_11use_defaultESM_EENS0_5tupleIJSF_S6_EEENSO_IJSG_SG_EEES6_PlJS6_EEE10hipError_tPvRmT3_T4_T5_T6_T7_T9_mT8_P12ihipStream_tbDpT10_ENKUlT_T0_E_clISt17integral_constantIbLb1EES1B_EEDaS16_S17_EUlS16_E_NS1_11comp_targetILNS1_3genE5ELNS1_11target_archE942ELNS1_3gpuE9ELNS1_3repE0EEENS1_30default_config_static_selectorELNS0_4arch9wavefront6targetE0EEEvT1_.uses_vcc, 0
	.set _ZN7rocprim17ROCPRIM_400000_NS6detail17trampoline_kernelINS0_14default_configENS1_25partition_config_selectorILNS1_17partition_subalgoE5EjNS0_10empty_typeEbEEZZNS1_14partition_implILS5_5ELb0ES3_mN6thrust23THRUST_200600_302600_NS6detail15normal_iteratorINSA_10device_ptrIjEEEEPS6_NSA_18transform_iteratorINSB_9not_fun_tINSA_8identityIjEEEESF_NSA_11use_defaultESM_EENS0_5tupleIJSF_S6_EEENSO_IJSG_SG_EEES6_PlJS6_EEE10hipError_tPvRmT3_T4_T5_T6_T7_T9_mT8_P12ihipStream_tbDpT10_ENKUlT_T0_E_clISt17integral_constantIbLb1EES1B_EEDaS16_S17_EUlS16_E_NS1_11comp_targetILNS1_3genE5ELNS1_11target_archE942ELNS1_3gpuE9ELNS1_3repE0EEENS1_30default_config_static_selectorELNS0_4arch9wavefront6targetE0EEEvT1_.uses_flat_scratch, 0
	.set _ZN7rocprim17ROCPRIM_400000_NS6detail17trampoline_kernelINS0_14default_configENS1_25partition_config_selectorILNS1_17partition_subalgoE5EjNS0_10empty_typeEbEEZZNS1_14partition_implILS5_5ELb0ES3_mN6thrust23THRUST_200600_302600_NS6detail15normal_iteratorINSA_10device_ptrIjEEEEPS6_NSA_18transform_iteratorINSB_9not_fun_tINSA_8identityIjEEEESF_NSA_11use_defaultESM_EENS0_5tupleIJSF_S6_EEENSO_IJSG_SG_EEES6_PlJS6_EEE10hipError_tPvRmT3_T4_T5_T6_T7_T9_mT8_P12ihipStream_tbDpT10_ENKUlT_T0_E_clISt17integral_constantIbLb1EES1B_EEDaS16_S17_EUlS16_E_NS1_11comp_targetILNS1_3genE5ELNS1_11target_archE942ELNS1_3gpuE9ELNS1_3repE0EEENS1_30default_config_static_selectorELNS0_4arch9wavefront6targetE0EEEvT1_.has_dyn_sized_stack, 0
	.set _ZN7rocprim17ROCPRIM_400000_NS6detail17trampoline_kernelINS0_14default_configENS1_25partition_config_selectorILNS1_17partition_subalgoE5EjNS0_10empty_typeEbEEZZNS1_14partition_implILS5_5ELb0ES3_mN6thrust23THRUST_200600_302600_NS6detail15normal_iteratorINSA_10device_ptrIjEEEEPS6_NSA_18transform_iteratorINSB_9not_fun_tINSA_8identityIjEEEESF_NSA_11use_defaultESM_EENS0_5tupleIJSF_S6_EEENSO_IJSG_SG_EEES6_PlJS6_EEE10hipError_tPvRmT3_T4_T5_T6_T7_T9_mT8_P12ihipStream_tbDpT10_ENKUlT_T0_E_clISt17integral_constantIbLb1EES1B_EEDaS16_S17_EUlS16_E_NS1_11comp_targetILNS1_3genE5ELNS1_11target_archE942ELNS1_3gpuE9ELNS1_3repE0EEENS1_30default_config_static_selectorELNS0_4arch9wavefront6targetE0EEEvT1_.has_recursion, 0
	.set _ZN7rocprim17ROCPRIM_400000_NS6detail17trampoline_kernelINS0_14default_configENS1_25partition_config_selectorILNS1_17partition_subalgoE5EjNS0_10empty_typeEbEEZZNS1_14partition_implILS5_5ELb0ES3_mN6thrust23THRUST_200600_302600_NS6detail15normal_iteratorINSA_10device_ptrIjEEEEPS6_NSA_18transform_iteratorINSB_9not_fun_tINSA_8identityIjEEEESF_NSA_11use_defaultESM_EENS0_5tupleIJSF_S6_EEENSO_IJSG_SG_EEES6_PlJS6_EEE10hipError_tPvRmT3_T4_T5_T6_T7_T9_mT8_P12ihipStream_tbDpT10_ENKUlT_T0_E_clISt17integral_constantIbLb1EES1B_EEDaS16_S17_EUlS16_E_NS1_11comp_targetILNS1_3genE5ELNS1_11target_archE942ELNS1_3gpuE9ELNS1_3repE0EEENS1_30default_config_static_selectorELNS0_4arch9wavefront6targetE0EEEvT1_.has_indirect_call, 0
	.section	.AMDGPU.csdata,"",@progbits
; Kernel info:
; codeLenInByte = 0
; TotalNumSgprs: 0
; NumVgprs: 0
; ScratchSize: 0
; MemoryBound: 0
; FloatMode: 240
; IeeeMode: 1
; LDSByteSize: 0 bytes/workgroup (compile time only)
; SGPRBlocks: 0
; VGPRBlocks: 0
; NumSGPRsForWavesPerEU: 1
; NumVGPRsForWavesPerEU: 1
; Occupancy: 16
; WaveLimiterHint : 0
; COMPUTE_PGM_RSRC2:SCRATCH_EN: 0
; COMPUTE_PGM_RSRC2:USER_SGPR: 2
; COMPUTE_PGM_RSRC2:TRAP_HANDLER: 0
; COMPUTE_PGM_RSRC2:TGID_X_EN: 1
; COMPUTE_PGM_RSRC2:TGID_Y_EN: 0
; COMPUTE_PGM_RSRC2:TGID_Z_EN: 0
; COMPUTE_PGM_RSRC2:TIDIG_COMP_CNT: 0
	.section	.text._ZN7rocprim17ROCPRIM_400000_NS6detail17trampoline_kernelINS0_14default_configENS1_25partition_config_selectorILNS1_17partition_subalgoE5EjNS0_10empty_typeEbEEZZNS1_14partition_implILS5_5ELb0ES3_mN6thrust23THRUST_200600_302600_NS6detail15normal_iteratorINSA_10device_ptrIjEEEEPS6_NSA_18transform_iteratorINSB_9not_fun_tINSA_8identityIjEEEESF_NSA_11use_defaultESM_EENS0_5tupleIJSF_S6_EEENSO_IJSG_SG_EEES6_PlJS6_EEE10hipError_tPvRmT3_T4_T5_T6_T7_T9_mT8_P12ihipStream_tbDpT10_ENKUlT_T0_E_clISt17integral_constantIbLb1EES1B_EEDaS16_S17_EUlS16_E_NS1_11comp_targetILNS1_3genE4ELNS1_11target_archE910ELNS1_3gpuE8ELNS1_3repE0EEENS1_30default_config_static_selectorELNS0_4arch9wavefront6targetE0EEEvT1_,"axG",@progbits,_ZN7rocprim17ROCPRIM_400000_NS6detail17trampoline_kernelINS0_14default_configENS1_25partition_config_selectorILNS1_17partition_subalgoE5EjNS0_10empty_typeEbEEZZNS1_14partition_implILS5_5ELb0ES3_mN6thrust23THRUST_200600_302600_NS6detail15normal_iteratorINSA_10device_ptrIjEEEEPS6_NSA_18transform_iteratorINSB_9not_fun_tINSA_8identityIjEEEESF_NSA_11use_defaultESM_EENS0_5tupleIJSF_S6_EEENSO_IJSG_SG_EEES6_PlJS6_EEE10hipError_tPvRmT3_T4_T5_T6_T7_T9_mT8_P12ihipStream_tbDpT10_ENKUlT_T0_E_clISt17integral_constantIbLb1EES1B_EEDaS16_S17_EUlS16_E_NS1_11comp_targetILNS1_3genE4ELNS1_11target_archE910ELNS1_3gpuE8ELNS1_3repE0EEENS1_30default_config_static_selectorELNS0_4arch9wavefront6targetE0EEEvT1_,comdat
	.protected	_ZN7rocprim17ROCPRIM_400000_NS6detail17trampoline_kernelINS0_14default_configENS1_25partition_config_selectorILNS1_17partition_subalgoE5EjNS0_10empty_typeEbEEZZNS1_14partition_implILS5_5ELb0ES3_mN6thrust23THRUST_200600_302600_NS6detail15normal_iteratorINSA_10device_ptrIjEEEEPS6_NSA_18transform_iteratorINSB_9not_fun_tINSA_8identityIjEEEESF_NSA_11use_defaultESM_EENS0_5tupleIJSF_S6_EEENSO_IJSG_SG_EEES6_PlJS6_EEE10hipError_tPvRmT3_T4_T5_T6_T7_T9_mT8_P12ihipStream_tbDpT10_ENKUlT_T0_E_clISt17integral_constantIbLb1EES1B_EEDaS16_S17_EUlS16_E_NS1_11comp_targetILNS1_3genE4ELNS1_11target_archE910ELNS1_3gpuE8ELNS1_3repE0EEENS1_30default_config_static_selectorELNS0_4arch9wavefront6targetE0EEEvT1_ ; -- Begin function _ZN7rocprim17ROCPRIM_400000_NS6detail17trampoline_kernelINS0_14default_configENS1_25partition_config_selectorILNS1_17partition_subalgoE5EjNS0_10empty_typeEbEEZZNS1_14partition_implILS5_5ELb0ES3_mN6thrust23THRUST_200600_302600_NS6detail15normal_iteratorINSA_10device_ptrIjEEEEPS6_NSA_18transform_iteratorINSB_9not_fun_tINSA_8identityIjEEEESF_NSA_11use_defaultESM_EENS0_5tupleIJSF_S6_EEENSO_IJSG_SG_EEES6_PlJS6_EEE10hipError_tPvRmT3_T4_T5_T6_T7_T9_mT8_P12ihipStream_tbDpT10_ENKUlT_T0_E_clISt17integral_constantIbLb1EES1B_EEDaS16_S17_EUlS16_E_NS1_11comp_targetILNS1_3genE4ELNS1_11target_archE910ELNS1_3gpuE8ELNS1_3repE0EEENS1_30default_config_static_selectorELNS0_4arch9wavefront6targetE0EEEvT1_
	.globl	_ZN7rocprim17ROCPRIM_400000_NS6detail17trampoline_kernelINS0_14default_configENS1_25partition_config_selectorILNS1_17partition_subalgoE5EjNS0_10empty_typeEbEEZZNS1_14partition_implILS5_5ELb0ES3_mN6thrust23THRUST_200600_302600_NS6detail15normal_iteratorINSA_10device_ptrIjEEEEPS6_NSA_18transform_iteratorINSB_9not_fun_tINSA_8identityIjEEEESF_NSA_11use_defaultESM_EENS0_5tupleIJSF_S6_EEENSO_IJSG_SG_EEES6_PlJS6_EEE10hipError_tPvRmT3_T4_T5_T6_T7_T9_mT8_P12ihipStream_tbDpT10_ENKUlT_T0_E_clISt17integral_constantIbLb1EES1B_EEDaS16_S17_EUlS16_E_NS1_11comp_targetILNS1_3genE4ELNS1_11target_archE910ELNS1_3gpuE8ELNS1_3repE0EEENS1_30default_config_static_selectorELNS0_4arch9wavefront6targetE0EEEvT1_
	.p2align	8
	.type	_ZN7rocprim17ROCPRIM_400000_NS6detail17trampoline_kernelINS0_14default_configENS1_25partition_config_selectorILNS1_17partition_subalgoE5EjNS0_10empty_typeEbEEZZNS1_14partition_implILS5_5ELb0ES3_mN6thrust23THRUST_200600_302600_NS6detail15normal_iteratorINSA_10device_ptrIjEEEEPS6_NSA_18transform_iteratorINSB_9not_fun_tINSA_8identityIjEEEESF_NSA_11use_defaultESM_EENS0_5tupleIJSF_S6_EEENSO_IJSG_SG_EEES6_PlJS6_EEE10hipError_tPvRmT3_T4_T5_T6_T7_T9_mT8_P12ihipStream_tbDpT10_ENKUlT_T0_E_clISt17integral_constantIbLb1EES1B_EEDaS16_S17_EUlS16_E_NS1_11comp_targetILNS1_3genE4ELNS1_11target_archE910ELNS1_3gpuE8ELNS1_3repE0EEENS1_30default_config_static_selectorELNS0_4arch9wavefront6targetE0EEEvT1_,@function
_ZN7rocprim17ROCPRIM_400000_NS6detail17trampoline_kernelINS0_14default_configENS1_25partition_config_selectorILNS1_17partition_subalgoE5EjNS0_10empty_typeEbEEZZNS1_14partition_implILS5_5ELb0ES3_mN6thrust23THRUST_200600_302600_NS6detail15normal_iteratorINSA_10device_ptrIjEEEEPS6_NSA_18transform_iteratorINSB_9not_fun_tINSA_8identityIjEEEESF_NSA_11use_defaultESM_EENS0_5tupleIJSF_S6_EEENSO_IJSG_SG_EEES6_PlJS6_EEE10hipError_tPvRmT3_T4_T5_T6_T7_T9_mT8_P12ihipStream_tbDpT10_ENKUlT_T0_E_clISt17integral_constantIbLb1EES1B_EEDaS16_S17_EUlS16_E_NS1_11comp_targetILNS1_3genE4ELNS1_11target_archE910ELNS1_3gpuE8ELNS1_3repE0EEENS1_30default_config_static_selectorELNS0_4arch9wavefront6targetE0EEEvT1_: ; @_ZN7rocprim17ROCPRIM_400000_NS6detail17trampoline_kernelINS0_14default_configENS1_25partition_config_selectorILNS1_17partition_subalgoE5EjNS0_10empty_typeEbEEZZNS1_14partition_implILS5_5ELb0ES3_mN6thrust23THRUST_200600_302600_NS6detail15normal_iteratorINSA_10device_ptrIjEEEEPS6_NSA_18transform_iteratorINSB_9not_fun_tINSA_8identityIjEEEESF_NSA_11use_defaultESM_EENS0_5tupleIJSF_S6_EEENSO_IJSG_SG_EEES6_PlJS6_EEE10hipError_tPvRmT3_T4_T5_T6_T7_T9_mT8_P12ihipStream_tbDpT10_ENKUlT_T0_E_clISt17integral_constantIbLb1EES1B_EEDaS16_S17_EUlS16_E_NS1_11comp_targetILNS1_3genE4ELNS1_11target_archE910ELNS1_3gpuE8ELNS1_3repE0EEENS1_30default_config_static_selectorELNS0_4arch9wavefront6targetE0EEEvT1_
; %bb.0:
	.section	.rodata,"a",@progbits
	.p2align	6, 0x0
	.amdhsa_kernel _ZN7rocprim17ROCPRIM_400000_NS6detail17trampoline_kernelINS0_14default_configENS1_25partition_config_selectorILNS1_17partition_subalgoE5EjNS0_10empty_typeEbEEZZNS1_14partition_implILS5_5ELb0ES3_mN6thrust23THRUST_200600_302600_NS6detail15normal_iteratorINSA_10device_ptrIjEEEEPS6_NSA_18transform_iteratorINSB_9not_fun_tINSA_8identityIjEEEESF_NSA_11use_defaultESM_EENS0_5tupleIJSF_S6_EEENSO_IJSG_SG_EEES6_PlJS6_EEE10hipError_tPvRmT3_T4_T5_T6_T7_T9_mT8_P12ihipStream_tbDpT10_ENKUlT_T0_E_clISt17integral_constantIbLb1EES1B_EEDaS16_S17_EUlS16_E_NS1_11comp_targetILNS1_3genE4ELNS1_11target_archE910ELNS1_3gpuE8ELNS1_3repE0EEENS1_30default_config_static_selectorELNS0_4arch9wavefront6targetE0EEEvT1_
		.amdhsa_group_segment_fixed_size 0
		.amdhsa_private_segment_fixed_size 0
		.amdhsa_kernarg_size 136
		.amdhsa_user_sgpr_count 2
		.amdhsa_user_sgpr_dispatch_ptr 0
		.amdhsa_user_sgpr_queue_ptr 0
		.amdhsa_user_sgpr_kernarg_segment_ptr 1
		.amdhsa_user_sgpr_dispatch_id 0
		.amdhsa_user_sgpr_private_segment_size 0
		.amdhsa_wavefront_size32 1
		.amdhsa_uses_dynamic_stack 0
		.amdhsa_enable_private_segment 0
		.amdhsa_system_sgpr_workgroup_id_x 1
		.amdhsa_system_sgpr_workgroup_id_y 0
		.amdhsa_system_sgpr_workgroup_id_z 0
		.amdhsa_system_sgpr_workgroup_info 0
		.amdhsa_system_vgpr_workitem_id 0
		.amdhsa_next_free_vgpr 1
		.amdhsa_next_free_sgpr 1
		.amdhsa_reserve_vcc 0
		.amdhsa_float_round_mode_32 0
		.amdhsa_float_round_mode_16_64 0
		.amdhsa_float_denorm_mode_32 3
		.amdhsa_float_denorm_mode_16_64 3
		.amdhsa_fp16_overflow 0
		.amdhsa_workgroup_processor_mode 1
		.amdhsa_memory_ordered 1
		.amdhsa_forward_progress 1
		.amdhsa_inst_pref_size 0
		.amdhsa_round_robin_scheduling 0
		.amdhsa_exception_fp_ieee_invalid_op 0
		.amdhsa_exception_fp_denorm_src 0
		.amdhsa_exception_fp_ieee_div_zero 0
		.amdhsa_exception_fp_ieee_overflow 0
		.amdhsa_exception_fp_ieee_underflow 0
		.amdhsa_exception_fp_ieee_inexact 0
		.amdhsa_exception_int_div_zero 0
	.end_amdhsa_kernel
	.section	.text._ZN7rocprim17ROCPRIM_400000_NS6detail17trampoline_kernelINS0_14default_configENS1_25partition_config_selectorILNS1_17partition_subalgoE5EjNS0_10empty_typeEbEEZZNS1_14partition_implILS5_5ELb0ES3_mN6thrust23THRUST_200600_302600_NS6detail15normal_iteratorINSA_10device_ptrIjEEEEPS6_NSA_18transform_iteratorINSB_9not_fun_tINSA_8identityIjEEEESF_NSA_11use_defaultESM_EENS0_5tupleIJSF_S6_EEENSO_IJSG_SG_EEES6_PlJS6_EEE10hipError_tPvRmT3_T4_T5_T6_T7_T9_mT8_P12ihipStream_tbDpT10_ENKUlT_T0_E_clISt17integral_constantIbLb1EES1B_EEDaS16_S17_EUlS16_E_NS1_11comp_targetILNS1_3genE4ELNS1_11target_archE910ELNS1_3gpuE8ELNS1_3repE0EEENS1_30default_config_static_selectorELNS0_4arch9wavefront6targetE0EEEvT1_,"axG",@progbits,_ZN7rocprim17ROCPRIM_400000_NS6detail17trampoline_kernelINS0_14default_configENS1_25partition_config_selectorILNS1_17partition_subalgoE5EjNS0_10empty_typeEbEEZZNS1_14partition_implILS5_5ELb0ES3_mN6thrust23THRUST_200600_302600_NS6detail15normal_iteratorINSA_10device_ptrIjEEEEPS6_NSA_18transform_iteratorINSB_9not_fun_tINSA_8identityIjEEEESF_NSA_11use_defaultESM_EENS0_5tupleIJSF_S6_EEENSO_IJSG_SG_EEES6_PlJS6_EEE10hipError_tPvRmT3_T4_T5_T6_T7_T9_mT8_P12ihipStream_tbDpT10_ENKUlT_T0_E_clISt17integral_constantIbLb1EES1B_EEDaS16_S17_EUlS16_E_NS1_11comp_targetILNS1_3genE4ELNS1_11target_archE910ELNS1_3gpuE8ELNS1_3repE0EEENS1_30default_config_static_selectorELNS0_4arch9wavefront6targetE0EEEvT1_,comdat
.Lfunc_end895:
	.size	_ZN7rocprim17ROCPRIM_400000_NS6detail17trampoline_kernelINS0_14default_configENS1_25partition_config_selectorILNS1_17partition_subalgoE5EjNS0_10empty_typeEbEEZZNS1_14partition_implILS5_5ELb0ES3_mN6thrust23THRUST_200600_302600_NS6detail15normal_iteratorINSA_10device_ptrIjEEEEPS6_NSA_18transform_iteratorINSB_9not_fun_tINSA_8identityIjEEEESF_NSA_11use_defaultESM_EENS0_5tupleIJSF_S6_EEENSO_IJSG_SG_EEES6_PlJS6_EEE10hipError_tPvRmT3_T4_T5_T6_T7_T9_mT8_P12ihipStream_tbDpT10_ENKUlT_T0_E_clISt17integral_constantIbLb1EES1B_EEDaS16_S17_EUlS16_E_NS1_11comp_targetILNS1_3genE4ELNS1_11target_archE910ELNS1_3gpuE8ELNS1_3repE0EEENS1_30default_config_static_selectorELNS0_4arch9wavefront6targetE0EEEvT1_, .Lfunc_end895-_ZN7rocprim17ROCPRIM_400000_NS6detail17trampoline_kernelINS0_14default_configENS1_25partition_config_selectorILNS1_17partition_subalgoE5EjNS0_10empty_typeEbEEZZNS1_14partition_implILS5_5ELb0ES3_mN6thrust23THRUST_200600_302600_NS6detail15normal_iteratorINSA_10device_ptrIjEEEEPS6_NSA_18transform_iteratorINSB_9not_fun_tINSA_8identityIjEEEESF_NSA_11use_defaultESM_EENS0_5tupleIJSF_S6_EEENSO_IJSG_SG_EEES6_PlJS6_EEE10hipError_tPvRmT3_T4_T5_T6_T7_T9_mT8_P12ihipStream_tbDpT10_ENKUlT_T0_E_clISt17integral_constantIbLb1EES1B_EEDaS16_S17_EUlS16_E_NS1_11comp_targetILNS1_3genE4ELNS1_11target_archE910ELNS1_3gpuE8ELNS1_3repE0EEENS1_30default_config_static_selectorELNS0_4arch9wavefront6targetE0EEEvT1_
                                        ; -- End function
	.set _ZN7rocprim17ROCPRIM_400000_NS6detail17trampoline_kernelINS0_14default_configENS1_25partition_config_selectorILNS1_17partition_subalgoE5EjNS0_10empty_typeEbEEZZNS1_14partition_implILS5_5ELb0ES3_mN6thrust23THRUST_200600_302600_NS6detail15normal_iteratorINSA_10device_ptrIjEEEEPS6_NSA_18transform_iteratorINSB_9not_fun_tINSA_8identityIjEEEESF_NSA_11use_defaultESM_EENS0_5tupleIJSF_S6_EEENSO_IJSG_SG_EEES6_PlJS6_EEE10hipError_tPvRmT3_T4_T5_T6_T7_T9_mT8_P12ihipStream_tbDpT10_ENKUlT_T0_E_clISt17integral_constantIbLb1EES1B_EEDaS16_S17_EUlS16_E_NS1_11comp_targetILNS1_3genE4ELNS1_11target_archE910ELNS1_3gpuE8ELNS1_3repE0EEENS1_30default_config_static_selectorELNS0_4arch9wavefront6targetE0EEEvT1_.num_vgpr, 0
	.set _ZN7rocprim17ROCPRIM_400000_NS6detail17trampoline_kernelINS0_14default_configENS1_25partition_config_selectorILNS1_17partition_subalgoE5EjNS0_10empty_typeEbEEZZNS1_14partition_implILS5_5ELb0ES3_mN6thrust23THRUST_200600_302600_NS6detail15normal_iteratorINSA_10device_ptrIjEEEEPS6_NSA_18transform_iteratorINSB_9not_fun_tINSA_8identityIjEEEESF_NSA_11use_defaultESM_EENS0_5tupleIJSF_S6_EEENSO_IJSG_SG_EEES6_PlJS6_EEE10hipError_tPvRmT3_T4_T5_T6_T7_T9_mT8_P12ihipStream_tbDpT10_ENKUlT_T0_E_clISt17integral_constantIbLb1EES1B_EEDaS16_S17_EUlS16_E_NS1_11comp_targetILNS1_3genE4ELNS1_11target_archE910ELNS1_3gpuE8ELNS1_3repE0EEENS1_30default_config_static_selectorELNS0_4arch9wavefront6targetE0EEEvT1_.num_agpr, 0
	.set _ZN7rocprim17ROCPRIM_400000_NS6detail17trampoline_kernelINS0_14default_configENS1_25partition_config_selectorILNS1_17partition_subalgoE5EjNS0_10empty_typeEbEEZZNS1_14partition_implILS5_5ELb0ES3_mN6thrust23THRUST_200600_302600_NS6detail15normal_iteratorINSA_10device_ptrIjEEEEPS6_NSA_18transform_iteratorINSB_9not_fun_tINSA_8identityIjEEEESF_NSA_11use_defaultESM_EENS0_5tupleIJSF_S6_EEENSO_IJSG_SG_EEES6_PlJS6_EEE10hipError_tPvRmT3_T4_T5_T6_T7_T9_mT8_P12ihipStream_tbDpT10_ENKUlT_T0_E_clISt17integral_constantIbLb1EES1B_EEDaS16_S17_EUlS16_E_NS1_11comp_targetILNS1_3genE4ELNS1_11target_archE910ELNS1_3gpuE8ELNS1_3repE0EEENS1_30default_config_static_selectorELNS0_4arch9wavefront6targetE0EEEvT1_.numbered_sgpr, 0
	.set _ZN7rocprim17ROCPRIM_400000_NS6detail17trampoline_kernelINS0_14default_configENS1_25partition_config_selectorILNS1_17partition_subalgoE5EjNS0_10empty_typeEbEEZZNS1_14partition_implILS5_5ELb0ES3_mN6thrust23THRUST_200600_302600_NS6detail15normal_iteratorINSA_10device_ptrIjEEEEPS6_NSA_18transform_iteratorINSB_9not_fun_tINSA_8identityIjEEEESF_NSA_11use_defaultESM_EENS0_5tupleIJSF_S6_EEENSO_IJSG_SG_EEES6_PlJS6_EEE10hipError_tPvRmT3_T4_T5_T6_T7_T9_mT8_P12ihipStream_tbDpT10_ENKUlT_T0_E_clISt17integral_constantIbLb1EES1B_EEDaS16_S17_EUlS16_E_NS1_11comp_targetILNS1_3genE4ELNS1_11target_archE910ELNS1_3gpuE8ELNS1_3repE0EEENS1_30default_config_static_selectorELNS0_4arch9wavefront6targetE0EEEvT1_.num_named_barrier, 0
	.set _ZN7rocprim17ROCPRIM_400000_NS6detail17trampoline_kernelINS0_14default_configENS1_25partition_config_selectorILNS1_17partition_subalgoE5EjNS0_10empty_typeEbEEZZNS1_14partition_implILS5_5ELb0ES3_mN6thrust23THRUST_200600_302600_NS6detail15normal_iteratorINSA_10device_ptrIjEEEEPS6_NSA_18transform_iteratorINSB_9not_fun_tINSA_8identityIjEEEESF_NSA_11use_defaultESM_EENS0_5tupleIJSF_S6_EEENSO_IJSG_SG_EEES6_PlJS6_EEE10hipError_tPvRmT3_T4_T5_T6_T7_T9_mT8_P12ihipStream_tbDpT10_ENKUlT_T0_E_clISt17integral_constantIbLb1EES1B_EEDaS16_S17_EUlS16_E_NS1_11comp_targetILNS1_3genE4ELNS1_11target_archE910ELNS1_3gpuE8ELNS1_3repE0EEENS1_30default_config_static_selectorELNS0_4arch9wavefront6targetE0EEEvT1_.private_seg_size, 0
	.set _ZN7rocprim17ROCPRIM_400000_NS6detail17trampoline_kernelINS0_14default_configENS1_25partition_config_selectorILNS1_17partition_subalgoE5EjNS0_10empty_typeEbEEZZNS1_14partition_implILS5_5ELb0ES3_mN6thrust23THRUST_200600_302600_NS6detail15normal_iteratorINSA_10device_ptrIjEEEEPS6_NSA_18transform_iteratorINSB_9not_fun_tINSA_8identityIjEEEESF_NSA_11use_defaultESM_EENS0_5tupleIJSF_S6_EEENSO_IJSG_SG_EEES6_PlJS6_EEE10hipError_tPvRmT3_T4_T5_T6_T7_T9_mT8_P12ihipStream_tbDpT10_ENKUlT_T0_E_clISt17integral_constantIbLb1EES1B_EEDaS16_S17_EUlS16_E_NS1_11comp_targetILNS1_3genE4ELNS1_11target_archE910ELNS1_3gpuE8ELNS1_3repE0EEENS1_30default_config_static_selectorELNS0_4arch9wavefront6targetE0EEEvT1_.uses_vcc, 0
	.set _ZN7rocprim17ROCPRIM_400000_NS6detail17trampoline_kernelINS0_14default_configENS1_25partition_config_selectorILNS1_17partition_subalgoE5EjNS0_10empty_typeEbEEZZNS1_14partition_implILS5_5ELb0ES3_mN6thrust23THRUST_200600_302600_NS6detail15normal_iteratorINSA_10device_ptrIjEEEEPS6_NSA_18transform_iteratorINSB_9not_fun_tINSA_8identityIjEEEESF_NSA_11use_defaultESM_EENS0_5tupleIJSF_S6_EEENSO_IJSG_SG_EEES6_PlJS6_EEE10hipError_tPvRmT3_T4_T5_T6_T7_T9_mT8_P12ihipStream_tbDpT10_ENKUlT_T0_E_clISt17integral_constantIbLb1EES1B_EEDaS16_S17_EUlS16_E_NS1_11comp_targetILNS1_3genE4ELNS1_11target_archE910ELNS1_3gpuE8ELNS1_3repE0EEENS1_30default_config_static_selectorELNS0_4arch9wavefront6targetE0EEEvT1_.uses_flat_scratch, 0
	.set _ZN7rocprim17ROCPRIM_400000_NS6detail17trampoline_kernelINS0_14default_configENS1_25partition_config_selectorILNS1_17partition_subalgoE5EjNS0_10empty_typeEbEEZZNS1_14partition_implILS5_5ELb0ES3_mN6thrust23THRUST_200600_302600_NS6detail15normal_iteratorINSA_10device_ptrIjEEEEPS6_NSA_18transform_iteratorINSB_9not_fun_tINSA_8identityIjEEEESF_NSA_11use_defaultESM_EENS0_5tupleIJSF_S6_EEENSO_IJSG_SG_EEES6_PlJS6_EEE10hipError_tPvRmT3_T4_T5_T6_T7_T9_mT8_P12ihipStream_tbDpT10_ENKUlT_T0_E_clISt17integral_constantIbLb1EES1B_EEDaS16_S17_EUlS16_E_NS1_11comp_targetILNS1_3genE4ELNS1_11target_archE910ELNS1_3gpuE8ELNS1_3repE0EEENS1_30default_config_static_selectorELNS0_4arch9wavefront6targetE0EEEvT1_.has_dyn_sized_stack, 0
	.set _ZN7rocprim17ROCPRIM_400000_NS6detail17trampoline_kernelINS0_14default_configENS1_25partition_config_selectorILNS1_17partition_subalgoE5EjNS0_10empty_typeEbEEZZNS1_14partition_implILS5_5ELb0ES3_mN6thrust23THRUST_200600_302600_NS6detail15normal_iteratorINSA_10device_ptrIjEEEEPS6_NSA_18transform_iteratorINSB_9not_fun_tINSA_8identityIjEEEESF_NSA_11use_defaultESM_EENS0_5tupleIJSF_S6_EEENSO_IJSG_SG_EEES6_PlJS6_EEE10hipError_tPvRmT3_T4_T5_T6_T7_T9_mT8_P12ihipStream_tbDpT10_ENKUlT_T0_E_clISt17integral_constantIbLb1EES1B_EEDaS16_S17_EUlS16_E_NS1_11comp_targetILNS1_3genE4ELNS1_11target_archE910ELNS1_3gpuE8ELNS1_3repE0EEENS1_30default_config_static_selectorELNS0_4arch9wavefront6targetE0EEEvT1_.has_recursion, 0
	.set _ZN7rocprim17ROCPRIM_400000_NS6detail17trampoline_kernelINS0_14default_configENS1_25partition_config_selectorILNS1_17partition_subalgoE5EjNS0_10empty_typeEbEEZZNS1_14partition_implILS5_5ELb0ES3_mN6thrust23THRUST_200600_302600_NS6detail15normal_iteratorINSA_10device_ptrIjEEEEPS6_NSA_18transform_iteratorINSB_9not_fun_tINSA_8identityIjEEEESF_NSA_11use_defaultESM_EENS0_5tupleIJSF_S6_EEENSO_IJSG_SG_EEES6_PlJS6_EEE10hipError_tPvRmT3_T4_T5_T6_T7_T9_mT8_P12ihipStream_tbDpT10_ENKUlT_T0_E_clISt17integral_constantIbLb1EES1B_EEDaS16_S17_EUlS16_E_NS1_11comp_targetILNS1_3genE4ELNS1_11target_archE910ELNS1_3gpuE8ELNS1_3repE0EEENS1_30default_config_static_selectorELNS0_4arch9wavefront6targetE0EEEvT1_.has_indirect_call, 0
	.section	.AMDGPU.csdata,"",@progbits
; Kernel info:
; codeLenInByte = 0
; TotalNumSgprs: 0
; NumVgprs: 0
; ScratchSize: 0
; MemoryBound: 0
; FloatMode: 240
; IeeeMode: 1
; LDSByteSize: 0 bytes/workgroup (compile time only)
; SGPRBlocks: 0
; VGPRBlocks: 0
; NumSGPRsForWavesPerEU: 1
; NumVGPRsForWavesPerEU: 1
; Occupancy: 16
; WaveLimiterHint : 0
; COMPUTE_PGM_RSRC2:SCRATCH_EN: 0
; COMPUTE_PGM_RSRC2:USER_SGPR: 2
; COMPUTE_PGM_RSRC2:TRAP_HANDLER: 0
; COMPUTE_PGM_RSRC2:TGID_X_EN: 1
; COMPUTE_PGM_RSRC2:TGID_Y_EN: 0
; COMPUTE_PGM_RSRC2:TGID_Z_EN: 0
; COMPUTE_PGM_RSRC2:TIDIG_COMP_CNT: 0
	.section	.text._ZN7rocprim17ROCPRIM_400000_NS6detail17trampoline_kernelINS0_14default_configENS1_25partition_config_selectorILNS1_17partition_subalgoE5EjNS0_10empty_typeEbEEZZNS1_14partition_implILS5_5ELb0ES3_mN6thrust23THRUST_200600_302600_NS6detail15normal_iteratorINSA_10device_ptrIjEEEEPS6_NSA_18transform_iteratorINSB_9not_fun_tINSA_8identityIjEEEESF_NSA_11use_defaultESM_EENS0_5tupleIJSF_S6_EEENSO_IJSG_SG_EEES6_PlJS6_EEE10hipError_tPvRmT3_T4_T5_T6_T7_T9_mT8_P12ihipStream_tbDpT10_ENKUlT_T0_E_clISt17integral_constantIbLb1EES1B_EEDaS16_S17_EUlS16_E_NS1_11comp_targetILNS1_3genE3ELNS1_11target_archE908ELNS1_3gpuE7ELNS1_3repE0EEENS1_30default_config_static_selectorELNS0_4arch9wavefront6targetE0EEEvT1_,"axG",@progbits,_ZN7rocprim17ROCPRIM_400000_NS6detail17trampoline_kernelINS0_14default_configENS1_25partition_config_selectorILNS1_17partition_subalgoE5EjNS0_10empty_typeEbEEZZNS1_14partition_implILS5_5ELb0ES3_mN6thrust23THRUST_200600_302600_NS6detail15normal_iteratorINSA_10device_ptrIjEEEEPS6_NSA_18transform_iteratorINSB_9not_fun_tINSA_8identityIjEEEESF_NSA_11use_defaultESM_EENS0_5tupleIJSF_S6_EEENSO_IJSG_SG_EEES6_PlJS6_EEE10hipError_tPvRmT3_T4_T5_T6_T7_T9_mT8_P12ihipStream_tbDpT10_ENKUlT_T0_E_clISt17integral_constantIbLb1EES1B_EEDaS16_S17_EUlS16_E_NS1_11comp_targetILNS1_3genE3ELNS1_11target_archE908ELNS1_3gpuE7ELNS1_3repE0EEENS1_30default_config_static_selectorELNS0_4arch9wavefront6targetE0EEEvT1_,comdat
	.protected	_ZN7rocprim17ROCPRIM_400000_NS6detail17trampoline_kernelINS0_14default_configENS1_25partition_config_selectorILNS1_17partition_subalgoE5EjNS0_10empty_typeEbEEZZNS1_14partition_implILS5_5ELb0ES3_mN6thrust23THRUST_200600_302600_NS6detail15normal_iteratorINSA_10device_ptrIjEEEEPS6_NSA_18transform_iteratorINSB_9not_fun_tINSA_8identityIjEEEESF_NSA_11use_defaultESM_EENS0_5tupleIJSF_S6_EEENSO_IJSG_SG_EEES6_PlJS6_EEE10hipError_tPvRmT3_T4_T5_T6_T7_T9_mT8_P12ihipStream_tbDpT10_ENKUlT_T0_E_clISt17integral_constantIbLb1EES1B_EEDaS16_S17_EUlS16_E_NS1_11comp_targetILNS1_3genE3ELNS1_11target_archE908ELNS1_3gpuE7ELNS1_3repE0EEENS1_30default_config_static_selectorELNS0_4arch9wavefront6targetE0EEEvT1_ ; -- Begin function _ZN7rocprim17ROCPRIM_400000_NS6detail17trampoline_kernelINS0_14default_configENS1_25partition_config_selectorILNS1_17partition_subalgoE5EjNS0_10empty_typeEbEEZZNS1_14partition_implILS5_5ELb0ES3_mN6thrust23THRUST_200600_302600_NS6detail15normal_iteratorINSA_10device_ptrIjEEEEPS6_NSA_18transform_iteratorINSB_9not_fun_tINSA_8identityIjEEEESF_NSA_11use_defaultESM_EENS0_5tupleIJSF_S6_EEENSO_IJSG_SG_EEES6_PlJS6_EEE10hipError_tPvRmT3_T4_T5_T6_T7_T9_mT8_P12ihipStream_tbDpT10_ENKUlT_T0_E_clISt17integral_constantIbLb1EES1B_EEDaS16_S17_EUlS16_E_NS1_11comp_targetILNS1_3genE3ELNS1_11target_archE908ELNS1_3gpuE7ELNS1_3repE0EEENS1_30default_config_static_selectorELNS0_4arch9wavefront6targetE0EEEvT1_
	.globl	_ZN7rocprim17ROCPRIM_400000_NS6detail17trampoline_kernelINS0_14default_configENS1_25partition_config_selectorILNS1_17partition_subalgoE5EjNS0_10empty_typeEbEEZZNS1_14partition_implILS5_5ELb0ES3_mN6thrust23THRUST_200600_302600_NS6detail15normal_iteratorINSA_10device_ptrIjEEEEPS6_NSA_18transform_iteratorINSB_9not_fun_tINSA_8identityIjEEEESF_NSA_11use_defaultESM_EENS0_5tupleIJSF_S6_EEENSO_IJSG_SG_EEES6_PlJS6_EEE10hipError_tPvRmT3_T4_T5_T6_T7_T9_mT8_P12ihipStream_tbDpT10_ENKUlT_T0_E_clISt17integral_constantIbLb1EES1B_EEDaS16_S17_EUlS16_E_NS1_11comp_targetILNS1_3genE3ELNS1_11target_archE908ELNS1_3gpuE7ELNS1_3repE0EEENS1_30default_config_static_selectorELNS0_4arch9wavefront6targetE0EEEvT1_
	.p2align	8
	.type	_ZN7rocprim17ROCPRIM_400000_NS6detail17trampoline_kernelINS0_14default_configENS1_25partition_config_selectorILNS1_17partition_subalgoE5EjNS0_10empty_typeEbEEZZNS1_14partition_implILS5_5ELb0ES3_mN6thrust23THRUST_200600_302600_NS6detail15normal_iteratorINSA_10device_ptrIjEEEEPS6_NSA_18transform_iteratorINSB_9not_fun_tINSA_8identityIjEEEESF_NSA_11use_defaultESM_EENS0_5tupleIJSF_S6_EEENSO_IJSG_SG_EEES6_PlJS6_EEE10hipError_tPvRmT3_T4_T5_T6_T7_T9_mT8_P12ihipStream_tbDpT10_ENKUlT_T0_E_clISt17integral_constantIbLb1EES1B_EEDaS16_S17_EUlS16_E_NS1_11comp_targetILNS1_3genE3ELNS1_11target_archE908ELNS1_3gpuE7ELNS1_3repE0EEENS1_30default_config_static_selectorELNS0_4arch9wavefront6targetE0EEEvT1_,@function
_ZN7rocprim17ROCPRIM_400000_NS6detail17trampoline_kernelINS0_14default_configENS1_25partition_config_selectorILNS1_17partition_subalgoE5EjNS0_10empty_typeEbEEZZNS1_14partition_implILS5_5ELb0ES3_mN6thrust23THRUST_200600_302600_NS6detail15normal_iteratorINSA_10device_ptrIjEEEEPS6_NSA_18transform_iteratorINSB_9not_fun_tINSA_8identityIjEEEESF_NSA_11use_defaultESM_EENS0_5tupleIJSF_S6_EEENSO_IJSG_SG_EEES6_PlJS6_EEE10hipError_tPvRmT3_T4_T5_T6_T7_T9_mT8_P12ihipStream_tbDpT10_ENKUlT_T0_E_clISt17integral_constantIbLb1EES1B_EEDaS16_S17_EUlS16_E_NS1_11comp_targetILNS1_3genE3ELNS1_11target_archE908ELNS1_3gpuE7ELNS1_3repE0EEENS1_30default_config_static_selectorELNS0_4arch9wavefront6targetE0EEEvT1_: ; @_ZN7rocprim17ROCPRIM_400000_NS6detail17trampoline_kernelINS0_14default_configENS1_25partition_config_selectorILNS1_17partition_subalgoE5EjNS0_10empty_typeEbEEZZNS1_14partition_implILS5_5ELb0ES3_mN6thrust23THRUST_200600_302600_NS6detail15normal_iteratorINSA_10device_ptrIjEEEEPS6_NSA_18transform_iteratorINSB_9not_fun_tINSA_8identityIjEEEESF_NSA_11use_defaultESM_EENS0_5tupleIJSF_S6_EEENSO_IJSG_SG_EEES6_PlJS6_EEE10hipError_tPvRmT3_T4_T5_T6_T7_T9_mT8_P12ihipStream_tbDpT10_ENKUlT_T0_E_clISt17integral_constantIbLb1EES1B_EEDaS16_S17_EUlS16_E_NS1_11comp_targetILNS1_3genE3ELNS1_11target_archE908ELNS1_3gpuE7ELNS1_3repE0EEENS1_30default_config_static_selectorELNS0_4arch9wavefront6targetE0EEEvT1_
; %bb.0:
	.section	.rodata,"a",@progbits
	.p2align	6, 0x0
	.amdhsa_kernel _ZN7rocprim17ROCPRIM_400000_NS6detail17trampoline_kernelINS0_14default_configENS1_25partition_config_selectorILNS1_17partition_subalgoE5EjNS0_10empty_typeEbEEZZNS1_14partition_implILS5_5ELb0ES3_mN6thrust23THRUST_200600_302600_NS6detail15normal_iteratorINSA_10device_ptrIjEEEEPS6_NSA_18transform_iteratorINSB_9not_fun_tINSA_8identityIjEEEESF_NSA_11use_defaultESM_EENS0_5tupleIJSF_S6_EEENSO_IJSG_SG_EEES6_PlJS6_EEE10hipError_tPvRmT3_T4_T5_T6_T7_T9_mT8_P12ihipStream_tbDpT10_ENKUlT_T0_E_clISt17integral_constantIbLb1EES1B_EEDaS16_S17_EUlS16_E_NS1_11comp_targetILNS1_3genE3ELNS1_11target_archE908ELNS1_3gpuE7ELNS1_3repE0EEENS1_30default_config_static_selectorELNS0_4arch9wavefront6targetE0EEEvT1_
		.amdhsa_group_segment_fixed_size 0
		.amdhsa_private_segment_fixed_size 0
		.amdhsa_kernarg_size 136
		.amdhsa_user_sgpr_count 2
		.amdhsa_user_sgpr_dispatch_ptr 0
		.amdhsa_user_sgpr_queue_ptr 0
		.amdhsa_user_sgpr_kernarg_segment_ptr 1
		.amdhsa_user_sgpr_dispatch_id 0
		.amdhsa_user_sgpr_private_segment_size 0
		.amdhsa_wavefront_size32 1
		.amdhsa_uses_dynamic_stack 0
		.amdhsa_enable_private_segment 0
		.amdhsa_system_sgpr_workgroup_id_x 1
		.amdhsa_system_sgpr_workgroup_id_y 0
		.amdhsa_system_sgpr_workgroup_id_z 0
		.amdhsa_system_sgpr_workgroup_info 0
		.amdhsa_system_vgpr_workitem_id 0
		.amdhsa_next_free_vgpr 1
		.amdhsa_next_free_sgpr 1
		.amdhsa_reserve_vcc 0
		.amdhsa_float_round_mode_32 0
		.amdhsa_float_round_mode_16_64 0
		.amdhsa_float_denorm_mode_32 3
		.amdhsa_float_denorm_mode_16_64 3
		.amdhsa_fp16_overflow 0
		.amdhsa_workgroup_processor_mode 1
		.amdhsa_memory_ordered 1
		.amdhsa_forward_progress 1
		.amdhsa_inst_pref_size 0
		.amdhsa_round_robin_scheduling 0
		.amdhsa_exception_fp_ieee_invalid_op 0
		.amdhsa_exception_fp_denorm_src 0
		.amdhsa_exception_fp_ieee_div_zero 0
		.amdhsa_exception_fp_ieee_overflow 0
		.amdhsa_exception_fp_ieee_underflow 0
		.amdhsa_exception_fp_ieee_inexact 0
		.amdhsa_exception_int_div_zero 0
	.end_amdhsa_kernel
	.section	.text._ZN7rocprim17ROCPRIM_400000_NS6detail17trampoline_kernelINS0_14default_configENS1_25partition_config_selectorILNS1_17partition_subalgoE5EjNS0_10empty_typeEbEEZZNS1_14partition_implILS5_5ELb0ES3_mN6thrust23THRUST_200600_302600_NS6detail15normal_iteratorINSA_10device_ptrIjEEEEPS6_NSA_18transform_iteratorINSB_9not_fun_tINSA_8identityIjEEEESF_NSA_11use_defaultESM_EENS0_5tupleIJSF_S6_EEENSO_IJSG_SG_EEES6_PlJS6_EEE10hipError_tPvRmT3_T4_T5_T6_T7_T9_mT8_P12ihipStream_tbDpT10_ENKUlT_T0_E_clISt17integral_constantIbLb1EES1B_EEDaS16_S17_EUlS16_E_NS1_11comp_targetILNS1_3genE3ELNS1_11target_archE908ELNS1_3gpuE7ELNS1_3repE0EEENS1_30default_config_static_selectorELNS0_4arch9wavefront6targetE0EEEvT1_,"axG",@progbits,_ZN7rocprim17ROCPRIM_400000_NS6detail17trampoline_kernelINS0_14default_configENS1_25partition_config_selectorILNS1_17partition_subalgoE5EjNS0_10empty_typeEbEEZZNS1_14partition_implILS5_5ELb0ES3_mN6thrust23THRUST_200600_302600_NS6detail15normal_iteratorINSA_10device_ptrIjEEEEPS6_NSA_18transform_iteratorINSB_9not_fun_tINSA_8identityIjEEEESF_NSA_11use_defaultESM_EENS0_5tupleIJSF_S6_EEENSO_IJSG_SG_EEES6_PlJS6_EEE10hipError_tPvRmT3_T4_T5_T6_T7_T9_mT8_P12ihipStream_tbDpT10_ENKUlT_T0_E_clISt17integral_constantIbLb1EES1B_EEDaS16_S17_EUlS16_E_NS1_11comp_targetILNS1_3genE3ELNS1_11target_archE908ELNS1_3gpuE7ELNS1_3repE0EEENS1_30default_config_static_selectorELNS0_4arch9wavefront6targetE0EEEvT1_,comdat
.Lfunc_end896:
	.size	_ZN7rocprim17ROCPRIM_400000_NS6detail17trampoline_kernelINS0_14default_configENS1_25partition_config_selectorILNS1_17partition_subalgoE5EjNS0_10empty_typeEbEEZZNS1_14partition_implILS5_5ELb0ES3_mN6thrust23THRUST_200600_302600_NS6detail15normal_iteratorINSA_10device_ptrIjEEEEPS6_NSA_18transform_iteratorINSB_9not_fun_tINSA_8identityIjEEEESF_NSA_11use_defaultESM_EENS0_5tupleIJSF_S6_EEENSO_IJSG_SG_EEES6_PlJS6_EEE10hipError_tPvRmT3_T4_T5_T6_T7_T9_mT8_P12ihipStream_tbDpT10_ENKUlT_T0_E_clISt17integral_constantIbLb1EES1B_EEDaS16_S17_EUlS16_E_NS1_11comp_targetILNS1_3genE3ELNS1_11target_archE908ELNS1_3gpuE7ELNS1_3repE0EEENS1_30default_config_static_selectorELNS0_4arch9wavefront6targetE0EEEvT1_, .Lfunc_end896-_ZN7rocprim17ROCPRIM_400000_NS6detail17trampoline_kernelINS0_14default_configENS1_25partition_config_selectorILNS1_17partition_subalgoE5EjNS0_10empty_typeEbEEZZNS1_14partition_implILS5_5ELb0ES3_mN6thrust23THRUST_200600_302600_NS6detail15normal_iteratorINSA_10device_ptrIjEEEEPS6_NSA_18transform_iteratorINSB_9not_fun_tINSA_8identityIjEEEESF_NSA_11use_defaultESM_EENS0_5tupleIJSF_S6_EEENSO_IJSG_SG_EEES6_PlJS6_EEE10hipError_tPvRmT3_T4_T5_T6_T7_T9_mT8_P12ihipStream_tbDpT10_ENKUlT_T0_E_clISt17integral_constantIbLb1EES1B_EEDaS16_S17_EUlS16_E_NS1_11comp_targetILNS1_3genE3ELNS1_11target_archE908ELNS1_3gpuE7ELNS1_3repE0EEENS1_30default_config_static_selectorELNS0_4arch9wavefront6targetE0EEEvT1_
                                        ; -- End function
	.set _ZN7rocprim17ROCPRIM_400000_NS6detail17trampoline_kernelINS0_14default_configENS1_25partition_config_selectorILNS1_17partition_subalgoE5EjNS0_10empty_typeEbEEZZNS1_14partition_implILS5_5ELb0ES3_mN6thrust23THRUST_200600_302600_NS6detail15normal_iteratorINSA_10device_ptrIjEEEEPS6_NSA_18transform_iteratorINSB_9not_fun_tINSA_8identityIjEEEESF_NSA_11use_defaultESM_EENS0_5tupleIJSF_S6_EEENSO_IJSG_SG_EEES6_PlJS6_EEE10hipError_tPvRmT3_T4_T5_T6_T7_T9_mT8_P12ihipStream_tbDpT10_ENKUlT_T0_E_clISt17integral_constantIbLb1EES1B_EEDaS16_S17_EUlS16_E_NS1_11comp_targetILNS1_3genE3ELNS1_11target_archE908ELNS1_3gpuE7ELNS1_3repE0EEENS1_30default_config_static_selectorELNS0_4arch9wavefront6targetE0EEEvT1_.num_vgpr, 0
	.set _ZN7rocprim17ROCPRIM_400000_NS6detail17trampoline_kernelINS0_14default_configENS1_25partition_config_selectorILNS1_17partition_subalgoE5EjNS0_10empty_typeEbEEZZNS1_14partition_implILS5_5ELb0ES3_mN6thrust23THRUST_200600_302600_NS6detail15normal_iteratorINSA_10device_ptrIjEEEEPS6_NSA_18transform_iteratorINSB_9not_fun_tINSA_8identityIjEEEESF_NSA_11use_defaultESM_EENS0_5tupleIJSF_S6_EEENSO_IJSG_SG_EEES6_PlJS6_EEE10hipError_tPvRmT3_T4_T5_T6_T7_T9_mT8_P12ihipStream_tbDpT10_ENKUlT_T0_E_clISt17integral_constantIbLb1EES1B_EEDaS16_S17_EUlS16_E_NS1_11comp_targetILNS1_3genE3ELNS1_11target_archE908ELNS1_3gpuE7ELNS1_3repE0EEENS1_30default_config_static_selectorELNS0_4arch9wavefront6targetE0EEEvT1_.num_agpr, 0
	.set _ZN7rocprim17ROCPRIM_400000_NS6detail17trampoline_kernelINS0_14default_configENS1_25partition_config_selectorILNS1_17partition_subalgoE5EjNS0_10empty_typeEbEEZZNS1_14partition_implILS5_5ELb0ES3_mN6thrust23THRUST_200600_302600_NS6detail15normal_iteratorINSA_10device_ptrIjEEEEPS6_NSA_18transform_iteratorINSB_9not_fun_tINSA_8identityIjEEEESF_NSA_11use_defaultESM_EENS0_5tupleIJSF_S6_EEENSO_IJSG_SG_EEES6_PlJS6_EEE10hipError_tPvRmT3_T4_T5_T6_T7_T9_mT8_P12ihipStream_tbDpT10_ENKUlT_T0_E_clISt17integral_constantIbLb1EES1B_EEDaS16_S17_EUlS16_E_NS1_11comp_targetILNS1_3genE3ELNS1_11target_archE908ELNS1_3gpuE7ELNS1_3repE0EEENS1_30default_config_static_selectorELNS0_4arch9wavefront6targetE0EEEvT1_.numbered_sgpr, 0
	.set _ZN7rocprim17ROCPRIM_400000_NS6detail17trampoline_kernelINS0_14default_configENS1_25partition_config_selectorILNS1_17partition_subalgoE5EjNS0_10empty_typeEbEEZZNS1_14partition_implILS5_5ELb0ES3_mN6thrust23THRUST_200600_302600_NS6detail15normal_iteratorINSA_10device_ptrIjEEEEPS6_NSA_18transform_iteratorINSB_9not_fun_tINSA_8identityIjEEEESF_NSA_11use_defaultESM_EENS0_5tupleIJSF_S6_EEENSO_IJSG_SG_EEES6_PlJS6_EEE10hipError_tPvRmT3_T4_T5_T6_T7_T9_mT8_P12ihipStream_tbDpT10_ENKUlT_T0_E_clISt17integral_constantIbLb1EES1B_EEDaS16_S17_EUlS16_E_NS1_11comp_targetILNS1_3genE3ELNS1_11target_archE908ELNS1_3gpuE7ELNS1_3repE0EEENS1_30default_config_static_selectorELNS0_4arch9wavefront6targetE0EEEvT1_.num_named_barrier, 0
	.set _ZN7rocprim17ROCPRIM_400000_NS6detail17trampoline_kernelINS0_14default_configENS1_25partition_config_selectorILNS1_17partition_subalgoE5EjNS0_10empty_typeEbEEZZNS1_14partition_implILS5_5ELb0ES3_mN6thrust23THRUST_200600_302600_NS6detail15normal_iteratorINSA_10device_ptrIjEEEEPS6_NSA_18transform_iteratorINSB_9not_fun_tINSA_8identityIjEEEESF_NSA_11use_defaultESM_EENS0_5tupleIJSF_S6_EEENSO_IJSG_SG_EEES6_PlJS6_EEE10hipError_tPvRmT3_T4_T5_T6_T7_T9_mT8_P12ihipStream_tbDpT10_ENKUlT_T0_E_clISt17integral_constantIbLb1EES1B_EEDaS16_S17_EUlS16_E_NS1_11comp_targetILNS1_3genE3ELNS1_11target_archE908ELNS1_3gpuE7ELNS1_3repE0EEENS1_30default_config_static_selectorELNS0_4arch9wavefront6targetE0EEEvT1_.private_seg_size, 0
	.set _ZN7rocprim17ROCPRIM_400000_NS6detail17trampoline_kernelINS0_14default_configENS1_25partition_config_selectorILNS1_17partition_subalgoE5EjNS0_10empty_typeEbEEZZNS1_14partition_implILS5_5ELb0ES3_mN6thrust23THRUST_200600_302600_NS6detail15normal_iteratorINSA_10device_ptrIjEEEEPS6_NSA_18transform_iteratorINSB_9not_fun_tINSA_8identityIjEEEESF_NSA_11use_defaultESM_EENS0_5tupleIJSF_S6_EEENSO_IJSG_SG_EEES6_PlJS6_EEE10hipError_tPvRmT3_T4_T5_T6_T7_T9_mT8_P12ihipStream_tbDpT10_ENKUlT_T0_E_clISt17integral_constantIbLb1EES1B_EEDaS16_S17_EUlS16_E_NS1_11comp_targetILNS1_3genE3ELNS1_11target_archE908ELNS1_3gpuE7ELNS1_3repE0EEENS1_30default_config_static_selectorELNS0_4arch9wavefront6targetE0EEEvT1_.uses_vcc, 0
	.set _ZN7rocprim17ROCPRIM_400000_NS6detail17trampoline_kernelINS0_14default_configENS1_25partition_config_selectorILNS1_17partition_subalgoE5EjNS0_10empty_typeEbEEZZNS1_14partition_implILS5_5ELb0ES3_mN6thrust23THRUST_200600_302600_NS6detail15normal_iteratorINSA_10device_ptrIjEEEEPS6_NSA_18transform_iteratorINSB_9not_fun_tINSA_8identityIjEEEESF_NSA_11use_defaultESM_EENS0_5tupleIJSF_S6_EEENSO_IJSG_SG_EEES6_PlJS6_EEE10hipError_tPvRmT3_T4_T5_T6_T7_T9_mT8_P12ihipStream_tbDpT10_ENKUlT_T0_E_clISt17integral_constantIbLb1EES1B_EEDaS16_S17_EUlS16_E_NS1_11comp_targetILNS1_3genE3ELNS1_11target_archE908ELNS1_3gpuE7ELNS1_3repE0EEENS1_30default_config_static_selectorELNS0_4arch9wavefront6targetE0EEEvT1_.uses_flat_scratch, 0
	.set _ZN7rocprim17ROCPRIM_400000_NS6detail17trampoline_kernelINS0_14default_configENS1_25partition_config_selectorILNS1_17partition_subalgoE5EjNS0_10empty_typeEbEEZZNS1_14partition_implILS5_5ELb0ES3_mN6thrust23THRUST_200600_302600_NS6detail15normal_iteratorINSA_10device_ptrIjEEEEPS6_NSA_18transform_iteratorINSB_9not_fun_tINSA_8identityIjEEEESF_NSA_11use_defaultESM_EENS0_5tupleIJSF_S6_EEENSO_IJSG_SG_EEES6_PlJS6_EEE10hipError_tPvRmT3_T4_T5_T6_T7_T9_mT8_P12ihipStream_tbDpT10_ENKUlT_T0_E_clISt17integral_constantIbLb1EES1B_EEDaS16_S17_EUlS16_E_NS1_11comp_targetILNS1_3genE3ELNS1_11target_archE908ELNS1_3gpuE7ELNS1_3repE0EEENS1_30default_config_static_selectorELNS0_4arch9wavefront6targetE0EEEvT1_.has_dyn_sized_stack, 0
	.set _ZN7rocprim17ROCPRIM_400000_NS6detail17trampoline_kernelINS0_14default_configENS1_25partition_config_selectorILNS1_17partition_subalgoE5EjNS0_10empty_typeEbEEZZNS1_14partition_implILS5_5ELb0ES3_mN6thrust23THRUST_200600_302600_NS6detail15normal_iteratorINSA_10device_ptrIjEEEEPS6_NSA_18transform_iteratorINSB_9not_fun_tINSA_8identityIjEEEESF_NSA_11use_defaultESM_EENS0_5tupleIJSF_S6_EEENSO_IJSG_SG_EEES6_PlJS6_EEE10hipError_tPvRmT3_T4_T5_T6_T7_T9_mT8_P12ihipStream_tbDpT10_ENKUlT_T0_E_clISt17integral_constantIbLb1EES1B_EEDaS16_S17_EUlS16_E_NS1_11comp_targetILNS1_3genE3ELNS1_11target_archE908ELNS1_3gpuE7ELNS1_3repE0EEENS1_30default_config_static_selectorELNS0_4arch9wavefront6targetE0EEEvT1_.has_recursion, 0
	.set _ZN7rocprim17ROCPRIM_400000_NS6detail17trampoline_kernelINS0_14default_configENS1_25partition_config_selectorILNS1_17partition_subalgoE5EjNS0_10empty_typeEbEEZZNS1_14partition_implILS5_5ELb0ES3_mN6thrust23THRUST_200600_302600_NS6detail15normal_iteratorINSA_10device_ptrIjEEEEPS6_NSA_18transform_iteratorINSB_9not_fun_tINSA_8identityIjEEEESF_NSA_11use_defaultESM_EENS0_5tupleIJSF_S6_EEENSO_IJSG_SG_EEES6_PlJS6_EEE10hipError_tPvRmT3_T4_T5_T6_T7_T9_mT8_P12ihipStream_tbDpT10_ENKUlT_T0_E_clISt17integral_constantIbLb1EES1B_EEDaS16_S17_EUlS16_E_NS1_11comp_targetILNS1_3genE3ELNS1_11target_archE908ELNS1_3gpuE7ELNS1_3repE0EEENS1_30default_config_static_selectorELNS0_4arch9wavefront6targetE0EEEvT1_.has_indirect_call, 0
	.section	.AMDGPU.csdata,"",@progbits
; Kernel info:
; codeLenInByte = 0
; TotalNumSgprs: 0
; NumVgprs: 0
; ScratchSize: 0
; MemoryBound: 0
; FloatMode: 240
; IeeeMode: 1
; LDSByteSize: 0 bytes/workgroup (compile time only)
; SGPRBlocks: 0
; VGPRBlocks: 0
; NumSGPRsForWavesPerEU: 1
; NumVGPRsForWavesPerEU: 1
; Occupancy: 16
; WaveLimiterHint : 0
; COMPUTE_PGM_RSRC2:SCRATCH_EN: 0
; COMPUTE_PGM_RSRC2:USER_SGPR: 2
; COMPUTE_PGM_RSRC2:TRAP_HANDLER: 0
; COMPUTE_PGM_RSRC2:TGID_X_EN: 1
; COMPUTE_PGM_RSRC2:TGID_Y_EN: 0
; COMPUTE_PGM_RSRC2:TGID_Z_EN: 0
; COMPUTE_PGM_RSRC2:TIDIG_COMP_CNT: 0
	.section	.text._ZN7rocprim17ROCPRIM_400000_NS6detail17trampoline_kernelINS0_14default_configENS1_25partition_config_selectorILNS1_17partition_subalgoE5EjNS0_10empty_typeEbEEZZNS1_14partition_implILS5_5ELb0ES3_mN6thrust23THRUST_200600_302600_NS6detail15normal_iteratorINSA_10device_ptrIjEEEEPS6_NSA_18transform_iteratorINSB_9not_fun_tINSA_8identityIjEEEESF_NSA_11use_defaultESM_EENS0_5tupleIJSF_S6_EEENSO_IJSG_SG_EEES6_PlJS6_EEE10hipError_tPvRmT3_T4_T5_T6_T7_T9_mT8_P12ihipStream_tbDpT10_ENKUlT_T0_E_clISt17integral_constantIbLb1EES1B_EEDaS16_S17_EUlS16_E_NS1_11comp_targetILNS1_3genE2ELNS1_11target_archE906ELNS1_3gpuE6ELNS1_3repE0EEENS1_30default_config_static_selectorELNS0_4arch9wavefront6targetE0EEEvT1_,"axG",@progbits,_ZN7rocprim17ROCPRIM_400000_NS6detail17trampoline_kernelINS0_14default_configENS1_25partition_config_selectorILNS1_17partition_subalgoE5EjNS0_10empty_typeEbEEZZNS1_14partition_implILS5_5ELb0ES3_mN6thrust23THRUST_200600_302600_NS6detail15normal_iteratorINSA_10device_ptrIjEEEEPS6_NSA_18transform_iteratorINSB_9not_fun_tINSA_8identityIjEEEESF_NSA_11use_defaultESM_EENS0_5tupleIJSF_S6_EEENSO_IJSG_SG_EEES6_PlJS6_EEE10hipError_tPvRmT3_T4_T5_T6_T7_T9_mT8_P12ihipStream_tbDpT10_ENKUlT_T0_E_clISt17integral_constantIbLb1EES1B_EEDaS16_S17_EUlS16_E_NS1_11comp_targetILNS1_3genE2ELNS1_11target_archE906ELNS1_3gpuE6ELNS1_3repE0EEENS1_30default_config_static_selectorELNS0_4arch9wavefront6targetE0EEEvT1_,comdat
	.protected	_ZN7rocprim17ROCPRIM_400000_NS6detail17trampoline_kernelINS0_14default_configENS1_25partition_config_selectorILNS1_17partition_subalgoE5EjNS0_10empty_typeEbEEZZNS1_14partition_implILS5_5ELb0ES3_mN6thrust23THRUST_200600_302600_NS6detail15normal_iteratorINSA_10device_ptrIjEEEEPS6_NSA_18transform_iteratorINSB_9not_fun_tINSA_8identityIjEEEESF_NSA_11use_defaultESM_EENS0_5tupleIJSF_S6_EEENSO_IJSG_SG_EEES6_PlJS6_EEE10hipError_tPvRmT3_T4_T5_T6_T7_T9_mT8_P12ihipStream_tbDpT10_ENKUlT_T0_E_clISt17integral_constantIbLb1EES1B_EEDaS16_S17_EUlS16_E_NS1_11comp_targetILNS1_3genE2ELNS1_11target_archE906ELNS1_3gpuE6ELNS1_3repE0EEENS1_30default_config_static_selectorELNS0_4arch9wavefront6targetE0EEEvT1_ ; -- Begin function _ZN7rocprim17ROCPRIM_400000_NS6detail17trampoline_kernelINS0_14default_configENS1_25partition_config_selectorILNS1_17partition_subalgoE5EjNS0_10empty_typeEbEEZZNS1_14partition_implILS5_5ELb0ES3_mN6thrust23THRUST_200600_302600_NS6detail15normal_iteratorINSA_10device_ptrIjEEEEPS6_NSA_18transform_iteratorINSB_9not_fun_tINSA_8identityIjEEEESF_NSA_11use_defaultESM_EENS0_5tupleIJSF_S6_EEENSO_IJSG_SG_EEES6_PlJS6_EEE10hipError_tPvRmT3_T4_T5_T6_T7_T9_mT8_P12ihipStream_tbDpT10_ENKUlT_T0_E_clISt17integral_constantIbLb1EES1B_EEDaS16_S17_EUlS16_E_NS1_11comp_targetILNS1_3genE2ELNS1_11target_archE906ELNS1_3gpuE6ELNS1_3repE0EEENS1_30default_config_static_selectorELNS0_4arch9wavefront6targetE0EEEvT1_
	.globl	_ZN7rocprim17ROCPRIM_400000_NS6detail17trampoline_kernelINS0_14default_configENS1_25partition_config_selectorILNS1_17partition_subalgoE5EjNS0_10empty_typeEbEEZZNS1_14partition_implILS5_5ELb0ES3_mN6thrust23THRUST_200600_302600_NS6detail15normal_iteratorINSA_10device_ptrIjEEEEPS6_NSA_18transform_iteratorINSB_9not_fun_tINSA_8identityIjEEEESF_NSA_11use_defaultESM_EENS0_5tupleIJSF_S6_EEENSO_IJSG_SG_EEES6_PlJS6_EEE10hipError_tPvRmT3_T4_T5_T6_T7_T9_mT8_P12ihipStream_tbDpT10_ENKUlT_T0_E_clISt17integral_constantIbLb1EES1B_EEDaS16_S17_EUlS16_E_NS1_11comp_targetILNS1_3genE2ELNS1_11target_archE906ELNS1_3gpuE6ELNS1_3repE0EEENS1_30default_config_static_selectorELNS0_4arch9wavefront6targetE0EEEvT1_
	.p2align	8
	.type	_ZN7rocprim17ROCPRIM_400000_NS6detail17trampoline_kernelINS0_14default_configENS1_25partition_config_selectorILNS1_17partition_subalgoE5EjNS0_10empty_typeEbEEZZNS1_14partition_implILS5_5ELb0ES3_mN6thrust23THRUST_200600_302600_NS6detail15normal_iteratorINSA_10device_ptrIjEEEEPS6_NSA_18transform_iteratorINSB_9not_fun_tINSA_8identityIjEEEESF_NSA_11use_defaultESM_EENS0_5tupleIJSF_S6_EEENSO_IJSG_SG_EEES6_PlJS6_EEE10hipError_tPvRmT3_T4_T5_T6_T7_T9_mT8_P12ihipStream_tbDpT10_ENKUlT_T0_E_clISt17integral_constantIbLb1EES1B_EEDaS16_S17_EUlS16_E_NS1_11comp_targetILNS1_3genE2ELNS1_11target_archE906ELNS1_3gpuE6ELNS1_3repE0EEENS1_30default_config_static_selectorELNS0_4arch9wavefront6targetE0EEEvT1_,@function
_ZN7rocprim17ROCPRIM_400000_NS6detail17trampoline_kernelINS0_14default_configENS1_25partition_config_selectorILNS1_17partition_subalgoE5EjNS0_10empty_typeEbEEZZNS1_14partition_implILS5_5ELb0ES3_mN6thrust23THRUST_200600_302600_NS6detail15normal_iteratorINSA_10device_ptrIjEEEEPS6_NSA_18transform_iteratorINSB_9not_fun_tINSA_8identityIjEEEESF_NSA_11use_defaultESM_EENS0_5tupleIJSF_S6_EEENSO_IJSG_SG_EEES6_PlJS6_EEE10hipError_tPvRmT3_T4_T5_T6_T7_T9_mT8_P12ihipStream_tbDpT10_ENKUlT_T0_E_clISt17integral_constantIbLb1EES1B_EEDaS16_S17_EUlS16_E_NS1_11comp_targetILNS1_3genE2ELNS1_11target_archE906ELNS1_3gpuE6ELNS1_3repE0EEENS1_30default_config_static_selectorELNS0_4arch9wavefront6targetE0EEEvT1_: ; @_ZN7rocprim17ROCPRIM_400000_NS6detail17trampoline_kernelINS0_14default_configENS1_25partition_config_selectorILNS1_17partition_subalgoE5EjNS0_10empty_typeEbEEZZNS1_14partition_implILS5_5ELb0ES3_mN6thrust23THRUST_200600_302600_NS6detail15normal_iteratorINSA_10device_ptrIjEEEEPS6_NSA_18transform_iteratorINSB_9not_fun_tINSA_8identityIjEEEESF_NSA_11use_defaultESM_EENS0_5tupleIJSF_S6_EEENSO_IJSG_SG_EEES6_PlJS6_EEE10hipError_tPvRmT3_T4_T5_T6_T7_T9_mT8_P12ihipStream_tbDpT10_ENKUlT_T0_E_clISt17integral_constantIbLb1EES1B_EEDaS16_S17_EUlS16_E_NS1_11comp_targetILNS1_3genE2ELNS1_11target_archE906ELNS1_3gpuE6ELNS1_3repE0EEENS1_30default_config_static_selectorELNS0_4arch9wavefront6targetE0EEEvT1_
; %bb.0:
	.section	.rodata,"a",@progbits
	.p2align	6, 0x0
	.amdhsa_kernel _ZN7rocprim17ROCPRIM_400000_NS6detail17trampoline_kernelINS0_14default_configENS1_25partition_config_selectorILNS1_17partition_subalgoE5EjNS0_10empty_typeEbEEZZNS1_14partition_implILS5_5ELb0ES3_mN6thrust23THRUST_200600_302600_NS6detail15normal_iteratorINSA_10device_ptrIjEEEEPS6_NSA_18transform_iteratorINSB_9not_fun_tINSA_8identityIjEEEESF_NSA_11use_defaultESM_EENS0_5tupleIJSF_S6_EEENSO_IJSG_SG_EEES6_PlJS6_EEE10hipError_tPvRmT3_T4_T5_T6_T7_T9_mT8_P12ihipStream_tbDpT10_ENKUlT_T0_E_clISt17integral_constantIbLb1EES1B_EEDaS16_S17_EUlS16_E_NS1_11comp_targetILNS1_3genE2ELNS1_11target_archE906ELNS1_3gpuE6ELNS1_3repE0EEENS1_30default_config_static_selectorELNS0_4arch9wavefront6targetE0EEEvT1_
		.amdhsa_group_segment_fixed_size 0
		.amdhsa_private_segment_fixed_size 0
		.amdhsa_kernarg_size 136
		.amdhsa_user_sgpr_count 2
		.amdhsa_user_sgpr_dispatch_ptr 0
		.amdhsa_user_sgpr_queue_ptr 0
		.amdhsa_user_sgpr_kernarg_segment_ptr 1
		.amdhsa_user_sgpr_dispatch_id 0
		.amdhsa_user_sgpr_private_segment_size 0
		.amdhsa_wavefront_size32 1
		.amdhsa_uses_dynamic_stack 0
		.amdhsa_enable_private_segment 0
		.amdhsa_system_sgpr_workgroup_id_x 1
		.amdhsa_system_sgpr_workgroup_id_y 0
		.amdhsa_system_sgpr_workgroup_id_z 0
		.amdhsa_system_sgpr_workgroup_info 0
		.amdhsa_system_vgpr_workitem_id 0
		.amdhsa_next_free_vgpr 1
		.amdhsa_next_free_sgpr 1
		.amdhsa_reserve_vcc 0
		.amdhsa_float_round_mode_32 0
		.amdhsa_float_round_mode_16_64 0
		.amdhsa_float_denorm_mode_32 3
		.amdhsa_float_denorm_mode_16_64 3
		.amdhsa_fp16_overflow 0
		.amdhsa_workgroup_processor_mode 1
		.amdhsa_memory_ordered 1
		.amdhsa_forward_progress 1
		.amdhsa_inst_pref_size 0
		.amdhsa_round_robin_scheduling 0
		.amdhsa_exception_fp_ieee_invalid_op 0
		.amdhsa_exception_fp_denorm_src 0
		.amdhsa_exception_fp_ieee_div_zero 0
		.amdhsa_exception_fp_ieee_overflow 0
		.amdhsa_exception_fp_ieee_underflow 0
		.amdhsa_exception_fp_ieee_inexact 0
		.amdhsa_exception_int_div_zero 0
	.end_amdhsa_kernel
	.section	.text._ZN7rocprim17ROCPRIM_400000_NS6detail17trampoline_kernelINS0_14default_configENS1_25partition_config_selectorILNS1_17partition_subalgoE5EjNS0_10empty_typeEbEEZZNS1_14partition_implILS5_5ELb0ES3_mN6thrust23THRUST_200600_302600_NS6detail15normal_iteratorINSA_10device_ptrIjEEEEPS6_NSA_18transform_iteratorINSB_9not_fun_tINSA_8identityIjEEEESF_NSA_11use_defaultESM_EENS0_5tupleIJSF_S6_EEENSO_IJSG_SG_EEES6_PlJS6_EEE10hipError_tPvRmT3_T4_T5_T6_T7_T9_mT8_P12ihipStream_tbDpT10_ENKUlT_T0_E_clISt17integral_constantIbLb1EES1B_EEDaS16_S17_EUlS16_E_NS1_11comp_targetILNS1_3genE2ELNS1_11target_archE906ELNS1_3gpuE6ELNS1_3repE0EEENS1_30default_config_static_selectorELNS0_4arch9wavefront6targetE0EEEvT1_,"axG",@progbits,_ZN7rocprim17ROCPRIM_400000_NS6detail17trampoline_kernelINS0_14default_configENS1_25partition_config_selectorILNS1_17partition_subalgoE5EjNS0_10empty_typeEbEEZZNS1_14partition_implILS5_5ELb0ES3_mN6thrust23THRUST_200600_302600_NS6detail15normal_iteratorINSA_10device_ptrIjEEEEPS6_NSA_18transform_iteratorINSB_9not_fun_tINSA_8identityIjEEEESF_NSA_11use_defaultESM_EENS0_5tupleIJSF_S6_EEENSO_IJSG_SG_EEES6_PlJS6_EEE10hipError_tPvRmT3_T4_T5_T6_T7_T9_mT8_P12ihipStream_tbDpT10_ENKUlT_T0_E_clISt17integral_constantIbLb1EES1B_EEDaS16_S17_EUlS16_E_NS1_11comp_targetILNS1_3genE2ELNS1_11target_archE906ELNS1_3gpuE6ELNS1_3repE0EEENS1_30default_config_static_selectorELNS0_4arch9wavefront6targetE0EEEvT1_,comdat
.Lfunc_end897:
	.size	_ZN7rocprim17ROCPRIM_400000_NS6detail17trampoline_kernelINS0_14default_configENS1_25partition_config_selectorILNS1_17partition_subalgoE5EjNS0_10empty_typeEbEEZZNS1_14partition_implILS5_5ELb0ES3_mN6thrust23THRUST_200600_302600_NS6detail15normal_iteratorINSA_10device_ptrIjEEEEPS6_NSA_18transform_iteratorINSB_9not_fun_tINSA_8identityIjEEEESF_NSA_11use_defaultESM_EENS0_5tupleIJSF_S6_EEENSO_IJSG_SG_EEES6_PlJS6_EEE10hipError_tPvRmT3_T4_T5_T6_T7_T9_mT8_P12ihipStream_tbDpT10_ENKUlT_T0_E_clISt17integral_constantIbLb1EES1B_EEDaS16_S17_EUlS16_E_NS1_11comp_targetILNS1_3genE2ELNS1_11target_archE906ELNS1_3gpuE6ELNS1_3repE0EEENS1_30default_config_static_selectorELNS0_4arch9wavefront6targetE0EEEvT1_, .Lfunc_end897-_ZN7rocprim17ROCPRIM_400000_NS6detail17trampoline_kernelINS0_14default_configENS1_25partition_config_selectorILNS1_17partition_subalgoE5EjNS0_10empty_typeEbEEZZNS1_14partition_implILS5_5ELb0ES3_mN6thrust23THRUST_200600_302600_NS6detail15normal_iteratorINSA_10device_ptrIjEEEEPS6_NSA_18transform_iteratorINSB_9not_fun_tINSA_8identityIjEEEESF_NSA_11use_defaultESM_EENS0_5tupleIJSF_S6_EEENSO_IJSG_SG_EEES6_PlJS6_EEE10hipError_tPvRmT3_T4_T5_T6_T7_T9_mT8_P12ihipStream_tbDpT10_ENKUlT_T0_E_clISt17integral_constantIbLb1EES1B_EEDaS16_S17_EUlS16_E_NS1_11comp_targetILNS1_3genE2ELNS1_11target_archE906ELNS1_3gpuE6ELNS1_3repE0EEENS1_30default_config_static_selectorELNS0_4arch9wavefront6targetE0EEEvT1_
                                        ; -- End function
	.set _ZN7rocprim17ROCPRIM_400000_NS6detail17trampoline_kernelINS0_14default_configENS1_25partition_config_selectorILNS1_17partition_subalgoE5EjNS0_10empty_typeEbEEZZNS1_14partition_implILS5_5ELb0ES3_mN6thrust23THRUST_200600_302600_NS6detail15normal_iteratorINSA_10device_ptrIjEEEEPS6_NSA_18transform_iteratorINSB_9not_fun_tINSA_8identityIjEEEESF_NSA_11use_defaultESM_EENS0_5tupleIJSF_S6_EEENSO_IJSG_SG_EEES6_PlJS6_EEE10hipError_tPvRmT3_T4_T5_T6_T7_T9_mT8_P12ihipStream_tbDpT10_ENKUlT_T0_E_clISt17integral_constantIbLb1EES1B_EEDaS16_S17_EUlS16_E_NS1_11comp_targetILNS1_3genE2ELNS1_11target_archE906ELNS1_3gpuE6ELNS1_3repE0EEENS1_30default_config_static_selectorELNS0_4arch9wavefront6targetE0EEEvT1_.num_vgpr, 0
	.set _ZN7rocprim17ROCPRIM_400000_NS6detail17trampoline_kernelINS0_14default_configENS1_25partition_config_selectorILNS1_17partition_subalgoE5EjNS0_10empty_typeEbEEZZNS1_14partition_implILS5_5ELb0ES3_mN6thrust23THRUST_200600_302600_NS6detail15normal_iteratorINSA_10device_ptrIjEEEEPS6_NSA_18transform_iteratorINSB_9not_fun_tINSA_8identityIjEEEESF_NSA_11use_defaultESM_EENS0_5tupleIJSF_S6_EEENSO_IJSG_SG_EEES6_PlJS6_EEE10hipError_tPvRmT3_T4_T5_T6_T7_T9_mT8_P12ihipStream_tbDpT10_ENKUlT_T0_E_clISt17integral_constantIbLb1EES1B_EEDaS16_S17_EUlS16_E_NS1_11comp_targetILNS1_3genE2ELNS1_11target_archE906ELNS1_3gpuE6ELNS1_3repE0EEENS1_30default_config_static_selectorELNS0_4arch9wavefront6targetE0EEEvT1_.num_agpr, 0
	.set _ZN7rocprim17ROCPRIM_400000_NS6detail17trampoline_kernelINS0_14default_configENS1_25partition_config_selectorILNS1_17partition_subalgoE5EjNS0_10empty_typeEbEEZZNS1_14partition_implILS5_5ELb0ES3_mN6thrust23THRUST_200600_302600_NS6detail15normal_iteratorINSA_10device_ptrIjEEEEPS6_NSA_18transform_iteratorINSB_9not_fun_tINSA_8identityIjEEEESF_NSA_11use_defaultESM_EENS0_5tupleIJSF_S6_EEENSO_IJSG_SG_EEES6_PlJS6_EEE10hipError_tPvRmT3_T4_T5_T6_T7_T9_mT8_P12ihipStream_tbDpT10_ENKUlT_T0_E_clISt17integral_constantIbLb1EES1B_EEDaS16_S17_EUlS16_E_NS1_11comp_targetILNS1_3genE2ELNS1_11target_archE906ELNS1_3gpuE6ELNS1_3repE0EEENS1_30default_config_static_selectorELNS0_4arch9wavefront6targetE0EEEvT1_.numbered_sgpr, 0
	.set _ZN7rocprim17ROCPRIM_400000_NS6detail17trampoline_kernelINS0_14default_configENS1_25partition_config_selectorILNS1_17partition_subalgoE5EjNS0_10empty_typeEbEEZZNS1_14partition_implILS5_5ELb0ES3_mN6thrust23THRUST_200600_302600_NS6detail15normal_iteratorINSA_10device_ptrIjEEEEPS6_NSA_18transform_iteratorINSB_9not_fun_tINSA_8identityIjEEEESF_NSA_11use_defaultESM_EENS0_5tupleIJSF_S6_EEENSO_IJSG_SG_EEES6_PlJS6_EEE10hipError_tPvRmT3_T4_T5_T6_T7_T9_mT8_P12ihipStream_tbDpT10_ENKUlT_T0_E_clISt17integral_constantIbLb1EES1B_EEDaS16_S17_EUlS16_E_NS1_11comp_targetILNS1_3genE2ELNS1_11target_archE906ELNS1_3gpuE6ELNS1_3repE0EEENS1_30default_config_static_selectorELNS0_4arch9wavefront6targetE0EEEvT1_.num_named_barrier, 0
	.set _ZN7rocprim17ROCPRIM_400000_NS6detail17trampoline_kernelINS0_14default_configENS1_25partition_config_selectorILNS1_17partition_subalgoE5EjNS0_10empty_typeEbEEZZNS1_14partition_implILS5_5ELb0ES3_mN6thrust23THRUST_200600_302600_NS6detail15normal_iteratorINSA_10device_ptrIjEEEEPS6_NSA_18transform_iteratorINSB_9not_fun_tINSA_8identityIjEEEESF_NSA_11use_defaultESM_EENS0_5tupleIJSF_S6_EEENSO_IJSG_SG_EEES6_PlJS6_EEE10hipError_tPvRmT3_T4_T5_T6_T7_T9_mT8_P12ihipStream_tbDpT10_ENKUlT_T0_E_clISt17integral_constantIbLb1EES1B_EEDaS16_S17_EUlS16_E_NS1_11comp_targetILNS1_3genE2ELNS1_11target_archE906ELNS1_3gpuE6ELNS1_3repE0EEENS1_30default_config_static_selectorELNS0_4arch9wavefront6targetE0EEEvT1_.private_seg_size, 0
	.set _ZN7rocprim17ROCPRIM_400000_NS6detail17trampoline_kernelINS0_14default_configENS1_25partition_config_selectorILNS1_17partition_subalgoE5EjNS0_10empty_typeEbEEZZNS1_14partition_implILS5_5ELb0ES3_mN6thrust23THRUST_200600_302600_NS6detail15normal_iteratorINSA_10device_ptrIjEEEEPS6_NSA_18transform_iteratorINSB_9not_fun_tINSA_8identityIjEEEESF_NSA_11use_defaultESM_EENS0_5tupleIJSF_S6_EEENSO_IJSG_SG_EEES6_PlJS6_EEE10hipError_tPvRmT3_T4_T5_T6_T7_T9_mT8_P12ihipStream_tbDpT10_ENKUlT_T0_E_clISt17integral_constantIbLb1EES1B_EEDaS16_S17_EUlS16_E_NS1_11comp_targetILNS1_3genE2ELNS1_11target_archE906ELNS1_3gpuE6ELNS1_3repE0EEENS1_30default_config_static_selectorELNS0_4arch9wavefront6targetE0EEEvT1_.uses_vcc, 0
	.set _ZN7rocprim17ROCPRIM_400000_NS6detail17trampoline_kernelINS0_14default_configENS1_25partition_config_selectorILNS1_17partition_subalgoE5EjNS0_10empty_typeEbEEZZNS1_14partition_implILS5_5ELb0ES3_mN6thrust23THRUST_200600_302600_NS6detail15normal_iteratorINSA_10device_ptrIjEEEEPS6_NSA_18transform_iteratorINSB_9not_fun_tINSA_8identityIjEEEESF_NSA_11use_defaultESM_EENS0_5tupleIJSF_S6_EEENSO_IJSG_SG_EEES6_PlJS6_EEE10hipError_tPvRmT3_T4_T5_T6_T7_T9_mT8_P12ihipStream_tbDpT10_ENKUlT_T0_E_clISt17integral_constantIbLb1EES1B_EEDaS16_S17_EUlS16_E_NS1_11comp_targetILNS1_3genE2ELNS1_11target_archE906ELNS1_3gpuE6ELNS1_3repE0EEENS1_30default_config_static_selectorELNS0_4arch9wavefront6targetE0EEEvT1_.uses_flat_scratch, 0
	.set _ZN7rocprim17ROCPRIM_400000_NS6detail17trampoline_kernelINS0_14default_configENS1_25partition_config_selectorILNS1_17partition_subalgoE5EjNS0_10empty_typeEbEEZZNS1_14partition_implILS5_5ELb0ES3_mN6thrust23THRUST_200600_302600_NS6detail15normal_iteratorINSA_10device_ptrIjEEEEPS6_NSA_18transform_iteratorINSB_9not_fun_tINSA_8identityIjEEEESF_NSA_11use_defaultESM_EENS0_5tupleIJSF_S6_EEENSO_IJSG_SG_EEES6_PlJS6_EEE10hipError_tPvRmT3_T4_T5_T6_T7_T9_mT8_P12ihipStream_tbDpT10_ENKUlT_T0_E_clISt17integral_constantIbLb1EES1B_EEDaS16_S17_EUlS16_E_NS1_11comp_targetILNS1_3genE2ELNS1_11target_archE906ELNS1_3gpuE6ELNS1_3repE0EEENS1_30default_config_static_selectorELNS0_4arch9wavefront6targetE0EEEvT1_.has_dyn_sized_stack, 0
	.set _ZN7rocprim17ROCPRIM_400000_NS6detail17trampoline_kernelINS0_14default_configENS1_25partition_config_selectorILNS1_17partition_subalgoE5EjNS0_10empty_typeEbEEZZNS1_14partition_implILS5_5ELb0ES3_mN6thrust23THRUST_200600_302600_NS6detail15normal_iteratorINSA_10device_ptrIjEEEEPS6_NSA_18transform_iteratorINSB_9not_fun_tINSA_8identityIjEEEESF_NSA_11use_defaultESM_EENS0_5tupleIJSF_S6_EEENSO_IJSG_SG_EEES6_PlJS6_EEE10hipError_tPvRmT3_T4_T5_T6_T7_T9_mT8_P12ihipStream_tbDpT10_ENKUlT_T0_E_clISt17integral_constantIbLb1EES1B_EEDaS16_S17_EUlS16_E_NS1_11comp_targetILNS1_3genE2ELNS1_11target_archE906ELNS1_3gpuE6ELNS1_3repE0EEENS1_30default_config_static_selectorELNS0_4arch9wavefront6targetE0EEEvT1_.has_recursion, 0
	.set _ZN7rocprim17ROCPRIM_400000_NS6detail17trampoline_kernelINS0_14default_configENS1_25partition_config_selectorILNS1_17partition_subalgoE5EjNS0_10empty_typeEbEEZZNS1_14partition_implILS5_5ELb0ES3_mN6thrust23THRUST_200600_302600_NS6detail15normal_iteratorINSA_10device_ptrIjEEEEPS6_NSA_18transform_iteratorINSB_9not_fun_tINSA_8identityIjEEEESF_NSA_11use_defaultESM_EENS0_5tupleIJSF_S6_EEENSO_IJSG_SG_EEES6_PlJS6_EEE10hipError_tPvRmT3_T4_T5_T6_T7_T9_mT8_P12ihipStream_tbDpT10_ENKUlT_T0_E_clISt17integral_constantIbLb1EES1B_EEDaS16_S17_EUlS16_E_NS1_11comp_targetILNS1_3genE2ELNS1_11target_archE906ELNS1_3gpuE6ELNS1_3repE0EEENS1_30default_config_static_selectorELNS0_4arch9wavefront6targetE0EEEvT1_.has_indirect_call, 0
	.section	.AMDGPU.csdata,"",@progbits
; Kernel info:
; codeLenInByte = 0
; TotalNumSgprs: 0
; NumVgprs: 0
; ScratchSize: 0
; MemoryBound: 0
; FloatMode: 240
; IeeeMode: 1
; LDSByteSize: 0 bytes/workgroup (compile time only)
; SGPRBlocks: 0
; VGPRBlocks: 0
; NumSGPRsForWavesPerEU: 1
; NumVGPRsForWavesPerEU: 1
; Occupancy: 16
; WaveLimiterHint : 0
; COMPUTE_PGM_RSRC2:SCRATCH_EN: 0
; COMPUTE_PGM_RSRC2:USER_SGPR: 2
; COMPUTE_PGM_RSRC2:TRAP_HANDLER: 0
; COMPUTE_PGM_RSRC2:TGID_X_EN: 1
; COMPUTE_PGM_RSRC2:TGID_Y_EN: 0
; COMPUTE_PGM_RSRC2:TGID_Z_EN: 0
; COMPUTE_PGM_RSRC2:TIDIG_COMP_CNT: 0
	.section	.text._ZN7rocprim17ROCPRIM_400000_NS6detail17trampoline_kernelINS0_14default_configENS1_25partition_config_selectorILNS1_17partition_subalgoE5EjNS0_10empty_typeEbEEZZNS1_14partition_implILS5_5ELb0ES3_mN6thrust23THRUST_200600_302600_NS6detail15normal_iteratorINSA_10device_ptrIjEEEEPS6_NSA_18transform_iteratorINSB_9not_fun_tINSA_8identityIjEEEESF_NSA_11use_defaultESM_EENS0_5tupleIJSF_S6_EEENSO_IJSG_SG_EEES6_PlJS6_EEE10hipError_tPvRmT3_T4_T5_T6_T7_T9_mT8_P12ihipStream_tbDpT10_ENKUlT_T0_E_clISt17integral_constantIbLb1EES1B_EEDaS16_S17_EUlS16_E_NS1_11comp_targetILNS1_3genE10ELNS1_11target_archE1200ELNS1_3gpuE4ELNS1_3repE0EEENS1_30default_config_static_selectorELNS0_4arch9wavefront6targetE0EEEvT1_,"axG",@progbits,_ZN7rocprim17ROCPRIM_400000_NS6detail17trampoline_kernelINS0_14default_configENS1_25partition_config_selectorILNS1_17partition_subalgoE5EjNS0_10empty_typeEbEEZZNS1_14partition_implILS5_5ELb0ES3_mN6thrust23THRUST_200600_302600_NS6detail15normal_iteratorINSA_10device_ptrIjEEEEPS6_NSA_18transform_iteratorINSB_9not_fun_tINSA_8identityIjEEEESF_NSA_11use_defaultESM_EENS0_5tupleIJSF_S6_EEENSO_IJSG_SG_EEES6_PlJS6_EEE10hipError_tPvRmT3_T4_T5_T6_T7_T9_mT8_P12ihipStream_tbDpT10_ENKUlT_T0_E_clISt17integral_constantIbLb1EES1B_EEDaS16_S17_EUlS16_E_NS1_11comp_targetILNS1_3genE10ELNS1_11target_archE1200ELNS1_3gpuE4ELNS1_3repE0EEENS1_30default_config_static_selectorELNS0_4arch9wavefront6targetE0EEEvT1_,comdat
	.protected	_ZN7rocprim17ROCPRIM_400000_NS6detail17trampoline_kernelINS0_14default_configENS1_25partition_config_selectorILNS1_17partition_subalgoE5EjNS0_10empty_typeEbEEZZNS1_14partition_implILS5_5ELb0ES3_mN6thrust23THRUST_200600_302600_NS6detail15normal_iteratorINSA_10device_ptrIjEEEEPS6_NSA_18transform_iteratorINSB_9not_fun_tINSA_8identityIjEEEESF_NSA_11use_defaultESM_EENS0_5tupleIJSF_S6_EEENSO_IJSG_SG_EEES6_PlJS6_EEE10hipError_tPvRmT3_T4_T5_T6_T7_T9_mT8_P12ihipStream_tbDpT10_ENKUlT_T0_E_clISt17integral_constantIbLb1EES1B_EEDaS16_S17_EUlS16_E_NS1_11comp_targetILNS1_3genE10ELNS1_11target_archE1200ELNS1_3gpuE4ELNS1_3repE0EEENS1_30default_config_static_selectorELNS0_4arch9wavefront6targetE0EEEvT1_ ; -- Begin function _ZN7rocprim17ROCPRIM_400000_NS6detail17trampoline_kernelINS0_14default_configENS1_25partition_config_selectorILNS1_17partition_subalgoE5EjNS0_10empty_typeEbEEZZNS1_14partition_implILS5_5ELb0ES3_mN6thrust23THRUST_200600_302600_NS6detail15normal_iteratorINSA_10device_ptrIjEEEEPS6_NSA_18transform_iteratorINSB_9not_fun_tINSA_8identityIjEEEESF_NSA_11use_defaultESM_EENS0_5tupleIJSF_S6_EEENSO_IJSG_SG_EEES6_PlJS6_EEE10hipError_tPvRmT3_T4_T5_T6_T7_T9_mT8_P12ihipStream_tbDpT10_ENKUlT_T0_E_clISt17integral_constantIbLb1EES1B_EEDaS16_S17_EUlS16_E_NS1_11comp_targetILNS1_3genE10ELNS1_11target_archE1200ELNS1_3gpuE4ELNS1_3repE0EEENS1_30default_config_static_selectorELNS0_4arch9wavefront6targetE0EEEvT1_
	.globl	_ZN7rocprim17ROCPRIM_400000_NS6detail17trampoline_kernelINS0_14default_configENS1_25partition_config_selectorILNS1_17partition_subalgoE5EjNS0_10empty_typeEbEEZZNS1_14partition_implILS5_5ELb0ES3_mN6thrust23THRUST_200600_302600_NS6detail15normal_iteratorINSA_10device_ptrIjEEEEPS6_NSA_18transform_iteratorINSB_9not_fun_tINSA_8identityIjEEEESF_NSA_11use_defaultESM_EENS0_5tupleIJSF_S6_EEENSO_IJSG_SG_EEES6_PlJS6_EEE10hipError_tPvRmT3_T4_T5_T6_T7_T9_mT8_P12ihipStream_tbDpT10_ENKUlT_T0_E_clISt17integral_constantIbLb1EES1B_EEDaS16_S17_EUlS16_E_NS1_11comp_targetILNS1_3genE10ELNS1_11target_archE1200ELNS1_3gpuE4ELNS1_3repE0EEENS1_30default_config_static_selectorELNS0_4arch9wavefront6targetE0EEEvT1_
	.p2align	8
	.type	_ZN7rocprim17ROCPRIM_400000_NS6detail17trampoline_kernelINS0_14default_configENS1_25partition_config_selectorILNS1_17partition_subalgoE5EjNS0_10empty_typeEbEEZZNS1_14partition_implILS5_5ELb0ES3_mN6thrust23THRUST_200600_302600_NS6detail15normal_iteratorINSA_10device_ptrIjEEEEPS6_NSA_18transform_iteratorINSB_9not_fun_tINSA_8identityIjEEEESF_NSA_11use_defaultESM_EENS0_5tupleIJSF_S6_EEENSO_IJSG_SG_EEES6_PlJS6_EEE10hipError_tPvRmT3_T4_T5_T6_T7_T9_mT8_P12ihipStream_tbDpT10_ENKUlT_T0_E_clISt17integral_constantIbLb1EES1B_EEDaS16_S17_EUlS16_E_NS1_11comp_targetILNS1_3genE10ELNS1_11target_archE1200ELNS1_3gpuE4ELNS1_3repE0EEENS1_30default_config_static_selectorELNS0_4arch9wavefront6targetE0EEEvT1_,@function
_ZN7rocprim17ROCPRIM_400000_NS6detail17trampoline_kernelINS0_14default_configENS1_25partition_config_selectorILNS1_17partition_subalgoE5EjNS0_10empty_typeEbEEZZNS1_14partition_implILS5_5ELb0ES3_mN6thrust23THRUST_200600_302600_NS6detail15normal_iteratorINSA_10device_ptrIjEEEEPS6_NSA_18transform_iteratorINSB_9not_fun_tINSA_8identityIjEEEESF_NSA_11use_defaultESM_EENS0_5tupleIJSF_S6_EEENSO_IJSG_SG_EEES6_PlJS6_EEE10hipError_tPvRmT3_T4_T5_T6_T7_T9_mT8_P12ihipStream_tbDpT10_ENKUlT_T0_E_clISt17integral_constantIbLb1EES1B_EEDaS16_S17_EUlS16_E_NS1_11comp_targetILNS1_3genE10ELNS1_11target_archE1200ELNS1_3gpuE4ELNS1_3repE0EEENS1_30default_config_static_selectorELNS0_4arch9wavefront6targetE0EEEvT1_: ; @_ZN7rocprim17ROCPRIM_400000_NS6detail17trampoline_kernelINS0_14default_configENS1_25partition_config_selectorILNS1_17partition_subalgoE5EjNS0_10empty_typeEbEEZZNS1_14partition_implILS5_5ELb0ES3_mN6thrust23THRUST_200600_302600_NS6detail15normal_iteratorINSA_10device_ptrIjEEEEPS6_NSA_18transform_iteratorINSB_9not_fun_tINSA_8identityIjEEEESF_NSA_11use_defaultESM_EENS0_5tupleIJSF_S6_EEENSO_IJSG_SG_EEES6_PlJS6_EEE10hipError_tPvRmT3_T4_T5_T6_T7_T9_mT8_P12ihipStream_tbDpT10_ENKUlT_T0_E_clISt17integral_constantIbLb1EES1B_EEDaS16_S17_EUlS16_E_NS1_11comp_targetILNS1_3genE10ELNS1_11target_archE1200ELNS1_3gpuE4ELNS1_3repE0EEENS1_30default_config_static_selectorELNS0_4arch9wavefront6targetE0EEEvT1_
; %bb.0:
	s_endpgm
	.section	.rodata,"a",@progbits
	.p2align	6, 0x0
	.amdhsa_kernel _ZN7rocprim17ROCPRIM_400000_NS6detail17trampoline_kernelINS0_14default_configENS1_25partition_config_selectorILNS1_17partition_subalgoE5EjNS0_10empty_typeEbEEZZNS1_14partition_implILS5_5ELb0ES3_mN6thrust23THRUST_200600_302600_NS6detail15normal_iteratorINSA_10device_ptrIjEEEEPS6_NSA_18transform_iteratorINSB_9not_fun_tINSA_8identityIjEEEESF_NSA_11use_defaultESM_EENS0_5tupleIJSF_S6_EEENSO_IJSG_SG_EEES6_PlJS6_EEE10hipError_tPvRmT3_T4_T5_T6_T7_T9_mT8_P12ihipStream_tbDpT10_ENKUlT_T0_E_clISt17integral_constantIbLb1EES1B_EEDaS16_S17_EUlS16_E_NS1_11comp_targetILNS1_3genE10ELNS1_11target_archE1200ELNS1_3gpuE4ELNS1_3repE0EEENS1_30default_config_static_selectorELNS0_4arch9wavefront6targetE0EEEvT1_
		.amdhsa_group_segment_fixed_size 0
		.amdhsa_private_segment_fixed_size 0
		.amdhsa_kernarg_size 136
		.amdhsa_user_sgpr_count 2
		.amdhsa_user_sgpr_dispatch_ptr 0
		.amdhsa_user_sgpr_queue_ptr 0
		.amdhsa_user_sgpr_kernarg_segment_ptr 1
		.amdhsa_user_sgpr_dispatch_id 0
		.amdhsa_user_sgpr_private_segment_size 0
		.amdhsa_wavefront_size32 1
		.amdhsa_uses_dynamic_stack 0
		.amdhsa_enable_private_segment 0
		.amdhsa_system_sgpr_workgroup_id_x 1
		.amdhsa_system_sgpr_workgroup_id_y 0
		.amdhsa_system_sgpr_workgroup_id_z 0
		.amdhsa_system_sgpr_workgroup_info 0
		.amdhsa_system_vgpr_workitem_id 0
		.amdhsa_next_free_vgpr 1
		.amdhsa_next_free_sgpr 1
		.amdhsa_reserve_vcc 0
		.amdhsa_float_round_mode_32 0
		.amdhsa_float_round_mode_16_64 0
		.amdhsa_float_denorm_mode_32 3
		.amdhsa_float_denorm_mode_16_64 3
		.amdhsa_fp16_overflow 0
		.amdhsa_workgroup_processor_mode 1
		.amdhsa_memory_ordered 1
		.amdhsa_forward_progress 1
		.amdhsa_inst_pref_size 1
		.amdhsa_round_robin_scheduling 0
		.amdhsa_exception_fp_ieee_invalid_op 0
		.amdhsa_exception_fp_denorm_src 0
		.amdhsa_exception_fp_ieee_div_zero 0
		.amdhsa_exception_fp_ieee_overflow 0
		.amdhsa_exception_fp_ieee_underflow 0
		.amdhsa_exception_fp_ieee_inexact 0
		.amdhsa_exception_int_div_zero 0
	.end_amdhsa_kernel
	.section	.text._ZN7rocprim17ROCPRIM_400000_NS6detail17trampoline_kernelINS0_14default_configENS1_25partition_config_selectorILNS1_17partition_subalgoE5EjNS0_10empty_typeEbEEZZNS1_14partition_implILS5_5ELb0ES3_mN6thrust23THRUST_200600_302600_NS6detail15normal_iteratorINSA_10device_ptrIjEEEEPS6_NSA_18transform_iteratorINSB_9not_fun_tINSA_8identityIjEEEESF_NSA_11use_defaultESM_EENS0_5tupleIJSF_S6_EEENSO_IJSG_SG_EEES6_PlJS6_EEE10hipError_tPvRmT3_T4_T5_T6_T7_T9_mT8_P12ihipStream_tbDpT10_ENKUlT_T0_E_clISt17integral_constantIbLb1EES1B_EEDaS16_S17_EUlS16_E_NS1_11comp_targetILNS1_3genE10ELNS1_11target_archE1200ELNS1_3gpuE4ELNS1_3repE0EEENS1_30default_config_static_selectorELNS0_4arch9wavefront6targetE0EEEvT1_,"axG",@progbits,_ZN7rocprim17ROCPRIM_400000_NS6detail17trampoline_kernelINS0_14default_configENS1_25partition_config_selectorILNS1_17partition_subalgoE5EjNS0_10empty_typeEbEEZZNS1_14partition_implILS5_5ELb0ES3_mN6thrust23THRUST_200600_302600_NS6detail15normal_iteratorINSA_10device_ptrIjEEEEPS6_NSA_18transform_iteratorINSB_9not_fun_tINSA_8identityIjEEEESF_NSA_11use_defaultESM_EENS0_5tupleIJSF_S6_EEENSO_IJSG_SG_EEES6_PlJS6_EEE10hipError_tPvRmT3_T4_T5_T6_T7_T9_mT8_P12ihipStream_tbDpT10_ENKUlT_T0_E_clISt17integral_constantIbLb1EES1B_EEDaS16_S17_EUlS16_E_NS1_11comp_targetILNS1_3genE10ELNS1_11target_archE1200ELNS1_3gpuE4ELNS1_3repE0EEENS1_30default_config_static_selectorELNS0_4arch9wavefront6targetE0EEEvT1_,comdat
.Lfunc_end898:
	.size	_ZN7rocprim17ROCPRIM_400000_NS6detail17trampoline_kernelINS0_14default_configENS1_25partition_config_selectorILNS1_17partition_subalgoE5EjNS0_10empty_typeEbEEZZNS1_14partition_implILS5_5ELb0ES3_mN6thrust23THRUST_200600_302600_NS6detail15normal_iteratorINSA_10device_ptrIjEEEEPS6_NSA_18transform_iteratorINSB_9not_fun_tINSA_8identityIjEEEESF_NSA_11use_defaultESM_EENS0_5tupleIJSF_S6_EEENSO_IJSG_SG_EEES6_PlJS6_EEE10hipError_tPvRmT3_T4_T5_T6_T7_T9_mT8_P12ihipStream_tbDpT10_ENKUlT_T0_E_clISt17integral_constantIbLb1EES1B_EEDaS16_S17_EUlS16_E_NS1_11comp_targetILNS1_3genE10ELNS1_11target_archE1200ELNS1_3gpuE4ELNS1_3repE0EEENS1_30default_config_static_selectorELNS0_4arch9wavefront6targetE0EEEvT1_, .Lfunc_end898-_ZN7rocprim17ROCPRIM_400000_NS6detail17trampoline_kernelINS0_14default_configENS1_25partition_config_selectorILNS1_17partition_subalgoE5EjNS0_10empty_typeEbEEZZNS1_14partition_implILS5_5ELb0ES3_mN6thrust23THRUST_200600_302600_NS6detail15normal_iteratorINSA_10device_ptrIjEEEEPS6_NSA_18transform_iteratorINSB_9not_fun_tINSA_8identityIjEEEESF_NSA_11use_defaultESM_EENS0_5tupleIJSF_S6_EEENSO_IJSG_SG_EEES6_PlJS6_EEE10hipError_tPvRmT3_T4_T5_T6_T7_T9_mT8_P12ihipStream_tbDpT10_ENKUlT_T0_E_clISt17integral_constantIbLb1EES1B_EEDaS16_S17_EUlS16_E_NS1_11comp_targetILNS1_3genE10ELNS1_11target_archE1200ELNS1_3gpuE4ELNS1_3repE0EEENS1_30default_config_static_selectorELNS0_4arch9wavefront6targetE0EEEvT1_
                                        ; -- End function
	.set _ZN7rocprim17ROCPRIM_400000_NS6detail17trampoline_kernelINS0_14default_configENS1_25partition_config_selectorILNS1_17partition_subalgoE5EjNS0_10empty_typeEbEEZZNS1_14partition_implILS5_5ELb0ES3_mN6thrust23THRUST_200600_302600_NS6detail15normal_iteratorINSA_10device_ptrIjEEEEPS6_NSA_18transform_iteratorINSB_9not_fun_tINSA_8identityIjEEEESF_NSA_11use_defaultESM_EENS0_5tupleIJSF_S6_EEENSO_IJSG_SG_EEES6_PlJS6_EEE10hipError_tPvRmT3_T4_T5_T6_T7_T9_mT8_P12ihipStream_tbDpT10_ENKUlT_T0_E_clISt17integral_constantIbLb1EES1B_EEDaS16_S17_EUlS16_E_NS1_11comp_targetILNS1_3genE10ELNS1_11target_archE1200ELNS1_3gpuE4ELNS1_3repE0EEENS1_30default_config_static_selectorELNS0_4arch9wavefront6targetE0EEEvT1_.num_vgpr, 0
	.set _ZN7rocprim17ROCPRIM_400000_NS6detail17trampoline_kernelINS0_14default_configENS1_25partition_config_selectorILNS1_17partition_subalgoE5EjNS0_10empty_typeEbEEZZNS1_14partition_implILS5_5ELb0ES3_mN6thrust23THRUST_200600_302600_NS6detail15normal_iteratorINSA_10device_ptrIjEEEEPS6_NSA_18transform_iteratorINSB_9not_fun_tINSA_8identityIjEEEESF_NSA_11use_defaultESM_EENS0_5tupleIJSF_S6_EEENSO_IJSG_SG_EEES6_PlJS6_EEE10hipError_tPvRmT3_T4_T5_T6_T7_T9_mT8_P12ihipStream_tbDpT10_ENKUlT_T0_E_clISt17integral_constantIbLb1EES1B_EEDaS16_S17_EUlS16_E_NS1_11comp_targetILNS1_3genE10ELNS1_11target_archE1200ELNS1_3gpuE4ELNS1_3repE0EEENS1_30default_config_static_selectorELNS0_4arch9wavefront6targetE0EEEvT1_.num_agpr, 0
	.set _ZN7rocprim17ROCPRIM_400000_NS6detail17trampoline_kernelINS0_14default_configENS1_25partition_config_selectorILNS1_17partition_subalgoE5EjNS0_10empty_typeEbEEZZNS1_14partition_implILS5_5ELb0ES3_mN6thrust23THRUST_200600_302600_NS6detail15normal_iteratorINSA_10device_ptrIjEEEEPS6_NSA_18transform_iteratorINSB_9not_fun_tINSA_8identityIjEEEESF_NSA_11use_defaultESM_EENS0_5tupleIJSF_S6_EEENSO_IJSG_SG_EEES6_PlJS6_EEE10hipError_tPvRmT3_T4_T5_T6_T7_T9_mT8_P12ihipStream_tbDpT10_ENKUlT_T0_E_clISt17integral_constantIbLb1EES1B_EEDaS16_S17_EUlS16_E_NS1_11comp_targetILNS1_3genE10ELNS1_11target_archE1200ELNS1_3gpuE4ELNS1_3repE0EEENS1_30default_config_static_selectorELNS0_4arch9wavefront6targetE0EEEvT1_.numbered_sgpr, 0
	.set _ZN7rocprim17ROCPRIM_400000_NS6detail17trampoline_kernelINS0_14default_configENS1_25partition_config_selectorILNS1_17partition_subalgoE5EjNS0_10empty_typeEbEEZZNS1_14partition_implILS5_5ELb0ES3_mN6thrust23THRUST_200600_302600_NS6detail15normal_iteratorINSA_10device_ptrIjEEEEPS6_NSA_18transform_iteratorINSB_9not_fun_tINSA_8identityIjEEEESF_NSA_11use_defaultESM_EENS0_5tupleIJSF_S6_EEENSO_IJSG_SG_EEES6_PlJS6_EEE10hipError_tPvRmT3_T4_T5_T6_T7_T9_mT8_P12ihipStream_tbDpT10_ENKUlT_T0_E_clISt17integral_constantIbLb1EES1B_EEDaS16_S17_EUlS16_E_NS1_11comp_targetILNS1_3genE10ELNS1_11target_archE1200ELNS1_3gpuE4ELNS1_3repE0EEENS1_30default_config_static_selectorELNS0_4arch9wavefront6targetE0EEEvT1_.num_named_barrier, 0
	.set _ZN7rocprim17ROCPRIM_400000_NS6detail17trampoline_kernelINS0_14default_configENS1_25partition_config_selectorILNS1_17partition_subalgoE5EjNS0_10empty_typeEbEEZZNS1_14partition_implILS5_5ELb0ES3_mN6thrust23THRUST_200600_302600_NS6detail15normal_iteratorINSA_10device_ptrIjEEEEPS6_NSA_18transform_iteratorINSB_9not_fun_tINSA_8identityIjEEEESF_NSA_11use_defaultESM_EENS0_5tupleIJSF_S6_EEENSO_IJSG_SG_EEES6_PlJS6_EEE10hipError_tPvRmT3_T4_T5_T6_T7_T9_mT8_P12ihipStream_tbDpT10_ENKUlT_T0_E_clISt17integral_constantIbLb1EES1B_EEDaS16_S17_EUlS16_E_NS1_11comp_targetILNS1_3genE10ELNS1_11target_archE1200ELNS1_3gpuE4ELNS1_3repE0EEENS1_30default_config_static_selectorELNS0_4arch9wavefront6targetE0EEEvT1_.private_seg_size, 0
	.set _ZN7rocprim17ROCPRIM_400000_NS6detail17trampoline_kernelINS0_14default_configENS1_25partition_config_selectorILNS1_17partition_subalgoE5EjNS0_10empty_typeEbEEZZNS1_14partition_implILS5_5ELb0ES3_mN6thrust23THRUST_200600_302600_NS6detail15normal_iteratorINSA_10device_ptrIjEEEEPS6_NSA_18transform_iteratorINSB_9not_fun_tINSA_8identityIjEEEESF_NSA_11use_defaultESM_EENS0_5tupleIJSF_S6_EEENSO_IJSG_SG_EEES6_PlJS6_EEE10hipError_tPvRmT3_T4_T5_T6_T7_T9_mT8_P12ihipStream_tbDpT10_ENKUlT_T0_E_clISt17integral_constantIbLb1EES1B_EEDaS16_S17_EUlS16_E_NS1_11comp_targetILNS1_3genE10ELNS1_11target_archE1200ELNS1_3gpuE4ELNS1_3repE0EEENS1_30default_config_static_selectorELNS0_4arch9wavefront6targetE0EEEvT1_.uses_vcc, 0
	.set _ZN7rocprim17ROCPRIM_400000_NS6detail17trampoline_kernelINS0_14default_configENS1_25partition_config_selectorILNS1_17partition_subalgoE5EjNS0_10empty_typeEbEEZZNS1_14partition_implILS5_5ELb0ES3_mN6thrust23THRUST_200600_302600_NS6detail15normal_iteratorINSA_10device_ptrIjEEEEPS6_NSA_18transform_iteratorINSB_9not_fun_tINSA_8identityIjEEEESF_NSA_11use_defaultESM_EENS0_5tupleIJSF_S6_EEENSO_IJSG_SG_EEES6_PlJS6_EEE10hipError_tPvRmT3_T4_T5_T6_T7_T9_mT8_P12ihipStream_tbDpT10_ENKUlT_T0_E_clISt17integral_constantIbLb1EES1B_EEDaS16_S17_EUlS16_E_NS1_11comp_targetILNS1_3genE10ELNS1_11target_archE1200ELNS1_3gpuE4ELNS1_3repE0EEENS1_30default_config_static_selectorELNS0_4arch9wavefront6targetE0EEEvT1_.uses_flat_scratch, 0
	.set _ZN7rocprim17ROCPRIM_400000_NS6detail17trampoline_kernelINS0_14default_configENS1_25partition_config_selectorILNS1_17partition_subalgoE5EjNS0_10empty_typeEbEEZZNS1_14partition_implILS5_5ELb0ES3_mN6thrust23THRUST_200600_302600_NS6detail15normal_iteratorINSA_10device_ptrIjEEEEPS6_NSA_18transform_iteratorINSB_9not_fun_tINSA_8identityIjEEEESF_NSA_11use_defaultESM_EENS0_5tupleIJSF_S6_EEENSO_IJSG_SG_EEES6_PlJS6_EEE10hipError_tPvRmT3_T4_T5_T6_T7_T9_mT8_P12ihipStream_tbDpT10_ENKUlT_T0_E_clISt17integral_constantIbLb1EES1B_EEDaS16_S17_EUlS16_E_NS1_11comp_targetILNS1_3genE10ELNS1_11target_archE1200ELNS1_3gpuE4ELNS1_3repE0EEENS1_30default_config_static_selectorELNS0_4arch9wavefront6targetE0EEEvT1_.has_dyn_sized_stack, 0
	.set _ZN7rocprim17ROCPRIM_400000_NS6detail17trampoline_kernelINS0_14default_configENS1_25partition_config_selectorILNS1_17partition_subalgoE5EjNS0_10empty_typeEbEEZZNS1_14partition_implILS5_5ELb0ES3_mN6thrust23THRUST_200600_302600_NS6detail15normal_iteratorINSA_10device_ptrIjEEEEPS6_NSA_18transform_iteratorINSB_9not_fun_tINSA_8identityIjEEEESF_NSA_11use_defaultESM_EENS0_5tupleIJSF_S6_EEENSO_IJSG_SG_EEES6_PlJS6_EEE10hipError_tPvRmT3_T4_T5_T6_T7_T9_mT8_P12ihipStream_tbDpT10_ENKUlT_T0_E_clISt17integral_constantIbLb1EES1B_EEDaS16_S17_EUlS16_E_NS1_11comp_targetILNS1_3genE10ELNS1_11target_archE1200ELNS1_3gpuE4ELNS1_3repE0EEENS1_30default_config_static_selectorELNS0_4arch9wavefront6targetE0EEEvT1_.has_recursion, 0
	.set _ZN7rocprim17ROCPRIM_400000_NS6detail17trampoline_kernelINS0_14default_configENS1_25partition_config_selectorILNS1_17partition_subalgoE5EjNS0_10empty_typeEbEEZZNS1_14partition_implILS5_5ELb0ES3_mN6thrust23THRUST_200600_302600_NS6detail15normal_iteratorINSA_10device_ptrIjEEEEPS6_NSA_18transform_iteratorINSB_9not_fun_tINSA_8identityIjEEEESF_NSA_11use_defaultESM_EENS0_5tupleIJSF_S6_EEENSO_IJSG_SG_EEES6_PlJS6_EEE10hipError_tPvRmT3_T4_T5_T6_T7_T9_mT8_P12ihipStream_tbDpT10_ENKUlT_T0_E_clISt17integral_constantIbLb1EES1B_EEDaS16_S17_EUlS16_E_NS1_11comp_targetILNS1_3genE10ELNS1_11target_archE1200ELNS1_3gpuE4ELNS1_3repE0EEENS1_30default_config_static_selectorELNS0_4arch9wavefront6targetE0EEEvT1_.has_indirect_call, 0
	.section	.AMDGPU.csdata,"",@progbits
; Kernel info:
; codeLenInByte = 4
; TotalNumSgprs: 0
; NumVgprs: 0
; ScratchSize: 0
; MemoryBound: 0
; FloatMode: 240
; IeeeMode: 1
; LDSByteSize: 0 bytes/workgroup (compile time only)
; SGPRBlocks: 0
; VGPRBlocks: 0
; NumSGPRsForWavesPerEU: 1
; NumVGPRsForWavesPerEU: 1
; Occupancy: 16
; WaveLimiterHint : 0
; COMPUTE_PGM_RSRC2:SCRATCH_EN: 0
; COMPUTE_PGM_RSRC2:USER_SGPR: 2
; COMPUTE_PGM_RSRC2:TRAP_HANDLER: 0
; COMPUTE_PGM_RSRC2:TGID_X_EN: 1
; COMPUTE_PGM_RSRC2:TGID_Y_EN: 0
; COMPUTE_PGM_RSRC2:TGID_Z_EN: 0
; COMPUTE_PGM_RSRC2:TIDIG_COMP_CNT: 0
	.section	.text._ZN7rocprim17ROCPRIM_400000_NS6detail17trampoline_kernelINS0_14default_configENS1_25partition_config_selectorILNS1_17partition_subalgoE5EjNS0_10empty_typeEbEEZZNS1_14partition_implILS5_5ELb0ES3_mN6thrust23THRUST_200600_302600_NS6detail15normal_iteratorINSA_10device_ptrIjEEEEPS6_NSA_18transform_iteratorINSB_9not_fun_tINSA_8identityIjEEEESF_NSA_11use_defaultESM_EENS0_5tupleIJSF_S6_EEENSO_IJSG_SG_EEES6_PlJS6_EEE10hipError_tPvRmT3_T4_T5_T6_T7_T9_mT8_P12ihipStream_tbDpT10_ENKUlT_T0_E_clISt17integral_constantIbLb1EES1B_EEDaS16_S17_EUlS16_E_NS1_11comp_targetILNS1_3genE9ELNS1_11target_archE1100ELNS1_3gpuE3ELNS1_3repE0EEENS1_30default_config_static_selectorELNS0_4arch9wavefront6targetE0EEEvT1_,"axG",@progbits,_ZN7rocprim17ROCPRIM_400000_NS6detail17trampoline_kernelINS0_14default_configENS1_25partition_config_selectorILNS1_17partition_subalgoE5EjNS0_10empty_typeEbEEZZNS1_14partition_implILS5_5ELb0ES3_mN6thrust23THRUST_200600_302600_NS6detail15normal_iteratorINSA_10device_ptrIjEEEEPS6_NSA_18transform_iteratorINSB_9not_fun_tINSA_8identityIjEEEESF_NSA_11use_defaultESM_EENS0_5tupleIJSF_S6_EEENSO_IJSG_SG_EEES6_PlJS6_EEE10hipError_tPvRmT3_T4_T5_T6_T7_T9_mT8_P12ihipStream_tbDpT10_ENKUlT_T0_E_clISt17integral_constantIbLb1EES1B_EEDaS16_S17_EUlS16_E_NS1_11comp_targetILNS1_3genE9ELNS1_11target_archE1100ELNS1_3gpuE3ELNS1_3repE0EEENS1_30default_config_static_selectorELNS0_4arch9wavefront6targetE0EEEvT1_,comdat
	.protected	_ZN7rocprim17ROCPRIM_400000_NS6detail17trampoline_kernelINS0_14default_configENS1_25partition_config_selectorILNS1_17partition_subalgoE5EjNS0_10empty_typeEbEEZZNS1_14partition_implILS5_5ELb0ES3_mN6thrust23THRUST_200600_302600_NS6detail15normal_iteratorINSA_10device_ptrIjEEEEPS6_NSA_18transform_iteratorINSB_9not_fun_tINSA_8identityIjEEEESF_NSA_11use_defaultESM_EENS0_5tupleIJSF_S6_EEENSO_IJSG_SG_EEES6_PlJS6_EEE10hipError_tPvRmT3_T4_T5_T6_T7_T9_mT8_P12ihipStream_tbDpT10_ENKUlT_T0_E_clISt17integral_constantIbLb1EES1B_EEDaS16_S17_EUlS16_E_NS1_11comp_targetILNS1_3genE9ELNS1_11target_archE1100ELNS1_3gpuE3ELNS1_3repE0EEENS1_30default_config_static_selectorELNS0_4arch9wavefront6targetE0EEEvT1_ ; -- Begin function _ZN7rocprim17ROCPRIM_400000_NS6detail17trampoline_kernelINS0_14default_configENS1_25partition_config_selectorILNS1_17partition_subalgoE5EjNS0_10empty_typeEbEEZZNS1_14partition_implILS5_5ELb0ES3_mN6thrust23THRUST_200600_302600_NS6detail15normal_iteratorINSA_10device_ptrIjEEEEPS6_NSA_18transform_iteratorINSB_9not_fun_tINSA_8identityIjEEEESF_NSA_11use_defaultESM_EENS0_5tupleIJSF_S6_EEENSO_IJSG_SG_EEES6_PlJS6_EEE10hipError_tPvRmT3_T4_T5_T6_T7_T9_mT8_P12ihipStream_tbDpT10_ENKUlT_T0_E_clISt17integral_constantIbLb1EES1B_EEDaS16_S17_EUlS16_E_NS1_11comp_targetILNS1_3genE9ELNS1_11target_archE1100ELNS1_3gpuE3ELNS1_3repE0EEENS1_30default_config_static_selectorELNS0_4arch9wavefront6targetE0EEEvT1_
	.globl	_ZN7rocprim17ROCPRIM_400000_NS6detail17trampoline_kernelINS0_14default_configENS1_25partition_config_selectorILNS1_17partition_subalgoE5EjNS0_10empty_typeEbEEZZNS1_14partition_implILS5_5ELb0ES3_mN6thrust23THRUST_200600_302600_NS6detail15normal_iteratorINSA_10device_ptrIjEEEEPS6_NSA_18transform_iteratorINSB_9not_fun_tINSA_8identityIjEEEESF_NSA_11use_defaultESM_EENS0_5tupleIJSF_S6_EEENSO_IJSG_SG_EEES6_PlJS6_EEE10hipError_tPvRmT3_T4_T5_T6_T7_T9_mT8_P12ihipStream_tbDpT10_ENKUlT_T0_E_clISt17integral_constantIbLb1EES1B_EEDaS16_S17_EUlS16_E_NS1_11comp_targetILNS1_3genE9ELNS1_11target_archE1100ELNS1_3gpuE3ELNS1_3repE0EEENS1_30default_config_static_selectorELNS0_4arch9wavefront6targetE0EEEvT1_
	.p2align	8
	.type	_ZN7rocprim17ROCPRIM_400000_NS6detail17trampoline_kernelINS0_14default_configENS1_25partition_config_selectorILNS1_17partition_subalgoE5EjNS0_10empty_typeEbEEZZNS1_14partition_implILS5_5ELb0ES3_mN6thrust23THRUST_200600_302600_NS6detail15normal_iteratorINSA_10device_ptrIjEEEEPS6_NSA_18transform_iteratorINSB_9not_fun_tINSA_8identityIjEEEESF_NSA_11use_defaultESM_EENS0_5tupleIJSF_S6_EEENSO_IJSG_SG_EEES6_PlJS6_EEE10hipError_tPvRmT3_T4_T5_T6_T7_T9_mT8_P12ihipStream_tbDpT10_ENKUlT_T0_E_clISt17integral_constantIbLb1EES1B_EEDaS16_S17_EUlS16_E_NS1_11comp_targetILNS1_3genE9ELNS1_11target_archE1100ELNS1_3gpuE3ELNS1_3repE0EEENS1_30default_config_static_selectorELNS0_4arch9wavefront6targetE0EEEvT1_,@function
_ZN7rocprim17ROCPRIM_400000_NS6detail17trampoline_kernelINS0_14default_configENS1_25partition_config_selectorILNS1_17partition_subalgoE5EjNS0_10empty_typeEbEEZZNS1_14partition_implILS5_5ELb0ES3_mN6thrust23THRUST_200600_302600_NS6detail15normal_iteratorINSA_10device_ptrIjEEEEPS6_NSA_18transform_iteratorINSB_9not_fun_tINSA_8identityIjEEEESF_NSA_11use_defaultESM_EENS0_5tupleIJSF_S6_EEENSO_IJSG_SG_EEES6_PlJS6_EEE10hipError_tPvRmT3_T4_T5_T6_T7_T9_mT8_P12ihipStream_tbDpT10_ENKUlT_T0_E_clISt17integral_constantIbLb1EES1B_EEDaS16_S17_EUlS16_E_NS1_11comp_targetILNS1_3genE9ELNS1_11target_archE1100ELNS1_3gpuE3ELNS1_3repE0EEENS1_30default_config_static_selectorELNS0_4arch9wavefront6targetE0EEEvT1_: ; @_ZN7rocprim17ROCPRIM_400000_NS6detail17trampoline_kernelINS0_14default_configENS1_25partition_config_selectorILNS1_17partition_subalgoE5EjNS0_10empty_typeEbEEZZNS1_14partition_implILS5_5ELb0ES3_mN6thrust23THRUST_200600_302600_NS6detail15normal_iteratorINSA_10device_ptrIjEEEEPS6_NSA_18transform_iteratorINSB_9not_fun_tINSA_8identityIjEEEESF_NSA_11use_defaultESM_EENS0_5tupleIJSF_S6_EEENSO_IJSG_SG_EEES6_PlJS6_EEE10hipError_tPvRmT3_T4_T5_T6_T7_T9_mT8_P12ihipStream_tbDpT10_ENKUlT_T0_E_clISt17integral_constantIbLb1EES1B_EEDaS16_S17_EUlS16_E_NS1_11comp_targetILNS1_3genE9ELNS1_11target_archE1100ELNS1_3gpuE3ELNS1_3repE0EEENS1_30default_config_static_selectorELNS0_4arch9wavefront6targetE0EEEvT1_
; %bb.0:
	.section	.rodata,"a",@progbits
	.p2align	6, 0x0
	.amdhsa_kernel _ZN7rocprim17ROCPRIM_400000_NS6detail17trampoline_kernelINS0_14default_configENS1_25partition_config_selectorILNS1_17partition_subalgoE5EjNS0_10empty_typeEbEEZZNS1_14partition_implILS5_5ELb0ES3_mN6thrust23THRUST_200600_302600_NS6detail15normal_iteratorINSA_10device_ptrIjEEEEPS6_NSA_18transform_iteratorINSB_9not_fun_tINSA_8identityIjEEEESF_NSA_11use_defaultESM_EENS0_5tupleIJSF_S6_EEENSO_IJSG_SG_EEES6_PlJS6_EEE10hipError_tPvRmT3_T4_T5_T6_T7_T9_mT8_P12ihipStream_tbDpT10_ENKUlT_T0_E_clISt17integral_constantIbLb1EES1B_EEDaS16_S17_EUlS16_E_NS1_11comp_targetILNS1_3genE9ELNS1_11target_archE1100ELNS1_3gpuE3ELNS1_3repE0EEENS1_30default_config_static_selectorELNS0_4arch9wavefront6targetE0EEEvT1_
		.amdhsa_group_segment_fixed_size 0
		.amdhsa_private_segment_fixed_size 0
		.amdhsa_kernarg_size 136
		.amdhsa_user_sgpr_count 2
		.amdhsa_user_sgpr_dispatch_ptr 0
		.amdhsa_user_sgpr_queue_ptr 0
		.amdhsa_user_sgpr_kernarg_segment_ptr 1
		.amdhsa_user_sgpr_dispatch_id 0
		.amdhsa_user_sgpr_private_segment_size 0
		.amdhsa_wavefront_size32 1
		.amdhsa_uses_dynamic_stack 0
		.amdhsa_enable_private_segment 0
		.amdhsa_system_sgpr_workgroup_id_x 1
		.amdhsa_system_sgpr_workgroup_id_y 0
		.amdhsa_system_sgpr_workgroup_id_z 0
		.amdhsa_system_sgpr_workgroup_info 0
		.amdhsa_system_vgpr_workitem_id 0
		.amdhsa_next_free_vgpr 1
		.amdhsa_next_free_sgpr 1
		.amdhsa_reserve_vcc 0
		.amdhsa_float_round_mode_32 0
		.amdhsa_float_round_mode_16_64 0
		.amdhsa_float_denorm_mode_32 3
		.amdhsa_float_denorm_mode_16_64 3
		.amdhsa_fp16_overflow 0
		.amdhsa_workgroup_processor_mode 1
		.amdhsa_memory_ordered 1
		.amdhsa_forward_progress 1
		.amdhsa_inst_pref_size 0
		.amdhsa_round_robin_scheduling 0
		.amdhsa_exception_fp_ieee_invalid_op 0
		.amdhsa_exception_fp_denorm_src 0
		.amdhsa_exception_fp_ieee_div_zero 0
		.amdhsa_exception_fp_ieee_overflow 0
		.amdhsa_exception_fp_ieee_underflow 0
		.amdhsa_exception_fp_ieee_inexact 0
		.amdhsa_exception_int_div_zero 0
	.end_amdhsa_kernel
	.section	.text._ZN7rocprim17ROCPRIM_400000_NS6detail17trampoline_kernelINS0_14default_configENS1_25partition_config_selectorILNS1_17partition_subalgoE5EjNS0_10empty_typeEbEEZZNS1_14partition_implILS5_5ELb0ES3_mN6thrust23THRUST_200600_302600_NS6detail15normal_iteratorINSA_10device_ptrIjEEEEPS6_NSA_18transform_iteratorINSB_9not_fun_tINSA_8identityIjEEEESF_NSA_11use_defaultESM_EENS0_5tupleIJSF_S6_EEENSO_IJSG_SG_EEES6_PlJS6_EEE10hipError_tPvRmT3_T4_T5_T6_T7_T9_mT8_P12ihipStream_tbDpT10_ENKUlT_T0_E_clISt17integral_constantIbLb1EES1B_EEDaS16_S17_EUlS16_E_NS1_11comp_targetILNS1_3genE9ELNS1_11target_archE1100ELNS1_3gpuE3ELNS1_3repE0EEENS1_30default_config_static_selectorELNS0_4arch9wavefront6targetE0EEEvT1_,"axG",@progbits,_ZN7rocprim17ROCPRIM_400000_NS6detail17trampoline_kernelINS0_14default_configENS1_25partition_config_selectorILNS1_17partition_subalgoE5EjNS0_10empty_typeEbEEZZNS1_14partition_implILS5_5ELb0ES3_mN6thrust23THRUST_200600_302600_NS6detail15normal_iteratorINSA_10device_ptrIjEEEEPS6_NSA_18transform_iteratorINSB_9not_fun_tINSA_8identityIjEEEESF_NSA_11use_defaultESM_EENS0_5tupleIJSF_S6_EEENSO_IJSG_SG_EEES6_PlJS6_EEE10hipError_tPvRmT3_T4_T5_T6_T7_T9_mT8_P12ihipStream_tbDpT10_ENKUlT_T0_E_clISt17integral_constantIbLb1EES1B_EEDaS16_S17_EUlS16_E_NS1_11comp_targetILNS1_3genE9ELNS1_11target_archE1100ELNS1_3gpuE3ELNS1_3repE0EEENS1_30default_config_static_selectorELNS0_4arch9wavefront6targetE0EEEvT1_,comdat
.Lfunc_end899:
	.size	_ZN7rocprim17ROCPRIM_400000_NS6detail17trampoline_kernelINS0_14default_configENS1_25partition_config_selectorILNS1_17partition_subalgoE5EjNS0_10empty_typeEbEEZZNS1_14partition_implILS5_5ELb0ES3_mN6thrust23THRUST_200600_302600_NS6detail15normal_iteratorINSA_10device_ptrIjEEEEPS6_NSA_18transform_iteratorINSB_9not_fun_tINSA_8identityIjEEEESF_NSA_11use_defaultESM_EENS0_5tupleIJSF_S6_EEENSO_IJSG_SG_EEES6_PlJS6_EEE10hipError_tPvRmT3_T4_T5_T6_T7_T9_mT8_P12ihipStream_tbDpT10_ENKUlT_T0_E_clISt17integral_constantIbLb1EES1B_EEDaS16_S17_EUlS16_E_NS1_11comp_targetILNS1_3genE9ELNS1_11target_archE1100ELNS1_3gpuE3ELNS1_3repE0EEENS1_30default_config_static_selectorELNS0_4arch9wavefront6targetE0EEEvT1_, .Lfunc_end899-_ZN7rocprim17ROCPRIM_400000_NS6detail17trampoline_kernelINS0_14default_configENS1_25partition_config_selectorILNS1_17partition_subalgoE5EjNS0_10empty_typeEbEEZZNS1_14partition_implILS5_5ELb0ES3_mN6thrust23THRUST_200600_302600_NS6detail15normal_iteratorINSA_10device_ptrIjEEEEPS6_NSA_18transform_iteratorINSB_9not_fun_tINSA_8identityIjEEEESF_NSA_11use_defaultESM_EENS0_5tupleIJSF_S6_EEENSO_IJSG_SG_EEES6_PlJS6_EEE10hipError_tPvRmT3_T4_T5_T6_T7_T9_mT8_P12ihipStream_tbDpT10_ENKUlT_T0_E_clISt17integral_constantIbLb1EES1B_EEDaS16_S17_EUlS16_E_NS1_11comp_targetILNS1_3genE9ELNS1_11target_archE1100ELNS1_3gpuE3ELNS1_3repE0EEENS1_30default_config_static_selectorELNS0_4arch9wavefront6targetE0EEEvT1_
                                        ; -- End function
	.set _ZN7rocprim17ROCPRIM_400000_NS6detail17trampoline_kernelINS0_14default_configENS1_25partition_config_selectorILNS1_17partition_subalgoE5EjNS0_10empty_typeEbEEZZNS1_14partition_implILS5_5ELb0ES3_mN6thrust23THRUST_200600_302600_NS6detail15normal_iteratorINSA_10device_ptrIjEEEEPS6_NSA_18transform_iteratorINSB_9not_fun_tINSA_8identityIjEEEESF_NSA_11use_defaultESM_EENS0_5tupleIJSF_S6_EEENSO_IJSG_SG_EEES6_PlJS6_EEE10hipError_tPvRmT3_T4_T5_T6_T7_T9_mT8_P12ihipStream_tbDpT10_ENKUlT_T0_E_clISt17integral_constantIbLb1EES1B_EEDaS16_S17_EUlS16_E_NS1_11comp_targetILNS1_3genE9ELNS1_11target_archE1100ELNS1_3gpuE3ELNS1_3repE0EEENS1_30default_config_static_selectorELNS0_4arch9wavefront6targetE0EEEvT1_.num_vgpr, 0
	.set _ZN7rocprim17ROCPRIM_400000_NS6detail17trampoline_kernelINS0_14default_configENS1_25partition_config_selectorILNS1_17partition_subalgoE5EjNS0_10empty_typeEbEEZZNS1_14partition_implILS5_5ELb0ES3_mN6thrust23THRUST_200600_302600_NS6detail15normal_iteratorINSA_10device_ptrIjEEEEPS6_NSA_18transform_iteratorINSB_9not_fun_tINSA_8identityIjEEEESF_NSA_11use_defaultESM_EENS0_5tupleIJSF_S6_EEENSO_IJSG_SG_EEES6_PlJS6_EEE10hipError_tPvRmT3_T4_T5_T6_T7_T9_mT8_P12ihipStream_tbDpT10_ENKUlT_T0_E_clISt17integral_constantIbLb1EES1B_EEDaS16_S17_EUlS16_E_NS1_11comp_targetILNS1_3genE9ELNS1_11target_archE1100ELNS1_3gpuE3ELNS1_3repE0EEENS1_30default_config_static_selectorELNS0_4arch9wavefront6targetE0EEEvT1_.num_agpr, 0
	.set _ZN7rocprim17ROCPRIM_400000_NS6detail17trampoline_kernelINS0_14default_configENS1_25partition_config_selectorILNS1_17partition_subalgoE5EjNS0_10empty_typeEbEEZZNS1_14partition_implILS5_5ELb0ES3_mN6thrust23THRUST_200600_302600_NS6detail15normal_iteratorINSA_10device_ptrIjEEEEPS6_NSA_18transform_iteratorINSB_9not_fun_tINSA_8identityIjEEEESF_NSA_11use_defaultESM_EENS0_5tupleIJSF_S6_EEENSO_IJSG_SG_EEES6_PlJS6_EEE10hipError_tPvRmT3_T4_T5_T6_T7_T9_mT8_P12ihipStream_tbDpT10_ENKUlT_T0_E_clISt17integral_constantIbLb1EES1B_EEDaS16_S17_EUlS16_E_NS1_11comp_targetILNS1_3genE9ELNS1_11target_archE1100ELNS1_3gpuE3ELNS1_3repE0EEENS1_30default_config_static_selectorELNS0_4arch9wavefront6targetE0EEEvT1_.numbered_sgpr, 0
	.set _ZN7rocprim17ROCPRIM_400000_NS6detail17trampoline_kernelINS0_14default_configENS1_25partition_config_selectorILNS1_17partition_subalgoE5EjNS0_10empty_typeEbEEZZNS1_14partition_implILS5_5ELb0ES3_mN6thrust23THRUST_200600_302600_NS6detail15normal_iteratorINSA_10device_ptrIjEEEEPS6_NSA_18transform_iteratorINSB_9not_fun_tINSA_8identityIjEEEESF_NSA_11use_defaultESM_EENS0_5tupleIJSF_S6_EEENSO_IJSG_SG_EEES6_PlJS6_EEE10hipError_tPvRmT3_T4_T5_T6_T7_T9_mT8_P12ihipStream_tbDpT10_ENKUlT_T0_E_clISt17integral_constantIbLb1EES1B_EEDaS16_S17_EUlS16_E_NS1_11comp_targetILNS1_3genE9ELNS1_11target_archE1100ELNS1_3gpuE3ELNS1_3repE0EEENS1_30default_config_static_selectorELNS0_4arch9wavefront6targetE0EEEvT1_.num_named_barrier, 0
	.set _ZN7rocprim17ROCPRIM_400000_NS6detail17trampoline_kernelINS0_14default_configENS1_25partition_config_selectorILNS1_17partition_subalgoE5EjNS0_10empty_typeEbEEZZNS1_14partition_implILS5_5ELb0ES3_mN6thrust23THRUST_200600_302600_NS6detail15normal_iteratorINSA_10device_ptrIjEEEEPS6_NSA_18transform_iteratorINSB_9not_fun_tINSA_8identityIjEEEESF_NSA_11use_defaultESM_EENS0_5tupleIJSF_S6_EEENSO_IJSG_SG_EEES6_PlJS6_EEE10hipError_tPvRmT3_T4_T5_T6_T7_T9_mT8_P12ihipStream_tbDpT10_ENKUlT_T0_E_clISt17integral_constantIbLb1EES1B_EEDaS16_S17_EUlS16_E_NS1_11comp_targetILNS1_3genE9ELNS1_11target_archE1100ELNS1_3gpuE3ELNS1_3repE0EEENS1_30default_config_static_selectorELNS0_4arch9wavefront6targetE0EEEvT1_.private_seg_size, 0
	.set _ZN7rocprim17ROCPRIM_400000_NS6detail17trampoline_kernelINS0_14default_configENS1_25partition_config_selectorILNS1_17partition_subalgoE5EjNS0_10empty_typeEbEEZZNS1_14partition_implILS5_5ELb0ES3_mN6thrust23THRUST_200600_302600_NS6detail15normal_iteratorINSA_10device_ptrIjEEEEPS6_NSA_18transform_iteratorINSB_9not_fun_tINSA_8identityIjEEEESF_NSA_11use_defaultESM_EENS0_5tupleIJSF_S6_EEENSO_IJSG_SG_EEES6_PlJS6_EEE10hipError_tPvRmT3_T4_T5_T6_T7_T9_mT8_P12ihipStream_tbDpT10_ENKUlT_T0_E_clISt17integral_constantIbLb1EES1B_EEDaS16_S17_EUlS16_E_NS1_11comp_targetILNS1_3genE9ELNS1_11target_archE1100ELNS1_3gpuE3ELNS1_3repE0EEENS1_30default_config_static_selectorELNS0_4arch9wavefront6targetE0EEEvT1_.uses_vcc, 0
	.set _ZN7rocprim17ROCPRIM_400000_NS6detail17trampoline_kernelINS0_14default_configENS1_25partition_config_selectorILNS1_17partition_subalgoE5EjNS0_10empty_typeEbEEZZNS1_14partition_implILS5_5ELb0ES3_mN6thrust23THRUST_200600_302600_NS6detail15normal_iteratorINSA_10device_ptrIjEEEEPS6_NSA_18transform_iteratorINSB_9not_fun_tINSA_8identityIjEEEESF_NSA_11use_defaultESM_EENS0_5tupleIJSF_S6_EEENSO_IJSG_SG_EEES6_PlJS6_EEE10hipError_tPvRmT3_T4_T5_T6_T7_T9_mT8_P12ihipStream_tbDpT10_ENKUlT_T0_E_clISt17integral_constantIbLb1EES1B_EEDaS16_S17_EUlS16_E_NS1_11comp_targetILNS1_3genE9ELNS1_11target_archE1100ELNS1_3gpuE3ELNS1_3repE0EEENS1_30default_config_static_selectorELNS0_4arch9wavefront6targetE0EEEvT1_.uses_flat_scratch, 0
	.set _ZN7rocprim17ROCPRIM_400000_NS6detail17trampoline_kernelINS0_14default_configENS1_25partition_config_selectorILNS1_17partition_subalgoE5EjNS0_10empty_typeEbEEZZNS1_14partition_implILS5_5ELb0ES3_mN6thrust23THRUST_200600_302600_NS6detail15normal_iteratorINSA_10device_ptrIjEEEEPS6_NSA_18transform_iteratorINSB_9not_fun_tINSA_8identityIjEEEESF_NSA_11use_defaultESM_EENS0_5tupleIJSF_S6_EEENSO_IJSG_SG_EEES6_PlJS6_EEE10hipError_tPvRmT3_T4_T5_T6_T7_T9_mT8_P12ihipStream_tbDpT10_ENKUlT_T0_E_clISt17integral_constantIbLb1EES1B_EEDaS16_S17_EUlS16_E_NS1_11comp_targetILNS1_3genE9ELNS1_11target_archE1100ELNS1_3gpuE3ELNS1_3repE0EEENS1_30default_config_static_selectorELNS0_4arch9wavefront6targetE0EEEvT1_.has_dyn_sized_stack, 0
	.set _ZN7rocprim17ROCPRIM_400000_NS6detail17trampoline_kernelINS0_14default_configENS1_25partition_config_selectorILNS1_17partition_subalgoE5EjNS0_10empty_typeEbEEZZNS1_14partition_implILS5_5ELb0ES3_mN6thrust23THRUST_200600_302600_NS6detail15normal_iteratorINSA_10device_ptrIjEEEEPS6_NSA_18transform_iteratorINSB_9not_fun_tINSA_8identityIjEEEESF_NSA_11use_defaultESM_EENS0_5tupleIJSF_S6_EEENSO_IJSG_SG_EEES6_PlJS6_EEE10hipError_tPvRmT3_T4_T5_T6_T7_T9_mT8_P12ihipStream_tbDpT10_ENKUlT_T0_E_clISt17integral_constantIbLb1EES1B_EEDaS16_S17_EUlS16_E_NS1_11comp_targetILNS1_3genE9ELNS1_11target_archE1100ELNS1_3gpuE3ELNS1_3repE0EEENS1_30default_config_static_selectorELNS0_4arch9wavefront6targetE0EEEvT1_.has_recursion, 0
	.set _ZN7rocprim17ROCPRIM_400000_NS6detail17trampoline_kernelINS0_14default_configENS1_25partition_config_selectorILNS1_17partition_subalgoE5EjNS0_10empty_typeEbEEZZNS1_14partition_implILS5_5ELb0ES3_mN6thrust23THRUST_200600_302600_NS6detail15normal_iteratorINSA_10device_ptrIjEEEEPS6_NSA_18transform_iteratorINSB_9not_fun_tINSA_8identityIjEEEESF_NSA_11use_defaultESM_EENS0_5tupleIJSF_S6_EEENSO_IJSG_SG_EEES6_PlJS6_EEE10hipError_tPvRmT3_T4_T5_T6_T7_T9_mT8_P12ihipStream_tbDpT10_ENKUlT_T0_E_clISt17integral_constantIbLb1EES1B_EEDaS16_S17_EUlS16_E_NS1_11comp_targetILNS1_3genE9ELNS1_11target_archE1100ELNS1_3gpuE3ELNS1_3repE0EEENS1_30default_config_static_selectorELNS0_4arch9wavefront6targetE0EEEvT1_.has_indirect_call, 0
	.section	.AMDGPU.csdata,"",@progbits
; Kernel info:
; codeLenInByte = 0
; TotalNumSgprs: 0
; NumVgprs: 0
; ScratchSize: 0
; MemoryBound: 0
; FloatMode: 240
; IeeeMode: 1
; LDSByteSize: 0 bytes/workgroup (compile time only)
; SGPRBlocks: 0
; VGPRBlocks: 0
; NumSGPRsForWavesPerEU: 1
; NumVGPRsForWavesPerEU: 1
; Occupancy: 16
; WaveLimiterHint : 0
; COMPUTE_PGM_RSRC2:SCRATCH_EN: 0
; COMPUTE_PGM_RSRC2:USER_SGPR: 2
; COMPUTE_PGM_RSRC2:TRAP_HANDLER: 0
; COMPUTE_PGM_RSRC2:TGID_X_EN: 1
; COMPUTE_PGM_RSRC2:TGID_Y_EN: 0
; COMPUTE_PGM_RSRC2:TGID_Z_EN: 0
; COMPUTE_PGM_RSRC2:TIDIG_COMP_CNT: 0
	.section	.text._ZN7rocprim17ROCPRIM_400000_NS6detail17trampoline_kernelINS0_14default_configENS1_25partition_config_selectorILNS1_17partition_subalgoE5EjNS0_10empty_typeEbEEZZNS1_14partition_implILS5_5ELb0ES3_mN6thrust23THRUST_200600_302600_NS6detail15normal_iteratorINSA_10device_ptrIjEEEEPS6_NSA_18transform_iteratorINSB_9not_fun_tINSA_8identityIjEEEESF_NSA_11use_defaultESM_EENS0_5tupleIJSF_S6_EEENSO_IJSG_SG_EEES6_PlJS6_EEE10hipError_tPvRmT3_T4_T5_T6_T7_T9_mT8_P12ihipStream_tbDpT10_ENKUlT_T0_E_clISt17integral_constantIbLb1EES1B_EEDaS16_S17_EUlS16_E_NS1_11comp_targetILNS1_3genE8ELNS1_11target_archE1030ELNS1_3gpuE2ELNS1_3repE0EEENS1_30default_config_static_selectorELNS0_4arch9wavefront6targetE0EEEvT1_,"axG",@progbits,_ZN7rocprim17ROCPRIM_400000_NS6detail17trampoline_kernelINS0_14default_configENS1_25partition_config_selectorILNS1_17partition_subalgoE5EjNS0_10empty_typeEbEEZZNS1_14partition_implILS5_5ELb0ES3_mN6thrust23THRUST_200600_302600_NS6detail15normal_iteratorINSA_10device_ptrIjEEEEPS6_NSA_18transform_iteratorINSB_9not_fun_tINSA_8identityIjEEEESF_NSA_11use_defaultESM_EENS0_5tupleIJSF_S6_EEENSO_IJSG_SG_EEES6_PlJS6_EEE10hipError_tPvRmT3_T4_T5_T6_T7_T9_mT8_P12ihipStream_tbDpT10_ENKUlT_T0_E_clISt17integral_constantIbLb1EES1B_EEDaS16_S17_EUlS16_E_NS1_11comp_targetILNS1_3genE8ELNS1_11target_archE1030ELNS1_3gpuE2ELNS1_3repE0EEENS1_30default_config_static_selectorELNS0_4arch9wavefront6targetE0EEEvT1_,comdat
	.protected	_ZN7rocprim17ROCPRIM_400000_NS6detail17trampoline_kernelINS0_14default_configENS1_25partition_config_selectorILNS1_17partition_subalgoE5EjNS0_10empty_typeEbEEZZNS1_14partition_implILS5_5ELb0ES3_mN6thrust23THRUST_200600_302600_NS6detail15normal_iteratorINSA_10device_ptrIjEEEEPS6_NSA_18transform_iteratorINSB_9not_fun_tINSA_8identityIjEEEESF_NSA_11use_defaultESM_EENS0_5tupleIJSF_S6_EEENSO_IJSG_SG_EEES6_PlJS6_EEE10hipError_tPvRmT3_T4_T5_T6_T7_T9_mT8_P12ihipStream_tbDpT10_ENKUlT_T0_E_clISt17integral_constantIbLb1EES1B_EEDaS16_S17_EUlS16_E_NS1_11comp_targetILNS1_3genE8ELNS1_11target_archE1030ELNS1_3gpuE2ELNS1_3repE0EEENS1_30default_config_static_selectorELNS0_4arch9wavefront6targetE0EEEvT1_ ; -- Begin function _ZN7rocprim17ROCPRIM_400000_NS6detail17trampoline_kernelINS0_14default_configENS1_25partition_config_selectorILNS1_17partition_subalgoE5EjNS0_10empty_typeEbEEZZNS1_14partition_implILS5_5ELb0ES3_mN6thrust23THRUST_200600_302600_NS6detail15normal_iteratorINSA_10device_ptrIjEEEEPS6_NSA_18transform_iteratorINSB_9not_fun_tINSA_8identityIjEEEESF_NSA_11use_defaultESM_EENS0_5tupleIJSF_S6_EEENSO_IJSG_SG_EEES6_PlJS6_EEE10hipError_tPvRmT3_T4_T5_T6_T7_T9_mT8_P12ihipStream_tbDpT10_ENKUlT_T0_E_clISt17integral_constantIbLb1EES1B_EEDaS16_S17_EUlS16_E_NS1_11comp_targetILNS1_3genE8ELNS1_11target_archE1030ELNS1_3gpuE2ELNS1_3repE0EEENS1_30default_config_static_selectorELNS0_4arch9wavefront6targetE0EEEvT1_
	.globl	_ZN7rocprim17ROCPRIM_400000_NS6detail17trampoline_kernelINS0_14default_configENS1_25partition_config_selectorILNS1_17partition_subalgoE5EjNS0_10empty_typeEbEEZZNS1_14partition_implILS5_5ELb0ES3_mN6thrust23THRUST_200600_302600_NS6detail15normal_iteratorINSA_10device_ptrIjEEEEPS6_NSA_18transform_iteratorINSB_9not_fun_tINSA_8identityIjEEEESF_NSA_11use_defaultESM_EENS0_5tupleIJSF_S6_EEENSO_IJSG_SG_EEES6_PlJS6_EEE10hipError_tPvRmT3_T4_T5_T6_T7_T9_mT8_P12ihipStream_tbDpT10_ENKUlT_T0_E_clISt17integral_constantIbLb1EES1B_EEDaS16_S17_EUlS16_E_NS1_11comp_targetILNS1_3genE8ELNS1_11target_archE1030ELNS1_3gpuE2ELNS1_3repE0EEENS1_30default_config_static_selectorELNS0_4arch9wavefront6targetE0EEEvT1_
	.p2align	8
	.type	_ZN7rocprim17ROCPRIM_400000_NS6detail17trampoline_kernelINS0_14default_configENS1_25partition_config_selectorILNS1_17partition_subalgoE5EjNS0_10empty_typeEbEEZZNS1_14partition_implILS5_5ELb0ES3_mN6thrust23THRUST_200600_302600_NS6detail15normal_iteratorINSA_10device_ptrIjEEEEPS6_NSA_18transform_iteratorINSB_9not_fun_tINSA_8identityIjEEEESF_NSA_11use_defaultESM_EENS0_5tupleIJSF_S6_EEENSO_IJSG_SG_EEES6_PlJS6_EEE10hipError_tPvRmT3_T4_T5_T6_T7_T9_mT8_P12ihipStream_tbDpT10_ENKUlT_T0_E_clISt17integral_constantIbLb1EES1B_EEDaS16_S17_EUlS16_E_NS1_11comp_targetILNS1_3genE8ELNS1_11target_archE1030ELNS1_3gpuE2ELNS1_3repE0EEENS1_30default_config_static_selectorELNS0_4arch9wavefront6targetE0EEEvT1_,@function
_ZN7rocprim17ROCPRIM_400000_NS6detail17trampoline_kernelINS0_14default_configENS1_25partition_config_selectorILNS1_17partition_subalgoE5EjNS0_10empty_typeEbEEZZNS1_14partition_implILS5_5ELb0ES3_mN6thrust23THRUST_200600_302600_NS6detail15normal_iteratorINSA_10device_ptrIjEEEEPS6_NSA_18transform_iteratorINSB_9not_fun_tINSA_8identityIjEEEESF_NSA_11use_defaultESM_EENS0_5tupleIJSF_S6_EEENSO_IJSG_SG_EEES6_PlJS6_EEE10hipError_tPvRmT3_T4_T5_T6_T7_T9_mT8_P12ihipStream_tbDpT10_ENKUlT_T0_E_clISt17integral_constantIbLb1EES1B_EEDaS16_S17_EUlS16_E_NS1_11comp_targetILNS1_3genE8ELNS1_11target_archE1030ELNS1_3gpuE2ELNS1_3repE0EEENS1_30default_config_static_selectorELNS0_4arch9wavefront6targetE0EEEvT1_: ; @_ZN7rocprim17ROCPRIM_400000_NS6detail17trampoline_kernelINS0_14default_configENS1_25partition_config_selectorILNS1_17partition_subalgoE5EjNS0_10empty_typeEbEEZZNS1_14partition_implILS5_5ELb0ES3_mN6thrust23THRUST_200600_302600_NS6detail15normal_iteratorINSA_10device_ptrIjEEEEPS6_NSA_18transform_iteratorINSB_9not_fun_tINSA_8identityIjEEEESF_NSA_11use_defaultESM_EENS0_5tupleIJSF_S6_EEENSO_IJSG_SG_EEES6_PlJS6_EEE10hipError_tPvRmT3_T4_T5_T6_T7_T9_mT8_P12ihipStream_tbDpT10_ENKUlT_T0_E_clISt17integral_constantIbLb1EES1B_EEDaS16_S17_EUlS16_E_NS1_11comp_targetILNS1_3genE8ELNS1_11target_archE1030ELNS1_3gpuE2ELNS1_3repE0EEENS1_30default_config_static_selectorELNS0_4arch9wavefront6targetE0EEEvT1_
; %bb.0:
	.section	.rodata,"a",@progbits
	.p2align	6, 0x0
	.amdhsa_kernel _ZN7rocprim17ROCPRIM_400000_NS6detail17trampoline_kernelINS0_14default_configENS1_25partition_config_selectorILNS1_17partition_subalgoE5EjNS0_10empty_typeEbEEZZNS1_14partition_implILS5_5ELb0ES3_mN6thrust23THRUST_200600_302600_NS6detail15normal_iteratorINSA_10device_ptrIjEEEEPS6_NSA_18transform_iteratorINSB_9not_fun_tINSA_8identityIjEEEESF_NSA_11use_defaultESM_EENS0_5tupleIJSF_S6_EEENSO_IJSG_SG_EEES6_PlJS6_EEE10hipError_tPvRmT3_T4_T5_T6_T7_T9_mT8_P12ihipStream_tbDpT10_ENKUlT_T0_E_clISt17integral_constantIbLb1EES1B_EEDaS16_S17_EUlS16_E_NS1_11comp_targetILNS1_3genE8ELNS1_11target_archE1030ELNS1_3gpuE2ELNS1_3repE0EEENS1_30default_config_static_selectorELNS0_4arch9wavefront6targetE0EEEvT1_
		.amdhsa_group_segment_fixed_size 0
		.amdhsa_private_segment_fixed_size 0
		.amdhsa_kernarg_size 136
		.amdhsa_user_sgpr_count 2
		.amdhsa_user_sgpr_dispatch_ptr 0
		.amdhsa_user_sgpr_queue_ptr 0
		.amdhsa_user_sgpr_kernarg_segment_ptr 1
		.amdhsa_user_sgpr_dispatch_id 0
		.amdhsa_user_sgpr_private_segment_size 0
		.amdhsa_wavefront_size32 1
		.amdhsa_uses_dynamic_stack 0
		.amdhsa_enable_private_segment 0
		.amdhsa_system_sgpr_workgroup_id_x 1
		.amdhsa_system_sgpr_workgroup_id_y 0
		.amdhsa_system_sgpr_workgroup_id_z 0
		.amdhsa_system_sgpr_workgroup_info 0
		.amdhsa_system_vgpr_workitem_id 0
		.amdhsa_next_free_vgpr 1
		.amdhsa_next_free_sgpr 1
		.amdhsa_reserve_vcc 0
		.amdhsa_float_round_mode_32 0
		.amdhsa_float_round_mode_16_64 0
		.amdhsa_float_denorm_mode_32 3
		.amdhsa_float_denorm_mode_16_64 3
		.amdhsa_fp16_overflow 0
		.amdhsa_workgroup_processor_mode 1
		.amdhsa_memory_ordered 1
		.amdhsa_forward_progress 1
		.amdhsa_inst_pref_size 0
		.amdhsa_round_robin_scheduling 0
		.amdhsa_exception_fp_ieee_invalid_op 0
		.amdhsa_exception_fp_denorm_src 0
		.amdhsa_exception_fp_ieee_div_zero 0
		.amdhsa_exception_fp_ieee_overflow 0
		.amdhsa_exception_fp_ieee_underflow 0
		.amdhsa_exception_fp_ieee_inexact 0
		.amdhsa_exception_int_div_zero 0
	.end_amdhsa_kernel
	.section	.text._ZN7rocprim17ROCPRIM_400000_NS6detail17trampoline_kernelINS0_14default_configENS1_25partition_config_selectorILNS1_17partition_subalgoE5EjNS0_10empty_typeEbEEZZNS1_14partition_implILS5_5ELb0ES3_mN6thrust23THRUST_200600_302600_NS6detail15normal_iteratorINSA_10device_ptrIjEEEEPS6_NSA_18transform_iteratorINSB_9not_fun_tINSA_8identityIjEEEESF_NSA_11use_defaultESM_EENS0_5tupleIJSF_S6_EEENSO_IJSG_SG_EEES6_PlJS6_EEE10hipError_tPvRmT3_T4_T5_T6_T7_T9_mT8_P12ihipStream_tbDpT10_ENKUlT_T0_E_clISt17integral_constantIbLb1EES1B_EEDaS16_S17_EUlS16_E_NS1_11comp_targetILNS1_3genE8ELNS1_11target_archE1030ELNS1_3gpuE2ELNS1_3repE0EEENS1_30default_config_static_selectorELNS0_4arch9wavefront6targetE0EEEvT1_,"axG",@progbits,_ZN7rocprim17ROCPRIM_400000_NS6detail17trampoline_kernelINS0_14default_configENS1_25partition_config_selectorILNS1_17partition_subalgoE5EjNS0_10empty_typeEbEEZZNS1_14partition_implILS5_5ELb0ES3_mN6thrust23THRUST_200600_302600_NS6detail15normal_iteratorINSA_10device_ptrIjEEEEPS6_NSA_18transform_iteratorINSB_9not_fun_tINSA_8identityIjEEEESF_NSA_11use_defaultESM_EENS0_5tupleIJSF_S6_EEENSO_IJSG_SG_EEES6_PlJS6_EEE10hipError_tPvRmT3_T4_T5_T6_T7_T9_mT8_P12ihipStream_tbDpT10_ENKUlT_T0_E_clISt17integral_constantIbLb1EES1B_EEDaS16_S17_EUlS16_E_NS1_11comp_targetILNS1_3genE8ELNS1_11target_archE1030ELNS1_3gpuE2ELNS1_3repE0EEENS1_30default_config_static_selectorELNS0_4arch9wavefront6targetE0EEEvT1_,comdat
.Lfunc_end900:
	.size	_ZN7rocprim17ROCPRIM_400000_NS6detail17trampoline_kernelINS0_14default_configENS1_25partition_config_selectorILNS1_17partition_subalgoE5EjNS0_10empty_typeEbEEZZNS1_14partition_implILS5_5ELb0ES3_mN6thrust23THRUST_200600_302600_NS6detail15normal_iteratorINSA_10device_ptrIjEEEEPS6_NSA_18transform_iteratorINSB_9not_fun_tINSA_8identityIjEEEESF_NSA_11use_defaultESM_EENS0_5tupleIJSF_S6_EEENSO_IJSG_SG_EEES6_PlJS6_EEE10hipError_tPvRmT3_T4_T5_T6_T7_T9_mT8_P12ihipStream_tbDpT10_ENKUlT_T0_E_clISt17integral_constantIbLb1EES1B_EEDaS16_S17_EUlS16_E_NS1_11comp_targetILNS1_3genE8ELNS1_11target_archE1030ELNS1_3gpuE2ELNS1_3repE0EEENS1_30default_config_static_selectorELNS0_4arch9wavefront6targetE0EEEvT1_, .Lfunc_end900-_ZN7rocprim17ROCPRIM_400000_NS6detail17trampoline_kernelINS0_14default_configENS1_25partition_config_selectorILNS1_17partition_subalgoE5EjNS0_10empty_typeEbEEZZNS1_14partition_implILS5_5ELb0ES3_mN6thrust23THRUST_200600_302600_NS6detail15normal_iteratorINSA_10device_ptrIjEEEEPS6_NSA_18transform_iteratorINSB_9not_fun_tINSA_8identityIjEEEESF_NSA_11use_defaultESM_EENS0_5tupleIJSF_S6_EEENSO_IJSG_SG_EEES6_PlJS6_EEE10hipError_tPvRmT3_T4_T5_T6_T7_T9_mT8_P12ihipStream_tbDpT10_ENKUlT_T0_E_clISt17integral_constantIbLb1EES1B_EEDaS16_S17_EUlS16_E_NS1_11comp_targetILNS1_3genE8ELNS1_11target_archE1030ELNS1_3gpuE2ELNS1_3repE0EEENS1_30default_config_static_selectorELNS0_4arch9wavefront6targetE0EEEvT1_
                                        ; -- End function
	.set _ZN7rocprim17ROCPRIM_400000_NS6detail17trampoline_kernelINS0_14default_configENS1_25partition_config_selectorILNS1_17partition_subalgoE5EjNS0_10empty_typeEbEEZZNS1_14partition_implILS5_5ELb0ES3_mN6thrust23THRUST_200600_302600_NS6detail15normal_iteratorINSA_10device_ptrIjEEEEPS6_NSA_18transform_iteratorINSB_9not_fun_tINSA_8identityIjEEEESF_NSA_11use_defaultESM_EENS0_5tupleIJSF_S6_EEENSO_IJSG_SG_EEES6_PlJS6_EEE10hipError_tPvRmT3_T4_T5_T6_T7_T9_mT8_P12ihipStream_tbDpT10_ENKUlT_T0_E_clISt17integral_constantIbLb1EES1B_EEDaS16_S17_EUlS16_E_NS1_11comp_targetILNS1_3genE8ELNS1_11target_archE1030ELNS1_3gpuE2ELNS1_3repE0EEENS1_30default_config_static_selectorELNS0_4arch9wavefront6targetE0EEEvT1_.num_vgpr, 0
	.set _ZN7rocprim17ROCPRIM_400000_NS6detail17trampoline_kernelINS0_14default_configENS1_25partition_config_selectorILNS1_17partition_subalgoE5EjNS0_10empty_typeEbEEZZNS1_14partition_implILS5_5ELb0ES3_mN6thrust23THRUST_200600_302600_NS6detail15normal_iteratorINSA_10device_ptrIjEEEEPS6_NSA_18transform_iteratorINSB_9not_fun_tINSA_8identityIjEEEESF_NSA_11use_defaultESM_EENS0_5tupleIJSF_S6_EEENSO_IJSG_SG_EEES6_PlJS6_EEE10hipError_tPvRmT3_T4_T5_T6_T7_T9_mT8_P12ihipStream_tbDpT10_ENKUlT_T0_E_clISt17integral_constantIbLb1EES1B_EEDaS16_S17_EUlS16_E_NS1_11comp_targetILNS1_3genE8ELNS1_11target_archE1030ELNS1_3gpuE2ELNS1_3repE0EEENS1_30default_config_static_selectorELNS0_4arch9wavefront6targetE0EEEvT1_.num_agpr, 0
	.set _ZN7rocprim17ROCPRIM_400000_NS6detail17trampoline_kernelINS0_14default_configENS1_25partition_config_selectorILNS1_17partition_subalgoE5EjNS0_10empty_typeEbEEZZNS1_14partition_implILS5_5ELb0ES3_mN6thrust23THRUST_200600_302600_NS6detail15normal_iteratorINSA_10device_ptrIjEEEEPS6_NSA_18transform_iteratorINSB_9not_fun_tINSA_8identityIjEEEESF_NSA_11use_defaultESM_EENS0_5tupleIJSF_S6_EEENSO_IJSG_SG_EEES6_PlJS6_EEE10hipError_tPvRmT3_T4_T5_T6_T7_T9_mT8_P12ihipStream_tbDpT10_ENKUlT_T0_E_clISt17integral_constantIbLb1EES1B_EEDaS16_S17_EUlS16_E_NS1_11comp_targetILNS1_3genE8ELNS1_11target_archE1030ELNS1_3gpuE2ELNS1_3repE0EEENS1_30default_config_static_selectorELNS0_4arch9wavefront6targetE0EEEvT1_.numbered_sgpr, 0
	.set _ZN7rocprim17ROCPRIM_400000_NS6detail17trampoline_kernelINS0_14default_configENS1_25partition_config_selectorILNS1_17partition_subalgoE5EjNS0_10empty_typeEbEEZZNS1_14partition_implILS5_5ELb0ES3_mN6thrust23THRUST_200600_302600_NS6detail15normal_iteratorINSA_10device_ptrIjEEEEPS6_NSA_18transform_iteratorINSB_9not_fun_tINSA_8identityIjEEEESF_NSA_11use_defaultESM_EENS0_5tupleIJSF_S6_EEENSO_IJSG_SG_EEES6_PlJS6_EEE10hipError_tPvRmT3_T4_T5_T6_T7_T9_mT8_P12ihipStream_tbDpT10_ENKUlT_T0_E_clISt17integral_constantIbLb1EES1B_EEDaS16_S17_EUlS16_E_NS1_11comp_targetILNS1_3genE8ELNS1_11target_archE1030ELNS1_3gpuE2ELNS1_3repE0EEENS1_30default_config_static_selectorELNS0_4arch9wavefront6targetE0EEEvT1_.num_named_barrier, 0
	.set _ZN7rocprim17ROCPRIM_400000_NS6detail17trampoline_kernelINS0_14default_configENS1_25partition_config_selectorILNS1_17partition_subalgoE5EjNS0_10empty_typeEbEEZZNS1_14partition_implILS5_5ELb0ES3_mN6thrust23THRUST_200600_302600_NS6detail15normal_iteratorINSA_10device_ptrIjEEEEPS6_NSA_18transform_iteratorINSB_9not_fun_tINSA_8identityIjEEEESF_NSA_11use_defaultESM_EENS0_5tupleIJSF_S6_EEENSO_IJSG_SG_EEES6_PlJS6_EEE10hipError_tPvRmT3_T4_T5_T6_T7_T9_mT8_P12ihipStream_tbDpT10_ENKUlT_T0_E_clISt17integral_constantIbLb1EES1B_EEDaS16_S17_EUlS16_E_NS1_11comp_targetILNS1_3genE8ELNS1_11target_archE1030ELNS1_3gpuE2ELNS1_3repE0EEENS1_30default_config_static_selectorELNS0_4arch9wavefront6targetE0EEEvT1_.private_seg_size, 0
	.set _ZN7rocprim17ROCPRIM_400000_NS6detail17trampoline_kernelINS0_14default_configENS1_25partition_config_selectorILNS1_17partition_subalgoE5EjNS0_10empty_typeEbEEZZNS1_14partition_implILS5_5ELb0ES3_mN6thrust23THRUST_200600_302600_NS6detail15normal_iteratorINSA_10device_ptrIjEEEEPS6_NSA_18transform_iteratorINSB_9not_fun_tINSA_8identityIjEEEESF_NSA_11use_defaultESM_EENS0_5tupleIJSF_S6_EEENSO_IJSG_SG_EEES6_PlJS6_EEE10hipError_tPvRmT3_T4_T5_T6_T7_T9_mT8_P12ihipStream_tbDpT10_ENKUlT_T0_E_clISt17integral_constantIbLb1EES1B_EEDaS16_S17_EUlS16_E_NS1_11comp_targetILNS1_3genE8ELNS1_11target_archE1030ELNS1_3gpuE2ELNS1_3repE0EEENS1_30default_config_static_selectorELNS0_4arch9wavefront6targetE0EEEvT1_.uses_vcc, 0
	.set _ZN7rocprim17ROCPRIM_400000_NS6detail17trampoline_kernelINS0_14default_configENS1_25partition_config_selectorILNS1_17partition_subalgoE5EjNS0_10empty_typeEbEEZZNS1_14partition_implILS5_5ELb0ES3_mN6thrust23THRUST_200600_302600_NS6detail15normal_iteratorINSA_10device_ptrIjEEEEPS6_NSA_18transform_iteratorINSB_9not_fun_tINSA_8identityIjEEEESF_NSA_11use_defaultESM_EENS0_5tupleIJSF_S6_EEENSO_IJSG_SG_EEES6_PlJS6_EEE10hipError_tPvRmT3_T4_T5_T6_T7_T9_mT8_P12ihipStream_tbDpT10_ENKUlT_T0_E_clISt17integral_constantIbLb1EES1B_EEDaS16_S17_EUlS16_E_NS1_11comp_targetILNS1_3genE8ELNS1_11target_archE1030ELNS1_3gpuE2ELNS1_3repE0EEENS1_30default_config_static_selectorELNS0_4arch9wavefront6targetE0EEEvT1_.uses_flat_scratch, 0
	.set _ZN7rocprim17ROCPRIM_400000_NS6detail17trampoline_kernelINS0_14default_configENS1_25partition_config_selectorILNS1_17partition_subalgoE5EjNS0_10empty_typeEbEEZZNS1_14partition_implILS5_5ELb0ES3_mN6thrust23THRUST_200600_302600_NS6detail15normal_iteratorINSA_10device_ptrIjEEEEPS6_NSA_18transform_iteratorINSB_9not_fun_tINSA_8identityIjEEEESF_NSA_11use_defaultESM_EENS0_5tupleIJSF_S6_EEENSO_IJSG_SG_EEES6_PlJS6_EEE10hipError_tPvRmT3_T4_T5_T6_T7_T9_mT8_P12ihipStream_tbDpT10_ENKUlT_T0_E_clISt17integral_constantIbLb1EES1B_EEDaS16_S17_EUlS16_E_NS1_11comp_targetILNS1_3genE8ELNS1_11target_archE1030ELNS1_3gpuE2ELNS1_3repE0EEENS1_30default_config_static_selectorELNS0_4arch9wavefront6targetE0EEEvT1_.has_dyn_sized_stack, 0
	.set _ZN7rocprim17ROCPRIM_400000_NS6detail17trampoline_kernelINS0_14default_configENS1_25partition_config_selectorILNS1_17partition_subalgoE5EjNS0_10empty_typeEbEEZZNS1_14partition_implILS5_5ELb0ES3_mN6thrust23THRUST_200600_302600_NS6detail15normal_iteratorINSA_10device_ptrIjEEEEPS6_NSA_18transform_iteratorINSB_9not_fun_tINSA_8identityIjEEEESF_NSA_11use_defaultESM_EENS0_5tupleIJSF_S6_EEENSO_IJSG_SG_EEES6_PlJS6_EEE10hipError_tPvRmT3_T4_T5_T6_T7_T9_mT8_P12ihipStream_tbDpT10_ENKUlT_T0_E_clISt17integral_constantIbLb1EES1B_EEDaS16_S17_EUlS16_E_NS1_11comp_targetILNS1_3genE8ELNS1_11target_archE1030ELNS1_3gpuE2ELNS1_3repE0EEENS1_30default_config_static_selectorELNS0_4arch9wavefront6targetE0EEEvT1_.has_recursion, 0
	.set _ZN7rocprim17ROCPRIM_400000_NS6detail17trampoline_kernelINS0_14default_configENS1_25partition_config_selectorILNS1_17partition_subalgoE5EjNS0_10empty_typeEbEEZZNS1_14partition_implILS5_5ELb0ES3_mN6thrust23THRUST_200600_302600_NS6detail15normal_iteratorINSA_10device_ptrIjEEEEPS6_NSA_18transform_iteratorINSB_9not_fun_tINSA_8identityIjEEEESF_NSA_11use_defaultESM_EENS0_5tupleIJSF_S6_EEENSO_IJSG_SG_EEES6_PlJS6_EEE10hipError_tPvRmT3_T4_T5_T6_T7_T9_mT8_P12ihipStream_tbDpT10_ENKUlT_T0_E_clISt17integral_constantIbLb1EES1B_EEDaS16_S17_EUlS16_E_NS1_11comp_targetILNS1_3genE8ELNS1_11target_archE1030ELNS1_3gpuE2ELNS1_3repE0EEENS1_30default_config_static_selectorELNS0_4arch9wavefront6targetE0EEEvT1_.has_indirect_call, 0
	.section	.AMDGPU.csdata,"",@progbits
; Kernel info:
; codeLenInByte = 0
; TotalNumSgprs: 0
; NumVgprs: 0
; ScratchSize: 0
; MemoryBound: 0
; FloatMode: 240
; IeeeMode: 1
; LDSByteSize: 0 bytes/workgroup (compile time only)
; SGPRBlocks: 0
; VGPRBlocks: 0
; NumSGPRsForWavesPerEU: 1
; NumVGPRsForWavesPerEU: 1
; Occupancy: 16
; WaveLimiterHint : 0
; COMPUTE_PGM_RSRC2:SCRATCH_EN: 0
; COMPUTE_PGM_RSRC2:USER_SGPR: 2
; COMPUTE_PGM_RSRC2:TRAP_HANDLER: 0
; COMPUTE_PGM_RSRC2:TGID_X_EN: 1
; COMPUTE_PGM_RSRC2:TGID_Y_EN: 0
; COMPUTE_PGM_RSRC2:TGID_Z_EN: 0
; COMPUTE_PGM_RSRC2:TIDIG_COMP_CNT: 0
	.section	.text._ZN7rocprim17ROCPRIM_400000_NS6detail17trampoline_kernelINS0_14default_configENS1_25partition_config_selectorILNS1_17partition_subalgoE5EjNS0_10empty_typeEbEEZZNS1_14partition_implILS5_5ELb0ES3_mN6thrust23THRUST_200600_302600_NS6detail15normal_iteratorINSA_10device_ptrIjEEEEPS6_NSA_18transform_iteratorINSB_9not_fun_tINSA_8identityIjEEEESF_NSA_11use_defaultESM_EENS0_5tupleIJSF_S6_EEENSO_IJSG_SG_EEES6_PlJS6_EEE10hipError_tPvRmT3_T4_T5_T6_T7_T9_mT8_P12ihipStream_tbDpT10_ENKUlT_T0_E_clISt17integral_constantIbLb1EES1A_IbLb0EEEEDaS16_S17_EUlS16_E_NS1_11comp_targetILNS1_3genE0ELNS1_11target_archE4294967295ELNS1_3gpuE0ELNS1_3repE0EEENS1_30default_config_static_selectorELNS0_4arch9wavefront6targetE0EEEvT1_,"axG",@progbits,_ZN7rocprim17ROCPRIM_400000_NS6detail17trampoline_kernelINS0_14default_configENS1_25partition_config_selectorILNS1_17partition_subalgoE5EjNS0_10empty_typeEbEEZZNS1_14partition_implILS5_5ELb0ES3_mN6thrust23THRUST_200600_302600_NS6detail15normal_iteratorINSA_10device_ptrIjEEEEPS6_NSA_18transform_iteratorINSB_9not_fun_tINSA_8identityIjEEEESF_NSA_11use_defaultESM_EENS0_5tupleIJSF_S6_EEENSO_IJSG_SG_EEES6_PlJS6_EEE10hipError_tPvRmT3_T4_T5_T6_T7_T9_mT8_P12ihipStream_tbDpT10_ENKUlT_T0_E_clISt17integral_constantIbLb1EES1A_IbLb0EEEEDaS16_S17_EUlS16_E_NS1_11comp_targetILNS1_3genE0ELNS1_11target_archE4294967295ELNS1_3gpuE0ELNS1_3repE0EEENS1_30default_config_static_selectorELNS0_4arch9wavefront6targetE0EEEvT1_,comdat
	.protected	_ZN7rocprim17ROCPRIM_400000_NS6detail17trampoline_kernelINS0_14default_configENS1_25partition_config_selectorILNS1_17partition_subalgoE5EjNS0_10empty_typeEbEEZZNS1_14partition_implILS5_5ELb0ES3_mN6thrust23THRUST_200600_302600_NS6detail15normal_iteratorINSA_10device_ptrIjEEEEPS6_NSA_18transform_iteratorINSB_9not_fun_tINSA_8identityIjEEEESF_NSA_11use_defaultESM_EENS0_5tupleIJSF_S6_EEENSO_IJSG_SG_EEES6_PlJS6_EEE10hipError_tPvRmT3_T4_T5_T6_T7_T9_mT8_P12ihipStream_tbDpT10_ENKUlT_T0_E_clISt17integral_constantIbLb1EES1A_IbLb0EEEEDaS16_S17_EUlS16_E_NS1_11comp_targetILNS1_3genE0ELNS1_11target_archE4294967295ELNS1_3gpuE0ELNS1_3repE0EEENS1_30default_config_static_selectorELNS0_4arch9wavefront6targetE0EEEvT1_ ; -- Begin function _ZN7rocprim17ROCPRIM_400000_NS6detail17trampoline_kernelINS0_14default_configENS1_25partition_config_selectorILNS1_17partition_subalgoE5EjNS0_10empty_typeEbEEZZNS1_14partition_implILS5_5ELb0ES3_mN6thrust23THRUST_200600_302600_NS6detail15normal_iteratorINSA_10device_ptrIjEEEEPS6_NSA_18transform_iteratorINSB_9not_fun_tINSA_8identityIjEEEESF_NSA_11use_defaultESM_EENS0_5tupleIJSF_S6_EEENSO_IJSG_SG_EEES6_PlJS6_EEE10hipError_tPvRmT3_T4_T5_T6_T7_T9_mT8_P12ihipStream_tbDpT10_ENKUlT_T0_E_clISt17integral_constantIbLb1EES1A_IbLb0EEEEDaS16_S17_EUlS16_E_NS1_11comp_targetILNS1_3genE0ELNS1_11target_archE4294967295ELNS1_3gpuE0ELNS1_3repE0EEENS1_30default_config_static_selectorELNS0_4arch9wavefront6targetE0EEEvT1_
	.globl	_ZN7rocprim17ROCPRIM_400000_NS6detail17trampoline_kernelINS0_14default_configENS1_25partition_config_selectorILNS1_17partition_subalgoE5EjNS0_10empty_typeEbEEZZNS1_14partition_implILS5_5ELb0ES3_mN6thrust23THRUST_200600_302600_NS6detail15normal_iteratorINSA_10device_ptrIjEEEEPS6_NSA_18transform_iteratorINSB_9not_fun_tINSA_8identityIjEEEESF_NSA_11use_defaultESM_EENS0_5tupleIJSF_S6_EEENSO_IJSG_SG_EEES6_PlJS6_EEE10hipError_tPvRmT3_T4_T5_T6_T7_T9_mT8_P12ihipStream_tbDpT10_ENKUlT_T0_E_clISt17integral_constantIbLb1EES1A_IbLb0EEEEDaS16_S17_EUlS16_E_NS1_11comp_targetILNS1_3genE0ELNS1_11target_archE4294967295ELNS1_3gpuE0ELNS1_3repE0EEENS1_30default_config_static_selectorELNS0_4arch9wavefront6targetE0EEEvT1_
	.p2align	8
	.type	_ZN7rocprim17ROCPRIM_400000_NS6detail17trampoline_kernelINS0_14default_configENS1_25partition_config_selectorILNS1_17partition_subalgoE5EjNS0_10empty_typeEbEEZZNS1_14partition_implILS5_5ELb0ES3_mN6thrust23THRUST_200600_302600_NS6detail15normal_iteratorINSA_10device_ptrIjEEEEPS6_NSA_18transform_iteratorINSB_9not_fun_tINSA_8identityIjEEEESF_NSA_11use_defaultESM_EENS0_5tupleIJSF_S6_EEENSO_IJSG_SG_EEES6_PlJS6_EEE10hipError_tPvRmT3_T4_T5_T6_T7_T9_mT8_P12ihipStream_tbDpT10_ENKUlT_T0_E_clISt17integral_constantIbLb1EES1A_IbLb0EEEEDaS16_S17_EUlS16_E_NS1_11comp_targetILNS1_3genE0ELNS1_11target_archE4294967295ELNS1_3gpuE0ELNS1_3repE0EEENS1_30default_config_static_selectorELNS0_4arch9wavefront6targetE0EEEvT1_,@function
_ZN7rocprim17ROCPRIM_400000_NS6detail17trampoline_kernelINS0_14default_configENS1_25partition_config_selectorILNS1_17partition_subalgoE5EjNS0_10empty_typeEbEEZZNS1_14partition_implILS5_5ELb0ES3_mN6thrust23THRUST_200600_302600_NS6detail15normal_iteratorINSA_10device_ptrIjEEEEPS6_NSA_18transform_iteratorINSB_9not_fun_tINSA_8identityIjEEEESF_NSA_11use_defaultESM_EENS0_5tupleIJSF_S6_EEENSO_IJSG_SG_EEES6_PlJS6_EEE10hipError_tPvRmT3_T4_T5_T6_T7_T9_mT8_P12ihipStream_tbDpT10_ENKUlT_T0_E_clISt17integral_constantIbLb1EES1A_IbLb0EEEEDaS16_S17_EUlS16_E_NS1_11comp_targetILNS1_3genE0ELNS1_11target_archE4294967295ELNS1_3gpuE0ELNS1_3repE0EEENS1_30default_config_static_selectorELNS0_4arch9wavefront6targetE0EEEvT1_: ; @_ZN7rocprim17ROCPRIM_400000_NS6detail17trampoline_kernelINS0_14default_configENS1_25partition_config_selectorILNS1_17partition_subalgoE5EjNS0_10empty_typeEbEEZZNS1_14partition_implILS5_5ELb0ES3_mN6thrust23THRUST_200600_302600_NS6detail15normal_iteratorINSA_10device_ptrIjEEEEPS6_NSA_18transform_iteratorINSB_9not_fun_tINSA_8identityIjEEEESF_NSA_11use_defaultESM_EENS0_5tupleIJSF_S6_EEENSO_IJSG_SG_EEES6_PlJS6_EEE10hipError_tPvRmT3_T4_T5_T6_T7_T9_mT8_P12ihipStream_tbDpT10_ENKUlT_T0_E_clISt17integral_constantIbLb1EES1A_IbLb0EEEEDaS16_S17_EUlS16_E_NS1_11comp_targetILNS1_3genE0ELNS1_11target_archE4294967295ELNS1_3gpuE0ELNS1_3repE0EEENS1_30default_config_static_selectorELNS0_4arch9wavefront6targetE0EEEvT1_
; %bb.0:
	.section	.rodata,"a",@progbits
	.p2align	6, 0x0
	.amdhsa_kernel _ZN7rocprim17ROCPRIM_400000_NS6detail17trampoline_kernelINS0_14default_configENS1_25partition_config_selectorILNS1_17partition_subalgoE5EjNS0_10empty_typeEbEEZZNS1_14partition_implILS5_5ELb0ES3_mN6thrust23THRUST_200600_302600_NS6detail15normal_iteratorINSA_10device_ptrIjEEEEPS6_NSA_18transform_iteratorINSB_9not_fun_tINSA_8identityIjEEEESF_NSA_11use_defaultESM_EENS0_5tupleIJSF_S6_EEENSO_IJSG_SG_EEES6_PlJS6_EEE10hipError_tPvRmT3_T4_T5_T6_T7_T9_mT8_P12ihipStream_tbDpT10_ENKUlT_T0_E_clISt17integral_constantIbLb1EES1A_IbLb0EEEEDaS16_S17_EUlS16_E_NS1_11comp_targetILNS1_3genE0ELNS1_11target_archE4294967295ELNS1_3gpuE0ELNS1_3repE0EEENS1_30default_config_static_selectorELNS0_4arch9wavefront6targetE0EEEvT1_
		.amdhsa_group_segment_fixed_size 0
		.amdhsa_private_segment_fixed_size 0
		.amdhsa_kernarg_size 120
		.amdhsa_user_sgpr_count 2
		.amdhsa_user_sgpr_dispatch_ptr 0
		.amdhsa_user_sgpr_queue_ptr 0
		.amdhsa_user_sgpr_kernarg_segment_ptr 1
		.amdhsa_user_sgpr_dispatch_id 0
		.amdhsa_user_sgpr_private_segment_size 0
		.amdhsa_wavefront_size32 1
		.amdhsa_uses_dynamic_stack 0
		.amdhsa_enable_private_segment 0
		.amdhsa_system_sgpr_workgroup_id_x 1
		.amdhsa_system_sgpr_workgroup_id_y 0
		.amdhsa_system_sgpr_workgroup_id_z 0
		.amdhsa_system_sgpr_workgroup_info 0
		.amdhsa_system_vgpr_workitem_id 0
		.amdhsa_next_free_vgpr 1
		.amdhsa_next_free_sgpr 1
		.amdhsa_reserve_vcc 0
		.amdhsa_float_round_mode_32 0
		.amdhsa_float_round_mode_16_64 0
		.amdhsa_float_denorm_mode_32 3
		.amdhsa_float_denorm_mode_16_64 3
		.amdhsa_fp16_overflow 0
		.amdhsa_workgroup_processor_mode 1
		.amdhsa_memory_ordered 1
		.amdhsa_forward_progress 1
		.amdhsa_inst_pref_size 0
		.amdhsa_round_robin_scheduling 0
		.amdhsa_exception_fp_ieee_invalid_op 0
		.amdhsa_exception_fp_denorm_src 0
		.amdhsa_exception_fp_ieee_div_zero 0
		.amdhsa_exception_fp_ieee_overflow 0
		.amdhsa_exception_fp_ieee_underflow 0
		.amdhsa_exception_fp_ieee_inexact 0
		.amdhsa_exception_int_div_zero 0
	.end_amdhsa_kernel
	.section	.text._ZN7rocprim17ROCPRIM_400000_NS6detail17trampoline_kernelINS0_14default_configENS1_25partition_config_selectorILNS1_17partition_subalgoE5EjNS0_10empty_typeEbEEZZNS1_14partition_implILS5_5ELb0ES3_mN6thrust23THRUST_200600_302600_NS6detail15normal_iteratorINSA_10device_ptrIjEEEEPS6_NSA_18transform_iteratorINSB_9not_fun_tINSA_8identityIjEEEESF_NSA_11use_defaultESM_EENS0_5tupleIJSF_S6_EEENSO_IJSG_SG_EEES6_PlJS6_EEE10hipError_tPvRmT3_T4_T5_T6_T7_T9_mT8_P12ihipStream_tbDpT10_ENKUlT_T0_E_clISt17integral_constantIbLb1EES1A_IbLb0EEEEDaS16_S17_EUlS16_E_NS1_11comp_targetILNS1_3genE0ELNS1_11target_archE4294967295ELNS1_3gpuE0ELNS1_3repE0EEENS1_30default_config_static_selectorELNS0_4arch9wavefront6targetE0EEEvT1_,"axG",@progbits,_ZN7rocprim17ROCPRIM_400000_NS6detail17trampoline_kernelINS0_14default_configENS1_25partition_config_selectorILNS1_17partition_subalgoE5EjNS0_10empty_typeEbEEZZNS1_14partition_implILS5_5ELb0ES3_mN6thrust23THRUST_200600_302600_NS6detail15normal_iteratorINSA_10device_ptrIjEEEEPS6_NSA_18transform_iteratorINSB_9not_fun_tINSA_8identityIjEEEESF_NSA_11use_defaultESM_EENS0_5tupleIJSF_S6_EEENSO_IJSG_SG_EEES6_PlJS6_EEE10hipError_tPvRmT3_T4_T5_T6_T7_T9_mT8_P12ihipStream_tbDpT10_ENKUlT_T0_E_clISt17integral_constantIbLb1EES1A_IbLb0EEEEDaS16_S17_EUlS16_E_NS1_11comp_targetILNS1_3genE0ELNS1_11target_archE4294967295ELNS1_3gpuE0ELNS1_3repE0EEENS1_30default_config_static_selectorELNS0_4arch9wavefront6targetE0EEEvT1_,comdat
.Lfunc_end901:
	.size	_ZN7rocprim17ROCPRIM_400000_NS6detail17trampoline_kernelINS0_14default_configENS1_25partition_config_selectorILNS1_17partition_subalgoE5EjNS0_10empty_typeEbEEZZNS1_14partition_implILS5_5ELb0ES3_mN6thrust23THRUST_200600_302600_NS6detail15normal_iteratorINSA_10device_ptrIjEEEEPS6_NSA_18transform_iteratorINSB_9not_fun_tINSA_8identityIjEEEESF_NSA_11use_defaultESM_EENS0_5tupleIJSF_S6_EEENSO_IJSG_SG_EEES6_PlJS6_EEE10hipError_tPvRmT3_T4_T5_T6_T7_T9_mT8_P12ihipStream_tbDpT10_ENKUlT_T0_E_clISt17integral_constantIbLb1EES1A_IbLb0EEEEDaS16_S17_EUlS16_E_NS1_11comp_targetILNS1_3genE0ELNS1_11target_archE4294967295ELNS1_3gpuE0ELNS1_3repE0EEENS1_30default_config_static_selectorELNS0_4arch9wavefront6targetE0EEEvT1_, .Lfunc_end901-_ZN7rocprim17ROCPRIM_400000_NS6detail17trampoline_kernelINS0_14default_configENS1_25partition_config_selectorILNS1_17partition_subalgoE5EjNS0_10empty_typeEbEEZZNS1_14partition_implILS5_5ELb0ES3_mN6thrust23THRUST_200600_302600_NS6detail15normal_iteratorINSA_10device_ptrIjEEEEPS6_NSA_18transform_iteratorINSB_9not_fun_tINSA_8identityIjEEEESF_NSA_11use_defaultESM_EENS0_5tupleIJSF_S6_EEENSO_IJSG_SG_EEES6_PlJS6_EEE10hipError_tPvRmT3_T4_T5_T6_T7_T9_mT8_P12ihipStream_tbDpT10_ENKUlT_T0_E_clISt17integral_constantIbLb1EES1A_IbLb0EEEEDaS16_S17_EUlS16_E_NS1_11comp_targetILNS1_3genE0ELNS1_11target_archE4294967295ELNS1_3gpuE0ELNS1_3repE0EEENS1_30default_config_static_selectorELNS0_4arch9wavefront6targetE0EEEvT1_
                                        ; -- End function
	.set _ZN7rocprim17ROCPRIM_400000_NS6detail17trampoline_kernelINS0_14default_configENS1_25partition_config_selectorILNS1_17partition_subalgoE5EjNS0_10empty_typeEbEEZZNS1_14partition_implILS5_5ELb0ES3_mN6thrust23THRUST_200600_302600_NS6detail15normal_iteratorINSA_10device_ptrIjEEEEPS6_NSA_18transform_iteratorINSB_9not_fun_tINSA_8identityIjEEEESF_NSA_11use_defaultESM_EENS0_5tupleIJSF_S6_EEENSO_IJSG_SG_EEES6_PlJS6_EEE10hipError_tPvRmT3_T4_T5_T6_T7_T9_mT8_P12ihipStream_tbDpT10_ENKUlT_T0_E_clISt17integral_constantIbLb1EES1A_IbLb0EEEEDaS16_S17_EUlS16_E_NS1_11comp_targetILNS1_3genE0ELNS1_11target_archE4294967295ELNS1_3gpuE0ELNS1_3repE0EEENS1_30default_config_static_selectorELNS0_4arch9wavefront6targetE0EEEvT1_.num_vgpr, 0
	.set _ZN7rocprim17ROCPRIM_400000_NS6detail17trampoline_kernelINS0_14default_configENS1_25partition_config_selectorILNS1_17partition_subalgoE5EjNS0_10empty_typeEbEEZZNS1_14partition_implILS5_5ELb0ES3_mN6thrust23THRUST_200600_302600_NS6detail15normal_iteratorINSA_10device_ptrIjEEEEPS6_NSA_18transform_iteratorINSB_9not_fun_tINSA_8identityIjEEEESF_NSA_11use_defaultESM_EENS0_5tupleIJSF_S6_EEENSO_IJSG_SG_EEES6_PlJS6_EEE10hipError_tPvRmT3_T4_T5_T6_T7_T9_mT8_P12ihipStream_tbDpT10_ENKUlT_T0_E_clISt17integral_constantIbLb1EES1A_IbLb0EEEEDaS16_S17_EUlS16_E_NS1_11comp_targetILNS1_3genE0ELNS1_11target_archE4294967295ELNS1_3gpuE0ELNS1_3repE0EEENS1_30default_config_static_selectorELNS0_4arch9wavefront6targetE0EEEvT1_.num_agpr, 0
	.set _ZN7rocprim17ROCPRIM_400000_NS6detail17trampoline_kernelINS0_14default_configENS1_25partition_config_selectorILNS1_17partition_subalgoE5EjNS0_10empty_typeEbEEZZNS1_14partition_implILS5_5ELb0ES3_mN6thrust23THRUST_200600_302600_NS6detail15normal_iteratorINSA_10device_ptrIjEEEEPS6_NSA_18transform_iteratorINSB_9not_fun_tINSA_8identityIjEEEESF_NSA_11use_defaultESM_EENS0_5tupleIJSF_S6_EEENSO_IJSG_SG_EEES6_PlJS6_EEE10hipError_tPvRmT3_T4_T5_T6_T7_T9_mT8_P12ihipStream_tbDpT10_ENKUlT_T0_E_clISt17integral_constantIbLb1EES1A_IbLb0EEEEDaS16_S17_EUlS16_E_NS1_11comp_targetILNS1_3genE0ELNS1_11target_archE4294967295ELNS1_3gpuE0ELNS1_3repE0EEENS1_30default_config_static_selectorELNS0_4arch9wavefront6targetE0EEEvT1_.numbered_sgpr, 0
	.set _ZN7rocprim17ROCPRIM_400000_NS6detail17trampoline_kernelINS0_14default_configENS1_25partition_config_selectorILNS1_17partition_subalgoE5EjNS0_10empty_typeEbEEZZNS1_14partition_implILS5_5ELb0ES3_mN6thrust23THRUST_200600_302600_NS6detail15normal_iteratorINSA_10device_ptrIjEEEEPS6_NSA_18transform_iteratorINSB_9not_fun_tINSA_8identityIjEEEESF_NSA_11use_defaultESM_EENS0_5tupleIJSF_S6_EEENSO_IJSG_SG_EEES6_PlJS6_EEE10hipError_tPvRmT3_T4_T5_T6_T7_T9_mT8_P12ihipStream_tbDpT10_ENKUlT_T0_E_clISt17integral_constantIbLb1EES1A_IbLb0EEEEDaS16_S17_EUlS16_E_NS1_11comp_targetILNS1_3genE0ELNS1_11target_archE4294967295ELNS1_3gpuE0ELNS1_3repE0EEENS1_30default_config_static_selectorELNS0_4arch9wavefront6targetE0EEEvT1_.num_named_barrier, 0
	.set _ZN7rocprim17ROCPRIM_400000_NS6detail17trampoline_kernelINS0_14default_configENS1_25partition_config_selectorILNS1_17partition_subalgoE5EjNS0_10empty_typeEbEEZZNS1_14partition_implILS5_5ELb0ES3_mN6thrust23THRUST_200600_302600_NS6detail15normal_iteratorINSA_10device_ptrIjEEEEPS6_NSA_18transform_iteratorINSB_9not_fun_tINSA_8identityIjEEEESF_NSA_11use_defaultESM_EENS0_5tupleIJSF_S6_EEENSO_IJSG_SG_EEES6_PlJS6_EEE10hipError_tPvRmT3_T4_T5_T6_T7_T9_mT8_P12ihipStream_tbDpT10_ENKUlT_T0_E_clISt17integral_constantIbLb1EES1A_IbLb0EEEEDaS16_S17_EUlS16_E_NS1_11comp_targetILNS1_3genE0ELNS1_11target_archE4294967295ELNS1_3gpuE0ELNS1_3repE0EEENS1_30default_config_static_selectorELNS0_4arch9wavefront6targetE0EEEvT1_.private_seg_size, 0
	.set _ZN7rocprim17ROCPRIM_400000_NS6detail17trampoline_kernelINS0_14default_configENS1_25partition_config_selectorILNS1_17partition_subalgoE5EjNS0_10empty_typeEbEEZZNS1_14partition_implILS5_5ELb0ES3_mN6thrust23THRUST_200600_302600_NS6detail15normal_iteratorINSA_10device_ptrIjEEEEPS6_NSA_18transform_iteratorINSB_9not_fun_tINSA_8identityIjEEEESF_NSA_11use_defaultESM_EENS0_5tupleIJSF_S6_EEENSO_IJSG_SG_EEES6_PlJS6_EEE10hipError_tPvRmT3_T4_T5_T6_T7_T9_mT8_P12ihipStream_tbDpT10_ENKUlT_T0_E_clISt17integral_constantIbLb1EES1A_IbLb0EEEEDaS16_S17_EUlS16_E_NS1_11comp_targetILNS1_3genE0ELNS1_11target_archE4294967295ELNS1_3gpuE0ELNS1_3repE0EEENS1_30default_config_static_selectorELNS0_4arch9wavefront6targetE0EEEvT1_.uses_vcc, 0
	.set _ZN7rocprim17ROCPRIM_400000_NS6detail17trampoline_kernelINS0_14default_configENS1_25partition_config_selectorILNS1_17partition_subalgoE5EjNS0_10empty_typeEbEEZZNS1_14partition_implILS5_5ELb0ES3_mN6thrust23THRUST_200600_302600_NS6detail15normal_iteratorINSA_10device_ptrIjEEEEPS6_NSA_18transform_iteratorINSB_9not_fun_tINSA_8identityIjEEEESF_NSA_11use_defaultESM_EENS0_5tupleIJSF_S6_EEENSO_IJSG_SG_EEES6_PlJS6_EEE10hipError_tPvRmT3_T4_T5_T6_T7_T9_mT8_P12ihipStream_tbDpT10_ENKUlT_T0_E_clISt17integral_constantIbLb1EES1A_IbLb0EEEEDaS16_S17_EUlS16_E_NS1_11comp_targetILNS1_3genE0ELNS1_11target_archE4294967295ELNS1_3gpuE0ELNS1_3repE0EEENS1_30default_config_static_selectorELNS0_4arch9wavefront6targetE0EEEvT1_.uses_flat_scratch, 0
	.set _ZN7rocprim17ROCPRIM_400000_NS6detail17trampoline_kernelINS0_14default_configENS1_25partition_config_selectorILNS1_17partition_subalgoE5EjNS0_10empty_typeEbEEZZNS1_14partition_implILS5_5ELb0ES3_mN6thrust23THRUST_200600_302600_NS6detail15normal_iteratorINSA_10device_ptrIjEEEEPS6_NSA_18transform_iteratorINSB_9not_fun_tINSA_8identityIjEEEESF_NSA_11use_defaultESM_EENS0_5tupleIJSF_S6_EEENSO_IJSG_SG_EEES6_PlJS6_EEE10hipError_tPvRmT3_T4_T5_T6_T7_T9_mT8_P12ihipStream_tbDpT10_ENKUlT_T0_E_clISt17integral_constantIbLb1EES1A_IbLb0EEEEDaS16_S17_EUlS16_E_NS1_11comp_targetILNS1_3genE0ELNS1_11target_archE4294967295ELNS1_3gpuE0ELNS1_3repE0EEENS1_30default_config_static_selectorELNS0_4arch9wavefront6targetE0EEEvT1_.has_dyn_sized_stack, 0
	.set _ZN7rocprim17ROCPRIM_400000_NS6detail17trampoline_kernelINS0_14default_configENS1_25partition_config_selectorILNS1_17partition_subalgoE5EjNS0_10empty_typeEbEEZZNS1_14partition_implILS5_5ELb0ES3_mN6thrust23THRUST_200600_302600_NS6detail15normal_iteratorINSA_10device_ptrIjEEEEPS6_NSA_18transform_iteratorINSB_9not_fun_tINSA_8identityIjEEEESF_NSA_11use_defaultESM_EENS0_5tupleIJSF_S6_EEENSO_IJSG_SG_EEES6_PlJS6_EEE10hipError_tPvRmT3_T4_T5_T6_T7_T9_mT8_P12ihipStream_tbDpT10_ENKUlT_T0_E_clISt17integral_constantIbLb1EES1A_IbLb0EEEEDaS16_S17_EUlS16_E_NS1_11comp_targetILNS1_3genE0ELNS1_11target_archE4294967295ELNS1_3gpuE0ELNS1_3repE0EEENS1_30default_config_static_selectorELNS0_4arch9wavefront6targetE0EEEvT1_.has_recursion, 0
	.set _ZN7rocprim17ROCPRIM_400000_NS6detail17trampoline_kernelINS0_14default_configENS1_25partition_config_selectorILNS1_17partition_subalgoE5EjNS0_10empty_typeEbEEZZNS1_14partition_implILS5_5ELb0ES3_mN6thrust23THRUST_200600_302600_NS6detail15normal_iteratorINSA_10device_ptrIjEEEEPS6_NSA_18transform_iteratorINSB_9not_fun_tINSA_8identityIjEEEESF_NSA_11use_defaultESM_EENS0_5tupleIJSF_S6_EEENSO_IJSG_SG_EEES6_PlJS6_EEE10hipError_tPvRmT3_T4_T5_T6_T7_T9_mT8_P12ihipStream_tbDpT10_ENKUlT_T0_E_clISt17integral_constantIbLb1EES1A_IbLb0EEEEDaS16_S17_EUlS16_E_NS1_11comp_targetILNS1_3genE0ELNS1_11target_archE4294967295ELNS1_3gpuE0ELNS1_3repE0EEENS1_30default_config_static_selectorELNS0_4arch9wavefront6targetE0EEEvT1_.has_indirect_call, 0
	.section	.AMDGPU.csdata,"",@progbits
; Kernel info:
; codeLenInByte = 0
; TotalNumSgprs: 0
; NumVgprs: 0
; ScratchSize: 0
; MemoryBound: 0
; FloatMode: 240
; IeeeMode: 1
; LDSByteSize: 0 bytes/workgroup (compile time only)
; SGPRBlocks: 0
; VGPRBlocks: 0
; NumSGPRsForWavesPerEU: 1
; NumVGPRsForWavesPerEU: 1
; Occupancy: 16
; WaveLimiterHint : 0
; COMPUTE_PGM_RSRC2:SCRATCH_EN: 0
; COMPUTE_PGM_RSRC2:USER_SGPR: 2
; COMPUTE_PGM_RSRC2:TRAP_HANDLER: 0
; COMPUTE_PGM_RSRC2:TGID_X_EN: 1
; COMPUTE_PGM_RSRC2:TGID_Y_EN: 0
; COMPUTE_PGM_RSRC2:TGID_Z_EN: 0
; COMPUTE_PGM_RSRC2:TIDIG_COMP_CNT: 0
	.section	.text._ZN7rocprim17ROCPRIM_400000_NS6detail17trampoline_kernelINS0_14default_configENS1_25partition_config_selectorILNS1_17partition_subalgoE5EjNS0_10empty_typeEbEEZZNS1_14partition_implILS5_5ELb0ES3_mN6thrust23THRUST_200600_302600_NS6detail15normal_iteratorINSA_10device_ptrIjEEEEPS6_NSA_18transform_iteratorINSB_9not_fun_tINSA_8identityIjEEEESF_NSA_11use_defaultESM_EENS0_5tupleIJSF_S6_EEENSO_IJSG_SG_EEES6_PlJS6_EEE10hipError_tPvRmT3_T4_T5_T6_T7_T9_mT8_P12ihipStream_tbDpT10_ENKUlT_T0_E_clISt17integral_constantIbLb1EES1A_IbLb0EEEEDaS16_S17_EUlS16_E_NS1_11comp_targetILNS1_3genE5ELNS1_11target_archE942ELNS1_3gpuE9ELNS1_3repE0EEENS1_30default_config_static_selectorELNS0_4arch9wavefront6targetE0EEEvT1_,"axG",@progbits,_ZN7rocprim17ROCPRIM_400000_NS6detail17trampoline_kernelINS0_14default_configENS1_25partition_config_selectorILNS1_17partition_subalgoE5EjNS0_10empty_typeEbEEZZNS1_14partition_implILS5_5ELb0ES3_mN6thrust23THRUST_200600_302600_NS6detail15normal_iteratorINSA_10device_ptrIjEEEEPS6_NSA_18transform_iteratorINSB_9not_fun_tINSA_8identityIjEEEESF_NSA_11use_defaultESM_EENS0_5tupleIJSF_S6_EEENSO_IJSG_SG_EEES6_PlJS6_EEE10hipError_tPvRmT3_T4_T5_T6_T7_T9_mT8_P12ihipStream_tbDpT10_ENKUlT_T0_E_clISt17integral_constantIbLb1EES1A_IbLb0EEEEDaS16_S17_EUlS16_E_NS1_11comp_targetILNS1_3genE5ELNS1_11target_archE942ELNS1_3gpuE9ELNS1_3repE0EEENS1_30default_config_static_selectorELNS0_4arch9wavefront6targetE0EEEvT1_,comdat
	.protected	_ZN7rocprim17ROCPRIM_400000_NS6detail17trampoline_kernelINS0_14default_configENS1_25partition_config_selectorILNS1_17partition_subalgoE5EjNS0_10empty_typeEbEEZZNS1_14partition_implILS5_5ELb0ES3_mN6thrust23THRUST_200600_302600_NS6detail15normal_iteratorINSA_10device_ptrIjEEEEPS6_NSA_18transform_iteratorINSB_9not_fun_tINSA_8identityIjEEEESF_NSA_11use_defaultESM_EENS0_5tupleIJSF_S6_EEENSO_IJSG_SG_EEES6_PlJS6_EEE10hipError_tPvRmT3_T4_T5_T6_T7_T9_mT8_P12ihipStream_tbDpT10_ENKUlT_T0_E_clISt17integral_constantIbLb1EES1A_IbLb0EEEEDaS16_S17_EUlS16_E_NS1_11comp_targetILNS1_3genE5ELNS1_11target_archE942ELNS1_3gpuE9ELNS1_3repE0EEENS1_30default_config_static_selectorELNS0_4arch9wavefront6targetE0EEEvT1_ ; -- Begin function _ZN7rocprim17ROCPRIM_400000_NS6detail17trampoline_kernelINS0_14default_configENS1_25partition_config_selectorILNS1_17partition_subalgoE5EjNS0_10empty_typeEbEEZZNS1_14partition_implILS5_5ELb0ES3_mN6thrust23THRUST_200600_302600_NS6detail15normal_iteratorINSA_10device_ptrIjEEEEPS6_NSA_18transform_iteratorINSB_9not_fun_tINSA_8identityIjEEEESF_NSA_11use_defaultESM_EENS0_5tupleIJSF_S6_EEENSO_IJSG_SG_EEES6_PlJS6_EEE10hipError_tPvRmT3_T4_T5_T6_T7_T9_mT8_P12ihipStream_tbDpT10_ENKUlT_T0_E_clISt17integral_constantIbLb1EES1A_IbLb0EEEEDaS16_S17_EUlS16_E_NS1_11comp_targetILNS1_3genE5ELNS1_11target_archE942ELNS1_3gpuE9ELNS1_3repE0EEENS1_30default_config_static_selectorELNS0_4arch9wavefront6targetE0EEEvT1_
	.globl	_ZN7rocprim17ROCPRIM_400000_NS6detail17trampoline_kernelINS0_14default_configENS1_25partition_config_selectorILNS1_17partition_subalgoE5EjNS0_10empty_typeEbEEZZNS1_14partition_implILS5_5ELb0ES3_mN6thrust23THRUST_200600_302600_NS6detail15normal_iteratorINSA_10device_ptrIjEEEEPS6_NSA_18transform_iteratorINSB_9not_fun_tINSA_8identityIjEEEESF_NSA_11use_defaultESM_EENS0_5tupleIJSF_S6_EEENSO_IJSG_SG_EEES6_PlJS6_EEE10hipError_tPvRmT3_T4_T5_T6_T7_T9_mT8_P12ihipStream_tbDpT10_ENKUlT_T0_E_clISt17integral_constantIbLb1EES1A_IbLb0EEEEDaS16_S17_EUlS16_E_NS1_11comp_targetILNS1_3genE5ELNS1_11target_archE942ELNS1_3gpuE9ELNS1_3repE0EEENS1_30default_config_static_selectorELNS0_4arch9wavefront6targetE0EEEvT1_
	.p2align	8
	.type	_ZN7rocprim17ROCPRIM_400000_NS6detail17trampoline_kernelINS0_14default_configENS1_25partition_config_selectorILNS1_17partition_subalgoE5EjNS0_10empty_typeEbEEZZNS1_14partition_implILS5_5ELb0ES3_mN6thrust23THRUST_200600_302600_NS6detail15normal_iteratorINSA_10device_ptrIjEEEEPS6_NSA_18transform_iteratorINSB_9not_fun_tINSA_8identityIjEEEESF_NSA_11use_defaultESM_EENS0_5tupleIJSF_S6_EEENSO_IJSG_SG_EEES6_PlJS6_EEE10hipError_tPvRmT3_T4_T5_T6_T7_T9_mT8_P12ihipStream_tbDpT10_ENKUlT_T0_E_clISt17integral_constantIbLb1EES1A_IbLb0EEEEDaS16_S17_EUlS16_E_NS1_11comp_targetILNS1_3genE5ELNS1_11target_archE942ELNS1_3gpuE9ELNS1_3repE0EEENS1_30default_config_static_selectorELNS0_4arch9wavefront6targetE0EEEvT1_,@function
_ZN7rocprim17ROCPRIM_400000_NS6detail17trampoline_kernelINS0_14default_configENS1_25partition_config_selectorILNS1_17partition_subalgoE5EjNS0_10empty_typeEbEEZZNS1_14partition_implILS5_5ELb0ES3_mN6thrust23THRUST_200600_302600_NS6detail15normal_iteratorINSA_10device_ptrIjEEEEPS6_NSA_18transform_iteratorINSB_9not_fun_tINSA_8identityIjEEEESF_NSA_11use_defaultESM_EENS0_5tupleIJSF_S6_EEENSO_IJSG_SG_EEES6_PlJS6_EEE10hipError_tPvRmT3_T4_T5_T6_T7_T9_mT8_P12ihipStream_tbDpT10_ENKUlT_T0_E_clISt17integral_constantIbLb1EES1A_IbLb0EEEEDaS16_S17_EUlS16_E_NS1_11comp_targetILNS1_3genE5ELNS1_11target_archE942ELNS1_3gpuE9ELNS1_3repE0EEENS1_30default_config_static_selectorELNS0_4arch9wavefront6targetE0EEEvT1_: ; @_ZN7rocprim17ROCPRIM_400000_NS6detail17trampoline_kernelINS0_14default_configENS1_25partition_config_selectorILNS1_17partition_subalgoE5EjNS0_10empty_typeEbEEZZNS1_14partition_implILS5_5ELb0ES3_mN6thrust23THRUST_200600_302600_NS6detail15normal_iteratorINSA_10device_ptrIjEEEEPS6_NSA_18transform_iteratorINSB_9not_fun_tINSA_8identityIjEEEESF_NSA_11use_defaultESM_EENS0_5tupleIJSF_S6_EEENSO_IJSG_SG_EEES6_PlJS6_EEE10hipError_tPvRmT3_T4_T5_T6_T7_T9_mT8_P12ihipStream_tbDpT10_ENKUlT_T0_E_clISt17integral_constantIbLb1EES1A_IbLb0EEEEDaS16_S17_EUlS16_E_NS1_11comp_targetILNS1_3genE5ELNS1_11target_archE942ELNS1_3gpuE9ELNS1_3repE0EEENS1_30default_config_static_selectorELNS0_4arch9wavefront6targetE0EEEvT1_
; %bb.0:
	.section	.rodata,"a",@progbits
	.p2align	6, 0x0
	.amdhsa_kernel _ZN7rocprim17ROCPRIM_400000_NS6detail17trampoline_kernelINS0_14default_configENS1_25partition_config_selectorILNS1_17partition_subalgoE5EjNS0_10empty_typeEbEEZZNS1_14partition_implILS5_5ELb0ES3_mN6thrust23THRUST_200600_302600_NS6detail15normal_iteratorINSA_10device_ptrIjEEEEPS6_NSA_18transform_iteratorINSB_9not_fun_tINSA_8identityIjEEEESF_NSA_11use_defaultESM_EENS0_5tupleIJSF_S6_EEENSO_IJSG_SG_EEES6_PlJS6_EEE10hipError_tPvRmT3_T4_T5_T6_T7_T9_mT8_P12ihipStream_tbDpT10_ENKUlT_T0_E_clISt17integral_constantIbLb1EES1A_IbLb0EEEEDaS16_S17_EUlS16_E_NS1_11comp_targetILNS1_3genE5ELNS1_11target_archE942ELNS1_3gpuE9ELNS1_3repE0EEENS1_30default_config_static_selectorELNS0_4arch9wavefront6targetE0EEEvT1_
		.amdhsa_group_segment_fixed_size 0
		.amdhsa_private_segment_fixed_size 0
		.amdhsa_kernarg_size 120
		.amdhsa_user_sgpr_count 2
		.amdhsa_user_sgpr_dispatch_ptr 0
		.amdhsa_user_sgpr_queue_ptr 0
		.amdhsa_user_sgpr_kernarg_segment_ptr 1
		.amdhsa_user_sgpr_dispatch_id 0
		.amdhsa_user_sgpr_private_segment_size 0
		.amdhsa_wavefront_size32 1
		.amdhsa_uses_dynamic_stack 0
		.amdhsa_enable_private_segment 0
		.amdhsa_system_sgpr_workgroup_id_x 1
		.amdhsa_system_sgpr_workgroup_id_y 0
		.amdhsa_system_sgpr_workgroup_id_z 0
		.amdhsa_system_sgpr_workgroup_info 0
		.amdhsa_system_vgpr_workitem_id 0
		.amdhsa_next_free_vgpr 1
		.amdhsa_next_free_sgpr 1
		.amdhsa_reserve_vcc 0
		.amdhsa_float_round_mode_32 0
		.amdhsa_float_round_mode_16_64 0
		.amdhsa_float_denorm_mode_32 3
		.amdhsa_float_denorm_mode_16_64 3
		.amdhsa_fp16_overflow 0
		.amdhsa_workgroup_processor_mode 1
		.amdhsa_memory_ordered 1
		.amdhsa_forward_progress 1
		.amdhsa_inst_pref_size 0
		.amdhsa_round_robin_scheduling 0
		.amdhsa_exception_fp_ieee_invalid_op 0
		.amdhsa_exception_fp_denorm_src 0
		.amdhsa_exception_fp_ieee_div_zero 0
		.amdhsa_exception_fp_ieee_overflow 0
		.amdhsa_exception_fp_ieee_underflow 0
		.amdhsa_exception_fp_ieee_inexact 0
		.amdhsa_exception_int_div_zero 0
	.end_amdhsa_kernel
	.section	.text._ZN7rocprim17ROCPRIM_400000_NS6detail17trampoline_kernelINS0_14default_configENS1_25partition_config_selectorILNS1_17partition_subalgoE5EjNS0_10empty_typeEbEEZZNS1_14partition_implILS5_5ELb0ES3_mN6thrust23THRUST_200600_302600_NS6detail15normal_iteratorINSA_10device_ptrIjEEEEPS6_NSA_18transform_iteratorINSB_9not_fun_tINSA_8identityIjEEEESF_NSA_11use_defaultESM_EENS0_5tupleIJSF_S6_EEENSO_IJSG_SG_EEES6_PlJS6_EEE10hipError_tPvRmT3_T4_T5_T6_T7_T9_mT8_P12ihipStream_tbDpT10_ENKUlT_T0_E_clISt17integral_constantIbLb1EES1A_IbLb0EEEEDaS16_S17_EUlS16_E_NS1_11comp_targetILNS1_3genE5ELNS1_11target_archE942ELNS1_3gpuE9ELNS1_3repE0EEENS1_30default_config_static_selectorELNS0_4arch9wavefront6targetE0EEEvT1_,"axG",@progbits,_ZN7rocprim17ROCPRIM_400000_NS6detail17trampoline_kernelINS0_14default_configENS1_25partition_config_selectorILNS1_17partition_subalgoE5EjNS0_10empty_typeEbEEZZNS1_14partition_implILS5_5ELb0ES3_mN6thrust23THRUST_200600_302600_NS6detail15normal_iteratorINSA_10device_ptrIjEEEEPS6_NSA_18transform_iteratorINSB_9not_fun_tINSA_8identityIjEEEESF_NSA_11use_defaultESM_EENS0_5tupleIJSF_S6_EEENSO_IJSG_SG_EEES6_PlJS6_EEE10hipError_tPvRmT3_T4_T5_T6_T7_T9_mT8_P12ihipStream_tbDpT10_ENKUlT_T0_E_clISt17integral_constantIbLb1EES1A_IbLb0EEEEDaS16_S17_EUlS16_E_NS1_11comp_targetILNS1_3genE5ELNS1_11target_archE942ELNS1_3gpuE9ELNS1_3repE0EEENS1_30default_config_static_selectorELNS0_4arch9wavefront6targetE0EEEvT1_,comdat
.Lfunc_end902:
	.size	_ZN7rocprim17ROCPRIM_400000_NS6detail17trampoline_kernelINS0_14default_configENS1_25partition_config_selectorILNS1_17partition_subalgoE5EjNS0_10empty_typeEbEEZZNS1_14partition_implILS5_5ELb0ES3_mN6thrust23THRUST_200600_302600_NS6detail15normal_iteratorINSA_10device_ptrIjEEEEPS6_NSA_18transform_iteratorINSB_9not_fun_tINSA_8identityIjEEEESF_NSA_11use_defaultESM_EENS0_5tupleIJSF_S6_EEENSO_IJSG_SG_EEES6_PlJS6_EEE10hipError_tPvRmT3_T4_T5_T6_T7_T9_mT8_P12ihipStream_tbDpT10_ENKUlT_T0_E_clISt17integral_constantIbLb1EES1A_IbLb0EEEEDaS16_S17_EUlS16_E_NS1_11comp_targetILNS1_3genE5ELNS1_11target_archE942ELNS1_3gpuE9ELNS1_3repE0EEENS1_30default_config_static_selectorELNS0_4arch9wavefront6targetE0EEEvT1_, .Lfunc_end902-_ZN7rocprim17ROCPRIM_400000_NS6detail17trampoline_kernelINS0_14default_configENS1_25partition_config_selectorILNS1_17partition_subalgoE5EjNS0_10empty_typeEbEEZZNS1_14partition_implILS5_5ELb0ES3_mN6thrust23THRUST_200600_302600_NS6detail15normal_iteratorINSA_10device_ptrIjEEEEPS6_NSA_18transform_iteratorINSB_9not_fun_tINSA_8identityIjEEEESF_NSA_11use_defaultESM_EENS0_5tupleIJSF_S6_EEENSO_IJSG_SG_EEES6_PlJS6_EEE10hipError_tPvRmT3_T4_T5_T6_T7_T9_mT8_P12ihipStream_tbDpT10_ENKUlT_T0_E_clISt17integral_constantIbLb1EES1A_IbLb0EEEEDaS16_S17_EUlS16_E_NS1_11comp_targetILNS1_3genE5ELNS1_11target_archE942ELNS1_3gpuE9ELNS1_3repE0EEENS1_30default_config_static_selectorELNS0_4arch9wavefront6targetE0EEEvT1_
                                        ; -- End function
	.set _ZN7rocprim17ROCPRIM_400000_NS6detail17trampoline_kernelINS0_14default_configENS1_25partition_config_selectorILNS1_17partition_subalgoE5EjNS0_10empty_typeEbEEZZNS1_14partition_implILS5_5ELb0ES3_mN6thrust23THRUST_200600_302600_NS6detail15normal_iteratorINSA_10device_ptrIjEEEEPS6_NSA_18transform_iteratorINSB_9not_fun_tINSA_8identityIjEEEESF_NSA_11use_defaultESM_EENS0_5tupleIJSF_S6_EEENSO_IJSG_SG_EEES6_PlJS6_EEE10hipError_tPvRmT3_T4_T5_T6_T7_T9_mT8_P12ihipStream_tbDpT10_ENKUlT_T0_E_clISt17integral_constantIbLb1EES1A_IbLb0EEEEDaS16_S17_EUlS16_E_NS1_11comp_targetILNS1_3genE5ELNS1_11target_archE942ELNS1_3gpuE9ELNS1_3repE0EEENS1_30default_config_static_selectorELNS0_4arch9wavefront6targetE0EEEvT1_.num_vgpr, 0
	.set _ZN7rocprim17ROCPRIM_400000_NS6detail17trampoline_kernelINS0_14default_configENS1_25partition_config_selectorILNS1_17partition_subalgoE5EjNS0_10empty_typeEbEEZZNS1_14partition_implILS5_5ELb0ES3_mN6thrust23THRUST_200600_302600_NS6detail15normal_iteratorINSA_10device_ptrIjEEEEPS6_NSA_18transform_iteratorINSB_9not_fun_tINSA_8identityIjEEEESF_NSA_11use_defaultESM_EENS0_5tupleIJSF_S6_EEENSO_IJSG_SG_EEES6_PlJS6_EEE10hipError_tPvRmT3_T4_T5_T6_T7_T9_mT8_P12ihipStream_tbDpT10_ENKUlT_T0_E_clISt17integral_constantIbLb1EES1A_IbLb0EEEEDaS16_S17_EUlS16_E_NS1_11comp_targetILNS1_3genE5ELNS1_11target_archE942ELNS1_3gpuE9ELNS1_3repE0EEENS1_30default_config_static_selectorELNS0_4arch9wavefront6targetE0EEEvT1_.num_agpr, 0
	.set _ZN7rocprim17ROCPRIM_400000_NS6detail17trampoline_kernelINS0_14default_configENS1_25partition_config_selectorILNS1_17partition_subalgoE5EjNS0_10empty_typeEbEEZZNS1_14partition_implILS5_5ELb0ES3_mN6thrust23THRUST_200600_302600_NS6detail15normal_iteratorINSA_10device_ptrIjEEEEPS6_NSA_18transform_iteratorINSB_9not_fun_tINSA_8identityIjEEEESF_NSA_11use_defaultESM_EENS0_5tupleIJSF_S6_EEENSO_IJSG_SG_EEES6_PlJS6_EEE10hipError_tPvRmT3_T4_T5_T6_T7_T9_mT8_P12ihipStream_tbDpT10_ENKUlT_T0_E_clISt17integral_constantIbLb1EES1A_IbLb0EEEEDaS16_S17_EUlS16_E_NS1_11comp_targetILNS1_3genE5ELNS1_11target_archE942ELNS1_3gpuE9ELNS1_3repE0EEENS1_30default_config_static_selectorELNS0_4arch9wavefront6targetE0EEEvT1_.numbered_sgpr, 0
	.set _ZN7rocprim17ROCPRIM_400000_NS6detail17trampoline_kernelINS0_14default_configENS1_25partition_config_selectorILNS1_17partition_subalgoE5EjNS0_10empty_typeEbEEZZNS1_14partition_implILS5_5ELb0ES3_mN6thrust23THRUST_200600_302600_NS6detail15normal_iteratorINSA_10device_ptrIjEEEEPS6_NSA_18transform_iteratorINSB_9not_fun_tINSA_8identityIjEEEESF_NSA_11use_defaultESM_EENS0_5tupleIJSF_S6_EEENSO_IJSG_SG_EEES6_PlJS6_EEE10hipError_tPvRmT3_T4_T5_T6_T7_T9_mT8_P12ihipStream_tbDpT10_ENKUlT_T0_E_clISt17integral_constantIbLb1EES1A_IbLb0EEEEDaS16_S17_EUlS16_E_NS1_11comp_targetILNS1_3genE5ELNS1_11target_archE942ELNS1_3gpuE9ELNS1_3repE0EEENS1_30default_config_static_selectorELNS0_4arch9wavefront6targetE0EEEvT1_.num_named_barrier, 0
	.set _ZN7rocprim17ROCPRIM_400000_NS6detail17trampoline_kernelINS0_14default_configENS1_25partition_config_selectorILNS1_17partition_subalgoE5EjNS0_10empty_typeEbEEZZNS1_14partition_implILS5_5ELb0ES3_mN6thrust23THRUST_200600_302600_NS6detail15normal_iteratorINSA_10device_ptrIjEEEEPS6_NSA_18transform_iteratorINSB_9not_fun_tINSA_8identityIjEEEESF_NSA_11use_defaultESM_EENS0_5tupleIJSF_S6_EEENSO_IJSG_SG_EEES6_PlJS6_EEE10hipError_tPvRmT3_T4_T5_T6_T7_T9_mT8_P12ihipStream_tbDpT10_ENKUlT_T0_E_clISt17integral_constantIbLb1EES1A_IbLb0EEEEDaS16_S17_EUlS16_E_NS1_11comp_targetILNS1_3genE5ELNS1_11target_archE942ELNS1_3gpuE9ELNS1_3repE0EEENS1_30default_config_static_selectorELNS0_4arch9wavefront6targetE0EEEvT1_.private_seg_size, 0
	.set _ZN7rocprim17ROCPRIM_400000_NS6detail17trampoline_kernelINS0_14default_configENS1_25partition_config_selectorILNS1_17partition_subalgoE5EjNS0_10empty_typeEbEEZZNS1_14partition_implILS5_5ELb0ES3_mN6thrust23THRUST_200600_302600_NS6detail15normal_iteratorINSA_10device_ptrIjEEEEPS6_NSA_18transform_iteratorINSB_9not_fun_tINSA_8identityIjEEEESF_NSA_11use_defaultESM_EENS0_5tupleIJSF_S6_EEENSO_IJSG_SG_EEES6_PlJS6_EEE10hipError_tPvRmT3_T4_T5_T6_T7_T9_mT8_P12ihipStream_tbDpT10_ENKUlT_T0_E_clISt17integral_constantIbLb1EES1A_IbLb0EEEEDaS16_S17_EUlS16_E_NS1_11comp_targetILNS1_3genE5ELNS1_11target_archE942ELNS1_3gpuE9ELNS1_3repE0EEENS1_30default_config_static_selectorELNS0_4arch9wavefront6targetE0EEEvT1_.uses_vcc, 0
	.set _ZN7rocprim17ROCPRIM_400000_NS6detail17trampoline_kernelINS0_14default_configENS1_25partition_config_selectorILNS1_17partition_subalgoE5EjNS0_10empty_typeEbEEZZNS1_14partition_implILS5_5ELb0ES3_mN6thrust23THRUST_200600_302600_NS6detail15normal_iteratorINSA_10device_ptrIjEEEEPS6_NSA_18transform_iteratorINSB_9not_fun_tINSA_8identityIjEEEESF_NSA_11use_defaultESM_EENS0_5tupleIJSF_S6_EEENSO_IJSG_SG_EEES6_PlJS6_EEE10hipError_tPvRmT3_T4_T5_T6_T7_T9_mT8_P12ihipStream_tbDpT10_ENKUlT_T0_E_clISt17integral_constantIbLb1EES1A_IbLb0EEEEDaS16_S17_EUlS16_E_NS1_11comp_targetILNS1_3genE5ELNS1_11target_archE942ELNS1_3gpuE9ELNS1_3repE0EEENS1_30default_config_static_selectorELNS0_4arch9wavefront6targetE0EEEvT1_.uses_flat_scratch, 0
	.set _ZN7rocprim17ROCPRIM_400000_NS6detail17trampoline_kernelINS0_14default_configENS1_25partition_config_selectorILNS1_17partition_subalgoE5EjNS0_10empty_typeEbEEZZNS1_14partition_implILS5_5ELb0ES3_mN6thrust23THRUST_200600_302600_NS6detail15normal_iteratorINSA_10device_ptrIjEEEEPS6_NSA_18transform_iteratorINSB_9not_fun_tINSA_8identityIjEEEESF_NSA_11use_defaultESM_EENS0_5tupleIJSF_S6_EEENSO_IJSG_SG_EEES6_PlJS6_EEE10hipError_tPvRmT3_T4_T5_T6_T7_T9_mT8_P12ihipStream_tbDpT10_ENKUlT_T0_E_clISt17integral_constantIbLb1EES1A_IbLb0EEEEDaS16_S17_EUlS16_E_NS1_11comp_targetILNS1_3genE5ELNS1_11target_archE942ELNS1_3gpuE9ELNS1_3repE0EEENS1_30default_config_static_selectorELNS0_4arch9wavefront6targetE0EEEvT1_.has_dyn_sized_stack, 0
	.set _ZN7rocprim17ROCPRIM_400000_NS6detail17trampoline_kernelINS0_14default_configENS1_25partition_config_selectorILNS1_17partition_subalgoE5EjNS0_10empty_typeEbEEZZNS1_14partition_implILS5_5ELb0ES3_mN6thrust23THRUST_200600_302600_NS6detail15normal_iteratorINSA_10device_ptrIjEEEEPS6_NSA_18transform_iteratorINSB_9not_fun_tINSA_8identityIjEEEESF_NSA_11use_defaultESM_EENS0_5tupleIJSF_S6_EEENSO_IJSG_SG_EEES6_PlJS6_EEE10hipError_tPvRmT3_T4_T5_T6_T7_T9_mT8_P12ihipStream_tbDpT10_ENKUlT_T0_E_clISt17integral_constantIbLb1EES1A_IbLb0EEEEDaS16_S17_EUlS16_E_NS1_11comp_targetILNS1_3genE5ELNS1_11target_archE942ELNS1_3gpuE9ELNS1_3repE0EEENS1_30default_config_static_selectorELNS0_4arch9wavefront6targetE0EEEvT1_.has_recursion, 0
	.set _ZN7rocprim17ROCPRIM_400000_NS6detail17trampoline_kernelINS0_14default_configENS1_25partition_config_selectorILNS1_17partition_subalgoE5EjNS0_10empty_typeEbEEZZNS1_14partition_implILS5_5ELb0ES3_mN6thrust23THRUST_200600_302600_NS6detail15normal_iteratorINSA_10device_ptrIjEEEEPS6_NSA_18transform_iteratorINSB_9not_fun_tINSA_8identityIjEEEESF_NSA_11use_defaultESM_EENS0_5tupleIJSF_S6_EEENSO_IJSG_SG_EEES6_PlJS6_EEE10hipError_tPvRmT3_T4_T5_T6_T7_T9_mT8_P12ihipStream_tbDpT10_ENKUlT_T0_E_clISt17integral_constantIbLb1EES1A_IbLb0EEEEDaS16_S17_EUlS16_E_NS1_11comp_targetILNS1_3genE5ELNS1_11target_archE942ELNS1_3gpuE9ELNS1_3repE0EEENS1_30default_config_static_selectorELNS0_4arch9wavefront6targetE0EEEvT1_.has_indirect_call, 0
	.section	.AMDGPU.csdata,"",@progbits
; Kernel info:
; codeLenInByte = 0
; TotalNumSgprs: 0
; NumVgprs: 0
; ScratchSize: 0
; MemoryBound: 0
; FloatMode: 240
; IeeeMode: 1
; LDSByteSize: 0 bytes/workgroup (compile time only)
; SGPRBlocks: 0
; VGPRBlocks: 0
; NumSGPRsForWavesPerEU: 1
; NumVGPRsForWavesPerEU: 1
; Occupancy: 16
; WaveLimiterHint : 0
; COMPUTE_PGM_RSRC2:SCRATCH_EN: 0
; COMPUTE_PGM_RSRC2:USER_SGPR: 2
; COMPUTE_PGM_RSRC2:TRAP_HANDLER: 0
; COMPUTE_PGM_RSRC2:TGID_X_EN: 1
; COMPUTE_PGM_RSRC2:TGID_Y_EN: 0
; COMPUTE_PGM_RSRC2:TGID_Z_EN: 0
; COMPUTE_PGM_RSRC2:TIDIG_COMP_CNT: 0
	.section	.text._ZN7rocprim17ROCPRIM_400000_NS6detail17trampoline_kernelINS0_14default_configENS1_25partition_config_selectorILNS1_17partition_subalgoE5EjNS0_10empty_typeEbEEZZNS1_14partition_implILS5_5ELb0ES3_mN6thrust23THRUST_200600_302600_NS6detail15normal_iteratorINSA_10device_ptrIjEEEEPS6_NSA_18transform_iteratorINSB_9not_fun_tINSA_8identityIjEEEESF_NSA_11use_defaultESM_EENS0_5tupleIJSF_S6_EEENSO_IJSG_SG_EEES6_PlJS6_EEE10hipError_tPvRmT3_T4_T5_T6_T7_T9_mT8_P12ihipStream_tbDpT10_ENKUlT_T0_E_clISt17integral_constantIbLb1EES1A_IbLb0EEEEDaS16_S17_EUlS16_E_NS1_11comp_targetILNS1_3genE4ELNS1_11target_archE910ELNS1_3gpuE8ELNS1_3repE0EEENS1_30default_config_static_selectorELNS0_4arch9wavefront6targetE0EEEvT1_,"axG",@progbits,_ZN7rocprim17ROCPRIM_400000_NS6detail17trampoline_kernelINS0_14default_configENS1_25partition_config_selectorILNS1_17partition_subalgoE5EjNS0_10empty_typeEbEEZZNS1_14partition_implILS5_5ELb0ES3_mN6thrust23THRUST_200600_302600_NS6detail15normal_iteratorINSA_10device_ptrIjEEEEPS6_NSA_18transform_iteratorINSB_9not_fun_tINSA_8identityIjEEEESF_NSA_11use_defaultESM_EENS0_5tupleIJSF_S6_EEENSO_IJSG_SG_EEES6_PlJS6_EEE10hipError_tPvRmT3_T4_T5_T6_T7_T9_mT8_P12ihipStream_tbDpT10_ENKUlT_T0_E_clISt17integral_constantIbLb1EES1A_IbLb0EEEEDaS16_S17_EUlS16_E_NS1_11comp_targetILNS1_3genE4ELNS1_11target_archE910ELNS1_3gpuE8ELNS1_3repE0EEENS1_30default_config_static_selectorELNS0_4arch9wavefront6targetE0EEEvT1_,comdat
	.protected	_ZN7rocprim17ROCPRIM_400000_NS6detail17trampoline_kernelINS0_14default_configENS1_25partition_config_selectorILNS1_17partition_subalgoE5EjNS0_10empty_typeEbEEZZNS1_14partition_implILS5_5ELb0ES3_mN6thrust23THRUST_200600_302600_NS6detail15normal_iteratorINSA_10device_ptrIjEEEEPS6_NSA_18transform_iteratorINSB_9not_fun_tINSA_8identityIjEEEESF_NSA_11use_defaultESM_EENS0_5tupleIJSF_S6_EEENSO_IJSG_SG_EEES6_PlJS6_EEE10hipError_tPvRmT3_T4_T5_T6_T7_T9_mT8_P12ihipStream_tbDpT10_ENKUlT_T0_E_clISt17integral_constantIbLb1EES1A_IbLb0EEEEDaS16_S17_EUlS16_E_NS1_11comp_targetILNS1_3genE4ELNS1_11target_archE910ELNS1_3gpuE8ELNS1_3repE0EEENS1_30default_config_static_selectorELNS0_4arch9wavefront6targetE0EEEvT1_ ; -- Begin function _ZN7rocprim17ROCPRIM_400000_NS6detail17trampoline_kernelINS0_14default_configENS1_25partition_config_selectorILNS1_17partition_subalgoE5EjNS0_10empty_typeEbEEZZNS1_14partition_implILS5_5ELb0ES3_mN6thrust23THRUST_200600_302600_NS6detail15normal_iteratorINSA_10device_ptrIjEEEEPS6_NSA_18transform_iteratorINSB_9not_fun_tINSA_8identityIjEEEESF_NSA_11use_defaultESM_EENS0_5tupleIJSF_S6_EEENSO_IJSG_SG_EEES6_PlJS6_EEE10hipError_tPvRmT3_T4_T5_T6_T7_T9_mT8_P12ihipStream_tbDpT10_ENKUlT_T0_E_clISt17integral_constantIbLb1EES1A_IbLb0EEEEDaS16_S17_EUlS16_E_NS1_11comp_targetILNS1_3genE4ELNS1_11target_archE910ELNS1_3gpuE8ELNS1_3repE0EEENS1_30default_config_static_selectorELNS0_4arch9wavefront6targetE0EEEvT1_
	.globl	_ZN7rocprim17ROCPRIM_400000_NS6detail17trampoline_kernelINS0_14default_configENS1_25partition_config_selectorILNS1_17partition_subalgoE5EjNS0_10empty_typeEbEEZZNS1_14partition_implILS5_5ELb0ES3_mN6thrust23THRUST_200600_302600_NS6detail15normal_iteratorINSA_10device_ptrIjEEEEPS6_NSA_18transform_iteratorINSB_9not_fun_tINSA_8identityIjEEEESF_NSA_11use_defaultESM_EENS0_5tupleIJSF_S6_EEENSO_IJSG_SG_EEES6_PlJS6_EEE10hipError_tPvRmT3_T4_T5_T6_T7_T9_mT8_P12ihipStream_tbDpT10_ENKUlT_T0_E_clISt17integral_constantIbLb1EES1A_IbLb0EEEEDaS16_S17_EUlS16_E_NS1_11comp_targetILNS1_3genE4ELNS1_11target_archE910ELNS1_3gpuE8ELNS1_3repE0EEENS1_30default_config_static_selectorELNS0_4arch9wavefront6targetE0EEEvT1_
	.p2align	8
	.type	_ZN7rocprim17ROCPRIM_400000_NS6detail17trampoline_kernelINS0_14default_configENS1_25partition_config_selectorILNS1_17partition_subalgoE5EjNS0_10empty_typeEbEEZZNS1_14partition_implILS5_5ELb0ES3_mN6thrust23THRUST_200600_302600_NS6detail15normal_iteratorINSA_10device_ptrIjEEEEPS6_NSA_18transform_iteratorINSB_9not_fun_tINSA_8identityIjEEEESF_NSA_11use_defaultESM_EENS0_5tupleIJSF_S6_EEENSO_IJSG_SG_EEES6_PlJS6_EEE10hipError_tPvRmT3_T4_T5_T6_T7_T9_mT8_P12ihipStream_tbDpT10_ENKUlT_T0_E_clISt17integral_constantIbLb1EES1A_IbLb0EEEEDaS16_S17_EUlS16_E_NS1_11comp_targetILNS1_3genE4ELNS1_11target_archE910ELNS1_3gpuE8ELNS1_3repE0EEENS1_30default_config_static_selectorELNS0_4arch9wavefront6targetE0EEEvT1_,@function
_ZN7rocprim17ROCPRIM_400000_NS6detail17trampoline_kernelINS0_14default_configENS1_25partition_config_selectorILNS1_17partition_subalgoE5EjNS0_10empty_typeEbEEZZNS1_14partition_implILS5_5ELb0ES3_mN6thrust23THRUST_200600_302600_NS6detail15normal_iteratorINSA_10device_ptrIjEEEEPS6_NSA_18transform_iteratorINSB_9not_fun_tINSA_8identityIjEEEESF_NSA_11use_defaultESM_EENS0_5tupleIJSF_S6_EEENSO_IJSG_SG_EEES6_PlJS6_EEE10hipError_tPvRmT3_T4_T5_T6_T7_T9_mT8_P12ihipStream_tbDpT10_ENKUlT_T0_E_clISt17integral_constantIbLb1EES1A_IbLb0EEEEDaS16_S17_EUlS16_E_NS1_11comp_targetILNS1_3genE4ELNS1_11target_archE910ELNS1_3gpuE8ELNS1_3repE0EEENS1_30default_config_static_selectorELNS0_4arch9wavefront6targetE0EEEvT1_: ; @_ZN7rocprim17ROCPRIM_400000_NS6detail17trampoline_kernelINS0_14default_configENS1_25partition_config_selectorILNS1_17partition_subalgoE5EjNS0_10empty_typeEbEEZZNS1_14partition_implILS5_5ELb0ES3_mN6thrust23THRUST_200600_302600_NS6detail15normal_iteratorINSA_10device_ptrIjEEEEPS6_NSA_18transform_iteratorINSB_9not_fun_tINSA_8identityIjEEEESF_NSA_11use_defaultESM_EENS0_5tupleIJSF_S6_EEENSO_IJSG_SG_EEES6_PlJS6_EEE10hipError_tPvRmT3_T4_T5_T6_T7_T9_mT8_P12ihipStream_tbDpT10_ENKUlT_T0_E_clISt17integral_constantIbLb1EES1A_IbLb0EEEEDaS16_S17_EUlS16_E_NS1_11comp_targetILNS1_3genE4ELNS1_11target_archE910ELNS1_3gpuE8ELNS1_3repE0EEENS1_30default_config_static_selectorELNS0_4arch9wavefront6targetE0EEEvT1_
; %bb.0:
	.section	.rodata,"a",@progbits
	.p2align	6, 0x0
	.amdhsa_kernel _ZN7rocprim17ROCPRIM_400000_NS6detail17trampoline_kernelINS0_14default_configENS1_25partition_config_selectorILNS1_17partition_subalgoE5EjNS0_10empty_typeEbEEZZNS1_14partition_implILS5_5ELb0ES3_mN6thrust23THRUST_200600_302600_NS6detail15normal_iteratorINSA_10device_ptrIjEEEEPS6_NSA_18transform_iteratorINSB_9not_fun_tINSA_8identityIjEEEESF_NSA_11use_defaultESM_EENS0_5tupleIJSF_S6_EEENSO_IJSG_SG_EEES6_PlJS6_EEE10hipError_tPvRmT3_T4_T5_T6_T7_T9_mT8_P12ihipStream_tbDpT10_ENKUlT_T0_E_clISt17integral_constantIbLb1EES1A_IbLb0EEEEDaS16_S17_EUlS16_E_NS1_11comp_targetILNS1_3genE4ELNS1_11target_archE910ELNS1_3gpuE8ELNS1_3repE0EEENS1_30default_config_static_selectorELNS0_4arch9wavefront6targetE0EEEvT1_
		.amdhsa_group_segment_fixed_size 0
		.amdhsa_private_segment_fixed_size 0
		.amdhsa_kernarg_size 120
		.amdhsa_user_sgpr_count 2
		.amdhsa_user_sgpr_dispatch_ptr 0
		.amdhsa_user_sgpr_queue_ptr 0
		.amdhsa_user_sgpr_kernarg_segment_ptr 1
		.amdhsa_user_sgpr_dispatch_id 0
		.amdhsa_user_sgpr_private_segment_size 0
		.amdhsa_wavefront_size32 1
		.amdhsa_uses_dynamic_stack 0
		.amdhsa_enable_private_segment 0
		.amdhsa_system_sgpr_workgroup_id_x 1
		.amdhsa_system_sgpr_workgroup_id_y 0
		.amdhsa_system_sgpr_workgroup_id_z 0
		.amdhsa_system_sgpr_workgroup_info 0
		.amdhsa_system_vgpr_workitem_id 0
		.amdhsa_next_free_vgpr 1
		.amdhsa_next_free_sgpr 1
		.amdhsa_reserve_vcc 0
		.amdhsa_float_round_mode_32 0
		.amdhsa_float_round_mode_16_64 0
		.amdhsa_float_denorm_mode_32 3
		.amdhsa_float_denorm_mode_16_64 3
		.amdhsa_fp16_overflow 0
		.amdhsa_workgroup_processor_mode 1
		.amdhsa_memory_ordered 1
		.amdhsa_forward_progress 1
		.amdhsa_inst_pref_size 0
		.amdhsa_round_robin_scheduling 0
		.amdhsa_exception_fp_ieee_invalid_op 0
		.amdhsa_exception_fp_denorm_src 0
		.amdhsa_exception_fp_ieee_div_zero 0
		.amdhsa_exception_fp_ieee_overflow 0
		.amdhsa_exception_fp_ieee_underflow 0
		.amdhsa_exception_fp_ieee_inexact 0
		.amdhsa_exception_int_div_zero 0
	.end_amdhsa_kernel
	.section	.text._ZN7rocprim17ROCPRIM_400000_NS6detail17trampoline_kernelINS0_14default_configENS1_25partition_config_selectorILNS1_17partition_subalgoE5EjNS0_10empty_typeEbEEZZNS1_14partition_implILS5_5ELb0ES3_mN6thrust23THRUST_200600_302600_NS6detail15normal_iteratorINSA_10device_ptrIjEEEEPS6_NSA_18transform_iteratorINSB_9not_fun_tINSA_8identityIjEEEESF_NSA_11use_defaultESM_EENS0_5tupleIJSF_S6_EEENSO_IJSG_SG_EEES6_PlJS6_EEE10hipError_tPvRmT3_T4_T5_T6_T7_T9_mT8_P12ihipStream_tbDpT10_ENKUlT_T0_E_clISt17integral_constantIbLb1EES1A_IbLb0EEEEDaS16_S17_EUlS16_E_NS1_11comp_targetILNS1_3genE4ELNS1_11target_archE910ELNS1_3gpuE8ELNS1_3repE0EEENS1_30default_config_static_selectorELNS0_4arch9wavefront6targetE0EEEvT1_,"axG",@progbits,_ZN7rocprim17ROCPRIM_400000_NS6detail17trampoline_kernelINS0_14default_configENS1_25partition_config_selectorILNS1_17partition_subalgoE5EjNS0_10empty_typeEbEEZZNS1_14partition_implILS5_5ELb0ES3_mN6thrust23THRUST_200600_302600_NS6detail15normal_iteratorINSA_10device_ptrIjEEEEPS6_NSA_18transform_iteratorINSB_9not_fun_tINSA_8identityIjEEEESF_NSA_11use_defaultESM_EENS0_5tupleIJSF_S6_EEENSO_IJSG_SG_EEES6_PlJS6_EEE10hipError_tPvRmT3_T4_T5_T6_T7_T9_mT8_P12ihipStream_tbDpT10_ENKUlT_T0_E_clISt17integral_constantIbLb1EES1A_IbLb0EEEEDaS16_S17_EUlS16_E_NS1_11comp_targetILNS1_3genE4ELNS1_11target_archE910ELNS1_3gpuE8ELNS1_3repE0EEENS1_30default_config_static_selectorELNS0_4arch9wavefront6targetE0EEEvT1_,comdat
.Lfunc_end903:
	.size	_ZN7rocprim17ROCPRIM_400000_NS6detail17trampoline_kernelINS0_14default_configENS1_25partition_config_selectorILNS1_17partition_subalgoE5EjNS0_10empty_typeEbEEZZNS1_14partition_implILS5_5ELb0ES3_mN6thrust23THRUST_200600_302600_NS6detail15normal_iteratorINSA_10device_ptrIjEEEEPS6_NSA_18transform_iteratorINSB_9not_fun_tINSA_8identityIjEEEESF_NSA_11use_defaultESM_EENS0_5tupleIJSF_S6_EEENSO_IJSG_SG_EEES6_PlJS6_EEE10hipError_tPvRmT3_T4_T5_T6_T7_T9_mT8_P12ihipStream_tbDpT10_ENKUlT_T0_E_clISt17integral_constantIbLb1EES1A_IbLb0EEEEDaS16_S17_EUlS16_E_NS1_11comp_targetILNS1_3genE4ELNS1_11target_archE910ELNS1_3gpuE8ELNS1_3repE0EEENS1_30default_config_static_selectorELNS0_4arch9wavefront6targetE0EEEvT1_, .Lfunc_end903-_ZN7rocprim17ROCPRIM_400000_NS6detail17trampoline_kernelINS0_14default_configENS1_25partition_config_selectorILNS1_17partition_subalgoE5EjNS0_10empty_typeEbEEZZNS1_14partition_implILS5_5ELb0ES3_mN6thrust23THRUST_200600_302600_NS6detail15normal_iteratorINSA_10device_ptrIjEEEEPS6_NSA_18transform_iteratorINSB_9not_fun_tINSA_8identityIjEEEESF_NSA_11use_defaultESM_EENS0_5tupleIJSF_S6_EEENSO_IJSG_SG_EEES6_PlJS6_EEE10hipError_tPvRmT3_T4_T5_T6_T7_T9_mT8_P12ihipStream_tbDpT10_ENKUlT_T0_E_clISt17integral_constantIbLb1EES1A_IbLb0EEEEDaS16_S17_EUlS16_E_NS1_11comp_targetILNS1_3genE4ELNS1_11target_archE910ELNS1_3gpuE8ELNS1_3repE0EEENS1_30default_config_static_selectorELNS0_4arch9wavefront6targetE0EEEvT1_
                                        ; -- End function
	.set _ZN7rocprim17ROCPRIM_400000_NS6detail17trampoline_kernelINS0_14default_configENS1_25partition_config_selectorILNS1_17partition_subalgoE5EjNS0_10empty_typeEbEEZZNS1_14partition_implILS5_5ELb0ES3_mN6thrust23THRUST_200600_302600_NS6detail15normal_iteratorINSA_10device_ptrIjEEEEPS6_NSA_18transform_iteratorINSB_9not_fun_tINSA_8identityIjEEEESF_NSA_11use_defaultESM_EENS0_5tupleIJSF_S6_EEENSO_IJSG_SG_EEES6_PlJS6_EEE10hipError_tPvRmT3_T4_T5_T6_T7_T9_mT8_P12ihipStream_tbDpT10_ENKUlT_T0_E_clISt17integral_constantIbLb1EES1A_IbLb0EEEEDaS16_S17_EUlS16_E_NS1_11comp_targetILNS1_3genE4ELNS1_11target_archE910ELNS1_3gpuE8ELNS1_3repE0EEENS1_30default_config_static_selectorELNS0_4arch9wavefront6targetE0EEEvT1_.num_vgpr, 0
	.set _ZN7rocprim17ROCPRIM_400000_NS6detail17trampoline_kernelINS0_14default_configENS1_25partition_config_selectorILNS1_17partition_subalgoE5EjNS0_10empty_typeEbEEZZNS1_14partition_implILS5_5ELb0ES3_mN6thrust23THRUST_200600_302600_NS6detail15normal_iteratorINSA_10device_ptrIjEEEEPS6_NSA_18transform_iteratorINSB_9not_fun_tINSA_8identityIjEEEESF_NSA_11use_defaultESM_EENS0_5tupleIJSF_S6_EEENSO_IJSG_SG_EEES6_PlJS6_EEE10hipError_tPvRmT3_T4_T5_T6_T7_T9_mT8_P12ihipStream_tbDpT10_ENKUlT_T0_E_clISt17integral_constantIbLb1EES1A_IbLb0EEEEDaS16_S17_EUlS16_E_NS1_11comp_targetILNS1_3genE4ELNS1_11target_archE910ELNS1_3gpuE8ELNS1_3repE0EEENS1_30default_config_static_selectorELNS0_4arch9wavefront6targetE0EEEvT1_.num_agpr, 0
	.set _ZN7rocprim17ROCPRIM_400000_NS6detail17trampoline_kernelINS0_14default_configENS1_25partition_config_selectorILNS1_17partition_subalgoE5EjNS0_10empty_typeEbEEZZNS1_14partition_implILS5_5ELb0ES3_mN6thrust23THRUST_200600_302600_NS6detail15normal_iteratorINSA_10device_ptrIjEEEEPS6_NSA_18transform_iteratorINSB_9not_fun_tINSA_8identityIjEEEESF_NSA_11use_defaultESM_EENS0_5tupleIJSF_S6_EEENSO_IJSG_SG_EEES6_PlJS6_EEE10hipError_tPvRmT3_T4_T5_T6_T7_T9_mT8_P12ihipStream_tbDpT10_ENKUlT_T0_E_clISt17integral_constantIbLb1EES1A_IbLb0EEEEDaS16_S17_EUlS16_E_NS1_11comp_targetILNS1_3genE4ELNS1_11target_archE910ELNS1_3gpuE8ELNS1_3repE0EEENS1_30default_config_static_selectorELNS0_4arch9wavefront6targetE0EEEvT1_.numbered_sgpr, 0
	.set _ZN7rocprim17ROCPRIM_400000_NS6detail17trampoline_kernelINS0_14default_configENS1_25partition_config_selectorILNS1_17partition_subalgoE5EjNS0_10empty_typeEbEEZZNS1_14partition_implILS5_5ELb0ES3_mN6thrust23THRUST_200600_302600_NS6detail15normal_iteratorINSA_10device_ptrIjEEEEPS6_NSA_18transform_iteratorINSB_9not_fun_tINSA_8identityIjEEEESF_NSA_11use_defaultESM_EENS0_5tupleIJSF_S6_EEENSO_IJSG_SG_EEES6_PlJS6_EEE10hipError_tPvRmT3_T4_T5_T6_T7_T9_mT8_P12ihipStream_tbDpT10_ENKUlT_T0_E_clISt17integral_constantIbLb1EES1A_IbLb0EEEEDaS16_S17_EUlS16_E_NS1_11comp_targetILNS1_3genE4ELNS1_11target_archE910ELNS1_3gpuE8ELNS1_3repE0EEENS1_30default_config_static_selectorELNS0_4arch9wavefront6targetE0EEEvT1_.num_named_barrier, 0
	.set _ZN7rocprim17ROCPRIM_400000_NS6detail17trampoline_kernelINS0_14default_configENS1_25partition_config_selectorILNS1_17partition_subalgoE5EjNS0_10empty_typeEbEEZZNS1_14partition_implILS5_5ELb0ES3_mN6thrust23THRUST_200600_302600_NS6detail15normal_iteratorINSA_10device_ptrIjEEEEPS6_NSA_18transform_iteratorINSB_9not_fun_tINSA_8identityIjEEEESF_NSA_11use_defaultESM_EENS0_5tupleIJSF_S6_EEENSO_IJSG_SG_EEES6_PlJS6_EEE10hipError_tPvRmT3_T4_T5_T6_T7_T9_mT8_P12ihipStream_tbDpT10_ENKUlT_T0_E_clISt17integral_constantIbLb1EES1A_IbLb0EEEEDaS16_S17_EUlS16_E_NS1_11comp_targetILNS1_3genE4ELNS1_11target_archE910ELNS1_3gpuE8ELNS1_3repE0EEENS1_30default_config_static_selectorELNS0_4arch9wavefront6targetE0EEEvT1_.private_seg_size, 0
	.set _ZN7rocprim17ROCPRIM_400000_NS6detail17trampoline_kernelINS0_14default_configENS1_25partition_config_selectorILNS1_17partition_subalgoE5EjNS0_10empty_typeEbEEZZNS1_14partition_implILS5_5ELb0ES3_mN6thrust23THRUST_200600_302600_NS6detail15normal_iteratorINSA_10device_ptrIjEEEEPS6_NSA_18transform_iteratorINSB_9not_fun_tINSA_8identityIjEEEESF_NSA_11use_defaultESM_EENS0_5tupleIJSF_S6_EEENSO_IJSG_SG_EEES6_PlJS6_EEE10hipError_tPvRmT3_T4_T5_T6_T7_T9_mT8_P12ihipStream_tbDpT10_ENKUlT_T0_E_clISt17integral_constantIbLb1EES1A_IbLb0EEEEDaS16_S17_EUlS16_E_NS1_11comp_targetILNS1_3genE4ELNS1_11target_archE910ELNS1_3gpuE8ELNS1_3repE0EEENS1_30default_config_static_selectorELNS0_4arch9wavefront6targetE0EEEvT1_.uses_vcc, 0
	.set _ZN7rocprim17ROCPRIM_400000_NS6detail17trampoline_kernelINS0_14default_configENS1_25partition_config_selectorILNS1_17partition_subalgoE5EjNS0_10empty_typeEbEEZZNS1_14partition_implILS5_5ELb0ES3_mN6thrust23THRUST_200600_302600_NS6detail15normal_iteratorINSA_10device_ptrIjEEEEPS6_NSA_18transform_iteratorINSB_9not_fun_tINSA_8identityIjEEEESF_NSA_11use_defaultESM_EENS0_5tupleIJSF_S6_EEENSO_IJSG_SG_EEES6_PlJS6_EEE10hipError_tPvRmT3_T4_T5_T6_T7_T9_mT8_P12ihipStream_tbDpT10_ENKUlT_T0_E_clISt17integral_constantIbLb1EES1A_IbLb0EEEEDaS16_S17_EUlS16_E_NS1_11comp_targetILNS1_3genE4ELNS1_11target_archE910ELNS1_3gpuE8ELNS1_3repE0EEENS1_30default_config_static_selectorELNS0_4arch9wavefront6targetE0EEEvT1_.uses_flat_scratch, 0
	.set _ZN7rocprim17ROCPRIM_400000_NS6detail17trampoline_kernelINS0_14default_configENS1_25partition_config_selectorILNS1_17partition_subalgoE5EjNS0_10empty_typeEbEEZZNS1_14partition_implILS5_5ELb0ES3_mN6thrust23THRUST_200600_302600_NS6detail15normal_iteratorINSA_10device_ptrIjEEEEPS6_NSA_18transform_iteratorINSB_9not_fun_tINSA_8identityIjEEEESF_NSA_11use_defaultESM_EENS0_5tupleIJSF_S6_EEENSO_IJSG_SG_EEES6_PlJS6_EEE10hipError_tPvRmT3_T4_T5_T6_T7_T9_mT8_P12ihipStream_tbDpT10_ENKUlT_T0_E_clISt17integral_constantIbLb1EES1A_IbLb0EEEEDaS16_S17_EUlS16_E_NS1_11comp_targetILNS1_3genE4ELNS1_11target_archE910ELNS1_3gpuE8ELNS1_3repE0EEENS1_30default_config_static_selectorELNS0_4arch9wavefront6targetE0EEEvT1_.has_dyn_sized_stack, 0
	.set _ZN7rocprim17ROCPRIM_400000_NS6detail17trampoline_kernelINS0_14default_configENS1_25partition_config_selectorILNS1_17partition_subalgoE5EjNS0_10empty_typeEbEEZZNS1_14partition_implILS5_5ELb0ES3_mN6thrust23THRUST_200600_302600_NS6detail15normal_iteratorINSA_10device_ptrIjEEEEPS6_NSA_18transform_iteratorINSB_9not_fun_tINSA_8identityIjEEEESF_NSA_11use_defaultESM_EENS0_5tupleIJSF_S6_EEENSO_IJSG_SG_EEES6_PlJS6_EEE10hipError_tPvRmT3_T4_T5_T6_T7_T9_mT8_P12ihipStream_tbDpT10_ENKUlT_T0_E_clISt17integral_constantIbLb1EES1A_IbLb0EEEEDaS16_S17_EUlS16_E_NS1_11comp_targetILNS1_3genE4ELNS1_11target_archE910ELNS1_3gpuE8ELNS1_3repE0EEENS1_30default_config_static_selectorELNS0_4arch9wavefront6targetE0EEEvT1_.has_recursion, 0
	.set _ZN7rocprim17ROCPRIM_400000_NS6detail17trampoline_kernelINS0_14default_configENS1_25partition_config_selectorILNS1_17partition_subalgoE5EjNS0_10empty_typeEbEEZZNS1_14partition_implILS5_5ELb0ES3_mN6thrust23THRUST_200600_302600_NS6detail15normal_iteratorINSA_10device_ptrIjEEEEPS6_NSA_18transform_iteratorINSB_9not_fun_tINSA_8identityIjEEEESF_NSA_11use_defaultESM_EENS0_5tupleIJSF_S6_EEENSO_IJSG_SG_EEES6_PlJS6_EEE10hipError_tPvRmT3_T4_T5_T6_T7_T9_mT8_P12ihipStream_tbDpT10_ENKUlT_T0_E_clISt17integral_constantIbLb1EES1A_IbLb0EEEEDaS16_S17_EUlS16_E_NS1_11comp_targetILNS1_3genE4ELNS1_11target_archE910ELNS1_3gpuE8ELNS1_3repE0EEENS1_30default_config_static_selectorELNS0_4arch9wavefront6targetE0EEEvT1_.has_indirect_call, 0
	.section	.AMDGPU.csdata,"",@progbits
; Kernel info:
; codeLenInByte = 0
; TotalNumSgprs: 0
; NumVgprs: 0
; ScratchSize: 0
; MemoryBound: 0
; FloatMode: 240
; IeeeMode: 1
; LDSByteSize: 0 bytes/workgroup (compile time only)
; SGPRBlocks: 0
; VGPRBlocks: 0
; NumSGPRsForWavesPerEU: 1
; NumVGPRsForWavesPerEU: 1
; Occupancy: 16
; WaveLimiterHint : 0
; COMPUTE_PGM_RSRC2:SCRATCH_EN: 0
; COMPUTE_PGM_RSRC2:USER_SGPR: 2
; COMPUTE_PGM_RSRC2:TRAP_HANDLER: 0
; COMPUTE_PGM_RSRC2:TGID_X_EN: 1
; COMPUTE_PGM_RSRC2:TGID_Y_EN: 0
; COMPUTE_PGM_RSRC2:TGID_Z_EN: 0
; COMPUTE_PGM_RSRC2:TIDIG_COMP_CNT: 0
	.section	.text._ZN7rocprim17ROCPRIM_400000_NS6detail17trampoline_kernelINS0_14default_configENS1_25partition_config_selectorILNS1_17partition_subalgoE5EjNS0_10empty_typeEbEEZZNS1_14partition_implILS5_5ELb0ES3_mN6thrust23THRUST_200600_302600_NS6detail15normal_iteratorINSA_10device_ptrIjEEEEPS6_NSA_18transform_iteratorINSB_9not_fun_tINSA_8identityIjEEEESF_NSA_11use_defaultESM_EENS0_5tupleIJSF_S6_EEENSO_IJSG_SG_EEES6_PlJS6_EEE10hipError_tPvRmT3_T4_T5_T6_T7_T9_mT8_P12ihipStream_tbDpT10_ENKUlT_T0_E_clISt17integral_constantIbLb1EES1A_IbLb0EEEEDaS16_S17_EUlS16_E_NS1_11comp_targetILNS1_3genE3ELNS1_11target_archE908ELNS1_3gpuE7ELNS1_3repE0EEENS1_30default_config_static_selectorELNS0_4arch9wavefront6targetE0EEEvT1_,"axG",@progbits,_ZN7rocprim17ROCPRIM_400000_NS6detail17trampoline_kernelINS0_14default_configENS1_25partition_config_selectorILNS1_17partition_subalgoE5EjNS0_10empty_typeEbEEZZNS1_14partition_implILS5_5ELb0ES3_mN6thrust23THRUST_200600_302600_NS6detail15normal_iteratorINSA_10device_ptrIjEEEEPS6_NSA_18transform_iteratorINSB_9not_fun_tINSA_8identityIjEEEESF_NSA_11use_defaultESM_EENS0_5tupleIJSF_S6_EEENSO_IJSG_SG_EEES6_PlJS6_EEE10hipError_tPvRmT3_T4_T5_T6_T7_T9_mT8_P12ihipStream_tbDpT10_ENKUlT_T0_E_clISt17integral_constantIbLb1EES1A_IbLb0EEEEDaS16_S17_EUlS16_E_NS1_11comp_targetILNS1_3genE3ELNS1_11target_archE908ELNS1_3gpuE7ELNS1_3repE0EEENS1_30default_config_static_selectorELNS0_4arch9wavefront6targetE0EEEvT1_,comdat
	.protected	_ZN7rocprim17ROCPRIM_400000_NS6detail17trampoline_kernelINS0_14default_configENS1_25partition_config_selectorILNS1_17partition_subalgoE5EjNS0_10empty_typeEbEEZZNS1_14partition_implILS5_5ELb0ES3_mN6thrust23THRUST_200600_302600_NS6detail15normal_iteratorINSA_10device_ptrIjEEEEPS6_NSA_18transform_iteratorINSB_9not_fun_tINSA_8identityIjEEEESF_NSA_11use_defaultESM_EENS0_5tupleIJSF_S6_EEENSO_IJSG_SG_EEES6_PlJS6_EEE10hipError_tPvRmT3_T4_T5_T6_T7_T9_mT8_P12ihipStream_tbDpT10_ENKUlT_T0_E_clISt17integral_constantIbLb1EES1A_IbLb0EEEEDaS16_S17_EUlS16_E_NS1_11comp_targetILNS1_3genE3ELNS1_11target_archE908ELNS1_3gpuE7ELNS1_3repE0EEENS1_30default_config_static_selectorELNS0_4arch9wavefront6targetE0EEEvT1_ ; -- Begin function _ZN7rocprim17ROCPRIM_400000_NS6detail17trampoline_kernelINS0_14default_configENS1_25partition_config_selectorILNS1_17partition_subalgoE5EjNS0_10empty_typeEbEEZZNS1_14partition_implILS5_5ELb0ES3_mN6thrust23THRUST_200600_302600_NS6detail15normal_iteratorINSA_10device_ptrIjEEEEPS6_NSA_18transform_iteratorINSB_9not_fun_tINSA_8identityIjEEEESF_NSA_11use_defaultESM_EENS0_5tupleIJSF_S6_EEENSO_IJSG_SG_EEES6_PlJS6_EEE10hipError_tPvRmT3_T4_T5_T6_T7_T9_mT8_P12ihipStream_tbDpT10_ENKUlT_T0_E_clISt17integral_constantIbLb1EES1A_IbLb0EEEEDaS16_S17_EUlS16_E_NS1_11comp_targetILNS1_3genE3ELNS1_11target_archE908ELNS1_3gpuE7ELNS1_3repE0EEENS1_30default_config_static_selectorELNS0_4arch9wavefront6targetE0EEEvT1_
	.globl	_ZN7rocprim17ROCPRIM_400000_NS6detail17trampoline_kernelINS0_14default_configENS1_25partition_config_selectorILNS1_17partition_subalgoE5EjNS0_10empty_typeEbEEZZNS1_14partition_implILS5_5ELb0ES3_mN6thrust23THRUST_200600_302600_NS6detail15normal_iteratorINSA_10device_ptrIjEEEEPS6_NSA_18transform_iteratorINSB_9not_fun_tINSA_8identityIjEEEESF_NSA_11use_defaultESM_EENS0_5tupleIJSF_S6_EEENSO_IJSG_SG_EEES6_PlJS6_EEE10hipError_tPvRmT3_T4_T5_T6_T7_T9_mT8_P12ihipStream_tbDpT10_ENKUlT_T0_E_clISt17integral_constantIbLb1EES1A_IbLb0EEEEDaS16_S17_EUlS16_E_NS1_11comp_targetILNS1_3genE3ELNS1_11target_archE908ELNS1_3gpuE7ELNS1_3repE0EEENS1_30default_config_static_selectorELNS0_4arch9wavefront6targetE0EEEvT1_
	.p2align	8
	.type	_ZN7rocprim17ROCPRIM_400000_NS6detail17trampoline_kernelINS0_14default_configENS1_25partition_config_selectorILNS1_17partition_subalgoE5EjNS0_10empty_typeEbEEZZNS1_14partition_implILS5_5ELb0ES3_mN6thrust23THRUST_200600_302600_NS6detail15normal_iteratorINSA_10device_ptrIjEEEEPS6_NSA_18transform_iteratorINSB_9not_fun_tINSA_8identityIjEEEESF_NSA_11use_defaultESM_EENS0_5tupleIJSF_S6_EEENSO_IJSG_SG_EEES6_PlJS6_EEE10hipError_tPvRmT3_T4_T5_T6_T7_T9_mT8_P12ihipStream_tbDpT10_ENKUlT_T0_E_clISt17integral_constantIbLb1EES1A_IbLb0EEEEDaS16_S17_EUlS16_E_NS1_11comp_targetILNS1_3genE3ELNS1_11target_archE908ELNS1_3gpuE7ELNS1_3repE0EEENS1_30default_config_static_selectorELNS0_4arch9wavefront6targetE0EEEvT1_,@function
_ZN7rocprim17ROCPRIM_400000_NS6detail17trampoline_kernelINS0_14default_configENS1_25partition_config_selectorILNS1_17partition_subalgoE5EjNS0_10empty_typeEbEEZZNS1_14partition_implILS5_5ELb0ES3_mN6thrust23THRUST_200600_302600_NS6detail15normal_iteratorINSA_10device_ptrIjEEEEPS6_NSA_18transform_iteratorINSB_9not_fun_tINSA_8identityIjEEEESF_NSA_11use_defaultESM_EENS0_5tupleIJSF_S6_EEENSO_IJSG_SG_EEES6_PlJS6_EEE10hipError_tPvRmT3_T4_T5_T6_T7_T9_mT8_P12ihipStream_tbDpT10_ENKUlT_T0_E_clISt17integral_constantIbLb1EES1A_IbLb0EEEEDaS16_S17_EUlS16_E_NS1_11comp_targetILNS1_3genE3ELNS1_11target_archE908ELNS1_3gpuE7ELNS1_3repE0EEENS1_30default_config_static_selectorELNS0_4arch9wavefront6targetE0EEEvT1_: ; @_ZN7rocprim17ROCPRIM_400000_NS6detail17trampoline_kernelINS0_14default_configENS1_25partition_config_selectorILNS1_17partition_subalgoE5EjNS0_10empty_typeEbEEZZNS1_14partition_implILS5_5ELb0ES3_mN6thrust23THRUST_200600_302600_NS6detail15normal_iteratorINSA_10device_ptrIjEEEEPS6_NSA_18transform_iteratorINSB_9not_fun_tINSA_8identityIjEEEESF_NSA_11use_defaultESM_EENS0_5tupleIJSF_S6_EEENSO_IJSG_SG_EEES6_PlJS6_EEE10hipError_tPvRmT3_T4_T5_T6_T7_T9_mT8_P12ihipStream_tbDpT10_ENKUlT_T0_E_clISt17integral_constantIbLb1EES1A_IbLb0EEEEDaS16_S17_EUlS16_E_NS1_11comp_targetILNS1_3genE3ELNS1_11target_archE908ELNS1_3gpuE7ELNS1_3repE0EEENS1_30default_config_static_selectorELNS0_4arch9wavefront6targetE0EEEvT1_
; %bb.0:
	.section	.rodata,"a",@progbits
	.p2align	6, 0x0
	.amdhsa_kernel _ZN7rocprim17ROCPRIM_400000_NS6detail17trampoline_kernelINS0_14default_configENS1_25partition_config_selectorILNS1_17partition_subalgoE5EjNS0_10empty_typeEbEEZZNS1_14partition_implILS5_5ELb0ES3_mN6thrust23THRUST_200600_302600_NS6detail15normal_iteratorINSA_10device_ptrIjEEEEPS6_NSA_18transform_iteratorINSB_9not_fun_tINSA_8identityIjEEEESF_NSA_11use_defaultESM_EENS0_5tupleIJSF_S6_EEENSO_IJSG_SG_EEES6_PlJS6_EEE10hipError_tPvRmT3_T4_T5_T6_T7_T9_mT8_P12ihipStream_tbDpT10_ENKUlT_T0_E_clISt17integral_constantIbLb1EES1A_IbLb0EEEEDaS16_S17_EUlS16_E_NS1_11comp_targetILNS1_3genE3ELNS1_11target_archE908ELNS1_3gpuE7ELNS1_3repE0EEENS1_30default_config_static_selectorELNS0_4arch9wavefront6targetE0EEEvT1_
		.amdhsa_group_segment_fixed_size 0
		.amdhsa_private_segment_fixed_size 0
		.amdhsa_kernarg_size 120
		.amdhsa_user_sgpr_count 2
		.amdhsa_user_sgpr_dispatch_ptr 0
		.amdhsa_user_sgpr_queue_ptr 0
		.amdhsa_user_sgpr_kernarg_segment_ptr 1
		.amdhsa_user_sgpr_dispatch_id 0
		.amdhsa_user_sgpr_private_segment_size 0
		.amdhsa_wavefront_size32 1
		.amdhsa_uses_dynamic_stack 0
		.amdhsa_enable_private_segment 0
		.amdhsa_system_sgpr_workgroup_id_x 1
		.amdhsa_system_sgpr_workgroup_id_y 0
		.amdhsa_system_sgpr_workgroup_id_z 0
		.amdhsa_system_sgpr_workgroup_info 0
		.amdhsa_system_vgpr_workitem_id 0
		.amdhsa_next_free_vgpr 1
		.amdhsa_next_free_sgpr 1
		.amdhsa_reserve_vcc 0
		.amdhsa_float_round_mode_32 0
		.amdhsa_float_round_mode_16_64 0
		.amdhsa_float_denorm_mode_32 3
		.amdhsa_float_denorm_mode_16_64 3
		.amdhsa_fp16_overflow 0
		.amdhsa_workgroup_processor_mode 1
		.amdhsa_memory_ordered 1
		.amdhsa_forward_progress 1
		.amdhsa_inst_pref_size 0
		.amdhsa_round_robin_scheduling 0
		.amdhsa_exception_fp_ieee_invalid_op 0
		.amdhsa_exception_fp_denorm_src 0
		.amdhsa_exception_fp_ieee_div_zero 0
		.amdhsa_exception_fp_ieee_overflow 0
		.amdhsa_exception_fp_ieee_underflow 0
		.amdhsa_exception_fp_ieee_inexact 0
		.amdhsa_exception_int_div_zero 0
	.end_amdhsa_kernel
	.section	.text._ZN7rocprim17ROCPRIM_400000_NS6detail17trampoline_kernelINS0_14default_configENS1_25partition_config_selectorILNS1_17partition_subalgoE5EjNS0_10empty_typeEbEEZZNS1_14partition_implILS5_5ELb0ES3_mN6thrust23THRUST_200600_302600_NS6detail15normal_iteratorINSA_10device_ptrIjEEEEPS6_NSA_18transform_iteratorINSB_9not_fun_tINSA_8identityIjEEEESF_NSA_11use_defaultESM_EENS0_5tupleIJSF_S6_EEENSO_IJSG_SG_EEES6_PlJS6_EEE10hipError_tPvRmT3_T4_T5_T6_T7_T9_mT8_P12ihipStream_tbDpT10_ENKUlT_T0_E_clISt17integral_constantIbLb1EES1A_IbLb0EEEEDaS16_S17_EUlS16_E_NS1_11comp_targetILNS1_3genE3ELNS1_11target_archE908ELNS1_3gpuE7ELNS1_3repE0EEENS1_30default_config_static_selectorELNS0_4arch9wavefront6targetE0EEEvT1_,"axG",@progbits,_ZN7rocprim17ROCPRIM_400000_NS6detail17trampoline_kernelINS0_14default_configENS1_25partition_config_selectorILNS1_17partition_subalgoE5EjNS0_10empty_typeEbEEZZNS1_14partition_implILS5_5ELb0ES3_mN6thrust23THRUST_200600_302600_NS6detail15normal_iteratorINSA_10device_ptrIjEEEEPS6_NSA_18transform_iteratorINSB_9not_fun_tINSA_8identityIjEEEESF_NSA_11use_defaultESM_EENS0_5tupleIJSF_S6_EEENSO_IJSG_SG_EEES6_PlJS6_EEE10hipError_tPvRmT3_T4_T5_T6_T7_T9_mT8_P12ihipStream_tbDpT10_ENKUlT_T0_E_clISt17integral_constantIbLb1EES1A_IbLb0EEEEDaS16_S17_EUlS16_E_NS1_11comp_targetILNS1_3genE3ELNS1_11target_archE908ELNS1_3gpuE7ELNS1_3repE0EEENS1_30default_config_static_selectorELNS0_4arch9wavefront6targetE0EEEvT1_,comdat
.Lfunc_end904:
	.size	_ZN7rocprim17ROCPRIM_400000_NS6detail17trampoline_kernelINS0_14default_configENS1_25partition_config_selectorILNS1_17partition_subalgoE5EjNS0_10empty_typeEbEEZZNS1_14partition_implILS5_5ELb0ES3_mN6thrust23THRUST_200600_302600_NS6detail15normal_iteratorINSA_10device_ptrIjEEEEPS6_NSA_18transform_iteratorINSB_9not_fun_tINSA_8identityIjEEEESF_NSA_11use_defaultESM_EENS0_5tupleIJSF_S6_EEENSO_IJSG_SG_EEES6_PlJS6_EEE10hipError_tPvRmT3_T4_T5_T6_T7_T9_mT8_P12ihipStream_tbDpT10_ENKUlT_T0_E_clISt17integral_constantIbLb1EES1A_IbLb0EEEEDaS16_S17_EUlS16_E_NS1_11comp_targetILNS1_3genE3ELNS1_11target_archE908ELNS1_3gpuE7ELNS1_3repE0EEENS1_30default_config_static_selectorELNS0_4arch9wavefront6targetE0EEEvT1_, .Lfunc_end904-_ZN7rocprim17ROCPRIM_400000_NS6detail17trampoline_kernelINS0_14default_configENS1_25partition_config_selectorILNS1_17partition_subalgoE5EjNS0_10empty_typeEbEEZZNS1_14partition_implILS5_5ELb0ES3_mN6thrust23THRUST_200600_302600_NS6detail15normal_iteratorINSA_10device_ptrIjEEEEPS6_NSA_18transform_iteratorINSB_9not_fun_tINSA_8identityIjEEEESF_NSA_11use_defaultESM_EENS0_5tupleIJSF_S6_EEENSO_IJSG_SG_EEES6_PlJS6_EEE10hipError_tPvRmT3_T4_T5_T6_T7_T9_mT8_P12ihipStream_tbDpT10_ENKUlT_T0_E_clISt17integral_constantIbLb1EES1A_IbLb0EEEEDaS16_S17_EUlS16_E_NS1_11comp_targetILNS1_3genE3ELNS1_11target_archE908ELNS1_3gpuE7ELNS1_3repE0EEENS1_30default_config_static_selectorELNS0_4arch9wavefront6targetE0EEEvT1_
                                        ; -- End function
	.set _ZN7rocprim17ROCPRIM_400000_NS6detail17trampoline_kernelINS0_14default_configENS1_25partition_config_selectorILNS1_17partition_subalgoE5EjNS0_10empty_typeEbEEZZNS1_14partition_implILS5_5ELb0ES3_mN6thrust23THRUST_200600_302600_NS6detail15normal_iteratorINSA_10device_ptrIjEEEEPS6_NSA_18transform_iteratorINSB_9not_fun_tINSA_8identityIjEEEESF_NSA_11use_defaultESM_EENS0_5tupleIJSF_S6_EEENSO_IJSG_SG_EEES6_PlJS6_EEE10hipError_tPvRmT3_T4_T5_T6_T7_T9_mT8_P12ihipStream_tbDpT10_ENKUlT_T0_E_clISt17integral_constantIbLb1EES1A_IbLb0EEEEDaS16_S17_EUlS16_E_NS1_11comp_targetILNS1_3genE3ELNS1_11target_archE908ELNS1_3gpuE7ELNS1_3repE0EEENS1_30default_config_static_selectorELNS0_4arch9wavefront6targetE0EEEvT1_.num_vgpr, 0
	.set _ZN7rocprim17ROCPRIM_400000_NS6detail17trampoline_kernelINS0_14default_configENS1_25partition_config_selectorILNS1_17partition_subalgoE5EjNS0_10empty_typeEbEEZZNS1_14partition_implILS5_5ELb0ES3_mN6thrust23THRUST_200600_302600_NS6detail15normal_iteratorINSA_10device_ptrIjEEEEPS6_NSA_18transform_iteratorINSB_9not_fun_tINSA_8identityIjEEEESF_NSA_11use_defaultESM_EENS0_5tupleIJSF_S6_EEENSO_IJSG_SG_EEES6_PlJS6_EEE10hipError_tPvRmT3_T4_T5_T6_T7_T9_mT8_P12ihipStream_tbDpT10_ENKUlT_T0_E_clISt17integral_constantIbLb1EES1A_IbLb0EEEEDaS16_S17_EUlS16_E_NS1_11comp_targetILNS1_3genE3ELNS1_11target_archE908ELNS1_3gpuE7ELNS1_3repE0EEENS1_30default_config_static_selectorELNS0_4arch9wavefront6targetE0EEEvT1_.num_agpr, 0
	.set _ZN7rocprim17ROCPRIM_400000_NS6detail17trampoline_kernelINS0_14default_configENS1_25partition_config_selectorILNS1_17partition_subalgoE5EjNS0_10empty_typeEbEEZZNS1_14partition_implILS5_5ELb0ES3_mN6thrust23THRUST_200600_302600_NS6detail15normal_iteratorINSA_10device_ptrIjEEEEPS6_NSA_18transform_iteratorINSB_9not_fun_tINSA_8identityIjEEEESF_NSA_11use_defaultESM_EENS0_5tupleIJSF_S6_EEENSO_IJSG_SG_EEES6_PlJS6_EEE10hipError_tPvRmT3_T4_T5_T6_T7_T9_mT8_P12ihipStream_tbDpT10_ENKUlT_T0_E_clISt17integral_constantIbLb1EES1A_IbLb0EEEEDaS16_S17_EUlS16_E_NS1_11comp_targetILNS1_3genE3ELNS1_11target_archE908ELNS1_3gpuE7ELNS1_3repE0EEENS1_30default_config_static_selectorELNS0_4arch9wavefront6targetE0EEEvT1_.numbered_sgpr, 0
	.set _ZN7rocprim17ROCPRIM_400000_NS6detail17trampoline_kernelINS0_14default_configENS1_25partition_config_selectorILNS1_17partition_subalgoE5EjNS0_10empty_typeEbEEZZNS1_14partition_implILS5_5ELb0ES3_mN6thrust23THRUST_200600_302600_NS6detail15normal_iteratorINSA_10device_ptrIjEEEEPS6_NSA_18transform_iteratorINSB_9not_fun_tINSA_8identityIjEEEESF_NSA_11use_defaultESM_EENS0_5tupleIJSF_S6_EEENSO_IJSG_SG_EEES6_PlJS6_EEE10hipError_tPvRmT3_T4_T5_T6_T7_T9_mT8_P12ihipStream_tbDpT10_ENKUlT_T0_E_clISt17integral_constantIbLb1EES1A_IbLb0EEEEDaS16_S17_EUlS16_E_NS1_11comp_targetILNS1_3genE3ELNS1_11target_archE908ELNS1_3gpuE7ELNS1_3repE0EEENS1_30default_config_static_selectorELNS0_4arch9wavefront6targetE0EEEvT1_.num_named_barrier, 0
	.set _ZN7rocprim17ROCPRIM_400000_NS6detail17trampoline_kernelINS0_14default_configENS1_25partition_config_selectorILNS1_17partition_subalgoE5EjNS0_10empty_typeEbEEZZNS1_14partition_implILS5_5ELb0ES3_mN6thrust23THRUST_200600_302600_NS6detail15normal_iteratorINSA_10device_ptrIjEEEEPS6_NSA_18transform_iteratorINSB_9not_fun_tINSA_8identityIjEEEESF_NSA_11use_defaultESM_EENS0_5tupleIJSF_S6_EEENSO_IJSG_SG_EEES6_PlJS6_EEE10hipError_tPvRmT3_T4_T5_T6_T7_T9_mT8_P12ihipStream_tbDpT10_ENKUlT_T0_E_clISt17integral_constantIbLb1EES1A_IbLb0EEEEDaS16_S17_EUlS16_E_NS1_11comp_targetILNS1_3genE3ELNS1_11target_archE908ELNS1_3gpuE7ELNS1_3repE0EEENS1_30default_config_static_selectorELNS0_4arch9wavefront6targetE0EEEvT1_.private_seg_size, 0
	.set _ZN7rocprim17ROCPRIM_400000_NS6detail17trampoline_kernelINS0_14default_configENS1_25partition_config_selectorILNS1_17partition_subalgoE5EjNS0_10empty_typeEbEEZZNS1_14partition_implILS5_5ELb0ES3_mN6thrust23THRUST_200600_302600_NS6detail15normal_iteratorINSA_10device_ptrIjEEEEPS6_NSA_18transform_iteratorINSB_9not_fun_tINSA_8identityIjEEEESF_NSA_11use_defaultESM_EENS0_5tupleIJSF_S6_EEENSO_IJSG_SG_EEES6_PlJS6_EEE10hipError_tPvRmT3_T4_T5_T6_T7_T9_mT8_P12ihipStream_tbDpT10_ENKUlT_T0_E_clISt17integral_constantIbLb1EES1A_IbLb0EEEEDaS16_S17_EUlS16_E_NS1_11comp_targetILNS1_3genE3ELNS1_11target_archE908ELNS1_3gpuE7ELNS1_3repE0EEENS1_30default_config_static_selectorELNS0_4arch9wavefront6targetE0EEEvT1_.uses_vcc, 0
	.set _ZN7rocprim17ROCPRIM_400000_NS6detail17trampoline_kernelINS0_14default_configENS1_25partition_config_selectorILNS1_17partition_subalgoE5EjNS0_10empty_typeEbEEZZNS1_14partition_implILS5_5ELb0ES3_mN6thrust23THRUST_200600_302600_NS6detail15normal_iteratorINSA_10device_ptrIjEEEEPS6_NSA_18transform_iteratorINSB_9not_fun_tINSA_8identityIjEEEESF_NSA_11use_defaultESM_EENS0_5tupleIJSF_S6_EEENSO_IJSG_SG_EEES6_PlJS6_EEE10hipError_tPvRmT3_T4_T5_T6_T7_T9_mT8_P12ihipStream_tbDpT10_ENKUlT_T0_E_clISt17integral_constantIbLb1EES1A_IbLb0EEEEDaS16_S17_EUlS16_E_NS1_11comp_targetILNS1_3genE3ELNS1_11target_archE908ELNS1_3gpuE7ELNS1_3repE0EEENS1_30default_config_static_selectorELNS0_4arch9wavefront6targetE0EEEvT1_.uses_flat_scratch, 0
	.set _ZN7rocprim17ROCPRIM_400000_NS6detail17trampoline_kernelINS0_14default_configENS1_25partition_config_selectorILNS1_17partition_subalgoE5EjNS0_10empty_typeEbEEZZNS1_14partition_implILS5_5ELb0ES3_mN6thrust23THRUST_200600_302600_NS6detail15normal_iteratorINSA_10device_ptrIjEEEEPS6_NSA_18transform_iteratorINSB_9not_fun_tINSA_8identityIjEEEESF_NSA_11use_defaultESM_EENS0_5tupleIJSF_S6_EEENSO_IJSG_SG_EEES6_PlJS6_EEE10hipError_tPvRmT3_T4_T5_T6_T7_T9_mT8_P12ihipStream_tbDpT10_ENKUlT_T0_E_clISt17integral_constantIbLb1EES1A_IbLb0EEEEDaS16_S17_EUlS16_E_NS1_11comp_targetILNS1_3genE3ELNS1_11target_archE908ELNS1_3gpuE7ELNS1_3repE0EEENS1_30default_config_static_selectorELNS0_4arch9wavefront6targetE0EEEvT1_.has_dyn_sized_stack, 0
	.set _ZN7rocprim17ROCPRIM_400000_NS6detail17trampoline_kernelINS0_14default_configENS1_25partition_config_selectorILNS1_17partition_subalgoE5EjNS0_10empty_typeEbEEZZNS1_14partition_implILS5_5ELb0ES3_mN6thrust23THRUST_200600_302600_NS6detail15normal_iteratorINSA_10device_ptrIjEEEEPS6_NSA_18transform_iteratorINSB_9not_fun_tINSA_8identityIjEEEESF_NSA_11use_defaultESM_EENS0_5tupleIJSF_S6_EEENSO_IJSG_SG_EEES6_PlJS6_EEE10hipError_tPvRmT3_T4_T5_T6_T7_T9_mT8_P12ihipStream_tbDpT10_ENKUlT_T0_E_clISt17integral_constantIbLb1EES1A_IbLb0EEEEDaS16_S17_EUlS16_E_NS1_11comp_targetILNS1_3genE3ELNS1_11target_archE908ELNS1_3gpuE7ELNS1_3repE0EEENS1_30default_config_static_selectorELNS0_4arch9wavefront6targetE0EEEvT1_.has_recursion, 0
	.set _ZN7rocprim17ROCPRIM_400000_NS6detail17trampoline_kernelINS0_14default_configENS1_25partition_config_selectorILNS1_17partition_subalgoE5EjNS0_10empty_typeEbEEZZNS1_14partition_implILS5_5ELb0ES3_mN6thrust23THRUST_200600_302600_NS6detail15normal_iteratorINSA_10device_ptrIjEEEEPS6_NSA_18transform_iteratorINSB_9not_fun_tINSA_8identityIjEEEESF_NSA_11use_defaultESM_EENS0_5tupleIJSF_S6_EEENSO_IJSG_SG_EEES6_PlJS6_EEE10hipError_tPvRmT3_T4_T5_T6_T7_T9_mT8_P12ihipStream_tbDpT10_ENKUlT_T0_E_clISt17integral_constantIbLb1EES1A_IbLb0EEEEDaS16_S17_EUlS16_E_NS1_11comp_targetILNS1_3genE3ELNS1_11target_archE908ELNS1_3gpuE7ELNS1_3repE0EEENS1_30default_config_static_selectorELNS0_4arch9wavefront6targetE0EEEvT1_.has_indirect_call, 0
	.section	.AMDGPU.csdata,"",@progbits
; Kernel info:
; codeLenInByte = 0
; TotalNumSgprs: 0
; NumVgprs: 0
; ScratchSize: 0
; MemoryBound: 0
; FloatMode: 240
; IeeeMode: 1
; LDSByteSize: 0 bytes/workgroup (compile time only)
; SGPRBlocks: 0
; VGPRBlocks: 0
; NumSGPRsForWavesPerEU: 1
; NumVGPRsForWavesPerEU: 1
; Occupancy: 16
; WaveLimiterHint : 0
; COMPUTE_PGM_RSRC2:SCRATCH_EN: 0
; COMPUTE_PGM_RSRC2:USER_SGPR: 2
; COMPUTE_PGM_RSRC2:TRAP_HANDLER: 0
; COMPUTE_PGM_RSRC2:TGID_X_EN: 1
; COMPUTE_PGM_RSRC2:TGID_Y_EN: 0
; COMPUTE_PGM_RSRC2:TGID_Z_EN: 0
; COMPUTE_PGM_RSRC2:TIDIG_COMP_CNT: 0
	.section	.text._ZN7rocprim17ROCPRIM_400000_NS6detail17trampoline_kernelINS0_14default_configENS1_25partition_config_selectorILNS1_17partition_subalgoE5EjNS0_10empty_typeEbEEZZNS1_14partition_implILS5_5ELb0ES3_mN6thrust23THRUST_200600_302600_NS6detail15normal_iteratorINSA_10device_ptrIjEEEEPS6_NSA_18transform_iteratorINSB_9not_fun_tINSA_8identityIjEEEESF_NSA_11use_defaultESM_EENS0_5tupleIJSF_S6_EEENSO_IJSG_SG_EEES6_PlJS6_EEE10hipError_tPvRmT3_T4_T5_T6_T7_T9_mT8_P12ihipStream_tbDpT10_ENKUlT_T0_E_clISt17integral_constantIbLb1EES1A_IbLb0EEEEDaS16_S17_EUlS16_E_NS1_11comp_targetILNS1_3genE2ELNS1_11target_archE906ELNS1_3gpuE6ELNS1_3repE0EEENS1_30default_config_static_selectorELNS0_4arch9wavefront6targetE0EEEvT1_,"axG",@progbits,_ZN7rocprim17ROCPRIM_400000_NS6detail17trampoline_kernelINS0_14default_configENS1_25partition_config_selectorILNS1_17partition_subalgoE5EjNS0_10empty_typeEbEEZZNS1_14partition_implILS5_5ELb0ES3_mN6thrust23THRUST_200600_302600_NS6detail15normal_iteratorINSA_10device_ptrIjEEEEPS6_NSA_18transform_iteratorINSB_9not_fun_tINSA_8identityIjEEEESF_NSA_11use_defaultESM_EENS0_5tupleIJSF_S6_EEENSO_IJSG_SG_EEES6_PlJS6_EEE10hipError_tPvRmT3_T4_T5_T6_T7_T9_mT8_P12ihipStream_tbDpT10_ENKUlT_T0_E_clISt17integral_constantIbLb1EES1A_IbLb0EEEEDaS16_S17_EUlS16_E_NS1_11comp_targetILNS1_3genE2ELNS1_11target_archE906ELNS1_3gpuE6ELNS1_3repE0EEENS1_30default_config_static_selectorELNS0_4arch9wavefront6targetE0EEEvT1_,comdat
	.protected	_ZN7rocprim17ROCPRIM_400000_NS6detail17trampoline_kernelINS0_14default_configENS1_25partition_config_selectorILNS1_17partition_subalgoE5EjNS0_10empty_typeEbEEZZNS1_14partition_implILS5_5ELb0ES3_mN6thrust23THRUST_200600_302600_NS6detail15normal_iteratorINSA_10device_ptrIjEEEEPS6_NSA_18transform_iteratorINSB_9not_fun_tINSA_8identityIjEEEESF_NSA_11use_defaultESM_EENS0_5tupleIJSF_S6_EEENSO_IJSG_SG_EEES6_PlJS6_EEE10hipError_tPvRmT3_T4_T5_T6_T7_T9_mT8_P12ihipStream_tbDpT10_ENKUlT_T0_E_clISt17integral_constantIbLb1EES1A_IbLb0EEEEDaS16_S17_EUlS16_E_NS1_11comp_targetILNS1_3genE2ELNS1_11target_archE906ELNS1_3gpuE6ELNS1_3repE0EEENS1_30default_config_static_selectorELNS0_4arch9wavefront6targetE0EEEvT1_ ; -- Begin function _ZN7rocprim17ROCPRIM_400000_NS6detail17trampoline_kernelINS0_14default_configENS1_25partition_config_selectorILNS1_17partition_subalgoE5EjNS0_10empty_typeEbEEZZNS1_14partition_implILS5_5ELb0ES3_mN6thrust23THRUST_200600_302600_NS6detail15normal_iteratorINSA_10device_ptrIjEEEEPS6_NSA_18transform_iteratorINSB_9not_fun_tINSA_8identityIjEEEESF_NSA_11use_defaultESM_EENS0_5tupleIJSF_S6_EEENSO_IJSG_SG_EEES6_PlJS6_EEE10hipError_tPvRmT3_T4_T5_T6_T7_T9_mT8_P12ihipStream_tbDpT10_ENKUlT_T0_E_clISt17integral_constantIbLb1EES1A_IbLb0EEEEDaS16_S17_EUlS16_E_NS1_11comp_targetILNS1_3genE2ELNS1_11target_archE906ELNS1_3gpuE6ELNS1_3repE0EEENS1_30default_config_static_selectorELNS0_4arch9wavefront6targetE0EEEvT1_
	.globl	_ZN7rocprim17ROCPRIM_400000_NS6detail17trampoline_kernelINS0_14default_configENS1_25partition_config_selectorILNS1_17partition_subalgoE5EjNS0_10empty_typeEbEEZZNS1_14partition_implILS5_5ELb0ES3_mN6thrust23THRUST_200600_302600_NS6detail15normal_iteratorINSA_10device_ptrIjEEEEPS6_NSA_18transform_iteratorINSB_9not_fun_tINSA_8identityIjEEEESF_NSA_11use_defaultESM_EENS0_5tupleIJSF_S6_EEENSO_IJSG_SG_EEES6_PlJS6_EEE10hipError_tPvRmT3_T4_T5_T6_T7_T9_mT8_P12ihipStream_tbDpT10_ENKUlT_T0_E_clISt17integral_constantIbLb1EES1A_IbLb0EEEEDaS16_S17_EUlS16_E_NS1_11comp_targetILNS1_3genE2ELNS1_11target_archE906ELNS1_3gpuE6ELNS1_3repE0EEENS1_30default_config_static_selectorELNS0_4arch9wavefront6targetE0EEEvT1_
	.p2align	8
	.type	_ZN7rocprim17ROCPRIM_400000_NS6detail17trampoline_kernelINS0_14default_configENS1_25partition_config_selectorILNS1_17partition_subalgoE5EjNS0_10empty_typeEbEEZZNS1_14partition_implILS5_5ELb0ES3_mN6thrust23THRUST_200600_302600_NS6detail15normal_iteratorINSA_10device_ptrIjEEEEPS6_NSA_18transform_iteratorINSB_9not_fun_tINSA_8identityIjEEEESF_NSA_11use_defaultESM_EENS0_5tupleIJSF_S6_EEENSO_IJSG_SG_EEES6_PlJS6_EEE10hipError_tPvRmT3_T4_T5_T6_T7_T9_mT8_P12ihipStream_tbDpT10_ENKUlT_T0_E_clISt17integral_constantIbLb1EES1A_IbLb0EEEEDaS16_S17_EUlS16_E_NS1_11comp_targetILNS1_3genE2ELNS1_11target_archE906ELNS1_3gpuE6ELNS1_3repE0EEENS1_30default_config_static_selectorELNS0_4arch9wavefront6targetE0EEEvT1_,@function
_ZN7rocprim17ROCPRIM_400000_NS6detail17trampoline_kernelINS0_14default_configENS1_25partition_config_selectorILNS1_17partition_subalgoE5EjNS0_10empty_typeEbEEZZNS1_14partition_implILS5_5ELb0ES3_mN6thrust23THRUST_200600_302600_NS6detail15normal_iteratorINSA_10device_ptrIjEEEEPS6_NSA_18transform_iteratorINSB_9not_fun_tINSA_8identityIjEEEESF_NSA_11use_defaultESM_EENS0_5tupleIJSF_S6_EEENSO_IJSG_SG_EEES6_PlJS6_EEE10hipError_tPvRmT3_T4_T5_T6_T7_T9_mT8_P12ihipStream_tbDpT10_ENKUlT_T0_E_clISt17integral_constantIbLb1EES1A_IbLb0EEEEDaS16_S17_EUlS16_E_NS1_11comp_targetILNS1_3genE2ELNS1_11target_archE906ELNS1_3gpuE6ELNS1_3repE0EEENS1_30default_config_static_selectorELNS0_4arch9wavefront6targetE0EEEvT1_: ; @_ZN7rocprim17ROCPRIM_400000_NS6detail17trampoline_kernelINS0_14default_configENS1_25partition_config_selectorILNS1_17partition_subalgoE5EjNS0_10empty_typeEbEEZZNS1_14partition_implILS5_5ELb0ES3_mN6thrust23THRUST_200600_302600_NS6detail15normal_iteratorINSA_10device_ptrIjEEEEPS6_NSA_18transform_iteratorINSB_9not_fun_tINSA_8identityIjEEEESF_NSA_11use_defaultESM_EENS0_5tupleIJSF_S6_EEENSO_IJSG_SG_EEES6_PlJS6_EEE10hipError_tPvRmT3_T4_T5_T6_T7_T9_mT8_P12ihipStream_tbDpT10_ENKUlT_T0_E_clISt17integral_constantIbLb1EES1A_IbLb0EEEEDaS16_S17_EUlS16_E_NS1_11comp_targetILNS1_3genE2ELNS1_11target_archE906ELNS1_3gpuE6ELNS1_3repE0EEENS1_30default_config_static_selectorELNS0_4arch9wavefront6targetE0EEEvT1_
; %bb.0:
	.section	.rodata,"a",@progbits
	.p2align	6, 0x0
	.amdhsa_kernel _ZN7rocprim17ROCPRIM_400000_NS6detail17trampoline_kernelINS0_14default_configENS1_25partition_config_selectorILNS1_17partition_subalgoE5EjNS0_10empty_typeEbEEZZNS1_14partition_implILS5_5ELb0ES3_mN6thrust23THRUST_200600_302600_NS6detail15normal_iteratorINSA_10device_ptrIjEEEEPS6_NSA_18transform_iteratorINSB_9not_fun_tINSA_8identityIjEEEESF_NSA_11use_defaultESM_EENS0_5tupleIJSF_S6_EEENSO_IJSG_SG_EEES6_PlJS6_EEE10hipError_tPvRmT3_T4_T5_T6_T7_T9_mT8_P12ihipStream_tbDpT10_ENKUlT_T0_E_clISt17integral_constantIbLb1EES1A_IbLb0EEEEDaS16_S17_EUlS16_E_NS1_11comp_targetILNS1_3genE2ELNS1_11target_archE906ELNS1_3gpuE6ELNS1_3repE0EEENS1_30default_config_static_selectorELNS0_4arch9wavefront6targetE0EEEvT1_
		.amdhsa_group_segment_fixed_size 0
		.amdhsa_private_segment_fixed_size 0
		.amdhsa_kernarg_size 120
		.amdhsa_user_sgpr_count 2
		.amdhsa_user_sgpr_dispatch_ptr 0
		.amdhsa_user_sgpr_queue_ptr 0
		.amdhsa_user_sgpr_kernarg_segment_ptr 1
		.amdhsa_user_sgpr_dispatch_id 0
		.amdhsa_user_sgpr_private_segment_size 0
		.amdhsa_wavefront_size32 1
		.amdhsa_uses_dynamic_stack 0
		.amdhsa_enable_private_segment 0
		.amdhsa_system_sgpr_workgroup_id_x 1
		.amdhsa_system_sgpr_workgroup_id_y 0
		.amdhsa_system_sgpr_workgroup_id_z 0
		.amdhsa_system_sgpr_workgroup_info 0
		.amdhsa_system_vgpr_workitem_id 0
		.amdhsa_next_free_vgpr 1
		.amdhsa_next_free_sgpr 1
		.amdhsa_reserve_vcc 0
		.amdhsa_float_round_mode_32 0
		.amdhsa_float_round_mode_16_64 0
		.amdhsa_float_denorm_mode_32 3
		.amdhsa_float_denorm_mode_16_64 3
		.amdhsa_fp16_overflow 0
		.amdhsa_workgroup_processor_mode 1
		.amdhsa_memory_ordered 1
		.amdhsa_forward_progress 1
		.amdhsa_inst_pref_size 0
		.amdhsa_round_robin_scheduling 0
		.amdhsa_exception_fp_ieee_invalid_op 0
		.amdhsa_exception_fp_denorm_src 0
		.amdhsa_exception_fp_ieee_div_zero 0
		.amdhsa_exception_fp_ieee_overflow 0
		.amdhsa_exception_fp_ieee_underflow 0
		.amdhsa_exception_fp_ieee_inexact 0
		.amdhsa_exception_int_div_zero 0
	.end_amdhsa_kernel
	.section	.text._ZN7rocprim17ROCPRIM_400000_NS6detail17trampoline_kernelINS0_14default_configENS1_25partition_config_selectorILNS1_17partition_subalgoE5EjNS0_10empty_typeEbEEZZNS1_14partition_implILS5_5ELb0ES3_mN6thrust23THRUST_200600_302600_NS6detail15normal_iteratorINSA_10device_ptrIjEEEEPS6_NSA_18transform_iteratorINSB_9not_fun_tINSA_8identityIjEEEESF_NSA_11use_defaultESM_EENS0_5tupleIJSF_S6_EEENSO_IJSG_SG_EEES6_PlJS6_EEE10hipError_tPvRmT3_T4_T5_T6_T7_T9_mT8_P12ihipStream_tbDpT10_ENKUlT_T0_E_clISt17integral_constantIbLb1EES1A_IbLb0EEEEDaS16_S17_EUlS16_E_NS1_11comp_targetILNS1_3genE2ELNS1_11target_archE906ELNS1_3gpuE6ELNS1_3repE0EEENS1_30default_config_static_selectorELNS0_4arch9wavefront6targetE0EEEvT1_,"axG",@progbits,_ZN7rocprim17ROCPRIM_400000_NS6detail17trampoline_kernelINS0_14default_configENS1_25partition_config_selectorILNS1_17partition_subalgoE5EjNS0_10empty_typeEbEEZZNS1_14partition_implILS5_5ELb0ES3_mN6thrust23THRUST_200600_302600_NS6detail15normal_iteratorINSA_10device_ptrIjEEEEPS6_NSA_18transform_iteratorINSB_9not_fun_tINSA_8identityIjEEEESF_NSA_11use_defaultESM_EENS0_5tupleIJSF_S6_EEENSO_IJSG_SG_EEES6_PlJS6_EEE10hipError_tPvRmT3_T4_T5_T6_T7_T9_mT8_P12ihipStream_tbDpT10_ENKUlT_T0_E_clISt17integral_constantIbLb1EES1A_IbLb0EEEEDaS16_S17_EUlS16_E_NS1_11comp_targetILNS1_3genE2ELNS1_11target_archE906ELNS1_3gpuE6ELNS1_3repE0EEENS1_30default_config_static_selectorELNS0_4arch9wavefront6targetE0EEEvT1_,comdat
.Lfunc_end905:
	.size	_ZN7rocprim17ROCPRIM_400000_NS6detail17trampoline_kernelINS0_14default_configENS1_25partition_config_selectorILNS1_17partition_subalgoE5EjNS0_10empty_typeEbEEZZNS1_14partition_implILS5_5ELb0ES3_mN6thrust23THRUST_200600_302600_NS6detail15normal_iteratorINSA_10device_ptrIjEEEEPS6_NSA_18transform_iteratorINSB_9not_fun_tINSA_8identityIjEEEESF_NSA_11use_defaultESM_EENS0_5tupleIJSF_S6_EEENSO_IJSG_SG_EEES6_PlJS6_EEE10hipError_tPvRmT3_T4_T5_T6_T7_T9_mT8_P12ihipStream_tbDpT10_ENKUlT_T0_E_clISt17integral_constantIbLb1EES1A_IbLb0EEEEDaS16_S17_EUlS16_E_NS1_11comp_targetILNS1_3genE2ELNS1_11target_archE906ELNS1_3gpuE6ELNS1_3repE0EEENS1_30default_config_static_selectorELNS0_4arch9wavefront6targetE0EEEvT1_, .Lfunc_end905-_ZN7rocprim17ROCPRIM_400000_NS6detail17trampoline_kernelINS0_14default_configENS1_25partition_config_selectorILNS1_17partition_subalgoE5EjNS0_10empty_typeEbEEZZNS1_14partition_implILS5_5ELb0ES3_mN6thrust23THRUST_200600_302600_NS6detail15normal_iteratorINSA_10device_ptrIjEEEEPS6_NSA_18transform_iteratorINSB_9not_fun_tINSA_8identityIjEEEESF_NSA_11use_defaultESM_EENS0_5tupleIJSF_S6_EEENSO_IJSG_SG_EEES6_PlJS6_EEE10hipError_tPvRmT3_T4_T5_T6_T7_T9_mT8_P12ihipStream_tbDpT10_ENKUlT_T0_E_clISt17integral_constantIbLb1EES1A_IbLb0EEEEDaS16_S17_EUlS16_E_NS1_11comp_targetILNS1_3genE2ELNS1_11target_archE906ELNS1_3gpuE6ELNS1_3repE0EEENS1_30default_config_static_selectorELNS0_4arch9wavefront6targetE0EEEvT1_
                                        ; -- End function
	.set _ZN7rocprim17ROCPRIM_400000_NS6detail17trampoline_kernelINS0_14default_configENS1_25partition_config_selectorILNS1_17partition_subalgoE5EjNS0_10empty_typeEbEEZZNS1_14partition_implILS5_5ELb0ES3_mN6thrust23THRUST_200600_302600_NS6detail15normal_iteratorINSA_10device_ptrIjEEEEPS6_NSA_18transform_iteratorINSB_9not_fun_tINSA_8identityIjEEEESF_NSA_11use_defaultESM_EENS0_5tupleIJSF_S6_EEENSO_IJSG_SG_EEES6_PlJS6_EEE10hipError_tPvRmT3_T4_T5_T6_T7_T9_mT8_P12ihipStream_tbDpT10_ENKUlT_T0_E_clISt17integral_constantIbLb1EES1A_IbLb0EEEEDaS16_S17_EUlS16_E_NS1_11comp_targetILNS1_3genE2ELNS1_11target_archE906ELNS1_3gpuE6ELNS1_3repE0EEENS1_30default_config_static_selectorELNS0_4arch9wavefront6targetE0EEEvT1_.num_vgpr, 0
	.set _ZN7rocprim17ROCPRIM_400000_NS6detail17trampoline_kernelINS0_14default_configENS1_25partition_config_selectorILNS1_17partition_subalgoE5EjNS0_10empty_typeEbEEZZNS1_14partition_implILS5_5ELb0ES3_mN6thrust23THRUST_200600_302600_NS6detail15normal_iteratorINSA_10device_ptrIjEEEEPS6_NSA_18transform_iteratorINSB_9not_fun_tINSA_8identityIjEEEESF_NSA_11use_defaultESM_EENS0_5tupleIJSF_S6_EEENSO_IJSG_SG_EEES6_PlJS6_EEE10hipError_tPvRmT3_T4_T5_T6_T7_T9_mT8_P12ihipStream_tbDpT10_ENKUlT_T0_E_clISt17integral_constantIbLb1EES1A_IbLb0EEEEDaS16_S17_EUlS16_E_NS1_11comp_targetILNS1_3genE2ELNS1_11target_archE906ELNS1_3gpuE6ELNS1_3repE0EEENS1_30default_config_static_selectorELNS0_4arch9wavefront6targetE0EEEvT1_.num_agpr, 0
	.set _ZN7rocprim17ROCPRIM_400000_NS6detail17trampoline_kernelINS0_14default_configENS1_25partition_config_selectorILNS1_17partition_subalgoE5EjNS0_10empty_typeEbEEZZNS1_14partition_implILS5_5ELb0ES3_mN6thrust23THRUST_200600_302600_NS6detail15normal_iteratorINSA_10device_ptrIjEEEEPS6_NSA_18transform_iteratorINSB_9not_fun_tINSA_8identityIjEEEESF_NSA_11use_defaultESM_EENS0_5tupleIJSF_S6_EEENSO_IJSG_SG_EEES6_PlJS6_EEE10hipError_tPvRmT3_T4_T5_T6_T7_T9_mT8_P12ihipStream_tbDpT10_ENKUlT_T0_E_clISt17integral_constantIbLb1EES1A_IbLb0EEEEDaS16_S17_EUlS16_E_NS1_11comp_targetILNS1_3genE2ELNS1_11target_archE906ELNS1_3gpuE6ELNS1_3repE0EEENS1_30default_config_static_selectorELNS0_4arch9wavefront6targetE0EEEvT1_.numbered_sgpr, 0
	.set _ZN7rocprim17ROCPRIM_400000_NS6detail17trampoline_kernelINS0_14default_configENS1_25partition_config_selectorILNS1_17partition_subalgoE5EjNS0_10empty_typeEbEEZZNS1_14partition_implILS5_5ELb0ES3_mN6thrust23THRUST_200600_302600_NS6detail15normal_iteratorINSA_10device_ptrIjEEEEPS6_NSA_18transform_iteratorINSB_9not_fun_tINSA_8identityIjEEEESF_NSA_11use_defaultESM_EENS0_5tupleIJSF_S6_EEENSO_IJSG_SG_EEES6_PlJS6_EEE10hipError_tPvRmT3_T4_T5_T6_T7_T9_mT8_P12ihipStream_tbDpT10_ENKUlT_T0_E_clISt17integral_constantIbLb1EES1A_IbLb0EEEEDaS16_S17_EUlS16_E_NS1_11comp_targetILNS1_3genE2ELNS1_11target_archE906ELNS1_3gpuE6ELNS1_3repE0EEENS1_30default_config_static_selectorELNS0_4arch9wavefront6targetE0EEEvT1_.num_named_barrier, 0
	.set _ZN7rocprim17ROCPRIM_400000_NS6detail17trampoline_kernelINS0_14default_configENS1_25partition_config_selectorILNS1_17partition_subalgoE5EjNS0_10empty_typeEbEEZZNS1_14partition_implILS5_5ELb0ES3_mN6thrust23THRUST_200600_302600_NS6detail15normal_iteratorINSA_10device_ptrIjEEEEPS6_NSA_18transform_iteratorINSB_9not_fun_tINSA_8identityIjEEEESF_NSA_11use_defaultESM_EENS0_5tupleIJSF_S6_EEENSO_IJSG_SG_EEES6_PlJS6_EEE10hipError_tPvRmT3_T4_T5_T6_T7_T9_mT8_P12ihipStream_tbDpT10_ENKUlT_T0_E_clISt17integral_constantIbLb1EES1A_IbLb0EEEEDaS16_S17_EUlS16_E_NS1_11comp_targetILNS1_3genE2ELNS1_11target_archE906ELNS1_3gpuE6ELNS1_3repE0EEENS1_30default_config_static_selectorELNS0_4arch9wavefront6targetE0EEEvT1_.private_seg_size, 0
	.set _ZN7rocprim17ROCPRIM_400000_NS6detail17trampoline_kernelINS0_14default_configENS1_25partition_config_selectorILNS1_17partition_subalgoE5EjNS0_10empty_typeEbEEZZNS1_14partition_implILS5_5ELb0ES3_mN6thrust23THRUST_200600_302600_NS6detail15normal_iteratorINSA_10device_ptrIjEEEEPS6_NSA_18transform_iteratorINSB_9not_fun_tINSA_8identityIjEEEESF_NSA_11use_defaultESM_EENS0_5tupleIJSF_S6_EEENSO_IJSG_SG_EEES6_PlJS6_EEE10hipError_tPvRmT3_T4_T5_T6_T7_T9_mT8_P12ihipStream_tbDpT10_ENKUlT_T0_E_clISt17integral_constantIbLb1EES1A_IbLb0EEEEDaS16_S17_EUlS16_E_NS1_11comp_targetILNS1_3genE2ELNS1_11target_archE906ELNS1_3gpuE6ELNS1_3repE0EEENS1_30default_config_static_selectorELNS0_4arch9wavefront6targetE0EEEvT1_.uses_vcc, 0
	.set _ZN7rocprim17ROCPRIM_400000_NS6detail17trampoline_kernelINS0_14default_configENS1_25partition_config_selectorILNS1_17partition_subalgoE5EjNS0_10empty_typeEbEEZZNS1_14partition_implILS5_5ELb0ES3_mN6thrust23THRUST_200600_302600_NS6detail15normal_iteratorINSA_10device_ptrIjEEEEPS6_NSA_18transform_iteratorINSB_9not_fun_tINSA_8identityIjEEEESF_NSA_11use_defaultESM_EENS0_5tupleIJSF_S6_EEENSO_IJSG_SG_EEES6_PlJS6_EEE10hipError_tPvRmT3_T4_T5_T6_T7_T9_mT8_P12ihipStream_tbDpT10_ENKUlT_T0_E_clISt17integral_constantIbLb1EES1A_IbLb0EEEEDaS16_S17_EUlS16_E_NS1_11comp_targetILNS1_3genE2ELNS1_11target_archE906ELNS1_3gpuE6ELNS1_3repE0EEENS1_30default_config_static_selectorELNS0_4arch9wavefront6targetE0EEEvT1_.uses_flat_scratch, 0
	.set _ZN7rocprim17ROCPRIM_400000_NS6detail17trampoline_kernelINS0_14default_configENS1_25partition_config_selectorILNS1_17partition_subalgoE5EjNS0_10empty_typeEbEEZZNS1_14partition_implILS5_5ELb0ES3_mN6thrust23THRUST_200600_302600_NS6detail15normal_iteratorINSA_10device_ptrIjEEEEPS6_NSA_18transform_iteratorINSB_9not_fun_tINSA_8identityIjEEEESF_NSA_11use_defaultESM_EENS0_5tupleIJSF_S6_EEENSO_IJSG_SG_EEES6_PlJS6_EEE10hipError_tPvRmT3_T4_T5_T6_T7_T9_mT8_P12ihipStream_tbDpT10_ENKUlT_T0_E_clISt17integral_constantIbLb1EES1A_IbLb0EEEEDaS16_S17_EUlS16_E_NS1_11comp_targetILNS1_3genE2ELNS1_11target_archE906ELNS1_3gpuE6ELNS1_3repE0EEENS1_30default_config_static_selectorELNS0_4arch9wavefront6targetE0EEEvT1_.has_dyn_sized_stack, 0
	.set _ZN7rocprim17ROCPRIM_400000_NS6detail17trampoline_kernelINS0_14default_configENS1_25partition_config_selectorILNS1_17partition_subalgoE5EjNS0_10empty_typeEbEEZZNS1_14partition_implILS5_5ELb0ES3_mN6thrust23THRUST_200600_302600_NS6detail15normal_iteratorINSA_10device_ptrIjEEEEPS6_NSA_18transform_iteratorINSB_9not_fun_tINSA_8identityIjEEEESF_NSA_11use_defaultESM_EENS0_5tupleIJSF_S6_EEENSO_IJSG_SG_EEES6_PlJS6_EEE10hipError_tPvRmT3_T4_T5_T6_T7_T9_mT8_P12ihipStream_tbDpT10_ENKUlT_T0_E_clISt17integral_constantIbLb1EES1A_IbLb0EEEEDaS16_S17_EUlS16_E_NS1_11comp_targetILNS1_3genE2ELNS1_11target_archE906ELNS1_3gpuE6ELNS1_3repE0EEENS1_30default_config_static_selectorELNS0_4arch9wavefront6targetE0EEEvT1_.has_recursion, 0
	.set _ZN7rocprim17ROCPRIM_400000_NS6detail17trampoline_kernelINS0_14default_configENS1_25partition_config_selectorILNS1_17partition_subalgoE5EjNS0_10empty_typeEbEEZZNS1_14partition_implILS5_5ELb0ES3_mN6thrust23THRUST_200600_302600_NS6detail15normal_iteratorINSA_10device_ptrIjEEEEPS6_NSA_18transform_iteratorINSB_9not_fun_tINSA_8identityIjEEEESF_NSA_11use_defaultESM_EENS0_5tupleIJSF_S6_EEENSO_IJSG_SG_EEES6_PlJS6_EEE10hipError_tPvRmT3_T4_T5_T6_T7_T9_mT8_P12ihipStream_tbDpT10_ENKUlT_T0_E_clISt17integral_constantIbLb1EES1A_IbLb0EEEEDaS16_S17_EUlS16_E_NS1_11comp_targetILNS1_3genE2ELNS1_11target_archE906ELNS1_3gpuE6ELNS1_3repE0EEENS1_30default_config_static_selectorELNS0_4arch9wavefront6targetE0EEEvT1_.has_indirect_call, 0
	.section	.AMDGPU.csdata,"",@progbits
; Kernel info:
; codeLenInByte = 0
; TotalNumSgprs: 0
; NumVgprs: 0
; ScratchSize: 0
; MemoryBound: 0
; FloatMode: 240
; IeeeMode: 1
; LDSByteSize: 0 bytes/workgroup (compile time only)
; SGPRBlocks: 0
; VGPRBlocks: 0
; NumSGPRsForWavesPerEU: 1
; NumVGPRsForWavesPerEU: 1
; Occupancy: 16
; WaveLimiterHint : 0
; COMPUTE_PGM_RSRC2:SCRATCH_EN: 0
; COMPUTE_PGM_RSRC2:USER_SGPR: 2
; COMPUTE_PGM_RSRC2:TRAP_HANDLER: 0
; COMPUTE_PGM_RSRC2:TGID_X_EN: 1
; COMPUTE_PGM_RSRC2:TGID_Y_EN: 0
; COMPUTE_PGM_RSRC2:TGID_Z_EN: 0
; COMPUTE_PGM_RSRC2:TIDIG_COMP_CNT: 0
	.section	.text._ZN7rocprim17ROCPRIM_400000_NS6detail17trampoline_kernelINS0_14default_configENS1_25partition_config_selectorILNS1_17partition_subalgoE5EjNS0_10empty_typeEbEEZZNS1_14partition_implILS5_5ELb0ES3_mN6thrust23THRUST_200600_302600_NS6detail15normal_iteratorINSA_10device_ptrIjEEEEPS6_NSA_18transform_iteratorINSB_9not_fun_tINSA_8identityIjEEEESF_NSA_11use_defaultESM_EENS0_5tupleIJSF_S6_EEENSO_IJSG_SG_EEES6_PlJS6_EEE10hipError_tPvRmT3_T4_T5_T6_T7_T9_mT8_P12ihipStream_tbDpT10_ENKUlT_T0_E_clISt17integral_constantIbLb1EES1A_IbLb0EEEEDaS16_S17_EUlS16_E_NS1_11comp_targetILNS1_3genE10ELNS1_11target_archE1200ELNS1_3gpuE4ELNS1_3repE0EEENS1_30default_config_static_selectorELNS0_4arch9wavefront6targetE0EEEvT1_,"axG",@progbits,_ZN7rocprim17ROCPRIM_400000_NS6detail17trampoline_kernelINS0_14default_configENS1_25partition_config_selectorILNS1_17partition_subalgoE5EjNS0_10empty_typeEbEEZZNS1_14partition_implILS5_5ELb0ES3_mN6thrust23THRUST_200600_302600_NS6detail15normal_iteratorINSA_10device_ptrIjEEEEPS6_NSA_18transform_iteratorINSB_9not_fun_tINSA_8identityIjEEEESF_NSA_11use_defaultESM_EENS0_5tupleIJSF_S6_EEENSO_IJSG_SG_EEES6_PlJS6_EEE10hipError_tPvRmT3_T4_T5_T6_T7_T9_mT8_P12ihipStream_tbDpT10_ENKUlT_T0_E_clISt17integral_constantIbLb1EES1A_IbLb0EEEEDaS16_S17_EUlS16_E_NS1_11comp_targetILNS1_3genE10ELNS1_11target_archE1200ELNS1_3gpuE4ELNS1_3repE0EEENS1_30default_config_static_selectorELNS0_4arch9wavefront6targetE0EEEvT1_,comdat
	.protected	_ZN7rocprim17ROCPRIM_400000_NS6detail17trampoline_kernelINS0_14default_configENS1_25partition_config_selectorILNS1_17partition_subalgoE5EjNS0_10empty_typeEbEEZZNS1_14partition_implILS5_5ELb0ES3_mN6thrust23THRUST_200600_302600_NS6detail15normal_iteratorINSA_10device_ptrIjEEEEPS6_NSA_18transform_iteratorINSB_9not_fun_tINSA_8identityIjEEEESF_NSA_11use_defaultESM_EENS0_5tupleIJSF_S6_EEENSO_IJSG_SG_EEES6_PlJS6_EEE10hipError_tPvRmT3_T4_T5_T6_T7_T9_mT8_P12ihipStream_tbDpT10_ENKUlT_T0_E_clISt17integral_constantIbLb1EES1A_IbLb0EEEEDaS16_S17_EUlS16_E_NS1_11comp_targetILNS1_3genE10ELNS1_11target_archE1200ELNS1_3gpuE4ELNS1_3repE0EEENS1_30default_config_static_selectorELNS0_4arch9wavefront6targetE0EEEvT1_ ; -- Begin function _ZN7rocprim17ROCPRIM_400000_NS6detail17trampoline_kernelINS0_14default_configENS1_25partition_config_selectorILNS1_17partition_subalgoE5EjNS0_10empty_typeEbEEZZNS1_14partition_implILS5_5ELb0ES3_mN6thrust23THRUST_200600_302600_NS6detail15normal_iteratorINSA_10device_ptrIjEEEEPS6_NSA_18transform_iteratorINSB_9not_fun_tINSA_8identityIjEEEESF_NSA_11use_defaultESM_EENS0_5tupleIJSF_S6_EEENSO_IJSG_SG_EEES6_PlJS6_EEE10hipError_tPvRmT3_T4_T5_T6_T7_T9_mT8_P12ihipStream_tbDpT10_ENKUlT_T0_E_clISt17integral_constantIbLb1EES1A_IbLb0EEEEDaS16_S17_EUlS16_E_NS1_11comp_targetILNS1_3genE10ELNS1_11target_archE1200ELNS1_3gpuE4ELNS1_3repE0EEENS1_30default_config_static_selectorELNS0_4arch9wavefront6targetE0EEEvT1_
	.globl	_ZN7rocprim17ROCPRIM_400000_NS6detail17trampoline_kernelINS0_14default_configENS1_25partition_config_selectorILNS1_17partition_subalgoE5EjNS0_10empty_typeEbEEZZNS1_14partition_implILS5_5ELb0ES3_mN6thrust23THRUST_200600_302600_NS6detail15normal_iteratorINSA_10device_ptrIjEEEEPS6_NSA_18transform_iteratorINSB_9not_fun_tINSA_8identityIjEEEESF_NSA_11use_defaultESM_EENS0_5tupleIJSF_S6_EEENSO_IJSG_SG_EEES6_PlJS6_EEE10hipError_tPvRmT3_T4_T5_T6_T7_T9_mT8_P12ihipStream_tbDpT10_ENKUlT_T0_E_clISt17integral_constantIbLb1EES1A_IbLb0EEEEDaS16_S17_EUlS16_E_NS1_11comp_targetILNS1_3genE10ELNS1_11target_archE1200ELNS1_3gpuE4ELNS1_3repE0EEENS1_30default_config_static_selectorELNS0_4arch9wavefront6targetE0EEEvT1_
	.p2align	8
	.type	_ZN7rocprim17ROCPRIM_400000_NS6detail17trampoline_kernelINS0_14default_configENS1_25partition_config_selectorILNS1_17partition_subalgoE5EjNS0_10empty_typeEbEEZZNS1_14partition_implILS5_5ELb0ES3_mN6thrust23THRUST_200600_302600_NS6detail15normal_iteratorINSA_10device_ptrIjEEEEPS6_NSA_18transform_iteratorINSB_9not_fun_tINSA_8identityIjEEEESF_NSA_11use_defaultESM_EENS0_5tupleIJSF_S6_EEENSO_IJSG_SG_EEES6_PlJS6_EEE10hipError_tPvRmT3_T4_T5_T6_T7_T9_mT8_P12ihipStream_tbDpT10_ENKUlT_T0_E_clISt17integral_constantIbLb1EES1A_IbLb0EEEEDaS16_S17_EUlS16_E_NS1_11comp_targetILNS1_3genE10ELNS1_11target_archE1200ELNS1_3gpuE4ELNS1_3repE0EEENS1_30default_config_static_selectorELNS0_4arch9wavefront6targetE0EEEvT1_,@function
_ZN7rocprim17ROCPRIM_400000_NS6detail17trampoline_kernelINS0_14default_configENS1_25partition_config_selectorILNS1_17partition_subalgoE5EjNS0_10empty_typeEbEEZZNS1_14partition_implILS5_5ELb0ES3_mN6thrust23THRUST_200600_302600_NS6detail15normal_iteratorINSA_10device_ptrIjEEEEPS6_NSA_18transform_iteratorINSB_9not_fun_tINSA_8identityIjEEEESF_NSA_11use_defaultESM_EENS0_5tupleIJSF_S6_EEENSO_IJSG_SG_EEES6_PlJS6_EEE10hipError_tPvRmT3_T4_T5_T6_T7_T9_mT8_P12ihipStream_tbDpT10_ENKUlT_T0_E_clISt17integral_constantIbLb1EES1A_IbLb0EEEEDaS16_S17_EUlS16_E_NS1_11comp_targetILNS1_3genE10ELNS1_11target_archE1200ELNS1_3gpuE4ELNS1_3repE0EEENS1_30default_config_static_selectorELNS0_4arch9wavefront6targetE0EEEvT1_: ; @_ZN7rocprim17ROCPRIM_400000_NS6detail17trampoline_kernelINS0_14default_configENS1_25partition_config_selectorILNS1_17partition_subalgoE5EjNS0_10empty_typeEbEEZZNS1_14partition_implILS5_5ELb0ES3_mN6thrust23THRUST_200600_302600_NS6detail15normal_iteratorINSA_10device_ptrIjEEEEPS6_NSA_18transform_iteratorINSB_9not_fun_tINSA_8identityIjEEEESF_NSA_11use_defaultESM_EENS0_5tupleIJSF_S6_EEENSO_IJSG_SG_EEES6_PlJS6_EEE10hipError_tPvRmT3_T4_T5_T6_T7_T9_mT8_P12ihipStream_tbDpT10_ENKUlT_T0_E_clISt17integral_constantIbLb1EES1A_IbLb0EEEEDaS16_S17_EUlS16_E_NS1_11comp_targetILNS1_3genE10ELNS1_11target_archE1200ELNS1_3gpuE4ELNS1_3repE0EEENS1_30default_config_static_selectorELNS0_4arch9wavefront6targetE0EEEvT1_
; %bb.0:
	s_endpgm
	.section	.rodata,"a",@progbits
	.p2align	6, 0x0
	.amdhsa_kernel _ZN7rocprim17ROCPRIM_400000_NS6detail17trampoline_kernelINS0_14default_configENS1_25partition_config_selectorILNS1_17partition_subalgoE5EjNS0_10empty_typeEbEEZZNS1_14partition_implILS5_5ELb0ES3_mN6thrust23THRUST_200600_302600_NS6detail15normal_iteratorINSA_10device_ptrIjEEEEPS6_NSA_18transform_iteratorINSB_9not_fun_tINSA_8identityIjEEEESF_NSA_11use_defaultESM_EENS0_5tupleIJSF_S6_EEENSO_IJSG_SG_EEES6_PlJS6_EEE10hipError_tPvRmT3_T4_T5_T6_T7_T9_mT8_P12ihipStream_tbDpT10_ENKUlT_T0_E_clISt17integral_constantIbLb1EES1A_IbLb0EEEEDaS16_S17_EUlS16_E_NS1_11comp_targetILNS1_3genE10ELNS1_11target_archE1200ELNS1_3gpuE4ELNS1_3repE0EEENS1_30default_config_static_selectorELNS0_4arch9wavefront6targetE0EEEvT1_
		.amdhsa_group_segment_fixed_size 0
		.amdhsa_private_segment_fixed_size 0
		.amdhsa_kernarg_size 120
		.amdhsa_user_sgpr_count 2
		.amdhsa_user_sgpr_dispatch_ptr 0
		.amdhsa_user_sgpr_queue_ptr 0
		.amdhsa_user_sgpr_kernarg_segment_ptr 1
		.amdhsa_user_sgpr_dispatch_id 0
		.amdhsa_user_sgpr_private_segment_size 0
		.amdhsa_wavefront_size32 1
		.amdhsa_uses_dynamic_stack 0
		.amdhsa_enable_private_segment 0
		.amdhsa_system_sgpr_workgroup_id_x 1
		.amdhsa_system_sgpr_workgroup_id_y 0
		.amdhsa_system_sgpr_workgroup_id_z 0
		.amdhsa_system_sgpr_workgroup_info 0
		.amdhsa_system_vgpr_workitem_id 0
		.amdhsa_next_free_vgpr 1
		.amdhsa_next_free_sgpr 1
		.amdhsa_reserve_vcc 0
		.amdhsa_float_round_mode_32 0
		.amdhsa_float_round_mode_16_64 0
		.amdhsa_float_denorm_mode_32 3
		.amdhsa_float_denorm_mode_16_64 3
		.amdhsa_fp16_overflow 0
		.amdhsa_workgroup_processor_mode 1
		.amdhsa_memory_ordered 1
		.amdhsa_forward_progress 1
		.amdhsa_inst_pref_size 1
		.amdhsa_round_robin_scheduling 0
		.amdhsa_exception_fp_ieee_invalid_op 0
		.amdhsa_exception_fp_denorm_src 0
		.amdhsa_exception_fp_ieee_div_zero 0
		.amdhsa_exception_fp_ieee_overflow 0
		.amdhsa_exception_fp_ieee_underflow 0
		.amdhsa_exception_fp_ieee_inexact 0
		.amdhsa_exception_int_div_zero 0
	.end_amdhsa_kernel
	.section	.text._ZN7rocprim17ROCPRIM_400000_NS6detail17trampoline_kernelINS0_14default_configENS1_25partition_config_selectorILNS1_17partition_subalgoE5EjNS0_10empty_typeEbEEZZNS1_14partition_implILS5_5ELb0ES3_mN6thrust23THRUST_200600_302600_NS6detail15normal_iteratorINSA_10device_ptrIjEEEEPS6_NSA_18transform_iteratorINSB_9not_fun_tINSA_8identityIjEEEESF_NSA_11use_defaultESM_EENS0_5tupleIJSF_S6_EEENSO_IJSG_SG_EEES6_PlJS6_EEE10hipError_tPvRmT3_T4_T5_T6_T7_T9_mT8_P12ihipStream_tbDpT10_ENKUlT_T0_E_clISt17integral_constantIbLb1EES1A_IbLb0EEEEDaS16_S17_EUlS16_E_NS1_11comp_targetILNS1_3genE10ELNS1_11target_archE1200ELNS1_3gpuE4ELNS1_3repE0EEENS1_30default_config_static_selectorELNS0_4arch9wavefront6targetE0EEEvT1_,"axG",@progbits,_ZN7rocprim17ROCPRIM_400000_NS6detail17trampoline_kernelINS0_14default_configENS1_25partition_config_selectorILNS1_17partition_subalgoE5EjNS0_10empty_typeEbEEZZNS1_14partition_implILS5_5ELb0ES3_mN6thrust23THRUST_200600_302600_NS6detail15normal_iteratorINSA_10device_ptrIjEEEEPS6_NSA_18transform_iteratorINSB_9not_fun_tINSA_8identityIjEEEESF_NSA_11use_defaultESM_EENS0_5tupleIJSF_S6_EEENSO_IJSG_SG_EEES6_PlJS6_EEE10hipError_tPvRmT3_T4_T5_T6_T7_T9_mT8_P12ihipStream_tbDpT10_ENKUlT_T0_E_clISt17integral_constantIbLb1EES1A_IbLb0EEEEDaS16_S17_EUlS16_E_NS1_11comp_targetILNS1_3genE10ELNS1_11target_archE1200ELNS1_3gpuE4ELNS1_3repE0EEENS1_30default_config_static_selectorELNS0_4arch9wavefront6targetE0EEEvT1_,comdat
.Lfunc_end906:
	.size	_ZN7rocprim17ROCPRIM_400000_NS6detail17trampoline_kernelINS0_14default_configENS1_25partition_config_selectorILNS1_17partition_subalgoE5EjNS0_10empty_typeEbEEZZNS1_14partition_implILS5_5ELb0ES3_mN6thrust23THRUST_200600_302600_NS6detail15normal_iteratorINSA_10device_ptrIjEEEEPS6_NSA_18transform_iteratorINSB_9not_fun_tINSA_8identityIjEEEESF_NSA_11use_defaultESM_EENS0_5tupleIJSF_S6_EEENSO_IJSG_SG_EEES6_PlJS6_EEE10hipError_tPvRmT3_T4_T5_T6_T7_T9_mT8_P12ihipStream_tbDpT10_ENKUlT_T0_E_clISt17integral_constantIbLb1EES1A_IbLb0EEEEDaS16_S17_EUlS16_E_NS1_11comp_targetILNS1_3genE10ELNS1_11target_archE1200ELNS1_3gpuE4ELNS1_3repE0EEENS1_30default_config_static_selectorELNS0_4arch9wavefront6targetE0EEEvT1_, .Lfunc_end906-_ZN7rocprim17ROCPRIM_400000_NS6detail17trampoline_kernelINS0_14default_configENS1_25partition_config_selectorILNS1_17partition_subalgoE5EjNS0_10empty_typeEbEEZZNS1_14partition_implILS5_5ELb0ES3_mN6thrust23THRUST_200600_302600_NS6detail15normal_iteratorINSA_10device_ptrIjEEEEPS6_NSA_18transform_iteratorINSB_9not_fun_tINSA_8identityIjEEEESF_NSA_11use_defaultESM_EENS0_5tupleIJSF_S6_EEENSO_IJSG_SG_EEES6_PlJS6_EEE10hipError_tPvRmT3_T4_T5_T6_T7_T9_mT8_P12ihipStream_tbDpT10_ENKUlT_T0_E_clISt17integral_constantIbLb1EES1A_IbLb0EEEEDaS16_S17_EUlS16_E_NS1_11comp_targetILNS1_3genE10ELNS1_11target_archE1200ELNS1_3gpuE4ELNS1_3repE0EEENS1_30default_config_static_selectorELNS0_4arch9wavefront6targetE0EEEvT1_
                                        ; -- End function
	.set _ZN7rocprim17ROCPRIM_400000_NS6detail17trampoline_kernelINS0_14default_configENS1_25partition_config_selectorILNS1_17partition_subalgoE5EjNS0_10empty_typeEbEEZZNS1_14partition_implILS5_5ELb0ES3_mN6thrust23THRUST_200600_302600_NS6detail15normal_iteratorINSA_10device_ptrIjEEEEPS6_NSA_18transform_iteratorINSB_9not_fun_tINSA_8identityIjEEEESF_NSA_11use_defaultESM_EENS0_5tupleIJSF_S6_EEENSO_IJSG_SG_EEES6_PlJS6_EEE10hipError_tPvRmT3_T4_T5_T6_T7_T9_mT8_P12ihipStream_tbDpT10_ENKUlT_T0_E_clISt17integral_constantIbLb1EES1A_IbLb0EEEEDaS16_S17_EUlS16_E_NS1_11comp_targetILNS1_3genE10ELNS1_11target_archE1200ELNS1_3gpuE4ELNS1_3repE0EEENS1_30default_config_static_selectorELNS0_4arch9wavefront6targetE0EEEvT1_.num_vgpr, 0
	.set _ZN7rocprim17ROCPRIM_400000_NS6detail17trampoline_kernelINS0_14default_configENS1_25partition_config_selectorILNS1_17partition_subalgoE5EjNS0_10empty_typeEbEEZZNS1_14partition_implILS5_5ELb0ES3_mN6thrust23THRUST_200600_302600_NS6detail15normal_iteratorINSA_10device_ptrIjEEEEPS6_NSA_18transform_iteratorINSB_9not_fun_tINSA_8identityIjEEEESF_NSA_11use_defaultESM_EENS0_5tupleIJSF_S6_EEENSO_IJSG_SG_EEES6_PlJS6_EEE10hipError_tPvRmT3_T4_T5_T6_T7_T9_mT8_P12ihipStream_tbDpT10_ENKUlT_T0_E_clISt17integral_constantIbLb1EES1A_IbLb0EEEEDaS16_S17_EUlS16_E_NS1_11comp_targetILNS1_3genE10ELNS1_11target_archE1200ELNS1_3gpuE4ELNS1_3repE0EEENS1_30default_config_static_selectorELNS0_4arch9wavefront6targetE0EEEvT1_.num_agpr, 0
	.set _ZN7rocprim17ROCPRIM_400000_NS6detail17trampoline_kernelINS0_14default_configENS1_25partition_config_selectorILNS1_17partition_subalgoE5EjNS0_10empty_typeEbEEZZNS1_14partition_implILS5_5ELb0ES3_mN6thrust23THRUST_200600_302600_NS6detail15normal_iteratorINSA_10device_ptrIjEEEEPS6_NSA_18transform_iteratorINSB_9not_fun_tINSA_8identityIjEEEESF_NSA_11use_defaultESM_EENS0_5tupleIJSF_S6_EEENSO_IJSG_SG_EEES6_PlJS6_EEE10hipError_tPvRmT3_T4_T5_T6_T7_T9_mT8_P12ihipStream_tbDpT10_ENKUlT_T0_E_clISt17integral_constantIbLb1EES1A_IbLb0EEEEDaS16_S17_EUlS16_E_NS1_11comp_targetILNS1_3genE10ELNS1_11target_archE1200ELNS1_3gpuE4ELNS1_3repE0EEENS1_30default_config_static_selectorELNS0_4arch9wavefront6targetE0EEEvT1_.numbered_sgpr, 0
	.set _ZN7rocprim17ROCPRIM_400000_NS6detail17trampoline_kernelINS0_14default_configENS1_25partition_config_selectorILNS1_17partition_subalgoE5EjNS0_10empty_typeEbEEZZNS1_14partition_implILS5_5ELb0ES3_mN6thrust23THRUST_200600_302600_NS6detail15normal_iteratorINSA_10device_ptrIjEEEEPS6_NSA_18transform_iteratorINSB_9not_fun_tINSA_8identityIjEEEESF_NSA_11use_defaultESM_EENS0_5tupleIJSF_S6_EEENSO_IJSG_SG_EEES6_PlJS6_EEE10hipError_tPvRmT3_T4_T5_T6_T7_T9_mT8_P12ihipStream_tbDpT10_ENKUlT_T0_E_clISt17integral_constantIbLb1EES1A_IbLb0EEEEDaS16_S17_EUlS16_E_NS1_11comp_targetILNS1_3genE10ELNS1_11target_archE1200ELNS1_3gpuE4ELNS1_3repE0EEENS1_30default_config_static_selectorELNS0_4arch9wavefront6targetE0EEEvT1_.num_named_barrier, 0
	.set _ZN7rocprim17ROCPRIM_400000_NS6detail17trampoline_kernelINS0_14default_configENS1_25partition_config_selectorILNS1_17partition_subalgoE5EjNS0_10empty_typeEbEEZZNS1_14partition_implILS5_5ELb0ES3_mN6thrust23THRUST_200600_302600_NS6detail15normal_iteratorINSA_10device_ptrIjEEEEPS6_NSA_18transform_iteratorINSB_9not_fun_tINSA_8identityIjEEEESF_NSA_11use_defaultESM_EENS0_5tupleIJSF_S6_EEENSO_IJSG_SG_EEES6_PlJS6_EEE10hipError_tPvRmT3_T4_T5_T6_T7_T9_mT8_P12ihipStream_tbDpT10_ENKUlT_T0_E_clISt17integral_constantIbLb1EES1A_IbLb0EEEEDaS16_S17_EUlS16_E_NS1_11comp_targetILNS1_3genE10ELNS1_11target_archE1200ELNS1_3gpuE4ELNS1_3repE0EEENS1_30default_config_static_selectorELNS0_4arch9wavefront6targetE0EEEvT1_.private_seg_size, 0
	.set _ZN7rocprim17ROCPRIM_400000_NS6detail17trampoline_kernelINS0_14default_configENS1_25partition_config_selectorILNS1_17partition_subalgoE5EjNS0_10empty_typeEbEEZZNS1_14partition_implILS5_5ELb0ES3_mN6thrust23THRUST_200600_302600_NS6detail15normal_iteratorINSA_10device_ptrIjEEEEPS6_NSA_18transform_iteratorINSB_9not_fun_tINSA_8identityIjEEEESF_NSA_11use_defaultESM_EENS0_5tupleIJSF_S6_EEENSO_IJSG_SG_EEES6_PlJS6_EEE10hipError_tPvRmT3_T4_T5_T6_T7_T9_mT8_P12ihipStream_tbDpT10_ENKUlT_T0_E_clISt17integral_constantIbLb1EES1A_IbLb0EEEEDaS16_S17_EUlS16_E_NS1_11comp_targetILNS1_3genE10ELNS1_11target_archE1200ELNS1_3gpuE4ELNS1_3repE0EEENS1_30default_config_static_selectorELNS0_4arch9wavefront6targetE0EEEvT1_.uses_vcc, 0
	.set _ZN7rocprim17ROCPRIM_400000_NS6detail17trampoline_kernelINS0_14default_configENS1_25partition_config_selectorILNS1_17partition_subalgoE5EjNS0_10empty_typeEbEEZZNS1_14partition_implILS5_5ELb0ES3_mN6thrust23THRUST_200600_302600_NS6detail15normal_iteratorINSA_10device_ptrIjEEEEPS6_NSA_18transform_iteratorINSB_9not_fun_tINSA_8identityIjEEEESF_NSA_11use_defaultESM_EENS0_5tupleIJSF_S6_EEENSO_IJSG_SG_EEES6_PlJS6_EEE10hipError_tPvRmT3_T4_T5_T6_T7_T9_mT8_P12ihipStream_tbDpT10_ENKUlT_T0_E_clISt17integral_constantIbLb1EES1A_IbLb0EEEEDaS16_S17_EUlS16_E_NS1_11comp_targetILNS1_3genE10ELNS1_11target_archE1200ELNS1_3gpuE4ELNS1_3repE0EEENS1_30default_config_static_selectorELNS0_4arch9wavefront6targetE0EEEvT1_.uses_flat_scratch, 0
	.set _ZN7rocprim17ROCPRIM_400000_NS6detail17trampoline_kernelINS0_14default_configENS1_25partition_config_selectorILNS1_17partition_subalgoE5EjNS0_10empty_typeEbEEZZNS1_14partition_implILS5_5ELb0ES3_mN6thrust23THRUST_200600_302600_NS6detail15normal_iteratorINSA_10device_ptrIjEEEEPS6_NSA_18transform_iteratorINSB_9not_fun_tINSA_8identityIjEEEESF_NSA_11use_defaultESM_EENS0_5tupleIJSF_S6_EEENSO_IJSG_SG_EEES6_PlJS6_EEE10hipError_tPvRmT3_T4_T5_T6_T7_T9_mT8_P12ihipStream_tbDpT10_ENKUlT_T0_E_clISt17integral_constantIbLb1EES1A_IbLb0EEEEDaS16_S17_EUlS16_E_NS1_11comp_targetILNS1_3genE10ELNS1_11target_archE1200ELNS1_3gpuE4ELNS1_3repE0EEENS1_30default_config_static_selectorELNS0_4arch9wavefront6targetE0EEEvT1_.has_dyn_sized_stack, 0
	.set _ZN7rocprim17ROCPRIM_400000_NS6detail17trampoline_kernelINS0_14default_configENS1_25partition_config_selectorILNS1_17partition_subalgoE5EjNS0_10empty_typeEbEEZZNS1_14partition_implILS5_5ELb0ES3_mN6thrust23THRUST_200600_302600_NS6detail15normal_iteratorINSA_10device_ptrIjEEEEPS6_NSA_18transform_iteratorINSB_9not_fun_tINSA_8identityIjEEEESF_NSA_11use_defaultESM_EENS0_5tupleIJSF_S6_EEENSO_IJSG_SG_EEES6_PlJS6_EEE10hipError_tPvRmT3_T4_T5_T6_T7_T9_mT8_P12ihipStream_tbDpT10_ENKUlT_T0_E_clISt17integral_constantIbLb1EES1A_IbLb0EEEEDaS16_S17_EUlS16_E_NS1_11comp_targetILNS1_3genE10ELNS1_11target_archE1200ELNS1_3gpuE4ELNS1_3repE0EEENS1_30default_config_static_selectorELNS0_4arch9wavefront6targetE0EEEvT1_.has_recursion, 0
	.set _ZN7rocprim17ROCPRIM_400000_NS6detail17trampoline_kernelINS0_14default_configENS1_25partition_config_selectorILNS1_17partition_subalgoE5EjNS0_10empty_typeEbEEZZNS1_14partition_implILS5_5ELb0ES3_mN6thrust23THRUST_200600_302600_NS6detail15normal_iteratorINSA_10device_ptrIjEEEEPS6_NSA_18transform_iteratorINSB_9not_fun_tINSA_8identityIjEEEESF_NSA_11use_defaultESM_EENS0_5tupleIJSF_S6_EEENSO_IJSG_SG_EEES6_PlJS6_EEE10hipError_tPvRmT3_T4_T5_T6_T7_T9_mT8_P12ihipStream_tbDpT10_ENKUlT_T0_E_clISt17integral_constantIbLb1EES1A_IbLb0EEEEDaS16_S17_EUlS16_E_NS1_11comp_targetILNS1_3genE10ELNS1_11target_archE1200ELNS1_3gpuE4ELNS1_3repE0EEENS1_30default_config_static_selectorELNS0_4arch9wavefront6targetE0EEEvT1_.has_indirect_call, 0
	.section	.AMDGPU.csdata,"",@progbits
; Kernel info:
; codeLenInByte = 4
; TotalNumSgprs: 0
; NumVgprs: 0
; ScratchSize: 0
; MemoryBound: 0
; FloatMode: 240
; IeeeMode: 1
; LDSByteSize: 0 bytes/workgroup (compile time only)
; SGPRBlocks: 0
; VGPRBlocks: 0
; NumSGPRsForWavesPerEU: 1
; NumVGPRsForWavesPerEU: 1
; Occupancy: 16
; WaveLimiterHint : 0
; COMPUTE_PGM_RSRC2:SCRATCH_EN: 0
; COMPUTE_PGM_RSRC2:USER_SGPR: 2
; COMPUTE_PGM_RSRC2:TRAP_HANDLER: 0
; COMPUTE_PGM_RSRC2:TGID_X_EN: 1
; COMPUTE_PGM_RSRC2:TGID_Y_EN: 0
; COMPUTE_PGM_RSRC2:TGID_Z_EN: 0
; COMPUTE_PGM_RSRC2:TIDIG_COMP_CNT: 0
	.section	.text._ZN7rocprim17ROCPRIM_400000_NS6detail17trampoline_kernelINS0_14default_configENS1_25partition_config_selectorILNS1_17partition_subalgoE5EjNS0_10empty_typeEbEEZZNS1_14partition_implILS5_5ELb0ES3_mN6thrust23THRUST_200600_302600_NS6detail15normal_iteratorINSA_10device_ptrIjEEEEPS6_NSA_18transform_iteratorINSB_9not_fun_tINSA_8identityIjEEEESF_NSA_11use_defaultESM_EENS0_5tupleIJSF_S6_EEENSO_IJSG_SG_EEES6_PlJS6_EEE10hipError_tPvRmT3_T4_T5_T6_T7_T9_mT8_P12ihipStream_tbDpT10_ENKUlT_T0_E_clISt17integral_constantIbLb1EES1A_IbLb0EEEEDaS16_S17_EUlS16_E_NS1_11comp_targetILNS1_3genE9ELNS1_11target_archE1100ELNS1_3gpuE3ELNS1_3repE0EEENS1_30default_config_static_selectorELNS0_4arch9wavefront6targetE0EEEvT1_,"axG",@progbits,_ZN7rocprim17ROCPRIM_400000_NS6detail17trampoline_kernelINS0_14default_configENS1_25partition_config_selectorILNS1_17partition_subalgoE5EjNS0_10empty_typeEbEEZZNS1_14partition_implILS5_5ELb0ES3_mN6thrust23THRUST_200600_302600_NS6detail15normal_iteratorINSA_10device_ptrIjEEEEPS6_NSA_18transform_iteratorINSB_9not_fun_tINSA_8identityIjEEEESF_NSA_11use_defaultESM_EENS0_5tupleIJSF_S6_EEENSO_IJSG_SG_EEES6_PlJS6_EEE10hipError_tPvRmT3_T4_T5_T6_T7_T9_mT8_P12ihipStream_tbDpT10_ENKUlT_T0_E_clISt17integral_constantIbLb1EES1A_IbLb0EEEEDaS16_S17_EUlS16_E_NS1_11comp_targetILNS1_3genE9ELNS1_11target_archE1100ELNS1_3gpuE3ELNS1_3repE0EEENS1_30default_config_static_selectorELNS0_4arch9wavefront6targetE0EEEvT1_,comdat
	.protected	_ZN7rocprim17ROCPRIM_400000_NS6detail17trampoline_kernelINS0_14default_configENS1_25partition_config_selectorILNS1_17partition_subalgoE5EjNS0_10empty_typeEbEEZZNS1_14partition_implILS5_5ELb0ES3_mN6thrust23THRUST_200600_302600_NS6detail15normal_iteratorINSA_10device_ptrIjEEEEPS6_NSA_18transform_iteratorINSB_9not_fun_tINSA_8identityIjEEEESF_NSA_11use_defaultESM_EENS0_5tupleIJSF_S6_EEENSO_IJSG_SG_EEES6_PlJS6_EEE10hipError_tPvRmT3_T4_T5_T6_T7_T9_mT8_P12ihipStream_tbDpT10_ENKUlT_T0_E_clISt17integral_constantIbLb1EES1A_IbLb0EEEEDaS16_S17_EUlS16_E_NS1_11comp_targetILNS1_3genE9ELNS1_11target_archE1100ELNS1_3gpuE3ELNS1_3repE0EEENS1_30default_config_static_selectorELNS0_4arch9wavefront6targetE0EEEvT1_ ; -- Begin function _ZN7rocprim17ROCPRIM_400000_NS6detail17trampoline_kernelINS0_14default_configENS1_25partition_config_selectorILNS1_17partition_subalgoE5EjNS0_10empty_typeEbEEZZNS1_14partition_implILS5_5ELb0ES3_mN6thrust23THRUST_200600_302600_NS6detail15normal_iteratorINSA_10device_ptrIjEEEEPS6_NSA_18transform_iteratorINSB_9not_fun_tINSA_8identityIjEEEESF_NSA_11use_defaultESM_EENS0_5tupleIJSF_S6_EEENSO_IJSG_SG_EEES6_PlJS6_EEE10hipError_tPvRmT3_T4_T5_T6_T7_T9_mT8_P12ihipStream_tbDpT10_ENKUlT_T0_E_clISt17integral_constantIbLb1EES1A_IbLb0EEEEDaS16_S17_EUlS16_E_NS1_11comp_targetILNS1_3genE9ELNS1_11target_archE1100ELNS1_3gpuE3ELNS1_3repE0EEENS1_30default_config_static_selectorELNS0_4arch9wavefront6targetE0EEEvT1_
	.globl	_ZN7rocprim17ROCPRIM_400000_NS6detail17trampoline_kernelINS0_14default_configENS1_25partition_config_selectorILNS1_17partition_subalgoE5EjNS0_10empty_typeEbEEZZNS1_14partition_implILS5_5ELb0ES3_mN6thrust23THRUST_200600_302600_NS6detail15normal_iteratorINSA_10device_ptrIjEEEEPS6_NSA_18transform_iteratorINSB_9not_fun_tINSA_8identityIjEEEESF_NSA_11use_defaultESM_EENS0_5tupleIJSF_S6_EEENSO_IJSG_SG_EEES6_PlJS6_EEE10hipError_tPvRmT3_T4_T5_T6_T7_T9_mT8_P12ihipStream_tbDpT10_ENKUlT_T0_E_clISt17integral_constantIbLb1EES1A_IbLb0EEEEDaS16_S17_EUlS16_E_NS1_11comp_targetILNS1_3genE9ELNS1_11target_archE1100ELNS1_3gpuE3ELNS1_3repE0EEENS1_30default_config_static_selectorELNS0_4arch9wavefront6targetE0EEEvT1_
	.p2align	8
	.type	_ZN7rocprim17ROCPRIM_400000_NS6detail17trampoline_kernelINS0_14default_configENS1_25partition_config_selectorILNS1_17partition_subalgoE5EjNS0_10empty_typeEbEEZZNS1_14partition_implILS5_5ELb0ES3_mN6thrust23THRUST_200600_302600_NS6detail15normal_iteratorINSA_10device_ptrIjEEEEPS6_NSA_18transform_iteratorINSB_9not_fun_tINSA_8identityIjEEEESF_NSA_11use_defaultESM_EENS0_5tupleIJSF_S6_EEENSO_IJSG_SG_EEES6_PlJS6_EEE10hipError_tPvRmT3_T4_T5_T6_T7_T9_mT8_P12ihipStream_tbDpT10_ENKUlT_T0_E_clISt17integral_constantIbLb1EES1A_IbLb0EEEEDaS16_S17_EUlS16_E_NS1_11comp_targetILNS1_3genE9ELNS1_11target_archE1100ELNS1_3gpuE3ELNS1_3repE0EEENS1_30default_config_static_selectorELNS0_4arch9wavefront6targetE0EEEvT1_,@function
_ZN7rocprim17ROCPRIM_400000_NS6detail17trampoline_kernelINS0_14default_configENS1_25partition_config_selectorILNS1_17partition_subalgoE5EjNS0_10empty_typeEbEEZZNS1_14partition_implILS5_5ELb0ES3_mN6thrust23THRUST_200600_302600_NS6detail15normal_iteratorINSA_10device_ptrIjEEEEPS6_NSA_18transform_iteratorINSB_9not_fun_tINSA_8identityIjEEEESF_NSA_11use_defaultESM_EENS0_5tupleIJSF_S6_EEENSO_IJSG_SG_EEES6_PlJS6_EEE10hipError_tPvRmT3_T4_T5_T6_T7_T9_mT8_P12ihipStream_tbDpT10_ENKUlT_T0_E_clISt17integral_constantIbLb1EES1A_IbLb0EEEEDaS16_S17_EUlS16_E_NS1_11comp_targetILNS1_3genE9ELNS1_11target_archE1100ELNS1_3gpuE3ELNS1_3repE0EEENS1_30default_config_static_selectorELNS0_4arch9wavefront6targetE0EEEvT1_: ; @_ZN7rocprim17ROCPRIM_400000_NS6detail17trampoline_kernelINS0_14default_configENS1_25partition_config_selectorILNS1_17partition_subalgoE5EjNS0_10empty_typeEbEEZZNS1_14partition_implILS5_5ELb0ES3_mN6thrust23THRUST_200600_302600_NS6detail15normal_iteratorINSA_10device_ptrIjEEEEPS6_NSA_18transform_iteratorINSB_9not_fun_tINSA_8identityIjEEEESF_NSA_11use_defaultESM_EENS0_5tupleIJSF_S6_EEENSO_IJSG_SG_EEES6_PlJS6_EEE10hipError_tPvRmT3_T4_T5_T6_T7_T9_mT8_P12ihipStream_tbDpT10_ENKUlT_T0_E_clISt17integral_constantIbLb1EES1A_IbLb0EEEEDaS16_S17_EUlS16_E_NS1_11comp_targetILNS1_3genE9ELNS1_11target_archE1100ELNS1_3gpuE3ELNS1_3repE0EEENS1_30default_config_static_selectorELNS0_4arch9wavefront6targetE0EEEvT1_
; %bb.0:
	.section	.rodata,"a",@progbits
	.p2align	6, 0x0
	.amdhsa_kernel _ZN7rocprim17ROCPRIM_400000_NS6detail17trampoline_kernelINS0_14default_configENS1_25partition_config_selectorILNS1_17partition_subalgoE5EjNS0_10empty_typeEbEEZZNS1_14partition_implILS5_5ELb0ES3_mN6thrust23THRUST_200600_302600_NS6detail15normal_iteratorINSA_10device_ptrIjEEEEPS6_NSA_18transform_iteratorINSB_9not_fun_tINSA_8identityIjEEEESF_NSA_11use_defaultESM_EENS0_5tupleIJSF_S6_EEENSO_IJSG_SG_EEES6_PlJS6_EEE10hipError_tPvRmT3_T4_T5_T6_T7_T9_mT8_P12ihipStream_tbDpT10_ENKUlT_T0_E_clISt17integral_constantIbLb1EES1A_IbLb0EEEEDaS16_S17_EUlS16_E_NS1_11comp_targetILNS1_3genE9ELNS1_11target_archE1100ELNS1_3gpuE3ELNS1_3repE0EEENS1_30default_config_static_selectorELNS0_4arch9wavefront6targetE0EEEvT1_
		.amdhsa_group_segment_fixed_size 0
		.amdhsa_private_segment_fixed_size 0
		.amdhsa_kernarg_size 120
		.amdhsa_user_sgpr_count 2
		.amdhsa_user_sgpr_dispatch_ptr 0
		.amdhsa_user_sgpr_queue_ptr 0
		.amdhsa_user_sgpr_kernarg_segment_ptr 1
		.amdhsa_user_sgpr_dispatch_id 0
		.amdhsa_user_sgpr_private_segment_size 0
		.amdhsa_wavefront_size32 1
		.amdhsa_uses_dynamic_stack 0
		.amdhsa_enable_private_segment 0
		.amdhsa_system_sgpr_workgroup_id_x 1
		.amdhsa_system_sgpr_workgroup_id_y 0
		.amdhsa_system_sgpr_workgroup_id_z 0
		.amdhsa_system_sgpr_workgroup_info 0
		.amdhsa_system_vgpr_workitem_id 0
		.amdhsa_next_free_vgpr 1
		.amdhsa_next_free_sgpr 1
		.amdhsa_reserve_vcc 0
		.amdhsa_float_round_mode_32 0
		.amdhsa_float_round_mode_16_64 0
		.amdhsa_float_denorm_mode_32 3
		.amdhsa_float_denorm_mode_16_64 3
		.amdhsa_fp16_overflow 0
		.amdhsa_workgroup_processor_mode 1
		.amdhsa_memory_ordered 1
		.amdhsa_forward_progress 1
		.amdhsa_inst_pref_size 0
		.amdhsa_round_robin_scheduling 0
		.amdhsa_exception_fp_ieee_invalid_op 0
		.amdhsa_exception_fp_denorm_src 0
		.amdhsa_exception_fp_ieee_div_zero 0
		.amdhsa_exception_fp_ieee_overflow 0
		.amdhsa_exception_fp_ieee_underflow 0
		.amdhsa_exception_fp_ieee_inexact 0
		.amdhsa_exception_int_div_zero 0
	.end_amdhsa_kernel
	.section	.text._ZN7rocprim17ROCPRIM_400000_NS6detail17trampoline_kernelINS0_14default_configENS1_25partition_config_selectorILNS1_17partition_subalgoE5EjNS0_10empty_typeEbEEZZNS1_14partition_implILS5_5ELb0ES3_mN6thrust23THRUST_200600_302600_NS6detail15normal_iteratorINSA_10device_ptrIjEEEEPS6_NSA_18transform_iteratorINSB_9not_fun_tINSA_8identityIjEEEESF_NSA_11use_defaultESM_EENS0_5tupleIJSF_S6_EEENSO_IJSG_SG_EEES6_PlJS6_EEE10hipError_tPvRmT3_T4_T5_T6_T7_T9_mT8_P12ihipStream_tbDpT10_ENKUlT_T0_E_clISt17integral_constantIbLb1EES1A_IbLb0EEEEDaS16_S17_EUlS16_E_NS1_11comp_targetILNS1_3genE9ELNS1_11target_archE1100ELNS1_3gpuE3ELNS1_3repE0EEENS1_30default_config_static_selectorELNS0_4arch9wavefront6targetE0EEEvT1_,"axG",@progbits,_ZN7rocprim17ROCPRIM_400000_NS6detail17trampoline_kernelINS0_14default_configENS1_25partition_config_selectorILNS1_17partition_subalgoE5EjNS0_10empty_typeEbEEZZNS1_14partition_implILS5_5ELb0ES3_mN6thrust23THRUST_200600_302600_NS6detail15normal_iteratorINSA_10device_ptrIjEEEEPS6_NSA_18transform_iteratorINSB_9not_fun_tINSA_8identityIjEEEESF_NSA_11use_defaultESM_EENS0_5tupleIJSF_S6_EEENSO_IJSG_SG_EEES6_PlJS6_EEE10hipError_tPvRmT3_T4_T5_T6_T7_T9_mT8_P12ihipStream_tbDpT10_ENKUlT_T0_E_clISt17integral_constantIbLb1EES1A_IbLb0EEEEDaS16_S17_EUlS16_E_NS1_11comp_targetILNS1_3genE9ELNS1_11target_archE1100ELNS1_3gpuE3ELNS1_3repE0EEENS1_30default_config_static_selectorELNS0_4arch9wavefront6targetE0EEEvT1_,comdat
.Lfunc_end907:
	.size	_ZN7rocprim17ROCPRIM_400000_NS6detail17trampoline_kernelINS0_14default_configENS1_25partition_config_selectorILNS1_17partition_subalgoE5EjNS0_10empty_typeEbEEZZNS1_14partition_implILS5_5ELb0ES3_mN6thrust23THRUST_200600_302600_NS6detail15normal_iteratorINSA_10device_ptrIjEEEEPS6_NSA_18transform_iteratorINSB_9not_fun_tINSA_8identityIjEEEESF_NSA_11use_defaultESM_EENS0_5tupleIJSF_S6_EEENSO_IJSG_SG_EEES6_PlJS6_EEE10hipError_tPvRmT3_T4_T5_T6_T7_T9_mT8_P12ihipStream_tbDpT10_ENKUlT_T0_E_clISt17integral_constantIbLb1EES1A_IbLb0EEEEDaS16_S17_EUlS16_E_NS1_11comp_targetILNS1_3genE9ELNS1_11target_archE1100ELNS1_3gpuE3ELNS1_3repE0EEENS1_30default_config_static_selectorELNS0_4arch9wavefront6targetE0EEEvT1_, .Lfunc_end907-_ZN7rocprim17ROCPRIM_400000_NS6detail17trampoline_kernelINS0_14default_configENS1_25partition_config_selectorILNS1_17partition_subalgoE5EjNS0_10empty_typeEbEEZZNS1_14partition_implILS5_5ELb0ES3_mN6thrust23THRUST_200600_302600_NS6detail15normal_iteratorINSA_10device_ptrIjEEEEPS6_NSA_18transform_iteratorINSB_9not_fun_tINSA_8identityIjEEEESF_NSA_11use_defaultESM_EENS0_5tupleIJSF_S6_EEENSO_IJSG_SG_EEES6_PlJS6_EEE10hipError_tPvRmT3_T4_T5_T6_T7_T9_mT8_P12ihipStream_tbDpT10_ENKUlT_T0_E_clISt17integral_constantIbLb1EES1A_IbLb0EEEEDaS16_S17_EUlS16_E_NS1_11comp_targetILNS1_3genE9ELNS1_11target_archE1100ELNS1_3gpuE3ELNS1_3repE0EEENS1_30default_config_static_selectorELNS0_4arch9wavefront6targetE0EEEvT1_
                                        ; -- End function
	.set _ZN7rocprim17ROCPRIM_400000_NS6detail17trampoline_kernelINS0_14default_configENS1_25partition_config_selectorILNS1_17partition_subalgoE5EjNS0_10empty_typeEbEEZZNS1_14partition_implILS5_5ELb0ES3_mN6thrust23THRUST_200600_302600_NS6detail15normal_iteratorINSA_10device_ptrIjEEEEPS6_NSA_18transform_iteratorINSB_9not_fun_tINSA_8identityIjEEEESF_NSA_11use_defaultESM_EENS0_5tupleIJSF_S6_EEENSO_IJSG_SG_EEES6_PlJS6_EEE10hipError_tPvRmT3_T4_T5_T6_T7_T9_mT8_P12ihipStream_tbDpT10_ENKUlT_T0_E_clISt17integral_constantIbLb1EES1A_IbLb0EEEEDaS16_S17_EUlS16_E_NS1_11comp_targetILNS1_3genE9ELNS1_11target_archE1100ELNS1_3gpuE3ELNS1_3repE0EEENS1_30default_config_static_selectorELNS0_4arch9wavefront6targetE0EEEvT1_.num_vgpr, 0
	.set _ZN7rocprim17ROCPRIM_400000_NS6detail17trampoline_kernelINS0_14default_configENS1_25partition_config_selectorILNS1_17partition_subalgoE5EjNS0_10empty_typeEbEEZZNS1_14partition_implILS5_5ELb0ES3_mN6thrust23THRUST_200600_302600_NS6detail15normal_iteratorINSA_10device_ptrIjEEEEPS6_NSA_18transform_iteratorINSB_9not_fun_tINSA_8identityIjEEEESF_NSA_11use_defaultESM_EENS0_5tupleIJSF_S6_EEENSO_IJSG_SG_EEES6_PlJS6_EEE10hipError_tPvRmT3_T4_T5_T6_T7_T9_mT8_P12ihipStream_tbDpT10_ENKUlT_T0_E_clISt17integral_constantIbLb1EES1A_IbLb0EEEEDaS16_S17_EUlS16_E_NS1_11comp_targetILNS1_3genE9ELNS1_11target_archE1100ELNS1_3gpuE3ELNS1_3repE0EEENS1_30default_config_static_selectorELNS0_4arch9wavefront6targetE0EEEvT1_.num_agpr, 0
	.set _ZN7rocprim17ROCPRIM_400000_NS6detail17trampoline_kernelINS0_14default_configENS1_25partition_config_selectorILNS1_17partition_subalgoE5EjNS0_10empty_typeEbEEZZNS1_14partition_implILS5_5ELb0ES3_mN6thrust23THRUST_200600_302600_NS6detail15normal_iteratorINSA_10device_ptrIjEEEEPS6_NSA_18transform_iteratorINSB_9not_fun_tINSA_8identityIjEEEESF_NSA_11use_defaultESM_EENS0_5tupleIJSF_S6_EEENSO_IJSG_SG_EEES6_PlJS6_EEE10hipError_tPvRmT3_T4_T5_T6_T7_T9_mT8_P12ihipStream_tbDpT10_ENKUlT_T0_E_clISt17integral_constantIbLb1EES1A_IbLb0EEEEDaS16_S17_EUlS16_E_NS1_11comp_targetILNS1_3genE9ELNS1_11target_archE1100ELNS1_3gpuE3ELNS1_3repE0EEENS1_30default_config_static_selectorELNS0_4arch9wavefront6targetE0EEEvT1_.numbered_sgpr, 0
	.set _ZN7rocprim17ROCPRIM_400000_NS6detail17trampoline_kernelINS0_14default_configENS1_25partition_config_selectorILNS1_17partition_subalgoE5EjNS0_10empty_typeEbEEZZNS1_14partition_implILS5_5ELb0ES3_mN6thrust23THRUST_200600_302600_NS6detail15normal_iteratorINSA_10device_ptrIjEEEEPS6_NSA_18transform_iteratorINSB_9not_fun_tINSA_8identityIjEEEESF_NSA_11use_defaultESM_EENS0_5tupleIJSF_S6_EEENSO_IJSG_SG_EEES6_PlJS6_EEE10hipError_tPvRmT3_T4_T5_T6_T7_T9_mT8_P12ihipStream_tbDpT10_ENKUlT_T0_E_clISt17integral_constantIbLb1EES1A_IbLb0EEEEDaS16_S17_EUlS16_E_NS1_11comp_targetILNS1_3genE9ELNS1_11target_archE1100ELNS1_3gpuE3ELNS1_3repE0EEENS1_30default_config_static_selectorELNS0_4arch9wavefront6targetE0EEEvT1_.num_named_barrier, 0
	.set _ZN7rocprim17ROCPRIM_400000_NS6detail17trampoline_kernelINS0_14default_configENS1_25partition_config_selectorILNS1_17partition_subalgoE5EjNS0_10empty_typeEbEEZZNS1_14partition_implILS5_5ELb0ES3_mN6thrust23THRUST_200600_302600_NS6detail15normal_iteratorINSA_10device_ptrIjEEEEPS6_NSA_18transform_iteratorINSB_9not_fun_tINSA_8identityIjEEEESF_NSA_11use_defaultESM_EENS0_5tupleIJSF_S6_EEENSO_IJSG_SG_EEES6_PlJS6_EEE10hipError_tPvRmT3_T4_T5_T6_T7_T9_mT8_P12ihipStream_tbDpT10_ENKUlT_T0_E_clISt17integral_constantIbLb1EES1A_IbLb0EEEEDaS16_S17_EUlS16_E_NS1_11comp_targetILNS1_3genE9ELNS1_11target_archE1100ELNS1_3gpuE3ELNS1_3repE0EEENS1_30default_config_static_selectorELNS0_4arch9wavefront6targetE0EEEvT1_.private_seg_size, 0
	.set _ZN7rocprim17ROCPRIM_400000_NS6detail17trampoline_kernelINS0_14default_configENS1_25partition_config_selectorILNS1_17partition_subalgoE5EjNS0_10empty_typeEbEEZZNS1_14partition_implILS5_5ELb0ES3_mN6thrust23THRUST_200600_302600_NS6detail15normal_iteratorINSA_10device_ptrIjEEEEPS6_NSA_18transform_iteratorINSB_9not_fun_tINSA_8identityIjEEEESF_NSA_11use_defaultESM_EENS0_5tupleIJSF_S6_EEENSO_IJSG_SG_EEES6_PlJS6_EEE10hipError_tPvRmT3_T4_T5_T6_T7_T9_mT8_P12ihipStream_tbDpT10_ENKUlT_T0_E_clISt17integral_constantIbLb1EES1A_IbLb0EEEEDaS16_S17_EUlS16_E_NS1_11comp_targetILNS1_3genE9ELNS1_11target_archE1100ELNS1_3gpuE3ELNS1_3repE0EEENS1_30default_config_static_selectorELNS0_4arch9wavefront6targetE0EEEvT1_.uses_vcc, 0
	.set _ZN7rocprim17ROCPRIM_400000_NS6detail17trampoline_kernelINS0_14default_configENS1_25partition_config_selectorILNS1_17partition_subalgoE5EjNS0_10empty_typeEbEEZZNS1_14partition_implILS5_5ELb0ES3_mN6thrust23THRUST_200600_302600_NS6detail15normal_iteratorINSA_10device_ptrIjEEEEPS6_NSA_18transform_iteratorINSB_9not_fun_tINSA_8identityIjEEEESF_NSA_11use_defaultESM_EENS0_5tupleIJSF_S6_EEENSO_IJSG_SG_EEES6_PlJS6_EEE10hipError_tPvRmT3_T4_T5_T6_T7_T9_mT8_P12ihipStream_tbDpT10_ENKUlT_T0_E_clISt17integral_constantIbLb1EES1A_IbLb0EEEEDaS16_S17_EUlS16_E_NS1_11comp_targetILNS1_3genE9ELNS1_11target_archE1100ELNS1_3gpuE3ELNS1_3repE0EEENS1_30default_config_static_selectorELNS0_4arch9wavefront6targetE0EEEvT1_.uses_flat_scratch, 0
	.set _ZN7rocprim17ROCPRIM_400000_NS6detail17trampoline_kernelINS0_14default_configENS1_25partition_config_selectorILNS1_17partition_subalgoE5EjNS0_10empty_typeEbEEZZNS1_14partition_implILS5_5ELb0ES3_mN6thrust23THRUST_200600_302600_NS6detail15normal_iteratorINSA_10device_ptrIjEEEEPS6_NSA_18transform_iteratorINSB_9not_fun_tINSA_8identityIjEEEESF_NSA_11use_defaultESM_EENS0_5tupleIJSF_S6_EEENSO_IJSG_SG_EEES6_PlJS6_EEE10hipError_tPvRmT3_T4_T5_T6_T7_T9_mT8_P12ihipStream_tbDpT10_ENKUlT_T0_E_clISt17integral_constantIbLb1EES1A_IbLb0EEEEDaS16_S17_EUlS16_E_NS1_11comp_targetILNS1_3genE9ELNS1_11target_archE1100ELNS1_3gpuE3ELNS1_3repE0EEENS1_30default_config_static_selectorELNS0_4arch9wavefront6targetE0EEEvT1_.has_dyn_sized_stack, 0
	.set _ZN7rocprim17ROCPRIM_400000_NS6detail17trampoline_kernelINS0_14default_configENS1_25partition_config_selectorILNS1_17partition_subalgoE5EjNS0_10empty_typeEbEEZZNS1_14partition_implILS5_5ELb0ES3_mN6thrust23THRUST_200600_302600_NS6detail15normal_iteratorINSA_10device_ptrIjEEEEPS6_NSA_18transform_iteratorINSB_9not_fun_tINSA_8identityIjEEEESF_NSA_11use_defaultESM_EENS0_5tupleIJSF_S6_EEENSO_IJSG_SG_EEES6_PlJS6_EEE10hipError_tPvRmT3_T4_T5_T6_T7_T9_mT8_P12ihipStream_tbDpT10_ENKUlT_T0_E_clISt17integral_constantIbLb1EES1A_IbLb0EEEEDaS16_S17_EUlS16_E_NS1_11comp_targetILNS1_3genE9ELNS1_11target_archE1100ELNS1_3gpuE3ELNS1_3repE0EEENS1_30default_config_static_selectorELNS0_4arch9wavefront6targetE0EEEvT1_.has_recursion, 0
	.set _ZN7rocprim17ROCPRIM_400000_NS6detail17trampoline_kernelINS0_14default_configENS1_25partition_config_selectorILNS1_17partition_subalgoE5EjNS0_10empty_typeEbEEZZNS1_14partition_implILS5_5ELb0ES3_mN6thrust23THRUST_200600_302600_NS6detail15normal_iteratorINSA_10device_ptrIjEEEEPS6_NSA_18transform_iteratorINSB_9not_fun_tINSA_8identityIjEEEESF_NSA_11use_defaultESM_EENS0_5tupleIJSF_S6_EEENSO_IJSG_SG_EEES6_PlJS6_EEE10hipError_tPvRmT3_T4_T5_T6_T7_T9_mT8_P12ihipStream_tbDpT10_ENKUlT_T0_E_clISt17integral_constantIbLb1EES1A_IbLb0EEEEDaS16_S17_EUlS16_E_NS1_11comp_targetILNS1_3genE9ELNS1_11target_archE1100ELNS1_3gpuE3ELNS1_3repE0EEENS1_30default_config_static_selectorELNS0_4arch9wavefront6targetE0EEEvT1_.has_indirect_call, 0
	.section	.AMDGPU.csdata,"",@progbits
; Kernel info:
; codeLenInByte = 0
; TotalNumSgprs: 0
; NumVgprs: 0
; ScratchSize: 0
; MemoryBound: 0
; FloatMode: 240
; IeeeMode: 1
; LDSByteSize: 0 bytes/workgroup (compile time only)
; SGPRBlocks: 0
; VGPRBlocks: 0
; NumSGPRsForWavesPerEU: 1
; NumVGPRsForWavesPerEU: 1
; Occupancy: 16
; WaveLimiterHint : 0
; COMPUTE_PGM_RSRC2:SCRATCH_EN: 0
; COMPUTE_PGM_RSRC2:USER_SGPR: 2
; COMPUTE_PGM_RSRC2:TRAP_HANDLER: 0
; COMPUTE_PGM_RSRC2:TGID_X_EN: 1
; COMPUTE_PGM_RSRC2:TGID_Y_EN: 0
; COMPUTE_PGM_RSRC2:TGID_Z_EN: 0
; COMPUTE_PGM_RSRC2:TIDIG_COMP_CNT: 0
	.section	.text._ZN7rocprim17ROCPRIM_400000_NS6detail17trampoline_kernelINS0_14default_configENS1_25partition_config_selectorILNS1_17partition_subalgoE5EjNS0_10empty_typeEbEEZZNS1_14partition_implILS5_5ELb0ES3_mN6thrust23THRUST_200600_302600_NS6detail15normal_iteratorINSA_10device_ptrIjEEEEPS6_NSA_18transform_iteratorINSB_9not_fun_tINSA_8identityIjEEEESF_NSA_11use_defaultESM_EENS0_5tupleIJSF_S6_EEENSO_IJSG_SG_EEES6_PlJS6_EEE10hipError_tPvRmT3_T4_T5_T6_T7_T9_mT8_P12ihipStream_tbDpT10_ENKUlT_T0_E_clISt17integral_constantIbLb1EES1A_IbLb0EEEEDaS16_S17_EUlS16_E_NS1_11comp_targetILNS1_3genE8ELNS1_11target_archE1030ELNS1_3gpuE2ELNS1_3repE0EEENS1_30default_config_static_selectorELNS0_4arch9wavefront6targetE0EEEvT1_,"axG",@progbits,_ZN7rocprim17ROCPRIM_400000_NS6detail17trampoline_kernelINS0_14default_configENS1_25partition_config_selectorILNS1_17partition_subalgoE5EjNS0_10empty_typeEbEEZZNS1_14partition_implILS5_5ELb0ES3_mN6thrust23THRUST_200600_302600_NS6detail15normal_iteratorINSA_10device_ptrIjEEEEPS6_NSA_18transform_iteratorINSB_9not_fun_tINSA_8identityIjEEEESF_NSA_11use_defaultESM_EENS0_5tupleIJSF_S6_EEENSO_IJSG_SG_EEES6_PlJS6_EEE10hipError_tPvRmT3_T4_T5_T6_T7_T9_mT8_P12ihipStream_tbDpT10_ENKUlT_T0_E_clISt17integral_constantIbLb1EES1A_IbLb0EEEEDaS16_S17_EUlS16_E_NS1_11comp_targetILNS1_3genE8ELNS1_11target_archE1030ELNS1_3gpuE2ELNS1_3repE0EEENS1_30default_config_static_selectorELNS0_4arch9wavefront6targetE0EEEvT1_,comdat
	.protected	_ZN7rocprim17ROCPRIM_400000_NS6detail17trampoline_kernelINS0_14default_configENS1_25partition_config_selectorILNS1_17partition_subalgoE5EjNS0_10empty_typeEbEEZZNS1_14partition_implILS5_5ELb0ES3_mN6thrust23THRUST_200600_302600_NS6detail15normal_iteratorINSA_10device_ptrIjEEEEPS6_NSA_18transform_iteratorINSB_9not_fun_tINSA_8identityIjEEEESF_NSA_11use_defaultESM_EENS0_5tupleIJSF_S6_EEENSO_IJSG_SG_EEES6_PlJS6_EEE10hipError_tPvRmT3_T4_T5_T6_T7_T9_mT8_P12ihipStream_tbDpT10_ENKUlT_T0_E_clISt17integral_constantIbLb1EES1A_IbLb0EEEEDaS16_S17_EUlS16_E_NS1_11comp_targetILNS1_3genE8ELNS1_11target_archE1030ELNS1_3gpuE2ELNS1_3repE0EEENS1_30default_config_static_selectorELNS0_4arch9wavefront6targetE0EEEvT1_ ; -- Begin function _ZN7rocprim17ROCPRIM_400000_NS6detail17trampoline_kernelINS0_14default_configENS1_25partition_config_selectorILNS1_17partition_subalgoE5EjNS0_10empty_typeEbEEZZNS1_14partition_implILS5_5ELb0ES3_mN6thrust23THRUST_200600_302600_NS6detail15normal_iteratorINSA_10device_ptrIjEEEEPS6_NSA_18transform_iteratorINSB_9not_fun_tINSA_8identityIjEEEESF_NSA_11use_defaultESM_EENS0_5tupleIJSF_S6_EEENSO_IJSG_SG_EEES6_PlJS6_EEE10hipError_tPvRmT3_T4_T5_T6_T7_T9_mT8_P12ihipStream_tbDpT10_ENKUlT_T0_E_clISt17integral_constantIbLb1EES1A_IbLb0EEEEDaS16_S17_EUlS16_E_NS1_11comp_targetILNS1_3genE8ELNS1_11target_archE1030ELNS1_3gpuE2ELNS1_3repE0EEENS1_30default_config_static_selectorELNS0_4arch9wavefront6targetE0EEEvT1_
	.globl	_ZN7rocprim17ROCPRIM_400000_NS6detail17trampoline_kernelINS0_14default_configENS1_25partition_config_selectorILNS1_17partition_subalgoE5EjNS0_10empty_typeEbEEZZNS1_14partition_implILS5_5ELb0ES3_mN6thrust23THRUST_200600_302600_NS6detail15normal_iteratorINSA_10device_ptrIjEEEEPS6_NSA_18transform_iteratorINSB_9not_fun_tINSA_8identityIjEEEESF_NSA_11use_defaultESM_EENS0_5tupleIJSF_S6_EEENSO_IJSG_SG_EEES6_PlJS6_EEE10hipError_tPvRmT3_T4_T5_T6_T7_T9_mT8_P12ihipStream_tbDpT10_ENKUlT_T0_E_clISt17integral_constantIbLb1EES1A_IbLb0EEEEDaS16_S17_EUlS16_E_NS1_11comp_targetILNS1_3genE8ELNS1_11target_archE1030ELNS1_3gpuE2ELNS1_3repE0EEENS1_30default_config_static_selectorELNS0_4arch9wavefront6targetE0EEEvT1_
	.p2align	8
	.type	_ZN7rocprim17ROCPRIM_400000_NS6detail17trampoline_kernelINS0_14default_configENS1_25partition_config_selectorILNS1_17partition_subalgoE5EjNS0_10empty_typeEbEEZZNS1_14partition_implILS5_5ELb0ES3_mN6thrust23THRUST_200600_302600_NS6detail15normal_iteratorINSA_10device_ptrIjEEEEPS6_NSA_18transform_iteratorINSB_9not_fun_tINSA_8identityIjEEEESF_NSA_11use_defaultESM_EENS0_5tupleIJSF_S6_EEENSO_IJSG_SG_EEES6_PlJS6_EEE10hipError_tPvRmT3_T4_T5_T6_T7_T9_mT8_P12ihipStream_tbDpT10_ENKUlT_T0_E_clISt17integral_constantIbLb1EES1A_IbLb0EEEEDaS16_S17_EUlS16_E_NS1_11comp_targetILNS1_3genE8ELNS1_11target_archE1030ELNS1_3gpuE2ELNS1_3repE0EEENS1_30default_config_static_selectorELNS0_4arch9wavefront6targetE0EEEvT1_,@function
_ZN7rocprim17ROCPRIM_400000_NS6detail17trampoline_kernelINS0_14default_configENS1_25partition_config_selectorILNS1_17partition_subalgoE5EjNS0_10empty_typeEbEEZZNS1_14partition_implILS5_5ELb0ES3_mN6thrust23THRUST_200600_302600_NS6detail15normal_iteratorINSA_10device_ptrIjEEEEPS6_NSA_18transform_iteratorINSB_9not_fun_tINSA_8identityIjEEEESF_NSA_11use_defaultESM_EENS0_5tupleIJSF_S6_EEENSO_IJSG_SG_EEES6_PlJS6_EEE10hipError_tPvRmT3_T4_T5_T6_T7_T9_mT8_P12ihipStream_tbDpT10_ENKUlT_T0_E_clISt17integral_constantIbLb1EES1A_IbLb0EEEEDaS16_S17_EUlS16_E_NS1_11comp_targetILNS1_3genE8ELNS1_11target_archE1030ELNS1_3gpuE2ELNS1_3repE0EEENS1_30default_config_static_selectorELNS0_4arch9wavefront6targetE0EEEvT1_: ; @_ZN7rocprim17ROCPRIM_400000_NS6detail17trampoline_kernelINS0_14default_configENS1_25partition_config_selectorILNS1_17partition_subalgoE5EjNS0_10empty_typeEbEEZZNS1_14partition_implILS5_5ELb0ES3_mN6thrust23THRUST_200600_302600_NS6detail15normal_iteratorINSA_10device_ptrIjEEEEPS6_NSA_18transform_iteratorINSB_9not_fun_tINSA_8identityIjEEEESF_NSA_11use_defaultESM_EENS0_5tupleIJSF_S6_EEENSO_IJSG_SG_EEES6_PlJS6_EEE10hipError_tPvRmT3_T4_T5_T6_T7_T9_mT8_P12ihipStream_tbDpT10_ENKUlT_T0_E_clISt17integral_constantIbLb1EES1A_IbLb0EEEEDaS16_S17_EUlS16_E_NS1_11comp_targetILNS1_3genE8ELNS1_11target_archE1030ELNS1_3gpuE2ELNS1_3repE0EEENS1_30default_config_static_selectorELNS0_4arch9wavefront6targetE0EEEvT1_
; %bb.0:
	.section	.rodata,"a",@progbits
	.p2align	6, 0x0
	.amdhsa_kernel _ZN7rocprim17ROCPRIM_400000_NS6detail17trampoline_kernelINS0_14default_configENS1_25partition_config_selectorILNS1_17partition_subalgoE5EjNS0_10empty_typeEbEEZZNS1_14partition_implILS5_5ELb0ES3_mN6thrust23THRUST_200600_302600_NS6detail15normal_iteratorINSA_10device_ptrIjEEEEPS6_NSA_18transform_iteratorINSB_9not_fun_tINSA_8identityIjEEEESF_NSA_11use_defaultESM_EENS0_5tupleIJSF_S6_EEENSO_IJSG_SG_EEES6_PlJS6_EEE10hipError_tPvRmT3_T4_T5_T6_T7_T9_mT8_P12ihipStream_tbDpT10_ENKUlT_T0_E_clISt17integral_constantIbLb1EES1A_IbLb0EEEEDaS16_S17_EUlS16_E_NS1_11comp_targetILNS1_3genE8ELNS1_11target_archE1030ELNS1_3gpuE2ELNS1_3repE0EEENS1_30default_config_static_selectorELNS0_4arch9wavefront6targetE0EEEvT1_
		.amdhsa_group_segment_fixed_size 0
		.amdhsa_private_segment_fixed_size 0
		.amdhsa_kernarg_size 120
		.amdhsa_user_sgpr_count 2
		.amdhsa_user_sgpr_dispatch_ptr 0
		.amdhsa_user_sgpr_queue_ptr 0
		.amdhsa_user_sgpr_kernarg_segment_ptr 1
		.amdhsa_user_sgpr_dispatch_id 0
		.amdhsa_user_sgpr_private_segment_size 0
		.amdhsa_wavefront_size32 1
		.amdhsa_uses_dynamic_stack 0
		.amdhsa_enable_private_segment 0
		.amdhsa_system_sgpr_workgroup_id_x 1
		.amdhsa_system_sgpr_workgroup_id_y 0
		.amdhsa_system_sgpr_workgroup_id_z 0
		.amdhsa_system_sgpr_workgroup_info 0
		.amdhsa_system_vgpr_workitem_id 0
		.amdhsa_next_free_vgpr 1
		.amdhsa_next_free_sgpr 1
		.amdhsa_reserve_vcc 0
		.amdhsa_float_round_mode_32 0
		.amdhsa_float_round_mode_16_64 0
		.amdhsa_float_denorm_mode_32 3
		.amdhsa_float_denorm_mode_16_64 3
		.amdhsa_fp16_overflow 0
		.amdhsa_workgroup_processor_mode 1
		.amdhsa_memory_ordered 1
		.amdhsa_forward_progress 1
		.amdhsa_inst_pref_size 0
		.amdhsa_round_robin_scheduling 0
		.amdhsa_exception_fp_ieee_invalid_op 0
		.amdhsa_exception_fp_denorm_src 0
		.amdhsa_exception_fp_ieee_div_zero 0
		.amdhsa_exception_fp_ieee_overflow 0
		.amdhsa_exception_fp_ieee_underflow 0
		.amdhsa_exception_fp_ieee_inexact 0
		.amdhsa_exception_int_div_zero 0
	.end_amdhsa_kernel
	.section	.text._ZN7rocprim17ROCPRIM_400000_NS6detail17trampoline_kernelINS0_14default_configENS1_25partition_config_selectorILNS1_17partition_subalgoE5EjNS0_10empty_typeEbEEZZNS1_14partition_implILS5_5ELb0ES3_mN6thrust23THRUST_200600_302600_NS6detail15normal_iteratorINSA_10device_ptrIjEEEEPS6_NSA_18transform_iteratorINSB_9not_fun_tINSA_8identityIjEEEESF_NSA_11use_defaultESM_EENS0_5tupleIJSF_S6_EEENSO_IJSG_SG_EEES6_PlJS6_EEE10hipError_tPvRmT3_T4_T5_T6_T7_T9_mT8_P12ihipStream_tbDpT10_ENKUlT_T0_E_clISt17integral_constantIbLb1EES1A_IbLb0EEEEDaS16_S17_EUlS16_E_NS1_11comp_targetILNS1_3genE8ELNS1_11target_archE1030ELNS1_3gpuE2ELNS1_3repE0EEENS1_30default_config_static_selectorELNS0_4arch9wavefront6targetE0EEEvT1_,"axG",@progbits,_ZN7rocprim17ROCPRIM_400000_NS6detail17trampoline_kernelINS0_14default_configENS1_25partition_config_selectorILNS1_17partition_subalgoE5EjNS0_10empty_typeEbEEZZNS1_14partition_implILS5_5ELb0ES3_mN6thrust23THRUST_200600_302600_NS6detail15normal_iteratorINSA_10device_ptrIjEEEEPS6_NSA_18transform_iteratorINSB_9not_fun_tINSA_8identityIjEEEESF_NSA_11use_defaultESM_EENS0_5tupleIJSF_S6_EEENSO_IJSG_SG_EEES6_PlJS6_EEE10hipError_tPvRmT3_T4_T5_T6_T7_T9_mT8_P12ihipStream_tbDpT10_ENKUlT_T0_E_clISt17integral_constantIbLb1EES1A_IbLb0EEEEDaS16_S17_EUlS16_E_NS1_11comp_targetILNS1_3genE8ELNS1_11target_archE1030ELNS1_3gpuE2ELNS1_3repE0EEENS1_30default_config_static_selectorELNS0_4arch9wavefront6targetE0EEEvT1_,comdat
.Lfunc_end908:
	.size	_ZN7rocprim17ROCPRIM_400000_NS6detail17trampoline_kernelINS0_14default_configENS1_25partition_config_selectorILNS1_17partition_subalgoE5EjNS0_10empty_typeEbEEZZNS1_14partition_implILS5_5ELb0ES3_mN6thrust23THRUST_200600_302600_NS6detail15normal_iteratorINSA_10device_ptrIjEEEEPS6_NSA_18transform_iteratorINSB_9not_fun_tINSA_8identityIjEEEESF_NSA_11use_defaultESM_EENS0_5tupleIJSF_S6_EEENSO_IJSG_SG_EEES6_PlJS6_EEE10hipError_tPvRmT3_T4_T5_T6_T7_T9_mT8_P12ihipStream_tbDpT10_ENKUlT_T0_E_clISt17integral_constantIbLb1EES1A_IbLb0EEEEDaS16_S17_EUlS16_E_NS1_11comp_targetILNS1_3genE8ELNS1_11target_archE1030ELNS1_3gpuE2ELNS1_3repE0EEENS1_30default_config_static_selectorELNS0_4arch9wavefront6targetE0EEEvT1_, .Lfunc_end908-_ZN7rocprim17ROCPRIM_400000_NS6detail17trampoline_kernelINS0_14default_configENS1_25partition_config_selectorILNS1_17partition_subalgoE5EjNS0_10empty_typeEbEEZZNS1_14partition_implILS5_5ELb0ES3_mN6thrust23THRUST_200600_302600_NS6detail15normal_iteratorINSA_10device_ptrIjEEEEPS6_NSA_18transform_iteratorINSB_9not_fun_tINSA_8identityIjEEEESF_NSA_11use_defaultESM_EENS0_5tupleIJSF_S6_EEENSO_IJSG_SG_EEES6_PlJS6_EEE10hipError_tPvRmT3_T4_T5_T6_T7_T9_mT8_P12ihipStream_tbDpT10_ENKUlT_T0_E_clISt17integral_constantIbLb1EES1A_IbLb0EEEEDaS16_S17_EUlS16_E_NS1_11comp_targetILNS1_3genE8ELNS1_11target_archE1030ELNS1_3gpuE2ELNS1_3repE0EEENS1_30default_config_static_selectorELNS0_4arch9wavefront6targetE0EEEvT1_
                                        ; -- End function
	.set _ZN7rocprim17ROCPRIM_400000_NS6detail17trampoline_kernelINS0_14default_configENS1_25partition_config_selectorILNS1_17partition_subalgoE5EjNS0_10empty_typeEbEEZZNS1_14partition_implILS5_5ELb0ES3_mN6thrust23THRUST_200600_302600_NS6detail15normal_iteratorINSA_10device_ptrIjEEEEPS6_NSA_18transform_iteratorINSB_9not_fun_tINSA_8identityIjEEEESF_NSA_11use_defaultESM_EENS0_5tupleIJSF_S6_EEENSO_IJSG_SG_EEES6_PlJS6_EEE10hipError_tPvRmT3_T4_T5_T6_T7_T9_mT8_P12ihipStream_tbDpT10_ENKUlT_T0_E_clISt17integral_constantIbLb1EES1A_IbLb0EEEEDaS16_S17_EUlS16_E_NS1_11comp_targetILNS1_3genE8ELNS1_11target_archE1030ELNS1_3gpuE2ELNS1_3repE0EEENS1_30default_config_static_selectorELNS0_4arch9wavefront6targetE0EEEvT1_.num_vgpr, 0
	.set _ZN7rocprim17ROCPRIM_400000_NS6detail17trampoline_kernelINS0_14default_configENS1_25partition_config_selectorILNS1_17partition_subalgoE5EjNS0_10empty_typeEbEEZZNS1_14partition_implILS5_5ELb0ES3_mN6thrust23THRUST_200600_302600_NS6detail15normal_iteratorINSA_10device_ptrIjEEEEPS6_NSA_18transform_iteratorINSB_9not_fun_tINSA_8identityIjEEEESF_NSA_11use_defaultESM_EENS0_5tupleIJSF_S6_EEENSO_IJSG_SG_EEES6_PlJS6_EEE10hipError_tPvRmT3_T4_T5_T6_T7_T9_mT8_P12ihipStream_tbDpT10_ENKUlT_T0_E_clISt17integral_constantIbLb1EES1A_IbLb0EEEEDaS16_S17_EUlS16_E_NS1_11comp_targetILNS1_3genE8ELNS1_11target_archE1030ELNS1_3gpuE2ELNS1_3repE0EEENS1_30default_config_static_selectorELNS0_4arch9wavefront6targetE0EEEvT1_.num_agpr, 0
	.set _ZN7rocprim17ROCPRIM_400000_NS6detail17trampoline_kernelINS0_14default_configENS1_25partition_config_selectorILNS1_17partition_subalgoE5EjNS0_10empty_typeEbEEZZNS1_14partition_implILS5_5ELb0ES3_mN6thrust23THRUST_200600_302600_NS6detail15normal_iteratorINSA_10device_ptrIjEEEEPS6_NSA_18transform_iteratorINSB_9not_fun_tINSA_8identityIjEEEESF_NSA_11use_defaultESM_EENS0_5tupleIJSF_S6_EEENSO_IJSG_SG_EEES6_PlJS6_EEE10hipError_tPvRmT3_T4_T5_T6_T7_T9_mT8_P12ihipStream_tbDpT10_ENKUlT_T0_E_clISt17integral_constantIbLb1EES1A_IbLb0EEEEDaS16_S17_EUlS16_E_NS1_11comp_targetILNS1_3genE8ELNS1_11target_archE1030ELNS1_3gpuE2ELNS1_3repE0EEENS1_30default_config_static_selectorELNS0_4arch9wavefront6targetE0EEEvT1_.numbered_sgpr, 0
	.set _ZN7rocprim17ROCPRIM_400000_NS6detail17trampoline_kernelINS0_14default_configENS1_25partition_config_selectorILNS1_17partition_subalgoE5EjNS0_10empty_typeEbEEZZNS1_14partition_implILS5_5ELb0ES3_mN6thrust23THRUST_200600_302600_NS6detail15normal_iteratorINSA_10device_ptrIjEEEEPS6_NSA_18transform_iteratorINSB_9not_fun_tINSA_8identityIjEEEESF_NSA_11use_defaultESM_EENS0_5tupleIJSF_S6_EEENSO_IJSG_SG_EEES6_PlJS6_EEE10hipError_tPvRmT3_T4_T5_T6_T7_T9_mT8_P12ihipStream_tbDpT10_ENKUlT_T0_E_clISt17integral_constantIbLb1EES1A_IbLb0EEEEDaS16_S17_EUlS16_E_NS1_11comp_targetILNS1_3genE8ELNS1_11target_archE1030ELNS1_3gpuE2ELNS1_3repE0EEENS1_30default_config_static_selectorELNS0_4arch9wavefront6targetE0EEEvT1_.num_named_barrier, 0
	.set _ZN7rocprim17ROCPRIM_400000_NS6detail17trampoline_kernelINS0_14default_configENS1_25partition_config_selectorILNS1_17partition_subalgoE5EjNS0_10empty_typeEbEEZZNS1_14partition_implILS5_5ELb0ES3_mN6thrust23THRUST_200600_302600_NS6detail15normal_iteratorINSA_10device_ptrIjEEEEPS6_NSA_18transform_iteratorINSB_9not_fun_tINSA_8identityIjEEEESF_NSA_11use_defaultESM_EENS0_5tupleIJSF_S6_EEENSO_IJSG_SG_EEES6_PlJS6_EEE10hipError_tPvRmT3_T4_T5_T6_T7_T9_mT8_P12ihipStream_tbDpT10_ENKUlT_T0_E_clISt17integral_constantIbLb1EES1A_IbLb0EEEEDaS16_S17_EUlS16_E_NS1_11comp_targetILNS1_3genE8ELNS1_11target_archE1030ELNS1_3gpuE2ELNS1_3repE0EEENS1_30default_config_static_selectorELNS0_4arch9wavefront6targetE0EEEvT1_.private_seg_size, 0
	.set _ZN7rocprim17ROCPRIM_400000_NS6detail17trampoline_kernelINS0_14default_configENS1_25partition_config_selectorILNS1_17partition_subalgoE5EjNS0_10empty_typeEbEEZZNS1_14partition_implILS5_5ELb0ES3_mN6thrust23THRUST_200600_302600_NS6detail15normal_iteratorINSA_10device_ptrIjEEEEPS6_NSA_18transform_iteratorINSB_9not_fun_tINSA_8identityIjEEEESF_NSA_11use_defaultESM_EENS0_5tupleIJSF_S6_EEENSO_IJSG_SG_EEES6_PlJS6_EEE10hipError_tPvRmT3_T4_T5_T6_T7_T9_mT8_P12ihipStream_tbDpT10_ENKUlT_T0_E_clISt17integral_constantIbLb1EES1A_IbLb0EEEEDaS16_S17_EUlS16_E_NS1_11comp_targetILNS1_3genE8ELNS1_11target_archE1030ELNS1_3gpuE2ELNS1_3repE0EEENS1_30default_config_static_selectorELNS0_4arch9wavefront6targetE0EEEvT1_.uses_vcc, 0
	.set _ZN7rocprim17ROCPRIM_400000_NS6detail17trampoline_kernelINS0_14default_configENS1_25partition_config_selectorILNS1_17partition_subalgoE5EjNS0_10empty_typeEbEEZZNS1_14partition_implILS5_5ELb0ES3_mN6thrust23THRUST_200600_302600_NS6detail15normal_iteratorINSA_10device_ptrIjEEEEPS6_NSA_18transform_iteratorINSB_9not_fun_tINSA_8identityIjEEEESF_NSA_11use_defaultESM_EENS0_5tupleIJSF_S6_EEENSO_IJSG_SG_EEES6_PlJS6_EEE10hipError_tPvRmT3_T4_T5_T6_T7_T9_mT8_P12ihipStream_tbDpT10_ENKUlT_T0_E_clISt17integral_constantIbLb1EES1A_IbLb0EEEEDaS16_S17_EUlS16_E_NS1_11comp_targetILNS1_3genE8ELNS1_11target_archE1030ELNS1_3gpuE2ELNS1_3repE0EEENS1_30default_config_static_selectorELNS0_4arch9wavefront6targetE0EEEvT1_.uses_flat_scratch, 0
	.set _ZN7rocprim17ROCPRIM_400000_NS6detail17trampoline_kernelINS0_14default_configENS1_25partition_config_selectorILNS1_17partition_subalgoE5EjNS0_10empty_typeEbEEZZNS1_14partition_implILS5_5ELb0ES3_mN6thrust23THRUST_200600_302600_NS6detail15normal_iteratorINSA_10device_ptrIjEEEEPS6_NSA_18transform_iteratorINSB_9not_fun_tINSA_8identityIjEEEESF_NSA_11use_defaultESM_EENS0_5tupleIJSF_S6_EEENSO_IJSG_SG_EEES6_PlJS6_EEE10hipError_tPvRmT3_T4_T5_T6_T7_T9_mT8_P12ihipStream_tbDpT10_ENKUlT_T0_E_clISt17integral_constantIbLb1EES1A_IbLb0EEEEDaS16_S17_EUlS16_E_NS1_11comp_targetILNS1_3genE8ELNS1_11target_archE1030ELNS1_3gpuE2ELNS1_3repE0EEENS1_30default_config_static_selectorELNS0_4arch9wavefront6targetE0EEEvT1_.has_dyn_sized_stack, 0
	.set _ZN7rocprim17ROCPRIM_400000_NS6detail17trampoline_kernelINS0_14default_configENS1_25partition_config_selectorILNS1_17partition_subalgoE5EjNS0_10empty_typeEbEEZZNS1_14partition_implILS5_5ELb0ES3_mN6thrust23THRUST_200600_302600_NS6detail15normal_iteratorINSA_10device_ptrIjEEEEPS6_NSA_18transform_iteratorINSB_9not_fun_tINSA_8identityIjEEEESF_NSA_11use_defaultESM_EENS0_5tupleIJSF_S6_EEENSO_IJSG_SG_EEES6_PlJS6_EEE10hipError_tPvRmT3_T4_T5_T6_T7_T9_mT8_P12ihipStream_tbDpT10_ENKUlT_T0_E_clISt17integral_constantIbLb1EES1A_IbLb0EEEEDaS16_S17_EUlS16_E_NS1_11comp_targetILNS1_3genE8ELNS1_11target_archE1030ELNS1_3gpuE2ELNS1_3repE0EEENS1_30default_config_static_selectorELNS0_4arch9wavefront6targetE0EEEvT1_.has_recursion, 0
	.set _ZN7rocprim17ROCPRIM_400000_NS6detail17trampoline_kernelINS0_14default_configENS1_25partition_config_selectorILNS1_17partition_subalgoE5EjNS0_10empty_typeEbEEZZNS1_14partition_implILS5_5ELb0ES3_mN6thrust23THRUST_200600_302600_NS6detail15normal_iteratorINSA_10device_ptrIjEEEEPS6_NSA_18transform_iteratorINSB_9not_fun_tINSA_8identityIjEEEESF_NSA_11use_defaultESM_EENS0_5tupleIJSF_S6_EEENSO_IJSG_SG_EEES6_PlJS6_EEE10hipError_tPvRmT3_T4_T5_T6_T7_T9_mT8_P12ihipStream_tbDpT10_ENKUlT_T0_E_clISt17integral_constantIbLb1EES1A_IbLb0EEEEDaS16_S17_EUlS16_E_NS1_11comp_targetILNS1_3genE8ELNS1_11target_archE1030ELNS1_3gpuE2ELNS1_3repE0EEENS1_30default_config_static_selectorELNS0_4arch9wavefront6targetE0EEEvT1_.has_indirect_call, 0
	.section	.AMDGPU.csdata,"",@progbits
; Kernel info:
; codeLenInByte = 0
; TotalNumSgprs: 0
; NumVgprs: 0
; ScratchSize: 0
; MemoryBound: 0
; FloatMode: 240
; IeeeMode: 1
; LDSByteSize: 0 bytes/workgroup (compile time only)
; SGPRBlocks: 0
; VGPRBlocks: 0
; NumSGPRsForWavesPerEU: 1
; NumVGPRsForWavesPerEU: 1
; Occupancy: 16
; WaveLimiterHint : 0
; COMPUTE_PGM_RSRC2:SCRATCH_EN: 0
; COMPUTE_PGM_RSRC2:USER_SGPR: 2
; COMPUTE_PGM_RSRC2:TRAP_HANDLER: 0
; COMPUTE_PGM_RSRC2:TGID_X_EN: 1
; COMPUTE_PGM_RSRC2:TGID_Y_EN: 0
; COMPUTE_PGM_RSRC2:TGID_Z_EN: 0
; COMPUTE_PGM_RSRC2:TIDIG_COMP_CNT: 0
	.section	.text._ZN7rocprim17ROCPRIM_400000_NS6detail17trampoline_kernelINS0_14default_configENS1_25partition_config_selectorILNS1_17partition_subalgoE5EjNS0_10empty_typeEbEEZZNS1_14partition_implILS5_5ELb0ES3_mN6thrust23THRUST_200600_302600_NS6detail15normal_iteratorINSA_10device_ptrIjEEEEPS6_NSA_18transform_iteratorINSB_9not_fun_tINSA_8identityIjEEEESF_NSA_11use_defaultESM_EENS0_5tupleIJSF_S6_EEENSO_IJSG_SG_EEES6_PlJS6_EEE10hipError_tPvRmT3_T4_T5_T6_T7_T9_mT8_P12ihipStream_tbDpT10_ENKUlT_T0_E_clISt17integral_constantIbLb0EES1A_IbLb1EEEEDaS16_S17_EUlS16_E_NS1_11comp_targetILNS1_3genE0ELNS1_11target_archE4294967295ELNS1_3gpuE0ELNS1_3repE0EEENS1_30default_config_static_selectorELNS0_4arch9wavefront6targetE0EEEvT1_,"axG",@progbits,_ZN7rocprim17ROCPRIM_400000_NS6detail17trampoline_kernelINS0_14default_configENS1_25partition_config_selectorILNS1_17partition_subalgoE5EjNS0_10empty_typeEbEEZZNS1_14partition_implILS5_5ELb0ES3_mN6thrust23THRUST_200600_302600_NS6detail15normal_iteratorINSA_10device_ptrIjEEEEPS6_NSA_18transform_iteratorINSB_9not_fun_tINSA_8identityIjEEEESF_NSA_11use_defaultESM_EENS0_5tupleIJSF_S6_EEENSO_IJSG_SG_EEES6_PlJS6_EEE10hipError_tPvRmT3_T4_T5_T6_T7_T9_mT8_P12ihipStream_tbDpT10_ENKUlT_T0_E_clISt17integral_constantIbLb0EES1A_IbLb1EEEEDaS16_S17_EUlS16_E_NS1_11comp_targetILNS1_3genE0ELNS1_11target_archE4294967295ELNS1_3gpuE0ELNS1_3repE0EEENS1_30default_config_static_selectorELNS0_4arch9wavefront6targetE0EEEvT1_,comdat
	.protected	_ZN7rocprim17ROCPRIM_400000_NS6detail17trampoline_kernelINS0_14default_configENS1_25partition_config_selectorILNS1_17partition_subalgoE5EjNS0_10empty_typeEbEEZZNS1_14partition_implILS5_5ELb0ES3_mN6thrust23THRUST_200600_302600_NS6detail15normal_iteratorINSA_10device_ptrIjEEEEPS6_NSA_18transform_iteratorINSB_9not_fun_tINSA_8identityIjEEEESF_NSA_11use_defaultESM_EENS0_5tupleIJSF_S6_EEENSO_IJSG_SG_EEES6_PlJS6_EEE10hipError_tPvRmT3_T4_T5_T6_T7_T9_mT8_P12ihipStream_tbDpT10_ENKUlT_T0_E_clISt17integral_constantIbLb0EES1A_IbLb1EEEEDaS16_S17_EUlS16_E_NS1_11comp_targetILNS1_3genE0ELNS1_11target_archE4294967295ELNS1_3gpuE0ELNS1_3repE0EEENS1_30default_config_static_selectorELNS0_4arch9wavefront6targetE0EEEvT1_ ; -- Begin function _ZN7rocprim17ROCPRIM_400000_NS6detail17trampoline_kernelINS0_14default_configENS1_25partition_config_selectorILNS1_17partition_subalgoE5EjNS0_10empty_typeEbEEZZNS1_14partition_implILS5_5ELb0ES3_mN6thrust23THRUST_200600_302600_NS6detail15normal_iteratorINSA_10device_ptrIjEEEEPS6_NSA_18transform_iteratorINSB_9not_fun_tINSA_8identityIjEEEESF_NSA_11use_defaultESM_EENS0_5tupleIJSF_S6_EEENSO_IJSG_SG_EEES6_PlJS6_EEE10hipError_tPvRmT3_T4_T5_T6_T7_T9_mT8_P12ihipStream_tbDpT10_ENKUlT_T0_E_clISt17integral_constantIbLb0EES1A_IbLb1EEEEDaS16_S17_EUlS16_E_NS1_11comp_targetILNS1_3genE0ELNS1_11target_archE4294967295ELNS1_3gpuE0ELNS1_3repE0EEENS1_30default_config_static_selectorELNS0_4arch9wavefront6targetE0EEEvT1_
	.globl	_ZN7rocprim17ROCPRIM_400000_NS6detail17trampoline_kernelINS0_14default_configENS1_25partition_config_selectorILNS1_17partition_subalgoE5EjNS0_10empty_typeEbEEZZNS1_14partition_implILS5_5ELb0ES3_mN6thrust23THRUST_200600_302600_NS6detail15normal_iteratorINSA_10device_ptrIjEEEEPS6_NSA_18transform_iteratorINSB_9not_fun_tINSA_8identityIjEEEESF_NSA_11use_defaultESM_EENS0_5tupleIJSF_S6_EEENSO_IJSG_SG_EEES6_PlJS6_EEE10hipError_tPvRmT3_T4_T5_T6_T7_T9_mT8_P12ihipStream_tbDpT10_ENKUlT_T0_E_clISt17integral_constantIbLb0EES1A_IbLb1EEEEDaS16_S17_EUlS16_E_NS1_11comp_targetILNS1_3genE0ELNS1_11target_archE4294967295ELNS1_3gpuE0ELNS1_3repE0EEENS1_30default_config_static_selectorELNS0_4arch9wavefront6targetE0EEEvT1_
	.p2align	8
	.type	_ZN7rocprim17ROCPRIM_400000_NS6detail17trampoline_kernelINS0_14default_configENS1_25partition_config_selectorILNS1_17partition_subalgoE5EjNS0_10empty_typeEbEEZZNS1_14partition_implILS5_5ELb0ES3_mN6thrust23THRUST_200600_302600_NS6detail15normal_iteratorINSA_10device_ptrIjEEEEPS6_NSA_18transform_iteratorINSB_9not_fun_tINSA_8identityIjEEEESF_NSA_11use_defaultESM_EENS0_5tupleIJSF_S6_EEENSO_IJSG_SG_EEES6_PlJS6_EEE10hipError_tPvRmT3_T4_T5_T6_T7_T9_mT8_P12ihipStream_tbDpT10_ENKUlT_T0_E_clISt17integral_constantIbLb0EES1A_IbLb1EEEEDaS16_S17_EUlS16_E_NS1_11comp_targetILNS1_3genE0ELNS1_11target_archE4294967295ELNS1_3gpuE0ELNS1_3repE0EEENS1_30default_config_static_selectorELNS0_4arch9wavefront6targetE0EEEvT1_,@function
_ZN7rocprim17ROCPRIM_400000_NS6detail17trampoline_kernelINS0_14default_configENS1_25partition_config_selectorILNS1_17partition_subalgoE5EjNS0_10empty_typeEbEEZZNS1_14partition_implILS5_5ELb0ES3_mN6thrust23THRUST_200600_302600_NS6detail15normal_iteratorINSA_10device_ptrIjEEEEPS6_NSA_18transform_iteratorINSB_9not_fun_tINSA_8identityIjEEEESF_NSA_11use_defaultESM_EENS0_5tupleIJSF_S6_EEENSO_IJSG_SG_EEES6_PlJS6_EEE10hipError_tPvRmT3_T4_T5_T6_T7_T9_mT8_P12ihipStream_tbDpT10_ENKUlT_T0_E_clISt17integral_constantIbLb0EES1A_IbLb1EEEEDaS16_S17_EUlS16_E_NS1_11comp_targetILNS1_3genE0ELNS1_11target_archE4294967295ELNS1_3gpuE0ELNS1_3repE0EEENS1_30default_config_static_selectorELNS0_4arch9wavefront6targetE0EEEvT1_: ; @_ZN7rocprim17ROCPRIM_400000_NS6detail17trampoline_kernelINS0_14default_configENS1_25partition_config_selectorILNS1_17partition_subalgoE5EjNS0_10empty_typeEbEEZZNS1_14partition_implILS5_5ELb0ES3_mN6thrust23THRUST_200600_302600_NS6detail15normal_iteratorINSA_10device_ptrIjEEEEPS6_NSA_18transform_iteratorINSB_9not_fun_tINSA_8identityIjEEEESF_NSA_11use_defaultESM_EENS0_5tupleIJSF_S6_EEENSO_IJSG_SG_EEES6_PlJS6_EEE10hipError_tPvRmT3_T4_T5_T6_T7_T9_mT8_P12ihipStream_tbDpT10_ENKUlT_T0_E_clISt17integral_constantIbLb0EES1A_IbLb1EEEEDaS16_S17_EUlS16_E_NS1_11comp_targetILNS1_3genE0ELNS1_11target_archE4294967295ELNS1_3gpuE0ELNS1_3repE0EEENS1_30default_config_static_selectorELNS0_4arch9wavefront6targetE0EEEvT1_
; %bb.0:
	.section	.rodata,"a",@progbits
	.p2align	6, 0x0
	.amdhsa_kernel _ZN7rocprim17ROCPRIM_400000_NS6detail17trampoline_kernelINS0_14default_configENS1_25partition_config_selectorILNS1_17partition_subalgoE5EjNS0_10empty_typeEbEEZZNS1_14partition_implILS5_5ELb0ES3_mN6thrust23THRUST_200600_302600_NS6detail15normal_iteratorINSA_10device_ptrIjEEEEPS6_NSA_18transform_iteratorINSB_9not_fun_tINSA_8identityIjEEEESF_NSA_11use_defaultESM_EENS0_5tupleIJSF_S6_EEENSO_IJSG_SG_EEES6_PlJS6_EEE10hipError_tPvRmT3_T4_T5_T6_T7_T9_mT8_P12ihipStream_tbDpT10_ENKUlT_T0_E_clISt17integral_constantIbLb0EES1A_IbLb1EEEEDaS16_S17_EUlS16_E_NS1_11comp_targetILNS1_3genE0ELNS1_11target_archE4294967295ELNS1_3gpuE0ELNS1_3repE0EEENS1_30default_config_static_selectorELNS0_4arch9wavefront6targetE0EEEvT1_
		.amdhsa_group_segment_fixed_size 0
		.amdhsa_private_segment_fixed_size 0
		.amdhsa_kernarg_size 136
		.amdhsa_user_sgpr_count 2
		.amdhsa_user_sgpr_dispatch_ptr 0
		.amdhsa_user_sgpr_queue_ptr 0
		.amdhsa_user_sgpr_kernarg_segment_ptr 1
		.amdhsa_user_sgpr_dispatch_id 0
		.amdhsa_user_sgpr_private_segment_size 0
		.amdhsa_wavefront_size32 1
		.amdhsa_uses_dynamic_stack 0
		.amdhsa_enable_private_segment 0
		.amdhsa_system_sgpr_workgroup_id_x 1
		.amdhsa_system_sgpr_workgroup_id_y 0
		.amdhsa_system_sgpr_workgroup_id_z 0
		.amdhsa_system_sgpr_workgroup_info 0
		.amdhsa_system_vgpr_workitem_id 0
		.amdhsa_next_free_vgpr 1
		.amdhsa_next_free_sgpr 1
		.amdhsa_reserve_vcc 0
		.amdhsa_float_round_mode_32 0
		.amdhsa_float_round_mode_16_64 0
		.amdhsa_float_denorm_mode_32 3
		.amdhsa_float_denorm_mode_16_64 3
		.amdhsa_fp16_overflow 0
		.amdhsa_workgroup_processor_mode 1
		.amdhsa_memory_ordered 1
		.amdhsa_forward_progress 1
		.amdhsa_inst_pref_size 0
		.amdhsa_round_robin_scheduling 0
		.amdhsa_exception_fp_ieee_invalid_op 0
		.amdhsa_exception_fp_denorm_src 0
		.amdhsa_exception_fp_ieee_div_zero 0
		.amdhsa_exception_fp_ieee_overflow 0
		.amdhsa_exception_fp_ieee_underflow 0
		.amdhsa_exception_fp_ieee_inexact 0
		.amdhsa_exception_int_div_zero 0
	.end_amdhsa_kernel
	.section	.text._ZN7rocprim17ROCPRIM_400000_NS6detail17trampoline_kernelINS0_14default_configENS1_25partition_config_selectorILNS1_17partition_subalgoE5EjNS0_10empty_typeEbEEZZNS1_14partition_implILS5_5ELb0ES3_mN6thrust23THRUST_200600_302600_NS6detail15normal_iteratorINSA_10device_ptrIjEEEEPS6_NSA_18transform_iteratorINSB_9not_fun_tINSA_8identityIjEEEESF_NSA_11use_defaultESM_EENS0_5tupleIJSF_S6_EEENSO_IJSG_SG_EEES6_PlJS6_EEE10hipError_tPvRmT3_T4_T5_T6_T7_T9_mT8_P12ihipStream_tbDpT10_ENKUlT_T0_E_clISt17integral_constantIbLb0EES1A_IbLb1EEEEDaS16_S17_EUlS16_E_NS1_11comp_targetILNS1_3genE0ELNS1_11target_archE4294967295ELNS1_3gpuE0ELNS1_3repE0EEENS1_30default_config_static_selectorELNS0_4arch9wavefront6targetE0EEEvT1_,"axG",@progbits,_ZN7rocprim17ROCPRIM_400000_NS6detail17trampoline_kernelINS0_14default_configENS1_25partition_config_selectorILNS1_17partition_subalgoE5EjNS0_10empty_typeEbEEZZNS1_14partition_implILS5_5ELb0ES3_mN6thrust23THRUST_200600_302600_NS6detail15normal_iteratorINSA_10device_ptrIjEEEEPS6_NSA_18transform_iteratorINSB_9not_fun_tINSA_8identityIjEEEESF_NSA_11use_defaultESM_EENS0_5tupleIJSF_S6_EEENSO_IJSG_SG_EEES6_PlJS6_EEE10hipError_tPvRmT3_T4_T5_T6_T7_T9_mT8_P12ihipStream_tbDpT10_ENKUlT_T0_E_clISt17integral_constantIbLb0EES1A_IbLb1EEEEDaS16_S17_EUlS16_E_NS1_11comp_targetILNS1_3genE0ELNS1_11target_archE4294967295ELNS1_3gpuE0ELNS1_3repE0EEENS1_30default_config_static_selectorELNS0_4arch9wavefront6targetE0EEEvT1_,comdat
.Lfunc_end909:
	.size	_ZN7rocprim17ROCPRIM_400000_NS6detail17trampoline_kernelINS0_14default_configENS1_25partition_config_selectorILNS1_17partition_subalgoE5EjNS0_10empty_typeEbEEZZNS1_14partition_implILS5_5ELb0ES3_mN6thrust23THRUST_200600_302600_NS6detail15normal_iteratorINSA_10device_ptrIjEEEEPS6_NSA_18transform_iteratorINSB_9not_fun_tINSA_8identityIjEEEESF_NSA_11use_defaultESM_EENS0_5tupleIJSF_S6_EEENSO_IJSG_SG_EEES6_PlJS6_EEE10hipError_tPvRmT3_T4_T5_T6_T7_T9_mT8_P12ihipStream_tbDpT10_ENKUlT_T0_E_clISt17integral_constantIbLb0EES1A_IbLb1EEEEDaS16_S17_EUlS16_E_NS1_11comp_targetILNS1_3genE0ELNS1_11target_archE4294967295ELNS1_3gpuE0ELNS1_3repE0EEENS1_30default_config_static_selectorELNS0_4arch9wavefront6targetE0EEEvT1_, .Lfunc_end909-_ZN7rocprim17ROCPRIM_400000_NS6detail17trampoline_kernelINS0_14default_configENS1_25partition_config_selectorILNS1_17partition_subalgoE5EjNS0_10empty_typeEbEEZZNS1_14partition_implILS5_5ELb0ES3_mN6thrust23THRUST_200600_302600_NS6detail15normal_iteratorINSA_10device_ptrIjEEEEPS6_NSA_18transform_iteratorINSB_9not_fun_tINSA_8identityIjEEEESF_NSA_11use_defaultESM_EENS0_5tupleIJSF_S6_EEENSO_IJSG_SG_EEES6_PlJS6_EEE10hipError_tPvRmT3_T4_T5_T6_T7_T9_mT8_P12ihipStream_tbDpT10_ENKUlT_T0_E_clISt17integral_constantIbLb0EES1A_IbLb1EEEEDaS16_S17_EUlS16_E_NS1_11comp_targetILNS1_3genE0ELNS1_11target_archE4294967295ELNS1_3gpuE0ELNS1_3repE0EEENS1_30default_config_static_selectorELNS0_4arch9wavefront6targetE0EEEvT1_
                                        ; -- End function
	.set _ZN7rocprim17ROCPRIM_400000_NS6detail17trampoline_kernelINS0_14default_configENS1_25partition_config_selectorILNS1_17partition_subalgoE5EjNS0_10empty_typeEbEEZZNS1_14partition_implILS5_5ELb0ES3_mN6thrust23THRUST_200600_302600_NS6detail15normal_iteratorINSA_10device_ptrIjEEEEPS6_NSA_18transform_iteratorINSB_9not_fun_tINSA_8identityIjEEEESF_NSA_11use_defaultESM_EENS0_5tupleIJSF_S6_EEENSO_IJSG_SG_EEES6_PlJS6_EEE10hipError_tPvRmT3_T4_T5_T6_T7_T9_mT8_P12ihipStream_tbDpT10_ENKUlT_T0_E_clISt17integral_constantIbLb0EES1A_IbLb1EEEEDaS16_S17_EUlS16_E_NS1_11comp_targetILNS1_3genE0ELNS1_11target_archE4294967295ELNS1_3gpuE0ELNS1_3repE0EEENS1_30default_config_static_selectorELNS0_4arch9wavefront6targetE0EEEvT1_.num_vgpr, 0
	.set _ZN7rocprim17ROCPRIM_400000_NS6detail17trampoline_kernelINS0_14default_configENS1_25partition_config_selectorILNS1_17partition_subalgoE5EjNS0_10empty_typeEbEEZZNS1_14partition_implILS5_5ELb0ES3_mN6thrust23THRUST_200600_302600_NS6detail15normal_iteratorINSA_10device_ptrIjEEEEPS6_NSA_18transform_iteratorINSB_9not_fun_tINSA_8identityIjEEEESF_NSA_11use_defaultESM_EENS0_5tupleIJSF_S6_EEENSO_IJSG_SG_EEES6_PlJS6_EEE10hipError_tPvRmT3_T4_T5_T6_T7_T9_mT8_P12ihipStream_tbDpT10_ENKUlT_T0_E_clISt17integral_constantIbLb0EES1A_IbLb1EEEEDaS16_S17_EUlS16_E_NS1_11comp_targetILNS1_3genE0ELNS1_11target_archE4294967295ELNS1_3gpuE0ELNS1_3repE0EEENS1_30default_config_static_selectorELNS0_4arch9wavefront6targetE0EEEvT1_.num_agpr, 0
	.set _ZN7rocprim17ROCPRIM_400000_NS6detail17trampoline_kernelINS0_14default_configENS1_25partition_config_selectorILNS1_17partition_subalgoE5EjNS0_10empty_typeEbEEZZNS1_14partition_implILS5_5ELb0ES3_mN6thrust23THRUST_200600_302600_NS6detail15normal_iteratorINSA_10device_ptrIjEEEEPS6_NSA_18transform_iteratorINSB_9not_fun_tINSA_8identityIjEEEESF_NSA_11use_defaultESM_EENS0_5tupleIJSF_S6_EEENSO_IJSG_SG_EEES6_PlJS6_EEE10hipError_tPvRmT3_T4_T5_T6_T7_T9_mT8_P12ihipStream_tbDpT10_ENKUlT_T0_E_clISt17integral_constantIbLb0EES1A_IbLb1EEEEDaS16_S17_EUlS16_E_NS1_11comp_targetILNS1_3genE0ELNS1_11target_archE4294967295ELNS1_3gpuE0ELNS1_3repE0EEENS1_30default_config_static_selectorELNS0_4arch9wavefront6targetE0EEEvT1_.numbered_sgpr, 0
	.set _ZN7rocprim17ROCPRIM_400000_NS6detail17trampoline_kernelINS0_14default_configENS1_25partition_config_selectorILNS1_17partition_subalgoE5EjNS0_10empty_typeEbEEZZNS1_14partition_implILS5_5ELb0ES3_mN6thrust23THRUST_200600_302600_NS6detail15normal_iteratorINSA_10device_ptrIjEEEEPS6_NSA_18transform_iteratorINSB_9not_fun_tINSA_8identityIjEEEESF_NSA_11use_defaultESM_EENS0_5tupleIJSF_S6_EEENSO_IJSG_SG_EEES6_PlJS6_EEE10hipError_tPvRmT3_T4_T5_T6_T7_T9_mT8_P12ihipStream_tbDpT10_ENKUlT_T0_E_clISt17integral_constantIbLb0EES1A_IbLb1EEEEDaS16_S17_EUlS16_E_NS1_11comp_targetILNS1_3genE0ELNS1_11target_archE4294967295ELNS1_3gpuE0ELNS1_3repE0EEENS1_30default_config_static_selectorELNS0_4arch9wavefront6targetE0EEEvT1_.num_named_barrier, 0
	.set _ZN7rocprim17ROCPRIM_400000_NS6detail17trampoline_kernelINS0_14default_configENS1_25partition_config_selectorILNS1_17partition_subalgoE5EjNS0_10empty_typeEbEEZZNS1_14partition_implILS5_5ELb0ES3_mN6thrust23THRUST_200600_302600_NS6detail15normal_iteratorINSA_10device_ptrIjEEEEPS6_NSA_18transform_iteratorINSB_9not_fun_tINSA_8identityIjEEEESF_NSA_11use_defaultESM_EENS0_5tupleIJSF_S6_EEENSO_IJSG_SG_EEES6_PlJS6_EEE10hipError_tPvRmT3_T4_T5_T6_T7_T9_mT8_P12ihipStream_tbDpT10_ENKUlT_T0_E_clISt17integral_constantIbLb0EES1A_IbLb1EEEEDaS16_S17_EUlS16_E_NS1_11comp_targetILNS1_3genE0ELNS1_11target_archE4294967295ELNS1_3gpuE0ELNS1_3repE0EEENS1_30default_config_static_selectorELNS0_4arch9wavefront6targetE0EEEvT1_.private_seg_size, 0
	.set _ZN7rocprim17ROCPRIM_400000_NS6detail17trampoline_kernelINS0_14default_configENS1_25partition_config_selectorILNS1_17partition_subalgoE5EjNS0_10empty_typeEbEEZZNS1_14partition_implILS5_5ELb0ES3_mN6thrust23THRUST_200600_302600_NS6detail15normal_iteratorINSA_10device_ptrIjEEEEPS6_NSA_18transform_iteratorINSB_9not_fun_tINSA_8identityIjEEEESF_NSA_11use_defaultESM_EENS0_5tupleIJSF_S6_EEENSO_IJSG_SG_EEES6_PlJS6_EEE10hipError_tPvRmT3_T4_T5_T6_T7_T9_mT8_P12ihipStream_tbDpT10_ENKUlT_T0_E_clISt17integral_constantIbLb0EES1A_IbLb1EEEEDaS16_S17_EUlS16_E_NS1_11comp_targetILNS1_3genE0ELNS1_11target_archE4294967295ELNS1_3gpuE0ELNS1_3repE0EEENS1_30default_config_static_selectorELNS0_4arch9wavefront6targetE0EEEvT1_.uses_vcc, 0
	.set _ZN7rocprim17ROCPRIM_400000_NS6detail17trampoline_kernelINS0_14default_configENS1_25partition_config_selectorILNS1_17partition_subalgoE5EjNS0_10empty_typeEbEEZZNS1_14partition_implILS5_5ELb0ES3_mN6thrust23THRUST_200600_302600_NS6detail15normal_iteratorINSA_10device_ptrIjEEEEPS6_NSA_18transform_iteratorINSB_9not_fun_tINSA_8identityIjEEEESF_NSA_11use_defaultESM_EENS0_5tupleIJSF_S6_EEENSO_IJSG_SG_EEES6_PlJS6_EEE10hipError_tPvRmT3_T4_T5_T6_T7_T9_mT8_P12ihipStream_tbDpT10_ENKUlT_T0_E_clISt17integral_constantIbLb0EES1A_IbLb1EEEEDaS16_S17_EUlS16_E_NS1_11comp_targetILNS1_3genE0ELNS1_11target_archE4294967295ELNS1_3gpuE0ELNS1_3repE0EEENS1_30default_config_static_selectorELNS0_4arch9wavefront6targetE0EEEvT1_.uses_flat_scratch, 0
	.set _ZN7rocprim17ROCPRIM_400000_NS6detail17trampoline_kernelINS0_14default_configENS1_25partition_config_selectorILNS1_17partition_subalgoE5EjNS0_10empty_typeEbEEZZNS1_14partition_implILS5_5ELb0ES3_mN6thrust23THRUST_200600_302600_NS6detail15normal_iteratorINSA_10device_ptrIjEEEEPS6_NSA_18transform_iteratorINSB_9not_fun_tINSA_8identityIjEEEESF_NSA_11use_defaultESM_EENS0_5tupleIJSF_S6_EEENSO_IJSG_SG_EEES6_PlJS6_EEE10hipError_tPvRmT3_T4_T5_T6_T7_T9_mT8_P12ihipStream_tbDpT10_ENKUlT_T0_E_clISt17integral_constantIbLb0EES1A_IbLb1EEEEDaS16_S17_EUlS16_E_NS1_11comp_targetILNS1_3genE0ELNS1_11target_archE4294967295ELNS1_3gpuE0ELNS1_3repE0EEENS1_30default_config_static_selectorELNS0_4arch9wavefront6targetE0EEEvT1_.has_dyn_sized_stack, 0
	.set _ZN7rocprim17ROCPRIM_400000_NS6detail17trampoline_kernelINS0_14default_configENS1_25partition_config_selectorILNS1_17partition_subalgoE5EjNS0_10empty_typeEbEEZZNS1_14partition_implILS5_5ELb0ES3_mN6thrust23THRUST_200600_302600_NS6detail15normal_iteratorINSA_10device_ptrIjEEEEPS6_NSA_18transform_iteratorINSB_9not_fun_tINSA_8identityIjEEEESF_NSA_11use_defaultESM_EENS0_5tupleIJSF_S6_EEENSO_IJSG_SG_EEES6_PlJS6_EEE10hipError_tPvRmT3_T4_T5_T6_T7_T9_mT8_P12ihipStream_tbDpT10_ENKUlT_T0_E_clISt17integral_constantIbLb0EES1A_IbLb1EEEEDaS16_S17_EUlS16_E_NS1_11comp_targetILNS1_3genE0ELNS1_11target_archE4294967295ELNS1_3gpuE0ELNS1_3repE0EEENS1_30default_config_static_selectorELNS0_4arch9wavefront6targetE0EEEvT1_.has_recursion, 0
	.set _ZN7rocprim17ROCPRIM_400000_NS6detail17trampoline_kernelINS0_14default_configENS1_25partition_config_selectorILNS1_17partition_subalgoE5EjNS0_10empty_typeEbEEZZNS1_14partition_implILS5_5ELb0ES3_mN6thrust23THRUST_200600_302600_NS6detail15normal_iteratorINSA_10device_ptrIjEEEEPS6_NSA_18transform_iteratorINSB_9not_fun_tINSA_8identityIjEEEESF_NSA_11use_defaultESM_EENS0_5tupleIJSF_S6_EEENSO_IJSG_SG_EEES6_PlJS6_EEE10hipError_tPvRmT3_T4_T5_T6_T7_T9_mT8_P12ihipStream_tbDpT10_ENKUlT_T0_E_clISt17integral_constantIbLb0EES1A_IbLb1EEEEDaS16_S17_EUlS16_E_NS1_11comp_targetILNS1_3genE0ELNS1_11target_archE4294967295ELNS1_3gpuE0ELNS1_3repE0EEENS1_30default_config_static_selectorELNS0_4arch9wavefront6targetE0EEEvT1_.has_indirect_call, 0
	.section	.AMDGPU.csdata,"",@progbits
; Kernel info:
; codeLenInByte = 0
; TotalNumSgprs: 0
; NumVgprs: 0
; ScratchSize: 0
; MemoryBound: 0
; FloatMode: 240
; IeeeMode: 1
; LDSByteSize: 0 bytes/workgroup (compile time only)
; SGPRBlocks: 0
; VGPRBlocks: 0
; NumSGPRsForWavesPerEU: 1
; NumVGPRsForWavesPerEU: 1
; Occupancy: 16
; WaveLimiterHint : 0
; COMPUTE_PGM_RSRC2:SCRATCH_EN: 0
; COMPUTE_PGM_RSRC2:USER_SGPR: 2
; COMPUTE_PGM_RSRC2:TRAP_HANDLER: 0
; COMPUTE_PGM_RSRC2:TGID_X_EN: 1
; COMPUTE_PGM_RSRC2:TGID_Y_EN: 0
; COMPUTE_PGM_RSRC2:TGID_Z_EN: 0
; COMPUTE_PGM_RSRC2:TIDIG_COMP_CNT: 0
	.section	.text._ZN7rocprim17ROCPRIM_400000_NS6detail17trampoline_kernelINS0_14default_configENS1_25partition_config_selectorILNS1_17partition_subalgoE5EjNS0_10empty_typeEbEEZZNS1_14partition_implILS5_5ELb0ES3_mN6thrust23THRUST_200600_302600_NS6detail15normal_iteratorINSA_10device_ptrIjEEEEPS6_NSA_18transform_iteratorINSB_9not_fun_tINSA_8identityIjEEEESF_NSA_11use_defaultESM_EENS0_5tupleIJSF_S6_EEENSO_IJSG_SG_EEES6_PlJS6_EEE10hipError_tPvRmT3_T4_T5_T6_T7_T9_mT8_P12ihipStream_tbDpT10_ENKUlT_T0_E_clISt17integral_constantIbLb0EES1A_IbLb1EEEEDaS16_S17_EUlS16_E_NS1_11comp_targetILNS1_3genE5ELNS1_11target_archE942ELNS1_3gpuE9ELNS1_3repE0EEENS1_30default_config_static_selectorELNS0_4arch9wavefront6targetE0EEEvT1_,"axG",@progbits,_ZN7rocprim17ROCPRIM_400000_NS6detail17trampoline_kernelINS0_14default_configENS1_25partition_config_selectorILNS1_17partition_subalgoE5EjNS0_10empty_typeEbEEZZNS1_14partition_implILS5_5ELb0ES3_mN6thrust23THRUST_200600_302600_NS6detail15normal_iteratorINSA_10device_ptrIjEEEEPS6_NSA_18transform_iteratorINSB_9not_fun_tINSA_8identityIjEEEESF_NSA_11use_defaultESM_EENS0_5tupleIJSF_S6_EEENSO_IJSG_SG_EEES6_PlJS6_EEE10hipError_tPvRmT3_T4_T5_T6_T7_T9_mT8_P12ihipStream_tbDpT10_ENKUlT_T0_E_clISt17integral_constantIbLb0EES1A_IbLb1EEEEDaS16_S17_EUlS16_E_NS1_11comp_targetILNS1_3genE5ELNS1_11target_archE942ELNS1_3gpuE9ELNS1_3repE0EEENS1_30default_config_static_selectorELNS0_4arch9wavefront6targetE0EEEvT1_,comdat
	.protected	_ZN7rocprim17ROCPRIM_400000_NS6detail17trampoline_kernelINS0_14default_configENS1_25partition_config_selectorILNS1_17partition_subalgoE5EjNS0_10empty_typeEbEEZZNS1_14partition_implILS5_5ELb0ES3_mN6thrust23THRUST_200600_302600_NS6detail15normal_iteratorINSA_10device_ptrIjEEEEPS6_NSA_18transform_iteratorINSB_9not_fun_tINSA_8identityIjEEEESF_NSA_11use_defaultESM_EENS0_5tupleIJSF_S6_EEENSO_IJSG_SG_EEES6_PlJS6_EEE10hipError_tPvRmT3_T4_T5_T6_T7_T9_mT8_P12ihipStream_tbDpT10_ENKUlT_T0_E_clISt17integral_constantIbLb0EES1A_IbLb1EEEEDaS16_S17_EUlS16_E_NS1_11comp_targetILNS1_3genE5ELNS1_11target_archE942ELNS1_3gpuE9ELNS1_3repE0EEENS1_30default_config_static_selectorELNS0_4arch9wavefront6targetE0EEEvT1_ ; -- Begin function _ZN7rocprim17ROCPRIM_400000_NS6detail17trampoline_kernelINS0_14default_configENS1_25partition_config_selectorILNS1_17partition_subalgoE5EjNS0_10empty_typeEbEEZZNS1_14partition_implILS5_5ELb0ES3_mN6thrust23THRUST_200600_302600_NS6detail15normal_iteratorINSA_10device_ptrIjEEEEPS6_NSA_18transform_iteratorINSB_9not_fun_tINSA_8identityIjEEEESF_NSA_11use_defaultESM_EENS0_5tupleIJSF_S6_EEENSO_IJSG_SG_EEES6_PlJS6_EEE10hipError_tPvRmT3_T4_T5_T6_T7_T9_mT8_P12ihipStream_tbDpT10_ENKUlT_T0_E_clISt17integral_constantIbLb0EES1A_IbLb1EEEEDaS16_S17_EUlS16_E_NS1_11comp_targetILNS1_3genE5ELNS1_11target_archE942ELNS1_3gpuE9ELNS1_3repE0EEENS1_30default_config_static_selectorELNS0_4arch9wavefront6targetE0EEEvT1_
	.globl	_ZN7rocprim17ROCPRIM_400000_NS6detail17trampoline_kernelINS0_14default_configENS1_25partition_config_selectorILNS1_17partition_subalgoE5EjNS0_10empty_typeEbEEZZNS1_14partition_implILS5_5ELb0ES3_mN6thrust23THRUST_200600_302600_NS6detail15normal_iteratorINSA_10device_ptrIjEEEEPS6_NSA_18transform_iteratorINSB_9not_fun_tINSA_8identityIjEEEESF_NSA_11use_defaultESM_EENS0_5tupleIJSF_S6_EEENSO_IJSG_SG_EEES6_PlJS6_EEE10hipError_tPvRmT3_T4_T5_T6_T7_T9_mT8_P12ihipStream_tbDpT10_ENKUlT_T0_E_clISt17integral_constantIbLb0EES1A_IbLb1EEEEDaS16_S17_EUlS16_E_NS1_11comp_targetILNS1_3genE5ELNS1_11target_archE942ELNS1_3gpuE9ELNS1_3repE0EEENS1_30default_config_static_selectorELNS0_4arch9wavefront6targetE0EEEvT1_
	.p2align	8
	.type	_ZN7rocprim17ROCPRIM_400000_NS6detail17trampoline_kernelINS0_14default_configENS1_25partition_config_selectorILNS1_17partition_subalgoE5EjNS0_10empty_typeEbEEZZNS1_14partition_implILS5_5ELb0ES3_mN6thrust23THRUST_200600_302600_NS6detail15normal_iteratorINSA_10device_ptrIjEEEEPS6_NSA_18transform_iteratorINSB_9not_fun_tINSA_8identityIjEEEESF_NSA_11use_defaultESM_EENS0_5tupleIJSF_S6_EEENSO_IJSG_SG_EEES6_PlJS6_EEE10hipError_tPvRmT3_T4_T5_T6_T7_T9_mT8_P12ihipStream_tbDpT10_ENKUlT_T0_E_clISt17integral_constantIbLb0EES1A_IbLb1EEEEDaS16_S17_EUlS16_E_NS1_11comp_targetILNS1_3genE5ELNS1_11target_archE942ELNS1_3gpuE9ELNS1_3repE0EEENS1_30default_config_static_selectorELNS0_4arch9wavefront6targetE0EEEvT1_,@function
_ZN7rocprim17ROCPRIM_400000_NS6detail17trampoline_kernelINS0_14default_configENS1_25partition_config_selectorILNS1_17partition_subalgoE5EjNS0_10empty_typeEbEEZZNS1_14partition_implILS5_5ELb0ES3_mN6thrust23THRUST_200600_302600_NS6detail15normal_iteratorINSA_10device_ptrIjEEEEPS6_NSA_18transform_iteratorINSB_9not_fun_tINSA_8identityIjEEEESF_NSA_11use_defaultESM_EENS0_5tupleIJSF_S6_EEENSO_IJSG_SG_EEES6_PlJS6_EEE10hipError_tPvRmT3_T4_T5_T6_T7_T9_mT8_P12ihipStream_tbDpT10_ENKUlT_T0_E_clISt17integral_constantIbLb0EES1A_IbLb1EEEEDaS16_S17_EUlS16_E_NS1_11comp_targetILNS1_3genE5ELNS1_11target_archE942ELNS1_3gpuE9ELNS1_3repE0EEENS1_30default_config_static_selectorELNS0_4arch9wavefront6targetE0EEEvT1_: ; @_ZN7rocprim17ROCPRIM_400000_NS6detail17trampoline_kernelINS0_14default_configENS1_25partition_config_selectorILNS1_17partition_subalgoE5EjNS0_10empty_typeEbEEZZNS1_14partition_implILS5_5ELb0ES3_mN6thrust23THRUST_200600_302600_NS6detail15normal_iteratorINSA_10device_ptrIjEEEEPS6_NSA_18transform_iteratorINSB_9not_fun_tINSA_8identityIjEEEESF_NSA_11use_defaultESM_EENS0_5tupleIJSF_S6_EEENSO_IJSG_SG_EEES6_PlJS6_EEE10hipError_tPvRmT3_T4_T5_T6_T7_T9_mT8_P12ihipStream_tbDpT10_ENKUlT_T0_E_clISt17integral_constantIbLb0EES1A_IbLb1EEEEDaS16_S17_EUlS16_E_NS1_11comp_targetILNS1_3genE5ELNS1_11target_archE942ELNS1_3gpuE9ELNS1_3repE0EEENS1_30default_config_static_selectorELNS0_4arch9wavefront6targetE0EEEvT1_
; %bb.0:
	.section	.rodata,"a",@progbits
	.p2align	6, 0x0
	.amdhsa_kernel _ZN7rocprim17ROCPRIM_400000_NS6detail17trampoline_kernelINS0_14default_configENS1_25partition_config_selectorILNS1_17partition_subalgoE5EjNS0_10empty_typeEbEEZZNS1_14partition_implILS5_5ELb0ES3_mN6thrust23THRUST_200600_302600_NS6detail15normal_iteratorINSA_10device_ptrIjEEEEPS6_NSA_18transform_iteratorINSB_9not_fun_tINSA_8identityIjEEEESF_NSA_11use_defaultESM_EENS0_5tupleIJSF_S6_EEENSO_IJSG_SG_EEES6_PlJS6_EEE10hipError_tPvRmT3_T4_T5_T6_T7_T9_mT8_P12ihipStream_tbDpT10_ENKUlT_T0_E_clISt17integral_constantIbLb0EES1A_IbLb1EEEEDaS16_S17_EUlS16_E_NS1_11comp_targetILNS1_3genE5ELNS1_11target_archE942ELNS1_3gpuE9ELNS1_3repE0EEENS1_30default_config_static_selectorELNS0_4arch9wavefront6targetE0EEEvT1_
		.amdhsa_group_segment_fixed_size 0
		.amdhsa_private_segment_fixed_size 0
		.amdhsa_kernarg_size 136
		.amdhsa_user_sgpr_count 2
		.amdhsa_user_sgpr_dispatch_ptr 0
		.amdhsa_user_sgpr_queue_ptr 0
		.amdhsa_user_sgpr_kernarg_segment_ptr 1
		.amdhsa_user_sgpr_dispatch_id 0
		.amdhsa_user_sgpr_private_segment_size 0
		.amdhsa_wavefront_size32 1
		.amdhsa_uses_dynamic_stack 0
		.amdhsa_enable_private_segment 0
		.amdhsa_system_sgpr_workgroup_id_x 1
		.amdhsa_system_sgpr_workgroup_id_y 0
		.amdhsa_system_sgpr_workgroup_id_z 0
		.amdhsa_system_sgpr_workgroup_info 0
		.amdhsa_system_vgpr_workitem_id 0
		.amdhsa_next_free_vgpr 1
		.amdhsa_next_free_sgpr 1
		.amdhsa_reserve_vcc 0
		.amdhsa_float_round_mode_32 0
		.amdhsa_float_round_mode_16_64 0
		.amdhsa_float_denorm_mode_32 3
		.amdhsa_float_denorm_mode_16_64 3
		.amdhsa_fp16_overflow 0
		.amdhsa_workgroup_processor_mode 1
		.amdhsa_memory_ordered 1
		.amdhsa_forward_progress 1
		.amdhsa_inst_pref_size 0
		.amdhsa_round_robin_scheduling 0
		.amdhsa_exception_fp_ieee_invalid_op 0
		.amdhsa_exception_fp_denorm_src 0
		.amdhsa_exception_fp_ieee_div_zero 0
		.amdhsa_exception_fp_ieee_overflow 0
		.amdhsa_exception_fp_ieee_underflow 0
		.amdhsa_exception_fp_ieee_inexact 0
		.amdhsa_exception_int_div_zero 0
	.end_amdhsa_kernel
	.section	.text._ZN7rocprim17ROCPRIM_400000_NS6detail17trampoline_kernelINS0_14default_configENS1_25partition_config_selectorILNS1_17partition_subalgoE5EjNS0_10empty_typeEbEEZZNS1_14partition_implILS5_5ELb0ES3_mN6thrust23THRUST_200600_302600_NS6detail15normal_iteratorINSA_10device_ptrIjEEEEPS6_NSA_18transform_iteratorINSB_9not_fun_tINSA_8identityIjEEEESF_NSA_11use_defaultESM_EENS0_5tupleIJSF_S6_EEENSO_IJSG_SG_EEES6_PlJS6_EEE10hipError_tPvRmT3_T4_T5_T6_T7_T9_mT8_P12ihipStream_tbDpT10_ENKUlT_T0_E_clISt17integral_constantIbLb0EES1A_IbLb1EEEEDaS16_S17_EUlS16_E_NS1_11comp_targetILNS1_3genE5ELNS1_11target_archE942ELNS1_3gpuE9ELNS1_3repE0EEENS1_30default_config_static_selectorELNS0_4arch9wavefront6targetE0EEEvT1_,"axG",@progbits,_ZN7rocprim17ROCPRIM_400000_NS6detail17trampoline_kernelINS0_14default_configENS1_25partition_config_selectorILNS1_17partition_subalgoE5EjNS0_10empty_typeEbEEZZNS1_14partition_implILS5_5ELb0ES3_mN6thrust23THRUST_200600_302600_NS6detail15normal_iteratorINSA_10device_ptrIjEEEEPS6_NSA_18transform_iteratorINSB_9not_fun_tINSA_8identityIjEEEESF_NSA_11use_defaultESM_EENS0_5tupleIJSF_S6_EEENSO_IJSG_SG_EEES6_PlJS6_EEE10hipError_tPvRmT3_T4_T5_T6_T7_T9_mT8_P12ihipStream_tbDpT10_ENKUlT_T0_E_clISt17integral_constantIbLb0EES1A_IbLb1EEEEDaS16_S17_EUlS16_E_NS1_11comp_targetILNS1_3genE5ELNS1_11target_archE942ELNS1_3gpuE9ELNS1_3repE0EEENS1_30default_config_static_selectorELNS0_4arch9wavefront6targetE0EEEvT1_,comdat
.Lfunc_end910:
	.size	_ZN7rocprim17ROCPRIM_400000_NS6detail17trampoline_kernelINS0_14default_configENS1_25partition_config_selectorILNS1_17partition_subalgoE5EjNS0_10empty_typeEbEEZZNS1_14partition_implILS5_5ELb0ES3_mN6thrust23THRUST_200600_302600_NS6detail15normal_iteratorINSA_10device_ptrIjEEEEPS6_NSA_18transform_iteratorINSB_9not_fun_tINSA_8identityIjEEEESF_NSA_11use_defaultESM_EENS0_5tupleIJSF_S6_EEENSO_IJSG_SG_EEES6_PlJS6_EEE10hipError_tPvRmT3_T4_T5_T6_T7_T9_mT8_P12ihipStream_tbDpT10_ENKUlT_T0_E_clISt17integral_constantIbLb0EES1A_IbLb1EEEEDaS16_S17_EUlS16_E_NS1_11comp_targetILNS1_3genE5ELNS1_11target_archE942ELNS1_3gpuE9ELNS1_3repE0EEENS1_30default_config_static_selectorELNS0_4arch9wavefront6targetE0EEEvT1_, .Lfunc_end910-_ZN7rocprim17ROCPRIM_400000_NS6detail17trampoline_kernelINS0_14default_configENS1_25partition_config_selectorILNS1_17partition_subalgoE5EjNS0_10empty_typeEbEEZZNS1_14partition_implILS5_5ELb0ES3_mN6thrust23THRUST_200600_302600_NS6detail15normal_iteratorINSA_10device_ptrIjEEEEPS6_NSA_18transform_iteratorINSB_9not_fun_tINSA_8identityIjEEEESF_NSA_11use_defaultESM_EENS0_5tupleIJSF_S6_EEENSO_IJSG_SG_EEES6_PlJS6_EEE10hipError_tPvRmT3_T4_T5_T6_T7_T9_mT8_P12ihipStream_tbDpT10_ENKUlT_T0_E_clISt17integral_constantIbLb0EES1A_IbLb1EEEEDaS16_S17_EUlS16_E_NS1_11comp_targetILNS1_3genE5ELNS1_11target_archE942ELNS1_3gpuE9ELNS1_3repE0EEENS1_30default_config_static_selectorELNS0_4arch9wavefront6targetE0EEEvT1_
                                        ; -- End function
	.set _ZN7rocprim17ROCPRIM_400000_NS6detail17trampoline_kernelINS0_14default_configENS1_25partition_config_selectorILNS1_17partition_subalgoE5EjNS0_10empty_typeEbEEZZNS1_14partition_implILS5_5ELb0ES3_mN6thrust23THRUST_200600_302600_NS6detail15normal_iteratorINSA_10device_ptrIjEEEEPS6_NSA_18transform_iteratorINSB_9not_fun_tINSA_8identityIjEEEESF_NSA_11use_defaultESM_EENS0_5tupleIJSF_S6_EEENSO_IJSG_SG_EEES6_PlJS6_EEE10hipError_tPvRmT3_T4_T5_T6_T7_T9_mT8_P12ihipStream_tbDpT10_ENKUlT_T0_E_clISt17integral_constantIbLb0EES1A_IbLb1EEEEDaS16_S17_EUlS16_E_NS1_11comp_targetILNS1_3genE5ELNS1_11target_archE942ELNS1_3gpuE9ELNS1_3repE0EEENS1_30default_config_static_selectorELNS0_4arch9wavefront6targetE0EEEvT1_.num_vgpr, 0
	.set _ZN7rocprim17ROCPRIM_400000_NS6detail17trampoline_kernelINS0_14default_configENS1_25partition_config_selectorILNS1_17partition_subalgoE5EjNS0_10empty_typeEbEEZZNS1_14partition_implILS5_5ELb0ES3_mN6thrust23THRUST_200600_302600_NS6detail15normal_iteratorINSA_10device_ptrIjEEEEPS6_NSA_18transform_iteratorINSB_9not_fun_tINSA_8identityIjEEEESF_NSA_11use_defaultESM_EENS0_5tupleIJSF_S6_EEENSO_IJSG_SG_EEES6_PlJS6_EEE10hipError_tPvRmT3_T4_T5_T6_T7_T9_mT8_P12ihipStream_tbDpT10_ENKUlT_T0_E_clISt17integral_constantIbLb0EES1A_IbLb1EEEEDaS16_S17_EUlS16_E_NS1_11comp_targetILNS1_3genE5ELNS1_11target_archE942ELNS1_3gpuE9ELNS1_3repE0EEENS1_30default_config_static_selectorELNS0_4arch9wavefront6targetE0EEEvT1_.num_agpr, 0
	.set _ZN7rocprim17ROCPRIM_400000_NS6detail17trampoline_kernelINS0_14default_configENS1_25partition_config_selectorILNS1_17partition_subalgoE5EjNS0_10empty_typeEbEEZZNS1_14partition_implILS5_5ELb0ES3_mN6thrust23THRUST_200600_302600_NS6detail15normal_iteratorINSA_10device_ptrIjEEEEPS6_NSA_18transform_iteratorINSB_9not_fun_tINSA_8identityIjEEEESF_NSA_11use_defaultESM_EENS0_5tupleIJSF_S6_EEENSO_IJSG_SG_EEES6_PlJS6_EEE10hipError_tPvRmT3_T4_T5_T6_T7_T9_mT8_P12ihipStream_tbDpT10_ENKUlT_T0_E_clISt17integral_constantIbLb0EES1A_IbLb1EEEEDaS16_S17_EUlS16_E_NS1_11comp_targetILNS1_3genE5ELNS1_11target_archE942ELNS1_3gpuE9ELNS1_3repE0EEENS1_30default_config_static_selectorELNS0_4arch9wavefront6targetE0EEEvT1_.numbered_sgpr, 0
	.set _ZN7rocprim17ROCPRIM_400000_NS6detail17trampoline_kernelINS0_14default_configENS1_25partition_config_selectorILNS1_17partition_subalgoE5EjNS0_10empty_typeEbEEZZNS1_14partition_implILS5_5ELb0ES3_mN6thrust23THRUST_200600_302600_NS6detail15normal_iteratorINSA_10device_ptrIjEEEEPS6_NSA_18transform_iteratorINSB_9not_fun_tINSA_8identityIjEEEESF_NSA_11use_defaultESM_EENS0_5tupleIJSF_S6_EEENSO_IJSG_SG_EEES6_PlJS6_EEE10hipError_tPvRmT3_T4_T5_T6_T7_T9_mT8_P12ihipStream_tbDpT10_ENKUlT_T0_E_clISt17integral_constantIbLb0EES1A_IbLb1EEEEDaS16_S17_EUlS16_E_NS1_11comp_targetILNS1_3genE5ELNS1_11target_archE942ELNS1_3gpuE9ELNS1_3repE0EEENS1_30default_config_static_selectorELNS0_4arch9wavefront6targetE0EEEvT1_.num_named_barrier, 0
	.set _ZN7rocprim17ROCPRIM_400000_NS6detail17trampoline_kernelINS0_14default_configENS1_25partition_config_selectorILNS1_17partition_subalgoE5EjNS0_10empty_typeEbEEZZNS1_14partition_implILS5_5ELb0ES3_mN6thrust23THRUST_200600_302600_NS6detail15normal_iteratorINSA_10device_ptrIjEEEEPS6_NSA_18transform_iteratorINSB_9not_fun_tINSA_8identityIjEEEESF_NSA_11use_defaultESM_EENS0_5tupleIJSF_S6_EEENSO_IJSG_SG_EEES6_PlJS6_EEE10hipError_tPvRmT3_T4_T5_T6_T7_T9_mT8_P12ihipStream_tbDpT10_ENKUlT_T0_E_clISt17integral_constantIbLb0EES1A_IbLb1EEEEDaS16_S17_EUlS16_E_NS1_11comp_targetILNS1_3genE5ELNS1_11target_archE942ELNS1_3gpuE9ELNS1_3repE0EEENS1_30default_config_static_selectorELNS0_4arch9wavefront6targetE0EEEvT1_.private_seg_size, 0
	.set _ZN7rocprim17ROCPRIM_400000_NS6detail17trampoline_kernelINS0_14default_configENS1_25partition_config_selectorILNS1_17partition_subalgoE5EjNS0_10empty_typeEbEEZZNS1_14partition_implILS5_5ELb0ES3_mN6thrust23THRUST_200600_302600_NS6detail15normal_iteratorINSA_10device_ptrIjEEEEPS6_NSA_18transform_iteratorINSB_9not_fun_tINSA_8identityIjEEEESF_NSA_11use_defaultESM_EENS0_5tupleIJSF_S6_EEENSO_IJSG_SG_EEES6_PlJS6_EEE10hipError_tPvRmT3_T4_T5_T6_T7_T9_mT8_P12ihipStream_tbDpT10_ENKUlT_T0_E_clISt17integral_constantIbLb0EES1A_IbLb1EEEEDaS16_S17_EUlS16_E_NS1_11comp_targetILNS1_3genE5ELNS1_11target_archE942ELNS1_3gpuE9ELNS1_3repE0EEENS1_30default_config_static_selectorELNS0_4arch9wavefront6targetE0EEEvT1_.uses_vcc, 0
	.set _ZN7rocprim17ROCPRIM_400000_NS6detail17trampoline_kernelINS0_14default_configENS1_25partition_config_selectorILNS1_17partition_subalgoE5EjNS0_10empty_typeEbEEZZNS1_14partition_implILS5_5ELb0ES3_mN6thrust23THRUST_200600_302600_NS6detail15normal_iteratorINSA_10device_ptrIjEEEEPS6_NSA_18transform_iteratorINSB_9not_fun_tINSA_8identityIjEEEESF_NSA_11use_defaultESM_EENS0_5tupleIJSF_S6_EEENSO_IJSG_SG_EEES6_PlJS6_EEE10hipError_tPvRmT3_T4_T5_T6_T7_T9_mT8_P12ihipStream_tbDpT10_ENKUlT_T0_E_clISt17integral_constantIbLb0EES1A_IbLb1EEEEDaS16_S17_EUlS16_E_NS1_11comp_targetILNS1_3genE5ELNS1_11target_archE942ELNS1_3gpuE9ELNS1_3repE0EEENS1_30default_config_static_selectorELNS0_4arch9wavefront6targetE0EEEvT1_.uses_flat_scratch, 0
	.set _ZN7rocprim17ROCPRIM_400000_NS6detail17trampoline_kernelINS0_14default_configENS1_25partition_config_selectorILNS1_17partition_subalgoE5EjNS0_10empty_typeEbEEZZNS1_14partition_implILS5_5ELb0ES3_mN6thrust23THRUST_200600_302600_NS6detail15normal_iteratorINSA_10device_ptrIjEEEEPS6_NSA_18transform_iteratorINSB_9not_fun_tINSA_8identityIjEEEESF_NSA_11use_defaultESM_EENS0_5tupleIJSF_S6_EEENSO_IJSG_SG_EEES6_PlJS6_EEE10hipError_tPvRmT3_T4_T5_T6_T7_T9_mT8_P12ihipStream_tbDpT10_ENKUlT_T0_E_clISt17integral_constantIbLb0EES1A_IbLb1EEEEDaS16_S17_EUlS16_E_NS1_11comp_targetILNS1_3genE5ELNS1_11target_archE942ELNS1_3gpuE9ELNS1_3repE0EEENS1_30default_config_static_selectorELNS0_4arch9wavefront6targetE0EEEvT1_.has_dyn_sized_stack, 0
	.set _ZN7rocprim17ROCPRIM_400000_NS6detail17trampoline_kernelINS0_14default_configENS1_25partition_config_selectorILNS1_17partition_subalgoE5EjNS0_10empty_typeEbEEZZNS1_14partition_implILS5_5ELb0ES3_mN6thrust23THRUST_200600_302600_NS6detail15normal_iteratorINSA_10device_ptrIjEEEEPS6_NSA_18transform_iteratorINSB_9not_fun_tINSA_8identityIjEEEESF_NSA_11use_defaultESM_EENS0_5tupleIJSF_S6_EEENSO_IJSG_SG_EEES6_PlJS6_EEE10hipError_tPvRmT3_T4_T5_T6_T7_T9_mT8_P12ihipStream_tbDpT10_ENKUlT_T0_E_clISt17integral_constantIbLb0EES1A_IbLb1EEEEDaS16_S17_EUlS16_E_NS1_11comp_targetILNS1_3genE5ELNS1_11target_archE942ELNS1_3gpuE9ELNS1_3repE0EEENS1_30default_config_static_selectorELNS0_4arch9wavefront6targetE0EEEvT1_.has_recursion, 0
	.set _ZN7rocprim17ROCPRIM_400000_NS6detail17trampoline_kernelINS0_14default_configENS1_25partition_config_selectorILNS1_17partition_subalgoE5EjNS0_10empty_typeEbEEZZNS1_14partition_implILS5_5ELb0ES3_mN6thrust23THRUST_200600_302600_NS6detail15normal_iteratorINSA_10device_ptrIjEEEEPS6_NSA_18transform_iteratorINSB_9not_fun_tINSA_8identityIjEEEESF_NSA_11use_defaultESM_EENS0_5tupleIJSF_S6_EEENSO_IJSG_SG_EEES6_PlJS6_EEE10hipError_tPvRmT3_T4_T5_T6_T7_T9_mT8_P12ihipStream_tbDpT10_ENKUlT_T0_E_clISt17integral_constantIbLb0EES1A_IbLb1EEEEDaS16_S17_EUlS16_E_NS1_11comp_targetILNS1_3genE5ELNS1_11target_archE942ELNS1_3gpuE9ELNS1_3repE0EEENS1_30default_config_static_selectorELNS0_4arch9wavefront6targetE0EEEvT1_.has_indirect_call, 0
	.section	.AMDGPU.csdata,"",@progbits
; Kernel info:
; codeLenInByte = 0
; TotalNumSgprs: 0
; NumVgprs: 0
; ScratchSize: 0
; MemoryBound: 0
; FloatMode: 240
; IeeeMode: 1
; LDSByteSize: 0 bytes/workgroup (compile time only)
; SGPRBlocks: 0
; VGPRBlocks: 0
; NumSGPRsForWavesPerEU: 1
; NumVGPRsForWavesPerEU: 1
; Occupancy: 16
; WaveLimiterHint : 0
; COMPUTE_PGM_RSRC2:SCRATCH_EN: 0
; COMPUTE_PGM_RSRC2:USER_SGPR: 2
; COMPUTE_PGM_RSRC2:TRAP_HANDLER: 0
; COMPUTE_PGM_RSRC2:TGID_X_EN: 1
; COMPUTE_PGM_RSRC2:TGID_Y_EN: 0
; COMPUTE_PGM_RSRC2:TGID_Z_EN: 0
; COMPUTE_PGM_RSRC2:TIDIG_COMP_CNT: 0
	.section	.text._ZN7rocprim17ROCPRIM_400000_NS6detail17trampoline_kernelINS0_14default_configENS1_25partition_config_selectorILNS1_17partition_subalgoE5EjNS0_10empty_typeEbEEZZNS1_14partition_implILS5_5ELb0ES3_mN6thrust23THRUST_200600_302600_NS6detail15normal_iteratorINSA_10device_ptrIjEEEEPS6_NSA_18transform_iteratorINSB_9not_fun_tINSA_8identityIjEEEESF_NSA_11use_defaultESM_EENS0_5tupleIJSF_S6_EEENSO_IJSG_SG_EEES6_PlJS6_EEE10hipError_tPvRmT3_T4_T5_T6_T7_T9_mT8_P12ihipStream_tbDpT10_ENKUlT_T0_E_clISt17integral_constantIbLb0EES1A_IbLb1EEEEDaS16_S17_EUlS16_E_NS1_11comp_targetILNS1_3genE4ELNS1_11target_archE910ELNS1_3gpuE8ELNS1_3repE0EEENS1_30default_config_static_selectorELNS0_4arch9wavefront6targetE0EEEvT1_,"axG",@progbits,_ZN7rocprim17ROCPRIM_400000_NS6detail17trampoline_kernelINS0_14default_configENS1_25partition_config_selectorILNS1_17partition_subalgoE5EjNS0_10empty_typeEbEEZZNS1_14partition_implILS5_5ELb0ES3_mN6thrust23THRUST_200600_302600_NS6detail15normal_iteratorINSA_10device_ptrIjEEEEPS6_NSA_18transform_iteratorINSB_9not_fun_tINSA_8identityIjEEEESF_NSA_11use_defaultESM_EENS0_5tupleIJSF_S6_EEENSO_IJSG_SG_EEES6_PlJS6_EEE10hipError_tPvRmT3_T4_T5_T6_T7_T9_mT8_P12ihipStream_tbDpT10_ENKUlT_T0_E_clISt17integral_constantIbLb0EES1A_IbLb1EEEEDaS16_S17_EUlS16_E_NS1_11comp_targetILNS1_3genE4ELNS1_11target_archE910ELNS1_3gpuE8ELNS1_3repE0EEENS1_30default_config_static_selectorELNS0_4arch9wavefront6targetE0EEEvT1_,comdat
	.protected	_ZN7rocprim17ROCPRIM_400000_NS6detail17trampoline_kernelINS0_14default_configENS1_25partition_config_selectorILNS1_17partition_subalgoE5EjNS0_10empty_typeEbEEZZNS1_14partition_implILS5_5ELb0ES3_mN6thrust23THRUST_200600_302600_NS6detail15normal_iteratorINSA_10device_ptrIjEEEEPS6_NSA_18transform_iteratorINSB_9not_fun_tINSA_8identityIjEEEESF_NSA_11use_defaultESM_EENS0_5tupleIJSF_S6_EEENSO_IJSG_SG_EEES6_PlJS6_EEE10hipError_tPvRmT3_T4_T5_T6_T7_T9_mT8_P12ihipStream_tbDpT10_ENKUlT_T0_E_clISt17integral_constantIbLb0EES1A_IbLb1EEEEDaS16_S17_EUlS16_E_NS1_11comp_targetILNS1_3genE4ELNS1_11target_archE910ELNS1_3gpuE8ELNS1_3repE0EEENS1_30default_config_static_selectorELNS0_4arch9wavefront6targetE0EEEvT1_ ; -- Begin function _ZN7rocprim17ROCPRIM_400000_NS6detail17trampoline_kernelINS0_14default_configENS1_25partition_config_selectorILNS1_17partition_subalgoE5EjNS0_10empty_typeEbEEZZNS1_14partition_implILS5_5ELb0ES3_mN6thrust23THRUST_200600_302600_NS6detail15normal_iteratorINSA_10device_ptrIjEEEEPS6_NSA_18transform_iteratorINSB_9not_fun_tINSA_8identityIjEEEESF_NSA_11use_defaultESM_EENS0_5tupleIJSF_S6_EEENSO_IJSG_SG_EEES6_PlJS6_EEE10hipError_tPvRmT3_T4_T5_T6_T7_T9_mT8_P12ihipStream_tbDpT10_ENKUlT_T0_E_clISt17integral_constantIbLb0EES1A_IbLb1EEEEDaS16_S17_EUlS16_E_NS1_11comp_targetILNS1_3genE4ELNS1_11target_archE910ELNS1_3gpuE8ELNS1_3repE0EEENS1_30default_config_static_selectorELNS0_4arch9wavefront6targetE0EEEvT1_
	.globl	_ZN7rocprim17ROCPRIM_400000_NS6detail17trampoline_kernelINS0_14default_configENS1_25partition_config_selectorILNS1_17partition_subalgoE5EjNS0_10empty_typeEbEEZZNS1_14partition_implILS5_5ELb0ES3_mN6thrust23THRUST_200600_302600_NS6detail15normal_iteratorINSA_10device_ptrIjEEEEPS6_NSA_18transform_iteratorINSB_9not_fun_tINSA_8identityIjEEEESF_NSA_11use_defaultESM_EENS0_5tupleIJSF_S6_EEENSO_IJSG_SG_EEES6_PlJS6_EEE10hipError_tPvRmT3_T4_T5_T6_T7_T9_mT8_P12ihipStream_tbDpT10_ENKUlT_T0_E_clISt17integral_constantIbLb0EES1A_IbLb1EEEEDaS16_S17_EUlS16_E_NS1_11comp_targetILNS1_3genE4ELNS1_11target_archE910ELNS1_3gpuE8ELNS1_3repE0EEENS1_30default_config_static_selectorELNS0_4arch9wavefront6targetE0EEEvT1_
	.p2align	8
	.type	_ZN7rocprim17ROCPRIM_400000_NS6detail17trampoline_kernelINS0_14default_configENS1_25partition_config_selectorILNS1_17partition_subalgoE5EjNS0_10empty_typeEbEEZZNS1_14partition_implILS5_5ELb0ES3_mN6thrust23THRUST_200600_302600_NS6detail15normal_iteratorINSA_10device_ptrIjEEEEPS6_NSA_18transform_iteratorINSB_9not_fun_tINSA_8identityIjEEEESF_NSA_11use_defaultESM_EENS0_5tupleIJSF_S6_EEENSO_IJSG_SG_EEES6_PlJS6_EEE10hipError_tPvRmT3_T4_T5_T6_T7_T9_mT8_P12ihipStream_tbDpT10_ENKUlT_T0_E_clISt17integral_constantIbLb0EES1A_IbLb1EEEEDaS16_S17_EUlS16_E_NS1_11comp_targetILNS1_3genE4ELNS1_11target_archE910ELNS1_3gpuE8ELNS1_3repE0EEENS1_30default_config_static_selectorELNS0_4arch9wavefront6targetE0EEEvT1_,@function
_ZN7rocprim17ROCPRIM_400000_NS6detail17trampoline_kernelINS0_14default_configENS1_25partition_config_selectorILNS1_17partition_subalgoE5EjNS0_10empty_typeEbEEZZNS1_14partition_implILS5_5ELb0ES3_mN6thrust23THRUST_200600_302600_NS6detail15normal_iteratorINSA_10device_ptrIjEEEEPS6_NSA_18transform_iteratorINSB_9not_fun_tINSA_8identityIjEEEESF_NSA_11use_defaultESM_EENS0_5tupleIJSF_S6_EEENSO_IJSG_SG_EEES6_PlJS6_EEE10hipError_tPvRmT3_T4_T5_T6_T7_T9_mT8_P12ihipStream_tbDpT10_ENKUlT_T0_E_clISt17integral_constantIbLb0EES1A_IbLb1EEEEDaS16_S17_EUlS16_E_NS1_11comp_targetILNS1_3genE4ELNS1_11target_archE910ELNS1_3gpuE8ELNS1_3repE0EEENS1_30default_config_static_selectorELNS0_4arch9wavefront6targetE0EEEvT1_: ; @_ZN7rocprim17ROCPRIM_400000_NS6detail17trampoline_kernelINS0_14default_configENS1_25partition_config_selectorILNS1_17partition_subalgoE5EjNS0_10empty_typeEbEEZZNS1_14partition_implILS5_5ELb0ES3_mN6thrust23THRUST_200600_302600_NS6detail15normal_iteratorINSA_10device_ptrIjEEEEPS6_NSA_18transform_iteratorINSB_9not_fun_tINSA_8identityIjEEEESF_NSA_11use_defaultESM_EENS0_5tupleIJSF_S6_EEENSO_IJSG_SG_EEES6_PlJS6_EEE10hipError_tPvRmT3_T4_T5_T6_T7_T9_mT8_P12ihipStream_tbDpT10_ENKUlT_T0_E_clISt17integral_constantIbLb0EES1A_IbLb1EEEEDaS16_S17_EUlS16_E_NS1_11comp_targetILNS1_3genE4ELNS1_11target_archE910ELNS1_3gpuE8ELNS1_3repE0EEENS1_30default_config_static_selectorELNS0_4arch9wavefront6targetE0EEEvT1_
; %bb.0:
	.section	.rodata,"a",@progbits
	.p2align	6, 0x0
	.amdhsa_kernel _ZN7rocprim17ROCPRIM_400000_NS6detail17trampoline_kernelINS0_14default_configENS1_25partition_config_selectorILNS1_17partition_subalgoE5EjNS0_10empty_typeEbEEZZNS1_14partition_implILS5_5ELb0ES3_mN6thrust23THRUST_200600_302600_NS6detail15normal_iteratorINSA_10device_ptrIjEEEEPS6_NSA_18transform_iteratorINSB_9not_fun_tINSA_8identityIjEEEESF_NSA_11use_defaultESM_EENS0_5tupleIJSF_S6_EEENSO_IJSG_SG_EEES6_PlJS6_EEE10hipError_tPvRmT3_T4_T5_T6_T7_T9_mT8_P12ihipStream_tbDpT10_ENKUlT_T0_E_clISt17integral_constantIbLb0EES1A_IbLb1EEEEDaS16_S17_EUlS16_E_NS1_11comp_targetILNS1_3genE4ELNS1_11target_archE910ELNS1_3gpuE8ELNS1_3repE0EEENS1_30default_config_static_selectorELNS0_4arch9wavefront6targetE0EEEvT1_
		.amdhsa_group_segment_fixed_size 0
		.amdhsa_private_segment_fixed_size 0
		.amdhsa_kernarg_size 136
		.amdhsa_user_sgpr_count 2
		.amdhsa_user_sgpr_dispatch_ptr 0
		.amdhsa_user_sgpr_queue_ptr 0
		.amdhsa_user_sgpr_kernarg_segment_ptr 1
		.amdhsa_user_sgpr_dispatch_id 0
		.amdhsa_user_sgpr_private_segment_size 0
		.amdhsa_wavefront_size32 1
		.amdhsa_uses_dynamic_stack 0
		.amdhsa_enable_private_segment 0
		.amdhsa_system_sgpr_workgroup_id_x 1
		.amdhsa_system_sgpr_workgroup_id_y 0
		.amdhsa_system_sgpr_workgroup_id_z 0
		.amdhsa_system_sgpr_workgroup_info 0
		.amdhsa_system_vgpr_workitem_id 0
		.amdhsa_next_free_vgpr 1
		.amdhsa_next_free_sgpr 1
		.amdhsa_reserve_vcc 0
		.amdhsa_float_round_mode_32 0
		.amdhsa_float_round_mode_16_64 0
		.amdhsa_float_denorm_mode_32 3
		.amdhsa_float_denorm_mode_16_64 3
		.amdhsa_fp16_overflow 0
		.amdhsa_workgroup_processor_mode 1
		.amdhsa_memory_ordered 1
		.amdhsa_forward_progress 1
		.amdhsa_inst_pref_size 0
		.amdhsa_round_robin_scheduling 0
		.amdhsa_exception_fp_ieee_invalid_op 0
		.amdhsa_exception_fp_denorm_src 0
		.amdhsa_exception_fp_ieee_div_zero 0
		.amdhsa_exception_fp_ieee_overflow 0
		.amdhsa_exception_fp_ieee_underflow 0
		.amdhsa_exception_fp_ieee_inexact 0
		.amdhsa_exception_int_div_zero 0
	.end_amdhsa_kernel
	.section	.text._ZN7rocprim17ROCPRIM_400000_NS6detail17trampoline_kernelINS0_14default_configENS1_25partition_config_selectorILNS1_17partition_subalgoE5EjNS0_10empty_typeEbEEZZNS1_14partition_implILS5_5ELb0ES3_mN6thrust23THRUST_200600_302600_NS6detail15normal_iteratorINSA_10device_ptrIjEEEEPS6_NSA_18transform_iteratorINSB_9not_fun_tINSA_8identityIjEEEESF_NSA_11use_defaultESM_EENS0_5tupleIJSF_S6_EEENSO_IJSG_SG_EEES6_PlJS6_EEE10hipError_tPvRmT3_T4_T5_T6_T7_T9_mT8_P12ihipStream_tbDpT10_ENKUlT_T0_E_clISt17integral_constantIbLb0EES1A_IbLb1EEEEDaS16_S17_EUlS16_E_NS1_11comp_targetILNS1_3genE4ELNS1_11target_archE910ELNS1_3gpuE8ELNS1_3repE0EEENS1_30default_config_static_selectorELNS0_4arch9wavefront6targetE0EEEvT1_,"axG",@progbits,_ZN7rocprim17ROCPRIM_400000_NS6detail17trampoline_kernelINS0_14default_configENS1_25partition_config_selectorILNS1_17partition_subalgoE5EjNS0_10empty_typeEbEEZZNS1_14partition_implILS5_5ELb0ES3_mN6thrust23THRUST_200600_302600_NS6detail15normal_iteratorINSA_10device_ptrIjEEEEPS6_NSA_18transform_iteratorINSB_9not_fun_tINSA_8identityIjEEEESF_NSA_11use_defaultESM_EENS0_5tupleIJSF_S6_EEENSO_IJSG_SG_EEES6_PlJS6_EEE10hipError_tPvRmT3_T4_T5_T6_T7_T9_mT8_P12ihipStream_tbDpT10_ENKUlT_T0_E_clISt17integral_constantIbLb0EES1A_IbLb1EEEEDaS16_S17_EUlS16_E_NS1_11comp_targetILNS1_3genE4ELNS1_11target_archE910ELNS1_3gpuE8ELNS1_3repE0EEENS1_30default_config_static_selectorELNS0_4arch9wavefront6targetE0EEEvT1_,comdat
.Lfunc_end911:
	.size	_ZN7rocprim17ROCPRIM_400000_NS6detail17trampoline_kernelINS0_14default_configENS1_25partition_config_selectorILNS1_17partition_subalgoE5EjNS0_10empty_typeEbEEZZNS1_14partition_implILS5_5ELb0ES3_mN6thrust23THRUST_200600_302600_NS6detail15normal_iteratorINSA_10device_ptrIjEEEEPS6_NSA_18transform_iteratorINSB_9not_fun_tINSA_8identityIjEEEESF_NSA_11use_defaultESM_EENS0_5tupleIJSF_S6_EEENSO_IJSG_SG_EEES6_PlJS6_EEE10hipError_tPvRmT3_T4_T5_T6_T7_T9_mT8_P12ihipStream_tbDpT10_ENKUlT_T0_E_clISt17integral_constantIbLb0EES1A_IbLb1EEEEDaS16_S17_EUlS16_E_NS1_11comp_targetILNS1_3genE4ELNS1_11target_archE910ELNS1_3gpuE8ELNS1_3repE0EEENS1_30default_config_static_selectorELNS0_4arch9wavefront6targetE0EEEvT1_, .Lfunc_end911-_ZN7rocprim17ROCPRIM_400000_NS6detail17trampoline_kernelINS0_14default_configENS1_25partition_config_selectorILNS1_17partition_subalgoE5EjNS0_10empty_typeEbEEZZNS1_14partition_implILS5_5ELb0ES3_mN6thrust23THRUST_200600_302600_NS6detail15normal_iteratorINSA_10device_ptrIjEEEEPS6_NSA_18transform_iteratorINSB_9not_fun_tINSA_8identityIjEEEESF_NSA_11use_defaultESM_EENS0_5tupleIJSF_S6_EEENSO_IJSG_SG_EEES6_PlJS6_EEE10hipError_tPvRmT3_T4_T5_T6_T7_T9_mT8_P12ihipStream_tbDpT10_ENKUlT_T0_E_clISt17integral_constantIbLb0EES1A_IbLb1EEEEDaS16_S17_EUlS16_E_NS1_11comp_targetILNS1_3genE4ELNS1_11target_archE910ELNS1_3gpuE8ELNS1_3repE0EEENS1_30default_config_static_selectorELNS0_4arch9wavefront6targetE0EEEvT1_
                                        ; -- End function
	.set _ZN7rocprim17ROCPRIM_400000_NS6detail17trampoline_kernelINS0_14default_configENS1_25partition_config_selectorILNS1_17partition_subalgoE5EjNS0_10empty_typeEbEEZZNS1_14partition_implILS5_5ELb0ES3_mN6thrust23THRUST_200600_302600_NS6detail15normal_iteratorINSA_10device_ptrIjEEEEPS6_NSA_18transform_iteratorINSB_9not_fun_tINSA_8identityIjEEEESF_NSA_11use_defaultESM_EENS0_5tupleIJSF_S6_EEENSO_IJSG_SG_EEES6_PlJS6_EEE10hipError_tPvRmT3_T4_T5_T6_T7_T9_mT8_P12ihipStream_tbDpT10_ENKUlT_T0_E_clISt17integral_constantIbLb0EES1A_IbLb1EEEEDaS16_S17_EUlS16_E_NS1_11comp_targetILNS1_3genE4ELNS1_11target_archE910ELNS1_3gpuE8ELNS1_3repE0EEENS1_30default_config_static_selectorELNS0_4arch9wavefront6targetE0EEEvT1_.num_vgpr, 0
	.set _ZN7rocprim17ROCPRIM_400000_NS6detail17trampoline_kernelINS0_14default_configENS1_25partition_config_selectorILNS1_17partition_subalgoE5EjNS0_10empty_typeEbEEZZNS1_14partition_implILS5_5ELb0ES3_mN6thrust23THRUST_200600_302600_NS6detail15normal_iteratorINSA_10device_ptrIjEEEEPS6_NSA_18transform_iteratorINSB_9not_fun_tINSA_8identityIjEEEESF_NSA_11use_defaultESM_EENS0_5tupleIJSF_S6_EEENSO_IJSG_SG_EEES6_PlJS6_EEE10hipError_tPvRmT3_T4_T5_T6_T7_T9_mT8_P12ihipStream_tbDpT10_ENKUlT_T0_E_clISt17integral_constantIbLb0EES1A_IbLb1EEEEDaS16_S17_EUlS16_E_NS1_11comp_targetILNS1_3genE4ELNS1_11target_archE910ELNS1_3gpuE8ELNS1_3repE0EEENS1_30default_config_static_selectorELNS0_4arch9wavefront6targetE0EEEvT1_.num_agpr, 0
	.set _ZN7rocprim17ROCPRIM_400000_NS6detail17trampoline_kernelINS0_14default_configENS1_25partition_config_selectorILNS1_17partition_subalgoE5EjNS0_10empty_typeEbEEZZNS1_14partition_implILS5_5ELb0ES3_mN6thrust23THRUST_200600_302600_NS6detail15normal_iteratorINSA_10device_ptrIjEEEEPS6_NSA_18transform_iteratorINSB_9not_fun_tINSA_8identityIjEEEESF_NSA_11use_defaultESM_EENS0_5tupleIJSF_S6_EEENSO_IJSG_SG_EEES6_PlJS6_EEE10hipError_tPvRmT3_T4_T5_T6_T7_T9_mT8_P12ihipStream_tbDpT10_ENKUlT_T0_E_clISt17integral_constantIbLb0EES1A_IbLb1EEEEDaS16_S17_EUlS16_E_NS1_11comp_targetILNS1_3genE4ELNS1_11target_archE910ELNS1_3gpuE8ELNS1_3repE0EEENS1_30default_config_static_selectorELNS0_4arch9wavefront6targetE0EEEvT1_.numbered_sgpr, 0
	.set _ZN7rocprim17ROCPRIM_400000_NS6detail17trampoline_kernelINS0_14default_configENS1_25partition_config_selectorILNS1_17partition_subalgoE5EjNS0_10empty_typeEbEEZZNS1_14partition_implILS5_5ELb0ES3_mN6thrust23THRUST_200600_302600_NS6detail15normal_iteratorINSA_10device_ptrIjEEEEPS6_NSA_18transform_iteratorINSB_9not_fun_tINSA_8identityIjEEEESF_NSA_11use_defaultESM_EENS0_5tupleIJSF_S6_EEENSO_IJSG_SG_EEES6_PlJS6_EEE10hipError_tPvRmT3_T4_T5_T6_T7_T9_mT8_P12ihipStream_tbDpT10_ENKUlT_T0_E_clISt17integral_constantIbLb0EES1A_IbLb1EEEEDaS16_S17_EUlS16_E_NS1_11comp_targetILNS1_3genE4ELNS1_11target_archE910ELNS1_3gpuE8ELNS1_3repE0EEENS1_30default_config_static_selectorELNS0_4arch9wavefront6targetE0EEEvT1_.num_named_barrier, 0
	.set _ZN7rocprim17ROCPRIM_400000_NS6detail17trampoline_kernelINS0_14default_configENS1_25partition_config_selectorILNS1_17partition_subalgoE5EjNS0_10empty_typeEbEEZZNS1_14partition_implILS5_5ELb0ES3_mN6thrust23THRUST_200600_302600_NS6detail15normal_iteratorINSA_10device_ptrIjEEEEPS6_NSA_18transform_iteratorINSB_9not_fun_tINSA_8identityIjEEEESF_NSA_11use_defaultESM_EENS0_5tupleIJSF_S6_EEENSO_IJSG_SG_EEES6_PlJS6_EEE10hipError_tPvRmT3_T4_T5_T6_T7_T9_mT8_P12ihipStream_tbDpT10_ENKUlT_T0_E_clISt17integral_constantIbLb0EES1A_IbLb1EEEEDaS16_S17_EUlS16_E_NS1_11comp_targetILNS1_3genE4ELNS1_11target_archE910ELNS1_3gpuE8ELNS1_3repE0EEENS1_30default_config_static_selectorELNS0_4arch9wavefront6targetE0EEEvT1_.private_seg_size, 0
	.set _ZN7rocprim17ROCPRIM_400000_NS6detail17trampoline_kernelINS0_14default_configENS1_25partition_config_selectorILNS1_17partition_subalgoE5EjNS0_10empty_typeEbEEZZNS1_14partition_implILS5_5ELb0ES3_mN6thrust23THRUST_200600_302600_NS6detail15normal_iteratorINSA_10device_ptrIjEEEEPS6_NSA_18transform_iteratorINSB_9not_fun_tINSA_8identityIjEEEESF_NSA_11use_defaultESM_EENS0_5tupleIJSF_S6_EEENSO_IJSG_SG_EEES6_PlJS6_EEE10hipError_tPvRmT3_T4_T5_T6_T7_T9_mT8_P12ihipStream_tbDpT10_ENKUlT_T0_E_clISt17integral_constantIbLb0EES1A_IbLb1EEEEDaS16_S17_EUlS16_E_NS1_11comp_targetILNS1_3genE4ELNS1_11target_archE910ELNS1_3gpuE8ELNS1_3repE0EEENS1_30default_config_static_selectorELNS0_4arch9wavefront6targetE0EEEvT1_.uses_vcc, 0
	.set _ZN7rocprim17ROCPRIM_400000_NS6detail17trampoline_kernelINS0_14default_configENS1_25partition_config_selectorILNS1_17partition_subalgoE5EjNS0_10empty_typeEbEEZZNS1_14partition_implILS5_5ELb0ES3_mN6thrust23THRUST_200600_302600_NS6detail15normal_iteratorINSA_10device_ptrIjEEEEPS6_NSA_18transform_iteratorINSB_9not_fun_tINSA_8identityIjEEEESF_NSA_11use_defaultESM_EENS0_5tupleIJSF_S6_EEENSO_IJSG_SG_EEES6_PlJS6_EEE10hipError_tPvRmT3_T4_T5_T6_T7_T9_mT8_P12ihipStream_tbDpT10_ENKUlT_T0_E_clISt17integral_constantIbLb0EES1A_IbLb1EEEEDaS16_S17_EUlS16_E_NS1_11comp_targetILNS1_3genE4ELNS1_11target_archE910ELNS1_3gpuE8ELNS1_3repE0EEENS1_30default_config_static_selectorELNS0_4arch9wavefront6targetE0EEEvT1_.uses_flat_scratch, 0
	.set _ZN7rocprim17ROCPRIM_400000_NS6detail17trampoline_kernelINS0_14default_configENS1_25partition_config_selectorILNS1_17partition_subalgoE5EjNS0_10empty_typeEbEEZZNS1_14partition_implILS5_5ELb0ES3_mN6thrust23THRUST_200600_302600_NS6detail15normal_iteratorINSA_10device_ptrIjEEEEPS6_NSA_18transform_iteratorINSB_9not_fun_tINSA_8identityIjEEEESF_NSA_11use_defaultESM_EENS0_5tupleIJSF_S6_EEENSO_IJSG_SG_EEES6_PlJS6_EEE10hipError_tPvRmT3_T4_T5_T6_T7_T9_mT8_P12ihipStream_tbDpT10_ENKUlT_T0_E_clISt17integral_constantIbLb0EES1A_IbLb1EEEEDaS16_S17_EUlS16_E_NS1_11comp_targetILNS1_3genE4ELNS1_11target_archE910ELNS1_3gpuE8ELNS1_3repE0EEENS1_30default_config_static_selectorELNS0_4arch9wavefront6targetE0EEEvT1_.has_dyn_sized_stack, 0
	.set _ZN7rocprim17ROCPRIM_400000_NS6detail17trampoline_kernelINS0_14default_configENS1_25partition_config_selectorILNS1_17partition_subalgoE5EjNS0_10empty_typeEbEEZZNS1_14partition_implILS5_5ELb0ES3_mN6thrust23THRUST_200600_302600_NS6detail15normal_iteratorINSA_10device_ptrIjEEEEPS6_NSA_18transform_iteratorINSB_9not_fun_tINSA_8identityIjEEEESF_NSA_11use_defaultESM_EENS0_5tupleIJSF_S6_EEENSO_IJSG_SG_EEES6_PlJS6_EEE10hipError_tPvRmT3_T4_T5_T6_T7_T9_mT8_P12ihipStream_tbDpT10_ENKUlT_T0_E_clISt17integral_constantIbLb0EES1A_IbLb1EEEEDaS16_S17_EUlS16_E_NS1_11comp_targetILNS1_3genE4ELNS1_11target_archE910ELNS1_3gpuE8ELNS1_3repE0EEENS1_30default_config_static_selectorELNS0_4arch9wavefront6targetE0EEEvT1_.has_recursion, 0
	.set _ZN7rocprim17ROCPRIM_400000_NS6detail17trampoline_kernelINS0_14default_configENS1_25partition_config_selectorILNS1_17partition_subalgoE5EjNS0_10empty_typeEbEEZZNS1_14partition_implILS5_5ELb0ES3_mN6thrust23THRUST_200600_302600_NS6detail15normal_iteratorINSA_10device_ptrIjEEEEPS6_NSA_18transform_iteratorINSB_9not_fun_tINSA_8identityIjEEEESF_NSA_11use_defaultESM_EENS0_5tupleIJSF_S6_EEENSO_IJSG_SG_EEES6_PlJS6_EEE10hipError_tPvRmT3_T4_T5_T6_T7_T9_mT8_P12ihipStream_tbDpT10_ENKUlT_T0_E_clISt17integral_constantIbLb0EES1A_IbLb1EEEEDaS16_S17_EUlS16_E_NS1_11comp_targetILNS1_3genE4ELNS1_11target_archE910ELNS1_3gpuE8ELNS1_3repE0EEENS1_30default_config_static_selectorELNS0_4arch9wavefront6targetE0EEEvT1_.has_indirect_call, 0
	.section	.AMDGPU.csdata,"",@progbits
; Kernel info:
; codeLenInByte = 0
; TotalNumSgprs: 0
; NumVgprs: 0
; ScratchSize: 0
; MemoryBound: 0
; FloatMode: 240
; IeeeMode: 1
; LDSByteSize: 0 bytes/workgroup (compile time only)
; SGPRBlocks: 0
; VGPRBlocks: 0
; NumSGPRsForWavesPerEU: 1
; NumVGPRsForWavesPerEU: 1
; Occupancy: 16
; WaveLimiterHint : 0
; COMPUTE_PGM_RSRC2:SCRATCH_EN: 0
; COMPUTE_PGM_RSRC2:USER_SGPR: 2
; COMPUTE_PGM_RSRC2:TRAP_HANDLER: 0
; COMPUTE_PGM_RSRC2:TGID_X_EN: 1
; COMPUTE_PGM_RSRC2:TGID_Y_EN: 0
; COMPUTE_PGM_RSRC2:TGID_Z_EN: 0
; COMPUTE_PGM_RSRC2:TIDIG_COMP_CNT: 0
	.section	.text._ZN7rocprim17ROCPRIM_400000_NS6detail17trampoline_kernelINS0_14default_configENS1_25partition_config_selectorILNS1_17partition_subalgoE5EjNS0_10empty_typeEbEEZZNS1_14partition_implILS5_5ELb0ES3_mN6thrust23THRUST_200600_302600_NS6detail15normal_iteratorINSA_10device_ptrIjEEEEPS6_NSA_18transform_iteratorINSB_9not_fun_tINSA_8identityIjEEEESF_NSA_11use_defaultESM_EENS0_5tupleIJSF_S6_EEENSO_IJSG_SG_EEES6_PlJS6_EEE10hipError_tPvRmT3_T4_T5_T6_T7_T9_mT8_P12ihipStream_tbDpT10_ENKUlT_T0_E_clISt17integral_constantIbLb0EES1A_IbLb1EEEEDaS16_S17_EUlS16_E_NS1_11comp_targetILNS1_3genE3ELNS1_11target_archE908ELNS1_3gpuE7ELNS1_3repE0EEENS1_30default_config_static_selectorELNS0_4arch9wavefront6targetE0EEEvT1_,"axG",@progbits,_ZN7rocprim17ROCPRIM_400000_NS6detail17trampoline_kernelINS0_14default_configENS1_25partition_config_selectorILNS1_17partition_subalgoE5EjNS0_10empty_typeEbEEZZNS1_14partition_implILS5_5ELb0ES3_mN6thrust23THRUST_200600_302600_NS6detail15normal_iteratorINSA_10device_ptrIjEEEEPS6_NSA_18transform_iteratorINSB_9not_fun_tINSA_8identityIjEEEESF_NSA_11use_defaultESM_EENS0_5tupleIJSF_S6_EEENSO_IJSG_SG_EEES6_PlJS6_EEE10hipError_tPvRmT3_T4_T5_T6_T7_T9_mT8_P12ihipStream_tbDpT10_ENKUlT_T0_E_clISt17integral_constantIbLb0EES1A_IbLb1EEEEDaS16_S17_EUlS16_E_NS1_11comp_targetILNS1_3genE3ELNS1_11target_archE908ELNS1_3gpuE7ELNS1_3repE0EEENS1_30default_config_static_selectorELNS0_4arch9wavefront6targetE0EEEvT1_,comdat
	.protected	_ZN7rocprim17ROCPRIM_400000_NS6detail17trampoline_kernelINS0_14default_configENS1_25partition_config_selectorILNS1_17partition_subalgoE5EjNS0_10empty_typeEbEEZZNS1_14partition_implILS5_5ELb0ES3_mN6thrust23THRUST_200600_302600_NS6detail15normal_iteratorINSA_10device_ptrIjEEEEPS6_NSA_18transform_iteratorINSB_9not_fun_tINSA_8identityIjEEEESF_NSA_11use_defaultESM_EENS0_5tupleIJSF_S6_EEENSO_IJSG_SG_EEES6_PlJS6_EEE10hipError_tPvRmT3_T4_T5_T6_T7_T9_mT8_P12ihipStream_tbDpT10_ENKUlT_T0_E_clISt17integral_constantIbLb0EES1A_IbLb1EEEEDaS16_S17_EUlS16_E_NS1_11comp_targetILNS1_3genE3ELNS1_11target_archE908ELNS1_3gpuE7ELNS1_3repE0EEENS1_30default_config_static_selectorELNS0_4arch9wavefront6targetE0EEEvT1_ ; -- Begin function _ZN7rocprim17ROCPRIM_400000_NS6detail17trampoline_kernelINS0_14default_configENS1_25partition_config_selectorILNS1_17partition_subalgoE5EjNS0_10empty_typeEbEEZZNS1_14partition_implILS5_5ELb0ES3_mN6thrust23THRUST_200600_302600_NS6detail15normal_iteratorINSA_10device_ptrIjEEEEPS6_NSA_18transform_iteratorINSB_9not_fun_tINSA_8identityIjEEEESF_NSA_11use_defaultESM_EENS0_5tupleIJSF_S6_EEENSO_IJSG_SG_EEES6_PlJS6_EEE10hipError_tPvRmT3_T4_T5_T6_T7_T9_mT8_P12ihipStream_tbDpT10_ENKUlT_T0_E_clISt17integral_constantIbLb0EES1A_IbLb1EEEEDaS16_S17_EUlS16_E_NS1_11comp_targetILNS1_3genE3ELNS1_11target_archE908ELNS1_3gpuE7ELNS1_3repE0EEENS1_30default_config_static_selectorELNS0_4arch9wavefront6targetE0EEEvT1_
	.globl	_ZN7rocprim17ROCPRIM_400000_NS6detail17trampoline_kernelINS0_14default_configENS1_25partition_config_selectorILNS1_17partition_subalgoE5EjNS0_10empty_typeEbEEZZNS1_14partition_implILS5_5ELb0ES3_mN6thrust23THRUST_200600_302600_NS6detail15normal_iteratorINSA_10device_ptrIjEEEEPS6_NSA_18transform_iteratorINSB_9not_fun_tINSA_8identityIjEEEESF_NSA_11use_defaultESM_EENS0_5tupleIJSF_S6_EEENSO_IJSG_SG_EEES6_PlJS6_EEE10hipError_tPvRmT3_T4_T5_T6_T7_T9_mT8_P12ihipStream_tbDpT10_ENKUlT_T0_E_clISt17integral_constantIbLb0EES1A_IbLb1EEEEDaS16_S17_EUlS16_E_NS1_11comp_targetILNS1_3genE3ELNS1_11target_archE908ELNS1_3gpuE7ELNS1_3repE0EEENS1_30default_config_static_selectorELNS0_4arch9wavefront6targetE0EEEvT1_
	.p2align	8
	.type	_ZN7rocprim17ROCPRIM_400000_NS6detail17trampoline_kernelINS0_14default_configENS1_25partition_config_selectorILNS1_17partition_subalgoE5EjNS0_10empty_typeEbEEZZNS1_14partition_implILS5_5ELb0ES3_mN6thrust23THRUST_200600_302600_NS6detail15normal_iteratorINSA_10device_ptrIjEEEEPS6_NSA_18transform_iteratorINSB_9not_fun_tINSA_8identityIjEEEESF_NSA_11use_defaultESM_EENS0_5tupleIJSF_S6_EEENSO_IJSG_SG_EEES6_PlJS6_EEE10hipError_tPvRmT3_T4_T5_T6_T7_T9_mT8_P12ihipStream_tbDpT10_ENKUlT_T0_E_clISt17integral_constantIbLb0EES1A_IbLb1EEEEDaS16_S17_EUlS16_E_NS1_11comp_targetILNS1_3genE3ELNS1_11target_archE908ELNS1_3gpuE7ELNS1_3repE0EEENS1_30default_config_static_selectorELNS0_4arch9wavefront6targetE0EEEvT1_,@function
_ZN7rocprim17ROCPRIM_400000_NS6detail17trampoline_kernelINS0_14default_configENS1_25partition_config_selectorILNS1_17partition_subalgoE5EjNS0_10empty_typeEbEEZZNS1_14partition_implILS5_5ELb0ES3_mN6thrust23THRUST_200600_302600_NS6detail15normal_iteratorINSA_10device_ptrIjEEEEPS6_NSA_18transform_iteratorINSB_9not_fun_tINSA_8identityIjEEEESF_NSA_11use_defaultESM_EENS0_5tupleIJSF_S6_EEENSO_IJSG_SG_EEES6_PlJS6_EEE10hipError_tPvRmT3_T4_T5_T6_T7_T9_mT8_P12ihipStream_tbDpT10_ENKUlT_T0_E_clISt17integral_constantIbLb0EES1A_IbLb1EEEEDaS16_S17_EUlS16_E_NS1_11comp_targetILNS1_3genE3ELNS1_11target_archE908ELNS1_3gpuE7ELNS1_3repE0EEENS1_30default_config_static_selectorELNS0_4arch9wavefront6targetE0EEEvT1_: ; @_ZN7rocprim17ROCPRIM_400000_NS6detail17trampoline_kernelINS0_14default_configENS1_25partition_config_selectorILNS1_17partition_subalgoE5EjNS0_10empty_typeEbEEZZNS1_14partition_implILS5_5ELb0ES3_mN6thrust23THRUST_200600_302600_NS6detail15normal_iteratorINSA_10device_ptrIjEEEEPS6_NSA_18transform_iteratorINSB_9not_fun_tINSA_8identityIjEEEESF_NSA_11use_defaultESM_EENS0_5tupleIJSF_S6_EEENSO_IJSG_SG_EEES6_PlJS6_EEE10hipError_tPvRmT3_T4_T5_T6_T7_T9_mT8_P12ihipStream_tbDpT10_ENKUlT_T0_E_clISt17integral_constantIbLb0EES1A_IbLb1EEEEDaS16_S17_EUlS16_E_NS1_11comp_targetILNS1_3genE3ELNS1_11target_archE908ELNS1_3gpuE7ELNS1_3repE0EEENS1_30default_config_static_selectorELNS0_4arch9wavefront6targetE0EEEvT1_
; %bb.0:
	.section	.rodata,"a",@progbits
	.p2align	6, 0x0
	.amdhsa_kernel _ZN7rocprim17ROCPRIM_400000_NS6detail17trampoline_kernelINS0_14default_configENS1_25partition_config_selectorILNS1_17partition_subalgoE5EjNS0_10empty_typeEbEEZZNS1_14partition_implILS5_5ELb0ES3_mN6thrust23THRUST_200600_302600_NS6detail15normal_iteratorINSA_10device_ptrIjEEEEPS6_NSA_18transform_iteratorINSB_9not_fun_tINSA_8identityIjEEEESF_NSA_11use_defaultESM_EENS0_5tupleIJSF_S6_EEENSO_IJSG_SG_EEES6_PlJS6_EEE10hipError_tPvRmT3_T4_T5_T6_T7_T9_mT8_P12ihipStream_tbDpT10_ENKUlT_T0_E_clISt17integral_constantIbLb0EES1A_IbLb1EEEEDaS16_S17_EUlS16_E_NS1_11comp_targetILNS1_3genE3ELNS1_11target_archE908ELNS1_3gpuE7ELNS1_3repE0EEENS1_30default_config_static_selectorELNS0_4arch9wavefront6targetE0EEEvT1_
		.amdhsa_group_segment_fixed_size 0
		.amdhsa_private_segment_fixed_size 0
		.amdhsa_kernarg_size 136
		.amdhsa_user_sgpr_count 2
		.amdhsa_user_sgpr_dispatch_ptr 0
		.amdhsa_user_sgpr_queue_ptr 0
		.amdhsa_user_sgpr_kernarg_segment_ptr 1
		.amdhsa_user_sgpr_dispatch_id 0
		.amdhsa_user_sgpr_private_segment_size 0
		.amdhsa_wavefront_size32 1
		.amdhsa_uses_dynamic_stack 0
		.amdhsa_enable_private_segment 0
		.amdhsa_system_sgpr_workgroup_id_x 1
		.amdhsa_system_sgpr_workgroup_id_y 0
		.amdhsa_system_sgpr_workgroup_id_z 0
		.amdhsa_system_sgpr_workgroup_info 0
		.amdhsa_system_vgpr_workitem_id 0
		.amdhsa_next_free_vgpr 1
		.amdhsa_next_free_sgpr 1
		.amdhsa_reserve_vcc 0
		.amdhsa_float_round_mode_32 0
		.amdhsa_float_round_mode_16_64 0
		.amdhsa_float_denorm_mode_32 3
		.amdhsa_float_denorm_mode_16_64 3
		.amdhsa_fp16_overflow 0
		.amdhsa_workgroup_processor_mode 1
		.amdhsa_memory_ordered 1
		.amdhsa_forward_progress 1
		.amdhsa_inst_pref_size 0
		.amdhsa_round_robin_scheduling 0
		.amdhsa_exception_fp_ieee_invalid_op 0
		.amdhsa_exception_fp_denorm_src 0
		.amdhsa_exception_fp_ieee_div_zero 0
		.amdhsa_exception_fp_ieee_overflow 0
		.amdhsa_exception_fp_ieee_underflow 0
		.amdhsa_exception_fp_ieee_inexact 0
		.amdhsa_exception_int_div_zero 0
	.end_amdhsa_kernel
	.section	.text._ZN7rocprim17ROCPRIM_400000_NS6detail17trampoline_kernelINS0_14default_configENS1_25partition_config_selectorILNS1_17partition_subalgoE5EjNS0_10empty_typeEbEEZZNS1_14partition_implILS5_5ELb0ES3_mN6thrust23THRUST_200600_302600_NS6detail15normal_iteratorINSA_10device_ptrIjEEEEPS6_NSA_18transform_iteratorINSB_9not_fun_tINSA_8identityIjEEEESF_NSA_11use_defaultESM_EENS0_5tupleIJSF_S6_EEENSO_IJSG_SG_EEES6_PlJS6_EEE10hipError_tPvRmT3_T4_T5_T6_T7_T9_mT8_P12ihipStream_tbDpT10_ENKUlT_T0_E_clISt17integral_constantIbLb0EES1A_IbLb1EEEEDaS16_S17_EUlS16_E_NS1_11comp_targetILNS1_3genE3ELNS1_11target_archE908ELNS1_3gpuE7ELNS1_3repE0EEENS1_30default_config_static_selectorELNS0_4arch9wavefront6targetE0EEEvT1_,"axG",@progbits,_ZN7rocprim17ROCPRIM_400000_NS6detail17trampoline_kernelINS0_14default_configENS1_25partition_config_selectorILNS1_17partition_subalgoE5EjNS0_10empty_typeEbEEZZNS1_14partition_implILS5_5ELb0ES3_mN6thrust23THRUST_200600_302600_NS6detail15normal_iteratorINSA_10device_ptrIjEEEEPS6_NSA_18transform_iteratorINSB_9not_fun_tINSA_8identityIjEEEESF_NSA_11use_defaultESM_EENS0_5tupleIJSF_S6_EEENSO_IJSG_SG_EEES6_PlJS6_EEE10hipError_tPvRmT3_T4_T5_T6_T7_T9_mT8_P12ihipStream_tbDpT10_ENKUlT_T0_E_clISt17integral_constantIbLb0EES1A_IbLb1EEEEDaS16_S17_EUlS16_E_NS1_11comp_targetILNS1_3genE3ELNS1_11target_archE908ELNS1_3gpuE7ELNS1_3repE0EEENS1_30default_config_static_selectorELNS0_4arch9wavefront6targetE0EEEvT1_,comdat
.Lfunc_end912:
	.size	_ZN7rocprim17ROCPRIM_400000_NS6detail17trampoline_kernelINS0_14default_configENS1_25partition_config_selectorILNS1_17partition_subalgoE5EjNS0_10empty_typeEbEEZZNS1_14partition_implILS5_5ELb0ES3_mN6thrust23THRUST_200600_302600_NS6detail15normal_iteratorINSA_10device_ptrIjEEEEPS6_NSA_18transform_iteratorINSB_9not_fun_tINSA_8identityIjEEEESF_NSA_11use_defaultESM_EENS0_5tupleIJSF_S6_EEENSO_IJSG_SG_EEES6_PlJS6_EEE10hipError_tPvRmT3_T4_T5_T6_T7_T9_mT8_P12ihipStream_tbDpT10_ENKUlT_T0_E_clISt17integral_constantIbLb0EES1A_IbLb1EEEEDaS16_S17_EUlS16_E_NS1_11comp_targetILNS1_3genE3ELNS1_11target_archE908ELNS1_3gpuE7ELNS1_3repE0EEENS1_30default_config_static_selectorELNS0_4arch9wavefront6targetE0EEEvT1_, .Lfunc_end912-_ZN7rocprim17ROCPRIM_400000_NS6detail17trampoline_kernelINS0_14default_configENS1_25partition_config_selectorILNS1_17partition_subalgoE5EjNS0_10empty_typeEbEEZZNS1_14partition_implILS5_5ELb0ES3_mN6thrust23THRUST_200600_302600_NS6detail15normal_iteratorINSA_10device_ptrIjEEEEPS6_NSA_18transform_iteratorINSB_9not_fun_tINSA_8identityIjEEEESF_NSA_11use_defaultESM_EENS0_5tupleIJSF_S6_EEENSO_IJSG_SG_EEES6_PlJS6_EEE10hipError_tPvRmT3_T4_T5_T6_T7_T9_mT8_P12ihipStream_tbDpT10_ENKUlT_T0_E_clISt17integral_constantIbLb0EES1A_IbLb1EEEEDaS16_S17_EUlS16_E_NS1_11comp_targetILNS1_3genE3ELNS1_11target_archE908ELNS1_3gpuE7ELNS1_3repE0EEENS1_30default_config_static_selectorELNS0_4arch9wavefront6targetE0EEEvT1_
                                        ; -- End function
	.set _ZN7rocprim17ROCPRIM_400000_NS6detail17trampoline_kernelINS0_14default_configENS1_25partition_config_selectorILNS1_17partition_subalgoE5EjNS0_10empty_typeEbEEZZNS1_14partition_implILS5_5ELb0ES3_mN6thrust23THRUST_200600_302600_NS6detail15normal_iteratorINSA_10device_ptrIjEEEEPS6_NSA_18transform_iteratorINSB_9not_fun_tINSA_8identityIjEEEESF_NSA_11use_defaultESM_EENS0_5tupleIJSF_S6_EEENSO_IJSG_SG_EEES6_PlJS6_EEE10hipError_tPvRmT3_T4_T5_T6_T7_T9_mT8_P12ihipStream_tbDpT10_ENKUlT_T0_E_clISt17integral_constantIbLb0EES1A_IbLb1EEEEDaS16_S17_EUlS16_E_NS1_11comp_targetILNS1_3genE3ELNS1_11target_archE908ELNS1_3gpuE7ELNS1_3repE0EEENS1_30default_config_static_selectorELNS0_4arch9wavefront6targetE0EEEvT1_.num_vgpr, 0
	.set _ZN7rocprim17ROCPRIM_400000_NS6detail17trampoline_kernelINS0_14default_configENS1_25partition_config_selectorILNS1_17partition_subalgoE5EjNS0_10empty_typeEbEEZZNS1_14partition_implILS5_5ELb0ES3_mN6thrust23THRUST_200600_302600_NS6detail15normal_iteratorINSA_10device_ptrIjEEEEPS6_NSA_18transform_iteratorINSB_9not_fun_tINSA_8identityIjEEEESF_NSA_11use_defaultESM_EENS0_5tupleIJSF_S6_EEENSO_IJSG_SG_EEES6_PlJS6_EEE10hipError_tPvRmT3_T4_T5_T6_T7_T9_mT8_P12ihipStream_tbDpT10_ENKUlT_T0_E_clISt17integral_constantIbLb0EES1A_IbLb1EEEEDaS16_S17_EUlS16_E_NS1_11comp_targetILNS1_3genE3ELNS1_11target_archE908ELNS1_3gpuE7ELNS1_3repE0EEENS1_30default_config_static_selectorELNS0_4arch9wavefront6targetE0EEEvT1_.num_agpr, 0
	.set _ZN7rocprim17ROCPRIM_400000_NS6detail17trampoline_kernelINS0_14default_configENS1_25partition_config_selectorILNS1_17partition_subalgoE5EjNS0_10empty_typeEbEEZZNS1_14partition_implILS5_5ELb0ES3_mN6thrust23THRUST_200600_302600_NS6detail15normal_iteratorINSA_10device_ptrIjEEEEPS6_NSA_18transform_iteratorINSB_9not_fun_tINSA_8identityIjEEEESF_NSA_11use_defaultESM_EENS0_5tupleIJSF_S6_EEENSO_IJSG_SG_EEES6_PlJS6_EEE10hipError_tPvRmT3_T4_T5_T6_T7_T9_mT8_P12ihipStream_tbDpT10_ENKUlT_T0_E_clISt17integral_constantIbLb0EES1A_IbLb1EEEEDaS16_S17_EUlS16_E_NS1_11comp_targetILNS1_3genE3ELNS1_11target_archE908ELNS1_3gpuE7ELNS1_3repE0EEENS1_30default_config_static_selectorELNS0_4arch9wavefront6targetE0EEEvT1_.numbered_sgpr, 0
	.set _ZN7rocprim17ROCPRIM_400000_NS6detail17trampoline_kernelINS0_14default_configENS1_25partition_config_selectorILNS1_17partition_subalgoE5EjNS0_10empty_typeEbEEZZNS1_14partition_implILS5_5ELb0ES3_mN6thrust23THRUST_200600_302600_NS6detail15normal_iteratorINSA_10device_ptrIjEEEEPS6_NSA_18transform_iteratorINSB_9not_fun_tINSA_8identityIjEEEESF_NSA_11use_defaultESM_EENS0_5tupleIJSF_S6_EEENSO_IJSG_SG_EEES6_PlJS6_EEE10hipError_tPvRmT3_T4_T5_T6_T7_T9_mT8_P12ihipStream_tbDpT10_ENKUlT_T0_E_clISt17integral_constantIbLb0EES1A_IbLb1EEEEDaS16_S17_EUlS16_E_NS1_11comp_targetILNS1_3genE3ELNS1_11target_archE908ELNS1_3gpuE7ELNS1_3repE0EEENS1_30default_config_static_selectorELNS0_4arch9wavefront6targetE0EEEvT1_.num_named_barrier, 0
	.set _ZN7rocprim17ROCPRIM_400000_NS6detail17trampoline_kernelINS0_14default_configENS1_25partition_config_selectorILNS1_17partition_subalgoE5EjNS0_10empty_typeEbEEZZNS1_14partition_implILS5_5ELb0ES3_mN6thrust23THRUST_200600_302600_NS6detail15normal_iteratorINSA_10device_ptrIjEEEEPS6_NSA_18transform_iteratorINSB_9not_fun_tINSA_8identityIjEEEESF_NSA_11use_defaultESM_EENS0_5tupleIJSF_S6_EEENSO_IJSG_SG_EEES6_PlJS6_EEE10hipError_tPvRmT3_T4_T5_T6_T7_T9_mT8_P12ihipStream_tbDpT10_ENKUlT_T0_E_clISt17integral_constantIbLb0EES1A_IbLb1EEEEDaS16_S17_EUlS16_E_NS1_11comp_targetILNS1_3genE3ELNS1_11target_archE908ELNS1_3gpuE7ELNS1_3repE0EEENS1_30default_config_static_selectorELNS0_4arch9wavefront6targetE0EEEvT1_.private_seg_size, 0
	.set _ZN7rocprim17ROCPRIM_400000_NS6detail17trampoline_kernelINS0_14default_configENS1_25partition_config_selectorILNS1_17partition_subalgoE5EjNS0_10empty_typeEbEEZZNS1_14partition_implILS5_5ELb0ES3_mN6thrust23THRUST_200600_302600_NS6detail15normal_iteratorINSA_10device_ptrIjEEEEPS6_NSA_18transform_iteratorINSB_9not_fun_tINSA_8identityIjEEEESF_NSA_11use_defaultESM_EENS0_5tupleIJSF_S6_EEENSO_IJSG_SG_EEES6_PlJS6_EEE10hipError_tPvRmT3_T4_T5_T6_T7_T9_mT8_P12ihipStream_tbDpT10_ENKUlT_T0_E_clISt17integral_constantIbLb0EES1A_IbLb1EEEEDaS16_S17_EUlS16_E_NS1_11comp_targetILNS1_3genE3ELNS1_11target_archE908ELNS1_3gpuE7ELNS1_3repE0EEENS1_30default_config_static_selectorELNS0_4arch9wavefront6targetE0EEEvT1_.uses_vcc, 0
	.set _ZN7rocprim17ROCPRIM_400000_NS6detail17trampoline_kernelINS0_14default_configENS1_25partition_config_selectorILNS1_17partition_subalgoE5EjNS0_10empty_typeEbEEZZNS1_14partition_implILS5_5ELb0ES3_mN6thrust23THRUST_200600_302600_NS6detail15normal_iteratorINSA_10device_ptrIjEEEEPS6_NSA_18transform_iteratorINSB_9not_fun_tINSA_8identityIjEEEESF_NSA_11use_defaultESM_EENS0_5tupleIJSF_S6_EEENSO_IJSG_SG_EEES6_PlJS6_EEE10hipError_tPvRmT3_T4_T5_T6_T7_T9_mT8_P12ihipStream_tbDpT10_ENKUlT_T0_E_clISt17integral_constantIbLb0EES1A_IbLb1EEEEDaS16_S17_EUlS16_E_NS1_11comp_targetILNS1_3genE3ELNS1_11target_archE908ELNS1_3gpuE7ELNS1_3repE0EEENS1_30default_config_static_selectorELNS0_4arch9wavefront6targetE0EEEvT1_.uses_flat_scratch, 0
	.set _ZN7rocprim17ROCPRIM_400000_NS6detail17trampoline_kernelINS0_14default_configENS1_25partition_config_selectorILNS1_17partition_subalgoE5EjNS0_10empty_typeEbEEZZNS1_14partition_implILS5_5ELb0ES3_mN6thrust23THRUST_200600_302600_NS6detail15normal_iteratorINSA_10device_ptrIjEEEEPS6_NSA_18transform_iteratorINSB_9not_fun_tINSA_8identityIjEEEESF_NSA_11use_defaultESM_EENS0_5tupleIJSF_S6_EEENSO_IJSG_SG_EEES6_PlJS6_EEE10hipError_tPvRmT3_T4_T5_T6_T7_T9_mT8_P12ihipStream_tbDpT10_ENKUlT_T0_E_clISt17integral_constantIbLb0EES1A_IbLb1EEEEDaS16_S17_EUlS16_E_NS1_11comp_targetILNS1_3genE3ELNS1_11target_archE908ELNS1_3gpuE7ELNS1_3repE0EEENS1_30default_config_static_selectorELNS0_4arch9wavefront6targetE0EEEvT1_.has_dyn_sized_stack, 0
	.set _ZN7rocprim17ROCPRIM_400000_NS6detail17trampoline_kernelINS0_14default_configENS1_25partition_config_selectorILNS1_17partition_subalgoE5EjNS0_10empty_typeEbEEZZNS1_14partition_implILS5_5ELb0ES3_mN6thrust23THRUST_200600_302600_NS6detail15normal_iteratorINSA_10device_ptrIjEEEEPS6_NSA_18transform_iteratorINSB_9not_fun_tINSA_8identityIjEEEESF_NSA_11use_defaultESM_EENS0_5tupleIJSF_S6_EEENSO_IJSG_SG_EEES6_PlJS6_EEE10hipError_tPvRmT3_T4_T5_T6_T7_T9_mT8_P12ihipStream_tbDpT10_ENKUlT_T0_E_clISt17integral_constantIbLb0EES1A_IbLb1EEEEDaS16_S17_EUlS16_E_NS1_11comp_targetILNS1_3genE3ELNS1_11target_archE908ELNS1_3gpuE7ELNS1_3repE0EEENS1_30default_config_static_selectorELNS0_4arch9wavefront6targetE0EEEvT1_.has_recursion, 0
	.set _ZN7rocprim17ROCPRIM_400000_NS6detail17trampoline_kernelINS0_14default_configENS1_25partition_config_selectorILNS1_17partition_subalgoE5EjNS0_10empty_typeEbEEZZNS1_14partition_implILS5_5ELb0ES3_mN6thrust23THRUST_200600_302600_NS6detail15normal_iteratorINSA_10device_ptrIjEEEEPS6_NSA_18transform_iteratorINSB_9not_fun_tINSA_8identityIjEEEESF_NSA_11use_defaultESM_EENS0_5tupleIJSF_S6_EEENSO_IJSG_SG_EEES6_PlJS6_EEE10hipError_tPvRmT3_T4_T5_T6_T7_T9_mT8_P12ihipStream_tbDpT10_ENKUlT_T0_E_clISt17integral_constantIbLb0EES1A_IbLb1EEEEDaS16_S17_EUlS16_E_NS1_11comp_targetILNS1_3genE3ELNS1_11target_archE908ELNS1_3gpuE7ELNS1_3repE0EEENS1_30default_config_static_selectorELNS0_4arch9wavefront6targetE0EEEvT1_.has_indirect_call, 0
	.section	.AMDGPU.csdata,"",@progbits
; Kernel info:
; codeLenInByte = 0
; TotalNumSgprs: 0
; NumVgprs: 0
; ScratchSize: 0
; MemoryBound: 0
; FloatMode: 240
; IeeeMode: 1
; LDSByteSize: 0 bytes/workgroup (compile time only)
; SGPRBlocks: 0
; VGPRBlocks: 0
; NumSGPRsForWavesPerEU: 1
; NumVGPRsForWavesPerEU: 1
; Occupancy: 16
; WaveLimiterHint : 0
; COMPUTE_PGM_RSRC2:SCRATCH_EN: 0
; COMPUTE_PGM_RSRC2:USER_SGPR: 2
; COMPUTE_PGM_RSRC2:TRAP_HANDLER: 0
; COMPUTE_PGM_RSRC2:TGID_X_EN: 1
; COMPUTE_PGM_RSRC2:TGID_Y_EN: 0
; COMPUTE_PGM_RSRC2:TGID_Z_EN: 0
; COMPUTE_PGM_RSRC2:TIDIG_COMP_CNT: 0
	.section	.text._ZN7rocprim17ROCPRIM_400000_NS6detail17trampoline_kernelINS0_14default_configENS1_25partition_config_selectorILNS1_17partition_subalgoE5EjNS0_10empty_typeEbEEZZNS1_14partition_implILS5_5ELb0ES3_mN6thrust23THRUST_200600_302600_NS6detail15normal_iteratorINSA_10device_ptrIjEEEEPS6_NSA_18transform_iteratorINSB_9not_fun_tINSA_8identityIjEEEESF_NSA_11use_defaultESM_EENS0_5tupleIJSF_S6_EEENSO_IJSG_SG_EEES6_PlJS6_EEE10hipError_tPvRmT3_T4_T5_T6_T7_T9_mT8_P12ihipStream_tbDpT10_ENKUlT_T0_E_clISt17integral_constantIbLb0EES1A_IbLb1EEEEDaS16_S17_EUlS16_E_NS1_11comp_targetILNS1_3genE2ELNS1_11target_archE906ELNS1_3gpuE6ELNS1_3repE0EEENS1_30default_config_static_selectorELNS0_4arch9wavefront6targetE0EEEvT1_,"axG",@progbits,_ZN7rocprim17ROCPRIM_400000_NS6detail17trampoline_kernelINS0_14default_configENS1_25partition_config_selectorILNS1_17partition_subalgoE5EjNS0_10empty_typeEbEEZZNS1_14partition_implILS5_5ELb0ES3_mN6thrust23THRUST_200600_302600_NS6detail15normal_iteratorINSA_10device_ptrIjEEEEPS6_NSA_18transform_iteratorINSB_9not_fun_tINSA_8identityIjEEEESF_NSA_11use_defaultESM_EENS0_5tupleIJSF_S6_EEENSO_IJSG_SG_EEES6_PlJS6_EEE10hipError_tPvRmT3_T4_T5_T6_T7_T9_mT8_P12ihipStream_tbDpT10_ENKUlT_T0_E_clISt17integral_constantIbLb0EES1A_IbLb1EEEEDaS16_S17_EUlS16_E_NS1_11comp_targetILNS1_3genE2ELNS1_11target_archE906ELNS1_3gpuE6ELNS1_3repE0EEENS1_30default_config_static_selectorELNS0_4arch9wavefront6targetE0EEEvT1_,comdat
	.protected	_ZN7rocprim17ROCPRIM_400000_NS6detail17trampoline_kernelINS0_14default_configENS1_25partition_config_selectorILNS1_17partition_subalgoE5EjNS0_10empty_typeEbEEZZNS1_14partition_implILS5_5ELb0ES3_mN6thrust23THRUST_200600_302600_NS6detail15normal_iteratorINSA_10device_ptrIjEEEEPS6_NSA_18transform_iteratorINSB_9not_fun_tINSA_8identityIjEEEESF_NSA_11use_defaultESM_EENS0_5tupleIJSF_S6_EEENSO_IJSG_SG_EEES6_PlJS6_EEE10hipError_tPvRmT3_T4_T5_T6_T7_T9_mT8_P12ihipStream_tbDpT10_ENKUlT_T0_E_clISt17integral_constantIbLb0EES1A_IbLb1EEEEDaS16_S17_EUlS16_E_NS1_11comp_targetILNS1_3genE2ELNS1_11target_archE906ELNS1_3gpuE6ELNS1_3repE0EEENS1_30default_config_static_selectorELNS0_4arch9wavefront6targetE0EEEvT1_ ; -- Begin function _ZN7rocprim17ROCPRIM_400000_NS6detail17trampoline_kernelINS0_14default_configENS1_25partition_config_selectorILNS1_17partition_subalgoE5EjNS0_10empty_typeEbEEZZNS1_14partition_implILS5_5ELb0ES3_mN6thrust23THRUST_200600_302600_NS6detail15normal_iteratorINSA_10device_ptrIjEEEEPS6_NSA_18transform_iteratorINSB_9not_fun_tINSA_8identityIjEEEESF_NSA_11use_defaultESM_EENS0_5tupleIJSF_S6_EEENSO_IJSG_SG_EEES6_PlJS6_EEE10hipError_tPvRmT3_T4_T5_T6_T7_T9_mT8_P12ihipStream_tbDpT10_ENKUlT_T0_E_clISt17integral_constantIbLb0EES1A_IbLb1EEEEDaS16_S17_EUlS16_E_NS1_11comp_targetILNS1_3genE2ELNS1_11target_archE906ELNS1_3gpuE6ELNS1_3repE0EEENS1_30default_config_static_selectorELNS0_4arch9wavefront6targetE0EEEvT1_
	.globl	_ZN7rocprim17ROCPRIM_400000_NS6detail17trampoline_kernelINS0_14default_configENS1_25partition_config_selectorILNS1_17partition_subalgoE5EjNS0_10empty_typeEbEEZZNS1_14partition_implILS5_5ELb0ES3_mN6thrust23THRUST_200600_302600_NS6detail15normal_iteratorINSA_10device_ptrIjEEEEPS6_NSA_18transform_iteratorINSB_9not_fun_tINSA_8identityIjEEEESF_NSA_11use_defaultESM_EENS0_5tupleIJSF_S6_EEENSO_IJSG_SG_EEES6_PlJS6_EEE10hipError_tPvRmT3_T4_T5_T6_T7_T9_mT8_P12ihipStream_tbDpT10_ENKUlT_T0_E_clISt17integral_constantIbLb0EES1A_IbLb1EEEEDaS16_S17_EUlS16_E_NS1_11comp_targetILNS1_3genE2ELNS1_11target_archE906ELNS1_3gpuE6ELNS1_3repE0EEENS1_30default_config_static_selectorELNS0_4arch9wavefront6targetE0EEEvT1_
	.p2align	8
	.type	_ZN7rocprim17ROCPRIM_400000_NS6detail17trampoline_kernelINS0_14default_configENS1_25partition_config_selectorILNS1_17partition_subalgoE5EjNS0_10empty_typeEbEEZZNS1_14partition_implILS5_5ELb0ES3_mN6thrust23THRUST_200600_302600_NS6detail15normal_iteratorINSA_10device_ptrIjEEEEPS6_NSA_18transform_iteratorINSB_9not_fun_tINSA_8identityIjEEEESF_NSA_11use_defaultESM_EENS0_5tupleIJSF_S6_EEENSO_IJSG_SG_EEES6_PlJS6_EEE10hipError_tPvRmT3_T4_T5_T6_T7_T9_mT8_P12ihipStream_tbDpT10_ENKUlT_T0_E_clISt17integral_constantIbLb0EES1A_IbLb1EEEEDaS16_S17_EUlS16_E_NS1_11comp_targetILNS1_3genE2ELNS1_11target_archE906ELNS1_3gpuE6ELNS1_3repE0EEENS1_30default_config_static_selectorELNS0_4arch9wavefront6targetE0EEEvT1_,@function
_ZN7rocprim17ROCPRIM_400000_NS6detail17trampoline_kernelINS0_14default_configENS1_25partition_config_selectorILNS1_17partition_subalgoE5EjNS0_10empty_typeEbEEZZNS1_14partition_implILS5_5ELb0ES3_mN6thrust23THRUST_200600_302600_NS6detail15normal_iteratorINSA_10device_ptrIjEEEEPS6_NSA_18transform_iteratorINSB_9not_fun_tINSA_8identityIjEEEESF_NSA_11use_defaultESM_EENS0_5tupleIJSF_S6_EEENSO_IJSG_SG_EEES6_PlJS6_EEE10hipError_tPvRmT3_T4_T5_T6_T7_T9_mT8_P12ihipStream_tbDpT10_ENKUlT_T0_E_clISt17integral_constantIbLb0EES1A_IbLb1EEEEDaS16_S17_EUlS16_E_NS1_11comp_targetILNS1_3genE2ELNS1_11target_archE906ELNS1_3gpuE6ELNS1_3repE0EEENS1_30default_config_static_selectorELNS0_4arch9wavefront6targetE0EEEvT1_: ; @_ZN7rocprim17ROCPRIM_400000_NS6detail17trampoline_kernelINS0_14default_configENS1_25partition_config_selectorILNS1_17partition_subalgoE5EjNS0_10empty_typeEbEEZZNS1_14partition_implILS5_5ELb0ES3_mN6thrust23THRUST_200600_302600_NS6detail15normal_iteratorINSA_10device_ptrIjEEEEPS6_NSA_18transform_iteratorINSB_9not_fun_tINSA_8identityIjEEEESF_NSA_11use_defaultESM_EENS0_5tupleIJSF_S6_EEENSO_IJSG_SG_EEES6_PlJS6_EEE10hipError_tPvRmT3_T4_T5_T6_T7_T9_mT8_P12ihipStream_tbDpT10_ENKUlT_T0_E_clISt17integral_constantIbLb0EES1A_IbLb1EEEEDaS16_S17_EUlS16_E_NS1_11comp_targetILNS1_3genE2ELNS1_11target_archE906ELNS1_3gpuE6ELNS1_3repE0EEENS1_30default_config_static_selectorELNS0_4arch9wavefront6targetE0EEEvT1_
; %bb.0:
	.section	.rodata,"a",@progbits
	.p2align	6, 0x0
	.amdhsa_kernel _ZN7rocprim17ROCPRIM_400000_NS6detail17trampoline_kernelINS0_14default_configENS1_25partition_config_selectorILNS1_17partition_subalgoE5EjNS0_10empty_typeEbEEZZNS1_14partition_implILS5_5ELb0ES3_mN6thrust23THRUST_200600_302600_NS6detail15normal_iteratorINSA_10device_ptrIjEEEEPS6_NSA_18transform_iteratorINSB_9not_fun_tINSA_8identityIjEEEESF_NSA_11use_defaultESM_EENS0_5tupleIJSF_S6_EEENSO_IJSG_SG_EEES6_PlJS6_EEE10hipError_tPvRmT3_T4_T5_T6_T7_T9_mT8_P12ihipStream_tbDpT10_ENKUlT_T0_E_clISt17integral_constantIbLb0EES1A_IbLb1EEEEDaS16_S17_EUlS16_E_NS1_11comp_targetILNS1_3genE2ELNS1_11target_archE906ELNS1_3gpuE6ELNS1_3repE0EEENS1_30default_config_static_selectorELNS0_4arch9wavefront6targetE0EEEvT1_
		.amdhsa_group_segment_fixed_size 0
		.amdhsa_private_segment_fixed_size 0
		.amdhsa_kernarg_size 136
		.amdhsa_user_sgpr_count 2
		.amdhsa_user_sgpr_dispatch_ptr 0
		.amdhsa_user_sgpr_queue_ptr 0
		.amdhsa_user_sgpr_kernarg_segment_ptr 1
		.amdhsa_user_sgpr_dispatch_id 0
		.amdhsa_user_sgpr_private_segment_size 0
		.amdhsa_wavefront_size32 1
		.amdhsa_uses_dynamic_stack 0
		.amdhsa_enable_private_segment 0
		.amdhsa_system_sgpr_workgroup_id_x 1
		.amdhsa_system_sgpr_workgroup_id_y 0
		.amdhsa_system_sgpr_workgroup_id_z 0
		.amdhsa_system_sgpr_workgroup_info 0
		.amdhsa_system_vgpr_workitem_id 0
		.amdhsa_next_free_vgpr 1
		.amdhsa_next_free_sgpr 1
		.amdhsa_reserve_vcc 0
		.amdhsa_float_round_mode_32 0
		.amdhsa_float_round_mode_16_64 0
		.amdhsa_float_denorm_mode_32 3
		.amdhsa_float_denorm_mode_16_64 3
		.amdhsa_fp16_overflow 0
		.amdhsa_workgroup_processor_mode 1
		.amdhsa_memory_ordered 1
		.amdhsa_forward_progress 1
		.amdhsa_inst_pref_size 0
		.amdhsa_round_robin_scheduling 0
		.amdhsa_exception_fp_ieee_invalid_op 0
		.amdhsa_exception_fp_denorm_src 0
		.amdhsa_exception_fp_ieee_div_zero 0
		.amdhsa_exception_fp_ieee_overflow 0
		.amdhsa_exception_fp_ieee_underflow 0
		.amdhsa_exception_fp_ieee_inexact 0
		.amdhsa_exception_int_div_zero 0
	.end_amdhsa_kernel
	.section	.text._ZN7rocprim17ROCPRIM_400000_NS6detail17trampoline_kernelINS0_14default_configENS1_25partition_config_selectorILNS1_17partition_subalgoE5EjNS0_10empty_typeEbEEZZNS1_14partition_implILS5_5ELb0ES3_mN6thrust23THRUST_200600_302600_NS6detail15normal_iteratorINSA_10device_ptrIjEEEEPS6_NSA_18transform_iteratorINSB_9not_fun_tINSA_8identityIjEEEESF_NSA_11use_defaultESM_EENS0_5tupleIJSF_S6_EEENSO_IJSG_SG_EEES6_PlJS6_EEE10hipError_tPvRmT3_T4_T5_T6_T7_T9_mT8_P12ihipStream_tbDpT10_ENKUlT_T0_E_clISt17integral_constantIbLb0EES1A_IbLb1EEEEDaS16_S17_EUlS16_E_NS1_11comp_targetILNS1_3genE2ELNS1_11target_archE906ELNS1_3gpuE6ELNS1_3repE0EEENS1_30default_config_static_selectorELNS0_4arch9wavefront6targetE0EEEvT1_,"axG",@progbits,_ZN7rocprim17ROCPRIM_400000_NS6detail17trampoline_kernelINS0_14default_configENS1_25partition_config_selectorILNS1_17partition_subalgoE5EjNS0_10empty_typeEbEEZZNS1_14partition_implILS5_5ELb0ES3_mN6thrust23THRUST_200600_302600_NS6detail15normal_iteratorINSA_10device_ptrIjEEEEPS6_NSA_18transform_iteratorINSB_9not_fun_tINSA_8identityIjEEEESF_NSA_11use_defaultESM_EENS0_5tupleIJSF_S6_EEENSO_IJSG_SG_EEES6_PlJS6_EEE10hipError_tPvRmT3_T4_T5_T6_T7_T9_mT8_P12ihipStream_tbDpT10_ENKUlT_T0_E_clISt17integral_constantIbLb0EES1A_IbLb1EEEEDaS16_S17_EUlS16_E_NS1_11comp_targetILNS1_3genE2ELNS1_11target_archE906ELNS1_3gpuE6ELNS1_3repE0EEENS1_30default_config_static_selectorELNS0_4arch9wavefront6targetE0EEEvT1_,comdat
.Lfunc_end913:
	.size	_ZN7rocprim17ROCPRIM_400000_NS6detail17trampoline_kernelINS0_14default_configENS1_25partition_config_selectorILNS1_17partition_subalgoE5EjNS0_10empty_typeEbEEZZNS1_14partition_implILS5_5ELb0ES3_mN6thrust23THRUST_200600_302600_NS6detail15normal_iteratorINSA_10device_ptrIjEEEEPS6_NSA_18transform_iteratorINSB_9not_fun_tINSA_8identityIjEEEESF_NSA_11use_defaultESM_EENS0_5tupleIJSF_S6_EEENSO_IJSG_SG_EEES6_PlJS6_EEE10hipError_tPvRmT3_T4_T5_T6_T7_T9_mT8_P12ihipStream_tbDpT10_ENKUlT_T0_E_clISt17integral_constantIbLb0EES1A_IbLb1EEEEDaS16_S17_EUlS16_E_NS1_11comp_targetILNS1_3genE2ELNS1_11target_archE906ELNS1_3gpuE6ELNS1_3repE0EEENS1_30default_config_static_selectorELNS0_4arch9wavefront6targetE0EEEvT1_, .Lfunc_end913-_ZN7rocprim17ROCPRIM_400000_NS6detail17trampoline_kernelINS0_14default_configENS1_25partition_config_selectorILNS1_17partition_subalgoE5EjNS0_10empty_typeEbEEZZNS1_14partition_implILS5_5ELb0ES3_mN6thrust23THRUST_200600_302600_NS6detail15normal_iteratorINSA_10device_ptrIjEEEEPS6_NSA_18transform_iteratorINSB_9not_fun_tINSA_8identityIjEEEESF_NSA_11use_defaultESM_EENS0_5tupleIJSF_S6_EEENSO_IJSG_SG_EEES6_PlJS6_EEE10hipError_tPvRmT3_T4_T5_T6_T7_T9_mT8_P12ihipStream_tbDpT10_ENKUlT_T0_E_clISt17integral_constantIbLb0EES1A_IbLb1EEEEDaS16_S17_EUlS16_E_NS1_11comp_targetILNS1_3genE2ELNS1_11target_archE906ELNS1_3gpuE6ELNS1_3repE0EEENS1_30default_config_static_selectorELNS0_4arch9wavefront6targetE0EEEvT1_
                                        ; -- End function
	.set _ZN7rocprim17ROCPRIM_400000_NS6detail17trampoline_kernelINS0_14default_configENS1_25partition_config_selectorILNS1_17partition_subalgoE5EjNS0_10empty_typeEbEEZZNS1_14partition_implILS5_5ELb0ES3_mN6thrust23THRUST_200600_302600_NS6detail15normal_iteratorINSA_10device_ptrIjEEEEPS6_NSA_18transform_iteratorINSB_9not_fun_tINSA_8identityIjEEEESF_NSA_11use_defaultESM_EENS0_5tupleIJSF_S6_EEENSO_IJSG_SG_EEES6_PlJS6_EEE10hipError_tPvRmT3_T4_T5_T6_T7_T9_mT8_P12ihipStream_tbDpT10_ENKUlT_T0_E_clISt17integral_constantIbLb0EES1A_IbLb1EEEEDaS16_S17_EUlS16_E_NS1_11comp_targetILNS1_3genE2ELNS1_11target_archE906ELNS1_3gpuE6ELNS1_3repE0EEENS1_30default_config_static_selectorELNS0_4arch9wavefront6targetE0EEEvT1_.num_vgpr, 0
	.set _ZN7rocprim17ROCPRIM_400000_NS6detail17trampoline_kernelINS0_14default_configENS1_25partition_config_selectorILNS1_17partition_subalgoE5EjNS0_10empty_typeEbEEZZNS1_14partition_implILS5_5ELb0ES3_mN6thrust23THRUST_200600_302600_NS6detail15normal_iteratorINSA_10device_ptrIjEEEEPS6_NSA_18transform_iteratorINSB_9not_fun_tINSA_8identityIjEEEESF_NSA_11use_defaultESM_EENS0_5tupleIJSF_S6_EEENSO_IJSG_SG_EEES6_PlJS6_EEE10hipError_tPvRmT3_T4_T5_T6_T7_T9_mT8_P12ihipStream_tbDpT10_ENKUlT_T0_E_clISt17integral_constantIbLb0EES1A_IbLb1EEEEDaS16_S17_EUlS16_E_NS1_11comp_targetILNS1_3genE2ELNS1_11target_archE906ELNS1_3gpuE6ELNS1_3repE0EEENS1_30default_config_static_selectorELNS0_4arch9wavefront6targetE0EEEvT1_.num_agpr, 0
	.set _ZN7rocprim17ROCPRIM_400000_NS6detail17trampoline_kernelINS0_14default_configENS1_25partition_config_selectorILNS1_17partition_subalgoE5EjNS0_10empty_typeEbEEZZNS1_14partition_implILS5_5ELb0ES3_mN6thrust23THRUST_200600_302600_NS6detail15normal_iteratorINSA_10device_ptrIjEEEEPS6_NSA_18transform_iteratorINSB_9not_fun_tINSA_8identityIjEEEESF_NSA_11use_defaultESM_EENS0_5tupleIJSF_S6_EEENSO_IJSG_SG_EEES6_PlJS6_EEE10hipError_tPvRmT3_T4_T5_T6_T7_T9_mT8_P12ihipStream_tbDpT10_ENKUlT_T0_E_clISt17integral_constantIbLb0EES1A_IbLb1EEEEDaS16_S17_EUlS16_E_NS1_11comp_targetILNS1_3genE2ELNS1_11target_archE906ELNS1_3gpuE6ELNS1_3repE0EEENS1_30default_config_static_selectorELNS0_4arch9wavefront6targetE0EEEvT1_.numbered_sgpr, 0
	.set _ZN7rocprim17ROCPRIM_400000_NS6detail17trampoline_kernelINS0_14default_configENS1_25partition_config_selectorILNS1_17partition_subalgoE5EjNS0_10empty_typeEbEEZZNS1_14partition_implILS5_5ELb0ES3_mN6thrust23THRUST_200600_302600_NS6detail15normal_iteratorINSA_10device_ptrIjEEEEPS6_NSA_18transform_iteratorINSB_9not_fun_tINSA_8identityIjEEEESF_NSA_11use_defaultESM_EENS0_5tupleIJSF_S6_EEENSO_IJSG_SG_EEES6_PlJS6_EEE10hipError_tPvRmT3_T4_T5_T6_T7_T9_mT8_P12ihipStream_tbDpT10_ENKUlT_T0_E_clISt17integral_constantIbLb0EES1A_IbLb1EEEEDaS16_S17_EUlS16_E_NS1_11comp_targetILNS1_3genE2ELNS1_11target_archE906ELNS1_3gpuE6ELNS1_3repE0EEENS1_30default_config_static_selectorELNS0_4arch9wavefront6targetE0EEEvT1_.num_named_barrier, 0
	.set _ZN7rocprim17ROCPRIM_400000_NS6detail17trampoline_kernelINS0_14default_configENS1_25partition_config_selectorILNS1_17partition_subalgoE5EjNS0_10empty_typeEbEEZZNS1_14partition_implILS5_5ELb0ES3_mN6thrust23THRUST_200600_302600_NS6detail15normal_iteratorINSA_10device_ptrIjEEEEPS6_NSA_18transform_iteratorINSB_9not_fun_tINSA_8identityIjEEEESF_NSA_11use_defaultESM_EENS0_5tupleIJSF_S6_EEENSO_IJSG_SG_EEES6_PlJS6_EEE10hipError_tPvRmT3_T4_T5_T6_T7_T9_mT8_P12ihipStream_tbDpT10_ENKUlT_T0_E_clISt17integral_constantIbLb0EES1A_IbLb1EEEEDaS16_S17_EUlS16_E_NS1_11comp_targetILNS1_3genE2ELNS1_11target_archE906ELNS1_3gpuE6ELNS1_3repE0EEENS1_30default_config_static_selectorELNS0_4arch9wavefront6targetE0EEEvT1_.private_seg_size, 0
	.set _ZN7rocprim17ROCPRIM_400000_NS6detail17trampoline_kernelINS0_14default_configENS1_25partition_config_selectorILNS1_17partition_subalgoE5EjNS0_10empty_typeEbEEZZNS1_14partition_implILS5_5ELb0ES3_mN6thrust23THRUST_200600_302600_NS6detail15normal_iteratorINSA_10device_ptrIjEEEEPS6_NSA_18transform_iteratorINSB_9not_fun_tINSA_8identityIjEEEESF_NSA_11use_defaultESM_EENS0_5tupleIJSF_S6_EEENSO_IJSG_SG_EEES6_PlJS6_EEE10hipError_tPvRmT3_T4_T5_T6_T7_T9_mT8_P12ihipStream_tbDpT10_ENKUlT_T0_E_clISt17integral_constantIbLb0EES1A_IbLb1EEEEDaS16_S17_EUlS16_E_NS1_11comp_targetILNS1_3genE2ELNS1_11target_archE906ELNS1_3gpuE6ELNS1_3repE0EEENS1_30default_config_static_selectorELNS0_4arch9wavefront6targetE0EEEvT1_.uses_vcc, 0
	.set _ZN7rocprim17ROCPRIM_400000_NS6detail17trampoline_kernelINS0_14default_configENS1_25partition_config_selectorILNS1_17partition_subalgoE5EjNS0_10empty_typeEbEEZZNS1_14partition_implILS5_5ELb0ES3_mN6thrust23THRUST_200600_302600_NS6detail15normal_iteratorINSA_10device_ptrIjEEEEPS6_NSA_18transform_iteratorINSB_9not_fun_tINSA_8identityIjEEEESF_NSA_11use_defaultESM_EENS0_5tupleIJSF_S6_EEENSO_IJSG_SG_EEES6_PlJS6_EEE10hipError_tPvRmT3_T4_T5_T6_T7_T9_mT8_P12ihipStream_tbDpT10_ENKUlT_T0_E_clISt17integral_constantIbLb0EES1A_IbLb1EEEEDaS16_S17_EUlS16_E_NS1_11comp_targetILNS1_3genE2ELNS1_11target_archE906ELNS1_3gpuE6ELNS1_3repE0EEENS1_30default_config_static_selectorELNS0_4arch9wavefront6targetE0EEEvT1_.uses_flat_scratch, 0
	.set _ZN7rocprim17ROCPRIM_400000_NS6detail17trampoline_kernelINS0_14default_configENS1_25partition_config_selectorILNS1_17partition_subalgoE5EjNS0_10empty_typeEbEEZZNS1_14partition_implILS5_5ELb0ES3_mN6thrust23THRUST_200600_302600_NS6detail15normal_iteratorINSA_10device_ptrIjEEEEPS6_NSA_18transform_iteratorINSB_9not_fun_tINSA_8identityIjEEEESF_NSA_11use_defaultESM_EENS0_5tupleIJSF_S6_EEENSO_IJSG_SG_EEES6_PlJS6_EEE10hipError_tPvRmT3_T4_T5_T6_T7_T9_mT8_P12ihipStream_tbDpT10_ENKUlT_T0_E_clISt17integral_constantIbLb0EES1A_IbLb1EEEEDaS16_S17_EUlS16_E_NS1_11comp_targetILNS1_3genE2ELNS1_11target_archE906ELNS1_3gpuE6ELNS1_3repE0EEENS1_30default_config_static_selectorELNS0_4arch9wavefront6targetE0EEEvT1_.has_dyn_sized_stack, 0
	.set _ZN7rocprim17ROCPRIM_400000_NS6detail17trampoline_kernelINS0_14default_configENS1_25partition_config_selectorILNS1_17partition_subalgoE5EjNS0_10empty_typeEbEEZZNS1_14partition_implILS5_5ELb0ES3_mN6thrust23THRUST_200600_302600_NS6detail15normal_iteratorINSA_10device_ptrIjEEEEPS6_NSA_18transform_iteratorINSB_9not_fun_tINSA_8identityIjEEEESF_NSA_11use_defaultESM_EENS0_5tupleIJSF_S6_EEENSO_IJSG_SG_EEES6_PlJS6_EEE10hipError_tPvRmT3_T4_T5_T6_T7_T9_mT8_P12ihipStream_tbDpT10_ENKUlT_T0_E_clISt17integral_constantIbLb0EES1A_IbLb1EEEEDaS16_S17_EUlS16_E_NS1_11comp_targetILNS1_3genE2ELNS1_11target_archE906ELNS1_3gpuE6ELNS1_3repE0EEENS1_30default_config_static_selectorELNS0_4arch9wavefront6targetE0EEEvT1_.has_recursion, 0
	.set _ZN7rocprim17ROCPRIM_400000_NS6detail17trampoline_kernelINS0_14default_configENS1_25partition_config_selectorILNS1_17partition_subalgoE5EjNS0_10empty_typeEbEEZZNS1_14partition_implILS5_5ELb0ES3_mN6thrust23THRUST_200600_302600_NS6detail15normal_iteratorINSA_10device_ptrIjEEEEPS6_NSA_18transform_iteratorINSB_9not_fun_tINSA_8identityIjEEEESF_NSA_11use_defaultESM_EENS0_5tupleIJSF_S6_EEENSO_IJSG_SG_EEES6_PlJS6_EEE10hipError_tPvRmT3_T4_T5_T6_T7_T9_mT8_P12ihipStream_tbDpT10_ENKUlT_T0_E_clISt17integral_constantIbLb0EES1A_IbLb1EEEEDaS16_S17_EUlS16_E_NS1_11comp_targetILNS1_3genE2ELNS1_11target_archE906ELNS1_3gpuE6ELNS1_3repE0EEENS1_30default_config_static_selectorELNS0_4arch9wavefront6targetE0EEEvT1_.has_indirect_call, 0
	.section	.AMDGPU.csdata,"",@progbits
; Kernel info:
; codeLenInByte = 0
; TotalNumSgprs: 0
; NumVgprs: 0
; ScratchSize: 0
; MemoryBound: 0
; FloatMode: 240
; IeeeMode: 1
; LDSByteSize: 0 bytes/workgroup (compile time only)
; SGPRBlocks: 0
; VGPRBlocks: 0
; NumSGPRsForWavesPerEU: 1
; NumVGPRsForWavesPerEU: 1
; Occupancy: 16
; WaveLimiterHint : 0
; COMPUTE_PGM_RSRC2:SCRATCH_EN: 0
; COMPUTE_PGM_RSRC2:USER_SGPR: 2
; COMPUTE_PGM_RSRC2:TRAP_HANDLER: 0
; COMPUTE_PGM_RSRC2:TGID_X_EN: 1
; COMPUTE_PGM_RSRC2:TGID_Y_EN: 0
; COMPUTE_PGM_RSRC2:TGID_Z_EN: 0
; COMPUTE_PGM_RSRC2:TIDIG_COMP_CNT: 0
	.section	.text._ZN7rocprim17ROCPRIM_400000_NS6detail17trampoline_kernelINS0_14default_configENS1_25partition_config_selectorILNS1_17partition_subalgoE5EjNS0_10empty_typeEbEEZZNS1_14partition_implILS5_5ELb0ES3_mN6thrust23THRUST_200600_302600_NS6detail15normal_iteratorINSA_10device_ptrIjEEEEPS6_NSA_18transform_iteratorINSB_9not_fun_tINSA_8identityIjEEEESF_NSA_11use_defaultESM_EENS0_5tupleIJSF_S6_EEENSO_IJSG_SG_EEES6_PlJS6_EEE10hipError_tPvRmT3_T4_T5_T6_T7_T9_mT8_P12ihipStream_tbDpT10_ENKUlT_T0_E_clISt17integral_constantIbLb0EES1A_IbLb1EEEEDaS16_S17_EUlS16_E_NS1_11comp_targetILNS1_3genE10ELNS1_11target_archE1200ELNS1_3gpuE4ELNS1_3repE0EEENS1_30default_config_static_selectorELNS0_4arch9wavefront6targetE0EEEvT1_,"axG",@progbits,_ZN7rocprim17ROCPRIM_400000_NS6detail17trampoline_kernelINS0_14default_configENS1_25partition_config_selectorILNS1_17partition_subalgoE5EjNS0_10empty_typeEbEEZZNS1_14partition_implILS5_5ELb0ES3_mN6thrust23THRUST_200600_302600_NS6detail15normal_iteratorINSA_10device_ptrIjEEEEPS6_NSA_18transform_iteratorINSB_9not_fun_tINSA_8identityIjEEEESF_NSA_11use_defaultESM_EENS0_5tupleIJSF_S6_EEENSO_IJSG_SG_EEES6_PlJS6_EEE10hipError_tPvRmT3_T4_T5_T6_T7_T9_mT8_P12ihipStream_tbDpT10_ENKUlT_T0_E_clISt17integral_constantIbLb0EES1A_IbLb1EEEEDaS16_S17_EUlS16_E_NS1_11comp_targetILNS1_3genE10ELNS1_11target_archE1200ELNS1_3gpuE4ELNS1_3repE0EEENS1_30default_config_static_selectorELNS0_4arch9wavefront6targetE0EEEvT1_,comdat
	.protected	_ZN7rocprim17ROCPRIM_400000_NS6detail17trampoline_kernelINS0_14default_configENS1_25partition_config_selectorILNS1_17partition_subalgoE5EjNS0_10empty_typeEbEEZZNS1_14partition_implILS5_5ELb0ES3_mN6thrust23THRUST_200600_302600_NS6detail15normal_iteratorINSA_10device_ptrIjEEEEPS6_NSA_18transform_iteratorINSB_9not_fun_tINSA_8identityIjEEEESF_NSA_11use_defaultESM_EENS0_5tupleIJSF_S6_EEENSO_IJSG_SG_EEES6_PlJS6_EEE10hipError_tPvRmT3_T4_T5_T6_T7_T9_mT8_P12ihipStream_tbDpT10_ENKUlT_T0_E_clISt17integral_constantIbLb0EES1A_IbLb1EEEEDaS16_S17_EUlS16_E_NS1_11comp_targetILNS1_3genE10ELNS1_11target_archE1200ELNS1_3gpuE4ELNS1_3repE0EEENS1_30default_config_static_selectorELNS0_4arch9wavefront6targetE0EEEvT1_ ; -- Begin function _ZN7rocprim17ROCPRIM_400000_NS6detail17trampoline_kernelINS0_14default_configENS1_25partition_config_selectorILNS1_17partition_subalgoE5EjNS0_10empty_typeEbEEZZNS1_14partition_implILS5_5ELb0ES3_mN6thrust23THRUST_200600_302600_NS6detail15normal_iteratorINSA_10device_ptrIjEEEEPS6_NSA_18transform_iteratorINSB_9not_fun_tINSA_8identityIjEEEESF_NSA_11use_defaultESM_EENS0_5tupleIJSF_S6_EEENSO_IJSG_SG_EEES6_PlJS6_EEE10hipError_tPvRmT3_T4_T5_T6_T7_T9_mT8_P12ihipStream_tbDpT10_ENKUlT_T0_E_clISt17integral_constantIbLb0EES1A_IbLb1EEEEDaS16_S17_EUlS16_E_NS1_11comp_targetILNS1_3genE10ELNS1_11target_archE1200ELNS1_3gpuE4ELNS1_3repE0EEENS1_30default_config_static_selectorELNS0_4arch9wavefront6targetE0EEEvT1_
	.globl	_ZN7rocprim17ROCPRIM_400000_NS6detail17trampoline_kernelINS0_14default_configENS1_25partition_config_selectorILNS1_17partition_subalgoE5EjNS0_10empty_typeEbEEZZNS1_14partition_implILS5_5ELb0ES3_mN6thrust23THRUST_200600_302600_NS6detail15normal_iteratorINSA_10device_ptrIjEEEEPS6_NSA_18transform_iteratorINSB_9not_fun_tINSA_8identityIjEEEESF_NSA_11use_defaultESM_EENS0_5tupleIJSF_S6_EEENSO_IJSG_SG_EEES6_PlJS6_EEE10hipError_tPvRmT3_T4_T5_T6_T7_T9_mT8_P12ihipStream_tbDpT10_ENKUlT_T0_E_clISt17integral_constantIbLb0EES1A_IbLb1EEEEDaS16_S17_EUlS16_E_NS1_11comp_targetILNS1_3genE10ELNS1_11target_archE1200ELNS1_3gpuE4ELNS1_3repE0EEENS1_30default_config_static_selectorELNS0_4arch9wavefront6targetE0EEEvT1_
	.p2align	8
	.type	_ZN7rocprim17ROCPRIM_400000_NS6detail17trampoline_kernelINS0_14default_configENS1_25partition_config_selectorILNS1_17partition_subalgoE5EjNS0_10empty_typeEbEEZZNS1_14partition_implILS5_5ELb0ES3_mN6thrust23THRUST_200600_302600_NS6detail15normal_iteratorINSA_10device_ptrIjEEEEPS6_NSA_18transform_iteratorINSB_9not_fun_tINSA_8identityIjEEEESF_NSA_11use_defaultESM_EENS0_5tupleIJSF_S6_EEENSO_IJSG_SG_EEES6_PlJS6_EEE10hipError_tPvRmT3_T4_T5_T6_T7_T9_mT8_P12ihipStream_tbDpT10_ENKUlT_T0_E_clISt17integral_constantIbLb0EES1A_IbLb1EEEEDaS16_S17_EUlS16_E_NS1_11comp_targetILNS1_3genE10ELNS1_11target_archE1200ELNS1_3gpuE4ELNS1_3repE0EEENS1_30default_config_static_selectorELNS0_4arch9wavefront6targetE0EEEvT1_,@function
_ZN7rocprim17ROCPRIM_400000_NS6detail17trampoline_kernelINS0_14default_configENS1_25partition_config_selectorILNS1_17partition_subalgoE5EjNS0_10empty_typeEbEEZZNS1_14partition_implILS5_5ELb0ES3_mN6thrust23THRUST_200600_302600_NS6detail15normal_iteratorINSA_10device_ptrIjEEEEPS6_NSA_18transform_iteratorINSB_9not_fun_tINSA_8identityIjEEEESF_NSA_11use_defaultESM_EENS0_5tupleIJSF_S6_EEENSO_IJSG_SG_EEES6_PlJS6_EEE10hipError_tPvRmT3_T4_T5_T6_T7_T9_mT8_P12ihipStream_tbDpT10_ENKUlT_T0_E_clISt17integral_constantIbLb0EES1A_IbLb1EEEEDaS16_S17_EUlS16_E_NS1_11comp_targetILNS1_3genE10ELNS1_11target_archE1200ELNS1_3gpuE4ELNS1_3repE0EEENS1_30default_config_static_selectorELNS0_4arch9wavefront6targetE0EEEvT1_: ; @_ZN7rocprim17ROCPRIM_400000_NS6detail17trampoline_kernelINS0_14default_configENS1_25partition_config_selectorILNS1_17partition_subalgoE5EjNS0_10empty_typeEbEEZZNS1_14partition_implILS5_5ELb0ES3_mN6thrust23THRUST_200600_302600_NS6detail15normal_iteratorINSA_10device_ptrIjEEEEPS6_NSA_18transform_iteratorINSB_9not_fun_tINSA_8identityIjEEEESF_NSA_11use_defaultESM_EENS0_5tupleIJSF_S6_EEENSO_IJSG_SG_EEES6_PlJS6_EEE10hipError_tPvRmT3_T4_T5_T6_T7_T9_mT8_P12ihipStream_tbDpT10_ENKUlT_T0_E_clISt17integral_constantIbLb0EES1A_IbLb1EEEEDaS16_S17_EUlS16_E_NS1_11comp_targetILNS1_3genE10ELNS1_11target_archE1200ELNS1_3gpuE4ELNS1_3repE0EEENS1_30default_config_static_selectorELNS0_4arch9wavefront6targetE0EEEvT1_
; %bb.0:
	s_clause 0x3
	s_load_b64 s[12:13], s[0:1], 0x30
	s_load_b128 s[4:7], s[0:1], 0x48
	s_load_b64 s[18:19], s[0:1], 0x58
	s_load_b64 s[14:15], s[0:1], 0x68
	v_cmp_eq_u32_e64 s2, 0, v0
	s_and_saveexec_b32 s3, s2
	s_cbranch_execz .LBB914_4
; %bb.1:
	s_mov_b32 s9, exec_lo
	s_mov_b32 s8, exec_lo
	v_mbcnt_lo_u32_b32 v1, s9, 0
                                        ; implicit-def: $vgpr2
	s_delay_alu instid0(VALU_DEP_1)
	v_cmpx_eq_u32_e32 0, v1
	s_cbranch_execz .LBB914_3
; %bb.2:
	s_load_b64 s[10:11], s[0:1], 0x78
	s_bcnt1_i32_b32 s9, s9
	s_wait_alu 0xfffe
	v_dual_mov_b32 v2, 0 :: v_dual_mov_b32 v3, s9
	s_wait_kmcnt 0x0
	global_atomic_add_u32 v2, v2, v3, s[10:11] th:TH_ATOMIC_RETURN scope:SCOPE_DEV
.LBB914_3:
	s_or_b32 exec_lo, exec_lo, s8
	s_wait_loadcnt 0x0
	v_readfirstlane_b32 s8, v2
	s_wait_alu 0xf1ff
	s_delay_alu instid0(VALU_DEP_1)
	v_dual_mov_b32 v2, 0 :: v_dual_add_nc_u32 v1, s8, v1
	ds_store_b32 v2, v1
.LBB914_4:
	s_or_b32 exec_lo, exec_lo, s3
	v_dual_mov_b32 v1, 0 :: v_dual_add_nc_u32 v24, 0x180, v0
	s_clause 0x2
	s_load_b128 s[8:11], s[0:1], 0x8
	s_load_b64 s[16:17], s[0:1], 0x20
	s_load_b32 s0, s[0:1], 0x70
	s_wait_dscnt 0x0
	s_barrier_signal -1
	s_barrier_wait -1
	global_inv scope:SCOPE_SE
	ds_load_b32 v2, v1
	s_wait_loadcnt_dscnt 0x0
	s_barrier_signal -1
	s_barrier_wait -1
	global_inv scope:SCOPE_SE
	s_wait_kmcnt 0x0
	global_load_b64 v[9:10], v1, s[6:7]
	v_lshlrev_b32_e32 v25, 2, v0
	v_lshrrev_b32_e32 v11, 3, v0
	v_add_nc_u32_e32 v23, 0x240, v0
	v_or_b32_e32 v22, 0x300, v0
	v_add_nc_u32_e32 v21, 0x3c0, v0
	v_add_nc_u32_e32 v20, 0x480, v0
	;; [unrolled: 1-line block ×3, first 2 shown]
	s_lshl_b64 s[6:7], s[10:11], 2
	s_delay_alu instid0(SALU_CYCLE_1)
	s_add_nc_u64 s[22:23], s[8:9], s[6:7]
	s_mul_i32 s8, s0, 0x600
	s_mov_b32 s9, 0
	s_wait_alu 0xfffe
	s_add_co_i32 s3, s8, s10
	s_add_co_i32 s21, s0, -1
	v_readfirstlane_b32 s20, v2
	s_add_nc_u64 s[0:1], s[10:11], s[8:9]
	s_sub_co_i32 s3, s18, s3
	v_cmp_le_u64_e64 s0, s[18:19], s[0:1]
	s_addk_co_i32 s3, 0x600
	s_cmp_eq_u32 s20, s21
	s_mul_i32 s8, s20, 0x600
	s_cselect_b32 s18, -1, 0
	s_wait_alu 0xfffe
	s_lshl_b64 s[8:9], s[8:9], 2
	s_and_b32 s0, s0, s18
	s_mov_b32 s1, -1
	s_wait_alu 0xfffe
	s_xor_b32 s19, s0, -1
	s_add_nc_u64 s[10:11], s[22:23], s[8:9]
	s_wait_alu 0xfffe
	s_and_b32 vcc_lo, exec_lo, s19
	s_cbranch_vccz .LBB914_6
; %bb.5:
	v_add_co_u32 v1, s0, s10, v25
	s_wait_alu 0xf1ff
	v_add_co_ci_u32_e64 v2, null, s11, 0, s0
	v_add_nc_u32_e32 v13, 0xc0, v0
	v_lshrrev_b32_e32 v14, 3, v24
	v_lshrrev_b32_e32 v15, 3, v23
	s_clause 0x7
	flat_load_b32 v3, v[1:2]
	flat_load_b32 v4, v[1:2] offset:768
	flat_load_b32 v5, v[1:2] offset:1536
	;; [unrolled: 1-line block ×7, first 2 shown]
	v_lshrrev_b32_e32 v16, 3, v22
	v_lshrrev_b32_e32 v13, 3, v13
	v_and_b32_e32 v2, 28, v11
	v_lshrrev_b32_e32 v17, 3, v21
	v_lshrrev_b32_e32 v18, 3, v20
	;; [unrolled: 1-line block ×3, first 2 shown]
	v_and_b32_e32 v13, 60, v13
	v_and_b32_e32 v14, 0x7c, v14
	;; [unrolled: 1-line block ×4, first 2 shown]
	v_add_nc_u32_e32 v2, v2, v25
	v_and_b32_e32 v17, 0xfc, v17
	v_and_b32_e32 v18, 0xbc, v18
	;; [unrolled: 1-line block ×3, first 2 shown]
	v_add_nc_u32_e32 v13, v13, v25
	v_add_nc_u32_e32 v14, v14, v25
	;; [unrolled: 1-line block ×4, first 2 shown]
	s_mov_b32 s1, 0
	v_add_nc_u32_e32 v17, v17, v25
	v_add_nc_u32_e32 v18, v18, v25
	;; [unrolled: 1-line block ×3, first 2 shown]
	s_wait_loadcnt_dscnt 0x707
	ds_store_b32 v2, v3
	s_wait_loadcnt_dscnt 0x607
	ds_store_b32 v13, v4 offset:768
	s_wait_loadcnt_dscnt 0x507
	ds_store_b32 v14, v5 offset:1536
	;; [unrolled: 2-line block ×7, first 2 shown]
	s_wait_dscnt 0x0
	s_barrier_signal -1
	s_barrier_wait -1
.LBB914_6:
	v_cmp_gt_u32_e64 s0, s3, v0
	s_wait_alu 0xfffe
	s_and_not1_b32 vcc_lo, exec_lo, s1
	s_cbranch_vccnz .LBB914_18
; %bb.7:
	v_mov_b32_e32 v1, 0
	s_delay_alu instid0(VALU_DEP_1)
	v_dual_mov_b32 v2, v1 :: v_dual_mov_b32 v3, v1
	v_dual_mov_b32 v4, v1 :: v_dual_mov_b32 v5, v1
	;; [unrolled: 1-line block ×3, first 2 shown]
	v_mov_b32_e32 v8, v1
	s_and_saveexec_b32 s1, s0
	s_cbranch_execz .LBB914_9
; %bb.8:
	v_add_co_u32 v2, s0, s10, v25
	s_wait_alu 0xf1ff
	v_add_co_ci_u32_e64 v3, null, s11, 0, s0
	v_dual_mov_b32 v27, v1 :: v_dual_mov_b32 v28, v1
	v_dual_mov_b32 v29, v1 :: v_dual_mov_b32 v30, v1
	flat_load_b32 v26, v[2:3]
	v_dual_mov_b32 v31, v1 :: v_dual_mov_b32 v32, v1
	v_mov_b32_e32 v33, v1
	s_wait_loadcnt_dscnt 0x0
	v_dual_mov_b32 v1, v26 :: v_dual_mov_b32 v2, v27
	v_dual_mov_b32 v3, v28 :: v_dual_mov_b32 v4, v29
	;; [unrolled: 1-line block ×4, first 2 shown]
.LBB914_9:
	s_wait_alu 0xfffe
	s_or_b32 exec_lo, exec_lo, s1
	v_add_nc_u32_e32 v12, 0xc0, v0
	s_mov_b32 s0, exec_lo
	s_delay_alu instid0(VALU_DEP_1)
	v_cmpx_gt_u32_e64 s3, v12
	s_cbranch_execnz .LBB914_162
; %bb.10:
	s_wait_alu 0xfffe
	s_or_b32 exec_lo, exec_lo, s0
	s_delay_alu instid0(SALU_CYCLE_1)
	s_mov_b32 s0, exec_lo
	v_cmpx_gt_u32_e64 s3, v24
	s_cbranch_execnz .LBB914_163
.LBB914_11:
	s_wait_alu 0xfffe
	s_or_b32 exec_lo, exec_lo, s0
	s_delay_alu instid0(SALU_CYCLE_1)
	s_mov_b32 s0, exec_lo
	v_cmpx_gt_u32_e64 s3, v23
	s_cbranch_execnz .LBB914_164
.LBB914_12:
	s_wait_alu 0xfffe
	s_or_b32 exec_lo, exec_lo, s0
	s_delay_alu instid0(SALU_CYCLE_1)
	s_mov_b32 s0, exec_lo
	v_cmpx_gt_u32_e64 s3, v22
	s_cbranch_execnz .LBB914_165
.LBB914_13:
	s_wait_alu 0xfffe
	s_or_b32 exec_lo, exec_lo, s0
	s_delay_alu instid0(SALU_CYCLE_1)
	s_mov_b32 s0, exec_lo
	v_cmpx_gt_u32_e64 s3, v21
	s_cbranch_execnz .LBB914_166
.LBB914_14:
	s_wait_alu 0xfffe
	s_or_b32 exec_lo, exec_lo, s0
	s_delay_alu instid0(SALU_CYCLE_1)
	s_mov_b32 s0, exec_lo
	v_cmpx_gt_u32_e64 s3, v20
	s_cbranch_execnz .LBB914_167
.LBB914_15:
	s_wait_alu 0xfffe
	s_or_b32 exec_lo, exec_lo, s0
	s_delay_alu instid0(SALU_CYCLE_1)
	s_mov_b32 s0, exec_lo
	v_cmpx_gt_u32_e64 s3, v19
	s_cbranch_execz .LBB914_17
.LBB914_16:
	v_add_co_u32 v13, s1, s10, v25
	s_wait_alu 0xf1ff
	v_add_co_ci_u32_e64 v14, null, s11, 0, s1
	flat_load_b32 v8, v[13:14] offset:5376
.LBB914_17:
	s_wait_alu 0xfffe
	s_or_b32 exec_lo, exec_lo, s0
	v_lshrrev_b32_e32 v12, 3, v12
	v_lshrrev_b32_e32 v13, 3, v24
	;; [unrolled: 1-line block ×4, first 2 shown]
	v_and_b32_e32 v11, 28, v11
	v_lshrrev_b32_e32 v16, 3, v21
	v_lshrrev_b32_e32 v17, 3, v20
	;; [unrolled: 1-line block ×3, first 2 shown]
	v_and_b32_e32 v12, 60, v12
	v_and_b32_e32 v13, 0x7c, v13
	;; [unrolled: 1-line block ×4, first 2 shown]
	v_add_nc_u32_e32 v11, v11, v25
	v_and_b32_e32 v16, 0xfc, v16
	v_and_b32_e32 v17, 0xfc, v17
	;; [unrolled: 1-line block ×3, first 2 shown]
	v_add_nc_u32_e32 v12, v12, v25
	v_add_nc_u32_e32 v13, v13, v25
	;; [unrolled: 1-line block ×7, first 2 shown]
	ds_store_b32 v11, v1
	s_wait_loadcnt_dscnt 0x1
	ds_store_b32 v12, v2 offset:768
	ds_store_b32 v13, v3 offset:1536
	;; [unrolled: 1-line block ×7, first 2 shown]
	s_wait_dscnt 0x0
	s_barrier_signal -1
	s_barrier_wait -1
.LBB914_18:
	v_and_b32_e32 v1, 0xfc, v0
	s_wait_loadcnt 0x0
	global_inv scope:SCOPE_SE
	v_lshrrev_b32_e32 v37, 5, v0
	s_add_nc_u64 s[0:1], s[16:17], s[6:7]
	s_and_b32 vcc_lo, exec_lo, s19
	v_lshl_add_u32 v1, v0, 5, v1
	s_wait_alu 0xfffe
	s_add_nc_u64 s[0:1], s[0:1], s[8:9]
	s_mov_b32 s6, -1
	ds_load_2addr_b32 v[17:18], v1 offset1:1
	ds_load_2addr_b32 v[15:16], v1 offset0:2 offset1:3
	ds_load_2addr_b32 v[13:14], v1 offset0:4 offset1:5
	;; [unrolled: 1-line block ×3, first 2 shown]
	s_wait_loadcnt_dscnt 0x0
	s_barrier_signal -1
	s_barrier_wait -1
	global_inv scope:SCOPE_SE
	s_cbranch_vccz .LBB914_20
; %bb.19:
	s_clause 0x7
	global_load_b32 v1, v25, s[0:1]
	global_load_b32 v2, v25, s[0:1] offset:768
	global_load_b32 v3, v25, s[0:1] offset:1536
	;; [unrolled: 1-line block ×7, first 2 shown]
	v_add_nc_u32_e32 v27, 0xc0, v0
	v_lshrrev_b32_e32 v28, 5, v24
	v_lshrrev_b32_e32 v29, 5, v23
	v_lshrrev_b32_e32 v30, 5, v22
	v_and_b32_e32 v26, 4, v37
	v_lshrrev_b32_e32 v27, 5, v27
	v_lshrrev_b32_e32 v31, 5, v21
	;; [unrolled: 1-line block ×4, first 2 shown]
	v_and_b32_e32 v28, 28, v28
	v_and_b32_e32 v27, 12, v27
	;; [unrolled: 1-line block ×4, first 2 shown]
	v_add_nc_u32_e32 v26, v26, v0
	v_and_b32_e32 v31, 60, v31
	v_and_b32_e32 v32, 44, v32
	;; [unrolled: 1-line block ×3, first 2 shown]
	v_add_nc_u32_e32 v27, v27, v0
	v_add_nc_u32_e32 v28, v28, v0
	v_add_nc_u32_e32 v29, v29, v0
	v_add_nc_u32_e32 v30, v30, v0
	s_mov_b32 s6, 0
	v_add_nc_u32_e32 v31, v31, v0
	v_add_nc_u32_e32 v32, v32, v0
	;; [unrolled: 1-line block ×3, first 2 shown]
	s_wait_loadcnt 0x7
	v_cmp_eq_u32_e32 vcc_lo, 0, v1
	v_cndmask_b32_e64 v1, 0, 1, vcc_lo
	s_wait_loadcnt 0x6
	v_cmp_eq_u32_e32 vcc_lo, 0, v2
	s_wait_alu 0xfffd
	v_cndmask_b32_e64 v2, 0, 1, vcc_lo
	s_wait_loadcnt 0x5
	v_cmp_eq_u32_e32 vcc_lo, 0, v3
	s_wait_alu 0xfffd
	;; [unrolled: 4-line block ×7, first 2 shown]
	v_cndmask_b32_e64 v8, 0, 1, vcc_lo
	ds_store_b8 v26, v1
	ds_store_b8 v27, v2 offset:192
	ds_store_b8 v28, v3 offset:384
	;; [unrolled: 1-line block ×7, first 2 shown]
	s_wait_dscnt 0x0
	s_barrier_signal -1
	s_barrier_wait -1
.LBB914_20:
	v_lshlrev_b32_e32 v40, 3, v0
	v_lshrrev_b32_e32 v1, 2, v0
	s_and_not1_b32 vcc_lo, exec_lo, s6
	s_wait_alu 0xfffe
	s_cbranch_vccnz .LBB914_32
; %bb.21:
	v_mov_b32_e32 v2, 0
	s_mov_b32 s7, 0
	s_mov_b32 s6, exec_lo
	s_delay_alu instid0(VALU_DEP_1)
	v_dual_mov_b32 v3, v2 :: v_dual_mov_b32 v4, v2
	v_cmpx_gt_u32_e64 s3, v0
	s_cbranch_execz .LBB914_23
; %bb.22:
	global_load_b32 v2, v25, s[0:1]
	s_wait_loadcnt 0x0
	v_cmp_eq_u32_e32 vcc_lo, 0, v2
	s_wait_alu 0xfffd
	v_cndmask_b32_e64 v2, 0, 1, vcc_lo
	s_delay_alu instid0(VALU_DEP_1)
	v_dual_mov_b32 v3, s7 :: v_dual_mov_b32 v4, v2
.LBB914_23:
	s_or_b32 exec_lo, exec_lo, s6
	v_add_nc_u32_e32 v5, 0xc0, v0
	s_mov_b32 s6, exec_lo
	s_delay_alu instid0(VALU_DEP_1)
	v_cmpx_gt_u32_e64 s3, v5
	s_cbranch_execnz .LBB914_168
; %bb.24:
	s_wait_alu 0xfffe
	s_or_b32 exec_lo, exec_lo, s6
	s_delay_alu instid0(SALU_CYCLE_1)
	s_mov_b32 s6, exec_lo
	v_cmpx_gt_u32_e64 s3, v24
	s_cbranch_execnz .LBB914_169
.LBB914_25:
	s_wait_alu 0xfffe
	s_or_b32 exec_lo, exec_lo, s6
	s_delay_alu instid0(SALU_CYCLE_1)
	s_mov_b32 s6, exec_lo
	v_cmpx_gt_u32_e64 s3, v23
	s_cbranch_execnz .LBB914_170
.LBB914_26:
	s_wait_alu 0xfffe
	s_or_b32 exec_lo, exec_lo, s6
	s_delay_alu instid0(SALU_CYCLE_1)
	s_mov_b32 s6, exec_lo
	v_cmpx_gt_u32_e64 s3, v22
	s_cbranch_execnz .LBB914_171
.LBB914_27:
	s_wait_alu 0xfffe
	s_or_b32 exec_lo, exec_lo, s6
	s_delay_alu instid0(SALU_CYCLE_1)
	s_mov_b32 s6, exec_lo
	v_cmpx_gt_u32_e64 s3, v21
	s_cbranch_execnz .LBB914_172
.LBB914_28:
	s_wait_alu 0xfffe
	s_or_b32 exec_lo, exec_lo, s6
	s_delay_alu instid0(SALU_CYCLE_1)
	s_mov_b32 s6, exec_lo
	v_cmpx_gt_u32_e64 s3, v20
	s_cbranch_execnz .LBB914_173
.LBB914_29:
	s_wait_alu 0xfffe
	s_or_b32 exec_lo, exec_lo, s6
	v_cmp_gt_u32_e32 vcc_lo, s3, v19
	s_and_saveexec_b32 s3, vcc_lo
	s_cbranch_execz .LBB914_31
.LBB914_30:
	global_load_b32 v6, v25, s[0:1] offset:5376
	v_lshrrev_b32_e32 v7, 16, v3
	s_delay_alu instid0(VALU_DEP_1) | instskip(SKIP_4) | instid1(VALU_DEP_1)
	v_and_b32_e32 v7, 0xff, v7
	s_wait_loadcnt 0x0
	v_cmp_eq_u32_e32 vcc_lo, 0, v6
	s_wait_alu 0xfffd
	v_cndmask_b32_e64 v6, 0, 1, vcc_lo
	v_lshlrev_b16 v6, 8, v6
	s_delay_alu instid0(VALU_DEP_1) | instskip(NEXT) | instid1(VALU_DEP_1)
	v_or_b32_e32 v6, v7, v6
	v_lshlrev_b32_e32 v6, 16, v6
	s_delay_alu instid0(VALU_DEP_1)
	v_and_or_b32 v3, 0xffff, v3, v6
.LBB914_31:
	s_wait_alu 0xfffe
	s_or_b32 exec_lo, exec_lo, s3
	v_lshrrev_b32_e32 v5, 5, v5
	v_lshrrev_b32_e32 v6, 5, v24
	;; [unrolled: 1-line block ×4, first 2 shown]
	v_and_b32_e32 v7, 4, v37
	v_lshrrev_b32_e32 v21, 5, v21
	v_lshrrev_b32_e32 v20, 5, v20
	;; [unrolled: 1-line block ×3, first 2 shown]
	v_and_b32_e32 v5, 12, v5
	v_and_b32_e32 v6, 28, v6
	;; [unrolled: 1-line block ×4, first 2 shown]
	v_add_nc_u32_e32 v7, v7, v0
	v_and_b32_e32 v21, 60, v21
	v_and_b32_e32 v20, 60, v20
	;; [unrolled: 1-line block ×3, first 2 shown]
	v_lshrrev_b32_e32 v8, 8, v2
	v_add_nc_u32_e32 v5, v5, v0
	v_add_nc_u32_e32 v6, v6, v0
	v_lshrrev_b32_e32 v24, 24, v2
	v_add_nc_u32_e32 v23, v23, v0
	v_add_nc_u32_e32 v22, v22, v0
	;; [unrolled: 3-line block ×3, first 2 shown]
	v_lshrrev_b32_e32 v26, 24, v3
	v_add_nc_u32_e32 v19, v19, v0
	ds_store_b8 v7, v4
	ds_store_b8 v5, v8 offset:192
	ds_store_b8_d16_hi v6, v2 offset:384
	ds_store_b8 v23, v24 offset:576
	ds_store_b8 v22, v3 offset:768
	;; [unrolled: 1-line block ×3, first 2 shown]
	ds_store_b8_d16_hi v20, v3 offset:1152
	ds_store_b8 v19, v26 offset:1344
	s_wait_loadcnt_dscnt 0x0
	s_barrier_signal -1
	s_barrier_wait -1
.LBB914_32:
	s_delay_alu instid0(VALU_DEP_1)
	v_dual_mov_b32 v2, 0 :: v_dual_and_b32 v1, 60, v1
	s_wait_loadcnt 0x0
	global_inv scope:SCOPE_SE
	v_mbcnt_lo_u32_b32 v47, -1, 0
	s_cmp_lg_u32 s20, 0
	v_add_nc_u32_e32 v1, v1, v40
	s_mov_b32 s1, -1
	s_delay_alu instid0(VALU_DEP_2)
	v_and_b32_e32 v48, 15, v47
	ds_load_2addr_b32 v[19:20], v1 offset1:1
	s_wait_loadcnt_dscnt 0x0
	s_barrier_signal -1
	s_barrier_wait -1
	global_inv scope:SCOPE_SE
	v_and_b32_e32 v43, 0xff, v19
	v_bfe_u32 v42, v19, 8, 8
	v_bfe_u32 v41, v19, 16, 8
	v_lshrrev_b32_e32 v39, 24, v19
	v_and_b32_e32 v46, 0xff, v20
	v_bfe_u32 v45, v20, 8, 8
	v_bfe_u32 v44, v20, 16, 8
	v_add3_u32 v1, v42, v43, v41
	v_lshrrev_b32_e32 v38, 24, v20
	s_delay_alu instid0(VALU_DEP_2) | instskip(SKIP_3) | instid1(VALU_DEP_3)
	v_add_co_u32 v1, s0, v1, v39
	s_wait_alu 0xf1ff
	v_add_co_ci_u32_e64 v3, null, 0, 0, s0
	v_cmp_ne_u32_e64 s0, 0, v48
	v_add_co_u32 v1, vcc_lo, v1, v46
	s_wait_alu 0xfffd
	s_delay_alu instid0(VALU_DEP_3) | instskip(NEXT) | instid1(VALU_DEP_2)
	v_add_co_ci_u32_e64 v3, null, 0, v3, vcc_lo
	v_add_co_u32 v1, vcc_lo, v1, v45
	s_wait_alu 0xfffd
	s_delay_alu instid0(VALU_DEP_2) | instskip(NEXT) | instid1(VALU_DEP_2)
	v_add_co_ci_u32_e64 v3, null, 0, v3, vcc_lo
	v_add_co_u32 v1, vcc_lo, v1, v44
	s_wait_alu 0xfffd
	s_delay_alu instid0(VALU_DEP_2) | instskip(NEXT) | instid1(VALU_DEP_2)
	v_add_co_ci_u32_e64 v3, null, 0, v3, vcc_lo
	v_add_co_u32 v21, vcc_lo, v1, v38
	s_wait_alu 0xfffd
	s_delay_alu instid0(VALU_DEP_2)
	v_add_co_ci_u32_e64 v22, null, 0, v3, vcc_lo
	s_cbranch_scc0 .LBB914_89
; %bb.33:
	v_mov_b32_e32 v3, v21
	v_mov_b32_dpp v1, v21 row_shr:1 row_mask:0xf bank_mask:0xf
	v_mov_b32_dpp v6, v2 row_shr:1 row_mask:0xf bank_mask:0xf
	v_dual_mov_b32 v5, v21 :: v_dual_mov_b32 v4, v22
	s_and_saveexec_b32 s1, s0
; %bb.34:
	s_delay_alu instid0(VALU_DEP_3) | instskip(SKIP_2) | instid1(VALU_DEP_2)
	v_add_co_u32 v5, vcc_lo, v21, v1
	s_wait_alu 0xfffd
	v_add_co_ci_u32_e64 v2, null, 0, v22, vcc_lo
	v_add_co_u32 v1, vcc_lo, 0, v5
	s_wait_alu 0xfffd
	s_delay_alu instid0(VALU_DEP_2) | instskip(NEXT) | instid1(VALU_DEP_1)
	v_add_co_ci_u32_e64 v2, null, v6, v2, vcc_lo
	v_dual_mov_b32 v4, v2 :: v_dual_mov_b32 v3, v1
; %bb.35:
	s_wait_alu 0xfffe
	s_or_b32 exec_lo, exec_lo, s1
	v_mov_b32_dpp v1, v5 row_shr:2 row_mask:0xf bank_mask:0xf
	v_mov_b32_dpp v6, v2 row_shr:2 row_mask:0xf bank_mask:0xf
	s_mov_b32 s1, exec_lo
	v_cmpx_lt_u32_e32 1, v48
; %bb.36:
	s_delay_alu instid0(VALU_DEP_3) | instskip(SKIP_2) | instid1(VALU_DEP_2)
	v_add_co_u32 v5, vcc_lo, v3, v1
	s_wait_alu 0xfffd
	v_add_co_ci_u32_e64 v2, null, 0, v4, vcc_lo
	v_add_co_u32 v1, vcc_lo, 0, v5
	s_wait_alu 0xfffd
	s_delay_alu instid0(VALU_DEP_2) | instskip(NEXT) | instid1(VALU_DEP_1)
	v_add_co_ci_u32_e64 v2, null, v6, v2, vcc_lo
	v_dual_mov_b32 v4, v2 :: v_dual_mov_b32 v3, v1
; %bb.37:
	s_wait_alu 0xfffe
	s_or_b32 exec_lo, exec_lo, s1
	v_mov_b32_dpp v1, v5 row_shr:4 row_mask:0xf bank_mask:0xf
	v_mov_b32_dpp v6, v2 row_shr:4 row_mask:0xf bank_mask:0xf
	s_mov_b32 s1, exec_lo
	v_cmpx_lt_u32_e32 3, v48
	;; [unrolled: 17-line block ×3, first 2 shown]
; %bb.40:
	s_delay_alu instid0(VALU_DEP_3) | instskip(SKIP_2) | instid1(VALU_DEP_2)
	v_add_co_u32 v5, vcc_lo, v3, v6
	s_wait_alu 0xfffd
	v_add_co_ci_u32_e64 v2, null, 0, v4, vcc_lo
	v_add_co_u32 v3, vcc_lo, 0, v5
	s_wait_alu 0xfffd
	s_delay_alu instid0(VALU_DEP_2) | instskip(NEXT) | instid1(VALU_DEP_1)
	v_add_co_ci_u32_e64 v4, null, v1, v2, vcc_lo
	v_mov_b32_e32 v2, v4
; %bb.41:
	s_wait_alu 0xfffe
	s_or_b32 exec_lo, exec_lo, s1
	ds_swizzle_b32 v1, v5 offset:swizzle(BROADCAST,32,15)
	ds_swizzle_b32 v6, v2 offset:swizzle(BROADCAST,32,15)
	v_and_b32_e32 v7, 16, v47
	s_mov_b32 s1, exec_lo
	s_delay_alu instid0(VALU_DEP_1)
	v_cmpx_ne_u32_e32 0, v7
	s_cbranch_execz .LBB914_43
; %bb.42:
	s_wait_dscnt 0x1
	v_add_co_u32 v5, vcc_lo, v3, v1
	s_wait_alu 0xfffd
	v_add_co_ci_u32_e64 v2, null, 0, v4, vcc_lo
	s_delay_alu instid0(VALU_DEP_2) | instskip(SKIP_2) | instid1(VALU_DEP_2)
	v_add_co_u32 v1, vcc_lo, 0, v5
	s_wait_dscnt 0x0
	s_wait_alu 0xfffd
	v_add_co_ci_u32_e64 v2, null, v6, v2, vcc_lo
	s_delay_alu instid0(VALU_DEP_1)
	v_dual_mov_b32 v4, v2 :: v_dual_mov_b32 v3, v1
.LBB914_43:
	s_wait_alu 0xfffe
	s_or_b32 exec_lo, exec_lo, s1
	s_wait_dscnt 0x1
	v_and_b32_e32 v1, 0xe0, v0
	s_mov_b32 s1, exec_lo
	s_delay_alu instid0(VALU_DEP_1) | instskip(NEXT) | instid1(VALU_DEP_1)
	v_min_u32_e32 v1, 0xa0, v1
	v_or_b32_e32 v1, 31, v1
	s_delay_alu instid0(VALU_DEP_1)
	v_cmpx_eq_u32_e64 v0, v1
; %bb.44:
	v_lshlrev_b32_e32 v1, 3, v37
	ds_store_b64 v1, v[3:4]
; %bb.45:
	s_wait_alu 0xfffe
	s_or_b32 exec_lo, exec_lo, s1
	s_delay_alu instid0(SALU_CYCLE_1)
	s_mov_b32 s1, exec_lo
	s_wait_loadcnt_dscnt 0x0
	s_barrier_signal -1
	s_barrier_wait -1
	global_inv scope:SCOPE_SE
	v_cmpx_gt_u32_e32 6, v0
	s_cbranch_execz .LBB914_53
; %bb.46:
	ds_load_b64 v[3:4], v40
	v_and_b32_e32 v1, 7, v47
	s_mov_b32 s3, exec_lo
	s_wait_dscnt 0x0
	v_mov_b32_dpp v8, v3 row_shr:1 row_mask:0xf bank_mask:0xf
	v_mov_b32_dpp v7, v4 row_shr:1 row_mask:0xf bank_mask:0xf
	v_mov_b32_e32 v6, v3
	v_cmpx_ne_u32_e32 0, v1
; %bb.47:
	s_delay_alu instid0(VALU_DEP_4) | instskip(SKIP_2) | instid1(VALU_DEP_2)
	v_add_co_u32 v6, vcc_lo, v3, v8
	s_wait_alu 0xfffd
	v_add_co_ci_u32_e64 v4, null, 0, v4, vcc_lo
	v_add_co_u32 v3, vcc_lo, 0, v6
	s_wait_alu 0xfffd
	s_delay_alu instid0(VALU_DEP_2)
	v_add_co_ci_u32_e64 v4, null, v7, v4, vcc_lo
; %bb.48:
	s_wait_alu 0xfffe
	s_or_b32 exec_lo, exec_lo, s3
	v_mov_b32_dpp v8, v6 row_shr:2 row_mask:0xf bank_mask:0xf
	s_delay_alu instid0(VALU_DEP_2)
	v_mov_b32_dpp v7, v4 row_shr:2 row_mask:0xf bank_mask:0xf
	s_mov_b32 s3, exec_lo
	v_cmpx_lt_u32_e32 1, v1
; %bb.49:
	s_delay_alu instid0(VALU_DEP_3) | instskip(SKIP_2) | instid1(VALU_DEP_2)
	v_add_co_u32 v6, vcc_lo, v3, v8
	s_wait_alu 0xfffd
	v_add_co_ci_u32_e64 v4, null, 0, v4, vcc_lo
	v_add_co_u32 v3, vcc_lo, 0, v6
	s_wait_alu 0xfffd
	s_delay_alu instid0(VALU_DEP_2)
	v_add_co_ci_u32_e64 v4, null, v7, v4, vcc_lo
; %bb.50:
	s_wait_alu 0xfffe
	s_or_b32 exec_lo, exec_lo, s3
	v_mov_b32_dpp v7, v6 row_shr:4 row_mask:0xf bank_mask:0xf
	s_delay_alu instid0(VALU_DEP_2)
	v_mov_b32_dpp v6, v4 row_shr:4 row_mask:0xf bank_mask:0xf
	s_mov_b32 s3, exec_lo
	v_cmpx_lt_u32_e32 3, v1
; %bb.51:
	s_delay_alu instid0(VALU_DEP_3) | instskip(SKIP_2) | instid1(VALU_DEP_2)
	v_add_co_u32 v1, vcc_lo, v3, v7
	s_wait_alu 0xfffd
	v_add_co_ci_u32_e64 v4, null, 0, v4, vcc_lo
	v_add_co_u32 v3, vcc_lo, v1, 0
	s_wait_alu 0xfffd
	s_delay_alu instid0(VALU_DEP_2)
	v_add_co_ci_u32_e64 v4, null, v4, v6, vcc_lo
; %bb.52:
	s_wait_alu 0xfffe
	s_or_b32 exec_lo, exec_lo, s3
	ds_store_b64 v40, v[3:4]
.LBB914_53:
	s_wait_alu 0xfffe
	s_or_b32 exec_lo, exec_lo, s1
	s_delay_alu instid0(SALU_CYCLE_1)
	s_mov_b32 s3, exec_lo
	v_cmp_gt_u32_e32 vcc_lo, 32, v0
	s_wait_loadcnt_dscnt 0x0
	s_barrier_signal -1
	s_barrier_wait -1
	global_inv scope:SCOPE_SE
                                        ; implicit-def: $vgpr23_vgpr24
	v_cmpx_lt_u32_e32 31, v0
	s_cbranch_execz .LBB914_55
; %bb.54:
	v_lshl_add_u32 v1, v37, 3, -8
	ds_load_b64 v[23:24], v1
	s_wait_dscnt 0x0
	v_add_co_u32 v5, s1, v5, v23
	s_wait_alu 0xf1ff
	v_add_co_ci_u32_e64 v2, null, v2, v24, s1
.LBB914_55:
	s_wait_alu 0xfffe
	s_or_b32 exec_lo, exec_lo, s3
	v_sub_co_u32 v1, s1, v47, 1
	s_delay_alu instid0(VALU_DEP_1) | instskip(SKIP_1) | instid1(VALU_DEP_1)
	v_cmp_gt_i32_e64 s3, 0, v1
	s_wait_alu 0xf1ff
	v_cndmask_b32_e64 v1, v1, v47, s3
	s_delay_alu instid0(VALU_DEP_1)
	v_lshlrev_b32_e32 v1, 2, v1
	ds_bpermute_b32 v29, v1, v5
	ds_bpermute_b32 v30, v1, v2
	s_and_saveexec_b32 s3, vcc_lo
	s_cbranch_execz .LBB914_94
; %bb.56:
	v_mov_b32_e32 v4, 0
	ds_load_b64 v[1:2], v4 offset:40
	s_and_saveexec_b32 s6, s1
	s_cbranch_execz .LBB914_58
; %bb.57:
	s_add_co_i32 s8, s20, 32
	s_mov_b32 s9, 0
	s_wait_alu 0xfffe
	s_lshl_b64 s[8:9], s[8:9], 4
	s_wait_alu 0xfffe
	s_add_nc_u64 s[8:9], s[14:15], s[8:9]
	v_mov_b32_e32 v3, 1
	s_wait_alu 0xfffe
	v_dual_mov_b32 v5, s8 :: v_dual_mov_b32 v6, s9
	s_wait_dscnt 0x0
	;;#ASMSTART
	global_store_b128 v[5:6], v[1:4] off scope:SCOPE_DEV	
s_wait_storecnt 0x0
	;;#ASMEND
.LBB914_58:
	s_wait_alu 0xfffe
	s_or_b32 exec_lo, exec_lo, s6
	v_xad_u32 v25, v47, -1, s20
	s_mov_b32 s7, 0
	s_mov_b32 s6, exec_lo
	s_delay_alu instid0(VALU_DEP_1) | instskip(NEXT) | instid1(VALU_DEP_1)
	v_add_nc_u32_e32 v3, 32, v25
	v_lshlrev_b64_e32 v[3:4], 4, v[3:4]
	s_delay_alu instid0(VALU_DEP_1) | instskip(SKIP_1) | instid1(VALU_DEP_2)
	v_add_co_u32 v3, vcc_lo, s14, v3
	s_wait_alu 0xfffd
	v_add_co_ci_u32_e64 v4, null, s15, v4, vcc_lo
	;;#ASMSTART
	global_load_b128 v[5:8], v[3:4] off scope:SCOPE_DEV	
s_wait_loadcnt 0x0
	;;#ASMEND
	v_and_b32_e32 v8, 0xff, v7
	s_delay_alu instid0(VALU_DEP_1)
	v_cmpx_eq_u16_e32 0, v8
	s_cbranch_execz .LBB914_61
.LBB914_59:                             ; =>This Inner Loop Header: Depth=1
	;;#ASMSTART
	global_load_b128 v[5:8], v[3:4] off scope:SCOPE_DEV	
s_wait_loadcnt 0x0
	;;#ASMEND
	v_and_b32_e32 v8, 0xff, v7
	s_delay_alu instid0(VALU_DEP_1)
	v_cmp_ne_u16_e32 vcc_lo, 0, v8
	s_wait_alu 0xfffe
	s_or_b32 s7, vcc_lo, s7
	s_wait_alu 0xfffe
	s_and_not1_b32 exec_lo, exec_lo, s7
	s_cbranch_execnz .LBB914_59
; %bb.60:
	s_or_b32 exec_lo, exec_lo, s7
.LBB914_61:
	s_wait_alu 0xfffe
	s_or_b32 exec_lo, exec_lo, s6
	v_cmp_ne_u32_e32 vcc_lo, 31, v47
	v_and_b32_e32 v4, 0xff, v7
	v_lshlrev_b32_e64 v32, v47, -1
	s_mov_b32 s6, exec_lo
	s_wait_alu 0xfffd
	v_add_co_ci_u32_e64 v3, null, 0, v47, vcc_lo
	v_cmp_eq_u16_e32 vcc_lo, 2, v4
	s_delay_alu instid0(VALU_DEP_2)
	v_dual_mov_b32 v4, v5 :: v_dual_lshlrev_b32 v31, 2, v3
	s_wait_alu 0xfffd
	v_and_or_b32 v3, vcc_lo, v32, 0x80000000
	ds_bpermute_b32 v26, v31, v5
	ds_bpermute_b32 v8, v31, v6
	v_ctz_i32_b32_e32 v3, v3
	s_delay_alu instid0(VALU_DEP_1)
	v_cmpx_lt_u32_e64 v47, v3
	s_cbranch_execz .LBB914_63
; %bb.62:
	s_wait_dscnt 0x1
	v_add_co_u32 v4, vcc_lo, v5, v26
	s_wait_alu 0xfffd
	v_add_co_ci_u32_e64 v6, null, 0, v6, vcc_lo
	s_delay_alu instid0(VALU_DEP_2) | instskip(SKIP_2) | instid1(VALU_DEP_2)
	v_add_co_u32 v5, vcc_lo, 0, v4
	s_wait_dscnt 0x0
	s_wait_alu 0xfffd
	v_add_co_ci_u32_e64 v6, null, v8, v6, vcc_lo
.LBB914_63:
	s_wait_alu 0xfffe
	s_or_b32 exec_lo, exec_lo, s6
	v_cmp_gt_u32_e32 vcc_lo, 30, v47
	v_add_nc_u32_e32 v34, 2, v47
	s_mov_b32 s6, exec_lo
	s_wait_dscnt 0x0
	s_wait_alu 0xfffd
	v_cndmask_b32_e64 v8, 0, 2, vcc_lo
	s_delay_alu instid0(VALU_DEP_1)
	v_add_lshl_u32 v33, v8, v47, 2
	ds_bpermute_b32 v26, v33, v4
	ds_bpermute_b32 v8, v33, v6
	v_cmpx_le_u32_e64 v34, v3
	s_cbranch_execz .LBB914_65
; %bb.64:
	s_wait_dscnt 0x1
	v_add_co_u32 v4, vcc_lo, v5, v26
	s_wait_alu 0xfffd
	v_add_co_ci_u32_e64 v6, null, 0, v6, vcc_lo
	s_delay_alu instid0(VALU_DEP_2) | instskip(SKIP_2) | instid1(VALU_DEP_2)
	v_add_co_u32 v5, vcc_lo, 0, v4
	s_wait_dscnt 0x0
	s_wait_alu 0xfffd
	v_add_co_ci_u32_e64 v6, null, v8, v6, vcc_lo
.LBB914_65:
	s_wait_alu 0xfffe
	s_or_b32 exec_lo, exec_lo, s6
	v_cmp_gt_u32_e32 vcc_lo, 28, v47
	v_add_nc_u32_e32 v36, 4, v47
	s_mov_b32 s6, exec_lo
	s_wait_dscnt 0x0
	s_wait_alu 0xfffd
	v_cndmask_b32_e64 v8, 0, 4, vcc_lo
	s_delay_alu instid0(VALU_DEP_1)
	v_add_lshl_u32 v35, v8, v47, 2
	ds_bpermute_b32 v26, v35, v4
	ds_bpermute_b32 v8, v35, v6
	v_cmpx_le_u32_e64 v36, v3
	;; [unrolled: 25-line block ×3, first 2 shown]
	s_cbranch_execz .LBB914_69
; %bb.68:
	s_wait_dscnt 0x1
	v_add_co_u32 v4, vcc_lo, v5, v26
	s_wait_alu 0xfffd
	v_add_co_ci_u32_e64 v6, null, 0, v6, vcc_lo
	s_delay_alu instid0(VALU_DEP_2) | instskip(SKIP_2) | instid1(VALU_DEP_2)
	v_add_co_u32 v5, vcc_lo, 0, v4
	s_wait_dscnt 0x0
	s_wait_alu 0xfffd
	v_add_co_ci_u32_e64 v6, null, v8, v6, vcc_lo
.LBB914_69:
	s_wait_alu 0xfffe
	s_or_b32 exec_lo, exec_lo, s6
	v_lshl_or_b32 v51, v47, 2, 64
	v_add_nc_u32_e32 v52, 16, v47
	s_mov_b32 s6, exec_lo
	s_wait_dscnt 0x0
	ds_bpermute_b32 v8, v51, v4
	ds_bpermute_b32 v4, v51, v6
	v_cmpx_le_u32_e64 v52, v3
	s_cbranch_execz .LBB914_71
; %bb.70:
	s_wait_dscnt 0x1
	v_add_co_u32 v3, vcc_lo, v5, v8
	s_wait_alu 0xfffd
	v_add_co_ci_u32_e64 v6, null, 0, v6, vcc_lo
	s_delay_alu instid0(VALU_DEP_2) | instskip(SKIP_2) | instid1(VALU_DEP_2)
	v_add_co_u32 v5, vcc_lo, v3, 0
	s_wait_dscnt 0x0
	s_wait_alu 0xfffd
	v_add_co_ci_u32_e64 v6, null, v6, v4, vcc_lo
.LBB914_71:
	s_wait_alu 0xfffe
	s_or_b32 exec_lo, exec_lo, s6
	v_mov_b32_e32 v26, 0
	s_branch .LBB914_74
.LBB914_72:                             ;   in Loop: Header=BB914_74 Depth=1
	s_wait_alu 0xfffe
	s_or_b32 exec_lo, exec_lo, s6
	v_add_co_u32 v5, vcc_lo, v5, v3
	v_subrev_nc_u32_e32 v25, 32, v25
	s_wait_alu 0xfffd
	v_add_co_ci_u32_e64 v6, null, v6, v4, vcc_lo
	s_mov_b32 s6, 0
.LBB914_73:                             ;   in Loop: Header=BB914_74 Depth=1
	s_wait_alu 0xfffe
	s_and_b32 vcc_lo, exec_lo, s6
	s_wait_alu 0xfffe
	s_cbranch_vccnz .LBB914_90
.LBB914_74:                             ; =>This Loop Header: Depth=1
                                        ;     Child Loop BB914_77 Depth 2
	v_and_b32_e32 v3, 0xff, v7
	s_mov_b32 s6, -1
	s_delay_alu instid0(VALU_DEP_1)
	v_cmp_ne_u16_e32 vcc_lo, 2, v3
	s_wait_dscnt 0x0
	v_dual_mov_b32 v3, v5 :: v_dual_mov_b32 v4, v6
                                        ; implicit-def: $vgpr5_vgpr6
	s_cmp_lg_u32 vcc_lo, exec_lo
	s_cbranch_scc1 .LBB914_73
; %bb.75:                               ;   in Loop: Header=BB914_74 Depth=1
	v_lshlrev_b64_e32 v[5:6], 4, v[25:26]
	s_mov_b32 s6, exec_lo
	s_delay_alu instid0(VALU_DEP_1) | instskip(SKIP_1) | instid1(VALU_DEP_2)
	v_add_co_u32 v27, vcc_lo, s14, v5
	s_wait_alu 0xfffd
	v_add_co_ci_u32_e64 v28, null, s15, v6, vcc_lo
	;;#ASMSTART
	global_load_b128 v[5:8], v[27:28] off scope:SCOPE_DEV	
s_wait_loadcnt 0x0
	;;#ASMEND
	v_and_b32_e32 v8, 0xff, v7
	s_delay_alu instid0(VALU_DEP_1)
	v_cmpx_eq_u16_e32 0, v8
	s_cbranch_execz .LBB914_79
; %bb.76:                               ;   in Loop: Header=BB914_74 Depth=1
	s_mov_b32 s7, 0
.LBB914_77:                             ;   Parent Loop BB914_74 Depth=1
                                        ; =>  This Inner Loop Header: Depth=2
	;;#ASMSTART
	global_load_b128 v[5:8], v[27:28] off scope:SCOPE_DEV	
s_wait_loadcnt 0x0
	;;#ASMEND
	v_and_b32_e32 v8, 0xff, v7
	s_delay_alu instid0(VALU_DEP_1)
	v_cmp_ne_u16_e32 vcc_lo, 0, v8
	s_wait_alu 0xfffe
	s_or_b32 s7, vcc_lo, s7
	s_wait_alu 0xfffe
	s_and_not1_b32 exec_lo, exec_lo, s7
	s_cbranch_execnz .LBB914_77
; %bb.78:                               ;   in Loop: Header=BB914_74 Depth=1
	s_or_b32 exec_lo, exec_lo, s7
.LBB914_79:                             ;   in Loop: Header=BB914_74 Depth=1
	s_wait_alu 0xfffe
	s_or_b32 exec_lo, exec_lo, s6
	v_dual_mov_b32 v27, v5 :: v_dual_and_b32 v8, 0xff, v7
	ds_bpermute_b32 v53, v31, v5
	ds_bpermute_b32 v28, v31, v6
	s_mov_b32 s6, exec_lo
	v_cmp_eq_u16_e32 vcc_lo, 2, v8
	s_wait_alu 0xfffd
	v_and_or_b32 v8, vcc_lo, v32, 0x80000000
	s_delay_alu instid0(VALU_DEP_1) | instskip(NEXT) | instid1(VALU_DEP_1)
	v_ctz_i32_b32_e32 v8, v8
	v_cmpx_lt_u32_e64 v47, v8
	s_cbranch_execz .LBB914_81
; %bb.80:                               ;   in Loop: Header=BB914_74 Depth=1
	s_wait_dscnt 0x1
	v_add_co_u32 v27, vcc_lo, v5, v53
	s_wait_alu 0xfffd
	v_add_co_ci_u32_e64 v6, null, 0, v6, vcc_lo
	s_delay_alu instid0(VALU_DEP_2) | instskip(SKIP_2) | instid1(VALU_DEP_2)
	v_add_co_u32 v5, vcc_lo, 0, v27
	s_wait_dscnt 0x0
	s_wait_alu 0xfffd
	v_add_co_ci_u32_e64 v6, null, v28, v6, vcc_lo
.LBB914_81:                             ;   in Loop: Header=BB914_74 Depth=1
	s_wait_alu 0xfffe
	s_or_b32 exec_lo, exec_lo, s6
	s_wait_dscnt 0x1
	ds_bpermute_b32 v53, v33, v27
	s_wait_dscnt 0x1
	ds_bpermute_b32 v28, v33, v6
	s_mov_b32 s6, exec_lo
	v_cmpx_le_u32_e64 v34, v8
	s_cbranch_execz .LBB914_83
; %bb.82:                               ;   in Loop: Header=BB914_74 Depth=1
	s_wait_dscnt 0x1
	v_add_co_u32 v27, vcc_lo, v5, v53
	s_wait_alu 0xfffd
	v_add_co_ci_u32_e64 v6, null, 0, v6, vcc_lo
	s_delay_alu instid0(VALU_DEP_2) | instskip(SKIP_2) | instid1(VALU_DEP_2)
	v_add_co_u32 v5, vcc_lo, 0, v27
	s_wait_dscnt 0x0
	s_wait_alu 0xfffd
	v_add_co_ci_u32_e64 v6, null, v28, v6, vcc_lo
.LBB914_83:                             ;   in Loop: Header=BB914_74 Depth=1
	s_wait_alu 0xfffe
	s_or_b32 exec_lo, exec_lo, s6
	s_wait_dscnt 0x1
	ds_bpermute_b32 v53, v35, v27
	s_wait_dscnt 0x1
	ds_bpermute_b32 v28, v35, v6
	s_mov_b32 s6, exec_lo
	v_cmpx_le_u32_e64 v36, v8
	;; [unrolled: 20-line block ×3, first 2 shown]
	s_cbranch_execz .LBB914_87
; %bb.86:                               ;   in Loop: Header=BB914_74 Depth=1
	s_wait_dscnt 0x1
	v_add_co_u32 v27, vcc_lo, v5, v53
	s_wait_alu 0xfffd
	v_add_co_ci_u32_e64 v6, null, 0, v6, vcc_lo
	s_delay_alu instid0(VALU_DEP_2) | instskip(SKIP_2) | instid1(VALU_DEP_2)
	v_add_co_u32 v5, vcc_lo, 0, v27
	s_wait_dscnt 0x0
	s_wait_alu 0xfffd
	v_add_co_ci_u32_e64 v6, null, v28, v6, vcc_lo
.LBB914_87:                             ;   in Loop: Header=BB914_74 Depth=1
	s_wait_alu 0xfffe
	s_or_b32 exec_lo, exec_lo, s6
	s_wait_dscnt 0x0
	ds_bpermute_b32 v28, v51, v27
	ds_bpermute_b32 v27, v51, v6
	s_mov_b32 s6, exec_lo
	v_cmpx_le_u32_e64 v52, v8
	s_cbranch_execz .LBB914_72
; %bb.88:                               ;   in Loop: Header=BB914_74 Depth=1
	s_wait_dscnt 0x1
	v_add_co_u32 v5, vcc_lo, v5, v28
	s_wait_alu 0xfffd
	v_add_co_ci_u32_e64 v6, null, 0, v6, vcc_lo
	s_delay_alu instid0(VALU_DEP_2) | instskip(SKIP_2) | instid1(VALU_DEP_2)
	v_add_co_u32 v5, vcc_lo, v5, 0
	s_wait_dscnt 0x0
	s_wait_alu 0xfffd
	v_add_co_ci_u32_e64 v6, null, v6, v27, vcc_lo
	s_branch .LBB914_72
.LBB914_89:
                                        ; implicit-def: $vgpr23_vgpr24
                                        ; implicit-def: $vgpr6_vgpr7
                                        ; implicit-def: $vgpr25_vgpr26
                                        ; implicit-def: $vgpr27_vgpr28
                                        ; implicit-def: $vgpr29_vgpr30
                                        ; implicit-def: $vgpr31_vgpr32
                                        ; implicit-def: $vgpr33_vgpr34
                                        ; implicit-def: $vgpr35_vgpr36
                                        ; implicit-def: $vgpr4_vgpr5
	s_wait_alu 0xfffe
	s_and_b32 vcc_lo, exec_lo, s1
	s_wait_alu 0xfffe
	s_cbranch_vccnz .LBB914_95
	s_branch .LBB914_120
.LBB914_90:
	s_and_saveexec_b32 s6, s1
	s_cbranch_execz .LBB914_92
; %bb.91:
	s_add_co_i32 s8, s20, 32
	s_mov_b32 s9, 0
	v_add_co_u32 v5, vcc_lo, v3, v1
	s_wait_alu 0xfffe
	s_lshl_b64 s[8:9], s[8:9], 4
	v_dual_mov_b32 v7, 2 :: v_dual_mov_b32 v8, 0
	s_wait_alu 0xfffe
	s_add_nc_u64 s[8:9], s[14:15], s[8:9]
	s_wait_alu 0xfffd
	v_add_co_ci_u32_e64 v6, null, v4, v2, vcc_lo
	s_wait_alu 0xfffe
	v_dual_mov_b32 v26, s9 :: v_dual_mov_b32 v25, s8
	;;#ASMSTART
	global_store_b128 v[25:26], v[5:8] off scope:SCOPE_DEV	
s_wait_storecnt 0x0
	;;#ASMEND
	ds_store_b128 v8, v[1:4] offset:6336
.LBB914_92:
	s_wait_alu 0xfffe
	s_or_b32 exec_lo, exec_lo, s6
	s_delay_alu instid0(SALU_CYCLE_1)
	s_and_b32 exec_lo, exec_lo, s2
; %bb.93:
	v_mov_b32_e32 v1, 0
	ds_store_b64 v1, v[3:4] offset:40
.LBB914_94:
	s_wait_alu 0xfffe
	s_or_b32 exec_lo, exec_lo, s3
	v_mov_b32_e32 v3, 0
	s_wait_loadcnt_dscnt 0x0
	s_barrier_signal -1
	s_barrier_wait -1
	global_inv scope:SCOPE_SE
	ds_load_b64 v[1:2], v3 offset:40
	v_cndmask_b32_e64 v4, v29, v23, s1
	v_cndmask_b32_e64 v5, v30, v24, s1
	s_wait_loadcnt_dscnt 0x0
	s_barrier_signal -1
	s_barrier_wait -1
	v_cndmask_b32_e64 v4, v4, 0, s2
	v_cndmask_b32_e64 v5, v5, 0, s2
	global_inv scope:SCOPE_SE
	v_add_co_u32 v35, vcc_lo, v1, v4
	s_wait_alu 0xfffd
	v_add_co_ci_u32_e64 v36, null, v2, v5, vcc_lo
	ds_load_b128 v[2:5], v3 offset:6336
	v_add_co_u32 v33, vcc_lo, v35, v43
	s_wait_alu 0xfffd
	v_add_co_ci_u32_e64 v34, null, 0, v36, vcc_lo
	s_delay_alu instid0(VALU_DEP_2) | instskip(SKIP_1) | instid1(VALU_DEP_2)
	v_add_co_u32 v31, vcc_lo, v33, v42
	s_wait_alu 0xfffd
	v_add_co_ci_u32_e64 v32, null, 0, v34, vcc_lo
	s_delay_alu instid0(VALU_DEP_2) | instskip(SKIP_1) | instid1(VALU_DEP_2)
	;; [unrolled: 4-line block ×6, first 2 shown]
	v_add_co_u32 v23, vcc_lo, v6, v44
	s_wait_alu 0xfffd
	v_add_co_ci_u32_e64 v24, null, 0, v7, vcc_lo
	s_branch .LBB914_120
.LBB914_95:
	s_wait_dscnt 0x0
	v_dual_mov_b32 v2, 0 :: v_dual_mov_b32 v3, v21
	v_mov_b32_dpp v4, v21 row_shr:1 row_mask:0xf bank_mask:0xf
	s_delay_alu instid0(VALU_DEP_2)
	v_mov_b32_dpp v1, v2 row_shr:1 row_mask:0xf bank_mask:0xf
	s_and_saveexec_b32 s1, s0
; %bb.96:
	s_delay_alu instid0(VALU_DEP_2) | instskip(SKIP_2) | instid1(VALU_DEP_2)
	v_add_co_u32 v3, vcc_lo, v21, v4
	s_wait_alu 0xfffd
	v_add_co_ci_u32_e64 v2, null, 0, v22, vcc_lo
	v_add_co_u32 v21, vcc_lo, 0, v3
	s_wait_alu 0xfffd
	s_delay_alu instid0(VALU_DEP_2) | instskip(NEXT) | instid1(VALU_DEP_1)
	v_add_co_ci_u32_e64 v22, null, v1, v2, vcc_lo
	v_mov_b32_e32 v2, v22
; %bb.97:
	s_wait_alu 0xfffe
	s_or_b32 exec_lo, exec_lo, s1
	v_mov_b32_dpp v1, v3 row_shr:2 row_mask:0xf bank_mask:0xf
	s_delay_alu instid0(VALU_DEP_2)
	v_mov_b32_dpp v4, v2 row_shr:2 row_mask:0xf bank_mask:0xf
	s_mov_b32 s0, exec_lo
	v_cmpx_lt_u32_e32 1, v48
; %bb.98:
	s_delay_alu instid0(VALU_DEP_3) | instskip(SKIP_2) | instid1(VALU_DEP_2)
	v_add_co_u32 v3, vcc_lo, v21, v1
	s_wait_alu 0xfffd
	v_add_co_ci_u32_e64 v2, null, 0, v22, vcc_lo
	v_add_co_u32 v1, vcc_lo, 0, v3
	s_wait_alu 0xfffd
	s_delay_alu instid0(VALU_DEP_2) | instskip(NEXT) | instid1(VALU_DEP_1)
	v_add_co_ci_u32_e64 v2, null, v4, v2, vcc_lo
	v_dual_mov_b32 v22, v2 :: v_dual_mov_b32 v21, v1
; %bb.99:
	s_wait_alu 0xfffe
	s_or_b32 exec_lo, exec_lo, s0
	v_mov_b32_dpp v1, v3 row_shr:4 row_mask:0xf bank_mask:0xf
	v_mov_b32_dpp v4, v2 row_shr:4 row_mask:0xf bank_mask:0xf
	s_mov_b32 s0, exec_lo
	v_cmpx_lt_u32_e32 3, v48
; %bb.100:
	s_delay_alu instid0(VALU_DEP_3) | instskip(SKIP_2) | instid1(VALU_DEP_2)
	v_add_co_u32 v3, vcc_lo, v21, v1
	s_wait_alu 0xfffd
	v_add_co_ci_u32_e64 v2, null, 0, v22, vcc_lo
	v_add_co_u32 v1, vcc_lo, 0, v3
	s_wait_alu 0xfffd
	s_delay_alu instid0(VALU_DEP_2) | instskip(NEXT) | instid1(VALU_DEP_1)
	v_add_co_ci_u32_e64 v2, null, v4, v2, vcc_lo
	v_dual_mov_b32 v22, v2 :: v_dual_mov_b32 v21, v1
; %bb.101:
	s_wait_alu 0xfffe
	s_or_b32 exec_lo, exec_lo, s0
	v_mov_b32_dpp v4, v3 row_shr:8 row_mask:0xf bank_mask:0xf
	v_mov_b32_dpp v1, v2 row_shr:8 row_mask:0xf bank_mask:0xf
	s_mov_b32 s0, exec_lo
	v_cmpx_lt_u32_e32 7, v48
; %bb.102:
	s_delay_alu instid0(VALU_DEP_3) | instskip(SKIP_2) | instid1(VALU_DEP_2)
	v_add_co_u32 v3, vcc_lo, v21, v4
	s_wait_alu 0xfffd
	v_add_co_ci_u32_e64 v2, null, 0, v22, vcc_lo
	v_add_co_u32 v21, vcc_lo, 0, v3
	s_wait_alu 0xfffd
	s_delay_alu instid0(VALU_DEP_2) | instskip(NEXT) | instid1(VALU_DEP_1)
	v_add_co_ci_u32_e64 v22, null, v1, v2, vcc_lo
	v_mov_b32_e32 v2, v22
; %bb.103:
	s_wait_alu 0xfffe
	s_or_b32 exec_lo, exec_lo, s0
	ds_swizzle_b32 v3, v3 offset:swizzle(BROADCAST,32,15)
	ds_swizzle_b32 v1, v2 offset:swizzle(BROADCAST,32,15)
	v_and_b32_e32 v2, 16, v47
	s_mov_b32 s0, exec_lo
	s_delay_alu instid0(VALU_DEP_1)
	v_cmpx_ne_u32_e32 0, v2
	s_cbranch_execz .LBB914_105
; %bb.104:
	s_wait_dscnt 0x1
	v_add_co_u32 v2, vcc_lo, v21, v3
	s_wait_alu 0xfffd
	v_add_co_ci_u32_e64 v3, null, 0, v22, vcc_lo
	s_delay_alu instid0(VALU_DEP_2) | instskip(SKIP_2) | instid1(VALU_DEP_2)
	v_add_co_u32 v21, vcc_lo, v2, 0
	s_wait_dscnt 0x0
	s_wait_alu 0xfffd
	v_add_co_ci_u32_e64 v22, null, v3, v1, vcc_lo
.LBB914_105:
	s_wait_alu 0xfffe
	s_or_b32 exec_lo, exec_lo, s0
	s_wait_dscnt 0x0
	v_and_b32_e32 v1, 0xe0, v0
	s_mov_b32 s0, exec_lo
	s_delay_alu instid0(VALU_DEP_1) | instskip(NEXT) | instid1(VALU_DEP_1)
	v_min_u32_e32 v1, 0xa0, v1
	v_or_b32_e32 v1, 31, v1
	s_delay_alu instid0(VALU_DEP_1)
	v_cmpx_eq_u32_e64 v0, v1
; %bb.106:
	v_lshlrev_b32_e32 v1, 3, v37
	ds_store_b64 v1, v[21:22]
; %bb.107:
	s_wait_alu 0xfffe
	s_or_b32 exec_lo, exec_lo, s0
	s_delay_alu instid0(SALU_CYCLE_1)
	s_mov_b32 s0, exec_lo
	s_wait_loadcnt_dscnt 0x0
	s_barrier_signal -1
	s_barrier_wait -1
	global_inv scope:SCOPE_SE
	v_cmpx_gt_u32_e32 6, v0
	s_cbranch_execz .LBB914_115
; %bb.108:
	ds_load_b64 v[1:2], v40
	v_and_b32_e32 v3, 7, v47
	s_mov_b32 s1, exec_lo
	s_wait_dscnt 0x0
	v_mov_b32_dpp v6, v1 row_shr:1 row_mask:0xf bank_mask:0xf
	v_mov_b32_dpp v5, v2 row_shr:1 row_mask:0xf bank_mask:0xf
	v_mov_b32_e32 v4, v1
	v_cmpx_ne_u32_e32 0, v3
; %bb.109:
	s_delay_alu instid0(VALU_DEP_4) | instskip(SKIP_2) | instid1(VALU_DEP_2)
	v_add_co_u32 v4, vcc_lo, v1, v6
	s_wait_alu 0xfffd
	v_add_co_ci_u32_e64 v2, null, 0, v2, vcc_lo
	v_add_co_u32 v1, vcc_lo, 0, v4
	s_wait_alu 0xfffd
	s_delay_alu instid0(VALU_DEP_2)
	v_add_co_ci_u32_e64 v2, null, v5, v2, vcc_lo
; %bb.110:
	s_wait_alu 0xfffe
	s_or_b32 exec_lo, exec_lo, s1
	v_mov_b32_dpp v6, v4 row_shr:2 row_mask:0xf bank_mask:0xf
	s_delay_alu instid0(VALU_DEP_2)
	v_mov_b32_dpp v5, v2 row_shr:2 row_mask:0xf bank_mask:0xf
	s_mov_b32 s1, exec_lo
	v_cmpx_lt_u32_e32 1, v3
; %bb.111:
	s_delay_alu instid0(VALU_DEP_3) | instskip(SKIP_2) | instid1(VALU_DEP_2)
	v_add_co_u32 v4, vcc_lo, v1, v6
	s_wait_alu 0xfffd
	v_add_co_ci_u32_e64 v2, null, 0, v2, vcc_lo
	v_add_co_u32 v1, vcc_lo, 0, v4
	s_wait_alu 0xfffd
	s_delay_alu instid0(VALU_DEP_2)
	v_add_co_ci_u32_e64 v2, null, v5, v2, vcc_lo
; %bb.112:
	s_wait_alu 0xfffe
	s_or_b32 exec_lo, exec_lo, s1
	v_mov_b32_dpp v5, v4 row_shr:4 row_mask:0xf bank_mask:0xf
	s_delay_alu instid0(VALU_DEP_2)
	v_mov_b32_dpp v4, v2 row_shr:4 row_mask:0xf bank_mask:0xf
	s_mov_b32 s1, exec_lo
	v_cmpx_lt_u32_e32 3, v3
; %bb.113:
	s_delay_alu instid0(VALU_DEP_3) | instskip(SKIP_2) | instid1(VALU_DEP_2)
	v_add_co_u32 v1, vcc_lo, v1, v5
	s_wait_alu 0xfffd
	v_add_co_ci_u32_e64 v2, null, 0, v2, vcc_lo
	v_add_co_u32 v1, vcc_lo, v1, 0
	s_wait_alu 0xfffd
	s_delay_alu instid0(VALU_DEP_2)
	v_add_co_ci_u32_e64 v2, null, v2, v4, vcc_lo
; %bb.114:
	s_wait_alu 0xfffe
	s_or_b32 exec_lo, exec_lo, s1
	ds_store_b64 v40, v[1:2]
.LBB914_115:
	s_wait_alu 0xfffe
	s_or_b32 exec_lo, exec_lo, s0
	v_mov_b32_e32 v6, 0
	v_mov_b32_e32 v7, 0
	s_mov_b32 s0, exec_lo
	s_wait_loadcnt_dscnt 0x0
	s_barrier_signal -1
	s_barrier_wait -1
	global_inv scope:SCOPE_SE
	v_cmpx_lt_u32_e32 31, v0
; %bb.116:
	v_lshl_add_u32 v1, v37, 3, -8
	ds_load_b64 v[6:7], v1
; %bb.117:
	s_wait_alu 0xfffe
	s_or_b32 exec_lo, exec_lo, s0
	v_sub_co_u32 v1, vcc_lo, v47, 1
	v_mov_b32_e32 v5, 0
	s_delay_alu instid0(VALU_DEP_2) | instskip(SKIP_1) | instid1(VALU_DEP_1)
	v_cmp_gt_i32_e64 s0, 0, v1
	s_wait_alu 0xf1ff
	v_cndmask_b32_e64 v1, v1, v47, s0
	s_delay_alu instid0(VALU_DEP_1)
	v_lshlrev_b32_e32 v2, 2, v1
	s_wait_dscnt 0x0
	v_add_co_u32 v1, s0, v6, v21
	s_wait_alu 0xf1ff
	v_add_co_ci_u32_e64 v3, null, v7, v22, s0
	ds_bpermute_b32 v1, v2, v1
	ds_bpermute_b32 v8, v2, v3
	ds_load_b64 v[2:3], v5 offset:40
	s_and_saveexec_b32 s0, s2
	s_cbranch_execz .LBB914_119
; %bb.118:
	s_add_nc_u64 s[6:7], s[14:15], 0x200
	v_mov_b32_e32 v4, 2
	s_wait_alu 0xfffe
	v_dual_mov_b32 v22, s7 :: v_dual_mov_b32 v21, s6
	s_wait_dscnt 0x0
	;;#ASMSTART
	global_store_b128 v[21:22], v[2:5] off scope:SCOPE_DEV	
s_wait_storecnt 0x0
	;;#ASMEND
.LBB914_119:
	s_wait_alu 0xfffe
	s_or_b32 exec_lo, exec_lo, s0
	s_wait_dscnt 0x1
	s_wait_alu 0xfffd
	v_dual_cndmask_b32 v1, v1, v6 :: v_dual_cndmask_b32 v4, v8, v7
	s_wait_loadcnt_dscnt 0x0
	s_barrier_signal -1
	s_barrier_wait -1
	s_delay_alu instid0(VALU_DEP_1)
	v_cndmask_b32_e64 v35, v1, 0, s2
	v_cndmask_b32_e64 v36, v4, 0, s2
	v_mov_b32_e32 v4, 0
	v_mov_b32_e32 v5, 0
	global_inv scope:SCOPE_SE
	v_add_co_u32 v33, vcc_lo, v35, v43
	s_wait_alu 0xfffd
	v_add_co_ci_u32_e64 v34, null, 0, v36, vcc_lo
	s_delay_alu instid0(VALU_DEP_2) | instskip(SKIP_1) | instid1(VALU_DEP_2)
	v_add_co_u32 v31, vcc_lo, v33, v42
	s_wait_alu 0xfffd
	v_add_co_ci_u32_e64 v32, null, 0, v34, vcc_lo
	s_delay_alu instid0(VALU_DEP_2) | instskip(SKIP_1) | instid1(VALU_DEP_2)
	v_add_co_u32 v29, vcc_lo, v31, v41
	s_wait_alu 0xfffd
	v_add_co_ci_u32_e64 v30, null, 0, v32, vcc_lo
	s_delay_alu instid0(VALU_DEP_2) | instskip(SKIP_1) | instid1(VALU_DEP_2)
	v_add_co_u32 v27, vcc_lo, v29, v39
	s_wait_alu 0xfffd
	v_add_co_ci_u32_e64 v28, null, 0, v30, vcc_lo
	s_delay_alu instid0(VALU_DEP_2) | instskip(SKIP_1) | instid1(VALU_DEP_2)
	v_add_co_u32 v25, vcc_lo, v27, v46
	s_wait_alu 0xfffd
	v_add_co_ci_u32_e64 v26, null, 0, v28, vcc_lo
	s_delay_alu instid0(VALU_DEP_2) | instskip(SKIP_1) | instid1(VALU_DEP_2)
	v_add_co_u32 v6, vcc_lo, v25, v45
	s_wait_alu 0xfffd
	v_add_co_ci_u32_e64 v7, null, 0, v26, vcc_lo
	s_delay_alu instid0(VALU_DEP_2) | instskip(SKIP_1) | instid1(VALU_DEP_2)
	v_add_co_u32 v23, vcc_lo, v6, v44
	s_wait_alu 0xfffd
	v_add_co_ci_u32_e64 v24, null, 0, v7, vcc_lo
.LBB914_120:
	v_lshrrev_b32_e32 v40, 8, v19
	v_lshrrev_b32_e32 v37, 16, v19
	v_and_b32_e32 v19, 1, v19
	s_wait_dscnt 0x0
	v_cmp_gt_u64_e32 vcc_lo, 0xc1, v[2:3]
	v_lshrrev_b32_e32 v8, 8, v20
	v_lshrrev_b32_e32 v1, 16, v20
	s_mov_b32 s1, -1
	v_cmp_eq_u32_e64 s0, 1, v19
	s_cbranch_vccnz .LBB914_124
; %bb.121:
	s_wait_alu 0xfffe
	s_and_b32 vcc_lo, exec_lo, s1
	s_wait_alu 0xfffe
	s_cbranch_vccnz .LBB914_141
.LBB914_122:
	s_and_b32 s0, s2, s18
	s_wait_alu 0xfffe
	s_and_saveexec_b32 s1, s0
	s_cbranch_execnz .LBB914_161
.LBB914_123:
	s_endpgm
.LBB914_124:
	v_add_co_u32 v21, vcc_lo, v4, v2
	s_wait_alu 0xfffd
	v_add_co_ci_u32_e64 v22, null, v5, v3, vcc_lo
	v_lshlrev_b64_e32 v[41:42], 2, v[9:10]
	s_delay_alu instid0(VALU_DEP_2) | instskip(NEXT) | instid1(VALU_DEP_2)
	v_cmp_lt_u64_e32 vcc_lo, v[35:36], v[21:22]
	v_add_co_u32 v41, s1, s12, v41
	s_wait_alu 0xf1fe
	s_delay_alu instid0(VALU_DEP_3)
	v_add_co_ci_u32_e64 v42, null, s13, v42, s1
	s_or_b32 s1, s19, vcc_lo
	s_wait_alu 0xfffe
	s_and_b32 s1, s1, s0
	s_wait_alu 0xfffe
	s_and_saveexec_b32 s0, s1
	s_cbranch_execz .LBB914_126
; %bb.125:
	v_lshlrev_b64_e32 v[43:44], 2, v[35:36]
	s_delay_alu instid0(VALU_DEP_1) | instskip(SKIP_1) | instid1(VALU_DEP_2)
	v_add_co_u32 v43, vcc_lo, v41, v43
	s_wait_alu 0xfffd
	v_add_co_ci_u32_e64 v44, null, v42, v44, vcc_lo
	global_store_b32 v[43:44], v17, off
.LBB914_126:
	s_wait_alu 0xfffe
	s_or_b32 exec_lo, exec_lo, s0
	v_and_b32_e32 v36, 1, v40
	v_cmp_lt_u64_e32 vcc_lo, v[33:34], v[21:22]
	s_delay_alu instid0(VALU_DEP_2)
	v_cmp_eq_u32_e64 s0, 1, v36
	s_or_b32 s1, s19, vcc_lo
	s_wait_alu 0xfffe
	s_and_b32 s1, s1, s0
	s_wait_alu 0xfffe
	s_and_saveexec_b32 s0, s1
	s_cbranch_execz .LBB914_128
; %bb.127:
	v_lshlrev_b64_e32 v[43:44], 2, v[33:34]
	s_delay_alu instid0(VALU_DEP_1) | instskip(SKIP_1) | instid1(VALU_DEP_2)
	v_add_co_u32 v43, vcc_lo, v41, v43
	s_wait_alu 0xfffd
	v_add_co_ci_u32_e64 v44, null, v42, v44, vcc_lo
	global_store_b32 v[43:44], v18, off
.LBB914_128:
	s_wait_alu 0xfffe
	s_or_b32 exec_lo, exec_lo, s0
	v_and_b32_e32 v34, 1, v37
	v_cmp_lt_u64_e32 vcc_lo, v[31:32], v[21:22]
	s_delay_alu instid0(VALU_DEP_2)
	v_cmp_eq_u32_e64 s0, 1, v34
	s_or_b32 s1, s19, vcc_lo
	s_wait_alu 0xfffe
	s_and_b32 s1, s1, s0
	s_wait_alu 0xfffe
	s_and_saveexec_b32 s0, s1
	s_cbranch_execz .LBB914_130
; %bb.129:
	v_lshlrev_b64_e32 v[43:44], 2, v[31:32]
	s_delay_alu instid0(VALU_DEP_1) | instskip(SKIP_1) | instid1(VALU_DEP_2)
	v_add_co_u32 v43, vcc_lo, v41, v43
	s_wait_alu 0xfffd
	v_add_co_ci_u32_e64 v44, null, v42, v44, vcc_lo
	global_store_b32 v[43:44], v15, off
.LBB914_130:
	s_wait_alu 0xfffe
	s_or_b32 exec_lo, exec_lo, s0
	v_and_b32_e32 v32, 1, v39
	v_cmp_lt_u64_e32 vcc_lo, v[29:30], v[21:22]
	s_delay_alu instid0(VALU_DEP_2)
	v_cmp_eq_u32_e64 s0, 1, v32
	s_or_b32 s1, s19, vcc_lo
	s_wait_alu 0xfffe
	s_and_b32 s1, s1, s0
	s_wait_alu 0xfffe
	s_and_saveexec_b32 s0, s1
	s_cbranch_execz .LBB914_132
; %bb.131:
	v_lshlrev_b64_e32 v[43:44], 2, v[29:30]
	s_delay_alu instid0(VALU_DEP_1) | instskip(SKIP_1) | instid1(VALU_DEP_2)
	v_add_co_u32 v43, vcc_lo, v41, v43
	s_wait_alu 0xfffd
	v_add_co_ci_u32_e64 v44, null, v42, v44, vcc_lo
	global_store_b32 v[43:44], v16, off
.LBB914_132:
	s_wait_alu 0xfffe
	s_or_b32 exec_lo, exec_lo, s0
	v_and_b32_e32 v30, 1, v20
	v_cmp_lt_u64_e32 vcc_lo, v[27:28], v[21:22]
	s_delay_alu instid0(VALU_DEP_2)
	v_cmp_eq_u32_e64 s0, 1, v30
	s_or_b32 s1, s19, vcc_lo
	s_wait_alu 0xfffe
	s_and_b32 s1, s1, s0
	s_wait_alu 0xfffe
	s_and_saveexec_b32 s0, s1
	s_cbranch_execz .LBB914_134
; %bb.133:
	v_lshlrev_b64_e32 v[43:44], 2, v[27:28]
	s_delay_alu instid0(VALU_DEP_1) | instskip(SKIP_1) | instid1(VALU_DEP_2)
	v_add_co_u32 v43, vcc_lo, v41, v43
	s_wait_alu 0xfffd
	v_add_co_ci_u32_e64 v44, null, v42, v44, vcc_lo
	global_store_b32 v[43:44], v13, off
.LBB914_134:
	s_wait_alu 0xfffe
	s_or_b32 exec_lo, exec_lo, s0
	v_and_b32_e32 v28, 1, v8
	v_cmp_lt_u64_e32 vcc_lo, v[25:26], v[21:22]
	s_delay_alu instid0(VALU_DEP_2)
	v_cmp_eq_u32_e64 s0, 1, v28
	s_or_b32 s1, s19, vcc_lo
	s_wait_alu 0xfffe
	s_and_b32 s1, s1, s0
	s_wait_alu 0xfffe
	s_and_saveexec_b32 s0, s1
	s_cbranch_execz .LBB914_136
; %bb.135:
	v_lshlrev_b64_e32 v[43:44], 2, v[25:26]
	s_delay_alu instid0(VALU_DEP_1) | instskip(SKIP_1) | instid1(VALU_DEP_2)
	v_add_co_u32 v43, vcc_lo, v41, v43
	s_wait_alu 0xfffd
	v_add_co_ci_u32_e64 v44, null, v42, v44, vcc_lo
	global_store_b32 v[43:44], v14, off
.LBB914_136:
	s_wait_alu 0xfffe
	s_or_b32 exec_lo, exec_lo, s0
	v_and_b32_e32 v26, 1, v1
	v_cmp_lt_u64_e32 vcc_lo, v[6:7], v[21:22]
	s_delay_alu instid0(VALU_DEP_2)
	v_cmp_eq_u32_e64 s0, 1, v26
	s_or_b32 s1, s19, vcc_lo
	s_wait_alu 0xfffe
	s_and_b32 s1, s1, s0
	s_wait_alu 0xfffe
	s_and_saveexec_b32 s0, s1
	s_cbranch_execz .LBB914_138
; %bb.137:
	v_lshlrev_b64_e32 v[43:44], 2, v[6:7]
	s_delay_alu instid0(VALU_DEP_1) | instskip(SKIP_1) | instid1(VALU_DEP_2)
	v_add_co_u32 v43, vcc_lo, v41, v43
	s_wait_alu 0xfffd
	v_add_co_ci_u32_e64 v44, null, v42, v44, vcc_lo
	global_store_b32 v[43:44], v11, off
.LBB914_138:
	s_wait_alu 0xfffe
	s_or_b32 exec_lo, exec_lo, s0
	v_and_b32_e32 v7, 1, v38
	v_cmp_lt_u64_e32 vcc_lo, v[23:24], v[21:22]
	s_delay_alu instid0(VALU_DEP_2)
	v_cmp_eq_u32_e64 s0, 1, v7
	s_or_b32 s1, s19, vcc_lo
	s_wait_alu 0xfffe
	s_and_b32 s1, s1, s0
	s_wait_alu 0xfffe
	s_and_saveexec_b32 s0, s1
	s_cbranch_execz .LBB914_140
; %bb.139:
	v_lshlrev_b64_e32 v[21:22], 2, v[23:24]
	s_delay_alu instid0(VALU_DEP_1) | instskip(SKIP_1) | instid1(VALU_DEP_2)
	v_add_co_u32 v21, vcc_lo, v41, v21
	s_wait_alu 0xfffd
	v_add_co_ci_u32_e64 v22, null, v42, v22, vcc_lo
	global_store_b32 v[21:22], v12, off
.LBB914_140:
	s_wait_alu 0xfffe
	s_or_b32 exec_lo, exec_lo, s0
	s_branch .LBB914_122
.LBB914_141:
	s_mov_b32 s0, exec_lo
	v_cmpx_eq_u32_e32 1, v19
; %bb.142:
	v_sub_nc_u32_e32 v7, v35, v4
	s_delay_alu instid0(VALU_DEP_1)
	v_lshlrev_b32_e32 v7, 2, v7
	ds_store_b32 v7, v17
; %bb.143:
	s_wait_alu 0xfffe
	s_or_b32 exec_lo, exec_lo, s0
	v_and_b32_e32 v7, 1, v40
	s_mov_b32 s0, exec_lo
	s_delay_alu instid0(VALU_DEP_1)
	v_cmpx_eq_u32_e32 1, v7
; %bb.144:
	v_sub_nc_u32_e32 v7, v33, v4
	s_delay_alu instid0(VALU_DEP_1)
	v_lshlrev_b32_e32 v7, 2, v7
	ds_store_b32 v7, v18
; %bb.145:
	s_wait_alu 0xfffe
	s_or_b32 exec_lo, exec_lo, s0
	v_and_b32_e32 v7, 1, v37
	s_mov_b32 s0, exec_lo
	s_delay_alu instid0(VALU_DEP_1)
	;; [unrolled: 12-line block ×7, first 2 shown]
	v_cmpx_eq_u32_e32 1, v1
; %bb.156:
	v_sub_nc_u32_e32 v1, v23, v4
	s_delay_alu instid0(VALU_DEP_1)
	v_lshlrev_b32_e32 v1, 2, v1
	ds_store_b32 v1, v12
; %bb.157:
	s_wait_alu 0xfffe
	s_or_b32 exec_lo, exec_lo, s0
	v_mov_b32_e32 v1, 0
	s_mov_b32 s1, exec_lo
	s_wait_storecnt 0x0
	s_wait_loadcnt_dscnt 0x0
	s_barrier_signal -1
	s_barrier_wait -1
	global_inv scope:SCOPE_SE
	v_cmpx_gt_u64_e64 v[2:3], v[0:1]
	s_cbranch_execz .LBB914_160
; %bb.158:
	v_lshlrev_b64_e32 v[6:7], 2, v[4:5]
	v_lshlrev_b64_e32 v[11:12], 2, v[9:10]
	s_mov_b32 s3, 0
	s_delay_alu instid0(VALU_DEP_2) | instskip(SKIP_1) | instid1(VALU_DEP_3)
	v_add_co_u32 v8, vcc_lo, s12, v6
	s_wait_alu 0xfffd
	v_add_co_ci_u32_e64 v13, null, s13, v7, vcc_lo
	v_dual_mov_b32 v7, v1 :: v_dual_mov_b32 v6, v0
	s_delay_alu instid0(VALU_DEP_3) | instskip(SKIP_1) | instid1(VALU_DEP_3)
	v_add_co_u32 v8, vcc_lo, v8, v11
	s_wait_alu 0xfffd
	v_add_co_ci_u32_e64 v11, null, v13, v12, vcc_lo
	v_add_nc_u32_e32 v0, 0xc0, v0
.LBB914_159:                            ; =>This Inner Loop Header: Depth=1
	v_lshlrev_b32_e32 v12, 2, v6
	s_delay_alu instid0(VALU_DEP_2)
	v_cmp_le_u64_e32 vcc_lo, v[2:3], v[0:1]
	ds_load_b32 v14, v12
	v_lshlrev_b64_e32 v[12:13], 2, v[6:7]
	v_dual_mov_b32 v7, v1 :: v_dual_mov_b32 v6, v0
	v_add_nc_u32_e32 v0, 0xc0, v0
	s_wait_alu 0xfffe
	s_or_b32 s3, vcc_lo, s3
	s_delay_alu instid0(VALU_DEP_3)
	v_add_co_u32 v12, s0, v8, v12
	s_wait_alu 0xf1ff
	v_add_co_ci_u32_e64 v13, null, v11, v13, s0
	s_wait_dscnt 0x0
	global_store_b32 v[12:13], v14, off
	s_wait_alu 0xfffe
	s_and_not1_b32 exec_lo, exec_lo, s3
	s_cbranch_execnz .LBB914_159
.LBB914_160:
	s_wait_alu 0xfffe
	s_or_b32 exec_lo, exec_lo, s1
	s_and_b32 s0, s2, s18
	s_wait_alu 0xfffe
	s_and_saveexec_b32 s1, s0
	s_cbranch_execz .LBB914_123
.LBB914_161:
	v_add_co_u32 v0, vcc_lo, v4, v2
	s_wait_alu 0xfffd
	v_add_co_ci_u32_e64 v1, null, v5, v3, vcc_lo
	v_mov_b32_e32 v2, 0
	s_delay_alu instid0(VALU_DEP_3) | instskip(SKIP_1) | instid1(VALU_DEP_3)
	v_add_co_u32 v0, vcc_lo, v0, v9
	s_wait_alu 0xfffd
	v_add_co_ci_u32_e64 v1, null, v1, v10, vcc_lo
	global_store_b64 v2, v[0:1], s[4:5]
	s_endpgm
.LBB914_162:
	v_add_co_u32 v13, s1, s10, v25
	s_wait_alu 0xf1ff
	v_add_co_ci_u32_e64 v14, null, s11, 0, s1
	flat_load_b32 v2, v[13:14] offset:768
	s_wait_alu 0xfffe
	s_or_b32 exec_lo, exec_lo, s0
	s_delay_alu instid0(SALU_CYCLE_1)
	s_mov_b32 s0, exec_lo
	v_cmpx_gt_u32_e64 s3, v24
	s_cbranch_execz .LBB914_11
.LBB914_163:
	v_add_co_u32 v13, s1, s10, v25
	s_wait_alu 0xf1ff
	v_add_co_ci_u32_e64 v14, null, s11, 0, s1
	flat_load_b32 v3, v[13:14] offset:1536
	s_wait_alu 0xfffe
	s_or_b32 exec_lo, exec_lo, s0
	s_delay_alu instid0(SALU_CYCLE_1)
	s_mov_b32 s0, exec_lo
	v_cmpx_gt_u32_e64 s3, v23
	s_cbranch_execz .LBB914_12
.LBB914_164:
	v_add_co_u32 v13, s1, s10, v25
	s_wait_alu 0xf1ff
	v_add_co_ci_u32_e64 v14, null, s11, 0, s1
	flat_load_b32 v4, v[13:14] offset:2304
	s_wait_alu 0xfffe
	s_or_b32 exec_lo, exec_lo, s0
	s_delay_alu instid0(SALU_CYCLE_1)
	s_mov_b32 s0, exec_lo
	v_cmpx_gt_u32_e64 s3, v22
	s_cbranch_execz .LBB914_13
.LBB914_165:
	v_add_co_u32 v13, s1, s10, v25
	s_wait_alu 0xf1ff
	v_add_co_ci_u32_e64 v14, null, s11, 0, s1
	flat_load_b32 v5, v[13:14] offset:3072
	s_wait_alu 0xfffe
	s_or_b32 exec_lo, exec_lo, s0
	s_delay_alu instid0(SALU_CYCLE_1)
	s_mov_b32 s0, exec_lo
	v_cmpx_gt_u32_e64 s3, v21
	s_cbranch_execz .LBB914_14
.LBB914_166:
	v_add_co_u32 v13, s1, s10, v25
	s_wait_alu 0xf1ff
	v_add_co_ci_u32_e64 v14, null, s11, 0, s1
	flat_load_b32 v6, v[13:14] offset:3840
	s_wait_alu 0xfffe
	s_or_b32 exec_lo, exec_lo, s0
	s_delay_alu instid0(SALU_CYCLE_1)
	s_mov_b32 s0, exec_lo
	v_cmpx_gt_u32_e64 s3, v20
	s_cbranch_execz .LBB914_15
.LBB914_167:
	v_add_co_u32 v13, s1, s10, v25
	s_wait_alu 0xf1ff
	v_add_co_ci_u32_e64 v14, null, s11, 0, s1
	flat_load_b32 v7, v[13:14] offset:4608
	s_wait_alu 0xfffe
	s_or_b32 exec_lo, exec_lo, s0
	s_delay_alu instid0(SALU_CYCLE_1)
	s_mov_b32 s0, exec_lo
	v_cmpx_gt_u32_e64 s3, v19
	s_cbranch_execnz .LBB914_16
	s_branch .LBB914_17
.LBB914_168:
	global_load_b32 v6, v25, s[0:1] offset:768
	v_and_b32_e32 v7, 0xff, v2
	s_wait_loadcnt 0x0
	v_cmp_eq_u32_e32 vcc_lo, 0, v6
	s_wait_alu 0xfffd
	v_cndmask_b32_e64 v6, 0, 1, vcc_lo
	s_delay_alu instid0(VALU_DEP_1) | instskip(NEXT) | instid1(VALU_DEP_1)
	v_lshlrev_b16 v6, 8, v6
	v_or_b32_e32 v6, v7, v6
	s_delay_alu instid0(VALU_DEP_1) | instskip(NEXT) | instid1(VALU_DEP_1)
	v_and_b32_e32 v6, 0xffff, v6
	v_and_or_b32 v2, 0xffff0000, v2, v6
	s_wait_alu 0xfffe
	s_or_b32 exec_lo, exec_lo, s6
	s_delay_alu instid0(SALU_CYCLE_1)
	s_mov_b32 s6, exec_lo
	v_cmpx_gt_u32_e64 s3, v24
	s_cbranch_execz .LBB914_25
.LBB914_169:
	global_load_b32 v6, v25, s[0:1] offset:1536
	v_lshrrev_b32_e32 v7, 16, v2
	s_delay_alu instid0(VALU_DEP_1) | instskip(SKIP_4) | instid1(VALU_DEP_1)
	v_and_b32_e32 v7, 0xffffff00, v7
	s_wait_loadcnt 0x0
	v_cmp_eq_u32_e32 vcc_lo, 0, v6
	s_wait_alu 0xfffd
	v_cndmask_b32_e64 v6, 0, 1, vcc_lo
	v_or_b32_e32 v6, v6, v7
	s_delay_alu instid0(VALU_DEP_1) | instskip(NEXT) | instid1(VALU_DEP_1)
	v_lshlrev_b32_e32 v6, 16, v6
	v_and_or_b32 v2, 0xffff, v2, v6
	s_wait_alu 0xfffe
	s_or_b32 exec_lo, exec_lo, s6
	s_delay_alu instid0(SALU_CYCLE_1)
	s_mov_b32 s6, exec_lo
	v_cmpx_gt_u32_e64 s3, v23
	s_cbranch_execz .LBB914_26
.LBB914_170:
	global_load_b32 v6, v25, s[0:1] offset:2304
	v_lshrrev_b32_e32 v7, 16, v2
	s_delay_alu instid0(VALU_DEP_1) | instskip(SKIP_4) | instid1(VALU_DEP_1)
	v_and_b32_e32 v7, 0xff, v7
	s_wait_loadcnt 0x0
	v_cmp_eq_u32_e32 vcc_lo, 0, v6
	s_wait_alu 0xfffd
	v_cndmask_b32_e64 v6, 0, 1, vcc_lo
	v_lshlrev_b16 v6, 8, v6
	s_delay_alu instid0(VALU_DEP_1) | instskip(NEXT) | instid1(VALU_DEP_1)
	v_or_b32_e32 v6, v7, v6
	v_lshlrev_b32_e32 v6, 16, v6
	s_delay_alu instid0(VALU_DEP_1) | instskip(SKIP_2) | instid1(SALU_CYCLE_1)
	v_and_or_b32 v2, 0xffff, v2, v6
	s_wait_alu 0xfffe
	s_or_b32 exec_lo, exec_lo, s6
	s_mov_b32 s6, exec_lo
	v_cmpx_gt_u32_e64 s3, v22
	s_cbranch_execz .LBB914_27
.LBB914_171:
	global_load_b32 v6, v25, s[0:1] offset:3072
	v_and_b32_e32 v7, 0xffffff00, v3
	s_wait_loadcnt 0x0
	v_cmp_eq_u32_e32 vcc_lo, 0, v6
	s_wait_alu 0xfffd
	v_cndmask_b32_e64 v6, 0, 1, vcc_lo
	s_delay_alu instid0(VALU_DEP_1) | instskip(NEXT) | instid1(VALU_DEP_1)
	v_or_b32_e32 v6, v6, v7
	v_and_b32_e32 v6, 0xffff, v6
	s_delay_alu instid0(VALU_DEP_1) | instskip(SKIP_2) | instid1(SALU_CYCLE_1)
	v_and_or_b32 v3, 0xffff0000, v3, v6
	s_wait_alu 0xfffe
	s_or_b32 exec_lo, exec_lo, s6
	s_mov_b32 s6, exec_lo
	v_cmpx_gt_u32_e64 s3, v21
	s_cbranch_execz .LBB914_28
.LBB914_172:
	global_load_b32 v6, v25, s[0:1] offset:3840
	v_and_b32_e32 v7, 0xff, v3
	s_wait_loadcnt 0x0
	v_cmp_eq_u32_e32 vcc_lo, 0, v6
	s_wait_alu 0xfffd
	v_cndmask_b32_e64 v6, 0, 1, vcc_lo
	s_delay_alu instid0(VALU_DEP_1) | instskip(NEXT) | instid1(VALU_DEP_1)
	v_lshlrev_b16 v6, 8, v6
	v_or_b32_e32 v6, v7, v6
	s_delay_alu instid0(VALU_DEP_1) | instskip(NEXT) | instid1(VALU_DEP_1)
	v_and_b32_e32 v6, 0xffff, v6
	v_and_or_b32 v3, 0xffff0000, v3, v6
	s_wait_alu 0xfffe
	s_or_b32 exec_lo, exec_lo, s6
	s_delay_alu instid0(SALU_CYCLE_1)
	s_mov_b32 s6, exec_lo
	v_cmpx_gt_u32_e64 s3, v20
	s_cbranch_execz .LBB914_29
.LBB914_173:
	global_load_b32 v6, v25, s[0:1] offset:4608
	v_lshrrev_b32_e32 v7, 16, v3
	s_delay_alu instid0(VALU_DEP_1) | instskip(SKIP_4) | instid1(VALU_DEP_1)
	v_and_b32_e32 v7, 0xffffff00, v7
	s_wait_loadcnt 0x0
	v_cmp_eq_u32_e32 vcc_lo, 0, v6
	s_wait_alu 0xfffd
	v_cndmask_b32_e64 v6, 0, 1, vcc_lo
	v_or_b32_e32 v6, v6, v7
	s_delay_alu instid0(VALU_DEP_1) | instskip(NEXT) | instid1(VALU_DEP_1)
	v_lshlrev_b32_e32 v6, 16, v6
	v_and_or_b32 v3, 0xffff, v3, v6
	s_wait_alu 0xfffe
	s_or_b32 exec_lo, exec_lo, s6
	v_cmp_gt_u32_e32 vcc_lo, s3, v19
	s_and_saveexec_b32 s3, vcc_lo
	s_cbranch_execnz .LBB914_30
	s_branch .LBB914_31
	.section	.rodata,"a",@progbits
	.p2align	6, 0x0
	.amdhsa_kernel _ZN7rocprim17ROCPRIM_400000_NS6detail17trampoline_kernelINS0_14default_configENS1_25partition_config_selectorILNS1_17partition_subalgoE5EjNS0_10empty_typeEbEEZZNS1_14partition_implILS5_5ELb0ES3_mN6thrust23THRUST_200600_302600_NS6detail15normal_iteratorINSA_10device_ptrIjEEEEPS6_NSA_18transform_iteratorINSB_9not_fun_tINSA_8identityIjEEEESF_NSA_11use_defaultESM_EENS0_5tupleIJSF_S6_EEENSO_IJSG_SG_EEES6_PlJS6_EEE10hipError_tPvRmT3_T4_T5_T6_T7_T9_mT8_P12ihipStream_tbDpT10_ENKUlT_T0_E_clISt17integral_constantIbLb0EES1A_IbLb1EEEEDaS16_S17_EUlS16_E_NS1_11comp_targetILNS1_3genE10ELNS1_11target_archE1200ELNS1_3gpuE4ELNS1_3repE0EEENS1_30default_config_static_selectorELNS0_4arch9wavefront6targetE0EEEvT1_
		.amdhsa_group_segment_fixed_size 6352
		.amdhsa_private_segment_fixed_size 0
		.amdhsa_kernarg_size 136
		.amdhsa_user_sgpr_count 2
		.amdhsa_user_sgpr_dispatch_ptr 0
		.amdhsa_user_sgpr_queue_ptr 0
		.amdhsa_user_sgpr_kernarg_segment_ptr 1
		.amdhsa_user_sgpr_dispatch_id 0
		.amdhsa_user_sgpr_private_segment_size 0
		.amdhsa_wavefront_size32 1
		.amdhsa_uses_dynamic_stack 0
		.amdhsa_enable_private_segment 0
		.amdhsa_system_sgpr_workgroup_id_x 1
		.amdhsa_system_sgpr_workgroup_id_y 0
		.amdhsa_system_sgpr_workgroup_id_z 0
		.amdhsa_system_sgpr_workgroup_info 0
		.amdhsa_system_vgpr_workitem_id 0
		.amdhsa_next_free_vgpr 54
		.amdhsa_next_free_sgpr 24
		.amdhsa_reserve_vcc 1
		.amdhsa_float_round_mode_32 0
		.amdhsa_float_round_mode_16_64 0
		.amdhsa_float_denorm_mode_32 3
		.amdhsa_float_denorm_mode_16_64 3
		.amdhsa_fp16_overflow 0
		.amdhsa_workgroup_processor_mode 1
		.amdhsa_memory_ordered 1
		.amdhsa_forward_progress 1
		.amdhsa_inst_pref_size 75
		.amdhsa_round_robin_scheduling 0
		.amdhsa_exception_fp_ieee_invalid_op 0
		.amdhsa_exception_fp_denorm_src 0
		.amdhsa_exception_fp_ieee_div_zero 0
		.amdhsa_exception_fp_ieee_overflow 0
		.amdhsa_exception_fp_ieee_underflow 0
		.amdhsa_exception_fp_ieee_inexact 0
		.amdhsa_exception_int_div_zero 0
	.end_amdhsa_kernel
	.section	.text._ZN7rocprim17ROCPRIM_400000_NS6detail17trampoline_kernelINS0_14default_configENS1_25partition_config_selectorILNS1_17partition_subalgoE5EjNS0_10empty_typeEbEEZZNS1_14partition_implILS5_5ELb0ES3_mN6thrust23THRUST_200600_302600_NS6detail15normal_iteratorINSA_10device_ptrIjEEEEPS6_NSA_18transform_iteratorINSB_9not_fun_tINSA_8identityIjEEEESF_NSA_11use_defaultESM_EENS0_5tupleIJSF_S6_EEENSO_IJSG_SG_EEES6_PlJS6_EEE10hipError_tPvRmT3_T4_T5_T6_T7_T9_mT8_P12ihipStream_tbDpT10_ENKUlT_T0_E_clISt17integral_constantIbLb0EES1A_IbLb1EEEEDaS16_S17_EUlS16_E_NS1_11comp_targetILNS1_3genE10ELNS1_11target_archE1200ELNS1_3gpuE4ELNS1_3repE0EEENS1_30default_config_static_selectorELNS0_4arch9wavefront6targetE0EEEvT1_,"axG",@progbits,_ZN7rocprim17ROCPRIM_400000_NS6detail17trampoline_kernelINS0_14default_configENS1_25partition_config_selectorILNS1_17partition_subalgoE5EjNS0_10empty_typeEbEEZZNS1_14partition_implILS5_5ELb0ES3_mN6thrust23THRUST_200600_302600_NS6detail15normal_iteratorINSA_10device_ptrIjEEEEPS6_NSA_18transform_iteratorINSB_9not_fun_tINSA_8identityIjEEEESF_NSA_11use_defaultESM_EENS0_5tupleIJSF_S6_EEENSO_IJSG_SG_EEES6_PlJS6_EEE10hipError_tPvRmT3_T4_T5_T6_T7_T9_mT8_P12ihipStream_tbDpT10_ENKUlT_T0_E_clISt17integral_constantIbLb0EES1A_IbLb1EEEEDaS16_S17_EUlS16_E_NS1_11comp_targetILNS1_3genE10ELNS1_11target_archE1200ELNS1_3gpuE4ELNS1_3repE0EEENS1_30default_config_static_selectorELNS0_4arch9wavefront6targetE0EEEvT1_,comdat
.Lfunc_end914:
	.size	_ZN7rocprim17ROCPRIM_400000_NS6detail17trampoline_kernelINS0_14default_configENS1_25partition_config_selectorILNS1_17partition_subalgoE5EjNS0_10empty_typeEbEEZZNS1_14partition_implILS5_5ELb0ES3_mN6thrust23THRUST_200600_302600_NS6detail15normal_iteratorINSA_10device_ptrIjEEEEPS6_NSA_18transform_iteratorINSB_9not_fun_tINSA_8identityIjEEEESF_NSA_11use_defaultESM_EENS0_5tupleIJSF_S6_EEENSO_IJSG_SG_EEES6_PlJS6_EEE10hipError_tPvRmT3_T4_T5_T6_T7_T9_mT8_P12ihipStream_tbDpT10_ENKUlT_T0_E_clISt17integral_constantIbLb0EES1A_IbLb1EEEEDaS16_S17_EUlS16_E_NS1_11comp_targetILNS1_3genE10ELNS1_11target_archE1200ELNS1_3gpuE4ELNS1_3repE0EEENS1_30default_config_static_selectorELNS0_4arch9wavefront6targetE0EEEvT1_, .Lfunc_end914-_ZN7rocprim17ROCPRIM_400000_NS6detail17trampoline_kernelINS0_14default_configENS1_25partition_config_selectorILNS1_17partition_subalgoE5EjNS0_10empty_typeEbEEZZNS1_14partition_implILS5_5ELb0ES3_mN6thrust23THRUST_200600_302600_NS6detail15normal_iteratorINSA_10device_ptrIjEEEEPS6_NSA_18transform_iteratorINSB_9not_fun_tINSA_8identityIjEEEESF_NSA_11use_defaultESM_EENS0_5tupleIJSF_S6_EEENSO_IJSG_SG_EEES6_PlJS6_EEE10hipError_tPvRmT3_T4_T5_T6_T7_T9_mT8_P12ihipStream_tbDpT10_ENKUlT_T0_E_clISt17integral_constantIbLb0EES1A_IbLb1EEEEDaS16_S17_EUlS16_E_NS1_11comp_targetILNS1_3genE10ELNS1_11target_archE1200ELNS1_3gpuE4ELNS1_3repE0EEENS1_30default_config_static_selectorELNS0_4arch9wavefront6targetE0EEEvT1_
                                        ; -- End function
	.set _ZN7rocprim17ROCPRIM_400000_NS6detail17trampoline_kernelINS0_14default_configENS1_25partition_config_selectorILNS1_17partition_subalgoE5EjNS0_10empty_typeEbEEZZNS1_14partition_implILS5_5ELb0ES3_mN6thrust23THRUST_200600_302600_NS6detail15normal_iteratorINSA_10device_ptrIjEEEEPS6_NSA_18transform_iteratorINSB_9not_fun_tINSA_8identityIjEEEESF_NSA_11use_defaultESM_EENS0_5tupleIJSF_S6_EEENSO_IJSG_SG_EEES6_PlJS6_EEE10hipError_tPvRmT3_T4_T5_T6_T7_T9_mT8_P12ihipStream_tbDpT10_ENKUlT_T0_E_clISt17integral_constantIbLb0EES1A_IbLb1EEEEDaS16_S17_EUlS16_E_NS1_11comp_targetILNS1_3genE10ELNS1_11target_archE1200ELNS1_3gpuE4ELNS1_3repE0EEENS1_30default_config_static_selectorELNS0_4arch9wavefront6targetE0EEEvT1_.num_vgpr, 54
	.set _ZN7rocprim17ROCPRIM_400000_NS6detail17trampoline_kernelINS0_14default_configENS1_25partition_config_selectorILNS1_17partition_subalgoE5EjNS0_10empty_typeEbEEZZNS1_14partition_implILS5_5ELb0ES3_mN6thrust23THRUST_200600_302600_NS6detail15normal_iteratorINSA_10device_ptrIjEEEEPS6_NSA_18transform_iteratorINSB_9not_fun_tINSA_8identityIjEEEESF_NSA_11use_defaultESM_EENS0_5tupleIJSF_S6_EEENSO_IJSG_SG_EEES6_PlJS6_EEE10hipError_tPvRmT3_T4_T5_T6_T7_T9_mT8_P12ihipStream_tbDpT10_ENKUlT_T0_E_clISt17integral_constantIbLb0EES1A_IbLb1EEEEDaS16_S17_EUlS16_E_NS1_11comp_targetILNS1_3genE10ELNS1_11target_archE1200ELNS1_3gpuE4ELNS1_3repE0EEENS1_30default_config_static_selectorELNS0_4arch9wavefront6targetE0EEEvT1_.num_agpr, 0
	.set _ZN7rocprim17ROCPRIM_400000_NS6detail17trampoline_kernelINS0_14default_configENS1_25partition_config_selectorILNS1_17partition_subalgoE5EjNS0_10empty_typeEbEEZZNS1_14partition_implILS5_5ELb0ES3_mN6thrust23THRUST_200600_302600_NS6detail15normal_iteratorINSA_10device_ptrIjEEEEPS6_NSA_18transform_iteratorINSB_9not_fun_tINSA_8identityIjEEEESF_NSA_11use_defaultESM_EENS0_5tupleIJSF_S6_EEENSO_IJSG_SG_EEES6_PlJS6_EEE10hipError_tPvRmT3_T4_T5_T6_T7_T9_mT8_P12ihipStream_tbDpT10_ENKUlT_T0_E_clISt17integral_constantIbLb0EES1A_IbLb1EEEEDaS16_S17_EUlS16_E_NS1_11comp_targetILNS1_3genE10ELNS1_11target_archE1200ELNS1_3gpuE4ELNS1_3repE0EEENS1_30default_config_static_selectorELNS0_4arch9wavefront6targetE0EEEvT1_.numbered_sgpr, 24
	.set _ZN7rocprim17ROCPRIM_400000_NS6detail17trampoline_kernelINS0_14default_configENS1_25partition_config_selectorILNS1_17partition_subalgoE5EjNS0_10empty_typeEbEEZZNS1_14partition_implILS5_5ELb0ES3_mN6thrust23THRUST_200600_302600_NS6detail15normal_iteratorINSA_10device_ptrIjEEEEPS6_NSA_18transform_iteratorINSB_9not_fun_tINSA_8identityIjEEEESF_NSA_11use_defaultESM_EENS0_5tupleIJSF_S6_EEENSO_IJSG_SG_EEES6_PlJS6_EEE10hipError_tPvRmT3_T4_T5_T6_T7_T9_mT8_P12ihipStream_tbDpT10_ENKUlT_T0_E_clISt17integral_constantIbLb0EES1A_IbLb1EEEEDaS16_S17_EUlS16_E_NS1_11comp_targetILNS1_3genE10ELNS1_11target_archE1200ELNS1_3gpuE4ELNS1_3repE0EEENS1_30default_config_static_selectorELNS0_4arch9wavefront6targetE0EEEvT1_.num_named_barrier, 0
	.set _ZN7rocprim17ROCPRIM_400000_NS6detail17trampoline_kernelINS0_14default_configENS1_25partition_config_selectorILNS1_17partition_subalgoE5EjNS0_10empty_typeEbEEZZNS1_14partition_implILS5_5ELb0ES3_mN6thrust23THRUST_200600_302600_NS6detail15normal_iteratorINSA_10device_ptrIjEEEEPS6_NSA_18transform_iteratorINSB_9not_fun_tINSA_8identityIjEEEESF_NSA_11use_defaultESM_EENS0_5tupleIJSF_S6_EEENSO_IJSG_SG_EEES6_PlJS6_EEE10hipError_tPvRmT3_T4_T5_T6_T7_T9_mT8_P12ihipStream_tbDpT10_ENKUlT_T0_E_clISt17integral_constantIbLb0EES1A_IbLb1EEEEDaS16_S17_EUlS16_E_NS1_11comp_targetILNS1_3genE10ELNS1_11target_archE1200ELNS1_3gpuE4ELNS1_3repE0EEENS1_30default_config_static_selectorELNS0_4arch9wavefront6targetE0EEEvT1_.private_seg_size, 0
	.set _ZN7rocprim17ROCPRIM_400000_NS6detail17trampoline_kernelINS0_14default_configENS1_25partition_config_selectorILNS1_17partition_subalgoE5EjNS0_10empty_typeEbEEZZNS1_14partition_implILS5_5ELb0ES3_mN6thrust23THRUST_200600_302600_NS6detail15normal_iteratorINSA_10device_ptrIjEEEEPS6_NSA_18transform_iteratorINSB_9not_fun_tINSA_8identityIjEEEESF_NSA_11use_defaultESM_EENS0_5tupleIJSF_S6_EEENSO_IJSG_SG_EEES6_PlJS6_EEE10hipError_tPvRmT3_T4_T5_T6_T7_T9_mT8_P12ihipStream_tbDpT10_ENKUlT_T0_E_clISt17integral_constantIbLb0EES1A_IbLb1EEEEDaS16_S17_EUlS16_E_NS1_11comp_targetILNS1_3genE10ELNS1_11target_archE1200ELNS1_3gpuE4ELNS1_3repE0EEENS1_30default_config_static_selectorELNS0_4arch9wavefront6targetE0EEEvT1_.uses_vcc, 1
	.set _ZN7rocprim17ROCPRIM_400000_NS6detail17trampoline_kernelINS0_14default_configENS1_25partition_config_selectorILNS1_17partition_subalgoE5EjNS0_10empty_typeEbEEZZNS1_14partition_implILS5_5ELb0ES3_mN6thrust23THRUST_200600_302600_NS6detail15normal_iteratorINSA_10device_ptrIjEEEEPS6_NSA_18transform_iteratorINSB_9not_fun_tINSA_8identityIjEEEESF_NSA_11use_defaultESM_EENS0_5tupleIJSF_S6_EEENSO_IJSG_SG_EEES6_PlJS6_EEE10hipError_tPvRmT3_T4_T5_T6_T7_T9_mT8_P12ihipStream_tbDpT10_ENKUlT_T0_E_clISt17integral_constantIbLb0EES1A_IbLb1EEEEDaS16_S17_EUlS16_E_NS1_11comp_targetILNS1_3genE10ELNS1_11target_archE1200ELNS1_3gpuE4ELNS1_3repE0EEENS1_30default_config_static_selectorELNS0_4arch9wavefront6targetE0EEEvT1_.uses_flat_scratch, 1
	.set _ZN7rocprim17ROCPRIM_400000_NS6detail17trampoline_kernelINS0_14default_configENS1_25partition_config_selectorILNS1_17partition_subalgoE5EjNS0_10empty_typeEbEEZZNS1_14partition_implILS5_5ELb0ES3_mN6thrust23THRUST_200600_302600_NS6detail15normal_iteratorINSA_10device_ptrIjEEEEPS6_NSA_18transform_iteratorINSB_9not_fun_tINSA_8identityIjEEEESF_NSA_11use_defaultESM_EENS0_5tupleIJSF_S6_EEENSO_IJSG_SG_EEES6_PlJS6_EEE10hipError_tPvRmT3_T4_T5_T6_T7_T9_mT8_P12ihipStream_tbDpT10_ENKUlT_T0_E_clISt17integral_constantIbLb0EES1A_IbLb1EEEEDaS16_S17_EUlS16_E_NS1_11comp_targetILNS1_3genE10ELNS1_11target_archE1200ELNS1_3gpuE4ELNS1_3repE0EEENS1_30default_config_static_selectorELNS0_4arch9wavefront6targetE0EEEvT1_.has_dyn_sized_stack, 0
	.set _ZN7rocprim17ROCPRIM_400000_NS6detail17trampoline_kernelINS0_14default_configENS1_25partition_config_selectorILNS1_17partition_subalgoE5EjNS0_10empty_typeEbEEZZNS1_14partition_implILS5_5ELb0ES3_mN6thrust23THRUST_200600_302600_NS6detail15normal_iteratorINSA_10device_ptrIjEEEEPS6_NSA_18transform_iteratorINSB_9not_fun_tINSA_8identityIjEEEESF_NSA_11use_defaultESM_EENS0_5tupleIJSF_S6_EEENSO_IJSG_SG_EEES6_PlJS6_EEE10hipError_tPvRmT3_T4_T5_T6_T7_T9_mT8_P12ihipStream_tbDpT10_ENKUlT_T0_E_clISt17integral_constantIbLb0EES1A_IbLb1EEEEDaS16_S17_EUlS16_E_NS1_11comp_targetILNS1_3genE10ELNS1_11target_archE1200ELNS1_3gpuE4ELNS1_3repE0EEENS1_30default_config_static_selectorELNS0_4arch9wavefront6targetE0EEEvT1_.has_recursion, 0
	.set _ZN7rocprim17ROCPRIM_400000_NS6detail17trampoline_kernelINS0_14default_configENS1_25partition_config_selectorILNS1_17partition_subalgoE5EjNS0_10empty_typeEbEEZZNS1_14partition_implILS5_5ELb0ES3_mN6thrust23THRUST_200600_302600_NS6detail15normal_iteratorINSA_10device_ptrIjEEEEPS6_NSA_18transform_iteratorINSB_9not_fun_tINSA_8identityIjEEEESF_NSA_11use_defaultESM_EENS0_5tupleIJSF_S6_EEENSO_IJSG_SG_EEES6_PlJS6_EEE10hipError_tPvRmT3_T4_T5_T6_T7_T9_mT8_P12ihipStream_tbDpT10_ENKUlT_T0_E_clISt17integral_constantIbLb0EES1A_IbLb1EEEEDaS16_S17_EUlS16_E_NS1_11comp_targetILNS1_3genE10ELNS1_11target_archE1200ELNS1_3gpuE4ELNS1_3repE0EEENS1_30default_config_static_selectorELNS0_4arch9wavefront6targetE0EEEvT1_.has_indirect_call, 0
	.section	.AMDGPU.csdata,"",@progbits
; Kernel info:
; codeLenInByte = 9576
; TotalNumSgprs: 26
; NumVgprs: 54
; ScratchSize: 0
; MemoryBound: 0
; FloatMode: 240
; IeeeMode: 1
; LDSByteSize: 6352 bytes/workgroup (compile time only)
; SGPRBlocks: 0
; VGPRBlocks: 6
; NumSGPRsForWavesPerEU: 26
; NumVGPRsForWavesPerEU: 54
; Occupancy: 15
; WaveLimiterHint : 1
; COMPUTE_PGM_RSRC2:SCRATCH_EN: 0
; COMPUTE_PGM_RSRC2:USER_SGPR: 2
; COMPUTE_PGM_RSRC2:TRAP_HANDLER: 0
; COMPUTE_PGM_RSRC2:TGID_X_EN: 1
; COMPUTE_PGM_RSRC2:TGID_Y_EN: 0
; COMPUTE_PGM_RSRC2:TGID_Z_EN: 0
; COMPUTE_PGM_RSRC2:TIDIG_COMP_CNT: 0
	.section	.text._ZN7rocprim17ROCPRIM_400000_NS6detail17trampoline_kernelINS0_14default_configENS1_25partition_config_selectorILNS1_17partition_subalgoE5EjNS0_10empty_typeEbEEZZNS1_14partition_implILS5_5ELb0ES3_mN6thrust23THRUST_200600_302600_NS6detail15normal_iteratorINSA_10device_ptrIjEEEEPS6_NSA_18transform_iteratorINSB_9not_fun_tINSA_8identityIjEEEESF_NSA_11use_defaultESM_EENS0_5tupleIJSF_S6_EEENSO_IJSG_SG_EEES6_PlJS6_EEE10hipError_tPvRmT3_T4_T5_T6_T7_T9_mT8_P12ihipStream_tbDpT10_ENKUlT_T0_E_clISt17integral_constantIbLb0EES1A_IbLb1EEEEDaS16_S17_EUlS16_E_NS1_11comp_targetILNS1_3genE9ELNS1_11target_archE1100ELNS1_3gpuE3ELNS1_3repE0EEENS1_30default_config_static_selectorELNS0_4arch9wavefront6targetE0EEEvT1_,"axG",@progbits,_ZN7rocprim17ROCPRIM_400000_NS6detail17trampoline_kernelINS0_14default_configENS1_25partition_config_selectorILNS1_17partition_subalgoE5EjNS0_10empty_typeEbEEZZNS1_14partition_implILS5_5ELb0ES3_mN6thrust23THRUST_200600_302600_NS6detail15normal_iteratorINSA_10device_ptrIjEEEEPS6_NSA_18transform_iteratorINSB_9not_fun_tINSA_8identityIjEEEESF_NSA_11use_defaultESM_EENS0_5tupleIJSF_S6_EEENSO_IJSG_SG_EEES6_PlJS6_EEE10hipError_tPvRmT3_T4_T5_T6_T7_T9_mT8_P12ihipStream_tbDpT10_ENKUlT_T0_E_clISt17integral_constantIbLb0EES1A_IbLb1EEEEDaS16_S17_EUlS16_E_NS1_11comp_targetILNS1_3genE9ELNS1_11target_archE1100ELNS1_3gpuE3ELNS1_3repE0EEENS1_30default_config_static_selectorELNS0_4arch9wavefront6targetE0EEEvT1_,comdat
	.protected	_ZN7rocprim17ROCPRIM_400000_NS6detail17trampoline_kernelINS0_14default_configENS1_25partition_config_selectorILNS1_17partition_subalgoE5EjNS0_10empty_typeEbEEZZNS1_14partition_implILS5_5ELb0ES3_mN6thrust23THRUST_200600_302600_NS6detail15normal_iteratorINSA_10device_ptrIjEEEEPS6_NSA_18transform_iteratorINSB_9not_fun_tINSA_8identityIjEEEESF_NSA_11use_defaultESM_EENS0_5tupleIJSF_S6_EEENSO_IJSG_SG_EEES6_PlJS6_EEE10hipError_tPvRmT3_T4_T5_T6_T7_T9_mT8_P12ihipStream_tbDpT10_ENKUlT_T0_E_clISt17integral_constantIbLb0EES1A_IbLb1EEEEDaS16_S17_EUlS16_E_NS1_11comp_targetILNS1_3genE9ELNS1_11target_archE1100ELNS1_3gpuE3ELNS1_3repE0EEENS1_30default_config_static_selectorELNS0_4arch9wavefront6targetE0EEEvT1_ ; -- Begin function _ZN7rocprim17ROCPRIM_400000_NS6detail17trampoline_kernelINS0_14default_configENS1_25partition_config_selectorILNS1_17partition_subalgoE5EjNS0_10empty_typeEbEEZZNS1_14partition_implILS5_5ELb0ES3_mN6thrust23THRUST_200600_302600_NS6detail15normal_iteratorINSA_10device_ptrIjEEEEPS6_NSA_18transform_iteratorINSB_9not_fun_tINSA_8identityIjEEEESF_NSA_11use_defaultESM_EENS0_5tupleIJSF_S6_EEENSO_IJSG_SG_EEES6_PlJS6_EEE10hipError_tPvRmT3_T4_T5_T6_T7_T9_mT8_P12ihipStream_tbDpT10_ENKUlT_T0_E_clISt17integral_constantIbLb0EES1A_IbLb1EEEEDaS16_S17_EUlS16_E_NS1_11comp_targetILNS1_3genE9ELNS1_11target_archE1100ELNS1_3gpuE3ELNS1_3repE0EEENS1_30default_config_static_selectorELNS0_4arch9wavefront6targetE0EEEvT1_
	.globl	_ZN7rocprim17ROCPRIM_400000_NS6detail17trampoline_kernelINS0_14default_configENS1_25partition_config_selectorILNS1_17partition_subalgoE5EjNS0_10empty_typeEbEEZZNS1_14partition_implILS5_5ELb0ES3_mN6thrust23THRUST_200600_302600_NS6detail15normal_iteratorINSA_10device_ptrIjEEEEPS6_NSA_18transform_iteratorINSB_9not_fun_tINSA_8identityIjEEEESF_NSA_11use_defaultESM_EENS0_5tupleIJSF_S6_EEENSO_IJSG_SG_EEES6_PlJS6_EEE10hipError_tPvRmT3_T4_T5_T6_T7_T9_mT8_P12ihipStream_tbDpT10_ENKUlT_T0_E_clISt17integral_constantIbLb0EES1A_IbLb1EEEEDaS16_S17_EUlS16_E_NS1_11comp_targetILNS1_3genE9ELNS1_11target_archE1100ELNS1_3gpuE3ELNS1_3repE0EEENS1_30default_config_static_selectorELNS0_4arch9wavefront6targetE0EEEvT1_
	.p2align	8
	.type	_ZN7rocprim17ROCPRIM_400000_NS6detail17trampoline_kernelINS0_14default_configENS1_25partition_config_selectorILNS1_17partition_subalgoE5EjNS0_10empty_typeEbEEZZNS1_14partition_implILS5_5ELb0ES3_mN6thrust23THRUST_200600_302600_NS6detail15normal_iteratorINSA_10device_ptrIjEEEEPS6_NSA_18transform_iteratorINSB_9not_fun_tINSA_8identityIjEEEESF_NSA_11use_defaultESM_EENS0_5tupleIJSF_S6_EEENSO_IJSG_SG_EEES6_PlJS6_EEE10hipError_tPvRmT3_T4_T5_T6_T7_T9_mT8_P12ihipStream_tbDpT10_ENKUlT_T0_E_clISt17integral_constantIbLb0EES1A_IbLb1EEEEDaS16_S17_EUlS16_E_NS1_11comp_targetILNS1_3genE9ELNS1_11target_archE1100ELNS1_3gpuE3ELNS1_3repE0EEENS1_30default_config_static_selectorELNS0_4arch9wavefront6targetE0EEEvT1_,@function
_ZN7rocprim17ROCPRIM_400000_NS6detail17trampoline_kernelINS0_14default_configENS1_25partition_config_selectorILNS1_17partition_subalgoE5EjNS0_10empty_typeEbEEZZNS1_14partition_implILS5_5ELb0ES3_mN6thrust23THRUST_200600_302600_NS6detail15normal_iteratorINSA_10device_ptrIjEEEEPS6_NSA_18transform_iteratorINSB_9not_fun_tINSA_8identityIjEEEESF_NSA_11use_defaultESM_EENS0_5tupleIJSF_S6_EEENSO_IJSG_SG_EEES6_PlJS6_EEE10hipError_tPvRmT3_T4_T5_T6_T7_T9_mT8_P12ihipStream_tbDpT10_ENKUlT_T0_E_clISt17integral_constantIbLb0EES1A_IbLb1EEEEDaS16_S17_EUlS16_E_NS1_11comp_targetILNS1_3genE9ELNS1_11target_archE1100ELNS1_3gpuE3ELNS1_3repE0EEENS1_30default_config_static_selectorELNS0_4arch9wavefront6targetE0EEEvT1_: ; @_ZN7rocprim17ROCPRIM_400000_NS6detail17trampoline_kernelINS0_14default_configENS1_25partition_config_selectorILNS1_17partition_subalgoE5EjNS0_10empty_typeEbEEZZNS1_14partition_implILS5_5ELb0ES3_mN6thrust23THRUST_200600_302600_NS6detail15normal_iteratorINSA_10device_ptrIjEEEEPS6_NSA_18transform_iteratorINSB_9not_fun_tINSA_8identityIjEEEESF_NSA_11use_defaultESM_EENS0_5tupleIJSF_S6_EEENSO_IJSG_SG_EEES6_PlJS6_EEE10hipError_tPvRmT3_T4_T5_T6_T7_T9_mT8_P12ihipStream_tbDpT10_ENKUlT_T0_E_clISt17integral_constantIbLb0EES1A_IbLb1EEEEDaS16_S17_EUlS16_E_NS1_11comp_targetILNS1_3genE9ELNS1_11target_archE1100ELNS1_3gpuE3ELNS1_3repE0EEENS1_30default_config_static_selectorELNS0_4arch9wavefront6targetE0EEEvT1_
; %bb.0:
	.section	.rodata,"a",@progbits
	.p2align	6, 0x0
	.amdhsa_kernel _ZN7rocprim17ROCPRIM_400000_NS6detail17trampoline_kernelINS0_14default_configENS1_25partition_config_selectorILNS1_17partition_subalgoE5EjNS0_10empty_typeEbEEZZNS1_14partition_implILS5_5ELb0ES3_mN6thrust23THRUST_200600_302600_NS6detail15normal_iteratorINSA_10device_ptrIjEEEEPS6_NSA_18transform_iteratorINSB_9not_fun_tINSA_8identityIjEEEESF_NSA_11use_defaultESM_EENS0_5tupleIJSF_S6_EEENSO_IJSG_SG_EEES6_PlJS6_EEE10hipError_tPvRmT3_T4_T5_T6_T7_T9_mT8_P12ihipStream_tbDpT10_ENKUlT_T0_E_clISt17integral_constantIbLb0EES1A_IbLb1EEEEDaS16_S17_EUlS16_E_NS1_11comp_targetILNS1_3genE9ELNS1_11target_archE1100ELNS1_3gpuE3ELNS1_3repE0EEENS1_30default_config_static_selectorELNS0_4arch9wavefront6targetE0EEEvT1_
		.amdhsa_group_segment_fixed_size 0
		.amdhsa_private_segment_fixed_size 0
		.amdhsa_kernarg_size 136
		.amdhsa_user_sgpr_count 2
		.amdhsa_user_sgpr_dispatch_ptr 0
		.amdhsa_user_sgpr_queue_ptr 0
		.amdhsa_user_sgpr_kernarg_segment_ptr 1
		.amdhsa_user_sgpr_dispatch_id 0
		.amdhsa_user_sgpr_private_segment_size 0
		.amdhsa_wavefront_size32 1
		.amdhsa_uses_dynamic_stack 0
		.amdhsa_enable_private_segment 0
		.amdhsa_system_sgpr_workgroup_id_x 1
		.amdhsa_system_sgpr_workgroup_id_y 0
		.amdhsa_system_sgpr_workgroup_id_z 0
		.amdhsa_system_sgpr_workgroup_info 0
		.amdhsa_system_vgpr_workitem_id 0
		.amdhsa_next_free_vgpr 1
		.amdhsa_next_free_sgpr 1
		.amdhsa_reserve_vcc 0
		.amdhsa_float_round_mode_32 0
		.amdhsa_float_round_mode_16_64 0
		.amdhsa_float_denorm_mode_32 3
		.amdhsa_float_denorm_mode_16_64 3
		.amdhsa_fp16_overflow 0
		.amdhsa_workgroup_processor_mode 1
		.amdhsa_memory_ordered 1
		.amdhsa_forward_progress 1
		.amdhsa_inst_pref_size 0
		.amdhsa_round_robin_scheduling 0
		.amdhsa_exception_fp_ieee_invalid_op 0
		.amdhsa_exception_fp_denorm_src 0
		.amdhsa_exception_fp_ieee_div_zero 0
		.amdhsa_exception_fp_ieee_overflow 0
		.amdhsa_exception_fp_ieee_underflow 0
		.amdhsa_exception_fp_ieee_inexact 0
		.amdhsa_exception_int_div_zero 0
	.end_amdhsa_kernel
	.section	.text._ZN7rocprim17ROCPRIM_400000_NS6detail17trampoline_kernelINS0_14default_configENS1_25partition_config_selectorILNS1_17partition_subalgoE5EjNS0_10empty_typeEbEEZZNS1_14partition_implILS5_5ELb0ES3_mN6thrust23THRUST_200600_302600_NS6detail15normal_iteratorINSA_10device_ptrIjEEEEPS6_NSA_18transform_iteratorINSB_9not_fun_tINSA_8identityIjEEEESF_NSA_11use_defaultESM_EENS0_5tupleIJSF_S6_EEENSO_IJSG_SG_EEES6_PlJS6_EEE10hipError_tPvRmT3_T4_T5_T6_T7_T9_mT8_P12ihipStream_tbDpT10_ENKUlT_T0_E_clISt17integral_constantIbLb0EES1A_IbLb1EEEEDaS16_S17_EUlS16_E_NS1_11comp_targetILNS1_3genE9ELNS1_11target_archE1100ELNS1_3gpuE3ELNS1_3repE0EEENS1_30default_config_static_selectorELNS0_4arch9wavefront6targetE0EEEvT1_,"axG",@progbits,_ZN7rocprim17ROCPRIM_400000_NS6detail17trampoline_kernelINS0_14default_configENS1_25partition_config_selectorILNS1_17partition_subalgoE5EjNS0_10empty_typeEbEEZZNS1_14partition_implILS5_5ELb0ES3_mN6thrust23THRUST_200600_302600_NS6detail15normal_iteratorINSA_10device_ptrIjEEEEPS6_NSA_18transform_iteratorINSB_9not_fun_tINSA_8identityIjEEEESF_NSA_11use_defaultESM_EENS0_5tupleIJSF_S6_EEENSO_IJSG_SG_EEES6_PlJS6_EEE10hipError_tPvRmT3_T4_T5_T6_T7_T9_mT8_P12ihipStream_tbDpT10_ENKUlT_T0_E_clISt17integral_constantIbLb0EES1A_IbLb1EEEEDaS16_S17_EUlS16_E_NS1_11comp_targetILNS1_3genE9ELNS1_11target_archE1100ELNS1_3gpuE3ELNS1_3repE0EEENS1_30default_config_static_selectorELNS0_4arch9wavefront6targetE0EEEvT1_,comdat
.Lfunc_end915:
	.size	_ZN7rocprim17ROCPRIM_400000_NS6detail17trampoline_kernelINS0_14default_configENS1_25partition_config_selectorILNS1_17partition_subalgoE5EjNS0_10empty_typeEbEEZZNS1_14partition_implILS5_5ELb0ES3_mN6thrust23THRUST_200600_302600_NS6detail15normal_iteratorINSA_10device_ptrIjEEEEPS6_NSA_18transform_iteratorINSB_9not_fun_tINSA_8identityIjEEEESF_NSA_11use_defaultESM_EENS0_5tupleIJSF_S6_EEENSO_IJSG_SG_EEES6_PlJS6_EEE10hipError_tPvRmT3_T4_T5_T6_T7_T9_mT8_P12ihipStream_tbDpT10_ENKUlT_T0_E_clISt17integral_constantIbLb0EES1A_IbLb1EEEEDaS16_S17_EUlS16_E_NS1_11comp_targetILNS1_3genE9ELNS1_11target_archE1100ELNS1_3gpuE3ELNS1_3repE0EEENS1_30default_config_static_selectorELNS0_4arch9wavefront6targetE0EEEvT1_, .Lfunc_end915-_ZN7rocprim17ROCPRIM_400000_NS6detail17trampoline_kernelINS0_14default_configENS1_25partition_config_selectorILNS1_17partition_subalgoE5EjNS0_10empty_typeEbEEZZNS1_14partition_implILS5_5ELb0ES3_mN6thrust23THRUST_200600_302600_NS6detail15normal_iteratorINSA_10device_ptrIjEEEEPS6_NSA_18transform_iteratorINSB_9not_fun_tINSA_8identityIjEEEESF_NSA_11use_defaultESM_EENS0_5tupleIJSF_S6_EEENSO_IJSG_SG_EEES6_PlJS6_EEE10hipError_tPvRmT3_T4_T5_T6_T7_T9_mT8_P12ihipStream_tbDpT10_ENKUlT_T0_E_clISt17integral_constantIbLb0EES1A_IbLb1EEEEDaS16_S17_EUlS16_E_NS1_11comp_targetILNS1_3genE9ELNS1_11target_archE1100ELNS1_3gpuE3ELNS1_3repE0EEENS1_30default_config_static_selectorELNS0_4arch9wavefront6targetE0EEEvT1_
                                        ; -- End function
	.set _ZN7rocprim17ROCPRIM_400000_NS6detail17trampoline_kernelINS0_14default_configENS1_25partition_config_selectorILNS1_17partition_subalgoE5EjNS0_10empty_typeEbEEZZNS1_14partition_implILS5_5ELb0ES3_mN6thrust23THRUST_200600_302600_NS6detail15normal_iteratorINSA_10device_ptrIjEEEEPS6_NSA_18transform_iteratorINSB_9not_fun_tINSA_8identityIjEEEESF_NSA_11use_defaultESM_EENS0_5tupleIJSF_S6_EEENSO_IJSG_SG_EEES6_PlJS6_EEE10hipError_tPvRmT3_T4_T5_T6_T7_T9_mT8_P12ihipStream_tbDpT10_ENKUlT_T0_E_clISt17integral_constantIbLb0EES1A_IbLb1EEEEDaS16_S17_EUlS16_E_NS1_11comp_targetILNS1_3genE9ELNS1_11target_archE1100ELNS1_3gpuE3ELNS1_3repE0EEENS1_30default_config_static_selectorELNS0_4arch9wavefront6targetE0EEEvT1_.num_vgpr, 0
	.set _ZN7rocprim17ROCPRIM_400000_NS6detail17trampoline_kernelINS0_14default_configENS1_25partition_config_selectorILNS1_17partition_subalgoE5EjNS0_10empty_typeEbEEZZNS1_14partition_implILS5_5ELb0ES3_mN6thrust23THRUST_200600_302600_NS6detail15normal_iteratorINSA_10device_ptrIjEEEEPS6_NSA_18transform_iteratorINSB_9not_fun_tINSA_8identityIjEEEESF_NSA_11use_defaultESM_EENS0_5tupleIJSF_S6_EEENSO_IJSG_SG_EEES6_PlJS6_EEE10hipError_tPvRmT3_T4_T5_T6_T7_T9_mT8_P12ihipStream_tbDpT10_ENKUlT_T0_E_clISt17integral_constantIbLb0EES1A_IbLb1EEEEDaS16_S17_EUlS16_E_NS1_11comp_targetILNS1_3genE9ELNS1_11target_archE1100ELNS1_3gpuE3ELNS1_3repE0EEENS1_30default_config_static_selectorELNS0_4arch9wavefront6targetE0EEEvT1_.num_agpr, 0
	.set _ZN7rocprim17ROCPRIM_400000_NS6detail17trampoline_kernelINS0_14default_configENS1_25partition_config_selectorILNS1_17partition_subalgoE5EjNS0_10empty_typeEbEEZZNS1_14partition_implILS5_5ELb0ES3_mN6thrust23THRUST_200600_302600_NS6detail15normal_iteratorINSA_10device_ptrIjEEEEPS6_NSA_18transform_iteratorINSB_9not_fun_tINSA_8identityIjEEEESF_NSA_11use_defaultESM_EENS0_5tupleIJSF_S6_EEENSO_IJSG_SG_EEES6_PlJS6_EEE10hipError_tPvRmT3_T4_T5_T6_T7_T9_mT8_P12ihipStream_tbDpT10_ENKUlT_T0_E_clISt17integral_constantIbLb0EES1A_IbLb1EEEEDaS16_S17_EUlS16_E_NS1_11comp_targetILNS1_3genE9ELNS1_11target_archE1100ELNS1_3gpuE3ELNS1_3repE0EEENS1_30default_config_static_selectorELNS0_4arch9wavefront6targetE0EEEvT1_.numbered_sgpr, 0
	.set _ZN7rocprim17ROCPRIM_400000_NS6detail17trampoline_kernelINS0_14default_configENS1_25partition_config_selectorILNS1_17partition_subalgoE5EjNS0_10empty_typeEbEEZZNS1_14partition_implILS5_5ELb0ES3_mN6thrust23THRUST_200600_302600_NS6detail15normal_iteratorINSA_10device_ptrIjEEEEPS6_NSA_18transform_iteratorINSB_9not_fun_tINSA_8identityIjEEEESF_NSA_11use_defaultESM_EENS0_5tupleIJSF_S6_EEENSO_IJSG_SG_EEES6_PlJS6_EEE10hipError_tPvRmT3_T4_T5_T6_T7_T9_mT8_P12ihipStream_tbDpT10_ENKUlT_T0_E_clISt17integral_constantIbLb0EES1A_IbLb1EEEEDaS16_S17_EUlS16_E_NS1_11comp_targetILNS1_3genE9ELNS1_11target_archE1100ELNS1_3gpuE3ELNS1_3repE0EEENS1_30default_config_static_selectorELNS0_4arch9wavefront6targetE0EEEvT1_.num_named_barrier, 0
	.set _ZN7rocprim17ROCPRIM_400000_NS6detail17trampoline_kernelINS0_14default_configENS1_25partition_config_selectorILNS1_17partition_subalgoE5EjNS0_10empty_typeEbEEZZNS1_14partition_implILS5_5ELb0ES3_mN6thrust23THRUST_200600_302600_NS6detail15normal_iteratorINSA_10device_ptrIjEEEEPS6_NSA_18transform_iteratorINSB_9not_fun_tINSA_8identityIjEEEESF_NSA_11use_defaultESM_EENS0_5tupleIJSF_S6_EEENSO_IJSG_SG_EEES6_PlJS6_EEE10hipError_tPvRmT3_T4_T5_T6_T7_T9_mT8_P12ihipStream_tbDpT10_ENKUlT_T0_E_clISt17integral_constantIbLb0EES1A_IbLb1EEEEDaS16_S17_EUlS16_E_NS1_11comp_targetILNS1_3genE9ELNS1_11target_archE1100ELNS1_3gpuE3ELNS1_3repE0EEENS1_30default_config_static_selectorELNS0_4arch9wavefront6targetE0EEEvT1_.private_seg_size, 0
	.set _ZN7rocprim17ROCPRIM_400000_NS6detail17trampoline_kernelINS0_14default_configENS1_25partition_config_selectorILNS1_17partition_subalgoE5EjNS0_10empty_typeEbEEZZNS1_14partition_implILS5_5ELb0ES3_mN6thrust23THRUST_200600_302600_NS6detail15normal_iteratorINSA_10device_ptrIjEEEEPS6_NSA_18transform_iteratorINSB_9not_fun_tINSA_8identityIjEEEESF_NSA_11use_defaultESM_EENS0_5tupleIJSF_S6_EEENSO_IJSG_SG_EEES6_PlJS6_EEE10hipError_tPvRmT3_T4_T5_T6_T7_T9_mT8_P12ihipStream_tbDpT10_ENKUlT_T0_E_clISt17integral_constantIbLb0EES1A_IbLb1EEEEDaS16_S17_EUlS16_E_NS1_11comp_targetILNS1_3genE9ELNS1_11target_archE1100ELNS1_3gpuE3ELNS1_3repE0EEENS1_30default_config_static_selectorELNS0_4arch9wavefront6targetE0EEEvT1_.uses_vcc, 0
	.set _ZN7rocprim17ROCPRIM_400000_NS6detail17trampoline_kernelINS0_14default_configENS1_25partition_config_selectorILNS1_17partition_subalgoE5EjNS0_10empty_typeEbEEZZNS1_14partition_implILS5_5ELb0ES3_mN6thrust23THRUST_200600_302600_NS6detail15normal_iteratorINSA_10device_ptrIjEEEEPS6_NSA_18transform_iteratorINSB_9not_fun_tINSA_8identityIjEEEESF_NSA_11use_defaultESM_EENS0_5tupleIJSF_S6_EEENSO_IJSG_SG_EEES6_PlJS6_EEE10hipError_tPvRmT3_T4_T5_T6_T7_T9_mT8_P12ihipStream_tbDpT10_ENKUlT_T0_E_clISt17integral_constantIbLb0EES1A_IbLb1EEEEDaS16_S17_EUlS16_E_NS1_11comp_targetILNS1_3genE9ELNS1_11target_archE1100ELNS1_3gpuE3ELNS1_3repE0EEENS1_30default_config_static_selectorELNS0_4arch9wavefront6targetE0EEEvT1_.uses_flat_scratch, 0
	.set _ZN7rocprim17ROCPRIM_400000_NS6detail17trampoline_kernelINS0_14default_configENS1_25partition_config_selectorILNS1_17partition_subalgoE5EjNS0_10empty_typeEbEEZZNS1_14partition_implILS5_5ELb0ES3_mN6thrust23THRUST_200600_302600_NS6detail15normal_iteratorINSA_10device_ptrIjEEEEPS6_NSA_18transform_iteratorINSB_9not_fun_tINSA_8identityIjEEEESF_NSA_11use_defaultESM_EENS0_5tupleIJSF_S6_EEENSO_IJSG_SG_EEES6_PlJS6_EEE10hipError_tPvRmT3_T4_T5_T6_T7_T9_mT8_P12ihipStream_tbDpT10_ENKUlT_T0_E_clISt17integral_constantIbLb0EES1A_IbLb1EEEEDaS16_S17_EUlS16_E_NS1_11comp_targetILNS1_3genE9ELNS1_11target_archE1100ELNS1_3gpuE3ELNS1_3repE0EEENS1_30default_config_static_selectorELNS0_4arch9wavefront6targetE0EEEvT1_.has_dyn_sized_stack, 0
	.set _ZN7rocprim17ROCPRIM_400000_NS6detail17trampoline_kernelINS0_14default_configENS1_25partition_config_selectorILNS1_17partition_subalgoE5EjNS0_10empty_typeEbEEZZNS1_14partition_implILS5_5ELb0ES3_mN6thrust23THRUST_200600_302600_NS6detail15normal_iteratorINSA_10device_ptrIjEEEEPS6_NSA_18transform_iteratorINSB_9not_fun_tINSA_8identityIjEEEESF_NSA_11use_defaultESM_EENS0_5tupleIJSF_S6_EEENSO_IJSG_SG_EEES6_PlJS6_EEE10hipError_tPvRmT3_T4_T5_T6_T7_T9_mT8_P12ihipStream_tbDpT10_ENKUlT_T0_E_clISt17integral_constantIbLb0EES1A_IbLb1EEEEDaS16_S17_EUlS16_E_NS1_11comp_targetILNS1_3genE9ELNS1_11target_archE1100ELNS1_3gpuE3ELNS1_3repE0EEENS1_30default_config_static_selectorELNS0_4arch9wavefront6targetE0EEEvT1_.has_recursion, 0
	.set _ZN7rocprim17ROCPRIM_400000_NS6detail17trampoline_kernelINS0_14default_configENS1_25partition_config_selectorILNS1_17partition_subalgoE5EjNS0_10empty_typeEbEEZZNS1_14partition_implILS5_5ELb0ES3_mN6thrust23THRUST_200600_302600_NS6detail15normal_iteratorINSA_10device_ptrIjEEEEPS6_NSA_18transform_iteratorINSB_9not_fun_tINSA_8identityIjEEEESF_NSA_11use_defaultESM_EENS0_5tupleIJSF_S6_EEENSO_IJSG_SG_EEES6_PlJS6_EEE10hipError_tPvRmT3_T4_T5_T6_T7_T9_mT8_P12ihipStream_tbDpT10_ENKUlT_T0_E_clISt17integral_constantIbLb0EES1A_IbLb1EEEEDaS16_S17_EUlS16_E_NS1_11comp_targetILNS1_3genE9ELNS1_11target_archE1100ELNS1_3gpuE3ELNS1_3repE0EEENS1_30default_config_static_selectorELNS0_4arch9wavefront6targetE0EEEvT1_.has_indirect_call, 0
	.section	.AMDGPU.csdata,"",@progbits
; Kernel info:
; codeLenInByte = 0
; TotalNumSgprs: 0
; NumVgprs: 0
; ScratchSize: 0
; MemoryBound: 0
; FloatMode: 240
; IeeeMode: 1
; LDSByteSize: 0 bytes/workgroup (compile time only)
; SGPRBlocks: 0
; VGPRBlocks: 0
; NumSGPRsForWavesPerEU: 1
; NumVGPRsForWavesPerEU: 1
; Occupancy: 16
; WaveLimiterHint : 0
; COMPUTE_PGM_RSRC2:SCRATCH_EN: 0
; COMPUTE_PGM_RSRC2:USER_SGPR: 2
; COMPUTE_PGM_RSRC2:TRAP_HANDLER: 0
; COMPUTE_PGM_RSRC2:TGID_X_EN: 1
; COMPUTE_PGM_RSRC2:TGID_Y_EN: 0
; COMPUTE_PGM_RSRC2:TGID_Z_EN: 0
; COMPUTE_PGM_RSRC2:TIDIG_COMP_CNT: 0
	.section	.text._ZN7rocprim17ROCPRIM_400000_NS6detail17trampoline_kernelINS0_14default_configENS1_25partition_config_selectorILNS1_17partition_subalgoE5EjNS0_10empty_typeEbEEZZNS1_14partition_implILS5_5ELb0ES3_mN6thrust23THRUST_200600_302600_NS6detail15normal_iteratorINSA_10device_ptrIjEEEEPS6_NSA_18transform_iteratorINSB_9not_fun_tINSA_8identityIjEEEESF_NSA_11use_defaultESM_EENS0_5tupleIJSF_S6_EEENSO_IJSG_SG_EEES6_PlJS6_EEE10hipError_tPvRmT3_T4_T5_T6_T7_T9_mT8_P12ihipStream_tbDpT10_ENKUlT_T0_E_clISt17integral_constantIbLb0EES1A_IbLb1EEEEDaS16_S17_EUlS16_E_NS1_11comp_targetILNS1_3genE8ELNS1_11target_archE1030ELNS1_3gpuE2ELNS1_3repE0EEENS1_30default_config_static_selectorELNS0_4arch9wavefront6targetE0EEEvT1_,"axG",@progbits,_ZN7rocprim17ROCPRIM_400000_NS6detail17trampoline_kernelINS0_14default_configENS1_25partition_config_selectorILNS1_17partition_subalgoE5EjNS0_10empty_typeEbEEZZNS1_14partition_implILS5_5ELb0ES3_mN6thrust23THRUST_200600_302600_NS6detail15normal_iteratorINSA_10device_ptrIjEEEEPS6_NSA_18transform_iteratorINSB_9not_fun_tINSA_8identityIjEEEESF_NSA_11use_defaultESM_EENS0_5tupleIJSF_S6_EEENSO_IJSG_SG_EEES6_PlJS6_EEE10hipError_tPvRmT3_T4_T5_T6_T7_T9_mT8_P12ihipStream_tbDpT10_ENKUlT_T0_E_clISt17integral_constantIbLb0EES1A_IbLb1EEEEDaS16_S17_EUlS16_E_NS1_11comp_targetILNS1_3genE8ELNS1_11target_archE1030ELNS1_3gpuE2ELNS1_3repE0EEENS1_30default_config_static_selectorELNS0_4arch9wavefront6targetE0EEEvT1_,comdat
	.protected	_ZN7rocprim17ROCPRIM_400000_NS6detail17trampoline_kernelINS0_14default_configENS1_25partition_config_selectorILNS1_17partition_subalgoE5EjNS0_10empty_typeEbEEZZNS1_14partition_implILS5_5ELb0ES3_mN6thrust23THRUST_200600_302600_NS6detail15normal_iteratorINSA_10device_ptrIjEEEEPS6_NSA_18transform_iteratorINSB_9not_fun_tINSA_8identityIjEEEESF_NSA_11use_defaultESM_EENS0_5tupleIJSF_S6_EEENSO_IJSG_SG_EEES6_PlJS6_EEE10hipError_tPvRmT3_T4_T5_T6_T7_T9_mT8_P12ihipStream_tbDpT10_ENKUlT_T0_E_clISt17integral_constantIbLb0EES1A_IbLb1EEEEDaS16_S17_EUlS16_E_NS1_11comp_targetILNS1_3genE8ELNS1_11target_archE1030ELNS1_3gpuE2ELNS1_3repE0EEENS1_30default_config_static_selectorELNS0_4arch9wavefront6targetE0EEEvT1_ ; -- Begin function _ZN7rocprim17ROCPRIM_400000_NS6detail17trampoline_kernelINS0_14default_configENS1_25partition_config_selectorILNS1_17partition_subalgoE5EjNS0_10empty_typeEbEEZZNS1_14partition_implILS5_5ELb0ES3_mN6thrust23THRUST_200600_302600_NS6detail15normal_iteratorINSA_10device_ptrIjEEEEPS6_NSA_18transform_iteratorINSB_9not_fun_tINSA_8identityIjEEEESF_NSA_11use_defaultESM_EENS0_5tupleIJSF_S6_EEENSO_IJSG_SG_EEES6_PlJS6_EEE10hipError_tPvRmT3_T4_T5_T6_T7_T9_mT8_P12ihipStream_tbDpT10_ENKUlT_T0_E_clISt17integral_constantIbLb0EES1A_IbLb1EEEEDaS16_S17_EUlS16_E_NS1_11comp_targetILNS1_3genE8ELNS1_11target_archE1030ELNS1_3gpuE2ELNS1_3repE0EEENS1_30default_config_static_selectorELNS0_4arch9wavefront6targetE0EEEvT1_
	.globl	_ZN7rocprim17ROCPRIM_400000_NS6detail17trampoline_kernelINS0_14default_configENS1_25partition_config_selectorILNS1_17partition_subalgoE5EjNS0_10empty_typeEbEEZZNS1_14partition_implILS5_5ELb0ES3_mN6thrust23THRUST_200600_302600_NS6detail15normal_iteratorINSA_10device_ptrIjEEEEPS6_NSA_18transform_iteratorINSB_9not_fun_tINSA_8identityIjEEEESF_NSA_11use_defaultESM_EENS0_5tupleIJSF_S6_EEENSO_IJSG_SG_EEES6_PlJS6_EEE10hipError_tPvRmT3_T4_T5_T6_T7_T9_mT8_P12ihipStream_tbDpT10_ENKUlT_T0_E_clISt17integral_constantIbLb0EES1A_IbLb1EEEEDaS16_S17_EUlS16_E_NS1_11comp_targetILNS1_3genE8ELNS1_11target_archE1030ELNS1_3gpuE2ELNS1_3repE0EEENS1_30default_config_static_selectorELNS0_4arch9wavefront6targetE0EEEvT1_
	.p2align	8
	.type	_ZN7rocprim17ROCPRIM_400000_NS6detail17trampoline_kernelINS0_14default_configENS1_25partition_config_selectorILNS1_17partition_subalgoE5EjNS0_10empty_typeEbEEZZNS1_14partition_implILS5_5ELb0ES3_mN6thrust23THRUST_200600_302600_NS6detail15normal_iteratorINSA_10device_ptrIjEEEEPS6_NSA_18transform_iteratorINSB_9not_fun_tINSA_8identityIjEEEESF_NSA_11use_defaultESM_EENS0_5tupleIJSF_S6_EEENSO_IJSG_SG_EEES6_PlJS6_EEE10hipError_tPvRmT3_T4_T5_T6_T7_T9_mT8_P12ihipStream_tbDpT10_ENKUlT_T0_E_clISt17integral_constantIbLb0EES1A_IbLb1EEEEDaS16_S17_EUlS16_E_NS1_11comp_targetILNS1_3genE8ELNS1_11target_archE1030ELNS1_3gpuE2ELNS1_3repE0EEENS1_30default_config_static_selectorELNS0_4arch9wavefront6targetE0EEEvT1_,@function
_ZN7rocprim17ROCPRIM_400000_NS6detail17trampoline_kernelINS0_14default_configENS1_25partition_config_selectorILNS1_17partition_subalgoE5EjNS0_10empty_typeEbEEZZNS1_14partition_implILS5_5ELb0ES3_mN6thrust23THRUST_200600_302600_NS6detail15normal_iteratorINSA_10device_ptrIjEEEEPS6_NSA_18transform_iteratorINSB_9not_fun_tINSA_8identityIjEEEESF_NSA_11use_defaultESM_EENS0_5tupleIJSF_S6_EEENSO_IJSG_SG_EEES6_PlJS6_EEE10hipError_tPvRmT3_T4_T5_T6_T7_T9_mT8_P12ihipStream_tbDpT10_ENKUlT_T0_E_clISt17integral_constantIbLb0EES1A_IbLb1EEEEDaS16_S17_EUlS16_E_NS1_11comp_targetILNS1_3genE8ELNS1_11target_archE1030ELNS1_3gpuE2ELNS1_3repE0EEENS1_30default_config_static_selectorELNS0_4arch9wavefront6targetE0EEEvT1_: ; @_ZN7rocprim17ROCPRIM_400000_NS6detail17trampoline_kernelINS0_14default_configENS1_25partition_config_selectorILNS1_17partition_subalgoE5EjNS0_10empty_typeEbEEZZNS1_14partition_implILS5_5ELb0ES3_mN6thrust23THRUST_200600_302600_NS6detail15normal_iteratorINSA_10device_ptrIjEEEEPS6_NSA_18transform_iteratorINSB_9not_fun_tINSA_8identityIjEEEESF_NSA_11use_defaultESM_EENS0_5tupleIJSF_S6_EEENSO_IJSG_SG_EEES6_PlJS6_EEE10hipError_tPvRmT3_T4_T5_T6_T7_T9_mT8_P12ihipStream_tbDpT10_ENKUlT_T0_E_clISt17integral_constantIbLb0EES1A_IbLb1EEEEDaS16_S17_EUlS16_E_NS1_11comp_targetILNS1_3genE8ELNS1_11target_archE1030ELNS1_3gpuE2ELNS1_3repE0EEENS1_30default_config_static_selectorELNS0_4arch9wavefront6targetE0EEEvT1_
; %bb.0:
	.section	.rodata,"a",@progbits
	.p2align	6, 0x0
	.amdhsa_kernel _ZN7rocprim17ROCPRIM_400000_NS6detail17trampoline_kernelINS0_14default_configENS1_25partition_config_selectorILNS1_17partition_subalgoE5EjNS0_10empty_typeEbEEZZNS1_14partition_implILS5_5ELb0ES3_mN6thrust23THRUST_200600_302600_NS6detail15normal_iteratorINSA_10device_ptrIjEEEEPS6_NSA_18transform_iteratorINSB_9not_fun_tINSA_8identityIjEEEESF_NSA_11use_defaultESM_EENS0_5tupleIJSF_S6_EEENSO_IJSG_SG_EEES6_PlJS6_EEE10hipError_tPvRmT3_T4_T5_T6_T7_T9_mT8_P12ihipStream_tbDpT10_ENKUlT_T0_E_clISt17integral_constantIbLb0EES1A_IbLb1EEEEDaS16_S17_EUlS16_E_NS1_11comp_targetILNS1_3genE8ELNS1_11target_archE1030ELNS1_3gpuE2ELNS1_3repE0EEENS1_30default_config_static_selectorELNS0_4arch9wavefront6targetE0EEEvT1_
		.amdhsa_group_segment_fixed_size 0
		.amdhsa_private_segment_fixed_size 0
		.amdhsa_kernarg_size 136
		.amdhsa_user_sgpr_count 2
		.amdhsa_user_sgpr_dispatch_ptr 0
		.amdhsa_user_sgpr_queue_ptr 0
		.amdhsa_user_sgpr_kernarg_segment_ptr 1
		.amdhsa_user_sgpr_dispatch_id 0
		.amdhsa_user_sgpr_private_segment_size 0
		.amdhsa_wavefront_size32 1
		.amdhsa_uses_dynamic_stack 0
		.amdhsa_enable_private_segment 0
		.amdhsa_system_sgpr_workgroup_id_x 1
		.amdhsa_system_sgpr_workgroup_id_y 0
		.amdhsa_system_sgpr_workgroup_id_z 0
		.amdhsa_system_sgpr_workgroup_info 0
		.amdhsa_system_vgpr_workitem_id 0
		.amdhsa_next_free_vgpr 1
		.amdhsa_next_free_sgpr 1
		.amdhsa_reserve_vcc 0
		.amdhsa_float_round_mode_32 0
		.amdhsa_float_round_mode_16_64 0
		.amdhsa_float_denorm_mode_32 3
		.amdhsa_float_denorm_mode_16_64 3
		.amdhsa_fp16_overflow 0
		.amdhsa_workgroup_processor_mode 1
		.amdhsa_memory_ordered 1
		.amdhsa_forward_progress 1
		.amdhsa_inst_pref_size 0
		.amdhsa_round_robin_scheduling 0
		.amdhsa_exception_fp_ieee_invalid_op 0
		.amdhsa_exception_fp_denorm_src 0
		.amdhsa_exception_fp_ieee_div_zero 0
		.amdhsa_exception_fp_ieee_overflow 0
		.amdhsa_exception_fp_ieee_underflow 0
		.amdhsa_exception_fp_ieee_inexact 0
		.amdhsa_exception_int_div_zero 0
	.end_amdhsa_kernel
	.section	.text._ZN7rocprim17ROCPRIM_400000_NS6detail17trampoline_kernelINS0_14default_configENS1_25partition_config_selectorILNS1_17partition_subalgoE5EjNS0_10empty_typeEbEEZZNS1_14partition_implILS5_5ELb0ES3_mN6thrust23THRUST_200600_302600_NS6detail15normal_iteratorINSA_10device_ptrIjEEEEPS6_NSA_18transform_iteratorINSB_9not_fun_tINSA_8identityIjEEEESF_NSA_11use_defaultESM_EENS0_5tupleIJSF_S6_EEENSO_IJSG_SG_EEES6_PlJS6_EEE10hipError_tPvRmT3_T4_T5_T6_T7_T9_mT8_P12ihipStream_tbDpT10_ENKUlT_T0_E_clISt17integral_constantIbLb0EES1A_IbLb1EEEEDaS16_S17_EUlS16_E_NS1_11comp_targetILNS1_3genE8ELNS1_11target_archE1030ELNS1_3gpuE2ELNS1_3repE0EEENS1_30default_config_static_selectorELNS0_4arch9wavefront6targetE0EEEvT1_,"axG",@progbits,_ZN7rocprim17ROCPRIM_400000_NS6detail17trampoline_kernelINS0_14default_configENS1_25partition_config_selectorILNS1_17partition_subalgoE5EjNS0_10empty_typeEbEEZZNS1_14partition_implILS5_5ELb0ES3_mN6thrust23THRUST_200600_302600_NS6detail15normal_iteratorINSA_10device_ptrIjEEEEPS6_NSA_18transform_iteratorINSB_9not_fun_tINSA_8identityIjEEEESF_NSA_11use_defaultESM_EENS0_5tupleIJSF_S6_EEENSO_IJSG_SG_EEES6_PlJS6_EEE10hipError_tPvRmT3_T4_T5_T6_T7_T9_mT8_P12ihipStream_tbDpT10_ENKUlT_T0_E_clISt17integral_constantIbLb0EES1A_IbLb1EEEEDaS16_S17_EUlS16_E_NS1_11comp_targetILNS1_3genE8ELNS1_11target_archE1030ELNS1_3gpuE2ELNS1_3repE0EEENS1_30default_config_static_selectorELNS0_4arch9wavefront6targetE0EEEvT1_,comdat
.Lfunc_end916:
	.size	_ZN7rocprim17ROCPRIM_400000_NS6detail17trampoline_kernelINS0_14default_configENS1_25partition_config_selectorILNS1_17partition_subalgoE5EjNS0_10empty_typeEbEEZZNS1_14partition_implILS5_5ELb0ES3_mN6thrust23THRUST_200600_302600_NS6detail15normal_iteratorINSA_10device_ptrIjEEEEPS6_NSA_18transform_iteratorINSB_9not_fun_tINSA_8identityIjEEEESF_NSA_11use_defaultESM_EENS0_5tupleIJSF_S6_EEENSO_IJSG_SG_EEES6_PlJS6_EEE10hipError_tPvRmT3_T4_T5_T6_T7_T9_mT8_P12ihipStream_tbDpT10_ENKUlT_T0_E_clISt17integral_constantIbLb0EES1A_IbLb1EEEEDaS16_S17_EUlS16_E_NS1_11comp_targetILNS1_3genE8ELNS1_11target_archE1030ELNS1_3gpuE2ELNS1_3repE0EEENS1_30default_config_static_selectorELNS0_4arch9wavefront6targetE0EEEvT1_, .Lfunc_end916-_ZN7rocprim17ROCPRIM_400000_NS6detail17trampoline_kernelINS0_14default_configENS1_25partition_config_selectorILNS1_17partition_subalgoE5EjNS0_10empty_typeEbEEZZNS1_14partition_implILS5_5ELb0ES3_mN6thrust23THRUST_200600_302600_NS6detail15normal_iteratorINSA_10device_ptrIjEEEEPS6_NSA_18transform_iteratorINSB_9not_fun_tINSA_8identityIjEEEESF_NSA_11use_defaultESM_EENS0_5tupleIJSF_S6_EEENSO_IJSG_SG_EEES6_PlJS6_EEE10hipError_tPvRmT3_T4_T5_T6_T7_T9_mT8_P12ihipStream_tbDpT10_ENKUlT_T0_E_clISt17integral_constantIbLb0EES1A_IbLb1EEEEDaS16_S17_EUlS16_E_NS1_11comp_targetILNS1_3genE8ELNS1_11target_archE1030ELNS1_3gpuE2ELNS1_3repE0EEENS1_30default_config_static_selectorELNS0_4arch9wavefront6targetE0EEEvT1_
                                        ; -- End function
	.set _ZN7rocprim17ROCPRIM_400000_NS6detail17trampoline_kernelINS0_14default_configENS1_25partition_config_selectorILNS1_17partition_subalgoE5EjNS0_10empty_typeEbEEZZNS1_14partition_implILS5_5ELb0ES3_mN6thrust23THRUST_200600_302600_NS6detail15normal_iteratorINSA_10device_ptrIjEEEEPS6_NSA_18transform_iteratorINSB_9not_fun_tINSA_8identityIjEEEESF_NSA_11use_defaultESM_EENS0_5tupleIJSF_S6_EEENSO_IJSG_SG_EEES6_PlJS6_EEE10hipError_tPvRmT3_T4_T5_T6_T7_T9_mT8_P12ihipStream_tbDpT10_ENKUlT_T0_E_clISt17integral_constantIbLb0EES1A_IbLb1EEEEDaS16_S17_EUlS16_E_NS1_11comp_targetILNS1_3genE8ELNS1_11target_archE1030ELNS1_3gpuE2ELNS1_3repE0EEENS1_30default_config_static_selectorELNS0_4arch9wavefront6targetE0EEEvT1_.num_vgpr, 0
	.set _ZN7rocprim17ROCPRIM_400000_NS6detail17trampoline_kernelINS0_14default_configENS1_25partition_config_selectorILNS1_17partition_subalgoE5EjNS0_10empty_typeEbEEZZNS1_14partition_implILS5_5ELb0ES3_mN6thrust23THRUST_200600_302600_NS6detail15normal_iteratorINSA_10device_ptrIjEEEEPS6_NSA_18transform_iteratorINSB_9not_fun_tINSA_8identityIjEEEESF_NSA_11use_defaultESM_EENS0_5tupleIJSF_S6_EEENSO_IJSG_SG_EEES6_PlJS6_EEE10hipError_tPvRmT3_T4_T5_T6_T7_T9_mT8_P12ihipStream_tbDpT10_ENKUlT_T0_E_clISt17integral_constantIbLb0EES1A_IbLb1EEEEDaS16_S17_EUlS16_E_NS1_11comp_targetILNS1_3genE8ELNS1_11target_archE1030ELNS1_3gpuE2ELNS1_3repE0EEENS1_30default_config_static_selectorELNS0_4arch9wavefront6targetE0EEEvT1_.num_agpr, 0
	.set _ZN7rocprim17ROCPRIM_400000_NS6detail17trampoline_kernelINS0_14default_configENS1_25partition_config_selectorILNS1_17partition_subalgoE5EjNS0_10empty_typeEbEEZZNS1_14partition_implILS5_5ELb0ES3_mN6thrust23THRUST_200600_302600_NS6detail15normal_iteratorINSA_10device_ptrIjEEEEPS6_NSA_18transform_iteratorINSB_9not_fun_tINSA_8identityIjEEEESF_NSA_11use_defaultESM_EENS0_5tupleIJSF_S6_EEENSO_IJSG_SG_EEES6_PlJS6_EEE10hipError_tPvRmT3_T4_T5_T6_T7_T9_mT8_P12ihipStream_tbDpT10_ENKUlT_T0_E_clISt17integral_constantIbLb0EES1A_IbLb1EEEEDaS16_S17_EUlS16_E_NS1_11comp_targetILNS1_3genE8ELNS1_11target_archE1030ELNS1_3gpuE2ELNS1_3repE0EEENS1_30default_config_static_selectorELNS0_4arch9wavefront6targetE0EEEvT1_.numbered_sgpr, 0
	.set _ZN7rocprim17ROCPRIM_400000_NS6detail17trampoline_kernelINS0_14default_configENS1_25partition_config_selectorILNS1_17partition_subalgoE5EjNS0_10empty_typeEbEEZZNS1_14partition_implILS5_5ELb0ES3_mN6thrust23THRUST_200600_302600_NS6detail15normal_iteratorINSA_10device_ptrIjEEEEPS6_NSA_18transform_iteratorINSB_9not_fun_tINSA_8identityIjEEEESF_NSA_11use_defaultESM_EENS0_5tupleIJSF_S6_EEENSO_IJSG_SG_EEES6_PlJS6_EEE10hipError_tPvRmT3_T4_T5_T6_T7_T9_mT8_P12ihipStream_tbDpT10_ENKUlT_T0_E_clISt17integral_constantIbLb0EES1A_IbLb1EEEEDaS16_S17_EUlS16_E_NS1_11comp_targetILNS1_3genE8ELNS1_11target_archE1030ELNS1_3gpuE2ELNS1_3repE0EEENS1_30default_config_static_selectorELNS0_4arch9wavefront6targetE0EEEvT1_.num_named_barrier, 0
	.set _ZN7rocprim17ROCPRIM_400000_NS6detail17trampoline_kernelINS0_14default_configENS1_25partition_config_selectorILNS1_17partition_subalgoE5EjNS0_10empty_typeEbEEZZNS1_14partition_implILS5_5ELb0ES3_mN6thrust23THRUST_200600_302600_NS6detail15normal_iteratorINSA_10device_ptrIjEEEEPS6_NSA_18transform_iteratorINSB_9not_fun_tINSA_8identityIjEEEESF_NSA_11use_defaultESM_EENS0_5tupleIJSF_S6_EEENSO_IJSG_SG_EEES6_PlJS6_EEE10hipError_tPvRmT3_T4_T5_T6_T7_T9_mT8_P12ihipStream_tbDpT10_ENKUlT_T0_E_clISt17integral_constantIbLb0EES1A_IbLb1EEEEDaS16_S17_EUlS16_E_NS1_11comp_targetILNS1_3genE8ELNS1_11target_archE1030ELNS1_3gpuE2ELNS1_3repE0EEENS1_30default_config_static_selectorELNS0_4arch9wavefront6targetE0EEEvT1_.private_seg_size, 0
	.set _ZN7rocprim17ROCPRIM_400000_NS6detail17trampoline_kernelINS0_14default_configENS1_25partition_config_selectorILNS1_17partition_subalgoE5EjNS0_10empty_typeEbEEZZNS1_14partition_implILS5_5ELb0ES3_mN6thrust23THRUST_200600_302600_NS6detail15normal_iteratorINSA_10device_ptrIjEEEEPS6_NSA_18transform_iteratorINSB_9not_fun_tINSA_8identityIjEEEESF_NSA_11use_defaultESM_EENS0_5tupleIJSF_S6_EEENSO_IJSG_SG_EEES6_PlJS6_EEE10hipError_tPvRmT3_T4_T5_T6_T7_T9_mT8_P12ihipStream_tbDpT10_ENKUlT_T0_E_clISt17integral_constantIbLb0EES1A_IbLb1EEEEDaS16_S17_EUlS16_E_NS1_11comp_targetILNS1_3genE8ELNS1_11target_archE1030ELNS1_3gpuE2ELNS1_3repE0EEENS1_30default_config_static_selectorELNS0_4arch9wavefront6targetE0EEEvT1_.uses_vcc, 0
	.set _ZN7rocprim17ROCPRIM_400000_NS6detail17trampoline_kernelINS0_14default_configENS1_25partition_config_selectorILNS1_17partition_subalgoE5EjNS0_10empty_typeEbEEZZNS1_14partition_implILS5_5ELb0ES3_mN6thrust23THRUST_200600_302600_NS6detail15normal_iteratorINSA_10device_ptrIjEEEEPS6_NSA_18transform_iteratorINSB_9not_fun_tINSA_8identityIjEEEESF_NSA_11use_defaultESM_EENS0_5tupleIJSF_S6_EEENSO_IJSG_SG_EEES6_PlJS6_EEE10hipError_tPvRmT3_T4_T5_T6_T7_T9_mT8_P12ihipStream_tbDpT10_ENKUlT_T0_E_clISt17integral_constantIbLb0EES1A_IbLb1EEEEDaS16_S17_EUlS16_E_NS1_11comp_targetILNS1_3genE8ELNS1_11target_archE1030ELNS1_3gpuE2ELNS1_3repE0EEENS1_30default_config_static_selectorELNS0_4arch9wavefront6targetE0EEEvT1_.uses_flat_scratch, 0
	.set _ZN7rocprim17ROCPRIM_400000_NS6detail17trampoline_kernelINS0_14default_configENS1_25partition_config_selectorILNS1_17partition_subalgoE5EjNS0_10empty_typeEbEEZZNS1_14partition_implILS5_5ELb0ES3_mN6thrust23THRUST_200600_302600_NS6detail15normal_iteratorINSA_10device_ptrIjEEEEPS6_NSA_18transform_iteratorINSB_9not_fun_tINSA_8identityIjEEEESF_NSA_11use_defaultESM_EENS0_5tupleIJSF_S6_EEENSO_IJSG_SG_EEES6_PlJS6_EEE10hipError_tPvRmT3_T4_T5_T6_T7_T9_mT8_P12ihipStream_tbDpT10_ENKUlT_T0_E_clISt17integral_constantIbLb0EES1A_IbLb1EEEEDaS16_S17_EUlS16_E_NS1_11comp_targetILNS1_3genE8ELNS1_11target_archE1030ELNS1_3gpuE2ELNS1_3repE0EEENS1_30default_config_static_selectorELNS0_4arch9wavefront6targetE0EEEvT1_.has_dyn_sized_stack, 0
	.set _ZN7rocprim17ROCPRIM_400000_NS6detail17trampoline_kernelINS0_14default_configENS1_25partition_config_selectorILNS1_17partition_subalgoE5EjNS0_10empty_typeEbEEZZNS1_14partition_implILS5_5ELb0ES3_mN6thrust23THRUST_200600_302600_NS6detail15normal_iteratorINSA_10device_ptrIjEEEEPS6_NSA_18transform_iteratorINSB_9not_fun_tINSA_8identityIjEEEESF_NSA_11use_defaultESM_EENS0_5tupleIJSF_S6_EEENSO_IJSG_SG_EEES6_PlJS6_EEE10hipError_tPvRmT3_T4_T5_T6_T7_T9_mT8_P12ihipStream_tbDpT10_ENKUlT_T0_E_clISt17integral_constantIbLb0EES1A_IbLb1EEEEDaS16_S17_EUlS16_E_NS1_11comp_targetILNS1_3genE8ELNS1_11target_archE1030ELNS1_3gpuE2ELNS1_3repE0EEENS1_30default_config_static_selectorELNS0_4arch9wavefront6targetE0EEEvT1_.has_recursion, 0
	.set _ZN7rocprim17ROCPRIM_400000_NS6detail17trampoline_kernelINS0_14default_configENS1_25partition_config_selectorILNS1_17partition_subalgoE5EjNS0_10empty_typeEbEEZZNS1_14partition_implILS5_5ELb0ES3_mN6thrust23THRUST_200600_302600_NS6detail15normal_iteratorINSA_10device_ptrIjEEEEPS6_NSA_18transform_iteratorINSB_9not_fun_tINSA_8identityIjEEEESF_NSA_11use_defaultESM_EENS0_5tupleIJSF_S6_EEENSO_IJSG_SG_EEES6_PlJS6_EEE10hipError_tPvRmT3_T4_T5_T6_T7_T9_mT8_P12ihipStream_tbDpT10_ENKUlT_T0_E_clISt17integral_constantIbLb0EES1A_IbLb1EEEEDaS16_S17_EUlS16_E_NS1_11comp_targetILNS1_3genE8ELNS1_11target_archE1030ELNS1_3gpuE2ELNS1_3repE0EEENS1_30default_config_static_selectorELNS0_4arch9wavefront6targetE0EEEvT1_.has_indirect_call, 0
	.section	.AMDGPU.csdata,"",@progbits
; Kernel info:
; codeLenInByte = 0
; TotalNumSgprs: 0
; NumVgprs: 0
; ScratchSize: 0
; MemoryBound: 0
; FloatMode: 240
; IeeeMode: 1
; LDSByteSize: 0 bytes/workgroup (compile time only)
; SGPRBlocks: 0
; VGPRBlocks: 0
; NumSGPRsForWavesPerEU: 1
; NumVGPRsForWavesPerEU: 1
; Occupancy: 16
; WaveLimiterHint : 0
; COMPUTE_PGM_RSRC2:SCRATCH_EN: 0
; COMPUTE_PGM_RSRC2:USER_SGPR: 2
; COMPUTE_PGM_RSRC2:TRAP_HANDLER: 0
; COMPUTE_PGM_RSRC2:TGID_X_EN: 1
; COMPUTE_PGM_RSRC2:TGID_Y_EN: 0
; COMPUTE_PGM_RSRC2:TGID_Z_EN: 0
; COMPUTE_PGM_RSRC2:TIDIG_COMP_CNT: 0
	.section	.text._ZN7rocprim17ROCPRIM_400000_NS6detail17trampoline_kernelINS0_14default_configENS1_25partition_config_selectorILNS1_17partition_subalgoE5EtNS0_10empty_typeEbEEZZNS1_14partition_implILS5_5ELb0ES3_mN6thrust23THRUST_200600_302600_NS6detail15normal_iteratorINSA_10device_ptrItEEEEPS6_NSA_18transform_iteratorINSB_9not_fun_tINSA_8identityItEEEESF_NSA_11use_defaultESM_EENS0_5tupleIJSF_S6_EEENSO_IJSG_SG_EEES6_PlJS6_EEE10hipError_tPvRmT3_T4_T5_T6_T7_T9_mT8_P12ihipStream_tbDpT10_ENKUlT_T0_E_clISt17integral_constantIbLb0EES1B_EEDaS16_S17_EUlS16_E_NS1_11comp_targetILNS1_3genE0ELNS1_11target_archE4294967295ELNS1_3gpuE0ELNS1_3repE0EEENS1_30default_config_static_selectorELNS0_4arch9wavefront6targetE0EEEvT1_,"axG",@progbits,_ZN7rocprim17ROCPRIM_400000_NS6detail17trampoline_kernelINS0_14default_configENS1_25partition_config_selectorILNS1_17partition_subalgoE5EtNS0_10empty_typeEbEEZZNS1_14partition_implILS5_5ELb0ES3_mN6thrust23THRUST_200600_302600_NS6detail15normal_iteratorINSA_10device_ptrItEEEEPS6_NSA_18transform_iteratorINSB_9not_fun_tINSA_8identityItEEEESF_NSA_11use_defaultESM_EENS0_5tupleIJSF_S6_EEENSO_IJSG_SG_EEES6_PlJS6_EEE10hipError_tPvRmT3_T4_T5_T6_T7_T9_mT8_P12ihipStream_tbDpT10_ENKUlT_T0_E_clISt17integral_constantIbLb0EES1B_EEDaS16_S17_EUlS16_E_NS1_11comp_targetILNS1_3genE0ELNS1_11target_archE4294967295ELNS1_3gpuE0ELNS1_3repE0EEENS1_30default_config_static_selectorELNS0_4arch9wavefront6targetE0EEEvT1_,comdat
	.protected	_ZN7rocprim17ROCPRIM_400000_NS6detail17trampoline_kernelINS0_14default_configENS1_25partition_config_selectorILNS1_17partition_subalgoE5EtNS0_10empty_typeEbEEZZNS1_14partition_implILS5_5ELb0ES3_mN6thrust23THRUST_200600_302600_NS6detail15normal_iteratorINSA_10device_ptrItEEEEPS6_NSA_18transform_iteratorINSB_9not_fun_tINSA_8identityItEEEESF_NSA_11use_defaultESM_EENS0_5tupleIJSF_S6_EEENSO_IJSG_SG_EEES6_PlJS6_EEE10hipError_tPvRmT3_T4_T5_T6_T7_T9_mT8_P12ihipStream_tbDpT10_ENKUlT_T0_E_clISt17integral_constantIbLb0EES1B_EEDaS16_S17_EUlS16_E_NS1_11comp_targetILNS1_3genE0ELNS1_11target_archE4294967295ELNS1_3gpuE0ELNS1_3repE0EEENS1_30default_config_static_selectorELNS0_4arch9wavefront6targetE0EEEvT1_ ; -- Begin function _ZN7rocprim17ROCPRIM_400000_NS6detail17trampoline_kernelINS0_14default_configENS1_25partition_config_selectorILNS1_17partition_subalgoE5EtNS0_10empty_typeEbEEZZNS1_14partition_implILS5_5ELb0ES3_mN6thrust23THRUST_200600_302600_NS6detail15normal_iteratorINSA_10device_ptrItEEEEPS6_NSA_18transform_iteratorINSB_9not_fun_tINSA_8identityItEEEESF_NSA_11use_defaultESM_EENS0_5tupleIJSF_S6_EEENSO_IJSG_SG_EEES6_PlJS6_EEE10hipError_tPvRmT3_T4_T5_T6_T7_T9_mT8_P12ihipStream_tbDpT10_ENKUlT_T0_E_clISt17integral_constantIbLb0EES1B_EEDaS16_S17_EUlS16_E_NS1_11comp_targetILNS1_3genE0ELNS1_11target_archE4294967295ELNS1_3gpuE0ELNS1_3repE0EEENS1_30default_config_static_selectorELNS0_4arch9wavefront6targetE0EEEvT1_
	.globl	_ZN7rocprim17ROCPRIM_400000_NS6detail17trampoline_kernelINS0_14default_configENS1_25partition_config_selectorILNS1_17partition_subalgoE5EtNS0_10empty_typeEbEEZZNS1_14partition_implILS5_5ELb0ES3_mN6thrust23THRUST_200600_302600_NS6detail15normal_iteratorINSA_10device_ptrItEEEEPS6_NSA_18transform_iteratorINSB_9not_fun_tINSA_8identityItEEEESF_NSA_11use_defaultESM_EENS0_5tupleIJSF_S6_EEENSO_IJSG_SG_EEES6_PlJS6_EEE10hipError_tPvRmT3_T4_T5_T6_T7_T9_mT8_P12ihipStream_tbDpT10_ENKUlT_T0_E_clISt17integral_constantIbLb0EES1B_EEDaS16_S17_EUlS16_E_NS1_11comp_targetILNS1_3genE0ELNS1_11target_archE4294967295ELNS1_3gpuE0ELNS1_3repE0EEENS1_30default_config_static_selectorELNS0_4arch9wavefront6targetE0EEEvT1_
	.p2align	8
	.type	_ZN7rocprim17ROCPRIM_400000_NS6detail17trampoline_kernelINS0_14default_configENS1_25partition_config_selectorILNS1_17partition_subalgoE5EtNS0_10empty_typeEbEEZZNS1_14partition_implILS5_5ELb0ES3_mN6thrust23THRUST_200600_302600_NS6detail15normal_iteratorINSA_10device_ptrItEEEEPS6_NSA_18transform_iteratorINSB_9not_fun_tINSA_8identityItEEEESF_NSA_11use_defaultESM_EENS0_5tupleIJSF_S6_EEENSO_IJSG_SG_EEES6_PlJS6_EEE10hipError_tPvRmT3_T4_T5_T6_T7_T9_mT8_P12ihipStream_tbDpT10_ENKUlT_T0_E_clISt17integral_constantIbLb0EES1B_EEDaS16_S17_EUlS16_E_NS1_11comp_targetILNS1_3genE0ELNS1_11target_archE4294967295ELNS1_3gpuE0ELNS1_3repE0EEENS1_30default_config_static_selectorELNS0_4arch9wavefront6targetE0EEEvT1_,@function
_ZN7rocprim17ROCPRIM_400000_NS6detail17trampoline_kernelINS0_14default_configENS1_25partition_config_selectorILNS1_17partition_subalgoE5EtNS0_10empty_typeEbEEZZNS1_14partition_implILS5_5ELb0ES3_mN6thrust23THRUST_200600_302600_NS6detail15normal_iteratorINSA_10device_ptrItEEEEPS6_NSA_18transform_iteratorINSB_9not_fun_tINSA_8identityItEEEESF_NSA_11use_defaultESM_EENS0_5tupleIJSF_S6_EEENSO_IJSG_SG_EEES6_PlJS6_EEE10hipError_tPvRmT3_T4_T5_T6_T7_T9_mT8_P12ihipStream_tbDpT10_ENKUlT_T0_E_clISt17integral_constantIbLb0EES1B_EEDaS16_S17_EUlS16_E_NS1_11comp_targetILNS1_3genE0ELNS1_11target_archE4294967295ELNS1_3gpuE0ELNS1_3repE0EEENS1_30default_config_static_selectorELNS0_4arch9wavefront6targetE0EEEvT1_: ; @_ZN7rocprim17ROCPRIM_400000_NS6detail17trampoline_kernelINS0_14default_configENS1_25partition_config_selectorILNS1_17partition_subalgoE5EtNS0_10empty_typeEbEEZZNS1_14partition_implILS5_5ELb0ES3_mN6thrust23THRUST_200600_302600_NS6detail15normal_iteratorINSA_10device_ptrItEEEEPS6_NSA_18transform_iteratorINSB_9not_fun_tINSA_8identityItEEEESF_NSA_11use_defaultESM_EENS0_5tupleIJSF_S6_EEENSO_IJSG_SG_EEES6_PlJS6_EEE10hipError_tPvRmT3_T4_T5_T6_T7_T9_mT8_P12ihipStream_tbDpT10_ENKUlT_T0_E_clISt17integral_constantIbLb0EES1B_EEDaS16_S17_EUlS16_E_NS1_11comp_targetILNS1_3genE0ELNS1_11target_archE4294967295ELNS1_3gpuE0ELNS1_3repE0EEENS1_30default_config_static_selectorELNS0_4arch9wavefront6targetE0EEEvT1_
; %bb.0:
	.section	.rodata,"a",@progbits
	.p2align	6, 0x0
	.amdhsa_kernel _ZN7rocprim17ROCPRIM_400000_NS6detail17trampoline_kernelINS0_14default_configENS1_25partition_config_selectorILNS1_17partition_subalgoE5EtNS0_10empty_typeEbEEZZNS1_14partition_implILS5_5ELb0ES3_mN6thrust23THRUST_200600_302600_NS6detail15normal_iteratorINSA_10device_ptrItEEEEPS6_NSA_18transform_iteratorINSB_9not_fun_tINSA_8identityItEEEESF_NSA_11use_defaultESM_EENS0_5tupleIJSF_S6_EEENSO_IJSG_SG_EEES6_PlJS6_EEE10hipError_tPvRmT3_T4_T5_T6_T7_T9_mT8_P12ihipStream_tbDpT10_ENKUlT_T0_E_clISt17integral_constantIbLb0EES1B_EEDaS16_S17_EUlS16_E_NS1_11comp_targetILNS1_3genE0ELNS1_11target_archE4294967295ELNS1_3gpuE0ELNS1_3repE0EEENS1_30default_config_static_selectorELNS0_4arch9wavefront6targetE0EEEvT1_
		.amdhsa_group_segment_fixed_size 0
		.amdhsa_private_segment_fixed_size 0
		.amdhsa_kernarg_size 120
		.amdhsa_user_sgpr_count 2
		.amdhsa_user_sgpr_dispatch_ptr 0
		.amdhsa_user_sgpr_queue_ptr 0
		.amdhsa_user_sgpr_kernarg_segment_ptr 1
		.amdhsa_user_sgpr_dispatch_id 0
		.amdhsa_user_sgpr_private_segment_size 0
		.amdhsa_wavefront_size32 1
		.amdhsa_uses_dynamic_stack 0
		.amdhsa_enable_private_segment 0
		.amdhsa_system_sgpr_workgroup_id_x 1
		.amdhsa_system_sgpr_workgroup_id_y 0
		.amdhsa_system_sgpr_workgroup_id_z 0
		.amdhsa_system_sgpr_workgroup_info 0
		.amdhsa_system_vgpr_workitem_id 0
		.amdhsa_next_free_vgpr 1
		.amdhsa_next_free_sgpr 1
		.amdhsa_reserve_vcc 0
		.amdhsa_float_round_mode_32 0
		.amdhsa_float_round_mode_16_64 0
		.amdhsa_float_denorm_mode_32 3
		.amdhsa_float_denorm_mode_16_64 3
		.amdhsa_fp16_overflow 0
		.amdhsa_workgroup_processor_mode 1
		.amdhsa_memory_ordered 1
		.amdhsa_forward_progress 1
		.amdhsa_inst_pref_size 0
		.amdhsa_round_robin_scheduling 0
		.amdhsa_exception_fp_ieee_invalid_op 0
		.amdhsa_exception_fp_denorm_src 0
		.amdhsa_exception_fp_ieee_div_zero 0
		.amdhsa_exception_fp_ieee_overflow 0
		.amdhsa_exception_fp_ieee_underflow 0
		.amdhsa_exception_fp_ieee_inexact 0
		.amdhsa_exception_int_div_zero 0
	.end_amdhsa_kernel
	.section	.text._ZN7rocprim17ROCPRIM_400000_NS6detail17trampoline_kernelINS0_14default_configENS1_25partition_config_selectorILNS1_17partition_subalgoE5EtNS0_10empty_typeEbEEZZNS1_14partition_implILS5_5ELb0ES3_mN6thrust23THRUST_200600_302600_NS6detail15normal_iteratorINSA_10device_ptrItEEEEPS6_NSA_18transform_iteratorINSB_9not_fun_tINSA_8identityItEEEESF_NSA_11use_defaultESM_EENS0_5tupleIJSF_S6_EEENSO_IJSG_SG_EEES6_PlJS6_EEE10hipError_tPvRmT3_T4_T5_T6_T7_T9_mT8_P12ihipStream_tbDpT10_ENKUlT_T0_E_clISt17integral_constantIbLb0EES1B_EEDaS16_S17_EUlS16_E_NS1_11comp_targetILNS1_3genE0ELNS1_11target_archE4294967295ELNS1_3gpuE0ELNS1_3repE0EEENS1_30default_config_static_selectorELNS0_4arch9wavefront6targetE0EEEvT1_,"axG",@progbits,_ZN7rocprim17ROCPRIM_400000_NS6detail17trampoline_kernelINS0_14default_configENS1_25partition_config_selectorILNS1_17partition_subalgoE5EtNS0_10empty_typeEbEEZZNS1_14partition_implILS5_5ELb0ES3_mN6thrust23THRUST_200600_302600_NS6detail15normal_iteratorINSA_10device_ptrItEEEEPS6_NSA_18transform_iteratorINSB_9not_fun_tINSA_8identityItEEEESF_NSA_11use_defaultESM_EENS0_5tupleIJSF_S6_EEENSO_IJSG_SG_EEES6_PlJS6_EEE10hipError_tPvRmT3_T4_T5_T6_T7_T9_mT8_P12ihipStream_tbDpT10_ENKUlT_T0_E_clISt17integral_constantIbLb0EES1B_EEDaS16_S17_EUlS16_E_NS1_11comp_targetILNS1_3genE0ELNS1_11target_archE4294967295ELNS1_3gpuE0ELNS1_3repE0EEENS1_30default_config_static_selectorELNS0_4arch9wavefront6targetE0EEEvT1_,comdat
.Lfunc_end917:
	.size	_ZN7rocprim17ROCPRIM_400000_NS6detail17trampoline_kernelINS0_14default_configENS1_25partition_config_selectorILNS1_17partition_subalgoE5EtNS0_10empty_typeEbEEZZNS1_14partition_implILS5_5ELb0ES3_mN6thrust23THRUST_200600_302600_NS6detail15normal_iteratorINSA_10device_ptrItEEEEPS6_NSA_18transform_iteratorINSB_9not_fun_tINSA_8identityItEEEESF_NSA_11use_defaultESM_EENS0_5tupleIJSF_S6_EEENSO_IJSG_SG_EEES6_PlJS6_EEE10hipError_tPvRmT3_T4_T5_T6_T7_T9_mT8_P12ihipStream_tbDpT10_ENKUlT_T0_E_clISt17integral_constantIbLb0EES1B_EEDaS16_S17_EUlS16_E_NS1_11comp_targetILNS1_3genE0ELNS1_11target_archE4294967295ELNS1_3gpuE0ELNS1_3repE0EEENS1_30default_config_static_selectorELNS0_4arch9wavefront6targetE0EEEvT1_, .Lfunc_end917-_ZN7rocprim17ROCPRIM_400000_NS6detail17trampoline_kernelINS0_14default_configENS1_25partition_config_selectorILNS1_17partition_subalgoE5EtNS0_10empty_typeEbEEZZNS1_14partition_implILS5_5ELb0ES3_mN6thrust23THRUST_200600_302600_NS6detail15normal_iteratorINSA_10device_ptrItEEEEPS6_NSA_18transform_iteratorINSB_9not_fun_tINSA_8identityItEEEESF_NSA_11use_defaultESM_EENS0_5tupleIJSF_S6_EEENSO_IJSG_SG_EEES6_PlJS6_EEE10hipError_tPvRmT3_T4_T5_T6_T7_T9_mT8_P12ihipStream_tbDpT10_ENKUlT_T0_E_clISt17integral_constantIbLb0EES1B_EEDaS16_S17_EUlS16_E_NS1_11comp_targetILNS1_3genE0ELNS1_11target_archE4294967295ELNS1_3gpuE0ELNS1_3repE0EEENS1_30default_config_static_selectorELNS0_4arch9wavefront6targetE0EEEvT1_
                                        ; -- End function
	.set _ZN7rocprim17ROCPRIM_400000_NS6detail17trampoline_kernelINS0_14default_configENS1_25partition_config_selectorILNS1_17partition_subalgoE5EtNS0_10empty_typeEbEEZZNS1_14partition_implILS5_5ELb0ES3_mN6thrust23THRUST_200600_302600_NS6detail15normal_iteratorINSA_10device_ptrItEEEEPS6_NSA_18transform_iteratorINSB_9not_fun_tINSA_8identityItEEEESF_NSA_11use_defaultESM_EENS0_5tupleIJSF_S6_EEENSO_IJSG_SG_EEES6_PlJS6_EEE10hipError_tPvRmT3_T4_T5_T6_T7_T9_mT8_P12ihipStream_tbDpT10_ENKUlT_T0_E_clISt17integral_constantIbLb0EES1B_EEDaS16_S17_EUlS16_E_NS1_11comp_targetILNS1_3genE0ELNS1_11target_archE4294967295ELNS1_3gpuE0ELNS1_3repE0EEENS1_30default_config_static_selectorELNS0_4arch9wavefront6targetE0EEEvT1_.num_vgpr, 0
	.set _ZN7rocprim17ROCPRIM_400000_NS6detail17trampoline_kernelINS0_14default_configENS1_25partition_config_selectorILNS1_17partition_subalgoE5EtNS0_10empty_typeEbEEZZNS1_14partition_implILS5_5ELb0ES3_mN6thrust23THRUST_200600_302600_NS6detail15normal_iteratorINSA_10device_ptrItEEEEPS6_NSA_18transform_iteratorINSB_9not_fun_tINSA_8identityItEEEESF_NSA_11use_defaultESM_EENS0_5tupleIJSF_S6_EEENSO_IJSG_SG_EEES6_PlJS6_EEE10hipError_tPvRmT3_T4_T5_T6_T7_T9_mT8_P12ihipStream_tbDpT10_ENKUlT_T0_E_clISt17integral_constantIbLb0EES1B_EEDaS16_S17_EUlS16_E_NS1_11comp_targetILNS1_3genE0ELNS1_11target_archE4294967295ELNS1_3gpuE0ELNS1_3repE0EEENS1_30default_config_static_selectorELNS0_4arch9wavefront6targetE0EEEvT1_.num_agpr, 0
	.set _ZN7rocprim17ROCPRIM_400000_NS6detail17trampoline_kernelINS0_14default_configENS1_25partition_config_selectorILNS1_17partition_subalgoE5EtNS0_10empty_typeEbEEZZNS1_14partition_implILS5_5ELb0ES3_mN6thrust23THRUST_200600_302600_NS6detail15normal_iteratorINSA_10device_ptrItEEEEPS6_NSA_18transform_iteratorINSB_9not_fun_tINSA_8identityItEEEESF_NSA_11use_defaultESM_EENS0_5tupleIJSF_S6_EEENSO_IJSG_SG_EEES6_PlJS6_EEE10hipError_tPvRmT3_T4_T5_T6_T7_T9_mT8_P12ihipStream_tbDpT10_ENKUlT_T0_E_clISt17integral_constantIbLb0EES1B_EEDaS16_S17_EUlS16_E_NS1_11comp_targetILNS1_3genE0ELNS1_11target_archE4294967295ELNS1_3gpuE0ELNS1_3repE0EEENS1_30default_config_static_selectorELNS0_4arch9wavefront6targetE0EEEvT1_.numbered_sgpr, 0
	.set _ZN7rocprim17ROCPRIM_400000_NS6detail17trampoline_kernelINS0_14default_configENS1_25partition_config_selectorILNS1_17partition_subalgoE5EtNS0_10empty_typeEbEEZZNS1_14partition_implILS5_5ELb0ES3_mN6thrust23THRUST_200600_302600_NS6detail15normal_iteratorINSA_10device_ptrItEEEEPS6_NSA_18transform_iteratorINSB_9not_fun_tINSA_8identityItEEEESF_NSA_11use_defaultESM_EENS0_5tupleIJSF_S6_EEENSO_IJSG_SG_EEES6_PlJS6_EEE10hipError_tPvRmT3_T4_T5_T6_T7_T9_mT8_P12ihipStream_tbDpT10_ENKUlT_T0_E_clISt17integral_constantIbLb0EES1B_EEDaS16_S17_EUlS16_E_NS1_11comp_targetILNS1_3genE0ELNS1_11target_archE4294967295ELNS1_3gpuE0ELNS1_3repE0EEENS1_30default_config_static_selectorELNS0_4arch9wavefront6targetE0EEEvT1_.num_named_barrier, 0
	.set _ZN7rocprim17ROCPRIM_400000_NS6detail17trampoline_kernelINS0_14default_configENS1_25partition_config_selectorILNS1_17partition_subalgoE5EtNS0_10empty_typeEbEEZZNS1_14partition_implILS5_5ELb0ES3_mN6thrust23THRUST_200600_302600_NS6detail15normal_iteratorINSA_10device_ptrItEEEEPS6_NSA_18transform_iteratorINSB_9not_fun_tINSA_8identityItEEEESF_NSA_11use_defaultESM_EENS0_5tupleIJSF_S6_EEENSO_IJSG_SG_EEES6_PlJS6_EEE10hipError_tPvRmT3_T4_T5_T6_T7_T9_mT8_P12ihipStream_tbDpT10_ENKUlT_T0_E_clISt17integral_constantIbLb0EES1B_EEDaS16_S17_EUlS16_E_NS1_11comp_targetILNS1_3genE0ELNS1_11target_archE4294967295ELNS1_3gpuE0ELNS1_3repE0EEENS1_30default_config_static_selectorELNS0_4arch9wavefront6targetE0EEEvT1_.private_seg_size, 0
	.set _ZN7rocprim17ROCPRIM_400000_NS6detail17trampoline_kernelINS0_14default_configENS1_25partition_config_selectorILNS1_17partition_subalgoE5EtNS0_10empty_typeEbEEZZNS1_14partition_implILS5_5ELb0ES3_mN6thrust23THRUST_200600_302600_NS6detail15normal_iteratorINSA_10device_ptrItEEEEPS6_NSA_18transform_iteratorINSB_9not_fun_tINSA_8identityItEEEESF_NSA_11use_defaultESM_EENS0_5tupleIJSF_S6_EEENSO_IJSG_SG_EEES6_PlJS6_EEE10hipError_tPvRmT3_T4_T5_T6_T7_T9_mT8_P12ihipStream_tbDpT10_ENKUlT_T0_E_clISt17integral_constantIbLb0EES1B_EEDaS16_S17_EUlS16_E_NS1_11comp_targetILNS1_3genE0ELNS1_11target_archE4294967295ELNS1_3gpuE0ELNS1_3repE0EEENS1_30default_config_static_selectorELNS0_4arch9wavefront6targetE0EEEvT1_.uses_vcc, 0
	.set _ZN7rocprim17ROCPRIM_400000_NS6detail17trampoline_kernelINS0_14default_configENS1_25partition_config_selectorILNS1_17partition_subalgoE5EtNS0_10empty_typeEbEEZZNS1_14partition_implILS5_5ELb0ES3_mN6thrust23THRUST_200600_302600_NS6detail15normal_iteratorINSA_10device_ptrItEEEEPS6_NSA_18transform_iteratorINSB_9not_fun_tINSA_8identityItEEEESF_NSA_11use_defaultESM_EENS0_5tupleIJSF_S6_EEENSO_IJSG_SG_EEES6_PlJS6_EEE10hipError_tPvRmT3_T4_T5_T6_T7_T9_mT8_P12ihipStream_tbDpT10_ENKUlT_T0_E_clISt17integral_constantIbLb0EES1B_EEDaS16_S17_EUlS16_E_NS1_11comp_targetILNS1_3genE0ELNS1_11target_archE4294967295ELNS1_3gpuE0ELNS1_3repE0EEENS1_30default_config_static_selectorELNS0_4arch9wavefront6targetE0EEEvT1_.uses_flat_scratch, 0
	.set _ZN7rocprim17ROCPRIM_400000_NS6detail17trampoline_kernelINS0_14default_configENS1_25partition_config_selectorILNS1_17partition_subalgoE5EtNS0_10empty_typeEbEEZZNS1_14partition_implILS5_5ELb0ES3_mN6thrust23THRUST_200600_302600_NS6detail15normal_iteratorINSA_10device_ptrItEEEEPS6_NSA_18transform_iteratorINSB_9not_fun_tINSA_8identityItEEEESF_NSA_11use_defaultESM_EENS0_5tupleIJSF_S6_EEENSO_IJSG_SG_EEES6_PlJS6_EEE10hipError_tPvRmT3_T4_T5_T6_T7_T9_mT8_P12ihipStream_tbDpT10_ENKUlT_T0_E_clISt17integral_constantIbLb0EES1B_EEDaS16_S17_EUlS16_E_NS1_11comp_targetILNS1_3genE0ELNS1_11target_archE4294967295ELNS1_3gpuE0ELNS1_3repE0EEENS1_30default_config_static_selectorELNS0_4arch9wavefront6targetE0EEEvT1_.has_dyn_sized_stack, 0
	.set _ZN7rocprim17ROCPRIM_400000_NS6detail17trampoline_kernelINS0_14default_configENS1_25partition_config_selectorILNS1_17partition_subalgoE5EtNS0_10empty_typeEbEEZZNS1_14partition_implILS5_5ELb0ES3_mN6thrust23THRUST_200600_302600_NS6detail15normal_iteratorINSA_10device_ptrItEEEEPS6_NSA_18transform_iteratorINSB_9not_fun_tINSA_8identityItEEEESF_NSA_11use_defaultESM_EENS0_5tupleIJSF_S6_EEENSO_IJSG_SG_EEES6_PlJS6_EEE10hipError_tPvRmT3_T4_T5_T6_T7_T9_mT8_P12ihipStream_tbDpT10_ENKUlT_T0_E_clISt17integral_constantIbLb0EES1B_EEDaS16_S17_EUlS16_E_NS1_11comp_targetILNS1_3genE0ELNS1_11target_archE4294967295ELNS1_3gpuE0ELNS1_3repE0EEENS1_30default_config_static_selectorELNS0_4arch9wavefront6targetE0EEEvT1_.has_recursion, 0
	.set _ZN7rocprim17ROCPRIM_400000_NS6detail17trampoline_kernelINS0_14default_configENS1_25partition_config_selectorILNS1_17partition_subalgoE5EtNS0_10empty_typeEbEEZZNS1_14partition_implILS5_5ELb0ES3_mN6thrust23THRUST_200600_302600_NS6detail15normal_iteratorINSA_10device_ptrItEEEEPS6_NSA_18transform_iteratorINSB_9not_fun_tINSA_8identityItEEEESF_NSA_11use_defaultESM_EENS0_5tupleIJSF_S6_EEENSO_IJSG_SG_EEES6_PlJS6_EEE10hipError_tPvRmT3_T4_T5_T6_T7_T9_mT8_P12ihipStream_tbDpT10_ENKUlT_T0_E_clISt17integral_constantIbLb0EES1B_EEDaS16_S17_EUlS16_E_NS1_11comp_targetILNS1_3genE0ELNS1_11target_archE4294967295ELNS1_3gpuE0ELNS1_3repE0EEENS1_30default_config_static_selectorELNS0_4arch9wavefront6targetE0EEEvT1_.has_indirect_call, 0
	.section	.AMDGPU.csdata,"",@progbits
; Kernel info:
; codeLenInByte = 0
; TotalNumSgprs: 0
; NumVgprs: 0
; ScratchSize: 0
; MemoryBound: 0
; FloatMode: 240
; IeeeMode: 1
; LDSByteSize: 0 bytes/workgroup (compile time only)
; SGPRBlocks: 0
; VGPRBlocks: 0
; NumSGPRsForWavesPerEU: 1
; NumVGPRsForWavesPerEU: 1
; Occupancy: 16
; WaveLimiterHint : 0
; COMPUTE_PGM_RSRC2:SCRATCH_EN: 0
; COMPUTE_PGM_RSRC2:USER_SGPR: 2
; COMPUTE_PGM_RSRC2:TRAP_HANDLER: 0
; COMPUTE_PGM_RSRC2:TGID_X_EN: 1
; COMPUTE_PGM_RSRC2:TGID_Y_EN: 0
; COMPUTE_PGM_RSRC2:TGID_Z_EN: 0
; COMPUTE_PGM_RSRC2:TIDIG_COMP_CNT: 0
	.section	.text._ZN7rocprim17ROCPRIM_400000_NS6detail17trampoline_kernelINS0_14default_configENS1_25partition_config_selectorILNS1_17partition_subalgoE5EtNS0_10empty_typeEbEEZZNS1_14partition_implILS5_5ELb0ES3_mN6thrust23THRUST_200600_302600_NS6detail15normal_iteratorINSA_10device_ptrItEEEEPS6_NSA_18transform_iteratorINSB_9not_fun_tINSA_8identityItEEEESF_NSA_11use_defaultESM_EENS0_5tupleIJSF_S6_EEENSO_IJSG_SG_EEES6_PlJS6_EEE10hipError_tPvRmT3_T4_T5_T6_T7_T9_mT8_P12ihipStream_tbDpT10_ENKUlT_T0_E_clISt17integral_constantIbLb0EES1B_EEDaS16_S17_EUlS16_E_NS1_11comp_targetILNS1_3genE5ELNS1_11target_archE942ELNS1_3gpuE9ELNS1_3repE0EEENS1_30default_config_static_selectorELNS0_4arch9wavefront6targetE0EEEvT1_,"axG",@progbits,_ZN7rocprim17ROCPRIM_400000_NS6detail17trampoline_kernelINS0_14default_configENS1_25partition_config_selectorILNS1_17partition_subalgoE5EtNS0_10empty_typeEbEEZZNS1_14partition_implILS5_5ELb0ES3_mN6thrust23THRUST_200600_302600_NS6detail15normal_iteratorINSA_10device_ptrItEEEEPS6_NSA_18transform_iteratorINSB_9not_fun_tINSA_8identityItEEEESF_NSA_11use_defaultESM_EENS0_5tupleIJSF_S6_EEENSO_IJSG_SG_EEES6_PlJS6_EEE10hipError_tPvRmT3_T4_T5_T6_T7_T9_mT8_P12ihipStream_tbDpT10_ENKUlT_T0_E_clISt17integral_constantIbLb0EES1B_EEDaS16_S17_EUlS16_E_NS1_11comp_targetILNS1_3genE5ELNS1_11target_archE942ELNS1_3gpuE9ELNS1_3repE0EEENS1_30default_config_static_selectorELNS0_4arch9wavefront6targetE0EEEvT1_,comdat
	.protected	_ZN7rocprim17ROCPRIM_400000_NS6detail17trampoline_kernelINS0_14default_configENS1_25partition_config_selectorILNS1_17partition_subalgoE5EtNS0_10empty_typeEbEEZZNS1_14partition_implILS5_5ELb0ES3_mN6thrust23THRUST_200600_302600_NS6detail15normal_iteratorINSA_10device_ptrItEEEEPS6_NSA_18transform_iteratorINSB_9not_fun_tINSA_8identityItEEEESF_NSA_11use_defaultESM_EENS0_5tupleIJSF_S6_EEENSO_IJSG_SG_EEES6_PlJS6_EEE10hipError_tPvRmT3_T4_T5_T6_T7_T9_mT8_P12ihipStream_tbDpT10_ENKUlT_T0_E_clISt17integral_constantIbLb0EES1B_EEDaS16_S17_EUlS16_E_NS1_11comp_targetILNS1_3genE5ELNS1_11target_archE942ELNS1_3gpuE9ELNS1_3repE0EEENS1_30default_config_static_selectorELNS0_4arch9wavefront6targetE0EEEvT1_ ; -- Begin function _ZN7rocprim17ROCPRIM_400000_NS6detail17trampoline_kernelINS0_14default_configENS1_25partition_config_selectorILNS1_17partition_subalgoE5EtNS0_10empty_typeEbEEZZNS1_14partition_implILS5_5ELb0ES3_mN6thrust23THRUST_200600_302600_NS6detail15normal_iteratorINSA_10device_ptrItEEEEPS6_NSA_18transform_iteratorINSB_9not_fun_tINSA_8identityItEEEESF_NSA_11use_defaultESM_EENS0_5tupleIJSF_S6_EEENSO_IJSG_SG_EEES6_PlJS6_EEE10hipError_tPvRmT3_T4_T5_T6_T7_T9_mT8_P12ihipStream_tbDpT10_ENKUlT_T0_E_clISt17integral_constantIbLb0EES1B_EEDaS16_S17_EUlS16_E_NS1_11comp_targetILNS1_3genE5ELNS1_11target_archE942ELNS1_3gpuE9ELNS1_3repE0EEENS1_30default_config_static_selectorELNS0_4arch9wavefront6targetE0EEEvT1_
	.globl	_ZN7rocprim17ROCPRIM_400000_NS6detail17trampoline_kernelINS0_14default_configENS1_25partition_config_selectorILNS1_17partition_subalgoE5EtNS0_10empty_typeEbEEZZNS1_14partition_implILS5_5ELb0ES3_mN6thrust23THRUST_200600_302600_NS6detail15normal_iteratorINSA_10device_ptrItEEEEPS6_NSA_18transform_iteratorINSB_9not_fun_tINSA_8identityItEEEESF_NSA_11use_defaultESM_EENS0_5tupleIJSF_S6_EEENSO_IJSG_SG_EEES6_PlJS6_EEE10hipError_tPvRmT3_T4_T5_T6_T7_T9_mT8_P12ihipStream_tbDpT10_ENKUlT_T0_E_clISt17integral_constantIbLb0EES1B_EEDaS16_S17_EUlS16_E_NS1_11comp_targetILNS1_3genE5ELNS1_11target_archE942ELNS1_3gpuE9ELNS1_3repE0EEENS1_30default_config_static_selectorELNS0_4arch9wavefront6targetE0EEEvT1_
	.p2align	8
	.type	_ZN7rocprim17ROCPRIM_400000_NS6detail17trampoline_kernelINS0_14default_configENS1_25partition_config_selectorILNS1_17partition_subalgoE5EtNS0_10empty_typeEbEEZZNS1_14partition_implILS5_5ELb0ES3_mN6thrust23THRUST_200600_302600_NS6detail15normal_iteratorINSA_10device_ptrItEEEEPS6_NSA_18transform_iteratorINSB_9not_fun_tINSA_8identityItEEEESF_NSA_11use_defaultESM_EENS0_5tupleIJSF_S6_EEENSO_IJSG_SG_EEES6_PlJS6_EEE10hipError_tPvRmT3_T4_T5_T6_T7_T9_mT8_P12ihipStream_tbDpT10_ENKUlT_T0_E_clISt17integral_constantIbLb0EES1B_EEDaS16_S17_EUlS16_E_NS1_11comp_targetILNS1_3genE5ELNS1_11target_archE942ELNS1_3gpuE9ELNS1_3repE0EEENS1_30default_config_static_selectorELNS0_4arch9wavefront6targetE0EEEvT1_,@function
_ZN7rocprim17ROCPRIM_400000_NS6detail17trampoline_kernelINS0_14default_configENS1_25partition_config_selectorILNS1_17partition_subalgoE5EtNS0_10empty_typeEbEEZZNS1_14partition_implILS5_5ELb0ES3_mN6thrust23THRUST_200600_302600_NS6detail15normal_iteratorINSA_10device_ptrItEEEEPS6_NSA_18transform_iteratorINSB_9not_fun_tINSA_8identityItEEEESF_NSA_11use_defaultESM_EENS0_5tupleIJSF_S6_EEENSO_IJSG_SG_EEES6_PlJS6_EEE10hipError_tPvRmT3_T4_T5_T6_T7_T9_mT8_P12ihipStream_tbDpT10_ENKUlT_T0_E_clISt17integral_constantIbLb0EES1B_EEDaS16_S17_EUlS16_E_NS1_11comp_targetILNS1_3genE5ELNS1_11target_archE942ELNS1_3gpuE9ELNS1_3repE0EEENS1_30default_config_static_selectorELNS0_4arch9wavefront6targetE0EEEvT1_: ; @_ZN7rocprim17ROCPRIM_400000_NS6detail17trampoline_kernelINS0_14default_configENS1_25partition_config_selectorILNS1_17partition_subalgoE5EtNS0_10empty_typeEbEEZZNS1_14partition_implILS5_5ELb0ES3_mN6thrust23THRUST_200600_302600_NS6detail15normal_iteratorINSA_10device_ptrItEEEEPS6_NSA_18transform_iteratorINSB_9not_fun_tINSA_8identityItEEEESF_NSA_11use_defaultESM_EENS0_5tupleIJSF_S6_EEENSO_IJSG_SG_EEES6_PlJS6_EEE10hipError_tPvRmT3_T4_T5_T6_T7_T9_mT8_P12ihipStream_tbDpT10_ENKUlT_T0_E_clISt17integral_constantIbLb0EES1B_EEDaS16_S17_EUlS16_E_NS1_11comp_targetILNS1_3genE5ELNS1_11target_archE942ELNS1_3gpuE9ELNS1_3repE0EEENS1_30default_config_static_selectorELNS0_4arch9wavefront6targetE0EEEvT1_
; %bb.0:
	.section	.rodata,"a",@progbits
	.p2align	6, 0x0
	.amdhsa_kernel _ZN7rocprim17ROCPRIM_400000_NS6detail17trampoline_kernelINS0_14default_configENS1_25partition_config_selectorILNS1_17partition_subalgoE5EtNS0_10empty_typeEbEEZZNS1_14partition_implILS5_5ELb0ES3_mN6thrust23THRUST_200600_302600_NS6detail15normal_iteratorINSA_10device_ptrItEEEEPS6_NSA_18transform_iteratorINSB_9not_fun_tINSA_8identityItEEEESF_NSA_11use_defaultESM_EENS0_5tupleIJSF_S6_EEENSO_IJSG_SG_EEES6_PlJS6_EEE10hipError_tPvRmT3_T4_T5_T6_T7_T9_mT8_P12ihipStream_tbDpT10_ENKUlT_T0_E_clISt17integral_constantIbLb0EES1B_EEDaS16_S17_EUlS16_E_NS1_11comp_targetILNS1_3genE5ELNS1_11target_archE942ELNS1_3gpuE9ELNS1_3repE0EEENS1_30default_config_static_selectorELNS0_4arch9wavefront6targetE0EEEvT1_
		.amdhsa_group_segment_fixed_size 0
		.amdhsa_private_segment_fixed_size 0
		.amdhsa_kernarg_size 120
		.amdhsa_user_sgpr_count 2
		.amdhsa_user_sgpr_dispatch_ptr 0
		.amdhsa_user_sgpr_queue_ptr 0
		.amdhsa_user_sgpr_kernarg_segment_ptr 1
		.amdhsa_user_sgpr_dispatch_id 0
		.amdhsa_user_sgpr_private_segment_size 0
		.amdhsa_wavefront_size32 1
		.amdhsa_uses_dynamic_stack 0
		.amdhsa_enable_private_segment 0
		.amdhsa_system_sgpr_workgroup_id_x 1
		.amdhsa_system_sgpr_workgroup_id_y 0
		.amdhsa_system_sgpr_workgroup_id_z 0
		.amdhsa_system_sgpr_workgroup_info 0
		.amdhsa_system_vgpr_workitem_id 0
		.amdhsa_next_free_vgpr 1
		.amdhsa_next_free_sgpr 1
		.amdhsa_reserve_vcc 0
		.amdhsa_float_round_mode_32 0
		.amdhsa_float_round_mode_16_64 0
		.amdhsa_float_denorm_mode_32 3
		.amdhsa_float_denorm_mode_16_64 3
		.amdhsa_fp16_overflow 0
		.amdhsa_workgroup_processor_mode 1
		.amdhsa_memory_ordered 1
		.amdhsa_forward_progress 1
		.amdhsa_inst_pref_size 0
		.amdhsa_round_robin_scheduling 0
		.amdhsa_exception_fp_ieee_invalid_op 0
		.amdhsa_exception_fp_denorm_src 0
		.amdhsa_exception_fp_ieee_div_zero 0
		.amdhsa_exception_fp_ieee_overflow 0
		.amdhsa_exception_fp_ieee_underflow 0
		.amdhsa_exception_fp_ieee_inexact 0
		.amdhsa_exception_int_div_zero 0
	.end_amdhsa_kernel
	.section	.text._ZN7rocprim17ROCPRIM_400000_NS6detail17trampoline_kernelINS0_14default_configENS1_25partition_config_selectorILNS1_17partition_subalgoE5EtNS0_10empty_typeEbEEZZNS1_14partition_implILS5_5ELb0ES3_mN6thrust23THRUST_200600_302600_NS6detail15normal_iteratorINSA_10device_ptrItEEEEPS6_NSA_18transform_iteratorINSB_9not_fun_tINSA_8identityItEEEESF_NSA_11use_defaultESM_EENS0_5tupleIJSF_S6_EEENSO_IJSG_SG_EEES6_PlJS6_EEE10hipError_tPvRmT3_T4_T5_T6_T7_T9_mT8_P12ihipStream_tbDpT10_ENKUlT_T0_E_clISt17integral_constantIbLb0EES1B_EEDaS16_S17_EUlS16_E_NS1_11comp_targetILNS1_3genE5ELNS1_11target_archE942ELNS1_3gpuE9ELNS1_3repE0EEENS1_30default_config_static_selectorELNS0_4arch9wavefront6targetE0EEEvT1_,"axG",@progbits,_ZN7rocprim17ROCPRIM_400000_NS6detail17trampoline_kernelINS0_14default_configENS1_25partition_config_selectorILNS1_17partition_subalgoE5EtNS0_10empty_typeEbEEZZNS1_14partition_implILS5_5ELb0ES3_mN6thrust23THRUST_200600_302600_NS6detail15normal_iteratorINSA_10device_ptrItEEEEPS6_NSA_18transform_iteratorINSB_9not_fun_tINSA_8identityItEEEESF_NSA_11use_defaultESM_EENS0_5tupleIJSF_S6_EEENSO_IJSG_SG_EEES6_PlJS6_EEE10hipError_tPvRmT3_T4_T5_T6_T7_T9_mT8_P12ihipStream_tbDpT10_ENKUlT_T0_E_clISt17integral_constantIbLb0EES1B_EEDaS16_S17_EUlS16_E_NS1_11comp_targetILNS1_3genE5ELNS1_11target_archE942ELNS1_3gpuE9ELNS1_3repE0EEENS1_30default_config_static_selectorELNS0_4arch9wavefront6targetE0EEEvT1_,comdat
.Lfunc_end918:
	.size	_ZN7rocprim17ROCPRIM_400000_NS6detail17trampoline_kernelINS0_14default_configENS1_25partition_config_selectorILNS1_17partition_subalgoE5EtNS0_10empty_typeEbEEZZNS1_14partition_implILS5_5ELb0ES3_mN6thrust23THRUST_200600_302600_NS6detail15normal_iteratorINSA_10device_ptrItEEEEPS6_NSA_18transform_iteratorINSB_9not_fun_tINSA_8identityItEEEESF_NSA_11use_defaultESM_EENS0_5tupleIJSF_S6_EEENSO_IJSG_SG_EEES6_PlJS6_EEE10hipError_tPvRmT3_T4_T5_T6_T7_T9_mT8_P12ihipStream_tbDpT10_ENKUlT_T0_E_clISt17integral_constantIbLb0EES1B_EEDaS16_S17_EUlS16_E_NS1_11comp_targetILNS1_3genE5ELNS1_11target_archE942ELNS1_3gpuE9ELNS1_3repE0EEENS1_30default_config_static_selectorELNS0_4arch9wavefront6targetE0EEEvT1_, .Lfunc_end918-_ZN7rocprim17ROCPRIM_400000_NS6detail17trampoline_kernelINS0_14default_configENS1_25partition_config_selectorILNS1_17partition_subalgoE5EtNS0_10empty_typeEbEEZZNS1_14partition_implILS5_5ELb0ES3_mN6thrust23THRUST_200600_302600_NS6detail15normal_iteratorINSA_10device_ptrItEEEEPS6_NSA_18transform_iteratorINSB_9not_fun_tINSA_8identityItEEEESF_NSA_11use_defaultESM_EENS0_5tupleIJSF_S6_EEENSO_IJSG_SG_EEES6_PlJS6_EEE10hipError_tPvRmT3_T4_T5_T6_T7_T9_mT8_P12ihipStream_tbDpT10_ENKUlT_T0_E_clISt17integral_constantIbLb0EES1B_EEDaS16_S17_EUlS16_E_NS1_11comp_targetILNS1_3genE5ELNS1_11target_archE942ELNS1_3gpuE9ELNS1_3repE0EEENS1_30default_config_static_selectorELNS0_4arch9wavefront6targetE0EEEvT1_
                                        ; -- End function
	.set _ZN7rocprim17ROCPRIM_400000_NS6detail17trampoline_kernelINS0_14default_configENS1_25partition_config_selectorILNS1_17partition_subalgoE5EtNS0_10empty_typeEbEEZZNS1_14partition_implILS5_5ELb0ES3_mN6thrust23THRUST_200600_302600_NS6detail15normal_iteratorINSA_10device_ptrItEEEEPS6_NSA_18transform_iteratorINSB_9not_fun_tINSA_8identityItEEEESF_NSA_11use_defaultESM_EENS0_5tupleIJSF_S6_EEENSO_IJSG_SG_EEES6_PlJS6_EEE10hipError_tPvRmT3_T4_T5_T6_T7_T9_mT8_P12ihipStream_tbDpT10_ENKUlT_T0_E_clISt17integral_constantIbLb0EES1B_EEDaS16_S17_EUlS16_E_NS1_11comp_targetILNS1_3genE5ELNS1_11target_archE942ELNS1_3gpuE9ELNS1_3repE0EEENS1_30default_config_static_selectorELNS0_4arch9wavefront6targetE0EEEvT1_.num_vgpr, 0
	.set _ZN7rocprim17ROCPRIM_400000_NS6detail17trampoline_kernelINS0_14default_configENS1_25partition_config_selectorILNS1_17partition_subalgoE5EtNS0_10empty_typeEbEEZZNS1_14partition_implILS5_5ELb0ES3_mN6thrust23THRUST_200600_302600_NS6detail15normal_iteratorINSA_10device_ptrItEEEEPS6_NSA_18transform_iteratorINSB_9not_fun_tINSA_8identityItEEEESF_NSA_11use_defaultESM_EENS0_5tupleIJSF_S6_EEENSO_IJSG_SG_EEES6_PlJS6_EEE10hipError_tPvRmT3_T4_T5_T6_T7_T9_mT8_P12ihipStream_tbDpT10_ENKUlT_T0_E_clISt17integral_constantIbLb0EES1B_EEDaS16_S17_EUlS16_E_NS1_11comp_targetILNS1_3genE5ELNS1_11target_archE942ELNS1_3gpuE9ELNS1_3repE0EEENS1_30default_config_static_selectorELNS0_4arch9wavefront6targetE0EEEvT1_.num_agpr, 0
	.set _ZN7rocprim17ROCPRIM_400000_NS6detail17trampoline_kernelINS0_14default_configENS1_25partition_config_selectorILNS1_17partition_subalgoE5EtNS0_10empty_typeEbEEZZNS1_14partition_implILS5_5ELb0ES3_mN6thrust23THRUST_200600_302600_NS6detail15normal_iteratorINSA_10device_ptrItEEEEPS6_NSA_18transform_iteratorINSB_9not_fun_tINSA_8identityItEEEESF_NSA_11use_defaultESM_EENS0_5tupleIJSF_S6_EEENSO_IJSG_SG_EEES6_PlJS6_EEE10hipError_tPvRmT3_T4_T5_T6_T7_T9_mT8_P12ihipStream_tbDpT10_ENKUlT_T0_E_clISt17integral_constantIbLb0EES1B_EEDaS16_S17_EUlS16_E_NS1_11comp_targetILNS1_3genE5ELNS1_11target_archE942ELNS1_3gpuE9ELNS1_3repE0EEENS1_30default_config_static_selectorELNS0_4arch9wavefront6targetE0EEEvT1_.numbered_sgpr, 0
	.set _ZN7rocprim17ROCPRIM_400000_NS6detail17trampoline_kernelINS0_14default_configENS1_25partition_config_selectorILNS1_17partition_subalgoE5EtNS0_10empty_typeEbEEZZNS1_14partition_implILS5_5ELb0ES3_mN6thrust23THRUST_200600_302600_NS6detail15normal_iteratorINSA_10device_ptrItEEEEPS6_NSA_18transform_iteratorINSB_9not_fun_tINSA_8identityItEEEESF_NSA_11use_defaultESM_EENS0_5tupleIJSF_S6_EEENSO_IJSG_SG_EEES6_PlJS6_EEE10hipError_tPvRmT3_T4_T5_T6_T7_T9_mT8_P12ihipStream_tbDpT10_ENKUlT_T0_E_clISt17integral_constantIbLb0EES1B_EEDaS16_S17_EUlS16_E_NS1_11comp_targetILNS1_3genE5ELNS1_11target_archE942ELNS1_3gpuE9ELNS1_3repE0EEENS1_30default_config_static_selectorELNS0_4arch9wavefront6targetE0EEEvT1_.num_named_barrier, 0
	.set _ZN7rocprim17ROCPRIM_400000_NS6detail17trampoline_kernelINS0_14default_configENS1_25partition_config_selectorILNS1_17partition_subalgoE5EtNS0_10empty_typeEbEEZZNS1_14partition_implILS5_5ELb0ES3_mN6thrust23THRUST_200600_302600_NS6detail15normal_iteratorINSA_10device_ptrItEEEEPS6_NSA_18transform_iteratorINSB_9not_fun_tINSA_8identityItEEEESF_NSA_11use_defaultESM_EENS0_5tupleIJSF_S6_EEENSO_IJSG_SG_EEES6_PlJS6_EEE10hipError_tPvRmT3_T4_T5_T6_T7_T9_mT8_P12ihipStream_tbDpT10_ENKUlT_T0_E_clISt17integral_constantIbLb0EES1B_EEDaS16_S17_EUlS16_E_NS1_11comp_targetILNS1_3genE5ELNS1_11target_archE942ELNS1_3gpuE9ELNS1_3repE0EEENS1_30default_config_static_selectorELNS0_4arch9wavefront6targetE0EEEvT1_.private_seg_size, 0
	.set _ZN7rocprim17ROCPRIM_400000_NS6detail17trampoline_kernelINS0_14default_configENS1_25partition_config_selectorILNS1_17partition_subalgoE5EtNS0_10empty_typeEbEEZZNS1_14partition_implILS5_5ELb0ES3_mN6thrust23THRUST_200600_302600_NS6detail15normal_iteratorINSA_10device_ptrItEEEEPS6_NSA_18transform_iteratorINSB_9not_fun_tINSA_8identityItEEEESF_NSA_11use_defaultESM_EENS0_5tupleIJSF_S6_EEENSO_IJSG_SG_EEES6_PlJS6_EEE10hipError_tPvRmT3_T4_T5_T6_T7_T9_mT8_P12ihipStream_tbDpT10_ENKUlT_T0_E_clISt17integral_constantIbLb0EES1B_EEDaS16_S17_EUlS16_E_NS1_11comp_targetILNS1_3genE5ELNS1_11target_archE942ELNS1_3gpuE9ELNS1_3repE0EEENS1_30default_config_static_selectorELNS0_4arch9wavefront6targetE0EEEvT1_.uses_vcc, 0
	.set _ZN7rocprim17ROCPRIM_400000_NS6detail17trampoline_kernelINS0_14default_configENS1_25partition_config_selectorILNS1_17partition_subalgoE5EtNS0_10empty_typeEbEEZZNS1_14partition_implILS5_5ELb0ES3_mN6thrust23THRUST_200600_302600_NS6detail15normal_iteratorINSA_10device_ptrItEEEEPS6_NSA_18transform_iteratorINSB_9not_fun_tINSA_8identityItEEEESF_NSA_11use_defaultESM_EENS0_5tupleIJSF_S6_EEENSO_IJSG_SG_EEES6_PlJS6_EEE10hipError_tPvRmT3_T4_T5_T6_T7_T9_mT8_P12ihipStream_tbDpT10_ENKUlT_T0_E_clISt17integral_constantIbLb0EES1B_EEDaS16_S17_EUlS16_E_NS1_11comp_targetILNS1_3genE5ELNS1_11target_archE942ELNS1_3gpuE9ELNS1_3repE0EEENS1_30default_config_static_selectorELNS0_4arch9wavefront6targetE0EEEvT1_.uses_flat_scratch, 0
	.set _ZN7rocprim17ROCPRIM_400000_NS6detail17trampoline_kernelINS0_14default_configENS1_25partition_config_selectorILNS1_17partition_subalgoE5EtNS0_10empty_typeEbEEZZNS1_14partition_implILS5_5ELb0ES3_mN6thrust23THRUST_200600_302600_NS6detail15normal_iteratorINSA_10device_ptrItEEEEPS6_NSA_18transform_iteratorINSB_9not_fun_tINSA_8identityItEEEESF_NSA_11use_defaultESM_EENS0_5tupleIJSF_S6_EEENSO_IJSG_SG_EEES6_PlJS6_EEE10hipError_tPvRmT3_T4_T5_T6_T7_T9_mT8_P12ihipStream_tbDpT10_ENKUlT_T0_E_clISt17integral_constantIbLb0EES1B_EEDaS16_S17_EUlS16_E_NS1_11comp_targetILNS1_3genE5ELNS1_11target_archE942ELNS1_3gpuE9ELNS1_3repE0EEENS1_30default_config_static_selectorELNS0_4arch9wavefront6targetE0EEEvT1_.has_dyn_sized_stack, 0
	.set _ZN7rocprim17ROCPRIM_400000_NS6detail17trampoline_kernelINS0_14default_configENS1_25partition_config_selectorILNS1_17partition_subalgoE5EtNS0_10empty_typeEbEEZZNS1_14partition_implILS5_5ELb0ES3_mN6thrust23THRUST_200600_302600_NS6detail15normal_iteratorINSA_10device_ptrItEEEEPS6_NSA_18transform_iteratorINSB_9not_fun_tINSA_8identityItEEEESF_NSA_11use_defaultESM_EENS0_5tupleIJSF_S6_EEENSO_IJSG_SG_EEES6_PlJS6_EEE10hipError_tPvRmT3_T4_T5_T6_T7_T9_mT8_P12ihipStream_tbDpT10_ENKUlT_T0_E_clISt17integral_constantIbLb0EES1B_EEDaS16_S17_EUlS16_E_NS1_11comp_targetILNS1_3genE5ELNS1_11target_archE942ELNS1_3gpuE9ELNS1_3repE0EEENS1_30default_config_static_selectorELNS0_4arch9wavefront6targetE0EEEvT1_.has_recursion, 0
	.set _ZN7rocprim17ROCPRIM_400000_NS6detail17trampoline_kernelINS0_14default_configENS1_25partition_config_selectorILNS1_17partition_subalgoE5EtNS0_10empty_typeEbEEZZNS1_14partition_implILS5_5ELb0ES3_mN6thrust23THRUST_200600_302600_NS6detail15normal_iteratorINSA_10device_ptrItEEEEPS6_NSA_18transform_iteratorINSB_9not_fun_tINSA_8identityItEEEESF_NSA_11use_defaultESM_EENS0_5tupleIJSF_S6_EEENSO_IJSG_SG_EEES6_PlJS6_EEE10hipError_tPvRmT3_T4_T5_T6_T7_T9_mT8_P12ihipStream_tbDpT10_ENKUlT_T0_E_clISt17integral_constantIbLb0EES1B_EEDaS16_S17_EUlS16_E_NS1_11comp_targetILNS1_3genE5ELNS1_11target_archE942ELNS1_3gpuE9ELNS1_3repE0EEENS1_30default_config_static_selectorELNS0_4arch9wavefront6targetE0EEEvT1_.has_indirect_call, 0
	.section	.AMDGPU.csdata,"",@progbits
; Kernel info:
; codeLenInByte = 0
; TotalNumSgprs: 0
; NumVgprs: 0
; ScratchSize: 0
; MemoryBound: 0
; FloatMode: 240
; IeeeMode: 1
; LDSByteSize: 0 bytes/workgroup (compile time only)
; SGPRBlocks: 0
; VGPRBlocks: 0
; NumSGPRsForWavesPerEU: 1
; NumVGPRsForWavesPerEU: 1
; Occupancy: 16
; WaveLimiterHint : 0
; COMPUTE_PGM_RSRC2:SCRATCH_EN: 0
; COMPUTE_PGM_RSRC2:USER_SGPR: 2
; COMPUTE_PGM_RSRC2:TRAP_HANDLER: 0
; COMPUTE_PGM_RSRC2:TGID_X_EN: 1
; COMPUTE_PGM_RSRC2:TGID_Y_EN: 0
; COMPUTE_PGM_RSRC2:TGID_Z_EN: 0
; COMPUTE_PGM_RSRC2:TIDIG_COMP_CNT: 0
	.section	.text._ZN7rocprim17ROCPRIM_400000_NS6detail17trampoline_kernelINS0_14default_configENS1_25partition_config_selectorILNS1_17partition_subalgoE5EtNS0_10empty_typeEbEEZZNS1_14partition_implILS5_5ELb0ES3_mN6thrust23THRUST_200600_302600_NS6detail15normal_iteratorINSA_10device_ptrItEEEEPS6_NSA_18transform_iteratorINSB_9not_fun_tINSA_8identityItEEEESF_NSA_11use_defaultESM_EENS0_5tupleIJSF_S6_EEENSO_IJSG_SG_EEES6_PlJS6_EEE10hipError_tPvRmT3_T4_T5_T6_T7_T9_mT8_P12ihipStream_tbDpT10_ENKUlT_T0_E_clISt17integral_constantIbLb0EES1B_EEDaS16_S17_EUlS16_E_NS1_11comp_targetILNS1_3genE4ELNS1_11target_archE910ELNS1_3gpuE8ELNS1_3repE0EEENS1_30default_config_static_selectorELNS0_4arch9wavefront6targetE0EEEvT1_,"axG",@progbits,_ZN7rocprim17ROCPRIM_400000_NS6detail17trampoline_kernelINS0_14default_configENS1_25partition_config_selectorILNS1_17partition_subalgoE5EtNS0_10empty_typeEbEEZZNS1_14partition_implILS5_5ELb0ES3_mN6thrust23THRUST_200600_302600_NS6detail15normal_iteratorINSA_10device_ptrItEEEEPS6_NSA_18transform_iteratorINSB_9not_fun_tINSA_8identityItEEEESF_NSA_11use_defaultESM_EENS0_5tupleIJSF_S6_EEENSO_IJSG_SG_EEES6_PlJS6_EEE10hipError_tPvRmT3_T4_T5_T6_T7_T9_mT8_P12ihipStream_tbDpT10_ENKUlT_T0_E_clISt17integral_constantIbLb0EES1B_EEDaS16_S17_EUlS16_E_NS1_11comp_targetILNS1_3genE4ELNS1_11target_archE910ELNS1_3gpuE8ELNS1_3repE0EEENS1_30default_config_static_selectorELNS0_4arch9wavefront6targetE0EEEvT1_,comdat
	.protected	_ZN7rocprim17ROCPRIM_400000_NS6detail17trampoline_kernelINS0_14default_configENS1_25partition_config_selectorILNS1_17partition_subalgoE5EtNS0_10empty_typeEbEEZZNS1_14partition_implILS5_5ELb0ES3_mN6thrust23THRUST_200600_302600_NS6detail15normal_iteratorINSA_10device_ptrItEEEEPS6_NSA_18transform_iteratorINSB_9not_fun_tINSA_8identityItEEEESF_NSA_11use_defaultESM_EENS0_5tupleIJSF_S6_EEENSO_IJSG_SG_EEES6_PlJS6_EEE10hipError_tPvRmT3_T4_T5_T6_T7_T9_mT8_P12ihipStream_tbDpT10_ENKUlT_T0_E_clISt17integral_constantIbLb0EES1B_EEDaS16_S17_EUlS16_E_NS1_11comp_targetILNS1_3genE4ELNS1_11target_archE910ELNS1_3gpuE8ELNS1_3repE0EEENS1_30default_config_static_selectorELNS0_4arch9wavefront6targetE0EEEvT1_ ; -- Begin function _ZN7rocprim17ROCPRIM_400000_NS6detail17trampoline_kernelINS0_14default_configENS1_25partition_config_selectorILNS1_17partition_subalgoE5EtNS0_10empty_typeEbEEZZNS1_14partition_implILS5_5ELb0ES3_mN6thrust23THRUST_200600_302600_NS6detail15normal_iteratorINSA_10device_ptrItEEEEPS6_NSA_18transform_iteratorINSB_9not_fun_tINSA_8identityItEEEESF_NSA_11use_defaultESM_EENS0_5tupleIJSF_S6_EEENSO_IJSG_SG_EEES6_PlJS6_EEE10hipError_tPvRmT3_T4_T5_T6_T7_T9_mT8_P12ihipStream_tbDpT10_ENKUlT_T0_E_clISt17integral_constantIbLb0EES1B_EEDaS16_S17_EUlS16_E_NS1_11comp_targetILNS1_3genE4ELNS1_11target_archE910ELNS1_3gpuE8ELNS1_3repE0EEENS1_30default_config_static_selectorELNS0_4arch9wavefront6targetE0EEEvT1_
	.globl	_ZN7rocprim17ROCPRIM_400000_NS6detail17trampoline_kernelINS0_14default_configENS1_25partition_config_selectorILNS1_17partition_subalgoE5EtNS0_10empty_typeEbEEZZNS1_14partition_implILS5_5ELb0ES3_mN6thrust23THRUST_200600_302600_NS6detail15normal_iteratorINSA_10device_ptrItEEEEPS6_NSA_18transform_iteratorINSB_9not_fun_tINSA_8identityItEEEESF_NSA_11use_defaultESM_EENS0_5tupleIJSF_S6_EEENSO_IJSG_SG_EEES6_PlJS6_EEE10hipError_tPvRmT3_T4_T5_T6_T7_T9_mT8_P12ihipStream_tbDpT10_ENKUlT_T0_E_clISt17integral_constantIbLb0EES1B_EEDaS16_S17_EUlS16_E_NS1_11comp_targetILNS1_3genE4ELNS1_11target_archE910ELNS1_3gpuE8ELNS1_3repE0EEENS1_30default_config_static_selectorELNS0_4arch9wavefront6targetE0EEEvT1_
	.p2align	8
	.type	_ZN7rocprim17ROCPRIM_400000_NS6detail17trampoline_kernelINS0_14default_configENS1_25partition_config_selectorILNS1_17partition_subalgoE5EtNS0_10empty_typeEbEEZZNS1_14partition_implILS5_5ELb0ES3_mN6thrust23THRUST_200600_302600_NS6detail15normal_iteratorINSA_10device_ptrItEEEEPS6_NSA_18transform_iteratorINSB_9not_fun_tINSA_8identityItEEEESF_NSA_11use_defaultESM_EENS0_5tupleIJSF_S6_EEENSO_IJSG_SG_EEES6_PlJS6_EEE10hipError_tPvRmT3_T4_T5_T6_T7_T9_mT8_P12ihipStream_tbDpT10_ENKUlT_T0_E_clISt17integral_constantIbLb0EES1B_EEDaS16_S17_EUlS16_E_NS1_11comp_targetILNS1_3genE4ELNS1_11target_archE910ELNS1_3gpuE8ELNS1_3repE0EEENS1_30default_config_static_selectorELNS0_4arch9wavefront6targetE0EEEvT1_,@function
_ZN7rocprim17ROCPRIM_400000_NS6detail17trampoline_kernelINS0_14default_configENS1_25partition_config_selectorILNS1_17partition_subalgoE5EtNS0_10empty_typeEbEEZZNS1_14partition_implILS5_5ELb0ES3_mN6thrust23THRUST_200600_302600_NS6detail15normal_iteratorINSA_10device_ptrItEEEEPS6_NSA_18transform_iteratorINSB_9not_fun_tINSA_8identityItEEEESF_NSA_11use_defaultESM_EENS0_5tupleIJSF_S6_EEENSO_IJSG_SG_EEES6_PlJS6_EEE10hipError_tPvRmT3_T4_T5_T6_T7_T9_mT8_P12ihipStream_tbDpT10_ENKUlT_T0_E_clISt17integral_constantIbLb0EES1B_EEDaS16_S17_EUlS16_E_NS1_11comp_targetILNS1_3genE4ELNS1_11target_archE910ELNS1_3gpuE8ELNS1_3repE0EEENS1_30default_config_static_selectorELNS0_4arch9wavefront6targetE0EEEvT1_: ; @_ZN7rocprim17ROCPRIM_400000_NS6detail17trampoline_kernelINS0_14default_configENS1_25partition_config_selectorILNS1_17partition_subalgoE5EtNS0_10empty_typeEbEEZZNS1_14partition_implILS5_5ELb0ES3_mN6thrust23THRUST_200600_302600_NS6detail15normal_iteratorINSA_10device_ptrItEEEEPS6_NSA_18transform_iteratorINSB_9not_fun_tINSA_8identityItEEEESF_NSA_11use_defaultESM_EENS0_5tupleIJSF_S6_EEENSO_IJSG_SG_EEES6_PlJS6_EEE10hipError_tPvRmT3_T4_T5_T6_T7_T9_mT8_P12ihipStream_tbDpT10_ENKUlT_T0_E_clISt17integral_constantIbLb0EES1B_EEDaS16_S17_EUlS16_E_NS1_11comp_targetILNS1_3genE4ELNS1_11target_archE910ELNS1_3gpuE8ELNS1_3repE0EEENS1_30default_config_static_selectorELNS0_4arch9wavefront6targetE0EEEvT1_
; %bb.0:
	.section	.rodata,"a",@progbits
	.p2align	6, 0x0
	.amdhsa_kernel _ZN7rocprim17ROCPRIM_400000_NS6detail17trampoline_kernelINS0_14default_configENS1_25partition_config_selectorILNS1_17partition_subalgoE5EtNS0_10empty_typeEbEEZZNS1_14partition_implILS5_5ELb0ES3_mN6thrust23THRUST_200600_302600_NS6detail15normal_iteratorINSA_10device_ptrItEEEEPS6_NSA_18transform_iteratorINSB_9not_fun_tINSA_8identityItEEEESF_NSA_11use_defaultESM_EENS0_5tupleIJSF_S6_EEENSO_IJSG_SG_EEES6_PlJS6_EEE10hipError_tPvRmT3_T4_T5_T6_T7_T9_mT8_P12ihipStream_tbDpT10_ENKUlT_T0_E_clISt17integral_constantIbLb0EES1B_EEDaS16_S17_EUlS16_E_NS1_11comp_targetILNS1_3genE4ELNS1_11target_archE910ELNS1_3gpuE8ELNS1_3repE0EEENS1_30default_config_static_selectorELNS0_4arch9wavefront6targetE0EEEvT1_
		.amdhsa_group_segment_fixed_size 0
		.amdhsa_private_segment_fixed_size 0
		.amdhsa_kernarg_size 120
		.amdhsa_user_sgpr_count 2
		.amdhsa_user_sgpr_dispatch_ptr 0
		.amdhsa_user_sgpr_queue_ptr 0
		.amdhsa_user_sgpr_kernarg_segment_ptr 1
		.amdhsa_user_sgpr_dispatch_id 0
		.amdhsa_user_sgpr_private_segment_size 0
		.amdhsa_wavefront_size32 1
		.amdhsa_uses_dynamic_stack 0
		.amdhsa_enable_private_segment 0
		.amdhsa_system_sgpr_workgroup_id_x 1
		.amdhsa_system_sgpr_workgroup_id_y 0
		.amdhsa_system_sgpr_workgroup_id_z 0
		.amdhsa_system_sgpr_workgroup_info 0
		.amdhsa_system_vgpr_workitem_id 0
		.amdhsa_next_free_vgpr 1
		.amdhsa_next_free_sgpr 1
		.amdhsa_reserve_vcc 0
		.amdhsa_float_round_mode_32 0
		.amdhsa_float_round_mode_16_64 0
		.amdhsa_float_denorm_mode_32 3
		.amdhsa_float_denorm_mode_16_64 3
		.amdhsa_fp16_overflow 0
		.amdhsa_workgroup_processor_mode 1
		.amdhsa_memory_ordered 1
		.amdhsa_forward_progress 1
		.amdhsa_inst_pref_size 0
		.amdhsa_round_robin_scheduling 0
		.amdhsa_exception_fp_ieee_invalid_op 0
		.amdhsa_exception_fp_denorm_src 0
		.amdhsa_exception_fp_ieee_div_zero 0
		.amdhsa_exception_fp_ieee_overflow 0
		.amdhsa_exception_fp_ieee_underflow 0
		.amdhsa_exception_fp_ieee_inexact 0
		.amdhsa_exception_int_div_zero 0
	.end_amdhsa_kernel
	.section	.text._ZN7rocprim17ROCPRIM_400000_NS6detail17trampoline_kernelINS0_14default_configENS1_25partition_config_selectorILNS1_17partition_subalgoE5EtNS0_10empty_typeEbEEZZNS1_14partition_implILS5_5ELb0ES3_mN6thrust23THRUST_200600_302600_NS6detail15normal_iteratorINSA_10device_ptrItEEEEPS6_NSA_18transform_iteratorINSB_9not_fun_tINSA_8identityItEEEESF_NSA_11use_defaultESM_EENS0_5tupleIJSF_S6_EEENSO_IJSG_SG_EEES6_PlJS6_EEE10hipError_tPvRmT3_T4_T5_T6_T7_T9_mT8_P12ihipStream_tbDpT10_ENKUlT_T0_E_clISt17integral_constantIbLb0EES1B_EEDaS16_S17_EUlS16_E_NS1_11comp_targetILNS1_3genE4ELNS1_11target_archE910ELNS1_3gpuE8ELNS1_3repE0EEENS1_30default_config_static_selectorELNS0_4arch9wavefront6targetE0EEEvT1_,"axG",@progbits,_ZN7rocprim17ROCPRIM_400000_NS6detail17trampoline_kernelINS0_14default_configENS1_25partition_config_selectorILNS1_17partition_subalgoE5EtNS0_10empty_typeEbEEZZNS1_14partition_implILS5_5ELb0ES3_mN6thrust23THRUST_200600_302600_NS6detail15normal_iteratorINSA_10device_ptrItEEEEPS6_NSA_18transform_iteratorINSB_9not_fun_tINSA_8identityItEEEESF_NSA_11use_defaultESM_EENS0_5tupleIJSF_S6_EEENSO_IJSG_SG_EEES6_PlJS6_EEE10hipError_tPvRmT3_T4_T5_T6_T7_T9_mT8_P12ihipStream_tbDpT10_ENKUlT_T0_E_clISt17integral_constantIbLb0EES1B_EEDaS16_S17_EUlS16_E_NS1_11comp_targetILNS1_3genE4ELNS1_11target_archE910ELNS1_3gpuE8ELNS1_3repE0EEENS1_30default_config_static_selectorELNS0_4arch9wavefront6targetE0EEEvT1_,comdat
.Lfunc_end919:
	.size	_ZN7rocprim17ROCPRIM_400000_NS6detail17trampoline_kernelINS0_14default_configENS1_25partition_config_selectorILNS1_17partition_subalgoE5EtNS0_10empty_typeEbEEZZNS1_14partition_implILS5_5ELb0ES3_mN6thrust23THRUST_200600_302600_NS6detail15normal_iteratorINSA_10device_ptrItEEEEPS6_NSA_18transform_iteratorINSB_9not_fun_tINSA_8identityItEEEESF_NSA_11use_defaultESM_EENS0_5tupleIJSF_S6_EEENSO_IJSG_SG_EEES6_PlJS6_EEE10hipError_tPvRmT3_T4_T5_T6_T7_T9_mT8_P12ihipStream_tbDpT10_ENKUlT_T0_E_clISt17integral_constantIbLb0EES1B_EEDaS16_S17_EUlS16_E_NS1_11comp_targetILNS1_3genE4ELNS1_11target_archE910ELNS1_3gpuE8ELNS1_3repE0EEENS1_30default_config_static_selectorELNS0_4arch9wavefront6targetE0EEEvT1_, .Lfunc_end919-_ZN7rocprim17ROCPRIM_400000_NS6detail17trampoline_kernelINS0_14default_configENS1_25partition_config_selectorILNS1_17partition_subalgoE5EtNS0_10empty_typeEbEEZZNS1_14partition_implILS5_5ELb0ES3_mN6thrust23THRUST_200600_302600_NS6detail15normal_iteratorINSA_10device_ptrItEEEEPS6_NSA_18transform_iteratorINSB_9not_fun_tINSA_8identityItEEEESF_NSA_11use_defaultESM_EENS0_5tupleIJSF_S6_EEENSO_IJSG_SG_EEES6_PlJS6_EEE10hipError_tPvRmT3_T4_T5_T6_T7_T9_mT8_P12ihipStream_tbDpT10_ENKUlT_T0_E_clISt17integral_constantIbLb0EES1B_EEDaS16_S17_EUlS16_E_NS1_11comp_targetILNS1_3genE4ELNS1_11target_archE910ELNS1_3gpuE8ELNS1_3repE0EEENS1_30default_config_static_selectorELNS0_4arch9wavefront6targetE0EEEvT1_
                                        ; -- End function
	.set _ZN7rocprim17ROCPRIM_400000_NS6detail17trampoline_kernelINS0_14default_configENS1_25partition_config_selectorILNS1_17partition_subalgoE5EtNS0_10empty_typeEbEEZZNS1_14partition_implILS5_5ELb0ES3_mN6thrust23THRUST_200600_302600_NS6detail15normal_iteratorINSA_10device_ptrItEEEEPS6_NSA_18transform_iteratorINSB_9not_fun_tINSA_8identityItEEEESF_NSA_11use_defaultESM_EENS0_5tupleIJSF_S6_EEENSO_IJSG_SG_EEES6_PlJS6_EEE10hipError_tPvRmT3_T4_T5_T6_T7_T9_mT8_P12ihipStream_tbDpT10_ENKUlT_T0_E_clISt17integral_constantIbLb0EES1B_EEDaS16_S17_EUlS16_E_NS1_11comp_targetILNS1_3genE4ELNS1_11target_archE910ELNS1_3gpuE8ELNS1_3repE0EEENS1_30default_config_static_selectorELNS0_4arch9wavefront6targetE0EEEvT1_.num_vgpr, 0
	.set _ZN7rocprim17ROCPRIM_400000_NS6detail17trampoline_kernelINS0_14default_configENS1_25partition_config_selectorILNS1_17partition_subalgoE5EtNS0_10empty_typeEbEEZZNS1_14partition_implILS5_5ELb0ES3_mN6thrust23THRUST_200600_302600_NS6detail15normal_iteratorINSA_10device_ptrItEEEEPS6_NSA_18transform_iteratorINSB_9not_fun_tINSA_8identityItEEEESF_NSA_11use_defaultESM_EENS0_5tupleIJSF_S6_EEENSO_IJSG_SG_EEES6_PlJS6_EEE10hipError_tPvRmT3_T4_T5_T6_T7_T9_mT8_P12ihipStream_tbDpT10_ENKUlT_T0_E_clISt17integral_constantIbLb0EES1B_EEDaS16_S17_EUlS16_E_NS1_11comp_targetILNS1_3genE4ELNS1_11target_archE910ELNS1_3gpuE8ELNS1_3repE0EEENS1_30default_config_static_selectorELNS0_4arch9wavefront6targetE0EEEvT1_.num_agpr, 0
	.set _ZN7rocprim17ROCPRIM_400000_NS6detail17trampoline_kernelINS0_14default_configENS1_25partition_config_selectorILNS1_17partition_subalgoE5EtNS0_10empty_typeEbEEZZNS1_14partition_implILS5_5ELb0ES3_mN6thrust23THRUST_200600_302600_NS6detail15normal_iteratorINSA_10device_ptrItEEEEPS6_NSA_18transform_iteratorINSB_9not_fun_tINSA_8identityItEEEESF_NSA_11use_defaultESM_EENS0_5tupleIJSF_S6_EEENSO_IJSG_SG_EEES6_PlJS6_EEE10hipError_tPvRmT3_T4_T5_T6_T7_T9_mT8_P12ihipStream_tbDpT10_ENKUlT_T0_E_clISt17integral_constantIbLb0EES1B_EEDaS16_S17_EUlS16_E_NS1_11comp_targetILNS1_3genE4ELNS1_11target_archE910ELNS1_3gpuE8ELNS1_3repE0EEENS1_30default_config_static_selectorELNS0_4arch9wavefront6targetE0EEEvT1_.numbered_sgpr, 0
	.set _ZN7rocprim17ROCPRIM_400000_NS6detail17trampoline_kernelINS0_14default_configENS1_25partition_config_selectorILNS1_17partition_subalgoE5EtNS0_10empty_typeEbEEZZNS1_14partition_implILS5_5ELb0ES3_mN6thrust23THRUST_200600_302600_NS6detail15normal_iteratorINSA_10device_ptrItEEEEPS6_NSA_18transform_iteratorINSB_9not_fun_tINSA_8identityItEEEESF_NSA_11use_defaultESM_EENS0_5tupleIJSF_S6_EEENSO_IJSG_SG_EEES6_PlJS6_EEE10hipError_tPvRmT3_T4_T5_T6_T7_T9_mT8_P12ihipStream_tbDpT10_ENKUlT_T0_E_clISt17integral_constantIbLb0EES1B_EEDaS16_S17_EUlS16_E_NS1_11comp_targetILNS1_3genE4ELNS1_11target_archE910ELNS1_3gpuE8ELNS1_3repE0EEENS1_30default_config_static_selectorELNS0_4arch9wavefront6targetE0EEEvT1_.num_named_barrier, 0
	.set _ZN7rocprim17ROCPRIM_400000_NS6detail17trampoline_kernelINS0_14default_configENS1_25partition_config_selectorILNS1_17partition_subalgoE5EtNS0_10empty_typeEbEEZZNS1_14partition_implILS5_5ELb0ES3_mN6thrust23THRUST_200600_302600_NS6detail15normal_iteratorINSA_10device_ptrItEEEEPS6_NSA_18transform_iteratorINSB_9not_fun_tINSA_8identityItEEEESF_NSA_11use_defaultESM_EENS0_5tupleIJSF_S6_EEENSO_IJSG_SG_EEES6_PlJS6_EEE10hipError_tPvRmT3_T4_T5_T6_T7_T9_mT8_P12ihipStream_tbDpT10_ENKUlT_T0_E_clISt17integral_constantIbLb0EES1B_EEDaS16_S17_EUlS16_E_NS1_11comp_targetILNS1_3genE4ELNS1_11target_archE910ELNS1_3gpuE8ELNS1_3repE0EEENS1_30default_config_static_selectorELNS0_4arch9wavefront6targetE0EEEvT1_.private_seg_size, 0
	.set _ZN7rocprim17ROCPRIM_400000_NS6detail17trampoline_kernelINS0_14default_configENS1_25partition_config_selectorILNS1_17partition_subalgoE5EtNS0_10empty_typeEbEEZZNS1_14partition_implILS5_5ELb0ES3_mN6thrust23THRUST_200600_302600_NS6detail15normal_iteratorINSA_10device_ptrItEEEEPS6_NSA_18transform_iteratorINSB_9not_fun_tINSA_8identityItEEEESF_NSA_11use_defaultESM_EENS0_5tupleIJSF_S6_EEENSO_IJSG_SG_EEES6_PlJS6_EEE10hipError_tPvRmT3_T4_T5_T6_T7_T9_mT8_P12ihipStream_tbDpT10_ENKUlT_T0_E_clISt17integral_constantIbLb0EES1B_EEDaS16_S17_EUlS16_E_NS1_11comp_targetILNS1_3genE4ELNS1_11target_archE910ELNS1_3gpuE8ELNS1_3repE0EEENS1_30default_config_static_selectorELNS0_4arch9wavefront6targetE0EEEvT1_.uses_vcc, 0
	.set _ZN7rocprim17ROCPRIM_400000_NS6detail17trampoline_kernelINS0_14default_configENS1_25partition_config_selectorILNS1_17partition_subalgoE5EtNS0_10empty_typeEbEEZZNS1_14partition_implILS5_5ELb0ES3_mN6thrust23THRUST_200600_302600_NS6detail15normal_iteratorINSA_10device_ptrItEEEEPS6_NSA_18transform_iteratorINSB_9not_fun_tINSA_8identityItEEEESF_NSA_11use_defaultESM_EENS0_5tupleIJSF_S6_EEENSO_IJSG_SG_EEES6_PlJS6_EEE10hipError_tPvRmT3_T4_T5_T6_T7_T9_mT8_P12ihipStream_tbDpT10_ENKUlT_T0_E_clISt17integral_constantIbLb0EES1B_EEDaS16_S17_EUlS16_E_NS1_11comp_targetILNS1_3genE4ELNS1_11target_archE910ELNS1_3gpuE8ELNS1_3repE0EEENS1_30default_config_static_selectorELNS0_4arch9wavefront6targetE0EEEvT1_.uses_flat_scratch, 0
	.set _ZN7rocprim17ROCPRIM_400000_NS6detail17trampoline_kernelINS0_14default_configENS1_25partition_config_selectorILNS1_17partition_subalgoE5EtNS0_10empty_typeEbEEZZNS1_14partition_implILS5_5ELb0ES3_mN6thrust23THRUST_200600_302600_NS6detail15normal_iteratorINSA_10device_ptrItEEEEPS6_NSA_18transform_iteratorINSB_9not_fun_tINSA_8identityItEEEESF_NSA_11use_defaultESM_EENS0_5tupleIJSF_S6_EEENSO_IJSG_SG_EEES6_PlJS6_EEE10hipError_tPvRmT3_T4_T5_T6_T7_T9_mT8_P12ihipStream_tbDpT10_ENKUlT_T0_E_clISt17integral_constantIbLb0EES1B_EEDaS16_S17_EUlS16_E_NS1_11comp_targetILNS1_3genE4ELNS1_11target_archE910ELNS1_3gpuE8ELNS1_3repE0EEENS1_30default_config_static_selectorELNS0_4arch9wavefront6targetE0EEEvT1_.has_dyn_sized_stack, 0
	.set _ZN7rocprim17ROCPRIM_400000_NS6detail17trampoline_kernelINS0_14default_configENS1_25partition_config_selectorILNS1_17partition_subalgoE5EtNS0_10empty_typeEbEEZZNS1_14partition_implILS5_5ELb0ES3_mN6thrust23THRUST_200600_302600_NS6detail15normal_iteratorINSA_10device_ptrItEEEEPS6_NSA_18transform_iteratorINSB_9not_fun_tINSA_8identityItEEEESF_NSA_11use_defaultESM_EENS0_5tupleIJSF_S6_EEENSO_IJSG_SG_EEES6_PlJS6_EEE10hipError_tPvRmT3_T4_T5_T6_T7_T9_mT8_P12ihipStream_tbDpT10_ENKUlT_T0_E_clISt17integral_constantIbLb0EES1B_EEDaS16_S17_EUlS16_E_NS1_11comp_targetILNS1_3genE4ELNS1_11target_archE910ELNS1_3gpuE8ELNS1_3repE0EEENS1_30default_config_static_selectorELNS0_4arch9wavefront6targetE0EEEvT1_.has_recursion, 0
	.set _ZN7rocprim17ROCPRIM_400000_NS6detail17trampoline_kernelINS0_14default_configENS1_25partition_config_selectorILNS1_17partition_subalgoE5EtNS0_10empty_typeEbEEZZNS1_14partition_implILS5_5ELb0ES3_mN6thrust23THRUST_200600_302600_NS6detail15normal_iteratorINSA_10device_ptrItEEEEPS6_NSA_18transform_iteratorINSB_9not_fun_tINSA_8identityItEEEESF_NSA_11use_defaultESM_EENS0_5tupleIJSF_S6_EEENSO_IJSG_SG_EEES6_PlJS6_EEE10hipError_tPvRmT3_T4_T5_T6_T7_T9_mT8_P12ihipStream_tbDpT10_ENKUlT_T0_E_clISt17integral_constantIbLb0EES1B_EEDaS16_S17_EUlS16_E_NS1_11comp_targetILNS1_3genE4ELNS1_11target_archE910ELNS1_3gpuE8ELNS1_3repE0EEENS1_30default_config_static_selectorELNS0_4arch9wavefront6targetE0EEEvT1_.has_indirect_call, 0
	.section	.AMDGPU.csdata,"",@progbits
; Kernel info:
; codeLenInByte = 0
; TotalNumSgprs: 0
; NumVgprs: 0
; ScratchSize: 0
; MemoryBound: 0
; FloatMode: 240
; IeeeMode: 1
; LDSByteSize: 0 bytes/workgroup (compile time only)
; SGPRBlocks: 0
; VGPRBlocks: 0
; NumSGPRsForWavesPerEU: 1
; NumVGPRsForWavesPerEU: 1
; Occupancy: 16
; WaveLimiterHint : 0
; COMPUTE_PGM_RSRC2:SCRATCH_EN: 0
; COMPUTE_PGM_RSRC2:USER_SGPR: 2
; COMPUTE_PGM_RSRC2:TRAP_HANDLER: 0
; COMPUTE_PGM_RSRC2:TGID_X_EN: 1
; COMPUTE_PGM_RSRC2:TGID_Y_EN: 0
; COMPUTE_PGM_RSRC2:TGID_Z_EN: 0
; COMPUTE_PGM_RSRC2:TIDIG_COMP_CNT: 0
	.section	.text._ZN7rocprim17ROCPRIM_400000_NS6detail17trampoline_kernelINS0_14default_configENS1_25partition_config_selectorILNS1_17partition_subalgoE5EtNS0_10empty_typeEbEEZZNS1_14partition_implILS5_5ELb0ES3_mN6thrust23THRUST_200600_302600_NS6detail15normal_iteratorINSA_10device_ptrItEEEEPS6_NSA_18transform_iteratorINSB_9not_fun_tINSA_8identityItEEEESF_NSA_11use_defaultESM_EENS0_5tupleIJSF_S6_EEENSO_IJSG_SG_EEES6_PlJS6_EEE10hipError_tPvRmT3_T4_T5_T6_T7_T9_mT8_P12ihipStream_tbDpT10_ENKUlT_T0_E_clISt17integral_constantIbLb0EES1B_EEDaS16_S17_EUlS16_E_NS1_11comp_targetILNS1_3genE3ELNS1_11target_archE908ELNS1_3gpuE7ELNS1_3repE0EEENS1_30default_config_static_selectorELNS0_4arch9wavefront6targetE0EEEvT1_,"axG",@progbits,_ZN7rocprim17ROCPRIM_400000_NS6detail17trampoline_kernelINS0_14default_configENS1_25partition_config_selectorILNS1_17partition_subalgoE5EtNS0_10empty_typeEbEEZZNS1_14partition_implILS5_5ELb0ES3_mN6thrust23THRUST_200600_302600_NS6detail15normal_iteratorINSA_10device_ptrItEEEEPS6_NSA_18transform_iteratorINSB_9not_fun_tINSA_8identityItEEEESF_NSA_11use_defaultESM_EENS0_5tupleIJSF_S6_EEENSO_IJSG_SG_EEES6_PlJS6_EEE10hipError_tPvRmT3_T4_T5_T6_T7_T9_mT8_P12ihipStream_tbDpT10_ENKUlT_T0_E_clISt17integral_constantIbLb0EES1B_EEDaS16_S17_EUlS16_E_NS1_11comp_targetILNS1_3genE3ELNS1_11target_archE908ELNS1_3gpuE7ELNS1_3repE0EEENS1_30default_config_static_selectorELNS0_4arch9wavefront6targetE0EEEvT1_,comdat
	.protected	_ZN7rocprim17ROCPRIM_400000_NS6detail17trampoline_kernelINS0_14default_configENS1_25partition_config_selectorILNS1_17partition_subalgoE5EtNS0_10empty_typeEbEEZZNS1_14partition_implILS5_5ELb0ES3_mN6thrust23THRUST_200600_302600_NS6detail15normal_iteratorINSA_10device_ptrItEEEEPS6_NSA_18transform_iteratorINSB_9not_fun_tINSA_8identityItEEEESF_NSA_11use_defaultESM_EENS0_5tupleIJSF_S6_EEENSO_IJSG_SG_EEES6_PlJS6_EEE10hipError_tPvRmT3_T4_T5_T6_T7_T9_mT8_P12ihipStream_tbDpT10_ENKUlT_T0_E_clISt17integral_constantIbLb0EES1B_EEDaS16_S17_EUlS16_E_NS1_11comp_targetILNS1_3genE3ELNS1_11target_archE908ELNS1_3gpuE7ELNS1_3repE0EEENS1_30default_config_static_selectorELNS0_4arch9wavefront6targetE0EEEvT1_ ; -- Begin function _ZN7rocprim17ROCPRIM_400000_NS6detail17trampoline_kernelINS0_14default_configENS1_25partition_config_selectorILNS1_17partition_subalgoE5EtNS0_10empty_typeEbEEZZNS1_14partition_implILS5_5ELb0ES3_mN6thrust23THRUST_200600_302600_NS6detail15normal_iteratorINSA_10device_ptrItEEEEPS6_NSA_18transform_iteratorINSB_9not_fun_tINSA_8identityItEEEESF_NSA_11use_defaultESM_EENS0_5tupleIJSF_S6_EEENSO_IJSG_SG_EEES6_PlJS6_EEE10hipError_tPvRmT3_T4_T5_T6_T7_T9_mT8_P12ihipStream_tbDpT10_ENKUlT_T0_E_clISt17integral_constantIbLb0EES1B_EEDaS16_S17_EUlS16_E_NS1_11comp_targetILNS1_3genE3ELNS1_11target_archE908ELNS1_3gpuE7ELNS1_3repE0EEENS1_30default_config_static_selectorELNS0_4arch9wavefront6targetE0EEEvT1_
	.globl	_ZN7rocprim17ROCPRIM_400000_NS6detail17trampoline_kernelINS0_14default_configENS1_25partition_config_selectorILNS1_17partition_subalgoE5EtNS0_10empty_typeEbEEZZNS1_14partition_implILS5_5ELb0ES3_mN6thrust23THRUST_200600_302600_NS6detail15normal_iteratorINSA_10device_ptrItEEEEPS6_NSA_18transform_iteratorINSB_9not_fun_tINSA_8identityItEEEESF_NSA_11use_defaultESM_EENS0_5tupleIJSF_S6_EEENSO_IJSG_SG_EEES6_PlJS6_EEE10hipError_tPvRmT3_T4_T5_T6_T7_T9_mT8_P12ihipStream_tbDpT10_ENKUlT_T0_E_clISt17integral_constantIbLb0EES1B_EEDaS16_S17_EUlS16_E_NS1_11comp_targetILNS1_3genE3ELNS1_11target_archE908ELNS1_3gpuE7ELNS1_3repE0EEENS1_30default_config_static_selectorELNS0_4arch9wavefront6targetE0EEEvT1_
	.p2align	8
	.type	_ZN7rocprim17ROCPRIM_400000_NS6detail17trampoline_kernelINS0_14default_configENS1_25partition_config_selectorILNS1_17partition_subalgoE5EtNS0_10empty_typeEbEEZZNS1_14partition_implILS5_5ELb0ES3_mN6thrust23THRUST_200600_302600_NS6detail15normal_iteratorINSA_10device_ptrItEEEEPS6_NSA_18transform_iteratorINSB_9not_fun_tINSA_8identityItEEEESF_NSA_11use_defaultESM_EENS0_5tupleIJSF_S6_EEENSO_IJSG_SG_EEES6_PlJS6_EEE10hipError_tPvRmT3_T4_T5_T6_T7_T9_mT8_P12ihipStream_tbDpT10_ENKUlT_T0_E_clISt17integral_constantIbLb0EES1B_EEDaS16_S17_EUlS16_E_NS1_11comp_targetILNS1_3genE3ELNS1_11target_archE908ELNS1_3gpuE7ELNS1_3repE0EEENS1_30default_config_static_selectorELNS0_4arch9wavefront6targetE0EEEvT1_,@function
_ZN7rocprim17ROCPRIM_400000_NS6detail17trampoline_kernelINS0_14default_configENS1_25partition_config_selectorILNS1_17partition_subalgoE5EtNS0_10empty_typeEbEEZZNS1_14partition_implILS5_5ELb0ES3_mN6thrust23THRUST_200600_302600_NS6detail15normal_iteratorINSA_10device_ptrItEEEEPS6_NSA_18transform_iteratorINSB_9not_fun_tINSA_8identityItEEEESF_NSA_11use_defaultESM_EENS0_5tupleIJSF_S6_EEENSO_IJSG_SG_EEES6_PlJS6_EEE10hipError_tPvRmT3_T4_T5_T6_T7_T9_mT8_P12ihipStream_tbDpT10_ENKUlT_T0_E_clISt17integral_constantIbLb0EES1B_EEDaS16_S17_EUlS16_E_NS1_11comp_targetILNS1_3genE3ELNS1_11target_archE908ELNS1_3gpuE7ELNS1_3repE0EEENS1_30default_config_static_selectorELNS0_4arch9wavefront6targetE0EEEvT1_: ; @_ZN7rocprim17ROCPRIM_400000_NS6detail17trampoline_kernelINS0_14default_configENS1_25partition_config_selectorILNS1_17partition_subalgoE5EtNS0_10empty_typeEbEEZZNS1_14partition_implILS5_5ELb0ES3_mN6thrust23THRUST_200600_302600_NS6detail15normal_iteratorINSA_10device_ptrItEEEEPS6_NSA_18transform_iteratorINSB_9not_fun_tINSA_8identityItEEEESF_NSA_11use_defaultESM_EENS0_5tupleIJSF_S6_EEENSO_IJSG_SG_EEES6_PlJS6_EEE10hipError_tPvRmT3_T4_T5_T6_T7_T9_mT8_P12ihipStream_tbDpT10_ENKUlT_T0_E_clISt17integral_constantIbLb0EES1B_EEDaS16_S17_EUlS16_E_NS1_11comp_targetILNS1_3genE3ELNS1_11target_archE908ELNS1_3gpuE7ELNS1_3repE0EEENS1_30default_config_static_selectorELNS0_4arch9wavefront6targetE0EEEvT1_
; %bb.0:
	.section	.rodata,"a",@progbits
	.p2align	6, 0x0
	.amdhsa_kernel _ZN7rocprim17ROCPRIM_400000_NS6detail17trampoline_kernelINS0_14default_configENS1_25partition_config_selectorILNS1_17partition_subalgoE5EtNS0_10empty_typeEbEEZZNS1_14partition_implILS5_5ELb0ES3_mN6thrust23THRUST_200600_302600_NS6detail15normal_iteratorINSA_10device_ptrItEEEEPS6_NSA_18transform_iteratorINSB_9not_fun_tINSA_8identityItEEEESF_NSA_11use_defaultESM_EENS0_5tupleIJSF_S6_EEENSO_IJSG_SG_EEES6_PlJS6_EEE10hipError_tPvRmT3_T4_T5_T6_T7_T9_mT8_P12ihipStream_tbDpT10_ENKUlT_T0_E_clISt17integral_constantIbLb0EES1B_EEDaS16_S17_EUlS16_E_NS1_11comp_targetILNS1_3genE3ELNS1_11target_archE908ELNS1_3gpuE7ELNS1_3repE0EEENS1_30default_config_static_selectorELNS0_4arch9wavefront6targetE0EEEvT1_
		.amdhsa_group_segment_fixed_size 0
		.amdhsa_private_segment_fixed_size 0
		.amdhsa_kernarg_size 120
		.amdhsa_user_sgpr_count 2
		.amdhsa_user_sgpr_dispatch_ptr 0
		.amdhsa_user_sgpr_queue_ptr 0
		.amdhsa_user_sgpr_kernarg_segment_ptr 1
		.amdhsa_user_sgpr_dispatch_id 0
		.amdhsa_user_sgpr_private_segment_size 0
		.amdhsa_wavefront_size32 1
		.amdhsa_uses_dynamic_stack 0
		.amdhsa_enable_private_segment 0
		.amdhsa_system_sgpr_workgroup_id_x 1
		.amdhsa_system_sgpr_workgroup_id_y 0
		.amdhsa_system_sgpr_workgroup_id_z 0
		.amdhsa_system_sgpr_workgroup_info 0
		.amdhsa_system_vgpr_workitem_id 0
		.amdhsa_next_free_vgpr 1
		.amdhsa_next_free_sgpr 1
		.amdhsa_reserve_vcc 0
		.amdhsa_float_round_mode_32 0
		.amdhsa_float_round_mode_16_64 0
		.amdhsa_float_denorm_mode_32 3
		.amdhsa_float_denorm_mode_16_64 3
		.amdhsa_fp16_overflow 0
		.amdhsa_workgroup_processor_mode 1
		.amdhsa_memory_ordered 1
		.amdhsa_forward_progress 1
		.amdhsa_inst_pref_size 0
		.amdhsa_round_robin_scheduling 0
		.amdhsa_exception_fp_ieee_invalid_op 0
		.amdhsa_exception_fp_denorm_src 0
		.amdhsa_exception_fp_ieee_div_zero 0
		.amdhsa_exception_fp_ieee_overflow 0
		.amdhsa_exception_fp_ieee_underflow 0
		.amdhsa_exception_fp_ieee_inexact 0
		.amdhsa_exception_int_div_zero 0
	.end_amdhsa_kernel
	.section	.text._ZN7rocprim17ROCPRIM_400000_NS6detail17trampoline_kernelINS0_14default_configENS1_25partition_config_selectorILNS1_17partition_subalgoE5EtNS0_10empty_typeEbEEZZNS1_14partition_implILS5_5ELb0ES3_mN6thrust23THRUST_200600_302600_NS6detail15normal_iteratorINSA_10device_ptrItEEEEPS6_NSA_18transform_iteratorINSB_9not_fun_tINSA_8identityItEEEESF_NSA_11use_defaultESM_EENS0_5tupleIJSF_S6_EEENSO_IJSG_SG_EEES6_PlJS6_EEE10hipError_tPvRmT3_T4_T5_T6_T7_T9_mT8_P12ihipStream_tbDpT10_ENKUlT_T0_E_clISt17integral_constantIbLb0EES1B_EEDaS16_S17_EUlS16_E_NS1_11comp_targetILNS1_3genE3ELNS1_11target_archE908ELNS1_3gpuE7ELNS1_3repE0EEENS1_30default_config_static_selectorELNS0_4arch9wavefront6targetE0EEEvT1_,"axG",@progbits,_ZN7rocprim17ROCPRIM_400000_NS6detail17trampoline_kernelINS0_14default_configENS1_25partition_config_selectorILNS1_17partition_subalgoE5EtNS0_10empty_typeEbEEZZNS1_14partition_implILS5_5ELb0ES3_mN6thrust23THRUST_200600_302600_NS6detail15normal_iteratorINSA_10device_ptrItEEEEPS6_NSA_18transform_iteratorINSB_9not_fun_tINSA_8identityItEEEESF_NSA_11use_defaultESM_EENS0_5tupleIJSF_S6_EEENSO_IJSG_SG_EEES6_PlJS6_EEE10hipError_tPvRmT3_T4_T5_T6_T7_T9_mT8_P12ihipStream_tbDpT10_ENKUlT_T0_E_clISt17integral_constantIbLb0EES1B_EEDaS16_S17_EUlS16_E_NS1_11comp_targetILNS1_3genE3ELNS1_11target_archE908ELNS1_3gpuE7ELNS1_3repE0EEENS1_30default_config_static_selectorELNS0_4arch9wavefront6targetE0EEEvT1_,comdat
.Lfunc_end920:
	.size	_ZN7rocprim17ROCPRIM_400000_NS6detail17trampoline_kernelINS0_14default_configENS1_25partition_config_selectorILNS1_17partition_subalgoE5EtNS0_10empty_typeEbEEZZNS1_14partition_implILS5_5ELb0ES3_mN6thrust23THRUST_200600_302600_NS6detail15normal_iteratorINSA_10device_ptrItEEEEPS6_NSA_18transform_iteratorINSB_9not_fun_tINSA_8identityItEEEESF_NSA_11use_defaultESM_EENS0_5tupleIJSF_S6_EEENSO_IJSG_SG_EEES6_PlJS6_EEE10hipError_tPvRmT3_T4_T5_T6_T7_T9_mT8_P12ihipStream_tbDpT10_ENKUlT_T0_E_clISt17integral_constantIbLb0EES1B_EEDaS16_S17_EUlS16_E_NS1_11comp_targetILNS1_3genE3ELNS1_11target_archE908ELNS1_3gpuE7ELNS1_3repE0EEENS1_30default_config_static_selectorELNS0_4arch9wavefront6targetE0EEEvT1_, .Lfunc_end920-_ZN7rocprim17ROCPRIM_400000_NS6detail17trampoline_kernelINS0_14default_configENS1_25partition_config_selectorILNS1_17partition_subalgoE5EtNS0_10empty_typeEbEEZZNS1_14partition_implILS5_5ELb0ES3_mN6thrust23THRUST_200600_302600_NS6detail15normal_iteratorINSA_10device_ptrItEEEEPS6_NSA_18transform_iteratorINSB_9not_fun_tINSA_8identityItEEEESF_NSA_11use_defaultESM_EENS0_5tupleIJSF_S6_EEENSO_IJSG_SG_EEES6_PlJS6_EEE10hipError_tPvRmT3_T4_T5_T6_T7_T9_mT8_P12ihipStream_tbDpT10_ENKUlT_T0_E_clISt17integral_constantIbLb0EES1B_EEDaS16_S17_EUlS16_E_NS1_11comp_targetILNS1_3genE3ELNS1_11target_archE908ELNS1_3gpuE7ELNS1_3repE0EEENS1_30default_config_static_selectorELNS0_4arch9wavefront6targetE0EEEvT1_
                                        ; -- End function
	.set _ZN7rocprim17ROCPRIM_400000_NS6detail17trampoline_kernelINS0_14default_configENS1_25partition_config_selectorILNS1_17partition_subalgoE5EtNS0_10empty_typeEbEEZZNS1_14partition_implILS5_5ELb0ES3_mN6thrust23THRUST_200600_302600_NS6detail15normal_iteratorINSA_10device_ptrItEEEEPS6_NSA_18transform_iteratorINSB_9not_fun_tINSA_8identityItEEEESF_NSA_11use_defaultESM_EENS0_5tupleIJSF_S6_EEENSO_IJSG_SG_EEES6_PlJS6_EEE10hipError_tPvRmT3_T4_T5_T6_T7_T9_mT8_P12ihipStream_tbDpT10_ENKUlT_T0_E_clISt17integral_constantIbLb0EES1B_EEDaS16_S17_EUlS16_E_NS1_11comp_targetILNS1_3genE3ELNS1_11target_archE908ELNS1_3gpuE7ELNS1_3repE0EEENS1_30default_config_static_selectorELNS0_4arch9wavefront6targetE0EEEvT1_.num_vgpr, 0
	.set _ZN7rocprim17ROCPRIM_400000_NS6detail17trampoline_kernelINS0_14default_configENS1_25partition_config_selectorILNS1_17partition_subalgoE5EtNS0_10empty_typeEbEEZZNS1_14partition_implILS5_5ELb0ES3_mN6thrust23THRUST_200600_302600_NS6detail15normal_iteratorINSA_10device_ptrItEEEEPS6_NSA_18transform_iteratorINSB_9not_fun_tINSA_8identityItEEEESF_NSA_11use_defaultESM_EENS0_5tupleIJSF_S6_EEENSO_IJSG_SG_EEES6_PlJS6_EEE10hipError_tPvRmT3_T4_T5_T6_T7_T9_mT8_P12ihipStream_tbDpT10_ENKUlT_T0_E_clISt17integral_constantIbLb0EES1B_EEDaS16_S17_EUlS16_E_NS1_11comp_targetILNS1_3genE3ELNS1_11target_archE908ELNS1_3gpuE7ELNS1_3repE0EEENS1_30default_config_static_selectorELNS0_4arch9wavefront6targetE0EEEvT1_.num_agpr, 0
	.set _ZN7rocprim17ROCPRIM_400000_NS6detail17trampoline_kernelINS0_14default_configENS1_25partition_config_selectorILNS1_17partition_subalgoE5EtNS0_10empty_typeEbEEZZNS1_14partition_implILS5_5ELb0ES3_mN6thrust23THRUST_200600_302600_NS6detail15normal_iteratorINSA_10device_ptrItEEEEPS6_NSA_18transform_iteratorINSB_9not_fun_tINSA_8identityItEEEESF_NSA_11use_defaultESM_EENS0_5tupleIJSF_S6_EEENSO_IJSG_SG_EEES6_PlJS6_EEE10hipError_tPvRmT3_T4_T5_T6_T7_T9_mT8_P12ihipStream_tbDpT10_ENKUlT_T0_E_clISt17integral_constantIbLb0EES1B_EEDaS16_S17_EUlS16_E_NS1_11comp_targetILNS1_3genE3ELNS1_11target_archE908ELNS1_3gpuE7ELNS1_3repE0EEENS1_30default_config_static_selectorELNS0_4arch9wavefront6targetE0EEEvT1_.numbered_sgpr, 0
	.set _ZN7rocprim17ROCPRIM_400000_NS6detail17trampoline_kernelINS0_14default_configENS1_25partition_config_selectorILNS1_17partition_subalgoE5EtNS0_10empty_typeEbEEZZNS1_14partition_implILS5_5ELb0ES3_mN6thrust23THRUST_200600_302600_NS6detail15normal_iteratorINSA_10device_ptrItEEEEPS6_NSA_18transform_iteratorINSB_9not_fun_tINSA_8identityItEEEESF_NSA_11use_defaultESM_EENS0_5tupleIJSF_S6_EEENSO_IJSG_SG_EEES6_PlJS6_EEE10hipError_tPvRmT3_T4_T5_T6_T7_T9_mT8_P12ihipStream_tbDpT10_ENKUlT_T0_E_clISt17integral_constantIbLb0EES1B_EEDaS16_S17_EUlS16_E_NS1_11comp_targetILNS1_3genE3ELNS1_11target_archE908ELNS1_3gpuE7ELNS1_3repE0EEENS1_30default_config_static_selectorELNS0_4arch9wavefront6targetE0EEEvT1_.num_named_barrier, 0
	.set _ZN7rocprim17ROCPRIM_400000_NS6detail17trampoline_kernelINS0_14default_configENS1_25partition_config_selectorILNS1_17partition_subalgoE5EtNS0_10empty_typeEbEEZZNS1_14partition_implILS5_5ELb0ES3_mN6thrust23THRUST_200600_302600_NS6detail15normal_iteratorINSA_10device_ptrItEEEEPS6_NSA_18transform_iteratorINSB_9not_fun_tINSA_8identityItEEEESF_NSA_11use_defaultESM_EENS0_5tupleIJSF_S6_EEENSO_IJSG_SG_EEES6_PlJS6_EEE10hipError_tPvRmT3_T4_T5_T6_T7_T9_mT8_P12ihipStream_tbDpT10_ENKUlT_T0_E_clISt17integral_constantIbLb0EES1B_EEDaS16_S17_EUlS16_E_NS1_11comp_targetILNS1_3genE3ELNS1_11target_archE908ELNS1_3gpuE7ELNS1_3repE0EEENS1_30default_config_static_selectorELNS0_4arch9wavefront6targetE0EEEvT1_.private_seg_size, 0
	.set _ZN7rocprim17ROCPRIM_400000_NS6detail17trampoline_kernelINS0_14default_configENS1_25partition_config_selectorILNS1_17partition_subalgoE5EtNS0_10empty_typeEbEEZZNS1_14partition_implILS5_5ELb0ES3_mN6thrust23THRUST_200600_302600_NS6detail15normal_iteratorINSA_10device_ptrItEEEEPS6_NSA_18transform_iteratorINSB_9not_fun_tINSA_8identityItEEEESF_NSA_11use_defaultESM_EENS0_5tupleIJSF_S6_EEENSO_IJSG_SG_EEES6_PlJS6_EEE10hipError_tPvRmT3_T4_T5_T6_T7_T9_mT8_P12ihipStream_tbDpT10_ENKUlT_T0_E_clISt17integral_constantIbLb0EES1B_EEDaS16_S17_EUlS16_E_NS1_11comp_targetILNS1_3genE3ELNS1_11target_archE908ELNS1_3gpuE7ELNS1_3repE0EEENS1_30default_config_static_selectorELNS0_4arch9wavefront6targetE0EEEvT1_.uses_vcc, 0
	.set _ZN7rocprim17ROCPRIM_400000_NS6detail17trampoline_kernelINS0_14default_configENS1_25partition_config_selectorILNS1_17partition_subalgoE5EtNS0_10empty_typeEbEEZZNS1_14partition_implILS5_5ELb0ES3_mN6thrust23THRUST_200600_302600_NS6detail15normal_iteratorINSA_10device_ptrItEEEEPS6_NSA_18transform_iteratorINSB_9not_fun_tINSA_8identityItEEEESF_NSA_11use_defaultESM_EENS0_5tupleIJSF_S6_EEENSO_IJSG_SG_EEES6_PlJS6_EEE10hipError_tPvRmT3_T4_T5_T6_T7_T9_mT8_P12ihipStream_tbDpT10_ENKUlT_T0_E_clISt17integral_constantIbLb0EES1B_EEDaS16_S17_EUlS16_E_NS1_11comp_targetILNS1_3genE3ELNS1_11target_archE908ELNS1_3gpuE7ELNS1_3repE0EEENS1_30default_config_static_selectorELNS0_4arch9wavefront6targetE0EEEvT1_.uses_flat_scratch, 0
	.set _ZN7rocprim17ROCPRIM_400000_NS6detail17trampoline_kernelINS0_14default_configENS1_25partition_config_selectorILNS1_17partition_subalgoE5EtNS0_10empty_typeEbEEZZNS1_14partition_implILS5_5ELb0ES3_mN6thrust23THRUST_200600_302600_NS6detail15normal_iteratorINSA_10device_ptrItEEEEPS6_NSA_18transform_iteratorINSB_9not_fun_tINSA_8identityItEEEESF_NSA_11use_defaultESM_EENS0_5tupleIJSF_S6_EEENSO_IJSG_SG_EEES6_PlJS6_EEE10hipError_tPvRmT3_T4_T5_T6_T7_T9_mT8_P12ihipStream_tbDpT10_ENKUlT_T0_E_clISt17integral_constantIbLb0EES1B_EEDaS16_S17_EUlS16_E_NS1_11comp_targetILNS1_3genE3ELNS1_11target_archE908ELNS1_3gpuE7ELNS1_3repE0EEENS1_30default_config_static_selectorELNS0_4arch9wavefront6targetE0EEEvT1_.has_dyn_sized_stack, 0
	.set _ZN7rocprim17ROCPRIM_400000_NS6detail17trampoline_kernelINS0_14default_configENS1_25partition_config_selectorILNS1_17partition_subalgoE5EtNS0_10empty_typeEbEEZZNS1_14partition_implILS5_5ELb0ES3_mN6thrust23THRUST_200600_302600_NS6detail15normal_iteratorINSA_10device_ptrItEEEEPS6_NSA_18transform_iteratorINSB_9not_fun_tINSA_8identityItEEEESF_NSA_11use_defaultESM_EENS0_5tupleIJSF_S6_EEENSO_IJSG_SG_EEES6_PlJS6_EEE10hipError_tPvRmT3_T4_T5_T6_T7_T9_mT8_P12ihipStream_tbDpT10_ENKUlT_T0_E_clISt17integral_constantIbLb0EES1B_EEDaS16_S17_EUlS16_E_NS1_11comp_targetILNS1_3genE3ELNS1_11target_archE908ELNS1_3gpuE7ELNS1_3repE0EEENS1_30default_config_static_selectorELNS0_4arch9wavefront6targetE0EEEvT1_.has_recursion, 0
	.set _ZN7rocprim17ROCPRIM_400000_NS6detail17trampoline_kernelINS0_14default_configENS1_25partition_config_selectorILNS1_17partition_subalgoE5EtNS0_10empty_typeEbEEZZNS1_14partition_implILS5_5ELb0ES3_mN6thrust23THRUST_200600_302600_NS6detail15normal_iteratorINSA_10device_ptrItEEEEPS6_NSA_18transform_iteratorINSB_9not_fun_tINSA_8identityItEEEESF_NSA_11use_defaultESM_EENS0_5tupleIJSF_S6_EEENSO_IJSG_SG_EEES6_PlJS6_EEE10hipError_tPvRmT3_T4_T5_T6_T7_T9_mT8_P12ihipStream_tbDpT10_ENKUlT_T0_E_clISt17integral_constantIbLb0EES1B_EEDaS16_S17_EUlS16_E_NS1_11comp_targetILNS1_3genE3ELNS1_11target_archE908ELNS1_3gpuE7ELNS1_3repE0EEENS1_30default_config_static_selectorELNS0_4arch9wavefront6targetE0EEEvT1_.has_indirect_call, 0
	.section	.AMDGPU.csdata,"",@progbits
; Kernel info:
; codeLenInByte = 0
; TotalNumSgprs: 0
; NumVgprs: 0
; ScratchSize: 0
; MemoryBound: 0
; FloatMode: 240
; IeeeMode: 1
; LDSByteSize: 0 bytes/workgroup (compile time only)
; SGPRBlocks: 0
; VGPRBlocks: 0
; NumSGPRsForWavesPerEU: 1
; NumVGPRsForWavesPerEU: 1
; Occupancy: 16
; WaveLimiterHint : 0
; COMPUTE_PGM_RSRC2:SCRATCH_EN: 0
; COMPUTE_PGM_RSRC2:USER_SGPR: 2
; COMPUTE_PGM_RSRC2:TRAP_HANDLER: 0
; COMPUTE_PGM_RSRC2:TGID_X_EN: 1
; COMPUTE_PGM_RSRC2:TGID_Y_EN: 0
; COMPUTE_PGM_RSRC2:TGID_Z_EN: 0
; COMPUTE_PGM_RSRC2:TIDIG_COMP_CNT: 0
	.section	.text._ZN7rocprim17ROCPRIM_400000_NS6detail17trampoline_kernelINS0_14default_configENS1_25partition_config_selectorILNS1_17partition_subalgoE5EtNS0_10empty_typeEbEEZZNS1_14partition_implILS5_5ELb0ES3_mN6thrust23THRUST_200600_302600_NS6detail15normal_iteratorINSA_10device_ptrItEEEEPS6_NSA_18transform_iteratorINSB_9not_fun_tINSA_8identityItEEEESF_NSA_11use_defaultESM_EENS0_5tupleIJSF_S6_EEENSO_IJSG_SG_EEES6_PlJS6_EEE10hipError_tPvRmT3_T4_T5_T6_T7_T9_mT8_P12ihipStream_tbDpT10_ENKUlT_T0_E_clISt17integral_constantIbLb0EES1B_EEDaS16_S17_EUlS16_E_NS1_11comp_targetILNS1_3genE2ELNS1_11target_archE906ELNS1_3gpuE6ELNS1_3repE0EEENS1_30default_config_static_selectorELNS0_4arch9wavefront6targetE0EEEvT1_,"axG",@progbits,_ZN7rocprim17ROCPRIM_400000_NS6detail17trampoline_kernelINS0_14default_configENS1_25partition_config_selectorILNS1_17partition_subalgoE5EtNS0_10empty_typeEbEEZZNS1_14partition_implILS5_5ELb0ES3_mN6thrust23THRUST_200600_302600_NS6detail15normal_iteratorINSA_10device_ptrItEEEEPS6_NSA_18transform_iteratorINSB_9not_fun_tINSA_8identityItEEEESF_NSA_11use_defaultESM_EENS0_5tupleIJSF_S6_EEENSO_IJSG_SG_EEES6_PlJS6_EEE10hipError_tPvRmT3_T4_T5_T6_T7_T9_mT8_P12ihipStream_tbDpT10_ENKUlT_T0_E_clISt17integral_constantIbLb0EES1B_EEDaS16_S17_EUlS16_E_NS1_11comp_targetILNS1_3genE2ELNS1_11target_archE906ELNS1_3gpuE6ELNS1_3repE0EEENS1_30default_config_static_selectorELNS0_4arch9wavefront6targetE0EEEvT1_,comdat
	.protected	_ZN7rocprim17ROCPRIM_400000_NS6detail17trampoline_kernelINS0_14default_configENS1_25partition_config_selectorILNS1_17partition_subalgoE5EtNS0_10empty_typeEbEEZZNS1_14partition_implILS5_5ELb0ES3_mN6thrust23THRUST_200600_302600_NS6detail15normal_iteratorINSA_10device_ptrItEEEEPS6_NSA_18transform_iteratorINSB_9not_fun_tINSA_8identityItEEEESF_NSA_11use_defaultESM_EENS0_5tupleIJSF_S6_EEENSO_IJSG_SG_EEES6_PlJS6_EEE10hipError_tPvRmT3_T4_T5_T6_T7_T9_mT8_P12ihipStream_tbDpT10_ENKUlT_T0_E_clISt17integral_constantIbLb0EES1B_EEDaS16_S17_EUlS16_E_NS1_11comp_targetILNS1_3genE2ELNS1_11target_archE906ELNS1_3gpuE6ELNS1_3repE0EEENS1_30default_config_static_selectorELNS0_4arch9wavefront6targetE0EEEvT1_ ; -- Begin function _ZN7rocprim17ROCPRIM_400000_NS6detail17trampoline_kernelINS0_14default_configENS1_25partition_config_selectorILNS1_17partition_subalgoE5EtNS0_10empty_typeEbEEZZNS1_14partition_implILS5_5ELb0ES3_mN6thrust23THRUST_200600_302600_NS6detail15normal_iteratorINSA_10device_ptrItEEEEPS6_NSA_18transform_iteratorINSB_9not_fun_tINSA_8identityItEEEESF_NSA_11use_defaultESM_EENS0_5tupleIJSF_S6_EEENSO_IJSG_SG_EEES6_PlJS6_EEE10hipError_tPvRmT3_T4_T5_T6_T7_T9_mT8_P12ihipStream_tbDpT10_ENKUlT_T0_E_clISt17integral_constantIbLb0EES1B_EEDaS16_S17_EUlS16_E_NS1_11comp_targetILNS1_3genE2ELNS1_11target_archE906ELNS1_3gpuE6ELNS1_3repE0EEENS1_30default_config_static_selectorELNS0_4arch9wavefront6targetE0EEEvT1_
	.globl	_ZN7rocprim17ROCPRIM_400000_NS6detail17trampoline_kernelINS0_14default_configENS1_25partition_config_selectorILNS1_17partition_subalgoE5EtNS0_10empty_typeEbEEZZNS1_14partition_implILS5_5ELb0ES3_mN6thrust23THRUST_200600_302600_NS6detail15normal_iteratorINSA_10device_ptrItEEEEPS6_NSA_18transform_iteratorINSB_9not_fun_tINSA_8identityItEEEESF_NSA_11use_defaultESM_EENS0_5tupleIJSF_S6_EEENSO_IJSG_SG_EEES6_PlJS6_EEE10hipError_tPvRmT3_T4_T5_T6_T7_T9_mT8_P12ihipStream_tbDpT10_ENKUlT_T0_E_clISt17integral_constantIbLb0EES1B_EEDaS16_S17_EUlS16_E_NS1_11comp_targetILNS1_3genE2ELNS1_11target_archE906ELNS1_3gpuE6ELNS1_3repE0EEENS1_30default_config_static_selectorELNS0_4arch9wavefront6targetE0EEEvT1_
	.p2align	8
	.type	_ZN7rocprim17ROCPRIM_400000_NS6detail17trampoline_kernelINS0_14default_configENS1_25partition_config_selectorILNS1_17partition_subalgoE5EtNS0_10empty_typeEbEEZZNS1_14partition_implILS5_5ELb0ES3_mN6thrust23THRUST_200600_302600_NS6detail15normal_iteratorINSA_10device_ptrItEEEEPS6_NSA_18transform_iteratorINSB_9not_fun_tINSA_8identityItEEEESF_NSA_11use_defaultESM_EENS0_5tupleIJSF_S6_EEENSO_IJSG_SG_EEES6_PlJS6_EEE10hipError_tPvRmT3_T4_T5_T6_T7_T9_mT8_P12ihipStream_tbDpT10_ENKUlT_T0_E_clISt17integral_constantIbLb0EES1B_EEDaS16_S17_EUlS16_E_NS1_11comp_targetILNS1_3genE2ELNS1_11target_archE906ELNS1_3gpuE6ELNS1_3repE0EEENS1_30default_config_static_selectorELNS0_4arch9wavefront6targetE0EEEvT1_,@function
_ZN7rocprim17ROCPRIM_400000_NS6detail17trampoline_kernelINS0_14default_configENS1_25partition_config_selectorILNS1_17partition_subalgoE5EtNS0_10empty_typeEbEEZZNS1_14partition_implILS5_5ELb0ES3_mN6thrust23THRUST_200600_302600_NS6detail15normal_iteratorINSA_10device_ptrItEEEEPS6_NSA_18transform_iteratorINSB_9not_fun_tINSA_8identityItEEEESF_NSA_11use_defaultESM_EENS0_5tupleIJSF_S6_EEENSO_IJSG_SG_EEES6_PlJS6_EEE10hipError_tPvRmT3_T4_T5_T6_T7_T9_mT8_P12ihipStream_tbDpT10_ENKUlT_T0_E_clISt17integral_constantIbLb0EES1B_EEDaS16_S17_EUlS16_E_NS1_11comp_targetILNS1_3genE2ELNS1_11target_archE906ELNS1_3gpuE6ELNS1_3repE0EEENS1_30default_config_static_selectorELNS0_4arch9wavefront6targetE0EEEvT1_: ; @_ZN7rocprim17ROCPRIM_400000_NS6detail17trampoline_kernelINS0_14default_configENS1_25partition_config_selectorILNS1_17partition_subalgoE5EtNS0_10empty_typeEbEEZZNS1_14partition_implILS5_5ELb0ES3_mN6thrust23THRUST_200600_302600_NS6detail15normal_iteratorINSA_10device_ptrItEEEEPS6_NSA_18transform_iteratorINSB_9not_fun_tINSA_8identityItEEEESF_NSA_11use_defaultESM_EENS0_5tupleIJSF_S6_EEENSO_IJSG_SG_EEES6_PlJS6_EEE10hipError_tPvRmT3_T4_T5_T6_T7_T9_mT8_P12ihipStream_tbDpT10_ENKUlT_T0_E_clISt17integral_constantIbLb0EES1B_EEDaS16_S17_EUlS16_E_NS1_11comp_targetILNS1_3genE2ELNS1_11target_archE906ELNS1_3gpuE6ELNS1_3repE0EEENS1_30default_config_static_selectorELNS0_4arch9wavefront6targetE0EEEvT1_
; %bb.0:
	.section	.rodata,"a",@progbits
	.p2align	6, 0x0
	.amdhsa_kernel _ZN7rocprim17ROCPRIM_400000_NS6detail17trampoline_kernelINS0_14default_configENS1_25partition_config_selectorILNS1_17partition_subalgoE5EtNS0_10empty_typeEbEEZZNS1_14partition_implILS5_5ELb0ES3_mN6thrust23THRUST_200600_302600_NS6detail15normal_iteratorINSA_10device_ptrItEEEEPS6_NSA_18transform_iteratorINSB_9not_fun_tINSA_8identityItEEEESF_NSA_11use_defaultESM_EENS0_5tupleIJSF_S6_EEENSO_IJSG_SG_EEES6_PlJS6_EEE10hipError_tPvRmT3_T4_T5_T6_T7_T9_mT8_P12ihipStream_tbDpT10_ENKUlT_T0_E_clISt17integral_constantIbLb0EES1B_EEDaS16_S17_EUlS16_E_NS1_11comp_targetILNS1_3genE2ELNS1_11target_archE906ELNS1_3gpuE6ELNS1_3repE0EEENS1_30default_config_static_selectorELNS0_4arch9wavefront6targetE0EEEvT1_
		.amdhsa_group_segment_fixed_size 0
		.amdhsa_private_segment_fixed_size 0
		.amdhsa_kernarg_size 120
		.amdhsa_user_sgpr_count 2
		.amdhsa_user_sgpr_dispatch_ptr 0
		.amdhsa_user_sgpr_queue_ptr 0
		.amdhsa_user_sgpr_kernarg_segment_ptr 1
		.amdhsa_user_sgpr_dispatch_id 0
		.amdhsa_user_sgpr_private_segment_size 0
		.amdhsa_wavefront_size32 1
		.amdhsa_uses_dynamic_stack 0
		.amdhsa_enable_private_segment 0
		.amdhsa_system_sgpr_workgroup_id_x 1
		.amdhsa_system_sgpr_workgroup_id_y 0
		.amdhsa_system_sgpr_workgroup_id_z 0
		.amdhsa_system_sgpr_workgroup_info 0
		.amdhsa_system_vgpr_workitem_id 0
		.amdhsa_next_free_vgpr 1
		.amdhsa_next_free_sgpr 1
		.amdhsa_reserve_vcc 0
		.amdhsa_float_round_mode_32 0
		.amdhsa_float_round_mode_16_64 0
		.amdhsa_float_denorm_mode_32 3
		.amdhsa_float_denorm_mode_16_64 3
		.amdhsa_fp16_overflow 0
		.amdhsa_workgroup_processor_mode 1
		.amdhsa_memory_ordered 1
		.amdhsa_forward_progress 1
		.amdhsa_inst_pref_size 0
		.amdhsa_round_robin_scheduling 0
		.amdhsa_exception_fp_ieee_invalid_op 0
		.amdhsa_exception_fp_denorm_src 0
		.amdhsa_exception_fp_ieee_div_zero 0
		.amdhsa_exception_fp_ieee_overflow 0
		.amdhsa_exception_fp_ieee_underflow 0
		.amdhsa_exception_fp_ieee_inexact 0
		.amdhsa_exception_int_div_zero 0
	.end_amdhsa_kernel
	.section	.text._ZN7rocprim17ROCPRIM_400000_NS6detail17trampoline_kernelINS0_14default_configENS1_25partition_config_selectorILNS1_17partition_subalgoE5EtNS0_10empty_typeEbEEZZNS1_14partition_implILS5_5ELb0ES3_mN6thrust23THRUST_200600_302600_NS6detail15normal_iteratorINSA_10device_ptrItEEEEPS6_NSA_18transform_iteratorINSB_9not_fun_tINSA_8identityItEEEESF_NSA_11use_defaultESM_EENS0_5tupleIJSF_S6_EEENSO_IJSG_SG_EEES6_PlJS6_EEE10hipError_tPvRmT3_T4_T5_T6_T7_T9_mT8_P12ihipStream_tbDpT10_ENKUlT_T0_E_clISt17integral_constantIbLb0EES1B_EEDaS16_S17_EUlS16_E_NS1_11comp_targetILNS1_3genE2ELNS1_11target_archE906ELNS1_3gpuE6ELNS1_3repE0EEENS1_30default_config_static_selectorELNS0_4arch9wavefront6targetE0EEEvT1_,"axG",@progbits,_ZN7rocprim17ROCPRIM_400000_NS6detail17trampoline_kernelINS0_14default_configENS1_25partition_config_selectorILNS1_17partition_subalgoE5EtNS0_10empty_typeEbEEZZNS1_14partition_implILS5_5ELb0ES3_mN6thrust23THRUST_200600_302600_NS6detail15normal_iteratorINSA_10device_ptrItEEEEPS6_NSA_18transform_iteratorINSB_9not_fun_tINSA_8identityItEEEESF_NSA_11use_defaultESM_EENS0_5tupleIJSF_S6_EEENSO_IJSG_SG_EEES6_PlJS6_EEE10hipError_tPvRmT3_T4_T5_T6_T7_T9_mT8_P12ihipStream_tbDpT10_ENKUlT_T0_E_clISt17integral_constantIbLb0EES1B_EEDaS16_S17_EUlS16_E_NS1_11comp_targetILNS1_3genE2ELNS1_11target_archE906ELNS1_3gpuE6ELNS1_3repE0EEENS1_30default_config_static_selectorELNS0_4arch9wavefront6targetE0EEEvT1_,comdat
.Lfunc_end921:
	.size	_ZN7rocprim17ROCPRIM_400000_NS6detail17trampoline_kernelINS0_14default_configENS1_25partition_config_selectorILNS1_17partition_subalgoE5EtNS0_10empty_typeEbEEZZNS1_14partition_implILS5_5ELb0ES3_mN6thrust23THRUST_200600_302600_NS6detail15normal_iteratorINSA_10device_ptrItEEEEPS6_NSA_18transform_iteratorINSB_9not_fun_tINSA_8identityItEEEESF_NSA_11use_defaultESM_EENS0_5tupleIJSF_S6_EEENSO_IJSG_SG_EEES6_PlJS6_EEE10hipError_tPvRmT3_T4_T5_T6_T7_T9_mT8_P12ihipStream_tbDpT10_ENKUlT_T0_E_clISt17integral_constantIbLb0EES1B_EEDaS16_S17_EUlS16_E_NS1_11comp_targetILNS1_3genE2ELNS1_11target_archE906ELNS1_3gpuE6ELNS1_3repE0EEENS1_30default_config_static_selectorELNS0_4arch9wavefront6targetE0EEEvT1_, .Lfunc_end921-_ZN7rocprim17ROCPRIM_400000_NS6detail17trampoline_kernelINS0_14default_configENS1_25partition_config_selectorILNS1_17partition_subalgoE5EtNS0_10empty_typeEbEEZZNS1_14partition_implILS5_5ELb0ES3_mN6thrust23THRUST_200600_302600_NS6detail15normal_iteratorINSA_10device_ptrItEEEEPS6_NSA_18transform_iteratorINSB_9not_fun_tINSA_8identityItEEEESF_NSA_11use_defaultESM_EENS0_5tupleIJSF_S6_EEENSO_IJSG_SG_EEES6_PlJS6_EEE10hipError_tPvRmT3_T4_T5_T6_T7_T9_mT8_P12ihipStream_tbDpT10_ENKUlT_T0_E_clISt17integral_constantIbLb0EES1B_EEDaS16_S17_EUlS16_E_NS1_11comp_targetILNS1_3genE2ELNS1_11target_archE906ELNS1_3gpuE6ELNS1_3repE0EEENS1_30default_config_static_selectorELNS0_4arch9wavefront6targetE0EEEvT1_
                                        ; -- End function
	.set _ZN7rocprim17ROCPRIM_400000_NS6detail17trampoline_kernelINS0_14default_configENS1_25partition_config_selectorILNS1_17partition_subalgoE5EtNS0_10empty_typeEbEEZZNS1_14partition_implILS5_5ELb0ES3_mN6thrust23THRUST_200600_302600_NS6detail15normal_iteratorINSA_10device_ptrItEEEEPS6_NSA_18transform_iteratorINSB_9not_fun_tINSA_8identityItEEEESF_NSA_11use_defaultESM_EENS0_5tupleIJSF_S6_EEENSO_IJSG_SG_EEES6_PlJS6_EEE10hipError_tPvRmT3_T4_T5_T6_T7_T9_mT8_P12ihipStream_tbDpT10_ENKUlT_T0_E_clISt17integral_constantIbLb0EES1B_EEDaS16_S17_EUlS16_E_NS1_11comp_targetILNS1_3genE2ELNS1_11target_archE906ELNS1_3gpuE6ELNS1_3repE0EEENS1_30default_config_static_selectorELNS0_4arch9wavefront6targetE0EEEvT1_.num_vgpr, 0
	.set _ZN7rocprim17ROCPRIM_400000_NS6detail17trampoline_kernelINS0_14default_configENS1_25partition_config_selectorILNS1_17partition_subalgoE5EtNS0_10empty_typeEbEEZZNS1_14partition_implILS5_5ELb0ES3_mN6thrust23THRUST_200600_302600_NS6detail15normal_iteratorINSA_10device_ptrItEEEEPS6_NSA_18transform_iteratorINSB_9not_fun_tINSA_8identityItEEEESF_NSA_11use_defaultESM_EENS0_5tupleIJSF_S6_EEENSO_IJSG_SG_EEES6_PlJS6_EEE10hipError_tPvRmT3_T4_T5_T6_T7_T9_mT8_P12ihipStream_tbDpT10_ENKUlT_T0_E_clISt17integral_constantIbLb0EES1B_EEDaS16_S17_EUlS16_E_NS1_11comp_targetILNS1_3genE2ELNS1_11target_archE906ELNS1_3gpuE6ELNS1_3repE0EEENS1_30default_config_static_selectorELNS0_4arch9wavefront6targetE0EEEvT1_.num_agpr, 0
	.set _ZN7rocprim17ROCPRIM_400000_NS6detail17trampoline_kernelINS0_14default_configENS1_25partition_config_selectorILNS1_17partition_subalgoE5EtNS0_10empty_typeEbEEZZNS1_14partition_implILS5_5ELb0ES3_mN6thrust23THRUST_200600_302600_NS6detail15normal_iteratorINSA_10device_ptrItEEEEPS6_NSA_18transform_iteratorINSB_9not_fun_tINSA_8identityItEEEESF_NSA_11use_defaultESM_EENS0_5tupleIJSF_S6_EEENSO_IJSG_SG_EEES6_PlJS6_EEE10hipError_tPvRmT3_T4_T5_T6_T7_T9_mT8_P12ihipStream_tbDpT10_ENKUlT_T0_E_clISt17integral_constantIbLb0EES1B_EEDaS16_S17_EUlS16_E_NS1_11comp_targetILNS1_3genE2ELNS1_11target_archE906ELNS1_3gpuE6ELNS1_3repE0EEENS1_30default_config_static_selectorELNS0_4arch9wavefront6targetE0EEEvT1_.numbered_sgpr, 0
	.set _ZN7rocprim17ROCPRIM_400000_NS6detail17trampoline_kernelINS0_14default_configENS1_25partition_config_selectorILNS1_17partition_subalgoE5EtNS0_10empty_typeEbEEZZNS1_14partition_implILS5_5ELb0ES3_mN6thrust23THRUST_200600_302600_NS6detail15normal_iteratorINSA_10device_ptrItEEEEPS6_NSA_18transform_iteratorINSB_9not_fun_tINSA_8identityItEEEESF_NSA_11use_defaultESM_EENS0_5tupleIJSF_S6_EEENSO_IJSG_SG_EEES6_PlJS6_EEE10hipError_tPvRmT3_T4_T5_T6_T7_T9_mT8_P12ihipStream_tbDpT10_ENKUlT_T0_E_clISt17integral_constantIbLb0EES1B_EEDaS16_S17_EUlS16_E_NS1_11comp_targetILNS1_3genE2ELNS1_11target_archE906ELNS1_3gpuE6ELNS1_3repE0EEENS1_30default_config_static_selectorELNS0_4arch9wavefront6targetE0EEEvT1_.num_named_barrier, 0
	.set _ZN7rocprim17ROCPRIM_400000_NS6detail17trampoline_kernelINS0_14default_configENS1_25partition_config_selectorILNS1_17partition_subalgoE5EtNS0_10empty_typeEbEEZZNS1_14partition_implILS5_5ELb0ES3_mN6thrust23THRUST_200600_302600_NS6detail15normal_iteratorINSA_10device_ptrItEEEEPS6_NSA_18transform_iteratorINSB_9not_fun_tINSA_8identityItEEEESF_NSA_11use_defaultESM_EENS0_5tupleIJSF_S6_EEENSO_IJSG_SG_EEES6_PlJS6_EEE10hipError_tPvRmT3_T4_T5_T6_T7_T9_mT8_P12ihipStream_tbDpT10_ENKUlT_T0_E_clISt17integral_constantIbLb0EES1B_EEDaS16_S17_EUlS16_E_NS1_11comp_targetILNS1_3genE2ELNS1_11target_archE906ELNS1_3gpuE6ELNS1_3repE0EEENS1_30default_config_static_selectorELNS0_4arch9wavefront6targetE0EEEvT1_.private_seg_size, 0
	.set _ZN7rocprim17ROCPRIM_400000_NS6detail17trampoline_kernelINS0_14default_configENS1_25partition_config_selectorILNS1_17partition_subalgoE5EtNS0_10empty_typeEbEEZZNS1_14partition_implILS5_5ELb0ES3_mN6thrust23THRUST_200600_302600_NS6detail15normal_iteratorINSA_10device_ptrItEEEEPS6_NSA_18transform_iteratorINSB_9not_fun_tINSA_8identityItEEEESF_NSA_11use_defaultESM_EENS0_5tupleIJSF_S6_EEENSO_IJSG_SG_EEES6_PlJS6_EEE10hipError_tPvRmT3_T4_T5_T6_T7_T9_mT8_P12ihipStream_tbDpT10_ENKUlT_T0_E_clISt17integral_constantIbLb0EES1B_EEDaS16_S17_EUlS16_E_NS1_11comp_targetILNS1_3genE2ELNS1_11target_archE906ELNS1_3gpuE6ELNS1_3repE0EEENS1_30default_config_static_selectorELNS0_4arch9wavefront6targetE0EEEvT1_.uses_vcc, 0
	.set _ZN7rocprim17ROCPRIM_400000_NS6detail17trampoline_kernelINS0_14default_configENS1_25partition_config_selectorILNS1_17partition_subalgoE5EtNS0_10empty_typeEbEEZZNS1_14partition_implILS5_5ELb0ES3_mN6thrust23THRUST_200600_302600_NS6detail15normal_iteratorINSA_10device_ptrItEEEEPS6_NSA_18transform_iteratorINSB_9not_fun_tINSA_8identityItEEEESF_NSA_11use_defaultESM_EENS0_5tupleIJSF_S6_EEENSO_IJSG_SG_EEES6_PlJS6_EEE10hipError_tPvRmT3_T4_T5_T6_T7_T9_mT8_P12ihipStream_tbDpT10_ENKUlT_T0_E_clISt17integral_constantIbLb0EES1B_EEDaS16_S17_EUlS16_E_NS1_11comp_targetILNS1_3genE2ELNS1_11target_archE906ELNS1_3gpuE6ELNS1_3repE0EEENS1_30default_config_static_selectorELNS0_4arch9wavefront6targetE0EEEvT1_.uses_flat_scratch, 0
	.set _ZN7rocprim17ROCPRIM_400000_NS6detail17trampoline_kernelINS0_14default_configENS1_25partition_config_selectorILNS1_17partition_subalgoE5EtNS0_10empty_typeEbEEZZNS1_14partition_implILS5_5ELb0ES3_mN6thrust23THRUST_200600_302600_NS6detail15normal_iteratorINSA_10device_ptrItEEEEPS6_NSA_18transform_iteratorINSB_9not_fun_tINSA_8identityItEEEESF_NSA_11use_defaultESM_EENS0_5tupleIJSF_S6_EEENSO_IJSG_SG_EEES6_PlJS6_EEE10hipError_tPvRmT3_T4_T5_T6_T7_T9_mT8_P12ihipStream_tbDpT10_ENKUlT_T0_E_clISt17integral_constantIbLb0EES1B_EEDaS16_S17_EUlS16_E_NS1_11comp_targetILNS1_3genE2ELNS1_11target_archE906ELNS1_3gpuE6ELNS1_3repE0EEENS1_30default_config_static_selectorELNS0_4arch9wavefront6targetE0EEEvT1_.has_dyn_sized_stack, 0
	.set _ZN7rocprim17ROCPRIM_400000_NS6detail17trampoline_kernelINS0_14default_configENS1_25partition_config_selectorILNS1_17partition_subalgoE5EtNS0_10empty_typeEbEEZZNS1_14partition_implILS5_5ELb0ES3_mN6thrust23THRUST_200600_302600_NS6detail15normal_iteratorINSA_10device_ptrItEEEEPS6_NSA_18transform_iteratorINSB_9not_fun_tINSA_8identityItEEEESF_NSA_11use_defaultESM_EENS0_5tupleIJSF_S6_EEENSO_IJSG_SG_EEES6_PlJS6_EEE10hipError_tPvRmT3_T4_T5_T6_T7_T9_mT8_P12ihipStream_tbDpT10_ENKUlT_T0_E_clISt17integral_constantIbLb0EES1B_EEDaS16_S17_EUlS16_E_NS1_11comp_targetILNS1_3genE2ELNS1_11target_archE906ELNS1_3gpuE6ELNS1_3repE0EEENS1_30default_config_static_selectorELNS0_4arch9wavefront6targetE0EEEvT1_.has_recursion, 0
	.set _ZN7rocprim17ROCPRIM_400000_NS6detail17trampoline_kernelINS0_14default_configENS1_25partition_config_selectorILNS1_17partition_subalgoE5EtNS0_10empty_typeEbEEZZNS1_14partition_implILS5_5ELb0ES3_mN6thrust23THRUST_200600_302600_NS6detail15normal_iteratorINSA_10device_ptrItEEEEPS6_NSA_18transform_iteratorINSB_9not_fun_tINSA_8identityItEEEESF_NSA_11use_defaultESM_EENS0_5tupleIJSF_S6_EEENSO_IJSG_SG_EEES6_PlJS6_EEE10hipError_tPvRmT3_T4_T5_T6_T7_T9_mT8_P12ihipStream_tbDpT10_ENKUlT_T0_E_clISt17integral_constantIbLb0EES1B_EEDaS16_S17_EUlS16_E_NS1_11comp_targetILNS1_3genE2ELNS1_11target_archE906ELNS1_3gpuE6ELNS1_3repE0EEENS1_30default_config_static_selectorELNS0_4arch9wavefront6targetE0EEEvT1_.has_indirect_call, 0
	.section	.AMDGPU.csdata,"",@progbits
; Kernel info:
; codeLenInByte = 0
; TotalNumSgprs: 0
; NumVgprs: 0
; ScratchSize: 0
; MemoryBound: 0
; FloatMode: 240
; IeeeMode: 1
; LDSByteSize: 0 bytes/workgroup (compile time only)
; SGPRBlocks: 0
; VGPRBlocks: 0
; NumSGPRsForWavesPerEU: 1
; NumVGPRsForWavesPerEU: 1
; Occupancy: 16
; WaveLimiterHint : 0
; COMPUTE_PGM_RSRC2:SCRATCH_EN: 0
; COMPUTE_PGM_RSRC2:USER_SGPR: 2
; COMPUTE_PGM_RSRC2:TRAP_HANDLER: 0
; COMPUTE_PGM_RSRC2:TGID_X_EN: 1
; COMPUTE_PGM_RSRC2:TGID_Y_EN: 0
; COMPUTE_PGM_RSRC2:TGID_Z_EN: 0
; COMPUTE_PGM_RSRC2:TIDIG_COMP_CNT: 0
	.section	.text._ZN7rocprim17ROCPRIM_400000_NS6detail17trampoline_kernelINS0_14default_configENS1_25partition_config_selectorILNS1_17partition_subalgoE5EtNS0_10empty_typeEbEEZZNS1_14partition_implILS5_5ELb0ES3_mN6thrust23THRUST_200600_302600_NS6detail15normal_iteratorINSA_10device_ptrItEEEEPS6_NSA_18transform_iteratorINSB_9not_fun_tINSA_8identityItEEEESF_NSA_11use_defaultESM_EENS0_5tupleIJSF_S6_EEENSO_IJSG_SG_EEES6_PlJS6_EEE10hipError_tPvRmT3_T4_T5_T6_T7_T9_mT8_P12ihipStream_tbDpT10_ENKUlT_T0_E_clISt17integral_constantIbLb0EES1B_EEDaS16_S17_EUlS16_E_NS1_11comp_targetILNS1_3genE10ELNS1_11target_archE1200ELNS1_3gpuE4ELNS1_3repE0EEENS1_30default_config_static_selectorELNS0_4arch9wavefront6targetE0EEEvT1_,"axG",@progbits,_ZN7rocprim17ROCPRIM_400000_NS6detail17trampoline_kernelINS0_14default_configENS1_25partition_config_selectorILNS1_17partition_subalgoE5EtNS0_10empty_typeEbEEZZNS1_14partition_implILS5_5ELb0ES3_mN6thrust23THRUST_200600_302600_NS6detail15normal_iteratorINSA_10device_ptrItEEEEPS6_NSA_18transform_iteratorINSB_9not_fun_tINSA_8identityItEEEESF_NSA_11use_defaultESM_EENS0_5tupleIJSF_S6_EEENSO_IJSG_SG_EEES6_PlJS6_EEE10hipError_tPvRmT3_T4_T5_T6_T7_T9_mT8_P12ihipStream_tbDpT10_ENKUlT_T0_E_clISt17integral_constantIbLb0EES1B_EEDaS16_S17_EUlS16_E_NS1_11comp_targetILNS1_3genE10ELNS1_11target_archE1200ELNS1_3gpuE4ELNS1_3repE0EEENS1_30default_config_static_selectorELNS0_4arch9wavefront6targetE0EEEvT1_,comdat
	.protected	_ZN7rocprim17ROCPRIM_400000_NS6detail17trampoline_kernelINS0_14default_configENS1_25partition_config_selectorILNS1_17partition_subalgoE5EtNS0_10empty_typeEbEEZZNS1_14partition_implILS5_5ELb0ES3_mN6thrust23THRUST_200600_302600_NS6detail15normal_iteratorINSA_10device_ptrItEEEEPS6_NSA_18transform_iteratorINSB_9not_fun_tINSA_8identityItEEEESF_NSA_11use_defaultESM_EENS0_5tupleIJSF_S6_EEENSO_IJSG_SG_EEES6_PlJS6_EEE10hipError_tPvRmT3_T4_T5_T6_T7_T9_mT8_P12ihipStream_tbDpT10_ENKUlT_T0_E_clISt17integral_constantIbLb0EES1B_EEDaS16_S17_EUlS16_E_NS1_11comp_targetILNS1_3genE10ELNS1_11target_archE1200ELNS1_3gpuE4ELNS1_3repE0EEENS1_30default_config_static_selectorELNS0_4arch9wavefront6targetE0EEEvT1_ ; -- Begin function _ZN7rocprim17ROCPRIM_400000_NS6detail17trampoline_kernelINS0_14default_configENS1_25partition_config_selectorILNS1_17partition_subalgoE5EtNS0_10empty_typeEbEEZZNS1_14partition_implILS5_5ELb0ES3_mN6thrust23THRUST_200600_302600_NS6detail15normal_iteratorINSA_10device_ptrItEEEEPS6_NSA_18transform_iteratorINSB_9not_fun_tINSA_8identityItEEEESF_NSA_11use_defaultESM_EENS0_5tupleIJSF_S6_EEENSO_IJSG_SG_EEES6_PlJS6_EEE10hipError_tPvRmT3_T4_T5_T6_T7_T9_mT8_P12ihipStream_tbDpT10_ENKUlT_T0_E_clISt17integral_constantIbLb0EES1B_EEDaS16_S17_EUlS16_E_NS1_11comp_targetILNS1_3genE10ELNS1_11target_archE1200ELNS1_3gpuE4ELNS1_3repE0EEENS1_30default_config_static_selectorELNS0_4arch9wavefront6targetE0EEEvT1_
	.globl	_ZN7rocprim17ROCPRIM_400000_NS6detail17trampoline_kernelINS0_14default_configENS1_25partition_config_selectorILNS1_17partition_subalgoE5EtNS0_10empty_typeEbEEZZNS1_14partition_implILS5_5ELb0ES3_mN6thrust23THRUST_200600_302600_NS6detail15normal_iteratorINSA_10device_ptrItEEEEPS6_NSA_18transform_iteratorINSB_9not_fun_tINSA_8identityItEEEESF_NSA_11use_defaultESM_EENS0_5tupleIJSF_S6_EEENSO_IJSG_SG_EEES6_PlJS6_EEE10hipError_tPvRmT3_T4_T5_T6_T7_T9_mT8_P12ihipStream_tbDpT10_ENKUlT_T0_E_clISt17integral_constantIbLb0EES1B_EEDaS16_S17_EUlS16_E_NS1_11comp_targetILNS1_3genE10ELNS1_11target_archE1200ELNS1_3gpuE4ELNS1_3repE0EEENS1_30default_config_static_selectorELNS0_4arch9wavefront6targetE0EEEvT1_
	.p2align	8
	.type	_ZN7rocprim17ROCPRIM_400000_NS6detail17trampoline_kernelINS0_14default_configENS1_25partition_config_selectorILNS1_17partition_subalgoE5EtNS0_10empty_typeEbEEZZNS1_14partition_implILS5_5ELb0ES3_mN6thrust23THRUST_200600_302600_NS6detail15normal_iteratorINSA_10device_ptrItEEEEPS6_NSA_18transform_iteratorINSB_9not_fun_tINSA_8identityItEEEESF_NSA_11use_defaultESM_EENS0_5tupleIJSF_S6_EEENSO_IJSG_SG_EEES6_PlJS6_EEE10hipError_tPvRmT3_T4_T5_T6_T7_T9_mT8_P12ihipStream_tbDpT10_ENKUlT_T0_E_clISt17integral_constantIbLb0EES1B_EEDaS16_S17_EUlS16_E_NS1_11comp_targetILNS1_3genE10ELNS1_11target_archE1200ELNS1_3gpuE4ELNS1_3repE0EEENS1_30default_config_static_selectorELNS0_4arch9wavefront6targetE0EEEvT1_,@function
_ZN7rocprim17ROCPRIM_400000_NS6detail17trampoline_kernelINS0_14default_configENS1_25partition_config_selectorILNS1_17partition_subalgoE5EtNS0_10empty_typeEbEEZZNS1_14partition_implILS5_5ELb0ES3_mN6thrust23THRUST_200600_302600_NS6detail15normal_iteratorINSA_10device_ptrItEEEEPS6_NSA_18transform_iteratorINSB_9not_fun_tINSA_8identityItEEEESF_NSA_11use_defaultESM_EENS0_5tupleIJSF_S6_EEENSO_IJSG_SG_EEES6_PlJS6_EEE10hipError_tPvRmT3_T4_T5_T6_T7_T9_mT8_P12ihipStream_tbDpT10_ENKUlT_T0_E_clISt17integral_constantIbLb0EES1B_EEDaS16_S17_EUlS16_E_NS1_11comp_targetILNS1_3genE10ELNS1_11target_archE1200ELNS1_3gpuE4ELNS1_3repE0EEENS1_30default_config_static_selectorELNS0_4arch9wavefront6targetE0EEEvT1_: ; @_ZN7rocprim17ROCPRIM_400000_NS6detail17trampoline_kernelINS0_14default_configENS1_25partition_config_selectorILNS1_17partition_subalgoE5EtNS0_10empty_typeEbEEZZNS1_14partition_implILS5_5ELb0ES3_mN6thrust23THRUST_200600_302600_NS6detail15normal_iteratorINSA_10device_ptrItEEEEPS6_NSA_18transform_iteratorINSB_9not_fun_tINSA_8identityItEEEESF_NSA_11use_defaultESM_EENS0_5tupleIJSF_S6_EEENSO_IJSG_SG_EEES6_PlJS6_EEE10hipError_tPvRmT3_T4_T5_T6_T7_T9_mT8_P12ihipStream_tbDpT10_ENKUlT_T0_E_clISt17integral_constantIbLb0EES1B_EEDaS16_S17_EUlS16_E_NS1_11comp_targetILNS1_3genE10ELNS1_11target_archE1200ELNS1_3gpuE4ELNS1_3repE0EEENS1_30default_config_static_selectorELNS0_4arch9wavefront6targetE0EEEvT1_
; %bb.0:
	s_clause 0x3
	s_load_b128 s[12:15], s[0:1], 0x8
	s_load_b128 s[8:11], s[0:1], 0x48
	s_load_b32 s18, s[0:1], 0x70
	s_load_b64 s[2:3], s[0:1], 0x58
	s_mov_b32 s17, 0
	s_mul_i32 s20, ttmp9, 0xc00
	s_mov_b32 s21, s17
	v_lshlrev_b32_e32 v9, 1, v0
	s_wait_kmcnt 0x0
	s_lshl_b64 s[4:5], s[14:15], 1
	s_load_b64 s[6:7], s[10:11], 0x0
	s_mul_i32 s16, s18, 0xc00
	s_add_co_i32 s19, s18, -1
	s_add_co_i32 s18, s16, s14
	s_add_nc_u64 s[10:11], s[14:15], s[16:17]
	s_sub_co_i32 s18, s2, s18
	v_cmp_le_u64_e64 s2, s[2:3], s[10:11]
	s_addk_co_i32 s18, 0xc00
	s_cmp_eq_u32 ttmp9, s19
	s_add_nc_u64 s[12:13], s[12:13], s[4:5]
	s_cselect_b32 s16, -1, 0
	s_lshl_b64 s[10:11], s[20:21], 1
	s_and_b32 s2, s16, s2
	s_mov_b32 s3, -1
	s_wait_alu 0xfffe
	s_xor_b32 s17, s2, -1
	s_add_nc_u64 s[12:13], s[12:13], s[10:11]
	s_and_b32 vcc_lo, exec_lo, s17
	s_cbranch_vccz .LBB922_2
; %bb.1:
	v_add_co_u32 v1, s2, s12, v9
	s_wait_alu 0xf1ff
	v_add_co_ci_u32_e64 v2, null, s13, 0, s2
	s_mov_b32 s3, 0
	s_clause 0xb
	flat_load_u16 v3, v[1:2]
	flat_load_u16 v4, v[1:2] offset:512
	flat_load_u16 v5, v[1:2] offset:1024
	;; [unrolled: 1-line block ×11, first 2 shown]
	s_wait_loadcnt_dscnt 0xb0b
	ds_store_b16 v9, v3
	s_wait_loadcnt_dscnt 0xa0b
	ds_store_b16 v9, v4 offset:512
	s_wait_loadcnt_dscnt 0x90b
	ds_store_b16 v9, v5 offset:1024
	s_wait_loadcnt_dscnt 0x80b
	ds_store_b16 v9, v6 offset:1536
	s_wait_loadcnt_dscnt 0x70b
	ds_store_b16 v9, v7 offset:2048
	s_wait_loadcnt_dscnt 0x60b
	ds_store_b16 v9, v8 offset:2560
	s_wait_loadcnt_dscnt 0x50b
	ds_store_b16 v9, v10 offset:3072
	s_wait_loadcnt_dscnt 0x40b
	ds_store_b16 v9, v11 offset:3584
	s_wait_loadcnt_dscnt 0x30b
	ds_store_b16 v9, v12 offset:4096
	s_wait_loadcnt_dscnt 0x20b
	ds_store_b16 v9, v13 offset:4608
	s_wait_loadcnt_dscnt 0x10b
	ds_store_b16 v9, v14 offset:5120
	s_wait_loadcnt_dscnt 0xb
	ds_store_b16 v9, v1 offset:5632
	s_wait_dscnt 0x0
	s_barrier_signal -1
	s_barrier_wait -1
.LBB922_2:
	s_load_b64 s[14:15], s[0:1], 0x20
	v_cmp_gt_u32_e64 s2, s18, v0
	s_and_not1_b32 vcc_lo, exec_lo, s3
	s_cbranch_vccnz .LBB922_28
; %bb.3:
	v_mov_b32_e32 v1, 0
	s_delay_alu instid0(VALU_DEP_1)
	v_dual_mov_b32 v2, v1 :: v_dual_mov_b32 v3, v1
	v_dual_mov_b32 v4, v1 :: v_dual_mov_b32 v5, v1
	v_mov_b32_e32 v6, v1
	s_and_saveexec_b32 s3, s2
	s_cbranch_execz .LBB922_5
; %bb.4:
	v_add_co_u32 v3, s2, s12, v9
	s_wait_alu 0xf1ff
	v_add_co_ci_u32_e64 v4, null, s13, 0, s2
	v_mov_b32_e32 v2, v1
	v_dual_mov_b32 v6, v1 :: v_dual_mov_b32 v7, v1
	v_mov_b32_e32 v5, v1
	flat_load_d16_b16 v2, v[3:4]
	v_dual_mov_b32 v3, v1 :: v_dual_mov_b32 v4, v1
	s_wait_loadcnt_dscnt 0x0
	v_mov_b32_e32 v1, v2
	s_delay_alu instid0(VALU_DEP_2) | instskip(NEXT) | instid1(VALU_DEP_3)
	v_mov_b32_e32 v2, v3
	v_mov_b32_e32 v3, v4
	;; [unrolled: 1-line block ×7, first 2 shown]
.LBB922_5:
	s_wait_alu 0xfffe
	s_or_b32 exec_lo, exec_lo, s3
	v_or_b32_e32 v7, 0x100, v0
	s_mov_b32 s2, exec_lo
	s_delay_alu instid0(VALU_DEP_1)
	v_cmpx_gt_u32_e64 s18, v7
	s_cbranch_execz .LBB922_7
; %bb.6:
	v_add_co_u32 v7, s3, s12, v9
	s_wait_alu 0xf1ff
	v_add_co_ci_u32_e64 v8, null, s13, 0, s3
	flat_load_d16_hi_b16 v1, v[7:8] offset:512
.LBB922_7:
	s_wait_alu 0xfffe
	s_or_b32 exec_lo, exec_lo, s2
	v_or_b32_e32 v7, 0x200, v0
	s_mov_b32 s2, exec_lo
	s_delay_alu instid0(VALU_DEP_1)
	v_cmpx_gt_u32_e64 s18, v7
	s_cbranch_execz .LBB922_9
; %bb.8:
	v_add_co_u32 v7, s3, s12, v9
	s_wait_alu 0xf1ff
	v_add_co_ci_u32_e64 v8, null, s13, 0, s3
	flat_load_d16_b16 v2, v[7:8] offset:1024
.LBB922_9:
	s_wait_alu 0xfffe
	s_or_b32 exec_lo, exec_lo, s2
	v_or_b32_e32 v7, 0x300, v0
	s_mov_b32 s2, exec_lo
	s_delay_alu instid0(VALU_DEP_1)
	v_cmpx_gt_u32_e64 s18, v7
	s_cbranch_execz .LBB922_11
; %bb.10:
	v_add_co_u32 v7, s3, s12, v9
	s_wait_alu 0xf1ff
	v_add_co_ci_u32_e64 v8, null, s13, 0, s3
	s_wait_loadcnt_dscnt 0x0
	flat_load_d16_hi_b16 v2, v[7:8] offset:1536
.LBB922_11:
	s_wait_alu 0xfffe
	s_or_b32 exec_lo, exec_lo, s2
	v_or_b32_e32 v7, 0x400, v0
	s_mov_b32 s2, exec_lo
	s_delay_alu instid0(VALU_DEP_1)
	v_cmpx_gt_u32_e64 s18, v7
	s_cbranch_execz .LBB922_13
; %bb.12:
	v_add_co_u32 v7, s3, s12, v9
	s_wait_alu 0xf1ff
	v_add_co_ci_u32_e64 v8, null, s13, 0, s3
	flat_load_d16_b16 v3, v[7:8] offset:2048
.LBB922_13:
	s_wait_alu 0xfffe
	s_or_b32 exec_lo, exec_lo, s2
	v_or_b32_e32 v7, 0x500, v0
	s_mov_b32 s2, exec_lo
	s_delay_alu instid0(VALU_DEP_1)
	v_cmpx_gt_u32_e64 s18, v7
	s_cbranch_execz .LBB922_15
; %bb.14:
	v_add_co_u32 v7, s3, s12, v9
	s_wait_alu 0xf1ff
	v_add_co_ci_u32_e64 v8, null, s13, 0, s3
	s_wait_loadcnt_dscnt 0x0
	flat_load_d16_hi_b16 v3, v[7:8] offset:2560
.LBB922_15:
	;; [unrolled: 27-line block ×5, first 2 shown]
	s_wait_alu 0xfffe
	s_or_b32 exec_lo, exec_lo, s2
	s_wait_loadcnt_dscnt 0x0
	ds_store_b16 v9, v1
	ds_store_b16_d16_hi v9, v1 offset:512
	ds_store_b16 v9, v2 offset:1024
	ds_store_b16_d16_hi v9, v2 offset:1536
	ds_store_b16 v9, v3 offset:2048
	;; [unrolled: 2-line block ×5, first 2 shown]
	ds_store_b16_d16_hi v9, v6 offset:5632
	s_wait_dscnt 0x0
	s_barrier_signal -1
	s_barrier_wait -1
.LBB922_28:
	v_mul_u32_u24_e32 v51, 12, v0
	global_inv scope:SCOPE_SE
	s_wait_kmcnt 0x0
	s_add_nc_u64 s[2:3], s[14:15], s[4:5]
	s_and_b32 vcc_lo, exec_lo, s17
	s_wait_alu 0xfffe
	s_add_nc_u64 s[2:3], s[2:3], s[10:11]
	v_lshlrev_b32_e32 v1, 1, v51
	s_mov_b32 s4, -1
	ds_load_2addr_b64 v[33:36], v1 offset1:1
	ds_load_b64 v[41:42], v1 offset:16
	s_wait_loadcnt_dscnt 0x0
	s_barrier_signal -1
	s_barrier_wait -1
	global_inv scope:SCOPE_SE
	s_cbranch_vccz .LBB922_30
; %bb.29:
	s_clause 0xb
	global_load_u16 v1, v9, s[2:3]
	global_load_u16 v2, v9, s[2:3] offset:512
	global_load_u16 v3, v9, s[2:3] offset:1024
	;; [unrolled: 1-line block ×11, first 2 shown]
	s_mov_b32 s4, 0
	s_wait_loadcnt 0xb
	v_cmp_eq_u16_e32 vcc_lo, 0, v1
	v_cndmask_b32_e64 v1, 0, 1, vcc_lo
	s_wait_loadcnt 0xa
	v_cmp_eq_u16_e32 vcc_lo, 0, v2
	s_wait_alu 0xfffd
	v_cndmask_b32_e64 v2, 0, 1, vcc_lo
	s_wait_loadcnt 0x9
	v_cmp_eq_u16_e32 vcc_lo, 0, v3
	s_wait_alu 0xfffd
	;; [unrolled: 4-line block ×11, first 2 shown]
	v_cndmask_b32_e64 v13, 0, 1, vcc_lo
	ds_store_b8 v0, v1
	ds_store_b8 v0, v2 offset:256
	ds_store_b8 v0, v3 offset:512
	;; [unrolled: 1-line block ×11, first 2 shown]
	s_wait_dscnt 0x0
	s_barrier_signal -1
	s_barrier_wait -1
.LBB922_30:
	s_and_not1_b32 vcc_lo, exec_lo, s4
	s_wait_alu 0xfffe
	s_cbranch_vccnz .LBB922_56
; %bb.31:
	v_mov_b32_e32 v3, 0
	s_mov_b32 s4, exec_lo
	s_delay_alu instid0(VALU_DEP_1)
	v_dual_mov_b32 v1, v3 :: v_dual_mov_b32 v2, v3
	v_mov_b32_e32 v4, v3
	v_cmpx_gt_u32_e64 s18, v0
	s_cbranch_execz .LBB922_33
; %bb.32:
	global_load_u16 v1, v9, s[2:3]
	s_wait_loadcnt 0x0
	v_cmp_eq_u16_e32 vcc_lo, 0, v1
	v_mov_b32_e32 v1, 0
	s_wait_alu 0xfffd
	v_cndmask_b32_e64 v4, 0, 1, vcc_lo
	s_delay_alu instid0(VALU_DEP_1)
	v_dual_mov_b32 v2, v1 :: v_dual_and_b32 v3, 0xffff, v4
.LBB922_33:
	s_or_b32 exec_lo, exec_lo, s4
	v_or_b32_e32 v5, 0x100, v0
	s_mov_b32 s4, exec_lo
	s_delay_alu instid0(VALU_DEP_1)
	v_cmpx_gt_u32_e64 s18, v5
	s_cbranch_execz .LBB922_35
; %bb.34:
	global_load_u16 v5, v9, s[2:3] offset:512
	v_and_b32_e32 v6, 0xff, v3
	s_wait_loadcnt 0x0
	v_cmp_eq_u16_e32 vcc_lo, 0, v5
	s_wait_alu 0xfffd
	v_cndmask_b32_e64 v5, 0, 1, vcc_lo
	s_delay_alu instid0(VALU_DEP_1) | instskip(NEXT) | instid1(VALU_DEP_1)
	v_lshlrev_b16 v5, 8, v5
	v_or_b32_e32 v5, v6, v5
	s_delay_alu instid0(VALU_DEP_1) | instskip(NEXT) | instid1(VALU_DEP_1)
	v_and_b32_e32 v5, 0xffff, v5
	v_and_or_b32 v3, 0xffff0000, v3, v5
.LBB922_35:
	s_or_b32 exec_lo, exec_lo, s4
	v_or_b32_e32 v5, 0x200, v0
	s_mov_b32 s4, exec_lo
	s_delay_alu instid0(VALU_DEP_1)
	v_cmpx_gt_u32_e64 s18, v5
	s_cbranch_execz .LBB922_37
; %bb.36:
	global_load_u16 v5, v9, s[2:3] offset:1024
	v_lshrrev_b32_e32 v6, 16, v3
	s_delay_alu instid0(VALU_DEP_1) | instskip(SKIP_4) | instid1(VALU_DEP_1)
	v_and_b32_e32 v6, 0xffffff00, v6
	s_wait_loadcnt 0x0
	v_cmp_eq_u16_e32 vcc_lo, 0, v5
	s_wait_alu 0xfffd
	v_cndmask_b32_e64 v5, 0, 1, vcc_lo
	v_or_b32_e32 v5, v5, v6
	s_delay_alu instid0(VALU_DEP_1) | instskip(NEXT) | instid1(VALU_DEP_1)
	v_lshlrev_b32_e32 v5, 16, v5
	v_and_or_b32 v3, 0xffff, v3, v5
.LBB922_37:
	s_or_b32 exec_lo, exec_lo, s4
	v_or_b32_e32 v5, 0x300, v0
	s_mov_b32 s4, exec_lo
	s_delay_alu instid0(VALU_DEP_1)
	v_cmpx_gt_u32_e64 s18, v5
	s_cbranch_execz .LBB922_39
; %bb.38:
	global_load_u16 v5, v9, s[2:3] offset:1536
	v_lshrrev_b32_e32 v6, 16, v3
	s_delay_alu instid0(VALU_DEP_1) | instskip(SKIP_4) | instid1(VALU_DEP_1)
	v_and_b32_e32 v6, 0xff, v6
	s_wait_loadcnt 0x0
	v_cmp_eq_u16_e32 vcc_lo, 0, v5
	s_wait_alu 0xfffd
	v_cndmask_b32_e64 v5, 0, 1, vcc_lo
	v_lshlrev_b16 v5, 8, v5
	s_delay_alu instid0(VALU_DEP_1) | instskip(NEXT) | instid1(VALU_DEP_1)
	v_or_b32_e32 v5, v6, v5
	v_lshlrev_b32_e32 v5, 16, v5
	s_delay_alu instid0(VALU_DEP_1)
	v_and_or_b32 v3, 0xffff, v3, v5
.LBB922_39:
	s_or_b32 exec_lo, exec_lo, s4
	v_or_b32_e32 v5, 0x400, v0
	s_mov_b32 s4, exec_lo
	s_delay_alu instid0(VALU_DEP_1)
	v_cmpx_gt_u32_e64 s18, v5
	s_cbranch_execz .LBB922_41
; %bb.40:
	global_load_u16 v5, v9, s[2:3] offset:2048
	v_and_b32_e32 v6, 0xffffff00, v1
	s_wait_loadcnt 0x0
	v_cmp_eq_u16_e32 vcc_lo, 0, v5
	s_wait_alu 0xfffd
	v_cndmask_b32_e64 v5, 0, 1, vcc_lo
	s_delay_alu instid0(VALU_DEP_1) | instskip(NEXT) | instid1(VALU_DEP_1)
	v_or_b32_e32 v5, v5, v6
	v_and_b32_e32 v5, 0xffff, v5
	s_delay_alu instid0(VALU_DEP_1)
	v_and_or_b32 v1, 0xffff0000, v1, v5
.LBB922_41:
	s_or_b32 exec_lo, exec_lo, s4
	v_or_b32_e32 v5, 0x500, v0
	s_mov_b32 s4, exec_lo
	s_delay_alu instid0(VALU_DEP_1)
	v_cmpx_gt_u32_e64 s18, v5
	s_cbranch_execz .LBB922_43
; %bb.42:
	global_load_u16 v5, v9, s[2:3] offset:2560
	v_and_b32_e32 v6, 0xff, v1
	s_wait_loadcnt 0x0
	v_cmp_eq_u16_e32 vcc_lo, 0, v5
	s_wait_alu 0xfffd
	v_cndmask_b32_e64 v5, 0, 1, vcc_lo
	s_delay_alu instid0(VALU_DEP_1) | instskip(NEXT) | instid1(VALU_DEP_1)
	v_lshlrev_b16 v5, 8, v5
	v_or_b32_e32 v5, v6, v5
	s_delay_alu instid0(VALU_DEP_1) | instskip(NEXT) | instid1(VALU_DEP_1)
	v_and_b32_e32 v5, 0xffff, v5
	v_and_or_b32 v1, 0xffff0000, v1, v5
.LBB922_43:
	s_or_b32 exec_lo, exec_lo, s4
	v_or_b32_e32 v5, 0x600, v0
	s_mov_b32 s4, exec_lo
	s_delay_alu instid0(VALU_DEP_1)
	v_cmpx_gt_u32_e64 s18, v5
	s_cbranch_execz .LBB922_45
; %bb.44:
	global_load_u16 v5, v9, s[2:3] offset:3072
	v_lshrrev_b32_e32 v6, 16, v1
	s_delay_alu instid0(VALU_DEP_1) | instskip(SKIP_4) | instid1(VALU_DEP_1)
	v_and_b32_e32 v6, 0xffffff00, v6
	s_wait_loadcnt 0x0
	v_cmp_eq_u16_e32 vcc_lo, 0, v5
	s_wait_alu 0xfffd
	v_cndmask_b32_e64 v5, 0, 1, vcc_lo
	v_or_b32_e32 v5, v5, v6
	s_delay_alu instid0(VALU_DEP_1) | instskip(NEXT) | instid1(VALU_DEP_1)
	v_lshlrev_b32_e32 v5, 16, v5
	v_and_or_b32 v1, 0xffff, v1, v5
.LBB922_45:
	s_or_b32 exec_lo, exec_lo, s4
	v_or_b32_e32 v5, 0x700, v0
	s_mov_b32 s4, exec_lo
	s_delay_alu instid0(VALU_DEP_1)
	v_cmpx_gt_u32_e64 s18, v5
	s_cbranch_execz .LBB922_47
; %bb.46:
	global_load_u16 v5, v9, s[2:3] offset:3584
	v_lshrrev_b32_e32 v6, 16, v1
	s_delay_alu instid0(VALU_DEP_1) | instskip(SKIP_4) | instid1(VALU_DEP_1)
	v_and_b32_e32 v6, 0xff, v6
	s_wait_loadcnt 0x0
	v_cmp_eq_u16_e32 vcc_lo, 0, v5
	s_wait_alu 0xfffd
	v_cndmask_b32_e64 v5, 0, 1, vcc_lo
	v_lshlrev_b16 v5, 8, v5
	s_delay_alu instid0(VALU_DEP_1) | instskip(NEXT) | instid1(VALU_DEP_1)
	v_or_b32_e32 v5, v6, v5
	v_lshlrev_b32_e32 v5, 16, v5
	s_delay_alu instid0(VALU_DEP_1)
	v_and_or_b32 v1, 0xffff, v1, v5
.LBB922_47:
	s_or_b32 exec_lo, exec_lo, s4
	v_or_b32_e32 v5, 0x800, v0
	s_mov_b32 s4, exec_lo
	s_delay_alu instid0(VALU_DEP_1)
	v_cmpx_gt_u32_e64 s18, v5
	s_cbranch_execz .LBB922_49
; %bb.48:
	global_load_u16 v5, v9, s[2:3] offset:4096
	v_and_b32_e32 v6, 0xffffff00, v2
	s_wait_loadcnt 0x0
	v_cmp_eq_u16_e32 vcc_lo, 0, v5
	s_wait_alu 0xfffd
	v_cndmask_b32_e64 v5, 0, 1, vcc_lo
	s_delay_alu instid0(VALU_DEP_1) | instskip(NEXT) | instid1(VALU_DEP_1)
	v_or_b32_e32 v5, v5, v6
	v_and_b32_e32 v5, 0xffff, v5
	s_delay_alu instid0(VALU_DEP_1)
	v_and_or_b32 v2, 0xffff0000, v2, v5
.LBB922_49:
	s_or_b32 exec_lo, exec_lo, s4
	v_or_b32_e32 v5, 0x900, v0
	s_mov_b32 s4, exec_lo
	s_delay_alu instid0(VALU_DEP_1)
	v_cmpx_gt_u32_e64 s18, v5
	s_cbranch_execz .LBB922_51
; %bb.50:
	global_load_u16 v5, v9, s[2:3] offset:4608
	v_and_b32_e32 v6, 0xff, v2
	s_wait_loadcnt 0x0
	v_cmp_eq_u16_e32 vcc_lo, 0, v5
	s_wait_alu 0xfffd
	v_cndmask_b32_e64 v5, 0, 1, vcc_lo
	s_delay_alu instid0(VALU_DEP_1) | instskip(NEXT) | instid1(VALU_DEP_1)
	v_lshlrev_b16 v5, 8, v5
	v_or_b32_e32 v5, v6, v5
	s_delay_alu instid0(VALU_DEP_1) | instskip(NEXT) | instid1(VALU_DEP_1)
	v_and_b32_e32 v5, 0xffff, v5
	v_and_or_b32 v2, 0xffff0000, v2, v5
.LBB922_51:
	s_or_b32 exec_lo, exec_lo, s4
	v_or_b32_e32 v5, 0xa00, v0
	s_mov_b32 s4, exec_lo
	s_delay_alu instid0(VALU_DEP_1)
	v_cmpx_gt_u32_e64 s18, v5
	s_cbranch_execz .LBB922_53
; %bb.52:
	global_load_u16 v5, v9, s[2:3] offset:5120
	v_lshrrev_b32_e32 v6, 16, v2
	s_delay_alu instid0(VALU_DEP_1) | instskip(SKIP_4) | instid1(VALU_DEP_1)
	v_and_b32_e32 v6, 0xffffff00, v6
	s_wait_loadcnt 0x0
	v_cmp_eq_u16_e32 vcc_lo, 0, v5
	s_wait_alu 0xfffd
	v_cndmask_b32_e64 v5, 0, 1, vcc_lo
	v_or_b32_e32 v5, v5, v6
	s_delay_alu instid0(VALU_DEP_1) | instskip(NEXT) | instid1(VALU_DEP_1)
	v_lshlrev_b32_e32 v5, 16, v5
	v_and_or_b32 v2, 0xffff, v2, v5
.LBB922_53:
	s_or_b32 exec_lo, exec_lo, s4
	v_or_b32_e32 v5, 0xb00, v0
	s_mov_b32 s4, exec_lo
	s_delay_alu instid0(VALU_DEP_1)
	v_cmpx_gt_u32_e64 s18, v5
	s_cbranch_execz .LBB922_55
; %bb.54:
	global_load_u16 v5, v9, s[2:3] offset:5632
	v_lshrrev_b32_e32 v6, 16, v2
	s_delay_alu instid0(VALU_DEP_1) | instskip(SKIP_4) | instid1(VALU_DEP_1)
	v_and_b32_e32 v6, 0xff, v6
	s_wait_loadcnt 0x0
	v_cmp_eq_u16_e32 vcc_lo, 0, v5
	s_wait_alu 0xfffd
	v_cndmask_b32_e64 v5, 0, 1, vcc_lo
	v_lshlrev_b16 v5, 8, v5
	s_delay_alu instid0(VALU_DEP_1) | instskip(NEXT) | instid1(VALU_DEP_1)
	v_or_b32_e32 v5, v6, v5
	v_lshlrev_b32_e32 v5, 16, v5
	s_delay_alu instid0(VALU_DEP_1)
	v_and_or_b32 v2, 0xffff, v2, v5
.LBB922_55:
	s_or_b32 exec_lo, exec_lo, s4
	v_lshrrev_b32_e32 v5, 8, v3
	v_lshrrev_b32_e32 v6, 24, v3
	;; [unrolled: 1-line block ×6, first 2 shown]
	ds_store_b8 v0, v4
	ds_store_b8 v0, v5 offset:256
	ds_store_b8_d16_hi v0, v3 offset:512
	ds_store_b8 v0, v6 offset:768
	ds_store_b8 v0, v1 offset:1024
	;; [unrolled: 1-line block ×3, first 2 shown]
	ds_store_b8_d16_hi v0, v1 offset:1536
	ds_store_b8 v0, v8 offset:1792
	ds_store_b8 v0, v2 offset:2048
	;; [unrolled: 1-line block ×3, first 2 shown]
	ds_store_b8_d16_hi v0, v2 offset:2560
	ds_store_b8 v0, v10 offset:2816
	s_wait_loadcnt_dscnt 0x0
	s_barrier_signal -1
	s_barrier_wait -1
.LBB922_56:
	s_wait_loadcnt 0x0
	global_inv scope:SCOPE_SE
	ds_load_2addr_b32 v[43:44], v51 offset1:1
	ds_load_b32 v47, v51 offset:8
	s_load_b64 s[10:11], s[0:1], 0x68
	v_mbcnt_lo_u32_b32 v61, -1, 0
	s_cmp_lg_u32 ttmp9, 0
	s_mov_b32 s3, -1
	s_wait_loadcnt_dscnt 0x0
	s_barrier_signal -1
	v_and_b32_e32 v62, 15, v61
	s_barrier_wait -1
	global_inv scope:SCOPE_SE
	v_dual_mov_b32 v2, 0 :: v_dual_and_b32 v53, 0xff, v43
	v_bfe_u32 v54, v43, 8, 8
	v_bfe_u32 v52, v43, 16, 8
	v_lshrrev_b32_e32 v50, 24, v43
	v_and_b32_e32 v56, 0xff, v44
	v_bfe_u32 v57, v44, 8, 8
	v_bfe_u32 v58, v44, 16, 8
	v_add3_u32 v1, v54, v53, v52
	v_lshrrev_b32_e32 v49, 24, v44
	v_and_b32_e32 v59, 0xff, v47
	v_bfe_u32 v60, v47, 8, 8
	v_bfe_u32 v55, v47, 16, 8
	v_add_co_u32 v1, s2, v1, v50
	s_wait_alu 0xf1ff
	v_add_co_ci_u32_e64 v3, null, 0, 0, s2
	v_lshrrev_b32_e32 v48, 24, v47
	s_delay_alu instid0(VALU_DEP_3) | instskip(SKIP_1) | instid1(VALU_DEP_3)
	v_add_co_u32 v1, vcc_lo, v1, v56
	s_wait_alu 0xfffd
	v_add_co_ci_u32_e64 v3, null, 0, v3, vcc_lo
	v_cmp_ne_u32_e64 s2, 0, v62
	s_delay_alu instid0(VALU_DEP_3) | instskip(SKIP_1) | instid1(VALU_DEP_3)
	v_add_co_u32 v1, vcc_lo, v1, v57
	s_wait_alu 0xfffd
	v_add_co_ci_u32_e64 v3, null, 0, v3, vcc_lo
	s_delay_alu instid0(VALU_DEP_2) | instskip(SKIP_1) | instid1(VALU_DEP_2)
	v_add_co_u32 v1, vcc_lo, v1, v58
	s_wait_alu 0xfffd
	v_add_co_ci_u32_e64 v3, null, 0, v3, vcc_lo
	s_delay_alu instid0(VALU_DEP_2) | instskip(SKIP_1) | instid1(VALU_DEP_2)
	;; [unrolled: 4-line block ×6, first 2 shown]
	v_add_co_u32 v45, vcc_lo, v1, v48
	s_wait_alu 0xfffd
	v_add_co_ci_u32_e64 v46, null, 0, v3, vcc_lo
	s_cbranch_scc0 .LBB922_113
; %bb.57:
	v_mov_b32_e32 v3, v45
	v_mov_b32_dpp v1, v45 row_shr:1 row_mask:0xf bank_mask:0xf
	v_mov_b32_dpp v6, v2 row_shr:1 row_mask:0xf bank_mask:0xf
	v_dual_mov_b32 v5, v45 :: v_dual_mov_b32 v4, v46
	s_and_saveexec_b32 s3, s2
; %bb.58:
	s_delay_alu instid0(VALU_DEP_3) | instskip(SKIP_2) | instid1(VALU_DEP_2)
	v_add_co_u32 v5, vcc_lo, v45, v1
	s_wait_alu 0xfffd
	v_add_co_ci_u32_e64 v2, null, 0, v46, vcc_lo
	v_add_co_u32 v1, vcc_lo, 0, v5
	s_wait_alu 0xfffd
	s_delay_alu instid0(VALU_DEP_2) | instskip(NEXT) | instid1(VALU_DEP_1)
	v_add_co_ci_u32_e64 v2, null, v6, v2, vcc_lo
	v_dual_mov_b32 v4, v2 :: v_dual_mov_b32 v3, v1
; %bb.59:
	s_wait_alu 0xfffe
	s_or_b32 exec_lo, exec_lo, s3
	v_mov_b32_dpp v1, v5 row_shr:2 row_mask:0xf bank_mask:0xf
	v_mov_b32_dpp v6, v2 row_shr:2 row_mask:0xf bank_mask:0xf
	s_mov_b32 s3, exec_lo
	v_cmpx_lt_u32_e32 1, v62
; %bb.60:
	s_delay_alu instid0(VALU_DEP_3) | instskip(SKIP_2) | instid1(VALU_DEP_2)
	v_add_co_u32 v5, vcc_lo, v3, v1
	s_wait_alu 0xfffd
	v_add_co_ci_u32_e64 v2, null, 0, v4, vcc_lo
	v_add_co_u32 v1, vcc_lo, 0, v5
	s_wait_alu 0xfffd
	s_delay_alu instid0(VALU_DEP_2) | instskip(NEXT) | instid1(VALU_DEP_1)
	v_add_co_ci_u32_e64 v2, null, v6, v2, vcc_lo
	v_dual_mov_b32 v4, v2 :: v_dual_mov_b32 v3, v1
; %bb.61:
	s_wait_alu 0xfffe
	s_or_b32 exec_lo, exec_lo, s3
	v_mov_b32_dpp v1, v5 row_shr:4 row_mask:0xf bank_mask:0xf
	v_mov_b32_dpp v6, v2 row_shr:4 row_mask:0xf bank_mask:0xf
	s_mov_b32 s3, exec_lo
	v_cmpx_lt_u32_e32 3, v62
	;; [unrolled: 17-line block ×3, first 2 shown]
; %bb.64:
	s_delay_alu instid0(VALU_DEP_3) | instskip(SKIP_2) | instid1(VALU_DEP_2)
	v_add_co_u32 v5, vcc_lo, v3, v6
	s_wait_alu 0xfffd
	v_add_co_ci_u32_e64 v2, null, 0, v4, vcc_lo
	v_add_co_u32 v3, vcc_lo, 0, v5
	s_wait_alu 0xfffd
	s_delay_alu instid0(VALU_DEP_2) | instskip(NEXT) | instid1(VALU_DEP_1)
	v_add_co_ci_u32_e64 v4, null, v1, v2, vcc_lo
	v_mov_b32_e32 v2, v4
; %bb.65:
	s_wait_alu 0xfffe
	s_or_b32 exec_lo, exec_lo, s3
	ds_swizzle_b32 v1, v5 offset:swizzle(BROADCAST,32,15)
	ds_swizzle_b32 v6, v2 offset:swizzle(BROADCAST,32,15)
	v_and_b32_e32 v7, 16, v61
	s_mov_b32 s3, exec_lo
	s_delay_alu instid0(VALU_DEP_1)
	v_cmpx_ne_u32_e32 0, v7
	s_cbranch_execz .LBB922_67
; %bb.66:
	s_wait_dscnt 0x1
	v_add_co_u32 v5, vcc_lo, v3, v1
	s_wait_alu 0xfffd
	v_add_co_ci_u32_e64 v2, null, 0, v4, vcc_lo
	s_delay_alu instid0(VALU_DEP_2) | instskip(SKIP_2) | instid1(VALU_DEP_2)
	v_add_co_u32 v1, vcc_lo, 0, v5
	s_wait_dscnt 0x0
	s_wait_alu 0xfffd
	v_add_co_ci_u32_e64 v2, null, v6, v2, vcc_lo
	s_delay_alu instid0(VALU_DEP_1)
	v_dual_mov_b32 v4, v2 :: v_dual_mov_b32 v3, v1
.LBB922_67:
	s_wait_alu 0xfffe
	s_or_b32 exec_lo, exec_lo, s3
	s_wait_dscnt 0x0
	v_or_b32_e32 v6, 31, v0
	v_lshrrev_b32_e32 v1, 5, v0
	s_mov_b32 s3, exec_lo
	s_delay_alu instid0(VALU_DEP_2)
	v_cmpx_eq_u32_e64 v0, v6
; %bb.68:
	s_delay_alu instid0(VALU_DEP_2)
	v_lshlrev_b32_e32 v6, 3, v1
	ds_store_b64 v6, v[3:4]
; %bb.69:
	s_wait_alu 0xfffe
	s_or_b32 exec_lo, exec_lo, s3
	s_delay_alu instid0(SALU_CYCLE_1)
	s_mov_b32 s3, exec_lo
	s_wait_loadcnt_dscnt 0x0
	s_barrier_signal -1
	s_barrier_wait -1
	global_inv scope:SCOPE_SE
	v_cmpx_gt_u32_e32 8, v0
	s_cbranch_execz .LBB922_77
; %bb.70:
	v_lshlrev_b32_e32 v6, 3, v0
	s_mov_b32 s4, exec_lo
	ds_load_b64 v[3:4], v6
	s_wait_dscnt 0x0
	v_dual_mov_b32 v8, v3 :: v_dual_and_b32 v7, 7, v61
	v_mov_b32_dpp v10, v3 row_shr:1 row_mask:0xf bank_mask:0xf
	v_mov_b32_dpp v9, v4 row_shr:1 row_mask:0xf bank_mask:0xf
	s_delay_alu instid0(VALU_DEP_3)
	v_cmpx_ne_u32_e32 0, v7
; %bb.71:
	s_delay_alu instid0(VALU_DEP_3) | instskip(SKIP_2) | instid1(VALU_DEP_2)
	v_add_co_u32 v8, vcc_lo, v3, v10
	s_wait_alu 0xfffd
	v_add_co_ci_u32_e64 v4, null, 0, v4, vcc_lo
	v_add_co_u32 v3, vcc_lo, 0, v8
	s_wait_alu 0xfffd
	s_delay_alu instid0(VALU_DEP_2)
	v_add_co_ci_u32_e64 v4, null, v9, v4, vcc_lo
; %bb.72:
	s_or_b32 exec_lo, exec_lo, s4
	v_mov_b32_dpp v10, v8 row_shr:2 row_mask:0xf bank_mask:0xf
	s_delay_alu instid0(VALU_DEP_2)
	v_mov_b32_dpp v9, v4 row_shr:2 row_mask:0xf bank_mask:0xf
	s_mov_b32 s4, exec_lo
	v_cmpx_lt_u32_e32 1, v7
; %bb.73:
	s_delay_alu instid0(VALU_DEP_3) | instskip(SKIP_2) | instid1(VALU_DEP_2)
	v_add_co_u32 v8, vcc_lo, v3, v10
	s_wait_alu 0xfffd
	v_add_co_ci_u32_e64 v4, null, 0, v4, vcc_lo
	v_add_co_u32 v3, vcc_lo, 0, v8
	s_wait_alu 0xfffd
	s_delay_alu instid0(VALU_DEP_2)
	v_add_co_ci_u32_e64 v4, null, v9, v4, vcc_lo
; %bb.74:
	s_or_b32 exec_lo, exec_lo, s4
	v_mov_b32_dpp v9, v8 row_shr:4 row_mask:0xf bank_mask:0xf
	s_delay_alu instid0(VALU_DEP_2)
	v_mov_b32_dpp v8, v4 row_shr:4 row_mask:0xf bank_mask:0xf
	s_mov_b32 s4, exec_lo
	v_cmpx_lt_u32_e32 3, v7
; %bb.75:
	s_delay_alu instid0(VALU_DEP_3) | instskip(SKIP_2) | instid1(VALU_DEP_2)
	v_add_co_u32 v3, vcc_lo, v3, v9
	s_wait_alu 0xfffd
	v_add_co_ci_u32_e64 v4, null, 0, v4, vcc_lo
	v_add_co_u32 v3, vcc_lo, v3, 0
	s_wait_alu 0xfffd
	s_delay_alu instid0(VALU_DEP_2)
	v_add_co_ci_u32_e64 v4, null, v4, v8, vcc_lo
; %bb.76:
	s_or_b32 exec_lo, exec_lo, s4
	ds_store_b64 v6, v[3:4]
.LBB922_77:
	s_wait_alu 0xfffe
	s_or_b32 exec_lo, exec_lo, s3
	s_delay_alu instid0(SALU_CYCLE_1)
	s_mov_b32 s4, exec_lo
	v_cmp_gt_u32_e32 vcc_lo, 32, v0
	s_wait_loadcnt_dscnt 0x0
	s_barrier_signal -1
	s_barrier_wait -1
	global_inv scope:SCOPE_SE
                                        ; implicit-def: $vgpr9_vgpr10
	v_cmpx_lt_u32_e32 31, v0
	s_cbranch_execz .LBB922_79
; %bb.78:
	v_lshl_add_u32 v1, v1, 3, -8
	ds_load_b64 v[9:10], v1
	s_wait_dscnt 0x0
	v_add_co_u32 v5, s3, v5, v9
	s_wait_alu 0xf1ff
	v_add_co_ci_u32_e64 v2, null, v2, v10, s3
.LBB922_79:
	s_or_b32 exec_lo, exec_lo, s4
	v_sub_co_u32 v1, s3, v61, 1
	s_delay_alu instid0(VALU_DEP_1) | instskip(NEXT) | instid1(VALU_DEP_1)
	v_cmp_gt_i32_e64 s4, 0, v1
	v_cndmask_b32_e64 v1, v1, v61, s4
	s_delay_alu instid0(VALU_DEP_1)
	v_lshlrev_b32_e32 v1, 2, v1
	ds_bpermute_b32 v15, v1, v5
	ds_bpermute_b32 v16, v1, v2
	s_and_saveexec_b32 s4, vcc_lo
	s_cbranch_execz .LBB922_118
; %bb.80:
	v_mov_b32_e32 v4, 0
	ds_load_b64 v[1:2], v4 offset:56
	s_and_saveexec_b32 s5, s3
	s_cbranch_execz .LBB922_82
; %bb.81:
	s_add_co_i32 s12, ttmp9, 32
	s_mov_b32 s13, 0
	s_wait_alu 0xfffe
	s_lshl_b64 s[12:13], s[12:13], 4
	s_wait_kmcnt 0x0
	s_wait_alu 0xfffe
	s_add_nc_u64 s[12:13], s[10:11], s[12:13]
	v_mov_b32_e32 v3, 1
	s_wait_alu 0xfffe
	v_dual_mov_b32 v5, s12 :: v_dual_mov_b32 v6, s13
	s_wait_dscnt 0x0
	;;#ASMSTART
	global_store_b128 v[5:6], v[1:4] off scope:SCOPE_DEV	
s_wait_storecnt 0x0
	;;#ASMEND
.LBB922_82:
	s_wait_alu 0xfffe
	s_or_b32 exec_lo, exec_lo, s5
	v_xad_u32 v11, v61, -1, ttmp9
	s_mov_b32 s12, 0
	s_mov_b32 s5, exec_lo
	s_delay_alu instid0(VALU_DEP_1) | instskip(NEXT) | instid1(VALU_DEP_1)
	v_add_nc_u32_e32 v3, 32, v11
	v_lshlrev_b64_e32 v[3:4], 4, v[3:4]
	s_wait_kmcnt 0x0
	s_delay_alu instid0(VALU_DEP_1) | instskip(SKIP_1) | instid1(VALU_DEP_2)
	v_add_co_u32 v3, vcc_lo, s10, v3
	s_wait_alu 0xfffd
	v_add_co_ci_u32_e64 v4, null, s11, v4, vcc_lo
	;;#ASMSTART
	global_load_b128 v[5:8], v[3:4] off scope:SCOPE_DEV	
s_wait_loadcnt 0x0
	;;#ASMEND
	v_and_b32_e32 v8, 0xff, v7
	s_delay_alu instid0(VALU_DEP_1)
	v_cmpx_eq_u16_e32 0, v8
	s_cbranch_execz .LBB922_85
.LBB922_83:                             ; =>This Inner Loop Header: Depth=1
	;;#ASMSTART
	global_load_b128 v[5:8], v[3:4] off scope:SCOPE_DEV	
s_wait_loadcnt 0x0
	;;#ASMEND
	v_and_b32_e32 v8, 0xff, v7
	s_delay_alu instid0(VALU_DEP_1)
	v_cmp_ne_u16_e32 vcc_lo, 0, v8
	s_wait_alu 0xfffe
	s_or_b32 s12, vcc_lo, s12
	s_wait_alu 0xfffe
	s_and_not1_b32 exec_lo, exec_lo, s12
	s_cbranch_execnz .LBB922_83
; %bb.84:
	s_or_b32 exec_lo, exec_lo, s12
.LBB922_85:
	s_wait_alu 0xfffe
	s_or_b32 exec_lo, exec_lo, s5
	v_cmp_ne_u32_e32 vcc_lo, 31, v61
	v_and_b32_e32 v4, 0xff, v7
	v_lshlrev_b32_e64 v18, v61, -1
	s_mov_b32 s5, exec_lo
	s_wait_alu 0xfffd
	v_add_co_ci_u32_e64 v3, null, 0, v61, vcc_lo
	v_cmp_eq_u16_e32 vcc_lo, 2, v4
	s_delay_alu instid0(VALU_DEP_2)
	v_dual_mov_b32 v4, v5 :: v_dual_lshlrev_b32 v17, 2, v3
	s_wait_alu 0xfffd
	v_and_or_b32 v3, vcc_lo, v18, 0x80000000
	ds_bpermute_b32 v12, v17, v5
	ds_bpermute_b32 v8, v17, v6
	v_ctz_i32_b32_e32 v3, v3
	s_delay_alu instid0(VALU_DEP_1)
	v_cmpx_lt_u32_e64 v61, v3
	s_cbranch_execz .LBB922_87
; %bb.86:
	s_wait_dscnt 0x1
	v_add_co_u32 v4, vcc_lo, v5, v12
	s_wait_alu 0xfffd
	v_add_co_ci_u32_e64 v6, null, 0, v6, vcc_lo
	s_delay_alu instid0(VALU_DEP_2) | instskip(SKIP_2) | instid1(VALU_DEP_2)
	v_add_co_u32 v5, vcc_lo, 0, v4
	s_wait_dscnt 0x0
	s_wait_alu 0xfffd
	v_add_co_ci_u32_e64 v6, null, v8, v6, vcc_lo
.LBB922_87:
	s_wait_alu 0xfffe
	s_or_b32 exec_lo, exec_lo, s5
	v_cmp_gt_u32_e32 vcc_lo, 30, v61
	v_add_nc_u32_e32 v20, 2, v61
	s_mov_b32 s5, exec_lo
	s_wait_dscnt 0x0
	s_wait_alu 0xfffd
	v_cndmask_b32_e64 v8, 0, 2, vcc_lo
	s_delay_alu instid0(VALU_DEP_1)
	v_add_lshl_u32 v19, v8, v61, 2
	ds_bpermute_b32 v12, v19, v4
	ds_bpermute_b32 v8, v19, v6
	v_cmpx_le_u32_e64 v20, v3
	s_cbranch_execz .LBB922_89
; %bb.88:
	s_wait_dscnt 0x1
	v_add_co_u32 v4, vcc_lo, v5, v12
	s_wait_alu 0xfffd
	v_add_co_ci_u32_e64 v6, null, 0, v6, vcc_lo
	s_delay_alu instid0(VALU_DEP_2) | instskip(SKIP_2) | instid1(VALU_DEP_2)
	v_add_co_u32 v5, vcc_lo, 0, v4
	s_wait_dscnt 0x0
	s_wait_alu 0xfffd
	v_add_co_ci_u32_e64 v6, null, v8, v6, vcc_lo
.LBB922_89:
	s_wait_alu 0xfffe
	s_or_b32 exec_lo, exec_lo, s5
	v_cmp_gt_u32_e32 vcc_lo, 28, v61
	v_add_nc_u32_e32 v22, 4, v61
	s_mov_b32 s5, exec_lo
	s_wait_dscnt 0x0
	s_wait_alu 0xfffd
	v_cndmask_b32_e64 v8, 0, 4, vcc_lo
	s_delay_alu instid0(VALU_DEP_1)
	v_add_lshl_u32 v21, v8, v61, 2
	ds_bpermute_b32 v12, v21, v4
	ds_bpermute_b32 v8, v21, v6
	v_cmpx_le_u32_e64 v22, v3
	;; [unrolled: 25-line block ×3, first 2 shown]
	s_cbranch_execz .LBB922_93
; %bb.92:
	s_wait_dscnt 0x1
	v_add_co_u32 v4, vcc_lo, v5, v12
	s_wait_alu 0xfffd
	v_add_co_ci_u32_e64 v6, null, 0, v6, vcc_lo
	s_delay_alu instid0(VALU_DEP_2) | instskip(SKIP_2) | instid1(VALU_DEP_2)
	v_add_co_u32 v5, vcc_lo, 0, v4
	s_wait_dscnt 0x0
	s_wait_alu 0xfffd
	v_add_co_ci_u32_e64 v6, null, v8, v6, vcc_lo
.LBB922_93:
	s_wait_alu 0xfffe
	s_or_b32 exec_lo, exec_lo, s5
	v_lshl_or_b32 v25, v61, 2, 64
	v_add_nc_u32_e32 v26, 16, v61
	s_mov_b32 s5, exec_lo
	s_wait_dscnt 0x0
	ds_bpermute_b32 v8, v25, v4
	ds_bpermute_b32 v4, v25, v6
	v_cmpx_le_u32_e64 v26, v3
	s_cbranch_execz .LBB922_95
; %bb.94:
	s_wait_dscnt 0x1
	v_add_co_u32 v3, vcc_lo, v5, v8
	s_wait_alu 0xfffd
	v_add_co_ci_u32_e64 v6, null, 0, v6, vcc_lo
	s_delay_alu instid0(VALU_DEP_2) | instskip(SKIP_2) | instid1(VALU_DEP_2)
	v_add_co_u32 v5, vcc_lo, v3, 0
	s_wait_dscnt 0x0
	s_wait_alu 0xfffd
	v_add_co_ci_u32_e64 v6, null, v6, v4, vcc_lo
.LBB922_95:
	s_wait_alu 0xfffe
	s_or_b32 exec_lo, exec_lo, s5
	v_mov_b32_e32 v12, 0
	s_branch .LBB922_98
.LBB922_96:                             ;   in Loop: Header=BB922_98 Depth=1
	s_wait_alu 0xfffe
	s_or_b32 exec_lo, exec_lo, s5
	v_add_co_u32 v5, vcc_lo, v5, v3
	v_subrev_nc_u32_e32 v11, 32, v11
	s_wait_alu 0xfffd
	v_add_co_ci_u32_e64 v6, null, v6, v4, vcc_lo
	s_mov_b32 s5, 0
.LBB922_97:                             ;   in Loop: Header=BB922_98 Depth=1
	s_wait_alu 0xfffe
	s_and_b32 vcc_lo, exec_lo, s5
	s_wait_alu 0xfffe
	s_cbranch_vccnz .LBB922_114
.LBB922_98:                             ; =>This Loop Header: Depth=1
                                        ;     Child Loop BB922_101 Depth 2
	v_and_b32_e32 v3, 0xff, v7
	s_mov_b32 s5, -1
	s_delay_alu instid0(VALU_DEP_1)
	v_cmp_ne_u16_e32 vcc_lo, 2, v3
	s_wait_dscnt 0x0
	v_dual_mov_b32 v3, v5 :: v_dual_mov_b32 v4, v6
                                        ; implicit-def: $vgpr5_vgpr6
	s_cmp_lg_u32 vcc_lo, exec_lo
	s_cbranch_scc1 .LBB922_97
; %bb.99:                               ;   in Loop: Header=BB922_98 Depth=1
	v_lshlrev_b64_e32 v[5:6], 4, v[11:12]
	s_mov_b32 s5, exec_lo
	s_delay_alu instid0(VALU_DEP_1) | instskip(SKIP_1) | instid1(VALU_DEP_2)
	v_add_co_u32 v13, vcc_lo, s10, v5
	s_wait_alu 0xfffd
	v_add_co_ci_u32_e64 v14, null, s11, v6, vcc_lo
	;;#ASMSTART
	global_load_b128 v[5:8], v[13:14] off scope:SCOPE_DEV	
s_wait_loadcnt 0x0
	;;#ASMEND
	v_and_b32_e32 v8, 0xff, v7
	s_delay_alu instid0(VALU_DEP_1)
	v_cmpx_eq_u16_e32 0, v8
	s_cbranch_execz .LBB922_103
; %bb.100:                              ;   in Loop: Header=BB922_98 Depth=1
	s_mov_b32 s12, 0
.LBB922_101:                            ;   Parent Loop BB922_98 Depth=1
                                        ; =>  This Inner Loop Header: Depth=2
	;;#ASMSTART
	global_load_b128 v[5:8], v[13:14] off scope:SCOPE_DEV	
s_wait_loadcnt 0x0
	;;#ASMEND
	v_and_b32_e32 v8, 0xff, v7
	s_delay_alu instid0(VALU_DEP_1)
	v_cmp_ne_u16_e32 vcc_lo, 0, v8
	s_wait_alu 0xfffe
	s_or_b32 s12, vcc_lo, s12
	s_wait_alu 0xfffe
	s_and_not1_b32 exec_lo, exec_lo, s12
	s_cbranch_execnz .LBB922_101
; %bb.102:                              ;   in Loop: Header=BB922_98 Depth=1
	s_or_b32 exec_lo, exec_lo, s12
.LBB922_103:                            ;   in Loop: Header=BB922_98 Depth=1
	s_wait_alu 0xfffe
	s_or_b32 exec_lo, exec_lo, s5
	v_dual_mov_b32 v13, v5 :: v_dual_and_b32 v8, 0xff, v7
	ds_bpermute_b32 v27, v17, v5
	ds_bpermute_b32 v14, v17, v6
	s_mov_b32 s5, exec_lo
	v_cmp_eq_u16_e32 vcc_lo, 2, v8
	s_wait_alu 0xfffd
	v_and_or_b32 v8, vcc_lo, v18, 0x80000000
	s_delay_alu instid0(VALU_DEP_1) | instskip(NEXT) | instid1(VALU_DEP_1)
	v_ctz_i32_b32_e32 v8, v8
	v_cmpx_lt_u32_e64 v61, v8
	s_cbranch_execz .LBB922_105
; %bb.104:                              ;   in Loop: Header=BB922_98 Depth=1
	s_wait_dscnt 0x1
	v_add_co_u32 v13, vcc_lo, v5, v27
	s_wait_alu 0xfffd
	v_add_co_ci_u32_e64 v6, null, 0, v6, vcc_lo
	s_delay_alu instid0(VALU_DEP_2) | instskip(SKIP_2) | instid1(VALU_DEP_2)
	v_add_co_u32 v5, vcc_lo, 0, v13
	s_wait_dscnt 0x0
	s_wait_alu 0xfffd
	v_add_co_ci_u32_e64 v6, null, v14, v6, vcc_lo
.LBB922_105:                            ;   in Loop: Header=BB922_98 Depth=1
	s_wait_alu 0xfffe
	s_or_b32 exec_lo, exec_lo, s5
	s_wait_dscnt 0x1
	ds_bpermute_b32 v27, v19, v13
	s_wait_dscnt 0x1
	ds_bpermute_b32 v14, v19, v6
	s_mov_b32 s5, exec_lo
	v_cmpx_le_u32_e64 v20, v8
	s_cbranch_execz .LBB922_107
; %bb.106:                              ;   in Loop: Header=BB922_98 Depth=1
	s_wait_dscnt 0x1
	v_add_co_u32 v13, vcc_lo, v5, v27
	s_wait_alu 0xfffd
	v_add_co_ci_u32_e64 v6, null, 0, v6, vcc_lo
	s_delay_alu instid0(VALU_DEP_2) | instskip(SKIP_2) | instid1(VALU_DEP_2)
	v_add_co_u32 v5, vcc_lo, 0, v13
	s_wait_dscnt 0x0
	s_wait_alu 0xfffd
	v_add_co_ci_u32_e64 v6, null, v14, v6, vcc_lo
.LBB922_107:                            ;   in Loop: Header=BB922_98 Depth=1
	s_wait_alu 0xfffe
	s_or_b32 exec_lo, exec_lo, s5
	s_wait_dscnt 0x1
	ds_bpermute_b32 v27, v21, v13
	s_wait_dscnt 0x1
	ds_bpermute_b32 v14, v21, v6
	s_mov_b32 s5, exec_lo
	v_cmpx_le_u32_e64 v22, v8
	;; [unrolled: 20-line block ×3, first 2 shown]
	s_cbranch_execz .LBB922_111
; %bb.110:                              ;   in Loop: Header=BB922_98 Depth=1
	s_wait_dscnt 0x1
	v_add_co_u32 v13, vcc_lo, v5, v27
	s_wait_alu 0xfffd
	v_add_co_ci_u32_e64 v6, null, 0, v6, vcc_lo
	s_delay_alu instid0(VALU_DEP_2) | instskip(SKIP_2) | instid1(VALU_DEP_2)
	v_add_co_u32 v5, vcc_lo, 0, v13
	s_wait_dscnt 0x0
	s_wait_alu 0xfffd
	v_add_co_ci_u32_e64 v6, null, v14, v6, vcc_lo
.LBB922_111:                            ;   in Loop: Header=BB922_98 Depth=1
	s_wait_alu 0xfffe
	s_or_b32 exec_lo, exec_lo, s5
	s_wait_dscnt 0x0
	ds_bpermute_b32 v14, v25, v13
	ds_bpermute_b32 v13, v25, v6
	s_mov_b32 s5, exec_lo
	v_cmpx_le_u32_e64 v26, v8
	s_cbranch_execz .LBB922_96
; %bb.112:                              ;   in Loop: Header=BB922_98 Depth=1
	s_wait_dscnt 0x1
	v_add_co_u32 v5, vcc_lo, v5, v14
	s_wait_alu 0xfffd
	v_add_co_ci_u32_e64 v6, null, 0, v6, vcc_lo
	s_delay_alu instid0(VALU_DEP_2) | instskip(SKIP_2) | instid1(VALU_DEP_2)
	v_add_co_u32 v5, vcc_lo, v5, 0
	s_wait_dscnt 0x0
	s_wait_alu 0xfffd
	v_add_co_ci_u32_e64 v6, null, v6, v13, vcc_lo
	s_branch .LBB922_96
.LBB922_113:
                                        ; implicit-def: $vgpr39_vgpr40
                                        ; implicit-def: $vgpr1_vgpr2_vgpr3_vgpr4_vgpr5_vgpr6_vgpr7_vgpr8_vgpr9_vgpr10_vgpr11_vgpr12_vgpr13_vgpr14_vgpr15_vgpr16_vgpr17_vgpr18_vgpr19_vgpr20_vgpr21_vgpr22_vgpr23_vgpr24_vgpr25_vgpr26_vgpr27_vgpr28_vgpr29_vgpr30_vgpr31_vgpr32
	s_load_b64 s[4:5], s[0:1], 0x30
	s_and_b32 vcc_lo, exec_lo, s3
	s_wait_alu 0xfffe
	s_cbranch_vccnz .LBB922_119
	s_branch .LBB922_144
.LBB922_114:
	s_and_saveexec_b32 s5, s3
	s_cbranch_execz .LBB922_116
; %bb.115:
	s_add_co_i32 s12, ttmp9, 32
	s_mov_b32 s13, 0
	v_add_co_u32 v5, vcc_lo, v3, v1
	s_wait_alu 0xfffe
	s_lshl_b64 s[12:13], s[12:13], 4
	v_dual_mov_b32 v7, 2 :: v_dual_mov_b32 v8, 0
	s_wait_alu 0xfffe
	s_add_nc_u64 s[12:13], s[10:11], s[12:13]
	s_wait_alu 0xfffd
	v_add_co_ci_u32_e64 v6, null, v4, v2, vcc_lo
	s_wait_alu 0xfffe
	v_dual_mov_b32 v11, s12 :: v_dual_mov_b32 v12, s13
	;;#ASMSTART
	global_store_b128 v[11:12], v[5:8] off scope:SCOPE_DEV	
s_wait_storecnt 0x0
	;;#ASMEND
	ds_store_b128 v8, v[1:4] offset:6144
.LBB922_116:
	s_wait_alu 0xfffe
	s_or_b32 exec_lo, exec_lo, s5
	v_cmp_eq_u32_e32 vcc_lo, 0, v0
	s_and_b32 exec_lo, exec_lo, vcc_lo
; %bb.117:
	v_mov_b32_e32 v1, 0
	ds_store_b64 v1, v[3:4] offset:56
.LBB922_118:
	s_wait_alu 0xfffe
	s_or_b32 exec_lo, exec_lo, s4
	s_wait_dscnt 0x0
	v_cndmask_b32_e64 v4, v16, v10, s3
	v_cmp_ne_u32_e32 vcc_lo, 0, v0
	v_mov_b32_e32 v17, 0
	s_wait_loadcnt 0x0
	s_barrier_signal -1
	s_barrier_wait -1
	global_inv scope:SCOPE_SE
	s_wait_alu 0xfffd
	v_cndmask_b32_e32 v4, 0, v4, vcc_lo
	ds_load_b64 v[1:2], v17 offset:56
	v_cndmask_b32_e64 v3, v15, v9, s3
	s_wait_loadcnt_dscnt 0x0
	s_barrier_signal -1
	s_barrier_wait -1
	global_inv scope:SCOPE_SE
	v_cndmask_b32_e32 v3, 0, v3, vcc_lo
	ds_load_b128 v[37:40], v17 offset:6144
	v_add_co_u32 v1, vcc_lo, v1, v3
	s_wait_alu 0xfffd
	v_add_co_ci_u32_e64 v2, null, v2, v4, vcc_lo
	s_delay_alu instid0(VALU_DEP_2) | instskip(SKIP_1) | instid1(VALU_DEP_2)
	v_add_co_u32 v3, vcc_lo, v1, v53
	s_wait_alu 0xfffd
	v_add_co_ci_u32_e64 v4, null, 0, v2, vcc_lo
	s_delay_alu instid0(VALU_DEP_2) | instskip(SKIP_1) | instid1(VALU_DEP_2)
	;; [unrolled: 4-line block ×11, first 2 shown]
	v_add_co_u32 v23, vcc_lo, v21, v55
	s_wait_alu 0xfffd
	v_add_co_ci_u32_e64 v24, null, 0, v22, vcc_lo
	s_load_b64 s[4:5], s[0:1], 0x30
	s_branch .LBB922_144
.LBB922_119:
	v_dual_mov_b32 v2, 0 :: v_dual_mov_b32 v3, v45
	v_mov_b32_dpp v4, v45 row_shr:1 row_mask:0xf bank_mask:0xf
	s_delay_alu instid0(VALU_DEP_2)
	v_mov_b32_dpp v1, v2 row_shr:1 row_mask:0xf bank_mask:0xf
	s_and_saveexec_b32 s0, s2
; %bb.120:
	s_delay_alu instid0(VALU_DEP_2) | instskip(SKIP_2) | instid1(VALU_DEP_2)
	v_add_co_u32 v3, vcc_lo, v45, v4
	s_wait_alu 0xfffd
	v_add_co_ci_u32_e64 v2, null, 0, v46, vcc_lo
	v_add_co_u32 v45, vcc_lo, 0, v3
	s_wait_alu 0xfffd
	s_delay_alu instid0(VALU_DEP_2) | instskip(NEXT) | instid1(VALU_DEP_1)
	v_add_co_ci_u32_e64 v46, null, v1, v2, vcc_lo
	v_mov_b32_e32 v2, v46
; %bb.121:
	s_or_b32 exec_lo, exec_lo, s0
	v_mov_b32_dpp v1, v3 row_shr:2 row_mask:0xf bank_mask:0xf
	s_delay_alu instid0(VALU_DEP_2)
	v_mov_b32_dpp v4, v2 row_shr:2 row_mask:0xf bank_mask:0xf
	s_mov_b32 s0, exec_lo
	v_cmpx_lt_u32_e32 1, v62
; %bb.122:
	s_delay_alu instid0(VALU_DEP_3) | instskip(SKIP_2) | instid1(VALU_DEP_2)
	v_add_co_u32 v3, vcc_lo, v45, v1
	s_wait_alu 0xfffd
	v_add_co_ci_u32_e64 v2, null, 0, v46, vcc_lo
	v_add_co_u32 v1, vcc_lo, 0, v3
	s_wait_alu 0xfffd
	s_delay_alu instid0(VALU_DEP_2) | instskip(NEXT) | instid1(VALU_DEP_1)
	v_add_co_ci_u32_e64 v2, null, v4, v2, vcc_lo
	v_dual_mov_b32 v46, v2 :: v_dual_mov_b32 v45, v1
; %bb.123:
	s_or_b32 exec_lo, exec_lo, s0
	v_mov_b32_dpp v1, v3 row_shr:4 row_mask:0xf bank_mask:0xf
	v_mov_b32_dpp v4, v2 row_shr:4 row_mask:0xf bank_mask:0xf
	s_mov_b32 s0, exec_lo
	v_cmpx_lt_u32_e32 3, v62
; %bb.124:
	s_delay_alu instid0(VALU_DEP_3) | instskip(SKIP_2) | instid1(VALU_DEP_2)
	v_add_co_u32 v3, vcc_lo, v45, v1
	s_wait_alu 0xfffd
	v_add_co_ci_u32_e64 v2, null, 0, v46, vcc_lo
	v_add_co_u32 v1, vcc_lo, 0, v3
	s_wait_alu 0xfffd
	s_delay_alu instid0(VALU_DEP_2) | instskip(NEXT) | instid1(VALU_DEP_1)
	v_add_co_ci_u32_e64 v2, null, v4, v2, vcc_lo
	v_dual_mov_b32 v46, v2 :: v_dual_mov_b32 v45, v1
; %bb.125:
	s_or_b32 exec_lo, exec_lo, s0
	v_mov_b32_dpp v4, v3 row_shr:8 row_mask:0xf bank_mask:0xf
	v_mov_b32_dpp v1, v2 row_shr:8 row_mask:0xf bank_mask:0xf
	s_mov_b32 s0, exec_lo
	v_cmpx_lt_u32_e32 7, v62
; %bb.126:
	s_delay_alu instid0(VALU_DEP_3) | instskip(SKIP_2) | instid1(VALU_DEP_2)
	v_add_co_u32 v3, vcc_lo, v45, v4
	s_wait_alu 0xfffd
	v_add_co_ci_u32_e64 v2, null, 0, v46, vcc_lo
	v_add_co_u32 v45, vcc_lo, 0, v3
	s_wait_alu 0xfffd
	s_delay_alu instid0(VALU_DEP_2) | instskip(NEXT) | instid1(VALU_DEP_1)
	v_add_co_ci_u32_e64 v46, null, v1, v2, vcc_lo
	v_mov_b32_e32 v2, v46
; %bb.127:
	s_or_b32 exec_lo, exec_lo, s0
	ds_swizzle_b32 v3, v3 offset:swizzle(BROADCAST,32,15)
	ds_swizzle_b32 v1, v2 offset:swizzle(BROADCAST,32,15)
	v_and_b32_e32 v2, 16, v61
	s_mov_b32 s0, exec_lo
	s_delay_alu instid0(VALU_DEP_1)
	v_cmpx_ne_u32_e32 0, v2
	s_cbranch_execz .LBB922_129
; %bb.128:
	s_wait_dscnt 0x1
	v_add_co_u32 v2, vcc_lo, v45, v3
	s_wait_alu 0xfffd
	v_add_co_ci_u32_e64 v3, null, 0, v46, vcc_lo
	s_delay_alu instid0(VALU_DEP_2) | instskip(SKIP_2) | instid1(VALU_DEP_2)
	v_add_co_u32 v45, vcc_lo, v2, 0
	s_wait_dscnt 0x0
	s_wait_alu 0xfffd
	v_add_co_ci_u32_e64 v46, null, v3, v1, vcc_lo
.LBB922_129:
	s_or_b32 exec_lo, exec_lo, s0
	s_wait_dscnt 0x0
	v_or_b32_e32 v1, 31, v0
	v_lshrrev_b32_e32 v3, 5, v0
	s_mov_b32 s0, exec_lo
	s_delay_alu instid0(VALU_DEP_2)
	v_cmpx_eq_u32_e64 v0, v1
; %bb.130:
	s_delay_alu instid0(VALU_DEP_2)
	v_lshlrev_b32_e32 v1, 3, v3
	ds_store_b64 v1, v[45:46]
; %bb.131:
	s_or_b32 exec_lo, exec_lo, s0
	s_delay_alu instid0(SALU_CYCLE_1)
	s_mov_b32 s0, exec_lo
	s_wait_loadcnt_dscnt 0x0
	s_barrier_signal -1
	s_barrier_wait -1
	global_inv scope:SCOPE_SE
	v_cmpx_gt_u32_e32 8, v0
	s_cbranch_execz .LBB922_139
; %bb.132:
	v_lshlrev_b32_e32 v4, 2, v0
	s_mov_b32 s1, exec_lo
	s_delay_alu instid0(VALU_DEP_1)
	v_sub_nc_u32_e32 v1, v51, v4
	ds_load_b64 v[1:2], v1
	s_wait_dscnt 0x0
	v_dual_mov_b32 v6, v1 :: v_dual_and_b32 v5, 7, v61
	v_mov_b32_dpp v8, v1 row_shr:1 row_mask:0xf bank_mask:0xf
	v_mov_b32_dpp v7, v2 row_shr:1 row_mask:0xf bank_mask:0xf
	s_delay_alu instid0(VALU_DEP_3)
	v_cmpx_ne_u32_e32 0, v5
; %bb.133:
	s_delay_alu instid0(VALU_DEP_3) | instskip(SKIP_2) | instid1(VALU_DEP_2)
	v_add_co_u32 v6, vcc_lo, v1, v8
	s_wait_alu 0xfffd
	v_add_co_ci_u32_e64 v2, null, 0, v2, vcc_lo
	v_add_co_u32 v1, vcc_lo, 0, v6
	s_wait_alu 0xfffd
	s_delay_alu instid0(VALU_DEP_2)
	v_add_co_ci_u32_e64 v2, null, v7, v2, vcc_lo
; %bb.134:
	s_or_b32 exec_lo, exec_lo, s1
	v_mov_b32_dpp v8, v6 row_shr:2 row_mask:0xf bank_mask:0xf
	s_delay_alu instid0(VALU_DEP_2)
	v_mov_b32_dpp v7, v2 row_shr:2 row_mask:0xf bank_mask:0xf
	s_mov_b32 s1, exec_lo
	v_cmpx_lt_u32_e32 1, v5
; %bb.135:
	s_delay_alu instid0(VALU_DEP_3) | instskip(SKIP_2) | instid1(VALU_DEP_2)
	v_add_co_u32 v6, vcc_lo, v1, v8
	s_wait_alu 0xfffd
	v_add_co_ci_u32_e64 v2, null, 0, v2, vcc_lo
	v_add_co_u32 v1, vcc_lo, 0, v6
	s_wait_alu 0xfffd
	s_delay_alu instid0(VALU_DEP_2)
	v_add_co_ci_u32_e64 v2, null, v7, v2, vcc_lo
; %bb.136:
	s_or_b32 exec_lo, exec_lo, s1
	v_sub_nc_u32_e32 v4, 0, v4
	v_mov_b32_dpp v7, v6 row_shr:4 row_mask:0xf bank_mask:0xf
	s_delay_alu instid0(VALU_DEP_3)
	v_mov_b32_dpp v6, v2 row_shr:4 row_mask:0xf bank_mask:0xf
	s_mov_b32 s1, exec_lo
	v_cmpx_lt_u32_e32 3, v5
; %bb.137:
	s_delay_alu instid0(VALU_DEP_3) | instskip(SKIP_2) | instid1(VALU_DEP_2)
	v_add_co_u32 v1, vcc_lo, v1, v7
	s_wait_alu 0xfffd
	v_add_co_ci_u32_e64 v2, null, 0, v2, vcc_lo
	v_add_co_u32 v1, vcc_lo, v1, 0
	s_wait_alu 0xfffd
	s_delay_alu instid0(VALU_DEP_2)
	v_add_co_ci_u32_e64 v2, null, v2, v6, vcc_lo
; %bb.138:
	s_or_b32 exec_lo, exec_lo, s1
	v_add_nc_u32_e32 v4, v51, v4
	ds_store_b64 v4, v[1:2]
.LBB922_139:
	s_or_b32 exec_lo, exec_lo, s0
	v_mov_b32_e32 v1, 0
	v_mov_b32_e32 v2, 0
	s_mov_b32 s0, exec_lo
	s_wait_loadcnt_dscnt 0x0
	s_barrier_signal -1
	s_barrier_wait -1
	global_inv scope:SCOPE_SE
	v_cmpx_lt_u32_e32 31, v0
; %bb.140:
	v_lshl_add_u32 v1, v3, 3, -8
	ds_load_b64 v[1:2], v1
; %bb.141:
	s_or_b32 exec_lo, exec_lo, s0
	v_sub_co_u32 v3, vcc_lo, v61, 1
	v_mov_b32_e32 v40, 0
	s_delay_alu instid0(VALU_DEP_2) | instskip(SKIP_2) | instid1(VALU_DEP_1)
	v_cmp_gt_i32_e64 s0, 0, v3
	ds_load_b64 v[37:38], v40 offset:56
	v_cndmask_b32_e64 v3, v3, v61, s0
	v_lshlrev_b32_e32 v4, 2, v3
	s_wait_dscnt 0x1
	v_add_co_u32 v3, s0, v1, v45
	s_wait_alu 0xf1ff
	v_add_co_ci_u32_e64 v5, null, v2, v46, s0
	v_cmp_eq_u32_e64 s0, 0, v0
	ds_bpermute_b32 v3, v4, v3
	ds_bpermute_b32 v4, v4, v5
	s_and_saveexec_b32 s1, s0
	s_cbranch_execz .LBB922_143
; %bb.142:
	s_wait_kmcnt 0x0
	s_add_nc_u64 s[2:3], s[10:11], 0x200
	s_wait_alu 0xfffe
	v_dual_mov_b32 v39, 2 :: v_dual_mov_b32 v6, s3
	v_mov_b32_e32 v5, s2
	s_wait_dscnt 0x2
	;;#ASMSTART
	global_store_b128 v[5:6], v[37:40] off scope:SCOPE_DEV	
s_wait_storecnt 0x0
	;;#ASMEND
.LBB922_143:
	s_wait_alu 0xfffe
	s_or_b32 exec_lo, exec_lo, s1
	s_wait_dscnt 0x0
	s_wait_alu 0xfffd
	v_dual_cndmask_b32 v1, v3, v1 :: v_dual_cndmask_b32 v2, v4, v2
	v_mov_b32_e32 v39, 0
	v_mov_b32_e32 v40, 0
	s_wait_loadcnt 0x0
	s_delay_alu instid0(VALU_DEP_3)
	v_cndmask_b32_e64 v1, v1, 0, s0
	v_cndmask_b32_e64 v2, v2, 0, s0
	s_barrier_signal -1
	s_barrier_wait -1
	global_inv scope:SCOPE_SE
	v_add_co_u32 v3, vcc_lo, v1, v53
	s_wait_alu 0xfffd
	v_add_co_ci_u32_e64 v4, null, 0, v2, vcc_lo
	s_delay_alu instid0(VALU_DEP_2) | instskip(SKIP_1) | instid1(VALU_DEP_2)
	v_add_co_u32 v5, vcc_lo, v3, v54
	s_wait_alu 0xfffd
	v_add_co_ci_u32_e64 v6, null, 0, v4, vcc_lo
	s_delay_alu instid0(VALU_DEP_2) | instskip(SKIP_1) | instid1(VALU_DEP_2)
	;; [unrolled: 4-line block ×10, first 2 shown]
	v_add_co_u32 v23, vcc_lo, v21, v55
	s_wait_alu 0xfffd
	v_add_co_ci_u32_e64 v24, null, 0, v22, vcc_lo
.LBB922_144:
	v_lshrrev_b32_e32 v54, 8, v43
	v_lshrrev_b32_e32 v52, 16, v43
	v_and_b32_e32 v43, 1, v43
	s_wait_dscnt 0x0
	v_cmp_gt_u64_e32 vcc_lo, 0x101, v[37:38]
	v_lshrrev_b32_e32 v45, 8, v44
	v_lshrrev_b32_e32 v32, 16, v44
	;; [unrolled: 1-line block ×10, first 2 shown]
	v_cmp_eq_u32_e64 s0, 1, v43
	s_mov_b32 s1, -1
	s_cbranch_vccnz .LBB922_148
; %bb.145:
	s_wait_alu 0xfffe
	s_and_b32 vcc_lo, exec_lo, s1
	s_wait_alu 0xfffe
	s_cbranch_vccnz .LBB922_173
.LBB922_146:
	v_cmp_eq_u32_e32 vcc_lo, 0, v0
	s_and_b32 s0, vcc_lo, s16
	s_wait_alu 0xfffe
	s_and_saveexec_b32 s1, s0
	s_cbranch_execnz .LBB922_200
.LBB922_147:
	s_endpgm
.LBB922_148:
	v_add_co_u32 v25, vcc_lo, v39, v37
	s_wait_alu 0xfffd
	v_add_co_ci_u32_e64 v26, null, v40, v38, vcc_lo
	s_lshl_b64 s[2:3], s[6:7], 1
	s_wait_kmcnt 0x0
	s_wait_alu 0xfffe
	s_add_nc_u64 s[2:3], s[4:5], s[2:3]
	v_cmp_lt_u64_e32 vcc_lo, v[1:2], v[25:26]
	s_or_b32 s1, s17, vcc_lo
	s_wait_alu 0xfffe
	s_and_b32 s1, s1, s0
	s_wait_alu 0xfffe
	s_and_saveexec_b32 s0, s1
	s_cbranch_execz .LBB922_150
; %bb.149:
	v_lshlrev_b64_e32 v[55:56], 1, v[1:2]
	s_delay_alu instid0(VALU_DEP_1) | instskip(SKIP_1) | instid1(VALU_DEP_2)
	v_add_co_u32 v55, vcc_lo, s2, v55
	s_wait_alu 0xfffd
	v_add_co_ci_u32_e64 v56, null, s3, v56, vcc_lo
	global_store_b16 v[55:56], v33, off
.LBB922_150:
	s_wait_alu 0xfffe
	s_or_b32 exec_lo, exec_lo, s0
	v_and_b32_e32 v2, 1, v54
	v_cmp_lt_u64_e32 vcc_lo, v[3:4], v[25:26]
	s_delay_alu instid0(VALU_DEP_2)
	v_cmp_eq_u32_e64 s0, 1, v2
	s_or_b32 s1, s17, vcc_lo
	s_wait_alu 0xfffe
	s_and_b32 s1, s1, s0
	s_wait_alu 0xfffe
	s_and_saveexec_b32 s0, s1
	s_cbranch_execz .LBB922_152
; %bb.151:
	v_lshlrev_b64_e32 v[55:56], 1, v[3:4]
	s_delay_alu instid0(VALU_DEP_1) | instskip(SKIP_1) | instid1(VALU_DEP_2)
	v_add_co_u32 v55, vcc_lo, s2, v55
	s_wait_alu 0xfffd
	v_add_co_ci_u32_e64 v56, null, s3, v56, vcc_lo
	global_store_b16 v[55:56], v53, off
.LBB922_152:
	s_wait_alu 0xfffe
	s_or_b32 exec_lo, exec_lo, s0
	v_and_b32_e32 v2, 1, v52
	v_cmp_lt_u64_e32 vcc_lo, v[5:6], v[25:26]
	s_delay_alu instid0(VALU_DEP_2)
	v_cmp_eq_u32_e64 s0, 1, v2
	;; [unrolled: 20-line block ×11, first 2 shown]
	s_or_b32 s1, s17, vcc_lo
	s_wait_alu 0xfffe
	s_and_b32 s1, s1, s0
	s_wait_alu 0xfffe
	s_and_saveexec_b32 s0, s1
	s_cbranch_execz .LBB922_172
; %bb.171:
	v_lshlrev_b64_e32 v[24:25], 1, v[23:24]
	s_delay_alu instid0(VALU_DEP_1) | instskip(SKIP_1) | instid1(VALU_DEP_2)
	v_add_co_u32 v24, vcc_lo, s2, v24
	s_wait_alu 0xfffd
	v_add_co_ci_u32_e64 v25, null, s3, v25, vcc_lo
	global_store_b16 v[24:25], v27, off
.LBB922_172:
	s_wait_alu 0xfffe
	s_or_b32 exec_lo, exec_lo, s0
	s_branch .LBB922_146
.LBB922_173:
	s_mov_b32 s0, exec_lo
	v_cmpx_eq_u32_e32 1, v43
; %bb.174:
	v_sub_nc_u32_e32 v1, v1, v39
	s_delay_alu instid0(VALU_DEP_1)
	v_lshlrev_b32_e32 v1, 1, v1
	ds_store_b16 v1, v33
; %bb.175:
	s_wait_alu 0xfffe
	s_or_b32 exec_lo, exec_lo, s0
	v_and_b32_e32 v1, 1, v54
	s_mov_b32 s0, exec_lo
	s_delay_alu instid0(VALU_DEP_1)
	v_cmpx_eq_u32_e32 1, v1
; %bb.176:
	v_sub_nc_u32_e32 v1, v3, v39
	s_delay_alu instid0(VALU_DEP_1)
	v_lshlrev_b32_e32 v1, 1, v1
	ds_store_b16 v1, v53
; %bb.177:
	s_wait_alu 0xfffe
	s_or_b32 exec_lo, exec_lo, s0
	v_and_b32_e32 v1, 1, v52
	s_mov_b32 s0, exec_lo
	s_delay_alu instid0(VALU_DEP_1)
	;; [unrolled: 12-line block ×11, first 2 shown]
	v_cmpx_eq_u32_e32 1, v1
; %bb.196:
	v_sub_nc_u32_e32 v1, v23, v39
	s_delay_alu instid0(VALU_DEP_1)
	v_lshlrev_b32_e32 v1, 1, v1
	ds_store_b16 v1, v27
; %bb.197:
	s_wait_alu 0xfffe
	s_or_b32 exec_lo, exec_lo, s0
	v_lshlrev_b64_e32 v[1:2], 1, v[39:40]
	v_mov_b32_e32 v3, 0
	s_lshl_b64 s[0:1], s[6:7], 1
	s_wait_storecnt 0x0
	s_wait_loadcnt_dscnt 0x0
	s_barrier_signal -1
	s_barrier_wait -1
	s_wait_kmcnt 0x0
	v_add_co_u32 v4, vcc_lo, s4, v1
	v_mov_b32_e32 v1, v3
	s_wait_alu 0xfffd
	v_add_co_ci_u32_e64 v2, null, s5, v2, vcc_lo
	s_wait_alu 0xfffe
	v_add_co_u32 v6, vcc_lo, v4, s0
	v_mov_b32_e32 v5, v1
	s_wait_alu 0xfffd
	v_add_co_ci_u32_e64 v7, null, s1, v2, vcc_lo
	v_or_b32_e32 v2, 0x100, v0
	v_mov_b32_e32 v4, v0
	s_mov_b32 s1, 0
	global_inv scope:SCOPE_SE
.LBB922_198:                            ; =>This Inner Loop Header: Depth=1
	v_lshlrev_b32_e32 v1, 1, v4
	v_lshlrev_b64_e32 v[8:9], 1, v[4:5]
	v_dual_mov_b32 v5, v3 :: v_dual_mov_b32 v4, v2
	v_cmp_le_u64_e32 vcc_lo, v[37:38], v[2:3]
	ds_load_u16 v1, v1
	v_add_nc_u32_e32 v2, 0x100, v2
	v_add_co_u32 v8, s0, v6, v8
	s_wait_alu 0xf1ff
	v_add_co_ci_u32_e64 v9, null, v7, v9, s0
	s_wait_alu 0xfffe
	s_or_b32 s1, vcc_lo, s1
	s_wait_dscnt 0x0
	global_store_b16 v[8:9], v1, off
	s_wait_alu 0xfffe
	s_and_not1_b32 exec_lo, exec_lo, s1
	s_cbranch_execnz .LBB922_198
; %bb.199:
	s_or_b32 exec_lo, exec_lo, s1
	v_cmp_eq_u32_e32 vcc_lo, 0, v0
	s_and_b32 s0, vcc_lo, s16
	s_wait_alu 0xfffe
	s_and_saveexec_b32 s1, s0
	s_cbranch_execz .LBB922_147
.LBB922_200:
	v_add_co_u32 v0, vcc_lo, v39, v37
	s_wait_alu 0xfffd
	v_add_co_ci_u32_e64 v1, null, v40, v38, vcc_lo
	v_mov_b32_e32 v2, 0
	s_delay_alu instid0(VALU_DEP_3) | instskip(SKIP_1) | instid1(VALU_DEP_3)
	v_add_co_u32 v0, vcc_lo, v0, s6
	s_wait_alu 0xfffd
	v_add_co_ci_u32_e64 v1, null, s7, v1, vcc_lo
	global_store_b64 v2, v[0:1], s[8:9]
	s_endpgm
	.section	.rodata,"a",@progbits
	.p2align	6, 0x0
	.amdhsa_kernel _ZN7rocprim17ROCPRIM_400000_NS6detail17trampoline_kernelINS0_14default_configENS1_25partition_config_selectorILNS1_17partition_subalgoE5EtNS0_10empty_typeEbEEZZNS1_14partition_implILS5_5ELb0ES3_mN6thrust23THRUST_200600_302600_NS6detail15normal_iteratorINSA_10device_ptrItEEEEPS6_NSA_18transform_iteratorINSB_9not_fun_tINSA_8identityItEEEESF_NSA_11use_defaultESM_EENS0_5tupleIJSF_S6_EEENSO_IJSG_SG_EEES6_PlJS6_EEE10hipError_tPvRmT3_T4_T5_T6_T7_T9_mT8_P12ihipStream_tbDpT10_ENKUlT_T0_E_clISt17integral_constantIbLb0EES1B_EEDaS16_S17_EUlS16_E_NS1_11comp_targetILNS1_3genE10ELNS1_11target_archE1200ELNS1_3gpuE4ELNS1_3repE0EEENS1_30default_config_static_selectorELNS0_4arch9wavefront6targetE0EEEvT1_
		.amdhsa_group_segment_fixed_size 6160
		.amdhsa_private_segment_fixed_size 0
		.amdhsa_kernarg_size 120
		.amdhsa_user_sgpr_count 2
		.amdhsa_user_sgpr_dispatch_ptr 0
		.amdhsa_user_sgpr_queue_ptr 0
		.amdhsa_user_sgpr_kernarg_segment_ptr 1
		.amdhsa_user_sgpr_dispatch_id 0
		.amdhsa_user_sgpr_private_segment_size 0
		.amdhsa_wavefront_size32 1
		.amdhsa_uses_dynamic_stack 0
		.amdhsa_enable_private_segment 0
		.amdhsa_system_sgpr_workgroup_id_x 1
		.amdhsa_system_sgpr_workgroup_id_y 0
		.amdhsa_system_sgpr_workgroup_id_z 0
		.amdhsa_system_sgpr_workgroup_info 0
		.amdhsa_system_vgpr_workitem_id 0
		.amdhsa_next_free_vgpr 63
		.amdhsa_next_free_sgpr 22
		.amdhsa_reserve_vcc 1
		.amdhsa_float_round_mode_32 0
		.amdhsa_float_round_mode_16_64 0
		.amdhsa_float_denorm_mode_32 3
		.amdhsa_float_denorm_mode_16_64 3
		.amdhsa_fp16_overflow 0
		.amdhsa_workgroup_processor_mode 1
		.amdhsa_memory_ordered 1
		.amdhsa_forward_progress 1
		.amdhsa_inst_pref_size 82
		.amdhsa_round_robin_scheduling 0
		.amdhsa_exception_fp_ieee_invalid_op 0
		.amdhsa_exception_fp_denorm_src 0
		.amdhsa_exception_fp_ieee_div_zero 0
		.amdhsa_exception_fp_ieee_overflow 0
		.amdhsa_exception_fp_ieee_underflow 0
		.amdhsa_exception_fp_ieee_inexact 0
		.amdhsa_exception_int_div_zero 0
	.end_amdhsa_kernel
	.section	.text._ZN7rocprim17ROCPRIM_400000_NS6detail17trampoline_kernelINS0_14default_configENS1_25partition_config_selectorILNS1_17partition_subalgoE5EtNS0_10empty_typeEbEEZZNS1_14partition_implILS5_5ELb0ES3_mN6thrust23THRUST_200600_302600_NS6detail15normal_iteratorINSA_10device_ptrItEEEEPS6_NSA_18transform_iteratorINSB_9not_fun_tINSA_8identityItEEEESF_NSA_11use_defaultESM_EENS0_5tupleIJSF_S6_EEENSO_IJSG_SG_EEES6_PlJS6_EEE10hipError_tPvRmT3_T4_T5_T6_T7_T9_mT8_P12ihipStream_tbDpT10_ENKUlT_T0_E_clISt17integral_constantIbLb0EES1B_EEDaS16_S17_EUlS16_E_NS1_11comp_targetILNS1_3genE10ELNS1_11target_archE1200ELNS1_3gpuE4ELNS1_3repE0EEENS1_30default_config_static_selectorELNS0_4arch9wavefront6targetE0EEEvT1_,"axG",@progbits,_ZN7rocprim17ROCPRIM_400000_NS6detail17trampoline_kernelINS0_14default_configENS1_25partition_config_selectorILNS1_17partition_subalgoE5EtNS0_10empty_typeEbEEZZNS1_14partition_implILS5_5ELb0ES3_mN6thrust23THRUST_200600_302600_NS6detail15normal_iteratorINSA_10device_ptrItEEEEPS6_NSA_18transform_iteratorINSB_9not_fun_tINSA_8identityItEEEESF_NSA_11use_defaultESM_EENS0_5tupleIJSF_S6_EEENSO_IJSG_SG_EEES6_PlJS6_EEE10hipError_tPvRmT3_T4_T5_T6_T7_T9_mT8_P12ihipStream_tbDpT10_ENKUlT_T0_E_clISt17integral_constantIbLb0EES1B_EEDaS16_S17_EUlS16_E_NS1_11comp_targetILNS1_3genE10ELNS1_11target_archE1200ELNS1_3gpuE4ELNS1_3repE0EEENS1_30default_config_static_selectorELNS0_4arch9wavefront6targetE0EEEvT1_,comdat
.Lfunc_end922:
	.size	_ZN7rocprim17ROCPRIM_400000_NS6detail17trampoline_kernelINS0_14default_configENS1_25partition_config_selectorILNS1_17partition_subalgoE5EtNS0_10empty_typeEbEEZZNS1_14partition_implILS5_5ELb0ES3_mN6thrust23THRUST_200600_302600_NS6detail15normal_iteratorINSA_10device_ptrItEEEEPS6_NSA_18transform_iteratorINSB_9not_fun_tINSA_8identityItEEEESF_NSA_11use_defaultESM_EENS0_5tupleIJSF_S6_EEENSO_IJSG_SG_EEES6_PlJS6_EEE10hipError_tPvRmT3_T4_T5_T6_T7_T9_mT8_P12ihipStream_tbDpT10_ENKUlT_T0_E_clISt17integral_constantIbLb0EES1B_EEDaS16_S17_EUlS16_E_NS1_11comp_targetILNS1_3genE10ELNS1_11target_archE1200ELNS1_3gpuE4ELNS1_3repE0EEENS1_30default_config_static_selectorELNS0_4arch9wavefront6targetE0EEEvT1_, .Lfunc_end922-_ZN7rocprim17ROCPRIM_400000_NS6detail17trampoline_kernelINS0_14default_configENS1_25partition_config_selectorILNS1_17partition_subalgoE5EtNS0_10empty_typeEbEEZZNS1_14partition_implILS5_5ELb0ES3_mN6thrust23THRUST_200600_302600_NS6detail15normal_iteratorINSA_10device_ptrItEEEEPS6_NSA_18transform_iteratorINSB_9not_fun_tINSA_8identityItEEEESF_NSA_11use_defaultESM_EENS0_5tupleIJSF_S6_EEENSO_IJSG_SG_EEES6_PlJS6_EEE10hipError_tPvRmT3_T4_T5_T6_T7_T9_mT8_P12ihipStream_tbDpT10_ENKUlT_T0_E_clISt17integral_constantIbLb0EES1B_EEDaS16_S17_EUlS16_E_NS1_11comp_targetILNS1_3genE10ELNS1_11target_archE1200ELNS1_3gpuE4ELNS1_3repE0EEENS1_30default_config_static_selectorELNS0_4arch9wavefront6targetE0EEEvT1_
                                        ; -- End function
	.set _ZN7rocprim17ROCPRIM_400000_NS6detail17trampoline_kernelINS0_14default_configENS1_25partition_config_selectorILNS1_17partition_subalgoE5EtNS0_10empty_typeEbEEZZNS1_14partition_implILS5_5ELb0ES3_mN6thrust23THRUST_200600_302600_NS6detail15normal_iteratorINSA_10device_ptrItEEEEPS6_NSA_18transform_iteratorINSB_9not_fun_tINSA_8identityItEEEESF_NSA_11use_defaultESM_EENS0_5tupleIJSF_S6_EEENSO_IJSG_SG_EEES6_PlJS6_EEE10hipError_tPvRmT3_T4_T5_T6_T7_T9_mT8_P12ihipStream_tbDpT10_ENKUlT_T0_E_clISt17integral_constantIbLb0EES1B_EEDaS16_S17_EUlS16_E_NS1_11comp_targetILNS1_3genE10ELNS1_11target_archE1200ELNS1_3gpuE4ELNS1_3repE0EEENS1_30default_config_static_selectorELNS0_4arch9wavefront6targetE0EEEvT1_.num_vgpr, 63
	.set _ZN7rocprim17ROCPRIM_400000_NS6detail17trampoline_kernelINS0_14default_configENS1_25partition_config_selectorILNS1_17partition_subalgoE5EtNS0_10empty_typeEbEEZZNS1_14partition_implILS5_5ELb0ES3_mN6thrust23THRUST_200600_302600_NS6detail15normal_iteratorINSA_10device_ptrItEEEEPS6_NSA_18transform_iteratorINSB_9not_fun_tINSA_8identityItEEEESF_NSA_11use_defaultESM_EENS0_5tupleIJSF_S6_EEENSO_IJSG_SG_EEES6_PlJS6_EEE10hipError_tPvRmT3_T4_T5_T6_T7_T9_mT8_P12ihipStream_tbDpT10_ENKUlT_T0_E_clISt17integral_constantIbLb0EES1B_EEDaS16_S17_EUlS16_E_NS1_11comp_targetILNS1_3genE10ELNS1_11target_archE1200ELNS1_3gpuE4ELNS1_3repE0EEENS1_30default_config_static_selectorELNS0_4arch9wavefront6targetE0EEEvT1_.num_agpr, 0
	.set _ZN7rocprim17ROCPRIM_400000_NS6detail17trampoline_kernelINS0_14default_configENS1_25partition_config_selectorILNS1_17partition_subalgoE5EtNS0_10empty_typeEbEEZZNS1_14partition_implILS5_5ELb0ES3_mN6thrust23THRUST_200600_302600_NS6detail15normal_iteratorINSA_10device_ptrItEEEEPS6_NSA_18transform_iteratorINSB_9not_fun_tINSA_8identityItEEEESF_NSA_11use_defaultESM_EENS0_5tupleIJSF_S6_EEENSO_IJSG_SG_EEES6_PlJS6_EEE10hipError_tPvRmT3_T4_T5_T6_T7_T9_mT8_P12ihipStream_tbDpT10_ENKUlT_T0_E_clISt17integral_constantIbLb0EES1B_EEDaS16_S17_EUlS16_E_NS1_11comp_targetILNS1_3genE10ELNS1_11target_archE1200ELNS1_3gpuE4ELNS1_3repE0EEENS1_30default_config_static_selectorELNS0_4arch9wavefront6targetE0EEEvT1_.numbered_sgpr, 22
	.set _ZN7rocprim17ROCPRIM_400000_NS6detail17trampoline_kernelINS0_14default_configENS1_25partition_config_selectorILNS1_17partition_subalgoE5EtNS0_10empty_typeEbEEZZNS1_14partition_implILS5_5ELb0ES3_mN6thrust23THRUST_200600_302600_NS6detail15normal_iteratorINSA_10device_ptrItEEEEPS6_NSA_18transform_iteratorINSB_9not_fun_tINSA_8identityItEEEESF_NSA_11use_defaultESM_EENS0_5tupleIJSF_S6_EEENSO_IJSG_SG_EEES6_PlJS6_EEE10hipError_tPvRmT3_T4_T5_T6_T7_T9_mT8_P12ihipStream_tbDpT10_ENKUlT_T0_E_clISt17integral_constantIbLb0EES1B_EEDaS16_S17_EUlS16_E_NS1_11comp_targetILNS1_3genE10ELNS1_11target_archE1200ELNS1_3gpuE4ELNS1_3repE0EEENS1_30default_config_static_selectorELNS0_4arch9wavefront6targetE0EEEvT1_.num_named_barrier, 0
	.set _ZN7rocprim17ROCPRIM_400000_NS6detail17trampoline_kernelINS0_14default_configENS1_25partition_config_selectorILNS1_17partition_subalgoE5EtNS0_10empty_typeEbEEZZNS1_14partition_implILS5_5ELb0ES3_mN6thrust23THRUST_200600_302600_NS6detail15normal_iteratorINSA_10device_ptrItEEEEPS6_NSA_18transform_iteratorINSB_9not_fun_tINSA_8identityItEEEESF_NSA_11use_defaultESM_EENS0_5tupleIJSF_S6_EEENSO_IJSG_SG_EEES6_PlJS6_EEE10hipError_tPvRmT3_T4_T5_T6_T7_T9_mT8_P12ihipStream_tbDpT10_ENKUlT_T0_E_clISt17integral_constantIbLb0EES1B_EEDaS16_S17_EUlS16_E_NS1_11comp_targetILNS1_3genE10ELNS1_11target_archE1200ELNS1_3gpuE4ELNS1_3repE0EEENS1_30default_config_static_selectorELNS0_4arch9wavefront6targetE0EEEvT1_.private_seg_size, 0
	.set _ZN7rocprim17ROCPRIM_400000_NS6detail17trampoline_kernelINS0_14default_configENS1_25partition_config_selectorILNS1_17partition_subalgoE5EtNS0_10empty_typeEbEEZZNS1_14partition_implILS5_5ELb0ES3_mN6thrust23THRUST_200600_302600_NS6detail15normal_iteratorINSA_10device_ptrItEEEEPS6_NSA_18transform_iteratorINSB_9not_fun_tINSA_8identityItEEEESF_NSA_11use_defaultESM_EENS0_5tupleIJSF_S6_EEENSO_IJSG_SG_EEES6_PlJS6_EEE10hipError_tPvRmT3_T4_T5_T6_T7_T9_mT8_P12ihipStream_tbDpT10_ENKUlT_T0_E_clISt17integral_constantIbLb0EES1B_EEDaS16_S17_EUlS16_E_NS1_11comp_targetILNS1_3genE10ELNS1_11target_archE1200ELNS1_3gpuE4ELNS1_3repE0EEENS1_30default_config_static_selectorELNS0_4arch9wavefront6targetE0EEEvT1_.uses_vcc, 1
	.set _ZN7rocprim17ROCPRIM_400000_NS6detail17trampoline_kernelINS0_14default_configENS1_25partition_config_selectorILNS1_17partition_subalgoE5EtNS0_10empty_typeEbEEZZNS1_14partition_implILS5_5ELb0ES3_mN6thrust23THRUST_200600_302600_NS6detail15normal_iteratorINSA_10device_ptrItEEEEPS6_NSA_18transform_iteratorINSB_9not_fun_tINSA_8identityItEEEESF_NSA_11use_defaultESM_EENS0_5tupleIJSF_S6_EEENSO_IJSG_SG_EEES6_PlJS6_EEE10hipError_tPvRmT3_T4_T5_T6_T7_T9_mT8_P12ihipStream_tbDpT10_ENKUlT_T0_E_clISt17integral_constantIbLb0EES1B_EEDaS16_S17_EUlS16_E_NS1_11comp_targetILNS1_3genE10ELNS1_11target_archE1200ELNS1_3gpuE4ELNS1_3repE0EEENS1_30default_config_static_selectorELNS0_4arch9wavefront6targetE0EEEvT1_.uses_flat_scratch, 1
	.set _ZN7rocprim17ROCPRIM_400000_NS6detail17trampoline_kernelINS0_14default_configENS1_25partition_config_selectorILNS1_17partition_subalgoE5EtNS0_10empty_typeEbEEZZNS1_14partition_implILS5_5ELb0ES3_mN6thrust23THRUST_200600_302600_NS6detail15normal_iteratorINSA_10device_ptrItEEEEPS6_NSA_18transform_iteratorINSB_9not_fun_tINSA_8identityItEEEESF_NSA_11use_defaultESM_EENS0_5tupleIJSF_S6_EEENSO_IJSG_SG_EEES6_PlJS6_EEE10hipError_tPvRmT3_T4_T5_T6_T7_T9_mT8_P12ihipStream_tbDpT10_ENKUlT_T0_E_clISt17integral_constantIbLb0EES1B_EEDaS16_S17_EUlS16_E_NS1_11comp_targetILNS1_3genE10ELNS1_11target_archE1200ELNS1_3gpuE4ELNS1_3repE0EEENS1_30default_config_static_selectorELNS0_4arch9wavefront6targetE0EEEvT1_.has_dyn_sized_stack, 0
	.set _ZN7rocprim17ROCPRIM_400000_NS6detail17trampoline_kernelINS0_14default_configENS1_25partition_config_selectorILNS1_17partition_subalgoE5EtNS0_10empty_typeEbEEZZNS1_14partition_implILS5_5ELb0ES3_mN6thrust23THRUST_200600_302600_NS6detail15normal_iteratorINSA_10device_ptrItEEEEPS6_NSA_18transform_iteratorINSB_9not_fun_tINSA_8identityItEEEESF_NSA_11use_defaultESM_EENS0_5tupleIJSF_S6_EEENSO_IJSG_SG_EEES6_PlJS6_EEE10hipError_tPvRmT3_T4_T5_T6_T7_T9_mT8_P12ihipStream_tbDpT10_ENKUlT_T0_E_clISt17integral_constantIbLb0EES1B_EEDaS16_S17_EUlS16_E_NS1_11comp_targetILNS1_3genE10ELNS1_11target_archE1200ELNS1_3gpuE4ELNS1_3repE0EEENS1_30default_config_static_selectorELNS0_4arch9wavefront6targetE0EEEvT1_.has_recursion, 0
	.set _ZN7rocprim17ROCPRIM_400000_NS6detail17trampoline_kernelINS0_14default_configENS1_25partition_config_selectorILNS1_17partition_subalgoE5EtNS0_10empty_typeEbEEZZNS1_14partition_implILS5_5ELb0ES3_mN6thrust23THRUST_200600_302600_NS6detail15normal_iteratorINSA_10device_ptrItEEEEPS6_NSA_18transform_iteratorINSB_9not_fun_tINSA_8identityItEEEESF_NSA_11use_defaultESM_EENS0_5tupleIJSF_S6_EEENSO_IJSG_SG_EEES6_PlJS6_EEE10hipError_tPvRmT3_T4_T5_T6_T7_T9_mT8_P12ihipStream_tbDpT10_ENKUlT_T0_E_clISt17integral_constantIbLb0EES1B_EEDaS16_S17_EUlS16_E_NS1_11comp_targetILNS1_3genE10ELNS1_11target_archE1200ELNS1_3gpuE4ELNS1_3repE0EEENS1_30default_config_static_selectorELNS0_4arch9wavefront6targetE0EEEvT1_.has_indirect_call, 0
	.section	.AMDGPU.csdata,"",@progbits
; Kernel info:
; codeLenInByte = 10460
; TotalNumSgprs: 24
; NumVgprs: 63
; ScratchSize: 0
; MemoryBound: 0
; FloatMode: 240
; IeeeMode: 1
; LDSByteSize: 6160 bytes/workgroup (compile time only)
; SGPRBlocks: 0
; VGPRBlocks: 7
; NumSGPRsForWavesPerEU: 24
; NumVGPRsForWavesPerEU: 63
; Occupancy: 16
; WaveLimiterHint : 1
; COMPUTE_PGM_RSRC2:SCRATCH_EN: 0
; COMPUTE_PGM_RSRC2:USER_SGPR: 2
; COMPUTE_PGM_RSRC2:TRAP_HANDLER: 0
; COMPUTE_PGM_RSRC2:TGID_X_EN: 1
; COMPUTE_PGM_RSRC2:TGID_Y_EN: 0
; COMPUTE_PGM_RSRC2:TGID_Z_EN: 0
; COMPUTE_PGM_RSRC2:TIDIG_COMP_CNT: 0
	.section	.text._ZN7rocprim17ROCPRIM_400000_NS6detail17trampoline_kernelINS0_14default_configENS1_25partition_config_selectorILNS1_17partition_subalgoE5EtNS0_10empty_typeEbEEZZNS1_14partition_implILS5_5ELb0ES3_mN6thrust23THRUST_200600_302600_NS6detail15normal_iteratorINSA_10device_ptrItEEEEPS6_NSA_18transform_iteratorINSB_9not_fun_tINSA_8identityItEEEESF_NSA_11use_defaultESM_EENS0_5tupleIJSF_S6_EEENSO_IJSG_SG_EEES6_PlJS6_EEE10hipError_tPvRmT3_T4_T5_T6_T7_T9_mT8_P12ihipStream_tbDpT10_ENKUlT_T0_E_clISt17integral_constantIbLb0EES1B_EEDaS16_S17_EUlS16_E_NS1_11comp_targetILNS1_3genE9ELNS1_11target_archE1100ELNS1_3gpuE3ELNS1_3repE0EEENS1_30default_config_static_selectorELNS0_4arch9wavefront6targetE0EEEvT1_,"axG",@progbits,_ZN7rocprim17ROCPRIM_400000_NS6detail17trampoline_kernelINS0_14default_configENS1_25partition_config_selectorILNS1_17partition_subalgoE5EtNS0_10empty_typeEbEEZZNS1_14partition_implILS5_5ELb0ES3_mN6thrust23THRUST_200600_302600_NS6detail15normal_iteratorINSA_10device_ptrItEEEEPS6_NSA_18transform_iteratorINSB_9not_fun_tINSA_8identityItEEEESF_NSA_11use_defaultESM_EENS0_5tupleIJSF_S6_EEENSO_IJSG_SG_EEES6_PlJS6_EEE10hipError_tPvRmT3_T4_T5_T6_T7_T9_mT8_P12ihipStream_tbDpT10_ENKUlT_T0_E_clISt17integral_constantIbLb0EES1B_EEDaS16_S17_EUlS16_E_NS1_11comp_targetILNS1_3genE9ELNS1_11target_archE1100ELNS1_3gpuE3ELNS1_3repE0EEENS1_30default_config_static_selectorELNS0_4arch9wavefront6targetE0EEEvT1_,comdat
	.protected	_ZN7rocprim17ROCPRIM_400000_NS6detail17trampoline_kernelINS0_14default_configENS1_25partition_config_selectorILNS1_17partition_subalgoE5EtNS0_10empty_typeEbEEZZNS1_14partition_implILS5_5ELb0ES3_mN6thrust23THRUST_200600_302600_NS6detail15normal_iteratorINSA_10device_ptrItEEEEPS6_NSA_18transform_iteratorINSB_9not_fun_tINSA_8identityItEEEESF_NSA_11use_defaultESM_EENS0_5tupleIJSF_S6_EEENSO_IJSG_SG_EEES6_PlJS6_EEE10hipError_tPvRmT3_T4_T5_T6_T7_T9_mT8_P12ihipStream_tbDpT10_ENKUlT_T0_E_clISt17integral_constantIbLb0EES1B_EEDaS16_S17_EUlS16_E_NS1_11comp_targetILNS1_3genE9ELNS1_11target_archE1100ELNS1_3gpuE3ELNS1_3repE0EEENS1_30default_config_static_selectorELNS0_4arch9wavefront6targetE0EEEvT1_ ; -- Begin function _ZN7rocprim17ROCPRIM_400000_NS6detail17trampoline_kernelINS0_14default_configENS1_25partition_config_selectorILNS1_17partition_subalgoE5EtNS0_10empty_typeEbEEZZNS1_14partition_implILS5_5ELb0ES3_mN6thrust23THRUST_200600_302600_NS6detail15normal_iteratorINSA_10device_ptrItEEEEPS6_NSA_18transform_iteratorINSB_9not_fun_tINSA_8identityItEEEESF_NSA_11use_defaultESM_EENS0_5tupleIJSF_S6_EEENSO_IJSG_SG_EEES6_PlJS6_EEE10hipError_tPvRmT3_T4_T5_T6_T7_T9_mT8_P12ihipStream_tbDpT10_ENKUlT_T0_E_clISt17integral_constantIbLb0EES1B_EEDaS16_S17_EUlS16_E_NS1_11comp_targetILNS1_3genE9ELNS1_11target_archE1100ELNS1_3gpuE3ELNS1_3repE0EEENS1_30default_config_static_selectorELNS0_4arch9wavefront6targetE0EEEvT1_
	.globl	_ZN7rocprim17ROCPRIM_400000_NS6detail17trampoline_kernelINS0_14default_configENS1_25partition_config_selectorILNS1_17partition_subalgoE5EtNS0_10empty_typeEbEEZZNS1_14partition_implILS5_5ELb0ES3_mN6thrust23THRUST_200600_302600_NS6detail15normal_iteratorINSA_10device_ptrItEEEEPS6_NSA_18transform_iteratorINSB_9not_fun_tINSA_8identityItEEEESF_NSA_11use_defaultESM_EENS0_5tupleIJSF_S6_EEENSO_IJSG_SG_EEES6_PlJS6_EEE10hipError_tPvRmT3_T4_T5_T6_T7_T9_mT8_P12ihipStream_tbDpT10_ENKUlT_T0_E_clISt17integral_constantIbLb0EES1B_EEDaS16_S17_EUlS16_E_NS1_11comp_targetILNS1_3genE9ELNS1_11target_archE1100ELNS1_3gpuE3ELNS1_3repE0EEENS1_30default_config_static_selectorELNS0_4arch9wavefront6targetE0EEEvT1_
	.p2align	8
	.type	_ZN7rocprim17ROCPRIM_400000_NS6detail17trampoline_kernelINS0_14default_configENS1_25partition_config_selectorILNS1_17partition_subalgoE5EtNS0_10empty_typeEbEEZZNS1_14partition_implILS5_5ELb0ES3_mN6thrust23THRUST_200600_302600_NS6detail15normal_iteratorINSA_10device_ptrItEEEEPS6_NSA_18transform_iteratorINSB_9not_fun_tINSA_8identityItEEEESF_NSA_11use_defaultESM_EENS0_5tupleIJSF_S6_EEENSO_IJSG_SG_EEES6_PlJS6_EEE10hipError_tPvRmT3_T4_T5_T6_T7_T9_mT8_P12ihipStream_tbDpT10_ENKUlT_T0_E_clISt17integral_constantIbLb0EES1B_EEDaS16_S17_EUlS16_E_NS1_11comp_targetILNS1_3genE9ELNS1_11target_archE1100ELNS1_3gpuE3ELNS1_3repE0EEENS1_30default_config_static_selectorELNS0_4arch9wavefront6targetE0EEEvT1_,@function
_ZN7rocprim17ROCPRIM_400000_NS6detail17trampoline_kernelINS0_14default_configENS1_25partition_config_selectorILNS1_17partition_subalgoE5EtNS0_10empty_typeEbEEZZNS1_14partition_implILS5_5ELb0ES3_mN6thrust23THRUST_200600_302600_NS6detail15normal_iteratorINSA_10device_ptrItEEEEPS6_NSA_18transform_iteratorINSB_9not_fun_tINSA_8identityItEEEESF_NSA_11use_defaultESM_EENS0_5tupleIJSF_S6_EEENSO_IJSG_SG_EEES6_PlJS6_EEE10hipError_tPvRmT3_T4_T5_T6_T7_T9_mT8_P12ihipStream_tbDpT10_ENKUlT_T0_E_clISt17integral_constantIbLb0EES1B_EEDaS16_S17_EUlS16_E_NS1_11comp_targetILNS1_3genE9ELNS1_11target_archE1100ELNS1_3gpuE3ELNS1_3repE0EEENS1_30default_config_static_selectorELNS0_4arch9wavefront6targetE0EEEvT1_: ; @_ZN7rocprim17ROCPRIM_400000_NS6detail17trampoline_kernelINS0_14default_configENS1_25partition_config_selectorILNS1_17partition_subalgoE5EtNS0_10empty_typeEbEEZZNS1_14partition_implILS5_5ELb0ES3_mN6thrust23THRUST_200600_302600_NS6detail15normal_iteratorINSA_10device_ptrItEEEEPS6_NSA_18transform_iteratorINSB_9not_fun_tINSA_8identityItEEEESF_NSA_11use_defaultESM_EENS0_5tupleIJSF_S6_EEENSO_IJSG_SG_EEES6_PlJS6_EEE10hipError_tPvRmT3_T4_T5_T6_T7_T9_mT8_P12ihipStream_tbDpT10_ENKUlT_T0_E_clISt17integral_constantIbLb0EES1B_EEDaS16_S17_EUlS16_E_NS1_11comp_targetILNS1_3genE9ELNS1_11target_archE1100ELNS1_3gpuE3ELNS1_3repE0EEENS1_30default_config_static_selectorELNS0_4arch9wavefront6targetE0EEEvT1_
; %bb.0:
	.section	.rodata,"a",@progbits
	.p2align	6, 0x0
	.amdhsa_kernel _ZN7rocprim17ROCPRIM_400000_NS6detail17trampoline_kernelINS0_14default_configENS1_25partition_config_selectorILNS1_17partition_subalgoE5EtNS0_10empty_typeEbEEZZNS1_14partition_implILS5_5ELb0ES3_mN6thrust23THRUST_200600_302600_NS6detail15normal_iteratorINSA_10device_ptrItEEEEPS6_NSA_18transform_iteratorINSB_9not_fun_tINSA_8identityItEEEESF_NSA_11use_defaultESM_EENS0_5tupleIJSF_S6_EEENSO_IJSG_SG_EEES6_PlJS6_EEE10hipError_tPvRmT3_T4_T5_T6_T7_T9_mT8_P12ihipStream_tbDpT10_ENKUlT_T0_E_clISt17integral_constantIbLb0EES1B_EEDaS16_S17_EUlS16_E_NS1_11comp_targetILNS1_3genE9ELNS1_11target_archE1100ELNS1_3gpuE3ELNS1_3repE0EEENS1_30default_config_static_selectorELNS0_4arch9wavefront6targetE0EEEvT1_
		.amdhsa_group_segment_fixed_size 0
		.amdhsa_private_segment_fixed_size 0
		.amdhsa_kernarg_size 120
		.amdhsa_user_sgpr_count 2
		.amdhsa_user_sgpr_dispatch_ptr 0
		.amdhsa_user_sgpr_queue_ptr 0
		.amdhsa_user_sgpr_kernarg_segment_ptr 1
		.amdhsa_user_sgpr_dispatch_id 0
		.amdhsa_user_sgpr_private_segment_size 0
		.amdhsa_wavefront_size32 1
		.amdhsa_uses_dynamic_stack 0
		.amdhsa_enable_private_segment 0
		.amdhsa_system_sgpr_workgroup_id_x 1
		.amdhsa_system_sgpr_workgroup_id_y 0
		.amdhsa_system_sgpr_workgroup_id_z 0
		.amdhsa_system_sgpr_workgroup_info 0
		.amdhsa_system_vgpr_workitem_id 0
		.amdhsa_next_free_vgpr 1
		.amdhsa_next_free_sgpr 1
		.amdhsa_reserve_vcc 0
		.amdhsa_float_round_mode_32 0
		.amdhsa_float_round_mode_16_64 0
		.amdhsa_float_denorm_mode_32 3
		.amdhsa_float_denorm_mode_16_64 3
		.amdhsa_fp16_overflow 0
		.amdhsa_workgroup_processor_mode 1
		.amdhsa_memory_ordered 1
		.amdhsa_forward_progress 1
		.amdhsa_inst_pref_size 0
		.amdhsa_round_robin_scheduling 0
		.amdhsa_exception_fp_ieee_invalid_op 0
		.amdhsa_exception_fp_denorm_src 0
		.amdhsa_exception_fp_ieee_div_zero 0
		.amdhsa_exception_fp_ieee_overflow 0
		.amdhsa_exception_fp_ieee_underflow 0
		.amdhsa_exception_fp_ieee_inexact 0
		.amdhsa_exception_int_div_zero 0
	.end_amdhsa_kernel
	.section	.text._ZN7rocprim17ROCPRIM_400000_NS6detail17trampoline_kernelINS0_14default_configENS1_25partition_config_selectorILNS1_17partition_subalgoE5EtNS0_10empty_typeEbEEZZNS1_14partition_implILS5_5ELb0ES3_mN6thrust23THRUST_200600_302600_NS6detail15normal_iteratorINSA_10device_ptrItEEEEPS6_NSA_18transform_iteratorINSB_9not_fun_tINSA_8identityItEEEESF_NSA_11use_defaultESM_EENS0_5tupleIJSF_S6_EEENSO_IJSG_SG_EEES6_PlJS6_EEE10hipError_tPvRmT3_T4_T5_T6_T7_T9_mT8_P12ihipStream_tbDpT10_ENKUlT_T0_E_clISt17integral_constantIbLb0EES1B_EEDaS16_S17_EUlS16_E_NS1_11comp_targetILNS1_3genE9ELNS1_11target_archE1100ELNS1_3gpuE3ELNS1_3repE0EEENS1_30default_config_static_selectorELNS0_4arch9wavefront6targetE0EEEvT1_,"axG",@progbits,_ZN7rocprim17ROCPRIM_400000_NS6detail17trampoline_kernelINS0_14default_configENS1_25partition_config_selectorILNS1_17partition_subalgoE5EtNS0_10empty_typeEbEEZZNS1_14partition_implILS5_5ELb0ES3_mN6thrust23THRUST_200600_302600_NS6detail15normal_iteratorINSA_10device_ptrItEEEEPS6_NSA_18transform_iteratorINSB_9not_fun_tINSA_8identityItEEEESF_NSA_11use_defaultESM_EENS0_5tupleIJSF_S6_EEENSO_IJSG_SG_EEES6_PlJS6_EEE10hipError_tPvRmT3_T4_T5_T6_T7_T9_mT8_P12ihipStream_tbDpT10_ENKUlT_T0_E_clISt17integral_constantIbLb0EES1B_EEDaS16_S17_EUlS16_E_NS1_11comp_targetILNS1_3genE9ELNS1_11target_archE1100ELNS1_3gpuE3ELNS1_3repE0EEENS1_30default_config_static_selectorELNS0_4arch9wavefront6targetE0EEEvT1_,comdat
.Lfunc_end923:
	.size	_ZN7rocprim17ROCPRIM_400000_NS6detail17trampoline_kernelINS0_14default_configENS1_25partition_config_selectorILNS1_17partition_subalgoE5EtNS0_10empty_typeEbEEZZNS1_14partition_implILS5_5ELb0ES3_mN6thrust23THRUST_200600_302600_NS6detail15normal_iteratorINSA_10device_ptrItEEEEPS6_NSA_18transform_iteratorINSB_9not_fun_tINSA_8identityItEEEESF_NSA_11use_defaultESM_EENS0_5tupleIJSF_S6_EEENSO_IJSG_SG_EEES6_PlJS6_EEE10hipError_tPvRmT3_T4_T5_T6_T7_T9_mT8_P12ihipStream_tbDpT10_ENKUlT_T0_E_clISt17integral_constantIbLb0EES1B_EEDaS16_S17_EUlS16_E_NS1_11comp_targetILNS1_3genE9ELNS1_11target_archE1100ELNS1_3gpuE3ELNS1_3repE0EEENS1_30default_config_static_selectorELNS0_4arch9wavefront6targetE0EEEvT1_, .Lfunc_end923-_ZN7rocprim17ROCPRIM_400000_NS6detail17trampoline_kernelINS0_14default_configENS1_25partition_config_selectorILNS1_17partition_subalgoE5EtNS0_10empty_typeEbEEZZNS1_14partition_implILS5_5ELb0ES3_mN6thrust23THRUST_200600_302600_NS6detail15normal_iteratorINSA_10device_ptrItEEEEPS6_NSA_18transform_iteratorINSB_9not_fun_tINSA_8identityItEEEESF_NSA_11use_defaultESM_EENS0_5tupleIJSF_S6_EEENSO_IJSG_SG_EEES6_PlJS6_EEE10hipError_tPvRmT3_T4_T5_T6_T7_T9_mT8_P12ihipStream_tbDpT10_ENKUlT_T0_E_clISt17integral_constantIbLb0EES1B_EEDaS16_S17_EUlS16_E_NS1_11comp_targetILNS1_3genE9ELNS1_11target_archE1100ELNS1_3gpuE3ELNS1_3repE0EEENS1_30default_config_static_selectorELNS0_4arch9wavefront6targetE0EEEvT1_
                                        ; -- End function
	.set _ZN7rocprim17ROCPRIM_400000_NS6detail17trampoline_kernelINS0_14default_configENS1_25partition_config_selectorILNS1_17partition_subalgoE5EtNS0_10empty_typeEbEEZZNS1_14partition_implILS5_5ELb0ES3_mN6thrust23THRUST_200600_302600_NS6detail15normal_iteratorINSA_10device_ptrItEEEEPS6_NSA_18transform_iteratorINSB_9not_fun_tINSA_8identityItEEEESF_NSA_11use_defaultESM_EENS0_5tupleIJSF_S6_EEENSO_IJSG_SG_EEES6_PlJS6_EEE10hipError_tPvRmT3_T4_T5_T6_T7_T9_mT8_P12ihipStream_tbDpT10_ENKUlT_T0_E_clISt17integral_constantIbLb0EES1B_EEDaS16_S17_EUlS16_E_NS1_11comp_targetILNS1_3genE9ELNS1_11target_archE1100ELNS1_3gpuE3ELNS1_3repE0EEENS1_30default_config_static_selectorELNS0_4arch9wavefront6targetE0EEEvT1_.num_vgpr, 0
	.set _ZN7rocprim17ROCPRIM_400000_NS6detail17trampoline_kernelINS0_14default_configENS1_25partition_config_selectorILNS1_17partition_subalgoE5EtNS0_10empty_typeEbEEZZNS1_14partition_implILS5_5ELb0ES3_mN6thrust23THRUST_200600_302600_NS6detail15normal_iteratorINSA_10device_ptrItEEEEPS6_NSA_18transform_iteratorINSB_9not_fun_tINSA_8identityItEEEESF_NSA_11use_defaultESM_EENS0_5tupleIJSF_S6_EEENSO_IJSG_SG_EEES6_PlJS6_EEE10hipError_tPvRmT3_T4_T5_T6_T7_T9_mT8_P12ihipStream_tbDpT10_ENKUlT_T0_E_clISt17integral_constantIbLb0EES1B_EEDaS16_S17_EUlS16_E_NS1_11comp_targetILNS1_3genE9ELNS1_11target_archE1100ELNS1_3gpuE3ELNS1_3repE0EEENS1_30default_config_static_selectorELNS0_4arch9wavefront6targetE0EEEvT1_.num_agpr, 0
	.set _ZN7rocprim17ROCPRIM_400000_NS6detail17trampoline_kernelINS0_14default_configENS1_25partition_config_selectorILNS1_17partition_subalgoE5EtNS0_10empty_typeEbEEZZNS1_14partition_implILS5_5ELb0ES3_mN6thrust23THRUST_200600_302600_NS6detail15normal_iteratorINSA_10device_ptrItEEEEPS6_NSA_18transform_iteratorINSB_9not_fun_tINSA_8identityItEEEESF_NSA_11use_defaultESM_EENS0_5tupleIJSF_S6_EEENSO_IJSG_SG_EEES6_PlJS6_EEE10hipError_tPvRmT3_T4_T5_T6_T7_T9_mT8_P12ihipStream_tbDpT10_ENKUlT_T0_E_clISt17integral_constantIbLb0EES1B_EEDaS16_S17_EUlS16_E_NS1_11comp_targetILNS1_3genE9ELNS1_11target_archE1100ELNS1_3gpuE3ELNS1_3repE0EEENS1_30default_config_static_selectorELNS0_4arch9wavefront6targetE0EEEvT1_.numbered_sgpr, 0
	.set _ZN7rocprim17ROCPRIM_400000_NS6detail17trampoline_kernelINS0_14default_configENS1_25partition_config_selectorILNS1_17partition_subalgoE5EtNS0_10empty_typeEbEEZZNS1_14partition_implILS5_5ELb0ES3_mN6thrust23THRUST_200600_302600_NS6detail15normal_iteratorINSA_10device_ptrItEEEEPS6_NSA_18transform_iteratorINSB_9not_fun_tINSA_8identityItEEEESF_NSA_11use_defaultESM_EENS0_5tupleIJSF_S6_EEENSO_IJSG_SG_EEES6_PlJS6_EEE10hipError_tPvRmT3_T4_T5_T6_T7_T9_mT8_P12ihipStream_tbDpT10_ENKUlT_T0_E_clISt17integral_constantIbLb0EES1B_EEDaS16_S17_EUlS16_E_NS1_11comp_targetILNS1_3genE9ELNS1_11target_archE1100ELNS1_3gpuE3ELNS1_3repE0EEENS1_30default_config_static_selectorELNS0_4arch9wavefront6targetE0EEEvT1_.num_named_barrier, 0
	.set _ZN7rocprim17ROCPRIM_400000_NS6detail17trampoline_kernelINS0_14default_configENS1_25partition_config_selectorILNS1_17partition_subalgoE5EtNS0_10empty_typeEbEEZZNS1_14partition_implILS5_5ELb0ES3_mN6thrust23THRUST_200600_302600_NS6detail15normal_iteratorINSA_10device_ptrItEEEEPS6_NSA_18transform_iteratorINSB_9not_fun_tINSA_8identityItEEEESF_NSA_11use_defaultESM_EENS0_5tupleIJSF_S6_EEENSO_IJSG_SG_EEES6_PlJS6_EEE10hipError_tPvRmT3_T4_T5_T6_T7_T9_mT8_P12ihipStream_tbDpT10_ENKUlT_T0_E_clISt17integral_constantIbLb0EES1B_EEDaS16_S17_EUlS16_E_NS1_11comp_targetILNS1_3genE9ELNS1_11target_archE1100ELNS1_3gpuE3ELNS1_3repE0EEENS1_30default_config_static_selectorELNS0_4arch9wavefront6targetE0EEEvT1_.private_seg_size, 0
	.set _ZN7rocprim17ROCPRIM_400000_NS6detail17trampoline_kernelINS0_14default_configENS1_25partition_config_selectorILNS1_17partition_subalgoE5EtNS0_10empty_typeEbEEZZNS1_14partition_implILS5_5ELb0ES3_mN6thrust23THRUST_200600_302600_NS6detail15normal_iteratorINSA_10device_ptrItEEEEPS6_NSA_18transform_iteratorINSB_9not_fun_tINSA_8identityItEEEESF_NSA_11use_defaultESM_EENS0_5tupleIJSF_S6_EEENSO_IJSG_SG_EEES6_PlJS6_EEE10hipError_tPvRmT3_T4_T5_T6_T7_T9_mT8_P12ihipStream_tbDpT10_ENKUlT_T0_E_clISt17integral_constantIbLb0EES1B_EEDaS16_S17_EUlS16_E_NS1_11comp_targetILNS1_3genE9ELNS1_11target_archE1100ELNS1_3gpuE3ELNS1_3repE0EEENS1_30default_config_static_selectorELNS0_4arch9wavefront6targetE0EEEvT1_.uses_vcc, 0
	.set _ZN7rocprim17ROCPRIM_400000_NS6detail17trampoline_kernelINS0_14default_configENS1_25partition_config_selectorILNS1_17partition_subalgoE5EtNS0_10empty_typeEbEEZZNS1_14partition_implILS5_5ELb0ES3_mN6thrust23THRUST_200600_302600_NS6detail15normal_iteratorINSA_10device_ptrItEEEEPS6_NSA_18transform_iteratorINSB_9not_fun_tINSA_8identityItEEEESF_NSA_11use_defaultESM_EENS0_5tupleIJSF_S6_EEENSO_IJSG_SG_EEES6_PlJS6_EEE10hipError_tPvRmT3_T4_T5_T6_T7_T9_mT8_P12ihipStream_tbDpT10_ENKUlT_T0_E_clISt17integral_constantIbLb0EES1B_EEDaS16_S17_EUlS16_E_NS1_11comp_targetILNS1_3genE9ELNS1_11target_archE1100ELNS1_3gpuE3ELNS1_3repE0EEENS1_30default_config_static_selectorELNS0_4arch9wavefront6targetE0EEEvT1_.uses_flat_scratch, 0
	.set _ZN7rocprim17ROCPRIM_400000_NS6detail17trampoline_kernelINS0_14default_configENS1_25partition_config_selectorILNS1_17partition_subalgoE5EtNS0_10empty_typeEbEEZZNS1_14partition_implILS5_5ELb0ES3_mN6thrust23THRUST_200600_302600_NS6detail15normal_iteratorINSA_10device_ptrItEEEEPS6_NSA_18transform_iteratorINSB_9not_fun_tINSA_8identityItEEEESF_NSA_11use_defaultESM_EENS0_5tupleIJSF_S6_EEENSO_IJSG_SG_EEES6_PlJS6_EEE10hipError_tPvRmT3_T4_T5_T6_T7_T9_mT8_P12ihipStream_tbDpT10_ENKUlT_T0_E_clISt17integral_constantIbLb0EES1B_EEDaS16_S17_EUlS16_E_NS1_11comp_targetILNS1_3genE9ELNS1_11target_archE1100ELNS1_3gpuE3ELNS1_3repE0EEENS1_30default_config_static_selectorELNS0_4arch9wavefront6targetE0EEEvT1_.has_dyn_sized_stack, 0
	.set _ZN7rocprim17ROCPRIM_400000_NS6detail17trampoline_kernelINS0_14default_configENS1_25partition_config_selectorILNS1_17partition_subalgoE5EtNS0_10empty_typeEbEEZZNS1_14partition_implILS5_5ELb0ES3_mN6thrust23THRUST_200600_302600_NS6detail15normal_iteratorINSA_10device_ptrItEEEEPS6_NSA_18transform_iteratorINSB_9not_fun_tINSA_8identityItEEEESF_NSA_11use_defaultESM_EENS0_5tupleIJSF_S6_EEENSO_IJSG_SG_EEES6_PlJS6_EEE10hipError_tPvRmT3_T4_T5_T6_T7_T9_mT8_P12ihipStream_tbDpT10_ENKUlT_T0_E_clISt17integral_constantIbLb0EES1B_EEDaS16_S17_EUlS16_E_NS1_11comp_targetILNS1_3genE9ELNS1_11target_archE1100ELNS1_3gpuE3ELNS1_3repE0EEENS1_30default_config_static_selectorELNS0_4arch9wavefront6targetE0EEEvT1_.has_recursion, 0
	.set _ZN7rocprim17ROCPRIM_400000_NS6detail17trampoline_kernelINS0_14default_configENS1_25partition_config_selectorILNS1_17partition_subalgoE5EtNS0_10empty_typeEbEEZZNS1_14partition_implILS5_5ELb0ES3_mN6thrust23THRUST_200600_302600_NS6detail15normal_iteratorINSA_10device_ptrItEEEEPS6_NSA_18transform_iteratorINSB_9not_fun_tINSA_8identityItEEEESF_NSA_11use_defaultESM_EENS0_5tupleIJSF_S6_EEENSO_IJSG_SG_EEES6_PlJS6_EEE10hipError_tPvRmT3_T4_T5_T6_T7_T9_mT8_P12ihipStream_tbDpT10_ENKUlT_T0_E_clISt17integral_constantIbLb0EES1B_EEDaS16_S17_EUlS16_E_NS1_11comp_targetILNS1_3genE9ELNS1_11target_archE1100ELNS1_3gpuE3ELNS1_3repE0EEENS1_30default_config_static_selectorELNS0_4arch9wavefront6targetE0EEEvT1_.has_indirect_call, 0
	.section	.AMDGPU.csdata,"",@progbits
; Kernel info:
; codeLenInByte = 0
; TotalNumSgprs: 0
; NumVgprs: 0
; ScratchSize: 0
; MemoryBound: 0
; FloatMode: 240
; IeeeMode: 1
; LDSByteSize: 0 bytes/workgroup (compile time only)
; SGPRBlocks: 0
; VGPRBlocks: 0
; NumSGPRsForWavesPerEU: 1
; NumVGPRsForWavesPerEU: 1
; Occupancy: 16
; WaveLimiterHint : 0
; COMPUTE_PGM_RSRC2:SCRATCH_EN: 0
; COMPUTE_PGM_RSRC2:USER_SGPR: 2
; COMPUTE_PGM_RSRC2:TRAP_HANDLER: 0
; COMPUTE_PGM_RSRC2:TGID_X_EN: 1
; COMPUTE_PGM_RSRC2:TGID_Y_EN: 0
; COMPUTE_PGM_RSRC2:TGID_Z_EN: 0
; COMPUTE_PGM_RSRC2:TIDIG_COMP_CNT: 0
	.section	.text._ZN7rocprim17ROCPRIM_400000_NS6detail17trampoline_kernelINS0_14default_configENS1_25partition_config_selectorILNS1_17partition_subalgoE5EtNS0_10empty_typeEbEEZZNS1_14partition_implILS5_5ELb0ES3_mN6thrust23THRUST_200600_302600_NS6detail15normal_iteratorINSA_10device_ptrItEEEEPS6_NSA_18transform_iteratorINSB_9not_fun_tINSA_8identityItEEEESF_NSA_11use_defaultESM_EENS0_5tupleIJSF_S6_EEENSO_IJSG_SG_EEES6_PlJS6_EEE10hipError_tPvRmT3_T4_T5_T6_T7_T9_mT8_P12ihipStream_tbDpT10_ENKUlT_T0_E_clISt17integral_constantIbLb0EES1B_EEDaS16_S17_EUlS16_E_NS1_11comp_targetILNS1_3genE8ELNS1_11target_archE1030ELNS1_3gpuE2ELNS1_3repE0EEENS1_30default_config_static_selectorELNS0_4arch9wavefront6targetE0EEEvT1_,"axG",@progbits,_ZN7rocprim17ROCPRIM_400000_NS6detail17trampoline_kernelINS0_14default_configENS1_25partition_config_selectorILNS1_17partition_subalgoE5EtNS0_10empty_typeEbEEZZNS1_14partition_implILS5_5ELb0ES3_mN6thrust23THRUST_200600_302600_NS6detail15normal_iteratorINSA_10device_ptrItEEEEPS6_NSA_18transform_iteratorINSB_9not_fun_tINSA_8identityItEEEESF_NSA_11use_defaultESM_EENS0_5tupleIJSF_S6_EEENSO_IJSG_SG_EEES6_PlJS6_EEE10hipError_tPvRmT3_T4_T5_T6_T7_T9_mT8_P12ihipStream_tbDpT10_ENKUlT_T0_E_clISt17integral_constantIbLb0EES1B_EEDaS16_S17_EUlS16_E_NS1_11comp_targetILNS1_3genE8ELNS1_11target_archE1030ELNS1_3gpuE2ELNS1_3repE0EEENS1_30default_config_static_selectorELNS0_4arch9wavefront6targetE0EEEvT1_,comdat
	.protected	_ZN7rocprim17ROCPRIM_400000_NS6detail17trampoline_kernelINS0_14default_configENS1_25partition_config_selectorILNS1_17partition_subalgoE5EtNS0_10empty_typeEbEEZZNS1_14partition_implILS5_5ELb0ES3_mN6thrust23THRUST_200600_302600_NS6detail15normal_iteratorINSA_10device_ptrItEEEEPS6_NSA_18transform_iteratorINSB_9not_fun_tINSA_8identityItEEEESF_NSA_11use_defaultESM_EENS0_5tupleIJSF_S6_EEENSO_IJSG_SG_EEES6_PlJS6_EEE10hipError_tPvRmT3_T4_T5_T6_T7_T9_mT8_P12ihipStream_tbDpT10_ENKUlT_T0_E_clISt17integral_constantIbLb0EES1B_EEDaS16_S17_EUlS16_E_NS1_11comp_targetILNS1_3genE8ELNS1_11target_archE1030ELNS1_3gpuE2ELNS1_3repE0EEENS1_30default_config_static_selectorELNS0_4arch9wavefront6targetE0EEEvT1_ ; -- Begin function _ZN7rocprim17ROCPRIM_400000_NS6detail17trampoline_kernelINS0_14default_configENS1_25partition_config_selectorILNS1_17partition_subalgoE5EtNS0_10empty_typeEbEEZZNS1_14partition_implILS5_5ELb0ES3_mN6thrust23THRUST_200600_302600_NS6detail15normal_iteratorINSA_10device_ptrItEEEEPS6_NSA_18transform_iteratorINSB_9not_fun_tINSA_8identityItEEEESF_NSA_11use_defaultESM_EENS0_5tupleIJSF_S6_EEENSO_IJSG_SG_EEES6_PlJS6_EEE10hipError_tPvRmT3_T4_T5_T6_T7_T9_mT8_P12ihipStream_tbDpT10_ENKUlT_T0_E_clISt17integral_constantIbLb0EES1B_EEDaS16_S17_EUlS16_E_NS1_11comp_targetILNS1_3genE8ELNS1_11target_archE1030ELNS1_3gpuE2ELNS1_3repE0EEENS1_30default_config_static_selectorELNS0_4arch9wavefront6targetE0EEEvT1_
	.globl	_ZN7rocprim17ROCPRIM_400000_NS6detail17trampoline_kernelINS0_14default_configENS1_25partition_config_selectorILNS1_17partition_subalgoE5EtNS0_10empty_typeEbEEZZNS1_14partition_implILS5_5ELb0ES3_mN6thrust23THRUST_200600_302600_NS6detail15normal_iteratorINSA_10device_ptrItEEEEPS6_NSA_18transform_iteratorINSB_9not_fun_tINSA_8identityItEEEESF_NSA_11use_defaultESM_EENS0_5tupleIJSF_S6_EEENSO_IJSG_SG_EEES6_PlJS6_EEE10hipError_tPvRmT3_T4_T5_T6_T7_T9_mT8_P12ihipStream_tbDpT10_ENKUlT_T0_E_clISt17integral_constantIbLb0EES1B_EEDaS16_S17_EUlS16_E_NS1_11comp_targetILNS1_3genE8ELNS1_11target_archE1030ELNS1_3gpuE2ELNS1_3repE0EEENS1_30default_config_static_selectorELNS0_4arch9wavefront6targetE0EEEvT1_
	.p2align	8
	.type	_ZN7rocprim17ROCPRIM_400000_NS6detail17trampoline_kernelINS0_14default_configENS1_25partition_config_selectorILNS1_17partition_subalgoE5EtNS0_10empty_typeEbEEZZNS1_14partition_implILS5_5ELb0ES3_mN6thrust23THRUST_200600_302600_NS6detail15normal_iteratorINSA_10device_ptrItEEEEPS6_NSA_18transform_iteratorINSB_9not_fun_tINSA_8identityItEEEESF_NSA_11use_defaultESM_EENS0_5tupleIJSF_S6_EEENSO_IJSG_SG_EEES6_PlJS6_EEE10hipError_tPvRmT3_T4_T5_T6_T7_T9_mT8_P12ihipStream_tbDpT10_ENKUlT_T0_E_clISt17integral_constantIbLb0EES1B_EEDaS16_S17_EUlS16_E_NS1_11comp_targetILNS1_3genE8ELNS1_11target_archE1030ELNS1_3gpuE2ELNS1_3repE0EEENS1_30default_config_static_selectorELNS0_4arch9wavefront6targetE0EEEvT1_,@function
_ZN7rocprim17ROCPRIM_400000_NS6detail17trampoline_kernelINS0_14default_configENS1_25partition_config_selectorILNS1_17partition_subalgoE5EtNS0_10empty_typeEbEEZZNS1_14partition_implILS5_5ELb0ES3_mN6thrust23THRUST_200600_302600_NS6detail15normal_iteratorINSA_10device_ptrItEEEEPS6_NSA_18transform_iteratorINSB_9not_fun_tINSA_8identityItEEEESF_NSA_11use_defaultESM_EENS0_5tupleIJSF_S6_EEENSO_IJSG_SG_EEES6_PlJS6_EEE10hipError_tPvRmT3_T4_T5_T6_T7_T9_mT8_P12ihipStream_tbDpT10_ENKUlT_T0_E_clISt17integral_constantIbLb0EES1B_EEDaS16_S17_EUlS16_E_NS1_11comp_targetILNS1_3genE8ELNS1_11target_archE1030ELNS1_3gpuE2ELNS1_3repE0EEENS1_30default_config_static_selectorELNS0_4arch9wavefront6targetE0EEEvT1_: ; @_ZN7rocprim17ROCPRIM_400000_NS6detail17trampoline_kernelINS0_14default_configENS1_25partition_config_selectorILNS1_17partition_subalgoE5EtNS0_10empty_typeEbEEZZNS1_14partition_implILS5_5ELb0ES3_mN6thrust23THRUST_200600_302600_NS6detail15normal_iteratorINSA_10device_ptrItEEEEPS6_NSA_18transform_iteratorINSB_9not_fun_tINSA_8identityItEEEESF_NSA_11use_defaultESM_EENS0_5tupleIJSF_S6_EEENSO_IJSG_SG_EEES6_PlJS6_EEE10hipError_tPvRmT3_T4_T5_T6_T7_T9_mT8_P12ihipStream_tbDpT10_ENKUlT_T0_E_clISt17integral_constantIbLb0EES1B_EEDaS16_S17_EUlS16_E_NS1_11comp_targetILNS1_3genE8ELNS1_11target_archE1030ELNS1_3gpuE2ELNS1_3repE0EEENS1_30default_config_static_selectorELNS0_4arch9wavefront6targetE0EEEvT1_
; %bb.0:
	.section	.rodata,"a",@progbits
	.p2align	6, 0x0
	.amdhsa_kernel _ZN7rocprim17ROCPRIM_400000_NS6detail17trampoline_kernelINS0_14default_configENS1_25partition_config_selectorILNS1_17partition_subalgoE5EtNS0_10empty_typeEbEEZZNS1_14partition_implILS5_5ELb0ES3_mN6thrust23THRUST_200600_302600_NS6detail15normal_iteratorINSA_10device_ptrItEEEEPS6_NSA_18transform_iteratorINSB_9not_fun_tINSA_8identityItEEEESF_NSA_11use_defaultESM_EENS0_5tupleIJSF_S6_EEENSO_IJSG_SG_EEES6_PlJS6_EEE10hipError_tPvRmT3_T4_T5_T6_T7_T9_mT8_P12ihipStream_tbDpT10_ENKUlT_T0_E_clISt17integral_constantIbLb0EES1B_EEDaS16_S17_EUlS16_E_NS1_11comp_targetILNS1_3genE8ELNS1_11target_archE1030ELNS1_3gpuE2ELNS1_3repE0EEENS1_30default_config_static_selectorELNS0_4arch9wavefront6targetE0EEEvT1_
		.amdhsa_group_segment_fixed_size 0
		.amdhsa_private_segment_fixed_size 0
		.amdhsa_kernarg_size 120
		.amdhsa_user_sgpr_count 2
		.amdhsa_user_sgpr_dispatch_ptr 0
		.amdhsa_user_sgpr_queue_ptr 0
		.amdhsa_user_sgpr_kernarg_segment_ptr 1
		.amdhsa_user_sgpr_dispatch_id 0
		.amdhsa_user_sgpr_private_segment_size 0
		.amdhsa_wavefront_size32 1
		.amdhsa_uses_dynamic_stack 0
		.amdhsa_enable_private_segment 0
		.amdhsa_system_sgpr_workgroup_id_x 1
		.amdhsa_system_sgpr_workgroup_id_y 0
		.amdhsa_system_sgpr_workgroup_id_z 0
		.amdhsa_system_sgpr_workgroup_info 0
		.amdhsa_system_vgpr_workitem_id 0
		.amdhsa_next_free_vgpr 1
		.amdhsa_next_free_sgpr 1
		.amdhsa_reserve_vcc 0
		.amdhsa_float_round_mode_32 0
		.amdhsa_float_round_mode_16_64 0
		.amdhsa_float_denorm_mode_32 3
		.amdhsa_float_denorm_mode_16_64 3
		.amdhsa_fp16_overflow 0
		.amdhsa_workgroup_processor_mode 1
		.amdhsa_memory_ordered 1
		.amdhsa_forward_progress 1
		.amdhsa_inst_pref_size 0
		.amdhsa_round_robin_scheduling 0
		.amdhsa_exception_fp_ieee_invalid_op 0
		.amdhsa_exception_fp_denorm_src 0
		.amdhsa_exception_fp_ieee_div_zero 0
		.amdhsa_exception_fp_ieee_overflow 0
		.amdhsa_exception_fp_ieee_underflow 0
		.amdhsa_exception_fp_ieee_inexact 0
		.amdhsa_exception_int_div_zero 0
	.end_amdhsa_kernel
	.section	.text._ZN7rocprim17ROCPRIM_400000_NS6detail17trampoline_kernelINS0_14default_configENS1_25partition_config_selectorILNS1_17partition_subalgoE5EtNS0_10empty_typeEbEEZZNS1_14partition_implILS5_5ELb0ES3_mN6thrust23THRUST_200600_302600_NS6detail15normal_iteratorINSA_10device_ptrItEEEEPS6_NSA_18transform_iteratorINSB_9not_fun_tINSA_8identityItEEEESF_NSA_11use_defaultESM_EENS0_5tupleIJSF_S6_EEENSO_IJSG_SG_EEES6_PlJS6_EEE10hipError_tPvRmT3_T4_T5_T6_T7_T9_mT8_P12ihipStream_tbDpT10_ENKUlT_T0_E_clISt17integral_constantIbLb0EES1B_EEDaS16_S17_EUlS16_E_NS1_11comp_targetILNS1_3genE8ELNS1_11target_archE1030ELNS1_3gpuE2ELNS1_3repE0EEENS1_30default_config_static_selectorELNS0_4arch9wavefront6targetE0EEEvT1_,"axG",@progbits,_ZN7rocprim17ROCPRIM_400000_NS6detail17trampoline_kernelINS0_14default_configENS1_25partition_config_selectorILNS1_17partition_subalgoE5EtNS0_10empty_typeEbEEZZNS1_14partition_implILS5_5ELb0ES3_mN6thrust23THRUST_200600_302600_NS6detail15normal_iteratorINSA_10device_ptrItEEEEPS6_NSA_18transform_iteratorINSB_9not_fun_tINSA_8identityItEEEESF_NSA_11use_defaultESM_EENS0_5tupleIJSF_S6_EEENSO_IJSG_SG_EEES6_PlJS6_EEE10hipError_tPvRmT3_T4_T5_T6_T7_T9_mT8_P12ihipStream_tbDpT10_ENKUlT_T0_E_clISt17integral_constantIbLb0EES1B_EEDaS16_S17_EUlS16_E_NS1_11comp_targetILNS1_3genE8ELNS1_11target_archE1030ELNS1_3gpuE2ELNS1_3repE0EEENS1_30default_config_static_selectorELNS0_4arch9wavefront6targetE0EEEvT1_,comdat
.Lfunc_end924:
	.size	_ZN7rocprim17ROCPRIM_400000_NS6detail17trampoline_kernelINS0_14default_configENS1_25partition_config_selectorILNS1_17partition_subalgoE5EtNS0_10empty_typeEbEEZZNS1_14partition_implILS5_5ELb0ES3_mN6thrust23THRUST_200600_302600_NS6detail15normal_iteratorINSA_10device_ptrItEEEEPS6_NSA_18transform_iteratorINSB_9not_fun_tINSA_8identityItEEEESF_NSA_11use_defaultESM_EENS0_5tupleIJSF_S6_EEENSO_IJSG_SG_EEES6_PlJS6_EEE10hipError_tPvRmT3_T4_T5_T6_T7_T9_mT8_P12ihipStream_tbDpT10_ENKUlT_T0_E_clISt17integral_constantIbLb0EES1B_EEDaS16_S17_EUlS16_E_NS1_11comp_targetILNS1_3genE8ELNS1_11target_archE1030ELNS1_3gpuE2ELNS1_3repE0EEENS1_30default_config_static_selectorELNS0_4arch9wavefront6targetE0EEEvT1_, .Lfunc_end924-_ZN7rocprim17ROCPRIM_400000_NS6detail17trampoline_kernelINS0_14default_configENS1_25partition_config_selectorILNS1_17partition_subalgoE5EtNS0_10empty_typeEbEEZZNS1_14partition_implILS5_5ELb0ES3_mN6thrust23THRUST_200600_302600_NS6detail15normal_iteratorINSA_10device_ptrItEEEEPS6_NSA_18transform_iteratorINSB_9not_fun_tINSA_8identityItEEEESF_NSA_11use_defaultESM_EENS0_5tupleIJSF_S6_EEENSO_IJSG_SG_EEES6_PlJS6_EEE10hipError_tPvRmT3_T4_T5_T6_T7_T9_mT8_P12ihipStream_tbDpT10_ENKUlT_T0_E_clISt17integral_constantIbLb0EES1B_EEDaS16_S17_EUlS16_E_NS1_11comp_targetILNS1_3genE8ELNS1_11target_archE1030ELNS1_3gpuE2ELNS1_3repE0EEENS1_30default_config_static_selectorELNS0_4arch9wavefront6targetE0EEEvT1_
                                        ; -- End function
	.set _ZN7rocprim17ROCPRIM_400000_NS6detail17trampoline_kernelINS0_14default_configENS1_25partition_config_selectorILNS1_17partition_subalgoE5EtNS0_10empty_typeEbEEZZNS1_14partition_implILS5_5ELb0ES3_mN6thrust23THRUST_200600_302600_NS6detail15normal_iteratorINSA_10device_ptrItEEEEPS6_NSA_18transform_iteratorINSB_9not_fun_tINSA_8identityItEEEESF_NSA_11use_defaultESM_EENS0_5tupleIJSF_S6_EEENSO_IJSG_SG_EEES6_PlJS6_EEE10hipError_tPvRmT3_T4_T5_T6_T7_T9_mT8_P12ihipStream_tbDpT10_ENKUlT_T0_E_clISt17integral_constantIbLb0EES1B_EEDaS16_S17_EUlS16_E_NS1_11comp_targetILNS1_3genE8ELNS1_11target_archE1030ELNS1_3gpuE2ELNS1_3repE0EEENS1_30default_config_static_selectorELNS0_4arch9wavefront6targetE0EEEvT1_.num_vgpr, 0
	.set _ZN7rocprim17ROCPRIM_400000_NS6detail17trampoline_kernelINS0_14default_configENS1_25partition_config_selectorILNS1_17partition_subalgoE5EtNS0_10empty_typeEbEEZZNS1_14partition_implILS5_5ELb0ES3_mN6thrust23THRUST_200600_302600_NS6detail15normal_iteratorINSA_10device_ptrItEEEEPS6_NSA_18transform_iteratorINSB_9not_fun_tINSA_8identityItEEEESF_NSA_11use_defaultESM_EENS0_5tupleIJSF_S6_EEENSO_IJSG_SG_EEES6_PlJS6_EEE10hipError_tPvRmT3_T4_T5_T6_T7_T9_mT8_P12ihipStream_tbDpT10_ENKUlT_T0_E_clISt17integral_constantIbLb0EES1B_EEDaS16_S17_EUlS16_E_NS1_11comp_targetILNS1_3genE8ELNS1_11target_archE1030ELNS1_3gpuE2ELNS1_3repE0EEENS1_30default_config_static_selectorELNS0_4arch9wavefront6targetE0EEEvT1_.num_agpr, 0
	.set _ZN7rocprim17ROCPRIM_400000_NS6detail17trampoline_kernelINS0_14default_configENS1_25partition_config_selectorILNS1_17partition_subalgoE5EtNS0_10empty_typeEbEEZZNS1_14partition_implILS5_5ELb0ES3_mN6thrust23THRUST_200600_302600_NS6detail15normal_iteratorINSA_10device_ptrItEEEEPS6_NSA_18transform_iteratorINSB_9not_fun_tINSA_8identityItEEEESF_NSA_11use_defaultESM_EENS0_5tupleIJSF_S6_EEENSO_IJSG_SG_EEES6_PlJS6_EEE10hipError_tPvRmT3_T4_T5_T6_T7_T9_mT8_P12ihipStream_tbDpT10_ENKUlT_T0_E_clISt17integral_constantIbLb0EES1B_EEDaS16_S17_EUlS16_E_NS1_11comp_targetILNS1_3genE8ELNS1_11target_archE1030ELNS1_3gpuE2ELNS1_3repE0EEENS1_30default_config_static_selectorELNS0_4arch9wavefront6targetE0EEEvT1_.numbered_sgpr, 0
	.set _ZN7rocprim17ROCPRIM_400000_NS6detail17trampoline_kernelINS0_14default_configENS1_25partition_config_selectorILNS1_17partition_subalgoE5EtNS0_10empty_typeEbEEZZNS1_14partition_implILS5_5ELb0ES3_mN6thrust23THRUST_200600_302600_NS6detail15normal_iteratorINSA_10device_ptrItEEEEPS6_NSA_18transform_iteratorINSB_9not_fun_tINSA_8identityItEEEESF_NSA_11use_defaultESM_EENS0_5tupleIJSF_S6_EEENSO_IJSG_SG_EEES6_PlJS6_EEE10hipError_tPvRmT3_T4_T5_T6_T7_T9_mT8_P12ihipStream_tbDpT10_ENKUlT_T0_E_clISt17integral_constantIbLb0EES1B_EEDaS16_S17_EUlS16_E_NS1_11comp_targetILNS1_3genE8ELNS1_11target_archE1030ELNS1_3gpuE2ELNS1_3repE0EEENS1_30default_config_static_selectorELNS0_4arch9wavefront6targetE0EEEvT1_.num_named_barrier, 0
	.set _ZN7rocprim17ROCPRIM_400000_NS6detail17trampoline_kernelINS0_14default_configENS1_25partition_config_selectorILNS1_17partition_subalgoE5EtNS0_10empty_typeEbEEZZNS1_14partition_implILS5_5ELb0ES3_mN6thrust23THRUST_200600_302600_NS6detail15normal_iteratorINSA_10device_ptrItEEEEPS6_NSA_18transform_iteratorINSB_9not_fun_tINSA_8identityItEEEESF_NSA_11use_defaultESM_EENS0_5tupleIJSF_S6_EEENSO_IJSG_SG_EEES6_PlJS6_EEE10hipError_tPvRmT3_T4_T5_T6_T7_T9_mT8_P12ihipStream_tbDpT10_ENKUlT_T0_E_clISt17integral_constantIbLb0EES1B_EEDaS16_S17_EUlS16_E_NS1_11comp_targetILNS1_3genE8ELNS1_11target_archE1030ELNS1_3gpuE2ELNS1_3repE0EEENS1_30default_config_static_selectorELNS0_4arch9wavefront6targetE0EEEvT1_.private_seg_size, 0
	.set _ZN7rocprim17ROCPRIM_400000_NS6detail17trampoline_kernelINS0_14default_configENS1_25partition_config_selectorILNS1_17partition_subalgoE5EtNS0_10empty_typeEbEEZZNS1_14partition_implILS5_5ELb0ES3_mN6thrust23THRUST_200600_302600_NS6detail15normal_iteratorINSA_10device_ptrItEEEEPS6_NSA_18transform_iteratorINSB_9not_fun_tINSA_8identityItEEEESF_NSA_11use_defaultESM_EENS0_5tupleIJSF_S6_EEENSO_IJSG_SG_EEES6_PlJS6_EEE10hipError_tPvRmT3_T4_T5_T6_T7_T9_mT8_P12ihipStream_tbDpT10_ENKUlT_T0_E_clISt17integral_constantIbLb0EES1B_EEDaS16_S17_EUlS16_E_NS1_11comp_targetILNS1_3genE8ELNS1_11target_archE1030ELNS1_3gpuE2ELNS1_3repE0EEENS1_30default_config_static_selectorELNS0_4arch9wavefront6targetE0EEEvT1_.uses_vcc, 0
	.set _ZN7rocprim17ROCPRIM_400000_NS6detail17trampoline_kernelINS0_14default_configENS1_25partition_config_selectorILNS1_17partition_subalgoE5EtNS0_10empty_typeEbEEZZNS1_14partition_implILS5_5ELb0ES3_mN6thrust23THRUST_200600_302600_NS6detail15normal_iteratorINSA_10device_ptrItEEEEPS6_NSA_18transform_iteratorINSB_9not_fun_tINSA_8identityItEEEESF_NSA_11use_defaultESM_EENS0_5tupleIJSF_S6_EEENSO_IJSG_SG_EEES6_PlJS6_EEE10hipError_tPvRmT3_T4_T5_T6_T7_T9_mT8_P12ihipStream_tbDpT10_ENKUlT_T0_E_clISt17integral_constantIbLb0EES1B_EEDaS16_S17_EUlS16_E_NS1_11comp_targetILNS1_3genE8ELNS1_11target_archE1030ELNS1_3gpuE2ELNS1_3repE0EEENS1_30default_config_static_selectorELNS0_4arch9wavefront6targetE0EEEvT1_.uses_flat_scratch, 0
	.set _ZN7rocprim17ROCPRIM_400000_NS6detail17trampoline_kernelINS0_14default_configENS1_25partition_config_selectorILNS1_17partition_subalgoE5EtNS0_10empty_typeEbEEZZNS1_14partition_implILS5_5ELb0ES3_mN6thrust23THRUST_200600_302600_NS6detail15normal_iteratorINSA_10device_ptrItEEEEPS6_NSA_18transform_iteratorINSB_9not_fun_tINSA_8identityItEEEESF_NSA_11use_defaultESM_EENS0_5tupleIJSF_S6_EEENSO_IJSG_SG_EEES6_PlJS6_EEE10hipError_tPvRmT3_T4_T5_T6_T7_T9_mT8_P12ihipStream_tbDpT10_ENKUlT_T0_E_clISt17integral_constantIbLb0EES1B_EEDaS16_S17_EUlS16_E_NS1_11comp_targetILNS1_3genE8ELNS1_11target_archE1030ELNS1_3gpuE2ELNS1_3repE0EEENS1_30default_config_static_selectorELNS0_4arch9wavefront6targetE0EEEvT1_.has_dyn_sized_stack, 0
	.set _ZN7rocprim17ROCPRIM_400000_NS6detail17trampoline_kernelINS0_14default_configENS1_25partition_config_selectorILNS1_17partition_subalgoE5EtNS0_10empty_typeEbEEZZNS1_14partition_implILS5_5ELb0ES3_mN6thrust23THRUST_200600_302600_NS6detail15normal_iteratorINSA_10device_ptrItEEEEPS6_NSA_18transform_iteratorINSB_9not_fun_tINSA_8identityItEEEESF_NSA_11use_defaultESM_EENS0_5tupleIJSF_S6_EEENSO_IJSG_SG_EEES6_PlJS6_EEE10hipError_tPvRmT3_T4_T5_T6_T7_T9_mT8_P12ihipStream_tbDpT10_ENKUlT_T0_E_clISt17integral_constantIbLb0EES1B_EEDaS16_S17_EUlS16_E_NS1_11comp_targetILNS1_3genE8ELNS1_11target_archE1030ELNS1_3gpuE2ELNS1_3repE0EEENS1_30default_config_static_selectorELNS0_4arch9wavefront6targetE0EEEvT1_.has_recursion, 0
	.set _ZN7rocprim17ROCPRIM_400000_NS6detail17trampoline_kernelINS0_14default_configENS1_25partition_config_selectorILNS1_17partition_subalgoE5EtNS0_10empty_typeEbEEZZNS1_14partition_implILS5_5ELb0ES3_mN6thrust23THRUST_200600_302600_NS6detail15normal_iteratorINSA_10device_ptrItEEEEPS6_NSA_18transform_iteratorINSB_9not_fun_tINSA_8identityItEEEESF_NSA_11use_defaultESM_EENS0_5tupleIJSF_S6_EEENSO_IJSG_SG_EEES6_PlJS6_EEE10hipError_tPvRmT3_T4_T5_T6_T7_T9_mT8_P12ihipStream_tbDpT10_ENKUlT_T0_E_clISt17integral_constantIbLb0EES1B_EEDaS16_S17_EUlS16_E_NS1_11comp_targetILNS1_3genE8ELNS1_11target_archE1030ELNS1_3gpuE2ELNS1_3repE0EEENS1_30default_config_static_selectorELNS0_4arch9wavefront6targetE0EEEvT1_.has_indirect_call, 0
	.section	.AMDGPU.csdata,"",@progbits
; Kernel info:
; codeLenInByte = 0
; TotalNumSgprs: 0
; NumVgprs: 0
; ScratchSize: 0
; MemoryBound: 0
; FloatMode: 240
; IeeeMode: 1
; LDSByteSize: 0 bytes/workgroup (compile time only)
; SGPRBlocks: 0
; VGPRBlocks: 0
; NumSGPRsForWavesPerEU: 1
; NumVGPRsForWavesPerEU: 1
; Occupancy: 16
; WaveLimiterHint : 0
; COMPUTE_PGM_RSRC2:SCRATCH_EN: 0
; COMPUTE_PGM_RSRC2:USER_SGPR: 2
; COMPUTE_PGM_RSRC2:TRAP_HANDLER: 0
; COMPUTE_PGM_RSRC2:TGID_X_EN: 1
; COMPUTE_PGM_RSRC2:TGID_Y_EN: 0
; COMPUTE_PGM_RSRC2:TGID_Z_EN: 0
; COMPUTE_PGM_RSRC2:TIDIG_COMP_CNT: 0
	.section	.text._ZN7rocprim17ROCPRIM_400000_NS6detail17trampoline_kernelINS0_14default_configENS1_25partition_config_selectorILNS1_17partition_subalgoE5EtNS0_10empty_typeEbEEZZNS1_14partition_implILS5_5ELb0ES3_mN6thrust23THRUST_200600_302600_NS6detail15normal_iteratorINSA_10device_ptrItEEEEPS6_NSA_18transform_iteratorINSB_9not_fun_tINSA_8identityItEEEESF_NSA_11use_defaultESM_EENS0_5tupleIJSF_S6_EEENSO_IJSG_SG_EEES6_PlJS6_EEE10hipError_tPvRmT3_T4_T5_T6_T7_T9_mT8_P12ihipStream_tbDpT10_ENKUlT_T0_E_clISt17integral_constantIbLb1EES1B_EEDaS16_S17_EUlS16_E_NS1_11comp_targetILNS1_3genE0ELNS1_11target_archE4294967295ELNS1_3gpuE0ELNS1_3repE0EEENS1_30default_config_static_selectorELNS0_4arch9wavefront6targetE0EEEvT1_,"axG",@progbits,_ZN7rocprim17ROCPRIM_400000_NS6detail17trampoline_kernelINS0_14default_configENS1_25partition_config_selectorILNS1_17partition_subalgoE5EtNS0_10empty_typeEbEEZZNS1_14partition_implILS5_5ELb0ES3_mN6thrust23THRUST_200600_302600_NS6detail15normal_iteratorINSA_10device_ptrItEEEEPS6_NSA_18transform_iteratorINSB_9not_fun_tINSA_8identityItEEEESF_NSA_11use_defaultESM_EENS0_5tupleIJSF_S6_EEENSO_IJSG_SG_EEES6_PlJS6_EEE10hipError_tPvRmT3_T4_T5_T6_T7_T9_mT8_P12ihipStream_tbDpT10_ENKUlT_T0_E_clISt17integral_constantIbLb1EES1B_EEDaS16_S17_EUlS16_E_NS1_11comp_targetILNS1_3genE0ELNS1_11target_archE4294967295ELNS1_3gpuE0ELNS1_3repE0EEENS1_30default_config_static_selectorELNS0_4arch9wavefront6targetE0EEEvT1_,comdat
	.protected	_ZN7rocprim17ROCPRIM_400000_NS6detail17trampoline_kernelINS0_14default_configENS1_25partition_config_selectorILNS1_17partition_subalgoE5EtNS0_10empty_typeEbEEZZNS1_14partition_implILS5_5ELb0ES3_mN6thrust23THRUST_200600_302600_NS6detail15normal_iteratorINSA_10device_ptrItEEEEPS6_NSA_18transform_iteratorINSB_9not_fun_tINSA_8identityItEEEESF_NSA_11use_defaultESM_EENS0_5tupleIJSF_S6_EEENSO_IJSG_SG_EEES6_PlJS6_EEE10hipError_tPvRmT3_T4_T5_T6_T7_T9_mT8_P12ihipStream_tbDpT10_ENKUlT_T0_E_clISt17integral_constantIbLb1EES1B_EEDaS16_S17_EUlS16_E_NS1_11comp_targetILNS1_3genE0ELNS1_11target_archE4294967295ELNS1_3gpuE0ELNS1_3repE0EEENS1_30default_config_static_selectorELNS0_4arch9wavefront6targetE0EEEvT1_ ; -- Begin function _ZN7rocprim17ROCPRIM_400000_NS6detail17trampoline_kernelINS0_14default_configENS1_25partition_config_selectorILNS1_17partition_subalgoE5EtNS0_10empty_typeEbEEZZNS1_14partition_implILS5_5ELb0ES3_mN6thrust23THRUST_200600_302600_NS6detail15normal_iteratorINSA_10device_ptrItEEEEPS6_NSA_18transform_iteratorINSB_9not_fun_tINSA_8identityItEEEESF_NSA_11use_defaultESM_EENS0_5tupleIJSF_S6_EEENSO_IJSG_SG_EEES6_PlJS6_EEE10hipError_tPvRmT3_T4_T5_T6_T7_T9_mT8_P12ihipStream_tbDpT10_ENKUlT_T0_E_clISt17integral_constantIbLb1EES1B_EEDaS16_S17_EUlS16_E_NS1_11comp_targetILNS1_3genE0ELNS1_11target_archE4294967295ELNS1_3gpuE0ELNS1_3repE0EEENS1_30default_config_static_selectorELNS0_4arch9wavefront6targetE0EEEvT1_
	.globl	_ZN7rocprim17ROCPRIM_400000_NS6detail17trampoline_kernelINS0_14default_configENS1_25partition_config_selectorILNS1_17partition_subalgoE5EtNS0_10empty_typeEbEEZZNS1_14partition_implILS5_5ELb0ES3_mN6thrust23THRUST_200600_302600_NS6detail15normal_iteratorINSA_10device_ptrItEEEEPS6_NSA_18transform_iteratorINSB_9not_fun_tINSA_8identityItEEEESF_NSA_11use_defaultESM_EENS0_5tupleIJSF_S6_EEENSO_IJSG_SG_EEES6_PlJS6_EEE10hipError_tPvRmT3_T4_T5_T6_T7_T9_mT8_P12ihipStream_tbDpT10_ENKUlT_T0_E_clISt17integral_constantIbLb1EES1B_EEDaS16_S17_EUlS16_E_NS1_11comp_targetILNS1_3genE0ELNS1_11target_archE4294967295ELNS1_3gpuE0ELNS1_3repE0EEENS1_30default_config_static_selectorELNS0_4arch9wavefront6targetE0EEEvT1_
	.p2align	8
	.type	_ZN7rocprim17ROCPRIM_400000_NS6detail17trampoline_kernelINS0_14default_configENS1_25partition_config_selectorILNS1_17partition_subalgoE5EtNS0_10empty_typeEbEEZZNS1_14partition_implILS5_5ELb0ES3_mN6thrust23THRUST_200600_302600_NS6detail15normal_iteratorINSA_10device_ptrItEEEEPS6_NSA_18transform_iteratorINSB_9not_fun_tINSA_8identityItEEEESF_NSA_11use_defaultESM_EENS0_5tupleIJSF_S6_EEENSO_IJSG_SG_EEES6_PlJS6_EEE10hipError_tPvRmT3_T4_T5_T6_T7_T9_mT8_P12ihipStream_tbDpT10_ENKUlT_T0_E_clISt17integral_constantIbLb1EES1B_EEDaS16_S17_EUlS16_E_NS1_11comp_targetILNS1_3genE0ELNS1_11target_archE4294967295ELNS1_3gpuE0ELNS1_3repE0EEENS1_30default_config_static_selectorELNS0_4arch9wavefront6targetE0EEEvT1_,@function
_ZN7rocprim17ROCPRIM_400000_NS6detail17trampoline_kernelINS0_14default_configENS1_25partition_config_selectorILNS1_17partition_subalgoE5EtNS0_10empty_typeEbEEZZNS1_14partition_implILS5_5ELb0ES3_mN6thrust23THRUST_200600_302600_NS6detail15normal_iteratorINSA_10device_ptrItEEEEPS6_NSA_18transform_iteratorINSB_9not_fun_tINSA_8identityItEEEESF_NSA_11use_defaultESM_EENS0_5tupleIJSF_S6_EEENSO_IJSG_SG_EEES6_PlJS6_EEE10hipError_tPvRmT3_T4_T5_T6_T7_T9_mT8_P12ihipStream_tbDpT10_ENKUlT_T0_E_clISt17integral_constantIbLb1EES1B_EEDaS16_S17_EUlS16_E_NS1_11comp_targetILNS1_3genE0ELNS1_11target_archE4294967295ELNS1_3gpuE0ELNS1_3repE0EEENS1_30default_config_static_selectorELNS0_4arch9wavefront6targetE0EEEvT1_: ; @_ZN7rocprim17ROCPRIM_400000_NS6detail17trampoline_kernelINS0_14default_configENS1_25partition_config_selectorILNS1_17partition_subalgoE5EtNS0_10empty_typeEbEEZZNS1_14partition_implILS5_5ELb0ES3_mN6thrust23THRUST_200600_302600_NS6detail15normal_iteratorINSA_10device_ptrItEEEEPS6_NSA_18transform_iteratorINSB_9not_fun_tINSA_8identityItEEEESF_NSA_11use_defaultESM_EENS0_5tupleIJSF_S6_EEENSO_IJSG_SG_EEES6_PlJS6_EEE10hipError_tPvRmT3_T4_T5_T6_T7_T9_mT8_P12ihipStream_tbDpT10_ENKUlT_T0_E_clISt17integral_constantIbLb1EES1B_EEDaS16_S17_EUlS16_E_NS1_11comp_targetILNS1_3genE0ELNS1_11target_archE4294967295ELNS1_3gpuE0ELNS1_3repE0EEENS1_30default_config_static_selectorELNS0_4arch9wavefront6targetE0EEEvT1_
; %bb.0:
	.section	.rodata,"a",@progbits
	.p2align	6, 0x0
	.amdhsa_kernel _ZN7rocprim17ROCPRIM_400000_NS6detail17trampoline_kernelINS0_14default_configENS1_25partition_config_selectorILNS1_17partition_subalgoE5EtNS0_10empty_typeEbEEZZNS1_14partition_implILS5_5ELb0ES3_mN6thrust23THRUST_200600_302600_NS6detail15normal_iteratorINSA_10device_ptrItEEEEPS6_NSA_18transform_iteratorINSB_9not_fun_tINSA_8identityItEEEESF_NSA_11use_defaultESM_EENS0_5tupleIJSF_S6_EEENSO_IJSG_SG_EEES6_PlJS6_EEE10hipError_tPvRmT3_T4_T5_T6_T7_T9_mT8_P12ihipStream_tbDpT10_ENKUlT_T0_E_clISt17integral_constantIbLb1EES1B_EEDaS16_S17_EUlS16_E_NS1_11comp_targetILNS1_3genE0ELNS1_11target_archE4294967295ELNS1_3gpuE0ELNS1_3repE0EEENS1_30default_config_static_selectorELNS0_4arch9wavefront6targetE0EEEvT1_
		.amdhsa_group_segment_fixed_size 0
		.amdhsa_private_segment_fixed_size 0
		.amdhsa_kernarg_size 136
		.amdhsa_user_sgpr_count 2
		.amdhsa_user_sgpr_dispatch_ptr 0
		.amdhsa_user_sgpr_queue_ptr 0
		.amdhsa_user_sgpr_kernarg_segment_ptr 1
		.amdhsa_user_sgpr_dispatch_id 0
		.amdhsa_user_sgpr_private_segment_size 0
		.amdhsa_wavefront_size32 1
		.amdhsa_uses_dynamic_stack 0
		.amdhsa_enable_private_segment 0
		.amdhsa_system_sgpr_workgroup_id_x 1
		.amdhsa_system_sgpr_workgroup_id_y 0
		.amdhsa_system_sgpr_workgroup_id_z 0
		.amdhsa_system_sgpr_workgroup_info 0
		.amdhsa_system_vgpr_workitem_id 0
		.amdhsa_next_free_vgpr 1
		.amdhsa_next_free_sgpr 1
		.amdhsa_reserve_vcc 0
		.amdhsa_float_round_mode_32 0
		.amdhsa_float_round_mode_16_64 0
		.amdhsa_float_denorm_mode_32 3
		.amdhsa_float_denorm_mode_16_64 3
		.amdhsa_fp16_overflow 0
		.amdhsa_workgroup_processor_mode 1
		.amdhsa_memory_ordered 1
		.amdhsa_forward_progress 1
		.amdhsa_inst_pref_size 0
		.amdhsa_round_robin_scheduling 0
		.amdhsa_exception_fp_ieee_invalid_op 0
		.amdhsa_exception_fp_denorm_src 0
		.amdhsa_exception_fp_ieee_div_zero 0
		.amdhsa_exception_fp_ieee_overflow 0
		.amdhsa_exception_fp_ieee_underflow 0
		.amdhsa_exception_fp_ieee_inexact 0
		.amdhsa_exception_int_div_zero 0
	.end_amdhsa_kernel
	.section	.text._ZN7rocprim17ROCPRIM_400000_NS6detail17trampoline_kernelINS0_14default_configENS1_25partition_config_selectorILNS1_17partition_subalgoE5EtNS0_10empty_typeEbEEZZNS1_14partition_implILS5_5ELb0ES3_mN6thrust23THRUST_200600_302600_NS6detail15normal_iteratorINSA_10device_ptrItEEEEPS6_NSA_18transform_iteratorINSB_9not_fun_tINSA_8identityItEEEESF_NSA_11use_defaultESM_EENS0_5tupleIJSF_S6_EEENSO_IJSG_SG_EEES6_PlJS6_EEE10hipError_tPvRmT3_T4_T5_T6_T7_T9_mT8_P12ihipStream_tbDpT10_ENKUlT_T0_E_clISt17integral_constantIbLb1EES1B_EEDaS16_S17_EUlS16_E_NS1_11comp_targetILNS1_3genE0ELNS1_11target_archE4294967295ELNS1_3gpuE0ELNS1_3repE0EEENS1_30default_config_static_selectorELNS0_4arch9wavefront6targetE0EEEvT1_,"axG",@progbits,_ZN7rocprim17ROCPRIM_400000_NS6detail17trampoline_kernelINS0_14default_configENS1_25partition_config_selectorILNS1_17partition_subalgoE5EtNS0_10empty_typeEbEEZZNS1_14partition_implILS5_5ELb0ES3_mN6thrust23THRUST_200600_302600_NS6detail15normal_iteratorINSA_10device_ptrItEEEEPS6_NSA_18transform_iteratorINSB_9not_fun_tINSA_8identityItEEEESF_NSA_11use_defaultESM_EENS0_5tupleIJSF_S6_EEENSO_IJSG_SG_EEES6_PlJS6_EEE10hipError_tPvRmT3_T4_T5_T6_T7_T9_mT8_P12ihipStream_tbDpT10_ENKUlT_T0_E_clISt17integral_constantIbLb1EES1B_EEDaS16_S17_EUlS16_E_NS1_11comp_targetILNS1_3genE0ELNS1_11target_archE4294967295ELNS1_3gpuE0ELNS1_3repE0EEENS1_30default_config_static_selectorELNS0_4arch9wavefront6targetE0EEEvT1_,comdat
.Lfunc_end925:
	.size	_ZN7rocprim17ROCPRIM_400000_NS6detail17trampoline_kernelINS0_14default_configENS1_25partition_config_selectorILNS1_17partition_subalgoE5EtNS0_10empty_typeEbEEZZNS1_14partition_implILS5_5ELb0ES3_mN6thrust23THRUST_200600_302600_NS6detail15normal_iteratorINSA_10device_ptrItEEEEPS6_NSA_18transform_iteratorINSB_9not_fun_tINSA_8identityItEEEESF_NSA_11use_defaultESM_EENS0_5tupleIJSF_S6_EEENSO_IJSG_SG_EEES6_PlJS6_EEE10hipError_tPvRmT3_T4_T5_T6_T7_T9_mT8_P12ihipStream_tbDpT10_ENKUlT_T0_E_clISt17integral_constantIbLb1EES1B_EEDaS16_S17_EUlS16_E_NS1_11comp_targetILNS1_3genE0ELNS1_11target_archE4294967295ELNS1_3gpuE0ELNS1_3repE0EEENS1_30default_config_static_selectorELNS0_4arch9wavefront6targetE0EEEvT1_, .Lfunc_end925-_ZN7rocprim17ROCPRIM_400000_NS6detail17trampoline_kernelINS0_14default_configENS1_25partition_config_selectorILNS1_17partition_subalgoE5EtNS0_10empty_typeEbEEZZNS1_14partition_implILS5_5ELb0ES3_mN6thrust23THRUST_200600_302600_NS6detail15normal_iteratorINSA_10device_ptrItEEEEPS6_NSA_18transform_iteratorINSB_9not_fun_tINSA_8identityItEEEESF_NSA_11use_defaultESM_EENS0_5tupleIJSF_S6_EEENSO_IJSG_SG_EEES6_PlJS6_EEE10hipError_tPvRmT3_T4_T5_T6_T7_T9_mT8_P12ihipStream_tbDpT10_ENKUlT_T0_E_clISt17integral_constantIbLb1EES1B_EEDaS16_S17_EUlS16_E_NS1_11comp_targetILNS1_3genE0ELNS1_11target_archE4294967295ELNS1_3gpuE0ELNS1_3repE0EEENS1_30default_config_static_selectorELNS0_4arch9wavefront6targetE0EEEvT1_
                                        ; -- End function
	.set _ZN7rocprim17ROCPRIM_400000_NS6detail17trampoline_kernelINS0_14default_configENS1_25partition_config_selectorILNS1_17partition_subalgoE5EtNS0_10empty_typeEbEEZZNS1_14partition_implILS5_5ELb0ES3_mN6thrust23THRUST_200600_302600_NS6detail15normal_iteratorINSA_10device_ptrItEEEEPS6_NSA_18transform_iteratorINSB_9not_fun_tINSA_8identityItEEEESF_NSA_11use_defaultESM_EENS0_5tupleIJSF_S6_EEENSO_IJSG_SG_EEES6_PlJS6_EEE10hipError_tPvRmT3_T4_T5_T6_T7_T9_mT8_P12ihipStream_tbDpT10_ENKUlT_T0_E_clISt17integral_constantIbLb1EES1B_EEDaS16_S17_EUlS16_E_NS1_11comp_targetILNS1_3genE0ELNS1_11target_archE4294967295ELNS1_3gpuE0ELNS1_3repE0EEENS1_30default_config_static_selectorELNS0_4arch9wavefront6targetE0EEEvT1_.num_vgpr, 0
	.set _ZN7rocprim17ROCPRIM_400000_NS6detail17trampoline_kernelINS0_14default_configENS1_25partition_config_selectorILNS1_17partition_subalgoE5EtNS0_10empty_typeEbEEZZNS1_14partition_implILS5_5ELb0ES3_mN6thrust23THRUST_200600_302600_NS6detail15normal_iteratorINSA_10device_ptrItEEEEPS6_NSA_18transform_iteratorINSB_9not_fun_tINSA_8identityItEEEESF_NSA_11use_defaultESM_EENS0_5tupleIJSF_S6_EEENSO_IJSG_SG_EEES6_PlJS6_EEE10hipError_tPvRmT3_T4_T5_T6_T7_T9_mT8_P12ihipStream_tbDpT10_ENKUlT_T0_E_clISt17integral_constantIbLb1EES1B_EEDaS16_S17_EUlS16_E_NS1_11comp_targetILNS1_3genE0ELNS1_11target_archE4294967295ELNS1_3gpuE0ELNS1_3repE0EEENS1_30default_config_static_selectorELNS0_4arch9wavefront6targetE0EEEvT1_.num_agpr, 0
	.set _ZN7rocprim17ROCPRIM_400000_NS6detail17trampoline_kernelINS0_14default_configENS1_25partition_config_selectorILNS1_17partition_subalgoE5EtNS0_10empty_typeEbEEZZNS1_14partition_implILS5_5ELb0ES3_mN6thrust23THRUST_200600_302600_NS6detail15normal_iteratorINSA_10device_ptrItEEEEPS6_NSA_18transform_iteratorINSB_9not_fun_tINSA_8identityItEEEESF_NSA_11use_defaultESM_EENS0_5tupleIJSF_S6_EEENSO_IJSG_SG_EEES6_PlJS6_EEE10hipError_tPvRmT3_T4_T5_T6_T7_T9_mT8_P12ihipStream_tbDpT10_ENKUlT_T0_E_clISt17integral_constantIbLb1EES1B_EEDaS16_S17_EUlS16_E_NS1_11comp_targetILNS1_3genE0ELNS1_11target_archE4294967295ELNS1_3gpuE0ELNS1_3repE0EEENS1_30default_config_static_selectorELNS0_4arch9wavefront6targetE0EEEvT1_.numbered_sgpr, 0
	.set _ZN7rocprim17ROCPRIM_400000_NS6detail17trampoline_kernelINS0_14default_configENS1_25partition_config_selectorILNS1_17partition_subalgoE5EtNS0_10empty_typeEbEEZZNS1_14partition_implILS5_5ELb0ES3_mN6thrust23THRUST_200600_302600_NS6detail15normal_iteratorINSA_10device_ptrItEEEEPS6_NSA_18transform_iteratorINSB_9not_fun_tINSA_8identityItEEEESF_NSA_11use_defaultESM_EENS0_5tupleIJSF_S6_EEENSO_IJSG_SG_EEES6_PlJS6_EEE10hipError_tPvRmT3_T4_T5_T6_T7_T9_mT8_P12ihipStream_tbDpT10_ENKUlT_T0_E_clISt17integral_constantIbLb1EES1B_EEDaS16_S17_EUlS16_E_NS1_11comp_targetILNS1_3genE0ELNS1_11target_archE4294967295ELNS1_3gpuE0ELNS1_3repE0EEENS1_30default_config_static_selectorELNS0_4arch9wavefront6targetE0EEEvT1_.num_named_barrier, 0
	.set _ZN7rocprim17ROCPRIM_400000_NS6detail17trampoline_kernelINS0_14default_configENS1_25partition_config_selectorILNS1_17partition_subalgoE5EtNS0_10empty_typeEbEEZZNS1_14partition_implILS5_5ELb0ES3_mN6thrust23THRUST_200600_302600_NS6detail15normal_iteratorINSA_10device_ptrItEEEEPS6_NSA_18transform_iteratorINSB_9not_fun_tINSA_8identityItEEEESF_NSA_11use_defaultESM_EENS0_5tupleIJSF_S6_EEENSO_IJSG_SG_EEES6_PlJS6_EEE10hipError_tPvRmT3_T4_T5_T6_T7_T9_mT8_P12ihipStream_tbDpT10_ENKUlT_T0_E_clISt17integral_constantIbLb1EES1B_EEDaS16_S17_EUlS16_E_NS1_11comp_targetILNS1_3genE0ELNS1_11target_archE4294967295ELNS1_3gpuE0ELNS1_3repE0EEENS1_30default_config_static_selectorELNS0_4arch9wavefront6targetE0EEEvT1_.private_seg_size, 0
	.set _ZN7rocprim17ROCPRIM_400000_NS6detail17trampoline_kernelINS0_14default_configENS1_25partition_config_selectorILNS1_17partition_subalgoE5EtNS0_10empty_typeEbEEZZNS1_14partition_implILS5_5ELb0ES3_mN6thrust23THRUST_200600_302600_NS6detail15normal_iteratorINSA_10device_ptrItEEEEPS6_NSA_18transform_iteratorINSB_9not_fun_tINSA_8identityItEEEESF_NSA_11use_defaultESM_EENS0_5tupleIJSF_S6_EEENSO_IJSG_SG_EEES6_PlJS6_EEE10hipError_tPvRmT3_T4_T5_T6_T7_T9_mT8_P12ihipStream_tbDpT10_ENKUlT_T0_E_clISt17integral_constantIbLb1EES1B_EEDaS16_S17_EUlS16_E_NS1_11comp_targetILNS1_3genE0ELNS1_11target_archE4294967295ELNS1_3gpuE0ELNS1_3repE0EEENS1_30default_config_static_selectorELNS0_4arch9wavefront6targetE0EEEvT1_.uses_vcc, 0
	.set _ZN7rocprim17ROCPRIM_400000_NS6detail17trampoline_kernelINS0_14default_configENS1_25partition_config_selectorILNS1_17partition_subalgoE5EtNS0_10empty_typeEbEEZZNS1_14partition_implILS5_5ELb0ES3_mN6thrust23THRUST_200600_302600_NS6detail15normal_iteratorINSA_10device_ptrItEEEEPS6_NSA_18transform_iteratorINSB_9not_fun_tINSA_8identityItEEEESF_NSA_11use_defaultESM_EENS0_5tupleIJSF_S6_EEENSO_IJSG_SG_EEES6_PlJS6_EEE10hipError_tPvRmT3_T4_T5_T6_T7_T9_mT8_P12ihipStream_tbDpT10_ENKUlT_T0_E_clISt17integral_constantIbLb1EES1B_EEDaS16_S17_EUlS16_E_NS1_11comp_targetILNS1_3genE0ELNS1_11target_archE4294967295ELNS1_3gpuE0ELNS1_3repE0EEENS1_30default_config_static_selectorELNS0_4arch9wavefront6targetE0EEEvT1_.uses_flat_scratch, 0
	.set _ZN7rocprim17ROCPRIM_400000_NS6detail17trampoline_kernelINS0_14default_configENS1_25partition_config_selectorILNS1_17partition_subalgoE5EtNS0_10empty_typeEbEEZZNS1_14partition_implILS5_5ELb0ES3_mN6thrust23THRUST_200600_302600_NS6detail15normal_iteratorINSA_10device_ptrItEEEEPS6_NSA_18transform_iteratorINSB_9not_fun_tINSA_8identityItEEEESF_NSA_11use_defaultESM_EENS0_5tupleIJSF_S6_EEENSO_IJSG_SG_EEES6_PlJS6_EEE10hipError_tPvRmT3_T4_T5_T6_T7_T9_mT8_P12ihipStream_tbDpT10_ENKUlT_T0_E_clISt17integral_constantIbLb1EES1B_EEDaS16_S17_EUlS16_E_NS1_11comp_targetILNS1_3genE0ELNS1_11target_archE4294967295ELNS1_3gpuE0ELNS1_3repE0EEENS1_30default_config_static_selectorELNS0_4arch9wavefront6targetE0EEEvT1_.has_dyn_sized_stack, 0
	.set _ZN7rocprim17ROCPRIM_400000_NS6detail17trampoline_kernelINS0_14default_configENS1_25partition_config_selectorILNS1_17partition_subalgoE5EtNS0_10empty_typeEbEEZZNS1_14partition_implILS5_5ELb0ES3_mN6thrust23THRUST_200600_302600_NS6detail15normal_iteratorINSA_10device_ptrItEEEEPS6_NSA_18transform_iteratorINSB_9not_fun_tINSA_8identityItEEEESF_NSA_11use_defaultESM_EENS0_5tupleIJSF_S6_EEENSO_IJSG_SG_EEES6_PlJS6_EEE10hipError_tPvRmT3_T4_T5_T6_T7_T9_mT8_P12ihipStream_tbDpT10_ENKUlT_T0_E_clISt17integral_constantIbLb1EES1B_EEDaS16_S17_EUlS16_E_NS1_11comp_targetILNS1_3genE0ELNS1_11target_archE4294967295ELNS1_3gpuE0ELNS1_3repE0EEENS1_30default_config_static_selectorELNS0_4arch9wavefront6targetE0EEEvT1_.has_recursion, 0
	.set _ZN7rocprim17ROCPRIM_400000_NS6detail17trampoline_kernelINS0_14default_configENS1_25partition_config_selectorILNS1_17partition_subalgoE5EtNS0_10empty_typeEbEEZZNS1_14partition_implILS5_5ELb0ES3_mN6thrust23THRUST_200600_302600_NS6detail15normal_iteratorINSA_10device_ptrItEEEEPS6_NSA_18transform_iteratorINSB_9not_fun_tINSA_8identityItEEEESF_NSA_11use_defaultESM_EENS0_5tupleIJSF_S6_EEENSO_IJSG_SG_EEES6_PlJS6_EEE10hipError_tPvRmT3_T4_T5_T6_T7_T9_mT8_P12ihipStream_tbDpT10_ENKUlT_T0_E_clISt17integral_constantIbLb1EES1B_EEDaS16_S17_EUlS16_E_NS1_11comp_targetILNS1_3genE0ELNS1_11target_archE4294967295ELNS1_3gpuE0ELNS1_3repE0EEENS1_30default_config_static_selectorELNS0_4arch9wavefront6targetE0EEEvT1_.has_indirect_call, 0
	.section	.AMDGPU.csdata,"",@progbits
; Kernel info:
; codeLenInByte = 0
; TotalNumSgprs: 0
; NumVgprs: 0
; ScratchSize: 0
; MemoryBound: 0
; FloatMode: 240
; IeeeMode: 1
; LDSByteSize: 0 bytes/workgroup (compile time only)
; SGPRBlocks: 0
; VGPRBlocks: 0
; NumSGPRsForWavesPerEU: 1
; NumVGPRsForWavesPerEU: 1
; Occupancy: 16
; WaveLimiterHint : 0
; COMPUTE_PGM_RSRC2:SCRATCH_EN: 0
; COMPUTE_PGM_RSRC2:USER_SGPR: 2
; COMPUTE_PGM_RSRC2:TRAP_HANDLER: 0
; COMPUTE_PGM_RSRC2:TGID_X_EN: 1
; COMPUTE_PGM_RSRC2:TGID_Y_EN: 0
; COMPUTE_PGM_RSRC2:TGID_Z_EN: 0
; COMPUTE_PGM_RSRC2:TIDIG_COMP_CNT: 0
	.section	.text._ZN7rocprim17ROCPRIM_400000_NS6detail17trampoline_kernelINS0_14default_configENS1_25partition_config_selectorILNS1_17partition_subalgoE5EtNS0_10empty_typeEbEEZZNS1_14partition_implILS5_5ELb0ES3_mN6thrust23THRUST_200600_302600_NS6detail15normal_iteratorINSA_10device_ptrItEEEEPS6_NSA_18transform_iteratorINSB_9not_fun_tINSA_8identityItEEEESF_NSA_11use_defaultESM_EENS0_5tupleIJSF_S6_EEENSO_IJSG_SG_EEES6_PlJS6_EEE10hipError_tPvRmT3_T4_T5_T6_T7_T9_mT8_P12ihipStream_tbDpT10_ENKUlT_T0_E_clISt17integral_constantIbLb1EES1B_EEDaS16_S17_EUlS16_E_NS1_11comp_targetILNS1_3genE5ELNS1_11target_archE942ELNS1_3gpuE9ELNS1_3repE0EEENS1_30default_config_static_selectorELNS0_4arch9wavefront6targetE0EEEvT1_,"axG",@progbits,_ZN7rocprim17ROCPRIM_400000_NS6detail17trampoline_kernelINS0_14default_configENS1_25partition_config_selectorILNS1_17partition_subalgoE5EtNS0_10empty_typeEbEEZZNS1_14partition_implILS5_5ELb0ES3_mN6thrust23THRUST_200600_302600_NS6detail15normal_iteratorINSA_10device_ptrItEEEEPS6_NSA_18transform_iteratorINSB_9not_fun_tINSA_8identityItEEEESF_NSA_11use_defaultESM_EENS0_5tupleIJSF_S6_EEENSO_IJSG_SG_EEES6_PlJS6_EEE10hipError_tPvRmT3_T4_T5_T6_T7_T9_mT8_P12ihipStream_tbDpT10_ENKUlT_T0_E_clISt17integral_constantIbLb1EES1B_EEDaS16_S17_EUlS16_E_NS1_11comp_targetILNS1_3genE5ELNS1_11target_archE942ELNS1_3gpuE9ELNS1_3repE0EEENS1_30default_config_static_selectorELNS0_4arch9wavefront6targetE0EEEvT1_,comdat
	.protected	_ZN7rocprim17ROCPRIM_400000_NS6detail17trampoline_kernelINS0_14default_configENS1_25partition_config_selectorILNS1_17partition_subalgoE5EtNS0_10empty_typeEbEEZZNS1_14partition_implILS5_5ELb0ES3_mN6thrust23THRUST_200600_302600_NS6detail15normal_iteratorINSA_10device_ptrItEEEEPS6_NSA_18transform_iteratorINSB_9not_fun_tINSA_8identityItEEEESF_NSA_11use_defaultESM_EENS0_5tupleIJSF_S6_EEENSO_IJSG_SG_EEES6_PlJS6_EEE10hipError_tPvRmT3_T4_T5_T6_T7_T9_mT8_P12ihipStream_tbDpT10_ENKUlT_T0_E_clISt17integral_constantIbLb1EES1B_EEDaS16_S17_EUlS16_E_NS1_11comp_targetILNS1_3genE5ELNS1_11target_archE942ELNS1_3gpuE9ELNS1_3repE0EEENS1_30default_config_static_selectorELNS0_4arch9wavefront6targetE0EEEvT1_ ; -- Begin function _ZN7rocprim17ROCPRIM_400000_NS6detail17trampoline_kernelINS0_14default_configENS1_25partition_config_selectorILNS1_17partition_subalgoE5EtNS0_10empty_typeEbEEZZNS1_14partition_implILS5_5ELb0ES3_mN6thrust23THRUST_200600_302600_NS6detail15normal_iteratorINSA_10device_ptrItEEEEPS6_NSA_18transform_iteratorINSB_9not_fun_tINSA_8identityItEEEESF_NSA_11use_defaultESM_EENS0_5tupleIJSF_S6_EEENSO_IJSG_SG_EEES6_PlJS6_EEE10hipError_tPvRmT3_T4_T5_T6_T7_T9_mT8_P12ihipStream_tbDpT10_ENKUlT_T0_E_clISt17integral_constantIbLb1EES1B_EEDaS16_S17_EUlS16_E_NS1_11comp_targetILNS1_3genE5ELNS1_11target_archE942ELNS1_3gpuE9ELNS1_3repE0EEENS1_30default_config_static_selectorELNS0_4arch9wavefront6targetE0EEEvT1_
	.globl	_ZN7rocprim17ROCPRIM_400000_NS6detail17trampoline_kernelINS0_14default_configENS1_25partition_config_selectorILNS1_17partition_subalgoE5EtNS0_10empty_typeEbEEZZNS1_14partition_implILS5_5ELb0ES3_mN6thrust23THRUST_200600_302600_NS6detail15normal_iteratorINSA_10device_ptrItEEEEPS6_NSA_18transform_iteratorINSB_9not_fun_tINSA_8identityItEEEESF_NSA_11use_defaultESM_EENS0_5tupleIJSF_S6_EEENSO_IJSG_SG_EEES6_PlJS6_EEE10hipError_tPvRmT3_T4_T5_T6_T7_T9_mT8_P12ihipStream_tbDpT10_ENKUlT_T0_E_clISt17integral_constantIbLb1EES1B_EEDaS16_S17_EUlS16_E_NS1_11comp_targetILNS1_3genE5ELNS1_11target_archE942ELNS1_3gpuE9ELNS1_3repE0EEENS1_30default_config_static_selectorELNS0_4arch9wavefront6targetE0EEEvT1_
	.p2align	8
	.type	_ZN7rocprim17ROCPRIM_400000_NS6detail17trampoline_kernelINS0_14default_configENS1_25partition_config_selectorILNS1_17partition_subalgoE5EtNS0_10empty_typeEbEEZZNS1_14partition_implILS5_5ELb0ES3_mN6thrust23THRUST_200600_302600_NS6detail15normal_iteratorINSA_10device_ptrItEEEEPS6_NSA_18transform_iteratorINSB_9not_fun_tINSA_8identityItEEEESF_NSA_11use_defaultESM_EENS0_5tupleIJSF_S6_EEENSO_IJSG_SG_EEES6_PlJS6_EEE10hipError_tPvRmT3_T4_T5_T6_T7_T9_mT8_P12ihipStream_tbDpT10_ENKUlT_T0_E_clISt17integral_constantIbLb1EES1B_EEDaS16_S17_EUlS16_E_NS1_11comp_targetILNS1_3genE5ELNS1_11target_archE942ELNS1_3gpuE9ELNS1_3repE0EEENS1_30default_config_static_selectorELNS0_4arch9wavefront6targetE0EEEvT1_,@function
_ZN7rocprim17ROCPRIM_400000_NS6detail17trampoline_kernelINS0_14default_configENS1_25partition_config_selectorILNS1_17partition_subalgoE5EtNS0_10empty_typeEbEEZZNS1_14partition_implILS5_5ELb0ES3_mN6thrust23THRUST_200600_302600_NS6detail15normal_iteratorINSA_10device_ptrItEEEEPS6_NSA_18transform_iteratorINSB_9not_fun_tINSA_8identityItEEEESF_NSA_11use_defaultESM_EENS0_5tupleIJSF_S6_EEENSO_IJSG_SG_EEES6_PlJS6_EEE10hipError_tPvRmT3_T4_T5_T6_T7_T9_mT8_P12ihipStream_tbDpT10_ENKUlT_T0_E_clISt17integral_constantIbLb1EES1B_EEDaS16_S17_EUlS16_E_NS1_11comp_targetILNS1_3genE5ELNS1_11target_archE942ELNS1_3gpuE9ELNS1_3repE0EEENS1_30default_config_static_selectorELNS0_4arch9wavefront6targetE0EEEvT1_: ; @_ZN7rocprim17ROCPRIM_400000_NS6detail17trampoline_kernelINS0_14default_configENS1_25partition_config_selectorILNS1_17partition_subalgoE5EtNS0_10empty_typeEbEEZZNS1_14partition_implILS5_5ELb0ES3_mN6thrust23THRUST_200600_302600_NS6detail15normal_iteratorINSA_10device_ptrItEEEEPS6_NSA_18transform_iteratorINSB_9not_fun_tINSA_8identityItEEEESF_NSA_11use_defaultESM_EENS0_5tupleIJSF_S6_EEENSO_IJSG_SG_EEES6_PlJS6_EEE10hipError_tPvRmT3_T4_T5_T6_T7_T9_mT8_P12ihipStream_tbDpT10_ENKUlT_T0_E_clISt17integral_constantIbLb1EES1B_EEDaS16_S17_EUlS16_E_NS1_11comp_targetILNS1_3genE5ELNS1_11target_archE942ELNS1_3gpuE9ELNS1_3repE0EEENS1_30default_config_static_selectorELNS0_4arch9wavefront6targetE0EEEvT1_
; %bb.0:
	.section	.rodata,"a",@progbits
	.p2align	6, 0x0
	.amdhsa_kernel _ZN7rocprim17ROCPRIM_400000_NS6detail17trampoline_kernelINS0_14default_configENS1_25partition_config_selectorILNS1_17partition_subalgoE5EtNS0_10empty_typeEbEEZZNS1_14partition_implILS5_5ELb0ES3_mN6thrust23THRUST_200600_302600_NS6detail15normal_iteratorINSA_10device_ptrItEEEEPS6_NSA_18transform_iteratorINSB_9not_fun_tINSA_8identityItEEEESF_NSA_11use_defaultESM_EENS0_5tupleIJSF_S6_EEENSO_IJSG_SG_EEES6_PlJS6_EEE10hipError_tPvRmT3_T4_T5_T6_T7_T9_mT8_P12ihipStream_tbDpT10_ENKUlT_T0_E_clISt17integral_constantIbLb1EES1B_EEDaS16_S17_EUlS16_E_NS1_11comp_targetILNS1_3genE5ELNS1_11target_archE942ELNS1_3gpuE9ELNS1_3repE0EEENS1_30default_config_static_selectorELNS0_4arch9wavefront6targetE0EEEvT1_
		.amdhsa_group_segment_fixed_size 0
		.amdhsa_private_segment_fixed_size 0
		.amdhsa_kernarg_size 136
		.amdhsa_user_sgpr_count 2
		.amdhsa_user_sgpr_dispatch_ptr 0
		.amdhsa_user_sgpr_queue_ptr 0
		.amdhsa_user_sgpr_kernarg_segment_ptr 1
		.amdhsa_user_sgpr_dispatch_id 0
		.amdhsa_user_sgpr_private_segment_size 0
		.amdhsa_wavefront_size32 1
		.amdhsa_uses_dynamic_stack 0
		.amdhsa_enable_private_segment 0
		.amdhsa_system_sgpr_workgroup_id_x 1
		.amdhsa_system_sgpr_workgroup_id_y 0
		.amdhsa_system_sgpr_workgroup_id_z 0
		.amdhsa_system_sgpr_workgroup_info 0
		.amdhsa_system_vgpr_workitem_id 0
		.amdhsa_next_free_vgpr 1
		.amdhsa_next_free_sgpr 1
		.amdhsa_reserve_vcc 0
		.amdhsa_float_round_mode_32 0
		.amdhsa_float_round_mode_16_64 0
		.amdhsa_float_denorm_mode_32 3
		.amdhsa_float_denorm_mode_16_64 3
		.amdhsa_fp16_overflow 0
		.amdhsa_workgroup_processor_mode 1
		.amdhsa_memory_ordered 1
		.amdhsa_forward_progress 1
		.amdhsa_inst_pref_size 0
		.amdhsa_round_robin_scheduling 0
		.amdhsa_exception_fp_ieee_invalid_op 0
		.amdhsa_exception_fp_denorm_src 0
		.amdhsa_exception_fp_ieee_div_zero 0
		.amdhsa_exception_fp_ieee_overflow 0
		.amdhsa_exception_fp_ieee_underflow 0
		.amdhsa_exception_fp_ieee_inexact 0
		.amdhsa_exception_int_div_zero 0
	.end_amdhsa_kernel
	.section	.text._ZN7rocprim17ROCPRIM_400000_NS6detail17trampoline_kernelINS0_14default_configENS1_25partition_config_selectorILNS1_17partition_subalgoE5EtNS0_10empty_typeEbEEZZNS1_14partition_implILS5_5ELb0ES3_mN6thrust23THRUST_200600_302600_NS6detail15normal_iteratorINSA_10device_ptrItEEEEPS6_NSA_18transform_iteratorINSB_9not_fun_tINSA_8identityItEEEESF_NSA_11use_defaultESM_EENS0_5tupleIJSF_S6_EEENSO_IJSG_SG_EEES6_PlJS6_EEE10hipError_tPvRmT3_T4_T5_T6_T7_T9_mT8_P12ihipStream_tbDpT10_ENKUlT_T0_E_clISt17integral_constantIbLb1EES1B_EEDaS16_S17_EUlS16_E_NS1_11comp_targetILNS1_3genE5ELNS1_11target_archE942ELNS1_3gpuE9ELNS1_3repE0EEENS1_30default_config_static_selectorELNS0_4arch9wavefront6targetE0EEEvT1_,"axG",@progbits,_ZN7rocprim17ROCPRIM_400000_NS6detail17trampoline_kernelINS0_14default_configENS1_25partition_config_selectorILNS1_17partition_subalgoE5EtNS0_10empty_typeEbEEZZNS1_14partition_implILS5_5ELb0ES3_mN6thrust23THRUST_200600_302600_NS6detail15normal_iteratorINSA_10device_ptrItEEEEPS6_NSA_18transform_iteratorINSB_9not_fun_tINSA_8identityItEEEESF_NSA_11use_defaultESM_EENS0_5tupleIJSF_S6_EEENSO_IJSG_SG_EEES6_PlJS6_EEE10hipError_tPvRmT3_T4_T5_T6_T7_T9_mT8_P12ihipStream_tbDpT10_ENKUlT_T0_E_clISt17integral_constantIbLb1EES1B_EEDaS16_S17_EUlS16_E_NS1_11comp_targetILNS1_3genE5ELNS1_11target_archE942ELNS1_3gpuE9ELNS1_3repE0EEENS1_30default_config_static_selectorELNS0_4arch9wavefront6targetE0EEEvT1_,comdat
.Lfunc_end926:
	.size	_ZN7rocprim17ROCPRIM_400000_NS6detail17trampoline_kernelINS0_14default_configENS1_25partition_config_selectorILNS1_17partition_subalgoE5EtNS0_10empty_typeEbEEZZNS1_14partition_implILS5_5ELb0ES3_mN6thrust23THRUST_200600_302600_NS6detail15normal_iteratorINSA_10device_ptrItEEEEPS6_NSA_18transform_iteratorINSB_9not_fun_tINSA_8identityItEEEESF_NSA_11use_defaultESM_EENS0_5tupleIJSF_S6_EEENSO_IJSG_SG_EEES6_PlJS6_EEE10hipError_tPvRmT3_T4_T5_T6_T7_T9_mT8_P12ihipStream_tbDpT10_ENKUlT_T0_E_clISt17integral_constantIbLb1EES1B_EEDaS16_S17_EUlS16_E_NS1_11comp_targetILNS1_3genE5ELNS1_11target_archE942ELNS1_3gpuE9ELNS1_3repE0EEENS1_30default_config_static_selectorELNS0_4arch9wavefront6targetE0EEEvT1_, .Lfunc_end926-_ZN7rocprim17ROCPRIM_400000_NS6detail17trampoline_kernelINS0_14default_configENS1_25partition_config_selectorILNS1_17partition_subalgoE5EtNS0_10empty_typeEbEEZZNS1_14partition_implILS5_5ELb0ES3_mN6thrust23THRUST_200600_302600_NS6detail15normal_iteratorINSA_10device_ptrItEEEEPS6_NSA_18transform_iteratorINSB_9not_fun_tINSA_8identityItEEEESF_NSA_11use_defaultESM_EENS0_5tupleIJSF_S6_EEENSO_IJSG_SG_EEES6_PlJS6_EEE10hipError_tPvRmT3_T4_T5_T6_T7_T9_mT8_P12ihipStream_tbDpT10_ENKUlT_T0_E_clISt17integral_constantIbLb1EES1B_EEDaS16_S17_EUlS16_E_NS1_11comp_targetILNS1_3genE5ELNS1_11target_archE942ELNS1_3gpuE9ELNS1_3repE0EEENS1_30default_config_static_selectorELNS0_4arch9wavefront6targetE0EEEvT1_
                                        ; -- End function
	.set _ZN7rocprim17ROCPRIM_400000_NS6detail17trampoline_kernelINS0_14default_configENS1_25partition_config_selectorILNS1_17partition_subalgoE5EtNS0_10empty_typeEbEEZZNS1_14partition_implILS5_5ELb0ES3_mN6thrust23THRUST_200600_302600_NS6detail15normal_iteratorINSA_10device_ptrItEEEEPS6_NSA_18transform_iteratorINSB_9not_fun_tINSA_8identityItEEEESF_NSA_11use_defaultESM_EENS0_5tupleIJSF_S6_EEENSO_IJSG_SG_EEES6_PlJS6_EEE10hipError_tPvRmT3_T4_T5_T6_T7_T9_mT8_P12ihipStream_tbDpT10_ENKUlT_T0_E_clISt17integral_constantIbLb1EES1B_EEDaS16_S17_EUlS16_E_NS1_11comp_targetILNS1_3genE5ELNS1_11target_archE942ELNS1_3gpuE9ELNS1_3repE0EEENS1_30default_config_static_selectorELNS0_4arch9wavefront6targetE0EEEvT1_.num_vgpr, 0
	.set _ZN7rocprim17ROCPRIM_400000_NS6detail17trampoline_kernelINS0_14default_configENS1_25partition_config_selectorILNS1_17partition_subalgoE5EtNS0_10empty_typeEbEEZZNS1_14partition_implILS5_5ELb0ES3_mN6thrust23THRUST_200600_302600_NS6detail15normal_iteratorINSA_10device_ptrItEEEEPS6_NSA_18transform_iteratorINSB_9not_fun_tINSA_8identityItEEEESF_NSA_11use_defaultESM_EENS0_5tupleIJSF_S6_EEENSO_IJSG_SG_EEES6_PlJS6_EEE10hipError_tPvRmT3_T4_T5_T6_T7_T9_mT8_P12ihipStream_tbDpT10_ENKUlT_T0_E_clISt17integral_constantIbLb1EES1B_EEDaS16_S17_EUlS16_E_NS1_11comp_targetILNS1_3genE5ELNS1_11target_archE942ELNS1_3gpuE9ELNS1_3repE0EEENS1_30default_config_static_selectorELNS0_4arch9wavefront6targetE0EEEvT1_.num_agpr, 0
	.set _ZN7rocprim17ROCPRIM_400000_NS6detail17trampoline_kernelINS0_14default_configENS1_25partition_config_selectorILNS1_17partition_subalgoE5EtNS0_10empty_typeEbEEZZNS1_14partition_implILS5_5ELb0ES3_mN6thrust23THRUST_200600_302600_NS6detail15normal_iteratorINSA_10device_ptrItEEEEPS6_NSA_18transform_iteratorINSB_9not_fun_tINSA_8identityItEEEESF_NSA_11use_defaultESM_EENS0_5tupleIJSF_S6_EEENSO_IJSG_SG_EEES6_PlJS6_EEE10hipError_tPvRmT3_T4_T5_T6_T7_T9_mT8_P12ihipStream_tbDpT10_ENKUlT_T0_E_clISt17integral_constantIbLb1EES1B_EEDaS16_S17_EUlS16_E_NS1_11comp_targetILNS1_3genE5ELNS1_11target_archE942ELNS1_3gpuE9ELNS1_3repE0EEENS1_30default_config_static_selectorELNS0_4arch9wavefront6targetE0EEEvT1_.numbered_sgpr, 0
	.set _ZN7rocprim17ROCPRIM_400000_NS6detail17trampoline_kernelINS0_14default_configENS1_25partition_config_selectorILNS1_17partition_subalgoE5EtNS0_10empty_typeEbEEZZNS1_14partition_implILS5_5ELb0ES3_mN6thrust23THRUST_200600_302600_NS6detail15normal_iteratorINSA_10device_ptrItEEEEPS6_NSA_18transform_iteratorINSB_9not_fun_tINSA_8identityItEEEESF_NSA_11use_defaultESM_EENS0_5tupleIJSF_S6_EEENSO_IJSG_SG_EEES6_PlJS6_EEE10hipError_tPvRmT3_T4_T5_T6_T7_T9_mT8_P12ihipStream_tbDpT10_ENKUlT_T0_E_clISt17integral_constantIbLb1EES1B_EEDaS16_S17_EUlS16_E_NS1_11comp_targetILNS1_3genE5ELNS1_11target_archE942ELNS1_3gpuE9ELNS1_3repE0EEENS1_30default_config_static_selectorELNS0_4arch9wavefront6targetE0EEEvT1_.num_named_barrier, 0
	.set _ZN7rocprim17ROCPRIM_400000_NS6detail17trampoline_kernelINS0_14default_configENS1_25partition_config_selectorILNS1_17partition_subalgoE5EtNS0_10empty_typeEbEEZZNS1_14partition_implILS5_5ELb0ES3_mN6thrust23THRUST_200600_302600_NS6detail15normal_iteratorINSA_10device_ptrItEEEEPS6_NSA_18transform_iteratorINSB_9not_fun_tINSA_8identityItEEEESF_NSA_11use_defaultESM_EENS0_5tupleIJSF_S6_EEENSO_IJSG_SG_EEES6_PlJS6_EEE10hipError_tPvRmT3_T4_T5_T6_T7_T9_mT8_P12ihipStream_tbDpT10_ENKUlT_T0_E_clISt17integral_constantIbLb1EES1B_EEDaS16_S17_EUlS16_E_NS1_11comp_targetILNS1_3genE5ELNS1_11target_archE942ELNS1_3gpuE9ELNS1_3repE0EEENS1_30default_config_static_selectorELNS0_4arch9wavefront6targetE0EEEvT1_.private_seg_size, 0
	.set _ZN7rocprim17ROCPRIM_400000_NS6detail17trampoline_kernelINS0_14default_configENS1_25partition_config_selectorILNS1_17partition_subalgoE5EtNS0_10empty_typeEbEEZZNS1_14partition_implILS5_5ELb0ES3_mN6thrust23THRUST_200600_302600_NS6detail15normal_iteratorINSA_10device_ptrItEEEEPS6_NSA_18transform_iteratorINSB_9not_fun_tINSA_8identityItEEEESF_NSA_11use_defaultESM_EENS0_5tupleIJSF_S6_EEENSO_IJSG_SG_EEES6_PlJS6_EEE10hipError_tPvRmT3_T4_T5_T6_T7_T9_mT8_P12ihipStream_tbDpT10_ENKUlT_T0_E_clISt17integral_constantIbLb1EES1B_EEDaS16_S17_EUlS16_E_NS1_11comp_targetILNS1_3genE5ELNS1_11target_archE942ELNS1_3gpuE9ELNS1_3repE0EEENS1_30default_config_static_selectorELNS0_4arch9wavefront6targetE0EEEvT1_.uses_vcc, 0
	.set _ZN7rocprim17ROCPRIM_400000_NS6detail17trampoline_kernelINS0_14default_configENS1_25partition_config_selectorILNS1_17partition_subalgoE5EtNS0_10empty_typeEbEEZZNS1_14partition_implILS5_5ELb0ES3_mN6thrust23THRUST_200600_302600_NS6detail15normal_iteratorINSA_10device_ptrItEEEEPS6_NSA_18transform_iteratorINSB_9not_fun_tINSA_8identityItEEEESF_NSA_11use_defaultESM_EENS0_5tupleIJSF_S6_EEENSO_IJSG_SG_EEES6_PlJS6_EEE10hipError_tPvRmT3_T4_T5_T6_T7_T9_mT8_P12ihipStream_tbDpT10_ENKUlT_T0_E_clISt17integral_constantIbLb1EES1B_EEDaS16_S17_EUlS16_E_NS1_11comp_targetILNS1_3genE5ELNS1_11target_archE942ELNS1_3gpuE9ELNS1_3repE0EEENS1_30default_config_static_selectorELNS0_4arch9wavefront6targetE0EEEvT1_.uses_flat_scratch, 0
	.set _ZN7rocprim17ROCPRIM_400000_NS6detail17trampoline_kernelINS0_14default_configENS1_25partition_config_selectorILNS1_17partition_subalgoE5EtNS0_10empty_typeEbEEZZNS1_14partition_implILS5_5ELb0ES3_mN6thrust23THRUST_200600_302600_NS6detail15normal_iteratorINSA_10device_ptrItEEEEPS6_NSA_18transform_iteratorINSB_9not_fun_tINSA_8identityItEEEESF_NSA_11use_defaultESM_EENS0_5tupleIJSF_S6_EEENSO_IJSG_SG_EEES6_PlJS6_EEE10hipError_tPvRmT3_T4_T5_T6_T7_T9_mT8_P12ihipStream_tbDpT10_ENKUlT_T0_E_clISt17integral_constantIbLb1EES1B_EEDaS16_S17_EUlS16_E_NS1_11comp_targetILNS1_3genE5ELNS1_11target_archE942ELNS1_3gpuE9ELNS1_3repE0EEENS1_30default_config_static_selectorELNS0_4arch9wavefront6targetE0EEEvT1_.has_dyn_sized_stack, 0
	.set _ZN7rocprim17ROCPRIM_400000_NS6detail17trampoline_kernelINS0_14default_configENS1_25partition_config_selectorILNS1_17partition_subalgoE5EtNS0_10empty_typeEbEEZZNS1_14partition_implILS5_5ELb0ES3_mN6thrust23THRUST_200600_302600_NS6detail15normal_iteratorINSA_10device_ptrItEEEEPS6_NSA_18transform_iteratorINSB_9not_fun_tINSA_8identityItEEEESF_NSA_11use_defaultESM_EENS0_5tupleIJSF_S6_EEENSO_IJSG_SG_EEES6_PlJS6_EEE10hipError_tPvRmT3_T4_T5_T6_T7_T9_mT8_P12ihipStream_tbDpT10_ENKUlT_T0_E_clISt17integral_constantIbLb1EES1B_EEDaS16_S17_EUlS16_E_NS1_11comp_targetILNS1_3genE5ELNS1_11target_archE942ELNS1_3gpuE9ELNS1_3repE0EEENS1_30default_config_static_selectorELNS0_4arch9wavefront6targetE0EEEvT1_.has_recursion, 0
	.set _ZN7rocprim17ROCPRIM_400000_NS6detail17trampoline_kernelINS0_14default_configENS1_25partition_config_selectorILNS1_17partition_subalgoE5EtNS0_10empty_typeEbEEZZNS1_14partition_implILS5_5ELb0ES3_mN6thrust23THRUST_200600_302600_NS6detail15normal_iteratorINSA_10device_ptrItEEEEPS6_NSA_18transform_iteratorINSB_9not_fun_tINSA_8identityItEEEESF_NSA_11use_defaultESM_EENS0_5tupleIJSF_S6_EEENSO_IJSG_SG_EEES6_PlJS6_EEE10hipError_tPvRmT3_T4_T5_T6_T7_T9_mT8_P12ihipStream_tbDpT10_ENKUlT_T0_E_clISt17integral_constantIbLb1EES1B_EEDaS16_S17_EUlS16_E_NS1_11comp_targetILNS1_3genE5ELNS1_11target_archE942ELNS1_3gpuE9ELNS1_3repE0EEENS1_30default_config_static_selectorELNS0_4arch9wavefront6targetE0EEEvT1_.has_indirect_call, 0
	.section	.AMDGPU.csdata,"",@progbits
; Kernel info:
; codeLenInByte = 0
; TotalNumSgprs: 0
; NumVgprs: 0
; ScratchSize: 0
; MemoryBound: 0
; FloatMode: 240
; IeeeMode: 1
; LDSByteSize: 0 bytes/workgroup (compile time only)
; SGPRBlocks: 0
; VGPRBlocks: 0
; NumSGPRsForWavesPerEU: 1
; NumVGPRsForWavesPerEU: 1
; Occupancy: 16
; WaveLimiterHint : 0
; COMPUTE_PGM_RSRC2:SCRATCH_EN: 0
; COMPUTE_PGM_RSRC2:USER_SGPR: 2
; COMPUTE_PGM_RSRC2:TRAP_HANDLER: 0
; COMPUTE_PGM_RSRC2:TGID_X_EN: 1
; COMPUTE_PGM_RSRC2:TGID_Y_EN: 0
; COMPUTE_PGM_RSRC2:TGID_Z_EN: 0
; COMPUTE_PGM_RSRC2:TIDIG_COMP_CNT: 0
	.section	.text._ZN7rocprim17ROCPRIM_400000_NS6detail17trampoline_kernelINS0_14default_configENS1_25partition_config_selectorILNS1_17partition_subalgoE5EtNS0_10empty_typeEbEEZZNS1_14partition_implILS5_5ELb0ES3_mN6thrust23THRUST_200600_302600_NS6detail15normal_iteratorINSA_10device_ptrItEEEEPS6_NSA_18transform_iteratorINSB_9not_fun_tINSA_8identityItEEEESF_NSA_11use_defaultESM_EENS0_5tupleIJSF_S6_EEENSO_IJSG_SG_EEES6_PlJS6_EEE10hipError_tPvRmT3_T4_T5_T6_T7_T9_mT8_P12ihipStream_tbDpT10_ENKUlT_T0_E_clISt17integral_constantIbLb1EES1B_EEDaS16_S17_EUlS16_E_NS1_11comp_targetILNS1_3genE4ELNS1_11target_archE910ELNS1_3gpuE8ELNS1_3repE0EEENS1_30default_config_static_selectorELNS0_4arch9wavefront6targetE0EEEvT1_,"axG",@progbits,_ZN7rocprim17ROCPRIM_400000_NS6detail17trampoline_kernelINS0_14default_configENS1_25partition_config_selectorILNS1_17partition_subalgoE5EtNS0_10empty_typeEbEEZZNS1_14partition_implILS5_5ELb0ES3_mN6thrust23THRUST_200600_302600_NS6detail15normal_iteratorINSA_10device_ptrItEEEEPS6_NSA_18transform_iteratorINSB_9not_fun_tINSA_8identityItEEEESF_NSA_11use_defaultESM_EENS0_5tupleIJSF_S6_EEENSO_IJSG_SG_EEES6_PlJS6_EEE10hipError_tPvRmT3_T4_T5_T6_T7_T9_mT8_P12ihipStream_tbDpT10_ENKUlT_T0_E_clISt17integral_constantIbLb1EES1B_EEDaS16_S17_EUlS16_E_NS1_11comp_targetILNS1_3genE4ELNS1_11target_archE910ELNS1_3gpuE8ELNS1_3repE0EEENS1_30default_config_static_selectorELNS0_4arch9wavefront6targetE0EEEvT1_,comdat
	.protected	_ZN7rocprim17ROCPRIM_400000_NS6detail17trampoline_kernelINS0_14default_configENS1_25partition_config_selectorILNS1_17partition_subalgoE5EtNS0_10empty_typeEbEEZZNS1_14partition_implILS5_5ELb0ES3_mN6thrust23THRUST_200600_302600_NS6detail15normal_iteratorINSA_10device_ptrItEEEEPS6_NSA_18transform_iteratorINSB_9not_fun_tINSA_8identityItEEEESF_NSA_11use_defaultESM_EENS0_5tupleIJSF_S6_EEENSO_IJSG_SG_EEES6_PlJS6_EEE10hipError_tPvRmT3_T4_T5_T6_T7_T9_mT8_P12ihipStream_tbDpT10_ENKUlT_T0_E_clISt17integral_constantIbLb1EES1B_EEDaS16_S17_EUlS16_E_NS1_11comp_targetILNS1_3genE4ELNS1_11target_archE910ELNS1_3gpuE8ELNS1_3repE0EEENS1_30default_config_static_selectorELNS0_4arch9wavefront6targetE0EEEvT1_ ; -- Begin function _ZN7rocprim17ROCPRIM_400000_NS6detail17trampoline_kernelINS0_14default_configENS1_25partition_config_selectorILNS1_17partition_subalgoE5EtNS0_10empty_typeEbEEZZNS1_14partition_implILS5_5ELb0ES3_mN6thrust23THRUST_200600_302600_NS6detail15normal_iteratorINSA_10device_ptrItEEEEPS6_NSA_18transform_iteratorINSB_9not_fun_tINSA_8identityItEEEESF_NSA_11use_defaultESM_EENS0_5tupleIJSF_S6_EEENSO_IJSG_SG_EEES6_PlJS6_EEE10hipError_tPvRmT3_T4_T5_T6_T7_T9_mT8_P12ihipStream_tbDpT10_ENKUlT_T0_E_clISt17integral_constantIbLb1EES1B_EEDaS16_S17_EUlS16_E_NS1_11comp_targetILNS1_3genE4ELNS1_11target_archE910ELNS1_3gpuE8ELNS1_3repE0EEENS1_30default_config_static_selectorELNS0_4arch9wavefront6targetE0EEEvT1_
	.globl	_ZN7rocprim17ROCPRIM_400000_NS6detail17trampoline_kernelINS0_14default_configENS1_25partition_config_selectorILNS1_17partition_subalgoE5EtNS0_10empty_typeEbEEZZNS1_14partition_implILS5_5ELb0ES3_mN6thrust23THRUST_200600_302600_NS6detail15normal_iteratorINSA_10device_ptrItEEEEPS6_NSA_18transform_iteratorINSB_9not_fun_tINSA_8identityItEEEESF_NSA_11use_defaultESM_EENS0_5tupleIJSF_S6_EEENSO_IJSG_SG_EEES6_PlJS6_EEE10hipError_tPvRmT3_T4_T5_T6_T7_T9_mT8_P12ihipStream_tbDpT10_ENKUlT_T0_E_clISt17integral_constantIbLb1EES1B_EEDaS16_S17_EUlS16_E_NS1_11comp_targetILNS1_3genE4ELNS1_11target_archE910ELNS1_3gpuE8ELNS1_3repE0EEENS1_30default_config_static_selectorELNS0_4arch9wavefront6targetE0EEEvT1_
	.p2align	8
	.type	_ZN7rocprim17ROCPRIM_400000_NS6detail17trampoline_kernelINS0_14default_configENS1_25partition_config_selectorILNS1_17partition_subalgoE5EtNS0_10empty_typeEbEEZZNS1_14partition_implILS5_5ELb0ES3_mN6thrust23THRUST_200600_302600_NS6detail15normal_iteratorINSA_10device_ptrItEEEEPS6_NSA_18transform_iteratorINSB_9not_fun_tINSA_8identityItEEEESF_NSA_11use_defaultESM_EENS0_5tupleIJSF_S6_EEENSO_IJSG_SG_EEES6_PlJS6_EEE10hipError_tPvRmT3_T4_T5_T6_T7_T9_mT8_P12ihipStream_tbDpT10_ENKUlT_T0_E_clISt17integral_constantIbLb1EES1B_EEDaS16_S17_EUlS16_E_NS1_11comp_targetILNS1_3genE4ELNS1_11target_archE910ELNS1_3gpuE8ELNS1_3repE0EEENS1_30default_config_static_selectorELNS0_4arch9wavefront6targetE0EEEvT1_,@function
_ZN7rocprim17ROCPRIM_400000_NS6detail17trampoline_kernelINS0_14default_configENS1_25partition_config_selectorILNS1_17partition_subalgoE5EtNS0_10empty_typeEbEEZZNS1_14partition_implILS5_5ELb0ES3_mN6thrust23THRUST_200600_302600_NS6detail15normal_iteratorINSA_10device_ptrItEEEEPS6_NSA_18transform_iteratorINSB_9not_fun_tINSA_8identityItEEEESF_NSA_11use_defaultESM_EENS0_5tupleIJSF_S6_EEENSO_IJSG_SG_EEES6_PlJS6_EEE10hipError_tPvRmT3_T4_T5_T6_T7_T9_mT8_P12ihipStream_tbDpT10_ENKUlT_T0_E_clISt17integral_constantIbLb1EES1B_EEDaS16_S17_EUlS16_E_NS1_11comp_targetILNS1_3genE4ELNS1_11target_archE910ELNS1_3gpuE8ELNS1_3repE0EEENS1_30default_config_static_selectorELNS0_4arch9wavefront6targetE0EEEvT1_: ; @_ZN7rocprim17ROCPRIM_400000_NS6detail17trampoline_kernelINS0_14default_configENS1_25partition_config_selectorILNS1_17partition_subalgoE5EtNS0_10empty_typeEbEEZZNS1_14partition_implILS5_5ELb0ES3_mN6thrust23THRUST_200600_302600_NS6detail15normal_iteratorINSA_10device_ptrItEEEEPS6_NSA_18transform_iteratorINSB_9not_fun_tINSA_8identityItEEEESF_NSA_11use_defaultESM_EENS0_5tupleIJSF_S6_EEENSO_IJSG_SG_EEES6_PlJS6_EEE10hipError_tPvRmT3_T4_T5_T6_T7_T9_mT8_P12ihipStream_tbDpT10_ENKUlT_T0_E_clISt17integral_constantIbLb1EES1B_EEDaS16_S17_EUlS16_E_NS1_11comp_targetILNS1_3genE4ELNS1_11target_archE910ELNS1_3gpuE8ELNS1_3repE0EEENS1_30default_config_static_selectorELNS0_4arch9wavefront6targetE0EEEvT1_
; %bb.0:
	.section	.rodata,"a",@progbits
	.p2align	6, 0x0
	.amdhsa_kernel _ZN7rocprim17ROCPRIM_400000_NS6detail17trampoline_kernelINS0_14default_configENS1_25partition_config_selectorILNS1_17partition_subalgoE5EtNS0_10empty_typeEbEEZZNS1_14partition_implILS5_5ELb0ES3_mN6thrust23THRUST_200600_302600_NS6detail15normal_iteratorINSA_10device_ptrItEEEEPS6_NSA_18transform_iteratorINSB_9not_fun_tINSA_8identityItEEEESF_NSA_11use_defaultESM_EENS0_5tupleIJSF_S6_EEENSO_IJSG_SG_EEES6_PlJS6_EEE10hipError_tPvRmT3_T4_T5_T6_T7_T9_mT8_P12ihipStream_tbDpT10_ENKUlT_T0_E_clISt17integral_constantIbLb1EES1B_EEDaS16_S17_EUlS16_E_NS1_11comp_targetILNS1_3genE4ELNS1_11target_archE910ELNS1_3gpuE8ELNS1_3repE0EEENS1_30default_config_static_selectorELNS0_4arch9wavefront6targetE0EEEvT1_
		.amdhsa_group_segment_fixed_size 0
		.amdhsa_private_segment_fixed_size 0
		.amdhsa_kernarg_size 136
		.amdhsa_user_sgpr_count 2
		.amdhsa_user_sgpr_dispatch_ptr 0
		.amdhsa_user_sgpr_queue_ptr 0
		.amdhsa_user_sgpr_kernarg_segment_ptr 1
		.amdhsa_user_sgpr_dispatch_id 0
		.amdhsa_user_sgpr_private_segment_size 0
		.amdhsa_wavefront_size32 1
		.amdhsa_uses_dynamic_stack 0
		.amdhsa_enable_private_segment 0
		.amdhsa_system_sgpr_workgroup_id_x 1
		.amdhsa_system_sgpr_workgroup_id_y 0
		.amdhsa_system_sgpr_workgroup_id_z 0
		.amdhsa_system_sgpr_workgroup_info 0
		.amdhsa_system_vgpr_workitem_id 0
		.amdhsa_next_free_vgpr 1
		.amdhsa_next_free_sgpr 1
		.amdhsa_reserve_vcc 0
		.amdhsa_float_round_mode_32 0
		.amdhsa_float_round_mode_16_64 0
		.amdhsa_float_denorm_mode_32 3
		.amdhsa_float_denorm_mode_16_64 3
		.amdhsa_fp16_overflow 0
		.amdhsa_workgroup_processor_mode 1
		.amdhsa_memory_ordered 1
		.amdhsa_forward_progress 1
		.amdhsa_inst_pref_size 0
		.amdhsa_round_robin_scheduling 0
		.amdhsa_exception_fp_ieee_invalid_op 0
		.amdhsa_exception_fp_denorm_src 0
		.amdhsa_exception_fp_ieee_div_zero 0
		.amdhsa_exception_fp_ieee_overflow 0
		.amdhsa_exception_fp_ieee_underflow 0
		.amdhsa_exception_fp_ieee_inexact 0
		.amdhsa_exception_int_div_zero 0
	.end_amdhsa_kernel
	.section	.text._ZN7rocprim17ROCPRIM_400000_NS6detail17trampoline_kernelINS0_14default_configENS1_25partition_config_selectorILNS1_17partition_subalgoE5EtNS0_10empty_typeEbEEZZNS1_14partition_implILS5_5ELb0ES3_mN6thrust23THRUST_200600_302600_NS6detail15normal_iteratorINSA_10device_ptrItEEEEPS6_NSA_18transform_iteratorINSB_9not_fun_tINSA_8identityItEEEESF_NSA_11use_defaultESM_EENS0_5tupleIJSF_S6_EEENSO_IJSG_SG_EEES6_PlJS6_EEE10hipError_tPvRmT3_T4_T5_T6_T7_T9_mT8_P12ihipStream_tbDpT10_ENKUlT_T0_E_clISt17integral_constantIbLb1EES1B_EEDaS16_S17_EUlS16_E_NS1_11comp_targetILNS1_3genE4ELNS1_11target_archE910ELNS1_3gpuE8ELNS1_3repE0EEENS1_30default_config_static_selectorELNS0_4arch9wavefront6targetE0EEEvT1_,"axG",@progbits,_ZN7rocprim17ROCPRIM_400000_NS6detail17trampoline_kernelINS0_14default_configENS1_25partition_config_selectorILNS1_17partition_subalgoE5EtNS0_10empty_typeEbEEZZNS1_14partition_implILS5_5ELb0ES3_mN6thrust23THRUST_200600_302600_NS6detail15normal_iteratorINSA_10device_ptrItEEEEPS6_NSA_18transform_iteratorINSB_9not_fun_tINSA_8identityItEEEESF_NSA_11use_defaultESM_EENS0_5tupleIJSF_S6_EEENSO_IJSG_SG_EEES6_PlJS6_EEE10hipError_tPvRmT3_T4_T5_T6_T7_T9_mT8_P12ihipStream_tbDpT10_ENKUlT_T0_E_clISt17integral_constantIbLb1EES1B_EEDaS16_S17_EUlS16_E_NS1_11comp_targetILNS1_3genE4ELNS1_11target_archE910ELNS1_3gpuE8ELNS1_3repE0EEENS1_30default_config_static_selectorELNS0_4arch9wavefront6targetE0EEEvT1_,comdat
.Lfunc_end927:
	.size	_ZN7rocprim17ROCPRIM_400000_NS6detail17trampoline_kernelINS0_14default_configENS1_25partition_config_selectorILNS1_17partition_subalgoE5EtNS0_10empty_typeEbEEZZNS1_14partition_implILS5_5ELb0ES3_mN6thrust23THRUST_200600_302600_NS6detail15normal_iteratorINSA_10device_ptrItEEEEPS6_NSA_18transform_iteratorINSB_9not_fun_tINSA_8identityItEEEESF_NSA_11use_defaultESM_EENS0_5tupleIJSF_S6_EEENSO_IJSG_SG_EEES6_PlJS6_EEE10hipError_tPvRmT3_T4_T5_T6_T7_T9_mT8_P12ihipStream_tbDpT10_ENKUlT_T0_E_clISt17integral_constantIbLb1EES1B_EEDaS16_S17_EUlS16_E_NS1_11comp_targetILNS1_3genE4ELNS1_11target_archE910ELNS1_3gpuE8ELNS1_3repE0EEENS1_30default_config_static_selectorELNS0_4arch9wavefront6targetE0EEEvT1_, .Lfunc_end927-_ZN7rocprim17ROCPRIM_400000_NS6detail17trampoline_kernelINS0_14default_configENS1_25partition_config_selectorILNS1_17partition_subalgoE5EtNS0_10empty_typeEbEEZZNS1_14partition_implILS5_5ELb0ES3_mN6thrust23THRUST_200600_302600_NS6detail15normal_iteratorINSA_10device_ptrItEEEEPS6_NSA_18transform_iteratorINSB_9not_fun_tINSA_8identityItEEEESF_NSA_11use_defaultESM_EENS0_5tupleIJSF_S6_EEENSO_IJSG_SG_EEES6_PlJS6_EEE10hipError_tPvRmT3_T4_T5_T6_T7_T9_mT8_P12ihipStream_tbDpT10_ENKUlT_T0_E_clISt17integral_constantIbLb1EES1B_EEDaS16_S17_EUlS16_E_NS1_11comp_targetILNS1_3genE4ELNS1_11target_archE910ELNS1_3gpuE8ELNS1_3repE0EEENS1_30default_config_static_selectorELNS0_4arch9wavefront6targetE0EEEvT1_
                                        ; -- End function
	.set _ZN7rocprim17ROCPRIM_400000_NS6detail17trampoline_kernelINS0_14default_configENS1_25partition_config_selectorILNS1_17partition_subalgoE5EtNS0_10empty_typeEbEEZZNS1_14partition_implILS5_5ELb0ES3_mN6thrust23THRUST_200600_302600_NS6detail15normal_iteratorINSA_10device_ptrItEEEEPS6_NSA_18transform_iteratorINSB_9not_fun_tINSA_8identityItEEEESF_NSA_11use_defaultESM_EENS0_5tupleIJSF_S6_EEENSO_IJSG_SG_EEES6_PlJS6_EEE10hipError_tPvRmT3_T4_T5_T6_T7_T9_mT8_P12ihipStream_tbDpT10_ENKUlT_T0_E_clISt17integral_constantIbLb1EES1B_EEDaS16_S17_EUlS16_E_NS1_11comp_targetILNS1_3genE4ELNS1_11target_archE910ELNS1_3gpuE8ELNS1_3repE0EEENS1_30default_config_static_selectorELNS0_4arch9wavefront6targetE0EEEvT1_.num_vgpr, 0
	.set _ZN7rocprim17ROCPRIM_400000_NS6detail17trampoline_kernelINS0_14default_configENS1_25partition_config_selectorILNS1_17partition_subalgoE5EtNS0_10empty_typeEbEEZZNS1_14partition_implILS5_5ELb0ES3_mN6thrust23THRUST_200600_302600_NS6detail15normal_iteratorINSA_10device_ptrItEEEEPS6_NSA_18transform_iteratorINSB_9not_fun_tINSA_8identityItEEEESF_NSA_11use_defaultESM_EENS0_5tupleIJSF_S6_EEENSO_IJSG_SG_EEES6_PlJS6_EEE10hipError_tPvRmT3_T4_T5_T6_T7_T9_mT8_P12ihipStream_tbDpT10_ENKUlT_T0_E_clISt17integral_constantIbLb1EES1B_EEDaS16_S17_EUlS16_E_NS1_11comp_targetILNS1_3genE4ELNS1_11target_archE910ELNS1_3gpuE8ELNS1_3repE0EEENS1_30default_config_static_selectorELNS0_4arch9wavefront6targetE0EEEvT1_.num_agpr, 0
	.set _ZN7rocprim17ROCPRIM_400000_NS6detail17trampoline_kernelINS0_14default_configENS1_25partition_config_selectorILNS1_17partition_subalgoE5EtNS0_10empty_typeEbEEZZNS1_14partition_implILS5_5ELb0ES3_mN6thrust23THRUST_200600_302600_NS6detail15normal_iteratorINSA_10device_ptrItEEEEPS6_NSA_18transform_iteratorINSB_9not_fun_tINSA_8identityItEEEESF_NSA_11use_defaultESM_EENS0_5tupleIJSF_S6_EEENSO_IJSG_SG_EEES6_PlJS6_EEE10hipError_tPvRmT3_T4_T5_T6_T7_T9_mT8_P12ihipStream_tbDpT10_ENKUlT_T0_E_clISt17integral_constantIbLb1EES1B_EEDaS16_S17_EUlS16_E_NS1_11comp_targetILNS1_3genE4ELNS1_11target_archE910ELNS1_3gpuE8ELNS1_3repE0EEENS1_30default_config_static_selectorELNS0_4arch9wavefront6targetE0EEEvT1_.numbered_sgpr, 0
	.set _ZN7rocprim17ROCPRIM_400000_NS6detail17trampoline_kernelINS0_14default_configENS1_25partition_config_selectorILNS1_17partition_subalgoE5EtNS0_10empty_typeEbEEZZNS1_14partition_implILS5_5ELb0ES3_mN6thrust23THRUST_200600_302600_NS6detail15normal_iteratorINSA_10device_ptrItEEEEPS6_NSA_18transform_iteratorINSB_9not_fun_tINSA_8identityItEEEESF_NSA_11use_defaultESM_EENS0_5tupleIJSF_S6_EEENSO_IJSG_SG_EEES6_PlJS6_EEE10hipError_tPvRmT3_T4_T5_T6_T7_T9_mT8_P12ihipStream_tbDpT10_ENKUlT_T0_E_clISt17integral_constantIbLb1EES1B_EEDaS16_S17_EUlS16_E_NS1_11comp_targetILNS1_3genE4ELNS1_11target_archE910ELNS1_3gpuE8ELNS1_3repE0EEENS1_30default_config_static_selectorELNS0_4arch9wavefront6targetE0EEEvT1_.num_named_barrier, 0
	.set _ZN7rocprim17ROCPRIM_400000_NS6detail17trampoline_kernelINS0_14default_configENS1_25partition_config_selectorILNS1_17partition_subalgoE5EtNS0_10empty_typeEbEEZZNS1_14partition_implILS5_5ELb0ES3_mN6thrust23THRUST_200600_302600_NS6detail15normal_iteratorINSA_10device_ptrItEEEEPS6_NSA_18transform_iteratorINSB_9not_fun_tINSA_8identityItEEEESF_NSA_11use_defaultESM_EENS0_5tupleIJSF_S6_EEENSO_IJSG_SG_EEES6_PlJS6_EEE10hipError_tPvRmT3_T4_T5_T6_T7_T9_mT8_P12ihipStream_tbDpT10_ENKUlT_T0_E_clISt17integral_constantIbLb1EES1B_EEDaS16_S17_EUlS16_E_NS1_11comp_targetILNS1_3genE4ELNS1_11target_archE910ELNS1_3gpuE8ELNS1_3repE0EEENS1_30default_config_static_selectorELNS0_4arch9wavefront6targetE0EEEvT1_.private_seg_size, 0
	.set _ZN7rocprim17ROCPRIM_400000_NS6detail17trampoline_kernelINS0_14default_configENS1_25partition_config_selectorILNS1_17partition_subalgoE5EtNS0_10empty_typeEbEEZZNS1_14partition_implILS5_5ELb0ES3_mN6thrust23THRUST_200600_302600_NS6detail15normal_iteratorINSA_10device_ptrItEEEEPS6_NSA_18transform_iteratorINSB_9not_fun_tINSA_8identityItEEEESF_NSA_11use_defaultESM_EENS0_5tupleIJSF_S6_EEENSO_IJSG_SG_EEES6_PlJS6_EEE10hipError_tPvRmT3_T4_T5_T6_T7_T9_mT8_P12ihipStream_tbDpT10_ENKUlT_T0_E_clISt17integral_constantIbLb1EES1B_EEDaS16_S17_EUlS16_E_NS1_11comp_targetILNS1_3genE4ELNS1_11target_archE910ELNS1_3gpuE8ELNS1_3repE0EEENS1_30default_config_static_selectorELNS0_4arch9wavefront6targetE0EEEvT1_.uses_vcc, 0
	.set _ZN7rocprim17ROCPRIM_400000_NS6detail17trampoline_kernelINS0_14default_configENS1_25partition_config_selectorILNS1_17partition_subalgoE5EtNS0_10empty_typeEbEEZZNS1_14partition_implILS5_5ELb0ES3_mN6thrust23THRUST_200600_302600_NS6detail15normal_iteratorINSA_10device_ptrItEEEEPS6_NSA_18transform_iteratorINSB_9not_fun_tINSA_8identityItEEEESF_NSA_11use_defaultESM_EENS0_5tupleIJSF_S6_EEENSO_IJSG_SG_EEES6_PlJS6_EEE10hipError_tPvRmT3_T4_T5_T6_T7_T9_mT8_P12ihipStream_tbDpT10_ENKUlT_T0_E_clISt17integral_constantIbLb1EES1B_EEDaS16_S17_EUlS16_E_NS1_11comp_targetILNS1_3genE4ELNS1_11target_archE910ELNS1_3gpuE8ELNS1_3repE0EEENS1_30default_config_static_selectorELNS0_4arch9wavefront6targetE0EEEvT1_.uses_flat_scratch, 0
	.set _ZN7rocprim17ROCPRIM_400000_NS6detail17trampoline_kernelINS0_14default_configENS1_25partition_config_selectorILNS1_17partition_subalgoE5EtNS0_10empty_typeEbEEZZNS1_14partition_implILS5_5ELb0ES3_mN6thrust23THRUST_200600_302600_NS6detail15normal_iteratorINSA_10device_ptrItEEEEPS6_NSA_18transform_iteratorINSB_9not_fun_tINSA_8identityItEEEESF_NSA_11use_defaultESM_EENS0_5tupleIJSF_S6_EEENSO_IJSG_SG_EEES6_PlJS6_EEE10hipError_tPvRmT3_T4_T5_T6_T7_T9_mT8_P12ihipStream_tbDpT10_ENKUlT_T0_E_clISt17integral_constantIbLb1EES1B_EEDaS16_S17_EUlS16_E_NS1_11comp_targetILNS1_3genE4ELNS1_11target_archE910ELNS1_3gpuE8ELNS1_3repE0EEENS1_30default_config_static_selectorELNS0_4arch9wavefront6targetE0EEEvT1_.has_dyn_sized_stack, 0
	.set _ZN7rocprim17ROCPRIM_400000_NS6detail17trampoline_kernelINS0_14default_configENS1_25partition_config_selectorILNS1_17partition_subalgoE5EtNS0_10empty_typeEbEEZZNS1_14partition_implILS5_5ELb0ES3_mN6thrust23THRUST_200600_302600_NS6detail15normal_iteratorINSA_10device_ptrItEEEEPS6_NSA_18transform_iteratorINSB_9not_fun_tINSA_8identityItEEEESF_NSA_11use_defaultESM_EENS0_5tupleIJSF_S6_EEENSO_IJSG_SG_EEES6_PlJS6_EEE10hipError_tPvRmT3_T4_T5_T6_T7_T9_mT8_P12ihipStream_tbDpT10_ENKUlT_T0_E_clISt17integral_constantIbLb1EES1B_EEDaS16_S17_EUlS16_E_NS1_11comp_targetILNS1_3genE4ELNS1_11target_archE910ELNS1_3gpuE8ELNS1_3repE0EEENS1_30default_config_static_selectorELNS0_4arch9wavefront6targetE0EEEvT1_.has_recursion, 0
	.set _ZN7rocprim17ROCPRIM_400000_NS6detail17trampoline_kernelINS0_14default_configENS1_25partition_config_selectorILNS1_17partition_subalgoE5EtNS0_10empty_typeEbEEZZNS1_14partition_implILS5_5ELb0ES3_mN6thrust23THRUST_200600_302600_NS6detail15normal_iteratorINSA_10device_ptrItEEEEPS6_NSA_18transform_iteratorINSB_9not_fun_tINSA_8identityItEEEESF_NSA_11use_defaultESM_EENS0_5tupleIJSF_S6_EEENSO_IJSG_SG_EEES6_PlJS6_EEE10hipError_tPvRmT3_T4_T5_T6_T7_T9_mT8_P12ihipStream_tbDpT10_ENKUlT_T0_E_clISt17integral_constantIbLb1EES1B_EEDaS16_S17_EUlS16_E_NS1_11comp_targetILNS1_3genE4ELNS1_11target_archE910ELNS1_3gpuE8ELNS1_3repE0EEENS1_30default_config_static_selectorELNS0_4arch9wavefront6targetE0EEEvT1_.has_indirect_call, 0
	.section	.AMDGPU.csdata,"",@progbits
; Kernel info:
; codeLenInByte = 0
; TotalNumSgprs: 0
; NumVgprs: 0
; ScratchSize: 0
; MemoryBound: 0
; FloatMode: 240
; IeeeMode: 1
; LDSByteSize: 0 bytes/workgroup (compile time only)
; SGPRBlocks: 0
; VGPRBlocks: 0
; NumSGPRsForWavesPerEU: 1
; NumVGPRsForWavesPerEU: 1
; Occupancy: 16
; WaveLimiterHint : 0
; COMPUTE_PGM_RSRC2:SCRATCH_EN: 0
; COMPUTE_PGM_RSRC2:USER_SGPR: 2
; COMPUTE_PGM_RSRC2:TRAP_HANDLER: 0
; COMPUTE_PGM_RSRC2:TGID_X_EN: 1
; COMPUTE_PGM_RSRC2:TGID_Y_EN: 0
; COMPUTE_PGM_RSRC2:TGID_Z_EN: 0
; COMPUTE_PGM_RSRC2:TIDIG_COMP_CNT: 0
	.section	.text._ZN7rocprim17ROCPRIM_400000_NS6detail17trampoline_kernelINS0_14default_configENS1_25partition_config_selectorILNS1_17partition_subalgoE5EtNS0_10empty_typeEbEEZZNS1_14partition_implILS5_5ELb0ES3_mN6thrust23THRUST_200600_302600_NS6detail15normal_iteratorINSA_10device_ptrItEEEEPS6_NSA_18transform_iteratorINSB_9not_fun_tINSA_8identityItEEEESF_NSA_11use_defaultESM_EENS0_5tupleIJSF_S6_EEENSO_IJSG_SG_EEES6_PlJS6_EEE10hipError_tPvRmT3_T4_T5_T6_T7_T9_mT8_P12ihipStream_tbDpT10_ENKUlT_T0_E_clISt17integral_constantIbLb1EES1B_EEDaS16_S17_EUlS16_E_NS1_11comp_targetILNS1_3genE3ELNS1_11target_archE908ELNS1_3gpuE7ELNS1_3repE0EEENS1_30default_config_static_selectorELNS0_4arch9wavefront6targetE0EEEvT1_,"axG",@progbits,_ZN7rocprim17ROCPRIM_400000_NS6detail17trampoline_kernelINS0_14default_configENS1_25partition_config_selectorILNS1_17partition_subalgoE5EtNS0_10empty_typeEbEEZZNS1_14partition_implILS5_5ELb0ES3_mN6thrust23THRUST_200600_302600_NS6detail15normal_iteratorINSA_10device_ptrItEEEEPS6_NSA_18transform_iteratorINSB_9not_fun_tINSA_8identityItEEEESF_NSA_11use_defaultESM_EENS0_5tupleIJSF_S6_EEENSO_IJSG_SG_EEES6_PlJS6_EEE10hipError_tPvRmT3_T4_T5_T6_T7_T9_mT8_P12ihipStream_tbDpT10_ENKUlT_T0_E_clISt17integral_constantIbLb1EES1B_EEDaS16_S17_EUlS16_E_NS1_11comp_targetILNS1_3genE3ELNS1_11target_archE908ELNS1_3gpuE7ELNS1_3repE0EEENS1_30default_config_static_selectorELNS0_4arch9wavefront6targetE0EEEvT1_,comdat
	.protected	_ZN7rocprim17ROCPRIM_400000_NS6detail17trampoline_kernelINS0_14default_configENS1_25partition_config_selectorILNS1_17partition_subalgoE5EtNS0_10empty_typeEbEEZZNS1_14partition_implILS5_5ELb0ES3_mN6thrust23THRUST_200600_302600_NS6detail15normal_iteratorINSA_10device_ptrItEEEEPS6_NSA_18transform_iteratorINSB_9not_fun_tINSA_8identityItEEEESF_NSA_11use_defaultESM_EENS0_5tupleIJSF_S6_EEENSO_IJSG_SG_EEES6_PlJS6_EEE10hipError_tPvRmT3_T4_T5_T6_T7_T9_mT8_P12ihipStream_tbDpT10_ENKUlT_T0_E_clISt17integral_constantIbLb1EES1B_EEDaS16_S17_EUlS16_E_NS1_11comp_targetILNS1_3genE3ELNS1_11target_archE908ELNS1_3gpuE7ELNS1_3repE0EEENS1_30default_config_static_selectorELNS0_4arch9wavefront6targetE0EEEvT1_ ; -- Begin function _ZN7rocprim17ROCPRIM_400000_NS6detail17trampoline_kernelINS0_14default_configENS1_25partition_config_selectorILNS1_17partition_subalgoE5EtNS0_10empty_typeEbEEZZNS1_14partition_implILS5_5ELb0ES3_mN6thrust23THRUST_200600_302600_NS6detail15normal_iteratorINSA_10device_ptrItEEEEPS6_NSA_18transform_iteratorINSB_9not_fun_tINSA_8identityItEEEESF_NSA_11use_defaultESM_EENS0_5tupleIJSF_S6_EEENSO_IJSG_SG_EEES6_PlJS6_EEE10hipError_tPvRmT3_T4_T5_T6_T7_T9_mT8_P12ihipStream_tbDpT10_ENKUlT_T0_E_clISt17integral_constantIbLb1EES1B_EEDaS16_S17_EUlS16_E_NS1_11comp_targetILNS1_3genE3ELNS1_11target_archE908ELNS1_3gpuE7ELNS1_3repE0EEENS1_30default_config_static_selectorELNS0_4arch9wavefront6targetE0EEEvT1_
	.globl	_ZN7rocprim17ROCPRIM_400000_NS6detail17trampoline_kernelINS0_14default_configENS1_25partition_config_selectorILNS1_17partition_subalgoE5EtNS0_10empty_typeEbEEZZNS1_14partition_implILS5_5ELb0ES3_mN6thrust23THRUST_200600_302600_NS6detail15normal_iteratorINSA_10device_ptrItEEEEPS6_NSA_18transform_iteratorINSB_9not_fun_tINSA_8identityItEEEESF_NSA_11use_defaultESM_EENS0_5tupleIJSF_S6_EEENSO_IJSG_SG_EEES6_PlJS6_EEE10hipError_tPvRmT3_T4_T5_T6_T7_T9_mT8_P12ihipStream_tbDpT10_ENKUlT_T0_E_clISt17integral_constantIbLb1EES1B_EEDaS16_S17_EUlS16_E_NS1_11comp_targetILNS1_3genE3ELNS1_11target_archE908ELNS1_3gpuE7ELNS1_3repE0EEENS1_30default_config_static_selectorELNS0_4arch9wavefront6targetE0EEEvT1_
	.p2align	8
	.type	_ZN7rocprim17ROCPRIM_400000_NS6detail17trampoline_kernelINS0_14default_configENS1_25partition_config_selectorILNS1_17partition_subalgoE5EtNS0_10empty_typeEbEEZZNS1_14partition_implILS5_5ELb0ES3_mN6thrust23THRUST_200600_302600_NS6detail15normal_iteratorINSA_10device_ptrItEEEEPS6_NSA_18transform_iteratorINSB_9not_fun_tINSA_8identityItEEEESF_NSA_11use_defaultESM_EENS0_5tupleIJSF_S6_EEENSO_IJSG_SG_EEES6_PlJS6_EEE10hipError_tPvRmT3_T4_T5_T6_T7_T9_mT8_P12ihipStream_tbDpT10_ENKUlT_T0_E_clISt17integral_constantIbLb1EES1B_EEDaS16_S17_EUlS16_E_NS1_11comp_targetILNS1_3genE3ELNS1_11target_archE908ELNS1_3gpuE7ELNS1_3repE0EEENS1_30default_config_static_selectorELNS0_4arch9wavefront6targetE0EEEvT1_,@function
_ZN7rocprim17ROCPRIM_400000_NS6detail17trampoline_kernelINS0_14default_configENS1_25partition_config_selectorILNS1_17partition_subalgoE5EtNS0_10empty_typeEbEEZZNS1_14partition_implILS5_5ELb0ES3_mN6thrust23THRUST_200600_302600_NS6detail15normal_iteratorINSA_10device_ptrItEEEEPS6_NSA_18transform_iteratorINSB_9not_fun_tINSA_8identityItEEEESF_NSA_11use_defaultESM_EENS0_5tupleIJSF_S6_EEENSO_IJSG_SG_EEES6_PlJS6_EEE10hipError_tPvRmT3_T4_T5_T6_T7_T9_mT8_P12ihipStream_tbDpT10_ENKUlT_T0_E_clISt17integral_constantIbLb1EES1B_EEDaS16_S17_EUlS16_E_NS1_11comp_targetILNS1_3genE3ELNS1_11target_archE908ELNS1_3gpuE7ELNS1_3repE0EEENS1_30default_config_static_selectorELNS0_4arch9wavefront6targetE0EEEvT1_: ; @_ZN7rocprim17ROCPRIM_400000_NS6detail17trampoline_kernelINS0_14default_configENS1_25partition_config_selectorILNS1_17partition_subalgoE5EtNS0_10empty_typeEbEEZZNS1_14partition_implILS5_5ELb0ES3_mN6thrust23THRUST_200600_302600_NS6detail15normal_iteratorINSA_10device_ptrItEEEEPS6_NSA_18transform_iteratorINSB_9not_fun_tINSA_8identityItEEEESF_NSA_11use_defaultESM_EENS0_5tupleIJSF_S6_EEENSO_IJSG_SG_EEES6_PlJS6_EEE10hipError_tPvRmT3_T4_T5_T6_T7_T9_mT8_P12ihipStream_tbDpT10_ENKUlT_T0_E_clISt17integral_constantIbLb1EES1B_EEDaS16_S17_EUlS16_E_NS1_11comp_targetILNS1_3genE3ELNS1_11target_archE908ELNS1_3gpuE7ELNS1_3repE0EEENS1_30default_config_static_selectorELNS0_4arch9wavefront6targetE0EEEvT1_
; %bb.0:
	.section	.rodata,"a",@progbits
	.p2align	6, 0x0
	.amdhsa_kernel _ZN7rocprim17ROCPRIM_400000_NS6detail17trampoline_kernelINS0_14default_configENS1_25partition_config_selectorILNS1_17partition_subalgoE5EtNS0_10empty_typeEbEEZZNS1_14partition_implILS5_5ELb0ES3_mN6thrust23THRUST_200600_302600_NS6detail15normal_iteratorINSA_10device_ptrItEEEEPS6_NSA_18transform_iteratorINSB_9not_fun_tINSA_8identityItEEEESF_NSA_11use_defaultESM_EENS0_5tupleIJSF_S6_EEENSO_IJSG_SG_EEES6_PlJS6_EEE10hipError_tPvRmT3_T4_T5_T6_T7_T9_mT8_P12ihipStream_tbDpT10_ENKUlT_T0_E_clISt17integral_constantIbLb1EES1B_EEDaS16_S17_EUlS16_E_NS1_11comp_targetILNS1_3genE3ELNS1_11target_archE908ELNS1_3gpuE7ELNS1_3repE0EEENS1_30default_config_static_selectorELNS0_4arch9wavefront6targetE0EEEvT1_
		.amdhsa_group_segment_fixed_size 0
		.amdhsa_private_segment_fixed_size 0
		.amdhsa_kernarg_size 136
		.amdhsa_user_sgpr_count 2
		.amdhsa_user_sgpr_dispatch_ptr 0
		.amdhsa_user_sgpr_queue_ptr 0
		.amdhsa_user_sgpr_kernarg_segment_ptr 1
		.amdhsa_user_sgpr_dispatch_id 0
		.amdhsa_user_sgpr_private_segment_size 0
		.amdhsa_wavefront_size32 1
		.amdhsa_uses_dynamic_stack 0
		.amdhsa_enable_private_segment 0
		.amdhsa_system_sgpr_workgroup_id_x 1
		.amdhsa_system_sgpr_workgroup_id_y 0
		.amdhsa_system_sgpr_workgroup_id_z 0
		.amdhsa_system_sgpr_workgroup_info 0
		.amdhsa_system_vgpr_workitem_id 0
		.amdhsa_next_free_vgpr 1
		.amdhsa_next_free_sgpr 1
		.amdhsa_reserve_vcc 0
		.amdhsa_float_round_mode_32 0
		.amdhsa_float_round_mode_16_64 0
		.amdhsa_float_denorm_mode_32 3
		.amdhsa_float_denorm_mode_16_64 3
		.amdhsa_fp16_overflow 0
		.amdhsa_workgroup_processor_mode 1
		.amdhsa_memory_ordered 1
		.amdhsa_forward_progress 1
		.amdhsa_inst_pref_size 0
		.amdhsa_round_robin_scheduling 0
		.amdhsa_exception_fp_ieee_invalid_op 0
		.amdhsa_exception_fp_denorm_src 0
		.amdhsa_exception_fp_ieee_div_zero 0
		.amdhsa_exception_fp_ieee_overflow 0
		.amdhsa_exception_fp_ieee_underflow 0
		.amdhsa_exception_fp_ieee_inexact 0
		.amdhsa_exception_int_div_zero 0
	.end_amdhsa_kernel
	.section	.text._ZN7rocprim17ROCPRIM_400000_NS6detail17trampoline_kernelINS0_14default_configENS1_25partition_config_selectorILNS1_17partition_subalgoE5EtNS0_10empty_typeEbEEZZNS1_14partition_implILS5_5ELb0ES3_mN6thrust23THRUST_200600_302600_NS6detail15normal_iteratorINSA_10device_ptrItEEEEPS6_NSA_18transform_iteratorINSB_9not_fun_tINSA_8identityItEEEESF_NSA_11use_defaultESM_EENS0_5tupleIJSF_S6_EEENSO_IJSG_SG_EEES6_PlJS6_EEE10hipError_tPvRmT3_T4_T5_T6_T7_T9_mT8_P12ihipStream_tbDpT10_ENKUlT_T0_E_clISt17integral_constantIbLb1EES1B_EEDaS16_S17_EUlS16_E_NS1_11comp_targetILNS1_3genE3ELNS1_11target_archE908ELNS1_3gpuE7ELNS1_3repE0EEENS1_30default_config_static_selectorELNS0_4arch9wavefront6targetE0EEEvT1_,"axG",@progbits,_ZN7rocprim17ROCPRIM_400000_NS6detail17trampoline_kernelINS0_14default_configENS1_25partition_config_selectorILNS1_17partition_subalgoE5EtNS0_10empty_typeEbEEZZNS1_14partition_implILS5_5ELb0ES3_mN6thrust23THRUST_200600_302600_NS6detail15normal_iteratorINSA_10device_ptrItEEEEPS6_NSA_18transform_iteratorINSB_9not_fun_tINSA_8identityItEEEESF_NSA_11use_defaultESM_EENS0_5tupleIJSF_S6_EEENSO_IJSG_SG_EEES6_PlJS6_EEE10hipError_tPvRmT3_T4_T5_T6_T7_T9_mT8_P12ihipStream_tbDpT10_ENKUlT_T0_E_clISt17integral_constantIbLb1EES1B_EEDaS16_S17_EUlS16_E_NS1_11comp_targetILNS1_3genE3ELNS1_11target_archE908ELNS1_3gpuE7ELNS1_3repE0EEENS1_30default_config_static_selectorELNS0_4arch9wavefront6targetE0EEEvT1_,comdat
.Lfunc_end928:
	.size	_ZN7rocprim17ROCPRIM_400000_NS6detail17trampoline_kernelINS0_14default_configENS1_25partition_config_selectorILNS1_17partition_subalgoE5EtNS0_10empty_typeEbEEZZNS1_14partition_implILS5_5ELb0ES3_mN6thrust23THRUST_200600_302600_NS6detail15normal_iteratorINSA_10device_ptrItEEEEPS6_NSA_18transform_iteratorINSB_9not_fun_tINSA_8identityItEEEESF_NSA_11use_defaultESM_EENS0_5tupleIJSF_S6_EEENSO_IJSG_SG_EEES6_PlJS6_EEE10hipError_tPvRmT3_T4_T5_T6_T7_T9_mT8_P12ihipStream_tbDpT10_ENKUlT_T0_E_clISt17integral_constantIbLb1EES1B_EEDaS16_S17_EUlS16_E_NS1_11comp_targetILNS1_3genE3ELNS1_11target_archE908ELNS1_3gpuE7ELNS1_3repE0EEENS1_30default_config_static_selectorELNS0_4arch9wavefront6targetE0EEEvT1_, .Lfunc_end928-_ZN7rocprim17ROCPRIM_400000_NS6detail17trampoline_kernelINS0_14default_configENS1_25partition_config_selectorILNS1_17partition_subalgoE5EtNS0_10empty_typeEbEEZZNS1_14partition_implILS5_5ELb0ES3_mN6thrust23THRUST_200600_302600_NS6detail15normal_iteratorINSA_10device_ptrItEEEEPS6_NSA_18transform_iteratorINSB_9not_fun_tINSA_8identityItEEEESF_NSA_11use_defaultESM_EENS0_5tupleIJSF_S6_EEENSO_IJSG_SG_EEES6_PlJS6_EEE10hipError_tPvRmT3_T4_T5_T6_T7_T9_mT8_P12ihipStream_tbDpT10_ENKUlT_T0_E_clISt17integral_constantIbLb1EES1B_EEDaS16_S17_EUlS16_E_NS1_11comp_targetILNS1_3genE3ELNS1_11target_archE908ELNS1_3gpuE7ELNS1_3repE0EEENS1_30default_config_static_selectorELNS0_4arch9wavefront6targetE0EEEvT1_
                                        ; -- End function
	.set _ZN7rocprim17ROCPRIM_400000_NS6detail17trampoline_kernelINS0_14default_configENS1_25partition_config_selectorILNS1_17partition_subalgoE5EtNS0_10empty_typeEbEEZZNS1_14partition_implILS5_5ELb0ES3_mN6thrust23THRUST_200600_302600_NS6detail15normal_iteratorINSA_10device_ptrItEEEEPS6_NSA_18transform_iteratorINSB_9not_fun_tINSA_8identityItEEEESF_NSA_11use_defaultESM_EENS0_5tupleIJSF_S6_EEENSO_IJSG_SG_EEES6_PlJS6_EEE10hipError_tPvRmT3_T4_T5_T6_T7_T9_mT8_P12ihipStream_tbDpT10_ENKUlT_T0_E_clISt17integral_constantIbLb1EES1B_EEDaS16_S17_EUlS16_E_NS1_11comp_targetILNS1_3genE3ELNS1_11target_archE908ELNS1_3gpuE7ELNS1_3repE0EEENS1_30default_config_static_selectorELNS0_4arch9wavefront6targetE0EEEvT1_.num_vgpr, 0
	.set _ZN7rocprim17ROCPRIM_400000_NS6detail17trampoline_kernelINS0_14default_configENS1_25partition_config_selectorILNS1_17partition_subalgoE5EtNS0_10empty_typeEbEEZZNS1_14partition_implILS5_5ELb0ES3_mN6thrust23THRUST_200600_302600_NS6detail15normal_iteratorINSA_10device_ptrItEEEEPS6_NSA_18transform_iteratorINSB_9not_fun_tINSA_8identityItEEEESF_NSA_11use_defaultESM_EENS0_5tupleIJSF_S6_EEENSO_IJSG_SG_EEES6_PlJS6_EEE10hipError_tPvRmT3_T4_T5_T6_T7_T9_mT8_P12ihipStream_tbDpT10_ENKUlT_T0_E_clISt17integral_constantIbLb1EES1B_EEDaS16_S17_EUlS16_E_NS1_11comp_targetILNS1_3genE3ELNS1_11target_archE908ELNS1_3gpuE7ELNS1_3repE0EEENS1_30default_config_static_selectorELNS0_4arch9wavefront6targetE0EEEvT1_.num_agpr, 0
	.set _ZN7rocprim17ROCPRIM_400000_NS6detail17trampoline_kernelINS0_14default_configENS1_25partition_config_selectorILNS1_17partition_subalgoE5EtNS0_10empty_typeEbEEZZNS1_14partition_implILS5_5ELb0ES3_mN6thrust23THRUST_200600_302600_NS6detail15normal_iteratorINSA_10device_ptrItEEEEPS6_NSA_18transform_iteratorINSB_9not_fun_tINSA_8identityItEEEESF_NSA_11use_defaultESM_EENS0_5tupleIJSF_S6_EEENSO_IJSG_SG_EEES6_PlJS6_EEE10hipError_tPvRmT3_T4_T5_T6_T7_T9_mT8_P12ihipStream_tbDpT10_ENKUlT_T0_E_clISt17integral_constantIbLb1EES1B_EEDaS16_S17_EUlS16_E_NS1_11comp_targetILNS1_3genE3ELNS1_11target_archE908ELNS1_3gpuE7ELNS1_3repE0EEENS1_30default_config_static_selectorELNS0_4arch9wavefront6targetE0EEEvT1_.numbered_sgpr, 0
	.set _ZN7rocprim17ROCPRIM_400000_NS6detail17trampoline_kernelINS0_14default_configENS1_25partition_config_selectorILNS1_17partition_subalgoE5EtNS0_10empty_typeEbEEZZNS1_14partition_implILS5_5ELb0ES3_mN6thrust23THRUST_200600_302600_NS6detail15normal_iteratorINSA_10device_ptrItEEEEPS6_NSA_18transform_iteratorINSB_9not_fun_tINSA_8identityItEEEESF_NSA_11use_defaultESM_EENS0_5tupleIJSF_S6_EEENSO_IJSG_SG_EEES6_PlJS6_EEE10hipError_tPvRmT3_T4_T5_T6_T7_T9_mT8_P12ihipStream_tbDpT10_ENKUlT_T0_E_clISt17integral_constantIbLb1EES1B_EEDaS16_S17_EUlS16_E_NS1_11comp_targetILNS1_3genE3ELNS1_11target_archE908ELNS1_3gpuE7ELNS1_3repE0EEENS1_30default_config_static_selectorELNS0_4arch9wavefront6targetE0EEEvT1_.num_named_barrier, 0
	.set _ZN7rocprim17ROCPRIM_400000_NS6detail17trampoline_kernelINS0_14default_configENS1_25partition_config_selectorILNS1_17partition_subalgoE5EtNS0_10empty_typeEbEEZZNS1_14partition_implILS5_5ELb0ES3_mN6thrust23THRUST_200600_302600_NS6detail15normal_iteratorINSA_10device_ptrItEEEEPS6_NSA_18transform_iteratorINSB_9not_fun_tINSA_8identityItEEEESF_NSA_11use_defaultESM_EENS0_5tupleIJSF_S6_EEENSO_IJSG_SG_EEES6_PlJS6_EEE10hipError_tPvRmT3_T4_T5_T6_T7_T9_mT8_P12ihipStream_tbDpT10_ENKUlT_T0_E_clISt17integral_constantIbLb1EES1B_EEDaS16_S17_EUlS16_E_NS1_11comp_targetILNS1_3genE3ELNS1_11target_archE908ELNS1_3gpuE7ELNS1_3repE0EEENS1_30default_config_static_selectorELNS0_4arch9wavefront6targetE0EEEvT1_.private_seg_size, 0
	.set _ZN7rocprim17ROCPRIM_400000_NS6detail17trampoline_kernelINS0_14default_configENS1_25partition_config_selectorILNS1_17partition_subalgoE5EtNS0_10empty_typeEbEEZZNS1_14partition_implILS5_5ELb0ES3_mN6thrust23THRUST_200600_302600_NS6detail15normal_iteratorINSA_10device_ptrItEEEEPS6_NSA_18transform_iteratorINSB_9not_fun_tINSA_8identityItEEEESF_NSA_11use_defaultESM_EENS0_5tupleIJSF_S6_EEENSO_IJSG_SG_EEES6_PlJS6_EEE10hipError_tPvRmT3_T4_T5_T6_T7_T9_mT8_P12ihipStream_tbDpT10_ENKUlT_T0_E_clISt17integral_constantIbLb1EES1B_EEDaS16_S17_EUlS16_E_NS1_11comp_targetILNS1_3genE3ELNS1_11target_archE908ELNS1_3gpuE7ELNS1_3repE0EEENS1_30default_config_static_selectorELNS0_4arch9wavefront6targetE0EEEvT1_.uses_vcc, 0
	.set _ZN7rocprim17ROCPRIM_400000_NS6detail17trampoline_kernelINS0_14default_configENS1_25partition_config_selectorILNS1_17partition_subalgoE5EtNS0_10empty_typeEbEEZZNS1_14partition_implILS5_5ELb0ES3_mN6thrust23THRUST_200600_302600_NS6detail15normal_iteratorINSA_10device_ptrItEEEEPS6_NSA_18transform_iteratorINSB_9not_fun_tINSA_8identityItEEEESF_NSA_11use_defaultESM_EENS0_5tupleIJSF_S6_EEENSO_IJSG_SG_EEES6_PlJS6_EEE10hipError_tPvRmT3_T4_T5_T6_T7_T9_mT8_P12ihipStream_tbDpT10_ENKUlT_T0_E_clISt17integral_constantIbLb1EES1B_EEDaS16_S17_EUlS16_E_NS1_11comp_targetILNS1_3genE3ELNS1_11target_archE908ELNS1_3gpuE7ELNS1_3repE0EEENS1_30default_config_static_selectorELNS0_4arch9wavefront6targetE0EEEvT1_.uses_flat_scratch, 0
	.set _ZN7rocprim17ROCPRIM_400000_NS6detail17trampoline_kernelINS0_14default_configENS1_25partition_config_selectorILNS1_17partition_subalgoE5EtNS0_10empty_typeEbEEZZNS1_14partition_implILS5_5ELb0ES3_mN6thrust23THRUST_200600_302600_NS6detail15normal_iteratorINSA_10device_ptrItEEEEPS6_NSA_18transform_iteratorINSB_9not_fun_tINSA_8identityItEEEESF_NSA_11use_defaultESM_EENS0_5tupleIJSF_S6_EEENSO_IJSG_SG_EEES6_PlJS6_EEE10hipError_tPvRmT3_T4_T5_T6_T7_T9_mT8_P12ihipStream_tbDpT10_ENKUlT_T0_E_clISt17integral_constantIbLb1EES1B_EEDaS16_S17_EUlS16_E_NS1_11comp_targetILNS1_3genE3ELNS1_11target_archE908ELNS1_3gpuE7ELNS1_3repE0EEENS1_30default_config_static_selectorELNS0_4arch9wavefront6targetE0EEEvT1_.has_dyn_sized_stack, 0
	.set _ZN7rocprim17ROCPRIM_400000_NS6detail17trampoline_kernelINS0_14default_configENS1_25partition_config_selectorILNS1_17partition_subalgoE5EtNS0_10empty_typeEbEEZZNS1_14partition_implILS5_5ELb0ES3_mN6thrust23THRUST_200600_302600_NS6detail15normal_iteratorINSA_10device_ptrItEEEEPS6_NSA_18transform_iteratorINSB_9not_fun_tINSA_8identityItEEEESF_NSA_11use_defaultESM_EENS0_5tupleIJSF_S6_EEENSO_IJSG_SG_EEES6_PlJS6_EEE10hipError_tPvRmT3_T4_T5_T6_T7_T9_mT8_P12ihipStream_tbDpT10_ENKUlT_T0_E_clISt17integral_constantIbLb1EES1B_EEDaS16_S17_EUlS16_E_NS1_11comp_targetILNS1_3genE3ELNS1_11target_archE908ELNS1_3gpuE7ELNS1_3repE0EEENS1_30default_config_static_selectorELNS0_4arch9wavefront6targetE0EEEvT1_.has_recursion, 0
	.set _ZN7rocprim17ROCPRIM_400000_NS6detail17trampoline_kernelINS0_14default_configENS1_25partition_config_selectorILNS1_17partition_subalgoE5EtNS0_10empty_typeEbEEZZNS1_14partition_implILS5_5ELb0ES3_mN6thrust23THRUST_200600_302600_NS6detail15normal_iteratorINSA_10device_ptrItEEEEPS6_NSA_18transform_iteratorINSB_9not_fun_tINSA_8identityItEEEESF_NSA_11use_defaultESM_EENS0_5tupleIJSF_S6_EEENSO_IJSG_SG_EEES6_PlJS6_EEE10hipError_tPvRmT3_T4_T5_T6_T7_T9_mT8_P12ihipStream_tbDpT10_ENKUlT_T0_E_clISt17integral_constantIbLb1EES1B_EEDaS16_S17_EUlS16_E_NS1_11comp_targetILNS1_3genE3ELNS1_11target_archE908ELNS1_3gpuE7ELNS1_3repE0EEENS1_30default_config_static_selectorELNS0_4arch9wavefront6targetE0EEEvT1_.has_indirect_call, 0
	.section	.AMDGPU.csdata,"",@progbits
; Kernel info:
; codeLenInByte = 0
; TotalNumSgprs: 0
; NumVgprs: 0
; ScratchSize: 0
; MemoryBound: 0
; FloatMode: 240
; IeeeMode: 1
; LDSByteSize: 0 bytes/workgroup (compile time only)
; SGPRBlocks: 0
; VGPRBlocks: 0
; NumSGPRsForWavesPerEU: 1
; NumVGPRsForWavesPerEU: 1
; Occupancy: 16
; WaveLimiterHint : 0
; COMPUTE_PGM_RSRC2:SCRATCH_EN: 0
; COMPUTE_PGM_RSRC2:USER_SGPR: 2
; COMPUTE_PGM_RSRC2:TRAP_HANDLER: 0
; COMPUTE_PGM_RSRC2:TGID_X_EN: 1
; COMPUTE_PGM_RSRC2:TGID_Y_EN: 0
; COMPUTE_PGM_RSRC2:TGID_Z_EN: 0
; COMPUTE_PGM_RSRC2:TIDIG_COMP_CNT: 0
	.section	.text._ZN7rocprim17ROCPRIM_400000_NS6detail17trampoline_kernelINS0_14default_configENS1_25partition_config_selectorILNS1_17partition_subalgoE5EtNS0_10empty_typeEbEEZZNS1_14partition_implILS5_5ELb0ES3_mN6thrust23THRUST_200600_302600_NS6detail15normal_iteratorINSA_10device_ptrItEEEEPS6_NSA_18transform_iteratorINSB_9not_fun_tINSA_8identityItEEEESF_NSA_11use_defaultESM_EENS0_5tupleIJSF_S6_EEENSO_IJSG_SG_EEES6_PlJS6_EEE10hipError_tPvRmT3_T4_T5_T6_T7_T9_mT8_P12ihipStream_tbDpT10_ENKUlT_T0_E_clISt17integral_constantIbLb1EES1B_EEDaS16_S17_EUlS16_E_NS1_11comp_targetILNS1_3genE2ELNS1_11target_archE906ELNS1_3gpuE6ELNS1_3repE0EEENS1_30default_config_static_selectorELNS0_4arch9wavefront6targetE0EEEvT1_,"axG",@progbits,_ZN7rocprim17ROCPRIM_400000_NS6detail17trampoline_kernelINS0_14default_configENS1_25partition_config_selectorILNS1_17partition_subalgoE5EtNS0_10empty_typeEbEEZZNS1_14partition_implILS5_5ELb0ES3_mN6thrust23THRUST_200600_302600_NS6detail15normal_iteratorINSA_10device_ptrItEEEEPS6_NSA_18transform_iteratorINSB_9not_fun_tINSA_8identityItEEEESF_NSA_11use_defaultESM_EENS0_5tupleIJSF_S6_EEENSO_IJSG_SG_EEES6_PlJS6_EEE10hipError_tPvRmT3_T4_T5_T6_T7_T9_mT8_P12ihipStream_tbDpT10_ENKUlT_T0_E_clISt17integral_constantIbLb1EES1B_EEDaS16_S17_EUlS16_E_NS1_11comp_targetILNS1_3genE2ELNS1_11target_archE906ELNS1_3gpuE6ELNS1_3repE0EEENS1_30default_config_static_selectorELNS0_4arch9wavefront6targetE0EEEvT1_,comdat
	.protected	_ZN7rocprim17ROCPRIM_400000_NS6detail17trampoline_kernelINS0_14default_configENS1_25partition_config_selectorILNS1_17partition_subalgoE5EtNS0_10empty_typeEbEEZZNS1_14partition_implILS5_5ELb0ES3_mN6thrust23THRUST_200600_302600_NS6detail15normal_iteratorINSA_10device_ptrItEEEEPS6_NSA_18transform_iteratorINSB_9not_fun_tINSA_8identityItEEEESF_NSA_11use_defaultESM_EENS0_5tupleIJSF_S6_EEENSO_IJSG_SG_EEES6_PlJS6_EEE10hipError_tPvRmT3_T4_T5_T6_T7_T9_mT8_P12ihipStream_tbDpT10_ENKUlT_T0_E_clISt17integral_constantIbLb1EES1B_EEDaS16_S17_EUlS16_E_NS1_11comp_targetILNS1_3genE2ELNS1_11target_archE906ELNS1_3gpuE6ELNS1_3repE0EEENS1_30default_config_static_selectorELNS0_4arch9wavefront6targetE0EEEvT1_ ; -- Begin function _ZN7rocprim17ROCPRIM_400000_NS6detail17trampoline_kernelINS0_14default_configENS1_25partition_config_selectorILNS1_17partition_subalgoE5EtNS0_10empty_typeEbEEZZNS1_14partition_implILS5_5ELb0ES3_mN6thrust23THRUST_200600_302600_NS6detail15normal_iteratorINSA_10device_ptrItEEEEPS6_NSA_18transform_iteratorINSB_9not_fun_tINSA_8identityItEEEESF_NSA_11use_defaultESM_EENS0_5tupleIJSF_S6_EEENSO_IJSG_SG_EEES6_PlJS6_EEE10hipError_tPvRmT3_T4_T5_T6_T7_T9_mT8_P12ihipStream_tbDpT10_ENKUlT_T0_E_clISt17integral_constantIbLb1EES1B_EEDaS16_S17_EUlS16_E_NS1_11comp_targetILNS1_3genE2ELNS1_11target_archE906ELNS1_3gpuE6ELNS1_3repE0EEENS1_30default_config_static_selectorELNS0_4arch9wavefront6targetE0EEEvT1_
	.globl	_ZN7rocprim17ROCPRIM_400000_NS6detail17trampoline_kernelINS0_14default_configENS1_25partition_config_selectorILNS1_17partition_subalgoE5EtNS0_10empty_typeEbEEZZNS1_14partition_implILS5_5ELb0ES3_mN6thrust23THRUST_200600_302600_NS6detail15normal_iteratorINSA_10device_ptrItEEEEPS6_NSA_18transform_iteratorINSB_9not_fun_tINSA_8identityItEEEESF_NSA_11use_defaultESM_EENS0_5tupleIJSF_S6_EEENSO_IJSG_SG_EEES6_PlJS6_EEE10hipError_tPvRmT3_T4_T5_T6_T7_T9_mT8_P12ihipStream_tbDpT10_ENKUlT_T0_E_clISt17integral_constantIbLb1EES1B_EEDaS16_S17_EUlS16_E_NS1_11comp_targetILNS1_3genE2ELNS1_11target_archE906ELNS1_3gpuE6ELNS1_3repE0EEENS1_30default_config_static_selectorELNS0_4arch9wavefront6targetE0EEEvT1_
	.p2align	8
	.type	_ZN7rocprim17ROCPRIM_400000_NS6detail17trampoline_kernelINS0_14default_configENS1_25partition_config_selectorILNS1_17partition_subalgoE5EtNS0_10empty_typeEbEEZZNS1_14partition_implILS5_5ELb0ES3_mN6thrust23THRUST_200600_302600_NS6detail15normal_iteratorINSA_10device_ptrItEEEEPS6_NSA_18transform_iteratorINSB_9not_fun_tINSA_8identityItEEEESF_NSA_11use_defaultESM_EENS0_5tupleIJSF_S6_EEENSO_IJSG_SG_EEES6_PlJS6_EEE10hipError_tPvRmT3_T4_T5_T6_T7_T9_mT8_P12ihipStream_tbDpT10_ENKUlT_T0_E_clISt17integral_constantIbLb1EES1B_EEDaS16_S17_EUlS16_E_NS1_11comp_targetILNS1_3genE2ELNS1_11target_archE906ELNS1_3gpuE6ELNS1_3repE0EEENS1_30default_config_static_selectorELNS0_4arch9wavefront6targetE0EEEvT1_,@function
_ZN7rocprim17ROCPRIM_400000_NS6detail17trampoline_kernelINS0_14default_configENS1_25partition_config_selectorILNS1_17partition_subalgoE5EtNS0_10empty_typeEbEEZZNS1_14partition_implILS5_5ELb0ES3_mN6thrust23THRUST_200600_302600_NS6detail15normal_iteratorINSA_10device_ptrItEEEEPS6_NSA_18transform_iteratorINSB_9not_fun_tINSA_8identityItEEEESF_NSA_11use_defaultESM_EENS0_5tupleIJSF_S6_EEENSO_IJSG_SG_EEES6_PlJS6_EEE10hipError_tPvRmT3_T4_T5_T6_T7_T9_mT8_P12ihipStream_tbDpT10_ENKUlT_T0_E_clISt17integral_constantIbLb1EES1B_EEDaS16_S17_EUlS16_E_NS1_11comp_targetILNS1_3genE2ELNS1_11target_archE906ELNS1_3gpuE6ELNS1_3repE0EEENS1_30default_config_static_selectorELNS0_4arch9wavefront6targetE0EEEvT1_: ; @_ZN7rocprim17ROCPRIM_400000_NS6detail17trampoline_kernelINS0_14default_configENS1_25partition_config_selectorILNS1_17partition_subalgoE5EtNS0_10empty_typeEbEEZZNS1_14partition_implILS5_5ELb0ES3_mN6thrust23THRUST_200600_302600_NS6detail15normal_iteratorINSA_10device_ptrItEEEEPS6_NSA_18transform_iteratorINSB_9not_fun_tINSA_8identityItEEEESF_NSA_11use_defaultESM_EENS0_5tupleIJSF_S6_EEENSO_IJSG_SG_EEES6_PlJS6_EEE10hipError_tPvRmT3_T4_T5_T6_T7_T9_mT8_P12ihipStream_tbDpT10_ENKUlT_T0_E_clISt17integral_constantIbLb1EES1B_EEDaS16_S17_EUlS16_E_NS1_11comp_targetILNS1_3genE2ELNS1_11target_archE906ELNS1_3gpuE6ELNS1_3repE0EEENS1_30default_config_static_selectorELNS0_4arch9wavefront6targetE0EEEvT1_
; %bb.0:
	.section	.rodata,"a",@progbits
	.p2align	6, 0x0
	.amdhsa_kernel _ZN7rocprim17ROCPRIM_400000_NS6detail17trampoline_kernelINS0_14default_configENS1_25partition_config_selectorILNS1_17partition_subalgoE5EtNS0_10empty_typeEbEEZZNS1_14partition_implILS5_5ELb0ES3_mN6thrust23THRUST_200600_302600_NS6detail15normal_iteratorINSA_10device_ptrItEEEEPS6_NSA_18transform_iteratorINSB_9not_fun_tINSA_8identityItEEEESF_NSA_11use_defaultESM_EENS0_5tupleIJSF_S6_EEENSO_IJSG_SG_EEES6_PlJS6_EEE10hipError_tPvRmT3_T4_T5_T6_T7_T9_mT8_P12ihipStream_tbDpT10_ENKUlT_T0_E_clISt17integral_constantIbLb1EES1B_EEDaS16_S17_EUlS16_E_NS1_11comp_targetILNS1_3genE2ELNS1_11target_archE906ELNS1_3gpuE6ELNS1_3repE0EEENS1_30default_config_static_selectorELNS0_4arch9wavefront6targetE0EEEvT1_
		.amdhsa_group_segment_fixed_size 0
		.amdhsa_private_segment_fixed_size 0
		.amdhsa_kernarg_size 136
		.amdhsa_user_sgpr_count 2
		.amdhsa_user_sgpr_dispatch_ptr 0
		.amdhsa_user_sgpr_queue_ptr 0
		.amdhsa_user_sgpr_kernarg_segment_ptr 1
		.amdhsa_user_sgpr_dispatch_id 0
		.amdhsa_user_sgpr_private_segment_size 0
		.amdhsa_wavefront_size32 1
		.amdhsa_uses_dynamic_stack 0
		.amdhsa_enable_private_segment 0
		.amdhsa_system_sgpr_workgroup_id_x 1
		.amdhsa_system_sgpr_workgroup_id_y 0
		.amdhsa_system_sgpr_workgroup_id_z 0
		.amdhsa_system_sgpr_workgroup_info 0
		.amdhsa_system_vgpr_workitem_id 0
		.amdhsa_next_free_vgpr 1
		.amdhsa_next_free_sgpr 1
		.amdhsa_reserve_vcc 0
		.amdhsa_float_round_mode_32 0
		.amdhsa_float_round_mode_16_64 0
		.amdhsa_float_denorm_mode_32 3
		.amdhsa_float_denorm_mode_16_64 3
		.amdhsa_fp16_overflow 0
		.amdhsa_workgroup_processor_mode 1
		.amdhsa_memory_ordered 1
		.amdhsa_forward_progress 1
		.amdhsa_inst_pref_size 0
		.amdhsa_round_robin_scheduling 0
		.amdhsa_exception_fp_ieee_invalid_op 0
		.amdhsa_exception_fp_denorm_src 0
		.amdhsa_exception_fp_ieee_div_zero 0
		.amdhsa_exception_fp_ieee_overflow 0
		.amdhsa_exception_fp_ieee_underflow 0
		.amdhsa_exception_fp_ieee_inexact 0
		.amdhsa_exception_int_div_zero 0
	.end_amdhsa_kernel
	.section	.text._ZN7rocprim17ROCPRIM_400000_NS6detail17trampoline_kernelINS0_14default_configENS1_25partition_config_selectorILNS1_17partition_subalgoE5EtNS0_10empty_typeEbEEZZNS1_14partition_implILS5_5ELb0ES3_mN6thrust23THRUST_200600_302600_NS6detail15normal_iteratorINSA_10device_ptrItEEEEPS6_NSA_18transform_iteratorINSB_9not_fun_tINSA_8identityItEEEESF_NSA_11use_defaultESM_EENS0_5tupleIJSF_S6_EEENSO_IJSG_SG_EEES6_PlJS6_EEE10hipError_tPvRmT3_T4_T5_T6_T7_T9_mT8_P12ihipStream_tbDpT10_ENKUlT_T0_E_clISt17integral_constantIbLb1EES1B_EEDaS16_S17_EUlS16_E_NS1_11comp_targetILNS1_3genE2ELNS1_11target_archE906ELNS1_3gpuE6ELNS1_3repE0EEENS1_30default_config_static_selectorELNS0_4arch9wavefront6targetE0EEEvT1_,"axG",@progbits,_ZN7rocprim17ROCPRIM_400000_NS6detail17trampoline_kernelINS0_14default_configENS1_25partition_config_selectorILNS1_17partition_subalgoE5EtNS0_10empty_typeEbEEZZNS1_14partition_implILS5_5ELb0ES3_mN6thrust23THRUST_200600_302600_NS6detail15normal_iteratorINSA_10device_ptrItEEEEPS6_NSA_18transform_iteratorINSB_9not_fun_tINSA_8identityItEEEESF_NSA_11use_defaultESM_EENS0_5tupleIJSF_S6_EEENSO_IJSG_SG_EEES6_PlJS6_EEE10hipError_tPvRmT3_T4_T5_T6_T7_T9_mT8_P12ihipStream_tbDpT10_ENKUlT_T0_E_clISt17integral_constantIbLb1EES1B_EEDaS16_S17_EUlS16_E_NS1_11comp_targetILNS1_3genE2ELNS1_11target_archE906ELNS1_3gpuE6ELNS1_3repE0EEENS1_30default_config_static_selectorELNS0_4arch9wavefront6targetE0EEEvT1_,comdat
.Lfunc_end929:
	.size	_ZN7rocprim17ROCPRIM_400000_NS6detail17trampoline_kernelINS0_14default_configENS1_25partition_config_selectorILNS1_17partition_subalgoE5EtNS0_10empty_typeEbEEZZNS1_14partition_implILS5_5ELb0ES3_mN6thrust23THRUST_200600_302600_NS6detail15normal_iteratorINSA_10device_ptrItEEEEPS6_NSA_18transform_iteratorINSB_9not_fun_tINSA_8identityItEEEESF_NSA_11use_defaultESM_EENS0_5tupleIJSF_S6_EEENSO_IJSG_SG_EEES6_PlJS6_EEE10hipError_tPvRmT3_T4_T5_T6_T7_T9_mT8_P12ihipStream_tbDpT10_ENKUlT_T0_E_clISt17integral_constantIbLb1EES1B_EEDaS16_S17_EUlS16_E_NS1_11comp_targetILNS1_3genE2ELNS1_11target_archE906ELNS1_3gpuE6ELNS1_3repE0EEENS1_30default_config_static_selectorELNS0_4arch9wavefront6targetE0EEEvT1_, .Lfunc_end929-_ZN7rocprim17ROCPRIM_400000_NS6detail17trampoline_kernelINS0_14default_configENS1_25partition_config_selectorILNS1_17partition_subalgoE5EtNS0_10empty_typeEbEEZZNS1_14partition_implILS5_5ELb0ES3_mN6thrust23THRUST_200600_302600_NS6detail15normal_iteratorINSA_10device_ptrItEEEEPS6_NSA_18transform_iteratorINSB_9not_fun_tINSA_8identityItEEEESF_NSA_11use_defaultESM_EENS0_5tupleIJSF_S6_EEENSO_IJSG_SG_EEES6_PlJS6_EEE10hipError_tPvRmT3_T4_T5_T6_T7_T9_mT8_P12ihipStream_tbDpT10_ENKUlT_T0_E_clISt17integral_constantIbLb1EES1B_EEDaS16_S17_EUlS16_E_NS1_11comp_targetILNS1_3genE2ELNS1_11target_archE906ELNS1_3gpuE6ELNS1_3repE0EEENS1_30default_config_static_selectorELNS0_4arch9wavefront6targetE0EEEvT1_
                                        ; -- End function
	.set _ZN7rocprim17ROCPRIM_400000_NS6detail17trampoline_kernelINS0_14default_configENS1_25partition_config_selectorILNS1_17partition_subalgoE5EtNS0_10empty_typeEbEEZZNS1_14partition_implILS5_5ELb0ES3_mN6thrust23THRUST_200600_302600_NS6detail15normal_iteratorINSA_10device_ptrItEEEEPS6_NSA_18transform_iteratorINSB_9not_fun_tINSA_8identityItEEEESF_NSA_11use_defaultESM_EENS0_5tupleIJSF_S6_EEENSO_IJSG_SG_EEES6_PlJS6_EEE10hipError_tPvRmT3_T4_T5_T6_T7_T9_mT8_P12ihipStream_tbDpT10_ENKUlT_T0_E_clISt17integral_constantIbLb1EES1B_EEDaS16_S17_EUlS16_E_NS1_11comp_targetILNS1_3genE2ELNS1_11target_archE906ELNS1_3gpuE6ELNS1_3repE0EEENS1_30default_config_static_selectorELNS0_4arch9wavefront6targetE0EEEvT1_.num_vgpr, 0
	.set _ZN7rocprim17ROCPRIM_400000_NS6detail17trampoline_kernelINS0_14default_configENS1_25partition_config_selectorILNS1_17partition_subalgoE5EtNS0_10empty_typeEbEEZZNS1_14partition_implILS5_5ELb0ES3_mN6thrust23THRUST_200600_302600_NS6detail15normal_iteratorINSA_10device_ptrItEEEEPS6_NSA_18transform_iteratorINSB_9not_fun_tINSA_8identityItEEEESF_NSA_11use_defaultESM_EENS0_5tupleIJSF_S6_EEENSO_IJSG_SG_EEES6_PlJS6_EEE10hipError_tPvRmT3_T4_T5_T6_T7_T9_mT8_P12ihipStream_tbDpT10_ENKUlT_T0_E_clISt17integral_constantIbLb1EES1B_EEDaS16_S17_EUlS16_E_NS1_11comp_targetILNS1_3genE2ELNS1_11target_archE906ELNS1_3gpuE6ELNS1_3repE0EEENS1_30default_config_static_selectorELNS0_4arch9wavefront6targetE0EEEvT1_.num_agpr, 0
	.set _ZN7rocprim17ROCPRIM_400000_NS6detail17trampoline_kernelINS0_14default_configENS1_25partition_config_selectorILNS1_17partition_subalgoE5EtNS0_10empty_typeEbEEZZNS1_14partition_implILS5_5ELb0ES3_mN6thrust23THRUST_200600_302600_NS6detail15normal_iteratorINSA_10device_ptrItEEEEPS6_NSA_18transform_iteratorINSB_9not_fun_tINSA_8identityItEEEESF_NSA_11use_defaultESM_EENS0_5tupleIJSF_S6_EEENSO_IJSG_SG_EEES6_PlJS6_EEE10hipError_tPvRmT3_T4_T5_T6_T7_T9_mT8_P12ihipStream_tbDpT10_ENKUlT_T0_E_clISt17integral_constantIbLb1EES1B_EEDaS16_S17_EUlS16_E_NS1_11comp_targetILNS1_3genE2ELNS1_11target_archE906ELNS1_3gpuE6ELNS1_3repE0EEENS1_30default_config_static_selectorELNS0_4arch9wavefront6targetE0EEEvT1_.numbered_sgpr, 0
	.set _ZN7rocprim17ROCPRIM_400000_NS6detail17trampoline_kernelINS0_14default_configENS1_25partition_config_selectorILNS1_17partition_subalgoE5EtNS0_10empty_typeEbEEZZNS1_14partition_implILS5_5ELb0ES3_mN6thrust23THRUST_200600_302600_NS6detail15normal_iteratorINSA_10device_ptrItEEEEPS6_NSA_18transform_iteratorINSB_9not_fun_tINSA_8identityItEEEESF_NSA_11use_defaultESM_EENS0_5tupleIJSF_S6_EEENSO_IJSG_SG_EEES6_PlJS6_EEE10hipError_tPvRmT3_T4_T5_T6_T7_T9_mT8_P12ihipStream_tbDpT10_ENKUlT_T0_E_clISt17integral_constantIbLb1EES1B_EEDaS16_S17_EUlS16_E_NS1_11comp_targetILNS1_3genE2ELNS1_11target_archE906ELNS1_3gpuE6ELNS1_3repE0EEENS1_30default_config_static_selectorELNS0_4arch9wavefront6targetE0EEEvT1_.num_named_barrier, 0
	.set _ZN7rocprim17ROCPRIM_400000_NS6detail17trampoline_kernelINS0_14default_configENS1_25partition_config_selectorILNS1_17partition_subalgoE5EtNS0_10empty_typeEbEEZZNS1_14partition_implILS5_5ELb0ES3_mN6thrust23THRUST_200600_302600_NS6detail15normal_iteratorINSA_10device_ptrItEEEEPS6_NSA_18transform_iteratorINSB_9not_fun_tINSA_8identityItEEEESF_NSA_11use_defaultESM_EENS0_5tupleIJSF_S6_EEENSO_IJSG_SG_EEES6_PlJS6_EEE10hipError_tPvRmT3_T4_T5_T6_T7_T9_mT8_P12ihipStream_tbDpT10_ENKUlT_T0_E_clISt17integral_constantIbLb1EES1B_EEDaS16_S17_EUlS16_E_NS1_11comp_targetILNS1_3genE2ELNS1_11target_archE906ELNS1_3gpuE6ELNS1_3repE0EEENS1_30default_config_static_selectorELNS0_4arch9wavefront6targetE0EEEvT1_.private_seg_size, 0
	.set _ZN7rocprim17ROCPRIM_400000_NS6detail17trampoline_kernelINS0_14default_configENS1_25partition_config_selectorILNS1_17partition_subalgoE5EtNS0_10empty_typeEbEEZZNS1_14partition_implILS5_5ELb0ES3_mN6thrust23THRUST_200600_302600_NS6detail15normal_iteratorINSA_10device_ptrItEEEEPS6_NSA_18transform_iteratorINSB_9not_fun_tINSA_8identityItEEEESF_NSA_11use_defaultESM_EENS0_5tupleIJSF_S6_EEENSO_IJSG_SG_EEES6_PlJS6_EEE10hipError_tPvRmT3_T4_T5_T6_T7_T9_mT8_P12ihipStream_tbDpT10_ENKUlT_T0_E_clISt17integral_constantIbLb1EES1B_EEDaS16_S17_EUlS16_E_NS1_11comp_targetILNS1_3genE2ELNS1_11target_archE906ELNS1_3gpuE6ELNS1_3repE0EEENS1_30default_config_static_selectorELNS0_4arch9wavefront6targetE0EEEvT1_.uses_vcc, 0
	.set _ZN7rocprim17ROCPRIM_400000_NS6detail17trampoline_kernelINS0_14default_configENS1_25partition_config_selectorILNS1_17partition_subalgoE5EtNS0_10empty_typeEbEEZZNS1_14partition_implILS5_5ELb0ES3_mN6thrust23THRUST_200600_302600_NS6detail15normal_iteratorINSA_10device_ptrItEEEEPS6_NSA_18transform_iteratorINSB_9not_fun_tINSA_8identityItEEEESF_NSA_11use_defaultESM_EENS0_5tupleIJSF_S6_EEENSO_IJSG_SG_EEES6_PlJS6_EEE10hipError_tPvRmT3_T4_T5_T6_T7_T9_mT8_P12ihipStream_tbDpT10_ENKUlT_T0_E_clISt17integral_constantIbLb1EES1B_EEDaS16_S17_EUlS16_E_NS1_11comp_targetILNS1_3genE2ELNS1_11target_archE906ELNS1_3gpuE6ELNS1_3repE0EEENS1_30default_config_static_selectorELNS0_4arch9wavefront6targetE0EEEvT1_.uses_flat_scratch, 0
	.set _ZN7rocprim17ROCPRIM_400000_NS6detail17trampoline_kernelINS0_14default_configENS1_25partition_config_selectorILNS1_17partition_subalgoE5EtNS0_10empty_typeEbEEZZNS1_14partition_implILS5_5ELb0ES3_mN6thrust23THRUST_200600_302600_NS6detail15normal_iteratorINSA_10device_ptrItEEEEPS6_NSA_18transform_iteratorINSB_9not_fun_tINSA_8identityItEEEESF_NSA_11use_defaultESM_EENS0_5tupleIJSF_S6_EEENSO_IJSG_SG_EEES6_PlJS6_EEE10hipError_tPvRmT3_T4_T5_T6_T7_T9_mT8_P12ihipStream_tbDpT10_ENKUlT_T0_E_clISt17integral_constantIbLb1EES1B_EEDaS16_S17_EUlS16_E_NS1_11comp_targetILNS1_3genE2ELNS1_11target_archE906ELNS1_3gpuE6ELNS1_3repE0EEENS1_30default_config_static_selectorELNS0_4arch9wavefront6targetE0EEEvT1_.has_dyn_sized_stack, 0
	.set _ZN7rocprim17ROCPRIM_400000_NS6detail17trampoline_kernelINS0_14default_configENS1_25partition_config_selectorILNS1_17partition_subalgoE5EtNS0_10empty_typeEbEEZZNS1_14partition_implILS5_5ELb0ES3_mN6thrust23THRUST_200600_302600_NS6detail15normal_iteratorINSA_10device_ptrItEEEEPS6_NSA_18transform_iteratorINSB_9not_fun_tINSA_8identityItEEEESF_NSA_11use_defaultESM_EENS0_5tupleIJSF_S6_EEENSO_IJSG_SG_EEES6_PlJS6_EEE10hipError_tPvRmT3_T4_T5_T6_T7_T9_mT8_P12ihipStream_tbDpT10_ENKUlT_T0_E_clISt17integral_constantIbLb1EES1B_EEDaS16_S17_EUlS16_E_NS1_11comp_targetILNS1_3genE2ELNS1_11target_archE906ELNS1_3gpuE6ELNS1_3repE0EEENS1_30default_config_static_selectorELNS0_4arch9wavefront6targetE0EEEvT1_.has_recursion, 0
	.set _ZN7rocprim17ROCPRIM_400000_NS6detail17trampoline_kernelINS0_14default_configENS1_25partition_config_selectorILNS1_17partition_subalgoE5EtNS0_10empty_typeEbEEZZNS1_14partition_implILS5_5ELb0ES3_mN6thrust23THRUST_200600_302600_NS6detail15normal_iteratorINSA_10device_ptrItEEEEPS6_NSA_18transform_iteratorINSB_9not_fun_tINSA_8identityItEEEESF_NSA_11use_defaultESM_EENS0_5tupleIJSF_S6_EEENSO_IJSG_SG_EEES6_PlJS6_EEE10hipError_tPvRmT3_T4_T5_T6_T7_T9_mT8_P12ihipStream_tbDpT10_ENKUlT_T0_E_clISt17integral_constantIbLb1EES1B_EEDaS16_S17_EUlS16_E_NS1_11comp_targetILNS1_3genE2ELNS1_11target_archE906ELNS1_3gpuE6ELNS1_3repE0EEENS1_30default_config_static_selectorELNS0_4arch9wavefront6targetE0EEEvT1_.has_indirect_call, 0
	.section	.AMDGPU.csdata,"",@progbits
; Kernel info:
; codeLenInByte = 0
; TotalNumSgprs: 0
; NumVgprs: 0
; ScratchSize: 0
; MemoryBound: 0
; FloatMode: 240
; IeeeMode: 1
; LDSByteSize: 0 bytes/workgroup (compile time only)
; SGPRBlocks: 0
; VGPRBlocks: 0
; NumSGPRsForWavesPerEU: 1
; NumVGPRsForWavesPerEU: 1
; Occupancy: 16
; WaveLimiterHint : 0
; COMPUTE_PGM_RSRC2:SCRATCH_EN: 0
; COMPUTE_PGM_RSRC2:USER_SGPR: 2
; COMPUTE_PGM_RSRC2:TRAP_HANDLER: 0
; COMPUTE_PGM_RSRC2:TGID_X_EN: 1
; COMPUTE_PGM_RSRC2:TGID_Y_EN: 0
; COMPUTE_PGM_RSRC2:TGID_Z_EN: 0
; COMPUTE_PGM_RSRC2:TIDIG_COMP_CNT: 0
	.section	.text._ZN7rocprim17ROCPRIM_400000_NS6detail17trampoline_kernelINS0_14default_configENS1_25partition_config_selectorILNS1_17partition_subalgoE5EtNS0_10empty_typeEbEEZZNS1_14partition_implILS5_5ELb0ES3_mN6thrust23THRUST_200600_302600_NS6detail15normal_iteratorINSA_10device_ptrItEEEEPS6_NSA_18transform_iteratorINSB_9not_fun_tINSA_8identityItEEEESF_NSA_11use_defaultESM_EENS0_5tupleIJSF_S6_EEENSO_IJSG_SG_EEES6_PlJS6_EEE10hipError_tPvRmT3_T4_T5_T6_T7_T9_mT8_P12ihipStream_tbDpT10_ENKUlT_T0_E_clISt17integral_constantIbLb1EES1B_EEDaS16_S17_EUlS16_E_NS1_11comp_targetILNS1_3genE10ELNS1_11target_archE1200ELNS1_3gpuE4ELNS1_3repE0EEENS1_30default_config_static_selectorELNS0_4arch9wavefront6targetE0EEEvT1_,"axG",@progbits,_ZN7rocprim17ROCPRIM_400000_NS6detail17trampoline_kernelINS0_14default_configENS1_25partition_config_selectorILNS1_17partition_subalgoE5EtNS0_10empty_typeEbEEZZNS1_14partition_implILS5_5ELb0ES3_mN6thrust23THRUST_200600_302600_NS6detail15normal_iteratorINSA_10device_ptrItEEEEPS6_NSA_18transform_iteratorINSB_9not_fun_tINSA_8identityItEEEESF_NSA_11use_defaultESM_EENS0_5tupleIJSF_S6_EEENSO_IJSG_SG_EEES6_PlJS6_EEE10hipError_tPvRmT3_T4_T5_T6_T7_T9_mT8_P12ihipStream_tbDpT10_ENKUlT_T0_E_clISt17integral_constantIbLb1EES1B_EEDaS16_S17_EUlS16_E_NS1_11comp_targetILNS1_3genE10ELNS1_11target_archE1200ELNS1_3gpuE4ELNS1_3repE0EEENS1_30default_config_static_selectorELNS0_4arch9wavefront6targetE0EEEvT1_,comdat
	.protected	_ZN7rocprim17ROCPRIM_400000_NS6detail17trampoline_kernelINS0_14default_configENS1_25partition_config_selectorILNS1_17partition_subalgoE5EtNS0_10empty_typeEbEEZZNS1_14partition_implILS5_5ELb0ES3_mN6thrust23THRUST_200600_302600_NS6detail15normal_iteratorINSA_10device_ptrItEEEEPS6_NSA_18transform_iteratorINSB_9not_fun_tINSA_8identityItEEEESF_NSA_11use_defaultESM_EENS0_5tupleIJSF_S6_EEENSO_IJSG_SG_EEES6_PlJS6_EEE10hipError_tPvRmT3_T4_T5_T6_T7_T9_mT8_P12ihipStream_tbDpT10_ENKUlT_T0_E_clISt17integral_constantIbLb1EES1B_EEDaS16_S17_EUlS16_E_NS1_11comp_targetILNS1_3genE10ELNS1_11target_archE1200ELNS1_3gpuE4ELNS1_3repE0EEENS1_30default_config_static_selectorELNS0_4arch9wavefront6targetE0EEEvT1_ ; -- Begin function _ZN7rocprim17ROCPRIM_400000_NS6detail17trampoline_kernelINS0_14default_configENS1_25partition_config_selectorILNS1_17partition_subalgoE5EtNS0_10empty_typeEbEEZZNS1_14partition_implILS5_5ELb0ES3_mN6thrust23THRUST_200600_302600_NS6detail15normal_iteratorINSA_10device_ptrItEEEEPS6_NSA_18transform_iteratorINSB_9not_fun_tINSA_8identityItEEEESF_NSA_11use_defaultESM_EENS0_5tupleIJSF_S6_EEENSO_IJSG_SG_EEES6_PlJS6_EEE10hipError_tPvRmT3_T4_T5_T6_T7_T9_mT8_P12ihipStream_tbDpT10_ENKUlT_T0_E_clISt17integral_constantIbLb1EES1B_EEDaS16_S17_EUlS16_E_NS1_11comp_targetILNS1_3genE10ELNS1_11target_archE1200ELNS1_3gpuE4ELNS1_3repE0EEENS1_30default_config_static_selectorELNS0_4arch9wavefront6targetE0EEEvT1_
	.globl	_ZN7rocprim17ROCPRIM_400000_NS6detail17trampoline_kernelINS0_14default_configENS1_25partition_config_selectorILNS1_17partition_subalgoE5EtNS0_10empty_typeEbEEZZNS1_14partition_implILS5_5ELb0ES3_mN6thrust23THRUST_200600_302600_NS6detail15normal_iteratorINSA_10device_ptrItEEEEPS6_NSA_18transform_iteratorINSB_9not_fun_tINSA_8identityItEEEESF_NSA_11use_defaultESM_EENS0_5tupleIJSF_S6_EEENSO_IJSG_SG_EEES6_PlJS6_EEE10hipError_tPvRmT3_T4_T5_T6_T7_T9_mT8_P12ihipStream_tbDpT10_ENKUlT_T0_E_clISt17integral_constantIbLb1EES1B_EEDaS16_S17_EUlS16_E_NS1_11comp_targetILNS1_3genE10ELNS1_11target_archE1200ELNS1_3gpuE4ELNS1_3repE0EEENS1_30default_config_static_selectorELNS0_4arch9wavefront6targetE0EEEvT1_
	.p2align	8
	.type	_ZN7rocprim17ROCPRIM_400000_NS6detail17trampoline_kernelINS0_14default_configENS1_25partition_config_selectorILNS1_17partition_subalgoE5EtNS0_10empty_typeEbEEZZNS1_14partition_implILS5_5ELb0ES3_mN6thrust23THRUST_200600_302600_NS6detail15normal_iteratorINSA_10device_ptrItEEEEPS6_NSA_18transform_iteratorINSB_9not_fun_tINSA_8identityItEEEESF_NSA_11use_defaultESM_EENS0_5tupleIJSF_S6_EEENSO_IJSG_SG_EEES6_PlJS6_EEE10hipError_tPvRmT3_T4_T5_T6_T7_T9_mT8_P12ihipStream_tbDpT10_ENKUlT_T0_E_clISt17integral_constantIbLb1EES1B_EEDaS16_S17_EUlS16_E_NS1_11comp_targetILNS1_3genE10ELNS1_11target_archE1200ELNS1_3gpuE4ELNS1_3repE0EEENS1_30default_config_static_selectorELNS0_4arch9wavefront6targetE0EEEvT1_,@function
_ZN7rocprim17ROCPRIM_400000_NS6detail17trampoline_kernelINS0_14default_configENS1_25partition_config_selectorILNS1_17partition_subalgoE5EtNS0_10empty_typeEbEEZZNS1_14partition_implILS5_5ELb0ES3_mN6thrust23THRUST_200600_302600_NS6detail15normal_iteratorINSA_10device_ptrItEEEEPS6_NSA_18transform_iteratorINSB_9not_fun_tINSA_8identityItEEEESF_NSA_11use_defaultESM_EENS0_5tupleIJSF_S6_EEENSO_IJSG_SG_EEES6_PlJS6_EEE10hipError_tPvRmT3_T4_T5_T6_T7_T9_mT8_P12ihipStream_tbDpT10_ENKUlT_T0_E_clISt17integral_constantIbLb1EES1B_EEDaS16_S17_EUlS16_E_NS1_11comp_targetILNS1_3genE10ELNS1_11target_archE1200ELNS1_3gpuE4ELNS1_3repE0EEENS1_30default_config_static_selectorELNS0_4arch9wavefront6targetE0EEEvT1_: ; @_ZN7rocprim17ROCPRIM_400000_NS6detail17trampoline_kernelINS0_14default_configENS1_25partition_config_selectorILNS1_17partition_subalgoE5EtNS0_10empty_typeEbEEZZNS1_14partition_implILS5_5ELb0ES3_mN6thrust23THRUST_200600_302600_NS6detail15normal_iteratorINSA_10device_ptrItEEEEPS6_NSA_18transform_iteratorINSB_9not_fun_tINSA_8identityItEEEESF_NSA_11use_defaultESM_EENS0_5tupleIJSF_S6_EEENSO_IJSG_SG_EEES6_PlJS6_EEE10hipError_tPvRmT3_T4_T5_T6_T7_T9_mT8_P12ihipStream_tbDpT10_ENKUlT_T0_E_clISt17integral_constantIbLb1EES1B_EEDaS16_S17_EUlS16_E_NS1_11comp_targetILNS1_3genE10ELNS1_11target_archE1200ELNS1_3gpuE4ELNS1_3repE0EEENS1_30default_config_static_selectorELNS0_4arch9wavefront6targetE0EEEvT1_
; %bb.0:
	s_endpgm
	.section	.rodata,"a",@progbits
	.p2align	6, 0x0
	.amdhsa_kernel _ZN7rocprim17ROCPRIM_400000_NS6detail17trampoline_kernelINS0_14default_configENS1_25partition_config_selectorILNS1_17partition_subalgoE5EtNS0_10empty_typeEbEEZZNS1_14partition_implILS5_5ELb0ES3_mN6thrust23THRUST_200600_302600_NS6detail15normal_iteratorINSA_10device_ptrItEEEEPS6_NSA_18transform_iteratorINSB_9not_fun_tINSA_8identityItEEEESF_NSA_11use_defaultESM_EENS0_5tupleIJSF_S6_EEENSO_IJSG_SG_EEES6_PlJS6_EEE10hipError_tPvRmT3_T4_T5_T6_T7_T9_mT8_P12ihipStream_tbDpT10_ENKUlT_T0_E_clISt17integral_constantIbLb1EES1B_EEDaS16_S17_EUlS16_E_NS1_11comp_targetILNS1_3genE10ELNS1_11target_archE1200ELNS1_3gpuE4ELNS1_3repE0EEENS1_30default_config_static_selectorELNS0_4arch9wavefront6targetE0EEEvT1_
		.amdhsa_group_segment_fixed_size 0
		.amdhsa_private_segment_fixed_size 0
		.amdhsa_kernarg_size 136
		.amdhsa_user_sgpr_count 2
		.amdhsa_user_sgpr_dispatch_ptr 0
		.amdhsa_user_sgpr_queue_ptr 0
		.amdhsa_user_sgpr_kernarg_segment_ptr 1
		.amdhsa_user_sgpr_dispatch_id 0
		.amdhsa_user_sgpr_private_segment_size 0
		.amdhsa_wavefront_size32 1
		.amdhsa_uses_dynamic_stack 0
		.amdhsa_enable_private_segment 0
		.amdhsa_system_sgpr_workgroup_id_x 1
		.amdhsa_system_sgpr_workgroup_id_y 0
		.amdhsa_system_sgpr_workgroup_id_z 0
		.amdhsa_system_sgpr_workgroup_info 0
		.amdhsa_system_vgpr_workitem_id 0
		.amdhsa_next_free_vgpr 1
		.amdhsa_next_free_sgpr 1
		.amdhsa_reserve_vcc 0
		.amdhsa_float_round_mode_32 0
		.amdhsa_float_round_mode_16_64 0
		.amdhsa_float_denorm_mode_32 3
		.amdhsa_float_denorm_mode_16_64 3
		.amdhsa_fp16_overflow 0
		.amdhsa_workgroup_processor_mode 1
		.amdhsa_memory_ordered 1
		.amdhsa_forward_progress 1
		.amdhsa_inst_pref_size 1
		.amdhsa_round_robin_scheduling 0
		.amdhsa_exception_fp_ieee_invalid_op 0
		.amdhsa_exception_fp_denorm_src 0
		.amdhsa_exception_fp_ieee_div_zero 0
		.amdhsa_exception_fp_ieee_overflow 0
		.amdhsa_exception_fp_ieee_underflow 0
		.amdhsa_exception_fp_ieee_inexact 0
		.amdhsa_exception_int_div_zero 0
	.end_amdhsa_kernel
	.section	.text._ZN7rocprim17ROCPRIM_400000_NS6detail17trampoline_kernelINS0_14default_configENS1_25partition_config_selectorILNS1_17partition_subalgoE5EtNS0_10empty_typeEbEEZZNS1_14partition_implILS5_5ELb0ES3_mN6thrust23THRUST_200600_302600_NS6detail15normal_iteratorINSA_10device_ptrItEEEEPS6_NSA_18transform_iteratorINSB_9not_fun_tINSA_8identityItEEEESF_NSA_11use_defaultESM_EENS0_5tupleIJSF_S6_EEENSO_IJSG_SG_EEES6_PlJS6_EEE10hipError_tPvRmT3_T4_T5_T6_T7_T9_mT8_P12ihipStream_tbDpT10_ENKUlT_T0_E_clISt17integral_constantIbLb1EES1B_EEDaS16_S17_EUlS16_E_NS1_11comp_targetILNS1_3genE10ELNS1_11target_archE1200ELNS1_3gpuE4ELNS1_3repE0EEENS1_30default_config_static_selectorELNS0_4arch9wavefront6targetE0EEEvT1_,"axG",@progbits,_ZN7rocprim17ROCPRIM_400000_NS6detail17trampoline_kernelINS0_14default_configENS1_25partition_config_selectorILNS1_17partition_subalgoE5EtNS0_10empty_typeEbEEZZNS1_14partition_implILS5_5ELb0ES3_mN6thrust23THRUST_200600_302600_NS6detail15normal_iteratorINSA_10device_ptrItEEEEPS6_NSA_18transform_iteratorINSB_9not_fun_tINSA_8identityItEEEESF_NSA_11use_defaultESM_EENS0_5tupleIJSF_S6_EEENSO_IJSG_SG_EEES6_PlJS6_EEE10hipError_tPvRmT3_T4_T5_T6_T7_T9_mT8_P12ihipStream_tbDpT10_ENKUlT_T0_E_clISt17integral_constantIbLb1EES1B_EEDaS16_S17_EUlS16_E_NS1_11comp_targetILNS1_3genE10ELNS1_11target_archE1200ELNS1_3gpuE4ELNS1_3repE0EEENS1_30default_config_static_selectorELNS0_4arch9wavefront6targetE0EEEvT1_,comdat
.Lfunc_end930:
	.size	_ZN7rocprim17ROCPRIM_400000_NS6detail17trampoline_kernelINS0_14default_configENS1_25partition_config_selectorILNS1_17partition_subalgoE5EtNS0_10empty_typeEbEEZZNS1_14partition_implILS5_5ELb0ES3_mN6thrust23THRUST_200600_302600_NS6detail15normal_iteratorINSA_10device_ptrItEEEEPS6_NSA_18transform_iteratorINSB_9not_fun_tINSA_8identityItEEEESF_NSA_11use_defaultESM_EENS0_5tupleIJSF_S6_EEENSO_IJSG_SG_EEES6_PlJS6_EEE10hipError_tPvRmT3_T4_T5_T6_T7_T9_mT8_P12ihipStream_tbDpT10_ENKUlT_T0_E_clISt17integral_constantIbLb1EES1B_EEDaS16_S17_EUlS16_E_NS1_11comp_targetILNS1_3genE10ELNS1_11target_archE1200ELNS1_3gpuE4ELNS1_3repE0EEENS1_30default_config_static_selectorELNS0_4arch9wavefront6targetE0EEEvT1_, .Lfunc_end930-_ZN7rocprim17ROCPRIM_400000_NS6detail17trampoline_kernelINS0_14default_configENS1_25partition_config_selectorILNS1_17partition_subalgoE5EtNS0_10empty_typeEbEEZZNS1_14partition_implILS5_5ELb0ES3_mN6thrust23THRUST_200600_302600_NS6detail15normal_iteratorINSA_10device_ptrItEEEEPS6_NSA_18transform_iteratorINSB_9not_fun_tINSA_8identityItEEEESF_NSA_11use_defaultESM_EENS0_5tupleIJSF_S6_EEENSO_IJSG_SG_EEES6_PlJS6_EEE10hipError_tPvRmT3_T4_T5_T6_T7_T9_mT8_P12ihipStream_tbDpT10_ENKUlT_T0_E_clISt17integral_constantIbLb1EES1B_EEDaS16_S17_EUlS16_E_NS1_11comp_targetILNS1_3genE10ELNS1_11target_archE1200ELNS1_3gpuE4ELNS1_3repE0EEENS1_30default_config_static_selectorELNS0_4arch9wavefront6targetE0EEEvT1_
                                        ; -- End function
	.set _ZN7rocprim17ROCPRIM_400000_NS6detail17trampoline_kernelINS0_14default_configENS1_25partition_config_selectorILNS1_17partition_subalgoE5EtNS0_10empty_typeEbEEZZNS1_14partition_implILS5_5ELb0ES3_mN6thrust23THRUST_200600_302600_NS6detail15normal_iteratorINSA_10device_ptrItEEEEPS6_NSA_18transform_iteratorINSB_9not_fun_tINSA_8identityItEEEESF_NSA_11use_defaultESM_EENS0_5tupleIJSF_S6_EEENSO_IJSG_SG_EEES6_PlJS6_EEE10hipError_tPvRmT3_T4_T5_T6_T7_T9_mT8_P12ihipStream_tbDpT10_ENKUlT_T0_E_clISt17integral_constantIbLb1EES1B_EEDaS16_S17_EUlS16_E_NS1_11comp_targetILNS1_3genE10ELNS1_11target_archE1200ELNS1_3gpuE4ELNS1_3repE0EEENS1_30default_config_static_selectorELNS0_4arch9wavefront6targetE0EEEvT1_.num_vgpr, 0
	.set _ZN7rocprim17ROCPRIM_400000_NS6detail17trampoline_kernelINS0_14default_configENS1_25partition_config_selectorILNS1_17partition_subalgoE5EtNS0_10empty_typeEbEEZZNS1_14partition_implILS5_5ELb0ES3_mN6thrust23THRUST_200600_302600_NS6detail15normal_iteratorINSA_10device_ptrItEEEEPS6_NSA_18transform_iteratorINSB_9not_fun_tINSA_8identityItEEEESF_NSA_11use_defaultESM_EENS0_5tupleIJSF_S6_EEENSO_IJSG_SG_EEES6_PlJS6_EEE10hipError_tPvRmT3_T4_T5_T6_T7_T9_mT8_P12ihipStream_tbDpT10_ENKUlT_T0_E_clISt17integral_constantIbLb1EES1B_EEDaS16_S17_EUlS16_E_NS1_11comp_targetILNS1_3genE10ELNS1_11target_archE1200ELNS1_3gpuE4ELNS1_3repE0EEENS1_30default_config_static_selectorELNS0_4arch9wavefront6targetE0EEEvT1_.num_agpr, 0
	.set _ZN7rocprim17ROCPRIM_400000_NS6detail17trampoline_kernelINS0_14default_configENS1_25partition_config_selectorILNS1_17partition_subalgoE5EtNS0_10empty_typeEbEEZZNS1_14partition_implILS5_5ELb0ES3_mN6thrust23THRUST_200600_302600_NS6detail15normal_iteratorINSA_10device_ptrItEEEEPS6_NSA_18transform_iteratorINSB_9not_fun_tINSA_8identityItEEEESF_NSA_11use_defaultESM_EENS0_5tupleIJSF_S6_EEENSO_IJSG_SG_EEES6_PlJS6_EEE10hipError_tPvRmT3_T4_T5_T6_T7_T9_mT8_P12ihipStream_tbDpT10_ENKUlT_T0_E_clISt17integral_constantIbLb1EES1B_EEDaS16_S17_EUlS16_E_NS1_11comp_targetILNS1_3genE10ELNS1_11target_archE1200ELNS1_3gpuE4ELNS1_3repE0EEENS1_30default_config_static_selectorELNS0_4arch9wavefront6targetE0EEEvT1_.numbered_sgpr, 0
	.set _ZN7rocprim17ROCPRIM_400000_NS6detail17trampoline_kernelINS0_14default_configENS1_25partition_config_selectorILNS1_17partition_subalgoE5EtNS0_10empty_typeEbEEZZNS1_14partition_implILS5_5ELb0ES3_mN6thrust23THRUST_200600_302600_NS6detail15normal_iteratorINSA_10device_ptrItEEEEPS6_NSA_18transform_iteratorINSB_9not_fun_tINSA_8identityItEEEESF_NSA_11use_defaultESM_EENS0_5tupleIJSF_S6_EEENSO_IJSG_SG_EEES6_PlJS6_EEE10hipError_tPvRmT3_T4_T5_T6_T7_T9_mT8_P12ihipStream_tbDpT10_ENKUlT_T0_E_clISt17integral_constantIbLb1EES1B_EEDaS16_S17_EUlS16_E_NS1_11comp_targetILNS1_3genE10ELNS1_11target_archE1200ELNS1_3gpuE4ELNS1_3repE0EEENS1_30default_config_static_selectorELNS0_4arch9wavefront6targetE0EEEvT1_.num_named_barrier, 0
	.set _ZN7rocprim17ROCPRIM_400000_NS6detail17trampoline_kernelINS0_14default_configENS1_25partition_config_selectorILNS1_17partition_subalgoE5EtNS0_10empty_typeEbEEZZNS1_14partition_implILS5_5ELb0ES3_mN6thrust23THRUST_200600_302600_NS6detail15normal_iteratorINSA_10device_ptrItEEEEPS6_NSA_18transform_iteratorINSB_9not_fun_tINSA_8identityItEEEESF_NSA_11use_defaultESM_EENS0_5tupleIJSF_S6_EEENSO_IJSG_SG_EEES6_PlJS6_EEE10hipError_tPvRmT3_T4_T5_T6_T7_T9_mT8_P12ihipStream_tbDpT10_ENKUlT_T0_E_clISt17integral_constantIbLb1EES1B_EEDaS16_S17_EUlS16_E_NS1_11comp_targetILNS1_3genE10ELNS1_11target_archE1200ELNS1_3gpuE4ELNS1_3repE0EEENS1_30default_config_static_selectorELNS0_4arch9wavefront6targetE0EEEvT1_.private_seg_size, 0
	.set _ZN7rocprim17ROCPRIM_400000_NS6detail17trampoline_kernelINS0_14default_configENS1_25partition_config_selectorILNS1_17partition_subalgoE5EtNS0_10empty_typeEbEEZZNS1_14partition_implILS5_5ELb0ES3_mN6thrust23THRUST_200600_302600_NS6detail15normal_iteratorINSA_10device_ptrItEEEEPS6_NSA_18transform_iteratorINSB_9not_fun_tINSA_8identityItEEEESF_NSA_11use_defaultESM_EENS0_5tupleIJSF_S6_EEENSO_IJSG_SG_EEES6_PlJS6_EEE10hipError_tPvRmT3_T4_T5_T6_T7_T9_mT8_P12ihipStream_tbDpT10_ENKUlT_T0_E_clISt17integral_constantIbLb1EES1B_EEDaS16_S17_EUlS16_E_NS1_11comp_targetILNS1_3genE10ELNS1_11target_archE1200ELNS1_3gpuE4ELNS1_3repE0EEENS1_30default_config_static_selectorELNS0_4arch9wavefront6targetE0EEEvT1_.uses_vcc, 0
	.set _ZN7rocprim17ROCPRIM_400000_NS6detail17trampoline_kernelINS0_14default_configENS1_25partition_config_selectorILNS1_17partition_subalgoE5EtNS0_10empty_typeEbEEZZNS1_14partition_implILS5_5ELb0ES3_mN6thrust23THRUST_200600_302600_NS6detail15normal_iteratorINSA_10device_ptrItEEEEPS6_NSA_18transform_iteratorINSB_9not_fun_tINSA_8identityItEEEESF_NSA_11use_defaultESM_EENS0_5tupleIJSF_S6_EEENSO_IJSG_SG_EEES6_PlJS6_EEE10hipError_tPvRmT3_T4_T5_T6_T7_T9_mT8_P12ihipStream_tbDpT10_ENKUlT_T0_E_clISt17integral_constantIbLb1EES1B_EEDaS16_S17_EUlS16_E_NS1_11comp_targetILNS1_3genE10ELNS1_11target_archE1200ELNS1_3gpuE4ELNS1_3repE0EEENS1_30default_config_static_selectorELNS0_4arch9wavefront6targetE0EEEvT1_.uses_flat_scratch, 0
	.set _ZN7rocprim17ROCPRIM_400000_NS6detail17trampoline_kernelINS0_14default_configENS1_25partition_config_selectorILNS1_17partition_subalgoE5EtNS0_10empty_typeEbEEZZNS1_14partition_implILS5_5ELb0ES3_mN6thrust23THRUST_200600_302600_NS6detail15normal_iteratorINSA_10device_ptrItEEEEPS6_NSA_18transform_iteratorINSB_9not_fun_tINSA_8identityItEEEESF_NSA_11use_defaultESM_EENS0_5tupleIJSF_S6_EEENSO_IJSG_SG_EEES6_PlJS6_EEE10hipError_tPvRmT3_T4_T5_T6_T7_T9_mT8_P12ihipStream_tbDpT10_ENKUlT_T0_E_clISt17integral_constantIbLb1EES1B_EEDaS16_S17_EUlS16_E_NS1_11comp_targetILNS1_3genE10ELNS1_11target_archE1200ELNS1_3gpuE4ELNS1_3repE0EEENS1_30default_config_static_selectorELNS0_4arch9wavefront6targetE0EEEvT1_.has_dyn_sized_stack, 0
	.set _ZN7rocprim17ROCPRIM_400000_NS6detail17trampoline_kernelINS0_14default_configENS1_25partition_config_selectorILNS1_17partition_subalgoE5EtNS0_10empty_typeEbEEZZNS1_14partition_implILS5_5ELb0ES3_mN6thrust23THRUST_200600_302600_NS6detail15normal_iteratorINSA_10device_ptrItEEEEPS6_NSA_18transform_iteratorINSB_9not_fun_tINSA_8identityItEEEESF_NSA_11use_defaultESM_EENS0_5tupleIJSF_S6_EEENSO_IJSG_SG_EEES6_PlJS6_EEE10hipError_tPvRmT3_T4_T5_T6_T7_T9_mT8_P12ihipStream_tbDpT10_ENKUlT_T0_E_clISt17integral_constantIbLb1EES1B_EEDaS16_S17_EUlS16_E_NS1_11comp_targetILNS1_3genE10ELNS1_11target_archE1200ELNS1_3gpuE4ELNS1_3repE0EEENS1_30default_config_static_selectorELNS0_4arch9wavefront6targetE0EEEvT1_.has_recursion, 0
	.set _ZN7rocprim17ROCPRIM_400000_NS6detail17trampoline_kernelINS0_14default_configENS1_25partition_config_selectorILNS1_17partition_subalgoE5EtNS0_10empty_typeEbEEZZNS1_14partition_implILS5_5ELb0ES3_mN6thrust23THRUST_200600_302600_NS6detail15normal_iteratorINSA_10device_ptrItEEEEPS6_NSA_18transform_iteratorINSB_9not_fun_tINSA_8identityItEEEESF_NSA_11use_defaultESM_EENS0_5tupleIJSF_S6_EEENSO_IJSG_SG_EEES6_PlJS6_EEE10hipError_tPvRmT3_T4_T5_T6_T7_T9_mT8_P12ihipStream_tbDpT10_ENKUlT_T0_E_clISt17integral_constantIbLb1EES1B_EEDaS16_S17_EUlS16_E_NS1_11comp_targetILNS1_3genE10ELNS1_11target_archE1200ELNS1_3gpuE4ELNS1_3repE0EEENS1_30default_config_static_selectorELNS0_4arch9wavefront6targetE0EEEvT1_.has_indirect_call, 0
	.section	.AMDGPU.csdata,"",@progbits
; Kernel info:
; codeLenInByte = 4
; TotalNumSgprs: 0
; NumVgprs: 0
; ScratchSize: 0
; MemoryBound: 0
; FloatMode: 240
; IeeeMode: 1
; LDSByteSize: 0 bytes/workgroup (compile time only)
; SGPRBlocks: 0
; VGPRBlocks: 0
; NumSGPRsForWavesPerEU: 1
; NumVGPRsForWavesPerEU: 1
; Occupancy: 16
; WaveLimiterHint : 0
; COMPUTE_PGM_RSRC2:SCRATCH_EN: 0
; COMPUTE_PGM_RSRC2:USER_SGPR: 2
; COMPUTE_PGM_RSRC2:TRAP_HANDLER: 0
; COMPUTE_PGM_RSRC2:TGID_X_EN: 1
; COMPUTE_PGM_RSRC2:TGID_Y_EN: 0
; COMPUTE_PGM_RSRC2:TGID_Z_EN: 0
; COMPUTE_PGM_RSRC2:TIDIG_COMP_CNT: 0
	.section	.text._ZN7rocprim17ROCPRIM_400000_NS6detail17trampoline_kernelINS0_14default_configENS1_25partition_config_selectorILNS1_17partition_subalgoE5EtNS0_10empty_typeEbEEZZNS1_14partition_implILS5_5ELb0ES3_mN6thrust23THRUST_200600_302600_NS6detail15normal_iteratorINSA_10device_ptrItEEEEPS6_NSA_18transform_iteratorINSB_9not_fun_tINSA_8identityItEEEESF_NSA_11use_defaultESM_EENS0_5tupleIJSF_S6_EEENSO_IJSG_SG_EEES6_PlJS6_EEE10hipError_tPvRmT3_T4_T5_T6_T7_T9_mT8_P12ihipStream_tbDpT10_ENKUlT_T0_E_clISt17integral_constantIbLb1EES1B_EEDaS16_S17_EUlS16_E_NS1_11comp_targetILNS1_3genE9ELNS1_11target_archE1100ELNS1_3gpuE3ELNS1_3repE0EEENS1_30default_config_static_selectorELNS0_4arch9wavefront6targetE0EEEvT1_,"axG",@progbits,_ZN7rocprim17ROCPRIM_400000_NS6detail17trampoline_kernelINS0_14default_configENS1_25partition_config_selectorILNS1_17partition_subalgoE5EtNS0_10empty_typeEbEEZZNS1_14partition_implILS5_5ELb0ES3_mN6thrust23THRUST_200600_302600_NS6detail15normal_iteratorINSA_10device_ptrItEEEEPS6_NSA_18transform_iteratorINSB_9not_fun_tINSA_8identityItEEEESF_NSA_11use_defaultESM_EENS0_5tupleIJSF_S6_EEENSO_IJSG_SG_EEES6_PlJS6_EEE10hipError_tPvRmT3_T4_T5_T6_T7_T9_mT8_P12ihipStream_tbDpT10_ENKUlT_T0_E_clISt17integral_constantIbLb1EES1B_EEDaS16_S17_EUlS16_E_NS1_11comp_targetILNS1_3genE9ELNS1_11target_archE1100ELNS1_3gpuE3ELNS1_3repE0EEENS1_30default_config_static_selectorELNS0_4arch9wavefront6targetE0EEEvT1_,comdat
	.protected	_ZN7rocprim17ROCPRIM_400000_NS6detail17trampoline_kernelINS0_14default_configENS1_25partition_config_selectorILNS1_17partition_subalgoE5EtNS0_10empty_typeEbEEZZNS1_14partition_implILS5_5ELb0ES3_mN6thrust23THRUST_200600_302600_NS6detail15normal_iteratorINSA_10device_ptrItEEEEPS6_NSA_18transform_iteratorINSB_9not_fun_tINSA_8identityItEEEESF_NSA_11use_defaultESM_EENS0_5tupleIJSF_S6_EEENSO_IJSG_SG_EEES6_PlJS6_EEE10hipError_tPvRmT3_T4_T5_T6_T7_T9_mT8_P12ihipStream_tbDpT10_ENKUlT_T0_E_clISt17integral_constantIbLb1EES1B_EEDaS16_S17_EUlS16_E_NS1_11comp_targetILNS1_3genE9ELNS1_11target_archE1100ELNS1_3gpuE3ELNS1_3repE0EEENS1_30default_config_static_selectorELNS0_4arch9wavefront6targetE0EEEvT1_ ; -- Begin function _ZN7rocprim17ROCPRIM_400000_NS6detail17trampoline_kernelINS0_14default_configENS1_25partition_config_selectorILNS1_17partition_subalgoE5EtNS0_10empty_typeEbEEZZNS1_14partition_implILS5_5ELb0ES3_mN6thrust23THRUST_200600_302600_NS6detail15normal_iteratorINSA_10device_ptrItEEEEPS6_NSA_18transform_iteratorINSB_9not_fun_tINSA_8identityItEEEESF_NSA_11use_defaultESM_EENS0_5tupleIJSF_S6_EEENSO_IJSG_SG_EEES6_PlJS6_EEE10hipError_tPvRmT3_T4_T5_T6_T7_T9_mT8_P12ihipStream_tbDpT10_ENKUlT_T0_E_clISt17integral_constantIbLb1EES1B_EEDaS16_S17_EUlS16_E_NS1_11comp_targetILNS1_3genE9ELNS1_11target_archE1100ELNS1_3gpuE3ELNS1_3repE0EEENS1_30default_config_static_selectorELNS0_4arch9wavefront6targetE0EEEvT1_
	.globl	_ZN7rocprim17ROCPRIM_400000_NS6detail17trampoline_kernelINS0_14default_configENS1_25partition_config_selectorILNS1_17partition_subalgoE5EtNS0_10empty_typeEbEEZZNS1_14partition_implILS5_5ELb0ES3_mN6thrust23THRUST_200600_302600_NS6detail15normal_iteratorINSA_10device_ptrItEEEEPS6_NSA_18transform_iteratorINSB_9not_fun_tINSA_8identityItEEEESF_NSA_11use_defaultESM_EENS0_5tupleIJSF_S6_EEENSO_IJSG_SG_EEES6_PlJS6_EEE10hipError_tPvRmT3_T4_T5_T6_T7_T9_mT8_P12ihipStream_tbDpT10_ENKUlT_T0_E_clISt17integral_constantIbLb1EES1B_EEDaS16_S17_EUlS16_E_NS1_11comp_targetILNS1_3genE9ELNS1_11target_archE1100ELNS1_3gpuE3ELNS1_3repE0EEENS1_30default_config_static_selectorELNS0_4arch9wavefront6targetE0EEEvT1_
	.p2align	8
	.type	_ZN7rocprim17ROCPRIM_400000_NS6detail17trampoline_kernelINS0_14default_configENS1_25partition_config_selectorILNS1_17partition_subalgoE5EtNS0_10empty_typeEbEEZZNS1_14partition_implILS5_5ELb0ES3_mN6thrust23THRUST_200600_302600_NS6detail15normal_iteratorINSA_10device_ptrItEEEEPS6_NSA_18transform_iteratorINSB_9not_fun_tINSA_8identityItEEEESF_NSA_11use_defaultESM_EENS0_5tupleIJSF_S6_EEENSO_IJSG_SG_EEES6_PlJS6_EEE10hipError_tPvRmT3_T4_T5_T6_T7_T9_mT8_P12ihipStream_tbDpT10_ENKUlT_T0_E_clISt17integral_constantIbLb1EES1B_EEDaS16_S17_EUlS16_E_NS1_11comp_targetILNS1_3genE9ELNS1_11target_archE1100ELNS1_3gpuE3ELNS1_3repE0EEENS1_30default_config_static_selectorELNS0_4arch9wavefront6targetE0EEEvT1_,@function
_ZN7rocprim17ROCPRIM_400000_NS6detail17trampoline_kernelINS0_14default_configENS1_25partition_config_selectorILNS1_17partition_subalgoE5EtNS0_10empty_typeEbEEZZNS1_14partition_implILS5_5ELb0ES3_mN6thrust23THRUST_200600_302600_NS6detail15normal_iteratorINSA_10device_ptrItEEEEPS6_NSA_18transform_iteratorINSB_9not_fun_tINSA_8identityItEEEESF_NSA_11use_defaultESM_EENS0_5tupleIJSF_S6_EEENSO_IJSG_SG_EEES6_PlJS6_EEE10hipError_tPvRmT3_T4_T5_T6_T7_T9_mT8_P12ihipStream_tbDpT10_ENKUlT_T0_E_clISt17integral_constantIbLb1EES1B_EEDaS16_S17_EUlS16_E_NS1_11comp_targetILNS1_3genE9ELNS1_11target_archE1100ELNS1_3gpuE3ELNS1_3repE0EEENS1_30default_config_static_selectorELNS0_4arch9wavefront6targetE0EEEvT1_: ; @_ZN7rocprim17ROCPRIM_400000_NS6detail17trampoline_kernelINS0_14default_configENS1_25partition_config_selectorILNS1_17partition_subalgoE5EtNS0_10empty_typeEbEEZZNS1_14partition_implILS5_5ELb0ES3_mN6thrust23THRUST_200600_302600_NS6detail15normal_iteratorINSA_10device_ptrItEEEEPS6_NSA_18transform_iteratorINSB_9not_fun_tINSA_8identityItEEEESF_NSA_11use_defaultESM_EENS0_5tupleIJSF_S6_EEENSO_IJSG_SG_EEES6_PlJS6_EEE10hipError_tPvRmT3_T4_T5_T6_T7_T9_mT8_P12ihipStream_tbDpT10_ENKUlT_T0_E_clISt17integral_constantIbLb1EES1B_EEDaS16_S17_EUlS16_E_NS1_11comp_targetILNS1_3genE9ELNS1_11target_archE1100ELNS1_3gpuE3ELNS1_3repE0EEENS1_30default_config_static_selectorELNS0_4arch9wavefront6targetE0EEEvT1_
; %bb.0:
	.section	.rodata,"a",@progbits
	.p2align	6, 0x0
	.amdhsa_kernel _ZN7rocprim17ROCPRIM_400000_NS6detail17trampoline_kernelINS0_14default_configENS1_25partition_config_selectorILNS1_17partition_subalgoE5EtNS0_10empty_typeEbEEZZNS1_14partition_implILS5_5ELb0ES3_mN6thrust23THRUST_200600_302600_NS6detail15normal_iteratorINSA_10device_ptrItEEEEPS6_NSA_18transform_iteratorINSB_9not_fun_tINSA_8identityItEEEESF_NSA_11use_defaultESM_EENS0_5tupleIJSF_S6_EEENSO_IJSG_SG_EEES6_PlJS6_EEE10hipError_tPvRmT3_T4_T5_T6_T7_T9_mT8_P12ihipStream_tbDpT10_ENKUlT_T0_E_clISt17integral_constantIbLb1EES1B_EEDaS16_S17_EUlS16_E_NS1_11comp_targetILNS1_3genE9ELNS1_11target_archE1100ELNS1_3gpuE3ELNS1_3repE0EEENS1_30default_config_static_selectorELNS0_4arch9wavefront6targetE0EEEvT1_
		.amdhsa_group_segment_fixed_size 0
		.amdhsa_private_segment_fixed_size 0
		.amdhsa_kernarg_size 136
		.amdhsa_user_sgpr_count 2
		.amdhsa_user_sgpr_dispatch_ptr 0
		.amdhsa_user_sgpr_queue_ptr 0
		.amdhsa_user_sgpr_kernarg_segment_ptr 1
		.amdhsa_user_sgpr_dispatch_id 0
		.amdhsa_user_sgpr_private_segment_size 0
		.amdhsa_wavefront_size32 1
		.amdhsa_uses_dynamic_stack 0
		.amdhsa_enable_private_segment 0
		.amdhsa_system_sgpr_workgroup_id_x 1
		.amdhsa_system_sgpr_workgroup_id_y 0
		.amdhsa_system_sgpr_workgroup_id_z 0
		.amdhsa_system_sgpr_workgroup_info 0
		.amdhsa_system_vgpr_workitem_id 0
		.amdhsa_next_free_vgpr 1
		.amdhsa_next_free_sgpr 1
		.amdhsa_reserve_vcc 0
		.amdhsa_float_round_mode_32 0
		.amdhsa_float_round_mode_16_64 0
		.amdhsa_float_denorm_mode_32 3
		.amdhsa_float_denorm_mode_16_64 3
		.amdhsa_fp16_overflow 0
		.amdhsa_workgroup_processor_mode 1
		.amdhsa_memory_ordered 1
		.amdhsa_forward_progress 1
		.amdhsa_inst_pref_size 0
		.amdhsa_round_robin_scheduling 0
		.amdhsa_exception_fp_ieee_invalid_op 0
		.amdhsa_exception_fp_denorm_src 0
		.amdhsa_exception_fp_ieee_div_zero 0
		.amdhsa_exception_fp_ieee_overflow 0
		.amdhsa_exception_fp_ieee_underflow 0
		.amdhsa_exception_fp_ieee_inexact 0
		.amdhsa_exception_int_div_zero 0
	.end_amdhsa_kernel
	.section	.text._ZN7rocprim17ROCPRIM_400000_NS6detail17trampoline_kernelINS0_14default_configENS1_25partition_config_selectorILNS1_17partition_subalgoE5EtNS0_10empty_typeEbEEZZNS1_14partition_implILS5_5ELb0ES3_mN6thrust23THRUST_200600_302600_NS6detail15normal_iteratorINSA_10device_ptrItEEEEPS6_NSA_18transform_iteratorINSB_9not_fun_tINSA_8identityItEEEESF_NSA_11use_defaultESM_EENS0_5tupleIJSF_S6_EEENSO_IJSG_SG_EEES6_PlJS6_EEE10hipError_tPvRmT3_T4_T5_T6_T7_T9_mT8_P12ihipStream_tbDpT10_ENKUlT_T0_E_clISt17integral_constantIbLb1EES1B_EEDaS16_S17_EUlS16_E_NS1_11comp_targetILNS1_3genE9ELNS1_11target_archE1100ELNS1_3gpuE3ELNS1_3repE0EEENS1_30default_config_static_selectorELNS0_4arch9wavefront6targetE0EEEvT1_,"axG",@progbits,_ZN7rocprim17ROCPRIM_400000_NS6detail17trampoline_kernelINS0_14default_configENS1_25partition_config_selectorILNS1_17partition_subalgoE5EtNS0_10empty_typeEbEEZZNS1_14partition_implILS5_5ELb0ES3_mN6thrust23THRUST_200600_302600_NS6detail15normal_iteratorINSA_10device_ptrItEEEEPS6_NSA_18transform_iteratorINSB_9not_fun_tINSA_8identityItEEEESF_NSA_11use_defaultESM_EENS0_5tupleIJSF_S6_EEENSO_IJSG_SG_EEES6_PlJS6_EEE10hipError_tPvRmT3_T4_T5_T6_T7_T9_mT8_P12ihipStream_tbDpT10_ENKUlT_T0_E_clISt17integral_constantIbLb1EES1B_EEDaS16_S17_EUlS16_E_NS1_11comp_targetILNS1_3genE9ELNS1_11target_archE1100ELNS1_3gpuE3ELNS1_3repE0EEENS1_30default_config_static_selectorELNS0_4arch9wavefront6targetE0EEEvT1_,comdat
.Lfunc_end931:
	.size	_ZN7rocprim17ROCPRIM_400000_NS6detail17trampoline_kernelINS0_14default_configENS1_25partition_config_selectorILNS1_17partition_subalgoE5EtNS0_10empty_typeEbEEZZNS1_14partition_implILS5_5ELb0ES3_mN6thrust23THRUST_200600_302600_NS6detail15normal_iteratorINSA_10device_ptrItEEEEPS6_NSA_18transform_iteratorINSB_9not_fun_tINSA_8identityItEEEESF_NSA_11use_defaultESM_EENS0_5tupleIJSF_S6_EEENSO_IJSG_SG_EEES6_PlJS6_EEE10hipError_tPvRmT3_T4_T5_T6_T7_T9_mT8_P12ihipStream_tbDpT10_ENKUlT_T0_E_clISt17integral_constantIbLb1EES1B_EEDaS16_S17_EUlS16_E_NS1_11comp_targetILNS1_3genE9ELNS1_11target_archE1100ELNS1_3gpuE3ELNS1_3repE0EEENS1_30default_config_static_selectorELNS0_4arch9wavefront6targetE0EEEvT1_, .Lfunc_end931-_ZN7rocprim17ROCPRIM_400000_NS6detail17trampoline_kernelINS0_14default_configENS1_25partition_config_selectorILNS1_17partition_subalgoE5EtNS0_10empty_typeEbEEZZNS1_14partition_implILS5_5ELb0ES3_mN6thrust23THRUST_200600_302600_NS6detail15normal_iteratorINSA_10device_ptrItEEEEPS6_NSA_18transform_iteratorINSB_9not_fun_tINSA_8identityItEEEESF_NSA_11use_defaultESM_EENS0_5tupleIJSF_S6_EEENSO_IJSG_SG_EEES6_PlJS6_EEE10hipError_tPvRmT3_T4_T5_T6_T7_T9_mT8_P12ihipStream_tbDpT10_ENKUlT_T0_E_clISt17integral_constantIbLb1EES1B_EEDaS16_S17_EUlS16_E_NS1_11comp_targetILNS1_3genE9ELNS1_11target_archE1100ELNS1_3gpuE3ELNS1_3repE0EEENS1_30default_config_static_selectorELNS0_4arch9wavefront6targetE0EEEvT1_
                                        ; -- End function
	.set _ZN7rocprim17ROCPRIM_400000_NS6detail17trampoline_kernelINS0_14default_configENS1_25partition_config_selectorILNS1_17partition_subalgoE5EtNS0_10empty_typeEbEEZZNS1_14partition_implILS5_5ELb0ES3_mN6thrust23THRUST_200600_302600_NS6detail15normal_iteratorINSA_10device_ptrItEEEEPS6_NSA_18transform_iteratorINSB_9not_fun_tINSA_8identityItEEEESF_NSA_11use_defaultESM_EENS0_5tupleIJSF_S6_EEENSO_IJSG_SG_EEES6_PlJS6_EEE10hipError_tPvRmT3_T4_T5_T6_T7_T9_mT8_P12ihipStream_tbDpT10_ENKUlT_T0_E_clISt17integral_constantIbLb1EES1B_EEDaS16_S17_EUlS16_E_NS1_11comp_targetILNS1_3genE9ELNS1_11target_archE1100ELNS1_3gpuE3ELNS1_3repE0EEENS1_30default_config_static_selectorELNS0_4arch9wavefront6targetE0EEEvT1_.num_vgpr, 0
	.set _ZN7rocprim17ROCPRIM_400000_NS6detail17trampoline_kernelINS0_14default_configENS1_25partition_config_selectorILNS1_17partition_subalgoE5EtNS0_10empty_typeEbEEZZNS1_14partition_implILS5_5ELb0ES3_mN6thrust23THRUST_200600_302600_NS6detail15normal_iteratorINSA_10device_ptrItEEEEPS6_NSA_18transform_iteratorINSB_9not_fun_tINSA_8identityItEEEESF_NSA_11use_defaultESM_EENS0_5tupleIJSF_S6_EEENSO_IJSG_SG_EEES6_PlJS6_EEE10hipError_tPvRmT3_T4_T5_T6_T7_T9_mT8_P12ihipStream_tbDpT10_ENKUlT_T0_E_clISt17integral_constantIbLb1EES1B_EEDaS16_S17_EUlS16_E_NS1_11comp_targetILNS1_3genE9ELNS1_11target_archE1100ELNS1_3gpuE3ELNS1_3repE0EEENS1_30default_config_static_selectorELNS0_4arch9wavefront6targetE0EEEvT1_.num_agpr, 0
	.set _ZN7rocprim17ROCPRIM_400000_NS6detail17trampoline_kernelINS0_14default_configENS1_25partition_config_selectorILNS1_17partition_subalgoE5EtNS0_10empty_typeEbEEZZNS1_14partition_implILS5_5ELb0ES3_mN6thrust23THRUST_200600_302600_NS6detail15normal_iteratorINSA_10device_ptrItEEEEPS6_NSA_18transform_iteratorINSB_9not_fun_tINSA_8identityItEEEESF_NSA_11use_defaultESM_EENS0_5tupleIJSF_S6_EEENSO_IJSG_SG_EEES6_PlJS6_EEE10hipError_tPvRmT3_T4_T5_T6_T7_T9_mT8_P12ihipStream_tbDpT10_ENKUlT_T0_E_clISt17integral_constantIbLb1EES1B_EEDaS16_S17_EUlS16_E_NS1_11comp_targetILNS1_3genE9ELNS1_11target_archE1100ELNS1_3gpuE3ELNS1_3repE0EEENS1_30default_config_static_selectorELNS0_4arch9wavefront6targetE0EEEvT1_.numbered_sgpr, 0
	.set _ZN7rocprim17ROCPRIM_400000_NS6detail17trampoline_kernelINS0_14default_configENS1_25partition_config_selectorILNS1_17partition_subalgoE5EtNS0_10empty_typeEbEEZZNS1_14partition_implILS5_5ELb0ES3_mN6thrust23THRUST_200600_302600_NS6detail15normal_iteratorINSA_10device_ptrItEEEEPS6_NSA_18transform_iteratorINSB_9not_fun_tINSA_8identityItEEEESF_NSA_11use_defaultESM_EENS0_5tupleIJSF_S6_EEENSO_IJSG_SG_EEES6_PlJS6_EEE10hipError_tPvRmT3_T4_T5_T6_T7_T9_mT8_P12ihipStream_tbDpT10_ENKUlT_T0_E_clISt17integral_constantIbLb1EES1B_EEDaS16_S17_EUlS16_E_NS1_11comp_targetILNS1_3genE9ELNS1_11target_archE1100ELNS1_3gpuE3ELNS1_3repE0EEENS1_30default_config_static_selectorELNS0_4arch9wavefront6targetE0EEEvT1_.num_named_barrier, 0
	.set _ZN7rocprim17ROCPRIM_400000_NS6detail17trampoline_kernelINS0_14default_configENS1_25partition_config_selectorILNS1_17partition_subalgoE5EtNS0_10empty_typeEbEEZZNS1_14partition_implILS5_5ELb0ES3_mN6thrust23THRUST_200600_302600_NS6detail15normal_iteratorINSA_10device_ptrItEEEEPS6_NSA_18transform_iteratorINSB_9not_fun_tINSA_8identityItEEEESF_NSA_11use_defaultESM_EENS0_5tupleIJSF_S6_EEENSO_IJSG_SG_EEES6_PlJS6_EEE10hipError_tPvRmT3_T4_T5_T6_T7_T9_mT8_P12ihipStream_tbDpT10_ENKUlT_T0_E_clISt17integral_constantIbLb1EES1B_EEDaS16_S17_EUlS16_E_NS1_11comp_targetILNS1_3genE9ELNS1_11target_archE1100ELNS1_3gpuE3ELNS1_3repE0EEENS1_30default_config_static_selectorELNS0_4arch9wavefront6targetE0EEEvT1_.private_seg_size, 0
	.set _ZN7rocprim17ROCPRIM_400000_NS6detail17trampoline_kernelINS0_14default_configENS1_25partition_config_selectorILNS1_17partition_subalgoE5EtNS0_10empty_typeEbEEZZNS1_14partition_implILS5_5ELb0ES3_mN6thrust23THRUST_200600_302600_NS6detail15normal_iteratorINSA_10device_ptrItEEEEPS6_NSA_18transform_iteratorINSB_9not_fun_tINSA_8identityItEEEESF_NSA_11use_defaultESM_EENS0_5tupleIJSF_S6_EEENSO_IJSG_SG_EEES6_PlJS6_EEE10hipError_tPvRmT3_T4_T5_T6_T7_T9_mT8_P12ihipStream_tbDpT10_ENKUlT_T0_E_clISt17integral_constantIbLb1EES1B_EEDaS16_S17_EUlS16_E_NS1_11comp_targetILNS1_3genE9ELNS1_11target_archE1100ELNS1_3gpuE3ELNS1_3repE0EEENS1_30default_config_static_selectorELNS0_4arch9wavefront6targetE0EEEvT1_.uses_vcc, 0
	.set _ZN7rocprim17ROCPRIM_400000_NS6detail17trampoline_kernelINS0_14default_configENS1_25partition_config_selectorILNS1_17partition_subalgoE5EtNS0_10empty_typeEbEEZZNS1_14partition_implILS5_5ELb0ES3_mN6thrust23THRUST_200600_302600_NS6detail15normal_iteratorINSA_10device_ptrItEEEEPS6_NSA_18transform_iteratorINSB_9not_fun_tINSA_8identityItEEEESF_NSA_11use_defaultESM_EENS0_5tupleIJSF_S6_EEENSO_IJSG_SG_EEES6_PlJS6_EEE10hipError_tPvRmT3_T4_T5_T6_T7_T9_mT8_P12ihipStream_tbDpT10_ENKUlT_T0_E_clISt17integral_constantIbLb1EES1B_EEDaS16_S17_EUlS16_E_NS1_11comp_targetILNS1_3genE9ELNS1_11target_archE1100ELNS1_3gpuE3ELNS1_3repE0EEENS1_30default_config_static_selectorELNS0_4arch9wavefront6targetE0EEEvT1_.uses_flat_scratch, 0
	.set _ZN7rocprim17ROCPRIM_400000_NS6detail17trampoline_kernelINS0_14default_configENS1_25partition_config_selectorILNS1_17partition_subalgoE5EtNS0_10empty_typeEbEEZZNS1_14partition_implILS5_5ELb0ES3_mN6thrust23THRUST_200600_302600_NS6detail15normal_iteratorINSA_10device_ptrItEEEEPS6_NSA_18transform_iteratorINSB_9not_fun_tINSA_8identityItEEEESF_NSA_11use_defaultESM_EENS0_5tupleIJSF_S6_EEENSO_IJSG_SG_EEES6_PlJS6_EEE10hipError_tPvRmT3_T4_T5_T6_T7_T9_mT8_P12ihipStream_tbDpT10_ENKUlT_T0_E_clISt17integral_constantIbLb1EES1B_EEDaS16_S17_EUlS16_E_NS1_11comp_targetILNS1_3genE9ELNS1_11target_archE1100ELNS1_3gpuE3ELNS1_3repE0EEENS1_30default_config_static_selectorELNS0_4arch9wavefront6targetE0EEEvT1_.has_dyn_sized_stack, 0
	.set _ZN7rocprim17ROCPRIM_400000_NS6detail17trampoline_kernelINS0_14default_configENS1_25partition_config_selectorILNS1_17partition_subalgoE5EtNS0_10empty_typeEbEEZZNS1_14partition_implILS5_5ELb0ES3_mN6thrust23THRUST_200600_302600_NS6detail15normal_iteratorINSA_10device_ptrItEEEEPS6_NSA_18transform_iteratorINSB_9not_fun_tINSA_8identityItEEEESF_NSA_11use_defaultESM_EENS0_5tupleIJSF_S6_EEENSO_IJSG_SG_EEES6_PlJS6_EEE10hipError_tPvRmT3_T4_T5_T6_T7_T9_mT8_P12ihipStream_tbDpT10_ENKUlT_T0_E_clISt17integral_constantIbLb1EES1B_EEDaS16_S17_EUlS16_E_NS1_11comp_targetILNS1_3genE9ELNS1_11target_archE1100ELNS1_3gpuE3ELNS1_3repE0EEENS1_30default_config_static_selectorELNS0_4arch9wavefront6targetE0EEEvT1_.has_recursion, 0
	.set _ZN7rocprim17ROCPRIM_400000_NS6detail17trampoline_kernelINS0_14default_configENS1_25partition_config_selectorILNS1_17partition_subalgoE5EtNS0_10empty_typeEbEEZZNS1_14partition_implILS5_5ELb0ES3_mN6thrust23THRUST_200600_302600_NS6detail15normal_iteratorINSA_10device_ptrItEEEEPS6_NSA_18transform_iteratorINSB_9not_fun_tINSA_8identityItEEEESF_NSA_11use_defaultESM_EENS0_5tupleIJSF_S6_EEENSO_IJSG_SG_EEES6_PlJS6_EEE10hipError_tPvRmT3_T4_T5_T6_T7_T9_mT8_P12ihipStream_tbDpT10_ENKUlT_T0_E_clISt17integral_constantIbLb1EES1B_EEDaS16_S17_EUlS16_E_NS1_11comp_targetILNS1_3genE9ELNS1_11target_archE1100ELNS1_3gpuE3ELNS1_3repE0EEENS1_30default_config_static_selectorELNS0_4arch9wavefront6targetE0EEEvT1_.has_indirect_call, 0
	.section	.AMDGPU.csdata,"",@progbits
; Kernel info:
; codeLenInByte = 0
; TotalNumSgprs: 0
; NumVgprs: 0
; ScratchSize: 0
; MemoryBound: 0
; FloatMode: 240
; IeeeMode: 1
; LDSByteSize: 0 bytes/workgroup (compile time only)
; SGPRBlocks: 0
; VGPRBlocks: 0
; NumSGPRsForWavesPerEU: 1
; NumVGPRsForWavesPerEU: 1
; Occupancy: 16
; WaveLimiterHint : 0
; COMPUTE_PGM_RSRC2:SCRATCH_EN: 0
; COMPUTE_PGM_RSRC2:USER_SGPR: 2
; COMPUTE_PGM_RSRC2:TRAP_HANDLER: 0
; COMPUTE_PGM_RSRC2:TGID_X_EN: 1
; COMPUTE_PGM_RSRC2:TGID_Y_EN: 0
; COMPUTE_PGM_RSRC2:TGID_Z_EN: 0
; COMPUTE_PGM_RSRC2:TIDIG_COMP_CNT: 0
	.section	.text._ZN7rocprim17ROCPRIM_400000_NS6detail17trampoline_kernelINS0_14default_configENS1_25partition_config_selectorILNS1_17partition_subalgoE5EtNS0_10empty_typeEbEEZZNS1_14partition_implILS5_5ELb0ES3_mN6thrust23THRUST_200600_302600_NS6detail15normal_iteratorINSA_10device_ptrItEEEEPS6_NSA_18transform_iteratorINSB_9not_fun_tINSA_8identityItEEEESF_NSA_11use_defaultESM_EENS0_5tupleIJSF_S6_EEENSO_IJSG_SG_EEES6_PlJS6_EEE10hipError_tPvRmT3_T4_T5_T6_T7_T9_mT8_P12ihipStream_tbDpT10_ENKUlT_T0_E_clISt17integral_constantIbLb1EES1B_EEDaS16_S17_EUlS16_E_NS1_11comp_targetILNS1_3genE8ELNS1_11target_archE1030ELNS1_3gpuE2ELNS1_3repE0EEENS1_30default_config_static_selectorELNS0_4arch9wavefront6targetE0EEEvT1_,"axG",@progbits,_ZN7rocprim17ROCPRIM_400000_NS6detail17trampoline_kernelINS0_14default_configENS1_25partition_config_selectorILNS1_17partition_subalgoE5EtNS0_10empty_typeEbEEZZNS1_14partition_implILS5_5ELb0ES3_mN6thrust23THRUST_200600_302600_NS6detail15normal_iteratorINSA_10device_ptrItEEEEPS6_NSA_18transform_iteratorINSB_9not_fun_tINSA_8identityItEEEESF_NSA_11use_defaultESM_EENS0_5tupleIJSF_S6_EEENSO_IJSG_SG_EEES6_PlJS6_EEE10hipError_tPvRmT3_T4_T5_T6_T7_T9_mT8_P12ihipStream_tbDpT10_ENKUlT_T0_E_clISt17integral_constantIbLb1EES1B_EEDaS16_S17_EUlS16_E_NS1_11comp_targetILNS1_3genE8ELNS1_11target_archE1030ELNS1_3gpuE2ELNS1_3repE0EEENS1_30default_config_static_selectorELNS0_4arch9wavefront6targetE0EEEvT1_,comdat
	.protected	_ZN7rocprim17ROCPRIM_400000_NS6detail17trampoline_kernelINS0_14default_configENS1_25partition_config_selectorILNS1_17partition_subalgoE5EtNS0_10empty_typeEbEEZZNS1_14partition_implILS5_5ELb0ES3_mN6thrust23THRUST_200600_302600_NS6detail15normal_iteratorINSA_10device_ptrItEEEEPS6_NSA_18transform_iteratorINSB_9not_fun_tINSA_8identityItEEEESF_NSA_11use_defaultESM_EENS0_5tupleIJSF_S6_EEENSO_IJSG_SG_EEES6_PlJS6_EEE10hipError_tPvRmT3_T4_T5_T6_T7_T9_mT8_P12ihipStream_tbDpT10_ENKUlT_T0_E_clISt17integral_constantIbLb1EES1B_EEDaS16_S17_EUlS16_E_NS1_11comp_targetILNS1_3genE8ELNS1_11target_archE1030ELNS1_3gpuE2ELNS1_3repE0EEENS1_30default_config_static_selectorELNS0_4arch9wavefront6targetE0EEEvT1_ ; -- Begin function _ZN7rocprim17ROCPRIM_400000_NS6detail17trampoline_kernelINS0_14default_configENS1_25partition_config_selectorILNS1_17partition_subalgoE5EtNS0_10empty_typeEbEEZZNS1_14partition_implILS5_5ELb0ES3_mN6thrust23THRUST_200600_302600_NS6detail15normal_iteratorINSA_10device_ptrItEEEEPS6_NSA_18transform_iteratorINSB_9not_fun_tINSA_8identityItEEEESF_NSA_11use_defaultESM_EENS0_5tupleIJSF_S6_EEENSO_IJSG_SG_EEES6_PlJS6_EEE10hipError_tPvRmT3_T4_T5_T6_T7_T9_mT8_P12ihipStream_tbDpT10_ENKUlT_T0_E_clISt17integral_constantIbLb1EES1B_EEDaS16_S17_EUlS16_E_NS1_11comp_targetILNS1_3genE8ELNS1_11target_archE1030ELNS1_3gpuE2ELNS1_3repE0EEENS1_30default_config_static_selectorELNS0_4arch9wavefront6targetE0EEEvT1_
	.globl	_ZN7rocprim17ROCPRIM_400000_NS6detail17trampoline_kernelINS0_14default_configENS1_25partition_config_selectorILNS1_17partition_subalgoE5EtNS0_10empty_typeEbEEZZNS1_14partition_implILS5_5ELb0ES3_mN6thrust23THRUST_200600_302600_NS6detail15normal_iteratorINSA_10device_ptrItEEEEPS6_NSA_18transform_iteratorINSB_9not_fun_tINSA_8identityItEEEESF_NSA_11use_defaultESM_EENS0_5tupleIJSF_S6_EEENSO_IJSG_SG_EEES6_PlJS6_EEE10hipError_tPvRmT3_T4_T5_T6_T7_T9_mT8_P12ihipStream_tbDpT10_ENKUlT_T0_E_clISt17integral_constantIbLb1EES1B_EEDaS16_S17_EUlS16_E_NS1_11comp_targetILNS1_3genE8ELNS1_11target_archE1030ELNS1_3gpuE2ELNS1_3repE0EEENS1_30default_config_static_selectorELNS0_4arch9wavefront6targetE0EEEvT1_
	.p2align	8
	.type	_ZN7rocprim17ROCPRIM_400000_NS6detail17trampoline_kernelINS0_14default_configENS1_25partition_config_selectorILNS1_17partition_subalgoE5EtNS0_10empty_typeEbEEZZNS1_14partition_implILS5_5ELb0ES3_mN6thrust23THRUST_200600_302600_NS6detail15normal_iteratorINSA_10device_ptrItEEEEPS6_NSA_18transform_iteratorINSB_9not_fun_tINSA_8identityItEEEESF_NSA_11use_defaultESM_EENS0_5tupleIJSF_S6_EEENSO_IJSG_SG_EEES6_PlJS6_EEE10hipError_tPvRmT3_T4_T5_T6_T7_T9_mT8_P12ihipStream_tbDpT10_ENKUlT_T0_E_clISt17integral_constantIbLb1EES1B_EEDaS16_S17_EUlS16_E_NS1_11comp_targetILNS1_3genE8ELNS1_11target_archE1030ELNS1_3gpuE2ELNS1_3repE0EEENS1_30default_config_static_selectorELNS0_4arch9wavefront6targetE0EEEvT1_,@function
_ZN7rocprim17ROCPRIM_400000_NS6detail17trampoline_kernelINS0_14default_configENS1_25partition_config_selectorILNS1_17partition_subalgoE5EtNS0_10empty_typeEbEEZZNS1_14partition_implILS5_5ELb0ES3_mN6thrust23THRUST_200600_302600_NS6detail15normal_iteratorINSA_10device_ptrItEEEEPS6_NSA_18transform_iteratorINSB_9not_fun_tINSA_8identityItEEEESF_NSA_11use_defaultESM_EENS0_5tupleIJSF_S6_EEENSO_IJSG_SG_EEES6_PlJS6_EEE10hipError_tPvRmT3_T4_T5_T6_T7_T9_mT8_P12ihipStream_tbDpT10_ENKUlT_T0_E_clISt17integral_constantIbLb1EES1B_EEDaS16_S17_EUlS16_E_NS1_11comp_targetILNS1_3genE8ELNS1_11target_archE1030ELNS1_3gpuE2ELNS1_3repE0EEENS1_30default_config_static_selectorELNS0_4arch9wavefront6targetE0EEEvT1_: ; @_ZN7rocprim17ROCPRIM_400000_NS6detail17trampoline_kernelINS0_14default_configENS1_25partition_config_selectorILNS1_17partition_subalgoE5EtNS0_10empty_typeEbEEZZNS1_14partition_implILS5_5ELb0ES3_mN6thrust23THRUST_200600_302600_NS6detail15normal_iteratorINSA_10device_ptrItEEEEPS6_NSA_18transform_iteratorINSB_9not_fun_tINSA_8identityItEEEESF_NSA_11use_defaultESM_EENS0_5tupleIJSF_S6_EEENSO_IJSG_SG_EEES6_PlJS6_EEE10hipError_tPvRmT3_T4_T5_T6_T7_T9_mT8_P12ihipStream_tbDpT10_ENKUlT_T0_E_clISt17integral_constantIbLb1EES1B_EEDaS16_S17_EUlS16_E_NS1_11comp_targetILNS1_3genE8ELNS1_11target_archE1030ELNS1_3gpuE2ELNS1_3repE0EEENS1_30default_config_static_selectorELNS0_4arch9wavefront6targetE0EEEvT1_
; %bb.0:
	.section	.rodata,"a",@progbits
	.p2align	6, 0x0
	.amdhsa_kernel _ZN7rocprim17ROCPRIM_400000_NS6detail17trampoline_kernelINS0_14default_configENS1_25partition_config_selectorILNS1_17partition_subalgoE5EtNS0_10empty_typeEbEEZZNS1_14partition_implILS5_5ELb0ES3_mN6thrust23THRUST_200600_302600_NS6detail15normal_iteratorINSA_10device_ptrItEEEEPS6_NSA_18transform_iteratorINSB_9not_fun_tINSA_8identityItEEEESF_NSA_11use_defaultESM_EENS0_5tupleIJSF_S6_EEENSO_IJSG_SG_EEES6_PlJS6_EEE10hipError_tPvRmT3_T4_T5_T6_T7_T9_mT8_P12ihipStream_tbDpT10_ENKUlT_T0_E_clISt17integral_constantIbLb1EES1B_EEDaS16_S17_EUlS16_E_NS1_11comp_targetILNS1_3genE8ELNS1_11target_archE1030ELNS1_3gpuE2ELNS1_3repE0EEENS1_30default_config_static_selectorELNS0_4arch9wavefront6targetE0EEEvT1_
		.amdhsa_group_segment_fixed_size 0
		.amdhsa_private_segment_fixed_size 0
		.amdhsa_kernarg_size 136
		.amdhsa_user_sgpr_count 2
		.amdhsa_user_sgpr_dispatch_ptr 0
		.amdhsa_user_sgpr_queue_ptr 0
		.amdhsa_user_sgpr_kernarg_segment_ptr 1
		.amdhsa_user_sgpr_dispatch_id 0
		.amdhsa_user_sgpr_private_segment_size 0
		.amdhsa_wavefront_size32 1
		.amdhsa_uses_dynamic_stack 0
		.amdhsa_enable_private_segment 0
		.amdhsa_system_sgpr_workgroup_id_x 1
		.amdhsa_system_sgpr_workgroup_id_y 0
		.amdhsa_system_sgpr_workgroup_id_z 0
		.amdhsa_system_sgpr_workgroup_info 0
		.amdhsa_system_vgpr_workitem_id 0
		.amdhsa_next_free_vgpr 1
		.amdhsa_next_free_sgpr 1
		.amdhsa_reserve_vcc 0
		.amdhsa_float_round_mode_32 0
		.amdhsa_float_round_mode_16_64 0
		.amdhsa_float_denorm_mode_32 3
		.amdhsa_float_denorm_mode_16_64 3
		.amdhsa_fp16_overflow 0
		.amdhsa_workgroup_processor_mode 1
		.amdhsa_memory_ordered 1
		.amdhsa_forward_progress 1
		.amdhsa_inst_pref_size 0
		.amdhsa_round_robin_scheduling 0
		.amdhsa_exception_fp_ieee_invalid_op 0
		.amdhsa_exception_fp_denorm_src 0
		.amdhsa_exception_fp_ieee_div_zero 0
		.amdhsa_exception_fp_ieee_overflow 0
		.amdhsa_exception_fp_ieee_underflow 0
		.amdhsa_exception_fp_ieee_inexact 0
		.amdhsa_exception_int_div_zero 0
	.end_amdhsa_kernel
	.section	.text._ZN7rocprim17ROCPRIM_400000_NS6detail17trampoline_kernelINS0_14default_configENS1_25partition_config_selectorILNS1_17partition_subalgoE5EtNS0_10empty_typeEbEEZZNS1_14partition_implILS5_5ELb0ES3_mN6thrust23THRUST_200600_302600_NS6detail15normal_iteratorINSA_10device_ptrItEEEEPS6_NSA_18transform_iteratorINSB_9not_fun_tINSA_8identityItEEEESF_NSA_11use_defaultESM_EENS0_5tupleIJSF_S6_EEENSO_IJSG_SG_EEES6_PlJS6_EEE10hipError_tPvRmT3_T4_T5_T6_T7_T9_mT8_P12ihipStream_tbDpT10_ENKUlT_T0_E_clISt17integral_constantIbLb1EES1B_EEDaS16_S17_EUlS16_E_NS1_11comp_targetILNS1_3genE8ELNS1_11target_archE1030ELNS1_3gpuE2ELNS1_3repE0EEENS1_30default_config_static_selectorELNS0_4arch9wavefront6targetE0EEEvT1_,"axG",@progbits,_ZN7rocprim17ROCPRIM_400000_NS6detail17trampoline_kernelINS0_14default_configENS1_25partition_config_selectorILNS1_17partition_subalgoE5EtNS0_10empty_typeEbEEZZNS1_14partition_implILS5_5ELb0ES3_mN6thrust23THRUST_200600_302600_NS6detail15normal_iteratorINSA_10device_ptrItEEEEPS6_NSA_18transform_iteratorINSB_9not_fun_tINSA_8identityItEEEESF_NSA_11use_defaultESM_EENS0_5tupleIJSF_S6_EEENSO_IJSG_SG_EEES6_PlJS6_EEE10hipError_tPvRmT3_T4_T5_T6_T7_T9_mT8_P12ihipStream_tbDpT10_ENKUlT_T0_E_clISt17integral_constantIbLb1EES1B_EEDaS16_S17_EUlS16_E_NS1_11comp_targetILNS1_3genE8ELNS1_11target_archE1030ELNS1_3gpuE2ELNS1_3repE0EEENS1_30default_config_static_selectorELNS0_4arch9wavefront6targetE0EEEvT1_,comdat
.Lfunc_end932:
	.size	_ZN7rocprim17ROCPRIM_400000_NS6detail17trampoline_kernelINS0_14default_configENS1_25partition_config_selectorILNS1_17partition_subalgoE5EtNS0_10empty_typeEbEEZZNS1_14partition_implILS5_5ELb0ES3_mN6thrust23THRUST_200600_302600_NS6detail15normal_iteratorINSA_10device_ptrItEEEEPS6_NSA_18transform_iteratorINSB_9not_fun_tINSA_8identityItEEEESF_NSA_11use_defaultESM_EENS0_5tupleIJSF_S6_EEENSO_IJSG_SG_EEES6_PlJS6_EEE10hipError_tPvRmT3_T4_T5_T6_T7_T9_mT8_P12ihipStream_tbDpT10_ENKUlT_T0_E_clISt17integral_constantIbLb1EES1B_EEDaS16_S17_EUlS16_E_NS1_11comp_targetILNS1_3genE8ELNS1_11target_archE1030ELNS1_3gpuE2ELNS1_3repE0EEENS1_30default_config_static_selectorELNS0_4arch9wavefront6targetE0EEEvT1_, .Lfunc_end932-_ZN7rocprim17ROCPRIM_400000_NS6detail17trampoline_kernelINS0_14default_configENS1_25partition_config_selectorILNS1_17partition_subalgoE5EtNS0_10empty_typeEbEEZZNS1_14partition_implILS5_5ELb0ES3_mN6thrust23THRUST_200600_302600_NS6detail15normal_iteratorINSA_10device_ptrItEEEEPS6_NSA_18transform_iteratorINSB_9not_fun_tINSA_8identityItEEEESF_NSA_11use_defaultESM_EENS0_5tupleIJSF_S6_EEENSO_IJSG_SG_EEES6_PlJS6_EEE10hipError_tPvRmT3_T4_T5_T6_T7_T9_mT8_P12ihipStream_tbDpT10_ENKUlT_T0_E_clISt17integral_constantIbLb1EES1B_EEDaS16_S17_EUlS16_E_NS1_11comp_targetILNS1_3genE8ELNS1_11target_archE1030ELNS1_3gpuE2ELNS1_3repE0EEENS1_30default_config_static_selectorELNS0_4arch9wavefront6targetE0EEEvT1_
                                        ; -- End function
	.set _ZN7rocprim17ROCPRIM_400000_NS6detail17trampoline_kernelINS0_14default_configENS1_25partition_config_selectorILNS1_17partition_subalgoE5EtNS0_10empty_typeEbEEZZNS1_14partition_implILS5_5ELb0ES3_mN6thrust23THRUST_200600_302600_NS6detail15normal_iteratorINSA_10device_ptrItEEEEPS6_NSA_18transform_iteratorINSB_9not_fun_tINSA_8identityItEEEESF_NSA_11use_defaultESM_EENS0_5tupleIJSF_S6_EEENSO_IJSG_SG_EEES6_PlJS6_EEE10hipError_tPvRmT3_T4_T5_T6_T7_T9_mT8_P12ihipStream_tbDpT10_ENKUlT_T0_E_clISt17integral_constantIbLb1EES1B_EEDaS16_S17_EUlS16_E_NS1_11comp_targetILNS1_3genE8ELNS1_11target_archE1030ELNS1_3gpuE2ELNS1_3repE0EEENS1_30default_config_static_selectorELNS0_4arch9wavefront6targetE0EEEvT1_.num_vgpr, 0
	.set _ZN7rocprim17ROCPRIM_400000_NS6detail17trampoline_kernelINS0_14default_configENS1_25partition_config_selectorILNS1_17partition_subalgoE5EtNS0_10empty_typeEbEEZZNS1_14partition_implILS5_5ELb0ES3_mN6thrust23THRUST_200600_302600_NS6detail15normal_iteratorINSA_10device_ptrItEEEEPS6_NSA_18transform_iteratorINSB_9not_fun_tINSA_8identityItEEEESF_NSA_11use_defaultESM_EENS0_5tupleIJSF_S6_EEENSO_IJSG_SG_EEES6_PlJS6_EEE10hipError_tPvRmT3_T4_T5_T6_T7_T9_mT8_P12ihipStream_tbDpT10_ENKUlT_T0_E_clISt17integral_constantIbLb1EES1B_EEDaS16_S17_EUlS16_E_NS1_11comp_targetILNS1_3genE8ELNS1_11target_archE1030ELNS1_3gpuE2ELNS1_3repE0EEENS1_30default_config_static_selectorELNS0_4arch9wavefront6targetE0EEEvT1_.num_agpr, 0
	.set _ZN7rocprim17ROCPRIM_400000_NS6detail17trampoline_kernelINS0_14default_configENS1_25partition_config_selectorILNS1_17partition_subalgoE5EtNS0_10empty_typeEbEEZZNS1_14partition_implILS5_5ELb0ES3_mN6thrust23THRUST_200600_302600_NS6detail15normal_iteratorINSA_10device_ptrItEEEEPS6_NSA_18transform_iteratorINSB_9not_fun_tINSA_8identityItEEEESF_NSA_11use_defaultESM_EENS0_5tupleIJSF_S6_EEENSO_IJSG_SG_EEES6_PlJS6_EEE10hipError_tPvRmT3_T4_T5_T6_T7_T9_mT8_P12ihipStream_tbDpT10_ENKUlT_T0_E_clISt17integral_constantIbLb1EES1B_EEDaS16_S17_EUlS16_E_NS1_11comp_targetILNS1_3genE8ELNS1_11target_archE1030ELNS1_3gpuE2ELNS1_3repE0EEENS1_30default_config_static_selectorELNS0_4arch9wavefront6targetE0EEEvT1_.numbered_sgpr, 0
	.set _ZN7rocprim17ROCPRIM_400000_NS6detail17trampoline_kernelINS0_14default_configENS1_25partition_config_selectorILNS1_17partition_subalgoE5EtNS0_10empty_typeEbEEZZNS1_14partition_implILS5_5ELb0ES3_mN6thrust23THRUST_200600_302600_NS6detail15normal_iteratorINSA_10device_ptrItEEEEPS6_NSA_18transform_iteratorINSB_9not_fun_tINSA_8identityItEEEESF_NSA_11use_defaultESM_EENS0_5tupleIJSF_S6_EEENSO_IJSG_SG_EEES6_PlJS6_EEE10hipError_tPvRmT3_T4_T5_T6_T7_T9_mT8_P12ihipStream_tbDpT10_ENKUlT_T0_E_clISt17integral_constantIbLb1EES1B_EEDaS16_S17_EUlS16_E_NS1_11comp_targetILNS1_3genE8ELNS1_11target_archE1030ELNS1_3gpuE2ELNS1_3repE0EEENS1_30default_config_static_selectorELNS0_4arch9wavefront6targetE0EEEvT1_.num_named_barrier, 0
	.set _ZN7rocprim17ROCPRIM_400000_NS6detail17trampoline_kernelINS0_14default_configENS1_25partition_config_selectorILNS1_17partition_subalgoE5EtNS0_10empty_typeEbEEZZNS1_14partition_implILS5_5ELb0ES3_mN6thrust23THRUST_200600_302600_NS6detail15normal_iteratorINSA_10device_ptrItEEEEPS6_NSA_18transform_iteratorINSB_9not_fun_tINSA_8identityItEEEESF_NSA_11use_defaultESM_EENS0_5tupleIJSF_S6_EEENSO_IJSG_SG_EEES6_PlJS6_EEE10hipError_tPvRmT3_T4_T5_T6_T7_T9_mT8_P12ihipStream_tbDpT10_ENKUlT_T0_E_clISt17integral_constantIbLb1EES1B_EEDaS16_S17_EUlS16_E_NS1_11comp_targetILNS1_3genE8ELNS1_11target_archE1030ELNS1_3gpuE2ELNS1_3repE0EEENS1_30default_config_static_selectorELNS0_4arch9wavefront6targetE0EEEvT1_.private_seg_size, 0
	.set _ZN7rocprim17ROCPRIM_400000_NS6detail17trampoline_kernelINS0_14default_configENS1_25partition_config_selectorILNS1_17partition_subalgoE5EtNS0_10empty_typeEbEEZZNS1_14partition_implILS5_5ELb0ES3_mN6thrust23THRUST_200600_302600_NS6detail15normal_iteratorINSA_10device_ptrItEEEEPS6_NSA_18transform_iteratorINSB_9not_fun_tINSA_8identityItEEEESF_NSA_11use_defaultESM_EENS0_5tupleIJSF_S6_EEENSO_IJSG_SG_EEES6_PlJS6_EEE10hipError_tPvRmT3_T4_T5_T6_T7_T9_mT8_P12ihipStream_tbDpT10_ENKUlT_T0_E_clISt17integral_constantIbLb1EES1B_EEDaS16_S17_EUlS16_E_NS1_11comp_targetILNS1_3genE8ELNS1_11target_archE1030ELNS1_3gpuE2ELNS1_3repE0EEENS1_30default_config_static_selectorELNS0_4arch9wavefront6targetE0EEEvT1_.uses_vcc, 0
	.set _ZN7rocprim17ROCPRIM_400000_NS6detail17trampoline_kernelINS0_14default_configENS1_25partition_config_selectorILNS1_17partition_subalgoE5EtNS0_10empty_typeEbEEZZNS1_14partition_implILS5_5ELb0ES3_mN6thrust23THRUST_200600_302600_NS6detail15normal_iteratorINSA_10device_ptrItEEEEPS6_NSA_18transform_iteratorINSB_9not_fun_tINSA_8identityItEEEESF_NSA_11use_defaultESM_EENS0_5tupleIJSF_S6_EEENSO_IJSG_SG_EEES6_PlJS6_EEE10hipError_tPvRmT3_T4_T5_T6_T7_T9_mT8_P12ihipStream_tbDpT10_ENKUlT_T0_E_clISt17integral_constantIbLb1EES1B_EEDaS16_S17_EUlS16_E_NS1_11comp_targetILNS1_3genE8ELNS1_11target_archE1030ELNS1_3gpuE2ELNS1_3repE0EEENS1_30default_config_static_selectorELNS0_4arch9wavefront6targetE0EEEvT1_.uses_flat_scratch, 0
	.set _ZN7rocprim17ROCPRIM_400000_NS6detail17trampoline_kernelINS0_14default_configENS1_25partition_config_selectorILNS1_17partition_subalgoE5EtNS0_10empty_typeEbEEZZNS1_14partition_implILS5_5ELb0ES3_mN6thrust23THRUST_200600_302600_NS6detail15normal_iteratorINSA_10device_ptrItEEEEPS6_NSA_18transform_iteratorINSB_9not_fun_tINSA_8identityItEEEESF_NSA_11use_defaultESM_EENS0_5tupleIJSF_S6_EEENSO_IJSG_SG_EEES6_PlJS6_EEE10hipError_tPvRmT3_T4_T5_T6_T7_T9_mT8_P12ihipStream_tbDpT10_ENKUlT_T0_E_clISt17integral_constantIbLb1EES1B_EEDaS16_S17_EUlS16_E_NS1_11comp_targetILNS1_3genE8ELNS1_11target_archE1030ELNS1_3gpuE2ELNS1_3repE0EEENS1_30default_config_static_selectorELNS0_4arch9wavefront6targetE0EEEvT1_.has_dyn_sized_stack, 0
	.set _ZN7rocprim17ROCPRIM_400000_NS6detail17trampoline_kernelINS0_14default_configENS1_25partition_config_selectorILNS1_17partition_subalgoE5EtNS0_10empty_typeEbEEZZNS1_14partition_implILS5_5ELb0ES3_mN6thrust23THRUST_200600_302600_NS6detail15normal_iteratorINSA_10device_ptrItEEEEPS6_NSA_18transform_iteratorINSB_9not_fun_tINSA_8identityItEEEESF_NSA_11use_defaultESM_EENS0_5tupleIJSF_S6_EEENSO_IJSG_SG_EEES6_PlJS6_EEE10hipError_tPvRmT3_T4_T5_T6_T7_T9_mT8_P12ihipStream_tbDpT10_ENKUlT_T0_E_clISt17integral_constantIbLb1EES1B_EEDaS16_S17_EUlS16_E_NS1_11comp_targetILNS1_3genE8ELNS1_11target_archE1030ELNS1_3gpuE2ELNS1_3repE0EEENS1_30default_config_static_selectorELNS0_4arch9wavefront6targetE0EEEvT1_.has_recursion, 0
	.set _ZN7rocprim17ROCPRIM_400000_NS6detail17trampoline_kernelINS0_14default_configENS1_25partition_config_selectorILNS1_17partition_subalgoE5EtNS0_10empty_typeEbEEZZNS1_14partition_implILS5_5ELb0ES3_mN6thrust23THRUST_200600_302600_NS6detail15normal_iteratorINSA_10device_ptrItEEEEPS6_NSA_18transform_iteratorINSB_9not_fun_tINSA_8identityItEEEESF_NSA_11use_defaultESM_EENS0_5tupleIJSF_S6_EEENSO_IJSG_SG_EEES6_PlJS6_EEE10hipError_tPvRmT3_T4_T5_T6_T7_T9_mT8_P12ihipStream_tbDpT10_ENKUlT_T0_E_clISt17integral_constantIbLb1EES1B_EEDaS16_S17_EUlS16_E_NS1_11comp_targetILNS1_3genE8ELNS1_11target_archE1030ELNS1_3gpuE2ELNS1_3repE0EEENS1_30default_config_static_selectorELNS0_4arch9wavefront6targetE0EEEvT1_.has_indirect_call, 0
	.section	.AMDGPU.csdata,"",@progbits
; Kernel info:
; codeLenInByte = 0
; TotalNumSgprs: 0
; NumVgprs: 0
; ScratchSize: 0
; MemoryBound: 0
; FloatMode: 240
; IeeeMode: 1
; LDSByteSize: 0 bytes/workgroup (compile time only)
; SGPRBlocks: 0
; VGPRBlocks: 0
; NumSGPRsForWavesPerEU: 1
; NumVGPRsForWavesPerEU: 1
; Occupancy: 16
; WaveLimiterHint : 0
; COMPUTE_PGM_RSRC2:SCRATCH_EN: 0
; COMPUTE_PGM_RSRC2:USER_SGPR: 2
; COMPUTE_PGM_RSRC2:TRAP_HANDLER: 0
; COMPUTE_PGM_RSRC2:TGID_X_EN: 1
; COMPUTE_PGM_RSRC2:TGID_Y_EN: 0
; COMPUTE_PGM_RSRC2:TGID_Z_EN: 0
; COMPUTE_PGM_RSRC2:TIDIG_COMP_CNT: 0
	.section	.text._ZN7rocprim17ROCPRIM_400000_NS6detail17trampoline_kernelINS0_14default_configENS1_25partition_config_selectorILNS1_17partition_subalgoE5EtNS0_10empty_typeEbEEZZNS1_14partition_implILS5_5ELb0ES3_mN6thrust23THRUST_200600_302600_NS6detail15normal_iteratorINSA_10device_ptrItEEEEPS6_NSA_18transform_iteratorINSB_9not_fun_tINSA_8identityItEEEESF_NSA_11use_defaultESM_EENS0_5tupleIJSF_S6_EEENSO_IJSG_SG_EEES6_PlJS6_EEE10hipError_tPvRmT3_T4_T5_T6_T7_T9_mT8_P12ihipStream_tbDpT10_ENKUlT_T0_E_clISt17integral_constantIbLb1EES1A_IbLb0EEEEDaS16_S17_EUlS16_E_NS1_11comp_targetILNS1_3genE0ELNS1_11target_archE4294967295ELNS1_3gpuE0ELNS1_3repE0EEENS1_30default_config_static_selectorELNS0_4arch9wavefront6targetE0EEEvT1_,"axG",@progbits,_ZN7rocprim17ROCPRIM_400000_NS6detail17trampoline_kernelINS0_14default_configENS1_25partition_config_selectorILNS1_17partition_subalgoE5EtNS0_10empty_typeEbEEZZNS1_14partition_implILS5_5ELb0ES3_mN6thrust23THRUST_200600_302600_NS6detail15normal_iteratorINSA_10device_ptrItEEEEPS6_NSA_18transform_iteratorINSB_9not_fun_tINSA_8identityItEEEESF_NSA_11use_defaultESM_EENS0_5tupleIJSF_S6_EEENSO_IJSG_SG_EEES6_PlJS6_EEE10hipError_tPvRmT3_T4_T5_T6_T7_T9_mT8_P12ihipStream_tbDpT10_ENKUlT_T0_E_clISt17integral_constantIbLb1EES1A_IbLb0EEEEDaS16_S17_EUlS16_E_NS1_11comp_targetILNS1_3genE0ELNS1_11target_archE4294967295ELNS1_3gpuE0ELNS1_3repE0EEENS1_30default_config_static_selectorELNS0_4arch9wavefront6targetE0EEEvT1_,comdat
	.protected	_ZN7rocprim17ROCPRIM_400000_NS6detail17trampoline_kernelINS0_14default_configENS1_25partition_config_selectorILNS1_17partition_subalgoE5EtNS0_10empty_typeEbEEZZNS1_14partition_implILS5_5ELb0ES3_mN6thrust23THRUST_200600_302600_NS6detail15normal_iteratorINSA_10device_ptrItEEEEPS6_NSA_18transform_iteratorINSB_9not_fun_tINSA_8identityItEEEESF_NSA_11use_defaultESM_EENS0_5tupleIJSF_S6_EEENSO_IJSG_SG_EEES6_PlJS6_EEE10hipError_tPvRmT3_T4_T5_T6_T7_T9_mT8_P12ihipStream_tbDpT10_ENKUlT_T0_E_clISt17integral_constantIbLb1EES1A_IbLb0EEEEDaS16_S17_EUlS16_E_NS1_11comp_targetILNS1_3genE0ELNS1_11target_archE4294967295ELNS1_3gpuE0ELNS1_3repE0EEENS1_30default_config_static_selectorELNS0_4arch9wavefront6targetE0EEEvT1_ ; -- Begin function _ZN7rocprim17ROCPRIM_400000_NS6detail17trampoline_kernelINS0_14default_configENS1_25partition_config_selectorILNS1_17partition_subalgoE5EtNS0_10empty_typeEbEEZZNS1_14partition_implILS5_5ELb0ES3_mN6thrust23THRUST_200600_302600_NS6detail15normal_iteratorINSA_10device_ptrItEEEEPS6_NSA_18transform_iteratorINSB_9not_fun_tINSA_8identityItEEEESF_NSA_11use_defaultESM_EENS0_5tupleIJSF_S6_EEENSO_IJSG_SG_EEES6_PlJS6_EEE10hipError_tPvRmT3_T4_T5_T6_T7_T9_mT8_P12ihipStream_tbDpT10_ENKUlT_T0_E_clISt17integral_constantIbLb1EES1A_IbLb0EEEEDaS16_S17_EUlS16_E_NS1_11comp_targetILNS1_3genE0ELNS1_11target_archE4294967295ELNS1_3gpuE0ELNS1_3repE0EEENS1_30default_config_static_selectorELNS0_4arch9wavefront6targetE0EEEvT1_
	.globl	_ZN7rocprim17ROCPRIM_400000_NS6detail17trampoline_kernelINS0_14default_configENS1_25partition_config_selectorILNS1_17partition_subalgoE5EtNS0_10empty_typeEbEEZZNS1_14partition_implILS5_5ELb0ES3_mN6thrust23THRUST_200600_302600_NS6detail15normal_iteratorINSA_10device_ptrItEEEEPS6_NSA_18transform_iteratorINSB_9not_fun_tINSA_8identityItEEEESF_NSA_11use_defaultESM_EENS0_5tupleIJSF_S6_EEENSO_IJSG_SG_EEES6_PlJS6_EEE10hipError_tPvRmT3_T4_T5_T6_T7_T9_mT8_P12ihipStream_tbDpT10_ENKUlT_T0_E_clISt17integral_constantIbLb1EES1A_IbLb0EEEEDaS16_S17_EUlS16_E_NS1_11comp_targetILNS1_3genE0ELNS1_11target_archE4294967295ELNS1_3gpuE0ELNS1_3repE0EEENS1_30default_config_static_selectorELNS0_4arch9wavefront6targetE0EEEvT1_
	.p2align	8
	.type	_ZN7rocprim17ROCPRIM_400000_NS6detail17trampoline_kernelINS0_14default_configENS1_25partition_config_selectorILNS1_17partition_subalgoE5EtNS0_10empty_typeEbEEZZNS1_14partition_implILS5_5ELb0ES3_mN6thrust23THRUST_200600_302600_NS6detail15normal_iteratorINSA_10device_ptrItEEEEPS6_NSA_18transform_iteratorINSB_9not_fun_tINSA_8identityItEEEESF_NSA_11use_defaultESM_EENS0_5tupleIJSF_S6_EEENSO_IJSG_SG_EEES6_PlJS6_EEE10hipError_tPvRmT3_T4_T5_T6_T7_T9_mT8_P12ihipStream_tbDpT10_ENKUlT_T0_E_clISt17integral_constantIbLb1EES1A_IbLb0EEEEDaS16_S17_EUlS16_E_NS1_11comp_targetILNS1_3genE0ELNS1_11target_archE4294967295ELNS1_3gpuE0ELNS1_3repE0EEENS1_30default_config_static_selectorELNS0_4arch9wavefront6targetE0EEEvT1_,@function
_ZN7rocprim17ROCPRIM_400000_NS6detail17trampoline_kernelINS0_14default_configENS1_25partition_config_selectorILNS1_17partition_subalgoE5EtNS0_10empty_typeEbEEZZNS1_14partition_implILS5_5ELb0ES3_mN6thrust23THRUST_200600_302600_NS6detail15normal_iteratorINSA_10device_ptrItEEEEPS6_NSA_18transform_iteratorINSB_9not_fun_tINSA_8identityItEEEESF_NSA_11use_defaultESM_EENS0_5tupleIJSF_S6_EEENSO_IJSG_SG_EEES6_PlJS6_EEE10hipError_tPvRmT3_T4_T5_T6_T7_T9_mT8_P12ihipStream_tbDpT10_ENKUlT_T0_E_clISt17integral_constantIbLb1EES1A_IbLb0EEEEDaS16_S17_EUlS16_E_NS1_11comp_targetILNS1_3genE0ELNS1_11target_archE4294967295ELNS1_3gpuE0ELNS1_3repE0EEENS1_30default_config_static_selectorELNS0_4arch9wavefront6targetE0EEEvT1_: ; @_ZN7rocprim17ROCPRIM_400000_NS6detail17trampoline_kernelINS0_14default_configENS1_25partition_config_selectorILNS1_17partition_subalgoE5EtNS0_10empty_typeEbEEZZNS1_14partition_implILS5_5ELb0ES3_mN6thrust23THRUST_200600_302600_NS6detail15normal_iteratorINSA_10device_ptrItEEEEPS6_NSA_18transform_iteratorINSB_9not_fun_tINSA_8identityItEEEESF_NSA_11use_defaultESM_EENS0_5tupleIJSF_S6_EEENSO_IJSG_SG_EEES6_PlJS6_EEE10hipError_tPvRmT3_T4_T5_T6_T7_T9_mT8_P12ihipStream_tbDpT10_ENKUlT_T0_E_clISt17integral_constantIbLb1EES1A_IbLb0EEEEDaS16_S17_EUlS16_E_NS1_11comp_targetILNS1_3genE0ELNS1_11target_archE4294967295ELNS1_3gpuE0ELNS1_3repE0EEENS1_30default_config_static_selectorELNS0_4arch9wavefront6targetE0EEEvT1_
; %bb.0:
	.section	.rodata,"a",@progbits
	.p2align	6, 0x0
	.amdhsa_kernel _ZN7rocprim17ROCPRIM_400000_NS6detail17trampoline_kernelINS0_14default_configENS1_25partition_config_selectorILNS1_17partition_subalgoE5EtNS0_10empty_typeEbEEZZNS1_14partition_implILS5_5ELb0ES3_mN6thrust23THRUST_200600_302600_NS6detail15normal_iteratorINSA_10device_ptrItEEEEPS6_NSA_18transform_iteratorINSB_9not_fun_tINSA_8identityItEEEESF_NSA_11use_defaultESM_EENS0_5tupleIJSF_S6_EEENSO_IJSG_SG_EEES6_PlJS6_EEE10hipError_tPvRmT3_T4_T5_T6_T7_T9_mT8_P12ihipStream_tbDpT10_ENKUlT_T0_E_clISt17integral_constantIbLb1EES1A_IbLb0EEEEDaS16_S17_EUlS16_E_NS1_11comp_targetILNS1_3genE0ELNS1_11target_archE4294967295ELNS1_3gpuE0ELNS1_3repE0EEENS1_30default_config_static_selectorELNS0_4arch9wavefront6targetE0EEEvT1_
		.amdhsa_group_segment_fixed_size 0
		.amdhsa_private_segment_fixed_size 0
		.amdhsa_kernarg_size 120
		.amdhsa_user_sgpr_count 2
		.amdhsa_user_sgpr_dispatch_ptr 0
		.amdhsa_user_sgpr_queue_ptr 0
		.amdhsa_user_sgpr_kernarg_segment_ptr 1
		.amdhsa_user_sgpr_dispatch_id 0
		.amdhsa_user_sgpr_private_segment_size 0
		.amdhsa_wavefront_size32 1
		.amdhsa_uses_dynamic_stack 0
		.amdhsa_enable_private_segment 0
		.amdhsa_system_sgpr_workgroup_id_x 1
		.amdhsa_system_sgpr_workgroup_id_y 0
		.amdhsa_system_sgpr_workgroup_id_z 0
		.amdhsa_system_sgpr_workgroup_info 0
		.amdhsa_system_vgpr_workitem_id 0
		.amdhsa_next_free_vgpr 1
		.amdhsa_next_free_sgpr 1
		.amdhsa_reserve_vcc 0
		.amdhsa_float_round_mode_32 0
		.amdhsa_float_round_mode_16_64 0
		.amdhsa_float_denorm_mode_32 3
		.amdhsa_float_denorm_mode_16_64 3
		.amdhsa_fp16_overflow 0
		.amdhsa_workgroup_processor_mode 1
		.amdhsa_memory_ordered 1
		.amdhsa_forward_progress 1
		.amdhsa_inst_pref_size 0
		.amdhsa_round_robin_scheduling 0
		.amdhsa_exception_fp_ieee_invalid_op 0
		.amdhsa_exception_fp_denorm_src 0
		.amdhsa_exception_fp_ieee_div_zero 0
		.amdhsa_exception_fp_ieee_overflow 0
		.amdhsa_exception_fp_ieee_underflow 0
		.amdhsa_exception_fp_ieee_inexact 0
		.amdhsa_exception_int_div_zero 0
	.end_amdhsa_kernel
	.section	.text._ZN7rocprim17ROCPRIM_400000_NS6detail17trampoline_kernelINS0_14default_configENS1_25partition_config_selectorILNS1_17partition_subalgoE5EtNS0_10empty_typeEbEEZZNS1_14partition_implILS5_5ELb0ES3_mN6thrust23THRUST_200600_302600_NS6detail15normal_iteratorINSA_10device_ptrItEEEEPS6_NSA_18transform_iteratorINSB_9not_fun_tINSA_8identityItEEEESF_NSA_11use_defaultESM_EENS0_5tupleIJSF_S6_EEENSO_IJSG_SG_EEES6_PlJS6_EEE10hipError_tPvRmT3_T4_T5_T6_T7_T9_mT8_P12ihipStream_tbDpT10_ENKUlT_T0_E_clISt17integral_constantIbLb1EES1A_IbLb0EEEEDaS16_S17_EUlS16_E_NS1_11comp_targetILNS1_3genE0ELNS1_11target_archE4294967295ELNS1_3gpuE0ELNS1_3repE0EEENS1_30default_config_static_selectorELNS0_4arch9wavefront6targetE0EEEvT1_,"axG",@progbits,_ZN7rocprim17ROCPRIM_400000_NS6detail17trampoline_kernelINS0_14default_configENS1_25partition_config_selectorILNS1_17partition_subalgoE5EtNS0_10empty_typeEbEEZZNS1_14partition_implILS5_5ELb0ES3_mN6thrust23THRUST_200600_302600_NS6detail15normal_iteratorINSA_10device_ptrItEEEEPS6_NSA_18transform_iteratorINSB_9not_fun_tINSA_8identityItEEEESF_NSA_11use_defaultESM_EENS0_5tupleIJSF_S6_EEENSO_IJSG_SG_EEES6_PlJS6_EEE10hipError_tPvRmT3_T4_T5_T6_T7_T9_mT8_P12ihipStream_tbDpT10_ENKUlT_T0_E_clISt17integral_constantIbLb1EES1A_IbLb0EEEEDaS16_S17_EUlS16_E_NS1_11comp_targetILNS1_3genE0ELNS1_11target_archE4294967295ELNS1_3gpuE0ELNS1_3repE0EEENS1_30default_config_static_selectorELNS0_4arch9wavefront6targetE0EEEvT1_,comdat
.Lfunc_end933:
	.size	_ZN7rocprim17ROCPRIM_400000_NS6detail17trampoline_kernelINS0_14default_configENS1_25partition_config_selectorILNS1_17partition_subalgoE5EtNS0_10empty_typeEbEEZZNS1_14partition_implILS5_5ELb0ES3_mN6thrust23THRUST_200600_302600_NS6detail15normal_iteratorINSA_10device_ptrItEEEEPS6_NSA_18transform_iteratorINSB_9not_fun_tINSA_8identityItEEEESF_NSA_11use_defaultESM_EENS0_5tupleIJSF_S6_EEENSO_IJSG_SG_EEES6_PlJS6_EEE10hipError_tPvRmT3_T4_T5_T6_T7_T9_mT8_P12ihipStream_tbDpT10_ENKUlT_T0_E_clISt17integral_constantIbLb1EES1A_IbLb0EEEEDaS16_S17_EUlS16_E_NS1_11comp_targetILNS1_3genE0ELNS1_11target_archE4294967295ELNS1_3gpuE0ELNS1_3repE0EEENS1_30default_config_static_selectorELNS0_4arch9wavefront6targetE0EEEvT1_, .Lfunc_end933-_ZN7rocprim17ROCPRIM_400000_NS6detail17trampoline_kernelINS0_14default_configENS1_25partition_config_selectorILNS1_17partition_subalgoE5EtNS0_10empty_typeEbEEZZNS1_14partition_implILS5_5ELb0ES3_mN6thrust23THRUST_200600_302600_NS6detail15normal_iteratorINSA_10device_ptrItEEEEPS6_NSA_18transform_iteratorINSB_9not_fun_tINSA_8identityItEEEESF_NSA_11use_defaultESM_EENS0_5tupleIJSF_S6_EEENSO_IJSG_SG_EEES6_PlJS6_EEE10hipError_tPvRmT3_T4_T5_T6_T7_T9_mT8_P12ihipStream_tbDpT10_ENKUlT_T0_E_clISt17integral_constantIbLb1EES1A_IbLb0EEEEDaS16_S17_EUlS16_E_NS1_11comp_targetILNS1_3genE0ELNS1_11target_archE4294967295ELNS1_3gpuE0ELNS1_3repE0EEENS1_30default_config_static_selectorELNS0_4arch9wavefront6targetE0EEEvT1_
                                        ; -- End function
	.set _ZN7rocprim17ROCPRIM_400000_NS6detail17trampoline_kernelINS0_14default_configENS1_25partition_config_selectorILNS1_17partition_subalgoE5EtNS0_10empty_typeEbEEZZNS1_14partition_implILS5_5ELb0ES3_mN6thrust23THRUST_200600_302600_NS6detail15normal_iteratorINSA_10device_ptrItEEEEPS6_NSA_18transform_iteratorINSB_9not_fun_tINSA_8identityItEEEESF_NSA_11use_defaultESM_EENS0_5tupleIJSF_S6_EEENSO_IJSG_SG_EEES6_PlJS6_EEE10hipError_tPvRmT3_T4_T5_T6_T7_T9_mT8_P12ihipStream_tbDpT10_ENKUlT_T0_E_clISt17integral_constantIbLb1EES1A_IbLb0EEEEDaS16_S17_EUlS16_E_NS1_11comp_targetILNS1_3genE0ELNS1_11target_archE4294967295ELNS1_3gpuE0ELNS1_3repE0EEENS1_30default_config_static_selectorELNS0_4arch9wavefront6targetE0EEEvT1_.num_vgpr, 0
	.set _ZN7rocprim17ROCPRIM_400000_NS6detail17trampoline_kernelINS0_14default_configENS1_25partition_config_selectorILNS1_17partition_subalgoE5EtNS0_10empty_typeEbEEZZNS1_14partition_implILS5_5ELb0ES3_mN6thrust23THRUST_200600_302600_NS6detail15normal_iteratorINSA_10device_ptrItEEEEPS6_NSA_18transform_iteratorINSB_9not_fun_tINSA_8identityItEEEESF_NSA_11use_defaultESM_EENS0_5tupleIJSF_S6_EEENSO_IJSG_SG_EEES6_PlJS6_EEE10hipError_tPvRmT3_T4_T5_T6_T7_T9_mT8_P12ihipStream_tbDpT10_ENKUlT_T0_E_clISt17integral_constantIbLb1EES1A_IbLb0EEEEDaS16_S17_EUlS16_E_NS1_11comp_targetILNS1_3genE0ELNS1_11target_archE4294967295ELNS1_3gpuE0ELNS1_3repE0EEENS1_30default_config_static_selectorELNS0_4arch9wavefront6targetE0EEEvT1_.num_agpr, 0
	.set _ZN7rocprim17ROCPRIM_400000_NS6detail17trampoline_kernelINS0_14default_configENS1_25partition_config_selectorILNS1_17partition_subalgoE5EtNS0_10empty_typeEbEEZZNS1_14partition_implILS5_5ELb0ES3_mN6thrust23THRUST_200600_302600_NS6detail15normal_iteratorINSA_10device_ptrItEEEEPS6_NSA_18transform_iteratorINSB_9not_fun_tINSA_8identityItEEEESF_NSA_11use_defaultESM_EENS0_5tupleIJSF_S6_EEENSO_IJSG_SG_EEES6_PlJS6_EEE10hipError_tPvRmT3_T4_T5_T6_T7_T9_mT8_P12ihipStream_tbDpT10_ENKUlT_T0_E_clISt17integral_constantIbLb1EES1A_IbLb0EEEEDaS16_S17_EUlS16_E_NS1_11comp_targetILNS1_3genE0ELNS1_11target_archE4294967295ELNS1_3gpuE0ELNS1_3repE0EEENS1_30default_config_static_selectorELNS0_4arch9wavefront6targetE0EEEvT1_.numbered_sgpr, 0
	.set _ZN7rocprim17ROCPRIM_400000_NS6detail17trampoline_kernelINS0_14default_configENS1_25partition_config_selectorILNS1_17partition_subalgoE5EtNS0_10empty_typeEbEEZZNS1_14partition_implILS5_5ELb0ES3_mN6thrust23THRUST_200600_302600_NS6detail15normal_iteratorINSA_10device_ptrItEEEEPS6_NSA_18transform_iteratorINSB_9not_fun_tINSA_8identityItEEEESF_NSA_11use_defaultESM_EENS0_5tupleIJSF_S6_EEENSO_IJSG_SG_EEES6_PlJS6_EEE10hipError_tPvRmT3_T4_T5_T6_T7_T9_mT8_P12ihipStream_tbDpT10_ENKUlT_T0_E_clISt17integral_constantIbLb1EES1A_IbLb0EEEEDaS16_S17_EUlS16_E_NS1_11comp_targetILNS1_3genE0ELNS1_11target_archE4294967295ELNS1_3gpuE0ELNS1_3repE0EEENS1_30default_config_static_selectorELNS0_4arch9wavefront6targetE0EEEvT1_.num_named_barrier, 0
	.set _ZN7rocprim17ROCPRIM_400000_NS6detail17trampoline_kernelINS0_14default_configENS1_25partition_config_selectorILNS1_17partition_subalgoE5EtNS0_10empty_typeEbEEZZNS1_14partition_implILS5_5ELb0ES3_mN6thrust23THRUST_200600_302600_NS6detail15normal_iteratorINSA_10device_ptrItEEEEPS6_NSA_18transform_iteratorINSB_9not_fun_tINSA_8identityItEEEESF_NSA_11use_defaultESM_EENS0_5tupleIJSF_S6_EEENSO_IJSG_SG_EEES6_PlJS6_EEE10hipError_tPvRmT3_T4_T5_T6_T7_T9_mT8_P12ihipStream_tbDpT10_ENKUlT_T0_E_clISt17integral_constantIbLb1EES1A_IbLb0EEEEDaS16_S17_EUlS16_E_NS1_11comp_targetILNS1_3genE0ELNS1_11target_archE4294967295ELNS1_3gpuE0ELNS1_3repE0EEENS1_30default_config_static_selectorELNS0_4arch9wavefront6targetE0EEEvT1_.private_seg_size, 0
	.set _ZN7rocprim17ROCPRIM_400000_NS6detail17trampoline_kernelINS0_14default_configENS1_25partition_config_selectorILNS1_17partition_subalgoE5EtNS0_10empty_typeEbEEZZNS1_14partition_implILS5_5ELb0ES3_mN6thrust23THRUST_200600_302600_NS6detail15normal_iteratorINSA_10device_ptrItEEEEPS6_NSA_18transform_iteratorINSB_9not_fun_tINSA_8identityItEEEESF_NSA_11use_defaultESM_EENS0_5tupleIJSF_S6_EEENSO_IJSG_SG_EEES6_PlJS6_EEE10hipError_tPvRmT3_T4_T5_T6_T7_T9_mT8_P12ihipStream_tbDpT10_ENKUlT_T0_E_clISt17integral_constantIbLb1EES1A_IbLb0EEEEDaS16_S17_EUlS16_E_NS1_11comp_targetILNS1_3genE0ELNS1_11target_archE4294967295ELNS1_3gpuE0ELNS1_3repE0EEENS1_30default_config_static_selectorELNS0_4arch9wavefront6targetE0EEEvT1_.uses_vcc, 0
	.set _ZN7rocprim17ROCPRIM_400000_NS6detail17trampoline_kernelINS0_14default_configENS1_25partition_config_selectorILNS1_17partition_subalgoE5EtNS0_10empty_typeEbEEZZNS1_14partition_implILS5_5ELb0ES3_mN6thrust23THRUST_200600_302600_NS6detail15normal_iteratorINSA_10device_ptrItEEEEPS6_NSA_18transform_iteratorINSB_9not_fun_tINSA_8identityItEEEESF_NSA_11use_defaultESM_EENS0_5tupleIJSF_S6_EEENSO_IJSG_SG_EEES6_PlJS6_EEE10hipError_tPvRmT3_T4_T5_T6_T7_T9_mT8_P12ihipStream_tbDpT10_ENKUlT_T0_E_clISt17integral_constantIbLb1EES1A_IbLb0EEEEDaS16_S17_EUlS16_E_NS1_11comp_targetILNS1_3genE0ELNS1_11target_archE4294967295ELNS1_3gpuE0ELNS1_3repE0EEENS1_30default_config_static_selectorELNS0_4arch9wavefront6targetE0EEEvT1_.uses_flat_scratch, 0
	.set _ZN7rocprim17ROCPRIM_400000_NS6detail17trampoline_kernelINS0_14default_configENS1_25partition_config_selectorILNS1_17partition_subalgoE5EtNS0_10empty_typeEbEEZZNS1_14partition_implILS5_5ELb0ES3_mN6thrust23THRUST_200600_302600_NS6detail15normal_iteratorINSA_10device_ptrItEEEEPS6_NSA_18transform_iteratorINSB_9not_fun_tINSA_8identityItEEEESF_NSA_11use_defaultESM_EENS0_5tupleIJSF_S6_EEENSO_IJSG_SG_EEES6_PlJS6_EEE10hipError_tPvRmT3_T4_T5_T6_T7_T9_mT8_P12ihipStream_tbDpT10_ENKUlT_T0_E_clISt17integral_constantIbLb1EES1A_IbLb0EEEEDaS16_S17_EUlS16_E_NS1_11comp_targetILNS1_3genE0ELNS1_11target_archE4294967295ELNS1_3gpuE0ELNS1_3repE0EEENS1_30default_config_static_selectorELNS0_4arch9wavefront6targetE0EEEvT1_.has_dyn_sized_stack, 0
	.set _ZN7rocprim17ROCPRIM_400000_NS6detail17trampoline_kernelINS0_14default_configENS1_25partition_config_selectorILNS1_17partition_subalgoE5EtNS0_10empty_typeEbEEZZNS1_14partition_implILS5_5ELb0ES3_mN6thrust23THRUST_200600_302600_NS6detail15normal_iteratorINSA_10device_ptrItEEEEPS6_NSA_18transform_iteratorINSB_9not_fun_tINSA_8identityItEEEESF_NSA_11use_defaultESM_EENS0_5tupleIJSF_S6_EEENSO_IJSG_SG_EEES6_PlJS6_EEE10hipError_tPvRmT3_T4_T5_T6_T7_T9_mT8_P12ihipStream_tbDpT10_ENKUlT_T0_E_clISt17integral_constantIbLb1EES1A_IbLb0EEEEDaS16_S17_EUlS16_E_NS1_11comp_targetILNS1_3genE0ELNS1_11target_archE4294967295ELNS1_3gpuE0ELNS1_3repE0EEENS1_30default_config_static_selectorELNS0_4arch9wavefront6targetE0EEEvT1_.has_recursion, 0
	.set _ZN7rocprim17ROCPRIM_400000_NS6detail17trampoline_kernelINS0_14default_configENS1_25partition_config_selectorILNS1_17partition_subalgoE5EtNS0_10empty_typeEbEEZZNS1_14partition_implILS5_5ELb0ES3_mN6thrust23THRUST_200600_302600_NS6detail15normal_iteratorINSA_10device_ptrItEEEEPS6_NSA_18transform_iteratorINSB_9not_fun_tINSA_8identityItEEEESF_NSA_11use_defaultESM_EENS0_5tupleIJSF_S6_EEENSO_IJSG_SG_EEES6_PlJS6_EEE10hipError_tPvRmT3_T4_T5_T6_T7_T9_mT8_P12ihipStream_tbDpT10_ENKUlT_T0_E_clISt17integral_constantIbLb1EES1A_IbLb0EEEEDaS16_S17_EUlS16_E_NS1_11comp_targetILNS1_3genE0ELNS1_11target_archE4294967295ELNS1_3gpuE0ELNS1_3repE0EEENS1_30default_config_static_selectorELNS0_4arch9wavefront6targetE0EEEvT1_.has_indirect_call, 0
	.section	.AMDGPU.csdata,"",@progbits
; Kernel info:
; codeLenInByte = 0
; TotalNumSgprs: 0
; NumVgprs: 0
; ScratchSize: 0
; MemoryBound: 0
; FloatMode: 240
; IeeeMode: 1
; LDSByteSize: 0 bytes/workgroup (compile time only)
; SGPRBlocks: 0
; VGPRBlocks: 0
; NumSGPRsForWavesPerEU: 1
; NumVGPRsForWavesPerEU: 1
; Occupancy: 16
; WaveLimiterHint : 0
; COMPUTE_PGM_RSRC2:SCRATCH_EN: 0
; COMPUTE_PGM_RSRC2:USER_SGPR: 2
; COMPUTE_PGM_RSRC2:TRAP_HANDLER: 0
; COMPUTE_PGM_RSRC2:TGID_X_EN: 1
; COMPUTE_PGM_RSRC2:TGID_Y_EN: 0
; COMPUTE_PGM_RSRC2:TGID_Z_EN: 0
; COMPUTE_PGM_RSRC2:TIDIG_COMP_CNT: 0
	.section	.text._ZN7rocprim17ROCPRIM_400000_NS6detail17trampoline_kernelINS0_14default_configENS1_25partition_config_selectorILNS1_17partition_subalgoE5EtNS0_10empty_typeEbEEZZNS1_14partition_implILS5_5ELb0ES3_mN6thrust23THRUST_200600_302600_NS6detail15normal_iteratorINSA_10device_ptrItEEEEPS6_NSA_18transform_iteratorINSB_9not_fun_tINSA_8identityItEEEESF_NSA_11use_defaultESM_EENS0_5tupleIJSF_S6_EEENSO_IJSG_SG_EEES6_PlJS6_EEE10hipError_tPvRmT3_T4_T5_T6_T7_T9_mT8_P12ihipStream_tbDpT10_ENKUlT_T0_E_clISt17integral_constantIbLb1EES1A_IbLb0EEEEDaS16_S17_EUlS16_E_NS1_11comp_targetILNS1_3genE5ELNS1_11target_archE942ELNS1_3gpuE9ELNS1_3repE0EEENS1_30default_config_static_selectorELNS0_4arch9wavefront6targetE0EEEvT1_,"axG",@progbits,_ZN7rocprim17ROCPRIM_400000_NS6detail17trampoline_kernelINS0_14default_configENS1_25partition_config_selectorILNS1_17partition_subalgoE5EtNS0_10empty_typeEbEEZZNS1_14partition_implILS5_5ELb0ES3_mN6thrust23THRUST_200600_302600_NS6detail15normal_iteratorINSA_10device_ptrItEEEEPS6_NSA_18transform_iteratorINSB_9not_fun_tINSA_8identityItEEEESF_NSA_11use_defaultESM_EENS0_5tupleIJSF_S6_EEENSO_IJSG_SG_EEES6_PlJS6_EEE10hipError_tPvRmT3_T4_T5_T6_T7_T9_mT8_P12ihipStream_tbDpT10_ENKUlT_T0_E_clISt17integral_constantIbLb1EES1A_IbLb0EEEEDaS16_S17_EUlS16_E_NS1_11comp_targetILNS1_3genE5ELNS1_11target_archE942ELNS1_3gpuE9ELNS1_3repE0EEENS1_30default_config_static_selectorELNS0_4arch9wavefront6targetE0EEEvT1_,comdat
	.protected	_ZN7rocprim17ROCPRIM_400000_NS6detail17trampoline_kernelINS0_14default_configENS1_25partition_config_selectorILNS1_17partition_subalgoE5EtNS0_10empty_typeEbEEZZNS1_14partition_implILS5_5ELb0ES3_mN6thrust23THRUST_200600_302600_NS6detail15normal_iteratorINSA_10device_ptrItEEEEPS6_NSA_18transform_iteratorINSB_9not_fun_tINSA_8identityItEEEESF_NSA_11use_defaultESM_EENS0_5tupleIJSF_S6_EEENSO_IJSG_SG_EEES6_PlJS6_EEE10hipError_tPvRmT3_T4_T5_T6_T7_T9_mT8_P12ihipStream_tbDpT10_ENKUlT_T0_E_clISt17integral_constantIbLb1EES1A_IbLb0EEEEDaS16_S17_EUlS16_E_NS1_11comp_targetILNS1_3genE5ELNS1_11target_archE942ELNS1_3gpuE9ELNS1_3repE0EEENS1_30default_config_static_selectorELNS0_4arch9wavefront6targetE0EEEvT1_ ; -- Begin function _ZN7rocprim17ROCPRIM_400000_NS6detail17trampoline_kernelINS0_14default_configENS1_25partition_config_selectorILNS1_17partition_subalgoE5EtNS0_10empty_typeEbEEZZNS1_14partition_implILS5_5ELb0ES3_mN6thrust23THRUST_200600_302600_NS6detail15normal_iteratorINSA_10device_ptrItEEEEPS6_NSA_18transform_iteratorINSB_9not_fun_tINSA_8identityItEEEESF_NSA_11use_defaultESM_EENS0_5tupleIJSF_S6_EEENSO_IJSG_SG_EEES6_PlJS6_EEE10hipError_tPvRmT3_T4_T5_T6_T7_T9_mT8_P12ihipStream_tbDpT10_ENKUlT_T0_E_clISt17integral_constantIbLb1EES1A_IbLb0EEEEDaS16_S17_EUlS16_E_NS1_11comp_targetILNS1_3genE5ELNS1_11target_archE942ELNS1_3gpuE9ELNS1_3repE0EEENS1_30default_config_static_selectorELNS0_4arch9wavefront6targetE0EEEvT1_
	.globl	_ZN7rocprim17ROCPRIM_400000_NS6detail17trampoline_kernelINS0_14default_configENS1_25partition_config_selectorILNS1_17partition_subalgoE5EtNS0_10empty_typeEbEEZZNS1_14partition_implILS5_5ELb0ES3_mN6thrust23THRUST_200600_302600_NS6detail15normal_iteratorINSA_10device_ptrItEEEEPS6_NSA_18transform_iteratorINSB_9not_fun_tINSA_8identityItEEEESF_NSA_11use_defaultESM_EENS0_5tupleIJSF_S6_EEENSO_IJSG_SG_EEES6_PlJS6_EEE10hipError_tPvRmT3_T4_T5_T6_T7_T9_mT8_P12ihipStream_tbDpT10_ENKUlT_T0_E_clISt17integral_constantIbLb1EES1A_IbLb0EEEEDaS16_S17_EUlS16_E_NS1_11comp_targetILNS1_3genE5ELNS1_11target_archE942ELNS1_3gpuE9ELNS1_3repE0EEENS1_30default_config_static_selectorELNS0_4arch9wavefront6targetE0EEEvT1_
	.p2align	8
	.type	_ZN7rocprim17ROCPRIM_400000_NS6detail17trampoline_kernelINS0_14default_configENS1_25partition_config_selectorILNS1_17partition_subalgoE5EtNS0_10empty_typeEbEEZZNS1_14partition_implILS5_5ELb0ES3_mN6thrust23THRUST_200600_302600_NS6detail15normal_iteratorINSA_10device_ptrItEEEEPS6_NSA_18transform_iteratorINSB_9not_fun_tINSA_8identityItEEEESF_NSA_11use_defaultESM_EENS0_5tupleIJSF_S6_EEENSO_IJSG_SG_EEES6_PlJS6_EEE10hipError_tPvRmT3_T4_T5_T6_T7_T9_mT8_P12ihipStream_tbDpT10_ENKUlT_T0_E_clISt17integral_constantIbLb1EES1A_IbLb0EEEEDaS16_S17_EUlS16_E_NS1_11comp_targetILNS1_3genE5ELNS1_11target_archE942ELNS1_3gpuE9ELNS1_3repE0EEENS1_30default_config_static_selectorELNS0_4arch9wavefront6targetE0EEEvT1_,@function
_ZN7rocprim17ROCPRIM_400000_NS6detail17trampoline_kernelINS0_14default_configENS1_25partition_config_selectorILNS1_17partition_subalgoE5EtNS0_10empty_typeEbEEZZNS1_14partition_implILS5_5ELb0ES3_mN6thrust23THRUST_200600_302600_NS6detail15normal_iteratorINSA_10device_ptrItEEEEPS6_NSA_18transform_iteratorINSB_9not_fun_tINSA_8identityItEEEESF_NSA_11use_defaultESM_EENS0_5tupleIJSF_S6_EEENSO_IJSG_SG_EEES6_PlJS6_EEE10hipError_tPvRmT3_T4_T5_T6_T7_T9_mT8_P12ihipStream_tbDpT10_ENKUlT_T0_E_clISt17integral_constantIbLb1EES1A_IbLb0EEEEDaS16_S17_EUlS16_E_NS1_11comp_targetILNS1_3genE5ELNS1_11target_archE942ELNS1_3gpuE9ELNS1_3repE0EEENS1_30default_config_static_selectorELNS0_4arch9wavefront6targetE0EEEvT1_: ; @_ZN7rocprim17ROCPRIM_400000_NS6detail17trampoline_kernelINS0_14default_configENS1_25partition_config_selectorILNS1_17partition_subalgoE5EtNS0_10empty_typeEbEEZZNS1_14partition_implILS5_5ELb0ES3_mN6thrust23THRUST_200600_302600_NS6detail15normal_iteratorINSA_10device_ptrItEEEEPS6_NSA_18transform_iteratorINSB_9not_fun_tINSA_8identityItEEEESF_NSA_11use_defaultESM_EENS0_5tupleIJSF_S6_EEENSO_IJSG_SG_EEES6_PlJS6_EEE10hipError_tPvRmT3_T4_T5_T6_T7_T9_mT8_P12ihipStream_tbDpT10_ENKUlT_T0_E_clISt17integral_constantIbLb1EES1A_IbLb0EEEEDaS16_S17_EUlS16_E_NS1_11comp_targetILNS1_3genE5ELNS1_11target_archE942ELNS1_3gpuE9ELNS1_3repE0EEENS1_30default_config_static_selectorELNS0_4arch9wavefront6targetE0EEEvT1_
; %bb.0:
	.section	.rodata,"a",@progbits
	.p2align	6, 0x0
	.amdhsa_kernel _ZN7rocprim17ROCPRIM_400000_NS6detail17trampoline_kernelINS0_14default_configENS1_25partition_config_selectorILNS1_17partition_subalgoE5EtNS0_10empty_typeEbEEZZNS1_14partition_implILS5_5ELb0ES3_mN6thrust23THRUST_200600_302600_NS6detail15normal_iteratorINSA_10device_ptrItEEEEPS6_NSA_18transform_iteratorINSB_9not_fun_tINSA_8identityItEEEESF_NSA_11use_defaultESM_EENS0_5tupleIJSF_S6_EEENSO_IJSG_SG_EEES6_PlJS6_EEE10hipError_tPvRmT3_T4_T5_T6_T7_T9_mT8_P12ihipStream_tbDpT10_ENKUlT_T0_E_clISt17integral_constantIbLb1EES1A_IbLb0EEEEDaS16_S17_EUlS16_E_NS1_11comp_targetILNS1_3genE5ELNS1_11target_archE942ELNS1_3gpuE9ELNS1_3repE0EEENS1_30default_config_static_selectorELNS0_4arch9wavefront6targetE0EEEvT1_
		.amdhsa_group_segment_fixed_size 0
		.amdhsa_private_segment_fixed_size 0
		.amdhsa_kernarg_size 120
		.amdhsa_user_sgpr_count 2
		.amdhsa_user_sgpr_dispatch_ptr 0
		.amdhsa_user_sgpr_queue_ptr 0
		.amdhsa_user_sgpr_kernarg_segment_ptr 1
		.amdhsa_user_sgpr_dispatch_id 0
		.amdhsa_user_sgpr_private_segment_size 0
		.amdhsa_wavefront_size32 1
		.amdhsa_uses_dynamic_stack 0
		.amdhsa_enable_private_segment 0
		.amdhsa_system_sgpr_workgroup_id_x 1
		.amdhsa_system_sgpr_workgroup_id_y 0
		.amdhsa_system_sgpr_workgroup_id_z 0
		.amdhsa_system_sgpr_workgroup_info 0
		.amdhsa_system_vgpr_workitem_id 0
		.amdhsa_next_free_vgpr 1
		.amdhsa_next_free_sgpr 1
		.amdhsa_reserve_vcc 0
		.amdhsa_float_round_mode_32 0
		.amdhsa_float_round_mode_16_64 0
		.amdhsa_float_denorm_mode_32 3
		.amdhsa_float_denorm_mode_16_64 3
		.amdhsa_fp16_overflow 0
		.amdhsa_workgroup_processor_mode 1
		.amdhsa_memory_ordered 1
		.amdhsa_forward_progress 1
		.amdhsa_inst_pref_size 0
		.amdhsa_round_robin_scheduling 0
		.amdhsa_exception_fp_ieee_invalid_op 0
		.amdhsa_exception_fp_denorm_src 0
		.amdhsa_exception_fp_ieee_div_zero 0
		.amdhsa_exception_fp_ieee_overflow 0
		.amdhsa_exception_fp_ieee_underflow 0
		.amdhsa_exception_fp_ieee_inexact 0
		.amdhsa_exception_int_div_zero 0
	.end_amdhsa_kernel
	.section	.text._ZN7rocprim17ROCPRIM_400000_NS6detail17trampoline_kernelINS0_14default_configENS1_25partition_config_selectorILNS1_17partition_subalgoE5EtNS0_10empty_typeEbEEZZNS1_14partition_implILS5_5ELb0ES3_mN6thrust23THRUST_200600_302600_NS6detail15normal_iteratorINSA_10device_ptrItEEEEPS6_NSA_18transform_iteratorINSB_9not_fun_tINSA_8identityItEEEESF_NSA_11use_defaultESM_EENS0_5tupleIJSF_S6_EEENSO_IJSG_SG_EEES6_PlJS6_EEE10hipError_tPvRmT3_T4_T5_T6_T7_T9_mT8_P12ihipStream_tbDpT10_ENKUlT_T0_E_clISt17integral_constantIbLb1EES1A_IbLb0EEEEDaS16_S17_EUlS16_E_NS1_11comp_targetILNS1_3genE5ELNS1_11target_archE942ELNS1_3gpuE9ELNS1_3repE0EEENS1_30default_config_static_selectorELNS0_4arch9wavefront6targetE0EEEvT1_,"axG",@progbits,_ZN7rocprim17ROCPRIM_400000_NS6detail17trampoline_kernelINS0_14default_configENS1_25partition_config_selectorILNS1_17partition_subalgoE5EtNS0_10empty_typeEbEEZZNS1_14partition_implILS5_5ELb0ES3_mN6thrust23THRUST_200600_302600_NS6detail15normal_iteratorINSA_10device_ptrItEEEEPS6_NSA_18transform_iteratorINSB_9not_fun_tINSA_8identityItEEEESF_NSA_11use_defaultESM_EENS0_5tupleIJSF_S6_EEENSO_IJSG_SG_EEES6_PlJS6_EEE10hipError_tPvRmT3_T4_T5_T6_T7_T9_mT8_P12ihipStream_tbDpT10_ENKUlT_T0_E_clISt17integral_constantIbLb1EES1A_IbLb0EEEEDaS16_S17_EUlS16_E_NS1_11comp_targetILNS1_3genE5ELNS1_11target_archE942ELNS1_3gpuE9ELNS1_3repE0EEENS1_30default_config_static_selectorELNS0_4arch9wavefront6targetE0EEEvT1_,comdat
.Lfunc_end934:
	.size	_ZN7rocprim17ROCPRIM_400000_NS6detail17trampoline_kernelINS0_14default_configENS1_25partition_config_selectorILNS1_17partition_subalgoE5EtNS0_10empty_typeEbEEZZNS1_14partition_implILS5_5ELb0ES3_mN6thrust23THRUST_200600_302600_NS6detail15normal_iteratorINSA_10device_ptrItEEEEPS6_NSA_18transform_iteratorINSB_9not_fun_tINSA_8identityItEEEESF_NSA_11use_defaultESM_EENS0_5tupleIJSF_S6_EEENSO_IJSG_SG_EEES6_PlJS6_EEE10hipError_tPvRmT3_T4_T5_T6_T7_T9_mT8_P12ihipStream_tbDpT10_ENKUlT_T0_E_clISt17integral_constantIbLb1EES1A_IbLb0EEEEDaS16_S17_EUlS16_E_NS1_11comp_targetILNS1_3genE5ELNS1_11target_archE942ELNS1_3gpuE9ELNS1_3repE0EEENS1_30default_config_static_selectorELNS0_4arch9wavefront6targetE0EEEvT1_, .Lfunc_end934-_ZN7rocprim17ROCPRIM_400000_NS6detail17trampoline_kernelINS0_14default_configENS1_25partition_config_selectorILNS1_17partition_subalgoE5EtNS0_10empty_typeEbEEZZNS1_14partition_implILS5_5ELb0ES3_mN6thrust23THRUST_200600_302600_NS6detail15normal_iteratorINSA_10device_ptrItEEEEPS6_NSA_18transform_iteratorINSB_9not_fun_tINSA_8identityItEEEESF_NSA_11use_defaultESM_EENS0_5tupleIJSF_S6_EEENSO_IJSG_SG_EEES6_PlJS6_EEE10hipError_tPvRmT3_T4_T5_T6_T7_T9_mT8_P12ihipStream_tbDpT10_ENKUlT_T0_E_clISt17integral_constantIbLb1EES1A_IbLb0EEEEDaS16_S17_EUlS16_E_NS1_11comp_targetILNS1_3genE5ELNS1_11target_archE942ELNS1_3gpuE9ELNS1_3repE0EEENS1_30default_config_static_selectorELNS0_4arch9wavefront6targetE0EEEvT1_
                                        ; -- End function
	.set _ZN7rocprim17ROCPRIM_400000_NS6detail17trampoline_kernelINS0_14default_configENS1_25partition_config_selectorILNS1_17partition_subalgoE5EtNS0_10empty_typeEbEEZZNS1_14partition_implILS5_5ELb0ES3_mN6thrust23THRUST_200600_302600_NS6detail15normal_iteratorINSA_10device_ptrItEEEEPS6_NSA_18transform_iteratorINSB_9not_fun_tINSA_8identityItEEEESF_NSA_11use_defaultESM_EENS0_5tupleIJSF_S6_EEENSO_IJSG_SG_EEES6_PlJS6_EEE10hipError_tPvRmT3_T4_T5_T6_T7_T9_mT8_P12ihipStream_tbDpT10_ENKUlT_T0_E_clISt17integral_constantIbLb1EES1A_IbLb0EEEEDaS16_S17_EUlS16_E_NS1_11comp_targetILNS1_3genE5ELNS1_11target_archE942ELNS1_3gpuE9ELNS1_3repE0EEENS1_30default_config_static_selectorELNS0_4arch9wavefront6targetE0EEEvT1_.num_vgpr, 0
	.set _ZN7rocprim17ROCPRIM_400000_NS6detail17trampoline_kernelINS0_14default_configENS1_25partition_config_selectorILNS1_17partition_subalgoE5EtNS0_10empty_typeEbEEZZNS1_14partition_implILS5_5ELb0ES3_mN6thrust23THRUST_200600_302600_NS6detail15normal_iteratorINSA_10device_ptrItEEEEPS6_NSA_18transform_iteratorINSB_9not_fun_tINSA_8identityItEEEESF_NSA_11use_defaultESM_EENS0_5tupleIJSF_S6_EEENSO_IJSG_SG_EEES6_PlJS6_EEE10hipError_tPvRmT3_T4_T5_T6_T7_T9_mT8_P12ihipStream_tbDpT10_ENKUlT_T0_E_clISt17integral_constantIbLb1EES1A_IbLb0EEEEDaS16_S17_EUlS16_E_NS1_11comp_targetILNS1_3genE5ELNS1_11target_archE942ELNS1_3gpuE9ELNS1_3repE0EEENS1_30default_config_static_selectorELNS0_4arch9wavefront6targetE0EEEvT1_.num_agpr, 0
	.set _ZN7rocprim17ROCPRIM_400000_NS6detail17trampoline_kernelINS0_14default_configENS1_25partition_config_selectorILNS1_17partition_subalgoE5EtNS0_10empty_typeEbEEZZNS1_14partition_implILS5_5ELb0ES3_mN6thrust23THRUST_200600_302600_NS6detail15normal_iteratorINSA_10device_ptrItEEEEPS6_NSA_18transform_iteratorINSB_9not_fun_tINSA_8identityItEEEESF_NSA_11use_defaultESM_EENS0_5tupleIJSF_S6_EEENSO_IJSG_SG_EEES6_PlJS6_EEE10hipError_tPvRmT3_T4_T5_T6_T7_T9_mT8_P12ihipStream_tbDpT10_ENKUlT_T0_E_clISt17integral_constantIbLb1EES1A_IbLb0EEEEDaS16_S17_EUlS16_E_NS1_11comp_targetILNS1_3genE5ELNS1_11target_archE942ELNS1_3gpuE9ELNS1_3repE0EEENS1_30default_config_static_selectorELNS0_4arch9wavefront6targetE0EEEvT1_.numbered_sgpr, 0
	.set _ZN7rocprim17ROCPRIM_400000_NS6detail17trampoline_kernelINS0_14default_configENS1_25partition_config_selectorILNS1_17partition_subalgoE5EtNS0_10empty_typeEbEEZZNS1_14partition_implILS5_5ELb0ES3_mN6thrust23THRUST_200600_302600_NS6detail15normal_iteratorINSA_10device_ptrItEEEEPS6_NSA_18transform_iteratorINSB_9not_fun_tINSA_8identityItEEEESF_NSA_11use_defaultESM_EENS0_5tupleIJSF_S6_EEENSO_IJSG_SG_EEES6_PlJS6_EEE10hipError_tPvRmT3_T4_T5_T6_T7_T9_mT8_P12ihipStream_tbDpT10_ENKUlT_T0_E_clISt17integral_constantIbLb1EES1A_IbLb0EEEEDaS16_S17_EUlS16_E_NS1_11comp_targetILNS1_3genE5ELNS1_11target_archE942ELNS1_3gpuE9ELNS1_3repE0EEENS1_30default_config_static_selectorELNS0_4arch9wavefront6targetE0EEEvT1_.num_named_barrier, 0
	.set _ZN7rocprim17ROCPRIM_400000_NS6detail17trampoline_kernelINS0_14default_configENS1_25partition_config_selectorILNS1_17partition_subalgoE5EtNS0_10empty_typeEbEEZZNS1_14partition_implILS5_5ELb0ES3_mN6thrust23THRUST_200600_302600_NS6detail15normal_iteratorINSA_10device_ptrItEEEEPS6_NSA_18transform_iteratorINSB_9not_fun_tINSA_8identityItEEEESF_NSA_11use_defaultESM_EENS0_5tupleIJSF_S6_EEENSO_IJSG_SG_EEES6_PlJS6_EEE10hipError_tPvRmT3_T4_T5_T6_T7_T9_mT8_P12ihipStream_tbDpT10_ENKUlT_T0_E_clISt17integral_constantIbLb1EES1A_IbLb0EEEEDaS16_S17_EUlS16_E_NS1_11comp_targetILNS1_3genE5ELNS1_11target_archE942ELNS1_3gpuE9ELNS1_3repE0EEENS1_30default_config_static_selectorELNS0_4arch9wavefront6targetE0EEEvT1_.private_seg_size, 0
	.set _ZN7rocprim17ROCPRIM_400000_NS6detail17trampoline_kernelINS0_14default_configENS1_25partition_config_selectorILNS1_17partition_subalgoE5EtNS0_10empty_typeEbEEZZNS1_14partition_implILS5_5ELb0ES3_mN6thrust23THRUST_200600_302600_NS6detail15normal_iteratorINSA_10device_ptrItEEEEPS6_NSA_18transform_iteratorINSB_9not_fun_tINSA_8identityItEEEESF_NSA_11use_defaultESM_EENS0_5tupleIJSF_S6_EEENSO_IJSG_SG_EEES6_PlJS6_EEE10hipError_tPvRmT3_T4_T5_T6_T7_T9_mT8_P12ihipStream_tbDpT10_ENKUlT_T0_E_clISt17integral_constantIbLb1EES1A_IbLb0EEEEDaS16_S17_EUlS16_E_NS1_11comp_targetILNS1_3genE5ELNS1_11target_archE942ELNS1_3gpuE9ELNS1_3repE0EEENS1_30default_config_static_selectorELNS0_4arch9wavefront6targetE0EEEvT1_.uses_vcc, 0
	.set _ZN7rocprim17ROCPRIM_400000_NS6detail17trampoline_kernelINS0_14default_configENS1_25partition_config_selectorILNS1_17partition_subalgoE5EtNS0_10empty_typeEbEEZZNS1_14partition_implILS5_5ELb0ES3_mN6thrust23THRUST_200600_302600_NS6detail15normal_iteratorINSA_10device_ptrItEEEEPS6_NSA_18transform_iteratorINSB_9not_fun_tINSA_8identityItEEEESF_NSA_11use_defaultESM_EENS0_5tupleIJSF_S6_EEENSO_IJSG_SG_EEES6_PlJS6_EEE10hipError_tPvRmT3_T4_T5_T6_T7_T9_mT8_P12ihipStream_tbDpT10_ENKUlT_T0_E_clISt17integral_constantIbLb1EES1A_IbLb0EEEEDaS16_S17_EUlS16_E_NS1_11comp_targetILNS1_3genE5ELNS1_11target_archE942ELNS1_3gpuE9ELNS1_3repE0EEENS1_30default_config_static_selectorELNS0_4arch9wavefront6targetE0EEEvT1_.uses_flat_scratch, 0
	.set _ZN7rocprim17ROCPRIM_400000_NS6detail17trampoline_kernelINS0_14default_configENS1_25partition_config_selectorILNS1_17partition_subalgoE5EtNS0_10empty_typeEbEEZZNS1_14partition_implILS5_5ELb0ES3_mN6thrust23THRUST_200600_302600_NS6detail15normal_iteratorINSA_10device_ptrItEEEEPS6_NSA_18transform_iteratorINSB_9not_fun_tINSA_8identityItEEEESF_NSA_11use_defaultESM_EENS0_5tupleIJSF_S6_EEENSO_IJSG_SG_EEES6_PlJS6_EEE10hipError_tPvRmT3_T4_T5_T6_T7_T9_mT8_P12ihipStream_tbDpT10_ENKUlT_T0_E_clISt17integral_constantIbLb1EES1A_IbLb0EEEEDaS16_S17_EUlS16_E_NS1_11comp_targetILNS1_3genE5ELNS1_11target_archE942ELNS1_3gpuE9ELNS1_3repE0EEENS1_30default_config_static_selectorELNS0_4arch9wavefront6targetE0EEEvT1_.has_dyn_sized_stack, 0
	.set _ZN7rocprim17ROCPRIM_400000_NS6detail17trampoline_kernelINS0_14default_configENS1_25partition_config_selectorILNS1_17partition_subalgoE5EtNS0_10empty_typeEbEEZZNS1_14partition_implILS5_5ELb0ES3_mN6thrust23THRUST_200600_302600_NS6detail15normal_iteratorINSA_10device_ptrItEEEEPS6_NSA_18transform_iteratorINSB_9not_fun_tINSA_8identityItEEEESF_NSA_11use_defaultESM_EENS0_5tupleIJSF_S6_EEENSO_IJSG_SG_EEES6_PlJS6_EEE10hipError_tPvRmT3_T4_T5_T6_T7_T9_mT8_P12ihipStream_tbDpT10_ENKUlT_T0_E_clISt17integral_constantIbLb1EES1A_IbLb0EEEEDaS16_S17_EUlS16_E_NS1_11comp_targetILNS1_3genE5ELNS1_11target_archE942ELNS1_3gpuE9ELNS1_3repE0EEENS1_30default_config_static_selectorELNS0_4arch9wavefront6targetE0EEEvT1_.has_recursion, 0
	.set _ZN7rocprim17ROCPRIM_400000_NS6detail17trampoline_kernelINS0_14default_configENS1_25partition_config_selectorILNS1_17partition_subalgoE5EtNS0_10empty_typeEbEEZZNS1_14partition_implILS5_5ELb0ES3_mN6thrust23THRUST_200600_302600_NS6detail15normal_iteratorINSA_10device_ptrItEEEEPS6_NSA_18transform_iteratorINSB_9not_fun_tINSA_8identityItEEEESF_NSA_11use_defaultESM_EENS0_5tupleIJSF_S6_EEENSO_IJSG_SG_EEES6_PlJS6_EEE10hipError_tPvRmT3_T4_T5_T6_T7_T9_mT8_P12ihipStream_tbDpT10_ENKUlT_T0_E_clISt17integral_constantIbLb1EES1A_IbLb0EEEEDaS16_S17_EUlS16_E_NS1_11comp_targetILNS1_3genE5ELNS1_11target_archE942ELNS1_3gpuE9ELNS1_3repE0EEENS1_30default_config_static_selectorELNS0_4arch9wavefront6targetE0EEEvT1_.has_indirect_call, 0
	.section	.AMDGPU.csdata,"",@progbits
; Kernel info:
; codeLenInByte = 0
; TotalNumSgprs: 0
; NumVgprs: 0
; ScratchSize: 0
; MemoryBound: 0
; FloatMode: 240
; IeeeMode: 1
; LDSByteSize: 0 bytes/workgroup (compile time only)
; SGPRBlocks: 0
; VGPRBlocks: 0
; NumSGPRsForWavesPerEU: 1
; NumVGPRsForWavesPerEU: 1
; Occupancy: 16
; WaveLimiterHint : 0
; COMPUTE_PGM_RSRC2:SCRATCH_EN: 0
; COMPUTE_PGM_RSRC2:USER_SGPR: 2
; COMPUTE_PGM_RSRC2:TRAP_HANDLER: 0
; COMPUTE_PGM_RSRC2:TGID_X_EN: 1
; COMPUTE_PGM_RSRC2:TGID_Y_EN: 0
; COMPUTE_PGM_RSRC2:TGID_Z_EN: 0
; COMPUTE_PGM_RSRC2:TIDIG_COMP_CNT: 0
	.section	.text._ZN7rocprim17ROCPRIM_400000_NS6detail17trampoline_kernelINS0_14default_configENS1_25partition_config_selectorILNS1_17partition_subalgoE5EtNS0_10empty_typeEbEEZZNS1_14partition_implILS5_5ELb0ES3_mN6thrust23THRUST_200600_302600_NS6detail15normal_iteratorINSA_10device_ptrItEEEEPS6_NSA_18transform_iteratorINSB_9not_fun_tINSA_8identityItEEEESF_NSA_11use_defaultESM_EENS0_5tupleIJSF_S6_EEENSO_IJSG_SG_EEES6_PlJS6_EEE10hipError_tPvRmT3_T4_T5_T6_T7_T9_mT8_P12ihipStream_tbDpT10_ENKUlT_T0_E_clISt17integral_constantIbLb1EES1A_IbLb0EEEEDaS16_S17_EUlS16_E_NS1_11comp_targetILNS1_3genE4ELNS1_11target_archE910ELNS1_3gpuE8ELNS1_3repE0EEENS1_30default_config_static_selectorELNS0_4arch9wavefront6targetE0EEEvT1_,"axG",@progbits,_ZN7rocprim17ROCPRIM_400000_NS6detail17trampoline_kernelINS0_14default_configENS1_25partition_config_selectorILNS1_17partition_subalgoE5EtNS0_10empty_typeEbEEZZNS1_14partition_implILS5_5ELb0ES3_mN6thrust23THRUST_200600_302600_NS6detail15normal_iteratorINSA_10device_ptrItEEEEPS6_NSA_18transform_iteratorINSB_9not_fun_tINSA_8identityItEEEESF_NSA_11use_defaultESM_EENS0_5tupleIJSF_S6_EEENSO_IJSG_SG_EEES6_PlJS6_EEE10hipError_tPvRmT3_T4_T5_T6_T7_T9_mT8_P12ihipStream_tbDpT10_ENKUlT_T0_E_clISt17integral_constantIbLb1EES1A_IbLb0EEEEDaS16_S17_EUlS16_E_NS1_11comp_targetILNS1_3genE4ELNS1_11target_archE910ELNS1_3gpuE8ELNS1_3repE0EEENS1_30default_config_static_selectorELNS0_4arch9wavefront6targetE0EEEvT1_,comdat
	.protected	_ZN7rocprim17ROCPRIM_400000_NS6detail17trampoline_kernelINS0_14default_configENS1_25partition_config_selectorILNS1_17partition_subalgoE5EtNS0_10empty_typeEbEEZZNS1_14partition_implILS5_5ELb0ES3_mN6thrust23THRUST_200600_302600_NS6detail15normal_iteratorINSA_10device_ptrItEEEEPS6_NSA_18transform_iteratorINSB_9not_fun_tINSA_8identityItEEEESF_NSA_11use_defaultESM_EENS0_5tupleIJSF_S6_EEENSO_IJSG_SG_EEES6_PlJS6_EEE10hipError_tPvRmT3_T4_T5_T6_T7_T9_mT8_P12ihipStream_tbDpT10_ENKUlT_T0_E_clISt17integral_constantIbLb1EES1A_IbLb0EEEEDaS16_S17_EUlS16_E_NS1_11comp_targetILNS1_3genE4ELNS1_11target_archE910ELNS1_3gpuE8ELNS1_3repE0EEENS1_30default_config_static_selectorELNS0_4arch9wavefront6targetE0EEEvT1_ ; -- Begin function _ZN7rocprim17ROCPRIM_400000_NS6detail17trampoline_kernelINS0_14default_configENS1_25partition_config_selectorILNS1_17partition_subalgoE5EtNS0_10empty_typeEbEEZZNS1_14partition_implILS5_5ELb0ES3_mN6thrust23THRUST_200600_302600_NS6detail15normal_iteratorINSA_10device_ptrItEEEEPS6_NSA_18transform_iteratorINSB_9not_fun_tINSA_8identityItEEEESF_NSA_11use_defaultESM_EENS0_5tupleIJSF_S6_EEENSO_IJSG_SG_EEES6_PlJS6_EEE10hipError_tPvRmT3_T4_T5_T6_T7_T9_mT8_P12ihipStream_tbDpT10_ENKUlT_T0_E_clISt17integral_constantIbLb1EES1A_IbLb0EEEEDaS16_S17_EUlS16_E_NS1_11comp_targetILNS1_3genE4ELNS1_11target_archE910ELNS1_3gpuE8ELNS1_3repE0EEENS1_30default_config_static_selectorELNS0_4arch9wavefront6targetE0EEEvT1_
	.globl	_ZN7rocprim17ROCPRIM_400000_NS6detail17trampoline_kernelINS0_14default_configENS1_25partition_config_selectorILNS1_17partition_subalgoE5EtNS0_10empty_typeEbEEZZNS1_14partition_implILS5_5ELb0ES3_mN6thrust23THRUST_200600_302600_NS6detail15normal_iteratorINSA_10device_ptrItEEEEPS6_NSA_18transform_iteratorINSB_9not_fun_tINSA_8identityItEEEESF_NSA_11use_defaultESM_EENS0_5tupleIJSF_S6_EEENSO_IJSG_SG_EEES6_PlJS6_EEE10hipError_tPvRmT3_T4_T5_T6_T7_T9_mT8_P12ihipStream_tbDpT10_ENKUlT_T0_E_clISt17integral_constantIbLb1EES1A_IbLb0EEEEDaS16_S17_EUlS16_E_NS1_11comp_targetILNS1_3genE4ELNS1_11target_archE910ELNS1_3gpuE8ELNS1_3repE0EEENS1_30default_config_static_selectorELNS0_4arch9wavefront6targetE0EEEvT1_
	.p2align	8
	.type	_ZN7rocprim17ROCPRIM_400000_NS6detail17trampoline_kernelINS0_14default_configENS1_25partition_config_selectorILNS1_17partition_subalgoE5EtNS0_10empty_typeEbEEZZNS1_14partition_implILS5_5ELb0ES3_mN6thrust23THRUST_200600_302600_NS6detail15normal_iteratorINSA_10device_ptrItEEEEPS6_NSA_18transform_iteratorINSB_9not_fun_tINSA_8identityItEEEESF_NSA_11use_defaultESM_EENS0_5tupleIJSF_S6_EEENSO_IJSG_SG_EEES6_PlJS6_EEE10hipError_tPvRmT3_T4_T5_T6_T7_T9_mT8_P12ihipStream_tbDpT10_ENKUlT_T0_E_clISt17integral_constantIbLb1EES1A_IbLb0EEEEDaS16_S17_EUlS16_E_NS1_11comp_targetILNS1_3genE4ELNS1_11target_archE910ELNS1_3gpuE8ELNS1_3repE0EEENS1_30default_config_static_selectorELNS0_4arch9wavefront6targetE0EEEvT1_,@function
_ZN7rocprim17ROCPRIM_400000_NS6detail17trampoline_kernelINS0_14default_configENS1_25partition_config_selectorILNS1_17partition_subalgoE5EtNS0_10empty_typeEbEEZZNS1_14partition_implILS5_5ELb0ES3_mN6thrust23THRUST_200600_302600_NS6detail15normal_iteratorINSA_10device_ptrItEEEEPS6_NSA_18transform_iteratorINSB_9not_fun_tINSA_8identityItEEEESF_NSA_11use_defaultESM_EENS0_5tupleIJSF_S6_EEENSO_IJSG_SG_EEES6_PlJS6_EEE10hipError_tPvRmT3_T4_T5_T6_T7_T9_mT8_P12ihipStream_tbDpT10_ENKUlT_T0_E_clISt17integral_constantIbLb1EES1A_IbLb0EEEEDaS16_S17_EUlS16_E_NS1_11comp_targetILNS1_3genE4ELNS1_11target_archE910ELNS1_3gpuE8ELNS1_3repE0EEENS1_30default_config_static_selectorELNS0_4arch9wavefront6targetE0EEEvT1_: ; @_ZN7rocprim17ROCPRIM_400000_NS6detail17trampoline_kernelINS0_14default_configENS1_25partition_config_selectorILNS1_17partition_subalgoE5EtNS0_10empty_typeEbEEZZNS1_14partition_implILS5_5ELb0ES3_mN6thrust23THRUST_200600_302600_NS6detail15normal_iteratorINSA_10device_ptrItEEEEPS6_NSA_18transform_iteratorINSB_9not_fun_tINSA_8identityItEEEESF_NSA_11use_defaultESM_EENS0_5tupleIJSF_S6_EEENSO_IJSG_SG_EEES6_PlJS6_EEE10hipError_tPvRmT3_T4_T5_T6_T7_T9_mT8_P12ihipStream_tbDpT10_ENKUlT_T0_E_clISt17integral_constantIbLb1EES1A_IbLb0EEEEDaS16_S17_EUlS16_E_NS1_11comp_targetILNS1_3genE4ELNS1_11target_archE910ELNS1_3gpuE8ELNS1_3repE0EEENS1_30default_config_static_selectorELNS0_4arch9wavefront6targetE0EEEvT1_
; %bb.0:
	.section	.rodata,"a",@progbits
	.p2align	6, 0x0
	.amdhsa_kernel _ZN7rocprim17ROCPRIM_400000_NS6detail17trampoline_kernelINS0_14default_configENS1_25partition_config_selectorILNS1_17partition_subalgoE5EtNS0_10empty_typeEbEEZZNS1_14partition_implILS5_5ELb0ES3_mN6thrust23THRUST_200600_302600_NS6detail15normal_iteratorINSA_10device_ptrItEEEEPS6_NSA_18transform_iteratorINSB_9not_fun_tINSA_8identityItEEEESF_NSA_11use_defaultESM_EENS0_5tupleIJSF_S6_EEENSO_IJSG_SG_EEES6_PlJS6_EEE10hipError_tPvRmT3_T4_T5_T6_T7_T9_mT8_P12ihipStream_tbDpT10_ENKUlT_T0_E_clISt17integral_constantIbLb1EES1A_IbLb0EEEEDaS16_S17_EUlS16_E_NS1_11comp_targetILNS1_3genE4ELNS1_11target_archE910ELNS1_3gpuE8ELNS1_3repE0EEENS1_30default_config_static_selectorELNS0_4arch9wavefront6targetE0EEEvT1_
		.amdhsa_group_segment_fixed_size 0
		.amdhsa_private_segment_fixed_size 0
		.amdhsa_kernarg_size 120
		.amdhsa_user_sgpr_count 2
		.amdhsa_user_sgpr_dispatch_ptr 0
		.amdhsa_user_sgpr_queue_ptr 0
		.amdhsa_user_sgpr_kernarg_segment_ptr 1
		.amdhsa_user_sgpr_dispatch_id 0
		.amdhsa_user_sgpr_private_segment_size 0
		.amdhsa_wavefront_size32 1
		.amdhsa_uses_dynamic_stack 0
		.amdhsa_enable_private_segment 0
		.amdhsa_system_sgpr_workgroup_id_x 1
		.amdhsa_system_sgpr_workgroup_id_y 0
		.amdhsa_system_sgpr_workgroup_id_z 0
		.amdhsa_system_sgpr_workgroup_info 0
		.amdhsa_system_vgpr_workitem_id 0
		.amdhsa_next_free_vgpr 1
		.amdhsa_next_free_sgpr 1
		.amdhsa_reserve_vcc 0
		.amdhsa_float_round_mode_32 0
		.amdhsa_float_round_mode_16_64 0
		.amdhsa_float_denorm_mode_32 3
		.amdhsa_float_denorm_mode_16_64 3
		.amdhsa_fp16_overflow 0
		.amdhsa_workgroup_processor_mode 1
		.amdhsa_memory_ordered 1
		.amdhsa_forward_progress 1
		.amdhsa_inst_pref_size 0
		.amdhsa_round_robin_scheduling 0
		.amdhsa_exception_fp_ieee_invalid_op 0
		.amdhsa_exception_fp_denorm_src 0
		.amdhsa_exception_fp_ieee_div_zero 0
		.amdhsa_exception_fp_ieee_overflow 0
		.amdhsa_exception_fp_ieee_underflow 0
		.amdhsa_exception_fp_ieee_inexact 0
		.amdhsa_exception_int_div_zero 0
	.end_amdhsa_kernel
	.section	.text._ZN7rocprim17ROCPRIM_400000_NS6detail17trampoline_kernelINS0_14default_configENS1_25partition_config_selectorILNS1_17partition_subalgoE5EtNS0_10empty_typeEbEEZZNS1_14partition_implILS5_5ELb0ES3_mN6thrust23THRUST_200600_302600_NS6detail15normal_iteratorINSA_10device_ptrItEEEEPS6_NSA_18transform_iteratorINSB_9not_fun_tINSA_8identityItEEEESF_NSA_11use_defaultESM_EENS0_5tupleIJSF_S6_EEENSO_IJSG_SG_EEES6_PlJS6_EEE10hipError_tPvRmT3_T4_T5_T6_T7_T9_mT8_P12ihipStream_tbDpT10_ENKUlT_T0_E_clISt17integral_constantIbLb1EES1A_IbLb0EEEEDaS16_S17_EUlS16_E_NS1_11comp_targetILNS1_3genE4ELNS1_11target_archE910ELNS1_3gpuE8ELNS1_3repE0EEENS1_30default_config_static_selectorELNS0_4arch9wavefront6targetE0EEEvT1_,"axG",@progbits,_ZN7rocprim17ROCPRIM_400000_NS6detail17trampoline_kernelINS0_14default_configENS1_25partition_config_selectorILNS1_17partition_subalgoE5EtNS0_10empty_typeEbEEZZNS1_14partition_implILS5_5ELb0ES3_mN6thrust23THRUST_200600_302600_NS6detail15normal_iteratorINSA_10device_ptrItEEEEPS6_NSA_18transform_iteratorINSB_9not_fun_tINSA_8identityItEEEESF_NSA_11use_defaultESM_EENS0_5tupleIJSF_S6_EEENSO_IJSG_SG_EEES6_PlJS6_EEE10hipError_tPvRmT3_T4_T5_T6_T7_T9_mT8_P12ihipStream_tbDpT10_ENKUlT_T0_E_clISt17integral_constantIbLb1EES1A_IbLb0EEEEDaS16_S17_EUlS16_E_NS1_11comp_targetILNS1_3genE4ELNS1_11target_archE910ELNS1_3gpuE8ELNS1_3repE0EEENS1_30default_config_static_selectorELNS0_4arch9wavefront6targetE0EEEvT1_,comdat
.Lfunc_end935:
	.size	_ZN7rocprim17ROCPRIM_400000_NS6detail17trampoline_kernelINS0_14default_configENS1_25partition_config_selectorILNS1_17partition_subalgoE5EtNS0_10empty_typeEbEEZZNS1_14partition_implILS5_5ELb0ES3_mN6thrust23THRUST_200600_302600_NS6detail15normal_iteratorINSA_10device_ptrItEEEEPS6_NSA_18transform_iteratorINSB_9not_fun_tINSA_8identityItEEEESF_NSA_11use_defaultESM_EENS0_5tupleIJSF_S6_EEENSO_IJSG_SG_EEES6_PlJS6_EEE10hipError_tPvRmT3_T4_T5_T6_T7_T9_mT8_P12ihipStream_tbDpT10_ENKUlT_T0_E_clISt17integral_constantIbLb1EES1A_IbLb0EEEEDaS16_S17_EUlS16_E_NS1_11comp_targetILNS1_3genE4ELNS1_11target_archE910ELNS1_3gpuE8ELNS1_3repE0EEENS1_30default_config_static_selectorELNS0_4arch9wavefront6targetE0EEEvT1_, .Lfunc_end935-_ZN7rocprim17ROCPRIM_400000_NS6detail17trampoline_kernelINS0_14default_configENS1_25partition_config_selectorILNS1_17partition_subalgoE5EtNS0_10empty_typeEbEEZZNS1_14partition_implILS5_5ELb0ES3_mN6thrust23THRUST_200600_302600_NS6detail15normal_iteratorINSA_10device_ptrItEEEEPS6_NSA_18transform_iteratorINSB_9not_fun_tINSA_8identityItEEEESF_NSA_11use_defaultESM_EENS0_5tupleIJSF_S6_EEENSO_IJSG_SG_EEES6_PlJS6_EEE10hipError_tPvRmT3_T4_T5_T6_T7_T9_mT8_P12ihipStream_tbDpT10_ENKUlT_T0_E_clISt17integral_constantIbLb1EES1A_IbLb0EEEEDaS16_S17_EUlS16_E_NS1_11comp_targetILNS1_3genE4ELNS1_11target_archE910ELNS1_3gpuE8ELNS1_3repE0EEENS1_30default_config_static_selectorELNS0_4arch9wavefront6targetE0EEEvT1_
                                        ; -- End function
	.set _ZN7rocprim17ROCPRIM_400000_NS6detail17trampoline_kernelINS0_14default_configENS1_25partition_config_selectorILNS1_17partition_subalgoE5EtNS0_10empty_typeEbEEZZNS1_14partition_implILS5_5ELb0ES3_mN6thrust23THRUST_200600_302600_NS6detail15normal_iteratorINSA_10device_ptrItEEEEPS6_NSA_18transform_iteratorINSB_9not_fun_tINSA_8identityItEEEESF_NSA_11use_defaultESM_EENS0_5tupleIJSF_S6_EEENSO_IJSG_SG_EEES6_PlJS6_EEE10hipError_tPvRmT3_T4_T5_T6_T7_T9_mT8_P12ihipStream_tbDpT10_ENKUlT_T0_E_clISt17integral_constantIbLb1EES1A_IbLb0EEEEDaS16_S17_EUlS16_E_NS1_11comp_targetILNS1_3genE4ELNS1_11target_archE910ELNS1_3gpuE8ELNS1_3repE0EEENS1_30default_config_static_selectorELNS0_4arch9wavefront6targetE0EEEvT1_.num_vgpr, 0
	.set _ZN7rocprim17ROCPRIM_400000_NS6detail17trampoline_kernelINS0_14default_configENS1_25partition_config_selectorILNS1_17partition_subalgoE5EtNS0_10empty_typeEbEEZZNS1_14partition_implILS5_5ELb0ES3_mN6thrust23THRUST_200600_302600_NS6detail15normal_iteratorINSA_10device_ptrItEEEEPS6_NSA_18transform_iteratorINSB_9not_fun_tINSA_8identityItEEEESF_NSA_11use_defaultESM_EENS0_5tupleIJSF_S6_EEENSO_IJSG_SG_EEES6_PlJS6_EEE10hipError_tPvRmT3_T4_T5_T6_T7_T9_mT8_P12ihipStream_tbDpT10_ENKUlT_T0_E_clISt17integral_constantIbLb1EES1A_IbLb0EEEEDaS16_S17_EUlS16_E_NS1_11comp_targetILNS1_3genE4ELNS1_11target_archE910ELNS1_3gpuE8ELNS1_3repE0EEENS1_30default_config_static_selectorELNS0_4arch9wavefront6targetE0EEEvT1_.num_agpr, 0
	.set _ZN7rocprim17ROCPRIM_400000_NS6detail17trampoline_kernelINS0_14default_configENS1_25partition_config_selectorILNS1_17partition_subalgoE5EtNS0_10empty_typeEbEEZZNS1_14partition_implILS5_5ELb0ES3_mN6thrust23THRUST_200600_302600_NS6detail15normal_iteratorINSA_10device_ptrItEEEEPS6_NSA_18transform_iteratorINSB_9not_fun_tINSA_8identityItEEEESF_NSA_11use_defaultESM_EENS0_5tupleIJSF_S6_EEENSO_IJSG_SG_EEES6_PlJS6_EEE10hipError_tPvRmT3_T4_T5_T6_T7_T9_mT8_P12ihipStream_tbDpT10_ENKUlT_T0_E_clISt17integral_constantIbLb1EES1A_IbLb0EEEEDaS16_S17_EUlS16_E_NS1_11comp_targetILNS1_3genE4ELNS1_11target_archE910ELNS1_3gpuE8ELNS1_3repE0EEENS1_30default_config_static_selectorELNS0_4arch9wavefront6targetE0EEEvT1_.numbered_sgpr, 0
	.set _ZN7rocprim17ROCPRIM_400000_NS6detail17trampoline_kernelINS0_14default_configENS1_25partition_config_selectorILNS1_17partition_subalgoE5EtNS0_10empty_typeEbEEZZNS1_14partition_implILS5_5ELb0ES3_mN6thrust23THRUST_200600_302600_NS6detail15normal_iteratorINSA_10device_ptrItEEEEPS6_NSA_18transform_iteratorINSB_9not_fun_tINSA_8identityItEEEESF_NSA_11use_defaultESM_EENS0_5tupleIJSF_S6_EEENSO_IJSG_SG_EEES6_PlJS6_EEE10hipError_tPvRmT3_T4_T5_T6_T7_T9_mT8_P12ihipStream_tbDpT10_ENKUlT_T0_E_clISt17integral_constantIbLb1EES1A_IbLb0EEEEDaS16_S17_EUlS16_E_NS1_11comp_targetILNS1_3genE4ELNS1_11target_archE910ELNS1_3gpuE8ELNS1_3repE0EEENS1_30default_config_static_selectorELNS0_4arch9wavefront6targetE0EEEvT1_.num_named_barrier, 0
	.set _ZN7rocprim17ROCPRIM_400000_NS6detail17trampoline_kernelINS0_14default_configENS1_25partition_config_selectorILNS1_17partition_subalgoE5EtNS0_10empty_typeEbEEZZNS1_14partition_implILS5_5ELb0ES3_mN6thrust23THRUST_200600_302600_NS6detail15normal_iteratorINSA_10device_ptrItEEEEPS6_NSA_18transform_iteratorINSB_9not_fun_tINSA_8identityItEEEESF_NSA_11use_defaultESM_EENS0_5tupleIJSF_S6_EEENSO_IJSG_SG_EEES6_PlJS6_EEE10hipError_tPvRmT3_T4_T5_T6_T7_T9_mT8_P12ihipStream_tbDpT10_ENKUlT_T0_E_clISt17integral_constantIbLb1EES1A_IbLb0EEEEDaS16_S17_EUlS16_E_NS1_11comp_targetILNS1_3genE4ELNS1_11target_archE910ELNS1_3gpuE8ELNS1_3repE0EEENS1_30default_config_static_selectorELNS0_4arch9wavefront6targetE0EEEvT1_.private_seg_size, 0
	.set _ZN7rocprim17ROCPRIM_400000_NS6detail17trampoline_kernelINS0_14default_configENS1_25partition_config_selectorILNS1_17partition_subalgoE5EtNS0_10empty_typeEbEEZZNS1_14partition_implILS5_5ELb0ES3_mN6thrust23THRUST_200600_302600_NS6detail15normal_iteratorINSA_10device_ptrItEEEEPS6_NSA_18transform_iteratorINSB_9not_fun_tINSA_8identityItEEEESF_NSA_11use_defaultESM_EENS0_5tupleIJSF_S6_EEENSO_IJSG_SG_EEES6_PlJS6_EEE10hipError_tPvRmT3_T4_T5_T6_T7_T9_mT8_P12ihipStream_tbDpT10_ENKUlT_T0_E_clISt17integral_constantIbLb1EES1A_IbLb0EEEEDaS16_S17_EUlS16_E_NS1_11comp_targetILNS1_3genE4ELNS1_11target_archE910ELNS1_3gpuE8ELNS1_3repE0EEENS1_30default_config_static_selectorELNS0_4arch9wavefront6targetE0EEEvT1_.uses_vcc, 0
	.set _ZN7rocprim17ROCPRIM_400000_NS6detail17trampoline_kernelINS0_14default_configENS1_25partition_config_selectorILNS1_17partition_subalgoE5EtNS0_10empty_typeEbEEZZNS1_14partition_implILS5_5ELb0ES3_mN6thrust23THRUST_200600_302600_NS6detail15normal_iteratorINSA_10device_ptrItEEEEPS6_NSA_18transform_iteratorINSB_9not_fun_tINSA_8identityItEEEESF_NSA_11use_defaultESM_EENS0_5tupleIJSF_S6_EEENSO_IJSG_SG_EEES6_PlJS6_EEE10hipError_tPvRmT3_T4_T5_T6_T7_T9_mT8_P12ihipStream_tbDpT10_ENKUlT_T0_E_clISt17integral_constantIbLb1EES1A_IbLb0EEEEDaS16_S17_EUlS16_E_NS1_11comp_targetILNS1_3genE4ELNS1_11target_archE910ELNS1_3gpuE8ELNS1_3repE0EEENS1_30default_config_static_selectorELNS0_4arch9wavefront6targetE0EEEvT1_.uses_flat_scratch, 0
	.set _ZN7rocprim17ROCPRIM_400000_NS6detail17trampoline_kernelINS0_14default_configENS1_25partition_config_selectorILNS1_17partition_subalgoE5EtNS0_10empty_typeEbEEZZNS1_14partition_implILS5_5ELb0ES3_mN6thrust23THRUST_200600_302600_NS6detail15normal_iteratorINSA_10device_ptrItEEEEPS6_NSA_18transform_iteratorINSB_9not_fun_tINSA_8identityItEEEESF_NSA_11use_defaultESM_EENS0_5tupleIJSF_S6_EEENSO_IJSG_SG_EEES6_PlJS6_EEE10hipError_tPvRmT3_T4_T5_T6_T7_T9_mT8_P12ihipStream_tbDpT10_ENKUlT_T0_E_clISt17integral_constantIbLb1EES1A_IbLb0EEEEDaS16_S17_EUlS16_E_NS1_11comp_targetILNS1_3genE4ELNS1_11target_archE910ELNS1_3gpuE8ELNS1_3repE0EEENS1_30default_config_static_selectorELNS0_4arch9wavefront6targetE0EEEvT1_.has_dyn_sized_stack, 0
	.set _ZN7rocprim17ROCPRIM_400000_NS6detail17trampoline_kernelINS0_14default_configENS1_25partition_config_selectorILNS1_17partition_subalgoE5EtNS0_10empty_typeEbEEZZNS1_14partition_implILS5_5ELb0ES3_mN6thrust23THRUST_200600_302600_NS6detail15normal_iteratorINSA_10device_ptrItEEEEPS6_NSA_18transform_iteratorINSB_9not_fun_tINSA_8identityItEEEESF_NSA_11use_defaultESM_EENS0_5tupleIJSF_S6_EEENSO_IJSG_SG_EEES6_PlJS6_EEE10hipError_tPvRmT3_T4_T5_T6_T7_T9_mT8_P12ihipStream_tbDpT10_ENKUlT_T0_E_clISt17integral_constantIbLb1EES1A_IbLb0EEEEDaS16_S17_EUlS16_E_NS1_11comp_targetILNS1_3genE4ELNS1_11target_archE910ELNS1_3gpuE8ELNS1_3repE0EEENS1_30default_config_static_selectorELNS0_4arch9wavefront6targetE0EEEvT1_.has_recursion, 0
	.set _ZN7rocprim17ROCPRIM_400000_NS6detail17trampoline_kernelINS0_14default_configENS1_25partition_config_selectorILNS1_17partition_subalgoE5EtNS0_10empty_typeEbEEZZNS1_14partition_implILS5_5ELb0ES3_mN6thrust23THRUST_200600_302600_NS6detail15normal_iteratorINSA_10device_ptrItEEEEPS6_NSA_18transform_iteratorINSB_9not_fun_tINSA_8identityItEEEESF_NSA_11use_defaultESM_EENS0_5tupleIJSF_S6_EEENSO_IJSG_SG_EEES6_PlJS6_EEE10hipError_tPvRmT3_T4_T5_T6_T7_T9_mT8_P12ihipStream_tbDpT10_ENKUlT_T0_E_clISt17integral_constantIbLb1EES1A_IbLb0EEEEDaS16_S17_EUlS16_E_NS1_11comp_targetILNS1_3genE4ELNS1_11target_archE910ELNS1_3gpuE8ELNS1_3repE0EEENS1_30default_config_static_selectorELNS0_4arch9wavefront6targetE0EEEvT1_.has_indirect_call, 0
	.section	.AMDGPU.csdata,"",@progbits
; Kernel info:
; codeLenInByte = 0
; TotalNumSgprs: 0
; NumVgprs: 0
; ScratchSize: 0
; MemoryBound: 0
; FloatMode: 240
; IeeeMode: 1
; LDSByteSize: 0 bytes/workgroup (compile time only)
; SGPRBlocks: 0
; VGPRBlocks: 0
; NumSGPRsForWavesPerEU: 1
; NumVGPRsForWavesPerEU: 1
; Occupancy: 16
; WaveLimiterHint : 0
; COMPUTE_PGM_RSRC2:SCRATCH_EN: 0
; COMPUTE_PGM_RSRC2:USER_SGPR: 2
; COMPUTE_PGM_RSRC2:TRAP_HANDLER: 0
; COMPUTE_PGM_RSRC2:TGID_X_EN: 1
; COMPUTE_PGM_RSRC2:TGID_Y_EN: 0
; COMPUTE_PGM_RSRC2:TGID_Z_EN: 0
; COMPUTE_PGM_RSRC2:TIDIG_COMP_CNT: 0
	.section	.text._ZN7rocprim17ROCPRIM_400000_NS6detail17trampoline_kernelINS0_14default_configENS1_25partition_config_selectorILNS1_17partition_subalgoE5EtNS0_10empty_typeEbEEZZNS1_14partition_implILS5_5ELb0ES3_mN6thrust23THRUST_200600_302600_NS6detail15normal_iteratorINSA_10device_ptrItEEEEPS6_NSA_18transform_iteratorINSB_9not_fun_tINSA_8identityItEEEESF_NSA_11use_defaultESM_EENS0_5tupleIJSF_S6_EEENSO_IJSG_SG_EEES6_PlJS6_EEE10hipError_tPvRmT3_T4_T5_T6_T7_T9_mT8_P12ihipStream_tbDpT10_ENKUlT_T0_E_clISt17integral_constantIbLb1EES1A_IbLb0EEEEDaS16_S17_EUlS16_E_NS1_11comp_targetILNS1_3genE3ELNS1_11target_archE908ELNS1_3gpuE7ELNS1_3repE0EEENS1_30default_config_static_selectorELNS0_4arch9wavefront6targetE0EEEvT1_,"axG",@progbits,_ZN7rocprim17ROCPRIM_400000_NS6detail17trampoline_kernelINS0_14default_configENS1_25partition_config_selectorILNS1_17partition_subalgoE5EtNS0_10empty_typeEbEEZZNS1_14partition_implILS5_5ELb0ES3_mN6thrust23THRUST_200600_302600_NS6detail15normal_iteratorINSA_10device_ptrItEEEEPS6_NSA_18transform_iteratorINSB_9not_fun_tINSA_8identityItEEEESF_NSA_11use_defaultESM_EENS0_5tupleIJSF_S6_EEENSO_IJSG_SG_EEES6_PlJS6_EEE10hipError_tPvRmT3_T4_T5_T6_T7_T9_mT8_P12ihipStream_tbDpT10_ENKUlT_T0_E_clISt17integral_constantIbLb1EES1A_IbLb0EEEEDaS16_S17_EUlS16_E_NS1_11comp_targetILNS1_3genE3ELNS1_11target_archE908ELNS1_3gpuE7ELNS1_3repE0EEENS1_30default_config_static_selectorELNS0_4arch9wavefront6targetE0EEEvT1_,comdat
	.protected	_ZN7rocprim17ROCPRIM_400000_NS6detail17trampoline_kernelINS0_14default_configENS1_25partition_config_selectorILNS1_17partition_subalgoE5EtNS0_10empty_typeEbEEZZNS1_14partition_implILS5_5ELb0ES3_mN6thrust23THRUST_200600_302600_NS6detail15normal_iteratorINSA_10device_ptrItEEEEPS6_NSA_18transform_iteratorINSB_9not_fun_tINSA_8identityItEEEESF_NSA_11use_defaultESM_EENS0_5tupleIJSF_S6_EEENSO_IJSG_SG_EEES6_PlJS6_EEE10hipError_tPvRmT3_T4_T5_T6_T7_T9_mT8_P12ihipStream_tbDpT10_ENKUlT_T0_E_clISt17integral_constantIbLb1EES1A_IbLb0EEEEDaS16_S17_EUlS16_E_NS1_11comp_targetILNS1_3genE3ELNS1_11target_archE908ELNS1_3gpuE7ELNS1_3repE0EEENS1_30default_config_static_selectorELNS0_4arch9wavefront6targetE0EEEvT1_ ; -- Begin function _ZN7rocprim17ROCPRIM_400000_NS6detail17trampoline_kernelINS0_14default_configENS1_25partition_config_selectorILNS1_17partition_subalgoE5EtNS0_10empty_typeEbEEZZNS1_14partition_implILS5_5ELb0ES3_mN6thrust23THRUST_200600_302600_NS6detail15normal_iteratorINSA_10device_ptrItEEEEPS6_NSA_18transform_iteratorINSB_9not_fun_tINSA_8identityItEEEESF_NSA_11use_defaultESM_EENS0_5tupleIJSF_S6_EEENSO_IJSG_SG_EEES6_PlJS6_EEE10hipError_tPvRmT3_T4_T5_T6_T7_T9_mT8_P12ihipStream_tbDpT10_ENKUlT_T0_E_clISt17integral_constantIbLb1EES1A_IbLb0EEEEDaS16_S17_EUlS16_E_NS1_11comp_targetILNS1_3genE3ELNS1_11target_archE908ELNS1_3gpuE7ELNS1_3repE0EEENS1_30default_config_static_selectorELNS0_4arch9wavefront6targetE0EEEvT1_
	.globl	_ZN7rocprim17ROCPRIM_400000_NS6detail17trampoline_kernelINS0_14default_configENS1_25partition_config_selectorILNS1_17partition_subalgoE5EtNS0_10empty_typeEbEEZZNS1_14partition_implILS5_5ELb0ES3_mN6thrust23THRUST_200600_302600_NS6detail15normal_iteratorINSA_10device_ptrItEEEEPS6_NSA_18transform_iteratorINSB_9not_fun_tINSA_8identityItEEEESF_NSA_11use_defaultESM_EENS0_5tupleIJSF_S6_EEENSO_IJSG_SG_EEES6_PlJS6_EEE10hipError_tPvRmT3_T4_T5_T6_T7_T9_mT8_P12ihipStream_tbDpT10_ENKUlT_T0_E_clISt17integral_constantIbLb1EES1A_IbLb0EEEEDaS16_S17_EUlS16_E_NS1_11comp_targetILNS1_3genE3ELNS1_11target_archE908ELNS1_3gpuE7ELNS1_3repE0EEENS1_30default_config_static_selectorELNS0_4arch9wavefront6targetE0EEEvT1_
	.p2align	8
	.type	_ZN7rocprim17ROCPRIM_400000_NS6detail17trampoline_kernelINS0_14default_configENS1_25partition_config_selectorILNS1_17partition_subalgoE5EtNS0_10empty_typeEbEEZZNS1_14partition_implILS5_5ELb0ES3_mN6thrust23THRUST_200600_302600_NS6detail15normal_iteratorINSA_10device_ptrItEEEEPS6_NSA_18transform_iteratorINSB_9not_fun_tINSA_8identityItEEEESF_NSA_11use_defaultESM_EENS0_5tupleIJSF_S6_EEENSO_IJSG_SG_EEES6_PlJS6_EEE10hipError_tPvRmT3_T4_T5_T6_T7_T9_mT8_P12ihipStream_tbDpT10_ENKUlT_T0_E_clISt17integral_constantIbLb1EES1A_IbLb0EEEEDaS16_S17_EUlS16_E_NS1_11comp_targetILNS1_3genE3ELNS1_11target_archE908ELNS1_3gpuE7ELNS1_3repE0EEENS1_30default_config_static_selectorELNS0_4arch9wavefront6targetE0EEEvT1_,@function
_ZN7rocprim17ROCPRIM_400000_NS6detail17trampoline_kernelINS0_14default_configENS1_25partition_config_selectorILNS1_17partition_subalgoE5EtNS0_10empty_typeEbEEZZNS1_14partition_implILS5_5ELb0ES3_mN6thrust23THRUST_200600_302600_NS6detail15normal_iteratorINSA_10device_ptrItEEEEPS6_NSA_18transform_iteratorINSB_9not_fun_tINSA_8identityItEEEESF_NSA_11use_defaultESM_EENS0_5tupleIJSF_S6_EEENSO_IJSG_SG_EEES6_PlJS6_EEE10hipError_tPvRmT3_T4_T5_T6_T7_T9_mT8_P12ihipStream_tbDpT10_ENKUlT_T0_E_clISt17integral_constantIbLb1EES1A_IbLb0EEEEDaS16_S17_EUlS16_E_NS1_11comp_targetILNS1_3genE3ELNS1_11target_archE908ELNS1_3gpuE7ELNS1_3repE0EEENS1_30default_config_static_selectorELNS0_4arch9wavefront6targetE0EEEvT1_: ; @_ZN7rocprim17ROCPRIM_400000_NS6detail17trampoline_kernelINS0_14default_configENS1_25partition_config_selectorILNS1_17partition_subalgoE5EtNS0_10empty_typeEbEEZZNS1_14partition_implILS5_5ELb0ES3_mN6thrust23THRUST_200600_302600_NS6detail15normal_iteratorINSA_10device_ptrItEEEEPS6_NSA_18transform_iteratorINSB_9not_fun_tINSA_8identityItEEEESF_NSA_11use_defaultESM_EENS0_5tupleIJSF_S6_EEENSO_IJSG_SG_EEES6_PlJS6_EEE10hipError_tPvRmT3_T4_T5_T6_T7_T9_mT8_P12ihipStream_tbDpT10_ENKUlT_T0_E_clISt17integral_constantIbLb1EES1A_IbLb0EEEEDaS16_S17_EUlS16_E_NS1_11comp_targetILNS1_3genE3ELNS1_11target_archE908ELNS1_3gpuE7ELNS1_3repE0EEENS1_30default_config_static_selectorELNS0_4arch9wavefront6targetE0EEEvT1_
; %bb.0:
	.section	.rodata,"a",@progbits
	.p2align	6, 0x0
	.amdhsa_kernel _ZN7rocprim17ROCPRIM_400000_NS6detail17trampoline_kernelINS0_14default_configENS1_25partition_config_selectorILNS1_17partition_subalgoE5EtNS0_10empty_typeEbEEZZNS1_14partition_implILS5_5ELb0ES3_mN6thrust23THRUST_200600_302600_NS6detail15normal_iteratorINSA_10device_ptrItEEEEPS6_NSA_18transform_iteratorINSB_9not_fun_tINSA_8identityItEEEESF_NSA_11use_defaultESM_EENS0_5tupleIJSF_S6_EEENSO_IJSG_SG_EEES6_PlJS6_EEE10hipError_tPvRmT3_T4_T5_T6_T7_T9_mT8_P12ihipStream_tbDpT10_ENKUlT_T0_E_clISt17integral_constantIbLb1EES1A_IbLb0EEEEDaS16_S17_EUlS16_E_NS1_11comp_targetILNS1_3genE3ELNS1_11target_archE908ELNS1_3gpuE7ELNS1_3repE0EEENS1_30default_config_static_selectorELNS0_4arch9wavefront6targetE0EEEvT1_
		.amdhsa_group_segment_fixed_size 0
		.amdhsa_private_segment_fixed_size 0
		.amdhsa_kernarg_size 120
		.amdhsa_user_sgpr_count 2
		.amdhsa_user_sgpr_dispatch_ptr 0
		.amdhsa_user_sgpr_queue_ptr 0
		.amdhsa_user_sgpr_kernarg_segment_ptr 1
		.amdhsa_user_sgpr_dispatch_id 0
		.amdhsa_user_sgpr_private_segment_size 0
		.amdhsa_wavefront_size32 1
		.amdhsa_uses_dynamic_stack 0
		.amdhsa_enable_private_segment 0
		.amdhsa_system_sgpr_workgroup_id_x 1
		.amdhsa_system_sgpr_workgroup_id_y 0
		.amdhsa_system_sgpr_workgroup_id_z 0
		.amdhsa_system_sgpr_workgroup_info 0
		.amdhsa_system_vgpr_workitem_id 0
		.amdhsa_next_free_vgpr 1
		.amdhsa_next_free_sgpr 1
		.amdhsa_reserve_vcc 0
		.amdhsa_float_round_mode_32 0
		.amdhsa_float_round_mode_16_64 0
		.amdhsa_float_denorm_mode_32 3
		.amdhsa_float_denorm_mode_16_64 3
		.amdhsa_fp16_overflow 0
		.amdhsa_workgroup_processor_mode 1
		.amdhsa_memory_ordered 1
		.amdhsa_forward_progress 1
		.amdhsa_inst_pref_size 0
		.amdhsa_round_robin_scheduling 0
		.amdhsa_exception_fp_ieee_invalid_op 0
		.amdhsa_exception_fp_denorm_src 0
		.amdhsa_exception_fp_ieee_div_zero 0
		.amdhsa_exception_fp_ieee_overflow 0
		.amdhsa_exception_fp_ieee_underflow 0
		.amdhsa_exception_fp_ieee_inexact 0
		.amdhsa_exception_int_div_zero 0
	.end_amdhsa_kernel
	.section	.text._ZN7rocprim17ROCPRIM_400000_NS6detail17trampoline_kernelINS0_14default_configENS1_25partition_config_selectorILNS1_17partition_subalgoE5EtNS0_10empty_typeEbEEZZNS1_14partition_implILS5_5ELb0ES3_mN6thrust23THRUST_200600_302600_NS6detail15normal_iteratorINSA_10device_ptrItEEEEPS6_NSA_18transform_iteratorINSB_9not_fun_tINSA_8identityItEEEESF_NSA_11use_defaultESM_EENS0_5tupleIJSF_S6_EEENSO_IJSG_SG_EEES6_PlJS6_EEE10hipError_tPvRmT3_T4_T5_T6_T7_T9_mT8_P12ihipStream_tbDpT10_ENKUlT_T0_E_clISt17integral_constantIbLb1EES1A_IbLb0EEEEDaS16_S17_EUlS16_E_NS1_11comp_targetILNS1_3genE3ELNS1_11target_archE908ELNS1_3gpuE7ELNS1_3repE0EEENS1_30default_config_static_selectorELNS0_4arch9wavefront6targetE0EEEvT1_,"axG",@progbits,_ZN7rocprim17ROCPRIM_400000_NS6detail17trampoline_kernelINS0_14default_configENS1_25partition_config_selectorILNS1_17partition_subalgoE5EtNS0_10empty_typeEbEEZZNS1_14partition_implILS5_5ELb0ES3_mN6thrust23THRUST_200600_302600_NS6detail15normal_iteratorINSA_10device_ptrItEEEEPS6_NSA_18transform_iteratorINSB_9not_fun_tINSA_8identityItEEEESF_NSA_11use_defaultESM_EENS0_5tupleIJSF_S6_EEENSO_IJSG_SG_EEES6_PlJS6_EEE10hipError_tPvRmT3_T4_T5_T6_T7_T9_mT8_P12ihipStream_tbDpT10_ENKUlT_T0_E_clISt17integral_constantIbLb1EES1A_IbLb0EEEEDaS16_S17_EUlS16_E_NS1_11comp_targetILNS1_3genE3ELNS1_11target_archE908ELNS1_3gpuE7ELNS1_3repE0EEENS1_30default_config_static_selectorELNS0_4arch9wavefront6targetE0EEEvT1_,comdat
.Lfunc_end936:
	.size	_ZN7rocprim17ROCPRIM_400000_NS6detail17trampoline_kernelINS0_14default_configENS1_25partition_config_selectorILNS1_17partition_subalgoE5EtNS0_10empty_typeEbEEZZNS1_14partition_implILS5_5ELb0ES3_mN6thrust23THRUST_200600_302600_NS6detail15normal_iteratorINSA_10device_ptrItEEEEPS6_NSA_18transform_iteratorINSB_9not_fun_tINSA_8identityItEEEESF_NSA_11use_defaultESM_EENS0_5tupleIJSF_S6_EEENSO_IJSG_SG_EEES6_PlJS6_EEE10hipError_tPvRmT3_T4_T5_T6_T7_T9_mT8_P12ihipStream_tbDpT10_ENKUlT_T0_E_clISt17integral_constantIbLb1EES1A_IbLb0EEEEDaS16_S17_EUlS16_E_NS1_11comp_targetILNS1_3genE3ELNS1_11target_archE908ELNS1_3gpuE7ELNS1_3repE0EEENS1_30default_config_static_selectorELNS0_4arch9wavefront6targetE0EEEvT1_, .Lfunc_end936-_ZN7rocprim17ROCPRIM_400000_NS6detail17trampoline_kernelINS0_14default_configENS1_25partition_config_selectorILNS1_17partition_subalgoE5EtNS0_10empty_typeEbEEZZNS1_14partition_implILS5_5ELb0ES3_mN6thrust23THRUST_200600_302600_NS6detail15normal_iteratorINSA_10device_ptrItEEEEPS6_NSA_18transform_iteratorINSB_9not_fun_tINSA_8identityItEEEESF_NSA_11use_defaultESM_EENS0_5tupleIJSF_S6_EEENSO_IJSG_SG_EEES6_PlJS6_EEE10hipError_tPvRmT3_T4_T5_T6_T7_T9_mT8_P12ihipStream_tbDpT10_ENKUlT_T0_E_clISt17integral_constantIbLb1EES1A_IbLb0EEEEDaS16_S17_EUlS16_E_NS1_11comp_targetILNS1_3genE3ELNS1_11target_archE908ELNS1_3gpuE7ELNS1_3repE0EEENS1_30default_config_static_selectorELNS0_4arch9wavefront6targetE0EEEvT1_
                                        ; -- End function
	.set _ZN7rocprim17ROCPRIM_400000_NS6detail17trampoline_kernelINS0_14default_configENS1_25partition_config_selectorILNS1_17partition_subalgoE5EtNS0_10empty_typeEbEEZZNS1_14partition_implILS5_5ELb0ES3_mN6thrust23THRUST_200600_302600_NS6detail15normal_iteratorINSA_10device_ptrItEEEEPS6_NSA_18transform_iteratorINSB_9not_fun_tINSA_8identityItEEEESF_NSA_11use_defaultESM_EENS0_5tupleIJSF_S6_EEENSO_IJSG_SG_EEES6_PlJS6_EEE10hipError_tPvRmT3_T4_T5_T6_T7_T9_mT8_P12ihipStream_tbDpT10_ENKUlT_T0_E_clISt17integral_constantIbLb1EES1A_IbLb0EEEEDaS16_S17_EUlS16_E_NS1_11comp_targetILNS1_3genE3ELNS1_11target_archE908ELNS1_3gpuE7ELNS1_3repE0EEENS1_30default_config_static_selectorELNS0_4arch9wavefront6targetE0EEEvT1_.num_vgpr, 0
	.set _ZN7rocprim17ROCPRIM_400000_NS6detail17trampoline_kernelINS0_14default_configENS1_25partition_config_selectorILNS1_17partition_subalgoE5EtNS0_10empty_typeEbEEZZNS1_14partition_implILS5_5ELb0ES3_mN6thrust23THRUST_200600_302600_NS6detail15normal_iteratorINSA_10device_ptrItEEEEPS6_NSA_18transform_iteratorINSB_9not_fun_tINSA_8identityItEEEESF_NSA_11use_defaultESM_EENS0_5tupleIJSF_S6_EEENSO_IJSG_SG_EEES6_PlJS6_EEE10hipError_tPvRmT3_T4_T5_T6_T7_T9_mT8_P12ihipStream_tbDpT10_ENKUlT_T0_E_clISt17integral_constantIbLb1EES1A_IbLb0EEEEDaS16_S17_EUlS16_E_NS1_11comp_targetILNS1_3genE3ELNS1_11target_archE908ELNS1_3gpuE7ELNS1_3repE0EEENS1_30default_config_static_selectorELNS0_4arch9wavefront6targetE0EEEvT1_.num_agpr, 0
	.set _ZN7rocprim17ROCPRIM_400000_NS6detail17trampoline_kernelINS0_14default_configENS1_25partition_config_selectorILNS1_17partition_subalgoE5EtNS0_10empty_typeEbEEZZNS1_14partition_implILS5_5ELb0ES3_mN6thrust23THRUST_200600_302600_NS6detail15normal_iteratorINSA_10device_ptrItEEEEPS6_NSA_18transform_iteratorINSB_9not_fun_tINSA_8identityItEEEESF_NSA_11use_defaultESM_EENS0_5tupleIJSF_S6_EEENSO_IJSG_SG_EEES6_PlJS6_EEE10hipError_tPvRmT3_T4_T5_T6_T7_T9_mT8_P12ihipStream_tbDpT10_ENKUlT_T0_E_clISt17integral_constantIbLb1EES1A_IbLb0EEEEDaS16_S17_EUlS16_E_NS1_11comp_targetILNS1_3genE3ELNS1_11target_archE908ELNS1_3gpuE7ELNS1_3repE0EEENS1_30default_config_static_selectorELNS0_4arch9wavefront6targetE0EEEvT1_.numbered_sgpr, 0
	.set _ZN7rocprim17ROCPRIM_400000_NS6detail17trampoline_kernelINS0_14default_configENS1_25partition_config_selectorILNS1_17partition_subalgoE5EtNS0_10empty_typeEbEEZZNS1_14partition_implILS5_5ELb0ES3_mN6thrust23THRUST_200600_302600_NS6detail15normal_iteratorINSA_10device_ptrItEEEEPS6_NSA_18transform_iteratorINSB_9not_fun_tINSA_8identityItEEEESF_NSA_11use_defaultESM_EENS0_5tupleIJSF_S6_EEENSO_IJSG_SG_EEES6_PlJS6_EEE10hipError_tPvRmT3_T4_T5_T6_T7_T9_mT8_P12ihipStream_tbDpT10_ENKUlT_T0_E_clISt17integral_constantIbLb1EES1A_IbLb0EEEEDaS16_S17_EUlS16_E_NS1_11comp_targetILNS1_3genE3ELNS1_11target_archE908ELNS1_3gpuE7ELNS1_3repE0EEENS1_30default_config_static_selectorELNS0_4arch9wavefront6targetE0EEEvT1_.num_named_barrier, 0
	.set _ZN7rocprim17ROCPRIM_400000_NS6detail17trampoline_kernelINS0_14default_configENS1_25partition_config_selectorILNS1_17partition_subalgoE5EtNS0_10empty_typeEbEEZZNS1_14partition_implILS5_5ELb0ES3_mN6thrust23THRUST_200600_302600_NS6detail15normal_iteratorINSA_10device_ptrItEEEEPS6_NSA_18transform_iteratorINSB_9not_fun_tINSA_8identityItEEEESF_NSA_11use_defaultESM_EENS0_5tupleIJSF_S6_EEENSO_IJSG_SG_EEES6_PlJS6_EEE10hipError_tPvRmT3_T4_T5_T6_T7_T9_mT8_P12ihipStream_tbDpT10_ENKUlT_T0_E_clISt17integral_constantIbLb1EES1A_IbLb0EEEEDaS16_S17_EUlS16_E_NS1_11comp_targetILNS1_3genE3ELNS1_11target_archE908ELNS1_3gpuE7ELNS1_3repE0EEENS1_30default_config_static_selectorELNS0_4arch9wavefront6targetE0EEEvT1_.private_seg_size, 0
	.set _ZN7rocprim17ROCPRIM_400000_NS6detail17trampoline_kernelINS0_14default_configENS1_25partition_config_selectorILNS1_17partition_subalgoE5EtNS0_10empty_typeEbEEZZNS1_14partition_implILS5_5ELb0ES3_mN6thrust23THRUST_200600_302600_NS6detail15normal_iteratorINSA_10device_ptrItEEEEPS6_NSA_18transform_iteratorINSB_9not_fun_tINSA_8identityItEEEESF_NSA_11use_defaultESM_EENS0_5tupleIJSF_S6_EEENSO_IJSG_SG_EEES6_PlJS6_EEE10hipError_tPvRmT3_T4_T5_T6_T7_T9_mT8_P12ihipStream_tbDpT10_ENKUlT_T0_E_clISt17integral_constantIbLb1EES1A_IbLb0EEEEDaS16_S17_EUlS16_E_NS1_11comp_targetILNS1_3genE3ELNS1_11target_archE908ELNS1_3gpuE7ELNS1_3repE0EEENS1_30default_config_static_selectorELNS0_4arch9wavefront6targetE0EEEvT1_.uses_vcc, 0
	.set _ZN7rocprim17ROCPRIM_400000_NS6detail17trampoline_kernelINS0_14default_configENS1_25partition_config_selectorILNS1_17partition_subalgoE5EtNS0_10empty_typeEbEEZZNS1_14partition_implILS5_5ELb0ES3_mN6thrust23THRUST_200600_302600_NS6detail15normal_iteratorINSA_10device_ptrItEEEEPS6_NSA_18transform_iteratorINSB_9not_fun_tINSA_8identityItEEEESF_NSA_11use_defaultESM_EENS0_5tupleIJSF_S6_EEENSO_IJSG_SG_EEES6_PlJS6_EEE10hipError_tPvRmT3_T4_T5_T6_T7_T9_mT8_P12ihipStream_tbDpT10_ENKUlT_T0_E_clISt17integral_constantIbLb1EES1A_IbLb0EEEEDaS16_S17_EUlS16_E_NS1_11comp_targetILNS1_3genE3ELNS1_11target_archE908ELNS1_3gpuE7ELNS1_3repE0EEENS1_30default_config_static_selectorELNS0_4arch9wavefront6targetE0EEEvT1_.uses_flat_scratch, 0
	.set _ZN7rocprim17ROCPRIM_400000_NS6detail17trampoline_kernelINS0_14default_configENS1_25partition_config_selectorILNS1_17partition_subalgoE5EtNS0_10empty_typeEbEEZZNS1_14partition_implILS5_5ELb0ES3_mN6thrust23THRUST_200600_302600_NS6detail15normal_iteratorINSA_10device_ptrItEEEEPS6_NSA_18transform_iteratorINSB_9not_fun_tINSA_8identityItEEEESF_NSA_11use_defaultESM_EENS0_5tupleIJSF_S6_EEENSO_IJSG_SG_EEES6_PlJS6_EEE10hipError_tPvRmT3_T4_T5_T6_T7_T9_mT8_P12ihipStream_tbDpT10_ENKUlT_T0_E_clISt17integral_constantIbLb1EES1A_IbLb0EEEEDaS16_S17_EUlS16_E_NS1_11comp_targetILNS1_3genE3ELNS1_11target_archE908ELNS1_3gpuE7ELNS1_3repE0EEENS1_30default_config_static_selectorELNS0_4arch9wavefront6targetE0EEEvT1_.has_dyn_sized_stack, 0
	.set _ZN7rocprim17ROCPRIM_400000_NS6detail17trampoline_kernelINS0_14default_configENS1_25partition_config_selectorILNS1_17partition_subalgoE5EtNS0_10empty_typeEbEEZZNS1_14partition_implILS5_5ELb0ES3_mN6thrust23THRUST_200600_302600_NS6detail15normal_iteratorINSA_10device_ptrItEEEEPS6_NSA_18transform_iteratorINSB_9not_fun_tINSA_8identityItEEEESF_NSA_11use_defaultESM_EENS0_5tupleIJSF_S6_EEENSO_IJSG_SG_EEES6_PlJS6_EEE10hipError_tPvRmT3_T4_T5_T6_T7_T9_mT8_P12ihipStream_tbDpT10_ENKUlT_T0_E_clISt17integral_constantIbLb1EES1A_IbLb0EEEEDaS16_S17_EUlS16_E_NS1_11comp_targetILNS1_3genE3ELNS1_11target_archE908ELNS1_3gpuE7ELNS1_3repE0EEENS1_30default_config_static_selectorELNS0_4arch9wavefront6targetE0EEEvT1_.has_recursion, 0
	.set _ZN7rocprim17ROCPRIM_400000_NS6detail17trampoline_kernelINS0_14default_configENS1_25partition_config_selectorILNS1_17partition_subalgoE5EtNS0_10empty_typeEbEEZZNS1_14partition_implILS5_5ELb0ES3_mN6thrust23THRUST_200600_302600_NS6detail15normal_iteratorINSA_10device_ptrItEEEEPS6_NSA_18transform_iteratorINSB_9not_fun_tINSA_8identityItEEEESF_NSA_11use_defaultESM_EENS0_5tupleIJSF_S6_EEENSO_IJSG_SG_EEES6_PlJS6_EEE10hipError_tPvRmT3_T4_T5_T6_T7_T9_mT8_P12ihipStream_tbDpT10_ENKUlT_T0_E_clISt17integral_constantIbLb1EES1A_IbLb0EEEEDaS16_S17_EUlS16_E_NS1_11comp_targetILNS1_3genE3ELNS1_11target_archE908ELNS1_3gpuE7ELNS1_3repE0EEENS1_30default_config_static_selectorELNS0_4arch9wavefront6targetE0EEEvT1_.has_indirect_call, 0
	.section	.AMDGPU.csdata,"",@progbits
; Kernel info:
; codeLenInByte = 0
; TotalNumSgprs: 0
; NumVgprs: 0
; ScratchSize: 0
; MemoryBound: 0
; FloatMode: 240
; IeeeMode: 1
; LDSByteSize: 0 bytes/workgroup (compile time only)
; SGPRBlocks: 0
; VGPRBlocks: 0
; NumSGPRsForWavesPerEU: 1
; NumVGPRsForWavesPerEU: 1
; Occupancy: 16
; WaveLimiterHint : 0
; COMPUTE_PGM_RSRC2:SCRATCH_EN: 0
; COMPUTE_PGM_RSRC2:USER_SGPR: 2
; COMPUTE_PGM_RSRC2:TRAP_HANDLER: 0
; COMPUTE_PGM_RSRC2:TGID_X_EN: 1
; COMPUTE_PGM_RSRC2:TGID_Y_EN: 0
; COMPUTE_PGM_RSRC2:TGID_Z_EN: 0
; COMPUTE_PGM_RSRC2:TIDIG_COMP_CNT: 0
	.section	.text._ZN7rocprim17ROCPRIM_400000_NS6detail17trampoline_kernelINS0_14default_configENS1_25partition_config_selectorILNS1_17partition_subalgoE5EtNS0_10empty_typeEbEEZZNS1_14partition_implILS5_5ELb0ES3_mN6thrust23THRUST_200600_302600_NS6detail15normal_iteratorINSA_10device_ptrItEEEEPS6_NSA_18transform_iteratorINSB_9not_fun_tINSA_8identityItEEEESF_NSA_11use_defaultESM_EENS0_5tupleIJSF_S6_EEENSO_IJSG_SG_EEES6_PlJS6_EEE10hipError_tPvRmT3_T4_T5_T6_T7_T9_mT8_P12ihipStream_tbDpT10_ENKUlT_T0_E_clISt17integral_constantIbLb1EES1A_IbLb0EEEEDaS16_S17_EUlS16_E_NS1_11comp_targetILNS1_3genE2ELNS1_11target_archE906ELNS1_3gpuE6ELNS1_3repE0EEENS1_30default_config_static_selectorELNS0_4arch9wavefront6targetE0EEEvT1_,"axG",@progbits,_ZN7rocprim17ROCPRIM_400000_NS6detail17trampoline_kernelINS0_14default_configENS1_25partition_config_selectorILNS1_17partition_subalgoE5EtNS0_10empty_typeEbEEZZNS1_14partition_implILS5_5ELb0ES3_mN6thrust23THRUST_200600_302600_NS6detail15normal_iteratorINSA_10device_ptrItEEEEPS6_NSA_18transform_iteratorINSB_9not_fun_tINSA_8identityItEEEESF_NSA_11use_defaultESM_EENS0_5tupleIJSF_S6_EEENSO_IJSG_SG_EEES6_PlJS6_EEE10hipError_tPvRmT3_T4_T5_T6_T7_T9_mT8_P12ihipStream_tbDpT10_ENKUlT_T0_E_clISt17integral_constantIbLb1EES1A_IbLb0EEEEDaS16_S17_EUlS16_E_NS1_11comp_targetILNS1_3genE2ELNS1_11target_archE906ELNS1_3gpuE6ELNS1_3repE0EEENS1_30default_config_static_selectorELNS0_4arch9wavefront6targetE0EEEvT1_,comdat
	.protected	_ZN7rocprim17ROCPRIM_400000_NS6detail17trampoline_kernelINS0_14default_configENS1_25partition_config_selectorILNS1_17partition_subalgoE5EtNS0_10empty_typeEbEEZZNS1_14partition_implILS5_5ELb0ES3_mN6thrust23THRUST_200600_302600_NS6detail15normal_iteratorINSA_10device_ptrItEEEEPS6_NSA_18transform_iteratorINSB_9not_fun_tINSA_8identityItEEEESF_NSA_11use_defaultESM_EENS0_5tupleIJSF_S6_EEENSO_IJSG_SG_EEES6_PlJS6_EEE10hipError_tPvRmT3_T4_T5_T6_T7_T9_mT8_P12ihipStream_tbDpT10_ENKUlT_T0_E_clISt17integral_constantIbLb1EES1A_IbLb0EEEEDaS16_S17_EUlS16_E_NS1_11comp_targetILNS1_3genE2ELNS1_11target_archE906ELNS1_3gpuE6ELNS1_3repE0EEENS1_30default_config_static_selectorELNS0_4arch9wavefront6targetE0EEEvT1_ ; -- Begin function _ZN7rocprim17ROCPRIM_400000_NS6detail17trampoline_kernelINS0_14default_configENS1_25partition_config_selectorILNS1_17partition_subalgoE5EtNS0_10empty_typeEbEEZZNS1_14partition_implILS5_5ELb0ES3_mN6thrust23THRUST_200600_302600_NS6detail15normal_iteratorINSA_10device_ptrItEEEEPS6_NSA_18transform_iteratorINSB_9not_fun_tINSA_8identityItEEEESF_NSA_11use_defaultESM_EENS0_5tupleIJSF_S6_EEENSO_IJSG_SG_EEES6_PlJS6_EEE10hipError_tPvRmT3_T4_T5_T6_T7_T9_mT8_P12ihipStream_tbDpT10_ENKUlT_T0_E_clISt17integral_constantIbLb1EES1A_IbLb0EEEEDaS16_S17_EUlS16_E_NS1_11comp_targetILNS1_3genE2ELNS1_11target_archE906ELNS1_3gpuE6ELNS1_3repE0EEENS1_30default_config_static_selectorELNS0_4arch9wavefront6targetE0EEEvT1_
	.globl	_ZN7rocprim17ROCPRIM_400000_NS6detail17trampoline_kernelINS0_14default_configENS1_25partition_config_selectorILNS1_17partition_subalgoE5EtNS0_10empty_typeEbEEZZNS1_14partition_implILS5_5ELb0ES3_mN6thrust23THRUST_200600_302600_NS6detail15normal_iteratorINSA_10device_ptrItEEEEPS6_NSA_18transform_iteratorINSB_9not_fun_tINSA_8identityItEEEESF_NSA_11use_defaultESM_EENS0_5tupleIJSF_S6_EEENSO_IJSG_SG_EEES6_PlJS6_EEE10hipError_tPvRmT3_T4_T5_T6_T7_T9_mT8_P12ihipStream_tbDpT10_ENKUlT_T0_E_clISt17integral_constantIbLb1EES1A_IbLb0EEEEDaS16_S17_EUlS16_E_NS1_11comp_targetILNS1_3genE2ELNS1_11target_archE906ELNS1_3gpuE6ELNS1_3repE0EEENS1_30default_config_static_selectorELNS0_4arch9wavefront6targetE0EEEvT1_
	.p2align	8
	.type	_ZN7rocprim17ROCPRIM_400000_NS6detail17trampoline_kernelINS0_14default_configENS1_25partition_config_selectorILNS1_17partition_subalgoE5EtNS0_10empty_typeEbEEZZNS1_14partition_implILS5_5ELb0ES3_mN6thrust23THRUST_200600_302600_NS6detail15normal_iteratorINSA_10device_ptrItEEEEPS6_NSA_18transform_iteratorINSB_9not_fun_tINSA_8identityItEEEESF_NSA_11use_defaultESM_EENS0_5tupleIJSF_S6_EEENSO_IJSG_SG_EEES6_PlJS6_EEE10hipError_tPvRmT3_T4_T5_T6_T7_T9_mT8_P12ihipStream_tbDpT10_ENKUlT_T0_E_clISt17integral_constantIbLb1EES1A_IbLb0EEEEDaS16_S17_EUlS16_E_NS1_11comp_targetILNS1_3genE2ELNS1_11target_archE906ELNS1_3gpuE6ELNS1_3repE0EEENS1_30default_config_static_selectorELNS0_4arch9wavefront6targetE0EEEvT1_,@function
_ZN7rocprim17ROCPRIM_400000_NS6detail17trampoline_kernelINS0_14default_configENS1_25partition_config_selectorILNS1_17partition_subalgoE5EtNS0_10empty_typeEbEEZZNS1_14partition_implILS5_5ELb0ES3_mN6thrust23THRUST_200600_302600_NS6detail15normal_iteratorINSA_10device_ptrItEEEEPS6_NSA_18transform_iteratorINSB_9not_fun_tINSA_8identityItEEEESF_NSA_11use_defaultESM_EENS0_5tupleIJSF_S6_EEENSO_IJSG_SG_EEES6_PlJS6_EEE10hipError_tPvRmT3_T4_T5_T6_T7_T9_mT8_P12ihipStream_tbDpT10_ENKUlT_T0_E_clISt17integral_constantIbLb1EES1A_IbLb0EEEEDaS16_S17_EUlS16_E_NS1_11comp_targetILNS1_3genE2ELNS1_11target_archE906ELNS1_3gpuE6ELNS1_3repE0EEENS1_30default_config_static_selectorELNS0_4arch9wavefront6targetE0EEEvT1_: ; @_ZN7rocprim17ROCPRIM_400000_NS6detail17trampoline_kernelINS0_14default_configENS1_25partition_config_selectorILNS1_17partition_subalgoE5EtNS0_10empty_typeEbEEZZNS1_14partition_implILS5_5ELb0ES3_mN6thrust23THRUST_200600_302600_NS6detail15normal_iteratorINSA_10device_ptrItEEEEPS6_NSA_18transform_iteratorINSB_9not_fun_tINSA_8identityItEEEESF_NSA_11use_defaultESM_EENS0_5tupleIJSF_S6_EEENSO_IJSG_SG_EEES6_PlJS6_EEE10hipError_tPvRmT3_T4_T5_T6_T7_T9_mT8_P12ihipStream_tbDpT10_ENKUlT_T0_E_clISt17integral_constantIbLb1EES1A_IbLb0EEEEDaS16_S17_EUlS16_E_NS1_11comp_targetILNS1_3genE2ELNS1_11target_archE906ELNS1_3gpuE6ELNS1_3repE0EEENS1_30default_config_static_selectorELNS0_4arch9wavefront6targetE0EEEvT1_
; %bb.0:
	.section	.rodata,"a",@progbits
	.p2align	6, 0x0
	.amdhsa_kernel _ZN7rocprim17ROCPRIM_400000_NS6detail17trampoline_kernelINS0_14default_configENS1_25partition_config_selectorILNS1_17partition_subalgoE5EtNS0_10empty_typeEbEEZZNS1_14partition_implILS5_5ELb0ES3_mN6thrust23THRUST_200600_302600_NS6detail15normal_iteratorINSA_10device_ptrItEEEEPS6_NSA_18transform_iteratorINSB_9not_fun_tINSA_8identityItEEEESF_NSA_11use_defaultESM_EENS0_5tupleIJSF_S6_EEENSO_IJSG_SG_EEES6_PlJS6_EEE10hipError_tPvRmT3_T4_T5_T6_T7_T9_mT8_P12ihipStream_tbDpT10_ENKUlT_T0_E_clISt17integral_constantIbLb1EES1A_IbLb0EEEEDaS16_S17_EUlS16_E_NS1_11comp_targetILNS1_3genE2ELNS1_11target_archE906ELNS1_3gpuE6ELNS1_3repE0EEENS1_30default_config_static_selectorELNS0_4arch9wavefront6targetE0EEEvT1_
		.amdhsa_group_segment_fixed_size 0
		.amdhsa_private_segment_fixed_size 0
		.amdhsa_kernarg_size 120
		.amdhsa_user_sgpr_count 2
		.amdhsa_user_sgpr_dispatch_ptr 0
		.amdhsa_user_sgpr_queue_ptr 0
		.amdhsa_user_sgpr_kernarg_segment_ptr 1
		.amdhsa_user_sgpr_dispatch_id 0
		.amdhsa_user_sgpr_private_segment_size 0
		.amdhsa_wavefront_size32 1
		.amdhsa_uses_dynamic_stack 0
		.amdhsa_enable_private_segment 0
		.amdhsa_system_sgpr_workgroup_id_x 1
		.amdhsa_system_sgpr_workgroup_id_y 0
		.amdhsa_system_sgpr_workgroup_id_z 0
		.amdhsa_system_sgpr_workgroup_info 0
		.amdhsa_system_vgpr_workitem_id 0
		.amdhsa_next_free_vgpr 1
		.amdhsa_next_free_sgpr 1
		.amdhsa_reserve_vcc 0
		.amdhsa_float_round_mode_32 0
		.amdhsa_float_round_mode_16_64 0
		.amdhsa_float_denorm_mode_32 3
		.amdhsa_float_denorm_mode_16_64 3
		.amdhsa_fp16_overflow 0
		.amdhsa_workgroup_processor_mode 1
		.amdhsa_memory_ordered 1
		.amdhsa_forward_progress 1
		.amdhsa_inst_pref_size 0
		.amdhsa_round_robin_scheduling 0
		.amdhsa_exception_fp_ieee_invalid_op 0
		.amdhsa_exception_fp_denorm_src 0
		.amdhsa_exception_fp_ieee_div_zero 0
		.amdhsa_exception_fp_ieee_overflow 0
		.amdhsa_exception_fp_ieee_underflow 0
		.amdhsa_exception_fp_ieee_inexact 0
		.amdhsa_exception_int_div_zero 0
	.end_amdhsa_kernel
	.section	.text._ZN7rocprim17ROCPRIM_400000_NS6detail17trampoline_kernelINS0_14default_configENS1_25partition_config_selectorILNS1_17partition_subalgoE5EtNS0_10empty_typeEbEEZZNS1_14partition_implILS5_5ELb0ES3_mN6thrust23THRUST_200600_302600_NS6detail15normal_iteratorINSA_10device_ptrItEEEEPS6_NSA_18transform_iteratorINSB_9not_fun_tINSA_8identityItEEEESF_NSA_11use_defaultESM_EENS0_5tupleIJSF_S6_EEENSO_IJSG_SG_EEES6_PlJS6_EEE10hipError_tPvRmT3_T4_T5_T6_T7_T9_mT8_P12ihipStream_tbDpT10_ENKUlT_T0_E_clISt17integral_constantIbLb1EES1A_IbLb0EEEEDaS16_S17_EUlS16_E_NS1_11comp_targetILNS1_3genE2ELNS1_11target_archE906ELNS1_3gpuE6ELNS1_3repE0EEENS1_30default_config_static_selectorELNS0_4arch9wavefront6targetE0EEEvT1_,"axG",@progbits,_ZN7rocprim17ROCPRIM_400000_NS6detail17trampoline_kernelINS0_14default_configENS1_25partition_config_selectorILNS1_17partition_subalgoE5EtNS0_10empty_typeEbEEZZNS1_14partition_implILS5_5ELb0ES3_mN6thrust23THRUST_200600_302600_NS6detail15normal_iteratorINSA_10device_ptrItEEEEPS6_NSA_18transform_iteratorINSB_9not_fun_tINSA_8identityItEEEESF_NSA_11use_defaultESM_EENS0_5tupleIJSF_S6_EEENSO_IJSG_SG_EEES6_PlJS6_EEE10hipError_tPvRmT3_T4_T5_T6_T7_T9_mT8_P12ihipStream_tbDpT10_ENKUlT_T0_E_clISt17integral_constantIbLb1EES1A_IbLb0EEEEDaS16_S17_EUlS16_E_NS1_11comp_targetILNS1_3genE2ELNS1_11target_archE906ELNS1_3gpuE6ELNS1_3repE0EEENS1_30default_config_static_selectorELNS0_4arch9wavefront6targetE0EEEvT1_,comdat
.Lfunc_end937:
	.size	_ZN7rocprim17ROCPRIM_400000_NS6detail17trampoline_kernelINS0_14default_configENS1_25partition_config_selectorILNS1_17partition_subalgoE5EtNS0_10empty_typeEbEEZZNS1_14partition_implILS5_5ELb0ES3_mN6thrust23THRUST_200600_302600_NS6detail15normal_iteratorINSA_10device_ptrItEEEEPS6_NSA_18transform_iteratorINSB_9not_fun_tINSA_8identityItEEEESF_NSA_11use_defaultESM_EENS0_5tupleIJSF_S6_EEENSO_IJSG_SG_EEES6_PlJS6_EEE10hipError_tPvRmT3_T4_T5_T6_T7_T9_mT8_P12ihipStream_tbDpT10_ENKUlT_T0_E_clISt17integral_constantIbLb1EES1A_IbLb0EEEEDaS16_S17_EUlS16_E_NS1_11comp_targetILNS1_3genE2ELNS1_11target_archE906ELNS1_3gpuE6ELNS1_3repE0EEENS1_30default_config_static_selectorELNS0_4arch9wavefront6targetE0EEEvT1_, .Lfunc_end937-_ZN7rocprim17ROCPRIM_400000_NS6detail17trampoline_kernelINS0_14default_configENS1_25partition_config_selectorILNS1_17partition_subalgoE5EtNS0_10empty_typeEbEEZZNS1_14partition_implILS5_5ELb0ES3_mN6thrust23THRUST_200600_302600_NS6detail15normal_iteratorINSA_10device_ptrItEEEEPS6_NSA_18transform_iteratorINSB_9not_fun_tINSA_8identityItEEEESF_NSA_11use_defaultESM_EENS0_5tupleIJSF_S6_EEENSO_IJSG_SG_EEES6_PlJS6_EEE10hipError_tPvRmT3_T4_T5_T6_T7_T9_mT8_P12ihipStream_tbDpT10_ENKUlT_T0_E_clISt17integral_constantIbLb1EES1A_IbLb0EEEEDaS16_S17_EUlS16_E_NS1_11comp_targetILNS1_3genE2ELNS1_11target_archE906ELNS1_3gpuE6ELNS1_3repE0EEENS1_30default_config_static_selectorELNS0_4arch9wavefront6targetE0EEEvT1_
                                        ; -- End function
	.set _ZN7rocprim17ROCPRIM_400000_NS6detail17trampoline_kernelINS0_14default_configENS1_25partition_config_selectorILNS1_17partition_subalgoE5EtNS0_10empty_typeEbEEZZNS1_14partition_implILS5_5ELb0ES3_mN6thrust23THRUST_200600_302600_NS6detail15normal_iteratorINSA_10device_ptrItEEEEPS6_NSA_18transform_iteratorINSB_9not_fun_tINSA_8identityItEEEESF_NSA_11use_defaultESM_EENS0_5tupleIJSF_S6_EEENSO_IJSG_SG_EEES6_PlJS6_EEE10hipError_tPvRmT3_T4_T5_T6_T7_T9_mT8_P12ihipStream_tbDpT10_ENKUlT_T0_E_clISt17integral_constantIbLb1EES1A_IbLb0EEEEDaS16_S17_EUlS16_E_NS1_11comp_targetILNS1_3genE2ELNS1_11target_archE906ELNS1_3gpuE6ELNS1_3repE0EEENS1_30default_config_static_selectorELNS0_4arch9wavefront6targetE0EEEvT1_.num_vgpr, 0
	.set _ZN7rocprim17ROCPRIM_400000_NS6detail17trampoline_kernelINS0_14default_configENS1_25partition_config_selectorILNS1_17partition_subalgoE5EtNS0_10empty_typeEbEEZZNS1_14partition_implILS5_5ELb0ES3_mN6thrust23THRUST_200600_302600_NS6detail15normal_iteratorINSA_10device_ptrItEEEEPS6_NSA_18transform_iteratorINSB_9not_fun_tINSA_8identityItEEEESF_NSA_11use_defaultESM_EENS0_5tupleIJSF_S6_EEENSO_IJSG_SG_EEES6_PlJS6_EEE10hipError_tPvRmT3_T4_T5_T6_T7_T9_mT8_P12ihipStream_tbDpT10_ENKUlT_T0_E_clISt17integral_constantIbLb1EES1A_IbLb0EEEEDaS16_S17_EUlS16_E_NS1_11comp_targetILNS1_3genE2ELNS1_11target_archE906ELNS1_3gpuE6ELNS1_3repE0EEENS1_30default_config_static_selectorELNS0_4arch9wavefront6targetE0EEEvT1_.num_agpr, 0
	.set _ZN7rocprim17ROCPRIM_400000_NS6detail17trampoline_kernelINS0_14default_configENS1_25partition_config_selectorILNS1_17partition_subalgoE5EtNS0_10empty_typeEbEEZZNS1_14partition_implILS5_5ELb0ES3_mN6thrust23THRUST_200600_302600_NS6detail15normal_iteratorINSA_10device_ptrItEEEEPS6_NSA_18transform_iteratorINSB_9not_fun_tINSA_8identityItEEEESF_NSA_11use_defaultESM_EENS0_5tupleIJSF_S6_EEENSO_IJSG_SG_EEES6_PlJS6_EEE10hipError_tPvRmT3_T4_T5_T6_T7_T9_mT8_P12ihipStream_tbDpT10_ENKUlT_T0_E_clISt17integral_constantIbLb1EES1A_IbLb0EEEEDaS16_S17_EUlS16_E_NS1_11comp_targetILNS1_3genE2ELNS1_11target_archE906ELNS1_3gpuE6ELNS1_3repE0EEENS1_30default_config_static_selectorELNS0_4arch9wavefront6targetE0EEEvT1_.numbered_sgpr, 0
	.set _ZN7rocprim17ROCPRIM_400000_NS6detail17trampoline_kernelINS0_14default_configENS1_25partition_config_selectorILNS1_17partition_subalgoE5EtNS0_10empty_typeEbEEZZNS1_14partition_implILS5_5ELb0ES3_mN6thrust23THRUST_200600_302600_NS6detail15normal_iteratorINSA_10device_ptrItEEEEPS6_NSA_18transform_iteratorINSB_9not_fun_tINSA_8identityItEEEESF_NSA_11use_defaultESM_EENS0_5tupleIJSF_S6_EEENSO_IJSG_SG_EEES6_PlJS6_EEE10hipError_tPvRmT3_T4_T5_T6_T7_T9_mT8_P12ihipStream_tbDpT10_ENKUlT_T0_E_clISt17integral_constantIbLb1EES1A_IbLb0EEEEDaS16_S17_EUlS16_E_NS1_11comp_targetILNS1_3genE2ELNS1_11target_archE906ELNS1_3gpuE6ELNS1_3repE0EEENS1_30default_config_static_selectorELNS0_4arch9wavefront6targetE0EEEvT1_.num_named_barrier, 0
	.set _ZN7rocprim17ROCPRIM_400000_NS6detail17trampoline_kernelINS0_14default_configENS1_25partition_config_selectorILNS1_17partition_subalgoE5EtNS0_10empty_typeEbEEZZNS1_14partition_implILS5_5ELb0ES3_mN6thrust23THRUST_200600_302600_NS6detail15normal_iteratorINSA_10device_ptrItEEEEPS6_NSA_18transform_iteratorINSB_9not_fun_tINSA_8identityItEEEESF_NSA_11use_defaultESM_EENS0_5tupleIJSF_S6_EEENSO_IJSG_SG_EEES6_PlJS6_EEE10hipError_tPvRmT3_T4_T5_T6_T7_T9_mT8_P12ihipStream_tbDpT10_ENKUlT_T0_E_clISt17integral_constantIbLb1EES1A_IbLb0EEEEDaS16_S17_EUlS16_E_NS1_11comp_targetILNS1_3genE2ELNS1_11target_archE906ELNS1_3gpuE6ELNS1_3repE0EEENS1_30default_config_static_selectorELNS0_4arch9wavefront6targetE0EEEvT1_.private_seg_size, 0
	.set _ZN7rocprim17ROCPRIM_400000_NS6detail17trampoline_kernelINS0_14default_configENS1_25partition_config_selectorILNS1_17partition_subalgoE5EtNS0_10empty_typeEbEEZZNS1_14partition_implILS5_5ELb0ES3_mN6thrust23THRUST_200600_302600_NS6detail15normal_iteratorINSA_10device_ptrItEEEEPS6_NSA_18transform_iteratorINSB_9not_fun_tINSA_8identityItEEEESF_NSA_11use_defaultESM_EENS0_5tupleIJSF_S6_EEENSO_IJSG_SG_EEES6_PlJS6_EEE10hipError_tPvRmT3_T4_T5_T6_T7_T9_mT8_P12ihipStream_tbDpT10_ENKUlT_T0_E_clISt17integral_constantIbLb1EES1A_IbLb0EEEEDaS16_S17_EUlS16_E_NS1_11comp_targetILNS1_3genE2ELNS1_11target_archE906ELNS1_3gpuE6ELNS1_3repE0EEENS1_30default_config_static_selectorELNS0_4arch9wavefront6targetE0EEEvT1_.uses_vcc, 0
	.set _ZN7rocprim17ROCPRIM_400000_NS6detail17trampoline_kernelINS0_14default_configENS1_25partition_config_selectorILNS1_17partition_subalgoE5EtNS0_10empty_typeEbEEZZNS1_14partition_implILS5_5ELb0ES3_mN6thrust23THRUST_200600_302600_NS6detail15normal_iteratorINSA_10device_ptrItEEEEPS6_NSA_18transform_iteratorINSB_9not_fun_tINSA_8identityItEEEESF_NSA_11use_defaultESM_EENS0_5tupleIJSF_S6_EEENSO_IJSG_SG_EEES6_PlJS6_EEE10hipError_tPvRmT3_T4_T5_T6_T7_T9_mT8_P12ihipStream_tbDpT10_ENKUlT_T0_E_clISt17integral_constantIbLb1EES1A_IbLb0EEEEDaS16_S17_EUlS16_E_NS1_11comp_targetILNS1_3genE2ELNS1_11target_archE906ELNS1_3gpuE6ELNS1_3repE0EEENS1_30default_config_static_selectorELNS0_4arch9wavefront6targetE0EEEvT1_.uses_flat_scratch, 0
	.set _ZN7rocprim17ROCPRIM_400000_NS6detail17trampoline_kernelINS0_14default_configENS1_25partition_config_selectorILNS1_17partition_subalgoE5EtNS0_10empty_typeEbEEZZNS1_14partition_implILS5_5ELb0ES3_mN6thrust23THRUST_200600_302600_NS6detail15normal_iteratorINSA_10device_ptrItEEEEPS6_NSA_18transform_iteratorINSB_9not_fun_tINSA_8identityItEEEESF_NSA_11use_defaultESM_EENS0_5tupleIJSF_S6_EEENSO_IJSG_SG_EEES6_PlJS6_EEE10hipError_tPvRmT3_T4_T5_T6_T7_T9_mT8_P12ihipStream_tbDpT10_ENKUlT_T0_E_clISt17integral_constantIbLb1EES1A_IbLb0EEEEDaS16_S17_EUlS16_E_NS1_11comp_targetILNS1_3genE2ELNS1_11target_archE906ELNS1_3gpuE6ELNS1_3repE0EEENS1_30default_config_static_selectorELNS0_4arch9wavefront6targetE0EEEvT1_.has_dyn_sized_stack, 0
	.set _ZN7rocprim17ROCPRIM_400000_NS6detail17trampoline_kernelINS0_14default_configENS1_25partition_config_selectorILNS1_17partition_subalgoE5EtNS0_10empty_typeEbEEZZNS1_14partition_implILS5_5ELb0ES3_mN6thrust23THRUST_200600_302600_NS6detail15normal_iteratorINSA_10device_ptrItEEEEPS6_NSA_18transform_iteratorINSB_9not_fun_tINSA_8identityItEEEESF_NSA_11use_defaultESM_EENS0_5tupleIJSF_S6_EEENSO_IJSG_SG_EEES6_PlJS6_EEE10hipError_tPvRmT3_T4_T5_T6_T7_T9_mT8_P12ihipStream_tbDpT10_ENKUlT_T0_E_clISt17integral_constantIbLb1EES1A_IbLb0EEEEDaS16_S17_EUlS16_E_NS1_11comp_targetILNS1_3genE2ELNS1_11target_archE906ELNS1_3gpuE6ELNS1_3repE0EEENS1_30default_config_static_selectorELNS0_4arch9wavefront6targetE0EEEvT1_.has_recursion, 0
	.set _ZN7rocprim17ROCPRIM_400000_NS6detail17trampoline_kernelINS0_14default_configENS1_25partition_config_selectorILNS1_17partition_subalgoE5EtNS0_10empty_typeEbEEZZNS1_14partition_implILS5_5ELb0ES3_mN6thrust23THRUST_200600_302600_NS6detail15normal_iteratorINSA_10device_ptrItEEEEPS6_NSA_18transform_iteratorINSB_9not_fun_tINSA_8identityItEEEESF_NSA_11use_defaultESM_EENS0_5tupleIJSF_S6_EEENSO_IJSG_SG_EEES6_PlJS6_EEE10hipError_tPvRmT3_T4_T5_T6_T7_T9_mT8_P12ihipStream_tbDpT10_ENKUlT_T0_E_clISt17integral_constantIbLb1EES1A_IbLb0EEEEDaS16_S17_EUlS16_E_NS1_11comp_targetILNS1_3genE2ELNS1_11target_archE906ELNS1_3gpuE6ELNS1_3repE0EEENS1_30default_config_static_selectorELNS0_4arch9wavefront6targetE0EEEvT1_.has_indirect_call, 0
	.section	.AMDGPU.csdata,"",@progbits
; Kernel info:
; codeLenInByte = 0
; TotalNumSgprs: 0
; NumVgprs: 0
; ScratchSize: 0
; MemoryBound: 0
; FloatMode: 240
; IeeeMode: 1
; LDSByteSize: 0 bytes/workgroup (compile time only)
; SGPRBlocks: 0
; VGPRBlocks: 0
; NumSGPRsForWavesPerEU: 1
; NumVGPRsForWavesPerEU: 1
; Occupancy: 16
; WaveLimiterHint : 0
; COMPUTE_PGM_RSRC2:SCRATCH_EN: 0
; COMPUTE_PGM_RSRC2:USER_SGPR: 2
; COMPUTE_PGM_RSRC2:TRAP_HANDLER: 0
; COMPUTE_PGM_RSRC2:TGID_X_EN: 1
; COMPUTE_PGM_RSRC2:TGID_Y_EN: 0
; COMPUTE_PGM_RSRC2:TGID_Z_EN: 0
; COMPUTE_PGM_RSRC2:TIDIG_COMP_CNT: 0
	.section	.text._ZN7rocprim17ROCPRIM_400000_NS6detail17trampoline_kernelINS0_14default_configENS1_25partition_config_selectorILNS1_17partition_subalgoE5EtNS0_10empty_typeEbEEZZNS1_14partition_implILS5_5ELb0ES3_mN6thrust23THRUST_200600_302600_NS6detail15normal_iteratorINSA_10device_ptrItEEEEPS6_NSA_18transform_iteratorINSB_9not_fun_tINSA_8identityItEEEESF_NSA_11use_defaultESM_EENS0_5tupleIJSF_S6_EEENSO_IJSG_SG_EEES6_PlJS6_EEE10hipError_tPvRmT3_T4_T5_T6_T7_T9_mT8_P12ihipStream_tbDpT10_ENKUlT_T0_E_clISt17integral_constantIbLb1EES1A_IbLb0EEEEDaS16_S17_EUlS16_E_NS1_11comp_targetILNS1_3genE10ELNS1_11target_archE1200ELNS1_3gpuE4ELNS1_3repE0EEENS1_30default_config_static_selectorELNS0_4arch9wavefront6targetE0EEEvT1_,"axG",@progbits,_ZN7rocprim17ROCPRIM_400000_NS6detail17trampoline_kernelINS0_14default_configENS1_25partition_config_selectorILNS1_17partition_subalgoE5EtNS0_10empty_typeEbEEZZNS1_14partition_implILS5_5ELb0ES3_mN6thrust23THRUST_200600_302600_NS6detail15normal_iteratorINSA_10device_ptrItEEEEPS6_NSA_18transform_iteratorINSB_9not_fun_tINSA_8identityItEEEESF_NSA_11use_defaultESM_EENS0_5tupleIJSF_S6_EEENSO_IJSG_SG_EEES6_PlJS6_EEE10hipError_tPvRmT3_T4_T5_T6_T7_T9_mT8_P12ihipStream_tbDpT10_ENKUlT_T0_E_clISt17integral_constantIbLb1EES1A_IbLb0EEEEDaS16_S17_EUlS16_E_NS1_11comp_targetILNS1_3genE10ELNS1_11target_archE1200ELNS1_3gpuE4ELNS1_3repE0EEENS1_30default_config_static_selectorELNS0_4arch9wavefront6targetE0EEEvT1_,comdat
	.protected	_ZN7rocprim17ROCPRIM_400000_NS6detail17trampoline_kernelINS0_14default_configENS1_25partition_config_selectorILNS1_17partition_subalgoE5EtNS0_10empty_typeEbEEZZNS1_14partition_implILS5_5ELb0ES3_mN6thrust23THRUST_200600_302600_NS6detail15normal_iteratorINSA_10device_ptrItEEEEPS6_NSA_18transform_iteratorINSB_9not_fun_tINSA_8identityItEEEESF_NSA_11use_defaultESM_EENS0_5tupleIJSF_S6_EEENSO_IJSG_SG_EEES6_PlJS6_EEE10hipError_tPvRmT3_T4_T5_T6_T7_T9_mT8_P12ihipStream_tbDpT10_ENKUlT_T0_E_clISt17integral_constantIbLb1EES1A_IbLb0EEEEDaS16_S17_EUlS16_E_NS1_11comp_targetILNS1_3genE10ELNS1_11target_archE1200ELNS1_3gpuE4ELNS1_3repE0EEENS1_30default_config_static_selectorELNS0_4arch9wavefront6targetE0EEEvT1_ ; -- Begin function _ZN7rocprim17ROCPRIM_400000_NS6detail17trampoline_kernelINS0_14default_configENS1_25partition_config_selectorILNS1_17partition_subalgoE5EtNS0_10empty_typeEbEEZZNS1_14partition_implILS5_5ELb0ES3_mN6thrust23THRUST_200600_302600_NS6detail15normal_iteratorINSA_10device_ptrItEEEEPS6_NSA_18transform_iteratorINSB_9not_fun_tINSA_8identityItEEEESF_NSA_11use_defaultESM_EENS0_5tupleIJSF_S6_EEENSO_IJSG_SG_EEES6_PlJS6_EEE10hipError_tPvRmT3_T4_T5_T6_T7_T9_mT8_P12ihipStream_tbDpT10_ENKUlT_T0_E_clISt17integral_constantIbLb1EES1A_IbLb0EEEEDaS16_S17_EUlS16_E_NS1_11comp_targetILNS1_3genE10ELNS1_11target_archE1200ELNS1_3gpuE4ELNS1_3repE0EEENS1_30default_config_static_selectorELNS0_4arch9wavefront6targetE0EEEvT1_
	.globl	_ZN7rocprim17ROCPRIM_400000_NS6detail17trampoline_kernelINS0_14default_configENS1_25partition_config_selectorILNS1_17partition_subalgoE5EtNS0_10empty_typeEbEEZZNS1_14partition_implILS5_5ELb0ES3_mN6thrust23THRUST_200600_302600_NS6detail15normal_iteratorINSA_10device_ptrItEEEEPS6_NSA_18transform_iteratorINSB_9not_fun_tINSA_8identityItEEEESF_NSA_11use_defaultESM_EENS0_5tupleIJSF_S6_EEENSO_IJSG_SG_EEES6_PlJS6_EEE10hipError_tPvRmT3_T4_T5_T6_T7_T9_mT8_P12ihipStream_tbDpT10_ENKUlT_T0_E_clISt17integral_constantIbLb1EES1A_IbLb0EEEEDaS16_S17_EUlS16_E_NS1_11comp_targetILNS1_3genE10ELNS1_11target_archE1200ELNS1_3gpuE4ELNS1_3repE0EEENS1_30default_config_static_selectorELNS0_4arch9wavefront6targetE0EEEvT1_
	.p2align	8
	.type	_ZN7rocprim17ROCPRIM_400000_NS6detail17trampoline_kernelINS0_14default_configENS1_25partition_config_selectorILNS1_17partition_subalgoE5EtNS0_10empty_typeEbEEZZNS1_14partition_implILS5_5ELb0ES3_mN6thrust23THRUST_200600_302600_NS6detail15normal_iteratorINSA_10device_ptrItEEEEPS6_NSA_18transform_iteratorINSB_9not_fun_tINSA_8identityItEEEESF_NSA_11use_defaultESM_EENS0_5tupleIJSF_S6_EEENSO_IJSG_SG_EEES6_PlJS6_EEE10hipError_tPvRmT3_T4_T5_T6_T7_T9_mT8_P12ihipStream_tbDpT10_ENKUlT_T0_E_clISt17integral_constantIbLb1EES1A_IbLb0EEEEDaS16_S17_EUlS16_E_NS1_11comp_targetILNS1_3genE10ELNS1_11target_archE1200ELNS1_3gpuE4ELNS1_3repE0EEENS1_30default_config_static_selectorELNS0_4arch9wavefront6targetE0EEEvT1_,@function
_ZN7rocprim17ROCPRIM_400000_NS6detail17trampoline_kernelINS0_14default_configENS1_25partition_config_selectorILNS1_17partition_subalgoE5EtNS0_10empty_typeEbEEZZNS1_14partition_implILS5_5ELb0ES3_mN6thrust23THRUST_200600_302600_NS6detail15normal_iteratorINSA_10device_ptrItEEEEPS6_NSA_18transform_iteratorINSB_9not_fun_tINSA_8identityItEEEESF_NSA_11use_defaultESM_EENS0_5tupleIJSF_S6_EEENSO_IJSG_SG_EEES6_PlJS6_EEE10hipError_tPvRmT3_T4_T5_T6_T7_T9_mT8_P12ihipStream_tbDpT10_ENKUlT_T0_E_clISt17integral_constantIbLb1EES1A_IbLb0EEEEDaS16_S17_EUlS16_E_NS1_11comp_targetILNS1_3genE10ELNS1_11target_archE1200ELNS1_3gpuE4ELNS1_3repE0EEENS1_30default_config_static_selectorELNS0_4arch9wavefront6targetE0EEEvT1_: ; @_ZN7rocprim17ROCPRIM_400000_NS6detail17trampoline_kernelINS0_14default_configENS1_25partition_config_selectorILNS1_17partition_subalgoE5EtNS0_10empty_typeEbEEZZNS1_14partition_implILS5_5ELb0ES3_mN6thrust23THRUST_200600_302600_NS6detail15normal_iteratorINSA_10device_ptrItEEEEPS6_NSA_18transform_iteratorINSB_9not_fun_tINSA_8identityItEEEESF_NSA_11use_defaultESM_EENS0_5tupleIJSF_S6_EEENSO_IJSG_SG_EEES6_PlJS6_EEE10hipError_tPvRmT3_T4_T5_T6_T7_T9_mT8_P12ihipStream_tbDpT10_ENKUlT_T0_E_clISt17integral_constantIbLb1EES1A_IbLb0EEEEDaS16_S17_EUlS16_E_NS1_11comp_targetILNS1_3genE10ELNS1_11target_archE1200ELNS1_3gpuE4ELNS1_3repE0EEENS1_30default_config_static_selectorELNS0_4arch9wavefront6targetE0EEEvT1_
; %bb.0:
	s_endpgm
	.section	.rodata,"a",@progbits
	.p2align	6, 0x0
	.amdhsa_kernel _ZN7rocprim17ROCPRIM_400000_NS6detail17trampoline_kernelINS0_14default_configENS1_25partition_config_selectorILNS1_17partition_subalgoE5EtNS0_10empty_typeEbEEZZNS1_14partition_implILS5_5ELb0ES3_mN6thrust23THRUST_200600_302600_NS6detail15normal_iteratorINSA_10device_ptrItEEEEPS6_NSA_18transform_iteratorINSB_9not_fun_tINSA_8identityItEEEESF_NSA_11use_defaultESM_EENS0_5tupleIJSF_S6_EEENSO_IJSG_SG_EEES6_PlJS6_EEE10hipError_tPvRmT3_T4_T5_T6_T7_T9_mT8_P12ihipStream_tbDpT10_ENKUlT_T0_E_clISt17integral_constantIbLb1EES1A_IbLb0EEEEDaS16_S17_EUlS16_E_NS1_11comp_targetILNS1_3genE10ELNS1_11target_archE1200ELNS1_3gpuE4ELNS1_3repE0EEENS1_30default_config_static_selectorELNS0_4arch9wavefront6targetE0EEEvT1_
		.amdhsa_group_segment_fixed_size 0
		.amdhsa_private_segment_fixed_size 0
		.amdhsa_kernarg_size 120
		.amdhsa_user_sgpr_count 2
		.amdhsa_user_sgpr_dispatch_ptr 0
		.amdhsa_user_sgpr_queue_ptr 0
		.amdhsa_user_sgpr_kernarg_segment_ptr 1
		.amdhsa_user_sgpr_dispatch_id 0
		.amdhsa_user_sgpr_private_segment_size 0
		.amdhsa_wavefront_size32 1
		.amdhsa_uses_dynamic_stack 0
		.amdhsa_enable_private_segment 0
		.amdhsa_system_sgpr_workgroup_id_x 1
		.amdhsa_system_sgpr_workgroup_id_y 0
		.amdhsa_system_sgpr_workgroup_id_z 0
		.amdhsa_system_sgpr_workgroup_info 0
		.amdhsa_system_vgpr_workitem_id 0
		.amdhsa_next_free_vgpr 1
		.amdhsa_next_free_sgpr 1
		.amdhsa_reserve_vcc 0
		.amdhsa_float_round_mode_32 0
		.amdhsa_float_round_mode_16_64 0
		.amdhsa_float_denorm_mode_32 3
		.amdhsa_float_denorm_mode_16_64 3
		.amdhsa_fp16_overflow 0
		.amdhsa_workgroup_processor_mode 1
		.amdhsa_memory_ordered 1
		.amdhsa_forward_progress 1
		.amdhsa_inst_pref_size 1
		.amdhsa_round_robin_scheduling 0
		.amdhsa_exception_fp_ieee_invalid_op 0
		.amdhsa_exception_fp_denorm_src 0
		.amdhsa_exception_fp_ieee_div_zero 0
		.amdhsa_exception_fp_ieee_overflow 0
		.amdhsa_exception_fp_ieee_underflow 0
		.amdhsa_exception_fp_ieee_inexact 0
		.amdhsa_exception_int_div_zero 0
	.end_amdhsa_kernel
	.section	.text._ZN7rocprim17ROCPRIM_400000_NS6detail17trampoline_kernelINS0_14default_configENS1_25partition_config_selectorILNS1_17partition_subalgoE5EtNS0_10empty_typeEbEEZZNS1_14partition_implILS5_5ELb0ES3_mN6thrust23THRUST_200600_302600_NS6detail15normal_iteratorINSA_10device_ptrItEEEEPS6_NSA_18transform_iteratorINSB_9not_fun_tINSA_8identityItEEEESF_NSA_11use_defaultESM_EENS0_5tupleIJSF_S6_EEENSO_IJSG_SG_EEES6_PlJS6_EEE10hipError_tPvRmT3_T4_T5_T6_T7_T9_mT8_P12ihipStream_tbDpT10_ENKUlT_T0_E_clISt17integral_constantIbLb1EES1A_IbLb0EEEEDaS16_S17_EUlS16_E_NS1_11comp_targetILNS1_3genE10ELNS1_11target_archE1200ELNS1_3gpuE4ELNS1_3repE0EEENS1_30default_config_static_selectorELNS0_4arch9wavefront6targetE0EEEvT1_,"axG",@progbits,_ZN7rocprim17ROCPRIM_400000_NS6detail17trampoline_kernelINS0_14default_configENS1_25partition_config_selectorILNS1_17partition_subalgoE5EtNS0_10empty_typeEbEEZZNS1_14partition_implILS5_5ELb0ES3_mN6thrust23THRUST_200600_302600_NS6detail15normal_iteratorINSA_10device_ptrItEEEEPS6_NSA_18transform_iteratorINSB_9not_fun_tINSA_8identityItEEEESF_NSA_11use_defaultESM_EENS0_5tupleIJSF_S6_EEENSO_IJSG_SG_EEES6_PlJS6_EEE10hipError_tPvRmT3_T4_T5_T6_T7_T9_mT8_P12ihipStream_tbDpT10_ENKUlT_T0_E_clISt17integral_constantIbLb1EES1A_IbLb0EEEEDaS16_S17_EUlS16_E_NS1_11comp_targetILNS1_3genE10ELNS1_11target_archE1200ELNS1_3gpuE4ELNS1_3repE0EEENS1_30default_config_static_selectorELNS0_4arch9wavefront6targetE0EEEvT1_,comdat
.Lfunc_end938:
	.size	_ZN7rocprim17ROCPRIM_400000_NS6detail17trampoline_kernelINS0_14default_configENS1_25partition_config_selectorILNS1_17partition_subalgoE5EtNS0_10empty_typeEbEEZZNS1_14partition_implILS5_5ELb0ES3_mN6thrust23THRUST_200600_302600_NS6detail15normal_iteratorINSA_10device_ptrItEEEEPS6_NSA_18transform_iteratorINSB_9not_fun_tINSA_8identityItEEEESF_NSA_11use_defaultESM_EENS0_5tupleIJSF_S6_EEENSO_IJSG_SG_EEES6_PlJS6_EEE10hipError_tPvRmT3_T4_T5_T6_T7_T9_mT8_P12ihipStream_tbDpT10_ENKUlT_T0_E_clISt17integral_constantIbLb1EES1A_IbLb0EEEEDaS16_S17_EUlS16_E_NS1_11comp_targetILNS1_3genE10ELNS1_11target_archE1200ELNS1_3gpuE4ELNS1_3repE0EEENS1_30default_config_static_selectorELNS0_4arch9wavefront6targetE0EEEvT1_, .Lfunc_end938-_ZN7rocprim17ROCPRIM_400000_NS6detail17trampoline_kernelINS0_14default_configENS1_25partition_config_selectorILNS1_17partition_subalgoE5EtNS0_10empty_typeEbEEZZNS1_14partition_implILS5_5ELb0ES3_mN6thrust23THRUST_200600_302600_NS6detail15normal_iteratorINSA_10device_ptrItEEEEPS6_NSA_18transform_iteratorINSB_9not_fun_tINSA_8identityItEEEESF_NSA_11use_defaultESM_EENS0_5tupleIJSF_S6_EEENSO_IJSG_SG_EEES6_PlJS6_EEE10hipError_tPvRmT3_T4_T5_T6_T7_T9_mT8_P12ihipStream_tbDpT10_ENKUlT_T0_E_clISt17integral_constantIbLb1EES1A_IbLb0EEEEDaS16_S17_EUlS16_E_NS1_11comp_targetILNS1_3genE10ELNS1_11target_archE1200ELNS1_3gpuE4ELNS1_3repE0EEENS1_30default_config_static_selectorELNS0_4arch9wavefront6targetE0EEEvT1_
                                        ; -- End function
	.set _ZN7rocprim17ROCPRIM_400000_NS6detail17trampoline_kernelINS0_14default_configENS1_25partition_config_selectorILNS1_17partition_subalgoE5EtNS0_10empty_typeEbEEZZNS1_14partition_implILS5_5ELb0ES3_mN6thrust23THRUST_200600_302600_NS6detail15normal_iteratorINSA_10device_ptrItEEEEPS6_NSA_18transform_iteratorINSB_9not_fun_tINSA_8identityItEEEESF_NSA_11use_defaultESM_EENS0_5tupleIJSF_S6_EEENSO_IJSG_SG_EEES6_PlJS6_EEE10hipError_tPvRmT3_T4_T5_T6_T7_T9_mT8_P12ihipStream_tbDpT10_ENKUlT_T0_E_clISt17integral_constantIbLb1EES1A_IbLb0EEEEDaS16_S17_EUlS16_E_NS1_11comp_targetILNS1_3genE10ELNS1_11target_archE1200ELNS1_3gpuE4ELNS1_3repE0EEENS1_30default_config_static_selectorELNS0_4arch9wavefront6targetE0EEEvT1_.num_vgpr, 0
	.set _ZN7rocprim17ROCPRIM_400000_NS6detail17trampoline_kernelINS0_14default_configENS1_25partition_config_selectorILNS1_17partition_subalgoE5EtNS0_10empty_typeEbEEZZNS1_14partition_implILS5_5ELb0ES3_mN6thrust23THRUST_200600_302600_NS6detail15normal_iteratorINSA_10device_ptrItEEEEPS6_NSA_18transform_iteratorINSB_9not_fun_tINSA_8identityItEEEESF_NSA_11use_defaultESM_EENS0_5tupleIJSF_S6_EEENSO_IJSG_SG_EEES6_PlJS6_EEE10hipError_tPvRmT3_T4_T5_T6_T7_T9_mT8_P12ihipStream_tbDpT10_ENKUlT_T0_E_clISt17integral_constantIbLb1EES1A_IbLb0EEEEDaS16_S17_EUlS16_E_NS1_11comp_targetILNS1_3genE10ELNS1_11target_archE1200ELNS1_3gpuE4ELNS1_3repE0EEENS1_30default_config_static_selectorELNS0_4arch9wavefront6targetE0EEEvT1_.num_agpr, 0
	.set _ZN7rocprim17ROCPRIM_400000_NS6detail17trampoline_kernelINS0_14default_configENS1_25partition_config_selectorILNS1_17partition_subalgoE5EtNS0_10empty_typeEbEEZZNS1_14partition_implILS5_5ELb0ES3_mN6thrust23THRUST_200600_302600_NS6detail15normal_iteratorINSA_10device_ptrItEEEEPS6_NSA_18transform_iteratorINSB_9not_fun_tINSA_8identityItEEEESF_NSA_11use_defaultESM_EENS0_5tupleIJSF_S6_EEENSO_IJSG_SG_EEES6_PlJS6_EEE10hipError_tPvRmT3_T4_T5_T6_T7_T9_mT8_P12ihipStream_tbDpT10_ENKUlT_T0_E_clISt17integral_constantIbLb1EES1A_IbLb0EEEEDaS16_S17_EUlS16_E_NS1_11comp_targetILNS1_3genE10ELNS1_11target_archE1200ELNS1_3gpuE4ELNS1_3repE0EEENS1_30default_config_static_selectorELNS0_4arch9wavefront6targetE0EEEvT1_.numbered_sgpr, 0
	.set _ZN7rocprim17ROCPRIM_400000_NS6detail17trampoline_kernelINS0_14default_configENS1_25partition_config_selectorILNS1_17partition_subalgoE5EtNS0_10empty_typeEbEEZZNS1_14partition_implILS5_5ELb0ES3_mN6thrust23THRUST_200600_302600_NS6detail15normal_iteratorINSA_10device_ptrItEEEEPS6_NSA_18transform_iteratorINSB_9not_fun_tINSA_8identityItEEEESF_NSA_11use_defaultESM_EENS0_5tupleIJSF_S6_EEENSO_IJSG_SG_EEES6_PlJS6_EEE10hipError_tPvRmT3_T4_T5_T6_T7_T9_mT8_P12ihipStream_tbDpT10_ENKUlT_T0_E_clISt17integral_constantIbLb1EES1A_IbLb0EEEEDaS16_S17_EUlS16_E_NS1_11comp_targetILNS1_3genE10ELNS1_11target_archE1200ELNS1_3gpuE4ELNS1_3repE0EEENS1_30default_config_static_selectorELNS0_4arch9wavefront6targetE0EEEvT1_.num_named_barrier, 0
	.set _ZN7rocprim17ROCPRIM_400000_NS6detail17trampoline_kernelINS0_14default_configENS1_25partition_config_selectorILNS1_17partition_subalgoE5EtNS0_10empty_typeEbEEZZNS1_14partition_implILS5_5ELb0ES3_mN6thrust23THRUST_200600_302600_NS6detail15normal_iteratorINSA_10device_ptrItEEEEPS6_NSA_18transform_iteratorINSB_9not_fun_tINSA_8identityItEEEESF_NSA_11use_defaultESM_EENS0_5tupleIJSF_S6_EEENSO_IJSG_SG_EEES6_PlJS6_EEE10hipError_tPvRmT3_T4_T5_T6_T7_T9_mT8_P12ihipStream_tbDpT10_ENKUlT_T0_E_clISt17integral_constantIbLb1EES1A_IbLb0EEEEDaS16_S17_EUlS16_E_NS1_11comp_targetILNS1_3genE10ELNS1_11target_archE1200ELNS1_3gpuE4ELNS1_3repE0EEENS1_30default_config_static_selectorELNS0_4arch9wavefront6targetE0EEEvT1_.private_seg_size, 0
	.set _ZN7rocprim17ROCPRIM_400000_NS6detail17trampoline_kernelINS0_14default_configENS1_25partition_config_selectorILNS1_17partition_subalgoE5EtNS0_10empty_typeEbEEZZNS1_14partition_implILS5_5ELb0ES3_mN6thrust23THRUST_200600_302600_NS6detail15normal_iteratorINSA_10device_ptrItEEEEPS6_NSA_18transform_iteratorINSB_9not_fun_tINSA_8identityItEEEESF_NSA_11use_defaultESM_EENS0_5tupleIJSF_S6_EEENSO_IJSG_SG_EEES6_PlJS6_EEE10hipError_tPvRmT3_T4_T5_T6_T7_T9_mT8_P12ihipStream_tbDpT10_ENKUlT_T0_E_clISt17integral_constantIbLb1EES1A_IbLb0EEEEDaS16_S17_EUlS16_E_NS1_11comp_targetILNS1_3genE10ELNS1_11target_archE1200ELNS1_3gpuE4ELNS1_3repE0EEENS1_30default_config_static_selectorELNS0_4arch9wavefront6targetE0EEEvT1_.uses_vcc, 0
	.set _ZN7rocprim17ROCPRIM_400000_NS6detail17trampoline_kernelINS0_14default_configENS1_25partition_config_selectorILNS1_17partition_subalgoE5EtNS0_10empty_typeEbEEZZNS1_14partition_implILS5_5ELb0ES3_mN6thrust23THRUST_200600_302600_NS6detail15normal_iteratorINSA_10device_ptrItEEEEPS6_NSA_18transform_iteratorINSB_9not_fun_tINSA_8identityItEEEESF_NSA_11use_defaultESM_EENS0_5tupleIJSF_S6_EEENSO_IJSG_SG_EEES6_PlJS6_EEE10hipError_tPvRmT3_T4_T5_T6_T7_T9_mT8_P12ihipStream_tbDpT10_ENKUlT_T0_E_clISt17integral_constantIbLb1EES1A_IbLb0EEEEDaS16_S17_EUlS16_E_NS1_11comp_targetILNS1_3genE10ELNS1_11target_archE1200ELNS1_3gpuE4ELNS1_3repE0EEENS1_30default_config_static_selectorELNS0_4arch9wavefront6targetE0EEEvT1_.uses_flat_scratch, 0
	.set _ZN7rocprim17ROCPRIM_400000_NS6detail17trampoline_kernelINS0_14default_configENS1_25partition_config_selectorILNS1_17partition_subalgoE5EtNS0_10empty_typeEbEEZZNS1_14partition_implILS5_5ELb0ES3_mN6thrust23THRUST_200600_302600_NS6detail15normal_iteratorINSA_10device_ptrItEEEEPS6_NSA_18transform_iteratorINSB_9not_fun_tINSA_8identityItEEEESF_NSA_11use_defaultESM_EENS0_5tupleIJSF_S6_EEENSO_IJSG_SG_EEES6_PlJS6_EEE10hipError_tPvRmT3_T4_T5_T6_T7_T9_mT8_P12ihipStream_tbDpT10_ENKUlT_T0_E_clISt17integral_constantIbLb1EES1A_IbLb0EEEEDaS16_S17_EUlS16_E_NS1_11comp_targetILNS1_3genE10ELNS1_11target_archE1200ELNS1_3gpuE4ELNS1_3repE0EEENS1_30default_config_static_selectorELNS0_4arch9wavefront6targetE0EEEvT1_.has_dyn_sized_stack, 0
	.set _ZN7rocprim17ROCPRIM_400000_NS6detail17trampoline_kernelINS0_14default_configENS1_25partition_config_selectorILNS1_17partition_subalgoE5EtNS0_10empty_typeEbEEZZNS1_14partition_implILS5_5ELb0ES3_mN6thrust23THRUST_200600_302600_NS6detail15normal_iteratorINSA_10device_ptrItEEEEPS6_NSA_18transform_iteratorINSB_9not_fun_tINSA_8identityItEEEESF_NSA_11use_defaultESM_EENS0_5tupleIJSF_S6_EEENSO_IJSG_SG_EEES6_PlJS6_EEE10hipError_tPvRmT3_T4_T5_T6_T7_T9_mT8_P12ihipStream_tbDpT10_ENKUlT_T0_E_clISt17integral_constantIbLb1EES1A_IbLb0EEEEDaS16_S17_EUlS16_E_NS1_11comp_targetILNS1_3genE10ELNS1_11target_archE1200ELNS1_3gpuE4ELNS1_3repE0EEENS1_30default_config_static_selectorELNS0_4arch9wavefront6targetE0EEEvT1_.has_recursion, 0
	.set _ZN7rocprim17ROCPRIM_400000_NS6detail17trampoline_kernelINS0_14default_configENS1_25partition_config_selectorILNS1_17partition_subalgoE5EtNS0_10empty_typeEbEEZZNS1_14partition_implILS5_5ELb0ES3_mN6thrust23THRUST_200600_302600_NS6detail15normal_iteratorINSA_10device_ptrItEEEEPS6_NSA_18transform_iteratorINSB_9not_fun_tINSA_8identityItEEEESF_NSA_11use_defaultESM_EENS0_5tupleIJSF_S6_EEENSO_IJSG_SG_EEES6_PlJS6_EEE10hipError_tPvRmT3_T4_T5_T6_T7_T9_mT8_P12ihipStream_tbDpT10_ENKUlT_T0_E_clISt17integral_constantIbLb1EES1A_IbLb0EEEEDaS16_S17_EUlS16_E_NS1_11comp_targetILNS1_3genE10ELNS1_11target_archE1200ELNS1_3gpuE4ELNS1_3repE0EEENS1_30default_config_static_selectorELNS0_4arch9wavefront6targetE0EEEvT1_.has_indirect_call, 0
	.section	.AMDGPU.csdata,"",@progbits
; Kernel info:
; codeLenInByte = 4
; TotalNumSgprs: 0
; NumVgprs: 0
; ScratchSize: 0
; MemoryBound: 0
; FloatMode: 240
; IeeeMode: 1
; LDSByteSize: 0 bytes/workgroup (compile time only)
; SGPRBlocks: 0
; VGPRBlocks: 0
; NumSGPRsForWavesPerEU: 1
; NumVGPRsForWavesPerEU: 1
; Occupancy: 16
; WaveLimiterHint : 0
; COMPUTE_PGM_RSRC2:SCRATCH_EN: 0
; COMPUTE_PGM_RSRC2:USER_SGPR: 2
; COMPUTE_PGM_RSRC2:TRAP_HANDLER: 0
; COMPUTE_PGM_RSRC2:TGID_X_EN: 1
; COMPUTE_PGM_RSRC2:TGID_Y_EN: 0
; COMPUTE_PGM_RSRC2:TGID_Z_EN: 0
; COMPUTE_PGM_RSRC2:TIDIG_COMP_CNT: 0
	.section	.text._ZN7rocprim17ROCPRIM_400000_NS6detail17trampoline_kernelINS0_14default_configENS1_25partition_config_selectorILNS1_17partition_subalgoE5EtNS0_10empty_typeEbEEZZNS1_14partition_implILS5_5ELb0ES3_mN6thrust23THRUST_200600_302600_NS6detail15normal_iteratorINSA_10device_ptrItEEEEPS6_NSA_18transform_iteratorINSB_9not_fun_tINSA_8identityItEEEESF_NSA_11use_defaultESM_EENS0_5tupleIJSF_S6_EEENSO_IJSG_SG_EEES6_PlJS6_EEE10hipError_tPvRmT3_T4_T5_T6_T7_T9_mT8_P12ihipStream_tbDpT10_ENKUlT_T0_E_clISt17integral_constantIbLb1EES1A_IbLb0EEEEDaS16_S17_EUlS16_E_NS1_11comp_targetILNS1_3genE9ELNS1_11target_archE1100ELNS1_3gpuE3ELNS1_3repE0EEENS1_30default_config_static_selectorELNS0_4arch9wavefront6targetE0EEEvT1_,"axG",@progbits,_ZN7rocprim17ROCPRIM_400000_NS6detail17trampoline_kernelINS0_14default_configENS1_25partition_config_selectorILNS1_17partition_subalgoE5EtNS0_10empty_typeEbEEZZNS1_14partition_implILS5_5ELb0ES3_mN6thrust23THRUST_200600_302600_NS6detail15normal_iteratorINSA_10device_ptrItEEEEPS6_NSA_18transform_iteratorINSB_9not_fun_tINSA_8identityItEEEESF_NSA_11use_defaultESM_EENS0_5tupleIJSF_S6_EEENSO_IJSG_SG_EEES6_PlJS6_EEE10hipError_tPvRmT3_T4_T5_T6_T7_T9_mT8_P12ihipStream_tbDpT10_ENKUlT_T0_E_clISt17integral_constantIbLb1EES1A_IbLb0EEEEDaS16_S17_EUlS16_E_NS1_11comp_targetILNS1_3genE9ELNS1_11target_archE1100ELNS1_3gpuE3ELNS1_3repE0EEENS1_30default_config_static_selectorELNS0_4arch9wavefront6targetE0EEEvT1_,comdat
	.protected	_ZN7rocprim17ROCPRIM_400000_NS6detail17trampoline_kernelINS0_14default_configENS1_25partition_config_selectorILNS1_17partition_subalgoE5EtNS0_10empty_typeEbEEZZNS1_14partition_implILS5_5ELb0ES3_mN6thrust23THRUST_200600_302600_NS6detail15normal_iteratorINSA_10device_ptrItEEEEPS6_NSA_18transform_iteratorINSB_9not_fun_tINSA_8identityItEEEESF_NSA_11use_defaultESM_EENS0_5tupleIJSF_S6_EEENSO_IJSG_SG_EEES6_PlJS6_EEE10hipError_tPvRmT3_T4_T5_T6_T7_T9_mT8_P12ihipStream_tbDpT10_ENKUlT_T0_E_clISt17integral_constantIbLb1EES1A_IbLb0EEEEDaS16_S17_EUlS16_E_NS1_11comp_targetILNS1_3genE9ELNS1_11target_archE1100ELNS1_3gpuE3ELNS1_3repE0EEENS1_30default_config_static_selectorELNS0_4arch9wavefront6targetE0EEEvT1_ ; -- Begin function _ZN7rocprim17ROCPRIM_400000_NS6detail17trampoline_kernelINS0_14default_configENS1_25partition_config_selectorILNS1_17partition_subalgoE5EtNS0_10empty_typeEbEEZZNS1_14partition_implILS5_5ELb0ES3_mN6thrust23THRUST_200600_302600_NS6detail15normal_iteratorINSA_10device_ptrItEEEEPS6_NSA_18transform_iteratorINSB_9not_fun_tINSA_8identityItEEEESF_NSA_11use_defaultESM_EENS0_5tupleIJSF_S6_EEENSO_IJSG_SG_EEES6_PlJS6_EEE10hipError_tPvRmT3_T4_T5_T6_T7_T9_mT8_P12ihipStream_tbDpT10_ENKUlT_T0_E_clISt17integral_constantIbLb1EES1A_IbLb0EEEEDaS16_S17_EUlS16_E_NS1_11comp_targetILNS1_3genE9ELNS1_11target_archE1100ELNS1_3gpuE3ELNS1_3repE0EEENS1_30default_config_static_selectorELNS0_4arch9wavefront6targetE0EEEvT1_
	.globl	_ZN7rocprim17ROCPRIM_400000_NS6detail17trampoline_kernelINS0_14default_configENS1_25partition_config_selectorILNS1_17partition_subalgoE5EtNS0_10empty_typeEbEEZZNS1_14partition_implILS5_5ELb0ES3_mN6thrust23THRUST_200600_302600_NS6detail15normal_iteratorINSA_10device_ptrItEEEEPS6_NSA_18transform_iteratorINSB_9not_fun_tINSA_8identityItEEEESF_NSA_11use_defaultESM_EENS0_5tupleIJSF_S6_EEENSO_IJSG_SG_EEES6_PlJS6_EEE10hipError_tPvRmT3_T4_T5_T6_T7_T9_mT8_P12ihipStream_tbDpT10_ENKUlT_T0_E_clISt17integral_constantIbLb1EES1A_IbLb0EEEEDaS16_S17_EUlS16_E_NS1_11comp_targetILNS1_3genE9ELNS1_11target_archE1100ELNS1_3gpuE3ELNS1_3repE0EEENS1_30default_config_static_selectorELNS0_4arch9wavefront6targetE0EEEvT1_
	.p2align	8
	.type	_ZN7rocprim17ROCPRIM_400000_NS6detail17trampoline_kernelINS0_14default_configENS1_25partition_config_selectorILNS1_17partition_subalgoE5EtNS0_10empty_typeEbEEZZNS1_14partition_implILS5_5ELb0ES3_mN6thrust23THRUST_200600_302600_NS6detail15normal_iteratorINSA_10device_ptrItEEEEPS6_NSA_18transform_iteratorINSB_9not_fun_tINSA_8identityItEEEESF_NSA_11use_defaultESM_EENS0_5tupleIJSF_S6_EEENSO_IJSG_SG_EEES6_PlJS6_EEE10hipError_tPvRmT3_T4_T5_T6_T7_T9_mT8_P12ihipStream_tbDpT10_ENKUlT_T0_E_clISt17integral_constantIbLb1EES1A_IbLb0EEEEDaS16_S17_EUlS16_E_NS1_11comp_targetILNS1_3genE9ELNS1_11target_archE1100ELNS1_3gpuE3ELNS1_3repE0EEENS1_30default_config_static_selectorELNS0_4arch9wavefront6targetE0EEEvT1_,@function
_ZN7rocprim17ROCPRIM_400000_NS6detail17trampoline_kernelINS0_14default_configENS1_25partition_config_selectorILNS1_17partition_subalgoE5EtNS0_10empty_typeEbEEZZNS1_14partition_implILS5_5ELb0ES3_mN6thrust23THRUST_200600_302600_NS6detail15normal_iteratorINSA_10device_ptrItEEEEPS6_NSA_18transform_iteratorINSB_9not_fun_tINSA_8identityItEEEESF_NSA_11use_defaultESM_EENS0_5tupleIJSF_S6_EEENSO_IJSG_SG_EEES6_PlJS6_EEE10hipError_tPvRmT3_T4_T5_T6_T7_T9_mT8_P12ihipStream_tbDpT10_ENKUlT_T0_E_clISt17integral_constantIbLb1EES1A_IbLb0EEEEDaS16_S17_EUlS16_E_NS1_11comp_targetILNS1_3genE9ELNS1_11target_archE1100ELNS1_3gpuE3ELNS1_3repE0EEENS1_30default_config_static_selectorELNS0_4arch9wavefront6targetE0EEEvT1_: ; @_ZN7rocprim17ROCPRIM_400000_NS6detail17trampoline_kernelINS0_14default_configENS1_25partition_config_selectorILNS1_17partition_subalgoE5EtNS0_10empty_typeEbEEZZNS1_14partition_implILS5_5ELb0ES3_mN6thrust23THRUST_200600_302600_NS6detail15normal_iteratorINSA_10device_ptrItEEEEPS6_NSA_18transform_iteratorINSB_9not_fun_tINSA_8identityItEEEESF_NSA_11use_defaultESM_EENS0_5tupleIJSF_S6_EEENSO_IJSG_SG_EEES6_PlJS6_EEE10hipError_tPvRmT3_T4_T5_T6_T7_T9_mT8_P12ihipStream_tbDpT10_ENKUlT_T0_E_clISt17integral_constantIbLb1EES1A_IbLb0EEEEDaS16_S17_EUlS16_E_NS1_11comp_targetILNS1_3genE9ELNS1_11target_archE1100ELNS1_3gpuE3ELNS1_3repE0EEENS1_30default_config_static_selectorELNS0_4arch9wavefront6targetE0EEEvT1_
; %bb.0:
	.section	.rodata,"a",@progbits
	.p2align	6, 0x0
	.amdhsa_kernel _ZN7rocprim17ROCPRIM_400000_NS6detail17trampoline_kernelINS0_14default_configENS1_25partition_config_selectorILNS1_17partition_subalgoE5EtNS0_10empty_typeEbEEZZNS1_14partition_implILS5_5ELb0ES3_mN6thrust23THRUST_200600_302600_NS6detail15normal_iteratorINSA_10device_ptrItEEEEPS6_NSA_18transform_iteratorINSB_9not_fun_tINSA_8identityItEEEESF_NSA_11use_defaultESM_EENS0_5tupleIJSF_S6_EEENSO_IJSG_SG_EEES6_PlJS6_EEE10hipError_tPvRmT3_T4_T5_T6_T7_T9_mT8_P12ihipStream_tbDpT10_ENKUlT_T0_E_clISt17integral_constantIbLb1EES1A_IbLb0EEEEDaS16_S17_EUlS16_E_NS1_11comp_targetILNS1_3genE9ELNS1_11target_archE1100ELNS1_3gpuE3ELNS1_3repE0EEENS1_30default_config_static_selectorELNS0_4arch9wavefront6targetE0EEEvT1_
		.amdhsa_group_segment_fixed_size 0
		.amdhsa_private_segment_fixed_size 0
		.amdhsa_kernarg_size 120
		.amdhsa_user_sgpr_count 2
		.amdhsa_user_sgpr_dispatch_ptr 0
		.amdhsa_user_sgpr_queue_ptr 0
		.amdhsa_user_sgpr_kernarg_segment_ptr 1
		.amdhsa_user_sgpr_dispatch_id 0
		.amdhsa_user_sgpr_private_segment_size 0
		.amdhsa_wavefront_size32 1
		.amdhsa_uses_dynamic_stack 0
		.amdhsa_enable_private_segment 0
		.amdhsa_system_sgpr_workgroup_id_x 1
		.amdhsa_system_sgpr_workgroup_id_y 0
		.amdhsa_system_sgpr_workgroup_id_z 0
		.amdhsa_system_sgpr_workgroup_info 0
		.amdhsa_system_vgpr_workitem_id 0
		.amdhsa_next_free_vgpr 1
		.amdhsa_next_free_sgpr 1
		.amdhsa_reserve_vcc 0
		.amdhsa_float_round_mode_32 0
		.amdhsa_float_round_mode_16_64 0
		.amdhsa_float_denorm_mode_32 3
		.amdhsa_float_denorm_mode_16_64 3
		.amdhsa_fp16_overflow 0
		.amdhsa_workgroup_processor_mode 1
		.amdhsa_memory_ordered 1
		.amdhsa_forward_progress 1
		.amdhsa_inst_pref_size 0
		.amdhsa_round_robin_scheduling 0
		.amdhsa_exception_fp_ieee_invalid_op 0
		.amdhsa_exception_fp_denorm_src 0
		.amdhsa_exception_fp_ieee_div_zero 0
		.amdhsa_exception_fp_ieee_overflow 0
		.amdhsa_exception_fp_ieee_underflow 0
		.amdhsa_exception_fp_ieee_inexact 0
		.amdhsa_exception_int_div_zero 0
	.end_amdhsa_kernel
	.section	.text._ZN7rocprim17ROCPRIM_400000_NS6detail17trampoline_kernelINS0_14default_configENS1_25partition_config_selectorILNS1_17partition_subalgoE5EtNS0_10empty_typeEbEEZZNS1_14partition_implILS5_5ELb0ES3_mN6thrust23THRUST_200600_302600_NS6detail15normal_iteratorINSA_10device_ptrItEEEEPS6_NSA_18transform_iteratorINSB_9not_fun_tINSA_8identityItEEEESF_NSA_11use_defaultESM_EENS0_5tupleIJSF_S6_EEENSO_IJSG_SG_EEES6_PlJS6_EEE10hipError_tPvRmT3_T4_T5_T6_T7_T9_mT8_P12ihipStream_tbDpT10_ENKUlT_T0_E_clISt17integral_constantIbLb1EES1A_IbLb0EEEEDaS16_S17_EUlS16_E_NS1_11comp_targetILNS1_3genE9ELNS1_11target_archE1100ELNS1_3gpuE3ELNS1_3repE0EEENS1_30default_config_static_selectorELNS0_4arch9wavefront6targetE0EEEvT1_,"axG",@progbits,_ZN7rocprim17ROCPRIM_400000_NS6detail17trampoline_kernelINS0_14default_configENS1_25partition_config_selectorILNS1_17partition_subalgoE5EtNS0_10empty_typeEbEEZZNS1_14partition_implILS5_5ELb0ES3_mN6thrust23THRUST_200600_302600_NS6detail15normal_iteratorINSA_10device_ptrItEEEEPS6_NSA_18transform_iteratorINSB_9not_fun_tINSA_8identityItEEEESF_NSA_11use_defaultESM_EENS0_5tupleIJSF_S6_EEENSO_IJSG_SG_EEES6_PlJS6_EEE10hipError_tPvRmT3_T4_T5_T6_T7_T9_mT8_P12ihipStream_tbDpT10_ENKUlT_T0_E_clISt17integral_constantIbLb1EES1A_IbLb0EEEEDaS16_S17_EUlS16_E_NS1_11comp_targetILNS1_3genE9ELNS1_11target_archE1100ELNS1_3gpuE3ELNS1_3repE0EEENS1_30default_config_static_selectorELNS0_4arch9wavefront6targetE0EEEvT1_,comdat
.Lfunc_end939:
	.size	_ZN7rocprim17ROCPRIM_400000_NS6detail17trampoline_kernelINS0_14default_configENS1_25partition_config_selectorILNS1_17partition_subalgoE5EtNS0_10empty_typeEbEEZZNS1_14partition_implILS5_5ELb0ES3_mN6thrust23THRUST_200600_302600_NS6detail15normal_iteratorINSA_10device_ptrItEEEEPS6_NSA_18transform_iteratorINSB_9not_fun_tINSA_8identityItEEEESF_NSA_11use_defaultESM_EENS0_5tupleIJSF_S6_EEENSO_IJSG_SG_EEES6_PlJS6_EEE10hipError_tPvRmT3_T4_T5_T6_T7_T9_mT8_P12ihipStream_tbDpT10_ENKUlT_T0_E_clISt17integral_constantIbLb1EES1A_IbLb0EEEEDaS16_S17_EUlS16_E_NS1_11comp_targetILNS1_3genE9ELNS1_11target_archE1100ELNS1_3gpuE3ELNS1_3repE0EEENS1_30default_config_static_selectorELNS0_4arch9wavefront6targetE0EEEvT1_, .Lfunc_end939-_ZN7rocprim17ROCPRIM_400000_NS6detail17trampoline_kernelINS0_14default_configENS1_25partition_config_selectorILNS1_17partition_subalgoE5EtNS0_10empty_typeEbEEZZNS1_14partition_implILS5_5ELb0ES3_mN6thrust23THRUST_200600_302600_NS6detail15normal_iteratorINSA_10device_ptrItEEEEPS6_NSA_18transform_iteratorINSB_9not_fun_tINSA_8identityItEEEESF_NSA_11use_defaultESM_EENS0_5tupleIJSF_S6_EEENSO_IJSG_SG_EEES6_PlJS6_EEE10hipError_tPvRmT3_T4_T5_T6_T7_T9_mT8_P12ihipStream_tbDpT10_ENKUlT_T0_E_clISt17integral_constantIbLb1EES1A_IbLb0EEEEDaS16_S17_EUlS16_E_NS1_11comp_targetILNS1_3genE9ELNS1_11target_archE1100ELNS1_3gpuE3ELNS1_3repE0EEENS1_30default_config_static_selectorELNS0_4arch9wavefront6targetE0EEEvT1_
                                        ; -- End function
	.set _ZN7rocprim17ROCPRIM_400000_NS6detail17trampoline_kernelINS0_14default_configENS1_25partition_config_selectorILNS1_17partition_subalgoE5EtNS0_10empty_typeEbEEZZNS1_14partition_implILS5_5ELb0ES3_mN6thrust23THRUST_200600_302600_NS6detail15normal_iteratorINSA_10device_ptrItEEEEPS6_NSA_18transform_iteratorINSB_9not_fun_tINSA_8identityItEEEESF_NSA_11use_defaultESM_EENS0_5tupleIJSF_S6_EEENSO_IJSG_SG_EEES6_PlJS6_EEE10hipError_tPvRmT3_T4_T5_T6_T7_T9_mT8_P12ihipStream_tbDpT10_ENKUlT_T0_E_clISt17integral_constantIbLb1EES1A_IbLb0EEEEDaS16_S17_EUlS16_E_NS1_11comp_targetILNS1_3genE9ELNS1_11target_archE1100ELNS1_3gpuE3ELNS1_3repE0EEENS1_30default_config_static_selectorELNS0_4arch9wavefront6targetE0EEEvT1_.num_vgpr, 0
	.set _ZN7rocprim17ROCPRIM_400000_NS6detail17trampoline_kernelINS0_14default_configENS1_25partition_config_selectorILNS1_17partition_subalgoE5EtNS0_10empty_typeEbEEZZNS1_14partition_implILS5_5ELb0ES3_mN6thrust23THRUST_200600_302600_NS6detail15normal_iteratorINSA_10device_ptrItEEEEPS6_NSA_18transform_iteratorINSB_9not_fun_tINSA_8identityItEEEESF_NSA_11use_defaultESM_EENS0_5tupleIJSF_S6_EEENSO_IJSG_SG_EEES6_PlJS6_EEE10hipError_tPvRmT3_T4_T5_T6_T7_T9_mT8_P12ihipStream_tbDpT10_ENKUlT_T0_E_clISt17integral_constantIbLb1EES1A_IbLb0EEEEDaS16_S17_EUlS16_E_NS1_11comp_targetILNS1_3genE9ELNS1_11target_archE1100ELNS1_3gpuE3ELNS1_3repE0EEENS1_30default_config_static_selectorELNS0_4arch9wavefront6targetE0EEEvT1_.num_agpr, 0
	.set _ZN7rocprim17ROCPRIM_400000_NS6detail17trampoline_kernelINS0_14default_configENS1_25partition_config_selectorILNS1_17partition_subalgoE5EtNS0_10empty_typeEbEEZZNS1_14partition_implILS5_5ELb0ES3_mN6thrust23THRUST_200600_302600_NS6detail15normal_iteratorINSA_10device_ptrItEEEEPS6_NSA_18transform_iteratorINSB_9not_fun_tINSA_8identityItEEEESF_NSA_11use_defaultESM_EENS0_5tupleIJSF_S6_EEENSO_IJSG_SG_EEES6_PlJS6_EEE10hipError_tPvRmT3_T4_T5_T6_T7_T9_mT8_P12ihipStream_tbDpT10_ENKUlT_T0_E_clISt17integral_constantIbLb1EES1A_IbLb0EEEEDaS16_S17_EUlS16_E_NS1_11comp_targetILNS1_3genE9ELNS1_11target_archE1100ELNS1_3gpuE3ELNS1_3repE0EEENS1_30default_config_static_selectorELNS0_4arch9wavefront6targetE0EEEvT1_.numbered_sgpr, 0
	.set _ZN7rocprim17ROCPRIM_400000_NS6detail17trampoline_kernelINS0_14default_configENS1_25partition_config_selectorILNS1_17partition_subalgoE5EtNS0_10empty_typeEbEEZZNS1_14partition_implILS5_5ELb0ES3_mN6thrust23THRUST_200600_302600_NS6detail15normal_iteratorINSA_10device_ptrItEEEEPS6_NSA_18transform_iteratorINSB_9not_fun_tINSA_8identityItEEEESF_NSA_11use_defaultESM_EENS0_5tupleIJSF_S6_EEENSO_IJSG_SG_EEES6_PlJS6_EEE10hipError_tPvRmT3_T4_T5_T6_T7_T9_mT8_P12ihipStream_tbDpT10_ENKUlT_T0_E_clISt17integral_constantIbLb1EES1A_IbLb0EEEEDaS16_S17_EUlS16_E_NS1_11comp_targetILNS1_3genE9ELNS1_11target_archE1100ELNS1_3gpuE3ELNS1_3repE0EEENS1_30default_config_static_selectorELNS0_4arch9wavefront6targetE0EEEvT1_.num_named_barrier, 0
	.set _ZN7rocprim17ROCPRIM_400000_NS6detail17trampoline_kernelINS0_14default_configENS1_25partition_config_selectorILNS1_17partition_subalgoE5EtNS0_10empty_typeEbEEZZNS1_14partition_implILS5_5ELb0ES3_mN6thrust23THRUST_200600_302600_NS6detail15normal_iteratorINSA_10device_ptrItEEEEPS6_NSA_18transform_iteratorINSB_9not_fun_tINSA_8identityItEEEESF_NSA_11use_defaultESM_EENS0_5tupleIJSF_S6_EEENSO_IJSG_SG_EEES6_PlJS6_EEE10hipError_tPvRmT3_T4_T5_T6_T7_T9_mT8_P12ihipStream_tbDpT10_ENKUlT_T0_E_clISt17integral_constantIbLb1EES1A_IbLb0EEEEDaS16_S17_EUlS16_E_NS1_11comp_targetILNS1_3genE9ELNS1_11target_archE1100ELNS1_3gpuE3ELNS1_3repE0EEENS1_30default_config_static_selectorELNS0_4arch9wavefront6targetE0EEEvT1_.private_seg_size, 0
	.set _ZN7rocprim17ROCPRIM_400000_NS6detail17trampoline_kernelINS0_14default_configENS1_25partition_config_selectorILNS1_17partition_subalgoE5EtNS0_10empty_typeEbEEZZNS1_14partition_implILS5_5ELb0ES3_mN6thrust23THRUST_200600_302600_NS6detail15normal_iteratorINSA_10device_ptrItEEEEPS6_NSA_18transform_iteratorINSB_9not_fun_tINSA_8identityItEEEESF_NSA_11use_defaultESM_EENS0_5tupleIJSF_S6_EEENSO_IJSG_SG_EEES6_PlJS6_EEE10hipError_tPvRmT3_T4_T5_T6_T7_T9_mT8_P12ihipStream_tbDpT10_ENKUlT_T0_E_clISt17integral_constantIbLb1EES1A_IbLb0EEEEDaS16_S17_EUlS16_E_NS1_11comp_targetILNS1_3genE9ELNS1_11target_archE1100ELNS1_3gpuE3ELNS1_3repE0EEENS1_30default_config_static_selectorELNS0_4arch9wavefront6targetE0EEEvT1_.uses_vcc, 0
	.set _ZN7rocprim17ROCPRIM_400000_NS6detail17trampoline_kernelINS0_14default_configENS1_25partition_config_selectorILNS1_17partition_subalgoE5EtNS0_10empty_typeEbEEZZNS1_14partition_implILS5_5ELb0ES3_mN6thrust23THRUST_200600_302600_NS6detail15normal_iteratorINSA_10device_ptrItEEEEPS6_NSA_18transform_iteratorINSB_9not_fun_tINSA_8identityItEEEESF_NSA_11use_defaultESM_EENS0_5tupleIJSF_S6_EEENSO_IJSG_SG_EEES6_PlJS6_EEE10hipError_tPvRmT3_T4_T5_T6_T7_T9_mT8_P12ihipStream_tbDpT10_ENKUlT_T0_E_clISt17integral_constantIbLb1EES1A_IbLb0EEEEDaS16_S17_EUlS16_E_NS1_11comp_targetILNS1_3genE9ELNS1_11target_archE1100ELNS1_3gpuE3ELNS1_3repE0EEENS1_30default_config_static_selectorELNS0_4arch9wavefront6targetE0EEEvT1_.uses_flat_scratch, 0
	.set _ZN7rocprim17ROCPRIM_400000_NS6detail17trampoline_kernelINS0_14default_configENS1_25partition_config_selectorILNS1_17partition_subalgoE5EtNS0_10empty_typeEbEEZZNS1_14partition_implILS5_5ELb0ES3_mN6thrust23THRUST_200600_302600_NS6detail15normal_iteratorINSA_10device_ptrItEEEEPS6_NSA_18transform_iteratorINSB_9not_fun_tINSA_8identityItEEEESF_NSA_11use_defaultESM_EENS0_5tupleIJSF_S6_EEENSO_IJSG_SG_EEES6_PlJS6_EEE10hipError_tPvRmT3_T4_T5_T6_T7_T9_mT8_P12ihipStream_tbDpT10_ENKUlT_T0_E_clISt17integral_constantIbLb1EES1A_IbLb0EEEEDaS16_S17_EUlS16_E_NS1_11comp_targetILNS1_3genE9ELNS1_11target_archE1100ELNS1_3gpuE3ELNS1_3repE0EEENS1_30default_config_static_selectorELNS0_4arch9wavefront6targetE0EEEvT1_.has_dyn_sized_stack, 0
	.set _ZN7rocprim17ROCPRIM_400000_NS6detail17trampoline_kernelINS0_14default_configENS1_25partition_config_selectorILNS1_17partition_subalgoE5EtNS0_10empty_typeEbEEZZNS1_14partition_implILS5_5ELb0ES3_mN6thrust23THRUST_200600_302600_NS6detail15normal_iteratorINSA_10device_ptrItEEEEPS6_NSA_18transform_iteratorINSB_9not_fun_tINSA_8identityItEEEESF_NSA_11use_defaultESM_EENS0_5tupleIJSF_S6_EEENSO_IJSG_SG_EEES6_PlJS6_EEE10hipError_tPvRmT3_T4_T5_T6_T7_T9_mT8_P12ihipStream_tbDpT10_ENKUlT_T0_E_clISt17integral_constantIbLb1EES1A_IbLb0EEEEDaS16_S17_EUlS16_E_NS1_11comp_targetILNS1_3genE9ELNS1_11target_archE1100ELNS1_3gpuE3ELNS1_3repE0EEENS1_30default_config_static_selectorELNS0_4arch9wavefront6targetE0EEEvT1_.has_recursion, 0
	.set _ZN7rocprim17ROCPRIM_400000_NS6detail17trampoline_kernelINS0_14default_configENS1_25partition_config_selectorILNS1_17partition_subalgoE5EtNS0_10empty_typeEbEEZZNS1_14partition_implILS5_5ELb0ES3_mN6thrust23THRUST_200600_302600_NS6detail15normal_iteratorINSA_10device_ptrItEEEEPS6_NSA_18transform_iteratorINSB_9not_fun_tINSA_8identityItEEEESF_NSA_11use_defaultESM_EENS0_5tupleIJSF_S6_EEENSO_IJSG_SG_EEES6_PlJS6_EEE10hipError_tPvRmT3_T4_T5_T6_T7_T9_mT8_P12ihipStream_tbDpT10_ENKUlT_T0_E_clISt17integral_constantIbLb1EES1A_IbLb0EEEEDaS16_S17_EUlS16_E_NS1_11comp_targetILNS1_3genE9ELNS1_11target_archE1100ELNS1_3gpuE3ELNS1_3repE0EEENS1_30default_config_static_selectorELNS0_4arch9wavefront6targetE0EEEvT1_.has_indirect_call, 0
	.section	.AMDGPU.csdata,"",@progbits
; Kernel info:
; codeLenInByte = 0
; TotalNumSgprs: 0
; NumVgprs: 0
; ScratchSize: 0
; MemoryBound: 0
; FloatMode: 240
; IeeeMode: 1
; LDSByteSize: 0 bytes/workgroup (compile time only)
; SGPRBlocks: 0
; VGPRBlocks: 0
; NumSGPRsForWavesPerEU: 1
; NumVGPRsForWavesPerEU: 1
; Occupancy: 16
; WaveLimiterHint : 0
; COMPUTE_PGM_RSRC2:SCRATCH_EN: 0
; COMPUTE_PGM_RSRC2:USER_SGPR: 2
; COMPUTE_PGM_RSRC2:TRAP_HANDLER: 0
; COMPUTE_PGM_RSRC2:TGID_X_EN: 1
; COMPUTE_PGM_RSRC2:TGID_Y_EN: 0
; COMPUTE_PGM_RSRC2:TGID_Z_EN: 0
; COMPUTE_PGM_RSRC2:TIDIG_COMP_CNT: 0
	.section	.text._ZN7rocprim17ROCPRIM_400000_NS6detail17trampoline_kernelINS0_14default_configENS1_25partition_config_selectorILNS1_17partition_subalgoE5EtNS0_10empty_typeEbEEZZNS1_14partition_implILS5_5ELb0ES3_mN6thrust23THRUST_200600_302600_NS6detail15normal_iteratorINSA_10device_ptrItEEEEPS6_NSA_18transform_iteratorINSB_9not_fun_tINSA_8identityItEEEESF_NSA_11use_defaultESM_EENS0_5tupleIJSF_S6_EEENSO_IJSG_SG_EEES6_PlJS6_EEE10hipError_tPvRmT3_T4_T5_T6_T7_T9_mT8_P12ihipStream_tbDpT10_ENKUlT_T0_E_clISt17integral_constantIbLb1EES1A_IbLb0EEEEDaS16_S17_EUlS16_E_NS1_11comp_targetILNS1_3genE8ELNS1_11target_archE1030ELNS1_3gpuE2ELNS1_3repE0EEENS1_30default_config_static_selectorELNS0_4arch9wavefront6targetE0EEEvT1_,"axG",@progbits,_ZN7rocprim17ROCPRIM_400000_NS6detail17trampoline_kernelINS0_14default_configENS1_25partition_config_selectorILNS1_17partition_subalgoE5EtNS0_10empty_typeEbEEZZNS1_14partition_implILS5_5ELb0ES3_mN6thrust23THRUST_200600_302600_NS6detail15normal_iteratorINSA_10device_ptrItEEEEPS6_NSA_18transform_iteratorINSB_9not_fun_tINSA_8identityItEEEESF_NSA_11use_defaultESM_EENS0_5tupleIJSF_S6_EEENSO_IJSG_SG_EEES6_PlJS6_EEE10hipError_tPvRmT3_T4_T5_T6_T7_T9_mT8_P12ihipStream_tbDpT10_ENKUlT_T0_E_clISt17integral_constantIbLb1EES1A_IbLb0EEEEDaS16_S17_EUlS16_E_NS1_11comp_targetILNS1_3genE8ELNS1_11target_archE1030ELNS1_3gpuE2ELNS1_3repE0EEENS1_30default_config_static_selectorELNS0_4arch9wavefront6targetE0EEEvT1_,comdat
	.protected	_ZN7rocprim17ROCPRIM_400000_NS6detail17trampoline_kernelINS0_14default_configENS1_25partition_config_selectorILNS1_17partition_subalgoE5EtNS0_10empty_typeEbEEZZNS1_14partition_implILS5_5ELb0ES3_mN6thrust23THRUST_200600_302600_NS6detail15normal_iteratorINSA_10device_ptrItEEEEPS6_NSA_18transform_iteratorINSB_9not_fun_tINSA_8identityItEEEESF_NSA_11use_defaultESM_EENS0_5tupleIJSF_S6_EEENSO_IJSG_SG_EEES6_PlJS6_EEE10hipError_tPvRmT3_T4_T5_T6_T7_T9_mT8_P12ihipStream_tbDpT10_ENKUlT_T0_E_clISt17integral_constantIbLb1EES1A_IbLb0EEEEDaS16_S17_EUlS16_E_NS1_11comp_targetILNS1_3genE8ELNS1_11target_archE1030ELNS1_3gpuE2ELNS1_3repE0EEENS1_30default_config_static_selectorELNS0_4arch9wavefront6targetE0EEEvT1_ ; -- Begin function _ZN7rocprim17ROCPRIM_400000_NS6detail17trampoline_kernelINS0_14default_configENS1_25partition_config_selectorILNS1_17partition_subalgoE5EtNS0_10empty_typeEbEEZZNS1_14partition_implILS5_5ELb0ES3_mN6thrust23THRUST_200600_302600_NS6detail15normal_iteratorINSA_10device_ptrItEEEEPS6_NSA_18transform_iteratorINSB_9not_fun_tINSA_8identityItEEEESF_NSA_11use_defaultESM_EENS0_5tupleIJSF_S6_EEENSO_IJSG_SG_EEES6_PlJS6_EEE10hipError_tPvRmT3_T4_T5_T6_T7_T9_mT8_P12ihipStream_tbDpT10_ENKUlT_T0_E_clISt17integral_constantIbLb1EES1A_IbLb0EEEEDaS16_S17_EUlS16_E_NS1_11comp_targetILNS1_3genE8ELNS1_11target_archE1030ELNS1_3gpuE2ELNS1_3repE0EEENS1_30default_config_static_selectorELNS0_4arch9wavefront6targetE0EEEvT1_
	.globl	_ZN7rocprim17ROCPRIM_400000_NS6detail17trampoline_kernelINS0_14default_configENS1_25partition_config_selectorILNS1_17partition_subalgoE5EtNS0_10empty_typeEbEEZZNS1_14partition_implILS5_5ELb0ES3_mN6thrust23THRUST_200600_302600_NS6detail15normal_iteratorINSA_10device_ptrItEEEEPS6_NSA_18transform_iteratorINSB_9not_fun_tINSA_8identityItEEEESF_NSA_11use_defaultESM_EENS0_5tupleIJSF_S6_EEENSO_IJSG_SG_EEES6_PlJS6_EEE10hipError_tPvRmT3_T4_T5_T6_T7_T9_mT8_P12ihipStream_tbDpT10_ENKUlT_T0_E_clISt17integral_constantIbLb1EES1A_IbLb0EEEEDaS16_S17_EUlS16_E_NS1_11comp_targetILNS1_3genE8ELNS1_11target_archE1030ELNS1_3gpuE2ELNS1_3repE0EEENS1_30default_config_static_selectorELNS0_4arch9wavefront6targetE0EEEvT1_
	.p2align	8
	.type	_ZN7rocprim17ROCPRIM_400000_NS6detail17trampoline_kernelINS0_14default_configENS1_25partition_config_selectorILNS1_17partition_subalgoE5EtNS0_10empty_typeEbEEZZNS1_14partition_implILS5_5ELb0ES3_mN6thrust23THRUST_200600_302600_NS6detail15normal_iteratorINSA_10device_ptrItEEEEPS6_NSA_18transform_iteratorINSB_9not_fun_tINSA_8identityItEEEESF_NSA_11use_defaultESM_EENS0_5tupleIJSF_S6_EEENSO_IJSG_SG_EEES6_PlJS6_EEE10hipError_tPvRmT3_T4_T5_T6_T7_T9_mT8_P12ihipStream_tbDpT10_ENKUlT_T0_E_clISt17integral_constantIbLb1EES1A_IbLb0EEEEDaS16_S17_EUlS16_E_NS1_11comp_targetILNS1_3genE8ELNS1_11target_archE1030ELNS1_3gpuE2ELNS1_3repE0EEENS1_30default_config_static_selectorELNS0_4arch9wavefront6targetE0EEEvT1_,@function
_ZN7rocprim17ROCPRIM_400000_NS6detail17trampoline_kernelINS0_14default_configENS1_25partition_config_selectorILNS1_17partition_subalgoE5EtNS0_10empty_typeEbEEZZNS1_14partition_implILS5_5ELb0ES3_mN6thrust23THRUST_200600_302600_NS6detail15normal_iteratorINSA_10device_ptrItEEEEPS6_NSA_18transform_iteratorINSB_9not_fun_tINSA_8identityItEEEESF_NSA_11use_defaultESM_EENS0_5tupleIJSF_S6_EEENSO_IJSG_SG_EEES6_PlJS6_EEE10hipError_tPvRmT3_T4_T5_T6_T7_T9_mT8_P12ihipStream_tbDpT10_ENKUlT_T0_E_clISt17integral_constantIbLb1EES1A_IbLb0EEEEDaS16_S17_EUlS16_E_NS1_11comp_targetILNS1_3genE8ELNS1_11target_archE1030ELNS1_3gpuE2ELNS1_3repE0EEENS1_30default_config_static_selectorELNS0_4arch9wavefront6targetE0EEEvT1_: ; @_ZN7rocprim17ROCPRIM_400000_NS6detail17trampoline_kernelINS0_14default_configENS1_25partition_config_selectorILNS1_17partition_subalgoE5EtNS0_10empty_typeEbEEZZNS1_14partition_implILS5_5ELb0ES3_mN6thrust23THRUST_200600_302600_NS6detail15normal_iteratorINSA_10device_ptrItEEEEPS6_NSA_18transform_iteratorINSB_9not_fun_tINSA_8identityItEEEESF_NSA_11use_defaultESM_EENS0_5tupleIJSF_S6_EEENSO_IJSG_SG_EEES6_PlJS6_EEE10hipError_tPvRmT3_T4_T5_T6_T7_T9_mT8_P12ihipStream_tbDpT10_ENKUlT_T0_E_clISt17integral_constantIbLb1EES1A_IbLb0EEEEDaS16_S17_EUlS16_E_NS1_11comp_targetILNS1_3genE8ELNS1_11target_archE1030ELNS1_3gpuE2ELNS1_3repE0EEENS1_30default_config_static_selectorELNS0_4arch9wavefront6targetE0EEEvT1_
; %bb.0:
	.section	.rodata,"a",@progbits
	.p2align	6, 0x0
	.amdhsa_kernel _ZN7rocprim17ROCPRIM_400000_NS6detail17trampoline_kernelINS0_14default_configENS1_25partition_config_selectorILNS1_17partition_subalgoE5EtNS0_10empty_typeEbEEZZNS1_14partition_implILS5_5ELb0ES3_mN6thrust23THRUST_200600_302600_NS6detail15normal_iteratorINSA_10device_ptrItEEEEPS6_NSA_18transform_iteratorINSB_9not_fun_tINSA_8identityItEEEESF_NSA_11use_defaultESM_EENS0_5tupleIJSF_S6_EEENSO_IJSG_SG_EEES6_PlJS6_EEE10hipError_tPvRmT3_T4_T5_T6_T7_T9_mT8_P12ihipStream_tbDpT10_ENKUlT_T0_E_clISt17integral_constantIbLb1EES1A_IbLb0EEEEDaS16_S17_EUlS16_E_NS1_11comp_targetILNS1_3genE8ELNS1_11target_archE1030ELNS1_3gpuE2ELNS1_3repE0EEENS1_30default_config_static_selectorELNS0_4arch9wavefront6targetE0EEEvT1_
		.amdhsa_group_segment_fixed_size 0
		.amdhsa_private_segment_fixed_size 0
		.amdhsa_kernarg_size 120
		.amdhsa_user_sgpr_count 2
		.amdhsa_user_sgpr_dispatch_ptr 0
		.amdhsa_user_sgpr_queue_ptr 0
		.amdhsa_user_sgpr_kernarg_segment_ptr 1
		.amdhsa_user_sgpr_dispatch_id 0
		.amdhsa_user_sgpr_private_segment_size 0
		.amdhsa_wavefront_size32 1
		.amdhsa_uses_dynamic_stack 0
		.amdhsa_enable_private_segment 0
		.amdhsa_system_sgpr_workgroup_id_x 1
		.amdhsa_system_sgpr_workgroup_id_y 0
		.amdhsa_system_sgpr_workgroup_id_z 0
		.amdhsa_system_sgpr_workgroup_info 0
		.amdhsa_system_vgpr_workitem_id 0
		.amdhsa_next_free_vgpr 1
		.amdhsa_next_free_sgpr 1
		.amdhsa_reserve_vcc 0
		.amdhsa_float_round_mode_32 0
		.amdhsa_float_round_mode_16_64 0
		.amdhsa_float_denorm_mode_32 3
		.amdhsa_float_denorm_mode_16_64 3
		.amdhsa_fp16_overflow 0
		.amdhsa_workgroup_processor_mode 1
		.amdhsa_memory_ordered 1
		.amdhsa_forward_progress 1
		.amdhsa_inst_pref_size 0
		.amdhsa_round_robin_scheduling 0
		.amdhsa_exception_fp_ieee_invalid_op 0
		.amdhsa_exception_fp_denorm_src 0
		.amdhsa_exception_fp_ieee_div_zero 0
		.amdhsa_exception_fp_ieee_overflow 0
		.amdhsa_exception_fp_ieee_underflow 0
		.amdhsa_exception_fp_ieee_inexact 0
		.amdhsa_exception_int_div_zero 0
	.end_amdhsa_kernel
	.section	.text._ZN7rocprim17ROCPRIM_400000_NS6detail17trampoline_kernelINS0_14default_configENS1_25partition_config_selectorILNS1_17partition_subalgoE5EtNS0_10empty_typeEbEEZZNS1_14partition_implILS5_5ELb0ES3_mN6thrust23THRUST_200600_302600_NS6detail15normal_iteratorINSA_10device_ptrItEEEEPS6_NSA_18transform_iteratorINSB_9not_fun_tINSA_8identityItEEEESF_NSA_11use_defaultESM_EENS0_5tupleIJSF_S6_EEENSO_IJSG_SG_EEES6_PlJS6_EEE10hipError_tPvRmT3_T4_T5_T6_T7_T9_mT8_P12ihipStream_tbDpT10_ENKUlT_T0_E_clISt17integral_constantIbLb1EES1A_IbLb0EEEEDaS16_S17_EUlS16_E_NS1_11comp_targetILNS1_3genE8ELNS1_11target_archE1030ELNS1_3gpuE2ELNS1_3repE0EEENS1_30default_config_static_selectorELNS0_4arch9wavefront6targetE0EEEvT1_,"axG",@progbits,_ZN7rocprim17ROCPRIM_400000_NS6detail17trampoline_kernelINS0_14default_configENS1_25partition_config_selectorILNS1_17partition_subalgoE5EtNS0_10empty_typeEbEEZZNS1_14partition_implILS5_5ELb0ES3_mN6thrust23THRUST_200600_302600_NS6detail15normal_iteratorINSA_10device_ptrItEEEEPS6_NSA_18transform_iteratorINSB_9not_fun_tINSA_8identityItEEEESF_NSA_11use_defaultESM_EENS0_5tupleIJSF_S6_EEENSO_IJSG_SG_EEES6_PlJS6_EEE10hipError_tPvRmT3_T4_T5_T6_T7_T9_mT8_P12ihipStream_tbDpT10_ENKUlT_T0_E_clISt17integral_constantIbLb1EES1A_IbLb0EEEEDaS16_S17_EUlS16_E_NS1_11comp_targetILNS1_3genE8ELNS1_11target_archE1030ELNS1_3gpuE2ELNS1_3repE0EEENS1_30default_config_static_selectorELNS0_4arch9wavefront6targetE0EEEvT1_,comdat
.Lfunc_end940:
	.size	_ZN7rocprim17ROCPRIM_400000_NS6detail17trampoline_kernelINS0_14default_configENS1_25partition_config_selectorILNS1_17partition_subalgoE5EtNS0_10empty_typeEbEEZZNS1_14partition_implILS5_5ELb0ES3_mN6thrust23THRUST_200600_302600_NS6detail15normal_iteratorINSA_10device_ptrItEEEEPS6_NSA_18transform_iteratorINSB_9not_fun_tINSA_8identityItEEEESF_NSA_11use_defaultESM_EENS0_5tupleIJSF_S6_EEENSO_IJSG_SG_EEES6_PlJS6_EEE10hipError_tPvRmT3_T4_T5_T6_T7_T9_mT8_P12ihipStream_tbDpT10_ENKUlT_T0_E_clISt17integral_constantIbLb1EES1A_IbLb0EEEEDaS16_S17_EUlS16_E_NS1_11comp_targetILNS1_3genE8ELNS1_11target_archE1030ELNS1_3gpuE2ELNS1_3repE0EEENS1_30default_config_static_selectorELNS0_4arch9wavefront6targetE0EEEvT1_, .Lfunc_end940-_ZN7rocprim17ROCPRIM_400000_NS6detail17trampoline_kernelINS0_14default_configENS1_25partition_config_selectorILNS1_17partition_subalgoE5EtNS0_10empty_typeEbEEZZNS1_14partition_implILS5_5ELb0ES3_mN6thrust23THRUST_200600_302600_NS6detail15normal_iteratorINSA_10device_ptrItEEEEPS6_NSA_18transform_iteratorINSB_9not_fun_tINSA_8identityItEEEESF_NSA_11use_defaultESM_EENS0_5tupleIJSF_S6_EEENSO_IJSG_SG_EEES6_PlJS6_EEE10hipError_tPvRmT3_T4_T5_T6_T7_T9_mT8_P12ihipStream_tbDpT10_ENKUlT_T0_E_clISt17integral_constantIbLb1EES1A_IbLb0EEEEDaS16_S17_EUlS16_E_NS1_11comp_targetILNS1_3genE8ELNS1_11target_archE1030ELNS1_3gpuE2ELNS1_3repE0EEENS1_30default_config_static_selectorELNS0_4arch9wavefront6targetE0EEEvT1_
                                        ; -- End function
	.set _ZN7rocprim17ROCPRIM_400000_NS6detail17trampoline_kernelINS0_14default_configENS1_25partition_config_selectorILNS1_17partition_subalgoE5EtNS0_10empty_typeEbEEZZNS1_14partition_implILS5_5ELb0ES3_mN6thrust23THRUST_200600_302600_NS6detail15normal_iteratorINSA_10device_ptrItEEEEPS6_NSA_18transform_iteratorINSB_9not_fun_tINSA_8identityItEEEESF_NSA_11use_defaultESM_EENS0_5tupleIJSF_S6_EEENSO_IJSG_SG_EEES6_PlJS6_EEE10hipError_tPvRmT3_T4_T5_T6_T7_T9_mT8_P12ihipStream_tbDpT10_ENKUlT_T0_E_clISt17integral_constantIbLb1EES1A_IbLb0EEEEDaS16_S17_EUlS16_E_NS1_11comp_targetILNS1_3genE8ELNS1_11target_archE1030ELNS1_3gpuE2ELNS1_3repE0EEENS1_30default_config_static_selectorELNS0_4arch9wavefront6targetE0EEEvT1_.num_vgpr, 0
	.set _ZN7rocprim17ROCPRIM_400000_NS6detail17trampoline_kernelINS0_14default_configENS1_25partition_config_selectorILNS1_17partition_subalgoE5EtNS0_10empty_typeEbEEZZNS1_14partition_implILS5_5ELb0ES3_mN6thrust23THRUST_200600_302600_NS6detail15normal_iteratorINSA_10device_ptrItEEEEPS6_NSA_18transform_iteratorINSB_9not_fun_tINSA_8identityItEEEESF_NSA_11use_defaultESM_EENS0_5tupleIJSF_S6_EEENSO_IJSG_SG_EEES6_PlJS6_EEE10hipError_tPvRmT3_T4_T5_T6_T7_T9_mT8_P12ihipStream_tbDpT10_ENKUlT_T0_E_clISt17integral_constantIbLb1EES1A_IbLb0EEEEDaS16_S17_EUlS16_E_NS1_11comp_targetILNS1_3genE8ELNS1_11target_archE1030ELNS1_3gpuE2ELNS1_3repE0EEENS1_30default_config_static_selectorELNS0_4arch9wavefront6targetE0EEEvT1_.num_agpr, 0
	.set _ZN7rocprim17ROCPRIM_400000_NS6detail17trampoline_kernelINS0_14default_configENS1_25partition_config_selectorILNS1_17partition_subalgoE5EtNS0_10empty_typeEbEEZZNS1_14partition_implILS5_5ELb0ES3_mN6thrust23THRUST_200600_302600_NS6detail15normal_iteratorINSA_10device_ptrItEEEEPS6_NSA_18transform_iteratorINSB_9not_fun_tINSA_8identityItEEEESF_NSA_11use_defaultESM_EENS0_5tupleIJSF_S6_EEENSO_IJSG_SG_EEES6_PlJS6_EEE10hipError_tPvRmT3_T4_T5_T6_T7_T9_mT8_P12ihipStream_tbDpT10_ENKUlT_T0_E_clISt17integral_constantIbLb1EES1A_IbLb0EEEEDaS16_S17_EUlS16_E_NS1_11comp_targetILNS1_3genE8ELNS1_11target_archE1030ELNS1_3gpuE2ELNS1_3repE0EEENS1_30default_config_static_selectorELNS0_4arch9wavefront6targetE0EEEvT1_.numbered_sgpr, 0
	.set _ZN7rocprim17ROCPRIM_400000_NS6detail17trampoline_kernelINS0_14default_configENS1_25partition_config_selectorILNS1_17partition_subalgoE5EtNS0_10empty_typeEbEEZZNS1_14partition_implILS5_5ELb0ES3_mN6thrust23THRUST_200600_302600_NS6detail15normal_iteratorINSA_10device_ptrItEEEEPS6_NSA_18transform_iteratorINSB_9not_fun_tINSA_8identityItEEEESF_NSA_11use_defaultESM_EENS0_5tupleIJSF_S6_EEENSO_IJSG_SG_EEES6_PlJS6_EEE10hipError_tPvRmT3_T4_T5_T6_T7_T9_mT8_P12ihipStream_tbDpT10_ENKUlT_T0_E_clISt17integral_constantIbLb1EES1A_IbLb0EEEEDaS16_S17_EUlS16_E_NS1_11comp_targetILNS1_3genE8ELNS1_11target_archE1030ELNS1_3gpuE2ELNS1_3repE0EEENS1_30default_config_static_selectorELNS0_4arch9wavefront6targetE0EEEvT1_.num_named_barrier, 0
	.set _ZN7rocprim17ROCPRIM_400000_NS6detail17trampoline_kernelINS0_14default_configENS1_25partition_config_selectorILNS1_17partition_subalgoE5EtNS0_10empty_typeEbEEZZNS1_14partition_implILS5_5ELb0ES3_mN6thrust23THRUST_200600_302600_NS6detail15normal_iteratorINSA_10device_ptrItEEEEPS6_NSA_18transform_iteratorINSB_9not_fun_tINSA_8identityItEEEESF_NSA_11use_defaultESM_EENS0_5tupleIJSF_S6_EEENSO_IJSG_SG_EEES6_PlJS6_EEE10hipError_tPvRmT3_T4_T5_T6_T7_T9_mT8_P12ihipStream_tbDpT10_ENKUlT_T0_E_clISt17integral_constantIbLb1EES1A_IbLb0EEEEDaS16_S17_EUlS16_E_NS1_11comp_targetILNS1_3genE8ELNS1_11target_archE1030ELNS1_3gpuE2ELNS1_3repE0EEENS1_30default_config_static_selectorELNS0_4arch9wavefront6targetE0EEEvT1_.private_seg_size, 0
	.set _ZN7rocprim17ROCPRIM_400000_NS6detail17trampoline_kernelINS0_14default_configENS1_25partition_config_selectorILNS1_17partition_subalgoE5EtNS0_10empty_typeEbEEZZNS1_14partition_implILS5_5ELb0ES3_mN6thrust23THRUST_200600_302600_NS6detail15normal_iteratorINSA_10device_ptrItEEEEPS6_NSA_18transform_iteratorINSB_9not_fun_tINSA_8identityItEEEESF_NSA_11use_defaultESM_EENS0_5tupleIJSF_S6_EEENSO_IJSG_SG_EEES6_PlJS6_EEE10hipError_tPvRmT3_T4_T5_T6_T7_T9_mT8_P12ihipStream_tbDpT10_ENKUlT_T0_E_clISt17integral_constantIbLb1EES1A_IbLb0EEEEDaS16_S17_EUlS16_E_NS1_11comp_targetILNS1_3genE8ELNS1_11target_archE1030ELNS1_3gpuE2ELNS1_3repE0EEENS1_30default_config_static_selectorELNS0_4arch9wavefront6targetE0EEEvT1_.uses_vcc, 0
	.set _ZN7rocprim17ROCPRIM_400000_NS6detail17trampoline_kernelINS0_14default_configENS1_25partition_config_selectorILNS1_17partition_subalgoE5EtNS0_10empty_typeEbEEZZNS1_14partition_implILS5_5ELb0ES3_mN6thrust23THRUST_200600_302600_NS6detail15normal_iteratorINSA_10device_ptrItEEEEPS6_NSA_18transform_iteratorINSB_9not_fun_tINSA_8identityItEEEESF_NSA_11use_defaultESM_EENS0_5tupleIJSF_S6_EEENSO_IJSG_SG_EEES6_PlJS6_EEE10hipError_tPvRmT3_T4_T5_T6_T7_T9_mT8_P12ihipStream_tbDpT10_ENKUlT_T0_E_clISt17integral_constantIbLb1EES1A_IbLb0EEEEDaS16_S17_EUlS16_E_NS1_11comp_targetILNS1_3genE8ELNS1_11target_archE1030ELNS1_3gpuE2ELNS1_3repE0EEENS1_30default_config_static_selectorELNS0_4arch9wavefront6targetE0EEEvT1_.uses_flat_scratch, 0
	.set _ZN7rocprim17ROCPRIM_400000_NS6detail17trampoline_kernelINS0_14default_configENS1_25partition_config_selectorILNS1_17partition_subalgoE5EtNS0_10empty_typeEbEEZZNS1_14partition_implILS5_5ELb0ES3_mN6thrust23THRUST_200600_302600_NS6detail15normal_iteratorINSA_10device_ptrItEEEEPS6_NSA_18transform_iteratorINSB_9not_fun_tINSA_8identityItEEEESF_NSA_11use_defaultESM_EENS0_5tupleIJSF_S6_EEENSO_IJSG_SG_EEES6_PlJS6_EEE10hipError_tPvRmT3_T4_T5_T6_T7_T9_mT8_P12ihipStream_tbDpT10_ENKUlT_T0_E_clISt17integral_constantIbLb1EES1A_IbLb0EEEEDaS16_S17_EUlS16_E_NS1_11comp_targetILNS1_3genE8ELNS1_11target_archE1030ELNS1_3gpuE2ELNS1_3repE0EEENS1_30default_config_static_selectorELNS0_4arch9wavefront6targetE0EEEvT1_.has_dyn_sized_stack, 0
	.set _ZN7rocprim17ROCPRIM_400000_NS6detail17trampoline_kernelINS0_14default_configENS1_25partition_config_selectorILNS1_17partition_subalgoE5EtNS0_10empty_typeEbEEZZNS1_14partition_implILS5_5ELb0ES3_mN6thrust23THRUST_200600_302600_NS6detail15normal_iteratorINSA_10device_ptrItEEEEPS6_NSA_18transform_iteratorINSB_9not_fun_tINSA_8identityItEEEESF_NSA_11use_defaultESM_EENS0_5tupleIJSF_S6_EEENSO_IJSG_SG_EEES6_PlJS6_EEE10hipError_tPvRmT3_T4_T5_T6_T7_T9_mT8_P12ihipStream_tbDpT10_ENKUlT_T0_E_clISt17integral_constantIbLb1EES1A_IbLb0EEEEDaS16_S17_EUlS16_E_NS1_11comp_targetILNS1_3genE8ELNS1_11target_archE1030ELNS1_3gpuE2ELNS1_3repE0EEENS1_30default_config_static_selectorELNS0_4arch9wavefront6targetE0EEEvT1_.has_recursion, 0
	.set _ZN7rocprim17ROCPRIM_400000_NS6detail17trampoline_kernelINS0_14default_configENS1_25partition_config_selectorILNS1_17partition_subalgoE5EtNS0_10empty_typeEbEEZZNS1_14partition_implILS5_5ELb0ES3_mN6thrust23THRUST_200600_302600_NS6detail15normal_iteratorINSA_10device_ptrItEEEEPS6_NSA_18transform_iteratorINSB_9not_fun_tINSA_8identityItEEEESF_NSA_11use_defaultESM_EENS0_5tupleIJSF_S6_EEENSO_IJSG_SG_EEES6_PlJS6_EEE10hipError_tPvRmT3_T4_T5_T6_T7_T9_mT8_P12ihipStream_tbDpT10_ENKUlT_T0_E_clISt17integral_constantIbLb1EES1A_IbLb0EEEEDaS16_S17_EUlS16_E_NS1_11comp_targetILNS1_3genE8ELNS1_11target_archE1030ELNS1_3gpuE2ELNS1_3repE0EEENS1_30default_config_static_selectorELNS0_4arch9wavefront6targetE0EEEvT1_.has_indirect_call, 0
	.section	.AMDGPU.csdata,"",@progbits
; Kernel info:
; codeLenInByte = 0
; TotalNumSgprs: 0
; NumVgprs: 0
; ScratchSize: 0
; MemoryBound: 0
; FloatMode: 240
; IeeeMode: 1
; LDSByteSize: 0 bytes/workgroup (compile time only)
; SGPRBlocks: 0
; VGPRBlocks: 0
; NumSGPRsForWavesPerEU: 1
; NumVGPRsForWavesPerEU: 1
; Occupancy: 16
; WaveLimiterHint : 0
; COMPUTE_PGM_RSRC2:SCRATCH_EN: 0
; COMPUTE_PGM_RSRC2:USER_SGPR: 2
; COMPUTE_PGM_RSRC2:TRAP_HANDLER: 0
; COMPUTE_PGM_RSRC2:TGID_X_EN: 1
; COMPUTE_PGM_RSRC2:TGID_Y_EN: 0
; COMPUTE_PGM_RSRC2:TGID_Z_EN: 0
; COMPUTE_PGM_RSRC2:TIDIG_COMP_CNT: 0
	.section	.text._ZN7rocprim17ROCPRIM_400000_NS6detail17trampoline_kernelINS0_14default_configENS1_25partition_config_selectorILNS1_17partition_subalgoE5EtNS0_10empty_typeEbEEZZNS1_14partition_implILS5_5ELb0ES3_mN6thrust23THRUST_200600_302600_NS6detail15normal_iteratorINSA_10device_ptrItEEEEPS6_NSA_18transform_iteratorINSB_9not_fun_tINSA_8identityItEEEESF_NSA_11use_defaultESM_EENS0_5tupleIJSF_S6_EEENSO_IJSG_SG_EEES6_PlJS6_EEE10hipError_tPvRmT3_T4_T5_T6_T7_T9_mT8_P12ihipStream_tbDpT10_ENKUlT_T0_E_clISt17integral_constantIbLb0EES1A_IbLb1EEEEDaS16_S17_EUlS16_E_NS1_11comp_targetILNS1_3genE0ELNS1_11target_archE4294967295ELNS1_3gpuE0ELNS1_3repE0EEENS1_30default_config_static_selectorELNS0_4arch9wavefront6targetE0EEEvT1_,"axG",@progbits,_ZN7rocprim17ROCPRIM_400000_NS6detail17trampoline_kernelINS0_14default_configENS1_25partition_config_selectorILNS1_17partition_subalgoE5EtNS0_10empty_typeEbEEZZNS1_14partition_implILS5_5ELb0ES3_mN6thrust23THRUST_200600_302600_NS6detail15normal_iteratorINSA_10device_ptrItEEEEPS6_NSA_18transform_iteratorINSB_9not_fun_tINSA_8identityItEEEESF_NSA_11use_defaultESM_EENS0_5tupleIJSF_S6_EEENSO_IJSG_SG_EEES6_PlJS6_EEE10hipError_tPvRmT3_T4_T5_T6_T7_T9_mT8_P12ihipStream_tbDpT10_ENKUlT_T0_E_clISt17integral_constantIbLb0EES1A_IbLb1EEEEDaS16_S17_EUlS16_E_NS1_11comp_targetILNS1_3genE0ELNS1_11target_archE4294967295ELNS1_3gpuE0ELNS1_3repE0EEENS1_30default_config_static_selectorELNS0_4arch9wavefront6targetE0EEEvT1_,comdat
	.protected	_ZN7rocprim17ROCPRIM_400000_NS6detail17trampoline_kernelINS0_14default_configENS1_25partition_config_selectorILNS1_17partition_subalgoE5EtNS0_10empty_typeEbEEZZNS1_14partition_implILS5_5ELb0ES3_mN6thrust23THRUST_200600_302600_NS6detail15normal_iteratorINSA_10device_ptrItEEEEPS6_NSA_18transform_iteratorINSB_9not_fun_tINSA_8identityItEEEESF_NSA_11use_defaultESM_EENS0_5tupleIJSF_S6_EEENSO_IJSG_SG_EEES6_PlJS6_EEE10hipError_tPvRmT3_T4_T5_T6_T7_T9_mT8_P12ihipStream_tbDpT10_ENKUlT_T0_E_clISt17integral_constantIbLb0EES1A_IbLb1EEEEDaS16_S17_EUlS16_E_NS1_11comp_targetILNS1_3genE0ELNS1_11target_archE4294967295ELNS1_3gpuE0ELNS1_3repE0EEENS1_30default_config_static_selectorELNS0_4arch9wavefront6targetE0EEEvT1_ ; -- Begin function _ZN7rocprim17ROCPRIM_400000_NS6detail17trampoline_kernelINS0_14default_configENS1_25partition_config_selectorILNS1_17partition_subalgoE5EtNS0_10empty_typeEbEEZZNS1_14partition_implILS5_5ELb0ES3_mN6thrust23THRUST_200600_302600_NS6detail15normal_iteratorINSA_10device_ptrItEEEEPS6_NSA_18transform_iteratorINSB_9not_fun_tINSA_8identityItEEEESF_NSA_11use_defaultESM_EENS0_5tupleIJSF_S6_EEENSO_IJSG_SG_EEES6_PlJS6_EEE10hipError_tPvRmT3_T4_T5_T6_T7_T9_mT8_P12ihipStream_tbDpT10_ENKUlT_T0_E_clISt17integral_constantIbLb0EES1A_IbLb1EEEEDaS16_S17_EUlS16_E_NS1_11comp_targetILNS1_3genE0ELNS1_11target_archE4294967295ELNS1_3gpuE0ELNS1_3repE0EEENS1_30default_config_static_selectorELNS0_4arch9wavefront6targetE0EEEvT1_
	.globl	_ZN7rocprim17ROCPRIM_400000_NS6detail17trampoline_kernelINS0_14default_configENS1_25partition_config_selectorILNS1_17partition_subalgoE5EtNS0_10empty_typeEbEEZZNS1_14partition_implILS5_5ELb0ES3_mN6thrust23THRUST_200600_302600_NS6detail15normal_iteratorINSA_10device_ptrItEEEEPS6_NSA_18transform_iteratorINSB_9not_fun_tINSA_8identityItEEEESF_NSA_11use_defaultESM_EENS0_5tupleIJSF_S6_EEENSO_IJSG_SG_EEES6_PlJS6_EEE10hipError_tPvRmT3_T4_T5_T6_T7_T9_mT8_P12ihipStream_tbDpT10_ENKUlT_T0_E_clISt17integral_constantIbLb0EES1A_IbLb1EEEEDaS16_S17_EUlS16_E_NS1_11comp_targetILNS1_3genE0ELNS1_11target_archE4294967295ELNS1_3gpuE0ELNS1_3repE0EEENS1_30default_config_static_selectorELNS0_4arch9wavefront6targetE0EEEvT1_
	.p2align	8
	.type	_ZN7rocprim17ROCPRIM_400000_NS6detail17trampoline_kernelINS0_14default_configENS1_25partition_config_selectorILNS1_17partition_subalgoE5EtNS0_10empty_typeEbEEZZNS1_14partition_implILS5_5ELb0ES3_mN6thrust23THRUST_200600_302600_NS6detail15normal_iteratorINSA_10device_ptrItEEEEPS6_NSA_18transform_iteratorINSB_9not_fun_tINSA_8identityItEEEESF_NSA_11use_defaultESM_EENS0_5tupleIJSF_S6_EEENSO_IJSG_SG_EEES6_PlJS6_EEE10hipError_tPvRmT3_T4_T5_T6_T7_T9_mT8_P12ihipStream_tbDpT10_ENKUlT_T0_E_clISt17integral_constantIbLb0EES1A_IbLb1EEEEDaS16_S17_EUlS16_E_NS1_11comp_targetILNS1_3genE0ELNS1_11target_archE4294967295ELNS1_3gpuE0ELNS1_3repE0EEENS1_30default_config_static_selectorELNS0_4arch9wavefront6targetE0EEEvT1_,@function
_ZN7rocprim17ROCPRIM_400000_NS6detail17trampoline_kernelINS0_14default_configENS1_25partition_config_selectorILNS1_17partition_subalgoE5EtNS0_10empty_typeEbEEZZNS1_14partition_implILS5_5ELb0ES3_mN6thrust23THRUST_200600_302600_NS6detail15normal_iteratorINSA_10device_ptrItEEEEPS6_NSA_18transform_iteratorINSB_9not_fun_tINSA_8identityItEEEESF_NSA_11use_defaultESM_EENS0_5tupleIJSF_S6_EEENSO_IJSG_SG_EEES6_PlJS6_EEE10hipError_tPvRmT3_T4_T5_T6_T7_T9_mT8_P12ihipStream_tbDpT10_ENKUlT_T0_E_clISt17integral_constantIbLb0EES1A_IbLb1EEEEDaS16_S17_EUlS16_E_NS1_11comp_targetILNS1_3genE0ELNS1_11target_archE4294967295ELNS1_3gpuE0ELNS1_3repE0EEENS1_30default_config_static_selectorELNS0_4arch9wavefront6targetE0EEEvT1_: ; @_ZN7rocprim17ROCPRIM_400000_NS6detail17trampoline_kernelINS0_14default_configENS1_25partition_config_selectorILNS1_17partition_subalgoE5EtNS0_10empty_typeEbEEZZNS1_14partition_implILS5_5ELb0ES3_mN6thrust23THRUST_200600_302600_NS6detail15normal_iteratorINSA_10device_ptrItEEEEPS6_NSA_18transform_iteratorINSB_9not_fun_tINSA_8identityItEEEESF_NSA_11use_defaultESM_EENS0_5tupleIJSF_S6_EEENSO_IJSG_SG_EEES6_PlJS6_EEE10hipError_tPvRmT3_T4_T5_T6_T7_T9_mT8_P12ihipStream_tbDpT10_ENKUlT_T0_E_clISt17integral_constantIbLb0EES1A_IbLb1EEEEDaS16_S17_EUlS16_E_NS1_11comp_targetILNS1_3genE0ELNS1_11target_archE4294967295ELNS1_3gpuE0ELNS1_3repE0EEENS1_30default_config_static_selectorELNS0_4arch9wavefront6targetE0EEEvT1_
; %bb.0:
	.section	.rodata,"a",@progbits
	.p2align	6, 0x0
	.amdhsa_kernel _ZN7rocprim17ROCPRIM_400000_NS6detail17trampoline_kernelINS0_14default_configENS1_25partition_config_selectorILNS1_17partition_subalgoE5EtNS0_10empty_typeEbEEZZNS1_14partition_implILS5_5ELb0ES3_mN6thrust23THRUST_200600_302600_NS6detail15normal_iteratorINSA_10device_ptrItEEEEPS6_NSA_18transform_iteratorINSB_9not_fun_tINSA_8identityItEEEESF_NSA_11use_defaultESM_EENS0_5tupleIJSF_S6_EEENSO_IJSG_SG_EEES6_PlJS6_EEE10hipError_tPvRmT3_T4_T5_T6_T7_T9_mT8_P12ihipStream_tbDpT10_ENKUlT_T0_E_clISt17integral_constantIbLb0EES1A_IbLb1EEEEDaS16_S17_EUlS16_E_NS1_11comp_targetILNS1_3genE0ELNS1_11target_archE4294967295ELNS1_3gpuE0ELNS1_3repE0EEENS1_30default_config_static_selectorELNS0_4arch9wavefront6targetE0EEEvT1_
		.amdhsa_group_segment_fixed_size 0
		.amdhsa_private_segment_fixed_size 0
		.amdhsa_kernarg_size 136
		.amdhsa_user_sgpr_count 2
		.amdhsa_user_sgpr_dispatch_ptr 0
		.amdhsa_user_sgpr_queue_ptr 0
		.amdhsa_user_sgpr_kernarg_segment_ptr 1
		.amdhsa_user_sgpr_dispatch_id 0
		.amdhsa_user_sgpr_private_segment_size 0
		.amdhsa_wavefront_size32 1
		.amdhsa_uses_dynamic_stack 0
		.amdhsa_enable_private_segment 0
		.amdhsa_system_sgpr_workgroup_id_x 1
		.amdhsa_system_sgpr_workgroup_id_y 0
		.amdhsa_system_sgpr_workgroup_id_z 0
		.amdhsa_system_sgpr_workgroup_info 0
		.amdhsa_system_vgpr_workitem_id 0
		.amdhsa_next_free_vgpr 1
		.amdhsa_next_free_sgpr 1
		.amdhsa_reserve_vcc 0
		.amdhsa_float_round_mode_32 0
		.amdhsa_float_round_mode_16_64 0
		.amdhsa_float_denorm_mode_32 3
		.amdhsa_float_denorm_mode_16_64 3
		.amdhsa_fp16_overflow 0
		.amdhsa_workgroup_processor_mode 1
		.amdhsa_memory_ordered 1
		.amdhsa_forward_progress 1
		.amdhsa_inst_pref_size 0
		.amdhsa_round_robin_scheduling 0
		.amdhsa_exception_fp_ieee_invalid_op 0
		.amdhsa_exception_fp_denorm_src 0
		.amdhsa_exception_fp_ieee_div_zero 0
		.amdhsa_exception_fp_ieee_overflow 0
		.amdhsa_exception_fp_ieee_underflow 0
		.amdhsa_exception_fp_ieee_inexact 0
		.amdhsa_exception_int_div_zero 0
	.end_amdhsa_kernel
	.section	.text._ZN7rocprim17ROCPRIM_400000_NS6detail17trampoline_kernelINS0_14default_configENS1_25partition_config_selectorILNS1_17partition_subalgoE5EtNS0_10empty_typeEbEEZZNS1_14partition_implILS5_5ELb0ES3_mN6thrust23THRUST_200600_302600_NS6detail15normal_iteratorINSA_10device_ptrItEEEEPS6_NSA_18transform_iteratorINSB_9not_fun_tINSA_8identityItEEEESF_NSA_11use_defaultESM_EENS0_5tupleIJSF_S6_EEENSO_IJSG_SG_EEES6_PlJS6_EEE10hipError_tPvRmT3_T4_T5_T6_T7_T9_mT8_P12ihipStream_tbDpT10_ENKUlT_T0_E_clISt17integral_constantIbLb0EES1A_IbLb1EEEEDaS16_S17_EUlS16_E_NS1_11comp_targetILNS1_3genE0ELNS1_11target_archE4294967295ELNS1_3gpuE0ELNS1_3repE0EEENS1_30default_config_static_selectorELNS0_4arch9wavefront6targetE0EEEvT1_,"axG",@progbits,_ZN7rocprim17ROCPRIM_400000_NS6detail17trampoline_kernelINS0_14default_configENS1_25partition_config_selectorILNS1_17partition_subalgoE5EtNS0_10empty_typeEbEEZZNS1_14partition_implILS5_5ELb0ES3_mN6thrust23THRUST_200600_302600_NS6detail15normal_iteratorINSA_10device_ptrItEEEEPS6_NSA_18transform_iteratorINSB_9not_fun_tINSA_8identityItEEEESF_NSA_11use_defaultESM_EENS0_5tupleIJSF_S6_EEENSO_IJSG_SG_EEES6_PlJS6_EEE10hipError_tPvRmT3_T4_T5_T6_T7_T9_mT8_P12ihipStream_tbDpT10_ENKUlT_T0_E_clISt17integral_constantIbLb0EES1A_IbLb1EEEEDaS16_S17_EUlS16_E_NS1_11comp_targetILNS1_3genE0ELNS1_11target_archE4294967295ELNS1_3gpuE0ELNS1_3repE0EEENS1_30default_config_static_selectorELNS0_4arch9wavefront6targetE0EEEvT1_,comdat
.Lfunc_end941:
	.size	_ZN7rocprim17ROCPRIM_400000_NS6detail17trampoline_kernelINS0_14default_configENS1_25partition_config_selectorILNS1_17partition_subalgoE5EtNS0_10empty_typeEbEEZZNS1_14partition_implILS5_5ELb0ES3_mN6thrust23THRUST_200600_302600_NS6detail15normal_iteratorINSA_10device_ptrItEEEEPS6_NSA_18transform_iteratorINSB_9not_fun_tINSA_8identityItEEEESF_NSA_11use_defaultESM_EENS0_5tupleIJSF_S6_EEENSO_IJSG_SG_EEES6_PlJS6_EEE10hipError_tPvRmT3_T4_T5_T6_T7_T9_mT8_P12ihipStream_tbDpT10_ENKUlT_T0_E_clISt17integral_constantIbLb0EES1A_IbLb1EEEEDaS16_S17_EUlS16_E_NS1_11comp_targetILNS1_3genE0ELNS1_11target_archE4294967295ELNS1_3gpuE0ELNS1_3repE0EEENS1_30default_config_static_selectorELNS0_4arch9wavefront6targetE0EEEvT1_, .Lfunc_end941-_ZN7rocprim17ROCPRIM_400000_NS6detail17trampoline_kernelINS0_14default_configENS1_25partition_config_selectorILNS1_17partition_subalgoE5EtNS0_10empty_typeEbEEZZNS1_14partition_implILS5_5ELb0ES3_mN6thrust23THRUST_200600_302600_NS6detail15normal_iteratorINSA_10device_ptrItEEEEPS6_NSA_18transform_iteratorINSB_9not_fun_tINSA_8identityItEEEESF_NSA_11use_defaultESM_EENS0_5tupleIJSF_S6_EEENSO_IJSG_SG_EEES6_PlJS6_EEE10hipError_tPvRmT3_T4_T5_T6_T7_T9_mT8_P12ihipStream_tbDpT10_ENKUlT_T0_E_clISt17integral_constantIbLb0EES1A_IbLb1EEEEDaS16_S17_EUlS16_E_NS1_11comp_targetILNS1_3genE0ELNS1_11target_archE4294967295ELNS1_3gpuE0ELNS1_3repE0EEENS1_30default_config_static_selectorELNS0_4arch9wavefront6targetE0EEEvT1_
                                        ; -- End function
	.set _ZN7rocprim17ROCPRIM_400000_NS6detail17trampoline_kernelINS0_14default_configENS1_25partition_config_selectorILNS1_17partition_subalgoE5EtNS0_10empty_typeEbEEZZNS1_14partition_implILS5_5ELb0ES3_mN6thrust23THRUST_200600_302600_NS6detail15normal_iteratorINSA_10device_ptrItEEEEPS6_NSA_18transform_iteratorINSB_9not_fun_tINSA_8identityItEEEESF_NSA_11use_defaultESM_EENS0_5tupleIJSF_S6_EEENSO_IJSG_SG_EEES6_PlJS6_EEE10hipError_tPvRmT3_T4_T5_T6_T7_T9_mT8_P12ihipStream_tbDpT10_ENKUlT_T0_E_clISt17integral_constantIbLb0EES1A_IbLb1EEEEDaS16_S17_EUlS16_E_NS1_11comp_targetILNS1_3genE0ELNS1_11target_archE4294967295ELNS1_3gpuE0ELNS1_3repE0EEENS1_30default_config_static_selectorELNS0_4arch9wavefront6targetE0EEEvT1_.num_vgpr, 0
	.set _ZN7rocprim17ROCPRIM_400000_NS6detail17trampoline_kernelINS0_14default_configENS1_25partition_config_selectorILNS1_17partition_subalgoE5EtNS0_10empty_typeEbEEZZNS1_14partition_implILS5_5ELb0ES3_mN6thrust23THRUST_200600_302600_NS6detail15normal_iteratorINSA_10device_ptrItEEEEPS6_NSA_18transform_iteratorINSB_9not_fun_tINSA_8identityItEEEESF_NSA_11use_defaultESM_EENS0_5tupleIJSF_S6_EEENSO_IJSG_SG_EEES6_PlJS6_EEE10hipError_tPvRmT3_T4_T5_T6_T7_T9_mT8_P12ihipStream_tbDpT10_ENKUlT_T0_E_clISt17integral_constantIbLb0EES1A_IbLb1EEEEDaS16_S17_EUlS16_E_NS1_11comp_targetILNS1_3genE0ELNS1_11target_archE4294967295ELNS1_3gpuE0ELNS1_3repE0EEENS1_30default_config_static_selectorELNS0_4arch9wavefront6targetE0EEEvT1_.num_agpr, 0
	.set _ZN7rocprim17ROCPRIM_400000_NS6detail17trampoline_kernelINS0_14default_configENS1_25partition_config_selectorILNS1_17partition_subalgoE5EtNS0_10empty_typeEbEEZZNS1_14partition_implILS5_5ELb0ES3_mN6thrust23THRUST_200600_302600_NS6detail15normal_iteratorINSA_10device_ptrItEEEEPS6_NSA_18transform_iteratorINSB_9not_fun_tINSA_8identityItEEEESF_NSA_11use_defaultESM_EENS0_5tupleIJSF_S6_EEENSO_IJSG_SG_EEES6_PlJS6_EEE10hipError_tPvRmT3_T4_T5_T6_T7_T9_mT8_P12ihipStream_tbDpT10_ENKUlT_T0_E_clISt17integral_constantIbLb0EES1A_IbLb1EEEEDaS16_S17_EUlS16_E_NS1_11comp_targetILNS1_3genE0ELNS1_11target_archE4294967295ELNS1_3gpuE0ELNS1_3repE0EEENS1_30default_config_static_selectorELNS0_4arch9wavefront6targetE0EEEvT1_.numbered_sgpr, 0
	.set _ZN7rocprim17ROCPRIM_400000_NS6detail17trampoline_kernelINS0_14default_configENS1_25partition_config_selectorILNS1_17partition_subalgoE5EtNS0_10empty_typeEbEEZZNS1_14partition_implILS5_5ELb0ES3_mN6thrust23THRUST_200600_302600_NS6detail15normal_iteratorINSA_10device_ptrItEEEEPS6_NSA_18transform_iteratorINSB_9not_fun_tINSA_8identityItEEEESF_NSA_11use_defaultESM_EENS0_5tupleIJSF_S6_EEENSO_IJSG_SG_EEES6_PlJS6_EEE10hipError_tPvRmT3_T4_T5_T6_T7_T9_mT8_P12ihipStream_tbDpT10_ENKUlT_T0_E_clISt17integral_constantIbLb0EES1A_IbLb1EEEEDaS16_S17_EUlS16_E_NS1_11comp_targetILNS1_3genE0ELNS1_11target_archE4294967295ELNS1_3gpuE0ELNS1_3repE0EEENS1_30default_config_static_selectorELNS0_4arch9wavefront6targetE0EEEvT1_.num_named_barrier, 0
	.set _ZN7rocprim17ROCPRIM_400000_NS6detail17trampoline_kernelINS0_14default_configENS1_25partition_config_selectorILNS1_17partition_subalgoE5EtNS0_10empty_typeEbEEZZNS1_14partition_implILS5_5ELb0ES3_mN6thrust23THRUST_200600_302600_NS6detail15normal_iteratorINSA_10device_ptrItEEEEPS6_NSA_18transform_iteratorINSB_9not_fun_tINSA_8identityItEEEESF_NSA_11use_defaultESM_EENS0_5tupleIJSF_S6_EEENSO_IJSG_SG_EEES6_PlJS6_EEE10hipError_tPvRmT3_T4_T5_T6_T7_T9_mT8_P12ihipStream_tbDpT10_ENKUlT_T0_E_clISt17integral_constantIbLb0EES1A_IbLb1EEEEDaS16_S17_EUlS16_E_NS1_11comp_targetILNS1_3genE0ELNS1_11target_archE4294967295ELNS1_3gpuE0ELNS1_3repE0EEENS1_30default_config_static_selectorELNS0_4arch9wavefront6targetE0EEEvT1_.private_seg_size, 0
	.set _ZN7rocprim17ROCPRIM_400000_NS6detail17trampoline_kernelINS0_14default_configENS1_25partition_config_selectorILNS1_17partition_subalgoE5EtNS0_10empty_typeEbEEZZNS1_14partition_implILS5_5ELb0ES3_mN6thrust23THRUST_200600_302600_NS6detail15normal_iteratorINSA_10device_ptrItEEEEPS6_NSA_18transform_iteratorINSB_9not_fun_tINSA_8identityItEEEESF_NSA_11use_defaultESM_EENS0_5tupleIJSF_S6_EEENSO_IJSG_SG_EEES6_PlJS6_EEE10hipError_tPvRmT3_T4_T5_T6_T7_T9_mT8_P12ihipStream_tbDpT10_ENKUlT_T0_E_clISt17integral_constantIbLb0EES1A_IbLb1EEEEDaS16_S17_EUlS16_E_NS1_11comp_targetILNS1_3genE0ELNS1_11target_archE4294967295ELNS1_3gpuE0ELNS1_3repE0EEENS1_30default_config_static_selectorELNS0_4arch9wavefront6targetE0EEEvT1_.uses_vcc, 0
	.set _ZN7rocprim17ROCPRIM_400000_NS6detail17trampoline_kernelINS0_14default_configENS1_25partition_config_selectorILNS1_17partition_subalgoE5EtNS0_10empty_typeEbEEZZNS1_14partition_implILS5_5ELb0ES3_mN6thrust23THRUST_200600_302600_NS6detail15normal_iteratorINSA_10device_ptrItEEEEPS6_NSA_18transform_iteratorINSB_9not_fun_tINSA_8identityItEEEESF_NSA_11use_defaultESM_EENS0_5tupleIJSF_S6_EEENSO_IJSG_SG_EEES6_PlJS6_EEE10hipError_tPvRmT3_T4_T5_T6_T7_T9_mT8_P12ihipStream_tbDpT10_ENKUlT_T0_E_clISt17integral_constantIbLb0EES1A_IbLb1EEEEDaS16_S17_EUlS16_E_NS1_11comp_targetILNS1_3genE0ELNS1_11target_archE4294967295ELNS1_3gpuE0ELNS1_3repE0EEENS1_30default_config_static_selectorELNS0_4arch9wavefront6targetE0EEEvT1_.uses_flat_scratch, 0
	.set _ZN7rocprim17ROCPRIM_400000_NS6detail17trampoline_kernelINS0_14default_configENS1_25partition_config_selectorILNS1_17partition_subalgoE5EtNS0_10empty_typeEbEEZZNS1_14partition_implILS5_5ELb0ES3_mN6thrust23THRUST_200600_302600_NS6detail15normal_iteratorINSA_10device_ptrItEEEEPS6_NSA_18transform_iteratorINSB_9not_fun_tINSA_8identityItEEEESF_NSA_11use_defaultESM_EENS0_5tupleIJSF_S6_EEENSO_IJSG_SG_EEES6_PlJS6_EEE10hipError_tPvRmT3_T4_T5_T6_T7_T9_mT8_P12ihipStream_tbDpT10_ENKUlT_T0_E_clISt17integral_constantIbLb0EES1A_IbLb1EEEEDaS16_S17_EUlS16_E_NS1_11comp_targetILNS1_3genE0ELNS1_11target_archE4294967295ELNS1_3gpuE0ELNS1_3repE0EEENS1_30default_config_static_selectorELNS0_4arch9wavefront6targetE0EEEvT1_.has_dyn_sized_stack, 0
	.set _ZN7rocprim17ROCPRIM_400000_NS6detail17trampoline_kernelINS0_14default_configENS1_25partition_config_selectorILNS1_17partition_subalgoE5EtNS0_10empty_typeEbEEZZNS1_14partition_implILS5_5ELb0ES3_mN6thrust23THRUST_200600_302600_NS6detail15normal_iteratorINSA_10device_ptrItEEEEPS6_NSA_18transform_iteratorINSB_9not_fun_tINSA_8identityItEEEESF_NSA_11use_defaultESM_EENS0_5tupleIJSF_S6_EEENSO_IJSG_SG_EEES6_PlJS6_EEE10hipError_tPvRmT3_T4_T5_T6_T7_T9_mT8_P12ihipStream_tbDpT10_ENKUlT_T0_E_clISt17integral_constantIbLb0EES1A_IbLb1EEEEDaS16_S17_EUlS16_E_NS1_11comp_targetILNS1_3genE0ELNS1_11target_archE4294967295ELNS1_3gpuE0ELNS1_3repE0EEENS1_30default_config_static_selectorELNS0_4arch9wavefront6targetE0EEEvT1_.has_recursion, 0
	.set _ZN7rocprim17ROCPRIM_400000_NS6detail17trampoline_kernelINS0_14default_configENS1_25partition_config_selectorILNS1_17partition_subalgoE5EtNS0_10empty_typeEbEEZZNS1_14partition_implILS5_5ELb0ES3_mN6thrust23THRUST_200600_302600_NS6detail15normal_iteratorINSA_10device_ptrItEEEEPS6_NSA_18transform_iteratorINSB_9not_fun_tINSA_8identityItEEEESF_NSA_11use_defaultESM_EENS0_5tupleIJSF_S6_EEENSO_IJSG_SG_EEES6_PlJS6_EEE10hipError_tPvRmT3_T4_T5_T6_T7_T9_mT8_P12ihipStream_tbDpT10_ENKUlT_T0_E_clISt17integral_constantIbLb0EES1A_IbLb1EEEEDaS16_S17_EUlS16_E_NS1_11comp_targetILNS1_3genE0ELNS1_11target_archE4294967295ELNS1_3gpuE0ELNS1_3repE0EEENS1_30default_config_static_selectorELNS0_4arch9wavefront6targetE0EEEvT1_.has_indirect_call, 0
	.section	.AMDGPU.csdata,"",@progbits
; Kernel info:
; codeLenInByte = 0
; TotalNumSgprs: 0
; NumVgprs: 0
; ScratchSize: 0
; MemoryBound: 0
; FloatMode: 240
; IeeeMode: 1
; LDSByteSize: 0 bytes/workgroup (compile time only)
; SGPRBlocks: 0
; VGPRBlocks: 0
; NumSGPRsForWavesPerEU: 1
; NumVGPRsForWavesPerEU: 1
; Occupancy: 16
; WaveLimiterHint : 0
; COMPUTE_PGM_RSRC2:SCRATCH_EN: 0
; COMPUTE_PGM_RSRC2:USER_SGPR: 2
; COMPUTE_PGM_RSRC2:TRAP_HANDLER: 0
; COMPUTE_PGM_RSRC2:TGID_X_EN: 1
; COMPUTE_PGM_RSRC2:TGID_Y_EN: 0
; COMPUTE_PGM_RSRC2:TGID_Z_EN: 0
; COMPUTE_PGM_RSRC2:TIDIG_COMP_CNT: 0
	.section	.text._ZN7rocprim17ROCPRIM_400000_NS6detail17trampoline_kernelINS0_14default_configENS1_25partition_config_selectorILNS1_17partition_subalgoE5EtNS0_10empty_typeEbEEZZNS1_14partition_implILS5_5ELb0ES3_mN6thrust23THRUST_200600_302600_NS6detail15normal_iteratorINSA_10device_ptrItEEEEPS6_NSA_18transform_iteratorINSB_9not_fun_tINSA_8identityItEEEESF_NSA_11use_defaultESM_EENS0_5tupleIJSF_S6_EEENSO_IJSG_SG_EEES6_PlJS6_EEE10hipError_tPvRmT3_T4_T5_T6_T7_T9_mT8_P12ihipStream_tbDpT10_ENKUlT_T0_E_clISt17integral_constantIbLb0EES1A_IbLb1EEEEDaS16_S17_EUlS16_E_NS1_11comp_targetILNS1_3genE5ELNS1_11target_archE942ELNS1_3gpuE9ELNS1_3repE0EEENS1_30default_config_static_selectorELNS0_4arch9wavefront6targetE0EEEvT1_,"axG",@progbits,_ZN7rocprim17ROCPRIM_400000_NS6detail17trampoline_kernelINS0_14default_configENS1_25partition_config_selectorILNS1_17partition_subalgoE5EtNS0_10empty_typeEbEEZZNS1_14partition_implILS5_5ELb0ES3_mN6thrust23THRUST_200600_302600_NS6detail15normal_iteratorINSA_10device_ptrItEEEEPS6_NSA_18transform_iteratorINSB_9not_fun_tINSA_8identityItEEEESF_NSA_11use_defaultESM_EENS0_5tupleIJSF_S6_EEENSO_IJSG_SG_EEES6_PlJS6_EEE10hipError_tPvRmT3_T4_T5_T6_T7_T9_mT8_P12ihipStream_tbDpT10_ENKUlT_T0_E_clISt17integral_constantIbLb0EES1A_IbLb1EEEEDaS16_S17_EUlS16_E_NS1_11comp_targetILNS1_3genE5ELNS1_11target_archE942ELNS1_3gpuE9ELNS1_3repE0EEENS1_30default_config_static_selectorELNS0_4arch9wavefront6targetE0EEEvT1_,comdat
	.protected	_ZN7rocprim17ROCPRIM_400000_NS6detail17trampoline_kernelINS0_14default_configENS1_25partition_config_selectorILNS1_17partition_subalgoE5EtNS0_10empty_typeEbEEZZNS1_14partition_implILS5_5ELb0ES3_mN6thrust23THRUST_200600_302600_NS6detail15normal_iteratorINSA_10device_ptrItEEEEPS6_NSA_18transform_iteratorINSB_9not_fun_tINSA_8identityItEEEESF_NSA_11use_defaultESM_EENS0_5tupleIJSF_S6_EEENSO_IJSG_SG_EEES6_PlJS6_EEE10hipError_tPvRmT3_T4_T5_T6_T7_T9_mT8_P12ihipStream_tbDpT10_ENKUlT_T0_E_clISt17integral_constantIbLb0EES1A_IbLb1EEEEDaS16_S17_EUlS16_E_NS1_11comp_targetILNS1_3genE5ELNS1_11target_archE942ELNS1_3gpuE9ELNS1_3repE0EEENS1_30default_config_static_selectorELNS0_4arch9wavefront6targetE0EEEvT1_ ; -- Begin function _ZN7rocprim17ROCPRIM_400000_NS6detail17trampoline_kernelINS0_14default_configENS1_25partition_config_selectorILNS1_17partition_subalgoE5EtNS0_10empty_typeEbEEZZNS1_14partition_implILS5_5ELb0ES3_mN6thrust23THRUST_200600_302600_NS6detail15normal_iteratorINSA_10device_ptrItEEEEPS6_NSA_18transform_iteratorINSB_9not_fun_tINSA_8identityItEEEESF_NSA_11use_defaultESM_EENS0_5tupleIJSF_S6_EEENSO_IJSG_SG_EEES6_PlJS6_EEE10hipError_tPvRmT3_T4_T5_T6_T7_T9_mT8_P12ihipStream_tbDpT10_ENKUlT_T0_E_clISt17integral_constantIbLb0EES1A_IbLb1EEEEDaS16_S17_EUlS16_E_NS1_11comp_targetILNS1_3genE5ELNS1_11target_archE942ELNS1_3gpuE9ELNS1_3repE0EEENS1_30default_config_static_selectorELNS0_4arch9wavefront6targetE0EEEvT1_
	.globl	_ZN7rocprim17ROCPRIM_400000_NS6detail17trampoline_kernelINS0_14default_configENS1_25partition_config_selectorILNS1_17partition_subalgoE5EtNS0_10empty_typeEbEEZZNS1_14partition_implILS5_5ELb0ES3_mN6thrust23THRUST_200600_302600_NS6detail15normal_iteratorINSA_10device_ptrItEEEEPS6_NSA_18transform_iteratorINSB_9not_fun_tINSA_8identityItEEEESF_NSA_11use_defaultESM_EENS0_5tupleIJSF_S6_EEENSO_IJSG_SG_EEES6_PlJS6_EEE10hipError_tPvRmT3_T4_T5_T6_T7_T9_mT8_P12ihipStream_tbDpT10_ENKUlT_T0_E_clISt17integral_constantIbLb0EES1A_IbLb1EEEEDaS16_S17_EUlS16_E_NS1_11comp_targetILNS1_3genE5ELNS1_11target_archE942ELNS1_3gpuE9ELNS1_3repE0EEENS1_30default_config_static_selectorELNS0_4arch9wavefront6targetE0EEEvT1_
	.p2align	8
	.type	_ZN7rocprim17ROCPRIM_400000_NS6detail17trampoline_kernelINS0_14default_configENS1_25partition_config_selectorILNS1_17partition_subalgoE5EtNS0_10empty_typeEbEEZZNS1_14partition_implILS5_5ELb0ES3_mN6thrust23THRUST_200600_302600_NS6detail15normal_iteratorINSA_10device_ptrItEEEEPS6_NSA_18transform_iteratorINSB_9not_fun_tINSA_8identityItEEEESF_NSA_11use_defaultESM_EENS0_5tupleIJSF_S6_EEENSO_IJSG_SG_EEES6_PlJS6_EEE10hipError_tPvRmT3_T4_T5_T6_T7_T9_mT8_P12ihipStream_tbDpT10_ENKUlT_T0_E_clISt17integral_constantIbLb0EES1A_IbLb1EEEEDaS16_S17_EUlS16_E_NS1_11comp_targetILNS1_3genE5ELNS1_11target_archE942ELNS1_3gpuE9ELNS1_3repE0EEENS1_30default_config_static_selectorELNS0_4arch9wavefront6targetE0EEEvT1_,@function
_ZN7rocprim17ROCPRIM_400000_NS6detail17trampoline_kernelINS0_14default_configENS1_25partition_config_selectorILNS1_17partition_subalgoE5EtNS0_10empty_typeEbEEZZNS1_14partition_implILS5_5ELb0ES3_mN6thrust23THRUST_200600_302600_NS6detail15normal_iteratorINSA_10device_ptrItEEEEPS6_NSA_18transform_iteratorINSB_9not_fun_tINSA_8identityItEEEESF_NSA_11use_defaultESM_EENS0_5tupleIJSF_S6_EEENSO_IJSG_SG_EEES6_PlJS6_EEE10hipError_tPvRmT3_T4_T5_T6_T7_T9_mT8_P12ihipStream_tbDpT10_ENKUlT_T0_E_clISt17integral_constantIbLb0EES1A_IbLb1EEEEDaS16_S17_EUlS16_E_NS1_11comp_targetILNS1_3genE5ELNS1_11target_archE942ELNS1_3gpuE9ELNS1_3repE0EEENS1_30default_config_static_selectorELNS0_4arch9wavefront6targetE0EEEvT1_: ; @_ZN7rocprim17ROCPRIM_400000_NS6detail17trampoline_kernelINS0_14default_configENS1_25partition_config_selectorILNS1_17partition_subalgoE5EtNS0_10empty_typeEbEEZZNS1_14partition_implILS5_5ELb0ES3_mN6thrust23THRUST_200600_302600_NS6detail15normal_iteratorINSA_10device_ptrItEEEEPS6_NSA_18transform_iteratorINSB_9not_fun_tINSA_8identityItEEEESF_NSA_11use_defaultESM_EENS0_5tupleIJSF_S6_EEENSO_IJSG_SG_EEES6_PlJS6_EEE10hipError_tPvRmT3_T4_T5_T6_T7_T9_mT8_P12ihipStream_tbDpT10_ENKUlT_T0_E_clISt17integral_constantIbLb0EES1A_IbLb1EEEEDaS16_S17_EUlS16_E_NS1_11comp_targetILNS1_3genE5ELNS1_11target_archE942ELNS1_3gpuE9ELNS1_3repE0EEENS1_30default_config_static_selectorELNS0_4arch9wavefront6targetE0EEEvT1_
; %bb.0:
	.section	.rodata,"a",@progbits
	.p2align	6, 0x0
	.amdhsa_kernel _ZN7rocprim17ROCPRIM_400000_NS6detail17trampoline_kernelINS0_14default_configENS1_25partition_config_selectorILNS1_17partition_subalgoE5EtNS0_10empty_typeEbEEZZNS1_14partition_implILS5_5ELb0ES3_mN6thrust23THRUST_200600_302600_NS6detail15normal_iteratorINSA_10device_ptrItEEEEPS6_NSA_18transform_iteratorINSB_9not_fun_tINSA_8identityItEEEESF_NSA_11use_defaultESM_EENS0_5tupleIJSF_S6_EEENSO_IJSG_SG_EEES6_PlJS6_EEE10hipError_tPvRmT3_T4_T5_T6_T7_T9_mT8_P12ihipStream_tbDpT10_ENKUlT_T0_E_clISt17integral_constantIbLb0EES1A_IbLb1EEEEDaS16_S17_EUlS16_E_NS1_11comp_targetILNS1_3genE5ELNS1_11target_archE942ELNS1_3gpuE9ELNS1_3repE0EEENS1_30default_config_static_selectorELNS0_4arch9wavefront6targetE0EEEvT1_
		.amdhsa_group_segment_fixed_size 0
		.amdhsa_private_segment_fixed_size 0
		.amdhsa_kernarg_size 136
		.amdhsa_user_sgpr_count 2
		.amdhsa_user_sgpr_dispatch_ptr 0
		.amdhsa_user_sgpr_queue_ptr 0
		.amdhsa_user_sgpr_kernarg_segment_ptr 1
		.amdhsa_user_sgpr_dispatch_id 0
		.amdhsa_user_sgpr_private_segment_size 0
		.amdhsa_wavefront_size32 1
		.amdhsa_uses_dynamic_stack 0
		.amdhsa_enable_private_segment 0
		.amdhsa_system_sgpr_workgroup_id_x 1
		.amdhsa_system_sgpr_workgroup_id_y 0
		.amdhsa_system_sgpr_workgroup_id_z 0
		.amdhsa_system_sgpr_workgroup_info 0
		.amdhsa_system_vgpr_workitem_id 0
		.amdhsa_next_free_vgpr 1
		.amdhsa_next_free_sgpr 1
		.amdhsa_reserve_vcc 0
		.amdhsa_float_round_mode_32 0
		.amdhsa_float_round_mode_16_64 0
		.amdhsa_float_denorm_mode_32 3
		.amdhsa_float_denorm_mode_16_64 3
		.amdhsa_fp16_overflow 0
		.amdhsa_workgroup_processor_mode 1
		.amdhsa_memory_ordered 1
		.amdhsa_forward_progress 1
		.amdhsa_inst_pref_size 0
		.amdhsa_round_robin_scheduling 0
		.amdhsa_exception_fp_ieee_invalid_op 0
		.amdhsa_exception_fp_denorm_src 0
		.amdhsa_exception_fp_ieee_div_zero 0
		.amdhsa_exception_fp_ieee_overflow 0
		.amdhsa_exception_fp_ieee_underflow 0
		.amdhsa_exception_fp_ieee_inexact 0
		.amdhsa_exception_int_div_zero 0
	.end_amdhsa_kernel
	.section	.text._ZN7rocprim17ROCPRIM_400000_NS6detail17trampoline_kernelINS0_14default_configENS1_25partition_config_selectorILNS1_17partition_subalgoE5EtNS0_10empty_typeEbEEZZNS1_14partition_implILS5_5ELb0ES3_mN6thrust23THRUST_200600_302600_NS6detail15normal_iteratorINSA_10device_ptrItEEEEPS6_NSA_18transform_iteratorINSB_9not_fun_tINSA_8identityItEEEESF_NSA_11use_defaultESM_EENS0_5tupleIJSF_S6_EEENSO_IJSG_SG_EEES6_PlJS6_EEE10hipError_tPvRmT3_T4_T5_T6_T7_T9_mT8_P12ihipStream_tbDpT10_ENKUlT_T0_E_clISt17integral_constantIbLb0EES1A_IbLb1EEEEDaS16_S17_EUlS16_E_NS1_11comp_targetILNS1_3genE5ELNS1_11target_archE942ELNS1_3gpuE9ELNS1_3repE0EEENS1_30default_config_static_selectorELNS0_4arch9wavefront6targetE0EEEvT1_,"axG",@progbits,_ZN7rocprim17ROCPRIM_400000_NS6detail17trampoline_kernelINS0_14default_configENS1_25partition_config_selectorILNS1_17partition_subalgoE5EtNS0_10empty_typeEbEEZZNS1_14partition_implILS5_5ELb0ES3_mN6thrust23THRUST_200600_302600_NS6detail15normal_iteratorINSA_10device_ptrItEEEEPS6_NSA_18transform_iteratorINSB_9not_fun_tINSA_8identityItEEEESF_NSA_11use_defaultESM_EENS0_5tupleIJSF_S6_EEENSO_IJSG_SG_EEES6_PlJS6_EEE10hipError_tPvRmT3_T4_T5_T6_T7_T9_mT8_P12ihipStream_tbDpT10_ENKUlT_T0_E_clISt17integral_constantIbLb0EES1A_IbLb1EEEEDaS16_S17_EUlS16_E_NS1_11comp_targetILNS1_3genE5ELNS1_11target_archE942ELNS1_3gpuE9ELNS1_3repE0EEENS1_30default_config_static_selectorELNS0_4arch9wavefront6targetE0EEEvT1_,comdat
.Lfunc_end942:
	.size	_ZN7rocprim17ROCPRIM_400000_NS6detail17trampoline_kernelINS0_14default_configENS1_25partition_config_selectorILNS1_17partition_subalgoE5EtNS0_10empty_typeEbEEZZNS1_14partition_implILS5_5ELb0ES3_mN6thrust23THRUST_200600_302600_NS6detail15normal_iteratorINSA_10device_ptrItEEEEPS6_NSA_18transform_iteratorINSB_9not_fun_tINSA_8identityItEEEESF_NSA_11use_defaultESM_EENS0_5tupleIJSF_S6_EEENSO_IJSG_SG_EEES6_PlJS6_EEE10hipError_tPvRmT3_T4_T5_T6_T7_T9_mT8_P12ihipStream_tbDpT10_ENKUlT_T0_E_clISt17integral_constantIbLb0EES1A_IbLb1EEEEDaS16_S17_EUlS16_E_NS1_11comp_targetILNS1_3genE5ELNS1_11target_archE942ELNS1_3gpuE9ELNS1_3repE0EEENS1_30default_config_static_selectorELNS0_4arch9wavefront6targetE0EEEvT1_, .Lfunc_end942-_ZN7rocprim17ROCPRIM_400000_NS6detail17trampoline_kernelINS0_14default_configENS1_25partition_config_selectorILNS1_17partition_subalgoE5EtNS0_10empty_typeEbEEZZNS1_14partition_implILS5_5ELb0ES3_mN6thrust23THRUST_200600_302600_NS6detail15normal_iteratorINSA_10device_ptrItEEEEPS6_NSA_18transform_iteratorINSB_9not_fun_tINSA_8identityItEEEESF_NSA_11use_defaultESM_EENS0_5tupleIJSF_S6_EEENSO_IJSG_SG_EEES6_PlJS6_EEE10hipError_tPvRmT3_T4_T5_T6_T7_T9_mT8_P12ihipStream_tbDpT10_ENKUlT_T0_E_clISt17integral_constantIbLb0EES1A_IbLb1EEEEDaS16_S17_EUlS16_E_NS1_11comp_targetILNS1_3genE5ELNS1_11target_archE942ELNS1_3gpuE9ELNS1_3repE0EEENS1_30default_config_static_selectorELNS0_4arch9wavefront6targetE0EEEvT1_
                                        ; -- End function
	.set _ZN7rocprim17ROCPRIM_400000_NS6detail17trampoline_kernelINS0_14default_configENS1_25partition_config_selectorILNS1_17partition_subalgoE5EtNS0_10empty_typeEbEEZZNS1_14partition_implILS5_5ELb0ES3_mN6thrust23THRUST_200600_302600_NS6detail15normal_iteratorINSA_10device_ptrItEEEEPS6_NSA_18transform_iteratorINSB_9not_fun_tINSA_8identityItEEEESF_NSA_11use_defaultESM_EENS0_5tupleIJSF_S6_EEENSO_IJSG_SG_EEES6_PlJS6_EEE10hipError_tPvRmT3_T4_T5_T6_T7_T9_mT8_P12ihipStream_tbDpT10_ENKUlT_T0_E_clISt17integral_constantIbLb0EES1A_IbLb1EEEEDaS16_S17_EUlS16_E_NS1_11comp_targetILNS1_3genE5ELNS1_11target_archE942ELNS1_3gpuE9ELNS1_3repE0EEENS1_30default_config_static_selectorELNS0_4arch9wavefront6targetE0EEEvT1_.num_vgpr, 0
	.set _ZN7rocprim17ROCPRIM_400000_NS6detail17trampoline_kernelINS0_14default_configENS1_25partition_config_selectorILNS1_17partition_subalgoE5EtNS0_10empty_typeEbEEZZNS1_14partition_implILS5_5ELb0ES3_mN6thrust23THRUST_200600_302600_NS6detail15normal_iteratorINSA_10device_ptrItEEEEPS6_NSA_18transform_iteratorINSB_9not_fun_tINSA_8identityItEEEESF_NSA_11use_defaultESM_EENS0_5tupleIJSF_S6_EEENSO_IJSG_SG_EEES6_PlJS6_EEE10hipError_tPvRmT3_T4_T5_T6_T7_T9_mT8_P12ihipStream_tbDpT10_ENKUlT_T0_E_clISt17integral_constantIbLb0EES1A_IbLb1EEEEDaS16_S17_EUlS16_E_NS1_11comp_targetILNS1_3genE5ELNS1_11target_archE942ELNS1_3gpuE9ELNS1_3repE0EEENS1_30default_config_static_selectorELNS0_4arch9wavefront6targetE0EEEvT1_.num_agpr, 0
	.set _ZN7rocprim17ROCPRIM_400000_NS6detail17trampoline_kernelINS0_14default_configENS1_25partition_config_selectorILNS1_17partition_subalgoE5EtNS0_10empty_typeEbEEZZNS1_14partition_implILS5_5ELb0ES3_mN6thrust23THRUST_200600_302600_NS6detail15normal_iteratorINSA_10device_ptrItEEEEPS6_NSA_18transform_iteratorINSB_9not_fun_tINSA_8identityItEEEESF_NSA_11use_defaultESM_EENS0_5tupleIJSF_S6_EEENSO_IJSG_SG_EEES6_PlJS6_EEE10hipError_tPvRmT3_T4_T5_T6_T7_T9_mT8_P12ihipStream_tbDpT10_ENKUlT_T0_E_clISt17integral_constantIbLb0EES1A_IbLb1EEEEDaS16_S17_EUlS16_E_NS1_11comp_targetILNS1_3genE5ELNS1_11target_archE942ELNS1_3gpuE9ELNS1_3repE0EEENS1_30default_config_static_selectorELNS0_4arch9wavefront6targetE0EEEvT1_.numbered_sgpr, 0
	.set _ZN7rocprim17ROCPRIM_400000_NS6detail17trampoline_kernelINS0_14default_configENS1_25partition_config_selectorILNS1_17partition_subalgoE5EtNS0_10empty_typeEbEEZZNS1_14partition_implILS5_5ELb0ES3_mN6thrust23THRUST_200600_302600_NS6detail15normal_iteratorINSA_10device_ptrItEEEEPS6_NSA_18transform_iteratorINSB_9not_fun_tINSA_8identityItEEEESF_NSA_11use_defaultESM_EENS0_5tupleIJSF_S6_EEENSO_IJSG_SG_EEES6_PlJS6_EEE10hipError_tPvRmT3_T4_T5_T6_T7_T9_mT8_P12ihipStream_tbDpT10_ENKUlT_T0_E_clISt17integral_constantIbLb0EES1A_IbLb1EEEEDaS16_S17_EUlS16_E_NS1_11comp_targetILNS1_3genE5ELNS1_11target_archE942ELNS1_3gpuE9ELNS1_3repE0EEENS1_30default_config_static_selectorELNS0_4arch9wavefront6targetE0EEEvT1_.num_named_barrier, 0
	.set _ZN7rocprim17ROCPRIM_400000_NS6detail17trampoline_kernelINS0_14default_configENS1_25partition_config_selectorILNS1_17partition_subalgoE5EtNS0_10empty_typeEbEEZZNS1_14partition_implILS5_5ELb0ES3_mN6thrust23THRUST_200600_302600_NS6detail15normal_iteratorINSA_10device_ptrItEEEEPS6_NSA_18transform_iteratorINSB_9not_fun_tINSA_8identityItEEEESF_NSA_11use_defaultESM_EENS0_5tupleIJSF_S6_EEENSO_IJSG_SG_EEES6_PlJS6_EEE10hipError_tPvRmT3_T4_T5_T6_T7_T9_mT8_P12ihipStream_tbDpT10_ENKUlT_T0_E_clISt17integral_constantIbLb0EES1A_IbLb1EEEEDaS16_S17_EUlS16_E_NS1_11comp_targetILNS1_3genE5ELNS1_11target_archE942ELNS1_3gpuE9ELNS1_3repE0EEENS1_30default_config_static_selectorELNS0_4arch9wavefront6targetE0EEEvT1_.private_seg_size, 0
	.set _ZN7rocprim17ROCPRIM_400000_NS6detail17trampoline_kernelINS0_14default_configENS1_25partition_config_selectorILNS1_17partition_subalgoE5EtNS0_10empty_typeEbEEZZNS1_14partition_implILS5_5ELb0ES3_mN6thrust23THRUST_200600_302600_NS6detail15normal_iteratorINSA_10device_ptrItEEEEPS6_NSA_18transform_iteratorINSB_9not_fun_tINSA_8identityItEEEESF_NSA_11use_defaultESM_EENS0_5tupleIJSF_S6_EEENSO_IJSG_SG_EEES6_PlJS6_EEE10hipError_tPvRmT3_T4_T5_T6_T7_T9_mT8_P12ihipStream_tbDpT10_ENKUlT_T0_E_clISt17integral_constantIbLb0EES1A_IbLb1EEEEDaS16_S17_EUlS16_E_NS1_11comp_targetILNS1_3genE5ELNS1_11target_archE942ELNS1_3gpuE9ELNS1_3repE0EEENS1_30default_config_static_selectorELNS0_4arch9wavefront6targetE0EEEvT1_.uses_vcc, 0
	.set _ZN7rocprim17ROCPRIM_400000_NS6detail17trampoline_kernelINS0_14default_configENS1_25partition_config_selectorILNS1_17partition_subalgoE5EtNS0_10empty_typeEbEEZZNS1_14partition_implILS5_5ELb0ES3_mN6thrust23THRUST_200600_302600_NS6detail15normal_iteratorINSA_10device_ptrItEEEEPS6_NSA_18transform_iteratorINSB_9not_fun_tINSA_8identityItEEEESF_NSA_11use_defaultESM_EENS0_5tupleIJSF_S6_EEENSO_IJSG_SG_EEES6_PlJS6_EEE10hipError_tPvRmT3_T4_T5_T6_T7_T9_mT8_P12ihipStream_tbDpT10_ENKUlT_T0_E_clISt17integral_constantIbLb0EES1A_IbLb1EEEEDaS16_S17_EUlS16_E_NS1_11comp_targetILNS1_3genE5ELNS1_11target_archE942ELNS1_3gpuE9ELNS1_3repE0EEENS1_30default_config_static_selectorELNS0_4arch9wavefront6targetE0EEEvT1_.uses_flat_scratch, 0
	.set _ZN7rocprim17ROCPRIM_400000_NS6detail17trampoline_kernelINS0_14default_configENS1_25partition_config_selectorILNS1_17partition_subalgoE5EtNS0_10empty_typeEbEEZZNS1_14partition_implILS5_5ELb0ES3_mN6thrust23THRUST_200600_302600_NS6detail15normal_iteratorINSA_10device_ptrItEEEEPS6_NSA_18transform_iteratorINSB_9not_fun_tINSA_8identityItEEEESF_NSA_11use_defaultESM_EENS0_5tupleIJSF_S6_EEENSO_IJSG_SG_EEES6_PlJS6_EEE10hipError_tPvRmT3_T4_T5_T6_T7_T9_mT8_P12ihipStream_tbDpT10_ENKUlT_T0_E_clISt17integral_constantIbLb0EES1A_IbLb1EEEEDaS16_S17_EUlS16_E_NS1_11comp_targetILNS1_3genE5ELNS1_11target_archE942ELNS1_3gpuE9ELNS1_3repE0EEENS1_30default_config_static_selectorELNS0_4arch9wavefront6targetE0EEEvT1_.has_dyn_sized_stack, 0
	.set _ZN7rocprim17ROCPRIM_400000_NS6detail17trampoline_kernelINS0_14default_configENS1_25partition_config_selectorILNS1_17partition_subalgoE5EtNS0_10empty_typeEbEEZZNS1_14partition_implILS5_5ELb0ES3_mN6thrust23THRUST_200600_302600_NS6detail15normal_iteratorINSA_10device_ptrItEEEEPS6_NSA_18transform_iteratorINSB_9not_fun_tINSA_8identityItEEEESF_NSA_11use_defaultESM_EENS0_5tupleIJSF_S6_EEENSO_IJSG_SG_EEES6_PlJS6_EEE10hipError_tPvRmT3_T4_T5_T6_T7_T9_mT8_P12ihipStream_tbDpT10_ENKUlT_T0_E_clISt17integral_constantIbLb0EES1A_IbLb1EEEEDaS16_S17_EUlS16_E_NS1_11comp_targetILNS1_3genE5ELNS1_11target_archE942ELNS1_3gpuE9ELNS1_3repE0EEENS1_30default_config_static_selectorELNS0_4arch9wavefront6targetE0EEEvT1_.has_recursion, 0
	.set _ZN7rocprim17ROCPRIM_400000_NS6detail17trampoline_kernelINS0_14default_configENS1_25partition_config_selectorILNS1_17partition_subalgoE5EtNS0_10empty_typeEbEEZZNS1_14partition_implILS5_5ELb0ES3_mN6thrust23THRUST_200600_302600_NS6detail15normal_iteratorINSA_10device_ptrItEEEEPS6_NSA_18transform_iteratorINSB_9not_fun_tINSA_8identityItEEEESF_NSA_11use_defaultESM_EENS0_5tupleIJSF_S6_EEENSO_IJSG_SG_EEES6_PlJS6_EEE10hipError_tPvRmT3_T4_T5_T6_T7_T9_mT8_P12ihipStream_tbDpT10_ENKUlT_T0_E_clISt17integral_constantIbLb0EES1A_IbLb1EEEEDaS16_S17_EUlS16_E_NS1_11comp_targetILNS1_3genE5ELNS1_11target_archE942ELNS1_3gpuE9ELNS1_3repE0EEENS1_30default_config_static_selectorELNS0_4arch9wavefront6targetE0EEEvT1_.has_indirect_call, 0
	.section	.AMDGPU.csdata,"",@progbits
; Kernel info:
; codeLenInByte = 0
; TotalNumSgprs: 0
; NumVgprs: 0
; ScratchSize: 0
; MemoryBound: 0
; FloatMode: 240
; IeeeMode: 1
; LDSByteSize: 0 bytes/workgroup (compile time only)
; SGPRBlocks: 0
; VGPRBlocks: 0
; NumSGPRsForWavesPerEU: 1
; NumVGPRsForWavesPerEU: 1
; Occupancy: 16
; WaveLimiterHint : 0
; COMPUTE_PGM_RSRC2:SCRATCH_EN: 0
; COMPUTE_PGM_RSRC2:USER_SGPR: 2
; COMPUTE_PGM_RSRC2:TRAP_HANDLER: 0
; COMPUTE_PGM_RSRC2:TGID_X_EN: 1
; COMPUTE_PGM_RSRC2:TGID_Y_EN: 0
; COMPUTE_PGM_RSRC2:TGID_Z_EN: 0
; COMPUTE_PGM_RSRC2:TIDIG_COMP_CNT: 0
	.section	.text._ZN7rocprim17ROCPRIM_400000_NS6detail17trampoline_kernelINS0_14default_configENS1_25partition_config_selectorILNS1_17partition_subalgoE5EtNS0_10empty_typeEbEEZZNS1_14partition_implILS5_5ELb0ES3_mN6thrust23THRUST_200600_302600_NS6detail15normal_iteratorINSA_10device_ptrItEEEEPS6_NSA_18transform_iteratorINSB_9not_fun_tINSA_8identityItEEEESF_NSA_11use_defaultESM_EENS0_5tupleIJSF_S6_EEENSO_IJSG_SG_EEES6_PlJS6_EEE10hipError_tPvRmT3_T4_T5_T6_T7_T9_mT8_P12ihipStream_tbDpT10_ENKUlT_T0_E_clISt17integral_constantIbLb0EES1A_IbLb1EEEEDaS16_S17_EUlS16_E_NS1_11comp_targetILNS1_3genE4ELNS1_11target_archE910ELNS1_3gpuE8ELNS1_3repE0EEENS1_30default_config_static_selectorELNS0_4arch9wavefront6targetE0EEEvT1_,"axG",@progbits,_ZN7rocprim17ROCPRIM_400000_NS6detail17trampoline_kernelINS0_14default_configENS1_25partition_config_selectorILNS1_17partition_subalgoE5EtNS0_10empty_typeEbEEZZNS1_14partition_implILS5_5ELb0ES3_mN6thrust23THRUST_200600_302600_NS6detail15normal_iteratorINSA_10device_ptrItEEEEPS6_NSA_18transform_iteratorINSB_9not_fun_tINSA_8identityItEEEESF_NSA_11use_defaultESM_EENS0_5tupleIJSF_S6_EEENSO_IJSG_SG_EEES6_PlJS6_EEE10hipError_tPvRmT3_T4_T5_T6_T7_T9_mT8_P12ihipStream_tbDpT10_ENKUlT_T0_E_clISt17integral_constantIbLb0EES1A_IbLb1EEEEDaS16_S17_EUlS16_E_NS1_11comp_targetILNS1_3genE4ELNS1_11target_archE910ELNS1_3gpuE8ELNS1_3repE0EEENS1_30default_config_static_selectorELNS0_4arch9wavefront6targetE0EEEvT1_,comdat
	.protected	_ZN7rocprim17ROCPRIM_400000_NS6detail17trampoline_kernelINS0_14default_configENS1_25partition_config_selectorILNS1_17partition_subalgoE5EtNS0_10empty_typeEbEEZZNS1_14partition_implILS5_5ELb0ES3_mN6thrust23THRUST_200600_302600_NS6detail15normal_iteratorINSA_10device_ptrItEEEEPS6_NSA_18transform_iteratorINSB_9not_fun_tINSA_8identityItEEEESF_NSA_11use_defaultESM_EENS0_5tupleIJSF_S6_EEENSO_IJSG_SG_EEES6_PlJS6_EEE10hipError_tPvRmT3_T4_T5_T6_T7_T9_mT8_P12ihipStream_tbDpT10_ENKUlT_T0_E_clISt17integral_constantIbLb0EES1A_IbLb1EEEEDaS16_S17_EUlS16_E_NS1_11comp_targetILNS1_3genE4ELNS1_11target_archE910ELNS1_3gpuE8ELNS1_3repE0EEENS1_30default_config_static_selectorELNS0_4arch9wavefront6targetE0EEEvT1_ ; -- Begin function _ZN7rocprim17ROCPRIM_400000_NS6detail17trampoline_kernelINS0_14default_configENS1_25partition_config_selectorILNS1_17partition_subalgoE5EtNS0_10empty_typeEbEEZZNS1_14partition_implILS5_5ELb0ES3_mN6thrust23THRUST_200600_302600_NS6detail15normal_iteratorINSA_10device_ptrItEEEEPS6_NSA_18transform_iteratorINSB_9not_fun_tINSA_8identityItEEEESF_NSA_11use_defaultESM_EENS0_5tupleIJSF_S6_EEENSO_IJSG_SG_EEES6_PlJS6_EEE10hipError_tPvRmT3_T4_T5_T6_T7_T9_mT8_P12ihipStream_tbDpT10_ENKUlT_T0_E_clISt17integral_constantIbLb0EES1A_IbLb1EEEEDaS16_S17_EUlS16_E_NS1_11comp_targetILNS1_3genE4ELNS1_11target_archE910ELNS1_3gpuE8ELNS1_3repE0EEENS1_30default_config_static_selectorELNS0_4arch9wavefront6targetE0EEEvT1_
	.globl	_ZN7rocprim17ROCPRIM_400000_NS6detail17trampoline_kernelINS0_14default_configENS1_25partition_config_selectorILNS1_17partition_subalgoE5EtNS0_10empty_typeEbEEZZNS1_14partition_implILS5_5ELb0ES3_mN6thrust23THRUST_200600_302600_NS6detail15normal_iteratorINSA_10device_ptrItEEEEPS6_NSA_18transform_iteratorINSB_9not_fun_tINSA_8identityItEEEESF_NSA_11use_defaultESM_EENS0_5tupleIJSF_S6_EEENSO_IJSG_SG_EEES6_PlJS6_EEE10hipError_tPvRmT3_T4_T5_T6_T7_T9_mT8_P12ihipStream_tbDpT10_ENKUlT_T0_E_clISt17integral_constantIbLb0EES1A_IbLb1EEEEDaS16_S17_EUlS16_E_NS1_11comp_targetILNS1_3genE4ELNS1_11target_archE910ELNS1_3gpuE8ELNS1_3repE0EEENS1_30default_config_static_selectorELNS0_4arch9wavefront6targetE0EEEvT1_
	.p2align	8
	.type	_ZN7rocprim17ROCPRIM_400000_NS6detail17trampoline_kernelINS0_14default_configENS1_25partition_config_selectorILNS1_17partition_subalgoE5EtNS0_10empty_typeEbEEZZNS1_14partition_implILS5_5ELb0ES3_mN6thrust23THRUST_200600_302600_NS6detail15normal_iteratorINSA_10device_ptrItEEEEPS6_NSA_18transform_iteratorINSB_9not_fun_tINSA_8identityItEEEESF_NSA_11use_defaultESM_EENS0_5tupleIJSF_S6_EEENSO_IJSG_SG_EEES6_PlJS6_EEE10hipError_tPvRmT3_T4_T5_T6_T7_T9_mT8_P12ihipStream_tbDpT10_ENKUlT_T0_E_clISt17integral_constantIbLb0EES1A_IbLb1EEEEDaS16_S17_EUlS16_E_NS1_11comp_targetILNS1_3genE4ELNS1_11target_archE910ELNS1_3gpuE8ELNS1_3repE0EEENS1_30default_config_static_selectorELNS0_4arch9wavefront6targetE0EEEvT1_,@function
_ZN7rocprim17ROCPRIM_400000_NS6detail17trampoline_kernelINS0_14default_configENS1_25partition_config_selectorILNS1_17partition_subalgoE5EtNS0_10empty_typeEbEEZZNS1_14partition_implILS5_5ELb0ES3_mN6thrust23THRUST_200600_302600_NS6detail15normal_iteratorINSA_10device_ptrItEEEEPS6_NSA_18transform_iteratorINSB_9not_fun_tINSA_8identityItEEEESF_NSA_11use_defaultESM_EENS0_5tupleIJSF_S6_EEENSO_IJSG_SG_EEES6_PlJS6_EEE10hipError_tPvRmT3_T4_T5_T6_T7_T9_mT8_P12ihipStream_tbDpT10_ENKUlT_T0_E_clISt17integral_constantIbLb0EES1A_IbLb1EEEEDaS16_S17_EUlS16_E_NS1_11comp_targetILNS1_3genE4ELNS1_11target_archE910ELNS1_3gpuE8ELNS1_3repE0EEENS1_30default_config_static_selectorELNS0_4arch9wavefront6targetE0EEEvT1_: ; @_ZN7rocprim17ROCPRIM_400000_NS6detail17trampoline_kernelINS0_14default_configENS1_25partition_config_selectorILNS1_17partition_subalgoE5EtNS0_10empty_typeEbEEZZNS1_14partition_implILS5_5ELb0ES3_mN6thrust23THRUST_200600_302600_NS6detail15normal_iteratorINSA_10device_ptrItEEEEPS6_NSA_18transform_iteratorINSB_9not_fun_tINSA_8identityItEEEESF_NSA_11use_defaultESM_EENS0_5tupleIJSF_S6_EEENSO_IJSG_SG_EEES6_PlJS6_EEE10hipError_tPvRmT3_T4_T5_T6_T7_T9_mT8_P12ihipStream_tbDpT10_ENKUlT_T0_E_clISt17integral_constantIbLb0EES1A_IbLb1EEEEDaS16_S17_EUlS16_E_NS1_11comp_targetILNS1_3genE4ELNS1_11target_archE910ELNS1_3gpuE8ELNS1_3repE0EEENS1_30default_config_static_selectorELNS0_4arch9wavefront6targetE0EEEvT1_
; %bb.0:
	.section	.rodata,"a",@progbits
	.p2align	6, 0x0
	.amdhsa_kernel _ZN7rocprim17ROCPRIM_400000_NS6detail17trampoline_kernelINS0_14default_configENS1_25partition_config_selectorILNS1_17partition_subalgoE5EtNS0_10empty_typeEbEEZZNS1_14partition_implILS5_5ELb0ES3_mN6thrust23THRUST_200600_302600_NS6detail15normal_iteratorINSA_10device_ptrItEEEEPS6_NSA_18transform_iteratorINSB_9not_fun_tINSA_8identityItEEEESF_NSA_11use_defaultESM_EENS0_5tupleIJSF_S6_EEENSO_IJSG_SG_EEES6_PlJS6_EEE10hipError_tPvRmT3_T4_T5_T6_T7_T9_mT8_P12ihipStream_tbDpT10_ENKUlT_T0_E_clISt17integral_constantIbLb0EES1A_IbLb1EEEEDaS16_S17_EUlS16_E_NS1_11comp_targetILNS1_3genE4ELNS1_11target_archE910ELNS1_3gpuE8ELNS1_3repE0EEENS1_30default_config_static_selectorELNS0_4arch9wavefront6targetE0EEEvT1_
		.amdhsa_group_segment_fixed_size 0
		.amdhsa_private_segment_fixed_size 0
		.amdhsa_kernarg_size 136
		.amdhsa_user_sgpr_count 2
		.amdhsa_user_sgpr_dispatch_ptr 0
		.amdhsa_user_sgpr_queue_ptr 0
		.amdhsa_user_sgpr_kernarg_segment_ptr 1
		.amdhsa_user_sgpr_dispatch_id 0
		.amdhsa_user_sgpr_private_segment_size 0
		.amdhsa_wavefront_size32 1
		.amdhsa_uses_dynamic_stack 0
		.amdhsa_enable_private_segment 0
		.amdhsa_system_sgpr_workgroup_id_x 1
		.amdhsa_system_sgpr_workgroup_id_y 0
		.amdhsa_system_sgpr_workgroup_id_z 0
		.amdhsa_system_sgpr_workgroup_info 0
		.amdhsa_system_vgpr_workitem_id 0
		.amdhsa_next_free_vgpr 1
		.amdhsa_next_free_sgpr 1
		.amdhsa_reserve_vcc 0
		.amdhsa_float_round_mode_32 0
		.amdhsa_float_round_mode_16_64 0
		.amdhsa_float_denorm_mode_32 3
		.amdhsa_float_denorm_mode_16_64 3
		.amdhsa_fp16_overflow 0
		.amdhsa_workgroup_processor_mode 1
		.amdhsa_memory_ordered 1
		.amdhsa_forward_progress 1
		.amdhsa_inst_pref_size 0
		.amdhsa_round_robin_scheduling 0
		.amdhsa_exception_fp_ieee_invalid_op 0
		.amdhsa_exception_fp_denorm_src 0
		.amdhsa_exception_fp_ieee_div_zero 0
		.amdhsa_exception_fp_ieee_overflow 0
		.amdhsa_exception_fp_ieee_underflow 0
		.amdhsa_exception_fp_ieee_inexact 0
		.amdhsa_exception_int_div_zero 0
	.end_amdhsa_kernel
	.section	.text._ZN7rocprim17ROCPRIM_400000_NS6detail17trampoline_kernelINS0_14default_configENS1_25partition_config_selectorILNS1_17partition_subalgoE5EtNS0_10empty_typeEbEEZZNS1_14partition_implILS5_5ELb0ES3_mN6thrust23THRUST_200600_302600_NS6detail15normal_iteratorINSA_10device_ptrItEEEEPS6_NSA_18transform_iteratorINSB_9not_fun_tINSA_8identityItEEEESF_NSA_11use_defaultESM_EENS0_5tupleIJSF_S6_EEENSO_IJSG_SG_EEES6_PlJS6_EEE10hipError_tPvRmT3_T4_T5_T6_T7_T9_mT8_P12ihipStream_tbDpT10_ENKUlT_T0_E_clISt17integral_constantIbLb0EES1A_IbLb1EEEEDaS16_S17_EUlS16_E_NS1_11comp_targetILNS1_3genE4ELNS1_11target_archE910ELNS1_3gpuE8ELNS1_3repE0EEENS1_30default_config_static_selectorELNS0_4arch9wavefront6targetE0EEEvT1_,"axG",@progbits,_ZN7rocprim17ROCPRIM_400000_NS6detail17trampoline_kernelINS0_14default_configENS1_25partition_config_selectorILNS1_17partition_subalgoE5EtNS0_10empty_typeEbEEZZNS1_14partition_implILS5_5ELb0ES3_mN6thrust23THRUST_200600_302600_NS6detail15normal_iteratorINSA_10device_ptrItEEEEPS6_NSA_18transform_iteratorINSB_9not_fun_tINSA_8identityItEEEESF_NSA_11use_defaultESM_EENS0_5tupleIJSF_S6_EEENSO_IJSG_SG_EEES6_PlJS6_EEE10hipError_tPvRmT3_T4_T5_T6_T7_T9_mT8_P12ihipStream_tbDpT10_ENKUlT_T0_E_clISt17integral_constantIbLb0EES1A_IbLb1EEEEDaS16_S17_EUlS16_E_NS1_11comp_targetILNS1_3genE4ELNS1_11target_archE910ELNS1_3gpuE8ELNS1_3repE0EEENS1_30default_config_static_selectorELNS0_4arch9wavefront6targetE0EEEvT1_,comdat
.Lfunc_end943:
	.size	_ZN7rocprim17ROCPRIM_400000_NS6detail17trampoline_kernelINS0_14default_configENS1_25partition_config_selectorILNS1_17partition_subalgoE5EtNS0_10empty_typeEbEEZZNS1_14partition_implILS5_5ELb0ES3_mN6thrust23THRUST_200600_302600_NS6detail15normal_iteratorINSA_10device_ptrItEEEEPS6_NSA_18transform_iteratorINSB_9not_fun_tINSA_8identityItEEEESF_NSA_11use_defaultESM_EENS0_5tupleIJSF_S6_EEENSO_IJSG_SG_EEES6_PlJS6_EEE10hipError_tPvRmT3_T4_T5_T6_T7_T9_mT8_P12ihipStream_tbDpT10_ENKUlT_T0_E_clISt17integral_constantIbLb0EES1A_IbLb1EEEEDaS16_S17_EUlS16_E_NS1_11comp_targetILNS1_3genE4ELNS1_11target_archE910ELNS1_3gpuE8ELNS1_3repE0EEENS1_30default_config_static_selectorELNS0_4arch9wavefront6targetE0EEEvT1_, .Lfunc_end943-_ZN7rocprim17ROCPRIM_400000_NS6detail17trampoline_kernelINS0_14default_configENS1_25partition_config_selectorILNS1_17partition_subalgoE5EtNS0_10empty_typeEbEEZZNS1_14partition_implILS5_5ELb0ES3_mN6thrust23THRUST_200600_302600_NS6detail15normal_iteratorINSA_10device_ptrItEEEEPS6_NSA_18transform_iteratorINSB_9not_fun_tINSA_8identityItEEEESF_NSA_11use_defaultESM_EENS0_5tupleIJSF_S6_EEENSO_IJSG_SG_EEES6_PlJS6_EEE10hipError_tPvRmT3_T4_T5_T6_T7_T9_mT8_P12ihipStream_tbDpT10_ENKUlT_T0_E_clISt17integral_constantIbLb0EES1A_IbLb1EEEEDaS16_S17_EUlS16_E_NS1_11comp_targetILNS1_3genE4ELNS1_11target_archE910ELNS1_3gpuE8ELNS1_3repE0EEENS1_30default_config_static_selectorELNS0_4arch9wavefront6targetE0EEEvT1_
                                        ; -- End function
	.set _ZN7rocprim17ROCPRIM_400000_NS6detail17trampoline_kernelINS0_14default_configENS1_25partition_config_selectorILNS1_17partition_subalgoE5EtNS0_10empty_typeEbEEZZNS1_14partition_implILS5_5ELb0ES3_mN6thrust23THRUST_200600_302600_NS6detail15normal_iteratorINSA_10device_ptrItEEEEPS6_NSA_18transform_iteratorINSB_9not_fun_tINSA_8identityItEEEESF_NSA_11use_defaultESM_EENS0_5tupleIJSF_S6_EEENSO_IJSG_SG_EEES6_PlJS6_EEE10hipError_tPvRmT3_T4_T5_T6_T7_T9_mT8_P12ihipStream_tbDpT10_ENKUlT_T0_E_clISt17integral_constantIbLb0EES1A_IbLb1EEEEDaS16_S17_EUlS16_E_NS1_11comp_targetILNS1_3genE4ELNS1_11target_archE910ELNS1_3gpuE8ELNS1_3repE0EEENS1_30default_config_static_selectorELNS0_4arch9wavefront6targetE0EEEvT1_.num_vgpr, 0
	.set _ZN7rocprim17ROCPRIM_400000_NS6detail17trampoline_kernelINS0_14default_configENS1_25partition_config_selectorILNS1_17partition_subalgoE5EtNS0_10empty_typeEbEEZZNS1_14partition_implILS5_5ELb0ES3_mN6thrust23THRUST_200600_302600_NS6detail15normal_iteratorINSA_10device_ptrItEEEEPS6_NSA_18transform_iteratorINSB_9not_fun_tINSA_8identityItEEEESF_NSA_11use_defaultESM_EENS0_5tupleIJSF_S6_EEENSO_IJSG_SG_EEES6_PlJS6_EEE10hipError_tPvRmT3_T4_T5_T6_T7_T9_mT8_P12ihipStream_tbDpT10_ENKUlT_T0_E_clISt17integral_constantIbLb0EES1A_IbLb1EEEEDaS16_S17_EUlS16_E_NS1_11comp_targetILNS1_3genE4ELNS1_11target_archE910ELNS1_3gpuE8ELNS1_3repE0EEENS1_30default_config_static_selectorELNS0_4arch9wavefront6targetE0EEEvT1_.num_agpr, 0
	.set _ZN7rocprim17ROCPRIM_400000_NS6detail17trampoline_kernelINS0_14default_configENS1_25partition_config_selectorILNS1_17partition_subalgoE5EtNS0_10empty_typeEbEEZZNS1_14partition_implILS5_5ELb0ES3_mN6thrust23THRUST_200600_302600_NS6detail15normal_iteratorINSA_10device_ptrItEEEEPS6_NSA_18transform_iteratorINSB_9not_fun_tINSA_8identityItEEEESF_NSA_11use_defaultESM_EENS0_5tupleIJSF_S6_EEENSO_IJSG_SG_EEES6_PlJS6_EEE10hipError_tPvRmT3_T4_T5_T6_T7_T9_mT8_P12ihipStream_tbDpT10_ENKUlT_T0_E_clISt17integral_constantIbLb0EES1A_IbLb1EEEEDaS16_S17_EUlS16_E_NS1_11comp_targetILNS1_3genE4ELNS1_11target_archE910ELNS1_3gpuE8ELNS1_3repE0EEENS1_30default_config_static_selectorELNS0_4arch9wavefront6targetE0EEEvT1_.numbered_sgpr, 0
	.set _ZN7rocprim17ROCPRIM_400000_NS6detail17trampoline_kernelINS0_14default_configENS1_25partition_config_selectorILNS1_17partition_subalgoE5EtNS0_10empty_typeEbEEZZNS1_14partition_implILS5_5ELb0ES3_mN6thrust23THRUST_200600_302600_NS6detail15normal_iteratorINSA_10device_ptrItEEEEPS6_NSA_18transform_iteratorINSB_9not_fun_tINSA_8identityItEEEESF_NSA_11use_defaultESM_EENS0_5tupleIJSF_S6_EEENSO_IJSG_SG_EEES6_PlJS6_EEE10hipError_tPvRmT3_T4_T5_T6_T7_T9_mT8_P12ihipStream_tbDpT10_ENKUlT_T0_E_clISt17integral_constantIbLb0EES1A_IbLb1EEEEDaS16_S17_EUlS16_E_NS1_11comp_targetILNS1_3genE4ELNS1_11target_archE910ELNS1_3gpuE8ELNS1_3repE0EEENS1_30default_config_static_selectorELNS0_4arch9wavefront6targetE0EEEvT1_.num_named_barrier, 0
	.set _ZN7rocprim17ROCPRIM_400000_NS6detail17trampoline_kernelINS0_14default_configENS1_25partition_config_selectorILNS1_17partition_subalgoE5EtNS0_10empty_typeEbEEZZNS1_14partition_implILS5_5ELb0ES3_mN6thrust23THRUST_200600_302600_NS6detail15normal_iteratorINSA_10device_ptrItEEEEPS6_NSA_18transform_iteratorINSB_9not_fun_tINSA_8identityItEEEESF_NSA_11use_defaultESM_EENS0_5tupleIJSF_S6_EEENSO_IJSG_SG_EEES6_PlJS6_EEE10hipError_tPvRmT3_T4_T5_T6_T7_T9_mT8_P12ihipStream_tbDpT10_ENKUlT_T0_E_clISt17integral_constantIbLb0EES1A_IbLb1EEEEDaS16_S17_EUlS16_E_NS1_11comp_targetILNS1_3genE4ELNS1_11target_archE910ELNS1_3gpuE8ELNS1_3repE0EEENS1_30default_config_static_selectorELNS0_4arch9wavefront6targetE0EEEvT1_.private_seg_size, 0
	.set _ZN7rocprim17ROCPRIM_400000_NS6detail17trampoline_kernelINS0_14default_configENS1_25partition_config_selectorILNS1_17partition_subalgoE5EtNS0_10empty_typeEbEEZZNS1_14partition_implILS5_5ELb0ES3_mN6thrust23THRUST_200600_302600_NS6detail15normal_iteratorINSA_10device_ptrItEEEEPS6_NSA_18transform_iteratorINSB_9not_fun_tINSA_8identityItEEEESF_NSA_11use_defaultESM_EENS0_5tupleIJSF_S6_EEENSO_IJSG_SG_EEES6_PlJS6_EEE10hipError_tPvRmT3_T4_T5_T6_T7_T9_mT8_P12ihipStream_tbDpT10_ENKUlT_T0_E_clISt17integral_constantIbLb0EES1A_IbLb1EEEEDaS16_S17_EUlS16_E_NS1_11comp_targetILNS1_3genE4ELNS1_11target_archE910ELNS1_3gpuE8ELNS1_3repE0EEENS1_30default_config_static_selectorELNS0_4arch9wavefront6targetE0EEEvT1_.uses_vcc, 0
	.set _ZN7rocprim17ROCPRIM_400000_NS6detail17trampoline_kernelINS0_14default_configENS1_25partition_config_selectorILNS1_17partition_subalgoE5EtNS0_10empty_typeEbEEZZNS1_14partition_implILS5_5ELb0ES3_mN6thrust23THRUST_200600_302600_NS6detail15normal_iteratorINSA_10device_ptrItEEEEPS6_NSA_18transform_iteratorINSB_9not_fun_tINSA_8identityItEEEESF_NSA_11use_defaultESM_EENS0_5tupleIJSF_S6_EEENSO_IJSG_SG_EEES6_PlJS6_EEE10hipError_tPvRmT3_T4_T5_T6_T7_T9_mT8_P12ihipStream_tbDpT10_ENKUlT_T0_E_clISt17integral_constantIbLb0EES1A_IbLb1EEEEDaS16_S17_EUlS16_E_NS1_11comp_targetILNS1_3genE4ELNS1_11target_archE910ELNS1_3gpuE8ELNS1_3repE0EEENS1_30default_config_static_selectorELNS0_4arch9wavefront6targetE0EEEvT1_.uses_flat_scratch, 0
	.set _ZN7rocprim17ROCPRIM_400000_NS6detail17trampoline_kernelINS0_14default_configENS1_25partition_config_selectorILNS1_17partition_subalgoE5EtNS0_10empty_typeEbEEZZNS1_14partition_implILS5_5ELb0ES3_mN6thrust23THRUST_200600_302600_NS6detail15normal_iteratorINSA_10device_ptrItEEEEPS6_NSA_18transform_iteratorINSB_9not_fun_tINSA_8identityItEEEESF_NSA_11use_defaultESM_EENS0_5tupleIJSF_S6_EEENSO_IJSG_SG_EEES6_PlJS6_EEE10hipError_tPvRmT3_T4_T5_T6_T7_T9_mT8_P12ihipStream_tbDpT10_ENKUlT_T0_E_clISt17integral_constantIbLb0EES1A_IbLb1EEEEDaS16_S17_EUlS16_E_NS1_11comp_targetILNS1_3genE4ELNS1_11target_archE910ELNS1_3gpuE8ELNS1_3repE0EEENS1_30default_config_static_selectorELNS0_4arch9wavefront6targetE0EEEvT1_.has_dyn_sized_stack, 0
	.set _ZN7rocprim17ROCPRIM_400000_NS6detail17trampoline_kernelINS0_14default_configENS1_25partition_config_selectorILNS1_17partition_subalgoE5EtNS0_10empty_typeEbEEZZNS1_14partition_implILS5_5ELb0ES3_mN6thrust23THRUST_200600_302600_NS6detail15normal_iteratorINSA_10device_ptrItEEEEPS6_NSA_18transform_iteratorINSB_9not_fun_tINSA_8identityItEEEESF_NSA_11use_defaultESM_EENS0_5tupleIJSF_S6_EEENSO_IJSG_SG_EEES6_PlJS6_EEE10hipError_tPvRmT3_T4_T5_T6_T7_T9_mT8_P12ihipStream_tbDpT10_ENKUlT_T0_E_clISt17integral_constantIbLb0EES1A_IbLb1EEEEDaS16_S17_EUlS16_E_NS1_11comp_targetILNS1_3genE4ELNS1_11target_archE910ELNS1_3gpuE8ELNS1_3repE0EEENS1_30default_config_static_selectorELNS0_4arch9wavefront6targetE0EEEvT1_.has_recursion, 0
	.set _ZN7rocprim17ROCPRIM_400000_NS6detail17trampoline_kernelINS0_14default_configENS1_25partition_config_selectorILNS1_17partition_subalgoE5EtNS0_10empty_typeEbEEZZNS1_14partition_implILS5_5ELb0ES3_mN6thrust23THRUST_200600_302600_NS6detail15normal_iteratorINSA_10device_ptrItEEEEPS6_NSA_18transform_iteratorINSB_9not_fun_tINSA_8identityItEEEESF_NSA_11use_defaultESM_EENS0_5tupleIJSF_S6_EEENSO_IJSG_SG_EEES6_PlJS6_EEE10hipError_tPvRmT3_T4_T5_T6_T7_T9_mT8_P12ihipStream_tbDpT10_ENKUlT_T0_E_clISt17integral_constantIbLb0EES1A_IbLb1EEEEDaS16_S17_EUlS16_E_NS1_11comp_targetILNS1_3genE4ELNS1_11target_archE910ELNS1_3gpuE8ELNS1_3repE0EEENS1_30default_config_static_selectorELNS0_4arch9wavefront6targetE0EEEvT1_.has_indirect_call, 0
	.section	.AMDGPU.csdata,"",@progbits
; Kernel info:
; codeLenInByte = 0
; TotalNumSgprs: 0
; NumVgprs: 0
; ScratchSize: 0
; MemoryBound: 0
; FloatMode: 240
; IeeeMode: 1
; LDSByteSize: 0 bytes/workgroup (compile time only)
; SGPRBlocks: 0
; VGPRBlocks: 0
; NumSGPRsForWavesPerEU: 1
; NumVGPRsForWavesPerEU: 1
; Occupancy: 16
; WaveLimiterHint : 0
; COMPUTE_PGM_RSRC2:SCRATCH_EN: 0
; COMPUTE_PGM_RSRC2:USER_SGPR: 2
; COMPUTE_PGM_RSRC2:TRAP_HANDLER: 0
; COMPUTE_PGM_RSRC2:TGID_X_EN: 1
; COMPUTE_PGM_RSRC2:TGID_Y_EN: 0
; COMPUTE_PGM_RSRC2:TGID_Z_EN: 0
; COMPUTE_PGM_RSRC2:TIDIG_COMP_CNT: 0
	.section	.text._ZN7rocprim17ROCPRIM_400000_NS6detail17trampoline_kernelINS0_14default_configENS1_25partition_config_selectorILNS1_17partition_subalgoE5EtNS0_10empty_typeEbEEZZNS1_14partition_implILS5_5ELb0ES3_mN6thrust23THRUST_200600_302600_NS6detail15normal_iteratorINSA_10device_ptrItEEEEPS6_NSA_18transform_iteratorINSB_9not_fun_tINSA_8identityItEEEESF_NSA_11use_defaultESM_EENS0_5tupleIJSF_S6_EEENSO_IJSG_SG_EEES6_PlJS6_EEE10hipError_tPvRmT3_T4_T5_T6_T7_T9_mT8_P12ihipStream_tbDpT10_ENKUlT_T0_E_clISt17integral_constantIbLb0EES1A_IbLb1EEEEDaS16_S17_EUlS16_E_NS1_11comp_targetILNS1_3genE3ELNS1_11target_archE908ELNS1_3gpuE7ELNS1_3repE0EEENS1_30default_config_static_selectorELNS0_4arch9wavefront6targetE0EEEvT1_,"axG",@progbits,_ZN7rocprim17ROCPRIM_400000_NS6detail17trampoline_kernelINS0_14default_configENS1_25partition_config_selectorILNS1_17partition_subalgoE5EtNS0_10empty_typeEbEEZZNS1_14partition_implILS5_5ELb0ES3_mN6thrust23THRUST_200600_302600_NS6detail15normal_iteratorINSA_10device_ptrItEEEEPS6_NSA_18transform_iteratorINSB_9not_fun_tINSA_8identityItEEEESF_NSA_11use_defaultESM_EENS0_5tupleIJSF_S6_EEENSO_IJSG_SG_EEES6_PlJS6_EEE10hipError_tPvRmT3_T4_T5_T6_T7_T9_mT8_P12ihipStream_tbDpT10_ENKUlT_T0_E_clISt17integral_constantIbLb0EES1A_IbLb1EEEEDaS16_S17_EUlS16_E_NS1_11comp_targetILNS1_3genE3ELNS1_11target_archE908ELNS1_3gpuE7ELNS1_3repE0EEENS1_30default_config_static_selectorELNS0_4arch9wavefront6targetE0EEEvT1_,comdat
	.protected	_ZN7rocprim17ROCPRIM_400000_NS6detail17trampoline_kernelINS0_14default_configENS1_25partition_config_selectorILNS1_17partition_subalgoE5EtNS0_10empty_typeEbEEZZNS1_14partition_implILS5_5ELb0ES3_mN6thrust23THRUST_200600_302600_NS6detail15normal_iteratorINSA_10device_ptrItEEEEPS6_NSA_18transform_iteratorINSB_9not_fun_tINSA_8identityItEEEESF_NSA_11use_defaultESM_EENS0_5tupleIJSF_S6_EEENSO_IJSG_SG_EEES6_PlJS6_EEE10hipError_tPvRmT3_T4_T5_T6_T7_T9_mT8_P12ihipStream_tbDpT10_ENKUlT_T0_E_clISt17integral_constantIbLb0EES1A_IbLb1EEEEDaS16_S17_EUlS16_E_NS1_11comp_targetILNS1_3genE3ELNS1_11target_archE908ELNS1_3gpuE7ELNS1_3repE0EEENS1_30default_config_static_selectorELNS0_4arch9wavefront6targetE0EEEvT1_ ; -- Begin function _ZN7rocprim17ROCPRIM_400000_NS6detail17trampoline_kernelINS0_14default_configENS1_25partition_config_selectorILNS1_17partition_subalgoE5EtNS0_10empty_typeEbEEZZNS1_14partition_implILS5_5ELb0ES3_mN6thrust23THRUST_200600_302600_NS6detail15normal_iteratorINSA_10device_ptrItEEEEPS6_NSA_18transform_iteratorINSB_9not_fun_tINSA_8identityItEEEESF_NSA_11use_defaultESM_EENS0_5tupleIJSF_S6_EEENSO_IJSG_SG_EEES6_PlJS6_EEE10hipError_tPvRmT3_T4_T5_T6_T7_T9_mT8_P12ihipStream_tbDpT10_ENKUlT_T0_E_clISt17integral_constantIbLb0EES1A_IbLb1EEEEDaS16_S17_EUlS16_E_NS1_11comp_targetILNS1_3genE3ELNS1_11target_archE908ELNS1_3gpuE7ELNS1_3repE0EEENS1_30default_config_static_selectorELNS0_4arch9wavefront6targetE0EEEvT1_
	.globl	_ZN7rocprim17ROCPRIM_400000_NS6detail17trampoline_kernelINS0_14default_configENS1_25partition_config_selectorILNS1_17partition_subalgoE5EtNS0_10empty_typeEbEEZZNS1_14partition_implILS5_5ELb0ES3_mN6thrust23THRUST_200600_302600_NS6detail15normal_iteratorINSA_10device_ptrItEEEEPS6_NSA_18transform_iteratorINSB_9not_fun_tINSA_8identityItEEEESF_NSA_11use_defaultESM_EENS0_5tupleIJSF_S6_EEENSO_IJSG_SG_EEES6_PlJS6_EEE10hipError_tPvRmT3_T4_T5_T6_T7_T9_mT8_P12ihipStream_tbDpT10_ENKUlT_T0_E_clISt17integral_constantIbLb0EES1A_IbLb1EEEEDaS16_S17_EUlS16_E_NS1_11comp_targetILNS1_3genE3ELNS1_11target_archE908ELNS1_3gpuE7ELNS1_3repE0EEENS1_30default_config_static_selectorELNS0_4arch9wavefront6targetE0EEEvT1_
	.p2align	8
	.type	_ZN7rocprim17ROCPRIM_400000_NS6detail17trampoline_kernelINS0_14default_configENS1_25partition_config_selectorILNS1_17partition_subalgoE5EtNS0_10empty_typeEbEEZZNS1_14partition_implILS5_5ELb0ES3_mN6thrust23THRUST_200600_302600_NS6detail15normal_iteratorINSA_10device_ptrItEEEEPS6_NSA_18transform_iteratorINSB_9not_fun_tINSA_8identityItEEEESF_NSA_11use_defaultESM_EENS0_5tupleIJSF_S6_EEENSO_IJSG_SG_EEES6_PlJS6_EEE10hipError_tPvRmT3_T4_T5_T6_T7_T9_mT8_P12ihipStream_tbDpT10_ENKUlT_T0_E_clISt17integral_constantIbLb0EES1A_IbLb1EEEEDaS16_S17_EUlS16_E_NS1_11comp_targetILNS1_3genE3ELNS1_11target_archE908ELNS1_3gpuE7ELNS1_3repE0EEENS1_30default_config_static_selectorELNS0_4arch9wavefront6targetE0EEEvT1_,@function
_ZN7rocprim17ROCPRIM_400000_NS6detail17trampoline_kernelINS0_14default_configENS1_25partition_config_selectorILNS1_17partition_subalgoE5EtNS0_10empty_typeEbEEZZNS1_14partition_implILS5_5ELb0ES3_mN6thrust23THRUST_200600_302600_NS6detail15normal_iteratorINSA_10device_ptrItEEEEPS6_NSA_18transform_iteratorINSB_9not_fun_tINSA_8identityItEEEESF_NSA_11use_defaultESM_EENS0_5tupleIJSF_S6_EEENSO_IJSG_SG_EEES6_PlJS6_EEE10hipError_tPvRmT3_T4_T5_T6_T7_T9_mT8_P12ihipStream_tbDpT10_ENKUlT_T0_E_clISt17integral_constantIbLb0EES1A_IbLb1EEEEDaS16_S17_EUlS16_E_NS1_11comp_targetILNS1_3genE3ELNS1_11target_archE908ELNS1_3gpuE7ELNS1_3repE0EEENS1_30default_config_static_selectorELNS0_4arch9wavefront6targetE0EEEvT1_: ; @_ZN7rocprim17ROCPRIM_400000_NS6detail17trampoline_kernelINS0_14default_configENS1_25partition_config_selectorILNS1_17partition_subalgoE5EtNS0_10empty_typeEbEEZZNS1_14partition_implILS5_5ELb0ES3_mN6thrust23THRUST_200600_302600_NS6detail15normal_iteratorINSA_10device_ptrItEEEEPS6_NSA_18transform_iteratorINSB_9not_fun_tINSA_8identityItEEEESF_NSA_11use_defaultESM_EENS0_5tupleIJSF_S6_EEENSO_IJSG_SG_EEES6_PlJS6_EEE10hipError_tPvRmT3_T4_T5_T6_T7_T9_mT8_P12ihipStream_tbDpT10_ENKUlT_T0_E_clISt17integral_constantIbLb0EES1A_IbLb1EEEEDaS16_S17_EUlS16_E_NS1_11comp_targetILNS1_3genE3ELNS1_11target_archE908ELNS1_3gpuE7ELNS1_3repE0EEENS1_30default_config_static_selectorELNS0_4arch9wavefront6targetE0EEEvT1_
; %bb.0:
	.section	.rodata,"a",@progbits
	.p2align	6, 0x0
	.amdhsa_kernel _ZN7rocprim17ROCPRIM_400000_NS6detail17trampoline_kernelINS0_14default_configENS1_25partition_config_selectorILNS1_17partition_subalgoE5EtNS0_10empty_typeEbEEZZNS1_14partition_implILS5_5ELb0ES3_mN6thrust23THRUST_200600_302600_NS6detail15normal_iteratorINSA_10device_ptrItEEEEPS6_NSA_18transform_iteratorINSB_9not_fun_tINSA_8identityItEEEESF_NSA_11use_defaultESM_EENS0_5tupleIJSF_S6_EEENSO_IJSG_SG_EEES6_PlJS6_EEE10hipError_tPvRmT3_T4_T5_T6_T7_T9_mT8_P12ihipStream_tbDpT10_ENKUlT_T0_E_clISt17integral_constantIbLb0EES1A_IbLb1EEEEDaS16_S17_EUlS16_E_NS1_11comp_targetILNS1_3genE3ELNS1_11target_archE908ELNS1_3gpuE7ELNS1_3repE0EEENS1_30default_config_static_selectorELNS0_4arch9wavefront6targetE0EEEvT1_
		.amdhsa_group_segment_fixed_size 0
		.amdhsa_private_segment_fixed_size 0
		.amdhsa_kernarg_size 136
		.amdhsa_user_sgpr_count 2
		.amdhsa_user_sgpr_dispatch_ptr 0
		.amdhsa_user_sgpr_queue_ptr 0
		.amdhsa_user_sgpr_kernarg_segment_ptr 1
		.amdhsa_user_sgpr_dispatch_id 0
		.amdhsa_user_sgpr_private_segment_size 0
		.amdhsa_wavefront_size32 1
		.amdhsa_uses_dynamic_stack 0
		.amdhsa_enable_private_segment 0
		.amdhsa_system_sgpr_workgroup_id_x 1
		.amdhsa_system_sgpr_workgroup_id_y 0
		.amdhsa_system_sgpr_workgroup_id_z 0
		.amdhsa_system_sgpr_workgroup_info 0
		.amdhsa_system_vgpr_workitem_id 0
		.amdhsa_next_free_vgpr 1
		.amdhsa_next_free_sgpr 1
		.amdhsa_reserve_vcc 0
		.amdhsa_float_round_mode_32 0
		.amdhsa_float_round_mode_16_64 0
		.amdhsa_float_denorm_mode_32 3
		.amdhsa_float_denorm_mode_16_64 3
		.amdhsa_fp16_overflow 0
		.amdhsa_workgroup_processor_mode 1
		.amdhsa_memory_ordered 1
		.amdhsa_forward_progress 1
		.amdhsa_inst_pref_size 0
		.amdhsa_round_robin_scheduling 0
		.amdhsa_exception_fp_ieee_invalid_op 0
		.amdhsa_exception_fp_denorm_src 0
		.amdhsa_exception_fp_ieee_div_zero 0
		.amdhsa_exception_fp_ieee_overflow 0
		.amdhsa_exception_fp_ieee_underflow 0
		.amdhsa_exception_fp_ieee_inexact 0
		.amdhsa_exception_int_div_zero 0
	.end_amdhsa_kernel
	.section	.text._ZN7rocprim17ROCPRIM_400000_NS6detail17trampoline_kernelINS0_14default_configENS1_25partition_config_selectorILNS1_17partition_subalgoE5EtNS0_10empty_typeEbEEZZNS1_14partition_implILS5_5ELb0ES3_mN6thrust23THRUST_200600_302600_NS6detail15normal_iteratorINSA_10device_ptrItEEEEPS6_NSA_18transform_iteratorINSB_9not_fun_tINSA_8identityItEEEESF_NSA_11use_defaultESM_EENS0_5tupleIJSF_S6_EEENSO_IJSG_SG_EEES6_PlJS6_EEE10hipError_tPvRmT3_T4_T5_T6_T7_T9_mT8_P12ihipStream_tbDpT10_ENKUlT_T0_E_clISt17integral_constantIbLb0EES1A_IbLb1EEEEDaS16_S17_EUlS16_E_NS1_11comp_targetILNS1_3genE3ELNS1_11target_archE908ELNS1_3gpuE7ELNS1_3repE0EEENS1_30default_config_static_selectorELNS0_4arch9wavefront6targetE0EEEvT1_,"axG",@progbits,_ZN7rocprim17ROCPRIM_400000_NS6detail17trampoline_kernelINS0_14default_configENS1_25partition_config_selectorILNS1_17partition_subalgoE5EtNS0_10empty_typeEbEEZZNS1_14partition_implILS5_5ELb0ES3_mN6thrust23THRUST_200600_302600_NS6detail15normal_iteratorINSA_10device_ptrItEEEEPS6_NSA_18transform_iteratorINSB_9not_fun_tINSA_8identityItEEEESF_NSA_11use_defaultESM_EENS0_5tupleIJSF_S6_EEENSO_IJSG_SG_EEES6_PlJS6_EEE10hipError_tPvRmT3_T4_T5_T6_T7_T9_mT8_P12ihipStream_tbDpT10_ENKUlT_T0_E_clISt17integral_constantIbLb0EES1A_IbLb1EEEEDaS16_S17_EUlS16_E_NS1_11comp_targetILNS1_3genE3ELNS1_11target_archE908ELNS1_3gpuE7ELNS1_3repE0EEENS1_30default_config_static_selectorELNS0_4arch9wavefront6targetE0EEEvT1_,comdat
.Lfunc_end944:
	.size	_ZN7rocprim17ROCPRIM_400000_NS6detail17trampoline_kernelINS0_14default_configENS1_25partition_config_selectorILNS1_17partition_subalgoE5EtNS0_10empty_typeEbEEZZNS1_14partition_implILS5_5ELb0ES3_mN6thrust23THRUST_200600_302600_NS6detail15normal_iteratorINSA_10device_ptrItEEEEPS6_NSA_18transform_iteratorINSB_9not_fun_tINSA_8identityItEEEESF_NSA_11use_defaultESM_EENS0_5tupleIJSF_S6_EEENSO_IJSG_SG_EEES6_PlJS6_EEE10hipError_tPvRmT3_T4_T5_T6_T7_T9_mT8_P12ihipStream_tbDpT10_ENKUlT_T0_E_clISt17integral_constantIbLb0EES1A_IbLb1EEEEDaS16_S17_EUlS16_E_NS1_11comp_targetILNS1_3genE3ELNS1_11target_archE908ELNS1_3gpuE7ELNS1_3repE0EEENS1_30default_config_static_selectorELNS0_4arch9wavefront6targetE0EEEvT1_, .Lfunc_end944-_ZN7rocprim17ROCPRIM_400000_NS6detail17trampoline_kernelINS0_14default_configENS1_25partition_config_selectorILNS1_17partition_subalgoE5EtNS0_10empty_typeEbEEZZNS1_14partition_implILS5_5ELb0ES3_mN6thrust23THRUST_200600_302600_NS6detail15normal_iteratorINSA_10device_ptrItEEEEPS6_NSA_18transform_iteratorINSB_9not_fun_tINSA_8identityItEEEESF_NSA_11use_defaultESM_EENS0_5tupleIJSF_S6_EEENSO_IJSG_SG_EEES6_PlJS6_EEE10hipError_tPvRmT3_T4_T5_T6_T7_T9_mT8_P12ihipStream_tbDpT10_ENKUlT_T0_E_clISt17integral_constantIbLb0EES1A_IbLb1EEEEDaS16_S17_EUlS16_E_NS1_11comp_targetILNS1_3genE3ELNS1_11target_archE908ELNS1_3gpuE7ELNS1_3repE0EEENS1_30default_config_static_selectorELNS0_4arch9wavefront6targetE0EEEvT1_
                                        ; -- End function
	.set _ZN7rocprim17ROCPRIM_400000_NS6detail17trampoline_kernelINS0_14default_configENS1_25partition_config_selectorILNS1_17partition_subalgoE5EtNS0_10empty_typeEbEEZZNS1_14partition_implILS5_5ELb0ES3_mN6thrust23THRUST_200600_302600_NS6detail15normal_iteratorINSA_10device_ptrItEEEEPS6_NSA_18transform_iteratorINSB_9not_fun_tINSA_8identityItEEEESF_NSA_11use_defaultESM_EENS0_5tupleIJSF_S6_EEENSO_IJSG_SG_EEES6_PlJS6_EEE10hipError_tPvRmT3_T4_T5_T6_T7_T9_mT8_P12ihipStream_tbDpT10_ENKUlT_T0_E_clISt17integral_constantIbLb0EES1A_IbLb1EEEEDaS16_S17_EUlS16_E_NS1_11comp_targetILNS1_3genE3ELNS1_11target_archE908ELNS1_3gpuE7ELNS1_3repE0EEENS1_30default_config_static_selectorELNS0_4arch9wavefront6targetE0EEEvT1_.num_vgpr, 0
	.set _ZN7rocprim17ROCPRIM_400000_NS6detail17trampoline_kernelINS0_14default_configENS1_25partition_config_selectorILNS1_17partition_subalgoE5EtNS0_10empty_typeEbEEZZNS1_14partition_implILS5_5ELb0ES3_mN6thrust23THRUST_200600_302600_NS6detail15normal_iteratorINSA_10device_ptrItEEEEPS6_NSA_18transform_iteratorINSB_9not_fun_tINSA_8identityItEEEESF_NSA_11use_defaultESM_EENS0_5tupleIJSF_S6_EEENSO_IJSG_SG_EEES6_PlJS6_EEE10hipError_tPvRmT3_T4_T5_T6_T7_T9_mT8_P12ihipStream_tbDpT10_ENKUlT_T0_E_clISt17integral_constantIbLb0EES1A_IbLb1EEEEDaS16_S17_EUlS16_E_NS1_11comp_targetILNS1_3genE3ELNS1_11target_archE908ELNS1_3gpuE7ELNS1_3repE0EEENS1_30default_config_static_selectorELNS0_4arch9wavefront6targetE0EEEvT1_.num_agpr, 0
	.set _ZN7rocprim17ROCPRIM_400000_NS6detail17trampoline_kernelINS0_14default_configENS1_25partition_config_selectorILNS1_17partition_subalgoE5EtNS0_10empty_typeEbEEZZNS1_14partition_implILS5_5ELb0ES3_mN6thrust23THRUST_200600_302600_NS6detail15normal_iteratorINSA_10device_ptrItEEEEPS6_NSA_18transform_iteratorINSB_9not_fun_tINSA_8identityItEEEESF_NSA_11use_defaultESM_EENS0_5tupleIJSF_S6_EEENSO_IJSG_SG_EEES6_PlJS6_EEE10hipError_tPvRmT3_T4_T5_T6_T7_T9_mT8_P12ihipStream_tbDpT10_ENKUlT_T0_E_clISt17integral_constantIbLb0EES1A_IbLb1EEEEDaS16_S17_EUlS16_E_NS1_11comp_targetILNS1_3genE3ELNS1_11target_archE908ELNS1_3gpuE7ELNS1_3repE0EEENS1_30default_config_static_selectorELNS0_4arch9wavefront6targetE0EEEvT1_.numbered_sgpr, 0
	.set _ZN7rocprim17ROCPRIM_400000_NS6detail17trampoline_kernelINS0_14default_configENS1_25partition_config_selectorILNS1_17partition_subalgoE5EtNS0_10empty_typeEbEEZZNS1_14partition_implILS5_5ELb0ES3_mN6thrust23THRUST_200600_302600_NS6detail15normal_iteratorINSA_10device_ptrItEEEEPS6_NSA_18transform_iteratorINSB_9not_fun_tINSA_8identityItEEEESF_NSA_11use_defaultESM_EENS0_5tupleIJSF_S6_EEENSO_IJSG_SG_EEES6_PlJS6_EEE10hipError_tPvRmT3_T4_T5_T6_T7_T9_mT8_P12ihipStream_tbDpT10_ENKUlT_T0_E_clISt17integral_constantIbLb0EES1A_IbLb1EEEEDaS16_S17_EUlS16_E_NS1_11comp_targetILNS1_3genE3ELNS1_11target_archE908ELNS1_3gpuE7ELNS1_3repE0EEENS1_30default_config_static_selectorELNS0_4arch9wavefront6targetE0EEEvT1_.num_named_barrier, 0
	.set _ZN7rocprim17ROCPRIM_400000_NS6detail17trampoline_kernelINS0_14default_configENS1_25partition_config_selectorILNS1_17partition_subalgoE5EtNS0_10empty_typeEbEEZZNS1_14partition_implILS5_5ELb0ES3_mN6thrust23THRUST_200600_302600_NS6detail15normal_iteratorINSA_10device_ptrItEEEEPS6_NSA_18transform_iteratorINSB_9not_fun_tINSA_8identityItEEEESF_NSA_11use_defaultESM_EENS0_5tupleIJSF_S6_EEENSO_IJSG_SG_EEES6_PlJS6_EEE10hipError_tPvRmT3_T4_T5_T6_T7_T9_mT8_P12ihipStream_tbDpT10_ENKUlT_T0_E_clISt17integral_constantIbLb0EES1A_IbLb1EEEEDaS16_S17_EUlS16_E_NS1_11comp_targetILNS1_3genE3ELNS1_11target_archE908ELNS1_3gpuE7ELNS1_3repE0EEENS1_30default_config_static_selectorELNS0_4arch9wavefront6targetE0EEEvT1_.private_seg_size, 0
	.set _ZN7rocprim17ROCPRIM_400000_NS6detail17trampoline_kernelINS0_14default_configENS1_25partition_config_selectorILNS1_17partition_subalgoE5EtNS0_10empty_typeEbEEZZNS1_14partition_implILS5_5ELb0ES3_mN6thrust23THRUST_200600_302600_NS6detail15normal_iteratorINSA_10device_ptrItEEEEPS6_NSA_18transform_iteratorINSB_9not_fun_tINSA_8identityItEEEESF_NSA_11use_defaultESM_EENS0_5tupleIJSF_S6_EEENSO_IJSG_SG_EEES6_PlJS6_EEE10hipError_tPvRmT3_T4_T5_T6_T7_T9_mT8_P12ihipStream_tbDpT10_ENKUlT_T0_E_clISt17integral_constantIbLb0EES1A_IbLb1EEEEDaS16_S17_EUlS16_E_NS1_11comp_targetILNS1_3genE3ELNS1_11target_archE908ELNS1_3gpuE7ELNS1_3repE0EEENS1_30default_config_static_selectorELNS0_4arch9wavefront6targetE0EEEvT1_.uses_vcc, 0
	.set _ZN7rocprim17ROCPRIM_400000_NS6detail17trampoline_kernelINS0_14default_configENS1_25partition_config_selectorILNS1_17partition_subalgoE5EtNS0_10empty_typeEbEEZZNS1_14partition_implILS5_5ELb0ES3_mN6thrust23THRUST_200600_302600_NS6detail15normal_iteratorINSA_10device_ptrItEEEEPS6_NSA_18transform_iteratorINSB_9not_fun_tINSA_8identityItEEEESF_NSA_11use_defaultESM_EENS0_5tupleIJSF_S6_EEENSO_IJSG_SG_EEES6_PlJS6_EEE10hipError_tPvRmT3_T4_T5_T6_T7_T9_mT8_P12ihipStream_tbDpT10_ENKUlT_T0_E_clISt17integral_constantIbLb0EES1A_IbLb1EEEEDaS16_S17_EUlS16_E_NS1_11comp_targetILNS1_3genE3ELNS1_11target_archE908ELNS1_3gpuE7ELNS1_3repE0EEENS1_30default_config_static_selectorELNS0_4arch9wavefront6targetE0EEEvT1_.uses_flat_scratch, 0
	.set _ZN7rocprim17ROCPRIM_400000_NS6detail17trampoline_kernelINS0_14default_configENS1_25partition_config_selectorILNS1_17partition_subalgoE5EtNS0_10empty_typeEbEEZZNS1_14partition_implILS5_5ELb0ES3_mN6thrust23THRUST_200600_302600_NS6detail15normal_iteratorINSA_10device_ptrItEEEEPS6_NSA_18transform_iteratorINSB_9not_fun_tINSA_8identityItEEEESF_NSA_11use_defaultESM_EENS0_5tupleIJSF_S6_EEENSO_IJSG_SG_EEES6_PlJS6_EEE10hipError_tPvRmT3_T4_T5_T6_T7_T9_mT8_P12ihipStream_tbDpT10_ENKUlT_T0_E_clISt17integral_constantIbLb0EES1A_IbLb1EEEEDaS16_S17_EUlS16_E_NS1_11comp_targetILNS1_3genE3ELNS1_11target_archE908ELNS1_3gpuE7ELNS1_3repE0EEENS1_30default_config_static_selectorELNS0_4arch9wavefront6targetE0EEEvT1_.has_dyn_sized_stack, 0
	.set _ZN7rocprim17ROCPRIM_400000_NS6detail17trampoline_kernelINS0_14default_configENS1_25partition_config_selectorILNS1_17partition_subalgoE5EtNS0_10empty_typeEbEEZZNS1_14partition_implILS5_5ELb0ES3_mN6thrust23THRUST_200600_302600_NS6detail15normal_iteratorINSA_10device_ptrItEEEEPS6_NSA_18transform_iteratorINSB_9not_fun_tINSA_8identityItEEEESF_NSA_11use_defaultESM_EENS0_5tupleIJSF_S6_EEENSO_IJSG_SG_EEES6_PlJS6_EEE10hipError_tPvRmT3_T4_T5_T6_T7_T9_mT8_P12ihipStream_tbDpT10_ENKUlT_T0_E_clISt17integral_constantIbLb0EES1A_IbLb1EEEEDaS16_S17_EUlS16_E_NS1_11comp_targetILNS1_3genE3ELNS1_11target_archE908ELNS1_3gpuE7ELNS1_3repE0EEENS1_30default_config_static_selectorELNS0_4arch9wavefront6targetE0EEEvT1_.has_recursion, 0
	.set _ZN7rocprim17ROCPRIM_400000_NS6detail17trampoline_kernelINS0_14default_configENS1_25partition_config_selectorILNS1_17partition_subalgoE5EtNS0_10empty_typeEbEEZZNS1_14partition_implILS5_5ELb0ES3_mN6thrust23THRUST_200600_302600_NS6detail15normal_iteratorINSA_10device_ptrItEEEEPS6_NSA_18transform_iteratorINSB_9not_fun_tINSA_8identityItEEEESF_NSA_11use_defaultESM_EENS0_5tupleIJSF_S6_EEENSO_IJSG_SG_EEES6_PlJS6_EEE10hipError_tPvRmT3_T4_T5_T6_T7_T9_mT8_P12ihipStream_tbDpT10_ENKUlT_T0_E_clISt17integral_constantIbLb0EES1A_IbLb1EEEEDaS16_S17_EUlS16_E_NS1_11comp_targetILNS1_3genE3ELNS1_11target_archE908ELNS1_3gpuE7ELNS1_3repE0EEENS1_30default_config_static_selectorELNS0_4arch9wavefront6targetE0EEEvT1_.has_indirect_call, 0
	.section	.AMDGPU.csdata,"",@progbits
; Kernel info:
; codeLenInByte = 0
; TotalNumSgprs: 0
; NumVgprs: 0
; ScratchSize: 0
; MemoryBound: 0
; FloatMode: 240
; IeeeMode: 1
; LDSByteSize: 0 bytes/workgroup (compile time only)
; SGPRBlocks: 0
; VGPRBlocks: 0
; NumSGPRsForWavesPerEU: 1
; NumVGPRsForWavesPerEU: 1
; Occupancy: 16
; WaveLimiterHint : 0
; COMPUTE_PGM_RSRC2:SCRATCH_EN: 0
; COMPUTE_PGM_RSRC2:USER_SGPR: 2
; COMPUTE_PGM_RSRC2:TRAP_HANDLER: 0
; COMPUTE_PGM_RSRC2:TGID_X_EN: 1
; COMPUTE_PGM_RSRC2:TGID_Y_EN: 0
; COMPUTE_PGM_RSRC2:TGID_Z_EN: 0
; COMPUTE_PGM_RSRC2:TIDIG_COMP_CNT: 0
	.section	.text._ZN7rocprim17ROCPRIM_400000_NS6detail17trampoline_kernelINS0_14default_configENS1_25partition_config_selectorILNS1_17partition_subalgoE5EtNS0_10empty_typeEbEEZZNS1_14partition_implILS5_5ELb0ES3_mN6thrust23THRUST_200600_302600_NS6detail15normal_iteratorINSA_10device_ptrItEEEEPS6_NSA_18transform_iteratorINSB_9not_fun_tINSA_8identityItEEEESF_NSA_11use_defaultESM_EENS0_5tupleIJSF_S6_EEENSO_IJSG_SG_EEES6_PlJS6_EEE10hipError_tPvRmT3_T4_T5_T6_T7_T9_mT8_P12ihipStream_tbDpT10_ENKUlT_T0_E_clISt17integral_constantIbLb0EES1A_IbLb1EEEEDaS16_S17_EUlS16_E_NS1_11comp_targetILNS1_3genE2ELNS1_11target_archE906ELNS1_3gpuE6ELNS1_3repE0EEENS1_30default_config_static_selectorELNS0_4arch9wavefront6targetE0EEEvT1_,"axG",@progbits,_ZN7rocprim17ROCPRIM_400000_NS6detail17trampoline_kernelINS0_14default_configENS1_25partition_config_selectorILNS1_17partition_subalgoE5EtNS0_10empty_typeEbEEZZNS1_14partition_implILS5_5ELb0ES3_mN6thrust23THRUST_200600_302600_NS6detail15normal_iteratorINSA_10device_ptrItEEEEPS6_NSA_18transform_iteratorINSB_9not_fun_tINSA_8identityItEEEESF_NSA_11use_defaultESM_EENS0_5tupleIJSF_S6_EEENSO_IJSG_SG_EEES6_PlJS6_EEE10hipError_tPvRmT3_T4_T5_T6_T7_T9_mT8_P12ihipStream_tbDpT10_ENKUlT_T0_E_clISt17integral_constantIbLb0EES1A_IbLb1EEEEDaS16_S17_EUlS16_E_NS1_11comp_targetILNS1_3genE2ELNS1_11target_archE906ELNS1_3gpuE6ELNS1_3repE0EEENS1_30default_config_static_selectorELNS0_4arch9wavefront6targetE0EEEvT1_,comdat
	.protected	_ZN7rocprim17ROCPRIM_400000_NS6detail17trampoline_kernelINS0_14default_configENS1_25partition_config_selectorILNS1_17partition_subalgoE5EtNS0_10empty_typeEbEEZZNS1_14partition_implILS5_5ELb0ES3_mN6thrust23THRUST_200600_302600_NS6detail15normal_iteratorINSA_10device_ptrItEEEEPS6_NSA_18transform_iteratorINSB_9not_fun_tINSA_8identityItEEEESF_NSA_11use_defaultESM_EENS0_5tupleIJSF_S6_EEENSO_IJSG_SG_EEES6_PlJS6_EEE10hipError_tPvRmT3_T4_T5_T6_T7_T9_mT8_P12ihipStream_tbDpT10_ENKUlT_T0_E_clISt17integral_constantIbLb0EES1A_IbLb1EEEEDaS16_S17_EUlS16_E_NS1_11comp_targetILNS1_3genE2ELNS1_11target_archE906ELNS1_3gpuE6ELNS1_3repE0EEENS1_30default_config_static_selectorELNS0_4arch9wavefront6targetE0EEEvT1_ ; -- Begin function _ZN7rocprim17ROCPRIM_400000_NS6detail17trampoline_kernelINS0_14default_configENS1_25partition_config_selectorILNS1_17partition_subalgoE5EtNS0_10empty_typeEbEEZZNS1_14partition_implILS5_5ELb0ES3_mN6thrust23THRUST_200600_302600_NS6detail15normal_iteratorINSA_10device_ptrItEEEEPS6_NSA_18transform_iteratorINSB_9not_fun_tINSA_8identityItEEEESF_NSA_11use_defaultESM_EENS0_5tupleIJSF_S6_EEENSO_IJSG_SG_EEES6_PlJS6_EEE10hipError_tPvRmT3_T4_T5_T6_T7_T9_mT8_P12ihipStream_tbDpT10_ENKUlT_T0_E_clISt17integral_constantIbLb0EES1A_IbLb1EEEEDaS16_S17_EUlS16_E_NS1_11comp_targetILNS1_3genE2ELNS1_11target_archE906ELNS1_3gpuE6ELNS1_3repE0EEENS1_30default_config_static_selectorELNS0_4arch9wavefront6targetE0EEEvT1_
	.globl	_ZN7rocprim17ROCPRIM_400000_NS6detail17trampoline_kernelINS0_14default_configENS1_25partition_config_selectorILNS1_17partition_subalgoE5EtNS0_10empty_typeEbEEZZNS1_14partition_implILS5_5ELb0ES3_mN6thrust23THRUST_200600_302600_NS6detail15normal_iteratorINSA_10device_ptrItEEEEPS6_NSA_18transform_iteratorINSB_9not_fun_tINSA_8identityItEEEESF_NSA_11use_defaultESM_EENS0_5tupleIJSF_S6_EEENSO_IJSG_SG_EEES6_PlJS6_EEE10hipError_tPvRmT3_T4_T5_T6_T7_T9_mT8_P12ihipStream_tbDpT10_ENKUlT_T0_E_clISt17integral_constantIbLb0EES1A_IbLb1EEEEDaS16_S17_EUlS16_E_NS1_11comp_targetILNS1_3genE2ELNS1_11target_archE906ELNS1_3gpuE6ELNS1_3repE0EEENS1_30default_config_static_selectorELNS0_4arch9wavefront6targetE0EEEvT1_
	.p2align	8
	.type	_ZN7rocprim17ROCPRIM_400000_NS6detail17trampoline_kernelINS0_14default_configENS1_25partition_config_selectorILNS1_17partition_subalgoE5EtNS0_10empty_typeEbEEZZNS1_14partition_implILS5_5ELb0ES3_mN6thrust23THRUST_200600_302600_NS6detail15normal_iteratorINSA_10device_ptrItEEEEPS6_NSA_18transform_iteratorINSB_9not_fun_tINSA_8identityItEEEESF_NSA_11use_defaultESM_EENS0_5tupleIJSF_S6_EEENSO_IJSG_SG_EEES6_PlJS6_EEE10hipError_tPvRmT3_T4_T5_T6_T7_T9_mT8_P12ihipStream_tbDpT10_ENKUlT_T0_E_clISt17integral_constantIbLb0EES1A_IbLb1EEEEDaS16_S17_EUlS16_E_NS1_11comp_targetILNS1_3genE2ELNS1_11target_archE906ELNS1_3gpuE6ELNS1_3repE0EEENS1_30default_config_static_selectorELNS0_4arch9wavefront6targetE0EEEvT1_,@function
_ZN7rocprim17ROCPRIM_400000_NS6detail17trampoline_kernelINS0_14default_configENS1_25partition_config_selectorILNS1_17partition_subalgoE5EtNS0_10empty_typeEbEEZZNS1_14partition_implILS5_5ELb0ES3_mN6thrust23THRUST_200600_302600_NS6detail15normal_iteratorINSA_10device_ptrItEEEEPS6_NSA_18transform_iteratorINSB_9not_fun_tINSA_8identityItEEEESF_NSA_11use_defaultESM_EENS0_5tupleIJSF_S6_EEENSO_IJSG_SG_EEES6_PlJS6_EEE10hipError_tPvRmT3_T4_T5_T6_T7_T9_mT8_P12ihipStream_tbDpT10_ENKUlT_T0_E_clISt17integral_constantIbLb0EES1A_IbLb1EEEEDaS16_S17_EUlS16_E_NS1_11comp_targetILNS1_3genE2ELNS1_11target_archE906ELNS1_3gpuE6ELNS1_3repE0EEENS1_30default_config_static_selectorELNS0_4arch9wavefront6targetE0EEEvT1_: ; @_ZN7rocprim17ROCPRIM_400000_NS6detail17trampoline_kernelINS0_14default_configENS1_25partition_config_selectorILNS1_17partition_subalgoE5EtNS0_10empty_typeEbEEZZNS1_14partition_implILS5_5ELb0ES3_mN6thrust23THRUST_200600_302600_NS6detail15normal_iteratorINSA_10device_ptrItEEEEPS6_NSA_18transform_iteratorINSB_9not_fun_tINSA_8identityItEEEESF_NSA_11use_defaultESM_EENS0_5tupleIJSF_S6_EEENSO_IJSG_SG_EEES6_PlJS6_EEE10hipError_tPvRmT3_T4_T5_T6_T7_T9_mT8_P12ihipStream_tbDpT10_ENKUlT_T0_E_clISt17integral_constantIbLb0EES1A_IbLb1EEEEDaS16_S17_EUlS16_E_NS1_11comp_targetILNS1_3genE2ELNS1_11target_archE906ELNS1_3gpuE6ELNS1_3repE0EEENS1_30default_config_static_selectorELNS0_4arch9wavefront6targetE0EEEvT1_
; %bb.0:
	.section	.rodata,"a",@progbits
	.p2align	6, 0x0
	.amdhsa_kernel _ZN7rocprim17ROCPRIM_400000_NS6detail17trampoline_kernelINS0_14default_configENS1_25partition_config_selectorILNS1_17partition_subalgoE5EtNS0_10empty_typeEbEEZZNS1_14partition_implILS5_5ELb0ES3_mN6thrust23THRUST_200600_302600_NS6detail15normal_iteratorINSA_10device_ptrItEEEEPS6_NSA_18transform_iteratorINSB_9not_fun_tINSA_8identityItEEEESF_NSA_11use_defaultESM_EENS0_5tupleIJSF_S6_EEENSO_IJSG_SG_EEES6_PlJS6_EEE10hipError_tPvRmT3_T4_T5_T6_T7_T9_mT8_P12ihipStream_tbDpT10_ENKUlT_T0_E_clISt17integral_constantIbLb0EES1A_IbLb1EEEEDaS16_S17_EUlS16_E_NS1_11comp_targetILNS1_3genE2ELNS1_11target_archE906ELNS1_3gpuE6ELNS1_3repE0EEENS1_30default_config_static_selectorELNS0_4arch9wavefront6targetE0EEEvT1_
		.amdhsa_group_segment_fixed_size 0
		.amdhsa_private_segment_fixed_size 0
		.amdhsa_kernarg_size 136
		.amdhsa_user_sgpr_count 2
		.amdhsa_user_sgpr_dispatch_ptr 0
		.amdhsa_user_sgpr_queue_ptr 0
		.amdhsa_user_sgpr_kernarg_segment_ptr 1
		.amdhsa_user_sgpr_dispatch_id 0
		.amdhsa_user_sgpr_private_segment_size 0
		.amdhsa_wavefront_size32 1
		.amdhsa_uses_dynamic_stack 0
		.amdhsa_enable_private_segment 0
		.amdhsa_system_sgpr_workgroup_id_x 1
		.amdhsa_system_sgpr_workgroup_id_y 0
		.amdhsa_system_sgpr_workgroup_id_z 0
		.amdhsa_system_sgpr_workgroup_info 0
		.amdhsa_system_vgpr_workitem_id 0
		.amdhsa_next_free_vgpr 1
		.amdhsa_next_free_sgpr 1
		.amdhsa_reserve_vcc 0
		.amdhsa_float_round_mode_32 0
		.amdhsa_float_round_mode_16_64 0
		.amdhsa_float_denorm_mode_32 3
		.amdhsa_float_denorm_mode_16_64 3
		.amdhsa_fp16_overflow 0
		.amdhsa_workgroup_processor_mode 1
		.amdhsa_memory_ordered 1
		.amdhsa_forward_progress 1
		.amdhsa_inst_pref_size 0
		.amdhsa_round_robin_scheduling 0
		.amdhsa_exception_fp_ieee_invalid_op 0
		.amdhsa_exception_fp_denorm_src 0
		.amdhsa_exception_fp_ieee_div_zero 0
		.amdhsa_exception_fp_ieee_overflow 0
		.amdhsa_exception_fp_ieee_underflow 0
		.amdhsa_exception_fp_ieee_inexact 0
		.amdhsa_exception_int_div_zero 0
	.end_amdhsa_kernel
	.section	.text._ZN7rocprim17ROCPRIM_400000_NS6detail17trampoline_kernelINS0_14default_configENS1_25partition_config_selectorILNS1_17partition_subalgoE5EtNS0_10empty_typeEbEEZZNS1_14partition_implILS5_5ELb0ES3_mN6thrust23THRUST_200600_302600_NS6detail15normal_iteratorINSA_10device_ptrItEEEEPS6_NSA_18transform_iteratorINSB_9not_fun_tINSA_8identityItEEEESF_NSA_11use_defaultESM_EENS0_5tupleIJSF_S6_EEENSO_IJSG_SG_EEES6_PlJS6_EEE10hipError_tPvRmT3_T4_T5_T6_T7_T9_mT8_P12ihipStream_tbDpT10_ENKUlT_T0_E_clISt17integral_constantIbLb0EES1A_IbLb1EEEEDaS16_S17_EUlS16_E_NS1_11comp_targetILNS1_3genE2ELNS1_11target_archE906ELNS1_3gpuE6ELNS1_3repE0EEENS1_30default_config_static_selectorELNS0_4arch9wavefront6targetE0EEEvT1_,"axG",@progbits,_ZN7rocprim17ROCPRIM_400000_NS6detail17trampoline_kernelINS0_14default_configENS1_25partition_config_selectorILNS1_17partition_subalgoE5EtNS0_10empty_typeEbEEZZNS1_14partition_implILS5_5ELb0ES3_mN6thrust23THRUST_200600_302600_NS6detail15normal_iteratorINSA_10device_ptrItEEEEPS6_NSA_18transform_iteratorINSB_9not_fun_tINSA_8identityItEEEESF_NSA_11use_defaultESM_EENS0_5tupleIJSF_S6_EEENSO_IJSG_SG_EEES6_PlJS6_EEE10hipError_tPvRmT3_T4_T5_T6_T7_T9_mT8_P12ihipStream_tbDpT10_ENKUlT_T0_E_clISt17integral_constantIbLb0EES1A_IbLb1EEEEDaS16_S17_EUlS16_E_NS1_11comp_targetILNS1_3genE2ELNS1_11target_archE906ELNS1_3gpuE6ELNS1_3repE0EEENS1_30default_config_static_selectorELNS0_4arch9wavefront6targetE0EEEvT1_,comdat
.Lfunc_end945:
	.size	_ZN7rocprim17ROCPRIM_400000_NS6detail17trampoline_kernelINS0_14default_configENS1_25partition_config_selectorILNS1_17partition_subalgoE5EtNS0_10empty_typeEbEEZZNS1_14partition_implILS5_5ELb0ES3_mN6thrust23THRUST_200600_302600_NS6detail15normal_iteratorINSA_10device_ptrItEEEEPS6_NSA_18transform_iteratorINSB_9not_fun_tINSA_8identityItEEEESF_NSA_11use_defaultESM_EENS0_5tupleIJSF_S6_EEENSO_IJSG_SG_EEES6_PlJS6_EEE10hipError_tPvRmT3_T4_T5_T6_T7_T9_mT8_P12ihipStream_tbDpT10_ENKUlT_T0_E_clISt17integral_constantIbLb0EES1A_IbLb1EEEEDaS16_S17_EUlS16_E_NS1_11comp_targetILNS1_3genE2ELNS1_11target_archE906ELNS1_3gpuE6ELNS1_3repE0EEENS1_30default_config_static_selectorELNS0_4arch9wavefront6targetE0EEEvT1_, .Lfunc_end945-_ZN7rocprim17ROCPRIM_400000_NS6detail17trampoline_kernelINS0_14default_configENS1_25partition_config_selectorILNS1_17partition_subalgoE5EtNS0_10empty_typeEbEEZZNS1_14partition_implILS5_5ELb0ES3_mN6thrust23THRUST_200600_302600_NS6detail15normal_iteratorINSA_10device_ptrItEEEEPS6_NSA_18transform_iteratorINSB_9not_fun_tINSA_8identityItEEEESF_NSA_11use_defaultESM_EENS0_5tupleIJSF_S6_EEENSO_IJSG_SG_EEES6_PlJS6_EEE10hipError_tPvRmT3_T4_T5_T6_T7_T9_mT8_P12ihipStream_tbDpT10_ENKUlT_T0_E_clISt17integral_constantIbLb0EES1A_IbLb1EEEEDaS16_S17_EUlS16_E_NS1_11comp_targetILNS1_3genE2ELNS1_11target_archE906ELNS1_3gpuE6ELNS1_3repE0EEENS1_30default_config_static_selectorELNS0_4arch9wavefront6targetE0EEEvT1_
                                        ; -- End function
	.set _ZN7rocprim17ROCPRIM_400000_NS6detail17trampoline_kernelINS0_14default_configENS1_25partition_config_selectorILNS1_17partition_subalgoE5EtNS0_10empty_typeEbEEZZNS1_14partition_implILS5_5ELb0ES3_mN6thrust23THRUST_200600_302600_NS6detail15normal_iteratorINSA_10device_ptrItEEEEPS6_NSA_18transform_iteratorINSB_9not_fun_tINSA_8identityItEEEESF_NSA_11use_defaultESM_EENS0_5tupleIJSF_S6_EEENSO_IJSG_SG_EEES6_PlJS6_EEE10hipError_tPvRmT3_T4_T5_T6_T7_T9_mT8_P12ihipStream_tbDpT10_ENKUlT_T0_E_clISt17integral_constantIbLb0EES1A_IbLb1EEEEDaS16_S17_EUlS16_E_NS1_11comp_targetILNS1_3genE2ELNS1_11target_archE906ELNS1_3gpuE6ELNS1_3repE0EEENS1_30default_config_static_selectorELNS0_4arch9wavefront6targetE0EEEvT1_.num_vgpr, 0
	.set _ZN7rocprim17ROCPRIM_400000_NS6detail17trampoline_kernelINS0_14default_configENS1_25partition_config_selectorILNS1_17partition_subalgoE5EtNS0_10empty_typeEbEEZZNS1_14partition_implILS5_5ELb0ES3_mN6thrust23THRUST_200600_302600_NS6detail15normal_iteratorINSA_10device_ptrItEEEEPS6_NSA_18transform_iteratorINSB_9not_fun_tINSA_8identityItEEEESF_NSA_11use_defaultESM_EENS0_5tupleIJSF_S6_EEENSO_IJSG_SG_EEES6_PlJS6_EEE10hipError_tPvRmT3_T4_T5_T6_T7_T9_mT8_P12ihipStream_tbDpT10_ENKUlT_T0_E_clISt17integral_constantIbLb0EES1A_IbLb1EEEEDaS16_S17_EUlS16_E_NS1_11comp_targetILNS1_3genE2ELNS1_11target_archE906ELNS1_3gpuE6ELNS1_3repE0EEENS1_30default_config_static_selectorELNS0_4arch9wavefront6targetE0EEEvT1_.num_agpr, 0
	.set _ZN7rocprim17ROCPRIM_400000_NS6detail17trampoline_kernelINS0_14default_configENS1_25partition_config_selectorILNS1_17partition_subalgoE5EtNS0_10empty_typeEbEEZZNS1_14partition_implILS5_5ELb0ES3_mN6thrust23THRUST_200600_302600_NS6detail15normal_iteratorINSA_10device_ptrItEEEEPS6_NSA_18transform_iteratorINSB_9not_fun_tINSA_8identityItEEEESF_NSA_11use_defaultESM_EENS0_5tupleIJSF_S6_EEENSO_IJSG_SG_EEES6_PlJS6_EEE10hipError_tPvRmT3_T4_T5_T6_T7_T9_mT8_P12ihipStream_tbDpT10_ENKUlT_T0_E_clISt17integral_constantIbLb0EES1A_IbLb1EEEEDaS16_S17_EUlS16_E_NS1_11comp_targetILNS1_3genE2ELNS1_11target_archE906ELNS1_3gpuE6ELNS1_3repE0EEENS1_30default_config_static_selectorELNS0_4arch9wavefront6targetE0EEEvT1_.numbered_sgpr, 0
	.set _ZN7rocprim17ROCPRIM_400000_NS6detail17trampoline_kernelINS0_14default_configENS1_25partition_config_selectorILNS1_17partition_subalgoE5EtNS0_10empty_typeEbEEZZNS1_14partition_implILS5_5ELb0ES3_mN6thrust23THRUST_200600_302600_NS6detail15normal_iteratorINSA_10device_ptrItEEEEPS6_NSA_18transform_iteratorINSB_9not_fun_tINSA_8identityItEEEESF_NSA_11use_defaultESM_EENS0_5tupleIJSF_S6_EEENSO_IJSG_SG_EEES6_PlJS6_EEE10hipError_tPvRmT3_T4_T5_T6_T7_T9_mT8_P12ihipStream_tbDpT10_ENKUlT_T0_E_clISt17integral_constantIbLb0EES1A_IbLb1EEEEDaS16_S17_EUlS16_E_NS1_11comp_targetILNS1_3genE2ELNS1_11target_archE906ELNS1_3gpuE6ELNS1_3repE0EEENS1_30default_config_static_selectorELNS0_4arch9wavefront6targetE0EEEvT1_.num_named_barrier, 0
	.set _ZN7rocprim17ROCPRIM_400000_NS6detail17trampoline_kernelINS0_14default_configENS1_25partition_config_selectorILNS1_17partition_subalgoE5EtNS0_10empty_typeEbEEZZNS1_14partition_implILS5_5ELb0ES3_mN6thrust23THRUST_200600_302600_NS6detail15normal_iteratorINSA_10device_ptrItEEEEPS6_NSA_18transform_iteratorINSB_9not_fun_tINSA_8identityItEEEESF_NSA_11use_defaultESM_EENS0_5tupleIJSF_S6_EEENSO_IJSG_SG_EEES6_PlJS6_EEE10hipError_tPvRmT3_T4_T5_T6_T7_T9_mT8_P12ihipStream_tbDpT10_ENKUlT_T0_E_clISt17integral_constantIbLb0EES1A_IbLb1EEEEDaS16_S17_EUlS16_E_NS1_11comp_targetILNS1_3genE2ELNS1_11target_archE906ELNS1_3gpuE6ELNS1_3repE0EEENS1_30default_config_static_selectorELNS0_4arch9wavefront6targetE0EEEvT1_.private_seg_size, 0
	.set _ZN7rocprim17ROCPRIM_400000_NS6detail17trampoline_kernelINS0_14default_configENS1_25partition_config_selectorILNS1_17partition_subalgoE5EtNS0_10empty_typeEbEEZZNS1_14partition_implILS5_5ELb0ES3_mN6thrust23THRUST_200600_302600_NS6detail15normal_iteratorINSA_10device_ptrItEEEEPS6_NSA_18transform_iteratorINSB_9not_fun_tINSA_8identityItEEEESF_NSA_11use_defaultESM_EENS0_5tupleIJSF_S6_EEENSO_IJSG_SG_EEES6_PlJS6_EEE10hipError_tPvRmT3_T4_T5_T6_T7_T9_mT8_P12ihipStream_tbDpT10_ENKUlT_T0_E_clISt17integral_constantIbLb0EES1A_IbLb1EEEEDaS16_S17_EUlS16_E_NS1_11comp_targetILNS1_3genE2ELNS1_11target_archE906ELNS1_3gpuE6ELNS1_3repE0EEENS1_30default_config_static_selectorELNS0_4arch9wavefront6targetE0EEEvT1_.uses_vcc, 0
	.set _ZN7rocprim17ROCPRIM_400000_NS6detail17trampoline_kernelINS0_14default_configENS1_25partition_config_selectorILNS1_17partition_subalgoE5EtNS0_10empty_typeEbEEZZNS1_14partition_implILS5_5ELb0ES3_mN6thrust23THRUST_200600_302600_NS6detail15normal_iteratorINSA_10device_ptrItEEEEPS6_NSA_18transform_iteratorINSB_9not_fun_tINSA_8identityItEEEESF_NSA_11use_defaultESM_EENS0_5tupleIJSF_S6_EEENSO_IJSG_SG_EEES6_PlJS6_EEE10hipError_tPvRmT3_T4_T5_T6_T7_T9_mT8_P12ihipStream_tbDpT10_ENKUlT_T0_E_clISt17integral_constantIbLb0EES1A_IbLb1EEEEDaS16_S17_EUlS16_E_NS1_11comp_targetILNS1_3genE2ELNS1_11target_archE906ELNS1_3gpuE6ELNS1_3repE0EEENS1_30default_config_static_selectorELNS0_4arch9wavefront6targetE0EEEvT1_.uses_flat_scratch, 0
	.set _ZN7rocprim17ROCPRIM_400000_NS6detail17trampoline_kernelINS0_14default_configENS1_25partition_config_selectorILNS1_17partition_subalgoE5EtNS0_10empty_typeEbEEZZNS1_14partition_implILS5_5ELb0ES3_mN6thrust23THRUST_200600_302600_NS6detail15normal_iteratorINSA_10device_ptrItEEEEPS6_NSA_18transform_iteratorINSB_9not_fun_tINSA_8identityItEEEESF_NSA_11use_defaultESM_EENS0_5tupleIJSF_S6_EEENSO_IJSG_SG_EEES6_PlJS6_EEE10hipError_tPvRmT3_T4_T5_T6_T7_T9_mT8_P12ihipStream_tbDpT10_ENKUlT_T0_E_clISt17integral_constantIbLb0EES1A_IbLb1EEEEDaS16_S17_EUlS16_E_NS1_11comp_targetILNS1_3genE2ELNS1_11target_archE906ELNS1_3gpuE6ELNS1_3repE0EEENS1_30default_config_static_selectorELNS0_4arch9wavefront6targetE0EEEvT1_.has_dyn_sized_stack, 0
	.set _ZN7rocprim17ROCPRIM_400000_NS6detail17trampoline_kernelINS0_14default_configENS1_25partition_config_selectorILNS1_17partition_subalgoE5EtNS0_10empty_typeEbEEZZNS1_14partition_implILS5_5ELb0ES3_mN6thrust23THRUST_200600_302600_NS6detail15normal_iteratorINSA_10device_ptrItEEEEPS6_NSA_18transform_iteratorINSB_9not_fun_tINSA_8identityItEEEESF_NSA_11use_defaultESM_EENS0_5tupleIJSF_S6_EEENSO_IJSG_SG_EEES6_PlJS6_EEE10hipError_tPvRmT3_T4_T5_T6_T7_T9_mT8_P12ihipStream_tbDpT10_ENKUlT_T0_E_clISt17integral_constantIbLb0EES1A_IbLb1EEEEDaS16_S17_EUlS16_E_NS1_11comp_targetILNS1_3genE2ELNS1_11target_archE906ELNS1_3gpuE6ELNS1_3repE0EEENS1_30default_config_static_selectorELNS0_4arch9wavefront6targetE0EEEvT1_.has_recursion, 0
	.set _ZN7rocprim17ROCPRIM_400000_NS6detail17trampoline_kernelINS0_14default_configENS1_25partition_config_selectorILNS1_17partition_subalgoE5EtNS0_10empty_typeEbEEZZNS1_14partition_implILS5_5ELb0ES3_mN6thrust23THRUST_200600_302600_NS6detail15normal_iteratorINSA_10device_ptrItEEEEPS6_NSA_18transform_iteratorINSB_9not_fun_tINSA_8identityItEEEESF_NSA_11use_defaultESM_EENS0_5tupleIJSF_S6_EEENSO_IJSG_SG_EEES6_PlJS6_EEE10hipError_tPvRmT3_T4_T5_T6_T7_T9_mT8_P12ihipStream_tbDpT10_ENKUlT_T0_E_clISt17integral_constantIbLb0EES1A_IbLb1EEEEDaS16_S17_EUlS16_E_NS1_11comp_targetILNS1_3genE2ELNS1_11target_archE906ELNS1_3gpuE6ELNS1_3repE0EEENS1_30default_config_static_selectorELNS0_4arch9wavefront6targetE0EEEvT1_.has_indirect_call, 0
	.section	.AMDGPU.csdata,"",@progbits
; Kernel info:
; codeLenInByte = 0
; TotalNumSgprs: 0
; NumVgprs: 0
; ScratchSize: 0
; MemoryBound: 0
; FloatMode: 240
; IeeeMode: 1
; LDSByteSize: 0 bytes/workgroup (compile time only)
; SGPRBlocks: 0
; VGPRBlocks: 0
; NumSGPRsForWavesPerEU: 1
; NumVGPRsForWavesPerEU: 1
; Occupancy: 16
; WaveLimiterHint : 0
; COMPUTE_PGM_RSRC2:SCRATCH_EN: 0
; COMPUTE_PGM_RSRC2:USER_SGPR: 2
; COMPUTE_PGM_RSRC2:TRAP_HANDLER: 0
; COMPUTE_PGM_RSRC2:TGID_X_EN: 1
; COMPUTE_PGM_RSRC2:TGID_Y_EN: 0
; COMPUTE_PGM_RSRC2:TGID_Z_EN: 0
; COMPUTE_PGM_RSRC2:TIDIG_COMP_CNT: 0
	.section	.text._ZN7rocprim17ROCPRIM_400000_NS6detail17trampoline_kernelINS0_14default_configENS1_25partition_config_selectorILNS1_17partition_subalgoE5EtNS0_10empty_typeEbEEZZNS1_14partition_implILS5_5ELb0ES3_mN6thrust23THRUST_200600_302600_NS6detail15normal_iteratorINSA_10device_ptrItEEEEPS6_NSA_18transform_iteratorINSB_9not_fun_tINSA_8identityItEEEESF_NSA_11use_defaultESM_EENS0_5tupleIJSF_S6_EEENSO_IJSG_SG_EEES6_PlJS6_EEE10hipError_tPvRmT3_T4_T5_T6_T7_T9_mT8_P12ihipStream_tbDpT10_ENKUlT_T0_E_clISt17integral_constantIbLb0EES1A_IbLb1EEEEDaS16_S17_EUlS16_E_NS1_11comp_targetILNS1_3genE10ELNS1_11target_archE1200ELNS1_3gpuE4ELNS1_3repE0EEENS1_30default_config_static_selectorELNS0_4arch9wavefront6targetE0EEEvT1_,"axG",@progbits,_ZN7rocprim17ROCPRIM_400000_NS6detail17trampoline_kernelINS0_14default_configENS1_25partition_config_selectorILNS1_17partition_subalgoE5EtNS0_10empty_typeEbEEZZNS1_14partition_implILS5_5ELb0ES3_mN6thrust23THRUST_200600_302600_NS6detail15normal_iteratorINSA_10device_ptrItEEEEPS6_NSA_18transform_iteratorINSB_9not_fun_tINSA_8identityItEEEESF_NSA_11use_defaultESM_EENS0_5tupleIJSF_S6_EEENSO_IJSG_SG_EEES6_PlJS6_EEE10hipError_tPvRmT3_T4_T5_T6_T7_T9_mT8_P12ihipStream_tbDpT10_ENKUlT_T0_E_clISt17integral_constantIbLb0EES1A_IbLb1EEEEDaS16_S17_EUlS16_E_NS1_11comp_targetILNS1_3genE10ELNS1_11target_archE1200ELNS1_3gpuE4ELNS1_3repE0EEENS1_30default_config_static_selectorELNS0_4arch9wavefront6targetE0EEEvT1_,comdat
	.protected	_ZN7rocprim17ROCPRIM_400000_NS6detail17trampoline_kernelINS0_14default_configENS1_25partition_config_selectorILNS1_17partition_subalgoE5EtNS0_10empty_typeEbEEZZNS1_14partition_implILS5_5ELb0ES3_mN6thrust23THRUST_200600_302600_NS6detail15normal_iteratorINSA_10device_ptrItEEEEPS6_NSA_18transform_iteratorINSB_9not_fun_tINSA_8identityItEEEESF_NSA_11use_defaultESM_EENS0_5tupleIJSF_S6_EEENSO_IJSG_SG_EEES6_PlJS6_EEE10hipError_tPvRmT3_T4_T5_T6_T7_T9_mT8_P12ihipStream_tbDpT10_ENKUlT_T0_E_clISt17integral_constantIbLb0EES1A_IbLb1EEEEDaS16_S17_EUlS16_E_NS1_11comp_targetILNS1_3genE10ELNS1_11target_archE1200ELNS1_3gpuE4ELNS1_3repE0EEENS1_30default_config_static_selectorELNS0_4arch9wavefront6targetE0EEEvT1_ ; -- Begin function _ZN7rocprim17ROCPRIM_400000_NS6detail17trampoline_kernelINS0_14default_configENS1_25partition_config_selectorILNS1_17partition_subalgoE5EtNS0_10empty_typeEbEEZZNS1_14partition_implILS5_5ELb0ES3_mN6thrust23THRUST_200600_302600_NS6detail15normal_iteratorINSA_10device_ptrItEEEEPS6_NSA_18transform_iteratorINSB_9not_fun_tINSA_8identityItEEEESF_NSA_11use_defaultESM_EENS0_5tupleIJSF_S6_EEENSO_IJSG_SG_EEES6_PlJS6_EEE10hipError_tPvRmT3_T4_T5_T6_T7_T9_mT8_P12ihipStream_tbDpT10_ENKUlT_T0_E_clISt17integral_constantIbLb0EES1A_IbLb1EEEEDaS16_S17_EUlS16_E_NS1_11comp_targetILNS1_3genE10ELNS1_11target_archE1200ELNS1_3gpuE4ELNS1_3repE0EEENS1_30default_config_static_selectorELNS0_4arch9wavefront6targetE0EEEvT1_
	.globl	_ZN7rocprim17ROCPRIM_400000_NS6detail17trampoline_kernelINS0_14default_configENS1_25partition_config_selectorILNS1_17partition_subalgoE5EtNS0_10empty_typeEbEEZZNS1_14partition_implILS5_5ELb0ES3_mN6thrust23THRUST_200600_302600_NS6detail15normal_iteratorINSA_10device_ptrItEEEEPS6_NSA_18transform_iteratorINSB_9not_fun_tINSA_8identityItEEEESF_NSA_11use_defaultESM_EENS0_5tupleIJSF_S6_EEENSO_IJSG_SG_EEES6_PlJS6_EEE10hipError_tPvRmT3_T4_T5_T6_T7_T9_mT8_P12ihipStream_tbDpT10_ENKUlT_T0_E_clISt17integral_constantIbLb0EES1A_IbLb1EEEEDaS16_S17_EUlS16_E_NS1_11comp_targetILNS1_3genE10ELNS1_11target_archE1200ELNS1_3gpuE4ELNS1_3repE0EEENS1_30default_config_static_selectorELNS0_4arch9wavefront6targetE0EEEvT1_
	.p2align	8
	.type	_ZN7rocprim17ROCPRIM_400000_NS6detail17trampoline_kernelINS0_14default_configENS1_25partition_config_selectorILNS1_17partition_subalgoE5EtNS0_10empty_typeEbEEZZNS1_14partition_implILS5_5ELb0ES3_mN6thrust23THRUST_200600_302600_NS6detail15normal_iteratorINSA_10device_ptrItEEEEPS6_NSA_18transform_iteratorINSB_9not_fun_tINSA_8identityItEEEESF_NSA_11use_defaultESM_EENS0_5tupleIJSF_S6_EEENSO_IJSG_SG_EEES6_PlJS6_EEE10hipError_tPvRmT3_T4_T5_T6_T7_T9_mT8_P12ihipStream_tbDpT10_ENKUlT_T0_E_clISt17integral_constantIbLb0EES1A_IbLb1EEEEDaS16_S17_EUlS16_E_NS1_11comp_targetILNS1_3genE10ELNS1_11target_archE1200ELNS1_3gpuE4ELNS1_3repE0EEENS1_30default_config_static_selectorELNS0_4arch9wavefront6targetE0EEEvT1_,@function
_ZN7rocprim17ROCPRIM_400000_NS6detail17trampoline_kernelINS0_14default_configENS1_25partition_config_selectorILNS1_17partition_subalgoE5EtNS0_10empty_typeEbEEZZNS1_14partition_implILS5_5ELb0ES3_mN6thrust23THRUST_200600_302600_NS6detail15normal_iteratorINSA_10device_ptrItEEEEPS6_NSA_18transform_iteratorINSB_9not_fun_tINSA_8identityItEEEESF_NSA_11use_defaultESM_EENS0_5tupleIJSF_S6_EEENSO_IJSG_SG_EEES6_PlJS6_EEE10hipError_tPvRmT3_T4_T5_T6_T7_T9_mT8_P12ihipStream_tbDpT10_ENKUlT_T0_E_clISt17integral_constantIbLb0EES1A_IbLb1EEEEDaS16_S17_EUlS16_E_NS1_11comp_targetILNS1_3genE10ELNS1_11target_archE1200ELNS1_3gpuE4ELNS1_3repE0EEENS1_30default_config_static_selectorELNS0_4arch9wavefront6targetE0EEEvT1_: ; @_ZN7rocprim17ROCPRIM_400000_NS6detail17trampoline_kernelINS0_14default_configENS1_25partition_config_selectorILNS1_17partition_subalgoE5EtNS0_10empty_typeEbEEZZNS1_14partition_implILS5_5ELb0ES3_mN6thrust23THRUST_200600_302600_NS6detail15normal_iteratorINSA_10device_ptrItEEEEPS6_NSA_18transform_iteratorINSB_9not_fun_tINSA_8identityItEEEESF_NSA_11use_defaultESM_EENS0_5tupleIJSF_S6_EEENSO_IJSG_SG_EEES6_PlJS6_EEE10hipError_tPvRmT3_T4_T5_T6_T7_T9_mT8_P12ihipStream_tbDpT10_ENKUlT_T0_E_clISt17integral_constantIbLb0EES1A_IbLb1EEEEDaS16_S17_EUlS16_E_NS1_11comp_targetILNS1_3genE10ELNS1_11target_archE1200ELNS1_3gpuE4ELNS1_3repE0EEENS1_30default_config_static_selectorELNS0_4arch9wavefront6targetE0EEEvT1_
; %bb.0:
	s_clause 0x3
	s_load_b64 s[12:13], s[0:1], 0x30
	s_load_b128 s[4:7], s[0:1], 0x48
	s_load_b64 s[18:19], s[0:1], 0x58
	s_load_b64 s[14:15], s[0:1], 0x68
	v_cmp_eq_u32_e64 s2, 0, v0
	s_and_saveexec_b32 s3, s2
	s_cbranch_execz .LBB946_4
; %bb.1:
	s_mov_b32 s9, exec_lo
	s_mov_b32 s8, exec_lo
	v_mbcnt_lo_u32_b32 v1, s9, 0
                                        ; implicit-def: $vgpr2
	s_delay_alu instid0(VALU_DEP_1)
	v_cmpx_eq_u32_e32 0, v1
	s_cbranch_execz .LBB946_3
; %bb.2:
	s_load_b64 s[10:11], s[0:1], 0x78
	s_bcnt1_i32_b32 s9, s9
	s_wait_alu 0xfffe
	v_dual_mov_b32 v2, 0 :: v_dual_mov_b32 v3, s9
	s_wait_kmcnt 0x0
	global_atomic_add_u32 v2, v2, v3, s[10:11] th:TH_ATOMIC_RETURN scope:SCOPE_DEV
.LBB946_3:
	s_or_b32 exec_lo, exec_lo, s8
	s_wait_loadcnt 0x0
	v_readfirstlane_b32 s8, v2
	s_wait_alu 0xf1ff
	s_delay_alu instid0(VALU_DEP_1)
	v_dual_mov_b32 v2, 0 :: v_dual_add_nc_u32 v1, s8, v1
	ds_store_b32 v2, v1
.LBB946_4:
	s_or_b32 exec_lo, exec_lo, s3
	v_mov_b32_e32 v1, 0
	s_clause 0x2
	s_load_b128 s[8:11], s[0:1], 0x8
	s_load_b64 s[16:17], s[0:1], 0x20
	s_load_b32 s0, s[0:1], 0x70
	s_wait_dscnt 0x0
	s_barrier_signal -1
	s_barrier_wait -1
	global_inv scope:SCOPE_SE
	ds_load_b32 v2, v1
	s_wait_loadcnt_dscnt 0x0
	s_barrier_signal -1
	s_barrier_wait -1
	global_inv scope:SCOPE_SE
	s_wait_kmcnt 0x0
	global_load_b64 v[41:42], v1, s[6:7]
	v_lshlrev_b32_e32 v9, 1, v0
	s_lshl_b64 s[6:7], s[10:11], 1
	s_delay_alu instid0(SALU_CYCLE_1)
	s_add_nc_u64 s[22:23], s[8:9], s[6:7]
	s_mul_i32 s8, s0, 0xc00
	s_mov_b32 s9, 0
	s_wait_alu 0xfffe
	s_add_co_i32 s3, s8, s10
	s_add_co_i32 s21, s0, -1
	v_readfirstlane_b32 s20, v2
	s_add_nc_u64 s[0:1], s[10:11], s[8:9]
	s_sub_co_i32 s3, s18, s3
	v_cmp_le_u64_e64 s0, s[18:19], s[0:1]
	s_addk_co_i32 s3, 0xc00
	s_cmp_eq_u32 s20, s21
	s_mul_i32 s8, s20, 0xc00
	s_cselect_b32 s18, -1, 0
	s_wait_alu 0xfffe
	s_lshl_b64 s[8:9], s[8:9], 1
	s_and_b32 s0, s0, s18
	s_mov_b32 s1, -1
	s_wait_alu 0xfffe
	s_xor_b32 s19, s0, -1
	s_add_nc_u64 s[10:11], s[22:23], s[8:9]
	s_wait_alu 0xfffe
	s_and_b32 vcc_lo, exec_lo, s19
	s_cbranch_vccz .LBB946_6
; %bb.5:
	v_add_co_u32 v1, s0, s10, v9
	s_wait_alu 0xf1ff
	v_add_co_ci_u32_e64 v2, null, s11, 0, s0
	s_mov_b32 s1, 0
	s_clause 0xb
	flat_load_u16 v3, v[1:2]
	flat_load_u16 v4, v[1:2] offset:512
	flat_load_u16 v5, v[1:2] offset:1024
	;; [unrolled: 1-line block ×11, first 2 shown]
	s_wait_loadcnt_dscnt 0xb0b
	ds_store_b16 v9, v3
	s_wait_loadcnt_dscnt 0xa0b
	ds_store_b16 v9, v4 offset:512
	s_wait_loadcnt_dscnt 0x90b
	ds_store_b16 v9, v5 offset:1024
	;; [unrolled: 2-line block ×11, first 2 shown]
	s_wait_dscnt 0x0
	s_barrier_signal -1
	s_barrier_wait -1
.LBB946_6:
	v_cmp_gt_u32_e64 s0, s3, v0
	s_wait_alu 0xfffe
	s_and_not1_b32 vcc_lo, exec_lo, s1
	s_cbranch_vccnz .LBB946_32
; %bb.7:
	v_mov_b32_e32 v1, 0
	s_delay_alu instid0(VALU_DEP_1)
	v_dual_mov_b32 v2, v1 :: v_dual_mov_b32 v3, v1
	v_dual_mov_b32 v4, v1 :: v_dual_mov_b32 v5, v1
	v_mov_b32_e32 v6, v1
	s_and_saveexec_b32 s1, s0
	s_cbranch_execz .LBB946_9
; %bb.8:
	v_add_co_u32 v3, s0, s10, v9
	s_wait_alu 0xf1ff
	v_add_co_ci_u32_e64 v4, null, s11, 0, s0
	v_mov_b32_e32 v2, v1
	v_dual_mov_b32 v6, v1 :: v_dual_mov_b32 v7, v1
	v_mov_b32_e32 v5, v1
	flat_load_d16_b16 v2, v[3:4]
	v_dual_mov_b32 v3, v1 :: v_dual_mov_b32 v4, v1
	s_wait_loadcnt_dscnt 0x0
	v_mov_b32_e32 v1, v2
	s_delay_alu instid0(VALU_DEP_2) | instskip(NEXT) | instid1(VALU_DEP_3)
	v_mov_b32_e32 v2, v3
	v_mov_b32_e32 v3, v4
	;; [unrolled: 1-line block ×7, first 2 shown]
.LBB946_9:
	s_wait_alu 0xfffe
	s_or_b32 exec_lo, exec_lo, s1
	v_or_b32_e32 v7, 0x100, v0
	s_mov_b32 s0, exec_lo
	s_delay_alu instid0(VALU_DEP_1)
	v_cmpx_gt_u32_e64 s3, v7
	s_cbranch_execz .LBB946_11
; %bb.10:
	v_add_co_u32 v7, s1, s10, v9
	s_wait_alu 0xf1ff
	v_add_co_ci_u32_e64 v8, null, s11, 0, s1
	flat_load_d16_hi_b16 v1, v[7:8] offset:512
.LBB946_11:
	s_wait_alu 0xfffe
	s_or_b32 exec_lo, exec_lo, s0
	v_or_b32_e32 v7, 0x200, v0
	s_mov_b32 s0, exec_lo
	s_delay_alu instid0(VALU_DEP_1)
	v_cmpx_gt_u32_e64 s3, v7
	s_cbranch_execz .LBB946_13
; %bb.12:
	v_add_co_u32 v7, s1, s10, v9
	s_wait_alu 0xf1ff
	v_add_co_ci_u32_e64 v8, null, s11, 0, s1
	flat_load_d16_b16 v2, v[7:8] offset:1024
.LBB946_13:
	s_wait_alu 0xfffe
	s_or_b32 exec_lo, exec_lo, s0
	v_or_b32_e32 v7, 0x300, v0
	s_mov_b32 s0, exec_lo
	s_delay_alu instid0(VALU_DEP_1)
	v_cmpx_gt_u32_e64 s3, v7
	s_cbranch_execz .LBB946_15
; %bb.14:
	v_add_co_u32 v7, s1, s10, v9
	s_wait_alu 0xf1ff
	v_add_co_ci_u32_e64 v8, null, s11, 0, s1
	s_wait_loadcnt_dscnt 0x0
	flat_load_d16_hi_b16 v2, v[7:8] offset:1536
.LBB946_15:
	s_wait_alu 0xfffe
	s_or_b32 exec_lo, exec_lo, s0
	v_or_b32_e32 v7, 0x400, v0
	s_mov_b32 s0, exec_lo
	s_delay_alu instid0(VALU_DEP_1)
	v_cmpx_gt_u32_e64 s3, v7
	s_cbranch_execz .LBB946_17
; %bb.16:
	v_add_co_u32 v7, s1, s10, v9
	s_wait_alu 0xf1ff
	v_add_co_ci_u32_e64 v8, null, s11, 0, s1
	flat_load_d16_b16 v3, v[7:8] offset:2048
.LBB946_17:
	s_wait_alu 0xfffe
	s_or_b32 exec_lo, exec_lo, s0
	v_or_b32_e32 v7, 0x500, v0
	s_mov_b32 s0, exec_lo
	s_delay_alu instid0(VALU_DEP_1)
	v_cmpx_gt_u32_e64 s3, v7
	s_cbranch_execz .LBB946_19
; %bb.18:
	v_add_co_u32 v7, s1, s10, v9
	s_wait_alu 0xf1ff
	v_add_co_ci_u32_e64 v8, null, s11, 0, s1
	s_wait_loadcnt_dscnt 0x0
	flat_load_d16_hi_b16 v3, v[7:8] offset:2560
.LBB946_19:
	;; [unrolled: 27-line block ×5, first 2 shown]
	s_wait_alu 0xfffe
	s_or_b32 exec_lo, exec_lo, s0
	s_wait_loadcnt_dscnt 0x0
	ds_store_b16 v9, v1
	ds_store_b16_d16_hi v9, v1 offset:512
	ds_store_b16 v9, v2 offset:1024
	ds_store_b16_d16_hi v9, v2 offset:1536
	ds_store_b16 v9, v3 offset:2048
	;; [unrolled: 2-line block ×5, first 2 shown]
	ds_store_b16_d16_hi v9, v6 offset:5632
	s_wait_dscnt 0x0
	s_barrier_signal -1
	s_barrier_wait -1
.LBB946_32:
	v_mul_u32_u24_e32 v53, 12, v0
	s_wait_loadcnt 0x0
	global_inv scope:SCOPE_SE
	s_add_nc_u64 s[0:1], s[16:17], s[6:7]
	s_and_b32 vcc_lo, exec_lo, s19
	s_wait_alu 0xfffe
	s_add_nc_u64 s[0:1], s[0:1], s[8:9]
	v_lshlrev_b32_e32 v1, 1, v53
	s_mov_b32 s6, -1
	ds_load_2addr_b64 v[33:36], v1 offset1:1
	ds_load_b64 v[43:44], v1 offset:16
	s_wait_loadcnt_dscnt 0x0
	s_barrier_signal -1
	s_barrier_wait -1
	global_inv scope:SCOPE_SE
	s_cbranch_vccz .LBB946_34
; %bb.33:
	s_clause 0xb
	global_load_u16 v1, v9, s[0:1]
	global_load_u16 v2, v9, s[0:1] offset:512
	global_load_u16 v3, v9, s[0:1] offset:1024
	global_load_u16 v4, v9, s[0:1] offset:1536
	global_load_u16 v5, v9, s[0:1] offset:2048
	global_load_u16 v6, v9, s[0:1] offset:2560
	global_load_u16 v7, v9, s[0:1] offset:3072
	global_load_u16 v8, v9, s[0:1] offset:3584
	global_load_u16 v10, v9, s[0:1] offset:4096
	global_load_u16 v11, v9, s[0:1] offset:4608
	global_load_u16 v12, v9, s[0:1] offset:5120
	global_load_u16 v13, v9, s[0:1] offset:5632
	s_mov_b32 s6, 0
	s_wait_loadcnt 0xb
	v_cmp_eq_u16_e32 vcc_lo, 0, v1
	v_cndmask_b32_e64 v1, 0, 1, vcc_lo
	s_wait_loadcnt 0xa
	v_cmp_eq_u16_e32 vcc_lo, 0, v2
	s_wait_alu 0xfffd
	v_cndmask_b32_e64 v2, 0, 1, vcc_lo
	s_wait_loadcnt 0x9
	v_cmp_eq_u16_e32 vcc_lo, 0, v3
	s_wait_alu 0xfffd
	;; [unrolled: 4-line block ×11, first 2 shown]
	v_cndmask_b32_e64 v13, 0, 1, vcc_lo
	ds_store_b8 v0, v1
	ds_store_b8 v0, v2 offset:256
	ds_store_b8 v0, v3 offset:512
	;; [unrolled: 1-line block ×11, first 2 shown]
	s_wait_dscnt 0x0
	s_barrier_signal -1
	s_barrier_wait -1
.LBB946_34:
	s_and_not1_b32 vcc_lo, exec_lo, s6
	s_wait_alu 0xfffe
	s_cbranch_vccnz .LBB946_60
; %bb.35:
	v_mov_b32_e32 v3, 0
	s_mov_b32 s6, exec_lo
	s_delay_alu instid0(VALU_DEP_1)
	v_dual_mov_b32 v1, v3 :: v_dual_mov_b32 v2, v3
	v_mov_b32_e32 v4, v3
	v_cmpx_gt_u32_e64 s3, v0
	s_cbranch_execz .LBB946_37
; %bb.36:
	global_load_u16 v1, v9, s[0:1]
	s_wait_loadcnt 0x0
	v_cmp_eq_u16_e32 vcc_lo, 0, v1
	v_mov_b32_e32 v1, 0
	s_wait_alu 0xfffd
	v_cndmask_b32_e64 v4, 0, 1, vcc_lo
	s_delay_alu instid0(VALU_DEP_1)
	v_dual_mov_b32 v2, v1 :: v_dual_and_b32 v3, 0xffff, v4
.LBB946_37:
	s_or_b32 exec_lo, exec_lo, s6
	v_or_b32_e32 v5, 0x100, v0
	s_mov_b32 s6, exec_lo
	s_delay_alu instid0(VALU_DEP_1)
	v_cmpx_gt_u32_e64 s3, v5
	s_cbranch_execz .LBB946_39
; %bb.38:
	global_load_u16 v5, v9, s[0:1] offset:512
	v_and_b32_e32 v6, 0xff, v3
	s_wait_loadcnt 0x0
	v_cmp_eq_u16_e32 vcc_lo, 0, v5
	s_wait_alu 0xfffd
	v_cndmask_b32_e64 v5, 0, 1, vcc_lo
	s_delay_alu instid0(VALU_DEP_1) | instskip(NEXT) | instid1(VALU_DEP_1)
	v_lshlrev_b16 v5, 8, v5
	v_or_b32_e32 v5, v6, v5
	s_delay_alu instid0(VALU_DEP_1) | instskip(NEXT) | instid1(VALU_DEP_1)
	v_and_b32_e32 v5, 0xffff, v5
	v_and_or_b32 v3, 0xffff0000, v3, v5
.LBB946_39:
	s_or_b32 exec_lo, exec_lo, s6
	v_or_b32_e32 v5, 0x200, v0
	s_mov_b32 s6, exec_lo
	s_delay_alu instid0(VALU_DEP_1)
	v_cmpx_gt_u32_e64 s3, v5
	s_cbranch_execz .LBB946_41
; %bb.40:
	global_load_u16 v5, v9, s[0:1] offset:1024
	v_lshrrev_b32_e32 v6, 16, v3
	s_delay_alu instid0(VALU_DEP_1) | instskip(SKIP_4) | instid1(VALU_DEP_1)
	v_and_b32_e32 v6, 0xffffff00, v6
	s_wait_loadcnt 0x0
	v_cmp_eq_u16_e32 vcc_lo, 0, v5
	s_wait_alu 0xfffd
	v_cndmask_b32_e64 v5, 0, 1, vcc_lo
	v_or_b32_e32 v5, v5, v6
	s_delay_alu instid0(VALU_DEP_1) | instskip(NEXT) | instid1(VALU_DEP_1)
	v_lshlrev_b32_e32 v5, 16, v5
	v_and_or_b32 v3, 0xffff, v3, v5
.LBB946_41:
	s_or_b32 exec_lo, exec_lo, s6
	v_or_b32_e32 v5, 0x300, v0
	s_mov_b32 s6, exec_lo
	s_delay_alu instid0(VALU_DEP_1)
	v_cmpx_gt_u32_e64 s3, v5
	s_cbranch_execz .LBB946_43
; %bb.42:
	global_load_u16 v5, v9, s[0:1] offset:1536
	v_lshrrev_b32_e32 v6, 16, v3
	s_delay_alu instid0(VALU_DEP_1) | instskip(SKIP_4) | instid1(VALU_DEP_1)
	v_and_b32_e32 v6, 0xff, v6
	s_wait_loadcnt 0x0
	v_cmp_eq_u16_e32 vcc_lo, 0, v5
	s_wait_alu 0xfffd
	v_cndmask_b32_e64 v5, 0, 1, vcc_lo
	v_lshlrev_b16 v5, 8, v5
	s_delay_alu instid0(VALU_DEP_1) | instskip(NEXT) | instid1(VALU_DEP_1)
	v_or_b32_e32 v5, v6, v5
	v_lshlrev_b32_e32 v5, 16, v5
	s_delay_alu instid0(VALU_DEP_1)
	v_and_or_b32 v3, 0xffff, v3, v5
.LBB946_43:
	s_or_b32 exec_lo, exec_lo, s6
	v_or_b32_e32 v5, 0x400, v0
	s_mov_b32 s6, exec_lo
	s_delay_alu instid0(VALU_DEP_1)
	v_cmpx_gt_u32_e64 s3, v5
	s_cbranch_execz .LBB946_45
; %bb.44:
	global_load_u16 v5, v9, s[0:1] offset:2048
	v_and_b32_e32 v6, 0xffffff00, v1
	s_wait_loadcnt 0x0
	v_cmp_eq_u16_e32 vcc_lo, 0, v5
	s_wait_alu 0xfffd
	v_cndmask_b32_e64 v5, 0, 1, vcc_lo
	s_delay_alu instid0(VALU_DEP_1) | instskip(NEXT) | instid1(VALU_DEP_1)
	v_or_b32_e32 v5, v5, v6
	v_and_b32_e32 v5, 0xffff, v5
	s_delay_alu instid0(VALU_DEP_1)
	v_and_or_b32 v1, 0xffff0000, v1, v5
.LBB946_45:
	s_or_b32 exec_lo, exec_lo, s6
	v_or_b32_e32 v5, 0x500, v0
	s_mov_b32 s6, exec_lo
	s_delay_alu instid0(VALU_DEP_1)
	v_cmpx_gt_u32_e64 s3, v5
	s_cbranch_execz .LBB946_47
; %bb.46:
	global_load_u16 v5, v9, s[0:1] offset:2560
	v_and_b32_e32 v6, 0xff, v1
	s_wait_loadcnt 0x0
	v_cmp_eq_u16_e32 vcc_lo, 0, v5
	s_wait_alu 0xfffd
	v_cndmask_b32_e64 v5, 0, 1, vcc_lo
	s_delay_alu instid0(VALU_DEP_1) | instskip(NEXT) | instid1(VALU_DEP_1)
	v_lshlrev_b16 v5, 8, v5
	v_or_b32_e32 v5, v6, v5
	s_delay_alu instid0(VALU_DEP_1) | instskip(NEXT) | instid1(VALU_DEP_1)
	v_and_b32_e32 v5, 0xffff, v5
	v_and_or_b32 v1, 0xffff0000, v1, v5
.LBB946_47:
	s_or_b32 exec_lo, exec_lo, s6
	v_or_b32_e32 v5, 0x600, v0
	s_mov_b32 s6, exec_lo
	s_delay_alu instid0(VALU_DEP_1)
	v_cmpx_gt_u32_e64 s3, v5
	s_cbranch_execz .LBB946_49
; %bb.48:
	global_load_u16 v5, v9, s[0:1] offset:3072
	v_lshrrev_b32_e32 v6, 16, v1
	s_delay_alu instid0(VALU_DEP_1) | instskip(SKIP_4) | instid1(VALU_DEP_1)
	v_and_b32_e32 v6, 0xffffff00, v6
	s_wait_loadcnt 0x0
	v_cmp_eq_u16_e32 vcc_lo, 0, v5
	s_wait_alu 0xfffd
	v_cndmask_b32_e64 v5, 0, 1, vcc_lo
	v_or_b32_e32 v5, v5, v6
	s_delay_alu instid0(VALU_DEP_1) | instskip(NEXT) | instid1(VALU_DEP_1)
	v_lshlrev_b32_e32 v5, 16, v5
	v_and_or_b32 v1, 0xffff, v1, v5
.LBB946_49:
	s_or_b32 exec_lo, exec_lo, s6
	v_or_b32_e32 v5, 0x700, v0
	s_mov_b32 s6, exec_lo
	s_delay_alu instid0(VALU_DEP_1)
	v_cmpx_gt_u32_e64 s3, v5
	s_cbranch_execz .LBB946_51
; %bb.50:
	global_load_u16 v5, v9, s[0:1] offset:3584
	v_lshrrev_b32_e32 v6, 16, v1
	s_delay_alu instid0(VALU_DEP_1) | instskip(SKIP_4) | instid1(VALU_DEP_1)
	v_and_b32_e32 v6, 0xff, v6
	s_wait_loadcnt 0x0
	v_cmp_eq_u16_e32 vcc_lo, 0, v5
	s_wait_alu 0xfffd
	v_cndmask_b32_e64 v5, 0, 1, vcc_lo
	v_lshlrev_b16 v5, 8, v5
	s_delay_alu instid0(VALU_DEP_1) | instskip(NEXT) | instid1(VALU_DEP_1)
	v_or_b32_e32 v5, v6, v5
	v_lshlrev_b32_e32 v5, 16, v5
	s_delay_alu instid0(VALU_DEP_1)
	v_and_or_b32 v1, 0xffff, v1, v5
.LBB946_51:
	s_or_b32 exec_lo, exec_lo, s6
	v_or_b32_e32 v5, 0x800, v0
	s_mov_b32 s6, exec_lo
	s_delay_alu instid0(VALU_DEP_1)
	v_cmpx_gt_u32_e64 s3, v5
	s_cbranch_execz .LBB946_53
; %bb.52:
	global_load_u16 v5, v9, s[0:1] offset:4096
	v_and_b32_e32 v6, 0xffffff00, v2
	s_wait_loadcnt 0x0
	v_cmp_eq_u16_e32 vcc_lo, 0, v5
	s_wait_alu 0xfffd
	v_cndmask_b32_e64 v5, 0, 1, vcc_lo
	s_delay_alu instid0(VALU_DEP_1) | instskip(NEXT) | instid1(VALU_DEP_1)
	v_or_b32_e32 v5, v5, v6
	v_and_b32_e32 v5, 0xffff, v5
	s_delay_alu instid0(VALU_DEP_1)
	v_and_or_b32 v2, 0xffff0000, v2, v5
.LBB946_53:
	s_or_b32 exec_lo, exec_lo, s6
	v_or_b32_e32 v5, 0x900, v0
	s_mov_b32 s6, exec_lo
	s_delay_alu instid0(VALU_DEP_1)
	v_cmpx_gt_u32_e64 s3, v5
	s_cbranch_execz .LBB946_55
; %bb.54:
	global_load_u16 v5, v9, s[0:1] offset:4608
	v_and_b32_e32 v6, 0xff, v2
	s_wait_loadcnt 0x0
	v_cmp_eq_u16_e32 vcc_lo, 0, v5
	s_wait_alu 0xfffd
	v_cndmask_b32_e64 v5, 0, 1, vcc_lo
	s_delay_alu instid0(VALU_DEP_1) | instskip(NEXT) | instid1(VALU_DEP_1)
	v_lshlrev_b16 v5, 8, v5
	v_or_b32_e32 v5, v6, v5
	s_delay_alu instid0(VALU_DEP_1) | instskip(NEXT) | instid1(VALU_DEP_1)
	v_and_b32_e32 v5, 0xffff, v5
	v_and_or_b32 v2, 0xffff0000, v2, v5
.LBB946_55:
	s_or_b32 exec_lo, exec_lo, s6
	v_or_b32_e32 v5, 0xa00, v0
	s_mov_b32 s6, exec_lo
	s_delay_alu instid0(VALU_DEP_1)
	v_cmpx_gt_u32_e64 s3, v5
	s_cbranch_execz .LBB946_57
; %bb.56:
	global_load_u16 v5, v9, s[0:1] offset:5120
	v_lshrrev_b32_e32 v6, 16, v2
	s_delay_alu instid0(VALU_DEP_1) | instskip(SKIP_4) | instid1(VALU_DEP_1)
	v_and_b32_e32 v6, 0xffffff00, v6
	s_wait_loadcnt 0x0
	v_cmp_eq_u16_e32 vcc_lo, 0, v5
	s_wait_alu 0xfffd
	v_cndmask_b32_e64 v5, 0, 1, vcc_lo
	v_or_b32_e32 v5, v5, v6
	s_delay_alu instid0(VALU_DEP_1) | instskip(NEXT) | instid1(VALU_DEP_1)
	v_lshlrev_b32_e32 v5, 16, v5
	v_and_or_b32 v2, 0xffff, v2, v5
.LBB946_57:
	s_or_b32 exec_lo, exec_lo, s6
	v_or_b32_e32 v5, 0xb00, v0
	s_delay_alu instid0(VALU_DEP_1)
	v_cmp_gt_u32_e32 vcc_lo, s3, v5
	s_and_saveexec_b32 s3, vcc_lo
	s_cbranch_execz .LBB946_59
; %bb.58:
	global_load_u16 v5, v9, s[0:1] offset:5632
	v_lshrrev_b32_e32 v6, 16, v2
	s_delay_alu instid0(VALU_DEP_1) | instskip(SKIP_4) | instid1(VALU_DEP_1)
	v_and_b32_e32 v6, 0xff, v6
	s_wait_loadcnt 0x0
	v_cmp_eq_u16_e32 vcc_lo, 0, v5
	s_wait_alu 0xfffd
	v_cndmask_b32_e64 v5, 0, 1, vcc_lo
	v_lshlrev_b16 v5, 8, v5
	s_delay_alu instid0(VALU_DEP_1) | instskip(NEXT) | instid1(VALU_DEP_1)
	v_or_b32_e32 v5, v6, v5
	v_lshlrev_b32_e32 v5, 16, v5
	s_delay_alu instid0(VALU_DEP_1)
	v_and_or_b32 v2, 0xffff, v2, v5
.LBB946_59:
	s_wait_alu 0xfffe
	s_or_b32 exec_lo, exec_lo, s3
	v_lshrrev_b32_e32 v5, 8, v3
	v_lshrrev_b32_e32 v6, 24, v3
	;; [unrolled: 1-line block ×6, first 2 shown]
	ds_store_b8 v0, v4
	ds_store_b8 v0, v5 offset:256
	ds_store_b8_d16_hi v0, v3 offset:512
	ds_store_b8 v0, v6 offset:768
	ds_store_b8 v0, v1 offset:1024
	;; [unrolled: 1-line block ×3, first 2 shown]
	ds_store_b8_d16_hi v0, v1 offset:1536
	ds_store_b8 v0, v8 offset:1792
	ds_store_b8 v0, v2 offset:2048
	;; [unrolled: 1-line block ×3, first 2 shown]
	ds_store_b8_d16_hi v0, v2 offset:2560
	ds_store_b8 v0, v10 offset:2816
	s_wait_loadcnt_dscnt 0x0
	s_barrier_signal -1
	s_barrier_wait -1
.LBB946_60:
	s_wait_loadcnt 0x0
	global_inv scope:SCOPE_SE
	ds_load_2addr_b32 v[45:46], v53 offset1:1
	ds_load_b32 v49, v53 offset:8
	v_mbcnt_lo_u32_b32 v63, -1, 0
	s_cmp_lg_u32 s20, 0
	s_mov_b32 s1, -1
	s_wait_loadcnt_dscnt 0x0
	s_barrier_signal -1
	v_and_b32_e32 v64, 15, v63
	s_barrier_wait -1
	global_inv scope:SCOPE_SE
	v_dual_mov_b32 v2, 0 :: v_dual_and_b32 v55, 0xff, v45
	v_bfe_u32 v56, v45, 8, 8
	v_bfe_u32 v54, v45, 16, 8
	v_lshrrev_b32_e32 v52, 24, v45
	v_and_b32_e32 v58, 0xff, v46
	v_bfe_u32 v59, v46, 8, 8
	v_bfe_u32 v60, v46, 16, 8
	v_add3_u32 v1, v56, v55, v54
	v_lshrrev_b32_e32 v51, 24, v46
	v_and_b32_e32 v61, 0xff, v49
	v_bfe_u32 v62, v49, 8, 8
	v_bfe_u32 v57, v49, 16, 8
	v_add_co_u32 v1, s0, v1, v52
	s_wait_alu 0xf1ff
	v_add_co_ci_u32_e64 v3, null, 0, 0, s0
	v_lshrrev_b32_e32 v50, 24, v49
	s_delay_alu instid0(VALU_DEP_3) | instskip(SKIP_1) | instid1(VALU_DEP_3)
	v_add_co_u32 v1, vcc_lo, v1, v58
	s_wait_alu 0xfffd
	v_add_co_ci_u32_e64 v3, null, 0, v3, vcc_lo
	v_cmp_ne_u32_e64 s0, 0, v64
	s_delay_alu instid0(VALU_DEP_3) | instskip(SKIP_1) | instid1(VALU_DEP_3)
	v_add_co_u32 v1, vcc_lo, v1, v59
	s_wait_alu 0xfffd
	v_add_co_ci_u32_e64 v3, null, 0, v3, vcc_lo
	s_delay_alu instid0(VALU_DEP_2) | instskip(SKIP_1) | instid1(VALU_DEP_2)
	v_add_co_u32 v1, vcc_lo, v1, v60
	s_wait_alu 0xfffd
	v_add_co_ci_u32_e64 v3, null, 0, v3, vcc_lo
	s_delay_alu instid0(VALU_DEP_2) | instskip(SKIP_1) | instid1(VALU_DEP_2)
	;; [unrolled: 4-line block ×6, first 2 shown]
	v_add_co_u32 v47, vcc_lo, v1, v50
	s_wait_alu 0xfffd
	v_add_co_ci_u32_e64 v48, null, 0, v3, vcc_lo
	s_cbranch_scc0 .LBB946_117
; %bb.61:
	v_mov_b32_e32 v3, v47
	v_mov_b32_dpp v1, v47 row_shr:1 row_mask:0xf bank_mask:0xf
	v_mov_b32_dpp v6, v2 row_shr:1 row_mask:0xf bank_mask:0xf
	v_dual_mov_b32 v5, v47 :: v_dual_mov_b32 v4, v48
	s_and_saveexec_b32 s1, s0
; %bb.62:
	s_delay_alu instid0(VALU_DEP_3) | instskip(SKIP_2) | instid1(VALU_DEP_2)
	v_add_co_u32 v5, vcc_lo, v47, v1
	s_wait_alu 0xfffd
	v_add_co_ci_u32_e64 v2, null, 0, v48, vcc_lo
	v_add_co_u32 v1, vcc_lo, 0, v5
	s_wait_alu 0xfffd
	s_delay_alu instid0(VALU_DEP_2) | instskip(NEXT) | instid1(VALU_DEP_1)
	v_add_co_ci_u32_e64 v2, null, v6, v2, vcc_lo
	v_dual_mov_b32 v4, v2 :: v_dual_mov_b32 v3, v1
; %bb.63:
	s_wait_alu 0xfffe
	s_or_b32 exec_lo, exec_lo, s1
	v_mov_b32_dpp v1, v5 row_shr:2 row_mask:0xf bank_mask:0xf
	v_mov_b32_dpp v6, v2 row_shr:2 row_mask:0xf bank_mask:0xf
	s_mov_b32 s1, exec_lo
	v_cmpx_lt_u32_e32 1, v64
; %bb.64:
	s_delay_alu instid0(VALU_DEP_3) | instskip(SKIP_2) | instid1(VALU_DEP_2)
	v_add_co_u32 v5, vcc_lo, v3, v1
	s_wait_alu 0xfffd
	v_add_co_ci_u32_e64 v2, null, 0, v4, vcc_lo
	v_add_co_u32 v1, vcc_lo, 0, v5
	s_wait_alu 0xfffd
	s_delay_alu instid0(VALU_DEP_2) | instskip(NEXT) | instid1(VALU_DEP_1)
	v_add_co_ci_u32_e64 v2, null, v6, v2, vcc_lo
	v_dual_mov_b32 v4, v2 :: v_dual_mov_b32 v3, v1
; %bb.65:
	s_wait_alu 0xfffe
	s_or_b32 exec_lo, exec_lo, s1
	v_mov_b32_dpp v1, v5 row_shr:4 row_mask:0xf bank_mask:0xf
	v_mov_b32_dpp v6, v2 row_shr:4 row_mask:0xf bank_mask:0xf
	s_mov_b32 s1, exec_lo
	v_cmpx_lt_u32_e32 3, v64
	;; [unrolled: 17-line block ×3, first 2 shown]
; %bb.68:
	s_delay_alu instid0(VALU_DEP_3) | instskip(SKIP_2) | instid1(VALU_DEP_2)
	v_add_co_u32 v5, vcc_lo, v3, v6
	s_wait_alu 0xfffd
	v_add_co_ci_u32_e64 v2, null, 0, v4, vcc_lo
	v_add_co_u32 v3, vcc_lo, 0, v5
	s_wait_alu 0xfffd
	s_delay_alu instid0(VALU_DEP_2) | instskip(NEXT) | instid1(VALU_DEP_1)
	v_add_co_ci_u32_e64 v4, null, v1, v2, vcc_lo
	v_mov_b32_e32 v2, v4
; %bb.69:
	s_wait_alu 0xfffe
	s_or_b32 exec_lo, exec_lo, s1
	ds_swizzle_b32 v1, v5 offset:swizzle(BROADCAST,32,15)
	ds_swizzle_b32 v6, v2 offset:swizzle(BROADCAST,32,15)
	v_and_b32_e32 v7, 16, v63
	s_mov_b32 s1, exec_lo
	s_delay_alu instid0(VALU_DEP_1)
	v_cmpx_ne_u32_e32 0, v7
	s_cbranch_execz .LBB946_71
; %bb.70:
	s_wait_dscnt 0x1
	v_add_co_u32 v5, vcc_lo, v3, v1
	s_wait_alu 0xfffd
	v_add_co_ci_u32_e64 v2, null, 0, v4, vcc_lo
	s_delay_alu instid0(VALU_DEP_2) | instskip(SKIP_2) | instid1(VALU_DEP_2)
	v_add_co_u32 v1, vcc_lo, 0, v5
	s_wait_dscnt 0x0
	s_wait_alu 0xfffd
	v_add_co_ci_u32_e64 v2, null, v6, v2, vcc_lo
	s_delay_alu instid0(VALU_DEP_1)
	v_dual_mov_b32 v4, v2 :: v_dual_mov_b32 v3, v1
.LBB946_71:
	s_wait_alu 0xfffe
	s_or_b32 exec_lo, exec_lo, s1
	s_wait_dscnt 0x0
	v_or_b32_e32 v6, 31, v0
	v_lshrrev_b32_e32 v1, 5, v0
	s_mov_b32 s1, exec_lo
	s_delay_alu instid0(VALU_DEP_2)
	v_cmpx_eq_u32_e64 v0, v6
; %bb.72:
	s_delay_alu instid0(VALU_DEP_2)
	v_lshlrev_b32_e32 v6, 3, v1
	ds_store_b64 v6, v[3:4]
; %bb.73:
	s_wait_alu 0xfffe
	s_or_b32 exec_lo, exec_lo, s1
	s_delay_alu instid0(SALU_CYCLE_1)
	s_mov_b32 s1, exec_lo
	s_wait_loadcnt_dscnt 0x0
	s_barrier_signal -1
	s_barrier_wait -1
	global_inv scope:SCOPE_SE
	v_cmpx_gt_u32_e32 8, v0
	s_cbranch_execz .LBB946_81
; %bb.74:
	v_lshlrev_b32_e32 v6, 3, v0
	s_mov_b32 s3, exec_lo
	ds_load_b64 v[3:4], v6
	s_wait_dscnt 0x0
	v_dual_mov_b32 v8, v3 :: v_dual_and_b32 v7, 7, v63
	v_mov_b32_dpp v10, v3 row_shr:1 row_mask:0xf bank_mask:0xf
	v_mov_b32_dpp v9, v4 row_shr:1 row_mask:0xf bank_mask:0xf
	s_delay_alu instid0(VALU_DEP_3)
	v_cmpx_ne_u32_e32 0, v7
; %bb.75:
	s_delay_alu instid0(VALU_DEP_3) | instskip(SKIP_2) | instid1(VALU_DEP_2)
	v_add_co_u32 v8, vcc_lo, v3, v10
	s_wait_alu 0xfffd
	v_add_co_ci_u32_e64 v4, null, 0, v4, vcc_lo
	v_add_co_u32 v3, vcc_lo, 0, v8
	s_wait_alu 0xfffd
	s_delay_alu instid0(VALU_DEP_2)
	v_add_co_ci_u32_e64 v4, null, v9, v4, vcc_lo
; %bb.76:
	s_wait_alu 0xfffe
	s_or_b32 exec_lo, exec_lo, s3
	v_mov_b32_dpp v10, v8 row_shr:2 row_mask:0xf bank_mask:0xf
	s_delay_alu instid0(VALU_DEP_2)
	v_mov_b32_dpp v9, v4 row_shr:2 row_mask:0xf bank_mask:0xf
	s_mov_b32 s3, exec_lo
	v_cmpx_lt_u32_e32 1, v7
; %bb.77:
	s_delay_alu instid0(VALU_DEP_3) | instskip(SKIP_2) | instid1(VALU_DEP_2)
	v_add_co_u32 v8, vcc_lo, v3, v10
	s_wait_alu 0xfffd
	v_add_co_ci_u32_e64 v4, null, 0, v4, vcc_lo
	v_add_co_u32 v3, vcc_lo, 0, v8
	s_wait_alu 0xfffd
	s_delay_alu instid0(VALU_DEP_2)
	v_add_co_ci_u32_e64 v4, null, v9, v4, vcc_lo
; %bb.78:
	s_wait_alu 0xfffe
	s_or_b32 exec_lo, exec_lo, s3
	v_mov_b32_dpp v9, v8 row_shr:4 row_mask:0xf bank_mask:0xf
	s_delay_alu instid0(VALU_DEP_2)
	v_mov_b32_dpp v8, v4 row_shr:4 row_mask:0xf bank_mask:0xf
	s_mov_b32 s3, exec_lo
	v_cmpx_lt_u32_e32 3, v7
; %bb.79:
	s_delay_alu instid0(VALU_DEP_3) | instskip(SKIP_2) | instid1(VALU_DEP_2)
	v_add_co_u32 v3, vcc_lo, v3, v9
	s_wait_alu 0xfffd
	v_add_co_ci_u32_e64 v4, null, 0, v4, vcc_lo
	v_add_co_u32 v3, vcc_lo, v3, 0
	s_wait_alu 0xfffd
	s_delay_alu instid0(VALU_DEP_2)
	v_add_co_ci_u32_e64 v4, null, v4, v8, vcc_lo
; %bb.80:
	s_wait_alu 0xfffe
	s_or_b32 exec_lo, exec_lo, s3
	ds_store_b64 v6, v[3:4]
.LBB946_81:
	s_wait_alu 0xfffe
	s_or_b32 exec_lo, exec_lo, s1
	s_delay_alu instid0(SALU_CYCLE_1)
	s_mov_b32 s3, exec_lo
	v_cmp_gt_u32_e32 vcc_lo, 32, v0
	s_wait_loadcnt_dscnt 0x0
	s_barrier_signal -1
	s_barrier_wait -1
	global_inv scope:SCOPE_SE
                                        ; implicit-def: $vgpr9_vgpr10
	v_cmpx_lt_u32_e32 31, v0
	s_cbranch_execz .LBB946_83
; %bb.82:
	v_lshl_add_u32 v1, v1, 3, -8
	ds_load_b64 v[9:10], v1
	s_wait_dscnt 0x0
	v_add_co_u32 v5, s1, v5, v9
	s_wait_alu 0xf1ff
	v_add_co_ci_u32_e64 v2, null, v2, v10, s1
.LBB946_83:
	s_wait_alu 0xfffe
	s_or_b32 exec_lo, exec_lo, s3
	v_sub_co_u32 v1, s1, v63, 1
	s_delay_alu instid0(VALU_DEP_1) | instskip(SKIP_1) | instid1(VALU_DEP_1)
	v_cmp_gt_i32_e64 s3, 0, v1
	s_wait_alu 0xf1ff
	v_cndmask_b32_e64 v1, v1, v63, s3
	s_delay_alu instid0(VALU_DEP_1)
	v_lshlrev_b32_e32 v1, 2, v1
	ds_bpermute_b32 v15, v1, v5
	ds_bpermute_b32 v16, v1, v2
	s_and_saveexec_b32 s3, vcc_lo
	s_cbranch_execz .LBB946_122
; %bb.84:
	v_mov_b32_e32 v4, 0
	ds_load_b64 v[1:2], v4 offset:56
	s_and_saveexec_b32 s6, s1
	s_cbranch_execz .LBB946_86
; %bb.85:
	s_add_co_i32 s8, s20, 32
	s_mov_b32 s9, 0
	s_wait_alu 0xfffe
	s_lshl_b64 s[8:9], s[8:9], 4
	s_wait_alu 0xfffe
	s_add_nc_u64 s[8:9], s[14:15], s[8:9]
	v_mov_b32_e32 v3, 1
	s_wait_alu 0xfffe
	v_dual_mov_b32 v5, s8 :: v_dual_mov_b32 v6, s9
	s_wait_dscnt 0x0
	;;#ASMSTART
	global_store_b128 v[5:6], v[1:4] off scope:SCOPE_DEV	
s_wait_storecnt 0x0
	;;#ASMEND
.LBB946_86:
	s_or_b32 exec_lo, exec_lo, s6
	v_xad_u32 v11, v63, -1, s20
	s_mov_b32 s7, 0
	s_mov_b32 s6, exec_lo
	s_delay_alu instid0(VALU_DEP_1) | instskip(NEXT) | instid1(VALU_DEP_1)
	v_add_nc_u32_e32 v3, 32, v11
	v_lshlrev_b64_e32 v[3:4], 4, v[3:4]
	s_delay_alu instid0(VALU_DEP_1) | instskip(SKIP_1) | instid1(VALU_DEP_2)
	v_add_co_u32 v3, vcc_lo, s14, v3
	s_wait_alu 0xfffd
	v_add_co_ci_u32_e64 v4, null, s15, v4, vcc_lo
	;;#ASMSTART
	global_load_b128 v[5:8], v[3:4] off scope:SCOPE_DEV	
s_wait_loadcnt 0x0
	;;#ASMEND
	v_and_b32_e32 v8, 0xff, v7
	s_delay_alu instid0(VALU_DEP_1)
	v_cmpx_eq_u16_e32 0, v8
	s_cbranch_execz .LBB946_89
.LBB946_87:                             ; =>This Inner Loop Header: Depth=1
	;;#ASMSTART
	global_load_b128 v[5:8], v[3:4] off scope:SCOPE_DEV	
s_wait_loadcnt 0x0
	;;#ASMEND
	v_and_b32_e32 v8, 0xff, v7
	s_delay_alu instid0(VALU_DEP_1) | instskip(SKIP_1) | instid1(SALU_CYCLE_1)
	v_cmp_ne_u16_e32 vcc_lo, 0, v8
	s_or_b32 s7, vcc_lo, s7
	s_and_not1_b32 exec_lo, exec_lo, s7
	s_cbranch_execnz .LBB946_87
; %bb.88:
	s_or_b32 exec_lo, exec_lo, s7
.LBB946_89:
	s_delay_alu instid0(SALU_CYCLE_1)
	s_or_b32 exec_lo, exec_lo, s6
	v_cmp_ne_u32_e32 vcc_lo, 31, v63
	v_and_b32_e32 v4, 0xff, v7
	v_lshlrev_b32_e64 v18, v63, -1
	s_mov_b32 s6, exec_lo
	s_wait_alu 0xfffd
	v_add_co_ci_u32_e64 v3, null, 0, v63, vcc_lo
	v_cmp_eq_u16_e32 vcc_lo, 2, v4
	s_delay_alu instid0(VALU_DEP_2)
	v_dual_mov_b32 v4, v5 :: v_dual_lshlrev_b32 v17, 2, v3
	s_wait_alu 0xfffd
	v_and_or_b32 v3, vcc_lo, v18, 0x80000000
	ds_bpermute_b32 v12, v17, v5
	ds_bpermute_b32 v8, v17, v6
	v_ctz_i32_b32_e32 v3, v3
	s_delay_alu instid0(VALU_DEP_1)
	v_cmpx_lt_u32_e64 v63, v3
	s_cbranch_execz .LBB946_91
; %bb.90:
	s_wait_dscnt 0x1
	v_add_co_u32 v4, vcc_lo, v5, v12
	s_wait_alu 0xfffd
	v_add_co_ci_u32_e64 v6, null, 0, v6, vcc_lo
	s_delay_alu instid0(VALU_DEP_2) | instskip(SKIP_2) | instid1(VALU_DEP_2)
	v_add_co_u32 v5, vcc_lo, 0, v4
	s_wait_dscnt 0x0
	s_wait_alu 0xfffd
	v_add_co_ci_u32_e64 v6, null, v8, v6, vcc_lo
.LBB946_91:
	s_or_b32 exec_lo, exec_lo, s6
	v_cmp_gt_u32_e32 vcc_lo, 30, v63
	v_add_nc_u32_e32 v20, 2, v63
	s_mov_b32 s6, exec_lo
	s_wait_dscnt 0x0
	s_wait_alu 0xfffd
	v_cndmask_b32_e64 v8, 0, 2, vcc_lo
	s_delay_alu instid0(VALU_DEP_1)
	v_add_lshl_u32 v19, v8, v63, 2
	ds_bpermute_b32 v12, v19, v4
	ds_bpermute_b32 v8, v19, v6
	v_cmpx_le_u32_e64 v20, v3
	s_cbranch_execz .LBB946_93
; %bb.92:
	s_wait_dscnt 0x1
	v_add_co_u32 v4, vcc_lo, v5, v12
	s_wait_alu 0xfffd
	v_add_co_ci_u32_e64 v6, null, 0, v6, vcc_lo
	s_delay_alu instid0(VALU_DEP_2) | instskip(SKIP_2) | instid1(VALU_DEP_2)
	v_add_co_u32 v5, vcc_lo, 0, v4
	s_wait_dscnt 0x0
	s_wait_alu 0xfffd
	v_add_co_ci_u32_e64 v6, null, v8, v6, vcc_lo
.LBB946_93:
	s_or_b32 exec_lo, exec_lo, s6
	v_cmp_gt_u32_e32 vcc_lo, 28, v63
	v_add_nc_u32_e32 v22, 4, v63
	s_mov_b32 s6, exec_lo
	s_wait_dscnt 0x0
	s_wait_alu 0xfffd
	v_cndmask_b32_e64 v8, 0, 4, vcc_lo
	s_delay_alu instid0(VALU_DEP_1)
	v_add_lshl_u32 v21, v8, v63, 2
	ds_bpermute_b32 v12, v21, v4
	ds_bpermute_b32 v8, v21, v6
	v_cmpx_le_u32_e64 v22, v3
	;; [unrolled: 24-line block ×3, first 2 shown]
	s_cbranch_execz .LBB946_97
; %bb.96:
	s_wait_dscnt 0x1
	v_add_co_u32 v4, vcc_lo, v5, v12
	s_wait_alu 0xfffd
	v_add_co_ci_u32_e64 v6, null, 0, v6, vcc_lo
	s_delay_alu instid0(VALU_DEP_2) | instskip(SKIP_2) | instid1(VALU_DEP_2)
	v_add_co_u32 v5, vcc_lo, 0, v4
	s_wait_dscnt 0x0
	s_wait_alu 0xfffd
	v_add_co_ci_u32_e64 v6, null, v8, v6, vcc_lo
.LBB946_97:
	s_or_b32 exec_lo, exec_lo, s6
	v_lshl_or_b32 v25, v63, 2, 64
	v_add_nc_u32_e32 v26, 16, v63
	s_mov_b32 s6, exec_lo
	s_wait_dscnt 0x0
	ds_bpermute_b32 v8, v25, v4
	ds_bpermute_b32 v4, v25, v6
	v_cmpx_le_u32_e64 v26, v3
	s_cbranch_execz .LBB946_99
; %bb.98:
	s_wait_dscnt 0x1
	v_add_co_u32 v3, vcc_lo, v5, v8
	s_wait_alu 0xfffd
	v_add_co_ci_u32_e64 v6, null, 0, v6, vcc_lo
	s_delay_alu instid0(VALU_DEP_2) | instskip(SKIP_2) | instid1(VALU_DEP_2)
	v_add_co_u32 v5, vcc_lo, v3, 0
	s_wait_dscnt 0x0
	s_wait_alu 0xfffd
	v_add_co_ci_u32_e64 v6, null, v6, v4, vcc_lo
.LBB946_99:
	s_or_b32 exec_lo, exec_lo, s6
	v_mov_b32_e32 v12, 0
	s_branch .LBB946_102
.LBB946_100:                            ;   in Loop: Header=BB946_102 Depth=1
	s_or_b32 exec_lo, exec_lo, s6
	v_add_co_u32 v5, vcc_lo, v5, v3
	v_subrev_nc_u32_e32 v11, 32, v11
	s_wait_alu 0xfffd
	v_add_co_ci_u32_e64 v6, null, v6, v4, vcc_lo
	s_mov_b32 s6, 0
.LBB946_101:                            ;   in Loop: Header=BB946_102 Depth=1
	s_delay_alu instid0(SALU_CYCLE_1)
	s_and_b32 vcc_lo, exec_lo, s6
	s_wait_alu 0xfffe
	s_cbranch_vccnz .LBB946_118
.LBB946_102:                            ; =>This Loop Header: Depth=1
                                        ;     Child Loop BB946_105 Depth 2
	v_and_b32_e32 v3, 0xff, v7
	s_mov_b32 s6, -1
	s_delay_alu instid0(VALU_DEP_1)
	v_cmp_ne_u16_e32 vcc_lo, 2, v3
	s_wait_dscnt 0x0
	v_dual_mov_b32 v3, v5 :: v_dual_mov_b32 v4, v6
                                        ; implicit-def: $vgpr5_vgpr6
	s_cmp_lg_u32 vcc_lo, exec_lo
	s_cbranch_scc1 .LBB946_101
; %bb.103:                              ;   in Loop: Header=BB946_102 Depth=1
	v_lshlrev_b64_e32 v[5:6], 4, v[11:12]
	s_mov_b32 s6, exec_lo
	s_delay_alu instid0(VALU_DEP_1) | instskip(SKIP_1) | instid1(VALU_DEP_2)
	v_add_co_u32 v13, vcc_lo, s14, v5
	s_wait_alu 0xfffd
	v_add_co_ci_u32_e64 v14, null, s15, v6, vcc_lo
	;;#ASMSTART
	global_load_b128 v[5:8], v[13:14] off scope:SCOPE_DEV	
s_wait_loadcnt 0x0
	;;#ASMEND
	v_and_b32_e32 v8, 0xff, v7
	s_delay_alu instid0(VALU_DEP_1)
	v_cmpx_eq_u16_e32 0, v8
	s_cbranch_execz .LBB946_107
; %bb.104:                              ;   in Loop: Header=BB946_102 Depth=1
	s_mov_b32 s7, 0
.LBB946_105:                            ;   Parent Loop BB946_102 Depth=1
                                        ; =>  This Inner Loop Header: Depth=2
	;;#ASMSTART
	global_load_b128 v[5:8], v[13:14] off scope:SCOPE_DEV	
s_wait_loadcnt 0x0
	;;#ASMEND
	v_and_b32_e32 v8, 0xff, v7
	s_delay_alu instid0(VALU_DEP_1) | instskip(SKIP_1) | instid1(SALU_CYCLE_1)
	v_cmp_ne_u16_e32 vcc_lo, 0, v8
	s_or_b32 s7, vcc_lo, s7
	s_and_not1_b32 exec_lo, exec_lo, s7
	s_cbranch_execnz .LBB946_105
; %bb.106:                              ;   in Loop: Header=BB946_102 Depth=1
	s_or_b32 exec_lo, exec_lo, s7
.LBB946_107:                            ;   in Loop: Header=BB946_102 Depth=1
	s_delay_alu instid0(SALU_CYCLE_1)
	s_or_b32 exec_lo, exec_lo, s6
	v_dual_mov_b32 v13, v5 :: v_dual_and_b32 v8, 0xff, v7
	ds_bpermute_b32 v27, v17, v5
	ds_bpermute_b32 v14, v17, v6
	s_mov_b32 s6, exec_lo
	v_cmp_eq_u16_e32 vcc_lo, 2, v8
	s_wait_alu 0xfffd
	v_and_or_b32 v8, vcc_lo, v18, 0x80000000
	s_delay_alu instid0(VALU_DEP_1) | instskip(NEXT) | instid1(VALU_DEP_1)
	v_ctz_i32_b32_e32 v8, v8
	v_cmpx_lt_u32_e64 v63, v8
	s_cbranch_execz .LBB946_109
; %bb.108:                              ;   in Loop: Header=BB946_102 Depth=1
	s_wait_dscnt 0x1
	v_add_co_u32 v13, vcc_lo, v5, v27
	s_wait_alu 0xfffd
	v_add_co_ci_u32_e64 v6, null, 0, v6, vcc_lo
	s_delay_alu instid0(VALU_DEP_2) | instskip(SKIP_2) | instid1(VALU_DEP_2)
	v_add_co_u32 v5, vcc_lo, 0, v13
	s_wait_dscnt 0x0
	s_wait_alu 0xfffd
	v_add_co_ci_u32_e64 v6, null, v14, v6, vcc_lo
.LBB946_109:                            ;   in Loop: Header=BB946_102 Depth=1
	s_or_b32 exec_lo, exec_lo, s6
	s_wait_dscnt 0x1
	ds_bpermute_b32 v27, v19, v13
	s_wait_dscnt 0x1
	ds_bpermute_b32 v14, v19, v6
	s_mov_b32 s6, exec_lo
	v_cmpx_le_u32_e64 v20, v8
	s_cbranch_execz .LBB946_111
; %bb.110:                              ;   in Loop: Header=BB946_102 Depth=1
	s_wait_dscnt 0x1
	v_add_co_u32 v13, vcc_lo, v5, v27
	s_wait_alu 0xfffd
	v_add_co_ci_u32_e64 v6, null, 0, v6, vcc_lo
	s_delay_alu instid0(VALU_DEP_2) | instskip(SKIP_2) | instid1(VALU_DEP_2)
	v_add_co_u32 v5, vcc_lo, 0, v13
	s_wait_dscnt 0x0
	s_wait_alu 0xfffd
	v_add_co_ci_u32_e64 v6, null, v14, v6, vcc_lo
.LBB946_111:                            ;   in Loop: Header=BB946_102 Depth=1
	s_or_b32 exec_lo, exec_lo, s6
	s_wait_dscnt 0x1
	ds_bpermute_b32 v27, v21, v13
	s_wait_dscnt 0x1
	ds_bpermute_b32 v14, v21, v6
	s_mov_b32 s6, exec_lo
	v_cmpx_le_u32_e64 v22, v8
	;; [unrolled: 19-line block ×3, first 2 shown]
	s_cbranch_execz .LBB946_115
; %bb.114:                              ;   in Loop: Header=BB946_102 Depth=1
	s_wait_dscnt 0x1
	v_add_co_u32 v13, vcc_lo, v5, v27
	s_wait_alu 0xfffd
	v_add_co_ci_u32_e64 v6, null, 0, v6, vcc_lo
	s_delay_alu instid0(VALU_DEP_2) | instskip(SKIP_2) | instid1(VALU_DEP_2)
	v_add_co_u32 v5, vcc_lo, 0, v13
	s_wait_dscnt 0x0
	s_wait_alu 0xfffd
	v_add_co_ci_u32_e64 v6, null, v14, v6, vcc_lo
.LBB946_115:                            ;   in Loop: Header=BB946_102 Depth=1
	s_or_b32 exec_lo, exec_lo, s6
	s_wait_dscnt 0x0
	ds_bpermute_b32 v14, v25, v13
	ds_bpermute_b32 v13, v25, v6
	s_mov_b32 s6, exec_lo
	v_cmpx_le_u32_e64 v26, v8
	s_cbranch_execz .LBB946_100
; %bb.116:                              ;   in Loop: Header=BB946_102 Depth=1
	s_wait_dscnt 0x1
	v_add_co_u32 v5, vcc_lo, v5, v14
	s_wait_alu 0xfffd
	v_add_co_ci_u32_e64 v6, null, 0, v6, vcc_lo
	s_delay_alu instid0(VALU_DEP_2) | instskip(SKIP_2) | instid1(VALU_DEP_2)
	v_add_co_u32 v5, vcc_lo, v5, 0
	s_wait_dscnt 0x0
	s_wait_alu 0xfffd
	v_add_co_ci_u32_e64 v6, null, v6, v13, vcc_lo
	s_branch .LBB946_100
.LBB946_117:
                                        ; implicit-def: $vgpr39_vgpr40
                                        ; implicit-def: $vgpr1_vgpr2_vgpr3_vgpr4_vgpr5_vgpr6_vgpr7_vgpr8_vgpr9_vgpr10_vgpr11_vgpr12_vgpr13_vgpr14_vgpr15_vgpr16_vgpr17_vgpr18_vgpr19_vgpr20_vgpr21_vgpr22_vgpr23_vgpr24_vgpr25_vgpr26_vgpr27_vgpr28_vgpr29_vgpr30_vgpr31_vgpr32
	s_wait_alu 0xfffe
	s_and_b32 vcc_lo, exec_lo, s1
	s_wait_alu 0xfffe
	s_cbranch_vccnz .LBB946_123
	s_branch .LBB946_148
.LBB946_118:
	s_and_saveexec_b32 s6, s1
	s_cbranch_execz .LBB946_120
; %bb.119:
	s_add_co_i32 s8, s20, 32
	s_mov_b32 s9, 0
	v_add_co_u32 v5, vcc_lo, v3, v1
	s_wait_alu 0xfffe
	s_lshl_b64 s[8:9], s[8:9], 4
	v_dual_mov_b32 v7, 2 :: v_dual_mov_b32 v8, 0
	s_wait_alu 0xfffe
	s_add_nc_u64 s[8:9], s[14:15], s[8:9]
	s_wait_alu 0xfffd
	v_add_co_ci_u32_e64 v6, null, v4, v2, vcc_lo
	s_wait_alu 0xfffe
	v_dual_mov_b32 v12, s9 :: v_dual_mov_b32 v11, s8
	;;#ASMSTART
	global_store_b128 v[11:12], v[5:8] off scope:SCOPE_DEV	
s_wait_storecnt 0x0
	;;#ASMEND
	ds_store_b128 v8, v[1:4] offset:6144
.LBB946_120:
	s_or_b32 exec_lo, exec_lo, s6
	s_delay_alu instid0(SALU_CYCLE_1)
	s_and_b32 exec_lo, exec_lo, s2
; %bb.121:
	v_mov_b32_e32 v1, 0
	ds_store_b64 v1, v[3:4] offset:56
.LBB946_122:
	s_wait_alu 0xfffe
	s_or_b32 exec_lo, exec_lo, s3
	v_mov_b32_e32 v17, 0
	s_wait_loadcnt_dscnt 0x0
	s_barrier_signal -1
	s_barrier_wait -1
	global_inv scope:SCOPE_SE
	ds_load_b64 v[1:2], v17 offset:56
	v_cndmask_b32_e64 v3, v15, v9, s1
	v_cndmask_b32_e64 v4, v16, v10, s1
	s_wait_loadcnt_dscnt 0x0
	s_barrier_signal -1
	s_barrier_wait -1
	v_cndmask_b32_e64 v3, v3, 0, s2
	v_cndmask_b32_e64 v4, v4, 0, s2
	global_inv scope:SCOPE_SE
	ds_load_b128 v[37:40], v17 offset:6144
	v_add_co_u32 v1, vcc_lo, v1, v3
	s_wait_alu 0xfffd
	v_add_co_ci_u32_e64 v2, null, v2, v4, vcc_lo
	s_delay_alu instid0(VALU_DEP_2) | instskip(SKIP_1) | instid1(VALU_DEP_2)
	v_add_co_u32 v3, vcc_lo, v1, v55
	s_wait_alu 0xfffd
	v_add_co_ci_u32_e64 v4, null, 0, v2, vcc_lo
	s_delay_alu instid0(VALU_DEP_2) | instskip(SKIP_1) | instid1(VALU_DEP_2)
	;; [unrolled: 4-line block ×11, first 2 shown]
	v_add_co_u32 v23, vcc_lo, v21, v57
	s_wait_alu 0xfffd
	v_add_co_ci_u32_e64 v24, null, 0, v22, vcc_lo
	s_branch .LBB946_148
.LBB946_123:
	v_dual_mov_b32 v2, 0 :: v_dual_mov_b32 v3, v47
	v_mov_b32_dpp v4, v47 row_shr:1 row_mask:0xf bank_mask:0xf
	s_delay_alu instid0(VALU_DEP_2)
	v_mov_b32_dpp v1, v2 row_shr:1 row_mask:0xf bank_mask:0xf
	s_and_saveexec_b32 s1, s0
; %bb.124:
	s_delay_alu instid0(VALU_DEP_2) | instskip(SKIP_2) | instid1(VALU_DEP_2)
	v_add_co_u32 v3, vcc_lo, v47, v4
	s_wait_alu 0xfffd
	v_add_co_ci_u32_e64 v2, null, 0, v48, vcc_lo
	v_add_co_u32 v47, vcc_lo, 0, v3
	s_wait_alu 0xfffd
	s_delay_alu instid0(VALU_DEP_2) | instskip(NEXT) | instid1(VALU_DEP_1)
	v_add_co_ci_u32_e64 v48, null, v1, v2, vcc_lo
	v_mov_b32_e32 v2, v48
; %bb.125:
	s_wait_alu 0xfffe
	s_or_b32 exec_lo, exec_lo, s1
	v_mov_b32_dpp v1, v3 row_shr:2 row_mask:0xf bank_mask:0xf
	s_delay_alu instid0(VALU_DEP_2)
	v_mov_b32_dpp v4, v2 row_shr:2 row_mask:0xf bank_mask:0xf
	s_mov_b32 s0, exec_lo
	v_cmpx_lt_u32_e32 1, v64
; %bb.126:
	s_delay_alu instid0(VALU_DEP_3) | instskip(SKIP_2) | instid1(VALU_DEP_2)
	v_add_co_u32 v3, vcc_lo, v47, v1
	s_wait_alu 0xfffd
	v_add_co_ci_u32_e64 v2, null, 0, v48, vcc_lo
	v_add_co_u32 v1, vcc_lo, 0, v3
	s_wait_alu 0xfffd
	s_delay_alu instid0(VALU_DEP_2) | instskip(NEXT) | instid1(VALU_DEP_1)
	v_add_co_ci_u32_e64 v2, null, v4, v2, vcc_lo
	v_dual_mov_b32 v48, v2 :: v_dual_mov_b32 v47, v1
; %bb.127:
	s_wait_alu 0xfffe
	s_or_b32 exec_lo, exec_lo, s0
	v_mov_b32_dpp v1, v3 row_shr:4 row_mask:0xf bank_mask:0xf
	v_mov_b32_dpp v4, v2 row_shr:4 row_mask:0xf bank_mask:0xf
	s_mov_b32 s0, exec_lo
	v_cmpx_lt_u32_e32 3, v64
; %bb.128:
	s_delay_alu instid0(VALU_DEP_3) | instskip(SKIP_2) | instid1(VALU_DEP_2)
	v_add_co_u32 v3, vcc_lo, v47, v1
	s_wait_alu 0xfffd
	v_add_co_ci_u32_e64 v2, null, 0, v48, vcc_lo
	v_add_co_u32 v1, vcc_lo, 0, v3
	s_wait_alu 0xfffd
	s_delay_alu instid0(VALU_DEP_2) | instskip(NEXT) | instid1(VALU_DEP_1)
	v_add_co_ci_u32_e64 v2, null, v4, v2, vcc_lo
	v_dual_mov_b32 v48, v2 :: v_dual_mov_b32 v47, v1
; %bb.129:
	s_wait_alu 0xfffe
	s_or_b32 exec_lo, exec_lo, s0
	v_mov_b32_dpp v4, v3 row_shr:8 row_mask:0xf bank_mask:0xf
	v_mov_b32_dpp v1, v2 row_shr:8 row_mask:0xf bank_mask:0xf
	s_mov_b32 s0, exec_lo
	v_cmpx_lt_u32_e32 7, v64
; %bb.130:
	s_delay_alu instid0(VALU_DEP_3) | instskip(SKIP_2) | instid1(VALU_DEP_2)
	v_add_co_u32 v3, vcc_lo, v47, v4
	s_wait_alu 0xfffd
	v_add_co_ci_u32_e64 v2, null, 0, v48, vcc_lo
	v_add_co_u32 v47, vcc_lo, 0, v3
	s_wait_alu 0xfffd
	s_delay_alu instid0(VALU_DEP_2) | instskip(NEXT) | instid1(VALU_DEP_1)
	v_add_co_ci_u32_e64 v48, null, v1, v2, vcc_lo
	v_mov_b32_e32 v2, v48
; %bb.131:
	s_wait_alu 0xfffe
	s_or_b32 exec_lo, exec_lo, s0
	ds_swizzle_b32 v3, v3 offset:swizzle(BROADCAST,32,15)
	ds_swizzle_b32 v1, v2 offset:swizzle(BROADCAST,32,15)
	v_and_b32_e32 v2, 16, v63
	s_mov_b32 s0, exec_lo
	s_delay_alu instid0(VALU_DEP_1)
	v_cmpx_ne_u32_e32 0, v2
	s_cbranch_execz .LBB946_133
; %bb.132:
	s_wait_dscnt 0x1
	v_add_co_u32 v2, vcc_lo, v47, v3
	s_wait_alu 0xfffd
	v_add_co_ci_u32_e64 v3, null, 0, v48, vcc_lo
	s_delay_alu instid0(VALU_DEP_2) | instskip(SKIP_2) | instid1(VALU_DEP_2)
	v_add_co_u32 v47, vcc_lo, v2, 0
	s_wait_dscnt 0x0
	s_wait_alu 0xfffd
	v_add_co_ci_u32_e64 v48, null, v3, v1, vcc_lo
.LBB946_133:
	s_wait_alu 0xfffe
	s_or_b32 exec_lo, exec_lo, s0
	s_wait_dscnt 0x0
	v_or_b32_e32 v1, 31, v0
	v_lshrrev_b32_e32 v3, 5, v0
	s_mov_b32 s0, exec_lo
	s_delay_alu instid0(VALU_DEP_2)
	v_cmpx_eq_u32_e64 v0, v1
; %bb.134:
	s_delay_alu instid0(VALU_DEP_2)
	v_lshlrev_b32_e32 v1, 3, v3
	ds_store_b64 v1, v[47:48]
; %bb.135:
	s_wait_alu 0xfffe
	s_or_b32 exec_lo, exec_lo, s0
	s_delay_alu instid0(SALU_CYCLE_1)
	s_mov_b32 s0, exec_lo
	s_wait_loadcnt_dscnt 0x0
	s_barrier_signal -1
	s_barrier_wait -1
	global_inv scope:SCOPE_SE
	v_cmpx_gt_u32_e32 8, v0
	s_cbranch_execz .LBB946_143
; %bb.136:
	v_lshlrev_b32_e32 v4, 2, v0
	s_mov_b32 s1, exec_lo
	s_delay_alu instid0(VALU_DEP_1)
	v_sub_nc_u32_e32 v1, v53, v4
	ds_load_b64 v[1:2], v1
	s_wait_dscnt 0x0
	v_dual_mov_b32 v6, v1 :: v_dual_and_b32 v5, 7, v63
	v_mov_b32_dpp v8, v1 row_shr:1 row_mask:0xf bank_mask:0xf
	v_mov_b32_dpp v7, v2 row_shr:1 row_mask:0xf bank_mask:0xf
	s_delay_alu instid0(VALU_DEP_3)
	v_cmpx_ne_u32_e32 0, v5
; %bb.137:
	s_delay_alu instid0(VALU_DEP_3) | instskip(SKIP_2) | instid1(VALU_DEP_2)
	v_add_co_u32 v6, vcc_lo, v1, v8
	s_wait_alu 0xfffd
	v_add_co_ci_u32_e64 v2, null, 0, v2, vcc_lo
	v_add_co_u32 v1, vcc_lo, 0, v6
	s_wait_alu 0xfffd
	s_delay_alu instid0(VALU_DEP_2)
	v_add_co_ci_u32_e64 v2, null, v7, v2, vcc_lo
; %bb.138:
	s_wait_alu 0xfffe
	s_or_b32 exec_lo, exec_lo, s1
	v_mov_b32_dpp v8, v6 row_shr:2 row_mask:0xf bank_mask:0xf
	s_delay_alu instid0(VALU_DEP_2)
	v_mov_b32_dpp v7, v2 row_shr:2 row_mask:0xf bank_mask:0xf
	s_mov_b32 s1, exec_lo
	v_cmpx_lt_u32_e32 1, v5
; %bb.139:
	s_delay_alu instid0(VALU_DEP_3) | instskip(SKIP_2) | instid1(VALU_DEP_2)
	v_add_co_u32 v6, vcc_lo, v1, v8
	s_wait_alu 0xfffd
	v_add_co_ci_u32_e64 v2, null, 0, v2, vcc_lo
	v_add_co_u32 v1, vcc_lo, 0, v6
	s_wait_alu 0xfffd
	s_delay_alu instid0(VALU_DEP_2)
	v_add_co_ci_u32_e64 v2, null, v7, v2, vcc_lo
; %bb.140:
	s_wait_alu 0xfffe
	s_or_b32 exec_lo, exec_lo, s1
	v_sub_nc_u32_e32 v4, 0, v4
	v_mov_b32_dpp v7, v6 row_shr:4 row_mask:0xf bank_mask:0xf
	v_mov_b32_dpp v6, v2 row_shr:4 row_mask:0xf bank_mask:0xf
	s_mov_b32 s1, exec_lo
	v_cmpx_lt_u32_e32 3, v5
; %bb.141:
	s_delay_alu instid0(VALU_DEP_3) | instskip(SKIP_2) | instid1(VALU_DEP_2)
	v_add_co_u32 v1, vcc_lo, v1, v7
	s_wait_alu 0xfffd
	v_add_co_ci_u32_e64 v2, null, 0, v2, vcc_lo
	v_add_co_u32 v1, vcc_lo, v1, 0
	s_wait_alu 0xfffd
	s_delay_alu instid0(VALU_DEP_2)
	v_add_co_ci_u32_e64 v2, null, v2, v6, vcc_lo
; %bb.142:
	s_wait_alu 0xfffe
	s_or_b32 exec_lo, exec_lo, s1
	v_add_nc_u32_e32 v4, v53, v4
	ds_store_b64 v4, v[1:2]
.LBB946_143:
	s_wait_alu 0xfffe
	s_or_b32 exec_lo, exec_lo, s0
	v_mov_b32_e32 v1, 0
	v_mov_b32_e32 v2, 0
	s_mov_b32 s0, exec_lo
	s_wait_loadcnt_dscnt 0x0
	s_barrier_signal -1
	s_barrier_wait -1
	global_inv scope:SCOPE_SE
	v_cmpx_lt_u32_e32 31, v0
; %bb.144:
	v_lshl_add_u32 v1, v3, 3, -8
	ds_load_b64 v[1:2], v1
; %bb.145:
	s_wait_alu 0xfffe
	s_or_b32 exec_lo, exec_lo, s0
	v_sub_co_u32 v3, vcc_lo, v63, 1
	v_mov_b32_e32 v40, 0
	s_delay_alu instid0(VALU_DEP_2) | instskip(SKIP_3) | instid1(VALU_DEP_1)
	v_cmp_gt_i32_e64 s0, 0, v3
	ds_load_b64 v[37:38], v40 offset:56
	s_wait_alu 0xf1ff
	v_cndmask_b32_e64 v3, v3, v63, s0
	v_lshlrev_b32_e32 v4, 2, v3
	s_wait_dscnt 0x1
	v_add_co_u32 v3, s0, v1, v47
	s_wait_alu 0xf1ff
	v_add_co_ci_u32_e64 v5, null, v2, v48, s0
	ds_bpermute_b32 v3, v4, v3
	ds_bpermute_b32 v4, v4, v5
	s_and_saveexec_b32 s0, s2
	s_cbranch_execz .LBB946_147
; %bb.146:
	s_add_nc_u64 s[6:7], s[14:15], 0x200
	v_mov_b32_e32 v39, 2
	v_dual_mov_b32 v5, s6 :: v_dual_mov_b32 v6, s7
	s_wait_dscnt 0x2
	;;#ASMSTART
	global_store_b128 v[5:6], v[37:40] off scope:SCOPE_DEV	
s_wait_storecnt 0x0
	;;#ASMEND
.LBB946_147:
	s_wait_alu 0xfffe
	s_or_b32 exec_lo, exec_lo, s0
	s_wait_dscnt 0x0
	s_wait_alu 0xfffd
	v_dual_cndmask_b32 v1, v3, v1 :: v_dual_cndmask_b32 v2, v4, v2
	v_mov_b32_e32 v39, 0
	v_mov_b32_e32 v40, 0
	s_wait_loadcnt 0x0
	s_delay_alu instid0(VALU_DEP_3)
	v_cndmask_b32_e64 v1, v1, 0, s2
	v_cndmask_b32_e64 v2, v2, 0, s2
	s_barrier_signal -1
	s_barrier_wait -1
	global_inv scope:SCOPE_SE
	v_add_co_u32 v3, vcc_lo, v1, v55
	s_wait_alu 0xfffd
	v_add_co_ci_u32_e64 v4, null, 0, v2, vcc_lo
	s_delay_alu instid0(VALU_DEP_2) | instskip(SKIP_1) | instid1(VALU_DEP_2)
	v_add_co_u32 v5, vcc_lo, v3, v56
	s_wait_alu 0xfffd
	v_add_co_ci_u32_e64 v6, null, 0, v4, vcc_lo
	s_delay_alu instid0(VALU_DEP_2) | instskip(SKIP_1) | instid1(VALU_DEP_2)
	;; [unrolled: 4-line block ×10, first 2 shown]
	v_add_co_u32 v23, vcc_lo, v21, v57
	s_wait_alu 0xfffd
	v_add_co_ci_u32_e64 v24, null, 0, v22, vcc_lo
.LBB946_148:
	v_lshrrev_b32_e32 v58, 8, v45
	v_lshrrev_b32_e32 v56, 16, v45
	v_and_b32_e32 v45, 1, v45
	s_wait_dscnt 0x0
	v_cmp_gt_u64_e32 vcc_lo, 0x101, v[37:38]
	v_lshlrev_b64_e32 v[25:26], 1, v[41:42]
	v_lshrrev_b32_e32 v53, 8, v46
	v_lshrrev_b32_e32 v48, 16, v46
	v_lshrrev_b32_e32 v30, 16, v49
	v_lshrrev_b32_e32 v31, 8, v49
	v_lshrrev_b32_e32 v57, 16, v33
	v_lshrrev_b32_e32 v55, 16, v34
	v_lshrrev_b32_e32 v54, 16, v35
	v_lshrrev_b32_e32 v47, 16, v36
	v_lshrrev_b32_e32 v32, 16, v43
	v_lshrrev_b32_e32 v29, 16, v44
	v_cmp_eq_u32_e64 s0, 1, v45
	s_mov_b32 s1, -1
	s_cbranch_vccnz .LBB946_152
; %bb.149:
	s_wait_alu 0xfffe
	s_and_b32 vcc_lo, exec_lo, s1
	s_wait_alu 0xfffe
	s_cbranch_vccnz .LBB946_177
.LBB946_150:
	s_and_b32 s0, s2, s18
	s_wait_alu 0xfffe
	s_and_saveexec_b32 s1, s0
	s_cbranch_execnz .LBB946_204
.LBB946_151:
	s_endpgm
.LBB946_152:
	v_add_co_u32 v27, vcc_lo, v39, v37
	s_wait_alu 0xfffd
	v_add_co_ci_u32_e64 v28, null, v40, v38, vcc_lo
	v_add_co_u32 v59, s1, s12, v25
	s_wait_alu 0xf1fe
	v_add_co_ci_u32_e64 v60, null, s13, v26, s1
	s_delay_alu instid0(VALU_DEP_3)
	v_cmp_lt_u64_e32 vcc_lo, v[1:2], v[27:28]
	s_or_b32 s1, s19, vcc_lo
	s_wait_alu 0xfffe
	s_and_b32 s1, s1, s0
	s_wait_alu 0xfffe
	s_and_saveexec_b32 s0, s1
	s_cbranch_execz .LBB946_154
; %bb.153:
	v_lshlrev_b64_e32 v[61:62], 1, v[1:2]
	s_delay_alu instid0(VALU_DEP_1) | instskip(SKIP_1) | instid1(VALU_DEP_2)
	v_add_co_u32 v61, vcc_lo, v59, v61
	s_wait_alu 0xfffd
	v_add_co_ci_u32_e64 v62, null, v60, v62, vcc_lo
	global_store_b16 v[61:62], v33, off
.LBB946_154:
	s_wait_alu 0xfffe
	s_or_b32 exec_lo, exec_lo, s0
	v_and_b32_e32 v2, 1, v58
	v_cmp_lt_u64_e32 vcc_lo, v[3:4], v[27:28]
	s_delay_alu instid0(VALU_DEP_2)
	v_cmp_eq_u32_e64 s0, 1, v2
	s_or_b32 s1, s19, vcc_lo
	s_wait_alu 0xfffe
	s_and_b32 s1, s1, s0
	s_wait_alu 0xfffe
	s_and_saveexec_b32 s0, s1
	s_cbranch_execz .LBB946_156
; %bb.155:
	v_lshlrev_b64_e32 v[61:62], 1, v[3:4]
	s_delay_alu instid0(VALU_DEP_1) | instskip(SKIP_1) | instid1(VALU_DEP_2)
	v_add_co_u32 v61, vcc_lo, v59, v61
	s_wait_alu 0xfffd
	v_add_co_ci_u32_e64 v62, null, v60, v62, vcc_lo
	global_store_b16 v[61:62], v57, off
.LBB946_156:
	s_wait_alu 0xfffe
	s_or_b32 exec_lo, exec_lo, s0
	v_and_b32_e32 v2, 1, v56
	v_cmp_lt_u64_e32 vcc_lo, v[5:6], v[27:28]
	s_delay_alu instid0(VALU_DEP_2)
	v_cmp_eq_u32_e64 s0, 1, v2
	;; [unrolled: 20-line block ×11, first 2 shown]
	s_or_b32 s1, s19, vcc_lo
	s_wait_alu 0xfffe
	s_and_b32 s1, s1, s0
	s_wait_alu 0xfffe
	s_and_saveexec_b32 s0, s1
	s_cbranch_execz .LBB946_176
; %bb.175:
	v_lshlrev_b64_e32 v[27:28], 1, v[23:24]
	s_delay_alu instid0(VALU_DEP_1) | instskip(SKIP_1) | instid1(VALU_DEP_2)
	v_add_co_u32 v27, vcc_lo, v59, v27
	s_wait_alu 0xfffd
	v_add_co_ci_u32_e64 v28, null, v60, v28, vcc_lo
	global_store_b16 v[27:28], v29, off
.LBB946_176:
	s_wait_alu 0xfffe
	s_or_b32 exec_lo, exec_lo, s0
	s_branch .LBB946_150
.LBB946_177:
	s_mov_b32 s0, exec_lo
	v_cmpx_eq_u32_e32 1, v45
; %bb.178:
	v_sub_nc_u32_e32 v1, v1, v39
	s_delay_alu instid0(VALU_DEP_1)
	v_lshlrev_b32_e32 v1, 1, v1
	ds_store_b16 v1, v33
; %bb.179:
	s_wait_alu 0xfffe
	s_or_b32 exec_lo, exec_lo, s0
	v_and_b32_e32 v1, 1, v58
	s_mov_b32 s0, exec_lo
	s_delay_alu instid0(VALU_DEP_1)
	v_cmpx_eq_u32_e32 1, v1
; %bb.180:
	v_sub_nc_u32_e32 v1, v3, v39
	s_delay_alu instid0(VALU_DEP_1)
	v_lshlrev_b32_e32 v1, 1, v1
	ds_store_b16 v1, v57
; %bb.181:
	s_wait_alu 0xfffe
	s_or_b32 exec_lo, exec_lo, s0
	v_and_b32_e32 v1, 1, v56
	s_mov_b32 s0, exec_lo
	s_delay_alu instid0(VALU_DEP_1)
	;; [unrolled: 12-line block ×11, first 2 shown]
	v_cmpx_eq_u32_e32 1, v1
; %bb.200:
	v_sub_nc_u32_e32 v1, v23, v39
	s_delay_alu instid0(VALU_DEP_1)
	v_lshlrev_b32_e32 v1, 1, v1
	ds_store_b16 v1, v29
; %bb.201:
	s_wait_alu 0xfffe
	s_or_b32 exec_lo, exec_lo, s0
	v_lshlrev_b64_e32 v[2:3], 1, v[39:40]
	v_mov_b32_e32 v1, 0
	s_mov_b32 s1, 0
	s_wait_storecnt 0x0
	s_wait_loadcnt_dscnt 0x0
	s_barrier_signal -1
	s_barrier_wait -1
	v_add_co_u32 v4, vcc_lo, s12, v2
	s_wait_alu 0xfffd
	v_add_co_ci_u32_e64 v5, null, s13, v3, vcc_lo
	v_dual_mov_b32 v3, v1 :: v_dual_mov_b32 v2, v0
	s_delay_alu instid0(VALU_DEP_3) | instskip(SKIP_1) | instid1(VALU_DEP_3)
	v_add_co_u32 v4, vcc_lo, v4, v25
	s_wait_alu 0xfffd
	v_add_co_ci_u32_e64 v5, null, v5, v26, vcc_lo
	v_or_b32_e32 v0, 0x100, v0
	global_inv scope:SCOPE_SE
.LBB946_202:                            ; =>This Inner Loop Header: Depth=1
	v_lshlrev_b32_e32 v6, 1, v2
	v_cmp_le_u64_e32 vcc_lo, v[37:38], v[0:1]
	ds_load_u16 v8, v6
	v_lshlrev_b64_e32 v[6:7], 1, v[2:3]
	v_dual_mov_b32 v3, v1 :: v_dual_mov_b32 v2, v0
	v_add_nc_u32_e32 v0, 0x100, v0
	s_wait_alu 0xfffe
	s_or_b32 s1, vcc_lo, s1
	s_delay_alu instid0(VALU_DEP_3)
	v_add_co_u32 v6, s0, v4, v6
	s_wait_alu 0xf1ff
	v_add_co_ci_u32_e64 v7, null, v5, v7, s0
	s_wait_dscnt 0x0
	global_store_b16 v[6:7], v8, off
	s_wait_alu 0xfffe
	s_and_not1_b32 exec_lo, exec_lo, s1
	s_cbranch_execnz .LBB946_202
; %bb.203:
	s_or_b32 exec_lo, exec_lo, s1
	s_and_b32 s0, s2, s18
	s_wait_alu 0xfffe
	s_and_saveexec_b32 s1, s0
	s_cbranch_execz .LBB946_151
.LBB946_204:
	v_add_co_u32 v0, vcc_lo, v39, v37
	s_wait_alu 0xfffd
	v_add_co_ci_u32_e64 v1, null, v40, v38, vcc_lo
	v_mov_b32_e32 v2, 0
	s_delay_alu instid0(VALU_DEP_3) | instskip(SKIP_1) | instid1(VALU_DEP_3)
	v_add_co_u32 v0, vcc_lo, v0, v41
	s_wait_alu 0xfffd
	v_add_co_ci_u32_e64 v1, null, v1, v42, vcc_lo
	global_store_b64 v2, v[0:1], s[4:5]
	s_endpgm
	.section	.rodata,"a",@progbits
	.p2align	6, 0x0
	.amdhsa_kernel _ZN7rocprim17ROCPRIM_400000_NS6detail17trampoline_kernelINS0_14default_configENS1_25partition_config_selectorILNS1_17partition_subalgoE5EtNS0_10empty_typeEbEEZZNS1_14partition_implILS5_5ELb0ES3_mN6thrust23THRUST_200600_302600_NS6detail15normal_iteratorINSA_10device_ptrItEEEEPS6_NSA_18transform_iteratorINSB_9not_fun_tINSA_8identityItEEEESF_NSA_11use_defaultESM_EENS0_5tupleIJSF_S6_EEENSO_IJSG_SG_EEES6_PlJS6_EEE10hipError_tPvRmT3_T4_T5_T6_T7_T9_mT8_P12ihipStream_tbDpT10_ENKUlT_T0_E_clISt17integral_constantIbLb0EES1A_IbLb1EEEEDaS16_S17_EUlS16_E_NS1_11comp_targetILNS1_3genE10ELNS1_11target_archE1200ELNS1_3gpuE4ELNS1_3repE0EEENS1_30default_config_static_selectorELNS0_4arch9wavefront6targetE0EEEvT1_
		.amdhsa_group_segment_fixed_size 6160
		.amdhsa_private_segment_fixed_size 0
		.amdhsa_kernarg_size 136
		.amdhsa_user_sgpr_count 2
		.amdhsa_user_sgpr_dispatch_ptr 0
		.amdhsa_user_sgpr_queue_ptr 0
		.amdhsa_user_sgpr_kernarg_segment_ptr 1
		.amdhsa_user_sgpr_dispatch_id 0
		.amdhsa_user_sgpr_private_segment_size 0
		.amdhsa_wavefront_size32 1
		.amdhsa_uses_dynamic_stack 0
		.amdhsa_enable_private_segment 0
		.amdhsa_system_sgpr_workgroup_id_x 1
		.amdhsa_system_sgpr_workgroup_id_y 0
		.amdhsa_system_sgpr_workgroup_id_z 0
		.amdhsa_system_sgpr_workgroup_info 0
		.amdhsa_system_vgpr_workitem_id 0
		.amdhsa_next_free_vgpr 65
		.amdhsa_next_free_sgpr 24
		.amdhsa_reserve_vcc 1
		.amdhsa_float_round_mode_32 0
		.amdhsa_float_round_mode_16_64 0
		.amdhsa_float_denorm_mode_32 3
		.amdhsa_float_denorm_mode_16_64 3
		.amdhsa_fp16_overflow 0
		.amdhsa_workgroup_processor_mode 1
		.amdhsa_memory_ordered 1
		.amdhsa_forward_progress 1
		.amdhsa_inst_pref_size 84
		.amdhsa_round_robin_scheduling 0
		.amdhsa_exception_fp_ieee_invalid_op 0
		.amdhsa_exception_fp_denorm_src 0
		.amdhsa_exception_fp_ieee_div_zero 0
		.amdhsa_exception_fp_ieee_overflow 0
		.amdhsa_exception_fp_ieee_underflow 0
		.amdhsa_exception_fp_ieee_inexact 0
		.amdhsa_exception_int_div_zero 0
	.end_amdhsa_kernel
	.section	.text._ZN7rocprim17ROCPRIM_400000_NS6detail17trampoline_kernelINS0_14default_configENS1_25partition_config_selectorILNS1_17partition_subalgoE5EtNS0_10empty_typeEbEEZZNS1_14partition_implILS5_5ELb0ES3_mN6thrust23THRUST_200600_302600_NS6detail15normal_iteratorINSA_10device_ptrItEEEEPS6_NSA_18transform_iteratorINSB_9not_fun_tINSA_8identityItEEEESF_NSA_11use_defaultESM_EENS0_5tupleIJSF_S6_EEENSO_IJSG_SG_EEES6_PlJS6_EEE10hipError_tPvRmT3_T4_T5_T6_T7_T9_mT8_P12ihipStream_tbDpT10_ENKUlT_T0_E_clISt17integral_constantIbLb0EES1A_IbLb1EEEEDaS16_S17_EUlS16_E_NS1_11comp_targetILNS1_3genE10ELNS1_11target_archE1200ELNS1_3gpuE4ELNS1_3repE0EEENS1_30default_config_static_selectorELNS0_4arch9wavefront6targetE0EEEvT1_,"axG",@progbits,_ZN7rocprim17ROCPRIM_400000_NS6detail17trampoline_kernelINS0_14default_configENS1_25partition_config_selectorILNS1_17partition_subalgoE5EtNS0_10empty_typeEbEEZZNS1_14partition_implILS5_5ELb0ES3_mN6thrust23THRUST_200600_302600_NS6detail15normal_iteratorINSA_10device_ptrItEEEEPS6_NSA_18transform_iteratorINSB_9not_fun_tINSA_8identityItEEEESF_NSA_11use_defaultESM_EENS0_5tupleIJSF_S6_EEENSO_IJSG_SG_EEES6_PlJS6_EEE10hipError_tPvRmT3_T4_T5_T6_T7_T9_mT8_P12ihipStream_tbDpT10_ENKUlT_T0_E_clISt17integral_constantIbLb0EES1A_IbLb1EEEEDaS16_S17_EUlS16_E_NS1_11comp_targetILNS1_3genE10ELNS1_11target_archE1200ELNS1_3gpuE4ELNS1_3repE0EEENS1_30default_config_static_selectorELNS0_4arch9wavefront6targetE0EEEvT1_,comdat
.Lfunc_end946:
	.size	_ZN7rocprim17ROCPRIM_400000_NS6detail17trampoline_kernelINS0_14default_configENS1_25partition_config_selectorILNS1_17partition_subalgoE5EtNS0_10empty_typeEbEEZZNS1_14partition_implILS5_5ELb0ES3_mN6thrust23THRUST_200600_302600_NS6detail15normal_iteratorINSA_10device_ptrItEEEEPS6_NSA_18transform_iteratorINSB_9not_fun_tINSA_8identityItEEEESF_NSA_11use_defaultESM_EENS0_5tupleIJSF_S6_EEENSO_IJSG_SG_EEES6_PlJS6_EEE10hipError_tPvRmT3_T4_T5_T6_T7_T9_mT8_P12ihipStream_tbDpT10_ENKUlT_T0_E_clISt17integral_constantIbLb0EES1A_IbLb1EEEEDaS16_S17_EUlS16_E_NS1_11comp_targetILNS1_3genE10ELNS1_11target_archE1200ELNS1_3gpuE4ELNS1_3repE0EEENS1_30default_config_static_selectorELNS0_4arch9wavefront6targetE0EEEvT1_, .Lfunc_end946-_ZN7rocprim17ROCPRIM_400000_NS6detail17trampoline_kernelINS0_14default_configENS1_25partition_config_selectorILNS1_17partition_subalgoE5EtNS0_10empty_typeEbEEZZNS1_14partition_implILS5_5ELb0ES3_mN6thrust23THRUST_200600_302600_NS6detail15normal_iteratorINSA_10device_ptrItEEEEPS6_NSA_18transform_iteratorINSB_9not_fun_tINSA_8identityItEEEESF_NSA_11use_defaultESM_EENS0_5tupleIJSF_S6_EEENSO_IJSG_SG_EEES6_PlJS6_EEE10hipError_tPvRmT3_T4_T5_T6_T7_T9_mT8_P12ihipStream_tbDpT10_ENKUlT_T0_E_clISt17integral_constantIbLb0EES1A_IbLb1EEEEDaS16_S17_EUlS16_E_NS1_11comp_targetILNS1_3genE10ELNS1_11target_archE1200ELNS1_3gpuE4ELNS1_3repE0EEENS1_30default_config_static_selectorELNS0_4arch9wavefront6targetE0EEEvT1_
                                        ; -- End function
	.set _ZN7rocprim17ROCPRIM_400000_NS6detail17trampoline_kernelINS0_14default_configENS1_25partition_config_selectorILNS1_17partition_subalgoE5EtNS0_10empty_typeEbEEZZNS1_14partition_implILS5_5ELb0ES3_mN6thrust23THRUST_200600_302600_NS6detail15normal_iteratorINSA_10device_ptrItEEEEPS6_NSA_18transform_iteratorINSB_9not_fun_tINSA_8identityItEEEESF_NSA_11use_defaultESM_EENS0_5tupleIJSF_S6_EEENSO_IJSG_SG_EEES6_PlJS6_EEE10hipError_tPvRmT3_T4_T5_T6_T7_T9_mT8_P12ihipStream_tbDpT10_ENKUlT_T0_E_clISt17integral_constantIbLb0EES1A_IbLb1EEEEDaS16_S17_EUlS16_E_NS1_11comp_targetILNS1_3genE10ELNS1_11target_archE1200ELNS1_3gpuE4ELNS1_3repE0EEENS1_30default_config_static_selectorELNS0_4arch9wavefront6targetE0EEEvT1_.num_vgpr, 65
	.set _ZN7rocprim17ROCPRIM_400000_NS6detail17trampoline_kernelINS0_14default_configENS1_25partition_config_selectorILNS1_17partition_subalgoE5EtNS0_10empty_typeEbEEZZNS1_14partition_implILS5_5ELb0ES3_mN6thrust23THRUST_200600_302600_NS6detail15normal_iteratorINSA_10device_ptrItEEEEPS6_NSA_18transform_iteratorINSB_9not_fun_tINSA_8identityItEEEESF_NSA_11use_defaultESM_EENS0_5tupleIJSF_S6_EEENSO_IJSG_SG_EEES6_PlJS6_EEE10hipError_tPvRmT3_T4_T5_T6_T7_T9_mT8_P12ihipStream_tbDpT10_ENKUlT_T0_E_clISt17integral_constantIbLb0EES1A_IbLb1EEEEDaS16_S17_EUlS16_E_NS1_11comp_targetILNS1_3genE10ELNS1_11target_archE1200ELNS1_3gpuE4ELNS1_3repE0EEENS1_30default_config_static_selectorELNS0_4arch9wavefront6targetE0EEEvT1_.num_agpr, 0
	.set _ZN7rocprim17ROCPRIM_400000_NS6detail17trampoline_kernelINS0_14default_configENS1_25partition_config_selectorILNS1_17partition_subalgoE5EtNS0_10empty_typeEbEEZZNS1_14partition_implILS5_5ELb0ES3_mN6thrust23THRUST_200600_302600_NS6detail15normal_iteratorINSA_10device_ptrItEEEEPS6_NSA_18transform_iteratorINSB_9not_fun_tINSA_8identityItEEEESF_NSA_11use_defaultESM_EENS0_5tupleIJSF_S6_EEENSO_IJSG_SG_EEES6_PlJS6_EEE10hipError_tPvRmT3_T4_T5_T6_T7_T9_mT8_P12ihipStream_tbDpT10_ENKUlT_T0_E_clISt17integral_constantIbLb0EES1A_IbLb1EEEEDaS16_S17_EUlS16_E_NS1_11comp_targetILNS1_3genE10ELNS1_11target_archE1200ELNS1_3gpuE4ELNS1_3repE0EEENS1_30default_config_static_selectorELNS0_4arch9wavefront6targetE0EEEvT1_.numbered_sgpr, 24
	.set _ZN7rocprim17ROCPRIM_400000_NS6detail17trampoline_kernelINS0_14default_configENS1_25partition_config_selectorILNS1_17partition_subalgoE5EtNS0_10empty_typeEbEEZZNS1_14partition_implILS5_5ELb0ES3_mN6thrust23THRUST_200600_302600_NS6detail15normal_iteratorINSA_10device_ptrItEEEEPS6_NSA_18transform_iteratorINSB_9not_fun_tINSA_8identityItEEEESF_NSA_11use_defaultESM_EENS0_5tupleIJSF_S6_EEENSO_IJSG_SG_EEES6_PlJS6_EEE10hipError_tPvRmT3_T4_T5_T6_T7_T9_mT8_P12ihipStream_tbDpT10_ENKUlT_T0_E_clISt17integral_constantIbLb0EES1A_IbLb1EEEEDaS16_S17_EUlS16_E_NS1_11comp_targetILNS1_3genE10ELNS1_11target_archE1200ELNS1_3gpuE4ELNS1_3repE0EEENS1_30default_config_static_selectorELNS0_4arch9wavefront6targetE0EEEvT1_.num_named_barrier, 0
	.set _ZN7rocprim17ROCPRIM_400000_NS6detail17trampoline_kernelINS0_14default_configENS1_25partition_config_selectorILNS1_17partition_subalgoE5EtNS0_10empty_typeEbEEZZNS1_14partition_implILS5_5ELb0ES3_mN6thrust23THRUST_200600_302600_NS6detail15normal_iteratorINSA_10device_ptrItEEEEPS6_NSA_18transform_iteratorINSB_9not_fun_tINSA_8identityItEEEESF_NSA_11use_defaultESM_EENS0_5tupleIJSF_S6_EEENSO_IJSG_SG_EEES6_PlJS6_EEE10hipError_tPvRmT3_T4_T5_T6_T7_T9_mT8_P12ihipStream_tbDpT10_ENKUlT_T0_E_clISt17integral_constantIbLb0EES1A_IbLb1EEEEDaS16_S17_EUlS16_E_NS1_11comp_targetILNS1_3genE10ELNS1_11target_archE1200ELNS1_3gpuE4ELNS1_3repE0EEENS1_30default_config_static_selectorELNS0_4arch9wavefront6targetE0EEEvT1_.private_seg_size, 0
	.set _ZN7rocprim17ROCPRIM_400000_NS6detail17trampoline_kernelINS0_14default_configENS1_25partition_config_selectorILNS1_17partition_subalgoE5EtNS0_10empty_typeEbEEZZNS1_14partition_implILS5_5ELb0ES3_mN6thrust23THRUST_200600_302600_NS6detail15normal_iteratorINSA_10device_ptrItEEEEPS6_NSA_18transform_iteratorINSB_9not_fun_tINSA_8identityItEEEESF_NSA_11use_defaultESM_EENS0_5tupleIJSF_S6_EEENSO_IJSG_SG_EEES6_PlJS6_EEE10hipError_tPvRmT3_T4_T5_T6_T7_T9_mT8_P12ihipStream_tbDpT10_ENKUlT_T0_E_clISt17integral_constantIbLb0EES1A_IbLb1EEEEDaS16_S17_EUlS16_E_NS1_11comp_targetILNS1_3genE10ELNS1_11target_archE1200ELNS1_3gpuE4ELNS1_3repE0EEENS1_30default_config_static_selectorELNS0_4arch9wavefront6targetE0EEEvT1_.uses_vcc, 1
	.set _ZN7rocprim17ROCPRIM_400000_NS6detail17trampoline_kernelINS0_14default_configENS1_25partition_config_selectorILNS1_17partition_subalgoE5EtNS0_10empty_typeEbEEZZNS1_14partition_implILS5_5ELb0ES3_mN6thrust23THRUST_200600_302600_NS6detail15normal_iteratorINSA_10device_ptrItEEEEPS6_NSA_18transform_iteratorINSB_9not_fun_tINSA_8identityItEEEESF_NSA_11use_defaultESM_EENS0_5tupleIJSF_S6_EEENSO_IJSG_SG_EEES6_PlJS6_EEE10hipError_tPvRmT3_T4_T5_T6_T7_T9_mT8_P12ihipStream_tbDpT10_ENKUlT_T0_E_clISt17integral_constantIbLb0EES1A_IbLb1EEEEDaS16_S17_EUlS16_E_NS1_11comp_targetILNS1_3genE10ELNS1_11target_archE1200ELNS1_3gpuE4ELNS1_3repE0EEENS1_30default_config_static_selectorELNS0_4arch9wavefront6targetE0EEEvT1_.uses_flat_scratch, 1
	.set _ZN7rocprim17ROCPRIM_400000_NS6detail17trampoline_kernelINS0_14default_configENS1_25partition_config_selectorILNS1_17partition_subalgoE5EtNS0_10empty_typeEbEEZZNS1_14partition_implILS5_5ELb0ES3_mN6thrust23THRUST_200600_302600_NS6detail15normal_iteratorINSA_10device_ptrItEEEEPS6_NSA_18transform_iteratorINSB_9not_fun_tINSA_8identityItEEEESF_NSA_11use_defaultESM_EENS0_5tupleIJSF_S6_EEENSO_IJSG_SG_EEES6_PlJS6_EEE10hipError_tPvRmT3_T4_T5_T6_T7_T9_mT8_P12ihipStream_tbDpT10_ENKUlT_T0_E_clISt17integral_constantIbLb0EES1A_IbLb1EEEEDaS16_S17_EUlS16_E_NS1_11comp_targetILNS1_3genE10ELNS1_11target_archE1200ELNS1_3gpuE4ELNS1_3repE0EEENS1_30default_config_static_selectorELNS0_4arch9wavefront6targetE0EEEvT1_.has_dyn_sized_stack, 0
	.set _ZN7rocprim17ROCPRIM_400000_NS6detail17trampoline_kernelINS0_14default_configENS1_25partition_config_selectorILNS1_17partition_subalgoE5EtNS0_10empty_typeEbEEZZNS1_14partition_implILS5_5ELb0ES3_mN6thrust23THRUST_200600_302600_NS6detail15normal_iteratorINSA_10device_ptrItEEEEPS6_NSA_18transform_iteratorINSB_9not_fun_tINSA_8identityItEEEESF_NSA_11use_defaultESM_EENS0_5tupleIJSF_S6_EEENSO_IJSG_SG_EEES6_PlJS6_EEE10hipError_tPvRmT3_T4_T5_T6_T7_T9_mT8_P12ihipStream_tbDpT10_ENKUlT_T0_E_clISt17integral_constantIbLb0EES1A_IbLb1EEEEDaS16_S17_EUlS16_E_NS1_11comp_targetILNS1_3genE10ELNS1_11target_archE1200ELNS1_3gpuE4ELNS1_3repE0EEENS1_30default_config_static_selectorELNS0_4arch9wavefront6targetE0EEEvT1_.has_recursion, 0
	.set _ZN7rocprim17ROCPRIM_400000_NS6detail17trampoline_kernelINS0_14default_configENS1_25partition_config_selectorILNS1_17partition_subalgoE5EtNS0_10empty_typeEbEEZZNS1_14partition_implILS5_5ELb0ES3_mN6thrust23THRUST_200600_302600_NS6detail15normal_iteratorINSA_10device_ptrItEEEEPS6_NSA_18transform_iteratorINSB_9not_fun_tINSA_8identityItEEEESF_NSA_11use_defaultESM_EENS0_5tupleIJSF_S6_EEENSO_IJSG_SG_EEES6_PlJS6_EEE10hipError_tPvRmT3_T4_T5_T6_T7_T9_mT8_P12ihipStream_tbDpT10_ENKUlT_T0_E_clISt17integral_constantIbLb0EES1A_IbLb1EEEEDaS16_S17_EUlS16_E_NS1_11comp_targetILNS1_3genE10ELNS1_11target_archE1200ELNS1_3gpuE4ELNS1_3repE0EEENS1_30default_config_static_selectorELNS0_4arch9wavefront6targetE0EEEvT1_.has_indirect_call, 0
	.section	.AMDGPU.csdata,"",@progbits
; Kernel info:
; codeLenInByte = 10636
; TotalNumSgprs: 26
; NumVgprs: 65
; ScratchSize: 0
; MemoryBound: 0
; FloatMode: 240
; IeeeMode: 1
; LDSByteSize: 6160 bytes/workgroup (compile time only)
; SGPRBlocks: 0
; VGPRBlocks: 8
; NumSGPRsForWavesPerEU: 26
; NumVGPRsForWavesPerEU: 65
; Occupancy: 16
; WaveLimiterHint : 1
; COMPUTE_PGM_RSRC2:SCRATCH_EN: 0
; COMPUTE_PGM_RSRC2:USER_SGPR: 2
; COMPUTE_PGM_RSRC2:TRAP_HANDLER: 0
; COMPUTE_PGM_RSRC2:TGID_X_EN: 1
; COMPUTE_PGM_RSRC2:TGID_Y_EN: 0
; COMPUTE_PGM_RSRC2:TGID_Z_EN: 0
; COMPUTE_PGM_RSRC2:TIDIG_COMP_CNT: 0
	.section	.text._ZN7rocprim17ROCPRIM_400000_NS6detail17trampoline_kernelINS0_14default_configENS1_25partition_config_selectorILNS1_17partition_subalgoE5EtNS0_10empty_typeEbEEZZNS1_14partition_implILS5_5ELb0ES3_mN6thrust23THRUST_200600_302600_NS6detail15normal_iteratorINSA_10device_ptrItEEEEPS6_NSA_18transform_iteratorINSB_9not_fun_tINSA_8identityItEEEESF_NSA_11use_defaultESM_EENS0_5tupleIJSF_S6_EEENSO_IJSG_SG_EEES6_PlJS6_EEE10hipError_tPvRmT3_T4_T5_T6_T7_T9_mT8_P12ihipStream_tbDpT10_ENKUlT_T0_E_clISt17integral_constantIbLb0EES1A_IbLb1EEEEDaS16_S17_EUlS16_E_NS1_11comp_targetILNS1_3genE9ELNS1_11target_archE1100ELNS1_3gpuE3ELNS1_3repE0EEENS1_30default_config_static_selectorELNS0_4arch9wavefront6targetE0EEEvT1_,"axG",@progbits,_ZN7rocprim17ROCPRIM_400000_NS6detail17trampoline_kernelINS0_14default_configENS1_25partition_config_selectorILNS1_17partition_subalgoE5EtNS0_10empty_typeEbEEZZNS1_14partition_implILS5_5ELb0ES3_mN6thrust23THRUST_200600_302600_NS6detail15normal_iteratorINSA_10device_ptrItEEEEPS6_NSA_18transform_iteratorINSB_9not_fun_tINSA_8identityItEEEESF_NSA_11use_defaultESM_EENS0_5tupleIJSF_S6_EEENSO_IJSG_SG_EEES6_PlJS6_EEE10hipError_tPvRmT3_T4_T5_T6_T7_T9_mT8_P12ihipStream_tbDpT10_ENKUlT_T0_E_clISt17integral_constantIbLb0EES1A_IbLb1EEEEDaS16_S17_EUlS16_E_NS1_11comp_targetILNS1_3genE9ELNS1_11target_archE1100ELNS1_3gpuE3ELNS1_3repE0EEENS1_30default_config_static_selectorELNS0_4arch9wavefront6targetE0EEEvT1_,comdat
	.protected	_ZN7rocprim17ROCPRIM_400000_NS6detail17trampoline_kernelINS0_14default_configENS1_25partition_config_selectorILNS1_17partition_subalgoE5EtNS0_10empty_typeEbEEZZNS1_14partition_implILS5_5ELb0ES3_mN6thrust23THRUST_200600_302600_NS6detail15normal_iteratorINSA_10device_ptrItEEEEPS6_NSA_18transform_iteratorINSB_9not_fun_tINSA_8identityItEEEESF_NSA_11use_defaultESM_EENS0_5tupleIJSF_S6_EEENSO_IJSG_SG_EEES6_PlJS6_EEE10hipError_tPvRmT3_T4_T5_T6_T7_T9_mT8_P12ihipStream_tbDpT10_ENKUlT_T0_E_clISt17integral_constantIbLb0EES1A_IbLb1EEEEDaS16_S17_EUlS16_E_NS1_11comp_targetILNS1_3genE9ELNS1_11target_archE1100ELNS1_3gpuE3ELNS1_3repE0EEENS1_30default_config_static_selectorELNS0_4arch9wavefront6targetE0EEEvT1_ ; -- Begin function _ZN7rocprim17ROCPRIM_400000_NS6detail17trampoline_kernelINS0_14default_configENS1_25partition_config_selectorILNS1_17partition_subalgoE5EtNS0_10empty_typeEbEEZZNS1_14partition_implILS5_5ELb0ES3_mN6thrust23THRUST_200600_302600_NS6detail15normal_iteratorINSA_10device_ptrItEEEEPS6_NSA_18transform_iteratorINSB_9not_fun_tINSA_8identityItEEEESF_NSA_11use_defaultESM_EENS0_5tupleIJSF_S6_EEENSO_IJSG_SG_EEES6_PlJS6_EEE10hipError_tPvRmT3_T4_T5_T6_T7_T9_mT8_P12ihipStream_tbDpT10_ENKUlT_T0_E_clISt17integral_constantIbLb0EES1A_IbLb1EEEEDaS16_S17_EUlS16_E_NS1_11comp_targetILNS1_3genE9ELNS1_11target_archE1100ELNS1_3gpuE3ELNS1_3repE0EEENS1_30default_config_static_selectorELNS0_4arch9wavefront6targetE0EEEvT1_
	.globl	_ZN7rocprim17ROCPRIM_400000_NS6detail17trampoline_kernelINS0_14default_configENS1_25partition_config_selectorILNS1_17partition_subalgoE5EtNS0_10empty_typeEbEEZZNS1_14partition_implILS5_5ELb0ES3_mN6thrust23THRUST_200600_302600_NS6detail15normal_iteratorINSA_10device_ptrItEEEEPS6_NSA_18transform_iteratorINSB_9not_fun_tINSA_8identityItEEEESF_NSA_11use_defaultESM_EENS0_5tupleIJSF_S6_EEENSO_IJSG_SG_EEES6_PlJS6_EEE10hipError_tPvRmT3_T4_T5_T6_T7_T9_mT8_P12ihipStream_tbDpT10_ENKUlT_T0_E_clISt17integral_constantIbLb0EES1A_IbLb1EEEEDaS16_S17_EUlS16_E_NS1_11comp_targetILNS1_3genE9ELNS1_11target_archE1100ELNS1_3gpuE3ELNS1_3repE0EEENS1_30default_config_static_selectorELNS0_4arch9wavefront6targetE0EEEvT1_
	.p2align	8
	.type	_ZN7rocprim17ROCPRIM_400000_NS6detail17trampoline_kernelINS0_14default_configENS1_25partition_config_selectorILNS1_17partition_subalgoE5EtNS0_10empty_typeEbEEZZNS1_14partition_implILS5_5ELb0ES3_mN6thrust23THRUST_200600_302600_NS6detail15normal_iteratorINSA_10device_ptrItEEEEPS6_NSA_18transform_iteratorINSB_9not_fun_tINSA_8identityItEEEESF_NSA_11use_defaultESM_EENS0_5tupleIJSF_S6_EEENSO_IJSG_SG_EEES6_PlJS6_EEE10hipError_tPvRmT3_T4_T5_T6_T7_T9_mT8_P12ihipStream_tbDpT10_ENKUlT_T0_E_clISt17integral_constantIbLb0EES1A_IbLb1EEEEDaS16_S17_EUlS16_E_NS1_11comp_targetILNS1_3genE9ELNS1_11target_archE1100ELNS1_3gpuE3ELNS1_3repE0EEENS1_30default_config_static_selectorELNS0_4arch9wavefront6targetE0EEEvT1_,@function
_ZN7rocprim17ROCPRIM_400000_NS6detail17trampoline_kernelINS0_14default_configENS1_25partition_config_selectorILNS1_17partition_subalgoE5EtNS0_10empty_typeEbEEZZNS1_14partition_implILS5_5ELb0ES3_mN6thrust23THRUST_200600_302600_NS6detail15normal_iteratorINSA_10device_ptrItEEEEPS6_NSA_18transform_iteratorINSB_9not_fun_tINSA_8identityItEEEESF_NSA_11use_defaultESM_EENS0_5tupleIJSF_S6_EEENSO_IJSG_SG_EEES6_PlJS6_EEE10hipError_tPvRmT3_T4_T5_T6_T7_T9_mT8_P12ihipStream_tbDpT10_ENKUlT_T0_E_clISt17integral_constantIbLb0EES1A_IbLb1EEEEDaS16_S17_EUlS16_E_NS1_11comp_targetILNS1_3genE9ELNS1_11target_archE1100ELNS1_3gpuE3ELNS1_3repE0EEENS1_30default_config_static_selectorELNS0_4arch9wavefront6targetE0EEEvT1_: ; @_ZN7rocprim17ROCPRIM_400000_NS6detail17trampoline_kernelINS0_14default_configENS1_25partition_config_selectorILNS1_17partition_subalgoE5EtNS0_10empty_typeEbEEZZNS1_14partition_implILS5_5ELb0ES3_mN6thrust23THRUST_200600_302600_NS6detail15normal_iteratorINSA_10device_ptrItEEEEPS6_NSA_18transform_iteratorINSB_9not_fun_tINSA_8identityItEEEESF_NSA_11use_defaultESM_EENS0_5tupleIJSF_S6_EEENSO_IJSG_SG_EEES6_PlJS6_EEE10hipError_tPvRmT3_T4_T5_T6_T7_T9_mT8_P12ihipStream_tbDpT10_ENKUlT_T0_E_clISt17integral_constantIbLb0EES1A_IbLb1EEEEDaS16_S17_EUlS16_E_NS1_11comp_targetILNS1_3genE9ELNS1_11target_archE1100ELNS1_3gpuE3ELNS1_3repE0EEENS1_30default_config_static_selectorELNS0_4arch9wavefront6targetE0EEEvT1_
; %bb.0:
	.section	.rodata,"a",@progbits
	.p2align	6, 0x0
	.amdhsa_kernel _ZN7rocprim17ROCPRIM_400000_NS6detail17trampoline_kernelINS0_14default_configENS1_25partition_config_selectorILNS1_17partition_subalgoE5EtNS0_10empty_typeEbEEZZNS1_14partition_implILS5_5ELb0ES3_mN6thrust23THRUST_200600_302600_NS6detail15normal_iteratorINSA_10device_ptrItEEEEPS6_NSA_18transform_iteratorINSB_9not_fun_tINSA_8identityItEEEESF_NSA_11use_defaultESM_EENS0_5tupleIJSF_S6_EEENSO_IJSG_SG_EEES6_PlJS6_EEE10hipError_tPvRmT3_T4_T5_T6_T7_T9_mT8_P12ihipStream_tbDpT10_ENKUlT_T0_E_clISt17integral_constantIbLb0EES1A_IbLb1EEEEDaS16_S17_EUlS16_E_NS1_11comp_targetILNS1_3genE9ELNS1_11target_archE1100ELNS1_3gpuE3ELNS1_3repE0EEENS1_30default_config_static_selectorELNS0_4arch9wavefront6targetE0EEEvT1_
		.amdhsa_group_segment_fixed_size 0
		.amdhsa_private_segment_fixed_size 0
		.amdhsa_kernarg_size 136
		.amdhsa_user_sgpr_count 2
		.amdhsa_user_sgpr_dispatch_ptr 0
		.amdhsa_user_sgpr_queue_ptr 0
		.amdhsa_user_sgpr_kernarg_segment_ptr 1
		.amdhsa_user_sgpr_dispatch_id 0
		.amdhsa_user_sgpr_private_segment_size 0
		.amdhsa_wavefront_size32 1
		.amdhsa_uses_dynamic_stack 0
		.amdhsa_enable_private_segment 0
		.amdhsa_system_sgpr_workgroup_id_x 1
		.amdhsa_system_sgpr_workgroup_id_y 0
		.amdhsa_system_sgpr_workgroup_id_z 0
		.amdhsa_system_sgpr_workgroup_info 0
		.amdhsa_system_vgpr_workitem_id 0
		.amdhsa_next_free_vgpr 1
		.amdhsa_next_free_sgpr 1
		.amdhsa_reserve_vcc 0
		.amdhsa_float_round_mode_32 0
		.amdhsa_float_round_mode_16_64 0
		.amdhsa_float_denorm_mode_32 3
		.amdhsa_float_denorm_mode_16_64 3
		.amdhsa_fp16_overflow 0
		.amdhsa_workgroup_processor_mode 1
		.amdhsa_memory_ordered 1
		.amdhsa_forward_progress 1
		.amdhsa_inst_pref_size 0
		.amdhsa_round_robin_scheduling 0
		.amdhsa_exception_fp_ieee_invalid_op 0
		.amdhsa_exception_fp_denorm_src 0
		.amdhsa_exception_fp_ieee_div_zero 0
		.amdhsa_exception_fp_ieee_overflow 0
		.amdhsa_exception_fp_ieee_underflow 0
		.amdhsa_exception_fp_ieee_inexact 0
		.amdhsa_exception_int_div_zero 0
	.end_amdhsa_kernel
	.section	.text._ZN7rocprim17ROCPRIM_400000_NS6detail17trampoline_kernelINS0_14default_configENS1_25partition_config_selectorILNS1_17partition_subalgoE5EtNS0_10empty_typeEbEEZZNS1_14partition_implILS5_5ELb0ES3_mN6thrust23THRUST_200600_302600_NS6detail15normal_iteratorINSA_10device_ptrItEEEEPS6_NSA_18transform_iteratorINSB_9not_fun_tINSA_8identityItEEEESF_NSA_11use_defaultESM_EENS0_5tupleIJSF_S6_EEENSO_IJSG_SG_EEES6_PlJS6_EEE10hipError_tPvRmT3_T4_T5_T6_T7_T9_mT8_P12ihipStream_tbDpT10_ENKUlT_T0_E_clISt17integral_constantIbLb0EES1A_IbLb1EEEEDaS16_S17_EUlS16_E_NS1_11comp_targetILNS1_3genE9ELNS1_11target_archE1100ELNS1_3gpuE3ELNS1_3repE0EEENS1_30default_config_static_selectorELNS0_4arch9wavefront6targetE0EEEvT1_,"axG",@progbits,_ZN7rocprim17ROCPRIM_400000_NS6detail17trampoline_kernelINS0_14default_configENS1_25partition_config_selectorILNS1_17partition_subalgoE5EtNS0_10empty_typeEbEEZZNS1_14partition_implILS5_5ELb0ES3_mN6thrust23THRUST_200600_302600_NS6detail15normal_iteratorINSA_10device_ptrItEEEEPS6_NSA_18transform_iteratorINSB_9not_fun_tINSA_8identityItEEEESF_NSA_11use_defaultESM_EENS0_5tupleIJSF_S6_EEENSO_IJSG_SG_EEES6_PlJS6_EEE10hipError_tPvRmT3_T4_T5_T6_T7_T9_mT8_P12ihipStream_tbDpT10_ENKUlT_T0_E_clISt17integral_constantIbLb0EES1A_IbLb1EEEEDaS16_S17_EUlS16_E_NS1_11comp_targetILNS1_3genE9ELNS1_11target_archE1100ELNS1_3gpuE3ELNS1_3repE0EEENS1_30default_config_static_selectorELNS0_4arch9wavefront6targetE0EEEvT1_,comdat
.Lfunc_end947:
	.size	_ZN7rocprim17ROCPRIM_400000_NS6detail17trampoline_kernelINS0_14default_configENS1_25partition_config_selectorILNS1_17partition_subalgoE5EtNS0_10empty_typeEbEEZZNS1_14partition_implILS5_5ELb0ES3_mN6thrust23THRUST_200600_302600_NS6detail15normal_iteratorINSA_10device_ptrItEEEEPS6_NSA_18transform_iteratorINSB_9not_fun_tINSA_8identityItEEEESF_NSA_11use_defaultESM_EENS0_5tupleIJSF_S6_EEENSO_IJSG_SG_EEES6_PlJS6_EEE10hipError_tPvRmT3_T4_T5_T6_T7_T9_mT8_P12ihipStream_tbDpT10_ENKUlT_T0_E_clISt17integral_constantIbLb0EES1A_IbLb1EEEEDaS16_S17_EUlS16_E_NS1_11comp_targetILNS1_3genE9ELNS1_11target_archE1100ELNS1_3gpuE3ELNS1_3repE0EEENS1_30default_config_static_selectorELNS0_4arch9wavefront6targetE0EEEvT1_, .Lfunc_end947-_ZN7rocprim17ROCPRIM_400000_NS6detail17trampoline_kernelINS0_14default_configENS1_25partition_config_selectorILNS1_17partition_subalgoE5EtNS0_10empty_typeEbEEZZNS1_14partition_implILS5_5ELb0ES3_mN6thrust23THRUST_200600_302600_NS6detail15normal_iteratorINSA_10device_ptrItEEEEPS6_NSA_18transform_iteratorINSB_9not_fun_tINSA_8identityItEEEESF_NSA_11use_defaultESM_EENS0_5tupleIJSF_S6_EEENSO_IJSG_SG_EEES6_PlJS6_EEE10hipError_tPvRmT3_T4_T5_T6_T7_T9_mT8_P12ihipStream_tbDpT10_ENKUlT_T0_E_clISt17integral_constantIbLb0EES1A_IbLb1EEEEDaS16_S17_EUlS16_E_NS1_11comp_targetILNS1_3genE9ELNS1_11target_archE1100ELNS1_3gpuE3ELNS1_3repE0EEENS1_30default_config_static_selectorELNS0_4arch9wavefront6targetE0EEEvT1_
                                        ; -- End function
	.set _ZN7rocprim17ROCPRIM_400000_NS6detail17trampoline_kernelINS0_14default_configENS1_25partition_config_selectorILNS1_17partition_subalgoE5EtNS0_10empty_typeEbEEZZNS1_14partition_implILS5_5ELb0ES3_mN6thrust23THRUST_200600_302600_NS6detail15normal_iteratorINSA_10device_ptrItEEEEPS6_NSA_18transform_iteratorINSB_9not_fun_tINSA_8identityItEEEESF_NSA_11use_defaultESM_EENS0_5tupleIJSF_S6_EEENSO_IJSG_SG_EEES6_PlJS6_EEE10hipError_tPvRmT3_T4_T5_T6_T7_T9_mT8_P12ihipStream_tbDpT10_ENKUlT_T0_E_clISt17integral_constantIbLb0EES1A_IbLb1EEEEDaS16_S17_EUlS16_E_NS1_11comp_targetILNS1_3genE9ELNS1_11target_archE1100ELNS1_3gpuE3ELNS1_3repE0EEENS1_30default_config_static_selectorELNS0_4arch9wavefront6targetE0EEEvT1_.num_vgpr, 0
	.set _ZN7rocprim17ROCPRIM_400000_NS6detail17trampoline_kernelINS0_14default_configENS1_25partition_config_selectorILNS1_17partition_subalgoE5EtNS0_10empty_typeEbEEZZNS1_14partition_implILS5_5ELb0ES3_mN6thrust23THRUST_200600_302600_NS6detail15normal_iteratorINSA_10device_ptrItEEEEPS6_NSA_18transform_iteratorINSB_9not_fun_tINSA_8identityItEEEESF_NSA_11use_defaultESM_EENS0_5tupleIJSF_S6_EEENSO_IJSG_SG_EEES6_PlJS6_EEE10hipError_tPvRmT3_T4_T5_T6_T7_T9_mT8_P12ihipStream_tbDpT10_ENKUlT_T0_E_clISt17integral_constantIbLb0EES1A_IbLb1EEEEDaS16_S17_EUlS16_E_NS1_11comp_targetILNS1_3genE9ELNS1_11target_archE1100ELNS1_3gpuE3ELNS1_3repE0EEENS1_30default_config_static_selectorELNS0_4arch9wavefront6targetE0EEEvT1_.num_agpr, 0
	.set _ZN7rocprim17ROCPRIM_400000_NS6detail17trampoline_kernelINS0_14default_configENS1_25partition_config_selectorILNS1_17partition_subalgoE5EtNS0_10empty_typeEbEEZZNS1_14partition_implILS5_5ELb0ES3_mN6thrust23THRUST_200600_302600_NS6detail15normal_iteratorINSA_10device_ptrItEEEEPS6_NSA_18transform_iteratorINSB_9not_fun_tINSA_8identityItEEEESF_NSA_11use_defaultESM_EENS0_5tupleIJSF_S6_EEENSO_IJSG_SG_EEES6_PlJS6_EEE10hipError_tPvRmT3_T4_T5_T6_T7_T9_mT8_P12ihipStream_tbDpT10_ENKUlT_T0_E_clISt17integral_constantIbLb0EES1A_IbLb1EEEEDaS16_S17_EUlS16_E_NS1_11comp_targetILNS1_3genE9ELNS1_11target_archE1100ELNS1_3gpuE3ELNS1_3repE0EEENS1_30default_config_static_selectorELNS0_4arch9wavefront6targetE0EEEvT1_.numbered_sgpr, 0
	.set _ZN7rocprim17ROCPRIM_400000_NS6detail17trampoline_kernelINS0_14default_configENS1_25partition_config_selectorILNS1_17partition_subalgoE5EtNS0_10empty_typeEbEEZZNS1_14partition_implILS5_5ELb0ES3_mN6thrust23THRUST_200600_302600_NS6detail15normal_iteratorINSA_10device_ptrItEEEEPS6_NSA_18transform_iteratorINSB_9not_fun_tINSA_8identityItEEEESF_NSA_11use_defaultESM_EENS0_5tupleIJSF_S6_EEENSO_IJSG_SG_EEES6_PlJS6_EEE10hipError_tPvRmT3_T4_T5_T6_T7_T9_mT8_P12ihipStream_tbDpT10_ENKUlT_T0_E_clISt17integral_constantIbLb0EES1A_IbLb1EEEEDaS16_S17_EUlS16_E_NS1_11comp_targetILNS1_3genE9ELNS1_11target_archE1100ELNS1_3gpuE3ELNS1_3repE0EEENS1_30default_config_static_selectorELNS0_4arch9wavefront6targetE0EEEvT1_.num_named_barrier, 0
	.set _ZN7rocprim17ROCPRIM_400000_NS6detail17trampoline_kernelINS0_14default_configENS1_25partition_config_selectorILNS1_17partition_subalgoE5EtNS0_10empty_typeEbEEZZNS1_14partition_implILS5_5ELb0ES3_mN6thrust23THRUST_200600_302600_NS6detail15normal_iteratorINSA_10device_ptrItEEEEPS6_NSA_18transform_iteratorINSB_9not_fun_tINSA_8identityItEEEESF_NSA_11use_defaultESM_EENS0_5tupleIJSF_S6_EEENSO_IJSG_SG_EEES6_PlJS6_EEE10hipError_tPvRmT3_T4_T5_T6_T7_T9_mT8_P12ihipStream_tbDpT10_ENKUlT_T0_E_clISt17integral_constantIbLb0EES1A_IbLb1EEEEDaS16_S17_EUlS16_E_NS1_11comp_targetILNS1_3genE9ELNS1_11target_archE1100ELNS1_3gpuE3ELNS1_3repE0EEENS1_30default_config_static_selectorELNS0_4arch9wavefront6targetE0EEEvT1_.private_seg_size, 0
	.set _ZN7rocprim17ROCPRIM_400000_NS6detail17trampoline_kernelINS0_14default_configENS1_25partition_config_selectorILNS1_17partition_subalgoE5EtNS0_10empty_typeEbEEZZNS1_14partition_implILS5_5ELb0ES3_mN6thrust23THRUST_200600_302600_NS6detail15normal_iteratorINSA_10device_ptrItEEEEPS6_NSA_18transform_iteratorINSB_9not_fun_tINSA_8identityItEEEESF_NSA_11use_defaultESM_EENS0_5tupleIJSF_S6_EEENSO_IJSG_SG_EEES6_PlJS6_EEE10hipError_tPvRmT3_T4_T5_T6_T7_T9_mT8_P12ihipStream_tbDpT10_ENKUlT_T0_E_clISt17integral_constantIbLb0EES1A_IbLb1EEEEDaS16_S17_EUlS16_E_NS1_11comp_targetILNS1_3genE9ELNS1_11target_archE1100ELNS1_3gpuE3ELNS1_3repE0EEENS1_30default_config_static_selectorELNS0_4arch9wavefront6targetE0EEEvT1_.uses_vcc, 0
	.set _ZN7rocprim17ROCPRIM_400000_NS6detail17trampoline_kernelINS0_14default_configENS1_25partition_config_selectorILNS1_17partition_subalgoE5EtNS0_10empty_typeEbEEZZNS1_14partition_implILS5_5ELb0ES3_mN6thrust23THRUST_200600_302600_NS6detail15normal_iteratorINSA_10device_ptrItEEEEPS6_NSA_18transform_iteratorINSB_9not_fun_tINSA_8identityItEEEESF_NSA_11use_defaultESM_EENS0_5tupleIJSF_S6_EEENSO_IJSG_SG_EEES6_PlJS6_EEE10hipError_tPvRmT3_T4_T5_T6_T7_T9_mT8_P12ihipStream_tbDpT10_ENKUlT_T0_E_clISt17integral_constantIbLb0EES1A_IbLb1EEEEDaS16_S17_EUlS16_E_NS1_11comp_targetILNS1_3genE9ELNS1_11target_archE1100ELNS1_3gpuE3ELNS1_3repE0EEENS1_30default_config_static_selectorELNS0_4arch9wavefront6targetE0EEEvT1_.uses_flat_scratch, 0
	.set _ZN7rocprim17ROCPRIM_400000_NS6detail17trampoline_kernelINS0_14default_configENS1_25partition_config_selectorILNS1_17partition_subalgoE5EtNS0_10empty_typeEbEEZZNS1_14partition_implILS5_5ELb0ES3_mN6thrust23THRUST_200600_302600_NS6detail15normal_iteratorINSA_10device_ptrItEEEEPS6_NSA_18transform_iteratorINSB_9not_fun_tINSA_8identityItEEEESF_NSA_11use_defaultESM_EENS0_5tupleIJSF_S6_EEENSO_IJSG_SG_EEES6_PlJS6_EEE10hipError_tPvRmT3_T4_T5_T6_T7_T9_mT8_P12ihipStream_tbDpT10_ENKUlT_T0_E_clISt17integral_constantIbLb0EES1A_IbLb1EEEEDaS16_S17_EUlS16_E_NS1_11comp_targetILNS1_3genE9ELNS1_11target_archE1100ELNS1_3gpuE3ELNS1_3repE0EEENS1_30default_config_static_selectorELNS0_4arch9wavefront6targetE0EEEvT1_.has_dyn_sized_stack, 0
	.set _ZN7rocprim17ROCPRIM_400000_NS6detail17trampoline_kernelINS0_14default_configENS1_25partition_config_selectorILNS1_17partition_subalgoE5EtNS0_10empty_typeEbEEZZNS1_14partition_implILS5_5ELb0ES3_mN6thrust23THRUST_200600_302600_NS6detail15normal_iteratorINSA_10device_ptrItEEEEPS6_NSA_18transform_iteratorINSB_9not_fun_tINSA_8identityItEEEESF_NSA_11use_defaultESM_EENS0_5tupleIJSF_S6_EEENSO_IJSG_SG_EEES6_PlJS6_EEE10hipError_tPvRmT3_T4_T5_T6_T7_T9_mT8_P12ihipStream_tbDpT10_ENKUlT_T0_E_clISt17integral_constantIbLb0EES1A_IbLb1EEEEDaS16_S17_EUlS16_E_NS1_11comp_targetILNS1_3genE9ELNS1_11target_archE1100ELNS1_3gpuE3ELNS1_3repE0EEENS1_30default_config_static_selectorELNS0_4arch9wavefront6targetE0EEEvT1_.has_recursion, 0
	.set _ZN7rocprim17ROCPRIM_400000_NS6detail17trampoline_kernelINS0_14default_configENS1_25partition_config_selectorILNS1_17partition_subalgoE5EtNS0_10empty_typeEbEEZZNS1_14partition_implILS5_5ELb0ES3_mN6thrust23THRUST_200600_302600_NS6detail15normal_iteratorINSA_10device_ptrItEEEEPS6_NSA_18transform_iteratorINSB_9not_fun_tINSA_8identityItEEEESF_NSA_11use_defaultESM_EENS0_5tupleIJSF_S6_EEENSO_IJSG_SG_EEES6_PlJS6_EEE10hipError_tPvRmT3_T4_T5_T6_T7_T9_mT8_P12ihipStream_tbDpT10_ENKUlT_T0_E_clISt17integral_constantIbLb0EES1A_IbLb1EEEEDaS16_S17_EUlS16_E_NS1_11comp_targetILNS1_3genE9ELNS1_11target_archE1100ELNS1_3gpuE3ELNS1_3repE0EEENS1_30default_config_static_selectorELNS0_4arch9wavefront6targetE0EEEvT1_.has_indirect_call, 0
	.section	.AMDGPU.csdata,"",@progbits
; Kernel info:
; codeLenInByte = 0
; TotalNumSgprs: 0
; NumVgprs: 0
; ScratchSize: 0
; MemoryBound: 0
; FloatMode: 240
; IeeeMode: 1
; LDSByteSize: 0 bytes/workgroup (compile time only)
; SGPRBlocks: 0
; VGPRBlocks: 0
; NumSGPRsForWavesPerEU: 1
; NumVGPRsForWavesPerEU: 1
; Occupancy: 16
; WaveLimiterHint : 0
; COMPUTE_PGM_RSRC2:SCRATCH_EN: 0
; COMPUTE_PGM_RSRC2:USER_SGPR: 2
; COMPUTE_PGM_RSRC2:TRAP_HANDLER: 0
; COMPUTE_PGM_RSRC2:TGID_X_EN: 1
; COMPUTE_PGM_RSRC2:TGID_Y_EN: 0
; COMPUTE_PGM_RSRC2:TGID_Z_EN: 0
; COMPUTE_PGM_RSRC2:TIDIG_COMP_CNT: 0
	.section	.text._ZN7rocprim17ROCPRIM_400000_NS6detail17trampoline_kernelINS0_14default_configENS1_25partition_config_selectorILNS1_17partition_subalgoE5EtNS0_10empty_typeEbEEZZNS1_14partition_implILS5_5ELb0ES3_mN6thrust23THRUST_200600_302600_NS6detail15normal_iteratorINSA_10device_ptrItEEEEPS6_NSA_18transform_iteratorINSB_9not_fun_tINSA_8identityItEEEESF_NSA_11use_defaultESM_EENS0_5tupleIJSF_S6_EEENSO_IJSG_SG_EEES6_PlJS6_EEE10hipError_tPvRmT3_T4_T5_T6_T7_T9_mT8_P12ihipStream_tbDpT10_ENKUlT_T0_E_clISt17integral_constantIbLb0EES1A_IbLb1EEEEDaS16_S17_EUlS16_E_NS1_11comp_targetILNS1_3genE8ELNS1_11target_archE1030ELNS1_3gpuE2ELNS1_3repE0EEENS1_30default_config_static_selectorELNS0_4arch9wavefront6targetE0EEEvT1_,"axG",@progbits,_ZN7rocprim17ROCPRIM_400000_NS6detail17trampoline_kernelINS0_14default_configENS1_25partition_config_selectorILNS1_17partition_subalgoE5EtNS0_10empty_typeEbEEZZNS1_14partition_implILS5_5ELb0ES3_mN6thrust23THRUST_200600_302600_NS6detail15normal_iteratorINSA_10device_ptrItEEEEPS6_NSA_18transform_iteratorINSB_9not_fun_tINSA_8identityItEEEESF_NSA_11use_defaultESM_EENS0_5tupleIJSF_S6_EEENSO_IJSG_SG_EEES6_PlJS6_EEE10hipError_tPvRmT3_T4_T5_T6_T7_T9_mT8_P12ihipStream_tbDpT10_ENKUlT_T0_E_clISt17integral_constantIbLb0EES1A_IbLb1EEEEDaS16_S17_EUlS16_E_NS1_11comp_targetILNS1_3genE8ELNS1_11target_archE1030ELNS1_3gpuE2ELNS1_3repE0EEENS1_30default_config_static_selectorELNS0_4arch9wavefront6targetE0EEEvT1_,comdat
	.protected	_ZN7rocprim17ROCPRIM_400000_NS6detail17trampoline_kernelINS0_14default_configENS1_25partition_config_selectorILNS1_17partition_subalgoE5EtNS0_10empty_typeEbEEZZNS1_14partition_implILS5_5ELb0ES3_mN6thrust23THRUST_200600_302600_NS6detail15normal_iteratorINSA_10device_ptrItEEEEPS6_NSA_18transform_iteratorINSB_9not_fun_tINSA_8identityItEEEESF_NSA_11use_defaultESM_EENS0_5tupleIJSF_S6_EEENSO_IJSG_SG_EEES6_PlJS6_EEE10hipError_tPvRmT3_T4_T5_T6_T7_T9_mT8_P12ihipStream_tbDpT10_ENKUlT_T0_E_clISt17integral_constantIbLb0EES1A_IbLb1EEEEDaS16_S17_EUlS16_E_NS1_11comp_targetILNS1_3genE8ELNS1_11target_archE1030ELNS1_3gpuE2ELNS1_3repE0EEENS1_30default_config_static_selectorELNS0_4arch9wavefront6targetE0EEEvT1_ ; -- Begin function _ZN7rocprim17ROCPRIM_400000_NS6detail17trampoline_kernelINS0_14default_configENS1_25partition_config_selectorILNS1_17partition_subalgoE5EtNS0_10empty_typeEbEEZZNS1_14partition_implILS5_5ELb0ES3_mN6thrust23THRUST_200600_302600_NS6detail15normal_iteratorINSA_10device_ptrItEEEEPS6_NSA_18transform_iteratorINSB_9not_fun_tINSA_8identityItEEEESF_NSA_11use_defaultESM_EENS0_5tupleIJSF_S6_EEENSO_IJSG_SG_EEES6_PlJS6_EEE10hipError_tPvRmT3_T4_T5_T6_T7_T9_mT8_P12ihipStream_tbDpT10_ENKUlT_T0_E_clISt17integral_constantIbLb0EES1A_IbLb1EEEEDaS16_S17_EUlS16_E_NS1_11comp_targetILNS1_3genE8ELNS1_11target_archE1030ELNS1_3gpuE2ELNS1_3repE0EEENS1_30default_config_static_selectorELNS0_4arch9wavefront6targetE0EEEvT1_
	.globl	_ZN7rocprim17ROCPRIM_400000_NS6detail17trampoline_kernelINS0_14default_configENS1_25partition_config_selectorILNS1_17partition_subalgoE5EtNS0_10empty_typeEbEEZZNS1_14partition_implILS5_5ELb0ES3_mN6thrust23THRUST_200600_302600_NS6detail15normal_iteratorINSA_10device_ptrItEEEEPS6_NSA_18transform_iteratorINSB_9not_fun_tINSA_8identityItEEEESF_NSA_11use_defaultESM_EENS0_5tupleIJSF_S6_EEENSO_IJSG_SG_EEES6_PlJS6_EEE10hipError_tPvRmT3_T4_T5_T6_T7_T9_mT8_P12ihipStream_tbDpT10_ENKUlT_T0_E_clISt17integral_constantIbLb0EES1A_IbLb1EEEEDaS16_S17_EUlS16_E_NS1_11comp_targetILNS1_3genE8ELNS1_11target_archE1030ELNS1_3gpuE2ELNS1_3repE0EEENS1_30default_config_static_selectorELNS0_4arch9wavefront6targetE0EEEvT1_
	.p2align	8
	.type	_ZN7rocprim17ROCPRIM_400000_NS6detail17trampoline_kernelINS0_14default_configENS1_25partition_config_selectorILNS1_17partition_subalgoE5EtNS0_10empty_typeEbEEZZNS1_14partition_implILS5_5ELb0ES3_mN6thrust23THRUST_200600_302600_NS6detail15normal_iteratorINSA_10device_ptrItEEEEPS6_NSA_18transform_iteratorINSB_9not_fun_tINSA_8identityItEEEESF_NSA_11use_defaultESM_EENS0_5tupleIJSF_S6_EEENSO_IJSG_SG_EEES6_PlJS6_EEE10hipError_tPvRmT3_T4_T5_T6_T7_T9_mT8_P12ihipStream_tbDpT10_ENKUlT_T0_E_clISt17integral_constantIbLb0EES1A_IbLb1EEEEDaS16_S17_EUlS16_E_NS1_11comp_targetILNS1_3genE8ELNS1_11target_archE1030ELNS1_3gpuE2ELNS1_3repE0EEENS1_30default_config_static_selectorELNS0_4arch9wavefront6targetE0EEEvT1_,@function
_ZN7rocprim17ROCPRIM_400000_NS6detail17trampoline_kernelINS0_14default_configENS1_25partition_config_selectorILNS1_17partition_subalgoE5EtNS0_10empty_typeEbEEZZNS1_14partition_implILS5_5ELb0ES3_mN6thrust23THRUST_200600_302600_NS6detail15normal_iteratorINSA_10device_ptrItEEEEPS6_NSA_18transform_iteratorINSB_9not_fun_tINSA_8identityItEEEESF_NSA_11use_defaultESM_EENS0_5tupleIJSF_S6_EEENSO_IJSG_SG_EEES6_PlJS6_EEE10hipError_tPvRmT3_T4_T5_T6_T7_T9_mT8_P12ihipStream_tbDpT10_ENKUlT_T0_E_clISt17integral_constantIbLb0EES1A_IbLb1EEEEDaS16_S17_EUlS16_E_NS1_11comp_targetILNS1_3genE8ELNS1_11target_archE1030ELNS1_3gpuE2ELNS1_3repE0EEENS1_30default_config_static_selectorELNS0_4arch9wavefront6targetE0EEEvT1_: ; @_ZN7rocprim17ROCPRIM_400000_NS6detail17trampoline_kernelINS0_14default_configENS1_25partition_config_selectorILNS1_17partition_subalgoE5EtNS0_10empty_typeEbEEZZNS1_14partition_implILS5_5ELb0ES3_mN6thrust23THRUST_200600_302600_NS6detail15normal_iteratorINSA_10device_ptrItEEEEPS6_NSA_18transform_iteratorINSB_9not_fun_tINSA_8identityItEEEESF_NSA_11use_defaultESM_EENS0_5tupleIJSF_S6_EEENSO_IJSG_SG_EEES6_PlJS6_EEE10hipError_tPvRmT3_T4_T5_T6_T7_T9_mT8_P12ihipStream_tbDpT10_ENKUlT_T0_E_clISt17integral_constantIbLb0EES1A_IbLb1EEEEDaS16_S17_EUlS16_E_NS1_11comp_targetILNS1_3genE8ELNS1_11target_archE1030ELNS1_3gpuE2ELNS1_3repE0EEENS1_30default_config_static_selectorELNS0_4arch9wavefront6targetE0EEEvT1_
; %bb.0:
	.section	.rodata,"a",@progbits
	.p2align	6, 0x0
	.amdhsa_kernel _ZN7rocprim17ROCPRIM_400000_NS6detail17trampoline_kernelINS0_14default_configENS1_25partition_config_selectorILNS1_17partition_subalgoE5EtNS0_10empty_typeEbEEZZNS1_14partition_implILS5_5ELb0ES3_mN6thrust23THRUST_200600_302600_NS6detail15normal_iteratorINSA_10device_ptrItEEEEPS6_NSA_18transform_iteratorINSB_9not_fun_tINSA_8identityItEEEESF_NSA_11use_defaultESM_EENS0_5tupleIJSF_S6_EEENSO_IJSG_SG_EEES6_PlJS6_EEE10hipError_tPvRmT3_T4_T5_T6_T7_T9_mT8_P12ihipStream_tbDpT10_ENKUlT_T0_E_clISt17integral_constantIbLb0EES1A_IbLb1EEEEDaS16_S17_EUlS16_E_NS1_11comp_targetILNS1_3genE8ELNS1_11target_archE1030ELNS1_3gpuE2ELNS1_3repE0EEENS1_30default_config_static_selectorELNS0_4arch9wavefront6targetE0EEEvT1_
		.amdhsa_group_segment_fixed_size 0
		.amdhsa_private_segment_fixed_size 0
		.amdhsa_kernarg_size 136
		.amdhsa_user_sgpr_count 2
		.amdhsa_user_sgpr_dispatch_ptr 0
		.amdhsa_user_sgpr_queue_ptr 0
		.amdhsa_user_sgpr_kernarg_segment_ptr 1
		.amdhsa_user_sgpr_dispatch_id 0
		.amdhsa_user_sgpr_private_segment_size 0
		.amdhsa_wavefront_size32 1
		.amdhsa_uses_dynamic_stack 0
		.amdhsa_enable_private_segment 0
		.amdhsa_system_sgpr_workgroup_id_x 1
		.amdhsa_system_sgpr_workgroup_id_y 0
		.amdhsa_system_sgpr_workgroup_id_z 0
		.amdhsa_system_sgpr_workgroup_info 0
		.amdhsa_system_vgpr_workitem_id 0
		.amdhsa_next_free_vgpr 1
		.amdhsa_next_free_sgpr 1
		.amdhsa_reserve_vcc 0
		.amdhsa_float_round_mode_32 0
		.amdhsa_float_round_mode_16_64 0
		.amdhsa_float_denorm_mode_32 3
		.amdhsa_float_denorm_mode_16_64 3
		.amdhsa_fp16_overflow 0
		.amdhsa_workgroup_processor_mode 1
		.amdhsa_memory_ordered 1
		.amdhsa_forward_progress 1
		.amdhsa_inst_pref_size 0
		.amdhsa_round_robin_scheduling 0
		.amdhsa_exception_fp_ieee_invalid_op 0
		.amdhsa_exception_fp_denorm_src 0
		.amdhsa_exception_fp_ieee_div_zero 0
		.amdhsa_exception_fp_ieee_overflow 0
		.amdhsa_exception_fp_ieee_underflow 0
		.amdhsa_exception_fp_ieee_inexact 0
		.amdhsa_exception_int_div_zero 0
	.end_amdhsa_kernel
	.section	.text._ZN7rocprim17ROCPRIM_400000_NS6detail17trampoline_kernelINS0_14default_configENS1_25partition_config_selectorILNS1_17partition_subalgoE5EtNS0_10empty_typeEbEEZZNS1_14partition_implILS5_5ELb0ES3_mN6thrust23THRUST_200600_302600_NS6detail15normal_iteratorINSA_10device_ptrItEEEEPS6_NSA_18transform_iteratorINSB_9not_fun_tINSA_8identityItEEEESF_NSA_11use_defaultESM_EENS0_5tupleIJSF_S6_EEENSO_IJSG_SG_EEES6_PlJS6_EEE10hipError_tPvRmT3_T4_T5_T6_T7_T9_mT8_P12ihipStream_tbDpT10_ENKUlT_T0_E_clISt17integral_constantIbLb0EES1A_IbLb1EEEEDaS16_S17_EUlS16_E_NS1_11comp_targetILNS1_3genE8ELNS1_11target_archE1030ELNS1_3gpuE2ELNS1_3repE0EEENS1_30default_config_static_selectorELNS0_4arch9wavefront6targetE0EEEvT1_,"axG",@progbits,_ZN7rocprim17ROCPRIM_400000_NS6detail17trampoline_kernelINS0_14default_configENS1_25partition_config_selectorILNS1_17partition_subalgoE5EtNS0_10empty_typeEbEEZZNS1_14partition_implILS5_5ELb0ES3_mN6thrust23THRUST_200600_302600_NS6detail15normal_iteratorINSA_10device_ptrItEEEEPS6_NSA_18transform_iteratorINSB_9not_fun_tINSA_8identityItEEEESF_NSA_11use_defaultESM_EENS0_5tupleIJSF_S6_EEENSO_IJSG_SG_EEES6_PlJS6_EEE10hipError_tPvRmT3_T4_T5_T6_T7_T9_mT8_P12ihipStream_tbDpT10_ENKUlT_T0_E_clISt17integral_constantIbLb0EES1A_IbLb1EEEEDaS16_S17_EUlS16_E_NS1_11comp_targetILNS1_3genE8ELNS1_11target_archE1030ELNS1_3gpuE2ELNS1_3repE0EEENS1_30default_config_static_selectorELNS0_4arch9wavefront6targetE0EEEvT1_,comdat
.Lfunc_end948:
	.size	_ZN7rocprim17ROCPRIM_400000_NS6detail17trampoline_kernelINS0_14default_configENS1_25partition_config_selectorILNS1_17partition_subalgoE5EtNS0_10empty_typeEbEEZZNS1_14partition_implILS5_5ELb0ES3_mN6thrust23THRUST_200600_302600_NS6detail15normal_iteratorINSA_10device_ptrItEEEEPS6_NSA_18transform_iteratorINSB_9not_fun_tINSA_8identityItEEEESF_NSA_11use_defaultESM_EENS0_5tupleIJSF_S6_EEENSO_IJSG_SG_EEES6_PlJS6_EEE10hipError_tPvRmT3_T4_T5_T6_T7_T9_mT8_P12ihipStream_tbDpT10_ENKUlT_T0_E_clISt17integral_constantIbLb0EES1A_IbLb1EEEEDaS16_S17_EUlS16_E_NS1_11comp_targetILNS1_3genE8ELNS1_11target_archE1030ELNS1_3gpuE2ELNS1_3repE0EEENS1_30default_config_static_selectorELNS0_4arch9wavefront6targetE0EEEvT1_, .Lfunc_end948-_ZN7rocprim17ROCPRIM_400000_NS6detail17trampoline_kernelINS0_14default_configENS1_25partition_config_selectorILNS1_17partition_subalgoE5EtNS0_10empty_typeEbEEZZNS1_14partition_implILS5_5ELb0ES3_mN6thrust23THRUST_200600_302600_NS6detail15normal_iteratorINSA_10device_ptrItEEEEPS6_NSA_18transform_iteratorINSB_9not_fun_tINSA_8identityItEEEESF_NSA_11use_defaultESM_EENS0_5tupleIJSF_S6_EEENSO_IJSG_SG_EEES6_PlJS6_EEE10hipError_tPvRmT3_T4_T5_T6_T7_T9_mT8_P12ihipStream_tbDpT10_ENKUlT_T0_E_clISt17integral_constantIbLb0EES1A_IbLb1EEEEDaS16_S17_EUlS16_E_NS1_11comp_targetILNS1_3genE8ELNS1_11target_archE1030ELNS1_3gpuE2ELNS1_3repE0EEENS1_30default_config_static_selectorELNS0_4arch9wavefront6targetE0EEEvT1_
                                        ; -- End function
	.set _ZN7rocprim17ROCPRIM_400000_NS6detail17trampoline_kernelINS0_14default_configENS1_25partition_config_selectorILNS1_17partition_subalgoE5EtNS0_10empty_typeEbEEZZNS1_14partition_implILS5_5ELb0ES3_mN6thrust23THRUST_200600_302600_NS6detail15normal_iteratorINSA_10device_ptrItEEEEPS6_NSA_18transform_iteratorINSB_9not_fun_tINSA_8identityItEEEESF_NSA_11use_defaultESM_EENS0_5tupleIJSF_S6_EEENSO_IJSG_SG_EEES6_PlJS6_EEE10hipError_tPvRmT3_T4_T5_T6_T7_T9_mT8_P12ihipStream_tbDpT10_ENKUlT_T0_E_clISt17integral_constantIbLb0EES1A_IbLb1EEEEDaS16_S17_EUlS16_E_NS1_11comp_targetILNS1_3genE8ELNS1_11target_archE1030ELNS1_3gpuE2ELNS1_3repE0EEENS1_30default_config_static_selectorELNS0_4arch9wavefront6targetE0EEEvT1_.num_vgpr, 0
	.set _ZN7rocprim17ROCPRIM_400000_NS6detail17trampoline_kernelINS0_14default_configENS1_25partition_config_selectorILNS1_17partition_subalgoE5EtNS0_10empty_typeEbEEZZNS1_14partition_implILS5_5ELb0ES3_mN6thrust23THRUST_200600_302600_NS6detail15normal_iteratorINSA_10device_ptrItEEEEPS6_NSA_18transform_iteratorINSB_9not_fun_tINSA_8identityItEEEESF_NSA_11use_defaultESM_EENS0_5tupleIJSF_S6_EEENSO_IJSG_SG_EEES6_PlJS6_EEE10hipError_tPvRmT3_T4_T5_T6_T7_T9_mT8_P12ihipStream_tbDpT10_ENKUlT_T0_E_clISt17integral_constantIbLb0EES1A_IbLb1EEEEDaS16_S17_EUlS16_E_NS1_11comp_targetILNS1_3genE8ELNS1_11target_archE1030ELNS1_3gpuE2ELNS1_3repE0EEENS1_30default_config_static_selectorELNS0_4arch9wavefront6targetE0EEEvT1_.num_agpr, 0
	.set _ZN7rocprim17ROCPRIM_400000_NS6detail17trampoline_kernelINS0_14default_configENS1_25partition_config_selectorILNS1_17partition_subalgoE5EtNS0_10empty_typeEbEEZZNS1_14partition_implILS5_5ELb0ES3_mN6thrust23THRUST_200600_302600_NS6detail15normal_iteratorINSA_10device_ptrItEEEEPS6_NSA_18transform_iteratorINSB_9not_fun_tINSA_8identityItEEEESF_NSA_11use_defaultESM_EENS0_5tupleIJSF_S6_EEENSO_IJSG_SG_EEES6_PlJS6_EEE10hipError_tPvRmT3_T4_T5_T6_T7_T9_mT8_P12ihipStream_tbDpT10_ENKUlT_T0_E_clISt17integral_constantIbLb0EES1A_IbLb1EEEEDaS16_S17_EUlS16_E_NS1_11comp_targetILNS1_3genE8ELNS1_11target_archE1030ELNS1_3gpuE2ELNS1_3repE0EEENS1_30default_config_static_selectorELNS0_4arch9wavefront6targetE0EEEvT1_.numbered_sgpr, 0
	.set _ZN7rocprim17ROCPRIM_400000_NS6detail17trampoline_kernelINS0_14default_configENS1_25partition_config_selectorILNS1_17partition_subalgoE5EtNS0_10empty_typeEbEEZZNS1_14partition_implILS5_5ELb0ES3_mN6thrust23THRUST_200600_302600_NS6detail15normal_iteratorINSA_10device_ptrItEEEEPS6_NSA_18transform_iteratorINSB_9not_fun_tINSA_8identityItEEEESF_NSA_11use_defaultESM_EENS0_5tupleIJSF_S6_EEENSO_IJSG_SG_EEES6_PlJS6_EEE10hipError_tPvRmT3_T4_T5_T6_T7_T9_mT8_P12ihipStream_tbDpT10_ENKUlT_T0_E_clISt17integral_constantIbLb0EES1A_IbLb1EEEEDaS16_S17_EUlS16_E_NS1_11comp_targetILNS1_3genE8ELNS1_11target_archE1030ELNS1_3gpuE2ELNS1_3repE0EEENS1_30default_config_static_selectorELNS0_4arch9wavefront6targetE0EEEvT1_.num_named_barrier, 0
	.set _ZN7rocprim17ROCPRIM_400000_NS6detail17trampoline_kernelINS0_14default_configENS1_25partition_config_selectorILNS1_17partition_subalgoE5EtNS0_10empty_typeEbEEZZNS1_14partition_implILS5_5ELb0ES3_mN6thrust23THRUST_200600_302600_NS6detail15normal_iteratorINSA_10device_ptrItEEEEPS6_NSA_18transform_iteratorINSB_9not_fun_tINSA_8identityItEEEESF_NSA_11use_defaultESM_EENS0_5tupleIJSF_S6_EEENSO_IJSG_SG_EEES6_PlJS6_EEE10hipError_tPvRmT3_T4_T5_T6_T7_T9_mT8_P12ihipStream_tbDpT10_ENKUlT_T0_E_clISt17integral_constantIbLb0EES1A_IbLb1EEEEDaS16_S17_EUlS16_E_NS1_11comp_targetILNS1_3genE8ELNS1_11target_archE1030ELNS1_3gpuE2ELNS1_3repE0EEENS1_30default_config_static_selectorELNS0_4arch9wavefront6targetE0EEEvT1_.private_seg_size, 0
	.set _ZN7rocprim17ROCPRIM_400000_NS6detail17trampoline_kernelINS0_14default_configENS1_25partition_config_selectorILNS1_17partition_subalgoE5EtNS0_10empty_typeEbEEZZNS1_14partition_implILS5_5ELb0ES3_mN6thrust23THRUST_200600_302600_NS6detail15normal_iteratorINSA_10device_ptrItEEEEPS6_NSA_18transform_iteratorINSB_9not_fun_tINSA_8identityItEEEESF_NSA_11use_defaultESM_EENS0_5tupleIJSF_S6_EEENSO_IJSG_SG_EEES6_PlJS6_EEE10hipError_tPvRmT3_T4_T5_T6_T7_T9_mT8_P12ihipStream_tbDpT10_ENKUlT_T0_E_clISt17integral_constantIbLb0EES1A_IbLb1EEEEDaS16_S17_EUlS16_E_NS1_11comp_targetILNS1_3genE8ELNS1_11target_archE1030ELNS1_3gpuE2ELNS1_3repE0EEENS1_30default_config_static_selectorELNS0_4arch9wavefront6targetE0EEEvT1_.uses_vcc, 0
	.set _ZN7rocprim17ROCPRIM_400000_NS6detail17trampoline_kernelINS0_14default_configENS1_25partition_config_selectorILNS1_17partition_subalgoE5EtNS0_10empty_typeEbEEZZNS1_14partition_implILS5_5ELb0ES3_mN6thrust23THRUST_200600_302600_NS6detail15normal_iteratorINSA_10device_ptrItEEEEPS6_NSA_18transform_iteratorINSB_9not_fun_tINSA_8identityItEEEESF_NSA_11use_defaultESM_EENS0_5tupleIJSF_S6_EEENSO_IJSG_SG_EEES6_PlJS6_EEE10hipError_tPvRmT3_T4_T5_T6_T7_T9_mT8_P12ihipStream_tbDpT10_ENKUlT_T0_E_clISt17integral_constantIbLb0EES1A_IbLb1EEEEDaS16_S17_EUlS16_E_NS1_11comp_targetILNS1_3genE8ELNS1_11target_archE1030ELNS1_3gpuE2ELNS1_3repE0EEENS1_30default_config_static_selectorELNS0_4arch9wavefront6targetE0EEEvT1_.uses_flat_scratch, 0
	.set _ZN7rocprim17ROCPRIM_400000_NS6detail17trampoline_kernelINS0_14default_configENS1_25partition_config_selectorILNS1_17partition_subalgoE5EtNS0_10empty_typeEbEEZZNS1_14partition_implILS5_5ELb0ES3_mN6thrust23THRUST_200600_302600_NS6detail15normal_iteratorINSA_10device_ptrItEEEEPS6_NSA_18transform_iteratorINSB_9not_fun_tINSA_8identityItEEEESF_NSA_11use_defaultESM_EENS0_5tupleIJSF_S6_EEENSO_IJSG_SG_EEES6_PlJS6_EEE10hipError_tPvRmT3_T4_T5_T6_T7_T9_mT8_P12ihipStream_tbDpT10_ENKUlT_T0_E_clISt17integral_constantIbLb0EES1A_IbLb1EEEEDaS16_S17_EUlS16_E_NS1_11comp_targetILNS1_3genE8ELNS1_11target_archE1030ELNS1_3gpuE2ELNS1_3repE0EEENS1_30default_config_static_selectorELNS0_4arch9wavefront6targetE0EEEvT1_.has_dyn_sized_stack, 0
	.set _ZN7rocprim17ROCPRIM_400000_NS6detail17trampoline_kernelINS0_14default_configENS1_25partition_config_selectorILNS1_17partition_subalgoE5EtNS0_10empty_typeEbEEZZNS1_14partition_implILS5_5ELb0ES3_mN6thrust23THRUST_200600_302600_NS6detail15normal_iteratorINSA_10device_ptrItEEEEPS6_NSA_18transform_iteratorINSB_9not_fun_tINSA_8identityItEEEESF_NSA_11use_defaultESM_EENS0_5tupleIJSF_S6_EEENSO_IJSG_SG_EEES6_PlJS6_EEE10hipError_tPvRmT3_T4_T5_T6_T7_T9_mT8_P12ihipStream_tbDpT10_ENKUlT_T0_E_clISt17integral_constantIbLb0EES1A_IbLb1EEEEDaS16_S17_EUlS16_E_NS1_11comp_targetILNS1_3genE8ELNS1_11target_archE1030ELNS1_3gpuE2ELNS1_3repE0EEENS1_30default_config_static_selectorELNS0_4arch9wavefront6targetE0EEEvT1_.has_recursion, 0
	.set _ZN7rocprim17ROCPRIM_400000_NS6detail17trampoline_kernelINS0_14default_configENS1_25partition_config_selectorILNS1_17partition_subalgoE5EtNS0_10empty_typeEbEEZZNS1_14partition_implILS5_5ELb0ES3_mN6thrust23THRUST_200600_302600_NS6detail15normal_iteratorINSA_10device_ptrItEEEEPS6_NSA_18transform_iteratorINSB_9not_fun_tINSA_8identityItEEEESF_NSA_11use_defaultESM_EENS0_5tupleIJSF_S6_EEENSO_IJSG_SG_EEES6_PlJS6_EEE10hipError_tPvRmT3_T4_T5_T6_T7_T9_mT8_P12ihipStream_tbDpT10_ENKUlT_T0_E_clISt17integral_constantIbLb0EES1A_IbLb1EEEEDaS16_S17_EUlS16_E_NS1_11comp_targetILNS1_3genE8ELNS1_11target_archE1030ELNS1_3gpuE2ELNS1_3repE0EEENS1_30default_config_static_selectorELNS0_4arch9wavefront6targetE0EEEvT1_.has_indirect_call, 0
	.section	.AMDGPU.csdata,"",@progbits
; Kernel info:
; codeLenInByte = 0
; TotalNumSgprs: 0
; NumVgprs: 0
; ScratchSize: 0
; MemoryBound: 0
; FloatMode: 240
; IeeeMode: 1
; LDSByteSize: 0 bytes/workgroup (compile time only)
; SGPRBlocks: 0
; VGPRBlocks: 0
; NumSGPRsForWavesPerEU: 1
; NumVGPRsForWavesPerEU: 1
; Occupancy: 16
; WaveLimiterHint : 0
; COMPUTE_PGM_RSRC2:SCRATCH_EN: 0
; COMPUTE_PGM_RSRC2:USER_SGPR: 2
; COMPUTE_PGM_RSRC2:TRAP_HANDLER: 0
; COMPUTE_PGM_RSRC2:TGID_X_EN: 1
; COMPUTE_PGM_RSRC2:TGID_Y_EN: 0
; COMPUTE_PGM_RSRC2:TGID_Z_EN: 0
; COMPUTE_PGM_RSRC2:TIDIG_COMP_CNT: 0
	.section	.text._ZN7rocprim17ROCPRIM_400000_NS6detail17trampoline_kernelINS0_14default_configENS1_25partition_config_selectorILNS1_17partition_subalgoE5ExNS0_10empty_typeEbEEZZNS1_14partition_implILS5_5ELb0ES3_mN6thrust23THRUST_200600_302600_NS6detail15normal_iteratorINSA_10device_ptrIxEEEEPS6_NSA_18transform_iteratorINSB_9not_fun_tINSA_8identityIxEEEESF_NSA_11use_defaultESM_EENS0_5tupleIJSF_S6_EEENSO_IJSG_SG_EEES6_PlJS6_EEE10hipError_tPvRmT3_T4_T5_T6_T7_T9_mT8_P12ihipStream_tbDpT10_ENKUlT_T0_E_clISt17integral_constantIbLb0EES1B_EEDaS16_S17_EUlS16_E_NS1_11comp_targetILNS1_3genE0ELNS1_11target_archE4294967295ELNS1_3gpuE0ELNS1_3repE0EEENS1_30default_config_static_selectorELNS0_4arch9wavefront6targetE0EEEvT1_,"axG",@progbits,_ZN7rocprim17ROCPRIM_400000_NS6detail17trampoline_kernelINS0_14default_configENS1_25partition_config_selectorILNS1_17partition_subalgoE5ExNS0_10empty_typeEbEEZZNS1_14partition_implILS5_5ELb0ES3_mN6thrust23THRUST_200600_302600_NS6detail15normal_iteratorINSA_10device_ptrIxEEEEPS6_NSA_18transform_iteratorINSB_9not_fun_tINSA_8identityIxEEEESF_NSA_11use_defaultESM_EENS0_5tupleIJSF_S6_EEENSO_IJSG_SG_EEES6_PlJS6_EEE10hipError_tPvRmT3_T4_T5_T6_T7_T9_mT8_P12ihipStream_tbDpT10_ENKUlT_T0_E_clISt17integral_constantIbLb0EES1B_EEDaS16_S17_EUlS16_E_NS1_11comp_targetILNS1_3genE0ELNS1_11target_archE4294967295ELNS1_3gpuE0ELNS1_3repE0EEENS1_30default_config_static_selectorELNS0_4arch9wavefront6targetE0EEEvT1_,comdat
	.protected	_ZN7rocprim17ROCPRIM_400000_NS6detail17trampoline_kernelINS0_14default_configENS1_25partition_config_selectorILNS1_17partition_subalgoE5ExNS0_10empty_typeEbEEZZNS1_14partition_implILS5_5ELb0ES3_mN6thrust23THRUST_200600_302600_NS6detail15normal_iteratorINSA_10device_ptrIxEEEEPS6_NSA_18transform_iteratorINSB_9not_fun_tINSA_8identityIxEEEESF_NSA_11use_defaultESM_EENS0_5tupleIJSF_S6_EEENSO_IJSG_SG_EEES6_PlJS6_EEE10hipError_tPvRmT3_T4_T5_T6_T7_T9_mT8_P12ihipStream_tbDpT10_ENKUlT_T0_E_clISt17integral_constantIbLb0EES1B_EEDaS16_S17_EUlS16_E_NS1_11comp_targetILNS1_3genE0ELNS1_11target_archE4294967295ELNS1_3gpuE0ELNS1_3repE0EEENS1_30default_config_static_selectorELNS0_4arch9wavefront6targetE0EEEvT1_ ; -- Begin function _ZN7rocprim17ROCPRIM_400000_NS6detail17trampoline_kernelINS0_14default_configENS1_25partition_config_selectorILNS1_17partition_subalgoE5ExNS0_10empty_typeEbEEZZNS1_14partition_implILS5_5ELb0ES3_mN6thrust23THRUST_200600_302600_NS6detail15normal_iteratorINSA_10device_ptrIxEEEEPS6_NSA_18transform_iteratorINSB_9not_fun_tINSA_8identityIxEEEESF_NSA_11use_defaultESM_EENS0_5tupleIJSF_S6_EEENSO_IJSG_SG_EEES6_PlJS6_EEE10hipError_tPvRmT3_T4_T5_T6_T7_T9_mT8_P12ihipStream_tbDpT10_ENKUlT_T0_E_clISt17integral_constantIbLb0EES1B_EEDaS16_S17_EUlS16_E_NS1_11comp_targetILNS1_3genE0ELNS1_11target_archE4294967295ELNS1_3gpuE0ELNS1_3repE0EEENS1_30default_config_static_selectorELNS0_4arch9wavefront6targetE0EEEvT1_
	.globl	_ZN7rocprim17ROCPRIM_400000_NS6detail17trampoline_kernelINS0_14default_configENS1_25partition_config_selectorILNS1_17partition_subalgoE5ExNS0_10empty_typeEbEEZZNS1_14partition_implILS5_5ELb0ES3_mN6thrust23THRUST_200600_302600_NS6detail15normal_iteratorINSA_10device_ptrIxEEEEPS6_NSA_18transform_iteratorINSB_9not_fun_tINSA_8identityIxEEEESF_NSA_11use_defaultESM_EENS0_5tupleIJSF_S6_EEENSO_IJSG_SG_EEES6_PlJS6_EEE10hipError_tPvRmT3_T4_T5_T6_T7_T9_mT8_P12ihipStream_tbDpT10_ENKUlT_T0_E_clISt17integral_constantIbLb0EES1B_EEDaS16_S17_EUlS16_E_NS1_11comp_targetILNS1_3genE0ELNS1_11target_archE4294967295ELNS1_3gpuE0ELNS1_3repE0EEENS1_30default_config_static_selectorELNS0_4arch9wavefront6targetE0EEEvT1_
	.p2align	8
	.type	_ZN7rocprim17ROCPRIM_400000_NS6detail17trampoline_kernelINS0_14default_configENS1_25partition_config_selectorILNS1_17partition_subalgoE5ExNS0_10empty_typeEbEEZZNS1_14partition_implILS5_5ELb0ES3_mN6thrust23THRUST_200600_302600_NS6detail15normal_iteratorINSA_10device_ptrIxEEEEPS6_NSA_18transform_iteratorINSB_9not_fun_tINSA_8identityIxEEEESF_NSA_11use_defaultESM_EENS0_5tupleIJSF_S6_EEENSO_IJSG_SG_EEES6_PlJS6_EEE10hipError_tPvRmT3_T4_T5_T6_T7_T9_mT8_P12ihipStream_tbDpT10_ENKUlT_T0_E_clISt17integral_constantIbLb0EES1B_EEDaS16_S17_EUlS16_E_NS1_11comp_targetILNS1_3genE0ELNS1_11target_archE4294967295ELNS1_3gpuE0ELNS1_3repE0EEENS1_30default_config_static_selectorELNS0_4arch9wavefront6targetE0EEEvT1_,@function
_ZN7rocprim17ROCPRIM_400000_NS6detail17trampoline_kernelINS0_14default_configENS1_25partition_config_selectorILNS1_17partition_subalgoE5ExNS0_10empty_typeEbEEZZNS1_14partition_implILS5_5ELb0ES3_mN6thrust23THRUST_200600_302600_NS6detail15normal_iteratorINSA_10device_ptrIxEEEEPS6_NSA_18transform_iteratorINSB_9not_fun_tINSA_8identityIxEEEESF_NSA_11use_defaultESM_EENS0_5tupleIJSF_S6_EEENSO_IJSG_SG_EEES6_PlJS6_EEE10hipError_tPvRmT3_T4_T5_T6_T7_T9_mT8_P12ihipStream_tbDpT10_ENKUlT_T0_E_clISt17integral_constantIbLb0EES1B_EEDaS16_S17_EUlS16_E_NS1_11comp_targetILNS1_3genE0ELNS1_11target_archE4294967295ELNS1_3gpuE0ELNS1_3repE0EEENS1_30default_config_static_selectorELNS0_4arch9wavefront6targetE0EEEvT1_: ; @_ZN7rocprim17ROCPRIM_400000_NS6detail17trampoline_kernelINS0_14default_configENS1_25partition_config_selectorILNS1_17partition_subalgoE5ExNS0_10empty_typeEbEEZZNS1_14partition_implILS5_5ELb0ES3_mN6thrust23THRUST_200600_302600_NS6detail15normal_iteratorINSA_10device_ptrIxEEEEPS6_NSA_18transform_iteratorINSB_9not_fun_tINSA_8identityIxEEEESF_NSA_11use_defaultESM_EENS0_5tupleIJSF_S6_EEENSO_IJSG_SG_EEES6_PlJS6_EEE10hipError_tPvRmT3_T4_T5_T6_T7_T9_mT8_P12ihipStream_tbDpT10_ENKUlT_T0_E_clISt17integral_constantIbLb0EES1B_EEDaS16_S17_EUlS16_E_NS1_11comp_targetILNS1_3genE0ELNS1_11target_archE4294967295ELNS1_3gpuE0ELNS1_3repE0EEENS1_30default_config_static_selectorELNS0_4arch9wavefront6targetE0EEEvT1_
; %bb.0:
	.section	.rodata,"a",@progbits
	.p2align	6, 0x0
	.amdhsa_kernel _ZN7rocprim17ROCPRIM_400000_NS6detail17trampoline_kernelINS0_14default_configENS1_25partition_config_selectorILNS1_17partition_subalgoE5ExNS0_10empty_typeEbEEZZNS1_14partition_implILS5_5ELb0ES3_mN6thrust23THRUST_200600_302600_NS6detail15normal_iteratorINSA_10device_ptrIxEEEEPS6_NSA_18transform_iteratorINSB_9not_fun_tINSA_8identityIxEEEESF_NSA_11use_defaultESM_EENS0_5tupleIJSF_S6_EEENSO_IJSG_SG_EEES6_PlJS6_EEE10hipError_tPvRmT3_T4_T5_T6_T7_T9_mT8_P12ihipStream_tbDpT10_ENKUlT_T0_E_clISt17integral_constantIbLb0EES1B_EEDaS16_S17_EUlS16_E_NS1_11comp_targetILNS1_3genE0ELNS1_11target_archE4294967295ELNS1_3gpuE0ELNS1_3repE0EEENS1_30default_config_static_selectorELNS0_4arch9wavefront6targetE0EEEvT1_
		.amdhsa_group_segment_fixed_size 0
		.amdhsa_private_segment_fixed_size 0
		.amdhsa_kernarg_size 120
		.amdhsa_user_sgpr_count 2
		.amdhsa_user_sgpr_dispatch_ptr 0
		.amdhsa_user_sgpr_queue_ptr 0
		.amdhsa_user_sgpr_kernarg_segment_ptr 1
		.amdhsa_user_sgpr_dispatch_id 0
		.amdhsa_user_sgpr_private_segment_size 0
		.amdhsa_wavefront_size32 1
		.amdhsa_uses_dynamic_stack 0
		.amdhsa_enable_private_segment 0
		.amdhsa_system_sgpr_workgroup_id_x 1
		.amdhsa_system_sgpr_workgroup_id_y 0
		.amdhsa_system_sgpr_workgroup_id_z 0
		.amdhsa_system_sgpr_workgroup_info 0
		.amdhsa_system_vgpr_workitem_id 0
		.amdhsa_next_free_vgpr 1
		.amdhsa_next_free_sgpr 1
		.amdhsa_reserve_vcc 0
		.amdhsa_float_round_mode_32 0
		.amdhsa_float_round_mode_16_64 0
		.amdhsa_float_denorm_mode_32 3
		.amdhsa_float_denorm_mode_16_64 3
		.amdhsa_fp16_overflow 0
		.amdhsa_workgroup_processor_mode 1
		.amdhsa_memory_ordered 1
		.amdhsa_forward_progress 1
		.amdhsa_inst_pref_size 0
		.amdhsa_round_robin_scheduling 0
		.amdhsa_exception_fp_ieee_invalid_op 0
		.amdhsa_exception_fp_denorm_src 0
		.amdhsa_exception_fp_ieee_div_zero 0
		.amdhsa_exception_fp_ieee_overflow 0
		.amdhsa_exception_fp_ieee_underflow 0
		.amdhsa_exception_fp_ieee_inexact 0
		.amdhsa_exception_int_div_zero 0
	.end_amdhsa_kernel
	.section	.text._ZN7rocprim17ROCPRIM_400000_NS6detail17trampoline_kernelINS0_14default_configENS1_25partition_config_selectorILNS1_17partition_subalgoE5ExNS0_10empty_typeEbEEZZNS1_14partition_implILS5_5ELb0ES3_mN6thrust23THRUST_200600_302600_NS6detail15normal_iteratorINSA_10device_ptrIxEEEEPS6_NSA_18transform_iteratorINSB_9not_fun_tINSA_8identityIxEEEESF_NSA_11use_defaultESM_EENS0_5tupleIJSF_S6_EEENSO_IJSG_SG_EEES6_PlJS6_EEE10hipError_tPvRmT3_T4_T5_T6_T7_T9_mT8_P12ihipStream_tbDpT10_ENKUlT_T0_E_clISt17integral_constantIbLb0EES1B_EEDaS16_S17_EUlS16_E_NS1_11comp_targetILNS1_3genE0ELNS1_11target_archE4294967295ELNS1_3gpuE0ELNS1_3repE0EEENS1_30default_config_static_selectorELNS0_4arch9wavefront6targetE0EEEvT1_,"axG",@progbits,_ZN7rocprim17ROCPRIM_400000_NS6detail17trampoline_kernelINS0_14default_configENS1_25partition_config_selectorILNS1_17partition_subalgoE5ExNS0_10empty_typeEbEEZZNS1_14partition_implILS5_5ELb0ES3_mN6thrust23THRUST_200600_302600_NS6detail15normal_iteratorINSA_10device_ptrIxEEEEPS6_NSA_18transform_iteratorINSB_9not_fun_tINSA_8identityIxEEEESF_NSA_11use_defaultESM_EENS0_5tupleIJSF_S6_EEENSO_IJSG_SG_EEES6_PlJS6_EEE10hipError_tPvRmT3_T4_T5_T6_T7_T9_mT8_P12ihipStream_tbDpT10_ENKUlT_T0_E_clISt17integral_constantIbLb0EES1B_EEDaS16_S17_EUlS16_E_NS1_11comp_targetILNS1_3genE0ELNS1_11target_archE4294967295ELNS1_3gpuE0ELNS1_3repE0EEENS1_30default_config_static_selectorELNS0_4arch9wavefront6targetE0EEEvT1_,comdat
.Lfunc_end949:
	.size	_ZN7rocprim17ROCPRIM_400000_NS6detail17trampoline_kernelINS0_14default_configENS1_25partition_config_selectorILNS1_17partition_subalgoE5ExNS0_10empty_typeEbEEZZNS1_14partition_implILS5_5ELb0ES3_mN6thrust23THRUST_200600_302600_NS6detail15normal_iteratorINSA_10device_ptrIxEEEEPS6_NSA_18transform_iteratorINSB_9not_fun_tINSA_8identityIxEEEESF_NSA_11use_defaultESM_EENS0_5tupleIJSF_S6_EEENSO_IJSG_SG_EEES6_PlJS6_EEE10hipError_tPvRmT3_T4_T5_T6_T7_T9_mT8_P12ihipStream_tbDpT10_ENKUlT_T0_E_clISt17integral_constantIbLb0EES1B_EEDaS16_S17_EUlS16_E_NS1_11comp_targetILNS1_3genE0ELNS1_11target_archE4294967295ELNS1_3gpuE0ELNS1_3repE0EEENS1_30default_config_static_selectorELNS0_4arch9wavefront6targetE0EEEvT1_, .Lfunc_end949-_ZN7rocprim17ROCPRIM_400000_NS6detail17trampoline_kernelINS0_14default_configENS1_25partition_config_selectorILNS1_17partition_subalgoE5ExNS0_10empty_typeEbEEZZNS1_14partition_implILS5_5ELb0ES3_mN6thrust23THRUST_200600_302600_NS6detail15normal_iteratorINSA_10device_ptrIxEEEEPS6_NSA_18transform_iteratorINSB_9not_fun_tINSA_8identityIxEEEESF_NSA_11use_defaultESM_EENS0_5tupleIJSF_S6_EEENSO_IJSG_SG_EEES6_PlJS6_EEE10hipError_tPvRmT3_T4_T5_T6_T7_T9_mT8_P12ihipStream_tbDpT10_ENKUlT_T0_E_clISt17integral_constantIbLb0EES1B_EEDaS16_S17_EUlS16_E_NS1_11comp_targetILNS1_3genE0ELNS1_11target_archE4294967295ELNS1_3gpuE0ELNS1_3repE0EEENS1_30default_config_static_selectorELNS0_4arch9wavefront6targetE0EEEvT1_
                                        ; -- End function
	.set _ZN7rocprim17ROCPRIM_400000_NS6detail17trampoline_kernelINS0_14default_configENS1_25partition_config_selectorILNS1_17partition_subalgoE5ExNS0_10empty_typeEbEEZZNS1_14partition_implILS5_5ELb0ES3_mN6thrust23THRUST_200600_302600_NS6detail15normal_iteratorINSA_10device_ptrIxEEEEPS6_NSA_18transform_iteratorINSB_9not_fun_tINSA_8identityIxEEEESF_NSA_11use_defaultESM_EENS0_5tupleIJSF_S6_EEENSO_IJSG_SG_EEES6_PlJS6_EEE10hipError_tPvRmT3_T4_T5_T6_T7_T9_mT8_P12ihipStream_tbDpT10_ENKUlT_T0_E_clISt17integral_constantIbLb0EES1B_EEDaS16_S17_EUlS16_E_NS1_11comp_targetILNS1_3genE0ELNS1_11target_archE4294967295ELNS1_3gpuE0ELNS1_3repE0EEENS1_30default_config_static_selectorELNS0_4arch9wavefront6targetE0EEEvT1_.num_vgpr, 0
	.set _ZN7rocprim17ROCPRIM_400000_NS6detail17trampoline_kernelINS0_14default_configENS1_25partition_config_selectorILNS1_17partition_subalgoE5ExNS0_10empty_typeEbEEZZNS1_14partition_implILS5_5ELb0ES3_mN6thrust23THRUST_200600_302600_NS6detail15normal_iteratorINSA_10device_ptrIxEEEEPS6_NSA_18transform_iteratorINSB_9not_fun_tINSA_8identityIxEEEESF_NSA_11use_defaultESM_EENS0_5tupleIJSF_S6_EEENSO_IJSG_SG_EEES6_PlJS6_EEE10hipError_tPvRmT3_T4_T5_T6_T7_T9_mT8_P12ihipStream_tbDpT10_ENKUlT_T0_E_clISt17integral_constantIbLb0EES1B_EEDaS16_S17_EUlS16_E_NS1_11comp_targetILNS1_3genE0ELNS1_11target_archE4294967295ELNS1_3gpuE0ELNS1_3repE0EEENS1_30default_config_static_selectorELNS0_4arch9wavefront6targetE0EEEvT1_.num_agpr, 0
	.set _ZN7rocprim17ROCPRIM_400000_NS6detail17trampoline_kernelINS0_14default_configENS1_25partition_config_selectorILNS1_17partition_subalgoE5ExNS0_10empty_typeEbEEZZNS1_14partition_implILS5_5ELb0ES3_mN6thrust23THRUST_200600_302600_NS6detail15normal_iteratorINSA_10device_ptrIxEEEEPS6_NSA_18transform_iteratorINSB_9not_fun_tINSA_8identityIxEEEESF_NSA_11use_defaultESM_EENS0_5tupleIJSF_S6_EEENSO_IJSG_SG_EEES6_PlJS6_EEE10hipError_tPvRmT3_T4_T5_T6_T7_T9_mT8_P12ihipStream_tbDpT10_ENKUlT_T0_E_clISt17integral_constantIbLb0EES1B_EEDaS16_S17_EUlS16_E_NS1_11comp_targetILNS1_3genE0ELNS1_11target_archE4294967295ELNS1_3gpuE0ELNS1_3repE0EEENS1_30default_config_static_selectorELNS0_4arch9wavefront6targetE0EEEvT1_.numbered_sgpr, 0
	.set _ZN7rocprim17ROCPRIM_400000_NS6detail17trampoline_kernelINS0_14default_configENS1_25partition_config_selectorILNS1_17partition_subalgoE5ExNS0_10empty_typeEbEEZZNS1_14partition_implILS5_5ELb0ES3_mN6thrust23THRUST_200600_302600_NS6detail15normal_iteratorINSA_10device_ptrIxEEEEPS6_NSA_18transform_iteratorINSB_9not_fun_tINSA_8identityIxEEEESF_NSA_11use_defaultESM_EENS0_5tupleIJSF_S6_EEENSO_IJSG_SG_EEES6_PlJS6_EEE10hipError_tPvRmT3_T4_T5_T6_T7_T9_mT8_P12ihipStream_tbDpT10_ENKUlT_T0_E_clISt17integral_constantIbLb0EES1B_EEDaS16_S17_EUlS16_E_NS1_11comp_targetILNS1_3genE0ELNS1_11target_archE4294967295ELNS1_3gpuE0ELNS1_3repE0EEENS1_30default_config_static_selectorELNS0_4arch9wavefront6targetE0EEEvT1_.num_named_barrier, 0
	.set _ZN7rocprim17ROCPRIM_400000_NS6detail17trampoline_kernelINS0_14default_configENS1_25partition_config_selectorILNS1_17partition_subalgoE5ExNS0_10empty_typeEbEEZZNS1_14partition_implILS5_5ELb0ES3_mN6thrust23THRUST_200600_302600_NS6detail15normal_iteratorINSA_10device_ptrIxEEEEPS6_NSA_18transform_iteratorINSB_9not_fun_tINSA_8identityIxEEEESF_NSA_11use_defaultESM_EENS0_5tupleIJSF_S6_EEENSO_IJSG_SG_EEES6_PlJS6_EEE10hipError_tPvRmT3_T4_T5_T6_T7_T9_mT8_P12ihipStream_tbDpT10_ENKUlT_T0_E_clISt17integral_constantIbLb0EES1B_EEDaS16_S17_EUlS16_E_NS1_11comp_targetILNS1_3genE0ELNS1_11target_archE4294967295ELNS1_3gpuE0ELNS1_3repE0EEENS1_30default_config_static_selectorELNS0_4arch9wavefront6targetE0EEEvT1_.private_seg_size, 0
	.set _ZN7rocprim17ROCPRIM_400000_NS6detail17trampoline_kernelINS0_14default_configENS1_25partition_config_selectorILNS1_17partition_subalgoE5ExNS0_10empty_typeEbEEZZNS1_14partition_implILS5_5ELb0ES3_mN6thrust23THRUST_200600_302600_NS6detail15normal_iteratorINSA_10device_ptrIxEEEEPS6_NSA_18transform_iteratorINSB_9not_fun_tINSA_8identityIxEEEESF_NSA_11use_defaultESM_EENS0_5tupleIJSF_S6_EEENSO_IJSG_SG_EEES6_PlJS6_EEE10hipError_tPvRmT3_T4_T5_T6_T7_T9_mT8_P12ihipStream_tbDpT10_ENKUlT_T0_E_clISt17integral_constantIbLb0EES1B_EEDaS16_S17_EUlS16_E_NS1_11comp_targetILNS1_3genE0ELNS1_11target_archE4294967295ELNS1_3gpuE0ELNS1_3repE0EEENS1_30default_config_static_selectorELNS0_4arch9wavefront6targetE0EEEvT1_.uses_vcc, 0
	.set _ZN7rocprim17ROCPRIM_400000_NS6detail17trampoline_kernelINS0_14default_configENS1_25partition_config_selectorILNS1_17partition_subalgoE5ExNS0_10empty_typeEbEEZZNS1_14partition_implILS5_5ELb0ES3_mN6thrust23THRUST_200600_302600_NS6detail15normal_iteratorINSA_10device_ptrIxEEEEPS6_NSA_18transform_iteratorINSB_9not_fun_tINSA_8identityIxEEEESF_NSA_11use_defaultESM_EENS0_5tupleIJSF_S6_EEENSO_IJSG_SG_EEES6_PlJS6_EEE10hipError_tPvRmT3_T4_T5_T6_T7_T9_mT8_P12ihipStream_tbDpT10_ENKUlT_T0_E_clISt17integral_constantIbLb0EES1B_EEDaS16_S17_EUlS16_E_NS1_11comp_targetILNS1_3genE0ELNS1_11target_archE4294967295ELNS1_3gpuE0ELNS1_3repE0EEENS1_30default_config_static_selectorELNS0_4arch9wavefront6targetE0EEEvT1_.uses_flat_scratch, 0
	.set _ZN7rocprim17ROCPRIM_400000_NS6detail17trampoline_kernelINS0_14default_configENS1_25partition_config_selectorILNS1_17partition_subalgoE5ExNS0_10empty_typeEbEEZZNS1_14partition_implILS5_5ELb0ES3_mN6thrust23THRUST_200600_302600_NS6detail15normal_iteratorINSA_10device_ptrIxEEEEPS6_NSA_18transform_iteratorINSB_9not_fun_tINSA_8identityIxEEEESF_NSA_11use_defaultESM_EENS0_5tupleIJSF_S6_EEENSO_IJSG_SG_EEES6_PlJS6_EEE10hipError_tPvRmT3_T4_T5_T6_T7_T9_mT8_P12ihipStream_tbDpT10_ENKUlT_T0_E_clISt17integral_constantIbLb0EES1B_EEDaS16_S17_EUlS16_E_NS1_11comp_targetILNS1_3genE0ELNS1_11target_archE4294967295ELNS1_3gpuE0ELNS1_3repE0EEENS1_30default_config_static_selectorELNS0_4arch9wavefront6targetE0EEEvT1_.has_dyn_sized_stack, 0
	.set _ZN7rocprim17ROCPRIM_400000_NS6detail17trampoline_kernelINS0_14default_configENS1_25partition_config_selectorILNS1_17partition_subalgoE5ExNS0_10empty_typeEbEEZZNS1_14partition_implILS5_5ELb0ES3_mN6thrust23THRUST_200600_302600_NS6detail15normal_iteratorINSA_10device_ptrIxEEEEPS6_NSA_18transform_iteratorINSB_9not_fun_tINSA_8identityIxEEEESF_NSA_11use_defaultESM_EENS0_5tupleIJSF_S6_EEENSO_IJSG_SG_EEES6_PlJS6_EEE10hipError_tPvRmT3_T4_T5_T6_T7_T9_mT8_P12ihipStream_tbDpT10_ENKUlT_T0_E_clISt17integral_constantIbLb0EES1B_EEDaS16_S17_EUlS16_E_NS1_11comp_targetILNS1_3genE0ELNS1_11target_archE4294967295ELNS1_3gpuE0ELNS1_3repE0EEENS1_30default_config_static_selectorELNS0_4arch9wavefront6targetE0EEEvT1_.has_recursion, 0
	.set _ZN7rocprim17ROCPRIM_400000_NS6detail17trampoline_kernelINS0_14default_configENS1_25partition_config_selectorILNS1_17partition_subalgoE5ExNS0_10empty_typeEbEEZZNS1_14partition_implILS5_5ELb0ES3_mN6thrust23THRUST_200600_302600_NS6detail15normal_iteratorINSA_10device_ptrIxEEEEPS6_NSA_18transform_iteratorINSB_9not_fun_tINSA_8identityIxEEEESF_NSA_11use_defaultESM_EENS0_5tupleIJSF_S6_EEENSO_IJSG_SG_EEES6_PlJS6_EEE10hipError_tPvRmT3_T4_T5_T6_T7_T9_mT8_P12ihipStream_tbDpT10_ENKUlT_T0_E_clISt17integral_constantIbLb0EES1B_EEDaS16_S17_EUlS16_E_NS1_11comp_targetILNS1_3genE0ELNS1_11target_archE4294967295ELNS1_3gpuE0ELNS1_3repE0EEENS1_30default_config_static_selectorELNS0_4arch9wavefront6targetE0EEEvT1_.has_indirect_call, 0
	.section	.AMDGPU.csdata,"",@progbits
; Kernel info:
; codeLenInByte = 0
; TotalNumSgprs: 0
; NumVgprs: 0
; ScratchSize: 0
; MemoryBound: 0
; FloatMode: 240
; IeeeMode: 1
; LDSByteSize: 0 bytes/workgroup (compile time only)
; SGPRBlocks: 0
; VGPRBlocks: 0
; NumSGPRsForWavesPerEU: 1
; NumVGPRsForWavesPerEU: 1
; Occupancy: 16
; WaveLimiterHint : 0
; COMPUTE_PGM_RSRC2:SCRATCH_EN: 0
; COMPUTE_PGM_RSRC2:USER_SGPR: 2
; COMPUTE_PGM_RSRC2:TRAP_HANDLER: 0
; COMPUTE_PGM_RSRC2:TGID_X_EN: 1
; COMPUTE_PGM_RSRC2:TGID_Y_EN: 0
; COMPUTE_PGM_RSRC2:TGID_Z_EN: 0
; COMPUTE_PGM_RSRC2:TIDIG_COMP_CNT: 0
	.section	.text._ZN7rocprim17ROCPRIM_400000_NS6detail17trampoline_kernelINS0_14default_configENS1_25partition_config_selectorILNS1_17partition_subalgoE5ExNS0_10empty_typeEbEEZZNS1_14partition_implILS5_5ELb0ES3_mN6thrust23THRUST_200600_302600_NS6detail15normal_iteratorINSA_10device_ptrIxEEEEPS6_NSA_18transform_iteratorINSB_9not_fun_tINSA_8identityIxEEEESF_NSA_11use_defaultESM_EENS0_5tupleIJSF_S6_EEENSO_IJSG_SG_EEES6_PlJS6_EEE10hipError_tPvRmT3_T4_T5_T6_T7_T9_mT8_P12ihipStream_tbDpT10_ENKUlT_T0_E_clISt17integral_constantIbLb0EES1B_EEDaS16_S17_EUlS16_E_NS1_11comp_targetILNS1_3genE5ELNS1_11target_archE942ELNS1_3gpuE9ELNS1_3repE0EEENS1_30default_config_static_selectorELNS0_4arch9wavefront6targetE0EEEvT1_,"axG",@progbits,_ZN7rocprim17ROCPRIM_400000_NS6detail17trampoline_kernelINS0_14default_configENS1_25partition_config_selectorILNS1_17partition_subalgoE5ExNS0_10empty_typeEbEEZZNS1_14partition_implILS5_5ELb0ES3_mN6thrust23THRUST_200600_302600_NS6detail15normal_iteratorINSA_10device_ptrIxEEEEPS6_NSA_18transform_iteratorINSB_9not_fun_tINSA_8identityIxEEEESF_NSA_11use_defaultESM_EENS0_5tupleIJSF_S6_EEENSO_IJSG_SG_EEES6_PlJS6_EEE10hipError_tPvRmT3_T4_T5_T6_T7_T9_mT8_P12ihipStream_tbDpT10_ENKUlT_T0_E_clISt17integral_constantIbLb0EES1B_EEDaS16_S17_EUlS16_E_NS1_11comp_targetILNS1_3genE5ELNS1_11target_archE942ELNS1_3gpuE9ELNS1_3repE0EEENS1_30default_config_static_selectorELNS0_4arch9wavefront6targetE0EEEvT1_,comdat
	.protected	_ZN7rocprim17ROCPRIM_400000_NS6detail17trampoline_kernelINS0_14default_configENS1_25partition_config_selectorILNS1_17partition_subalgoE5ExNS0_10empty_typeEbEEZZNS1_14partition_implILS5_5ELb0ES3_mN6thrust23THRUST_200600_302600_NS6detail15normal_iteratorINSA_10device_ptrIxEEEEPS6_NSA_18transform_iteratorINSB_9not_fun_tINSA_8identityIxEEEESF_NSA_11use_defaultESM_EENS0_5tupleIJSF_S6_EEENSO_IJSG_SG_EEES6_PlJS6_EEE10hipError_tPvRmT3_T4_T5_T6_T7_T9_mT8_P12ihipStream_tbDpT10_ENKUlT_T0_E_clISt17integral_constantIbLb0EES1B_EEDaS16_S17_EUlS16_E_NS1_11comp_targetILNS1_3genE5ELNS1_11target_archE942ELNS1_3gpuE9ELNS1_3repE0EEENS1_30default_config_static_selectorELNS0_4arch9wavefront6targetE0EEEvT1_ ; -- Begin function _ZN7rocprim17ROCPRIM_400000_NS6detail17trampoline_kernelINS0_14default_configENS1_25partition_config_selectorILNS1_17partition_subalgoE5ExNS0_10empty_typeEbEEZZNS1_14partition_implILS5_5ELb0ES3_mN6thrust23THRUST_200600_302600_NS6detail15normal_iteratorINSA_10device_ptrIxEEEEPS6_NSA_18transform_iteratorINSB_9not_fun_tINSA_8identityIxEEEESF_NSA_11use_defaultESM_EENS0_5tupleIJSF_S6_EEENSO_IJSG_SG_EEES6_PlJS6_EEE10hipError_tPvRmT3_T4_T5_T6_T7_T9_mT8_P12ihipStream_tbDpT10_ENKUlT_T0_E_clISt17integral_constantIbLb0EES1B_EEDaS16_S17_EUlS16_E_NS1_11comp_targetILNS1_3genE5ELNS1_11target_archE942ELNS1_3gpuE9ELNS1_3repE0EEENS1_30default_config_static_selectorELNS0_4arch9wavefront6targetE0EEEvT1_
	.globl	_ZN7rocprim17ROCPRIM_400000_NS6detail17trampoline_kernelINS0_14default_configENS1_25partition_config_selectorILNS1_17partition_subalgoE5ExNS0_10empty_typeEbEEZZNS1_14partition_implILS5_5ELb0ES3_mN6thrust23THRUST_200600_302600_NS6detail15normal_iteratorINSA_10device_ptrIxEEEEPS6_NSA_18transform_iteratorINSB_9not_fun_tINSA_8identityIxEEEESF_NSA_11use_defaultESM_EENS0_5tupleIJSF_S6_EEENSO_IJSG_SG_EEES6_PlJS6_EEE10hipError_tPvRmT3_T4_T5_T6_T7_T9_mT8_P12ihipStream_tbDpT10_ENKUlT_T0_E_clISt17integral_constantIbLb0EES1B_EEDaS16_S17_EUlS16_E_NS1_11comp_targetILNS1_3genE5ELNS1_11target_archE942ELNS1_3gpuE9ELNS1_3repE0EEENS1_30default_config_static_selectorELNS0_4arch9wavefront6targetE0EEEvT1_
	.p2align	8
	.type	_ZN7rocprim17ROCPRIM_400000_NS6detail17trampoline_kernelINS0_14default_configENS1_25partition_config_selectorILNS1_17partition_subalgoE5ExNS0_10empty_typeEbEEZZNS1_14partition_implILS5_5ELb0ES3_mN6thrust23THRUST_200600_302600_NS6detail15normal_iteratorINSA_10device_ptrIxEEEEPS6_NSA_18transform_iteratorINSB_9not_fun_tINSA_8identityIxEEEESF_NSA_11use_defaultESM_EENS0_5tupleIJSF_S6_EEENSO_IJSG_SG_EEES6_PlJS6_EEE10hipError_tPvRmT3_T4_T5_T6_T7_T9_mT8_P12ihipStream_tbDpT10_ENKUlT_T0_E_clISt17integral_constantIbLb0EES1B_EEDaS16_S17_EUlS16_E_NS1_11comp_targetILNS1_3genE5ELNS1_11target_archE942ELNS1_3gpuE9ELNS1_3repE0EEENS1_30default_config_static_selectorELNS0_4arch9wavefront6targetE0EEEvT1_,@function
_ZN7rocprim17ROCPRIM_400000_NS6detail17trampoline_kernelINS0_14default_configENS1_25partition_config_selectorILNS1_17partition_subalgoE5ExNS0_10empty_typeEbEEZZNS1_14partition_implILS5_5ELb0ES3_mN6thrust23THRUST_200600_302600_NS6detail15normal_iteratorINSA_10device_ptrIxEEEEPS6_NSA_18transform_iteratorINSB_9not_fun_tINSA_8identityIxEEEESF_NSA_11use_defaultESM_EENS0_5tupleIJSF_S6_EEENSO_IJSG_SG_EEES6_PlJS6_EEE10hipError_tPvRmT3_T4_T5_T6_T7_T9_mT8_P12ihipStream_tbDpT10_ENKUlT_T0_E_clISt17integral_constantIbLb0EES1B_EEDaS16_S17_EUlS16_E_NS1_11comp_targetILNS1_3genE5ELNS1_11target_archE942ELNS1_3gpuE9ELNS1_3repE0EEENS1_30default_config_static_selectorELNS0_4arch9wavefront6targetE0EEEvT1_: ; @_ZN7rocprim17ROCPRIM_400000_NS6detail17trampoline_kernelINS0_14default_configENS1_25partition_config_selectorILNS1_17partition_subalgoE5ExNS0_10empty_typeEbEEZZNS1_14partition_implILS5_5ELb0ES3_mN6thrust23THRUST_200600_302600_NS6detail15normal_iteratorINSA_10device_ptrIxEEEEPS6_NSA_18transform_iteratorINSB_9not_fun_tINSA_8identityIxEEEESF_NSA_11use_defaultESM_EENS0_5tupleIJSF_S6_EEENSO_IJSG_SG_EEES6_PlJS6_EEE10hipError_tPvRmT3_T4_T5_T6_T7_T9_mT8_P12ihipStream_tbDpT10_ENKUlT_T0_E_clISt17integral_constantIbLb0EES1B_EEDaS16_S17_EUlS16_E_NS1_11comp_targetILNS1_3genE5ELNS1_11target_archE942ELNS1_3gpuE9ELNS1_3repE0EEENS1_30default_config_static_selectorELNS0_4arch9wavefront6targetE0EEEvT1_
; %bb.0:
	.section	.rodata,"a",@progbits
	.p2align	6, 0x0
	.amdhsa_kernel _ZN7rocprim17ROCPRIM_400000_NS6detail17trampoline_kernelINS0_14default_configENS1_25partition_config_selectorILNS1_17partition_subalgoE5ExNS0_10empty_typeEbEEZZNS1_14partition_implILS5_5ELb0ES3_mN6thrust23THRUST_200600_302600_NS6detail15normal_iteratorINSA_10device_ptrIxEEEEPS6_NSA_18transform_iteratorINSB_9not_fun_tINSA_8identityIxEEEESF_NSA_11use_defaultESM_EENS0_5tupleIJSF_S6_EEENSO_IJSG_SG_EEES6_PlJS6_EEE10hipError_tPvRmT3_T4_T5_T6_T7_T9_mT8_P12ihipStream_tbDpT10_ENKUlT_T0_E_clISt17integral_constantIbLb0EES1B_EEDaS16_S17_EUlS16_E_NS1_11comp_targetILNS1_3genE5ELNS1_11target_archE942ELNS1_3gpuE9ELNS1_3repE0EEENS1_30default_config_static_selectorELNS0_4arch9wavefront6targetE0EEEvT1_
		.amdhsa_group_segment_fixed_size 0
		.amdhsa_private_segment_fixed_size 0
		.amdhsa_kernarg_size 120
		.amdhsa_user_sgpr_count 2
		.amdhsa_user_sgpr_dispatch_ptr 0
		.amdhsa_user_sgpr_queue_ptr 0
		.amdhsa_user_sgpr_kernarg_segment_ptr 1
		.amdhsa_user_sgpr_dispatch_id 0
		.amdhsa_user_sgpr_private_segment_size 0
		.amdhsa_wavefront_size32 1
		.amdhsa_uses_dynamic_stack 0
		.amdhsa_enable_private_segment 0
		.amdhsa_system_sgpr_workgroup_id_x 1
		.amdhsa_system_sgpr_workgroup_id_y 0
		.amdhsa_system_sgpr_workgroup_id_z 0
		.amdhsa_system_sgpr_workgroup_info 0
		.amdhsa_system_vgpr_workitem_id 0
		.amdhsa_next_free_vgpr 1
		.amdhsa_next_free_sgpr 1
		.amdhsa_reserve_vcc 0
		.amdhsa_float_round_mode_32 0
		.amdhsa_float_round_mode_16_64 0
		.amdhsa_float_denorm_mode_32 3
		.amdhsa_float_denorm_mode_16_64 3
		.amdhsa_fp16_overflow 0
		.amdhsa_workgroup_processor_mode 1
		.amdhsa_memory_ordered 1
		.amdhsa_forward_progress 1
		.amdhsa_inst_pref_size 0
		.amdhsa_round_robin_scheduling 0
		.amdhsa_exception_fp_ieee_invalid_op 0
		.amdhsa_exception_fp_denorm_src 0
		.amdhsa_exception_fp_ieee_div_zero 0
		.amdhsa_exception_fp_ieee_overflow 0
		.amdhsa_exception_fp_ieee_underflow 0
		.amdhsa_exception_fp_ieee_inexact 0
		.amdhsa_exception_int_div_zero 0
	.end_amdhsa_kernel
	.section	.text._ZN7rocprim17ROCPRIM_400000_NS6detail17trampoline_kernelINS0_14default_configENS1_25partition_config_selectorILNS1_17partition_subalgoE5ExNS0_10empty_typeEbEEZZNS1_14partition_implILS5_5ELb0ES3_mN6thrust23THRUST_200600_302600_NS6detail15normal_iteratorINSA_10device_ptrIxEEEEPS6_NSA_18transform_iteratorINSB_9not_fun_tINSA_8identityIxEEEESF_NSA_11use_defaultESM_EENS0_5tupleIJSF_S6_EEENSO_IJSG_SG_EEES6_PlJS6_EEE10hipError_tPvRmT3_T4_T5_T6_T7_T9_mT8_P12ihipStream_tbDpT10_ENKUlT_T0_E_clISt17integral_constantIbLb0EES1B_EEDaS16_S17_EUlS16_E_NS1_11comp_targetILNS1_3genE5ELNS1_11target_archE942ELNS1_3gpuE9ELNS1_3repE0EEENS1_30default_config_static_selectorELNS0_4arch9wavefront6targetE0EEEvT1_,"axG",@progbits,_ZN7rocprim17ROCPRIM_400000_NS6detail17trampoline_kernelINS0_14default_configENS1_25partition_config_selectorILNS1_17partition_subalgoE5ExNS0_10empty_typeEbEEZZNS1_14partition_implILS5_5ELb0ES3_mN6thrust23THRUST_200600_302600_NS6detail15normal_iteratorINSA_10device_ptrIxEEEEPS6_NSA_18transform_iteratorINSB_9not_fun_tINSA_8identityIxEEEESF_NSA_11use_defaultESM_EENS0_5tupleIJSF_S6_EEENSO_IJSG_SG_EEES6_PlJS6_EEE10hipError_tPvRmT3_T4_T5_T6_T7_T9_mT8_P12ihipStream_tbDpT10_ENKUlT_T0_E_clISt17integral_constantIbLb0EES1B_EEDaS16_S17_EUlS16_E_NS1_11comp_targetILNS1_3genE5ELNS1_11target_archE942ELNS1_3gpuE9ELNS1_3repE0EEENS1_30default_config_static_selectorELNS0_4arch9wavefront6targetE0EEEvT1_,comdat
.Lfunc_end950:
	.size	_ZN7rocprim17ROCPRIM_400000_NS6detail17trampoline_kernelINS0_14default_configENS1_25partition_config_selectorILNS1_17partition_subalgoE5ExNS0_10empty_typeEbEEZZNS1_14partition_implILS5_5ELb0ES3_mN6thrust23THRUST_200600_302600_NS6detail15normal_iteratorINSA_10device_ptrIxEEEEPS6_NSA_18transform_iteratorINSB_9not_fun_tINSA_8identityIxEEEESF_NSA_11use_defaultESM_EENS0_5tupleIJSF_S6_EEENSO_IJSG_SG_EEES6_PlJS6_EEE10hipError_tPvRmT3_T4_T5_T6_T7_T9_mT8_P12ihipStream_tbDpT10_ENKUlT_T0_E_clISt17integral_constantIbLb0EES1B_EEDaS16_S17_EUlS16_E_NS1_11comp_targetILNS1_3genE5ELNS1_11target_archE942ELNS1_3gpuE9ELNS1_3repE0EEENS1_30default_config_static_selectorELNS0_4arch9wavefront6targetE0EEEvT1_, .Lfunc_end950-_ZN7rocprim17ROCPRIM_400000_NS6detail17trampoline_kernelINS0_14default_configENS1_25partition_config_selectorILNS1_17partition_subalgoE5ExNS0_10empty_typeEbEEZZNS1_14partition_implILS5_5ELb0ES3_mN6thrust23THRUST_200600_302600_NS6detail15normal_iteratorINSA_10device_ptrIxEEEEPS6_NSA_18transform_iteratorINSB_9not_fun_tINSA_8identityIxEEEESF_NSA_11use_defaultESM_EENS0_5tupleIJSF_S6_EEENSO_IJSG_SG_EEES6_PlJS6_EEE10hipError_tPvRmT3_T4_T5_T6_T7_T9_mT8_P12ihipStream_tbDpT10_ENKUlT_T0_E_clISt17integral_constantIbLb0EES1B_EEDaS16_S17_EUlS16_E_NS1_11comp_targetILNS1_3genE5ELNS1_11target_archE942ELNS1_3gpuE9ELNS1_3repE0EEENS1_30default_config_static_selectorELNS0_4arch9wavefront6targetE0EEEvT1_
                                        ; -- End function
	.set _ZN7rocprim17ROCPRIM_400000_NS6detail17trampoline_kernelINS0_14default_configENS1_25partition_config_selectorILNS1_17partition_subalgoE5ExNS0_10empty_typeEbEEZZNS1_14partition_implILS5_5ELb0ES3_mN6thrust23THRUST_200600_302600_NS6detail15normal_iteratorINSA_10device_ptrIxEEEEPS6_NSA_18transform_iteratorINSB_9not_fun_tINSA_8identityIxEEEESF_NSA_11use_defaultESM_EENS0_5tupleIJSF_S6_EEENSO_IJSG_SG_EEES6_PlJS6_EEE10hipError_tPvRmT3_T4_T5_T6_T7_T9_mT8_P12ihipStream_tbDpT10_ENKUlT_T0_E_clISt17integral_constantIbLb0EES1B_EEDaS16_S17_EUlS16_E_NS1_11comp_targetILNS1_3genE5ELNS1_11target_archE942ELNS1_3gpuE9ELNS1_3repE0EEENS1_30default_config_static_selectorELNS0_4arch9wavefront6targetE0EEEvT1_.num_vgpr, 0
	.set _ZN7rocprim17ROCPRIM_400000_NS6detail17trampoline_kernelINS0_14default_configENS1_25partition_config_selectorILNS1_17partition_subalgoE5ExNS0_10empty_typeEbEEZZNS1_14partition_implILS5_5ELb0ES3_mN6thrust23THRUST_200600_302600_NS6detail15normal_iteratorINSA_10device_ptrIxEEEEPS6_NSA_18transform_iteratorINSB_9not_fun_tINSA_8identityIxEEEESF_NSA_11use_defaultESM_EENS0_5tupleIJSF_S6_EEENSO_IJSG_SG_EEES6_PlJS6_EEE10hipError_tPvRmT3_T4_T5_T6_T7_T9_mT8_P12ihipStream_tbDpT10_ENKUlT_T0_E_clISt17integral_constantIbLb0EES1B_EEDaS16_S17_EUlS16_E_NS1_11comp_targetILNS1_3genE5ELNS1_11target_archE942ELNS1_3gpuE9ELNS1_3repE0EEENS1_30default_config_static_selectorELNS0_4arch9wavefront6targetE0EEEvT1_.num_agpr, 0
	.set _ZN7rocprim17ROCPRIM_400000_NS6detail17trampoline_kernelINS0_14default_configENS1_25partition_config_selectorILNS1_17partition_subalgoE5ExNS0_10empty_typeEbEEZZNS1_14partition_implILS5_5ELb0ES3_mN6thrust23THRUST_200600_302600_NS6detail15normal_iteratorINSA_10device_ptrIxEEEEPS6_NSA_18transform_iteratorINSB_9not_fun_tINSA_8identityIxEEEESF_NSA_11use_defaultESM_EENS0_5tupleIJSF_S6_EEENSO_IJSG_SG_EEES6_PlJS6_EEE10hipError_tPvRmT3_T4_T5_T6_T7_T9_mT8_P12ihipStream_tbDpT10_ENKUlT_T0_E_clISt17integral_constantIbLb0EES1B_EEDaS16_S17_EUlS16_E_NS1_11comp_targetILNS1_3genE5ELNS1_11target_archE942ELNS1_3gpuE9ELNS1_3repE0EEENS1_30default_config_static_selectorELNS0_4arch9wavefront6targetE0EEEvT1_.numbered_sgpr, 0
	.set _ZN7rocprim17ROCPRIM_400000_NS6detail17trampoline_kernelINS0_14default_configENS1_25partition_config_selectorILNS1_17partition_subalgoE5ExNS0_10empty_typeEbEEZZNS1_14partition_implILS5_5ELb0ES3_mN6thrust23THRUST_200600_302600_NS6detail15normal_iteratorINSA_10device_ptrIxEEEEPS6_NSA_18transform_iteratorINSB_9not_fun_tINSA_8identityIxEEEESF_NSA_11use_defaultESM_EENS0_5tupleIJSF_S6_EEENSO_IJSG_SG_EEES6_PlJS6_EEE10hipError_tPvRmT3_T4_T5_T6_T7_T9_mT8_P12ihipStream_tbDpT10_ENKUlT_T0_E_clISt17integral_constantIbLb0EES1B_EEDaS16_S17_EUlS16_E_NS1_11comp_targetILNS1_3genE5ELNS1_11target_archE942ELNS1_3gpuE9ELNS1_3repE0EEENS1_30default_config_static_selectorELNS0_4arch9wavefront6targetE0EEEvT1_.num_named_barrier, 0
	.set _ZN7rocprim17ROCPRIM_400000_NS6detail17trampoline_kernelINS0_14default_configENS1_25partition_config_selectorILNS1_17partition_subalgoE5ExNS0_10empty_typeEbEEZZNS1_14partition_implILS5_5ELb0ES3_mN6thrust23THRUST_200600_302600_NS6detail15normal_iteratorINSA_10device_ptrIxEEEEPS6_NSA_18transform_iteratorINSB_9not_fun_tINSA_8identityIxEEEESF_NSA_11use_defaultESM_EENS0_5tupleIJSF_S6_EEENSO_IJSG_SG_EEES6_PlJS6_EEE10hipError_tPvRmT3_T4_T5_T6_T7_T9_mT8_P12ihipStream_tbDpT10_ENKUlT_T0_E_clISt17integral_constantIbLb0EES1B_EEDaS16_S17_EUlS16_E_NS1_11comp_targetILNS1_3genE5ELNS1_11target_archE942ELNS1_3gpuE9ELNS1_3repE0EEENS1_30default_config_static_selectorELNS0_4arch9wavefront6targetE0EEEvT1_.private_seg_size, 0
	.set _ZN7rocprim17ROCPRIM_400000_NS6detail17trampoline_kernelINS0_14default_configENS1_25partition_config_selectorILNS1_17partition_subalgoE5ExNS0_10empty_typeEbEEZZNS1_14partition_implILS5_5ELb0ES3_mN6thrust23THRUST_200600_302600_NS6detail15normal_iteratorINSA_10device_ptrIxEEEEPS6_NSA_18transform_iteratorINSB_9not_fun_tINSA_8identityIxEEEESF_NSA_11use_defaultESM_EENS0_5tupleIJSF_S6_EEENSO_IJSG_SG_EEES6_PlJS6_EEE10hipError_tPvRmT3_T4_T5_T6_T7_T9_mT8_P12ihipStream_tbDpT10_ENKUlT_T0_E_clISt17integral_constantIbLb0EES1B_EEDaS16_S17_EUlS16_E_NS1_11comp_targetILNS1_3genE5ELNS1_11target_archE942ELNS1_3gpuE9ELNS1_3repE0EEENS1_30default_config_static_selectorELNS0_4arch9wavefront6targetE0EEEvT1_.uses_vcc, 0
	.set _ZN7rocprim17ROCPRIM_400000_NS6detail17trampoline_kernelINS0_14default_configENS1_25partition_config_selectorILNS1_17partition_subalgoE5ExNS0_10empty_typeEbEEZZNS1_14partition_implILS5_5ELb0ES3_mN6thrust23THRUST_200600_302600_NS6detail15normal_iteratorINSA_10device_ptrIxEEEEPS6_NSA_18transform_iteratorINSB_9not_fun_tINSA_8identityIxEEEESF_NSA_11use_defaultESM_EENS0_5tupleIJSF_S6_EEENSO_IJSG_SG_EEES6_PlJS6_EEE10hipError_tPvRmT3_T4_T5_T6_T7_T9_mT8_P12ihipStream_tbDpT10_ENKUlT_T0_E_clISt17integral_constantIbLb0EES1B_EEDaS16_S17_EUlS16_E_NS1_11comp_targetILNS1_3genE5ELNS1_11target_archE942ELNS1_3gpuE9ELNS1_3repE0EEENS1_30default_config_static_selectorELNS0_4arch9wavefront6targetE0EEEvT1_.uses_flat_scratch, 0
	.set _ZN7rocprim17ROCPRIM_400000_NS6detail17trampoline_kernelINS0_14default_configENS1_25partition_config_selectorILNS1_17partition_subalgoE5ExNS0_10empty_typeEbEEZZNS1_14partition_implILS5_5ELb0ES3_mN6thrust23THRUST_200600_302600_NS6detail15normal_iteratorINSA_10device_ptrIxEEEEPS6_NSA_18transform_iteratorINSB_9not_fun_tINSA_8identityIxEEEESF_NSA_11use_defaultESM_EENS0_5tupleIJSF_S6_EEENSO_IJSG_SG_EEES6_PlJS6_EEE10hipError_tPvRmT3_T4_T5_T6_T7_T9_mT8_P12ihipStream_tbDpT10_ENKUlT_T0_E_clISt17integral_constantIbLb0EES1B_EEDaS16_S17_EUlS16_E_NS1_11comp_targetILNS1_3genE5ELNS1_11target_archE942ELNS1_3gpuE9ELNS1_3repE0EEENS1_30default_config_static_selectorELNS0_4arch9wavefront6targetE0EEEvT1_.has_dyn_sized_stack, 0
	.set _ZN7rocprim17ROCPRIM_400000_NS6detail17trampoline_kernelINS0_14default_configENS1_25partition_config_selectorILNS1_17partition_subalgoE5ExNS0_10empty_typeEbEEZZNS1_14partition_implILS5_5ELb0ES3_mN6thrust23THRUST_200600_302600_NS6detail15normal_iteratorINSA_10device_ptrIxEEEEPS6_NSA_18transform_iteratorINSB_9not_fun_tINSA_8identityIxEEEESF_NSA_11use_defaultESM_EENS0_5tupleIJSF_S6_EEENSO_IJSG_SG_EEES6_PlJS6_EEE10hipError_tPvRmT3_T4_T5_T6_T7_T9_mT8_P12ihipStream_tbDpT10_ENKUlT_T0_E_clISt17integral_constantIbLb0EES1B_EEDaS16_S17_EUlS16_E_NS1_11comp_targetILNS1_3genE5ELNS1_11target_archE942ELNS1_3gpuE9ELNS1_3repE0EEENS1_30default_config_static_selectorELNS0_4arch9wavefront6targetE0EEEvT1_.has_recursion, 0
	.set _ZN7rocprim17ROCPRIM_400000_NS6detail17trampoline_kernelINS0_14default_configENS1_25partition_config_selectorILNS1_17partition_subalgoE5ExNS0_10empty_typeEbEEZZNS1_14partition_implILS5_5ELb0ES3_mN6thrust23THRUST_200600_302600_NS6detail15normal_iteratorINSA_10device_ptrIxEEEEPS6_NSA_18transform_iteratorINSB_9not_fun_tINSA_8identityIxEEEESF_NSA_11use_defaultESM_EENS0_5tupleIJSF_S6_EEENSO_IJSG_SG_EEES6_PlJS6_EEE10hipError_tPvRmT3_T4_T5_T6_T7_T9_mT8_P12ihipStream_tbDpT10_ENKUlT_T0_E_clISt17integral_constantIbLb0EES1B_EEDaS16_S17_EUlS16_E_NS1_11comp_targetILNS1_3genE5ELNS1_11target_archE942ELNS1_3gpuE9ELNS1_3repE0EEENS1_30default_config_static_selectorELNS0_4arch9wavefront6targetE0EEEvT1_.has_indirect_call, 0
	.section	.AMDGPU.csdata,"",@progbits
; Kernel info:
; codeLenInByte = 0
; TotalNumSgprs: 0
; NumVgprs: 0
; ScratchSize: 0
; MemoryBound: 0
; FloatMode: 240
; IeeeMode: 1
; LDSByteSize: 0 bytes/workgroup (compile time only)
; SGPRBlocks: 0
; VGPRBlocks: 0
; NumSGPRsForWavesPerEU: 1
; NumVGPRsForWavesPerEU: 1
; Occupancy: 16
; WaveLimiterHint : 0
; COMPUTE_PGM_RSRC2:SCRATCH_EN: 0
; COMPUTE_PGM_RSRC2:USER_SGPR: 2
; COMPUTE_PGM_RSRC2:TRAP_HANDLER: 0
; COMPUTE_PGM_RSRC2:TGID_X_EN: 1
; COMPUTE_PGM_RSRC2:TGID_Y_EN: 0
; COMPUTE_PGM_RSRC2:TGID_Z_EN: 0
; COMPUTE_PGM_RSRC2:TIDIG_COMP_CNT: 0
	.section	.text._ZN7rocprim17ROCPRIM_400000_NS6detail17trampoline_kernelINS0_14default_configENS1_25partition_config_selectorILNS1_17partition_subalgoE5ExNS0_10empty_typeEbEEZZNS1_14partition_implILS5_5ELb0ES3_mN6thrust23THRUST_200600_302600_NS6detail15normal_iteratorINSA_10device_ptrIxEEEEPS6_NSA_18transform_iteratorINSB_9not_fun_tINSA_8identityIxEEEESF_NSA_11use_defaultESM_EENS0_5tupleIJSF_S6_EEENSO_IJSG_SG_EEES6_PlJS6_EEE10hipError_tPvRmT3_T4_T5_T6_T7_T9_mT8_P12ihipStream_tbDpT10_ENKUlT_T0_E_clISt17integral_constantIbLb0EES1B_EEDaS16_S17_EUlS16_E_NS1_11comp_targetILNS1_3genE4ELNS1_11target_archE910ELNS1_3gpuE8ELNS1_3repE0EEENS1_30default_config_static_selectorELNS0_4arch9wavefront6targetE0EEEvT1_,"axG",@progbits,_ZN7rocprim17ROCPRIM_400000_NS6detail17trampoline_kernelINS0_14default_configENS1_25partition_config_selectorILNS1_17partition_subalgoE5ExNS0_10empty_typeEbEEZZNS1_14partition_implILS5_5ELb0ES3_mN6thrust23THRUST_200600_302600_NS6detail15normal_iteratorINSA_10device_ptrIxEEEEPS6_NSA_18transform_iteratorINSB_9not_fun_tINSA_8identityIxEEEESF_NSA_11use_defaultESM_EENS0_5tupleIJSF_S6_EEENSO_IJSG_SG_EEES6_PlJS6_EEE10hipError_tPvRmT3_T4_T5_T6_T7_T9_mT8_P12ihipStream_tbDpT10_ENKUlT_T0_E_clISt17integral_constantIbLb0EES1B_EEDaS16_S17_EUlS16_E_NS1_11comp_targetILNS1_3genE4ELNS1_11target_archE910ELNS1_3gpuE8ELNS1_3repE0EEENS1_30default_config_static_selectorELNS0_4arch9wavefront6targetE0EEEvT1_,comdat
	.protected	_ZN7rocprim17ROCPRIM_400000_NS6detail17trampoline_kernelINS0_14default_configENS1_25partition_config_selectorILNS1_17partition_subalgoE5ExNS0_10empty_typeEbEEZZNS1_14partition_implILS5_5ELb0ES3_mN6thrust23THRUST_200600_302600_NS6detail15normal_iteratorINSA_10device_ptrIxEEEEPS6_NSA_18transform_iteratorINSB_9not_fun_tINSA_8identityIxEEEESF_NSA_11use_defaultESM_EENS0_5tupleIJSF_S6_EEENSO_IJSG_SG_EEES6_PlJS6_EEE10hipError_tPvRmT3_T4_T5_T6_T7_T9_mT8_P12ihipStream_tbDpT10_ENKUlT_T0_E_clISt17integral_constantIbLb0EES1B_EEDaS16_S17_EUlS16_E_NS1_11comp_targetILNS1_3genE4ELNS1_11target_archE910ELNS1_3gpuE8ELNS1_3repE0EEENS1_30default_config_static_selectorELNS0_4arch9wavefront6targetE0EEEvT1_ ; -- Begin function _ZN7rocprim17ROCPRIM_400000_NS6detail17trampoline_kernelINS0_14default_configENS1_25partition_config_selectorILNS1_17partition_subalgoE5ExNS0_10empty_typeEbEEZZNS1_14partition_implILS5_5ELb0ES3_mN6thrust23THRUST_200600_302600_NS6detail15normal_iteratorINSA_10device_ptrIxEEEEPS6_NSA_18transform_iteratorINSB_9not_fun_tINSA_8identityIxEEEESF_NSA_11use_defaultESM_EENS0_5tupleIJSF_S6_EEENSO_IJSG_SG_EEES6_PlJS6_EEE10hipError_tPvRmT3_T4_T5_T6_T7_T9_mT8_P12ihipStream_tbDpT10_ENKUlT_T0_E_clISt17integral_constantIbLb0EES1B_EEDaS16_S17_EUlS16_E_NS1_11comp_targetILNS1_3genE4ELNS1_11target_archE910ELNS1_3gpuE8ELNS1_3repE0EEENS1_30default_config_static_selectorELNS0_4arch9wavefront6targetE0EEEvT1_
	.globl	_ZN7rocprim17ROCPRIM_400000_NS6detail17trampoline_kernelINS0_14default_configENS1_25partition_config_selectorILNS1_17partition_subalgoE5ExNS0_10empty_typeEbEEZZNS1_14partition_implILS5_5ELb0ES3_mN6thrust23THRUST_200600_302600_NS6detail15normal_iteratorINSA_10device_ptrIxEEEEPS6_NSA_18transform_iteratorINSB_9not_fun_tINSA_8identityIxEEEESF_NSA_11use_defaultESM_EENS0_5tupleIJSF_S6_EEENSO_IJSG_SG_EEES6_PlJS6_EEE10hipError_tPvRmT3_T4_T5_T6_T7_T9_mT8_P12ihipStream_tbDpT10_ENKUlT_T0_E_clISt17integral_constantIbLb0EES1B_EEDaS16_S17_EUlS16_E_NS1_11comp_targetILNS1_3genE4ELNS1_11target_archE910ELNS1_3gpuE8ELNS1_3repE0EEENS1_30default_config_static_selectorELNS0_4arch9wavefront6targetE0EEEvT1_
	.p2align	8
	.type	_ZN7rocprim17ROCPRIM_400000_NS6detail17trampoline_kernelINS0_14default_configENS1_25partition_config_selectorILNS1_17partition_subalgoE5ExNS0_10empty_typeEbEEZZNS1_14partition_implILS5_5ELb0ES3_mN6thrust23THRUST_200600_302600_NS6detail15normal_iteratorINSA_10device_ptrIxEEEEPS6_NSA_18transform_iteratorINSB_9not_fun_tINSA_8identityIxEEEESF_NSA_11use_defaultESM_EENS0_5tupleIJSF_S6_EEENSO_IJSG_SG_EEES6_PlJS6_EEE10hipError_tPvRmT3_T4_T5_T6_T7_T9_mT8_P12ihipStream_tbDpT10_ENKUlT_T0_E_clISt17integral_constantIbLb0EES1B_EEDaS16_S17_EUlS16_E_NS1_11comp_targetILNS1_3genE4ELNS1_11target_archE910ELNS1_3gpuE8ELNS1_3repE0EEENS1_30default_config_static_selectorELNS0_4arch9wavefront6targetE0EEEvT1_,@function
_ZN7rocprim17ROCPRIM_400000_NS6detail17trampoline_kernelINS0_14default_configENS1_25partition_config_selectorILNS1_17partition_subalgoE5ExNS0_10empty_typeEbEEZZNS1_14partition_implILS5_5ELb0ES3_mN6thrust23THRUST_200600_302600_NS6detail15normal_iteratorINSA_10device_ptrIxEEEEPS6_NSA_18transform_iteratorINSB_9not_fun_tINSA_8identityIxEEEESF_NSA_11use_defaultESM_EENS0_5tupleIJSF_S6_EEENSO_IJSG_SG_EEES6_PlJS6_EEE10hipError_tPvRmT3_T4_T5_T6_T7_T9_mT8_P12ihipStream_tbDpT10_ENKUlT_T0_E_clISt17integral_constantIbLb0EES1B_EEDaS16_S17_EUlS16_E_NS1_11comp_targetILNS1_3genE4ELNS1_11target_archE910ELNS1_3gpuE8ELNS1_3repE0EEENS1_30default_config_static_selectorELNS0_4arch9wavefront6targetE0EEEvT1_: ; @_ZN7rocprim17ROCPRIM_400000_NS6detail17trampoline_kernelINS0_14default_configENS1_25partition_config_selectorILNS1_17partition_subalgoE5ExNS0_10empty_typeEbEEZZNS1_14partition_implILS5_5ELb0ES3_mN6thrust23THRUST_200600_302600_NS6detail15normal_iteratorINSA_10device_ptrIxEEEEPS6_NSA_18transform_iteratorINSB_9not_fun_tINSA_8identityIxEEEESF_NSA_11use_defaultESM_EENS0_5tupleIJSF_S6_EEENSO_IJSG_SG_EEES6_PlJS6_EEE10hipError_tPvRmT3_T4_T5_T6_T7_T9_mT8_P12ihipStream_tbDpT10_ENKUlT_T0_E_clISt17integral_constantIbLb0EES1B_EEDaS16_S17_EUlS16_E_NS1_11comp_targetILNS1_3genE4ELNS1_11target_archE910ELNS1_3gpuE8ELNS1_3repE0EEENS1_30default_config_static_selectorELNS0_4arch9wavefront6targetE0EEEvT1_
; %bb.0:
	.section	.rodata,"a",@progbits
	.p2align	6, 0x0
	.amdhsa_kernel _ZN7rocprim17ROCPRIM_400000_NS6detail17trampoline_kernelINS0_14default_configENS1_25partition_config_selectorILNS1_17partition_subalgoE5ExNS0_10empty_typeEbEEZZNS1_14partition_implILS5_5ELb0ES3_mN6thrust23THRUST_200600_302600_NS6detail15normal_iteratorINSA_10device_ptrIxEEEEPS6_NSA_18transform_iteratorINSB_9not_fun_tINSA_8identityIxEEEESF_NSA_11use_defaultESM_EENS0_5tupleIJSF_S6_EEENSO_IJSG_SG_EEES6_PlJS6_EEE10hipError_tPvRmT3_T4_T5_T6_T7_T9_mT8_P12ihipStream_tbDpT10_ENKUlT_T0_E_clISt17integral_constantIbLb0EES1B_EEDaS16_S17_EUlS16_E_NS1_11comp_targetILNS1_3genE4ELNS1_11target_archE910ELNS1_3gpuE8ELNS1_3repE0EEENS1_30default_config_static_selectorELNS0_4arch9wavefront6targetE0EEEvT1_
		.amdhsa_group_segment_fixed_size 0
		.amdhsa_private_segment_fixed_size 0
		.amdhsa_kernarg_size 120
		.amdhsa_user_sgpr_count 2
		.amdhsa_user_sgpr_dispatch_ptr 0
		.amdhsa_user_sgpr_queue_ptr 0
		.amdhsa_user_sgpr_kernarg_segment_ptr 1
		.amdhsa_user_sgpr_dispatch_id 0
		.amdhsa_user_sgpr_private_segment_size 0
		.amdhsa_wavefront_size32 1
		.amdhsa_uses_dynamic_stack 0
		.amdhsa_enable_private_segment 0
		.amdhsa_system_sgpr_workgroup_id_x 1
		.amdhsa_system_sgpr_workgroup_id_y 0
		.amdhsa_system_sgpr_workgroup_id_z 0
		.amdhsa_system_sgpr_workgroup_info 0
		.amdhsa_system_vgpr_workitem_id 0
		.amdhsa_next_free_vgpr 1
		.amdhsa_next_free_sgpr 1
		.amdhsa_reserve_vcc 0
		.amdhsa_float_round_mode_32 0
		.amdhsa_float_round_mode_16_64 0
		.amdhsa_float_denorm_mode_32 3
		.amdhsa_float_denorm_mode_16_64 3
		.amdhsa_fp16_overflow 0
		.amdhsa_workgroup_processor_mode 1
		.amdhsa_memory_ordered 1
		.amdhsa_forward_progress 1
		.amdhsa_inst_pref_size 0
		.amdhsa_round_robin_scheduling 0
		.amdhsa_exception_fp_ieee_invalid_op 0
		.amdhsa_exception_fp_denorm_src 0
		.amdhsa_exception_fp_ieee_div_zero 0
		.amdhsa_exception_fp_ieee_overflow 0
		.amdhsa_exception_fp_ieee_underflow 0
		.amdhsa_exception_fp_ieee_inexact 0
		.amdhsa_exception_int_div_zero 0
	.end_amdhsa_kernel
	.section	.text._ZN7rocprim17ROCPRIM_400000_NS6detail17trampoline_kernelINS0_14default_configENS1_25partition_config_selectorILNS1_17partition_subalgoE5ExNS0_10empty_typeEbEEZZNS1_14partition_implILS5_5ELb0ES3_mN6thrust23THRUST_200600_302600_NS6detail15normal_iteratorINSA_10device_ptrIxEEEEPS6_NSA_18transform_iteratorINSB_9not_fun_tINSA_8identityIxEEEESF_NSA_11use_defaultESM_EENS0_5tupleIJSF_S6_EEENSO_IJSG_SG_EEES6_PlJS6_EEE10hipError_tPvRmT3_T4_T5_T6_T7_T9_mT8_P12ihipStream_tbDpT10_ENKUlT_T0_E_clISt17integral_constantIbLb0EES1B_EEDaS16_S17_EUlS16_E_NS1_11comp_targetILNS1_3genE4ELNS1_11target_archE910ELNS1_3gpuE8ELNS1_3repE0EEENS1_30default_config_static_selectorELNS0_4arch9wavefront6targetE0EEEvT1_,"axG",@progbits,_ZN7rocprim17ROCPRIM_400000_NS6detail17trampoline_kernelINS0_14default_configENS1_25partition_config_selectorILNS1_17partition_subalgoE5ExNS0_10empty_typeEbEEZZNS1_14partition_implILS5_5ELb0ES3_mN6thrust23THRUST_200600_302600_NS6detail15normal_iteratorINSA_10device_ptrIxEEEEPS6_NSA_18transform_iteratorINSB_9not_fun_tINSA_8identityIxEEEESF_NSA_11use_defaultESM_EENS0_5tupleIJSF_S6_EEENSO_IJSG_SG_EEES6_PlJS6_EEE10hipError_tPvRmT3_T4_T5_T6_T7_T9_mT8_P12ihipStream_tbDpT10_ENKUlT_T0_E_clISt17integral_constantIbLb0EES1B_EEDaS16_S17_EUlS16_E_NS1_11comp_targetILNS1_3genE4ELNS1_11target_archE910ELNS1_3gpuE8ELNS1_3repE0EEENS1_30default_config_static_selectorELNS0_4arch9wavefront6targetE0EEEvT1_,comdat
.Lfunc_end951:
	.size	_ZN7rocprim17ROCPRIM_400000_NS6detail17trampoline_kernelINS0_14default_configENS1_25partition_config_selectorILNS1_17partition_subalgoE5ExNS0_10empty_typeEbEEZZNS1_14partition_implILS5_5ELb0ES3_mN6thrust23THRUST_200600_302600_NS6detail15normal_iteratorINSA_10device_ptrIxEEEEPS6_NSA_18transform_iteratorINSB_9not_fun_tINSA_8identityIxEEEESF_NSA_11use_defaultESM_EENS0_5tupleIJSF_S6_EEENSO_IJSG_SG_EEES6_PlJS6_EEE10hipError_tPvRmT3_T4_T5_T6_T7_T9_mT8_P12ihipStream_tbDpT10_ENKUlT_T0_E_clISt17integral_constantIbLb0EES1B_EEDaS16_S17_EUlS16_E_NS1_11comp_targetILNS1_3genE4ELNS1_11target_archE910ELNS1_3gpuE8ELNS1_3repE0EEENS1_30default_config_static_selectorELNS0_4arch9wavefront6targetE0EEEvT1_, .Lfunc_end951-_ZN7rocprim17ROCPRIM_400000_NS6detail17trampoline_kernelINS0_14default_configENS1_25partition_config_selectorILNS1_17partition_subalgoE5ExNS0_10empty_typeEbEEZZNS1_14partition_implILS5_5ELb0ES3_mN6thrust23THRUST_200600_302600_NS6detail15normal_iteratorINSA_10device_ptrIxEEEEPS6_NSA_18transform_iteratorINSB_9not_fun_tINSA_8identityIxEEEESF_NSA_11use_defaultESM_EENS0_5tupleIJSF_S6_EEENSO_IJSG_SG_EEES6_PlJS6_EEE10hipError_tPvRmT3_T4_T5_T6_T7_T9_mT8_P12ihipStream_tbDpT10_ENKUlT_T0_E_clISt17integral_constantIbLb0EES1B_EEDaS16_S17_EUlS16_E_NS1_11comp_targetILNS1_3genE4ELNS1_11target_archE910ELNS1_3gpuE8ELNS1_3repE0EEENS1_30default_config_static_selectorELNS0_4arch9wavefront6targetE0EEEvT1_
                                        ; -- End function
	.set _ZN7rocprim17ROCPRIM_400000_NS6detail17trampoline_kernelINS0_14default_configENS1_25partition_config_selectorILNS1_17partition_subalgoE5ExNS0_10empty_typeEbEEZZNS1_14partition_implILS5_5ELb0ES3_mN6thrust23THRUST_200600_302600_NS6detail15normal_iteratorINSA_10device_ptrIxEEEEPS6_NSA_18transform_iteratorINSB_9not_fun_tINSA_8identityIxEEEESF_NSA_11use_defaultESM_EENS0_5tupleIJSF_S6_EEENSO_IJSG_SG_EEES6_PlJS6_EEE10hipError_tPvRmT3_T4_T5_T6_T7_T9_mT8_P12ihipStream_tbDpT10_ENKUlT_T0_E_clISt17integral_constantIbLb0EES1B_EEDaS16_S17_EUlS16_E_NS1_11comp_targetILNS1_3genE4ELNS1_11target_archE910ELNS1_3gpuE8ELNS1_3repE0EEENS1_30default_config_static_selectorELNS0_4arch9wavefront6targetE0EEEvT1_.num_vgpr, 0
	.set _ZN7rocprim17ROCPRIM_400000_NS6detail17trampoline_kernelINS0_14default_configENS1_25partition_config_selectorILNS1_17partition_subalgoE5ExNS0_10empty_typeEbEEZZNS1_14partition_implILS5_5ELb0ES3_mN6thrust23THRUST_200600_302600_NS6detail15normal_iteratorINSA_10device_ptrIxEEEEPS6_NSA_18transform_iteratorINSB_9not_fun_tINSA_8identityIxEEEESF_NSA_11use_defaultESM_EENS0_5tupleIJSF_S6_EEENSO_IJSG_SG_EEES6_PlJS6_EEE10hipError_tPvRmT3_T4_T5_T6_T7_T9_mT8_P12ihipStream_tbDpT10_ENKUlT_T0_E_clISt17integral_constantIbLb0EES1B_EEDaS16_S17_EUlS16_E_NS1_11comp_targetILNS1_3genE4ELNS1_11target_archE910ELNS1_3gpuE8ELNS1_3repE0EEENS1_30default_config_static_selectorELNS0_4arch9wavefront6targetE0EEEvT1_.num_agpr, 0
	.set _ZN7rocprim17ROCPRIM_400000_NS6detail17trampoline_kernelINS0_14default_configENS1_25partition_config_selectorILNS1_17partition_subalgoE5ExNS0_10empty_typeEbEEZZNS1_14partition_implILS5_5ELb0ES3_mN6thrust23THRUST_200600_302600_NS6detail15normal_iteratorINSA_10device_ptrIxEEEEPS6_NSA_18transform_iteratorINSB_9not_fun_tINSA_8identityIxEEEESF_NSA_11use_defaultESM_EENS0_5tupleIJSF_S6_EEENSO_IJSG_SG_EEES6_PlJS6_EEE10hipError_tPvRmT3_T4_T5_T6_T7_T9_mT8_P12ihipStream_tbDpT10_ENKUlT_T0_E_clISt17integral_constantIbLb0EES1B_EEDaS16_S17_EUlS16_E_NS1_11comp_targetILNS1_3genE4ELNS1_11target_archE910ELNS1_3gpuE8ELNS1_3repE0EEENS1_30default_config_static_selectorELNS0_4arch9wavefront6targetE0EEEvT1_.numbered_sgpr, 0
	.set _ZN7rocprim17ROCPRIM_400000_NS6detail17trampoline_kernelINS0_14default_configENS1_25partition_config_selectorILNS1_17partition_subalgoE5ExNS0_10empty_typeEbEEZZNS1_14partition_implILS5_5ELb0ES3_mN6thrust23THRUST_200600_302600_NS6detail15normal_iteratorINSA_10device_ptrIxEEEEPS6_NSA_18transform_iteratorINSB_9not_fun_tINSA_8identityIxEEEESF_NSA_11use_defaultESM_EENS0_5tupleIJSF_S6_EEENSO_IJSG_SG_EEES6_PlJS6_EEE10hipError_tPvRmT3_T4_T5_T6_T7_T9_mT8_P12ihipStream_tbDpT10_ENKUlT_T0_E_clISt17integral_constantIbLb0EES1B_EEDaS16_S17_EUlS16_E_NS1_11comp_targetILNS1_3genE4ELNS1_11target_archE910ELNS1_3gpuE8ELNS1_3repE0EEENS1_30default_config_static_selectorELNS0_4arch9wavefront6targetE0EEEvT1_.num_named_barrier, 0
	.set _ZN7rocprim17ROCPRIM_400000_NS6detail17trampoline_kernelINS0_14default_configENS1_25partition_config_selectorILNS1_17partition_subalgoE5ExNS0_10empty_typeEbEEZZNS1_14partition_implILS5_5ELb0ES3_mN6thrust23THRUST_200600_302600_NS6detail15normal_iteratorINSA_10device_ptrIxEEEEPS6_NSA_18transform_iteratorINSB_9not_fun_tINSA_8identityIxEEEESF_NSA_11use_defaultESM_EENS0_5tupleIJSF_S6_EEENSO_IJSG_SG_EEES6_PlJS6_EEE10hipError_tPvRmT3_T4_T5_T6_T7_T9_mT8_P12ihipStream_tbDpT10_ENKUlT_T0_E_clISt17integral_constantIbLb0EES1B_EEDaS16_S17_EUlS16_E_NS1_11comp_targetILNS1_3genE4ELNS1_11target_archE910ELNS1_3gpuE8ELNS1_3repE0EEENS1_30default_config_static_selectorELNS0_4arch9wavefront6targetE0EEEvT1_.private_seg_size, 0
	.set _ZN7rocprim17ROCPRIM_400000_NS6detail17trampoline_kernelINS0_14default_configENS1_25partition_config_selectorILNS1_17partition_subalgoE5ExNS0_10empty_typeEbEEZZNS1_14partition_implILS5_5ELb0ES3_mN6thrust23THRUST_200600_302600_NS6detail15normal_iteratorINSA_10device_ptrIxEEEEPS6_NSA_18transform_iteratorINSB_9not_fun_tINSA_8identityIxEEEESF_NSA_11use_defaultESM_EENS0_5tupleIJSF_S6_EEENSO_IJSG_SG_EEES6_PlJS6_EEE10hipError_tPvRmT3_T4_T5_T6_T7_T9_mT8_P12ihipStream_tbDpT10_ENKUlT_T0_E_clISt17integral_constantIbLb0EES1B_EEDaS16_S17_EUlS16_E_NS1_11comp_targetILNS1_3genE4ELNS1_11target_archE910ELNS1_3gpuE8ELNS1_3repE0EEENS1_30default_config_static_selectorELNS0_4arch9wavefront6targetE0EEEvT1_.uses_vcc, 0
	.set _ZN7rocprim17ROCPRIM_400000_NS6detail17trampoline_kernelINS0_14default_configENS1_25partition_config_selectorILNS1_17partition_subalgoE5ExNS0_10empty_typeEbEEZZNS1_14partition_implILS5_5ELb0ES3_mN6thrust23THRUST_200600_302600_NS6detail15normal_iteratorINSA_10device_ptrIxEEEEPS6_NSA_18transform_iteratorINSB_9not_fun_tINSA_8identityIxEEEESF_NSA_11use_defaultESM_EENS0_5tupleIJSF_S6_EEENSO_IJSG_SG_EEES6_PlJS6_EEE10hipError_tPvRmT3_T4_T5_T6_T7_T9_mT8_P12ihipStream_tbDpT10_ENKUlT_T0_E_clISt17integral_constantIbLb0EES1B_EEDaS16_S17_EUlS16_E_NS1_11comp_targetILNS1_3genE4ELNS1_11target_archE910ELNS1_3gpuE8ELNS1_3repE0EEENS1_30default_config_static_selectorELNS0_4arch9wavefront6targetE0EEEvT1_.uses_flat_scratch, 0
	.set _ZN7rocprim17ROCPRIM_400000_NS6detail17trampoline_kernelINS0_14default_configENS1_25partition_config_selectorILNS1_17partition_subalgoE5ExNS0_10empty_typeEbEEZZNS1_14partition_implILS5_5ELb0ES3_mN6thrust23THRUST_200600_302600_NS6detail15normal_iteratorINSA_10device_ptrIxEEEEPS6_NSA_18transform_iteratorINSB_9not_fun_tINSA_8identityIxEEEESF_NSA_11use_defaultESM_EENS0_5tupleIJSF_S6_EEENSO_IJSG_SG_EEES6_PlJS6_EEE10hipError_tPvRmT3_T4_T5_T6_T7_T9_mT8_P12ihipStream_tbDpT10_ENKUlT_T0_E_clISt17integral_constantIbLb0EES1B_EEDaS16_S17_EUlS16_E_NS1_11comp_targetILNS1_3genE4ELNS1_11target_archE910ELNS1_3gpuE8ELNS1_3repE0EEENS1_30default_config_static_selectorELNS0_4arch9wavefront6targetE0EEEvT1_.has_dyn_sized_stack, 0
	.set _ZN7rocprim17ROCPRIM_400000_NS6detail17trampoline_kernelINS0_14default_configENS1_25partition_config_selectorILNS1_17partition_subalgoE5ExNS0_10empty_typeEbEEZZNS1_14partition_implILS5_5ELb0ES3_mN6thrust23THRUST_200600_302600_NS6detail15normal_iteratorINSA_10device_ptrIxEEEEPS6_NSA_18transform_iteratorINSB_9not_fun_tINSA_8identityIxEEEESF_NSA_11use_defaultESM_EENS0_5tupleIJSF_S6_EEENSO_IJSG_SG_EEES6_PlJS6_EEE10hipError_tPvRmT3_T4_T5_T6_T7_T9_mT8_P12ihipStream_tbDpT10_ENKUlT_T0_E_clISt17integral_constantIbLb0EES1B_EEDaS16_S17_EUlS16_E_NS1_11comp_targetILNS1_3genE4ELNS1_11target_archE910ELNS1_3gpuE8ELNS1_3repE0EEENS1_30default_config_static_selectorELNS0_4arch9wavefront6targetE0EEEvT1_.has_recursion, 0
	.set _ZN7rocprim17ROCPRIM_400000_NS6detail17trampoline_kernelINS0_14default_configENS1_25partition_config_selectorILNS1_17partition_subalgoE5ExNS0_10empty_typeEbEEZZNS1_14partition_implILS5_5ELb0ES3_mN6thrust23THRUST_200600_302600_NS6detail15normal_iteratorINSA_10device_ptrIxEEEEPS6_NSA_18transform_iteratorINSB_9not_fun_tINSA_8identityIxEEEESF_NSA_11use_defaultESM_EENS0_5tupleIJSF_S6_EEENSO_IJSG_SG_EEES6_PlJS6_EEE10hipError_tPvRmT3_T4_T5_T6_T7_T9_mT8_P12ihipStream_tbDpT10_ENKUlT_T0_E_clISt17integral_constantIbLb0EES1B_EEDaS16_S17_EUlS16_E_NS1_11comp_targetILNS1_3genE4ELNS1_11target_archE910ELNS1_3gpuE8ELNS1_3repE0EEENS1_30default_config_static_selectorELNS0_4arch9wavefront6targetE0EEEvT1_.has_indirect_call, 0
	.section	.AMDGPU.csdata,"",@progbits
; Kernel info:
; codeLenInByte = 0
; TotalNumSgprs: 0
; NumVgprs: 0
; ScratchSize: 0
; MemoryBound: 0
; FloatMode: 240
; IeeeMode: 1
; LDSByteSize: 0 bytes/workgroup (compile time only)
; SGPRBlocks: 0
; VGPRBlocks: 0
; NumSGPRsForWavesPerEU: 1
; NumVGPRsForWavesPerEU: 1
; Occupancy: 16
; WaveLimiterHint : 0
; COMPUTE_PGM_RSRC2:SCRATCH_EN: 0
; COMPUTE_PGM_RSRC2:USER_SGPR: 2
; COMPUTE_PGM_RSRC2:TRAP_HANDLER: 0
; COMPUTE_PGM_RSRC2:TGID_X_EN: 1
; COMPUTE_PGM_RSRC2:TGID_Y_EN: 0
; COMPUTE_PGM_RSRC2:TGID_Z_EN: 0
; COMPUTE_PGM_RSRC2:TIDIG_COMP_CNT: 0
	.section	.text._ZN7rocprim17ROCPRIM_400000_NS6detail17trampoline_kernelINS0_14default_configENS1_25partition_config_selectorILNS1_17partition_subalgoE5ExNS0_10empty_typeEbEEZZNS1_14partition_implILS5_5ELb0ES3_mN6thrust23THRUST_200600_302600_NS6detail15normal_iteratorINSA_10device_ptrIxEEEEPS6_NSA_18transform_iteratorINSB_9not_fun_tINSA_8identityIxEEEESF_NSA_11use_defaultESM_EENS0_5tupleIJSF_S6_EEENSO_IJSG_SG_EEES6_PlJS6_EEE10hipError_tPvRmT3_T4_T5_T6_T7_T9_mT8_P12ihipStream_tbDpT10_ENKUlT_T0_E_clISt17integral_constantIbLb0EES1B_EEDaS16_S17_EUlS16_E_NS1_11comp_targetILNS1_3genE3ELNS1_11target_archE908ELNS1_3gpuE7ELNS1_3repE0EEENS1_30default_config_static_selectorELNS0_4arch9wavefront6targetE0EEEvT1_,"axG",@progbits,_ZN7rocprim17ROCPRIM_400000_NS6detail17trampoline_kernelINS0_14default_configENS1_25partition_config_selectorILNS1_17partition_subalgoE5ExNS0_10empty_typeEbEEZZNS1_14partition_implILS5_5ELb0ES3_mN6thrust23THRUST_200600_302600_NS6detail15normal_iteratorINSA_10device_ptrIxEEEEPS6_NSA_18transform_iteratorINSB_9not_fun_tINSA_8identityIxEEEESF_NSA_11use_defaultESM_EENS0_5tupleIJSF_S6_EEENSO_IJSG_SG_EEES6_PlJS6_EEE10hipError_tPvRmT3_T4_T5_T6_T7_T9_mT8_P12ihipStream_tbDpT10_ENKUlT_T0_E_clISt17integral_constantIbLb0EES1B_EEDaS16_S17_EUlS16_E_NS1_11comp_targetILNS1_3genE3ELNS1_11target_archE908ELNS1_3gpuE7ELNS1_3repE0EEENS1_30default_config_static_selectorELNS0_4arch9wavefront6targetE0EEEvT1_,comdat
	.protected	_ZN7rocprim17ROCPRIM_400000_NS6detail17trampoline_kernelINS0_14default_configENS1_25partition_config_selectorILNS1_17partition_subalgoE5ExNS0_10empty_typeEbEEZZNS1_14partition_implILS5_5ELb0ES3_mN6thrust23THRUST_200600_302600_NS6detail15normal_iteratorINSA_10device_ptrIxEEEEPS6_NSA_18transform_iteratorINSB_9not_fun_tINSA_8identityIxEEEESF_NSA_11use_defaultESM_EENS0_5tupleIJSF_S6_EEENSO_IJSG_SG_EEES6_PlJS6_EEE10hipError_tPvRmT3_T4_T5_T6_T7_T9_mT8_P12ihipStream_tbDpT10_ENKUlT_T0_E_clISt17integral_constantIbLb0EES1B_EEDaS16_S17_EUlS16_E_NS1_11comp_targetILNS1_3genE3ELNS1_11target_archE908ELNS1_3gpuE7ELNS1_3repE0EEENS1_30default_config_static_selectorELNS0_4arch9wavefront6targetE0EEEvT1_ ; -- Begin function _ZN7rocprim17ROCPRIM_400000_NS6detail17trampoline_kernelINS0_14default_configENS1_25partition_config_selectorILNS1_17partition_subalgoE5ExNS0_10empty_typeEbEEZZNS1_14partition_implILS5_5ELb0ES3_mN6thrust23THRUST_200600_302600_NS6detail15normal_iteratorINSA_10device_ptrIxEEEEPS6_NSA_18transform_iteratorINSB_9not_fun_tINSA_8identityIxEEEESF_NSA_11use_defaultESM_EENS0_5tupleIJSF_S6_EEENSO_IJSG_SG_EEES6_PlJS6_EEE10hipError_tPvRmT3_T4_T5_T6_T7_T9_mT8_P12ihipStream_tbDpT10_ENKUlT_T0_E_clISt17integral_constantIbLb0EES1B_EEDaS16_S17_EUlS16_E_NS1_11comp_targetILNS1_3genE3ELNS1_11target_archE908ELNS1_3gpuE7ELNS1_3repE0EEENS1_30default_config_static_selectorELNS0_4arch9wavefront6targetE0EEEvT1_
	.globl	_ZN7rocprim17ROCPRIM_400000_NS6detail17trampoline_kernelINS0_14default_configENS1_25partition_config_selectorILNS1_17partition_subalgoE5ExNS0_10empty_typeEbEEZZNS1_14partition_implILS5_5ELb0ES3_mN6thrust23THRUST_200600_302600_NS6detail15normal_iteratorINSA_10device_ptrIxEEEEPS6_NSA_18transform_iteratorINSB_9not_fun_tINSA_8identityIxEEEESF_NSA_11use_defaultESM_EENS0_5tupleIJSF_S6_EEENSO_IJSG_SG_EEES6_PlJS6_EEE10hipError_tPvRmT3_T4_T5_T6_T7_T9_mT8_P12ihipStream_tbDpT10_ENKUlT_T0_E_clISt17integral_constantIbLb0EES1B_EEDaS16_S17_EUlS16_E_NS1_11comp_targetILNS1_3genE3ELNS1_11target_archE908ELNS1_3gpuE7ELNS1_3repE0EEENS1_30default_config_static_selectorELNS0_4arch9wavefront6targetE0EEEvT1_
	.p2align	8
	.type	_ZN7rocprim17ROCPRIM_400000_NS6detail17trampoline_kernelINS0_14default_configENS1_25partition_config_selectorILNS1_17partition_subalgoE5ExNS0_10empty_typeEbEEZZNS1_14partition_implILS5_5ELb0ES3_mN6thrust23THRUST_200600_302600_NS6detail15normal_iteratorINSA_10device_ptrIxEEEEPS6_NSA_18transform_iteratorINSB_9not_fun_tINSA_8identityIxEEEESF_NSA_11use_defaultESM_EENS0_5tupleIJSF_S6_EEENSO_IJSG_SG_EEES6_PlJS6_EEE10hipError_tPvRmT3_T4_T5_T6_T7_T9_mT8_P12ihipStream_tbDpT10_ENKUlT_T0_E_clISt17integral_constantIbLb0EES1B_EEDaS16_S17_EUlS16_E_NS1_11comp_targetILNS1_3genE3ELNS1_11target_archE908ELNS1_3gpuE7ELNS1_3repE0EEENS1_30default_config_static_selectorELNS0_4arch9wavefront6targetE0EEEvT1_,@function
_ZN7rocprim17ROCPRIM_400000_NS6detail17trampoline_kernelINS0_14default_configENS1_25partition_config_selectorILNS1_17partition_subalgoE5ExNS0_10empty_typeEbEEZZNS1_14partition_implILS5_5ELb0ES3_mN6thrust23THRUST_200600_302600_NS6detail15normal_iteratorINSA_10device_ptrIxEEEEPS6_NSA_18transform_iteratorINSB_9not_fun_tINSA_8identityIxEEEESF_NSA_11use_defaultESM_EENS0_5tupleIJSF_S6_EEENSO_IJSG_SG_EEES6_PlJS6_EEE10hipError_tPvRmT3_T4_T5_T6_T7_T9_mT8_P12ihipStream_tbDpT10_ENKUlT_T0_E_clISt17integral_constantIbLb0EES1B_EEDaS16_S17_EUlS16_E_NS1_11comp_targetILNS1_3genE3ELNS1_11target_archE908ELNS1_3gpuE7ELNS1_3repE0EEENS1_30default_config_static_selectorELNS0_4arch9wavefront6targetE0EEEvT1_: ; @_ZN7rocprim17ROCPRIM_400000_NS6detail17trampoline_kernelINS0_14default_configENS1_25partition_config_selectorILNS1_17partition_subalgoE5ExNS0_10empty_typeEbEEZZNS1_14partition_implILS5_5ELb0ES3_mN6thrust23THRUST_200600_302600_NS6detail15normal_iteratorINSA_10device_ptrIxEEEEPS6_NSA_18transform_iteratorINSB_9not_fun_tINSA_8identityIxEEEESF_NSA_11use_defaultESM_EENS0_5tupleIJSF_S6_EEENSO_IJSG_SG_EEES6_PlJS6_EEE10hipError_tPvRmT3_T4_T5_T6_T7_T9_mT8_P12ihipStream_tbDpT10_ENKUlT_T0_E_clISt17integral_constantIbLb0EES1B_EEDaS16_S17_EUlS16_E_NS1_11comp_targetILNS1_3genE3ELNS1_11target_archE908ELNS1_3gpuE7ELNS1_3repE0EEENS1_30default_config_static_selectorELNS0_4arch9wavefront6targetE0EEEvT1_
; %bb.0:
	.section	.rodata,"a",@progbits
	.p2align	6, 0x0
	.amdhsa_kernel _ZN7rocprim17ROCPRIM_400000_NS6detail17trampoline_kernelINS0_14default_configENS1_25partition_config_selectorILNS1_17partition_subalgoE5ExNS0_10empty_typeEbEEZZNS1_14partition_implILS5_5ELb0ES3_mN6thrust23THRUST_200600_302600_NS6detail15normal_iteratorINSA_10device_ptrIxEEEEPS6_NSA_18transform_iteratorINSB_9not_fun_tINSA_8identityIxEEEESF_NSA_11use_defaultESM_EENS0_5tupleIJSF_S6_EEENSO_IJSG_SG_EEES6_PlJS6_EEE10hipError_tPvRmT3_T4_T5_T6_T7_T9_mT8_P12ihipStream_tbDpT10_ENKUlT_T0_E_clISt17integral_constantIbLb0EES1B_EEDaS16_S17_EUlS16_E_NS1_11comp_targetILNS1_3genE3ELNS1_11target_archE908ELNS1_3gpuE7ELNS1_3repE0EEENS1_30default_config_static_selectorELNS0_4arch9wavefront6targetE0EEEvT1_
		.amdhsa_group_segment_fixed_size 0
		.amdhsa_private_segment_fixed_size 0
		.amdhsa_kernarg_size 120
		.amdhsa_user_sgpr_count 2
		.amdhsa_user_sgpr_dispatch_ptr 0
		.amdhsa_user_sgpr_queue_ptr 0
		.amdhsa_user_sgpr_kernarg_segment_ptr 1
		.amdhsa_user_sgpr_dispatch_id 0
		.amdhsa_user_sgpr_private_segment_size 0
		.amdhsa_wavefront_size32 1
		.amdhsa_uses_dynamic_stack 0
		.amdhsa_enable_private_segment 0
		.amdhsa_system_sgpr_workgroup_id_x 1
		.amdhsa_system_sgpr_workgroup_id_y 0
		.amdhsa_system_sgpr_workgroup_id_z 0
		.amdhsa_system_sgpr_workgroup_info 0
		.amdhsa_system_vgpr_workitem_id 0
		.amdhsa_next_free_vgpr 1
		.amdhsa_next_free_sgpr 1
		.amdhsa_reserve_vcc 0
		.amdhsa_float_round_mode_32 0
		.amdhsa_float_round_mode_16_64 0
		.amdhsa_float_denorm_mode_32 3
		.amdhsa_float_denorm_mode_16_64 3
		.amdhsa_fp16_overflow 0
		.amdhsa_workgroup_processor_mode 1
		.amdhsa_memory_ordered 1
		.amdhsa_forward_progress 1
		.amdhsa_inst_pref_size 0
		.amdhsa_round_robin_scheduling 0
		.amdhsa_exception_fp_ieee_invalid_op 0
		.amdhsa_exception_fp_denorm_src 0
		.amdhsa_exception_fp_ieee_div_zero 0
		.amdhsa_exception_fp_ieee_overflow 0
		.amdhsa_exception_fp_ieee_underflow 0
		.amdhsa_exception_fp_ieee_inexact 0
		.amdhsa_exception_int_div_zero 0
	.end_amdhsa_kernel
	.section	.text._ZN7rocprim17ROCPRIM_400000_NS6detail17trampoline_kernelINS0_14default_configENS1_25partition_config_selectorILNS1_17partition_subalgoE5ExNS0_10empty_typeEbEEZZNS1_14partition_implILS5_5ELb0ES3_mN6thrust23THRUST_200600_302600_NS6detail15normal_iteratorINSA_10device_ptrIxEEEEPS6_NSA_18transform_iteratorINSB_9not_fun_tINSA_8identityIxEEEESF_NSA_11use_defaultESM_EENS0_5tupleIJSF_S6_EEENSO_IJSG_SG_EEES6_PlJS6_EEE10hipError_tPvRmT3_T4_T5_T6_T7_T9_mT8_P12ihipStream_tbDpT10_ENKUlT_T0_E_clISt17integral_constantIbLb0EES1B_EEDaS16_S17_EUlS16_E_NS1_11comp_targetILNS1_3genE3ELNS1_11target_archE908ELNS1_3gpuE7ELNS1_3repE0EEENS1_30default_config_static_selectorELNS0_4arch9wavefront6targetE0EEEvT1_,"axG",@progbits,_ZN7rocprim17ROCPRIM_400000_NS6detail17trampoline_kernelINS0_14default_configENS1_25partition_config_selectorILNS1_17partition_subalgoE5ExNS0_10empty_typeEbEEZZNS1_14partition_implILS5_5ELb0ES3_mN6thrust23THRUST_200600_302600_NS6detail15normal_iteratorINSA_10device_ptrIxEEEEPS6_NSA_18transform_iteratorINSB_9not_fun_tINSA_8identityIxEEEESF_NSA_11use_defaultESM_EENS0_5tupleIJSF_S6_EEENSO_IJSG_SG_EEES6_PlJS6_EEE10hipError_tPvRmT3_T4_T5_T6_T7_T9_mT8_P12ihipStream_tbDpT10_ENKUlT_T0_E_clISt17integral_constantIbLb0EES1B_EEDaS16_S17_EUlS16_E_NS1_11comp_targetILNS1_3genE3ELNS1_11target_archE908ELNS1_3gpuE7ELNS1_3repE0EEENS1_30default_config_static_selectorELNS0_4arch9wavefront6targetE0EEEvT1_,comdat
.Lfunc_end952:
	.size	_ZN7rocprim17ROCPRIM_400000_NS6detail17trampoline_kernelINS0_14default_configENS1_25partition_config_selectorILNS1_17partition_subalgoE5ExNS0_10empty_typeEbEEZZNS1_14partition_implILS5_5ELb0ES3_mN6thrust23THRUST_200600_302600_NS6detail15normal_iteratorINSA_10device_ptrIxEEEEPS6_NSA_18transform_iteratorINSB_9not_fun_tINSA_8identityIxEEEESF_NSA_11use_defaultESM_EENS0_5tupleIJSF_S6_EEENSO_IJSG_SG_EEES6_PlJS6_EEE10hipError_tPvRmT3_T4_T5_T6_T7_T9_mT8_P12ihipStream_tbDpT10_ENKUlT_T0_E_clISt17integral_constantIbLb0EES1B_EEDaS16_S17_EUlS16_E_NS1_11comp_targetILNS1_3genE3ELNS1_11target_archE908ELNS1_3gpuE7ELNS1_3repE0EEENS1_30default_config_static_selectorELNS0_4arch9wavefront6targetE0EEEvT1_, .Lfunc_end952-_ZN7rocprim17ROCPRIM_400000_NS6detail17trampoline_kernelINS0_14default_configENS1_25partition_config_selectorILNS1_17partition_subalgoE5ExNS0_10empty_typeEbEEZZNS1_14partition_implILS5_5ELb0ES3_mN6thrust23THRUST_200600_302600_NS6detail15normal_iteratorINSA_10device_ptrIxEEEEPS6_NSA_18transform_iteratorINSB_9not_fun_tINSA_8identityIxEEEESF_NSA_11use_defaultESM_EENS0_5tupleIJSF_S6_EEENSO_IJSG_SG_EEES6_PlJS6_EEE10hipError_tPvRmT3_T4_T5_T6_T7_T9_mT8_P12ihipStream_tbDpT10_ENKUlT_T0_E_clISt17integral_constantIbLb0EES1B_EEDaS16_S17_EUlS16_E_NS1_11comp_targetILNS1_3genE3ELNS1_11target_archE908ELNS1_3gpuE7ELNS1_3repE0EEENS1_30default_config_static_selectorELNS0_4arch9wavefront6targetE0EEEvT1_
                                        ; -- End function
	.set _ZN7rocprim17ROCPRIM_400000_NS6detail17trampoline_kernelINS0_14default_configENS1_25partition_config_selectorILNS1_17partition_subalgoE5ExNS0_10empty_typeEbEEZZNS1_14partition_implILS5_5ELb0ES3_mN6thrust23THRUST_200600_302600_NS6detail15normal_iteratorINSA_10device_ptrIxEEEEPS6_NSA_18transform_iteratorINSB_9not_fun_tINSA_8identityIxEEEESF_NSA_11use_defaultESM_EENS0_5tupleIJSF_S6_EEENSO_IJSG_SG_EEES6_PlJS6_EEE10hipError_tPvRmT3_T4_T5_T6_T7_T9_mT8_P12ihipStream_tbDpT10_ENKUlT_T0_E_clISt17integral_constantIbLb0EES1B_EEDaS16_S17_EUlS16_E_NS1_11comp_targetILNS1_3genE3ELNS1_11target_archE908ELNS1_3gpuE7ELNS1_3repE0EEENS1_30default_config_static_selectorELNS0_4arch9wavefront6targetE0EEEvT1_.num_vgpr, 0
	.set _ZN7rocprim17ROCPRIM_400000_NS6detail17trampoline_kernelINS0_14default_configENS1_25partition_config_selectorILNS1_17partition_subalgoE5ExNS0_10empty_typeEbEEZZNS1_14partition_implILS5_5ELb0ES3_mN6thrust23THRUST_200600_302600_NS6detail15normal_iteratorINSA_10device_ptrIxEEEEPS6_NSA_18transform_iteratorINSB_9not_fun_tINSA_8identityIxEEEESF_NSA_11use_defaultESM_EENS0_5tupleIJSF_S6_EEENSO_IJSG_SG_EEES6_PlJS6_EEE10hipError_tPvRmT3_T4_T5_T6_T7_T9_mT8_P12ihipStream_tbDpT10_ENKUlT_T0_E_clISt17integral_constantIbLb0EES1B_EEDaS16_S17_EUlS16_E_NS1_11comp_targetILNS1_3genE3ELNS1_11target_archE908ELNS1_3gpuE7ELNS1_3repE0EEENS1_30default_config_static_selectorELNS0_4arch9wavefront6targetE0EEEvT1_.num_agpr, 0
	.set _ZN7rocprim17ROCPRIM_400000_NS6detail17trampoline_kernelINS0_14default_configENS1_25partition_config_selectorILNS1_17partition_subalgoE5ExNS0_10empty_typeEbEEZZNS1_14partition_implILS5_5ELb0ES3_mN6thrust23THRUST_200600_302600_NS6detail15normal_iteratorINSA_10device_ptrIxEEEEPS6_NSA_18transform_iteratorINSB_9not_fun_tINSA_8identityIxEEEESF_NSA_11use_defaultESM_EENS0_5tupleIJSF_S6_EEENSO_IJSG_SG_EEES6_PlJS6_EEE10hipError_tPvRmT3_T4_T5_T6_T7_T9_mT8_P12ihipStream_tbDpT10_ENKUlT_T0_E_clISt17integral_constantIbLb0EES1B_EEDaS16_S17_EUlS16_E_NS1_11comp_targetILNS1_3genE3ELNS1_11target_archE908ELNS1_3gpuE7ELNS1_3repE0EEENS1_30default_config_static_selectorELNS0_4arch9wavefront6targetE0EEEvT1_.numbered_sgpr, 0
	.set _ZN7rocprim17ROCPRIM_400000_NS6detail17trampoline_kernelINS0_14default_configENS1_25partition_config_selectorILNS1_17partition_subalgoE5ExNS0_10empty_typeEbEEZZNS1_14partition_implILS5_5ELb0ES3_mN6thrust23THRUST_200600_302600_NS6detail15normal_iteratorINSA_10device_ptrIxEEEEPS6_NSA_18transform_iteratorINSB_9not_fun_tINSA_8identityIxEEEESF_NSA_11use_defaultESM_EENS0_5tupleIJSF_S6_EEENSO_IJSG_SG_EEES6_PlJS6_EEE10hipError_tPvRmT3_T4_T5_T6_T7_T9_mT8_P12ihipStream_tbDpT10_ENKUlT_T0_E_clISt17integral_constantIbLb0EES1B_EEDaS16_S17_EUlS16_E_NS1_11comp_targetILNS1_3genE3ELNS1_11target_archE908ELNS1_3gpuE7ELNS1_3repE0EEENS1_30default_config_static_selectorELNS0_4arch9wavefront6targetE0EEEvT1_.num_named_barrier, 0
	.set _ZN7rocprim17ROCPRIM_400000_NS6detail17trampoline_kernelINS0_14default_configENS1_25partition_config_selectorILNS1_17partition_subalgoE5ExNS0_10empty_typeEbEEZZNS1_14partition_implILS5_5ELb0ES3_mN6thrust23THRUST_200600_302600_NS6detail15normal_iteratorINSA_10device_ptrIxEEEEPS6_NSA_18transform_iteratorINSB_9not_fun_tINSA_8identityIxEEEESF_NSA_11use_defaultESM_EENS0_5tupleIJSF_S6_EEENSO_IJSG_SG_EEES6_PlJS6_EEE10hipError_tPvRmT3_T4_T5_T6_T7_T9_mT8_P12ihipStream_tbDpT10_ENKUlT_T0_E_clISt17integral_constantIbLb0EES1B_EEDaS16_S17_EUlS16_E_NS1_11comp_targetILNS1_3genE3ELNS1_11target_archE908ELNS1_3gpuE7ELNS1_3repE0EEENS1_30default_config_static_selectorELNS0_4arch9wavefront6targetE0EEEvT1_.private_seg_size, 0
	.set _ZN7rocprim17ROCPRIM_400000_NS6detail17trampoline_kernelINS0_14default_configENS1_25partition_config_selectorILNS1_17partition_subalgoE5ExNS0_10empty_typeEbEEZZNS1_14partition_implILS5_5ELb0ES3_mN6thrust23THRUST_200600_302600_NS6detail15normal_iteratorINSA_10device_ptrIxEEEEPS6_NSA_18transform_iteratorINSB_9not_fun_tINSA_8identityIxEEEESF_NSA_11use_defaultESM_EENS0_5tupleIJSF_S6_EEENSO_IJSG_SG_EEES6_PlJS6_EEE10hipError_tPvRmT3_T4_T5_T6_T7_T9_mT8_P12ihipStream_tbDpT10_ENKUlT_T0_E_clISt17integral_constantIbLb0EES1B_EEDaS16_S17_EUlS16_E_NS1_11comp_targetILNS1_3genE3ELNS1_11target_archE908ELNS1_3gpuE7ELNS1_3repE0EEENS1_30default_config_static_selectorELNS0_4arch9wavefront6targetE0EEEvT1_.uses_vcc, 0
	.set _ZN7rocprim17ROCPRIM_400000_NS6detail17trampoline_kernelINS0_14default_configENS1_25partition_config_selectorILNS1_17partition_subalgoE5ExNS0_10empty_typeEbEEZZNS1_14partition_implILS5_5ELb0ES3_mN6thrust23THRUST_200600_302600_NS6detail15normal_iteratorINSA_10device_ptrIxEEEEPS6_NSA_18transform_iteratorINSB_9not_fun_tINSA_8identityIxEEEESF_NSA_11use_defaultESM_EENS0_5tupleIJSF_S6_EEENSO_IJSG_SG_EEES6_PlJS6_EEE10hipError_tPvRmT3_T4_T5_T6_T7_T9_mT8_P12ihipStream_tbDpT10_ENKUlT_T0_E_clISt17integral_constantIbLb0EES1B_EEDaS16_S17_EUlS16_E_NS1_11comp_targetILNS1_3genE3ELNS1_11target_archE908ELNS1_3gpuE7ELNS1_3repE0EEENS1_30default_config_static_selectorELNS0_4arch9wavefront6targetE0EEEvT1_.uses_flat_scratch, 0
	.set _ZN7rocprim17ROCPRIM_400000_NS6detail17trampoline_kernelINS0_14default_configENS1_25partition_config_selectorILNS1_17partition_subalgoE5ExNS0_10empty_typeEbEEZZNS1_14partition_implILS5_5ELb0ES3_mN6thrust23THRUST_200600_302600_NS6detail15normal_iteratorINSA_10device_ptrIxEEEEPS6_NSA_18transform_iteratorINSB_9not_fun_tINSA_8identityIxEEEESF_NSA_11use_defaultESM_EENS0_5tupleIJSF_S6_EEENSO_IJSG_SG_EEES6_PlJS6_EEE10hipError_tPvRmT3_T4_T5_T6_T7_T9_mT8_P12ihipStream_tbDpT10_ENKUlT_T0_E_clISt17integral_constantIbLb0EES1B_EEDaS16_S17_EUlS16_E_NS1_11comp_targetILNS1_3genE3ELNS1_11target_archE908ELNS1_3gpuE7ELNS1_3repE0EEENS1_30default_config_static_selectorELNS0_4arch9wavefront6targetE0EEEvT1_.has_dyn_sized_stack, 0
	.set _ZN7rocprim17ROCPRIM_400000_NS6detail17trampoline_kernelINS0_14default_configENS1_25partition_config_selectorILNS1_17partition_subalgoE5ExNS0_10empty_typeEbEEZZNS1_14partition_implILS5_5ELb0ES3_mN6thrust23THRUST_200600_302600_NS6detail15normal_iteratorINSA_10device_ptrIxEEEEPS6_NSA_18transform_iteratorINSB_9not_fun_tINSA_8identityIxEEEESF_NSA_11use_defaultESM_EENS0_5tupleIJSF_S6_EEENSO_IJSG_SG_EEES6_PlJS6_EEE10hipError_tPvRmT3_T4_T5_T6_T7_T9_mT8_P12ihipStream_tbDpT10_ENKUlT_T0_E_clISt17integral_constantIbLb0EES1B_EEDaS16_S17_EUlS16_E_NS1_11comp_targetILNS1_3genE3ELNS1_11target_archE908ELNS1_3gpuE7ELNS1_3repE0EEENS1_30default_config_static_selectorELNS0_4arch9wavefront6targetE0EEEvT1_.has_recursion, 0
	.set _ZN7rocprim17ROCPRIM_400000_NS6detail17trampoline_kernelINS0_14default_configENS1_25partition_config_selectorILNS1_17partition_subalgoE5ExNS0_10empty_typeEbEEZZNS1_14partition_implILS5_5ELb0ES3_mN6thrust23THRUST_200600_302600_NS6detail15normal_iteratorINSA_10device_ptrIxEEEEPS6_NSA_18transform_iteratorINSB_9not_fun_tINSA_8identityIxEEEESF_NSA_11use_defaultESM_EENS0_5tupleIJSF_S6_EEENSO_IJSG_SG_EEES6_PlJS6_EEE10hipError_tPvRmT3_T4_T5_T6_T7_T9_mT8_P12ihipStream_tbDpT10_ENKUlT_T0_E_clISt17integral_constantIbLb0EES1B_EEDaS16_S17_EUlS16_E_NS1_11comp_targetILNS1_3genE3ELNS1_11target_archE908ELNS1_3gpuE7ELNS1_3repE0EEENS1_30default_config_static_selectorELNS0_4arch9wavefront6targetE0EEEvT1_.has_indirect_call, 0
	.section	.AMDGPU.csdata,"",@progbits
; Kernel info:
; codeLenInByte = 0
; TotalNumSgprs: 0
; NumVgprs: 0
; ScratchSize: 0
; MemoryBound: 0
; FloatMode: 240
; IeeeMode: 1
; LDSByteSize: 0 bytes/workgroup (compile time only)
; SGPRBlocks: 0
; VGPRBlocks: 0
; NumSGPRsForWavesPerEU: 1
; NumVGPRsForWavesPerEU: 1
; Occupancy: 16
; WaveLimiterHint : 0
; COMPUTE_PGM_RSRC2:SCRATCH_EN: 0
; COMPUTE_PGM_RSRC2:USER_SGPR: 2
; COMPUTE_PGM_RSRC2:TRAP_HANDLER: 0
; COMPUTE_PGM_RSRC2:TGID_X_EN: 1
; COMPUTE_PGM_RSRC2:TGID_Y_EN: 0
; COMPUTE_PGM_RSRC2:TGID_Z_EN: 0
; COMPUTE_PGM_RSRC2:TIDIG_COMP_CNT: 0
	.section	.text._ZN7rocprim17ROCPRIM_400000_NS6detail17trampoline_kernelINS0_14default_configENS1_25partition_config_selectorILNS1_17partition_subalgoE5ExNS0_10empty_typeEbEEZZNS1_14partition_implILS5_5ELb0ES3_mN6thrust23THRUST_200600_302600_NS6detail15normal_iteratorINSA_10device_ptrIxEEEEPS6_NSA_18transform_iteratorINSB_9not_fun_tINSA_8identityIxEEEESF_NSA_11use_defaultESM_EENS0_5tupleIJSF_S6_EEENSO_IJSG_SG_EEES6_PlJS6_EEE10hipError_tPvRmT3_T4_T5_T6_T7_T9_mT8_P12ihipStream_tbDpT10_ENKUlT_T0_E_clISt17integral_constantIbLb0EES1B_EEDaS16_S17_EUlS16_E_NS1_11comp_targetILNS1_3genE2ELNS1_11target_archE906ELNS1_3gpuE6ELNS1_3repE0EEENS1_30default_config_static_selectorELNS0_4arch9wavefront6targetE0EEEvT1_,"axG",@progbits,_ZN7rocprim17ROCPRIM_400000_NS6detail17trampoline_kernelINS0_14default_configENS1_25partition_config_selectorILNS1_17partition_subalgoE5ExNS0_10empty_typeEbEEZZNS1_14partition_implILS5_5ELb0ES3_mN6thrust23THRUST_200600_302600_NS6detail15normal_iteratorINSA_10device_ptrIxEEEEPS6_NSA_18transform_iteratorINSB_9not_fun_tINSA_8identityIxEEEESF_NSA_11use_defaultESM_EENS0_5tupleIJSF_S6_EEENSO_IJSG_SG_EEES6_PlJS6_EEE10hipError_tPvRmT3_T4_T5_T6_T7_T9_mT8_P12ihipStream_tbDpT10_ENKUlT_T0_E_clISt17integral_constantIbLb0EES1B_EEDaS16_S17_EUlS16_E_NS1_11comp_targetILNS1_3genE2ELNS1_11target_archE906ELNS1_3gpuE6ELNS1_3repE0EEENS1_30default_config_static_selectorELNS0_4arch9wavefront6targetE0EEEvT1_,comdat
	.protected	_ZN7rocprim17ROCPRIM_400000_NS6detail17trampoline_kernelINS0_14default_configENS1_25partition_config_selectorILNS1_17partition_subalgoE5ExNS0_10empty_typeEbEEZZNS1_14partition_implILS5_5ELb0ES3_mN6thrust23THRUST_200600_302600_NS6detail15normal_iteratorINSA_10device_ptrIxEEEEPS6_NSA_18transform_iteratorINSB_9not_fun_tINSA_8identityIxEEEESF_NSA_11use_defaultESM_EENS0_5tupleIJSF_S6_EEENSO_IJSG_SG_EEES6_PlJS6_EEE10hipError_tPvRmT3_T4_T5_T6_T7_T9_mT8_P12ihipStream_tbDpT10_ENKUlT_T0_E_clISt17integral_constantIbLb0EES1B_EEDaS16_S17_EUlS16_E_NS1_11comp_targetILNS1_3genE2ELNS1_11target_archE906ELNS1_3gpuE6ELNS1_3repE0EEENS1_30default_config_static_selectorELNS0_4arch9wavefront6targetE0EEEvT1_ ; -- Begin function _ZN7rocprim17ROCPRIM_400000_NS6detail17trampoline_kernelINS0_14default_configENS1_25partition_config_selectorILNS1_17partition_subalgoE5ExNS0_10empty_typeEbEEZZNS1_14partition_implILS5_5ELb0ES3_mN6thrust23THRUST_200600_302600_NS6detail15normal_iteratorINSA_10device_ptrIxEEEEPS6_NSA_18transform_iteratorINSB_9not_fun_tINSA_8identityIxEEEESF_NSA_11use_defaultESM_EENS0_5tupleIJSF_S6_EEENSO_IJSG_SG_EEES6_PlJS6_EEE10hipError_tPvRmT3_T4_T5_T6_T7_T9_mT8_P12ihipStream_tbDpT10_ENKUlT_T0_E_clISt17integral_constantIbLb0EES1B_EEDaS16_S17_EUlS16_E_NS1_11comp_targetILNS1_3genE2ELNS1_11target_archE906ELNS1_3gpuE6ELNS1_3repE0EEENS1_30default_config_static_selectorELNS0_4arch9wavefront6targetE0EEEvT1_
	.globl	_ZN7rocprim17ROCPRIM_400000_NS6detail17trampoline_kernelINS0_14default_configENS1_25partition_config_selectorILNS1_17partition_subalgoE5ExNS0_10empty_typeEbEEZZNS1_14partition_implILS5_5ELb0ES3_mN6thrust23THRUST_200600_302600_NS6detail15normal_iteratorINSA_10device_ptrIxEEEEPS6_NSA_18transform_iteratorINSB_9not_fun_tINSA_8identityIxEEEESF_NSA_11use_defaultESM_EENS0_5tupleIJSF_S6_EEENSO_IJSG_SG_EEES6_PlJS6_EEE10hipError_tPvRmT3_T4_T5_T6_T7_T9_mT8_P12ihipStream_tbDpT10_ENKUlT_T0_E_clISt17integral_constantIbLb0EES1B_EEDaS16_S17_EUlS16_E_NS1_11comp_targetILNS1_3genE2ELNS1_11target_archE906ELNS1_3gpuE6ELNS1_3repE0EEENS1_30default_config_static_selectorELNS0_4arch9wavefront6targetE0EEEvT1_
	.p2align	8
	.type	_ZN7rocprim17ROCPRIM_400000_NS6detail17trampoline_kernelINS0_14default_configENS1_25partition_config_selectorILNS1_17partition_subalgoE5ExNS0_10empty_typeEbEEZZNS1_14partition_implILS5_5ELb0ES3_mN6thrust23THRUST_200600_302600_NS6detail15normal_iteratorINSA_10device_ptrIxEEEEPS6_NSA_18transform_iteratorINSB_9not_fun_tINSA_8identityIxEEEESF_NSA_11use_defaultESM_EENS0_5tupleIJSF_S6_EEENSO_IJSG_SG_EEES6_PlJS6_EEE10hipError_tPvRmT3_T4_T5_T6_T7_T9_mT8_P12ihipStream_tbDpT10_ENKUlT_T0_E_clISt17integral_constantIbLb0EES1B_EEDaS16_S17_EUlS16_E_NS1_11comp_targetILNS1_3genE2ELNS1_11target_archE906ELNS1_3gpuE6ELNS1_3repE0EEENS1_30default_config_static_selectorELNS0_4arch9wavefront6targetE0EEEvT1_,@function
_ZN7rocprim17ROCPRIM_400000_NS6detail17trampoline_kernelINS0_14default_configENS1_25partition_config_selectorILNS1_17partition_subalgoE5ExNS0_10empty_typeEbEEZZNS1_14partition_implILS5_5ELb0ES3_mN6thrust23THRUST_200600_302600_NS6detail15normal_iteratorINSA_10device_ptrIxEEEEPS6_NSA_18transform_iteratorINSB_9not_fun_tINSA_8identityIxEEEESF_NSA_11use_defaultESM_EENS0_5tupleIJSF_S6_EEENSO_IJSG_SG_EEES6_PlJS6_EEE10hipError_tPvRmT3_T4_T5_T6_T7_T9_mT8_P12ihipStream_tbDpT10_ENKUlT_T0_E_clISt17integral_constantIbLb0EES1B_EEDaS16_S17_EUlS16_E_NS1_11comp_targetILNS1_3genE2ELNS1_11target_archE906ELNS1_3gpuE6ELNS1_3repE0EEENS1_30default_config_static_selectorELNS0_4arch9wavefront6targetE0EEEvT1_: ; @_ZN7rocprim17ROCPRIM_400000_NS6detail17trampoline_kernelINS0_14default_configENS1_25partition_config_selectorILNS1_17partition_subalgoE5ExNS0_10empty_typeEbEEZZNS1_14partition_implILS5_5ELb0ES3_mN6thrust23THRUST_200600_302600_NS6detail15normal_iteratorINSA_10device_ptrIxEEEEPS6_NSA_18transform_iteratorINSB_9not_fun_tINSA_8identityIxEEEESF_NSA_11use_defaultESM_EENS0_5tupleIJSF_S6_EEENSO_IJSG_SG_EEES6_PlJS6_EEE10hipError_tPvRmT3_T4_T5_T6_T7_T9_mT8_P12ihipStream_tbDpT10_ENKUlT_T0_E_clISt17integral_constantIbLb0EES1B_EEDaS16_S17_EUlS16_E_NS1_11comp_targetILNS1_3genE2ELNS1_11target_archE906ELNS1_3gpuE6ELNS1_3repE0EEENS1_30default_config_static_selectorELNS0_4arch9wavefront6targetE0EEEvT1_
; %bb.0:
	.section	.rodata,"a",@progbits
	.p2align	6, 0x0
	.amdhsa_kernel _ZN7rocprim17ROCPRIM_400000_NS6detail17trampoline_kernelINS0_14default_configENS1_25partition_config_selectorILNS1_17partition_subalgoE5ExNS0_10empty_typeEbEEZZNS1_14partition_implILS5_5ELb0ES3_mN6thrust23THRUST_200600_302600_NS6detail15normal_iteratorINSA_10device_ptrIxEEEEPS6_NSA_18transform_iteratorINSB_9not_fun_tINSA_8identityIxEEEESF_NSA_11use_defaultESM_EENS0_5tupleIJSF_S6_EEENSO_IJSG_SG_EEES6_PlJS6_EEE10hipError_tPvRmT3_T4_T5_T6_T7_T9_mT8_P12ihipStream_tbDpT10_ENKUlT_T0_E_clISt17integral_constantIbLb0EES1B_EEDaS16_S17_EUlS16_E_NS1_11comp_targetILNS1_3genE2ELNS1_11target_archE906ELNS1_3gpuE6ELNS1_3repE0EEENS1_30default_config_static_selectorELNS0_4arch9wavefront6targetE0EEEvT1_
		.amdhsa_group_segment_fixed_size 0
		.amdhsa_private_segment_fixed_size 0
		.amdhsa_kernarg_size 120
		.amdhsa_user_sgpr_count 2
		.amdhsa_user_sgpr_dispatch_ptr 0
		.amdhsa_user_sgpr_queue_ptr 0
		.amdhsa_user_sgpr_kernarg_segment_ptr 1
		.amdhsa_user_sgpr_dispatch_id 0
		.amdhsa_user_sgpr_private_segment_size 0
		.amdhsa_wavefront_size32 1
		.amdhsa_uses_dynamic_stack 0
		.amdhsa_enable_private_segment 0
		.amdhsa_system_sgpr_workgroup_id_x 1
		.amdhsa_system_sgpr_workgroup_id_y 0
		.amdhsa_system_sgpr_workgroup_id_z 0
		.amdhsa_system_sgpr_workgroup_info 0
		.amdhsa_system_vgpr_workitem_id 0
		.amdhsa_next_free_vgpr 1
		.amdhsa_next_free_sgpr 1
		.amdhsa_reserve_vcc 0
		.amdhsa_float_round_mode_32 0
		.amdhsa_float_round_mode_16_64 0
		.amdhsa_float_denorm_mode_32 3
		.amdhsa_float_denorm_mode_16_64 3
		.amdhsa_fp16_overflow 0
		.amdhsa_workgroup_processor_mode 1
		.amdhsa_memory_ordered 1
		.amdhsa_forward_progress 1
		.amdhsa_inst_pref_size 0
		.amdhsa_round_robin_scheduling 0
		.amdhsa_exception_fp_ieee_invalid_op 0
		.amdhsa_exception_fp_denorm_src 0
		.amdhsa_exception_fp_ieee_div_zero 0
		.amdhsa_exception_fp_ieee_overflow 0
		.amdhsa_exception_fp_ieee_underflow 0
		.amdhsa_exception_fp_ieee_inexact 0
		.amdhsa_exception_int_div_zero 0
	.end_amdhsa_kernel
	.section	.text._ZN7rocprim17ROCPRIM_400000_NS6detail17trampoline_kernelINS0_14default_configENS1_25partition_config_selectorILNS1_17partition_subalgoE5ExNS0_10empty_typeEbEEZZNS1_14partition_implILS5_5ELb0ES3_mN6thrust23THRUST_200600_302600_NS6detail15normal_iteratorINSA_10device_ptrIxEEEEPS6_NSA_18transform_iteratorINSB_9not_fun_tINSA_8identityIxEEEESF_NSA_11use_defaultESM_EENS0_5tupleIJSF_S6_EEENSO_IJSG_SG_EEES6_PlJS6_EEE10hipError_tPvRmT3_T4_T5_T6_T7_T9_mT8_P12ihipStream_tbDpT10_ENKUlT_T0_E_clISt17integral_constantIbLb0EES1B_EEDaS16_S17_EUlS16_E_NS1_11comp_targetILNS1_3genE2ELNS1_11target_archE906ELNS1_3gpuE6ELNS1_3repE0EEENS1_30default_config_static_selectorELNS0_4arch9wavefront6targetE0EEEvT1_,"axG",@progbits,_ZN7rocprim17ROCPRIM_400000_NS6detail17trampoline_kernelINS0_14default_configENS1_25partition_config_selectorILNS1_17partition_subalgoE5ExNS0_10empty_typeEbEEZZNS1_14partition_implILS5_5ELb0ES3_mN6thrust23THRUST_200600_302600_NS6detail15normal_iteratorINSA_10device_ptrIxEEEEPS6_NSA_18transform_iteratorINSB_9not_fun_tINSA_8identityIxEEEESF_NSA_11use_defaultESM_EENS0_5tupleIJSF_S6_EEENSO_IJSG_SG_EEES6_PlJS6_EEE10hipError_tPvRmT3_T4_T5_T6_T7_T9_mT8_P12ihipStream_tbDpT10_ENKUlT_T0_E_clISt17integral_constantIbLb0EES1B_EEDaS16_S17_EUlS16_E_NS1_11comp_targetILNS1_3genE2ELNS1_11target_archE906ELNS1_3gpuE6ELNS1_3repE0EEENS1_30default_config_static_selectorELNS0_4arch9wavefront6targetE0EEEvT1_,comdat
.Lfunc_end953:
	.size	_ZN7rocprim17ROCPRIM_400000_NS6detail17trampoline_kernelINS0_14default_configENS1_25partition_config_selectorILNS1_17partition_subalgoE5ExNS0_10empty_typeEbEEZZNS1_14partition_implILS5_5ELb0ES3_mN6thrust23THRUST_200600_302600_NS6detail15normal_iteratorINSA_10device_ptrIxEEEEPS6_NSA_18transform_iteratorINSB_9not_fun_tINSA_8identityIxEEEESF_NSA_11use_defaultESM_EENS0_5tupleIJSF_S6_EEENSO_IJSG_SG_EEES6_PlJS6_EEE10hipError_tPvRmT3_T4_T5_T6_T7_T9_mT8_P12ihipStream_tbDpT10_ENKUlT_T0_E_clISt17integral_constantIbLb0EES1B_EEDaS16_S17_EUlS16_E_NS1_11comp_targetILNS1_3genE2ELNS1_11target_archE906ELNS1_3gpuE6ELNS1_3repE0EEENS1_30default_config_static_selectorELNS0_4arch9wavefront6targetE0EEEvT1_, .Lfunc_end953-_ZN7rocprim17ROCPRIM_400000_NS6detail17trampoline_kernelINS0_14default_configENS1_25partition_config_selectorILNS1_17partition_subalgoE5ExNS0_10empty_typeEbEEZZNS1_14partition_implILS5_5ELb0ES3_mN6thrust23THRUST_200600_302600_NS6detail15normal_iteratorINSA_10device_ptrIxEEEEPS6_NSA_18transform_iteratorINSB_9not_fun_tINSA_8identityIxEEEESF_NSA_11use_defaultESM_EENS0_5tupleIJSF_S6_EEENSO_IJSG_SG_EEES6_PlJS6_EEE10hipError_tPvRmT3_T4_T5_T6_T7_T9_mT8_P12ihipStream_tbDpT10_ENKUlT_T0_E_clISt17integral_constantIbLb0EES1B_EEDaS16_S17_EUlS16_E_NS1_11comp_targetILNS1_3genE2ELNS1_11target_archE906ELNS1_3gpuE6ELNS1_3repE0EEENS1_30default_config_static_selectorELNS0_4arch9wavefront6targetE0EEEvT1_
                                        ; -- End function
	.set _ZN7rocprim17ROCPRIM_400000_NS6detail17trampoline_kernelINS0_14default_configENS1_25partition_config_selectorILNS1_17partition_subalgoE5ExNS0_10empty_typeEbEEZZNS1_14partition_implILS5_5ELb0ES3_mN6thrust23THRUST_200600_302600_NS6detail15normal_iteratorINSA_10device_ptrIxEEEEPS6_NSA_18transform_iteratorINSB_9not_fun_tINSA_8identityIxEEEESF_NSA_11use_defaultESM_EENS0_5tupleIJSF_S6_EEENSO_IJSG_SG_EEES6_PlJS6_EEE10hipError_tPvRmT3_T4_T5_T6_T7_T9_mT8_P12ihipStream_tbDpT10_ENKUlT_T0_E_clISt17integral_constantIbLb0EES1B_EEDaS16_S17_EUlS16_E_NS1_11comp_targetILNS1_3genE2ELNS1_11target_archE906ELNS1_3gpuE6ELNS1_3repE0EEENS1_30default_config_static_selectorELNS0_4arch9wavefront6targetE0EEEvT1_.num_vgpr, 0
	.set _ZN7rocprim17ROCPRIM_400000_NS6detail17trampoline_kernelINS0_14default_configENS1_25partition_config_selectorILNS1_17partition_subalgoE5ExNS0_10empty_typeEbEEZZNS1_14partition_implILS5_5ELb0ES3_mN6thrust23THRUST_200600_302600_NS6detail15normal_iteratorINSA_10device_ptrIxEEEEPS6_NSA_18transform_iteratorINSB_9not_fun_tINSA_8identityIxEEEESF_NSA_11use_defaultESM_EENS0_5tupleIJSF_S6_EEENSO_IJSG_SG_EEES6_PlJS6_EEE10hipError_tPvRmT3_T4_T5_T6_T7_T9_mT8_P12ihipStream_tbDpT10_ENKUlT_T0_E_clISt17integral_constantIbLb0EES1B_EEDaS16_S17_EUlS16_E_NS1_11comp_targetILNS1_3genE2ELNS1_11target_archE906ELNS1_3gpuE6ELNS1_3repE0EEENS1_30default_config_static_selectorELNS0_4arch9wavefront6targetE0EEEvT1_.num_agpr, 0
	.set _ZN7rocprim17ROCPRIM_400000_NS6detail17trampoline_kernelINS0_14default_configENS1_25partition_config_selectorILNS1_17partition_subalgoE5ExNS0_10empty_typeEbEEZZNS1_14partition_implILS5_5ELb0ES3_mN6thrust23THRUST_200600_302600_NS6detail15normal_iteratorINSA_10device_ptrIxEEEEPS6_NSA_18transform_iteratorINSB_9not_fun_tINSA_8identityIxEEEESF_NSA_11use_defaultESM_EENS0_5tupleIJSF_S6_EEENSO_IJSG_SG_EEES6_PlJS6_EEE10hipError_tPvRmT3_T4_T5_T6_T7_T9_mT8_P12ihipStream_tbDpT10_ENKUlT_T0_E_clISt17integral_constantIbLb0EES1B_EEDaS16_S17_EUlS16_E_NS1_11comp_targetILNS1_3genE2ELNS1_11target_archE906ELNS1_3gpuE6ELNS1_3repE0EEENS1_30default_config_static_selectorELNS0_4arch9wavefront6targetE0EEEvT1_.numbered_sgpr, 0
	.set _ZN7rocprim17ROCPRIM_400000_NS6detail17trampoline_kernelINS0_14default_configENS1_25partition_config_selectorILNS1_17partition_subalgoE5ExNS0_10empty_typeEbEEZZNS1_14partition_implILS5_5ELb0ES3_mN6thrust23THRUST_200600_302600_NS6detail15normal_iteratorINSA_10device_ptrIxEEEEPS6_NSA_18transform_iteratorINSB_9not_fun_tINSA_8identityIxEEEESF_NSA_11use_defaultESM_EENS0_5tupleIJSF_S6_EEENSO_IJSG_SG_EEES6_PlJS6_EEE10hipError_tPvRmT3_T4_T5_T6_T7_T9_mT8_P12ihipStream_tbDpT10_ENKUlT_T0_E_clISt17integral_constantIbLb0EES1B_EEDaS16_S17_EUlS16_E_NS1_11comp_targetILNS1_3genE2ELNS1_11target_archE906ELNS1_3gpuE6ELNS1_3repE0EEENS1_30default_config_static_selectorELNS0_4arch9wavefront6targetE0EEEvT1_.num_named_barrier, 0
	.set _ZN7rocprim17ROCPRIM_400000_NS6detail17trampoline_kernelINS0_14default_configENS1_25partition_config_selectorILNS1_17partition_subalgoE5ExNS0_10empty_typeEbEEZZNS1_14partition_implILS5_5ELb0ES3_mN6thrust23THRUST_200600_302600_NS6detail15normal_iteratorINSA_10device_ptrIxEEEEPS6_NSA_18transform_iteratorINSB_9not_fun_tINSA_8identityIxEEEESF_NSA_11use_defaultESM_EENS0_5tupleIJSF_S6_EEENSO_IJSG_SG_EEES6_PlJS6_EEE10hipError_tPvRmT3_T4_T5_T6_T7_T9_mT8_P12ihipStream_tbDpT10_ENKUlT_T0_E_clISt17integral_constantIbLb0EES1B_EEDaS16_S17_EUlS16_E_NS1_11comp_targetILNS1_3genE2ELNS1_11target_archE906ELNS1_3gpuE6ELNS1_3repE0EEENS1_30default_config_static_selectorELNS0_4arch9wavefront6targetE0EEEvT1_.private_seg_size, 0
	.set _ZN7rocprim17ROCPRIM_400000_NS6detail17trampoline_kernelINS0_14default_configENS1_25partition_config_selectorILNS1_17partition_subalgoE5ExNS0_10empty_typeEbEEZZNS1_14partition_implILS5_5ELb0ES3_mN6thrust23THRUST_200600_302600_NS6detail15normal_iteratorINSA_10device_ptrIxEEEEPS6_NSA_18transform_iteratorINSB_9not_fun_tINSA_8identityIxEEEESF_NSA_11use_defaultESM_EENS0_5tupleIJSF_S6_EEENSO_IJSG_SG_EEES6_PlJS6_EEE10hipError_tPvRmT3_T4_T5_T6_T7_T9_mT8_P12ihipStream_tbDpT10_ENKUlT_T0_E_clISt17integral_constantIbLb0EES1B_EEDaS16_S17_EUlS16_E_NS1_11comp_targetILNS1_3genE2ELNS1_11target_archE906ELNS1_3gpuE6ELNS1_3repE0EEENS1_30default_config_static_selectorELNS0_4arch9wavefront6targetE0EEEvT1_.uses_vcc, 0
	.set _ZN7rocprim17ROCPRIM_400000_NS6detail17trampoline_kernelINS0_14default_configENS1_25partition_config_selectorILNS1_17partition_subalgoE5ExNS0_10empty_typeEbEEZZNS1_14partition_implILS5_5ELb0ES3_mN6thrust23THRUST_200600_302600_NS6detail15normal_iteratorINSA_10device_ptrIxEEEEPS6_NSA_18transform_iteratorINSB_9not_fun_tINSA_8identityIxEEEESF_NSA_11use_defaultESM_EENS0_5tupleIJSF_S6_EEENSO_IJSG_SG_EEES6_PlJS6_EEE10hipError_tPvRmT3_T4_T5_T6_T7_T9_mT8_P12ihipStream_tbDpT10_ENKUlT_T0_E_clISt17integral_constantIbLb0EES1B_EEDaS16_S17_EUlS16_E_NS1_11comp_targetILNS1_3genE2ELNS1_11target_archE906ELNS1_3gpuE6ELNS1_3repE0EEENS1_30default_config_static_selectorELNS0_4arch9wavefront6targetE0EEEvT1_.uses_flat_scratch, 0
	.set _ZN7rocprim17ROCPRIM_400000_NS6detail17trampoline_kernelINS0_14default_configENS1_25partition_config_selectorILNS1_17partition_subalgoE5ExNS0_10empty_typeEbEEZZNS1_14partition_implILS5_5ELb0ES3_mN6thrust23THRUST_200600_302600_NS6detail15normal_iteratorINSA_10device_ptrIxEEEEPS6_NSA_18transform_iteratorINSB_9not_fun_tINSA_8identityIxEEEESF_NSA_11use_defaultESM_EENS0_5tupleIJSF_S6_EEENSO_IJSG_SG_EEES6_PlJS6_EEE10hipError_tPvRmT3_T4_T5_T6_T7_T9_mT8_P12ihipStream_tbDpT10_ENKUlT_T0_E_clISt17integral_constantIbLb0EES1B_EEDaS16_S17_EUlS16_E_NS1_11comp_targetILNS1_3genE2ELNS1_11target_archE906ELNS1_3gpuE6ELNS1_3repE0EEENS1_30default_config_static_selectorELNS0_4arch9wavefront6targetE0EEEvT1_.has_dyn_sized_stack, 0
	.set _ZN7rocprim17ROCPRIM_400000_NS6detail17trampoline_kernelINS0_14default_configENS1_25partition_config_selectorILNS1_17partition_subalgoE5ExNS0_10empty_typeEbEEZZNS1_14partition_implILS5_5ELb0ES3_mN6thrust23THRUST_200600_302600_NS6detail15normal_iteratorINSA_10device_ptrIxEEEEPS6_NSA_18transform_iteratorINSB_9not_fun_tINSA_8identityIxEEEESF_NSA_11use_defaultESM_EENS0_5tupleIJSF_S6_EEENSO_IJSG_SG_EEES6_PlJS6_EEE10hipError_tPvRmT3_T4_T5_T6_T7_T9_mT8_P12ihipStream_tbDpT10_ENKUlT_T0_E_clISt17integral_constantIbLb0EES1B_EEDaS16_S17_EUlS16_E_NS1_11comp_targetILNS1_3genE2ELNS1_11target_archE906ELNS1_3gpuE6ELNS1_3repE0EEENS1_30default_config_static_selectorELNS0_4arch9wavefront6targetE0EEEvT1_.has_recursion, 0
	.set _ZN7rocprim17ROCPRIM_400000_NS6detail17trampoline_kernelINS0_14default_configENS1_25partition_config_selectorILNS1_17partition_subalgoE5ExNS0_10empty_typeEbEEZZNS1_14partition_implILS5_5ELb0ES3_mN6thrust23THRUST_200600_302600_NS6detail15normal_iteratorINSA_10device_ptrIxEEEEPS6_NSA_18transform_iteratorINSB_9not_fun_tINSA_8identityIxEEEESF_NSA_11use_defaultESM_EENS0_5tupleIJSF_S6_EEENSO_IJSG_SG_EEES6_PlJS6_EEE10hipError_tPvRmT3_T4_T5_T6_T7_T9_mT8_P12ihipStream_tbDpT10_ENKUlT_T0_E_clISt17integral_constantIbLb0EES1B_EEDaS16_S17_EUlS16_E_NS1_11comp_targetILNS1_3genE2ELNS1_11target_archE906ELNS1_3gpuE6ELNS1_3repE0EEENS1_30default_config_static_selectorELNS0_4arch9wavefront6targetE0EEEvT1_.has_indirect_call, 0
	.section	.AMDGPU.csdata,"",@progbits
; Kernel info:
; codeLenInByte = 0
; TotalNumSgprs: 0
; NumVgprs: 0
; ScratchSize: 0
; MemoryBound: 0
; FloatMode: 240
; IeeeMode: 1
; LDSByteSize: 0 bytes/workgroup (compile time only)
; SGPRBlocks: 0
; VGPRBlocks: 0
; NumSGPRsForWavesPerEU: 1
; NumVGPRsForWavesPerEU: 1
; Occupancy: 16
; WaveLimiterHint : 0
; COMPUTE_PGM_RSRC2:SCRATCH_EN: 0
; COMPUTE_PGM_RSRC2:USER_SGPR: 2
; COMPUTE_PGM_RSRC2:TRAP_HANDLER: 0
; COMPUTE_PGM_RSRC2:TGID_X_EN: 1
; COMPUTE_PGM_RSRC2:TGID_Y_EN: 0
; COMPUTE_PGM_RSRC2:TGID_Z_EN: 0
; COMPUTE_PGM_RSRC2:TIDIG_COMP_CNT: 0
	.section	.text._ZN7rocprim17ROCPRIM_400000_NS6detail17trampoline_kernelINS0_14default_configENS1_25partition_config_selectorILNS1_17partition_subalgoE5ExNS0_10empty_typeEbEEZZNS1_14partition_implILS5_5ELb0ES3_mN6thrust23THRUST_200600_302600_NS6detail15normal_iteratorINSA_10device_ptrIxEEEEPS6_NSA_18transform_iteratorINSB_9not_fun_tINSA_8identityIxEEEESF_NSA_11use_defaultESM_EENS0_5tupleIJSF_S6_EEENSO_IJSG_SG_EEES6_PlJS6_EEE10hipError_tPvRmT3_T4_T5_T6_T7_T9_mT8_P12ihipStream_tbDpT10_ENKUlT_T0_E_clISt17integral_constantIbLb0EES1B_EEDaS16_S17_EUlS16_E_NS1_11comp_targetILNS1_3genE10ELNS1_11target_archE1200ELNS1_3gpuE4ELNS1_3repE0EEENS1_30default_config_static_selectorELNS0_4arch9wavefront6targetE0EEEvT1_,"axG",@progbits,_ZN7rocprim17ROCPRIM_400000_NS6detail17trampoline_kernelINS0_14default_configENS1_25partition_config_selectorILNS1_17partition_subalgoE5ExNS0_10empty_typeEbEEZZNS1_14partition_implILS5_5ELb0ES3_mN6thrust23THRUST_200600_302600_NS6detail15normal_iteratorINSA_10device_ptrIxEEEEPS6_NSA_18transform_iteratorINSB_9not_fun_tINSA_8identityIxEEEESF_NSA_11use_defaultESM_EENS0_5tupleIJSF_S6_EEENSO_IJSG_SG_EEES6_PlJS6_EEE10hipError_tPvRmT3_T4_T5_T6_T7_T9_mT8_P12ihipStream_tbDpT10_ENKUlT_T0_E_clISt17integral_constantIbLb0EES1B_EEDaS16_S17_EUlS16_E_NS1_11comp_targetILNS1_3genE10ELNS1_11target_archE1200ELNS1_3gpuE4ELNS1_3repE0EEENS1_30default_config_static_selectorELNS0_4arch9wavefront6targetE0EEEvT1_,comdat
	.protected	_ZN7rocprim17ROCPRIM_400000_NS6detail17trampoline_kernelINS0_14default_configENS1_25partition_config_selectorILNS1_17partition_subalgoE5ExNS0_10empty_typeEbEEZZNS1_14partition_implILS5_5ELb0ES3_mN6thrust23THRUST_200600_302600_NS6detail15normal_iteratorINSA_10device_ptrIxEEEEPS6_NSA_18transform_iteratorINSB_9not_fun_tINSA_8identityIxEEEESF_NSA_11use_defaultESM_EENS0_5tupleIJSF_S6_EEENSO_IJSG_SG_EEES6_PlJS6_EEE10hipError_tPvRmT3_T4_T5_T6_T7_T9_mT8_P12ihipStream_tbDpT10_ENKUlT_T0_E_clISt17integral_constantIbLb0EES1B_EEDaS16_S17_EUlS16_E_NS1_11comp_targetILNS1_3genE10ELNS1_11target_archE1200ELNS1_3gpuE4ELNS1_3repE0EEENS1_30default_config_static_selectorELNS0_4arch9wavefront6targetE0EEEvT1_ ; -- Begin function _ZN7rocprim17ROCPRIM_400000_NS6detail17trampoline_kernelINS0_14default_configENS1_25partition_config_selectorILNS1_17partition_subalgoE5ExNS0_10empty_typeEbEEZZNS1_14partition_implILS5_5ELb0ES3_mN6thrust23THRUST_200600_302600_NS6detail15normal_iteratorINSA_10device_ptrIxEEEEPS6_NSA_18transform_iteratorINSB_9not_fun_tINSA_8identityIxEEEESF_NSA_11use_defaultESM_EENS0_5tupleIJSF_S6_EEENSO_IJSG_SG_EEES6_PlJS6_EEE10hipError_tPvRmT3_T4_T5_T6_T7_T9_mT8_P12ihipStream_tbDpT10_ENKUlT_T0_E_clISt17integral_constantIbLb0EES1B_EEDaS16_S17_EUlS16_E_NS1_11comp_targetILNS1_3genE10ELNS1_11target_archE1200ELNS1_3gpuE4ELNS1_3repE0EEENS1_30default_config_static_selectorELNS0_4arch9wavefront6targetE0EEEvT1_
	.globl	_ZN7rocprim17ROCPRIM_400000_NS6detail17trampoline_kernelINS0_14default_configENS1_25partition_config_selectorILNS1_17partition_subalgoE5ExNS0_10empty_typeEbEEZZNS1_14partition_implILS5_5ELb0ES3_mN6thrust23THRUST_200600_302600_NS6detail15normal_iteratorINSA_10device_ptrIxEEEEPS6_NSA_18transform_iteratorINSB_9not_fun_tINSA_8identityIxEEEESF_NSA_11use_defaultESM_EENS0_5tupleIJSF_S6_EEENSO_IJSG_SG_EEES6_PlJS6_EEE10hipError_tPvRmT3_T4_T5_T6_T7_T9_mT8_P12ihipStream_tbDpT10_ENKUlT_T0_E_clISt17integral_constantIbLb0EES1B_EEDaS16_S17_EUlS16_E_NS1_11comp_targetILNS1_3genE10ELNS1_11target_archE1200ELNS1_3gpuE4ELNS1_3repE0EEENS1_30default_config_static_selectorELNS0_4arch9wavefront6targetE0EEEvT1_
	.p2align	8
	.type	_ZN7rocprim17ROCPRIM_400000_NS6detail17trampoline_kernelINS0_14default_configENS1_25partition_config_selectorILNS1_17partition_subalgoE5ExNS0_10empty_typeEbEEZZNS1_14partition_implILS5_5ELb0ES3_mN6thrust23THRUST_200600_302600_NS6detail15normal_iteratorINSA_10device_ptrIxEEEEPS6_NSA_18transform_iteratorINSB_9not_fun_tINSA_8identityIxEEEESF_NSA_11use_defaultESM_EENS0_5tupleIJSF_S6_EEENSO_IJSG_SG_EEES6_PlJS6_EEE10hipError_tPvRmT3_T4_T5_T6_T7_T9_mT8_P12ihipStream_tbDpT10_ENKUlT_T0_E_clISt17integral_constantIbLb0EES1B_EEDaS16_S17_EUlS16_E_NS1_11comp_targetILNS1_3genE10ELNS1_11target_archE1200ELNS1_3gpuE4ELNS1_3repE0EEENS1_30default_config_static_selectorELNS0_4arch9wavefront6targetE0EEEvT1_,@function
_ZN7rocprim17ROCPRIM_400000_NS6detail17trampoline_kernelINS0_14default_configENS1_25partition_config_selectorILNS1_17partition_subalgoE5ExNS0_10empty_typeEbEEZZNS1_14partition_implILS5_5ELb0ES3_mN6thrust23THRUST_200600_302600_NS6detail15normal_iteratorINSA_10device_ptrIxEEEEPS6_NSA_18transform_iteratorINSB_9not_fun_tINSA_8identityIxEEEESF_NSA_11use_defaultESM_EENS0_5tupleIJSF_S6_EEENSO_IJSG_SG_EEES6_PlJS6_EEE10hipError_tPvRmT3_T4_T5_T6_T7_T9_mT8_P12ihipStream_tbDpT10_ENKUlT_T0_E_clISt17integral_constantIbLb0EES1B_EEDaS16_S17_EUlS16_E_NS1_11comp_targetILNS1_3genE10ELNS1_11target_archE1200ELNS1_3gpuE4ELNS1_3repE0EEENS1_30default_config_static_selectorELNS0_4arch9wavefront6targetE0EEEvT1_: ; @_ZN7rocprim17ROCPRIM_400000_NS6detail17trampoline_kernelINS0_14default_configENS1_25partition_config_selectorILNS1_17partition_subalgoE5ExNS0_10empty_typeEbEEZZNS1_14partition_implILS5_5ELb0ES3_mN6thrust23THRUST_200600_302600_NS6detail15normal_iteratorINSA_10device_ptrIxEEEEPS6_NSA_18transform_iteratorINSB_9not_fun_tINSA_8identityIxEEEESF_NSA_11use_defaultESM_EENS0_5tupleIJSF_S6_EEENSO_IJSG_SG_EEES6_PlJS6_EEE10hipError_tPvRmT3_T4_T5_T6_T7_T9_mT8_P12ihipStream_tbDpT10_ENKUlT_T0_E_clISt17integral_constantIbLb0EES1B_EEDaS16_S17_EUlS16_E_NS1_11comp_targetILNS1_3genE10ELNS1_11target_archE1200ELNS1_3gpuE4ELNS1_3repE0EEENS1_30default_config_static_selectorELNS0_4arch9wavefront6targetE0EEEvT1_
; %bb.0:
	s_clause 0x3
	s_load_b128 s[4:7], s[0:1], 0x8
	s_load_b128 s[8:11], s[0:1], 0x48
	s_load_b32 s2, s[0:1], 0x70
	s_load_b64 s[14:15], s[0:1], 0x58
	s_mov_b32 s17, 0
	s_lshl_b32 s20, ttmp9, 10
	s_mov_b32 s21, s17
	v_lshrrev_b32_e32 v11, 2, v0
	v_or_b32_e32 v9, 0x200, v0
	v_or_b32_e32 v10, 0x300, v0
	s_mov_b32 s3, -1
	s_wait_kmcnt 0x0
	s_lshl_b64 s[12:13], s[6:7], 3
	s_load_b64 s[10:11], s[10:11], 0x0
	s_add_co_i32 s19, s2, -1
	s_lshl_b32 s16, s2, 10
	s_lshl_b32 s2, s19, 10
	s_add_nc_u64 s[16:17], s[6:7], s[16:17]
	s_add_co_i32 s2, s6, s2
	v_cmp_le_u64_e64 s6, s[14:15], s[16:17]
	s_sub_co_i32 s18, s14, s2
	s_cmp_eq_u32 ttmp9, s19
	s_cselect_b32 s16, -1, 0
	s_wait_alu 0xfffe
	s_and_b32 s2, s16, s6
	s_add_nc_u64 s[6:7], s[4:5], s[12:13]
	s_xor_b32 s17, s2, -1
	s_lshl_b64 s[4:5], s[20:21], 3
	s_wait_alu 0xfffe
	s_and_b32 vcc_lo, exec_lo, s17
	s_add_nc_u64 s[14:15], s[6:7], s[4:5]
	s_cbranch_vccz .LBB954_2
; %bb.1:
	v_lshlrev_b32_e32 v12, 3, v0
	v_or_b32_e32 v13, 0x100, v0
	v_lshrrev_b32_e32 v14, 2, v9
	v_lshrrev_b32_e32 v15, 2, v10
	v_and_b32_e32 v16, 56, v11
	s_wait_alu 0xfffe
	v_add_co_u32 v1, s2, s14, v12
	s_delay_alu instid0(VALU_DEP_1)
	v_add_co_ci_u32_e64 v2, null, s15, 0, s2
	v_lshrrev_b32_e32 v13, 2, v13
	v_and_b32_e32 v14, 0xb8, v14
	v_and_b32_e32 v15, 0xf8, v15
	s_clause 0x3
	flat_load_b64 v[3:4], v[1:2]
	flat_load_b64 v[5:6], v[1:2] offset:2048
	flat_load_b64 v[7:8], v[1:2] offset:4096
	;; [unrolled: 1-line block ×3, first 2 shown]
	v_add_nc_u32_e32 v16, v16, v12
	v_and_b32_e32 v13, 0x78, v13
	v_add_nc_u32_e32 v14, v14, v12
	s_mov_b32 s3, 0
	s_delay_alu instid0(VALU_DEP_2)
	v_add_nc_u32_e32 v13, v13, v12
	v_add_nc_u32_e32 v12, v15, v12
	s_wait_loadcnt_dscnt 0x303
	ds_store_b64 v16, v[3:4]
	s_wait_loadcnt_dscnt 0x203
	ds_store_b64 v13, v[5:6] offset:2048
	s_wait_loadcnt_dscnt 0x103
	ds_store_b64 v14, v[7:8] offset:4096
	;; [unrolled: 2-line block ×3, first 2 shown]
	s_wait_dscnt 0x0
	s_barrier_signal -1
	s_barrier_wait -1
.LBB954_2:
	s_load_b64 s[6:7], s[0:1], 0x20
	v_cmp_gt_u32_e64 s2, s18, v0
	s_and_not1_b32 vcc_lo, exec_lo, s3
	s_cbranch_vccnz .LBB954_10
; %bb.3:
	v_mov_b32_e32 v1, 0
	s_delay_alu instid0(VALU_DEP_1)
	v_dual_mov_b32 v2, v1 :: v_dual_mov_b32 v3, v1
	v_dual_mov_b32 v4, v1 :: v_dual_mov_b32 v5, v1
	;; [unrolled: 1-line block ×3, first 2 shown]
	v_mov_b32_e32 v8, v1
	s_and_saveexec_b32 s3, s2
	s_cbranch_execz .LBB954_5
; %bb.4:
	v_dual_mov_b32 v15, v1 :: v_dual_lshlrev_b32 v2, 3, v0
	v_dual_mov_b32 v14, v1 :: v_dual_mov_b32 v17, v1
	v_dual_mov_b32 v16, v1 :: v_dual_mov_b32 v19, v1
	s_delay_alu instid0(VALU_DEP_3)
	v_add_co_u32 v2, s2, s14, v2
	s_wait_alu 0xf1ff
	v_add_co_ci_u32_e64 v3, null, s15, 0, s2
	v_mov_b32_e32 v18, v1
	flat_load_b64 v[12:13], v[2:3]
	s_wait_loadcnt_dscnt 0x0
	v_dual_mov_b32 v1, v12 :: v_dual_mov_b32 v2, v13
	v_dual_mov_b32 v3, v14 :: v_dual_mov_b32 v4, v15
	;; [unrolled: 1-line block ×4, first 2 shown]
.LBB954_5:
	s_wait_alu 0xfffe
	s_or_b32 exec_lo, exec_lo, s3
	v_or_b32_e32 v12, 0x100, v0
	s_mov_b32 s2, exec_lo
	s_delay_alu instid0(VALU_DEP_1)
	v_cmpx_gt_u32_e64 s18, v12
	s_cbranch_execnz .LBB954_134
; %bb.6:
	s_wait_alu 0xfffe
	s_or_b32 exec_lo, exec_lo, s2
	s_delay_alu instid0(SALU_CYCLE_1)
	s_mov_b32 s2, exec_lo
	v_cmpx_gt_u32_e64 s18, v9
	s_cbranch_execnz .LBB954_135
.LBB954_7:
	s_wait_alu 0xfffe
	s_or_b32 exec_lo, exec_lo, s2
	s_delay_alu instid0(SALU_CYCLE_1)
	s_mov_b32 s2, exec_lo
	v_cmpx_gt_u32_e64 s18, v10
	s_cbranch_execz .LBB954_9
.LBB954_8:
	v_lshlrev_b32_e32 v7, 3, v0
	s_delay_alu instid0(VALU_DEP_1)
	v_add_co_u32 v7, s3, s14, v7
	s_wait_alu 0xf1ff
	v_add_co_ci_u32_e64 v8, null, s15, 0, s3
	flat_load_b64 v[7:8], v[7:8] offset:6144
.LBB954_9:
	s_wait_alu 0xfffe
	s_or_b32 exec_lo, exec_lo, s2
	v_lshrrev_b32_e32 v12, 2, v12
	v_lshrrev_b32_e32 v13, 2, v9
	;; [unrolled: 1-line block ×3, first 2 shown]
	v_and_b32_e32 v11, 56, v11
	v_lshlrev_b32_e32 v15, 3, v0
	v_and_b32_e32 v12, 0x78, v12
	v_and_b32_e32 v13, 0xf8, v13
	v_and_b32_e32 v14, 0xf8, v14
	s_delay_alu instid0(VALU_DEP_4) | instskip(NEXT) | instid1(VALU_DEP_4)
	v_add_nc_u32_e32 v11, v11, v15
	v_add_nc_u32_e32 v12, v12, v15
	s_delay_alu instid0(VALU_DEP_4) | instskip(NEXT) | instid1(VALU_DEP_4)
	v_add_nc_u32_e32 v13, v13, v15
	v_add_nc_u32_e32 v14, v14, v15
	ds_store_b64 v11, v[1:2]
	s_wait_loadcnt_dscnt 0x1
	ds_store_b64 v12, v[3:4] offset:2048
	ds_store_b64 v13, v[5:6] offset:4096
	;; [unrolled: 1-line block ×3, first 2 shown]
	s_wait_dscnt 0x0
	s_barrier_signal -1
	s_barrier_wait -1
.LBB954_10:
	v_and_b32_e32 v1, 0xf8, v0
	global_inv scope:SCOPE_SE
	v_lshrrev_b32_e32 v26, 5, v0
	s_wait_kmcnt 0x0
	s_add_nc_u64 s[2:3], s[6:7], s[12:13]
	s_and_b32 vcc_lo, exec_lo, s17
	v_lshl_add_u32 v1, v0, 5, v1
	s_wait_alu 0xfffe
	s_add_nc_u64 s[2:3], s[2:3], s[4:5]
	s_mov_b32 s4, -1
	ds_load_2addr_b64 v[5:8], v1 offset1:1
	ds_load_2addr_b64 v[1:4], v1 offset0:2 offset1:3
	s_wait_loadcnt_dscnt 0x0
	s_barrier_signal -1
	s_barrier_wait -1
	global_inv scope:SCOPE_SE
	s_cbranch_vccz .LBB954_12
; %bb.11:
	v_lshlrev_b32_e32 v17, 3, v0
	v_or_b32_e32 v19, 0x100, v0
	v_lshrrev_b32_e32 v20, 5, v9
	v_lshrrev_b32_e32 v21, 5, v10
	v_and_b32_e32 v22, 4, v26
	s_clause 0x3
	global_load_b64 v[11:12], v17, s[2:3]
	global_load_b64 v[13:14], v17, s[2:3] offset:2048
	global_load_b64 v[15:16], v17, s[2:3] offset:4096
	;; [unrolled: 1-line block ×3, first 2 shown]
	v_lshrrev_b32_e32 v19, 5, v19
	v_and_b32_e32 v20, 20, v20
	v_and_b32_e32 v21, 28, v21
	v_add_nc_u32_e32 v22, v22, v0
	s_mov_b32 s4, 0
	v_and_b32_e32 v19, 12, v19
	v_add_nc_u32_e32 v20, v20, v0
	v_add_nc_u32_e32 v21, v21, v0
	s_delay_alu instid0(VALU_DEP_3)
	v_add_nc_u32_e32 v19, v19, v0
	s_wait_loadcnt 0x3
	v_cmp_eq_u64_e32 vcc_lo, 0, v[11:12]
	v_cndmask_b32_e64 v11, 0, 1, vcc_lo
	s_wait_loadcnt 0x2
	v_cmp_eq_u64_e32 vcc_lo, 0, v[13:14]
	s_wait_alu 0xfffd
	v_cndmask_b32_e64 v12, 0, 1, vcc_lo
	s_wait_loadcnt 0x1
	v_cmp_eq_u64_e32 vcc_lo, 0, v[15:16]
	s_wait_alu 0xfffd
	;; [unrolled: 4-line block ×3, first 2 shown]
	v_cndmask_b32_e64 v14, 0, 1, vcc_lo
	ds_store_b8 v22, v11
	ds_store_b8 v19, v12 offset:256
	ds_store_b8 v20, v13 offset:512
	;; [unrolled: 1-line block ×3, first 2 shown]
	s_wait_dscnt 0x0
	s_barrier_signal -1
	s_barrier_wait -1
.LBB954_12:
	v_lshlrev_b32_e32 v11, 2, v0
	v_lshrrev_b32_e32 v12, 3, v0
	s_and_not1_b32 vcc_lo, exec_lo, s4
	s_wait_alu 0xfffe
	s_cbranch_vccnz .LBB954_20
; %bb.13:
	v_dual_mov_b32 v13, 0 :: v_dual_mov_b32 v14, 0
	s_mov_b32 s4, exec_lo
	v_cmpx_gt_u32_e64 s18, v0
	s_cbranch_execz .LBB954_15
; %bb.14:
	v_lshlrev_b32_e32 v13, 3, v0
	global_load_b64 v[13:14], v13, s[2:3]
	s_wait_loadcnt 0x0
	v_cmp_eq_u64_e32 vcc_lo, 0, v[13:14]
	s_wait_alu 0xfffd
	v_cndmask_b32_e64 v13, 0, 1, vcc_lo
	v_cndmask_b32_e64 v14, 0, 1, vcc_lo
.LBB954_15:
	s_or_b32 exec_lo, exec_lo, s4
	v_or_b32_e32 v15, 0x100, v0
	s_mov_b32 s4, exec_lo
	s_delay_alu instid0(VALU_DEP_1)
	v_cmpx_gt_u32_e64 s18, v15
	s_cbranch_execnz .LBB954_136
; %bb.16:
	s_or_b32 exec_lo, exec_lo, s4
	s_delay_alu instid0(SALU_CYCLE_1)
	s_mov_b32 s4, exec_lo
	v_cmpx_gt_u32_e64 s18, v9
	s_cbranch_execnz .LBB954_137
.LBB954_17:
	s_or_b32 exec_lo, exec_lo, s4
	s_delay_alu instid0(SALU_CYCLE_1)
	s_mov_b32 s4, exec_lo
	v_cmpx_gt_u32_e64 s18, v10
	s_cbranch_execz .LBB954_19
.LBB954_18:
	v_lshlrev_b32_e32 v16, 3, v0
	global_load_b64 v[16:17], v16, s[2:3] offset:6144
	s_wait_loadcnt 0x0
	v_cmp_eq_u64_e32 vcc_lo, 0, v[16:17]
	v_lshrrev_b32_e32 v17, 16, v14
	s_wait_alu 0xfffd
	v_cndmask_b32_e64 v16, 0, 1, vcc_lo
	s_delay_alu instid0(VALU_DEP_1) | instskip(NEXT) | instid1(VALU_DEP_1)
	v_lshlrev_b16 v16, 8, v16
	v_or_b32_e32 v16, v17, v16
	s_delay_alu instid0(VALU_DEP_1) | instskip(NEXT) | instid1(VALU_DEP_1)
	v_lshlrev_b32_e32 v16, 16, v16
	v_and_or_b32 v14, 0xffff, v14, v16
.LBB954_19:
	s_or_b32 exec_lo, exec_lo, s4
	v_lshrrev_b32_e32 v15, 5, v15
	v_lshrrev_b32_e32 v9, 5, v9
	;; [unrolled: 1-line block ×3, first 2 shown]
	v_and_b32_e32 v16, 4, v26
	v_lshrrev_b32_e32 v17, 8, v14
	v_and_b32_e32 v15, 12, v15
	v_and_b32_e32 v9, 28, v9
	;; [unrolled: 1-line block ×3, first 2 shown]
	v_add_nc_u32_e32 v16, v16, v0
	v_lshrrev_b32_e32 v18, 24, v14
	v_add_nc_u32_e32 v15, v15, v0
	v_add_nc_u32_e32 v9, v9, v0
	;; [unrolled: 1-line block ×3, first 2 shown]
	ds_store_b8 v16, v13
	ds_store_b8 v15, v17 offset:256
	ds_store_b8_d16_hi v9, v14 offset:512
	ds_store_b8 v10, v18 offset:768
	s_wait_loadcnt_dscnt 0x0
	s_barrier_signal -1
	s_barrier_wait -1
.LBB954_20:
	s_delay_alu instid0(VALU_DEP_1)
	v_dual_mov_b32 v10, 0 :: v_dual_and_b32 v9, 28, v12
	s_wait_loadcnt 0x0
	global_inv scope:SCOPE_SE
	s_load_b64 s[6:7], s[0:1], 0x68
	v_mbcnt_lo_u32_b32 v31, -1, 0
	v_add_nc_u32_e32 v9, v9, v11
	s_cmp_lg_u32 ttmp9, 0
	s_mov_b32 s3, -1
	s_delay_alu instid0(VALU_DEP_2)
	v_and_b32_e32 v32, 15, v31
	ds_load_b32 v27, v9
	s_wait_loadcnt_dscnt 0x0
	s_barrier_signal -1
	s_barrier_wait -1
	global_inv scope:SCOPE_SE
	v_and_b32_e32 v30, 0xff, v27
	v_bfe_u32 v29, v27, 8, 8
	v_bfe_u32 v28, v27, 16, 8
	v_lshrrev_b32_e32 v25, 24, v27
	s_delay_alu instid0(VALU_DEP_2) | instskip(NEXT) | instid1(VALU_DEP_1)
	v_add3_u32 v9, v29, v30, v28
	v_add_co_u32 v17, s2, v9, v25
	s_wait_alu 0xf1ff
	v_add_co_ci_u32_e64 v18, null, 0, 0, s2
	v_cmp_ne_u32_e64 s2, 0, v32
	s_cbranch_scc0 .LBB954_77
; %bb.21:
	v_mov_b32_e32 v11, v17
	v_mov_b32_dpp v9, v17 row_shr:1 row_mask:0xf bank_mask:0xf
	v_mov_b32_dpp v14, v10 row_shr:1 row_mask:0xf bank_mask:0xf
	v_dual_mov_b32 v13, v17 :: v_dual_mov_b32 v12, v18
	s_and_saveexec_b32 s3, s2
; %bb.22:
	s_delay_alu instid0(VALU_DEP_3) | instskip(SKIP_2) | instid1(VALU_DEP_2)
	v_add_co_u32 v13, vcc_lo, v17, v9
	s_wait_alu 0xfffd
	v_add_co_ci_u32_e64 v10, null, 0, v18, vcc_lo
	v_add_co_u32 v9, vcc_lo, 0, v13
	s_wait_alu 0xfffd
	s_delay_alu instid0(VALU_DEP_2) | instskip(NEXT) | instid1(VALU_DEP_1)
	v_add_co_ci_u32_e64 v10, null, v14, v10, vcc_lo
	v_dual_mov_b32 v12, v10 :: v_dual_mov_b32 v11, v9
; %bb.23:
	s_wait_alu 0xfffe
	s_or_b32 exec_lo, exec_lo, s3
	v_mov_b32_dpp v9, v13 row_shr:2 row_mask:0xf bank_mask:0xf
	v_mov_b32_dpp v14, v10 row_shr:2 row_mask:0xf bank_mask:0xf
	s_mov_b32 s3, exec_lo
	v_cmpx_lt_u32_e32 1, v32
; %bb.24:
	s_delay_alu instid0(VALU_DEP_3) | instskip(SKIP_2) | instid1(VALU_DEP_2)
	v_add_co_u32 v13, vcc_lo, v11, v9
	s_wait_alu 0xfffd
	v_add_co_ci_u32_e64 v10, null, 0, v12, vcc_lo
	v_add_co_u32 v9, vcc_lo, 0, v13
	s_wait_alu 0xfffd
	s_delay_alu instid0(VALU_DEP_2) | instskip(NEXT) | instid1(VALU_DEP_1)
	v_add_co_ci_u32_e64 v10, null, v14, v10, vcc_lo
	v_dual_mov_b32 v12, v10 :: v_dual_mov_b32 v11, v9
; %bb.25:
	s_wait_alu 0xfffe
	s_or_b32 exec_lo, exec_lo, s3
	v_mov_b32_dpp v9, v13 row_shr:4 row_mask:0xf bank_mask:0xf
	v_mov_b32_dpp v14, v10 row_shr:4 row_mask:0xf bank_mask:0xf
	s_mov_b32 s3, exec_lo
	v_cmpx_lt_u32_e32 3, v32
	;; [unrolled: 17-line block ×3, first 2 shown]
; %bb.28:
	s_delay_alu instid0(VALU_DEP_3) | instskip(SKIP_2) | instid1(VALU_DEP_2)
	v_add_co_u32 v13, vcc_lo, v11, v14
	s_wait_alu 0xfffd
	v_add_co_ci_u32_e64 v10, null, 0, v12, vcc_lo
	v_add_co_u32 v11, vcc_lo, 0, v13
	s_wait_alu 0xfffd
	s_delay_alu instid0(VALU_DEP_2) | instskip(NEXT) | instid1(VALU_DEP_1)
	v_add_co_ci_u32_e64 v12, null, v9, v10, vcc_lo
	v_mov_b32_e32 v10, v12
; %bb.29:
	s_wait_alu 0xfffe
	s_or_b32 exec_lo, exec_lo, s3
	ds_swizzle_b32 v9, v13 offset:swizzle(BROADCAST,32,15)
	ds_swizzle_b32 v14, v10 offset:swizzle(BROADCAST,32,15)
	v_and_b32_e32 v15, 16, v31
	s_mov_b32 s3, exec_lo
	s_delay_alu instid0(VALU_DEP_1)
	v_cmpx_ne_u32_e32 0, v15
	s_cbranch_execz .LBB954_31
; %bb.30:
	s_wait_dscnt 0x1
	v_add_co_u32 v13, vcc_lo, v11, v9
	s_wait_alu 0xfffd
	v_add_co_ci_u32_e64 v10, null, 0, v12, vcc_lo
	s_delay_alu instid0(VALU_DEP_2) | instskip(SKIP_2) | instid1(VALU_DEP_2)
	v_add_co_u32 v9, vcc_lo, 0, v13
	s_wait_dscnt 0x0
	s_wait_alu 0xfffd
	v_add_co_ci_u32_e64 v10, null, v14, v10, vcc_lo
	s_delay_alu instid0(VALU_DEP_1)
	v_dual_mov_b32 v12, v10 :: v_dual_mov_b32 v11, v9
.LBB954_31:
	s_wait_alu 0xfffe
	s_or_b32 exec_lo, exec_lo, s3
	s_wait_dscnt 0x1
	v_or_b32_e32 v9, 31, v0
	s_mov_b32 s3, exec_lo
	s_delay_alu instid0(VALU_DEP_1)
	v_cmpx_eq_u32_e64 v0, v9
; %bb.32:
	v_lshlrev_b32_e32 v9, 3, v26
	ds_store_b64 v9, v[11:12]
; %bb.33:
	s_wait_alu 0xfffe
	s_or_b32 exec_lo, exec_lo, s3
	s_delay_alu instid0(SALU_CYCLE_1)
	s_mov_b32 s3, exec_lo
	s_wait_loadcnt_dscnt 0x0
	s_barrier_signal -1
	s_barrier_wait -1
	global_inv scope:SCOPE_SE
	v_cmpx_gt_u32_e32 8, v0
	s_cbranch_execz .LBB954_41
; %bb.34:
	v_lshlrev_b32_e32 v9, 3, v0
	s_mov_b32 s4, exec_lo
	ds_load_b64 v[11:12], v9
	s_wait_dscnt 0x0
	v_dual_mov_b32 v15, v11 :: v_dual_and_b32 v14, 7, v31
	v_mov_b32_dpp v19, v11 row_shr:1 row_mask:0xf bank_mask:0xf
	v_mov_b32_dpp v16, v12 row_shr:1 row_mask:0xf bank_mask:0xf
	s_delay_alu instid0(VALU_DEP_3)
	v_cmpx_ne_u32_e32 0, v14
; %bb.35:
	s_delay_alu instid0(VALU_DEP_3) | instskip(SKIP_2) | instid1(VALU_DEP_2)
	v_add_co_u32 v15, vcc_lo, v11, v19
	s_wait_alu 0xfffd
	v_add_co_ci_u32_e64 v12, null, 0, v12, vcc_lo
	v_add_co_u32 v11, vcc_lo, 0, v15
	s_wait_alu 0xfffd
	s_delay_alu instid0(VALU_DEP_2)
	v_add_co_ci_u32_e64 v12, null, v16, v12, vcc_lo
; %bb.36:
	s_or_b32 exec_lo, exec_lo, s4
	v_mov_b32_dpp v19, v15 row_shr:2 row_mask:0xf bank_mask:0xf
	s_delay_alu instid0(VALU_DEP_2)
	v_mov_b32_dpp v16, v12 row_shr:2 row_mask:0xf bank_mask:0xf
	s_mov_b32 s4, exec_lo
	v_cmpx_lt_u32_e32 1, v14
; %bb.37:
	s_delay_alu instid0(VALU_DEP_3) | instskip(SKIP_2) | instid1(VALU_DEP_2)
	v_add_co_u32 v15, vcc_lo, v11, v19
	s_wait_alu 0xfffd
	v_add_co_ci_u32_e64 v12, null, 0, v12, vcc_lo
	v_add_co_u32 v11, vcc_lo, 0, v15
	s_wait_alu 0xfffd
	s_delay_alu instid0(VALU_DEP_2)
	v_add_co_ci_u32_e64 v12, null, v16, v12, vcc_lo
; %bb.38:
	s_or_b32 exec_lo, exec_lo, s4
	v_mov_b32_dpp v16, v15 row_shr:4 row_mask:0xf bank_mask:0xf
	s_delay_alu instid0(VALU_DEP_2)
	v_mov_b32_dpp v15, v12 row_shr:4 row_mask:0xf bank_mask:0xf
	s_mov_b32 s4, exec_lo
	v_cmpx_lt_u32_e32 3, v14
; %bb.39:
	s_delay_alu instid0(VALU_DEP_3) | instskip(SKIP_2) | instid1(VALU_DEP_2)
	v_add_co_u32 v11, vcc_lo, v11, v16
	s_wait_alu 0xfffd
	v_add_co_ci_u32_e64 v12, null, 0, v12, vcc_lo
	v_add_co_u32 v11, vcc_lo, v11, 0
	s_wait_alu 0xfffd
	s_delay_alu instid0(VALU_DEP_2)
	v_add_co_ci_u32_e64 v12, null, v12, v15, vcc_lo
; %bb.40:
	s_or_b32 exec_lo, exec_lo, s4
	ds_store_b64 v9, v[11:12]
.LBB954_41:
	s_wait_alu 0xfffe
	s_or_b32 exec_lo, exec_lo, s3
	s_delay_alu instid0(SALU_CYCLE_1)
	s_mov_b32 s4, exec_lo
	v_cmp_gt_u32_e32 vcc_lo, 32, v0
	s_wait_loadcnt_dscnt 0x0
	s_barrier_signal -1
	s_barrier_wait -1
	global_inv scope:SCOPE_SE
                                        ; implicit-def: $vgpr19_vgpr20
	v_cmpx_lt_u32_e32 31, v0
	s_cbranch_execz .LBB954_43
; %bb.42:
	v_lshl_add_u32 v9, v26, 3, -8
	ds_load_b64 v[19:20], v9
	s_wait_dscnt 0x0
	v_add_co_u32 v13, s3, v13, v19
	s_wait_alu 0xf1ff
	v_add_co_ci_u32_e64 v10, null, v10, v20, s3
.LBB954_43:
	s_or_b32 exec_lo, exec_lo, s4
	v_sub_co_u32 v9, s3, v31, 1
	s_delay_alu instid0(VALU_DEP_1) | instskip(NEXT) | instid1(VALU_DEP_1)
	v_cmp_gt_i32_e64 s4, 0, v9
	v_cndmask_b32_e64 v9, v9, v31, s4
	s_delay_alu instid0(VALU_DEP_1)
	v_lshlrev_b32_e32 v9, 2, v9
	ds_bpermute_b32 v33, v9, v13
	ds_bpermute_b32 v34, v9, v10
	s_and_saveexec_b32 s4, vcc_lo
	s_cbranch_execz .LBB954_82
; %bb.44:
	v_mov_b32_e32 v12, 0
	ds_load_b64 v[9:10], v12 offset:56
	s_and_saveexec_b32 s5, s3
	s_cbranch_execz .LBB954_46
; %bb.45:
	s_add_co_i32 s12, ttmp9, 32
	s_mov_b32 s13, 0
	s_delay_alu instid0(SALU_CYCLE_1) | instskip(SKIP_2) | instid1(SALU_CYCLE_1)
	s_lshl_b64 s[12:13], s[12:13], 4
	s_wait_kmcnt 0x0
	s_add_nc_u64 s[12:13], s[6:7], s[12:13]
	v_dual_mov_b32 v11, 1 :: v_dual_mov_b32 v14, s13
	v_mov_b32_e32 v13, s12
	s_wait_dscnt 0x0
	;;#ASMSTART
	global_store_b128 v[13:14], v[9:12] off scope:SCOPE_DEV	
s_wait_storecnt 0x0
	;;#ASMEND
.LBB954_46:
	s_wait_alu 0xfffe
	s_or_b32 exec_lo, exec_lo, s5
	v_xad_u32 v21, v31, -1, ttmp9
	s_mov_b32 s12, 0
	s_mov_b32 s5, exec_lo
	s_delay_alu instid0(VALU_DEP_1) | instskip(NEXT) | instid1(VALU_DEP_1)
	v_add_nc_u32_e32 v11, 32, v21
	v_lshlrev_b64_e32 v[11:12], 4, v[11:12]
	s_wait_kmcnt 0x0
	s_delay_alu instid0(VALU_DEP_1) | instskip(SKIP_1) | instid1(VALU_DEP_2)
	v_add_co_u32 v11, vcc_lo, s6, v11
	s_wait_alu 0xfffd
	v_add_co_ci_u32_e64 v12, null, s7, v12, vcc_lo
	;;#ASMSTART
	global_load_b128 v[13:16], v[11:12] off scope:SCOPE_DEV	
s_wait_loadcnt 0x0
	;;#ASMEND
	v_and_b32_e32 v16, 0xff, v15
	s_delay_alu instid0(VALU_DEP_1)
	v_cmpx_eq_u16_e32 0, v16
	s_cbranch_execz .LBB954_49
.LBB954_47:                             ; =>This Inner Loop Header: Depth=1
	;;#ASMSTART
	global_load_b128 v[13:16], v[11:12] off scope:SCOPE_DEV	
s_wait_loadcnt 0x0
	;;#ASMEND
	v_and_b32_e32 v16, 0xff, v15
	s_delay_alu instid0(VALU_DEP_1)
	v_cmp_ne_u16_e32 vcc_lo, 0, v16
	s_wait_alu 0xfffe
	s_or_b32 s12, vcc_lo, s12
	s_wait_alu 0xfffe
	s_and_not1_b32 exec_lo, exec_lo, s12
	s_cbranch_execnz .LBB954_47
; %bb.48:
	s_or_b32 exec_lo, exec_lo, s12
.LBB954_49:
	s_wait_alu 0xfffe
	s_or_b32 exec_lo, exec_lo, s5
	v_cmp_ne_u32_e32 vcc_lo, 31, v31
	v_and_b32_e32 v12, 0xff, v15
	v_lshlrev_b32_e64 v36, v31, -1
	s_mov_b32 s5, exec_lo
	s_wait_alu 0xfffd
	v_add_co_ci_u32_e64 v11, null, 0, v31, vcc_lo
	v_cmp_eq_u16_e32 vcc_lo, 2, v12
	s_delay_alu instid0(VALU_DEP_2)
	v_dual_mov_b32 v12, v13 :: v_dual_lshlrev_b32 v35, 2, v11
	s_wait_alu 0xfffd
	v_and_or_b32 v11, vcc_lo, v36, 0x80000000
	ds_bpermute_b32 v22, v35, v13
	ds_bpermute_b32 v16, v35, v14
	v_ctz_i32_b32_e32 v11, v11
	s_delay_alu instid0(VALU_DEP_1)
	v_cmpx_lt_u32_e64 v31, v11
	s_cbranch_execz .LBB954_51
; %bb.50:
	s_wait_dscnt 0x1
	v_add_co_u32 v12, vcc_lo, v13, v22
	s_wait_alu 0xfffd
	v_add_co_ci_u32_e64 v14, null, 0, v14, vcc_lo
	s_delay_alu instid0(VALU_DEP_2) | instskip(SKIP_2) | instid1(VALU_DEP_2)
	v_add_co_u32 v13, vcc_lo, 0, v12
	s_wait_dscnt 0x0
	s_wait_alu 0xfffd
	v_add_co_ci_u32_e64 v14, null, v16, v14, vcc_lo
.LBB954_51:
	s_wait_alu 0xfffe
	s_or_b32 exec_lo, exec_lo, s5
	v_cmp_gt_u32_e32 vcc_lo, 30, v31
	v_add_nc_u32_e32 v38, 2, v31
	s_mov_b32 s5, exec_lo
	s_wait_dscnt 0x0
	s_wait_alu 0xfffd
	v_cndmask_b32_e64 v16, 0, 2, vcc_lo
	s_delay_alu instid0(VALU_DEP_1)
	v_add_lshl_u32 v37, v16, v31, 2
	ds_bpermute_b32 v22, v37, v12
	ds_bpermute_b32 v16, v37, v14
	v_cmpx_le_u32_e64 v38, v11
	s_cbranch_execz .LBB954_53
; %bb.52:
	s_wait_dscnt 0x1
	v_add_co_u32 v12, vcc_lo, v13, v22
	s_wait_alu 0xfffd
	v_add_co_ci_u32_e64 v14, null, 0, v14, vcc_lo
	s_delay_alu instid0(VALU_DEP_2) | instskip(SKIP_2) | instid1(VALU_DEP_2)
	v_add_co_u32 v13, vcc_lo, 0, v12
	s_wait_dscnt 0x0
	s_wait_alu 0xfffd
	v_add_co_ci_u32_e64 v14, null, v16, v14, vcc_lo
.LBB954_53:
	s_wait_alu 0xfffe
	s_or_b32 exec_lo, exec_lo, s5
	v_cmp_gt_u32_e32 vcc_lo, 28, v31
	v_add_nc_u32_e32 v40, 4, v31
	s_mov_b32 s5, exec_lo
	s_wait_dscnt 0x0
	s_wait_alu 0xfffd
	v_cndmask_b32_e64 v16, 0, 4, vcc_lo
	s_delay_alu instid0(VALU_DEP_1)
	v_add_lshl_u32 v39, v16, v31, 2
	ds_bpermute_b32 v22, v39, v12
	ds_bpermute_b32 v16, v39, v14
	v_cmpx_le_u32_e64 v40, v11
	;; [unrolled: 25-line block ×3, first 2 shown]
	s_cbranch_execz .LBB954_57
; %bb.56:
	s_wait_dscnt 0x1
	v_add_co_u32 v12, vcc_lo, v13, v22
	s_wait_alu 0xfffd
	v_add_co_ci_u32_e64 v14, null, 0, v14, vcc_lo
	s_delay_alu instid0(VALU_DEP_2) | instskip(SKIP_2) | instid1(VALU_DEP_2)
	v_add_co_u32 v13, vcc_lo, 0, v12
	s_wait_dscnt 0x0
	s_wait_alu 0xfffd
	v_add_co_ci_u32_e64 v14, null, v16, v14, vcc_lo
.LBB954_57:
	s_wait_alu 0xfffe
	s_or_b32 exec_lo, exec_lo, s5
	v_lshl_or_b32 v43, v31, 2, 64
	v_add_nc_u32_e32 v44, 16, v31
	s_mov_b32 s5, exec_lo
	s_wait_dscnt 0x0
	ds_bpermute_b32 v16, v43, v12
	ds_bpermute_b32 v12, v43, v14
	v_cmpx_le_u32_e64 v44, v11
	s_cbranch_execz .LBB954_59
; %bb.58:
	s_wait_dscnt 0x1
	v_add_co_u32 v11, vcc_lo, v13, v16
	s_wait_alu 0xfffd
	v_add_co_ci_u32_e64 v14, null, 0, v14, vcc_lo
	s_delay_alu instid0(VALU_DEP_2) | instskip(SKIP_2) | instid1(VALU_DEP_2)
	v_add_co_u32 v13, vcc_lo, v11, 0
	s_wait_dscnt 0x0
	s_wait_alu 0xfffd
	v_add_co_ci_u32_e64 v14, null, v14, v12, vcc_lo
.LBB954_59:
	s_wait_alu 0xfffe
	s_or_b32 exec_lo, exec_lo, s5
	v_mov_b32_e32 v22, 0
	s_branch .LBB954_62
.LBB954_60:                             ;   in Loop: Header=BB954_62 Depth=1
	s_wait_alu 0xfffe
	s_or_b32 exec_lo, exec_lo, s5
	v_add_co_u32 v13, vcc_lo, v13, v11
	v_subrev_nc_u32_e32 v21, 32, v21
	s_wait_alu 0xfffd
	v_add_co_ci_u32_e64 v14, null, v14, v12, vcc_lo
	s_mov_b32 s5, 0
.LBB954_61:                             ;   in Loop: Header=BB954_62 Depth=1
	s_wait_alu 0xfffe
	s_and_b32 vcc_lo, exec_lo, s5
	s_wait_alu 0xfffe
	s_cbranch_vccnz .LBB954_78
.LBB954_62:                             ; =>This Loop Header: Depth=1
                                        ;     Child Loop BB954_65 Depth 2
	v_and_b32_e32 v11, 0xff, v15
	s_mov_b32 s5, -1
	s_delay_alu instid0(VALU_DEP_1)
	v_cmp_ne_u16_e32 vcc_lo, 2, v11
	s_wait_dscnt 0x0
	v_dual_mov_b32 v11, v13 :: v_dual_mov_b32 v12, v14
                                        ; implicit-def: $vgpr13_vgpr14
	s_cmp_lg_u32 vcc_lo, exec_lo
	s_cbranch_scc1 .LBB954_61
; %bb.63:                               ;   in Loop: Header=BB954_62 Depth=1
	v_lshlrev_b64_e32 v[13:14], 4, v[21:22]
	s_mov_b32 s5, exec_lo
	s_delay_alu instid0(VALU_DEP_1) | instskip(SKIP_1) | instid1(VALU_DEP_2)
	v_add_co_u32 v23, vcc_lo, s6, v13
	s_wait_alu 0xfffd
	v_add_co_ci_u32_e64 v24, null, s7, v14, vcc_lo
	;;#ASMSTART
	global_load_b128 v[13:16], v[23:24] off scope:SCOPE_DEV	
s_wait_loadcnt 0x0
	;;#ASMEND
	v_and_b32_e32 v16, 0xff, v15
	s_delay_alu instid0(VALU_DEP_1)
	v_cmpx_eq_u16_e32 0, v16
	s_cbranch_execz .LBB954_67
; %bb.64:                               ;   in Loop: Header=BB954_62 Depth=1
	s_mov_b32 s12, 0
.LBB954_65:                             ;   Parent Loop BB954_62 Depth=1
                                        ; =>  This Inner Loop Header: Depth=2
	;;#ASMSTART
	global_load_b128 v[13:16], v[23:24] off scope:SCOPE_DEV	
s_wait_loadcnt 0x0
	;;#ASMEND
	v_and_b32_e32 v16, 0xff, v15
	s_delay_alu instid0(VALU_DEP_1)
	v_cmp_ne_u16_e32 vcc_lo, 0, v16
	s_wait_alu 0xfffe
	s_or_b32 s12, vcc_lo, s12
	s_wait_alu 0xfffe
	s_and_not1_b32 exec_lo, exec_lo, s12
	s_cbranch_execnz .LBB954_65
; %bb.66:                               ;   in Loop: Header=BB954_62 Depth=1
	s_or_b32 exec_lo, exec_lo, s12
.LBB954_67:                             ;   in Loop: Header=BB954_62 Depth=1
	s_wait_alu 0xfffe
	s_or_b32 exec_lo, exec_lo, s5
	v_dual_mov_b32 v23, v13 :: v_dual_and_b32 v16, 0xff, v15
	ds_bpermute_b32 v45, v35, v13
	ds_bpermute_b32 v24, v35, v14
	s_mov_b32 s5, exec_lo
	v_cmp_eq_u16_e32 vcc_lo, 2, v16
	s_wait_alu 0xfffd
	v_and_or_b32 v16, vcc_lo, v36, 0x80000000
	s_delay_alu instid0(VALU_DEP_1) | instskip(NEXT) | instid1(VALU_DEP_1)
	v_ctz_i32_b32_e32 v16, v16
	v_cmpx_lt_u32_e64 v31, v16
	s_cbranch_execz .LBB954_69
; %bb.68:                               ;   in Loop: Header=BB954_62 Depth=1
	s_wait_dscnt 0x1
	v_add_co_u32 v23, vcc_lo, v13, v45
	s_wait_alu 0xfffd
	v_add_co_ci_u32_e64 v14, null, 0, v14, vcc_lo
	s_delay_alu instid0(VALU_DEP_2) | instskip(SKIP_2) | instid1(VALU_DEP_2)
	v_add_co_u32 v13, vcc_lo, 0, v23
	s_wait_dscnt 0x0
	s_wait_alu 0xfffd
	v_add_co_ci_u32_e64 v14, null, v24, v14, vcc_lo
.LBB954_69:                             ;   in Loop: Header=BB954_62 Depth=1
	s_wait_alu 0xfffe
	s_or_b32 exec_lo, exec_lo, s5
	s_wait_dscnt 0x1
	ds_bpermute_b32 v45, v37, v23
	s_wait_dscnt 0x1
	ds_bpermute_b32 v24, v37, v14
	s_mov_b32 s5, exec_lo
	v_cmpx_le_u32_e64 v38, v16
	s_cbranch_execz .LBB954_71
; %bb.70:                               ;   in Loop: Header=BB954_62 Depth=1
	s_wait_dscnt 0x1
	v_add_co_u32 v23, vcc_lo, v13, v45
	s_wait_alu 0xfffd
	v_add_co_ci_u32_e64 v14, null, 0, v14, vcc_lo
	s_delay_alu instid0(VALU_DEP_2) | instskip(SKIP_2) | instid1(VALU_DEP_2)
	v_add_co_u32 v13, vcc_lo, 0, v23
	s_wait_dscnt 0x0
	s_wait_alu 0xfffd
	v_add_co_ci_u32_e64 v14, null, v24, v14, vcc_lo
.LBB954_71:                             ;   in Loop: Header=BB954_62 Depth=1
	s_wait_alu 0xfffe
	s_or_b32 exec_lo, exec_lo, s5
	s_wait_dscnt 0x1
	ds_bpermute_b32 v45, v39, v23
	s_wait_dscnt 0x1
	ds_bpermute_b32 v24, v39, v14
	s_mov_b32 s5, exec_lo
	v_cmpx_le_u32_e64 v40, v16
	s_cbranch_execz .LBB954_73
; %bb.72:                               ;   in Loop: Header=BB954_62 Depth=1
	s_wait_dscnt 0x1
	v_add_co_u32 v23, vcc_lo, v13, v45
	s_wait_alu 0xfffd
	v_add_co_ci_u32_e64 v14, null, 0, v14, vcc_lo
	s_delay_alu instid0(VALU_DEP_2) | instskip(SKIP_2) | instid1(VALU_DEP_2)
	v_add_co_u32 v13, vcc_lo, 0, v23
	s_wait_dscnt 0x0
	s_wait_alu 0xfffd
	v_add_co_ci_u32_e64 v14, null, v24, v14, vcc_lo
.LBB954_73:                             ;   in Loop: Header=BB954_62 Depth=1
	s_wait_alu 0xfffe
	s_or_b32 exec_lo, exec_lo, s5
	s_wait_dscnt 0x1
	ds_bpermute_b32 v45, v41, v23
	s_wait_dscnt 0x1
	ds_bpermute_b32 v24, v41, v14
	s_mov_b32 s5, exec_lo
	v_cmpx_le_u32_e64 v42, v16
	s_cbranch_execz .LBB954_75
; %bb.74:                               ;   in Loop: Header=BB954_62 Depth=1
	s_wait_dscnt 0x1
	v_add_co_u32 v23, vcc_lo, v13, v45
	s_wait_alu 0xfffd
	v_add_co_ci_u32_e64 v14, null, 0, v14, vcc_lo
	s_delay_alu instid0(VALU_DEP_2) | instskip(SKIP_2) | instid1(VALU_DEP_2)
	v_add_co_u32 v13, vcc_lo, 0, v23
	s_wait_dscnt 0x0
	s_wait_alu 0xfffd
	v_add_co_ci_u32_e64 v14, null, v24, v14, vcc_lo
.LBB954_75:                             ;   in Loop: Header=BB954_62 Depth=1
	s_wait_alu 0xfffe
	s_or_b32 exec_lo, exec_lo, s5
	s_wait_dscnt 0x0
	ds_bpermute_b32 v24, v43, v23
	ds_bpermute_b32 v23, v43, v14
	s_mov_b32 s5, exec_lo
	v_cmpx_le_u32_e64 v44, v16
	s_cbranch_execz .LBB954_60
; %bb.76:                               ;   in Loop: Header=BB954_62 Depth=1
	s_wait_dscnt 0x1
	v_add_co_u32 v13, vcc_lo, v13, v24
	s_wait_alu 0xfffd
	v_add_co_ci_u32_e64 v14, null, 0, v14, vcc_lo
	s_delay_alu instid0(VALU_DEP_2) | instskip(SKIP_2) | instid1(VALU_DEP_2)
	v_add_co_u32 v13, vcc_lo, v13, 0
	s_wait_dscnt 0x0
	s_wait_alu 0xfffd
	v_add_co_ci_u32_e64 v14, null, v14, v23, vcc_lo
	s_branch .LBB954_60
.LBB954_77:
                                        ; implicit-def: $vgpr15_vgpr16
                                        ; implicit-def: $vgpr13_vgpr14
                                        ; implicit-def: $vgpr19_vgpr20
                                        ; implicit-def: $vgpr21_vgpr22
                                        ; implicit-def: $vgpr11_vgpr12
	s_wait_alu 0xfffe
	s_and_b32 vcc_lo, exec_lo, s3
	s_wait_alu 0xfffe
	s_cbranch_vccnz .LBB954_83
	s_branch .LBB954_108
.LBB954_78:
	s_and_saveexec_b32 s5, s3
	s_cbranch_execz .LBB954_80
; %bb.79:
	s_add_co_i32 s12, ttmp9, 32
	s_mov_b32 s13, 0
	v_add_co_u32 v13, vcc_lo, v11, v9
	s_wait_alu 0xfffe
	s_lshl_b64 s[12:13], s[12:13], 4
	v_dual_mov_b32 v15, 2 :: v_dual_mov_b32 v16, 0
	s_wait_alu 0xfffe
	s_add_nc_u64 s[12:13], s[6:7], s[12:13]
	s_wait_alu 0xfffd
	v_add_co_ci_u32_e64 v14, null, v12, v10, vcc_lo
	s_wait_alu 0xfffe
	v_dual_mov_b32 v22, s13 :: v_dual_mov_b32 v21, s12
	;;#ASMSTART
	global_store_b128 v[21:22], v[13:16] off scope:SCOPE_DEV	
s_wait_storecnt 0x0
	;;#ASMEND
	ds_store_b128 v16, v[9:12] offset:8448
.LBB954_80:
	s_wait_alu 0xfffe
	s_or_b32 exec_lo, exec_lo, s5
	v_cmp_eq_u32_e32 vcc_lo, 0, v0
	s_and_b32 exec_lo, exec_lo, vcc_lo
; %bb.81:
	v_mov_b32_e32 v9, 0
	ds_store_b64 v9, v[11:12] offset:56
.LBB954_82:
	s_wait_alu 0xfffe
	s_or_b32 exec_lo, exec_lo, s4
	s_wait_dscnt 0x1
	v_cndmask_b32_e64 v10, v33, v19, s3
	v_cmp_ne_u32_e32 vcc_lo, 0, v0
	v_mov_b32_e32 v9, 0
	s_wait_loadcnt_dscnt 0x0
	s_barrier_signal -1
	s_barrier_wait -1
	global_inv scope:SCOPE_SE
	s_wait_alu 0xfffd
	v_cndmask_b32_e32 v16, 0, v10, vcc_lo
	ds_load_b64 v[13:14], v9 offset:56
	v_cndmask_b32_e64 v11, v34, v20, s3
	s_wait_loadcnt_dscnt 0x0
	s_barrier_signal -1
	s_barrier_wait -1
	global_inv scope:SCOPE_SE
	v_cndmask_b32_e32 v15, 0, v11, vcc_lo
	ds_load_b128 v[9:12], v9 offset:8448
	v_add_co_u32 v21, vcc_lo, v13, v16
	s_wait_alu 0xfffd
	v_add_co_ci_u32_e64 v22, null, v14, v15, vcc_lo
	s_delay_alu instid0(VALU_DEP_2) | instskip(SKIP_1) | instid1(VALU_DEP_2)
	v_add_co_u32 v19, vcc_lo, v21, v30
	s_wait_alu 0xfffd
	v_add_co_ci_u32_e64 v20, null, 0, v22, vcc_lo
	s_delay_alu instid0(VALU_DEP_2) | instskip(SKIP_1) | instid1(VALU_DEP_2)
	;; [unrolled: 4-line block ×3, first 2 shown]
	v_add_co_u32 v15, vcc_lo, v13, v28
	s_wait_alu 0xfffd
	v_add_co_ci_u32_e64 v16, null, 0, v14, vcc_lo
	s_branch .LBB954_108
.LBB954_83:
	s_wait_dscnt 0x0
	v_dual_mov_b32 v10, 0 :: v_dual_mov_b32 v11, v17
	v_mov_b32_dpp v12, v17 row_shr:1 row_mask:0xf bank_mask:0xf
	s_delay_alu instid0(VALU_DEP_2)
	v_mov_b32_dpp v9, v10 row_shr:1 row_mask:0xf bank_mask:0xf
	s_and_saveexec_b32 s3, s2
; %bb.84:
	s_delay_alu instid0(VALU_DEP_2) | instskip(SKIP_2) | instid1(VALU_DEP_2)
	v_add_co_u32 v11, vcc_lo, v17, v12
	s_wait_alu 0xfffd
	v_add_co_ci_u32_e64 v10, null, 0, v18, vcc_lo
	v_add_co_u32 v17, vcc_lo, 0, v11
	s_wait_alu 0xfffd
	s_delay_alu instid0(VALU_DEP_2) | instskip(NEXT) | instid1(VALU_DEP_1)
	v_add_co_ci_u32_e64 v18, null, v9, v10, vcc_lo
	v_mov_b32_e32 v10, v18
; %bb.85:
	s_wait_alu 0xfffe
	s_or_b32 exec_lo, exec_lo, s3
	v_mov_b32_dpp v9, v11 row_shr:2 row_mask:0xf bank_mask:0xf
	s_delay_alu instid0(VALU_DEP_2)
	v_mov_b32_dpp v12, v10 row_shr:2 row_mask:0xf bank_mask:0xf
	s_mov_b32 s2, exec_lo
	v_cmpx_lt_u32_e32 1, v32
; %bb.86:
	s_delay_alu instid0(VALU_DEP_3) | instskip(SKIP_2) | instid1(VALU_DEP_2)
	v_add_co_u32 v11, vcc_lo, v17, v9
	s_wait_alu 0xfffd
	v_add_co_ci_u32_e64 v10, null, 0, v18, vcc_lo
	v_add_co_u32 v9, vcc_lo, 0, v11
	s_wait_alu 0xfffd
	s_delay_alu instid0(VALU_DEP_2) | instskip(NEXT) | instid1(VALU_DEP_1)
	v_add_co_ci_u32_e64 v10, null, v12, v10, vcc_lo
	v_dual_mov_b32 v18, v10 :: v_dual_mov_b32 v17, v9
; %bb.87:
	s_wait_alu 0xfffe
	s_or_b32 exec_lo, exec_lo, s2
	v_mov_b32_dpp v9, v11 row_shr:4 row_mask:0xf bank_mask:0xf
	v_mov_b32_dpp v12, v10 row_shr:4 row_mask:0xf bank_mask:0xf
	s_mov_b32 s2, exec_lo
	v_cmpx_lt_u32_e32 3, v32
; %bb.88:
	s_delay_alu instid0(VALU_DEP_3) | instskip(SKIP_2) | instid1(VALU_DEP_2)
	v_add_co_u32 v11, vcc_lo, v17, v9
	s_wait_alu 0xfffd
	v_add_co_ci_u32_e64 v10, null, 0, v18, vcc_lo
	v_add_co_u32 v9, vcc_lo, 0, v11
	s_wait_alu 0xfffd
	s_delay_alu instid0(VALU_DEP_2) | instskip(NEXT) | instid1(VALU_DEP_1)
	v_add_co_ci_u32_e64 v10, null, v12, v10, vcc_lo
	v_dual_mov_b32 v18, v10 :: v_dual_mov_b32 v17, v9
; %bb.89:
	s_wait_alu 0xfffe
	s_or_b32 exec_lo, exec_lo, s2
	v_mov_b32_dpp v12, v11 row_shr:8 row_mask:0xf bank_mask:0xf
	v_mov_b32_dpp v9, v10 row_shr:8 row_mask:0xf bank_mask:0xf
	s_mov_b32 s2, exec_lo
	v_cmpx_lt_u32_e32 7, v32
; %bb.90:
	s_delay_alu instid0(VALU_DEP_3) | instskip(SKIP_2) | instid1(VALU_DEP_2)
	v_add_co_u32 v11, vcc_lo, v17, v12
	s_wait_alu 0xfffd
	v_add_co_ci_u32_e64 v10, null, 0, v18, vcc_lo
	v_add_co_u32 v17, vcc_lo, 0, v11
	s_wait_alu 0xfffd
	s_delay_alu instid0(VALU_DEP_2) | instskip(NEXT) | instid1(VALU_DEP_1)
	v_add_co_ci_u32_e64 v18, null, v9, v10, vcc_lo
	v_mov_b32_e32 v10, v18
; %bb.91:
	s_wait_alu 0xfffe
	s_or_b32 exec_lo, exec_lo, s2
	ds_swizzle_b32 v11, v11 offset:swizzle(BROADCAST,32,15)
	ds_swizzle_b32 v9, v10 offset:swizzle(BROADCAST,32,15)
	v_and_b32_e32 v10, 16, v31
	s_mov_b32 s2, exec_lo
	s_delay_alu instid0(VALU_DEP_1)
	v_cmpx_ne_u32_e32 0, v10
	s_cbranch_execz .LBB954_93
; %bb.92:
	s_wait_dscnt 0x1
	v_add_co_u32 v10, vcc_lo, v17, v11
	s_wait_alu 0xfffd
	v_add_co_ci_u32_e64 v11, null, 0, v18, vcc_lo
	s_delay_alu instid0(VALU_DEP_2) | instskip(SKIP_2) | instid1(VALU_DEP_2)
	v_add_co_u32 v17, vcc_lo, v10, 0
	s_wait_dscnt 0x0
	s_wait_alu 0xfffd
	v_add_co_ci_u32_e64 v18, null, v11, v9, vcc_lo
.LBB954_93:
	s_wait_alu 0xfffe
	s_or_b32 exec_lo, exec_lo, s2
	s_wait_dscnt 0x0
	v_or_b32_e32 v9, 31, v0
	s_mov_b32 s2, exec_lo
	s_delay_alu instid0(VALU_DEP_1)
	v_cmpx_eq_u32_e64 v0, v9
; %bb.94:
	v_lshlrev_b32_e32 v9, 3, v26
	ds_store_b64 v9, v[17:18]
; %bb.95:
	s_wait_alu 0xfffe
	s_or_b32 exec_lo, exec_lo, s2
	s_delay_alu instid0(SALU_CYCLE_1)
	s_mov_b32 s2, exec_lo
	s_wait_loadcnt_dscnt 0x0
	s_barrier_signal -1
	s_barrier_wait -1
	global_inv scope:SCOPE_SE
	v_cmpx_gt_u32_e32 8, v0
	s_cbranch_execz .LBB954_103
; %bb.96:
	v_lshlrev_b32_e32 v11, 3, v0
	s_mov_b32 s3, exec_lo
	ds_load_b64 v[9:10], v11
	s_wait_dscnt 0x0
	v_dual_mov_b32 v13, v9 :: v_dual_and_b32 v12, 7, v31
	v_mov_b32_dpp v15, v9 row_shr:1 row_mask:0xf bank_mask:0xf
	v_mov_b32_dpp v14, v10 row_shr:1 row_mask:0xf bank_mask:0xf
	s_delay_alu instid0(VALU_DEP_3)
	v_cmpx_ne_u32_e32 0, v12
; %bb.97:
	s_delay_alu instid0(VALU_DEP_3) | instskip(SKIP_2) | instid1(VALU_DEP_2)
	v_add_co_u32 v13, vcc_lo, v9, v15
	s_wait_alu 0xfffd
	v_add_co_ci_u32_e64 v10, null, 0, v10, vcc_lo
	v_add_co_u32 v9, vcc_lo, 0, v13
	s_wait_alu 0xfffd
	s_delay_alu instid0(VALU_DEP_2)
	v_add_co_ci_u32_e64 v10, null, v14, v10, vcc_lo
; %bb.98:
	s_wait_alu 0xfffe
	s_or_b32 exec_lo, exec_lo, s3
	v_mov_b32_dpp v15, v13 row_shr:2 row_mask:0xf bank_mask:0xf
	s_delay_alu instid0(VALU_DEP_2)
	v_mov_b32_dpp v14, v10 row_shr:2 row_mask:0xf bank_mask:0xf
	s_mov_b32 s3, exec_lo
	v_cmpx_lt_u32_e32 1, v12
; %bb.99:
	s_delay_alu instid0(VALU_DEP_3) | instskip(SKIP_2) | instid1(VALU_DEP_2)
	v_add_co_u32 v13, vcc_lo, v9, v15
	s_wait_alu 0xfffd
	v_add_co_ci_u32_e64 v10, null, 0, v10, vcc_lo
	v_add_co_u32 v9, vcc_lo, 0, v13
	s_wait_alu 0xfffd
	s_delay_alu instid0(VALU_DEP_2)
	v_add_co_ci_u32_e64 v10, null, v14, v10, vcc_lo
; %bb.100:
	s_wait_alu 0xfffe
	s_or_b32 exec_lo, exec_lo, s3
	v_mov_b32_dpp v14, v13 row_shr:4 row_mask:0xf bank_mask:0xf
	s_delay_alu instid0(VALU_DEP_2)
	v_mov_b32_dpp v13, v10 row_shr:4 row_mask:0xf bank_mask:0xf
	s_mov_b32 s3, exec_lo
	v_cmpx_lt_u32_e32 3, v12
; %bb.101:
	s_delay_alu instid0(VALU_DEP_3) | instskip(SKIP_2) | instid1(VALU_DEP_2)
	v_add_co_u32 v9, vcc_lo, v9, v14
	s_wait_alu 0xfffd
	v_add_co_ci_u32_e64 v10, null, 0, v10, vcc_lo
	v_add_co_u32 v9, vcc_lo, v9, 0
	s_wait_alu 0xfffd
	s_delay_alu instid0(VALU_DEP_2)
	v_add_co_ci_u32_e64 v10, null, v10, v13, vcc_lo
; %bb.102:
	s_wait_alu 0xfffe
	s_or_b32 exec_lo, exec_lo, s3
	ds_store_b64 v11, v[9:10]
.LBB954_103:
	s_wait_alu 0xfffe
	s_or_b32 exec_lo, exec_lo, s2
	v_mov_b32_e32 v13, 0
	v_mov_b32_e32 v14, 0
	s_mov_b32 s2, exec_lo
	s_wait_loadcnt_dscnt 0x0
	s_barrier_signal -1
	s_barrier_wait -1
	global_inv scope:SCOPE_SE
	v_cmpx_lt_u32_e32 31, v0
; %bb.104:
	v_lshl_add_u32 v9, v26, 3, -8
	ds_load_b64 v[13:14], v9
; %bb.105:
	s_wait_alu 0xfffe
	s_or_b32 exec_lo, exec_lo, s2
	v_sub_co_u32 v9, vcc_lo, v31, 1
	v_mov_b32_e32 v12, 0
	s_delay_alu instid0(VALU_DEP_2) | instskip(SKIP_1) | instid1(VALU_DEP_1)
	v_cmp_gt_i32_e64 s2, 0, v9
	s_wait_alu 0xf1ff
	v_cndmask_b32_e64 v9, v9, v31, s2
	s_wait_dscnt 0x0
	v_add_co_u32 v10, s2, v13, v17
	s_wait_alu 0xf1ff
	v_add_co_ci_u32_e64 v11, null, v14, v18, s2
	v_lshlrev_b32_e32 v9, 2, v9
	v_cmp_eq_u32_e64 s2, 0, v0
	ds_bpermute_b32 v15, v9, v10
	ds_bpermute_b32 v16, v9, v11
	ds_load_b64 v[9:10], v12 offset:56
	s_and_saveexec_b32 s3, s2
	s_cbranch_execz .LBB954_107
; %bb.106:
	s_wait_kmcnt 0x0
	s_add_nc_u64 s[4:5], s[6:7], 0x200
	s_delay_alu instid0(SALU_CYCLE_1)
	v_dual_mov_b32 v11, 2 :: v_dual_mov_b32 v18, s5
	v_mov_b32_e32 v17, s4
	s_wait_dscnt 0x0
	;;#ASMSTART
	global_store_b128 v[17:18], v[9:12] off scope:SCOPE_DEV	
s_wait_storecnt 0x0
	;;#ASMEND
.LBB954_107:
	s_wait_alu 0xfffe
	s_or_b32 exec_lo, exec_lo, s3
	s_wait_dscnt 0x1
	s_wait_alu 0xfffd
	v_dual_cndmask_b32 v11, v15, v13 :: v_dual_cndmask_b32 v12, v16, v14
	s_wait_loadcnt_dscnt 0x0
	s_barrier_signal -1
	s_barrier_wait -1
	s_delay_alu instid0(VALU_DEP_1)
	v_cndmask_b32_e64 v21, v11, 0, s2
	v_cndmask_b32_e64 v22, v12, 0, s2
	v_mov_b32_e32 v11, 0
	v_mov_b32_e32 v12, 0
	global_inv scope:SCOPE_SE
	v_add_co_u32 v19, vcc_lo, v21, v30
	s_wait_alu 0xfffd
	v_add_co_ci_u32_e64 v20, null, 0, v22, vcc_lo
	s_delay_alu instid0(VALU_DEP_2) | instskip(SKIP_1) | instid1(VALU_DEP_2)
	v_add_co_u32 v13, vcc_lo, v19, v29
	s_wait_alu 0xfffd
	v_add_co_ci_u32_e64 v14, null, 0, v20, vcc_lo
	s_delay_alu instid0(VALU_DEP_2) | instskip(SKIP_1) | instid1(VALU_DEP_2)
	v_add_co_u32 v15, vcc_lo, v13, v28
	s_wait_alu 0xfffd
	v_add_co_ci_u32_e64 v16, null, 0, v14, vcc_lo
.LBB954_108:
	s_load_b64 s[2:3], s[0:1], 0x30
	v_and_b32_e32 v26, 1, v27
	s_wait_dscnt 0x0
	v_cmp_gt_u64_e32 vcc_lo, 0x101, v[9:10]
	v_lshrrev_b32_e32 v23, 16, v27
	v_lshrrev_b32_e32 v24, 8, v27
	s_mov_b32 s1, -1
	v_cmp_eq_u32_e64 s0, 1, v26
	s_cbranch_vccnz .LBB954_112
; %bb.109:
	s_wait_alu 0xfffe
	s_and_b32 vcc_lo, exec_lo, s1
	s_wait_alu 0xfffe
	s_cbranch_vccnz .LBB954_121
.LBB954_110:
	v_cmp_eq_u32_e32 vcc_lo, 0, v0
	s_and_b32 s0, vcc_lo, s16
	s_wait_alu 0xfffe
	s_and_saveexec_b32 s1, s0
	s_cbranch_execnz .LBB954_133
.LBB954_111:
	s_endpgm
.LBB954_112:
	v_add_co_u32 v17, vcc_lo, v11, v9
	s_wait_alu 0xfffd
	v_add_co_ci_u32_e64 v18, null, v12, v10, vcc_lo
	s_lshl_b64 s[4:5], s[10:11], 3
	s_wait_kmcnt 0x0
	s_wait_alu 0xfffe
	s_add_nc_u64 s[4:5], s[2:3], s[4:5]
	v_cmp_lt_u64_e32 vcc_lo, v[21:22], v[17:18]
	s_or_b32 s1, s17, vcc_lo
	s_wait_alu 0xfffe
	s_and_b32 s1, s1, s0
	s_wait_alu 0xfffe
	s_and_saveexec_b32 s0, s1
	s_cbranch_execz .LBB954_114
; %bb.113:
	v_lshlrev_b64_e32 v[27:28], 3, v[21:22]
	s_delay_alu instid0(VALU_DEP_1) | instskip(SKIP_1) | instid1(VALU_DEP_2)
	v_add_co_u32 v27, vcc_lo, s4, v27
	s_wait_alu 0xfffd
	v_add_co_ci_u32_e64 v28, null, s5, v28, vcc_lo
	global_store_b64 v[27:28], v[5:6], off
.LBB954_114:
	s_wait_alu 0xfffe
	s_or_b32 exec_lo, exec_lo, s0
	v_and_b32_e32 v22, 1, v24
	v_cmp_lt_u64_e32 vcc_lo, v[19:20], v[17:18]
	s_delay_alu instid0(VALU_DEP_2)
	v_cmp_eq_u32_e64 s0, 1, v22
	s_or_b32 s1, s17, vcc_lo
	s_wait_alu 0xfffe
	s_and_b32 s1, s1, s0
	s_wait_alu 0xfffe
	s_and_saveexec_b32 s0, s1
	s_cbranch_execz .LBB954_116
; %bb.115:
	v_lshlrev_b64_e32 v[27:28], 3, v[19:20]
	s_delay_alu instid0(VALU_DEP_1) | instskip(SKIP_1) | instid1(VALU_DEP_2)
	v_add_co_u32 v27, vcc_lo, s4, v27
	s_wait_alu 0xfffd
	v_add_co_ci_u32_e64 v28, null, s5, v28, vcc_lo
	global_store_b64 v[27:28], v[7:8], off
.LBB954_116:
	s_wait_alu 0xfffe
	s_or_b32 exec_lo, exec_lo, s0
	v_and_b32_e32 v20, 1, v23
	v_cmp_lt_u64_e32 vcc_lo, v[13:14], v[17:18]
	s_delay_alu instid0(VALU_DEP_2)
	v_cmp_eq_u32_e64 s0, 1, v20
	;; [unrolled: 20-line block ×3, first 2 shown]
	s_or_b32 s1, s17, vcc_lo
	s_wait_alu 0xfffe
	s_and_b32 s1, s1, s0
	s_wait_alu 0xfffe
	s_and_saveexec_b32 s0, s1
	s_cbranch_execz .LBB954_120
; %bb.119:
	v_lshlrev_b64_e32 v[16:17], 3, v[15:16]
	s_delay_alu instid0(VALU_DEP_1) | instskip(SKIP_1) | instid1(VALU_DEP_2)
	v_add_co_u32 v16, vcc_lo, s4, v16
	s_wait_alu 0xfffd
	v_add_co_ci_u32_e64 v17, null, s5, v17, vcc_lo
	global_store_b64 v[16:17], v[3:4], off
.LBB954_120:
	s_wait_alu 0xfffe
	s_or_b32 exec_lo, exec_lo, s0
	s_branch .LBB954_110
.LBB954_121:
	s_mov_b32 s0, exec_lo
	v_cmpx_eq_u32_e32 1, v26
; %bb.122:
	v_sub_nc_u32_e32 v14, v21, v11
	s_delay_alu instid0(VALU_DEP_1)
	v_lshlrev_b32_e32 v14, 3, v14
	ds_store_b64 v14, v[5:6]
; %bb.123:
	s_wait_alu 0xfffe
	s_or_b32 exec_lo, exec_lo, s0
	v_and_b32_e32 v5, 1, v24
	s_mov_b32 s0, exec_lo
	s_delay_alu instid0(VALU_DEP_1)
	v_cmpx_eq_u32_e32 1, v5
; %bb.124:
	v_sub_nc_u32_e32 v5, v19, v11
	s_delay_alu instid0(VALU_DEP_1)
	v_lshlrev_b32_e32 v5, 3, v5
	ds_store_b64 v5, v[7:8]
; %bb.125:
	s_wait_alu 0xfffe
	s_or_b32 exec_lo, exec_lo, s0
	v_and_b32_e32 v5, 1, v23
	s_mov_b32 s0, exec_lo
	s_delay_alu instid0(VALU_DEP_1)
	v_cmpx_eq_u32_e32 1, v5
; %bb.126:
	v_sub_nc_u32_e32 v5, v13, v11
	s_delay_alu instid0(VALU_DEP_1)
	v_lshlrev_b32_e32 v5, 3, v5
	ds_store_b64 v5, v[1:2]
; %bb.127:
	s_wait_alu 0xfffe
	s_or_b32 exec_lo, exec_lo, s0
	v_and_b32_e32 v1, 1, v25
	s_mov_b32 s0, exec_lo
	s_delay_alu instid0(VALU_DEP_1)
	v_cmpx_eq_u32_e32 1, v1
; %bb.128:
	v_sub_nc_u32_e32 v1, v15, v11
	s_delay_alu instid0(VALU_DEP_1)
	v_lshlrev_b32_e32 v1, 3, v1
	ds_store_b64 v1, v[3:4]
; %bb.129:
	s_wait_alu 0xfffe
	s_or_b32 exec_lo, exec_lo, s0
	v_mov_b32_e32 v3, 0
	s_mov_b32 s1, exec_lo
	s_wait_storecnt 0x0
	s_wait_loadcnt_dscnt 0x0
	s_barrier_signal -1
	s_barrier_wait -1
	v_mov_b32_e32 v1, v3
	global_inv scope:SCOPE_SE
	v_cmpx_gt_u64_e64 v[9:10], v[0:1]
	s_cbranch_execz .LBB954_132
; %bb.130:
	v_lshlrev_b64_e32 v[4:5], 3, v[11:12]
	s_lshl_b64 s[4:5], s[10:11], 3
	v_or_b32_e32 v2, 0x100, v0
	s_wait_kmcnt 0x0
	s_wait_alu 0xfffe
	s_add_nc_u64 s[2:3], s[2:3], s[4:5]
	s_wait_alu 0xfffe
	v_add_co_u32 v6, vcc_lo, s2, v4
	s_wait_alu 0xfffd
	v_add_co_ci_u32_e64 v7, null, s3, v5, vcc_lo
	v_dual_mov_b32 v5, v1 :: v_dual_mov_b32 v4, v0
	s_mov_b32 s2, 0
.LBB954_131:                            ; =>This Inner Loop Header: Depth=1
	s_delay_alu instid0(VALU_DEP_1) | instskip(NEXT) | instid1(VALU_DEP_2)
	v_lshlrev_b32_e32 v1, 3, v4
	v_lshlrev_b64_e32 v[15:16], 3, v[4:5]
	v_dual_mov_b32 v5, v3 :: v_dual_mov_b32 v4, v2
	v_cmp_le_u64_e32 vcc_lo, v[9:10], v[2:3]
	ds_load_b64 v[13:14], v1
	v_add_nc_u32_e32 v2, 0x100, v2
	v_add_co_u32 v15, s0, v6, v15
	s_wait_alu 0xf1ff
	v_add_co_ci_u32_e64 v16, null, v7, v16, s0
	s_wait_alu 0xfffe
	s_or_b32 s2, vcc_lo, s2
	s_wait_dscnt 0x0
	global_store_b64 v[15:16], v[13:14], off
	s_wait_alu 0xfffe
	s_and_not1_b32 exec_lo, exec_lo, s2
	s_cbranch_execnz .LBB954_131
.LBB954_132:
	s_wait_alu 0xfffe
	s_or_b32 exec_lo, exec_lo, s1
	v_cmp_eq_u32_e32 vcc_lo, 0, v0
	s_and_b32 s0, vcc_lo, s16
	s_wait_alu 0xfffe
	s_and_saveexec_b32 s1, s0
	s_cbranch_execz .LBB954_111
.LBB954_133:
	v_add_co_u32 v0, vcc_lo, v11, v9
	s_wait_alu 0xfffd
	v_add_co_ci_u32_e64 v1, null, v12, v10, vcc_lo
	v_mov_b32_e32 v2, 0
	s_delay_alu instid0(VALU_DEP_3) | instskip(SKIP_1) | instid1(VALU_DEP_3)
	v_add_co_u32 v0, vcc_lo, v0, s10
	s_wait_alu 0xfffd
	v_add_co_ci_u32_e64 v1, null, s11, v1, vcc_lo
	global_store_b64 v2, v[0:1], s[8:9]
	s_endpgm
.LBB954_134:
	v_lshlrev_b32_e32 v3, 3, v0
	s_delay_alu instid0(VALU_DEP_1)
	v_add_co_u32 v3, s3, s14, v3
	s_wait_alu 0xf1ff
	v_add_co_ci_u32_e64 v4, null, s15, 0, s3
	flat_load_b64 v[3:4], v[3:4] offset:2048
	s_wait_alu 0xfffe
	s_or_b32 exec_lo, exec_lo, s2
	s_delay_alu instid0(SALU_CYCLE_1)
	s_mov_b32 s2, exec_lo
	v_cmpx_gt_u32_e64 s18, v9
	s_cbranch_execz .LBB954_7
.LBB954_135:
	v_lshlrev_b32_e32 v5, 3, v0
	s_delay_alu instid0(VALU_DEP_1)
	v_add_co_u32 v5, s3, s14, v5
	s_wait_alu 0xf1ff
	v_add_co_ci_u32_e64 v6, null, s15, 0, s3
	flat_load_b64 v[5:6], v[5:6] offset:4096
	s_wait_alu 0xfffe
	s_or_b32 exec_lo, exec_lo, s2
	s_delay_alu instid0(SALU_CYCLE_1)
	s_mov_b32 s2, exec_lo
	v_cmpx_gt_u32_e64 s18, v10
	s_cbranch_execnz .LBB954_8
	s_branch .LBB954_9
.LBB954_136:
	v_lshlrev_b32_e32 v16, 3, v0
	global_load_b64 v[16:17], v16, s[2:3] offset:2048
	s_wait_loadcnt 0x0
	v_cmp_eq_u64_e32 vcc_lo, 0, v[16:17]
	s_wait_alu 0xfffd
	v_cndmask_b32_e64 v16, 0, 1, vcc_lo
	s_delay_alu instid0(VALU_DEP_1) | instskip(NEXT) | instid1(VALU_DEP_1)
	v_lshlrev_b16 v16, 8, v16
	v_or_b32_e32 v14, v14, v16
	s_delay_alu instid0(VALU_DEP_1) | instskip(SKIP_1) | instid1(SALU_CYCLE_1)
	v_and_b32_e32 v14, 0xffff, v14
	s_or_b32 exec_lo, exec_lo, s4
	s_mov_b32 s4, exec_lo
	v_cmpx_gt_u32_e64 s18, v9
	s_cbranch_execz .LBB954_17
.LBB954_137:
	v_lshlrev_b32_e32 v16, 3, v0
	global_load_b64 v[16:17], v16, s[2:3] offset:4096
	s_wait_loadcnt 0x0
	v_cmp_eq_u64_e32 vcc_lo, 0, v[16:17]
	s_wait_alu 0xfffd
	v_cndmask_b32_e64 v16, 0, 1, vcc_lo
	s_delay_alu instid0(VALU_DEP_1) | instskip(SKIP_1) | instid1(SALU_CYCLE_1)
	v_lshl_or_b32 v14, v16, 16, v14
	s_or_b32 exec_lo, exec_lo, s4
	s_mov_b32 s4, exec_lo
	v_cmpx_gt_u32_e64 s18, v10
	s_cbranch_execnz .LBB954_18
	s_branch .LBB954_19
	.section	.rodata,"a",@progbits
	.p2align	6, 0x0
	.amdhsa_kernel _ZN7rocprim17ROCPRIM_400000_NS6detail17trampoline_kernelINS0_14default_configENS1_25partition_config_selectorILNS1_17partition_subalgoE5ExNS0_10empty_typeEbEEZZNS1_14partition_implILS5_5ELb0ES3_mN6thrust23THRUST_200600_302600_NS6detail15normal_iteratorINSA_10device_ptrIxEEEEPS6_NSA_18transform_iteratorINSB_9not_fun_tINSA_8identityIxEEEESF_NSA_11use_defaultESM_EENS0_5tupleIJSF_S6_EEENSO_IJSG_SG_EEES6_PlJS6_EEE10hipError_tPvRmT3_T4_T5_T6_T7_T9_mT8_P12ihipStream_tbDpT10_ENKUlT_T0_E_clISt17integral_constantIbLb0EES1B_EEDaS16_S17_EUlS16_E_NS1_11comp_targetILNS1_3genE10ELNS1_11target_archE1200ELNS1_3gpuE4ELNS1_3repE0EEENS1_30default_config_static_selectorELNS0_4arch9wavefront6targetE0EEEvT1_
		.amdhsa_group_segment_fixed_size 8464
		.amdhsa_private_segment_fixed_size 0
		.amdhsa_kernarg_size 120
		.amdhsa_user_sgpr_count 2
		.amdhsa_user_sgpr_dispatch_ptr 0
		.amdhsa_user_sgpr_queue_ptr 0
		.amdhsa_user_sgpr_kernarg_segment_ptr 1
		.amdhsa_user_sgpr_dispatch_id 0
		.amdhsa_user_sgpr_private_segment_size 0
		.amdhsa_wavefront_size32 1
		.amdhsa_uses_dynamic_stack 0
		.amdhsa_enable_private_segment 0
		.amdhsa_system_sgpr_workgroup_id_x 1
		.amdhsa_system_sgpr_workgroup_id_y 0
		.amdhsa_system_sgpr_workgroup_id_z 0
		.amdhsa_system_sgpr_workgroup_info 0
		.amdhsa_system_vgpr_workitem_id 0
		.amdhsa_next_free_vgpr 46
		.amdhsa_next_free_sgpr 22
		.amdhsa_reserve_vcc 1
		.amdhsa_float_round_mode_32 0
		.amdhsa_float_round_mode_16_64 0
		.amdhsa_float_denorm_mode_32 3
		.amdhsa_float_denorm_mode_16_64 3
		.amdhsa_fp16_overflow 0
		.amdhsa_workgroup_processor_mode 1
		.amdhsa_memory_ordered 1
		.amdhsa_forward_progress 1
		.amdhsa_inst_pref_size 55
		.amdhsa_round_robin_scheduling 0
		.amdhsa_exception_fp_ieee_invalid_op 0
		.amdhsa_exception_fp_denorm_src 0
		.amdhsa_exception_fp_ieee_div_zero 0
		.amdhsa_exception_fp_ieee_overflow 0
		.amdhsa_exception_fp_ieee_underflow 0
		.amdhsa_exception_fp_ieee_inexact 0
		.amdhsa_exception_int_div_zero 0
	.end_amdhsa_kernel
	.section	.text._ZN7rocprim17ROCPRIM_400000_NS6detail17trampoline_kernelINS0_14default_configENS1_25partition_config_selectorILNS1_17partition_subalgoE5ExNS0_10empty_typeEbEEZZNS1_14partition_implILS5_5ELb0ES3_mN6thrust23THRUST_200600_302600_NS6detail15normal_iteratorINSA_10device_ptrIxEEEEPS6_NSA_18transform_iteratorINSB_9not_fun_tINSA_8identityIxEEEESF_NSA_11use_defaultESM_EENS0_5tupleIJSF_S6_EEENSO_IJSG_SG_EEES6_PlJS6_EEE10hipError_tPvRmT3_T4_T5_T6_T7_T9_mT8_P12ihipStream_tbDpT10_ENKUlT_T0_E_clISt17integral_constantIbLb0EES1B_EEDaS16_S17_EUlS16_E_NS1_11comp_targetILNS1_3genE10ELNS1_11target_archE1200ELNS1_3gpuE4ELNS1_3repE0EEENS1_30default_config_static_selectorELNS0_4arch9wavefront6targetE0EEEvT1_,"axG",@progbits,_ZN7rocprim17ROCPRIM_400000_NS6detail17trampoline_kernelINS0_14default_configENS1_25partition_config_selectorILNS1_17partition_subalgoE5ExNS0_10empty_typeEbEEZZNS1_14partition_implILS5_5ELb0ES3_mN6thrust23THRUST_200600_302600_NS6detail15normal_iteratorINSA_10device_ptrIxEEEEPS6_NSA_18transform_iteratorINSB_9not_fun_tINSA_8identityIxEEEESF_NSA_11use_defaultESM_EENS0_5tupleIJSF_S6_EEENSO_IJSG_SG_EEES6_PlJS6_EEE10hipError_tPvRmT3_T4_T5_T6_T7_T9_mT8_P12ihipStream_tbDpT10_ENKUlT_T0_E_clISt17integral_constantIbLb0EES1B_EEDaS16_S17_EUlS16_E_NS1_11comp_targetILNS1_3genE10ELNS1_11target_archE1200ELNS1_3gpuE4ELNS1_3repE0EEENS1_30default_config_static_selectorELNS0_4arch9wavefront6targetE0EEEvT1_,comdat
.Lfunc_end954:
	.size	_ZN7rocprim17ROCPRIM_400000_NS6detail17trampoline_kernelINS0_14default_configENS1_25partition_config_selectorILNS1_17partition_subalgoE5ExNS0_10empty_typeEbEEZZNS1_14partition_implILS5_5ELb0ES3_mN6thrust23THRUST_200600_302600_NS6detail15normal_iteratorINSA_10device_ptrIxEEEEPS6_NSA_18transform_iteratorINSB_9not_fun_tINSA_8identityIxEEEESF_NSA_11use_defaultESM_EENS0_5tupleIJSF_S6_EEENSO_IJSG_SG_EEES6_PlJS6_EEE10hipError_tPvRmT3_T4_T5_T6_T7_T9_mT8_P12ihipStream_tbDpT10_ENKUlT_T0_E_clISt17integral_constantIbLb0EES1B_EEDaS16_S17_EUlS16_E_NS1_11comp_targetILNS1_3genE10ELNS1_11target_archE1200ELNS1_3gpuE4ELNS1_3repE0EEENS1_30default_config_static_selectorELNS0_4arch9wavefront6targetE0EEEvT1_, .Lfunc_end954-_ZN7rocprim17ROCPRIM_400000_NS6detail17trampoline_kernelINS0_14default_configENS1_25partition_config_selectorILNS1_17partition_subalgoE5ExNS0_10empty_typeEbEEZZNS1_14partition_implILS5_5ELb0ES3_mN6thrust23THRUST_200600_302600_NS6detail15normal_iteratorINSA_10device_ptrIxEEEEPS6_NSA_18transform_iteratorINSB_9not_fun_tINSA_8identityIxEEEESF_NSA_11use_defaultESM_EENS0_5tupleIJSF_S6_EEENSO_IJSG_SG_EEES6_PlJS6_EEE10hipError_tPvRmT3_T4_T5_T6_T7_T9_mT8_P12ihipStream_tbDpT10_ENKUlT_T0_E_clISt17integral_constantIbLb0EES1B_EEDaS16_S17_EUlS16_E_NS1_11comp_targetILNS1_3genE10ELNS1_11target_archE1200ELNS1_3gpuE4ELNS1_3repE0EEENS1_30default_config_static_selectorELNS0_4arch9wavefront6targetE0EEEvT1_
                                        ; -- End function
	.set _ZN7rocprim17ROCPRIM_400000_NS6detail17trampoline_kernelINS0_14default_configENS1_25partition_config_selectorILNS1_17partition_subalgoE5ExNS0_10empty_typeEbEEZZNS1_14partition_implILS5_5ELb0ES3_mN6thrust23THRUST_200600_302600_NS6detail15normal_iteratorINSA_10device_ptrIxEEEEPS6_NSA_18transform_iteratorINSB_9not_fun_tINSA_8identityIxEEEESF_NSA_11use_defaultESM_EENS0_5tupleIJSF_S6_EEENSO_IJSG_SG_EEES6_PlJS6_EEE10hipError_tPvRmT3_T4_T5_T6_T7_T9_mT8_P12ihipStream_tbDpT10_ENKUlT_T0_E_clISt17integral_constantIbLb0EES1B_EEDaS16_S17_EUlS16_E_NS1_11comp_targetILNS1_3genE10ELNS1_11target_archE1200ELNS1_3gpuE4ELNS1_3repE0EEENS1_30default_config_static_selectorELNS0_4arch9wavefront6targetE0EEEvT1_.num_vgpr, 46
	.set _ZN7rocprim17ROCPRIM_400000_NS6detail17trampoline_kernelINS0_14default_configENS1_25partition_config_selectorILNS1_17partition_subalgoE5ExNS0_10empty_typeEbEEZZNS1_14partition_implILS5_5ELb0ES3_mN6thrust23THRUST_200600_302600_NS6detail15normal_iteratorINSA_10device_ptrIxEEEEPS6_NSA_18transform_iteratorINSB_9not_fun_tINSA_8identityIxEEEESF_NSA_11use_defaultESM_EENS0_5tupleIJSF_S6_EEENSO_IJSG_SG_EEES6_PlJS6_EEE10hipError_tPvRmT3_T4_T5_T6_T7_T9_mT8_P12ihipStream_tbDpT10_ENKUlT_T0_E_clISt17integral_constantIbLb0EES1B_EEDaS16_S17_EUlS16_E_NS1_11comp_targetILNS1_3genE10ELNS1_11target_archE1200ELNS1_3gpuE4ELNS1_3repE0EEENS1_30default_config_static_selectorELNS0_4arch9wavefront6targetE0EEEvT1_.num_agpr, 0
	.set _ZN7rocprim17ROCPRIM_400000_NS6detail17trampoline_kernelINS0_14default_configENS1_25partition_config_selectorILNS1_17partition_subalgoE5ExNS0_10empty_typeEbEEZZNS1_14partition_implILS5_5ELb0ES3_mN6thrust23THRUST_200600_302600_NS6detail15normal_iteratorINSA_10device_ptrIxEEEEPS6_NSA_18transform_iteratorINSB_9not_fun_tINSA_8identityIxEEEESF_NSA_11use_defaultESM_EENS0_5tupleIJSF_S6_EEENSO_IJSG_SG_EEES6_PlJS6_EEE10hipError_tPvRmT3_T4_T5_T6_T7_T9_mT8_P12ihipStream_tbDpT10_ENKUlT_T0_E_clISt17integral_constantIbLb0EES1B_EEDaS16_S17_EUlS16_E_NS1_11comp_targetILNS1_3genE10ELNS1_11target_archE1200ELNS1_3gpuE4ELNS1_3repE0EEENS1_30default_config_static_selectorELNS0_4arch9wavefront6targetE0EEEvT1_.numbered_sgpr, 22
	.set _ZN7rocprim17ROCPRIM_400000_NS6detail17trampoline_kernelINS0_14default_configENS1_25partition_config_selectorILNS1_17partition_subalgoE5ExNS0_10empty_typeEbEEZZNS1_14partition_implILS5_5ELb0ES3_mN6thrust23THRUST_200600_302600_NS6detail15normal_iteratorINSA_10device_ptrIxEEEEPS6_NSA_18transform_iteratorINSB_9not_fun_tINSA_8identityIxEEEESF_NSA_11use_defaultESM_EENS0_5tupleIJSF_S6_EEENSO_IJSG_SG_EEES6_PlJS6_EEE10hipError_tPvRmT3_T4_T5_T6_T7_T9_mT8_P12ihipStream_tbDpT10_ENKUlT_T0_E_clISt17integral_constantIbLb0EES1B_EEDaS16_S17_EUlS16_E_NS1_11comp_targetILNS1_3genE10ELNS1_11target_archE1200ELNS1_3gpuE4ELNS1_3repE0EEENS1_30default_config_static_selectorELNS0_4arch9wavefront6targetE0EEEvT1_.num_named_barrier, 0
	.set _ZN7rocprim17ROCPRIM_400000_NS6detail17trampoline_kernelINS0_14default_configENS1_25partition_config_selectorILNS1_17partition_subalgoE5ExNS0_10empty_typeEbEEZZNS1_14partition_implILS5_5ELb0ES3_mN6thrust23THRUST_200600_302600_NS6detail15normal_iteratorINSA_10device_ptrIxEEEEPS6_NSA_18transform_iteratorINSB_9not_fun_tINSA_8identityIxEEEESF_NSA_11use_defaultESM_EENS0_5tupleIJSF_S6_EEENSO_IJSG_SG_EEES6_PlJS6_EEE10hipError_tPvRmT3_T4_T5_T6_T7_T9_mT8_P12ihipStream_tbDpT10_ENKUlT_T0_E_clISt17integral_constantIbLb0EES1B_EEDaS16_S17_EUlS16_E_NS1_11comp_targetILNS1_3genE10ELNS1_11target_archE1200ELNS1_3gpuE4ELNS1_3repE0EEENS1_30default_config_static_selectorELNS0_4arch9wavefront6targetE0EEEvT1_.private_seg_size, 0
	.set _ZN7rocprim17ROCPRIM_400000_NS6detail17trampoline_kernelINS0_14default_configENS1_25partition_config_selectorILNS1_17partition_subalgoE5ExNS0_10empty_typeEbEEZZNS1_14partition_implILS5_5ELb0ES3_mN6thrust23THRUST_200600_302600_NS6detail15normal_iteratorINSA_10device_ptrIxEEEEPS6_NSA_18transform_iteratorINSB_9not_fun_tINSA_8identityIxEEEESF_NSA_11use_defaultESM_EENS0_5tupleIJSF_S6_EEENSO_IJSG_SG_EEES6_PlJS6_EEE10hipError_tPvRmT3_T4_T5_T6_T7_T9_mT8_P12ihipStream_tbDpT10_ENKUlT_T0_E_clISt17integral_constantIbLb0EES1B_EEDaS16_S17_EUlS16_E_NS1_11comp_targetILNS1_3genE10ELNS1_11target_archE1200ELNS1_3gpuE4ELNS1_3repE0EEENS1_30default_config_static_selectorELNS0_4arch9wavefront6targetE0EEEvT1_.uses_vcc, 1
	.set _ZN7rocprim17ROCPRIM_400000_NS6detail17trampoline_kernelINS0_14default_configENS1_25partition_config_selectorILNS1_17partition_subalgoE5ExNS0_10empty_typeEbEEZZNS1_14partition_implILS5_5ELb0ES3_mN6thrust23THRUST_200600_302600_NS6detail15normal_iteratorINSA_10device_ptrIxEEEEPS6_NSA_18transform_iteratorINSB_9not_fun_tINSA_8identityIxEEEESF_NSA_11use_defaultESM_EENS0_5tupleIJSF_S6_EEENSO_IJSG_SG_EEES6_PlJS6_EEE10hipError_tPvRmT3_T4_T5_T6_T7_T9_mT8_P12ihipStream_tbDpT10_ENKUlT_T0_E_clISt17integral_constantIbLb0EES1B_EEDaS16_S17_EUlS16_E_NS1_11comp_targetILNS1_3genE10ELNS1_11target_archE1200ELNS1_3gpuE4ELNS1_3repE0EEENS1_30default_config_static_selectorELNS0_4arch9wavefront6targetE0EEEvT1_.uses_flat_scratch, 1
	.set _ZN7rocprim17ROCPRIM_400000_NS6detail17trampoline_kernelINS0_14default_configENS1_25partition_config_selectorILNS1_17partition_subalgoE5ExNS0_10empty_typeEbEEZZNS1_14partition_implILS5_5ELb0ES3_mN6thrust23THRUST_200600_302600_NS6detail15normal_iteratorINSA_10device_ptrIxEEEEPS6_NSA_18transform_iteratorINSB_9not_fun_tINSA_8identityIxEEEESF_NSA_11use_defaultESM_EENS0_5tupleIJSF_S6_EEENSO_IJSG_SG_EEES6_PlJS6_EEE10hipError_tPvRmT3_T4_T5_T6_T7_T9_mT8_P12ihipStream_tbDpT10_ENKUlT_T0_E_clISt17integral_constantIbLb0EES1B_EEDaS16_S17_EUlS16_E_NS1_11comp_targetILNS1_3genE10ELNS1_11target_archE1200ELNS1_3gpuE4ELNS1_3repE0EEENS1_30default_config_static_selectorELNS0_4arch9wavefront6targetE0EEEvT1_.has_dyn_sized_stack, 0
	.set _ZN7rocprim17ROCPRIM_400000_NS6detail17trampoline_kernelINS0_14default_configENS1_25partition_config_selectorILNS1_17partition_subalgoE5ExNS0_10empty_typeEbEEZZNS1_14partition_implILS5_5ELb0ES3_mN6thrust23THRUST_200600_302600_NS6detail15normal_iteratorINSA_10device_ptrIxEEEEPS6_NSA_18transform_iteratorINSB_9not_fun_tINSA_8identityIxEEEESF_NSA_11use_defaultESM_EENS0_5tupleIJSF_S6_EEENSO_IJSG_SG_EEES6_PlJS6_EEE10hipError_tPvRmT3_T4_T5_T6_T7_T9_mT8_P12ihipStream_tbDpT10_ENKUlT_T0_E_clISt17integral_constantIbLb0EES1B_EEDaS16_S17_EUlS16_E_NS1_11comp_targetILNS1_3genE10ELNS1_11target_archE1200ELNS1_3gpuE4ELNS1_3repE0EEENS1_30default_config_static_selectorELNS0_4arch9wavefront6targetE0EEEvT1_.has_recursion, 0
	.set _ZN7rocprim17ROCPRIM_400000_NS6detail17trampoline_kernelINS0_14default_configENS1_25partition_config_selectorILNS1_17partition_subalgoE5ExNS0_10empty_typeEbEEZZNS1_14partition_implILS5_5ELb0ES3_mN6thrust23THRUST_200600_302600_NS6detail15normal_iteratorINSA_10device_ptrIxEEEEPS6_NSA_18transform_iteratorINSB_9not_fun_tINSA_8identityIxEEEESF_NSA_11use_defaultESM_EENS0_5tupleIJSF_S6_EEENSO_IJSG_SG_EEES6_PlJS6_EEE10hipError_tPvRmT3_T4_T5_T6_T7_T9_mT8_P12ihipStream_tbDpT10_ENKUlT_T0_E_clISt17integral_constantIbLb0EES1B_EEDaS16_S17_EUlS16_E_NS1_11comp_targetILNS1_3genE10ELNS1_11target_archE1200ELNS1_3gpuE4ELNS1_3repE0EEENS1_30default_config_static_selectorELNS0_4arch9wavefront6targetE0EEEvT1_.has_indirect_call, 0
	.section	.AMDGPU.csdata,"",@progbits
; Kernel info:
; codeLenInByte = 6960
; TotalNumSgprs: 24
; NumVgprs: 46
; ScratchSize: 0
; MemoryBound: 0
; FloatMode: 240
; IeeeMode: 1
; LDSByteSize: 8464 bytes/workgroup (compile time only)
; SGPRBlocks: 0
; VGPRBlocks: 5
; NumSGPRsForWavesPerEU: 24
; NumVGPRsForWavesPerEU: 46
; Occupancy: 16
; WaveLimiterHint : 1
; COMPUTE_PGM_RSRC2:SCRATCH_EN: 0
; COMPUTE_PGM_RSRC2:USER_SGPR: 2
; COMPUTE_PGM_RSRC2:TRAP_HANDLER: 0
; COMPUTE_PGM_RSRC2:TGID_X_EN: 1
; COMPUTE_PGM_RSRC2:TGID_Y_EN: 0
; COMPUTE_PGM_RSRC2:TGID_Z_EN: 0
; COMPUTE_PGM_RSRC2:TIDIG_COMP_CNT: 0
	.section	.text._ZN7rocprim17ROCPRIM_400000_NS6detail17trampoline_kernelINS0_14default_configENS1_25partition_config_selectorILNS1_17partition_subalgoE5ExNS0_10empty_typeEbEEZZNS1_14partition_implILS5_5ELb0ES3_mN6thrust23THRUST_200600_302600_NS6detail15normal_iteratorINSA_10device_ptrIxEEEEPS6_NSA_18transform_iteratorINSB_9not_fun_tINSA_8identityIxEEEESF_NSA_11use_defaultESM_EENS0_5tupleIJSF_S6_EEENSO_IJSG_SG_EEES6_PlJS6_EEE10hipError_tPvRmT3_T4_T5_T6_T7_T9_mT8_P12ihipStream_tbDpT10_ENKUlT_T0_E_clISt17integral_constantIbLb0EES1B_EEDaS16_S17_EUlS16_E_NS1_11comp_targetILNS1_3genE9ELNS1_11target_archE1100ELNS1_3gpuE3ELNS1_3repE0EEENS1_30default_config_static_selectorELNS0_4arch9wavefront6targetE0EEEvT1_,"axG",@progbits,_ZN7rocprim17ROCPRIM_400000_NS6detail17trampoline_kernelINS0_14default_configENS1_25partition_config_selectorILNS1_17partition_subalgoE5ExNS0_10empty_typeEbEEZZNS1_14partition_implILS5_5ELb0ES3_mN6thrust23THRUST_200600_302600_NS6detail15normal_iteratorINSA_10device_ptrIxEEEEPS6_NSA_18transform_iteratorINSB_9not_fun_tINSA_8identityIxEEEESF_NSA_11use_defaultESM_EENS0_5tupleIJSF_S6_EEENSO_IJSG_SG_EEES6_PlJS6_EEE10hipError_tPvRmT3_T4_T5_T6_T7_T9_mT8_P12ihipStream_tbDpT10_ENKUlT_T0_E_clISt17integral_constantIbLb0EES1B_EEDaS16_S17_EUlS16_E_NS1_11comp_targetILNS1_3genE9ELNS1_11target_archE1100ELNS1_3gpuE3ELNS1_3repE0EEENS1_30default_config_static_selectorELNS0_4arch9wavefront6targetE0EEEvT1_,comdat
	.protected	_ZN7rocprim17ROCPRIM_400000_NS6detail17trampoline_kernelINS0_14default_configENS1_25partition_config_selectorILNS1_17partition_subalgoE5ExNS0_10empty_typeEbEEZZNS1_14partition_implILS5_5ELb0ES3_mN6thrust23THRUST_200600_302600_NS6detail15normal_iteratorINSA_10device_ptrIxEEEEPS6_NSA_18transform_iteratorINSB_9not_fun_tINSA_8identityIxEEEESF_NSA_11use_defaultESM_EENS0_5tupleIJSF_S6_EEENSO_IJSG_SG_EEES6_PlJS6_EEE10hipError_tPvRmT3_T4_T5_T6_T7_T9_mT8_P12ihipStream_tbDpT10_ENKUlT_T0_E_clISt17integral_constantIbLb0EES1B_EEDaS16_S17_EUlS16_E_NS1_11comp_targetILNS1_3genE9ELNS1_11target_archE1100ELNS1_3gpuE3ELNS1_3repE0EEENS1_30default_config_static_selectorELNS0_4arch9wavefront6targetE0EEEvT1_ ; -- Begin function _ZN7rocprim17ROCPRIM_400000_NS6detail17trampoline_kernelINS0_14default_configENS1_25partition_config_selectorILNS1_17partition_subalgoE5ExNS0_10empty_typeEbEEZZNS1_14partition_implILS5_5ELb0ES3_mN6thrust23THRUST_200600_302600_NS6detail15normal_iteratorINSA_10device_ptrIxEEEEPS6_NSA_18transform_iteratorINSB_9not_fun_tINSA_8identityIxEEEESF_NSA_11use_defaultESM_EENS0_5tupleIJSF_S6_EEENSO_IJSG_SG_EEES6_PlJS6_EEE10hipError_tPvRmT3_T4_T5_T6_T7_T9_mT8_P12ihipStream_tbDpT10_ENKUlT_T0_E_clISt17integral_constantIbLb0EES1B_EEDaS16_S17_EUlS16_E_NS1_11comp_targetILNS1_3genE9ELNS1_11target_archE1100ELNS1_3gpuE3ELNS1_3repE0EEENS1_30default_config_static_selectorELNS0_4arch9wavefront6targetE0EEEvT1_
	.globl	_ZN7rocprim17ROCPRIM_400000_NS6detail17trampoline_kernelINS0_14default_configENS1_25partition_config_selectorILNS1_17partition_subalgoE5ExNS0_10empty_typeEbEEZZNS1_14partition_implILS5_5ELb0ES3_mN6thrust23THRUST_200600_302600_NS6detail15normal_iteratorINSA_10device_ptrIxEEEEPS6_NSA_18transform_iteratorINSB_9not_fun_tINSA_8identityIxEEEESF_NSA_11use_defaultESM_EENS0_5tupleIJSF_S6_EEENSO_IJSG_SG_EEES6_PlJS6_EEE10hipError_tPvRmT3_T4_T5_T6_T7_T9_mT8_P12ihipStream_tbDpT10_ENKUlT_T0_E_clISt17integral_constantIbLb0EES1B_EEDaS16_S17_EUlS16_E_NS1_11comp_targetILNS1_3genE9ELNS1_11target_archE1100ELNS1_3gpuE3ELNS1_3repE0EEENS1_30default_config_static_selectorELNS0_4arch9wavefront6targetE0EEEvT1_
	.p2align	8
	.type	_ZN7rocprim17ROCPRIM_400000_NS6detail17trampoline_kernelINS0_14default_configENS1_25partition_config_selectorILNS1_17partition_subalgoE5ExNS0_10empty_typeEbEEZZNS1_14partition_implILS5_5ELb0ES3_mN6thrust23THRUST_200600_302600_NS6detail15normal_iteratorINSA_10device_ptrIxEEEEPS6_NSA_18transform_iteratorINSB_9not_fun_tINSA_8identityIxEEEESF_NSA_11use_defaultESM_EENS0_5tupleIJSF_S6_EEENSO_IJSG_SG_EEES6_PlJS6_EEE10hipError_tPvRmT3_T4_T5_T6_T7_T9_mT8_P12ihipStream_tbDpT10_ENKUlT_T0_E_clISt17integral_constantIbLb0EES1B_EEDaS16_S17_EUlS16_E_NS1_11comp_targetILNS1_3genE9ELNS1_11target_archE1100ELNS1_3gpuE3ELNS1_3repE0EEENS1_30default_config_static_selectorELNS0_4arch9wavefront6targetE0EEEvT1_,@function
_ZN7rocprim17ROCPRIM_400000_NS6detail17trampoline_kernelINS0_14default_configENS1_25partition_config_selectorILNS1_17partition_subalgoE5ExNS0_10empty_typeEbEEZZNS1_14partition_implILS5_5ELb0ES3_mN6thrust23THRUST_200600_302600_NS6detail15normal_iteratorINSA_10device_ptrIxEEEEPS6_NSA_18transform_iteratorINSB_9not_fun_tINSA_8identityIxEEEESF_NSA_11use_defaultESM_EENS0_5tupleIJSF_S6_EEENSO_IJSG_SG_EEES6_PlJS6_EEE10hipError_tPvRmT3_T4_T5_T6_T7_T9_mT8_P12ihipStream_tbDpT10_ENKUlT_T0_E_clISt17integral_constantIbLb0EES1B_EEDaS16_S17_EUlS16_E_NS1_11comp_targetILNS1_3genE9ELNS1_11target_archE1100ELNS1_3gpuE3ELNS1_3repE0EEENS1_30default_config_static_selectorELNS0_4arch9wavefront6targetE0EEEvT1_: ; @_ZN7rocprim17ROCPRIM_400000_NS6detail17trampoline_kernelINS0_14default_configENS1_25partition_config_selectorILNS1_17partition_subalgoE5ExNS0_10empty_typeEbEEZZNS1_14partition_implILS5_5ELb0ES3_mN6thrust23THRUST_200600_302600_NS6detail15normal_iteratorINSA_10device_ptrIxEEEEPS6_NSA_18transform_iteratorINSB_9not_fun_tINSA_8identityIxEEEESF_NSA_11use_defaultESM_EENS0_5tupleIJSF_S6_EEENSO_IJSG_SG_EEES6_PlJS6_EEE10hipError_tPvRmT3_T4_T5_T6_T7_T9_mT8_P12ihipStream_tbDpT10_ENKUlT_T0_E_clISt17integral_constantIbLb0EES1B_EEDaS16_S17_EUlS16_E_NS1_11comp_targetILNS1_3genE9ELNS1_11target_archE1100ELNS1_3gpuE3ELNS1_3repE0EEENS1_30default_config_static_selectorELNS0_4arch9wavefront6targetE0EEEvT1_
; %bb.0:
	.section	.rodata,"a",@progbits
	.p2align	6, 0x0
	.amdhsa_kernel _ZN7rocprim17ROCPRIM_400000_NS6detail17trampoline_kernelINS0_14default_configENS1_25partition_config_selectorILNS1_17partition_subalgoE5ExNS0_10empty_typeEbEEZZNS1_14partition_implILS5_5ELb0ES3_mN6thrust23THRUST_200600_302600_NS6detail15normal_iteratorINSA_10device_ptrIxEEEEPS6_NSA_18transform_iteratorINSB_9not_fun_tINSA_8identityIxEEEESF_NSA_11use_defaultESM_EENS0_5tupleIJSF_S6_EEENSO_IJSG_SG_EEES6_PlJS6_EEE10hipError_tPvRmT3_T4_T5_T6_T7_T9_mT8_P12ihipStream_tbDpT10_ENKUlT_T0_E_clISt17integral_constantIbLb0EES1B_EEDaS16_S17_EUlS16_E_NS1_11comp_targetILNS1_3genE9ELNS1_11target_archE1100ELNS1_3gpuE3ELNS1_3repE0EEENS1_30default_config_static_selectorELNS0_4arch9wavefront6targetE0EEEvT1_
		.amdhsa_group_segment_fixed_size 0
		.amdhsa_private_segment_fixed_size 0
		.amdhsa_kernarg_size 120
		.amdhsa_user_sgpr_count 2
		.amdhsa_user_sgpr_dispatch_ptr 0
		.amdhsa_user_sgpr_queue_ptr 0
		.amdhsa_user_sgpr_kernarg_segment_ptr 1
		.amdhsa_user_sgpr_dispatch_id 0
		.amdhsa_user_sgpr_private_segment_size 0
		.amdhsa_wavefront_size32 1
		.amdhsa_uses_dynamic_stack 0
		.amdhsa_enable_private_segment 0
		.amdhsa_system_sgpr_workgroup_id_x 1
		.amdhsa_system_sgpr_workgroup_id_y 0
		.amdhsa_system_sgpr_workgroup_id_z 0
		.amdhsa_system_sgpr_workgroup_info 0
		.amdhsa_system_vgpr_workitem_id 0
		.amdhsa_next_free_vgpr 1
		.amdhsa_next_free_sgpr 1
		.amdhsa_reserve_vcc 0
		.amdhsa_float_round_mode_32 0
		.amdhsa_float_round_mode_16_64 0
		.amdhsa_float_denorm_mode_32 3
		.amdhsa_float_denorm_mode_16_64 3
		.amdhsa_fp16_overflow 0
		.amdhsa_workgroup_processor_mode 1
		.amdhsa_memory_ordered 1
		.amdhsa_forward_progress 1
		.amdhsa_inst_pref_size 0
		.amdhsa_round_robin_scheduling 0
		.amdhsa_exception_fp_ieee_invalid_op 0
		.amdhsa_exception_fp_denorm_src 0
		.amdhsa_exception_fp_ieee_div_zero 0
		.amdhsa_exception_fp_ieee_overflow 0
		.amdhsa_exception_fp_ieee_underflow 0
		.amdhsa_exception_fp_ieee_inexact 0
		.amdhsa_exception_int_div_zero 0
	.end_amdhsa_kernel
	.section	.text._ZN7rocprim17ROCPRIM_400000_NS6detail17trampoline_kernelINS0_14default_configENS1_25partition_config_selectorILNS1_17partition_subalgoE5ExNS0_10empty_typeEbEEZZNS1_14partition_implILS5_5ELb0ES3_mN6thrust23THRUST_200600_302600_NS6detail15normal_iteratorINSA_10device_ptrIxEEEEPS6_NSA_18transform_iteratorINSB_9not_fun_tINSA_8identityIxEEEESF_NSA_11use_defaultESM_EENS0_5tupleIJSF_S6_EEENSO_IJSG_SG_EEES6_PlJS6_EEE10hipError_tPvRmT3_T4_T5_T6_T7_T9_mT8_P12ihipStream_tbDpT10_ENKUlT_T0_E_clISt17integral_constantIbLb0EES1B_EEDaS16_S17_EUlS16_E_NS1_11comp_targetILNS1_3genE9ELNS1_11target_archE1100ELNS1_3gpuE3ELNS1_3repE0EEENS1_30default_config_static_selectorELNS0_4arch9wavefront6targetE0EEEvT1_,"axG",@progbits,_ZN7rocprim17ROCPRIM_400000_NS6detail17trampoline_kernelINS0_14default_configENS1_25partition_config_selectorILNS1_17partition_subalgoE5ExNS0_10empty_typeEbEEZZNS1_14partition_implILS5_5ELb0ES3_mN6thrust23THRUST_200600_302600_NS6detail15normal_iteratorINSA_10device_ptrIxEEEEPS6_NSA_18transform_iteratorINSB_9not_fun_tINSA_8identityIxEEEESF_NSA_11use_defaultESM_EENS0_5tupleIJSF_S6_EEENSO_IJSG_SG_EEES6_PlJS6_EEE10hipError_tPvRmT3_T4_T5_T6_T7_T9_mT8_P12ihipStream_tbDpT10_ENKUlT_T0_E_clISt17integral_constantIbLb0EES1B_EEDaS16_S17_EUlS16_E_NS1_11comp_targetILNS1_3genE9ELNS1_11target_archE1100ELNS1_3gpuE3ELNS1_3repE0EEENS1_30default_config_static_selectorELNS0_4arch9wavefront6targetE0EEEvT1_,comdat
.Lfunc_end955:
	.size	_ZN7rocprim17ROCPRIM_400000_NS6detail17trampoline_kernelINS0_14default_configENS1_25partition_config_selectorILNS1_17partition_subalgoE5ExNS0_10empty_typeEbEEZZNS1_14partition_implILS5_5ELb0ES3_mN6thrust23THRUST_200600_302600_NS6detail15normal_iteratorINSA_10device_ptrIxEEEEPS6_NSA_18transform_iteratorINSB_9not_fun_tINSA_8identityIxEEEESF_NSA_11use_defaultESM_EENS0_5tupleIJSF_S6_EEENSO_IJSG_SG_EEES6_PlJS6_EEE10hipError_tPvRmT3_T4_T5_T6_T7_T9_mT8_P12ihipStream_tbDpT10_ENKUlT_T0_E_clISt17integral_constantIbLb0EES1B_EEDaS16_S17_EUlS16_E_NS1_11comp_targetILNS1_3genE9ELNS1_11target_archE1100ELNS1_3gpuE3ELNS1_3repE0EEENS1_30default_config_static_selectorELNS0_4arch9wavefront6targetE0EEEvT1_, .Lfunc_end955-_ZN7rocprim17ROCPRIM_400000_NS6detail17trampoline_kernelINS0_14default_configENS1_25partition_config_selectorILNS1_17partition_subalgoE5ExNS0_10empty_typeEbEEZZNS1_14partition_implILS5_5ELb0ES3_mN6thrust23THRUST_200600_302600_NS6detail15normal_iteratorINSA_10device_ptrIxEEEEPS6_NSA_18transform_iteratorINSB_9not_fun_tINSA_8identityIxEEEESF_NSA_11use_defaultESM_EENS0_5tupleIJSF_S6_EEENSO_IJSG_SG_EEES6_PlJS6_EEE10hipError_tPvRmT3_T4_T5_T6_T7_T9_mT8_P12ihipStream_tbDpT10_ENKUlT_T0_E_clISt17integral_constantIbLb0EES1B_EEDaS16_S17_EUlS16_E_NS1_11comp_targetILNS1_3genE9ELNS1_11target_archE1100ELNS1_3gpuE3ELNS1_3repE0EEENS1_30default_config_static_selectorELNS0_4arch9wavefront6targetE0EEEvT1_
                                        ; -- End function
	.set _ZN7rocprim17ROCPRIM_400000_NS6detail17trampoline_kernelINS0_14default_configENS1_25partition_config_selectorILNS1_17partition_subalgoE5ExNS0_10empty_typeEbEEZZNS1_14partition_implILS5_5ELb0ES3_mN6thrust23THRUST_200600_302600_NS6detail15normal_iteratorINSA_10device_ptrIxEEEEPS6_NSA_18transform_iteratorINSB_9not_fun_tINSA_8identityIxEEEESF_NSA_11use_defaultESM_EENS0_5tupleIJSF_S6_EEENSO_IJSG_SG_EEES6_PlJS6_EEE10hipError_tPvRmT3_T4_T5_T6_T7_T9_mT8_P12ihipStream_tbDpT10_ENKUlT_T0_E_clISt17integral_constantIbLb0EES1B_EEDaS16_S17_EUlS16_E_NS1_11comp_targetILNS1_3genE9ELNS1_11target_archE1100ELNS1_3gpuE3ELNS1_3repE0EEENS1_30default_config_static_selectorELNS0_4arch9wavefront6targetE0EEEvT1_.num_vgpr, 0
	.set _ZN7rocprim17ROCPRIM_400000_NS6detail17trampoline_kernelINS0_14default_configENS1_25partition_config_selectorILNS1_17partition_subalgoE5ExNS0_10empty_typeEbEEZZNS1_14partition_implILS5_5ELb0ES3_mN6thrust23THRUST_200600_302600_NS6detail15normal_iteratorINSA_10device_ptrIxEEEEPS6_NSA_18transform_iteratorINSB_9not_fun_tINSA_8identityIxEEEESF_NSA_11use_defaultESM_EENS0_5tupleIJSF_S6_EEENSO_IJSG_SG_EEES6_PlJS6_EEE10hipError_tPvRmT3_T4_T5_T6_T7_T9_mT8_P12ihipStream_tbDpT10_ENKUlT_T0_E_clISt17integral_constantIbLb0EES1B_EEDaS16_S17_EUlS16_E_NS1_11comp_targetILNS1_3genE9ELNS1_11target_archE1100ELNS1_3gpuE3ELNS1_3repE0EEENS1_30default_config_static_selectorELNS0_4arch9wavefront6targetE0EEEvT1_.num_agpr, 0
	.set _ZN7rocprim17ROCPRIM_400000_NS6detail17trampoline_kernelINS0_14default_configENS1_25partition_config_selectorILNS1_17partition_subalgoE5ExNS0_10empty_typeEbEEZZNS1_14partition_implILS5_5ELb0ES3_mN6thrust23THRUST_200600_302600_NS6detail15normal_iteratorINSA_10device_ptrIxEEEEPS6_NSA_18transform_iteratorINSB_9not_fun_tINSA_8identityIxEEEESF_NSA_11use_defaultESM_EENS0_5tupleIJSF_S6_EEENSO_IJSG_SG_EEES6_PlJS6_EEE10hipError_tPvRmT3_T4_T5_T6_T7_T9_mT8_P12ihipStream_tbDpT10_ENKUlT_T0_E_clISt17integral_constantIbLb0EES1B_EEDaS16_S17_EUlS16_E_NS1_11comp_targetILNS1_3genE9ELNS1_11target_archE1100ELNS1_3gpuE3ELNS1_3repE0EEENS1_30default_config_static_selectorELNS0_4arch9wavefront6targetE0EEEvT1_.numbered_sgpr, 0
	.set _ZN7rocprim17ROCPRIM_400000_NS6detail17trampoline_kernelINS0_14default_configENS1_25partition_config_selectorILNS1_17partition_subalgoE5ExNS0_10empty_typeEbEEZZNS1_14partition_implILS5_5ELb0ES3_mN6thrust23THRUST_200600_302600_NS6detail15normal_iteratorINSA_10device_ptrIxEEEEPS6_NSA_18transform_iteratorINSB_9not_fun_tINSA_8identityIxEEEESF_NSA_11use_defaultESM_EENS0_5tupleIJSF_S6_EEENSO_IJSG_SG_EEES6_PlJS6_EEE10hipError_tPvRmT3_T4_T5_T6_T7_T9_mT8_P12ihipStream_tbDpT10_ENKUlT_T0_E_clISt17integral_constantIbLb0EES1B_EEDaS16_S17_EUlS16_E_NS1_11comp_targetILNS1_3genE9ELNS1_11target_archE1100ELNS1_3gpuE3ELNS1_3repE0EEENS1_30default_config_static_selectorELNS0_4arch9wavefront6targetE0EEEvT1_.num_named_barrier, 0
	.set _ZN7rocprim17ROCPRIM_400000_NS6detail17trampoline_kernelINS0_14default_configENS1_25partition_config_selectorILNS1_17partition_subalgoE5ExNS0_10empty_typeEbEEZZNS1_14partition_implILS5_5ELb0ES3_mN6thrust23THRUST_200600_302600_NS6detail15normal_iteratorINSA_10device_ptrIxEEEEPS6_NSA_18transform_iteratorINSB_9not_fun_tINSA_8identityIxEEEESF_NSA_11use_defaultESM_EENS0_5tupleIJSF_S6_EEENSO_IJSG_SG_EEES6_PlJS6_EEE10hipError_tPvRmT3_T4_T5_T6_T7_T9_mT8_P12ihipStream_tbDpT10_ENKUlT_T0_E_clISt17integral_constantIbLb0EES1B_EEDaS16_S17_EUlS16_E_NS1_11comp_targetILNS1_3genE9ELNS1_11target_archE1100ELNS1_3gpuE3ELNS1_3repE0EEENS1_30default_config_static_selectorELNS0_4arch9wavefront6targetE0EEEvT1_.private_seg_size, 0
	.set _ZN7rocprim17ROCPRIM_400000_NS6detail17trampoline_kernelINS0_14default_configENS1_25partition_config_selectorILNS1_17partition_subalgoE5ExNS0_10empty_typeEbEEZZNS1_14partition_implILS5_5ELb0ES3_mN6thrust23THRUST_200600_302600_NS6detail15normal_iteratorINSA_10device_ptrIxEEEEPS6_NSA_18transform_iteratorINSB_9not_fun_tINSA_8identityIxEEEESF_NSA_11use_defaultESM_EENS0_5tupleIJSF_S6_EEENSO_IJSG_SG_EEES6_PlJS6_EEE10hipError_tPvRmT3_T4_T5_T6_T7_T9_mT8_P12ihipStream_tbDpT10_ENKUlT_T0_E_clISt17integral_constantIbLb0EES1B_EEDaS16_S17_EUlS16_E_NS1_11comp_targetILNS1_3genE9ELNS1_11target_archE1100ELNS1_3gpuE3ELNS1_3repE0EEENS1_30default_config_static_selectorELNS0_4arch9wavefront6targetE0EEEvT1_.uses_vcc, 0
	.set _ZN7rocprim17ROCPRIM_400000_NS6detail17trampoline_kernelINS0_14default_configENS1_25partition_config_selectorILNS1_17partition_subalgoE5ExNS0_10empty_typeEbEEZZNS1_14partition_implILS5_5ELb0ES3_mN6thrust23THRUST_200600_302600_NS6detail15normal_iteratorINSA_10device_ptrIxEEEEPS6_NSA_18transform_iteratorINSB_9not_fun_tINSA_8identityIxEEEESF_NSA_11use_defaultESM_EENS0_5tupleIJSF_S6_EEENSO_IJSG_SG_EEES6_PlJS6_EEE10hipError_tPvRmT3_T4_T5_T6_T7_T9_mT8_P12ihipStream_tbDpT10_ENKUlT_T0_E_clISt17integral_constantIbLb0EES1B_EEDaS16_S17_EUlS16_E_NS1_11comp_targetILNS1_3genE9ELNS1_11target_archE1100ELNS1_3gpuE3ELNS1_3repE0EEENS1_30default_config_static_selectorELNS0_4arch9wavefront6targetE0EEEvT1_.uses_flat_scratch, 0
	.set _ZN7rocprim17ROCPRIM_400000_NS6detail17trampoline_kernelINS0_14default_configENS1_25partition_config_selectorILNS1_17partition_subalgoE5ExNS0_10empty_typeEbEEZZNS1_14partition_implILS5_5ELb0ES3_mN6thrust23THRUST_200600_302600_NS6detail15normal_iteratorINSA_10device_ptrIxEEEEPS6_NSA_18transform_iteratorINSB_9not_fun_tINSA_8identityIxEEEESF_NSA_11use_defaultESM_EENS0_5tupleIJSF_S6_EEENSO_IJSG_SG_EEES6_PlJS6_EEE10hipError_tPvRmT3_T4_T5_T6_T7_T9_mT8_P12ihipStream_tbDpT10_ENKUlT_T0_E_clISt17integral_constantIbLb0EES1B_EEDaS16_S17_EUlS16_E_NS1_11comp_targetILNS1_3genE9ELNS1_11target_archE1100ELNS1_3gpuE3ELNS1_3repE0EEENS1_30default_config_static_selectorELNS0_4arch9wavefront6targetE0EEEvT1_.has_dyn_sized_stack, 0
	.set _ZN7rocprim17ROCPRIM_400000_NS6detail17trampoline_kernelINS0_14default_configENS1_25partition_config_selectorILNS1_17partition_subalgoE5ExNS0_10empty_typeEbEEZZNS1_14partition_implILS5_5ELb0ES3_mN6thrust23THRUST_200600_302600_NS6detail15normal_iteratorINSA_10device_ptrIxEEEEPS6_NSA_18transform_iteratorINSB_9not_fun_tINSA_8identityIxEEEESF_NSA_11use_defaultESM_EENS0_5tupleIJSF_S6_EEENSO_IJSG_SG_EEES6_PlJS6_EEE10hipError_tPvRmT3_T4_T5_T6_T7_T9_mT8_P12ihipStream_tbDpT10_ENKUlT_T0_E_clISt17integral_constantIbLb0EES1B_EEDaS16_S17_EUlS16_E_NS1_11comp_targetILNS1_3genE9ELNS1_11target_archE1100ELNS1_3gpuE3ELNS1_3repE0EEENS1_30default_config_static_selectorELNS0_4arch9wavefront6targetE0EEEvT1_.has_recursion, 0
	.set _ZN7rocprim17ROCPRIM_400000_NS6detail17trampoline_kernelINS0_14default_configENS1_25partition_config_selectorILNS1_17partition_subalgoE5ExNS0_10empty_typeEbEEZZNS1_14partition_implILS5_5ELb0ES3_mN6thrust23THRUST_200600_302600_NS6detail15normal_iteratorINSA_10device_ptrIxEEEEPS6_NSA_18transform_iteratorINSB_9not_fun_tINSA_8identityIxEEEESF_NSA_11use_defaultESM_EENS0_5tupleIJSF_S6_EEENSO_IJSG_SG_EEES6_PlJS6_EEE10hipError_tPvRmT3_T4_T5_T6_T7_T9_mT8_P12ihipStream_tbDpT10_ENKUlT_T0_E_clISt17integral_constantIbLb0EES1B_EEDaS16_S17_EUlS16_E_NS1_11comp_targetILNS1_3genE9ELNS1_11target_archE1100ELNS1_3gpuE3ELNS1_3repE0EEENS1_30default_config_static_selectorELNS0_4arch9wavefront6targetE0EEEvT1_.has_indirect_call, 0
	.section	.AMDGPU.csdata,"",@progbits
; Kernel info:
; codeLenInByte = 0
; TotalNumSgprs: 0
; NumVgprs: 0
; ScratchSize: 0
; MemoryBound: 0
; FloatMode: 240
; IeeeMode: 1
; LDSByteSize: 0 bytes/workgroup (compile time only)
; SGPRBlocks: 0
; VGPRBlocks: 0
; NumSGPRsForWavesPerEU: 1
; NumVGPRsForWavesPerEU: 1
; Occupancy: 16
; WaveLimiterHint : 0
; COMPUTE_PGM_RSRC2:SCRATCH_EN: 0
; COMPUTE_PGM_RSRC2:USER_SGPR: 2
; COMPUTE_PGM_RSRC2:TRAP_HANDLER: 0
; COMPUTE_PGM_RSRC2:TGID_X_EN: 1
; COMPUTE_PGM_RSRC2:TGID_Y_EN: 0
; COMPUTE_PGM_RSRC2:TGID_Z_EN: 0
; COMPUTE_PGM_RSRC2:TIDIG_COMP_CNT: 0
	.section	.text._ZN7rocprim17ROCPRIM_400000_NS6detail17trampoline_kernelINS0_14default_configENS1_25partition_config_selectorILNS1_17partition_subalgoE5ExNS0_10empty_typeEbEEZZNS1_14partition_implILS5_5ELb0ES3_mN6thrust23THRUST_200600_302600_NS6detail15normal_iteratorINSA_10device_ptrIxEEEEPS6_NSA_18transform_iteratorINSB_9not_fun_tINSA_8identityIxEEEESF_NSA_11use_defaultESM_EENS0_5tupleIJSF_S6_EEENSO_IJSG_SG_EEES6_PlJS6_EEE10hipError_tPvRmT3_T4_T5_T6_T7_T9_mT8_P12ihipStream_tbDpT10_ENKUlT_T0_E_clISt17integral_constantIbLb0EES1B_EEDaS16_S17_EUlS16_E_NS1_11comp_targetILNS1_3genE8ELNS1_11target_archE1030ELNS1_3gpuE2ELNS1_3repE0EEENS1_30default_config_static_selectorELNS0_4arch9wavefront6targetE0EEEvT1_,"axG",@progbits,_ZN7rocprim17ROCPRIM_400000_NS6detail17trampoline_kernelINS0_14default_configENS1_25partition_config_selectorILNS1_17partition_subalgoE5ExNS0_10empty_typeEbEEZZNS1_14partition_implILS5_5ELb0ES3_mN6thrust23THRUST_200600_302600_NS6detail15normal_iteratorINSA_10device_ptrIxEEEEPS6_NSA_18transform_iteratorINSB_9not_fun_tINSA_8identityIxEEEESF_NSA_11use_defaultESM_EENS0_5tupleIJSF_S6_EEENSO_IJSG_SG_EEES6_PlJS6_EEE10hipError_tPvRmT3_T4_T5_T6_T7_T9_mT8_P12ihipStream_tbDpT10_ENKUlT_T0_E_clISt17integral_constantIbLb0EES1B_EEDaS16_S17_EUlS16_E_NS1_11comp_targetILNS1_3genE8ELNS1_11target_archE1030ELNS1_3gpuE2ELNS1_3repE0EEENS1_30default_config_static_selectorELNS0_4arch9wavefront6targetE0EEEvT1_,comdat
	.protected	_ZN7rocprim17ROCPRIM_400000_NS6detail17trampoline_kernelINS0_14default_configENS1_25partition_config_selectorILNS1_17partition_subalgoE5ExNS0_10empty_typeEbEEZZNS1_14partition_implILS5_5ELb0ES3_mN6thrust23THRUST_200600_302600_NS6detail15normal_iteratorINSA_10device_ptrIxEEEEPS6_NSA_18transform_iteratorINSB_9not_fun_tINSA_8identityIxEEEESF_NSA_11use_defaultESM_EENS0_5tupleIJSF_S6_EEENSO_IJSG_SG_EEES6_PlJS6_EEE10hipError_tPvRmT3_T4_T5_T6_T7_T9_mT8_P12ihipStream_tbDpT10_ENKUlT_T0_E_clISt17integral_constantIbLb0EES1B_EEDaS16_S17_EUlS16_E_NS1_11comp_targetILNS1_3genE8ELNS1_11target_archE1030ELNS1_3gpuE2ELNS1_3repE0EEENS1_30default_config_static_selectorELNS0_4arch9wavefront6targetE0EEEvT1_ ; -- Begin function _ZN7rocprim17ROCPRIM_400000_NS6detail17trampoline_kernelINS0_14default_configENS1_25partition_config_selectorILNS1_17partition_subalgoE5ExNS0_10empty_typeEbEEZZNS1_14partition_implILS5_5ELb0ES3_mN6thrust23THRUST_200600_302600_NS6detail15normal_iteratorINSA_10device_ptrIxEEEEPS6_NSA_18transform_iteratorINSB_9not_fun_tINSA_8identityIxEEEESF_NSA_11use_defaultESM_EENS0_5tupleIJSF_S6_EEENSO_IJSG_SG_EEES6_PlJS6_EEE10hipError_tPvRmT3_T4_T5_T6_T7_T9_mT8_P12ihipStream_tbDpT10_ENKUlT_T0_E_clISt17integral_constantIbLb0EES1B_EEDaS16_S17_EUlS16_E_NS1_11comp_targetILNS1_3genE8ELNS1_11target_archE1030ELNS1_3gpuE2ELNS1_3repE0EEENS1_30default_config_static_selectorELNS0_4arch9wavefront6targetE0EEEvT1_
	.globl	_ZN7rocprim17ROCPRIM_400000_NS6detail17trampoline_kernelINS0_14default_configENS1_25partition_config_selectorILNS1_17partition_subalgoE5ExNS0_10empty_typeEbEEZZNS1_14partition_implILS5_5ELb0ES3_mN6thrust23THRUST_200600_302600_NS6detail15normal_iteratorINSA_10device_ptrIxEEEEPS6_NSA_18transform_iteratorINSB_9not_fun_tINSA_8identityIxEEEESF_NSA_11use_defaultESM_EENS0_5tupleIJSF_S6_EEENSO_IJSG_SG_EEES6_PlJS6_EEE10hipError_tPvRmT3_T4_T5_T6_T7_T9_mT8_P12ihipStream_tbDpT10_ENKUlT_T0_E_clISt17integral_constantIbLb0EES1B_EEDaS16_S17_EUlS16_E_NS1_11comp_targetILNS1_3genE8ELNS1_11target_archE1030ELNS1_3gpuE2ELNS1_3repE0EEENS1_30default_config_static_selectorELNS0_4arch9wavefront6targetE0EEEvT1_
	.p2align	8
	.type	_ZN7rocprim17ROCPRIM_400000_NS6detail17trampoline_kernelINS0_14default_configENS1_25partition_config_selectorILNS1_17partition_subalgoE5ExNS0_10empty_typeEbEEZZNS1_14partition_implILS5_5ELb0ES3_mN6thrust23THRUST_200600_302600_NS6detail15normal_iteratorINSA_10device_ptrIxEEEEPS6_NSA_18transform_iteratorINSB_9not_fun_tINSA_8identityIxEEEESF_NSA_11use_defaultESM_EENS0_5tupleIJSF_S6_EEENSO_IJSG_SG_EEES6_PlJS6_EEE10hipError_tPvRmT3_T4_T5_T6_T7_T9_mT8_P12ihipStream_tbDpT10_ENKUlT_T0_E_clISt17integral_constantIbLb0EES1B_EEDaS16_S17_EUlS16_E_NS1_11comp_targetILNS1_3genE8ELNS1_11target_archE1030ELNS1_3gpuE2ELNS1_3repE0EEENS1_30default_config_static_selectorELNS0_4arch9wavefront6targetE0EEEvT1_,@function
_ZN7rocprim17ROCPRIM_400000_NS6detail17trampoline_kernelINS0_14default_configENS1_25partition_config_selectorILNS1_17partition_subalgoE5ExNS0_10empty_typeEbEEZZNS1_14partition_implILS5_5ELb0ES3_mN6thrust23THRUST_200600_302600_NS6detail15normal_iteratorINSA_10device_ptrIxEEEEPS6_NSA_18transform_iteratorINSB_9not_fun_tINSA_8identityIxEEEESF_NSA_11use_defaultESM_EENS0_5tupleIJSF_S6_EEENSO_IJSG_SG_EEES6_PlJS6_EEE10hipError_tPvRmT3_T4_T5_T6_T7_T9_mT8_P12ihipStream_tbDpT10_ENKUlT_T0_E_clISt17integral_constantIbLb0EES1B_EEDaS16_S17_EUlS16_E_NS1_11comp_targetILNS1_3genE8ELNS1_11target_archE1030ELNS1_3gpuE2ELNS1_3repE0EEENS1_30default_config_static_selectorELNS0_4arch9wavefront6targetE0EEEvT1_: ; @_ZN7rocprim17ROCPRIM_400000_NS6detail17trampoline_kernelINS0_14default_configENS1_25partition_config_selectorILNS1_17partition_subalgoE5ExNS0_10empty_typeEbEEZZNS1_14partition_implILS5_5ELb0ES3_mN6thrust23THRUST_200600_302600_NS6detail15normal_iteratorINSA_10device_ptrIxEEEEPS6_NSA_18transform_iteratorINSB_9not_fun_tINSA_8identityIxEEEESF_NSA_11use_defaultESM_EENS0_5tupleIJSF_S6_EEENSO_IJSG_SG_EEES6_PlJS6_EEE10hipError_tPvRmT3_T4_T5_T6_T7_T9_mT8_P12ihipStream_tbDpT10_ENKUlT_T0_E_clISt17integral_constantIbLb0EES1B_EEDaS16_S17_EUlS16_E_NS1_11comp_targetILNS1_3genE8ELNS1_11target_archE1030ELNS1_3gpuE2ELNS1_3repE0EEENS1_30default_config_static_selectorELNS0_4arch9wavefront6targetE0EEEvT1_
; %bb.0:
	.section	.rodata,"a",@progbits
	.p2align	6, 0x0
	.amdhsa_kernel _ZN7rocprim17ROCPRIM_400000_NS6detail17trampoline_kernelINS0_14default_configENS1_25partition_config_selectorILNS1_17partition_subalgoE5ExNS0_10empty_typeEbEEZZNS1_14partition_implILS5_5ELb0ES3_mN6thrust23THRUST_200600_302600_NS6detail15normal_iteratorINSA_10device_ptrIxEEEEPS6_NSA_18transform_iteratorINSB_9not_fun_tINSA_8identityIxEEEESF_NSA_11use_defaultESM_EENS0_5tupleIJSF_S6_EEENSO_IJSG_SG_EEES6_PlJS6_EEE10hipError_tPvRmT3_T4_T5_T6_T7_T9_mT8_P12ihipStream_tbDpT10_ENKUlT_T0_E_clISt17integral_constantIbLb0EES1B_EEDaS16_S17_EUlS16_E_NS1_11comp_targetILNS1_3genE8ELNS1_11target_archE1030ELNS1_3gpuE2ELNS1_3repE0EEENS1_30default_config_static_selectorELNS0_4arch9wavefront6targetE0EEEvT1_
		.amdhsa_group_segment_fixed_size 0
		.amdhsa_private_segment_fixed_size 0
		.amdhsa_kernarg_size 120
		.amdhsa_user_sgpr_count 2
		.amdhsa_user_sgpr_dispatch_ptr 0
		.amdhsa_user_sgpr_queue_ptr 0
		.amdhsa_user_sgpr_kernarg_segment_ptr 1
		.amdhsa_user_sgpr_dispatch_id 0
		.amdhsa_user_sgpr_private_segment_size 0
		.amdhsa_wavefront_size32 1
		.amdhsa_uses_dynamic_stack 0
		.amdhsa_enable_private_segment 0
		.amdhsa_system_sgpr_workgroup_id_x 1
		.amdhsa_system_sgpr_workgroup_id_y 0
		.amdhsa_system_sgpr_workgroup_id_z 0
		.amdhsa_system_sgpr_workgroup_info 0
		.amdhsa_system_vgpr_workitem_id 0
		.amdhsa_next_free_vgpr 1
		.amdhsa_next_free_sgpr 1
		.amdhsa_reserve_vcc 0
		.amdhsa_float_round_mode_32 0
		.amdhsa_float_round_mode_16_64 0
		.amdhsa_float_denorm_mode_32 3
		.amdhsa_float_denorm_mode_16_64 3
		.amdhsa_fp16_overflow 0
		.amdhsa_workgroup_processor_mode 1
		.amdhsa_memory_ordered 1
		.amdhsa_forward_progress 1
		.amdhsa_inst_pref_size 0
		.amdhsa_round_robin_scheduling 0
		.amdhsa_exception_fp_ieee_invalid_op 0
		.amdhsa_exception_fp_denorm_src 0
		.amdhsa_exception_fp_ieee_div_zero 0
		.amdhsa_exception_fp_ieee_overflow 0
		.amdhsa_exception_fp_ieee_underflow 0
		.amdhsa_exception_fp_ieee_inexact 0
		.amdhsa_exception_int_div_zero 0
	.end_amdhsa_kernel
	.section	.text._ZN7rocprim17ROCPRIM_400000_NS6detail17trampoline_kernelINS0_14default_configENS1_25partition_config_selectorILNS1_17partition_subalgoE5ExNS0_10empty_typeEbEEZZNS1_14partition_implILS5_5ELb0ES3_mN6thrust23THRUST_200600_302600_NS6detail15normal_iteratorINSA_10device_ptrIxEEEEPS6_NSA_18transform_iteratorINSB_9not_fun_tINSA_8identityIxEEEESF_NSA_11use_defaultESM_EENS0_5tupleIJSF_S6_EEENSO_IJSG_SG_EEES6_PlJS6_EEE10hipError_tPvRmT3_T4_T5_T6_T7_T9_mT8_P12ihipStream_tbDpT10_ENKUlT_T0_E_clISt17integral_constantIbLb0EES1B_EEDaS16_S17_EUlS16_E_NS1_11comp_targetILNS1_3genE8ELNS1_11target_archE1030ELNS1_3gpuE2ELNS1_3repE0EEENS1_30default_config_static_selectorELNS0_4arch9wavefront6targetE0EEEvT1_,"axG",@progbits,_ZN7rocprim17ROCPRIM_400000_NS6detail17trampoline_kernelINS0_14default_configENS1_25partition_config_selectorILNS1_17partition_subalgoE5ExNS0_10empty_typeEbEEZZNS1_14partition_implILS5_5ELb0ES3_mN6thrust23THRUST_200600_302600_NS6detail15normal_iteratorINSA_10device_ptrIxEEEEPS6_NSA_18transform_iteratorINSB_9not_fun_tINSA_8identityIxEEEESF_NSA_11use_defaultESM_EENS0_5tupleIJSF_S6_EEENSO_IJSG_SG_EEES6_PlJS6_EEE10hipError_tPvRmT3_T4_T5_T6_T7_T9_mT8_P12ihipStream_tbDpT10_ENKUlT_T0_E_clISt17integral_constantIbLb0EES1B_EEDaS16_S17_EUlS16_E_NS1_11comp_targetILNS1_3genE8ELNS1_11target_archE1030ELNS1_3gpuE2ELNS1_3repE0EEENS1_30default_config_static_selectorELNS0_4arch9wavefront6targetE0EEEvT1_,comdat
.Lfunc_end956:
	.size	_ZN7rocprim17ROCPRIM_400000_NS6detail17trampoline_kernelINS0_14default_configENS1_25partition_config_selectorILNS1_17partition_subalgoE5ExNS0_10empty_typeEbEEZZNS1_14partition_implILS5_5ELb0ES3_mN6thrust23THRUST_200600_302600_NS6detail15normal_iteratorINSA_10device_ptrIxEEEEPS6_NSA_18transform_iteratorINSB_9not_fun_tINSA_8identityIxEEEESF_NSA_11use_defaultESM_EENS0_5tupleIJSF_S6_EEENSO_IJSG_SG_EEES6_PlJS6_EEE10hipError_tPvRmT3_T4_T5_T6_T7_T9_mT8_P12ihipStream_tbDpT10_ENKUlT_T0_E_clISt17integral_constantIbLb0EES1B_EEDaS16_S17_EUlS16_E_NS1_11comp_targetILNS1_3genE8ELNS1_11target_archE1030ELNS1_3gpuE2ELNS1_3repE0EEENS1_30default_config_static_selectorELNS0_4arch9wavefront6targetE0EEEvT1_, .Lfunc_end956-_ZN7rocprim17ROCPRIM_400000_NS6detail17trampoline_kernelINS0_14default_configENS1_25partition_config_selectorILNS1_17partition_subalgoE5ExNS0_10empty_typeEbEEZZNS1_14partition_implILS5_5ELb0ES3_mN6thrust23THRUST_200600_302600_NS6detail15normal_iteratorINSA_10device_ptrIxEEEEPS6_NSA_18transform_iteratorINSB_9not_fun_tINSA_8identityIxEEEESF_NSA_11use_defaultESM_EENS0_5tupleIJSF_S6_EEENSO_IJSG_SG_EEES6_PlJS6_EEE10hipError_tPvRmT3_T4_T5_T6_T7_T9_mT8_P12ihipStream_tbDpT10_ENKUlT_T0_E_clISt17integral_constantIbLb0EES1B_EEDaS16_S17_EUlS16_E_NS1_11comp_targetILNS1_3genE8ELNS1_11target_archE1030ELNS1_3gpuE2ELNS1_3repE0EEENS1_30default_config_static_selectorELNS0_4arch9wavefront6targetE0EEEvT1_
                                        ; -- End function
	.set _ZN7rocprim17ROCPRIM_400000_NS6detail17trampoline_kernelINS0_14default_configENS1_25partition_config_selectorILNS1_17partition_subalgoE5ExNS0_10empty_typeEbEEZZNS1_14partition_implILS5_5ELb0ES3_mN6thrust23THRUST_200600_302600_NS6detail15normal_iteratorINSA_10device_ptrIxEEEEPS6_NSA_18transform_iteratorINSB_9not_fun_tINSA_8identityIxEEEESF_NSA_11use_defaultESM_EENS0_5tupleIJSF_S6_EEENSO_IJSG_SG_EEES6_PlJS6_EEE10hipError_tPvRmT3_T4_T5_T6_T7_T9_mT8_P12ihipStream_tbDpT10_ENKUlT_T0_E_clISt17integral_constantIbLb0EES1B_EEDaS16_S17_EUlS16_E_NS1_11comp_targetILNS1_3genE8ELNS1_11target_archE1030ELNS1_3gpuE2ELNS1_3repE0EEENS1_30default_config_static_selectorELNS0_4arch9wavefront6targetE0EEEvT1_.num_vgpr, 0
	.set _ZN7rocprim17ROCPRIM_400000_NS6detail17trampoline_kernelINS0_14default_configENS1_25partition_config_selectorILNS1_17partition_subalgoE5ExNS0_10empty_typeEbEEZZNS1_14partition_implILS5_5ELb0ES3_mN6thrust23THRUST_200600_302600_NS6detail15normal_iteratorINSA_10device_ptrIxEEEEPS6_NSA_18transform_iteratorINSB_9not_fun_tINSA_8identityIxEEEESF_NSA_11use_defaultESM_EENS0_5tupleIJSF_S6_EEENSO_IJSG_SG_EEES6_PlJS6_EEE10hipError_tPvRmT3_T4_T5_T6_T7_T9_mT8_P12ihipStream_tbDpT10_ENKUlT_T0_E_clISt17integral_constantIbLb0EES1B_EEDaS16_S17_EUlS16_E_NS1_11comp_targetILNS1_3genE8ELNS1_11target_archE1030ELNS1_3gpuE2ELNS1_3repE0EEENS1_30default_config_static_selectorELNS0_4arch9wavefront6targetE0EEEvT1_.num_agpr, 0
	.set _ZN7rocprim17ROCPRIM_400000_NS6detail17trampoline_kernelINS0_14default_configENS1_25partition_config_selectorILNS1_17partition_subalgoE5ExNS0_10empty_typeEbEEZZNS1_14partition_implILS5_5ELb0ES3_mN6thrust23THRUST_200600_302600_NS6detail15normal_iteratorINSA_10device_ptrIxEEEEPS6_NSA_18transform_iteratorINSB_9not_fun_tINSA_8identityIxEEEESF_NSA_11use_defaultESM_EENS0_5tupleIJSF_S6_EEENSO_IJSG_SG_EEES6_PlJS6_EEE10hipError_tPvRmT3_T4_T5_T6_T7_T9_mT8_P12ihipStream_tbDpT10_ENKUlT_T0_E_clISt17integral_constantIbLb0EES1B_EEDaS16_S17_EUlS16_E_NS1_11comp_targetILNS1_3genE8ELNS1_11target_archE1030ELNS1_3gpuE2ELNS1_3repE0EEENS1_30default_config_static_selectorELNS0_4arch9wavefront6targetE0EEEvT1_.numbered_sgpr, 0
	.set _ZN7rocprim17ROCPRIM_400000_NS6detail17trampoline_kernelINS0_14default_configENS1_25partition_config_selectorILNS1_17partition_subalgoE5ExNS0_10empty_typeEbEEZZNS1_14partition_implILS5_5ELb0ES3_mN6thrust23THRUST_200600_302600_NS6detail15normal_iteratorINSA_10device_ptrIxEEEEPS6_NSA_18transform_iteratorINSB_9not_fun_tINSA_8identityIxEEEESF_NSA_11use_defaultESM_EENS0_5tupleIJSF_S6_EEENSO_IJSG_SG_EEES6_PlJS6_EEE10hipError_tPvRmT3_T4_T5_T6_T7_T9_mT8_P12ihipStream_tbDpT10_ENKUlT_T0_E_clISt17integral_constantIbLb0EES1B_EEDaS16_S17_EUlS16_E_NS1_11comp_targetILNS1_3genE8ELNS1_11target_archE1030ELNS1_3gpuE2ELNS1_3repE0EEENS1_30default_config_static_selectorELNS0_4arch9wavefront6targetE0EEEvT1_.num_named_barrier, 0
	.set _ZN7rocprim17ROCPRIM_400000_NS6detail17trampoline_kernelINS0_14default_configENS1_25partition_config_selectorILNS1_17partition_subalgoE5ExNS0_10empty_typeEbEEZZNS1_14partition_implILS5_5ELb0ES3_mN6thrust23THRUST_200600_302600_NS6detail15normal_iteratorINSA_10device_ptrIxEEEEPS6_NSA_18transform_iteratorINSB_9not_fun_tINSA_8identityIxEEEESF_NSA_11use_defaultESM_EENS0_5tupleIJSF_S6_EEENSO_IJSG_SG_EEES6_PlJS6_EEE10hipError_tPvRmT3_T4_T5_T6_T7_T9_mT8_P12ihipStream_tbDpT10_ENKUlT_T0_E_clISt17integral_constantIbLb0EES1B_EEDaS16_S17_EUlS16_E_NS1_11comp_targetILNS1_3genE8ELNS1_11target_archE1030ELNS1_3gpuE2ELNS1_3repE0EEENS1_30default_config_static_selectorELNS0_4arch9wavefront6targetE0EEEvT1_.private_seg_size, 0
	.set _ZN7rocprim17ROCPRIM_400000_NS6detail17trampoline_kernelINS0_14default_configENS1_25partition_config_selectorILNS1_17partition_subalgoE5ExNS0_10empty_typeEbEEZZNS1_14partition_implILS5_5ELb0ES3_mN6thrust23THRUST_200600_302600_NS6detail15normal_iteratorINSA_10device_ptrIxEEEEPS6_NSA_18transform_iteratorINSB_9not_fun_tINSA_8identityIxEEEESF_NSA_11use_defaultESM_EENS0_5tupleIJSF_S6_EEENSO_IJSG_SG_EEES6_PlJS6_EEE10hipError_tPvRmT3_T4_T5_T6_T7_T9_mT8_P12ihipStream_tbDpT10_ENKUlT_T0_E_clISt17integral_constantIbLb0EES1B_EEDaS16_S17_EUlS16_E_NS1_11comp_targetILNS1_3genE8ELNS1_11target_archE1030ELNS1_3gpuE2ELNS1_3repE0EEENS1_30default_config_static_selectorELNS0_4arch9wavefront6targetE0EEEvT1_.uses_vcc, 0
	.set _ZN7rocprim17ROCPRIM_400000_NS6detail17trampoline_kernelINS0_14default_configENS1_25partition_config_selectorILNS1_17partition_subalgoE5ExNS0_10empty_typeEbEEZZNS1_14partition_implILS5_5ELb0ES3_mN6thrust23THRUST_200600_302600_NS6detail15normal_iteratorINSA_10device_ptrIxEEEEPS6_NSA_18transform_iteratorINSB_9not_fun_tINSA_8identityIxEEEESF_NSA_11use_defaultESM_EENS0_5tupleIJSF_S6_EEENSO_IJSG_SG_EEES6_PlJS6_EEE10hipError_tPvRmT3_T4_T5_T6_T7_T9_mT8_P12ihipStream_tbDpT10_ENKUlT_T0_E_clISt17integral_constantIbLb0EES1B_EEDaS16_S17_EUlS16_E_NS1_11comp_targetILNS1_3genE8ELNS1_11target_archE1030ELNS1_3gpuE2ELNS1_3repE0EEENS1_30default_config_static_selectorELNS0_4arch9wavefront6targetE0EEEvT1_.uses_flat_scratch, 0
	.set _ZN7rocprim17ROCPRIM_400000_NS6detail17trampoline_kernelINS0_14default_configENS1_25partition_config_selectorILNS1_17partition_subalgoE5ExNS0_10empty_typeEbEEZZNS1_14partition_implILS5_5ELb0ES3_mN6thrust23THRUST_200600_302600_NS6detail15normal_iteratorINSA_10device_ptrIxEEEEPS6_NSA_18transform_iteratorINSB_9not_fun_tINSA_8identityIxEEEESF_NSA_11use_defaultESM_EENS0_5tupleIJSF_S6_EEENSO_IJSG_SG_EEES6_PlJS6_EEE10hipError_tPvRmT3_T4_T5_T6_T7_T9_mT8_P12ihipStream_tbDpT10_ENKUlT_T0_E_clISt17integral_constantIbLb0EES1B_EEDaS16_S17_EUlS16_E_NS1_11comp_targetILNS1_3genE8ELNS1_11target_archE1030ELNS1_3gpuE2ELNS1_3repE0EEENS1_30default_config_static_selectorELNS0_4arch9wavefront6targetE0EEEvT1_.has_dyn_sized_stack, 0
	.set _ZN7rocprim17ROCPRIM_400000_NS6detail17trampoline_kernelINS0_14default_configENS1_25partition_config_selectorILNS1_17partition_subalgoE5ExNS0_10empty_typeEbEEZZNS1_14partition_implILS5_5ELb0ES3_mN6thrust23THRUST_200600_302600_NS6detail15normal_iteratorINSA_10device_ptrIxEEEEPS6_NSA_18transform_iteratorINSB_9not_fun_tINSA_8identityIxEEEESF_NSA_11use_defaultESM_EENS0_5tupleIJSF_S6_EEENSO_IJSG_SG_EEES6_PlJS6_EEE10hipError_tPvRmT3_T4_T5_T6_T7_T9_mT8_P12ihipStream_tbDpT10_ENKUlT_T0_E_clISt17integral_constantIbLb0EES1B_EEDaS16_S17_EUlS16_E_NS1_11comp_targetILNS1_3genE8ELNS1_11target_archE1030ELNS1_3gpuE2ELNS1_3repE0EEENS1_30default_config_static_selectorELNS0_4arch9wavefront6targetE0EEEvT1_.has_recursion, 0
	.set _ZN7rocprim17ROCPRIM_400000_NS6detail17trampoline_kernelINS0_14default_configENS1_25partition_config_selectorILNS1_17partition_subalgoE5ExNS0_10empty_typeEbEEZZNS1_14partition_implILS5_5ELb0ES3_mN6thrust23THRUST_200600_302600_NS6detail15normal_iteratorINSA_10device_ptrIxEEEEPS6_NSA_18transform_iteratorINSB_9not_fun_tINSA_8identityIxEEEESF_NSA_11use_defaultESM_EENS0_5tupleIJSF_S6_EEENSO_IJSG_SG_EEES6_PlJS6_EEE10hipError_tPvRmT3_T4_T5_T6_T7_T9_mT8_P12ihipStream_tbDpT10_ENKUlT_T0_E_clISt17integral_constantIbLb0EES1B_EEDaS16_S17_EUlS16_E_NS1_11comp_targetILNS1_3genE8ELNS1_11target_archE1030ELNS1_3gpuE2ELNS1_3repE0EEENS1_30default_config_static_selectorELNS0_4arch9wavefront6targetE0EEEvT1_.has_indirect_call, 0
	.section	.AMDGPU.csdata,"",@progbits
; Kernel info:
; codeLenInByte = 0
; TotalNumSgprs: 0
; NumVgprs: 0
; ScratchSize: 0
; MemoryBound: 0
; FloatMode: 240
; IeeeMode: 1
; LDSByteSize: 0 bytes/workgroup (compile time only)
; SGPRBlocks: 0
; VGPRBlocks: 0
; NumSGPRsForWavesPerEU: 1
; NumVGPRsForWavesPerEU: 1
; Occupancy: 16
; WaveLimiterHint : 0
; COMPUTE_PGM_RSRC2:SCRATCH_EN: 0
; COMPUTE_PGM_RSRC2:USER_SGPR: 2
; COMPUTE_PGM_RSRC2:TRAP_HANDLER: 0
; COMPUTE_PGM_RSRC2:TGID_X_EN: 1
; COMPUTE_PGM_RSRC2:TGID_Y_EN: 0
; COMPUTE_PGM_RSRC2:TGID_Z_EN: 0
; COMPUTE_PGM_RSRC2:TIDIG_COMP_CNT: 0
	.section	.text._ZN7rocprim17ROCPRIM_400000_NS6detail17trampoline_kernelINS0_14default_configENS1_25partition_config_selectorILNS1_17partition_subalgoE5ExNS0_10empty_typeEbEEZZNS1_14partition_implILS5_5ELb0ES3_mN6thrust23THRUST_200600_302600_NS6detail15normal_iteratorINSA_10device_ptrIxEEEEPS6_NSA_18transform_iteratorINSB_9not_fun_tINSA_8identityIxEEEESF_NSA_11use_defaultESM_EENS0_5tupleIJSF_S6_EEENSO_IJSG_SG_EEES6_PlJS6_EEE10hipError_tPvRmT3_T4_T5_T6_T7_T9_mT8_P12ihipStream_tbDpT10_ENKUlT_T0_E_clISt17integral_constantIbLb1EES1B_EEDaS16_S17_EUlS16_E_NS1_11comp_targetILNS1_3genE0ELNS1_11target_archE4294967295ELNS1_3gpuE0ELNS1_3repE0EEENS1_30default_config_static_selectorELNS0_4arch9wavefront6targetE0EEEvT1_,"axG",@progbits,_ZN7rocprim17ROCPRIM_400000_NS6detail17trampoline_kernelINS0_14default_configENS1_25partition_config_selectorILNS1_17partition_subalgoE5ExNS0_10empty_typeEbEEZZNS1_14partition_implILS5_5ELb0ES3_mN6thrust23THRUST_200600_302600_NS6detail15normal_iteratorINSA_10device_ptrIxEEEEPS6_NSA_18transform_iteratorINSB_9not_fun_tINSA_8identityIxEEEESF_NSA_11use_defaultESM_EENS0_5tupleIJSF_S6_EEENSO_IJSG_SG_EEES6_PlJS6_EEE10hipError_tPvRmT3_T4_T5_T6_T7_T9_mT8_P12ihipStream_tbDpT10_ENKUlT_T0_E_clISt17integral_constantIbLb1EES1B_EEDaS16_S17_EUlS16_E_NS1_11comp_targetILNS1_3genE0ELNS1_11target_archE4294967295ELNS1_3gpuE0ELNS1_3repE0EEENS1_30default_config_static_selectorELNS0_4arch9wavefront6targetE0EEEvT1_,comdat
	.protected	_ZN7rocprim17ROCPRIM_400000_NS6detail17trampoline_kernelINS0_14default_configENS1_25partition_config_selectorILNS1_17partition_subalgoE5ExNS0_10empty_typeEbEEZZNS1_14partition_implILS5_5ELb0ES3_mN6thrust23THRUST_200600_302600_NS6detail15normal_iteratorINSA_10device_ptrIxEEEEPS6_NSA_18transform_iteratorINSB_9not_fun_tINSA_8identityIxEEEESF_NSA_11use_defaultESM_EENS0_5tupleIJSF_S6_EEENSO_IJSG_SG_EEES6_PlJS6_EEE10hipError_tPvRmT3_T4_T5_T6_T7_T9_mT8_P12ihipStream_tbDpT10_ENKUlT_T0_E_clISt17integral_constantIbLb1EES1B_EEDaS16_S17_EUlS16_E_NS1_11comp_targetILNS1_3genE0ELNS1_11target_archE4294967295ELNS1_3gpuE0ELNS1_3repE0EEENS1_30default_config_static_selectorELNS0_4arch9wavefront6targetE0EEEvT1_ ; -- Begin function _ZN7rocprim17ROCPRIM_400000_NS6detail17trampoline_kernelINS0_14default_configENS1_25partition_config_selectorILNS1_17partition_subalgoE5ExNS0_10empty_typeEbEEZZNS1_14partition_implILS5_5ELb0ES3_mN6thrust23THRUST_200600_302600_NS6detail15normal_iteratorINSA_10device_ptrIxEEEEPS6_NSA_18transform_iteratorINSB_9not_fun_tINSA_8identityIxEEEESF_NSA_11use_defaultESM_EENS0_5tupleIJSF_S6_EEENSO_IJSG_SG_EEES6_PlJS6_EEE10hipError_tPvRmT3_T4_T5_T6_T7_T9_mT8_P12ihipStream_tbDpT10_ENKUlT_T0_E_clISt17integral_constantIbLb1EES1B_EEDaS16_S17_EUlS16_E_NS1_11comp_targetILNS1_3genE0ELNS1_11target_archE4294967295ELNS1_3gpuE0ELNS1_3repE0EEENS1_30default_config_static_selectorELNS0_4arch9wavefront6targetE0EEEvT1_
	.globl	_ZN7rocprim17ROCPRIM_400000_NS6detail17trampoline_kernelINS0_14default_configENS1_25partition_config_selectorILNS1_17partition_subalgoE5ExNS0_10empty_typeEbEEZZNS1_14partition_implILS5_5ELb0ES3_mN6thrust23THRUST_200600_302600_NS6detail15normal_iteratorINSA_10device_ptrIxEEEEPS6_NSA_18transform_iteratorINSB_9not_fun_tINSA_8identityIxEEEESF_NSA_11use_defaultESM_EENS0_5tupleIJSF_S6_EEENSO_IJSG_SG_EEES6_PlJS6_EEE10hipError_tPvRmT3_T4_T5_T6_T7_T9_mT8_P12ihipStream_tbDpT10_ENKUlT_T0_E_clISt17integral_constantIbLb1EES1B_EEDaS16_S17_EUlS16_E_NS1_11comp_targetILNS1_3genE0ELNS1_11target_archE4294967295ELNS1_3gpuE0ELNS1_3repE0EEENS1_30default_config_static_selectorELNS0_4arch9wavefront6targetE0EEEvT1_
	.p2align	8
	.type	_ZN7rocprim17ROCPRIM_400000_NS6detail17trampoline_kernelINS0_14default_configENS1_25partition_config_selectorILNS1_17partition_subalgoE5ExNS0_10empty_typeEbEEZZNS1_14partition_implILS5_5ELb0ES3_mN6thrust23THRUST_200600_302600_NS6detail15normal_iteratorINSA_10device_ptrIxEEEEPS6_NSA_18transform_iteratorINSB_9not_fun_tINSA_8identityIxEEEESF_NSA_11use_defaultESM_EENS0_5tupleIJSF_S6_EEENSO_IJSG_SG_EEES6_PlJS6_EEE10hipError_tPvRmT3_T4_T5_T6_T7_T9_mT8_P12ihipStream_tbDpT10_ENKUlT_T0_E_clISt17integral_constantIbLb1EES1B_EEDaS16_S17_EUlS16_E_NS1_11comp_targetILNS1_3genE0ELNS1_11target_archE4294967295ELNS1_3gpuE0ELNS1_3repE0EEENS1_30default_config_static_selectorELNS0_4arch9wavefront6targetE0EEEvT1_,@function
_ZN7rocprim17ROCPRIM_400000_NS6detail17trampoline_kernelINS0_14default_configENS1_25partition_config_selectorILNS1_17partition_subalgoE5ExNS0_10empty_typeEbEEZZNS1_14partition_implILS5_5ELb0ES3_mN6thrust23THRUST_200600_302600_NS6detail15normal_iteratorINSA_10device_ptrIxEEEEPS6_NSA_18transform_iteratorINSB_9not_fun_tINSA_8identityIxEEEESF_NSA_11use_defaultESM_EENS0_5tupleIJSF_S6_EEENSO_IJSG_SG_EEES6_PlJS6_EEE10hipError_tPvRmT3_T4_T5_T6_T7_T9_mT8_P12ihipStream_tbDpT10_ENKUlT_T0_E_clISt17integral_constantIbLb1EES1B_EEDaS16_S17_EUlS16_E_NS1_11comp_targetILNS1_3genE0ELNS1_11target_archE4294967295ELNS1_3gpuE0ELNS1_3repE0EEENS1_30default_config_static_selectorELNS0_4arch9wavefront6targetE0EEEvT1_: ; @_ZN7rocprim17ROCPRIM_400000_NS6detail17trampoline_kernelINS0_14default_configENS1_25partition_config_selectorILNS1_17partition_subalgoE5ExNS0_10empty_typeEbEEZZNS1_14partition_implILS5_5ELb0ES3_mN6thrust23THRUST_200600_302600_NS6detail15normal_iteratorINSA_10device_ptrIxEEEEPS6_NSA_18transform_iteratorINSB_9not_fun_tINSA_8identityIxEEEESF_NSA_11use_defaultESM_EENS0_5tupleIJSF_S6_EEENSO_IJSG_SG_EEES6_PlJS6_EEE10hipError_tPvRmT3_T4_T5_T6_T7_T9_mT8_P12ihipStream_tbDpT10_ENKUlT_T0_E_clISt17integral_constantIbLb1EES1B_EEDaS16_S17_EUlS16_E_NS1_11comp_targetILNS1_3genE0ELNS1_11target_archE4294967295ELNS1_3gpuE0ELNS1_3repE0EEENS1_30default_config_static_selectorELNS0_4arch9wavefront6targetE0EEEvT1_
; %bb.0:
	.section	.rodata,"a",@progbits
	.p2align	6, 0x0
	.amdhsa_kernel _ZN7rocprim17ROCPRIM_400000_NS6detail17trampoline_kernelINS0_14default_configENS1_25partition_config_selectorILNS1_17partition_subalgoE5ExNS0_10empty_typeEbEEZZNS1_14partition_implILS5_5ELb0ES3_mN6thrust23THRUST_200600_302600_NS6detail15normal_iteratorINSA_10device_ptrIxEEEEPS6_NSA_18transform_iteratorINSB_9not_fun_tINSA_8identityIxEEEESF_NSA_11use_defaultESM_EENS0_5tupleIJSF_S6_EEENSO_IJSG_SG_EEES6_PlJS6_EEE10hipError_tPvRmT3_T4_T5_T6_T7_T9_mT8_P12ihipStream_tbDpT10_ENKUlT_T0_E_clISt17integral_constantIbLb1EES1B_EEDaS16_S17_EUlS16_E_NS1_11comp_targetILNS1_3genE0ELNS1_11target_archE4294967295ELNS1_3gpuE0ELNS1_3repE0EEENS1_30default_config_static_selectorELNS0_4arch9wavefront6targetE0EEEvT1_
		.amdhsa_group_segment_fixed_size 0
		.amdhsa_private_segment_fixed_size 0
		.amdhsa_kernarg_size 136
		.amdhsa_user_sgpr_count 2
		.amdhsa_user_sgpr_dispatch_ptr 0
		.amdhsa_user_sgpr_queue_ptr 0
		.amdhsa_user_sgpr_kernarg_segment_ptr 1
		.amdhsa_user_sgpr_dispatch_id 0
		.amdhsa_user_sgpr_private_segment_size 0
		.amdhsa_wavefront_size32 1
		.amdhsa_uses_dynamic_stack 0
		.amdhsa_enable_private_segment 0
		.amdhsa_system_sgpr_workgroup_id_x 1
		.amdhsa_system_sgpr_workgroup_id_y 0
		.amdhsa_system_sgpr_workgroup_id_z 0
		.amdhsa_system_sgpr_workgroup_info 0
		.amdhsa_system_vgpr_workitem_id 0
		.amdhsa_next_free_vgpr 1
		.amdhsa_next_free_sgpr 1
		.amdhsa_reserve_vcc 0
		.amdhsa_float_round_mode_32 0
		.amdhsa_float_round_mode_16_64 0
		.amdhsa_float_denorm_mode_32 3
		.amdhsa_float_denorm_mode_16_64 3
		.amdhsa_fp16_overflow 0
		.amdhsa_workgroup_processor_mode 1
		.amdhsa_memory_ordered 1
		.amdhsa_forward_progress 1
		.amdhsa_inst_pref_size 0
		.amdhsa_round_robin_scheduling 0
		.amdhsa_exception_fp_ieee_invalid_op 0
		.amdhsa_exception_fp_denorm_src 0
		.amdhsa_exception_fp_ieee_div_zero 0
		.amdhsa_exception_fp_ieee_overflow 0
		.amdhsa_exception_fp_ieee_underflow 0
		.amdhsa_exception_fp_ieee_inexact 0
		.amdhsa_exception_int_div_zero 0
	.end_amdhsa_kernel
	.section	.text._ZN7rocprim17ROCPRIM_400000_NS6detail17trampoline_kernelINS0_14default_configENS1_25partition_config_selectorILNS1_17partition_subalgoE5ExNS0_10empty_typeEbEEZZNS1_14partition_implILS5_5ELb0ES3_mN6thrust23THRUST_200600_302600_NS6detail15normal_iteratorINSA_10device_ptrIxEEEEPS6_NSA_18transform_iteratorINSB_9not_fun_tINSA_8identityIxEEEESF_NSA_11use_defaultESM_EENS0_5tupleIJSF_S6_EEENSO_IJSG_SG_EEES6_PlJS6_EEE10hipError_tPvRmT3_T4_T5_T6_T7_T9_mT8_P12ihipStream_tbDpT10_ENKUlT_T0_E_clISt17integral_constantIbLb1EES1B_EEDaS16_S17_EUlS16_E_NS1_11comp_targetILNS1_3genE0ELNS1_11target_archE4294967295ELNS1_3gpuE0ELNS1_3repE0EEENS1_30default_config_static_selectorELNS0_4arch9wavefront6targetE0EEEvT1_,"axG",@progbits,_ZN7rocprim17ROCPRIM_400000_NS6detail17trampoline_kernelINS0_14default_configENS1_25partition_config_selectorILNS1_17partition_subalgoE5ExNS0_10empty_typeEbEEZZNS1_14partition_implILS5_5ELb0ES3_mN6thrust23THRUST_200600_302600_NS6detail15normal_iteratorINSA_10device_ptrIxEEEEPS6_NSA_18transform_iteratorINSB_9not_fun_tINSA_8identityIxEEEESF_NSA_11use_defaultESM_EENS0_5tupleIJSF_S6_EEENSO_IJSG_SG_EEES6_PlJS6_EEE10hipError_tPvRmT3_T4_T5_T6_T7_T9_mT8_P12ihipStream_tbDpT10_ENKUlT_T0_E_clISt17integral_constantIbLb1EES1B_EEDaS16_S17_EUlS16_E_NS1_11comp_targetILNS1_3genE0ELNS1_11target_archE4294967295ELNS1_3gpuE0ELNS1_3repE0EEENS1_30default_config_static_selectorELNS0_4arch9wavefront6targetE0EEEvT1_,comdat
.Lfunc_end957:
	.size	_ZN7rocprim17ROCPRIM_400000_NS6detail17trampoline_kernelINS0_14default_configENS1_25partition_config_selectorILNS1_17partition_subalgoE5ExNS0_10empty_typeEbEEZZNS1_14partition_implILS5_5ELb0ES3_mN6thrust23THRUST_200600_302600_NS6detail15normal_iteratorINSA_10device_ptrIxEEEEPS6_NSA_18transform_iteratorINSB_9not_fun_tINSA_8identityIxEEEESF_NSA_11use_defaultESM_EENS0_5tupleIJSF_S6_EEENSO_IJSG_SG_EEES6_PlJS6_EEE10hipError_tPvRmT3_T4_T5_T6_T7_T9_mT8_P12ihipStream_tbDpT10_ENKUlT_T0_E_clISt17integral_constantIbLb1EES1B_EEDaS16_S17_EUlS16_E_NS1_11comp_targetILNS1_3genE0ELNS1_11target_archE4294967295ELNS1_3gpuE0ELNS1_3repE0EEENS1_30default_config_static_selectorELNS0_4arch9wavefront6targetE0EEEvT1_, .Lfunc_end957-_ZN7rocprim17ROCPRIM_400000_NS6detail17trampoline_kernelINS0_14default_configENS1_25partition_config_selectorILNS1_17partition_subalgoE5ExNS0_10empty_typeEbEEZZNS1_14partition_implILS5_5ELb0ES3_mN6thrust23THRUST_200600_302600_NS6detail15normal_iteratorINSA_10device_ptrIxEEEEPS6_NSA_18transform_iteratorINSB_9not_fun_tINSA_8identityIxEEEESF_NSA_11use_defaultESM_EENS0_5tupleIJSF_S6_EEENSO_IJSG_SG_EEES6_PlJS6_EEE10hipError_tPvRmT3_T4_T5_T6_T7_T9_mT8_P12ihipStream_tbDpT10_ENKUlT_T0_E_clISt17integral_constantIbLb1EES1B_EEDaS16_S17_EUlS16_E_NS1_11comp_targetILNS1_3genE0ELNS1_11target_archE4294967295ELNS1_3gpuE0ELNS1_3repE0EEENS1_30default_config_static_selectorELNS0_4arch9wavefront6targetE0EEEvT1_
                                        ; -- End function
	.set _ZN7rocprim17ROCPRIM_400000_NS6detail17trampoline_kernelINS0_14default_configENS1_25partition_config_selectorILNS1_17partition_subalgoE5ExNS0_10empty_typeEbEEZZNS1_14partition_implILS5_5ELb0ES3_mN6thrust23THRUST_200600_302600_NS6detail15normal_iteratorINSA_10device_ptrIxEEEEPS6_NSA_18transform_iteratorINSB_9not_fun_tINSA_8identityIxEEEESF_NSA_11use_defaultESM_EENS0_5tupleIJSF_S6_EEENSO_IJSG_SG_EEES6_PlJS6_EEE10hipError_tPvRmT3_T4_T5_T6_T7_T9_mT8_P12ihipStream_tbDpT10_ENKUlT_T0_E_clISt17integral_constantIbLb1EES1B_EEDaS16_S17_EUlS16_E_NS1_11comp_targetILNS1_3genE0ELNS1_11target_archE4294967295ELNS1_3gpuE0ELNS1_3repE0EEENS1_30default_config_static_selectorELNS0_4arch9wavefront6targetE0EEEvT1_.num_vgpr, 0
	.set _ZN7rocprim17ROCPRIM_400000_NS6detail17trampoline_kernelINS0_14default_configENS1_25partition_config_selectorILNS1_17partition_subalgoE5ExNS0_10empty_typeEbEEZZNS1_14partition_implILS5_5ELb0ES3_mN6thrust23THRUST_200600_302600_NS6detail15normal_iteratorINSA_10device_ptrIxEEEEPS6_NSA_18transform_iteratorINSB_9not_fun_tINSA_8identityIxEEEESF_NSA_11use_defaultESM_EENS0_5tupleIJSF_S6_EEENSO_IJSG_SG_EEES6_PlJS6_EEE10hipError_tPvRmT3_T4_T5_T6_T7_T9_mT8_P12ihipStream_tbDpT10_ENKUlT_T0_E_clISt17integral_constantIbLb1EES1B_EEDaS16_S17_EUlS16_E_NS1_11comp_targetILNS1_3genE0ELNS1_11target_archE4294967295ELNS1_3gpuE0ELNS1_3repE0EEENS1_30default_config_static_selectorELNS0_4arch9wavefront6targetE0EEEvT1_.num_agpr, 0
	.set _ZN7rocprim17ROCPRIM_400000_NS6detail17trampoline_kernelINS0_14default_configENS1_25partition_config_selectorILNS1_17partition_subalgoE5ExNS0_10empty_typeEbEEZZNS1_14partition_implILS5_5ELb0ES3_mN6thrust23THRUST_200600_302600_NS6detail15normal_iteratorINSA_10device_ptrIxEEEEPS6_NSA_18transform_iteratorINSB_9not_fun_tINSA_8identityIxEEEESF_NSA_11use_defaultESM_EENS0_5tupleIJSF_S6_EEENSO_IJSG_SG_EEES6_PlJS6_EEE10hipError_tPvRmT3_T4_T5_T6_T7_T9_mT8_P12ihipStream_tbDpT10_ENKUlT_T0_E_clISt17integral_constantIbLb1EES1B_EEDaS16_S17_EUlS16_E_NS1_11comp_targetILNS1_3genE0ELNS1_11target_archE4294967295ELNS1_3gpuE0ELNS1_3repE0EEENS1_30default_config_static_selectorELNS0_4arch9wavefront6targetE0EEEvT1_.numbered_sgpr, 0
	.set _ZN7rocprim17ROCPRIM_400000_NS6detail17trampoline_kernelINS0_14default_configENS1_25partition_config_selectorILNS1_17partition_subalgoE5ExNS0_10empty_typeEbEEZZNS1_14partition_implILS5_5ELb0ES3_mN6thrust23THRUST_200600_302600_NS6detail15normal_iteratorINSA_10device_ptrIxEEEEPS6_NSA_18transform_iteratorINSB_9not_fun_tINSA_8identityIxEEEESF_NSA_11use_defaultESM_EENS0_5tupleIJSF_S6_EEENSO_IJSG_SG_EEES6_PlJS6_EEE10hipError_tPvRmT3_T4_T5_T6_T7_T9_mT8_P12ihipStream_tbDpT10_ENKUlT_T0_E_clISt17integral_constantIbLb1EES1B_EEDaS16_S17_EUlS16_E_NS1_11comp_targetILNS1_3genE0ELNS1_11target_archE4294967295ELNS1_3gpuE0ELNS1_3repE0EEENS1_30default_config_static_selectorELNS0_4arch9wavefront6targetE0EEEvT1_.num_named_barrier, 0
	.set _ZN7rocprim17ROCPRIM_400000_NS6detail17trampoline_kernelINS0_14default_configENS1_25partition_config_selectorILNS1_17partition_subalgoE5ExNS0_10empty_typeEbEEZZNS1_14partition_implILS5_5ELb0ES3_mN6thrust23THRUST_200600_302600_NS6detail15normal_iteratorINSA_10device_ptrIxEEEEPS6_NSA_18transform_iteratorINSB_9not_fun_tINSA_8identityIxEEEESF_NSA_11use_defaultESM_EENS0_5tupleIJSF_S6_EEENSO_IJSG_SG_EEES6_PlJS6_EEE10hipError_tPvRmT3_T4_T5_T6_T7_T9_mT8_P12ihipStream_tbDpT10_ENKUlT_T0_E_clISt17integral_constantIbLb1EES1B_EEDaS16_S17_EUlS16_E_NS1_11comp_targetILNS1_3genE0ELNS1_11target_archE4294967295ELNS1_3gpuE0ELNS1_3repE0EEENS1_30default_config_static_selectorELNS0_4arch9wavefront6targetE0EEEvT1_.private_seg_size, 0
	.set _ZN7rocprim17ROCPRIM_400000_NS6detail17trampoline_kernelINS0_14default_configENS1_25partition_config_selectorILNS1_17partition_subalgoE5ExNS0_10empty_typeEbEEZZNS1_14partition_implILS5_5ELb0ES3_mN6thrust23THRUST_200600_302600_NS6detail15normal_iteratorINSA_10device_ptrIxEEEEPS6_NSA_18transform_iteratorINSB_9not_fun_tINSA_8identityIxEEEESF_NSA_11use_defaultESM_EENS0_5tupleIJSF_S6_EEENSO_IJSG_SG_EEES6_PlJS6_EEE10hipError_tPvRmT3_T4_T5_T6_T7_T9_mT8_P12ihipStream_tbDpT10_ENKUlT_T0_E_clISt17integral_constantIbLb1EES1B_EEDaS16_S17_EUlS16_E_NS1_11comp_targetILNS1_3genE0ELNS1_11target_archE4294967295ELNS1_3gpuE0ELNS1_3repE0EEENS1_30default_config_static_selectorELNS0_4arch9wavefront6targetE0EEEvT1_.uses_vcc, 0
	.set _ZN7rocprim17ROCPRIM_400000_NS6detail17trampoline_kernelINS0_14default_configENS1_25partition_config_selectorILNS1_17partition_subalgoE5ExNS0_10empty_typeEbEEZZNS1_14partition_implILS5_5ELb0ES3_mN6thrust23THRUST_200600_302600_NS6detail15normal_iteratorINSA_10device_ptrIxEEEEPS6_NSA_18transform_iteratorINSB_9not_fun_tINSA_8identityIxEEEESF_NSA_11use_defaultESM_EENS0_5tupleIJSF_S6_EEENSO_IJSG_SG_EEES6_PlJS6_EEE10hipError_tPvRmT3_T4_T5_T6_T7_T9_mT8_P12ihipStream_tbDpT10_ENKUlT_T0_E_clISt17integral_constantIbLb1EES1B_EEDaS16_S17_EUlS16_E_NS1_11comp_targetILNS1_3genE0ELNS1_11target_archE4294967295ELNS1_3gpuE0ELNS1_3repE0EEENS1_30default_config_static_selectorELNS0_4arch9wavefront6targetE0EEEvT1_.uses_flat_scratch, 0
	.set _ZN7rocprim17ROCPRIM_400000_NS6detail17trampoline_kernelINS0_14default_configENS1_25partition_config_selectorILNS1_17partition_subalgoE5ExNS0_10empty_typeEbEEZZNS1_14partition_implILS5_5ELb0ES3_mN6thrust23THRUST_200600_302600_NS6detail15normal_iteratorINSA_10device_ptrIxEEEEPS6_NSA_18transform_iteratorINSB_9not_fun_tINSA_8identityIxEEEESF_NSA_11use_defaultESM_EENS0_5tupleIJSF_S6_EEENSO_IJSG_SG_EEES6_PlJS6_EEE10hipError_tPvRmT3_T4_T5_T6_T7_T9_mT8_P12ihipStream_tbDpT10_ENKUlT_T0_E_clISt17integral_constantIbLb1EES1B_EEDaS16_S17_EUlS16_E_NS1_11comp_targetILNS1_3genE0ELNS1_11target_archE4294967295ELNS1_3gpuE0ELNS1_3repE0EEENS1_30default_config_static_selectorELNS0_4arch9wavefront6targetE0EEEvT1_.has_dyn_sized_stack, 0
	.set _ZN7rocprim17ROCPRIM_400000_NS6detail17trampoline_kernelINS0_14default_configENS1_25partition_config_selectorILNS1_17partition_subalgoE5ExNS0_10empty_typeEbEEZZNS1_14partition_implILS5_5ELb0ES3_mN6thrust23THRUST_200600_302600_NS6detail15normal_iteratorINSA_10device_ptrIxEEEEPS6_NSA_18transform_iteratorINSB_9not_fun_tINSA_8identityIxEEEESF_NSA_11use_defaultESM_EENS0_5tupleIJSF_S6_EEENSO_IJSG_SG_EEES6_PlJS6_EEE10hipError_tPvRmT3_T4_T5_T6_T7_T9_mT8_P12ihipStream_tbDpT10_ENKUlT_T0_E_clISt17integral_constantIbLb1EES1B_EEDaS16_S17_EUlS16_E_NS1_11comp_targetILNS1_3genE0ELNS1_11target_archE4294967295ELNS1_3gpuE0ELNS1_3repE0EEENS1_30default_config_static_selectorELNS0_4arch9wavefront6targetE0EEEvT1_.has_recursion, 0
	.set _ZN7rocprim17ROCPRIM_400000_NS6detail17trampoline_kernelINS0_14default_configENS1_25partition_config_selectorILNS1_17partition_subalgoE5ExNS0_10empty_typeEbEEZZNS1_14partition_implILS5_5ELb0ES3_mN6thrust23THRUST_200600_302600_NS6detail15normal_iteratorINSA_10device_ptrIxEEEEPS6_NSA_18transform_iteratorINSB_9not_fun_tINSA_8identityIxEEEESF_NSA_11use_defaultESM_EENS0_5tupleIJSF_S6_EEENSO_IJSG_SG_EEES6_PlJS6_EEE10hipError_tPvRmT3_T4_T5_T6_T7_T9_mT8_P12ihipStream_tbDpT10_ENKUlT_T0_E_clISt17integral_constantIbLb1EES1B_EEDaS16_S17_EUlS16_E_NS1_11comp_targetILNS1_3genE0ELNS1_11target_archE4294967295ELNS1_3gpuE0ELNS1_3repE0EEENS1_30default_config_static_selectorELNS0_4arch9wavefront6targetE0EEEvT1_.has_indirect_call, 0
	.section	.AMDGPU.csdata,"",@progbits
; Kernel info:
; codeLenInByte = 0
; TotalNumSgprs: 0
; NumVgprs: 0
; ScratchSize: 0
; MemoryBound: 0
; FloatMode: 240
; IeeeMode: 1
; LDSByteSize: 0 bytes/workgroup (compile time only)
; SGPRBlocks: 0
; VGPRBlocks: 0
; NumSGPRsForWavesPerEU: 1
; NumVGPRsForWavesPerEU: 1
; Occupancy: 16
; WaveLimiterHint : 0
; COMPUTE_PGM_RSRC2:SCRATCH_EN: 0
; COMPUTE_PGM_RSRC2:USER_SGPR: 2
; COMPUTE_PGM_RSRC2:TRAP_HANDLER: 0
; COMPUTE_PGM_RSRC2:TGID_X_EN: 1
; COMPUTE_PGM_RSRC2:TGID_Y_EN: 0
; COMPUTE_PGM_RSRC2:TGID_Z_EN: 0
; COMPUTE_PGM_RSRC2:TIDIG_COMP_CNT: 0
	.section	.text._ZN7rocprim17ROCPRIM_400000_NS6detail17trampoline_kernelINS0_14default_configENS1_25partition_config_selectorILNS1_17partition_subalgoE5ExNS0_10empty_typeEbEEZZNS1_14partition_implILS5_5ELb0ES3_mN6thrust23THRUST_200600_302600_NS6detail15normal_iteratorINSA_10device_ptrIxEEEEPS6_NSA_18transform_iteratorINSB_9not_fun_tINSA_8identityIxEEEESF_NSA_11use_defaultESM_EENS0_5tupleIJSF_S6_EEENSO_IJSG_SG_EEES6_PlJS6_EEE10hipError_tPvRmT3_T4_T5_T6_T7_T9_mT8_P12ihipStream_tbDpT10_ENKUlT_T0_E_clISt17integral_constantIbLb1EES1B_EEDaS16_S17_EUlS16_E_NS1_11comp_targetILNS1_3genE5ELNS1_11target_archE942ELNS1_3gpuE9ELNS1_3repE0EEENS1_30default_config_static_selectorELNS0_4arch9wavefront6targetE0EEEvT1_,"axG",@progbits,_ZN7rocprim17ROCPRIM_400000_NS6detail17trampoline_kernelINS0_14default_configENS1_25partition_config_selectorILNS1_17partition_subalgoE5ExNS0_10empty_typeEbEEZZNS1_14partition_implILS5_5ELb0ES3_mN6thrust23THRUST_200600_302600_NS6detail15normal_iteratorINSA_10device_ptrIxEEEEPS6_NSA_18transform_iteratorINSB_9not_fun_tINSA_8identityIxEEEESF_NSA_11use_defaultESM_EENS0_5tupleIJSF_S6_EEENSO_IJSG_SG_EEES6_PlJS6_EEE10hipError_tPvRmT3_T4_T5_T6_T7_T9_mT8_P12ihipStream_tbDpT10_ENKUlT_T0_E_clISt17integral_constantIbLb1EES1B_EEDaS16_S17_EUlS16_E_NS1_11comp_targetILNS1_3genE5ELNS1_11target_archE942ELNS1_3gpuE9ELNS1_3repE0EEENS1_30default_config_static_selectorELNS0_4arch9wavefront6targetE0EEEvT1_,comdat
	.protected	_ZN7rocprim17ROCPRIM_400000_NS6detail17trampoline_kernelINS0_14default_configENS1_25partition_config_selectorILNS1_17partition_subalgoE5ExNS0_10empty_typeEbEEZZNS1_14partition_implILS5_5ELb0ES3_mN6thrust23THRUST_200600_302600_NS6detail15normal_iteratorINSA_10device_ptrIxEEEEPS6_NSA_18transform_iteratorINSB_9not_fun_tINSA_8identityIxEEEESF_NSA_11use_defaultESM_EENS0_5tupleIJSF_S6_EEENSO_IJSG_SG_EEES6_PlJS6_EEE10hipError_tPvRmT3_T4_T5_T6_T7_T9_mT8_P12ihipStream_tbDpT10_ENKUlT_T0_E_clISt17integral_constantIbLb1EES1B_EEDaS16_S17_EUlS16_E_NS1_11comp_targetILNS1_3genE5ELNS1_11target_archE942ELNS1_3gpuE9ELNS1_3repE0EEENS1_30default_config_static_selectorELNS0_4arch9wavefront6targetE0EEEvT1_ ; -- Begin function _ZN7rocprim17ROCPRIM_400000_NS6detail17trampoline_kernelINS0_14default_configENS1_25partition_config_selectorILNS1_17partition_subalgoE5ExNS0_10empty_typeEbEEZZNS1_14partition_implILS5_5ELb0ES3_mN6thrust23THRUST_200600_302600_NS6detail15normal_iteratorINSA_10device_ptrIxEEEEPS6_NSA_18transform_iteratorINSB_9not_fun_tINSA_8identityIxEEEESF_NSA_11use_defaultESM_EENS0_5tupleIJSF_S6_EEENSO_IJSG_SG_EEES6_PlJS6_EEE10hipError_tPvRmT3_T4_T5_T6_T7_T9_mT8_P12ihipStream_tbDpT10_ENKUlT_T0_E_clISt17integral_constantIbLb1EES1B_EEDaS16_S17_EUlS16_E_NS1_11comp_targetILNS1_3genE5ELNS1_11target_archE942ELNS1_3gpuE9ELNS1_3repE0EEENS1_30default_config_static_selectorELNS0_4arch9wavefront6targetE0EEEvT1_
	.globl	_ZN7rocprim17ROCPRIM_400000_NS6detail17trampoline_kernelINS0_14default_configENS1_25partition_config_selectorILNS1_17partition_subalgoE5ExNS0_10empty_typeEbEEZZNS1_14partition_implILS5_5ELb0ES3_mN6thrust23THRUST_200600_302600_NS6detail15normal_iteratorINSA_10device_ptrIxEEEEPS6_NSA_18transform_iteratorINSB_9not_fun_tINSA_8identityIxEEEESF_NSA_11use_defaultESM_EENS0_5tupleIJSF_S6_EEENSO_IJSG_SG_EEES6_PlJS6_EEE10hipError_tPvRmT3_T4_T5_T6_T7_T9_mT8_P12ihipStream_tbDpT10_ENKUlT_T0_E_clISt17integral_constantIbLb1EES1B_EEDaS16_S17_EUlS16_E_NS1_11comp_targetILNS1_3genE5ELNS1_11target_archE942ELNS1_3gpuE9ELNS1_3repE0EEENS1_30default_config_static_selectorELNS0_4arch9wavefront6targetE0EEEvT1_
	.p2align	8
	.type	_ZN7rocprim17ROCPRIM_400000_NS6detail17trampoline_kernelINS0_14default_configENS1_25partition_config_selectorILNS1_17partition_subalgoE5ExNS0_10empty_typeEbEEZZNS1_14partition_implILS5_5ELb0ES3_mN6thrust23THRUST_200600_302600_NS6detail15normal_iteratorINSA_10device_ptrIxEEEEPS6_NSA_18transform_iteratorINSB_9not_fun_tINSA_8identityIxEEEESF_NSA_11use_defaultESM_EENS0_5tupleIJSF_S6_EEENSO_IJSG_SG_EEES6_PlJS6_EEE10hipError_tPvRmT3_T4_T5_T6_T7_T9_mT8_P12ihipStream_tbDpT10_ENKUlT_T0_E_clISt17integral_constantIbLb1EES1B_EEDaS16_S17_EUlS16_E_NS1_11comp_targetILNS1_3genE5ELNS1_11target_archE942ELNS1_3gpuE9ELNS1_3repE0EEENS1_30default_config_static_selectorELNS0_4arch9wavefront6targetE0EEEvT1_,@function
_ZN7rocprim17ROCPRIM_400000_NS6detail17trampoline_kernelINS0_14default_configENS1_25partition_config_selectorILNS1_17partition_subalgoE5ExNS0_10empty_typeEbEEZZNS1_14partition_implILS5_5ELb0ES3_mN6thrust23THRUST_200600_302600_NS6detail15normal_iteratorINSA_10device_ptrIxEEEEPS6_NSA_18transform_iteratorINSB_9not_fun_tINSA_8identityIxEEEESF_NSA_11use_defaultESM_EENS0_5tupleIJSF_S6_EEENSO_IJSG_SG_EEES6_PlJS6_EEE10hipError_tPvRmT3_T4_T5_T6_T7_T9_mT8_P12ihipStream_tbDpT10_ENKUlT_T0_E_clISt17integral_constantIbLb1EES1B_EEDaS16_S17_EUlS16_E_NS1_11comp_targetILNS1_3genE5ELNS1_11target_archE942ELNS1_3gpuE9ELNS1_3repE0EEENS1_30default_config_static_selectorELNS0_4arch9wavefront6targetE0EEEvT1_: ; @_ZN7rocprim17ROCPRIM_400000_NS6detail17trampoline_kernelINS0_14default_configENS1_25partition_config_selectorILNS1_17partition_subalgoE5ExNS0_10empty_typeEbEEZZNS1_14partition_implILS5_5ELb0ES3_mN6thrust23THRUST_200600_302600_NS6detail15normal_iteratorINSA_10device_ptrIxEEEEPS6_NSA_18transform_iteratorINSB_9not_fun_tINSA_8identityIxEEEESF_NSA_11use_defaultESM_EENS0_5tupleIJSF_S6_EEENSO_IJSG_SG_EEES6_PlJS6_EEE10hipError_tPvRmT3_T4_T5_T6_T7_T9_mT8_P12ihipStream_tbDpT10_ENKUlT_T0_E_clISt17integral_constantIbLb1EES1B_EEDaS16_S17_EUlS16_E_NS1_11comp_targetILNS1_3genE5ELNS1_11target_archE942ELNS1_3gpuE9ELNS1_3repE0EEENS1_30default_config_static_selectorELNS0_4arch9wavefront6targetE0EEEvT1_
; %bb.0:
	.section	.rodata,"a",@progbits
	.p2align	6, 0x0
	.amdhsa_kernel _ZN7rocprim17ROCPRIM_400000_NS6detail17trampoline_kernelINS0_14default_configENS1_25partition_config_selectorILNS1_17partition_subalgoE5ExNS0_10empty_typeEbEEZZNS1_14partition_implILS5_5ELb0ES3_mN6thrust23THRUST_200600_302600_NS6detail15normal_iteratorINSA_10device_ptrIxEEEEPS6_NSA_18transform_iteratorINSB_9not_fun_tINSA_8identityIxEEEESF_NSA_11use_defaultESM_EENS0_5tupleIJSF_S6_EEENSO_IJSG_SG_EEES6_PlJS6_EEE10hipError_tPvRmT3_T4_T5_T6_T7_T9_mT8_P12ihipStream_tbDpT10_ENKUlT_T0_E_clISt17integral_constantIbLb1EES1B_EEDaS16_S17_EUlS16_E_NS1_11comp_targetILNS1_3genE5ELNS1_11target_archE942ELNS1_3gpuE9ELNS1_3repE0EEENS1_30default_config_static_selectorELNS0_4arch9wavefront6targetE0EEEvT1_
		.amdhsa_group_segment_fixed_size 0
		.amdhsa_private_segment_fixed_size 0
		.amdhsa_kernarg_size 136
		.amdhsa_user_sgpr_count 2
		.amdhsa_user_sgpr_dispatch_ptr 0
		.amdhsa_user_sgpr_queue_ptr 0
		.amdhsa_user_sgpr_kernarg_segment_ptr 1
		.amdhsa_user_sgpr_dispatch_id 0
		.amdhsa_user_sgpr_private_segment_size 0
		.amdhsa_wavefront_size32 1
		.amdhsa_uses_dynamic_stack 0
		.amdhsa_enable_private_segment 0
		.amdhsa_system_sgpr_workgroup_id_x 1
		.amdhsa_system_sgpr_workgroup_id_y 0
		.amdhsa_system_sgpr_workgroup_id_z 0
		.amdhsa_system_sgpr_workgroup_info 0
		.amdhsa_system_vgpr_workitem_id 0
		.amdhsa_next_free_vgpr 1
		.amdhsa_next_free_sgpr 1
		.amdhsa_reserve_vcc 0
		.amdhsa_float_round_mode_32 0
		.amdhsa_float_round_mode_16_64 0
		.amdhsa_float_denorm_mode_32 3
		.amdhsa_float_denorm_mode_16_64 3
		.amdhsa_fp16_overflow 0
		.amdhsa_workgroup_processor_mode 1
		.amdhsa_memory_ordered 1
		.amdhsa_forward_progress 1
		.amdhsa_inst_pref_size 0
		.amdhsa_round_robin_scheduling 0
		.amdhsa_exception_fp_ieee_invalid_op 0
		.amdhsa_exception_fp_denorm_src 0
		.amdhsa_exception_fp_ieee_div_zero 0
		.amdhsa_exception_fp_ieee_overflow 0
		.amdhsa_exception_fp_ieee_underflow 0
		.amdhsa_exception_fp_ieee_inexact 0
		.amdhsa_exception_int_div_zero 0
	.end_amdhsa_kernel
	.section	.text._ZN7rocprim17ROCPRIM_400000_NS6detail17trampoline_kernelINS0_14default_configENS1_25partition_config_selectorILNS1_17partition_subalgoE5ExNS0_10empty_typeEbEEZZNS1_14partition_implILS5_5ELb0ES3_mN6thrust23THRUST_200600_302600_NS6detail15normal_iteratorINSA_10device_ptrIxEEEEPS6_NSA_18transform_iteratorINSB_9not_fun_tINSA_8identityIxEEEESF_NSA_11use_defaultESM_EENS0_5tupleIJSF_S6_EEENSO_IJSG_SG_EEES6_PlJS6_EEE10hipError_tPvRmT3_T4_T5_T6_T7_T9_mT8_P12ihipStream_tbDpT10_ENKUlT_T0_E_clISt17integral_constantIbLb1EES1B_EEDaS16_S17_EUlS16_E_NS1_11comp_targetILNS1_3genE5ELNS1_11target_archE942ELNS1_3gpuE9ELNS1_3repE0EEENS1_30default_config_static_selectorELNS0_4arch9wavefront6targetE0EEEvT1_,"axG",@progbits,_ZN7rocprim17ROCPRIM_400000_NS6detail17trampoline_kernelINS0_14default_configENS1_25partition_config_selectorILNS1_17partition_subalgoE5ExNS0_10empty_typeEbEEZZNS1_14partition_implILS5_5ELb0ES3_mN6thrust23THRUST_200600_302600_NS6detail15normal_iteratorINSA_10device_ptrIxEEEEPS6_NSA_18transform_iteratorINSB_9not_fun_tINSA_8identityIxEEEESF_NSA_11use_defaultESM_EENS0_5tupleIJSF_S6_EEENSO_IJSG_SG_EEES6_PlJS6_EEE10hipError_tPvRmT3_T4_T5_T6_T7_T9_mT8_P12ihipStream_tbDpT10_ENKUlT_T0_E_clISt17integral_constantIbLb1EES1B_EEDaS16_S17_EUlS16_E_NS1_11comp_targetILNS1_3genE5ELNS1_11target_archE942ELNS1_3gpuE9ELNS1_3repE0EEENS1_30default_config_static_selectorELNS0_4arch9wavefront6targetE0EEEvT1_,comdat
.Lfunc_end958:
	.size	_ZN7rocprim17ROCPRIM_400000_NS6detail17trampoline_kernelINS0_14default_configENS1_25partition_config_selectorILNS1_17partition_subalgoE5ExNS0_10empty_typeEbEEZZNS1_14partition_implILS5_5ELb0ES3_mN6thrust23THRUST_200600_302600_NS6detail15normal_iteratorINSA_10device_ptrIxEEEEPS6_NSA_18transform_iteratorINSB_9not_fun_tINSA_8identityIxEEEESF_NSA_11use_defaultESM_EENS0_5tupleIJSF_S6_EEENSO_IJSG_SG_EEES6_PlJS6_EEE10hipError_tPvRmT3_T4_T5_T6_T7_T9_mT8_P12ihipStream_tbDpT10_ENKUlT_T0_E_clISt17integral_constantIbLb1EES1B_EEDaS16_S17_EUlS16_E_NS1_11comp_targetILNS1_3genE5ELNS1_11target_archE942ELNS1_3gpuE9ELNS1_3repE0EEENS1_30default_config_static_selectorELNS0_4arch9wavefront6targetE0EEEvT1_, .Lfunc_end958-_ZN7rocprim17ROCPRIM_400000_NS6detail17trampoline_kernelINS0_14default_configENS1_25partition_config_selectorILNS1_17partition_subalgoE5ExNS0_10empty_typeEbEEZZNS1_14partition_implILS5_5ELb0ES3_mN6thrust23THRUST_200600_302600_NS6detail15normal_iteratorINSA_10device_ptrIxEEEEPS6_NSA_18transform_iteratorINSB_9not_fun_tINSA_8identityIxEEEESF_NSA_11use_defaultESM_EENS0_5tupleIJSF_S6_EEENSO_IJSG_SG_EEES6_PlJS6_EEE10hipError_tPvRmT3_T4_T5_T6_T7_T9_mT8_P12ihipStream_tbDpT10_ENKUlT_T0_E_clISt17integral_constantIbLb1EES1B_EEDaS16_S17_EUlS16_E_NS1_11comp_targetILNS1_3genE5ELNS1_11target_archE942ELNS1_3gpuE9ELNS1_3repE0EEENS1_30default_config_static_selectorELNS0_4arch9wavefront6targetE0EEEvT1_
                                        ; -- End function
	.set _ZN7rocprim17ROCPRIM_400000_NS6detail17trampoline_kernelINS0_14default_configENS1_25partition_config_selectorILNS1_17partition_subalgoE5ExNS0_10empty_typeEbEEZZNS1_14partition_implILS5_5ELb0ES3_mN6thrust23THRUST_200600_302600_NS6detail15normal_iteratorINSA_10device_ptrIxEEEEPS6_NSA_18transform_iteratorINSB_9not_fun_tINSA_8identityIxEEEESF_NSA_11use_defaultESM_EENS0_5tupleIJSF_S6_EEENSO_IJSG_SG_EEES6_PlJS6_EEE10hipError_tPvRmT3_T4_T5_T6_T7_T9_mT8_P12ihipStream_tbDpT10_ENKUlT_T0_E_clISt17integral_constantIbLb1EES1B_EEDaS16_S17_EUlS16_E_NS1_11comp_targetILNS1_3genE5ELNS1_11target_archE942ELNS1_3gpuE9ELNS1_3repE0EEENS1_30default_config_static_selectorELNS0_4arch9wavefront6targetE0EEEvT1_.num_vgpr, 0
	.set _ZN7rocprim17ROCPRIM_400000_NS6detail17trampoline_kernelINS0_14default_configENS1_25partition_config_selectorILNS1_17partition_subalgoE5ExNS0_10empty_typeEbEEZZNS1_14partition_implILS5_5ELb0ES3_mN6thrust23THRUST_200600_302600_NS6detail15normal_iteratorINSA_10device_ptrIxEEEEPS6_NSA_18transform_iteratorINSB_9not_fun_tINSA_8identityIxEEEESF_NSA_11use_defaultESM_EENS0_5tupleIJSF_S6_EEENSO_IJSG_SG_EEES6_PlJS6_EEE10hipError_tPvRmT3_T4_T5_T6_T7_T9_mT8_P12ihipStream_tbDpT10_ENKUlT_T0_E_clISt17integral_constantIbLb1EES1B_EEDaS16_S17_EUlS16_E_NS1_11comp_targetILNS1_3genE5ELNS1_11target_archE942ELNS1_3gpuE9ELNS1_3repE0EEENS1_30default_config_static_selectorELNS0_4arch9wavefront6targetE0EEEvT1_.num_agpr, 0
	.set _ZN7rocprim17ROCPRIM_400000_NS6detail17trampoline_kernelINS0_14default_configENS1_25partition_config_selectorILNS1_17partition_subalgoE5ExNS0_10empty_typeEbEEZZNS1_14partition_implILS5_5ELb0ES3_mN6thrust23THRUST_200600_302600_NS6detail15normal_iteratorINSA_10device_ptrIxEEEEPS6_NSA_18transform_iteratorINSB_9not_fun_tINSA_8identityIxEEEESF_NSA_11use_defaultESM_EENS0_5tupleIJSF_S6_EEENSO_IJSG_SG_EEES6_PlJS6_EEE10hipError_tPvRmT3_T4_T5_T6_T7_T9_mT8_P12ihipStream_tbDpT10_ENKUlT_T0_E_clISt17integral_constantIbLb1EES1B_EEDaS16_S17_EUlS16_E_NS1_11comp_targetILNS1_3genE5ELNS1_11target_archE942ELNS1_3gpuE9ELNS1_3repE0EEENS1_30default_config_static_selectorELNS0_4arch9wavefront6targetE0EEEvT1_.numbered_sgpr, 0
	.set _ZN7rocprim17ROCPRIM_400000_NS6detail17trampoline_kernelINS0_14default_configENS1_25partition_config_selectorILNS1_17partition_subalgoE5ExNS0_10empty_typeEbEEZZNS1_14partition_implILS5_5ELb0ES3_mN6thrust23THRUST_200600_302600_NS6detail15normal_iteratorINSA_10device_ptrIxEEEEPS6_NSA_18transform_iteratorINSB_9not_fun_tINSA_8identityIxEEEESF_NSA_11use_defaultESM_EENS0_5tupleIJSF_S6_EEENSO_IJSG_SG_EEES6_PlJS6_EEE10hipError_tPvRmT3_T4_T5_T6_T7_T9_mT8_P12ihipStream_tbDpT10_ENKUlT_T0_E_clISt17integral_constantIbLb1EES1B_EEDaS16_S17_EUlS16_E_NS1_11comp_targetILNS1_3genE5ELNS1_11target_archE942ELNS1_3gpuE9ELNS1_3repE0EEENS1_30default_config_static_selectorELNS0_4arch9wavefront6targetE0EEEvT1_.num_named_barrier, 0
	.set _ZN7rocprim17ROCPRIM_400000_NS6detail17trampoline_kernelINS0_14default_configENS1_25partition_config_selectorILNS1_17partition_subalgoE5ExNS0_10empty_typeEbEEZZNS1_14partition_implILS5_5ELb0ES3_mN6thrust23THRUST_200600_302600_NS6detail15normal_iteratorINSA_10device_ptrIxEEEEPS6_NSA_18transform_iteratorINSB_9not_fun_tINSA_8identityIxEEEESF_NSA_11use_defaultESM_EENS0_5tupleIJSF_S6_EEENSO_IJSG_SG_EEES6_PlJS6_EEE10hipError_tPvRmT3_T4_T5_T6_T7_T9_mT8_P12ihipStream_tbDpT10_ENKUlT_T0_E_clISt17integral_constantIbLb1EES1B_EEDaS16_S17_EUlS16_E_NS1_11comp_targetILNS1_3genE5ELNS1_11target_archE942ELNS1_3gpuE9ELNS1_3repE0EEENS1_30default_config_static_selectorELNS0_4arch9wavefront6targetE0EEEvT1_.private_seg_size, 0
	.set _ZN7rocprim17ROCPRIM_400000_NS6detail17trampoline_kernelINS0_14default_configENS1_25partition_config_selectorILNS1_17partition_subalgoE5ExNS0_10empty_typeEbEEZZNS1_14partition_implILS5_5ELb0ES3_mN6thrust23THRUST_200600_302600_NS6detail15normal_iteratorINSA_10device_ptrIxEEEEPS6_NSA_18transform_iteratorINSB_9not_fun_tINSA_8identityIxEEEESF_NSA_11use_defaultESM_EENS0_5tupleIJSF_S6_EEENSO_IJSG_SG_EEES6_PlJS6_EEE10hipError_tPvRmT3_T4_T5_T6_T7_T9_mT8_P12ihipStream_tbDpT10_ENKUlT_T0_E_clISt17integral_constantIbLb1EES1B_EEDaS16_S17_EUlS16_E_NS1_11comp_targetILNS1_3genE5ELNS1_11target_archE942ELNS1_3gpuE9ELNS1_3repE0EEENS1_30default_config_static_selectorELNS0_4arch9wavefront6targetE0EEEvT1_.uses_vcc, 0
	.set _ZN7rocprim17ROCPRIM_400000_NS6detail17trampoline_kernelINS0_14default_configENS1_25partition_config_selectorILNS1_17partition_subalgoE5ExNS0_10empty_typeEbEEZZNS1_14partition_implILS5_5ELb0ES3_mN6thrust23THRUST_200600_302600_NS6detail15normal_iteratorINSA_10device_ptrIxEEEEPS6_NSA_18transform_iteratorINSB_9not_fun_tINSA_8identityIxEEEESF_NSA_11use_defaultESM_EENS0_5tupleIJSF_S6_EEENSO_IJSG_SG_EEES6_PlJS6_EEE10hipError_tPvRmT3_T4_T5_T6_T7_T9_mT8_P12ihipStream_tbDpT10_ENKUlT_T0_E_clISt17integral_constantIbLb1EES1B_EEDaS16_S17_EUlS16_E_NS1_11comp_targetILNS1_3genE5ELNS1_11target_archE942ELNS1_3gpuE9ELNS1_3repE0EEENS1_30default_config_static_selectorELNS0_4arch9wavefront6targetE0EEEvT1_.uses_flat_scratch, 0
	.set _ZN7rocprim17ROCPRIM_400000_NS6detail17trampoline_kernelINS0_14default_configENS1_25partition_config_selectorILNS1_17partition_subalgoE5ExNS0_10empty_typeEbEEZZNS1_14partition_implILS5_5ELb0ES3_mN6thrust23THRUST_200600_302600_NS6detail15normal_iteratorINSA_10device_ptrIxEEEEPS6_NSA_18transform_iteratorINSB_9not_fun_tINSA_8identityIxEEEESF_NSA_11use_defaultESM_EENS0_5tupleIJSF_S6_EEENSO_IJSG_SG_EEES6_PlJS6_EEE10hipError_tPvRmT3_T4_T5_T6_T7_T9_mT8_P12ihipStream_tbDpT10_ENKUlT_T0_E_clISt17integral_constantIbLb1EES1B_EEDaS16_S17_EUlS16_E_NS1_11comp_targetILNS1_3genE5ELNS1_11target_archE942ELNS1_3gpuE9ELNS1_3repE0EEENS1_30default_config_static_selectorELNS0_4arch9wavefront6targetE0EEEvT1_.has_dyn_sized_stack, 0
	.set _ZN7rocprim17ROCPRIM_400000_NS6detail17trampoline_kernelINS0_14default_configENS1_25partition_config_selectorILNS1_17partition_subalgoE5ExNS0_10empty_typeEbEEZZNS1_14partition_implILS5_5ELb0ES3_mN6thrust23THRUST_200600_302600_NS6detail15normal_iteratorINSA_10device_ptrIxEEEEPS6_NSA_18transform_iteratorINSB_9not_fun_tINSA_8identityIxEEEESF_NSA_11use_defaultESM_EENS0_5tupleIJSF_S6_EEENSO_IJSG_SG_EEES6_PlJS6_EEE10hipError_tPvRmT3_T4_T5_T6_T7_T9_mT8_P12ihipStream_tbDpT10_ENKUlT_T0_E_clISt17integral_constantIbLb1EES1B_EEDaS16_S17_EUlS16_E_NS1_11comp_targetILNS1_3genE5ELNS1_11target_archE942ELNS1_3gpuE9ELNS1_3repE0EEENS1_30default_config_static_selectorELNS0_4arch9wavefront6targetE0EEEvT1_.has_recursion, 0
	.set _ZN7rocprim17ROCPRIM_400000_NS6detail17trampoline_kernelINS0_14default_configENS1_25partition_config_selectorILNS1_17partition_subalgoE5ExNS0_10empty_typeEbEEZZNS1_14partition_implILS5_5ELb0ES3_mN6thrust23THRUST_200600_302600_NS6detail15normal_iteratorINSA_10device_ptrIxEEEEPS6_NSA_18transform_iteratorINSB_9not_fun_tINSA_8identityIxEEEESF_NSA_11use_defaultESM_EENS0_5tupleIJSF_S6_EEENSO_IJSG_SG_EEES6_PlJS6_EEE10hipError_tPvRmT3_T4_T5_T6_T7_T9_mT8_P12ihipStream_tbDpT10_ENKUlT_T0_E_clISt17integral_constantIbLb1EES1B_EEDaS16_S17_EUlS16_E_NS1_11comp_targetILNS1_3genE5ELNS1_11target_archE942ELNS1_3gpuE9ELNS1_3repE0EEENS1_30default_config_static_selectorELNS0_4arch9wavefront6targetE0EEEvT1_.has_indirect_call, 0
	.section	.AMDGPU.csdata,"",@progbits
; Kernel info:
; codeLenInByte = 0
; TotalNumSgprs: 0
; NumVgprs: 0
; ScratchSize: 0
; MemoryBound: 0
; FloatMode: 240
; IeeeMode: 1
; LDSByteSize: 0 bytes/workgroup (compile time only)
; SGPRBlocks: 0
; VGPRBlocks: 0
; NumSGPRsForWavesPerEU: 1
; NumVGPRsForWavesPerEU: 1
; Occupancy: 16
; WaveLimiterHint : 0
; COMPUTE_PGM_RSRC2:SCRATCH_EN: 0
; COMPUTE_PGM_RSRC2:USER_SGPR: 2
; COMPUTE_PGM_RSRC2:TRAP_HANDLER: 0
; COMPUTE_PGM_RSRC2:TGID_X_EN: 1
; COMPUTE_PGM_RSRC2:TGID_Y_EN: 0
; COMPUTE_PGM_RSRC2:TGID_Z_EN: 0
; COMPUTE_PGM_RSRC2:TIDIG_COMP_CNT: 0
	.section	.text._ZN7rocprim17ROCPRIM_400000_NS6detail17trampoline_kernelINS0_14default_configENS1_25partition_config_selectorILNS1_17partition_subalgoE5ExNS0_10empty_typeEbEEZZNS1_14partition_implILS5_5ELb0ES3_mN6thrust23THRUST_200600_302600_NS6detail15normal_iteratorINSA_10device_ptrIxEEEEPS6_NSA_18transform_iteratorINSB_9not_fun_tINSA_8identityIxEEEESF_NSA_11use_defaultESM_EENS0_5tupleIJSF_S6_EEENSO_IJSG_SG_EEES6_PlJS6_EEE10hipError_tPvRmT3_T4_T5_T6_T7_T9_mT8_P12ihipStream_tbDpT10_ENKUlT_T0_E_clISt17integral_constantIbLb1EES1B_EEDaS16_S17_EUlS16_E_NS1_11comp_targetILNS1_3genE4ELNS1_11target_archE910ELNS1_3gpuE8ELNS1_3repE0EEENS1_30default_config_static_selectorELNS0_4arch9wavefront6targetE0EEEvT1_,"axG",@progbits,_ZN7rocprim17ROCPRIM_400000_NS6detail17trampoline_kernelINS0_14default_configENS1_25partition_config_selectorILNS1_17partition_subalgoE5ExNS0_10empty_typeEbEEZZNS1_14partition_implILS5_5ELb0ES3_mN6thrust23THRUST_200600_302600_NS6detail15normal_iteratorINSA_10device_ptrIxEEEEPS6_NSA_18transform_iteratorINSB_9not_fun_tINSA_8identityIxEEEESF_NSA_11use_defaultESM_EENS0_5tupleIJSF_S6_EEENSO_IJSG_SG_EEES6_PlJS6_EEE10hipError_tPvRmT3_T4_T5_T6_T7_T9_mT8_P12ihipStream_tbDpT10_ENKUlT_T0_E_clISt17integral_constantIbLb1EES1B_EEDaS16_S17_EUlS16_E_NS1_11comp_targetILNS1_3genE4ELNS1_11target_archE910ELNS1_3gpuE8ELNS1_3repE0EEENS1_30default_config_static_selectorELNS0_4arch9wavefront6targetE0EEEvT1_,comdat
	.protected	_ZN7rocprim17ROCPRIM_400000_NS6detail17trampoline_kernelINS0_14default_configENS1_25partition_config_selectorILNS1_17partition_subalgoE5ExNS0_10empty_typeEbEEZZNS1_14partition_implILS5_5ELb0ES3_mN6thrust23THRUST_200600_302600_NS6detail15normal_iteratorINSA_10device_ptrIxEEEEPS6_NSA_18transform_iteratorINSB_9not_fun_tINSA_8identityIxEEEESF_NSA_11use_defaultESM_EENS0_5tupleIJSF_S6_EEENSO_IJSG_SG_EEES6_PlJS6_EEE10hipError_tPvRmT3_T4_T5_T6_T7_T9_mT8_P12ihipStream_tbDpT10_ENKUlT_T0_E_clISt17integral_constantIbLb1EES1B_EEDaS16_S17_EUlS16_E_NS1_11comp_targetILNS1_3genE4ELNS1_11target_archE910ELNS1_3gpuE8ELNS1_3repE0EEENS1_30default_config_static_selectorELNS0_4arch9wavefront6targetE0EEEvT1_ ; -- Begin function _ZN7rocprim17ROCPRIM_400000_NS6detail17trampoline_kernelINS0_14default_configENS1_25partition_config_selectorILNS1_17partition_subalgoE5ExNS0_10empty_typeEbEEZZNS1_14partition_implILS5_5ELb0ES3_mN6thrust23THRUST_200600_302600_NS6detail15normal_iteratorINSA_10device_ptrIxEEEEPS6_NSA_18transform_iteratorINSB_9not_fun_tINSA_8identityIxEEEESF_NSA_11use_defaultESM_EENS0_5tupleIJSF_S6_EEENSO_IJSG_SG_EEES6_PlJS6_EEE10hipError_tPvRmT3_T4_T5_T6_T7_T9_mT8_P12ihipStream_tbDpT10_ENKUlT_T0_E_clISt17integral_constantIbLb1EES1B_EEDaS16_S17_EUlS16_E_NS1_11comp_targetILNS1_3genE4ELNS1_11target_archE910ELNS1_3gpuE8ELNS1_3repE0EEENS1_30default_config_static_selectorELNS0_4arch9wavefront6targetE0EEEvT1_
	.globl	_ZN7rocprim17ROCPRIM_400000_NS6detail17trampoline_kernelINS0_14default_configENS1_25partition_config_selectorILNS1_17partition_subalgoE5ExNS0_10empty_typeEbEEZZNS1_14partition_implILS5_5ELb0ES3_mN6thrust23THRUST_200600_302600_NS6detail15normal_iteratorINSA_10device_ptrIxEEEEPS6_NSA_18transform_iteratorINSB_9not_fun_tINSA_8identityIxEEEESF_NSA_11use_defaultESM_EENS0_5tupleIJSF_S6_EEENSO_IJSG_SG_EEES6_PlJS6_EEE10hipError_tPvRmT3_T4_T5_T6_T7_T9_mT8_P12ihipStream_tbDpT10_ENKUlT_T0_E_clISt17integral_constantIbLb1EES1B_EEDaS16_S17_EUlS16_E_NS1_11comp_targetILNS1_3genE4ELNS1_11target_archE910ELNS1_3gpuE8ELNS1_3repE0EEENS1_30default_config_static_selectorELNS0_4arch9wavefront6targetE0EEEvT1_
	.p2align	8
	.type	_ZN7rocprim17ROCPRIM_400000_NS6detail17trampoline_kernelINS0_14default_configENS1_25partition_config_selectorILNS1_17partition_subalgoE5ExNS0_10empty_typeEbEEZZNS1_14partition_implILS5_5ELb0ES3_mN6thrust23THRUST_200600_302600_NS6detail15normal_iteratorINSA_10device_ptrIxEEEEPS6_NSA_18transform_iteratorINSB_9not_fun_tINSA_8identityIxEEEESF_NSA_11use_defaultESM_EENS0_5tupleIJSF_S6_EEENSO_IJSG_SG_EEES6_PlJS6_EEE10hipError_tPvRmT3_T4_T5_T6_T7_T9_mT8_P12ihipStream_tbDpT10_ENKUlT_T0_E_clISt17integral_constantIbLb1EES1B_EEDaS16_S17_EUlS16_E_NS1_11comp_targetILNS1_3genE4ELNS1_11target_archE910ELNS1_3gpuE8ELNS1_3repE0EEENS1_30default_config_static_selectorELNS0_4arch9wavefront6targetE0EEEvT1_,@function
_ZN7rocprim17ROCPRIM_400000_NS6detail17trampoline_kernelINS0_14default_configENS1_25partition_config_selectorILNS1_17partition_subalgoE5ExNS0_10empty_typeEbEEZZNS1_14partition_implILS5_5ELb0ES3_mN6thrust23THRUST_200600_302600_NS6detail15normal_iteratorINSA_10device_ptrIxEEEEPS6_NSA_18transform_iteratorINSB_9not_fun_tINSA_8identityIxEEEESF_NSA_11use_defaultESM_EENS0_5tupleIJSF_S6_EEENSO_IJSG_SG_EEES6_PlJS6_EEE10hipError_tPvRmT3_T4_T5_T6_T7_T9_mT8_P12ihipStream_tbDpT10_ENKUlT_T0_E_clISt17integral_constantIbLb1EES1B_EEDaS16_S17_EUlS16_E_NS1_11comp_targetILNS1_3genE4ELNS1_11target_archE910ELNS1_3gpuE8ELNS1_3repE0EEENS1_30default_config_static_selectorELNS0_4arch9wavefront6targetE0EEEvT1_: ; @_ZN7rocprim17ROCPRIM_400000_NS6detail17trampoline_kernelINS0_14default_configENS1_25partition_config_selectorILNS1_17partition_subalgoE5ExNS0_10empty_typeEbEEZZNS1_14partition_implILS5_5ELb0ES3_mN6thrust23THRUST_200600_302600_NS6detail15normal_iteratorINSA_10device_ptrIxEEEEPS6_NSA_18transform_iteratorINSB_9not_fun_tINSA_8identityIxEEEESF_NSA_11use_defaultESM_EENS0_5tupleIJSF_S6_EEENSO_IJSG_SG_EEES6_PlJS6_EEE10hipError_tPvRmT3_T4_T5_T6_T7_T9_mT8_P12ihipStream_tbDpT10_ENKUlT_T0_E_clISt17integral_constantIbLb1EES1B_EEDaS16_S17_EUlS16_E_NS1_11comp_targetILNS1_3genE4ELNS1_11target_archE910ELNS1_3gpuE8ELNS1_3repE0EEENS1_30default_config_static_selectorELNS0_4arch9wavefront6targetE0EEEvT1_
; %bb.0:
	.section	.rodata,"a",@progbits
	.p2align	6, 0x0
	.amdhsa_kernel _ZN7rocprim17ROCPRIM_400000_NS6detail17trampoline_kernelINS0_14default_configENS1_25partition_config_selectorILNS1_17partition_subalgoE5ExNS0_10empty_typeEbEEZZNS1_14partition_implILS5_5ELb0ES3_mN6thrust23THRUST_200600_302600_NS6detail15normal_iteratorINSA_10device_ptrIxEEEEPS6_NSA_18transform_iteratorINSB_9not_fun_tINSA_8identityIxEEEESF_NSA_11use_defaultESM_EENS0_5tupleIJSF_S6_EEENSO_IJSG_SG_EEES6_PlJS6_EEE10hipError_tPvRmT3_T4_T5_T6_T7_T9_mT8_P12ihipStream_tbDpT10_ENKUlT_T0_E_clISt17integral_constantIbLb1EES1B_EEDaS16_S17_EUlS16_E_NS1_11comp_targetILNS1_3genE4ELNS1_11target_archE910ELNS1_3gpuE8ELNS1_3repE0EEENS1_30default_config_static_selectorELNS0_4arch9wavefront6targetE0EEEvT1_
		.amdhsa_group_segment_fixed_size 0
		.amdhsa_private_segment_fixed_size 0
		.amdhsa_kernarg_size 136
		.amdhsa_user_sgpr_count 2
		.amdhsa_user_sgpr_dispatch_ptr 0
		.amdhsa_user_sgpr_queue_ptr 0
		.amdhsa_user_sgpr_kernarg_segment_ptr 1
		.amdhsa_user_sgpr_dispatch_id 0
		.amdhsa_user_sgpr_private_segment_size 0
		.amdhsa_wavefront_size32 1
		.amdhsa_uses_dynamic_stack 0
		.amdhsa_enable_private_segment 0
		.amdhsa_system_sgpr_workgroup_id_x 1
		.amdhsa_system_sgpr_workgroup_id_y 0
		.amdhsa_system_sgpr_workgroup_id_z 0
		.amdhsa_system_sgpr_workgroup_info 0
		.amdhsa_system_vgpr_workitem_id 0
		.amdhsa_next_free_vgpr 1
		.amdhsa_next_free_sgpr 1
		.amdhsa_reserve_vcc 0
		.amdhsa_float_round_mode_32 0
		.amdhsa_float_round_mode_16_64 0
		.amdhsa_float_denorm_mode_32 3
		.amdhsa_float_denorm_mode_16_64 3
		.amdhsa_fp16_overflow 0
		.amdhsa_workgroup_processor_mode 1
		.amdhsa_memory_ordered 1
		.amdhsa_forward_progress 1
		.amdhsa_inst_pref_size 0
		.amdhsa_round_robin_scheduling 0
		.amdhsa_exception_fp_ieee_invalid_op 0
		.amdhsa_exception_fp_denorm_src 0
		.amdhsa_exception_fp_ieee_div_zero 0
		.amdhsa_exception_fp_ieee_overflow 0
		.amdhsa_exception_fp_ieee_underflow 0
		.amdhsa_exception_fp_ieee_inexact 0
		.amdhsa_exception_int_div_zero 0
	.end_amdhsa_kernel
	.section	.text._ZN7rocprim17ROCPRIM_400000_NS6detail17trampoline_kernelINS0_14default_configENS1_25partition_config_selectorILNS1_17partition_subalgoE5ExNS0_10empty_typeEbEEZZNS1_14partition_implILS5_5ELb0ES3_mN6thrust23THRUST_200600_302600_NS6detail15normal_iteratorINSA_10device_ptrIxEEEEPS6_NSA_18transform_iteratorINSB_9not_fun_tINSA_8identityIxEEEESF_NSA_11use_defaultESM_EENS0_5tupleIJSF_S6_EEENSO_IJSG_SG_EEES6_PlJS6_EEE10hipError_tPvRmT3_T4_T5_T6_T7_T9_mT8_P12ihipStream_tbDpT10_ENKUlT_T0_E_clISt17integral_constantIbLb1EES1B_EEDaS16_S17_EUlS16_E_NS1_11comp_targetILNS1_3genE4ELNS1_11target_archE910ELNS1_3gpuE8ELNS1_3repE0EEENS1_30default_config_static_selectorELNS0_4arch9wavefront6targetE0EEEvT1_,"axG",@progbits,_ZN7rocprim17ROCPRIM_400000_NS6detail17trampoline_kernelINS0_14default_configENS1_25partition_config_selectorILNS1_17partition_subalgoE5ExNS0_10empty_typeEbEEZZNS1_14partition_implILS5_5ELb0ES3_mN6thrust23THRUST_200600_302600_NS6detail15normal_iteratorINSA_10device_ptrIxEEEEPS6_NSA_18transform_iteratorINSB_9not_fun_tINSA_8identityIxEEEESF_NSA_11use_defaultESM_EENS0_5tupleIJSF_S6_EEENSO_IJSG_SG_EEES6_PlJS6_EEE10hipError_tPvRmT3_T4_T5_T6_T7_T9_mT8_P12ihipStream_tbDpT10_ENKUlT_T0_E_clISt17integral_constantIbLb1EES1B_EEDaS16_S17_EUlS16_E_NS1_11comp_targetILNS1_3genE4ELNS1_11target_archE910ELNS1_3gpuE8ELNS1_3repE0EEENS1_30default_config_static_selectorELNS0_4arch9wavefront6targetE0EEEvT1_,comdat
.Lfunc_end959:
	.size	_ZN7rocprim17ROCPRIM_400000_NS6detail17trampoline_kernelINS0_14default_configENS1_25partition_config_selectorILNS1_17partition_subalgoE5ExNS0_10empty_typeEbEEZZNS1_14partition_implILS5_5ELb0ES3_mN6thrust23THRUST_200600_302600_NS6detail15normal_iteratorINSA_10device_ptrIxEEEEPS6_NSA_18transform_iteratorINSB_9not_fun_tINSA_8identityIxEEEESF_NSA_11use_defaultESM_EENS0_5tupleIJSF_S6_EEENSO_IJSG_SG_EEES6_PlJS6_EEE10hipError_tPvRmT3_T4_T5_T6_T7_T9_mT8_P12ihipStream_tbDpT10_ENKUlT_T0_E_clISt17integral_constantIbLb1EES1B_EEDaS16_S17_EUlS16_E_NS1_11comp_targetILNS1_3genE4ELNS1_11target_archE910ELNS1_3gpuE8ELNS1_3repE0EEENS1_30default_config_static_selectorELNS0_4arch9wavefront6targetE0EEEvT1_, .Lfunc_end959-_ZN7rocprim17ROCPRIM_400000_NS6detail17trampoline_kernelINS0_14default_configENS1_25partition_config_selectorILNS1_17partition_subalgoE5ExNS0_10empty_typeEbEEZZNS1_14partition_implILS5_5ELb0ES3_mN6thrust23THRUST_200600_302600_NS6detail15normal_iteratorINSA_10device_ptrIxEEEEPS6_NSA_18transform_iteratorINSB_9not_fun_tINSA_8identityIxEEEESF_NSA_11use_defaultESM_EENS0_5tupleIJSF_S6_EEENSO_IJSG_SG_EEES6_PlJS6_EEE10hipError_tPvRmT3_T4_T5_T6_T7_T9_mT8_P12ihipStream_tbDpT10_ENKUlT_T0_E_clISt17integral_constantIbLb1EES1B_EEDaS16_S17_EUlS16_E_NS1_11comp_targetILNS1_3genE4ELNS1_11target_archE910ELNS1_3gpuE8ELNS1_3repE0EEENS1_30default_config_static_selectorELNS0_4arch9wavefront6targetE0EEEvT1_
                                        ; -- End function
	.set _ZN7rocprim17ROCPRIM_400000_NS6detail17trampoline_kernelINS0_14default_configENS1_25partition_config_selectorILNS1_17partition_subalgoE5ExNS0_10empty_typeEbEEZZNS1_14partition_implILS5_5ELb0ES3_mN6thrust23THRUST_200600_302600_NS6detail15normal_iteratorINSA_10device_ptrIxEEEEPS6_NSA_18transform_iteratorINSB_9not_fun_tINSA_8identityIxEEEESF_NSA_11use_defaultESM_EENS0_5tupleIJSF_S6_EEENSO_IJSG_SG_EEES6_PlJS6_EEE10hipError_tPvRmT3_T4_T5_T6_T7_T9_mT8_P12ihipStream_tbDpT10_ENKUlT_T0_E_clISt17integral_constantIbLb1EES1B_EEDaS16_S17_EUlS16_E_NS1_11comp_targetILNS1_3genE4ELNS1_11target_archE910ELNS1_3gpuE8ELNS1_3repE0EEENS1_30default_config_static_selectorELNS0_4arch9wavefront6targetE0EEEvT1_.num_vgpr, 0
	.set _ZN7rocprim17ROCPRIM_400000_NS6detail17trampoline_kernelINS0_14default_configENS1_25partition_config_selectorILNS1_17partition_subalgoE5ExNS0_10empty_typeEbEEZZNS1_14partition_implILS5_5ELb0ES3_mN6thrust23THRUST_200600_302600_NS6detail15normal_iteratorINSA_10device_ptrIxEEEEPS6_NSA_18transform_iteratorINSB_9not_fun_tINSA_8identityIxEEEESF_NSA_11use_defaultESM_EENS0_5tupleIJSF_S6_EEENSO_IJSG_SG_EEES6_PlJS6_EEE10hipError_tPvRmT3_T4_T5_T6_T7_T9_mT8_P12ihipStream_tbDpT10_ENKUlT_T0_E_clISt17integral_constantIbLb1EES1B_EEDaS16_S17_EUlS16_E_NS1_11comp_targetILNS1_3genE4ELNS1_11target_archE910ELNS1_3gpuE8ELNS1_3repE0EEENS1_30default_config_static_selectorELNS0_4arch9wavefront6targetE0EEEvT1_.num_agpr, 0
	.set _ZN7rocprim17ROCPRIM_400000_NS6detail17trampoline_kernelINS0_14default_configENS1_25partition_config_selectorILNS1_17partition_subalgoE5ExNS0_10empty_typeEbEEZZNS1_14partition_implILS5_5ELb0ES3_mN6thrust23THRUST_200600_302600_NS6detail15normal_iteratorINSA_10device_ptrIxEEEEPS6_NSA_18transform_iteratorINSB_9not_fun_tINSA_8identityIxEEEESF_NSA_11use_defaultESM_EENS0_5tupleIJSF_S6_EEENSO_IJSG_SG_EEES6_PlJS6_EEE10hipError_tPvRmT3_T4_T5_T6_T7_T9_mT8_P12ihipStream_tbDpT10_ENKUlT_T0_E_clISt17integral_constantIbLb1EES1B_EEDaS16_S17_EUlS16_E_NS1_11comp_targetILNS1_3genE4ELNS1_11target_archE910ELNS1_3gpuE8ELNS1_3repE0EEENS1_30default_config_static_selectorELNS0_4arch9wavefront6targetE0EEEvT1_.numbered_sgpr, 0
	.set _ZN7rocprim17ROCPRIM_400000_NS6detail17trampoline_kernelINS0_14default_configENS1_25partition_config_selectorILNS1_17partition_subalgoE5ExNS0_10empty_typeEbEEZZNS1_14partition_implILS5_5ELb0ES3_mN6thrust23THRUST_200600_302600_NS6detail15normal_iteratorINSA_10device_ptrIxEEEEPS6_NSA_18transform_iteratorINSB_9not_fun_tINSA_8identityIxEEEESF_NSA_11use_defaultESM_EENS0_5tupleIJSF_S6_EEENSO_IJSG_SG_EEES6_PlJS6_EEE10hipError_tPvRmT3_T4_T5_T6_T7_T9_mT8_P12ihipStream_tbDpT10_ENKUlT_T0_E_clISt17integral_constantIbLb1EES1B_EEDaS16_S17_EUlS16_E_NS1_11comp_targetILNS1_3genE4ELNS1_11target_archE910ELNS1_3gpuE8ELNS1_3repE0EEENS1_30default_config_static_selectorELNS0_4arch9wavefront6targetE0EEEvT1_.num_named_barrier, 0
	.set _ZN7rocprim17ROCPRIM_400000_NS6detail17trampoline_kernelINS0_14default_configENS1_25partition_config_selectorILNS1_17partition_subalgoE5ExNS0_10empty_typeEbEEZZNS1_14partition_implILS5_5ELb0ES3_mN6thrust23THRUST_200600_302600_NS6detail15normal_iteratorINSA_10device_ptrIxEEEEPS6_NSA_18transform_iteratorINSB_9not_fun_tINSA_8identityIxEEEESF_NSA_11use_defaultESM_EENS0_5tupleIJSF_S6_EEENSO_IJSG_SG_EEES6_PlJS6_EEE10hipError_tPvRmT3_T4_T5_T6_T7_T9_mT8_P12ihipStream_tbDpT10_ENKUlT_T0_E_clISt17integral_constantIbLb1EES1B_EEDaS16_S17_EUlS16_E_NS1_11comp_targetILNS1_3genE4ELNS1_11target_archE910ELNS1_3gpuE8ELNS1_3repE0EEENS1_30default_config_static_selectorELNS0_4arch9wavefront6targetE0EEEvT1_.private_seg_size, 0
	.set _ZN7rocprim17ROCPRIM_400000_NS6detail17trampoline_kernelINS0_14default_configENS1_25partition_config_selectorILNS1_17partition_subalgoE5ExNS0_10empty_typeEbEEZZNS1_14partition_implILS5_5ELb0ES3_mN6thrust23THRUST_200600_302600_NS6detail15normal_iteratorINSA_10device_ptrIxEEEEPS6_NSA_18transform_iteratorINSB_9not_fun_tINSA_8identityIxEEEESF_NSA_11use_defaultESM_EENS0_5tupleIJSF_S6_EEENSO_IJSG_SG_EEES6_PlJS6_EEE10hipError_tPvRmT3_T4_T5_T6_T7_T9_mT8_P12ihipStream_tbDpT10_ENKUlT_T0_E_clISt17integral_constantIbLb1EES1B_EEDaS16_S17_EUlS16_E_NS1_11comp_targetILNS1_3genE4ELNS1_11target_archE910ELNS1_3gpuE8ELNS1_3repE0EEENS1_30default_config_static_selectorELNS0_4arch9wavefront6targetE0EEEvT1_.uses_vcc, 0
	.set _ZN7rocprim17ROCPRIM_400000_NS6detail17trampoline_kernelINS0_14default_configENS1_25partition_config_selectorILNS1_17partition_subalgoE5ExNS0_10empty_typeEbEEZZNS1_14partition_implILS5_5ELb0ES3_mN6thrust23THRUST_200600_302600_NS6detail15normal_iteratorINSA_10device_ptrIxEEEEPS6_NSA_18transform_iteratorINSB_9not_fun_tINSA_8identityIxEEEESF_NSA_11use_defaultESM_EENS0_5tupleIJSF_S6_EEENSO_IJSG_SG_EEES6_PlJS6_EEE10hipError_tPvRmT3_T4_T5_T6_T7_T9_mT8_P12ihipStream_tbDpT10_ENKUlT_T0_E_clISt17integral_constantIbLb1EES1B_EEDaS16_S17_EUlS16_E_NS1_11comp_targetILNS1_3genE4ELNS1_11target_archE910ELNS1_3gpuE8ELNS1_3repE0EEENS1_30default_config_static_selectorELNS0_4arch9wavefront6targetE0EEEvT1_.uses_flat_scratch, 0
	.set _ZN7rocprim17ROCPRIM_400000_NS6detail17trampoline_kernelINS0_14default_configENS1_25partition_config_selectorILNS1_17partition_subalgoE5ExNS0_10empty_typeEbEEZZNS1_14partition_implILS5_5ELb0ES3_mN6thrust23THRUST_200600_302600_NS6detail15normal_iteratorINSA_10device_ptrIxEEEEPS6_NSA_18transform_iteratorINSB_9not_fun_tINSA_8identityIxEEEESF_NSA_11use_defaultESM_EENS0_5tupleIJSF_S6_EEENSO_IJSG_SG_EEES6_PlJS6_EEE10hipError_tPvRmT3_T4_T5_T6_T7_T9_mT8_P12ihipStream_tbDpT10_ENKUlT_T0_E_clISt17integral_constantIbLb1EES1B_EEDaS16_S17_EUlS16_E_NS1_11comp_targetILNS1_3genE4ELNS1_11target_archE910ELNS1_3gpuE8ELNS1_3repE0EEENS1_30default_config_static_selectorELNS0_4arch9wavefront6targetE0EEEvT1_.has_dyn_sized_stack, 0
	.set _ZN7rocprim17ROCPRIM_400000_NS6detail17trampoline_kernelINS0_14default_configENS1_25partition_config_selectorILNS1_17partition_subalgoE5ExNS0_10empty_typeEbEEZZNS1_14partition_implILS5_5ELb0ES3_mN6thrust23THRUST_200600_302600_NS6detail15normal_iteratorINSA_10device_ptrIxEEEEPS6_NSA_18transform_iteratorINSB_9not_fun_tINSA_8identityIxEEEESF_NSA_11use_defaultESM_EENS0_5tupleIJSF_S6_EEENSO_IJSG_SG_EEES6_PlJS6_EEE10hipError_tPvRmT3_T4_T5_T6_T7_T9_mT8_P12ihipStream_tbDpT10_ENKUlT_T0_E_clISt17integral_constantIbLb1EES1B_EEDaS16_S17_EUlS16_E_NS1_11comp_targetILNS1_3genE4ELNS1_11target_archE910ELNS1_3gpuE8ELNS1_3repE0EEENS1_30default_config_static_selectorELNS0_4arch9wavefront6targetE0EEEvT1_.has_recursion, 0
	.set _ZN7rocprim17ROCPRIM_400000_NS6detail17trampoline_kernelINS0_14default_configENS1_25partition_config_selectorILNS1_17partition_subalgoE5ExNS0_10empty_typeEbEEZZNS1_14partition_implILS5_5ELb0ES3_mN6thrust23THRUST_200600_302600_NS6detail15normal_iteratorINSA_10device_ptrIxEEEEPS6_NSA_18transform_iteratorINSB_9not_fun_tINSA_8identityIxEEEESF_NSA_11use_defaultESM_EENS0_5tupleIJSF_S6_EEENSO_IJSG_SG_EEES6_PlJS6_EEE10hipError_tPvRmT3_T4_T5_T6_T7_T9_mT8_P12ihipStream_tbDpT10_ENKUlT_T0_E_clISt17integral_constantIbLb1EES1B_EEDaS16_S17_EUlS16_E_NS1_11comp_targetILNS1_3genE4ELNS1_11target_archE910ELNS1_3gpuE8ELNS1_3repE0EEENS1_30default_config_static_selectorELNS0_4arch9wavefront6targetE0EEEvT1_.has_indirect_call, 0
	.section	.AMDGPU.csdata,"",@progbits
; Kernel info:
; codeLenInByte = 0
; TotalNumSgprs: 0
; NumVgprs: 0
; ScratchSize: 0
; MemoryBound: 0
; FloatMode: 240
; IeeeMode: 1
; LDSByteSize: 0 bytes/workgroup (compile time only)
; SGPRBlocks: 0
; VGPRBlocks: 0
; NumSGPRsForWavesPerEU: 1
; NumVGPRsForWavesPerEU: 1
; Occupancy: 16
; WaveLimiterHint : 0
; COMPUTE_PGM_RSRC2:SCRATCH_EN: 0
; COMPUTE_PGM_RSRC2:USER_SGPR: 2
; COMPUTE_PGM_RSRC2:TRAP_HANDLER: 0
; COMPUTE_PGM_RSRC2:TGID_X_EN: 1
; COMPUTE_PGM_RSRC2:TGID_Y_EN: 0
; COMPUTE_PGM_RSRC2:TGID_Z_EN: 0
; COMPUTE_PGM_RSRC2:TIDIG_COMP_CNT: 0
	.section	.text._ZN7rocprim17ROCPRIM_400000_NS6detail17trampoline_kernelINS0_14default_configENS1_25partition_config_selectorILNS1_17partition_subalgoE5ExNS0_10empty_typeEbEEZZNS1_14partition_implILS5_5ELb0ES3_mN6thrust23THRUST_200600_302600_NS6detail15normal_iteratorINSA_10device_ptrIxEEEEPS6_NSA_18transform_iteratorINSB_9not_fun_tINSA_8identityIxEEEESF_NSA_11use_defaultESM_EENS0_5tupleIJSF_S6_EEENSO_IJSG_SG_EEES6_PlJS6_EEE10hipError_tPvRmT3_T4_T5_T6_T7_T9_mT8_P12ihipStream_tbDpT10_ENKUlT_T0_E_clISt17integral_constantIbLb1EES1B_EEDaS16_S17_EUlS16_E_NS1_11comp_targetILNS1_3genE3ELNS1_11target_archE908ELNS1_3gpuE7ELNS1_3repE0EEENS1_30default_config_static_selectorELNS0_4arch9wavefront6targetE0EEEvT1_,"axG",@progbits,_ZN7rocprim17ROCPRIM_400000_NS6detail17trampoline_kernelINS0_14default_configENS1_25partition_config_selectorILNS1_17partition_subalgoE5ExNS0_10empty_typeEbEEZZNS1_14partition_implILS5_5ELb0ES3_mN6thrust23THRUST_200600_302600_NS6detail15normal_iteratorINSA_10device_ptrIxEEEEPS6_NSA_18transform_iteratorINSB_9not_fun_tINSA_8identityIxEEEESF_NSA_11use_defaultESM_EENS0_5tupleIJSF_S6_EEENSO_IJSG_SG_EEES6_PlJS6_EEE10hipError_tPvRmT3_T4_T5_T6_T7_T9_mT8_P12ihipStream_tbDpT10_ENKUlT_T0_E_clISt17integral_constantIbLb1EES1B_EEDaS16_S17_EUlS16_E_NS1_11comp_targetILNS1_3genE3ELNS1_11target_archE908ELNS1_3gpuE7ELNS1_3repE0EEENS1_30default_config_static_selectorELNS0_4arch9wavefront6targetE0EEEvT1_,comdat
	.protected	_ZN7rocprim17ROCPRIM_400000_NS6detail17trampoline_kernelINS0_14default_configENS1_25partition_config_selectorILNS1_17partition_subalgoE5ExNS0_10empty_typeEbEEZZNS1_14partition_implILS5_5ELb0ES3_mN6thrust23THRUST_200600_302600_NS6detail15normal_iteratorINSA_10device_ptrIxEEEEPS6_NSA_18transform_iteratorINSB_9not_fun_tINSA_8identityIxEEEESF_NSA_11use_defaultESM_EENS0_5tupleIJSF_S6_EEENSO_IJSG_SG_EEES6_PlJS6_EEE10hipError_tPvRmT3_T4_T5_T6_T7_T9_mT8_P12ihipStream_tbDpT10_ENKUlT_T0_E_clISt17integral_constantIbLb1EES1B_EEDaS16_S17_EUlS16_E_NS1_11comp_targetILNS1_3genE3ELNS1_11target_archE908ELNS1_3gpuE7ELNS1_3repE0EEENS1_30default_config_static_selectorELNS0_4arch9wavefront6targetE0EEEvT1_ ; -- Begin function _ZN7rocprim17ROCPRIM_400000_NS6detail17trampoline_kernelINS0_14default_configENS1_25partition_config_selectorILNS1_17partition_subalgoE5ExNS0_10empty_typeEbEEZZNS1_14partition_implILS5_5ELb0ES3_mN6thrust23THRUST_200600_302600_NS6detail15normal_iteratorINSA_10device_ptrIxEEEEPS6_NSA_18transform_iteratorINSB_9not_fun_tINSA_8identityIxEEEESF_NSA_11use_defaultESM_EENS0_5tupleIJSF_S6_EEENSO_IJSG_SG_EEES6_PlJS6_EEE10hipError_tPvRmT3_T4_T5_T6_T7_T9_mT8_P12ihipStream_tbDpT10_ENKUlT_T0_E_clISt17integral_constantIbLb1EES1B_EEDaS16_S17_EUlS16_E_NS1_11comp_targetILNS1_3genE3ELNS1_11target_archE908ELNS1_3gpuE7ELNS1_3repE0EEENS1_30default_config_static_selectorELNS0_4arch9wavefront6targetE0EEEvT1_
	.globl	_ZN7rocprim17ROCPRIM_400000_NS6detail17trampoline_kernelINS0_14default_configENS1_25partition_config_selectorILNS1_17partition_subalgoE5ExNS0_10empty_typeEbEEZZNS1_14partition_implILS5_5ELb0ES3_mN6thrust23THRUST_200600_302600_NS6detail15normal_iteratorINSA_10device_ptrIxEEEEPS6_NSA_18transform_iteratorINSB_9not_fun_tINSA_8identityIxEEEESF_NSA_11use_defaultESM_EENS0_5tupleIJSF_S6_EEENSO_IJSG_SG_EEES6_PlJS6_EEE10hipError_tPvRmT3_T4_T5_T6_T7_T9_mT8_P12ihipStream_tbDpT10_ENKUlT_T0_E_clISt17integral_constantIbLb1EES1B_EEDaS16_S17_EUlS16_E_NS1_11comp_targetILNS1_3genE3ELNS1_11target_archE908ELNS1_3gpuE7ELNS1_3repE0EEENS1_30default_config_static_selectorELNS0_4arch9wavefront6targetE0EEEvT1_
	.p2align	8
	.type	_ZN7rocprim17ROCPRIM_400000_NS6detail17trampoline_kernelINS0_14default_configENS1_25partition_config_selectorILNS1_17partition_subalgoE5ExNS0_10empty_typeEbEEZZNS1_14partition_implILS5_5ELb0ES3_mN6thrust23THRUST_200600_302600_NS6detail15normal_iteratorINSA_10device_ptrIxEEEEPS6_NSA_18transform_iteratorINSB_9not_fun_tINSA_8identityIxEEEESF_NSA_11use_defaultESM_EENS0_5tupleIJSF_S6_EEENSO_IJSG_SG_EEES6_PlJS6_EEE10hipError_tPvRmT3_T4_T5_T6_T7_T9_mT8_P12ihipStream_tbDpT10_ENKUlT_T0_E_clISt17integral_constantIbLb1EES1B_EEDaS16_S17_EUlS16_E_NS1_11comp_targetILNS1_3genE3ELNS1_11target_archE908ELNS1_3gpuE7ELNS1_3repE0EEENS1_30default_config_static_selectorELNS0_4arch9wavefront6targetE0EEEvT1_,@function
_ZN7rocprim17ROCPRIM_400000_NS6detail17trampoline_kernelINS0_14default_configENS1_25partition_config_selectorILNS1_17partition_subalgoE5ExNS0_10empty_typeEbEEZZNS1_14partition_implILS5_5ELb0ES3_mN6thrust23THRUST_200600_302600_NS6detail15normal_iteratorINSA_10device_ptrIxEEEEPS6_NSA_18transform_iteratorINSB_9not_fun_tINSA_8identityIxEEEESF_NSA_11use_defaultESM_EENS0_5tupleIJSF_S6_EEENSO_IJSG_SG_EEES6_PlJS6_EEE10hipError_tPvRmT3_T4_T5_T6_T7_T9_mT8_P12ihipStream_tbDpT10_ENKUlT_T0_E_clISt17integral_constantIbLb1EES1B_EEDaS16_S17_EUlS16_E_NS1_11comp_targetILNS1_3genE3ELNS1_11target_archE908ELNS1_3gpuE7ELNS1_3repE0EEENS1_30default_config_static_selectorELNS0_4arch9wavefront6targetE0EEEvT1_: ; @_ZN7rocprim17ROCPRIM_400000_NS6detail17trampoline_kernelINS0_14default_configENS1_25partition_config_selectorILNS1_17partition_subalgoE5ExNS0_10empty_typeEbEEZZNS1_14partition_implILS5_5ELb0ES3_mN6thrust23THRUST_200600_302600_NS6detail15normal_iteratorINSA_10device_ptrIxEEEEPS6_NSA_18transform_iteratorINSB_9not_fun_tINSA_8identityIxEEEESF_NSA_11use_defaultESM_EENS0_5tupleIJSF_S6_EEENSO_IJSG_SG_EEES6_PlJS6_EEE10hipError_tPvRmT3_T4_T5_T6_T7_T9_mT8_P12ihipStream_tbDpT10_ENKUlT_T0_E_clISt17integral_constantIbLb1EES1B_EEDaS16_S17_EUlS16_E_NS1_11comp_targetILNS1_3genE3ELNS1_11target_archE908ELNS1_3gpuE7ELNS1_3repE0EEENS1_30default_config_static_selectorELNS0_4arch9wavefront6targetE0EEEvT1_
; %bb.0:
	.section	.rodata,"a",@progbits
	.p2align	6, 0x0
	.amdhsa_kernel _ZN7rocprim17ROCPRIM_400000_NS6detail17trampoline_kernelINS0_14default_configENS1_25partition_config_selectorILNS1_17partition_subalgoE5ExNS0_10empty_typeEbEEZZNS1_14partition_implILS5_5ELb0ES3_mN6thrust23THRUST_200600_302600_NS6detail15normal_iteratorINSA_10device_ptrIxEEEEPS6_NSA_18transform_iteratorINSB_9not_fun_tINSA_8identityIxEEEESF_NSA_11use_defaultESM_EENS0_5tupleIJSF_S6_EEENSO_IJSG_SG_EEES6_PlJS6_EEE10hipError_tPvRmT3_T4_T5_T6_T7_T9_mT8_P12ihipStream_tbDpT10_ENKUlT_T0_E_clISt17integral_constantIbLb1EES1B_EEDaS16_S17_EUlS16_E_NS1_11comp_targetILNS1_3genE3ELNS1_11target_archE908ELNS1_3gpuE7ELNS1_3repE0EEENS1_30default_config_static_selectorELNS0_4arch9wavefront6targetE0EEEvT1_
		.amdhsa_group_segment_fixed_size 0
		.amdhsa_private_segment_fixed_size 0
		.amdhsa_kernarg_size 136
		.amdhsa_user_sgpr_count 2
		.amdhsa_user_sgpr_dispatch_ptr 0
		.amdhsa_user_sgpr_queue_ptr 0
		.amdhsa_user_sgpr_kernarg_segment_ptr 1
		.amdhsa_user_sgpr_dispatch_id 0
		.amdhsa_user_sgpr_private_segment_size 0
		.amdhsa_wavefront_size32 1
		.amdhsa_uses_dynamic_stack 0
		.amdhsa_enable_private_segment 0
		.amdhsa_system_sgpr_workgroup_id_x 1
		.amdhsa_system_sgpr_workgroup_id_y 0
		.amdhsa_system_sgpr_workgroup_id_z 0
		.amdhsa_system_sgpr_workgroup_info 0
		.amdhsa_system_vgpr_workitem_id 0
		.amdhsa_next_free_vgpr 1
		.amdhsa_next_free_sgpr 1
		.amdhsa_reserve_vcc 0
		.amdhsa_float_round_mode_32 0
		.amdhsa_float_round_mode_16_64 0
		.amdhsa_float_denorm_mode_32 3
		.amdhsa_float_denorm_mode_16_64 3
		.amdhsa_fp16_overflow 0
		.amdhsa_workgroup_processor_mode 1
		.amdhsa_memory_ordered 1
		.amdhsa_forward_progress 1
		.amdhsa_inst_pref_size 0
		.amdhsa_round_robin_scheduling 0
		.amdhsa_exception_fp_ieee_invalid_op 0
		.amdhsa_exception_fp_denorm_src 0
		.amdhsa_exception_fp_ieee_div_zero 0
		.amdhsa_exception_fp_ieee_overflow 0
		.amdhsa_exception_fp_ieee_underflow 0
		.amdhsa_exception_fp_ieee_inexact 0
		.amdhsa_exception_int_div_zero 0
	.end_amdhsa_kernel
	.section	.text._ZN7rocprim17ROCPRIM_400000_NS6detail17trampoline_kernelINS0_14default_configENS1_25partition_config_selectorILNS1_17partition_subalgoE5ExNS0_10empty_typeEbEEZZNS1_14partition_implILS5_5ELb0ES3_mN6thrust23THRUST_200600_302600_NS6detail15normal_iteratorINSA_10device_ptrIxEEEEPS6_NSA_18transform_iteratorINSB_9not_fun_tINSA_8identityIxEEEESF_NSA_11use_defaultESM_EENS0_5tupleIJSF_S6_EEENSO_IJSG_SG_EEES6_PlJS6_EEE10hipError_tPvRmT3_T4_T5_T6_T7_T9_mT8_P12ihipStream_tbDpT10_ENKUlT_T0_E_clISt17integral_constantIbLb1EES1B_EEDaS16_S17_EUlS16_E_NS1_11comp_targetILNS1_3genE3ELNS1_11target_archE908ELNS1_3gpuE7ELNS1_3repE0EEENS1_30default_config_static_selectorELNS0_4arch9wavefront6targetE0EEEvT1_,"axG",@progbits,_ZN7rocprim17ROCPRIM_400000_NS6detail17trampoline_kernelINS0_14default_configENS1_25partition_config_selectorILNS1_17partition_subalgoE5ExNS0_10empty_typeEbEEZZNS1_14partition_implILS5_5ELb0ES3_mN6thrust23THRUST_200600_302600_NS6detail15normal_iteratorINSA_10device_ptrIxEEEEPS6_NSA_18transform_iteratorINSB_9not_fun_tINSA_8identityIxEEEESF_NSA_11use_defaultESM_EENS0_5tupleIJSF_S6_EEENSO_IJSG_SG_EEES6_PlJS6_EEE10hipError_tPvRmT3_T4_T5_T6_T7_T9_mT8_P12ihipStream_tbDpT10_ENKUlT_T0_E_clISt17integral_constantIbLb1EES1B_EEDaS16_S17_EUlS16_E_NS1_11comp_targetILNS1_3genE3ELNS1_11target_archE908ELNS1_3gpuE7ELNS1_3repE0EEENS1_30default_config_static_selectorELNS0_4arch9wavefront6targetE0EEEvT1_,comdat
.Lfunc_end960:
	.size	_ZN7rocprim17ROCPRIM_400000_NS6detail17trampoline_kernelINS0_14default_configENS1_25partition_config_selectorILNS1_17partition_subalgoE5ExNS0_10empty_typeEbEEZZNS1_14partition_implILS5_5ELb0ES3_mN6thrust23THRUST_200600_302600_NS6detail15normal_iteratorINSA_10device_ptrIxEEEEPS6_NSA_18transform_iteratorINSB_9not_fun_tINSA_8identityIxEEEESF_NSA_11use_defaultESM_EENS0_5tupleIJSF_S6_EEENSO_IJSG_SG_EEES6_PlJS6_EEE10hipError_tPvRmT3_T4_T5_T6_T7_T9_mT8_P12ihipStream_tbDpT10_ENKUlT_T0_E_clISt17integral_constantIbLb1EES1B_EEDaS16_S17_EUlS16_E_NS1_11comp_targetILNS1_3genE3ELNS1_11target_archE908ELNS1_3gpuE7ELNS1_3repE0EEENS1_30default_config_static_selectorELNS0_4arch9wavefront6targetE0EEEvT1_, .Lfunc_end960-_ZN7rocprim17ROCPRIM_400000_NS6detail17trampoline_kernelINS0_14default_configENS1_25partition_config_selectorILNS1_17partition_subalgoE5ExNS0_10empty_typeEbEEZZNS1_14partition_implILS5_5ELb0ES3_mN6thrust23THRUST_200600_302600_NS6detail15normal_iteratorINSA_10device_ptrIxEEEEPS6_NSA_18transform_iteratorINSB_9not_fun_tINSA_8identityIxEEEESF_NSA_11use_defaultESM_EENS0_5tupleIJSF_S6_EEENSO_IJSG_SG_EEES6_PlJS6_EEE10hipError_tPvRmT3_T4_T5_T6_T7_T9_mT8_P12ihipStream_tbDpT10_ENKUlT_T0_E_clISt17integral_constantIbLb1EES1B_EEDaS16_S17_EUlS16_E_NS1_11comp_targetILNS1_3genE3ELNS1_11target_archE908ELNS1_3gpuE7ELNS1_3repE0EEENS1_30default_config_static_selectorELNS0_4arch9wavefront6targetE0EEEvT1_
                                        ; -- End function
	.set _ZN7rocprim17ROCPRIM_400000_NS6detail17trampoline_kernelINS0_14default_configENS1_25partition_config_selectorILNS1_17partition_subalgoE5ExNS0_10empty_typeEbEEZZNS1_14partition_implILS5_5ELb0ES3_mN6thrust23THRUST_200600_302600_NS6detail15normal_iteratorINSA_10device_ptrIxEEEEPS6_NSA_18transform_iteratorINSB_9not_fun_tINSA_8identityIxEEEESF_NSA_11use_defaultESM_EENS0_5tupleIJSF_S6_EEENSO_IJSG_SG_EEES6_PlJS6_EEE10hipError_tPvRmT3_T4_T5_T6_T7_T9_mT8_P12ihipStream_tbDpT10_ENKUlT_T0_E_clISt17integral_constantIbLb1EES1B_EEDaS16_S17_EUlS16_E_NS1_11comp_targetILNS1_3genE3ELNS1_11target_archE908ELNS1_3gpuE7ELNS1_3repE0EEENS1_30default_config_static_selectorELNS0_4arch9wavefront6targetE0EEEvT1_.num_vgpr, 0
	.set _ZN7rocprim17ROCPRIM_400000_NS6detail17trampoline_kernelINS0_14default_configENS1_25partition_config_selectorILNS1_17partition_subalgoE5ExNS0_10empty_typeEbEEZZNS1_14partition_implILS5_5ELb0ES3_mN6thrust23THRUST_200600_302600_NS6detail15normal_iteratorINSA_10device_ptrIxEEEEPS6_NSA_18transform_iteratorINSB_9not_fun_tINSA_8identityIxEEEESF_NSA_11use_defaultESM_EENS0_5tupleIJSF_S6_EEENSO_IJSG_SG_EEES6_PlJS6_EEE10hipError_tPvRmT3_T4_T5_T6_T7_T9_mT8_P12ihipStream_tbDpT10_ENKUlT_T0_E_clISt17integral_constantIbLb1EES1B_EEDaS16_S17_EUlS16_E_NS1_11comp_targetILNS1_3genE3ELNS1_11target_archE908ELNS1_3gpuE7ELNS1_3repE0EEENS1_30default_config_static_selectorELNS0_4arch9wavefront6targetE0EEEvT1_.num_agpr, 0
	.set _ZN7rocprim17ROCPRIM_400000_NS6detail17trampoline_kernelINS0_14default_configENS1_25partition_config_selectorILNS1_17partition_subalgoE5ExNS0_10empty_typeEbEEZZNS1_14partition_implILS5_5ELb0ES3_mN6thrust23THRUST_200600_302600_NS6detail15normal_iteratorINSA_10device_ptrIxEEEEPS6_NSA_18transform_iteratorINSB_9not_fun_tINSA_8identityIxEEEESF_NSA_11use_defaultESM_EENS0_5tupleIJSF_S6_EEENSO_IJSG_SG_EEES6_PlJS6_EEE10hipError_tPvRmT3_T4_T5_T6_T7_T9_mT8_P12ihipStream_tbDpT10_ENKUlT_T0_E_clISt17integral_constantIbLb1EES1B_EEDaS16_S17_EUlS16_E_NS1_11comp_targetILNS1_3genE3ELNS1_11target_archE908ELNS1_3gpuE7ELNS1_3repE0EEENS1_30default_config_static_selectorELNS0_4arch9wavefront6targetE0EEEvT1_.numbered_sgpr, 0
	.set _ZN7rocprim17ROCPRIM_400000_NS6detail17trampoline_kernelINS0_14default_configENS1_25partition_config_selectorILNS1_17partition_subalgoE5ExNS0_10empty_typeEbEEZZNS1_14partition_implILS5_5ELb0ES3_mN6thrust23THRUST_200600_302600_NS6detail15normal_iteratorINSA_10device_ptrIxEEEEPS6_NSA_18transform_iteratorINSB_9not_fun_tINSA_8identityIxEEEESF_NSA_11use_defaultESM_EENS0_5tupleIJSF_S6_EEENSO_IJSG_SG_EEES6_PlJS6_EEE10hipError_tPvRmT3_T4_T5_T6_T7_T9_mT8_P12ihipStream_tbDpT10_ENKUlT_T0_E_clISt17integral_constantIbLb1EES1B_EEDaS16_S17_EUlS16_E_NS1_11comp_targetILNS1_3genE3ELNS1_11target_archE908ELNS1_3gpuE7ELNS1_3repE0EEENS1_30default_config_static_selectorELNS0_4arch9wavefront6targetE0EEEvT1_.num_named_barrier, 0
	.set _ZN7rocprim17ROCPRIM_400000_NS6detail17trampoline_kernelINS0_14default_configENS1_25partition_config_selectorILNS1_17partition_subalgoE5ExNS0_10empty_typeEbEEZZNS1_14partition_implILS5_5ELb0ES3_mN6thrust23THRUST_200600_302600_NS6detail15normal_iteratorINSA_10device_ptrIxEEEEPS6_NSA_18transform_iteratorINSB_9not_fun_tINSA_8identityIxEEEESF_NSA_11use_defaultESM_EENS0_5tupleIJSF_S6_EEENSO_IJSG_SG_EEES6_PlJS6_EEE10hipError_tPvRmT3_T4_T5_T6_T7_T9_mT8_P12ihipStream_tbDpT10_ENKUlT_T0_E_clISt17integral_constantIbLb1EES1B_EEDaS16_S17_EUlS16_E_NS1_11comp_targetILNS1_3genE3ELNS1_11target_archE908ELNS1_3gpuE7ELNS1_3repE0EEENS1_30default_config_static_selectorELNS0_4arch9wavefront6targetE0EEEvT1_.private_seg_size, 0
	.set _ZN7rocprim17ROCPRIM_400000_NS6detail17trampoline_kernelINS0_14default_configENS1_25partition_config_selectorILNS1_17partition_subalgoE5ExNS0_10empty_typeEbEEZZNS1_14partition_implILS5_5ELb0ES3_mN6thrust23THRUST_200600_302600_NS6detail15normal_iteratorINSA_10device_ptrIxEEEEPS6_NSA_18transform_iteratorINSB_9not_fun_tINSA_8identityIxEEEESF_NSA_11use_defaultESM_EENS0_5tupleIJSF_S6_EEENSO_IJSG_SG_EEES6_PlJS6_EEE10hipError_tPvRmT3_T4_T5_T6_T7_T9_mT8_P12ihipStream_tbDpT10_ENKUlT_T0_E_clISt17integral_constantIbLb1EES1B_EEDaS16_S17_EUlS16_E_NS1_11comp_targetILNS1_3genE3ELNS1_11target_archE908ELNS1_3gpuE7ELNS1_3repE0EEENS1_30default_config_static_selectorELNS0_4arch9wavefront6targetE0EEEvT1_.uses_vcc, 0
	.set _ZN7rocprim17ROCPRIM_400000_NS6detail17trampoline_kernelINS0_14default_configENS1_25partition_config_selectorILNS1_17partition_subalgoE5ExNS0_10empty_typeEbEEZZNS1_14partition_implILS5_5ELb0ES3_mN6thrust23THRUST_200600_302600_NS6detail15normal_iteratorINSA_10device_ptrIxEEEEPS6_NSA_18transform_iteratorINSB_9not_fun_tINSA_8identityIxEEEESF_NSA_11use_defaultESM_EENS0_5tupleIJSF_S6_EEENSO_IJSG_SG_EEES6_PlJS6_EEE10hipError_tPvRmT3_T4_T5_T6_T7_T9_mT8_P12ihipStream_tbDpT10_ENKUlT_T0_E_clISt17integral_constantIbLb1EES1B_EEDaS16_S17_EUlS16_E_NS1_11comp_targetILNS1_3genE3ELNS1_11target_archE908ELNS1_3gpuE7ELNS1_3repE0EEENS1_30default_config_static_selectorELNS0_4arch9wavefront6targetE0EEEvT1_.uses_flat_scratch, 0
	.set _ZN7rocprim17ROCPRIM_400000_NS6detail17trampoline_kernelINS0_14default_configENS1_25partition_config_selectorILNS1_17partition_subalgoE5ExNS0_10empty_typeEbEEZZNS1_14partition_implILS5_5ELb0ES3_mN6thrust23THRUST_200600_302600_NS6detail15normal_iteratorINSA_10device_ptrIxEEEEPS6_NSA_18transform_iteratorINSB_9not_fun_tINSA_8identityIxEEEESF_NSA_11use_defaultESM_EENS0_5tupleIJSF_S6_EEENSO_IJSG_SG_EEES6_PlJS6_EEE10hipError_tPvRmT3_T4_T5_T6_T7_T9_mT8_P12ihipStream_tbDpT10_ENKUlT_T0_E_clISt17integral_constantIbLb1EES1B_EEDaS16_S17_EUlS16_E_NS1_11comp_targetILNS1_3genE3ELNS1_11target_archE908ELNS1_3gpuE7ELNS1_3repE0EEENS1_30default_config_static_selectorELNS0_4arch9wavefront6targetE0EEEvT1_.has_dyn_sized_stack, 0
	.set _ZN7rocprim17ROCPRIM_400000_NS6detail17trampoline_kernelINS0_14default_configENS1_25partition_config_selectorILNS1_17partition_subalgoE5ExNS0_10empty_typeEbEEZZNS1_14partition_implILS5_5ELb0ES3_mN6thrust23THRUST_200600_302600_NS6detail15normal_iteratorINSA_10device_ptrIxEEEEPS6_NSA_18transform_iteratorINSB_9not_fun_tINSA_8identityIxEEEESF_NSA_11use_defaultESM_EENS0_5tupleIJSF_S6_EEENSO_IJSG_SG_EEES6_PlJS6_EEE10hipError_tPvRmT3_T4_T5_T6_T7_T9_mT8_P12ihipStream_tbDpT10_ENKUlT_T0_E_clISt17integral_constantIbLb1EES1B_EEDaS16_S17_EUlS16_E_NS1_11comp_targetILNS1_3genE3ELNS1_11target_archE908ELNS1_3gpuE7ELNS1_3repE0EEENS1_30default_config_static_selectorELNS0_4arch9wavefront6targetE0EEEvT1_.has_recursion, 0
	.set _ZN7rocprim17ROCPRIM_400000_NS6detail17trampoline_kernelINS0_14default_configENS1_25partition_config_selectorILNS1_17partition_subalgoE5ExNS0_10empty_typeEbEEZZNS1_14partition_implILS5_5ELb0ES3_mN6thrust23THRUST_200600_302600_NS6detail15normal_iteratorINSA_10device_ptrIxEEEEPS6_NSA_18transform_iteratorINSB_9not_fun_tINSA_8identityIxEEEESF_NSA_11use_defaultESM_EENS0_5tupleIJSF_S6_EEENSO_IJSG_SG_EEES6_PlJS6_EEE10hipError_tPvRmT3_T4_T5_T6_T7_T9_mT8_P12ihipStream_tbDpT10_ENKUlT_T0_E_clISt17integral_constantIbLb1EES1B_EEDaS16_S17_EUlS16_E_NS1_11comp_targetILNS1_3genE3ELNS1_11target_archE908ELNS1_3gpuE7ELNS1_3repE0EEENS1_30default_config_static_selectorELNS0_4arch9wavefront6targetE0EEEvT1_.has_indirect_call, 0
	.section	.AMDGPU.csdata,"",@progbits
; Kernel info:
; codeLenInByte = 0
; TotalNumSgprs: 0
; NumVgprs: 0
; ScratchSize: 0
; MemoryBound: 0
; FloatMode: 240
; IeeeMode: 1
; LDSByteSize: 0 bytes/workgroup (compile time only)
; SGPRBlocks: 0
; VGPRBlocks: 0
; NumSGPRsForWavesPerEU: 1
; NumVGPRsForWavesPerEU: 1
; Occupancy: 16
; WaveLimiterHint : 0
; COMPUTE_PGM_RSRC2:SCRATCH_EN: 0
; COMPUTE_PGM_RSRC2:USER_SGPR: 2
; COMPUTE_PGM_RSRC2:TRAP_HANDLER: 0
; COMPUTE_PGM_RSRC2:TGID_X_EN: 1
; COMPUTE_PGM_RSRC2:TGID_Y_EN: 0
; COMPUTE_PGM_RSRC2:TGID_Z_EN: 0
; COMPUTE_PGM_RSRC2:TIDIG_COMP_CNT: 0
	.section	.text._ZN7rocprim17ROCPRIM_400000_NS6detail17trampoline_kernelINS0_14default_configENS1_25partition_config_selectorILNS1_17partition_subalgoE5ExNS0_10empty_typeEbEEZZNS1_14partition_implILS5_5ELb0ES3_mN6thrust23THRUST_200600_302600_NS6detail15normal_iteratorINSA_10device_ptrIxEEEEPS6_NSA_18transform_iteratorINSB_9not_fun_tINSA_8identityIxEEEESF_NSA_11use_defaultESM_EENS0_5tupleIJSF_S6_EEENSO_IJSG_SG_EEES6_PlJS6_EEE10hipError_tPvRmT3_T4_T5_T6_T7_T9_mT8_P12ihipStream_tbDpT10_ENKUlT_T0_E_clISt17integral_constantIbLb1EES1B_EEDaS16_S17_EUlS16_E_NS1_11comp_targetILNS1_3genE2ELNS1_11target_archE906ELNS1_3gpuE6ELNS1_3repE0EEENS1_30default_config_static_selectorELNS0_4arch9wavefront6targetE0EEEvT1_,"axG",@progbits,_ZN7rocprim17ROCPRIM_400000_NS6detail17trampoline_kernelINS0_14default_configENS1_25partition_config_selectorILNS1_17partition_subalgoE5ExNS0_10empty_typeEbEEZZNS1_14partition_implILS5_5ELb0ES3_mN6thrust23THRUST_200600_302600_NS6detail15normal_iteratorINSA_10device_ptrIxEEEEPS6_NSA_18transform_iteratorINSB_9not_fun_tINSA_8identityIxEEEESF_NSA_11use_defaultESM_EENS0_5tupleIJSF_S6_EEENSO_IJSG_SG_EEES6_PlJS6_EEE10hipError_tPvRmT3_T4_T5_T6_T7_T9_mT8_P12ihipStream_tbDpT10_ENKUlT_T0_E_clISt17integral_constantIbLb1EES1B_EEDaS16_S17_EUlS16_E_NS1_11comp_targetILNS1_3genE2ELNS1_11target_archE906ELNS1_3gpuE6ELNS1_3repE0EEENS1_30default_config_static_selectorELNS0_4arch9wavefront6targetE0EEEvT1_,comdat
	.protected	_ZN7rocprim17ROCPRIM_400000_NS6detail17trampoline_kernelINS0_14default_configENS1_25partition_config_selectorILNS1_17partition_subalgoE5ExNS0_10empty_typeEbEEZZNS1_14partition_implILS5_5ELb0ES3_mN6thrust23THRUST_200600_302600_NS6detail15normal_iteratorINSA_10device_ptrIxEEEEPS6_NSA_18transform_iteratorINSB_9not_fun_tINSA_8identityIxEEEESF_NSA_11use_defaultESM_EENS0_5tupleIJSF_S6_EEENSO_IJSG_SG_EEES6_PlJS6_EEE10hipError_tPvRmT3_T4_T5_T6_T7_T9_mT8_P12ihipStream_tbDpT10_ENKUlT_T0_E_clISt17integral_constantIbLb1EES1B_EEDaS16_S17_EUlS16_E_NS1_11comp_targetILNS1_3genE2ELNS1_11target_archE906ELNS1_3gpuE6ELNS1_3repE0EEENS1_30default_config_static_selectorELNS0_4arch9wavefront6targetE0EEEvT1_ ; -- Begin function _ZN7rocprim17ROCPRIM_400000_NS6detail17trampoline_kernelINS0_14default_configENS1_25partition_config_selectorILNS1_17partition_subalgoE5ExNS0_10empty_typeEbEEZZNS1_14partition_implILS5_5ELb0ES3_mN6thrust23THRUST_200600_302600_NS6detail15normal_iteratorINSA_10device_ptrIxEEEEPS6_NSA_18transform_iteratorINSB_9not_fun_tINSA_8identityIxEEEESF_NSA_11use_defaultESM_EENS0_5tupleIJSF_S6_EEENSO_IJSG_SG_EEES6_PlJS6_EEE10hipError_tPvRmT3_T4_T5_T6_T7_T9_mT8_P12ihipStream_tbDpT10_ENKUlT_T0_E_clISt17integral_constantIbLb1EES1B_EEDaS16_S17_EUlS16_E_NS1_11comp_targetILNS1_3genE2ELNS1_11target_archE906ELNS1_3gpuE6ELNS1_3repE0EEENS1_30default_config_static_selectorELNS0_4arch9wavefront6targetE0EEEvT1_
	.globl	_ZN7rocprim17ROCPRIM_400000_NS6detail17trampoline_kernelINS0_14default_configENS1_25partition_config_selectorILNS1_17partition_subalgoE5ExNS0_10empty_typeEbEEZZNS1_14partition_implILS5_5ELb0ES3_mN6thrust23THRUST_200600_302600_NS6detail15normal_iteratorINSA_10device_ptrIxEEEEPS6_NSA_18transform_iteratorINSB_9not_fun_tINSA_8identityIxEEEESF_NSA_11use_defaultESM_EENS0_5tupleIJSF_S6_EEENSO_IJSG_SG_EEES6_PlJS6_EEE10hipError_tPvRmT3_T4_T5_T6_T7_T9_mT8_P12ihipStream_tbDpT10_ENKUlT_T0_E_clISt17integral_constantIbLb1EES1B_EEDaS16_S17_EUlS16_E_NS1_11comp_targetILNS1_3genE2ELNS1_11target_archE906ELNS1_3gpuE6ELNS1_3repE0EEENS1_30default_config_static_selectorELNS0_4arch9wavefront6targetE0EEEvT1_
	.p2align	8
	.type	_ZN7rocprim17ROCPRIM_400000_NS6detail17trampoline_kernelINS0_14default_configENS1_25partition_config_selectorILNS1_17partition_subalgoE5ExNS0_10empty_typeEbEEZZNS1_14partition_implILS5_5ELb0ES3_mN6thrust23THRUST_200600_302600_NS6detail15normal_iteratorINSA_10device_ptrIxEEEEPS6_NSA_18transform_iteratorINSB_9not_fun_tINSA_8identityIxEEEESF_NSA_11use_defaultESM_EENS0_5tupleIJSF_S6_EEENSO_IJSG_SG_EEES6_PlJS6_EEE10hipError_tPvRmT3_T4_T5_T6_T7_T9_mT8_P12ihipStream_tbDpT10_ENKUlT_T0_E_clISt17integral_constantIbLb1EES1B_EEDaS16_S17_EUlS16_E_NS1_11comp_targetILNS1_3genE2ELNS1_11target_archE906ELNS1_3gpuE6ELNS1_3repE0EEENS1_30default_config_static_selectorELNS0_4arch9wavefront6targetE0EEEvT1_,@function
_ZN7rocprim17ROCPRIM_400000_NS6detail17trampoline_kernelINS0_14default_configENS1_25partition_config_selectorILNS1_17partition_subalgoE5ExNS0_10empty_typeEbEEZZNS1_14partition_implILS5_5ELb0ES3_mN6thrust23THRUST_200600_302600_NS6detail15normal_iteratorINSA_10device_ptrIxEEEEPS6_NSA_18transform_iteratorINSB_9not_fun_tINSA_8identityIxEEEESF_NSA_11use_defaultESM_EENS0_5tupleIJSF_S6_EEENSO_IJSG_SG_EEES6_PlJS6_EEE10hipError_tPvRmT3_T4_T5_T6_T7_T9_mT8_P12ihipStream_tbDpT10_ENKUlT_T0_E_clISt17integral_constantIbLb1EES1B_EEDaS16_S17_EUlS16_E_NS1_11comp_targetILNS1_3genE2ELNS1_11target_archE906ELNS1_3gpuE6ELNS1_3repE0EEENS1_30default_config_static_selectorELNS0_4arch9wavefront6targetE0EEEvT1_: ; @_ZN7rocprim17ROCPRIM_400000_NS6detail17trampoline_kernelINS0_14default_configENS1_25partition_config_selectorILNS1_17partition_subalgoE5ExNS0_10empty_typeEbEEZZNS1_14partition_implILS5_5ELb0ES3_mN6thrust23THRUST_200600_302600_NS6detail15normal_iteratorINSA_10device_ptrIxEEEEPS6_NSA_18transform_iteratorINSB_9not_fun_tINSA_8identityIxEEEESF_NSA_11use_defaultESM_EENS0_5tupleIJSF_S6_EEENSO_IJSG_SG_EEES6_PlJS6_EEE10hipError_tPvRmT3_T4_T5_T6_T7_T9_mT8_P12ihipStream_tbDpT10_ENKUlT_T0_E_clISt17integral_constantIbLb1EES1B_EEDaS16_S17_EUlS16_E_NS1_11comp_targetILNS1_3genE2ELNS1_11target_archE906ELNS1_3gpuE6ELNS1_3repE0EEENS1_30default_config_static_selectorELNS0_4arch9wavefront6targetE0EEEvT1_
; %bb.0:
	.section	.rodata,"a",@progbits
	.p2align	6, 0x0
	.amdhsa_kernel _ZN7rocprim17ROCPRIM_400000_NS6detail17trampoline_kernelINS0_14default_configENS1_25partition_config_selectorILNS1_17partition_subalgoE5ExNS0_10empty_typeEbEEZZNS1_14partition_implILS5_5ELb0ES3_mN6thrust23THRUST_200600_302600_NS6detail15normal_iteratorINSA_10device_ptrIxEEEEPS6_NSA_18transform_iteratorINSB_9not_fun_tINSA_8identityIxEEEESF_NSA_11use_defaultESM_EENS0_5tupleIJSF_S6_EEENSO_IJSG_SG_EEES6_PlJS6_EEE10hipError_tPvRmT3_T4_T5_T6_T7_T9_mT8_P12ihipStream_tbDpT10_ENKUlT_T0_E_clISt17integral_constantIbLb1EES1B_EEDaS16_S17_EUlS16_E_NS1_11comp_targetILNS1_3genE2ELNS1_11target_archE906ELNS1_3gpuE6ELNS1_3repE0EEENS1_30default_config_static_selectorELNS0_4arch9wavefront6targetE0EEEvT1_
		.amdhsa_group_segment_fixed_size 0
		.amdhsa_private_segment_fixed_size 0
		.amdhsa_kernarg_size 136
		.amdhsa_user_sgpr_count 2
		.amdhsa_user_sgpr_dispatch_ptr 0
		.amdhsa_user_sgpr_queue_ptr 0
		.amdhsa_user_sgpr_kernarg_segment_ptr 1
		.amdhsa_user_sgpr_dispatch_id 0
		.amdhsa_user_sgpr_private_segment_size 0
		.amdhsa_wavefront_size32 1
		.amdhsa_uses_dynamic_stack 0
		.amdhsa_enable_private_segment 0
		.amdhsa_system_sgpr_workgroup_id_x 1
		.amdhsa_system_sgpr_workgroup_id_y 0
		.amdhsa_system_sgpr_workgroup_id_z 0
		.amdhsa_system_sgpr_workgroup_info 0
		.amdhsa_system_vgpr_workitem_id 0
		.amdhsa_next_free_vgpr 1
		.amdhsa_next_free_sgpr 1
		.amdhsa_reserve_vcc 0
		.amdhsa_float_round_mode_32 0
		.amdhsa_float_round_mode_16_64 0
		.amdhsa_float_denorm_mode_32 3
		.amdhsa_float_denorm_mode_16_64 3
		.amdhsa_fp16_overflow 0
		.amdhsa_workgroup_processor_mode 1
		.amdhsa_memory_ordered 1
		.amdhsa_forward_progress 1
		.amdhsa_inst_pref_size 0
		.amdhsa_round_robin_scheduling 0
		.amdhsa_exception_fp_ieee_invalid_op 0
		.amdhsa_exception_fp_denorm_src 0
		.amdhsa_exception_fp_ieee_div_zero 0
		.amdhsa_exception_fp_ieee_overflow 0
		.amdhsa_exception_fp_ieee_underflow 0
		.amdhsa_exception_fp_ieee_inexact 0
		.amdhsa_exception_int_div_zero 0
	.end_amdhsa_kernel
	.section	.text._ZN7rocprim17ROCPRIM_400000_NS6detail17trampoline_kernelINS0_14default_configENS1_25partition_config_selectorILNS1_17partition_subalgoE5ExNS0_10empty_typeEbEEZZNS1_14partition_implILS5_5ELb0ES3_mN6thrust23THRUST_200600_302600_NS6detail15normal_iteratorINSA_10device_ptrIxEEEEPS6_NSA_18transform_iteratorINSB_9not_fun_tINSA_8identityIxEEEESF_NSA_11use_defaultESM_EENS0_5tupleIJSF_S6_EEENSO_IJSG_SG_EEES6_PlJS6_EEE10hipError_tPvRmT3_T4_T5_T6_T7_T9_mT8_P12ihipStream_tbDpT10_ENKUlT_T0_E_clISt17integral_constantIbLb1EES1B_EEDaS16_S17_EUlS16_E_NS1_11comp_targetILNS1_3genE2ELNS1_11target_archE906ELNS1_3gpuE6ELNS1_3repE0EEENS1_30default_config_static_selectorELNS0_4arch9wavefront6targetE0EEEvT1_,"axG",@progbits,_ZN7rocprim17ROCPRIM_400000_NS6detail17trampoline_kernelINS0_14default_configENS1_25partition_config_selectorILNS1_17partition_subalgoE5ExNS0_10empty_typeEbEEZZNS1_14partition_implILS5_5ELb0ES3_mN6thrust23THRUST_200600_302600_NS6detail15normal_iteratorINSA_10device_ptrIxEEEEPS6_NSA_18transform_iteratorINSB_9not_fun_tINSA_8identityIxEEEESF_NSA_11use_defaultESM_EENS0_5tupleIJSF_S6_EEENSO_IJSG_SG_EEES6_PlJS6_EEE10hipError_tPvRmT3_T4_T5_T6_T7_T9_mT8_P12ihipStream_tbDpT10_ENKUlT_T0_E_clISt17integral_constantIbLb1EES1B_EEDaS16_S17_EUlS16_E_NS1_11comp_targetILNS1_3genE2ELNS1_11target_archE906ELNS1_3gpuE6ELNS1_3repE0EEENS1_30default_config_static_selectorELNS0_4arch9wavefront6targetE0EEEvT1_,comdat
.Lfunc_end961:
	.size	_ZN7rocprim17ROCPRIM_400000_NS6detail17trampoline_kernelINS0_14default_configENS1_25partition_config_selectorILNS1_17partition_subalgoE5ExNS0_10empty_typeEbEEZZNS1_14partition_implILS5_5ELb0ES3_mN6thrust23THRUST_200600_302600_NS6detail15normal_iteratorINSA_10device_ptrIxEEEEPS6_NSA_18transform_iteratorINSB_9not_fun_tINSA_8identityIxEEEESF_NSA_11use_defaultESM_EENS0_5tupleIJSF_S6_EEENSO_IJSG_SG_EEES6_PlJS6_EEE10hipError_tPvRmT3_T4_T5_T6_T7_T9_mT8_P12ihipStream_tbDpT10_ENKUlT_T0_E_clISt17integral_constantIbLb1EES1B_EEDaS16_S17_EUlS16_E_NS1_11comp_targetILNS1_3genE2ELNS1_11target_archE906ELNS1_3gpuE6ELNS1_3repE0EEENS1_30default_config_static_selectorELNS0_4arch9wavefront6targetE0EEEvT1_, .Lfunc_end961-_ZN7rocprim17ROCPRIM_400000_NS6detail17trampoline_kernelINS0_14default_configENS1_25partition_config_selectorILNS1_17partition_subalgoE5ExNS0_10empty_typeEbEEZZNS1_14partition_implILS5_5ELb0ES3_mN6thrust23THRUST_200600_302600_NS6detail15normal_iteratorINSA_10device_ptrIxEEEEPS6_NSA_18transform_iteratorINSB_9not_fun_tINSA_8identityIxEEEESF_NSA_11use_defaultESM_EENS0_5tupleIJSF_S6_EEENSO_IJSG_SG_EEES6_PlJS6_EEE10hipError_tPvRmT3_T4_T5_T6_T7_T9_mT8_P12ihipStream_tbDpT10_ENKUlT_T0_E_clISt17integral_constantIbLb1EES1B_EEDaS16_S17_EUlS16_E_NS1_11comp_targetILNS1_3genE2ELNS1_11target_archE906ELNS1_3gpuE6ELNS1_3repE0EEENS1_30default_config_static_selectorELNS0_4arch9wavefront6targetE0EEEvT1_
                                        ; -- End function
	.set _ZN7rocprim17ROCPRIM_400000_NS6detail17trampoline_kernelINS0_14default_configENS1_25partition_config_selectorILNS1_17partition_subalgoE5ExNS0_10empty_typeEbEEZZNS1_14partition_implILS5_5ELb0ES3_mN6thrust23THRUST_200600_302600_NS6detail15normal_iteratorINSA_10device_ptrIxEEEEPS6_NSA_18transform_iteratorINSB_9not_fun_tINSA_8identityIxEEEESF_NSA_11use_defaultESM_EENS0_5tupleIJSF_S6_EEENSO_IJSG_SG_EEES6_PlJS6_EEE10hipError_tPvRmT3_T4_T5_T6_T7_T9_mT8_P12ihipStream_tbDpT10_ENKUlT_T0_E_clISt17integral_constantIbLb1EES1B_EEDaS16_S17_EUlS16_E_NS1_11comp_targetILNS1_3genE2ELNS1_11target_archE906ELNS1_3gpuE6ELNS1_3repE0EEENS1_30default_config_static_selectorELNS0_4arch9wavefront6targetE0EEEvT1_.num_vgpr, 0
	.set _ZN7rocprim17ROCPRIM_400000_NS6detail17trampoline_kernelINS0_14default_configENS1_25partition_config_selectorILNS1_17partition_subalgoE5ExNS0_10empty_typeEbEEZZNS1_14partition_implILS5_5ELb0ES3_mN6thrust23THRUST_200600_302600_NS6detail15normal_iteratorINSA_10device_ptrIxEEEEPS6_NSA_18transform_iteratorINSB_9not_fun_tINSA_8identityIxEEEESF_NSA_11use_defaultESM_EENS0_5tupleIJSF_S6_EEENSO_IJSG_SG_EEES6_PlJS6_EEE10hipError_tPvRmT3_T4_T5_T6_T7_T9_mT8_P12ihipStream_tbDpT10_ENKUlT_T0_E_clISt17integral_constantIbLb1EES1B_EEDaS16_S17_EUlS16_E_NS1_11comp_targetILNS1_3genE2ELNS1_11target_archE906ELNS1_3gpuE6ELNS1_3repE0EEENS1_30default_config_static_selectorELNS0_4arch9wavefront6targetE0EEEvT1_.num_agpr, 0
	.set _ZN7rocprim17ROCPRIM_400000_NS6detail17trampoline_kernelINS0_14default_configENS1_25partition_config_selectorILNS1_17partition_subalgoE5ExNS0_10empty_typeEbEEZZNS1_14partition_implILS5_5ELb0ES3_mN6thrust23THRUST_200600_302600_NS6detail15normal_iteratorINSA_10device_ptrIxEEEEPS6_NSA_18transform_iteratorINSB_9not_fun_tINSA_8identityIxEEEESF_NSA_11use_defaultESM_EENS0_5tupleIJSF_S6_EEENSO_IJSG_SG_EEES6_PlJS6_EEE10hipError_tPvRmT3_T4_T5_T6_T7_T9_mT8_P12ihipStream_tbDpT10_ENKUlT_T0_E_clISt17integral_constantIbLb1EES1B_EEDaS16_S17_EUlS16_E_NS1_11comp_targetILNS1_3genE2ELNS1_11target_archE906ELNS1_3gpuE6ELNS1_3repE0EEENS1_30default_config_static_selectorELNS0_4arch9wavefront6targetE0EEEvT1_.numbered_sgpr, 0
	.set _ZN7rocprim17ROCPRIM_400000_NS6detail17trampoline_kernelINS0_14default_configENS1_25partition_config_selectorILNS1_17partition_subalgoE5ExNS0_10empty_typeEbEEZZNS1_14partition_implILS5_5ELb0ES3_mN6thrust23THRUST_200600_302600_NS6detail15normal_iteratorINSA_10device_ptrIxEEEEPS6_NSA_18transform_iteratorINSB_9not_fun_tINSA_8identityIxEEEESF_NSA_11use_defaultESM_EENS0_5tupleIJSF_S6_EEENSO_IJSG_SG_EEES6_PlJS6_EEE10hipError_tPvRmT3_T4_T5_T6_T7_T9_mT8_P12ihipStream_tbDpT10_ENKUlT_T0_E_clISt17integral_constantIbLb1EES1B_EEDaS16_S17_EUlS16_E_NS1_11comp_targetILNS1_3genE2ELNS1_11target_archE906ELNS1_3gpuE6ELNS1_3repE0EEENS1_30default_config_static_selectorELNS0_4arch9wavefront6targetE0EEEvT1_.num_named_barrier, 0
	.set _ZN7rocprim17ROCPRIM_400000_NS6detail17trampoline_kernelINS0_14default_configENS1_25partition_config_selectorILNS1_17partition_subalgoE5ExNS0_10empty_typeEbEEZZNS1_14partition_implILS5_5ELb0ES3_mN6thrust23THRUST_200600_302600_NS6detail15normal_iteratorINSA_10device_ptrIxEEEEPS6_NSA_18transform_iteratorINSB_9not_fun_tINSA_8identityIxEEEESF_NSA_11use_defaultESM_EENS0_5tupleIJSF_S6_EEENSO_IJSG_SG_EEES6_PlJS6_EEE10hipError_tPvRmT3_T4_T5_T6_T7_T9_mT8_P12ihipStream_tbDpT10_ENKUlT_T0_E_clISt17integral_constantIbLb1EES1B_EEDaS16_S17_EUlS16_E_NS1_11comp_targetILNS1_3genE2ELNS1_11target_archE906ELNS1_3gpuE6ELNS1_3repE0EEENS1_30default_config_static_selectorELNS0_4arch9wavefront6targetE0EEEvT1_.private_seg_size, 0
	.set _ZN7rocprim17ROCPRIM_400000_NS6detail17trampoline_kernelINS0_14default_configENS1_25partition_config_selectorILNS1_17partition_subalgoE5ExNS0_10empty_typeEbEEZZNS1_14partition_implILS5_5ELb0ES3_mN6thrust23THRUST_200600_302600_NS6detail15normal_iteratorINSA_10device_ptrIxEEEEPS6_NSA_18transform_iteratorINSB_9not_fun_tINSA_8identityIxEEEESF_NSA_11use_defaultESM_EENS0_5tupleIJSF_S6_EEENSO_IJSG_SG_EEES6_PlJS6_EEE10hipError_tPvRmT3_T4_T5_T6_T7_T9_mT8_P12ihipStream_tbDpT10_ENKUlT_T0_E_clISt17integral_constantIbLb1EES1B_EEDaS16_S17_EUlS16_E_NS1_11comp_targetILNS1_3genE2ELNS1_11target_archE906ELNS1_3gpuE6ELNS1_3repE0EEENS1_30default_config_static_selectorELNS0_4arch9wavefront6targetE0EEEvT1_.uses_vcc, 0
	.set _ZN7rocprim17ROCPRIM_400000_NS6detail17trampoline_kernelINS0_14default_configENS1_25partition_config_selectorILNS1_17partition_subalgoE5ExNS0_10empty_typeEbEEZZNS1_14partition_implILS5_5ELb0ES3_mN6thrust23THRUST_200600_302600_NS6detail15normal_iteratorINSA_10device_ptrIxEEEEPS6_NSA_18transform_iteratorINSB_9not_fun_tINSA_8identityIxEEEESF_NSA_11use_defaultESM_EENS0_5tupleIJSF_S6_EEENSO_IJSG_SG_EEES6_PlJS6_EEE10hipError_tPvRmT3_T4_T5_T6_T7_T9_mT8_P12ihipStream_tbDpT10_ENKUlT_T0_E_clISt17integral_constantIbLb1EES1B_EEDaS16_S17_EUlS16_E_NS1_11comp_targetILNS1_3genE2ELNS1_11target_archE906ELNS1_3gpuE6ELNS1_3repE0EEENS1_30default_config_static_selectorELNS0_4arch9wavefront6targetE0EEEvT1_.uses_flat_scratch, 0
	.set _ZN7rocprim17ROCPRIM_400000_NS6detail17trampoline_kernelINS0_14default_configENS1_25partition_config_selectorILNS1_17partition_subalgoE5ExNS0_10empty_typeEbEEZZNS1_14partition_implILS5_5ELb0ES3_mN6thrust23THRUST_200600_302600_NS6detail15normal_iteratorINSA_10device_ptrIxEEEEPS6_NSA_18transform_iteratorINSB_9not_fun_tINSA_8identityIxEEEESF_NSA_11use_defaultESM_EENS0_5tupleIJSF_S6_EEENSO_IJSG_SG_EEES6_PlJS6_EEE10hipError_tPvRmT3_T4_T5_T6_T7_T9_mT8_P12ihipStream_tbDpT10_ENKUlT_T0_E_clISt17integral_constantIbLb1EES1B_EEDaS16_S17_EUlS16_E_NS1_11comp_targetILNS1_3genE2ELNS1_11target_archE906ELNS1_3gpuE6ELNS1_3repE0EEENS1_30default_config_static_selectorELNS0_4arch9wavefront6targetE0EEEvT1_.has_dyn_sized_stack, 0
	.set _ZN7rocprim17ROCPRIM_400000_NS6detail17trampoline_kernelINS0_14default_configENS1_25partition_config_selectorILNS1_17partition_subalgoE5ExNS0_10empty_typeEbEEZZNS1_14partition_implILS5_5ELb0ES3_mN6thrust23THRUST_200600_302600_NS6detail15normal_iteratorINSA_10device_ptrIxEEEEPS6_NSA_18transform_iteratorINSB_9not_fun_tINSA_8identityIxEEEESF_NSA_11use_defaultESM_EENS0_5tupleIJSF_S6_EEENSO_IJSG_SG_EEES6_PlJS6_EEE10hipError_tPvRmT3_T4_T5_T6_T7_T9_mT8_P12ihipStream_tbDpT10_ENKUlT_T0_E_clISt17integral_constantIbLb1EES1B_EEDaS16_S17_EUlS16_E_NS1_11comp_targetILNS1_3genE2ELNS1_11target_archE906ELNS1_3gpuE6ELNS1_3repE0EEENS1_30default_config_static_selectorELNS0_4arch9wavefront6targetE0EEEvT1_.has_recursion, 0
	.set _ZN7rocprim17ROCPRIM_400000_NS6detail17trampoline_kernelINS0_14default_configENS1_25partition_config_selectorILNS1_17partition_subalgoE5ExNS0_10empty_typeEbEEZZNS1_14partition_implILS5_5ELb0ES3_mN6thrust23THRUST_200600_302600_NS6detail15normal_iteratorINSA_10device_ptrIxEEEEPS6_NSA_18transform_iteratorINSB_9not_fun_tINSA_8identityIxEEEESF_NSA_11use_defaultESM_EENS0_5tupleIJSF_S6_EEENSO_IJSG_SG_EEES6_PlJS6_EEE10hipError_tPvRmT3_T4_T5_T6_T7_T9_mT8_P12ihipStream_tbDpT10_ENKUlT_T0_E_clISt17integral_constantIbLb1EES1B_EEDaS16_S17_EUlS16_E_NS1_11comp_targetILNS1_3genE2ELNS1_11target_archE906ELNS1_3gpuE6ELNS1_3repE0EEENS1_30default_config_static_selectorELNS0_4arch9wavefront6targetE0EEEvT1_.has_indirect_call, 0
	.section	.AMDGPU.csdata,"",@progbits
; Kernel info:
; codeLenInByte = 0
; TotalNumSgprs: 0
; NumVgprs: 0
; ScratchSize: 0
; MemoryBound: 0
; FloatMode: 240
; IeeeMode: 1
; LDSByteSize: 0 bytes/workgroup (compile time only)
; SGPRBlocks: 0
; VGPRBlocks: 0
; NumSGPRsForWavesPerEU: 1
; NumVGPRsForWavesPerEU: 1
; Occupancy: 16
; WaveLimiterHint : 0
; COMPUTE_PGM_RSRC2:SCRATCH_EN: 0
; COMPUTE_PGM_RSRC2:USER_SGPR: 2
; COMPUTE_PGM_RSRC2:TRAP_HANDLER: 0
; COMPUTE_PGM_RSRC2:TGID_X_EN: 1
; COMPUTE_PGM_RSRC2:TGID_Y_EN: 0
; COMPUTE_PGM_RSRC2:TGID_Z_EN: 0
; COMPUTE_PGM_RSRC2:TIDIG_COMP_CNT: 0
	.section	.text._ZN7rocprim17ROCPRIM_400000_NS6detail17trampoline_kernelINS0_14default_configENS1_25partition_config_selectorILNS1_17partition_subalgoE5ExNS0_10empty_typeEbEEZZNS1_14partition_implILS5_5ELb0ES3_mN6thrust23THRUST_200600_302600_NS6detail15normal_iteratorINSA_10device_ptrIxEEEEPS6_NSA_18transform_iteratorINSB_9not_fun_tINSA_8identityIxEEEESF_NSA_11use_defaultESM_EENS0_5tupleIJSF_S6_EEENSO_IJSG_SG_EEES6_PlJS6_EEE10hipError_tPvRmT3_T4_T5_T6_T7_T9_mT8_P12ihipStream_tbDpT10_ENKUlT_T0_E_clISt17integral_constantIbLb1EES1B_EEDaS16_S17_EUlS16_E_NS1_11comp_targetILNS1_3genE10ELNS1_11target_archE1200ELNS1_3gpuE4ELNS1_3repE0EEENS1_30default_config_static_selectorELNS0_4arch9wavefront6targetE0EEEvT1_,"axG",@progbits,_ZN7rocprim17ROCPRIM_400000_NS6detail17trampoline_kernelINS0_14default_configENS1_25partition_config_selectorILNS1_17partition_subalgoE5ExNS0_10empty_typeEbEEZZNS1_14partition_implILS5_5ELb0ES3_mN6thrust23THRUST_200600_302600_NS6detail15normal_iteratorINSA_10device_ptrIxEEEEPS6_NSA_18transform_iteratorINSB_9not_fun_tINSA_8identityIxEEEESF_NSA_11use_defaultESM_EENS0_5tupleIJSF_S6_EEENSO_IJSG_SG_EEES6_PlJS6_EEE10hipError_tPvRmT3_T4_T5_T6_T7_T9_mT8_P12ihipStream_tbDpT10_ENKUlT_T0_E_clISt17integral_constantIbLb1EES1B_EEDaS16_S17_EUlS16_E_NS1_11comp_targetILNS1_3genE10ELNS1_11target_archE1200ELNS1_3gpuE4ELNS1_3repE0EEENS1_30default_config_static_selectorELNS0_4arch9wavefront6targetE0EEEvT1_,comdat
	.protected	_ZN7rocprim17ROCPRIM_400000_NS6detail17trampoline_kernelINS0_14default_configENS1_25partition_config_selectorILNS1_17partition_subalgoE5ExNS0_10empty_typeEbEEZZNS1_14partition_implILS5_5ELb0ES3_mN6thrust23THRUST_200600_302600_NS6detail15normal_iteratorINSA_10device_ptrIxEEEEPS6_NSA_18transform_iteratorINSB_9not_fun_tINSA_8identityIxEEEESF_NSA_11use_defaultESM_EENS0_5tupleIJSF_S6_EEENSO_IJSG_SG_EEES6_PlJS6_EEE10hipError_tPvRmT3_T4_T5_T6_T7_T9_mT8_P12ihipStream_tbDpT10_ENKUlT_T0_E_clISt17integral_constantIbLb1EES1B_EEDaS16_S17_EUlS16_E_NS1_11comp_targetILNS1_3genE10ELNS1_11target_archE1200ELNS1_3gpuE4ELNS1_3repE0EEENS1_30default_config_static_selectorELNS0_4arch9wavefront6targetE0EEEvT1_ ; -- Begin function _ZN7rocprim17ROCPRIM_400000_NS6detail17trampoline_kernelINS0_14default_configENS1_25partition_config_selectorILNS1_17partition_subalgoE5ExNS0_10empty_typeEbEEZZNS1_14partition_implILS5_5ELb0ES3_mN6thrust23THRUST_200600_302600_NS6detail15normal_iteratorINSA_10device_ptrIxEEEEPS6_NSA_18transform_iteratorINSB_9not_fun_tINSA_8identityIxEEEESF_NSA_11use_defaultESM_EENS0_5tupleIJSF_S6_EEENSO_IJSG_SG_EEES6_PlJS6_EEE10hipError_tPvRmT3_T4_T5_T6_T7_T9_mT8_P12ihipStream_tbDpT10_ENKUlT_T0_E_clISt17integral_constantIbLb1EES1B_EEDaS16_S17_EUlS16_E_NS1_11comp_targetILNS1_3genE10ELNS1_11target_archE1200ELNS1_3gpuE4ELNS1_3repE0EEENS1_30default_config_static_selectorELNS0_4arch9wavefront6targetE0EEEvT1_
	.globl	_ZN7rocprim17ROCPRIM_400000_NS6detail17trampoline_kernelINS0_14default_configENS1_25partition_config_selectorILNS1_17partition_subalgoE5ExNS0_10empty_typeEbEEZZNS1_14partition_implILS5_5ELb0ES3_mN6thrust23THRUST_200600_302600_NS6detail15normal_iteratorINSA_10device_ptrIxEEEEPS6_NSA_18transform_iteratorINSB_9not_fun_tINSA_8identityIxEEEESF_NSA_11use_defaultESM_EENS0_5tupleIJSF_S6_EEENSO_IJSG_SG_EEES6_PlJS6_EEE10hipError_tPvRmT3_T4_T5_T6_T7_T9_mT8_P12ihipStream_tbDpT10_ENKUlT_T0_E_clISt17integral_constantIbLb1EES1B_EEDaS16_S17_EUlS16_E_NS1_11comp_targetILNS1_3genE10ELNS1_11target_archE1200ELNS1_3gpuE4ELNS1_3repE0EEENS1_30default_config_static_selectorELNS0_4arch9wavefront6targetE0EEEvT1_
	.p2align	8
	.type	_ZN7rocprim17ROCPRIM_400000_NS6detail17trampoline_kernelINS0_14default_configENS1_25partition_config_selectorILNS1_17partition_subalgoE5ExNS0_10empty_typeEbEEZZNS1_14partition_implILS5_5ELb0ES3_mN6thrust23THRUST_200600_302600_NS6detail15normal_iteratorINSA_10device_ptrIxEEEEPS6_NSA_18transform_iteratorINSB_9not_fun_tINSA_8identityIxEEEESF_NSA_11use_defaultESM_EENS0_5tupleIJSF_S6_EEENSO_IJSG_SG_EEES6_PlJS6_EEE10hipError_tPvRmT3_T4_T5_T6_T7_T9_mT8_P12ihipStream_tbDpT10_ENKUlT_T0_E_clISt17integral_constantIbLb1EES1B_EEDaS16_S17_EUlS16_E_NS1_11comp_targetILNS1_3genE10ELNS1_11target_archE1200ELNS1_3gpuE4ELNS1_3repE0EEENS1_30default_config_static_selectorELNS0_4arch9wavefront6targetE0EEEvT1_,@function
_ZN7rocprim17ROCPRIM_400000_NS6detail17trampoline_kernelINS0_14default_configENS1_25partition_config_selectorILNS1_17partition_subalgoE5ExNS0_10empty_typeEbEEZZNS1_14partition_implILS5_5ELb0ES3_mN6thrust23THRUST_200600_302600_NS6detail15normal_iteratorINSA_10device_ptrIxEEEEPS6_NSA_18transform_iteratorINSB_9not_fun_tINSA_8identityIxEEEESF_NSA_11use_defaultESM_EENS0_5tupleIJSF_S6_EEENSO_IJSG_SG_EEES6_PlJS6_EEE10hipError_tPvRmT3_T4_T5_T6_T7_T9_mT8_P12ihipStream_tbDpT10_ENKUlT_T0_E_clISt17integral_constantIbLb1EES1B_EEDaS16_S17_EUlS16_E_NS1_11comp_targetILNS1_3genE10ELNS1_11target_archE1200ELNS1_3gpuE4ELNS1_3repE0EEENS1_30default_config_static_selectorELNS0_4arch9wavefront6targetE0EEEvT1_: ; @_ZN7rocprim17ROCPRIM_400000_NS6detail17trampoline_kernelINS0_14default_configENS1_25partition_config_selectorILNS1_17partition_subalgoE5ExNS0_10empty_typeEbEEZZNS1_14partition_implILS5_5ELb0ES3_mN6thrust23THRUST_200600_302600_NS6detail15normal_iteratorINSA_10device_ptrIxEEEEPS6_NSA_18transform_iteratorINSB_9not_fun_tINSA_8identityIxEEEESF_NSA_11use_defaultESM_EENS0_5tupleIJSF_S6_EEENSO_IJSG_SG_EEES6_PlJS6_EEE10hipError_tPvRmT3_T4_T5_T6_T7_T9_mT8_P12ihipStream_tbDpT10_ENKUlT_T0_E_clISt17integral_constantIbLb1EES1B_EEDaS16_S17_EUlS16_E_NS1_11comp_targetILNS1_3genE10ELNS1_11target_archE1200ELNS1_3gpuE4ELNS1_3repE0EEENS1_30default_config_static_selectorELNS0_4arch9wavefront6targetE0EEEvT1_
; %bb.0:
	s_endpgm
	.section	.rodata,"a",@progbits
	.p2align	6, 0x0
	.amdhsa_kernel _ZN7rocprim17ROCPRIM_400000_NS6detail17trampoline_kernelINS0_14default_configENS1_25partition_config_selectorILNS1_17partition_subalgoE5ExNS0_10empty_typeEbEEZZNS1_14partition_implILS5_5ELb0ES3_mN6thrust23THRUST_200600_302600_NS6detail15normal_iteratorINSA_10device_ptrIxEEEEPS6_NSA_18transform_iteratorINSB_9not_fun_tINSA_8identityIxEEEESF_NSA_11use_defaultESM_EENS0_5tupleIJSF_S6_EEENSO_IJSG_SG_EEES6_PlJS6_EEE10hipError_tPvRmT3_T4_T5_T6_T7_T9_mT8_P12ihipStream_tbDpT10_ENKUlT_T0_E_clISt17integral_constantIbLb1EES1B_EEDaS16_S17_EUlS16_E_NS1_11comp_targetILNS1_3genE10ELNS1_11target_archE1200ELNS1_3gpuE4ELNS1_3repE0EEENS1_30default_config_static_selectorELNS0_4arch9wavefront6targetE0EEEvT1_
		.amdhsa_group_segment_fixed_size 0
		.amdhsa_private_segment_fixed_size 0
		.amdhsa_kernarg_size 136
		.amdhsa_user_sgpr_count 2
		.amdhsa_user_sgpr_dispatch_ptr 0
		.amdhsa_user_sgpr_queue_ptr 0
		.amdhsa_user_sgpr_kernarg_segment_ptr 1
		.amdhsa_user_sgpr_dispatch_id 0
		.amdhsa_user_sgpr_private_segment_size 0
		.amdhsa_wavefront_size32 1
		.amdhsa_uses_dynamic_stack 0
		.amdhsa_enable_private_segment 0
		.amdhsa_system_sgpr_workgroup_id_x 1
		.amdhsa_system_sgpr_workgroup_id_y 0
		.amdhsa_system_sgpr_workgroup_id_z 0
		.amdhsa_system_sgpr_workgroup_info 0
		.amdhsa_system_vgpr_workitem_id 0
		.amdhsa_next_free_vgpr 1
		.amdhsa_next_free_sgpr 1
		.amdhsa_reserve_vcc 0
		.amdhsa_float_round_mode_32 0
		.amdhsa_float_round_mode_16_64 0
		.amdhsa_float_denorm_mode_32 3
		.amdhsa_float_denorm_mode_16_64 3
		.amdhsa_fp16_overflow 0
		.amdhsa_workgroup_processor_mode 1
		.amdhsa_memory_ordered 1
		.amdhsa_forward_progress 1
		.amdhsa_inst_pref_size 1
		.amdhsa_round_robin_scheduling 0
		.amdhsa_exception_fp_ieee_invalid_op 0
		.amdhsa_exception_fp_denorm_src 0
		.amdhsa_exception_fp_ieee_div_zero 0
		.amdhsa_exception_fp_ieee_overflow 0
		.amdhsa_exception_fp_ieee_underflow 0
		.amdhsa_exception_fp_ieee_inexact 0
		.amdhsa_exception_int_div_zero 0
	.end_amdhsa_kernel
	.section	.text._ZN7rocprim17ROCPRIM_400000_NS6detail17trampoline_kernelINS0_14default_configENS1_25partition_config_selectorILNS1_17partition_subalgoE5ExNS0_10empty_typeEbEEZZNS1_14partition_implILS5_5ELb0ES3_mN6thrust23THRUST_200600_302600_NS6detail15normal_iteratorINSA_10device_ptrIxEEEEPS6_NSA_18transform_iteratorINSB_9not_fun_tINSA_8identityIxEEEESF_NSA_11use_defaultESM_EENS0_5tupleIJSF_S6_EEENSO_IJSG_SG_EEES6_PlJS6_EEE10hipError_tPvRmT3_T4_T5_T6_T7_T9_mT8_P12ihipStream_tbDpT10_ENKUlT_T0_E_clISt17integral_constantIbLb1EES1B_EEDaS16_S17_EUlS16_E_NS1_11comp_targetILNS1_3genE10ELNS1_11target_archE1200ELNS1_3gpuE4ELNS1_3repE0EEENS1_30default_config_static_selectorELNS0_4arch9wavefront6targetE0EEEvT1_,"axG",@progbits,_ZN7rocprim17ROCPRIM_400000_NS6detail17trampoline_kernelINS0_14default_configENS1_25partition_config_selectorILNS1_17partition_subalgoE5ExNS0_10empty_typeEbEEZZNS1_14partition_implILS5_5ELb0ES3_mN6thrust23THRUST_200600_302600_NS6detail15normal_iteratorINSA_10device_ptrIxEEEEPS6_NSA_18transform_iteratorINSB_9not_fun_tINSA_8identityIxEEEESF_NSA_11use_defaultESM_EENS0_5tupleIJSF_S6_EEENSO_IJSG_SG_EEES6_PlJS6_EEE10hipError_tPvRmT3_T4_T5_T6_T7_T9_mT8_P12ihipStream_tbDpT10_ENKUlT_T0_E_clISt17integral_constantIbLb1EES1B_EEDaS16_S17_EUlS16_E_NS1_11comp_targetILNS1_3genE10ELNS1_11target_archE1200ELNS1_3gpuE4ELNS1_3repE0EEENS1_30default_config_static_selectorELNS0_4arch9wavefront6targetE0EEEvT1_,comdat
.Lfunc_end962:
	.size	_ZN7rocprim17ROCPRIM_400000_NS6detail17trampoline_kernelINS0_14default_configENS1_25partition_config_selectorILNS1_17partition_subalgoE5ExNS0_10empty_typeEbEEZZNS1_14partition_implILS5_5ELb0ES3_mN6thrust23THRUST_200600_302600_NS6detail15normal_iteratorINSA_10device_ptrIxEEEEPS6_NSA_18transform_iteratorINSB_9not_fun_tINSA_8identityIxEEEESF_NSA_11use_defaultESM_EENS0_5tupleIJSF_S6_EEENSO_IJSG_SG_EEES6_PlJS6_EEE10hipError_tPvRmT3_T4_T5_T6_T7_T9_mT8_P12ihipStream_tbDpT10_ENKUlT_T0_E_clISt17integral_constantIbLb1EES1B_EEDaS16_S17_EUlS16_E_NS1_11comp_targetILNS1_3genE10ELNS1_11target_archE1200ELNS1_3gpuE4ELNS1_3repE0EEENS1_30default_config_static_selectorELNS0_4arch9wavefront6targetE0EEEvT1_, .Lfunc_end962-_ZN7rocprim17ROCPRIM_400000_NS6detail17trampoline_kernelINS0_14default_configENS1_25partition_config_selectorILNS1_17partition_subalgoE5ExNS0_10empty_typeEbEEZZNS1_14partition_implILS5_5ELb0ES3_mN6thrust23THRUST_200600_302600_NS6detail15normal_iteratorINSA_10device_ptrIxEEEEPS6_NSA_18transform_iteratorINSB_9not_fun_tINSA_8identityIxEEEESF_NSA_11use_defaultESM_EENS0_5tupleIJSF_S6_EEENSO_IJSG_SG_EEES6_PlJS6_EEE10hipError_tPvRmT3_T4_T5_T6_T7_T9_mT8_P12ihipStream_tbDpT10_ENKUlT_T0_E_clISt17integral_constantIbLb1EES1B_EEDaS16_S17_EUlS16_E_NS1_11comp_targetILNS1_3genE10ELNS1_11target_archE1200ELNS1_3gpuE4ELNS1_3repE0EEENS1_30default_config_static_selectorELNS0_4arch9wavefront6targetE0EEEvT1_
                                        ; -- End function
	.set _ZN7rocprim17ROCPRIM_400000_NS6detail17trampoline_kernelINS0_14default_configENS1_25partition_config_selectorILNS1_17partition_subalgoE5ExNS0_10empty_typeEbEEZZNS1_14partition_implILS5_5ELb0ES3_mN6thrust23THRUST_200600_302600_NS6detail15normal_iteratorINSA_10device_ptrIxEEEEPS6_NSA_18transform_iteratorINSB_9not_fun_tINSA_8identityIxEEEESF_NSA_11use_defaultESM_EENS0_5tupleIJSF_S6_EEENSO_IJSG_SG_EEES6_PlJS6_EEE10hipError_tPvRmT3_T4_T5_T6_T7_T9_mT8_P12ihipStream_tbDpT10_ENKUlT_T0_E_clISt17integral_constantIbLb1EES1B_EEDaS16_S17_EUlS16_E_NS1_11comp_targetILNS1_3genE10ELNS1_11target_archE1200ELNS1_3gpuE4ELNS1_3repE0EEENS1_30default_config_static_selectorELNS0_4arch9wavefront6targetE0EEEvT1_.num_vgpr, 0
	.set _ZN7rocprim17ROCPRIM_400000_NS6detail17trampoline_kernelINS0_14default_configENS1_25partition_config_selectorILNS1_17partition_subalgoE5ExNS0_10empty_typeEbEEZZNS1_14partition_implILS5_5ELb0ES3_mN6thrust23THRUST_200600_302600_NS6detail15normal_iteratorINSA_10device_ptrIxEEEEPS6_NSA_18transform_iteratorINSB_9not_fun_tINSA_8identityIxEEEESF_NSA_11use_defaultESM_EENS0_5tupleIJSF_S6_EEENSO_IJSG_SG_EEES6_PlJS6_EEE10hipError_tPvRmT3_T4_T5_T6_T7_T9_mT8_P12ihipStream_tbDpT10_ENKUlT_T0_E_clISt17integral_constantIbLb1EES1B_EEDaS16_S17_EUlS16_E_NS1_11comp_targetILNS1_3genE10ELNS1_11target_archE1200ELNS1_3gpuE4ELNS1_3repE0EEENS1_30default_config_static_selectorELNS0_4arch9wavefront6targetE0EEEvT1_.num_agpr, 0
	.set _ZN7rocprim17ROCPRIM_400000_NS6detail17trampoline_kernelINS0_14default_configENS1_25partition_config_selectorILNS1_17partition_subalgoE5ExNS0_10empty_typeEbEEZZNS1_14partition_implILS5_5ELb0ES3_mN6thrust23THRUST_200600_302600_NS6detail15normal_iteratorINSA_10device_ptrIxEEEEPS6_NSA_18transform_iteratorINSB_9not_fun_tINSA_8identityIxEEEESF_NSA_11use_defaultESM_EENS0_5tupleIJSF_S6_EEENSO_IJSG_SG_EEES6_PlJS6_EEE10hipError_tPvRmT3_T4_T5_T6_T7_T9_mT8_P12ihipStream_tbDpT10_ENKUlT_T0_E_clISt17integral_constantIbLb1EES1B_EEDaS16_S17_EUlS16_E_NS1_11comp_targetILNS1_3genE10ELNS1_11target_archE1200ELNS1_3gpuE4ELNS1_3repE0EEENS1_30default_config_static_selectorELNS0_4arch9wavefront6targetE0EEEvT1_.numbered_sgpr, 0
	.set _ZN7rocprim17ROCPRIM_400000_NS6detail17trampoline_kernelINS0_14default_configENS1_25partition_config_selectorILNS1_17partition_subalgoE5ExNS0_10empty_typeEbEEZZNS1_14partition_implILS5_5ELb0ES3_mN6thrust23THRUST_200600_302600_NS6detail15normal_iteratorINSA_10device_ptrIxEEEEPS6_NSA_18transform_iteratorINSB_9not_fun_tINSA_8identityIxEEEESF_NSA_11use_defaultESM_EENS0_5tupleIJSF_S6_EEENSO_IJSG_SG_EEES6_PlJS6_EEE10hipError_tPvRmT3_T4_T5_T6_T7_T9_mT8_P12ihipStream_tbDpT10_ENKUlT_T0_E_clISt17integral_constantIbLb1EES1B_EEDaS16_S17_EUlS16_E_NS1_11comp_targetILNS1_3genE10ELNS1_11target_archE1200ELNS1_3gpuE4ELNS1_3repE0EEENS1_30default_config_static_selectorELNS0_4arch9wavefront6targetE0EEEvT1_.num_named_barrier, 0
	.set _ZN7rocprim17ROCPRIM_400000_NS6detail17trampoline_kernelINS0_14default_configENS1_25partition_config_selectorILNS1_17partition_subalgoE5ExNS0_10empty_typeEbEEZZNS1_14partition_implILS5_5ELb0ES3_mN6thrust23THRUST_200600_302600_NS6detail15normal_iteratorINSA_10device_ptrIxEEEEPS6_NSA_18transform_iteratorINSB_9not_fun_tINSA_8identityIxEEEESF_NSA_11use_defaultESM_EENS0_5tupleIJSF_S6_EEENSO_IJSG_SG_EEES6_PlJS6_EEE10hipError_tPvRmT3_T4_T5_T6_T7_T9_mT8_P12ihipStream_tbDpT10_ENKUlT_T0_E_clISt17integral_constantIbLb1EES1B_EEDaS16_S17_EUlS16_E_NS1_11comp_targetILNS1_3genE10ELNS1_11target_archE1200ELNS1_3gpuE4ELNS1_3repE0EEENS1_30default_config_static_selectorELNS0_4arch9wavefront6targetE0EEEvT1_.private_seg_size, 0
	.set _ZN7rocprim17ROCPRIM_400000_NS6detail17trampoline_kernelINS0_14default_configENS1_25partition_config_selectorILNS1_17partition_subalgoE5ExNS0_10empty_typeEbEEZZNS1_14partition_implILS5_5ELb0ES3_mN6thrust23THRUST_200600_302600_NS6detail15normal_iteratorINSA_10device_ptrIxEEEEPS6_NSA_18transform_iteratorINSB_9not_fun_tINSA_8identityIxEEEESF_NSA_11use_defaultESM_EENS0_5tupleIJSF_S6_EEENSO_IJSG_SG_EEES6_PlJS6_EEE10hipError_tPvRmT3_T4_T5_T6_T7_T9_mT8_P12ihipStream_tbDpT10_ENKUlT_T0_E_clISt17integral_constantIbLb1EES1B_EEDaS16_S17_EUlS16_E_NS1_11comp_targetILNS1_3genE10ELNS1_11target_archE1200ELNS1_3gpuE4ELNS1_3repE0EEENS1_30default_config_static_selectorELNS0_4arch9wavefront6targetE0EEEvT1_.uses_vcc, 0
	.set _ZN7rocprim17ROCPRIM_400000_NS6detail17trampoline_kernelINS0_14default_configENS1_25partition_config_selectorILNS1_17partition_subalgoE5ExNS0_10empty_typeEbEEZZNS1_14partition_implILS5_5ELb0ES3_mN6thrust23THRUST_200600_302600_NS6detail15normal_iteratorINSA_10device_ptrIxEEEEPS6_NSA_18transform_iteratorINSB_9not_fun_tINSA_8identityIxEEEESF_NSA_11use_defaultESM_EENS0_5tupleIJSF_S6_EEENSO_IJSG_SG_EEES6_PlJS6_EEE10hipError_tPvRmT3_T4_T5_T6_T7_T9_mT8_P12ihipStream_tbDpT10_ENKUlT_T0_E_clISt17integral_constantIbLb1EES1B_EEDaS16_S17_EUlS16_E_NS1_11comp_targetILNS1_3genE10ELNS1_11target_archE1200ELNS1_3gpuE4ELNS1_3repE0EEENS1_30default_config_static_selectorELNS0_4arch9wavefront6targetE0EEEvT1_.uses_flat_scratch, 0
	.set _ZN7rocprim17ROCPRIM_400000_NS6detail17trampoline_kernelINS0_14default_configENS1_25partition_config_selectorILNS1_17partition_subalgoE5ExNS0_10empty_typeEbEEZZNS1_14partition_implILS5_5ELb0ES3_mN6thrust23THRUST_200600_302600_NS6detail15normal_iteratorINSA_10device_ptrIxEEEEPS6_NSA_18transform_iteratorINSB_9not_fun_tINSA_8identityIxEEEESF_NSA_11use_defaultESM_EENS0_5tupleIJSF_S6_EEENSO_IJSG_SG_EEES6_PlJS6_EEE10hipError_tPvRmT3_T4_T5_T6_T7_T9_mT8_P12ihipStream_tbDpT10_ENKUlT_T0_E_clISt17integral_constantIbLb1EES1B_EEDaS16_S17_EUlS16_E_NS1_11comp_targetILNS1_3genE10ELNS1_11target_archE1200ELNS1_3gpuE4ELNS1_3repE0EEENS1_30default_config_static_selectorELNS0_4arch9wavefront6targetE0EEEvT1_.has_dyn_sized_stack, 0
	.set _ZN7rocprim17ROCPRIM_400000_NS6detail17trampoline_kernelINS0_14default_configENS1_25partition_config_selectorILNS1_17partition_subalgoE5ExNS0_10empty_typeEbEEZZNS1_14partition_implILS5_5ELb0ES3_mN6thrust23THRUST_200600_302600_NS6detail15normal_iteratorINSA_10device_ptrIxEEEEPS6_NSA_18transform_iteratorINSB_9not_fun_tINSA_8identityIxEEEESF_NSA_11use_defaultESM_EENS0_5tupleIJSF_S6_EEENSO_IJSG_SG_EEES6_PlJS6_EEE10hipError_tPvRmT3_T4_T5_T6_T7_T9_mT8_P12ihipStream_tbDpT10_ENKUlT_T0_E_clISt17integral_constantIbLb1EES1B_EEDaS16_S17_EUlS16_E_NS1_11comp_targetILNS1_3genE10ELNS1_11target_archE1200ELNS1_3gpuE4ELNS1_3repE0EEENS1_30default_config_static_selectorELNS0_4arch9wavefront6targetE0EEEvT1_.has_recursion, 0
	.set _ZN7rocprim17ROCPRIM_400000_NS6detail17trampoline_kernelINS0_14default_configENS1_25partition_config_selectorILNS1_17partition_subalgoE5ExNS0_10empty_typeEbEEZZNS1_14partition_implILS5_5ELb0ES3_mN6thrust23THRUST_200600_302600_NS6detail15normal_iteratorINSA_10device_ptrIxEEEEPS6_NSA_18transform_iteratorINSB_9not_fun_tINSA_8identityIxEEEESF_NSA_11use_defaultESM_EENS0_5tupleIJSF_S6_EEENSO_IJSG_SG_EEES6_PlJS6_EEE10hipError_tPvRmT3_T4_T5_T6_T7_T9_mT8_P12ihipStream_tbDpT10_ENKUlT_T0_E_clISt17integral_constantIbLb1EES1B_EEDaS16_S17_EUlS16_E_NS1_11comp_targetILNS1_3genE10ELNS1_11target_archE1200ELNS1_3gpuE4ELNS1_3repE0EEENS1_30default_config_static_selectorELNS0_4arch9wavefront6targetE0EEEvT1_.has_indirect_call, 0
	.section	.AMDGPU.csdata,"",@progbits
; Kernel info:
; codeLenInByte = 4
; TotalNumSgprs: 0
; NumVgprs: 0
; ScratchSize: 0
; MemoryBound: 0
; FloatMode: 240
; IeeeMode: 1
; LDSByteSize: 0 bytes/workgroup (compile time only)
; SGPRBlocks: 0
; VGPRBlocks: 0
; NumSGPRsForWavesPerEU: 1
; NumVGPRsForWavesPerEU: 1
; Occupancy: 16
; WaveLimiterHint : 0
; COMPUTE_PGM_RSRC2:SCRATCH_EN: 0
; COMPUTE_PGM_RSRC2:USER_SGPR: 2
; COMPUTE_PGM_RSRC2:TRAP_HANDLER: 0
; COMPUTE_PGM_RSRC2:TGID_X_EN: 1
; COMPUTE_PGM_RSRC2:TGID_Y_EN: 0
; COMPUTE_PGM_RSRC2:TGID_Z_EN: 0
; COMPUTE_PGM_RSRC2:TIDIG_COMP_CNT: 0
	.section	.text._ZN7rocprim17ROCPRIM_400000_NS6detail17trampoline_kernelINS0_14default_configENS1_25partition_config_selectorILNS1_17partition_subalgoE5ExNS0_10empty_typeEbEEZZNS1_14partition_implILS5_5ELb0ES3_mN6thrust23THRUST_200600_302600_NS6detail15normal_iteratorINSA_10device_ptrIxEEEEPS6_NSA_18transform_iteratorINSB_9not_fun_tINSA_8identityIxEEEESF_NSA_11use_defaultESM_EENS0_5tupleIJSF_S6_EEENSO_IJSG_SG_EEES6_PlJS6_EEE10hipError_tPvRmT3_T4_T5_T6_T7_T9_mT8_P12ihipStream_tbDpT10_ENKUlT_T0_E_clISt17integral_constantIbLb1EES1B_EEDaS16_S17_EUlS16_E_NS1_11comp_targetILNS1_3genE9ELNS1_11target_archE1100ELNS1_3gpuE3ELNS1_3repE0EEENS1_30default_config_static_selectorELNS0_4arch9wavefront6targetE0EEEvT1_,"axG",@progbits,_ZN7rocprim17ROCPRIM_400000_NS6detail17trampoline_kernelINS0_14default_configENS1_25partition_config_selectorILNS1_17partition_subalgoE5ExNS0_10empty_typeEbEEZZNS1_14partition_implILS5_5ELb0ES3_mN6thrust23THRUST_200600_302600_NS6detail15normal_iteratorINSA_10device_ptrIxEEEEPS6_NSA_18transform_iteratorINSB_9not_fun_tINSA_8identityIxEEEESF_NSA_11use_defaultESM_EENS0_5tupleIJSF_S6_EEENSO_IJSG_SG_EEES6_PlJS6_EEE10hipError_tPvRmT3_T4_T5_T6_T7_T9_mT8_P12ihipStream_tbDpT10_ENKUlT_T0_E_clISt17integral_constantIbLb1EES1B_EEDaS16_S17_EUlS16_E_NS1_11comp_targetILNS1_3genE9ELNS1_11target_archE1100ELNS1_3gpuE3ELNS1_3repE0EEENS1_30default_config_static_selectorELNS0_4arch9wavefront6targetE0EEEvT1_,comdat
	.protected	_ZN7rocprim17ROCPRIM_400000_NS6detail17trampoline_kernelINS0_14default_configENS1_25partition_config_selectorILNS1_17partition_subalgoE5ExNS0_10empty_typeEbEEZZNS1_14partition_implILS5_5ELb0ES3_mN6thrust23THRUST_200600_302600_NS6detail15normal_iteratorINSA_10device_ptrIxEEEEPS6_NSA_18transform_iteratorINSB_9not_fun_tINSA_8identityIxEEEESF_NSA_11use_defaultESM_EENS0_5tupleIJSF_S6_EEENSO_IJSG_SG_EEES6_PlJS6_EEE10hipError_tPvRmT3_T4_T5_T6_T7_T9_mT8_P12ihipStream_tbDpT10_ENKUlT_T0_E_clISt17integral_constantIbLb1EES1B_EEDaS16_S17_EUlS16_E_NS1_11comp_targetILNS1_3genE9ELNS1_11target_archE1100ELNS1_3gpuE3ELNS1_3repE0EEENS1_30default_config_static_selectorELNS0_4arch9wavefront6targetE0EEEvT1_ ; -- Begin function _ZN7rocprim17ROCPRIM_400000_NS6detail17trampoline_kernelINS0_14default_configENS1_25partition_config_selectorILNS1_17partition_subalgoE5ExNS0_10empty_typeEbEEZZNS1_14partition_implILS5_5ELb0ES3_mN6thrust23THRUST_200600_302600_NS6detail15normal_iteratorINSA_10device_ptrIxEEEEPS6_NSA_18transform_iteratorINSB_9not_fun_tINSA_8identityIxEEEESF_NSA_11use_defaultESM_EENS0_5tupleIJSF_S6_EEENSO_IJSG_SG_EEES6_PlJS6_EEE10hipError_tPvRmT3_T4_T5_T6_T7_T9_mT8_P12ihipStream_tbDpT10_ENKUlT_T0_E_clISt17integral_constantIbLb1EES1B_EEDaS16_S17_EUlS16_E_NS1_11comp_targetILNS1_3genE9ELNS1_11target_archE1100ELNS1_3gpuE3ELNS1_3repE0EEENS1_30default_config_static_selectorELNS0_4arch9wavefront6targetE0EEEvT1_
	.globl	_ZN7rocprim17ROCPRIM_400000_NS6detail17trampoline_kernelINS0_14default_configENS1_25partition_config_selectorILNS1_17partition_subalgoE5ExNS0_10empty_typeEbEEZZNS1_14partition_implILS5_5ELb0ES3_mN6thrust23THRUST_200600_302600_NS6detail15normal_iteratorINSA_10device_ptrIxEEEEPS6_NSA_18transform_iteratorINSB_9not_fun_tINSA_8identityIxEEEESF_NSA_11use_defaultESM_EENS0_5tupleIJSF_S6_EEENSO_IJSG_SG_EEES6_PlJS6_EEE10hipError_tPvRmT3_T4_T5_T6_T7_T9_mT8_P12ihipStream_tbDpT10_ENKUlT_T0_E_clISt17integral_constantIbLb1EES1B_EEDaS16_S17_EUlS16_E_NS1_11comp_targetILNS1_3genE9ELNS1_11target_archE1100ELNS1_3gpuE3ELNS1_3repE0EEENS1_30default_config_static_selectorELNS0_4arch9wavefront6targetE0EEEvT1_
	.p2align	8
	.type	_ZN7rocprim17ROCPRIM_400000_NS6detail17trampoline_kernelINS0_14default_configENS1_25partition_config_selectorILNS1_17partition_subalgoE5ExNS0_10empty_typeEbEEZZNS1_14partition_implILS5_5ELb0ES3_mN6thrust23THRUST_200600_302600_NS6detail15normal_iteratorINSA_10device_ptrIxEEEEPS6_NSA_18transform_iteratorINSB_9not_fun_tINSA_8identityIxEEEESF_NSA_11use_defaultESM_EENS0_5tupleIJSF_S6_EEENSO_IJSG_SG_EEES6_PlJS6_EEE10hipError_tPvRmT3_T4_T5_T6_T7_T9_mT8_P12ihipStream_tbDpT10_ENKUlT_T0_E_clISt17integral_constantIbLb1EES1B_EEDaS16_S17_EUlS16_E_NS1_11comp_targetILNS1_3genE9ELNS1_11target_archE1100ELNS1_3gpuE3ELNS1_3repE0EEENS1_30default_config_static_selectorELNS0_4arch9wavefront6targetE0EEEvT1_,@function
_ZN7rocprim17ROCPRIM_400000_NS6detail17trampoline_kernelINS0_14default_configENS1_25partition_config_selectorILNS1_17partition_subalgoE5ExNS0_10empty_typeEbEEZZNS1_14partition_implILS5_5ELb0ES3_mN6thrust23THRUST_200600_302600_NS6detail15normal_iteratorINSA_10device_ptrIxEEEEPS6_NSA_18transform_iteratorINSB_9not_fun_tINSA_8identityIxEEEESF_NSA_11use_defaultESM_EENS0_5tupleIJSF_S6_EEENSO_IJSG_SG_EEES6_PlJS6_EEE10hipError_tPvRmT3_T4_T5_T6_T7_T9_mT8_P12ihipStream_tbDpT10_ENKUlT_T0_E_clISt17integral_constantIbLb1EES1B_EEDaS16_S17_EUlS16_E_NS1_11comp_targetILNS1_3genE9ELNS1_11target_archE1100ELNS1_3gpuE3ELNS1_3repE0EEENS1_30default_config_static_selectorELNS0_4arch9wavefront6targetE0EEEvT1_: ; @_ZN7rocprim17ROCPRIM_400000_NS6detail17trampoline_kernelINS0_14default_configENS1_25partition_config_selectorILNS1_17partition_subalgoE5ExNS0_10empty_typeEbEEZZNS1_14partition_implILS5_5ELb0ES3_mN6thrust23THRUST_200600_302600_NS6detail15normal_iteratorINSA_10device_ptrIxEEEEPS6_NSA_18transform_iteratorINSB_9not_fun_tINSA_8identityIxEEEESF_NSA_11use_defaultESM_EENS0_5tupleIJSF_S6_EEENSO_IJSG_SG_EEES6_PlJS6_EEE10hipError_tPvRmT3_T4_T5_T6_T7_T9_mT8_P12ihipStream_tbDpT10_ENKUlT_T0_E_clISt17integral_constantIbLb1EES1B_EEDaS16_S17_EUlS16_E_NS1_11comp_targetILNS1_3genE9ELNS1_11target_archE1100ELNS1_3gpuE3ELNS1_3repE0EEENS1_30default_config_static_selectorELNS0_4arch9wavefront6targetE0EEEvT1_
; %bb.0:
	.section	.rodata,"a",@progbits
	.p2align	6, 0x0
	.amdhsa_kernel _ZN7rocprim17ROCPRIM_400000_NS6detail17trampoline_kernelINS0_14default_configENS1_25partition_config_selectorILNS1_17partition_subalgoE5ExNS0_10empty_typeEbEEZZNS1_14partition_implILS5_5ELb0ES3_mN6thrust23THRUST_200600_302600_NS6detail15normal_iteratorINSA_10device_ptrIxEEEEPS6_NSA_18transform_iteratorINSB_9not_fun_tINSA_8identityIxEEEESF_NSA_11use_defaultESM_EENS0_5tupleIJSF_S6_EEENSO_IJSG_SG_EEES6_PlJS6_EEE10hipError_tPvRmT3_T4_T5_T6_T7_T9_mT8_P12ihipStream_tbDpT10_ENKUlT_T0_E_clISt17integral_constantIbLb1EES1B_EEDaS16_S17_EUlS16_E_NS1_11comp_targetILNS1_3genE9ELNS1_11target_archE1100ELNS1_3gpuE3ELNS1_3repE0EEENS1_30default_config_static_selectorELNS0_4arch9wavefront6targetE0EEEvT1_
		.amdhsa_group_segment_fixed_size 0
		.amdhsa_private_segment_fixed_size 0
		.amdhsa_kernarg_size 136
		.amdhsa_user_sgpr_count 2
		.amdhsa_user_sgpr_dispatch_ptr 0
		.amdhsa_user_sgpr_queue_ptr 0
		.amdhsa_user_sgpr_kernarg_segment_ptr 1
		.amdhsa_user_sgpr_dispatch_id 0
		.amdhsa_user_sgpr_private_segment_size 0
		.amdhsa_wavefront_size32 1
		.amdhsa_uses_dynamic_stack 0
		.amdhsa_enable_private_segment 0
		.amdhsa_system_sgpr_workgroup_id_x 1
		.amdhsa_system_sgpr_workgroup_id_y 0
		.amdhsa_system_sgpr_workgroup_id_z 0
		.amdhsa_system_sgpr_workgroup_info 0
		.amdhsa_system_vgpr_workitem_id 0
		.amdhsa_next_free_vgpr 1
		.amdhsa_next_free_sgpr 1
		.amdhsa_reserve_vcc 0
		.amdhsa_float_round_mode_32 0
		.amdhsa_float_round_mode_16_64 0
		.amdhsa_float_denorm_mode_32 3
		.amdhsa_float_denorm_mode_16_64 3
		.amdhsa_fp16_overflow 0
		.amdhsa_workgroup_processor_mode 1
		.amdhsa_memory_ordered 1
		.amdhsa_forward_progress 1
		.amdhsa_inst_pref_size 0
		.amdhsa_round_robin_scheduling 0
		.amdhsa_exception_fp_ieee_invalid_op 0
		.amdhsa_exception_fp_denorm_src 0
		.amdhsa_exception_fp_ieee_div_zero 0
		.amdhsa_exception_fp_ieee_overflow 0
		.amdhsa_exception_fp_ieee_underflow 0
		.amdhsa_exception_fp_ieee_inexact 0
		.amdhsa_exception_int_div_zero 0
	.end_amdhsa_kernel
	.section	.text._ZN7rocprim17ROCPRIM_400000_NS6detail17trampoline_kernelINS0_14default_configENS1_25partition_config_selectorILNS1_17partition_subalgoE5ExNS0_10empty_typeEbEEZZNS1_14partition_implILS5_5ELb0ES3_mN6thrust23THRUST_200600_302600_NS6detail15normal_iteratorINSA_10device_ptrIxEEEEPS6_NSA_18transform_iteratorINSB_9not_fun_tINSA_8identityIxEEEESF_NSA_11use_defaultESM_EENS0_5tupleIJSF_S6_EEENSO_IJSG_SG_EEES6_PlJS6_EEE10hipError_tPvRmT3_T4_T5_T6_T7_T9_mT8_P12ihipStream_tbDpT10_ENKUlT_T0_E_clISt17integral_constantIbLb1EES1B_EEDaS16_S17_EUlS16_E_NS1_11comp_targetILNS1_3genE9ELNS1_11target_archE1100ELNS1_3gpuE3ELNS1_3repE0EEENS1_30default_config_static_selectorELNS0_4arch9wavefront6targetE0EEEvT1_,"axG",@progbits,_ZN7rocprim17ROCPRIM_400000_NS6detail17trampoline_kernelINS0_14default_configENS1_25partition_config_selectorILNS1_17partition_subalgoE5ExNS0_10empty_typeEbEEZZNS1_14partition_implILS5_5ELb0ES3_mN6thrust23THRUST_200600_302600_NS6detail15normal_iteratorINSA_10device_ptrIxEEEEPS6_NSA_18transform_iteratorINSB_9not_fun_tINSA_8identityIxEEEESF_NSA_11use_defaultESM_EENS0_5tupleIJSF_S6_EEENSO_IJSG_SG_EEES6_PlJS6_EEE10hipError_tPvRmT3_T4_T5_T6_T7_T9_mT8_P12ihipStream_tbDpT10_ENKUlT_T0_E_clISt17integral_constantIbLb1EES1B_EEDaS16_S17_EUlS16_E_NS1_11comp_targetILNS1_3genE9ELNS1_11target_archE1100ELNS1_3gpuE3ELNS1_3repE0EEENS1_30default_config_static_selectorELNS0_4arch9wavefront6targetE0EEEvT1_,comdat
.Lfunc_end963:
	.size	_ZN7rocprim17ROCPRIM_400000_NS6detail17trampoline_kernelINS0_14default_configENS1_25partition_config_selectorILNS1_17partition_subalgoE5ExNS0_10empty_typeEbEEZZNS1_14partition_implILS5_5ELb0ES3_mN6thrust23THRUST_200600_302600_NS6detail15normal_iteratorINSA_10device_ptrIxEEEEPS6_NSA_18transform_iteratorINSB_9not_fun_tINSA_8identityIxEEEESF_NSA_11use_defaultESM_EENS0_5tupleIJSF_S6_EEENSO_IJSG_SG_EEES6_PlJS6_EEE10hipError_tPvRmT3_T4_T5_T6_T7_T9_mT8_P12ihipStream_tbDpT10_ENKUlT_T0_E_clISt17integral_constantIbLb1EES1B_EEDaS16_S17_EUlS16_E_NS1_11comp_targetILNS1_3genE9ELNS1_11target_archE1100ELNS1_3gpuE3ELNS1_3repE0EEENS1_30default_config_static_selectorELNS0_4arch9wavefront6targetE0EEEvT1_, .Lfunc_end963-_ZN7rocprim17ROCPRIM_400000_NS6detail17trampoline_kernelINS0_14default_configENS1_25partition_config_selectorILNS1_17partition_subalgoE5ExNS0_10empty_typeEbEEZZNS1_14partition_implILS5_5ELb0ES3_mN6thrust23THRUST_200600_302600_NS6detail15normal_iteratorINSA_10device_ptrIxEEEEPS6_NSA_18transform_iteratorINSB_9not_fun_tINSA_8identityIxEEEESF_NSA_11use_defaultESM_EENS0_5tupleIJSF_S6_EEENSO_IJSG_SG_EEES6_PlJS6_EEE10hipError_tPvRmT3_T4_T5_T6_T7_T9_mT8_P12ihipStream_tbDpT10_ENKUlT_T0_E_clISt17integral_constantIbLb1EES1B_EEDaS16_S17_EUlS16_E_NS1_11comp_targetILNS1_3genE9ELNS1_11target_archE1100ELNS1_3gpuE3ELNS1_3repE0EEENS1_30default_config_static_selectorELNS0_4arch9wavefront6targetE0EEEvT1_
                                        ; -- End function
	.set _ZN7rocprim17ROCPRIM_400000_NS6detail17trampoline_kernelINS0_14default_configENS1_25partition_config_selectorILNS1_17partition_subalgoE5ExNS0_10empty_typeEbEEZZNS1_14partition_implILS5_5ELb0ES3_mN6thrust23THRUST_200600_302600_NS6detail15normal_iteratorINSA_10device_ptrIxEEEEPS6_NSA_18transform_iteratorINSB_9not_fun_tINSA_8identityIxEEEESF_NSA_11use_defaultESM_EENS0_5tupleIJSF_S6_EEENSO_IJSG_SG_EEES6_PlJS6_EEE10hipError_tPvRmT3_T4_T5_T6_T7_T9_mT8_P12ihipStream_tbDpT10_ENKUlT_T0_E_clISt17integral_constantIbLb1EES1B_EEDaS16_S17_EUlS16_E_NS1_11comp_targetILNS1_3genE9ELNS1_11target_archE1100ELNS1_3gpuE3ELNS1_3repE0EEENS1_30default_config_static_selectorELNS0_4arch9wavefront6targetE0EEEvT1_.num_vgpr, 0
	.set _ZN7rocprim17ROCPRIM_400000_NS6detail17trampoline_kernelINS0_14default_configENS1_25partition_config_selectorILNS1_17partition_subalgoE5ExNS0_10empty_typeEbEEZZNS1_14partition_implILS5_5ELb0ES3_mN6thrust23THRUST_200600_302600_NS6detail15normal_iteratorINSA_10device_ptrIxEEEEPS6_NSA_18transform_iteratorINSB_9not_fun_tINSA_8identityIxEEEESF_NSA_11use_defaultESM_EENS0_5tupleIJSF_S6_EEENSO_IJSG_SG_EEES6_PlJS6_EEE10hipError_tPvRmT3_T4_T5_T6_T7_T9_mT8_P12ihipStream_tbDpT10_ENKUlT_T0_E_clISt17integral_constantIbLb1EES1B_EEDaS16_S17_EUlS16_E_NS1_11comp_targetILNS1_3genE9ELNS1_11target_archE1100ELNS1_3gpuE3ELNS1_3repE0EEENS1_30default_config_static_selectorELNS0_4arch9wavefront6targetE0EEEvT1_.num_agpr, 0
	.set _ZN7rocprim17ROCPRIM_400000_NS6detail17trampoline_kernelINS0_14default_configENS1_25partition_config_selectorILNS1_17partition_subalgoE5ExNS0_10empty_typeEbEEZZNS1_14partition_implILS5_5ELb0ES3_mN6thrust23THRUST_200600_302600_NS6detail15normal_iteratorINSA_10device_ptrIxEEEEPS6_NSA_18transform_iteratorINSB_9not_fun_tINSA_8identityIxEEEESF_NSA_11use_defaultESM_EENS0_5tupleIJSF_S6_EEENSO_IJSG_SG_EEES6_PlJS6_EEE10hipError_tPvRmT3_T4_T5_T6_T7_T9_mT8_P12ihipStream_tbDpT10_ENKUlT_T0_E_clISt17integral_constantIbLb1EES1B_EEDaS16_S17_EUlS16_E_NS1_11comp_targetILNS1_3genE9ELNS1_11target_archE1100ELNS1_3gpuE3ELNS1_3repE0EEENS1_30default_config_static_selectorELNS0_4arch9wavefront6targetE0EEEvT1_.numbered_sgpr, 0
	.set _ZN7rocprim17ROCPRIM_400000_NS6detail17trampoline_kernelINS0_14default_configENS1_25partition_config_selectorILNS1_17partition_subalgoE5ExNS0_10empty_typeEbEEZZNS1_14partition_implILS5_5ELb0ES3_mN6thrust23THRUST_200600_302600_NS6detail15normal_iteratorINSA_10device_ptrIxEEEEPS6_NSA_18transform_iteratorINSB_9not_fun_tINSA_8identityIxEEEESF_NSA_11use_defaultESM_EENS0_5tupleIJSF_S6_EEENSO_IJSG_SG_EEES6_PlJS6_EEE10hipError_tPvRmT3_T4_T5_T6_T7_T9_mT8_P12ihipStream_tbDpT10_ENKUlT_T0_E_clISt17integral_constantIbLb1EES1B_EEDaS16_S17_EUlS16_E_NS1_11comp_targetILNS1_3genE9ELNS1_11target_archE1100ELNS1_3gpuE3ELNS1_3repE0EEENS1_30default_config_static_selectorELNS0_4arch9wavefront6targetE0EEEvT1_.num_named_barrier, 0
	.set _ZN7rocprim17ROCPRIM_400000_NS6detail17trampoline_kernelINS0_14default_configENS1_25partition_config_selectorILNS1_17partition_subalgoE5ExNS0_10empty_typeEbEEZZNS1_14partition_implILS5_5ELb0ES3_mN6thrust23THRUST_200600_302600_NS6detail15normal_iteratorINSA_10device_ptrIxEEEEPS6_NSA_18transform_iteratorINSB_9not_fun_tINSA_8identityIxEEEESF_NSA_11use_defaultESM_EENS0_5tupleIJSF_S6_EEENSO_IJSG_SG_EEES6_PlJS6_EEE10hipError_tPvRmT3_T4_T5_T6_T7_T9_mT8_P12ihipStream_tbDpT10_ENKUlT_T0_E_clISt17integral_constantIbLb1EES1B_EEDaS16_S17_EUlS16_E_NS1_11comp_targetILNS1_3genE9ELNS1_11target_archE1100ELNS1_3gpuE3ELNS1_3repE0EEENS1_30default_config_static_selectorELNS0_4arch9wavefront6targetE0EEEvT1_.private_seg_size, 0
	.set _ZN7rocprim17ROCPRIM_400000_NS6detail17trampoline_kernelINS0_14default_configENS1_25partition_config_selectorILNS1_17partition_subalgoE5ExNS0_10empty_typeEbEEZZNS1_14partition_implILS5_5ELb0ES3_mN6thrust23THRUST_200600_302600_NS6detail15normal_iteratorINSA_10device_ptrIxEEEEPS6_NSA_18transform_iteratorINSB_9not_fun_tINSA_8identityIxEEEESF_NSA_11use_defaultESM_EENS0_5tupleIJSF_S6_EEENSO_IJSG_SG_EEES6_PlJS6_EEE10hipError_tPvRmT3_T4_T5_T6_T7_T9_mT8_P12ihipStream_tbDpT10_ENKUlT_T0_E_clISt17integral_constantIbLb1EES1B_EEDaS16_S17_EUlS16_E_NS1_11comp_targetILNS1_3genE9ELNS1_11target_archE1100ELNS1_3gpuE3ELNS1_3repE0EEENS1_30default_config_static_selectorELNS0_4arch9wavefront6targetE0EEEvT1_.uses_vcc, 0
	.set _ZN7rocprim17ROCPRIM_400000_NS6detail17trampoline_kernelINS0_14default_configENS1_25partition_config_selectorILNS1_17partition_subalgoE5ExNS0_10empty_typeEbEEZZNS1_14partition_implILS5_5ELb0ES3_mN6thrust23THRUST_200600_302600_NS6detail15normal_iteratorINSA_10device_ptrIxEEEEPS6_NSA_18transform_iteratorINSB_9not_fun_tINSA_8identityIxEEEESF_NSA_11use_defaultESM_EENS0_5tupleIJSF_S6_EEENSO_IJSG_SG_EEES6_PlJS6_EEE10hipError_tPvRmT3_T4_T5_T6_T7_T9_mT8_P12ihipStream_tbDpT10_ENKUlT_T0_E_clISt17integral_constantIbLb1EES1B_EEDaS16_S17_EUlS16_E_NS1_11comp_targetILNS1_3genE9ELNS1_11target_archE1100ELNS1_3gpuE3ELNS1_3repE0EEENS1_30default_config_static_selectorELNS0_4arch9wavefront6targetE0EEEvT1_.uses_flat_scratch, 0
	.set _ZN7rocprim17ROCPRIM_400000_NS6detail17trampoline_kernelINS0_14default_configENS1_25partition_config_selectorILNS1_17partition_subalgoE5ExNS0_10empty_typeEbEEZZNS1_14partition_implILS5_5ELb0ES3_mN6thrust23THRUST_200600_302600_NS6detail15normal_iteratorINSA_10device_ptrIxEEEEPS6_NSA_18transform_iteratorINSB_9not_fun_tINSA_8identityIxEEEESF_NSA_11use_defaultESM_EENS0_5tupleIJSF_S6_EEENSO_IJSG_SG_EEES6_PlJS6_EEE10hipError_tPvRmT3_T4_T5_T6_T7_T9_mT8_P12ihipStream_tbDpT10_ENKUlT_T0_E_clISt17integral_constantIbLb1EES1B_EEDaS16_S17_EUlS16_E_NS1_11comp_targetILNS1_3genE9ELNS1_11target_archE1100ELNS1_3gpuE3ELNS1_3repE0EEENS1_30default_config_static_selectorELNS0_4arch9wavefront6targetE0EEEvT1_.has_dyn_sized_stack, 0
	.set _ZN7rocprim17ROCPRIM_400000_NS6detail17trampoline_kernelINS0_14default_configENS1_25partition_config_selectorILNS1_17partition_subalgoE5ExNS0_10empty_typeEbEEZZNS1_14partition_implILS5_5ELb0ES3_mN6thrust23THRUST_200600_302600_NS6detail15normal_iteratorINSA_10device_ptrIxEEEEPS6_NSA_18transform_iteratorINSB_9not_fun_tINSA_8identityIxEEEESF_NSA_11use_defaultESM_EENS0_5tupleIJSF_S6_EEENSO_IJSG_SG_EEES6_PlJS6_EEE10hipError_tPvRmT3_T4_T5_T6_T7_T9_mT8_P12ihipStream_tbDpT10_ENKUlT_T0_E_clISt17integral_constantIbLb1EES1B_EEDaS16_S17_EUlS16_E_NS1_11comp_targetILNS1_3genE9ELNS1_11target_archE1100ELNS1_3gpuE3ELNS1_3repE0EEENS1_30default_config_static_selectorELNS0_4arch9wavefront6targetE0EEEvT1_.has_recursion, 0
	.set _ZN7rocprim17ROCPRIM_400000_NS6detail17trampoline_kernelINS0_14default_configENS1_25partition_config_selectorILNS1_17partition_subalgoE5ExNS0_10empty_typeEbEEZZNS1_14partition_implILS5_5ELb0ES3_mN6thrust23THRUST_200600_302600_NS6detail15normal_iteratorINSA_10device_ptrIxEEEEPS6_NSA_18transform_iteratorINSB_9not_fun_tINSA_8identityIxEEEESF_NSA_11use_defaultESM_EENS0_5tupleIJSF_S6_EEENSO_IJSG_SG_EEES6_PlJS6_EEE10hipError_tPvRmT3_T4_T5_T6_T7_T9_mT8_P12ihipStream_tbDpT10_ENKUlT_T0_E_clISt17integral_constantIbLb1EES1B_EEDaS16_S17_EUlS16_E_NS1_11comp_targetILNS1_3genE9ELNS1_11target_archE1100ELNS1_3gpuE3ELNS1_3repE0EEENS1_30default_config_static_selectorELNS0_4arch9wavefront6targetE0EEEvT1_.has_indirect_call, 0
	.section	.AMDGPU.csdata,"",@progbits
; Kernel info:
; codeLenInByte = 0
; TotalNumSgprs: 0
; NumVgprs: 0
; ScratchSize: 0
; MemoryBound: 0
; FloatMode: 240
; IeeeMode: 1
; LDSByteSize: 0 bytes/workgroup (compile time only)
; SGPRBlocks: 0
; VGPRBlocks: 0
; NumSGPRsForWavesPerEU: 1
; NumVGPRsForWavesPerEU: 1
; Occupancy: 16
; WaveLimiterHint : 0
; COMPUTE_PGM_RSRC2:SCRATCH_EN: 0
; COMPUTE_PGM_RSRC2:USER_SGPR: 2
; COMPUTE_PGM_RSRC2:TRAP_HANDLER: 0
; COMPUTE_PGM_RSRC2:TGID_X_EN: 1
; COMPUTE_PGM_RSRC2:TGID_Y_EN: 0
; COMPUTE_PGM_RSRC2:TGID_Z_EN: 0
; COMPUTE_PGM_RSRC2:TIDIG_COMP_CNT: 0
	.section	.text._ZN7rocprim17ROCPRIM_400000_NS6detail17trampoline_kernelINS0_14default_configENS1_25partition_config_selectorILNS1_17partition_subalgoE5ExNS0_10empty_typeEbEEZZNS1_14partition_implILS5_5ELb0ES3_mN6thrust23THRUST_200600_302600_NS6detail15normal_iteratorINSA_10device_ptrIxEEEEPS6_NSA_18transform_iteratorINSB_9not_fun_tINSA_8identityIxEEEESF_NSA_11use_defaultESM_EENS0_5tupleIJSF_S6_EEENSO_IJSG_SG_EEES6_PlJS6_EEE10hipError_tPvRmT3_T4_T5_T6_T7_T9_mT8_P12ihipStream_tbDpT10_ENKUlT_T0_E_clISt17integral_constantIbLb1EES1B_EEDaS16_S17_EUlS16_E_NS1_11comp_targetILNS1_3genE8ELNS1_11target_archE1030ELNS1_3gpuE2ELNS1_3repE0EEENS1_30default_config_static_selectorELNS0_4arch9wavefront6targetE0EEEvT1_,"axG",@progbits,_ZN7rocprim17ROCPRIM_400000_NS6detail17trampoline_kernelINS0_14default_configENS1_25partition_config_selectorILNS1_17partition_subalgoE5ExNS0_10empty_typeEbEEZZNS1_14partition_implILS5_5ELb0ES3_mN6thrust23THRUST_200600_302600_NS6detail15normal_iteratorINSA_10device_ptrIxEEEEPS6_NSA_18transform_iteratorINSB_9not_fun_tINSA_8identityIxEEEESF_NSA_11use_defaultESM_EENS0_5tupleIJSF_S6_EEENSO_IJSG_SG_EEES6_PlJS6_EEE10hipError_tPvRmT3_T4_T5_T6_T7_T9_mT8_P12ihipStream_tbDpT10_ENKUlT_T0_E_clISt17integral_constantIbLb1EES1B_EEDaS16_S17_EUlS16_E_NS1_11comp_targetILNS1_3genE8ELNS1_11target_archE1030ELNS1_3gpuE2ELNS1_3repE0EEENS1_30default_config_static_selectorELNS0_4arch9wavefront6targetE0EEEvT1_,comdat
	.protected	_ZN7rocprim17ROCPRIM_400000_NS6detail17trampoline_kernelINS0_14default_configENS1_25partition_config_selectorILNS1_17partition_subalgoE5ExNS0_10empty_typeEbEEZZNS1_14partition_implILS5_5ELb0ES3_mN6thrust23THRUST_200600_302600_NS6detail15normal_iteratorINSA_10device_ptrIxEEEEPS6_NSA_18transform_iteratorINSB_9not_fun_tINSA_8identityIxEEEESF_NSA_11use_defaultESM_EENS0_5tupleIJSF_S6_EEENSO_IJSG_SG_EEES6_PlJS6_EEE10hipError_tPvRmT3_T4_T5_T6_T7_T9_mT8_P12ihipStream_tbDpT10_ENKUlT_T0_E_clISt17integral_constantIbLb1EES1B_EEDaS16_S17_EUlS16_E_NS1_11comp_targetILNS1_3genE8ELNS1_11target_archE1030ELNS1_3gpuE2ELNS1_3repE0EEENS1_30default_config_static_selectorELNS0_4arch9wavefront6targetE0EEEvT1_ ; -- Begin function _ZN7rocprim17ROCPRIM_400000_NS6detail17trampoline_kernelINS0_14default_configENS1_25partition_config_selectorILNS1_17partition_subalgoE5ExNS0_10empty_typeEbEEZZNS1_14partition_implILS5_5ELb0ES3_mN6thrust23THRUST_200600_302600_NS6detail15normal_iteratorINSA_10device_ptrIxEEEEPS6_NSA_18transform_iteratorINSB_9not_fun_tINSA_8identityIxEEEESF_NSA_11use_defaultESM_EENS0_5tupleIJSF_S6_EEENSO_IJSG_SG_EEES6_PlJS6_EEE10hipError_tPvRmT3_T4_T5_T6_T7_T9_mT8_P12ihipStream_tbDpT10_ENKUlT_T0_E_clISt17integral_constantIbLb1EES1B_EEDaS16_S17_EUlS16_E_NS1_11comp_targetILNS1_3genE8ELNS1_11target_archE1030ELNS1_3gpuE2ELNS1_3repE0EEENS1_30default_config_static_selectorELNS0_4arch9wavefront6targetE0EEEvT1_
	.globl	_ZN7rocprim17ROCPRIM_400000_NS6detail17trampoline_kernelINS0_14default_configENS1_25partition_config_selectorILNS1_17partition_subalgoE5ExNS0_10empty_typeEbEEZZNS1_14partition_implILS5_5ELb0ES3_mN6thrust23THRUST_200600_302600_NS6detail15normal_iteratorINSA_10device_ptrIxEEEEPS6_NSA_18transform_iteratorINSB_9not_fun_tINSA_8identityIxEEEESF_NSA_11use_defaultESM_EENS0_5tupleIJSF_S6_EEENSO_IJSG_SG_EEES6_PlJS6_EEE10hipError_tPvRmT3_T4_T5_T6_T7_T9_mT8_P12ihipStream_tbDpT10_ENKUlT_T0_E_clISt17integral_constantIbLb1EES1B_EEDaS16_S17_EUlS16_E_NS1_11comp_targetILNS1_3genE8ELNS1_11target_archE1030ELNS1_3gpuE2ELNS1_3repE0EEENS1_30default_config_static_selectorELNS0_4arch9wavefront6targetE0EEEvT1_
	.p2align	8
	.type	_ZN7rocprim17ROCPRIM_400000_NS6detail17trampoline_kernelINS0_14default_configENS1_25partition_config_selectorILNS1_17partition_subalgoE5ExNS0_10empty_typeEbEEZZNS1_14partition_implILS5_5ELb0ES3_mN6thrust23THRUST_200600_302600_NS6detail15normal_iteratorINSA_10device_ptrIxEEEEPS6_NSA_18transform_iteratorINSB_9not_fun_tINSA_8identityIxEEEESF_NSA_11use_defaultESM_EENS0_5tupleIJSF_S6_EEENSO_IJSG_SG_EEES6_PlJS6_EEE10hipError_tPvRmT3_T4_T5_T6_T7_T9_mT8_P12ihipStream_tbDpT10_ENKUlT_T0_E_clISt17integral_constantIbLb1EES1B_EEDaS16_S17_EUlS16_E_NS1_11comp_targetILNS1_3genE8ELNS1_11target_archE1030ELNS1_3gpuE2ELNS1_3repE0EEENS1_30default_config_static_selectorELNS0_4arch9wavefront6targetE0EEEvT1_,@function
_ZN7rocprim17ROCPRIM_400000_NS6detail17trampoline_kernelINS0_14default_configENS1_25partition_config_selectorILNS1_17partition_subalgoE5ExNS0_10empty_typeEbEEZZNS1_14partition_implILS5_5ELb0ES3_mN6thrust23THRUST_200600_302600_NS6detail15normal_iteratorINSA_10device_ptrIxEEEEPS6_NSA_18transform_iteratorINSB_9not_fun_tINSA_8identityIxEEEESF_NSA_11use_defaultESM_EENS0_5tupleIJSF_S6_EEENSO_IJSG_SG_EEES6_PlJS6_EEE10hipError_tPvRmT3_T4_T5_T6_T7_T9_mT8_P12ihipStream_tbDpT10_ENKUlT_T0_E_clISt17integral_constantIbLb1EES1B_EEDaS16_S17_EUlS16_E_NS1_11comp_targetILNS1_3genE8ELNS1_11target_archE1030ELNS1_3gpuE2ELNS1_3repE0EEENS1_30default_config_static_selectorELNS0_4arch9wavefront6targetE0EEEvT1_: ; @_ZN7rocprim17ROCPRIM_400000_NS6detail17trampoline_kernelINS0_14default_configENS1_25partition_config_selectorILNS1_17partition_subalgoE5ExNS0_10empty_typeEbEEZZNS1_14partition_implILS5_5ELb0ES3_mN6thrust23THRUST_200600_302600_NS6detail15normal_iteratorINSA_10device_ptrIxEEEEPS6_NSA_18transform_iteratorINSB_9not_fun_tINSA_8identityIxEEEESF_NSA_11use_defaultESM_EENS0_5tupleIJSF_S6_EEENSO_IJSG_SG_EEES6_PlJS6_EEE10hipError_tPvRmT3_T4_T5_T6_T7_T9_mT8_P12ihipStream_tbDpT10_ENKUlT_T0_E_clISt17integral_constantIbLb1EES1B_EEDaS16_S17_EUlS16_E_NS1_11comp_targetILNS1_3genE8ELNS1_11target_archE1030ELNS1_3gpuE2ELNS1_3repE0EEENS1_30default_config_static_selectorELNS0_4arch9wavefront6targetE0EEEvT1_
; %bb.0:
	.section	.rodata,"a",@progbits
	.p2align	6, 0x0
	.amdhsa_kernel _ZN7rocprim17ROCPRIM_400000_NS6detail17trampoline_kernelINS0_14default_configENS1_25partition_config_selectorILNS1_17partition_subalgoE5ExNS0_10empty_typeEbEEZZNS1_14partition_implILS5_5ELb0ES3_mN6thrust23THRUST_200600_302600_NS6detail15normal_iteratorINSA_10device_ptrIxEEEEPS6_NSA_18transform_iteratorINSB_9not_fun_tINSA_8identityIxEEEESF_NSA_11use_defaultESM_EENS0_5tupleIJSF_S6_EEENSO_IJSG_SG_EEES6_PlJS6_EEE10hipError_tPvRmT3_T4_T5_T6_T7_T9_mT8_P12ihipStream_tbDpT10_ENKUlT_T0_E_clISt17integral_constantIbLb1EES1B_EEDaS16_S17_EUlS16_E_NS1_11comp_targetILNS1_3genE8ELNS1_11target_archE1030ELNS1_3gpuE2ELNS1_3repE0EEENS1_30default_config_static_selectorELNS0_4arch9wavefront6targetE0EEEvT1_
		.amdhsa_group_segment_fixed_size 0
		.amdhsa_private_segment_fixed_size 0
		.amdhsa_kernarg_size 136
		.amdhsa_user_sgpr_count 2
		.amdhsa_user_sgpr_dispatch_ptr 0
		.amdhsa_user_sgpr_queue_ptr 0
		.amdhsa_user_sgpr_kernarg_segment_ptr 1
		.amdhsa_user_sgpr_dispatch_id 0
		.amdhsa_user_sgpr_private_segment_size 0
		.amdhsa_wavefront_size32 1
		.amdhsa_uses_dynamic_stack 0
		.amdhsa_enable_private_segment 0
		.amdhsa_system_sgpr_workgroup_id_x 1
		.amdhsa_system_sgpr_workgroup_id_y 0
		.amdhsa_system_sgpr_workgroup_id_z 0
		.amdhsa_system_sgpr_workgroup_info 0
		.amdhsa_system_vgpr_workitem_id 0
		.amdhsa_next_free_vgpr 1
		.amdhsa_next_free_sgpr 1
		.amdhsa_reserve_vcc 0
		.amdhsa_float_round_mode_32 0
		.amdhsa_float_round_mode_16_64 0
		.amdhsa_float_denorm_mode_32 3
		.amdhsa_float_denorm_mode_16_64 3
		.amdhsa_fp16_overflow 0
		.amdhsa_workgroup_processor_mode 1
		.amdhsa_memory_ordered 1
		.amdhsa_forward_progress 1
		.amdhsa_inst_pref_size 0
		.amdhsa_round_robin_scheduling 0
		.amdhsa_exception_fp_ieee_invalid_op 0
		.amdhsa_exception_fp_denorm_src 0
		.amdhsa_exception_fp_ieee_div_zero 0
		.amdhsa_exception_fp_ieee_overflow 0
		.amdhsa_exception_fp_ieee_underflow 0
		.amdhsa_exception_fp_ieee_inexact 0
		.amdhsa_exception_int_div_zero 0
	.end_amdhsa_kernel
	.section	.text._ZN7rocprim17ROCPRIM_400000_NS6detail17trampoline_kernelINS0_14default_configENS1_25partition_config_selectorILNS1_17partition_subalgoE5ExNS0_10empty_typeEbEEZZNS1_14partition_implILS5_5ELb0ES3_mN6thrust23THRUST_200600_302600_NS6detail15normal_iteratorINSA_10device_ptrIxEEEEPS6_NSA_18transform_iteratorINSB_9not_fun_tINSA_8identityIxEEEESF_NSA_11use_defaultESM_EENS0_5tupleIJSF_S6_EEENSO_IJSG_SG_EEES6_PlJS6_EEE10hipError_tPvRmT3_T4_T5_T6_T7_T9_mT8_P12ihipStream_tbDpT10_ENKUlT_T0_E_clISt17integral_constantIbLb1EES1B_EEDaS16_S17_EUlS16_E_NS1_11comp_targetILNS1_3genE8ELNS1_11target_archE1030ELNS1_3gpuE2ELNS1_3repE0EEENS1_30default_config_static_selectorELNS0_4arch9wavefront6targetE0EEEvT1_,"axG",@progbits,_ZN7rocprim17ROCPRIM_400000_NS6detail17trampoline_kernelINS0_14default_configENS1_25partition_config_selectorILNS1_17partition_subalgoE5ExNS0_10empty_typeEbEEZZNS1_14partition_implILS5_5ELb0ES3_mN6thrust23THRUST_200600_302600_NS6detail15normal_iteratorINSA_10device_ptrIxEEEEPS6_NSA_18transform_iteratorINSB_9not_fun_tINSA_8identityIxEEEESF_NSA_11use_defaultESM_EENS0_5tupleIJSF_S6_EEENSO_IJSG_SG_EEES6_PlJS6_EEE10hipError_tPvRmT3_T4_T5_T6_T7_T9_mT8_P12ihipStream_tbDpT10_ENKUlT_T0_E_clISt17integral_constantIbLb1EES1B_EEDaS16_S17_EUlS16_E_NS1_11comp_targetILNS1_3genE8ELNS1_11target_archE1030ELNS1_3gpuE2ELNS1_3repE0EEENS1_30default_config_static_selectorELNS0_4arch9wavefront6targetE0EEEvT1_,comdat
.Lfunc_end964:
	.size	_ZN7rocprim17ROCPRIM_400000_NS6detail17trampoline_kernelINS0_14default_configENS1_25partition_config_selectorILNS1_17partition_subalgoE5ExNS0_10empty_typeEbEEZZNS1_14partition_implILS5_5ELb0ES3_mN6thrust23THRUST_200600_302600_NS6detail15normal_iteratorINSA_10device_ptrIxEEEEPS6_NSA_18transform_iteratorINSB_9not_fun_tINSA_8identityIxEEEESF_NSA_11use_defaultESM_EENS0_5tupleIJSF_S6_EEENSO_IJSG_SG_EEES6_PlJS6_EEE10hipError_tPvRmT3_T4_T5_T6_T7_T9_mT8_P12ihipStream_tbDpT10_ENKUlT_T0_E_clISt17integral_constantIbLb1EES1B_EEDaS16_S17_EUlS16_E_NS1_11comp_targetILNS1_3genE8ELNS1_11target_archE1030ELNS1_3gpuE2ELNS1_3repE0EEENS1_30default_config_static_selectorELNS0_4arch9wavefront6targetE0EEEvT1_, .Lfunc_end964-_ZN7rocprim17ROCPRIM_400000_NS6detail17trampoline_kernelINS0_14default_configENS1_25partition_config_selectorILNS1_17partition_subalgoE5ExNS0_10empty_typeEbEEZZNS1_14partition_implILS5_5ELb0ES3_mN6thrust23THRUST_200600_302600_NS6detail15normal_iteratorINSA_10device_ptrIxEEEEPS6_NSA_18transform_iteratorINSB_9not_fun_tINSA_8identityIxEEEESF_NSA_11use_defaultESM_EENS0_5tupleIJSF_S6_EEENSO_IJSG_SG_EEES6_PlJS6_EEE10hipError_tPvRmT3_T4_T5_T6_T7_T9_mT8_P12ihipStream_tbDpT10_ENKUlT_T0_E_clISt17integral_constantIbLb1EES1B_EEDaS16_S17_EUlS16_E_NS1_11comp_targetILNS1_3genE8ELNS1_11target_archE1030ELNS1_3gpuE2ELNS1_3repE0EEENS1_30default_config_static_selectorELNS0_4arch9wavefront6targetE0EEEvT1_
                                        ; -- End function
	.set _ZN7rocprim17ROCPRIM_400000_NS6detail17trampoline_kernelINS0_14default_configENS1_25partition_config_selectorILNS1_17partition_subalgoE5ExNS0_10empty_typeEbEEZZNS1_14partition_implILS5_5ELb0ES3_mN6thrust23THRUST_200600_302600_NS6detail15normal_iteratorINSA_10device_ptrIxEEEEPS6_NSA_18transform_iteratorINSB_9not_fun_tINSA_8identityIxEEEESF_NSA_11use_defaultESM_EENS0_5tupleIJSF_S6_EEENSO_IJSG_SG_EEES6_PlJS6_EEE10hipError_tPvRmT3_T4_T5_T6_T7_T9_mT8_P12ihipStream_tbDpT10_ENKUlT_T0_E_clISt17integral_constantIbLb1EES1B_EEDaS16_S17_EUlS16_E_NS1_11comp_targetILNS1_3genE8ELNS1_11target_archE1030ELNS1_3gpuE2ELNS1_3repE0EEENS1_30default_config_static_selectorELNS0_4arch9wavefront6targetE0EEEvT1_.num_vgpr, 0
	.set _ZN7rocprim17ROCPRIM_400000_NS6detail17trampoline_kernelINS0_14default_configENS1_25partition_config_selectorILNS1_17partition_subalgoE5ExNS0_10empty_typeEbEEZZNS1_14partition_implILS5_5ELb0ES3_mN6thrust23THRUST_200600_302600_NS6detail15normal_iteratorINSA_10device_ptrIxEEEEPS6_NSA_18transform_iteratorINSB_9not_fun_tINSA_8identityIxEEEESF_NSA_11use_defaultESM_EENS0_5tupleIJSF_S6_EEENSO_IJSG_SG_EEES6_PlJS6_EEE10hipError_tPvRmT3_T4_T5_T6_T7_T9_mT8_P12ihipStream_tbDpT10_ENKUlT_T0_E_clISt17integral_constantIbLb1EES1B_EEDaS16_S17_EUlS16_E_NS1_11comp_targetILNS1_3genE8ELNS1_11target_archE1030ELNS1_3gpuE2ELNS1_3repE0EEENS1_30default_config_static_selectorELNS0_4arch9wavefront6targetE0EEEvT1_.num_agpr, 0
	.set _ZN7rocprim17ROCPRIM_400000_NS6detail17trampoline_kernelINS0_14default_configENS1_25partition_config_selectorILNS1_17partition_subalgoE5ExNS0_10empty_typeEbEEZZNS1_14partition_implILS5_5ELb0ES3_mN6thrust23THRUST_200600_302600_NS6detail15normal_iteratorINSA_10device_ptrIxEEEEPS6_NSA_18transform_iteratorINSB_9not_fun_tINSA_8identityIxEEEESF_NSA_11use_defaultESM_EENS0_5tupleIJSF_S6_EEENSO_IJSG_SG_EEES6_PlJS6_EEE10hipError_tPvRmT3_T4_T5_T6_T7_T9_mT8_P12ihipStream_tbDpT10_ENKUlT_T0_E_clISt17integral_constantIbLb1EES1B_EEDaS16_S17_EUlS16_E_NS1_11comp_targetILNS1_3genE8ELNS1_11target_archE1030ELNS1_3gpuE2ELNS1_3repE0EEENS1_30default_config_static_selectorELNS0_4arch9wavefront6targetE0EEEvT1_.numbered_sgpr, 0
	.set _ZN7rocprim17ROCPRIM_400000_NS6detail17trampoline_kernelINS0_14default_configENS1_25partition_config_selectorILNS1_17partition_subalgoE5ExNS0_10empty_typeEbEEZZNS1_14partition_implILS5_5ELb0ES3_mN6thrust23THRUST_200600_302600_NS6detail15normal_iteratorINSA_10device_ptrIxEEEEPS6_NSA_18transform_iteratorINSB_9not_fun_tINSA_8identityIxEEEESF_NSA_11use_defaultESM_EENS0_5tupleIJSF_S6_EEENSO_IJSG_SG_EEES6_PlJS6_EEE10hipError_tPvRmT3_T4_T5_T6_T7_T9_mT8_P12ihipStream_tbDpT10_ENKUlT_T0_E_clISt17integral_constantIbLb1EES1B_EEDaS16_S17_EUlS16_E_NS1_11comp_targetILNS1_3genE8ELNS1_11target_archE1030ELNS1_3gpuE2ELNS1_3repE0EEENS1_30default_config_static_selectorELNS0_4arch9wavefront6targetE0EEEvT1_.num_named_barrier, 0
	.set _ZN7rocprim17ROCPRIM_400000_NS6detail17trampoline_kernelINS0_14default_configENS1_25partition_config_selectorILNS1_17partition_subalgoE5ExNS0_10empty_typeEbEEZZNS1_14partition_implILS5_5ELb0ES3_mN6thrust23THRUST_200600_302600_NS6detail15normal_iteratorINSA_10device_ptrIxEEEEPS6_NSA_18transform_iteratorINSB_9not_fun_tINSA_8identityIxEEEESF_NSA_11use_defaultESM_EENS0_5tupleIJSF_S6_EEENSO_IJSG_SG_EEES6_PlJS6_EEE10hipError_tPvRmT3_T4_T5_T6_T7_T9_mT8_P12ihipStream_tbDpT10_ENKUlT_T0_E_clISt17integral_constantIbLb1EES1B_EEDaS16_S17_EUlS16_E_NS1_11comp_targetILNS1_3genE8ELNS1_11target_archE1030ELNS1_3gpuE2ELNS1_3repE0EEENS1_30default_config_static_selectorELNS0_4arch9wavefront6targetE0EEEvT1_.private_seg_size, 0
	.set _ZN7rocprim17ROCPRIM_400000_NS6detail17trampoline_kernelINS0_14default_configENS1_25partition_config_selectorILNS1_17partition_subalgoE5ExNS0_10empty_typeEbEEZZNS1_14partition_implILS5_5ELb0ES3_mN6thrust23THRUST_200600_302600_NS6detail15normal_iteratorINSA_10device_ptrIxEEEEPS6_NSA_18transform_iteratorINSB_9not_fun_tINSA_8identityIxEEEESF_NSA_11use_defaultESM_EENS0_5tupleIJSF_S6_EEENSO_IJSG_SG_EEES6_PlJS6_EEE10hipError_tPvRmT3_T4_T5_T6_T7_T9_mT8_P12ihipStream_tbDpT10_ENKUlT_T0_E_clISt17integral_constantIbLb1EES1B_EEDaS16_S17_EUlS16_E_NS1_11comp_targetILNS1_3genE8ELNS1_11target_archE1030ELNS1_3gpuE2ELNS1_3repE0EEENS1_30default_config_static_selectorELNS0_4arch9wavefront6targetE0EEEvT1_.uses_vcc, 0
	.set _ZN7rocprim17ROCPRIM_400000_NS6detail17trampoline_kernelINS0_14default_configENS1_25partition_config_selectorILNS1_17partition_subalgoE5ExNS0_10empty_typeEbEEZZNS1_14partition_implILS5_5ELb0ES3_mN6thrust23THRUST_200600_302600_NS6detail15normal_iteratorINSA_10device_ptrIxEEEEPS6_NSA_18transform_iteratorINSB_9not_fun_tINSA_8identityIxEEEESF_NSA_11use_defaultESM_EENS0_5tupleIJSF_S6_EEENSO_IJSG_SG_EEES6_PlJS6_EEE10hipError_tPvRmT3_T4_T5_T6_T7_T9_mT8_P12ihipStream_tbDpT10_ENKUlT_T0_E_clISt17integral_constantIbLb1EES1B_EEDaS16_S17_EUlS16_E_NS1_11comp_targetILNS1_3genE8ELNS1_11target_archE1030ELNS1_3gpuE2ELNS1_3repE0EEENS1_30default_config_static_selectorELNS0_4arch9wavefront6targetE0EEEvT1_.uses_flat_scratch, 0
	.set _ZN7rocprim17ROCPRIM_400000_NS6detail17trampoline_kernelINS0_14default_configENS1_25partition_config_selectorILNS1_17partition_subalgoE5ExNS0_10empty_typeEbEEZZNS1_14partition_implILS5_5ELb0ES3_mN6thrust23THRUST_200600_302600_NS6detail15normal_iteratorINSA_10device_ptrIxEEEEPS6_NSA_18transform_iteratorINSB_9not_fun_tINSA_8identityIxEEEESF_NSA_11use_defaultESM_EENS0_5tupleIJSF_S6_EEENSO_IJSG_SG_EEES6_PlJS6_EEE10hipError_tPvRmT3_T4_T5_T6_T7_T9_mT8_P12ihipStream_tbDpT10_ENKUlT_T0_E_clISt17integral_constantIbLb1EES1B_EEDaS16_S17_EUlS16_E_NS1_11comp_targetILNS1_3genE8ELNS1_11target_archE1030ELNS1_3gpuE2ELNS1_3repE0EEENS1_30default_config_static_selectorELNS0_4arch9wavefront6targetE0EEEvT1_.has_dyn_sized_stack, 0
	.set _ZN7rocprim17ROCPRIM_400000_NS6detail17trampoline_kernelINS0_14default_configENS1_25partition_config_selectorILNS1_17partition_subalgoE5ExNS0_10empty_typeEbEEZZNS1_14partition_implILS5_5ELb0ES3_mN6thrust23THRUST_200600_302600_NS6detail15normal_iteratorINSA_10device_ptrIxEEEEPS6_NSA_18transform_iteratorINSB_9not_fun_tINSA_8identityIxEEEESF_NSA_11use_defaultESM_EENS0_5tupleIJSF_S6_EEENSO_IJSG_SG_EEES6_PlJS6_EEE10hipError_tPvRmT3_T4_T5_T6_T7_T9_mT8_P12ihipStream_tbDpT10_ENKUlT_T0_E_clISt17integral_constantIbLb1EES1B_EEDaS16_S17_EUlS16_E_NS1_11comp_targetILNS1_3genE8ELNS1_11target_archE1030ELNS1_3gpuE2ELNS1_3repE0EEENS1_30default_config_static_selectorELNS0_4arch9wavefront6targetE0EEEvT1_.has_recursion, 0
	.set _ZN7rocprim17ROCPRIM_400000_NS6detail17trampoline_kernelINS0_14default_configENS1_25partition_config_selectorILNS1_17partition_subalgoE5ExNS0_10empty_typeEbEEZZNS1_14partition_implILS5_5ELb0ES3_mN6thrust23THRUST_200600_302600_NS6detail15normal_iteratorINSA_10device_ptrIxEEEEPS6_NSA_18transform_iteratorINSB_9not_fun_tINSA_8identityIxEEEESF_NSA_11use_defaultESM_EENS0_5tupleIJSF_S6_EEENSO_IJSG_SG_EEES6_PlJS6_EEE10hipError_tPvRmT3_T4_T5_T6_T7_T9_mT8_P12ihipStream_tbDpT10_ENKUlT_T0_E_clISt17integral_constantIbLb1EES1B_EEDaS16_S17_EUlS16_E_NS1_11comp_targetILNS1_3genE8ELNS1_11target_archE1030ELNS1_3gpuE2ELNS1_3repE0EEENS1_30default_config_static_selectorELNS0_4arch9wavefront6targetE0EEEvT1_.has_indirect_call, 0
	.section	.AMDGPU.csdata,"",@progbits
; Kernel info:
; codeLenInByte = 0
; TotalNumSgprs: 0
; NumVgprs: 0
; ScratchSize: 0
; MemoryBound: 0
; FloatMode: 240
; IeeeMode: 1
; LDSByteSize: 0 bytes/workgroup (compile time only)
; SGPRBlocks: 0
; VGPRBlocks: 0
; NumSGPRsForWavesPerEU: 1
; NumVGPRsForWavesPerEU: 1
; Occupancy: 16
; WaveLimiterHint : 0
; COMPUTE_PGM_RSRC2:SCRATCH_EN: 0
; COMPUTE_PGM_RSRC2:USER_SGPR: 2
; COMPUTE_PGM_RSRC2:TRAP_HANDLER: 0
; COMPUTE_PGM_RSRC2:TGID_X_EN: 1
; COMPUTE_PGM_RSRC2:TGID_Y_EN: 0
; COMPUTE_PGM_RSRC2:TGID_Z_EN: 0
; COMPUTE_PGM_RSRC2:TIDIG_COMP_CNT: 0
	.section	.text._ZN7rocprim17ROCPRIM_400000_NS6detail17trampoline_kernelINS0_14default_configENS1_25partition_config_selectorILNS1_17partition_subalgoE5ExNS0_10empty_typeEbEEZZNS1_14partition_implILS5_5ELb0ES3_mN6thrust23THRUST_200600_302600_NS6detail15normal_iteratorINSA_10device_ptrIxEEEEPS6_NSA_18transform_iteratorINSB_9not_fun_tINSA_8identityIxEEEESF_NSA_11use_defaultESM_EENS0_5tupleIJSF_S6_EEENSO_IJSG_SG_EEES6_PlJS6_EEE10hipError_tPvRmT3_T4_T5_T6_T7_T9_mT8_P12ihipStream_tbDpT10_ENKUlT_T0_E_clISt17integral_constantIbLb1EES1A_IbLb0EEEEDaS16_S17_EUlS16_E_NS1_11comp_targetILNS1_3genE0ELNS1_11target_archE4294967295ELNS1_3gpuE0ELNS1_3repE0EEENS1_30default_config_static_selectorELNS0_4arch9wavefront6targetE0EEEvT1_,"axG",@progbits,_ZN7rocprim17ROCPRIM_400000_NS6detail17trampoline_kernelINS0_14default_configENS1_25partition_config_selectorILNS1_17partition_subalgoE5ExNS0_10empty_typeEbEEZZNS1_14partition_implILS5_5ELb0ES3_mN6thrust23THRUST_200600_302600_NS6detail15normal_iteratorINSA_10device_ptrIxEEEEPS6_NSA_18transform_iteratorINSB_9not_fun_tINSA_8identityIxEEEESF_NSA_11use_defaultESM_EENS0_5tupleIJSF_S6_EEENSO_IJSG_SG_EEES6_PlJS6_EEE10hipError_tPvRmT3_T4_T5_T6_T7_T9_mT8_P12ihipStream_tbDpT10_ENKUlT_T0_E_clISt17integral_constantIbLb1EES1A_IbLb0EEEEDaS16_S17_EUlS16_E_NS1_11comp_targetILNS1_3genE0ELNS1_11target_archE4294967295ELNS1_3gpuE0ELNS1_3repE0EEENS1_30default_config_static_selectorELNS0_4arch9wavefront6targetE0EEEvT1_,comdat
	.protected	_ZN7rocprim17ROCPRIM_400000_NS6detail17trampoline_kernelINS0_14default_configENS1_25partition_config_selectorILNS1_17partition_subalgoE5ExNS0_10empty_typeEbEEZZNS1_14partition_implILS5_5ELb0ES3_mN6thrust23THRUST_200600_302600_NS6detail15normal_iteratorINSA_10device_ptrIxEEEEPS6_NSA_18transform_iteratorINSB_9not_fun_tINSA_8identityIxEEEESF_NSA_11use_defaultESM_EENS0_5tupleIJSF_S6_EEENSO_IJSG_SG_EEES6_PlJS6_EEE10hipError_tPvRmT3_T4_T5_T6_T7_T9_mT8_P12ihipStream_tbDpT10_ENKUlT_T0_E_clISt17integral_constantIbLb1EES1A_IbLb0EEEEDaS16_S17_EUlS16_E_NS1_11comp_targetILNS1_3genE0ELNS1_11target_archE4294967295ELNS1_3gpuE0ELNS1_3repE0EEENS1_30default_config_static_selectorELNS0_4arch9wavefront6targetE0EEEvT1_ ; -- Begin function _ZN7rocprim17ROCPRIM_400000_NS6detail17trampoline_kernelINS0_14default_configENS1_25partition_config_selectorILNS1_17partition_subalgoE5ExNS0_10empty_typeEbEEZZNS1_14partition_implILS5_5ELb0ES3_mN6thrust23THRUST_200600_302600_NS6detail15normal_iteratorINSA_10device_ptrIxEEEEPS6_NSA_18transform_iteratorINSB_9not_fun_tINSA_8identityIxEEEESF_NSA_11use_defaultESM_EENS0_5tupleIJSF_S6_EEENSO_IJSG_SG_EEES6_PlJS6_EEE10hipError_tPvRmT3_T4_T5_T6_T7_T9_mT8_P12ihipStream_tbDpT10_ENKUlT_T0_E_clISt17integral_constantIbLb1EES1A_IbLb0EEEEDaS16_S17_EUlS16_E_NS1_11comp_targetILNS1_3genE0ELNS1_11target_archE4294967295ELNS1_3gpuE0ELNS1_3repE0EEENS1_30default_config_static_selectorELNS0_4arch9wavefront6targetE0EEEvT1_
	.globl	_ZN7rocprim17ROCPRIM_400000_NS6detail17trampoline_kernelINS0_14default_configENS1_25partition_config_selectorILNS1_17partition_subalgoE5ExNS0_10empty_typeEbEEZZNS1_14partition_implILS5_5ELb0ES3_mN6thrust23THRUST_200600_302600_NS6detail15normal_iteratorINSA_10device_ptrIxEEEEPS6_NSA_18transform_iteratorINSB_9not_fun_tINSA_8identityIxEEEESF_NSA_11use_defaultESM_EENS0_5tupleIJSF_S6_EEENSO_IJSG_SG_EEES6_PlJS6_EEE10hipError_tPvRmT3_T4_T5_T6_T7_T9_mT8_P12ihipStream_tbDpT10_ENKUlT_T0_E_clISt17integral_constantIbLb1EES1A_IbLb0EEEEDaS16_S17_EUlS16_E_NS1_11comp_targetILNS1_3genE0ELNS1_11target_archE4294967295ELNS1_3gpuE0ELNS1_3repE0EEENS1_30default_config_static_selectorELNS0_4arch9wavefront6targetE0EEEvT1_
	.p2align	8
	.type	_ZN7rocprim17ROCPRIM_400000_NS6detail17trampoline_kernelINS0_14default_configENS1_25partition_config_selectorILNS1_17partition_subalgoE5ExNS0_10empty_typeEbEEZZNS1_14partition_implILS5_5ELb0ES3_mN6thrust23THRUST_200600_302600_NS6detail15normal_iteratorINSA_10device_ptrIxEEEEPS6_NSA_18transform_iteratorINSB_9not_fun_tINSA_8identityIxEEEESF_NSA_11use_defaultESM_EENS0_5tupleIJSF_S6_EEENSO_IJSG_SG_EEES6_PlJS6_EEE10hipError_tPvRmT3_T4_T5_T6_T7_T9_mT8_P12ihipStream_tbDpT10_ENKUlT_T0_E_clISt17integral_constantIbLb1EES1A_IbLb0EEEEDaS16_S17_EUlS16_E_NS1_11comp_targetILNS1_3genE0ELNS1_11target_archE4294967295ELNS1_3gpuE0ELNS1_3repE0EEENS1_30default_config_static_selectorELNS0_4arch9wavefront6targetE0EEEvT1_,@function
_ZN7rocprim17ROCPRIM_400000_NS6detail17trampoline_kernelINS0_14default_configENS1_25partition_config_selectorILNS1_17partition_subalgoE5ExNS0_10empty_typeEbEEZZNS1_14partition_implILS5_5ELb0ES3_mN6thrust23THRUST_200600_302600_NS6detail15normal_iteratorINSA_10device_ptrIxEEEEPS6_NSA_18transform_iteratorINSB_9not_fun_tINSA_8identityIxEEEESF_NSA_11use_defaultESM_EENS0_5tupleIJSF_S6_EEENSO_IJSG_SG_EEES6_PlJS6_EEE10hipError_tPvRmT3_T4_T5_T6_T7_T9_mT8_P12ihipStream_tbDpT10_ENKUlT_T0_E_clISt17integral_constantIbLb1EES1A_IbLb0EEEEDaS16_S17_EUlS16_E_NS1_11comp_targetILNS1_3genE0ELNS1_11target_archE4294967295ELNS1_3gpuE0ELNS1_3repE0EEENS1_30default_config_static_selectorELNS0_4arch9wavefront6targetE0EEEvT1_: ; @_ZN7rocprim17ROCPRIM_400000_NS6detail17trampoline_kernelINS0_14default_configENS1_25partition_config_selectorILNS1_17partition_subalgoE5ExNS0_10empty_typeEbEEZZNS1_14partition_implILS5_5ELb0ES3_mN6thrust23THRUST_200600_302600_NS6detail15normal_iteratorINSA_10device_ptrIxEEEEPS6_NSA_18transform_iteratorINSB_9not_fun_tINSA_8identityIxEEEESF_NSA_11use_defaultESM_EENS0_5tupleIJSF_S6_EEENSO_IJSG_SG_EEES6_PlJS6_EEE10hipError_tPvRmT3_T4_T5_T6_T7_T9_mT8_P12ihipStream_tbDpT10_ENKUlT_T0_E_clISt17integral_constantIbLb1EES1A_IbLb0EEEEDaS16_S17_EUlS16_E_NS1_11comp_targetILNS1_3genE0ELNS1_11target_archE4294967295ELNS1_3gpuE0ELNS1_3repE0EEENS1_30default_config_static_selectorELNS0_4arch9wavefront6targetE0EEEvT1_
; %bb.0:
	.section	.rodata,"a",@progbits
	.p2align	6, 0x0
	.amdhsa_kernel _ZN7rocprim17ROCPRIM_400000_NS6detail17trampoline_kernelINS0_14default_configENS1_25partition_config_selectorILNS1_17partition_subalgoE5ExNS0_10empty_typeEbEEZZNS1_14partition_implILS5_5ELb0ES3_mN6thrust23THRUST_200600_302600_NS6detail15normal_iteratorINSA_10device_ptrIxEEEEPS6_NSA_18transform_iteratorINSB_9not_fun_tINSA_8identityIxEEEESF_NSA_11use_defaultESM_EENS0_5tupleIJSF_S6_EEENSO_IJSG_SG_EEES6_PlJS6_EEE10hipError_tPvRmT3_T4_T5_T6_T7_T9_mT8_P12ihipStream_tbDpT10_ENKUlT_T0_E_clISt17integral_constantIbLb1EES1A_IbLb0EEEEDaS16_S17_EUlS16_E_NS1_11comp_targetILNS1_3genE0ELNS1_11target_archE4294967295ELNS1_3gpuE0ELNS1_3repE0EEENS1_30default_config_static_selectorELNS0_4arch9wavefront6targetE0EEEvT1_
		.amdhsa_group_segment_fixed_size 0
		.amdhsa_private_segment_fixed_size 0
		.amdhsa_kernarg_size 120
		.amdhsa_user_sgpr_count 2
		.amdhsa_user_sgpr_dispatch_ptr 0
		.amdhsa_user_sgpr_queue_ptr 0
		.amdhsa_user_sgpr_kernarg_segment_ptr 1
		.amdhsa_user_sgpr_dispatch_id 0
		.amdhsa_user_sgpr_private_segment_size 0
		.amdhsa_wavefront_size32 1
		.amdhsa_uses_dynamic_stack 0
		.amdhsa_enable_private_segment 0
		.amdhsa_system_sgpr_workgroup_id_x 1
		.amdhsa_system_sgpr_workgroup_id_y 0
		.amdhsa_system_sgpr_workgroup_id_z 0
		.amdhsa_system_sgpr_workgroup_info 0
		.amdhsa_system_vgpr_workitem_id 0
		.amdhsa_next_free_vgpr 1
		.amdhsa_next_free_sgpr 1
		.amdhsa_reserve_vcc 0
		.amdhsa_float_round_mode_32 0
		.amdhsa_float_round_mode_16_64 0
		.amdhsa_float_denorm_mode_32 3
		.amdhsa_float_denorm_mode_16_64 3
		.amdhsa_fp16_overflow 0
		.amdhsa_workgroup_processor_mode 1
		.amdhsa_memory_ordered 1
		.amdhsa_forward_progress 1
		.amdhsa_inst_pref_size 0
		.amdhsa_round_robin_scheduling 0
		.amdhsa_exception_fp_ieee_invalid_op 0
		.amdhsa_exception_fp_denorm_src 0
		.amdhsa_exception_fp_ieee_div_zero 0
		.amdhsa_exception_fp_ieee_overflow 0
		.amdhsa_exception_fp_ieee_underflow 0
		.amdhsa_exception_fp_ieee_inexact 0
		.amdhsa_exception_int_div_zero 0
	.end_amdhsa_kernel
	.section	.text._ZN7rocprim17ROCPRIM_400000_NS6detail17trampoline_kernelINS0_14default_configENS1_25partition_config_selectorILNS1_17partition_subalgoE5ExNS0_10empty_typeEbEEZZNS1_14partition_implILS5_5ELb0ES3_mN6thrust23THRUST_200600_302600_NS6detail15normal_iteratorINSA_10device_ptrIxEEEEPS6_NSA_18transform_iteratorINSB_9not_fun_tINSA_8identityIxEEEESF_NSA_11use_defaultESM_EENS0_5tupleIJSF_S6_EEENSO_IJSG_SG_EEES6_PlJS6_EEE10hipError_tPvRmT3_T4_T5_T6_T7_T9_mT8_P12ihipStream_tbDpT10_ENKUlT_T0_E_clISt17integral_constantIbLb1EES1A_IbLb0EEEEDaS16_S17_EUlS16_E_NS1_11comp_targetILNS1_3genE0ELNS1_11target_archE4294967295ELNS1_3gpuE0ELNS1_3repE0EEENS1_30default_config_static_selectorELNS0_4arch9wavefront6targetE0EEEvT1_,"axG",@progbits,_ZN7rocprim17ROCPRIM_400000_NS6detail17trampoline_kernelINS0_14default_configENS1_25partition_config_selectorILNS1_17partition_subalgoE5ExNS0_10empty_typeEbEEZZNS1_14partition_implILS5_5ELb0ES3_mN6thrust23THRUST_200600_302600_NS6detail15normal_iteratorINSA_10device_ptrIxEEEEPS6_NSA_18transform_iteratorINSB_9not_fun_tINSA_8identityIxEEEESF_NSA_11use_defaultESM_EENS0_5tupleIJSF_S6_EEENSO_IJSG_SG_EEES6_PlJS6_EEE10hipError_tPvRmT3_T4_T5_T6_T7_T9_mT8_P12ihipStream_tbDpT10_ENKUlT_T0_E_clISt17integral_constantIbLb1EES1A_IbLb0EEEEDaS16_S17_EUlS16_E_NS1_11comp_targetILNS1_3genE0ELNS1_11target_archE4294967295ELNS1_3gpuE0ELNS1_3repE0EEENS1_30default_config_static_selectorELNS0_4arch9wavefront6targetE0EEEvT1_,comdat
.Lfunc_end965:
	.size	_ZN7rocprim17ROCPRIM_400000_NS6detail17trampoline_kernelINS0_14default_configENS1_25partition_config_selectorILNS1_17partition_subalgoE5ExNS0_10empty_typeEbEEZZNS1_14partition_implILS5_5ELb0ES3_mN6thrust23THRUST_200600_302600_NS6detail15normal_iteratorINSA_10device_ptrIxEEEEPS6_NSA_18transform_iteratorINSB_9not_fun_tINSA_8identityIxEEEESF_NSA_11use_defaultESM_EENS0_5tupleIJSF_S6_EEENSO_IJSG_SG_EEES6_PlJS6_EEE10hipError_tPvRmT3_T4_T5_T6_T7_T9_mT8_P12ihipStream_tbDpT10_ENKUlT_T0_E_clISt17integral_constantIbLb1EES1A_IbLb0EEEEDaS16_S17_EUlS16_E_NS1_11comp_targetILNS1_3genE0ELNS1_11target_archE4294967295ELNS1_3gpuE0ELNS1_3repE0EEENS1_30default_config_static_selectorELNS0_4arch9wavefront6targetE0EEEvT1_, .Lfunc_end965-_ZN7rocprim17ROCPRIM_400000_NS6detail17trampoline_kernelINS0_14default_configENS1_25partition_config_selectorILNS1_17partition_subalgoE5ExNS0_10empty_typeEbEEZZNS1_14partition_implILS5_5ELb0ES3_mN6thrust23THRUST_200600_302600_NS6detail15normal_iteratorINSA_10device_ptrIxEEEEPS6_NSA_18transform_iteratorINSB_9not_fun_tINSA_8identityIxEEEESF_NSA_11use_defaultESM_EENS0_5tupleIJSF_S6_EEENSO_IJSG_SG_EEES6_PlJS6_EEE10hipError_tPvRmT3_T4_T5_T6_T7_T9_mT8_P12ihipStream_tbDpT10_ENKUlT_T0_E_clISt17integral_constantIbLb1EES1A_IbLb0EEEEDaS16_S17_EUlS16_E_NS1_11comp_targetILNS1_3genE0ELNS1_11target_archE4294967295ELNS1_3gpuE0ELNS1_3repE0EEENS1_30default_config_static_selectorELNS0_4arch9wavefront6targetE0EEEvT1_
                                        ; -- End function
	.set _ZN7rocprim17ROCPRIM_400000_NS6detail17trampoline_kernelINS0_14default_configENS1_25partition_config_selectorILNS1_17partition_subalgoE5ExNS0_10empty_typeEbEEZZNS1_14partition_implILS5_5ELb0ES3_mN6thrust23THRUST_200600_302600_NS6detail15normal_iteratorINSA_10device_ptrIxEEEEPS6_NSA_18transform_iteratorINSB_9not_fun_tINSA_8identityIxEEEESF_NSA_11use_defaultESM_EENS0_5tupleIJSF_S6_EEENSO_IJSG_SG_EEES6_PlJS6_EEE10hipError_tPvRmT3_T4_T5_T6_T7_T9_mT8_P12ihipStream_tbDpT10_ENKUlT_T0_E_clISt17integral_constantIbLb1EES1A_IbLb0EEEEDaS16_S17_EUlS16_E_NS1_11comp_targetILNS1_3genE0ELNS1_11target_archE4294967295ELNS1_3gpuE0ELNS1_3repE0EEENS1_30default_config_static_selectorELNS0_4arch9wavefront6targetE0EEEvT1_.num_vgpr, 0
	.set _ZN7rocprim17ROCPRIM_400000_NS6detail17trampoline_kernelINS0_14default_configENS1_25partition_config_selectorILNS1_17partition_subalgoE5ExNS0_10empty_typeEbEEZZNS1_14partition_implILS5_5ELb0ES3_mN6thrust23THRUST_200600_302600_NS6detail15normal_iteratorINSA_10device_ptrIxEEEEPS6_NSA_18transform_iteratorINSB_9not_fun_tINSA_8identityIxEEEESF_NSA_11use_defaultESM_EENS0_5tupleIJSF_S6_EEENSO_IJSG_SG_EEES6_PlJS6_EEE10hipError_tPvRmT3_T4_T5_T6_T7_T9_mT8_P12ihipStream_tbDpT10_ENKUlT_T0_E_clISt17integral_constantIbLb1EES1A_IbLb0EEEEDaS16_S17_EUlS16_E_NS1_11comp_targetILNS1_3genE0ELNS1_11target_archE4294967295ELNS1_3gpuE0ELNS1_3repE0EEENS1_30default_config_static_selectorELNS0_4arch9wavefront6targetE0EEEvT1_.num_agpr, 0
	.set _ZN7rocprim17ROCPRIM_400000_NS6detail17trampoline_kernelINS0_14default_configENS1_25partition_config_selectorILNS1_17partition_subalgoE5ExNS0_10empty_typeEbEEZZNS1_14partition_implILS5_5ELb0ES3_mN6thrust23THRUST_200600_302600_NS6detail15normal_iteratorINSA_10device_ptrIxEEEEPS6_NSA_18transform_iteratorINSB_9not_fun_tINSA_8identityIxEEEESF_NSA_11use_defaultESM_EENS0_5tupleIJSF_S6_EEENSO_IJSG_SG_EEES6_PlJS6_EEE10hipError_tPvRmT3_T4_T5_T6_T7_T9_mT8_P12ihipStream_tbDpT10_ENKUlT_T0_E_clISt17integral_constantIbLb1EES1A_IbLb0EEEEDaS16_S17_EUlS16_E_NS1_11comp_targetILNS1_3genE0ELNS1_11target_archE4294967295ELNS1_3gpuE0ELNS1_3repE0EEENS1_30default_config_static_selectorELNS0_4arch9wavefront6targetE0EEEvT1_.numbered_sgpr, 0
	.set _ZN7rocprim17ROCPRIM_400000_NS6detail17trampoline_kernelINS0_14default_configENS1_25partition_config_selectorILNS1_17partition_subalgoE5ExNS0_10empty_typeEbEEZZNS1_14partition_implILS5_5ELb0ES3_mN6thrust23THRUST_200600_302600_NS6detail15normal_iteratorINSA_10device_ptrIxEEEEPS6_NSA_18transform_iteratorINSB_9not_fun_tINSA_8identityIxEEEESF_NSA_11use_defaultESM_EENS0_5tupleIJSF_S6_EEENSO_IJSG_SG_EEES6_PlJS6_EEE10hipError_tPvRmT3_T4_T5_T6_T7_T9_mT8_P12ihipStream_tbDpT10_ENKUlT_T0_E_clISt17integral_constantIbLb1EES1A_IbLb0EEEEDaS16_S17_EUlS16_E_NS1_11comp_targetILNS1_3genE0ELNS1_11target_archE4294967295ELNS1_3gpuE0ELNS1_3repE0EEENS1_30default_config_static_selectorELNS0_4arch9wavefront6targetE0EEEvT1_.num_named_barrier, 0
	.set _ZN7rocprim17ROCPRIM_400000_NS6detail17trampoline_kernelINS0_14default_configENS1_25partition_config_selectorILNS1_17partition_subalgoE5ExNS0_10empty_typeEbEEZZNS1_14partition_implILS5_5ELb0ES3_mN6thrust23THRUST_200600_302600_NS6detail15normal_iteratorINSA_10device_ptrIxEEEEPS6_NSA_18transform_iteratorINSB_9not_fun_tINSA_8identityIxEEEESF_NSA_11use_defaultESM_EENS0_5tupleIJSF_S6_EEENSO_IJSG_SG_EEES6_PlJS6_EEE10hipError_tPvRmT3_T4_T5_T6_T7_T9_mT8_P12ihipStream_tbDpT10_ENKUlT_T0_E_clISt17integral_constantIbLb1EES1A_IbLb0EEEEDaS16_S17_EUlS16_E_NS1_11comp_targetILNS1_3genE0ELNS1_11target_archE4294967295ELNS1_3gpuE0ELNS1_3repE0EEENS1_30default_config_static_selectorELNS0_4arch9wavefront6targetE0EEEvT1_.private_seg_size, 0
	.set _ZN7rocprim17ROCPRIM_400000_NS6detail17trampoline_kernelINS0_14default_configENS1_25partition_config_selectorILNS1_17partition_subalgoE5ExNS0_10empty_typeEbEEZZNS1_14partition_implILS5_5ELb0ES3_mN6thrust23THRUST_200600_302600_NS6detail15normal_iteratorINSA_10device_ptrIxEEEEPS6_NSA_18transform_iteratorINSB_9not_fun_tINSA_8identityIxEEEESF_NSA_11use_defaultESM_EENS0_5tupleIJSF_S6_EEENSO_IJSG_SG_EEES6_PlJS6_EEE10hipError_tPvRmT3_T4_T5_T6_T7_T9_mT8_P12ihipStream_tbDpT10_ENKUlT_T0_E_clISt17integral_constantIbLb1EES1A_IbLb0EEEEDaS16_S17_EUlS16_E_NS1_11comp_targetILNS1_3genE0ELNS1_11target_archE4294967295ELNS1_3gpuE0ELNS1_3repE0EEENS1_30default_config_static_selectorELNS0_4arch9wavefront6targetE0EEEvT1_.uses_vcc, 0
	.set _ZN7rocprim17ROCPRIM_400000_NS6detail17trampoline_kernelINS0_14default_configENS1_25partition_config_selectorILNS1_17partition_subalgoE5ExNS0_10empty_typeEbEEZZNS1_14partition_implILS5_5ELb0ES3_mN6thrust23THRUST_200600_302600_NS6detail15normal_iteratorINSA_10device_ptrIxEEEEPS6_NSA_18transform_iteratorINSB_9not_fun_tINSA_8identityIxEEEESF_NSA_11use_defaultESM_EENS0_5tupleIJSF_S6_EEENSO_IJSG_SG_EEES6_PlJS6_EEE10hipError_tPvRmT3_T4_T5_T6_T7_T9_mT8_P12ihipStream_tbDpT10_ENKUlT_T0_E_clISt17integral_constantIbLb1EES1A_IbLb0EEEEDaS16_S17_EUlS16_E_NS1_11comp_targetILNS1_3genE0ELNS1_11target_archE4294967295ELNS1_3gpuE0ELNS1_3repE0EEENS1_30default_config_static_selectorELNS0_4arch9wavefront6targetE0EEEvT1_.uses_flat_scratch, 0
	.set _ZN7rocprim17ROCPRIM_400000_NS6detail17trampoline_kernelINS0_14default_configENS1_25partition_config_selectorILNS1_17partition_subalgoE5ExNS0_10empty_typeEbEEZZNS1_14partition_implILS5_5ELb0ES3_mN6thrust23THRUST_200600_302600_NS6detail15normal_iteratorINSA_10device_ptrIxEEEEPS6_NSA_18transform_iteratorINSB_9not_fun_tINSA_8identityIxEEEESF_NSA_11use_defaultESM_EENS0_5tupleIJSF_S6_EEENSO_IJSG_SG_EEES6_PlJS6_EEE10hipError_tPvRmT3_T4_T5_T6_T7_T9_mT8_P12ihipStream_tbDpT10_ENKUlT_T0_E_clISt17integral_constantIbLb1EES1A_IbLb0EEEEDaS16_S17_EUlS16_E_NS1_11comp_targetILNS1_3genE0ELNS1_11target_archE4294967295ELNS1_3gpuE0ELNS1_3repE0EEENS1_30default_config_static_selectorELNS0_4arch9wavefront6targetE0EEEvT1_.has_dyn_sized_stack, 0
	.set _ZN7rocprim17ROCPRIM_400000_NS6detail17trampoline_kernelINS0_14default_configENS1_25partition_config_selectorILNS1_17partition_subalgoE5ExNS0_10empty_typeEbEEZZNS1_14partition_implILS5_5ELb0ES3_mN6thrust23THRUST_200600_302600_NS6detail15normal_iteratorINSA_10device_ptrIxEEEEPS6_NSA_18transform_iteratorINSB_9not_fun_tINSA_8identityIxEEEESF_NSA_11use_defaultESM_EENS0_5tupleIJSF_S6_EEENSO_IJSG_SG_EEES6_PlJS6_EEE10hipError_tPvRmT3_T4_T5_T6_T7_T9_mT8_P12ihipStream_tbDpT10_ENKUlT_T0_E_clISt17integral_constantIbLb1EES1A_IbLb0EEEEDaS16_S17_EUlS16_E_NS1_11comp_targetILNS1_3genE0ELNS1_11target_archE4294967295ELNS1_3gpuE0ELNS1_3repE0EEENS1_30default_config_static_selectorELNS0_4arch9wavefront6targetE0EEEvT1_.has_recursion, 0
	.set _ZN7rocprim17ROCPRIM_400000_NS6detail17trampoline_kernelINS0_14default_configENS1_25partition_config_selectorILNS1_17partition_subalgoE5ExNS0_10empty_typeEbEEZZNS1_14partition_implILS5_5ELb0ES3_mN6thrust23THRUST_200600_302600_NS6detail15normal_iteratorINSA_10device_ptrIxEEEEPS6_NSA_18transform_iteratorINSB_9not_fun_tINSA_8identityIxEEEESF_NSA_11use_defaultESM_EENS0_5tupleIJSF_S6_EEENSO_IJSG_SG_EEES6_PlJS6_EEE10hipError_tPvRmT3_T4_T5_T6_T7_T9_mT8_P12ihipStream_tbDpT10_ENKUlT_T0_E_clISt17integral_constantIbLb1EES1A_IbLb0EEEEDaS16_S17_EUlS16_E_NS1_11comp_targetILNS1_3genE0ELNS1_11target_archE4294967295ELNS1_3gpuE0ELNS1_3repE0EEENS1_30default_config_static_selectorELNS0_4arch9wavefront6targetE0EEEvT1_.has_indirect_call, 0
	.section	.AMDGPU.csdata,"",@progbits
; Kernel info:
; codeLenInByte = 0
; TotalNumSgprs: 0
; NumVgprs: 0
; ScratchSize: 0
; MemoryBound: 0
; FloatMode: 240
; IeeeMode: 1
; LDSByteSize: 0 bytes/workgroup (compile time only)
; SGPRBlocks: 0
; VGPRBlocks: 0
; NumSGPRsForWavesPerEU: 1
; NumVGPRsForWavesPerEU: 1
; Occupancy: 16
; WaveLimiterHint : 0
; COMPUTE_PGM_RSRC2:SCRATCH_EN: 0
; COMPUTE_PGM_RSRC2:USER_SGPR: 2
; COMPUTE_PGM_RSRC2:TRAP_HANDLER: 0
; COMPUTE_PGM_RSRC2:TGID_X_EN: 1
; COMPUTE_PGM_RSRC2:TGID_Y_EN: 0
; COMPUTE_PGM_RSRC2:TGID_Z_EN: 0
; COMPUTE_PGM_RSRC2:TIDIG_COMP_CNT: 0
	.section	.text._ZN7rocprim17ROCPRIM_400000_NS6detail17trampoline_kernelINS0_14default_configENS1_25partition_config_selectorILNS1_17partition_subalgoE5ExNS0_10empty_typeEbEEZZNS1_14partition_implILS5_5ELb0ES3_mN6thrust23THRUST_200600_302600_NS6detail15normal_iteratorINSA_10device_ptrIxEEEEPS6_NSA_18transform_iteratorINSB_9not_fun_tINSA_8identityIxEEEESF_NSA_11use_defaultESM_EENS0_5tupleIJSF_S6_EEENSO_IJSG_SG_EEES6_PlJS6_EEE10hipError_tPvRmT3_T4_T5_T6_T7_T9_mT8_P12ihipStream_tbDpT10_ENKUlT_T0_E_clISt17integral_constantIbLb1EES1A_IbLb0EEEEDaS16_S17_EUlS16_E_NS1_11comp_targetILNS1_3genE5ELNS1_11target_archE942ELNS1_3gpuE9ELNS1_3repE0EEENS1_30default_config_static_selectorELNS0_4arch9wavefront6targetE0EEEvT1_,"axG",@progbits,_ZN7rocprim17ROCPRIM_400000_NS6detail17trampoline_kernelINS0_14default_configENS1_25partition_config_selectorILNS1_17partition_subalgoE5ExNS0_10empty_typeEbEEZZNS1_14partition_implILS5_5ELb0ES3_mN6thrust23THRUST_200600_302600_NS6detail15normal_iteratorINSA_10device_ptrIxEEEEPS6_NSA_18transform_iteratorINSB_9not_fun_tINSA_8identityIxEEEESF_NSA_11use_defaultESM_EENS0_5tupleIJSF_S6_EEENSO_IJSG_SG_EEES6_PlJS6_EEE10hipError_tPvRmT3_T4_T5_T6_T7_T9_mT8_P12ihipStream_tbDpT10_ENKUlT_T0_E_clISt17integral_constantIbLb1EES1A_IbLb0EEEEDaS16_S17_EUlS16_E_NS1_11comp_targetILNS1_3genE5ELNS1_11target_archE942ELNS1_3gpuE9ELNS1_3repE0EEENS1_30default_config_static_selectorELNS0_4arch9wavefront6targetE0EEEvT1_,comdat
	.protected	_ZN7rocprim17ROCPRIM_400000_NS6detail17trampoline_kernelINS0_14default_configENS1_25partition_config_selectorILNS1_17partition_subalgoE5ExNS0_10empty_typeEbEEZZNS1_14partition_implILS5_5ELb0ES3_mN6thrust23THRUST_200600_302600_NS6detail15normal_iteratorINSA_10device_ptrIxEEEEPS6_NSA_18transform_iteratorINSB_9not_fun_tINSA_8identityIxEEEESF_NSA_11use_defaultESM_EENS0_5tupleIJSF_S6_EEENSO_IJSG_SG_EEES6_PlJS6_EEE10hipError_tPvRmT3_T4_T5_T6_T7_T9_mT8_P12ihipStream_tbDpT10_ENKUlT_T0_E_clISt17integral_constantIbLb1EES1A_IbLb0EEEEDaS16_S17_EUlS16_E_NS1_11comp_targetILNS1_3genE5ELNS1_11target_archE942ELNS1_3gpuE9ELNS1_3repE0EEENS1_30default_config_static_selectorELNS0_4arch9wavefront6targetE0EEEvT1_ ; -- Begin function _ZN7rocprim17ROCPRIM_400000_NS6detail17trampoline_kernelINS0_14default_configENS1_25partition_config_selectorILNS1_17partition_subalgoE5ExNS0_10empty_typeEbEEZZNS1_14partition_implILS5_5ELb0ES3_mN6thrust23THRUST_200600_302600_NS6detail15normal_iteratorINSA_10device_ptrIxEEEEPS6_NSA_18transform_iteratorINSB_9not_fun_tINSA_8identityIxEEEESF_NSA_11use_defaultESM_EENS0_5tupleIJSF_S6_EEENSO_IJSG_SG_EEES6_PlJS6_EEE10hipError_tPvRmT3_T4_T5_T6_T7_T9_mT8_P12ihipStream_tbDpT10_ENKUlT_T0_E_clISt17integral_constantIbLb1EES1A_IbLb0EEEEDaS16_S17_EUlS16_E_NS1_11comp_targetILNS1_3genE5ELNS1_11target_archE942ELNS1_3gpuE9ELNS1_3repE0EEENS1_30default_config_static_selectorELNS0_4arch9wavefront6targetE0EEEvT1_
	.globl	_ZN7rocprim17ROCPRIM_400000_NS6detail17trampoline_kernelINS0_14default_configENS1_25partition_config_selectorILNS1_17partition_subalgoE5ExNS0_10empty_typeEbEEZZNS1_14partition_implILS5_5ELb0ES3_mN6thrust23THRUST_200600_302600_NS6detail15normal_iteratorINSA_10device_ptrIxEEEEPS6_NSA_18transform_iteratorINSB_9not_fun_tINSA_8identityIxEEEESF_NSA_11use_defaultESM_EENS0_5tupleIJSF_S6_EEENSO_IJSG_SG_EEES6_PlJS6_EEE10hipError_tPvRmT3_T4_T5_T6_T7_T9_mT8_P12ihipStream_tbDpT10_ENKUlT_T0_E_clISt17integral_constantIbLb1EES1A_IbLb0EEEEDaS16_S17_EUlS16_E_NS1_11comp_targetILNS1_3genE5ELNS1_11target_archE942ELNS1_3gpuE9ELNS1_3repE0EEENS1_30default_config_static_selectorELNS0_4arch9wavefront6targetE0EEEvT1_
	.p2align	8
	.type	_ZN7rocprim17ROCPRIM_400000_NS6detail17trampoline_kernelINS0_14default_configENS1_25partition_config_selectorILNS1_17partition_subalgoE5ExNS0_10empty_typeEbEEZZNS1_14partition_implILS5_5ELb0ES3_mN6thrust23THRUST_200600_302600_NS6detail15normal_iteratorINSA_10device_ptrIxEEEEPS6_NSA_18transform_iteratorINSB_9not_fun_tINSA_8identityIxEEEESF_NSA_11use_defaultESM_EENS0_5tupleIJSF_S6_EEENSO_IJSG_SG_EEES6_PlJS6_EEE10hipError_tPvRmT3_T4_T5_T6_T7_T9_mT8_P12ihipStream_tbDpT10_ENKUlT_T0_E_clISt17integral_constantIbLb1EES1A_IbLb0EEEEDaS16_S17_EUlS16_E_NS1_11comp_targetILNS1_3genE5ELNS1_11target_archE942ELNS1_3gpuE9ELNS1_3repE0EEENS1_30default_config_static_selectorELNS0_4arch9wavefront6targetE0EEEvT1_,@function
_ZN7rocprim17ROCPRIM_400000_NS6detail17trampoline_kernelINS0_14default_configENS1_25partition_config_selectorILNS1_17partition_subalgoE5ExNS0_10empty_typeEbEEZZNS1_14partition_implILS5_5ELb0ES3_mN6thrust23THRUST_200600_302600_NS6detail15normal_iteratorINSA_10device_ptrIxEEEEPS6_NSA_18transform_iteratorINSB_9not_fun_tINSA_8identityIxEEEESF_NSA_11use_defaultESM_EENS0_5tupleIJSF_S6_EEENSO_IJSG_SG_EEES6_PlJS6_EEE10hipError_tPvRmT3_T4_T5_T6_T7_T9_mT8_P12ihipStream_tbDpT10_ENKUlT_T0_E_clISt17integral_constantIbLb1EES1A_IbLb0EEEEDaS16_S17_EUlS16_E_NS1_11comp_targetILNS1_3genE5ELNS1_11target_archE942ELNS1_3gpuE9ELNS1_3repE0EEENS1_30default_config_static_selectorELNS0_4arch9wavefront6targetE0EEEvT1_: ; @_ZN7rocprim17ROCPRIM_400000_NS6detail17trampoline_kernelINS0_14default_configENS1_25partition_config_selectorILNS1_17partition_subalgoE5ExNS0_10empty_typeEbEEZZNS1_14partition_implILS5_5ELb0ES3_mN6thrust23THRUST_200600_302600_NS6detail15normal_iteratorINSA_10device_ptrIxEEEEPS6_NSA_18transform_iteratorINSB_9not_fun_tINSA_8identityIxEEEESF_NSA_11use_defaultESM_EENS0_5tupleIJSF_S6_EEENSO_IJSG_SG_EEES6_PlJS6_EEE10hipError_tPvRmT3_T4_T5_T6_T7_T9_mT8_P12ihipStream_tbDpT10_ENKUlT_T0_E_clISt17integral_constantIbLb1EES1A_IbLb0EEEEDaS16_S17_EUlS16_E_NS1_11comp_targetILNS1_3genE5ELNS1_11target_archE942ELNS1_3gpuE9ELNS1_3repE0EEENS1_30default_config_static_selectorELNS0_4arch9wavefront6targetE0EEEvT1_
; %bb.0:
	.section	.rodata,"a",@progbits
	.p2align	6, 0x0
	.amdhsa_kernel _ZN7rocprim17ROCPRIM_400000_NS6detail17trampoline_kernelINS0_14default_configENS1_25partition_config_selectorILNS1_17partition_subalgoE5ExNS0_10empty_typeEbEEZZNS1_14partition_implILS5_5ELb0ES3_mN6thrust23THRUST_200600_302600_NS6detail15normal_iteratorINSA_10device_ptrIxEEEEPS6_NSA_18transform_iteratorINSB_9not_fun_tINSA_8identityIxEEEESF_NSA_11use_defaultESM_EENS0_5tupleIJSF_S6_EEENSO_IJSG_SG_EEES6_PlJS6_EEE10hipError_tPvRmT3_T4_T5_T6_T7_T9_mT8_P12ihipStream_tbDpT10_ENKUlT_T0_E_clISt17integral_constantIbLb1EES1A_IbLb0EEEEDaS16_S17_EUlS16_E_NS1_11comp_targetILNS1_3genE5ELNS1_11target_archE942ELNS1_3gpuE9ELNS1_3repE0EEENS1_30default_config_static_selectorELNS0_4arch9wavefront6targetE0EEEvT1_
		.amdhsa_group_segment_fixed_size 0
		.amdhsa_private_segment_fixed_size 0
		.amdhsa_kernarg_size 120
		.amdhsa_user_sgpr_count 2
		.amdhsa_user_sgpr_dispatch_ptr 0
		.amdhsa_user_sgpr_queue_ptr 0
		.amdhsa_user_sgpr_kernarg_segment_ptr 1
		.amdhsa_user_sgpr_dispatch_id 0
		.amdhsa_user_sgpr_private_segment_size 0
		.amdhsa_wavefront_size32 1
		.amdhsa_uses_dynamic_stack 0
		.amdhsa_enable_private_segment 0
		.amdhsa_system_sgpr_workgroup_id_x 1
		.amdhsa_system_sgpr_workgroup_id_y 0
		.amdhsa_system_sgpr_workgroup_id_z 0
		.amdhsa_system_sgpr_workgroup_info 0
		.amdhsa_system_vgpr_workitem_id 0
		.amdhsa_next_free_vgpr 1
		.amdhsa_next_free_sgpr 1
		.amdhsa_reserve_vcc 0
		.amdhsa_float_round_mode_32 0
		.amdhsa_float_round_mode_16_64 0
		.amdhsa_float_denorm_mode_32 3
		.amdhsa_float_denorm_mode_16_64 3
		.amdhsa_fp16_overflow 0
		.amdhsa_workgroup_processor_mode 1
		.amdhsa_memory_ordered 1
		.amdhsa_forward_progress 1
		.amdhsa_inst_pref_size 0
		.amdhsa_round_robin_scheduling 0
		.amdhsa_exception_fp_ieee_invalid_op 0
		.amdhsa_exception_fp_denorm_src 0
		.amdhsa_exception_fp_ieee_div_zero 0
		.amdhsa_exception_fp_ieee_overflow 0
		.amdhsa_exception_fp_ieee_underflow 0
		.amdhsa_exception_fp_ieee_inexact 0
		.amdhsa_exception_int_div_zero 0
	.end_amdhsa_kernel
	.section	.text._ZN7rocprim17ROCPRIM_400000_NS6detail17trampoline_kernelINS0_14default_configENS1_25partition_config_selectorILNS1_17partition_subalgoE5ExNS0_10empty_typeEbEEZZNS1_14partition_implILS5_5ELb0ES3_mN6thrust23THRUST_200600_302600_NS6detail15normal_iteratorINSA_10device_ptrIxEEEEPS6_NSA_18transform_iteratorINSB_9not_fun_tINSA_8identityIxEEEESF_NSA_11use_defaultESM_EENS0_5tupleIJSF_S6_EEENSO_IJSG_SG_EEES6_PlJS6_EEE10hipError_tPvRmT3_T4_T5_T6_T7_T9_mT8_P12ihipStream_tbDpT10_ENKUlT_T0_E_clISt17integral_constantIbLb1EES1A_IbLb0EEEEDaS16_S17_EUlS16_E_NS1_11comp_targetILNS1_3genE5ELNS1_11target_archE942ELNS1_3gpuE9ELNS1_3repE0EEENS1_30default_config_static_selectorELNS0_4arch9wavefront6targetE0EEEvT1_,"axG",@progbits,_ZN7rocprim17ROCPRIM_400000_NS6detail17trampoline_kernelINS0_14default_configENS1_25partition_config_selectorILNS1_17partition_subalgoE5ExNS0_10empty_typeEbEEZZNS1_14partition_implILS5_5ELb0ES3_mN6thrust23THRUST_200600_302600_NS6detail15normal_iteratorINSA_10device_ptrIxEEEEPS6_NSA_18transform_iteratorINSB_9not_fun_tINSA_8identityIxEEEESF_NSA_11use_defaultESM_EENS0_5tupleIJSF_S6_EEENSO_IJSG_SG_EEES6_PlJS6_EEE10hipError_tPvRmT3_T4_T5_T6_T7_T9_mT8_P12ihipStream_tbDpT10_ENKUlT_T0_E_clISt17integral_constantIbLb1EES1A_IbLb0EEEEDaS16_S17_EUlS16_E_NS1_11comp_targetILNS1_3genE5ELNS1_11target_archE942ELNS1_3gpuE9ELNS1_3repE0EEENS1_30default_config_static_selectorELNS0_4arch9wavefront6targetE0EEEvT1_,comdat
.Lfunc_end966:
	.size	_ZN7rocprim17ROCPRIM_400000_NS6detail17trampoline_kernelINS0_14default_configENS1_25partition_config_selectorILNS1_17partition_subalgoE5ExNS0_10empty_typeEbEEZZNS1_14partition_implILS5_5ELb0ES3_mN6thrust23THRUST_200600_302600_NS6detail15normal_iteratorINSA_10device_ptrIxEEEEPS6_NSA_18transform_iteratorINSB_9not_fun_tINSA_8identityIxEEEESF_NSA_11use_defaultESM_EENS0_5tupleIJSF_S6_EEENSO_IJSG_SG_EEES6_PlJS6_EEE10hipError_tPvRmT3_T4_T5_T6_T7_T9_mT8_P12ihipStream_tbDpT10_ENKUlT_T0_E_clISt17integral_constantIbLb1EES1A_IbLb0EEEEDaS16_S17_EUlS16_E_NS1_11comp_targetILNS1_3genE5ELNS1_11target_archE942ELNS1_3gpuE9ELNS1_3repE0EEENS1_30default_config_static_selectorELNS0_4arch9wavefront6targetE0EEEvT1_, .Lfunc_end966-_ZN7rocprim17ROCPRIM_400000_NS6detail17trampoline_kernelINS0_14default_configENS1_25partition_config_selectorILNS1_17partition_subalgoE5ExNS0_10empty_typeEbEEZZNS1_14partition_implILS5_5ELb0ES3_mN6thrust23THRUST_200600_302600_NS6detail15normal_iteratorINSA_10device_ptrIxEEEEPS6_NSA_18transform_iteratorINSB_9not_fun_tINSA_8identityIxEEEESF_NSA_11use_defaultESM_EENS0_5tupleIJSF_S6_EEENSO_IJSG_SG_EEES6_PlJS6_EEE10hipError_tPvRmT3_T4_T5_T6_T7_T9_mT8_P12ihipStream_tbDpT10_ENKUlT_T0_E_clISt17integral_constantIbLb1EES1A_IbLb0EEEEDaS16_S17_EUlS16_E_NS1_11comp_targetILNS1_3genE5ELNS1_11target_archE942ELNS1_3gpuE9ELNS1_3repE0EEENS1_30default_config_static_selectorELNS0_4arch9wavefront6targetE0EEEvT1_
                                        ; -- End function
	.set _ZN7rocprim17ROCPRIM_400000_NS6detail17trampoline_kernelINS0_14default_configENS1_25partition_config_selectorILNS1_17partition_subalgoE5ExNS0_10empty_typeEbEEZZNS1_14partition_implILS5_5ELb0ES3_mN6thrust23THRUST_200600_302600_NS6detail15normal_iteratorINSA_10device_ptrIxEEEEPS6_NSA_18transform_iteratorINSB_9not_fun_tINSA_8identityIxEEEESF_NSA_11use_defaultESM_EENS0_5tupleIJSF_S6_EEENSO_IJSG_SG_EEES6_PlJS6_EEE10hipError_tPvRmT3_T4_T5_T6_T7_T9_mT8_P12ihipStream_tbDpT10_ENKUlT_T0_E_clISt17integral_constantIbLb1EES1A_IbLb0EEEEDaS16_S17_EUlS16_E_NS1_11comp_targetILNS1_3genE5ELNS1_11target_archE942ELNS1_3gpuE9ELNS1_3repE0EEENS1_30default_config_static_selectorELNS0_4arch9wavefront6targetE0EEEvT1_.num_vgpr, 0
	.set _ZN7rocprim17ROCPRIM_400000_NS6detail17trampoline_kernelINS0_14default_configENS1_25partition_config_selectorILNS1_17partition_subalgoE5ExNS0_10empty_typeEbEEZZNS1_14partition_implILS5_5ELb0ES3_mN6thrust23THRUST_200600_302600_NS6detail15normal_iteratorINSA_10device_ptrIxEEEEPS6_NSA_18transform_iteratorINSB_9not_fun_tINSA_8identityIxEEEESF_NSA_11use_defaultESM_EENS0_5tupleIJSF_S6_EEENSO_IJSG_SG_EEES6_PlJS6_EEE10hipError_tPvRmT3_T4_T5_T6_T7_T9_mT8_P12ihipStream_tbDpT10_ENKUlT_T0_E_clISt17integral_constantIbLb1EES1A_IbLb0EEEEDaS16_S17_EUlS16_E_NS1_11comp_targetILNS1_3genE5ELNS1_11target_archE942ELNS1_3gpuE9ELNS1_3repE0EEENS1_30default_config_static_selectorELNS0_4arch9wavefront6targetE0EEEvT1_.num_agpr, 0
	.set _ZN7rocprim17ROCPRIM_400000_NS6detail17trampoline_kernelINS0_14default_configENS1_25partition_config_selectorILNS1_17partition_subalgoE5ExNS0_10empty_typeEbEEZZNS1_14partition_implILS5_5ELb0ES3_mN6thrust23THRUST_200600_302600_NS6detail15normal_iteratorINSA_10device_ptrIxEEEEPS6_NSA_18transform_iteratorINSB_9not_fun_tINSA_8identityIxEEEESF_NSA_11use_defaultESM_EENS0_5tupleIJSF_S6_EEENSO_IJSG_SG_EEES6_PlJS6_EEE10hipError_tPvRmT3_T4_T5_T6_T7_T9_mT8_P12ihipStream_tbDpT10_ENKUlT_T0_E_clISt17integral_constantIbLb1EES1A_IbLb0EEEEDaS16_S17_EUlS16_E_NS1_11comp_targetILNS1_3genE5ELNS1_11target_archE942ELNS1_3gpuE9ELNS1_3repE0EEENS1_30default_config_static_selectorELNS0_4arch9wavefront6targetE0EEEvT1_.numbered_sgpr, 0
	.set _ZN7rocprim17ROCPRIM_400000_NS6detail17trampoline_kernelINS0_14default_configENS1_25partition_config_selectorILNS1_17partition_subalgoE5ExNS0_10empty_typeEbEEZZNS1_14partition_implILS5_5ELb0ES3_mN6thrust23THRUST_200600_302600_NS6detail15normal_iteratorINSA_10device_ptrIxEEEEPS6_NSA_18transform_iteratorINSB_9not_fun_tINSA_8identityIxEEEESF_NSA_11use_defaultESM_EENS0_5tupleIJSF_S6_EEENSO_IJSG_SG_EEES6_PlJS6_EEE10hipError_tPvRmT3_T4_T5_T6_T7_T9_mT8_P12ihipStream_tbDpT10_ENKUlT_T0_E_clISt17integral_constantIbLb1EES1A_IbLb0EEEEDaS16_S17_EUlS16_E_NS1_11comp_targetILNS1_3genE5ELNS1_11target_archE942ELNS1_3gpuE9ELNS1_3repE0EEENS1_30default_config_static_selectorELNS0_4arch9wavefront6targetE0EEEvT1_.num_named_barrier, 0
	.set _ZN7rocprim17ROCPRIM_400000_NS6detail17trampoline_kernelINS0_14default_configENS1_25partition_config_selectorILNS1_17partition_subalgoE5ExNS0_10empty_typeEbEEZZNS1_14partition_implILS5_5ELb0ES3_mN6thrust23THRUST_200600_302600_NS6detail15normal_iteratorINSA_10device_ptrIxEEEEPS6_NSA_18transform_iteratorINSB_9not_fun_tINSA_8identityIxEEEESF_NSA_11use_defaultESM_EENS0_5tupleIJSF_S6_EEENSO_IJSG_SG_EEES6_PlJS6_EEE10hipError_tPvRmT3_T4_T5_T6_T7_T9_mT8_P12ihipStream_tbDpT10_ENKUlT_T0_E_clISt17integral_constantIbLb1EES1A_IbLb0EEEEDaS16_S17_EUlS16_E_NS1_11comp_targetILNS1_3genE5ELNS1_11target_archE942ELNS1_3gpuE9ELNS1_3repE0EEENS1_30default_config_static_selectorELNS0_4arch9wavefront6targetE0EEEvT1_.private_seg_size, 0
	.set _ZN7rocprim17ROCPRIM_400000_NS6detail17trampoline_kernelINS0_14default_configENS1_25partition_config_selectorILNS1_17partition_subalgoE5ExNS0_10empty_typeEbEEZZNS1_14partition_implILS5_5ELb0ES3_mN6thrust23THRUST_200600_302600_NS6detail15normal_iteratorINSA_10device_ptrIxEEEEPS6_NSA_18transform_iteratorINSB_9not_fun_tINSA_8identityIxEEEESF_NSA_11use_defaultESM_EENS0_5tupleIJSF_S6_EEENSO_IJSG_SG_EEES6_PlJS6_EEE10hipError_tPvRmT3_T4_T5_T6_T7_T9_mT8_P12ihipStream_tbDpT10_ENKUlT_T0_E_clISt17integral_constantIbLb1EES1A_IbLb0EEEEDaS16_S17_EUlS16_E_NS1_11comp_targetILNS1_3genE5ELNS1_11target_archE942ELNS1_3gpuE9ELNS1_3repE0EEENS1_30default_config_static_selectorELNS0_4arch9wavefront6targetE0EEEvT1_.uses_vcc, 0
	.set _ZN7rocprim17ROCPRIM_400000_NS6detail17trampoline_kernelINS0_14default_configENS1_25partition_config_selectorILNS1_17partition_subalgoE5ExNS0_10empty_typeEbEEZZNS1_14partition_implILS5_5ELb0ES3_mN6thrust23THRUST_200600_302600_NS6detail15normal_iteratorINSA_10device_ptrIxEEEEPS6_NSA_18transform_iteratorINSB_9not_fun_tINSA_8identityIxEEEESF_NSA_11use_defaultESM_EENS0_5tupleIJSF_S6_EEENSO_IJSG_SG_EEES6_PlJS6_EEE10hipError_tPvRmT3_T4_T5_T6_T7_T9_mT8_P12ihipStream_tbDpT10_ENKUlT_T0_E_clISt17integral_constantIbLb1EES1A_IbLb0EEEEDaS16_S17_EUlS16_E_NS1_11comp_targetILNS1_3genE5ELNS1_11target_archE942ELNS1_3gpuE9ELNS1_3repE0EEENS1_30default_config_static_selectorELNS0_4arch9wavefront6targetE0EEEvT1_.uses_flat_scratch, 0
	.set _ZN7rocprim17ROCPRIM_400000_NS6detail17trampoline_kernelINS0_14default_configENS1_25partition_config_selectorILNS1_17partition_subalgoE5ExNS0_10empty_typeEbEEZZNS1_14partition_implILS5_5ELb0ES3_mN6thrust23THRUST_200600_302600_NS6detail15normal_iteratorINSA_10device_ptrIxEEEEPS6_NSA_18transform_iteratorINSB_9not_fun_tINSA_8identityIxEEEESF_NSA_11use_defaultESM_EENS0_5tupleIJSF_S6_EEENSO_IJSG_SG_EEES6_PlJS6_EEE10hipError_tPvRmT3_T4_T5_T6_T7_T9_mT8_P12ihipStream_tbDpT10_ENKUlT_T0_E_clISt17integral_constantIbLb1EES1A_IbLb0EEEEDaS16_S17_EUlS16_E_NS1_11comp_targetILNS1_3genE5ELNS1_11target_archE942ELNS1_3gpuE9ELNS1_3repE0EEENS1_30default_config_static_selectorELNS0_4arch9wavefront6targetE0EEEvT1_.has_dyn_sized_stack, 0
	.set _ZN7rocprim17ROCPRIM_400000_NS6detail17trampoline_kernelINS0_14default_configENS1_25partition_config_selectorILNS1_17partition_subalgoE5ExNS0_10empty_typeEbEEZZNS1_14partition_implILS5_5ELb0ES3_mN6thrust23THRUST_200600_302600_NS6detail15normal_iteratorINSA_10device_ptrIxEEEEPS6_NSA_18transform_iteratorINSB_9not_fun_tINSA_8identityIxEEEESF_NSA_11use_defaultESM_EENS0_5tupleIJSF_S6_EEENSO_IJSG_SG_EEES6_PlJS6_EEE10hipError_tPvRmT3_T4_T5_T6_T7_T9_mT8_P12ihipStream_tbDpT10_ENKUlT_T0_E_clISt17integral_constantIbLb1EES1A_IbLb0EEEEDaS16_S17_EUlS16_E_NS1_11comp_targetILNS1_3genE5ELNS1_11target_archE942ELNS1_3gpuE9ELNS1_3repE0EEENS1_30default_config_static_selectorELNS0_4arch9wavefront6targetE0EEEvT1_.has_recursion, 0
	.set _ZN7rocprim17ROCPRIM_400000_NS6detail17trampoline_kernelINS0_14default_configENS1_25partition_config_selectorILNS1_17partition_subalgoE5ExNS0_10empty_typeEbEEZZNS1_14partition_implILS5_5ELb0ES3_mN6thrust23THRUST_200600_302600_NS6detail15normal_iteratorINSA_10device_ptrIxEEEEPS6_NSA_18transform_iteratorINSB_9not_fun_tINSA_8identityIxEEEESF_NSA_11use_defaultESM_EENS0_5tupleIJSF_S6_EEENSO_IJSG_SG_EEES6_PlJS6_EEE10hipError_tPvRmT3_T4_T5_T6_T7_T9_mT8_P12ihipStream_tbDpT10_ENKUlT_T0_E_clISt17integral_constantIbLb1EES1A_IbLb0EEEEDaS16_S17_EUlS16_E_NS1_11comp_targetILNS1_3genE5ELNS1_11target_archE942ELNS1_3gpuE9ELNS1_3repE0EEENS1_30default_config_static_selectorELNS0_4arch9wavefront6targetE0EEEvT1_.has_indirect_call, 0
	.section	.AMDGPU.csdata,"",@progbits
; Kernel info:
; codeLenInByte = 0
; TotalNumSgprs: 0
; NumVgprs: 0
; ScratchSize: 0
; MemoryBound: 0
; FloatMode: 240
; IeeeMode: 1
; LDSByteSize: 0 bytes/workgroup (compile time only)
; SGPRBlocks: 0
; VGPRBlocks: 0
; NumSGPRsForWavesPerEU: 1
; NumVGPRsForWavesPerEU: 1
; Occupancy: 16
; WaveLimiterHint : 0
; COMPUTE_PGM_RSRC2:SCRATCH_EN: 0
; COMPUTE_PGM_RSRC2:USER_SGPR: 2
; COMPUTE_PGM_RSRC2:TRAP_HANDLER: 0
; COMPUTE_PGM_RSRC2:TGID_X_EN: 1
; COMPUTE_PGM_RSRC2:TGID_Y_EN: 0
; COMPUTE_PGM_RSRC2:TGID_Z_EN: 0
; COMPUTE_PGM_RSRC2:TIDIG_COMP_CNT: 0
	.section	.text._ZN7rocprim17ROCPRIM_400000_NS6detail17trampoline_kernelINS0_14default_configENS1_25partition_config_selectorILNS1_17partition_subalgoE5ExNS0_10empty_typeEbEEZZNS1_14partition_implILS5_5ELb0ES3_mN6thrust23THRUST_200600_302600_NS6detail15normal_iteratorINSA_10device_ptrIxEEEEPS6_NSA_18transform_iteratorINSB_9not_fun_tINSA_8identityIxEEEESF_NSA_11use_defaultESM_EENS0_5tupleIJSF_S6_EEENSO_IJSG_SG_EEES6_PlJS6_EEE10hipError_tPvRmT3_T4_T5_T6_T7_T9_mT8_P12ihipStream_tbDpT10_ENKUlT_T0_E_clISt17integral_constantIbLb1EES1A_IbLb0EEEEDaS16_S17_EUlS16_E_NS1_11comp_targetILNS1_3genE4ELNS1_11target_archE910ELNS1_3gpuE8ELNS1_3repE0EEENS1_30default_config_static_selectorELNS0_4arch9wavefront6targetE0EEEvT1_,"axG",@progbits,_ZN7rocprim17ROCPRIM_400000_NS6detail17trampoline_kernelINS0_14default_configENS1_25partition_config_selectorILNS1_17partition_subalgoE5ExNS0_10empty_typeEbEEZZNS1_14partition_implILS5_5ELb0ES3_mN6thrust23THRUST_200600_302600_NS6detail15normal_iteratorINSA_10device_ptrIxEEEEPS6_NSA_18transform_iteratorINSB_9not_fun_tINSA_8identityIxEEEESF_NSA_11use_defaultESM_EENS0_5tupleIJSF_S6_EEENSO_IJSG_SG_EEES6_PlJS6_EEE10hipError_tPvRmT3_T4_T5_T6_T7_T9_mT8_P12ihipStream_tbDpT10_ENKUlT_T0_E_clISt17integral_constantIbLb1EES1A_IbLb0EEEEDaS16_S17_EUlS16_E_NS1_11comp_targetILNS1_3genE4ELNS1_11target_archE910ELNS1_3gpuE8ELNS1_3repE0EEENS1_30default_config_static_selectorELNS0_4arch9wavefront6targetE0EEEvT1_,comdat
	.protected	_ZN7rocprim17ROCPRIM_400000_NS6detail17trampoline_kernelINS0_14default_configENS1_25partition_config_selectorILNS1_17partition_subalgoE5ExNS0_10empty_typeEbEEZZNS1_14partition_implILS5_5ELb0ES3_mN6thrust23THRUST_200600_302600_NS6detail15normal_iteratorINSA_10device_ptrIxEEEEPS6_NSA_18transform_iteratorINSB_9not_fun_tINSA_8identityIxEEEESF_NSA_11use_defaultESM_EENS0_5tupleIJSF_S6_EEENSO_IJSG_SG_EEES6_PlJS6_EEE10hipError_tPvRmT3_T4_T5_T6_T7_T9_mT8_P12ihipStream_tbDpT10_ENKUlT_T0_E_clISt17integral_constantIbLb1EES1A_IbLb0EEEEDaS16_S17_EUlS16_E_NS1_11comp_targetILNS1_3genE4ELNS1_11target_archE910ELNS1_3gpuE8ELNS1_3repE0EEENS1_30default_config_static_selectorELNS0_4arch9wavefront6targetE0EEEvT1_ ; -- Begin function _ZN7rocprim17ROCPRIM_400000_NS6detail17trampoline_kernelINS0_14default_configENS1_25partition_config_selectorILNS1_17partition_subalgoE5ExNS0_10empty_typeEbEEZZNS1_14partition_implILS5_5ELb0ES3_mN6thrust23THRUST_200600_302600_NS6detail15normal_iteratorINSA_10device_ptrIxEEEEPS6_NSA_18transform_iteratorINSB_9not_fun_tINSA_8identityIxEEEESF_NSA_11use_defaultESM_EENS0_5tupleIJSF_S6_EEENSO_IJSG_SG_EEES6_PlJS6_EEE10hipError_tPvRmT3_T4_T5_T6_T7_T9_mT8_P12ihipStream_tbDpT10_ENKUlT_T0_E_clISt17integral_constantIbLb1EES1A_IbLb0EEEEDaS16_S17_EUlS16_E_NS1_11comp_targetILNS1_3genE4ELNS1_11target_archE910ELNS1_3gpuE8ELNS1_3repE0EEENS1_30default_config_static_selectorELNS0_4arch9wavefront6targetE0EEEvT1_
	.globl	_ZN7rocprim17ROCPRIM_400000_NS6detail17trampoline_kernelINS0_14default_configENS1_25partition_config_selectorILNS1_17partition_subalgoE5ExNS0_10empty_typeEbEEZZNS1_14partition_implILS5_5ELb0ES3_mN6thrust23THRUST_200600_302600_NS6detail15normal_iteratorINSA_10device_ptrIxEEEEPS6_NSA_18transform_iteratorINSB_9not_fun_tINSA_8identityIxEEEESF_NSA_11use_defaultESM_EENS0_5tupleIJSF_S6_EEENSO_IJSG_SG_EEES6_PlJS6_EEE10hipError_tPvRmT3_T4_T5_T6_T7_T9_mT8_P12ihipStream_tbDpT10_ENKUlT_T0_E_clISt17integral_constantIbLb1EES1A_IbLb0EEEEDaS16_S17_EUlS16_E_NS1_11comp_targetILNS1_3genE4ELNS1_11target_archE910ELNS1_3gpuE8ELNS1_3repE0EEENS1_30default_config_static_selectorELNS0_4arch9wavefront6targetE0EEEvT1_
	.p2align	8
	.type	_ZN7rocprim17ROCPRIM_400000_NS6detail17trampoline_kernelINS0_14default_configENS1_25partition_config_selectorILNS1_17partition_subalgoE5ExNS0_10empty_typeEbEEZZNS1_14partition_implILS5_5ELb0ES3_mN6thrust23THRUST_200600_302600_NS6detail15normal_iteratorINSA_10device_ptrIxEEEEPS6_NSA_18transform_iteratorINSB_9not_fun_tINSA_8identityIxEEEESF_NSA_11use_defaultESM_EENS0_5tupleIJSF_S6_EEENSO_IJSG_SG_EEES6_PlJS6_EEE10hipError_tPvRmT3_T4_T5_T6_T7_T9_mT8_P12ihipStream_tbDpT10_ENKUlT_T0_E_clISt17integral_constantIbLb1EES1A_IbLb0EEEEDaS16_S17_EUlS16_E_NS1_11comp_targetILNS1_3genE4ELNS1_11target_archE910ELNS1_3gpuE8ELNS1_3repE0EEENS1_30default_config_static_selectorELNS0_4arch9wavefront6targetE0EEEvT1_,@function
_ZN7rocprim17ROCPRIM_400000_NS6detail17trampoline_kernelINS0_14default_configENS1_25partition_config_selectorILNS1_17partition_subalgoE5ExNS0_10empty_typeEbEEZZNS1_14partition_implILS5_5ELb0ES3_mN6thrust23THRUST_200600_302600_NS6detail15normal_iteratorINSA_10device_ptrIxEEEEPS6_NSA_18transform_iteratorINSB_9not_fun_tINSA_8identityIxEEEESF_NSA_11use_defaultESM_EENS0_5tupleIJSF_S6_EEENSO_IJSG_SG_EEES6_PlJS6_EEE10hipError_tPvRmT3_T4_T5_T6_T7_T9_mT8_P12ihipStream_tbDpT10_ENKUlT_T0_E_clISt17integral_constantIbLb1EES1A_IbLb0EEEEDaS16_S17_EUlS16_E_NS1_11comp_targetILNS1_3genE4ELNS1_11target_archE910ELNS1_3gpuE8ELNS1_3repE0EEENS1_30default_config_static_selectorELNS0_4arch9wavefront6targetE0EEEvT1_: ; @_ZN7rocprim17ROCPRIM_400000_NS6detail17trampoline_kernelINS0_14default_configENS1_25partition_config_selectorILNS1_17partition_subalgoE5ExNS0_10empty_typeEbEEZZNS1_14partition_implILS5_5ELb0ES3_mN6thrust23THRUST_200600_302600_NS6detail15normal_iteratorINSA_10device_ptrIxEEEEPS6_NSA_18transform_iteratorINSB_9not_fun_tINSA_8identityIxEEEESF_NSA_11use_defaultESM_EENS0_5tupleIJSF_S6_EEENSO_IJSG_SG_EEES6_PlJS6_EEE10hipError_tPvRmT3_T4_T5_T6_T7_T9_mT8_P12ihipStream_tbDpT10_ENKUlT_T0_E_clISt17integral_constantIbLb1EES1A_IbLb0EEEEDaS16_S17_EUlS16_E_NS1_11comp_targetILNS1_3genE4ELNS1_11target_archE910ELNS1_3gpuE8ELNS1_3repE0EEENS1_30default_config_static_selectorELNS0_4arch9wavefront6targetE0EEEvT1_
; %bb.0:
	.section	.rodata,"a",@progbits
	.p2align	6, 0x0
	.amdhsa_kernel _ZN7rocprim17ROCPRIM_400000_NS6detail17trampoline_kernelINS0_14default_configENS1_25partition_config_selectorILNS1_17partition_subalgoE5ExNS0_10empty_typeEbEEZZNS1_14partition_implILS5_5ELb0ES3_mN6thrust23THRUST_200600_302600_NS6detail15normal_iteratorINSA_10device_ptrIxEEEEPS6_NSA_18transform_iteratorINSB_9not_fun_tINSA_8identityIxEEEESF_NSA_11use_defaultESM_EENS0_5tupleIJSF_S6_EEENSO_IJSG_SG_EEES6_PlJS6_EEE10hipError_tPvRmT3_T4_T5_T6_T7_T9_mT8_P12ihipStream_tbDpT10_ENKUlT_T0_E_clISt17integral_constantIbLb1EES1A_IbLb0EEEEDaS16_S17_EUlS16_E_NS1_11comp_targetILNS1_3genE4ELNS1_11target_archE910ELNS1_3gpuE8ELNS1_3repE0EEENS1_30default_config_static_selectorELNS0_4arch9wavefront6targetE0EEEvT1_
		.amdhsa_group_segment_fixed_size 0
		.amdhsa_private_segment_fixed_size 0
		.amdhsa_kernarg_size 120
		.amdhsa_user_sgpr_count 2
		.amdhsa_user_sgpr_dispatch_ptr 0
		.amdhsa_user_sgpr_queue_ptr 0
		.amdhsa_user_sgpr_kernarg_segment_ptr 1
		.amdhsa_user_sgpr_dispatch_id 0
		.amdhsa_user_sgpr_private_segment_size 0
		.amdhsa_wavefront_size32 1
		.amdhsa_uses_dynamic_stack 0
		.amdhsa_enable_private_segment 0
		.amdhsa_system_sgpr_workgroup_id_x 1
		.amdhsa_system_sgpr_workgroup_id_y 0
		.amdhsa_system_sgpr_workgroup_id_z 0
		.amdhsa_system_sgpr_workgroup_info 0
		.amdhsa_system_vgpr_workitem_id 0
		.amdhsa_next_free_vgpr 1
		.amdhsa_next_free_sgpr 1
		.amdhsa_reserve_vcc 0
		.amdhsa_float_round_mode_32 0
		.amdhsa_float_round_mode_16_64 0
		.amdhsa_float_denorm_mode_32 3
		.amdhsa_float_denorm_mode_16_64 3
		.amdhsa_fp16_overflow 0
		.amdhsa_workgroup_processor_mode 1
		.amdhsa_memory_ordered 1
		.amdhsa_forward_progress 1
		.amdhsa_inst_pref_size 0
		.amdhsa_round_robin_scheduling 0
		.amdhsa_exception_fp_ieee_invalid_op 0
		.amdhsa_exception_fp_denorm_src 0
		.amdhsa_exception_fp_ieee_div_zero 0
		.amdhsa_exception_fp_ieee_overflow 0
		.amdhsa_exception_fp_ieee_underflow 0
		.amdhsa_exception_fp_ieee_inexact 0
		.amdhsa_exception_int_div_zero 0
	.end_amdhsa_kernel
	.section	.text._ZN7rocprim17ROCPRIM_400000_NS6detail17trampoline_kernelINS0_14default_configENS1_25partition_config_selectorILNS1_17partition_subalgoE5ExNS0_10empty_typeEbEEZZNS1_14partition_implILS5_5ELb0ES3_mN6thrust23THRUST_200600_302600_NS6detail15normal_iteratorINSA_10device_ptrIxEEEEPS6_NSA_18transform_iteratorINSB_9not_fun_tINSA_8identityIxEEEESF_NSA_11use_defaultESM_EENS0_5tupleIJSF_S6_EEENSO_IJSG_SG_EEES6_PlJS6_EEE10hipError_tPvRmT3_T4_T5_T6_T7_T9_mT8_P12ihipStream_tbDpT10_ENKUlT_T0_E_clISt17integral_constantIbLb1EES1A_IbLb0EEEEDaS16_S17_EUlS16_E_NS1_11comp_targetILNS1_3genE4ELNS1_11target_archE910ELNS1_3gpuE8ELNS1_3repE0EEENS1_30default_config_static_selectorELNS0_4arch9wavefront6targetE0EEEvT1_,"axG",@progbits,_ZN7rocprim17ROCPRIM_400000_NS6detail17trampoline_kernelINS0_14default_configENS1_25partition_config_selectorILNS1_17partition_subalgoE5ExNS0_10empty_typeEbEEZZNS1_14partition_implILS5_5ELb0ES3_mN6thrust23THRUST_200600_302600_NS6detail15normal_iteratorINSA_10device_ptrIxEEEEPS6_NSA_18transform_iteratorINSB_9not_fun_tINSA_8identityIxEEEESF_NSA_11use_defaultESM_EENS0_5tupleIJSF_S6_EEENSO_IJSG_SG_EEES6_PlJS6_EEE10hipError_tPvRmT3_T4_T5_T6_T7_T9_mT8_P12ihipStream_tbDpT10_ENKUlT_T0_E_clISt17integral_constantIbLb1EES1A_IbLb0EEEEDaS16_S17_EUlS16_E_NS1_11comp_targetILNS1_3genE4ELNS1_11target_archE910ELNS1_3gpuE8ELNS1_3repE0EEENS1_30default_config_static_selectorELNS0_4arch9wavefront6targetE0EEEvT1_,comdat
.Lfunc_end967:
	.size	_ZN7rocprim17ROCPRIM_400000_NS6detail17trampoline_kernelINS0_14default_configENS1_25partition_config_selectorILNS1_17partition_subalgoE5ExNS0_10empty_typeEbEEZZNS1_14partition_implILS5_5ELb0ES3_mN6thrust23THRUST_200600_302600_NS6detail15normal_iteratorINSA_10device_ptrIxEEEEPS6_NSA_18transform_iteratorINSB_9not_fun_tINSA_8identityIxEEEESF_NSA_11use_defaultESM_EENS0_5tupleIJSF_S6_EEENSO_IJSG_SG_EEES6_PlJS6_EEE10hipError_tPvRmT3_T4_T5_T6_T7_T9_mT8_P12ihipStream_tbDpT10_ENKUlT_T0_E_clISt17integral_constantIbLb1EES1A_IbLb0EEEEDaS16_S17_EUlS16_E_NS1_11comp_targetILNS1_3genE4ELNS1_11target_archE910ELNS1_3gpuE8ELNS1_3repE0EEENS1_30default_config_static_selectorELNS0_4arch9wavefront6targetE0EEEvT1_, .Lfunc_end967-_ZN7rocprim17ROCPRIM_400000_NS6detail17trampoline_kernelINS0_14default_configENS1_25partition_config_selectorILNS1_17partition_subalgoE5ExNS0_10empty_typeEbEEZZNS1_14partition_implILS5_5ELb0ES3_mN6thrust23THRUST_200600_302600_NS6detail15normal_iteratorINSA_10device_ptrIxEEEEPS6_NSA_18transform_iteratorINSB_9not_fun_tINSA_8identityIxEEEESF_NSA_11use_defaultESM_EENS0_5tupleIJSF_S6_EEENSO_IJSG_SG_EEES6_PlJS6_EEE10hipError_tPvRmT3_T4_T5_T6_T7_T9_mT8_P12ihipStream_tbDpT10_ENKUlT_T0_E_clISt17integral_constantIbLb1EES1A_IbLb0EEEEDaS16_S17_EUlS16_E_NS1_11comp_targetILNS1_3genE4ELNS1_11target_archE910ELNS1_3gpuE8ELNS1_3repE0EEENS1_30default_config_static_selectorELNS0_4arch9wavefront6targetE0EEEvT1_
                                        ; -- End function
	.set _ZN7rocprim17ROCPRIM_400000_NS6detail17trampoline_kernelINS0_14default_configENS1_25partition_config_selectorILNS1_17partition_subalgoE5ExNS0_10empty_typeEbEEZZNS1_14partition_implILS5_5ELb0ES3_mN6thrust23THRUST_200600_302600_NS6detail15normal_iteratorINSA_10device_ptrIxEEEEPS6_NSA_18transform_iteratorINSB_9not_fun_tINSA_8identityIxEEEESF_NSA_11use_defaultESM_EENS0_5tupleIJSF_S6_EEENSO_IJSG_SG_EEES6_PlJS6_EEE10hipError_tPvRmT3_T4_T5_T6_T7_T9_mT8_P12ihipStream_tbDpT10_ENKUlT_T0_E_clISt17integral_constantIbLb1EES1A_IbLb0EEEEDaS16_S17_EUlS16_E_NS1_11comp_targetILNS1_3genE4ELNS1_11target_archE910ELNS1_3gpuE8ELNS1_3repE0EEENS1_30default_config_static_selectorELNS0_4arch9wavefront6targetE0EEEvT1_.num_vgpr, 0
	.set _ZN7rocprim17ROCPRIM_400000_NS6detail17trampoline_kernelINS0_14default_configENS1_25partition_config_selectorILNS1_17partition_subalgoE5ExNS0_10empty_typeEbEEZZNS1_14partition_implILS5_5ELb0ES3_mN6thrust23THRUST_200600_302600_NS6detail15normal_iteratorINSA_10device_ptrIxEEEEPS6_NSA_18transform_iteratorINSB_9not_fun_tINSA_8identityIxEEEESF_NSA_11use_defaultESM_EENS0_5tupleIJSF_S6_EEENSO_IJSG_SG_EEES6_PlJS6_EEE10hipError_tPvRmT3_T4_T5_T6_T7_T9_mT8_P12ihipStream_tbDpT10_ENKUlT_T0_E_clISt17integral_constantIbLb1EES1A_IbLb0EEEEDaS16_S17_EUlS16_E_NS1_11comp_targetILNS1_3genE4ELNS1_11target_archE910ELNS1_3gpuE8ELNS1_3repE0EEENS1_30default_config_static_selectorELNS0_4arch9wavefront6targetE0EEEvT1_.num_agpr, 0
	.set _ZN7rocprim17ROCPRIM_400000_NS6detail17trampoline_kernelINS0_14default_configENS1_25partition_config_selectorILNS1_17partition_subalgoE5ExNS0_10empty_typeEbEEZZNS1_14partition_implILS5_5ELb0ES3_mN6thrust23THRUST_200600_302600_NS6detail15normal_iteratorINSA_10device_ptrIxEEEEPS6_NSA_18transform_iteratorINSB_9not_fun_tINSA_8identityIxEEEESF_NSA_11use_defaultESM_EENS0_5tupleIJSF_S6_EEENSO_IJSG_SG_EEES6_PlJS6_EEE10hipError_tPvRmT3_T4_T5_T6_T7_T9_mT8_P12ihipStream_tbDpT10_ENKUlT_T0_E_clISt17integral_constantIbLb1EES1A_IbLb0EEEEDaS16_S17_EUlS16_E_NS1_11comp_targetILNS1_3genE4ELNS1_11target_archE910ELNS1_3gpuE8ELNS1_3repE0EEENS1_30default_config_static_selectorELNS0_4arch9wavefront6targetE0EEEvT1_.numbered_sgpr, 0
	.set _ZN7rocprim17ROCPRIM_400000_NS6detail17trampoline_kernelINS0_14default_configENS1_25partition_config_selectorILNS1_17partition_subalgoE5ExNS0_10empty_typeEbEEZZNS1_14partition_implILS5_5ELb0ES3_mN6thrust23THRUST_200600_302600_NS6detail15normal_iteratorINSA_10device_ptrIxEEEEPS6_NSA_18transform_iteratorINSB_9not_fun_tINSA_8identityIxEEEESF_NSA_11use_defaultESM_EENS0_5tupleIJSF_S6_EEENSO_IJSG_SG_EEES6_PlJS6_EEE10hipError_tPvRmT3_T4_T5_T6_T7_T9_mT8_P12ihipStream_tbDpT10_ENKUlT_T0_E_clISt17integral_constantIbLb1EES1A_IbLb0EEEEDaS16_S17_EUlS16_E_NS1_11comp_targetILNS1_3genE4ELNS1_11target_archE910ELNS1_3gpuE8ELNS1_3repE0EEENS1_30default_config_static_selectorELNS0_4arch9wavefront6targetE0EEEvT1_.num_named_barrier, 0
	.set _ZN7rocprim17ROCPRIM_400000_NS6detail17trampoline_kernelINS0_14default_configENS1_25partition_config_selectorILNS1_17partition_subalgoE5ExNS0_10empty_typeEbEEZZNS1_14partition_implILS5_5ELb0ES3_mN6thrust23THRUST_200600_302600_NS6detail15normal_iteratorINSA_10device_ptrIxEEEEPS6_NSA_18transform_iteratorINSB_9not_fun_tINSA_8identityIxEEEESF_NSA_11use_defaultESM_EENS0_5tupleIJSF_S6_EEENSO_IJSG_SG_EEES6_PlJS6_EEE10hipError_tPvRmT3_T4_T5_T6_T7_T9_mT8_P12ihipStream_tbDpT10_ENKUlT_T0_E_clISt17integral_constantIbLb1EES1A_IbLb0EEEEDaS16_S17_EUlS16_E_NS1_11comp_targetILNS1_3genE4ELNS1_11target_archE910ELNS1_3gpuE8ELNS1_3repE0EEENS1_30default_config_static_selectorELNS0_4arch9wavefront6targetE0EEEvT1_.private_seg_size, 0
	.set _ZN7rocprim17ROCPRIM_400000_NS6detail17trampoline_kernelINS0_14default_configENS1_25partition_config_selectorILNS1_17partition_subalgoE5ExNS0_10empty_typeEbEEZZNS1_14partition_implILS5_5ELb0ES3_mN6thrust23THRUST_200600_302600_NS6detail15normal_iteratorINSA_10device_ptrIxEEEEPS6_NSA_18transform_iteratorINSB_9not_fun_tINSA_8identityIxEEEESF_NSA_11use_defaultESM_EENS0_5tupleIJSF_S6_EEENSO_IJSG_SG_EEES6_PlJS6_EEE10hipError_tPvRmT3_T4_T5_T6_T7_T9_mT8_P12ihipStream_tbDpT10_ENKUlT_T0_E_clISt17integral_constantIbLb1EES1A_IbLb0EEEEDaS16_S17_EUlS16_E_NS1_11comp_targetILNS1_3genE4ELNS1_11target_archE910ELNS1_3gpuE8ELNS1_3repE0EEENS1_30default_config_static_selectorELNS0_4arch9wavefront6targetE0EEEvT1_.uses_vcc, 0
	.set _ZN7rocprim17ROCPRIM_400000_NS6detail17trampoline_kernelINS0_14default_configENS1_25partition_config_selectorILNS1_17partition_subalgoE5ExNS0_10empty_typeEbEEZZNS1_14partition_implILS5_5ELb0ES3_mN6thrust23THRUST_200600_302600_NS6detail15normal_iteratorINSA_10device_ptrIxEEEEPS6_NSA_18transform_iteratorINSB_9not_fun_tINSA_8identityIxEEEESF_NSA_11use_defaultESM_EENS0_5tupleIJSF_S6_EEENSO_IJSG_SG_EEES6_PlJS6_EEE10hipError_tPvRmT3_T4_T5_T6_T7_T9_mT8_P12ihipStream_tbDpT10_ENKUlT_T0_E_clISt17integral_constantIbLb1EES1A_IbLb0EEEEDaS16_S17_EUlS16_E_NS1_11comp_targetILNS1_3genE4ELNS1_11target_archE910ELNS1_3gpuE8ELNS1_3repE0EEENS1_30default_config_static_selectorELNS0_4arch9wavefront6targetE0EEEvT1_.uses_flat_scratch, 0
	.set _ZN7rocprim17ROCPRIM_400000_NS6detail17trampoline_kernelINS0_14default_configENS1_25partition_config_selectorILNS1_17partition_subalgoE5ExNS0_10empty_typeEbEEZZNS1_14partition_implILS5_5ELb0ES3_mN6thrust23THRUST_200600_302600_NS6detail15normal_iteratorINSA_10device_ptrIxEEEEPS6_NSA_18transform_iteratorINSB_9not_fun_tINSA_8identityIxEEEESF_NSA_11use_defaultESM_EENS0_5tupleIJSF_S6_EEENSO_IJSG_SG_EEES6_PlJS6_EEE10hipError_tPvRmT3_T4_T5_T6_T7_T9_mT8_P12ihipStream_tbDpT10_ENKUlT_T0_E_clISt17integral_constantIbLb1EES1A_IbLb0EEEEDaS16_S17_EUlS16_E_NS1_11comp_targetILNS1_3genE4ELNS1_11target_archE910ELNS1_3gpuE8ELNS1_3repE0EEENS1_30default_config_static_selectorELNS0_4arch9wavefront6targetE0EEEvT1_.has_dyn_sized_stack, 0
	.set _ZN7rocprim17ROCPRIM_400000_NS6detail17trampoline_kernelINS0_14default_configENS1_25partition_config_selectorILNS1_17partition_subalgoE5ExNS0_10empty_typeEbEEZZNS1_14partition_implILS5_5ELb0ES3_mN6thrust23THRUST_200600_302600_NS6detail15normal_iteratorINSA_10device_ptrIxEEEEPS6_NSA_18transform_iteratorINSB_9not_fun_tINSA_8identityIxEEEESF_NSA_11use_defaultESM_EENS0_5tupleIJSF_S6_EEENSO_IJSG_SG_EEES6_PlJS6_EEE10hipError_tPvRmT3_T4_T5_T6_T7_T9_mT8_P12ihipStream_tbDpT10_ENKUlT_T0_E_clISt17integral_constantIbLb1EES1A_IbLb0EEEEDaS16_S17_EUlS16_E_NS1_11comp_targetILNS1_3genE4ELNS1_11target_archE910ELNS1_3gpuE8ELNS1_3repE0EEENS1_30default_config_static_selectorELNS0_4arch9wavefront6targetE0EEEvT1_.has_recursion, 0
	.set _ZN7rocprim17ROCPRIM_400000_NS6detail17trampoline_kernelINS0_14default_configENS1_25partition_config_selectorILNS1_17partition_subalgoE5ExNS0_10empty_typeEbEEZZNS1_14partition_implILS5_5ELb0ES3_mN6thrust23THRUST_200600_302600_NS6detail15normal_iteratorINSA_10device_ptrIxEEEEPS6_NSA_18transform_iteratorINSB_9not_fun_tINSA_8identityIxEEEESF_NSA_11use_defaultESM_EENS0_5tupleIJSF_S6_EEENSO_IJSG_SG_EEES6_PlJS6_EEE10hipError_tPvRmT3_T4_T5_T6_T7_T9_mT8_P12ihipStream_tbDpT10_ENKUlT_T0_E_clISt17integral_constantIbLb1EES1A_IbLb0EEEEDaS16_S17_EUlS16_E_NS1_11comp_targetILNS1_3genE4ELNS1_11target_archE910ELNS1_3gpuE8ELNS1_3repE0EEENS1_30default_config_static_selectorELNS0_4arch9wavefront6targetE0EEEvT1_.has_indirect_call, 0
	.section	.AMDGPU.csdata,"",@progbits
; Kernel info:
; codeLenInByte = 0
; TotalNumSgprs: 0
; NumVgprs: 0
; ScratchSize: 0
; MemoryBound: 0
; FloatMode: 240
; IeeeMode: 1
; LDSByteSize: 0 bytes/workgroup (compile time only)
; SGPRBlocks: 0
; VGPRBlocks: 0
; NumSGPRsForWavesPerEU: 1
; NumVGPRsForWavesPerEU: 1
; Occupancy: 16
; WaveLimiterHint : 0
; COMPUTE_PGM_RSRC2:SCRATCH_EN: 0
; COMPUTE_PGM_RSRC2:USER_SGPR: 2
; COMPUTE_PGM_RSRC2:TRAP_HANDLER: 0
; COMPUTE_PGM_RSRC2:TGID_X_EN: 1
; COMPUTE_PGM_RSRC2:TGID_Y_EN: 0
; COMPUTE_PGM_RSRC2:TGID_Z_EN: 0
; COMPUTE_PGM_RSRC2:TIDIG_COMP_CNT: 0
	.section	.text._ZN7rocprim17ROCPRIM_400000_NS6detail17trampoline_kernelINS0_14default_configENS1_25partition_config_selectorILNS1_17partition_subalgoE5ExNS0_10empty_typeEbEEZZNS1_14partition_implILS5_5ELb0ES3_mN6thrust23THRUST_200600_302600_NS6detail15normal_iteratorINSA_10device_ptrIxEEEEPS6_NSA_18transform_iteratorINSB_9not_fun_tINSA_8identityIxEEEESF_NSA_11use_defaultESM_EENS0_5tupleIJSF_S6_EEENSO_IJSG_SG_EEES6_PlJS6_EEE10hipError_tPvRmT3_T4_T5_T6_T7_T9_mT8_P12ihipStream_tbDpT10_ENKUlT_T0_E_clISt17integral_constantIbLb1EES1A_IbLb0EEEEDaS16_S17_EUlS16_E_NS1_11comp_targetILNS1_3genE3ELNS1_11target_archE908ELNS1_3gpuE7ELNS1_3repE0EEENS1_30default_config_static_selectorELNS0_4arch9wavefront6targetE0EEEvT1_,"axG",@progbits,_ZN7rocprim17ROCPRIM_400000_NS6detail17trampoline_kernelINS0_14default_configENS1_25partition_config_selectorILNS1_17partition_subalgoE5ExNS0_10empty_typeEbEEZZNS1_14partition_implILS5_5ELb0ES3_mN6thrust23THRUST_200600_302600_NS6detail15normal_iteratorINSA_10device_ptrIxEEEEPS6_NSA_18transform_iteratorINSB_9not_fun_tINSA_8identityIxEEEESF_NSA_11use_defaultESM_EENS0_5tupleIJSF_S6_EEENSO_IJSG_SG_EEES6_PlJS6_EEE10hipError_tPvRmT3_T4_T5_T6_T7_T9_mT8_P12ihipStream_tbDpT10_ENKUlT_T0_E_clISt17integral_constantIbLb1EES1A_IbLb0EEEEDaS16_S17_EUlS16_E_NS1_11comp_targetILNS1_3genE3ELNS1_11target_archE908ELNS1_3gpuE7ELNS1_3repE0EEENS1_30default_config_static_selectorELNS0_4arch9wavefront6targetE0EEEvT1_,comdat
	.protected	_ZN7rocprim17ROCPRIM_400000_NS6detail17trampoline_kernelINS0_14default_configENS1_25partition_config_selectorILNS1_17partition_subalgoE5ExNS0_10empty_typeEbEEZZNS1_14partition_implILS5_5ELb0ES3_mN6thrust23THRUST_200600_302600_NS6detail15normal_iteratorINSA_10device_ptrIxEEEEPS6_NSA_18transform_iteratorINSB_9not_fun_tINSA_8identityIxEEEESF_NSA_11use_defaultESM_EENS0_5tupleIJSF_S6_EEENSO_IJSG_SG_EEES6_PlJS6_EEE10hipError_tPvRmT3_T4_T5_T6_T7_T9_mT8_P12ihipStream_tbDpT10_ENKUlT_T0_E_clISt17integral_constantIbLb1EES1A_IbLb0EEEEDaS16_S17_EUlS16_E_NS1_11comp_targetILNS1_3genE3ELNS1_11target_archE908ELNS1_3gpuE7ELNS1_3repE0EEENS1_30default_config_static_selectorELNS0_4arch9wavefront6targetE0EEEvT1_ ; -- Begin function _ZN7rocprim17ROCPRIM_400000_NS6detail17trampoline_kernelINS0_14default_configENS1_25partition_config_selectorILNS1_17partition_subalgoE5ExNS0_10empty_typeEbEEZZNS1_14partition_implILS5_5ELb0ES3_mN6thrust23THRUST_200600_302600_NS6detail15normal_iteratorINSA_10device_ptrIxEEEEPS6_NSA_18transform_iteratorINSB_9not_fun_tINSA_8identityIxEEEESF_NSA_11use_defaultESM_EENS0_5tupleIJSF_S6_EEENSO_IJSG_SG_EEES6_PlJS6_EEE10hipError_tPvRmT3_T4_T5_T6_T7_T9_mT8_P12ihipStream_tbDpT10_ENKUlT_T0_E_clISt17integral_constantIbLb1EES1A_IbLb0EEEEDaS16_S17_EUlS16_E_NS1_11comp_targetILNS1_3genE3ELNS1_11target_archE908ELNS1_3gpuE7ELNS1_3repE0EEENS1_30default_config_static_selectorELNS0_4arch9wavefront6targetE0EEEvT1_
	.globl	_ZN7rocprim17ROCPRIM_400000_NS6detail17trampoline_kernelINS0_14default_configENS1_25partition_config_selectorILNS1_17partition_subalgoE5ExNS0_10empty_typeEbEEZZNS1_14partition_implILS5_5ELb0ES3_mN6thrust23THRUST_200600_302600_NS6detail15normal_iteratorINSA_10device_ptrIxEEEEPS6_NSA_18transform_iteratorINSB_9not_fun_tINSA_8identityIxEEEESF_NSA_11use_defaultESM_EENS0_5tupleIJSF_S6_EEENSO_IJSG_SG_EEES6_PlJS6_EEE10hipError_tPvRmT3_T4_T5_T6_T7_T9_mT8_P12ihipStream_tbDpT10_ENKUlT_T0_E_clISt17integral_constantIbLb1EES1A_IbLb0EEEEDaS16_S17_EUlS16_E_NS1_11comp_targetILNS1_3genE3ELNS1_11target_archE908ELNS1_3gpuE7ELNS1_3repE0EEENS1_30default_config_static_selectorELNS0_4arch9wavefront6targetE0EEEvT1_
	.p2align	8
	.type	_ZN7rocprim17ROCPRIM_400000_NS6detail17trampoline_kernelINS0_14default_configENS1_25partition_config_selectorILNS1_17partition_subalgoE5ExNS0_10empty_typeEbEEZZNS1_14partition_implILS5_5ELb0ES3_mN6thrust23THRUST_200600_302600_NS6detail15normal_iteratorINSA_10device_ptrIxEEEEPS6_NSA_18transform_iteratorINSB_9not_fun_tINSA_8identityIxEEEESF_NSA_11use_defaultESM_EENS0_5tupleIJSF_S6_EEENSO_IJSG_SG_EEES6_PlJS6_EEE10hipError_tPvRmT3_T4_T5_T6_T7_T9_mT8_P12ihipStream_tbDpT10_ENKUlT_T0_E_clISt17integral_constantIbLb1EES1A_IbLb0EEEEDaS16_S17_EUlS16_E_NS1_11comp_targetILNS1_3genE3ELNS1_11target_archE908ELNS1_3gpuE7ELNS1_3repE0EEENS1_30default_config_static_selectorELNS0_4arch9wavefront6targetE0EEEvT1_,@function
_ZN7rocprim17ROCPRIM_400000_NS6detail17trampoline_kernelINS0_14default_configENS1_25partition_config_selectorILNS1_17partition_subalgoE5ExNS0_10empty_typeEbEEZZNS1_14partition_implILS5_5ELb0ES3_mN6thrust23THRUST_200600_302600_NS6detail15normal_iteratorINSA_10device_ptrIxEEEEPS6_NSA_18transform_iteratorINSB_9not_fun_tINSA_8identityIxEEEESF_NSA_11use_defaultESM_EENS0_5tupleIJSF_S6_EEENSO_IJSG_SG_EEES6_PlJS6_EEE10hipError_tPvRmT3_T4_T5_T6_T7_T9_mT8_P12ihipStream_tbDpT10_ENKUlT_T0_E_clISt17integral_constantIbLb1EES1A_IbLb0EEEEDaS16_S17_EUlS16_E_NS1_11comp_targetILNS1_3genE3ELNS1_11target_archE908ELNS1_3gpuE7ELNS1_3repE0EEENS1_30default_config_static_selectorELNS0_4arch9wavefront6targetE0EEEvT1_: ; @_ZN7rocprim17ROCPRIM_400000_NS6detail17trampoline_kernelINS0_14default_configENS1_25partition_config_selectorILNS1_17partition_subalgoE5ExNS0_10empty_typeEbEEZZNS1_14partition_implILS5_5ELb0ES3_mN6thrust23THRUST_200600_302600_NS6detail15normal_iteratorINSA_10device_ptrIxEEEEPS6_NSA_18transform_iteratorINSB_9not_fun_tINSA_8identityIxEEEESF_NSA_11use_defaultESM_EENS0_5tupleIJSF_S6_EEENSO_IJSG_SG_EEES6_PlJS6_EEE10hipError_tPvRmT3_T4_T5_T6_T7_T9_mT8_P12ihipStream_tbDpT10_ENKUlT_T0_E_clISt17integral_constantIbLb1EES1A_IbLb0EEEEDaS16_S17_EUlS16_E_NS1_11comp_targetILNS1_3genE3ELNS1_11target_archE908ELNS1_3gpuE7ELNS1_3repE0EEENS1_30default_config_static_selectorELNS0_4arch9wavefront6targetE0EEEvT1_
; %bb.0:
	.section	.rodata,"a",@progbits
	.p2align	6, 0x0
	.amdhsa_kernel _ZN7rocprim17ROCPRIM_400000_NS6detail17trampoline_kernelINS0_14default_configENS1_25partition_config_selectorILNS1_17partition_subalgoE5ExNS0_10empty_typeEbEEZZNS1_14partition_implILS5_5ELb0ES3_mN6thrust23THRUST_200600_302600_NS6detail15normal_iteratorINSA_10device_ptrIxEEEEPS6_NSA_18transform_iteratorINSB_9not_fun_tINSA_8identityIxEEEESF_NSA_11use_defaultESM_EENS0_5tupleIJSF_S6_EEENSO_IJSG_SG_EEES6_PlJS6_EEE10hipError_tPvRmT3_T4_T5_T6_T7_T9_mT8_P12ihipStream_tbDpT10_ENKUlT_T0_E_clISt17integral_constantIbLb1EES1A_IbLb0EEEEDaS16_S17_EUlS16_E_NS1_11comp_targetILNS1_3genE3ELNS1_11target_archE908ELNS1_3gpuE7ELNS1_3repE0EEENS1_30default_config_static_selectorELNS0_4arch9wavefront6targetE0EEEvT1_
		.amdhsa_group_segment_fixed_size 0
		.amdhsa_private_segment_fixed_size 0
		.amdhsa_kernarg_size 120
		.amdhsa_user_sgpr_count 2
		.amdhsa_user_sgpr_dispatch_ptr 0
		.amdhsa_user_sgpr_queue_ptr 0
		.amdhsa_user_sgpr_kernarg_segment_ptr 1
		.amdhsa_user_sgpr_dispatch_id 0
		.amdhsa_user_sgpr_private_segment_size 0
		.amdhsa_wavefront_size32 1
		.amdhsa_uses_dynamic_stack 0
		.amdhsa_enable_private_segment 0
		.amdhsa_system_sgpr_workgroup_id_x 1
		.amdhsa_system_sgpr_workgroup_id_y 0
		.amdhsa_system_sgpr_workgroup_id_z 0
		.amdhsa_system_sgpr_workgroup_info 0
		.amdhsa_system_vgpr_workitem_id 0
		.amdhsa_next_free_vgpr 1
		.amdhsa_next_free_sgpr 1
		.amdhsa_reserve_vcc 0
		.amdhsa_float_round_mode_32 0
		.amdhsa_float_round_mode_16_64 0
		.amdhsa_float_denorm_mode_32 3
		.amdhsa_float_denorm_mode_16_64 3
		.amdhsa_fp16_overflow 0
		.amdhsa_workgroup_processor_mode 1
		.amdhsa_memory_ordered 1
		.amdhsa_forward_progress 1
		.amdhsa_inst_pref_size 0
		.amdhsa_round_robin_scheduling 0
		.amdhsa_exception_fp_ieee_invalid_op 0
		.amdhsa_exception_fp_denorm_src 0
		.amdhsa_exception_fp_ieee_div_zero 0
		.amdhsa_exception_fp_ieee_overflow 0
		.amdhsa_exception_fp_ieee_underflow 0
		.amdhsa_exception_fp_ieee_inexact 0
		.amdhsa_exception_int_div_zero 0
	.end_amdhsa_kernel
	.section	.text._ZN7rocprim17ROCPRIM_400000_NS6detail17trampoline_kernelINS0_14default_configENS1_25partition_config_selectorILNS1_17partition_subalgoE5ExNS0_10empty_typeEbEEZZNS1_14partition_implILS5_5ELb0ES3_mN6thrust23THRUST_200600_302600_NS6detail15normal_iteratorINSA_10device_ptrIxEEEEPS6_NSA_18transform_iteratorINSB_9not_fun_tINSA_8identityIxEEEESF_NSA_11use_defaultESM_EENS0_5tupleIJSF_S6_EEENSO_IJSG_SG_EEES6_PlJS6_EEE10hipError_tPvRmT3_T4_T5_T6_T7_T9_mT8_P12ihipStream_tbDpT10_ENKUlT_T0_E_clISt17integral_constantIbLb1EES1A_IbLb0EEEEDaS16_S17_EUlS16_E_NS1_11comp_targetILNS1_3genE3ELNS1_11target_archE908ELNS1_3gpuE7ELNS1_3repE0EEENS1_30default_config_static_selectorELNS0_4arch9wavefront6targetE0EEEvT1_,"axG",@progbits,_ZN7rocprim17ROCPRIM_400000_NS6detail17trampoline_kernelINS0_14default_configENS1_25partition_config_selectorILNS1_17partition_subalgoE5ExNS0_10empty_typeEbEEZZNS1_14partition_implILS5_5ELb0ES3_mN6thrust23THRUST_200600_302600_NS6detail15normal_iteratorINSA_10device_ptrIxEEEEPS6_NSA_18transform_iteratorINSB_9not_fun_tINSA_8identityIxEEEESF_NSA_11use_defaultESM_EENS0_5tupleIJSF_S6_EEENSO_IJSG_SG_EEES6_PlJS6_EEE10hipError_tPvRmT3_T4_T5_T6_T7_T9_mT8_P12ihipStream_tbDpT10_ENKUlT_T0_E_clISt17integral_constantIbLb1EES1A_IbLb0EEEEDaS16_S17_EUlS16_E_NS1_11comp_targetILNS1_3genE3ELNS1_11target_archE908ELNS1_3gpuE7ELNS1_3repE0EEENS1_30default_config_static_selectorELNS0_4arch9wavefront6targetE0EEEvT1_,comdat
.Lfunc_end968:
	.size	_ZN7rocprim17ROCPRIM_400000_NS6detail17trampoline_kernelINS0_14default_configENS1_25partition_config_selectorILNS1_17partition_subalgoE5ExNS0_10empty_typeEbEEZZNS1_14partition_implILS5_5ELb0ES3_mN6thrust23THRUST_200600_302600_NS6detail15normal_iteratorINSA_10device_ptrIxEEEEPS6_NSA_18transform_iteratorINSB_9not_fun_tINSA_8identityIxEEEESF_NSA_11use_defaultESM_EENS0_5tupleIJSF_S6_EEENSO_IJSG_SG_EEES6_PlJS6_EEE10hipError_tPvRmT3_T4_T5_T6_T7_T9_mT8_P12ihipStream_tbDpT10_ENKUlT_T0_E_clISt17integral_constantIbLb1EES1A_IbLb0EEEEDaS16_S17_EUlS16_E_NS1_11comp_targetILNS1_3genE3ELNS1_11target_archE908ELNS1_3gpuE7ELNS1_3repE0EEENS1_30default_config_static_selectorELNS0_4arch9wavefront6targetE0EEEvT1_, .Lfunc_end968-_ZN7rocprim17ROCPRIM_400000_NS6detail17trampoline_kernelINS0_14default_configENS1_25partition_config_selectorILNS1_17partition_subalgoE5ExNS0_10empty_typeEbEEZZNS1_14partition_implILS5_5ELb0ES3_mN6thrust23THRUST_200600_302600_NS6detail15normal_iteratorINSA_10device_ptrIxEEEEPS6_NSA_18transform_iteratorINSB_9not_fun_tINSA_8identityIxEEEESF_NSA_11use_defaultESM_EENS0_5tupleIJSF_S6_EEENSO_IJSG_SG_EEES6_PlJS6_EEE10hipError_tPvRmT3_T4_T5_T6_T7_T9_mT8_P12ihipStream_tbDpT10_ENKUlT_T0_E_clISt17integral_constantIbLb1EES1A_IbLb0EEEEDaS16_S17_EUlS16_E_NS1_11comp_targetILNS1_3genE3ELNS1_11target_archE908ELNS1_3gpuE7ELNS1_3repE0EEENS1_30default_config_static_selectorELNS0_4arch9wavefront6targetE0EEEvT1_
                                        ; -- End function
	.set _ZN7rocprim17ROCPRIM_400000_NS6detail17trampoline_kernelINS0_14default_configENS1_25partition_config_selectorILNS1_17partition_subalgoE5ExNS0_10empty_typeEbEEZZNS1_14partition_implILS5_5ELb0ES3_mN6thrust23THRUST_200600_302600_NS6detail15normal_iteratorINSA_10device_ptrIxEEEEPS6_NSA_18transform_iteratorINSB_9not_fun_tINSA_8identityIxEEEESF_NSA_11use_defaultESM_EENS0_5tupleIJSF_S6_EEENSO_IJSG_SG_EEES6_PlJS6_EEE10hipError_tPvRmT3_T4_T5_T6_T7_T9_mT8_P12ihipStream_tbDpT10_ENKUlT_T0_E_clISt17integral_constantIbLb1EES1A_IbLb0EEEEDaS16_S17_EUlS16_E_NS1_11comp_targetILNS1_3genE3ELNS1_11target_archE908ELNS1_3gpuE7ELNS1_3repE0EEENS1_30default_config_static_selectorELNS0_4arch9wavefront6targetE0EEEvT1_.num_vgpr, 0
	.set _ZN7rocprim17ROCPRIM_400000_NS6detail17trampoline_kernelINS0_14default_configENS1_25partition_config_selectorILNS1_17partition_subalgoE5ExNS0_10empty_typeEbEEZZNS1_14partition_implILS5_5ELb0ES3_mN6thrust23THRUST_200600_302600_NS6detail15normal_iteratorINSA_10device_ptrIxEEEEPS6_NSA_18transform_iteratorINSB_9not_fun_tINSA_8identityIxEEEESF_NSA_11use_defaultESM_EENS0_5tupleIJSF_S6_EEENSO_IJSG_SG_EEES6_PlJS6_EEE10hipError_tPvRmT3_T4_T5_T6_T7_T9_mT8_P12ihipStream_tbDpT10_ENKUlT_T0_E_clISt17integral_constantIbLb1EES1A_IbLb0EEEEDaS16_S17_EUlS16_E_NS1_11comp_targetILNS1_3genE3ELNS1_11target_archE908ELNS1_3gpuE7ELNS1_3repE0EEENS1_30default_config_static_selectorELNS0_4arch9wavefront6targetE0EEEvT1_.num_agpr, 0
	.set _ZN7rocprim17ROCPRIM_400000_NS6detail17trampoline_kernelINS0_14default_configENS1_25partition_config_selectorILNS1_17partition_subalgoE5ExNS0_10empty_typeEbEEZZNS1_14partition_implILS5_5ELb0ES3_mN6thrust23THRUST_200600_302600_NS6detail15normal_iteratorINSA_10device_ptrIxEEEEPS6_NSA_18transform_iteratorINSB_9not_fun_tINSA_8identityIxEEEESF_NSA_11use_defaultESM_EENS0_5tupleIJSF_S6_EEENSO_IJSG_SG_EEES6_PlJS6_EEE10hipError_tPvRmT3_T4_T5_T6_T7_T9_mT8_P12ihipStream_tbDpT10_ENKUlT_T0_E_clISt17integral_constantIbLb1EES1A_IbLb0EEEEDaS16_S17_EUlS16_E_NS1_11comp_targetILNS1_3genE3ELNS1_11target_archE908ELNS1_3gpuE7ELNS1_3repE0EEENS1_30default_config_static_selectorELNS0_4arch9wavefront6targetE0EEEvT1_.numbered_sgpr, 0
	.set _ZN7rocprim17ROCPRIM_400000_NS6detail17trampoline_kernelINS0_14default_configENS1_25partition_config_selectorILNS1_17partition_subalgoE5ExNS0_10empty_typeEbEEZZNS1_14partition_implILS5_5ELb0ES3_mN6thrust23THRUST_200600_302600_NS6detail15normal_iteratorINSA_10device_ptrIxEEEEPS6_NSA_18transform_iteratorINSB_9not_fun_tINSA_8identityIxEEEESF_NSA_11use_defaultESM_EENS0_5tupleIJSF_S6_EEENSO_IJSG_SG_EEES6_PlJS6_EEE10hipError_tPvRmT3_T4_T5_T6_T7_T9_mT8_P12ihipStream_tbDpT10_ENKUlT_T0_E_clISt17integral_constantIbLb1EES1A_IbLb0EEEEDaS16_S17_EUlS16_E_NS1_11comp_targetILNS1_3genE3ELNS1_11target_archE908ELNS1_3gpuE7ELNS1_3repE0EEENS1_30default_config_static_selectorELNS0_4arch9wavefront6targetE0EEEvT1_.num_named_barrier, 0
	.set _ZN7rocprim17ROCPRIM_400000_NS6detail17trampoline_kernelINS0_14default_configENS1_25partition_config_selectorILNS1_17partition_subalgoE5ExNS0_10empty_typeEbEEZZNS1_14partition_implILS5_5ELb0ES3_mN6thrust23THRUST_200600_302600_NS6detail15normal_iteratorINSA_10device_ptrIxEEEEPS6_NSA_18transform_iteratorINSB_9not_fun_tINSA_8identityIxEEEESF_NSA_11use_defaultESM_EENS0_5tupleIJSF_S6_EEENSO_IJSG_SG_EEES6_PlJS6_EEE10hipError_tPvRmT3_T4_T5_T6_T7_T9_mT8_P12ihipStream_tbDpT10_ENKUlT_T0_E_clISt17integral_constantIbLb1EES1A_IbLb0EEEEDaS16_S17_EUlS16_E_NS1_11comp_targetILNS1_3genE3ELNS1_11target_archE908ELNS1_3gpuE7ELNS1_3repE0EEENS1_30default_config_static_selectorELNS0_4arch9wavefront6targetE0EEEvT1_.private_seg_size, 0
	.set _ZN7rocprim17ROCPRIM_400000_NS6detail17trampoline_kernelINS0_14default_configENS1_25partition_config_selectorILNS1_17partition_subalgoE5ExNS0_10empty_typeEbEEZZNS1_14partition_implILS5_5ELb0ES3_mN6thrust23THRUST_200600_302600_NS6detail15normal_iteratorINSA_10device_ptrIxEEEEPS6_NSA_18transform_iteratorINSB_9not_fun_tINSA_8identityIxEEEESF_NSA_11use_defaultESM_EENS0_5tupleIJSF_S6_EEENSO_IJSG_SG_EEES6_PlJS6_EEE10hipError_tPvRmT3_T4_T5_T6_T7_T9_mT8_P12ihipStream_tbDpT10_ENKUlT_T0_E_clISt17integral_constantIbLb1EES1A_IbLb0EEEEDaS16_S17_EUlS16_E_NS1_11comp_targetILNS1_3genE3ELNS1_11target_archE908ELNS1_3gpuE7ELNS1_3repE0EEENS1_30default_config_static_selectorELNS0_4arch9wavefront6targetE0EEEvT1_.uses_vcc, 0
	.set _ZN7rocprim17ROCPRIM_400000_NS6detail17trampoline_kernelINS0_14default_configENS1_25partition_config_selectorILNS1_17partition_subalgoE5ExNS0_10empty_typeEbEEZZNS1_14partition_implILS5_5ELb0ES3_mN6thrust23THRUST_200600_302600_NS6detail15normal_iteratorINSA_10device_ptrIxEEEEPS6_NSA_18transform_iteratorINSB_9not_fun_tINSA_8identityIxEEEESF_NSA_11use_defaultESM_EENS0_5tupleIJSF_S6_EEENSO_IJSG_SG_EEES6_PlJS6_EEE10hipError_tPvRmT3_T4_T5_T6_T7_T9_mT8_P12ihipStream_tbDpT10_ENKUlT_T0_E_clISt17integral_constantIbLb1EES1A_IbLb0EEEEDaS16_S17_EUlS16_E_NS1_11comp_targetILNS1_3genE3ELNS1_11target_archE908ELNS1_3gpuE7ELNS1_3repE0EEENS1_30default_config_static_selectorELNS0_4arch9wavefront6targetE0EEEvT1_.uses_flat_scratch, 0
	.set _ZN7rocprim17ROCPRIM_400000_NS6detail17trampoline_kernelINS0_14default_configENS1_25partition_config_selectorILNS1_17partition_subalgoE5ExNS0_10empty_typeEbEEZZNS1_14partition_implILS5_5ELb0ES3_mN6thrust23THRUST_200600_302600_NS6detail15normal_iteratorINSA_10device_ptrIxEEEEPS6_NSA_18transform_iteratorINSB_9not_fun_tINSA_8identityIxEEEESF_NSA_11use_defaultESM_EENS0_5tupleIJSF_S6_EEENSO_IJSG_SG_EEES6_PlJS6_EEE10hipError_tPvRmT3_T4_T5_T6_T7_T9_mT8_P12ihipStream_tbDpT10_ENKUlT_T0_E_clISt17integral_constantIbLb1EES1A_IbLb0EEEEDaS16_S17_EUlS16_E_NS1_11comp_targetILNS1_3genE3ELNS1_11target_archE908ELNS1_3gpuE7ELNS1_3repE0EEENS1_30default_config_static_selectorELNS0_4arch9wavefront6targetE0EEEvT1_.has_dyn_sized_stack, 0
	.set _ZN7rocprim17ROCPRIM_400000_NS6detail17trampoline_kernelINS0_14default_configENS1_25partition_config_selectorILNS1_17partition_subalgoE5ExNS0_10empty_typeEbEEZZNS1_14partition_implILS5_5ELb0ES3_mN6thrust23THRUST_200600_302600_NS6detail15normal_iteratorINSA_10device_ptrIxEEEEPS6_NSA_18transform_iteratorINSB_9not_fun_tINSA_8identityIxEEEESF_NSA_11use_defaultESM_EENS0_5tupleIJSF_S6_EEENSO_IJSG_SG_EEES6_PlJS6_EEE10hipError_tPvRmT3_T4_T5_T6_T7_T9_mT8_P12ihipStream_tbDpT10_ENKUlT_T0_E_clISt17integral_constantIbLb1EES1A_IbLb0EEEEDaS16_S17_EUlS16_E_NS1_11comp_targetILNS1_3genE3ELNS1_11target_archE908ELNS1_3gpuE7ELNS1_3repE0EEENS1_30default_config_static_selectorELNS0_4arch9wavefront6targetE0EEEvT1_.has_recursion, 0
	.set _ZN7rocprim17ROCPRIM_400000_NS6detail17trampoline_kernelINS0_14default_configENS1_25partition_config_selectorILNS1_17partition_subalgoE5ExNS0_10empty_typeEbEEZZNS1_14partition_implILS5_5ELb0ES3_mN6thrust23THRUST_200600_302600_NS6detail15normal_iteratorINSA_10device_ptrIxEEEEPS6_NSA_18transform_iteratorINSB_9not_fun_tINSA_8identityIxEEEESF_NSA_11use_defaultESM_EENS0_5tupleIJSF_S6_EEENSO_IJSG_SG_EEES6_PlJS6_EEE10hipError_tPvRmT3_T4_T5_T6_T7_T9_mT8_P12ihipStream_tbDpT10_ENKUlT_T0_E_clISt17integral_constantIbLb1EES1A_IbLb0EEEEDaS16_S17_EUlS16_E_NS1_11comp_targetILNS1_3genE3ELNS1_11target_archE908ELNS1_3gpuE7ELNS1_3repE0EEENS1_30default_config_static_selectorELNS0_4arch9wavefront6targetE0EEEvT1_.has_indirect_call, 0
	.section	.AMDGPU.csdata,"",@progbits
; Kernel info:
; codeLenInByte = 0
; TotalNumSgprs: 0
; NumVgprs: 0
; ScratchSize: 0
; MemoryBound: 0
; FloatMode: 240
; IeeeMode: 1
; LDSByteSize: 0 bytes/workgroup (compile time only)
; SGPRBlocks: 0
; VGPRBlocks: 0
; NumSGPRsForWavesPerEU: 1
; NumVGPRsForWavesPerEU: 1
; Occupancy: 16
; WaveLimiterHint : 0
; COMPUTE_PGM_RSRC2:SCRATCH_EN: 0
; COMPUTE_PGM_RSRC2:USER_SGPR: 2
; COMPUTE_PGM_RSRC2:TRAP_HANDLER: 0
; COMPUTE_PGM_RSRC2:TGID_X_EN: 1
; COMPUTE_PGM_RSRC2:TGID_Y_EN: 0
; COMPUTE_PGM_RSRC2:TGID_Z_EN: 0
; COMPUTE_PGM_RSRC2:TIDIG_COMP_CNT: 0
	.section	.text._ZN7rocprim17ROCPRIM_400000_NS6detail17trampoline_kernelINS0_14default_configENS1_25partition_config_selectorILNS1_17partition_subalgoE5ExNS0_10empty_typeEbEEZZNS1_14partition_implILS5_5ELb0ES3_mN6thrust23THRUST_200600_302600_NS6detail15normal_iteratorINSA_10device_ptrIxEEEEPS6_NSA_18transform_iteratorINSB_9not_fun_tINSA_8identityIxEEEESF_NSA_11use_defaultESM_EENS0_5tupleIJSF_S6_EEENSO_IJSG_SG_EEES6_PlJS6_EEE10hipError_tPvRmT3_T4_T5_T6_T7_T9_mT8_P12ihipStream_tbDpT10_ENKUlT_T0_E_clISt17integral_constantIbLb1EES1A_IbLb0EEEEDaS16_S17_EUlS16_E_NS1_11comp_targetILNS1_3genE2ELNS1_11target_archE906ELNS1_3gpuE6ELNS1_3repE0EEENS1_30default_config_static_selectorELNS0_4arch9wavefront6targetE0EEEvT1_,"axG",@progbits,_ZN7rocprim17ROCPRIM_400000_NS6detail17trampoline_kernelINS0_14default_configENS1_25partition_config_selectorILNS1_17partition_subalgoE5ExNS0_10empty_typeEbEEZZNS1_14partition_implILS5_5ELb0ES3_mN6thrust23THRUST_200600_302600_NS6detail15normal_iteratorINSA_10device_ptrIxEEEEPS6_NSA_18transform_iteratorINSB_9not_fun_tINSA_8identityIxEEEESF_NSA_11use_defaultESM_EENS0_5tupleIJSF_S6_EEENSO_IJSG_SG_EEES6_PlJS6_EEE10hipError_tPvRmT3_T4_T5_T6_T7_T9_mT8_P12ihipStream_tbDpT10_ENKUlT_T0_E_clISt17integral_constantIbLb1EES1A_IbLb0EEEEDaS16_S17_EUlS16_E_NS1_11comp_targetILNS1_3genE2ELNS1_11target_archE906ELNS1_3gpuE6ELNS1_3repE0EEENS1_30default_config_static_selectorELNS0_4arch9wavefront6targetE0EEEvT1_,comdat
	.protected	_ZN7rocprim17ROCPRIM_400000_NS6detail17trampoline_kernelINS0_14default_configENS1_25partition_config_selectorILNS1_17partition_subalgoE5ExNS0_10empty_typeEbEEZZNS1_14partition_implILS5_5ELb0ES3_mN6thrust23THRUST_200600_302600_NS6detail15normal_iteratorINSA_10device_ptrIxEEEEPS6_NSA_18transform_iteratorINSB_9not_fun_tINSA_8identityIxEEEESF_NSA_11use_defaultESM_EENS0_5tupleIJSF_S6_EEENSO_IJSG_SG_EEES6_PlJS6_EEE10hipError_tPvRmT3_T4_T5_T6_T7_T9_mT8_P12ihipStream_tbDpT10_ENKUlT_T0_E_clISt17integral_constantIbLb1EES1A_IbLb0EEEEDaS16_S17_EUlS16_E_NS1_11comp_targetILNS1_3genE2ELNS1_11target_archE906ELNS1_3gpuE6ELNS1_3repE0EEENS1_30default_config_static_selectorELNS0_4arch9wavefront6targetE0EEEvT1_ ; -- Begin function _ZN7rocprim17ROCPRIM_400000_NS6detail17trampoline_kernelINS0_14default_configENS1_25partition_config_selectorILNS1_17partition_subalgoE5ExNS0_10empty_typeEbEEZZNS1_14partition_implILS5_5ELb0ES3_mN6thrust23THRUST_200600_302600_NS6detail15normal_iteratorINSA_10device_ptrIxEEEEPS6_NSA_18transform_iteratorINSB_9not_fun_tINSA_8identityIxEEEESF_NSA_11use_defaultESM_EENS0_5tupleIJSF_S6_EEENSO_IJSG_SG_EEES6_PlJS6_EEE10hipError_tPvRmT3_T4_T5_T6_T7_T9_mT8_P12ihipStream_tbDpT10_ENKUlT_T0_E_clISt17integral_constantIbLb1EES1A_IbLb0EEEEDaS16_S17_EUlS16_E_NS1_11comp_targetILNS1_3genE2ELNS1_11target_archE906ELNS1_3gpuE6ELNS1_3repE0EEENS1_30default_config_static_selectorELNS0_4arch9wavefront6targetE0EEEvT1_
	.globl	_ZN7rocprim17ROCPRIM_400000_NS6detail17trampoline_kernelINS0_14default_configENS1_25partition_config_selectorILNS1_17partition_subalgoE5ExNS0_10empty_typeEbEEZZNS1_14partition_implILS5_5ELb0ES3_mN6thrust23THRUST_200600_302600_NS6detail15normal_iteratorINSA_10device_ptrIxEEEEPS6_NSA_18transform_iteratorINSB_9not_fun_tINSA_8identityIxEEEESF_NSA_11use_defaultESM_EENS0_5tupleIJSF_S6_EEENSO_IJSG_SG_EEES6_PlJS6_EEE10hipError_tPvRmT3_T4_T5_T6_T7_T9_mT8_P12ihipStream_tbDpT10_ENKUlT_T0_E_clISt17integral_constantIbLb1EES1A_IbLb0EEEEDaS16_S17_EUlS16_E_NS1_11comp_targetILNS1_3genE2ELNS1_11target_archE906ELNS1_3gpuE6ELNS1_3repE0EEENS1_30default_config_static_selectorELNS0_4arch9wavefront6targetE0EEEvT1_
	.p2align	8
	.type	_ZN7rocprim17ROCPRIM_400000_NS6detail17trampoline_kernelINS0_14default_configENS1_25partition_config_selectorILNS1_17partition_subalgoE5ExNS0_10empty_typeEbEEZZNS1_14partition_implILS5_5ELb0ES3_mN6thrust23THRUST_200600_302600_NS6detail15normal_iteratorINSA_10device_ptrIxEEEEPS6_NSA_18transform_iteratorINSB_9not_fun_tINSA_8identityIxEEEESF_NSA_11use_defaultESM_EENS0_5tupleIJSF_S6_EEENSO_IJSG_SG_EEES6_PlJS6_EEE10hipError_tPvRmT3_T4_T5_T6_T7_T9_mT8_P12ihipStream_tbDpT10_ENKUlT_T0_E_clISt17integral_constantIbLb1EES1A_IbLb0EEEEDaS16_S17_EUlS16_E_NS1_11comp_targetILNS1_3genE2ELNS1_11target_archE906ELNS1_3gpuE6ELNS1_3repE0EEENS1_30default_config_static_selectorELNS0_4arch9wavefront6targetE0EEEvT1_,@function
_ZN7rocprim17ROCPRIM_400000_NS6detail17trampoline_kernelINS0_14default_configENS1_25partition_config_selectorILNS1_17partition_subalgoE5ExNS0_10empty_typeEbEEZZNS1_14partition_implILS5_5ELb0ES3_mN6thrust23THRUST_200600_302600_NS6detail15normal_iteratorINSA_10device_ptrIxEEEEPS6_NSA_18transform_iteratorINSB_9not_fun_tINSA_8identityIxEEEESF_NSA_11use_defaultESM_EENS0_5tupleIJSF_S6_EEENSO_IJSG_SG_EEES6_PlJS6_EEE10hipError_tPvRmT3_T4_T5_T6_T7_T9_mT8_P12ihipStream_tbDpT10_ENKUlT_T0_E_clISt17integral_constantIbLb1EES1A_IbLb0EEEEDaS16_S17_EUlS16_E_NS1_11comp_targetILNS1_3genE2ELNS1_11target_archE906ELNS1_3gpuE6ELNS1_3repE0EEENS1_30default_config_static_selectorELNS0_4arch9wavefront6targetE0EEEvT1_: ; @_ZN7rocprim17ROCPRIM_400000_NS6detail17trampoline_kernelINS0_14default_configENS1_25partition_config_selectorILNS1_17partition_subalgoE5ExNS0_10empty_typeEbEEZZNS1_14partition_implILS5_5ELb0ES3_mN6thrust23THRUST_200600_302600_NS6detail15normal_iteratorINSA_10device_ptrIxEEEEPS6_NSA_18transform_iteratorINSB_9not_fun_tINSA_8identityIxEEEESF_NSA_11use_defaultESM_EENS0_5tupleIJSF_S6_EEENSO_IJSG_SG_EEES6_PlJS6_EEE10hipError_tPvRmT3_T4_T5_T6_T7_T9_mT8_P12ihipStream_tbDpT10_ENKUlT_T0_E_clISt17integral_constantIbLb1EES1A_IbLb0EEEEDaS16_S17_EUlS16_E_NS1_11comp_targetILNS1_3genE2ELNS1_11target_archE906ELNS1_3gpuE6ELNS1_3repE0EEENS1_30default_config_static_selectorELNS0_4arch9wavefront6targetE0EEEvT1_
; %bb.0:
	.section	.rodata,"a",@progbits
	.p2align	6, 0x0
	.amdhsa_kernel _ZN7rocprim17ROCPRIM_400000_NS6detail17trampoline_kernelINS0_14default_configENS1_25partition_config_selectorILNS1_17partition_subalgoE5ExNS0_10empty_typeEbEEZZNS1_14partition_implILS5_5ELb0ES3_mN6thrust23THRUST_200600_302600_NS6detail15normal_iteratorINSA_10device_ptrIxEEEEPS6_NSA_18transform_iteratorINSB_9not_fun_tINSA_8identityIxEEEESF_NSA_11use_defaultESM_EENS0_5tupleIJSF_S6_EEENSO_IJSG_SG_EEES6_PlJS6_EEE10hipError_tPvRmT3_T4_T5_T6_T7_T9_mT8_P12ihipStream_tbDpT10_ENKUlT_T0_E_clISt17integral_constantIbLb1EES1A_IbLb0EEEEDaS16_S17_EUlS16_E_NS1_11comp_targetILNS1_3genE2ELNS1_11target_archE906ELNS1_3gpuE6ELNS1_3repE0EEENS1_30default_config_static_selectorELNS0_4arch9wavefront6targetE0EEEvT1_
		.amdhsa_group_segment_fixed_size 0
		.amdhsa_private_segment_fixed_size 0
		.amdhsa_kernarg_size 120
		.amdhsa_user_sgpr_count 2
		.amdhsa_user_sgpr_dispatch_ptr 0
		.amdhsa_user_sgpr_queue_ptr 0
		.amdhsa_user_sgpr_kernarg_segment_ptr 1
		.amdhsa_user_sgpr_dispatch_id 0
		.amdhsa_user_sgpr_private_segment_size 0
		.amdhsa_wavefront_size32 1
		.amdhsa_uses_dynamic_stack 0
		.amdhsa_enable_private_segment 0
		.amdhsa_system_sgpr_workgroup_id_x 1
		.amdhsa_system_sgpr_workgroup_id_y 0
		.amdhsa_system_sgpr_workgroup_id_z 0
		.amdhsa_system_sgpr_workgroup_info 0
		.amdhsa_system_vgpr_workitem_id 0
		.amdhsa_next_free_vgpr 1
		.amdhsa_next_free_sgpr 1
		.amdhsa_reserve_vcc 0
		.amdhsa_float_round_mode_32 0
		.amdhsa_float_round_mode_16_64 0
		.amdhsa_float_denorm_mode_32 3
		.amdhsa_float_denorm_mode_16_64 3
		.amdhsa_fp16_overflow 0
		.amdhsa_workgroup_processor_mode 1
		.amdhsa_memory_ordered 1
		.amdhsa_forward_progress 1
		.amdhsa_inst_pref_size 0
		.amdhsa_round_robin_scheduling 0
		.amdhsa_exception_fp_ieee_invalid_op 0
		.amdhsa_exception_fp_denorm_src 0
		.amdhsa_exception_fp_ieee_div_zero 0
		.amdhsa_exception_fp_ieee_overflow 0
		.amdhsa_exception_fp_ieee_underflow 0
		.amdhsa_exception_fp_ieee_inexact 0
		.amdhsa_exception_int_div_zero 0
	.end_amdhsa_kernel
	.section	.text._ZN7rocprim17ROCPRIM_400000_NS6detail17trampoline_kernelINS0_14default_configENS1_25partition_config_selectorILNS1_17partition_subalgoE5ExNS0_10empty_typeEbEEZZNS1_14partition_implILS5_5ELb0ES3_mN6thrust23THRUST_200600_302600_NS6detail15normal_iteratorINSA_10device_ptrIxEEEEPS6_NSA_18transform_iteratorINSB_9not_fun_tINSA_8identityIxEEEESF_NSA_11use_defaultESM_EENS0_5tupleIJSF_S6_EEENSO_IJSG_SG_EEES6_PlJS6_EEE10hipError_tPvRmT3_T4_T5_T6_T7_T9_mT8_P12ihipStream_tbDpT10_ENKUlT_T0_E_clISt17integral_constantIbLb1EES1A_IbLb0EEEEDaS16_S17_EUlS16_E_NS1_11comp_targetILNS1_3genE2ELNS1_11target_archE906ELNS1_3gpuE6ELNS1_3repE0EEENS1_30default_config_static_selectorELNS0_4arch9wavefront6targetE0EEEvT1_,"axG",@progbits,_ZN7rocprim17ROCPRIM_400000_NS6detail17trampoline_kernelINS0_14default_configENS1_25partition_config_selectorILNS1_17partition_subalgoE5ExNS0_10empty_typeEbEEZZNS1_14partition_implILS5_5ELb0ES3_mN6thrust23THRUST_200600_302600_NS6detail15normal_iteratorINSA_10device_ptrIxEEEEPS6_NSA_18transform_iteratorINSB_9not_fun_tINSA_8identityIxEEEESF_NSA_11use_defaultESM_EENS0_5tupleIJSF_S6_EEENSO_IJSG_SG_EEES6_PlJS6_EEE10hipError_tPvRmT3_T4_T5_T6_T7_T9_mT8_P12ihipStream_tbDpT10_ENKUlT_T0_E_clISt17integral_constantIbLb1EES1A_IbLb0EEEEDaS16_S17_EUlS16_E_NS1_11comp_targetILNS1_3genE2ELNS1_11target_archE906ELNS1_3gpuE6ELNS1_3repE0EEENS1_30default_config_static_selectorELNS0_4arch9wavefront6targetE0EEEvT1_,comdat
.Lfunc_end969:
	.size	_ZN7rocprim17ROCPRIM_400000_NS6detail17trampoline_kernelINS0_14default_configENS1_25partition_config_selectorILNS1_17partition_subalgoE5ExNS0_10empty_typeEbEEZZNS1_14partition_implILS5_5ELb0ES3_mN6thrust23THRUST_200600_302600_NS6detail15normal_iteratorINSA_10device_ptrIxEEEEPS6_NSA_18transform_iteratorINSB_9not_fun_tINSA_8identityIxEEEESF_NSA_11use_defaultESM_EENS0_5tupleIJSF_S6_EEENSO_IJSG_SG_EEES6_PlJS6_EEE10hipError_tPvRmT3_T4_T5_T6_T7_T9_mT8_P12ihipStream_tbDpT10_ENKUlT_T0_E_clISt17integral_constantIbLb1EES1A_IbLb0EEEEDaS16_S17_EUlS16_E_NS1_11comp_targetILNS1_3genE2ELNS1_11target_archE906ELNS1_3gpuE6ELNS1_3repE0EEENS1_30default_config_static_selectorELNS0_4arch9wavefront6targetE0EEEvT1_, .Lfunc_end969-_ZN7rocprim17ROCPRIM_400000_NS6detail17trampoline_kernelINS0_14default_configENS1_25partition_config_selectorILNS1_17partition_subalgoE5ExNS0_10empty_typeEbEEZZNS1_14partition_implILS5_5ELb0ES3_mN6thrust23THRUST_200600_302600_NS6detail15normal_iteratorINSA_10device_ptrIxEEEEPS6_NSA_18transform_iteratorINSB_9not_fun_tINSA_8identityIxEEEESF_NSA_11use_defaultESM_EENS0_5tupleIJSF_S6_EEENSO_IJSG_SG_EEES6_PlJS6_EEE10hipError_tPvRmT3_T4_T5_T6_T7_T9_mT8_P12ihipStream_tbDpT10_ENKUlT_T0_E_clISt17integral_constantIbLb1EES1A_IbLb0EEEEDaS16_S17_EUlS16_E_NS1_11comp_targetILNS1_3genE2ELNS1_11target_archE906ELNS1_3gpuE6ELNS1_3repE0EEENS1_30default_config_static_selectorELNS0_4arch9wavefront6targetE0EEEvT1_
                                        ; -- End function
	.set _ZN7rocprim17ROCPRIM_400000_NS6detail17trampoline_kernelINS0_14default_configENS1_25partition_config_selectorILNS1_17partition_subalgoE5ExNS0_10empty_typeEbEEZZNS1_14partition_implILS5_5ELb0ES3_mN6thrust23THRUST_200600_302600_NS6detail15normal_iteratorINSA_10device_ptrIxEEEEPS6_NSA_18transform_iteratorINSB_9not_fun_tINSA_8identityIxEEEESF_NSA_11use_defaultESM_EENS0_5tupleIJSF_S6_EEENSO_IJSG_SG_EEES6_PlJS6_EEE10hipError_tPvRmT3_T4_T5_T6_T7_T9_mT8_P12ihipStream_tbDpT10_ENKUlT_T0_E_clISt17integral_constantIbLb1EES1A_IbLb0EEEEDaS16_S17_EUlS16_E_NS1_11comp_targetILNS1_3genE2ELNS1_11target_archE906ELNS1_3gpuE6ELNS1_3repE0EEENS1_30default_config_static_selectorELNS0_4arch9wavefront6targetE0EEEvT1_.num_vgpr, 0
	.set _ZN7rocprim17ROCPRIM_400000_NS6detail17trampoline_kernelINS0_14default_configENS1_25partition_config_selectorILNS1_17partition_subalgoE5ExNS0_10empty_typeEbEEZZNS1_14partition_implILS5_5ELb0ES3_mN6thrust23THRUST_200600_302600_NS6detail15normal_iteratorINSA_10device_ptrIxEEEEPS6_NSA_18transform_iteratorINSB_9not_fun_tINSA_8identityIxEEEESF_NSA_11use_defaultESM_EENS0_5tupleIJSF_S6_EEENSO_IJSG_SG_EEES6_PlJS6_EEE10hipError_tPvRmT3_T4_T5_T6_T7_T9_mT8_P12ihipStream_tbDpT10_ENKUlT_T0_E_clISt17integral_constantIbLb1EES1A_IbLb0EEEEDaS16_S17_EUlS16_E_NS1_11comp_targetILNS1_3genE2ELNS1_11target_archE906ELNS1_3gpuE6ELNS1_3repE0EEENS1_30default_config_static_selectorELNS0_4arch9wavefront6targetE0EEEvT1_.num_agpr, 0
	.set _ZN7rocprim17ROCPRIM_400000_NS6detail17trampoline_kernelINS0_14default_configENS1_25partition_config_selectorILNS1_17partition_subalgoE5ExNS0_10empty_typeEbEEZZNS1_14partition_implILS5_5ELb0ES3_mN6thrust23THRUST_200600_302600_NS6detail15normal_iteratorINSA_10device_ptrIxEEEEPS6_NSA_18transform_iteratorINSB_9not_fun_tINSA_8identityIxEEEESF_NSA_11use_defaultESM_EENS0_5tupleIJSF_S6_EEENSO_IJSG_SG_EEES6_PlJS6_EEE10hipError_tPvRmT3_T4_T5_T6_T7_T9_mT8_P12ihipStream_tbDpT10_ENKUlT_T0_E_clISt17integral_constantIbLb1EES1A_IbLb0EEEEDaS16_S17_EUlS16_E_NS1_11comp_targetILNS1_3genE2ELNS1_11target_archE906ELNS1_3gpuE6ELNS1_3repE0EEENS1_30default_config_static_selectorELNS0_4arch9wavefront6targetE0EEEvT1_.numbered_sgpr, 0
	.set _ZN7rocprim17ROCPRIM_400000_NS6detail17trampoline_kernelINS0_14default_configENS1_25partition_config_selectorILNS1_17partition_subalgoE5ExNS0_10empty_typeEbEEZZNS1_14partition_implILS5_5ELb0ES3_mN6thrust23THRUST_200600_302600_NS6detail15normal_iteratorINSA_10device_ptrIxEEEEPS6_NSA_18transform_iteratorINSB_9not_fun_tINSA_8identityIxEEEESF_NSA_11use_defaultESM_EENS0_5tupleIJSF_S6_EEENSO_IJSG_SG_EEES6_PlJS6_EEE10hipError_tPvRmT3_T4_T5_T6_T7_T9_mT8_P12ihipStream_tbDpT10_ENKUlT_T0_E_clISt17integral_constantIbLb1EES1A_IbLb0EEEEDaS16_S17_EUlS16_E_NS1_11comp_targetILNS1_3genE2ELNS1_11target_archE906ELNS1_3gpuE6ELNS1_3repE0EEENS1_30default_config_static_selectorELNS0_4arch9wavefront6targetE0EEEvT1_.num_named_barrier, 0
	.set _ZN7rocprim17ROCPRIM_400000_NS6detail17trampoline_kernelINS0_14default_configENS1_25partition_config_selectorILNS1_17partition_subalgoE5ExNS0_10empty_typeEbEEZZNS1_14partition_implILS5_5ELb0ES3_mN6thrust23THRUST_200600_302600_NS6detail15normal_iteratorINSA_10device_ptrIxEEEEPS6_NSA_18transform_iteratorINSB_9not_fun_tINSA_8identityIxEEEESF_NSA_11use_defaultESM_EENS0_5tupleIJSF_S6_EEENSO_IJSG_SG_EEES6_PlJS6_EEE10hipError_tPvRmT3_T4_T5_T6_T7_T9_mT8_P12ihipStream_tbDpT10_ENKUlT_T0_E_clISt17integral_constantIbLb1EES1A_IbLb0EEEEDaS16_S17_EUlS16_E_NS1_11comp_targetILNS1_3genE2ELNS1_11target_archE906ELNS1_3gpuE6ELNS1_3repE0EEENS1_30default_config_static_selectorELNS0_4arch9wavefront6targetE0EEEvT1_.private_seg_size, 0
	.set _ZN7rocprim17ROCPRIM_400000_NS6detail17trampoline_kernelINS0_14default_configENS1_25partition_config_selectorILNS1_17partition_subalgoE5ExNS0_10empty_typeEbEEZZNS1_14partition_implILS5_5ELb0ES3_mN6thrust23THRUST_200600_302600_NS6detail15normal_iteratorINSA_10device_ptrIxEEEEPS6_NSA_18transform_iteratorINSB_9not_fun_tINSA_8identityIxEEEESF_NSA_11use_defaultESM_EENS0_5tupleIJSF_S6_EEENSO_IJSG_SG_EEES6_PlJS6_EEE10hipError_tPvRmT3_T4_T5_T6_T7_T9_mT8_P12ihipStream_tbDpT10_ENKUlT_T0_E_clISt17integral_constantIbLb1EES1A_IbLb0EEEEDaS16_S17_EUlS16_E_NS1_11comp_targetILNS1_3genE2ELNS1_11target_archE906ELNS1_3gpuE6ELNS1_3repE0EEENS1_30default_config_static_selectorELNS0_4arch9wavefront6targetE0EEEvT1_.uses_vcc, 0
	.set _ZN7rocprim17ROCPRIM_400000_NS6detail17trampoline_kernelINS0_14default_configENS1_25partition_config_selectorILNS1_17partition_subalgoE5ExNS0_10empty_typeEbEEZZNS1_14partition_implILS5_5ELb0ES3_mN6thrust23THRUST_200600_302600_NS6detail15normal_iteratorINSA_10device_ptrIxEEEEPS6_NSA_18transform_iteratorINSB_9not_fun_tINSA_8identityIxEEEESF_NSA_11use_defaultESM_EENS0_5tupleIJSF_S6_EEENSO_IJSG_SG_EEES6_PlJS6_EEE10hipError_tPvRmT3_T4_T5_T6_T7_T9_mT8_P12ihipStream_tbDpT10_ENKUlT_T0_E_clISt17integral_constantIbLb1EES1A_IbLb0EEEEDaS16_S17_EUlS16_E_NS1_11comp_targetILNS1_3genE2ELNS1_11target_archE906ELNS1_3gpuE6ELNS1_3repE0EEENS1_30default_config_static_selectorELNS0_4arch9wavefront6targetE0EEEvT1_.uses_flat_scratch, 0
	.set _ZN7rocprim17ROCPRIM_400000_NS6detail17trampoline_kernelINS0_14default_configENS1_25partition_config_selectorILNS1_17partition_subalgoE5ExNS0_10empty_typeEbEEZZNS1_14partition_implILS5_5ELb0ES3_mN6thrust23THRUST_200600_302600_NS6detail15normal_iteratorINSA_10device_ptrIxEEEEPS6_NSA_18transform_iteratorINSB_9not_fun_tINSA_8identityIxEEEESF_NSA_11use_defaultESM_EENS0_5tupleIJSF_S6_EEENSO_IJSG_SG_EEES6_PlJS6_EEE10hipError_tPvRmT3_T4_T5_T6_T7_T9_mT8_P12ihipStream_tbDpT10_ENKUlT_T0_E_clISt17integral_constantIbLb1EES1A_IbLb0EEEEDaS16_S17_EUlS16_E_NS1_11comp_targetILNS1_3genE2ELNS1_11target_archE906ELNS1_3gpuE6ELNS1_3repE0EEENS1_30default_config_static_selectorELNS0_4arch9wavefront6targetE0EEEvT1_.has_dyn_sized_stack, 0
	.set _ZN7rocprim17ROCPRIM_400000_NS6detail17trampoline_kernelINS0_14default_configENS1_25partition_config_selectorILNS1_17partition_subalgoE5ExNS0_10empty_typeEbEEZZNS1_14partition_implILS5_5ELb0ES3_mN6thrust23THRUST_200600_302600_NS6detail15normal_iteratorINSA_10device_ptrIxEEEEPS6_NSA_18transform_iteratorINSB_9not_fun_tINSA_8identityIxEEEESF_NSA_11use_defaultESM_EENS0_5tupleIJSF_S6_EEENSO_IJSG_SG_EEES6_PlJS6_EEE10hipError_tPvRmT3_T4_T5_T6_T7_T9_mT8_P12ihipStream_tbDpT10_ENKUlT_T0_E_clISt17integral_constantIbLb1EES1A_IbLb0EEEEDaS16_S17_EUlS16_E_NS1_11comp_targetILNS1_3genE2ELNS1_11target_archE906ELNS1_3gpuE6ELNS1_3repE0EEENS1_30default_config_static_selectorELNS0_4arch9wavefront6targetE0EEEvT1_.has_recursion, 0
	.set _ZN7rocprim17ROCPRIM_400000_NS6detail17trampoline_kernelINS0_14default_configENS1_25partition_config_selectorILNS1_17partition_subalgoE5ExNS0_10empty_typeEbEEZZNS1_14partition_implILS5_5ELb0ES3_mN6thrust23THRUST_200600_302600_NS6detail15normal_iteratorINSA_10device_ptrIxEEEEPS6_NSA_18transform_iteratorINSB_9not_fun_tINSA_8identityIxEEEESF_NSA_11use_defaultESM_EENS0_5tupleIJSF_S6_EEENSO_IJSG_SG_EEES6_PlJS6_EEE10hipError_tPvRmT3_T4_T5_T6_T7_T9_mT8_P12ihipStream_tbDpT10_ENKUlT_T0_E_clISt17integral_constantIbLb1EES1A_IbLb0EEEEDaS16_S17_EUlS16_E_NS1_11comp_targetILNS1_3genE2ELNS1_11target_archE906ELNS1_3gpuE6ELNS1_3repE0EEENS1_30default_config_static_selectorELNS0_4arch9wavefront6targetE0EEEvT1_.has_indirect_call, 0
	.section	.AMDGPU.csdata,"",@progbits
; Kernel info:
; codeLenInByte = 0
; TotalNumSgprs: 0
; NumVgprs: 0
; ScratchSize: 0
; MemoryBound: 0
; FloatMode: 240
; IeeeMode: 1
; LDSByteSize: 0 bytes/workgroup (compile time only)
; SGPRBlocks: 0
; VGPRBlocks: 0
; NumSGPRsForWavesPerEU: 1
; NumVGPRsForWavesPerEU: 1
; Occupancy: 16
; WaveLimiterHint : 0
; COMPUTE_PGM_RSRC2:SCRATCH_EN: 0
; COMPUTE_PGM_RSRC2:USER_SGPR: 2
; COMPUTE_PGM_RSRC2:TRAP_HANDLER: 0
; COMPUTE_PGM_RSRC2:TGID_X_EN: 1
; COMPUTE_PGM_RSRC2:TGID_Y_EN: 0
; COMPUTE_PGM_RSRC2:TGID_Z_EN: 0
; COMPUTE_PGM_RSRC2:TIDIG_COMP_CNT: 0
	.section	.text._ZN7rocprim17ROCPRIM_400000_NS6detail17trampoline_kernelINS0_14default_configENS1_25partition_config_selectorILNS1_17partition_subalgoE5ExNS0_10empty_typeEbEEZZNS1_14partition_implILS5_5ELb0ES3_mN6thrust23THRUST_200600_302600_NS6detail15normal_iteratorINSA_10device_ptrIxEEEEPS6_NSA_18transform_iteratorINSB_9not_fun_tINSA_8identityIxEEEESF_NSA_11use_defaultESM_EENS0_5tupleIJSF_S6_EEENSO_IJSG_SG_EEES6_PlJS6_EEE10hipError_tPvRmT3_T4_T5_T6_T7_T9_mT8_P12ihipStream_tbDpT10_ENKUlT_T0_E_clISt17integral_constantIbLb1EES1A_IbLb0EEEEDaS16_S17_EUlS16_E_NS1_11comp_targetILNS1_3genE10ELNS1_11target_archE1200ELNS1_3gpuE4ELNS1_3repE0EEENS1_30default_config_static_selectorELNS0_4arch9wavefront6targetE0EEEvT1_,"axG",@progbits,_ZN7rocprim17ROCPRIM_400000_NS6detail17trampoline_kernelINS0_14default_configENS1_25partition_config_selectorILNS1_17partition_subalgoE5ExNS0_10empty_typeEbEEZZNS1_14partition_implILS5_5ELb0ES3_mN6thrust23THRUST_200600_302600_NS6detail15normal_iteratorINSA_10device_ptrIxEEEEPS6_NSA_18transform_iteratorINSB_9not_fun_tINSA_8identityIxEEEESF_NSA_11use_defaultESM_EENS0_5tupleIJSF_S6_EEENSO_IJSG_SG_EEES6_PlJS6_EEE10hipError_tPvRmT3_T4_T5_T6_T7_T9_mT8_P12ihipStream_tbDpT10_ENKUlT_T0_E_clISt17integral_constantIbLb1EES1A_IbLb0EEEEDaS16_S17_EUlS16_E_NS1_11comp_targetILNS1_3genE10ELNS1_11target_archE1200ELNS1_3gpuE4ELNS1_3repE0EEENS1_30default_config_static_selectorELNS0_4arch9wavefront6targetE0EEEvT1_,comdat
	.protected	_ZN7rocprim17ROCPRIM_400000_NS6detail17trampoline_kernelINS0_14default_configENS1_25partition_config_selectorILNS1_17partition_subalgoE5ExNS0_10empty_typeEbEEZZNS1_14partition_implILS5_5ELb0ES3_mN6thrust23THRUST_200600_302600_NS6detail15normal_iteratorINSA_10device_ptrIxEEEEPS6_NSA_18transform_iteratorINSB_9not_fun_tINSA_8identityIxEEEESF_NSA_11use_defaultESM_EENS0_5tupleIJSF_S6_EEENSO_IJSG_SG_EEES6_PlJS6_EEE10hipError_tPvRmT3_T4_T5_T6_T7_T9_mT8_P12ihipStream_tbDpT10_ENKUlT_T0_E_clISt17integral_constantIbLb1EES1A_IbLb0EEEEDaS16_S17_EUlS16_E_NS1_11comp_targetILNS1_3genE10ELNS1_11target_archE1200ELNS1_3gpuE4ELNS1_3repE0EEENS1_30default_config_static_selectorELNS0_4arch9wavefront6targetE0EEEvT1_ ; -- Begin function _ZN7rocprim17ROCPRIM_400000_NS6detail17trampoline_kernelINS0_14default_configENS1_25partition_config_selectorILNS1_17partition_subalgoE5ExNS0_10empty_typeEbEEZZNS1_14partition_implILS5_5ELb0ES3_mN6thrust23THRUST_200600_302600_NS6detail15normal_iteratorINSA_10device_ptrIxEEEEPS6_NSA_18transform_iteratorINSB_9not_fun_tINSA_8identityIxEEEESF_NSA_11use_defaultESM_EENS0_5tupleIJSF_S6_EEENSO_IJSG_SG_EEES6_PlJS6_EEE10hipError_tPvRmT3_T4_T5_T6_T7_T9_mT8_P12ihipStream_tbDpT10_ENKUlT_T0_E_clISt17integral_constantIbLb1EES1A_IbLb0EEEEDaS16_S17_EUlS16_E_NS1_11comp_targetILNS1_3genE10ELNS1_11target_archE1200ELNS1_3gpuE4ELNS1_3repE0EEENS1_30default_config_static_selectorELNS0_4arch9wavefront6targetE0EEEvT1_
	.globl	_ZN7rocprim17ROCPRIM_400000_NS6detail17trampoline_kernelINS0_14default_configENS1_25partition_config_selectorILNS1_17partition_subalgoE5ExNS0_10empty_typeEbEEZZNS1_14partition_implILS5_5ELb0ES3_mN6thrust23THRUST_200600_302600_NS6detail15normal_iteratorINSA_10device_ptrIxEEEEPS6_NSA_18transform_iteratorINSB_9not_fun_tINSA_8identityIxEEEESF_NSA_11use_defaultESM_EENS0_5tupleIJSF_S6_EEENSO_IJSG_SG_EEES6_PlJS6_EEE10hipError_tPvRmT3_T4_T5_T6_T7_T9_mT8_P12ihipStream_tbDpT10_ENKUlT_T0_E_clISt17integral_constantIbLb1EES1A_IbLb0EEEEDaS16_S17_EUlS16_E_NS1_11comp_targetILNS1_3genE10ELNS1_11target_archE1200ELNS1_3gpuE4ELNS1_3repE0EEENS1_30default_config_static_selectorELNS0_4arch9wavefront6targetE0EEEvT1_
	.p2align	8
	.type	_ZN7rocprim17ROCPRIM_400000_NS6detail17trampoline_kernelINS0_14default_configENS1_25partition_config_selectorILNS1_17partition_subalgoE5ExNS0_10empty_typeEbEEZZNS1_14partition_implILS5_5ELb0ES3_mN6thrust23THRUST_200600_302600_NS6detail15normal_iteratorINSA_10device_ptrIxEEEEPS6_NSA_18transform_iteratorINSB_9not_fun_tINSA_8identityIxEEEESF_NSA_11use_defaultESM_EENS0_5tupleIJSF_S6_EEENSO_IJSG_SG_EEES6_PlJS6_EEE10hipError_tPvRmT3_T4_T5_T6_T7_T9_mT8_P12ihipStream_tbDpT10_ENKUlT_T0_E_clISt17integral_constantIbLb1EES1A_IbLb0EEEEDaS16_S17_EUlS16_E_NS1_11comp_targetILNS1_3genE10ELNS1_11target_archE1200ELNS1_3gpuE4ELNS1_3repE0EEENS1_30default_config_static_selectorELNS0_4arch9wavefront6targetE0EEEvT1_,@function
_ZN7rocprim17ROCPRIM_400000_NS6detail17trampoline_kernelINS0_14default_configENS1_25partition_config_selectorILNS1_17partition_subalgoE5ExNS0_10empty_typeEbEEZZNS1_14partition_implILS5_5ELb0ES3_mN6thrust23THRUST_200600_302600_NS6detail15normal_iteratorINSA_10device_ptrIxEEEEPS6_NSA_18transform_iteratorINSB_9not_fun_tINSA_8identityIxEEEESF_NSA_11use_defaultESM_EENS0_5tupleIJSF_S6_EEENSO_IJSG_SG_EEES6_PlJS6_EEE10hipError_tPvRmT3_T4_T5_T6_T7_T9_mT8_P12ihipStream_tbDpT10_ENKUlT_T0_E_clISt17integral_constantIbLb1EES1A_IbLb0EEEEDaS16_S17_EUlS16_E_NS1_11comp_targetILNS1_3genE10ELNS1_11target_archE1200ELNS1_3gpuE4ELNS1_3repE0EEENS1_30default_config_static_selectorELNS0_4arch9wavefront6targetE0EEEvT1_: ; @_ZN7rocprim17ROCPRIM_400000_NS6detail17trampoline_kernelINS0_14default_configENS1_25partition_config_selectorILNS1_17partition_subalgoE5ExNS0_10empty_typeEbEEZZNS1_14partition_implILS5_5ELb0ES3_mN6thrust23THRUST_200600_302600_NS6detail15normal_iteratorINSA_10device_ptrIxEEEEPS6_NSA_18transform_iteratorINSB_9not_fun_tINSA_8identityIxEEEESF_NSA_11use_defaultESM_EENS0_5tupleIJSF_S6_EEENSO_IJSG_SG_EEES6_PlJS6_EEE10hipError_tPvRmT3_T4_T5_T6_T7_T9_mT8_P12ihipStream_tbDpT10_ENKUlT_T0_E_clISt17integral_constantIbLb1EES1A_IbLb0EEEEDaS16_S17_EUlS16_E_NS1_11comp_targetILNS1_3genE10ELNS1_11target_archE1200ELNS1_3gpuE4ELNS1_3repE0EEENS1_30default_config_static_selectorELNS0_4arch9wavefront6targetE0EEEvT1_
; %bb.0:
	s_endpgm
	.section	.rodata,"a",@progbits
	.p2align	6, 0x0
	.amdhsa_kernel _ZN7rocprim17ROCPRIM_400000_NS6detail17trampoline_kernelINS0_14default_configENS1_25partition_config_selectorILNS1_17partition_subalgoE5ExNS0_10empty_typeEbEEZZNS1_14partition_implILS5_5ELb0ES3_mN6thrust23THRUST_200600_302600_NS6detail15normal_iteratorINSA_10device_ptrIxEEEEPS6_NSA_18transform_iteratorINSB_9not_fun_tINSA_8identityIxEEEESF_NSA_11use_defaultESM_EENS0_5tupleIJSF_S6_EEENSO_IJSG_SG_EEES6_PlJS6_EEE10hipError_tPvRmT3_T4_T5_T6_T7_T9_mT8_P12ihipStream_tbDpT10_ENKUlT_T0_E_clISt17integral_constantIbLb1EES1A_IbLb0EEEEDaS16_S17_EUlS16_E_NS1_11comp_targetILNS1_3genE10ELNS1_11target_archE1200ELNS1_3gpuE4ELNS1_3repE0EEENS1_30default_config_static_selectorELNS0_4arch9wavefront6targetE0EEEvT1_
		.amdhsa_group_segment_fixed_size 0
		.amdhsa_private_segment_fixed_size 0
		.amdhsa_kernarg_size 120
		.amdhsa_user_sgpr_count 2
		.amdhsa_user_sgpr_dispatch_ptr 0
		.amdhsa_user_sgpr_queue_ptr 0
		.amdhsa_user_sgpr_kernarg_segment_ptr 1
		.amdhsa_user_sgpr_dispatch_id 0
		.amdhsa_user_sgpr_private_segment_size 0
		.amdhsa_wavefront_size32 1
		.amdhsa_uses_dynamic_stack 0
		.amdhsa_enable_private_segment 0
		.amdhsa_system_sgpr_workgroup_id_x 1
		.amdhsa_system_sgpr_workgroup_id_y 0
		.amdhsa_system_sgpr_workgroup_id_z 0
		.amdhsa_system_sgpr_workgroup_info 0
		.amdhsa_system_vgpr_workitem_id 0
		.amdhsa_next_free_vgpr 1
		.amdhsa_next_free_sgpr 1
		.amdhsa_reserve_vcc 0
		.amdhsa_float_round_mode_32 0
		.amdhsa_float_round_mode_16_64 0
		.amdhsa_float_denorm_mode_32 3
		.amdhsa_float_denorm_mode_16_64 3
		.amdhsa_fp16_overflow 0
		.amdhsa_workgroup_processor_mode 1
		.amdhsa_memory_ordered 1
		.amdhsa_forward_progress 1
		.amdhsa_inst_pref_size 1
		.amdhsa_round_robin_scheduling 0
		.amdhsa_exception_fp_ieee_invalid_op 0
		.amdhsa_exception_fp_denorm_src 0
		.amdhsa_exception_fp_ieee_div_zero 0
		.amdhsa_exception_fp_ieee_overflow 0
		.amdhsa_exception_fp_ieee_underflow 0
		.amdhsa_exception_fp_ieee_inexact 0
		.amdhsa_exception_int_div_zero 0
	.end_amdhsa_kernel
	.section	.text._ZN7rocprim17ROCPRIM_400000_NS6detail17trampoline_kernelINS0_14default_configENS1_25partition_config_selectorILNS1_17partition_subalgoE5ExNS0_10empty_typeEbEEZZNS1_14partition_implILS5_5ELb0ES3_mN6thrust23THRUST_200600_302600_NS6detail15normal_iteratorINSA_10device_ptrIxEEEEPS6_NSA_18transform_iteratorINSB_9not_fun_tINSA_8identityIxEEEESF_NSA_11use_defaultESM_EENS0_5tupleIJSF_S6_EEENSO_IJSG_SG_EEES6_PlJS6_EEE10hipError_tPvRmT3_T4_T5_T6_T7_T9_mT8_P12ihipStream_tbDpT10_ENKUlT_T0_E_clISt17integral_constantIbLb1EES1A_IbLb0EEEEDaS16_S17_EUlS16_E_NS1_11comp_targetILNS1_3genE10ELNS1_11target_archE1200ELNS1_3gpuE4ELNS1_3repE0EEENS1_30default_config_static_selectorELNS0_4arch9wavefront6targetE0EEEvT1_,"axG",@progbits,_ZN7rocprim17ROCPRIM_400000_NS6detail17trampoline_kernelINS0_14default_configENS1_25partition_config_selectorILNS1_17partition_subalgoE5ExNS0_10empty_typeEbEEZZNS1_14partition_implILS5_5ELb0ES3_mN6thrust23THRUST_200600_302600_NS6detail15normal_iteratorINSA_10device_ptrIxEEEEPS6_NSA_18transform_iteratorINSB_9not_fun_tINSA_8identityIxEEEESF_NSA_11use_defaultESM_EENS0_5tupleIJSF_S6_EEENSO_IJSG_SG_EEES6_PlJS6_EEE10hipError_tPvRmT3_T4_T5_T6_T7_T9_mT8_P12ihipStream_tbDpT10_ENKUlT_T0_E_clISt17integral_constantIbLb1EES1A_IbLb0EEEEDaS16_S17_EUlS16_E_NS1_11comp_targetILNS1_3genE10ELNS1_11target_archE1200ELNS1_3gpuE4ELNS1_3repE0EEENS1_30default_config_static_selectorELNS0_4arch9wavefront6targetE0EEEvT1_,comdat
.Lfunc_end970:
	.size	_ZN7rocprim17ROCPRIM_400000_NS6detail17trampoline_kernelINS0_14default_configENS1_25partition_config_selectorILNS1_17partition_subalgoE5ExNS0_10empty_typeEbEEZZNS1_14partition_implILS5_5ELb0ES3_mN6thrust23THRUST_200600_302600_NS6detail15normal_iteratorINSA_10device_ptrIxEEEEPS6_NSA_18transform_iteratorINSB_9not_fun_tINSA_8identityIxEEEESF_NSA_11use_defaultESM_EENS0_5tupleIJSF_S6_EEENSO_IJSG_SG_EEES6_PlJS6_EEE10hipError_tPvRmT3_T4_T5_T6_T7_T9_mT8_P12ihipStream_tbDpT10_ENKUlT_T0_E_clISt17integral_constantIbLb1EES1A_IbLb0EEEEDaS16_S17_EUlS16_E_NS1_11comp_targetILNS1_3genE10ELNS1_11target_archE1200ELNS1_3gpuE4ELNS1_3repE0EEENS1_30default_config_static_selectorELNS0_4arch9wavefront6targetE0EEEvT1_, .Lfunc_end970-_ZN7rocprim17ROCPRIM_400000_NS6detail17trampoline_kernelINS0_14default_configENS1_25partition_config_selectorILNS1_17partition_subalgoE5ExNS0_10empty_typeEbEEZZNS1_14partition_implILS5_5ELb0ES3_mN6thrust23THRUST_200600_302600_NS6detail15normal_iteratorINSA_10device_ptrIxEEEEPS6_NSA_18transform_iteratorINSB_9not_fun_tINSA_8identityIxEEEESF_NSA_11use_defaultESM_EENS0_5tupleIJSF_S6_EEENSO_IJSG_SG_EEES6_PlJS6_EEE10hipError_tPvRmT3_T4_T5_T6_T7_T9_mT8_P12ihipStream_tbDpT10_ENKUlT_T0_E_clISt17integral_constantIbLb1EES1A_IbLb0EEEEDaS16_S17_EUlS16_E_NS1_11comp_targetILNS1_3genE10ELNS1_11target_archE1200ELNS1_3gpuE4ELNS1_3repE0EEENS1_30default_config_static_selectorELNS0_4arch9wavefront6targetE0EEEvT1_
                                        ; -- End function
	.set _ZN7rocprim17ROCPRIM_400000_NS6detail17trampoline_kernelINS0_14default_configENS1_25partition_config_selectorILNS1_17partition_subalgoE5ExNS0_10empty_typeEbEEZZNS1_14partition_implILS5_5ELb0ES3_mN6thrust23THRUST_200600_302600_NS6detail15normal_iteratorINSA_10device_ptrIxEEEEPS6_NSA_18transform_iteratorINSB_9not_fun_tINSA_8identityIxEEEESF_NSA_11use_defaultESM_EENS0_5tupleIJSF_S6_EEENSO_IJSG_SG_EEES6_PlJS6_EEE10hipError_tPvRmT3_T4_T5_T6_T7_T9_mT8_P12ihipStream_tbDpT10_ENKUlT_T0_E_clISt17integral_constantIbLb1EES1A_IbLb0EEEEDaS16_S17_EUlS16_E_NS1_11comp_targetILNS1_3genE10ELNS1_11target_archE1200ELNS1_3gpuE4ELNS1_3repE0EEENS1_30default_config_static_selectorELNS0_4arch9wavefront6targetE0EEEvT1_.num_vgpr, 0
	.set _ZN7rocprim17ROCPRIM_400000_NS6detail17trampoline_kernelINS0_14default_configENS1_25partition_config_selectorILNS1_17partition_subalgoE5ExNS0_10empty_typeEbEEZZNS1_14partition_implILS5_5ELb0ES3_mN6thrust23THRUST_200600_302600_NS6detail15normal_iteratorINSA_10device_ptrIxEEEEPS6_NSA_18transform_iteratorINSB_9not_fun_tINSA_8identityIxEEEESF_NSA_11use_defaultESM_EENS0_5tupleIJSF_S6_EEENSO_IJSG_SG_EEES6_PlJS6_EEE10hipError_tPvRmT3_T4_T5_T6_T7_T9_mT8_P12ihipStream_tbDpT10_ENKUlT_T0_E_clISt17integral_constantIbLb1EES1A_IbLb0EEEEDaS16_S17_EUlS16_E_NS1_11comp_targetILNS1_3genE10ELNS1_11target_archE1200ELNS1_3gpuE4ELNS1_3repE0EEENS1_30default_config_static_selectorELNS0_4arch9wavefront6targetE0EEEvT1_.num_agpr, 0
	.set _ZN7rocprim17ROCPRIM_400000_NS6detail17trampoline_kernelINS0_14default_configENS1_25partition_config_selectorILNS1_17partition_subalgoE5ExNS0_10empty_typeEbEEZZNS1_14partition_implILS5_5ELb0ES3_mN6thrust23THRUST_200600_302600_NS6detail15normal_iteratorINSA_10device_ptrIxEEEEPS6_NSA_18transform_iteratorINSB_9not_fun_tINSA_8identityIxEEEESF_NSA_11use_defaultESM_EENS0_5tupleIJSF_S6_EEENSO_IJSG_SG_EEES6_PlJS6_EEE10hipError_tPvRmT3_T4_T5_T6_T7_T9_mT8_P12ihipStream_tbDpT10_ENKUlT_T0_E_clISt17integral_constantIbLb1EES1A_IbLb0EEEEDaS16_S17_EUlS16_E_NS1_11comp_targetILNS1_3genE10ELNS1_11target_archE1200ELNS1_3gpuE4ELNS1_3repE0EEENS1_30default_config_static_selectorELNS0_4arch9wavefront6targetE0EEEvT1_.numbered_sgpr, 0
	.set _ZN7rocprim17ROCPRIM_400000_NS6detail17trampoline_kernelINS0_14default_configENS1_25partition_config_selectorILNS1_17partition_subalgoE5ExNS0_10empty_typeEbEEZZNS1_14partition_implILS5_5ELb0ES3_mN6thrust23THRUST_200600_302600_NS6detail15normal_iteratorINSA_10device_ptrIxEEEEPS6_NSA_18transform_iteratorINSB_9not_fun_tINSA_8identityIxEEEESF_NSA_11use_defaultESM_EENS0_5tupleIJSF_S6_EEENSO_IJSG_SG_EEES6_PlJS6_EEE10hipError_tPvRmT3_T4_T5_T6_T7_T9_mT8_P12ihipStream_tbDpT10_ENKUlT_T0_E_clISt17integral_constantIbLb1EES1A_IbLb0EEEEDaS16_S17_EUlS16_E_NS1_11comp_targetILNS1_3genE10ELNS1_11target_archE1200ELNS1_3gpuE4ELNS1_3repE0EEENS1_30default_config_static_selectorELNS0_4arch9wavefront6targetE0EEEvT1_.num_named_barrier, 0
	.set _ZN7rocprim17ROCPRIM_400000_NS6detail17trampoline_kernelINS0_14default_configENS1_25partition_config_selectorILNS1_17partition_subalgoE5ExNS0_10empty_typeEbEEZZNS1_14partition_implILS5_5ELb0ES3_mN6thrust23THRUST_200600_302600_NS6detail15normal_iteratorINSA_10device_ptrIxEEEEPS6_NSA_18transform_iteratorINSB_9not_fun_tINSA_8identityIxEEEESF_NSA_11use_defaultESM_EENS0_5tupleIJSF_S6_EEENSO_IJSG_SG_EEES6_PlJS6_EEE10hipError_tPvRmT3_T4_T5_T6_T7_T9_mT8_P12ihipStream_tbDpT10_ENKUlT_T0_E_clISt17integral_constantIbLb1EES1A_IbLb0EEEEDaS16_S17_EUlS16_E_NS1_11comp_targetILNS1_3genE10ELNS1_11target_archE1200ELNS1_3gpuE4ELNS1_3repE0EEENS1_30default_config_static_selectorELNS0_4arch9wavefront6targetE0EEEvT1_.private_seg_size, 0
	.set _ZN7rocprim17ROCPRIM_400000_NS6detail17trampoline_kernelINS0_14default_configENS1_25partition_config_selectorILNS1_17partition_subalgoE5ExNS0_10empty_typeEbEEZZNS1_14partition_implILS5_5ELb0ES3_mN6thrust23THRUST_200600_302600_NS6detail15normal_iteratorINSA_10device_ptrIxEEEEPS6_NSA_18transform_iteratorINSB_9not_fun_tINSA_8identityIxEEEESF_NSA_11use_defaultESM_EENS0_5tupleIJSF_S6_EEENSO_IJSG_SG_EEES6_PlJS6_EEE10hipError_tPvRmT3_T4_T5_T6_T7_T9_mT8_P12ihipStream_tbDpT10_ENKUlT_T0_E_clISt17integral_constantIbLb1EES1A_IbLb0EEEEDaS16_S17_EUlS16_E_NS1_11comp_targetILNS1_3genE10ELNS1_11target_archE1200ELNS1_3gpuE4ELNS1_3repE0EEENS1_30default_config_static_selectorELNS0_4arch9wavefront6targetE0EEEvT1_.uses_vcc, 0
	.set _ZN7rocprim17ROCPRIM_400000_NS6detail17trampoline_kernelINS0_14default_configENS1_25partition_config_selectorILNS1_17partition_subalgoE5ExNS0_10empty_typeEbEEZZNS1_14partition_implILS5_5ELb0ES3_mN6thrust23THRUST_200600_302600_NS6detail15normal_iteratorINSA_10device_ptrIxEEEEPS6_NSA_18transform_iteratorINSB_9not_fun_tINSA_8identityIxEEEESF_NSA_11use_defaultESM_EENS0_5tupleIJSF_S6_EEENSO_IJSG_SG_EEES6_PlJS6_EEE10hipError_tPvRmT3_T4_T5_T6_T7_T9_mT8_P12ihipStream_tbDpT10_ENKUlT_T0_E_clISt17integral_constantIbLb1EES1A_IbLb0EEEEDaS16_S17_EUlS16_E_NS1_11comp_targetILNS1_3genE10ELNS1_11target_archE1200ELNS1_3gpuE4ELNS1_3repE0EEENS1_30default_config_static_selectorELNS0_4arch9wavefront6targetE0EEEvT1_.uses_flat_scratch, 0
	.set _ZN7rocprim17ROCPRIM_400000_NS6detail17trampoline_kernelINS0_14default_configENS1_25partition_config_selectorILNS1_17partition_subalgoE5ExNS0_10empty_typeEbEEZZNS1_14partition_implILS5_5ELb0ES3_mN6thrust23THRUST_200600_302600_NS6detail15normal_iteratorINSA_10device_ptrIxEEEEPS6_NSA_18transform_iteratorINSB_9not_fun_tINSA_8identityIxEEEESF_NSA_11use_defaultESM_EENS0_5tupleIJSF_S6_EEENSO_IJSG_SG_EEES6_PlJS6_EEE10hipError_tPvRmT3_T4_T5_T6_T7_T9_mT8_P12ihipStream_tbDpT10_ENKUlT_T0_E_clISt17integral_constantIbLb1EES1A_IbLb0EEEEDaS16_S17_EUlS16_E_NS1_11comp_targetILNS1_3genE10ELNS1_11target_archE1200ELNS1_3gpuE4ELNS1_3repE0EEENS1_30default_config_static_selectorELNS0_4arch9wavefront6targetE0EEEvT1_.has_dyn_sized_stack, 0
	.set _ZN7rocprim17ROCPRIM_400000_NS6detail17trampoline_kernelINS0_14default_configENS1_25partition_config_selectorILNS1_17partition_subalgoE5ExNS0_10empty_typeEbEEZZNS1_14partition_implILS5_5ELb0ES3_mN6thrust23THRUST_200600_302600_NS6detail15normal_iteratorINSA_10device_ptrIxEEEEPS6_NSA_18transform_iteratorINSB_9not_fun_tINSA_8identityIxEEEESF_NSA_11use_defaultESM_EENS0_5tupleIJSF_S6_EEENSO_IJSG_SG_EEES6_PlJS6_EEE10hipError_tPvRmT3_T4_T5_T6_T7_T9_mT8_P12ihipStream_tbDpT10_ENKUlT_T0_E_clISt17integral_constantIbLb1EES1A_IbLb0EEEEDaS16_S17_EUlS16_E_NS1_11comp_targetILNS1_3genE10ELNS1_11target_archE1200ELNS1_3gpuE4ELNS1_3repE0EEENS1_30default_config_static_selectorELNS0_4arch9wavefront6targetE0EEEvT1_.has_recursion, 0
	.set _ZN7rocprim17ROCPRIM_400000_NS6detail17trampoline_kernelINS0_14default_configENS1_25partition_config_selectorILNS1_17partition_subalgoE5ExNS0_10empty_typeEbEEZZNS1_14partition_implILS5_5ELb0ES3_mN6thrust23THRUST_200600_302600_NS6detail15normal_iteratorINSA_10device_ptrIxEEEEPS6_NSA_18transform_iteratorINSB_9not_fun_tINSA_8identityIxEEEESF_NSA_11use_defaultESM_EENS0_5tupleIJSF_S6_EEENSO_IJSG_SG_EEES6_PlJS6_EEE10hipError_tPvRmT3_T4_T5_T6_T7_T9_mT8_P12ihipStream_tbDpT10_ENKUlT_T0_E_clISt17integral_constantIbLb1EES1A_IbLb0EEEEDaS16_S17_EUlS16_E_NS1_11comp_targetILNS1_3genE10ELNS1_11target_archE1200ELNS1_3gpuE4ELNS1_3repE0EEENS1_30default_config_static_selectorELNS0_4arch9wavefront6targetE0EEEvT1_.has_indirect_call, 0
	.section	.AMDGPU.csdata,"",@progbits
; Kernel info:
; codeLenInByte = 4
; TotalNumSgprs: 0
; NumVgprs: 0
; ScratchSize: 0
; MemoryBound: 0
; FloatMode: 240
; IeeeMode: 1
; LDSByteSize: 0 bytes/workgroup (compile time only)
; SGPRBlocks: 0
; VGPRBlocks: 0
; NumSGPRsForWavesPerEU: 1
; NumVGPRsForWavesPerEU: 1
; Occupancy: 16
; WaveLimiterHint : 0
; COMPUTE_PGM_RSRC2:SCRATCH_EN: 0
; COMPUTE_PGM_RSRC2:USER_SGPR: 2
; COMPUTE_PGM_RSRC2:TRAP_HANDLER: 0
; COMPUTE_PGM_RSRC2:TGID_X_EN: 1
; COMPUTE_PGM_RSRC2:TGID_Y_EN: 0
; COMPUTE_PGM_RSRC2:TGID_Z_EN: 0
; COMPUTE_PGM_RSRC2:TIDIG_COMP_CNT: 0
	.section	.text._ZN7rocprim17ROCPRIM_400000_NS6detail17trampoline_kernelINS0_14default_configENS1_25partition_config_selectorILNS1_17partition_subalgoE5ExNS0_10empty_typeEbEEZZNS1_14partition_implILS5_5ELb0ES3_mN6thrust23THRUST_200600_302600_NS6detail15normal_iteratorINSA_10device_ptrIxEEEEPS6_NSA_18transform_iteratorINSB_9not_fun_tINSA_8identityIxEEEESF_NSA_11use_defaultESM_EENS0_5tupleIJSF_S6_EEENSO_IJSG_SG_EEES6_PlJS6_EEE10hipError_tPvRmT3_T4_T5_T6_T7_T9_mT8_P12ihipStream_tbDpT10_ENKUlT_T0_E_clISt17integral_constantIbLb1EES1A_IbLb0EEEEDaS16_S17_EUlS16_E_NS1_11comp_targetILNS1_3genE9ELNS1_11target_archE1100ELNS1_3gpuE3ELNS1_3repE0EEENS1_30default_config_static_selectorELNS0_4arch9wavefront6targetE0EEEvT1_,"axG",@progbits,_ZN7rocprim17ROCPRIM_400000_NS6detail17trampoline_kernelINS0_14default_configENS1_25partition_config_selectorILNS1_17partition_subalgoE5ExNS0_10empty_typeEbEEZZNS1_14partition_implILS5_5ELb0ES3_mN6thrust23THRUST_200600_302600_NS6detail15normal_iteratorINSA_10device_ptrIxEEEEPS6_NSA_18transform_iteratorINSB_9not_fun_tINSA_8identityIxEEEESF_NSA_11use_defaultESM_EENS0_5tupleIJSF_S6_EEENSO_IJSG_SG_EEES6_PlJS6_EEE10hipError_tPvRmT3_T4_T5_T6_T7_T9_mT8_P12ihipStream_tbDpT10_ENKUlT_T0_E_clISt17integral_constantIbLb1EES1A_IbLb0EEEEDaS16_S17_EUlS16_E_NS1_11comp_targetILNS1_3genE9ELNS1_11target_archE1100ELNS1_3gpuE3ELNS1_3repE0EEENS1_30default_config_static_selectorELNS0_4arch9wavefront6targetE0EEEvT1_,comdat
	.protected	_ZN7rocprim17ROCPRIM_400000_NS6detail17trampoline_kernelINS0_14default_configENS1_25partition_config_selectorILNS1_17partition_subalgoE5ExNS0_10empty_typeEbEEZZNS1_14partition_implILS5_5ELb0ES3_mN6thrust23THRUST_200600_302600_NS6detail15normal_iteratorINSA_10device_ptrIxEEEEPS6_NSA_18transform_iteratorINSB_9not_fun_tINSA_8identityIxEEEESF_NSA_11use_defaultESM_EENS0_5tupleIJSF_S6_EEENSO_IJSG_SG_EEES6_PlJS6_EEE10hipError_tPvRmT3_T4_T5_T6_T7_T9_mT8_P12ihipStream_tbDpT10_ENKUlT_T0_E_clISt17integral_constantIbLb1EES1A_IbLb0EEEEDaS16_S17_EUlS16_E_NS1_11comp_targetILNS1_3genE9ELNS1_11target_archE1100ELNS1_3gpuE3ELNS1_3repE0EEENS1_30default_config_static_selectorELNS0_4arch9wavefront6targetE0EEEvT1_ ; -- Begin function _ZN7rocprim17ROCPRIM_400000_NS6detail17trampoline_kernelINS0_14default_configENS1_25partition_config_selectorILNS1_17partition_subalgoE5ExNS0_10empty_typeEbEEZZNS1_14partition_implILS5_5ELb0ES3_mN6thrust23THRUST_200600_302600_NS6detail15normal_iteratorINSA_10device_ptrIxEEEEPS6_NSA_18transform_iteratorINSB_9not_fun_tINSA_8identityIxEEEESF_NSA_11use_defaultESM_EENS0_5tupleIJSF_S6_EEENSO_IJSG_SG_EEES6_PlJS6_EEE10hipError_tPvRmT3_T4_T5_T6_T7_T9_mT8_P12ihipStream_tbDpT10_ENKUlT_T0_E_clISt17integral_constantIbLb1EES1A_IbLb0EEEEDaS16_S17_EUlS16_E_NS1_11comp_targetILNS1_3genE9ELNS1_11target_archE1100ELNS1_3gpuE3ELNS1_3repE0EEENS1_30default_config_static_selectorELNS0_4arch9wavefront6targetE0EEEvT1_
	.globl	_ZN7rocprim17ROCPRIM_400000_NS6detail17trampoline_kernelINS0_14default_configENS1_25partition_config_selectorILNS1_17partition_subalgoE5ExNS0_10empty_typeEbEEZZNS1_14partition_implILS5_5ELb0ES3_mN6thrust23THRUST_200600_302600_NS6detail15normal_iteratorINSA_10device_ptrIxEEEEPS6_NSA_18transform_iteratorINSB_9not_fun_tINSA_8identityIxEEEESF_NSA_11use_defaultESM_EENS0_5tupleIJSF_S6_EEENSO_IJSG_SG_EEES6_PlJS6_EEE10hipError_tPvRmT3_T4_T5_T6_T7_T9_mT8_P12ihipStream_tbDpT10_ENKUlT_T0_E_clISt17integral_constantIbLb1EES1A_IbLb0EEEEDaS16_S17_EUlS16_E_NS1_11comp_targetILNS1_3genE9ELNS1_11target_archE1100ELNS1_3gpuE3ELNS1_3repE0EEENS1_30default_config_static_selectorELNS0_4arch9wavefront6targetE0EEEvT1_
	.p2align	8
	.type	_ZN7rocprim17ROCPRIM_400000_NS6detail17trampoline_kernelINS0_14default_configENS1_25partition_config_selectorILNS1_17partition_subalgoE5ExNS0_10empty_typeEbEEZZNS1_14partition_implILS5_5ELb0ES3_mN6thrust23THRUST_200600_302600_NS6detail15normal_iteratorINSA_10device_ptrIxEEEEPS6_NSA_18transform_iteratorINSB_9not_fun_tINSA_8identityIxEEEESF_NSA_11use_defaultESM_EENS0_5tupleIJSF_S6_EEENSO_IJSG_SG_EEES6_PlJS6_EEE10hipError_tPvRmT3_T4_T5_T6_T7_T9_mT8_P12ihipStream_tbDpT10_ENKUlT_T0_E_clISt17integral_constantIbLb1EES1A_IbLb0EEEEDaS16_S17_EUlS16_E_NS1_11comp_targetILNS1_3genE9ELNS1_11target_archE1100ELNS1_3gpuE3ELNS1_3repE0EEENS1_30default_config_static_selectorELNS0_4arch9wavefront6targetE0EEEvT1_,@function
_ZN7rocprim17ROCPRIM_400000_NS6detail17trampoline_kernelINS0_14default_configENS1_25partition_config_selectorILNS1_17partition_subalgoE5ExNS0_10empty_typeEbEEZZNS1_14partition_implILS5_5ELb0ES3_mN6thrust23THRUST_200600_302600_NS6detail15normal_iteratorINSA_10device_ptrIxEEEEPS6_NSA_18transform_iteratorINSB_9not_fun_tINSA_8identityIxEEEESF_NSA_11use_defaultESM_EENS0_5tupleIJSF_S6_EEENSO_IJSG_SG_EEES6_PlJS6_EEE10hipError_tPvRmT3_T4_T5_T6_T7_T9_mT8_P12ihipStream_tbDpT10_ENKUlT_T0_E_clISt17integral_constantIbLb1EES1A_IbLb0EEEEDaS16_S17_EUlS16_E_NS1_11comp_targetILNS1_3genE9ELNS1_11target_archE1100ELNS1_3gpuE3ELNS1_3repE0EEENS1_30default_config_static_selectorELNS0_4arch9wavefront6targetE0EEEvT1_: ; @_ZN7rocprim17ROCPRIM_400000_NS6detail17trampoline_kernelINS0_14default_configENS1_25partition_config_selectorILNS1_17partition_subalgoE5ExNS0_10empty_typeEbEEZZNS1_14partition_implILS5_5ELb0ES3_mN6thrust23THRUST_200600_302600_NS6detail15normal_iteratorINSA_10device_ptrIxEEEEPS6_NSA_18transform_iteratorINSB_9not_fun_tINSA_8identityIxEEEESF_NSA_11use_defaultESM_EENS0_5tupleIJSF_S6_EEENSO_IJSG_SG_EEES6_PlJS6_EEE10hipError_tPvRmT3_T4_T5_T6_T7_T9_mT8_P12ihipStream_tbDpT10_ENKUlT_T0_E_clISt17integral_constantIbLb1EES1A_IbLb0EEEEDaS16_S17_EUlS16_E_NS1_11comp_targetILNS1_3genE9ELNS1_11target_archE1100ELNS1_3gpuE3ELNS1_3repE0EEENS1_30default_config_static_selectorELNS0_4arch9wavefront6targetE0EEEvT1_
; %bb.0:
	.section	.rodata,"a",@progbits
	.p2align	6, 0x0
	.amdhsa_kernel _ZN7rocprim17ROCPRIM_400000_NS6detail17trampoline_kernelINS0_14default_configENS1_25partition_config_selectorILNS1_17partition_subalgoE5ExNS0_10empty_typeEbEEZZNS1_14partition_implILS5_5ELb0ES3_mN6thrust23THRUST_200600_302600_NS6detail15normal_iteratorINSA_10device_ptrIxEEEEPS6_NSA_18transform_iteratorINSB_9not_fun_tINSA_8identityIxEEEESF_NSA_11use_defaultESM_EENS0_5tupleIJSF_S6_EEENSO_IJSG_SG_EEES6_PlJS6_EEE10hipError_tPvRmT3_T4_T5_T6_T7_T9_mT8_P12ihipStream_tbDpT10_ENKUlT_T0_E_clISt17integral_constantIbLb1EES1A_IbLb0EEEEDaS16_S17_EUlS16_E_NS1_11comp_targetILNS1_3genE9ELNS1_11target_archE1100ELNS1_3gpuE3ELNS1_3repE0EEENS1_30default_config_static_selectorELNS0_4arch9wavefront6targetE0EEEvT1_
		.amdhsa_group_segment_fixed_size 0
		.amdhsa_private_segment_fixed_size 0
		.amdhsa_kernarg_size 120
		.amdhsa_user_sgpr_count 2
		.amdhsa_user_sgpr_dispatch_ptr 0
		.amdhsa_user_sgpr_queue_ptr 0
		.amdhsa_user_sgpr_kernarg_segment_ptr 1
		.amdhsa_user_sgpr_dispatch_id 0
		.amdhsa_user_sgpr_private_segment_size 0
		.amdhsa_wavefront_size32 1
		.amdhsa_uses_dynamic_stack 0
		.amdhsa_enable_private_segment 0
		.amdhsa_system_sgpr_workgroup_id_x 1
		.amdhsa_system_sgpr_workgroup_id_y 0
		.amdhsa_system_sgpr_workgroup_id_z 0
		.amdhsa_system_sgpr_workgroup_info 0
		.amdhsa_system_vgpr_workitem_id 0
		.amdhsa_next_free_vgpr 1
		.amdhsa_next_free_sgpr 1
		.amdhsa_reserve_vcc 0
		.amdhsa_float_round_mode_32 0
		.amdhsa_float_round_mode_16_64 0
		.amdhsa_float_denorm_mode_32 3
		.amdhsa_float_denorm_mode_16_64 3
		.amdhsa_fp16_overflow 0
		.amdhsa_workgroup_processor_mode 1
		.amdhsa_memory_ordered 1
		.amdhsa_forward_progress 1
		.amdhsa_inst_pref_size 0
		.amdhsa_round_robin_scheduling 0
		.amdhsa_exception_fp_ieee_invalid_op 0
		.amdhsa_exception_fp_denorm_src 0
		.amdhsa_exception_fp_ieee_div_zero 0
		.amdhsa_exception_fp_ieee_overflow 0
		.amdhsa_exception_fp_ieee_underflow 0
		.amdhsa_exception_fp_ieee_inexact 0
		.amdhsa_exception_int_div_zero 0
	.end_amdhsa_kernel
	.section	.text._ZN7rocprim17ROCPRIM_400000_NS6detail17trampoline_kernelINS0_14default_configENS1_25partition_config_selectorILNS1_17partition_subalgoE5ExNS0_10empty_typeEbEEZZNS1_14partition_implILS5_5ELb0ES3_mN6thrust23THRUST_200600_302600_NS6detail15normal_iteratorINSA_10device_ptrIxEEEEPS6_NSA_18transform_iteratorINSB_9not_fun_tINSA_8identityIxEEEESF_NSA_11use_defaultESM_EENS0_5tupleIJSF_S6_EEENSO_IJSG_SG_EEES6_PlJS6_EEE10hipError_tPvRmT3_T4_T5_T6_T7_T9_mT8_P12ihipStream_tbDpT10_ENKUlT_T0_E_clISt17integral_constantIbLb1EES1A_IbLb0EEEEDaS16_S17_EUlS16_E_NS1_11comp_targetILNS1_3genE9ELNS1_11target_archE1100ELNS1_3gpuE3ELNS1_3repE0EEENS1_30default_config_static_selectorELNS0_4arch9wavefront6targetE0EEEvT1_,"axG",@progbits,_ZN7rocprim17ROCPRIM_400000_NS6detail17trampoline_kernelINS0_14default_configENS1_25partition_config_selectorILNS1_17partition_subalgoE5ExNS0_10empty_typeEbEEZZNS1_14partition_implILS5_5ELb0ES3_mN6thrust23THRUST_200600_302600_NS6detail15normal_iteratorINSA_10device_ptrIxEEEEPS6_NSA_18transform_iteratorINSB_9not_fun_tINSA_8identityIxEEEESF_NSA_11use_defaultESM_EENS0_5tupleIJSF_S6_EEENSO_IJSG_SG_EEES6_PlJS6_EEE10hipError_tPvRmT3_T4_T5_T6_T7_T9_mT8_P12ihipStream_tbDpT10_ENKUlT_T0_E_clISt17integral_constantIbLb1EES1A_IbLb0EEEEDaS16_S17_EUlS16_E_NS1_11comp_targetILNS1_3genE9ELNS1_11target_archE1100ELNS1_3gpuE3ELNS1_3repE0EEENS1_30default_config_static_selectorELNS0_4arch9wavefront6targetE0EEEvT1_,comdat
.Lfunc_end971:
	.size	_ZN7rocprim17ROCPRIM_400000_NS6detail17trampoline_kernelINS0_14default_configENS1_25partition_config_selectorILNS1_17partition_subalgoE5ExNS0_10empty_typeEbEEZZNS1_14partition_implILS5_5ELb0ES3_mN6thrust23THRUST_200600_302600_NS6detail15normal_iteratorINSA_10device_ptrIxEEEEPS6_NSA_18transform_iteratorINSB_9not_fun_tINSA_8identityIxEEEESF_NSA_11use_defaultESM_EENS0_5tupleIJSF_S6_EEENSO_IJSG_SG_EEES6_PlJS6_EEE10hipError_tPvRmT3_T4_T5_T6_T7_T9_mT8_P12ihipStream_tbDpT10_ENKUlT_T0_E_clISt17integral_constantIbLb1EES1A_IbLb0EEEEDaS16_S17_EUlS16_E_NS1_11comp_targetILNS1_3genE9ELNS1_11target_archE1100ELNS1_3gpuE3ELNS1_3repE0EEENS1_30default_config_static_selectorELNS0_4arch9wavefront6targetE0EEEvT1_, .Lfunc_end971-_ZN7rocprim17ROCPRIM_400000_NS6detail17trampoline_kernelINS0_14default_configENS1_25partition_config_selectorILNS1_17partition_subalgoE5ExNS0_10empty_typeEbEEZZNS1_14partition_implILS5_5ELb0ES3_mN6thrust23THRUST_200600_302600_NS6detail15normal_iteratorINSA_10device_ptrIxEEEEPS6_NSA_18transform_iteratorINSB_9not_fun_tINSA_8identityIxEEEESF_NSA_11use_defaultESM_EENS0_5tupleIJSF_S6_EEENSO_IJSG_SG_EEES6_PlJS6_EEE10hipError_tPvRmT3_T4_T5_T6_T7_T9_mT8_P12ihipStream_tbDpT10_ENKUlT_T0_E_clISt17integral_constantIbLb1EES1A_IbLb0EEEEDaS16_S17_EUlS16_E_NS1_11comp_targetILNS1_3genE9ELNS1_11target_archE1100ELNS1_3gpuE3ELNS1_3repE0EEENS1_30default_config_static_selectorELNS0_4arch9wavefront6targetE0EEEvT1_
                                        ; -- End function
	.set _ZN7rocprim17ROCPRIM_400000_NS6detail17trampoline_kernelINS0_14default_configENS1_25partition_config_selectorILNS1_17partition_subalgoE5ExNS0_10empty_typeEbEEZZNS1_14partition_implILS5_5ELb0ES3_mN6thrust23THRUST_200600_302600_NS6detail15normal_iteratorINSA_10device_ptrIxEEEEPS6_NSA_18transform_iteratorINSB_9not_fun_tINSA_8identityIxEEEESF_NSA_11use_defaultESM_EENS0_5tupleIJSF_S6_EEENSO_IJSG_SG_EEES6_PlJS6_EEE10hipError_tPvRmT3_T4_T5_T6_T7_T9_mT8_P12ihipStream_tbDpT10_ENKUlT_T0_E_clISt17integral_constantIbLb1EES1A_IbLb0EEEEDaS16_S17_EUlS16_E_NS1_11comp_targetILNS1_3genE9ELNS1_11target_archE1100ELNS1_3gpuE3ELNS1_3repE0EEENS1_30default_config_static_selectorELNS0_4arch9wavefront6targetE0EEEvT1_.num_vgpr, 0
	.set _ZN7rocprim17ROCPRIM_400000_NS6detail17trampoline_kernelINS0_14default_configENS1_25partition_config_selectorILNS1_17partition_subalgoE5ExNS0_10empty_typeEbEEZZNS1_14partition_implILS5_5ELb0ES3_mN6thrust23THRUST_200600_302600_NS6detail15normal_iteratorINSA_10device_ptrIxEEEEPS6_NSA_18transform_iteratorINSB_9not_fun_tINSA_8identityIxEEEESF_NSA_11use_defaultESM_EENS0_5tupleIJSF_S6_EEENSO_IJSG_SG_EEES6_PlJS6_EEE10hipError_tPvRmT3_T4_T5_T6_T7_T9_mT8_P12ihipStream_tbDpT10_ENKUlT_T0_E_clISt17integral_constantIbLb1EES1A_IbLb0EEEEDaS16_S17_EUlS16_E_NS1_11comp_targetILNS1_3genE9ELNS1_11target_archE1100ELNS1_3gpuE3ELNS1_3repE0EEENS1_30default_config_static_selectorELNS0_4arch9wavefront6targetE0EEEvT1_.num_agpr, 0
	.set _ZN7rocprim17ROCPRIM_400000_NS6detail17trampoline_kernelINS0_14default_configENS1_25partition_config_selectorILNS1_17partition_subalgoE5ExNS0_10empty_typeEbEEZZNS1_14partition_implILS5_5ELb0ES3_mN6thrust23THRUST_200600_302600_NS6detail15normal_iteratorINSA_10device_ptrIxEEEEPS6_NSA_18transform_iteratorINSB_9not_fun_tINSA_8identityIxEEEESF_NSA_11use_defaultESM_EENS0_5tupleIJSF_S6_EEENSO_IJSG_SG_EEES6_PlJS6_EEE10hipError_tPvRmT3_T4_T5_T6_T7_T9_mT8_P12ihipStream_tbDpT10_ENKUlT_T0_E_clISt17integral_constantIbLb1EES1A_IbLb0EEEEDaS16_S17_EUlS16_E_NS1_11comp_targetILNS1_3genE9ELNS1_11target_archE1100ELNS1_3gpuE3ELNS1_3repE0EEENS1_30default_config_static_selectorELNS0_4arch9wavefront6targetE0EEEvT1_.numbered_sgpr, 0
	.set _ZN7rocprim17ROCPRIM_400000_NS6detail17trampoline_kernelINS0_14default_configENS1_25partition_config_selectorILNS1_17partition_subalgoE5ExNS0_10empty_typeEbEEZZNS1_14partition_implILS5_5ELb0ES3_mN6thrust23THRUST_200600_302600_NS6detail15normal_iteratorINSA_10device_ptrIxEEEEPS6_NSA_18transform_iteratorINSB_9not_fun_tINSA_8identityIxEEEESF_NSA_11use_defaultESM_EENS0_5tupleIJSF_S6_EEENSO_IJSG_SG_EEES6_PlJS6_EEE10hipError_tPvRmT3_T4_T5_T6_T7_T9_mT8_P12ihipStream_tbDpT10_ENKUlT_T0_E_clISt17integral_constantIbLb1EES1A_IbLb0EEEEDaS16_S17_EUlS16_E_NS1_11comp_targetILNS1_3genE9ELNS1_11target_archE1100ELNS1_3gpuE3ELNS1_3repE0EEENS1_30default_config_static_selectorELNS0_4arch9wavefront6targetE0EEEvT1_.num_named_barrier, 0
	.set _ZN7rocprim17ROCPRIM_400000_NS6detail17trampoline_kernelINS0_14default_configENS1_25partition_config_selectorILNS1_17partition_subalgoE5ExNS0_10empty_typeEbEEZZNS1_14partition_implILS5_5ELb0ES3_mN6thrust23THRUST_200600_302600_NS6detail15normal_iteratorINSA_10device_ptrIxEEEEPS6_NSA_18transform_iteratorINSB_9not_fun_tINSA_8identityIxEEEESF_NSA_11use_defaultESM_EENS0_5tupleIJSF_S6_EEENSO_IJSG_SG_EEES6_PlJS6_EEE10hipError_tPvRmT3_T4_T5_T6_T7_T9_mT8_P12ihipStream_tbDpT10_ENKUlT_T0_E_clISt17integral_constantIbLb1EES1A_IbLb0EEEEDaS16_S17_EUlS16_E_NS1_11comp_targetILNS1_3genE9ELNS1_11target_archE1100ELNS1_3gpuE3ELNS1_3repE0EEENS1_30default_config_static_selectorELNS0_4arch9wavefront6targetE0EEEvT1_.private_seg_size, 0
	.set _ZN7rocprim17ROCPRIM_400000_NS6detail17trampoline_kernelINS0_14default_configENS1_25partition_config_selectorILNS1_17partition_subalgoE5ExNS0_10empty_typeEbEEZZNS1_14partition_implILS5_5ELb0ES3_mN6thrust23THRUST_200600_302600_NS6detail15normal_iteratorINSA_10device_ptrIxEEEEPS6_NSA_18transform_iteratorINSB_9not_fun_tINSA_8identityIxEEEESF_NSA_11use_defaultESM_EENS0_5tupleIJSF_S6_EEENSO_IJSG_SG_EEES6_PlJS6_EEE10hipError_tPvRmT3_T4_T5_T6_T7_T9_mT8_P12ihipStream_tbDpT10_ENKUlT_T0_E_clISt17integral_constantIbLb1EES1A_IbLb0EEEEDaS16_S17_EUlS16_E_NS1_11comp_targetILNS1_3genE9ELNS1_11target_archE1100ELNS1_3gpuE3ELNS1_3repE0EEENS1_30default_config_static_selectorELNS0_4arch9wavefront6targetE0EEEvT1_.uses_vcc, 0
	.set _ZN7rocprim17ROCPRIM_400000_NS6detail17trampoline_kernelINS0_14default_configENS1_25partition_config_selectorILNS1_17partition_subalgoE5ExNS0_10empty_typeEbEEZZNS1_14partition_implILS5_5ELb0ES3_mN6thrust23THRUST_200600_302600_NS6detail15normal_iteratorINSA_10device_ptrIxEEEEPS6_NSA_18transform_iteratorINSB_9not_fun_tINSA_8identityIxEEEESF_NSA_11use_defaultESM_EENS0_5tupleIJSF_S6_EEENSO_IJSG_SG_EEES6_PlJS6_EEE10hipError_tPvRmT3_T4_T5_T6_T7_T9_mT8_P12ihipStream_tbDpT10_ENKUlT_T0_E_clISt17integral_constantIbLb1EES1A_IbLb0EEEEDaS16_S17_EUlS16_E_NS1_11comp_targetILNS1_3genE9ELNS1_11target_archE1100ELNS1_3gpuE3ELNS1_3repE0EEENS1_30default_config_static_selectorELNS0_4arch9wavefront6targetE0EEEvT1_.uses_flat_scratch, 0
	.set _ZN7rocprim17ROCPRIM_400000_NS6detail17trampoline_kernelINS0_14default_configENS1_25partition_config_selectorILNS1_17partition_subalgoE5ExNS0_10empty_typeEbEEZZNS1_14partition_implILS5_5ELb0ES3_mN6thrust23THRUST_200600_302600_NS6detail15normal_iteratorINSA_10device_ptrIxEEEEPS6_NSA_18transform_iteratorINSB_9not_fun_tINSA_8identityIxEEEESF_NSA_11use_defaultESM_EENS0_5tupleIJSF_S6_EEENSO_IJSG_SG_EEES6_PlJS6_EEE10hipError_tPvRmT3_T4_T5_T6_T7_T9_mT8_P12ihipStream_tbDpT10_ENKUlT_T0_E_clISt17integral_constantIbLb1EES1A_IbLb0EEEEDaS16_S17_EUlS16_E_NS1_11comp_targetILNS1_3genE9ELNS1_11target_archE1100ELNS1_3gpuE3ELNS1_3repE0EEENS1_30default_config_static_selectorELNS0_4arch9wavefront6targetE0EEEvT1_.has_dyn_sized_stack, 0
	.set _ZN7rocprim17ROCPRIM_400000_NS6detail17trampoline_kernelINS0_14default_configENS1_25partition_config_selectorILNS1_17partition_subalgoE5ExNS0_10empty_typeEbEEZZNS1_14partition_implILS5_5ELb0ES3_mN6thrust23THRUST_200600_302600_NS6detail15normal_iteratorINSA_10device_ptrIxEEEEPS6_NSA_18transform_iteratorINSB_9not_fun_tINSA_8identityIxEEEESF_NSA_11use_defaultESM_EENS0_5tupleIJSF_S6_EEENSO_IJSG_SG_EEES6_PlJS6_EEE10hipError_tPvRmT3_T4_T5_T6_T7_T9_mT8_P12ihipStream_tbDpT10_ENKUlT_T0_E_clISt17integral_constantIbLb1EES1A_IbLb0EEEEDaS16_S17_EUlS16_E_NS1_11comp_targetILNS1_3genE9ELNS1_11target_archE1100ELNS1_3gpuE3ELNS1_3repE0EEENS1_30default_config_static_selectorELNS0_4arch9wavefront6targetE0EEEvT1_.has_recursion, 0
	.set _ZN7rocprim17ROCPRIM_400000_NS6detail17trampoline_kernelINS0_14default_configENS1_25partition_config_selectorILNS1_17partition_subalgoE5ExNS0_10empty_typeEbEEZZNS1_14partition_implILS5_5ELb0ES3_mN6thrust23THRUST_200600_302600_NS6detail15normal_iteratorINSA_10device_ptrIxEEEEPS6_NSA_18transform_iteratorINSB_9not_fun_tINSA_8identityIxEEEESF_NSA_11use_defaultESM_EENS0_5tupleIJSF_S6_EEENSO_IJSG_SG_EEES6_PlJS6_EEE10hipError_tPvRmT3_T4_T5_T6_T7_T9_mT8_P12ihipStream_tbDpT10_ENKUlT_T0_E_clISt17integral_constantIbLb1EES1A_IbLb0EEEEDaS16_S17_EUlS16_E_NS1_11comp_targetILNS1_3genE9ELNS1_11target_archE1100ELNS1_3gpuE3ELNS1_3repE0EEENS1_30default_config_static_selectorELNS0_4arch9wavefront6targetE0EEEvT1_.has_indirect_call, 0
	.section	.AMDGPU.csdata,"",@progbits
; Kernel info:
; codeLenInByte = 0
; TotalNumSgprs: 0
; NumVgprs: 0
; ScratchSize: 0
; MemoryBound: 0
; FloatMode: 240
; IeeeMode: 1
; LDSByteSize: 0 bytes/workgroup (compile time only)
; SGPRBlocks: 0
; VGPRBlocks: 0
; NumSGPRsForWavesPerEU: 1
; NumVGPRsForWavesPerEU: 1
; Occupancy: 16
; WaveLimiterHint : 0
; COMPUTE_PGM_RSRC2:SCRATCH_EN: 0
; COMPUTE_PGM_RSRC2:USER_SGPR: 2
; COMPUTE_PGM_RSRC2:TRAP_HANDLER: 0
; COMPUTE_PGM_RSRC2:TGID_X_EN: 1
; COMPUTE_PGM_RSRC2:TGID_Y_EN: 0
; COMPUTE_PGM_RSRC2:TGID_Z_EN: 0
; COMPUTE_PGM_RSRC2:TIDIG_COMP_CNT: 0
	.section	.text._ZN7rocprim17ROCPRIM_400000_NS6detail17trampoline_kernelINS0_14default_configENS1_25partition_config_selectorILNS1_17partition_subalgoE5ExNS0_10empty_typeEbEEZZNS1_14partition_implILS5_5ELb0ES3_mN6thrust23THRUST_200600_302600_NS6detail15normal_iteratorINSA_10device_ptrIxEEEEPS6_NSA_18transform_iteratorINSB_9not_fun_tINSA_8identityIxEEEESF_NSA_11use_defaultESM_EENS0_5tupleIJSF_S6_EEENSO_IJSG_SG_EEES6_PlJS6_EEE10hipError_tPvRmT3_T4_T5_T6_T7_T9_mT8_P12ihipStream_tbDpT10_ENKUlT_T0_E_clISt17integral_constantIbLb1EES1A_IbLb0EEEEDaS16_S17_EUlS16_E_NS1_11comp_targetILNS1_3genE8ELNS1_11target_archE1030ELNS1_3gpuE2ELNS1_3repE0EEENS1_30default_config_static_selectorELNS0_4arch9wavefront6targetE0EEEvT1_,"axG",@progbits,_ZN7rocprim17ROCPRIM_400000_NS6detail17trampoline_kernelINS0_14default_configENS1_25partition_config_selectorILNS1_17partition_subalgoE5ExNS0_10empty_typeEbEEZZNS1_14partition_implILS5_5ELb0ES3_mN6thrust23THRUST_200600_302600_NS6detail15normal_iteratorINSA_10device_ptrIxEEEEPS6_NSA_18transform_iteratorINSB_9not_fun_tINSA_8identityIxEEEESF_NSA_11use_defaultESM_EENS0_5tupleIJSF_S6_EEENSO_IJSG_SG_EEES6_PlJS6_EEE10hipError_tPvRmT3_T4_T5_T6_T7_T9_mT8_P12ihipStream_tbDpT10_ENKUlT_T0_E_clISt17integral_constantIbLb1EES1A_IbLb0EEEEDaS16_S17_EUlS16_E_NS1_11comp_targetILNS1_3genE8ELNS1_11target_archE1030ELNS1_3gpuE2ELNS1_3repE0EEENS1_30default_config_static_selectorELNS0_4arch9wavefront6targetE0EEEvT1_,comdat
	.protected	_ZN7rocprim17ROCPRIM_400000_NS6detail17trampoline_kernelINS0_14default_configENS1_25partition_config_selectorILNS1_17partition_subalgoE5ExNS0_10empty_typeEbEEZZNS1_14partition_implILS5_5ELb0ES3_mN6thrust23THRUST_200600_302600_NS6detail15normal_iteratorINSA_10device_ptrIxEEEEPS6_NSA_18transform_iteratorINSB_9not_fun_tINSA_8identityIxEEEESF_NSA_11use_defaultESM_EENS0_5tupleIJSF_S6_EEENSO_IJSG_SG_EEES6_PlJS6_EEE10hipError_tPvRmT3_T4_T5_T6_T7_T9_mT8_P12ihipStream_tbDpT10_ENKUlT_T0_E_clISt17integral_constantIbLb1EES1A_IbLb0EEEEDaS16_S17_EUlS16_E_NS1_11comp_targetILNS1_3genE8ELNS1_11target_archE1030ELNS1_3gpuE2ELNS1_3repE0EEENS1_30default_config_static_selectorELNS0_4arch9wavefront6targetE0EEEvT1_ ; -- Begin function _ZN7rocprim17ROCPRIM_400000_NS6detail17trampoline_kernelINS0_14default_configENS1_25partition_config_selectorILNS1_17partition_subalgoE5ExNS0_10empty_typeEbEEZZNS1_14partition_implILS5_5ELb0ES3_mN6thrust23THRUST_200600_302600_NS6detail15normal_iteratorINSA_10device_ptrIxEEEEPS6_NSA_18transform_iteratorINSB_9not_fun_tINSA_8identityIxEEEESF_NSA_11use_defaultESM_EENS0_5tupleIJSF_S6_EEENSO_IJSG_SG_EEES6_PlJS6_EEE10hipError_tPvRmT3_T4_T5_T6_T7_T9_mT8_P12ihipStream_tbDpT10_ENKUlT_T0_E_clISt17integral_constantIbLb1EES1A_IbLb0EEEEDaS16_S17_EUlS16_E_NS1_11comp_targetILNS1_3genE8ELNS1_11target_archE1030ELNS1_3gpuE2ELNS1_3repE0EEENS1_30default_config_static_selectorELNS0_4arch9wavefront6targetE0EEEvT1_
	.globl	_ZN7rocprim17ROCPRIM_400000_NS6detail17trampoline_kernelINS0_14default_configENS1_25partition_config_selectorILNS1_17partition_subalgoE5ExNS0_10empty_typeEbEEZZNS1_14partition_implILS5_5ELb0ES3_mN6thrust23THRUST_200600_302600_NS6detail15normal_iteratorINSA_10device_ptrIxEEEEPS6_NSA_18transform_iteratorINSB_9not_fun_tINSA_8identityIxEEEESF_NSA_11use_defaultESM_EENS0_5tupleIJSF_S6_EEENSO_IJSG_SG_EEES6_PlJS6_EEE10hipError_tPvRmT3_T4_T5_T6_T7_T9_mT8_P12ihipStream_tbDpT10_ENKUlT_T0_E_clISt17integral_constantIbLb1EES1A_IbLb0EEEEDaS16_S17_EUlS16_E_NS1_11comp_targetILNS1_3genE8ELNS1_11target_archE1030ELNS1_3gpuE2ELNS1_3repE0EEENS1_30default_config_static_selectorELNS0_4arch9wavefront6targetE0EEEvT1_
	.p2align	8
	.type	_ZN7rocprim17ROCPRIM_400000_NS6detail17trampoline_kernelINS0_14default_configENS1_25partition_config_selectorILNS1_17partition_subalgoE5ExNS0_10empty_typeEbEEZZNS1_14partition_implILS5_5ELb0ES3_mN6thrust23THRUST_200600_302600_NS6detail15normal_iteratorINSA_10device_ptrIxEEEEPS6_NSA_18transform_iteratorINSB_9not_fun_tINSA_8identityIxEEEESF_NSA_11use_defaultESM_EENS0_5tupleIJSF_S6_EEENSO_IJSG_SG_EEES6_PlJS6_EEE10hipError_tPvRmT3_T4_T5_T6_T7_T9_mT8_P12ihipStream_tbDpT10_ENKUlT_T0_E_clISt17integral_constantIbLb1EES1A_IbLb0EEEEDaS16_S17_EUlS16_E_NS1_11comp_targetILNS1_3genE8ELNS1_11target_archE1030ELNS1_3gpuE2ELNS1_3repE0EEENS1_30default_config_static_selectorELNS0_4arch9wavefront6targetE0EEEvT1_,@function
_ZN7rocprim17ROCPRIM_400000_NS6detail17trampoline_kernelINS0_14default_configENS1_25partition_config_selectorILNS1_17partition_subalgoE5ExNS0_10empty_typeEbEEZZNS1_14partition_implILS5_5ELb0ES3_mN6thrust23THRUST_200600_302600_NS6detail15normal_iteratorINSA_10device_ptrIxEEEEPS6_NSA_18transform_iteratorINSB_9not_fun_tINSA_8identityIxEEEESF_NSA_11use_defaultESM_EENS0_5tupleIJSF_S6_EEENSO_IJSG_SG_EEES6_PlJS6_EEE10hipError_tPvRmT3_T4_T5_T6_T7_T9_mT8_P12ihipStream_tbDpT10_ENKUlT_T0_E_clISt17integral_constantIbLb1EES1A_IbLb0EEEEDaS16_S17_EUlS16_E_NS1_11comp_targetILNS1_3genE8ELNS1_11target_archE1030ELNS1_3gpuE2ELNS1_3repE0EEENS1_30default_config_static_selectorELNS0_4arch9wavefront6targetE0EEEvT1_: ; @_ZN7rocprim17ROCPRIM_400000_NS6detail17trampoline_kernelINS0_14default_configENS1_25partition_config_selectorILNS1_17partition_subalgoE5ExNS0_10empty_typeEbEEZZNS1_14partition_implILS5_5ELb0ES3_mN6thrust23THRUST_200600_302600_NS6detail15normal_iteratorINSA_10device_ptrIxEEEEPS6_NSA_18transform_iteratorINSB_9not_fun_tINSA_8identityIxEEEESF_NSA_11use_defaultESM_EENS0_5tupleIJSF_S6_EEENSO_IJSG_SG_EEES6_PlJS6_EEE10hipError_tPvRmT3_T4_T5_T6_T7_T9_mT8_P12ihipStream_tbDpT10_ENKUlT_T0_E_clISt17integral_constantIbLb1EES1A_IbLb0EEEEDaS16_S17_EUlS16_E_NS1_11comp_targetILNS1_3genE8ELNS1_11target_archE1030ELNS1_3gpuE2ELNS1_3repE0EEENS1_30default_config_static_selectorELNS0_4arch9wavefront6targetE0EEEvT1_
; %bb.0:
	.section	.rodata,"a",@progbits
	.p2align	6, 0x0
	.amdhsa_kernel _ZN7rocprim17ROCPRIM_400000_NS6detail17trampoline_kernelINS0_14default_configENS1_25partition_config_selectorILNS1_17partition_subalgoE5ExNS0_10empty_typeEbEEZZNS1_14partition_implILS5_5ELb0ES3_mN6thrust23THRUST_200600_302600_NS6detail15normal_iteratorINSA_10device_ptrIxEEEEPS6_NSA_18transform_iteratorINSB_9not_fun_tINSA_8identityIxEEEESF_NSA_11use_defaultESM_EENS0_5tupleIJSF_S6_EEENSO_IJSG_SG_EEES6_PlJS6_EEE10hipError_tPvRmT3_T4_T5_T6_T7_T9_mT8_P12ihipStream_tbDpT10_ENKUlT_T0_E_clISt17integral_constantIbLb1EES1A_IbLb0EEEEDaS16_S17_EUlS16_E_NS1_11comp_targetILNS1_3genE8ELNS1_11target_archE1030ELNS1_3gpuE2ELNS1_3repE0EEENS1_30default_config_static_selectorELNS0_4arch9wavefront6targetE0EEEvT1_
		.amdhsa_group_segment_fixed_size 0
		.amdhsa_private_segment_fixed_size 0
		.amdhsa_kernarg_size 120
		.amdhsa_user_sgpr_count 2
		.amdhsa_user_sgpr_dispatch_ptr 0
		.amdhsa_user_sgpr_queue_ptr 0
		.amdhsa_user_sgpr_kernarg_segment_ptr 1
		.amdhsa_user_sgpr_dispatch_id 0
		.amdhsa_user_sgpr_private_segment_size 0
		.amdhsa_wavefront_size32 1
		.amdhsa_uses_dynamic_stack 0
		.amdhsa_enable_private_segment 0
		.amdhsa_system_sgpr_workgroup_id_x 1
		.amdhsa_system_sgpr_workgroup_id_y 0
		.amdhsa_system_sgpr_workgroup_id_z 0
		.amdhsa_system_sgpr_workgroup_info 0
		.amdhsa_system_vgpr_workitem_id 0
		.amdhsa_next_free_vgpr 1
		.amdhsa_next_free_sgpr 1
		.amdhsa_reserve_vcc 0
		.amdhsa_float_round_mode_32 0
		.amdhsa_float_round_mode_16_64 0
		.amdhsa_float_denorm_mode_32 3
		.amdhsa_float_denorm_mode_16_64 3
		.amdhsa_fp16_overflow 0
		.amdhsa_workgroup_processor_mode 1
		.amdhsa_memory_ordered 1
		.amdhsa_forward_progress 1
		.amdhsa_inst_pref_size 0
		.amdhsa_round_robin_scheduling 0
		.amdhsa_exception_fp_ieee_invalid_op 0
		.amdhsa_exception_fp_denorm_src 0
		.amdhsa_exception_fp_ieee_div_zero 0
		.amdhsa_exception_fp_ieee_overflow 0
		.amdhsa_exception_fp_ieee_underflow 0
		.amdhsa_exception_fp_ieee_inexact 0
		.amdhsa_exception_int_div_zero 0
	.end_amdhsa_kernel
	.section	.text._ZN7rocprim17ROCPRIM_400000_NS6detail17trampoline_kernelINS0_14default_configENS1_25partition_config_selectorILNS1_17partition_subalgoE5ExNS0_10empty_typeEbEEZZNS1_14partition_implILS5_5ELb0ES3_mN6thrust23THRUST_200600_302600_NS6detail15normal_iteratorINSA_10device_ptrIxEEEEPS6_NSA_18transform_iteratorINSB_9not_fun_tINSA_8identityIxEEEESF_NSA_11use_defaultESM_EENS0_5tupleIJSF_S6_EEENSO_IJSG_SG_EEES6_PlJS6_EEE10hipError_tPvRmT3_T4_T5_T6_T7_T9_mT8_P12ihipStream_tbDpT10_ENKUlT_T0_E_clISt17integral_constantIbLb1EES1A_IbLb0EEEEDaS16_S17_EUlS16_E_NS1_11comp_targetILNS1_3genE8ELNS1_11target_archE1030ELNS1_3gpuE2ELNS1_3repE0EEENS1_30default_config_static_selectorELNS0_4arch9wavefront6targetE0EEEvT1_,"axG",@progbits,_ZN7rocprim17ROCPRIM_400000_NS6detail17trampoline_kernelINS0_14default_configENS1_25partition_config_selectorILNS1_17partition_subalgoE5ExNS0_10empty_typeEbEEZZNS1_14partition_implILS5_5ELb0ES3_mN6thrust23THRUST_200600_302600_NS6detail15normal_iteratorINSA_10device_ptrIxEEEEPS6_NSA_18transform_iteratorINSB_9not_fun_tINSA_8identityIxEEEESF_NSA_11use_defaultESM_EENS0_5tupleIJSF_S6_EEENSO_IJSG_SG_EEES6_PlJS6_EEE10hipError_tPvRmT3_T4_T5_T6_T7_T9_mT8_P12ihipStream_tbDpT10_ENKUlT_T0_E_clISt17integral_constantIbLb1EES1A_IbLb0EEEEDaS16_S17_EUlS16_E_NS1_11comp_targetILNS1_3genE8ELNS1_11target_archE1030ELNS1_3gpuE2ELNS1_3repE0EEENS1_30default_config_static_selectorELNS0_4arch9wavefront6targetE0EEEvT1_,comdat
.Lfunc_end972:
	.size	_ZN7rocprim17ROCPRIM_400000_NS6detail17trampoline_kernelINS0_14default_configENS1_25partition_config_selectorILNS1_17partition_subalgoE5ExNS0_10empty_typeEbEEZZNS1_14partition_implILS5_5ELb0ES3_mN6thrust23THRUST_200600_302600_NS6detail15normal_iteratorINSA_10device_ptrIxEEEEPS6_NSA_18transform_iteratorINSB_9not_fun_tINSA_8identityIxEEEESF_NSA_11use_defaultESM_EENS0_5tupleIJSF_S6_EEENSO_IJSG_SG_EEES6_PlJS6_EEE10hipError_tPvRmT3_T4_T5_T6_T7_T9_mT8_P12ihipStream_tbDpT10_ENKUlT_T0_E_clISt17integral_constantIbLb1EES1A_IbLb0EEEEDaS16_S17_EUlS16_E_NS1_11comp_targetILNS1_3genE8ELNS1_11target_archE1030ELNS1_3gpuE2ELNS1_3repE0EEENS1_30default_config_static_selectorELNS0_4arch9wavefront6targetE0EEEvT1_, .Lfunc_end972-_ZN7rocprim17ROCPRIM_400000_NS6detail17trampoline_kernelINS0_14default_configENS1_25partition_config_selectorILNS1_17partition_subalgoE5ExNS0_10empty_typeEbEEZZNS1_14partition_implILS5_5ELb0ES3_mN6thrust23THRUST_200600_302600_NS6detail15normal_iteratorINSA_10device_ptrIxEEEEPS6_NSA_18transform_iteratorINSB_9not_fun_tINSA_8identityIxEEEESF_NSA_11use_defaultESM_EENS0_5tupleIJSF_S6_EEENSO_IJSG_SG_EEES6_PlJS6_EEE10hipError_tPvRmT3_T4_T5_T6_T7_T9_mT8_P12ihipStream_tbDpT10_ENKUlT_T0_E_clISt17integral_constantIbLb1EES1A_IbLb0EEEEDaS16_S17_EUlS16_E_NS1_11comp_targetILNS1_3genE8ELNS1_11target_archE1030ELNS1_3gpuE2ELNS1_3repE0EEENS1_30default_config_static_selectorELNS0_4arch9wavefront6targetE0EEEvT1_
                                        ; -- End function
	.set _ZN7rocprim17ROCPRIM_400000_NS6detail17trampoline_kernelINS0_14default_configENS1_25partition_config_selectorILNS1_17partition_subalgoE5ExNS0_10empty_typeEbEEZZNS1_14partition_implILS5_5ELb0ES3_mN6thrust23THRUST_200600_302600_NS6detail15normal_iteratorINSA_10device_ptrIxEEEEPS6_NSA_18transform_iteratorINSB_9not_fun_tINSA_8identityIxEEEESF_NSA_11use_defaultESM_EENS0_5tupleIJSF_S6_EEENSO_IJSG_SG_EEES6_PlJS6_EEE10hipError_tPvRmT3_T4_T5_T6_T7_T9_mT8_P12ihipStream_tbDpT10_ENKUlT_T0_E_clISt17integral_constantIbLb1EES1A_IbLb0EEEEDaS16_S17_EUlS16_E_NS1_11comp_targetILNS1_3genE8ELNS1_11target_archE1030ELNS1_3gpuE2ELNS1_3repE0EEENS1_30default_config_static_selectorELNS0_4arch9wavefront6targetE0EEEvT1_.num_vgpr, 0
	.set _ZN7rocprim17ROCPRIM_400000_NS6detail17trampoline_kernelINS0_14default_configENS1_25partition_config_selectorILNS1_17partition_subalgoE5ExNS0_10empty_typeEbEEZZNS1_14partition_implILS5_5ELb0ES3_mN6thrust23THRUST_200600_302600_NS6detail15normal_iteratorINSA_10device_ptrIxEEEEPS6_NSA_18transform_iteratorINSB_9not_fun_tINSA_8identityIxEEEESF_NSA_11use_defaultESM_EENS0_5tupleIJSF_S6_EEENSO_IJSG_SG_EEES6_PlJS6_EEE10hipError_tPvRmT3_T4_T5_T6_T7_T9_mT8_P12ihipStream_tbDpT10_ENKUlT_T0_E_clISt17integral_constantIbLb1EES1A_IbLb0EEEEDaS16_S17_EUlS16_E_NS1_11comp_targetILNS1_3genE8ELNS1_11target_archE1030ELNS1_3gpuE2ELNS1_3repE0EEENS1_30default_config_static_selectorELNS0_4arch9wavefront6targetE0EEEvT1_.num_agpr, 0
	.set _ZN7rocprim17ROCPRIM_400000_NS6detail17trampoline_kernelINS0_14default_configENS1_25partition_config_selectorILNS1_17partition_subalgoE5ExNS0_10empty_typeEbEEZZNS1_14partition_implILS5_5ELb0ES3_mN6thrust23THRUST_200600_302600_NS6detail15normal_iteratorINSA_10device_ptrIxEEEEPS6_NSA_18transform_iteratorINSB_9not_fun_tINSA_8identityIxEEEESF_NSA_11use_defaultESM_EENS0_5tupleIJSF_S6_EEENSO_IJSG_SG_EEES6_PlJS6_EEE10hipError_tPvRmT3_T4_T5_T6_T7_T9_mT8_P12ihipStream_tbDpT10_ENKUlT_T0_E_clISt17integral_constantIbLb1EES1A_IbLb0EEEEDaS16_S17_EUlS16_E_NS1_11comp_targetILNS1_3genE8ELNS1_11target_archE1030ELNS1_3gpuE2ELNS1_3repE0EEENS1_30default_config_static_selectorELNS0_4arch9wavefront6targetE0EEEvT1_.numbered_sgpr, 0
	.set _ZN7rocprim17ROCPRIM_400000_NS6detail17trampoline_kernelINS0_14default_configENS1_25partition_config_selectorILNS1_17partition_subalgoE5ExNS0_10empty_typeEbEEZZNS1_14partition_implILS5_5ELb0ES3_mN6thrust23THRUST_200600_302600_NS6detail15normal_iteratorINSA_10device_ptrIxEEEEPS6_NSA_18transform_iteratorINSB_9not_fun_tINSA_8identityIxEEEESF_NSA_11use_defaultESM_EENS0_5tupleIJSF_S6_EEENSO_IJSG_SG_EEES6_PlJS6_EEE10hipError_tPvRmT3_T4_T5_T6_T7_T9_mT8_P12ihipStream_tbDpT10_ENKUlT_T0_E_clISt17integral_constantIbLb1EES1A_IbLb0EEEEDaS16_S17_EUlS16_E_NS1_11comp_targetILNS1_3genE8ELNS1_11target_archE1030ELNS1_3gpuE2ELNS1_3repE0EEENS1_30default_config_static_selectorELNS0_4arch9wavefront6targetE0EEEvT1_.num_named_barrier, 0
	.set _ZN7rocprim17ROCPRIM_400000_NS6detail17trampoline_kernelINS0_14default_configENS1_25partition_config_selectorILNS1_17partition_subalgoE5ExNS0_10empty_typeEbEEZZNS1_14partition_implILS5_5ELb0ES3_mN6thrust23THRUST_200600_302600_NS6detail15normal_iteratorINSA_10device_ptrIxEEEEPS6_NSA_18transform_iteratorINSB_9not_fun_tINSA_8identityIxEEEESF_NSA_11use_defaultESM_EENS0_5tupleIJSF_S6_EEENSO_IJSG_SG_EEES6_PlJS6_EEE10hipError_tPvRmT3_T4_T5_T6_T7_T9_mT8_P12ihipStream_tbDpT10_ENKUlT_T0_E_clISt17integral_constantIbLb1EES1A_IbLb0EEEEDaS16_S17_EUlS16_E_NS1_11comp_targetILNS1_3genE8ELNS1_11target_archE1030ELNS1_3gpuE2ELNS1_3repE0EEENS1_30default_config_static_selectorELNS0_4arch9wavefront6targetE0EEEvT1_.private_seg_size, 0
	.set _ZN7rocprim17ROCPRIM_400000_NS6detail17trampoline_kernelINS0_14default_configENS1_25partition_config_selectorILNS1_17partition_subalgoE5ExNS0_10empty_typeEbEEZZNS1_14partition_implILS5_5ELb0ES3_mN6thrust23THRUST_200600_302600_NS6detail15normal_iteratorINSA_10device_ptrIxEEEEPS6_NSA_18transform_iteratorINSB_9not_fun_tINSA_8identityIxEEEESF_NSA_11use_defaultESM_EENS0_5tupleIJSF_S6_EEENSO_IJSG_SG_EEES6_PlJS6_EEE10hipError_tPvRmT3_T4_T5_T6_T7_T9_mT8_P12ihipStream_tbDpT10_ENKUlT_T0_E_clISt17integral_constantIbLb1EES1A_IbLb0EEEEDaS16_S17_EUlS16_E_NS1_11comp_targetILNS1_3genE8ELNS1_11target_archE1030ELNS1_3gpuE2ELNS1_3repE0EEENS1_30default_config_static_selectorELNS0_4arch9wavefront6targetE0EEEvT1_.uses_vcc, 0
	.set _ZN7rocprim17ROCPRIM_400000_NS6detail17trampoline_kernelINS0_14default_configENS1_25partition_config_selectorILNS1_17partition_subalgoE5ExNS0_10empty_typeEbEEZZNS1_14partition_implILS5_5ELb0ES3_mN6thrust23THRUST_200600_302600_NS6detail15normal_iteratorINSA_10device_ptrIxEEEEPS6_NSA_18transform_iteratorINSB_9not_fun_tINSA_8identityIxEEEESF_NSA_11use_defaultESM_EENS0_5tupleIJSF_S6_EEENSO_IJSG_SG_EEES6_PlJS6_EEE10hipError_tPvRmT3_T4_T5_T6_T7_T9_mT8_P12ihipStream_tbDpT10_ENKUlT_T0_E_clISt17integral_constantIbLb1EES1A_IbLb0EEEEDaS16_S17_EUlS16_E_NS1_11comp_targetILNS1_3genE8ELNS1_11target_archE1030ELNS1_3gpuE2ELNS1_3repE0EEENS1_30default_config_static_selectorELNS0_4arch9wavefront6targetE0EEEvT1_.uses_flat_scratch, 0
	.set _ZN7rocprim17ROCPRIM_400000_NS6detail17trampoline_kernelINS0_14default_configENS1_25partition_config_selectorILNS1_17partition_subalgoE5ExNS0_10empty_typeEbEEZZNS1_14partition_implILS5_5ELb0ES3_mN6thrust23THRUST_200600_302600_NS6detail15normal_iteratorINSA_10device_ptrIxEEEEPS6_NSA_18transform_iteratorINSB_9not_fun_tINSA_8identityIxEEEESF_NSA_11use_defaultESM_EENS0_5tupleIJSF_S6_EEENSO_IJSG_SG_EEES6_PlJS6_EEE10hipError_tPvRmT3_T4_T5_T6_T7_T9_mT8_P12ihipStream_tbDpT10_ENKUlT_T0_E_clISt17integral_constantIbLb1EES1A_IbLb0EEEEDaS16_S17_EUlS16_E_NS1_11comp_targetILNS1_3genE8ELNS1_11target_archE1030ELNS1_3gpuE2ELNS1_3repE0EEENS1_30default_config_static_selectorELNS0_4arch9wavefront6targetE0EEEvT1_.has_dyn_sized_stack, 0
	.set _ZN7rocprim17ROCPRIM_400000_NS6detail17trampoline_kernelINS0_14default_configENS1_25partition_config_selectorILNS1_17partition_subalgoE5ExNS0_10empty_typeEbEEZZNS1_14partition_implILS5_5ELb0ES3_mN6thrust23THRUST_200600_302600_NS6detail15normal_iteratorINSA_10device_ptrIxEEEEPS6_NSA_18transform_iteratorINSB_9not_fun_tINSA_8identityIxEEEESF_NSA_11use_defaultESM_EENS0_5tupleIJSF_S6_EEENSO_IJSG_SG_EEES6_PlJS6_EEE10hipError_tPvRmT3_T4_T5_T6_T7_T9_mT8_P12ihipStream_tbDpT10_ENKUlT_T0_E_clISt17integral_constantIbLb1EES1A_IbLb0EEEEDaS16_S17_EUlS16_E_NS1_11comp_targetILNS1_3genE8ELNS1_11target_archE1030ELNS1_3gpuE2ELNS1_3repE0EEENS1_30default_config_static_selectorELNS0_4arch9wavefront6targetE0EEEvT1_.has_recursion, 0
	.set _ZN7rocprim17ROCPRIM_400000_NS6detail17trampoline_kernelINS0_14default_configENS1_25partition_config_selectorILNS1_17partition_subalgoE5ExNS0_10empty_typeEbEEZZNS1_14partition_implILS5_5ELb0ES3_mN6thrust23THRUST_200600_302600_NS6detail15normal_iteratorINSA_10device_ptrIxEEEEPS6_NSA_18transform_iteratorINSB_9not_fun_tINSA_8identityIxEEEESF_NSA_11use_defaultESM_EENS0_5tupleIJSF_S6_EEENSO_IJSG_SG_EEES6_PlJS6_EEE10hipError_tPvRmT3_T4_T5_T6_T7_T9_mT8_P12ihipStream_tbDpT10_ENKUlT_T0_E_clISt17integral_constantIbLb1EES1A_IbLb0EEEEDaS16_S17_EUlS16_E_NS1_11comp_targetILNS1_3genE8ELNS1_11target_archE1030ELNS1_3gpuE2ELNS1_3repE0EEENS1_30default_config_static_selectorELNS0_4arch9wavefront6targetE0EEEvT1_.has_indirect_call, 0
	.section	.AMDGPU.csdata,"",@progbits
; Kernel info:
; codeLenInByte = 0
; TotalNumSgprs: 0
; NumVgprs: 0
; ScratchSize: 0
; MemoryBound: 0
; FloatMode: 240
; IeeeMode: 1
; LDSByteSize: 0 bytes/workgroup (compile time only)
; SGPRBlocks: 0
; VGPRBlocks: 0
; NumSGPRsForWavesPerEU: 1
; NumVGPRsForWavesPerEU: 1
; Occupancy: 16
; WaveLimiterHint : 0
; COMPUTE_PGM_RSRC2:SCRATCH_EN: 0
; COMPUTE_PGM_RSRC2:USER_SGPR: 2
; COMPUTE_PGM_RSRC2:TRAP_HANDLER: 0
; COMPUTE_PGM_RSRC2:TGID_X_EN: 1
; COMPUTE_PGM_RSRC2:TGID_Y_EN: 0
; COMPUTE_PGM_RSRC2:TGID_Z_EN: 0
; COMPUTE_PGM_RSRC2:TIDIG_COMP_CNT: 0
	.section	.text._ZN7rocprim17ROCPRIM_400000_NS6detail17trampoline_kernelINS0_14default_configENS1_25partition_config_selectorILNS1_17partition_subalgoE5ExNS0_10empty_typeEbEEZZNS1_14partition_implILS5_5ELb0ES3_mN6thrust23THRUST_200600_302600_NS6detail15normal_iteratorINSA_10device_ptrIxEEEEPS6_NSA_18transform_iteratorINSB_9not_fun_tINSA_8identityIxEEEESF_NSA_11use_defaultESM_EENS0_5tupleIJSF_S6_EEENSO_IJSG_SG_EEES6_PlJS6_EEE10hipError_tPvRmT3_T4_T5_T6_T7_T9_mT8_P12ihipStream_tbDpT10_ENKUlT_T0_E_clISt17integral_constantIbLb0EES1A_IbLb1EEEEDaS16_S17_EUlS16_E_NS1_11comp_targetILNS1_3genE0ELNS1_11target_archE4294967295ELNS1_3gpuE0ELNS1_3repE0EEENS1_30default_config_static_selectorELNS0_4arch9wavefront6targetE0EEEvT1_,"axG",@progbits,_ZN7rocprim17ROCPRIM_400000_NS6detail17trampoline_kernelINS0_14default_configENS1_25partition_config_selectorILNS1_17partition_subalgoE5ExNS0_10empty_typeEbEEZZNS1_14partition_implILS5_5ELb0ES3_mN6thrust23THRUST_200600_302600_NS6detail15normal_iteratorINSA_10device_ptrIxEEEEPS6_NSA_18transform_iteratorINSB_9not_fun_tINSA_8identityIxEEEESF_NSA_11use_defaultESM_EENS0_5tupleIJSF_S6_EEENSO_IJSG_SG_EEES6_PlJS6_EEE10hipError_tPvRmT3_T4_T5_T6_T7_T9_mT8_P12ihipStream_tbDpT10_ENKUlT_T0_E_clISt17integral_constantIbLb0EES1A_IbLb1EEEEDaS16_S17_EUlS16_E_NS1_11comp_targetILNS1_3genE0ELNS1_11target_archE4294967295ELNS1_3gpuE0ELNS1_3repE0EEENS1_30default_config_static_selectorELNS0_4arch9wavefront6targetE0EEEvT1_,comdat
	.protected	_ZN7rocprim17ROCPRIM_400000_NS6detail17trampoline_kernelINS0_14default_configENS1_25partition_config_selectorILNS1_17partition_subalgoE5ExNS0_10empty_typeEbEEZZNS1_14partition_implILS5_5ELb0ES3_mN6thrust23THRUST_200600_302600_NS6detail15normal_iteratorINSA_10device_ptrIxEEEEPS6_NSA_18transform_iteratorINSB_9not_fun_tINSA_8identityIxEEEESF_NSA_11use_defaultESM_EENS0_5tupleIJSF_S6_EEENSO_IJSG_SG_EEES6_PlJS6_EEE10hipError_tPvRmT3_T4_T5_T6_T7_T9_mT8_P12ihipStream_tbDpT10_ENKUlT_T0_E_clISt17integral_constantIbLb0EES1A_IbLb1EEEEDaS16_S17_EUlS16_E_NS1_11comp_targetILNS1_3genE0ELNS1_11target_archE4294967295ELNS1_3gpuE0ELNS1_3repE0EEENS1_30default_config_static_selectorELNS0_4arch9wavefront6targetE0EEEvT1_ ; -- Begin function _ZN7rocprim17ROCPRIM_400000_NS6detail17trampoline_kernelINS0_14default_configENS1_25partition_config_selectorILNS1_17partition_subalgoE5ExNS0_10empty_typeEbEEZZNS1_14partition_implILS5_5ELb0ES3_mN6thrust23THRUST_200600_302600_NS6detail15normal_iteratorINSA_10device_ptrIxEEEEPS6_NSA_18transform_iteratorINSB_9not_fun_tINSA_8identityIxEEEESF_NSA_11use_defaultESM_EENS0_5tupleIJSF_S6_EEENSO_IJSG_SG_EEES6_PlJS6_EEE10hipError_tPvRmT3_T4_T5_T6_T7_T9_mT8_P12ihipStream_tbDpT10_ENKUlT_T0_E_clISt17integral_constantIbLb0EES1A_IbLb1EEEEDaS16_S17_EUlS16_E_NS1_11comp_targetILNS1_3genE0ELNS1_11target_archE4294967295ELNS1_3gpuE0ELNS1_3repE0EEENS1_30default_config_static_selectorELNS0_4arch9wavefront6targetE0EEEvT1_
	.globl	_ZN7rocprim17ROCPRIM_400000_NS6detail17trampoline_kernelINS0_14default_configENS1_25partition_config_selectorILNS1_17partition_subalgoE5ExNS0_10empty_typeEbEEZZNS1_14partition_implILS5_5ELb0ES3_mN6thrust23THRUST_200600_302600_NS6detail15normal_iteratorINSA_10device_ptrIxEEEEPS6_NSA_18transform_iteratorINSB_9not_fun_tINSA_8identityIxEEEESF_NSA_11use_defaultESM_EENS0_5tupleIJSF_S6_EEENSO_IJSG_SG_EEES6_PlJS6_EEE10hipError_tPvRmT3_T4_T5_T6_T7_T9_mT8_P12ihipStream_tbDpT10_ENKUlT_T0_E_clISt17integral_constantIbLb0EES1A_IbLb1EEEEDaS16_S17_EUlS16_E_NS1_11comp_targetILNS1_3genE0ELNS1_11target_archE4294967295ELNS1_3gpuE0ELNS1_3repE0EEENS1_30default_config_static_selectorELNS0_4arch9wavefront6targetE0EEEvT1_
	.p2align	8
	.type	_ZN7rocprim17ROCPRIM_400000_NS6detail17trampoline_kernelINS0_14default_configENS1_25partition_config_selectorILNS1_17partition_subalgoE5ExNS0_10empty_typeEbEEZZNS1_14partition_implILS5_5ELb0ES3_mN6thrust23THRUST_200600_302600_NS6detail15normal_iteratorINSA_10device_ptrIxEEEEPS6_NSA_18transform_iteratorINSB_9not_fun_tINSA_8identityIxEEEESF_NSA_11use_defaultESM_EENS0_5tupleIJSF_S6_EEENSO_IJSG_SG_EEES6_PlJS6_EEE10hipError_tPvRmT3_T4_T5_T6_T7_T9_mT8_P12ihipStream_tbDpT10_ENKUlT_T0_E_clISt17integral_constantIbLb0EES1A_IbLb1EEEEDaS16_S17_EUlS16_E_NS1_11comp_targetILNS1_3genE0ELNS1_11target_archE4294967295ELNS1_3gpuE0ELNS1_3repE0EEENS1_30default_config_static_selectorELNS0_4arch9wavefront6targetE0EEEvT1_,@function
_ZN7rocprim17ROCPRIM_400000_NS6detail17trampoline_kernelINS0_14default_configENS1_25partition_config_selectorILNS1_17partition_subalgoE5ExNS0_10empty_typeEbEEZZNS1_14partition_implILS5_5ELb0ES3_mN6thrust23THRUST_200600_302600_NS6detail15normal_iteratorINSA_10device_ptrIxEEEEPS6_NSA_18transform_iteratorINSB_9not_fun_tINSA_8identityIxEEEESF_NSA_11use_defaultESM_EENS0_5tupleIJSF_S6_EEENSO_IJSG_SG_EEES6_PlJS6_EEE10hipError_tPvRmT3_T4_T5_T6_T7_T9_mT8_P12ihipStream_tbDpT10_ENKUlT_T0_E_clISt17integral_constantIbLb0EES1A_IbLb1EEEEDaS16_S17_EUlS16_E_NS1_11comp_targetILNS1_3genE0ELNS1_11target_archE4294967295ELNS1_3gpuE0ELNS1_3repE0EEENS1_30default_config_static_selectorELNS0_4arch9wavefront6targetE0EEEvT1_: ; @_ZN7rocprim17ROCPRIM_400000_NS6detail17trampoline_kernelINS0_14default_configENS1_25partition_config_selectorILNS1_17partition_subalgoE5ExNS0_10empty_typeEbEEZZNS1_14partition_implILS5_5ELb0ES3_mN6thrust23THRUST_200600_302600_NS6detail15normal_iteratorINSA_10device_ptrIxEEEEPS6_NSA_18transform_iteratorINSB_9not_fun_tINSA_8identityIxEEEESF_NSA_11use_defaultESM_EENS0_5tupleIJSF_S6_EEENSO_IJSG_SG_EEES6_PlJS6_EEE10hipError_tPvRmT3_T4_T5_T6_T7_T9_mT8_P12ihipStream_tbDpT10_ENKUlT_T0_E_clISt17integral_constantIbLb0EES1A_IbLb1EEEEDaS16_S17_EUlS16_E_NS1_11comp_targetILNS1_3genE0ELNS1_11target_archE4294967295ELNS1_3gpuE0ELNS1_3repE0EEENS1_30default_config_static_selectorELNS0_4arch9wavefront6targetE0EEEvT1_
; %bb.0:
	.section	.rodata,"a",@progbits
	.p2align	6, 0x0
	.amdhsa_kernel _ZN7rocprim17ROCPRIM_400000_NS6detail17trampoline_kernelINS0_14default_configENS1_25partition_config_selectorILNS1_17partition_subalgoE5ExNS0_10empty_typeEbEEZZNS1_14partition_implILS5_5ELb0ES3_mN6thrust23THRUST_200600_302600_NS6detail15normal_iteratorINSA_10device_ptrIxEEEEPS6_NSA_18transform_iteratorINSB_9not_fun_tINSA_8identityIxEEEESF_NSA_11use_defaultESM_EENS0_5tupleIJSF_S6_EEENSO_IJSG_SG_EEES6_PlJS6_EEE10hipError_tPvRmT3_T4_T5_T6_T7_T9_mT8_P12ihipStream_tbDpT10_ENKUlT_T0_E_clISt17integral_constantIbLb0EES1A_IbLb1EEEEDaS16_S17_EUlS16_E_NS1_11comp_targetILNS1_3genE0ELNS1_11target_archE4294967295ELNS1_3gpuE0ELNS1_3repE0EEENS1_30default_config_static_selectorELNS0_4arch9wavefront6targetE0EEEvT1_
		.amdhsa_group_segment_fixed_size 0
		.amdhsa_private_segment_fixed_size 0
		.amdhsa_kernarg_size 136
		.amdhsa_user_sgpr_count 2
		.amdhsa_user_sgpr_dispatch_ptr 0
		.amdhsa_user_sgpr_queue_ptr 0
		.amdhsa_user_sgpr_kernarg_segment_ptr 1
		.amdhsa_user_sgpr_dispatch_id 0
		.amdhsa_user_sgpr_private_segment_size 0
		.amdhsa_wavefront_size32 1
		.amdhsa_uses_dynamic_stack 0
		.amdhsa_enable_private_segment 0
		.amdhsa_system_sgpr_workgroup_id_x 1
		.amdhsa_system_sgpr_workgroup_id_y 0
		.amdhsa_system_sgpr_workgroup_id_z 0
		.amdhsa_system_sgpr_workgroup_info 0
		.amdhsa_system_vgpr_workitem_id 0
		.amdhsa_next_free_vgpr 1
		.amdhsa_next_free_sgpr 1
		.amdhsa_reserve_vcc 0
		.amdhsa_float_round_mode_32 0
		.amdhsa_float_round_mode_16_64 0
		.amdhsa_float_denorm_mode_32 3
		.amdhsa_float_denorm_mode_16_64 3
		.amdhsa_fp16_overflow 0
		.amdhsa_workgroup_processor_mode 1
		.amdhsa_memory_ordered 1
		.amdhsa_forward_progress 1
		.amdhsa_inst_pref_size 0
		.amdhsa_round_robin_scheduling 0
		.amdhsa_exception_fp_ieee_invalid_op 0
		.amdhsa_exception_fp_denorm_src 0
		.amdhsa_exception_fp_ieee_div_zero 0
		.amdhsa_exception_fp_ieee_overflow 0
		.amdhsa_exception_fp_ieee_underflow 0
		.amdhsa_exception_fp_ieee_inexact 0
		.amdhsa_exception_int_div_zero 0
	.end_amdhsa_kernel
	.section	.text._ZN7rocprim17ROCPRIM_400000_NS6detail17trampoline_kernelINS0_14default_configENS1_25partition_config_selectorILNS1_17partition_subalgoE5ExNS0_10empty_typeEbEEZZNS1_14partition_implILS5_5ELb0ES3_mN6thrust23THRUST_200600_302600_NS6detail15normal_iteratorINSA_10device_ptrIxEEEEPS6_NSA_18transform_iteratorINSB_9not_fun_tINSA_8identityIxEEEESF_NSA_11use_defaultESM_EENS0_5tupleIJSF_S6_EEENSO_IJSG_SG_EEES6_PlJS6_EEE10hipError_tPvRmT3_T4_T5_T6_T7_T9_mT8_P12ihipStream_tbDpT10_ENKUlT_T0_E_clISt17integral_constantIbLb0EES1A_IbLb1EEEEDaS16_S17_EUlS16_E_NS1_11comp_targetILNS1_3genE0ELNS1_11target_archE4294967295ELNS1_3gpuE0ELNS1_3repE0EEENS1_30default_config_static_selectorELNS0_4arch9wavefront6targetE0EEEvT1_,"axG",@progbits,_ZN7rocprim17ROCPRIM_400000_NS6detail17trampoline_kernelINS0_14default_configENS1_25partition_config_selectorILNS1_17partition_subalgoE5ExNS0_10empty_typeEbEEZZNS1_14partition_implILS5_5ELb0ES3_mN6thrust23THRUST_200600_302600_NS6detail15normal_iteratorINSA_10device_ptrIxEEEEPS6_NSA_18transform_iteratorINSB_9not_fun_tINSA_8identityIxEEEESF_NSA_11use_defaultESM_EENS0_5tupleIJSF_S6_EEENSO_IJSG_SG_EEES6_PlJS6_EEE10hipError_tPvRmT3_T4_T5_T6_T7_T9_mT8_P12ihipStream_tbDpT10_ENKUlT_T0_E_clISt17integral_constantIbLb0EES1A_IbLb1EEEEDaS16_S17_EUlS16_E_NS1_11comp_targetILNS1_3genE0ELNS1_11target_archE4294967295ELNS1_3gpuE0ELNS1_3repE0EEENS1_30default_config_static_selectorELNS0_4arch9wavefront6targetE0EEEvT1_,comdat
.Lfunc_end973:
	.size	_ZN7rocprim17ROCPRIM_400000_NS6detail17trampoline_kernelINS0_14default_configENS1_25partition_config_selectorILNS1_17partition_subalgoE5ExNS0_10empty_typeEbEEZZNS1_14partition_implILS5_5ELb0ES3_mN6thrust23THRUST_200600_302600_NS6detail15normal_iteratorINSA_10device_ptrIxEEEEPS6_NSA_18transform_iteratorINSB_9not_fun_tINSA_8identityIxEEEESF_NSA_11use_defaultESM_EENS0_5tupleIJSF_S6_EEENSO_IJSG_SG_EEES6_PlJS6_EEE10hipError_tPvRmT3_T4_T5_T6_T7_T9_mT8_P12ihipStream_tbDpT10_ENKUlT_T0_E_clISt17integral_constantIbLb0EES1A_IbLb1EEEEDaS16_S17_EUlS16_E_NS1_11comp_targetILNS1_3genE0ELNS1_11target_archE4294967295ELNS1_3gpuE0ELNS1_3repE0EEENS1_30default_config_static_selectorELNS0_4arch9wavefront6targetE0EEEvT1_, .Lfunc_end973-_ZN7rocprim17ROCPRIM_400000_NS6detail17trampoline_kernelINS0_14default_configENS1_25partition_config_selectorILNS1_17partition_subalgoE5ExNS0_10empty_typeEbEEZZNS1_14partition_implILS5_5ELb0ES3_mN6thrust23THRUST_200600_302600_NS6detail15normal_iteratorINSA_10device_ptrIxEEEEPS6_NSA_18transform_iteratorINSB_9not_fun_tINSA_8identityIxEEEESF_NSA_11use_defaultESM_EENS0_5tupleIJSF_S6_EEENSO_IJSG_SG_EEES6_PlJS6_EEE10hipError_tPvRmT3_T4_T5_T6_T7_T9_mT8_P12ihipStream_tbDpT10_ENKUlT_T0_E_clISt17integral_constantIbLb0EES1A_IbLb1EEEEDaS16_S17_EUlS16_E_NS1_11comp_targetILNS1_3genE0ELNS1_11target_archE4294967295ELNS1_3gpuE0ELNS1_3repE0EEENS1_30default_config_static_selectorELNS0_4arch9wavefront6targetE0EEEvT1_
                                        ; -- End function
	.set _ZN7rocprim17ROCPRIM_400000_NS6detail17trampoline_kernelINS0_14default_configENS1_25partition_config_selectorILNS1_17partition_subalgoE5ExNS0_10empty_typeEbEEZZNS1_14partition_implILS5_5ELb0ES3_mN6thrust23THRUST_200600_302600_NS6detail15normal_iteratorINSA_10device_ptrIxEEEEPS6_NSA_18transform_iteratorINSB_9not_fun_tINSA_8identityIxEEEESF_NSA_11use_defaultESM_EENS0_5tupleIJSF_S6_EEENSO_IJSG_SG_EEES6_PlJS6_EEE10hipError_tPvRmT3_T4_T5_T6_T7_T9_mT8_P12ihipStream_tbDpT10_ENKUlT_T0_E_clISt17integral_constantIbLb0EES1A_IbLb1EEEEDaS16_S17_EUlS16_E_NS1_11comp_targetILNS1_3genE0ELNS1_11target_archE4294967295ELNS1_3gpuE0ELNS1_3repE0EEENS1_30default_config_static_selectorELNS0_4arch9wavefront6targetE0EEEvT1_.num_vgpr, 0
	.set _ZN7rocprim17ROCPRIM_400000_NS6detail17trampoline_kernelINS0_14default_configENS1_25partition_config_selectorILNS1_17partition_subalgoE5ExNS0_10empty_typeEbEEZZNS1_14partition_implILS5_5ELb0ES3_mN6thrust23THRUST_200600_302600_NS6detail15normal_iteratorINSA_10device_ptrIxEEEEPS6_NSA_18transform_iteratorINSB_9not_fun_tINSA_8identityIxEEEESF_NSA_11use_defaultESM_EENS0_5tupleIJSF_S6_EEENSO_IJSG_SG_EEES6_PlJS6_EEE10hipError_tPvRmT3_T4_T5_T6_T7_T9_mT8_P12ihipStream_tbDpT10_ENKUlT_T0_E_clISt17integral_constantIbLb0EES1A_IbLb1EEEEDaS16_S17_EUlS16_E_NS1_11comp_targetILNS1_3genE0ELNS1_11target_archE4294967295ELNS1_3gpuE0ELNS1_3repE0EEENS1_30default_config_static_selectorELNS0_4arch9wavefront6targetE0EEEvT1_.num_agpr, 0
	.set _ZN7rocprim17ROCPRIM_400000_NS6detail17trampoline_kernelINS0_14default_configENS1_25partition_config_selectorILNS1_17partition_subalgoE5ExNS0_10empty_typeEbEEZZNS1_14partition_implILS5_5ELb0ES3_mN6thrust23THRUST_200600_302600_NS6detail15normal_iteratorINSA_10device_ptrIxEEEEPS6_NSA_18transform_iteratorINSB_9not_fun_tINSA_8identityIxEEEESF_NSA_11use_defaultESM_EENS0_5tupleIJSF_S6_EEENSO_IJSG_SG_EEES6_PlJS6_EEE10hipError_tPvRmT3_T4_T5_T6_T7_T9_mT8_P12ihipStream_tbDpT10_ENKUlT_T0_E_clISt17integral_constantIbLb0EES1A_IbLb1EEEEDaS16_S17_EUlS16_E_NS1_11comp_targetILNS1_3genE0ELNS1_11target_archE4294967295ELNS1_3gpuE0ELNS1_3repE0EEENS1_30default_config_static_selectorELNS0_4arch9wavefront6targetE0EEEvT1_.numbered_sgpr, 0
	.set _ZN7rocprim17ROCPRIM_400000_NS6detail17trampoline_kernelINS0_14default_configENS1_25partition_config_selectorILNS1_17partition_subalgoE5ExNS0_10empty_typeEbEEZZNS1_14partition_implILS5_5ELb0ES3_mN6thrust23THRUST_200600_302600_NS6detail15normal_iteratorINSA_10device_ptrIxEEEEPS6_NSA_18transform_iteratorINSB_9not_fun_tINSA_8identityIxEEEESF_NSA_11use_defaultESM_EENS0_5tupleIJSF_S6_EEENSO_IJSG_SG_EEES6_PlJS6_EEE10hipError_tPvRmT3_T4_T5_T6_T7_T9_mT8_P12ihipStream_tbDpT10_ENKUlT_T0_E_clISt17integral_constantIbLb0EES1A_IbLb1EEEEDaS16_S17_EUlS16_E_NS1_11comp_targetILNS1_3genE0ELNS1_11target_archE4294967295ELNS1_3gpuE0ELNS1_3repE0EEENS1_30default_config_static_selectorELNS0_4arch9wavefront6targetE0EEEvT1_.num_named_barrier, 0
	.set _ZN7rocprim17ROCPRIM_400000_NS6detail17trampoline_kernelINS0_14default_configENS1_25partition_config_selectorILNS1_17partition_subalgoE5ExNS0_10empty_typeEbEEZZNS1_14partition_implILS5_5ELb0ES3_mN6thrust23THRUST_200600_302600_NS6detail15normal_iteratorINSA_10device_ptrIxEEEEPS6_NSA_18transform_iteratorINSB_9not_fun_tINSA_8identityIxEEEESF_NSA_11use_defaultESM_EENS0_5tupleIJSF_S6_EEENSO_IJSG_SG_EEES6_PlJS6_EEE10hipError_tPvRmT3_T4_T5_T6_T7_T9_mT8_P12ihipStream_tbDpT10_ENKUlT_T0_E_clISt17integral_constantIbLb0EES1A_IbLb1EEEEDaS16_S17_EUlS16_E_NS1_11comp_targetILNS1_3genE0ELNS1_11target_archE4294967295ELNS1_3gpuE0ELNS1_3repE0EEENS1_30default_config_static_selectorELNS0_4arch9wavefront6targetE0EEEvT1_.private_seg_size, 0
	.set _ZN7rocprim17ROCPRIM_400000_NS6detail17trampoline_kernelINS0_14default_configENS1_25partition_config_selectorILNS1_17partition_subalgoE5ExNS0_10empty_typeEbEEZZNS1_14partition_implILS5_5ELb0ES3_mN6thrust23THRUST_200600_302600_NS6detail15normal_iteratorINSA_10device_ptrIxEEEEPS6_NSA_18transform_iteratorINSB_9not_fun_tINSA_8identityIxEEEESF_NSA_11use_defaultESM_EENS0_5tupleIJSF_S6_EEENSO_IJSG_SG_EEES6_PlJS6_EEE10hipError_tPvRmT3_T4_T5_T6_T7_T9_mT8_P12ihipStream_tbDpT10_ENKUlT_T0_E_clISt17integral_constantIbLb0EES1A_IbLb1EEEEDaS16_S17_EUlS16_E_NS1_11comp_targetILNS1_3genE0ELNS1_11target_archE4294967295ELNS1_3gpuE0ELNS1_3repE0EEENS1_30default_config_static_selectorELNS0_4arch9wavefront6targetE0EEEvT1_.uses_vcc, 0
	.set _ZN7rocprim17ROCPRIM_400000_NS6detail17trampoline_kernelINS0_14default_configENS1_25partition_config_selectorILNS1_17partition_subalgoE5ExNS0_10empty_typeEbEEZZNS1_14partition_implILS5_5ELb0ES3_mN6thrust23THRUST_200600_302600_NS6detail15normal_iteratorINSA_10device_ptrIxEEEEPS6_NSA_18transform_iteratorINSB_9not_fun_tINSA_8identityIxEEEESF_NSA_11use_defaultESM_EENS0_5tupleIJSF_S6_EEENSO_IJSG_SG_EEES6_PlJS6_EEE10hipError_tPvRmT3_T4_T5_T6_T7_T9_mT8_P12ihipStream_tbDpT10_ENKUlT_T0_E_clISt17integral_constantIbLb0EES1A_IbLb1EEEEDaS16_S17_EUlS16_E_NS1_11comp_targetILNS1_3genE0ELNS1_11target_archE4294967295ELNS1_3gpuE0ELNS1_3repE0EEENS1_30default_config_static_selectorELNS0_4arch9wavefront6targetE0EEEvT1_.uses_flat_scratch, 0
	.set _ZN7rocprim17ROCPRIM_400000_NS6detail17trampoline_kernelINS0_14default_configENS1_25partition_config_selectorILNS1_17partition_subalgoE5ExNS0_10empty_typeEbEEZZNS1_14partition_implILS5_5ELb0ES3_mN6thrust23THRUST_200600_302600_NS6detail15normal_iteratorINSA_10device_ptrIxEEEEPS6_NSA_18transform_iteratorINSB_9not_fun_tINSA_8identityIxEEEESF_NSA_11use_defaultESM_EENS0_5tupleIJSF_S6_EEENSO_IJSG_SG_EEES6_PlJS6_EEE10hipError_tPvRmT3_T4_T5_T6_T7_T9_mT8_P12ihipStream_tbDpT10_ENKUlT_T0_E_clISt17integral_constantIbLb0EES1A_IbLb1EEEEDaS16_S17_EUlS16_E_NS1_11comp_targetILNS1_3genE0ELNS1_11target_archE4294967295ELNS1_3gpuE0ELNS1_3repE0EEENS1_30default_config_static_selectorELNS0_4arch9wavefront6targetE0EEEvT1_.has_dyn_sized_stack, 0
	.set _ZN7rocprim17ROCPRIM_400000_NS6detail17trampoline_kernelINS0_14default_configENS1_25partition_config_selectorILNS1_17partition_subalgoE5ExNS0_10empty_typeEbEEZZNS1_14partition_implILS5_5ELb0ES3_mN6thrust23THRUST_200600_302600_NS6detail15normal_iteratorINSA_10device_ptrIxEEEEPS6_NSA_18transform_iteratorINSB_9not_fun_tINSA_8identityIxEEEESF_NSA_11use_defaultESM_EENS0_5tupleIJSF_S6_EEENSO_IJSG_SG_EEES6_PlJS6_EEE10hipError_tPvRmT3_T4_T5_T6_T7_T9_mT8_P12ihipStream_tbDpT10_ENKUlT_T0_E_clISt17integral_constantIbLb0EES1A_IbLb1EEEEDaS16_S17_EUlS16_E_NS1_11comp_targetILNS1_3genE0ELNS1_11target_archE4294967295ELNS1_3gpuE0ELNS1_3repE0EEENS1_30default_config_static_selectorELNS0_4arch9wavefront6targetE0EEEvT1_.has_recursion, 0
	.set _ZN7rocprim17ROCPRIM_400000_NS6detail17trampoline_kernelINS0_14default_configENS1_25partition_config_selectorILNS1_17partition_subalgoE5ExNS0_10empty_typeEbEEZZNS1_14partition_implILS5_5ELb0ES3_mN6thrust23THRUST_200600_302600_NS6detail15normal_iteratorINSA_10device_ptrIxEEEEPS6_NSA_18transform_iteratorINSB_9not_fun_tINSA_8identityIxEEEESF_NSA_11use_defaultESM_EENS0_5tupleIJSF_S6_EEENSO_IJSG_SG_EEES6_PlJS6_EEE10hipError_tPvRmT3_T4_T5_T6_T7_T9_mT8_P12ihipStream_tbDpT10_ENKUlT_T0_E_clISt17integral_constantIbLb0EES1A_IbLb1EEEEDaS16_S17_EUlS16_E_NS1_11comp_targetILNS1_3genE0ELNS1_11target_archE4294967295ELNS1_3gpuE0ELNS1_3repE0EEENS1_30default_config_static_selectorELNS0_4arch9wavefront6targetE0EEEvT1_.has_indirect_call, 0
	.section	.AMDGPU.csdata,"",@progbits
; Kernel info:
; codeLenInByte = 0
; TotalNumSgprs: 0
; NumVgprs: 0
; ScratchSize: 0
; MemoryBound: 0
; FloatMode: 240
; IeeeMode: 1
; LDSByteSize: 0 bytes/workgroup (compile time only)
; SGPRBlocks: 0
; VGPRBlocks: 0
; NumSGPRsForWavesPerEU: 1
; NumVGPRsForWavesPerEU: 1
; Occupancy: 16
; WaveLimiterHint : 0
; COMPUTE_PGM_RSRC2:SCRATCH_EN: 0
; COMPUTE_PGM_RSRC2:USER_SGPR: 2
; COMPUTE_PGM_RSRC2:TRAP_HANDLER: 0
; COMPUTE_PGM_RSRC2:TGID_X_EN: 1
; COMPUTE_PGM_RSRC2:TGID_Y_EN: 0
; COMPUTE_PGM_RSRC2:TGID_Z_EN: 0
; COMPUTE_PGM_RSRC2:TIDIG_COMP_CNT: 0
	.section	.text._ZN7rocprim17ROCPRIM_400000_NS6detail17trampoline_kernelINS0_14default_configENS1_25partition_config_selectorILNS1_17partition_subalgoE5ExNS0_10empty_typeEbEEZZNS1_14partition_implILS5_5ELb0ES3_mN6thrust23THRUST_200600_302600_NS6detail15normal_iteratorINSA_10device_ptrIxEEEEPS6_NSA_18transform_iteratorINSB_9not_fun_tINSA_8identityIxEEEESF_NSA_11use_defaultESM_EENS0_5tupleIJSF_S6_EEENSO_IJSG_SG_EEES6_PlJS6_EEE10hipError_tPvRmT3_T4_T5_T6_T7_T9_mT8_P12ihipStream_tbDpT10_ENKUlT_T0_E_clISt17integral_constantIbLb0EES1A_IbLb1EEEEDaS16_S17_EUlS16_E_NS1_11comp_targetILNS1_3genE5ELNS1_11target_archE942ELNS1_3gpuE9ELNS1_3repE0EEENS1_30default_config_static_selectorELNS0_4arch9wavefront6targetE0EEEvT1_,"axG",@progbits,_ZN7rocprim17ROCPRIM_400000_NS6detail17trampoline_kernelINS0_14default_configENS1_25partition_config_selectorILNS1_17partition_subalgoE5ExNS0_10empty_typeEbEEZZNS1_14partition_implILS5_5ELb0ES3_mN6thrust23THRUST_200600_302600_NS6detail15normal_iteratorINSA_10device_ptrIxEEEEPS6_NSA_18transform_iteratorINSB_9not_fun_tINSA_8identityIxEEEESF_NSA_11use_defaultESM_EENS0_5tupleIJSF_S6_EEENSO_IJSG_SG_EEES6_PlJS6_EEE10hipError_tPvRmT3_T4_T5_T6_T7_T9_mT8_P12ihipStream_tbDpT10_ENKUlT_T0_E_clISt17integral_constantIbLb0EES1A_IbLb1EEEEDaS16_S17_EUlS16_E_NS1_11comp_targetILNS1_3genE5ELNS1_11target_archE942ELNS1_3gpuE9ELNS1_3repE0EEENS1_30default_config_static_selectorELNS0_4arch9wavefront6targetE0EEEvT1_,comdat
	.protected	_ZN7rocprim17ROCPRIM_400000_NS6detail17trampoline_kernelINS0_14default_configENS1_25partition_config_selectorILNS1_17partition_subalgoE5ExNS0_10empty_typeEbEEZZNS1_14partition_implILS5_5ELb0ES3_mN6thrust23THRUST_200600_302600_NS6detail15normal_iteratorINSA_10device_ptrIxEEEEPS6_NSA_18transform_iteratorINSB_9not_fun_tINSA_8identityIxEEEESF_NSA_11use_defaultESM_EENS0_5tupleIJSF_S6_EEENSO_IJSG_SG_EEES6_PlJS6_EEE10hipError_tPvRmT3_T4_T5_T6_T7_T9_mT8_P12ihipStream_tbDpT10_ENKUlT_T0_E_clISt17integral_constantIbLb0EES1A_IbLb1EEEEDaS16_S17_EUlS16_E_NS1_11comp_targetILNS1_3genE5ELNS1_11target_archE942ELNS1_3gpuE9ELNS1_3repE0EEENS1_30default_config_static_selectorELNS0_4arch9wavefront6targetE0EEEvT1_ ; -- Begin function _ZN7rocprim17ROCPRIM_400000_NS6detail17trampoline_kernelINS0_14default_configENS1_25partition_config_selectorILNS1_17partition_subalgoE5ExNS0_10empty_typeEbEEZZNS1_14partition_implILS5_5ELb0ES3_mN6thrust23THRUST_200600_302600_NS6detail15normal_iteratorINSA_10device_ptrIxEEEEPS6_NSA_18transform_iteratorINSB_9not_fun_tINSA_8identityIxEEEESF_NSA_11use_defaultESM_EENS0_5tupleIJSF_S6_EEENSO_IJSG_SG_EEES6_PlJS6_EEE10hipError_tPvRmT3_T4_T5_T6_T7_T9_mT8_P12ihipStream_tbDpT10_ENKUlT_T0_E_clISt17integral_constantIbLb0EES1A_IbLb1EEEEDaS16_S17_EUlS16_E_NS1_11comp_targetILNS1_3genE5ELNS1_11target_archE942ELNS1_3gpuE9ELNS1_3repE0EEENS1_30default_config_static_selectorELNS0_4arch9wavefront6targetE0EEEvT1_
	.globl	_ZN7rocprim17ROCPRIM_400000_NS6detail17trampoline_kernelINS0_14default_configENS1_25partition_config_selectorILNS1_17partition_subalgoE5ExNS0_10empty_typeEbEEZZNS1_14partition_implILS5_5ELb0ES3_mN6thrust23THRUST_200600_302600_NS6detail15normal_iteratorINSA_10device_ptrIxEEEEPS6_NSA_18transform_iteratorINSB_9not_fun_tINSA_8identityIxEEEESF_NSA_11use_defaultESM_EENS0_5tupleIJSF_S6_EEENSO_IJSG_SG_EEES6_PlJS6_EEE10hipError_tPvRmT3_T4_T5_T6_T7_T9_mT8_P12ihipStream_tbDpT10_ENKUlT_T0_E_clISt17integral_constantIbLb0EES1A_IbLb1EEEEDaS16_S17_EUlS16_E_NS1_11comp_targetILNS1_3genE5ELNS1_11target_archE942ELNS1_3gpuE9ELNS1_3repE0EEENS1_30default_config_static_selectorELNS0_4arch9wavefront6targetE0EEEvT1_
	.p2align	8
	.type	_ZN7rocprim17ROCPRIM_400000_NS6detail17trampoline_kernelINS0_14default_configENS1_25partition_config_selectorILNS1_17partition_subalgoE5ExNS0_10empty_typeEbEEZZNS1_14partition_implILS5_5ELb0ES3_mN6thrust23THRUST_200600_302600_NS6detail15normal_iteratorINSA_10device_ptrIxEEEEPS6_NSA_18transform_iteratorINSB_9not_fun_tINSA_8identityIxEEEESF_NSA_11use_defaultESM_EENS0_5tupleIJSF_S6_EEENSO_IJSG_SG_EEES6_PlJS6_EEE10hipError_tPvRmT3_T4_T5_T6_T7_T9_mT8_P12ihipStream_tbDpT10_ENKUlT_T0_E_clISt17integral_constantIbLb0EES1A_IbLb1EEEEDaS16_S17_EUlS16_E_NS1_11comp_targetILNS1_3genE5ELNS1_11target_archE942ELNS1_3gpuE9ELNS1_3repE0EEENS1_30default_config_static_selectorELNS0_4arch9wavefront6targetE0EEEvT1_,@function
_ZN7rocprim17ROCPRIM_400000_NS6detail17trampoline_kernelINS0_14default_configENS1_25partition_config_selectorILNS1_17partition_subalgoE5ExNS0_10empty_typeEbEEZZNS1_14partition_implILS5_5ELb0ES3_mN6thrust23THRUST_200600_302600_NS6detail15normal_iteratorINSA_10device_ptrIxEEEEPS6_NSA_18transform_iteratorINSB_9not_fun_tINSA_8identityIxEEEESF_NSA_11use_defaultESM_EENS0_5tupleIJSF_S6_EEENSO_IJSG_SG_EEES6_PlJS6_EEE10hipError_tPvRmT3_T4_T5_T6_T7_T9_mT8_P12ihipStream_tbDpT10_ENKUlT_T0_E_clISt17integral_constantIbLb0EES1A_IbLb1EEEEDaS16_S17_EUlS16_E_NS1_11comp_targetILNS1_3genE5ELNS1_11target_archE942ELNS1_3gpuE9ELNS1_3repE0EEENS1_30default_config_static_selectorELNS0_4arch9wavefront6targetE0EEEvT1_: ; @_ZN7rocprim17ROCPRIM_400000_NS6detail17trampoline_kernelINS0_14default_configENS1_25partition_config_selectorILNS1_17partition_subalgoE5ExNS0_10empty_typeEbEEZZNS1_14partition_implILS5_5ELb0ES3_mN6thrust23THRUST_200600_302600_NS6detail15normal_iteratorINSA_10device_ptrIxEEEEPS6_NSA_18transform_iteratorINSB_9not_fun_tINSA_8identityIxEEEESF_NSA_11use_defaultESM_EENS0_5tupleIJSF_S6_EEENSO_IJSG_SG_EEES6_PlJS6_EEE10hipError_tPvRmT3_T4_T5_T6_T7_T9_mT8_P12ihipStream_tbDpT10_ENKUlT_T0_E_clISt17integral_constantIbLb0EES1A_IbLb1EEEEDaS16_S17_EUlS16_E_NS1_11comp_targetILNS1_3genE5ELNS1_11target_archE942ELNS1_3gpuE9ELNS1_3repE0EEENS1_30default_config_static_selectorELNS0_4arch9wavefront6targetE0EEEvT1_
; %bb.0:
	.section	.rodata,"a",@progbits
	.p2align	6, 0x0
	.amdhsa_kernel _ZN7rocprim17ROCPRIM_400000_NS6detail17trampoline_kernelINS0_14default_configENS1_25partition_config_selectorILNS1_17partition_subalgoE5ExNS0_10empty_typeEbEEZZNS1_14partition_implILS5_5ELb0ES3_mN6thrust23THRUST_200600_302600_NS6detail15normal_iteratorINSA_10device_ptrIxEEEEPS6_NSA_18transform_iteratorINSB_9not_fun_tINSA_8identityIxEEEESF_NSA_11use_defaultESM_EENS0_5tupleIJSF_S6_EEENSO_IJSG_SG_EEES6_PlJS6_EEE10hipError_tPvRmT3_T4_T5_T6_T7_T9_mT8_P12ihipStream_tbDpT10_ENKUlT_T0_E_clISt17integral_constantIbLb0EES1A_IbLb1EEEEDaS16_S17_EUlS16_E_NS1_11comp_targetILNS1_3genE5ELNS1_11target_archE942ELNS1_3gpuE9ELNS1_3repE0EEENS1_30default_config_static_selectorELNS0_4arch9wavefront6targetE0EEEvT1_
		.amdhsa_group_segment_fixed_size 0
		.amdhsa_private_segment_fixed_size 0
		.amdhsa_kernarg_size 136
		.amdhsa_user_sgpr_count 2
		.amdhsa_user_sgpr_dispatch_ptr 0
		.amdhsa_user_sgpr_queue_ptr 0
		.amdhsa_user_sgpr_kernarg_segment_ptr 1
		.amdhsa_user_sgpr_dispatch_id 0
		.amdhsa_user_sgpr_private_segment_size 0
		.amdhsa_wavefront_size32 1
		.amdhsa_uses_dynamic_stack 0
		.amdhsa_enable_private_segment 0
		.amdhsa_system_sgpr_workgroup_id_x 1
		.amdhsa_system_sgpr_workgroup_id_y 0
		.amdhsa_system_sgpr_workgroup_id_z 0
		.amdhsa_system_sgpr_workgroup_info 0
		.amdhsa_system_vgpr_workitem_id 0
		.amdhsa_next_free_vgpr 1
		.amdhsa_next_free_sgpr 1
		.amdhsa_reserve_vcc 0
		.amdhsa_float_round_mode_32 0
		.amdhsa_float_round_mode_16_64 0
		.amdhsa_float_denorm_mode_32 3
		.amdhsa_float_denorm_mode_16_64 3
		.amdhsa_fp16_overflow 0
		.amdhsa_workgroup_processor_mode 1
		.amdhsa_memory_ordered 1
		.amdhsa_forward_progress 1
		.amdhsa_inst_pref_size 0
		.amdhsa_round_robin_scheduling 0
		.amdhsa_exception_fp_ieee_invalid_op 0
		.amdhsa_exception_fp_denorm_src 0
		.amdhsa_exception_fp_ieee_div_zero 0
		.amdhsa_exception_fp_ieee_overflow 0
		.amdhsa_exception_fp_ieee_underflow 0
		.amdhsa_exception_fp_ieee_inexact 0
		.amdhsa_exception_int_div_zero 0
	.end_amdhsa_kernel
	.section	.text._ZN7rocprim17ROCPRIM_400000_NS6detail17trampoline_kernelINS0_14default_configENS1_25partition_config_selectorILNS1_17partition_subalgoE5ExNS0_10empty_typeEbEEZZNS1_14partition_implILS5_5ELb0ES3_mN6thrust23THRUST_200600_302600_NS6detail15normal_iteratorINSA_10device_ptrIxEEEEPS6_NSA_18transform_iteratorINSB_9not_fun_tINSA_8identityIxEEEESF_NSA_11use_defaultESM_EENS0_5tupleIJSF_S6_EEENSO_IJSG_SG_EEES6_PlJS6_EEE10hipError_tPvRmT3_T4_T5_T6_T7_T9_mT8_P12ihipStream_tbDpT10_ENKUlT_T0_E_clISt17integral_constantIbLb0EES1A_IbLb1EEEEDaS16_S17_EUlS16_E_NS1_11comp_targetILNS1_3genE5ELNS1_11target_archE942ELNS1_3gpuE9ELNS1_3repE0EEENS1_30default_config_static_selectorELNS0_4arch9wavefront6targetE0EEEvT1_,"axG",@progbits,_ZN7rocprim17ROCPRIM_400000_NS6detail17trampoline_kernelINS0_14default_configENS1_25partition_config_selectorILNS1_17partition_subalgoE5ExNS0_10empty_typeEbEEZZNS1_14partition_implILS5_5ELb0ES3_mN6thrust23THRUST_200600_302600_NS6detail15normal_iteratorINSA_10device_ptrIxEEEEPS6_NSA_18transform_iteratorINSB_9not_fun_tINSA_8identityIxEEEESF_NSA_11use_defaultESM_EENS0_5tupleIJSF_S6_EEENSO_IJSG_SG_EEES6_PlJS6_EEE10hipError_tPvRmT3_T4_T5_T6_T7_T9_mT8_P12ihipStream_tbDpT10_ENKUlT_T0_E_clISt17integral_constantIbLb0EES1A_IbLb1EEEEDaS16_S17_EUlS16_E_NS1_11comp_targetILNS1_3genE5ELNS1_11target_archE942ELNS1_3gpuE9ELNS1_3repE0EEENS1_30default_config_static_selectorELNS0_4arch9wavefront6targetE0EEEvT1_,comdat
.Lfunc_end974:
	.size	_ZN7rocprim17ROCPRIM_400000_NS6detail17trampoline_kernelINS0_14default_configENS1_25partition_config_selectorILNS1_17partition_subalgoE5ExNS0_10empty_typeEbEEZZNS1_14partition_implILS5_5ELb0ES3_mN6thrust23THRUST_200600_302600_NS6detail15normal_iteratorINSA_10device_ptrIxEEEEPS6_NSA_18transform_iteratorINSB_9not_fun_tINSA_8identityIxEEEESF_NSA_11use_defaultESM_EENS0_5tupleIJSF_S6_EEENSO_IJSG_SG_EEES6_PlJS6_EEE10hipError_tPvRmT3_T4_T5_T6_T7_T9_mT8_P12ihipStream_tbDpT10_ENKUlT_T0_E_clISt17integral_constantIbLb0EES1A_IbLb1EEEEDaS16_S17_EUlS16_E_NS1_11comp_targetILNS1_3genE5ELNS1_11target_archE942ELNS1_3gpuE9ELNS1_3repE0EEENS1_30default_config_static_selectorELNS0_4arch9wavefront6targetE0EEEvT1_, .Lfunc_end974-_ZN7rocprim17ROCPRIM_400000_NS6detail17trampoline_kernelINS0_14default_configENS1_25partition_config_selectorILNS1_17partition_subalgoE5ExNS0_10empty_typeEbEEZZNS1_14partition_implILS5_5ELb0ES3_mN6thrust23THRUST_200600_302600_NS6detail15normal_iteratorINSA_10device_ptrIxEEEEPS6_NSA_18transform_iteratorINSB_9not_fun_tINSA_8identityIxEEEESF_NSA_11use_defaultESM_EENS0_5tupleIJSF_S6_EEENSO_IJSG_SG_EEES6_PlJS6_EEE10hipError_tPvRmT3_T4_T5_T6_T7_T9_mT8_P12ihipStream_tbDpT10_ENKUlT_T0_E_clISt17integral_constantIbLb0EES1A_IbLb1EEEEDaS16_S17_EUlS16_E_NS1_11comp_targetILNS1_3genE5ELNS1_11target_archE942ELNS1_3gpuE9ELNS1_3repE0EEENS1_30default_config_static_selectorELNS0_4arch9wavefront6targetE0EEEvT1_
                                        ; -- End function
	.set _ZN7rocprim17ROCPRIM_400000_NS6detail17trampoline_kernelINS0_14default_configENS1_25partition_config_selectorILNS1_17partition_subalgoE5ExNS0_10empty_typeEbEEZZNS1_14partition_implILS5_5ELb0ES3_mN6thrust23THRUST_200600_302600_NS6detail15normal_iteratorINSA_10device_ptrIxEEEEPS6_NSA_18transform_iteratorINSB_9not_fun_tINSA_8identityIxEEEESF_NSA_11use_defaultESM_EENS0_5tupleIJSF_S6_EEENSO_IJSG_SG_EEES6_PlJS6_EEE10hipError_tPvRmT3_T4_T5_T6_T7_T9_mT8_P12ihipStream_tbDpT10_ENKUlT_T0_E_clISt17integral_constantIbLb0EES1A_IbLb1EEEEDaS16_S17_EUlS16_E_NS1_11comp_targetILNS1_3genE5ELNS1_11target_archE942ELNS1_3gpuE9ELNS1_3repE0EEENS1_30default_config_static_selectorELNS0_4arch9wavefront6targetE0EEEvT1_.num_vgpr, 0
	.set _ZN7rocprim17ROCPRIM_400000_NS6detail17trampoline_kernelINS0_14default_configENS1_25partition_config_selectorILNS1_17partition_subalgoE5ExNS0_10empty_typeEbEEZZNS1_14partition_implILS5_5ELb0ES3_mN6thrust23THRUST_200600_302600_NS6detail15normal_iteratorINSA_10device_ptrIxEEEEPS6_NSA_18transform_iteratorINSB_9not_fun_tINSA_8identityIxEEEESF_NSA_11use_defaultESM_EENS0_5tupleIJSF_S6_EEENSO_IJSG_SG_EEES6_PlJS6_EEE10hipError_tPvRmT3_T4_T5_T6_T7_T9_mT8_P12ihipStream_tbDpT10_ENKUlT_T0_E_clISt17integral_constantIbLb0EES1A_IbLb1EEEEDaS16_S17_EUlS16_E_NS1_11comp_targetILNS1_3genE5ELNS1_11target_archE942ELNS1_3gpuE9ELNS1_3repE0EEENS1_30default_config_static_selectorELNS0_4arch9wavefront6targetE0EEEvT1_.num_agpr, 0
	.set _ZN7rocprim17ROCPRIM_400000_NS6detail17trampoline_kernelINS0_14default_configENS1_25partition_config_selectorILNS1_17partition_subalgoE5ExNS0_10empty_typeEbEEZZNS1_14partition_implILS5_5ELb0ES3_mN6thrust23THRUST_200600_302600_NS6detail15normal_iteratorINSA_10device_ptrIxEEEEPS6_NSA_18transform_iteratorINSB_9not_fun_tINSA_8identityIxEEEESF_NSA_11use_defaultESM_EENS0_5tupleIJSF_S6_EEENSO_IJSG_SG_EEES6_PlJS6_EEE10hipError_tPvRmT3_T4_T5_T6_T7_T9_mT8_P12ihipStream_tbDpT10_ENKUlT_T0_E_clISt17integral_constantIbLb0EES1A_IbLb1EEEEDaS16_S17_EUlS16_E_NS1_11comp_targetILNS1_3genE5ELNS1_11target_archE942ELNS1_3gpuE9ELNS1_3repE0EEENS1_30default_config_static_selectorELNS0_4arch9wavefront6targetE0EEEvT1_.numbered_sgpr, 0
	.set _ZN7rocprim17ROCPRIM_400000_NS6detail17trampoline_kernelINS0_14default_configENS1_25partition_config_selectorILNS1_17partition_subalgoE5ExNS0_10empty_typeEbEEZZNS1_14partition_implILS5_5ELb0ES3_mN6thrust23THRUST_200600_302600_NS6detail15normal_iteratorINSA_10device_ptrIxEEEEPS6_NSA_18transform_iteratorINSB_9not_fun_tINSA_8identityIxEEEESF_NSA_11use_defaultESM_EENS0_5tupleIJSF_S6_EEENSO_IJSG_SG_EEES6_PlJS6_EEE10hipError_tPvRmT3_T4_T5_T6_T7_T9_mT8_P12ihipStream_tbDpT10_ENKUlT_T0_E_clISt17integral_constantIbLb0EES1A_IbLb1EEEEDaS16_S17_EUlS16_E_NS1_11comp_targetILNS1_3genE5ELNS1_11target_archE942ELNS1_3gpuE9ELNS1_3repE0EEENS1_30default_config_static_selectorELNS0_4arch9wavefront6targetE0EEEvT1_.num_named_barrier, 0
	.set _ZN7rocprim17ROCPRIM_400000_NS6detail17trampoline_kernelINS0_14default_configENS1_25partition_config_selectorILNS1_17partition_subalgoE5ExNS0_10empty_typeEbEEZZNS1_14partition_implILS5_5ELb0ES3_mN6thrust23THRUST_200600_302600_NS6detail15normal_iteratorINSA_10device_ptrIxEEEEPS6_NSA_18transform_iteratorINSB_9not_fun_tINSA_8identityIxEEEESF_NSA_11use_defaultESM_EENS0_5tupleIJSF_S6_EEENSO_IJSG_SG_EEES6_PlJS6_EEE10hipError_tPvRmT3_T4_T5_T6_T7_T9_mT8_P12ihipStream_tbDpT10_ENKUlT_T0_E_clISt17integral_constantIbLb0EES1A_IbLb1EEEEDaS16_S17_EUlS16_E_NS1_11comp_targetILNS1_3genE5ELNS1_11target_archE942ELNS1_3gpuE9ELNS1_3repE0EEENS1_30default_config_static_selectorELNS0_4arch9wavefront6targetE0EEEvT1_.private_seg_size, 0
	.set _ZN7rocprim17ROCPRIM_400000_NS6detail17trampoline_kernelINS0_14default_configENS1_25partition_config_selectorILNS1_17partition_subalgoE5ExNS0_10empty_typeEbEEZZNS1_14partition_implILS5_5ELb0ES3_mN6thrust23THRUST_200600_302600_NS6detail15normal_iteratorINSA_10device_ptrIxEEEEPS6_NSA_18transform_iteratorINSB_9not_fun_tINSA_8identityIxEEEESF_NSA_11use_defaultESM_EENS0_5tupleIJSF_S6_EEENSO_IJSG_SG_EEES6_PlJS6_EEE10hipError_tPvRmT3_T4_T5_T6_T7_T9_mT8_P12ihipStream_tbDpT10_ENKUlT_T0_E_clISt17integral_constantIbLb0EES1A_IbLb1EEEEDaS16_S17_EUlS16_E_NS1_11comp_targetILNS1_3genE5ELNS1_11target_archE942ELNS1_3gpuE9ELNS1_3repE0EEENS1_30default_config_static_selectorELNS0_4arch9wavefront6targetE0EEEvT1_.uses_vcc, 0
	.set _ZN7rocprim17ROCPRIM_400000_NS6detail17trampoline_kernelINS0_14default_configENS1_25partition_config_selectorILNS1_17partition_subalgoE5ExNS0_10empty_typeEbEEZZNS1_14partition_implILS5_5ELb0ES3_mN6thrust23THRUST_200600_302600_NS6detail15normal_iteratorINSA_10device_ptrIxEEEEPS6_NSA_18transform_iteratorINSB_9not_fun_tINSA_8identityIxEEEESF_NSA_11use_defaultESM_EENS0_5tupleIJSF_S6_EEENSO_IJSG_SG_EEES6_PlJS6_EEE10hipError_tPvRmT3_T4_T5_T6_T7_T9_mT8_P12ihipStream_tbDpT10_ENKUlT_T0_E_clISt17integral_constantIbLb0EES1A_IbLb1EEEEDaS16_S17_EUlS16_E_NS1_11comp_targetILNS1_3genE5ELNS1_11target_archE942ELNS1_3gpuE9ELNS1_3repE0EEENS1_30default_config_static_selectorELNS0_4arch9wavefront6targetE0EEEvT1_.uses_flat_scratch, 0
	.set _ZN7rocprim17ROCPRIM_400000_NS6detail17trampoline_kernelINS0_14default_configENS1_25partition_config_selectorILNS1_17partition_subalgoE5ExNS0_10empty_typeEbEEZZNS1_14partition_implILS5_5ELb0ES3_mN6thrust23THRUST_200600_302600_NS6detail15normal_iteratorINSA_10device_ptrIxEEEEPS6_NSA_18transform_iteratorINSB_9not_fun_tINSA_8identityIxEEEESF_NSA_11use_defaultESM_EENS0_5tupleIJSF_S6_EEENSO_IJSG_SG_EEES6_PlJS6_EEE10hipError_tPvRmT3_T4_T5_T6_T7_T9_mT8_P12ihipStream_tbDpT10_ENKUlT_T0_E_clISt17integral_constantIbLb0EES1A_IbLb1EEEEDaS16_S17_EUlS16_E_NS1_11comp_targetILNS1_3genE5ELNS1_11target_archE942ELNS1_3gpuE9ELNS1_3repE0EEENS1_30default_config_static_selectorELNS0_4arch9wavefront6targetE0EEEvT1_.has_dyn_sized_stack, 0
	.set _ZN7rocprim17ROCPRIM_400000_NS6detail17trampoline_kernelINS0_14default_configENS1_25partition_config_selectorILNS1_17partition_subalgoE5ExNS0_10empty_typeEbEEZZNS1_14partition_implILS5_5ELb0ES3_mN6thrust23THRUST_200600_302600_NS6detail15normal_iteratorINSA_10device_ptrIxEEEEPS6_NSA_18transform_iteratorINSB_9not_fun_tINSA_8identityIxEEEESF_NSA_11use_defaultESM_EENS0_5tupleIJSF_S6_EEENSO_IJSG_SG_EEES6_PlJS6_EEE10hipError_tPvRmT3_T4_T5_T6_T7_T9_mT8_P12ihipStream_tbDpT10_ENKUlT_T0_E_clISt17integral_constantIbLb0EES1A_IbLb1EEEEDaS16_S17_EUlS16_E_NS1_11comp_targetILNS1_3genE5ELNS1_11target_archE942ELNS1_3gpuE9ELNS1_3repE0EEENS1_30default_config_static_selectorELNS0_4arch9wavefront6targetE0EEEvT1_.has_recursion, 0
	.set _ZN7rocprim17ROCPRIM_400000_NS6detail17trampoline_kernelINS0_14default_configENS1_25partition_config_selectorILNS1_17partition_subalgoE5ExNS0_10empty_typeEbEEZZNS1_14partition_implILS5_5ELb0ES3_mN6thrust23THRUST_200600_302600_NS6detail15normal_iteratorINSA_10device_ptrIxEEEEPS6_NSA_18transform_iteratorINSB_9not_fun_tINSA_8identityIxEEEESF_NSA_11use_defaultESM_EENS0_5tupleIJSF_S6_EEENSO_IJSG_SG_EEES6_PlJS6_EEE10hipError_tPvRmT3_T4_T5_T6_T7_T9_mT8_P12ihipStream_tbDpT10_ENKUlT_T0_E_clISt17integral_constantIbLb0EES1A_IbLb1EEEEDaS16_S17_EUlS16_E_NS1_11comp_targetILNS1_3genE5ELNS1_11target_archE942ELNS1_3gpuE9ELNS1_3repE0EEENS1_30default_config_static_selectorELNS0_4arch9wavefront6targetE0EEEvT1_.has_indirect_call, 0
	.section	.AMDGPU.csdata,"",@progbits
; Kernel info:
; codeLenInByte = 0
; TotalNumSgprs: 0
; NumVgprs: 0
; ScratchSize: 0
; MemoryBound: 0
; FloatMode: 240
; IeeeMode: 1
; LDSByteSize: 0 bytes/workgroup (compile time only)
; SGPRBlocks: 0
; VGPRBlocks: 0
; NumSGPRsForWavesPerEU: 1
; NumVGPRsForWavesPerEU: 1
; Occupancy: 16
; WaveLimiterHint : 0
; COMPUTE_PGM_RSRC2:SCRATCH_EN: 0
; COMPUTE_PGM_RSRC2:USER_SGPR: 2
; COMPUTE_PGM_RSRC2:TRAP_HANDLER: 0
; COMPUTE_PGM_RSRC2:TGID_X_EN: 1
; COMPUTE_PGM_RSRC2:TGID_Y_EN: 0
; COMPUTE_PGM_RSRC2:TGID_Z_EN: 0
; COMPUTE_PGM_RSRC2:TIDIG_COMP_CNT: 0
	.section	.text._ZN7rocprim17ROCPRIM_400000_NS6detail17trampoline_kernelINS0_14default_configENS1_25partition_config_selectorILNS1_17partition_subalgoE5ExNS0_10empty_typeEbEEZZNS1_14partition_implILS5_5ELb0ES3_mN6thrust23THRUST_200600_302600_NS6detail15normal_iteratorINSA_10device_ptrIxEEEEPS6_NSA_18transform_iteratorINSB_9not_fun_tINSA_8identityIxEEEESF_NSA_11use_defaultESM_EENS0_5tupleIJSF_S6_EEENSO_IJSG_SG_EEES6_PlJS6_EEE10hipError_tPvRmT3_T4_T5_T6_T7_T9_mT8_P12ihipStream_tbDpT10_ENKUlT_T0_E_clISt17integral_constantIbLb0EES1A_IbLb1EEEEDaS16_S17_EUlS16_E_NS1_11comp_targetILNS1_3genE4ELNS1_11target_archE910ELNS1_3gpuE8ELNS1_3repE0EEENS1_30default_config_static_selectorELNS0_4arch9wavefront6targetE0EEEvT1_,"axG",@progbits,_ZN7rocprim17ROCPRIM_400000_NS6detail17trampoline_kernelINS0_14default_configENS1_25partition_config_selectorILNS1_17partition_subalgoE5ExNS0_10empty_typeEbEEZZNS1_14partition_implILS5_5ELb0ES3_mN6thrust23THRUST_200600_302600_NS6detail15normal_iteratorINSA_10device_ptrIxEEEEPS6_NSA_18transform_iteratorINSB_9not_fun_tINSA_8identityIxEEEESF_NSA_11use_defaultESM_EENS0_5tupleIJSF_S6_EEENSO_IJSG_SG_EEES6_PlJS6_EEE10hipError_tPvRmT3_T4_T5_T6_T7_T9_mT8_P12ihipStream_tbDpT10_ENKUlT_T0_E_clISt17integral_constantIbLb0EES1A_IbLb1EEEEDaS16_S17_EUlS16_E_NS1_11comp_targetILNS1_3genE4ELNS1_11target_archE910ELNS1_3gpuE8ELNS1_3repE0EEENS1_30default_config_static_selectorELNS0_4arch9wavefront6targetE0EEEvT1_,comdat
	.protected	_ZN7rocprim17ROCPRIM_400000_NS6detail17trampoline_kernelINS0_14default_configENS1_25partition_config_selectorILNS1_17partition_subalgoE5ExNS0_10empty_typeEbEEZZNS1_14partition_implILS5_5ELb0ES3_mN6thrust23THRUST_200600_302600_NS6detail15normal_iteratorINSA_10device_ptrIxEEEEPS6_NSA_18transform_iteratorINSB_9not_fun_tINSA_8identityIxEEEESF_NSA_11use_defaultESM_EENS0_5tupleIJSF_S6_EEENSO_IJSG_SG_EEES6_PlJS6_EEE10hipError_tPvRmT3_T4_T5_T6_T7_T9_mT8_P12ihipStream_tbDpT10_ENKUlT_T0_E_clISt17integral_constantIbLb0EES1A_IbLb1EEEEDaS16_S17_EUlS16_E_NS1_11comp_targetILNS1_3genE4ELNS1_11target_archE910ELNS1_3gpuE8ELNS1_3repE0EEENS1_30default_config_static_selectorELNS0_4arch9wavefront6targetE0EEEvT1_ ; -- Begin function _ZN7rocprim17ROCPRIM_400000_NS6detail17trampoline_kernelINS0_14default_configENS1_25partition_config_selectorILNS1_17partition_subalgoE5ExNS0_10empty_typeEbEEZZNS1_14partition_implILS5_5ELb0ES3_mN6thrust23THRUST_200600_302600_NS6detail15normal_iteratorINSA_10device_ptrIxEEEEPS6_NSA_18transform_iteratorINSB_9not_fun_tINSA_8identityIxEEEESF_NSA_11use_defaultESM_EENS0_5tupleIJSF_S6_EEENSO_IJSG_SG_EEES6_PlJS6_EEE10hipError_tPvRmT3_T4_T5_T6_T7_T9_mT8_P12ihipStream_tbDpT10_ENKUlT_T0_E_clISt17integral_constantIbLb0EES1A_IbLb1EEEEDaS16_S17_EUlS16_E_NS1_11comp_targetILNS1_3genE4ELNS1_11target_archE910ELNS1_3gpuE8ELNS1_3repE0EEENS1_30default_config_static_selectorELNS0_4arch9wavefront6targetE0EEEvT1_
	.globl	_ZN7rocprim17ROCPRIM_400000_NS6detail17trampoline_kernelINS0_14default_configENS1_25partition_config_selectorILNS1_17partition_subalgoE5ExNS0_10empty_typeEbEEZZNS1_14partition_implILS5_5ELb0ES3_mN6thrust23THRUST_200600_302600_NS6detail15normal_iteratorINSA_10device_ptrIxEEEEPS6_NSA_18transform_iteratorINSB_9not_fun_tINSA_8identityIxEEEESF_NSA_11use_defaultESM_EENS0_5tupleIJSF_S6_EEENSO_IJSG_SG_EEES6_PlJS6_EEE10hipError_tPvRmT3_T4_T5_T6_T7_T9_mT8_P12ihipStream_tbDpT10_ENKUlT_T0_E_clISt17integral_constantIbLb0EES1A_IbLb1EEEEDaS16_S17_EUlS16_E_NS1_11comp_targetILNS1_3genE4ELNS1_11target_archE910ELNS1_3gpuE8ELNS1_3repE0EEENS1_30default_config_static_selectorELNS0_4arch9wavefront6targetE0EEEvT1_
	.p2align	8
	.type	_ZN7rocprim17ROCPRIM_400000_NS6detail17trampoline_kernelINS0_14default_configENS1_25partition_config_selectorILNS1_17partition_subalgoE5ExNS0_10empty_typeEbEEZZNS1_14partition_implILS5_5ELb0ES3_mN6thrust23THRUST_200600_302600_NS6detail15normal_iteratorINSA_10device_ptrIxEEEEPS6_NSA_18transform_iteratorINSB_9not_fun_tINSA_8identityIxEEEESF_NSA_11use_defaultESM_EENS0_5tupleIJSF_S6_EEENSO_IJSG_SG_EEES6_PlJS6_EEE10hipError_tPvRmT3_T4_T5_T6_T7_T9_mT8_P12ihipStream_tbDpT10_ENKUlT_T0_E_clISt17integral_constantIbLb0EES1A_IbLb1EEEEDaS16_S17_EUlS16_E_NS1_11comp_targetILNS1_3genE4ELNS1_11target_archE910ELNS1_3gpuE8ELNS1_3repE0EEENS1_30default_config_static_selectorELNS0_4arch9wavefront6targetE0EEEvT1_,@function
_ZN7rocprim17ROCPRIM_400000_NS6detail17trampoline_kernelINS0_14default_configENS1_25partition_config_selectorILNS1_17partition_subalgoE5ExNS0_10empty_typeEbEEZZNS1_14partition_implILS5_5ELb0ES3_mN6thrust23THRUST_200600_302600_NS6detail15normal_iteratorINSA_10device_ptrIxEEEEPS6_NSA_18transform_iteratorINSB_9not_fun_tINSA_8identityIxEEEESF_NSA_11use_defaultESM_EENS0_5tupleIJSF_S6_EEENSO_IJSG_SG_EEES6_PlJS6_EEE10hipError_tPvRmT3_T4_T5_T6_T7_T9_mT8_P12ihipStream_tbDpT10_ENKUlT_T0_E_clISt17integral_constantIbLb0EES1A_IbLb1EEEEDaS16_S17_EUlS16_E_NS1_11comp_targetILNS1_3genE4ELNS1_11target_archE910ELNS1_3gpuE8ELNS1_3repE0EEENS1_30default_config_static_selectorELNS0_4arch9wavefront6targetE0EEEvT1_: ; @_ZN7rocprim17ROCPRIM_400000_NS6detail17trampoline_kernelINS0_14default_configENS1_25partition_config_selectorILNS1_17partition_subalgoE5ExNS0_10empty_typeEbEEZZNS1_14partition_implILS5_5ELb0ES3_mN6thrust23THRUST_200600_302600_NS6detail15normal_iteratorINSA_10device_ptrIxEEEEPS6_NSA_18transform_iteratorINSB_9not_fun_tINSA_8identityIxEEEESF_NSA_11use_defaultESM_EENS0_5tupleIJSF_S6_EEENSO_IJSG_SG_EEES6_PlJS6_EEE10hipError_tPvRmT3_T4_T5_T6_T7_T9_mT8_P12ihipStream_tbDpT10_ENKUlT_T0_E_clISt17integral_constantIbLb0EES1A_IbLb1EEEEDaS16_S17_EUlS16_E_NS1_11comp_targetILNS1_3genE4ELNS1_11target_archE910ELNS1_3gpuE8ELNS1_3repE0EEENS1_30default_config_static_selectorELNS0_4arch9wavefront6targetE0EEEvT1_
; %bb.0:
	.section	.rodata,"a",@progbits
	.p2align	6, 0x0
	.amdhsa_kernel _ZN7rocprim17ROCPRIM_400000_NS6detail17trampoline_kernelINS0_14default_configENS1_25partition_config_selectorILNS1_17partition_subalgoE5ExNS0_10empty_typeEbEEZZNS1_14partition_implILS5_5ELb0ES3_mN6thrust23THRUST_200600_302600_NS6detail15normal_iteratorINSA_10device_ptrIxEEEEPS6_NSA_18transform_iteratorINSB_9not_fun_tINSA_8identityIxEEEESF_NSA_11use_defaultESM_EENS0_5tupleIJSF_S6_EEENSO_IJSG_SG_EEES6_PlJS6_EEE10hipError_tPvRmT3_T4_T5_T6_T7_T9_mT8_P12ihipStream_tbDpT10_ENKUlT_T0_E_clISt17integral_constantIbLb0EES1A_IbLb1EEEEDaS16_S17_EUlS16_E_NS1_11comp_targetILNS1_3genE4ELNS1_11target_archE910ELNS1_3gpuE8ELNS1_3repE0EEENS1_30default_config_static_selectorELNS0_4arch9wavefront6targetE0EEEvT1_
		.amdhsa_group_segment_fixed_size 0
		.amdhsa_private_segment_fixed_size 0
		.amdhsa_kernarg_size 136
		.amdhsa_user_sgpr_count 2
		.amdhsa_user_sgpr_dispatch_ptr 0
		.amdhsa_user_sgpr_queue_ptr 0
		.amdhsa_user_sgpr_kernarg_segment_ptr 1
		.amdhsa_user_sgpr_dispatch_id 0
		.amdhsa_user_sgpr_private_segment_size 0
		.amdhsa_wavefront_size32 1
		.amdhsa_uses_dynamic_stack 0
		.amdhsa_enable_private_segment 0
		.amdhsa_system_sgpr_workgroup_id_x 1
		.amdhsa_system_sgpr_workgroup_id_y 0
		.amdhsa_system_sgpr_workgroup_id_z 0
		.amdhsa_system_sgpr_workgroup_info 0
		.amdhsa_system_vgpr_workitem_id 0
		.amdhsa_next_free_vgpr 1
		.amdhsa_next_free_sgpr 1
		.amdhsa_reserve_vcc 0
		.amdhsa_float_round_mode_32 0
		.amdhsa_float_round_mode_16_64 0
		.amdhsa_float_denorm_mode_32 3
		.amdhsa_float_denorm_mode_16_64 3
		.amdhsa_fp16_overflow 0
		.amdhsa_workgroup_processor_mode 1
		.amdhsa_memory_ordered 1
		.amdhsa_forward_progress 1
		.amdhsa_inst_pref_size 0
		.amdhsa_round_robin_scheduling 0
		.amdhsa_exception_fp_ieee_invalid_op 0
		.amdhsa_exception_fp_denorm_src 0
		.amdhsa_exception_fp_ieee_div_zero 0
		.amdhsa_exception_fp_ieee_overflow 0
		.amdhsa_exception_fp_ieee_underflow 0
		.amdhsa_exception_fp_ieee_inexact 0
		.amdhsa_exception_int_div_zero 0
	.end_amdhsa_kernel
	.section	.text._ZN7rocprim17ROCPRIM_400000_NS6detail17trampoline_kernelINS0_14default_configENS1_25partition_config_selectorILNS1_17partition_subalgoE5ExNS0_10empty_typeEbEEZZNS1_14partition_implILS5_5ELb0ES3_mN6thrust23THRUST_200600_302600_NS6detail15normal_iteratorINSA_10device_ptrIxEEEEPS6_NSA_18transform_iteratorINSB_9not_fun_tINSA_8identityIxEEEESF_NSA_11use_defaultESM_EENS0_5tupleIJSF_S6_EEENSO_IJSG_SG_EEES6_PlJS6_EEE10hipError_tPvRmT3_T4_T5_T6_T7_T9_mT8_P12ihipStream_tbDpT10_ENKUlT_T0_E_clISt17integral_constantIbLb0EES1A_IbLb1EEEEDaS16_S17_EUlS16_E_NS1_11comp_targetILNS1_3genE4ELNS1_11target_archE910ELNS1_3gpuE8ELNS1_3repE0EEENS1_30default_config_static_selectorELNS0_4arch9wavefront6targetE0EEEvT1_,"axG",@progbits,_ZN7rocprim17ROCPRIM_400000_NS6detail17trampoline_kernelINS0_14default_configENS1_25partition_config_selectorILNS1_17partition_subalgoE5ExNS0_10empty_typeEbEEZZNS1_14partition_implILS5_5ELb0ES3_mN6thrust23THRUST_200600_302600_NS6detail15normal_iteratorINSA_10device_ptrIxEEEEPS6_NSA_18transform_iteratorINSB_9not_fun_tINSA_8identityIxEEEESF_NSA_11use_defaultESM_EENS0_5tupleIJSF_S6_EEENSO_IJSG_SG_EEES6_PlJS6_EEE10hipError_tPvRmT3_T4_T5_T6_T7_T9_mT8_P12ihipStream_tbDpT10_ENKUlT_T0_E_clISt17integral_constantIbLb0EES1A_IbLb1EEEEDaS16_S17_EUlS16_E_NS1_11comp_targetILNS1_3genE4ELNS1_11target_archE910ELNS1_3gpuE8ELNS1_3repE0EEENS1_30default_config_static_selectorELNS0_4arch9wavefront6targetE0EEEvT1_,comdat
.Lfunc_end975:
	.size	_ZN7rocprim17ROCPRIM_400000_NS6detail17trampoline_kernelINS0_14default_configENS1_25partition_config_selectorILNS1_17partition_subalgoE5ExNS0_10empty_typeEbEEZZNS1_14partition_implILS5_5ELb0ES3_mN6thrust23THRUST_200600_302600_NS6detail15normal_iteratorINSA_10device_ptrIxEEEEPS6_NSA_18transform_iteratorINSB_9not_fun_tINSA_8identityIxEEEESF_NSA_11use_defaultESM_EENS0_5tupleIJSF_S6_EEENSO_IJSG_SG_EEES6_PlJS6_EEE10hipError_tPvRmT3_T4_T5_T6_T7_T9_mT8_P12ihipStream_tbDpT10_ENKUlT_T0_E_clISt17integral_constantIbLb0EES1A_IbLb1EEEEDaS16_S17_EUlS16_E_NS1_11comp_targetILNS1_3genE4ELNS1_11target_archE910ELNS1_3gpuE8ELNS1_3repE0EEENS1_30default_config_static_selectorELNS0_4arch9wavefront6targetE0EEEvT1_, .Lfunc_end975-_ZN7rocprim17ROCPRIM_400000_NS6detail17trampoline_kernelINS0_14default_configENS1_25partition_config_selectorILNS1_17partition_subalgoE5ExNS0_10empty_typeEbEEZZNS1_14partition_implILS5_5ELb0ES3_mN6thrust23THRUST_200600_302600_NS6detail15normal_iteratorINSA_10device_ptrIxEEEEPS6_NSA_18transform_iteratorINSB_9not_fun_tINSA_8identityIxEEEESF_NSA_11use_defaultESM_EENS0_5tupleIJSF_S6_EEENSO_IJSG_SG_EEES6_PlJS6_EEE10hipError_tPvRmT3_T4_T5_T6_T7_T9_mT8_P12ihipStream_tbDpT10_ENKUlT_T0_E_clISt17integral_constantIbLb0EES1A_IbLb1EEEEDaS16_S17_EUlS16_E_NS1_11comp_targetILNS1_3genE4ELNS1_11target_archE910ELNS1_3gpuE8ELNS1_3repE0EEENS1_30default_config_static_selectorELNS0_4arch9wavefront6targetE0EEEvT1_
                                        ; -- End function
	.set _ZN7rocprim17ROCPRIM_400000_NS6detail17trampoline_kernelINS0_14default_configENS1_25partition_config_selectorILNS1_17partition_subalgoE5ExNS0_10empty_typeEbEEZZNS1_14partition_implILS5_5ELb0ES3_mN6thrust23THRUST_200600_302600_NS6detail15normal_iteratorINSA_10device_ptrIxEEEEPS6_NSA_18transform_iteratorINSB_9not_fun_tINSA_8identityIxEEEESF_NSA_11use_defaultESM_EENS0_5tupleIJSF_S6_EEENSO_IJSG_SG_EEES6_PlJS6_EEE10hipError_tPvRmT3_T4_T5_T6_T7_T9_mT8_P12ihipStream_tbDpT10_ENKUlT_T0_E_clISt17integral_constantIbLb0EES1A_IbLb1EEEEDaS16_S17_EUlS16_E_NS1_11comp_targetILNS1_3genE4ELNS1_11target_archE910ELNS1_3gpuE8ELNS1_3repE0EEENS1_30default_config_static_selectorELNS0_4arch9wavefront6targetE0EEEvT1_.num_vgpr, 0
	.set _ZN7rocprim17ROCPRIM_400000_NS6detail17trampoline_kernelINS0_14default_configENS1_25partition_config_selectorILNS1_17partition_subalgoE5ExNS0_10empty_typeEbEEZZNS1_14partition_implILS5_5ELb0ES3_mN6thrust23THRUST_200600_302600_NS6detail15normal_iteratorINSA_10device_ptrIxEEEEPS6_NSA_18transform_iteratorINSB_9not_fun_tINSA_8identityIxEEEESF_NSA_11use_defaultESM_EENS0_5tupleIJSF_S6_EEENSO_IJSG_SG_EEES6_PlJS6_EEE10hipError_tPvRmT3_T4_T5_T6_T7_T9_mT8_P12ihipStream_tbDpT10_ENKUlT_T0_E_clISt17integral_constantIbLb0EES1A_IbLb1EEEEDaS16_S17_EUlS16_E_NS1_11comp_targetILNS1_3genE4ELNS1_11target_archE910ELNS1_3gpuE8ELNS1_3repE0EEENS1_30default_config_static_selectorELNS0_4arch9wavefront6targetE0EEEvT1_.num_agpr, 0
	.set _ZN7rocprim17ROCPRIM_400000_NS6detail17trampoline_kernelINS0_14default_configENS1_25partition_config_selectorILNS1_17partition_subalgoE5ExNS0_10empty_typeEbEEZZNS1_14partition_implILS5_5ELb0ES3_mN6thrust23THRUST_200600_302600_NS6detail15normal_iteratorINSA_10device_ptrIxEEEEPS6_NSA_18transform_iteratorINSB_9not_fun_tINSA_8identityIxEEEESF_NSA_11use_defaultESM_EENS0_5tupleIJSF_S6_EEENSO_IJSG_SG_EEES6_PlJS6_EEE10hipError_tPvRmT3_T4_T5_T6_T7_T9_mT8_P12ihipStream_tbDpT10_ENKUlT_T0_E_clISt17integral_constantIbLb0EES1A_IbLb1EEEEDaS16_S17_EUlS16_E_NS1_11comp_targetILNS1_3genE4ELNS1_11target_archE910ELNS1_3gpuE8ELNS1_3repE0EEENS1_30default_config_static_selectorELNS0_4arch9wavefront6targetE0EEEvT1_.numbered_sgpr, 0
	.set _ZN7rocprim17ROCPRIM_400000_NS6detail17trampoline_kernelINS0_14default_configENS1_25partition_config_selectorILNS1_17partition_subalgoE5ExNS0_10empty_typeEbEEZZNS1_14partition_implILS5_5ELb0ES3_mN6thrust23THRUST_200600_302600_NS6detail15normal_iteratorINSA_10device_ptrIxEEEEPS6_NSA_18transform_iteratorINSB_9not_fun_tINSA_8identityIxEEEESF_NSA_11use_defaultESM_EENS0_5tupleIJSF_S6_EEENSO_IJSG_SG_EEES6_PlJS6_EEE10hipError_tPvRmT3_T4_T5_T6_T7_T9_mT8_P12ihipStream_tbDpT10_ENKUlT_T0_E_clISt17integral_constantIbLb0EES1A_IbLb1EEEEDaS16_S17_EUlS16_E_NS1_11comp_targetILNS1_3genE4ELNS1_11target_archE910ELNS1_3gpuE8ELNS1_3repE0EEENS1_30default_config_static_selectorELNS0_4arch9wavefront6targetE0EEEvT1_.num_named_barrier, 0
	.set _ZN7rocprim17ROCPRIM_400000_NS6detail17trampoline_kernelINS0_14default_configENS1_25partition_config_selectorILNS1_17partition_subalgoE5ExNS0_10empty_typeEbEEZZNS1_14partition_implILS5_5ELb0ES3_mN6thrust23THRUST_200600_302600_NS6detail15normal_iteratorINSA_10device_ptrIxEEEEPS6_NSA_18transform_iteratorINSB_9not_fun_tINSA_8identityIxEEEESF_NSA_11use_defaultESM_EENS0_5tupleIJSF_S6_EEENSO_IJSG_SG_EEES6_PlJS6_EEE10hipError_tPvRmT3_T4_T5_T6_T7_T9_mT8_P12ihipStream_tbDpT10_ENKUlT_T0_E_clISt17integral_constantIbLb0EES1A_IbLb1EEEEDaS16_S17_EUlS16_E_NS1_11comp_targetILNS1_3genE4ELNS1_11target_archE910ELNS1_3gpuE8ELNS1_3repE0EEENS1_30default_config_static_selectorELNS0_4arch9wavefront6targetE0EEEvT1_.private_seg_size, 0
	.set _ZN7rocprim17ROCPRIM_400000_NS6detail17trampoline_kernelINS0_14default_configENS1_25partition_config_selectorILNS1_17partition_subalgoE5ExNS0_10empty_typeEbEEZZNS1_14partition_implILS5_5ELb0ES3_mN6thrust23THRUST_200600_302600_NS6detail15normal_iteratorINSA_10device_ptrIxEEEEPS6_NSA_18transform_iteratorINSB_9not_fun_tINSA_8identityIxEEEESF_NSA_11use_defaultESM_EENS0_5tupleIJSF_S6_EEENSO_IJSG_SG_EEES6_PlJS6_EEE10hipError_tPvRmT3_T4_T5_T6_T7_T9_mT8_P12ihipStream_tbDpT10_ENKUlT_T0_E_clISt17integral_constantIbLb0EES1A_IbLb1EEEEDaS16_S17_EUlS16_E_NS1_11comp_targetILNS1_3genE4ELNS1_11target_archE910ELNS1_3gpuE8ELNS1_3repE0EEENS1_30default_config_static_selectorELNS0_4arch9wavefront6targetE0EEEvT1_.uses_vcc, 0
	.set _ZN7rocprim17ROCPRIM_400000_NS6detail17trampoline_kernelINS0_14default_configENS1_25partition_config_selectorILNS1_17partition_subalgoE5ExNS0_10empty_typeEbEEZZNS1_14partition_implILS5_5ELb0ES3_mN6thrust23THRUST_200600_302600_NS6detail15normal_iteratorINSA_10device_ptrIxEEEEPS6_NSA_18transform_iteratorINSB_9not_fun_tINSA_8identityIxEEEESF_NSA_11use_defaultESM_EENS0_5tupleIJSF_S6_EEENSO_IJSG_SG_EEES6_PlJS6_EEE10hipError_tPvRmT3_T4_T5_T6_T7_T9_mT8_P12ihipStream_tbDpT10_ENKUlT_T0_E_clISt17integral_constantIbLb0EES1A_IbLb1EEEEDaS16_S17_EUlS16_E_NS1_11comp_targetILNS1_3genE4ELNS1_11target_archE910ELNS1_3gpuE8ELNS1_3repE0EEENS1_30default_config_static_selectorELNS0_4arch9wavefront6targetE0EEEvT1_.uses_flat_scratch, 0
	.set _ZN7rocprim17ROCPRIM_400000_NS6detail17trampoline_kernelINS0_14default_configENS1_25partition_config_selectorILNS1_17partition_subalgoE5ExNS0_10empty_typeEbEEZZNS1_14partition_implILS5_5ELb0ES3_mN6thrust23THRUST_200600_302600_NS6detail15normal_iteratorINSA_10device_ptrIxEEEEPS6_NSA_18transform_iteratorINSB_9not_fun_tINSA_8identityIxEEEESF_NSA_11use_defaultESM_EENS0_5tupleIJSF_S6_EEENSO_IJSG_SG_EEES6_PlJS6_EEE10hipError_tPvRmT3_T4_T5_T6_T7_T9_mT8_P12ihipStream_tbDpT10_ENKUlT_T0_E_clISt17integral_constantIbLb0EES1A_IbLb1EEEEDaS16_S17_EUlS16_E_NS1_11comp_targetILNS1_3genE4ELNS1_11target_archE910ELNS1_3gpuE8ELNS1_3repE0EEENS1_30default_config_static_selectorELNS0_4arch9wavefront6targetE0EEEvT1_.has_dyn_sized_stack, 0
	.set _ZN7rocprim17ROCPRIM_400000_NS6detail17trampoline_kernelINS0_14default_configENS1_25partition_config_selectorILNS1_17partition_subalgoE5ExNS0_10empty_typeEbEEZZNS1_14partition_implILS5_5ELb0ES3_mN6thrust23THRUST_200600_302600_NS6detail15normal_iteratorINSA_10device_ptrIxEEEEPS6_NSA_18transform_iteratorINSB_9not_fun_tINSA_8identityIxEEEESF_NSA_11use_defaultESM_EENS0_5tupleIJSF_S6_EEENSO_IJSG_SG_EEES6_PlJS6_EEE10hipError_tPvRmT3_T4_T5_T6_T7_T9_mT8_P12ihipStream_tbDpT10_ENKUlT_T0_E_clISt17integral_constantIbLb0EES1A_IbLb1EEEEDaS16_S17_EUlS16_E_NS1_11comp_targetILNS1_3genE4ELNS1_11target_archE910ELNS1_3gpuE8ELNS1_3repE0EEENS1_30default_config_static_selectorELNS0_4arch9wavefront6targetE0EEEvT1_.has_recursion, 0
	.set _ZN7rocprim17ROCPRIM_400000_NS6detail17trampoline_kernelINS0_14default_configENS1_25partition_config_selectorILNS1_17partition_subalgoE5ExNS0_10empty_typeEbEEZZNS1_14partition_implILS5_5ELb0ES3_mN6thrust23THRUST_200600_302600_NS6detail15normal_iteratorINSA_10device_ptrIxEEEEPS6_NSA_18transform_iteratorINSB_9not_fun_tINSA_8identityIxEEEESF_NSA_11use_defaultESM_EENS0_5tupleIJSF_S6_EEENSO_IJSG_SG_EEES6_PlJS6_EEE10hipError_tPvRmT3_T4_T5_T6_T7_T9_mT8_P12ihipStream_tbDpT10_ENKUlT_T0_E_clISt17integral_constantIbLb0EES1A_IbLb1EEEEDaS16_S17_EUlS16_E_NS1_11comp_targetILNS1_3genE4ELNS1_11target_archE910ELNS1_3gpuE8ELNS1_3repE0EEENS1_30default_config_static_selectorELNS0_4arch9wavefront6targetE0EEEvT1_.has_indirect_call, 0
	.section	.AMDGPU.csdata,"",@progbits
; Kernel info:
; codeLenInByte = 0
; TotalNumSgprs: 0
; NumVgprs: 0
; ScratchSize: 0
; MemoryBound: 0
; FloatMode: 240
; IeeeMode: 1
; LDSByteSize: 0 bytes/workgroup (compile time only)
; SGPRBlocks: 0
; VGPRBlocks: 0
; NumSGPRsForWavesPerEU: 1
; NumVGPRsForWavesPerEU: 1
; Occupancy: 16
; WaveLimiterHint : 0
; COMPUTE_PGM_RSRC2:SCRATCH_EN: 0
; COMPUTE_PGM_RSRC2:USER_SGPR: 2
; COMPUTE_PGM_RSRC2:TRAP_HANDLER: 0
; COMPUTE_PGM_RSRC2:TGID_X_EN: 1
; COMPUTE_PGM_RSRC2:TGID_Y_EN: 0
; COMPUTE_PGM_RSRC2:TGID_Z_EN: 0
; COMPUTE_PGM_RSRC2:TIDIG_COMP_CNT: 0
	.section	.text._ZN7rocprim17ROCPRIM_400000_NS6detail17trampoline_kernelINS0_14default_configENS1_25partition_config_selectorILNS1_17partition_subalgoE5ExNS0_10empty_typeEbEEZZNS1_14partition_implILS5_5ELb0ES3_mN6thrust23THRUST_200600_302600_NS6detail15normal_iteratorINSA_10device_ptrIxEEEEPS6_NSA_18transform_iteratorINSB_9not_fun_tINSA_8identityIxEEEESF_NSA_11use_defaultESM_EENS0_5tupleIJSF_S6_EEENSO_IJSG_SG_EEES6_PlJS6_EEE10hipError_tPvRmT3_T4_T5_T6_T7_T9_mT8_P12ihipStream_tbDpT10_ENKUlT_T0_E_clISt17integral_constantIbLb0EES1A_IbLb1EEEEDaS16_S17_EUlS16_E_NS1_11comp_targetILNS1_3genE3ELNS1_11target_archE908ELNS1_3gpuE7ELNS1_3repE0EEENS1_30default_config_static_selectorELNS0_4arch9wavefront6targetE0EEEvT1_,"axG",@progbits,_ZN7rocprim17ROCPRIM_400000_NS6detail17trampoline_kernelINS0_14default_configENS1_25partition_config_selectorILNS1_17partition_subalgoE5ExNS0_10empty_typeEbEEZZNS1_14partition_implILS5_5ELb0ES3_mN6thrust23THRUST_200600_302600_NS6detail15normal_iteratorINSA_10device_ptrIxEEEEPS6_NSA_18transform_iteratorINSB_9not_fun_tINSA_8identityIxEEEESF_NSA_11use_defaultESM_EENS0_5tupleIJSF_S6_EEENSO_IJSG_SG_EEES6_PlJS6_EEE10hipError_tPvRmT3_T4_T5_T6_T7_T9_mT8_P12ihipStream_tbDpT10_ENKUlT_T0_E_clISt17integral_constantIbLb0EES1A_IbLb1EEEEDaS16_S17_EUlS16_E_NS1_11comp_targetILNS1_3genE3ELNS1_11target_archE908ELNS1_3gpuE7ELNS1_3repE0EEENS1_30default_config_static_selectorELNS0_4arch9wavefront6targetE0EEEvT1_,comdat
	.protected	_ZN7rocprim17ROCPRIM_400000_NS6detail17trampoline_kernelINS0_14default_configENS1_25partition_config_selectorILNS1_17partition_subalgoE5ExNS0_10empty_typeEbEEZZNS1_14partition_implILS5_5ELb0ES3_mN6thrust23THRUST_200600_302600_NS6detail15normal_iteratorINSA_10device_ptrIxEEEEPS6_NSA_18transform_iteratorINSB_9not_fun_tINSA_8identityIxEEEESF_NSA_11use_defaultESM_EENS0_5tupleIJSF_S6_EEENSO_IJSG_SG_EEES6_PlJS6_EEE10hipError_tPvRmT3_T4_T5_T6_T7_T9_mT8_P12ihipStream_tbDpT10_ENKUlT_T0_E_clISt17integral_constantIbLb0EES1A_IbLb1EEEEDaS16_S17_EUlS16_E_NS1_11comp_targetILNS1_3genE3ELNS1_11target_archE908ELNS1_3gpuE7ELNS1_3repE0EEENS1_30default_config_static_selectorELNS0_4arch9wavefront6targetE0EEEvT1_ ; -- Begin function _ZN7rocprim17ROCPRIM_400000_NS6detail17trampoline_kernelINS0_14default_configENS1_25partition_config_selectorILNS1_17partition_subalgoE5ExNS0_10empty_typeEbEEZZNS1_14partition_implILS5_5ELb0ES3_mN6thrust23THRUST_200600_302600_NS6detail15normal_iteratorINSA_10device_ptrIxEEEEPS6_NSA_18transform_iteratorINSB_9not_fun_tINSA_8identityIxEEEESF_NSA_11use_defaultESM_EENS0_5tupleIJSF_S6_EEENSO_IJSG_SG_EEES6_PlJS6_EEE10hipError_tPvRmT3_T4_T5_T6_T7_T9_mT8_P12ihipStream_tbDpT10_ENKUlT_T0_E_clISt17integral_constantIbLb0EES1A_IbLb1EEEEDaS16_S17_EUlS16_E_NS1_11comp_targetILNS1_3genE3ELNS1_11target_archE908ELNS1_3gpuE7ELNS1_3repE0EEENS1_30default_config_static_selectorELNS0_4arch9wavefront6targetE0EEEvT1_
	.globl	_ZN7rocprim17ROCPRIM_400000_NS6detail17trampoline_kernelINS0_14default_configENS1_25partition_config_selectorILNS1_17partition_subalgoE5ExNS0_10empty_typeEbEEZZNS1_14partition_implILS5_5ELb0ES3_mN6thrust23THRUST_200600_302600_NS6detail15normal_iteratorINSA_10device_ptrIxEEEEPS6_NSA_18transform_iteratorINSB_9not_fun_tINSA_8identityIxEEEESF_NSA_11use_defaultESM_EENS0_5tupleIJSF_S6_EEENSO_IJSG_SG_EEES6_PlJS6_EEE10hipError_tPvRmT3_T4_T5_T6_T7_T9_mT8_P12ihipStream_tbDpT10_ENKUlT_T0_E_clISt17integral_constantIbLb0EES1A_IbLb1EEEEDaS16_S17_EUlS16_E_NS1_11comp_targetILNS1_3genE3ELNS1_11target_archE908ELNS1_3gpuE7ELNS1_3repE0EEENS1_30default_config_static_selectorELNS0_4arch9wavefront6targetE0EEEvT1_
	.p2align	8
	.type	_ZN7rocprim17ROCPRIM_400000_NS6detail17trampoline_kernelINS0_14default_configENS1_25partition_config_selectorILNS1_17partition_subalgoE5ExNS0_10empty_typeEbEEZZNS1_14partition_implILS5_5ELb0ES3_mN6thrust23THRUST_200600_302600_NS6detail15normal_iteratorINSA_10device_ptrIxEEEEPS6_NSA_18transform_iteratorINSB_9not_fun_tINSA_8identityIxEEEESF_NSA_11use_defaultESM_EENS0_5tupleIJSF_S6_EEENSO_IJSG_SG_EEES6_PlJS6_EEE10hipError_tPvRmT3_T4_T5_T6_T7_T9_mT8_P12ihipStream_tbDpT10_ENKUlT_T0_E_clISt17integral_constantIbLb0EES1A_IbLb1EEEEDaS16_S17_EUlS16_E_NS1_11comp_targetILNS1_3genE3ELNS1_11target_archE908ELNS1_3gpuE7ELNS1_3repE0EEENS1_30default_config_static_selectorELNS0_4arch9wavefront6targetE0EEEvT1_,@function
_ZN7rocprim17ROCPRIM_400000_NS6detail17trampoline_kernelINS0_14default_configENS1_25partition_config_selectorILNS1_17partition_subalgoE5ExNS0_10empty_typeEbEEZZNS1_14partition_implILS5_5ELb0ES3_mN6thrust23THRUST_200600_302600_NS6detail15normal_iteratorINSA_10device_ptrIxEEEEPS6_NSA_18transform_iteratorINSB_9not_fun_tINSA_8identityIxEEEESF_NSA_11use_defaultESM_EENS0_5tupleIJSF_S6_EEENSO_IJSG_SG_EEES6_PlJS6_EEE10hipError_tPvRmT3_T4_T5_T6_T7_T9_mT8_P12ihipStream_tbDpT10_ENKUlT_T0_E_clISt17integral_constantIbLb0EES1A_IbLb1EEEEDaS16_S17_EUlS16_E_NS1_11comp_targetILNS1_3genE3ELNS1_11target_archE908ELNS1_3gpuE7ELNS1_3repE0EEENS1_30default_config_static_selectorELNS0_4arch9wavefront6targetE0EEEvT1_: ; @_ZN7rocprim17ROCPRIM_400000_NS6detail17trampoline_kernelINS0_14default_configENS1_25partition_config_selectorILNS1_17partition_subalgoE5ExNS0_10empty_typeEbEEZZNS1_14partition_implILS5_5ELb0ES3_mN6thrust23THRUST_200600_302600_NS6detail15normal_iteratorINSA_10device_ptrIxEEEEPS6_NSA_18transform_iteratorINSB_9not_fun_tINSA_8identityIxEEEESF_NSA_11use_defaultESM_EENS0_5tupleIJSF_S6_EEENSO_IJSG_SG_EEES6_PlJS6_EEE10hipError_tPvRmT3_T4_T5_T6_T7_T9_mT8_P12ihipStream_tbDpT10_ENKUlT_T0_E_clISt17integral_constantIbLb0EES1A_IbLb1EEEEDaS16_S17_EUlS16_E_NS1_11comp_targetILNS1_3genE3ELNS1_11target_archE908ELNS1_3gpuE7ELNS1_3repE0EEENS1_30default_config_static_selectorELNS0_4arch9wavefront6targetE0EEEvT1_
; %bb.0:
	.section	.rodata,"a",@progbits
	.p2align	6, 0x0
	.amdhsa_kernel _ZN7rocprim17ROCPRIM_400000_NS6detail17trampoline_kernelINS0_14default_configENS1_25partition_config_selectorILNS1_17partition_subalgoE5ExNS0_10empty_typeEbEEZZNS1_14partition_implILS5_5ELb0ES3_mN6thrust23THRUST_200600_302600_NS6detail15normal_iteratorINSA_10device_ptrIxEEEEPS6_NSA_18transform_iteratorINSB_9not_fun_tINSA_8identityIxEEEESF_NSA_11use_defaultESM_EENS0_5tupleIJSF_S6_EEENSO_IJSG_SG_EEES6_PlJS6_EEE10hipError_tPvRmT3_T4_T5_T6_T7_T9_mT8_P12ihipStream_tbDpT10_ENKUlT_T0_E_clISt17integral_constantIbLb0EES1A_IbLb1EEEEDaS16_S17_EUlS16_E_NS1_11comp_targetILNS1_3genE3ELNS1_11target_archE908ELNS1_3gpuE7ELNS1_3repE0EEENS1_30default_config_static_selectorELNS0_4arch9wavefront6targetE0EEEvT1_
		.amdhsa_group_segment_fixed_size 0
		.amdhsa_private_segment_fixed_size 0
		.amdhsa_kernarg_size 136
		.amdhsa_user_sgpr_count 2
		.amdhsa_user_sgpr_dispatch_ptr 0
		.amdhsa_user_sgpr_queue_ptr 0
		.amdhsa_user_sgpr_kernarg_segment_ptr 1
		.amdhsa_user_sgpr_dispatch_id 0
		.amdhsa_user_sgpr_private_segment_size 0
		.amdhsa_wavefront_size32 1
		.amdhsa_uses_dynamic_stack 0
		.amdhsa_enable_private_segment 0
		.amdhsa_system_sgpr_workgroup_id_x 1
		.amdhsa_system_sgpr_workgroup_id_y 0
		.amdhsa_system_sgpr_workgroup_id_z 0
		.amdhsa_system_sgpr_workgroup_info 0
		.amdhsa_system_vgpr_workitem_id 0
		.amdhsa_next_free_vgpr 1
		.amdhsa_next_free_sgpr 1
		.amdhsa_reserve_vcc 0
		.amdhsa_float_round_mode_32 0
		.amdhsa_float_round_mode_16_64 0
		.amdhsa_float_denorm_mode_32 3
		.amdhsa_float_denorm_mode_16_64 3
		.amdhsa_fp16_overflow 0
		.amdhsa_workgroup_processor_mode 1
		.amdhsa_memory_ordered 1
		.amdhsa_forward_progress 1
		.amdhsa_inst_pref_size 0
		.amdhsa_round_robin_scheduling 0
		.amdhsa_exception_fp_ieee_invalid_op 0
		.amdhsa_exception_fp_denorm_src 0
		.amdhsa_exception_fp_ieee_div_zero 0
		.amdhsa_exception_fp_ieee_overflow 0
		.amdhsa_exception_fp_ieee_underflow 0
		.amdhsa_exception_fp_ieee_inexact 0
		.amdhsa_exception_int_div_zero 0
	.end_amdhsa_kernel
	.section	.text._ZN7rocprim17ROCPRIM_400000_NS6detail17trampoline_kernelINS0_14default_configENS1_25partition_config_selectorILNS1_17partition_subalgoE5ExNS0_10empty_typeEbEEZZNS1_14partition_implILS5_5ELb0ES3_mN6thrust23THRUST_200600_302600_NS6detail15normal_iteratorINSA_10device_ptrIxEEEEPS6_NSA_18transform_iteratorINSB_9not_fun_tINSA_8identityIxEEEESF_NSA_11use_defaultESM_EENS0_5tupleIJSF_S6_EEENSO_IJSG_SG_EEES6_PlJS6_EEE10hipError_tPvRmT3_T4_T5_T6_T7_T9_mT8_P12ihipStream_tbDpT10_ENKUlT_T0_E_clISt17integral_constantIbLb0EES1A_IbLb1EEEEDaS16_S17_EUlS16_E_NS1_11comp_targetILNS1_3genE3ELNS1_11target_archE908ELNS1_3gpuE7ELNS1_3repE0EEENS1_30default_config_static_selectorELNS0_4arch9wavefront6targetE0EEEvT1_,"axG",@progbits,_ZN7rocprim17ROCPRIM_400000_NS6detail17trampoline_kernelINS0_14default_configENS1_25partition_config_selectorILNS1_17partition_subalgoE5ExNS0_10empty_typeEbEEZZNS1_14partition_implILS5_5ELb0ES3_mN6thrust23THRUST_200600_302600_NS6detail15normal_iteratorINSA_10device_ptrIxEEEEPS6_NSA_18transform_iteratorINSB_9not_fun_tINSA_8identityIxEEEESF_NSA_11use_defaultESM_EENS0_5tupleIJSF_S6_EEENSO_IJSG_SG_EEES6_PlJS6_EEE10hipError_tPvRmT3_T4_T5_T6_T7_T9_mT8_P12ihipStream_tbDpT10_ENKUlT_T0_E_clISt17integral_constantIbLb0EES1A_IbLb1EEEEDaS16_S17_EUlS16_E_NS1_11comp_targetILNS1_3genE3ELNS1_11target_archE908ELNS1_3gpuE7ELNS1_3repE0EEENS1_30default_config_static_selectorELNS0_4arch9wavefront6targetE0EEEvT1_,comdat
.Lfunc_end976:
	.size	_ZN7rocprim17ROCPRIM_400000_NS6detail17trampoline_kernelINS0_14default_configENS1_25partition_config_selectorILNS1_17partition_subalgoE5ExNS0_10empty_typeEbEEZZNS1_14partition_implILS5_5ELb0ES3_mN6thrust23THRUST_200600_302600_NS6detail15normal_iteratorINSA_10device_ptrIxEEEEPS6_NSA_18transform_iteratorINSB_9not_fun_tINSA_8identityIxEEEESF_NSA_11use_defaultESM_EENS0_5tupleIJSF_S6_EEENSO_IJSG_SG_EEES6_PlJS6_EEE10hipError_tPvRmT3_T4_T5_T6_T7_T9_mT8_P12ihipStream_tbDpT10_ENKUlT_T0_E_clISt17integral_constantIbLb0EES1A_IbLb1EEEEDaS16_S17_EUlS16_E_NS1_11comp_targetILNS1_3genE3ELNS1_11target_archE908ELNS1_3gpuE7ELNS1_3repE0EEENS1_30default_config_static_selectorELNS0_4arch9wavefront6targetE0EEEvT1_, .Lfunc_end976-_ZN7rocprim17ROCPRIM_400000_NS6detail17trampoline_kernelINS0_14default_configENS1_25partition_config_selectorILNS1_17partition_subalgoE5ExNS0_10empty_typeEbEEZZNS1_14partition_implILS5_5ELb0ES3_mN6thrust23THRUST_200600_302600_NS6detail15normal_iteratorINSA_10device_ptrIxEEEEPS6_NSA_18transform_iteratorINSB_9not_fun_tINSA_8identityIxEEEESF_NSA_11use_defaultESM_EENS0_5tupleIJSF_S6_EEENSO_IJSG_SG_EEES6_PlJS6_EEE10hipError_tPvRmT3_T4_T5_T6_T7_T9_mT8_P12ihipStream_tbDpT10_ENKUlT_T0_E_clISt17integral_constantIbLb0EES1A_IbLb1EEEEDaS16_S17_EUlS16_E_NS1_11comp_targetILNS1_3genE3ELNS1_11target_archE908ELNS1_3gpuE7ELNS1_3repE0EEENS1_30default_config_static_selectorELNS0_4arch9wavefront6targetE0EEEvT1_
                                        ; -- End function
	.set _ZN7rocprim17ROCPRIM_400000_NS6detail17trampoline_kernelINS0_14default_configENS1_25partition_config_selectorILNS1_17partition_subalgoE5ExNS0_10empty_typeEbEEZZNS1_14partition_implILS5_5ELb0ES3_mN6thrust23THRUST_200600_302600_NS6detail15normal_iteratorINSA_10device_ptrIxEEEEPS6_NSA_18transform_iteratorINSB_9not_fun_tINSA_8identityIxEEEESF_NSA_11use_defaultESM_EENS0_5tupleIJSF_S6_EEENSO_IJSG_SG_EEES6_PlJS6_EEE10hipError_tPvRmT3_T4_T5_T6_T7_T9_mT8_P12ihipStream_tbDpT10_ENKUlT_T0_E_clISt17integral_constantIbLb0EES1A_IbLb1EEEEDaS16_S17_EUlS16_E_NS1_11comp_targetILNS1_3genE3ELNS1_11target_archE908ELNS1_3gpuE7ELNS1_3repE0EEENS1_30default_config_static_selectorELNS0_4arch9wavefront6targetE0EEEvT1_.num_vgpr, 0
	.set _ZN7rocprim17ROCPRIM_400000_NS6detail17trampoline_kernelINS0_14default_configENS1_25partition_config_selectorILNS1_17partition_subalgoE5ExNS0_10empty_typeEbEEZZNS1_14partition_implILS5_5ELb0ES3_mN6thrust23THRUST_200600_302600_NS6detail15normal_iteratorINSA_10device_ptrIxEEEEPS6_NSA_18transform_iteratorINSB_9not_fun_tINSA_8identityIxEEEESF_NSA_11use_defaultESM_EENS0_5tupleIJSF_S6_EEENSO_IJSG_SG_EEES6_PlJS6_EEE10hipError_tPvRmT3_T4_T5_T6_T7_T9_mT8_P12ihipStream_tbDpT10_ENKUlT_T0_E_clISt17integral_constantIbLb0EES1A_IbLb1EEEEDaS16_S17_EUlS16_E_NS1_11comp_targetILNS1_3genE3ELNS1_11target_archE908ELNS1_3gpuE7ELNS1_3repE0EEENS1_30default_config_static_selectorELNS0_4arch9wavefront6targetE0EEEvT1_.num_agpr, 0
	.set _ZN7rocprim17ROCPRIM_400000_NS6detail17trampoline_kernelINS0_14default_configENS1_25partition_config_selectorILNS1_17partition_subalgoE5ExNS0_10empty_typeEbEEZZNS1_14partition_implILS5_5ELb0ES3_mN6thrust23THRUST_200600_302600_NS6detail15normal_iteratorINSA_10device_ptrIxEEEEPS6_NSA_18transform_iteratorINSB_9not_fun_tINSA_8identityIxEEEESF_NSA_11use_defaultESM_EENS0_5tupleIJSF_S6_EEENSO_IJSG_SG_EEES6_PlJS6_EEE10hipError_tPvRmT3_T4_T5_T6_T7_T9_mT8_P12ihipStream_tbDpT10_ENKUlT_T0_E_clISt17integral_constantIbLb0EES1A_IbLb1EEEEDaS16_S17_EUlS16_E_NS1_11comp_targetILNS1_3genE3ELNS1_11target_archE908ELNS1_3gpuE7ELNS1_3repE0EEENS1_30default_config_static_selectorELNS0_4arch9wavefront6targetE0EEEvT1_.numbered_sgpr, 0
	.set _ZN7rocprim17ROCPRIM_400000_NS6detail17trampoline_kernelINS0_14default_configENS1_25partition_config_selectorILNS1_17partition_subalgoE5ExNS0_10empty_typeEbEEZZNS1_14partition_implILS5_5ELb0ES3_mN6thrust23THRUST_200600_302600_NS6detail15normal_iteratorINSA_10device_ptrIxEEEEPS6_NSA_18transform_iteratorINSB_9not_fun_tINSA_8identityIxEEEESF_NSA_11use_defaultESM_EENS0_5tupleIJSF_S6_EEENSO_IJSG_SG_EEES6_PlJS6_EEE10hipError_tPvRmT3_T4_T5_T6_T7_T9_mT8_P12ihipStream_tbDpT10_ENKUlT_T0_E_clISt17integral_constantIbLb0EES1A_IbLb1EEEEDaS16_S17_EUlS16_E_NS1_11comp_targetILNS1_3genE3ELNS1_11target_archE908ELNS1_3gpuE7ELNS1_3repE0EEENS1_30default_config_static_selectorELNS0_4arch9wavefront6targetE0EEEvT1_.num_named_barrier, 0
	.set _ZN7rocprim17ROCPRIM_400000_NS6detail17trampoline_kernelINS0_14default_configENS1_25partition_config_selectorILNS1_17partition_subalgoE5ExNS0_10empty_typeEbEEZZNS1_14partition_implILS5_5ELb0ES3_mN6thrust23THRUST_200600_302600_NS6detail15normal_iteratorINSA_10device_ptrIxEEEEPS6_NSA_18transform_iteratorINSB_9not_fun_tINSA_8identityIxEEEESF_NSA_11use_defaultESM_EENS0_5tupleIJSF_S6_EEENSO_IJSG_SG_EEES6_PlJS6_EEE10hipError_tPvRmT3_T4_T5_T6_T7_T9_mT8_P12ihipStream_tbDpT10_ENKUlT_T0_E_clISt17integral_constantIbLb0EES1A_IbLb1EEEEDaS16_S17_EUlS16_E_NS1_11comp_targetILNS1_3genE3ELNS1_11target_archE908ELNS1_3gpuE7ELNS1_3repE0EEENS1_30default_config_static_selectorELNS0_4arch9wavefront6targetE0EEEvT1_.private_seg_size, 0
	.set _ZN7rocprim17ROCPRIM_400000_NS6detail17trampoline_kernelINS0_14default_configENS1_25partition_config_selectorILNS1_17partition_subalgoE5ExNS0_10empty_typeEbEEZZNS1_14partition_implILS5_5ELb0ES3_mN6thrust23THRUST_200600_302600_NS6detail15normal_iteratorINSA_10device_ptrIxEEEEPS6_NSA_18transform_iteratorINSB_9not_fun_tINSA_8identityIxEEEESF_NSA_11use_defaultESM_EENS0_5tupleIJSF_S6_EEENSO_IJSG_SG_EEES6_PlJS6_EEE10hipError_tPvRmT3_T4_T5_T6_T7_T9_mT8_P12ihipStream_tbDpT10_ENKUlT_T0_E_clISt17integral_constantIbLb0EES1A_IbLb1EEEEDaS16_S17_EUlS16_E_NS1_11comp_targetILNS1_3genE3ELNS1_11target_archE908ELNS1_3gpuE7ELNS1_3repE0EEENS1_30default_config_static_selectorELNS0_4arch9wavefront6targetE0EEEvT1_.uses_vcc, 0
	.set _ZN7rocprim17ROCPRIM_400000_NS6detail17trampoline_kernelINS0_14default_configENS1_25partition_config_selectorILNS1_17partition_subalgoE5ExNS0_10empty_typeEbEEZZNS1_14partition_implILS5_5ELb0ES3_mN6thrust23THRUST_200600_302600_NS6detail15normal_iteratorINSA_10device_ptrIxEEEEPS6_NSA_18transform_iteratorINSB_9not_fun_tINSA_8identityIxEEEESF_NSA_11use_defaultESM_EENS0_5tupleIJSF_S6_EEENSO_IJSG_SG_EEES6_PlJS6_EEE10hipError_tPvRmT3_T4_T5_T6_T7_T9_mT8_P12ihipStream_tbDpT10_ENKUlT_T0_E_clISt17integral_constantIbLb0EES1A_IbLb1EEEEDaS16_S17_EUlS16_E_NS1_11comp_targetILNS1_3genE3ELNS1_11target_archE908ELNS1_3gpuE7ELNS1_3repE0EEENS1_30default_config_static_selectorELNS0_4arch9wavefront6targetE0EEEvT1_.uses_flat_scratch, 0
	.set _ZN7rocprim17ROCPRIM_400000_NS6detail17trampoline_kernelINS0_14default_configENS1_25partition_config_selectorILNS1_17partition_subalgoE5ExNS0_10empty_typeEbEEZZNS1_14partition_implILS5_5ELb0ES3_mN6thrust23THRUST_200600_302600_NS6detail15normal_iteratorINSA_10device_ptrIxEEEEPS6_NSA_18transform_iteratorINSB_9not_fun_tINSA_8identityIxEEEESF_NSA_11use_defaultESM_EENS0_5tupleIJSF_S6_EEENSO_IJSG_SG_EEES6_PlJS6_EEE10hipError_tPvRmT3_T4_T5_T6_T7_T9_mT8_P12ihipStream_tbDpT10_ENKUlT_T0_E_clISt17integral_constantIbLb0EES1A_IbLb1EEEEDaS16_S17_EUlS16_E_NS1_11comp_targetILNS1_3genE3ELNS1_11target_archE908ELNS1_3gpuE7ELNS1_3repE0EEENS1_30default_config_static_selectorELNS0_4arch9wavefront6targetE0EEEvT1_.has_dyn_sized_stack, 0
	.set _ZN7rocprim17ROCPRIM_400000_NS6detail17trampoline_kernelINS0_14default_configENS1_25partition_config_selectorILNS1_17partition_subalgoE5ExNS0_10empty_typeEbEEZZNS1_14partition_implILS5_5ELb0ES3_mN6thrust23THRUST_200600_302600_NS6detail15normal_iteratorINSA_10device_ptrIxEEEEPS6_NSA_18transform_iteratorINSB_9not_fun_tINSA_8identityIxEEEESF_NSA_11use_defaultESM_EENS0_5tupleIJSF_S6_EEENSO_IJSG_SG_EEES6_PlJS6_EEE10hipError_tPvRmT3_T4_T5_T6_T7_T9_mT8_P12ihipStream_tbDpT10_ENKUlT_T0_E_clISt17integral_constantIbLb0EES1A_IbLb1EEEEDaS16_S17_EUlS16_E_NS1_11comp_targetILNS1_3genE3ELNS1_11target_archE908ELNS1_3gpuE7ELNS1_3repE0EEENS1_30default_config_static_selectorELNS0_4arch9wavefront6targetE0EEEvT1_.has_recursion, 0
	.set _ZN7rocprim17ROCPRIM_400000_NS6detail17trampoline_kernelINS0_14default_configENS1_25partition_config_selectorILNS1_17partition_subalgoE5ExNS0_10empty_typeEbEEZZNS1_14partition_implILS5_5ELb0ES3_mN6thrust23THRUST_200600_302600_NS6detail15normal_iteratorINSA_10device_ptrIxEEEEPS6_NSA_18transform_iteratorINSB_9not_fun_tINSA_8identityIxEEEESF_NSA_11use_defaultESM_EENS0_5tupleIJSF_S6_EEENSO_IJSG_SG_EEES6_PlJS6_EEE10hipError_tPvRmT3_T4_T5_T6_T7_T9_mT8_P12ihipStream_tbDpT10_ENKUlT_T0_E_clISt17integral_constantIbLb0EES1A_IbLb1EEEEDaS16_S17_EUlS16_E_NS1_11comp_targetILNS1_3genE3ELNS1_11target_archE908ELNS1_3gpuE7ELNS1_3repE0EEENS1_30default_config_static_selectorELNS0_4arch9wavefront6targetE0EEEvT1_.has_indirect_call, 0
	.section	.AMDGPU.csdata,"",@progbits
; Kernel info:
; codeLenInByte = 0
; TotalNumSgprs: 0
; NumVgprs: 0
; ScratchSize: 0
; MemoryBound: 0
; FloatMode: 240
; IeeeMode: 1
; LDSByteSize: 0 bytes/workgroup (compile time only)
; SGPRBlocks: 0
; VGPRBlocks: 0
; NumSGPRsForWavesPerEU: 1
; NumVGPRsForWavesPerEU: 1
; Occupancy: 16
; WaveLimiterHint : 0
; COMPUTE_PGM_RSRC2:SCRATCH_EN: 0
; COMPUTE_PGM_RSRC2:USER_SGPR: 2
; COMPUTE_PGM_RSRC2:TRAP_HANDLER: 0
; COMPUTE_PGM_RSRC2:TGID_X_EN: 1
; COMPUTE_PGM_RSRC2:TGID_Y_EN: 0
; COMPUTE_PGM_RSRC2:TGID_Z_EN: 0
; COMPUTE_PGM_RSRC2:TIDIG_COMP_CNT: 0
	.section	.text._ZN7rocprim17ROCPRIM_400000_NS6detail17trampoline_kernelINS0_14default_configENS1_25partition_config_selectorILNS1_17partition_subalgoE5ExNS0_10empty_typeEbEEZZNS1_14partition_implILS5_5ELb0ES3_mN6thrust23THRUST_200600_302600_NS6detail15normal_iteratorINSA_10device_ptrIxEEEEPS6_NSA_18transform_iteratorINSB_9not_fun_tINSA_8identityIxEEEESF_NSA_11use_defaultESM_EENS0_5tupleIJSF_S6_EEENSO_IJSG_SG_EEES6_PlJS6_EEE10hipError_tPvRmT3_T4_T5_T6_T7_T9_mT8_P12ihipStream_tbDpT10_ENKUlT_T0_E_clISt17integral_constantIbLb0EES1A_IbLb1EEEEDaS16_S17_EUlS16_E_NS1_11comp_targetILNS1_3genE2ELNS1_11target_archE906ELNS1_3gpuE6ELNS1_3repE0EEENS1_30default_config_static_selectorELNS0_4arch9wavefront6targetE0EEEvT1_,"axG",@progbits,_ZN7rocprim17ROCPRIM_400000_NS6detail17trampoline_kernelINS0_14default_configENS1_25partition_config_selectorILNS1_17partition_subalgoE5ExNS0_10empty_typeEbEEZZNS1_14partition_implILS5_5ELb0ES3_mN6thrust23THRUST_200600_302600_NS6detail15normal_iteratorINSA_10device_ptrIxEEEEPS6_NSA_18transform_iteratorINSB_9not_fun_tINSA_8identityIxEEEESF_NSA_11use_defaultESM_EENS0_5tupleIJSF_S6_EEENSO_IJSG_SG_EEES6_PlJS6_EEE10hipError_tPvRmT3_T4_T5_T6_T7_T9_mT8_P12ihipStream_tbDpT10_ENKUlT_T0_E_clISt17integral_constantIbLb0EES1A_IbLb1EEEEDaS16_S17_EUlS16_E_NS1_11comp_targetILNS1_3genE2ELNS1_11target_archE906ELNS1_3gpuE6ELNS1_3repE0EEENS1_30default_config_static_selectorELNS0_4arch9wavefront6targetE0EEEvT1_,comdat
	.protected	_ZN7rocprim17ROCPRIM_400000_NS6detail17trampoline_kernelINS0_14default_configENS1_25partition_config_selectorILNS1_17partition_subalgoE5ExNS0_10empty_typeEbEEZZNS1_14partition_implILS5_5ELb0ES3_mN6thrust23THRUST_200600_302600_NS6detail15normal_iteratorINSA_10device_ptrIxEEEEPS6_NSA_18transform_iteratorINSB_9not_fun_tINSA_8identityIxEEEESF_NSA_11use_defaultESM_EENS0_5tupleIJSF_S6_EEENSO_IJSG_SG_EEES6_PlJS6_EEE10hipError_tPvRmT3_T4_T5_T6_T7_T9_mT8_P12ihipStream_tbDpT10_ENKUlT_T0_E_clISt17integral_constantIbLb0EES1A_IbLb1EEEEDaS16_S17_EUlS16_E_NS1_11comp_targetILNS1_3genE2ELNS1_11target_archE906ELNS1_3gpuE6ELNS1_3repE0EEENS1_30default_config_static_selectorELNS0_4arch9wavefront6targetE0EEEvT1_ ; -- Begin function _ZN7rocprim17ROCPRIM_400000_NS6detail17trampoline_kernelINS0_14default_configENS1_25partition_config_selectorILNS1_17partition_subalgoE5ExNS0_10empty_typeEbEEZZNS1_14partition_implILS5_5ELb0ES3_mN6thrust23THRUST_200600_302600_NS6detail15normal_iteratorINSA_10device_ptrIxEEEEPS6_NSA_18transform_iteratorINSB_9not_fun_tINSA_8identityIxEEEESF_NSA_11use_defaultESM_EENS0_5tupleIJSF_S6_EEENSO_IJSG_SG_EEES6_PlJS6_EEE10hipError_tPvRmT3_T4_T5_T6_T7_T9_mT8_P12ihipStream_tbDpT10_ENKUlT_T0_E_clISt17integral_constantIbLb0EES1A_IbLb1EEEEDaS16_S17_EUlS16_E_NS1_11comp_targetILNS1_3genE2ELNS1_11target_archE906ELNS1_3gpuE6ELNS1_3repE0EEENS1_30default_config_static_selectorELNS0_4arch9wavefront6targetE0EEEvT1_
	.globl	_ZN7rocprim17ROCPRIM_400000_NS6detail17trampoline_kernelINS0_14default_configENS1_25partition_config_selectorILNS1_17partition_subalgoE5ExNS0_10empty_typeEbEEZZNS1_14partition_implILS5_5ELb0ES3_mN6thrust23THRUST_200600_302600_NS6detail15normal_iteratorINSA_10device_ptrIxEEEEPS6_NSA_18transform_iteratorINSB_9not_fun_tINSA_8identityIxEEEESF_NSA_11use_defaultESM_EENS0_5tupleIJSF_S6_EEENSO_IJSG_SG_EEES6_PlJS6_EEE10hipError_tPvRmT3_T4_T5_T6_T7_T9_mT8_P12ihipStream_tbDpT10_ENKUlT_T0_E_clISt17integral_constantIbLb0EES1A_IbLb1EEEEDaS16_S17_EUlS16_E_NS1_11comp_targetILNS1_3genE2ELNS1_11target_archE906ELNS1_3gpuE6ELNS1_3repE0EEENS1_30default_config_static_selectorELNS0_4arch9wavefront6targetE0EEEvT1_
	.p2align	8
	.type	_ZN7rocprim17ROCPRIM_400000_NS6detail17trampoline_kernelINS0_14default_configENS1_25partition_config_selectorILNS1_17partition_subalgoE5ExNS0_10empty_typeEbEEZZNS1_14partition_implILS5_5ELb0ES3_mN6thrust23THRUST_200600_302600_NS6detail15normal_iteratorINSA_10device_ptrIxEEEEPS6_NSA_18transform_iteratorINSB_9not_fun_tINSA_8identityIxEEEESF_NSA_11use_defaultESM_EENS0_5tupleIJSF_S6_EEENSO_IJSG_SG_EEES6_PlJS6_EEE10hipError_tPvRmT3_T4_T5_T6_T7_T9_mT8_P12ihipStream_tbDpT10_ENKUlT_T0_E_clISt17integral_constantIbLb0EES1A_IbLb1EEEEDaS16_S17_EUlS16_E_NS1_11comp_targetILNS1_3genE2ELNS1_11target_archE906ELNS1_3gpuE6ELNS1_3repE0EEENS1_30default_config_static_selectorELNS0_4arch9wavefront6targetE0EEEvT1_,@function
_ZN7rocprim17ROCPRIM_400000_NS6detail17trampoline_kernelINS0_14default_configENS1_25partition_config_selectorILNS1_17partition_subalgoE5ExNS0_10empty_typeEbEEZZNS1_14partition_implILS5_5ELb0ES3_mN6thrust23THRUST_200600_302600_NS6detail15normal_iteratorINSA_10device_ptrIxEEEEPS6_NSA_18transform_iteratorINSB_9not_fun_tINSA_8identityIxEEEESF_NSA_11use_defaultESM_EENS0_5tupleIJSF_S6_EEENSO_IJSG_SG_EEES6_PlJS6_EEE10hipError_tPvRmT3_T4_T5_T6_T7_T9_mT8_P12ihipStream_tbDpT10_ENKUlT_T0_E_clISt17integral_constantIbLb0EES1A_IbLb1EEEEDaS16_S17_EUlS16_E_NS1_11comp_targetILNS1_3genE2ELNS1_11target_archE906ELNS1_3gpuE6ELNS1_3repE0EEENS1_30default_config_static_selectorELNS0_4arch9wavefront6targetE0EEEvT1_: ; @_ZN7rocprim17ROCPRIM_400000_NS6detail17trampoline_kernelINS0_14default_configENS1_25partition_config_selectorILNS1_17partition_subalgoE5ExNS0_10empty_typeEbEEZZNS1_14partition_implILS5_5ELb0ES3_mN6thrust23THRUST_200600_302600_NS6detail15normal_iteratorINSA_10device_ptrIxEEEEPS6_NSA_18transform_iteratorINSB_9not_fun_tINSA_8identityIxEEEESF_NSA_11use_defaultESM_EENS0_5tupleIJSF_S6_EEENSO_IJSG_SG_EEES6_PlJS6_EEE10hipError_tPvRmT3_T4_T5_T6_T7_T9_mT8_P12ihipStream_tbDpT10_ENKUlT_T0_E_clISt17integral_constantIbLb0EES1A_IbLb1EEEEDaS16_S17_EUlS16_E_NS1_11comp_targetILNS1_3genE2ELNS1_11target_archE906ELNS1_3gpuE6ELNS1_3repE0EEENS1_30default_config_static_selectorELNS0_4arch9wavefront6targetE0EEEvT1_
; %bb.0:
	.section	.rodata,"a",@progbits
	.p2align	6, 0x0
	.amdhsa_kernel _ZN7rocprim17ROCPRIM_400000_NS6detail17trampoline_kernelINS0_14default_configENS1_25partition_config_selectorILNS1_17partition_subalgoE5ExNS0_10empty_typeEbEEZZNS1_14partition_implILS5_5ELb0ES3_mN6thrust23THRUST_200600_302600_NS6detail15normal_iteratorINSA_10device_ptrIxEEEEPS6_NSA_18transform_iteratorINSB_9not_fun_tINSA_8identityIxEEEESF_NSA_11use_defaultESM_EENS0_5tupleIJSF_S6_EEENSO_IJSG_SG_EEES6_PlJS6_EEE10hipError_tPvRmT3_T4_T5_T6_T7_T9_mT8_P12ihipStream_tbDpT10_ENKUlT_T0_E_clISt17integral_constantIbLb0EES1A_IbLb1EEEEDaS16_S17_EUlS16_E_NS1_11comp_targetILNS1_3genE2ELNS1_11target_archE906ELNS1_3gpuE6ELNS1_3repE0EEENS1_30default_config_static_selectorELNS0_4arch9wavefront6targetE0EEEvT1_
		.amdhsa_group_segment_fixed_size 0
		.amdhsa_private_segment_fixed_size 0
		.amdhsa_kernarg_size 136
		.amdhsa_user_sgpr_count 2
		.amdhsa_user_sgpr_dispatch_ptr 0
		.amdhsa_user_sgpr_queue_ptr 0
		.amdhsa_user_sgpr_kernarg_segment_ptr 1
		.amdhsa_user_sgpr_dispatch_id 0
		.amdhsa_user_sgpr_private_segment_size 0
		.amdhsa_wavefront_size32 1
		.amdhsa_uses_dynamic_stack 0
		.amdhsa_enable_private_segment 0
		.amdhsa_system_sgpr_workgroup_id_x 1
		.amdhsa_system_sgpr_workgroup_id_y 0
		.amdhsa_system_sgpr_workgroup_id_z 0
		.amdhsa_system_sgpr_workgroup_info 0
		.amdhsa_system_vgpr_workitem_id 0
		.amdhsa_next_free_vgpr 1
		.amdhsa_next_free_sgpr 1
		.amdhsa_reserve_vcc 0
		.amdhsa_float_round_mode_32 0
		.amdhsa_float_round_mode_16_64 0
		.amdhsa_float_denorm_mode_32 3
		.amdhsa_float_denorm_mode_16_64 3
		.amdhsa_fp16_overflow 0
		.amdhsa_workgroup_processor_mode 1
		.amdhsa_memory_ordered 1
		.amdhsa_forward_progress 1
		.amdhsa_inst_pref_size 0
		.amdhsa_round_robin_scheduling 0
		.amdhsa_exception_fp_ieee_invalid_op 0
		.amdhsa_exception_fp_denorm_src 0
		.amdhsa_exception_fp_ieee_div_zero 0
		.amdhsa_exception_fp_ieee_overflow 0
		.amdhsa_exception_fp_ieee_underflow 0
		.amdhsa_exception_fp_ieee_inexact 0
		.amdhsa_exception_int_div_zero 0
	.end_amdhsa_kernel
	.section	.text._ZN7rocprim17ROCPRIM_400000_NS6detail17trampoline_kernelINS0_14default_configENS1_25partition_config_selectorILNS1_17partition_subalgoE5ExNS0_10empty_typeEbEEZZNS1_14partition_implILS5_5ELb0ES3_mN6thrust23THRUST_200600_302600_NS6detail15normal_iteratorINSA_10device_ptrIxEEEEPS6_NSA_18transform_iteratorINSB_9not_fun_tINSA_8identityIxEEEESF_NSA_11use_defaultESM_EENS0_5tupleIJSF_S6_EEENSO_IJSG_SG_EEES6_PlJS6_EEE10hipError_tPvRmT3_T4_T5_T6_T7_T9_mT8_P12ihipStream_tbDpT10_ENKUlT_T0_E_clISt17integral_constantIbLb0EES1A_IbLb1EEEEDaS16_S17_EUlS16_E_NS1_11comp_targetILNS1_3genE2ELNS1_11target_archE906ELNS1_3gpuE6ELNS1_3repE0EEENS1_30default_config_static_selectorELNS0_4arch9wavefront6targetE0EEEvT1_,"axG",@progbits,_ZN7rocprim17ROCPRIM_400000_NS6detail17trampoline_kernelINS0_14default_configENS1_25partition_config_selectorILNS1_17partition_subalgoE5ExNS0_10empty_typeEbEEZZNS1_14partition_implILS5_5ELb0ES3_mN6thrust23THRUST_200600_302600_NS6detail15normal_iteratorINSA_10device_ptrIxEEEEPS6_NSA_18transform_iteratorINSB_9not_fun_tINSA_8identityIxEEEESF_NSA_11use_defaultESM_EENS0_5tupleIJSF_S6_EEENSO_IJSG_SG_EEES6_PlJS6_EEE10hipError_tPvRmT3_T4_T5_T6_T7_T9_mT8_P12ihipStream_tbDpT10_ENKUlT_T0_E_clISt17integral_constantIbLb0EES1A_IbLb1EEEEDaS16_S17_EUlS16_E_NS1_11comp_targetILNS1_3genE2ELNS1_11target_archE906ELNS1_3gpuE6ELNS1_3repE0EEENS1_30default_config_static_selectorELNS0_4arch9wavefront6targetE0EEEvT1_,comdat
.Lfunc_end977:
	.size	_ZN7rocprim17ROCPRIM_400000_NS6detail17trampoline_kernelINS0_14default_configENS1_25partition_config_selectorILNS1_17partition_subalgoE5ExNS0_10empty_typeEbEEZZNS1_14partition_implILS5_5ELb0ES3_mN6thrust23THRUST_200600_302600_NS6detail15normal_iteratorINSA_10device_ptrIxEEEEPS6_NSA_18transform_iteratorINSB_9not_fun_tINSA_8identityIxEEEESF_NSA_11use_defaultESM_EENS0_5tupleIJSF_S6_EEENSO_IJSG_SG_EEES6_PlJS6_EEE10hipError_tPvRmT3_T4_T5_T6_T7_T9_mT8_P12ihipStream_tbDpT10_ENKUlT_T0_E_clISt17integral_constantIbLb0EES1A_IbLb1EEEEDaS16_S17_EUlS16_E_NS1_11comp_targetILNS1_3genE2ELNS1_11target_archE906ELNS1_3gpuE6ELNS1_3repE0EEENS1_30default_config_static_selectorELNS0_4arch9wavefront6targetE0EEEvT1_, .Lfunc_end977-_ZN7rocprim17ROCPRIM_400000_NS6detail17trampoline_kernelINS0_14default_configENS1_25partition_config_selectorILNS1_17partition_subalgoE5ExNS0_10empty_typeEbEEZZNS1_14partition_implILS5_5ELb0ES3_mN6thrust23THRUST_200600_302600_NS6detail15normal_iteratorINSA_10device_ptrIxEEEEPS6_NSA_18transform_iteratorINSB_9not_fun_tINSA_8identityIxEEEESF_NSA_11use_defaultESM_EENS0_5tupleIJSF_S6_EEENSO_IJSG_SG_EEES6_PlJS6_EEE10hipError_tPvRmT3_T4_T5_T6_T7_T9_mT8_P12ihipStream_tbDpT10_ENKUlT_T0_E_clISt17integral_constantIbLb0EES1A_IbLb1EEEEDaS16_S17_EUlS16_E_NS1_11comp_targetILNS1_3genE2ELNS1_11target_archE906ELNS1_3gpuE6ELNS1_3repE0EEENS1_30default_config_static_selectorELNS0_4arch9wavefront6targetE0EEEvT1_
                                        ; -- End function
	.set _ZN7rocprim17ROCPRIM_400000_NS6detail17trampoline_kernelINS0_14default_configENS1_25partition_config_selectorILNS1_17partition_subalgoE5ExNS0_10empty_typeEbEEZZNS1_14partition_implILS5_5ELb0ES3_mN6thrust23THRUST_200600_302600_NS6detail15normal_iteratorINSA_10device_ptrIxEEEEPS6_NSA_18transform_iteratorINSB_9not_fun_tINSA_8identityIxEEEESF_NSA_11use_defaultESM_EENS0_5tupleIJSF_S6_EEENSO_IJSG_SG_EEES6_PlJS6_EEE10hipError_tPvRmT3_T4_T5_T6_T7_T9_mT8_P12ihipStream_tbDpT10_ENKUlT_T0_E_clISt17integral_constantIbLb0EES1A_IbLb1EEEEDaS16_S17_EUlS16_E_NS1_11comp_targetILNS1_3genE2ELNS1_11target_archE906ELNS1_3gpuE6ELNS1_3repE0EEENS1_30default_config_static_selectorELNS0_4arch9wavefront6targetE0EEEvT1_.num_vgpr, 0
	.set _ZN7rocprim17ROCPRIM_400000_NS6detail17trampoline_kernelINS0_14default_configENS1_25partition_config_selectorILNS1_17partition_subalgoE5ExNS0_10empty_typeEbEEZZNS1_14partition_implILS5_5ELb0ES3_mN6thrust23THRUST_200600_302600_NS6detail15normal_iteratorINSA_10device_ptrIxEEEEPS6_NSA_18transform_iteratorINSB_9not_fun_tINSA_8identityIxEEEESF_NSA_11use_defaultESM_EENS0_5tupleIJSF_S6_EEENSO_IJSG_SG_EEES6_PlJS6_EEE10hipError_tPvRmT3_T4_T5_T6_T7_T9_mT8_P12ihipStream_tbDpT10_ENKUlT_T0_E_clISt17integral_constantIbLb0EES1A_IbLb1EEEEDaS16_S17_EUlS16_E_NS1_11comp_targetILNS1_3genE2ELNS1_11target_archE906ELNS1_3gpuE6ELNS1_3repE0EEENS1_30default_config_static_selectorELNS0_4arch9wavefront6targetE0EEEvT1_.num_agpr, 0
	.set _ZN7rocprim17ROCPRIM_400000_NS6detail17trampoline_kernelINS0_14default_configENS1_25partition_config_selectorILNS1_17partition_subalgoE5ExNS0_10empty_typeEbEEZZNS1_14partition_implILS5_5ELb0ES3_mN6thrust23THRUST_200600_302600_NS6detail15normal_iteratorINSA_10device_ptrIxEEEEPS6_NSA_18transform_iteratorINSB_9not_fun_tINSA_8identityIxEEEESF_NSA_11use_defaultESM_EENS0_5tupleIJSF_S6_EEENSO_IJSG_SG_EEES6_PlJS6_EEE10hipError_tPvRmT3_T4_T5_T6_T7_T9_mT8_P12ihipStream_tbDpT10_ENKUlT_T0_E_clISt17integral_constantIbLb0EES1A_IbLb1EEEEDaS16_S17_EUlS16_E_NS1_11comp_targetILNS1_3genE2ELNS1_11target_archE906ELNS1_3gpuE6ELNS1_3repE0EEENS1_30default_config_static_selectorELNS0_4arch9wavefront6targetE0EEEvT1_.numbered_sgpr, 0
	.set _ZN7rocprim17ROCPRIM_400000_NS6detail17trampoline_kernelINS0_14default_configENS1_25partition_config_selectorILNS1_17partition_subalgoE5ExNS0_10empty_typeEbEEZZNS1_14partition_implILS5_5ELb0ES3_mN6thrust23THRUST_200600_302600_NS6detail15normal_iteratorINSA_10device_ptrIxEEEEPS6_NSA_18transform_iteratorINSB_9not_fun_tINSA_8identityIxEEEESF_NSA_11use_defaultESM_EENS0_5tupleIJSF_S6_EEENSO_IJSG_SG_EEES6_PlJS6_EEE10hipError_tPvRmT3_T4_T5_T6_T7_T9_mT8_P12ihipStream_tbDpT10_ENKUlT_T0_E_clISt17integral_constantIbLb0EES1A_IbLb1EEEEDaS16_S17_EUlS16_E_NS1_11comp_targetILNS1_3genE2ELNS1_11target_archE906ELNS1_3gpuE6ELNS1_3repE0EEENS1_30default_config_static_selectorELNS0_4arch9wavefront6targetE0EEEvT1_.num_named_barrier, 0
	.set _ZN7rocprim17ROCPRIM_400000_NS6detail17trampoline_kernelINS0_14default_configENS1_25partition_config_selectorILNS1_17partition_subalgoE5ExNS0_10empty_typeEbEEZZNS1_14partition_implILS5_5ELb0ES3_mN6thrust23THRUST_200600_302600_NS6detail15normal_iteratorINSA_10device_ptrIxEEEEPS6_NSA_18transform_iteratorINSB_9not_fun_tINSA_8identityIxEEEESF_NSA_11use_defaultESM_EENS0_5tupleIJSF_S6_EEENSO_IJSG_SG_EEES6_PlJS6_EEE10hipError_tPvRmT3_T4_T5_T6_T7_T9_mT8_P12ihipStream_tbDpT10_ENKUlT_T0_E_clISt17integral_constantIbLb0EES1A_IbLb1EEEEDaS16_S17_EUlS16_E_NS1_11comp_targetILNS1_3genE2ELNS1_11target_archE906ELNS1_3gpuE6ELNS1_3repE0EEENS1_30default_config_static_selectorELNS0_4arch9wavefront6targetE0EEEvT1_.private_seg_size, 0
	.set _ZN7rocprim17ROCPRIM_400000_NS6detail17trampoline_kernelINS0_14default_configENS1_25partition_config_selectorILNS1_17partition_subalgoE5ExNS0_10empty_typeEbEEZZNS1_14partition_implILS5_5ELb0ES3_mN6thrust23THRUST_200600_302600_NS6detail15normal_iteratorINSA_10device_ptrIxEEEEPS6_NSA_18transform_iteratorINSB_9not_fun_tINSA_8identityIxEEEESF_NSA_11use_defaultESM_EENS0_5tupleIJSF_S6_EEENSO_IJSG_SG_EEES6_PlJS6_EEE10hipError_tPvRmT3_T4_T5_T6_T7_T9_mT8_P12ihipStream_tbDpT10_ENKUlT_T0_E_clISt17integral_constantIbLb0EES1A_IbLb1EEEEDaS16_S17_EUlS16_E_NS1_11comp_targetILNS1_3genE2ELNS1_11target_archE906ELNS1_3gpuE6ELNS1_3repE0EEENS1_30default_config_static_selectorELNS0_4arch9wavefront6targetE0EEEvT1_.uses_vcc, 0
	.set _ZN7rocprim17ROCPRIM_400000_NS6detail17trampoline_kernelINS0_14default_configENS1_25partition_config_selectorILNS1_17partition_subalgoE5ExNS0_10empty_typeEbEEZZNS1_14partition_implILS5_5ELb0ES3_mN6thrust23THRUST_200600_302600_NS6detail15normal_iteratorINSA_10device_ptrIxEEEEPS6_NSA_18transform_iteratorINSB_9not_fun_tINSA_8identityIxEEEESF_NSA_11use_defaultESM_EENS0_5tupleIJSF_S6_EEENSO_IJSG_SG_EEES6_PlJS6_EEE10hipError_tPvRmT3_T4_T5_T6_T7_T9_mT8_P12ihipStream_tbDpT10_ENKUlT_T0_E_clISt17integral_constantIbLb0EES1A_IbLb1EEEEDaS16_S17_EUlS16_E_NS1_11comp_targetILNS1_3genE2ELNS1_11target_archE906ELNS1_3gpuE6ELNS1_3repE0EEENS1_30default_config_static_selectorELNS0_4arch9wavefront6targetE0EEEvT1_.uses_flat_scratch, 0
	.set _ZN7rocprim17ROCPRIM_400000_NS6detail17trampoline_kernelINS0_14default_configENS1_25partition_config_selectorILNS1_17partition_subalgoE5ExNS0_10empty_typeEbEEZZNS1_14partition_implILS5_5ELb0ES3_mN6thrust23THRUST_200600_302600_NS6detail15normal_iteratorINSA_10device_ptrIxEEEEPS6_NSA_18transform_iteratorINSB_9not_fun_tINSA_8identityIxEEEESF_NSA_11use_defaultESM_EENS0_5tupleIJSF_S6_EEENSO_IJSG_SG_EEES6_PlJS6_EEE10hipError_tPvRmT3_T4_T5_T6_T7_T9_mT8_P12ihipStream_tbDpT10_ENKUlT_T0_E_clISt17integral_constantIbLb0EES1A_IbLb1EEEEDaS16_S17_EUlS16_E_NS1_11comp_targetILNS1_3genE2ELNS1_11target_archE906ELNS1_3gpuE6ELNS1_3repE0EEENS1_30default_config_static_selectorELNS0_4arch9wavefront6targetE0EEEvT1_.has_dyn_sized_stack, 0
	.set _ZN7rocprim17ROCPRIM_400000_NS6detail17trampoline_kernelINS0_14default_configENS1_25partition_config_selectorILNS1_17partition_subalgoE5ExNS0_10empty_typeEbEEZZNS1_14partition_implILS5_5ELb0ES3_mN6thrust23THRUST_200600_302600_NS6detail15normal_iteratorINSA_10device_ptrIxEEEEPS6_NSA_18transform_iteratorINSB_9not_fun_tINSA_8identityIxEEEESF_NSA_11use_defaultESM_EENS0_5tupleIJSF_S6_EEENSO_IJSG_SG_EEES6_PlJS6_EEE10hipError_tPvRmT3_T4_T5_T6_T7_T9_mT8_P12ihipStream_tbDpT10_ENKUlT_T0_E_clISt17integral_constantIbLb0EES1A_IbLb1EEEEDaS16_S17_EUlS16_E_NS1_11comp_targetILNS1_3genE2ELNS1_11target_archE906ELNS1_3gpuE6ELNS1_3repE0EEENS1_30default_config_static_selectorELNS0_4arch9wavefront6targetE0EEEvT1_.has_recursion, 0
	.set _ZN7rocprim17ROCPRIM_400000_NS6detail17trampoline_kernelINS0_14default_configENS1_25partition_config_selectorILNS1_17partition_subalgoE5ExNS0_10empty_typeEbEEZZNS1_14partition_implILS5_5ELb0ES3_mN6thrust23THRUST_200600_302600_NS6detail15normal_iteratorINSA_10device_ptrIxEEEEPS6_NSA_18transform_iteratorINSB_9not_fun_tINSA_8identityIxEEEESF_NSA_11use_defaultESM_EENS0_5tupleIJSF_S6_EEENSO_IJSG_SG_EEES6_PlJS6_EEE10hipError_tPvRmT3_T4_T5_T6_T7_T9_mT8_P12ihipStream_tbDpT10_ENKUlT_T0_E_clISt17integral_constantIbLb0EES1A_IbLb1EEEEDaS16_S17_EUlS16_E_NS1_11comp_targetILNS1_3genE2ELNS1_11target_archE906ELNS1_3gpuE6ELNS1_3repE0EEENS1_30default_config_static_selectorELNS0_4arch9wavefront6targetE0EEEvT1_.has_indirect_call, 0
	.section	.AMDGPU.csdata,"",@progbits
; Kernel info:
; codeLenInByte = 0
; TotalNumSgprs: 0
; NumVgprs: 0
; ScratchSize: 0
; MemoryBound: 0
; FloatMode: 240
; IeeeMode: 1
; LDSByteSize: 0 bytes/workgroup (compile time only)
; SGPRBlocks: 0
; VGPRBlocks: 0
; NumSGPRsForWavesPerEU: 1
; NumVGPRsForWavesPerEU: 1
; Occupancy: 16
; WaveLimiterHint : 0
; COMPUTE_PGM_RSRC2:SCRATCH_EN: 0
; COMPUTE_PGM_RSRC2:USER_SGPR: 2
; COMPUTE_PGM_RSRC2:TRAP_HANDLER: 0
; COMPUTE_PGM_RSRC2:TGID_X_EN: 1
; COMPUTE_PGM_RSRC2:TGID_Y_EN: 0
; COMPUTE_PGM_RSRC2:TGID_Z_EN: 0
; COMPUTE_PGM_RSRC2:TIDIG_COMP_CNT: 0
	.section	.text._ZN7rocprim17ROCPRIM_400000_NS6detail17trampoline_kernelINS0_14default_configENS1_25partition_config_selectorILNS1_17partition_subalgoE5ExNS0_10empty_typeEbEEZZNS1_14partition_implILS5_5ELb0ES3_mN6thrust23THRUST_200600_302600_NS6detail15normal_iteratorINSA_10device_ptrIxEEEEPS6_NSA_18transform_iteratorINSB_9not_fun_tINSA_8identityIxEEEESF_NSA_11use_defaultESM_EENS0_5tupleIJSF_S6_EEENSO_IJSG_SG_EEES6_PlJS6_EEE10hipError_tPvRmT3_T4_T5_T6_T7_T9_mT8_P12ihipStream_tbDpT10_ENKUlT_T0_E_clISt17integral_constantIbLb0EES1A_IbLb1EEEEDaS16_S17_EUlS16_E_NS1_11comp_targetILNS1_3genE10ELNS1_11target_archE1200ELNS1_3gpuE4ELNS1_3repE0EEENS1_30default_config_static_selectorELNS0_4arch9wavefront6targetE0EEEvT1_,"axG",@progbits,_ZN7rocprim17ROCPRIM_400000_NS6detail17trampoline_kernelINS0_14default_configENS1_25partition_config_selectorILNS1_17partition_subalgoE5ExNS0_10empty_typeEbEEZZNS1_14partition_implILS5_5ELb0ES3_mN6thrust23THRUST_200600_302600_NS6detail15normal_iteratorINSA_10device_ptrIxEEEEPS6_NSA_18transform_iteratorINSB_9not_fun_tINSA_8identityIxEEEESF_NSA_11use_defaultESM_EENS0_5tupleIJSF_S6_EEENSO_IJSG_SG_EEES6_PlJS6_EEE10hipError_tPvRmT3_T4_T5_T6_T7_T9_mT8_P12ihipStream_tbDpT10_ENKUlT_T0_E_clISt17integral_constantIbLb0EES1A_IbLb1EEEEDaS16_S17_EUlS16_E_NS1_11comp_targetILNS1_3genE10ELNS1_11target_archE1200ELNS1_3gpuE4ELNS1_3repE0EEENS1_30default_config_static_selectorELNS0_4arch9wavefront6targetE0EEEvT1_,comdat
	.protected	_ZN7rocprim17ROCPRIM_400000_NS6detail17trampoline_kernelINS0_14default_configENS1_25partition_config_selectorILNS1_17partition_subalgoE5ExNS0_10empty_typeEbEEZZNS1_14partition_implILS5_5ELb0ES3_mN6thrust23THRUST_200600_302600_NS6detail15normal_iteratorINSA_10device_ptrIxEEEEPS6_NSA_18transform_iteratorINSB_9not_fun_tINSA_8identityIxEEEESF_NSA_11use_defaultESM_EENS0_5tupleIJSF_S6_EEENSO_IJSG_SG_EEES6_PlJS6_EEE10hipError_tPvRmT3_T4_T5_T6_T7_T9_mT8_P12ihipStream_tbDpT10_ENKUlT_T0_E_clISt17integral_constantIbLb0EES1A_IbLb1EEEEDaS16_S17_EUlS16_E_NS1_11comp_targetILNS1_3genE10ELNS1_11target_archE1200ELNS1_3gpuE4ELNS1_3repE0EEENS1_30default_config_static_selectorELNS0_4arch9wavefront6targetE0EEEvT1_ ; -- Begin function _ZN7rocprim17ROCPRIM_400000_NS6detail17trampoline_kernelINS0_14default_configENS1_25partition_config_selectorILNS1_17partition_subalgoE5ExNS0_10empty_typeEbEEZZNS1_14partition_implILS5_5ELb0ES3_mN6thrust23THRUST_200600_302600_NS6detail15normal_iteratorINSA_10device_ptrIxEEEEPS6_NSA_18transform_iteratorINSB_9not_fun_tINSA_8identityIxEEEESF_NSA_11use_defaultESM_EENS0_5tupleIJSF_S6_EEENSO_IJSG_SG_EEES6_PlJS6_EEE10hipError_tPvRmT3_T4_T5_T6_T7_T9_mT8_P12ihipStream_tbDpT10_ENKUlT_T0_E_clISt17integral_constantIbLb0EES1A_IbLb1EEEEDaS16_S17_EUlS16_E_NS1_11comp_targetILNS1_3genE10ELNS1_11target_archE1200ELNS1_3gpuE4ELNS1_3repE0EEENS1_30default_config_static_selectorELNS0_4arch9wavefront6targetE0EEEvT1_
	.globl	_ZN7rocprim17ROCPRIM_400000_NS6detail17trampoline_kernelINS0_14default_configENS1_25partition_config_selectorILNS1_17partition_subalgoE5ExNS0_10empty_typeEbEEZZNS1_14partition_implILS5_5ELb0ES3_mN6thrust23THRUST_200600_302600_NS6detail15normal_iteratorINSA_10device_ptrIxEEEEPS6_NSA_18transform_iteratorINSB_9not_fun_tINSA_8identityIxEEEESF_NSA_11use_defaultESM_EENS0_5tupleIJSF_S6_EEENSO_IJSG_SG_EEES6_PlJS6_EEE10hipError_tPvRmT3_T4_T5_T6_T7_T9_mT8_P12ihipStream_tbDpT10_ENKUlT_T0_E_clISt17integral_constantIbLb0EES1A_IbLb1EEEEDaS16_S17_EUlS16_E_NS1_11comp_targetILNS1_3genE10ELNS1_11target_archE1200ELNS1_3gpuE4ELNS1_3repE0EEENS1_30default_config_static_selectorELNS0_4arch9wavefront6targetE0EEEvT1_
	.p2align	8
	.type	_ZN7rocprim17ROCPRIM_400000_NS6detail17trampoline_kernelINS0_14default_configENS1_25partition_config_selectorILNS1_17partition_subalgoE5ExNS0_10empty_typeEbEEZZNS1_14partition_implILS5_5ELb0ES3_mN6thrust23THRUST_200600_302600_NS6detail15normal_iteratorINSA_10device_ptrIxEEEEPS6_NSA_18transform_iteratorINSB_9not_fun_tINSA_8identityIxEEEESF_NSA_11use_defaultESM_EENS0_5tupleIJSF_S6_EEENSO_IJSG_SG_EEES6_PlJS6_EEE10hipError_tPvRmT3_T4_T5_T6_T7_T9_mT8_P12ihipStream_tbDpT10_ENKUlT_T0_E_clISt17integral_constantIbLb0EES1A_IbLb1EEEEDaS16_S17_EUlS16_E_NS1_11comp_targetILNS1_3genE10ELNS1_11target_archE1200ELNS1_3gpuE4ELNS1_3repE0EEENS1_30default_config_static_selectorELNS0_4arch9wavefront6targetE0EEEvT1_,@function
_ZN7rocprim17ROCPRIM_400000_NS6detail17trampoline_kernelINS0_14default_configENS1_25partition_config_selectorILNS1_17partition_subalgoE5ExNS0_10empty_typeEbEEZZNS1_14partition_implILS5_5ELb0ES3_mN6thrust23THRUST_200600_302600_NS6detail15normal_iteratorINSA_10device_ptrIxEEEEPS6_NSA_18transform_iteratorINSB_9not_fun_tINSA_8identityIxEEEESF_NSA_11use_defaultESM_EENS0_5tupleIJSF_S6_EEENSO_IJSG_SG_EEES6_PlJS6_EEE10hipError_tPvRmT3_T4_T5_T6_T7_T9_mT8_P12ihipStream_tbDpT10_ENKUlT_T0_E_clISt17integral_constantIbLb0EES1A_IbLb1EEEEDaS16_S17_EUlS16_E_NS1_11comp_targetILNS1_3genE10ELNS1_11target_archE1200ELNS1_3gpuE4ELNS1_3repE0EEENS1_30default_config_static_selectorELNS0_4arch9wavefront6targetE0EEEvT1_: ; @_ZN7rocprim17ROCPRIM_400000_NS6detail17trampoline_kernelINS0_14default_configENS1_25partition_config_selectorILNS1_17partition_subalgoE5ExNS0_10empty_typeEbEEZZNS1_14partition_implILS5_5ELb0ES3_mN6thrust23THRUST_200600_302600_NS6detail15normal_iteratorINSA_10device_ptrIxEEEEPS6_NSA_18transform_iteratorINSB_9not_fun_tINSA_8identityIxEEEESF_NSA_11use_defaultESM_EENS0_5tupleIJSF_S6_EEENSO_IJSG_SG_EEES6_PlJS6_EEE10hipError_tPvRmT3_T4_T5_T6_T7_T9_mT8_P12ihipStream_tbDpT10_ENKUlT_T0_E_clISt17integral_constantIbLb0EES1A_IbLb1EEEEDaS16_S17_EUlS16_E_NS1_11comp_targetILNS1_3genE10ELNS1_11target_archE1200ELNS1_3gpuE4ELNS1_3repE0EEENS1_30default_config_static_selectorELNS0_4arch9wavefront6targetE0EEEvT1_
; %bb.0:
	s_clause 0x3
	s_load_b64 s[12:13], s[0:1], 0x30
	s_load_b128 s[4:7], s[0:1], 0x48
	s_load_b64 s[18:19], s[0:1], 0x58
	s_load_b64 s[14:15], s[0:1], 0x68
	v_cmp_eq_u32_e64 s2, 0, v0
	s_and_saveexec_b32 s3, s2
	s_cbranch_execz .LBB978_4
; %bb.1:
	s_mov_b32 s9, exec_lo
	s_mov_b32 s8, exec_lo
	v_mbcnt_lo_u32_b32 v1, s9, 0
                                        ; implicit-def: $vgpr2
	s_delay_alu instid0(VALU_DEP_1)
	v_cmpx_eq_u32_e32 0, v1
	s_cbranch_execz .LBB978_3
; %bb.2:
	s_load_b64 s[10:11], s[0:1], 0x78
	s_bcnt1_i32_b32 s9, s9
	s_wait_alu 0xfffe
	v_dual_mov_b32 v2, 0 :: v_dual_mov_b32 v3, s9
	s_wait_kmcnt 0x0
	global_atomic_add_u32 v2, v2, v3, s[10:11] th:TH_ATOMIC_RETURN scope:SCOPE_DEV
.LBB978_3:
	s_or_b32 exec_lo, exec_lo, s8
	s_wait_loadcnt 0x0
	v_readfirstlane_b32 s8, v2
	s_wait_alu 0xf1ff
	s_delay_alu instid0(VALU_DEP_1)
	v_dual_mov_b32 v2, 0 :: v_dual_add_nc_u32 v1, s8, v1
	ds_store_b32 v2, v1
.LBB978_4:
	s_or_b32 exec_lo, exec_lo, s3
	v_mov_b32_e32 v1, 0
	s_clause 0x2
	s_load_b128 s[8:11], s[0:1], 0x8
	s_load_b64 s[16:17], s[0:1], 0x20
	s_load_b32 s0, s[0:1], 0x70
	s_wait_dscnt 0x0
	s_barrier_signal -1
	s_barrier_wait -1
	global_inv scope:SCOPE_SE
	ds_load_b32 v2, v1
	s_wait_loadcnt_dscnt 0x0
	s_barrier_signal -1
	s_barrier_wait -1
	global_inv scope:SCOPE_SE
	s_wait_kmcnt 0x0
	global_load_b64 v[17:18], v1, s[6:7]
	s_mov_b32 s25, 0
	v_lshrrev_b32_e32 v11, 2, v0
	s_mov_b32 s23, s25
	v_or_b32_e32 v10, 0x200, v0
	v_or_b32_e32 v9, 0x300, v0
	s_lshl_b64 s[6:7], s[10:11], 3
	s_add_co_i32 s21, s0, -1
	s_lshl_b32 s24, s0, 10
	s_lshl_b32 s3, s21, 10
	s_add_nc_u64 s[0:1], s[10:11], s[24:25]
	s_add_co_i32 s3, s10, s3
	v_readfirstlane_b32 s20, v2
	v_cmp_le_u64_e64 s0, s[18:19], s[0:1]
	s_sub_co_i32 s3, s18, s3
	s_add_nc_u64 s[10:11], s[8:9], s[6:7]
	s_mov_b32 s1, -1
	s_lshl_b32 s22, s20, 10
	s_cmp_eq_u32 s20, s21
	s_cselect_b32 s18, -1, 0
	s_lshl_b64 s[8:9], s[22:23], 3
	s_wait_alu 0xfffe
	s_and_b32 s0, s0, s18
	s_add_nc_u64 s[10:11], s[10:11], s[8:9]
	s_wait_alu 0xfffe
	s_xor_b32 s19, s0, -1
	s_wait_alu 0xfffe
	s_and_b32 vcc_lo, exec_lo, s19
	s_cbranch_vccz .LBB978_6
; %bb.5:
	v_lshlrev_b32_e32 v12, 3, v0
	v_or_b32_e32 v13, 0x100, v0
	v_lshrrev_b32_e32 v14, 2, v10
	v_lshrrev_b32_e32 v15, 2, v9
	v_and_b32_e32 v16, 56, v11
	v_add_co_u32 v1, s0, s10, v12
	s_wait_alu 0xf1ff
	v_add_co_ci_u32_e64 v2, null, s11, 0, s0
	v_lshrrev_b32_e32 v13, 2, v13
	v_and_b32_e32 v14, 0xb8, v14
	v_and_b32_e32 v15, 0xf8, v15
	s_clause 0x3
	flat_load_b64 v[3:4], v[1:2]
	flat_load_b64 v[5:6], v[1:2] offset:2048
	flat_load_b64 v[7:8], v[1:2] offset:4096
	;; [unrolled: 1-line block ×3, first 2 shown]
	v_add_nc_u32_e32 v16, v16, v12
	v_and_b32_e32 v13, 0x78, v13
	v_add_nc_u32_e32 v14, v14, v12
	s_mov_b32 s1, 0
	s_delay_alu instid0(VALU_DEP_2)
	v_add_nc_u32_e32 v13, v13, v12
	v_add_nc_u32_e32 v12, v15, v12
	s_wait_loadcnt_dscnt 0x303
	ds_store_b64 v16, v[3:4]
	s_wait_loadcnt_dscnt 0x203
	ds_store_b64 v13, v[5:6] offset:2048
	s_wait_loadcnt_dscnt 0x103
	ds_store_b64 v14, v[7:8] offset:4096
	;; [unrolled: 2-line block ×3, first 2 shown]
	s_wait_dscnt 0x0
	s_barrier_signal -1
	s_barrier_wait -1
.LBB978_6:
	v_cmp_gt_u32_e64 s0, s3, v0
	s_wait_alu 0xfffe
	s_and_not1_b32 vcc_lo, exec_lo, s1
	s_cbranch_vccnz .LBB978_14
; %bb.7:
	v_mov_b32_e32 v1, 0
	s_delay_alu instid0(VALU_DEP_1)
	v_dual_mov_b32 v2, v1 :: v_dual_mov_b32 v3, v1
	v_dual_mov_b32 v4, v1 :: v_dual_mov_b32 v5, v1
	;; [unrolled: 1-line block ×3, first 2 shown]
	v_mov_b32_e32 v8, v1
	s_and_saveexec_b32 s1, s0
	s_cbranch_execz .LBB978_9
; %bb.8:
	v_dual_mov_b32 v21, v1 :: v_dual_lshlrev_b32 v2, 3, v0
	v_dual_mov_b32 v22, v1 :: v_dual_mov_b32 v23, v1
	v_dual_mov_b32 v24, v1 :: v_dual_mov_b32 v25, v1
	s_delay_alu instid0(VALU_DEP_3)
	v_add_co_u32 v2, s0, s10, v2
	s_wait_alu 0xf1ff
	v_add_co_ci_u32_e64 v3, null, s11, 0, s0
	v_mov_b32_e32 v26, v1
	flat_load_b64 v[19:20], v[2:3]
	s_wait_loadcnt_dscnt 0x0
	v_dual_mov_b32 v1, v19 :: v_dual_mov_b32 v2, v20
	v_dual_mov_b32 v3, v21 :: v_dual_mov_b32 v4, v22
	;; [unrolled: 1-line block ×4, first 2 shown]
.LBB978_9:
	s_wait_alu 0xfffe
	s_or_b32 exec_lo, exec_lo, s1
	v_or_b32_e32 v12, 0x100, v0
	s_mov_b32 s0, exec_lo
	s_delay_alu instid0(VALU_DEP_1)
	v_cmpx_gt_u32_e64 s3, v12
	s_cbranch_execnz .LBB978_138
; %bb.10:
	s_wait_alu 0xfffe
	s_or_b32 exec_lo, exec_lo, s0
	s_delay_alu instid0(SALU_CYCLE_1)
	s_mov_b32 s0, exec_lo
	v_cmpx_gt_u32_e64 s3, v10
	s_cbranch_execnz .LBB978_139
.LBB978_11:
	s_wait_alu 0xfffe
	s_or_b32 exec_lo, exec_lo, s0
	s_delay_alu instid0(SALU_CYCLE_1)
	s_mov_b32 s0, exec_lo
	v_cmpx_gt_u32_e64 s3, v9
	s_cbranch_execz .LBB978_13
.LBB978_12:
	v_lshlrev_b32_e32 v7, 3, v0
	s_delay_alu instid0(VALU_DEP_1)
	v_add_co_u32 v7, s1, s10, v7
	s_wait_alu 0xf1ff
	v_add_co_ci_u32_e64 v8, null, s11, 0, s1
	flat_load_b64 v[7:8], v[7:8] offset:6144
.LBB978_13:
	s_wait_alu 0xfffe
	s_or_b32 exec_lo, exec_lo, s0
	v_lshrrev_b32_e32 v12, 2, v12
	v_lshrrev_b32_e32 v13, 2, v10
	;; [unrolled: 1-line block ×3, first 2 shown]
	v_and_b32_e32 v11, 56, v11
	v_lshlrev_b32_e32 v15, 3, v0
	v_and_b32_e32 v12, 0x78, v12
	v_and_b32_e32 v13, 0xf8, v13
	;; [unrolled: 1-line block ×3, first 2 shown]
	s_delay_alu instid0(VALU_DEP_4) | instskip(NEXT) | instid1(VALU_DEP_4)
	v_add_nc_u32_e32 v11, v11, v15
	v_add_nc_u32_e32 v12, v12, v15
	s_delay_alu instid0(VALU_DEP_4) | instskip(NEXT) | instid1(VALU_DEP_4)
	v_add_nc_u32_e32 v13, v13, v15
	v_add_nc_u32_e32 v14, v14, v15
	ds_store_b64 v11, v[1:2]
	s_wait_loadcnt_dscnt 0x1
	ds_store_b64 v12, v[3:4] offset:2048
	ds_store_b64 v13, v[5:6] offset:4096
	;; [unrolled: 1-line block ×3, first 2 shown]
	s_wait_dscnt 0x0
	s_barrier_signal -1
	s_barrier_wait -1
.LBB978_14:
	v_and_b32_e32 v1, 0xf8, v0
	s_wait_loadcnt 0x0
	global_inv scope:SCOPE_SE
	v_lshrrev_b32_e32 v28, 5, v0
	s_add_nc_u64 s[0:1], s[16:17], s[6:7]
	s_and_b32 vcc_lo, exec_lo, s19
	v_lshl_add_u32 v1, v0, 5, v1
	s_wait_alu 0xfffe
	s_add_nc_u64 s[0:1], s[0:1], s[8:9]
	s_mov_b32 s6, -1
	ds_load_2addr_b64 v[5:8], v1 offset1:1
	ds_load_2addr_b64 v[1:4], v1 offset0:2 offset1:3
	s_wait_loadcnt_dscnt 0x0
	s_barrier_signal -1
	s_barrier_wait -1
	global_inv scope:SCOPE_SE
	s_cbranch_vccz .LBB978_16
; %bb.15:
	v_lshlrev_b32_e32 v19, 3, v0
	v_or_b32_e32 v21, 0x100, v0
	v_lshrrev_b32_e32 v22, 5, v10
	v_lshrrev_b32_e32 v23, 5, v9
	v_and_b32_e32 v24, 4, v28
	s_clause 0x3
	global_load_b64 v[11:12], v19, s[0:1]
	global_load_b64 v[13:14], v19, s[0:1] offset:2048
	global_load_b64 v[15:16], v19, s[0:1] offset:4096
	;; [unrolled: 1-line block ×3, first 2 shown]
	v_lshrrev_b32_e32 v21, 5, v21
	v_and_b32_e32 v22, 20, v22
	v_and_b32_e32 v23, 28, v23
	v_add_nc_u32_e32 v24, v24, v0
	s_mov_b32 s6, 0
	v_and_b32_e32 v21, 12, v21
	v_add_nc_u32_e32 v22, v22, v0
	v_add_nc_u32_e32 v23, v23, v0
	s_delay_alu instid0(VALU_DEP_3)
	v_add_nc_u32_e32 v21, v21, v0
	s_wait_loadcnt 0x3
	v_cmp_eq_u64_e32 vcc_lo, 0, v[11:12]
	v_cndmask_b32_e64 v11, 0, 1, vcc_lo
	s_wait_loadcnt 0x2
	v_cmp_eq_u64_e32 vcc_lo, 0, v[13:14]
	s_wait_alu 0xfffd
	v_cndmask_b32_e64 v12, 0, 1, vcc_lo
	s_wait_loadcnt 0x1
	v_cmp_eq_u64_e32 vcc_lo, 0, v[15:16]
	s_wait_alu 0xfffd
	;; [unrolled: 4-line block ×3, first 2 shown]
	v_cndmask_b32_e64 v14, 0, 1, vcc_lo
	ds_store_b8 v24, v11
	ds_store_b8 v21, v12 offset:256
	ds_store_b8 v22, v13 offset:512
	;; [unrolled: 1-line block ×3, first 2 shown]
	s_wait_dscnt 0x0
	s_barrier_signal -1
	s_barrier_wait -1
.LBB978_16:
	v_lshlrev_b32_e32 v11, 2, v0
	v_lshrrev_b32_e32 v12, 3, v0
	s_and_not1_b32 vcc_lo, exec_lo, s6
	s_wait_alu 0xfffe
	s_cbranch_vccnz .LBB978_24
; %bb.17:
	v_dual_mov_b32 v13, 0 :: v_dual_mov_b32 v14, 0
	s_mov_b32 s6, exec_lo
	v_cmpx_gt_u32_e64 s3, v0
	s_cbranch_execz .LBB978_19
; %bb.18:
	v_lshlrev_b32_e32 v13, 3, v0
	global_load_b64 v[13:14], v13, s[0:1]
	s_wait_loadcnt 0x0
	v_cmp_eq_u64_e32 vcc_lo, 0, v[13:14]
	s_wait_alu 0xfffd
	v_cndmask_b32_e64 v13, 0, 1, vcc_lo
	v_cndmask_b32_e64 v14, 0, 1, vcc_lo
.LBB978_19:
	s_or_b32 exec_lo, exec_lo, s6
	v_or_b32_e32 v15, 0x100, v0
	s_mov_b32 s6, exec_lo
	s_delay_alu instid0(VALU_DEP_1)
	v_cmpx_gt_u32_e64 s3, v15
	s_cbranch_execnz .LBB978_140
; %bb.20:
	s_or_b32 exec_lo, exec_lo, s6
	s_delay_alu instid0(SALU_CYCLE_1)
	s_mov_b32 s6, exec_lo
	v_cmpx_gt_u32_e64 s3, v10
	s_cbranch_execnz .LBB978_141
.LBB978_21:
	s_or_b32 exec_lo, exec_lo, s6
	v_cmp_gt_u32_e32 vcc_lo, s3, v9
	s_and_saveexec_b32 s3, vcc_lo
	s_cbranch_execz .LBB978_23
.LBB978_22:
	v_lshlrev_b32_e32 v16, 3, v0
	global_load_b64 v[19:20], v16, s[0:1] offset:6144
	s_wait_loadcnt 0x0
	v_cmp_eq_u64_e32 vcc_lo, 0, v[19:20]
	v_lshrrev_b32_e32 v19, 16, v14
	s_wait_alu 0xfffd
	v_cndmask_b32_e64 v16, 0, 1, vcc_lo
	s_delay_alu instid0(VALU_DEP_1) | instskip(NEXT) | instid1(VALU_DEP_1)
	v_lshlrev_b16 v16, 8, v16
	v_or_b32_e32 v16, v19, v16
	s_delay_alu instid0(VALU_DEP_1) | instskip(NEXT) | instid1(VALU_DEP_1)
	v_lshlrev_b32_e32 v16, 16, v16
	v_and_or_b32 v14, 0xffff, v14, v16
.LBB978_23:
	s_wait_alu 0xfffe
	s_or_b32 exec_lo, exec_lo, s3
	v_lshrrev_b32_e32 v15, 5, v15
	v_lshrrev_b32_e32 v10, 5, v10
	;; [unrolled: 1-line block ×3, first 2 shown]
	v_and_b32_e32 v16, 4, v28
	v_lshrrev_b32_e32 v19, 8, v14
	v_and_b32_e32 v15, 12, v15
	v_and_b32_e32 v10, 28, v10
	;; [unrolled: 1-line block ×3, first 2 shown]
	v_add_nc_u32_e32 v16, v16, v0
	v_lshrrev_b32_e32 v20, 24, v14
	v_add_nc_u32_e32 v15, v15, v0
	v_add_nc_u32_e32 v10, v10, v0
	;; [unrolled: 1-line block ×3, first 2 shown]
	ds_store_b8 v16, v13
	ds_store_b8 v15, v19 offset:256
	ds_store_b8_d16_hi v10, v14 offset:512
	ds_store_b8 v9, v20 offset:768
	s_wait_loadcnt_dscnt 0x0
	s_barrier_signal -1
	s_barrier_wait -1
.LBB978_24:
	s_delay_alu instid0(VALU_DEP_1)
	v_dual_mov_b32 v10, 0 :: v_dual_and_b32 v9, 28, v12
	s_wait_loadcnt 0x0
	global_inv scope:SCOPE_SE
	v_mbcnt_lo_u32_b32 v33, -1, 0
	s_cmp_lg_u32 s20, 0
	v_add_nc_u32_e32 v9, v9, v11
	s_mov_b32 s1, -1
	s_delay_alu instid0(VALU_DEP_2)
	v_and_b32_e32 v34, 15, v33
	ds_load_b32 v29, v9
	s_wait_loadcnt_dscnt 0x0
	s_barrier_signal -1
	s_barrier_wait -1
	global_inv scope:SCOPE_SE
	v_and_b32_e32 v32, 0xff, v29
	v_bfe_u32 v31, v29, 8, 8
	v_bfe_u32 v30, v29, 16, 8
	v_lshrrev_b32_e32 v27, 24, v29
	s_delay_alu instid0(VALU_DEP_2) | instskip(NEXT) | instid1(VALU_DEP_1)
	v_add3_u32 v9, v31, v32, v30
	v_add_co_u32 v19, s0, v9, v27
	s_wait_alu 0xf1ff
	v_add_co_ci_u32_e64 v20, null, 0, 0, s0
	v_cmp_ne_u32_e64 s0, 0, v34
	s_cbranch_scc0 .LBB978_81
; %bb.25:
	v_mov_b32_e32 v11, v19
	v_mov_b32_dpp v9, v19 row_shr:1 row_mask:0xf bank_mask:0xf
	v_mov_b32_dpp v14, v10 row_shr:1 row_mask:0xf bank_mask:0xf
	v_dual_mov_b32 v13, v19 :: v_dual_mov_b32 v12, v20
	s_and_saveexec_b32 s1, s0
; %bb.26:
	s_delay_alu instid0(VALU_DEP_3) | instskip(SKIP_2) | instid1(VALU_DEP_2)
	v_add_co_u32 v13, vcc_lo, v19, v9
	s_wait_alu 0xfffd
	v_add_co_ci_u32_e64 v10, null, 0, v20, vcc_lo
	v_add_co_u32 v9, vcc_lo, 0, v13
	s_wait_alu 0xfffd
	s_delay_alu instid0(VALU_DEP_2) | instskip(NEXT) | instid1(VALU_DEP_1)
	v_add_co_ci_u32_e64 v10, null, v14, v10, vcc_lo
	v_dual_mov_b32 v12, v10 :: v_dual_mov_b32 v11, v9
; %bb.27:
	s_wait_alu 0xfffe
	s_or_b32 exec_lo, exec_lo, s1
	v_mov_b32_dpp v9, v13 row_shr:2 row_mask:0xf bank_mask:0xf
	v_mov_b32_dpp v14, v10 row_shr:2 row_mask:0xf bank_mask:0xf
	s_mov_b32 s1, exec_lo
	v_cmpx_lt_u32_e32 1, v34
; %bb.28:
	s_delay_alu instid0(VALU_DEP_3) | instskip(SKIP_2) | instid1(VALU_DEP_2)
	v_add_co_u32 v13, vcc_lo, v11, v9
	s_wait_alu 0xfffd
	v_add_co_ci_u32_e64 v10, null, 0, v12, vcc_lo
	v_add_co_u32 v9, vcc_lo, 0, v13
	s_wait_alu 0xfffd
	s_delay_alu instid0(VALU_DEP_2) | instskip(NEXT) | instid1(VALU_DEP_1)
	v_add_co_ci_u32_e64 v10, null, v14, v10, vcc_lo
	v_dual_mov_b32 v12, v10 :: v_dual_mov_b32 v11, v9
; %bb.29:
	s_wait_alu 0xfffe
	s_or_b32 exec_lo, exec_lo, s1
	v_mov_b32_dpp v9, v13 row_shr:4 row_mask:0xf bank_mask:0xf
	v_mov_b32_dpp v14, v10 row_shr:4 row_mask:0xf bank_mask:0xf
	s_mov_b32 s1, exec_lo
	v_cmpx_lt_u32_e32 3, v34
; %bb.30:
	s_delay_alu instid0(VALU_DEP_3) | instskip(SKIP_2) | instid1(VALU_DEP_2)
	v_add_co_u32 v13, vcc_lo, v11, v9
	s_wait_alu 0xfffd
	v_add_co_ci_u32_e64 v10, null, 0, v12, vcc_lo
	v_add_co_u32 v9, vcc_lo, 0, v13
	s_wait_alu 0xfffd
	s_delay_alu instid0(VALU_DEP_2) | instskip(NEXT) | instid1(VALU_DEP_1)
	v_add_co_ci_u32_e64 v10, null, v14, v10, vcc_lo
	v_dual_mov_b32 v12, v10 :: v_dual_mov_b32 v11, v9
; %bb.31:
	s_wait_alu 0xfffe
	s_or_b32 exec_lo, exec_lo, s1
	v_mov_b32_dpp v14, v13 row_shr:8 row_mask:0xf bank_mask:0xf
	v_mov_b32_dpp v9, v10 row_shr:8 row_mask:0xf bank_mask:0xf
	s_mov_b32 s1, exec_lo
	v_cmpx_lt_u32_e32 7, v34
; %bb.32:
	s_delay_alu instid0(VALU_DEP_3) | instskip(SKIP_2) | instid1(VALU_DEP_2)
	v_add_co_u32 v13, vcc_lo, v11, v14
	s_wait_alu 0xfffd
	v_add_co_ci_u32_e64 v10, null, 0, v12, vcc_lo
	v_add_co_u32 v11, vcc_lo, 0, v13
	s_wait_alu 0xfffd
	s_delay_alu instid0(VALU_DEP_2) | instskip(NEXT) | instid1(VALU_DEP_1)
	v_add_co_ci_u32_e64 v12, null, v9, v10, vcc_lo
	v_mov_b32_e32 v10, v12
; %bb.33:
	s_wait_alu 0xfffe
	s_or_b32 exec_lo, exec_lo, s1
	ds_swizzle_b32 v9, v13 offset:swizzle(BROADCAST,32,15)
	ds_swizzle_b32 v14, v10 offset:swizzle(BROADCAST,32,15)
	v_and_b32_e32 v15, 16, v33
	s_mov_b32 s1, exec_lo
	s_delay_alu instid0(VALU_DEP_1)
	v_cmpx_ne_u32_e32 0, v15
	s_cbranch_execz .LBB978_35
; %bb.34:
	s_wait_dscnt 0x1
	v_add_co_u32 v13, vcc_lo, v11, v9
	s_wait_alu 0xfffd
	v_add_co_ci_u32_e64 v10, null, 0, v12, vcc_lo
	s_delay_alu instid0(VALU_DEP_2) | instskip(SKIP_2) | instid1(VALU_DEP_2)
	v_add_co_u32 v9, vcc_lo, 0, v13
	s_wait_dscnt 0x0
	s_wait_alu 0xfffd
	v_add_co_ci_u32_e64 v10, null, v14, v10, vcc_lo
	s_delay_alu instid0(VALU_DEP_1)
	v_dual_mov_b32 v12, v10 :: v_dual_mov_b32 v11, v9
.LBB978_35:
	s_wait_alu 0xfffe
	s_or_b32 exec_lo, exec_lo, s1
	s_wait_dscnt 0x1
	v_or_b32_e32 v9, 31, v0
	s_mov_b32 s1, exec_lo
	s_delay_alu instid0(VALU_DEP_1)
	v_cmpx_eq_u32_e64 v0, v9
; %bb.36:
	v_lshlrev_b32_e32 v9, 3, v28
	ds_store_b64 v9, v[11:12]
; %bb.37:
	s_wait_alu 0xfffe
	s_or_b32 exec_lo, exec_lo, s1
	s_delay_alu instid0(SALU_CYCLE_1)
	s_mov_b32 s1, exec_lo
	s_wait_loadcnt_dscnt 0x0
	s_barrier_signal -1
	s_barrier_wait -1
	global_inv scope:SCOPE_SE
	v_cmpx_gt_u32_e32 8, v0
	s_cbranch_execz .LBB978_45
; %bb.38:
	v_lshlrev_b32_e32 v9, 3, v0
	s_mov_b32 s3, exec_lo
	ds_load_b64 v[11:12], v9
	s_wait_dscnt 0x0
	v_dual_mov_b32 v15, v11 :: v_dual_and_b32 v14, 7, v33
	v_mov_b32_dpp v21, v11 row_shr:1 row_mask:0xf bank_mask:0xf
	v_mov_b32_dpp v16, v12 row_shr:1 row_mask:0xf bank_mask:0xf
	s_delay_alu instid0(VALU_DEP_3)
	v_cmpx_ne_u32_e32 0, v14
; %bb.39:
	s_delay_alu instid0(VALU_DEP_3) | instskip(SKIP_2) | instid1(VALU_DEP_2)
	v_add_co_u32 v15, vcc_lo, v11, v21
	s_wait_alu 0xfffd
	v_add_co_ci_u32_e64 v12, null, 0, v12, vcc_lo
	v_add_co_u32 v11, vcc_lo, 0, v15
	s_wait_alu 0xfffd
	s_delay_alu instid0(VALU_DEP_2)
	v_add_co_ci_u32_e64 v12, null, v16, v12, vcc_lo
; %bb.40:
	s_wait_alu 0xfffe
	s_or_b32 exec_lo, exec_lo, s3
	v_mov_b32_dpp v21, v15 row_shr:2 row_mask:0xf bank_mask:0xf
	s_delay_alu instid0(VALU_DEP_2)
	v_mov_b32_dpp v16, v12 row_shr:2 row_mask:0xf bank_mask:0xf
	s_mov_b32 s3, exec_lo
	v_cmpx_lt_u32_e32 1, v14
; %bb.41:
	s_delay_alu instid0(VALU_DEP_3) | instskip(SKIP_2) | instid1(VALU_DEP_2)
	v_add_co_u32 v15, vcc_lo, v11, v21
	s_wait_alu 0xfffd
	v_add_co_ci_u32_e64 v12, null, 0, v12, vcc_lo
	v_add_co_u32 v11, vcc_lo, 0, v15
	s_wait_alu 0xfffd
	s_delay_alu instid0(VALU_DEP_2)
	v_add_co_ci_u32_e64 v12, null, v16, v12, vcc_lo
; %bb.42:
	s_wait_alu 0xfffe
	s_or_b32 exec_lo, exec_lo, s3
	v_mov_b32_dpp v16, v15 row_shr:4 row_mask:0xf bank_mask:0xf
	s_delay_alu instid0(VALU_DEP_2)
	v_mov_b32_dpp v15, v12 row_shr:4 row_mask:0xf bank_mask:0xf
	s_mov_b32 s3, exec_lo
	v_cmpx_lt_u32_e32 3, v14
; %bb.43:
	s_delay_alu instid0(VALU_DEP_3) | instskip(SKIP_2) | instid1(VALU_DEP_2)
	v_add_co_u32 v11, vcc_lo, v11, v16
	s_wait_alu 0xfffd
	v_add_co_ci_u32_e64 v12, null, 0, v12, vcc_lo
	v_add_co_u32 v11, vcc_lo, v11, 0
	s_wait_alu 0xfffd
	s_delay_alu instid0(VALU_DEP_2)
	v_add_co_ci_u32_e64 v12, null, v12, v15, vcc_lo
; %bb.44:
	s_wait_alu 0xfffe
	s_or_b32 exec_lo, exec_lo, s3
	ds_store_b64 v9, v[11:12]
.LBB978_45:
	s_wait_alu 0xfffe
	s_or_b32 exec_lo, exec_lo, s1
	s_delay_alu instid0(SALU_CYCLE_1)
	s_mov_b32 s3, exec_lo
	v_cmp_gt_u32_e32 vcc_lo, 32, v0
	s_wait_loadcnt_dscnt 0x0
	s_barrier_signal -1
	s_barrier_wait -1
	global_inv scope:SCOPE_SE
                                        ; implicit-def: $vgpr21_vgpr22
	v_cmpx_lt_u32_e32 31, v0
	s_cbranch_execz .LBB978_47
; %bb.46:
	v_lshl_add_u32 v9, v28, 3, -8
	ds_load_b64 v[21:22], v9
	s_wait_dscnt 0x0
	v_add_co_u32 v13, s1, v13, v21
	s_wait_alu 0xf1ff
	v_add_co_ci_u32_e64 v10, null, v10, v22, s1
.LBB978_47:
	s_wait_alu 0xfffe
	s_or_b32 exec_lo, exec_lo, s3
	v_sub_co_u32 v9, s1, v33, 1
	s_delay_alu instid0(VALU_DEP_1) | instskip(SKIP_1) | instid1(VALU_DEP_1)
	v_cmp_gt_i32_e64 s3, 0, v9
	s_wait_alu 0xf1ff
	v_cndmask_b32_e64 v9, v9, v33, s3
	s_delay_alu instid0(VALU_DEP_1)
	v_lshlrev_b32_e32 v9, 2, v9
	ds_bpermute_b32 v35, v9, v13
	ds_bpermute_b32 v36, v9, v10
	s_and_saveexec_b32 s3, vcc_lo
	s_cbranch_execz .LBB978_86
; %bb.48:
	v_mov_b32_e32 v12, 0
	ds_load_b64 v[9:10], v12 offset:56
	s_and_saveexec_b32 s6, s1
	s_cbranch_execz .LBB978_50
; %bb.49:
	s_add_co_i32 s8, s20, 32
	s_mov_b32 s9, 0
	s_wait_alu 0xfffe
	s_lshl_b64 s[8:9], s[8:9], 4
	s_wait_alu 0xfffe
	s_add_nc_u64 s[8:9], s[14:15], s[8:9]
	s_wait_alu 0xfffe
	v_dual_mov_b32 v11, 1 :: v_dual_mov_b32 v14, s9
	v_mov_b32_e32 v13, s8
	s_wait_dscnt 0x0
	;;#ASMSTART
	global_store_b128 v[13:14], v[9:12] off scope:SCOPE_DEV	
s_wait_storecnt 0x0
	;;#ASMEND
.LBB978_50:
	s_or_b32 exec_lo, exec_lo, s6
	v_xad_u32 v23, v33, -1, s20
	s_mov_b32 s7, 0
	s_mov_b32 s6, exec_lo
	s_delay_alu instid0(VALU_DEP_1) | instskip(NEXT) | instid1(VALU_DEP_1)
	v_add_nc_u32_e32 v11, 32, v23
	v_lshlrev_b64_e32 v[11:12], 4, v[11:12]
	s_delay_alu instid0(VALU_DEP_1) | instskip(SKIP_1) | instid1(VALU_DEP_2)
	v_add_co_u32 v11, vcc_lo, s14, v11
	s_wait_alu 0xfffd
	v_add_co_ci_u32_e64 v12, null, s15, v12, vcc_lo
	;;#ASMSTART
	global_load_b128 v[13:16], v[11:12] off scope:SCOPE_DEV	
s_wait_loadcnt 0x0
	;;#ASMEND
	v_and_b32_e32 v16, 0xff, v15
	s_delay_alu instid0(VALU_DEP_1)
	v_cmpx_eq_u16_e32 0, v16
	s_cbranch_execz .LBB978_53
.LBB978_51:                             ; =>This Inner Loop Header: Depth=1
	;;#ASMSTART
	global_load_b128 v[13:16], v[11:12] off scope:SCOPE_DEV	
s_wait_loadcnt 0x0
	;;#ASMEND
	v_and_b32_e32 v16, 0xff, v15
	s_delay_alu instid0(VALU_DEP_1) | instskip(SKIP_1) | instid1(SALU_CYCLE_1)
	v_cmp_ne_u16_e32 vcc_lo, 0, v16
	s_or_b32 s7, vcc_lo, s7
	s_and_not1_b32 exec_lo, exec_lo, s7
	s_cbranch_execnz .LBB978_51
; %bb.52:
	s_or_b32 exec_lo, exec_lo, s7
.LBB978_53:
	s_delay_alu instid0(SALU_CYCLE_1)
	s_or_b32 exec_lo, exec_lo, s6
	v_cmp_ne_u32_e32 vcc_lo, 31, v33
	v_and_b32_e32 v12, 0xff, v15
	v_lshlrev_b32_e64 v38, v33, -1
	s_mov_b32 s6, exec_lo
	s_wait_alu 0xfffd
	v_add_co_ci_u32_e64 v11, null, 0, v33, vcc_lo
	v_cmp_eq_u16_e32 vcc_lo, 2, v12
	s_delay_alu instid0(VALU_DEP_2)
	v_dual_mov_b32 v12, v13 :: v_dual_lshlrev_b32 v37, 2, v11
	s_wait_alu 0xfffd
	v_and_or_b32 v11, vcc_lo, v38, 0x80000000
	ds_bpermute_b32 v24, v37, v13
	ds_bpermute_b32 v16, v37, v14
	v_ctz_i32_b32_e32 v11, v11
	s_delay_alu instid0(VALU_DEP_1)
	v_cmpx_lt_u32_e64 v33, v11
	s_cbranch_execz .LBB978_55
; %bb.54:
	s_wait_dscnt 0x1
	v_add_co_u32 v12, vcc_lo, v13, v24
	s_wait_alu 0xfffd
	v_add_co_ci_u32_e64 v14, null, 0, v14, vcc_lo
	s_delay_alu instid0(VALU_DEP_2) | instskip(SKIP_2) | instid1(VALU_DEP_2)
	v_add_co_u32 v13, vcc_lo, 0, v12
	s_wait_dscnt 0x0
	s_wait_alu 0xfffd
	v_add_co_ci_u32_e64 v14, null, v16, v14, vcc_lo
.LBB978_55:
	s_or_b32 exec_lo, exec_lo, s6
	v_cmp_gt_u32_e32 vcc_lo, 30, v33
	v_add_nc_u32_e32 v40, 2, v33
	s_mov_b32 s6, exec_lo
	s_wait_dscnt 0x0
	s_wait_alu 0xfffd
	v_cndmask_b32_e64 v16, 0, 2, vcc_lo
	s_delay_alu instid0(VALU_DEP_1)
	v_add_lshl_u32 v39, v16, v33, 2
	ds_bpermute_b32 v24, v39, v12
	ds_bpermute_b32 v16, v39, v14
	v_cmpx_le_u32_e64 v40, v11
	s_cbranch_execz .LBB978_57
; %bb.56:
	s_wait_dscnt 0x1
	v_add_co_u32 v12, vcc_lo, v13, v24
	s_wait_alu 0xfffd
	v_add_co_ci_u32_e64 v14, null, 0, v14, vcc_lo
	s_delay_alu instid0(VALU_DEP_2) | instskip(SKIP_2) | instid1(VALU_DEP_2)
	v_add_co_u32 v13, vcc_lo, 0, v12
	s_wait_dscnt 0x0
	s_wait_alu 0xfffd
	v_add_co_ci_u32_e64 v14, null, v16, v14, vcc_lo
.LBB978_57:
	s_or_b32 exec_lo, exec_lo, s6
	v_cmp_gt_u32_e32 vcc_lo, 28, v33
	v_add_nc_u32_e32 v42, 4, v33
	s_mov_b32 s6, exec_lo
	s_wait_dscnt 0x0
	s_wait_alu 0xfffd
	v_cndmask_b32_e64 v16, 0, 4, vcc_lo
	s_delay_alu instid0(VALU_DEP_1)
	v_add_lshl_u32 v41, v16, v33, 2
	ds_bpermute_b32 v24, v41, v12
	ds_bpermute_b32 v16, v41, v14
	v_cmpx_le_u32_e64 v42, v11
	;; [unrolled: 24-line block ×3, first 2 shown]
	s_cbranch_execz .LBB978_61
; %bb.60:
	s_wait_dscnt 0x1
	v_add_co_u32 v12, vcc_lo, v13, v24
	s_wait_alu 0xfffd
	v_add_co_ci_u32_e64 v14, null, 0, v14, vcc_lo
	s_delay_alu instid0(VALU_DEP_2) | instskip(SKIP_2) | instid1(VALU_DEP_2)
	v_add_co_u32 v13, vcc_lo, 0, v12
	s_wait_dscnt 0x0
	s_wait_alu 0xfffd
	v_add_co_ci_u32_e64 v14, null, v16, v14, vcc_lo
.LBB978_61:
	s_or_b32 exec_lo, exec_lo, s6
	v_lshl_or_b32 v45, v33, 2, 64
	v_add_nc_u32_e32 v46, 16, v33
	s_mov_b32 s6, exec_lo
	s_wait_dscnt 0x0
	ds_bpermute_b32 v16, v45, v12
	ds_bpermute_b32 v12, v45, v14
	v_cmpx_le_u32_e64 v46, v11
	s_cbranch_execz .LBB978_63
; %bb.62:
	s_wait_dscnt 0x1
	v_add_co_u32 v11, vcc_lo, v13, v16
	s_wait_alu 0xfffd
	v_add_co_ci_u32_e64 v14, null, 0, v14, vcc_lo
	s_delay_alu instid0(VALU_DEP_2) | instskip(SKIP_2) | instid1(VALU_DEP_2)
	v_add_co_u32 v13, vcc_lo, v11, 0
	s_wait_dscnt 0x0
	s_wait_alu 0xfffd
	v_add_co_ci_u32_e64 v14, null, v14, v12, vcc_lo
.LBB978_63:
	s_or_b32 exec_lo, exec_lo, s6
	v_mov_b32_e32 v24, 0
	s_branch .LBB978_66
.LBB978_64:                             ;   in Loop: Header=BB978_66 Depth=1
	s_or_b32 exec_lo, exec_lo, s6
	v_add_co_u32 v13, vcc_lo, v13, v11
	v_subrev_nc_u32_e32 v23, 32, v23
	s_wait_alu 0xfffd
	v_add_co_ci_u32_e64 v14, null, v14, v12, vcc_lo
	s_mov_b32 s6, 0
.LBB978_65:                             ;   in Loop: Header=BB978_66 Depth=1
	s_delay_alu instid0(SALU_CYCLE_1)
	s_and_b32 vcc_lo, exec_lo, s6
	s_wait_alu 0xfffe
	s_cbranch_vccnz .LBB978_82
.LBB978_66:                             ; =>This Loop Header: Depth=1
                                        ;     Child Loop BB978_69 Depth 2
	v_and_b32_e32 v11, 0xff, v15
	s_mov_b32 s6, -1
	s_delay_alu instid0(VALU_DEP_1)
	v_cmp_ne_u16_e32 vcc_lo, 2, v11
	s_wait_dscnt 0x0
	v_dual_mov_b32 v11, v13 :: v_dual_mov_b32 v12, v14
                                        ; implicit-def: $vgpr13_vgpr14
	s_cmp_lg_u32 vcc_lo, exec_lo
	s_cbranch_scc1 .LBB978_65
; %bb.67:                               ;   in Loop: Header=BB978_66 Depth=1
	v_lshlrev_b64_e32 v[13:14], 4, v[23:24]
	s_mov_b32 s6, exec_lo
	s_delay_alu instid0(VALU_DEP_1) | instskip(SKIP_1) | instid1(VALU_DEP_2)
	v_add_co_u32 v25, vcc_lo, s14, v13
	s_wait_alu 0xfffd
	v_add_co_ci_u32_e64 v26, null, s15, v14, vcc_lo
	;;#ASMSTART
	global_load_b128 v[13:16], v[25:26] off scope:SCOPE_DEV	
s_wait_loadcnt 0x0
	;;#ASMEND
	v_and_b32_e32 v16, 0xff, v15
	s_delay_alu instid0(VALU_DEP_1)
	v_cmpx_eq_u16_e32 0, v16
	s_cbranch_execz .LBB978_71
; %bb.68:                               ;   in Loop: Header=BB978_66 Depth=1
	s_mov_b32 s7, 0
.LBB978_69:                             ;   Parent Loop BB978_66 Depth=1
                                        ; =>  This Inner Loop Header: Depth=2
	;;#ASMSTART
	global_load_b128 v[13:16], v[25:26] off scope:SCOPE_DEV	
s_wait_loadcnt 0x0
	;;#ASMEND
	v_and_b32_e32 v16, 0xff, v15
	s_delay_alu instid0(VALU_DEP_1) | instskip(SKIP_1) | instid1(SALU_CYCLE_1)
	v_cmp_ne_u16_e32 vcc_lo, 0, v16
	s_or_b32 s7, vcc_lo, s7
	s_and_not1_b32 exec_lo, exec_lo, s7
	s_cbranch_execnz .LBB978_69
; %bb.70:                               ;   in Loop: Header=BB978_66 Depth=1
	s_or_b32 exec_lo, exec_lo, s7
.LBB978_71:                             ;   in Loop: Header=BB978_66 Depth=1
	s_delay_alu instid0(SALU_CYCLE_1)
	s_or_b32 exec_lo, exec_lo, s6
	v_dual_mov_b32 v25, v13 :: v_dual_and_b32 v16, 0xff, v15
	ds_bpermute_b32 v47, v37, v13
	ds_bpermute_b32 v26, v37, v14
	s_mov_b32 s6, exec_lo
	v_cmp_eq_u16_e32 vcc_lo, 2, v16
	s_wait_alu 0xfffd
	v_and_or_b32 v16, vcc_lo, v38, 0x80000000
	s_delay_alu instid0(VALU_DEP_1) | instskip(NEXT) | instid1(VALU_DEP_1)
	v_ctz_i32_b32_e32 v16, v16
	v_cmpx_lt_u32_e64 v33, v16
	s_cbranch_execz .LBB978_73
; %bb.72:                               ;   in Loop: Header=BB978_66 Depth=1
	s_wait_dscnt 0x1
	v_add_co_u32 v25, vcc_lo, v13, v47
	s_wait_alu 0xfffd
	v_add_co_ci_u32_e64 v14, null, 0, v14, vcc_lo
	s_delay_alu instid0(VALU_DEP_2) | instskip(SKIP_2) | instid1(VALU_DEP_2)
	v_add_co_u32 v13, vcc_lo, 0, v25
	s_wait_dscnt 0x0
	s_wait_alu 0xfffd
	v_add_co_ci_u32_e64 v14, null, v26, v14, vcc_lo
.LBB978_73:                             ;   in Loop: Header=BB978_66 Depth=1
	s_or_b32 exec_lo, exec_lo, s6
	s_wait_dscnt 0x1
	ds_bpermute_b32 v47, v39, v25
	s_wait_dscnt 0x1
	ds_bpermute_b32 v26, v39, v14
	s_mov_b32 s6, exec_lo
	v_cmpx_le_u32_e64 v40, v16
	s_cbranch_execz .LBB978_75
; %bb.74:                               ;   in Loop: Header=BB978_66 Depth=1
	s_wait_dscnt 0x1
	v_add_co_u32 v25, vcc_lo, v13, v47
	s_wait_alu 0xfffd
	v_add_co_ci_u32_e64 v14, null, 0, v14, vcc_lo
	s_delay_alu instid0(VALU_DEP_2) | instskip(SKIP_2) | instid1(VALU_DEP_2)
	v_add_co_u32 v13, vcc_lo, 0, v25
	s_wait_dscnt 0x0
	s_wait_alu 0xfffd
	v_add_co_ci_u32_e64 v14, null, v26, v14, vcc_lo
.LBB978_75:                             ;   in Loop: Header=BB978_66 Depth=1
	s_or_b32 exec_lo, exec_lo, s6
	s_wait_dscnt 0x1
	ds_bpermute_b32 v47, v41, v25
	s_wait_dscnt 0x1
	ds_bpermute_b32 v26, v41, v14
	s_mov_b32 s6, exec_lo
	v_cmpx_le_u32_e64 v42, v16
	;; [unrolled: 19-line block ×3, first 2 shown]
	s_cbranch_execz .LBB978_79
; %bb.78:                               ;   in Loop: Header=BB978_66 Depth=1
	s_wait_dscnt 0x1
	v_add_co_u32 v25, vcc_lo, v13, v47
	s_wait_alu 0xfffd
	v_add_co_ci_u32_e64 v14, null, 0, v14, vcc_lo
	s_delay_alu instid0(VALU_DEP_2) | instskip(SKIP_2) | instid1(VALU_DEP_2)
	v_add_co_u32 v13, vcc_lo, 0, v25
	s_wait_dscnt 0x0
	s_wait_alu 0xfffd
	v_add_co_ci_u32_e64 v14, null, v26, v14, vcc_lo
.LBB978_79:                             ;   in Loop: Header=BB978_66 Depth=1
	s_or_b32 exec_lo, exec_lo, s6
	s_wait_dscnt 0x0
	ds_bpermute_b32 v26, v45, v25
	ds_bpermute_b32 v25, v45, v14
	s_mov_b32 s6, exec_lo
	v_cmpx_le_u32_e64 v46, v16
	s_cbranch_execz .LBB978_64
; %bb.80:                               ;   in Loop: Header=BB978_66 Depth=1
	s_wait_dscnt 0x1
	v_add_co_u32 v13, vcc_lo, v13, v26
	s_wait_alu 0xfffd
	v_add_co_ci_u32_e64 v14, null, 0, v14, vcc_lo
	s_delay_alu instid0(VALU_DEP_2) | instskip(SKIP_2) | instid1(VALU_DEP_2)
	v_add_co_u32 v13, vcc_lo, v13, 0
	s_wait_dscnt 0x0
	s_wait_alu 0xfffd
	v_add_co_ci_u32_e64 v14, null, v14, v25, vcc_lo
	s_branch .LBB978_64
.LBB978_81:
                                        ; implicit-def: $vgpr15_vgpr16
                                        ; implicit-def: $vgpr13_vgpr14
                                        ; implicit-def: $vgpr21_vgpr22
                                        ; implicit-def: $vgpr23_vgpr24
                                        ; implicit-def: $vgpr11_vgpr12
	s_wait_alu 0xfffe
	s_and_b32 vcc_lo, exec_lo, s1
	s_wait_alu 0xfffe
	s_cbranch_vccnz .LBB978_87
	s_branch .LBB978_112
.LBB978_82:
	s_and_saveexec_b32 s6, s1
	s_cbranch_execz .LBB978_84
; %bb.83:
	s_add_co_i32 s8, s20, 32
	s_mov_b32 s9, 0
	v_add_co_u32 v13, vcc_lo, v11, v9
	s_wait_alu 0xfffe
	s_lshl_b64 s[8:9], s[8:9], 4
	v_dual_mov_b32 v15, 2 :: v_dual_mov_b32 v16, 0
	s_wait_alu 0xfffe
	s_add_nc_u64 s[8:9], s[14:15], s[8:9]
	s_wait_alu 0xfffd
	v_add_co_ci_u32_e64 v14, null, v12, v10, vcc_lo
	s_wait_alu 0xfffe
	v_dual_mov_b32 v24, s9 :: v_dual_mov_b32 v23, s8
	;;#ASMSTART
	global_store_b128 v[23:24], v[13:16] off scope:SCOPE_DEV	
s_wait_storecnt 0x0
	;;#ASMEND
	ds_store_b128 v16, v[9:12] offset:8448
.LBB978_84:
	s_or_b32 exec_lo, exec_lo, s6
	s_delay_alu instid0(SALU_CYCLE_1)
	s_and_b32 exec_lo, exec_lo, s2
; %bb.85:
	v_mov_b32_e32 v9, 0
	ds_store_b64 v9, v[11:12] offset:56
.LBB978_86:
	s_wait_alu 0xfffe
	s_or_b32 exec_lo, exec_lo, s3
	v_mov_b32_e32 v9, 0
	s_wait_loadcnt_dscnt 0x0
	s_barrier_signal -1
	s_barrier_wait -1
	global_inv scope:SCOPE_SE
	ds_load_b64 v[13:14], v9 offset:56
	v_cndmask_b32_e64 v11, v35, v21, s1
	v_cndmask_b32_e64 v10, v36, v22, s1
	s_wait_loadcnt_dscnt 0x0
	s_barrier_signal -1
	s_barrier_wait -1
	v_cndmask_b32_e64 v16, v11, 0, s2
	v_cndmask_b32_e64 v15, v10, 0, s2
	global_inv scope:SCOPE_SE
	ds_load_b128 v[9:12], v9 offset:8448
	v_add_co_u32 v23, vcc_lo, v13, v16
	s_wait_alu 0xfffd
	v_add_co_ci_u32_e64 v24, null, v14, v15, vcc_lo
	s_delay_alu instid0(VALU_DEP_2) | instskip(SKIP_1) | instid1(VALU_DEP_2)
	v_add_co_u32 v21, vcc_lo, v23, v32
	s_wait_alu 0xfffd
	v_add_co_ci_u32_e64 v22, null, 0, v24, vcc_lo
	s_delay_alu instid0(VALU_DEP_2) | instskip(SKIP_1) | instid1(VALU_DEP_2)
	;; [unrolled: 4-line block ×3, first 2 shown]
	v_add_co_u32 v15, vcc_lo, v13, v30
	s_wait_alu 0xfffd
	v_add_co_ci_u32_e64 v16, null, 0, v14, vcc_lo
	s_branch .LBB978_112
.LBB978_87:
	s_wait_dscnt 0x0
	v_dual_mov_b32 v10, 0 :: v_dual_mov_b32 v11, v19
	v_mov_b32_dpp v12, v19 row_shr:1 row_mask:0xf bank_mask:0xf
	s_delay_alu instid0(VALU_DEP_2)
	v_mov_b32_dpp v9, v10 row_shr:1 row_mask:0xf bank_mask:0xf
	s_and_saveexec_b32 s1, s0
; %bb.88:
	s_delay_alu instid0(VALU_DEP_2) | instskip(SKIP_2) | instid1(VALU_DEP_2)
	v_add_co_u32 v11, vcc_lo, v19, v12
	s_wait_alu 0xfffd
	v_add_co_ci_u32_e64 v10, null, 0, v20, vcc_lo
	v_add_co_u32 v19, vcc_lo, 0, v11
	s_wait_alu 0xfffd
	s_delay_alu instid0(VALU_DEP_2) | instskip(NEXT) | instid1(VALU_DEP_1)
	v_add_co_ci_u32_e64 v20, null, v9, v10, vcc_lo
	v_mov_b32_e32 v10, v20
; %bb.89:
	s_wait_alu 0xfffe
	s_or_b32 exec_lo, exec_lo, s1
	v_mov_b32_dpp v9, v11 row_shr:2 row_mask:0xf bank_mask:0xf
	s_delay_alu instid0(VALU_DEP_2)
	v_mov_b32_dpp v12, v10 row_shr:2 row_mask:0xf bank_mask:0xf
	s_mov_b32 s0, exec_lo
	v_cmpx_lt_u32_e32 1, v34
; %bb.90:
	s_delay_alu instid0(VALU_DEP_3) | instskip(SKIP_2) | instid1(VALU_DEP_2)
	v_add_co_u32 v11, vcc_lo, v19, v9
	s_wait_alu 0xfffd
	v_add_co_ci_u32_e64 v10, null, 0, v20, vcc_lo
	v_add_co_u32 v9, vcc_lo, 0, v11
	s_wait_alu 0xfffd
	s_delay_alu instid0(VALU_DEP_2) | instskip(NEXT) | instid1(VALU_DEP_1)
	v_add_co_ci_u32_e64 v10, null, v12, v10, vcc_lo
	v_dual_mov_b32 v20, v10 :: v_dual_mov_b32 v19, v9
; %bb.91:
	s_wait_alu 0xfffe
	s_or_b32 exec_lo, exec_lo, s0
	v_mov_b32_dpp v9, v11 row_shr:4 row_mask:0xf bank_mask:0xf
	v_mov_b32_dpp v12, v10 row_shr:4 row_mask:0xf bank_mask:0xf
	s_mov_b32 s0, exec_lo
	v_cmpx_lt_u32_e32 3, v34
; %bb.92:
	s_delay_alu instid0(VALU_DEP_3) | instskip(SKIP_2) | instid1(VALU_DEP_2)
	v_add_co_u32 v11, vcc_lo, v19, v9
	s_wait_alu 0xfffd
	v_add_co_ci_u32_e64 v10, null, 0, v20, vcc_lo
	v_add_co_u32 v9, vcc_lo, 0, v11
	s_wait_alu 0xfffd
	s_delay_alu instid0(VALU_DEP_2) | instskip(NEXT) | instid1(VALU_DEP_1)
	v_add_co_ci_u32_e64 v10, null, v12, v10, vcc_lo
	v_dual_mov_b32 v20, v10 :: v_dual_mov_b32 v19, v9
; %bb.93:
	s_wait_alu 0xfffe
	s_or_b32 exec_lo, exec_lo, s0
	v_mov_b32_dpp v12, v11 row_shr:8 row_mask:0xf bank_mask:0xf
	v_mov_b32_dpp v9, v10 row_shr:8 row_mask:0xf bank_mask:0xf
	s_mov_b32 s0, exec_lo
	v_cmpx_lt_u32_e32 7, v34
; %bb.94:
	s_delay_alu instid0(VALU_DEP_3) | instskip(SKIP_2) | instid1(VALU_DEP_2)
	v_add_co_u32 v11, vcc_lo, v19, v12
	s_wait_alu 0xfffd
	v_add_co_ci_u32_e64 v10, null, 0, v20, vcc_lo
	v_add_co_u32 v19, vcc_lo, 0, v11
	s_wait_alu 0xfffd
	s_delay_alu instid0(VALU_DEP_2) | instskip(NEXT) | instid1(VALU_DEP_1)
	v_add_co_ci_u32_e64 v20, null, v9, v10, vcc_lo
	v_mov_b32_e32 v10, v20
; %bb.95:
	s_wait_alu 0xfffe
	s_or_b32 exec_lo, exec_lo, s0
	ds_swizzle_b32 v11, v11 offset:swizzle(BROADCAST,32,15)
	ds_swizzle_b32 v9, v10 offset:swizzle(BROADCAST,32,15)
	v_and_b32_e32 v10, 16, v33
	s_mov_b32 s0, exec_lo
	s_delay_alu instid0(VALU_DEP_1)
	v_cmpx_ne_u32_e32 0, v10
	s_cbranch_execz .LBB978_97
; %bb.96:
	s_wait_dscnt 0x1
	v_add_co_u32 v10, vcc_lo, v19, v11
	s_wait_alu 0xfffd
	v_add_co_ci_u32_e64 v11, null, 0, v20, vcc_lo
	s_delay_alu instid0(VALU_DEP_2) | instskip(SKIP_2) | instid1(VALU_DEP_2)
	v_add_co_u32 v19, vcc_lo, v10, 0
	s_wait_dscnt 0x0
	s_wait_alu 0xfffd
	v_add_co_ci_u32_e64 v20, null, v11, v9, vcc_lo
.LBB978_97:
	s_wait_alu 0xfffe
	s_or_b32 exec_lo, exec_lo, s0
	s_wait_dscnt 0x0
	v_or_b32_e32 v9, 31, v0
	s_mov_b32 s0, exec_lo
	s_delay_alu instid0(VALU_DEP_1)
	v_cmpx_eq_u32_e64 v0, v9
; %bb.98:
	v_lshlrev_b32_e32 v9, 3, v28
	ds_store_b64 v9, v[19:20]
; %bb.99:
	s_wait_alu 0xfffe
	s_or_b32 exec_lo, exec_lo, s0
	s_delay_alu instid0(SALU_CYCLE_1)
	s_mov_b32 s0, exec_lo
	s_wait_loadcnt_dscnt 0x0
	s_barrier_signal -1
	s_barrier_wait -1
	global_inv scope:SCOPE_SE
	v_cmpx_gt_u32_e32 8, v0
	s_cbranch_execz .LBB978_107
; %bb.100:
	v_lshlrev_b32_e32 v11, 3, v0
	s_mov_b32 s1, exec_lo
	ds_load_b64 v[9:10], v11
	s_wait_dscnt 0x0
	v_dual_mov_b32 v13, v9 :: v_dual_and_b32 v12, 7, v33
	v_mov_b32_dpp v15, v9 row_shr:1 row_mask:0xf bank_mask:0xf
	v_mov_b32_dpp v14, v10 row_shr:1 row_mask:0xf bank_mask:0xf
	s_delay_alu instid0(VALU_DEP_3)
	v_cmpx_ne_u32_e32 0, v12
; %bb.101:
	s_delay_alu instid0(VALU_DEP_3) | instskip(SKIP_2) | instid1(VALU_DEP_2)
	v_add_co_u32 v13, vcc_lo, v9, v15
	s_wait_alu 0xfffd
	v_add_co_ci_u32_e64 v10, null, 0, v10, vcc_lo
	v_add_co_u32 v9, vcc_lo, 0, v13
	s_wait_alu 0xfffd
	s_delay_alu instid0(VALU_DEP_2)
	v_add_co_ci_u32_e64 v10, null, v14, v10, vcc_lo
; %bb.102:
	s_wait_alu 0xfffe
	s_or_b32 exec_lo, exec_lo, s1
	v_mov_b32_dpp v15, v13 row_shr:2 row_mask:0xf bank_mask:0xf
	s_delay_alu instid0(VALU_DEP_2)
	v_mov_b32_dpp v14, v10 row_shr:2 row_mask:0xf bank_mask:0xf
	s_mov_b32 s1, exec_lo
	v_cmpx_lt_u32_e32 1, v12
; %bb.103:
	s_delay_alu instid0(VALU_DEP_3) | instskip(SKIP_2) | instid1(VALU_DEP_2)
	v_add_co_u32 v13, vcc_lo, v9, v15
	s_wait_alu 0xfffd
	v_add_co_ci_u32_e64 v10, null, 0, v10, vcc_lo
	v_add_co_u32 v9, vcc_lo, 0, v13
	s_wait_alu 0xfffd
	s_delay_alu instid0(VALU_DEP_2)
	v_add_co_ci_u32_e64 v10, null, v14, v10, vcc_lo
; %bb.104:
	s_wait_alu 0xfffe
	s_or_b32 exec_lo, exec_lo, s1
	v_mov_b32_dpp v14, v13 row_shr:4 row_mask:0xf bank_mask:0xf
	s_delay_alu instid0(VALU_DEP_2)
	v_mov_b32_dpp v13, v10 row_shr:4 row_mask:0xf bank_mask:0xf
	s_mov_b32 s1, exec_lo
	v_cmpx_lt_u32_e32 3, v12
; %bb.105:
	s_delay_alu instid0(VALU_DEP_3) | instskip(SKIP_2) | instid1(VALU_DEP_2)
	v_add_co_u32 v9, vcc_lo, v9, v14
	s_wait_alu 0xfffd
	v_add_co_ci_u32_e64 v10, null, 0, v10, vcc_lo
	v_add_co_u32 v9, vcc_lo, v9, 0
	s_wait_alu 0xfffd
	s_delay_alu instid0(VALU_DEP_2)
	v_add_co_ci_u32_e64 v10, null, v10, v13, vcc_lo
; %bb.106:
	s_wait_alu 0xfffe
	s_or_b32 exec_lo, exec_lo, s1
	ds_store_b64 v11, v[9:10]
.LBB978_107:
	s_wait_alu 0xfffe
	s_or_b32 exec_lo, exec_lo, s0
	v_mov_b32_e32 v13, 0
	v_mov_b32_e32 v14, 0
	s_mov_b32 s0, exec_lo
	s_wait_loadcnt_dscnt 0x0
	s_barrier_signal -1
	s_barrier_wait -1
	global_inv scope:SCOPE_SE
	v_cmpx_lt_u32_e32 31, v0
; %bb.108:
	v_lshl_add_u32 v9, v28, 3, -8
	ds_load_b64 v[13:14], v9
; %bb.109:
	s_wait_alu 0xfffe
	s_or_b32 exec_lo, exec_lo, s0
	v_sub_co_u32 v9, vcc_lo, v33, 1
	v_mov_b32_e32 v12, 0
	s_delay_alu instid0(VALU_DEP_2) | instskip(SKIP_1) | instid1(VALU_DEP_1)
	v_cmp_gt_i32_e64 s0, 0, v9
	s_wait_alu 0xf1ff
	v_cndmask_b32_e64 v9, v9, v33, s0
	s_wait_dscnt 0x0
	v_add_co_u32 v10, s0, v13, v19
	s_wait_alu 0xf1ff
	v_add_co_ci_u32_e64 v11, null, v14, v20, s0
	v_lshlrev_b32_e32 v9, 2, v9
	ds_bpermute_b32 v15, v9, v10
	ds_bpermute_b32 v16, v9, v11
	ds_load_b64 v[9:10], v12 offset:56
	s_and_saveexec_b32 s0, s2
	s_cbranch_execz .LBB978_111
; %bb.110:
	s_add_nc_u64 s[6:7], s[14:15], 0x200
	s_delay_alu instid0(SALU_CYCLE_1)
	v_dual_mov_b32 v11, 2 :: v_dual_mov_b32 v20, s7
	v_mov_b32_e32 v19, s6
	s_wait_dscnt 0x0
	;;#ASMSTART
	global_store_b128 v[19:20], v[9:12] off scope:SCOPE_DEV	
s_wait_storecnt 0x0
	;;#ASMEND
.LBB978_111:
	s_wait_alu 0xfffe
	s_or_b32 exec_lo, exec_lo, s0
	s_wait_dscnt 0x1
	s_wait_alu 0xfffd
	v_dual_cndmask_b32 v11, v15, v13 :: v_dual_cndmask_b32 v12, v16, v14
	s_wait_loadcnt_dscnt 0x0
	s_barrier_signal -1
	s_barrier_wait -1
	s_delay_alu instid0(VALU_DEP_1)
	v_cndmask_b32_e64 v23, v11, 0, s2
	v_cndmask_b32_e64 v24, v12, 0, s2
	v_mov_b32_e32 v11, 0
	v_mov_b32_e32 v12, 0
	global_inv scope:SCOPE_SE
	v_add_co_u32 v21, vcc_lo, v23, v32
	s_wait_alu 0xfffd
	v_add_co_ci_u32_e64 v22, null, 0, v24, vcc_lo
	s_delay_alu instid0(VALU_DEP_2) | instskip(SKIP_1) | instid1(VALU_DEP_2)
	v_add_co_u32 v13, vcc_lo, v21, v31
	s_wait_alu 0xfffd
	v_add_co_ci_u32_e64 v14, null, 0, v22, vcc_lo
	s_delay_alu instid0(VALU_DEP_2) | instskip(SKIP_1) | instid1(VALU_DEP_2)
	v_add_co_u32 v15, vcc_lo, v13, v30
	s_wait_alu 0xfffd
	v_add_co_ci_u32_e64 v16, null, 0, v14, vcc_lo
.LBB978_112:
	v_and_b32_e32 v28, 1, v29
	s_wait_dscnt 0x0
	v_cmp_gt_u64_e32 vcc_lo, 0x101, v[9:10]
	v_lshrrev_b32_e32 v25, 16, v29
	v_lshrrev_b32_e32 v26, 8, v29
	s_mov_b32 s1, -1
	v_cmp_eq_u32_e64 s0, 1, v28
	s_cbranch_vccnz .LBB978_116
; %bb.113:
	s_wait_alu 0xfffe
	s_and_b32 vcc_lo, exec_lo, s1
	s_wait_alu 0xfffe
	s_cbranch_vccnz .LBB978_125
.LBB978_114:
	s_and_b32 s0, s2, s18
	s_wait_alu 0xfffe
	s_and_saveexec_b32 s1, s0
	s_cbranch_execnz .LBB978_137
.LBB978_115:
	s_endpgm
.LBB978_116:
	v_add_co_u32 v19, vcc_lo, v11, v9
	s_wait_alu 0xfffd
	v_add_co_ci_u32_e64 v20, null, v12, v10, vcc_lo
	v_lshlrev_b64_e32 v[29:30], 3, v[17:18]
	s_delay_alu instid0(VALU_DEP_2) | instskip(NEXT) | instid1(VALU_DEP_2)
	v_cmp_lt_u64_e32 vcc_lo, v[23:24], v[19:20]
	v_add_co_u32 v29, s1, s12, v29
	s_wait_alu 0xf1fe
	s_delay_alu instid0(VALU_DEP_3)
	v_add_co_ci_u32_e64 v30, null, s13, v30, s1
	s_or_b32 s1, s19, vcc_lo
	s_wait_alu 0xfffe
	s_and_b32 s1, s1, s0
	s_wait_alu 0xfffe
	s_and_saveexec_b32 s0, s1
	s_cbranch_execz .LBB978_118
; %bb.117:
	v_lshlrev_b64_e32 v[31:32], 3, v[23:24]
	s_delay_alu instid0(VALU_DEP_1) | instskip(SKIP_1) | instid1(VALU_DEP_2)
	v_add_co_u32 v31, vcc_lo, v29, v31
	s_wait_alu 0xfffd
	v_add_co_ci_u32_e64 v32, null, v30, v32, vcc_lo
	global_store_b64 v[31:32], v[5:6], off
.LBB978_118:
	s_wait_alu 0xfffe
	s_or_b32 exec_lo, exec_lo, s0
	v_and_b32_e32 v24, 1, v26
	v_cmp_lt_u64_e32 vcc_lo, v[21:22], v[19:20]
	s_delay_alu instid0(VALU_DEP_2)
	v_cmp_eq_u32_e64 s0, 1, v24
	s_or_b32 s1, s19, vcc_lo
	s_wait_alu 0xfffe
	s_and_b32 s1, s1, s0
	s_wait_alu 0xfffe
	s_and_saveexec_b32 s0, s1
	s_cbranch_execz .LBB978_120
; %bb.119:
	v_lshlrev_b64_e32 v[31:32], 3, v[21:22]
	s_delay_alu instid0(VALU_DEP_1) | instskip(SKIP_1) | instid1(VALU_DEP_2)
	v_add_co_u32 v31, vcc_lo, v29, v31
	s_wait_alu 0xfffd
	v_add_co_ci_u32_e64 v32, null, v30, v32, vcc_lo
	global_store_b64 v[31:32], v[7:8], off
.LBB978_120:
	s_wait_alu 0xfffe
	s_or_b32 exec_lo, exec_lo, s0
	v_and_b32_e32 v22, 1, v25
	v_cmp_lt_u64_e32 vcc_lo, v[13:14], v[19:20]
	s_delay_alu instid0(VALU_DEP_2)
	v_cmp_eq_u32_e64 s0, 1, v22
	;; [unrolled: 20-line block ×3, first 2 shown]
	s_or_b32 s1, s19, vcc_lo
	s_wait_alu 0xfffe
	s_and_b32 s1, s1, s0
	s_wait_alu 0xfffe
	s_and_saveexec_b32 s0, s1
	s_cbranch_execz .LBB978_124
; %bb.123:
	v_lshlrev_b64_e32 v[19:20], 3, v[15:16]
	s_delay_alu instid0(VALU_DEP_1) | instskip(SKIP_1) | instid1(VALU_DEP_2)
	v_add_co_u32 v19, vcc_lo, v29, v19
	s_wait_alu 0xfffd
	v_add_co_ci_u32_e64 v20, null, v30, v20, vcc_lo
	global_store_b64 v[19:20], v[3:4], off
.LBB978_124:
	s_wait_alu 0xfffe
	s_or_b32 exec_lo, exec_lo, s0
	s_branch .LBB978_114
.LBB978_125:
	s_mov_b32 s0, exec_lo
	v_cmpx_eq_u32_e32 1, v28
; %bb.126:
	v_sub_nc_u32_e32 v14, v23, v11
	s_delay_alu instid0(VALU_DEP_1)
	v_lshlrev_b32_e32 v14, 3, v14
	ds_store_b64 v14, v[5:6]
; %bb.127:
	s_wait_alu 0xfffe
	s_or_b32 exec_lo, exec_lo, s0
	v_and_b32_e32 v5, 1, v26
	s_mov_b32 s0, exec_lo
	s_delay_alu instid0(VALU_DEP_1)
	v_cmpx_eq_u32_e32 1, v5
; %bb.128:
	v_sub_nc_u32_e32 v5, v21, v11
	s_delay_alu instid0(VALU_DEP_1)
	v_lshlrev_b32_e32 v5, 3, v5
	ds_store_b64 v5, v[7:8]
; %bb.129:
	s_wait_alu 0xfffe
	s_or_b32 exec_lo, exec_lo, s0
	v_and_b32_e32 v5, 1, v25
	s_mov_b32 s0, exec_lo
	s_delay_alu instid0(VALU_DEP_1)
	;; [unrolled: 12-line block ×3, first 2 shown]
	v_cmpx_eq_u32_e32 1, v1
; %bb.132:
	v_sub_nc_u32_e32 v1, v15, v11
	s_delay_alu instid0(VALU_DEP_1)
	v_lshlrev_b32_e32 v1, 3, v1
	ds_store_b64 v1, v[3:4]
; %bb.133:
	s_wait_alu 0xfffe
	s_or_b32 exec_lo, exec_lo, s0
	v_mov_b32_e32 v1, 0
	s_mov_b32 s1, exec_lo
	s_wait_storecnt 0x0
	s_wait_loadcnt_dscnt 0x0
	s_barrier_signal -1
	s_barrier_wait -1
	global_inv scope:SCOPE_SE
	v_cmpx_gt_u64_e64 v[9:10], v[0:1]
	s_cbranch_execz .LBB978_136
; %bb.134:
	v_lshlrev_b64_e32 v[2:3], 3, v[17:18]
	v_lshlrev_b64_e32 v[4:5], 3, v[11:12]
	s_mov_b32 s3, 0
	s_delay_alu instid0(VALU_DEP_2) | instskip(SKIP_1) | instid1(VALU_DEP_3)
	v_add_co_u32 v6, vcc_lo, s12, v2
	s_wait_alu 0xfffd
	v_add_co_ci_u32_e64 v7, null, s13, v3, vcc_lo
	v_dual_mov_b32 v3, v1 :: v_dual_mov_b32 v2, v0
	s_delay_alu instid0(VALU_DEP_3) | instskip(SKIP_1) | instid1(VALU_DEP_3)
	v_add_co_u32 v4, vcc_lo, v6, v4
	s_wait_alu 0xfffd
	v_add_co_ci_u32_e64 v5, null, v7, v5, vcc_lo
	v_or_b32_e32 v0, 0x100, v0
.LBB978_135:                            ; =>This Inner Loop Header: Depth=1
	v_lshlrev_b32_e32 v6, 3, v2
	v_lshlrev_b64_e32 v[13:14], 3, v[2:3]
	v_mov_b32_e32 v3, v1
	s_delay_alu instid0(VALU_DEP_4)
	v_cmp_le_u64_e32 vcc_lo, v[9:10], v[0:1]
	v_mov_b32_e32 v2, v0
	ds_load_b64 v[6:7], v6
	v_add_nc_u32_e32 v0, 0x100, v0
	v_add_co_u32 v13, s0, v4, v13
	s_wait_alu 0xf1ff
	v_add_co_ci_u32_e64 v14, null, v5, v14, s0
	s_wait_alu 0xfffe
	s_or_b32 s3, vcc_lo, s3
	s_wait_dscnt 0x0
	global_store_b64 v[13:14], v[6:7], off
	s_wait_alu 0xfffe
	s_and_not1_b32 exec_lo, exec_lo, s3
	s_cbranch_execnz .LBB978_135
.LBB978_136:
	s_wait_alu 0xfffe
	s_or_b32 exec_lo, exec_lo, s1
	s_and_b32 s0, s2, s18
	s_wait_alu 0xfffe
	s_and_saveexec_b32 s1, s0
	s_cbranch_execz .LBB978_115
.LBB978_137:
	v_add_co_u32 v0, vcc_lo, v11, v9
	s_wait_alu 0xfffd
	v_add_co_ci_u32_e64 v1, null, v12, v10, vcc_lo
	v_mov_b32_e32 v2, 0
	s_delay_alu instid0(VALU_DEP_3) | instskip(SKIP_1) | instid1(VALU_DEP_3)
	v_add_co_u32 v0, vcc_lo, v0, v17
	s_wait_alu 0xfffd
	v_add_co_ci_u32_e64 v1, null, v1, v18, vcc_lo
	global_store_b64 v2, v[0:1], s[4:5]
	s_endpgm
.LBB978_138:
	v_lshlrev_b32_e32 v3, 3, v0
	s_delay_alu instid0(VALU_DEP_1)
	v_add_co_u32 v3, s1, s10, v3
	s_wait_alu 0xf1ff
	v_add_co_ci_u32_e64 v4, null, s11, 0, s1
	flat_load_b64 v[3:4], v[3:4] offset:2048
	s_wait_alu 0xfffe
	s_or_b32 exec_lo, exec_lo, s0
	s_delay_alu instid0(SALU_CYCLE_1)
	s_mov_b32 s0, exec_lo
	v_cmpx_gt_u32_e64 s3, v10
	s_cbranch_execz .LBB978_11
.LBB978_139:
	v_lshlrev_b32_e32 v5, 3, v0
	s_delay_alu instid0(VALU_DEP_1)
	v_add_co_u32 v5, s1, s10, v5
	s_wait_alu 0xf1ff
	v_add_co_ci_u32_e64 v6, null, s11, 0, s1
	flat_load_b64 v[5:6], v[5:6] offset:4096
	s_wait_alu 0xfffe
	s_or_b32 exec_lo, exec_lo, s0
	s_delay_alu instid0(SALU_CYCLE_1)
	s_mov_b32 s0, exec_lo
	v_cmpx_gt_u32_e64 s3, v9
	s_cbranch_execnz .LBB978_12
	s_branch .LBB978_13
.LBB978_140:
	v_lshlrev_b32_e32 v16, 3, v0
	global_load_b64 v[19:20], v16, s[0:1] offset:2048
	s_wait_loadcnt 0x0
	v_cmp_eq_u64_e32 vcc_lo, 0, v[19:20]
	s_wait_alu 0xfffd
	v_cndmask_b32_e64 v16, 0, 1, vcc_lo
	s_delay_alu instid0(VALU_DEP_1) | instskip(NEXT) | instid1(VALU_DEP_1)
	v_lshlrev_b16 v16, 8, v16
	v_or_b32_e32 v14, v14, v16
	s_delay_alu instid0(VALU_DEP_1) | instskip(SKIP_1) | instid1(SALU_CYCLE_1)
	v_and_b32_e32 v14, 0xffff, v14
	s_or_b32 exec_lo, exec_lo, s6
	s_mov_b32 s6, exec_lo
	v_cmpx_gt_u32_e64 s3, v10
	s_cbranch_execz .LBB978_21
.LBB978_141:
	v_lshlrev_b32_e32 v16, 3, v0
	global_load_b64 v[19:20], v16, s[0:1] offset:4096
	s_wait_loadcnt 0x0
	v_cmp_eq_u64_e32 vcc_lo, 0, v[19:20]
	s_wait_alu 0xfffd
	v_cndmask_b32_e64 v16, 0, 1, vcc_lo
	s_delay_alu instid0(VALU_DEP_1)
	v_lshl_or_b32 v14, v16, 16, v14
	s_or_b32 exec_lo, exec_lo, s6
	v_cmp_gt_u32_e32 vcc_lo, s3, v9
	s_and_saveexec_b32 s3, vcc_lo
	s_cbranch_execnz .LBB978_22
	s_branch .LBB978_23
	.section	.rodata,"a",@progbits
	.p2align	6, 0x0
	.amdhsa_kernel _ZN7rocprim17ROCPRIM_400000_NS6detail17trampoline_kernelINS0_14default_configENS1_25partition_config_selectorILNS1_17partition_subalgoE5ExNS0_10empty_typeEbEEZZNS1_14partition_implILS5_5ELb0ES3_mN6thrust23THRUST_200600_302600_NS6detail15normal_iteratorINSA_10device_ptrIxEEEEPS6_NSA_18transform_iteratorINSB_9not_fun_tINSA_8identityIxEEEESF_NSA_11use_defaultESM_EENS0_5tupleIJSF_S6_EEENSO_IJSG_SG_EEES6_PlJS6_EEE10hipError_tPvRmT3_T4_T5_T6_T7_T9_mT8_P12ihipStream_tbDpT10_ENKUlT_T0_E_clISt17integral_constantIbLb0EES1A_IbLb1EEEEDaS16_S17_EUlS16_E_NS1_11comp_targetILNS1_3genE10ELNS1_11target_archE1200ELNS1_3gpuE4ELNS1_3repE0EEENS1_30default_config_static_selectorELNS0_4arch9wavefront6targetE0EEEvT1_
		.amdhsa_group_segment_fixed_size 8464
		.amdhsa_private_segment_fixed_size 0
		.amdhsa_kernarg_size 136
		.amdhsa_user_sgpr_count 2
		.amdhsa_user_sgpr_dispatch_ptr 0
		.amdhsa_user_sgpr_queue_ptr 0
		.amdhsa_user_sgpr_kernarg_segment_ptr 1
		.amdhsa_user_sgpr_dispatch_id 0
		.amdhsa_user_sgpr_private_segment_size 0
		.amdhsa_wavefront_size32 1
		.amdhsa_uses_dynamic_stack 0
		.amdhsa_enable_private_segment 0
		.amdhsa_system_sgpr_workgroup_id_x 1
		.amdhsa_system_sgpr_workgroup_id_y 0
		.amdhsa_system_sgpr_workgroup_id_z 0
		.amdhsa_system_sgpr_workgroup_info 0
		.amdhsa_system_vgpr_workitem_id 0
		.amdhsa_next_free_vgpr 48
		.amdhsa_next_free_sgpr 26
		.amdhsa_reserve_vcc 1
		.amdhsa_float_round_mode_32 0
		.amdhsa_float_round_mode_16_64 0
		.amdhsa_float_denorm_mode_32 3
		.amdhsa_float_denorm_mode_16_64 3
		.amdhsa_fp16_overflow 0
		.amdhsa_workgroup_processor_mode 1
		.amdhsa_memory_ordered 1
		.amdhsa_forward_progress 1
		.amdhsa_inst_pref_size 56
		.amdhsa_round_robin_scheduling 0
		.amdhsa_exception_fp_ieee_invalid_op 0
		.amdhsa_exception_fp_denorm_src 0
		.amdhsa_exception_fp_ieee_div_zero 0
		.amdhsa_exception_fp_ieee_overflow 0
		.amdhsa_exception_fp_ieee_underflow 0
		.amdhsa_exception_fp_ieee_inexact 0
		.amdhsa_exception_int_div_zero 0
	.end_amdhsa_kernel
	.section	.text._ZN7rocprim17ROCPRIM_400000_NS6detail17trampoline_kernelINS0_14default_configENS1_25partition_config_selectorILNS1_17partition_subalgoE5ExNS0_10empty_typeEbEEZZNS1_14partition_implILS5_5ELb0ES3_mN6thrust23THRUST_200600_302600_NS6detail15normal_iteratorINSA_10device_ptrIxEEEEPS6_NSA_18transform_iteratorINSB_9not_fun_tINSA_8identityIxEEEESF_NSA_11use_defaultESM_EENS0_5tupleIJSF_S6_EEENSO_IJSG_SG_EEES6_PlJS6_EEE10hipError_tPvRmT3_T4_T5_T6_T7_T9_mT8_P12ihipStream_tbDpT10_ENKUlT_T0_E_clISt17integral_constantIbLb0EES1A_IbLb1EEEEDaS16_S17_EUlS16_E_NS1_11comp_targetILNS1_3genE10ELNS1_11target_archE1200ELNS1_3gpuE4ELNS1_3repE0EEENS1_30default_config_static_selectorELNS0_4arch9wavefront6targetE0EEEvT1_,"axG",@progbits,_ZN7rocprim17ROCPRIM_400000_NS6detail17trampoline_kernelINS0_14default_configENS1_25partition_config_selectorILNS1_17partition_subalgoE5ExNS0_10empty_typeEbEEZZNS1_14partition_implILS5_5ELb0ES3_mN6thrust23THRUST_200600_302600_NS6detail15normal_iteratorINSA_10device_ptrIxEEEEPS6_NSA_18transform_iteratorINSB_9not_fun_tINSA_8identityIxEEEESF_NSA_11use_defaultESM_EENS0_5tupleIJSF_S6_EEENSO_IJSG_SG_EEES6_PlJS6_EEE10hipError_tPvRmT3_T4_T5_T6_T7_T9_mT8_P12ihipStream_tbDpT10_ENKUlT_T0_E_clISt17integral_constantIbLb0EES1A_IbLb1EEEEDaS16_S17_EUlS16_E_NS1_11comp_targetILNS1_3genE10ELNS1_11target_archE1200ELNS1_3gpuE4ELNS1_3repE0EEENS1_30default_config_static_selectorELNS0_4arch9wavefront6targetE0EEEvT1_,comdat
.Lfunc_end978:
	.size	_ZN7rocprim17ROCPRIM_400000_NS6detail17trampoline_kernelINS0_14default_configENS1_25partition_config_selectorILNS1_17partition_subalgoE5ExNS0_10empty_typeEbEEZZNS1_14partition_implILS5_5ELb0ES3_mN6thrust23THRUST_200600_302600_NS6detail15normal_iteratorINSA_10device_ptrIxEEEEPS6_NSA_18transform_iteratorINSB_9not_fun_tINSA_8identityIxEEEESF_NSA_11use_defaultESM_EENS0_5tupleIJSF_S6_EEENSO_IJSG_SG_EEES6_PlJS6_EEE10hipError_tPvRmT3_T4_T5_T6_T7_T9_mT8_P12ihipStream_tbDpT10_ENKUlT_T0_E_clISt17integral_constantIbLb0EES1A_IbLb1EEEEDaS16_S17_EUlS16_E_NS1_11comp_targetILNS1_3genE10ELNS1_11target_archE1200ELNS1_3gpuE4ELNS1_3repE0EEENS1_30default_config_static_selectorELNS0_4arch9wavefront6targetE0EEEvT1_, .Lfunc_end978-_ZN7rocprim17ROCPRIM_400000_NS6detail17trampoline_kernelINS0_14default_configENS1_25partition_config_selectorILNS1_17partition_subalgoE5ExNS0_10empty_typeEbEEZZNS1_14partition_implILS5_5ELb0ES3_mN6thrust23THRUST_200600_302600_NS6detail15normal_iteratorINSA_10device_ptrIxEEEEPS6_NSA_18transform_iteratorINSB_9not_fun_tINSA_8identityIxEEEESF_NSA_11use_defaultESM_EENS0_5tupleIJSF_S6_EEENSO_IJSG_SG_EEES6_PlJS6_EEE10hipError_tPvRmT3_T4_T5_T6_T7_T9_mT8_P12ihipStream_tbDpT10_ENKUlT_T0_E_clISt17integral_constantIbLb0EES1A_IbLb1EEEEDaS16_S17_EUlS16_E_NS1_11comp_targetILNS1_3genE10ELNS1_11target_archE1200ELNS1_3gpuE4ELNS1_3repE0EEENS1_30default_config_static_selectorELNS0_4arch9wavefront6targetE0EEEvT1_
                                        ; -- End function
	.set _ZN7rocprim17ROCPRIM_400000_NS6detail17trampoline_kernelINS0_14default_configENS1_25partition_config_selectorILNS1_17partition_subalgoE5ExNS0_10empty_typeEbEEZZNS1_14partition_implILS5_5ELb0ES3_mN6thrust23THRUST_200600_302600_NS6detail15normal_iteratorINSA_10device_ptrIxEEEEPS6_NSA_18transform_iteratorINSB_9not_fun_tINSA_8identityIxEEEESF_NSA_11use_defaultESM_EENS0_5tupleIJSF_S6_EEENSO_IJSG_SG_EEES6_PlJS6_EEE10hipError_tPvRmT3_T4_T5_T6_T7_T9_mT8_P12ihipStream_tbDpT10_ENKUlT_T0_E_clISt17integral_constantIbLb0EES1A_IbLb1EEEEDaS16_S17_EUlS16_E_NS1_11comp_targetILNS1_3genE10ELNS1_11target_archE1200ELNS1_3gpuE4ELNS1_3repE0EEENS1_30default_config_static_selectorELNS0_4arch9wavefront6targetE0EEEvT1_.num_vgpr, 48
	.set _ZN7rocprim17ROCPRIM_400000_NS6detail17trampoline_kernelINS0_14default_configENS1_25partition_config_selectorILNS1_17partition_subalgoE5ExNS0_10empty_typeEbEEZZNS1_14partition_implILS5_5ELb0ES3_mN6thrust23THRUST_200600_302600_NS6detail15normal_iteratorINSA_10device_ptrIxEEEEPS6_NSA_18transform_iteratorINSB_9not_fun_tINSA_8identityIxEEEESF_NSA_11use_defaultESM_EENS0_5tupleIJSF_S6_EEENSO_IJSG_SG_EEES6_PlJS6_EEE10hipError_tPvRmT3_T4_T5_T6_T7_T9_mT8_P12ihipStream_tbDpT10_ENKUlT_T0_E_clISt17integral_constantIbLb0EES1A_IbLb1EEEEDaS16_S17_EUlS16_E_NS1_11comp_targetILNS1_3genE10ELNS1_11target_archE1200ELNS1_3gpuE4ELNS1_3repE0EEENS1_30default_config_static_selectorELNS0_4arch9wavefront6targetE0EEEvT1_.num_agpr, 0
	.set _ZN7rocprim17ROCPRIM_400000_NS6detail17trampoline_kernelINS0_14default_configENS1_25partition_config_selectorILNS1_17partition_subalgoE5ExNS0_10empty_typeEbEEZZNS1_14partition_implILS5_5ELb0ES3_mN6thrust23THRUST_200600_302600_NS6detail15normal_iteratorINSA_10device_ptrIxEEEEPS6_NSA_18transform_iteratorINSB_9not_fun_tINSA_8identityIxEEEESF_NSA_11use_defaultESM_EENS0_5tupleIJSF_S6_EEENSO_IJSG_SG_EEES6_PlJS6_EEE10hipError_tPvRmT3_T4_T5_T6_T7_T9_mT8_P12ihipStream_tbDpT10_ENKUlT_T0_E_clISt17integral_constantIbLb0EES1A_IbLb1EEEEDaS16_S17_EUlS16_E_NS1_11comp_targetILNS1_3genE10ELNS1_11target_archE1200ELNS1_3gpuE4ELNS1_3repE0EEENS1_30default_config_static_selectorELNS0_4arch9wavefront6targetE0EEEvT1_.numbered_sgpr, 26
	.set _ZN7rocprim17ROCPRIM_400000_NS6detail17trampoline_kernelINS0_14default_configENS1_25partition_config_selectorILNS1_17partition_subalgoE5ExNS0_10empty_typeEbEEZZNS1_14partition_implILS5_5ELb0ES3_mN6thrust23THRUST_200600_302600_NS6detail15normal_iteratorINSA_10device_ptrIxEEEEPS6_NSA_18transform_iteratorINSB_9not_fun_tINSA_8identityIxEEEESF_NSA_11use_defaultESM_EENS0_5tupleIJSF_S6_EEENSO_IJSG_SG_EEES6_PlJS6_EEE10hipError_tPvRmT3_T4_T5_T6_T7_T9_mT8_P12ihipStream_tbDpT10_ENKUlT_T0_E_clISt17integral_constantIbLb0EES1A_IbLb1EEEEDaS16_S17_EUlS16_E_NS1_11comp_targetILNS1_3genE10ELNS1_11target_archE1200ELNS1_3gpuE4ELNS1_3repE0EEENS1_30default_config_static_selectorELNS0_4arch9wavefront6targetE0EEEvT1_.num_named_barrier, 0
	.set _ZN7rocprim17ROCPRIM_400000_NS6detail17trampoline_kernelINS0_14default_configENS1_25partition_config_selectorILNS1_17partition_subalgoE5ExNS0_10empty_typeEbEEZZNS1_14partition_implILS5_5ELb0ES3_mN6thrust23THRUST_200600_302600_NS6detail15normal_iteratorINSA_10device_ptrIxEEEEPS6_NSA_18transform_iteratorINSB_9not_fun_tINSA_8identityIxEEEESF_NSA_11use_defaultESM_EENS0_5tupleIJSF_S6_EEENSO_IJSG_SG_EEES6_PlJS6_EEE10hipError_tPvRmT3_T4_T5_T6_T7_T9_mT8_P12ihipStream_tbDpT10_ENKUlT_T0_E_clISt17integral_constantIbLb0EES1A_IbLb1EEEEDaS16_S17_EUlS16_E_NS1_11comp_targetILNS1_3genE10ELNS1_11target_archE1200ELNS1_3gpuE4ELNS1_3repE0EEENS1_30default_config_static_selectorELNS0_4arch9wavefront6targetE0EEEvT1_.private_seg_size, 0
	.set _ZN7rocprim17ROCPRIM_400000_NS6detail17trampoline_kernelINS0_14default_configENS1_25partition_config_selectorILNS1_17partition_subalgoE5ExNS0_10empty_typeEbEEZZNS1_14partition_implILS5_5ELb0ES3_mN6thrust23THRUST_200600_302600_NS6detail15normal_iteratorINSA_10device_ptrIxEEEEPS6_NSA_18transform_iteratorINSB_9not_fun_tINSA_8identityIxEEEESF_NSA_11use_defaultESM_EENS0_5tupleIJSF_S6_EEENSO_IJSG_SG_EEES6_PlJS6_EEE10hipError_tPvRmT3_T4_T5_T6_T7_T9_mT8_P12ihipStream_tbDpT10_ENKUlT_T0_E_clISt17integral_constantIbLb0EES1A_IbLb1EEEEDaS16_S17_EUlS16_E_NS1_11comp_targetILNS1_3genE10ELNS1_11target_archE1200ELNS1_3gpuE4ELNS1_3repE0EEENS1_30default_config_static_selectorELNS0_4arch9wavefront6targetE0EEEvT1_.uses_vcc, 1
	.set _ZN7rocprim17ROCPRIM_400000_NS6detail17trampoline_kernelINS0_14default_configENS1_25partition_config_selectorILNS1_17partition_subalgoE5ExNS0_10empty_typeEbEEZZNS1_14partition_implILS5_5ELb0ES3_mN6thrust23THRUST_200600_302600_NS6detail15normal_iteratorINSA_10device_ptrIxEEEEPS6_NSA_18transform_iteratorINSB_9not_fun_tINSA_8identityIxEEEESF_NSA_11use_defaultESM_EENS0_5tupleIJSF_S6_EEENSO_IJSG_SG_EEES6_PlJS6_EEE10hipError_tPvRmT3_T4_T5_T6_T7_T9_mT8_P12ihipStream_tbDpT10_ENKUlT_T0_E_clISt17integral_constantIbLb0EES1A_IbLb1EEEEDaS16_S17_EUlS16_E_NS1_11comp_targetILNS1_3genE10ELNS1_11target_archE1200ELNS1_3gpuE4ELNS1_3repE0EEENS1_30default_config_static_selectorELNS0_4arch9wavefront6targetE0EEEvT1_.uses_flat_scratch, 1
	.set _ZN7rocprim17ROCPRIM_400000_NS6detail17trampoline_kernelINS0_14default_configENS1_25partition_config_selectorILNS1_17partition_subalgoE5ExNS0_10empty_typeEbEEZZNS1_14partition_implILS5_5ELb0ES3_mN6thrust23THRUST_200600_302600_NS6detail15normal_iteratorINSA_10device_ptrIxEEEEPS6_NSA_18transform_iteratorINSB_9not_fun_tINSA_8identityIxEEEESF_NSA_11use_defaultESM_EENS0_5tupleIJSF_S6_EEENSO_IJSG_SG_EEES6_PlJS6_EEE10hipError_tPvRmT3_T4_T5_T6_T7_T9_mT8_P12ihipStream_tbDpT10_ENKUlT_T0_E_clISt17integral_constantIbLb0EES1A_IbLb1EEEEDaS16_S17_EUlS16_E_NS1_11comp_targetILNS1_3genE10ELNS1_11target_archE1200ELNS1_3gpuE4ELNS1_3repE0EEENS1_30default_config_static_selectorELNS0_4arch9wavefront6targetE0EEEvT1_.has_dyn_sized_stack, 0
	.set _ZN7rocprim17ROCPRIM_400000_NS6detail17trampoline_kernelINS0_14default_configENS1_25partition_config_selectorILNS1_17partition_subalgoE5ExNS0_10empty_typeEbEEZZNS1_14partition_implILS5_5ELb0ES3_mN6thrust23THRUST_200600_302600_NS6detail15normal_iteratorINSA_10device_ptrIxEEEEPS6_NSA_18transform_iteratorINSB_9not_fun_tINSA_8identityIxEEEESF_NSA_11use_defaultESM_EENS0_5tupleIJSF_S6_EEENSO_IJSG_SG_EEES6_PlJS6_EEE10hipError_tPvRmT3_T4_T5_T6_T7_T9_mT8_P12ihipStream_tbDpT10_ENKUlT_T0_E_clISt17integral_constantIbLb0EES1A_IbLb1EEEEDaS16_S17_EUlS16_E_NS1_11comp_targetILNS1_3genE10ELNS1_11target_archE1200ELNS1_3gpuE4ELNS1_3repE0EEENS1_30default_config_static_selectorELNS0_4arch9wavefront6targetE0EEEvT1_.has_recursion, 0
	.set _ZN7rocprim17ROCPRIM_400000_NS6detail17trampoline_kernelINS0_14default_configENS1_25partition_config_selectorILNS1_17partition_subalgoE5ExNS0_10empty_typeEbEEZZNS1_14partition_implILS5_5ELb0ES3_mN6thrust23THRUST_200600_302600_NS6detail15normal_iteratorINSA_10device_ptrIxEEEEPS6_NSA_18transform_iteratorINSB_9not_fun_tINSA_8identityIxEEEESF_NSA_11use_defaultESM_EENS0_5tupleIJSF_S6_EEENSO_IJSG_SG_EEES6_PlJS6_EEE10hipError_tPvRmT3_T4_T5_T6_T7_T9_mT8_P12ihipStream_tbDpT10_ENKUlT_T0_E_clISt17integral_constantIbLb0EES1A_IbLb1EEEEDaS16_S17_EUlS16_E_NS1_11comp_targetILNS1_3genE10ELNS1_11target_archE1200ELNS1_3gpuE4ELNS1_3repE0EEENS1_30default_config_static_selectorELNS0_4arch9wavefront6targetE0EEEvT1_.has_indirect_call, 0
	.section	.AMDGPU.csdata,"",@progbits
; Kernel info:
; codeLenInByte = 7108
; TotalNumSgprs: 28
; NumVgprs: 48
; ScratchSize: 0
; MemoryBound: 0
; FloatMode: 240
; IeeeMode: 1
; LDSByteSize: 8464 bytes/workgroup (compile time only)
; SGPRBlocks: 0
; VGPRBlocks: 5
; NumSGPRsForWavesPerEU: 28
; NumVGPRsForWavesPerEU: 48
; Occupancy: 16
; WaveLimiterHint : 1
; COMPUTE_PGM_RSRC2:SCRATCH_EN: 0
; COMPUTE_PGM_RSRC2:USER_SGPR: 2
; COMPUTE_PGM_RSRC2:TRAP_HANDLER: 0
; COMPUTE_PGM_RSRC2:TGID_X_EN: 1
; COMPUTE_PGM_RSRC2:TGID_Y_EN: 0
; COMPUTE_PGM_RSRC2:TGID_Z_EN: 0
; COMPUTE_PGM_RSRC2:TIDIG_COMP_CNT: 0
	.section	.text._ZN7rocprim17ROCPRIM_400000_NS6detail17trampoline_kernelINS0_14default_configENS1_25partition_config_selectorILNS1_17partition_subalgoE5ExNS0_10empty_typeEbEEZZNS1_14partition_implILS5_5ELb0ES3_mN6thrust23THRUST_200600_302600_NS6detail15normal_iteratorINSA_10device_ptrIxEEEEPS6_NSA_18transform_iteratorINSB_9not_fun_tINSA_8identityIxEEEESF_NSA_11use_defaultESM_EENS0_5tupleIJSF_S6_EEENSO_IJSG_SG_EEES6_PlJS6_EEE10hipError_tPvRmT3_T4_T5_T6_T7_T9_mT8_P12ihipStream_tbDpT10_ENKUlT_T0_E_clISt17integral_constantIbLb0EES1A_IbLb1EEEEDaS16_S17_EUlS16_E_NS1_11comp_targetILNS1_3genE9ELNS1_11target_archE1100ELNS1_3gpuE3ELNS1_3repE0EEENS1_30default_config_static_selectorELNS0_4arch9wavefront6targetE0EEEvT1_,"axG",@progbits,_ZN7rocprim17ROCPRIM_400000_NS6detail17trampoline_kernelINS0_14default_configENS1_25partition_config_selectorILNS1_17partition_subalgoE5ExNS0_10empty_typeEbEEZZNS1_14partition_implILS5_5ELb0ES3_mN6thrust23THRUST_200600_302600_NS6detail15normal_iteratorINSA_10device_ptrIxEEEEPS6_NSA_18transform_iteratorINSB_9not_fun_tINSA_8identityIxEEEESF_NSA_11use_defaultESM_EENS0_5tupleIJSF_S6_EEENSO_IJSG_SG_EEES6_PlJS6_EEE10hipError_tPvRmT3_T4_T5_T6_T7_T9_mT8_P12ihipStream_tbDpT10_ENKUlT_T0_E_clISt17integral_constantIbLb0EES1A_IbLb1EEEEDaS16_S17_EUlS16_E_NS1_11comp_targetILNS1_3genE9ELNS1_11target_archE1100ELNS1_3gpuE3ELNS1_3repE0EEENS1_30default_config_static_selectorELNS0_4arch9wavefront6targetE0EEEvT1_,comdat
	.protected	_ZN7rocprim17ROCPRIM_400000_NS6detail17trampoline_kernelINS0_14default_configENS1_25partition_config_selectorILNS1_17partition_subalgoE5ExNS0_10empty_typeEbEEZZNS1_14partition_implILS5_5ELb0ES3_mN6thrust23THRUST_200600_302600_NS6detail15normal_iteratorINSA_10device_ptrIxEEEEPS6_NSA_18transform_iteratorINSB_9not_fun_tINSA_8identityIxEEEESF_NSA_11use_defaultESM_EENS0_5tupleIJSF_S6_EEENSO_IJSG_SG_EEES6_PlJS6_EEE10hipError_tPvRmT3_T4_T5_T6_T7_T9_mT8_P12ihipStream_tbDpT10_ENKUlT_T0_E_clISt17integral_constantIbLb0EES1A_IbLb1EEEEDaS16_S17_EUlS16_E_NS1_11comp_targetILNS1_3genE9ELNS1_11target_archE1100ELNS1_3gpuE3ELNS1_3repE0EEENS1_30default_config_static_selectorELNS0_4arch9wavefront6targetE0EEEvT1_ ; -- Begin function _ZN7rocprim17ROCPRIM_400000_NS6detail17trampoline_kernelINS0_14default_configENS1_25partition_config_selectorILNS1_17partition_subalgoE5ExNS0_10empty_typeEbEEZZNS1_14partition_implILS5_5ELb0ES3_mN6thrust23THRUST_200600_302600_NS6detail15normal_iteratorINSA_10device_ptrIxEEEEPS6_NSA_18transform_iteratorINSB_9not_fun_tINSA_8identityIxEEEESF_NSA_11use_defaultESM_EENS0_5tupleIJSF_S6_EEENSO_IJSG_SG_EEES6_PlJS6_EEE10hipError_tPvRmT3_T4_T5_T6_T7_T9_mT8_P12ihipStream_tbDpT10_ENKUlT_T0_E_clISt17integral_constantIbLb0EES1A_IbLb1EEEEDaS16_S17_EUlS16_E_NS1_11comp_targetILNS1_3genE9ELNS1_11target_archE1100ELNS1_3gpuE3ELNS1_3repE0EEENS1_30default_config_static_selectorELNS0_4arch9wavefront6targetE0EEEvT1_
	.globl	_ZN7rocprim17ROCPRIM_400000_NS6detail17trampoline_kernelINS0_14default_configENS1_25partition_config_selectorILNS1_17partition_subalgoE5ExNS0_10empty_typeEbEEZZNS1_14partition_implILS5_5ELb0ES3_mN6thrust23THRUST_200600_302600_NS6detail15normal_iteratorINSA_10device_ptrIxEEEEPS6_NSA_18transform_iteratorINSB_9not_fun_tINSA_8identityIxEEEESF_NSA_11use_defaultESM_EENS0_5tupleIJSF_S6_EEENSO_IJSG_SG_EEES6_PlJS6_EEE10hipError_tPvRmT3_T4_T5_T6_T7_T9_mT8_P12ihipStream_tbDpT10_ENKUlT_T0_E_clISt17integral_constantIbLb0EES1A_IbLb1EEEEDaS16_S17_EUlS16_E_NS1_11comp_targetILNS1_3genE9ELNS1_11target_archE1100ELNS1_3gpuE3ELNS1_3repE0EEENS1_30default_config_static_selectorELNS0_4arch9wavefront6targetE0EEEvT1_
	.p2align	8
	.type	_ZN7rocprim17ROCPRIM_400000_NS6detail17trampoline_kernelINS0_14default_configENS1_25partition_config_selectorILNS1_17partition_subalgoE5ExNS0_10empty_typeEbEEZZNS1_14partition_implILS5_5ELb0ES3_mN6thrust23THRUST_200600_302600_NS6detail15normal_iteratorINSA_10device_ptrIxEEEEPS6_NSA_18transform_iteratorINSB_9not_fun_tINSA_8identityIxEEEESF_NSA_11use_defaultESM_EENS0_5tupleIJSF_S6_EEENSO_IJSG_SG_EEES6_PlJS6_EEE10hipError_tPvRmT3_T4_T5_T6_T7_T9_mT8_P12ihipStream_tbDpT10_ENKUlT_T0_E_clISt17integral_constantIbLb0EES1A_IbLb1EEEEDaS16_S17_EUlS16_E_NS1_11comp_targetILNS1_3genE9ELNS1_11target_archE1100ELNS1_3gpuE3ELNS1_3repE0EEENS1_30default_config_static_selectorELNS0_4arch9wavefront6targetE0EEEvT1_,@function
_ZN7rocprim17ROCPRIM_400000_NS6detail17trampoline_kernelINS0_14default_configENS1_25partition_config_selectorILNS1_17partition_subalgoE5ExNS0_10empty_typeEbEEZZNS1_14partition_implILS5_5ELb0ES3_mN6thrust23THRUST_200600_302600_NS6detail15normal_iteratorINSA_10device_ptrIxEEEEPS6_NSA_18transform_iteratorINSB_9not_fun_tINSA_8identityIxEEEESF_NSA_11use_defaultESM_EENS0_5tupleIJSF_S6_EEENSO_IJSG_SG_EEES6_PlJS6_EEE10hipError_tPvRmT3_T4_T5_T6_T7_T9_mT8_P12ihipStream_tbDpT10_ENKUlT_T0_E_clISt17integral_constantIbLb0EES1A_IbLb1EEEEDaS16_S17_EUlS16_E_NS1_11comp_targetILNS1_3genE9ELNS1_11target_archE1100ELNS1_3gpuE3ELNS1_3repE0EEENS1_30default_config_static_selectorELNS0_4arch9wavefront6targetE0EEEvT1_: ; @_ZN7rocprim17ROCPRIM_400000_NS6detail17trampoline_kernelINS0_14default_configENS1_25partition_config_selectorILNS1_17partition_subalgoE5ExNS0_10empty_typeEbEEZZNS1_14partition_implILS5_5ELb0ES3_mN6thrust23THRUST_200600_302600_NS6detail15normal_iteratorINSA_10device_ptrIxEEEEPS6_NSA_18transform_iteratorINSB_9not_fun_tINSA_8identityIxEEEESF_NSA_11use_defaultESM_EENS0_5tupleIJSF_S6_EEENSO_IJSG_SG_EEES6_PlJS6_EEE10hipError_tPvRmT3_T4_T5_T6_T7_T9_mT8_P12ihipStream_tbDpT10_ENKUlT_T0_E_clISt17integral_constantIbLb0EES1A_IbLb1EEEEDaS16_S17_EUlS16_E_NS1_11comp_targetILNS1_3genE9ELNS1_11target_archE1100ELNS1_3gpuE3ELNS1_3repE0EEENS1_30default_config_static_selectorELNS0_4arch9wavefront6targetE0EEEvT1_
; %bb.0:
	.section	.rodata,"a",@progbits
	.p2align	6, 0x0
	.amdhsa_kernel _ZN7rocprim17ROCPRIM_400000_NS6detail17trampoline_kernelINS0_14default_configENS1_25partition_config_selectorILNS1_17partition_subalgoE5ExNS0_10empty_typeEbEEZZNS1_14partition_implILS5_5ELb0ES3_mN6thrust23THRUST_200600_302600_NS6detail15normal_iteratorINSA_10device_ptrIxEEEEPS6_NSA_18transform_iteratorINSB_9not_fun_tINSA_8identityIxEEEESF_NSA_11use_defaultESM_EENS0_5tupleIJSF_S6_EEENSO_IJSG_SG_EEES6_PlJS6_EEE10hipError_tPvRmT3_T4_T5_T6_T7_T9_mT8_P12ihipStream_tbDpT10_ENKUlT_T0_E_clISt17integral_constantIbLb0EES1A_IbLb1EEEEDaS16_S17_EUlS16_E_NS1_11comp_targetILNS1_3genE9ELNS1_11target_archE1100ELNS1_3gpuE3ELNS1_3repE0EEENS1_30default_config_static_selectorELNS0_4arch9wavefront6targetE0EEEvT1_
		.amdhsa_group_segment_fixed_size 0
		.amdhsa_private_segment_fixed_size 0
		.amdhsa_kernarg_size 136
		.amdhsa_user_sgpr_count 2
		.amdhsa_user_sgpr_dispatch_ptr 0
		.amdhsa_user_sgpr_queue_ptr 0
		.amdhsa_user_sgpr_kernarg_segment_ptr 1
		.amdhsa_user_sgpr_dispatch_id 0
		.amdhsa_user_sgpr_private_segment_size 0
		.amdhsa_wavefront_size32 1
		.amdhsa_uses_dynamic_stack 0
		.amdhsa_enable_private_segment 0
		.amdhsa_system_sgpr_workgroup_id_x 1
		.amdhsa_system_sgpr_workgroup_id_y 0
		.amdhsa_system_sgpr_workgroup_id_z 0
		.amdhsa_system_sgpr_workgroup_info 0
		.amdhsa_system_vgpr_workitem_id 0
		.amdhsa_next_free_vgpr 1
		.amdhsa_next_free_sgpr 1
		.amdhsa_reserve_vcc 0
		.amdhsa_float_round_mode_32 0
		.amdhsa_float_round_mode_16_64 0
		.amdhsa_float_denorm_mode_32 3
		.amdhsa_float_denorm_mode_16_64 3
		.amdhsa_fp16_overflow 0
		.amdhsa_workgroup_processor_mode 1
		.amdhsa_memory_ordered 1
		.amdhsa_forward_progress 1
		.amdhsa_inst_pref_size 0
		.amdhsa_round_robin_scheduling 0
		.amdhsa_exception_fp_ieee_invalid_op 0
		.amdhsa_exception_fp_denorm_src 0
		.amdhsa_exception_fp_ieee_div_zero 0
		.amdhsa_exception_fp_ieee_overflow 0
		.amdhsa_exception_fp_ieee_underflow 0
		.amdhsa_exception_fp_ieee_inexact 0
		.amdhsa_exception_int_div_zero 0
	.end_amdhsa_kernel
	.section	.text._ZN7rocprim17ROCPRIM_400000_NS6detail17trampoline_kernelINS0_14default_configENS1_25partition_config_selectorILNS1_17partition_subalgoE5ExNS0_10empty_typeEbEEZZNS1_14partition_implILS5_5ELb0ES3_mN6thrust23THRUST_200600_302600_NS6detail15normal_iteratorINSA_10device_ptrIxEEEEPS6_NSA_18transform_iteratorINSB_9not_fun_tINSA_8identityIxEEEESF_NSA_11use_defaultESM_EENS0_5tupleIJSF_S6_EEENSO_IJSG_SG_EEES6_PlJS6_EEE10hipError_tPvRmT3_T4_T5_T6_T7_T9_mT8_P12ihipStream_tbDpT10_ENKUlT_T0_E_clISt17integral_constantIbLb0EES1A_IbLb1EEEEDaS16_S17_EUlS16_E_NS1_11comp_targetILNS1_3genE9ELNS1_11target_archE1100ELNS1_3gpuE3ELNS1_3repE0EEENS1_30default_config_static_selectorELNS0_4arch9wavefront6targetE0EEEvT1_,"axG",@progbits,_ZN7rocprim17ROCPRIM_400000_NS6detail17trampoline_kernelINS0_14default_configENS1_25partition_config_selectorILNS1_17partition_subalgoE5ExNS0_10empty_typeEbEEZZNS1_14partition_implILS5_5ELb0ES3_mN6thrust23THRUST_200600_302600_NS6detail15normal_iteratorINSA_10device_ptrIxEEEEPS6_NSA_18transform_iteratorINSB_9not_fun_tINSA_8identityIxEEEESF_NSA_11use_defaultESM_EENS0_5tupleIJSF_S6_EEENSO_IJSG_SG_EEES6_PlJS6_EEE10hipError_tPvRmT3_T4_T5_T6_T7_T9_mT8_P12ihipStream_tbDpT10_ENKUlT_T0_E_clISt17integral_constantIbLb0EES1A_IbLb1EEEEDaS16_S17_EUlS16_E_NS1_11comp_targetILNS1_3genE9ELNS1_11target_archE1100ELNS1_3gpuE3ELNS1_3repE0EEENS1_30default_config_static_selectorELNS0_4arch9wavefront6targetE0EEEvT1_,comdat
.Lfunc_end979:
	.size	_ZN7rocprim17ROCPRIM_400000_NS6detail17trampoline_kernelINS0_14default_configENS1_25partition_config_selectorILNS1_17partition_subalgoE5ExNS0_10empty_typeEbEEZZNS1_14partition_implILS5_5ELb0ES3_mN6thrust23THRUST_200600_302600_NS6detail15normal_iteratorINSA_10device_ptrIxEEEEPS6_NSA_18transform_iteratorINSB_9not_fun_tINSA_8identityIxEEEESF_NSA_11use_defaultESM_EENS0_5tupleIJSF_S6_EEENSO_IJSG_SG_EEES6_PlJS6_EEE10hipError_tPvRmT3_T4_T5_T6_T7_T9_mT8_P12ihipStream_tbDpT10_ENKUlT_T0_E_clISt17integral_constantIbLb0EES1A_IbLb1EEEEDaS16_S17_EUlS16_E_NS1_11comp_targetILNS1_3genE9ELNS1_11target_archE1100ELNS1_3gpuE3ELNS1_3repE0EEENS1_30default_config_static_selectorELNS0_4arch9wavefront6targetE0EEEvT1_, .Lfunc_end979-_ZN7rocprim17ROCPRIM_400000_NS6detail17trampoline_kernelINS0_14default_configENS1_25partition_config_selectorILNS1_17partition_subalgoE5ExNS0_10empty_typeEbEEZZNS1_14partition_implILS5_5ELb0ES3_mN6thrust23THRUST_200600_302600_NS6detail15normal_iteratorINSA_10device_ptrIxEEEEPS6_NSA_18transform_iteratorINSB_9not_fun_tINSA_8identityIxEEEESF_NSA_11use_defaultESM_EENS0_5tupleIJSF_S6_EEENSO_IJSG_SG_EEES6_PlJS6_EEE10hipError_tPvRmT3_T4_T5_T6_T7_T9_mT8_P12ihipStream_tbDpT10_ENKUlT_T0_E_clISt17integral_constantIbLb0EES1A_IbLb1EEEEDaS16_S17_EUlS16_E_NS1_11comp_targetILNS1_3genE9ELNS1_11target_archE1100ELNS1_3gpuE3ELNS1_3repE0EEENS1_30default_config_static_selectorELNS0_4arch9wavefront6targetE0EEEvT1_
                                        ; -- End function
	.set _ZN7rocprim17ROCPRIM_400000_NS6detail17trampoline_kernelINS0_14default_configENS1_25partition_config_selectorILNS1_17partition_subalgoE5ExNS0_10empty_typeEbEEZZNS1_14partition_implILS5_5ELb0ES3_mN6thrust23THRUST_200600_302600_NS6detail15normal_iteratorINSA_10device_ptrIxEEEEPS6_NSA_18transform_iteratorINSB_9not_fun_tINSA_8identityIxEEEESF_NSA_11use_defaultESM_EENS0_5tupleIJSF_S6_EEENSO_IJSG_SG_EEES6_PlJS6_EEE10hipError_tPvRmT3_T4_T5_T6_T7_T9_mT8_P12ihipStream_tbDpT10_ENKUlT_T0_E_clISt17integral_constantIbLb0EES1A_IbLb1EEEEDaS16_S17_EUlS16_E_NS1_11comp_targetILNS1_3genE9ELNS1_11target_archE1100ELNS1_3gpuE3ELNS1_3repE0EEENS1_30default_config_static_selectorELNS0_4arch9wavefront6targetE0EEEvT1_.num_vgpr, 0
	.set _ZN7rocprim17ROCPRIM_400000_NS6detail17trampoline_kernelINS0_14default_configENS1_25partition_config_selectorILNS1_17partition_subalgoE5ExNS0_10empty_typeEbEEZZNS1_14partition_implILS5_5ELb0ES3_mN6thrust23THRUST_200600_302600_NS6detail15normal_iteratorINSA_10device_ptrIxEEEEPS6_NSA_18transform_iteratorINSB_9not_fun_tINSA_8identityIxEEEESF_NSA_11use_defaultESM_EENS0_5tupleIJSF_S6_EEENSO_IJSG_SG_EEES6_PlJS6_EEE10hipError_tPvRmT3_T4_T5_T6_T7_T9_mT8_P12ihipStream_tbDpT10_ENKUlT_T0_E_clISt17integral_constantIbLb0EES1A_IbLb1EEEEDaS16_S17_EUlS16_E_NS1_11comp_targetILNS1_3genE9ELNS1_11target_archE1100ELNS1_3gpuE3ELNS1_3repE0EEENS1_30default_config_static_selectorELNS0_4arch9wavefront6targetE0EEEvT1_.num_agpr, 0
	.set _ZN7rocprim17ROCPRIM_400000_NS6detail17trampoline_kernelINS0_14default_configENS1_25partition_config_selectorILNS1_17partition_subalgoE5ExNS0_10empty_typeEbEEZZNS1_14partition_implILS5_5ELb0ES3_mN6thrust23THRUST_200600_302600_NS6detail15normal_iteratorINSA_10device_ptrIxEEEEPS6_NSA_18transform_iteratorINSB_9not_fun_tINSA_8identityIxEEEESF_NSA_11use_defaultESM_EENS0_5tupleIJSF_S6_EEENSO_IJSG_SG_EEES6_PlJS6_EEE10hipError_tPvRmT3_T4_T5_T6_T7_T9_mT8_P12ihipStream_tbDpT10_ENKUlT_T0_E_clISt17integral_constantIbLb0EES1A_IbLb1EEEEDaS16_S17_EUlS16_E_NS1_11comp_targetILNS1_3genE9ELNS1_11target_archE1100ELNS1_3gpuE3ELNS1_3repE0EEENS1_30default_config_static_selectorELNS0_4arch9wavefront6targetE0EEEvT1_.numbered_sgpr, 0
	.set _ZN7rocprim17ROCPRIM_400000_NS6detail17trampoline_kernelINS0_14default_configENS1_25partition_config_selectorILNS1_17partition_subalgoE5ExNS0_10empty_typeEbEEZZNS1_14partition_implILS5_5ELb0ES3_mN6thrust23THRUST_200600_302600_NS6detail15normal_iteratorINSA_10device_ptrIxEEEEPS6_NSA_18transform_iteratorINSB_9not_fun_tINSA_8identityIxEEEESF_NSA_11use_defaultESM_EENS0_5tupleIJSF_S6_EEENSO_IJSG_SG_EEES6_PlJS6_EEE10hipError_tPvRmT3_T4_T5_T6_T7_T9_mT8_P12ihipStream_tbDpT10_ENKUlT_T0_E_clISt17integral_constantIbLb0EES1A_IbLb1EEEEDaS16_S17_EUlS16_E_NS1_11comp_targetILNS1_3genE9ELNS1_11target_archE1100ELNS1_3gpuE3ELNS1_3repE0EEENS1_30default_config_static_selectorELNS0_4arch9wavefront6targetE0EEEvT1_.num_named_barrier, 0
	.set _ZN7rocprim17ROCPRIM_400000_NS6detail17trampoline_kernelINS0_14default_configENS1_25partition_config_selectorILNS1_17partition_subalgoE5ExNS0_10empty_typeEbEEZZNS1_14partition_implILS5_5ELb0ES3_mN6thrust23THRUST_200600_302600_NS6detail15normal_iteratorINSA_10device_ptrIxEEEEPS6_NSA_18transform_iteratorINSB_9not_fun_tINSA_8identityIxEEEESF_NSA_11use_defaultESM_EENS0_5tupleIJSF_S6_EEENSO_IJSG_SG_EEES6_PlJS6_EEE10hipError_tPvRmT3_T4_T5_T6_T7_T9_mT8_P12ihipStream_tbDpT10_ENKUlT_T0_E_clISt17integral_constantIbLb0EES1A_IbLb1EEEEDaS16_S17_EUlS16_E_NS1_11comp_targetILNS1_3genE9ELNS1_11target_archE1100ELNS1_3gpuE3ELNS1_3repE0EEENS1_30default_config_static_selectorELNS0_4arch9wavefront6targetE0EEEvT1_.private_seg_size, 0
	.set _ZN7rocprim17ROCPRIM_400000_NS6detail17trampoline_kernelINS0_14default_configENS1_25partition_config_selectorILNS1_17partition_subalgoE5ExNS0_10empty_typeEbEEZZNS1_14partition_implILS5_5ELb0ES3_mN6thrust23THRUST_200600_302600_NS6detail15normal_iteratorINSA_10device_ptrIxEEEEPS6_NSA_18transform_iteratorINSB_9not_fun_tINSA_8identityIxEEEESF_NSA_11use_defaultESM_EENS0_5tupleIJSF_S6_EEENSO_IJSG_SG_EEES6_PlJS6_EEE10hipError_tPvRmT3_T4_T5_T6_T7_T9_mT8_P12ihipStream_tbDpT10_ENKUlT_T0_E_clISt17integral_constantIbLb0EES1A_IbLb1EEEEDaS16_S17_EUlS16_E_NS1_11comp_targetILNS1_3genE9ELNS1_11target_archE1100ELNS1_3gpuE3ELNS1_3repE0EEENS1_30default_config_static_selectorELNS0_4arch9wavefront6targetE0EEEvT1_.uses_vcc, 0
	.set _ZN7rocprim17ROCPRIM_400000_NS6detail17trampoline_kernelINS0_14default_configENS1_25partition_config_selectorILNS1_17partition_subalgoE5ExNS0_10empty_typeEbEEZZNS1_14partition_implILS5_5ELb0ES3_mN6thrust23THRUST_200600_302600_NS6detail15normal_iteratorINSA_10device_ptrIxEEEEPS6_NSA_18transform_iteratorINSB_9not_fun_tINSA_8identityIxEEEESF_NSA_11use_defaultESM_EENS0_5tupleIJSF_S6_EEENSO_IJSG_SG_EEES6_PlJS6_EEE10hipError_tPvRmT3_T4_T5_T6_T7_T9_mT8_P12ihipStream_tbDpT10_ENKUlT_T0_E_clISt17integral_constantIbLb0EES1A_IbLb1EEEEDaS16_S17_EUlS16_E_NS1_11comp_targetILNS1_3genE9ELNS1_11target_archE1100ELNS1_3gpuE3ELNS1_3repE0EEENS1_30default_config_static_selectorELNS0_4arch9wavefront6targetE0EEEvT1_.uses_flat_scratch, 0
	.set _ZN7rocprim17ROCPRIM_400000_NS6detail17trampoline_kernelINS0_14default_configENS1_25partition_config_selectorILNS1_17partition_subalgoE5ExNS0_10empty_typeEbEEZZNS1_14partition_implILS5_5ELb0ES3_mN6thrust23THRUST_200600_302600_NS6detail15normal_iteratorINSA_10device_ptrIxEEEEPS6_NSA_18transform_iteratorINSB_9not_fun_tINSA_8identityIxEEEESF_NSA_11use_defaultESM_EENS0_5tupleIJSF_S6_EEENSO_IJSG_SG_EEES6_PlJS6_EEE10hipError_tPvRmT3_T4_T5_T6_T7_T9_mT8_P12ihipStream_tbDpT10_ENKUlT_T0_E_clISt17integral_constantIbLb0EES1A_IbLb1EEEEDaS16_S17_EUlS16_E_NS1_11comp_targetILNS1_3genE9ELNS1_11target_archE1100ELNS1_3gpuE3ELNS1_3repE0EEENS1_30default_config_static_selectorELNS0_4arch9wavefront6targetE0EEEvT1_.has_dyn_sized_stack, 0
	.set _ZN7rocprim17ROCPRIM_400000_NS6detail17trampoline_kernelINS0_14default_configENS1_25partition_config_selectorILNS1_17partition_subalgoE5ExNS0_10empty_typeEbEEZZNS1_14partition_implILS5_5ELb0ES3_mN6thrust23THRUST_200600_302600_NS6detail15normal_iteratorINSA_10device_ptrIxEEEEPS6_NSA_18transform_iteratorINSB_9not_fun_tINSA_8identityIxEEEESF_NSA_11use_defaultESM_EENS0_5tupleIJSF_S6_EEENSO_IJSG_SG_EEES6_PlJS6_EEE10hipError_tPvRmT3_T4_T5_T6_T7_T9_mT8_P12ihipStream_tbDpT10_ENKUlT_T0_E_clISt17integral_constantIbLb0EES1A_IbLb1EEEEDaS16_S17_EUlS16_E_NS1_11comp_targetILNS1_3genE9ELNS1_11target_archE1100ELNS1_3gpuE3ELNS1_3repE0EEENS1_30default_config_static_selectorELNS0_4arch9wavefront6targetE0EEEvT1_.has_recursion, 0
	.set _ZN7rocprim17ROCPRIM_400000_NS6detail17trampoline_kernelINS0_14default_configENS1_25partition_config_selectorILNS1_17partition_subalgoE5ExNS0_10empty_typeEbEEZZNS1_14partition_implILS5_5ELb0ES3_mN6thrust23THRUST_200600_302600_NS6detail15normal_iteratorINSA_10device_ptrIxEEEEPS6_NSA_18transform_iteratorINSB_9not_fun_tINSA_8identityIxEEEESF_NSA_11use_defaultESM_EENS0_5tupleIJSF_S6_EEENSO_IJSG_SG_EEES6_PlJS6_EEE10hipError_tPvRmT3_T4_T5_T6_T7_T9_mT8_P12ihipStream_tbDpT10_ENKUlT_T0_E_clISt17integral_constantIbLb0EES1A_IbLb1EEEEDaS16_S17_EUlS16_E_NS1_11comp_targetILNS1_3genE9ELNS1_11target_archE1100ELNS1_3gpuE3ELNS1_3repE0EEENS1_30default_config_static_selectorELNS0_4arch9wavefront6targetE0EEEvT1_.has_indirect_call, 0
	.section	.AMDGPU.csdata,"",@progbits
; Kernel info:
; codeLenInByte = 0
; TotalNumSgprs: 0
; NumVgprs: 0
; ScratchSize: 0
; MemoryBound: 0
; FloatMode: 240
; IeeeMode: 1
; LDSByteSize: 0 bytes/workgroup (compile time only)
; SGPRBlocks: 0
; VGPRBlocks: 0
; NumSGPRsForWavesPerEU: 1
; NumVGPRsForWavesPerEU: 1
; Occupancy: 16
; WaveLimiterHint : 0
; COMPUTE_PGM_RSRC2:SCRATCH_EN: 0
; COMPUTE_PGM_RSRC2:USER_SGPR: 2
; COMPUTE_PGM_RSRC2:TRAP_HANDLER: 0
; COMPUTE_PGM_RSRC2:TGID_X_EN: 1
; COMPUTE_PGM_RSRC2:TGID_Y_EN: 0
; COMPUTE_PGM_RSRC2:TGID_Z_EN: 0
; COMPUTE_PGM_RSRC2:TIDIG_COMP_CNT: 0
	.section	.text._ZN7rocprim17ROCPRIM_400000_NS6detail17trampoline_kernelINS0_14default_configENS1_25partition_config_selectorILNS1_17partition_subalgoE5ExNS0_10empty_typeEbEEZZNS1_14partition_implILS5_5ELb0ES3_mN6thrust23THRUST_200600_302600_NS6detail15normal_iteratorINSA_10device_ptrIxEEEEPS6_NSA_18transform_iteratorINSB_9not_fun_tINSA_8identityIxEEEESF_NSA_11use_defaultESM_EENS0_5tupleIJSF_S6_EEENSO_IJSG_SG_EEES6_PlJS6_EEE10hipError_tPvRmT3_T4_T5_T6_T7_T9_mT8_P12ihipStream_tbDpT10_ENKUlT_T0_E_clISt17integral_constantIbLb0EES1A_IbLb1EEEEDaS16_S17_EUlS16_E_NS1_11comp_targetILNS1_3genE8ELNS1_11target_archE1030ELNS1_3gpuE2ELNS1_3repE0EEENS1_30default_config_static_selectorELNS0_4arch9wavefront6targetE0EEEvT1_,"axG",@progbits,_ZN7rocprim17ROCPRIM_400000_NS6detail17trampoline_kernelINS0_14default_configENS1_25partition_config_selectorILNS1_17partition_subalgoE5ExNS0_10empty_typeEbEEZZNS1_14partition_implILS5_5ELb0ES3_mN6thrust23THRUST_200600_302600_NS6detail15normal_iteratorINSA_10device_ptrIxEEEEPS6_NSA_18transform_iteratorINSB_9not_fun_tINSA_8identityIxEEEESF_NSA_11use_defaultESM_EENS0_5tupleIJSF_S6_EEENSO_IJSG_SG_EEES6_PlJS6_EEE10hipError_tPvRmT3_T4_T5_T6_T7_T9_mT8_P12ihipStream_tbDpT10_ENKUlT_T0_E_clISt17integral_constantIbLb0EES1A_IbLb1EEEEDaS16_S17_EUlS16_E_NS1_11comp_targetILNS1_3genE8ELNS1_11target_archE1030ELNS1_3gpuE2ELNS1_3repE0EEENS1_30default_config_static_selectorELNS0_4arch9wavefront6targetE0EEEvT1_,comdat
	.protected	_ZN7rocprim17ROCPRIM_400000_NS6detail17trampoline_kernelINS0_14default_configENS1_25partition_config_selectorILNS1_17partition_subalgoE5ExNS0_10empty_typeEbEEZZNS1_14partition_implILS5_5ELb0ES3_mN6thrust23THRUST_200600_302600_NS6detail15normal_iteratorINSA_10device_ptrIxEEEEPS6_NSA_18transform_iteratorINSB_9not_fun_tINSA_8identityIxEEEESF_NSA_11use_defaultESM_EENS0_5tupleIJSF_S6_EEENSO_IJSG_SG_EEES6_PlJS6_EEE10hipError_tPvRmT3_T4_T5_T6_T7_T9_mT8_P12ihipStream_tbDpT10_ENKUlT_T0_E_clISt17integral_constantIbLb0EES1A_IbLb1EEEEDaS16_S17_EUlS16_E_NS1_11comp_targetILNS1_3genE8ELNS1_11target_archE1030ELNS1_3gpuE2ELNS1_3repE0EEENS1_30default_config_static_selectorELNS0_4arch9wavefront6targetE0EEEvT1_ ; -- Begin function _ZN7rocprim17ROCPRIM_400000_NS6detail17trampoline_kernelINS0_14default_configENS1_25partition_config_selectorILNS1_17partition_subalgoE5ExNS0_10empty_typeEbEEZZNS1_14partition_implILS5_5ELb0ES3_mN6thrust23THRUST_200600_302600_NS6detail15normal_iteratorINSA_10device_ptrIxEEEEPS6_NSA_18transform_iteratorINSB_9not_fun_tINSA_8identityIxEEEESF_NSA_11use_defaultESM_EENS0_5tupleIJSF_S6_EEENSO_IJSG_SG_EEES6_PlJS6_EEE10hipError_tPvRmT3_T4_T5_T6_T7_T9_mT8_P12ihipStream_tbDpT10_ENKUlT_T0_E_clISt17integral_constantIbLb0EES1A_IbLb1EEEEDaS16_S17_EUlS16_E_NS1_11comp_targetILNS1_3genE8ELNS1_11target_archE1030ELNS1_3gpuE2ELNS1_3repE0EEENS1_30default_config_static_selectorELNS0_4arch9wavefront6targetE0EEEvT1_
	.globl	_ZN7rocprim17ROCPRIM_400000_NS6detail17trampoline_kernelINS0_14default_configENS1_25partition_config_selectorILNS1_17partition_subalgoE5ExNS0_10empty_typeEbEEZZNS1_14partition_implILS5_5ELb0ES3_mN6thrust23THRUST_200600_302600_NS6detail15normal_iteratorINSA_10device_ptrIxEEEEPS6_NSA_18transform_iteratorINSB_9not_fun_tINSA_8identityIxEEEESF_NSA_11use_defaultESM_EENS0_5tupleIJSF_S6_EEENSO_IJSG_SG_EEES6_PlJS6_EEE10hipError_tPvRmT3_T4_T5_T6_T7_T9_mT8_P12ihipStream_tbDpT10_ENKUlT_T0_E_clISt17integral_constantIbLb0EES1A_IbLb1EEEEDaS16_S17_EUlS16_E_NS1_11comp_targetILNS1_3genE8ELNS1_11target_archE1030ELNS1_3gpuE2ELNS1_3repE0EEENS1_30default_config_static_selectorELNS0_4arch9wavefront6targetE0EEEvT1_
	.p2align	8
	.type	_ZN7rocprim17ROCPRIM_400000_NS6detail17trampoline_kernelINS0_14default_configENS1_25partition_config_selectorILNS1_17partition_subalgoE5ExNS0_10empty_typeEbEEZZNS1_14partition_implILS5_5ELb0ES3_mN6thrust23THRUST_200600_302600_NS6detail15normal_iteratorINSA_10device_ptrIxEEEEPS6_NSA_18transform_iteratorINSB_9not_fun_tINSA_8identityIxEEEESF_NSA_11use_defaultESM_EENS0_5tupleIJSF_S6_EEENSO_IJSG_SG_EEES6_PlJS6_EEE10hipError_tPvRmT3_T4_T5_T6_T7_T9_mT8_P12ihipStream_tbDpT10_ENKUlT_T0_E_clISt17integral_constantIbLb0EES1A_IbLb1EEEEDaS16_S17_EUlS16_E_NS1_11comp_targetILNS1_3genE8ELNS1_11target_archE1030ELNS1_3gpuE2ELNS1_3repE0EEENS1_30default_config_static_selectorELNS0_4arch9wavefront6targetE0EEEvT1_,@function
_ZN7rocprim17ROCPRIM_400000_NS6detail17trampoline_kernelINS0_14default_configENS1_25partition_config_selectorILNS1_17partition_subalgoE5ExNS0_10empty_typeEbEEZZNS1_14partition_implILS5_5ELb0ES3_mN6thrust23THRUST_200600_302600_NS6detail15normal_iteratorINSA_10device_ptrIxEEEEPS6_NSA_18transform_iteratorINSB_9not_fun_tINSA_8identityIxEEEESF_NSA_11use_defaultESM_EENS0_5tupleIJSF_S6_EEENSO_IJSG_SG_EEES6_PlJS6_EEE10hipError_tPvRmT3_T4_T5_T6_T7_T9_mT8_P12ihipStream_tbDpT10_ENKUlT_T0_E_clISt17integral_constantIbLb0EES1A_IbLb1EEEEDaS16_S17_EUlS16_E_NS1_11comp_targetILNS1_3genE8ELNS1_11target_archE1030ELNS1_3gpuE2ELNS1_3repE0EEENS1_30default_config_static_selectorELNS0_4arch9wavefront6targetE0EEEvT1_: ; @_ZN7rocprim17ROCPRIM_400000_NS6detail17trampoline_kernelINS0_14default_configENS1_25partition_config_selectorILNS1_17partition_subalgoE5ExNS0_10empty_typeEbEEZZNS1_14partition_implILS5_5ELb0ES3_mN6thrust23THRUST_200600_302600_NS6detail15normal_iteratorINSA_10device_ptrIxEEEEPS6_NSA_18transform_iteratorINSB_9not_fun_tINSA_8identityIxEEEESF_NSA_11use_defaultESM_EENS0_5tupleIJSF_S6_EEENSO_IJSG_SG_EEES6_PlJS6_EEE10hipError_tPvRmT3_T4_T5_T6_T7_T9_mT8_P12ihipStream_tbDpT10_ENKUlT_T0_E_clISt17integral_constantIbLb0EES1A_IbLb1EEEEDaS16_S17_EUlS16_E_NS1_11comp_targetILNS1_3genE8ELNS1_11target_archE1030ELNS1_3gpuE2ELNS1_3repE0EEENS1_30default_config_static_selectorELNS0_4arch9wavefront6targetE0EEEvT1_
; %bb.0:
	.section	.rodata,"a",@progbits
	.p2align	6, 0x0
	.amdhsa_kernel _ZN7rocprim17ROCPRIM_400000_NS6detail17trampoline_kernelINS0_14default_configENS1_25partition_config_selectorILNS1_17partition_subalgoE5ExNS0_10empty_typeEbEEZZNS1_14partition_implILS5_5ELb0ES3_mN6thrust23THRUST_200600_302600_NS6detail15normal_iteratorINSA_10device_ptrIxEEEEPS6_NSA_18transform_iteratorINSB_9not_fun_tINSA_8identityIxEEEESF_NSA_11use_defaultESM_EENS0_5tupleIJSF_S6_EEENSO_IJSG_SG_EEES6_PlJS6_EEE10hipError_tPvRmT3_T4_T5_T6_T7_T9_mT8_P12ihipStream_tbDpT10_ENKUlT_T0_E_clISt17integral_constantIbLb0EES1A_IbLb1EEEEDaS16_S17_EUlS16_E_NS1_11comp_targetILNS1_3genE8ELNS1_11target_archE1030ELNS1_3gpuE2ELNS1_3repE0EEENS1_30default_config_static_selectorELNS0_4arch9wavefront6targetE0EEEvT1_
		.amdhsa_group_segment_fixed_size 0
		.amdhsa_private_segment_fixed_size 0
		.amdhsa_kernarg_size 136
		.amdhsa_user_sgpr_count 2
		.amdhsa_user_sgpr_dispatch_ptr 0
		.amdhsa_user_sgpr_queue_ptr 0
		.amdhsa_user_sgpr_kernarg_segment_ptr 1
		.amdhsa_user_sgpr_dispatch_id 0
		.amdhsa_user_sgpr_private_segment_size 0
		.amdhsa_wavefront_size32 1
		.amdhsa_uses_dynamic_stack 0
		.amdhsa_enable_private_segment 0
		.amdhsa_system_sgpr_workgroup_id_x 1
		.amdhsa_system_sgpr_workgroup_id_y 0
		.amdhsa_system_sgpr_workgroup_id_z 0
		.amdhsa_system_sgpr_workgroup_info 0
		.amdhsa_system_vgpr_workitem_id 0
		.amdhsa_next_free_vgpr 1
		.amdhsa_next_free_sgpr 1
		.amdhsa_reserve_vcc 0
		.amdhsa_float_round_mode_32 0
		.amdhsa_float_round_mode_16_64 0
		.amdhsa_float_denorm_mode_32 3
		.amdhsa_float_denorm_mode_16_64 3
		.amdhsa_fp16_overflow 0
		.amdhsa_workgroup_processor_mode 1
		.amdhsa_memory_ordered 1
		.amdhsa_forward_progress 1
		.amdhsa_inst_pref_size 0
		.amdhsa_round_robin_scheduling 0
		.amdhsa_exception_fp_ieee_invalid_op 0
		.amdhsa_exception_fp_denorm_src 0
		.amdhsa_exception_fp_ieee_div_zero 0
		.amdhsa_exception_fp_ieee_overflow 0
		.amdhsa_exception_fp_ieee_underflow 0
		.amdhsa_exception_fp_ieee_inexact 0
		.amdhsa_exception_int_div_zero 0
	.end_amdhsa_kernel
	.section	.text._ZN7rocprim17ROCPRIM_400000_NS6detail17trampoline_kernelINS0_14default_configENS1_25partition_config_selectorILNS1_17partition_subalgoE5ExNS0_10empty_typeEbEEZZNS1_14partition_implILS5_5ELb0ES3_mN6thrust23THRUST_200600_302600_NS6detail15normal_iteratorINSA_10device_ptrIxEEEEPS6_NSA_18transform_iteratorINSB_9not_fun_tINSA_8identityIxEEEESF_NSA_11use_defaultESM_EENS0_5tupleIJSF_S6_EEENSO_IJSG_SG_EEES6_PlJS6_EEE10hipError_tPvRmT3_T4_T5_T6_T7_T9_mT8_P12ihipStream_tbDpT10_ENKUlT_T0_E_clISt17integral_constantIbLb0EES1A_IbLb1EEEEDaS16_S17_EUlS16_E_NS1_11comp_targetILNS1_3genE8ELNS1_11target_archE1030ELNS1_3gpuE2ELNS1_3repE0EEENS1_30default_config_static_selectorELNS0_4arch9wavefront6targetE0EEEvT1_,"axG",@progbits,_ZN7rocprim17ROCPRIM_400000_NS6detail17trampoline_kernelINS0_14default_configENS1_25partition_config_selectorILNS1_17partition_subalgoE5ExNS0_10empty_typeEbEEZZNS1_14partition_implILS5_5ELb0ES3_mN6thrust23THRUST_200600_302600_NS6detail15normal_iteratorINSA_10device_ptrIxEEEEPS6_NSA_18transform_iteratorINSB_9not_fun_tINSA_8identityIxEEEESF_NSA_11use_defaultESM_EENS0_5tupleIJSF_S6_EEENSO_IJSG_SG_EEES6_PlJS6_EEE10hipError_tPvRmT3_T4_T5_T6_T7_T9_mT8_P12ihipStream_tbDpT10_ENKUlT_T0_E_clISt17integral_constantIbLb0EES1A_IbLb1EEEEDaS16_S17_EUlS16_E_NS1_11comp_targetILNS1_3genE8ELNS1_11target_archE1030ELNS1_3gpuE2ELNS1_3repE0EEENS1_30default_config_static_selectorELNS0_4arch9wavefront6targetE0EEEvT1_,comdat
.Lfunc_end980:
	.size	_ZN7rocprim17ROCPRIM_400000_NS6detail17trampoline_kernelINS0_14default_configENS1_25partition_config_selectorILNS1_17partition_subalgoE5ExNS0_10empty_typeEbEEZZNS1_14partition_implILS5_5ELb0ES3_mN6thrust23THRUST_200600_302600_NS6detail15normal_iteratorINSA_10device_ptrIxEEEEPS6_NSA_18transform_iteratorINSB_9not_fun_tINSA_8identityIxEEEESF_NSA_11use_defaultESM_EENS0_5tupleIJSF_S6_EEENSO_IJSG_SG_EEES6_PlJS6_EEE10hipError_tPvRmT3_T4_T5_T6_T7_T9_mT8_P12ihipStream_tbDpT10_ENKUlT_T0_E_clISt17integral_constantIbLb0EES1A_IbLb1EEEEDaS16_S17_EUlS16_E_NS1_11comp_targetILNS1_3genE8ELNS1_11target_archE1030ELNS1_3gpuE2ELNS1_3repE0EEENS1_30default_config_static_selectorELNS0_4arch9wavefront6targetE0EEEvT1_, .Lfunc_end980-_ZN7rocprim17ROCPRIM_400000_NS6detail17trampoline_kernelINS0_14default_configENS1_25partition_config_selectorILNS1_17partition_subalgoE5ExNS0_10empty_typeEbEEZZNS1_14partition_implILS5_5ELb0ES3_mN6thrust23THRUST_200600_302600_NS6detail15normal_iteratorINSA_10device_ptrIxEEEEPS6_NSA_18transform_iteratorINSB_9not_fun_tINSA_8identityIxEEEESF_NSA_11use_defaultESM_EENS0_5tupleIJSF_S6_EEENSO_IJSG_SG_EEES6_PlJS6_EEE10hipError_tPvRmT3_T4_T5_T6_T7_T9_mT8_P12ihipStream_tbDpT10_ENKUlT_T0_E_clISt17integral_constantIbLb0EES1A_IbLb1EEEEDaS16_S17_EUlS16_E_NS1_11comp_targetILNS1_3genE8ELNS1_11target_archE1030ELNS1_3gpuE2ELNS1_3repE0EEENS1_30default_config_static_selectorELNS0_4arch9wavefront6targetE0EEEvT1_
                                        ; -- End function
	.set _ZN7rocprim17ROCPRIM_400000_NS6detail17trampoline_kernelINS0_14default_configENS1_25partition_config_selectorILNS1_17partition_subalgoE5ExNS0_10empty_typeEbEEZZNS1_14partition_implILS5_5ELb0ES3_mN6thrust23THRUST_200600_302600_NS6detail15normal_iteratorINSA_10device_ptrIxEEEEPS6_NSA_18transform_iteratorINSB_9not_fun_tINSA_8identityIxEEEESF_NSA_11use_defaultESM_EENS0_5tupleIJSF_S6_EEENSO_IJSG_SG_EEES6_PlJS6_EEE10hipError_tPvRmT3_T4_T5_T6_T7_T9_mT8_P12ihipStream_tbDpT10_ENKUlT_T0_E_clISt17integral_constantIbLb0EES1A_IbLb1EEEEDaS16_S17_EUlS16_E_NS1_11comp_targetILNS1_3genE8ELNS1_11target_archE1030ELNS1_3gpuE2ELNS1_3repE0EEENS1_30default_config_static_selectorELNS0_4arch9wavefront6targetE0EEEvT1_.num_vgpr, 0
	.set _ZN7rocprim17ROCPRIM_400000_NS6detail17trampoline_kernelINS0_14default_configENS1_25partition_config_selectorILNS1_17partition_subalgoE5ExNS0_10empty_typeEbEEZZNS1_14partition_implILS5_5ELb0ES3_mN6thrust23THRUST_200600_302600_NS6detail15normal_iteratorINSA_10device_ptrIxEEEEPS6_NSA_18transform_iteratorINSB_9not_fun_tINSA_8identityIxEEEESF_NSA_11use_defaultESM_EENS0_5tupleIJSF_S6_EEENSO_IJSG_SG_EEES6_PlJS6_EEE10hipError_tPvRmT3_T4_T5_T6_T7_T9_mT8_P12ihipStream_tbDpT10_ENKUlT_T0_E_clISt17integral_constantIbLb0EES1A_IbLb1EEEEDaS16_S17_EUlS16_E_NS1_11comp_targetILNS1_3genE8ELNS1_11target_archE1030ELNS1_3gpuE2ELNS1_3repE0EEENS1_30default_config_static_selectorELNS0_4arch9wavefront6targetE0EEEvT1_.num_agpr, 0
	.set _ZN7rocprim17ROCPRIM_400000_NS6detail17trampoline_kernelINS0_14default_configENS1_25partition_config_selectorILNS1_17partition_subalgoE5ExNS0_10empty_typeEbEEZZNS1_14partition_implILS5_5ELb0ES3_mN6thrust23THRUST_200600_302600_NS6detail15normal_iteratorINSA_10device_ptrIxEEEEPS6_NSA_18transform_iteratorINSB_9not_fun_tINSA_8identityIxEEEESF_NSA_11use_defaultESM_EENS0_5tupleIJSF_S6_EEENSO_IJSG_SG_EEES6_PlJS6_EEE10hipError_tPvRmT3_T4_T5_T6_T7_T9_mT8_P12ihipStream_tbDpT10_ENKUlT_T0_E_clISt17integral_constantIbLb0EES1A_IbLb1EEEEDaS16_S17_EUlS16_E_NS1_11comp_targetILNS1_3genE8ELNS1_11target_archE1030ELNS1_3gpuE2ELNS1_3repE0EEENS1_30default_config_static_selectorELNS0_4arch9wavefront6targetE0EEEvT1_.numbered_sgpr, 0
	.set _ZN7rocprim17ROCPRIM_400000_NS6detail17trampoline_kernelINS0_14default_configENS1_25partition_config_selectorILNS1_17partition_subalgoE5ExNS0_10empty_typeEbEEZZNS1_14partition_implILS5_5ELb0ES3_mN6thrust23THRUST_200600_302600_NS6detail15normal_iteratorINSA_10device_ptrIxEEEEPS6_NSA_18transform_iteratorINSB_9not_fun_tINSA_8identityIxEEEESF_NSA_11use_defaultESM_EENS0_5tupleIJSF_S6_EEENSO_IJSG_SG_EEES6_PlJS6_EEE10hipError_tPvRmT3_T4_T5_T6_T7_T9_mT8_P12ihipStream_tbDpT10_ENKUlT_T0_E_clISt17integral_constantIbLb0EES1A_IbLb1EEEEDaS16_S17_EUlS16_E_NS1_11comp_targetILNS1_3genE8ELNS1_11target_archE1030ELNS1_3gpuE2ELNS1_3repE0EEENS1_30default_config_static_selectorELNS0_4arch9wavefront6targetE0EEEvT1_.num_named_barrier, 0
	.set _ZN7rocprim17ROCPRIM_400000_NS6detail17trampoline_kernelINS0_14default_configENS1_25partition_config_selectorILNS1_17partition_subalgoE5ExNS0_10empty_typeEbEEZZNS1_14partition_implILS5_5ELb0ES3_mN6thrust23THRUST_200600_302600_NS6detail15normal_iteratorINSA_10device_ptrIxEEEEPS6_NSA_18transform_iteratorINSB_9not_fun_tINSA_8identityIxEEEESF_NSA_11use_defaultESM_EENS0_5tupleIJSF_S6_EEENSO_IJSG_SG_EEES6_PlJS6_EEE10hipError_tPvRmT3_T4_T5_T6_T7_T9_mT8_P12ihipStream_tbDpT10_ENKUlT_T0_E_clISt17integral_constantIbLb0EES1A_IbLb1EEEEDaS16_S17_EUlS16_E_NS1_11comp_targetILNS1_3genE8ELNS1_11target_archE1030ELNS1_3gpuE2ELNS1_3repE0EEENS1_30default_config_static_selectorELNS0_4arch9wavefront6targetE0EEEvT1_.private_seg_size, 0
	.set _ZN7rocprim17ROCPRIM_400000_NS6detail17trampoline_kernelINS0_14default_configENS1_25partition_config_selectorILNS1_17partition_subalgoE5ExNS0_10empty_typeEbEEZZNS1_14partition_implILS5_5ELb0ES3_mN6thrust23THRUST_200600_302600_NS6detail15normal_iteratorINSA_10device_ptrIxEEEEPS6_NSA_18transform_iteratorINSB_9not_fun_tINSA_8identityIxEEEESF_NSA_11use_defaultESM_EENS0_5tupleIJSF_S6_EEENSO_IJSG_SG_EEES6_PlJS6_EEE10hipError_tPvRmT3_T4_T5_T6_T7_T9_mT8_P12ihipStream_tbDpT10_ENKUlT_T0_E_clISt17integral_constantIbLb0EES1A_IbLb1EEEEDaS16_S17_EUlS16_E_NS1_11comp_targetILNS1_3genE8ELNS1_11target_archE1030ELNS1_3gpuE2ELNS1_3repE0EEENS1_30default_config_static_selectorELNS0_4arch9wavefront6targetE0EEEvT1_.uses_vcc, 0
	.set _ZN7rocprim17ROCPRIM_400000_NS6detail17trampoline_kernelINS0_14default_configENS1_25partition_config_selectorILNS1_17partition_subalgoE5ExNS0_10empty_typeEbEEZZNS1_14partition_implILS5_5ELb0ES3_mN6thrust23THRUST_200600_302600_NS6detail15normal_iteratorINSA_10device_ptrIxEEEEPS6_NSA_18transform_iteratorINSB_9not_fun_tINSA_8identityIxEEEESF_NSA_11use_defaultESM_EENS0_5tupleIJSF_S6_EEENSO_IJSG_SG_EEES6_PlJS6_EEE10hipError_tPvRmT3_T4_T5_T6_T7_T9_mT8_P12ihipStream_tbDpT10_ENKUlT_T0_E_clISt17integral_constantIbLb0EES1A_IbLb1EEEEDaS16_S17_EUlS16_E_NS1_11comp_targetILNS1_3genE8ELNS1_11target_archE1030ELNS1_3gpuE2ELNS1_3repE0EEENS1_30default_config_static_selectorELNS0_4arch9wavefront6targetE0EEEvT1_.uses_flat_scratch, 0
	.set _ZN7rocprim17ROCPRIM_400000_NS6detail17trampoline_kernelINS0_14default_configENS1_25partition_config_selectorILNS1_17partition_subalgoE5ExNS0_10empty_typeEbEEZZNS1_14partition_implILS5_5ELb0ES3_mN6thrust23THRUST_200600_302600_NS6detail15normal_iteratorINSA_10device_ptrIxEEEEPS6_NSA_18transform_iteratorINSB_9not_fun_tINSA_8identityIxEEEESF_NSA_11use_defaultESM_EENS0_5tupleIJSF_S6_EEENSO_IJSG_SG_EEES6_PlJS6_EEE10hipError_tPvRmT3_T4_T5_T6_T7_T9_mT8_P12ihipStream_tbDpT10_ENKUlT_T0_E_clISt17integral_constantIbLb0EES1A_IbLb1EEEEDaS16_S17_EUlS16_E_NS1_11comp_targetILNS1_3genE8ELNS1_11target_archE1030ELNS1_3gpuE2ELNS1_3repE0EEENS1_30default_config_static_selectorELNS0_4arch9wavefront6targetE0EEEvT1_.has_dyn_sized_stack, 0
	.set _ZN7rocprim17ROCPRIM_400000_NS6detail17trampoline_kernelINS0_14default_configENS1_25partition_config_selectorILNS1_17partition_subalgoE5ExNS0_10empty_typeEbEEZZNS1_14partition_implILS5_5ELb0ES3_mN6thrust23THRUST_200600_302600_NS6detail15normal_iteratorINSA_10device_ptrIxEEEEPS6_NSA_18transform_iteratorINSB_9not_fun_tINSA_8identityIxEEEESF_NSA_11use_defaultESM_EENS0_5tupleIJSF_S6_EEENSO_IJSG_SG_EEES6_PlJS6_EEE10hipError_tPvRmT3_T4_T5_T6_T7_T9_mT8_P12ihipStream_tbDpT10_ENKUlT_T0_E_clISt17integral_constantIbLb0EES1A_IbLb1EEEEDaS16_S17_EUlS16_E_NS1_11comp_targetILNS1_3genE8ELNS1_11target_archE1030ELNS1_3gpuE2ELNS1_3repE0EEENS1_30default_config_static_selectorELNS0_4arch9wavefront6targetE0EEEvT1_.has_recursion, 0
	.set _ZN7rocprim17ROCPRIM_400000_NS6detail17trampoline_kernelINS0_14default_configENS1_25partition_config_selectorILNS1_17partition_subalgoE5ExNS0_10empty_typeEbEEZZNS1_14partition_implILS5_5ELb0ES3_mN6thrust23THRUST_200600_302600_NS6detail15normal_iteratorINSA_10device_ptrIxEEEEPS6_NSA_18transform_iteratorINSB_9not_fun_tINSA_8identityIxEEEESF_NSA_11use_defaultESM_EENS0_5tupleIJSF_S6_EEENSO_IJSG_SG_EEES6_PlJS6_EEE10hipError_tPvRmT3_T4_T5_T6_T7_T9_mT8_P12ihipStream_tbDpT10_ENKUlT_T0_E_clISt17integral_constantIbLb0EES1A_IbLb1EEEEDaS16_S17_EUlS16_E_NS1_11comp_targetILNS1_3genE8ELNS1_11target_archE1030ELNS1_3gpuE2ELNS1_3repE0EEENS1_30default_config_static_selectorELNS0_4arch9wavefront6targetE0EEEvT1_.has_indirect_call, 0
	.section	.AMDGPU.csdata,"",@progbits
; Kernel info:
; codeLenInByte = 0
; TotalNumSgprs: 0
; NumVgprs: 0
; ScratchSize: 0
; MemoryBound: 0
; FloatMode: 240
; IeeeMode: 1
; LDSByteSize: 0 bytes/workgroup (compile time only)
; SGPRBlocks: 0
; VGPRBlocks: 0
; NumSGPRsForWavesPerEU: 1
; NumVGPRsForWavesPerEU: 1
; Occupancy: 16
; WaveLimiterHint : 0
; COMPUTE_PGM_RSRC2:SCRATCH_EN: 0
; COMPUTE_PGM_RSRC2:USER_SGPR: 2
; COMPUTE_PGM_RSRC2:TRAP_HANDLER: 0
; COMPUTE_PGM_RSRC2:TGID_X_EN: 1
; COMPUTE_PGM_RSRC2:TGID_Y_EN: 0
; COMPUTE_PGM_RSRC2:TGID_Z_EN: 0
; COMPUTE_PGM_RSRC2:TIDIG_COMP_CNT: 0
	.section	.text._ZN7rocprim17ROCPRIM_400000_NS6detail17trampoline_kernelINS0_14default_configENS1_25partition_config_selectorILNS1_17partition_subalgoE5EiNS0_10empty_typeEbEEZZNS1_14partition_implILS5_5ELb0ES3_mN6thrust23THRUST_200600_302600_NS6detail15normal_iteratorINSA_10device_ptrIiEEEEPS6_NSA_18transform_iteratorINSB_9not_fun_tINSA_8identityIiEEEESF_NSA_11use_defaultESM_EENS0_5tupleIJSF_S6_EEENSO_IJSG_SG_EEES6_PlJS6_EEE10hipError_tPvRmT3_T4_T5_T6_T7_T9_mT8_P12ihipStream_tbDpT10_ENKUlT_T0_E_clISt17integral_constantIbLb0EES1B_EEDaS16_S17_EUlS16_E_NS1_11comp_targetILNS1_3genE0ELNS1_11target_archE4294967295ELNS1_3gpuE0ELNS1_3repE0EEENS1_30default_config_static_selectorELNS0_4arch9wavefront6targetE0EEEvT1_,"axG",@progbits,_ZN7rocprim17ROCPRIM_400000_NS6detail17trampoline_kernelINS0_14default_configENS1_25partition_config_selectorILNS1_17partition_subalgoE5EiNS0_10empty_typeEbEEZZNS1_14partition_implILS5_5ELb0ES3_mN6thrust23THRUST_200600_302600_NS6detail15normal_iteratorINSA_10device_ptrIiEEEEPS6_NSA_18transform_iteratorINSB_9not_fun_tINSA_8identityIiEEEESF_NSA_11use_defaultESM_EENS0_5tupleIJSF_S6_EEENSO_IJSG_SG_EEES6_PlJS6_EEE10hipError_tPvRmT3_T4_T5_T6_T7_T9_mT8_P12ihipStream_tbDpT10_ENKUlT_T0_E_clISt17integral_constantIbLb0EES1B_EEDaS16_S17_EUlS16_E_NS1_11comp_targetILNS1_3genE0ELNS1_11target_archE4294967295ELNS1_3gpuE0ELNS1_3repE0EEENS1_30default_config_static_selectorELNS0_4arch9wavefront6targetE0EEEvT1_,comdat
	.protected	_ZN7rocprim17ROCPRIM_400000_NS6detail17trampoline_kernelINS0_14default_configENS1_25partition_config_selectorILNS1_17partition_subalgoE5EiNS0_10empty_typeEbEEZZNS1_14partition_implILS5_5ELb0ES3_mN6thrust23THRUST_200600_302600_NS6detail15normal_iteratorINSA_10device_ptrIiEEEEPS6_NSA_18transform_iteratorINSB_9not_fun_tINSA_8identityIiEEEESF_NSA_11use_defaultESM_EENS0_5tupleIJSF_S6_EEENSO_IJSG_SG_EEES6_PlJS6_EEE10hipError_tPvRmT3_T4_T5_T6_T7_T9_mT8_P12ihipStream_tbDpT10_ENKUlT_T0_E_clISt17integral_constantIbLb0EES1B_EEDaS16_S17_EUlS16_E_NS1_11comp_targetILNS1_3genE0ELNS1_11target_archE4294967295ELNS1_3gpuE0ELNS1_3repE0EEENS1_30default_config_static_selectorELNS0_4arch9wavefront6targetE0EEEvT1_ ; -- Begin function _ZN7rocprim17ROCPRIM_400000_NS6detail17trampoline_kernelINS0_14default_configENS1_25partition_config_selectorILNS1_17partition_subalgoE5EiNS0_10empty_typeEbEEZZNS1_14partition_implILS5_5ELb0ES3_mN6thrust23THRUST_200600_302600_NS6detail15normal_iteratorINSA_10device_ptrIiEEEEPS6_NSA_18transform_iteratorINSB_9not_fun_tINSA_8identityIiEEEESF_NSA_11use_defaultESM_EENS0_5tupleIJSF_S6_EEENSO_IJSG_SG_EEES6_PlJS6_EEE10hipError_tPvRmT3_T4_T5_T6_T7_T9_mT8_P12ihipStream_tbDpT10_ENKUlT_T0_E_clISt17integral_constantIbLb0EES1B_EEDaS16_S17_EUlS16_E_NS1_11comp_targetILNS1_3genE0ELNS1_11target_archE4294967295ELNS1_3gpuE0ELNS1_3repE0EEENS1_30default_config_static_selectorELNS0_4arch9wavefront6targetE0EEEvT1_
	.globl	_ZN7rocprim17ROCPRIM_400000_NS6detail17trampoline_kernelINS0_14default_configENS1_25partition_config_selectorILNS1_17partition_subalgoE5EiNS0_10empty_typeEbEEZZNS1_14partition_implILS5_5ELb0ES3_mN6thrust23THRUST_200600_302600_NS6detail15normal_iteratorINSA_10device_ptrIiEEEEPS6_NSA_18transform_iteratorINSB_9not_fun_tINSA_8identityIiEEEESF_NSA_11use_defaultESM_EENS0_5tupleIJSF_S6_EEENSO_IJSG_SG_EEES6_PlJS6_EEE10hipError_tPvRmT3_T4_T5_T6_T7_T9_mT8_P12ihipStream_tbDpT10_ENKUlT_T0_E_clISt17integral_constantIbLb0EES1B_EEDaS16_S17_EUlS16_E_NS1_11comp_targetILNS1_3genE0ELNS1_11target_archE4294967295ELNS1_3gpuE0ELNS1_3repE0EEENS1_30default_config_static_selectorELNS0_4arch9wavefront6targetE0EEEvT1_
	.p2align	8
	.type	_ZN7rocprim17ROCPRIM_400000_NS6detail17trampoline_kernelINS0_14default_configENS1_25partition_config_selectorILNS1_17partition_subalgoE5EiNS0_10empty_typeEbEEZZNS1_14partition_implILS5_5ELb0ES3_mN6thrust23THRUST_200600_302600_NS6detail15normal_iteratorINSA_10device_ptrIiEEEEPS6_NSA_18transform_iteratorINSB_9not_fun_tINSA_8identityIiEEEESF_NSA_11use_defaultESM_EENS0_5tupleIJSF_S6_EEENSO_IJSG_SG_EEES6_PlJS6_EEE10hipError_tPvRmT3_T4_T5_T6_T7_T9_mT8_P12ihipStream_tbDpT10_ENKUlT_T0_E_clISt17integral_constantIbLb0EES1B_EEDaS16_S17_EUlS16_E_NS1_11comp_targetILNS1_3genE0ELNS1_11target_archE4294967295ELNS1_3gpuE0ELNS1_3repE0EEENS1_30default_config_static_selectorELNS0_4arch9wavefront6targetE0EEEvT1_,@function
_ZN7rocprim17ROCPRIM_400000_NS6detail17trampoline_kernelINS0_14default_configENS1_25partition_config_selectorILNS1_17partition_subalgoE5EiNS0_10empty_typeEbEEZZNS1_14partition_implILS5_5ELb0ES3_mN6thrust23THRUST_200600_302600_NS6detail15normal_iteratorINSA_10device_ptrIiEEEEPS6_NSA_18transform_iteratorINSB_9not_fun_tINSA_8identityIiEEEESF_NSA_11use_defaultESM_EENS0_5tupleIJSF_S6_EEENSO_IJSG_SG_EEES6_PlJS6_EEE10hipError_tPvRmT3_T4_T5_T6_T7_T9_mT8_P12ihipStream_tbDpT10_ENKUlT_T0_E_clISt17integral_constantIbLb0EES1B_EEDaS16_S17_EUlS16_E_NS1_11comp_targetILNS1_3genE0ELNS1_11target_archE4294967295ELNS1_3gpuE0ELNS1_3repE0EEENS1_30default_config_static_selectorELNS0_4arch9wavefront6targetE0EEEvT1_: ; @_ZN7rocprim17ROCPRIM_400000_NS6detail17trampoline_kernelINS0_14default_configENS1_25partition_config_selectorILNS1_17partition_subalgoE5EiNS0_10empty_typeEbEEZZNS1_14partition_implILS5_5ELb0ES3_mN6thrust23THRUST_200600_302600_NS6detail15normal_iteratorINSA_10device_ptrIiEEEEPS6_NSA_18transform_iteratorINSB_9not_fun_tINSA_8identityIiEEEESF_NSA_11use_defaultESM_EENS0_5tupleIJSF_S6_EEENSO_IJSG_SG_EEES6_PlJS6_EEE10hipError_tPvRmT3_T4_T5_T6_T7_T9_mT8_P12ihipStream_tbDpT10_ENKUlT_T0_E_clISt17integral_constantIbLb0EES1B_EEDaS16_S17_EUlS16_E_NS1_11comp_targetILNS1_3genE0ELNS1_11target_archE4294967295ELNS1_3gpuE0ELNS1_3repE0EEENS1_30default_config_static_selectorELNS0_4arch9wavefront6targetE0EEEvT1_
; %bb.0:
	.section	.rodata,"a",@progbits
	.p2align	6, 0x0
	.amdhsa_kernel _ZN7rocprim17ROCPRIM_400000_NS6detail17trampoline_kernelINS0_14default_configENS1_25partition_config_selectorILNS1_17partition_subalgoE5EiNS0_10empty_typeEbEEZZNS1_14partition_implILS5_5ELb0ES3_mN6thrust23THRUST_200600_302600_NS6detail15normal_iteratorINSA_10device_ptrIiEEEEPS6_NSA_18transform_iteratorINSB_9not_fun_tINSA_8identityIiEEEESF_NSA_11use_defaultESM_EENS0_5tupleIJSF_S6_EEENSO_IJSG_SG_EEES6_PlJS6_EEE10hipError_tPvRmT3_T4_T5_T6_T7_T9_mT8_P12ihipStream_tbDpT10_ENKUlT_T0_E_clISt17integral_constantIbLb0EES1B_EEDaS16_S17_EUlS16_E_NS1_11comp_targetILNS1_3genE0ELNS1_11target_archE4294967295ELNS1_3gpuE0ELNS1_3repE0EEENS1_30default_config_static_selectorELNS0_4arch9wavefront6targetE0EEEvT1_
		.amdhsa_group_segment_fixed_size 0
		.amdhsa_private_segment_fixed_size 0
		.amdhsa_kernarg_size 120
		.amdhsa_user_sgpr_count 2
		.amdhsa_user_sgpr_dispatch_ptr 0
		.amdhsa_user_sgpr_queue_ptr 0
		.amdhsa_user_sgpr_kernarg_segment_ptr 1
		.amdhsa_user_sgpr_dispatch_id 0
		.amdhsa_user_sgpr_private_segment_size 0
		.amdhsa_wavefront_size32 1
		.amdhsa_uses_dynamic_stack 0
		.amdhsa_enable_private_segment 0
		.amdhsa_system_sgpr_workgroup_id_x 1
		.amdhsa_system_sgpr_workgroup_id_y 0
		.amdhsa_system_sgpr_workgroup_id_z 0
		.amdhsa_system_sgpr_workgroup_info 0
		.amdhsa_system_vgpr_workitem_id 0
		.amdhsa_next_free_vgpr 1
		.amdhsa_next_free_sgpr 1
		.amdhsa_reserve_vcc 0
		.amdhsa_float_round_mode_32 0
		.amdhsa_float_round_mode_16_64 0
		.amdhsa_float_denorm_mode_32 3
		.amdhsa_float_denorm_mode_16_64 3
		.amdhsa_fp16_overflow 0
		.amdhsa_workgroup_processor_mode 1
		.amdhsa_memory_ordered 1
		.amdhsa_forward_progress 1
		.amdhsa_inst_pref_size 0
		.amdhsa_round_robin_scheduling 0
		.amdhsa_exception_fp_ieee_invalid_op 0
		.amdhsa_exception_fp_denorm_src 0
		.amdhsa_exception_fp_ieee_div_zero 0
		.amdhsa_exception_fp_ieee_overflow 0
		.amdhsa_exception_fp_ieee_underflow 0
		.amdhsa_exception_fp_ieee_inexact 0
		.amdhsa_exception_int_div_zero 0
	.end_amdhsa_kernel
	.section	.text._ZN7rocprim17ROCPRIM_400000_NS6detail17trampoline_kernelINS0_14default_configENS1_25partition_config_selectorILNS1_17partition_subalgoE5EiNS0_10empty_typeEbEEZZNS1_14partition_implILS5_5ELb0ES3_mN6thrust23THRUST_200600_302600_NS6detail15normal_iteratorINSA_10device_ptrIiEEEEPS6_NSA_18transform_iteratorINSB_9not_fun_tINSA_8identityIiEEEESF_NSA_11use_defaultESM_EENS0_5tupleIJSF_S6_EEENSO_IJSG_SG_EEES6_PlJS6_EEE10hipError_tPvRmT3_T4_T5_T6_T7_T9_mT8_P12ihipStream_tbDpT10_ENKUlT_T0_E_clISt17integral_constantIbLb0EES1B_EEDaS16_S17_EUlS16_E_NS1_11comp_targetILNS1_3genE0ELNS1_11target_archE4294967295ELNS1_3gpuE0ELNS1_3repE0EEENS1_30default_config_static_selectorELNS0_4arch9wavefront6targetE0EEEvT1_,"axG",@progbits,_ZN7rocprim17ROCPRIM_400000_NS6detail17trampoline_kernelINS0_14default_configENS1_25partition_config_selectorILNS1_17partition_subalgoE5EiNS0_10empty_typeEbEEZZNS1_14partition_implILS5_5ELb0ES3_mN6thrust23THRUST_200600_302600_NS6detail15normal_iteratorINSA_10device_ptrIiEEEEPS6_NSA_18transform_iteratorINSB_9not_fun_tINSA_8identityIiEEEESF_NSA_11use_defaultESM_EENS0_5tupleIJSF_S6_EEENSO_IJSG_SG_EEES6_PlJS6_EEE10hipError_tPvRmT3_T4_T5_T6_T7_T9_mT8_P12ihipStream_tbDpT10_ENKUlT_T0_E_clISt17integral_constantIbLb0EES1B_EEDaS16_S17_EUlS16_E_NS1_11comp_targetILNS1_3genE0ELNS1_11target_archE4294967295ELNS1_3gpuE0ELNS1_3repE0EEENS1_30default_config_static_selectorELNS0_4arch9wavefront6targetE0EEEvT1_,comdat
.Lfunc_end981:
	.size	_ZN7rocprim17ROCPRIM_400000_NS6detail17trampoline_kernelINS0_14default_configENS1_25partition_config_selectorILNS1_17partition_subalgoE5EiNS0_10empty_typeEbEEZZNS1_14partition_implILS5_5ELb0ES3_mN6thrust23THRUST_200600_302600_NS6detail15normal_iteratorINSA_10device_ptrIiEEEEPS6_NSA_18transform_iteratorINSB_9not_fun_tINSA_8identityIiEEEESF_NSA_11use_defaultESM_EENS0_5tupleIJSF_S6_EEENSO_IJSG_SG_EEES6_PlJS6_EEE10hipError_tPvRmT3_T4_T5_T6_T7_T9_mT8_P12ihipStream_tbDpT10_ENKUlT_T0_E_clISt17integral_constantIbLb0EES1B_EEDaS16_S17_EUlS16_E_NS1_11comp_targetILNS1_3genE0ELNS1_11target_archE4294967295ELNS1_3gpuE0ELNS1_3repE0EEENS1_30default_config_static_selectorELNS0_4arch9wavefront6targetE0EEEvT1_, .Lfunc_end981-_ZN7rocprim17ROCPRIM_400000_NS6detail17trampoline_kernelINS0_14default_configENS1_25partition_config_selectorILNS1_17partition_subalgoE5EiNS0_10empty_typeEbEEZZNS1_14partition_implILS5_5ELb0ES3_mN6thrust23THRUST_200600_302600_NS6detail15normal_iteratorINSA_10device_ptrIiEEEEPS6_NSA_18transform_iteratorINSB_9not_fun_tINSA_8identityIiEEEESF_NSA_11use_defaultESM_EENS0_5tupleIJSF_S6_EEENSO_IJSG_SG_EEES6_PlJS6_EEE10hipError_tPvRmT3_T4_T5_T6_T7_T9_mT8_P12ihipStream_tbDpT10_ENKUlT_T0_E_clISt17integral_constantIbLb0EES1B_EEDaS16_S17_EUlS16_E_NS1_11comp_targetILNS1_3genE0ELNS1_11target_archE4294967295ELNS1_3gpuE0ELNS1_3repE0EEENS1_30default_config_static_selectorELNS0_4arch9wavefront6targetE0EEEvT1_
                                        ; -- End function
	.set _ZN7rocprim17ROCPRIM_400000_NS6detail17trampoline_kernelINS0_14default_configENS1_25partition_config_selectorILNS1_17partition_subalgoE5EiNS0_10empty_typeEbEEZZNS1_14partition_implILS5_5ELb0ES3_mN6thrust23THRUST_200600_302600_NS6detail15normal_iteratorINSA_10device_ptrIiEEEEPS6_NSA_18transform_iteratorINSB_9not_fun_tINSA_8identityIiEEEESF_NSA_11use_defaultESM_EENS0_5tupleIJSF_S6_EEENSO_IJSG_SG_EEES6_PlJS6_EEE10hipError_tPvRmT3_T4_T5_T6_T7_T9_mT8_P12ihipStream_tbDpT10_ENKUlT_T0_E_clISt17integral_constantIbLb0EES1B_EEDaS16_S17_EUlS16_E_NS1_11comp_targetILNS1_3genE0ELNS1_11target_archE4294967295ELNS1_3gpuE0ELNS1_3repE0EEENS1_30default_config_static_selectorELNS0_4arch9wavefront6targetE0EEEvT1_.num_vgpr, 0
	.set _ZN7rocprim17ROCPRIM_400000_NS6detail17trampoline_kernelINS0_14default_configENS1_25partition_config_selectorILNS1_17partition_subalgoE5EiNS0_10empty_typeEbEEZZNS1_14partition_implILS5_5ELb0ES3_mN6thrust23THRUST_200600_302600_NS6detail15normal_iteratorINSA_10device_ptrIiEEEEPS6_NSA_18transform_iteratorINSB_9not_fun_tINSA_8identityIiEEEESF_NSA_11use_defaultESM_EENS0_5tupleIJSF_S6_EEENSO_IJSG_SG_EEES6_PlJS6_EEE10hipError_tPvRmT3_T4_T5_T6_T7_T9_mT8_P12ihipStream_tbDpT10_ENKUlT_T0_E_clISt17integral_constantIbLb0EES1B_EEDaS16_S17_EUlS16_E_NS1_11comp_targetILNS1_3genE0ELNS1_11target_archE4294967295ELNS1_3gpuE0ELNS1_3repE0EEENS1_30default_config_static_selectorELNS0_4arch9wavefront6targetE0EEEvT1_.num_agpr, 0
	.set _ZN7rocprim17ROCPRIM_400000_NS6detail17trampoline_kernelINS0_14default_configENS1_25partition_config_selectorILNS1_17partition_subalgoE5EiNS0_10empty_typeEbEEZZNS1_14partition_implILS5_5ELb0ES3_mN6thrust23THRUST_200600_302600_NS6detail15normal_iteratorINSA_10device_ptrIiEEEEPS6_NSA_18transform_iteratorINSB_9not_fun_tINSA_8identityIiEEEESF_NSA_11use_defaultESM_EENS0_5tupleIJSF_S6_EEENSO_IJSG_SG_EEES6_PlJS6_EEE10hipError_tPvRmT3_T4_T5_T6_T7_T9_mT8_P12ihipStream_tbDpT10_ENKUlT_T0_E_clISt17integral_constantIbLb0EES1B_EEDaS16_S17_EUlS16_E_NS1_11comp_targetILNS1_3genE0ELNS1_11target_archE4294967295ELNS1_3gpuE0ELNS1_3repE0EEENS1_30default_config_static_selectorELNS0_4arch9wavefront6targetE0EEEvT1_.numbered_sgpr, 0
	.set _ZN7rocprim17ROCPRIM_400000_NS6detail17trampoline_kernelINS0_14default_configENS1_25partition_config_selectorILNS1_17partition_subalgoE5EiNS0_10empty_typeEbEEZZNS1_14partition_implILS5_5ELb0ES3_mN6thrust23THRUST_200600_302600_NS6detail15normal_iteratorINSA_10device_ptrIiEEEEPS6_NSA_18transform_iteratorINSB_9not_fun_tINSA_8identityIiEEEESF_NSA_11use_defaultESM_EENS0_5tupleIJSF_S6_EEENSO_IJSG_SG_EEES6_PlJS6_EEE10hipError_tPvRmT3_T4_T5_T6_T7_T9_mT8_P12ihipStream_tbDpT10_ENKUlT_T0_E_clISt17integral_constantIbLb0EES1B_EEDaS16_S17_EUlS16_E_NS1_11comp_targetILNS1_3genE0ELNS1_11target_archE4294967295ELNS1_3gpuE0ELNS1_3repE0EEENS1_30default_config_static_selectorELNS0_4arch9wavefront6targetE0EEEvT1_.num_named_barrier, 0
	.set _ZN7rocprim17ROCPRIM_400000_NS6detail17trampoline_kernelINS0_14default_configENS1_25partition_config_selectorILNS1_17partition_subalgoE5EiNS0_10empty_typeEbEEZZNS1_14partition_implILS5_5ELb0ES3_mN6thrust23THRUST_200600_302600_NS6detail15normal_iteratorINSA_10device_ptrIiEEEEPS6_NSA_18transform_iteratorINSB_9not_fun_tINSA_8identityIiEEEESF_NSA_11use_defaultESM_EENS0_5tupleIJSF_S6_EEENSO_IJSG_SG_EEES6_PlJS6_EEE10hipError_tPvRmT3_T4_T5_T6_T7_T9_mT8_P12ihipStream_tbDpT10_ENKUlT_T0_E_clISt17integral_constantIbLb0EES1B_EEDaS16_S17_EUlS16_E_NS1_11comp_targetILNS1_3genE0ELNS1_11target_archE4294967295ELNS1_3gpuE0ELNS1_3repE0EEENS1_30default_config_static_selectorELNS0_4arch9wavefront6targetE0EEEvT1_.private_seg_size, 0
	.set _ZN7rocprim17ROCPRIM_400000_NS6detail17trampoline_kernelINS0_14default_configENS1_25partition_config_selectorILNS1_17partition_subalgoE5EiNS0_10empty_typeEbEEZZNS1_14partition_implILS5_5ELb0ES3_mN6thrust23THRUST_200600_302600_NS6detail15normal_iteratorINSA_10device_ptrIiEEEEPS6_NSA_18transform_iteratorINSB_9not_fun_tINSA_8identityIiEEEESF_NSA_11use_defaultESM_EENS0_5tupleIJSF_S6_EEENSO_IJSG_SG_EEES6_PlJS6_EEE10hipError_tPvRmT3_T4_T5_T6_T7_T9_mT8_P12ihipStream_tbDpT10_ENKUlT_T0_E_clISt17integral_constantIbLb0EES1B_EEDaS16_S17_EUlS16_E_NS1_11comp_targetILNS1_3genE0ELNS1_11target_archE4294967295ELNS1_3gpuE0ELNS1_3repE0EEENS1_30default_config_static_selectorELNS0_4arch9wavefront6targetE0EEEvT1_.uses_vcc, 0
	.set _ZN7rocprim17ROCPRIM_400000_NS6detail17trampoline_kernelINS0_14default_configENS1_25partition_config_selectorILNS1_17partition_subalgoE5EiNS0_10empty_typeEbEEZZNS1_14partition_implILS5_5ELb0ES3_mN6thrust23THRUST_200600_302600_NS6detail15normal_iteratorINSA_10device_ptrIiEEEEPS6_NSA_18transform_iteratorINSB_9not_fun_tINSA_8identityIiEEEESF_NSA_11use_defaultESM_EENS0_5tupleIJSF_S6_EEENSO_IJSG_SG_EEES6_PlJS6_EEE10hipError_tPvRmT3_T4_T5_T6_T7_T9_mT8_P12ihipStream_tbDpT10_ENKUlT_T0_E_clISt17integral_constantIbLb0EES1B_EEDaS16_S17_EUlS16_E_NS1_11comp_targetILNS1_3genE0ELNS1_11target_archE4294967295ELNS1_3gpuE0ELNS1_3repE0EEENS1_30default_config_static_selectorELNS0_4arch9wavefront6targetE0EEEvT1_.uses_flat_scratch, 0
	.set _ZN7rocprim17ROCPRIM_400000_NS6detail17trampoline_kernelINS0_14default_configENS1_25partition_config_selectorILNS1_17partition_subalgoE5EiNS0_10empty_typeEbEEZZNS1_14partition_implILS5_5ELb0ES3_mN6thrust23THRUST_200600_302600_NS6detail15normal_iteratorINSA_10device_ptrIiEEEEPS6_NSA_18transform_iteratorINSB_9not_fun_tINSA_8identityIiEEEESF_NSA_11use_defaultESM_EENS0_5tupleIJSF_S6_EEENSO_IJSG_SG_EEES6_PlJS6_EEE10hipError_tPvRmT3_T4_T5_T6_T7_T9_mT8_P12ihipStream_tbDpT10_ENKUlT_T0_E_clISt17integral_constantIbLb0EES1B_EEDaS16_S17_EUlS16_E_NS1_11comp_targetILNS1_3genE0ELNS1_11target_archE4294967295ELNS1_3gpuE0ELNS1_3repE0EEENS1_30default_config_static_selectorELNS0_4arch9wavefront6targetE0EEEvT1_.has_dyn_sized_stack, 0
	.set _ZN7rocprim17ROCPRIM_400000_NS6detail17trampoline_kernelINS0_14default_configENS1_25partition_config_selectorILNS1_17partition_subalgoE5EiNS0_10empty_typeEbEEZZNS1_14partition_implILS5_5ELb0ES3_mN6thrust23THRUST_200600_302600_NS6detail15normal_iteratorINSA_10device_ptrIiEEEEPS6_NSA_18transform_iteratorINSB_9not_fun_tINSA_8identityIiEEEESF_NSA_11use_defaultESM_EENS0_5tupleIJSF_S6_EEENSO_IJSG_SG_EEES6_PlJS6_EEE10hipError_tPvRmT3_T4_T5_T6_T7_T9_mT8_P12ihipStream_tbDpT10_ENKUlT_T0_E_clISt17integral_constantIbLb0EES1B_EEDaS16_S17_EUlS16_E_NS1_11comp_targetILNS1_3genE0ELNS1_11target_archE4294967295ELNS1_3gpuE0ELNS1_3repE0EEENS1_30default_config_static_selectorELNS0_4arch9wavefront6targetE0EEEvT1_.has_recursion, 0
	.set _ZN7rocprim17ROCPRIM_400000_NS6detail17trampoline_kernelINS0_14default_configENS1_25partition_config_selectorILNS1_17partition_subalgoE5EiNS0_10empty_typeEbEEZZNS1_14partition_implILS5_5ELb0ES3_mN6thrust23THRUST_200600_302600_NS6detail15normal_iteratorINSA_10device_ptrIiEEEEPS6_NSA_18transform_iteratorINSB_9not_fun_tINSA_8identityIiEEEESF_NSA_11use_defaultESM_EENS0_5tupleIJSF_S6_EEENSO_IJSG_SG_EEES6_PlJS6_EEE10hipError_tPvRmT3_T4_T5_T6_T7_T9_mT8_P12ihipStream_tbDpT10_ENKUlT_T0_E_clISt17integral_constantIbLb0EES1B_EEDaS16_S17_EUlS16_E_NS1_11comp_targetILNS1_3genE0ELNS1_11target_archE4294967295ELNS1_3gpuE0ELNS1_3repE0EEENS1_30default_config_static_selectorELNS0_4arch9wavefront6targetE0EEEvT1_.has_indirect_call, 0
	.section	.AMDGPU.csdata,"",@progbits
; Kernel info:
; codeLenInByte = 0
; TotalNumSgprs: 0
; NumVgprs: 0
; ScratchSize: 0
; MemoryBound: 0
; FloatMode: 240
; IeeeMode: 1
; LDSByteSize: 0 bytes/workgroup (compile time only)
; SGPRBlocks: 0
; VGPRBlocks: 0
; NumSGPRsForWavesPerEU: 1
; NumVGPRsForWavesPerEU: 1
; Occupancy: 16
; WaveLimiterHint : 0
; COMPUTE_PGM_RSRC2:SCRATCH_EN: 0
; COMPUTE_PGM_RSRC2:USER_SGPR: 2
; COMPUTE_PGM_RSRC2:TRAP_HANDLER: 0
; COMPUTE_PGM_RSRC2:TGID_X_EN: 1
; COMPUTE_PGM_RSRC2:TGID_Y_EN: 0
; COMPUTE_PGM_RSRC2:TGID_Z_EN: 0
; COMPUTE_PGM_RSRC2:TIDIG_COMP_CNT: 0
	.section	.text._ZN7rocprim17ROCPRIM_400000_NS6detail17trampoline_kernelINS0_14default_configENS1_25partition_config_selectorILNS1_17partition_subalgoE5EiNS0_10empty_typeEbEEZZNS1_14partition_implILS5_5ELb0ES3_mN6thrust23THRUST_200600_302600_NS6detail15normal_iteratorINSA_10device_ptrIiEEEEPS6_NSA_18transform_iteratorINSB_9not_fun_tINSA_8identityIiEEEESF_NSA_11use_defaultESM_EENS0_5tupleIJSF_S6_EEENSO_IJSG_SG_EEES6_PlJS6_EEE10hipError_tPvRmT3_T4_T5_T6_T7_T9_mT8_P12ihipStream_tbDpT10_ENKUlT_T0_E_clISt17integral_constantIbLb0EES1B_EEDaS16_S17_EUlS16_E_NS1_11comp_targetILNS1_3genE5ELNS1_11target_archE942ELNS1_3gpuE9ELNS1_3repE0EEENS1_30default_config_static_selectorELNS0_4arch9wavefront6targetE0EEEvT1_,"axG",@progbits,_ZN7rocprim17ROCPRIM_400000_NS6detail17trampoline_kernelINS0_14default_configENS1_25partition_config_selectorILNS1_17partition_subalgoE5EiNS0_10empty_typeEbEEZZNS1_14partition_implILS5_5ELb0ES3_mN6thrust23THRUST_200600_302600_NS6detail15normal_iteratorINSA_10device_ptrIiEEEEPS6_NSA_18transform_iteratorINSB_9not_fun_tINSA_8identityIiEEEESF_NSA_11use_defaultESM_EENS0_5tupleIJSF_S6_EEENSO_IJSG_SG_EEES6_PlJS6_EEE10hipError_tPvRmT3_T4_T5_T6_T7_T9_mT8_P12ihipStream_tbDpT10_ENKUlT_T0_E_clISt17integral_constantIbLb0EES1B_EEDaS16_S17_EUlS16_E_NS1_11comp_targetILNS1_3genE5ELNS1_11target_archE942ELNS1_3gpuE9ELNS1_3repE0EEENS1_30default_config_static_selectorELNS0_4arch9wavefront6targetE0EEEvT1_,comdat
	.protected	_ZN7rocprim17ROCPRIM_400000_NS6detail17trampoline_kernelINS0_14default_configENS1_25partition_config_selectorILNS1_17partition_subalgoE5EiNS0_10empty_typeEbEEZZNS1_14partition_implILS5_5ELb0ES3_mN6thrust23THRUST_200600_302600_NS6detail15normal_iteratorINSA_10device_ptrIiEEEEPS6_NSA_18transform_iteratorINSB_9not_fun_tINSA_8identityIiEEEESF_NSA_11use_defaultESM_EENS0_5tupleIJSF_S6_EEENSO_IJSG_SG_EEES6_PlJS6_EEE10hipError_tPvRmT3_T4_T5_T6_T7_T9_mT8_P12ihipStream_tbDpT10_ENKUlT_T0_E_clISt17integral_constantIbLb0EES1B_EEDaS16_S17_EUlS16_E_NS1_11comp_targetILNS1_3genE5ELNS1_11target_archE942ELNS1_3gpuE9ELNS1_3repE0EEENS1_30default_config_static_selectorELNS0_4arch9wavefront6targetE0EEEvT1_ ; -- Begin function _ZN7rocprim17ROCPRIM_400000_NS6detail17trampoline_kernelINS0_14default_configENS1_25partition_config_selectorILNS1_17partition_subalgoE5EiNS0_10empty_typeEbEEZZNS1_14partition_implILS5_5ELb0ES3_mN6thrust23THRUST_200600_302600_NS6detail15normal_iteratorINSA_10device_ptrIiEEEEPS6_NSA_18transform_iteratorINSB_9not_fun_tINSA_8identityIiEEEESF_NSA_11use_defaultESM_EENS0_5tupleIJSF_S6_EEENSO_IJSG_SG_EEES6_PlJS6_EEE10hipError_tPvRmT3_T4_T5_T6_T7_T9_mT8_P12ihipStream_tbDpT10_ENKUlT_T0_E_clISt17integral_constantIbLb0EES1B_EEDaS16_S17_EUlS16_E_NS1_11comp_targetILNS1_3genE5ELNS1_11target_archE942ELNS1_3gpuE9ELNS1_3repE0EEENS1_30default_config_static_selectorELNS0_4arch9wavefront6targetE0EEEvT1_
	.globl	_ZN7rocprim17ROCPRIM_400000_NS6detail17trampoline_kernelINS0_14default_configENS1_25partition_config_selectorILNS1_17partition_subalgoE5EiNS0_10empty_typeEbEEZZNS1_14partition_implILS5_5ELb0ES3_mN6thrust23THRUST_200600_302600_NS6detail15normal_iteratorINSA_10device_ptrIiEEEEPS6_NSA_18transform_iteratorINSB_9not_fun_tINSA_8identityIiEEEESF_NSA_11use_defaultESM_EENS0_5tupleIJSF_S6_EEENSO_IJSG_SG_EEES6_PlJS6_EEE10hipError_tPvRmT3_T4_T5_T6_T7_T9_mT8_P12ihipStream_tbDpT10_ENKUlT_T0_E_clISt17integral_constantIbLb0EES1B_EEDaS16_S17_EUlS16_E_NS1_11comp_targetILNS1_3genE5ELNS1_11target_archE942ELNS1_3gpuE9ELNS1_3repE0EEENS1_30default_config_static_selectorELNS0_4arch9wavefront6targetE0EEEvT1_
	.p2align	8
	.type	_ZN7rocprim17ROCPRIM_400000_NS6detail17trampoline_kernelINS0_14default_configENS1_25partition_config_selectorILNS1_17partition_subalgoE5EiNS0_10empty_typeEbEEZZNS1_14partition_implILS5_5ELb0ES3_mN6thrust23THRUST_200600_302600_NS6detail15normal_iteratorINSA_10device_ptrIiEEEEPS6_NSA_18transform_iteratorINSB_9not_fun_tINSA_8identityIiEEEESF_NSA_11use_defaultESM_EENS0_5tupleIJSF_S6_EEENSO_IJSG_SG_EEES6_PlJS6_EEE10hipError_tPvRmT3_T4_T5_T6_T7_T9_mT8_P12ihipStream_tbDpT10_ENKUlT_T0_E_clISt17integral_constantIbLb0EES1B_EEDaS16_S17_EUlS16_E_NS1_11comp_targetILNS1_3genE5ELNS1_11target_archE942ELNS1_3gpuE9ELNS1_3repE0EEENS1_30default_config_static_selectorELNS0_4arch9wavefront6targetE0EEEvT1_,@function
_ZN7rocprim17ROCPRIM_400000_NS6detail17trampoline_kernelINS0_14default_configENS1_25partition_config_selectorILNS1_17partition_subalgoE5EiNS0_10empty_typeEbEEZZNS1_14partition_implILS5_5ELb0ES3_mN6thrust23THRUST_200600_302600_NS6detail15normal_iteratorINSA_10device_ptrIiEEEEPS6_NSA_18transform_iteratorINSB_9not_fun_tINSA_8identityIiEEEESF_NSA_11use_defaultESM_EENS0_5tupleIJSF_S6_EEENSO_IJSG_SG_EEES6_PlJS6_EEE10hipError_tPvRmT3_T4_T5_T6_T7_T9_mT8_P12ihipStream_tbDpT10_ENKUlT_T0_E_clISt17integral_constantIbLb0EES1B_EEDaS16_S17_EUlS16_E_NS1_11comp_targetILNS1_3genE5ELNS1_11target_archE942ELNS1_3gpuE9ELNS1_3repE0EEENS1_30default_config_static_selectorELNS0_4arch9wavefront6targetE0EEEvT1_: ; @_ZN7rocprim17ROCPRIM_400000_NS6detail17trampoline_kernelINS0_14default_configENS1_25partition_config_selectorILNS1_17partition_subalgoE5EiNS0_10empty_typeEbEEZZNS1_14partition_implILS5_5ELb0ES3_mN6thrust23THRUST_200600_302600_NS6detail15normal_iteratorINSA_10device_ptrIiEEEEPS6_NSA_18transform_iteratorINSB_9not_fun_tINSA_8identityIiEEEESF_NSA_11use_defaultESM_EENS0_5tupleIJSF_S6_EEENSO_IJSG_SG_EEES6_PlJS6_EEE10hipError_tPvRmT3_T4_T5_T6_T7_T9_mT8_P12ihipStream_tbDpT10_ENKUlT_T0_E_clISt17integral_constantIbLb0EES1B_EEDaS16_S17_EUlS16_E_NS1_11comp_targetILNS1_3genE5ELNS1_11target_archE942ELNS1_3gpuE9ELNS1_3repE0EEENS1_30default_config_static_selectorELNS0_4arch9wavefront6targetE0EEEvT1_
; %bb.0:
	.section	.rodata,"a",@progbits
	.p2align	6, 0x0
	.amdhsa_kernel _ZN7rocprim17ROCPRIM_400000_NS6detail17trampoline_kernelINS0_14default_configENS1_25partition_config_selectorILNS1_17partition_subalgoE5EiNS0_10empty_typeEbEEZZNS1_14partition_implILS5_5ELb0ES3_mN6thrust23THRUST_200600_302600_NS6detail15normal_iteratorINSA_10device_ptrIiEEEEPS6_NSA_18transform_iteratorINSB_9not_fun_tINSA_8identityIiEEEESF_NSA_11use_defaultESM_EENS0_5tupleIJSF_S6_EEENSO_IJSG_SG_EEES6_PlJS6_EEE10hipError_tPvRmT3_T4_T5_T6_T7_T9_mT8_P12ihipStream_tbDpT10_ENKUlT_T0_E_clISt17integral_constantIbLb0EES1B_EEDaS16_S17_EUlS16_E_NS1_11comp_targetILNS1_3genE5ELNS1_11target_archE942ELNS1_3gpuE9ELNS1_3repE0EEENS1_30default_config_static_selectorELNS0_4arch9wavefront6targetE0EEEvT1_
		.amdhsa_group_segment_fixed_size 0
		.amdhsa_private_segment_fixed_size 0
		.amdhsa_kernarg_size 120
		.amdhsa_user_sgpr_count 2
		.amdhsa_user_sgpr_dispatch_ptr 0
		.amdhsa_user_sgpr_queue_ptr 0
		.amdhsa_user_sgpr_kernarg_segment_ptr 1
		.amdhsa_user_sgpr_dispatch_id 0
		.amdhsa_user_sgpr_private_segment_size 0
		.amdhsa_wavefront_size32 1
		.amdhsa_uses_dynamic_stack 0
		.amdhsa_enable_private_segment 0
		.amdhsa_system_sgpr_workgroup_id_x 1
		.amdhsa_system_sgpr_workgroup_id_y 0
		.amdhsa_system_sgpr_workgroup_id_z 0
		.amdhsa_system_sgpr_workgroup_info 0
		.amdhsa_system_vgpr_workitem_id 0
		.amdhsa_next_free_vgpr 1
		.amdhsa_next_free_sgpr 1
		.amdhsa_reserve_vcc 0
		.amdhsa_float_round_mode_32 0
		.amdhsa_float_round_mode_16_64 0
		.amdhsa_float_denorm_mode_32 3
		.amdhsa_float_denorm_mode_16_64 3
		.amdhsa_fp16_overflow 0
		.amdhsa_workgroup_processor_mode 1
		.amdhsa_memory_ordered 1
		.amdhsa_forward_progress 1
		.amdhsa_inst_pref_size 0
		.amdhsa_round_robin_scheduling 0
		.amdhsa_exception_fp_ieee_invalid_op 0
		.amdhsa_exception_fp_denorm_src 0
		.amdhsa_exception_fp_ieee_div_zero 0
		.amdhsa_exception_fp_ieee_overflow 0
		.amdhsa_exception_fp_ieee_underflow 0
		.amdhsa_exception_fp_ieee_inexact 0
		.amdhsa_exception_int_div_zero 0
	.end_amdhsa_kernel
	.section	.text._ZN7rocprim17ROCPRIM_400000_NS6detail17trampoline_kernelINS0_14default_configENS1_25partition_config_selectorILNS1_17partition_subalgoE5EiNS0_10empty_typeEbEEZZNS1_14partition_implILS5_5ELb0ES3_mN6thrust23THRUST_200600_302600_NS6detail15normal_iteratorINSA_10device_ptrIiEEEEPS6_NSA_18transform_iteratorINSB_9not_fun_tINSA_8identityIiEEEESF_NSA_11use_defaultESM_EENS0_5tupleIJSF_S6_EEENSO_IJSG_SG_EEES6_PlJS6_EEE10hipError_tPvRmT3_T4_T5_T6_T7_T9_mT8_P12ihipStream_tbDpT10_ENKUlT_T0_E_clISt17integral_constantIbLb0EES1B_EEDaS16_S17_EUlS16_E_NS1_11comp_targetILNS1_3genE5ELNS1_11target_archE942ELNS1_3gpuE9ELNS1_3repE0EEENS1_30default_config_static_selectorELNS0_4arch9wavefront6targetE0EEEvT1_,"axG",@progbits,_ZN7rocprim17ROCPRIM_400000_NS6detail17trampoline_kernelINS0_14default_configENS1_25partition_config_selectorILNS1_17partition_subalgoE5EiNS0_10empty_typeEbEEZZNS1_14partition_implILS5_5ELb0ES3_mN6thrust23THRUST_200600_302600_NS6detail15normal_iteratorINSA_10device_ptrIiEEEEPS6_NSA_18transform_iteratorINSB_9not_fun_tINSA_8identityIiEEEESF_NSA_11use_defaultESM_EENS0_5tupleIJSF_S6_EEENSO_IJSG_SG_EEES6_PlJS6_EEE10hipError_tPvRmT3_T4_T5_T6_T7_T9_mT8_P12ihipStream_tbDpT10_ENKUlT_T0_E_clISt17integral_constantIbLb0EES1B_EEDaS16_S17_EUlS16_E_NS1_11comp_targetILNS1_3genE5ELNS1_11target_archE942ELNS1_3gpuE9ELNS1_3repE0EEENS1_30default_config_static_selectorELNS0_4arch9wavefront6targetE0EEEvT1_,comdat
.Lfunc_end982:
	.size	_ZN7rocprim17ROCPRIM_400000_NS6detail17trampoline_kernelINS0_14default_configENS1_25partition_config_selectorILNS1_17partition_subalgoE5EiNS0_10empty_typeEbEEZZNS1_14partition_implILS5_5ELb0ES3_mN6thrust23THRUST_200600_302600_NS6detail15normal_iteratorINSA_10device_ptrIiEEEEPS6_NSA_18transform_iteratorINSB_9not_fun_tINSA_8identityIiEEEESF_NSA_11use_defaultESM_EENS0_5tupleIJSF_S6_EEENSO_IJSG_SG_EEES6_PlJS6_EEE10hipError_tPvRmT3_T4_T5_T6_T7_T9_mT8_P12ihipStream_tbDpT10_ENKUlT_T0_E_clISt17integral_constantIbLb0EES1B_EEDaS16_S17_EUlS16_E_NS1_11comp_targetILNS1_3genE5ELNS1_11target_archE942ELNS1_3gpuE9ELNS1_3repE0EEENS1_30default_config_static_selectorELNS0_4arch9wavefront6targetE0EEEvT1_, .Lfunc_end982-_ZN7rocprim17ROCPRIM_400000_NS6detail17trampoline_kernelINS0_14default_configENS1_25partition_config_selectorILNS1_17partition_subalgoE5EiNS0_10empty_typeEbEEZZNS1_14partition_implILS5_5ELb0ES3_mN6thrust23THRUST_200600_302600_NS6detail15normal_iteratorINSA_10device_ptrIiEEEEPS6_NSA_18transform_iteratorINSB_9not_fun_tINSA_8identityIiEEEESF_NSA_11use_defaultESM_EENS0_5tupleIJSF_S6_EEENSO_IJSG_SG_EEES6_PlJS6_EEE10hipError_tPvRmT3_T4_T5_T6_T7_T9_mT8_P12ihipStream_tbDpT10_ENKUlT_T0_E_clISt17integral_constantIbLb0EES1B_EEDaS16_S17_EUlS16_E_NS1_11comp_targetILNS1_3genE5ELNS1_11target_archE942ELNS1_3gpuE9ELNS1_3repE0EEENS1_30default_config_static_selectorELNS0_4arch9wavefront6targetE0EEEvT1_
                                        ; -- End function
	.set _ZN7rocprim17ROCPRIM_400000_NS6detail17trampoline_kernelINS0_14default_configENS1_25partition_config_selectorILNS1_17partition_subalgoE5EiNS0_10empty_typeEbEEZZNS1_14partition_implILS5_5ELb0ES3_mN6thrust23THRUST_200600_302600_NS6detail15normal_iteratorINSA_10device_ptrIiEEEEPS6_NSA_18transform_iteratorINSB_9not_fun_tINSA_8identityIiEEEESF_NSA_11use_defaultESM_EENS0_5tupleIJSF_S6_EEENSO_IJSG_SG_EEES6_PlJS6_EEE10hipError_tPvRmT3_T4_T5_T6_T7_T9_mT8_P12ihipStream_tbDpT10_ENKUlT_T0_E_clISt17integral_constantIbLb0EES1B_EEDaS16_S17_EUlS16_E_NS1_11comp_targetILNS1_3genE5ELNS1_11target_archE942ELNS1_3gpuE9ELNS1_3repE0EEENS1_30default_config_static_selectorELNS0_4arch9wavefront6targetE0EEEvT1_.num_vgpr, 0
	.set _ZN7rocprim17ROCPRIM_400000_NS6detail17trampoline_kernelINS0_14default_configENS1_25partition_config_selectorILNS1_17partition_subalgoE5EiNS0_10empty_typeEbEEZZNS1_14partition_implILS5_5ELb0ES3_mN6thrust23THRUST_200600_302600_NS6detail15normal_iteratorINSA_10device_ptrIiEEEEPS6_NSA_18transform_iteratorINSB_9not_fun_tINSA_8identityIiEEEESF_NSA_11use_defaultESM_EENS0_5tupleIJSF_S6_EEENSO_IJSG_SG_EEES6_PlJS6_EEE10hipError_tPvRmT3_T4_T5_T6_T7_T9_mT8_P12ihipStream_tbDpT10_ENKUlT_T0_E_clISt17integral_constantIbLb0EES1B_EEDaS16_S17_EUlS16_E_NS1_11comp_targetILNS1_3genE5ELNS1_11target_archE942ELNS1_3gpuE9ELNS1_3repE0EEENS1_30default_config_static_selectorELNS0_4arch9wavefront6targetE0EEEvT1_.num_agpr, 0
	.set _ZN7rocprim17ROCPRIM_400000_NS6detail17trampoline_kernelINS0_14default_configENS1_25partition_config_selectorILNS1_17partition_subalgoE5EiNS0_10empty_typeEbEEZZNS1_14partition_implILS5_5ELb0ES3_mN6thrust23THRUST_200600_302600_NS6detail15normal_iteratorINSA_10device_ptrIiEEEEPS6_NSA_18transform_iteratorINSB_9not_fun_tINSA_8identityIiEEEESF_NSA_11use_defaultESM_EENS0_5tupleIJSF_S6_EEENSO_IJSG_SG_EEES6_PlJS6_EEE10hipError_tPvRmT3_T4_T5_T6_T7_T9_mT8_P12ihipStream_tbDpT10_ENKUlT_T0_E_clISt17integral_constantIbLb0EES1B_EEDaS16_S17_EUlS16_E_NS1_11comp_targetILNS1_3genE5ELNS1_11target_archE942ELNS1_3gpuE9ELNS1_3repE0EEENS1_30default_config_static_selectorELNS0_4arch9wavefront6targetE0EEEvT1_.numbered_sgpr, 0
	.set _ZN7rocprim17ROCPRIM_400000_NS6detail17trampoline_kernelINS0_14default_configENS1_25partition_config_selectorILNS1_17partition_subalgoE5EiNS0_10empty_typeEbEEZZNS1_14partition_implILS5_5ELb0ES3_mN6thrust23THRUST_200600_302600_NS6detail15normal_iteratorINSA_10device_ptrIiEEEEPS6_NSA_18transform_iteratorINSB_9not_fun_tINSA_8identityIiEEEESF_NSA_11use_defaultESM_EENS0_5tupleIJSF_S6_EEENSO_IJSG_SG_EEES6_PlJS6_EEE10hipError_tPvRmT3_T4_T5_T6_T7_T9_mT8_P12ihipStream_tbDpT10_ENKUlT_T0_E_clISt17integral_constantIbLb0EES1B_EEDaS16_S17_EUlS16_E_NS1_11comp_targetILNS1_3genE5ELNS1_11target_archE942ELNS1_3gpuE9ELNS1_3repE0EEENS1_30default_config_static_selectorELNS0_4arch9wavefront6targetE0EEEvT1_.num_named_barrier, 0
	.set _ZN7rocprim17ROCPRIM_400000_NS6detail17trampoline_kernelINS0_14default_configENS1_25partition_config_selectorILNS1_17partition_subalgoE5EiNS0_10empty_typeEbEEZZNS1_14partition_implILS5_5ELb0ES3_mN6thrust23THRUST_200600_302600_NS6detail15normal_iteratorINSA_10device_ptrIiEEEEPS6_NSA_18transform_iteratorINSB_9not_fun_tINSA_8identityIiEEEESF_NSA_11use_defaultESM_EENS0_5tupleIJSF_S6_EEENSO_IJSG_SG_EEES6_PlJS6_EEE10hipError_tPvRmT3_T4_T5_T6_T7_T9_mT8_P12ihipStream_tbDpT10_ENKUlT_T0_E_clISt17integral_constantIbLb0EES1B_EEDaS16_S17_EUlS16_E_NS1_11comp_targetILNS1_3genE5ELNS1_11target_archE942ELNS1_3gpuE9ELNS1_3repE0EEENS1_30default_config_static_selectorELNS0_4arch9wavefront6targetE0EEEvT1_.private_seg_size, 0
	.set _ZN7rocprim17ROCPRIM_400000_NS6detail17trampoline_kernelINS0_14default_configENS1_25partition_config_selectorILNS1_17partition_subalgoE5EiNS0_10empty_typeEbEEZZNS1_14partition_implILS5_5ELb0ES3_mN6thrust23THRUST_200600_302600_NS6detail15normal_iteratorINSA_10device_ptrIiEEEEPS6_NSA_18transform_iteratorINSB_9not_fun_tINSA_8identityIiEEEESF_NSA_11use_defaultESM_EENS0_5tupleIJSF_S6_EEENSO_IJSG_SG_EEES6_PlJS6_EEE10hipError_tPvRmT3_T4_T5_T6_T7_T9_mT8_P12ihipStream_tbDpT10_ENKUlT_T0_E_clISt17integral_constantIbLb0EES1B_EEDaS16_S17_EUlS16_E_NS1_11comp_targetILNS1_3genE5ELNS1_11target_archE942ELNS1_3gpuE9ELNS1_3repE0EEENS1_30default_config_static_selectorELNS0_4arch9wavefront6targetE0EEEvT1_.uses_vcc, 0
	.set _ZN7rocprim17ROCPRIM_400000_NS6detail17trampoline_kernelINS0_14default_configENS1_25partition_config_selectorILNS1_17partition_subalgoE5EiNS0_10empty_typeEbEEZZNS1_14partition_implILS5_5ELb0ES3_mN6thrust23THRUST_200600_302600_NS6detail15normal_iteratorINSA_10device_ptrIiEEEEPS6_NSA_18transform_iteratorINSB_9not_fun_tINSA_8identityIiEEEESF_NSA_11use_defaultESM_EENS0_5tupleIJSF_S6_EEENSO_IJSG_SG_EEES6_PlJS6_EEE10hipError_tPvRmT3_T4_T5_T6_T7_T9_mT8_P12ihipStream_tbDpT10_ENKUlT_T0_E_clISt17integral_constantIbLb0EES1B_EEDaS16_S17_EUlS16_E_NS1_11comp_targetILNS1_3genE5ELNS1_11target_archE942ELNS1_3gpuE9ELNS1_3repE0EEENS1_30default_config_static_selectorELNS0_4arch9wavefront6targetE0EEEvT1_.uses_flat_scratch, 0
	.set _ZN7rocprim17ROCPRIM_400000_NS6detail17trampoline_kernelINS0_14default_configENS1_25partition_config_selectorILNS1_17partition_subalgoE5EiNS0_10empty_typeEbEEZZNS1_14partition_implILS5_5ELb0ES3_mN6thrust23THRUST_200600_302600_NS6detail15normal_iteratorINSA_10device_ptrIiEEEEPS6_NSA_18transform_iteratorINSB_9not_fun_tINSA_8identityIiEEEESF_NSA_11use_defaultESM_EENS0_5tupleIJSF_S6_EEENSO_IJSG_SG_EEES6_PlJS6_EEE10hipError_tPvRmT3_T4_T5_T6_T7_T9_mT8_P12ihipStream_tbDpT10_ENKUlT_T0_E_clISt17integral_constantIbLb0EES1B_EEDaS16_S17_EUlS16_E_NS1_11comp_targetILNS1_3genE5ELNS1_11target_archE942ELNS1_3gpuE9ELNS1_3repE0EEENS1_30default_config_static_selectorELNS0_4arch9wavefront6targetE0EEEvT1_.has_dyn_sized_stack, 0
	.set _ZN7rocprim17ROCPRIM_400000_NS6detail17trampoline_kernelINS0_14default_configENS1_25partition_config_selectorILNS1_17partition_subalgoE5EiNS0_10empty_typeEbEEZZNS1_14partition_implILS5_5ELb0ES3_mN6thrust23THRUST_200600_302600_NS6detail15normal_iteratorINSA_10device_ptrIiEEEEPS6_NSA_18transform_iteratorINSB_9not_fun_tINSA_8identityIiEEEESF_NSA_11use_defaultESM_EENS0_5tupleIJSF_S6_EEENSO_IJSG_SG_EEES6_PlJS6_EEE10hipError_tPvRmT3_T4_T5_T6_T7_T9_mT8_P12ihipStream_tbDpT10_ENKUlT_T0_E_clISt17integral_constantIbLb0EES1B_EEDaS16_S17_EUlS16_E_NS1_11comp_targetILNS1_3genE5ELNS1_11target_archE942ELNS1_3gpuE9ELNS1_3repE0EEENS1_30default_config_static_selectorELNS0_4arch9wavefront6targetE0EEEvT1_.has_recursion, 0
	.set _ZN7rocprim17ROCPRIM_400000_NS6detail17trampoline_kernelINS0_14default_configENS1_25partition_config_selectorILNS1_17partition_subalgoE5EiNS0_10empty_typeEbEEZZNS1_14partition_implILS5_5ELb0ES3_mN6thrust23THRUST_200600_302600_NS6detail15normal_iteratorINSA_10device_ptrIiEEEEPS6_NSA_18transform_iteratorINSB_9not_fun_tINSA_8identityIiEEEESF_NSA_11use_defaultESM_EENS0_5tupleIJSF_S6_EEENSO_IJSG_SG_EEES6_PlJS6_EEE10hipError_tPvRmT3_T4_T5_T6_T7_T9_mT8_P12ihipStream_tbDpT10_ENKUlT_T0_E_clISt17integral_constantIbLb0EES1B_EEDaS16_S17_EUlS16_E_NS1_11comp_targetILNS1_3genE5ELNS1_11target_archE942ELNS1_3gpuE9ELNS1_3repE0EEENS1_30default_config_static_selectorELNS0_4arch9wavefront6targetE0EEEvT1_.has_indirect_call, 0
	.section	.AMDGPU.csdata,"",@progbits
; Kernel info:
; codeLenInByte = 0
; TotalNumSgprs: 0
; NumVgprs: 0
; ScratchSize: 0
; MemoryBound: 0
; FloatMode: 240
; IeeeMode: 1
; LDSByteSize: 0 bytes/workgroup (compile time only)
; SGPRBlocks: 0
; VGPRBlocks: 0
; NumSGPRsForWavesPerEU: 1
; NumVGPRsForWavesPerEU: 1
; Occupancy: 16
; WaveLimiterHint : 0
; COMPUTE_PGM_RSRC2:SCRATCH_EN: 0
; COMPUTE_PGM_RSRC2:USER_SGPR: 2
; COMPUTE_PGM_RSRC2:TRAP_HANDLER: 0
; COMPUTE_PGM_RSRC2:TGID_X_EN: 1
; COMPUTE_PGM_RSRC2:TGID_Y_EN: 0
; COMPUTE_PGM_RSRC2:TGID_Z_EN: 0
; COMPUTE_PGM_RSRC2:TIDIG_COMP_CNT: 0
	.section	.text._ZN7rocprim17ROCPRIM_400000_NS6detail17trampoline_kernelINS0_14default_configENS1_25partition_config_selectorILNS1_17partition_subalgoE5EiNS0_10empty_typeEbEEZZNS1_14partition_implILS5_5ELb0ES3_mN6thrust23THRUST_200600_302600_NS6detail15normal_iteratorINSA_10device_ptrIiEEEEPS6_NSA_18transform_iteratorINSB_9not_fun_tINSA_8identityIiEEEESF_NSA_11use_defaultESM_EENS0_5tupleIJSF_S6_EEENSO_IJSG_SG_EEES6_PlJS6_EEE10hipError_tPvRmT3_T4_T5_T6_T7_T9_mT8_P12ihipStream_tbDpT10_ENKUlT_T0_E_clISt17integral_constantIbLb0EES1B_EEDaS16_S17_EUlS16_E_NS1_11comp_targetILNS1_3genE4ELNS1_11target_archE910ELNS1_3gpuE8ELNS1_3repE0EEENS1_30default_config_static_selectorELNS0_4arch9wavefront6targetE0EEEvT1_,"axG",@progbits,_ZN7rocprim17ROCPRIM_400000_NS6detail17trampoline_kernelINS0_14default_configENS1_25partition_config_selectorILNS1_17partition_subalgoE5EiNS0_10empty_typeEbEEZZNS1_14partition_implILS5_5ELb0ES3_mN6thrust23THRUST_200600_302600_NS6detail15normal_iteratorINSA_10device_ptrIiEEEEPS6_NSA_18transform_iteratorINSB_9not_fun_tINSA_8identityIiEEEESF_NSA_11use_defaultESM_EENS0_5tupleIJSF_S6_EEENSO_IJSG_SG_EEES6_PlJS6_EEE10hipError_tPvRmT3_T4_T5_T6_T7_T9_mT8_P12ihipStream_tbDpT10_ENKUlT_T0_E_clISt17integral_constantIbLb0EES1B_EEDaS16_S17_EUlS16_E_NS1_11comp_targetILNS1_3genE4ELNS1_11target_archE910ELNS1_3gpuE8ELNS1_3repE0EEENS1_30default_config_static_selectorELNS0_4arch9wavefront6targetE0EEEvT1_,comdat
	.protected	_ZN7rocprim17ROCPRIM_400000_NS6detail17trampoline_kernelINS0_14default_configENS1_25partition_config_selectorILNS1_17partition_subalgoE5EiNS0_10empty_typeEbEEZZNS1_14partition_implILS5_5ELb0ES3_mN6thrust23THRUST_200600_302600_NS6detail15normal_iteratorINSA_10device_ptrIiEEEEPS6_NSA_18transform_iteratorINSB_9not_fun_tINSA_8identityIiEEEESF_NSA_11use_defaultESM_EENS0_5tupleIJSF_S6_EEENSO_IJSG_SG_EEES6_PlJS6_EEE10hipError_tPvRmT3_T4_T5_T6_T7_T9_mT8_P12ihipStream_tbDpT10_ENKUlT_T0_E_clISt17integral_constantIbLb0EES1B_EEDaS16_S17_EUlS16_E_NS1_11comp_targetILNS1_3genE4ELNS1_11target_archE910ELNS1_3gpuE8ELNS1_3repE0EEENS1_30default_config_static_selectorELNS0_4arch9wavefront6targetE0EEEvT1_ ; -- Begin function _ZN7rocprim17ROCPRIM_400000_NS6detail17trampoline_kernelINS0_14default_configENS1_25partition_config_selectorILNS1_17partition_subalgoE5EiNS0_10empty_typeEbEEZZNS1_14partition_implILS5_5ELb0ES3_mN6thrust23THRUST_200600_302600_NS6detail15normal_iteratorINSA_10device_ptrIiEEEEPS6_NSA_18transform_iteratorINSB_9not_fun_tINSA_8identityIiEEEESF_NSA_11use_defaultESM_EENS0_5tupleIJSF_S6_EEENSO_IJSG_SG_EEES6_PlJS6_EEE10hipError_tPvRmT3_T4_T5_T6_T7_T9_mT8_P12ihipStream_tbDpT10_ENKUlT_T0_E_clISt17integral_constantIbLb0EES1B_EEDaS16_S17_EUlS16_E_NS1_11comp_targetILNS1_3genE4ELNS1_11target_archE910ELNS1_3gpuE8ELNS1_3repE0EEENS1_30default_config_static_selectorELNS0_4arch9wavefront6targetE0EEEvT1_
	.globl	_ZN7rocprim17ROCPRIM_400000_NS6detail17trampoline_kernelINS0_14default_configENS1_25partition_config_selectorILNS1_17partition_subalgoE5EiNS0_10empty_typeEbEEZZNS1_14partition_implILS5_5ELb0ES3_mN6thrust23THRUST_200600_302600_NS6detail15normal_iteratorINSA_10device_ptrIiEEEEPS6_NSA_18transform_iteratorINSB_9not_fun_tINSA_8identityIiEEEESF_NSA_11use_defaultESM_EENS0_5tupleIJSF_S6_EEENSO_IJSG_SG_EEES6_PlJS6_EEE10hipError_tPvRmT3_T4_T5_T6_T7_T9_mT8_P12ihipStream_tbDpT10_ENKUlT_T0_E_clISt17integral_constantIbLb0EES1B_EEDaS16_S17_EUlS16_E_NS1_11comp_targetILNS1_3genE4ELNS1_11target_archE910ELNS1_3gpuE8ELNS1_3repE0EEENS1_30default_config_static_selectorELNS0_4arch9wavefront6targetE0EEEvT1_
	.p2align	8
	.type	_ZN7rocprim17ROCPRIM_400000_NS6detail17trampoline_kernelINS0_14default_configENS1_25partition_config_selectorILNS1_17partition_subalgoE5EiNS0_10empty_typeEbEEZZNS1_14partition_implILS5_5ELb0ES3_mN6thrust23THRUST_200600_302600_NS6detail15normal_iteratorINSA_10device_ptrIiEEEEPS6_NSA_18transform_iteratorINSB_9not_fun_tINSA_8identityIiEEEESF_NSA_11use_defaultESM_EENS0_5tupleIJSF_S6_EEENSO_IJSG_SG_EEES6_PlJS6_EEE10hipError_tPvRmT3_T4_T5_T6_T7_T9_mT8_P12ihipStream_tbDpT10_ENKUlT_T0_E_clISt17integral_constantIbLb0EES1B_EEDaS16_S17_EUlS16_E_NS1_11comp_targetILNS1_3genE4ELNS1_11target_archE910ELNS1_3gpuE8ELNS1_3repE0EEENS1_30default_config_static_selectorELNS0_4arch9wavefront6targetE0EEEvT1_,@function
_ZN7rocprim17ROCPRIM_400000_NS6detail17trampoline_kernelINS0_14default_configENS1_25partition_config_selectorILNS1_17partition_subalgoE5EiNS0_10empty_typeEbEEZZNS1_14partition_implILS5_5ELb0ES3_mN6thrust23THRUST_200600_302600_NS6detail15normal_iteratorINSA_10device_ptrIiEEEEPS6_NSA_18transform_iteratorINSB_9not_fun_tINSA_8identityIiEEEESF_NSA_11use_defaultESM_EENS0_5tupleIJSF_S6_EEENSO_IJSG_SG_EEES6_PlJS6_EEE10hipError_tPvRmT3_T4_T5_T6_T7_T9_mT8_P12ihipStream_tbDpT10_ENKUlT_T0_E_clISt17integral_constantIbLb0EES1B_EEDaS16_S17_EUlS16_E_NS1_11comp_targetILNS1_3genE4ELNS1_11target_archE910ELNS1_3gpuE8ELNS1_3repE0EEENS1_30default_config_static_selectorELNS0_4arch9wavefront6targetE0EEEvT1_: ; @_ZN7rocprim17ROCPRIM_400000_NS6detail17trampoline_kernelINS0_14default_configENS1_25partition_config_selectorILNS1_17partition_subalgoE5EiNS0_10empty_typeEbEEZZNS1_14partition_implILS5_5ELb0ES3_mN6thrust23THRUST_200600_302600_NS6detail15normal_iteratorINSA_10device_ptrIiEEEEPS6_NSA_18transform_iteratorINSB_9not_fun_tINSA_8identityIiEEEESF_NSA_11use_defaultESM_EENS0_5tupleIJSF_S6_EEENSO_IJSG_SG_EEES6_PlJS6_EEE10hipError_tPvRmT3_T4_T5_T6_T7_T9_mT8_P12ihipStream_tbDpT10_ENKUlT_T0_E_clISt17integral_constantIbLb0EES1B_EEDaS16_S17_EUlS16_E_NS1_11comp_targetILNS1_3genE4ELNS1_11target_archE910ELNS1_3gpuE8ELNS1_3repE0EEENS1_30default_config_static_selectorELNS0_4arch9wavefront6targetE0EEEvT1_
; %bb.0:
	.section	.rodata,"a",@progbits
	.p2align	6, 0x0
	.amdhsa_kernel _ZN7rocprim17ROCPRIM_400000_NS6detail17trampoline_kernelINS0_14default_configENS1_25partition_config_selectorILNS1_17partition_subalgoE5EiNS0_10empty_typeEbEEZZNS1_14partition_implILS5_5ELb0ES3_mN6thrust23THRUST_200600_302600_NS6detail15normal_iteratorINSA_10device_ptrIiEEEEPS6_NSA_18transform_iteratorINSB_9not_fun_tINSA_8identityIiEEEESF_NSA_11use_defaultESM_EENS0_5tupleIJSF_S6_EEENSO_IJSG_SG_EEES6_PlJS6_EEE10hipError_tPvRmT3_T4_T5_T6_T7_T9_mT8_P12ihipStream_tbDpT10_ENKUlT_T0_E_clISt17integral_constantIbLb0EES1B_EEDaS16_S17_EUlS16_E_NS1_11comp_targetILNS1_3genE4ELNS1_11target_archE910ELNS1_3gpuE8ELNS1_3repE0EEENS1_30default_config_static_selectorELNS0_4arch9wavefront6targetE0EEEvT1_
		.amdhsa_group_segment_fixed_size 0
		.amdhsa_private_segment_fixed_size 0
		.amdhsa_kernarg_size 120
		.amdhsa_user_sgpr_count 2
		.amdhsa_user_sgpr_dispatch_ptr 0
		.amdhsa_user_sgpr_queue_ptr 0
		.amdhsa_user_sgpr_kernarg_segment_ptr 1
		.amdhsa_user_sgpr_dispatch_id 0
		.amdhsa_user_sgpr_private_segment_size 0
		.amdhsa_wavefront_size32 1
		.amdhsa_uses_dynamic_stack 0
		.amdhsa_enable_private_segment 0
		.amdhsa_system_sgpr_workgroup_id_x 1
		.amdhsa_system_sgpr_workgroup_id_y 0
		.amdhsa_system_sgpr_workgroup_id_z 0
		.amdhsa_system_sgpr_workgroup_info 0
		.amdhsa_system_vgpr_workitem_id 0
		.amdhsa_next_free_vgpr 1
		.amdhsa_next_free_sgpr 1
		.amdhsa_reserve_vcc 0
		.amdhsa_float_round_mode_32 0
		.amdhsa_float_round_mode_16_64 0
		.amdhsa_float_denorm_mode_32 3
		.amdhsa_float_denorm_mode_16_64 3
		.amdhsa_fp16_overflow 0
		.amdhsa_workgroup_processor_mode 1
		.amdhsa_memory_ordered 1
		.amdhsa_forward_progress 1
		.amdhsa_inst_pref_size 0
		.amdhsa_round_robin_scheduling 0
		.amdhsa_exception_fp_ieee_invalid_op 0
		.amdhsa_exception_fp_denorm_src 0
		.amdhsa_exception_fp_ieee_div_zero 0
		.amdhsa_exception_fp_ieee_overflow 0
		.amdhsa_exception_fp_ieee_underflow 0
		.amdhsa_exception_fp_ieee_inexact 0
		.amdhsa_exception_int_div_zero 0
	.end_amdhsa_kernel
	.section	.text._ZN7rocprim17ROCPRIM_400000_NS6detail17trampoline_kernelINS0_14default_configENS1_25partition_config_selectorILNS1_17partition_subalgoE5EiNS0_10empty_typeEbEEZZNS1_14partition_implILS5_5ELb0ES3_mN6thrust23THRUST_200600_302600_NS6detail15normal_iteratorINSA_10device_ptrIiEEEEPS6_NSA_18transform_iteratorINSB_9not_fun_tINSA_8identityIiEEEESF_NSA_11use_defaultESM_EENS0_5tupleIJSF_S6_EEENSO_IJSG_SG_EEES6_PlJS6_EEE10hipError_tPvRmT3_T4_T5_T6_T7_T9_mT8_P12ihipStream_tbDpT10_ENKUlT_T0_E_clISt17integral_constantIbLb0EES1B_EEDaS16_S17_EUlS16_E_NS1_11comp_targetILNS1_3genE4ELNS1_11target_archE910ELNS1_3gpuE8ELNS1_3repE0EEENS1_30default_config_static_selectorELNS0_4arch9wavefront6targetE0EEEvT1_,"axG",@progbits,_ZN7rocprim17ROCPRIM_400000_NS6detail17trampoline_kernelINS0_14default_configENS1_25partition_config_selectorILNS1_17partition_subalgoE5EiNS0_10empty_typeEbEEZZNS1_14partition_implILS5_5ELb0ES3_mN6thrust23THRUST_200600_302600_NS6detail15normal_iteratorINSA_10device_ptrIiEEEEPS6_NSA_18transform_iteratorINSB_9not_fun_tINSA_8identityIiEEEESF_NSA_11use_defaultESM_EENS0_5tupleIJSF_S6_EEENSO_IJSG_SG_EEES6_PlJS6_EEE10hipError_tPvRmT3_T4_T5_T6_T7_T9_mT8_P12ihipStream_tbDpT10_ENKUlT_T0_E_clISt17integral_constantIbLb0EES1B_EEDaS16_S17_EUlS16_E_NS1_11comp_targetILNS1_3genE4ELNS1_11target_archE910ELNS1_3gpuE8ELNS1_3repE0EEENS1_30default_config_static_selectorELNS0_4arch9wavefront6targetE0EEEvT1_,comdat
.Lfunc_end983:
	.size	_ZN7rocprim17ROCPRIM_400000_NS6detail17trampoline_kernelINS0_14default_configENS1_25partition_config_selectorILNS1_17partition_subalgoE5EiNS0_10empty_typeEbEEZZNS1_14partition_implILS5_5ELb0ES3_mN6thrust23THRUST_200600_302600_NS6detail15normal_iteratorINSA_10device_ptrIiEEEEPS6_NSA_18transform_iteratorINSB_9not_fun_tINSA_8identityIiEEEESF_NSA_11use_defaultESM_EENS0_5tupleIJSF_S6_EEENSO_IJSG_SG_EEES6_PlJS6_EEE10hipError_tPvRmT3_T4_T5_T6_T7_T9_mT8_P12ihipStream_tbDpT10_ENKUlT_T0_E_clISt17integral_constantIbLb0EES1B_EEDaS16_S17_EUlS16_E_NS1_11comp_targetILNS1_3genE4ELNS1_11target_archE910ELNS1_3gpuE8ELNS1_3repE0EEENS1_30default_config_static_selectorELNS0_4arch9wavefront6targetE0EEEvT1_, .Lfunc_end983-_ZN7rocprim17ROCPRIM_400000_NS6detail17trampoline_kernelINS0_14default_configENS1_25partition_config_selectorILNS1_17partition_subalgoE5EiNS0_10empty_typeEbEEZZNS1_14partition_implILS5_5ELb0ES3_mN6thrust23THRUST_200600_302600_NS6detail15normal_iteratorINSA_10device_ptrIiEEEEPS6_NSA_18transform_iteratorINSB_9not_fun_tINSA_8identityIiEEEESF_NSA_11use_defaultESM_EENS0_5tupleIJSF_S6_EEENSO_IJSG_SG_EEES6_PlJS6_EEE10hipError_tPvRmT3_T4_T5_T6_T7_T9_mT8_P12ihipStream_tbDpT10_ENKUlT_T0_E_clISt17integral_constantIbLb0EES1B_EEDaS16_S17_EUlS16_E_NS1_11comp_targetILNS1_3genE4ELNS1_11target_archE910ELNS1_3gpuE8ELNS1_3repE0EEENS1_30default_config_static_selectorELNS0_4arch9wavefront6targetE0EEEvT1_
                                        ; -- End function
	.set _ZN7rocprim17ROCPRIM_400000_NS6detail17trampoline_kernelINS0_14default_configENS1_25partition_config_selectorILNS1_17partition_subalgoE5EiNS0_10empty_typeEbEEZZNS1_14partition_implILS5_5ELb0ES3_mN6thrust23THRUST_200600_302600_NS6detail15normal_iteratorINSA_10device_ptrIiEEEEPS6_NSA_18transform_iteratorINSB_9not_fun_tINSA_8identityIiEEEESF_NSA_11use_defaultESM_EENS0_5tupleIJSF_S6_EEENSO_IJSG_SG_EEES6_PlJS6_EEE10hipError_tPvRmT3_T4_T5_T6_T7_T9_mT8_P12ihipStream_tbDpT10_ENKUlT_T0_E_clISt17integral_constantIbLb0EES1B_EEDaS16_S17_EUlS16_E_NS1_11comp_targetILNS1_3genE4ELNS1_11target_archE910ELNS1_3gpuE8ELNS1_3repE0EEENS1_30default_config_static_selectorELNS0_4arch9wavefront6targetE0EEEvT1_.num_vgpr, 0
	.set _ZN7rocprim17ROCPRIM_400000_NS6detail17trampoline_kernelINS0_14default_configENS1_25partition_config_selectorILNS1_17partition_subalgoE5EiNS0_10empty_typeEbEEZZNS1_14partition_implILS5_5ELb0ES3_mN6thrust23THRUST_200600_302600_NS6detail15normal_iteratorINSA_10device_ptrIiEEEEPS6_NSA_18transform_iteratorINSB_9not_fun_tINSA_8identityIiEEEESF_NSA_11use_defaultESM_EENS0_5tupleIJSF_S6_EEENSO_IJSG_SG_EEES6_PlJS6_EEE10hipError_tPvRmT3_T4_T5_T6_T7_T9_mT8_P12ihipStream_tbDpT10_ENKUlT_T0_E_clISt17integral_constantIbLb0EES1B_EEDaS16_S17_EUlS16_E_NS1_11comp_targetILNS1_3genE4ELNS1_11target_archE910ELNS1_3gpuE8ELNS1_3repE0EEENS1_30default_config_static_selectorELNS0_4arch9wavefront6targetE0EEEvT1_.num_agpr, 0
	.set _ZN7rocprim17ROCPRIM_400000_NS6detail17trampoline_kernelINS0_14default_configENS1_25partition_config_selectorILNS1_17partition_subalgoE5EiNS0_10empty_typeEbEEZZNS1_14partition_implILS5_5ELb0ES3_mN6thrust23THRUST_200600_302600_NS6detail15normal_iteratorINSA_10device_ptrIiEEEEPS6_NSA_18transform_iteratorINSB_9not_fun_tINSA_8identityIiEEEESF_NSA_11use_defaultESM_EENS0_5tupleIJSF_S6_EEENSO_IJSG_SG_EEES6_PlJS6_EEE10hipError_tPvRmT3_T4_T5_T6_T7_T9_mT8_P12ihipStream_tbDpT10_ENKUlT_T0_E_clISt17integral_constantIbLb0EES1B_EEDaS16_S17_EUlS16_E_NS1_11comp_targetILNS1_3genE4ELNS1_11target_archE910ELNS1_3gpuE8ELNS1_3repE0EEENS1_30default_config_static_selectorELNS0_4arch9wavefront6targetE0EEEvT1_.numbered_sgpr, 0
	.set _ZN7rocprim17ROCPRIM_400000_NS6detail17trampoline_kernelINS0_14default_configENS1_25partition_config_selectorILNS1_17partition_subalgoE5EiNS0_10empty_typeEbEEZZNS1_14partition_implILS5_5ELb0ES3_mN6thrust23THRUST_200600_302600_NS6detail15normal_iteratorINSA_10device_ptrIiEEEEPS6_NSA_18transform_iteratorINSB_9not_fun_tINSA_8identityIiEEEESF_NSA_11use_defaultESM_EENS0_5tupleIJSF_S6_EEENSO_IJSG_SG_EEES6_PlJS6_EEE10hipError_tPvRmT3_T4_T5_T6_T7_T9_mT8_P12ihipStream_tbDpT10_ENKUlT_T0_E_clISt17integral_constantIbLb0EES1B_EEDaS16_S17_EUlS16_E_NS1_11comp_targetILNS1_3genE4ELNS1_11target_archE910ELNS1_3gpuE8ELNS1_3repE0EEENS1_30default_config_static_selectorELNS0_4arch9wavefront6targetE0EEEvT1_.num_named_barrier, 0
	.set _ZN7rocprim17ROCPRIM_400000_NS6detail17trampoline_kernelINS0_14default_configENS1_25partition_config_selectorILNS1_17partition_subalgoE5EiNS0_10empty_typeEbEEZZNS1_14partition_implILS5_5ELb0ES3_mN6thrust23THRUST_200600_302600_NS6detail15normal_iteratorINSA_10device_ptrIiEEEEPS6_NSA_18transform_iteratorINSB_9not_fun_tINSA_8identityIiEEEESF_NSA_11use_defaultESM_EENS0_5tupleIJSF_S6_EEENSO_IJSG_SG_EEES6_PlJS6_EEE10hipError_tPvRmT3_T4_T5_T6_T7_T9_mT8_P12ihipStream_tbDpT10_ENKUlT_T0_E_clISt17integral_constantIbLb0EES1B_EEDaS16_S17_EUlS16_E_NS1_11comp_targetILNS1_3genE4ELNS1_11target_archE910ELNS1_3gpuE8ELNS1_3repE0EEENS1_30default_config_static_selectorELNS0_4arch9wavefront6targetE0EEEvT1_.private_seg_size, 0
	.set _ZN7rocprim17ROCPRIM_400000_NS6detail17trampoline_kernelINS0_14default_configENS1_25partition_config_selectorILNS1_17partition_subalgoE5EiNS0_10empty_typeEbEEZZNS1_14partition_implILS5_5ELb0ES3_mN6thrust23THRUST_200600_302600_NS6detail15normal_iteratorINSA_10device_ptrIiEEEEPS6_NSA_18transform_iteratorINSB_9not_fun_tINSA_8identityIiEEEESF_NSA_11use_defaultESM_EENS0_5tupleIJSF_S6_EEENSO_IJSG_SG_EEES6_PlJS6_EEE10hipError_tPvRmT3_T4_T5_T6_T7_T9_mT8_P12ihipStream_tbDpT10_ENKUlT_T0_E_clISt17integral_constantIbLb0EES1B_EEDaS16_S17_EUlS16_E_NS1_11comp_targetILNS1_3genE4ELNS1_11target_archE910ELNS1_3gpuE8ELNS1_3repE0EEENS1_30default_config_static_selectorELNS0_4arch9wavefront6targetE0EEEvT1_.uses_vcc, 0
	.set _ZN7rocprim17ROCPRIM_400000_NS6detail17trampoline_kernelINS0_14default_configENS1_25partition_config_selectorILNS1_17partition_subalgoE5EiNS0_10empty_typeEbEEZZNS1_14partition_implILS5_5ELb0ES3_mN6thrust23THRUST_200600_302600_NS6detail15normal_iteratorINSA_10device_ptrIiEEEEPS6_NSA_18transform_iteratorINSB_9not_fun_tINSA_8identityIiEEEESF_NSA_11use_defaultESM_EENS0_5tupleIJSF_S6_EEENSO_IJSG_SG_EEES6_PlJS6_EEE10hipError_tPvRmT3_T4_T5_T6_T7_T9_mT8_P12ihipStream_tbDpT10_ENKUlT_T0_E_clISt17integral_constantIbLb0EES1B_EEDaS16_S17_EUlS16_E_NS1_11comp_targetILNS1_3genE4ELNS1_11target_archE910ELNS1_3gpuE8ELNS1_3repE0EEENS1_30default_config_static_selectorELNS0_4arch9wavefront6targetE0EEEvT1_.uses_flat_scratch, 0
	.set _ZN7rocprim17ROCPRIM_400000_NS6detail17trampoline_kernelINS0_14default_configENS1_25partition_config_selectorILNS1_17partition_subalgoE5EiNS0_10empty_typeEbEEZZNS1_14partition_implILS5_5ELb0ES3_mN6thrust23THRUST_200600_302600_NS6detail15normal_iteratorINSA_10device_ptrIiEEEEPS6_NSA_18transform_iteratorINSB_9not_fun_tINSA_8identityIiEEEESF_NSA_11use_defaultESM_EENS0_5tupleIJSF_S6_EEENSO_IJSG_SG_EEES6_PlJS6_EEE10hipError_tPvRmT3_T4_T5_T6_T7_T9_mT8_P12ihipStream_tbDpT10_ENKUlT_T0_E_clISt17integral_constantIbLb0EES1B_EEDaS16_S17_EUlS16_E_NS1_11comp_targetILNS1_3genE4ELNS1_11target_archE910ELNS1_3gpuE8ELNS1_3repE0EEENS1_30default_config_static_selectorELNS0_4arch9wavefront6targetE0EEEvT1_.has_dyn_sized_stack, 0
	.set _ZN7rocprim17ROCPRIM_400000_NS6detail17trampoline_kernelINS0_14default_configENS1_25partition_config_selectorILNS1_17partition_subalgoE5EiNS0_10empty_typeEbEEZZNS1_14partition_implILS5_5ELb0ES3_mN6thrust23THRUST_200600_302600_NS6detail15normal_iteratorINSA_10device_ptrIiEEEEPS6_NSA_18transform_iteratorINSB_9not_fun_tINSA_8identityIiEEEESF_NSA_11use_defaultESM_EENS0_5tupleIJSF_S6_EEENSO_IJSG_SG_EEES6_PlJS6_EEE10hipError_tPvRmT3_T4_T5_T6_T7_T9_mT8_P12ihipStream_tbDpT10_ENKUlT_T0_E_clISt17integral_constantIbLb0EES1B_EEDaS16_S17_EUlS16_E_NS1_11comp_targetILNS1_3genE4ELNS1_11target_archE910ELNS1_3gpuE8ELNS1_3repE0EEENS1_30default_config_static_selectorELNS0_4arch9wavefront6targetE0EEEvT1_.has_recursion, 0
	.set _ZN7rocprim17ROCPRIM_400000_NS6detail17trampoline_kernelINS0_14default_configENS1_25partition_config_selectorILNS1_17partition_subalgoE5EiNS0_10empty_typeEbEEZZNS1_14partition_implILS5_5ELb0ES3_mN6thrust23THRUST_200600_302600_NS6detail15normal_iteratorINSA_10device_ptrIiEEEEPS6_NSA_18transform_iteratorINSB_9not_fun_tINSA_8identityIiEEEESF_NSA_11use_defaultESM_EENS0_5tupleIJSF_S6_EEENSO_IJSG_SG_EEES6_PlJS6_EEE10hipError_tPvRmT3_T4_T5_T6_T7_T9_mT8_P12ihipStream_tbDpT10_ENKUlT_T0_E_clISt17integral_constantIbLb0EES1B_EEDaS16_S17_EUlS16_E_NS1_11comp_targetILNS1_3genE4ELNS1_11target_archE910ELNS1_3gpuE8ELNS1_3repE0EEENS1_30default_config_static_selectorELNS0_4arch9wavefront6targetE0EEEvT1_.has_indirect_call, 0
	.section	.AMDGPU.csdata,"",@progbits
; Kernel info:
; codeLenInByte = 0
; TotalNumSgprs: 0
; NumVgprs: 0
; ScratchSize: 0
; MemoryBound: 0
; FloatMode: 240
; IeeeMode: 1
; LDSByteSize: 0 bytes/workgroup (compile time only)
; SGPRBlocks: 0
; VGPRBlocks: 0
; NumSGPRsForWavesPerEU: 1
; NumVGPRsForWavesPerEU: 1
; Occupancy: 16
; WaveLimiterHint : 0
; COMPUTE_PGM_RSRC2:SCRATCH_EN: 0
; COMPUTE_PGM_RSRC2:USER_SGPR: 2
; COMPUTE_PGM_RSRC2:TRAP_HANDLER: 0
; COMPUTE_PGM_RSRC2:TGID_X_EN: 1
; COMPUTE_PGM_RSRC2:TGID_Y_EN: 0
; COMPUTE_PGM_RSRC2:TGID_Z_EN: 0
; COMPUTE_PGM_RSRC2:TIDIG_COMP_CNT: 0
	.section	.text._ZN7rocprim17ROCPRIM_400000_NS6detail17trampoline_kernelINS0_14default_configENS1_25partition_config_selectorILNS1_17partition_subalgoE5EiNS0_10empty_typeEbEEZZNS1_14partition_implILS5_5ELb0ES3_mN6thrust23THRUST_200600_302600_NS6detail15normal_iteratorINSA_10device_ptrIiEEEEPS6_NSA_18transform_iteratorINSB_9not_fun_tINSA_8identityIiEEEESF_NSA_11use_defaultESM_EENS0_5tupleIJSF_S6_EEENSO_IJSG_SG_EEES6_PlJS6_EEE10hipError_tPvRmT3_T4_T5_T6_T7_T9_mT8_P12ihipStream_tbDpT10_ENKUlT_T0_E_clISt17integral_constantIbLb0EES1B_EEDaS16_S17_EUlS16_E_NS1_11comp_targetILNS1_3genE3ELNS1_11target_archE908ELNS1_3gpuE7ELNS1_3repE0EEENS1_30default_config_static_selectorELNS0_4arch9wavefront6targetE0EEEvT1_,"axG",@progbits,_ZN7rocprim17ROCPRIM_400000_NS6detail17trampoline_kernelINS0_14default_configENS1_25partition_config_selectorILNS1_17partition_subalgoE5EiNS0_10empty_typeEbEEZZNS1_14partition_implILS5_5ELb0ES3_mN6thrust23THRUST_200600_302600_NS6detail15normal_iteratorINSA_10device_ptrIiEEEEPS6_NSA_18transform_iteratorINSB_9not_fun_tINSA_8identityIiEEEESF_NSA_11use_defaultESM_EENS0_5tupleIJSF_S6_EEENSO_IJSG_SG_EEES6_PlJS6_EEE10hipError_tPvRmT3_T4_T5_T6_T7_T9_mT8_P12ihipStream_tbDpT10_ENKUlT_T0_E_clISt17integral_constantIbLb0EES1B_EEDaS16_S17_EUlS16_E_NS1_11comp_targetILNS1_3genE3ELNS1_11target_archE908ELNS1_3gpuE7ELNS1_3repE0EEENS1_30default_config_static_selectorELNS0_4arch9wavefront6targetE0EEEvT1_,comdat
	.protected	_ZN7rocprim17ROCPRIM_400000_NS6detail17trampoline_kernelINS0_14default_configENS1_25partition_config_selectorILNS1_17partition_subalgoE5EiNS0_10empty_typeEbEEZZNS1_14partition_implILS5_5ELb0ES3_mN6thrust23THRUST_200600_302600_NS6detail15normal_iteratorINSA_10device_ptrIiEEEEPS6_NSA_18transform_iteratorINSB_9not_fun_tINSA_8identityIiEEEESF_NSA_11use_defaultESM_EENS0_5tupleIJSF_S6_EEENSO_IJSG_SG_EEES6_PlJS6_EEE10hipError_tPvRmT3_T4_T5_T6_T7_T9_mT8_P12ihipStream_tbDpT10_ENKUlT_T0_E_clISt17integral_constantIbLb0EES1B_EEDaS16_S17_EUlS16_E_NS1_11comp_targetILNS1_3genE3ELNS1_11target_archE908ELNS1_3gpuE7ELNS1_3repE0EEENS1_30default_config_static_selectorELNS0_4arch9wavefront6targetE0EEEvT1_ ; -- Begin function _ZN7rocprim17ROCPRIM_400000_NS6detail17trampoline_kernelINS0_14default_configENS1_25partition_config_selectorILNS1_17partition_subalgoE5EiNS0_10empty_typeEbEEZZNS1_14partition_implILS5_5ELb0ES3_mN6thrust23THRUST_200600_302600_NS6detail15normal_iteratorINSA_10device_ptrIiEEEEPS6_NSA_18transform_iteratorINSB_9not_fun_tINSA_8identityIiEEEESF_NSA_11use_defaultESM_EENS0_5tupleIJSF_S6_EEENSO_IJSG_SG_EEES6_PlJS6_EEE10hipError_tPvRmT3_T4_T5_T6_T7_T9_mT8_P12ihipStream_tbDpT10_ENKUlT_T0_E_clISt17integral_constantIbLb0EES1B_EEDaS16_S17_EUlS16_E_NS1_11comp_targetILNS1_3genE3ELNS1_11target_archE908ELNS1_3gpuE7ELNS1_3repE0EEENS1_30default_config_static_selectorELNS0_4arch9wavefront6targetE0EEEvT1_
	.globl	_ZN7rocprim17ROCPRIM_400000_NS6detail17trampoline_kernelINS0_14default_configENS1_25partition_config_selectorILNS1_17partition_subalgoE5EiNS0_10empty_typeEbEEZZNS1_14partition_implILS5_5ELb0ES3_mN6thrust23THRUST_200600_302600_NS6detail15normal_iteratorINSA_10device_ptrIiEEEEPS6_NSA_18transform_iteratorINSB_9not_fun_tINSA_8identityIiEEEESF_NSA_11use_defaultESM_EENS0_5tupleIJSF_S6_EEENSO_IJSG_SG_EEES6_PlJS6_EEE10hipError_tPvRmT3_T4_T5_T6_T7_T9_mT8_P12ihipStream_tbDpT10_ENKUlT_T0_E_clISt17integral_constantIbLb0EES1B_EEDaS16_S17_EUlS16_E_NS1_11comp_targetILNS1_3genE3ELNS1_11target_archE908ELNS1_3gpuE7ELNS1_3repE0EEENS1_30default_config_static_selectorELNS0_4arch9wavefront6targetE0EEEvT1_
	.p2align	8
	.type	_ZN7rocprim17ROCPRIM_400000_NS6detail17trampoline_kernelINS0_14default_configENS1_25partition_config_selectorILNS1_17partition_subalgoE5EiNS0_10empty_typeEbEEZZNS1_14partition_implILS5_5ELb0ES3_mN6thrust23THRUST_200600_302600_NS6detail15normal_iteratorINSA_10device_ptrIiEEEEPS6_NSA_18transform_iteratorINSB_9not_fun_tINSA_8identityIiEEEESF_NSA_11use_defaultESM_EENS0_5tupleIJSF_S6_EEENSO_IJSG_SG_EEES6_PlJS6_EEE10hipError_tPvRmT3_T4_T5_T6_T7_T9_mT8_P12ihipStream_tbDpT10_ENKUlT_T0_E_clISt17integral_constantIbLb0EES1B_EEDaS16_S17_EUlS16_E_NS1_11comp_targetILNS1_3genE3ELNS1_11target_archE908ELNS1_3gpuE7ELNS1_3repE0EEENS1_30default_config_static_selectorELNS0_4arch9wavefront6targetE0EEEvT1_,@function
_ZN7rocprim17ROCPRIM_400000_NS6detail17trampoline_kernelINS0_14default_configENS1_25partition_config_selectorILNS1_17partition_subalgoE5EiNS0_10empty_typeEbEEZZNS1_14partition_implILS5_5ELb0ES3_mN6thrust23THRUST_200600_302600_NS6detail15normal_iteratorINSA_10device_ptrIiEEEEPS6_NSA_18transform_iteratorINSB_9not_fun_tINSA_8identityIiEEEESF_NSA_11use_defaultESM_EENS0_5tupleIJSF_S6_EEENSO_IJSG_SG_EEES6_PlJS6_EEE10hipError_tPvRmT3_T4_T5_T6_T7_T9_mT8_P12ihipStream_tbDpT10_ENKUlT_T0_E_clISt17integral_constantIbLb0EES1B_EEDaS16_S17_EUlS16_E_NS1_11comp_targetILNS1_3genE3ELNS1_11target_archE908ELNS1_3gpuE7ELNS1_3repE0EEENS1_30default_config_static_selectorELNS0_4arch9wavefront6targetE0EEEvT1_: ; @_ZN7rocprim17ROCPRIM_400000_NS6detail17trampoline_kernelINS0_14default_configENS1_25partition_config_selectorILNS1_17partition_subalgoE5EiNS0_10empty_typeEbEEZZNS1_14partition_implILS5_5ELb0ES3_mN6thrust23THRUST_200600_302600_NS6detail15normal_iteratorINSA_10device_ptrIiEEEEPS6_NSA_18transform_iteratorINSB_9not_fun_tINSA_8identityIiEEEESF_NSA_11use_defaultESM_EENS0_5tupleIJSF_S6_EEENSO_IJSG_SG_EEES6_PlJS6_EEE10hipError_tPvRmT3_T4_T5_T6_T7_T9_mT8_P12ihipStream_tbDpT10_ENKUlT_T0_E_clISt17integral_constantIbLb0EES1B_EEDaS16_S17_EUlS16_E_NS1_11comp_targetILNS1_3genE3ELNS1_11target_archE908ELNS1_3gpuE7ELNS1_3repE0EEENS1_30default_config_static_selectorELNS0_4arch9wavefront6targetE0EEEvT1_
; %bb.0:
	.section	.rodata,"a",@progbits
	.p2align	6, 0x0
	.amdhsa_kernel _ZN7rocprim17ROCPRIM_400000_NS6detail17trampoline_kernelINS0_14default_configENS1_25partition_config_selectorILNS1_17partition_subalgoE5EiNS0_10empty_typeEbEEZZNS1_14partition_implILS5_5ELb0ES3_mN6thrust23THRUST_200600_302600_NS6detail15normal_iteratorINSA_10device_ptrIiEEEEPS6_NSA_18transform_iteratorINSB_9not_fun_tINSA_8identityIiEEEESF_NSA_11use_defaultESM_EENS0_5tupleIJSF_S6_EEENSO_IJSG_SG_EEES6_PlJS6_EEE10hipError_tPvRmT3_T4_T5_T6_T7_T9_mT8_P12ihipStream_tbDpT10_ENKUlT_T0_E_clISt17integral_constantIbLb0EES1B_EEDaS16_S17_EUlS16_E_NS1_11comp_targetILNS1_3genE3ELNS1_11target_archE908ELNS1_3gpuE7ELNS1_3repE0EEENS1_30default_config_static_selectorELNS0_4arch9wavefront6targetE0EEEvT1_
		.amdhsa_group_segment_fixed_size 0
		.amdhsa_private_segment_fixed_size 0
		.amdhsa_kernarg_size 120
		.amdhsa_user_sgpr_count 2
		.amdhsa_user_sgpr_dispatch_ptr 0
		.amdhsa_user_sgpr_queue_ptr 0
		.amdhsa_user_sgpr_kernarg_segment_ptr 1
		.amdhsa_user_sgpr_dispatch_id 0
		.amdhsa_user_sgpr_private_segment_size 0
		.amdhsa_wavefront_size32 1
		.amdhsa_uses_dynamic_stack 0
		.amdhsa_enable_private_segment 0
		.amdhsa_system_sgpr_workgroup_id_x 1
		.amdhsa_system_sgpr_workgroup_id_y 0
		.amdhsa_system_sgpr_workgroup_id_z 0
		.amdhsa_system_sgpr_workgroup_info 0
		.amdhsa_system_vgpr_workitem_id 0
		.amdhsa_next_free_vgpr 1
		.amdhsa_next_free_sgpr 1
		.amdhsa_reserve_vcc 0
		.amdhsa_float_round_mode_32 0
		.amdhsa_float_round_mode_16_64 0
		.amdhsa_float_denorm_mode_32 3
		.amdhsa_float_denorm_mode_16_64 3
		.amdhsa_fp16_overflow 0
		.amdhsa_workgroup_processor_mode 1
		.amdhsa_memory_ordered 1
		.amdhsa_forward_progress 1
		.amdhsa_inst_pref_size 0
		.amdhsa_round_robin_scheduling 0
		.amdhsa_exception_fp_ieee_invalid_op 0
		.amdhsa_exception_fp_denorm_src 0
		.amdhsa_exception_fp_ieee_div_zero 0
		.amdhsa_exception_fp_ieee_overflow 0
		.amdhsa_exception_fp_ieee_underflow 0
		.amdhsa_exception_fp_ieee_inexact 0
		.amdhsa_exception_int_div_zero 0
	.end_amdhsa_kernel
	.section	.text._ZN7rocprim17ROCPRIM_400000_NS6detail17trampoline_kernelINS0_14default_configENS1_25partition_config_selectorILNS1_17partition_subalgoE5EiNS0_10empty_typeEbEEZZNS1_14partition_implILS5_5ELb0ES3_mN6thrust23THRUST_200600_302600_NS6detail15normal_iteratorINSA_10device_ptrIiEEEEPS6_NSA_18transform_iteratorINSB_9not_fun_tINSA_8identityIiEEEESF_NSA_11use_defaultESM_EENS0_5tupleIJSF_S6_EEENSO_IJSG_SG_EEES6_PlJS6_EEE10hipError_tPvRmT3_T4_T5_T6_T7_T9_mT8_P12ihipStream_tbDpT10_ENKUlT_T0_E_clISt17integral_constantIbLb0EES1B_EEDaS16_S17_EUlS16_E_NS1_11comp_targetILNS1_3genE3ELNS1_11target_archE908ELNS1_3gpuE7ELNS1_3repE0EEENS1_30default_config_static_selectorELNS0_4arch9wavefront6targetE0EEEvT1_,"axG",@progbits,_ZN7rocprim17ROCPRIM_400000_NS6detail17trampoline_kernelINS0_14default_configENS1_25partition_config_selectorILNS1_17partition_subalgoE5EiNS0_10empty_typeEbEEZZNS1_14partition_implILS5_5ELb0ES3_mN6thrust23THRUST_200600_302600_NS6detail15normal_iteratorINSA_10device_ptrIiEEEEPS6_NSA_18transform_iteratorINSB_9not_fun_tINSA_8identityIiEEEESF_NSA_11use_defaultESM_EENS0_5tupleIJSF_S6_EEENSO_IJSG_SG_EEES6_PlJS6_EEE10hipError_tPvRmT3_T4_T5_T6_T7_T9_mT8_P12ihipStream_tbDpT10_ENKUlT_T0_E_clISt17integral_constantIbLb0EES1B_EEDaS16_S17_EUlS16_E_NS1_11comp_targetILNS1_3genE3ELNS1_11target_archE908ELNS1_3gpuE7ELNS1_3repE0EEENS1_30default_config_static_selectorELNS0_4arch9wavefront6targetE0EEEvT1_,comdat
.Lfunc_end984:
	.size	_ZN7rocprim17ROCPRIM_400000_NS6detail17trampoline_kernelINS0_14default_configENS1_25partition_config_selectorILNS1_17partition_subalgoE5EiNS0_10empty_typeEbEEZZNS1_14partition_implILS5_5ELb0ES3_mN6thrust23THRUST_200600_302600_NS6detail15normal_iteratorINSA_10device_ptrIiEEEEPS6_NSA_18transform_iteratorINSB_9not_fun_tINSA_8identityIiEEEESF_NSA_11use_defaultESM_EENS0_5tupleIJSF_S6_EEENSO_IJSG_SG_EEES6_PlJS6_EEE10hipError_tPvRmT3_T4_T5_T6_T7_T9_mT8_P12ihipStream_tbDpT10_ENKUlT_T0_E_clISt17integral_constantIbLb0EES1B_EEDaS16_S17_EUlS16_E_NS1_11comp_targetILNS1_3genE3ELNS1_11target_archE908ELNS1_3gpuE7ELNS1_3repE0EEENS1_30default_config_static_selectorELNS0_4arch9wavefront6targetE0EEEvT1_, .Lfunc_end984-_ZN7rocprim17ROCPRIM_400000_NS6detail17trampoline_kernelINS0_14default_configENS1_25partition_config_selectorILNS1_17partition_subalgoE5EiNS0_10empty_typeEbEEZZNS1_14partition_implILS5_5ELb0ES3_mN6thrust23THRUST_200600_302600_NS6detail15normal_iteratorINSA_10device_ptrIiEEEEPS6_NSA_18transform_iteratorINSB_9not_fun_tINSA_8identityIiEEEESF_NSA_11use_defaultESM_EENS0_5tupleIJSF_S6_EEENSO_IJSG_SG_EEES6_PlJS6_EEE10hipError_tPvRmT3_T4_T5_T6_T7_T9_mT8_P12ihipStream_tbDpT10_ENKUlT_T0_E_clISt17integral_constantIbLb0EES1B_EEDaS16_S17_EUlS16_E_NS1_11comp_targetILNS1_3genE3ELNS1_11target_archE908ELNS1_3gpuE7ELNS1_3repE0EEENS1_30default_config_static_selectorELNS0_4arch9wavefront6targetE0EEEvT1_
                                        ; -- End function
	.set _ZN7rocprim17ROCPRIM_400000_NS6detail17trampoline_kernelINS0_14default_configENS1_25partition_config_selectorILNS1_17partition_subalgoE5EiNS0_10empty_typeEbEEZZNS1_14partition_implILS5_5ELb0ES3_mN6thrust23THRUST_200600_302600_NS6detail15normal_iteratorINSA_10device_ptrIiEEEEPS6_NSA_18transform_iteratorINSB_9not_fun_tINSA_8identityIiEEEESF_NSA_11use_defaultESM_EENS0_5tupleIJSF_S6_EEENSO_IJSG_SG_EEES6_PlJS6_EEE10hipError_tPvRmT3_T4_T5_T6_T7_T9_mT8_P12ihipStream_tbDpT10_ENKUlT_T0_E_clISt17integral_constantIbLb0EES1B_EEDaS16_S17_EUlS16_E_NS1_11comp_targetILNS1_3genE3ELNS1_11target_archE908ELNS1_3gpuE7ELNS1_3repE0EEENS1_30default_config_static_selectorELNS0_4arch9wavefront6targetE0EEEvT1_.num_vgpr, 0
	.set _ZN7rocprim17ROCPRIM_400000_NS6detail17trampoline_kernelINS0_14default_configENS1_25partition_config_selectorILNS1_17partition_subalgoE5EiNS0_10empty_typeEbEEZZNS1_14partition_implILS5_5ELb0ES3_mN6thrust23THRUST_200600_302600_NS6detail15normal_iteratorINSA_10device_ptrIiEEEEPS6_NSA_18transform_iteratorINSB_9not_fun_tINSA_8identityIiEEEESF_NSA_11use_defaultESM_EENS0_5tupleIJSF_S6_EEENSO_IJSG_SG_EEES6_PlJS6_EEE10hipError_tPvRmT3_T4_T5_T6_T7_T9_mT8_P12ihipStream_tbDpT10_ENKUlT_T0_E_clISt17integral_constantIbLb0EES1B_EEDaS16_S17_EUlS16_E_NS1_11comp_targetILNS1_3genE3ELNS1_11target_archE908ELNS1_3gpuE7ELNS1_3repE0EEENS1_30default_config_static_selectorELNS0_4arch9wavefront6targetE0EEEvT1_.num_agpr, 0
	.set _ZN7rocprim17ROCPRIM_400000_NS6detail17trampoline_kernelINS0_14default_configENS1_25partition_config_selectorILNS1_17partition_subalgoE5EiNS0_10empty_typeEbEEZZNS1_14partition_implILS5_5ELb0ES3_mN6thrust23THRUST_200600_302600_NS6detail15normal_iteratorINSA_10device_ptrIiEEEEPS6_NSA_18transform_iteratorINSB_9not_fun_tINSA_8identityIiEEEESF_NSA_11use_defaultESM_EENS0_5tupleIJSF_S6_EEENSO_IJSG_SG_EEES6_PlJS6_EEE10hipError_tPvRmT3_T4_T5_T6_T7_T9_mT8_P12ihipStream_tbDpT10_ENKUlT_T0_E_clISt17integral_constantIbLb0EES1B_EEDaS16_S17_EUlS16_E_NS1_11comp_targetILNS1_3genE3ELNS1_11target_archE908ELNS1_3gpuE7ELNS1_3repE0EEENS1_30default_config_static_selectorELNS0_4arch9wavefront6targetE0EEEvT1_.numbered_sgpr, 0
	.set _ZN7rocprim17ROCPRIM_400000_NS6detail17trampoline_kernelINS0_14default_configENS1_25partition_config_selectorILNS1_17partition_subalgoE5EiNS0_10empty_typeEbEEZZNS1_14partition_implILS5_5ELb0ES3_mN6thrust23THRUST_200600_302600_NS6detail15normal_iteratorINSA_10device_ptrIiEEEEPS6_NSA_18transform_iteratorINSB_9not_fun_tINSA_8identityIiEEEESF_NSA_11use_defaultESM_EENS0_5tupleIJSF_S6_EEENSO_IJSG_SG_EEES6_PlJS6_EEE10hipError_tPvRmT3_T4_T5_T6_T7_T9_mT8_P12ihipStream_tbDpT10_ENKUlT_T0_E_clISt17integral_constantIbLb0EES1B_EEDaS16_S17_EUlS16_E_NS1_11comp_targetILNS1_3genE3ELNS1_11target_archE908ELNS1_3gpuE7ELNS1_3repE0EEENS1_30default_config_static_selectorELNS0_4arch9wavefront6targetE0EEEvT1_.num_named_barrier, 0
	.set _ZN7rocprim17ROCPRIM_400000_NS6detail17trampoline_kernelINS0_14default_configENS1_25partition_config_selectorILNS1_17partition_subalgoE5EiNS0_10empty_typeEbEEZZNS1_14partition_implILS5_5ELb0ES3_mN6thrust23THRUST_200600_302600_NS6detail15normal_iteratorINSA_10device_ptrIiEEEEPS6_NSA_18transform_iteratorINSB_9not_fun_tINSA_8identityIiEEEESF_NSA_11use_defaultESM_EENS0_5tupleIJSF_S6_EEENSO_IJSG_SG_EEES6_PlJS6_EEE10hipError_tPvRmT3_T4_T5_T6_T7_T9_mT8_P12ihipStream_tbDpT10_ENKUlT_T0_E_clISt17integral_constantIbLb0EES1B_EEDaS16_S17_EUlS16_E_NS1_11comp_targetILNS1_3genE3ELNS1_11target_archE908ELNS1_3gpuE7ELNS1_3repE0EEENS1_30default_config_static_selectorELNS0_4arch9wavefront6targetE0EEEvT1_.private_seg_size, 0
	.set _ZN7rocprim17ROCPRIM_400000_NS6detail17trampoline_kernelINS0_14default_configENS1_25partition_config_selectorILNS1_17partition_subalgoE5EiNS0_10empty_typeEbEEZZNS1_14partition_implILS5_5ELb0ES3_mN6thrust23THRUST_200600_302600_NS6detail15normal_iteratorINSA_10device_ptrIiEEEEPS6_NSA_18transform_iteratorINSB_9not_fun_tINSA_8identityIiEEEESF_NSA_11use_defaultESM_EENS0_5tupleIJSF_S6_EEENSO_IJSG_SG_EEES6_PlJS6_EEE10hipError_tPvRmT3_T4_T5_T6_T7_T9_mT8_P12ihipStream_tbDpT10_ENKUlT_T0_E_clISt17integral_constantIbLb0EES1B_EEDaS16_S17_EUlS16_E_NS1_11comp_targetILNS1_3genE3ELNS1_11target_archE908ELNS1_3gpuE7ELNS1_3repE0EEENS1_30default_config_static_selectorELNS0_4arch9wavefront6targetE0EEEvT1_.uses_vcc, 0
	.set _ZN7rocprim17ROCPRIM_400000_NS6detail17trampoline_kernelINS0_14default_configENS1_25partition_config_selectorILNS1_17partition_subalgoE5EiNS0_10empty_typeEbEEZZNS1_14partition_implILS5_5ELb0ES3_mN6thrust23THRUST_200600_302600_NS6detail15normal_iteratorINSA_10device_ptrIiEEEEPS6_NSA_18transform_iteratorINSB_9not_fun_tINSA_8identityIiEEEESF_NSA_11use_defaultESM_EENS0_5tupleIJSF_S6_EEENSO_IJSG_SG_EEES6_PlJS6_EEE10hipError_tPvRmT3_T4_T5_T6_T7_T9_mT8_P12ihipStream_tbDpT10_ENKUlT_T0_E_clISt17integral_constantIbLb0EES1B_EEDaS16_S17_EUlS16_E_NS1_11comp_targetILNS1_3genE3ELNS1_11target_archE908ELNS1_3gpuE7ELNS1_3repE0EEENS1_30default_config_static_selectorELNS0_4arch9wavefront6targetE0EEEvT1_.uses_flat_scratch, 0
	.set _ZN7rocprim17ROCPRIM_400000_NS6detail17trampoline_kernelINS0_14default_configENS1_25partition_config_selectorILNS1_17partition_subalgoE5EiNS0_10empty_typeEbEEZZNS1_14partition_implILS5_5ELb0ES3_mN6thrust23THRUST_200600_302600_NS6detail15normal_iteratorINSA_10device_ptrIiEEEEPS6_NSA_18transform_iteratorINSB_9not_fun_tINSA_8identityIiEEEESF_NSA_11use_defaultESM_EENS0_5tupleIJSF_S6_EEENSO_IJSG_SG_EEES6_PlJS6_EEE10hipError_tPvRmT3_T4_T5_T6_T7_T9_mT8_P12ihipStream_tbDpT10_ENKUlT_T0_E_clISt17integral_constantIbLb0EES1B_EEDaS16_S17_EUlS16_E_NS1_11comp_targetILNS1_3genE3ELNS1_11target_archE908ELNS1_3gpuE7ELNS1_3repE0EEENS1_30default_config_static_selectorELNS0_4arch9wavefront6targetE0EEEvT1_.has_dyn_sized_stack, 0
	.set _ZN7rocprim17ROCPRIM_400000_NS6detail17trampoline_kernelINS0_14default_configENS1_25partition_config_selectorILNS1_17partition_subalgoE5EiNS0_10empty_typeEbEEZZNS1_14partition_implILS5_5ELb0ES3_mN6thrust23THRUST_200600_302600_NS6detail15normal_iteratorINSA_10device_ptrIiEEEEPS6_NSA_18transform_iteratorINSB_9not_fun_tINSA_8identityIiEEEESF_NSA_11use_defaultESM_EENS0_5tupleIJSF_S6_EEENSO_IJSG_SG_EEES6_PlJS6_EEE10hipError_tPvRmT3_T4_T5_T6_T7_T9_mT8_P12ihipStream_tbDpT10_ENKUlT_T0_E_clISt17integral_constantIbLb0EES1B_EEDaS16_S17_EUlS16_E_NS1_11comp_targetILNS1_3genE3ELNS1_11target_archE908ELNS1_3gpuE7ELNS1_3repE0EEENS1_30default_config_static_selectorELNS0_4arch9wavefront6targetE0EEEvT1_.has_recursion, 0
	.set _ZN7rocprim17ROCPRIM_400000_NS6detail17trampoline_kernelINS0_14default_configENS1_25partition_config_selectorILNS1_17partition_subalgoE5EiNS0_10empty_typeEbEEZZNS1_14partition_implILS5_5ELb0ES3_mN6thrust23THRUST_200600_302600_NS6detail15normal_iteratorINSA_10device_ptrIiEEEEPS6_NSA_18transform_iteratorINSB_9not_fun_tINSA_8identityIiEEEESF_NSA_11use_defaultESM_EENS0_5tupleIJSF_S6_EEENSO_IJSG_SG_EEES6_PlJS6_EEE10hipError_tPvRmT3_T4_T5_T6_T7_T9_mT8_P12ihipStream_tbDpT10_ENKUlT_T0_E_clISt17integral_constantIbLb0EES1B_EEDaS16_S17_EUlS16_E_NS1_11comp_targetILNS1_3genE3ELNS1_11target_archE908ELNS1_3gpuE7ELNS1_3repE0EEENS1_30default_config_static_selectorELNS0_4arch9wavefront6targetE0EEEvT1_.has_indirect_call, 0
	.section	.AMDGPU.csdata,"",@progbits
; Kernel info:
; codeLenInByte = 0
; TotalNumSgprs: 0
; NumVgprs: 0
; ScratchSize: 0
; MemoryBound: 0
; FloatMode: 240
; IeeeMode: 1
; LDSByteSize: 0 bytes/workgroup (compile time only)
; SGPRBlocks: 0
; VGPRBlocks: 0
; NumSGPRsForWavesPerEU: 1
; NumVGPRsForWavesPerEU: 1
; Occupancy: 16
; WaveLimiterHint : 0
; COMPUTE_PGM_RSRC2:SCRATCH_EN: 0
; COMPUTE_PGM_RSRC2:USER_SGPR: 2
; COMPUTE_PGM_RSRC2:TRAP_HANDLER: 0
; COMPUTE_PGM_RSRC2:TGID_X_EN: 1
; COMPUTE_PGM_RSRC2:TGID_Y_EN: 0
; COMPUTE_PGM_RSRC2:TGID_Z_EN: 0
; COMPUTE_PGM_RSRC2:TIDIG_COMP_CNT: 0
	.section	.text._ZN7rocprim17ROCPRIM_400000_NS6detail17trampoline_kernelINS0_14default_configENS1_25partition_config_selectorILNS1_17partition_subalgoE5EiNS0_10empty_typeEbEEZZNS1_14partition_implILS5_5ELb0ES3_mN6thrust23THRUST_200600_302600_NS6detail15normal_iteratorINSA_10device_ptrIiEEEEPS6_NSA_18transform_iteratorINSB_9not_fun_tINSA_8identityIiEEEESF_NSA_11use_defaultESM_EENS0_5tupleIJSF_S6_EEENSO_IJSG_SG_EEES6_PlJS6_EEE10hipError_tPvRmT3_T4_T5_T6_T7_T9_mT8_P12ihipStream_tbDpT10_ENKUlT_T0_E_clISt17integral_constantIbLb0EES1B_EEDaS16_S17_EUlS16_E_NS1_11comp_targetILNS1_3genE2ELNS1_11target_archE906ELNS1_3gpuE6ELNS1_3repE0EEENS1_30default_config_static_selectorELNS0_4arch9wavefront6targetE0EEEvT1_,"axG",@progbits,_ZN7rocprim17ROCPRIM_400000_NS6detail17trampoline_kernelINS0_14default_configENS1_25partition_config_selectorILNS1_17partition_subalgoE5EiNS0_10empty_typeEbEEZZNS1_14partition_implILS5_5ELb0ES3_mN6thrust23THRUST_200600_302600_NS6detail15normal_iteratorINSA_10device_ptrIiEEEEPS6_NSA_18transform_iteratorINSB_9not_fun_tINSA_8identityIiEEEESF_NSA_11use_defaultESM_EENS0_5tupleIJSF_S6_EEENSO_IJSG_SG_EEES6_PlJS6_EEE10hipError_tPvRmT3_T4_T5_T6_T7_T9_mT8_P12ihipStream_tbDpT10_ENKUlT_T0_E_clISt17integral_constantIbLb0EES1B_EEDaS16_S17_EUlS16_E_NS1_11comp_targetILNS1_3genE2ELNS1_11target_archE906ELNS1_3gpuE6ELNS1_3repE0EEENS1_30default_config_static_selectorELNS0_4arch9wavefront6targetE0EEEvT1_,comdat
	.protected	_ZN7rocprim17ROCPRIM_400000_NS6detail17trampoline_kernelINS0_14default_configENS1_25partition_config_selectorILNS1_17partition_subalgoE5EiNS0_10empty_typeEbEEZZNS1_14partition_implILS5_5ELb0ES3_mN6thrust23THRUST_200600_302600_NS6detail15normal_iteratorINSA_10device_ptrIiEEEEPS6_NSA_18transform_iteratorINSB_9not_fun_tINSA_8identityIiEEEESF_NSA_11use_defaultESM_EENS0_5tupleIJSF_S6_EEENSO_IJSG_SG_EEES6_PlJS6_EEE10hipError_tPvRmT3_T4_T5_T6_T7_T9_mT8_P12ihipStream_tbDpT10_ENKUlT_T0_E_clISt17integral_constantIbLb0EES1B_EEDaS16_S17_EUlS16_E_NS1_11comp_targetILNS1_3genE2ELNS1_11target_archE906ELNS1_3gpuE6ELNS1_3repE0EEENS1_30default_config_static_selectorELNS0_4arch9wavefront6targetE0EEEvT1_ ; -- Begin function _ZN7rocprim17ROCPRIM_400000_NS6detail17trampoline_kernelINS0_14default_configENS1_25partition_config_selectorILNS1_17partition_subalgoE5EiNS0_10empty_typeEbEEZZNS1_14partition_implILS5_5ELb0ES3_mN6thrust23THRUST_200600_302600_NS6detail15normal_iteratorINSA_10device_ptrIiEEEEPS6_NSA_18transform_iteratorINSB_9not_fun_tINSA_8identityIiEEEESF_NSA_11use_defaultESM_EENS0_5tupleIJSF_S6_EEENSO_IJSG_SG_EEES6_PlJS6_EEE10hipError_tPvRmT3_T4_T5_T6_T7_T9_mT8_P12ihipStream_tbDpT10_ENKUlT_T0_E_clISt17integral_constantIbLb0EES1B_EEDaS16_S17_EUlS16_E_NS1_11comp_targetILNS1_3genE2ELNS1_11target_archE906ELNS1_3gpuE6ELNS1_3repE0EEENS1_30default_config_static_selectorELNS0_4arch9wavefront6targetE0EEEvT1_
	.globl	_ZN7rocprim17ROCPRIM_400000_NS6detail17trampoline_kernelINS0_14default_configENS1_25partition_config_selectorILNS1_17partition_subalgoE5EiNS0_10empty_typeEbEEZZNS1_14partition_implILS5_5ELb0ES3_mN6thrust23THRUST_200600_302600_NS6detail15normal_iteratorINSA_10device_ptrIiEEEEPS6_NSA_18transform_iteratorINSB_9not_fun_tINSA_8identityIiEEEESF_NSA_11use_defaultESM_EENS0_5tupleIJSF_S6_EEENSO_IJSG_SG_EEES6_PlJS6_EEE10hipError_tPvRmT3_T4_T5_T6_T7_T9_mT8_P12ihipStream_tbDpT10_ENKUlT_T0_E_clISt17integral_constantIbLb0EES1B_EEDaS16_S17_EUlS16_E_NS1_11comp_targetILNS1_3genE2ELNS1_11target_archE906ELNS1_3gpuE6ELNS1_3repE0EEENS1_30default_config_static_selectorELNS0_4arch9wavefront6targetE0EEEvT1_
	.p2align	8
	.type	_ZN7rocprim17ROCPRIM_400000_NS6detail17trampoline_kernelINS0_14default_configENS1_25partition_config_selectorILNS1_17partition_subalgoE5EiNS0_10empty_typeEbEEZZNS1_14partition_implILS5_5ELb0ES3_mN6thrust23THRUST_200600_302600_NS6detail15normal_iteratorINSA_10device_ptrIiEEEEPS6_NSA_18transform_iteratorINSB_9not_fun_tINSA_8identityIiEEEESF_NSA_11use_defaultESM_EENS0_5tupleIJSF_S6_EEENSO_IJSG_SG_EEES6_PlJS6_EEE10hipError_tPvRmT3_T4_T5_T6_T7_T9_mT8_P12ihipStream_tbDpT10_ENKUlT_T0_E_clISt17integral_constantIbLb0EES1B_EEDaS16_S17_EUlS16_E_NS1_11comp_targetILNS1_3genE2ELNS1_11target_archE906ELNS1_3gpuE6ELNS1_3repE0EEENS1_30default_config_static_selectorELNS0_4arch9wavefront6targetE0EEEvT1_,@function
_ZN7rocprim17ROCPRIM_400000_NS6detail17trampoline_kernelINS0_14default_configENS1_25partition_config_selectorILNS1_17partition_subalgoE5EiNS0_10empty_typeEbEEZZNS1_14partition_implILS5_5ELb0ES3_mN6thrust23THRUST_200600_302600_NS6detail15normal_iteratorINSA_10device_ptrIiEEEEPS6_NSA_18transform_iteratorINSB_9not_fun_tINSA_8identityIiEEEESF_NSA_11use_defaultESM_EENS0_5tupleIJSF_S6_EEENSO_IJSG_SG_EEES6_PlJS6_EEE10hipError_tPvRmT3_T4_T5_T6_T7_T9_mT8_P12ihipStream_tbDpT10_ENKUlT_T0_E_clISt17integral_constantIbLb0EES1B_EEDaS16_S17_EUlS16_E_NS1_11comp_targetILNS1_3genE2ELNS1_11target_archE906ELNS1_3gpuE6ELNS1_3repE0EEENS1_30default_config_static_selectorELNS0_4arch9wavefront6targetE0EEEvT1_: ; @_ZN7rocprim17ROCPRIM_400000_NS6detail17trampoline_kernelINS0_14default_configENS1_25partition_config_selectorILNS1_17partition_subalgoE5EiNS0_10empty_typeEbEEZZNS1_14partition_implILS5_5ELb0ES3_mN6thrust23THRUST_200600_302600_NS6detail15normal_iteratorINSA_10device_ptrIiEEEEPS6_NSA_18transform_iteratorINSB_9not_fun_tINSA_8identityIiEEEESF_NSA_11use_defaultESM_EENS0_5tupleIJSF_S6_EEENSO_IJSG_SG_EEES6_PlJS6_EEE10hipError_tPvRmT3_T4_T5_T6_T7_T9_mT8_P12ihipStream_tbDpT10_ENKUlT_T0_E_clISt17integral_constantIbLb0EES1B_EEDaS16_S17_EUlS16_E_NS1_11comp_targetILNS1_3genE2ELNS1_11target_archE906ELNS1_3gpuE6ELNS1_3repE0EEENS1_30default_config_static_selectorELNS0_4arch9wavefront6targetE0EEEvT1_
; %bb.0:
	.section	.rodata,"a",@progbits
	.p2align	6, 0x0
	.amdhsa_kernel _ZN7rocprim17ROCPRIM_400000_NS6detail17trampoline_kernelINS0_14default_configENS1_25partition_config_selectorILNS1_17partition_subalgoE5EiNS0_10empty_typeEbEEZZNS1_14partition_implILS5_5ELb0ES3_mN6thrust23THRUST_200600_302600_NS6detail15normal_iteratorINSA_10device_ptrIiEEEEPS6_NSA_18transform_iteratorINSB_9not_fun_tINSA_8identityIiEEEESF_NSA_11use_defaultESM_EENS0_5tupleIJSF_S6_EEENSO_IJSG_SG_EEES6_PlJS6_EEE10hipError_tPvRmT3_T4_T5_T6_T7_T9_mT8_P12ihipStream_tbDpT10_ENKUlT_T0_E_clISt17integral_constantIbLb0EES1B_EEDaS16_S17_EUlS16_E_NS1_11comp_targetILNS1_3genE2ELNS1_11target_archE906ELNS1_3gpuE6ELNS1_3repE0EEENS1_30default_config_static_selectorELNS0_4arch9wavefront6targetE0EEEvT1_
		.amdhsa_group_segment_fixed_size 0
		.amdhsa_private_segment_fixed_size 0
		.amdhsa_kernarg_size 120
		.amdhsa_user_sgpr_count 2
		.amdhsa_user_sgpr_dispatch_ptr 0
		.amdhsa_user_sgpr_queue_ptr 0
		.amdhsa_user_sgpr_kernarg_segment_ptr 1
		.amdhsa_user_sgpr_dispatch_id 0
		.amdhsa_user_sgpr_private_segment_size 0
		.amdhsa_wavefront_size32 1
		.amdhsa_uses_dynamic_stack 0
		.amdhsa_enable_private_segment 0
		.amdhsa_system_sgpr_workgroup_id_x 1
		.amdhsa_system_sgpr_workgroup_id_y 0
		.amdhsa_system_sgpr_workgroup_id_z 0
		.amdhsa_system_sgpr_workgroup_info 0
		.amdhsa_system_vgpr_workitem_id 0
		.amdhsa_next_free_vgpr 1
		.amdhsa_next_free_sgpr 1
		.amdhsa_reserve_vcc 0
		.amdhsa_float_round_mode_32 0
		.amdhsa_float_round_mode_16_64 0
		.amdhsa_float_denorm_mode_32 3
		.amdhsa_float_denorm_mode_16_64 3
		.amdhsa_fp16_overflow 0
		.amdhsa_workgroup_processor_mode 1
		.amdhsa_memory_ordered 1
		.amdhsa_forward_progress 1
		.amdhsa_inst_pref_size 0
		.amdhsa_round_robin_scheduling 0
		.amdhsa_exception_fp_ieee_invalid_op 0
		.amdhsa_exception_fp_denorm_src 0
		.amdhsa_exception_fp_ieee_div_zero 0
		.amdhsa_exception_fp_ieee_overflow 0
		.amdhsa_exception_fp_ieee_underflow 0
		.amdhsa_exception_fp_ieee_inexact 0
		.amdhsa_exception_int_div_zero 0
	.end_amdhsa_kernel
	.section	.text._ZN7rocprim17ROCPRIM_400000_NS6detail17trampoline_kernelINS0_14default_configENS1_25partition_config_selectorILNS1_17partition_subalgoE5EiNS0_10empty_typeEbEEZZNS1_14partition_implILS5_5ELb0ES3_mN6thrust23THRUST_200600_302600_NS6detail15normal_iteratorINSA_10device_ptrIiEEEEPS6_NSA_18transform_iteratorINSB_9not_fun_tINSA_8identityIiEEEESF_NSA_11use_defaultESM_EENS0_5tupleIJSF_S6_EEENSO_IJSG_SG_EEES6_PlJS6_EEE10hipError_tPvRmT3_T4_T5_T6_T7_T9_mT8_P12ihipStream_tbDpT10_ENKUlT_T0_E_clISt17integral_constantIbLb0EES1B_EEDaS16_S17_EUlS16_E_NS1_11comp_targetILNS1_3genE2ELNS1_11target_archE906ELNS1_3gpuE6ELNS1_3repE0EEENS1_30default_config_static_selectorELNS0_4arch9wavefront6targetE0EEEvT1_,"axG",@progbits,_ZN7rocprim17ROCPRIM_400000_NS6detail17trampoline_kernelINS0_14default_configENS1_25partition_config_selectorILNS1_17partition_subalgoE5EiNS0_10empty_typeEbEEZZNS1_14partition_implILS5_5ELb0ES3_mN6thrust23THRUST_200600_302600_NS6detail15normal_iteratorINSA_10device_ptrIiEEEEPS6_NSA_18transform_iteratorINSB_9not_fun_tINSA_8identityIiEEEESF_NSA_11use_defaultESM_EENS0_5tupleIJSF_S6_EEENSO_IJSG_SG_EEES6_PlJS6_EEE10hipError_tPvRmT3_T4_T5_T6_T7_T9_mT8_P12ihipStream_tbDpT10_ENKUlT_T0_E_clISt17integral_constantIbLb0EES1B_EEDaS16_S17_EUlS16_E_NS1_11comp_targetILNS1_3genE2ELNS1_11target_archE906ELNS1_3gpuE6ELNS1_3repE0EEENS1_30default_config_static_selectorELNS0_4arch9wavefront6targetE0EEEvT1_,comdat
.Lfunc_end985:
	.size	_ZN7rocprim17ROCPRIM_400000_NS6detail17trampoline_kernelINS0_14default_configENS1_25partition_config_selectorILNS1_17partition_subalgoE5EiNS0_10empty_typeEbEEZZNS1_14partition_implILS5_5ELb0ES3_mN6thrust23THRUST_200600_302600_NS6detail15normal_iteratorINSA_10device_ptrIiEEEEPS6_NSA_18transform_iteratorINSB_9not_fun_tINSA_8identityIiEEEESF_NSA_11use_defaultESM_EENS0_5tupleIJSF_S6_EEENSO_IJSG_SG_EEES6_PlJS6_EEE10hipError_tPvRmT3_T4_T5_T6_T7_T9_mT8_P12ihipStream_tbDpT10_ENKUlT_T0_E_clISt17integral_constantIbLb0EES1B_EEDaS16_S17_EUlS16_E_NS1_11comp_targetILNS1_3genE2ELNS1_11target_archE906ELNS1_3gpuE6ELNS1_3repE0EEENS1_30default_config_static_selectorELNS0_4arch9wavefront6targetE0EEEvT1_, .Lfunc_end985-_ZN7rocprim17ROCPRIM_400000_NS6detail17trampoline_kernelINS0_14default_configENS1_25partition_config_selectorILNS1_17partition_subalgoE5EiNS0_10empty_typeEbEEZZNS1_14partition_implILS5_5ELb0ES3_mN6thrust23THRUST_200600_302600_NS6detail15normal_iteratorINSA_10device_ptrIiEEEEPS6_NSA_18transform_iteratorINSB_9not_fun_tINSA_8identityIiEEEESF_NSA_11use_defaultESM_EENS0_5tupleIJSF_S6_EEENSO_IJSG_SG_EEES6_PlJS6_EEE10hipError_tPvRmT3_T4_T5_T6_T7_T9_mT8_P12ihipStream_tbDpT10_ENKUlT_T0_E_clISt17integral_constantIbLb0EES1B_EEDaS16_S17_EUlS16_E_NS1_11comp_targetILNS1_3genE2ELNS1_11target_archE906ELNS1_3gpuE6ELNS1_3repE0EEENS1_30default_config_static_selectorELNS0_4arch9wavefront6targetE0EEEvT1_
                                        ; -- End function
	.set _ZN7rocprim17ROCPRIM_400000_NS6detail17trampoline_kernelINS0_14default_configENS1_25partition_config_selectorILNS1_17partition_subalgoE5EiNS0_10empty_typeEbEEZZNS1_14partition_implILS5_5ELb0ES3_mN6thrust23THRUST_200600_302600_NS6detail15normal_iteratorINSA_10device_ptrIiEEEEPS6_NSA_18transform_iteratorINSB_9not_fun_tINSA_8identityIiEEEESF_NSA_11use_defaultESM_EENS0_5tupleIJSF_S6_EEENSO_IJSG_SG_EEES6_PlJS6_EEE10hipError_tPvRmT3_T4_T5_T6_T7_T9_mT8_P12ihipStream_tbDpT10_ENKUlT_T0_E_clISt17integral_constantIbLb0EES1B_EEDaS16_S17_EUlS16_E_NS1_11comp_targetILNS1_3genE2ELNS1_11target_archE906ELNS1_3gpuE6ELNS1_3repE0EEENS1_30default_config_static_selectorELNS0_4arch9wavefront6targetE0EEEvT1_.num_vgpr, 0
	.set _ZN7rocprim17ROCPRIM_400000_NS6detail17trampoline_kernelINS0_14default_configENS1_25partition_config_selectorILNS1_17partition_subalgoE5EiNS0_10empty_typeEbEEZZNS1_14partition_implILS5_5ELb0ES3_mN6thrust23THRUST_200600_302600_NS6detail15normal_iteratorINSA_10device_ptrIiEEEEPS6_NSA_18transform_iteratorINSB_9not_fun_tINSA_8identityIiEEEESF_NSA_11use_defaultESM_EENS0_5tupleIJSF_S6_EEENSO_IJSG_SG_EEES6_PlJS6_EEE10hipError_tPvRmT3_T4_T5_T6_T7_T9_mT8_P12ihipStream_tbDpT10_ENKUlT_T0_E_clISt17integral_constantIbLb0EES1B_EEDaS16_S17_EUlS16_E_NS1_11comp_targetILNS1_3genE2ELNS1_11target_archE906ELNS1_3gpuE6ELNS1_3repE0EEENS1_30default_config_static_selectorELNS0_4arch9wavefront6targetE0EEEvT1_.num_agpr, 0
	.set _ZN7rocprim17ROCPRIM_400000_NS6detail17trampoline_kernelINS0_14default_configENS1_25partition_config_selectorILNS1_17partition_subalgoE5EiNS0_10empty_typeEbEEZZNS1_14partition_implILS5_5ELb0ES3_mN6thrust23THRUST_200600_302600_NS6detail15normal_iteratorINSA_10device_ptrIiEEEEPS6_NSA_18transform_iteratorINSB_9not_fun_tINSA_8identityIiEEEESF_NSA_11use_defaultESM_EENS0_5tupleIJSF_S6_EEENSO_IJSG_SG_EEES6_PlJS6_EEE10hipError_tPvRmT3_T4_T5_T6_T7_T9_mT8_P12ihipStream_tbDpT10_ENKUlT_T0_E_clISt17integral_constantIbLb0EES1B_EEDaS16_S17_EUlS16_E_NS1_11comp_targetILNS1_3genE2ELNS1_11target_archE906ELNS1_3gpuE6ELNS1_3repE0EEENS1_30default_config_static_selectorELNS0_4arch9wavefront6targetE0EEEvT1_.numbered_sgpr, 0
	.set _ZN7rocprim17ROCPRIM_400000_NS6detail17trampoline_kernelINS0_14default_configENS1_25partition_config_selectorILNS1_17partition_subalgoE5EiNS0_10empty_typeEbEEZZNS1_14partition_implILS5_5ELb0ES3_mN6thrust23THRUST_200600_302600_NS6detail15normal_iteratorINSA_10device_ptrIiEEEEPS6_NSA_18transform_iteratorINSB_9not_fun_tINSA_8identityIiEEEESF_NSA_11use_defaultESM_EENS0_5tupleIJSF_S6_EEENSO_IJSG_SG_EEES6_PlJS6_EEE10hipError_tPvRmT3_T4_T5_T6_T7_T9_mT8_P12ihipStream_tbDpT10_ENKUlT_T0_E_clISt17integral_constantIbLb0EES1B_EEDaS16_S17_EUlS16_E_NS1_11comp_targetILNS1_3genE2ELNS1_11target_archE906ELNS1_3gpuE6ELNS1_3repE0EEENS1_30default_config_static_selectorELNS0_4arch9wavefront6targetE0EEEvT1_.num_named_barrier, 0
	.set _ZN7rocprim17ROCPRIM_400000_NS6detail17trampoline_kernelINS0_14default_configENS1_25partition_config_selectorILNS1_17partition_subalgoE5EiNS0_10empty_typeEbEEZZNS1_14partition_implILS5_5ELb0ES3_mN6thrust23THRUST_200600_302600_NS6detail15normal_iteratorINSA_10device_ptrIiEEEEPS6_NSA_18transform_iteratorINSB_9not_fun_tINSA_8identityIiEEEESF_NSA_11use_defaultESM_EENS0_5tupleIJSF_S6_EEENSO_IJSG_SG_EEES6_PlJS6_EEE10hipError_tPvRmT3_T4_T5_T6_T7_T9_mT8_P12ihipStream_tbDpT10_ENKUlT_T0_E_clISt17integral_constantIbLb0EES1B_EEDaS16_S17_EUlS16_E_NS1_11comp_targetILNS1_3genE2ELNS1_11target_archE906ELNS1_3gpuE6ELNS1_3repE0EEENS1_30default_config_static_selectorELNS0_4arch9wavefront6targetE0EEEvT1_.private_seg_size, 0
	.set _ZN7rocprim17ROCPRIM_400000_NS6detail17trampoline_kernelINS0_14default_configENS1_25partition_config_selectorILNS1_17partition_subalgoE5EiNS0_10empty_typeEbEEZZNS1_14partition_implILS5_5ELb0ES3_mN6thrust23THRUST_200600_302600_NS6detail15normal_iteratorINSA_10device_ptrIiEEEEPS6_NSA_18transform_iteratorINSB_9not_fun_tINSA_8identityIiEEEESF_NSA_11use_defaultESM_EENS0_5tupleIJSF_S6_EEENSO_IJSG_SG_EEES6_PlJS6_EEE10hipError_tPvRmT3_T4_T5_T6_T7_T9_mT8_P12ihipStream_tbDpT10_ENKUlT_T0_E_clISt17integral_constantIbLb0EES1B_EEDaS16_S17_EUlS16_E_NS1_11comp_targetILNS1_3genE2ELNS1_11target_archE906ELNS1_3gpuE6ELNS1_3repE0EEENS1_30default_config_static_selectorELNS0_4arch9wavefront6targetE0EEEvT1_.uses_vcc, 0
	.set _ZN7rocprim17ROCPRIM_400000_NS6detail17trampoline_kernelINS0_14default_configENS1_25partition_config_selectorILNS1_17partition_subalgoE5EiNS0_10empty_typeEbEEZZNS1_14partition_implILS5_5ELb0ES3_mN6thrust23THRUST_200600_302600_NS6detail15normal_iteratorINSA_10device_ptrIiEEEEPS6_NSA_18transform_iteratorINSB_9not_fun_tINSA_8identityIiEEEESF_NSA_11use_defaultESM_EENS0_5tupleIJSF_S6_EEENSO_IJSG_SG_EEES6_PlJS6_EEE10hipError_tPvRmT3_T4_T5_T6_T7_T9_mT8_P12ihipStream_tbDpT10_ENKUlT_T0_E_clISt17integral_constantIbLb0EES1B_EEDaS16_S17_EUlS16_E_NS1_11comp_targetILNS1_3genE2ELNS1_11target_archE906ELNS1_3gpuE6ELNS1_3repE0EEENS1_30default_config_static_selectorELNS0_4arch9wavefront6targetE0EEEvT1_.uses_flat_scratch, 0
	.set _ZN7rocprim17ROCPRIM_400000_NS6detail17trampoline_kernelINS0_14default_configENS1_25partition_config_selectorILNS1_17partition_subalgoE5EiNS0_10empty_typeEbEEZZNS1_14partition_implILS5_5ELb0ES3_mN6thrust23THRUST_200600_302600_NS6detail15normal_iteratorINSA_10device_ptrIiEEEEPS6_NSA_18transform_iteratorINSB_9not_fun_tINSA_8identityIiEEEESF_NSA_11use_defaultESM_EENS0_5tupleIJSF_S6_EEENSO_IJSG_SG_EEES6_PlJS6_EEE10hipError_tPvRmT3_T4_T5_T6_T7_T9_mT8_P12ihipStream_tbDpT10_ENKUlT_T0_E_clISt17integral_constantIbLb0EES1B_EEDaS16_S17_EUlS16_E_NS1_11comp_targetILNS1_3genE2ELNS1_11target_archE906ELNS1_3gpuE6ELNS1_3repE0EEENS1_30default_config_static_selectorELNS0_4arch9wavefront6targetE0EEEvT1_.has_dyn_sized_stack, 0
	.set _ZN7rocprim17ROCPRIM_400000_NS6detail17trampoline_kernelINS0_14default_configENS1_25partition_config_selectorILNS1_17partition_subalgoE5EiNS0_10empty_typeEbEEZZNS1_14partition_implILS5_5ELb0ES3_mN6thrust23THRUST_200600_302600_NS6detail15normal_iteratorINSA_10device_ptrIiEEEEPS6_NSA_18transform_iteratorINSB_9not_fun_tINSA_8identityIiEEEESF_NSA_11use_defaultESM_EENS0_5tupleIJSF_S6_EEENSO_IJSG_SG_EEES6_PlJS6_EEE10hipError_tPvRmT3_T4_T5_T6_T7_T9_mT8_P12ihipStream_tbDpT10_ENKUlT_T0_E_clISt17integral_constantIbLb0EES1B_EEDaS16_S17_EUlS16_E_NS1_11comp_targetILNS1_3genE2ELNS1_11target_archE906ELNS1_3gpuE6ELNS1_3repE0EEENS1_30default_config_static_selectorELNS0_4arch9wavefront6targetE0EEEvT1_.has_recursion, 0
	.set _ZN7rocprim17ROCPRIM_400000_NS6detail17trampoline_kernelINS0_14default_configENS1_25partition_config_selectorILNS1_17partition_subalgoE5EiNS0_10empty_typeEbEEZZNS1_14partition_implILS5_5ELb0ES3_mN6thrust23THRUST_200600_302600_NS6detail15normal_iteratorINSA_10device_ptrIiEEEEPS6_NSA_18transform_iteratorINSB_9not_fun_tINSA_8identityIiEEEESF_NSA_11use_defaultESM_EENS0_5tupleIJSF_S6_EEENSO_IJSG_SG_EEES6_PlJS6_EEE10hipError_tPvRmT3_T4_T5_T6_T7_T9_mT8_P12ihipStream_tbDpT10_ENKUlT_T0_E_clISt17integral_constantIbLb0EES1B_EEDaS16_S17_EUlS16_E_NS1_11comp_targetILNS1_3genE2ELNS1_11target_archE906ELNS1_3gpuE6ELNS1_3repE0EEENS1_30default_config_static_selectorELNS0_4arch9wavefront6targetE0EEEvT1_.has_indirect_call, 0
	.section	.AMDGPU.csdata,"",@progbits
; Kernel info:
; codeLenInByte = 0
; TotalNumSgprs: 0
; NumVgprs: 0
; ScratchSize: 0
; MemoryBound: 0
; FloatMode: 240
; IeeeMode: 1
; LDSByteSize: 0 bytes/workgroup (compile time only)
; SGPRBlocks: 0
; VGPRBlocks: 0
; NumSGPRsForWavesPerEU: 1
; NumVGPRsForWavesPerEU: 1
; Occupancy: 16
; WaveLimiterHint : 0
; COMPUTE_PGM_RSRC2:SCRATCH_EN: 0
; COMPUTE_PGM_RSRC2:USER_SGPR: 2
; COMPUTE_PGM_RSRC2:TRAP_HANDLER: 0
; COMPUTE_PGM_RSRC2:TGID_X_EN: 1
; COMPUTE_PGM_RSRC2:TGID_Y_EN: 0
; COMPUTE_PGM_RSRC2:TGID_Z_EN: 0
; COMPUTE_PGM_RSRC2:TIDIG_COMP_CNT: 0
	.section	.text._ZN7rocprim17ROCPRIM_400000_NS6detail17trampoline_kernelINS0_14default_configENS1_25partition_config_selectorILNS1_17partition_subalgoE5EiNS0_10empty_typeEbEEZZNS1_14partition_implILS5_5ELb0ES3_mN6thrust23THRUST_200600_302600_NS6detail15normal_iteratorINSA_10device_ptrIiEEEEPS6_NSA_18transform_iteratorINSB_9not_fun_tINSA_8identityIiEEEESF_NSA_11use_defaultESM_EENS0_5tupleIJSF_S6_EEENSO_IJSG_SG_EEES6_PlJS6_EEE10hipError_tPvRmT3_T4_T5_T6_T7_T9_mT8_P12ihipStream_tbDpT10_ENKUlT_T0_E_clISt17integral_constantIbLb0EES1B_EEDaS16_S17_EUlS16_E_NS1_11comp_targetILNS1_3genE10ELNS1_11target_archE1200ELNS1_3gpuE4ELNS1_3repE0EEENS1_30default_config_static_selectorELNS0_4arch9wavefront6targetE0EEEvT1_,"axG",@progbits,_ZN7rocprim17ROCPRIM_400000_NS6detail17trampoline_kernelINS0_14default_configENS1_25partition_config_selectorILNS1_17partition_subalgoE5EiNS0_10empty_typeEbEEZZNS1_14partition_implILS5_5ELb0ES3_mN6thrust23THRUST_200600_302600_NS6detail15normal_iteratorINSA_10device_ptrIiEEEEPS6_NSA_18transform_iteratorINSB_9not_fun_tINSA_8identityIiEEEESF_NSA_11use_defaultESM_EENS0_5tupleIJSF_S6_EEENSO_IJSG_SG_EEES6_PlJS6_EEE10hipError_tPvRmT3_T4_T5_T6_T7_T9_mT8_P12ihipStream_tbDpT10_ENKUlT_T0_E_clISt17integral_constantIbLb0EES1B_EEDaS16_S17_EUlS16_E_NS1_11comp_targetILNS1_3genE10ELNS1_11target_archE1200ELNS1_3gpuE4ELNS1_3repE0EEENS1_30default_config_static_selectorELNS0_4arch9wavefront6targetE0EEEvT1_,comdat
	.protected	_ZN7rocprim17ROCPRIM_400000_NS6detail17trampoline_kernelINS0_14default_configENS1_25partition_config_selectorILNS1_17partition_subalgoE5EiNS0_10empty_typeEbEEZZNS1_14partition_implILS5_5ELb0ES3_mN6thrust23THRUST_200600_302600_NS6detail15normal_iteratorINSA_10device_ptrIiEEEEPS6_NSA_18transform_iteratorINSB_9not_fun_tINSA_8identityIiEEEESF_NSA_11use_defaultESM_EENS0_5tupleIJSF_S6_EEENSO_IJSG_SG_EEES6_PlJS6_EEE10hipError_tPvRmT3_T4_T5_T6_T7_T9_mT8_P12ihipStream_tbDpT10_ENKUlT_T0_E_clISt17integral_constantIbLb0EES1B_EEDaS16_S17_EUlS16_E_NS1_11comp_targetILNS1_3genE10ELNS1_11target_archE1200ELNS1_3gpuE4ELNS1_3repE0EEENS1_30default_config_static_selectorELNS0_4arch9wavefront6targetE0EEEvT1_ ; -- Begin function _ZN7rocprim17ROCPRIM_400000_NS6detail17trampoline_kernelINS0_14default_configENS1_25partition_config_selectorILNS1_17partition_subalgoE5EiNS0_10empty_typeEbEEZZNS1_14partition_implILS5_5ELb0ES3_mN6thrust23THRUST_200600_302600_NS6detail15normal_iteratorINSA_10device_ptrIiEEEEPS6_NSA_18transform_iteratorINSB_9not_fun_tINSA_8identityIiEEEESF_NSA_11use_defaultESM_EENS0_5tupleIJSF_S6_EEENSO_IJSG_SG_EEES6_PlJS6_EEE10hipError_tPvRmT3_T4_T5_T6_T7_T9_mT8_P12ihipStream_tbDpT10_ENKUlT_T0_E_clISt17integral_constantIbLb0EES1B_EEDaS16_S17_EUlS16_E_NS1_11comp_targetILNS1_3genE10ELNS1_11target_archE1200ELNS1_3gpuE4ELNS1_3repE0EEENS1_30default_config_static_selectorELNS0_4arch9wavefront6targetE0EEEvT1_
	.globl	_ZN7rocprim17ROCPRIM_400000_NS6detail17trampoline_kernelINS0_14default_configENS1_25partition_config_selectorILNS1_17partition_subalgoE5EiNS0_10empty_typeEbEEZZNS1_14partition_implILS5_5ELb0ES3_mN6thrust23THRUST_200600_302600_NS6detail15normal_iteratorINSA_10device_ptrIiEEEEPS6_NSA_18transform_iteratorINSB_9not_fun_tINSA_8identityIiEEEESF_NSA_11use_defaultESM_EENS0_5tupleIJSF_S6_EEENSO_IJSG_SG_EEES6_PlJS6_EEE10hipError_tPvRmT3_T4_T5_T6_T7_T9_mT8_P12ihipStream_tbDpT10_ENKUlT_T0_E_clISt17integral_constantIbLb0EES1B_EEDaS16_S17_EUlS16_E_NS1_11comp_targetILNS1_3genE10ELNS1_11target_archE1200ELNS1_3gpuE4ELNS1_3repE0EEENS1_30default_config_static_selectorELNS0_4arch9wavefront6targetE0EEEvT1_
	.p2align	8
	.type	_ZN7rocprim17ROCPRIM_400000_NS6detail17trampoline_kernelINS0_14default_configENS1_25partition_config_selectorILNS1_17partition_subalgoE5EiNS0_10empty_typeEbEEZZNS1_14partition_implILS5_5ELb0ES3_mN6thrust23THRUST_200600_302600_NS6detail15normal_iteratorINSA_10device_ptrIiEEEEPS6_NSA_18transform_iteratorINSB_9not_fun_tINSA_8identityIiEEEESF_NSA_11use_defaultESM_EENS0_5tupleIJSF_S6_EEENSO_IJSG_SG_EEES6_PlJS6_EEE10hipError_tPvRmT3_T4_T5_T6_T7_T9_mT8_P12ihipStream_tbDpT10_ENKUlT_T0_E_clISt17integral_constantIbLb0EES1B_EEDaS16_S17_EUlS16_E_NS1_11comp_targetILNS1_3genE10ELNS1_11target_archE1200ELNS1_3gpuE4ELNS1_3repE0EEENS1_30default_config_static_selectorELNS0_4arch9wavefront6targetE0EEEvT1_,@function
_ZN7rocprim17ROCPRIM_400000_NS6detail17trampoline_kernelINS0_14default_configENS1_25partition_config_selectorILNS1_17partition_subalgoE5EiNS0_10empty_typeEbEEZZNS1_14partition_implILS5_5ELb0ES3_mN6thrust23THRUST_200600_302600_NS6detail15normal_iteratorINSA_10device_ptrIiEEEEPS6_NSA_18transform_iteratorINSB_9not_fun_tINSA_8identityIiEEEESF_NSA_11use_defaultESM_EENS0_5tupleIJSF_S6_EEENSO_IJSG_SG_EEES6_PlJS6_EEE10hipError_tPvRmT3_T4_T5_T6_T7_T9_mT8_P12ihipStream_tbDpT10_ENKUlT_T0_E_clISt17integral_constantIbLb0EES1B_EEDaS16_S17_EUlS16_E_NS1_11comp_targetILNS1_3genE10ELNS1_11target_archE1200ELNS1_3gpuE4ELNS1_3repE0EEENS1_30default_config_static_selectorELNS0_4arch9wavefront6targetE0EEEvT1_: ; @_ZN7rocprim17ROCPRIM_400000_NS6detail17trampoline_kernelINS0_14default_configENS1_25partition_config_selectorILNS1_17partition_subalgoE5EiNS0_10empty_typeEbEEZZNS1_14partition_implILS5_5ELb0ES3_mN6thrust23THRUST_200600_302600_NS6detail15normal_iteratorINSA_10device_ptrIiEEEEPS6_NSA_18transform_iteratorINSB_9not_fun_tINSA_8identityIiEEEESF_NSA_11use_defaultESM_EENS0_5tupleIJSF_S6_EEENSO_IJSG_SG_EEES6_PlJS6_EEE10hipError_tPvRmT3_T4_T5_T6_T7_T9_mT8_P12ihipStream_tbDpT10_ENKUlT_T0_E_clISt17integral_constantIbLb0EES1B_EEDaS16_S17_EUlS16_E_NS1_11comp_targetILNS1_3genE10ELNS1_11target_archE1200ELNS1_3gpuE4ELNS1_3repE0EEENS1_30default_config_static_selectorELNS0_4arch9wavefront6targetE0EEEvT1_
; %bb.0:
	s_clause 0x3
	s_load_b128 s[4:7], s[0:1], 0x8
	s_load_b128 s[8:11], s[0:1], 0x48
	s_load_b32 s2, s[0:1], 0x70
	s_load_b64 s[14:15], s[0:1], 0x58
	s_mov_b32 s17, 0
	s_mul_i32 s20, ttmp9, 0x600
	s_mov_b32 s21, s17
	v_lshlrev_b32_e32 v23, 2, v0
	v_lshrrev_b32_e32 v9, 3, v0
	v_add_nc_u32_e32 v22, 0x180, v0
	v_add_nc_u32_e32 v21, 0x240, v0
	v_or_b32_e32 v18, 0x300, v0
	v_add_nc_u32_e32 v20, 0x3c0, v0
	v_add_nc_u32_e32 v17, 0x480, v0
	;; [unrolled: 1-line block ×3, first 2 shown]
	s_mov_b32 s3, -1
	s_wait_kmcnt 0x0
	s_lshl_b64 s[12:13], s[6:7], 2
	s_load_b64 s[10:11], s[10:11], 0x0
	s_mul_i32 s16, s2, 0x600
	s_add_co_i32 s2, s2, -1
	s_add_co_i32 s18, s16, s6
	s_add_nc_u64 s[6:7], s[6:7], s[16:17]
	s_sub_co_i32 s18, s14, s18
	v_cmp_le_u64_e64 s6, s[14:15], s[6:7]
	s_addk_co_i32 s18, 0x600
	s_cmp_eq_u32 ttmp9, s2
	s_cselect_b32 s16, -1, 0
	s_delay_alu instid0(SALU_CYCLE_1)
	s_and_b32 s2, s16, s6
	s_add_nc_u64 s[6:7], s[4:5], s[12:13]
	s_xor_b32 s17, s2, -1
	s_lshl_b64 s[4:5], s[20:21], 2
	s_and_b32 vcc_lo, exec_lo, s17
	s_wait_alu 0xfffe
	s_add_nc_u64 s[6:7], s[6:7], s[4:5]
	s_cbranch_vccz .LBB986_2
; %bb.1:
	s_wait_alu 0xfffe
	v_add_co_u32 v1, s2, s6, v23
	s_delay_alu instid0(VALU_DEP_1)
	v_add_co_ci_u32_e64 v2, null, s7, 0, s2
	v_add_nc_u32_e32 v11, 0xc0, v0
	v_lshrrev_b32_e32 v12, 3, v22
	v_lshrrev_b32_e32 v13, 3, v21
	s_clause 0x7
	flat_load_b32 v3, v[1:2]
	flat_load_b32 v4, v[1:2] offset:768
	flat_load_b32 v5, v[1:2] offset:1536
	;; [unrolled: 1-line block ×7, first 2 shown]
	v_lshrrev_b32_e32 v14, 3, v18
	v_lshrrev_b32_e32 v11, 3, v11
	v_and_b32_e32 v2, 28, v9
	v_lshrrev_b32_e32 v15, 3, v20
	v_lshrrev_b32_e32 v16, 3, v17
	;; [unrolled: 1-line block ×3, first 2 shown]
	v_and_b32_e32 v11, 60, v11
	v_and_b32_e32 v12, 0x7c, v12
	;; [unrolled: 1-line block ×4, first 2 shown]
	v_add_nc_u32_e32 v2, v2, v23
	v_and_b32_e32 v15, 0xfc, v15
	v_and_b32_e32 v16, 0xbc, v16
	;; [unrolled: 1-line block ×3, first 2 shown]
	v_add_nc_u32_e32 v11, v11, v23
	v_add_nc_u32_e32 v12, v12, v23
	;; [unrolled: 1-line block ×4, first 2 shown]
	s_mov_b32 s3, 0
	v_add_nc_u32_e32 v15, v15, v23
	v_add_nc_u32_e32 v16, v16, v23
	v_add_nc_u32_e32 v24, v24, v23
	s_wait_loadcnt_dscnt 0x707
	ds_store_b32 v2, v3
	s_wait_loadcnt_dscnt 0x607
	ds_store_b32 v11, v4 offset:768
	s_wait_loadcnt_dscnt 0x507
	ds_store_b32 v12, v5 offset:1536
	;; [unrolled: 2-line block ×7, first 2 shown]
	s_wait_dscnt 0x0
	s_barrier_signal -1
	s_barrier_wait -1
.LBB986_2:
	s_load_b64 s[14:15], s[0:1], 0x20
	v_cmp_gt_u32_e64 s2, s18, v0
	s_and_not1_b32 vcc_lo, exec_lo, s3
	s_cbranch_vccnz .LBB986_14
; %bb.3:
	v_mov_b32_e32 v1, 0
	s_delay_alu instid0(VALU_DEP_1)
	v_dual_mov_b32 v2, v1 :: v_dual_mov_b32 v3, v1
	v_dual_mov_b32 v4, v1 :: v_dual_mov_b32 v5, v1
	v_dual_mov_b32 v6, v1 :: v_dual_mov_b32 v7, v1
	v_mov_b32_e32 v8, v1
	s_and_saveexec_b32 s3, s2
	s_cbranch_execz .LBB986_5
; %bb.4:
	v_add_co_u32 v2, s2, s6, v23
	s_wait_alu 0xf1ff
	v_add_co_ci_u32_e64 v3, null, s7, 0, s2
	v_dual_mov_b32 v25, v1 :: v_dual_mov_b32 v26, v1
	v_dual_mov_b32 v27, v1 :: v_dual_mov_b32 v28, v1
	flat_load_b32 v24, v[2:3]
	v_dual_mov_b32 v29, v1 :: v_dual_mov_b32 v30, v1
	v_mov_b32_e32 v31, v1
	s_wait_loadcnt_dscnt 0x0
	v_dual_mov_b32 v1, v24 :: v_dual_mov_b32 v2, v25
	v_dual_mov_b32 v3, v26 :: v_dual_mov_b32 v4, v27
	;; [unrolled: 1-line block ×4, first 2 shown]
.LBB986_5:
	s_wait_alu 0xfffe
	s_or_b32 exec_lo, exec_lo, s3
	v_add_nc_u32_e32 v10, 0xc0, v0
	s_mov_b32 s2, exec_lo
	s_delay_alu instid0(VALU_DEP_1)
	v_cmpx_gt_u32_e64 s18, v10
	s_cbranch_execnz .LBB986_158
; %bb.6:
	s_wait_alu 0xfffe
	s_or_b32 exec_lo, exec_lo, s2
	s_delay_alu instid0(SALU_CYCLE_1)
	s_mov_b32 s2, exec_lo
	v_cmpx_gt_u32_e64 s18, v22
	s_cbranch_execnz .LBB986_159
.LBB986_7:
	s_wait_alu 0xfffe
	s_or_b32 exec_lo, exec_lo, s2
	s_delay_alu instid0(SALU_CYCLE_1)
	s_mov_b32 s2, exec_lo
	v_cmpx_gt_u32_e64 s18, v21
	s_cbranch_execnz .LBB986_160
.LBB986_8:
	s_wait_alu 0xfffe
	s_or_b32 exec_lo, exec_lo, s2
	s_delay_alu instid0(SALU_CYCLE_1)
	s_mov_b32 s2, exec_lo
	v_cmpx_gt_u32_e64 s18, v18
	s_cbranch_execnz .LBB986_161
.LBB986_9:
	s_wait_alu 0xfffe
	s_or_b32 exec_lo, exec_lo, s2
	s_delay_alu instid0(SALU_CYCLE_1)
	s_mov_b32 s2, exec_lo
	v_cmpx_gt_u32_e64 s18, v20
	s_cbranch_execnz .LBB986_162
.LBB986_10:
	s_wait_alu 0xfffe
	s_or_b32 exec_lo, exec_lo, s2
	s_delay_alu instid0(SALU_CYCLE_1)
	s_mov_b32 s2, exec_lo
	v_cmpx_gt_u32_e64 s18, v17
	s_cbranch_execnz .LBB986_163
.LBB986_11:
	s_wait_alu 0xfffe
	s_or_b32 exec_lo, exec_lo, s2
	s_delay_alu instid0(SALU_CYCLE_1)
	s_mov_b32 s2, exec_lo
	v_cmpx_gt_u32_e64 s18, v19
	s_cbranch_execz .LBB986_13
.LBB986_12:
	v_add_co_u32 v11, s3, s6, v23
	s_wait_alu 0xf1ff
	v_add_co_ci_u32_e64 v12, null, s7, 0, s3
	flat_load_b32 v8, v[11:12] offset:5376
.LBB986_13:
	s_wait_alu 0xfffe
	s_or_b32 exec_lo, exec_lo, s2
	v_lshrrev_b32_e32 v10, 3, v10
	v_lshrrev_b32_e32 v11, 3, v22
	;; [unrolled: 1-line block ×4, first 2 shown]
	v_and_b32_e32 v9, 28, v9
	v_lshrrev_b32_e32 v14, 3, v20
	v_lshrrev_b32_e32 v15, 3, v17
	v_lshrrev_b32_e32 v16, 3, v19
	v_and_b32_e32 v10, 60, v10
	v_and_b32_e32 v11, 0x7c, v11
	v_and_b32_e32 v12, 0x7c, v12
	v_and_b32_e32 v13, 0x7c, v13
	v_add_nc_u32_e32 v9, v9, v23
	v_and_b32_e32 v14, 0xfc, v14
	v_and_b32_e32 v15, 0xfc, v15
	;; [unrolled: 1-line block ×3, first 2 shown]
	v_add_nc_u32_e32 v10, v10, v23
	v_add_nc_u32_e32 v11, v11, v23
	;; [unrolled: 1-line block ×7, first 2 shown]
	ds_store_b32 v9, v1
	s_wait_loadcnt_dscnt 0x1
	ds_store_b32 v10, v2 offset:768
	ds_store_b32 v11, v3 offset:1536
	;; [unrolled: 1-line block ×7, first 2 shown]
	s_wait_dscnt 0x0
	s_barrier_signal -1
	s_barrier_wait -1
.LBB986_14:
	v_and_b32_e32 v1, 0xfc, v0
	global_inv scope:SCOPE_SE
	v_lshrrev_b32_e32 v35, 5, v0
	s_wait_kmcnt 0x0
	s_add_nc_u64 s[2:3], s[14:15], s[12:13]
	s_and_b32 vcc_lo, exec_lo, s17
	v_lshl_add_u32 v1, v0, 5, v1
	s_wait_alu 0xfffe
	s_add_nc_u64 s[2:3], s[2:3], s[4:5]
	s_mov_b32 s4, -1
	ds_load_2addr_b32 v[15:16], v1 offset1:1
	ds_load_2addr_b32 v[13:14], v1 offset0:2 offset1:3
	ds_load_2addr_b32 v[11:12], v1 offset0:4 offset1:5
	ds_load_2addr_b32 v[9:10], v1 offset0:6 offset1:7
	s_wait_loadcnt_dscnt 0x0
	s_barrier_signal -1
	s_barrier_wait -1
	global_inv scope:SCOPE_SE
	s_cbranch_vccz .LBB986_16
; %bb.15:
	s_clause 0x7
	global_load_b32 v1, v23, s[2:3]
	global_load_b32 v2, v23, s[2:3] offset:768
	global_load_b32 v3, v23, s[2:3] offset:1536
	;; [unrolled: 1-line block ×7, first 2 shown]
	v_add_nc_u32_e32 v25, 0xc0, v0
	v_lshrrev_b32_e32 v26, 5, v22
	v_lshrrev_b32_e32 v27, 5, v21
	;; [unrolled: 1-line block ×3, first 2 shown]
	v_and_b32_e32 v24, 4, v35
	v_lshrrev_b32_e32 v25, 5, v25
	v_lshrrev_b32_e32 v29, 5, v20
	;; [unrolled: 1-line block ×4, first 2 shown]
	v_and_b32_e32 v26, 28, v26
	v_and_b32_e32 v25, 12, v25
	;; [unrolled: 1-line block ×4, first 2 shown]
	v_add_nc_u32_e32 v24, v24, v0
	v_and_b32_e32 v29, 60, v29
	v_and_b32_e32 v30, 44, v30
	;; [unrolled: 1-line block ×3, first 2 shown]
	v_add_nc_u32_e32 v25, v25, v0
	v_add_nc_u32_e32 v26, v26, v0
	v_add_nc_u32_e32 v27, v27, v0
	v_add_nc_u32_e32 v28, v28, v0
	s_mov_b32 s4, 0
	v_add_nc_u32_e32 v29, v29, v0
	v_add_nc_u32_e32 v30, v30, v0
	v_add_nc_u32_e32 v31, v31, v0
	s_wait_loadcnt 0x7
	v_cmp_eq_u32_e32 vcc_lo, 0, v1
	v_cndmask_b32_e64 v1, 0, 1, vcc_lo
	s_wait_loadcnt 0x6
	v_cmp_eq_u32_e32 vcc_lo, 0, v2
	s_wait_alu 0xfffd
	v_cndmask_b32_e64 v2, 0, 1, vcc_lo
	s_wait_loadcnt 0x5
	v_cmp_eq_u32_e32 vcc_lo, 0, v3
	s_wait_alu 0xfffd
	;; [unrolled: 4-line block ×7, first 2 shown]
	v_cndmask_b32_e64 v8, 0, 1, vcc_lo
	ds_store_b8 v24, v1
	ds_store_b8 v25, v2 offset:192
	ds_store_b8 v26, v3 offset:384
	;; [unrolled: 1-line block ×7, first 2 shown]
	s_wait_dscnt 0x0
	s_barrier_signal -1
	s_barrier_wait -1
.LBB986_16:
	v_lshlrev_b32_e32 v38, 3, v0
	v_lshrrev_b32_e32 v1, 2, v0
	s_and_not1_b32 vcc_lo, exec_lo, s4
	s_wait_alu 0xfffe
	s_cbranch_vccnz .LBB986_28
; %bb.17:
	v_mov_b32_e32 v2, 0
	s_mov_b32 s5, 0
	s_mov_b32 s4, exec_lo
	s_delay_alu instid0(VALU_DEP_1)
	v_dual_mov_b32 v3, v2 :: v_dual_mov_b32 v4, v2
	v_cmpx_gt_u32_e64 s18, v0
	s_cbranch_execz .LBB986_19
; %bb.18:
	global_load_b32 v2, v23, s[2:3]
	s_wait_loadcnt 0x0
	v_cmp_eq_u32_e32 vcc_lo, 0, v2
	s_wait_alu 0xfffd
	v_cndmask_b32_e64 v2, 0, 1, vcc_lo
	s_delay_alu instid0(VALU_DEP_1)
	v_dual_mov_b32 v3, s5 :: v_dual_mov_b32 v4, v2
.LBB986_19:
	s_or_b32 exec_lo, exec_lo, s4
	v_add_nc_u32_e32 v5, 0xc0, v0
	s_mov_b32 s4, exec_lo
	s_delay_alu instid0(VALU_DEP_1)
	v_cmpx_gt_u32_e64 s18, v5
	s_cbranch_execnz .LBB986_164
; %bb.20:
	s_wait_alu 0xfffe
	s_or_b32 exec_lo, exec_lo, s4
	s_delay_alu instid0(SALU_CYCLE_1)
	s_mov_b32 s4, exec_lo
	v_cmpx_gt_u32_e64 s18, v22
	s_cbranch_execnz .LBB986_165
.LBB986_21:
	s_wait_alu 0xfffe
	s_or_b32 exec_lo, exec_lo, s4
	s_delay_alu instid0(SALU_CYCLE_1)
	s_mov_b32 s4, exec_lo
	v_cmpx_gt_u32_e64 s18, v21
	s_cbranch_execnz .LBB986_166
.LBB986_22:
	s_wait_alu 0xfffe
	s_or_b32 exec_lo, exec_lo, s4
	s_delay_alu instid0(SALU_CYCLE_1)
	s_mov_b32 s4, exec_lo
	v_cmpx_gt_u32_e64 s18, v18
	s_cbranch_execnz .LBB986_167
.LBB986_23:
	s_wait_alu 0xfffe
	s_or_b32 exec_lo, exec_lo, s4
	s_delay_alu instid0(SALU_CYCLE_1)
	s_mov_b32 s4, exec_lo
	v_cmpx_gt_u32_e64 s18, v20
	s_cbranch_execnz .LBB986_168
.LBB986_24:
	s_wait_alu 0xfffe
	s_or_b32 exec_lo, exec_lo, s4
	s_delay_alu instid0(SALU_CYCLE_1)
	s_mov_b32 s4, exec_lo
	v_cmpx_gt_u32_e64 s18, v17
	s_cbranch_execnz .LBB986_169
.LBB986_25:
	s_wait_alu 0xfffe
	s_or_b32 exec_lo, exec_lo, s4
	s_delay_alu instid0(SALU_CYCLE_1)
	s_mov_b32 s4, exec_lo
	v_cmpx_gt_u32_e64 s18, v19
	s_cbranch_execz .LBB986_27
.LBB986_26:
	global_load_b32 v6, v23, s[2:3] offset:5376
	v_lshrrev_b32_e32 v7, 16, v3
	s_delay_alu instid0(VALU_DEP_1) | instskip(SKIP_4) | instid1(VALU_DEP_1)
	v_and_b32_e32 v7, 0xff, v7
	s_wait_loadcnt 0x0
	v_cmp_eq_u32_e32 vcc_lo, 0, v6
	s_wait_alu 0xfffd
	v_cndmask_b32_e64 v6, 0, 1, vcc_lo
	v_lshlrev_b16 v6, 8, v6
	s_delay_alu instid0(VALU_DEP_1) | instskip(NEXT) | instid1(VALU_DEP_1)
	v_or_b32_e32 v6, v7, v6
	v_lshlrev_b32_e32 v6, 16, v6
	s_delay_alu instid0(VALU_DEP_1)
	v_and_or_b32 v3, 0xffff, v3, v6
.LBB986_27:
	s_wait_alu 0xfffe
	s_or_b32 exec_lo, exec_lo, s4
	v_lshrrev_b32_e32 v5, 5, v5
	v_lshrrev_b32_e32 v6, 5, v22
	;; [unrolled: 1-line block ×4, first 2 shown]
	v_and_b32_e32 v7, 4, v35
	v_lshrrev_b32_e32 v20, 5, v20
	v_lshrrev_b32_e32 v17, 5, v17
	;; [unrolled: 1-line block ×3, first 2 shown]
	v_and_b32_e32 v5, 12, v5
	v_and_b32_e32 v6, 28, v6
	;; [unrolled: 1-line block ×4, first 2 shown]
	v_add_nc_u32_e32 v7, v7, v0
	v_and_b32_e32 v20, 60, v20
	v_and_b32_e32 v17, 60, v17
	v_and_b32_e32 v19, 60, v19
	v_lshrrev_b32_e32 v8, 8, v2
	v_add_nc_u32_e32 v5, v5, v0
	v_add_nc_u32_e32 v6, v6, v0
	v_lshrrev_b32_e32 v22, 24, v2
	v_add_nc_u32_e32 v21, v21, v0
	v_add_nc_u32_e32 v18, v18, v0
	;; [unrolled: 3-line block ×3, first 2 shown]
	v_lshrrev_b32_e32 v24, 24, v3
	v_add_nc_u32_e32 v19, v19, v0
	ds_store_b8 v7, v4
	ds_store_b8 v5, v8 offset:192
	ds_store_b8_d16_hi v6, v2 offset:384
	ds_store_b8 v21, v22 offset:576
	ds_store_b8 v18, v3 offset:768
	;; [unrolled: 1-line block ×3, first 2 shown]
	ds_store_b8_d16_hi v17, v3 offset:1152
	ds_store_b8 v19, v24 offset:1344
	s_wait_loadcnt_dscnt 0x0
	s_barrier_signal -1
	s_barrier_wait -1
.LBB986_28:
	s_delay_alu instid0(VALU_DEP_1)
	v_dual_mov_b32 v2, 0 :: v_dual_and_b32 v1, 60, v1
	s_wait_loadcnt 0x0
	global_inv scope:SCOPE_SE
	s_load_b64 s[6:7], s[0:1], 0x68
	v_mbcnt_lo_u32_b32 v45, -1, 0
	v_add_nc_u32_e32 v1, v1, v38
	s_cmp_lg_u32 ttmp9, 0
	s_mov_b32 s3, -1
	s_delay_alu instid0(VALU_DEP_2)
	v_and_b32_e32 v46, 15, v45
	ds_load_2addr_b32 v[17:18], v1 offset1:1
	s_wait_loadcnt_dscnt 0x0
	s_barrier_signal -1
	s_barrier_wait -1
	global_inv scope:SCOPE_SE
	v_and_b32_e32 v41, 0xff, v17
	v_bfe_u32 v40, v17, 8, 8
	v_bfe_u32 v39, v17, 16, 8
	v_lshrrev_b32_e32 v37, 24, v17
	v_and_b32_e32 v44, 0xff, v18
	v_bfe_u32 v43, v18, 8, 8
	v_bfe_u32 v42, v18, 16, 8
	v_add3_u32 v1, v40, v41, v39
	v_lshrrev_b32_e32 v36, 24, v18
	s_delay_alu instid0(VALU_DEP_2) | instskip(SKIP_3) | instid1(VALU_DEP_3)
	v_add_co_u32 v1, s2, v1, v37
	s_wait_alu 0xf1ff
	v_add_co_ci_u32_e64 v3, null, 0, 0, s2
	v_cmp_ne_u32_e64 s2, 0, v46
	v_add_co_u32 v1, vcc_lo, v1, v44
	s_wait_alu 0xfffd
	s_delay_alu instid0(VALU_DEP_3) | instskip(NEXT) | instid1(VALU_DEP_2)
	v_add_co_ci_u32_e64 v3, null, 0, v3, vcc_lo
	v_add_co_u32 v1, vcc_lo, v1, v43
	s_wait_alu 0xfffd
	s_delay_alu instid0(VALU_DEP_2) | instskip(NEXT) | instid1(VALU_DEP_2)
	v_add_co_ci_u32_e64 v3, null, 0, v3, vcc_lo
	v_add_co_u32 v1, vcc_lo, v1, v42
	s_wait_alu 0xfffd
	s_delay_alu instid0(VALU_DEP_2) | instskip(NEXT) | instid1(VALU_DEP_2)
	v_add_co_ci_u32_e64 v3, null, 0, v3, vcc_lo
	v_add_co_u32 v19, vcc_lo, v1, v36
	s_wait_alu 0xfffd
	s_delay_alu instid0(VALU_DEP_2)
	v_add_co_ci_u32_e64 v20, null, 0, v3, vcc_lo
	s_cbranch_scc0 .LBB986_85
; %bb.29:
	v_mov_b32_e32 v3, v19
	v_mov_b32_dpp v1, v19 row_shr:1 row_mask:0xf bank_mask:0xf
	v_mov_b32_dpp v6, v2 row_shr:1 row_mask:0xf bank_mask:0xf
	v_dual_mov_b32 v5, v19 :: v_dual_mov_b32 v4, v20
	s_and_saveexec_b32 s3, s2
; %bb.30:
	s_delay_alu instid0(VALU_DEP_3) | instskip(SKIP_2) | instid1(VALU_DEP_2)
	v_add_co_u32 v5, vcc_lo, v19, v1
	s_wait_alu 0xfffd
	v_add_co_ci_u32_e64 v2, null, 0, v20, vcc_lo
	v_add_co_u32 v1, vcc_lo, 0, v5
	s_wait_alu 0xfffd
	s_delay_alu instid0(VALU_DEP_2) | instskip(NEXT) | instid1(VALU_DEP_1)
	v_add_co_ci_u32_e64 v2, null, v6, v2, vcc_lo
	v_dual_mov_b32 v4, v2 :: v_dual_mov_b32 v3, v1
; %bb.31:
	s_wait_alu 0xfffe
	s_or_b32 exec_lo, exec_lo, s3
	v_mov_b32_dpp v1, v5 row_shr:2 row_mask:0xf bank_mask:0xf
	v_mov_b32_dpp v6, v2 row_shr:2 row_mask:0xf bank_mask:0xf
	s_mov_b32 s3, exec_lo
	v_cmpx_lt_u32_e32 1, v46
; %bb.32:
	s_delay_alu instid0(VALU_DEP_3) | instskip(SKIP_2) | instid1(VALU_DEP_2)
	v_add_co_u32 v5, vcc_lo, v3, v1
	s_wait_alu 0xfffd
	v_add_co_ci_u32_e64 v2, null, 0, v4, vcc_lo
	v_add_co_u32 v1, vcc_lo, 0, v5
	s_wait_alu 0xfffd
	s_delay_alu instid0(VALU_DEP_2) | instskip(NEXT) | instid1(VALU_DEP_1)
	v_add_co_ci_u32_e64 v2, null, v6, v2, vcc_lo
	v_dual_mov_b32 v4, v2 :: v_dual_mov_b32 v3, v1
; %bb.33:
	s_wait_alu 0xfffe
	s_or_b32 exec_lo, exec_lo, s3
	v_mov_b32_dpp v1, v5 row_shr:4 row_mask:0xf bank_mask:0xf
	v_mov_b32_dpp v6, v2 row_shr:4 row_mask:0xf bank_mask:0xf
	s_mov_b32 s3, exec_lo
	v_cmpx_lt_u32_e32 3, v46
; %bb.34:
	s_delay_alu instid0(VALU_DEP_3) | instskip(SKIP_2) | instid1(VALU_DEP_2)
	v_add_co_u32 v5, vcc_lo, v3, v1
	s_wait_alu 0xfffd
	v_add_co_ci_u32_e64 v2, null, 0, v4, vcc_lo
	v_add_co_u32 v1, vcc_lo, 0, v5
	s_wait_alu 0xfffd
	s_delay_alu instid0(VALU_DEP_2) | instskip(NEXT) | instid1(VALU_DEP_1)
	v_add_co_ci_u32_e64 v2, null, v6, v2, vcc_lo
	v_dual_mov_b32 v4, v2 :: v_dual_mov_b32 v3, v1
; %bb.35:
	s_wait_alu 0xfffe
	s_or_b32 exec_lo, exec_lo, s3
	v_mov_b32_dpp v6, v5 row_shr:8 row_mask:0xf bank_mask:0xf
	v_mov_b32_dpp v1, v2 row_shr:8 row_mask:0xf bank_mask:0xf
	s_mov_b32 s3, exec_lo
	v_cmpx_lt_u32_e32 7, v46
; %bb.36:
	s_delay_alu instid0(VALU_DEP_3) | instskip(SKIP_2) | instid1(VALU_DEP_2)
	v_add_co_u32 v5, vcc_lo, v3, v6
	s_wait_alu 0xfffd
	v_add_co_ci_u32_e64 v2, null, 0, v4, vcc_lo
	v_add_co_u32 v3, vcc_lo, 0, v5
	s_wait_alu 0xfffd
	s_delay_alu instid0(VALU_DEP_2) | instskip(NEXT) | instid1(VALU_DEP_1)
	v_add_co_ci_u32_e64 v4, null, v1, v2, vcc_lo
	v_mov_b32_e32 v2, v4
; %bb.37:
	s_wait_alu 0xfffe
	s_or_b32 exec_lo, exec_lo, s3
	ds_swizzle_b32 v1, v5 offset:swizzle(BROADCAST,32,15)
	ds_swizzle_b32 v6, v2 offset:swizzle(BROADCAST,32,15)
	v_and_b32_e32 v7, 16, v45
	s_mov_b32 s3, exec_lo
	s_delay_alu instid0(VALU_DEP_1)
	v_cmpx_ne_u32_e32 0, v7
	s_cbranch_execz .LBB986_39
; %bb.38:
	s_wait_dscnt 0x1
	v_add_co_u32 v5, vcc_lo, v3, v1
	s_wait_alu 0xfffd
	v_add_co_ci_u32_e64 v2, null, 0, v4, vcc_lo
	s_delay_alu instid0(VALU_DEP_2) | instskip(SKIP_2) | instid1(VALU_DEP_2)
	v_add_co_u32 v1, vcc_lo, 0, v5
	s_wait_dscnt 0x0
	s_wait_alu 0xfffd
	v_add_co_ci_u32_e64 v2, null, v6, v2, vcc_lo
	s_delay_alu instid0(VALU_DEP_1)
	v_dual_mov_b32 v4, v2 :: v_dual_mov_b32 v3, v1
.LBB986_39:
	s_wait_alu 0xfffe
	s_or_b32 exec_lo, exec_lo, s3
	s_wait_dscnt 0x1
	v_and_b32_e32 v1, 0xe0, v0
	s_mov_b32 s3, exec_lo
	s_delay_alu instid0(VALU_DEP_1) | instskip(NEXT) | instid1(VALU_DEP_1)
	v_min_u32_e32 v1, 0xa0, v1
	v_or_b32_e32 v1, 31, v1
	s_delay_alu instid0(VALU_DEP_1)
	v_cmpx_eq_u32_e64 v0, v1
; %bb.40:
	v_lshlrev_b32_e32 v1, 3, v35
	ds_store_b64 v1, v[3:4]
; %bb.41:
	s_wait_alu 0xfffe
	s_or_b32 exec_lo, exec_lo, s3
	s_delay_alu instid0(SALU_CYCLE_1)
	s_mov_b32 s3, exec_lo
	s_wait_loadcnt_dscnt 0x0
	s_barrier_signal -1
	s_barrier_wait -1
	global_inv scope:SCOPE_SE
	v_cmpx_gt_u32_e32 6, v0
	s_cbranch_execz .LBB986_49
; %bb.42:
	ds_load_b64 v[3:4], v38
	v_and_b32_e32 v1, 7, v45
	s_mov_b32 s4, exec_lo
	s_wait_dscnt 0x0
	v_mov_b32_dpp v8, v3 row_shr:1 row_mask:0xf bank_mask:0xf
	v_mov_b32_dpp v7, v4 row_shr:1 row_mask:0xf bank_mask:0xf
	v_mov_b32_e32 v6, v3
	v_cmpx_ne_u32_e32 0, v1
; %bb.43:
	s_delay_alu instid0(VALU_DEP_4) | instskip(SKIP_2) | instid1(VALU_DEP_2)
	v_add_co_u32 v6, vcc_lo, v3, v8
	s_wait_alu 0xfffd
	v_add_co_ci_u32_e64 v4, null, 0, v4, vcc_lo
	v_add_co_u32 v3, vcc_lo, 0, v6
	s_wait_alu 0xfffd
	s_delay_alu instid0(VALU_DEP_2)
	v_add_co_ci_u32_e64 v4, null, v7, v4, vcc_lo
; %bb.44:
	s_wait_alu 0xfffe
	s_or_b32 exec_lo, exec_lo, s4
	v_mov_b32_dpp v8, v6 row_shr:2 row_mask:0xf bank_mask:0xf
	s_delay_alu instid0(VALU_DEP_2)
	v_mov_b32_dpp v7, v4 row_shr:2 row_mask:0xf bank_mask:0xf
	s_mov_b32 s4, exec_lo
	v_cmpx_lt_u32_e32 1, v1
; %bb.45:
	s_delay_alu instid0(VALU_DEP_3) | instskip(SKIP_2) | instid1(VALU_DEP_2)
	v_add_co_u32 v6, vcc_lo, v3, v8
	s_wait_alu 0xfffd
	v_add_co_ci_u32_e64 v4, null, 0, v4, vcc_lo
	v_add_co_u32 v3, vcc_lo, 0, v6
	s_wait_alu 0xfffd
	s_delay_alu instid0(VALU_DEP_2)
	v_add_co_ci_u32_e64 v4, null, v7, v4, vcc_lo
; %bb.46:
	s_wait_alu 0xfffe
	s_or_b32 exec_lo, exec_lo, s4
	v_mov_b32_dpp v7, v6 row_shr:4 row_mask:0xf bank_mask:0xf
	s_delay_alu instid0(VALU_DEP_2)
	v_mov_b32_dpp v6, v4 row_shr:4 row_mask:0xf bank_mask:0xf
	s_mov_b32 s4, exec_lo
	v_cmpx_lt_u32_e32 3, v1
; %bb.47:
	s_delay_alu instid0(VALU_DEP_3) | instskip(SKIP_2) | instid1(VALU_DEP_2)
	v_add_co_u32 v1, vcc_lo, v3, v7
	s_wait_alu 0xfffd
	v_add_co_ci_u32_e64 v4, null, 0, v4, vcc_lo
	v_add_co_u32 v3, vcc_lo, v1, 0
	s_wait_alu 0xfffd
	s_delay_alu instid0(VALU_DEP_2)
	v_add_co_ci_u32_e64 v4, null, v4, v6, vcc_lo
; %bb.48:
	s_wait_alu 0xfffe
	s_or_b32 exec_lo, exec_lo, s4
	ds_store_b64 v38, v[3:4]
.LBB986_49:
	s_wait_alu 0xfffe
	s_or_b32 exec_lo, exec_lo, s3
	s_delay_alu instid0(SALU_CYCLE_1)
	s_mov_b32 s4, exec_lo
	v_cmp_gt_u32_e32 vcc_lo, 32, v0
	s_wait_loadcnt_dscnt 0x0
	s_barrier_signal -1
	s_barrier_wait -1
	global_inv scope:SCOPE_SE
                                        ; implicit-def: $vgpr21_vgpr22
	v_cmpx_lt_u32_e32 31, v0
	s_cbranch_execz .LBB986_51
; %bb.50:
	v_lshl_add_u32 v1, v35, 3, -8
	ds_load_b64 v[21:22], v1
	s_wait_dscnt 0x0
	v_add_co_u32 v5, s3, v5, v21
	s_wait_alu 0xf1ff
	v_add_co_ci_u32_e64 v2, null, v2, v22, s3
.LBB986_51:
	s_wait_alu 0xfffe
	s_or_b32 exec_lo, exec_lo, s4
	v_sub_co_u32 v1, s3, v45, 1
	s_delay_alu instid0(VALU_DEP_1) | instskip(SKIP_1) | instid1(VALU_DEP_1)
	v_cmp_gt_i32_e64 s4, 0, v1
	s_wait_alu 0xf1ff
	v_cndmask_b32_e64 v1, v1, v45, s4
	s_delay_alu instid0(VALU_DEP_1)
	v_lshlrev_b32_e32 v1, 2, v1
	ds_bpermute_b32 v27, v1, v5
	ds_bpermute_b32 v28, v1, v2
	s_and_saveexec_b32 s4, vcc_lo
	s_cbranch_execz .LBB986_90
; %bb.52:
	v_mov_b32_e32 v4, 0
	ds_load_b64 v[1:2], v4 offset:40
	s_and_saveexec_b32 s5, s3
	s_cbranch_execz .LBB986_54
; %bb.53:
	s_add_co_i32 s12, ttmp9, 32
	s_mov_b32 s13, 0
	s_delay_alu instid0(SALU_CYCLE_1)
	s_lshl_b64 s[12:13], s[12:13], 4
	s_wait_kmcnt 0x0
	s_add_nc_u64 s[12:13], s[6:7], s[12:13]
	v_mov_b32_e32 v3, 1
	v_dual_mov_b32 v5, s12 :: v_dual_mov_b32 v6, s13
	s_wait_dscnt 0x0
	;;#ASMSTART
	global_store_b128 v[5:6], v[1:4] off scope:SCOPE_DEV	
s_wait_storecnt 0x0
	;;#ASMEND
.LBB986_54:
	s_wait_alu 0xfffe
	s_or_b32 exec_lo, exec_lo, s5
	v_xad_u32 v23, v45, -1, ttmp9
	s_mov_b32 s12, 0
	s_mov_b32 s5, exec_lo
	s_delay_alu instid0(VALU_DEP_1) | instskip(NEXT) | instid1(VALU_DEP_1)
	v_add_nc_u32_e32 v3, 32, v23
	v_lshlrev_b64_e32 v[3:4], 4, v[3:4]
	s_wait_kmcnt 0x0
	s_delay_alu instid0(VALU_DEP_1) | instskip(SKIP_1) | instid1(VALU_DEP_2)
	v_add_co_u32 v3, vcc_lo, s6, v3
	s_wait_alu 0xfffd
	v_add_co_ci_u32_e64 v4, null, s7, v4, vcc_lo
	;;#ASMSTART
	global_load_b128 v[5:8], v[3:4] off scope:SCOPE_DEV	
s_wait_loadcnt 0x0
	;;#ASMEND
	v_and_b32_e32 v8, 0xff, v7
	s_delay_alu instid0(VALU_DEP_1)
	v_cmpx_eq_u16_e32 0, v8
	s_cbranch_execz .LBB986_57
.LBB986_55:                             ; =>This Inner Loop Header: Depth=1
	;;#ASMSTART
	global_load_b128 v[5:8], v[3:4] off scope:SCOPE_DEV	
s_wait_loadcnt 0x0
	;;#ASMEND
	v_and_b32_e32 v8, 0xff, v7
	s_delay_alu instid0(VALU_DEP_1)
	v_cmp_ne_u16_e32 vcc_lo, 0, v8
	s_wait_alu 0xfffe
	s_or_b32 s12, vcc_lo, s12
	s_wait_alu 0xfffe
	s_and_not1_b32 exec_lo, exec_lo, s12
	s_cbranch_execnz .LBB986_55
; %bb.56:
	s_or_b32 exec_lo, exec_lo, s12
.LBB986_57:
	s_wait_alu 0xfffe
	s_or_b32 exec_lo, exec_lo, s5
	v_cmp_ne_u32_e32 vcc_lo, 31, v45
	v_and_b32_e32 v4, 0xff, v7
	v_lshlrev_b32_e64 v30, v45, -1
	s_mov_b32 s5, exec_lo
	s_wait_alu 0xfffd
	v_add_co_ci_u32_e64 v3, null, 0, v45, vcc_lo
	v_cmp_eq_u16_e32 vcc_lo, 2, v4
	s_delay_alu instid0(VALU_DEP_2)
	v_dual_mov_b32 v4, v5 :: v_dual_lshlrev_b32 v29, 2, v3
	s_wait_alu 0xfffd
	v_and_or_b32 v3, vcc_lo, v30, 0x80000000
	ds_bpermute_b32 v24, v29, v5
	ds_bpermute_b32 v8, v29, v6
	v_ctz_i32_b32_e32 v3, v3
	s_delay_alu instid0(VALU_DEP_1)
	v_cmpx_lt_u32_e64 v45, v3
	s_cbranch_execz .LBB986_59
; %bb.58:
	s_wait_dscnt 0x1
	v_add_co_u32 v4, vcc_lo, v5, v24
	s_wait_alu 0xfffd
	v_add_co_ci_u32_e64 v6, null, 0, v6, vcc_lo
	s_delay_alu instid0(VALU_DEP_2) | instskip(SKIP_2) | instid1(VALU_DEP_2)
	v_add_co_u32 v5, vcc_lo, 0, v4
	s_wait_dscnt 0x0
	s_wait_alu 0xfffd
	v_add_co_ci_u32_e64 v6, null, v8, v6, vcc_lo
.LBB986_59:
	s_wait_alu 0xfffe
	s_or_b32 exec_lo, exec_lo, s5
	v_cmp_gt_u32_e32 vcc_lo, 30, v45
	v_add_nc_u32_e32 v32, 2, v45
	s_mov_b32 s5, exec_lo
	s_wait_dscnt 0x0
	s_wait_alu 0xfffd
	v_cndmask_b32_e64 v8, 0, 2, vcc_lo
	s_delay_alu instid0(VALU_DEP_1)
	v_add_lshl_u32 v31, v8, v45, 2
	ds_bpermute_b32 v24, v31, v4
	ds_bpermute_b32 v8, v31, v6
	v_cmpx_le_u32_e64 v32, v3
	s_cbranch_execz .LBB986_61
; %bb.60:
	s_wait_dscnt 0x1
	v_add_co_u32 v4, vcc_lo, v5, v24
	s_wait_alu 0xfffd
	v_add_co_ci_u32_e64 v6, null, 0, v6, vcc_lo
	s_delay_alu instid0(VALU_DEP_2) | instskip(SKIP_2) | instid1(VALU_DEP_2)
	v_add_co_u32 v5, vcc_lo, 0, v4
	s_wait_dscnt 0x0
	s_wait_alu 0xfffd
	v_add_co_ci_u32_e64 v6, null, v8, v6, vcc_lo
.LBB986_61:
	s_wait_alu 0xfffe
	s_or_b32 exec_lo, exec_lo, s5
	v_cmp_gt_u32_e32 vcc_lo, 28, v45
	v_add_nc_u32_e32 v34, 4, v45
	s_mov_b32 s5, exec_lo
	s_wait_dscnt 0x0
	s_wait_alu 0xfffd
	v_cndmask_b32_e64 v8, 0, 4, vcc_lo
	s_delay_alu instid0(VALU_DEP_1)
	v_add_lshl_u32 v33, v8, v45, 2
	ds_bpermute_b32 v24, v33, v4
	ds_bpermute_b32 v8, v33, v6
	v_cmpx_le_u32_e64 v34, v3
	;; [unrolled: 25-line block ×3, first 2 shown]
	s_cbranch_execz .LBB986_65
; %bb.64:
	s_wait_dscnt 0x1
	v_add_co_u32 v4, vcc_lo, v5, v24
	s_wait_alu 0xfffd
	v_add_co_ci_u32_e64 v6, null, 0, v6, vcc_lo
	s_delay_alu instid0(VALU_DEP_2) | instskip(SKIP_2) | instid1(VALU_DEP_2)
	v_add_co_u32 v5, vcc_lo, 0, v4
	s_wait_dscnt 0x0
	s_wait_alu 0xfffd
	v_add_co_ci_u32_e64 v6, null, v8, v6, vcc_lo
.LBB986_65:
	s_wait_alu 0xfffe
	s_or_b32 exec_lo, exec_lo, s5
	v_lshl_or_b32 v49, v45, 2, 64
	v_add_nc_u32_e32 v50, 16, v45
	s_mov_b32 s5, exec_lo
	s_wait_dscnt 0x0
	ds_bpermute_b32 v8, v49, v4
	ds_bpermute_b32 v4, v49, v6
	v_cmpx_le_u32_e64 v50, v3
	s_cbranch_execz .LBB986_67
; %bb.66:
	s_wait_dscnt 0x1
	v_add_co_u32 v3, vcc_lo, v5, v8
	s_wait_alu 0xfffd
	v_add_co_ci_u32_e64 v6, null, 0, v6, vcc_lo
	s_delay_alu instid0(VALU_DEP_2) | instskip(SKIP_2) | instid1(VALU_DEP_2)
	v_add_co_u32 v5, vcc_lo, v3, 0
	s_wait_dscnt 0x0
	s_wait_alu 0xfffd
	v_add_co_ci_u32_e64 v6, null, v6, v4, vcc_lo
.LBB986_67:
	s_wait_alu 0xfffe
	s_or_b32 exec_lo, exec_lo, s5
	v_mov_b32_e32 v24, 0
	s_branch .LBB986_70
.LBB986_68:                             ;   in Loop: Header=BB986_70 Depth=1
	s_wait_alu 0xfffe
	s_or_b32 exec_lo, exec_lo, s5
	v_add_co_u32 v5, vcc_lo, v5, v3
	v_subrev_nc_u32_e32 v23, 32, v23
	s_wait_alu 0xfffd
	v_add_co_ci_u32_e64 v6, null, v6, v4, vcc_lo
	s_mov_b32 s5, 0
.LBB986_69:                             ;   in Loop: Header=BB986_70 Depth=1
	s_wait_alu 0xfffe
	s_and_b32 vcc_lo, exec_lo, s5
	s_wait_alu 0xfffe
	s_cbranch_vccnz .LBB986_86
.LBB986_70:                             ; =>This Loop Header: Depth=1
                                        ;     Child Loop BB986_73 Depth 2
	v_and_b32_e32 v3, 0xff, v7
	s_mov_b32 s5, -1
	s_delay_alu instid0(VALU_DEP_1)
	v_cmp_ne_u16_e32 vcc_lo, 2, v3
	s_wait_dscnt 0x0
	v_dual_mov_b32 v3, v5 :: v_dual_mov_b32 v4, v6
                                        ; implicit-def: $vgpr5_vgpr6
	s_cmp_lg_u32 vcc_lo, exec_lo
	s_cbranch_scc1 .LBB986_69
; %bb.71:                               ;   in Loop: Header=BB986_70 Depth=1
	v_lshlrev_b64_e32 v[5:6], 4, v[23:24]
	s_mov_b32 s5, exec_lo
	s_delay_alu instid0(VALU_DEP_1) | instskip(SKIP_1) | instid1(VALU_DEP_2)
	v_add_co_u32 v25, vcc_lo, s6, v5
	s_wait_alu 0xfffd
	v_add_co_ci_u32_e64 v26, null, s7, v6, vcc_lo
	;;#ASMSTART
	global_load_b128 v[5:8], v[25:26] off scope:SCOPE_DEV	
s_wait_loadcnt 0x0
	;;#ASMEND
	v_and_b32_e32 v8, 0xff, v7
	s_delay_alu instid0(VALU_DEP_1)
	v_cmpx_eq_u16_e32 0, v8
	s_cbranch_execz .LBB986_75
; %bb.72:                               ;   in Loop: Header=BB986_70 Depth=1
	s_mov_b32 s12, 0
.LBB986_73:                             ;   Parent Loop BB986_70 Depth=1
                                        ; =>  This Inner Loop Header: Depth=2
	;;#ASMSTART
	global_load_b128 v[5:8], v[25:26] off scope:SCOPE_DEV	
s_wait_loadcnt 0x0
	;;#ASMEND
	v_and_b32_e32 v8, 0xff, v7
	s_delay_alu instid0(VALU_DEP_1)
	v_cmp_ne_u16_e32 vcc_lo, 0, v8
	s_wait_alu 0xfffe
	s_or_b32 s12, vcc_lo, s12
	s_wait_alu 0xfffe
	s_and_not1_b32 exec_lo, exec_lo, s12
	s_cbranch_execnz .LBB986_73
; %bb.74:                               ;   in Loop: Header=BB986_70 Depth=1
	s_or_b32 exec_lo, exec_lo, s12
.LBB986_75:                             ;   in Loop: Header=BB986_70 Depth=1
	s_wait_alu 0xfffe
	s_or_b32 exec_lo, exec_lo, s5
	v_dual_mov_b32 v25, v5 :: v_dual_and_b32 v8, 0xff, v7
	ds_bpermute_b32 v51, v29, v5
	ds_bpermute_b32 v26, v29, v6
	s_mov_b32 s5, exec_lo
	v_cmp_eq_u16_e32 vcc_lo, 2, v8
	s_wait_alu 0xfffd
	v_and_or_b32 v8, vcc_lo, v30, 0x80000000
	s_delay_alu instid0(VALU_DEP_1) | instskip(NEXT) | instid1(VALU_DEP_1)
	v_ctz_i32_b32_e32 v8, v8
	v_cmpx_lt_u32_e64 v45, v8
	s_cbranch_execz .LBB986_77
; %bb.76:                               ;   in Loop: Header=BB986_70 Depth=1
	s_wait_dscnt 0x1
	v_add_co_u32 v25, vcc_lo, v5, v51
	s_wait_alu 0xfffd
	v_add_co_ci_u32_e64 v6, null, 0, v6, vcc_lo
	s_delay_alu instid0(VALU_DEP_2) | instskip(SKIP_2) | instid1(VALU_DEP_2)
	v_add_co_u32 v5, vcc_lo, 0, v25
	s_wait_dscnt 0x0
	s_wait_alu 0xfffd
	v_add_co_ci_u32_e64 v6, null, v26, v6, vcc_lo
.LBB986_77:                             ;   in Loop: Header=BB986_70 Depth=1
	s_wait_alu 0xfffe
	s_or_b32 exec_lo, exec_lo, s5
	s_wait_dscnt 0x1
	ds_bpermute_b32 v51, v31, v25
	s_wait_dscnt 0x1
	ds_bpermute_b32 v26, v31, v6
	s_mov_b32 s5, exec_lo
	v_cmpx_le_u32_e64 v32, v8
	s_cbranch_execz .LBB986_79
; %bb.78:                               ;   in Loop: Header=BB986_70 Depth=1
	s_wait_dscnt 0x1
	v_add_co_u32 v25, vcc_lo, v5, v51
	s_wait_alu 0xfffd
	v_add_co_ci_u32_e64 v6, null, 0, v6, vcc_lo
	s_delay_alu instid0(VALU_DEP_2) | instskip(SKIP_2) | instid1(VALU_DEP_2)
	v_add_co_u32 v5, vcc_lo, 0, v25
	s_wait_dscnt 0x0
	s_wait_alu 0xfffd
	v_add_co_ci_u32_e64 v6, null, v26, v6, vcc_lo
.LBB986_79:                             ;   in Loop: Header=BB986_70 Depth=1
	s_wait_alu 0xfffe
	s_or_b32 exec_lo, exec_lo, s5
	s_wait_dscnt 0x1
	ds_bpermute_b32 v51, v33, v25
	s_wait_dscnt 0x1
	ds_bpermute_b32 v26, v33, v6
	s_mov_b32 s5, exec_lo
	v_cmpx_le_u32_e64 v34, v8
	;; [unrolled: 20-line block ×3, first 2 shown]
	s_cbranch_execz .LBB986_83
; %bb.82:                               ;   in Loop: Header=BB986_70 Depth=1
	s_wait_dscnt 0x1
	v_add_co_u32 v25, vcc_lo, v5, v51
	s_wait_alu 0xfffd
	v_add_co_ci_u32_e64 v6, null, 0, v6, vcc_lo
	s_delay_alu instid0(VALU_DEP_2) | instskip(SKIP_2) | instid1(VALU_DEP_2)
	v_add_co_u32 v5, vcc_lo, 0, v25
	s_wait_dscnt 0x0
	s_wait_alu 0xfffd
	v_add_co_ci_u32_e64 v6, null, v26, v6, vcc_lo
.LBB986_83:                             ;   in Loop: Header=BB986_70 Depth=1
	s_wait_alu 0xfffe
	s_or_b32 exec_lo, exec_lo, s5
	s_wait_dscnt 0x0
	ds_bpermute_b32 v26, v49, v25
	ds_bpermute_b32 v25, v49, v6
	s_mov_b32 s5, exec_lo
	v_cmpx_le_u32_e64 v50, v8
	s_cbranch_execz .LBB986_68
; %bb.84:                               ;   in Loop: Header=BB986_70 Depth=1
	s_wait_dscnt 0x1
	v_add_co_u32 v5, vcc_lo, v5, v26
	s_wait_alu 0xfffd
	v_add_co_ci_u32_e64 v6, null, 0, v6, vcc_lo
	s_delay_alu instid0(VALU_DEP_2) | instskip(SKIP_2) | instid1(VALU_DEP_2)
	v_add_co_u32 v5, vcc_lo, v5, 0
	s_wait_dscnt 0x0
	s_wait_alu 0xfffd
	v_add_co_ci_u32_e64 v6, null, v6, v25, vcc_lo
	s_branch .LBB986_68
.LBB986_85:
                                        ; implicit-def: $vgpr21_vgpr22
                                        ; implicit-def: $vgpr6_vgpr7
                                        ; implicit-def: $vgpr23_vgpr24
                                        ; implicit-def: $vgpr25_vgpr26
                                        ; implicit-def: $vgpr27_vgpr28
                                        ; implicit-def: $vgpr29_vgpr30
                                        ; implicit-def: $vgpr31_vgpr32
                                        ; implicit-def: $vgpr33_vgpr34
                                        ; implicit-def: $vgpr4_vgpr5
	s_wait_alu 0xfffe
	s_and_b32 vcc_lo, exec_lo, s3
	s_wait_alu 0xfffe
	s_cbranch_vccnz .LBB986_91
	s_branch .LBB986_116
.LBB986_86:
	s_and_saveexec_b32 s5, s3
	s_cbranch_execz .LBB986_88
; %bb.87:
	s_add_co_i32 s12, ttmp9, 32
	s_mov_b32 s13, 0
	v_add_co_u32 v5, vcc_lo, v3, v1
	s_wait_alu 0xfffe
	s_lshl_b64 s[12:13], s[12:13], 4
	v_dual_mov_b32 v7, 2 :: v_dual_mov_b32 v8, 0
	s_wait_alu 0xfffe
	s_add_nc_u64 s[12:13], s[6:7], s[12:13]
	s_wait_alu 0xfffd
	v_add_co_ci_u32_e64 v6, null, v4, v2, vcc_lo
	s_wait_alu 0xfffe
	v_dual_mov_b32 v24, s13 :: v_dual_mov_b32 v23, s12
	;;#ASMSTART
	global_store_b128 v[23:24], v[5:8] off scope:SCOPE_DEV	
s_wait_storecnt 0x0
	;;#ASMEND
	ds_store_b128 v8, v[1:4] offset:6336
.LBB986_88:
	s_wait_alu 0xfffe
	s_or_b32 exec_lo, exec_lo, s5
	v_cmp_eq_u32_e32 vcc_lo, 0, v0
	s_and_b32 exec_lo, exec_lo, vcc_lo
; %bb.89:
	v_mov_b32_e32 v1, 0
	ds_store_b64 v1, v[3:4] offset:40
.LBB986_90:
	s_wait_alu 0xfffe
	s_or_b32 exec_lo, exec_lo, s4
	s_wait_dscnt 0x1
	v_cndmask_b32_e64 v4, v27, v21, s3
	v_cmp_ne_u32_e32 vcc_lo, 0, v0
	v_mov_b32_e32 v3, 0
	s_wait_loadcnt_dscnt 0x0
	s_barrier_signal -1
	s_barrier_wait -1
	global_inv scope:SCOPE_SE
	s_wait_alu 0xfffd
	v_cndmask_b32_e32 v4, 0, v4, vcc_lo
	ds_load_b64 v[1:2], v3 offset:40
	v_cndmask_b32_e64 v5, v28, v22, s3
	s_wait_loadcnt_dscnt 0x0
	s_barrier_signal -1
	s_barrier_wait -1
	global_inv scope:SCOPE_SE
	v_cndmask_b32_e32 v5, 0, v5, vcc_lo
	v_add_co_u32 v33, vcc_lo, v1, v4
	s_wait_alu 0xfffd
	s_delay_alu instid0(VALU_DEP_2) | instskip(SKIP_4) | instid1(VALU_DEP_2)
	v_add_co_ci_u32_e64 v34, null, v2, v5, vcc_lo
	ds_load_b128 v[2:5], v3 offset:6336
	v_add_co_u32 v31, vcc_lo, v33, v41
	s_wait_alu 0xfffd
	v_add_co_ci_u32_e64 v32, null, 0, v34, vcc_lo
	v_add_co_u32 v29, vcc_lo, v31, v40
	s_wait_alu 0xfffd
	s_delay_alu instid0(VALU_DEP_2) | instskip(NEXT) | instid1(VALU_DEP_2)
	v_add_co_ci_u32_e64 v30, null, 0, v32, vcc_lo
	v_add_co_u32 v27, vcc_lo, v29, v39
	s_wait_alu 0xfffd
	s_delay_alu instid0(VALU_DEP_2) | instskip(NEXT) | instid1(VALU_DEP_2)
	;; [unrolled: 4-line block ×5, first 2 shown]
	v_add_co_ci_u32_e64 v7, null, 0, v24, vcc_lo
	v_add_co_u32 v21, vcc_lo, v6, v42
	s_wait_alu 0xfffd
	s_delay_alu instid0(VALU_DEP_2)
	v_add_co_ci_u32_e64 v22, null, 0, v7, vcc_lo
	s_branch .LBB986_116
.LBB986_91:
	s_wait_dscnt 0x0
	v_dual_mov_b32 v2, 0 :: v_dual_mov_b32 v3, v19
	v_mov_b32_dpp v4, v19 row_shr:1 row_mask:0xf bank_mask:0xf
	s_delay_alu instid0(VALU_DEP_2)
	v_mov_b32_dpp v1, v2 row_shr:1 row_mask:0xf bank_mask:0xf
	s_and_saveexec_b32 s3, s2
; %bb.92:
	s_delay_alu instid0(VALU_DEP_2) | instskip(SKIP_2) | instid1(VALU_DEP_2)
	v_add_co_u32 v3, vcc_lo, v19, v4
	s_wait_alu 0xfffd
	v_add_co_ci_u32_e64 v2, null, 0, v20, vcc_lo
	v_add_co_u32 v19, vcc_lo, 0, v3
	s_wait_alu 0xfffd
	s_delay_alu instid0(VALU_DEP_2) | instskip(NEXT) | instid1(VALU_DEP_1)
	v_add_co_ci_u32_e64 v20, null, v1, v2, vcc_lo
	v_mov_b32_e32 v2, v20
; %bb.93:
	s_wait_alu 0xfffe
	s_or_b32 exec_lo, exec_lo, s3
	v_mov_b32_dpp v1, v3 row_shr:2 row_mask:0xf bank_mask:0xf
	s_delay_alu instid0(VALU_DEP_2)
	v_mov_b32_dpp v4, v2 row_shr:2 row_mask:0xf bank_mask:0xf
	s_mov_b32 s2, exec_lo
	v_cmpx_lt_u32_e32 1, v46
; %bb.94:
	s_delay_alu instid0(VALU_DEP_3) | instskip(SKIP_2) | instid1(VALU_DEP_2)
	v_add_co_u32 v3, vcc_lo, v19, v1
	s_wait_alu 0xfffd
	v_add_co_ci_u32_e64 v2, null, 0, v20, vcc_lo
	v_add_co_u32 v1, vcc_lo, 0, v3
	s_wait_alu 0xfffd
	s_delay_alu instid0(VALU_DEP_2) | instskip(NEXT) | instid1(VALU_DEP_1)
	v_add_co_ci_u32_e64 v2, null, v4, v2, vcc_lo
	v_dual_mov_b32 v20, v2 :: v_dual_mov_b32 v19, v1
; %bb.95:
	s_wait_alu 0xfffe
	s_or_b32 exec_lo, exec_lo, s2
	v_mov_b32_dpp v1, v3 row_shr:4 row_mask:0xf bank_mask:0xf
	v_mov_b32_dpp v4, v2 row_shr:4 row_mask:0xf bank_mask:0xf
	s_mov_b32 s2, exec_lo
	v_cmpx_lt_u32_e32 3, v46
; %bb.96:
	s_delay_alu instid0(VALU_DEP_3) | instskip(SKIP_2) | instid1(VALU_DEP_2)
	v_add_co_u32 v3, vcc_lo, v19, v1
	s_wait_alu 0xfffd
	v_add_co_ci_u32_e64 v2, null, 0, v20, vcc_lo
	v_add_co_u32 v1, vcc_lo, 0, v3
	s_wait_alu 0xfffd
	s_delay_alu instid0(VALU_DEP_2) | instskip(NEXT) | instid1(VALU_DEP_1)
	v_add_co_ci_u32_e64 v2, null, v4, v2, vcc_lo
	v_dual_mov_b32 v20, v2 :: v_dual_mov_b32 v19, v1
; %bb.97:
	s_wait_alu 0xfffe
	s_or_b32 exec_lo, exec_lo, s2
	v_mov_b32_dpp v4, v3 row_shr:8 row_mask:0xf bank_mask:0xf
	v_mov_b32_dpp v1, v2 row_shr:8 row_mask:0xf bank_mask:0xf
	s_mov_b32 s2, exec_lo
	v_cmpx_lt_u32_e32 7, v46
; %bb.98:
	s_delay_alu instid0(VALU_DEP_3) | instskip(SKIP_2) | instid1(VALU_DEP_2)
	v_add_co_u32 v3, vcc_lo, v19, v4
	s_wait_alu 0xfffd
	v_add_co_ci_u32_e64 v2, null, 0, v20, vcc_lo
	v_add_co_u32 v19, vcc_lo, 0, v3
	s_wait_alu 0xfffd
	s_delay_alu instid0(VALU_DEP_2) | instskip(NEXT) | instid1(VALU_DEP_1)
	v_add_co_ci_u32_e64 v20, null, v1, v2, vcc_lo
	v_mov_b32_e32 v2, v20
; %bb.99:
	s_wait_alu 0xfffe
	s_or_b32 exec_lo, exec_lo, s2
	ds_swizzle_b32 v3, v3 offset:swizzle(BROADCAST,32,15)
	ds_swizzle_b32 v1, v2 offset:swizzle(BROADCAST,32,15)
	v_and_b32_e32 v2, 16, v45
	s_mov_b32 s2, exec_lo
	s_delay_alu instid0(VALU_DEP_1)
	v_cmpx_ne_u32_e32 0, v2
	s_cbranch_execz .LBB986_101
; %bb.100:
	s_wait_dscnt 0x1
	v_add_co_u32 v2, vcc_lo, v19, v3
	s_wait_alu 0xfffd
	v_add_co_ci_u32_e64 v3, null, 0, v20, vcc_lo
	s_delay_alu instid0(VALU_DEP_2) | instskip(SKIP_2) | instid1(VALU_DEP_2)
	v_add_co_u32 v19, vcc_lo, v2, 0
	s_wait_dscnt 0x0
	s_wait_alu 0xfffd
	v_add_co_ci_u32_e64 v20, null, v3, v1, vcc_lo
.LBB986_101:
	s_wait_alu 0xfffe
	s_or_b32 exec_lo, exec_lo, s2
	s_wait_dscnt 0x0
	v_and_b32_e32 v1, 0xe0, v0
	s_mov_b32 s2, exec_lo
	s_delay_alu instid0(VALU_DEP_1) | instskip(NEXT) | instid1(VALU_DEP_1)
	v_min_u32_e32 v1, 0xa0, v1
	v_or_b32_e32 v1, 31, v1
	s_delay_alu instid0(VALU_DEP_1)
	v_cmpx_eq_u32_e64 v0, v1
; %bb.102:
	v_lshlrev_b32_e32 v1, 3, v35
	ds_store_b64 v1, v[19:20]
; %bb.103:
	s_wait_alu 0xfffe
	s_or_b32 exec_lo, exec_lo, s2
	s_delay_alu instid0(SALU_CYCLE_1)
	s_mov_b32 s2, exec_lo
	s_wait_loadcnt_dscnt 0x0
	s_barrier_signal -1
	s_barrier_wait -1
	global_inv scope:SCOPE_SE
	v_cmpx_gt_u32_e32 6, v0
	s_cbranch_execz .LBB986_111
; %bb.104:
	ds_load_b64 v[1:2], v38
	v_and_b32_e32 v3, 7, v45
	s_mov_b32 s3, exec_lo
	s_wait_dscnt 0x0
	v_mov_b32_dpp v6, v1 row_shr:1 row_mask:0xf bank_mask:0xf
	v_mov_b32_dpp v5, v2 row_shr:1 row_mask:0xf bank_mask:0xf
	v_mov_b32_e32 v4, v1
	v_cmpx_ne_u32_e32 0, v3
; %bb.105:
	s_delay_alu instid0(VALU_DEP_4) | instskip(SKIP_2) | instid1(VALU_DEP_2)
	v_add_co_u32 v4, vcc_lo, v1, v6
	s_wait_alu 0xfffd
	v_add_co_ci_u32_e64 v2, null, 0, v2, vcc_lo
	v_add_co_u32 v1, vcc_lo, 0, v4
	s_wait_alu 0xfffd
	s_delay_alu instid0(VALU_DEP_2)
	v_add_co_ci_u32_e64 v2, null, v5, v2, vcc_lo
; %bb.106:
	s_wait_alu 0xfffe
	s_or_b32 exec_lo, exec_lo, s3
	v_mov_b32_dpp v6, v4 row_shr:2 row_mask:0xf bank_mask:0xf
	s_delay_alu instid0(VALU_DEP_2)
	v_mov_b32_dpp v5, v2 row_shr:2 row_mask:0xf bank_mask:0xf
	s_mov_b32 s3, exec_lo
	v_cmpx_lt_u32_e32 1, v3
; %bb.107:
	s_delay_alu instid0(VALU_DEP_3) | instskip(SKIP_2) | instid1(VALU_DEP_2)
	v_add_co_u32 v4, vcc_lo, v1, v6
	s_wait_alu 0xfffd
	v_add_co_ci_u32_e64 v2, null, 0, v2, vcc_lo
	v_add_co_u32 v1, vcc_lo, 0, v4
	s_wait_alu 0xfffd
	s_delay_alu instid0(VALU_DEP_2)
	v_add_co_ci_u32_e64 v2, null, v5, v2, vcc_lo
; %bb.108:
	s_wait_alu 0xfffe
	s_or_b32 exec_lo, exec_lo, s3
	v_mov_b32_dpp v5, v4 row_shr:4 row_mask:0xf bank_mask:0xf
	s_delay_alu instid0(VALU_DEP_2)
	v_mov_b32_dpp v4, v2 row_shr:4 row_mask:0xf bank_mask:0xf
	s_mov_b32 s3, exec_lo
	v_cmpx_lt_u32_e32 3, v3
; %bb.109:
	s_delay_alu instid0(VALU_DEP_3) | instskip(SKIP_2) | instid1(VALU_DEP_2)
	v_add_co_u32 v1, vcc_lo, v1, v5
	s_wait_alu 0xfffd
	v_add_co_ci_u32_e64 v2, null, 0, v2, vcc_lo
	v_add_co_u32 v1, vcc_lo, v1, 0
	s_wait_alu 0xfffd
	s_delay_alu instid0(VALU_DEP_2)
	v_add_co_ci_u32_e64 v2, null, v2, v4, vcc_lo
; %bb.110:
	s_wait_alu 0xfffe
	s_or_b32 exec_lo, exec_lo, s3
	ds_store_b64 v38, v[1:2]
.LBB986_111:
	s_wait_alu 0xfffe
	s_or_b32 exec_lo, exec_lo, s2
	v_mov_b32_e32 v6, 0
	v_mov_b32_e32 v7, 0
	s_mov_b32 s2, exec_lo
	s_wait_loadcnt_dscnt 0x0
	s_barrier_signal -1
	s_barrier_wait -1
	global_inv scope:SCOPE_SE
	v_cmpx_lt_u32_e32 31, v0
; %bb.112:
	v_lshl_add_u32 v1, v35, 3, -8
	ds_load_b64 v[6:7], v1
; %bb.113:
	s_wait_alu 0xfffe
	s_or_b32 exec_lo, exec_lo, s2
	v_sub_co_u32 v1, vcc_lo, v45, 1
	v_mov_b32_e32 v5, 0
	s_delay_alu instid0(VALU_DEP_2) | instskip(SKIP_1) | instid1(VALU_DEP_1)
	v_cmp_gt_i32_e64 s2, 0, v1
	s_wait_alu 0xf1ff
	v_cndmask_b32_e64 v1, v1, v45, s2
	s_delay_alu instid0(VALU_DEP_1)
	v_lshlrev_b32_e32 v2, 2, v1
	s_wait_dscnt 0x0
	v_add_co_u32 v1, s2, v6, v19
	s_wait_alu 0xf1ff
	v_add_co_ci_u32_e64 v3, null, v7, v20, s2
	v_cmp_eq_u32_e64 s2, 0, v0
	ds_bpermute_b32 v1, v2, v1
	ds_bpermute_b32 v8, v2, v3
	ds_load_b64 v[2:3], v5 offset:40
	s_and_saveexec_b32 s3, s2
	s_cbranch_execz .LBB986_115
; %bb.114:
	s_wait_kmcnt 0x0
	s_add_nc_u64 s[4:5], s[6:7], 0x200
	v_mov_b32_e32 v4, 2
	s_wait_alu 0xfffe
	v_dual_mov_b32 v20, s5 :: v_dual_mov_b32 v19, s4
	s_wait_dscnt 0x0
	;;#ASMSTART
	global_store_b128 v[19:20], v[2:5] off scope:SCOPE_DEV	
s_wait_storecnt 0x0
	;;#ASMEND
.LBB986_115:
	s_wait_alu 0xfffe
	s_or_b32 exec_lo, exec_lo, s3
	s_wait_dscnt 0x1
	s_wait_alu 0xfffd
	v_dual_cndmask_b32 v1, v1, v6 :: v_dual_cndmask_b32 v4, v8, v7
	s_wait_loadcnt_dscnt 0x0
	s_barrier_signal -1
	s_barrier_wait -1
	s_delay_alu instid0(VALU_DEP_1)
	v_cndmask_b32_e64 v33, v1, 0, s2
	v_cndmask_b32_e64 v34, v4, 0, s2
	v_mov_b32_e32 v4, 0
	v_mov_b32_e32 v5, 0
	global_inv scope:SCOPE_SE
	v_add_co_u32 v31, vcc_lo, v33, v41
	s_wait_alu 0xfffd
	v_add_co_ci_u32_e64 v32, null, 0, v34, vcc_lo
	s_delay_alu instid0(VALU_DEP_2) | instskip(SKIP_1) | instid1(VALU_DEP_2)
	v_add_co_u32 v29, vcc_lo, v31, v40
	s_wait_alu 0xfffd
	v_add_co_ci_u32_e64 v30, null, 0, v32, vcc_lo
	s_delay_alu instid0(VALU_DEP_2) | instskip(SKIP_1) | instid1(VALU_DEP_2)
	;; [unrolled: 4-line block ×6, first 2 shown]
	v_add_co_u32 v21, vcc_lo, v6, v42
	s_wait_alu 0xfffd
	v_add_co_ci_u32_e64 v22, null, 0, v7, vcc_lo
.LBB986_116:
	s_load_b64 s[2:3], s[0:1], 0x30
	v_lshrrev_b32_e32 v38, 8, v17
	v_lshrrev_b32_e32 v35, 16, v17
	v_and_b32_e32 v17, 1, v17
	s_wait_dscnt 0x0
	v_cmp_gt_u64_e32 vcc_lo, 0xc1, v[2:3]
	v_lshrrev_b32_e32 v8, 8, v18
	v_lshrrev_b32_e32 v1, 16, v18
	s_mov_b32 s1, -1
	v_cmp_eq_u32_e64 s0, 1, v17
	s_cbranch_vccnz .LBB986_120
; %bb.117:
	s_wait_alu 0xfffe
	s_and_b32 vcc_lo, exec_lo, s1
	s_wait_alu 0xfffe
	s_cbranch_vccnz .LBB986_137
.LBB986_118:
	v_cmp_eq_u32_e32 vcc_lo, 0, v0
	s_and_b32 s0, vcc_lo, s16
	s_wait_alu 0xfffe
	s_and_saveexec_b32 s1, s0
	s_cbranch_execnz .LBB986_157
.LBB986_119:
	s_endpgm
.LBB986_120:
	v_add_co_u32 v19, vcc_lo, v4, v2
	s_wait_alu 0xfffd
	v_add_co_ci_u32_e64 v20, null, v5, v3, vcc_lo
	s_lshl_b64 s[4:5], s[10:11], 2
	s_wait_kmcnt 0x0
	s_wait_alu 0xfffe
	s_add_nc_u64 s[4:5], s[2:3], s[4:5]
	v_cmp_lt_u64_e32 vcc_lo, v[33:34], v[19:20]
	s_or_b32 s1, s17, vcc_lo
	s_wait_alu 0xfffe
	s_and_b32 s1, s1, s0
	s_wait_alu 0xfffe
	s_and_saveexec_b32 s0, s1
	s_cbranch_execz .LBB986_122
; %bb.121:
	v_lshlrev_b64_e32 v[39:40], 2, v[33:34]
	s_delay_alu instid0(VALU_DEP_1) | instskip(SKIP_1) | instid1(VALU_DEP_2)
	v_add_co_u32 v39, vcc_lo, s4, v39
	s_wait_alu 0xfffd
	v_add_co_ci_u32_e64 v40, null, s5, v40, vcc_lo
	global_store_b32 v[39:40], v15, off
.LBB986_122:
	s_wait_alu 0xfffe
	s_or_b32 exec_lo, exec_lo, s0
	v_and_b32_e32 v34, 1, v38
	v_cmp_lt_u64_e32 vcc_lo, v[31:32], v[19:20]
	s_delay_alu instid0(VALU_DEP_2)
	v_cmp_eq_u32_e64 s0, 1, v34
	s_or_b32 s1, s17, vcc_lo
	s_wait_alu 0xfffe
	s_and_b32 s1, s1, s0
	s_wait_alu 0xfffe
	s_and_saveexec_b32 s0, s1
	s_cbranch_execz .LBB986_124
; %bb.123:
	v_lshlrev_b64_e32 v[39:40], 2, v[31:32]
	s_delay_alu instid0(VALU_DEP_1) | instskip(SKIP_1) | instid1(VALU_DEP_2)
	v_add_co_u32 v39, vcc_lo, s4, v39
	s_wait_alu 0xfffd
	v_add_co_ci_u32_e64 v40, null, s5, v40, vcc_lo
	global_store_b32 v[39:40], v16, off
.LBB986_124:
	s_wait_alu 0xfffe
	s_or_b32 exec_lo, exec_lo, s0
	v_and_b32_e32 v32, 1, v35
	v_cmp_lt_u64_e32 vcc_lo, v[29:30], v[19:20]
	s_delay_alu instid0(VALU_DEP_2)
	v_cmp_eq_u32_e64 s0, 1, v32
	;; [unrolled: 20-line block ×7, first 2 shown]
	s_or_b32 s1, s17, vcc_lo
	s_wait_alu 0xfffe
	s_and_b32 s1, s1, s0
	s_wait_alu 0xfffe
	s_and_saveexec_b32 s0, s1
	s_cbranch_execz .LBB986_136
; %bb.135:
	v_lshlrev_b64_e32 v[19:20], 2, v[21:22]
	s_delay_alu instid0(VALU_DEP_1) | instskip(SKIP_1) | instid1(VALU_DEP_2)
	v_add_co_u32 v19, vcc_lo, s4, v19
	s_wait_alu 0xfffd
	v_add_co_ci_u32_e64 v20, null, s5, v20, vcc_lo
	global_store_b32 v[19:20], v10, off
.LBB986_136:
	s_wait_alu 0xfffe
	s_or_b32 exec_lo, exec_lo, s0
	s_branch .LBB986_118
.LBB986_137:
	s_mov_b32 s0, exec_lo
	v_cmpx_eq_u32_e32 1, v17
; %bb.138:
	v_sub_nc_u32_e32 v7, v33, v4
	s_delay_alu instid0(VALU_DEP_1)
	v_lshlrev_b32_e32 v7, 2, v7
	ds_store_b32 v7, v15
; %bb.139:
	s_wait_alu 0xfffe
	s_or_b32 exec_lo, exec_lo, s0
	v_and_b32_e32 v7, 1, v38
	s_mov_b32 s0, exec_lo
	s_delay_alu instid0(VALU_DEP_1)
	v_cmpx_eq_u32_e32 1, v7
; %bb.140:
	v_sub_nc_u32_e32 v7, v31, v4
	s_delay_alu instid0(VALU_DEP_1)
	v_lshlrev_b32_e32 v7, 2, v7
	ds_store_b32 v7, v16
; %bb.141:
	s_wait_alu 0xfffe
	s_or_b32 exec_lo, exec_lo, s0
	v_and_b32_e32 v7, 1, v35
	s_mov_b32 s0, exec_lo
	s_delay_alu instid0(VALU_DEP_1)
	;; [unrolled: 12-line block ×7, first 2 shown]
	v_cmpx_eq_u32_e32 1, v1
; %bb.152:
	v_sub_nc_u32_e32 v1, v21, v4
	s_delay_alu instid0(VALU_DEP_1)
	v_lshlrev_b32_e32 v1, 2, v1
	ds_store_b32 v1, v10
; %bb.153:
	s_wait_alu 0xfffe
	s_or_b32 exec_lo, exec_lo, s0
	v_mov_b32_e32 v7, 0
	s_mov_b32 s1, exec_lo
	s_wait_storecnt 0x0
	s_wait_loadcnt_dscnt 0x0
	s_barrier_signal -1
	s_barrier_wait -1
	v_mov_b32_e32 v1, v7
	global_inv scope:SCOPE_SE
	v_cmpx_gt_u64_e64 v[2:3], v[0:1]
	s_cbranch_execz .LBB986_156
; %bb.154:
	v_lshlrev_b64_e32 v[8:9], 2, v[4:5]
	s_lshl_b64 s[4:5], s[10:11], 2
	v_add_nc_u32_e32 v6, 0xc0, v0
	s_wait_kmcnt 0x0
	s_wait_alu 0xfffe
	s_add_nc_u64 s[2:3], s[2:3], s[4:5]
	s_wait_alu 0xfffe
	v_add_co_u32 v10, vcc_lo, s2, v8
	s_wait_alu 0xfffd
	v_add_co_ci_u32_e64 v11, null, s3, v9, vcc_lo
	v_dual_mov_b32 v9, v1 :: v_dual_mov_b32 v8, v0
	s_mov_b32 s2, 0
.LBB986_155:                            ; =>This Inner Loop Header: Depth=1
	s_delay_alu instid0(VALU_DEP_1) | instskip(NEXT) | instid1(VALU_DEP_2)
	v_lshlrev_b32_e32 v1, 2, v8
	v_lshlrev_b64_e32 v[12:13], 2, v[8:9]
	v_dual_mov_b32 v9, v7 :: v_dual_mov_b32 v8, v6
	v_cmp_le_u64_e32 vcc_lo, v[2:3], v[6:7]
	ds_load_b32 v1, v1
	v_add_nc_u32_e32 v6, 0xc0, v6
	v_add_co_u32 v12, s0, v10, v12
	s_wait_alu 0xf1ff
	v_add_co_ci_u32_e64 v13, null, v11, v13, s0
	s_wait_alu 0xfffe
	s_or_b32 s2, vcc_lo, s2
	s_wait_dscnt 0x0
	global_store_b32 v[12:13], v1, off
	s_wait_alu 0xfffe
	s_and_not1_b32 exec_lo, exec_lo, s2
	s_cbranch_execnz .LBB986_155
.LBB986_156:
	s_wait_alu 0xfffe
	s_or_b32 exec_lo, exec_lo, s1
	v_cmp_eq_u32_e32 vcc_lo, 0, v0
	s_and_b32 s0, vcc_lo, s16
	s_wait_alu 0xfffe
	s_and_saveexec_b32 s1, s0
	s_cbranch_execz .LBB986_119
.LBB986_157:
	v_add_co_u32 v0, vcc_lo, v4, v2
	s_wait_alu 0xfffd
	v_add_co_ci_u32_e64 v1, null, v5, v3, vcc_lo
	v_mov_b32_e32 v2, 0
	s_delay_alu instid0(VALU_DEP_3) | instskip(SKIP_1) | instid1(VALU_DEP_3)
	v_add_co_u32 v0, vcc_lo, v0, s10
	s_wait_alu 0xfffd
	v_add_co_ci_u32_e64 v1, null, s11, v1, vcc_lo
	global_store_b64 v2, v[0:1], s[8:9]
	s_endpgm
.LBB986_158:
	v_add_co_u32 v11, s3, s6, v23
	s_wait_alu 0xf1ff
	v_add_co_ci_u32_e64 v12, null, s7, 0, s3
	flat_load_b32 v2, v[11:12] offset:768
	s_wait_alu 0xfffe
	s_or_b32 exec_lo, exec_lo, s2
	s_delay_alu instid0(SALU_CYCLE_1)
	s_mov_b32 s2, exec_lo
	v_cmpx_gt_u32_e64 s18, v22
	s_cbranch_execz .LBB986_7
.LBB986_159:
	v_add_co_u32 v11, s3, s6, v23
	s_wait_alu 0xf1ff
	v_add_co_ci_u32_e64 v12, null, s7, 0, s3
	flat_load_b32 v3, v[11:12] offset:1536
	s_wait_alu 0xfffe
	s_or_b32 exec_lo, exec_lo, s2
	s_delay_alu instid0(SALU_CYCLE_1)
	s_mov_b32 s2, exec_lo
	v_cmpx_gt_u32_e64 s18, v21
	s_cbranch_execz .LBB986_8
.LBB986_160:
	v_add_co_u32 v11, s3, s6, v23
	s_wait_alu 0xf1ff
	v_add_co_ci_u32_e64 v12, null, s7, 0, s3
	flat_load_b32 v4, v[11:12] offset:2304
	s_wait_alu 0xfffe
	s_or_b32 exec_lo, exec_lo, s2
	s_delay_alu instid0(SALU_CYCLE_1)
	s_mov_b32 s2, exec_lo
	v_cmpx_gt_u32_e64 s18, v18
	s_cbranch_execz .LBB986_9
.LBB986_161:
	v_add_co_u32 v11, s3, s6, v23
	s_wait_alu 0xf1ff
	v_add_co_ci_u32_e64 v12, null, s7, 0, s3
	flat_load_b32 v5, v[11:12] offset:3072
	s_wait_alu 0xfffe
	s_or_b32 exec_lo, exec_lo, s2
	s_delay_alu instid0(SALU_CYCLE_1)
	s_mov_b32 s2, exec_lo
	v_cmpx_gt_u32_e64 s18, v20
	s_cbranch_execz .LBB986_10
.LBB986_162:
	v_add_co_u32 v11, s3, s6, v23
	s_wait_alu 0xf1ff
	v_add_co_ci_u32_e64 v12, null, s7, 0, s3
	flat_load_b32 v6, v[11:12] offset:3840
	s_wait_alu 0xfffe
	s_or_b32 exec_lo, exec_lo, s2
	s_delay_alu instid0(SALU_CYCLE_1)
	s_mov_b32 s2, exec_lo
	v_cmpx_gt_u32_e64 s18, v17
	s_cbranch_execz .LBB986_11
.LBB986_163:
	v_add_co_u32 v11, s3, s6, v23
	s_wait_alu 0xf1ff
	v_add_co_ci_u32_e64 v12, null, s7, 0, s3
	flat_load_b32 v7, v[11:12] offset:4608
	s_wait_alu 0xfffe
	s_or_b32 exec_lo, exec_lo, s2
	s_delay_alu instid0(SALU_CYCLE_1)
	s_mov_b32 s2, exec_lo
	v_cmpx_gt_u32_e64 s18, v19
	s_cbranch_execnz .LBB986_12
	s_branch .LBB986_13
.LBB986_164:
	global_load_b32 v6, v23, s[2:3] offset:768
	v_and_b32_e32 v7, 0xff, v2
	s_wait_loadcnt 0x0
	v_cmp_eq_u32_e32 vcc_lo, 0, v6
	s_wait_alu 0xfffd
	v_cndmask_b32_e64 v6, 0, 1, vcc_lo
	s_delay_alu instid0(VALU_DEP_1) | instskip(NEXT) | instid1(VALU_DEP_1)
	v_lshlrev_b16 v6, 8, v6
	v_or_b32_e32 v6, v7, v6
	s_delay_alu instid0(VALU_DEP_1) | instskip(NEXT) | instid1(VALU_DEP_1)
	v_and_b32_e32 v6, 0xffff, v6
	v_and_or_b32 v2, 0xffff0000, v2, v6
	s_wait_alu 0xfffe
	s_or_b32 exec_lo, exec_lo, s4
	s_delay_alu instid0(SALU_CYCLE_1)
	s_mov_b32 s4, exec_lo
	v_cmpx_gt_u32_e64 s18, v22
	s_cbranch_execz .LBB986_21
.LBB986_165:
	global_load_b32 v6, v23, s[2:3] offset:1536
	v_lshrrev_b32_e32 v7, 16, v2
	s_delay_alu instid0(VALU_DEP_1) | instskip(SKIP_4) | instid1(VALU_DEP_1)
	v_and_b32_e32 v7, 0xffffff00, v7
	s_wait_loadcnt 0x0
	v_cmp_eq_u32_e32 vcc_lo, 0, v6
	s_wait_alu 0xfffd
	v_cndmask_b32_e64 v6, 0, 1, vcc_lo
	v_or_b32_e32 v6, v6, v7
	s_delay_alu instid0(VALU_DEP_1) | instskip(NEXT) | instid1(VALU_DEP_1)
	v_lshlrev_b32_e32 v6, 16, v6
	v_and_or_b32 v2, 0xffff, v2, v6
	s_wait_alu 0xfffe
	s_or_b32 exec_lo, exec_lo, s4
	s_delay_alu instid0(SALU_CYCLE_1)
	s_mov_b32 s4, exec_lo
	v_cmpx_gt_u32_e64 s18, v21
	s_cbranch_execz .LBB986_22
.LBB986_166:
	global_load_b32 v6, v23, s[2:3] offset:2304
	v_lshrrev_b32_e32 v7, 16, v2
	s_delay_alu instid0(VALU_DEP_1) | instskip(SKIP_4) | instid1(VALU_DEP_1)
	v_and_b32_e32 v7, 0xff, v7
	s_wait_loadcnt 0x0
	v_cmp_eq_u32_e32 vcc_lo, 0, v6
	s_wait_alu 0xfffd
	v_cndmask_b32_e64 v6, 0, 1, vcc_lo
	v_lshlrev_b16 v6, 8, v6
	s_delay_alu instid0(VALU_DEP_1) | instskip(NEXT) | instid1(VALU_DEP_1)
	v_or_b32_e32 v6, v7, v6
	v_lshlrev_b32_e32 v6, 16, v6
	s_delay_alu instid0(VALU_DEP_1) | instskip(SKIP_2) | instid1(SALU_CYCLE_1)
	v_and_or_b32 v2, 0xffff, v2, v6
	s_wait_alu 0xfffe
	s_or_b32 exec_lo, exec_lo, s4
	s_mov_b32 s4, exec_lo
	v_cmpx_gt_u32_e64 s18, v18
	s_cbranch_execz .LBB986_23
.LBB986_167:
	global_load_b32 v6, v23, s[2:3] offset:3072
	v_and_b32_e32 v7, 0xffffff00, v3
	s_wait_loadcnt 0x0
	v_cmp_eq_u32_e32 vcc_lo, 0, v6
	s_wait_alu 0xfffd
	v_cndmask_b32_e64 v6, 0, 1, vcc_lo
	s_delay_alu instid0(VALU_DEP_1) | instskip(NEXT) | instid1(VALU_DEP_1)
	v_or_b32_e32 v6, v6, v7
	v_and_b32_e32 v6, 0xffff, v6
	s_delay_alu instid0(VALU_DEP_1) | instskip(SKIP_2) | instid1(SALU_CYCLE_1)
	v_and_or_b32 v3, 0xffff0000, v3, v6
	s_wait_alu 0xfffe
	s_or_b32 exec_lo, exec_lo, s4
	s_mov_b32 s4, exec_lo
	v_cmpx_gt_u32_e64 s18, v20
	s_cbranch_execz .LBB986_24
.LBB986_168:
	global_load_b32 v6, v23, s[2:3] offset:3840
	v_and_b32_e32 v7, 0xff, v3
	s_wait_loadcnt 0x0
	v_cmp_eq_u32_e32 vcc_lo, 0, v6
	s_wait_alu 0xfffd
	v_cndmask_b32_e64 v6, 0, 1, vcc_lo
	s_delay_alu instid0(VALU_DEP_1) | instskip(NEXT) | instid1(VALU_DEP_1)
	v_lshlrev_b16 v6, 8, v6
	v_or_b32_e32 v6, v7, v6
	s_delay_alu instid0(VALU_DEP_1) | instskip(NEXT) | instid1(VALU_DEP_1)
	v_and_b32_e32 v6, 0xffff, v6
	v_and_or_b32 v3, 0xffff0000, v3, v6
	s_wait_alu 0xfffe
	s_or_b32 exec_lo, exec_lo, s4
	s_delay_alu instid0(SALU_CYCLE_1)
	s_mov_b32 s4, exec_lo
	v_cmpx_gt_u32_e64 s18, v17
	s_cbranch_execz .LBB986_25
.LBB986_169:
	global_load_b32 v6, v23, s[2:3] offset:4608
	v_lshrrev_b32_e32 v7, 16, v3
	s_delay_alu instid0(VALU_DEP_1) | instskip(SKIP_4) | instid1(VALU_DEP_1)
	v_and_b32_e32 v7, 0xffffff00, v7
	s_wait_loadcnt 0x0
	v_cmp_eq_u32_e32 vcc_lo, 0, v6
	s_wait_alu 0xfffd
	v_cndmask_b32_e64 v6, 0, 1, vcc_lo
	v_or_b32_e32 v6, v6, v7
	s_delay_alu instid0(VALU_DEP_1) | instskip(NEXT) | instid1(VALU_DEP_1)
	v_lshlrev_b32_e32 v6, 16, v6
	v_and_or_b32 v3, 0xffff, v3, v6
	s_wait_alu 0xfffe
	s_or_b32 exec_lo, exec_lo, s4
	s_delay_alu instid0(SALU_CYCLE_1)
	s_mov_b32 s4, exec_lo
	v_cmpx_gt_u32_e64 s18, v19
	s_cbranch_execnz .LBB986_26
	s_branch .LBB986_27
	.section	.rodata,"a",@progbits
	.p2align	6, 0x0
	.amdhsa_kernel _ZN7rocprim17ROCPRIM_400000_NS6detail17trampoline_kernelINS0_14default_configENS1_25partition_config_selectorILNS1_17partition_subalgoE5EiNS0_10empty_typeEbEEZZNS1_14partition_implILS5_5ELb0ES3_mN6thrust23THRUST_200600_302600_NS6detail15normal_iteratorINSA_10device_ptrIiEEEEPS6_NSA_18transform_iteratorINSB_9not_fun_tINSA_8identityIiEEEESF_NSA_11use_defaultESM_EENS0_5tupleIJSF_S6_EEENSO_IJSG_SG_EEES6_PlJS6_EEE10hipError_tPvRmT3_T4_T5_T6_T7_T9_mT8_P12ihipStream_tbDpT10_ENKUlT_T0_E_clISt17integral_constantIbLb0EES1B_EEDaS16_S17_EUlS16_E_NS1_11comp_targetILNS1_3genE10ELNS1_11target_archE1200ELNS1_3gpuE4ELNS1_3repE0EEENS1_30default_config_static_selectorELNS0_4arch9wavefront6targetE0EEEvT1_
		.amdhsa_group_segment_fixed_size 6352
		.amdhsa_private_segment_fixed_size 0
		.amdhsa_kernarg_size 120
		.amdhsa_user_sgpr_count 2
		.amdhsa_user_sgpr_dispatch_ptr 0
		.amdhsa_user_sgpr_queue_ptr 0
		.amdhsa_user_sgpr_kernarg_segment_ptr 1
		.amdhsa_user_sgpr_dispatch_id 0
		.amdhsa_user_sgpr_private_segment_size 0
		.amdhsa_wavefront_size32 1
		.amdhsa_uses_dynamic_stack 0
		.amdhsa_enable_private_segment 0
		.amdhsa_system_sgpr_workgroup_id_x 1
		.amdhsa_system_sgpr_workgroup_id_y 0
		.amdhsa_system_sgpr_workgroup_id_z 0
		.amdhsa_system_sgpr_workgroup_info 0
		.amdhsa_system_vgpr_workitem_id 0
		.amdhsa_next_free_vgpr 52
		.amdhsa_next_free_sgpr 22
		.amdhsa_reserve_vcc 1
		.amdhsa_float_round_mode_32 0
		.amdhsa_float_round_mode_16_64 0
		.amdhsa_float_denorm_mode_32 3
		.amdhsa_float_denorm_mode_16_64 3
		.amdhsa_fp16_overflow 0
		.amdhsa_workgroup_processor_mode 1
		.amdhsa_memory_ordered 1
		.amdhsa_forward_progress 1
		.amdhsa_inst_pref_size 74
		.amdhsa_round_robin_scheduling 0
		.amdhsa_exception_fp_ieee_invalid_op 0
		.amdhsa_exception_fp_denorm_src 0
		.amdhsa_exception_fp_ieee_div_zero 0
		.amdhsa_exception_fp_ieee_overflow 0
		.amdhsa_exception_fp_ieee_underflow 0
		.amdhsa_exception_fp_ieee_inexact 0
		.amdhsa_exception_int_div_zero 0
	.end_amdhsa_kernel
	.section	.text._ZN7rocprim17ROCPRIM_400000_NS6detail17trampoline_kernelINS0_14default_configENS1_25partition_config_selectorILNS1_17partition_subalgoE5EiNS0_10empty_typeEbEEZZNS1_14partition_implILS5_5ELb0ES3_mN6thrust23THRUST_200600_302600_NS6detail15normal_iteratorINSA_10device_ptrIiEEEEPS6_NSA_18transform_iteratorINSB_9not_fun_tINSA_8identityIiEEEESF_NSA_11use_defaultESM_EENS0_5tupleIJSF_S6_EEENSO_IJSG_SG_EEES6_PlJS6_EEE10hipError_tPvRmT3_T4_T5_T6_T7_T9_mT8_P12ihipStream_tbDpT10_ENKUlT_T0_E_clISt17integral_constantIbLb0EES1B_EEDaS16_S17_EUlS16_E_NS1_11comp_targetILNS1_3genE10ELNS1_11target_archE1200ELNS1_3gpuE4ELNS1_3repE0EEENS1_30default_config_static_selectorELNS0_4arch9wavefront6targetE0EEEvT1_,"axG",@progbits,_ZN7rocprim17ROCPRIM_400000_NS6detail17trampoline_kernelINS0_14default_configENS1_25partition_config_selectorILNS1_17partition_subalgoE5EiNS0_10empty_typeEbEEZZNS1_14partition_implILS5_5ELb0ES3_mN6thrust23THRUST_200600_302600_NS6detail15normal_iteratorINSA_10device_ptrIiEEEEPS6_NSA_18transform_iteratorINSB_9not_fun_tINSA_8identityIiEEEESF_NSA_11use_defaultESM_EENS0_5tupleIJSF_S6_EEENSO_IJSG_SG_EEES6_PlJS6_EEE10hipError_tPvRmT3_T4_T5_T6_T7_T9_mT8_P12ihipStream_tbDpT10_ENKUlT_T0_E_clISt17integral_constantIbLb0EES1B_EEDaS16_S17_EUlS16_E_NS1_11comp_targetILNS1_3genE10ELNS1_11target_archE1200ELNS1_3gpuE4ELNS1_3repE0EEENS1_30default_config_static_selectorELNS0_4arch9wavefront6targetE0EEEvT1_,comdat
.Lfunc_end986:
	.size	_ZN7rocprim17ROCPRIM_400000_NS6detail17trampoline_kernelINS0_14default_configENS1_25partition_config_selectorILNS1_17partition_subalgoE5EiNS0_10empty_typeEbEEZZNS1_14partition_implILS5_5ELb0ES3_mN6thrust23THRUST_200600_302600_NS6detail15normal_iteratorINSA_10device_ptrIiEEEEPS6_NSA_18transform_iteratorINSB_9not_fun_tINSA_8identityIiEEEESF_NSA_11use_defaultESM_EENS0_5tupleIJSF_S6_EEENSO_IJSG_SG_EEES6_PlJS6_EEE10hipError_tPvRmT3_T4_T5_T6_T7_T9_mT8_P12ihipStream_tbDpT10_ENKUlT_T0_E_clISt17integral_constantIbLb0EES1B_EEDaS16_S17_EUlS16_E_NS1_11comp_targetILNS1_3genE10ELNS1_11target_archE1200ELNS1_3gpuE4ELNS1_3repE0EEENS1_30default_config_static_selectorELNS0_4arch9wavefront6targetE0EEEvT1_, .Lfunc_end986-_ZN7rocprim17ROCPRIM_400000_NS6detail17trampoline_kernelINS0_14default_configENS1_25partition_config_selectorILNS1_17partition_subalgoE5EiNS0_10empty_typeEbEEZZNS1_14partition_implILS5_5ELb0ES3_mN6thrust23THRUST_200600_302600_NS6detail15normal_iteratorINSA_10device_ptrIiEEEEPS6_NSA_18transform_iteratorINSB_9not_fun_tINSA_8identityIiEEEESF_NSA_11use_defaultESM_EENS0_5tupleIJSF_S6_EEENSO_IJSG_SG_EEES6_PlJS6_EEE10hipError_tPvRmT3_T4_T5_T6_T7_T9_mT8_P12ihipStream_tbDpT10_ENKUlT_T0_E_clISt17integral_constantIbLb0EES1B_EEDaS16_S17_EUlS16_E_NS1_11comp_targetILNS1_3genE10ELNS1_11target_archE1200ELNS1_3gpuE4ELNS1_3repE0EEENS1_30default_config_static_selectorELNS0_4arch9wavefront6targetE0EEEvT1_
                                        ; -- End function
	.set _ZN7rocprim17ROCPRIM_400000_NS6detail17trampoline_kernelINS0_14default_configENS1_25partition_config_selectorILNS1_17partition_subalgoE5EiNS0_10empty_typeEbEEZZNS1_14partition_implILS5_5ELb0ES3_mN6thrust23THRUST_200600_302600_NS6detail15normal_iteratorINSA_10device_ptrIiEEEEPS6_NSA_18transform_iteratorINSB_9not_fun_tINSA_8identityIiEEEESF_NSA_11use_defaultESM_EENS0_5tupleIJSF_S6_EEENSO_IJSG_SG_EEES6_PlJS6_EEE10hipError_tPvRmT3_T4_T5_T6_T7_T9_mT8_P12ihipStream_tbDpT10_ENKUlT_T0_E_clISt17integral_constantIbLb0EES1B_EEDaS16_S17_EUlS16_E_NS1_11comp_targetILNS1_3genE10ELNS1_11target_archE1200ELNS1_3gpuE4ELNS1_3repE0EEENS1_30default_config_static_selectorELNS0_4arch9wavefront6targetE0EEEvT1_.num_vgpr, 52
	.set _ZN7rocprim17ROCPRIM_400000_NS6detail17trampoline_kernelINS0_14default_configENS1_25partition_config_selectorILNS1_17partition_subalgoE5EiNS0_10empty_typeEbEEZZNS1_14partition_implILS5_5ELb0ES3_mN6thrust23THRUST_200600_302600_NS6detail15normal_iteratorINSA_10device_ptrIiEEEEPS6_NSA_18transform_iteratorINSB_9not_fun_tINSA_8identityIiEEEESF_NSA_11use_defaultESM_EENS0_5tupleIJSF_S6_EEENSO_IJSG_SG_EEES6_PlJS6_EEE10hipError_tPvRmT3_T4_T5_T6_T7_T9_mT8_P12ihipStream_tbDpT10_ENKUlT_T0_E_clISt17integral_constantIbLb0EES1B_EEDaS16_S17_EUlS16_E_NS1_11comp_targetILNS1_3genE10ELNS1_11target_archE1200ELNS1_3gpuE4ELNS1_3repE0EEENS1_30default_config_static_selectorELNS0_4arch9wavefront6targetE0EEEvT1_.num_agpr, 0
	.set _ZN7rocprim17ROCPRIM_400000_NS6detail17trampoline_kernelINS0_14default_configENS1_25partition_config_selectorILNS1_17partition_subalgoE5EiNS0_10empty_typeEbEEZZNS1_14partition_implILS5_5ELb0ES3_mN6thrust23THRUST_200600_302600_NS6detail15normal_iteratorINSA_10device_ptrIiEEEEPS6_NSA_18transform_iteratorINSB_9not_fun_tINSA_8identityIiEEEESF_NSA_11use_defaultESM_EENS0_5tupleIJSF_S6_EEENSO_IJSG_SG_EEES6_PlJS6_EEE10hipError_tPvRmT3_T4_T5_T6_T7_T9_mT8_P12ihipStream_tbDpT10_ENKUlT_T0_E_clISt17integral_constantIbLb0EES1B_EEDaS16_S17_EUlS16_E_NS1_11comp_targetILNS1_3genE10ELNS1_11target_archE1200ELNS1_3gpuE4ELNS1_3repE0EEENS1_30default_config_static_selectorELNS0_4arch9wavefront6targetE0EEEvT1_.numbered_sgpr, 22
	.set _ZN7rocprim17ROCPRIM_400000_NS6detail17trampoline_kernelINS0_14default_configENS1_25partition_config_selectorILNS1_17partition_subalgoE5EiNS0_10empty_typeEbEEZZNS1_14partition_implILS5_5ELb0ES3_mN6thrust23THRUST_200600_302600_NS6detail15normal_iteratorINSA_10device_ptrIiEEEEPS6_NSA_18transform_iteratorINSB_9not_fun_tINSA_8identityIiEEEESF_NSA_11use_defaultESM_EENS0_5tupleIJSF_S6_EEENSO_IJSG_SG_EEES6_PlJS6_EEE10hipError_tPvRmT3_T4_T5_T6_T7_T9_mT8_P12ihipStream_tbDpT10_ENKUlT_T0_E_clISt17integral_constantIbLb0EES1B_EEDaS16_S17_EUlS16_E_NS1_11comp_targetILNS1_3genE10ELNS1_11target_archE1200ELNS1_3gpuE4ELNS1_3repE0EEENS1_30default_config_static_selectorELNS0_4arch9wavefront6targetE0EEEvT1_.num_named_barrier, 0
	.set _ZN7rocprim17ROCPRIM_400000_NS6detail17trampoline_kernelINS0_14default_configENS1_25partition_config_selectorILNS1_17partition_subalgoE5EiNS0_10empty_typeEbEEZZNS1_14partition_implILS5_5ELb0ES3_mN6thrust23THRUST_200600_302600_NS6detail15normal_iteratorINSA_10device_ptrIiEEEEPS6_NSA_18transform_iteratorINSB_9not_fun_tINSA_8identityIiEEEESF_NSA_11use_defaultESM_EENS0_5tupleIJSF_S6_EEENSO_IJSG_SG_EEES6_PlJS6_EEE10hipError_tPvRmT3_T4_T5_T6_T7_T9_mT8_P12ihipStream_tbDpT10_ENKUlT_T0_E_clISt17integral_constantIbLb0EES1B_EEDaS16_S17_EUlS16_E_NS1_11comp_targetILNS1_3genE10ELNS1_11target_archE1200ELNS1_3gpuE4ELNS1_3repE0EEENS1_30default_config_static_selectorELNS0_4arch9wavefront6targetE0EEEvT1_.private_seg_size, 0
	.set _ZN7rocprim17ROCPRIM_400000_NS6detail17trampoline_kernelINS0_14default_configENS1_25partition_config_selectorILNS1_17partition_subalgoE5EiNS0_10empty_typeEbEEZZNS1_14partition_implILS5_5ELb0ES3_mN6thrust23THRUST_200600_302600_NS6detail15normal_iteratorINSA_10device_ptrIiEEEEPS6_NSA_18transform_iteratorINSB_9not_fun_tINSA_8identityIiEEEESF_NSA_11use_defaultESM_EENS0_5tupleIJSF_S6_EEENSO_IJSG_SG_EEES6_PlJS6_EEE10hipError_tPvRmT3_T4_T5_T6_T7_T9_mT8_P12ihipStream_tbDpT10_ENKUlT_T0_E_clISt17integral_constantIbLb0EES1B_EEDaS16_S17_EUlS16_E_NS1_11comp_targetILNS1_3genE10ELNS1_11target_archE1200ELNS1_3gpuE4ELNS1_3repE0EEENS1_30default_config_static_selectorELNS0_4arch9wavefront6targetE0EEEvT1_.uses_vcc, 1
	.set _ZN7rocprim17ROCPRIM_400000_NS6detail17trampoline_kernelINS0_14default_configENS1_25partition_config_selectorILNS1_17partition_subalgoE5EiNS0_10empty_typeEbEEZZNS1_14partition_implILS5_5ELb0ES3_mN6thrust23THRUST_200600_302600_NS6detail15normal_iteratorINSA_10device_ptrIiEEEEPS6_NSA_18transform_iteratorINSB_9not_fun_tINSA_8identityIiEEEESF_NSA_11use_defaultESM_EENS0_5tupleIJSF_S6_EEENSO_IJSG_SG_EEES6_PlJS6_EEE10hipError_tPvRmT3_T4_T5_T6_T7_T9_mT8_P12ihipStream_tbDpT10_ENKUlT_T0_E_clISt17integral_constantIbLb0EES1B_EEDaS16_S17_EUlS16_E_NS1_11comp_targetILNS1_3genE10ELNS1_11target_archE1200ELNS1_3gpuE4ELNS1_3repE0EEENS1_30default_config_static_selectorELNS0_4arch9wavefront6targetE0EEEvT1_.uses_flat_scratch, 1
	.set _ZN7rocprim17ROCPRIM_400000_NS6detail17trampoline_kernelINS0_14default_configENS1_25partition_config_selectorILNS1_17partition_subalgoE5EiNS0_10empty_typeEbEEZZNS1_14partition_implILS5_5ELb0ES3_mN6thrust23THRUST_200600_302600_NS6detail15normal_iteratorINSA_10device_ptrIiEEEEPS6_NSA_18transform_iteratorINSB_9not_fun_tINSA_8identityIiEEEESF_NSA_11use_defaultESM_EENS0_5tupleIJSF_S6_EEENSO_IJSG_SG_EEES6_PlJS6_EEE10hipError_tPvRmT3_T4_T5_T6_T7_T9_mT8_P12ihipStream_tbDpT10_ENKUlT_T0_E_clISt17integral_constantIbLb0EES1B_EEDaS16_S17_EUlS16_E_NS1_11comp_targetILNS1_3genE10ELNS1_11target_archE1200ELNS1_3gpuE4ELNS1_3repE0EEENS1_30default_config_static_selectorELNS0_4arch9wavefront6targetE0EEEvT1_.has_dyn_sized_stack, 0
	.set _ZN7rocprim17ROCPRIM_400000_NS6detail17trampoline_kernelINS0_14default_configENS1_25partition_config_selectorILNS1_17partition_subalgoE5EiNS0_10empty_typeEbEEZZNS1_14partition_implILS5_5ELb0ES3_mN6thrust23THRUST_200600_302600_NS6detail15normal_iteratorINSA_10device_ptrIiEEEEPS6_NSA_18transform_iteratorINSB_9not_fun_tINSA_8identityIiEEEESF_NSA_11use_defaultESM_EENS0_5tupleIJSF_S6_EEENSO_IJSG_SG_EEES6_PlJS6_EEE10hipError_tPvRmT3_T4_T5_T6_T7_T9_mT8_P12ihipStream_tbDpT10_ENKUlT_T0_E_clISt17integral_constantIbLb0EES1B_EEDaS16_S17_EUlS16_E_NS1_11comp_targetILNS1_3genE10ELNS1_11target_archE1200ELNS1_3gpuE4ELNS1_3repE0EEENS1_30default_config_static_selectorELNS0_4arch9wavefront6targetE0EEEvT1_.has_recursion, 0
	.set _ZN7rocprim17ROCPRIM_400000_NS6detail17trampoline_kernelINS0_14default_configENS1_25partition_config_selectorILNS1_17partition_subalgoE5EiNS0_10empty_typeEbEEZZNS1_14partition_implILS5_5ELb0ES3_mN6thrust23THRUST_200600_302600_NS6detail15normal_iteratorINSA_10device_ptrIiEEEEPS6_NSA_18transform_iteratorINSB_9not_fun_tINSA_8identityIiEEEESF_NSA_11use_defaultESM_EENS0_5tupleIJSF_S6_EEENSO_IJSG_SG_EEES6_PlJS6_EEE10hipError_tPvRmT3_T4_T5_T6_T7_T9_mT8_P12ihipStream_tbDpT10_ENKUlT_T0_E_clISt17integral_constantIbLb0EES1B_EEDaS16_S17_EUlS16_E_NS1_11comp_targetILNS1_3genE10ELNS1_11target_archE1200ELNS1_3gpuE4ELNS1_3repE0EEENS1_30default_config_static_selectorELNS0_4arch9wavefront6targetE0EEEvT1_.has_indirect_call, 0
	.section	.AMDGPU.csdata,"",@progbits
; Kernel info:
; codeLenInByte = 9388
; TotalNumSgprs: 24
; NumVgprs: 52
; ScratchSize: 0
; MemoryBound: 0
; FloatMode: 240
; IeeeMode: 1
; LDSByteSize: 6352 bytes/workgroup (compile time only)
; SGPRBlocks: 0
; VGPRBlocks: 6
; NumSGPRsForWavesPerEU: 24
; NumVGPRsForWavesPerEU: 52
; Occupancy: 15
; WaveLimiterHint : 1
; COMPUTE_PGM_RSRC2:SCRATCH_EN: 0
; COMPUTE_PGM_RSRC2:USER_SGPR: 2
; COMPUTE_PGM_RSRC2:TRAP_HANDLER: 0
; COMPUTE_PGM_RSRC2:TGID_X_EN: 1
; COMPUTE_PGM_RSRC2:TGID_Y_EN: 0
; COMPUTE_PGM_RSRC2:TGID_Z_EN: 0
; COMPUTE_PGM_RSRC2:TIDIG_COMP_CNT: 0
	.section	.text._ZN7rocprim17ROCPRIM_400000_NS6detail17trampoline_kernelINS0_14default_configENS1_25partition_config_selectorILNS1_17partition_subalgoE5EiNS0_10empty_typeEbEEZZNS1_14partition_implILS5_5ELb0ES3_mN6thrust23THRUST_200600_302600_NS6detail15normal_iteratorINSA_10device_ptrIiEEEEPS6_NSA_18transform_iteratorINSB_9not_fun_tINSA_8identityIiEEEESF_NSA_11use_defaultESM_EENS0_5tupleIJSF_S6_EEENSO_IJSG_SG_EEES6_PlJS6_EEE10hipError_tPvRmT3_T4_T5_T6_T7_T9_mT8_P12ihipStream_tbDpT10_ENKUlT_T0_E_clISt17integral_constantIbLb0EES1B_EEDaS16_S17_EUlS16_E_NS1_11comp_targetILNS1_3genE9ELNS1_11target_archE1100ELNS1_3gpuE3ELNS1_3repE0EEENS1_30default_config_static_selectorELNS0_4arch9wavefront6targetE0EEEvT1_,"axG",@progbits,_ZN7rocprim17ROCPRIM_400000_NS6detail17trampoline_kernelINS0_14default_configENS1_25partition_config_selectorILNS1_17partition_subalgoE5EiNS0_10empty_typeEbEEZZNS1_14partition_implILS5_5ELb0ES3_mN6thrust23THRUST_200600_302600_NS6detail15normal_iteratorINSA_10device_ptrIiEEEEPS6_NSA_18transform_iteratorINSB_9not_fun_tINSA_8identityIiEEEESF_NSA_11use_defaultESM_EENS0_5tupleIJSF_S6_EEENSO_IJSG_SG_EEES6_PlJS6_EEE10hipError_tPvRmT3_T4_T5_T6_T7_T9_mT8_P12ihipStream_tbDpT10_ENKUlT_T0_E_clISt17integral_constantIbLb0EES1B_EEDaS16_S17_EUlS16_E_NS1_11comp_targetILNS1_3genE9ELNS1_11target_archE1100ELNS1_3gpuE3ELNS1_3repE0EEENS1_30default_config_static_selectorELNS0_4arch9wavefront6targetE0EEEvT1_,comdat
	.protected	_ZN7rocprim17ROCPRIM_400000_NS6detail17trampoline_kernelINS0_14default_configENS1_25partition_config_selectorILNS1_17partition_subalgoE5EiNS0_10empty_typeEbEEZZNS1_14partition_implILS5_5ELb0ES3_mN6thrust23THRUST_200600_302600_NS6detail15normal_iteratorINSA_10device_ptrIiEEEEPS6_NSA_18transform_iteratorINSB_9not_fun_tINSA_8identityIiEEEESF_NSA_11use_defaultESM_EENS0_5tupleIJSF_S6_EEENSO_IJSG_SG_EEES6_PlJS6_EEE10hipError_tPvRmT3_T4_T5_T6_T7_T9_mT8_P12ihipStream_tbDpT10_ENKUlT_T0_E_clISt17integral_constantIbLb0EES1B_EEDaS16_S17_EUlS16_E_NS1_11comp_targetILNS1_3genE9ELNS1_11target_archE1100ELNS1_3gpuE3ELNS1_3repE0EEENS1_30default_config_static_selectorELNS0_4arch9wavefront6targetE0EEEvT1_ ; -- Begin function _ZN7rocprim17ROCPRIM_400000_NS6detail17trampoline_kernelINS0_14default_configENS1_25partition_config_selectorILNS1_17partition_subalgoE5EiNS0_10empty_typeEbEEZZNS1_14partition_implILS5_5ELb0ES3_mN6thrust23THRUST_200600_302600_NS6detail15normal_iteratorINSA_10device_ptrIiEEEEPS6_NSA_18transform_iteratorINSB_9not_fun_tINSA_8identityIiEEEESF_NSA_11use_defaultESM_EENS0_5tupleIJSF_S6_EEENSO_IJSG_SG_EEES6_PlJS6_EEE10hipError_tPvRmT3_T4_T5_T6_T7_T9_mT8_P12ihipStream_tbDpT10_ENKUlT_T0_E_clISt17integral_constantIbLb0EES1B_EEDaS16_S17_EUlS16_E_NS1_11comp_targetILNS1_3genE9ELNS1_11target_archE1100ELNS1_3gpuE3ELNS1_3repE0EEENS1_30default_config_static_selectorELNS0_4arch9wavefront6targetE0EEEvT1_
	.globl	_ZN7rocprim17ROCPRIM_400000_NS6detail17trampoline_kernelINS0_14default_configENS1_25partition_config_selectorILNS1_17partition_subalgoE5EiNS0_10empty_typeEbEEZZNS1_14partition_implILS5_5ELb0ES3_mN6thrust23THRUST_200600_302600_NS6detail15normal_iteratorINSA_10device_ptrIiEEEEPS6_NSA_18transform_iteratorINSB_9not_fun_tINSA_8identityIiEEEESF_NSA_11use_defaultESM_EENS0_5tupleIJSF_S6_EEENSO_IJSG_SG_EEES6_PlJS6_EEE10hipError_tPvRmT3_T4_T5_T6_T7_T9_mT8_P12ihipStream_tbDpT10_ENKUlT_T0_E_clISt17integral_constantIbLb0EES1B_EEDaS16_S17_EUlS16_E_NS1_11comp_targetILNS1_3genE9ELNS1_11target_archE1100ELNS1_3gpuE3ELNS1_3repE0EEENS1_30default_config_static_selectorELNS0_4arch9wavefront6targetE0EEEvT1_
	.p2align	8
	.type	_ZN7rocprim17ROCPRIM_400000_NS6detail17trampoline_kernelINS0_14default_configENS1_25partition_config_selectorILNS1_17partition_subalgoE5EiNS0_10empty_typeEbEEZZNS1_14partition_implILS5_5ELb0ES3_mN6thrust23THRUST_200600_302600_NS6detail15normal_iteratorINSA_10device_ptrIiEEEEPS6_NSA_18transform_iteratorINSB_9not_fun_tINSA_8identityIiEEEESF_NSA_11use_defaultESM_EENS0_5tupleIJSF_S6_EEENSO_IJSG_SG_EEES6_PlJS6_EEE10hipError_tPvRmT3_T4_T5_T6_T7_T9_mT8_P12ihipStream_tbDpT10_ENKUlT_T0_E_clISt17integral_constantIbLb0EES1B_EEDaS16_S17_EUlS16_E_NS1_11comp_targetILNS1_3genE9ELNS1_11target_archE1100ELNS1_3gpuE3ELNS1_3repE0EEENS1_30default_config_static_selectorELNS0_4arch9wavefront6targetE0EEEvT1_,@function
_ZN7rocprim17ROCPRIM_400000_NS6detail17trampoline_kernelINS0_14default_configENS1_25partition_config_selectorILNS1_17partition_subalgoE5EiNS0_10empty_typeEbEEZZNS1_14partition_implILS5_5ELb0ES3_mN6thrust23THRUST_200600_302600_NS6detail15normal_iteratorINSA_10device_ptrIiEEEEPS6_NSA_18transform_iteratorINSB_9not_fun_tINSA_8identityIiEEEESF_NSA_11use_defaultESM_EENS0_5tupleIJSF_S6_EEENSO_IJSG_SG_EEES6_PlJS6_EEE10hipError_tPvRmT3_T4_T5_T6_T7_T9_mT8_P12ihipStream_tbDpT10_ENKUlT_T0_E_clISt17integral_constantIbLb0EES1B_EEDaS16_S17_EUlS16_E_NS1_11comp_targetILNS1_3genE9ELNS1_11target_archE1100ELNS1_3gpuE3ELNS1_3repE0EEENS1_30default_config_static_selectorELNS0_4arch9wavefront6targetE0EEEvT1_: ; @_ZN7rocprim17ROCPRIM_400000_NS6detail17trampoline_kernelINS0_14default_configENS1_25partition_config_selectorILNS1_17partition_subalgoE5EiNS0_10empty_typeEbEEZZNS1_14partition_implILS5_5ELb0ES3_mN6thrust23THRUST_200600_302600_NS6detail15normal_iteratorINSA_10device_ptrIiEEEEPS6_NSA_18transform_iteratorINSB_9not_fun_tINSA_8identityIiEEEESF_NSA_11use_defaultESM_EENS0_5tupleIJSF_S6_EEENSO_IJSG_SG_EEES6_PlJS6_EEE10hipError_tPvRmT3_T4_T5_T6_T7_T9_mT8_P12ihipStream_tbDpT10_ENKUlT_T0_E_clISt17integral_constantIbLb0EES1B_EEDaS16_S17_EUlS16_E_NS1_11comp_targetILNS1_3genE9ELNS1_11target_archE1100ELNS1_3gpuE3ELNS1_3repE0EEENS1_30default_config_static_selectorELNS0_4arch9wavefront6targetE0EEEvT1_
; %bb.0:
	.section	.rodata,"a",@progbits
	.p2align	6, 0x0
	.amdhsa_kernel _ZN7rocprim17ROCPRIM_400000_NS6detail17trampoline_kernelINS0_14default_configENS1_25partition_config_selectorILNS1_17partition_subalgoE5EiNS0_10empty_typeEbEEZZNS1_14partition_implILS5_5ELb0ES3_mN6thrust23THRUST_200600_302600_NS6detail15normal_iteratorINSA_10device_ptrIiEEEEPS6_NSA_18transform_iteratorINSB_9not_fun_tINSA_8identityIiEEEESF_NSA_11use_defaultESM_EENS0_5tupleIJSF_S6_EEENSO_IJSG_SG_EEES6_PlJS6_EEE10hipError_tPvRmT3_T4_T5_T6_T7_T9_mT8_P12ihipStream_tbDpT10_ENKUlT_T0_E_clISt17integral_constantIbLb0EES1B_EEDaS16_S17_EUlS16_E_NS1_11comp_targetILNS1_3genE9ELNS1_11target_archE1100ELNS1_3gpuE3ELNS1_3repE0EEENS1_30default_config_static_selectorELNS0_4arch9wavefront6targetE0EEEvT1_
		.amdhsa_group_segment_fixed_size 0
		.amdhsa_private_segment_fixed_size 0
		.amdhsa_kernarg_size 120
		.amdhsa_user_sgpr_count 2
		.amdhsa_user_sgpr_dispatch_ptr 0
		.amdhsa_user_sgpr_queue_ptr 0
		.amdhsa_user_sgpr_kernarg_segment_ptr 1
		.amdhsa_user_sgpr_dispatch_id 0
		.amdhsa_user_sgpr_private_segment_size 0
		.amdhsa_wavefront_size32 1
		.amdhsa_uses_dynamic_stack 0
		.amdhsa_enable_private_segment 0
		.amdhsa_system_sgpr_workgroup_id_x 1
		.amdhsa_system_sgpr_workgroup_id_y 0
		.amdhsa_system_sgpr_workgroup_id_z 0
		.amdhsa_system_sgpr_workgroup_info 0
		.amdhsa_system_vgpr_workitem_id 0
		.amdhsa_next_free_vgpr 1
		.amdhsa_next_free_sgpr 1
		.amdhsa_reserve_vcc 0
		.amdhsa_float_round_mode_32 0
		.amdhsa_float_round_mode_16_64 0
		.amdhsa_float_denorm_mode_32 3
		.amdhsa_float_denorm_mode_16_64 3
		.amdhsa_fp16_overflow 0
		.amdhsa_workgroup_processor_mode 1
		.amdhsa_memory_ordered 1
		.amdhsa_forward_progress 1
		.amdhsa_inst_pref_size 0
		.amdhsa_round_robin_scheduling 0
		.amdhsa_exception_fp_ieee_invalid_op 0
		.amdhsa_exception_fp_denorm_src 0
		.amdhsa_exception_fp_ieee_div_zero 0
		.amdhsa_exception_fp_ieee_overflow 0
		.amdhsa_exception_fp_ieee_underflow 0
		.amdhsa_exception_fp_ieee_inexact 0
		.amdhsa_exception_int_div_zero 0
	.end_amdhsa_kernel
	.section	.text._ZN7rocprim17ROCPRIM_400000_NS6detail17trampoline_kernelINS0_14default_configENS1_25partition_config_selectorILNS1_17partition_subalgoE5EiNS0_10empty_typeEbEEZZNS1_14partition_implILS5_5ELb0ES3_mN6thrust23THRUST_200600_302600_NS6detail15normal_iteratorINSA_10device_ptrIiEEEEPS6_NSA_18transform_iteratorINSB_9not_fun_tINSA_8identityIiEEEESF_NSA_11use_defaultESM_EENS0_5tupleIJSF_S6_EEENSO_IJSG_SG_EEES6_PlJS6_EEE10hipError_tPvRmT3_T4_T5_T6_T7_T9_mT8_P12ihipStream_tbDpT10_ENKUlT_T0_E_clISt17integral_constantIbLb0EES1B_EEDaS16_S17_EUlS16_E_NS1_11comp_targetILNS1_3genE9ELNS1_11target_archE1100ELNS1_3gpuE3ELNS1_3repE0EEENS1_30default_config_static_selectorELNS0_4arch9wavefront6targetE0EEEvT1_,"axG",@progbits,_ZN7rocprim17ROCPRIM_400000_NS6detail17trampoline_kernelINS0_14default_configENS1_25partition_config_selectorILNS1_17partition_subalgoE5EiNS0_10empty_typeEbEEZZNS1_14partition_implILS5_5ELb0ES3_mN6thrust23THRUST_200600_302600_NS6detail15normal_iteratorINSA_10device_ptrIiEEEEPS6_NSA_18transform_iteratorINSB_9not_fun_tINSA_8identityIiEEEESF_NSA_11use_defaultESM_EENS0_5tupleIJSF_S6_EEENSO_IJSG_SG_EEES6_PlJS6_EEE10hipError_tPvRmT3_T4_T5_T6_T7_T9_mT8_P12ihipStream_tbDpT10_ENKUlT_T0_E_clISt17integral_constantIbLb0EES1B_EEDaS16_S17_EUlS16_E_NS1_11comp_targetILNS1_3genE9ELNS1_11target_archE1100ELNS1_3gpuE3ELNS1_3repE0EEENS1_30default_config_static_selectorELNS0_4arch9wavefront6targetE0EEEvT1_,comdat
.Lfunc_end987:
	.size	_ZN7rocprim17ROCPRIM_400000_NS6detail17trampoline_kernelINS0_14default_configENS1_25partition_config_selectorILNS1_17partition_subalgoE5EiNS0_10empty_typeEbEEZZNS1_14partition_implILS5_5ELb0ES3_mN6thrust23THRUST_200600_302600_NS6detail15normal_iteratorINSA_10device_ptrIiEEEEPS6_NSA_18transform_iteratorINSB_9not_fun_tINSA_8identityIiEEEESF_NSA_11use_defaultESM_EENS0_5tupleIJSF_S6_EEENSO_IJSG_SG_EEES6_PlJS6_EEE10hipError_tPvRmT3_T4_T5_T6_T7_T9_mT8_P12ihipStream_tbDpT10_ENKUlT_T0_E_clISt17integral_constantIbLb0EES1B_EEDaS16_S17_EUlS16_E_NS1_11comp_targetILNS1_3genE9ELNS1_11target_archE1100ELNS1_3gpuE3ELNS1_3repE0EEENS1_30default_config_static_selectorELNS0_4arch9wavefront6targetE0EEEvT1_, .Lfunc_end987-_ZN7rocprim17ROCPRIM_400000_NS6detail17trampoline_kernelINS0_14default_configENS1_25partition_config_selectorILNS1_17partition_subalgoE5EiNS0_10empty_typeEbEEZZNS1_14partition_implILS5_5ELb0ES3_mN6thrust23THRUST_200600_302600_NS6detail15normal_iteratorINSA_10device_ptrIiEEEEPS6_NSA_18transform_iteratorINSB_9not_fun_tINSA_8identityIiEEEESF_NSA_11use_defaultESM_EENS0_5tupleIJSF_S6_EEENSO_IJSG_SG_EEES6_PlJS6_EEE10hipError_tPvRmT3_T4_T5_T6_T7_T9_mT8_P12ihipStream_tbDpT10_ENKUlT_T0_E_clISt17integral_constantIbLb0EES1B_EEDaS16_S17_EUlS16_E_NS1_11comp_targetILNS1_3genE9ELNS1_11target_archE1100ELNS1_3gpuE3ELNS1_3repE0EEENS1_30default_config_static_selectorELNS0_4arch9wavefront6targetE0EEEvT1_
                                        ; -- End function
	.set _ZN7rocprim17ROCPRIM_400000_NS6detail17trampoline_kernelINS0_14default_configENS1_25partition_config_selectorILNS1_17partition_subalgoE5EiNS0_10empty_typeEbEEZZNS1_14partition_implILS5_5ELb0ES3_mN6thrust23THRUST_200600_302600_NS6detail15normal_iteratorINSA_10device_ptrIiEEEEPS6_NSA_18transform_iteratorINSB_9not_fun_tINSA_8identityIiEEEESF_NSA_11use_defaultESM_EENS0_5tupleIJSF_S6_EEENSO_IJSG_SG_EEES6_PlJS6_EEE10hipError_tPvRmT3_T4_T5_T6_T7_T9_mT8_P12ihipStream_tbDpT10_ENKUlT_T0_E_clISt17integral_constantIbLb0EES1B_EEDaS16_S17_EUlS16_E_NS1_11comp_targetILNS1_3genE9ELNS1_11target_archE1100ELNS1_3gpuE3ELNS1_3repE0EEENS1_30default_config_static_selectorELNS0_4arch9wavefront6targetE0EEEvT1_.num_vgpr, 0
	.set _ZN7rocprim17ROCPRIM_400000_NS6detail17trampoline_kernelINS0_14default_configENS1_25partition_config_selectorILNS1_17partition_subalgoE5EiNS0_10empty_typeEbEEZZNS1_14partition_implILS5_5ELb0ES3_mN6thrust23THRUST_200600_302600_NS6detail15normal_iteratorINSA_10device_ptrIiEEEEPS6_NSA_18transform_iteratorINSB_9not_fun_tINSA_8identityIiEEEESF_NSA_11use_defaultESM_EENS0_5tupleIJSF_S6_EEENSO_IJSG_SG_EEES6_PlJS6_EEE10hipError_tPvRmT3_T4_T5_T6_T7_T9_mT8_P12ihipStream_tbDpT10_ENKUlT_T0_E_clISt17integral_constantIbLb0EES1B_EEDaS16_S17_EUlS16_E_NS1_11comp_targetILNS1_3genE9ELNS1_11target_archE1100ELNS1_3gpuE3ELNS1_3repE0EEENS1_30default_config_static_selectorELNS0_4arch9wavefront6targetE0EEEvT1_.num_agpr, 0
	.set _ZN7rocprim17ROCPRIM_400000_NS6detail17trampoline_kernelINS0_14default_configENS1_25partition_config_selectorILNS1_17partition_subalgoE5EiNS0_10empty_typeEbEEZZNS1_14partition_implILS5_5ELb0ES3_mN6thrust23THRUST_200600_302600_NS6detail15normal_iteratorINSA_10device_ptrIiEEEEPS6_NSA_18transform_iteratorINSB_9not_fun_tINSA_8identityIiEEEESF_NSA_11use_defaultESM_EENS0_5tupleIJSF_S6_EEENSO_IJSG_SG_EEES6_PlJS6_EEE10hipError_tPvRmT3_T4_T5_T6_T7_T9_mT8_P12ihipStream_tbDpT10_ENKUlT_T0_E_clISt17integral_constantIbLb0EES1B_EEDaS16_S17_EUlS16_E_NS1_11comp_targetILNS1_3genE9ELNS1_11target_archE1100ELNS1_3gpuE3ELNS1_3repE0EEENS1_30default_config_static_selectorELNS0_4arch9wavefront6targetE0EEEvT1_.numbered_sgpr, 0
	.set _ZN7rocprim17ROCPRIM_400000_NS6detail17trampoline_kernelINS0_14default_configENS1_25partition_config_selectorILNS1_17partition_subalgoE5EiNS0_10empty_typeEbEEZZNS1_14partition_implILS5_5ELb0ES3_mN6thrust23THRUST_200600_302600_NS6detail15normal_iteratorINSA_10device_ptrIiEEEEPS6_NSA_18transform_iteratorINSB_9not_fun_tINSA_8identityIiEEEESF_NSA_11use_defaultESM_EENS0_5tupleIJSF_S6_EEENSO_IJSG_SG_EEES6_PlJS6_EEE10hipError_tPvRmT3_T4_T5_T6_T7_T9_mT8_P12ihipStream_tbDpT10_ENKUlT_T0_E_clISt17integral_constantIbLb0EES1B_EEDaS16_S17_EUlS16_E_NS1_11comp_targetILNS1_3genE9ELNS1_11target_archE1100ELNS1_3gpuE3ELNS1_3repE0EEENS1_30default_config_static_selectorELNS0_4arch9wavefront6targetE0EEEvT1_.num_named_barrier, 0
	.set _ZN7rocprim17ROCPRIM_400000_NS6detail17trampoline_kernelINS0_14default_configENS1_25partition_config_selectorILNS1_17partition_subalgoE5EiNS0_10empty_typeEbEEZZNS1_14partition_implILS5_5ELb0ES3_mN6thrust23THRUST_200600_302600_NS6detail15normal_iteratorINSA_10device_ptrIiEEEEPS6_NSA_18transform_iteratorINSB_9not_fun_tINSA_8identityIiEEEESF_NSA_11use_defaultESM_EENS0_5tupleIJSF_S6_EEENSO_IJSG_SG_EEES6_PlJS6_EEE10hipError_tPvRmT3_T4_T5_T6_T7_T9_mT8_P12ihipStream_tbDpT10_ENKUlT_T0_E_clISt17integral_constantIbLb0EES1B_EEDaS16_S17_EUlS16_E_NS1_11comp_targetILNS1_3genE9ELNS1_11target_archE1100ELNS1_3gpuE3ELNS1_3repE0EEENS1_30default_config_static_selectorELNS0_4arch9wavefront6targetE0EEEvT1_.private_seg_size, 0
	.set _ZN7rocprim17ROCPRIM_400000_NS6detail17trampoline_kernelINS0_14default_configENS1_25partition_config_selectorILNS1_17partition_subalgoE5EiNS0_10empty_typeEbEEZZNS1_14partition_implILS5_5ELb0ES3_mN6thrust23THRUST_200600_302600_NS6detail15normal_iteratorINSA_10device_ptrIiEEEEPS6_NSA_18transform_iteratorINSB_9not_fun_tINSA_8identityIiEEEESF_NSA_11use_defaultESM_EENS0_5tupleIJSF_S6_EEENSO_IJSG_SG_EEES6_PlJS6_EEE10hipError_tPvRmT3_T4_T5_T6_T7_T9_mT8_P12ihipStream_tbDpT10_ENKUlT_T0_E_clISt17integral_constantIbLb0EES1B_EEDaS16_S17_EUlS16_E_NS1_11comp_targetILNS1_3genE9ELNS1_11target_archE1100ELNS1_3gpuE3ELNS1_3repE0EEENS1_30default_config_static_selectorELNS0_4arch9wavefront6targetE0EEEvT1_.uses_vcc, 0
	.set _ZN7rocprim17ROCPRIM_400000_NS6detail17trampoline_kernelINS0_14default_configENS1_25partition_config_selectorILNS1_17partition_subalgoE5EiNS0_10empty_typeEbEEZZNS1_14partition_implILS5_5ELb0ES3_mN6thrust23THRUST_200600_302600_NS6detail15normal_iteratorINSA_10device_ptrIiEEEEPS6_NSA_18transform_iteratorINSB_9not_fun_tINSA_8identityIiEEEESF_NSA_11use_defaultESM_EENS0_5tupleIJSF_S6_EEENSO_IJSG_SG_EEES6_PlJS6_EEE10hipError_tPvRmT3_T4_T5_T6_T7_T9_mT8_P12ihipStream_tbDpT10_ENKUlT_T0_E_clISt17integral_constantIbLb0EES1B_EEDaS16_S17_EUlS16_E_NS1_11comp_targetILNS1_3genE9ELNS1_11target_archE1100ELNS1_3gpuE3ELNS1_3repE0EEENS1_30default_config_static_selectorELNS0_4arch9wavefront6targetE0EEEvT1_.uses_flat_scratch, 0
	.set _ZN7rocprim17ROCPRIM_400000_NS6detail17trampoline_kernelINS0_14default_configENS1_25partition_config_selectorILNS1_17partition_subalgoE5EiNS0_10empty_typeEbEEZZNS1_14partition_implILS5_5ELb0ES3_mN6thrust23THRUST_200600_302600_NS6detail15normal_iteratorINSA_10device_ptrIiEEEEPS6_NSA_18transform_iteratorINSB_9not_fun_tINSA_8identityIiEEEESF_NSA_11use_defaultESM_EENS0_5tupleIJSF_S6_EEENSO_IJSG_SG_EEES6_PlJS6_EEE10hipError_tPvRmT3_T4_T5_T6_T7_T9_mT8_P12ihipStream_tbDpT10_ENKUlT_T0_E_clISt17integral_constantIbLb0EES1B_EEDaS16_S17_EUlS16_E_NS1_11comp_targetILNS1_3genE9ELNS1_11target_archE1100ELNS1_3gpuE3ELNS1_3repE0EEENS1_30default_config_static_selectorELNS0_4arch9wavefront6targetE0EEEvT1_.has_dyn_sized_stack, 0
	.set _ZN7rocprim17ROCPRIM_400000_NS6detail17trampoline_kernelINS0_14default_configENS1_25partition_config_selectorILNS1_17partition_subalgoE5EiNS0_10empty_typeEbEEZZNS1_14partition_implILS5_5ELb0ES3_mN6thrust23THRUST_200600_302600_NS6detail15normal_iteratorINSA_10device_ptrIiEEEEPS6_NSA_18transform_iteratorINSB_9not_fun_tINSA_8identityIiEEEESF_NSA_11use_defaultESM_EENS0_5tupleIJSF_S6_EEENSO_IJSG_SG_EEES6_PlJS6_EEE10hipError_tPvRmT3_T4_T5_T6_T7_T9_mT8_P12ihipStream_tbDpT10_ENKUlT_T0_E_clISt17integral_constantIbLb0EES1B_EEDaS16_S17_EUlS16_E_NS1_11comp_targetILNS1_3genE9ELNS1_11target_archE1100ELNS1_3gpuE3ELNS1_3repE0EEENS1_30default_config_static_selectorELNS0_4arch9wavefront6targetE0EEEvT1_.has_recursion, 0
	.set _ZN7rocprim17ROCPRIM_400000_NS6detail17trampoline_kernelINS0_14default_configENS1_25partition_config_selectorILNS1_17partition_subalgoE5EiNS0_10empty_typeEbEEZZNS1_14partition_implILS5_5ELb0ES3_mN6thrust23THRUST_200600_302600_NS6detail15normal_iteratorINSA_10device_ptrIiEEEEPS6_NSA_18transform_iteratorINSB_9not_fun_tINSA_8identityIiEEEESF_NSA_11use_defaultESM_EENS0_5tupleIJSF_S6_EEENSO_IJSG_SG_EEES6_PlJS6_EEE10hipError_tPvRmT3_T4_T5_T6_T7_T9_mT8_P12ihipStream_tbDpT10_ENKUlT_T0_E_clISt17integral_constantIbLb0EES1B_EEDaS16_S17_EUlS16_E_NS1_11comp_targetILNS1_3genE9ELNS1_11target_archE1100ELNS1_3gpuE3ELNS1_3repE0EEENS1_30default_config_static_selectorELNS0_4arch9wavefront6targetE0EEEvT1_.has_indirect_call, 0
	.section	.AMDGPU.csdata,"",@progbits
; Kernel info:
; codeLenInByte = 0
; TotalNumSgprs: 0
; NumVgprs: 0
; ScratchSize: 0
; MemoryBound: 0
; FloatMode: 240
; IeeeMode: 1
; LDSByteSize: 0 bytes/workgroup (compile time only)
; SGPRBlocks: 0
; VGPRBlocks: 0
; NumSGPRsForWavesPerEU: 1
; NumVGPRsForWavesPerEU: 1
; Occupancy: 16
; WaveLimiterHint : 0
; COMPUTE_PGM_RSRC2:SCRATCH_EN: 0
; COMPUTE_PGM_RSRC2:USER_SGPR: 2
; COMPUTE_PGM_RSRC2:TRAP_HANDLER: 0
; COMPUTE_PGM_RSRC2:TGID_X_EN: 1
; COMPUTE_PGM_RSRC2:TGID_Y_EN: 0
; COMPUTE_PGM_RSRC2:TGID_Z_EN: 0
; COMPUTE_PGM_RSRC2:TIDIG_COMP_CNT: 0
	.section	.text._ZN7rocprim17ROCPRIM_400000_NS6detail17trampoline_kernelINS0_14default_configENS1_25partition_config_selectorILNS1_17partition_subalgoE5EiNS0_10empty_typeEbEEZZNS1_14partition_implILS5_5ELb0ES3_mN6thrust23THRUST_200600_302600_NS6detail15normal_iteratorINSA_10device_ptrIiEEEEPS6_NSA_18transform_iteratorINSB_9not_fun_tINSA_8identityIiEEEESF_NSA_11use_defaultESM_EENS0_5tupleIJSF_S6_EEENSO_IJSG_SG_EEES6_PlJS6_EEE10hipError_tPvRmT3_T4_T5_T6_T7_T9_mT8_P12ihipStream_tbDpT10_ENKUlT_T0_E_clISt17integral_constantIbLb0EES1B_EEDaS16_S17_EUlS16_E_NS1_11comp_targetILNS1_3genE8ELNS1_11target_archE1030ELNS1_3gpuE2ELNS1_3repE0EEENS1_30default_config_static_selectorELNS0_4arch9wavefront6targetE0EEEvT1_,"axG",@progbits,_ZN7rocprim17ROCPRIM_400000_NS6detail17trampoline_kernelINS0_14default_configENS1_25partition_config_selectorILNS1_17partition_subalgoE5EiNS0_10empty_typeEbEEZZNS1_14partition_implILS5_5ELb0ES3_mN6thrust23THRUST_200600_302600_NS6detail15normal_iteratorINSA_10device_ptrIiEEEEPS6_NSA_18transform_iteratorINSB_9not_fun_tINSA_8identityIiEEEESF_NSA_11use_defaultESM_EENS0_5tupleIJSF_S6_EEENSO_IJSG_SG_EEES6_PlJS6_EEE10hipError_tPvRmT3_T4_T5_T6_T7_T9_mT8_P12ihipStream_tbDpT10_ENKUlT_T0_E_clISt17integral_constantIbLb0EES1B_EEDaS16_S17_EUlS16_E_NS1_11comp_targetILNS1_3genE8ELNS1_11target_archE1030ELNS1_3gpuE2ELNS1_3repE0EEENS1_30default_config_static_selectorELNS0_4arch9wavefront6targetE0EEEvT1_,comdat
	.protected	_ZN7rocprim17ROCPRIM_400000_NS6detail17trampoline_kernelINS0_14default_configENS1_25partition_config_selectorILNS1_17partition_subalgoE5EiNS0_10empty_typeEbEEZZNS1_14partition_implILS5_5ELb0ES3_mN6thrust23THRUST_200600_302600_NS6detail15normal_iteratorINSA_10device_ptrIiEEEEPS6_NSA_18transform_iteratorINSB_9not_fun_tINSA_8identityIiEEEESF_NSA_11use_defaultESM_EENS0_5tupleIJSF_S6_EEENSO_IJSG_SG_EEES6_PlJS6_EEE10hipError_tPvRmT3_T4_T5_T6_T7_T9_mT8_P12ihipStream_tbDpT10_ENKUlT_T0_E_clISt17integral_constantIbLb0EES1B_EEDaS16_S17_EUlS16_E_NS1_11comp_targetILNS1_3genE8ELNS1_11target_archE1030ELNS1_3gpuE2ELNS1_3repE0EEENS1_30default_config_static_selectorELNS0_4arch9wavefront6targetE0EEEvT1_ ; -- Begin function _ZN7rocprim17ROCPRIM_400000_NS6detail17trampoline_kernelINS0_14default_configENS1_25partition_config_selectorILNS1_17partition_subalgoE5EiNS0_10empty_typeEbEEZZNS1_14partition_implILS5_5ELb0ES3_mN6thrust23THRUST_200600_302600_NS6detail15normal_iteratorINSA_10device_ptrIiEEEEPS6_NSA_18transform_iteratorINSB_9not_fun_tINSA_8identityIiEEEESF_NSA_11use_defaultESM_EENS0_5tupleIJSF_S6_EEENSO_IJSG_SG_EEES6_PlJS6_EEE10hipError_tPvRmT3_T4_T5_T6_T7_T9_mT8_P12ihipStream_tbDpT10_ENKUlT_T0_E_clISt17integral_constantIbLb0EES1B_EEDaS16_S17_EUlS16_E_NS1_11comp_targetILNS1_3genE8ELNS1_11target_archE1030ELNS1_3gpuE2ELNS1_3repE0EEENS1_30default_config_static_selectorELNS0_4arch9wavefront6targetE0EEEvT1_
	.globl	_ZN7rocprim17ROCPRIM_400000_NS6detail17trampoline_kernelINS0_14default_configENS1_25partition_config_selectorILNS1_17partition_subalgoE5EiNS0_10empty_typeEbEEZZNS1_14partition_implILS5_5ELb0ES3_mN6thrust23THRUST_200600_302600_NS6detail15normal_iteratorINSA_10device_ptrIiEEEEPS6_NSA_18transform_iteratorINSB_9not_fun_tINSA_8identityIiEEEESF_NSA_11use_defaultESM_EENS0_5tupleIJSF_S6_EEENSO_IJSG_SG_EEES6_PlJS6_EEE10hipError_tPvRmT3_T4_T5_T6_T7_T9_mT8_P12ihipStream_tbDpT10_ENKUlT_T0_E_clISt17integral_constantIbLb0EES1B_EEDaS16_S17_EUlS16_E_NS1_11comp_targetILNS1_3genE8ELNS1_11target_archE1030ELNS1_3gpuE2ELNS1_3repE0EEENS1_30default_config_static_selectorELNS0_4arch9wavefront6targetE0EEEvT1_
	.p2align	8
	.type	_ZN7rocprim17ROCPRIM_400000_NS6detail17trampoline_kernelINS0_14default_configENS1_25partition_config_selectorILNS1_17partition_subalgoE5EiNS0_10empty_typeEbEEZZNS1_14partition_implILS5_5ELb0ES3_mN6thrust23THRUST_200600_302600_NS6detail15normal_iteratorINSA_10device_ptrIiEEEEPS6_NSA_18transform_iteratorINSB_9not_fun_tINSA_8identityIiEEEESF_NSA_11use_defaultESM_EENS0_5tupleIJSF_S6_EEENSO_IJSG_SG_EEES6_PlJS6_EEE10hipError_tPvRmT3_T4_T5_T6_T7_T9_mT8_P12ihipStream_tbDpT10_ENKUlT_T0_E_clISt17integral_constantIbLb0EES1B_EEDaS16_S17_EUlS16_E_NS1_11comp_targetILNS1_3genE8ELNS1_11target_archE1030ELNS1_3gpuE2ELNS1_3repE0EEENS1_30default_config_static_selectorELNS0_4arch9wavefront6targetE0EEEvT1_,@function
_ZN7rocprim17ROCPRIM_400000_NS6detail17trampoline_kernelINS0_14default_configENS1_25partition_config_selectorILNS1_17partition_subalgoE5EiNS0_10empty_typeEbEEZZNS1_14partition_implILS5_5ELb0ES3_mN6thrust23THRUST_200600_302600_NS6detail15normal_iteratorINSA_10device_ptrIiEEEEPS6_NSA_18transform_iteratorINSB_9not_fun_tINSA_8identityIiEEEESF_NSA_11use_defaultESM_EENS0_5tupleIJSF_S6_EEENSO_IJSG_SG_EEES6_PlJS6_EEE10hipError_tPvRmT3_T4_T5_T6_T7_T9_mT8_P12ihipStream_tbDpT10_ENKUlT_T0_E_clISt17integral_constantIbLb0EES1B_EEDaS16_S17_EUlS16_E_NS1_11comp_targetILNS1_3genE8ELNS1_11target_archE1030ELNS1_3gpuE2ELNS1_3repE0EEENS1_30default_config_static_selectorELNS0_4arch9wavefront6targetE0EEEvT1_: ; @_ZN7rocprim17ROCPRIM_400000_NS6detail17trampoline_kernelINS0_14default_configENS1_25partition_config_selectorILNS1_17partition_subalgoE5EiNS0_10empty_typeEbEEZZNS1_14partition_implILS5_5ELb0ES3_mN6thrust23THRUST_200600_302600_NS6detail15normal_iteratorINSA_10device_ptrIiEEEEPS6_NSA_18transform_iteratorINSB_9not_fun_tINSA_8identityIiEEEESF_NSA_11use_defaultESM_EENS0_5tupleIJSF_S6_EEENSO_IJSG_SG_EEES6_PlJS6_EEE10hipError_tPvRmT3_T4_T5_T6_T7_T9_mT8_P12ihipStream_tbDpT10_ENKUlT_T0_E_clISt17integral_constantIbLb0EES1B_EEDaS16_S17_EUlS16_E_NS1_11comp_targetILNS1_3genE8ELNS1_11target_archE1030ELNS1_3gpuE2ELNS1_3repE0EEENS1_30default_config_static_selectorELNS0_4arch9wavefront6targetE0EEEvT1_
; %bb.0:
	.section	.rodata,"a",@progbits
	.p2align	6, 0x0
	.amdhsa_kernel _ZN7rocprim17ROCPRIM_400000_NS6detail17trampoline_kernelINS0_14default_configENS1_25partition_config_selectorILNS1_17partition_subalgoE5EiNS0_10empty_typeEbEEZZNS1_14partition_implILS5_5ELb0ES3_mN6thrust23THRUST_200600_302600_NS6detail15normal_iteratorINSA_10device_ptrIiEEEEPS6_NSA_18transform_iteratorINSB_9not_fun_tINSA_8identityIiEEEESF_NSA_11use_defaultESM_EENS0_5tupleIJSF_S6_EEENSO_IJSG_SG_EEES6_PlJS6_EEE10hipError_tPvRmT3_T4_T5_T6_T7_T9_mT8_P12ihipStream_tbDpT10_ENKUlT_T0_E_clISt17integral_constantIbLb0EES1B_EEDaS16_S17_EUlS16_E_NS1_11comp_targetILNS1_3genE8ELNS1_11target_archE1030ELNS1_3gpuE2ELNS1_3repE0EEENS1_30default_config_static_selectorELNS0_4arch9wavefront6targetE0EEEvT1_
		.amdhsa_group_segment_fixed_size 0
		.amdhsa_private_segment_fixed_size 0
		.amdhsa_kernarg_size 120
		.amdhsa_user_sgpr_count 2
		.amdhsa_user_sgpr_dispatch_ptr 0
		.amdhsa_user_sgpr_queue_ptr 0
		.amdhsa_user_sgpr_kernarg_segment_ptr 1
		.amdhsa_user_sgpr_dispatch_id 0
		.amdhsa_user_sgpr_private_segment_size 0
		.amdhsa_wavefront_size32 1
		.amdhsa_uses_dynamic_stack 0
		.amdhsa_enable_private_segment 0
		.amdhsa_system_sgpr_workgroup_id_x 1
		.amdhsa_system_sgpr_workgroup_id_y 0
		.amdhsa_system_sgpr_workgroup_id_z 0
		.amdhsa_system_sgpr_workgroup_info 0
		.amdhsa_system_vgpr_workitem_id 0
		.amdhsa_next_free_vgpr 1
		.amdhsa_next_free_sgpr 1
		.amdhsa_reserve_vcc 0
		.amdhsa_float_round_mode_32 0
		.amdhsa_float_round_mode_16_64 0
		.amdhsa_float_denorm_mode_32 3
		.amdhsa_float_denorm_mode_16_64 3
		.amdhsa_fp16_overflow 0
		.amdhsa_workgroup_processor_mode 1
		.amdhsa_memory_ordered 1
		.amdhsa_forward_progress 1
		.amdhsa_inst_pref_size 0
		.amdhsa_round_robin_scheduling 0
		.amdhsa_exception_fp_ieee_invalid_op 0
		.amdhsa_exception_fp_denorm_src 0
		.amdhsa_exception_fp_ieee_div_zero 0
		.amdhsa_exception_fp_ieee_overflow 0
		.amdhsa_exception_fp_ieee_underflow 0
		.amdhsa_exception_fp_ieee_inexact 0
		.amdhsa_exception_int_div_zero 0
	.end_amdhsa_kernel
	.section	.text._ZN7rocprim17ROCPRIM_400000_NS6detail17trampoline_kernelINS0_14default_configENS1_25partition_config_selectorILNS1_17partition_subalgoE5EiNS0_10empty_typeEbEEZZNS1_14partition_implILS5_5ELb0ES3_mN6thrust23THRUST_200600_302600_NS6detail15normal_iteratorINSA_10device_ptrIiEEEEPS6_NSA_18transform_iteratorINSB_9not_fun_tINSA_8identityIiEEEESF_NSA_11use_defaultESM_EENS0_5tupleIJSF_S6_EEENSO_IJSG_SG_EEES6_PlJS6_EEE10hipError_tPvRmT3_T4_T5_T6_T7_T9_mT8_P12ihipStream_tbDpT10_ENKUlT_T0_E_clISt17integral_constantIbLb0EES1B_EEDaS16_S17_EUlS16_E_NS1_11comp_targetILNS1_3genE8ELNS1_11target_archE1030ELNS1_3gpuE2ELNS1_3repE0EEENS1_30default_config_static_selectorELNS0_4arch9wavefront6targetE0EEEvT1_,"axG",@progbits,_ZN7rocprim17ROCPRIM_400000_NS6detail17trampoline_kernelINS0_14default_configENS1_25partition_config_selectorILNS1_17partition_subalgoE5EiNS0_10empty_typeEbEEZZNS1_14partition_implILS5_5ELb0ES3_mN6thrust23THRUST_200600_302600_NS6detail15normal_iteratorINSA_10device_ptrIiEEEEPS6_NSA_18transform_iteratorINSB_9not_fun_tINSA_8identityIiEEEESF_NSA_11use_defaultESM_EENS0_5tupleIJSF_S6_EEENSO_IJSG_SG_EEES6_PlJS6_EEE10hipError_tPvRmT3_T4_T5_T6_T7_T9_mT8_P12ihipStream_tbDpT10_ENKUlT_T0_E_clISt17integral_constantIbLb0EES1B_EEDaS16_S17_EUlS16_E_NS1_11comp_targetILNS1_3genE8ELNS1_11target_archE1030ELNS1_3gpuE2ELNS1_3repE0EEENS1_30default_config_static_selectorELNS0_4arch9wavefront6targetE0EEEvT1_,comdat
.Lfunc_end988:
	.size	_ZN7rocprim17ROCPRIM_400000_NS6detail17trampoline_kernelINS0_14default_configENS1_25partition_config_selectorILNS1_17partition_subalgoE5EiNS0_10empty_typeEbEEZZNS1_14partition_implILS5_5ELb0ES3_mN6thrust23THRUST_200600_302600_NS6detail15normal_iteratorINSA_10device_ptrIiEEEEPS6_NSA_18transform_iteratorINSB_9not_fun_tINSA_8identityIiEEEESF_NSA_11use_defaultESM_EENS0_5tupleIJSF_S6_EEENSO_IJSG_SG_EEES6_PlJS6_EEE10hipError_tPvRmT3_T4_T5_T6_T7_T9_mT8_P12ihipStream_tbDpT10_ENKUlT_T0_E_clISt17integral_constantIbLb0EES1B_EEDaS16_S17_EUlS16_E_NS1_11comp_targetILNS1_3genE8ELNS1_11target_archE1030ELNS1_3gpuE2ELNS1_3repE0EEENS1_30default_config_static_selectorELNS0_4arch9wavefront6targetE0EEEvT1_, .Lfunc_end988-_ZN7rocprim17ROCPRIM_400000_NS6detail17trampoline_kernelINS0_14default_configENS1_25partition_config_selectorILNS1_17partition_subalgoE5EiNS0_10empty_typeEbEEZZNS1_14partition_implILS5_5ELb0ES3_mN6thrust23THRUST_200600_302600_NS6detail15normal_iteratorINSA_10device_ptrIiEEEEPS6_NSA_18transform_iteratorINSB_9not_fun_tINSA_8identityIiEEEESF_NSA_11use_defaultESM_EENS0_5tupleIJSF_S6_EEENSO_IJSG_SG_EEES6_PlJS6_EEE10hipError_tPvRmT3_T4_T5_T6_T7_T9_mT8_P12ihipStream_tbDpT10_ENKUlT_T0_E_clISt17integral_constantIbLb0EES1B_EEDaS16_S17_EUlS16_E_NS1_11comp_targetILNS1_3genE8ELNS1_11target_archE1030ELNS1_3gpuE2ELNS1_3repE0EEENS1_30default_config_static_selectorELNS0_4arch9wavefront6targetE0EEEvT1_
                                        ; -- End function
	.set _ZN7rocprim17ROCPRIM_400000_NS6detail17trampoline_kernelINS0_14default_configENS1_25partition_config_selectorILNS1_17partition_subalgoE5EiNS0_10empty_typeEbEEZZNS1_14partition_implILS5_5ELb0ES3_mN6thrust23THRUST_200600_302600_NS6detail15normal_iteratorINSA_10device_ptrIiEEEEPS6_NSA_18transform_iteratorINSB_9not_fun_tINSA_8identityIiEEEESF_NSA_11use_defaultESM_EENS0_5tupleIJSF_S6_EEENSO_IJSG_SG_EEES6_PlJS6_EEE10hipError_tPvRmT3_T4_T5_T6_T7_T9_mT8_P12ihipStream_tbDpT10_ENKUlT_T0_E_clISt17integral_constantIbLb0EES1B_EEDaS16_S17_EUlS16_E_NS1_11comp_targetILNS1_3genE8ELNS1_11target_archE1030ELNS1_3gpuE2ELNS1_3repE0EEENS1_30default_config_static_selectorELNS0_4arch9wavefront6targetE0EEEvT1_.num_vgpr, 0
	.set _ZN7rocprim17ROCPRIM_400000_NS6detail17trampoline_kernelINS0_14default_configENS1_25partition_config_selectorILNS1_17partition_subalgoE5EiNS0_10empty_typeEbEEZZNS1_14partition_implILS5_5ELb0ES3_mN6thrust23THRUST_200600_302600_NS6detail15normal_iteratorINSA_10device_ptrIiEEEEPS6_NSA_18transform_iteratorINSB_9not_fun_tINSA_8identityIiEEEESF_NSA_11use_defaultESM_EENS0_5tupleIJSF_S6_EEENSO_IJSG_SG_EEES6_PlJS6_EEE10hipError_tPvRmT3_T4_T5_T6_T7_T9_mT8_P12ihipStream_tbDpT10_ENKUlT_T0_E_clISt17integral_constantIbLb0EES1B_EEDaS16_S17_EUlS16_E_NS1_11comp_targetILNS1_3genE8ELNS1_11target_archE1030ELNS1_3gpuE2ELNS1_3repE0EEENS1_30default_config_static_selectorELNS0_4arch9wavefront6targetE0EEEvT1_.num_agpr, 0
	.set _ZN7rocprim17ROCPRIM_400000_NS6detail17trampoline_kernelINS0_14default_configENS1_25partition_config_selectorILNS1_17partition_subalgoE5EiNS0_10empty_typeEbEEZZNS1_14partition_implILS5_5ELb0ES3_mN6thrust23THRUST_200600_302600_NS6detail15normal_iteratorINSA_10device_ptrIiEEEEPS6_NSA_18transform_iteratorINSB_9not_fun_tINSA_8identityIiEEEESF_NSA_11use_defaultESM_EENS0_5tupleIJSF_S6_EEENSO_IJSG_SG_EEES6_PlJS6_EEE10hipError_tPvRmT3_T4_T5_T6_T7_T9_mT8_P12ihipStream_tbDpT10_ENKUlT_T0_E_clISt17integral_constantIbLb0EES1B_EEDaS16_S17_EUlS16_E_NS1_11comp_targetILNS1_3genE8ELNS1_11target_archE1030ELNS1_3gpuE2ELNS1_3repE0EEENS1_30default_config_static_selectorELNS0_4arch9wavefront6targetE0EEEvT1_.numbered_sgpr, 0
	.set _ZN7rocprim17ROCPRIM_400000_NS6detail17trampoline_kernelINS0_14default_configENS1_25partition_config_selectorILNS1_17partition_subalgoE5EiNS0_10empty_typeEbEEZZNS1_14partition_implILS5_5ELb0ES3_mN6thrust23THRUST_200600_302600_NS6detail15normal_iteratorINSA_10device_ptrIiEEEEPS6_NSA_18transform_iteratorINSB_9not_fun_tINSA_8identityIiEEEESF_NSA_11use_defaultESM_EENS0_5tupleIJSF_S6_EEENSO_IJSG_SG_EEES6_PlJS6_EEE10hipError_tPvRmT3_T4_T5_T6_T7_T9_mT8_P12ihipStream_tbDpT10_ENKUlT_T0_E_clISt17integral_constantIbLb0EES1B_EEDaS16_S17_EUlS16_E_NS1_11comp_targetILNS1_3genE8ELNS1_11target_archE1030ELNS1_3gpuE2ELNS1_3repE0EEENS1_30default_config_static_selectorELNS0_4arch9wavefront6targetE0EEEvT1_.num_named_barrier, 0
	.set _ZN7rocprim17ROCPRIM_400000_NS6detail17trampoline_kernelINS0_14default_configENS1_25partition_config_selectorILNS1_17partition_subalgoE5EiNS0_10empty_typeEbEEZZNS1_14partition_implILS5_5ELb0ES3_mN6thrust23THRUST_200600_302600_NS6detail15normal_iteratorINSA_10device_ptrIiEEEEPS6_NSA_18transform_iteratorINSB_9not_fun_tINSA_8identityIiEEEESF_NSA_11use_defaultESM_EENS0_5tupleIJSF_S6_EEENSO_IJSG_SG_EEES6_PlJS6_EEE10hipError_tPvRmT3_T4_T5_T6_T7_T9_mT8_P12ihipStream_tbDpT10_ENKUlT_T0_E_clISt17integral_constantIbLb0EES1B_EEDaS16_S17_EUlS16_E_NS1_11comp_targetILNS1_3genE8ELNS1_11target_archE1030ELNS1_3gpuE2ELNS1_3repE0EEENS1_30default_config_static_selectorELNS0_4arch9wavefront6targetE0EEEvT1_.private_seg_size, 0
	.set _ZN7rocprim17ROCPRIM_400000_NS6detail17trampoline_kernelINS0_14default_configENS1_25partition_config_selectorILNS1_17partition_subalgoE5EiNS0_10empty_typeEbEEZZNS1_14partition_implILS5_5ELb0ES3_mN6thrust23THRUST_200600_302600_NS6detail15normal_iteratorINSA_10device_ptrIiEEEEPS6_NSA_18transform_iteratorINSB_9not_fun_tINSA_8identityIiEEEESF_NSA_11use_defaultESM_EENS0_5tupleIJSF_S6_EEENSO_IJSG_SG_EEES6_PlJS6_EEE10hipError_tPvRmT3_T4_T5_T6_T7_T9_mT8_P12ihipStream_tbDpT10_ENKUlT_T0_E_clISt17integral_constantIbLb0EES1B_EEDaS16_S17_EUlS16_E_NS1_11comp_targetILNS1_3genE8ELNS1_11target_archE1030ELNS1_3gpuE2ELNS1_3repE0EEENS1_30default_config_static_selectorELNS0_4arch9wavefront6targetE0EEEvT1_.uses_vcc, 0
	.set _ZN7rocprim17ROCPRIM_400000_NS6detail17trampoline_kernelINS0_14default_configENS1_25partition_config_selectorILNS1_17partition_subalgoE5EiNS0_10empty_typeEbEEZZNS1_14partition_implILS5_5ELb0ES3_mN6thrust23THRUST_200600_302600_NS6detail15normal_iteratorINSA_10device_ptrIiEEEEPS6_NSA_18transform_iteratorINSB_9not_fun_tINSA_8identityIiEEEESF_NSA_11use_defaultESM_EENS0_5tupleIJSF_S6_EEENSO_IJSG_SG_EEES6_PlJS6_EEE10hipError_tPvRmT3_T4_T5_T6_T7_T9_mT8_P12ihipStream_tbDpT10_ENKUlT_T0_E_clISt17integral_constantIbLb0EES1B_EEDaS16_S17_EUlS16_E_NS1_11comp_targetILNS1_3genE8ELNS1_11target_archE1030ELNS1_3gpuE2ELNS1_3repE0EEENS1_30default_config_static_selectorELNS0_4arch9wavefront6targetE0EEEvT1_.uses_flat_scratch, 0
	.set _ZN7rocprim17ROCPRIM_400000_NS6detail17trampoline_kernelINS0_14default_configENS1_25partition_config_selectorILNS1_17partition_subalgoE5EiNS0_10empty_typeEbEEZZNS1_14partition_implILS5_5ELb0ES3_mN6thrust23THRUST_200600_302600_NS6detail15normal_iteratorINSA_10device_ptrIiEEEEPS6_NSA_18transform_iteratorINSB_9not_fun_tINSA_8identityIiEEEESF_NSA_11use_defaultESM_EENS0_5tupleIJSF_S6_EEENSO_IJSG_SG_EEES6_PlJS6_EEE10hipError_tPvRmT3_T4_T5_T6_T7_T9_mT8_P12ihipStream_tbDpT10_ENKUlT_T0_E_clISt17integral_constantIbLb0EES1B_EEDaS16_S17_EUlS16_E_NS1_11comp_targetILNS1_3genE8ELNS1_11target_archE1030ELNS1_3gpuE2ELNS1_3repE0EEENS1_30default_config_static_selectorELNS0_4arch9wavefront6targetE0EEEvT1_.has_dyn_sized_stack, 0
	.set _ZN7rocprim17ROCPRIM_400000_NS6detail17trampoline_kernelINS0_14default_configENS1_25partition_config_selectorILNS1_17partition_subalgoE5EiNS0_10empty_typeEbEEZZNS1_14partition_implILS5_5ELb0ES3_mN6thrust23THRUST_200600_302600_NS6detail15normal_iteratorINSA_10device_ptrIiEEEEPS6_NSA_18transform_iteratorINSB_9not_fun_tINSA_8identityIiEEEESF_NSA_11use_defaultESM_EENS0_5tupleIJSF_S6_EEENSO_IJSG_SG_EEES6_PlJS6_EEE10hipError_tPvRmT3_T4_T5_T6_T7_T9_mT8_P12ihipStream_tbDpT10_ENKUlT_T0_E_clISt17integral_constantIbLb0EES1B_EEDaS16_S17_EUlS16_E_NS1_11comp_targetILNS1_3genE8ELNS1_11target_archE1030ELNS1_3gpuE2ELNS1_3repE0EEENS1_30default_config_static_selectorELNS0_4arch9wavefront6targetE0EEEvT1_.has_recursion, 0
	.set _ZN7rocprim17ROCPRIM_400000_NS6detail17trampoline_kernelINS0_14default_configENS1_25partition_config_selectorILNS1_17partition_subalgoE5EiNS0_10empty_typeEbEEZZNS1_14partition_implILS5_5ELb0ES3_mN6thrust23THRUST_200600_302600_NS6detail15normal_iteratorINSA_10device_ptrIiEEEEPS6_NSA_18transform_iteratorINSB_9not_fun_tINSA_8identityIiEEEESF_NSA_11use_defaultESM_EENS0_5tupleIJSF_S6_EEENSO_IJSG_SG_EEES6_PlJS6_EEE10hipError_tPvRmT3_T4_T5_T6_T7_T9_mT8_P12ihipStream_tbDpT10_ENKUlT_T0_E_clISt17integral_constantIbLb0EES1B_EEDaS16_S17_EUlS16_E_NS1_11comp_targetILNS1_3genE8ELNS1_11target_archE1030ELNS1_3gpuE2ELNS1_3repE0EEENS1_30default_config_static_selectorELNS0_4arch9wavefront6targetE0EEEvT1_.has_indirect_call, 0
	.section	.AMDGPU.csdata,"",@progbits
; Kernel info:
; codeLenInByte = 0
; TotalNumSgprs: 0
; NumVgprs: 0
; ScratchSize: 0
; MemoryBound: 0
; FloatMode: 240
; IeeeMode: 1
; LDSByteSize: 0 bytes/workgroup (compile time only)
; SGPRBlocks: 0
; VGPRBlocks: 0
; NumSGPRsForWavesPerEU: 1
; NumVGPRsForWavesPerEU: 1
; Occupancy: 16
; WaveLimiterHint : 0
; COMPUTE_PGM_RSRC2:SCRATCH_EN: 0
; COMPUTE_PGM_RSRC2:USER_SGPR: 2
; COMPUTE_PGM_RSRC2:TRAP_HANDLER: 0
; COMPUTE_PGM_RSRC2:TGID_X_EN: 1
; COMPUTE_PGM_RSRC2:TGID_Y_EN: 0
; COMPUTE_PGM_RSRC2:TGID_Z_EN: 0
; COMPUTE_PGM_RSRC2:TIDIG_COMP_CNT: 0
	.section	.text._ZN7rocprim17ROCPRIM_400000_NS6detail17trampoline_kernelINS0_14default_configENS1_25partition_config_selectorILNS1_17partition_subalgoE5EiNS0_10empty_typeEbEEZZNS1_14partition_implILS5_5ELb0ES3_mN6thrust23THRUST_200600_302600_NS6detail15normal_iteratorINSA_10device_ptrIiEEEEPS6_NSA_18transform_iteratorINSB_9not_fun_tINSA_8identityIiEEEESF_NSA_11use_defaultESM_EENS0_5tupleIJSF_S6_EEENSO_IJSG_SG_EEES6_PlJS6_EEE10hipError_tPvRmT3_T4_T5_T6_T7_T9_mT8_P12ihipStream_tbDpT10_ENKUlT_T0_E_clISt17integral_constantIbLb1EES1B_EEDaS16_S17_EUlS16_E_NS1_11comp_targetILNS1_3genE0ELNS1_11target_archE4294967295ELNS1_3gpuE0ELNS1_3repE0EEENS1_30default_config_static_selectorELNS0_4arch9wavefront6targetE0EEEvT1_,"axG",@progbits,_ZN7rocprim17ROCPRIM_400000_NS6detail17trampoline_kernelINS0_14default_configENS1_25partition_config_selectorILNS1_17partition_subalgoE5EiNS0_10empty_typeEbEEZZNS1_14partition_implILS5_5ELb0ES3_mN6thrust23THRUST_200600_302600_NS6detail15normal_iteratorINSA_10device_ptrIiEEEEPS6_NSA_18transform_iteratorINSB_9not_fun_tINSA_8identityIiEEEESF_NSA_11use_defaultESM_EENS0_5tupleIJSF_S6_EEENSO_IJSG_SG_EEES6_PlJS6_EEE10hipError_tPvRmT3_T4_T5_T6_T7_T9_mT8_P12ihipStream_tbDpT10_ENKUlT_T0_E_clISt17integral_constantIbLb1EES1B_EEDaS16_S17_EUlS16_E_NS1_11comp_targetILNS1_3genE0ELNS1_11target_archE4294967295ELNS1_3gpuE0ELNS1_3repE0EEENS1_30default_config_static_selectorELNS0_4arch9wavefront6targetE0EEEvT1_,comdat
	.protected	_ZN7rocprim17ROCPRIM_400000_NS6detail17trampoline_kernelINS0_14default_configENS1_25partition_config_selectorILNS1_17partition_subalgoE5EiNS0_10empty_typeEbEEZZNS1_14partition_implILS5_5ELb0ES3_mN6thrust23THRUST_200600_302600_NS6detail15normal_iteratorINSA_10device_ptrIiEEEEPS6_NSA_18transform_iteratorINSB_9not_fun_tINSA_8identityIiEEEESF_NSA_11use_defaultESM_EENS0_5tupleIJSF_S6_EEENSO_IJSG_SG_EEES6_PlJS6_EEE10hipError_tPvRmT3_T4_T5_T6_T7_T9_mT8_P12ihipStream_tbDpT10_ENKUlT_T0_E_clISt17integral_constantIbLb1EES1B_EEDaS16_S17_EUlS16_E_NS1_11comp_targetILNS1_3genE0ELNS1_11target_archE4294967295ELNS1_3gpuE0ELNS1_3repE0EEENS1_30default_config_static_selectorELNS0_4arch9wavefront6targetE0EEEvT1_ ; -- Begin function _ZN7rocprim17ROCPRIM_400000_NS6detail17trampoline_kernelINS0_14default_configENS1_25partition_config_selectorILNS1_17partition_subalgoE5EiNS0_10empty_typeEbEEZZNS1_14partition_implILS5_5ELb0ES3_mN6thrust23THRUST_200600_302600_NS6detail15normal_iteratorINSA_10device_ptrIiEEEEPS6_NSA_18transform_iteratorINSB_9not_fun_tINSA_8identityIiEEEESF_NSA_11use_defaultESM_EENS0_5tupleIJSF_S6_EEENSO_IJSG_SG_EEES6_PlJS6_EEE10hipError_tPvRmT3_T4_T5_T6_T7_T9_mT8_P12ihipStream_tbDpT10_ENKUlT_T0_E_clISt17integral_constantIbLb1EES1B_EEDaS16_S17_EUlS16_E_NS1_11comp_targetILNS1_3genE0ELNS1_11target_archE4294967295ELNS1_3gpuE0ELNS1_3repE0EEENS1_30default_config_static_selectorELNS0_4arch9wavefront6targetE0EEEvT1_
	.globl	_ZN7rocprim17ROCPRIM_400000_NS6detail17trampoline_kernelINS0_14default_configENS1_25partition_config_selectorILNS1_17partition_subalgoE5EiNS0_10empty_typeEbEEZZNS1_14partition_implILS5_5ELb0ES3_mN6thrust23THRUST_200600_302600_NS6detail15normal_iteratorINSA_10device_ptrIiEEEEPS6_NSA_18transform_iteratorINSB_9not_fun_tINSA_8identityIiEEEESF_NSA_11use_defaultESM_EENS0_5tupleIJSF_S6_EEENSO_IJSG_SG_EEES6_PlJS6_EEE10hipError_tPvRmT3_T4_T5_T6_T7_T9_mT8_P12ihipStream_tbDpT10_ENKUlT_T0_E_clISt17integral_constantIbLb1EES1B_EEDaS16_S17_EUlS16_E_NS1_11comp_targetILNS1_3genE0ELNS1_11target_archE4294967295ELNS1_3gpuE0ELNS1_3repE0EEENS1_30default_config_static_selectorELNS0_4arch9wavefront6targetE0EEEvT1_
	.p2align	8
	.type	_ZN7rocprim17ROCPRIM_400000_NS6detail17trampoline_kernelINS0_14default_configENS1_25partition_config_selectorILNS1_17partition_subalgoE5EiNS0_10empty_typeEbEEZZNS1_14partition_implILS5_5ELb0ES3_mN6thrust23THRUST_200600_302600_NS6detail15normal_iteratorINSA_10device_ptrIiEEEEPS6_NSA_18transform_iteratorINSB_9not_fun_tINSA_8identityIiEEEESF_NSA_11use_defaultESM_EENS0_5tupleIJSF_S6_EEENSO_IJSG_SG_EEES6_PlJS6_EEE10hipError_tPvRmT3_T4_T5_T6_T7_T9_mT8_P12ihipStream_tbDpT10_ENKUlT_T0_E_clISt17integral_constantIbLb1EES1B_EEDaS16_S17_EUlS16_E_NS1_11comp_targetILNS1_3genE0ELNS1_11target_archE4294967295ELNS1_3gpuE0ELNS1_3repE0EEENS1_30default_config_static_selectorELNS0_4arch9wavefront6targetE0EEEvT1_,@function
_ZN7rocprim17ROCPRIM_400000_NS6detail17trampoline_kernelINS0_14default_configENS1_25partition_config_selectorILNS1_17partition_subalgoE5EiNS0_10empty_typeEbEEZZNS1_14partition_implILS5_5ELb0ES3_mN6thrust23THRUST_200600_302600_NS6detail15normal_iteratorINSA_10device_ptrIiEEEEPS6_NSA_18transform_iteratorINSB_9not_fun_tINSA_8identityIiEEEESF_NSA_11use_defaultESM_EENS0_5tupleIJSF_S6_EEENSO_IJSG_SG_EEES6_PlJS6_EEE10hipError_tPvRmT3_T4_T5_T6_T7_T9_mT8_P12ihipStream_tbDpT10_ENKUlT_T0_E_clISt17integral_constantIbLb1EES1B_EEDaS16_S17_EUlS16_E_NS1_11comp_targetILNS1_3genE0ELNS1_11target_archE4294967295ELNS1_3gpuE0ELNS1_3repE0EEENS1_30default_config_static_selectorELNS0_4arch9wavefront6targetE0EEEvT1_: ; @_ZN7rocprim17ROCPRIM_400000_NS6detail17trampoline_kernelINS0_14default_configENS1_25partition_config_selectorILNS1_17partition_subalgoE5EiNS0_10empty_typeEbEEZZNS1_14partition_implILS5_5ELb0ES3_mN6thrust23THRUST_200600_302600_NS6detail15normal_iteratorINSA_10device_ptrIiEEEEPS6_NSA_18transform_iteratorINSB_9not_fun_tINSA_8identityIiEEEESF_NSA_11use_defaultESM_EENS0_5tupleIJSF_S6_EEENSO_IJSG_SG_EEES6_PlJS6_EEE10hipError_tPvRmT3_T4_T5_T6_T7_T9_mT8_P12ihipStream_tbDpT10_ENKUlT_T0_E_clISt17integral_constantIbLb1EES1B_EEDaS16_S17_EUlS16_E_NS1_11comp_targetILNS1_3genE0ELNS1_11target_archE4294967295ELNS1_3gpuE0ELNS1_3repE0EEENS1_30default_config_static_selectorELNS0_4arch9wavefront6targetE0EEEvT1_
; %bb.0:
	.section	.rodata,"a",@progbits
	.p2align	6, 0x0
	.amdhsa_kernel _ZN7rocprim17ROCPRIM_400000_NS6detail17trampoline_kernelINS0_14default_configENS1_25partition_config_selectorILNS1_17partition_subalgoE5EiNS0_10empty_typeEbEEZZNS1_14partition_implILS5_5ELb0ES3_mN6thrust23THRUST_200600_302600_NS6detail15normal_iteratorINSA_10device_ptrIiEEEEPS6_NSA_18transform_iteratorINSB_9not_fun_tINSA_8identityIiEEEESF_NSA_11use_defaultESM_EENS0_5tupleIJSF_S6_EEENSO_IJSG_SG_EEES6_PlJS6_EEE10hipError_tPvRmT3_T4_T5_T6_T7_T9_mT8_P12ihipStream_tbDpT10_ENKUlT_T0_E_clISt17integral_constantIbLb1EES1B_EEDaS16_S17_EUlS16_E_NS1_11comp_targetILNS1_3genE0ELNS1_11target_archE4294967295ELNS1_3gpuE0ELNS1_3repE0EEENS1_30default_config_static_selectorELNS0_4arch9wavefront6targetE0EEEvT1_
		.amdhsa_group_segment_fixed_size 0
		.amdhsa_private_segment_fixed_size 0
		.amdhsa_kernarg_size 136
		.amdhsa_user_sgpr_count 2
		.amdhsa_user_sgpr_dispatch_ptr 0
		.amdhsa_user_sgpr_queue_ptr 0
		.amdhsa_user_sgpr_kernarg_segment_ptr 1
		.amdhsa_user_sgpr_dispatch_id 0
		.amdhsa_user_sgpr_private_segment_size 0
		.amdhsa_wavefront_size32 1
		.amdhsa_uses_dynamic_stack 0
		.amdhsa_enable_private_segment 0
		.amdhsa_system_sgpr_workgroup_id_x 1
		.amdhsa_system_sgpr_workgroup_id_y 0
		.amdhsa_system_sgpr_workgroup_id_z 0
		.amdhsa_system_sgpr_workgroup_info 0
		.amdhsa_system_vgpr_workitem_id 0
		.amdhsa_next_free_vgpr 1
		.amdhsa_next_free_sgpr 1
		.amdhsa_reserve_vcc 0
		.amdhsa_float_round_mode_32 0
		.amdhsa_float_round_mode_16_64 0
		.amdhsa_float_denorm_mode_32 3
		.amdhsa_float_denorm_mode_16_64 3
		.amdhsa_fp16_overflow 0
		.amdhsa_workgroup_processor_mode 1
		.amdhsa_memory_ordered 1
		.amdhsa_forward_progress 1
		.amdhsa_inst_pref_size 0
		.amdhsa_round_robin_scheduling 0
		.amdhsa_exception_fp_ieee_invalid_op 0
		.amdhsa_exception_fp_denorm_src 0
		.amdhsa_exception_fp_ieee_div_zero 0
		.amdhsa_exception_fp_ieee_overflow 0
		.amdhsa_exception_fp_ieee_underflow 0
		.amdhsa_exception_fp_ieee_inexact 0
		.amdhsa_exception_int_div_zero 0
	.end_amdhsa_kernel
	.section	.text._ZN7rocprim17ROCPRIM_400000_NS6detail17trampoline_kernelINS0_14default_configENS1_25partition_config_selectorILNS1_17partition_subalgoE5EiNS0_10empty_typeEbEEZZNS1_14partition_implILS5_5ELb0ES3_mN6thrust23THRUST_200600_302600_NS6detail15normal_iteratorINSA_10device_ptrIiEEEEPS6_NSA_18transform_iteratorINSB_9not_fun_tINSA_8identityIiEEEESF_NSA_11use_defaultESM_EENS0_5tupleIJSF_S6_EEENSO_IJSG_SG_EEES6_PlJS6_EEE10hipError_tPvRmT3_T4_T5_T6_T7_T9_mT8_P12ihipStream_tbDpT10_ENKUlT_T0_E_clISt17integral_constantIbLb1EES1B_EEDaS16_S17_EUlS16_E_NS1_11comp_targetILNS1_3genE0ELNS1_11target_archE4294967295ELNS1_3gpuE0ELNS1_3repE0EEENS1_30default_config_static_selectorELNS0_4arch9wavefront6targetE0EEEvT1_,"axG",@progbits,_ZN7rocprim17ROCPRIM_400000_NS6detail17trampoline_kernelINS0_14default_configENS1_25partition_config_selectorILNS1_17partition_subalgoE5EiNS0_10empty_typeEbEEZZNS1_14partition_implILS5_5ELb0ES3_mN6thrust23THRUST_200600_302600_NS6detail15normal_iteratorINSA_10device_ptrIiEEEEPS6_NSA_18transform_iteratorINSB_9not_fun_tINSA_8identityIiEEEESF_NSA_11use_defaultESM_EENS0_5tupleIJSF_S6_EEENSO_IJSG_SG_EEES6_PlJS6_EEE10hipError_tPvRmT3_T4_T5_T6_T7_T9_mT8_P12ihipStream_tbDpT10_ENKUlT_T0_E_clISt17integral_constantIbLb1EES1B_EEDaS16_S17_EUlS16_E_NS1_11comp_targetILNS1_3genE0ELNS1_11target_archE4294967295ELNS1_3gpuE0ELNS1_3repE0EEENS1_30default_config_static_selectorELNS0_4arch9wavefront6targetE0EEEvT1_,comdat
.Lfunc_end989:
	.size	_ZN7rocprim17ROCPRIM_400000_NS6detail17trampoline_kernelINS0_14default_configENS1_25partition_config_selectorILNS1_17partition_subalgoE5EiNS0_10empty_typeEbEEZZNS1_14partition_implILS5_5ELb0ES3_mN6thrust23THRUST_200600_302600_NS6detail15normal_iteratorINSA_10device_ptrIiEEEEPS6_NSA_18transform_iteratorINSB_9not_fun_tINSA_8identityIiEEEESF_NSA_11use_defaultESM_EENS0_5tupleIJSF_S6_EEENSO_IJSG_SG_EEES6_PlJS6_EEE10hipError_tPvRmT3_T4_T5_T6_T7_T9_mT8_P12ihipStream_tbDpT10_ENKUlT_T0_E_clISt17integral_constantIbLb1EES1B_EEDaS16_S17_EUlS16_E_NS1_11comp_targetILNS1_3genE0ELNS1_11target_archE4294967295ELNS1_3gpuE0ELNS1_3repE0EEENS1_30default_config_static_selectorELNS0_4arch9wavefront6targetE0EEEvT1_, .Lfunc_end989-_ZN7rocprim17ROCPRIM_400000_NS6detail17trampoline_kernelINS0_14default_configENS1_25partition_config_selectorILNS1_17partition_subalgoE5EiNS0_10empty_typeEbEEZZNS1_14partition_implILS5_5ELb0ES3_mN6thrust23THRUST_200600_302600_NS6detail15normal_iteratorINSA_10device_ptrIiEEEEPS6_NSA_18transform_iteratorINSB_9not_fun_tINSA_8identityIiEEEESF_NSA_11use_defaultESM_EENS0_5tupleIJSF_S6_EEENSO_IJSG_SG_EEES6_PlJS6_EEE10hipError_tPvRmT3_T4_T5_T6_T7_T9_mT8_P12ihipStream_tbDpT10_ENKUlT_T0_E_clISt17integral_constantIbLb1EES1B_EEDaS16_S17_EUlS16_E_NS1_11comp_targetILNS1_3genE0ELNS1_11target_archE4294967295ELNS1_3gpuE0ELNS1_3repE0EEENS1_30default_config_static_selectorELNS0_4arch9wavefront6targetE0EEEvT1_
                                        ; -- End function
	.set _ZN7rocprim17ROCPRIM_400000_NS6detail17trampoline_kernelINS0_14default_configENS1_25partition_config_selectorILNS1_17partition_subalgoE5EiNS0_10empty_typeEbEEZZNS1_14partition_implILS5_5ELb0ES3_mN6thrust23THRUST_200600_302600_NS6detail15normal_iteratorINSA_10device_ptrIiEEEEPS6_NSA_18transform_iteratorINSB_9not_fun_tINSA_8identityIiEEEESF_NSA_11use_defaultESM_EENS0_5tupleIJSF_S6_EEENSO_IJSG_SG_EEES6_PlJS6_EEE10hipError_tPvRmT3_T4_T5_T6_T7_T9_mT8_P12ihipStream_tbDpT10_ENKUlT_T0_E_clISt17integral_constantIbLb1EES1B_EEDaS16_S17_EUlS16_E_NS1_11comp_targetILNS1_3genE0ELNS1_11target_archE4294967295ELNS1_3gpuE0ELNS1_3repE0EEENS1_30default_config_static_selectorELNS0_4arch9wavefront6targetE0EEEvT1_.num_vgpr, 0
	.set _ZN7rocprim17ROCPRIM_400000_NS6detail17trampoline_kernelINS0_14default_configENS1_25partition_config_selectorILNS1_17partition_subalgoE5EiNS0_10empty_typeEbEEZZNS1_14partition_implILS5_5ELb0ES3_mN6thrust23THRUST_200600_302600_NS6detail15normal_iteratorINSA_10device_ptrIiEEEEPS6_NSA_18transform_iteratorINSB_9not_fun_tINSA_8identityIiEEEESF_NSA_11use_defaultESM_EENS0_5tupleIJSF_S6_EEENSO_IJSG_SG_EEES6_PlJS6_EEE10hipError_tPvRmT3_T4_T5_T6_T7_T9_mT8_P12ihipStream_tbDpT10_ENKUlT_T0_E_clISt17integral_constantIbLb1EES1B_EEDaS16_S17_EUlS16_E_NS1_11comp_targetILNS1_3genE0ELNS1_11target_archE4294967295ELNS1_3gpuE0ELNS1_3repE0EEENS1_30default_config_static_selectorELNS0_4arch9wavefront6targetE0EEEvT1_.num_agpr, 0
	.set _ZN7rocprim17ROCPRIM_400000_NS6detail17trampoline_kernelINS0_14default_configENS1_25partition_config_selectorILNS1_17partition_subalgoE5EiNS0_10empty_typeEbEEZZNS1_14partition_implILS5_5ELb0ES3_mN6thrust23THRUST_200600_302600_NS6detail15normal_iteratorINSA_10device_ptrIiEEEEPS6_NSA_18transform_iteratorINSB_9not_fun_tINSA_8identityIiEEEESF_NSA_11use_defaultESM_EENS0_5tupleIJSF_S6_EEENSO_IJSG_SG_EEES6_PlJS6_EEE10hipError_tPvRmT3_T4_T5_T6_T7_T9_mT8_P12ihipStream_tbDpT10_ENKUlT_T0_E_clISt17integral_constantIbLb1EES1B_EEDaS16_S17_EUlS16_E_NS1_11comp_targetILNS1_3genE0ELNS1_11target_archE4294967295ELNS1_3gpuE0ELNS1_3repE0EEENS1_30default_config_static_selectorELNS0_4arch9wavefront6targetE0EEEvT1_.numbered_sgpr, 0
	.set _ZN7rocprim17ROCPRIM_400000_NS6detail17trampoline_kernelINS0_14default_configENS1_25partition_config_selectorILNS1_17partition_subalgoE5EiNS0_10empty_typeEbEEZZNS1_14partition_implILS5_5ELb0ES3_mN6thrust23THRUST_200600_302600_NS6detail15normal_iteratorINSA_10device_ptrIiEEEEPS6_NSA_18transform_iteratorINSB_9not_fun_tINSA_8identityIiEEEESF_NSA_11use_defaultESM_EENS0_5tupleIJSF_S6_EEENSO_IJSG_SG_EEES6_PlJS6_EEE10hipError_tPvRmT3_T4_T5_T6_T7_T9_mT8_P12ihipStream_tbDpT10_ENKUlT_T0_E_clISt17integral_constantIbLb1EES1B_EEDaS16_S17_EUlS16_E_NS1_11comp_targetILNS1_3genE0ELNS1_11target_archE4294967295ELNS1_3gpuE0ELNS1_3repE0EEENS1_30default_config_static_selectorELNS0_4arch9wavefront6targetE0EEEvT1_.num_named_barrier, 0
	.set _ZN7rocprim17ROCPRIM_400000_NS6detail17trampoline_kernelINS0_14default_configENS1_25partition_config_selectorILNS1_17partition_subalgoE5EiNS0_10empty_typeEbEEZZNS1_14partition_implILS5_5ELb0ES3_mN6thrust23THRUST_200600_302600_NS6detail15normal_iteratorINSA_10device_ptrIiEEEEPS6_NSA_18transform_iteratorINSB_9not_fun_tINSA_8identityIiEEEESF_NSA_11use_defaultESM_EENS0_5tupleIJSF_S6_EEENSO_IJSG_SG_EEES6_PlJS6_EEE10hipError_tPvRmT3_T4_T5_T6_T7_T9_mT8_P12ihipStream_tbDpT10_ENKUlT_T0_E_clISt17integral_constantIbLb1EES1B_EEDaS16_S17_EUlS16_E_NS1_11comp_targetILNS1_3genE0ELNS1_11target_archE4294967295ELNS1_3gpuE0ELNS1_3repE0EEENS1_30default_config_static_selectorELNS0_4arch9wavefront6targetE0EEEvT1_.private_seg_size, 0
	.set _ZN7rocprim17ROCPRIM_400000_NS6detail17trampoline_kernelINS0_14default_configENS1_25partition_config_selectorILNS1_17partition_subalgoE5EiNS0_10empty_typeEbEEZZNS1_14partition_implILS5_5ELb0ES3_mN6thrust23THRUST_200600_302600_NS6detail15normal_iteratorINSA_10device_ptrIiEEEEPS6_NSA_18transform_iteratorINSB_9not_fun_tINSA_8identityIiEEEESF_NSA_11use_defaultESM_EENS0_5tupleIJSF_S6_EEENSO_IJSG_SG_EEES6_PlJS6_EEE10hipError_tPvRmT3_T4_T5_T6_T7_T9_mT8_P12ihipStream_tbDpT10_ENKUlT_T0_E_clISt17integral_constantIbLb1EES1B_EEDaS16_S17_EUlS16_E_NS1_11comp_targetILNS1_3genE0ELNS1_11target_archE4294967295ELNS1_3gpuE0ELNS1_3repE0EEENS1_30default_config_static_selectorELNS0_4arch9wavefront6targetE0EEEvT1_.uses_vcc, 0
	.set _ZN7rocprim17ROCPRIM_400000_NS6detail17trampoline_kernelINS0_14default_configENS1_25partition_config_selectorILNS1_17partition_subalgoE5EiNS0_10empty_typeEbEEZZNS1_14partition_implILS5_5ELb0ES3_mN6thrust23THRUST_200600_302600_NS6detail15normal_iteratorINSA_10device_ptrIiEEEEPS6_NSA_18transform_iteratorINSB_9not_fun_tINSA_8identityIiEEEESF_NSA_11use_defaultESM_EENS0_5tupleIJSF_S6_EEENSO_IJSG_SG_EEES6_PlJS6_EEE10hipError_tPvRmT3_T4_T5_T6_T7_T9_mT8_P12ihipStream_tbDpT10_ENKUlT_T0_E_clISt17integral_constantIbLb1EES1B_EEDaS16_S17_EUlS16_E_NS1_11comp_targetILNS1_3genE0ELNS1_11target_archE4294967295ELNS1_3gpuE0ELNS1_3repE0EEENS1_30default_config_static_selectorELNS0_4arch9wavefront6targetE0EEEvT1_.uses_flat_scratch, 0
	.set _ZN7rocprim17ROCPRIM_400000_NS6detail17trampoline_kernelINS0_14default_configENS1_25partition_config_selectorILNS1_17partition_subalgoE5EiNS0_10empty_typeEbEEZZNS1_14partition_implILS5_5ELb0ES3_mN6thrust23THRUST_200600_302600_NS6detail15normal_iteratorINSA_10device_ptrIiEEEEPS6_NSA_18transform_iteratorINSB_9not_fun_tINSA_8identityIiEEEESF_NSA_11use_defaultESM_EENS0_5tupleIJSF_S6_EEENSO_IJSG_SG_EEES6_PlJS6_EEE10hipError_tPvRmT3_T4_T5_T6_T7_T9_mT8_P12ihipStream_tbDpT10_ENKUlT_T0_E_clISt17integral_constantIbLb1EES1B_EEDaS16_S17_EUlS16_E_NS1_11comp_targetILNS1_3genE0ELNS1_11target_archE4294967295ELNS1_3gpuE0ELNS1_3repE0EEENS1_30default_config_static_selectorELNS0_4arch9wavefront6targetE0EEEvT1_.has_dyn_sized_stack, 0
	.set _ZN7rocprim17ROCPRIM_400000_NS6detail17trampoline_kernelINS0_14default_configENS1_25partition_config_selectorILNS1_17partition_subalgoE5EiNS0_10empty_typeEbEEZZNS1_14partition_implILS5_5ELb0ES3_mN6thrust23THRUST_200600_302600_NS6detail15normal_iteratorINSA_10device_ptrIiEEEEPS6_NSA_18transform_iteratorINSB_9not_fun_tINSA_8identityIiEEEESF_NSA_11use_defaultESM_EENS0_5tupleIJSF_S6_EEENSO_IJSG_SG_EEES6_PlJS6_EEE10hipError_tPvRmT3_T4_T5_T6_T7_T9_mT8_P12ihipStream_tbDpT10_ENKUlT_T0_E_clISt17integral_constantIbLb1EES1B_EEDaS16_S17_EUlS16_E_NS1_11comp_targetILNS1_3genE0ELNS1_11target_archE4294967295ELNS1_3gpuE0ELNS1_3repE0EEENS1_30default_config_static_selectorELNS0_4arch9wavefront6targetE0EEEvT1_.has_recursion, 0
	.set _ZN7rocprim17ROCPRIM_400000_NS6detail17trampoline_kernelINS0_14default_configENS1_25partition_config_selectorILNS1_17partition_subalgoE5EiNS0_10empty_typeEbEEZZNS1_14partition_implILS5_5ELb0ES3_mN6thrust23THRUST_200600_302600_NS6detail15normal_iteratorINSA_10device_ptrIiEEEEPS6_NSA_18transform_iteratorINSB_9not_fun_tINSA_8identityIiEEEESF_NSA_11use_defaultESM_EENS0_5tupleIJSF_S6_EEENSO_IJSG_SG_EEES6_PlJS6_EEE10hipError_tPvRmT3_T4_T5_T6_T7_T9_mT8_P12ihipStream_tbDpT10_ENKUlT_T0_E_clISt17integral_constantIbLb1EES1B_EEDaS16_S17_EUlS16_E_NS1_11comp_targetILNS1_3genE0ELNS1_11target_archE4294967295ELNS1_3gpuE0ELNS1_3repE0EEENS1_30default_config_static_selectorELNS0_4arch9wavefront6targetE0EEEvT1_.has_indirect_call, 0
	.section	.AMDGPU.csdata,"",@progbits
; Kernel info:
; codeLenInByte = 0
; TotalNumSgprs: 0
; NumVgprs: 0
; ScratchSize: 0
; MemoryBound: 0
; FloatMode: 240
; IeeeMode: 1
; LDSByteSize: 0 bytes/workgroup (compile time only)
; SGPRBlocks: 0
; VGPRBlocks: 0
; NumSGPRsForWavesPerEU: 1
; NumVGPRsForWavesPerEU: 1
; Occupancy: 16
; WaveLimiterHint : 0
; COMPUTE_PGM_RSRC2:SCRATCH_EN: 0
; COMPUTE_PGM_RSRC2:USER_SGPR: 2
; COMPUTE_PGM_RSRC2:TRAP_HANDLER: 0
; COMPUTE_PGM_RSRC2:TGID_X_EN: 1
; COMPUTE_PGM_RSRC2:TGID_Y_EN: 0
; COMPUTE_PGM_RSRC2:TGID_Z_EN: 0
; COMPUTE_PGM_RSRC2:TIDIG_COMP_CNT: 0
	.section	.text._ZN7rocprim17ROCPRIM_400000_NS6detail17trampoline_kernelINS0_14default_configENS1_25partition_config_selectorILNS1_17partition_subalgoE5EiNS0_10empty_typeEbEEZZNS1_14partition_implILS5_5ELb0ES3_mN6thrust23THRUST_200600_302600_NS6detail15normal_iteratorINSA_10device_ptrIiEEEEPS6_NSA_18transform_iteratorINSB_9not_fun_tINSA_8identityIiEEEESF_NSA_11use_defaultESM_EENS0_5tupleIJSF_S6_EEENSO_IJSG_SG_EEES6_PlJS6_EEE10hipError_tPvRmT3_T4_T5_T6_T7_T9_mT8_P12ihipStream_tbDpT10_ENKUlT_T0_E_clISt17integral_constantIbLb1EES1B_EEDaS16_S17_EUlS16_E_NS1_11comp_targetILNS1_3genE5ELNS1_11target_archE942ELNS1_3gpuE9ELNS1_3repE0EEENS1_30default_config_static_selectorELNS0_4arch9wavefront6targetE0EEEvT1_,"axG",@progbits,_ZN7rocprim17ROCPRIM_400000_NS6detail17trampoline_kernelINS0_14default_configENS1_25partition_config_selectorILNS1_17partition_subalgoE5EiNS0_10empty_typeEbEEZZNS1_14partition_implILS5_5ELb0ES3_mN6thrust23THRUST_200600_302600_NS6detail15normal_iteratorINSA_10device_ptrIiEEEEPS6_NSA_18transform_iteratorINSB_9not_fun_tINSA_8identityIiEEEESF_NSA_11use_defaultESM_EENS0_5tupleIJSF_S6_EEENSO_IJSG_SG_EEES6_PlJS6_EEE10hipError_tPvRmT3_T4_T5_T6_T7_T9_mT8_P12ihipStream_tbDpT10_ENKUlT_T0_E_clISt17integral_constantIbLb1EES1B_EEDaS16_S17_EUlS16_E_NS1_11comp_targetILNS1_3genE5ELNS1_11target_archE942ELNS1_3gpuE9ELNS1_3repE0EEENS1_30default_config_static_selectorELNS0_4arch9wavefront6targetE0EEEvT1_,comdat
	.protected	_ZN7rocprim17ROCPRIM_400000_NS6detail17trampoline_kernelINS0_14default_configENS1_25partition_config_selectorILNS1_17partition_subalgoE5EiNS0_10empty_typeEbEEZZNS1_14partition_implILS5_5ELb0ES3_mN6thrust23THRUST_200600_302600_NS6detail15normal_iteratorINSA_10device_ptrIiEEEEPS6_NSA_18transform_iteratorINSB_9not_fun_tINSA_8identityIiEEEESF_NSA_11use_defaultESM_EENS0_5tupleIJSF_S6_EEENSO_IJSG_SG_EEES6_PlJS6_EEE10hipError_tPvRmT3_T4_T5_T6_T7_T9_mT8_P12ihipStream_tbDpT10_ENKUlT_T0_E_clISt17integral_constantIbLb1EES1B_EEDaS16_S17_EUlS16_E_NS1_11comp_targetILNS1_3genE5ELNS1_11target_archE942ELNS1_3gpuE9ELNS1_3repE0EEENS1_30default_config_static_selectorELNS0_4arch9wavefront6targetE0EEEvT1_ ; -- Begin function _ZN7rocprim17ROCPRIM_400000_NS6detail17trampoline_kernelINS0_14default_configENS1_25partition_config_selectorILNS1_17partition_subalgoE5EiNS0_10empty_typeEbEEZZNS1_14partition_implILS5_5ELb0ES3_mN6thrust23THRUST_200600_302600_NS6detail15normal_iteratorINSA_10device_ptrIiEEEEPS6_NSA_18transform_iteratorINSB_9not_fun_tINSA_8identityIiEEEESF_NSA_11use_defaultESM_EENS0_5tupleIJSF_S6_EEENSO_IJSG_SG_EEES6_PlJS6_EEE10hipError_tPvRmT3_T4_T5_T6_T7_T9_mT8_P12ihipStream_tbDpT10_ENKUlT_T0_E_clISt17integral_constantIbLb1EES1B_EEDaS16_S17_EUlS16_E_NS1_11comp_targetILNS1_3genE5ELNS1_11target_archE942ELNS1_3gpuE9ELNS1_3repE0EEENS1_30default_config_static_selectorELNS0_4arch9wavefront6targetE0EEEvT1_
	.globl	_ZN7rocprim17ROCPRIM_400000_NS6detail17trampoline_kernelINS0_14default_configENS1_25partition_config_selectorILNS1_17partition_subalgoE5EiNS0_10empty_typeEbEEZZNS1_14partition_implILS5_5ELb0ES3_mN6thrust23THRUST_200600_302600_NS6detail15normal_iteratorINSA_10device_ptrIiEEEEPS6_NSA_18transform_iteratorINSB_9not_fun_tINSA_8identityIiEEEESF_NSA_11use_defaultESM_EENS0_5tupleIJSF_S6_EEENSO_IJSG_SG_EEES6_PlJS6_EEE10hipError_tPvRmT3_T4_T5_T6_T7_T9_mT8_P12ihipStream_tbDpT10_ENKUlT_T0_E_clISt17integral_constantIbLb1EES1B_EEDaS16_S17_EUlS16_E_NS1_11comp_targetILNS1_3genE5ELNS1_11target_archE942ELNS1_3gpuE9ELNS1_3repE0EEENS1_30default_config_static_selectorELNS0_4arch9wavefront6targetE0EEEvT1_
	.p2align	8
	.type	_ZN7rocprim17ROCPRIM_400000_NS6detail17trampoline_kernelINS0_14default_configENS1_25partition_config_selectorILNS1_17partition_subalgoE5EiNS0_10empty_typeEbEEZZNS1_14partition_implILS5_5ELb0ES3_mN6thrust23THRUST_200600_302600_NS6detail15normal_iteratorINSA_10device_ptrIiEEEEPS6_NSA_18transform_iteratorINSB_9not_fun_tINSA_8identityIiEEEESF_NSA_11use_defaultESM_EENS0_5tupleIJSF_S6_EEENSO_IJSG_SG_EEES6_PlJS6_EEE10hipError_tPvRmT3_T4_T5_T6_T7_T9_mT8_P12ihipStream_tbDpT10_ENKUlT_T0_E_clISt17integral_constantIbLb1EES1B_EEDaS16_S17_EUlS16_E_NS1_11comp_targetILNS1_3genE5ELNS1_11target_archE942ELNS1_3gpuE9ELNS1_3repE0EEENS1_30default_config_static_selectorELNS0_4arch9wavefront6targetE0EEEvT1_,@function
_ZN7rocprim17ROCPRIM_400000_NS6detail17trampoline_kernelINS0_14default_configENS1_25partition_config_selectorILNS1_17partition_subalgoE5EiNS0_10empty_typeEbEEZZNS1_14partition_implILS5_5ELb0ES3_mN6thrust23THRUST_200600_302600_NS6detail15normal_iteratorINSA_10device_ptrIiEEEEPS6_NSA_18transform_iteratorINSB_9not_fun_tINSA_8identityIiEEEESF_NSA_11use_defaultESM_EENS0_5tupleIJSF_S6_EEENSO_IJSG_SG_EEES6_PlJS6_EEE10hipError_tPvRmT3_T4_T5_T6_T7_T9_mT8_P12ihipStream_tbDpT10_ENKUlT_T0_E_clISt17integral_constantIbLb1EES1B_EEDaS16_S17_EUlS16_E_NS1_11comp_targetILNS1_3genE5ELNS1_11target_archE942ELNS1_3gpuE9ELNS1_3repE0EEENS1_30default_config_static_selectorELNS0_4arch9wavefront6targetE0EEEvT1_: ; @_ZN7rocprim17ROCPRIM_400000_NS6detail17trampoline_kernelINS0_14default_configENS1_25partition_config_selectorILNS1_17partition_subalgoE5EiNS0_10empty_typeEbEEZZNS1_14partition_implILS5_5ELb0ES3_mN6thrust23THRUST_200600_302600_NS6detail15normal_iteratorINSA_10device_ptrIiEEEEPS6_NSA_18transform_iteratorINSB_9not_fun_tINSA_8identityIiEEEESF_NSA_11use_defaultESM_EENS0_5tupleIJSF_S6_EEENSO_IJSG_SG_EEES6_PlJS6_EEE10hipError_tPvRmT3_T4_T5_T6_T7_T9_mT8_P12ihipStream_tbDpT10_ENKUlT_T0_E_clISt17integral_constantIbLb1EES1B_EEDaS16_S17_EUlS16_E_NS1_11comp_targetILNS1_3genE5ELNS1_11target_archE942ELNS1_3gpuE9ELNS1_3repE0EEENS1_30default_config_static_selectorELNS0_4arch9wavefront6targetE0EEEvT1_
; %bb.0:
	.section	.rodata,"a",@progbits
	.p2align	6, 0x0
	.amdhsa_kernel _ZN7rocprim17ROCPRIM_400000_NS6detail17trampoline_kernelINS0_14default_configENS1_25partition_config_selectorILNS1_17partition_subalgoE5EiNS0_10empty_typeEbEEZZNS1_14partition_implILS5_5ELb0ES3_mN6thrust23THRUST_200600_302600_NS6detail15normal_iteratorINSA_10device_ptrIiEEEEPS6_NSA_18transform_iteratorINSB_9not_fun_tINSA_8identityIiEEEESF_NSA_11use_defaultESM_EENS0_5tupleIJSF_S6_EEENSO_IJSG_SG_EEES6_PlJS6_EEE10hipError_tPvRmT3_T4_T5_T6_T7_T9_mT8_P12ihipStream_tbDpT10_ENKUlT_T0_E_clISt17integral_constantIbLb1EES1B_EEDaS16_S17_EUlS16_E_NS1_11comp_targetILNS1_3genE5ELNS1_11target_archE942ELNS1_3gpuE9ELNS1_3repE0EEENS1_30default_config_static_selectorELNS0_4arch9wavefront6targetE0EEEvT1_
		.amdhsa_group_segment_fixed_size 0
		.amdhsa_private_segment_fixed_size 0
		.amdhsa_kernarg_size 136
		.amdhsa_user_sgpr_count 2
		.amdhsa_user_sgpr_dispatch_ptr 0
		.amdhsa_user_sgpr_queue_ptr 0
		.amdhsa_user_sgpr_kernarg_segment_ptr 1
		.amdhsa_user_sgpr_dispatch_id 0
		.amdhsa_user_sgpr_private_segment_size 0
		.amdhsa_wavefront_size32 1
		.amdhsa_uses_dynamic_stack 0
		.amdhsa_enable_private_segment 0
		.amdhsa_system_sgpr_workgroup_id_x 1
		.amdhsa_system_sgpr_workgroup_id_y 0
		.amdhsa_system_sgpr_workgroup_id_z 0
		.amdhsa_system_sgpr_workgroup_info 0
		.amdhsa_system_vgpr_workitem_id 0
		.amdhsa_next_free_vgpr 1
		.amdhsa_next_free_sgpr 1
		.amdhsa_reserve_vcc 0
		.amdhsa_float_round_mode_32 0
		.amdhsa_float_round_mode_16_64 0
		.amdhsa_float_denorm_mode_32 3
		.amdhsa_float_denorm_mode_16_64 3
		.amdhsa_fp16_overflow 0
		.amdhsa_workgroup_processor_mode 1
		.amdhsa_memory_ordered 1
		.amdhsa_forward_progress 1
		.amdhsa_inst_pref_size 0
		.amdhsa_round_robin_scheduling 0
		.amdhsa_exception_fp_ieee_invalid_op 0
		.amdhsa_exception_fp_denorm_src 0
		.amdhsa_exception_fp_ieee_div_zero 0
		.amdhsa_exception_fp_ieee_overflow 0
		.amdhsa_exception_fp_ieee_underflow 0
		.amdhsa_exception_fp_ieee_inexact 0
		.amdhsa_exception_int_div_zero 0
	.end_amdhsa_kernel
	.section	.text._ZN7rocprim17ROCPRIM_400000_NS6detail17trampoline_kernelINS0_14default_configENS1_25partition_config_selectorILNS1_17partition_subalgoE5EiNS0_10empty_typeEbEEZZNS1_14partition_implILS5_5ELb0ES3_mN6thrust23THRUST_200600_302600_NS6detail15normal_iteratorINSA_10device_ptrIiEEEEPS6_NSA_18transform_iteratorINSB_9not_fun_tINSA_8identityIiEEEESF_NSA_11use_defaultESM_EENS0_5tupleIJSF_S6_EEENSO_IJSG_SG_EEES6_PlJS6_EEE10hipError_tPvRmT3_T4_T5_T6_T7_T9_mT8_P12ihipStream_tbDpT10_ENKUlT_T0_E_clISt17integral_constantIbLb1EES1B_EEDaS16_S17_EUlS16_E_NS1_11comp_targetILNS1_3genE5ELNS1_11target_archE942ELNS1_3gpuE9ELNS1_3repE0EEENS1_30default_config_static_selectorELNS0_4arch9wavefront6targetE0EEEvT1_,"axG",@progbits,_ZN7rocprim17ROCPRIM_400000_NS6detail17trampoline_kernelINS0_14default_configENS1_25partition_config_selectorILNS1_17partition_subalgoE5EiNS0_10empty_typeEbEEZZNS1_14partition_implILS5_5ELb0ES3_mN6thrust23THRUST_200600_302600_NS6detail15normal_iteratorINSA_10device_ptrIiEEEEPS6_NSA_18transform_iteratorINSB_9not_fun_tINSA_8identityIiEEEESF_NSA_11use_defaultESM_EENS0_5tupleIJSF_S6_EEENSO_IJSG_SG_EEES6_PlJS6_EEE10hipError_tPvRmT3_T4_T5_T6_T7_T9_mT8_P12ihipStream_tbDpT10_ENKUlT_T0_E_clISt17integral_constantIbLb1EES1B_EEDaS16_S17_EUlS16_E_NS1_11comp_targetILNS1_3genE5ELNS1_11target_archE942ELNS1_3gpuE9ELNS1_3repE0EEENS1_30default_config_static_selectorELNS0_4arch9wavefront6targetE0EEEvT1_,comdat
.Lfunc_end990:
	.size	_ZN7rocprim17ROCPRIM_400000_NS6detail17trampoline_kernelINS0_14default_configENS1_25partition_config_selectorILNS1_17partition_subalgoE5EiNS0_10empty_typeEbEEZZNS1_14partition_implILS5_5ELb0ES3_mN6thrust23THRUST_200600_302600_NS6detail15normal_iteratorINSA_10device_ptrIiEEEEPS6_NSA_18transform_iteratorINSB_9not_fun_tINSA_8identityIiEEEESF_NSA_11use_defaultESM_EENS0_5tupleIJSF_S6_EEENSO_IJSG_SG_EEES6_PlJS6_EEE10hipError_tPvRmT3_T4_T5_T6_T7_T9_mT8_P12ihipStream_tbDpT10_ENKUlT_T0_E_clISt17integral_constantIbLb1EES1B_EEDaS16_S17_EUlS16_E_NS1_11comp_targetILNS1_3genE5ELNS1_11target_archE942ELNS1_3gpuE9ELNS1_3repE0EEENS1_30default_config_static_selectorELNS0_4arch9wavefront6targetE0EEEvT1_, .Lfunc_end990-_ZN7rocprim17ROCPRIM_400000_NS6detail17trampoline_kernelINS0_14default_configENS1_25partition_config_selectorILNS1_17partition_subalgoE5EiNS0_10empty_typeEbEEZZNS1_14partition_implILS5_5ELb0ES3_mN6thrust23THRUST_200600_302600_NS6detail15normal_iteratorINSA_10device_ptrIiEEEEPS6_NSA_18transform_iteratorINSB_9not_fun_tINSA_8identityIiEEEESF_NSA_11use_defaultESM_EENS0_5tupleIJSF_S6_EEENSO_IJSG_SG_EEES6_PlJS6_EEE10hipError_tPvRmT3_T4_T5_T6_T7_T9_mT8_P12ihipStream_tbDpT10_ENKUlT_T0_E_clISt17integral_constantIbLb1EES1B_EEDaS16_S17_EUlS16_E_NS1_11comp_targetILNS1_3genE5ELNS1_11target_archE942ELNS1_3gpuE9ELNS1_3repE0EEENS1_30default_config_static_selectorELNS0_4arch9wavefront6targetE0EEEvT1_
                                        ; -- End function
	.set _ZN7rocprim17ROCPRIM_400000_NS6detail17trampoline_kernelINS0_14default_configENS1_25partition_config_selectorILNS1_17partition_subalgoE5EiNS0_10empty_typeEbEEZZNS1_14partition_implILS5_5ELb0ES3_mN6thrust23THRUST_200600_302600_NS6detail15normal_iteratorINSA_10device_ptrIiEEEEPS6_NSA_18transform_iteratorINSB_9not_fun_tINSA_8identityIiEEEESF_NSA_11use_defaultESM_EENS0_5tupleIJSF_S6_EEENSO_IJSG_SG_EEES6_PlJS6_EEE10hipError_tPvRmT3_T4_T5_T6_T7_T9_mT8_P12ihipStream_tbDpT10_ENKUlT_T0_E_clISt17integral_constantIbLb1EES1B_EEDaS16_S17_EUlS16_E_NS1_11comp_targetILNS1_3genE5ELNS1_11target_archE942ELNS1_3gpuE9ELNS1_3repE0EEENS1_30default_config_static_selectorELNS0_4arch9wavefront6targetE0EEEvT1_.num_vgpr, 0
	.set _ZN7rocprim17ROCPRIM_400000_NS6detail17trampoline_kernelINS0_14default_configENS1_25partition_config_selectorILNS1_17partition_subalgoE5EiNS0_10empty_typeEbEEZZNS1_14partition_implILS5_5ELb0ES3_mN6thrust23THRUST_200600_302600_NS6detail15normal_iteratorINSA_10device_ptrIiEEEEPS6_NSA_18transform_iteratorINSB_9not_fun_tINSA_8identityIiEEEESF_NSA_11use_defaultESM_EENS0_5tupleIJSF_S6_EEENSO_IJSG_SG_EEES6_PlJS6_EEE10hipError_tPvRmT3_T4_T5_T6_T7_T9_mT8_P12ihipStream_tbDpT10_ENKUlT_T0_E_clISt17integral_constantIbLb1EES1B_EEDaS16_S17_EUlS16_E_NS1_11comp_targetILNS1_3genE5ELNS1_11target_archE942ELNS1_3gpuE9ELNS1_3repE0EEENS1_30default_config_static_selectorELNS0_4arch9wavefront6targetE0EEEvT1_.num_agpr, 0
	.set _ZN7rocprim17ROCPRIM_400000_NS6detail17trampoline_kernelINS0_14default_configENS1_25partition_config_selectorILNS1_17partition_subalgoE5EiNS0_10empty_typeEbEEZZNS1_14partition_implILS5_5ELb0ES3_mN6thrust23THRUST_200600_302600_NS6detail15normal_iteratorINSA_10device_ptrIiEEEEPS6_NSA_18transform_iteratorINSB_9not_fun_tINSA_8identityIiEEEESF_NSA_11use_defaultESM_EENS0_5tupleIJSF_S6_EEENSO_IJSG_SG_EEES6_PlJS6_EEE10hipError_tPvRmT3_T4_T5_T6_T7_T9_mT8_P12ihipStream_tbDpT10_ENKUlT_T0_E_clISt17integral_constantIbLb1EES1B_EEDaS16_S17_EUlS16_E_NS1_11comp_targetILNS1_3genE5ELNS1_11target_archE942ELNS1_3gpuE9ELNS1_3repE0EEENS1_30default_config_static_selectorELNS0_4arch9wavefront6targetE0EEEvT1_.numbered_sgpr, 0
	.set _ZN7rocprim17ROCPRIM_400000_NS6detail17trampoline_kernelINS0_14default_configENS1_25partition_config_selectorILNS1_17partition_subalgoE5EiNS0_10empty_typeEbEEZZNS1_14partition_implILS5_5ELb0ES3_mN6thrust23THRUST_200600_302600_NS6detail15normal_iteratorINSA_10device_ptrIiEEEEPS6_NSA_18transform_iteratorINSB_9not_fun_tINSA_8identityIiEEEESF_NSA_11use_defaultESM_EENS0_5tupleIJSF_S6_EEENSO_IJSG_SG_EEES6_PlJS6_EEE10hipError_tPvRmT3_T4_T5_T6_T7_T9_mT8_P12ihipStream_tbDpT10_ENKUlT_T0_E_clISt17integral_constantIbLb1EES1B_EEDaS16_S17_EUlS16_E_NS1_11comp_targetILNS1_3genE5ELNS1_11target_archE942ELNS1_3gpuE9ELNS1_3repE0EEENS1_30default_config_static_selectorELNS0_4arch9wavefront6targetE0EEEvT1_.num_named_barrier, 0
	.set _ZN7rocprim17ROCPRIM_400000_NS6detail17trampoline_kernelINS0_14default_configENS1_25partition_config_selectorILNS1_17partition_subalgoE5EiNS0_10empty_typeEbEEZZNS1_14partition_implILS5_5ELb0ES3_mN6thrust23THRUST_200600_302600_NS6detail15normal_iteratorINSA_10device_ptrIiEEEEPS6_NSA_18transform_iteratorINSB_9not_fun_tINSA_8identityIiEEEESF_NSA_11use_defaultESM_EENS0_5tupleIJSF_S6_EEENSO_IJSG_SG_EEES6_PlJS6_EEE10hipError_tPvRmT3_T4_T5_T6_T7_T9_mT8_P12ihipStream_tbDpT10_ENKUlT_T0_E_clISt17integral_constantIbLb1EES1B_EEDaS16_S17_EUlS16_E_NS1_11comp_targetILNS1_3genE5ELNS1_11target_archE942ELNS1_3gpuE9ELNS1_3repE0EEENS1_30default_config_static_selectorELNS0_4arch9wavefront6targetE0EEEvT1_.private_seg_size, 0
	.set _ZN7rocprim17ROCPRIM_400000_NS6detail17trampoline_kernelINS0_14default_configENS1_25partition_config_selectorILNS1_17partition_subalgoE5EiNS0_10empty_typeEbEEZZNS1_14partition_implILS5_5ELb0ES3_mN6thrust23THRUST_200600_302600_NS6detail15normal_iteratorINSA_10device_ptrIiEEEEPS6_NSA_18transform_iteratorINSB_9not_fun_tINSA_8identityIiEEEESF_NSA_11use_defaultESM_EENS0_5tupleIJSF_S6_EEENSO_IJSG_SG_EEES6_PlJS6_EEE10hipError_tPvRmT3_T4_T5_T6_T7_T9_mT8_P12ihipStream_tbDpT10_ENKUlT_T0_E_clISt17integral_constantIbLb1EES1B_EEDaS16_S17_EUlS16_E_NS1_11comp_targetILNS1_3genE5ELNS1_11target_archE942ELNS1_3gpuE9ELNS1_3repE0EEENS1_30default_config_static_selectorELNS0_4arch9wavefront6targetE0EEEvT1_.uses_vcc, 0
	.set _ZN7rocprim17ROCPRIM_400000_NS6detail17trampoline_kernelINS0_14default_configENS1_25partition_config_selectorILNS1_17partition_subalgoE5EiNS0_10empty_typeEbEEZZNS1_14partition_implILS5_5ELb0ES3_mN6thrust23THRUST_200600_302600_NS6detail15normal_iteratorINSA_10device_ptrIiEEEEPS6_NSA_18transform_iteratorINSB_9not_fun_tINSA_8identityIiEEEESF_NSA_11use_defaultESM_EENS0_5tupleIJSF_S6_EEENSO_IJSG_SG_EEES6_PlJS6_EEE10hipError_tPvRmT3_T4_T5_T6_T7_T9_mT8_P12ihipStream_tbDpT10_ENKUlT_T0_E_clISt17integral_constantIbLb1EES1B_EEDaS16_S17_EUlS16_E_NS1_11comp_targetILNS1_3genE5ELNS1_11target_archE942ELNS1_3gpuE9ELNS1_3repE0EEENS1_30default_config_static_selectorELNS0_4arch9wavefront6targetE0EEEvT1_.uses_flat_scratch, 0
	.set _ZN7rocprim17ROCPRIM_400000_NS6detail17trampoline_kernelINS0_14default_configENS1_25partition_config_selectorILNS1_17partition_subalgoE5EiNS0_10empty_typeEbEEZZNS1_14partition_implILS5_5ELb0ES3_mN6thrust23THRUST_200600_302600_NS6detail15normal_iteratorINSA_10device_ptrIiEEEEPS6_NSA_18transform_iteratorINSB_9not_fun_tINSA_8identityIiEEEESF_NSA_11use_defaultESM_EENS0_5tupleIJSF_S6_EEENSO_IJSG_SG_EEES6_PlJS6_EEE10hipError_tPvRmT3_T4_T5_T6_T7_T9_mT8_P12ihipStream_tbDpT10_ENKUlT_T0_E_clISt17integral_constantIbLb1EES1B_EEDaS16_S17_EUlS16_E_NS1_11comp_targetILNS1_3genE5ELNS1_11target_archE942ELNS1_3gpuE9ELNS1_3repE0EEENS1_30default_config_static_selectorELNS0_4arch9wavefront6targetE0EEEvT1_.has_dyn_sized_stack, 0
	.set _ZN7rocprim17ROCPRIM_400000_NS6detail17trampoline_kernelINS0_14default_configENS1_25partition_config_selectorILNS1_17partition_subalgoE5EiNS0_10empty_typeEbEEZZNS1_14partition_implILS5_5ELb0ES3_mN6thrust23THRUST_200600_302600_NS6detail15normal_iteratorINSA_10device_ptrIiEEEEPS6_NSA_18transform_iteratorINSB_9not_fun_tINSA_8identityIiEEEESF_NSA_11use_defaultESM_EENS0_5tupleIJSF_S6_EEENSO_IJSG_SG_EEES6_PlJS6_EEE10hipError_tPvRmT3_T4_T5_T6_T7_T9_mT8_P12ihipStream_tbDpT10_ENKUlT_T0_E_clISt17integral_constantIbLb1EES1B_EEDaS16_S17_EUlS16_E_NS1_11comp_targetILNS1_3genE5ELNS1_11target_archE942ELNS1_3gpuE9ELNS1_3repE0EEENS1_30default_config_static_selectorELNS0_4arch9wavefront6targetE0EEEvT1_.has_recursion, 0
	.set _ZN7rocprim17ROCPRIM_400000_NS6detail17trampoline_kernelINS0_14default_configENS1_25partition_config_selectorILNS1_17partition_subalgoE5EiNS0_10empty_typeEbEEZZNS1_14partition_implILS5_5ELb0ES3_mN6thrust23THRUST_200600_302600_NS6detail15normal_iteratorINSA_10device_ptrIiEEEEPS6_NSA_18transform_iteratorINSB_9not_fun_tINSA_8identityIiEEEESF_NSA_11use_defaultESM_EENS0_5tupleIJSF_S6_EEENSO_IJSG_SG_EEES6_PlJS6_EEE10hipError_tPvRmT3_T4_T5_T6_T7_T9_mT8_P12ihipStream_tbDpT10_ENKUlT_T0_E_clISt17integral_constantIbLb1EES1B_EEDaS16_S17_EUlS16_E_NS1_11comp_targetILNS1_3genE5ELNS1_11target_archE942ELNS1_3gpuE9ELNS1_3repE0EEENS1_30default_config_static_selectorELNS0_4arch9wavefront6targetE0EEEvT1_.has_indirect_call, 0
	.section	.AMDGPU.csdata,"",@progbits
; Kernel info:
; codeLenInByte = 0
; TotalNumSgprs: 0
; NumVgprs: 0
; ScratchSize: 0
; MemoryBound: 0
; FloatMode: 240
; IeeeMode: 1
; LDSByteSize: 0 bytes/workgroup (compile time only)
; SGPRBlocks: 0
; VGPRBlocks: 0
; NumSGPRsForWavesPerEU: 1
; NumVGPRsForWavesPerEU: 1
; Occupancy: 16
; WaveLimiterHint : 0
; COMPUTE_PGM_RSRC2:SCRATCH_EN: 0
; COMPUTE_PGM_RSRC2:USER_SGPR: 2
; COMPUTE_PGM_RSRC2:TRAP_HANDLER: 0
; COMPUTE_PGM_RSRC2:TGID_X_EN: 1
; COMPUTE_PGM_RSRC2:TGID_Y_EN: 0
; COMPUTE_PGM_RSRC2:TGID_Z_EN: 0
; COMPUTE_PGM_RSRC2:TIDIG_COMP_CNT: 0
	.section	.text._ZN7rocprim17ROCPRIM_400000_NS6detail17trampoline_kernelINS0_14default_configENS1_25partition_config_selectorILNS1_17partition_subalgoE5EiNS0_10empty_typeEbEEZZNS1_14partition_implILS5_5ELb0ES3_mN6thrust23THRUST_200600_302600_NS6detail15normal_iteratorINSA_10device_ptrIiEEEEPS6_NSA_18transform_iteratorINSB_9not_fun_tINSA_8identityIiEEEESF_NSA_11use_defaultESM_EENS0_5tupleIJSF_S6_EEENSO_IJSG_SG_EEES6_PlJS6_EEE10hipError_tPvRmT3_T4_T5_T6_T7_T9_mT8_P12ihipStream_tbDpT10_ENKUlT_T0_E_clISt17integral_constantIbLb1EES1B_EEDaS16_S17_EUlS16_E_NS1_11comp_targetILNS1_3genE4ELNS1_11target_archE910ELNS1_3gpuE8ELNS1_3repE0EEENS1_30default_config_static_selectorELNS0_4arch9wavefront6targetE0EEEvT1_,"axG",@progbits,_ZN7rocprim17ROCPRIM_400000_NS6detail17trampoline_kernelINS0_14default_configENS1_25partition_config_selectorILNS1_17partition_subalgoE5EiNS0_10empty_typeEbEEZZNS1_14partition_implILS5_5ELb0ES3_mN6thrust23THRUST_200600_302600_NS6detail15normal_iteratorINSA_10device_ptrIiEEEEPS6_NSA_18transform_iteratorINSB_9not_fun_tINSA_8identityIiEEEESF_NSA_11use_defaultESM_EENS0_5tupleIJSF_S6_EEENSO_IJSG_SG_EEES6_PlJS6_EEE10hipError_tPvRmT3_T4_T5_T6_T7_T9_mT8_P12ihipStream_tbDpT10_ENKUlT_T0_E_clISt17integral_constantIbLb1EES1B_EEDaS16_S17_EUlS16_E_NS1_11comp_targetILNS1_3genE4ELNS1_11target_archE910ELNS1_3gpuE8ELNS1_3repE0EEENS1_30default_config_static_selectorELNS0_4arch9wavefront6targetE0EEEvT1_,comdat
	.protected	_ZN7rocprim17ROCPRIM_400000_NS6detail17trampoline_kernelINS0_14default_configENS1_25partition_config_selectorILNS1_17partition_subalgoE5EiNS0_10empty_typeEbEEZZNS1_14partition_implILS5_5ELb0ES3_mN6thrust23THRUST_200600_302600_NS6detail15normal_iteratorINSA_10device_ptrIiEEEEPS6_NSA_18transform_iteratorINSB_9not_fun_tINSA_8identityIiEEEESF_NSA_11use_defaultESM_EENS0_5tupleIJSF_S6_EEENSO_IJSG_SG_EEES6_PlJS6_EEE10hipError_tPvRmT3_T4_T5_T6_T7_T9_mT8_P12ihipStream_tbDpT10_ENKUlT_T0_E_clISt17integral_constantIbLb1EES1B_EEDaS16_S17_EUlS16_E_NS1_11comp_targetILNS1_3genE4ELNS1_11target_archE910ELNS1_3gpuE8ELNS1_3repE0EEENS1_30default_config_static_selectorELNS0_4arch9wavefront6targetE0EEEvT1_ ; -- Begin function _ZN7rocprim17ROCPRIM_400000_NS6detail17trampoline_kernelINS0_14default_configENS1_25partition_config_selectorILNS1_17partition_subalgoE5EiNS0_10empty_typeEbEEZZNS1_14partition_implILS5_5ELb0ES3_mN6thrust23THRUST_200600_302600_NS6detail15normal_iteratorINSA_10device_ptrIiEEEEPS6_NSA_18transform_iteratorINSB_9not_fun_tINSA_8identityIiEEEESF_NSA_11use_defaultESM_EENS0_5tupleIJSF_S6_EEENSO_IJSG_SG_EEES6_PlJS6_EEE10hipError_tPvRmT3_T4_T5_T6_T7_T9_mT8_P12ihipStream_tbDpT10_ENKUlT_T0_E_clISt17integral_constantIbLb1EES1B_EEDaS16_S17_EUlS16_E_NS1_11comp_targetILNS1_3genE4ELNS1_11target_archE910ELNS1_3gpuE8ELNS1_3repE0EEENS1_30default_config_static_selectorELNS0_4arch9wavefront6targetE0EEEvT1_
	.globl	_ZN7rocprim17ROCPRIM_400000_NS6detail17trampoline_kernelINS0_14default_configENS1_25partition_config_selectorILNS1_17partition_subalgoE5EiNS0_10empty_typeEbEEZZNS1_14partition_implILS5_5ELb0ES3_mN6thrust23THRUST_200600_302600_NS6detail15normal_iteratorINSA_10device_ptrIiEEEEPS6_NSA_18transform_iteratorINSB_9not_fun_tINSA_8identityIiEEEESF_NSA_11use_defaultESM_EENS0_5tupleIJSF_S6_EEENSO_IJSG_SG_EEES6_PlJS6_EEE10hipError_tPvRmT3_T4_T5_T6_T7_T9_mT8_P12ihipStream_tbDpT10_ENKUlT_T0_E_clISt17integral_constantIbLb1EES1B_EEDaS16_S17_EUlS16_E_NS1_11comp_targetILNS1_3genE4ELNS1_11target_archE910ELNS1_3gpuE8ELNS1_3repE0EEENS1_30default_config_static_selectorELNS0_4arch9wavefront6targetE0EEEvT1_
	.p2align	8
	.type	_ZN7rocprim17ROCPRIM_400000_NS6detail17trampoline_kernelINS0_14default_configENS1_25partition_config_selectorILNS1_17partition_subalgoE5EiNS0_10empty_typeEbEEZZNS1_14partition_implILS5_5ELb0ES3_mN6thrust23THRUST_200600_302600_NS6detail15normal_iteratorINSA_10device_ptrIiEEEEPS6_NSA_18transform_iteratorINSB_9not_fun_tINSA_8identityIiEEEESF_NSA_11use_defaultESM_EENS0_5tupleIJSF_S6_EEENSO_IJSG_SG_EEES6_PlJS6_EEE10hipError_tPvRmT3_T4_T5_T6_T7_T9_mT8_P12ihipStream_tbDpT10_ENKUlT_T0_E_clISt17integral_constantIbLb1EES1B_EEDaS16_S17_EUlS16_E_NS1_11comp_targetILNS1_3genE4ELNS1_11target_archE910ELNS1_3gpuE8ELNS1_3repE0EEENS1_30default_config_static_selectorELNS0_4arch9wavefront6targetE0EEEvT1_,@function
_ZN7rocprim17ROCPRIM_400000_NS6detail17trampoline_kernelINS0_14default_configENS1_25partition_config_selectorILNS1_17partition_subalgoE5EiNS0_10empty_typeEbEEZZNS1_14partition_implILS5_5ELb0ES3_mN6thrust23THRUST_200600_302600_NS6detail15normal_iteratorINSA_10device_ptrIiEEEEPS6_NSA_18transform_iteratorINSB_9not_fun_tINSA_8identityIiEEEESF_NSA_11use_defaultESM_EENS0_5tupleIJSF_S6_EEENSO_IJSG_SG_EEES6_PlJS6_EEE10hipError_tPvRmT3_T4_T5_T6_T7_T9_mT8_P12ihipStream_tbDpT10_ENKUlT_T0_E_clISt17integral_constantIbLb1EES1B_EEDaS16_S17_EUlS16_E_NS1_11comp_targetILNS1_3genE4ELNS1_11target_archE910ELNS1_3gpuE8ELNS1_3repE0EEENS1_30default_config_static_selectorELNS0_4arch9wavefront6targetE0EEEvT1_: ; @_ZN7rocprim17ROCPRIM_400000_NS6detail17trampoline_kernelINS0_14default_configENS1_25partition_config_selectorILNS1_17partition_subalgoE5EiNS0_10empty_typeEbEEZZNS1_14partition_implILS5_5ELb0ES3_mN6thrust23THRUST_200600_302600_NS6detail15normal_iteratorINSA_10device_ptrIiEEEEPS6_NSA_18transform_iteratorINSB_9not_fun_tINSA_8identityIiEEEESF_NSA_11use_defaultESM_EENS0_5tupleIJSF_S6_EEENSO_IJSG_SG_EEES6_PlJS6_EEE10hipError_tPvRmT3_T4_T5_T6_T7_T9_mT8_P12ihipStream_tbDpT10_ENKUlT_T0_E_clISt17integral_constantIbLb1EES1B_EEDaS16_S17_EUlS16_E_NS1_11comp_targetILNS1_3genE4ELNS1_11target_archE910ELNS1_3gpuE8ELNS1_3repE0EEENS1_30default_config_static_selectorELNS0_4arch9wavefront6targetE0EEEvT1_
; %bb.0:
	.section	.rodata,"a",@progbits
	.p2align	6, 0x0
	.amdhsa_kernel _ZN7rocprim17ROCPRIM_400000_NS6detail17trampoline_kernelINS0_14default_configENS1_25partition_config_selectorILNS1_17partition_subalgoE5EiNS0_10empty_typeEbEEZZNS1_14partition_implILS5_5ELb0ES3_mN6thrust23THRUST_200600_302600_NS6detail15normal_iteratorINSA_10device_ptrIiEEEEPS6_NSA_18transform_iteratorINSB_9not_fun_tINSA_8identityIiEEEESF_NSA_11use_defaultESM_EENS0_5tupleIJSF_S6_EEENSO_IJSG_SG_EEES6_PlJS6_EEE10hipError_tPvRmT3_T4_T5_T6_T7_T9_mT8_P12ihipStream_tbDpT10_ENKUlT_T0_E_clISt17integral_constantIbLb1EES1B_EEDaS16_S17_EUlS16_E_NS1_11comp_targetILNS1_3genE4ELNS1_11target_archE910ELNS1_3gpuE8ELNS1_3repE0EEENS1_30default_config_static_selectorELNS0_4arch9wavefront6targetE0EEEvT1_
		.amdhsa_group_segment_fixed_size 0
		.amdhsa_private_segment_fixed_size 0
		.amdhsa_kernarg_size 136
		.amdhsa_user_sgpr_count 2
		.amdhsa_user_sgpr_dispatch_ptr 0
		.amdhsa_user_sgpr_queue_ptr 0
		.amdhsa_user_sgpr_kernarg_segment_ptr 1
		.amdhsa_user_sgpr_dispatch_id 0
		.amdhsa_user_sgpr_private_segment_size 0
		.amdhsa_wavefront_size32 1
		.amdhsa_uses_dynamic_stack 0
		.amdhsa_enable_private_segment 0
		.amdhsa_system_sgpr_workgroup_id_x 1
		.amdhsa_system_sgpr_workgroup_id_y 0
		.amdhsa_system_sgpr_workgroup_id_z 0
		.amdhsa_system_sgpr_workgroup_info 0
		.amdhsa_system_vgpr_workitem_id 0
		.amdhsa_next_free_vgpr 1
		.amdhsa_next_free_sgpr 1
		.amdhsa_reserve_vcc 0
		.amdhsa_float_round_mode_32 0
		.amdhsa_float_round_mode_16_64 0
		.amdhsa_float_denorm_mode_32 3
		.amdhsa_float_denorm_mode_16_64 3
		.amdhsa_fp16_overflow 0
		.amdhsa_workgroup_processor_mode 1
		.amdhsa_memory_ordered 1
		.amdhsa_forward_progress 1
		.amdhsa_inst_pref_size 0
		.amdhsa_round_robin_scheduling 0
		.amdhsa_exception_fp_ieee_invalid_op 0
		.amdhsa_exception_fp_denorm_src 0
		.amdhsa_exception_fp_ieee_div_zero 0
		.amdhsa_exception_fp_ieee_overflow 0
		.amdhsa_exception_fp_ieee_underflow 0
		.amdhsa_exception_fp_ieee_inexact 0
		.amdhsa_exception_int_div_zero 0
	.end_amdhsa_kernel
	.section	.text._ZN7rocprim17ROCPRIM_400000_NS6detail17trampoline_kernelINS0_14default_configENS1_25partition_config_selectorILNS1_17partition_subalgoE5EiNS0_10empty_typeEbEEZZNS1_14partition_implILS5_5ELb0ES3_mN6thrust23THRUST_200600_302600_NS6detail15normal_iteratorINSA_10device_ptrIiEEEEPS6_NSA_18transform_iteratorINSB_9not_fun_tINSA_8identityIiEEEESF_NSA_11use_defaultESM_EENS0_5tupleIJSF_S6_EEENSO_IJSG_SG_EEES6_PlJS6_EEE10hipError_tPvRmT3_T4_T5_T6_T7_T9_mT8_P12ihipStream_tbDpT10_ENKUlT_T0_E_clISt17integral_constantIbLb1EES1B_EEDaS16_S17_EUlS16_E_NS1_11comp_targetILNS1_3genE4ELNS1_11target_archE910ELNS1_3gpuE8ELNS1_3repE0EEENS1_30default_config_static_selectorELNS0_4arch9wavefront6targetE0EEEvT1_,"axG",@progbits,_ZN7rocprim17ROCPRIM_400000_NS6detail17trampoline_kernelINS0_14default_configENS1_25partition_config_selectorILNS1_17partition_subalgoE5EiNS0_10empty_typeEbEEZZNS1_14partition_implILS5_5ELb0ES3_mN6thrust23THRUST_200600_302600_NS6detail15normal_iteratorINSA_10device_ptrIiEEEEPS6_NSA_18transform_iteratorINSB_9not_fun_tINSA_8identityIiEEEESF_NSA_11use_defaultESM_EENS0_5tupleIJSF_S6_EEENSO_IJSG_SG_EEES6_PlJS6_EEE10hipError_tPvRmT3_T4_T5_T6_T7_T9_mT8_P12ihipStream_tbDpT10_ENKUlT_T0_E_clISt17integral_constantIbLb1EES1B_EEDaS16_S17_EUlS16_E_NS1_11comp_targetILNS1_3genE4ELNS1_11target_archE910ELNS1_3gpuE8ELNS1_3repE0EEENS1_30default_config_static_selectorELNS0_4arch9wavefront6targetE0EEEvT1_,comdat
.Lfunc_end991:
	.size	_ZN7rocprim17ROCPRIM_400000_NS6detail17trampoline_kernelINS0_14default_configENS1_25partition_config_selectorILNS1_17partition_subalgoE5EiNS0_10empty_typeEbEEZZNS1_14partition_implILS5_5ELb0ES3_mN6thrust23THRUST_200600_302600_NS6detail15normal_iteratorINSA_10device_ptrIiEEEEPS6_NSA_18transform_iteratorINSB_9not_fun_tINSA_8identityIiEEEESF_NSA_11use_defaultESM_EENS0_5tupleIJSF_S6_EEENSO_IJSG_SG_EEES6_PlJS6_EEE10hipError_tPvRmT3_T4_T5_T6_T7_T9_mT8_P12ihipStream_tbDpT10_ENKUlT_T0_E_clISt17integral_constantIbLb1EES1B_EEDaS16_S17_EUlS16_E_NS1_11comp_targetILNS1_3genE4ELNS1_11target_archE910ELNS1_3gpuE8ELNS1_3repE0EEENS1_30default_config_static_selectorELNS0_4arch9wavefront6targetE0EEEvT1_, .Lfunc_end991-_ZN7rocprim17ROCPRIM_400000_NS6detail17trampoline_kernelINS0_14default_configENS1_25partition_config_selectorILNS1_17partition_subalgoE5EiNS0_10empty_typeEbEEZZNS1_14partition_implILS5_5ELb0ES3_mN6thrust23THRUST_200600_302600_NS6detail15normal_iteratorINSA_10device_ptrIiEEEEPS6_NSA_18transform_iteratorINSB_9not_fun_tINSA_8identityIiEEEESF_NSA_11use_defaultESM_EENS0_5tupleIJSF_S6_EEENSO_IJSG_SG_EEES6_PlJS6_EEE10hipError_tPvRmT3_T4_T5_T6_T7_T9_mT8_P12ihipStream_tbDpT10_ENKUlT_T0_E_clISt17integral_constantIbLb1EES1B_EEDaS16_S17_EUlS16_E_NS1_11comp_targetILNS1_3genE4ELNS1_11target_archE910ELNS1_3gpuE8ELNS1_3repE0EEENS1_30default_config_static_selectorELNS0_4arch9wavefront6targetE0EEEvT1_
                                        ; -- End function
	.set _ZN7rocprim17ROCPRIM_400000_NS6detail17trampoline_kernelINS0_14default_configENS1_25partition_config_selectorILNS1_17partition_subalgoE5EiNS0_10empty_typeEbEEZZNS1_14partition_implILS5_5ELb0ES3_mN6thrust23THRUST_200600_302600_NS6detail15normal_iteratorINSA_10device_ptrIiEEEEPS6_NSA_18transform_iteratorINSB_9not_fun_tINSA_8identityIiEEEESF_NSA_11use_defaultESM_EENS0_5tupleIJSF_S6_EEENSO_IJSG_SG_EEES6_PlJS6_EEE10hipError_tPvRmT3_T4_T5_T6_T7_T9_mT8_P12ihipStream_tbDpT10_ENKUlT_T0_E_clISt17integral_constantIbLb1EES1B_EEDaS16_S17_EUlS16_E_NS1_11comp_targetILNS1_3genE4ELNS1_11target_archE910ELNS1_3gpuE8ELNS1_3repE0EEENS1_30default_config_static_selectorELNS0_4arch9wavefront6targetE0EEEvT1_.num_vgpr, 0
	.set _ZN7rocprim17ROCPRIM_400000_NS6detail17trampoline_kernelINS0_14default_configENS1_25partition_config_selectorILNS1_17partition_subalgoE5EiNS0_10empty_typeEbEEZZNS1_14partition_implILS5_5ELb0ES3_mN6thrust23THRUST_200600_302600_NS6detail15normal_iteratorINSA_10device_ptrIiEEEEPS6_NSA_18transform_iteratorINSB_9not_fun_tINSA_8identityIiEEEESF_NSA_11use_defaultESM_EENS0_5tupleIJSF_S6_EEENSO_IJSG_SG_EEES6_PlJS6_EEE10hipError_tPvRmT3_T4_T5_T6_T7_T9_mT8_P12ihipStream_tbDpT10_ENKUlT_T0_E_clISt17integral_constantIbLb1EES1B_EEDaS16_S17_EUlS16_E_NS1_11comp_targetILNS1_3genE4ELNS1_11target_archE910ELNS1_3gpuE8ELNS1_3repE0EEENS1_30default_config_static_selectorELNS0_4arch9wavefront6targetE0EEEvT1_.num_agpr, 0
	.set _ZN7rocprim17ROCPRIM_400000_NS6detail17trampoline_kernelINS0_14default_configENS1_25partition_config_selectorILNS1_17partition_subalgoE5EiNS0_10empty_typeEbEEZZNS1_14partition_implILS5_5ELb0ES3_mN6thrust23THRUST_200600_302600_NS6detail15normal_iteratorINSA_10device_ptrIiEEEEPS6_NSA_18transform_iteratorINSB_9not_fun_tINSA_8identityIiEEEESF_NSA_11use_defaultESM_EENS0_5tupleIJSF_S6_EEENSO_IJSG_SG_EEES6_PlJS6_EEE10hipError_tPvRmT3_T4_T5_T6_T7_T9_mT8_P12ihipStream_tbDpT10_ENKUlT_T0_E_clISt17integral_constantIbLb1EES1B_EEDaS16_S17_EUlS16_E_NS1_11comp_targetILNS1_3genE4ELNS1_11target_archE910ELNS1_3gpuE8ELNS1_3repE0EEENS1_30default_config_static_selectorELNS0_4arch9wavefront6targetE0EEEvT1_.numbered_sgpr, 0
	.set _ZN7rocprim17ROCPRIM_400000_NS6detail17trampoline_kernelINS0_14default_configENS1_25partition_config_selectorILNS1_17partition_subalgoE5EiNS0_10empty_typeEbEEZZNS1_14partition_implILS5_5ELb0ES3_mN6thrust23THRUST_200600_302600_NS6detail15normal_iteratorINSA_10device_ptrIiEEEEPS6_NSA_18transform_iteratorINSB_9not_fun_tINSA_8identityIiEEEESF_NSA_11use_defaultESM_EENS0_5tupleIJSF_S6_EEENSO_IJSG_SG_EEES6_PlJS6_EEE10hipError_tPvRmT3_T4_T5_T6_T7_T9_mT8_P12ihipStream_tbDpT10_ENKUlT_T0_E_clISt17integral_constantIbLb1EES1B_EEDaS16_S17_EUlS16_E_NS1_11comp_targetILNS1_3genE4ELNS1_11target_archE910ELNS1_3gpuE8ELNS1_3repE0EEENS1_30default_config_static_selectorELNS0_4arch9wavefront6targetE0EEEvT1_.num_named_barrier, 0
	.set _ZN7rocprim17ROCPRIM_400000_NS6detail17trampoline_kernelINS0_14default_configENS1_25partition_config_selectorILNS1_17partition_subalgoE5EiNS0_10empty_typeEbEEZZNS1_14partition_implILS5_5ELb0ES3_mN6thrust23THRUST_200600_302600_NS6detail15normal_iteratorINSA_10device_ptrIiEEEEPS6_NSA_18transform_iteratorINSB_9not_fun_tINSA_8identityIiEEEESF_NSA_11use_defaultESM_EENS0_5tupleIJSF_S6_EEENSO_IJSG_SG_EEES6_PlJS6_EEE10hipError_tPvRmT3_T4_T5_T6_T7_T9_mT8_P12ihipStream_tbDpT10_ENKUlT_T0_E_clISt17integral_constantIbLb1EES1B_EEDaS16_S17_EUlS16_E_NS1_11comp_targetILNS1_3genE4ELNS1_11target_archE910ELNS1_3gpuE8ELNS1_3repE0EEENS1_30default_config_static_selectorELNS0_4arch9wavefront6targetE0EEEvT1_.private_seg_size, 0
	.set _ZN7rocprim17ROCPRIM_400000_NS6detail17trampoline_kernelINS0_14default_configENS1_25partition_config_selectorILNS1_17partition_subalgoE5EiNS0_10empty_typeEbEEZZNS1_14partition_implILS5_5ELb0ES3_mN6thrust23THRUST_200600_302600_NS6detail15normal_iteratorINSA_10device_ptrIiEEEEPS6_NSA_18transform_iteratorINSB_9not_fun_tINSA_8identityIiEEEESF_NSA_11use_defaultESM_EENS0_5tupleIJSF_S6_EEENSO_IJSG_SG_EEES6_PlJS6_EEE10hipError_tPvRmT3_T4_T5_T6_T7_T9_mT8_P12ihipStream_tbDpT10_ENKUlT_T0_E_clISt17integral_constantIbLb1EES1B_EEDaS16_S17_EUlS16_E_NS1_11comp_targetILNS1_3genE4ELNS1_11target_archE910ELNS1_3gpuE8ELNS1_3repE0EEENS1_30default_config_static_selectorELNS0_4arch9wavefront6targetE0EEEvT1_.uses_vcc, 0
	.set _ZN7rocprim17ROCPRIM_400000_NS6detail17trampoline_kernelINS0_14default_configENS1_25partition_config_selectorILNS1_17partition_subalgoE5EiNS0_10empty_typeEbEEZZNS1_14partition_implILS5_5ELb0ES3_mN6thrust23THRUST_200600_302600_NS6detail15normal_iteratorINSA_10device_ptrIiEEEEPS6_NSA_18transform_iteratorINSB_9not_fun_tINSA_8identityIiEEEESF_NSA_11use_defaultESM_EENS0_5tupleIJSF_S6_EEENSO_IJSG_SG_EEES6_PlJS6_EEE10hipError_tPvRmT3_T4_T5_T6_T7_T9_mT8_P12ihipStream_tbDpT10_ENKUlT_T0_E_clISt17integral_constantIbLb1EES1B_EEDaS16_S17_EUlS16_E_NS1_11comp_targetILNS1_3genE4ELNS1_11target_archE910ELNS1_3gpuE8ELNS1_3repE0EEENS1_30default_config_static_selectorELNS0_4arch9wavefront6targetE0EEEvT1_.uses_flat_scratch, 0
	.set _ZN7rocprim17ROCPRIM_400000_NS6detail17trampoline_kernelINS0_14default_configENS1_25partition_config_selectorILNS1_17partition_subalgoE5EiNS0_10empty_typeEbEEZZNS1_14partition_implILS5_5ELb0ES3_mN6thrust23THRUST_200600_302600_NS6detail15normal_iteratorINSA_10device_ptrIiEEEEPS6_NSA_18transform_iteratorINSB_9not_fun_tINSA_8identityIiEEEESF_NSA_11use_defaultESM_EENS0_5tupleIJSF_S6_EEENSO_IJSG_SG_EEES6_PlJS6_EEE10hipError_tPvRmT3_T4_T5_T6_T7_T9_mT8_P12ihipStream_tbDpT10_ENKUlT_T0_E_clISt17integral_constantIbLb1EES1B_EEDaS16_S17_EUlS16_E_NS1_11comp_targetILNS1_3genE4ELNS1_11target_archE910ELNS1_3gpuE8ELNS1_3repE0EEENS1_30default_config_static_selectorELNS0_4arch9wavefront6targetE0EEEvT1_.has_dyn_sized_stack, 0
	.set _ZN7rocprim17ROCPRIM_400000_NS6detail17trampoline_kernelINS0_14default_configENS1_25partition_config_selectorILNS1_17partition_subalgoE5EiNS0_10empty_typeEbEEZZNS1_14partition_implILS5_5ELb0ES3_mN6thrust23THRUST_200600_302600_NS6detail15normal_iteratorINSA_10device_ptrIiEEEEPS6_NSA_18transform_iteratorINSB_9not_fun_tINSA_8identityIiEEEESF_NSA_11use_defaultESM_EENS0_5tupleIJSF_S6_EEENSO_IJSG_SG_EEES6_PlJS6_EEE10hipError_tPvRmT3_T4_T5_T6_T7_T9_mT8_P12ihipStream_tbDpT10_ENKUlT_T0_E_clISt17integral_constantIbLb1EES1B_EEDaS16_S17_EUlS16_E_NS1_11comp_targetILNS1_3genE4ELNS1_11target_archE910ELNS1_3gpuE8ELNS1_3repE0EEENS1_30default_config_static_selectorELNS0_4arch9wavefront6targetE0EEEvT1_.has_recursion, 0
	.set _ZN7rocprim17ROCPRIM_400000_NS6detail17trampoline_kernelINS0_14default_configENS1_25partition_config_selectorILNS1_17partition_subalgoE5EiNS0_10empty_typeEbEEZZNS1_14partition_implILS5_5ELb0ES3_mN6thrust23THRUST_200600_302600_NS6detail15normal_iteratorINSA_10device_ptrIiEEEEPS6_NSA_18transform_iteratorINSB_9not_fun_tINSA_8identityIiEEEESF_NSA_11use_defaultESM_EENS0_5tupleIJSF_S6_EEENSO_IJSG_SG_EEES6_PlJS6_EEE10hipError_tPvRmT3_T4_T5_T6_T7_T9_mT8_P12ihipStream_tbDpT10_ENKUlT_T0_E_clISt17integral_constantIbLb1EES1B_EEDaS16_S17_EUlS16_E_NS1_11comp_targetILNS1_3genE4ELNS1_11target_archE910ELNS1_3gpuE8ELNS1_3repE0EEENS1_30default_config_static_selectorELNS0_4arch9wavefront6targetE0EEEvT1_.has_indirect_call, 0
	.section	.AMDGPU.csdata,"",@progbits
; Kernel info:
; codeLenInByte = 0
; TotalNumSgprs: 0
; NumVgprs: 0
; ScratchSize: 0
; MemoryBound: 0
; FloatMode: 240
; IeeeMode: 1
; LDSByteSize: 0 bytes/workgroup (compile time only)
; SGPRBlocks: 0
; VGPRBlocks: 0
; NumSGPRsForWavesPerEU: 1
; NumVGPRsForWavesPerEU: 1
; Occupancy: 16
; WaveLimiterHint : 0
; COMPUTE_PGM_RSRC2:SCRATCH_EN: 0
; COMPUTE_PGM_RSRC2:USER_SGPR: 2
; COMPUTE_PGM_RSRC2:TRAP_HANDLER: 0
; COMPUTE_PGM_RSRC2:TGID_X_EN: 1
; COMPUTE_PGM_RSRC2:TGID_Y_EN: 0
; COMPUTE_PGM_RSRC2:TGID_Z_EN: 0
; COMPUTE_PGM_RSRC2:TIDIG_COMP_CNT: 0
	.section	.text._ZN7rocprim17ROCPRIM_400000_NS6detail17trampoline_kernelINS0_14default_configENS1_25partition_config_selectorILNS1_17partition_subalgoE5EiNS0_10empty_typeEbEEZZNS1_14partition_implILS5_5ELb0ES3_mN6thrust23THRUST_200600_302600_NS6detail15normal_iteratorINSA_10device_ptrIiEEEEPS6_NSA_18transform_iteratorINSB_9not_fun_tINSA_8identityIiEEEESF_NSA_11use_defaultESM_EENS0_5tupleIJSF_S6_EEENSO_IJSG_SG_EEES6_PlJS6_EEE10hipError_tPvRmT3_T4_T5_T6_T7_T9_mT8_P12ihipStream_tbDpT10_ENKUlT_T0_E_clISt17integral_constantIbLb1EES1B_EEDaS16_S17_EUlS16_E_NS1_11comp_targetILNS1_3genE3ELNS1_11target_archE908ELNS1_3gpuE7ELNS1_3repE0EEENS1_30default_config_static_selectorELNS0_4arch9wavefront6targetE0EEEvT1_,"axG",@progbits,_ZN7rocprim17ROCPRIM_400000_NS6detail17trampoline_kernelINS0_14default_configENS1_25partition_config_selectorILNS1_17partition_subalgoE5EiNS0_10empty_typeEbEEZZNS1_14partition_implILS5_5ELb0ES3_mN6thrust23THRUST_200600_302600_NS6detail15normal_iteratorINSA_10device_ptrIiEEEEPS6_NSA_18transform_iteratorINSB_9not_fun_tINSA_8identityIiEEEESF_NSA_11use_defaultESM_EENS0_5tupleIJSF_S6_EEENSO_IJSG_SG_EEES6_PlJS6_EEE10hipError_tPvRmT3_T4_T5_T6_T7_T9_mT8_P12ihipStream_tbDpT10_ENKUlT_T0_E_clISt17integral_constantIbLb1EES1B_EEDaS16_S17_EUlS16_E_NS1_11comp_targetILNS1_3genE3ELNS1_11target_archE908ELNS1_3gpuE7ELNS1_3repE0EEENS1_30default_config_static_selectorELNS0_4arch9wavefront6targetE0EEEvT1_,comdat
	.protected	_ZN7rocprim17ROCPRIM_400000_NS6detail17trampoline_kernelINS0_14default_configENS1_25partition_config_selectorILNS1_17partition_subalgoE5EiNS0_10empty_typeEbEEZZNS1_14partition_implILS5_5ELb0ES3_mN6thrust23THRUST_200600_302600_NS6detail15normal_iteratorINSA_10device_ptrIiEEEEPS6_NSA_18transform_iteratorINSB_9not_fun_tINSA_8identityIiEEEESF_NSA_11use_defaultESM_EENS0_5tupleIJSF_S6_EEENSO_IJSG_SG_EEES6_PlJS6_EEE10hipError_tPvRmT3_T4_T5_T6_T7_T9_mT8_P12ihipStream_tbDpT10_ENKUlT_T0_E_clISt17integral_constantIbLb1EES1B_EEDaS16_S17_EUlS16_E_NS1_11comp_targetILNS1_3genE3ELNS1_11target_archE908ELNS1_3gpuE7ELNS1_3repE0EEENS1_30default_config_static_selectorELNS0_4arch9wavefront6targetE0EEEvT1_ ; -- Begin function _ZN7rocprim17ROCPRIM_400000_NS6detail17trampoline_kernelINS0_14default_configENS1_25partition_config_selectorILNS1_17partition_subalgoE5EiNS0_10empty_typeEbEEZZNS1_14partition_implILS5_5ELb0ES3_mN6thrust23THRUST_200600_302600_NS6detail15normal_iteratorINSA_10device_ptrIiEEEEPS6_NSA_18transform_iteratorINSB_9not_fun_tINSA_8identityIiEEEESF_NSA_11use_defaultESM_EENS0_5tupleIJSF_S6_EEENSO_IJSG_SG_EEES6_PlJS6_EEE10hipError_tPvRmT3_T4_T5_T6_T7_T9_mT8_P12ihipStream_tbDpT10_ENKUlT_T0_E_clISt17integral_constantIbLb1EES1B_EEDaS16_S17_EUlS16_E_NS1_11comp_targetILNS1_3genE3ELNS1_11target_archE908ELNS1_3gpuE7ELNS1_3repE0EEENS1_30default_config_static_selectorELNS0_4arch9wavefront6targetE0EEEvT1_
	.globl	_ZN7rocprim17ROCPRIM_400000_NS6detail17trampoline_kernelINS0_14default_configENS1_25partition_config_selectorILNS1_17partition_subalgoE5EiNS0_10empty_typeEbEEZZNS1_14partition_implILS5_5ELb0ES3_mN6thrust23THRUST_200600_302600_NS6detail15normal_iteratorINSA_10device_ptrIiEEEEPS6_NSA_18transform_iteratorINSB_9not_fun_tINSA_8identityIiEEEESF_NSA_11use_defaultESM_EENS0_5tupleIJSF_S6_EEENSO_IJSG_SG_EEES6_PlJS6_EEE10hipError_tPvRmT3_T4_T5_T6_T7_T9_mT8_P12ihipStream_tbDpT10_ENKUlT_T0_E_clISt17integral_constantIbLb1EES1B_EEDaS16_S17_EUlS16_E_NS1_11comp_targetILNS1_3genE3ELNS1_11target_archE908ELNS1_3gpuE7ELNS1_3repE0EEENS1_30default_config_static_selectorELNS0_4arch9wavefront6targetE0EEEvT1_
	.p2align	8
	.type	_ZN7rocprim17ROCPRIM_400000_NS6detail17trampoline_kernelINS0_14default_configENS1_25partition_config_selectorILNS1_17partition_subalgoE5EiNS0_10empty_typeEbEEZZNS1_14partition_implILS5_5ELb0ES3_mN6thrust23THRUST_200600_302600_NS6detail15normal_iteratorINSA_10device_ptrIiEEEEPS6_NSA_18transform_iteratorINSB_9not_fun_tINSA_8identityIiEEEESF_NSA_11use_defaultESM_EENS0_5tupleIJSF_S6_EEENSO_IJSG_SG_EEES6_PlJS6_EEE10hipError_tPvRmT3_T4_T5_T6_T7_T9_mT8_P12ihipStream_tbDpT10_ENKUlT_T0_E_clISt17integral_constantIbLb1EES1B_EEDaS16_S17_EUlS16_E_NS1_11comp_targetILNS1_3genE3ELNS1_11target_archE908ELNS1_3gpuE7ELNS1_3repE0EEENS1_30default_config_static_selectorELNS0_4arch9wavefront6targetE0EEEvT1_,@function
_ZN7rocprim17ROCPRIM_400000_NS6detail17trampoline_kernelINS0_14default_configENS1_25partition_config_selectorILNS1_17partition_subalgoE5EiNS0_10empty_typeEbEEZZNS1_14partition_implILS5_5ELb0ES3_mN6thrust23THRUST_200600_302600_NS6detail15normal_iteratorINSA_10device_ptrIiEEEEPS6_NSA_18transform_iteratorINSB_9not_fun_tINSA_8identityIiEEEESF_NSA_11use_defaultESM_EENS0_5tupleIJSF_S6_EEENSO_IJSG_SG_EEES6_PlJS6_EEE10hipError_tPvRmT3_T4_T5_T6_T7_T9_mT8_P12ihipStream_tbDpT10_ENKUlT_T0_E_clISt17integral_constantIbLb1EES1B_EEDaS16_S17_EUlS16_E_NS1_11comp_targetILNS1_3genE3ELNS1_11target_archE908ELNS1_3gpuE7ELNS1_3repE0EEENS1_30default_config_static_selectorELNS0_4arch9wavefront6targetE0EEEvT1_: ; @_ZN7rocprim17ROCPRIM_400000_NS6detail17trampoline_kernelINS0_14default_configENS1_25partition_config_selectorILNS1_17partition_subalgoE5EiNS0_10empty_typeEbEEZZNS1_14partition_implILS5_5ELb0ES3_mN6thrust23THRUST_200600_302600_NS6detail15normal_iteratorINSA_10device_ptrIiEEEEPS6_NSA_18transform_iteratorINSB_9not_fun_tINSA_8identityIiEEEESF_NSA_11use_defaultESM_EENS0_5tupleIJSF_S6_EEENSO_IJSG_SG_EEES6_PlJS6_EEE10hipError_tPvRmT3_T4_T5_T6_T7_T9_mT8_P12ihipStream_tbDpT10_ENKUlT_T0_E_clISt17integral_constantIbLb1EES1B_EEDaS16_S17_EUlS16_E_NS1_11comp_targetILNS1_3genE3ELNS1_11target_archE908ELNS1_3gpuE7ELNS1_3repE0EEENS1_30default_config_static_selectorELNS0_4arch9wavefront6targetE0EEEvT1_
; %bb.0:
	.section	.rodata,"a",@progbits
	.p2align	6, 0x0
	.amdhsa_kernel _ZN7rocprim17ROCPRIM_400000_NS6detail17trampoline_kernelINS0_14default_configENS1_25partition_config_selectorILNS1_17partition_subalgoE5EiNS0_10empty_typeEbEEZZNS1_14partition_implILS5_5ELb0ES3_mN6thrust23THRUST_200600_302600_NS6detail15normal_iteratorINSA_10device_ptrIiEEEEPS6_NSA_18transform_iteratorINSB_9not_fun_tINSA_8identityIiEEEESF_NSA_11use_defaultESM_EENS0_5tupleIJSF_S6_EEENSO_IJSG_SG_EEES6_PlJS6_EEE10hipError_tPvRmT3_T4_T5_T6_T7_T9_mT8_P12ihipStream_tbDpT10_ENKUlT_T0_E_clISt17integral_constantIbLb1EES1B_EEDaS16_S17_EUlS16_E_NS1_11comp_targetILNS1_3genE3ELNS1_11target_archE908ELNS1_3gpuE7ELNS1_3repE0EEENS1_30default_config_static_selectorELNS0_4arch9wavefront6targetE0EEEvT1_
		.amdhsa_group_segment_fixed_size 0
		.amdhsa_private_segment_fixed_size 0
		.amdhsa_kernarg_size 136
		.amdhsa_user_sgpr_count 2
		.amdhsa_user_sgpr_dispatch_ptr 0
		.amdhsa_user_sgpr_queue_ptr 0
		.amdhsa_user_sgpr_kernarg_segment_ptr 1
		.amdhsa_user_sgpr_dispatch_id 0
		.amdhsa_user_sgpr_private_segment_size 0
		.amdhsa_wavefront_size32 1
		.amdhsa_uses_dynamic_stack 0
		.amdhsa_enable_private_segment 0
		.amdhsa_system_sgpr_workgroup_id_x 1
		.amdhsa_system_sgpr_workgroup_id_y 0
		.amdhsa_system_sgpr_workgroup_id_z 0
		.amdhsa_system_sgpr_workgroup_info 0
		.amdhsa_system_vgpr_workitem_id 0
		.amdhsa_next_free_vgpr 1
		.amdhsa_next_free_sgpr 1
		.amdhsa_reserve_vcc 0
		.amdhsa_float_round_mode_32 0
		.amdhsa_float_round_mode_16_64 0
		.amdhsa_float_denorm_mode_32 3
		.amdhsa_float_denorm_mode_16_64 3
		.amdhsa_fp16_overflow 0
		.amdhsa_workgroup_processor_mode 1
		.amdhsa_memory_ordered 1
		.amdhsa_forward_progress 1
		.amdhsa_inst_pref_size 0
		.amdhsa_round_robin_scheduling 0
		.amdhsa_exception_fp_ieee_invalid_op 0
		.amdhsa_exception_fp_denorm_src 0
		.amdhsa_exception_fp_ieee_div_zero 0
		.amdhsa_exception_fp_ieee_overflow 0
		.amdhsa_exception_fp_ieee_underflow 0
		.amdhsa_exception_fp_ieee_inexact 0
		.amdhsa_exception_int_div_zero 0
	.end_amdhsa_kernel
	.section	.text._ZN7rocprim17ROCPRIM_400000_NS6detail17trampoline_kernelINS0_14default_configENS1_25partition_config_selectorILNS1_17partition_subalgoE5EiNS0_10empty_typeEbEEZZNS1_14partition_implILS5_5ELb0ES3_mN6thrust23THRUST_200600_302600_NS6detail15normal_iteratorINSA_10device_ptrIiEEEEPS6_NSA_18transform_iteratorINSB_9not_fun_tINSA_8identityIiEEEESF_NSA_11use_defaultESM_EENS0_5tupleIJSF_S6_EEENSO_IJSG_SG_EEES6_PlJS6_EEE10hipError_tPvRmT3_T4_T5_T6_T7_T9_mT8_P12ihipStream_tbDpT10_ENKUlT_T0_E_clISt17integral_constantIbLb1EES1B_EEDaS16_S17_EUlS16_E_NS1_11comp_targetILNS1_3genE3ELNS1_11target_archE908ELNS1_3gpuE7ELNS1_3repE0EEENS1_30default_config_static_selectorELNS0_4arch9wavefront6targetE0EEEvT1_,"axG",@progbits,_ZN7rocprim17ROCPRIM_400000_NS6detail17trampoline_kernelINS0_14default_configENS1_25partition_config_selectorILNS1_17partition_subalgoE5EiNS0_10empty_typeEbEEZZNS1_14partition_implILS5_5ELb0ES3_mN6thrust23THRUST_200600_302600_NS6detail15normal_iteratorINSA_10device_ptrIiEEEEPS6_NSA_18transform_iteratorINSB_9not_fun_tINSA_8identityIiEEEESF_NSA_11use_defaultESM_EENS0_5tupleIJSF_S6_EEENSO_IJSG_SG_EEES6_PlJS6_EEE10hipError_tPvRmT3_T4_T5_T6_T7_T9_mT8_P12ihipStream_tbDpT10_ENKUlT_T0_E_clISt17integral_constantIbLb1EES1B_EEDaS16_S17_EUlS16_E_NS1_11comp_targetILNS1_3genE3ELNS1_11target_archE908ELNS1_3gpuE7ELNS1_3repE0EEENS1_30default_config_static_selectorELNS0_4arch9wavefront6targetE0EEEvT1_,comdat
.Lfunc_end992:
	.size	_ZN7rocprim17ROCPRIM_400000_NS6detail17trampoline_kernelINS0_14default_configENS1_25partition_config_selectorILNS1_17partition_subalgoE5EiNS0_10empty_typeEbEEZZNS1_14partition_implILS5_5ELb0ES3_mN6thrust23THRUST_200600_302600_NS6detail15normal_iteratorINSA_10device_ptrIiEEEEPS6_NSA_18transform_iteratorINSB_9not_fun_tINSA_8identityIiEEEESF_NSA_11use_defaultESM_EENS0_5tupleIJSF_S6_EEENSO_IJSG_SG_EEES6_PlJS6_EEE10hipError_tPvRmT3_T4_T5_T6_T7_T9_mT8_P12ihipStream_tbDpT10_ENKUlT_T0_E_clISt17integral_constantIbLb1EES1B_EEDaS16_S17_EUlS16_E_NS1_11comp_targetILNS1_3genE3ELNS1_11target_archE908ELNS1_3gpuE7ELNS1_3repE0EEENS1_30default_config_static_selectorELNS0_4arch9wavefront6targetE0EEEvT1_, .Lfunc_end992-_ZN7rocprim17ROCPRIM_400000_NS6detail17trampoline_kernelINS0_14default_configENS1_25partition_config_selectorILNS1_17partition_subalgoE5EiNS0_10empty_typeEbEEZZNS1_14partition_implILS5_5ELb0ES3_mN6thrust23THRUST_200600_302600_NS6detail15normal_iteratorINSA_10device_ptrIiEEEEPS6_NSA_18transform_iteratorINSB_9not_fun_tINSA_8identityIiEEEESF_NSA_11use_defaultESM_EENS0_5tupleIJSF_S6_EEENSO_IJSG_SG_EEES6_PlJS6_EEE10hipError_tPvRmT3_T4_T5_T6_T7_T9_mT8_P12ihipStream_tbDpT10_ENKUlT_T0_E_clISt17integral_constantIbLb1EES1B_EEDaS16_S17_EUlS16_E_NS1_11comp_targetILNS1_3genE3ELNS1_11target_archE908ELNS1_3gpuE7ELNS1_3repE0EEENS1_30default_config_static_selectorELNS0_4arch9wavefront6targetE0EEEvT1_
                                        ; -- End function
	.set _ZN7rocprim17ROCPRIM_400000_NS6detail17trampoline_kernelINS0_14default_configENS1_25partition_config_selectorILNS1_17partition_subalgoE5EiNS0_10empty_typeEbEEZZNS1_14partition_implILS5_5ELb0ES3_mN6thrust23THRUST_200600_302600_NS6detail15normal_iteratorINSA_10device_ptrIiEEEEPS6_NSA_18transform_iteratorINSB_9not_fun_tINSA_8identityIiEEEESF_NSA_11use_defaultESM_EENS0_5tupleIJSF_S6_EEENSO_IJSG_SG_EEES6_PlJS6_EEE10hipError_tPvRmT3_T4_T5_T6_T7_T9_mT8_P12ihipStream_tbDpT10_ENKUlT_T0_E_clISt17integral_constantIbLb1EES1B_EEDaS16_S17_EUlS16_E_NS1_11comp_targetILNS1_3genE3ELNS1_11target_archE908ELNS1_3gpuE7ELNS1_3repE0EEENS1_30default_config_static_selectorELNS0_4arch9wavefront6targetE0EEEvT1_.num_vgpr, 0
	.set _ZN7rocprim17ROCPRIM_400000_NS6detail17trampoline_kernelINS0_14default_configENS1_25partition_config_selectorILNS1_17partition_subalgoE5EiNS0_10empty_typeEbEEZZNS1_14partition_implILS5_5ELb0ES3_mN6thrust23THRUST_200600_302600_NS6detail15normal_iteratorINSA_10device_ptrIiEEEEPS6_NSA_18transform_iteratorINSB_9not_fun_tINSA_8identityIiEEEESF_NSA_11use_defaultESM_EENS0_5tupleIJSF_S6_EEENSO_IJSG_SG_EEES6_PlJS6_EEE10hipError_tPvRmT3_T4_T5_T6_T7_T9_mT8_P12ihipStream_tbDpT10_ENKUlT_T0_E_clISt17integral_constantIbLb1EES1B_EEDaS16_S17_EUlS16_E_NS1_11comp_targetILNS1_3genE3ELNS1_11target_archE908ELNS1_3gpuE7ELNS1_3repE0EEENS1_30default_config_static_selectorELNS0_4arch9wavefront6targetE0EEEvT1_.num_agpr, 0
	.set _ZN7rocprim17ROCPRIM_400000_NS6detail17trampoline_kernelINS0_14default_configENS1_25partition_config_selectorILNS1_17partition_subalgoE5EiNS0_10empty_typeEbEEZZNS1_14partition_implILS5_5ELb0ES3_mN6thrust23THRUST_200600_302600_NS6detail15normal_iteratorINSA_10device_ptrIiEEEEPS6_NSA_18transform_iteratorINSB_9not_fun_tINSA_8identityIiEEEESF_NSA_11use_defaultESM_EENS0_5tupleIJSF_S6_EEENSO_IJSG_SG_EEES6_PlJS6_EEE10hipError_tPvRmT3_T4_T5_T6_T7_T9_mT8_P12ihipStream_tbDpT10_ENKUlT_T0_E_clISt17integral_constantIbLb1EES1B_EEDaS16_S17_EUlS16_E_NS1_11comp_targetILNS1_3genE3ELNS1_11target_archE908ELNS1_3gpuE7ELNS1_3repE0EEENS1_30default_config_static_selectorELNS0_4arch9wavefront6targetE0EEEvT1_.numbered_sgpr, 0
	.set _ZN7rocprim17ROCPRIM_400000_NS6detail17trampoline_kernelINS0_14default_configENS1_25partition_config_selectorILNS1_17partition_subalgoE5EiNS0_10empty_typeEbEEZZNS1_14partition_implILS5_5ELb0ES3_mN6thrust23THRUST_200600_302600_NS6detail15normal_iteratorINSA_10device_ptrIiEEEEPS6_NSA_18transform_iteratorINSB_9not_fun_tINSA_8identityIiEEEESF_NSA_11use_defaultESM_EENS0_5tupleIJSF_S6_EEENSO_IJSG_SG_EEES6_PlJS6_EEE10hipError_tPvRmT3_T4_T5_T6_T7_T9_mT8_P12ihipStream_tbDpT10_ENKUlT_T0_E_clISt17integral_constantIbLb1EES1B_EEDaS16_S17_EUlS16_E_NS1_11comp_targetILNS1_3genE3ELNS1_11target_archE908ELNS1_3gpuE7ELNS1_3repE0EEENS1_30default_config_static_selectorELNS0_4arch9wavefront6targetE0EEEvT1_.num_named_barrier, 0
	.set _ZN7rocprim17ROCPRIM_400000_NS6detail17trampoline_kernelINS0_14default_configENS1_25partition_config_selectorILNS1_17partition_subalgoE5EiNS0_10empty_typeEbEEZZNS1_14partition_implILS5_5ELb0ES3_mN6thrust23THRUST_200600_302600_NS6detail15normal_iteratorINSA_10device_ptrIiEEEEPS6_NSA_18transform_iteratorINSB_9not_fun_tINSA_8identityIiEEEESF_NSA_11use_defaultESM_EENS0_5tupleIJSF_S6_EEENSO_IJSG_SG_EEES6_PlJS6_EEE10hipError_tPvRmT3_T4_T5_T6_T7_T9_mT8_P12ihipStream_tbDpT10_ENKUlT_T0_E_clISt17integral_constantIbLb1EES1B_EEDaS16_S17_EUlS16_E_NS1_11comp_targetILNS1_3genE3ELNS1_11target_archE908ELNS1_3gpuE7ELNS1_3repE0EEENS1_30default_config_static_selectorELNS0_4arch9wavefront6targetE0EEEvT1_.private_seg_size, 0
	.set _ZN7rocprim17ROCPRIM_400000_NS6detail17trampoline_kernelINS0_14default_configENS1_25partition_config_selectorILNS1_17partition_subalgoE5EiNS0_10empty_typeEbEEZZNS1_14partition_implILS5_5ELb0ES3_mN6thrust23THRUST_200600_302600_NS6detail15normal_iteratorINSA_10device_ptrIiEEEEPS6_NSA_18transform_iteratorINSB_9not_fun_tINSA_8identityIiEEEESF_NSA_11use_defaultESM_EENS0_5tupleIJSF_S6_EEENSO_IJSG_SG_EEES6_PlJS6_EEE10hipError_tPvRmT3_T4_T5_T6_T7_T9_mT8_P12ihipStream_tbDpT10_ENKUlT_T0_E_clISt17integral_constantIbLb1EES1B_EEDaS16_S17_EUlS16_E_NS1_11comp_targetILNS1_3genE3ELNS1_11target_archE908ELNS1_3gpuE7ELNS1_3repE0EEENS1_30default_config_static_selectorELNS0_4arch9wavefront6targetE0EEEvT1_.uses_vcc, 0
	.set _ZN7rocprim17ROCPRIM_400000_NS6detail17trampoline_kernelINS0_14default_configENS1_25partition_config_selectorILNS1_17partition_subalgoE5EiNS0_10empty_typeEbEEZZNS1_14partition_implILS5_5ELb0ES3_mN6thrust23THRUST_200600_302600_NS6detail15normal_iteratorINSA_10device_ptrIiEEEEPS6_NSA_18transform_iteratorINSB_9not_fun_tINSA_8identityIiEEEESF_NSA_11use_defaultESM_EENS0_5tupleIJSF_S6_EEENSO_IJSG_SG_EEES6_PlJS6_EEE10hipError_tPvRmT3_T4_T5_T6_T7_T9_mT8_P12ihipStream_tbDpT10_ENKUlT_T0_E_clISt17integral_constantIbLb1EES1B_EEDaS16_S17_EUlS16_E_NS1_11comp_targetILNS1_3genE3ELNS1_11target_archE908ELNS1_3gpuE7ELNS1_3repE0EEENS1_30default_config_static_selectorELNS0_4arch9wavefront6targetE0EEEvT1_.uses_flat_scratch, 0
	.set _ZN7rocprim17ROCPRIM_400000_NS6detail17trampoline_kernelINS0_14default_configENS1_25partition_config_selectorILNS1_17partition_subalgoE5EiNS0_10empty_typeEbEEZZNS1_14partition_implILS5_5ELb0ES3_mN6thrust23THRUST_200600_302600_NS6detail15normal_iteratorINSA_10device_ptrIiEEEEPS6_NSA_18transform_iteratorINSB_9not_fun_tINSA_8identityIiEEEESF_NSA_11use_defaultESM_EENS0_5tupleIJSF_S6_EEENSO_IJSG_SG_EEES6_PlJS6_EEE10hipError_tPvRmT3_T4_T5_T6_T7_T9_mT8_P12ihipStream_tbDpT10_ENKUlT_T0_E_clISt17integral_constantIbLb1EES1B_EEDaS16_S17_EUlS16_E_NS1_11comp_targetILNS1_3genE3ELNS1_11target_archE908ELNS1_3gpuE7ELNS1_3repE0EEENS1_30default_config_static_selectorELNS0_4arch9wavefront6targetE0EEEvT1_.has_dyn_sized_stack, 0
	.set _ZN7rocprim17ROCPRIM_400000_NS6detail17trampoline_kernelINS0_14default_configENS1_25partition_config_selectorILNS1_17partition_subalgoE5EiNS0_10empty_typeEbEEZZNS1_14partition_implILS5_5ELb0ES3_mN6thrust23THRUST_200600_302600_NS6detail15normal_iteratorINSA_10device_ptrIiEEEEPS6_NSA_18transform_iteratorINSB_9not_fun_tINSA_8identityIiEEEESF_NSA_11use_defaultESM_EENS0_5tupleIJSF_S6_EEENSO_IJSG_SG_EEES6_PlJS6_EEE10hipError_tPvRmT3_T4_T5_T6_T7_T9_mT8_P12ihipStream_tbDpT10_ENKUlT_T0_E_clISt17integral_constantIbLb1EES1B_EEDaS16_S17_EUlS16_E_NS1_11comp_targetILNS1_3genE3ELNS1_11target_archE908ELNS1_3gpuE7ELNS1_3repE0EEENS1_30default_config_static_selectorELNS0_4arch9wavefront6targetE0EEEvT1_.has_recursion, 0
	.set _ZN7rocprim17ROCPRIM_400000_NS6detail17trampoline_kernelINS0_14default_configENS1_25partition_config_selectorILNS1_17partition_subalgoE5EiNS0_10empty_typeEbEEZZNS1_14partition_implILS5_5ELb0ES3_mN6thrust23THRUST_200600_302600_NS6detail15normal_iteratorINSA_10device_ptrIiEEEEPS6_NSA_18transform_iteratorINSB_9not_fun_tINSA_8identityIiEEEESF_NSA_11use_defaultESM_EENS0_5tupleIJSF_S6_EEENSO_IJSG_SG_EEES6_PlJS6_EEE10hipError_tPvRmT3_T4_T5_T6_T7_T9_mT8_P12ihipStream_tbDpT10_ENKUlT_T0_E_clISt17integral_constantIbLb1EES1B_EEDaS16_S17_EUlS16_E_NS1_11comp_targetILNS1_3genE3ELNS1_11target_archE908ELNS1_3gpuE7ELNS1_3repE0EEENS1_30default_config_static_selectorELNS0_4arch9wavefront6targetE0EEEvT1_.has_indirect_call, 0
	.section	.AMDGPU.csdata,"",@progbits
; Kernel info:
; codeLenInByte = 0
; TotalNumSgprs: 0
; NumVgprs: 0
; ScratchSize: 0
; MemoryBound: 0
; FloatMode: 240
; IeeeMode: 1
; LDSByteSize: 0 bytes/workgroup (compile time only)
; SGPRBlocks: 0
; VGPRBlocks: 0
; NumSGPRsForWavesPerEU: 1
; NumVGPRsForWavesPerEU: 1
; Occupancy: 16
; WaveLimiterHint : 0
; COMPUTE_PGM_RSRC2:SCRATCH_EN: 0
; COMPUTE_PGM_RSRC2:USER_SGPR: 2
; COMPUTE_PGM_RSRC2:TRAP_HANDLER: 0
; COMPUTE_PGM_RSRC2:TGID_X_EN: 1
; COMPUTE_PGM_RSRC2:TGID_Y_EN: 0
; COMPUTE_PGM_RSRC2:TGID_Z_EN: 0
; COMPUTE_PGM_RSRC2:TIDIG_COMP_CNT: 0
	.section	.text._ZN7rocprim17ROCPRIM_400000_NS6detail17trampoline_kernelINS0_14default_configENS1_25partition_config_selectorILNS1_17partition_subalgoE5EiNS0_10empty_typeEbEEZZNS1_14partition_implILS5_5ELb0ES3_mN6thrust23THRUST_200600_302600_NS6detail15normal_iteratorINSA_10device_ptrIiEEEEPS6_NSA_18transform_iteratorINSB_9not_fun_tINSA_8identityIiEEEESF_NSA_11use_defaultESM_EENS0_5tupleIJSF_S6_EEENSO_IJSG_SG_EEES6_PlJS6_EEE10hipError_tPvRmT3_T4_T5_T6_T7_T9_mT8_P12ihipStream_tbDpT10_ENKUlT_T0_E_clISt17integral_constantIbLb1EES1B_EEDaS16_S17_EUlS16_E_NS1_11comp_targetILNS1_3genE2ELNS1_11target_archE906ELNS1_3gpuE6ELNS1_3repE0EEENS1_30default_config_static_selectorELNS0_4arch9wavefront6targetE0EEEvT1_,"axG",@progbits,_ZN7rocprim17ROCPRIM_400000_NS6detail17trampoline_kernelINS0_14default_configENS1_25partition_config_selectorILNS1_17partition_subalgoE5EiNS0_10empty_typeEbEEZZNS1_14partition_implILS5_5ELb0ES3_mN6thrust23THRUST_200600_302600_NS6detail15normal_iteratorINSA_10device_ptrIiEEEEPS6_NSA_18transform_iteratorINSB_9not_fun_tINSA_8identityIiEEEESF_NSA_11use_defaultESM_EENS0_5tupleIJSF_S6_EEENSO_IJSG_SG_EEES6_PlJS6_EEE10hipError_tPvRmT3_T4_T5_T6_T7_T9_mT8_P12ihipStream_tbDpT10_ENKUlT_T0_E_clISt17integral_constantIbLb1EES1B_EEDaS16_S17_EUlS16_E_NS1_11comp_targetILNS1_3genE2ELNS1_11target_archE906ELNS1_3gpuE6ELNS1_3repE0EEENS1_30default_config_static_selectorELNS0_4arch9wavefront6targetE0EEEvT1_,comdat
	.protected	_ZN7rocprim17ROCPRIM_400000_NS6detail17trampoline_kernelINS0_14default_configENS1_25partition_config_selectorILNS1_17partition_subalgoE5EiNS0_10empty_typeEbEEZZNS1_14partition_implILS5_5ELb0ES3_mN6thrust23THRUST_200600_302600_NS6detail15normal_iteratorINSA_10device_ptrIiEEEEPS6_NSA_18transform_iteratorINSB_9not_fun_tINSA_8identityIiEEEESF_NSA_11use_defaultESM_EENS0_5tupleIJSF_S6_EEENSO_IJSG_SG_EEES6_PlJS6_EEE10hipError_tPvRmT3_T4_T5_T6_T7_T9_mT8_P12ihipStream_tbDpT10_ENKUlT_T0_E_clISt17integral_constantIbLb1EES1B_EEDaS16_S17_EUlS16_E_NS1_11comp_targetILNS1_3genE2ELNS1_11target_archE906ELNS1_3gpuE6ELNS1_3repE0EEENS1_30default_config_static_selectorELNS0_4arch9wavefront6targetE0EEEvT1_ ; -- Begin function _ZN7rocprim17ROCPRIM_400000_NS6detail17trampoline_kernelINS0_14default_configENS1_25partition_config_selectorILNS1_17partition_subalgoE5EiNS0_10empty_typeEbEEZZNS1_14partition_implILS5_5ELb0ES3_mN6thrust23THRUST_200600_302600_NS6detail15normal_iteratorINSA_10device_ptrIiEEEEPS6_NSA_18transform_iteratorINSB_9not_fun_tINSA_8identityIiEEEESF_NSA_11use_defaultESM_EENS0_5tupleIJSF_S6_EEENSO_IJSG_SG_EEES6_PlJS6_EEE10hipError_tPvRmT3_T4_T5_T6_T7_T9_mT8_P12ihipStream_tbDpT10_ENKUlT_T0_E_clISt17integral_constantIbLb1EES1B_EEDaS16_S17_EUlS16_E_NS1_11comp_targetILNS1_3genE2ELNS1_11target_archE906ELNS1_3gpuE6ELNS1_3repE0EEENS1_30default_config_static_selectorELNS0_4arch9wavefront6targetE0EEEvT1_
	.globl	_ZN7rocprim17ROCPRIM_400000_NS6detail17trampoline_kernelINS0_14default_configENS1_25partition_config_selectorILNS1_17partition_subalgoE5EiNS0_10empty_typeEbEEZZNS1_14partition_implILS5_5ELb0ES3_mN6thrust23THRUST_200600_302600_NS6detail15normal_iteratorINSA_10device_ptrIiEEEEPS6_NSA_18transform_iteratorINSB_9not_fun_tINSA_8identityIiEEEESF_NSA_11use_defaultESM_EENS0_5tupleIJSF_S6_EEENSO_IJSG_SG_EEES6_PlJS6_EEE10hipError_tPvRmT3_T4_T5_T6_T7_T9_mT8_P12ihipStream_tbDpT10_ENKUlT_T0_E_clISt17integral_constantIbLb1EES1B_EEDaS16_S17_EUlS16_E_NS1_11comp_targetILNS1_3genE2ELNS1_11target_archE906ELNS1_3gpuE6ELNS1_3repE0EEENS1_30default_config_static_selectorELNS0_4arch9wavefront6targetE0EEEvT1_
	.p2align	8
	.type	_ZN7rocprim17ROCPRIM_400000_NS6detail17trampoline_kernelINS0_14default_configENS1_25partition_config_selectorILNS1_17partition_subalgoE5EiNS0_10empty_typeEbEEZZNS1_14partition_implILS5_5ELb0ES3_mN6thrust23THRUST_200600_302600_NS6detail15normal_iteratorINSA_10device_ptrIiEEEEPS6_NSA_18transform_iteratorINSB_9not_fun_tINSA_8identityIiEEEESF_NSA_11use_defaultESM_EENS0_5tupleIJSF_S6_EEENSO_IJSG_SG_EEES6_PlJS6_EEE10hipError_tPvRmT3_T4_T5_T6_T7_T9_mT8_P12ihipStream_tbDpT10_ENKUlT_T0_E_clISt17integral_constantIbLb1EES1B_EEDaS16_S17_EUlS16_E_NS1_11comp_targetILNS1_3genE2ELNS1_11target_archE906ELNS1_3gpuE6ELNS1_3repE0EEENS1_30default_config_static_selectorELNS0_4arch9wavefront6targetE0EEEvT1_,@function
_ZN7rocprim17ROCPRIM_400000_NS6detail17trampoline_kernelINS0_14default_configENS1_25partition_config_selectorILNS1_17partition_subalgoE5EiNS0_10empty_typeEbEEZZNS1_14partition_implILS5_5ELb0ES3_mN6thrust23THRUST_200600_302600_NS6detail15normal_iteratorINSA_10device_ptrIiEEEEPS6_NSA_18transform_iteratorINSB_9not_fun_tINSA_8identityIiEEEESF_NSA_11use_defaultESM_EENS0_5tupleIJSF_S6_EEENSO_IJSG_SG_EEES6_PlJS6_EEE10hipError_tPvRmT3_T4_T5_T6_T7_T9_mT8_P12ihipStream_tbDpT10_ENKUlT_T0_E_clISt17integral_constantIbLb1EES1B_EEDaS16_S17_EUlS16_E_NS1_11comp_targetILNS1_3genE2ELNS1_11target_archE906ELNS1_3gpuE6ELNS1_3repE0EEENS1_30default_config_static_selectorELNS0_4arch9wavefront6targetE0EEEvT1_: ; @_ZN7rocprim17ROCPRIM_400000_NS6detail17trampoline_kernelINS0_14default_configENS1_25partition_config_selectorILNS1_17partition_subalgoE5EiNS0_10empty_typeEbEEZZNS1_14partition_implILS5_5ELb0ES3_mN6thrust23THRUST_200600_302600_NS6detail15normal_iteratorINSA_10device_ptrIiEEEEPS6_NSA_18transform_iteratorINSB_9not_fun_tINSA_8identityIiEEEESF_NSA_11use_defaultESM_EENS0_5tupleIJSF_S6_EEENSO_IJSG_SG_EEES6_PlJS6_EEE10hipError_tPvRmT3_T4_T5_T6_T7_T9_mT8_P12ihipStream_tbDpT10_ENKUlT_T0_E_clISt17integral_constantIbLb1EES1B_EEDaS16_S17_EUlS16_E_NS1_11comp_targetILNS1_3genE2ELNS1_11target_archE906ELNS1_3gpuE6ELNS1_3repE0EEENS1_30default_config_static_selectorELNS0_4arch9wavefront6targetE0EEEvT1_
; %bb.0:
	.section	.rodata,"a",@progbits
	.p2align	6, 0x0
	.amdhsa_kernel _ZN7rocprim17ROCPRIM_400000_NS6detail17trampoline_kernelINS0_14default_configENS1_25partition_config_selectorILNS1_17partition_subalgoE5EiNS0_10empty_typeEbEEZZNS1_14partition_implILS5_5ELb0ES3_mN6thrust23THRUST_200600_302600_NS6detail15normal_iteratorINSA_10device_ptrIiEEEEPS6_NSA_18transform_iteratorINSB_9not_fun_tINSA_8identityIiEEEESF_NSA_11use_defaultESM_EENS0_5tupleIJSF_S6_EEENSO_IJSG_SG_EEES6_PlJS6_EEE10hipError_tPvRmT3_T4_T5_T6_T7_T9_mT8_P12ihipStream_tbDpT10_ENKUlT_T0_E_clISt17integral_constantIbLb1EES1B_EEDaS16_S17_EUlS16_E_NS1_11comp_targetILNS1_3genE2ELNS1_11target_archE906ELNS1_3gpuE6ELNS1_3repE0EEENS1_30default_config_static_selectorELNS0_4arch9wavefront6targetE0EEEvT1_
		.amdhsa_group_segment_fixed_size 0
		.amdhsa_private_segment_fixed_size 0
		.amdhsa_kernarg_size 136
		.amdhsa_user_sgpr_count 2
		.amdhsa_user_sgpr_dispatch_ptr 0
		.amdhsa_user_sgpr_queue_ptr 0
		.amdhsa_user_sgpr_kernarg_segment_ptr 1
		.amdhsa_user_sgpr_dispatch_id 0
		.amdhsa_user_sgpr_private_segment_size 0
		.amdhsa_wavefront_size32 1
		.amdhsa_uses_dynamic_stack 0
		.amdhsa_enable_private_segment 0
		.amdhsa_system_sgpr_workgroup_id_x 1
		.amdhsa_system_sgpr_workgroup_id_y 0
		.amdhsa_system_sgpr_workgroup_id_z 0
		.amdhsa_system_sgpr_workgroup_info 0
		.amdhsa_system_vgpr_workitem_id 0
		.amdhsa_next_free_vgpr 1
		.amdhsa_next_free_sgpr 1
		.amdhsa_reserve_vcc 0
		.amdhsa_float_round_mode_32 0
		.amdhsa_float_round_mode_16_64 0
		.amdhsa_float_denorm_mode_32 3
		.amdhsa_float_denorm_mode_16_64 3
		.amdhsa_fp16_overflow 0
		.amdhsa_workgroup_processor_mode 1
		.amdhsa_memory_ordered 1
		.amdhsa_forward_progress 1
		.amdhsa_inst_pref_size 0
		.amdhsa_round_robin_scheduling 0
		.amdhsa_exception_fp_ieee_invalid_op 0
		.amdhsa_exception_fp_denorm_src 0
		.amdhsa_exception_fp_ieee_div_zero 0
		.amdhsa_exception_fp_ieee_overflow 0
		.amdhsa_exception_fp_ieee_underflow 0
		.amdhsa_exception_fp_ieee_inexact 0
		.amdhsa_exception_int_div_zero 0
	.end_amdhsa_kernel
	.section	.text._ZN7rocprim17ROCPRIM_400000_NS6detail17trampoline_kernelINS0_14default_configENS1_25partition_config_selectorILNS1_17partition_subalgoE5EiNS0_10empty_typeEbEEZZNS1_14partition_implILS5_5ELb0ES3_mN6thrust23THRUST_200600_302600_NS6detail15normal_iteratorINSA_10device_ptrIiEEEEPS6_NSA_18transform_iteratorINSB_9not_fun_tINSA_8identityIiEEEESF_NSA_11use_defaultESM_EENS0_5tupleIJSF_S6_EEENSO_IJSG_SG_EEES6_PlJS6_EEE10hipError_tPvRmT3_T4_T5_T6_T7_T9_mT8_P12ihipStream_tbDpT10_ENKUlT_T0_E_clISt17integral_constantIbLb1EES1B_EEDaS16_S17_EUlS16_E_NS1_11comp_targetILNS1_3genE2ELNS1_11target_archE906ELNS1_3gpuE6ELNS1_3repE0EEENS1_30default_config_static_selectorELNS0_4arch9wavefront6targetE0EEEvT1_,"axG",@progbits,_ZN7rocprim17ROCPRIM_400000_NS6detail17trampoline_kernelINS0_14default_configENS1_25partition_config_selectorILNS1_17partition_subalgoE5EiNS0_10empty_typeEbEEZZNS1_14partition_implILS5_5ELb0ES3_mN6thrust23THRUST_200600_302600_NS6detail15normal_iteratorINSA_10device_ptrIiEEEEPS6_NSA_18transform_iteratorINSB_9not_fun_tINSA_8identityIiEEEESF_NSA_11use_defaultESM_EENS0_5tupleIJSF_S6_EEENSO_IJSG_SG_EEES6_PlJS6_EEE10hipError_tPvRmT3_T4_T5_T6_T7_T9_mT8_P12ihipStream_tbDpT10_ENKUlT_T0_E_clISt17integral_constantIbLb1EES1B_EEDaS16_S17_EUlS16_E_NS1_11comp_targetILNS1_3genE2ELNS1_11target_archE906ELNS1_3gpuE6ELNS1_3repE0EEENS1_30default_config_static_selectorELNS0_4arch9wavefront6targetE0EEEvT1_,comdat
.Lfunc_end993:
	.size	_ZN7rocprim17ROCPRIM_400000_NS6detail17trampoline_kernelINS0_14default_configENS1_25partition_config_selectorILNS1_17partition_subalgoE5EiNS0_10empty_typeEbEEZZNS1_14partition_implILS5_5ELb0ES3_mN6thrust23THRUST_200600_302600_NS6detail15normal_iteratorINSA_10device_ptrIiEEEEPS6_NSA_18transform_iteratorINSB_9not_fun_tINSA_8identityIiEEEESF_NSA_11use_defaultESM_EENS0_5tupleIJSF_S6_EEENSO_IJSG_SG_EEES6_PlJS6_EEE10hipError_tPvRmT3_T4_T5_T6_T7_T9_mT8_P12ihipStream_tbDpT10_ENKUlT_T0_E_clISt17integral_constantIbLb1EES1B_EEDaS16_S17_EUlS16_E_NS1_11comp_targetILNS1_3genE2ELNS1_11target_archE906ELNS1_3gpuE6ELNS1_3repE0EEENS1_30default_config_static_selectorELNS0_4arch9wavefront6targetE0EEEvT1_, .Lfunc_end993-_ZN7rocprim17ROCPRIM_400000_NS6detail17trampoline_kernelINS0_14default_configENS1_25partition_config_selectorILNS1_17partition_subalgoE5EiNS0_10empty_typeEbEEZZNS1_14partition_implILS5_5ELb0ES3_mN6thrust23THRUST_200600_302600_NS6detail15normal_iteratorINSA_10device_ptrIiEEEEPS6_NSA_18transform_iteratorINSB_9not_fun_tINSA_8identityIiEEEESF_NSA_11use_defaultESM_EENS0_5tupleIJSF_S6_EEENSO_IJSG_SG_EEES6_PlJS6_EEE10hipError_tPvRmT3_T4_T5_T6_T7_T9_mT8_P12ihipStream_tbDpT10_ENKUlT_T0_E_clISt17integral_constantIbLb1EES1B_EEDaS16_S17_EUlS16_E_NS1_11comp_targetILNS1_3genE2ELNS1_11target_archE906ELNS1_3gpuE6ELNS1_3repE0EEENS1_30default_config_static_selectorELNS0_4arch9wavefront6targetE0EEEvT1_
                                        ; -- End function
	.set _ZN7rocprim17ROCPRIM_400000_NS6detail17trampoline_kernelINS0_14default_configENS1_25partition_config_selectorILNS1_17partition_subalgoE5EiNS0_10empty_typeEbEEZZNS1_14partition_implILS5_5ELb0ES3_mN6thrust23THRUST_200600_302600_NS6detail15normal_iteratorINSA_10device_ptrIiEEEEPS6_NSA_18transform_iteratorINSB_9not_fun_tINSA_8identityIiEEEESF_NSA_11use_defaultESM_EENS0_5tupleIJSF_S6_EEENSO_IJSG_SG_EEES6_PlJS6_EEE10hipError_tPvRmT3_T4_T5_T6_T7_T9_mT8_P12ihipStream_tbDpT10_ENKUlT_T0_E_clISt17integral_constantIbLb1EES1B_EEDaS16_S17_EUlS16_E_NS1_11comp_targetILNS1_3genE2ELNS1_11target_archE906ELNS1_3gpuE6ELNS1_3repE0EEENS1_30default_config_static_selectorELNS0_4arch9wavefront6targetE0EEEvT1_.num_vgpr, 0
	.set _ZN7rocprim17ROCPRIM_400000_NS6detail17trampoline_kernelINS0_14default_configENS1_25partition_config_selectorILNS1_17partition_subalgoE5EiNS0_10empty_typeEbEEZZNS1_14partition_implILS5_5ELb0ES3_mN6thrust23THRUST_200600_302600_NS6detail15normal_iteratorINSA_10device_ptrIiEEEEPS6_NSA_18transform_iteratorINSB_9not_fun_tINSA_8identityIiEEEESF_NSA_11use_defaultESM_EENS0_5tupleIJSF_S6_EEENSO_IJSG_SG_EEES6_PlJS6_EEE10hipError_tPvRmT3_T4_T5_T6_T7_T9_mT8_P12ihipStream_tbDpT10_ENKUlT_T0_E_clISt17integral_constantIbLb1EES1B_EEDaS16_S17_EUlS16_E_NS1_11comp_targetILNS1_3genE2ELNS1_11target_archE906ELNS1_3gpuE6ELNS1_3repE0EEENS1_30default_config_static_selectorELNS0_4arch9wavefront6targetE0EEEvT1_.num_agpr, 0
	.set _ZN7rocprim17ROCPRIM_400000_NS6detail17trampoline_kernelINS0_14default_configENS1_25partition_config_selectorILNS1_17partition_subalgoE5EiNS0_10empty_typeEbEEZZNS1_14partition_implILS5_5ELb0ES3_mN6thrust23THRUST_200600_302600_NS6detail15normal_iteratorINSA_10device_ptrIiEEEEPS6_NSA_18transform_iteratorINSB_9not_fun_tINSA_8identityIiEEEESF_NSA_11use_defaultESM_EENS0_5tupleIJSF_S6_EEENSO_IJSG_SG_EEES6_PlJS6_EEE10hipError_tPvRmT3_T4_T5_T6_T7_T9_mT8_P12ihipStream_tbDpT10_ENKUlT_T0_E_clISt17integral_constantIbLb1EES1B_EEDaS16_S17_EUlS16_E_NS1_11comp_targetILNS1_3genE2ELNS1_11target_archE906ELNS1_3gpuE6ELNS1_3repE0EEENS1_30default_config_static_selectorELNS0_4arch9wavefront6targetE0EEEvT1_.numbered_sgpr, 0
	.set _ZN7rocprim17ROCPRIM_400000_NS6detail17trampoline_kernelINS0_14default_configENS1_25partition_config_selectorILNS1_17partition_subalgoE5EiNS0_10empty_typeEbEEZZNS1_14partition_implILS5_5ELb0ES3_mN6thrust23THRUST_200600_302600_NS6detail15normal_iteratorINSA_10device_ptrIiEEEEPS6_NSA_18transform_iteratorINSB_9not_fun_tINSA_8identityIiEEEESF_NSA_11use_defaultESM_EENS0_5tupleIJSF_S6_EEENSO_IJSG_SG_EEES6_PlJS6_EEE10hipError_tPvRmT3_T4_T5_T6_T7_T9_mT8_P12ihipStream_tbDpT10_ENKUlT_T0_E_clISt17integral_constantIbLb1EES1B_EEDaS16_S17_EUlS16_E_NS1_11comp_targetILNS1_3genE2ELNS1_11target_archE906ELNS1_3gpuE6ELNS1_3repE0EEENS1_30default_config_static_selectorELNS0_4arch9wavefront6targetE0EEEvT1_.num_named_barrier, 0
	.set _ZN7rocprim17ROCPRIM_400000_NS6detail17trampoline_kernelINS0_14default_configENS1_25partition_config_selectorILNS1_17partition_subalgoE5EiNS0_10empty_typeEbEEZZNS1_14partition_implILS5_5ELb0ES3_mN6thrust23THRUST_200600_302600_NS6detail15normal_iteratorINSA_10device_ptrIiEEEEPS6_NSA_18transform_iteratorINSB_9not_fun_tINSA_8identityIiEEEESF_NSA_11use_defaultESM_EENS0_5tupleIJSF_S6_EEENSO_IJSG_SG_EEES6_PlJS6_EEE10hipError_tPvRmT3_T4_T5_T6_T7_T9_mT8_P12ihipStream_tbDpT10_ENKUlT_T0_E_clISt17integral_constantIbLb1EES1B_EEDaS16_S17_EUlS16_E_NS1_11comp_targetILNS1_3genE2ELNS1_11target_archE906ELNS1_3gpuE6ELNS1_3repE0EEENS1_30default_config_static_selectorELNS0_4arch9wavefront6targetE0EEEvT1_.private_seg_size, 0
	.set _ZN7rocprim17ROCPRIM_400000_NS6detail17trampoline_kernelINS0_14default_configENS1_25partition_config_selectorILNS1_17partition_subalgoE5EiNS0_10empty_typeEbEEZZNS1_14partition_implILS5_5ELb0ES3_mN6thrust23THRUST_200600_302600_NS6detail15normal_iteratorINSA_10device_ptrIiEEEEPS6_NSA_18transform_iteratorINSB_9not_fun_tINSA_8identityIiEEEESF_NSA_11use_defaultESM_EENS0_5tupleIJSF_S6_EEENSO_IJSG_SG_EEES6_PlJS6_EEE10hipError_tPvRmT3_T4_T5_T6_T7_T9_mT8_P12ihipStream_tbDpT10_ENKUlT_T0_E_clISt17integral_constantIbLb1EES1B_EEDaS16_S17_EUlS16_E_NS1_11comp_targetILNS1_3genE2ELNS1_11target_archE906ELNS1_3gpuE6ELNS1_3repE0EEENS1_30default_config_static_selectorELNS0_4arch9wavefront6targetE0EEEvT1_.uses_vcc, 0
	.set _ZN7rocprim17ROCPRIM_400000_NS6detail17trampoline_kernelINS0_14default_configENS1_25partition_config_selectorILNS1_17partition_subalgoE5EiNS0_10empty_typeEbEEZZNS1_14partition_implILS5_5ELb0ES3_mN6thrust23THRUST_200600_302600_NS6detail15normal_iteratorINSA_10device_ptrIiEEEEPS6_NSA_18transform_iteratorINSB_9not_fun_tINSA_8identityIiEEEESF_NSA_11use_defaultESM_EENS0_5tupleIJSF_S6_EEENSO_IJSG_SG_EEES6_PlJS6_EEE10hipError_tPvRmT3_T4_T5_T6_T7_T9_mT8_P12ihipStream_tbDpT10_ENKUlT_T0_E_clISt17integral_constantIbLb1EES1B_EEDaS16_S17_EUlS16_E_NS1_11comp_targetILNS1_3genE2ELNS1_11target_archE906ELNS1_3gpuE6ELNS1_3repE0EEENS1_30default_config_static_selectorELNS0_4arch9wavefront6targetE0EEEvT1_.uses_flat_scratch, 0
	.set _ZN7rocprim17ROCPRIM_400000_NS6detail17trampoline_kernelINS0_14default_configENS1_25partition_config_selectorILNS1_17partition_subalgoE5EiNS0_10empty_typeEbEEZZNS1_14partition_implILS5_5ELb0ES3_mN6thrust23THRUST_200600_302600_NS6detail15normal_iteratorINSA_10device_ptrIiEEEEPS6_NSA_18transform_iteratorINSB_9not_fun_tINSA_8identityIiEEEESF_NSA_11use_defaultESM_EENS0_5tupleIJSF_S6_EEENSO_IJSG_SG_EEES6_PlJS6_EEE10hipError_tPvRmT3_T4_T5_T6_T7_T9_mT8_P12ihipStream_tbDpT10_ENKUlT_T0_E_clISt17integral_constantIbLb1EES1B_EEDaS16_S17_EUlS16_E_NS1_11comp_targetILNS1_3genE2ELNS1_11target_archE906ELNS1_3gpuE6ELNS1_3repE0EEENS1_30default_config_static_selectorELNS0_4arch9wavefront6targetE0EEEvT1_.has_dyn_sized_stack, 0
	.set _ZN7rocprim17ROCPRIM_400000_NS6detail17trampoline_kernelINS0_14default_configENS1_25partition_config_selectorILNS1_17partition_subalgoE5EiNS0_10empty_typeEbEEZZNS1_14partition_implILS5_5ELb0ES3_mN6thrust23THRUST_200600_302600_NS6detail15normal_iteratorINSA_10device_ptrIiEEEEPS6_NSA_18transform_iteratorINSB_9not_fun_tINSA_8identityIiEEEESF_NSA_11use_defaultESM_EENS0_5tupleIJSF_S6_EEENSO_IJSG_SG_EEES6_PlJS6_EEE10hipError_tPvRmT3_T4_T5_T6_T7_T9_mT8_P12ihipStream_tbDpT10_ENKUlT_T0_E_clISt17integral_constantIbLb1EES1B_EEDaS16_S17_EUlS16_E_NS1_11comp_targetILNS1_3genE2ELNS1_11target_archE906ELNS1_3gpuE6ELNS1_3repE0EEENS1_30default_config_static_selectorELNS0_4arch9wavefront6targetE0EEEvT1_.has_recursion, 0
	.set _ZN7rocprim17ROCPRIM_400000_NS6detail17trampoline_kernelINS0_14default_configENS1_25partition_config_selectorILNS1_17partition_subalgoE5EiNS0_10empty_typeEbEEZZNS1_14partition_implILS5_5ELb0ES3_mN6thrust23THRUST_200600_302600_NS6detail15normal_iteratorINSA_10device_ptrIiEEEEPS6_NSA_18transform_iteratorINSB_9not_fun_tINSA_8identityIiEEEESF_NSA_11use_defaultESM_EENS0_5tupleIJSF_S6_EEENSO_IJSG_SG_EEES6_PlJS6_EEE10hipError_tPvRmT3_T4_T5_T6_T7_T9_mT8_P12ihipStream_tbDpT10_ENKUlT_T0_E_clISt17integral_constantIbLb1EES1B_EEDaS16_S17_EUlS16_E_NS1_11comp_targetILNS1_3genE2ELNS1_11target_archE906ELNS1_3gpuE6ELNS1_3repE0EEENS1_30default_config_static_selectorELNS0_4arch9wavefront6targetE0EEEvT1_.has_indirect_call, 0
	.section	.AMDGPU.csdata,"",@progbits
; Kernel info:
; codeLenInByte = 0
; TotalNumSgprs: 0
; NumVgprs: 0
; ScratchSize: 0
; MemoryBound: 0
; FloatMode: 240
; IeeeMode: 1
; LDSByteSize: 0 bytes/workgroup (compile time only)
; SGPRBlocks: 0
; VGPRBlocks: 0
; NumSGPRsForWavesPerEU: 1
; NumVGPRsForWavesPerEU: 1
; Occupancy: 16
; WaveLimiterHint : 0
; COMPUTE_PGM_RSRC2:SCRATCH_EN: 0
; COMPUTE_PGM_RSRC2:USER_SGPR: 2
; COMPUTE_PGM_RSRC2:TRAP_HANDLER: 0
; COMPUTE_PGM_RSRC2:TGID_X_EN: 1
; COMPUTE_PGM_RSRC2:TGID_Y_EN: 0
; COMPUTE_PGM_RSRC2:TGID_Z_EN: 0
; COMPUTE_PGM_RSRC2:TIDIG_COMP_CNT: 0
	.section	.text._ZN7rocprim17ROCPRIM_400000_NS6detail17trampoline_kernelINS0_14default_configENS1_25partition_config_selectorILNS1_17partition_subalgoE5EiNS0_10empty_typeEbEEZZNS1_14partition_implILS5_5ELb0ES3_mN6thrust23THRUST_200600_302600_NS6detail15normal_iteratorINSA_10device_ptrIiEEEEPS6_NSA_18transform_iteratorINSB_9not_fun_tINSA_8identityIiEEEESF_NSA_11use_defaultESM_EENS0_5tupleIJSF_S6_EEENSO_IJSG_SG_EEES6_PlJS6_EEE10hipError_tPvRmT3_T4_T5_T6_T7_T9_mT8_P12ihipStream_tbDpT10_ENKUlT_T0_E_clISt17integral_constantIbLb1EES1B_EEDaS16_S17_EUlS16_E_NS1_11comp_targetILNS1_3genE10ELNS1_11target_archE1200ELNS1_3gpuE4ELNS1_3repE0EEENS1_30default_config_static_selectorELNS0_4arch9wavefront6targetE0EEEvT1_,"axG",@progbits,_ZN7rocprim17ROCPRIM_400000_NS6detail17trampoline_kernelINS0_14default_configENS1_25partition_config_selectorILNS1_17partition_subalgoE5EiNS0_10empty_typeEbEEZZNS1_14partition_implILS5_5ELb0ES3_mN6thrust23THRUST_200600_302600_NS6detail15normal_iteratorINSA_10device_ptrIiEEEEPS6_NSA_18transform_iteratorINSB_9not_fun_tINSA_8identityIiEEEESF_NSA_11use_defaultESM_EENS0_5tupleIJSF_S6_EEENSO_IJSG_SG_EEES6_PlJS6_EEE10hipError_tPvRmT3_T4_T5_T6_T7_T9_mT8_P12ihipStream_tbDpT10_ENKUlT_T0_E_clISt17integral_constantIbLb1EES1B_EEDaS16_S17_EUlS16_E_NS1_11comp_targetILNS1_3genE10ELNS1_11target_archE1200ELNS1_3gpuE4ELNS1_3repE0EEENS1_30default_config_static_selectorELNS0_4arch9wavefront6targetE0EEEvT1_,comdat
	.protected	_ZN7rocprim17ROCPRIM_400000_NS6detail17trampoline_kernelINS0_14default_configENS1_25partition_config_selectorILNS1_17partition_subalgoE5EiNS0_10empty_typeEbEEZZNS1_14partition_implILS5_5ELb0ES3_mN6thrust23THRUST_200600_302600_NS6detail15normal_iteratorINSA_10device_ptrIiEEEEPS6_NSA_18transform_iteratorINSB_9not_fun_tINSA_8identityIiEEEESF_NSA_11use_defaultESM_EENS0_5tupleIJSF_S6_EEENSO_IJSG_SG_EEES6_PlJS6_EEE10hipError_tPvRmT3_T4_T5_T6_T7_T9_mT8_P12ihipStream_tbDpT10_ENKUlT_T0_E_clISt17integral_constantIbLb1EES1B_EEDaS16_S17_EUlS16_E_NS1_11comp_targetILNS1_3genE10ELNS1_11target_archE1200ELNS1_3gpuE4ELNS1_3repE0EEENS1_30default_config_static_selectorELNS0_4arch9wavefront6targetE0EEEvT1_ ; -- Begin function _ZN7rocprim17ROCPRIM_400000_NS6detail17trampoline_kernelINS0_14default_configENS1_25partition_config_selectorILNS1_17partition_subalgoE5EiNS0_10empty_typeEbEEZZNS1_14partition_implILS5_5ELb0ES3_mN6thrust23THRUST_200600_302600_NS6detail15normal_iteratorINSA_10device_ptrIiEEEEPS6_NSA_18transform_iteratorINSB_9not_fun_tINSA_8identityIiEEEESF_NSA_11use_defaultESM_EENS0_5tupleIJSF_S6_EEENSO_IJSG_SG_EEES6_PlJS6_EEE10hipError_tPvRmT3_T4_T5_T6_T7_T9_mT8_P12ihipStream_tbDpT10_ENKUlT_T0_E_clISt17integral_constantIbLb1EES1B_EEDaS16_S17_EUlS16_E_NS1_11comp_targetILNS1_3genE10ELNS1_11target_archE1200ELNS1_3gpuE4ELNS1_3repE0EEENS1_30default_config_static_selectorELNS0_4arch9wavefront6targetE0EEEvT1_
	.globl	_ZN7rocprim17ROCPRIM_400000_NS6detail17trampoline_kernelINS0_14default_configENS1_25partition_config_selectorILNS1_17partition_subalgoE5EiNS0_10empty_typeEbEEZZNS1_14partition_implILS5_5ELb0ES3_mN6thrust23THRUST_200600_302600_NS6detail15normal_iteratorINSA_10device_ptrIiEEEEPS6_NSA_18transform_iteratorINSB_9not_fun_tINSA_8identityIiEEEESF_NSA_11use_defaultESM_EENS0_5tupleIJSF_S6_EEENSO_IJSG_SG_EEES6_PlJS6_EEE10hipError_tPvRmT3_T4_T5_T6_T7_T9_mT8_P12ihipStream_tbDpT10_ENKUlT_T0_E_clISt17integral_constantIbLb1EES1B_EEDaS16_S17_EUlS16_E_NS1_11comp_targetILNS1_3genE10ELNS1_11target_archE1200ELNS1_3gpuE4ELNS1_3repE0EEENS1_30default_config_static_selectorELNS0_4arch9wavefront6targetE0EEEvT1_
	.p2align	8
	.type	_ZN7rocprim17ROCPRIM_400000_NS6detail17trampoline_kernelINS0_14default_configENS1_25partition_config_selectorILNS1_17partition_subalgoE5EiNS0_10empty_typeEbEEZZNS1_14partition_implILS5_5ELb0ES3_mN6thrust23THRUST_200600_302600_NS6detail15normal_iteratorINSA_10device_ptrIiEEEEPS6_NSA_18transform_iteratorINSB_9not_fun_tINSA_8identityIiEEEESF_NSA_11use_defaultESM_EENS0_5tupleIJSF_S6_EEENSO_IJSG_SG_EEES6_PlJS6_EEE10hipError_tPvRmT3_T4_T5_T6_T7_T9_mT8_P12ihipStream_tbDpT10_ENKUlT_T0_E_clISt17integral_constantIbLb1EES1B_EEDaS16_S17_EUlS16_E_NS1_11comp_targetILNS1_3genE10ELNS1_11target_archE1200ELNS1_3gpuE4ELNS1_3repE0EEENS1_30default_config_static_selectorELNS0_4arch9wavefront6targetE0EEEvT1_,@function
_ZN7rocprim17ROCPRIM_400000_NS6detail17trampoline_kernelINS0_14default_configENS1_25partition_config_selectorILNS1_17partition_subalgoE5EiNS0_10empty_typeEbEEZZNS1_14partition_implILS5_5ELb0ES3_mN6thrust23THRUST_200600_302600_NS6detail15normal_iteratorINSA_10device_ptrIiEEEEPS6_NSA_18transform_iteratorINSB_9not_fun_tINSA_8identityIiEEEESF_NSA_11use_defaultESM_EENS0_5tupleIJSF_S6_EEENSO_IJSG_SG_EEES6_PlJS6_EEE10hipError_tPvRmT3_T4_T5_T6_T7_T9_mT8_P12ihipStream_tbDpT10_ENKUlT_T0_E_clISt17integral_constantIbLb1EES1B_EEDaS16_S17_EUlS16_E_NS1_11comp_targetILNS1_3genE10ELNS1_11target_archE1200ELNS1_3gpuE4ELNS1_3repE0EEENS1_30default_config_static_selectorELNS0_4arch9wavefront6targetE0EEEvT1_: ; @_ZN7rocprim17ROCPRIM_400000_NS6detail17trampoline_kernelINS0_14default_configENS1_25partition_config_selectorILNS1_17partition_subalgoE5EiNS0_10empty_typeEbEEZZNS1_14partition_implILS5_5ELb0ES3_mN6thrust23THRUST_200600_302600_NS6detail15normal_iteratorINSA_10device_ptrIiEEEEPS6_NSA_18transform_iteratorINSB_9not_fun_tINSA_8identityIiEEEESF_NSA_11use_defaultESM_EENS0_5tupleIJSF_S6_EEENSO_IJSG_SG_EEES6_PlJS6_EEE10hipError_tPvRmT3_T4_T5_T6_T7_T9_mT8_P12ihipStream_tbDpT10_ENKUlT_T0_E_clISt17integral_constantIbLb1EES1B_EEDaS16_S17_EUlS16_E_NS1_11comp_targetILNS1_3genE10ELNS1_11target_archE1200ELNS1_3gpuE4ELNS1_3repE0EEENS1_30default_config_static_selectorELNS0_4arch9wavefront6targetE0EEEvT1_
; %bb.0:
	s_endpgm
	.section	.rodata,"a",@progbits
	.p2align	6, 0x0
	.amdhsa_kernel _ZN7rocprim17ROCPRIM_400000_NS6detail17trampoline_kernelINS0_14default_configENS1_25partition_config_selectorILNS1_17partition_subalgoE5EiNS0_10empty_typeEbEEZZNS1_14partition_implILS5_5ELb0ES3_mN6thrust23THRUST_200600_302600_NS6detail15normal_iteratorINSA_10device_ptrIiEEEEPS6_NSA_18transform_iteratorINSB_9not_fun_tINSA_8identityIiEEEESF_NSA_11use_defaultESM_EENS0_5tupleIJSF_S6_EEENSO_IJSG_SG_EEES6_PlJS6_EEE10hipError_tPvRmT3_T4_T5_T6_T7_T9_mT8_P12ihipStream_tbDpT10_ENKUlT_T0_E_clISt17integral_constantIbLb1EES1B_EEDaS16_S17_EUlS16_E_NS1_11comp_targetILNS1_3genE10ELNS1_11target_archE1200ELNS1_3gpuE4ELNS1_3repE0EEENS1_30default_config_static_selectorELNS0_4arch9wavefront6targetE0EEEvT1_
		.amdhsa_group_segment_fixed_size 0
		.amdhsa_private_segment_fixed_size 0
		.amdhsa_kernarg_size 136
		.amdhsa_user_sgpr_count 2
		.amdhsa_user_sgpr_dispatch_ptr 0
		.amdhsa_user_sgpr_queue_ptr 0
		.amdhsa_user_sgpr_kernarg_segment_ptr 1
		.amdhsa_user_sgpr_dispatch_id 0
		.amdhsa_user_sgpr_private_segment_size 0
		.amdhsa_wavefront_size32 1
		.amdhsa_uses_dynamic_stack 0
		.amdhsa_enable_private_segment 0
		.amdhsa_system_sgpr_workgroup_id_x 1
		.amdhsa_system_sgpr_workgroup_id_y 0
		.amdhsa_system_sgpr_workgroup_id_z 0
		.amdhsa_system_sgpr_workgroup_info 0
		.amdhsa_system_vgpr_workitem_id 0
		.amdhsa_next_free_vgpr 1
		.amdhsa_next_free_sgpr 1
		.amdhsa_reserve_vcc 0
		.amdhsa_float_round_mode_32 0
		.amdhsa_float_round_mode_16_64 0
		.amdhsa_float_denorm_mode_32 3
		.amdhsa_float_denorm_mode_16_64 3
		.amdhsa_fp16_overflow 0
		.amdhsa_workgroup_processor_mode 1
		.amdhsa_memory_ordered 1
		.amdhsa_forward_progress 1
		.amdhsa_inst_pref_size 1
		.amdhsa_round_robin_scheduling 0
		.amdhsa_exception_fp_ieee_invalid_op 0
		.amdhsa_exception_fp_denorm_src 0
		.amdhsa_exception_fp_ieee_div_zero 0
		.amdhsa_exception_fp_ieee_overflow 0
		.amdhsa_exception_fp_ieee_underflow 0
		.amdhsa_exception_fp_ieee_inexact 0
		.amdhsa_exception_int_div_zero 0
	.end_amdhsa_kernel
	.section	.text._ZN7rocprim17ROCPRIM_400000_NS6detail17trampoline_kernelINS0_14default_configENS1_25partition_config_selectorILNS1_17partition_subalgoE5EiNS0_10empty_typeEbEEZZNS1_14partition_implILS5_5ELb0ES3_mN6thrust23THRUST_200600_302600_NS6detail15normal_iteratorINSA_10device_ptrIiEEEEPS6_NSA_18transform_iteratorINSB_9not_fun_tINSA_8identityIiEEEESF_NSA_11use_defaultESM_EENS0_5tupleIJSF_S6_EEENSO_IJSG_SG_EEES6_PlJS6_EEE10hipError_tPvRmT3_T4_T5_T6_T7_T9_mT8_P12ihipStream_tbDpT10_ENKUlT_T0_E_clISt17integral_constantIbLb1EES1B_EEDaS16_S17_EUlS16_E_NS1_11comp_targetILNS1_3genE10ELNS1_11target_archE1200ELNS1_3gpuE4ELNS1_3repE0EEENS1_30default_config_static_selectorELNS0_4arch9wavefront6targetE0EEEvT1_,"axG",@progbits,_ZN7rocprim17ROCPRIM_400000_NS6detail17trampoline_kernelINS0_14default_configENS1_25partition_config_selectorILNS1_17partition_subalgoE5EiNS0_10empty_typeEbEEZZNS1_14partition_implILS5_5ELb0ES3_mN6thrust23THRUST_200600_302600_NS6detail15normal_iteratorINSA_10device_ptrIiEEEEPS6_NSA_18transform_iteratorINSB_9not_fun_tINSA_8identityIiEEEESF_NSA_11use_defaultESM_EENS0_5tupleIJSF_S6_EEENSO_IJSG_SG_EEES6_PlJS6_EEE10hipError_tPvRmT3_T4_T5_T6_T7_T9_mT8_P12ihipStream_tbDpT10_ENKUlT_T0_E_clISt17integral_constantIbLb1EES1B_EEDaS16_S17_EUlS16_E_NS1_11comp_targetILNS1_3genE10ELNS1_11target_archE1200ELNS1_3gpuE4ELNS1_3repE0EEENS1_30default_config_static_selectorELNS0_4arch9wavefront6targetE0EEEvT1_,comdat
.Lfunc_end994:
	.size	_ZN7rocprim17ROCPRIM_400000_NS6detail17trampoline_kernelINS0_14default_configENS1_25partition_config_selectorILNS1_17partition_subalgoE5EiNS0_10empty_typeEbEEZZNS1_14partition_implILS5_5ELb0ES3_mN6thrust23THRUST_200600_302600_NS6detail15normal_iteratorINSA_10device_ptrIiEEEEPS6_NSA_18transform_iteratorINSB_9not_fun_tINSA_8identityIiEEEESF_NSA_11use_defaultESM_EENS0_5tupleIJSF_S6_EEENSO_IJSG_SG_EEES6_PlJS6_EEE10hipError_tPvRmT3_T4_T5_T6_T7_T9_mT8_P12ihipStream_tbDpT10_ENKUlT_T0_E_clISt17integral_constantIbLb1EES1B_EEDaS16_S17_EUlS16_E_NS1_11comp_targetILNS1_3genE10ELNS1_11target_archE1200ELNS1_3gpuE4ELNS1_3repE0EEENS1_30default_config_static_selectorELNS0_4arch9wavefront6targetE0EEEvT1_, .Lfunc_end994-_ZN7rocprim17ROCPRIM_400000_NS6detail17trampoline_kernelINS0_14default_configENS1_25partition_config_selectorILNS1_17partition_subalgoE5EiNS0_10empty_typeEbEEZZNS1_14partition_implILS5_5ELb0ES3_mN6thrust23THRUST_200600_302600_NS6detail15normal_iteratorINSA_10device_ptrIiEEEEPS6_NSA_18transform_iteratorINSB_9not_fun_tINSA_8identityIiEEEESF_NSA_11use_defaultESM_EENS0_5tupleIJSF_S6_EEENSO_IJSG_SG_EEES6_PlJS6_EEE10hipError_tPvRmT3_T4_T5_T6_T7_T9_mT8_P12ihipStream_tbDpT10_ENKUlT_T0_E_clISt17integral_constantIbLb1EES1B_EEDaS16_S17_EUlS16_E_NS1_11comp_targetILNS1_3genE10ELNS1_11target_archE1200ELNS1_3gpuE4ELNS1_3repE0EEENS1_30default_config_static_selectorELNS0_4arch9wavefront6targetE0EEEvT1_
                                        ; -- End function
	.set _ZN7rocprim17ROCPRIM_400000_NS6detail17trampoline_kernelINS0_14default_configENS1_25partition_config_selectorILNS1_17partition_subalgoE5EiNS0_10empty_typeEbEEZZNS1_14partition_implILS5_5ELb0ES3_mN6thrust23THRUST_200600_302600_NS6detail15normal_iteratorINSA_10device_ptrIiEEEEPS6_NSA_18transform_iteratorINSB_9not_fun_tINSA_8identityIiEEEESF_NSA_11use_defaultESM_EENS0_5tupleIJSF_S6_EEENSO_IJSG_SG_EEES6_PlJS6_EEE10hipError_tPvRmT3_T4_T5_T6_T7_T9_mT8_P12ihipStream_tbDpT10_ENKUlT_T0_E_clISt17integral_constantIbLb1EES1B_EEDaS16_S17_EUlS16_E_NS1_11comp_targetILNS1_3genE10ELNS1_11target_archE1200ELNS1_3gpuE4ELNS1_3repE0EEENS1_30default_config_static_selectorELNS0_4arch9wavefront6targetE0EEEvT1_.num_vgpr, 0
	.set _ZN7rocprim17ROCPRIM_400000_NS6detail17trampoline_kernelINS0_14default_configENS1_25partition_config_selectorILNS1_17partition_subalgoE5EiNS0_10empty_typeEbEEZZNS1_14partition_implILS5_5ELb0ES3_mN6thrust23THRUST_200600_302600_NS6detail15normal_iteratorINSA_10device_ptrIiEEEEPS6_NSA_18transform_iteratorINSB_9not_fun_tINSA_8identityIiEEEESF_NSA_11use_defaultESM_EENS0_5tupleIJSF_S6_EEENSO_IJSG_SG_EEES6_PlJS6_EEE10hipError_tPvRmT3_T4_T5_T6_T7_T9_mT8_P12ihipStream_tbDpT10_ENKUlT_T0_E_clISt17integral_constantIbLb1EES1B_EEDaS16_S17_EUlS16_E_NS1_11comp_targetILNS1_3genE10ELNS1_11target_archE1200ELNS1_3gpuE4ELNS1_3repE0EEENS1_30default_config_static_selectorELNS0_4arch9wavefront6targetE0EEEvT1_.num_agpr, 0
	.set _ZN7rocprim17ROCPRIM_400000_NS6detail17trampoline_kernelINS0_14default_configENS1_25partition_config_selectorILNS1_17partition_subalgoE5EiNS0_10empty_typeEbEEZZNS1_14partition_implILS5_5ELb0ES3_mN6thrust23THRUST_200600_302600_NS6detail15normal_iteratorINSA_10device_ptrIiEEEEPS6_NSA_18transform_iteratorINSB_9not_fun_tINSA_8identityIiEEEESF_NSA_11use_defaultESM_EENS0_5tupleIJSF_S6_EEENSO_IJSG_SG_EEES6_PlJS6_EEE10hipError_tPvRmT3_T4_T5_T6_T7_T9_mT8_P12ihipStream_tbDpT10_ENKUlT_T0_E_clISt17integral_constantIbLb1EES1B_EEDaS16_S17_EUlS16_E_NS1_11comp_targetILNS1_3genE10ELNS1_11target_archE1200ELNS1_3gpuE4ELNS1_3repE0EEENS1_30default_config_static_selectorELNS0_4arch9wavefront6targetE0EEEvT1_.numbered_sgpr, 0
	.set _ZN7rocprim17ROCPRIM_400000_NS6detail17trampoline_kernelINS0_14default_configENS1_25partition_config_selectorILNS1_17partition_subalgoE5EiNS0_10empty_typeEbEEZZNS1_14partition_implILS5_5ELb0ES3_mN6thrust23THRUST_200600_302600_NS6detail15normal_iteratorINSA_10device_ptrIiEEEEPS6_NSA_18transform_iteratorINSB_9not_fun_tINSA_8identityIiEEEESF_NSA_11use_defaultESM_EENS0_5tupleIJSF_S6_EEENSO_IJSG_SG_EEES6_PlJS6_EEE10hipError_tPvRmT3_T4_T5_T6_T7_T9_mT8_P12ihipStream_tbDpT10_ENKUlT_T0_E_clISt17integral_constantIbLb1EES1B_EEDaS16_S17_EUlS16_E_NS1_11comp_targetILNS1_3genE10ELNS1_11target_archE1200ELNS1_3gpuE4ELNS1_3repE0EEENS1_30default_config_static_selectorELNS0_4arch9wavefront6targetE0EEEvT1_.num_named_barrier, 0
	.set _ZN7rocprim17ROCPRIM_400000_NS6detail17trampoline_kernelINS0_14default_configENS1_25partition_config_selectorILNS1_17partition_subalgoE5EiNS0_10empty_typeEbEEZZNS1_14partition_implILS5_5ELb0ES3_mN6thrust23THRUST_200600_302600_NS6detail15normal_iteratorINSA_10device_ptrIiEEEEPS6_NSA_18transform_iteratorINSB_9not_fun_tINSA_8identityIiEEEESF_NSA_11use_defaultESM_EENS0_5tupleIJSF_S6_EEENSO_IJSG_SG_EEES6_PlJS6_EEE10hipError_tPvRmT3_T4_T5_T6_T7_T9_mT8_P12ihipStream_tbDpT10_ENKUlT_T0_E_clISt17integral_constantIbLb1EES1B_EEDaS16_S17_EUlS16_E_NS1_11comp_targetILNS1_3genE10ELNS1_11target_archE1200ELNS1_3gpuE4ELNS1_3repE0EEENS1_30default_config_static_selectorELNS0_4arch9wavefront6targetE0EEEvT1_.private_seg_size, 0
	.set _ZN7rocprim17ROCPRIM_400000_NS6detail17trampoline_kernelINS0_14default_configENS1_25partition_config_selectorILNS1_17partition_subalgoE5EiNS0_10empty_typeEbEEZZNS1_14partition_implILS5_5ELb0ES3_mN6thrust23THRUST_200600_302600_NS6detail15normal_iteratorINSA_10device_ptrIiEEEEPS6_NSA_18transform_iteratorINSB_9not_fun_tINSA_8identityIiEEEESF_NSA_11use_defaultESM_EENS0_5tupleIJSF_S6_EEENSO_IJSG_SG_EEES6_PlJS6_EEE10hipError_tPvRmT3_T4_T5_T6_T7_T9_mT8_P12ihipStream_tbDpT10_ENKUlT_T0_E_clISt17integral_constantIbLb1EES1B_EEDaS16_S17_EUlS16_E_NS1_11comp_targetILNS1_3genE10ELNS1_11target_archE1200ELNS1_3gpuE4ELNS1_3repE0EEENS1_30default_config_static_selectorELNS0_4arch9wavefront6targetE0EEEvT1_.uses_vcc, 0
	.set _ZN7rocprim17ROCPRIM_400000_NS6detail17trampoline_kernelINS0_14default_configENS1_25partition_config_selectorILNS1_17partition_subalgoE5EiNS0_10empty_typeEbEEZZNS1_14partition_implILS5_5ELb0ES3_mN6thrust23THRUST_200600_302600_NS6detail15normal_iteratorINSA_10device_ptrIiEEEEPS6_NSA_18transform_iteratorINSB_9not_fun_tINSA_8identityIiEEEESF_NSA_11use_defaultESM_EENS0_5tupleIJSF_S6_EEENSO_IJSG_SG_EEES6_PlJS6_EEE10hipError_tPvRmT3_T4_T5_T6_T7_T9_mT8_P12ihipStream_tbDpT10_ENKUlT_T0_E_clISt17integral_constantIbLb1EES1B_EEDaS16_S17_EUlS16_E_NS1_11comp_targetILNS1_3genE10ELNS1_11target_archE1200ELNS1_3gpuE4ELNS1_3repE0EEENS1_30default_config_static_selectorELNS0_4arch9wavefront6targetE0EEEvT1_.uses_flat_scratch, 0
	.set _ZN7rocprim17ROCPRIM_400000_NS6detail17trampoline_kernelINS0_14default_configENS1_25partition_config_selectorILNS1_17partition_subalgoE5EiNS0_10empty_typeEbEEZZNS1_14partition_implILS5_5ELb0ES3_mN6thrust23THRUST_200600_302600_NS6detail15normal_iteratorINSA_10device_ptrIiEEEEPS6_NSA_18transform_iteratorINSB_9not_fun_tINSA_8identityIiEEEESF_NSA_11use_defaultESM_EENS0_5tupleIJSF_S6_EEENSO_IJSG_SG_EEES6_PlJS6_EEE10hipError_tPvRmT3_T4_T5_T6_T7_T9_mT8_P12ihipStream_tbDpT10_ENKUlT_T0_E_clISt17integral_constantIbLb1EES1B_EEDaS16_S17_EUlS16_E_NS1_11comp_targetILNS1_3genE10ELNS1_11target_archE1200ELNS1_3gpuE4ELNS1_3repE0EEENS1_30default_config_static_selectorELNS0_4arch9wavefront6targetE0EEEvT1_.has_dyn_sized_stack, 0
	.set _ZN7rocprim17ROCPRIM_400000_NS6detail17trampoline_kernelINS0_14default_configENS1_25partition_config_selectorILNS1_17partition_subalgoE5EiNS0_10empty_typeEbEEZZNS1_14partition_implILS5_5ELb0ES3_mN6thrust23THRUST_200600_302600_NS6detail15normal_iteratorINSA_10device_ptrIiEEEEPS6_NSA_18transform_iteratorINSB_9not_fun_tINSA_8identityIiEEEESF_NSA_11use_defaultESM_EENS0_5tupleIJSF_S6_EEENSO_IJSG_SG_EEES6_PlJS6_EEE10hipError_tPvRmT3_T4_T5_T6_T7_T9_mT8_P12ihipStream_tbDpT10_ENKUlT_T0_E_clISt17integral_constantIbLb1EES1B_EEDaS16_S17_EUlS16_E_NS1_11comp_targetILNS1_3genE10ELNS1_11target_archE1200ELNS1_3gpuE4ELNS1_3repE0EEENS1_30default_config_static_selectorELNS0_4arch9wavefront6targetE0EEEvT1_.has_recursion, 0
	.set _ZN7rocprim17ROCPRIM_400000_NS6detail17trampoline_kernelINS0_14default_configENS1_25partition_config_selectorILNS1_17partition_subalgoE5EiNS0_10empty_typeEbEEZZNS1_14partition_implILS5_5ELb0ES3_mN6thrust23THRUST_200600_302600_NS6detail15normal_iteratorINSA_10device_ptrIiEEEEPS6_NSA_18transform_iteratorINSB_9not_fun_tINSA_8identityIiEEEESF_NSA_11use_defaultESM_EENS0_5tupleIJSF_S6_EEENSO_IJSG_SG_EEES6_PlJS6_EEE10hipError_tPvRmT3_T4_T5_T6_T7_T9_mT8_P12ihipStream_tbDpT10_ENKUlT_T0_E_clISt17integral_constantIbLb1EES1B_EEDaS16_S17_EUlS16_E_NS1_11comp_targetILNS1_3genE10ELNS1_11target_archE1200ELNS1_3gpuE4ELNS1_3repE0EEENS1_30default_config_static_selectorELNS0_4arch9wavefront6targetE0EEEvT1_.has_indirect_call, 0
	.section	.AMDGPU.csdata,"",@progbits
; Kernel info:
; codeLenInByte = 4
; TotalNumSgprs: 0
; NumVgprs: 0
; ScratchSize: 0
; MemoryBound: 0
; FloatMode: 240
; IeeeMode: 1
; LDSByteSize: 0 bytes/workgroup (compile time only)
; SGPRBlocks: 0
; VGPRBlocks: 0
; NumSGPRsForWavesPerEU: 1
; NumVGPRsForWavesPerEU: 1
; Occupancy: 16
; WaveLimiterHint : 0
; COMPUTE_PGM_RSRC2:SCRATCH_EN: 0
; COMPUTE_PGM_RSRC2:USER_SGPR: 2
; COMPUTE_PGM_RSRC2:TRAP_HANDLER: 0
; COMPUTE_PGM_RSRC2:TGID_X_EN: 1
; COMPUTE_PGM_RSRC2:TGID_Y_EN: 0
; COMPUTE_PGM_RSRC2:TGID_Z_EN: 0
; COMPUTE_PGM_RSRC2:TIDIG_COMP_CNT: 0
	.section	.text._ZN7rocprim17ROCPRIM_400000_NS6detail17trampoline_kernelINS0_14default_configENS1_25partition_config_selectorILNS1_17partition_subalgoE5EiNS0_10empty_typeEbEEZZNS1_14partition_implILS5_5ELb0ES3_mN6thrust23THRUST_200600_302600_NS6detail15normal_iteratorINSA_10device_ptrIiEEEEPS6_NSA_18transform_iteratorINSB_9not_fun_tINSA_8identityIiEEEESF_NSA_11use_defaultESM_EENS0_5tupleIJSF_S6_EEENSO_IJSG_SG_EEES6_PlJS6_EEE10hipError_tPvRmT3_T4_T5_T6_T7_T9_mT8_P12ihipStream_tbDpT10_ENKUlT_T0_E_clISt17integral_constantIbLb1EES1B_EEDaS16_S17_EUlS16_E_NS1_11comp_targetILNS1_3genE9ELNS1_11target_archE1100ELNS1_3gpuE3ELNS1_3repE0EEENS1_30default_config_static_selectorELNS0_4arch9wavefront6targetE0EEEvT1_,"axG",@progbits,_ZN7rocprim17ROCPRIM_400000_NS6detail17trampoline_kernelINS0_14default_configENS1_25partition_config_selectorILNS1_17partition_subalgoE5EiNS0_10empty_typeEbEEZZNS1_14partition_implILS5_5ELb0ES3_mN6thrust23THRUST_200600_302600_NS6detail15normal_iteratorINSA_10device_ptrIiEEEEPS6_NSA_18transform_iteratorINSB_9not_fun_tINSA_8identityIiEEEESF_NSA_11use_defaultESM_EENS0_5tupleIJSF_S6_EEENSO_IJSG_SG_EEES6_PlJS6_EEE10hipError_tPvRmT3_T4_T5_T6_T7_T9_mT8_P12ihipStream_tbDpT10_ENKUlT_T0_E_clISt17integral_constantIbLb1EES1B_EEDaS16_S17_EUlS16_E_NS1_11comp_targetILNS1_3genE9ELNS1_11target_archE1100ELNS1_3gpuE3ELNS1_3repE0EEENS1_30default_config_static_selectorELNS0_4arch9wavefront6targetE0EEEvT1_,comdat
	.protected	_ZN7rocprim17ROCPRIM_400000_NS6detail17trampoline_kernelINS0_14default_configENS1_25partition_config_selectorILNS1_17partition_subalgoE5EiNS0_10empty_typeEbEEZZNS1_14partition_implILS5_5ELb0ES3_mN6thrust23THRUST_200600_302600_NS6detail15normal_iteratorINSA_10device_ptrIiEEEEPS6_NSA_18transform_iteratorINSB_9not_fun_tINSA_8identityIiEEEESF_NSA_11use_defaultESM_EENS0_5tupleIJSF_S6_EEENSO_IJSG_SG_EEES6_PlJS6_EEE10hipError_tPvRmT3_T4_T5_T6_T7_T9_mT8_P12ihipStream_tbDpT10_ENKUlT_T0_E_clISt17integral_constantIbLb1EES1B_EEDaS16_S17_EUlS16_E_NS1_11comp_targetILNS1_3genE9ELNS1_11target_archE1100ELNS1_3gpuE3ELNS1_3repE0EEENS1_30default_config_static_selectorELNS0_4arch9wavefront6targetE0EEEvT1_ ; -- Begin function _ZN7rocprim17ROCPRIM_400000_NS6detail17trampoline_kernelINS0_14default_configENS1_25partition_config_selectorILNS1_17partition_subalgoE5EiNS0_10empty_typeEbEEZZNS1_14partition_implILS5_5ELb0ES3_mN6thrust23THRUST_200600_302600_NS6detail15normal_iteratorINSA_10device_ptrIiEEEEPS6_NSA_18transform_iteratorINSB_9not_fun_tINSA_8identityIiEEEESF_NSA_11use_defaultESM_EENS0_5tupleIJSF_S6_EEENSO_IJSG_SG_EEES6_PlJS6_EEE10hipError_tPvRmT3_T4_T5_T6_T7_T9_mT8_P12ihipStream_tbDpT10_ENKUlT_T0_E_clISt17integral_constantIbLb1EES1B_EEDaS16_S17_EUlS16_E_NS1_11comp_targetILNS1_3genE9ELNS1_11target_archE1100ELNS1_3gpuE3ELNS1_3repE0EEENS1_30default_config_static_selectorELNS0_4arch9wavefront6targetE0EEEvT1_
	.globl	_ZN7rocprim17ROCPRIM_400000_NS6detail17trampoline_kernelINS0_14default_configENS1_25partition_config_selectorILNS1_17partition_subalgoE5EiNS0_10empty_typeEbEEZZNS1_14partition_implILS5_5ELb0ES3_mN6thrust23THRUST_200600_302600_NS6detail15normal_iteratorINSA_10device_ptrIiEEEEPS6_NSA_18transform_iteratorINSB_9not_fun_tINSA_8identityIiEEEESF_NSA_11use_defaultESM_EENS0_5tupleIJSF_S6_EEENSO_IJSG_SG_EEES6_PlJS6_EEE10hipError_tPvRmT3_T4_T5_T6_T7_T9_mT8_P12ihipStream_tbDpT10_ENKUlT_T0_E_clISt17integral_constantIbLb1EES1B_EEDaS16_S17_EUlS16_E_NS1_11comp_targetILNS1_3genE9ELNS1_11target_archE1100ELNS1_3gpuE3ELNS1_3repE0EEENS1_30default_config_static_selectorELNS0_4arch9wavefront6targetE0EEEvT1_
	.p2align	8
	.type	_ZN7rocprim17ROCPRIM_400000_NS6detail17trampoline_kernelINS0_14default_configENS1_25partition_config_selectorILNS1_17partition_subalgoE5EiNS0_10empty_typeEbEEZZNS1_14partition_implILS5_5ELb0ES3_mN6thrust23THRUST_200600_302600_NS6detail15normal_iteratorINSA_10device_ptrIiEEEEPS6_NSA_18transform_iteratorINSB_9not_fun_tINSA_8identityIiEEEESF_NSA_11use_defaultESM_EENS0_5tupleIJSF_S6_EEENSO_IJSG_SG_EEES6_PlJS6_EEE10hipError_tPvRmT3_T4_T5_T6_T7_T9_mT8_P12ihipStream_tbDpT10_ENKUlT_T0_E_clISt17integral_constantIbLb1EES1B_EEDaS16_S17_EUlS16_E_NS1_11comp_targetILNS1_3genE9ELNS1_11target_archE1100ELNS1_3gpuE3ELNS1_3repE0EEENS1_30default_config_static_selectorELNS0_4arch9wavefront6targetE0EEEvT1_,@function
_ZN7rocprim17ROCPRIM_400000_NS6detail17trampoline_kernelINS0_14default_configENS1_25partition_config_selectorILNS1_17partition_subalgoE5EiNS0_10empty_typeEbEEZZNS1_14partition_implILS5_5ELb0ES3_mN6thrust23THRUST_200600_302600_NS6detail15normal_iteratorINSA_10device_ptrIiEEEEPS6_NSA_18transform_iteratorINSB_9not_fun_tINSA_8identityIiEEEESF_NSA_11use_defaultESM_EENS0_5tupleIJSF_S6_EEENSO_IJSG_SG_EEES6_PlJS6_EEE10hipError_tPvRmT3_T4_T5_T6_T7_T9_mT8_P12ihipStream_tbDpT10_ENKUlT_T0_E_clISt17integral_constantIbLb1EES1B_EEDaS16_S17_EUlS16_E_NS1_11comp_targetILNS1_3genE9ELNS1_11target_archE1100ELNS1_3gpuE3ELNS1_3repE0EEENS1_30default_config_static_selectorELNS0_4arch9wavefront6targetE0EEEvT1_: ; @_ZN7rocprim17ROCPRIM_400000_NS6detail17trampoline_kernelINS0_14default_configENS1_25partition_config_selectorILNS1_17partition_subalgoE5EiNS0_10empty_typeEbEEZZNS1_14partition_implILS5_5ELb0ES3_mN6thrust23THRUST_200600_302600_NS6detail15normal_iteratorINSA_10device_ptrIiEEEEPS6_NSA_18transform_iteratorINSB_9not_fun_tINSA_8identityIiEEEESF_NSA_11use_defaultESM_EENS0_5tupleIJSF_S6_EEENSO_IJSG_SG_EEES6_PlJS6_EEE10hipError_tPvRmT3_T4_T5_T6_T7_T9_mT8_P12ihipStream_tbDpT10_ENKUlT_T0_E_clISt17integral_constantIbLb1EES1B_EEDaS16_S17_EUlS16_E_NS1_11comp_targetILNS1_3genE9ELNS1_11target_archE1100ELNS1_3gpuE3ELNS1_3repE0EEENS1_30default_config_static_selectorELNS0_4arch9wavefront6targetE0EEEvT1_
; %bb.0:
	.section	.rodata,"a",@progbits
	.p2align	6, 0x0
	.amdhsa_kernel _ZN7rocprim17ROCPRIM_400000_NS6detail17trampoline_kernelINS0_14default_configENS1_25partition_config_selectorILNS1_17partition_subalgoE5EiNS0_10empty_typeEbEEZZNS1_14partition_implILS5_5ELb0ES3_mN6thrust23THRUST_200600_302600_NS6detail15normal_iteratorINSA_10device_ptrIiEEEEPS6_NSA_18transform_iteratorINSB_9not_fun_tINSA_8identityIiEEEESF_NSA_11use_defaultESM_EENS0_5tupleIJSF_S6_EEENSO_IJSG_SG_EEES6_PlJS6_EEE10hipError_tPvRmT3_T4_T5_T6_T7_T9_mT8_P12ihipStream_tbDpT10_ENKUlT_T0_E_clISt17integral_constantIbLb1EES1B_EEDaS16_S17_EUlS16_E_NS1_11comp_targetILNS1_3genE9ELNS1_11target_archE1100ELNS1_3gpuE3ELNS1_3repE0EEENS1_30default_config_static_selectorELNS0_4arch9wavefront6targetE0EEEvT1_
		.amdhsa_group_segment_fixed_size 0
		.amdhsa_private_segment_fixed_size 0
		.amdhsa_kernarg_size 136
		.amdhsa_user_sgpr_count 2
		.amdhsa_user_sgpr_dispatch_ptr 0
		.amdhsa_user_sgpr_queue_ptr 0
		.amdhsa_user_sgpr_kernarg_segment_ptr 1
		.amdhsa_user_sgpr_dispatch_id 0
		.amdhsa_user_sgpr_private_segment_size 0
		.amdhsa_wavefront_size32 1
		.amdhsa_uses_dynamic_stack 0
		.amdhsa_enable_private_segment 0
		.amdhsa_system_sgpr_workgroup_id_x 1
		.amdhsa_system_sgpr_workgroup_id_y 0
		.amdhsa_system_sgpr_workgroup_id_z 0
		.amdhsa_system_sgpr_workgroup_info 0
		.amdhsa_system_vgpr_workitem_id 0
		.amdhsa_next_free_vgpr 1
		.amdhsa_next_free_sgpr 1
		.amdhsa_reserve_vcc 0
		.amdhsa_float_round_mode_32 0
		.amdhsa_float_round_mode_16_64 0
		.amdhsa_float_denorm_mode_32 3
		.amdhsa_float_denorm_mode_16_64 3
		.amdhsa_fp16_overflow 0
		.amdhsa_workgroup_processor_mode 1
		.amdhsa_memory_ordered 1
		.amdhsa_forward_progress 1
		.amdhsa_inst_pref_size 0
		.amdhsa_round_robin_scheduling 0
		.amdhsa_exception_fp_ieee_invalid_op 0
		.amdhsa_exception_fp_denorm_src 0
		.amdhsa_exception_fp_ieee_div_zero 0
		.amdhsa_exception_fp_ieee_overflow 0
		.amdhsa_exception_fp_ieee_underflow 0
		.amdhsa_exception_fp_ieee_inexact 0
		.amdhsa_exception_int_div_zero 0
	.end_amdhsa_kernel
	.section	.text._ZN7rocprim17ROCPRIM_400000_NS6detail17trampoline_kernelINS0_14default_configENS1_25partition_config_selectorILNS1_17partition_subalgoE5EiNS0_10empty_typeEbEEZZNS1_14partition_implILS5_5ELb0ES3_mN6thrust23THRUST_200600_302600_NS6detail15normal_iteratorINSA_10device_ptrIiEEEEPS6_NSA_18transform_iteratorINSB_9not_fun_tINSA_8identityIiEEEESF_NSA_11use_defaultESM_EENS0_5tupleIJSF_S6_EEENSO_IJSG_SG_EEES6_PlJS6_EEE10hipError_tPvRmT3_T4_T5_T6_T7_T9_mT8_P12ihipStream_tbDpT10_ENKUlT_T0_E_clISt17integral_constantIbLb1EES1B_EEDaS16_S17_EUlS16_E_NS1_11comp_targetILNS1_3genE9ELNS1_11target_archE1100ELNS1_3gpuE3ELNS1_3repE0EEENS1_30default_config_static_selectorELNS0_4arch9wavefront6targetE0EEEvT1_,"axG",@progbits,_ZN7rocprim17ROCPRIM_400000_NS6detail17trampoline_kernelINS0_14default_configENS1_25partition_config_selectorILNS1_17partition_subalgoE5EiNS0_10empty_typeEbEEZZNS1_14partition_implILS5_5ELb0ES3_mN6thrust23THRUST_200600_302600_NS6detail15normal_iteratorINSA_10device_ptrIiEEEEPS6_NSA_18transform_iteratorINSB_9not_fun_tINSA_8identityIiEEEESF_NSA_11use_defaultESM_EENS0_5tupleIJSF_S6_EEENSO_IJSG_SG_EEES6_PlJS6_EEE10hipError_tPvRmT3_T4_T5_T6_T7_T9_mT8_P12ihipStream_tbDpT10_ENKUlT_T0_E_clISt17integral_constantIbLb1EES1B_EEDaS16_S17_EUlS16_E_NS1_11comp_targetILNS1_3genE9ELNS1_11target_archE1100ELNS1_3gpuE3ELNS1_3repE0EEENS1_30default_config_static_selectorELNS0_4arch9wavefront6targetE0EEEvT1_,comdat
.Lfunc_end995:
	.size	_ZN7rocprim17ROCPRIM_400000_NS6detail17trampoline_kernelINS0_14default_configENS1_25partition_config_selectorILNS1_17partition_subalgoE5EiNS0_10empty_typeEbEEZZNS1_14partition_implILS5_5ELb0ES3_mN6thrust23THRUST_200600_302600_NS6detail15normal_iteratorINSA_10device_ptrIiEEEEPS6_NSA_18transform_iteratorINSB_9not_fun_tINSA_8identityIiEEEESF_NSA_11use_defaultESM_EENS0_5tupleIJSF_S6_EEENSO_IJSG_SG_EEES6_PlJS6_EEE10hipError_tPvRmT3_T4_T5_T6_T7_T9_mT8_P12ihipStream_tbDpT10_ENKUlT_T0_E_clISt17integral_constantIbLb1EES1B_EEDaS16_S17_EUlS16_E_NS1_11comp_targetILNS1_3genE9ELNS1_11target_archE1100ELNS1_3gpuE3ELNS1_3repE0EEENS1_30default_config_static_selectorELNS0_4arch9wavefront6targetE0EEEvT1_, .Lfunc_end995-_ZN7rocprim17ROCPRIM_400000_NS6detail17trampoline_kernelINS0_14default_configENS1_25partition_config_selectorILNS1_17partition_subalgoE5EiNS0_10empty_typeEbEEZZNS1_14partition_implILS5_5ELb0ES3_mN6thrust23THRUST_200600_302600_NS6detail15normal_iteratorINSA_10device_ptrIiEEEEPS6_NSA_18transform_iteratorINSB_9not_fun_tINSA_8identityIiEEEESF_NSA_11use_defaultESM_EENS0_5tupleIJSF_S6_EEENSO_IJSG_SG_EEES6_PlJS6_EEE10hipError_tPvRmT3_T4_T5_T6_T7_T9_mT8_P12ihipStream_tbDpT10_ENKUlT_T0_E_clISt17integral_constantIbLb1EES1B_EEDaS16_S17_EUlS16_E_NS1_11comp_targetILNS1_3genE9ELNS1_11target_archE1100ELNS1_3gpuE3ELNS1_3repE0EEENS1_30default_config_static_selectorELNS0_4arch9wavefront6targetE0EEEvT1_
                                        ; -- End function
	.set _ZN7rocprim17ROCPRIM_400000_NS6detail17trampoline_kernelINS0_14default_configENS1_25partition_config_selectorILNS1_17partition_subalgoE5EiNS0_10empty_typeEbEEZZNS1_14partition_implILS5_5ELb0ES3_mN6thrust23THRUST_200600_302600_NS6detail15normal_iteratorINSA_10device_ptrIiEEEEPS6_NSA_18transform_iteratorINSB_9not_fun_tINSA_8identityIiEEEESF_NSA_11use_defaultESM_EENS0_5tupleIJSF_S6_EEENSO_IJSG_SG_EEES6_PlJS6_EEE10hipError_tPvRmT3_T4_T5_T6_T7_T9_mT8_P12ihipStream_tbDpT10_ENKUlT_T0_E_clISt17integral_constantIbLb1EES1B_EEDaS16_S17_EUlS16_E_NS1_11comp_targetILNS1_3genE9ELNS1_11target_archE1100ELNS1_3gpuE3ELNS1_3repE0EEENS1_30default_config_static_selectorELNS0_4arch9wavefront6targetE0EEEvT1_.num_vgpr, 0
	.set _ZN7rocprim17ROCPRIM_400000_NS6detail17trampoline_kernelINS0_14default_configENS1_25partition_config_selectorILNS1_17partition_subalgoE5EiNS0_10empty_typeEbEEZZNS1_14partition_implILS5_5ELb0ES3_mN6thrust23THRUST_200600_302600_NS6detail15normal_iteratorINSA_10device_ptrIiEEEEPS6_NSA_18transform_iteratorINSB_9not_fun_tINSA_8identityIiEEEESF_NSA_11use_defaultESM_EENS0_5tupleIJSF_S6_EEENSO_IJSG_SG_EEES6_PlJS6_EEE10hipError_tPvRmT3_T4_T5_T6_T7_T9_mT8_P12ihipStream_tbDpT10_ENKUlT_T0_E_clISt17integral_constantIbLb1EES1B_EEDaS16_S17_EUlS16_E_NS1_11comp_targetILNS1_3genE9ELNS1_11target_archE1100ELNS1_3gpuE3ELNS1_3repE0EEENS1_30default_config_static_selectorELNS0_4arch9wavefront6targetE0EEEvT1_.num_agpr, 0
	.set _ZN7rocprim17ROCPRIM_400000_NS6detail17trampoline_kernelINS0_14default_configENS1_25partition_config_selectorILNS1_17partition_subalgoE5EiNS0_10empty_typeEbEEZZNS1_14partition_implILS5_5ELb0ES3_mN6thrust23THRUST_200600_302600_NS6detail15normal_iteratorINSA_10device_ptrIiEEEEPS6_NSA_18transform_iteratorINSB_9not_fun_tINSA_8identityIiEEEESF_NSA_11use_defaultESM_EENS0_5tupleIJSF_S6_EEENSO_IJSG_SG_EEES6_PlJS6_EEE10hipError_tPvRmT3_T4_T5_T6_T7_T9_mT8_P12ihipStream_tbDpT10_ENKUlT_T0_E_clISt17integral_constantIbLb1EES1B_EEDaS16_S17_EUlS16_E_NS1_11comp_targetILNS1_3genE9ELNS1_11target_archE1100ELNS1_3gpuE3ELNS1_3repE0EEENS1_30default_config_static_selectorELNS0_4arch9wavefront6targetE0EEEvT1_.numbered_sgpr, 0
	.set _ZN7rocprim17ROCPRIM_400000_NS6detail17trampoline_kernelINS0_14default_configENS1_25partition_config_selectorILNS1_17partition_subalgoE5EiNS0_10empty_typeEbEEZZNS1_14partition_implILS5_5ELb0ES3_mN6thrust23THRUST_200600_302600_NS6detail15normal_iteratorINSA_10device_ptrIiEEEEPS6_NSA_18transform_iteratorINSB_9not_fun_tINSA_8identityIiEEEESF_NSA_11use_defaultESM_EENS0_5tupleIJSF_S6_EEENSO_IJSG_SG_EEES6_PlJS6_EEE10hipError_tPvRmT3_T4_T5_T6_T7_T9_mT8_P12ihipStream_tbDpT10_ENKUlT_T0_E_clISt17integral_constantIbLb1EES1B_EEDaS16_S17_EUlS16_E_NS1_11comp_targetILNS1_3genE9ELNS1_11target_archE1100ELNS1_3gpuE3ELNS1_3repE0EEENS1_30default_config_static_selectorELNS0_4arch9wavefront6targetE0EEEvT1_.num_named_barrier, 0
	.set _ZN7rocprim17ROCPRIM_400000_NS6detail17trampoline_kernelINS0_14default_configENS1_25partition_config_selectorILNS1_17partition_subalgoE5EiNS0_10empty_typeEbEEZZNS1_14partition_implILS5_5ELb0ES3_mN6thrust23THRUST_200600_302600_NS6detail15normal_iteratorINSA_10device_ptrIiEEEEPS6_NSA_18transform_iteratorINSB_9not_fun_tINSA_8identityIiEEEESF_NSA_11use_defaultESM_EENS0_5tupleIJSF_S6_EEENSO_IJSG_SG_EEES6_PlJS6_EEE10hipError_tPvRmT3_T4_T5_T6_T7_T9_mT8_P12ihipStream_tbDpT10_ENKUlT_T0_E_clISt17integral_constantIbLb1EES1B_EEDaS16_S17_EUlS16_E_NS1_11comp_targetILNS1_3genE9ELNS1_11target_archE1100ELNS1_3gpuE3ELNS1_3repE0EEENS1_30default_config_static_selectorELNS0_4arch9wavefront6targetE0EEEvT1_.private_seg_size, 0
	.set _ZN7rocprim17ROCPRIM_400000_NS6detail17trampoline_kernelINS0_14default_configENS1_25partition_config_selectorILNS1_17partition_subalgoE5EiNS0_10empty_typeEbEEZZNS1_14partition_implILS5_5ELb0ES3_mN6thrust23THRUST_200600_302600_NS6detail15normal_iteratorINSA_10device_ptrIiEEEEPS6_NSA_18transform_iteratorINSB_9not_fun_tINSA_8identityIiEEEESF_NSA_11use_defaultESM_EENS0_5tupleIJSF_S6_EEENSO_IJSG_SG_EEES6_PlJS6_EEE10hipError_tPvRmT3_T4_T5_T6_T7_T9_mT8_P12ihipStream_tbDpT10_ENKUlT_T0_E_clISt17integral_constantIbLb1EES1B_EEDaS16_S17_EUlS16_E_NS1_11comp_targetILNS1_3genE9ELNS1_11target_archE1100ELNS1_3gpuE3ELNS1_3repE0EEENS1_30default_config_static_selectorELNS0_4arch9wavefront6targetE0EEEvT1_.uses_vcc, 0
	.set _ZN7rocprim17ROCPRIM_400000_NS6detail17trampoline_kernelINS0_14default_configENS1_25partition_config_selectorILNS1_17partition_subalgoE5EiNS0_10empty_typeEbEEZZNS1_14partition_implILS5_5ELb0ES3_mN6thrust23THRUST_200600_302600_NS6detail15normal_iteratorINSA_10device_ptrIiEEEEPS6_NSA_18transform_iteratorINSB_9not_fun_tINSA_8identityIiEEEESF_NSA_11use_defaultESM_EENS0_5tupleIJSF_S6_EEENSO_IJSG_SG_EEES6_PlJS6_EEE10hipError_tPvRmT3_T4_T5_T6_T7_T9_mT8_P12ihipStream_tbDpT10_ENKUlT_T0_E_clISt17integral_constantIbLb1EES1B_EEDaS16_S17_EUlS16_E_NS1_11comp_targetILNS1_3genE9ELNS1_11target_archE1100ELNS1_3gpuE3ELNS1_3repE0EEENS1_30default_config_static_selectorELNS0_4arch9wavefront6targetE0EEEvT1_.uses_flat_scratch, 0
	.set _ZN7rocprim17ROCPRIM_400000_NS6detail17trampoline_kernelINS0_14default_configENS1_25partition_config_selectorILNS1_17partition_subalgoE5EiNS0_10empty_typeEbEEZZNS1_14partition_implILS5_5ELb0ES3_mN6thrust23THRUST_200600_302600_NS6detail15normal_iteratorINSA_10device_ptrIiEEEEPS6_NSA_18transform_iteratorINSB_9not_fun_tINSA_8identityIiEEEESF_NSA_11use_defaultESM_EENS0_5tupleIJSF_S6_EEENSO_IJSG_SG_EEES6_PlJS6_EEE10hipError_tPvRmT3_T4_T5_T6_T7_T9_mT8_P12ihipStream_tbDpT10_ENKUlT_T0_E_clISt17integral_constantIbLb1EES1B_EEDaS16_S17_EUlS16_E_NS1_11comp_targetILNS1_3genE9ELNS1_11target_archE1100ELNS1_3gpuE3ELNS1_3repE0EEENS1_30default_config_static_selectorELNS0_4arch9wavefront6targetE0EEEvT1_.has_dyn_sized_stack, 0
	.set _ZN7rocprim17ROCPRIM_400000_NS6detail17trampoline_kernelINS0_14default_configENS1_25partition_config_selectorILNS1_17partition_subalgoE5EiNS0_10empty_typeEbEEZZNS1_14partition_implILS5_5ELb0ES3_mN6thrust23THRUST_200600_302600_NS6detail15normal_iteratorINSA_10device_ptrIiEEEEPS6_NSA_18transform_iteratorINSB_9not_fun_tINSA_8identityIiEEEESF_NSA_11use_defaultESM_EENS0_5tupleIJSF_S6_EEENSO_IJSG_SG_EEES6_PlJS6_EEE10hipError_tPvRmT3_T4_T5_T6_T7_T9_mT8_P12ihipStream_tbDpT10_ENKUlT_T0_E_clISt17integral_constantIbLb1EES1B_EEDaS16_S17_EUlS16_E_NS1_11comp_targetILNS1_3genE9ELNS1_11target_archE1100ELNS1_3gpuE3ELNS1_3repE0EEENS1_30default_config_static_selectorELNS0_4arch9wavefront6targetE0EEEvT1_.has_recursion, 0
	.set _ZN7rocprim17ROCPRIM_400000_NS6detail17trampoline_kernelINS0_14default_configENS1_25partition_config_selectorILNS1_17partition_subalgoE5EiNS0_10empty_typeEbEEZZNS1_14partition_implILS5_5ELb0ES3_mN6thrust23THRUST_200600_302600_NS6detail15normal_iteratorINSA_10device_ptrIiEEEEPS6_NSA_18transform_iteratorINSB_9not_fun_tINSA_8identityIiEEEESF_NSA_11use_defaultESM_EENS0_5tupleIJSF_S6_EEENSO_IJSG_SG_EEES6_PlJS6_EEE10hipError_tPvRmT3_T4_T5_T6_T7_T9_mT8_P12ihipStream_tbDpT10_ENKUlT_T0_E_clISt17integral_constantIbLb1EES1B_EEDaS16_S17_EUlS16_E_NS1_11comp_targetILNS1_3genE9ELNS1_11target_archE1100ELNS1_3gpuE3ELNS1_3repE0EEENS1_30default_config_static_selectorELNS0_4arch9wavefront6targetE0EEEvT1_.has_indirect_call, 0
	.section	.AMDGPU.csdata,"",@progbits
; Kernel info:
; codeLenInByte = 0
; TotalNumSgprs: 0
; NumVgprs: 0
; ScratchSize: 0
; MemoryBound: 0
; FloatMode: 240
; IeeeMode: 1
; LDSByteSize: 0 bytes/workgroup (compile time only)
; SGPRBlocks: 0
; VGPRBlocks: 0
; NumSGPRsForWavesPerEU: 1
; NumVGPRsForWavesPerEU: 1
; Occupancy: 16
; WaveLimiterHint : 0
; COMPUTE_PGM_RSRC2:SCRATCH_EN: 0
; COMPUTE_PGM_RSRC2:USER_SGPR: 2
; COMPUTE_PGM_RSRC2:TRAP_HANDLER: 0
; COMPUTE_PGM_RSRC2:TGID_X_EN: 1
; COMPUTE_PGM_RSRC2:TGID_Y_EN: 0
; COMPUTE_PGM_RSRC2:TGID_Z_EN: 0
; COMPUTE_PGM_RSRC2:TIDIG_COMP_CNT: 0
	.section	.text._ZN7rocprim17ROCPRIM_400000_NS6detail17trampoline_kernelINS0_14default_configENS1_25partition_config_selectorILNS1_17partition_subalgoE5EiNS0_10empty_typeEbEEZZNS1_14partition_implILS5_5ELb0ES3_mN6thrust23THRUST_200600_302600_NS6detail15normal_iteratorINSA_10device_ptrIiEEEEPS6_NSA_18transform_iteratorINSB_9not_fun_tINSA_8identityIiEEEESF_NSA_11use_defaultESM_EENS0_5tupleIJSF_S6_EEENSO_IJSG_SG_EEES6_PlJS6_EEE10hipError_tPvRmT3_T4_T5_T6_T7_T9_mT8_P12ihipStream_tbDpT10_ENKUlT_T0_E_clISt17integral_constantIbLb1EES1B_EEDaS16_S17_EUlS16_E_NS1_11comp_targetILNS1_3genE8ELNS1_11target_archE1030ELNS1_3gpuE2ELNS1_3repE0EEENS1_30default_config_static_selectorELNS0_4arch9wavefront6targetE0EEEvT1_,"axG",@progbits,_ZN7rocprim17ROCPRIM_400000_NS6detail17trampoline_kernelINS0_14default_configENS1_25partition_config_selectorILNS1_17partition_subalgoE5EiNS0_10empty_typeEbEEZZNS1_14partition_implILS5_5ELb0ES3_mN6thrust23THRUST_200600_302600_NS6detail15normal_iteratorINSA_10device_ptrIiEEEEPS6_NSA_18transform_iteratorINSB_9not_fun_tINSA_8identityIiEEEESF_NSA_11use_defaultESM_EENS0_5tupleIJSF_S6_EEENSO_IJSG_SG_EEES6_PlJS6_EEE10hipError_tPvRmT3_T4_T5_T6_T7_T9_mT8_P12ihipStream_tbDpT10_ENKUlT_T0_E_clISt17integral_constantIbLb1EES1B_EEDaS16_S17_EUlS16_E_NS1_11comp_targetILNS1_3genE8ELNS1_11target_archE1030ELNS1_3gpuE2ELNS1_3repE0EEENS1_30default_config_static_selectorELNS0_4arch9wavefront6targetE0EEEvT1_,comdat
	.protected	_ZN7rocprim17ROCPRIM_400000_NS6detail17trampoline_kernelINS0_14default_configENS1_25partition_config_selectorILNS1_17partition_subalgoE5EiNS0_10empty_typeEbEEZZNS1_14partition_implILS5_5ELb0ES3_mN6thrust23THRUST_200600_302600_NS6detail15normal_iteratorINSA_10device_ptrIiEEEEPS6_NSA_18transform_iteratorINSB_9not_fun_tINSA_8identityIiEEEESF_NSA_11use_defaultESM_EENS0_5tupleIJSF_S6_EEENSO_IJSG_SG_EEES6_PlJS6_EEE10hipError_tPvRmT3_T4_T5_T6_T7_T9_mT8_P12ihipStream_tbDpT10_ENKUlT_T0_E_clISt17integral_constantIbLb1EES1B_EEDaS16_S17_EUlS16_E_NS1_11comp_targetILNS1_3genE8ELNS1_11target_archE1030ELNS1_3gpuE2ELNS1_3repE0EEENS1_30default_config_static_selectorELNS0_4arch9wavefront6targetE0EEEvT1_ ; -- Begin function _ZN7rocprim17ROCPRIM_400000_NS6detail17trampoline_kernelINS0_14default_configENS1_25partition_config_selectorILNS1_17partition_subalgoE5EiNS0_10empty_typeEbEEZZNS1_14partition_implILS5_5ELb0ES3_mN6thrust23THRUST_200600_302600_NS6detail15normal_iteratorINSA_10device_ptrIiEEEEPS6_NSA_18transform_iteratorINSB_9not_fun_tINSA_8identityIiEEEESF_NSA_11use_defaultESM_EENS0_5tupleIJSF_S6_EEENSO_IJSG_SG_EEES6_PlJS6_EEE10hipError_tPvRmT3_T4_T5_T6_T7_T9_mT8_P12ihipStream_tbDpT10_ENKUlT_T0_E_clISt17integral_constantIbLb1EES1B_EEDaS16_S17_EUlS16_E_NS1_11comp_targetILNS1_3genE8ELNS1_11target_archE1030ELNS1_3gpuE2ELNS1_3repE0EEENS1_30default_config_static_selectorELNS0_4arch9wavefront6targetE0EEEvT1_
	.globl	_ZN7rocprim17ROCPRIM_400000_NS6detail17trampoline_kernelINS0_14default_configENS1_25partition_config_selectorILNS1_17partition_subalgoE5EiNS0_10empty_typeEbEEZZNS1_14partition_implILS5_5ELb0ES3_mN6thrust23THRUST_200600_302600_NS6detail15normal_iteratorINSA_10device_ptrIiEEEEPS6_NSA_18transform_iteratorINSB_9not_fun_tINSA_8identityIiEEEESF_NSA_11use_defaultESM_EENS0_5tupleIJSF_S6_EEENSO_IJSG_SG_EEES6_PlJS6_EEE10hipError_tPvRmT3_T4_T5_T6_T7_T9_mT8_P12ihipStream_tbDpT10_ENKUlT_T0_E_clISt17integral_constantIbLb1EES1B_EEDaS16_S17_EUlS16_E_NS1_11comp_targetILNS1_3genE8ELNS1_11target_archE1030ELNS1_3gpuE2ELNS1_3repE0EEENS1_30default_config_static_selectorELNS0_4arch9wavefront6targetE0EEEvT1_
	.p2align	8
	.type	_ZN7rocprim17ROCPRIM_400000_NS6detail17trampoline_kernelINS0_14default_configENS1_25partition_config_selectorILNS1_17partition_subalgoE5EiNS0_10empty_typeEbEEZZNS1_14partition_implILS5_5ELb0ES3_mN6thrust23THRUST_200600_302600_NS6detail15normal_iteratorINSA_10device_ptrIiEEEEPS6_NSA_18transform_iteratorINSB_9not_fun_tINSA_8identityIiEEEESF_NSA_11use_defaultESM_EENS0_5tupleIJSF_S6_EEENSO_IJSG_SG_EEES6_PlJS6_EEE10hipError_tPvRmT3_T4_T5_T6_T7_T9_mT8_P12ihipStream_tbDpT10_ENKUlT_T0_E_clISt17integral_constantIbLb1EES1B_EEDaS16_S17_EUlS16_E_NS1_11comp_targetILNS1_3genE8ELNS1_11target_archE1030ELNS1_3gpuE2ELNS1_3repE0EEENS1_30default_config_static_selectorELNS0_4arch9wavefront6targetE0EEEvT1_,@function
_ZN7rocprim17ROCPRIM_400000_NS6detail17trampoline_kernelINS0_14default_configENS1_25partition_config_selectorILNS1_17partition_subalgoE5EiNS0_10empty_typeEbEEZZNS1_14partition_implILS5_5ELb0ES3_mN6thrust23THRUST_200600_302600_NS6detail15normal_iteratorINSA_10device_ptrIiEEEEPS6_NSA_18transform_iteratorINSB_9not_fun_tINSA_8identityIiEEEESF_NSA_11use_defaultESM_EENS0_5tupleIJSF_S6_EEENSO_IJSG_SG_EEES6_PlJS6_EEE10hipError_tPvRmT3_T4_T5_T6_T7_T9_mT8_P12ihipStream_tbDpT10_ENKUlT_T0_E_clISt17integral_constantIbLb1EES1B_EEDaS16_S17_EUlS16_E_NS1_11comp_targetILNS1_3genE8ELNS1_11target_archE1030ELNS1_3gpuE2ELNS1_3repE0EEENS1_30default_config_static_selectorELNS0_4arch9wavefront6targetE0EEEvT1_: ; @_ZN7rocprim17ROCPRIM_400000_NS6detail17trampoline_kernelINS0_14default_configENS1_25partition_config_selectorILNS1_17partition_subalgoE5EiNS0_10empty_typeEbEEZZNS1_14partition_implILS5_5ELb0ES3_mN6thrust23THRUST_200600_302600_NS6detail15normal_iteratorINSA_10device_ptrIiEEEEPS6_NSA_18transform_iteratorINSB_9not_fun_tINSA_8identityIiEEEESF_NSA_11use_defaultESM_EENS0_5tupleIJSF_S6_EEENSO_IJSG_SG_EEES6_PlJS6_EEE10hipError_tPvRmT3_T4_T5_T6_T7_T9_mT8_P12ihipStream_tbDpT10_ENKUlT_T0_E_clISt17integral_constantIbLb1EES1B_EEDaS16_S17_EUlS16_E_NS1_11comp_targetILNS1_3genE8ELNS1_11target_archE1030ELNS1_3gpuE2ELNS1_3repE0EEENS1_30default_config_static_selectorELNS0_4arch9wavefront6targetE0EEEvT1_
; %bb.0:
	.section	.rodata,"a",@progbits
	.p2align	6, 0x0
	.amdhsa_kernel _ZN7rocprim17ROCPRIM_400000_NS6detail17trampoline_kernelINS0_14default_configENS1_25partition_config_selectorILNS1_17partition_subalgoE5EiNS0_10empty_typeEbEEZZNS1_14partition_implILS5_5ELb0ES3_mN6thrust23THRUST_200600_302600_NS6detail15normal_iteratorINSA_10device_ptrIiEEEEPS6_NSA_18transform_iteratorINSB_9not_fun_tINSA_8identityIiEEEESF_NSA_11use_defaultESM_EENS0_5tupleIJSF_S6_EEENSO_IJSG_SG_EEES6_PlJS6_EEE10hipError_tPvRmT3_T4_T5_T6_T7_T9_mT8_P12ihipStream_tbDpT10_ENKUlT_T0_E_clISt17integral_constantIbLb1EES1B_EEDaS16_S17_EUlS16_E_NS1_11comp_targetILNS1_3genE8ELNS1_11target_archE1030ELNS1_3gpuE2ELNS1_3repE0EEENS1_30default_config_static_selectorELNS0_4arch9wavefront6targetE0EEEvT1_
		.amdhsa_group_segment_fixed_size 0
		.amdhsa_private_segment_fixed_size 0
		.amdhsa_kernarg_size 136
		.amdhsa_user_sgpr_count 2
		.amdhsa_user_sgpr_dispatch_ptr 0
		.amdhsa_user_sgpr_queue_ptr 0
		.amdhsa_user_sgpr_kernarg_segment_ptr 1
		.amdhsa_user_sgpr_dispatch_id 0
		.amdhsa_user_sgpr_private_segment_size 0
		.amdhsa_wavefront_size32 1
		.amdhsa_uses_dynamic_stack 0
		.amdhsa_enable_private_segment 0
		.amdhsa_system_sgpr_workgroup_id_x 1
		.amdhsa_system_sgpr_workgroup_id_y 0
		.amdhsa_system_sgpr_workgroup_id_z 0
		.amdhsa_system_sgpr_workgroup_info 0
		.amdhsa_system_vgpr_workitem_id 0
		.amdhsa_next_free_vgpr 1
		.amdhsa_next_free_sgpr 1
		.amdhsa_reserve_vcc 0
		.amdhsa_float_round_mode_32 0
		.amdhsa_float_round_mode_16_64 0
		.amdhsa_float_denorm_mode_32 3
		.amdhsa_float_denorm_mode_16_64 3
		.amdhsa_fp16_overflow 0
		.amdhsa_workgroup_processor_mode 1
		.amdhsa_memory_ordered 1
		.amdhsa_forward_progress 1
		.amdhsa_inst_pref_size 0
		.amdhsa_round_robin_scheduling 0
		.amdhsa_exception_fp_ieee_invalid_op 0
		.amdhsa_exception_fp_denorm_src 0
		.amdhsa_exception_fp_ieee_div_zero 0
		.amdhsa_exception_fp_ieee_overflow 0
		.amdhsa_exception_fp_ieee_underflow 0
		.amdhsa_exception_fp_ieee_inexact 0
		.amdhsa_exception_int_div_zero 0
	.end_amdhsa_kernel
	.section	.text._ZN7rocprim17ROCPRIM_400000_NS6detail17trampoline_kernelINS0_14default_configENS1_25partition_config_selectorILNS1_17partition_subalgoE5EiNS0_10empty_typeEbEEZZNS1_14partition_implILS5_5ELb0ES3_mN6thrust23THRUST_200600_302600_NS6detail15normal_iteratorINSA_10device_ptrIiEEEEPS6_NSA_18transform_iteratorINSB_9not_fun_tINSA_8identityIiEEEESF_NSA_11use_defaultESM_EENS0_5tupleIJSF_S6_EEENSO_IJSG_SG_EEES6_PlJS6_EEE10hipError_tPvRmT3_T4_T5_T6_T7_T9_mT8_P12ihipStream_tbDpT10_ENKUlT_T0_E_clISt17integral_constantIbLb1EES1B_EEDaS16_S17_EUlS16_E_NS1_11comp_targetILNS1_3genE8ELNS1_11target_archE1030ELNS1_3gpuE2ELNS1_3repE0EEENS1_30default_config_static_selectorELNS0_4arch9wavefront6targetE0EEEvT1_,"axG",@progbits,_ZN7rocprim17ROCPRIM_400000_NS6detail17trampoline_kernelINS0_14default_configENS1_25partition_config_selectorILNS1_17partition_subalgoE5EiNS0_10empty_typeEbEEZZNS1_14partition_implILS5_5ELb0ES3_mN6thrust23THRUST_200600_302600_NS6detail15normal_iteratorINSA_10device_ptrIiEEEEPS6_NSA_18transform_iteratorINSB_9not_fun_tINSA_8identityIiEEEESF_NSA_11use_defaultESM_EENS0_5tupleIJSF_S6_EEENSO_IJSG_SG_EEES6_PlJS6_EEE10hipError_tPvRmT3_T4_T5_T6_T7_T9_mT8_P12ihipStream_tbDpT10_ENKUlT_T0_E_clISt17integral_constantIbLb1EES1B_EEDaS16_S17_EUlS16_E_NS1_11comp_targetILNS1_3genE8ELNS1_11target_archE1030ELNS1_3gpuE2ELNS1_3repE0EEENS1_30default_config_static_selectorELNS0_4arch9wavefront6targetE0EEEvT1_,comdat
.Lfunc_end996:
	.size	_ZN7rocprim17ROCPRIM_400000_NS6detail17trampoline_kernelINS0_14default_configENS1_25partition_config_selectorILNS1_17partition_subalgoE5EiNS0_10empty_typeEbEEZZNS1_14partition_implILS5_5ELb0ES3_mN6thrust23THRUST_200600_302600_NS6detail15normal_iteratorINSA_10device_ptrIiEEEEPS6_NSA_18transform_iteratorINSB_9not_fun_tINSA_8identityIiEEEESF_NSA_11use_defaultESM_EENS0_5tupleIJSF_S6_EEENSO_IJSG_SG_EEES6_PlJS6_EEE10hipError_tPvRmT3_T4_T5_T6_T7_T9_mT8_P12ihipStream_tbDpT10_ENKUlT_T0_E_clISt17integral_constantIbLb1EES1B_EEDaS16_S17_EUlS16_E_NS1_11comp_targetILNS1_3genE8ELNS1_11target_archE1030ELNS1_3gpuE2ELNS1_3repE0EEENS1_30default_config_static_selectorELNS0_4arch9wavefront6targetE0EEEvT1_, .Lfunc_end996-_ZN7rocprim17ROCPRIM_400000_NS6detail17trampoline_kernelINS0_14default_configENS1_25partition_config_selectorILNS1_17partition_subalgoE5EiNS0_10empty_typeEbEEZZNS1_14partition_implILS5_5ELb0ES3_mN6thrust23THRUST_200600_302600_NS6detail15normal_iteratorINSA_10device_ptrIiEEEEPS6_NSA_18transform_iteratorINSB_9not_fun_tINSA_8identityIiEEEESF_NSA_11use_defaultESM_EENS0_5tupleIJSF_S6_EEENSO_IJSG_SG_EEES6_PlJS6_EEE10hipError_tPvRmT3_T4_T5_T6_T7_T9_mT8_P12ihipStream_tbDpT10_ENKUlT_T0_E_clISt17integral_constantIbLb1EES1B_EEDaS16_S17_EUlS16_E_NS1_11comp_targetILNS1_3genE8ELNS1_11target_archE1030ELNS1_3gpuE2ELNS1_3repE0EEENS1_30default_config_static_selectorELNS0_4arch9wavefront6targetE0EEEvT1_
                                        ; -- End function
	.set _ZN7rocprim17ROCPRIM_400000_NS6detail17trampoline_kernelINS0_14default_configENS1_25partition_config_selectorILNS1_17partition_subalgoE5EiNS0_10empty_typeEbEEZZNS1_14partition_implILS5_5ELb0ES3_mN6thrust23THRUST_200600_302600_NS6detail15normal_iteratorINSA_10device_ptrIiEEEEPS6_NSA_18transform_iteratorINSB_9not_fun_tINSA_8identityIiEEEESF_NSA_11use_defaultESM_EENS0_5tupleIJSF_S6_EEENSO_IJSG_SG_EEES6_PlJS6_EEE10hipError_tPvRmT3_T4_T5_T6_T7_T9_mT8_P12ihipStream_tbDpT10_ENKUlT_T0_E_clISt17integral_constantIbLb1EES1B_EEDaS16_S17_EUlS16_E_NS1_11comp_targetILNS1_3genE8ELNS1_11target_archE1030ELNS1_3gpuE2ELNS1_3repE0EEENS1_30default_config_static_selectorELNS0_4arch9wavefront6targetE0EEEvT1_.num_vgpr, 0
	.set _ZN7rocprim17ROCPRIM_400000_NS6detail17trampoline_kernelINS0_14default_configENS1_25partition_config_selectorILNS1_17partition_subalgoE5EiNS0_10empty_typeEbEEZZNS1_14partition_implILS5_5ELb0ES3_mN6thrust23THRUST_200600_302600_NS6detail15normal_iteratorINSA_10device_ptrIiEEEEPS6_NSA_18transform_iteratorINSB_9not_fun_tINSA_8identityIiEEEESF_NSA_11use_defaultESM_EENS0_5tupleIJSF_S6_EEENSO_IJSG_SG_EEES6_PlJS6_EEE10hipError_tPvRmT3_T4_T5_T6_T7_T9_mT8_P12ihipStream_tbDpT10_ENKUlT_T0_E_clISt17integral_constantIbLb1EES1B_EEDaS16_S17_EUlS16_E_NS1_11comp_targetILNS1_3genE8ELNS1_11target_archE1030ELNS1_3gpuE2ELNS1_3repE0EEENS1_30default_config_static_selectorELNS0_4arch9wavefront6targetE0EEEvT1_.num_agpr, 0
	.set _ZN7rocprim17ROCPRIM_400000_NS6detail17trampoline_kernelINS0_14default_configENS1_25partition_config_selectorILNS1_17partition_subalgoE5EiNS0_10empty_typeEbEEZZNS1_14partition_implILS5_5ELb0ES3_mN6thrust23THRUST_200600_302600_NS6detail15normal_iteratorINSA_10device_ptrIiEEEEPS6_NSA_18transform_iteratorINSB_9not_fun_tINSA_8identityIiEEEESF_NSA_11use_defaultESM_EENS0_5tupleIJSF_S6_EEENSO_IJSG_SG_EEES6_PlJS6_EEE10hipError_tPvRmT3_T4_T5_T6_T7_T9_mT8_P12ihipStream_tbDpT10_ENKUlT_T0_E_clISt17integral_constantIbLb1EES1B_EEDaS16_S17_EUlS16_E_NS1_11comp_targetILNS1_3genE8ELNS1_11target_archE1030ELNS1_3gpuE2ELNS1_3repE0EEENS1_30default_config_static_selectorELNS0_4arch9wavefront6targetE0EEEvT1_.numbered_sgpr, 0
	.set _ZN7rocprim17ROCPRIM_400000_NS6detail17trampoline_kernelINS0_14default_configENS1_25partition_config_selectorILNS1_17partition_subalgoE5EiNS0_10empty_typeEbEEZZNS1_14partition_implILS5_5ELb0ES3_mN6thrust23THRUST_200600_302600_NS6detail15normal_iteratorINSA_10device_ptrIiEEEEPS6_NSA_18transform_iteratorINSB_9not_fun_tINSA_8identityIiEEEESF_NSA_11use_defaultESM_EENS0_5tupleIJSF_S6_EEENSO_IJSG_SG_EEES6_PlJS6_EEE10hipError_tPvRmT3_T4_T5_T6_T7_T9_mT8_P12ihipStream_tbDpT10_ENKUlT_T0_E_clISt17integral_constantIbLb1EES1B_EEDaS16_S17_EUlS16_E_NS1_11comp_targetILNS1_3genE8ELNS1_11target_archE1030ELNS1_3gpuE2ELNS1_3repE0EEENS1_30default_config_static_selectorELNS0_4arch9wavefront6targetE0EEEvT1_.num_named_barrier, 0
	.set _ZN7rocprim17ROCPRIM_400000_NS6detail17trampoline_kernelINS0_14default_configENS1_25partition_config_selectorILNS1_17partition_subalgoE5EiNS0_10empty_typeEbEEZZNS1_14partition_implILS5_5ELb0ES3_mN6thrust23THRUST_200600_302600_NS6detail15normal_iteratorINSA_10device_ptrIiEEEEPS6_NSA_18transform_iteratorINSB_9not_fun_tINSA_8identityIiEEEESF_NSA_11use_defaultESM_EENS0_5tupleIJSF_S6_EEENSO_IJSG_SG_EEES6_PlJS6_EEE10hipError_tPvRmT3_T4_T5_T6_T7_T9_mT8_P12ihipStream_tbDpT10_ENKUlT_T0_E_clISt17integral_constantIbLb1EES1B_EEDaS16_S17_EUlS16_E_NS1_11comp_targetILNS1_3genE8ELNS1_11target_archE1030ELNS1_3gpuE2ELNS1_3repE0EEENS1_30default_config_static_selectorELNS0_4arch9wavefront6targetE0EEEvT1_.private_seg_size, 0
	.set _ZN7rocprim17ROCPRIM_400000_NS6detail17trampoline_kernelINS0_14default_configENS1_25partition_config_selectorILNS1_17partition_subalgoE5EiNS0_10empty_typeEbEEZZNS1_14partition_implILS5_5ELb0ES3_mN6thrust23THRUST_200600_302600_NS6detail15normal_iteratorINSA_10device_ptrIiEEEEPS6_NSA_18transform_iteratorINSB_9not_fun_tINSA_8identityIiEEEESF_NSA_11use_defaultESM_EENS0_5tupleIJSF_S6_EEENSO_IJSG_SG_EEES6_PlJS6_EEE10hipError_tPvRmT3_T4_T5_T6_T7_T9_mT8_P12ihipStream_tbDpT10_ENKUlT_T0_E_clISt17integral_constantIbLb1EES1B_EEDaS16_S17_EUlS16_E_NS1_11comp_targetILNS1_3genE8ELNS1_11target_archE1030ELNS1_3gpuE2ELNS1_3repE0EEENS1_30default_config_static_selectorELNS0_4arch9wavefront6targetE0EEEvT1_.uses_vcc, 0
	.set _ZN7rocprim17ROCPRIM_400000_NS6detail17trampoline_kernelINS0_14default_configENS1_25partition_config_selectorILNS1_17partition_subalgoE5EiNS0_10empty_typeEbEEZZNS1_14partition_implILS5_5ELb0ES3_mN6thrust23THRUST_200600_302600_NS6detail15normal_iteratorINSA_10device_ptrIiEEEEPS6_NSA_18transform_iteratorINSB_9not_fun_tINSA_8identityIiEEEESF_NSA_11use_defaultESM_EENS0_5tupleIJSF_S6_EEENSO_IJSG_SG_EEES6_PlJS6_EEE10hipError_tPvRmT3_T4_T5_T6_T7_T9_mT8_P12ihipStream_tbDpT10_ENKUlT_T0_E_clISt17integral_constantIbLb1EES1B_EEDaS16_S17_EUlS16_E_NS1_11comp_targetILNS1_3genE8ELNS1_11target_archE1030ELNS1_3gpuE2ELNS1_3repE0EEENS1_30default_config_static_selectorELNS0_4arch9wavefront6targetE0EEEvT1_.uses_flat_scratch, 0
	.set _ZN7rocprim17ROCPRIM_400000_NS6detail17trampoline_kernelINS0_14default_configENS1_25partition_config_selectorILNS1_17partition_subalgoE5EiNS0_10empty_typeEbEEZZNS1_14partition_implILS5_5ELb0ES3_mN6thrust23THRUST_200600_302600_NS6detail15normal_iteratorINSA_10device_ptrIiEEEEPS6_NSA_18transform_iteratorINSB_9not_fun_tINSA_8identityIiEEEESF_NSA_11use_defaultESM_EENS0_5tupleIJSF_S6_EEENSO_IJSG_SG_EEES6_PlJS6_EEE10hipError_tPvRmT3_T4_T5_T6_T7_T9_mT8_P12ihipStream_tbDpT10_ENKUlT_T0_E_clISt17integral_constantIbLb1EES1B_EEDaS16_S17_EUlS16_E_NS1_11comp_targetILNS1_3genE8ELNS1_11target_archE1030ELNS1_3gpuE2ELNS1_3repE0EEENS1_30default_config_static_selectorELNS0_4arch9wavefront6targetE0EEEvT1_.has_dyn_sized_stack, 0
	.set _ZN7rocprim17ROCPRIM_400000_NS6detail17trampoline_kernelINS0_14default_configENS1_25partition_config_selectorILNS1_17partition_subalgoE5EiNS0_10empty_typeEbEEZZNS1_14partition_implILS5_5ELb0ES3_mN6thrust23THRUST_200600_302600_NS6detail15normal_iteratorINSA_10device_ptrIiEEEEPS6_NSA_18transform_iteratorINSB_9not_fun_tINSA_8identityIiEEEESF_NSA_11use_defaultESM_EENS0_5tupleIJSF_S6_EEENSO_IJSG_SG_EEES6_PlJS6_EEE10hipError_tPvRmT3_T4_T5_T6_T7_T9_mT8_P12ihipStream_tbDpT10_ENKUlT_T0_E_clISt17integral_constantIbLb1EES1B_EEDaS16_S17_EUlS16_E_NS1_11comp_targetILNS1_3genE8ELNS1_11target_archE1030ELNS1_3gpuE2ELNS1_3repE0EEENS1_30default_config_static_selectorELNS0_4arch9wavefront6targetE0EEEvT1_.has_recursion, 0
	.set _ZN7rocprim17ROCPRIM_400000_NS6detail17trampoline_kernelINS0_14default_configENS1_25partition_config_selectorILNS1_17partition_subalgoE5EiNS0_10empty_typeEbEEZZNS1_14partition_implILS5_5ELb0ES3_mN6thrust23THRUST_200600_302600_NS6detail15normal_iteratorINSA_10device_ptrIiEEEEPS6_NSA_18transform_iteratorINSB_9not_fun_tINSA_8identityIiEEEESF_NSA_11use_defaultESM_EENS0_5tupleIJSF_S6_EEENSO_IJSG_SG_EEES6_PlJS6_EEE10hipError_tPvRmT3_T4_T5_T6_T7_T9_mT8_P12ihipStream_tbDpT10_ENKUlT_T0_E_clISt17integral_constantIbLb1EES1B_EEDaS16_S17_EUlS16_E_NS1_11comp_targetILNS1_3genE8ELNS1_11target_archE1030ELNS1_3gpuE2ELNS1_3repE0EEENS1_30default_config_static_selectorELNS0_4arch9wavefront6targetE0EEEvT1_.has_indirect_call, 0
	.section	.AMDGPU.csdata,"",@progbits
; Kernel info:
; codeLenInByte = 0
; TotalNumSgprs: 0
; NumVgprs: 0
; ScratchSize: 0
; MemoryBound: 0
; FloatMode: 240
; IeeeMode: 1
; LDSByteSize: 0 bytes/workgroup (compile time only)
; SGPRBlocks: 0
; VGPRBlocks: 0
; NumSGPRsForWavesPerEU: 1
; NumVGPRsForWavesPerEU: 1
; Occupancy: 16
; WaveLimiterHint : 0
; COMPUTE_PGM_RSRC2:SCRATCH_EN: 0
; COMPUTE_PGM_RSRC2:USER_SGPR: 2
; COMPUTE_PGM_RSRC2:TRAP_HANDLER: 0
; COMPUTE_PGM_RSRC2:TGID_X_EN: 1
; COMPUTE_PGM_RSRC2:TGID_Y_EN: 0
; COMPUTE_PGM_RSRC2:TGID_Z_EN: 0
; COMPUTE_PGM_RSRC2:TIDIG_COMP_CNT: 0
	.section	.text._ZN7rocprim17ROCPRIM_400000_NS6detail17trampoline_kernelINS0_14default_configENS1_25partition_config_selectorILNS1_17partition_subalgoE5EiNS0_10empty_typeEbEEZZNS1_14partition_implILS5_5ELb0ES3_mN6thrust23THRUST_200600_302600_NS6detail15normal_iteratorINSA_10device_ptrIiEEEEPS6_NSA_18transform_iteratorINSB_9not_fun_tINSA_8identityIiEEEESF_NSA_11use_defaultESM_EENS0_5tupleIJSF_S6_EEENSO_IJSG_SG_EEES6_PlJS6_EEE10hipError_tPvRmT3_T4_T5_T6_T7_T9_mT8_P12ihipStream_tbDpT10_ENKUlT_T0_E_clISt17integral_constantIbLb1EES1A_IbLb0EEEEDaS16_S17_EUlS16_E_NS1_11comp_targetILNS1_3genE0ELNS1_11target_archE4294967295ELNS1_3gpuE0ELNS1_3repE0EEENS1_30default_config_static_selectorELNS0_4arch9wavefront6targetE0EEEvT1_,"axG",@progbits,_ZN7rocprim17ROCPRIM_400000_NS6detail17trampoline_kernelINS0_14default_configENS1_25partition_config_selectorILNS1_17partition_subalgoE5EiNS0_10empty_typeEbEEZZNS1_14partition_implILS5_5ELb0ES3_mN6thrust23THRUST_200600_302600_NS6detail15normal_iteratorINSA_10device_ptrIiEEEEPS6_NSA_18transform_iteratorINSB_9not_fun_tINSA_8identityIiEEEESF_NSA_11use_defaultESM_EENS0_5tupleIJSF_S6_EEENSO_IJSG_SG_EEES6_PlJS6_EEE10hipError_tPvRmT3_T4_T5_T6_T7_T9_mT8_P12ihipStream_tbDpT10_ENKUlT_T0_E_clISt17integral_constantIbLb1EES1A_IbLb0EEEEDaS16_S17_EUlS16_E_NS1_11comp_targetILNS1_3genE0ELNS1_11target_archE4294967295ELNS1_3gpuE0ELNS1_3repE0EEENS1_30default_config_static_selectorELNS0_4arch9wavefront6targetE0EEEvT1_,comdat
	.protected	_ZN7rocprim17ROCPRIM_400000_NS6detail17trampoline_kernelINS0_14default_configENS1_25partition_config_selectorILNS1_17partition_subalgoE5EiNS0_10empty_typeEbEEZZNS1_14partition_implILS5_5ELb0ES3_mN6thrust23THRUST_200600_302600_NS6detail15normal_iteratorINSA_10device_ptrIiEEEEPS6_NSA_18transform_iteratorINSB_9not_fun_tINSA_8identityIiEEEESF_NSA_11use_defaultESM_EENS0_5tupleIJSF_S6_EEENSO_IJSG_SG_EEES6_PlJS6_EEE10hipError_tPvRmT3_T4_T5_T6_T7_T9_mT8_P12ihipStream_tbDpT10_ENKUlT_T0_E_clISt17integral_constantIbLb1EES1A_IbLb0EEEEDaS16_S17_EUlS16_E_NS1_11comp_targetILNS1_3genE0ELNS1_11target_archE4294967295ELNS1_3gpuE0ELNS1_3repE0EEENS1_30default_config_static_selectorELNS0_4arch9wavefront6targetE0EEEvT1_ ; -- Begin function _ZN7rocprim17ROCPRIM_400000_NS6detail17trampoline_kernelINS0_14default_configENS1_25partition_config_selectorILNS1_17partition_subalgoE5EiNS0_10empty_typeEbEEZZNS1_14partition_implILS5_5ELb0ES3_mN6thrust23THRUST_200600_302600_NS6detail15normal_iteratorINSA_10device_ptrIiEEEEPS6_NSA_18transform_iteratorINSB_9not_fun_tINSA_8identityIiEEEESF_NSA_11use_defaultESM_EENS0_5tupleIJSF_S6_EEENSO_IJSG_SG_EEES6_PlJS6_EEE10hipError_tPvRmT3_T4_T5_T6_T7_T9_mT8_P12ihipStream_tbDpT10_ENKUlT_T0_E_clISt17integral_constantIbLb1EES1A_IbLb0EEEEDaS16_S17_EUlS16_E_NS1_11comp_targetILNS1_3genE0ELNS1_11target_archE4294967295ELNS1_3gpuE0ELNS1_3repE0EEENS1_30default_config_static_selectorELNS0_4arch9wavefront6targetE0EEEvT1_
	.globl	_ZN7rocprim17ROCPRIM_400000_NS6detail17trampoline_kernelINS0_14default_configENS1_25partition_config_selectorILNS1_17partition_subalgoE5EiNS0_10empty_typeEbEEZZNS1_14partition_implILS5_5ELb0ES3_mN6thrust23THRUST_200600_302600_NS6detail15normal_iteratorINSA_10device_ptrIiEEEEPS6_NSA_18transform_iteratorINSB_9not_fun_tINSA_8identityIiEEEESF_NSA_11use_defaultESM_EENS0_5tupleIJSF_S6_EEENSO_IJSG_SG_EEES6_PlJS6_EEE10hipError_tPvRmT3_T4_T5_T6_T7_T9_mT8_P12ihipStream_tbDpT10_ENKUlT_T0_E_clISt17integral_constantIbLb1EES1A_IbLb0EEEEDaS16_S17_EUlS16_E_NS1_11comp_targetILNS1_3genE0ELNS1_11target_archE4294967295ELNS1_3gpuE0ELNS1_3repE0EEENS1_30default_config_static_selectorELNS0_4arch9wavefront6targetE0EEEvT1_
	.p2align	8
	.type	_ZN7rocprim17ROCPRIM_400000_NS6detail17trampoline_kernelINS0_14default_configENS1_25partition_config_selectorILNS1_17partition_subalgoE5EiNS0_10empty_typeEbEEZZNS1_14partition_implILS5_5ELb0ES3_mN6thrust23THRUST_200600_302600_NS6detail15normal_iteratorINSA_10device_ptrIiEEEEPS6_NSA_18transform_iteratorINSB_9not_fun_tINSA_8identityIiEEEESF_NSA_11use_defaultESM_EENS0_5tupleIJSF_S6_EEENSO_IJSG_SG_EEES6_PlJS6_EEE10hipError_tPvRmT3_T4_T5_T6_T7_T9_mT8_P12ihipStream_tbDpT10_ENKUlT_T0_E_clISt17integral_constantIbLb1EES1A_IbLb0EEEEDaS16_S17_EUlS16_E_NS1_11comp_targetILNS1_3genE0ELNS1_11target_archE4294967295ELNS1_3gpuE0ELNS1_3repE0EEENS1_30default_config_static_selectorELNS0_4arch9wavefront6targetE0EEEvT1_,@function
_ZN7rocprim17ROCPRIM_400000_NS6detail17trampoline_kernelINS0_14default_configENS1_25partition_config_selectorILNS1_17partition_subalgoE5EiNS0_10empty_typeEbEEZZNS1_14partition_implILS5_5ELb0ES3_mN6thrust23THRUST_200600_302600_NS6detail15normal_iteratorINSA_10device_ptrIiEEEEPS6_NSA_18transform_iteratorINSB_9not_fun_tINSA_8identityIiEEEESF_NSA_11use_defaultESM_EENS0_5tupleIJSF_S6_EEENSO_IJSG_SG_EEES6_PlJS6_EEE10hipError_tPvRmT3_T4_T5_T6_T7_T9_mT8_P12ihipStream_tbDpT10_ENKUlT_T0_E_clISt17integral_constantIbLb1EES1A_IbLb0EEEEDaS16_S17_EUlS16_E_NS1_11comp_targetILNS1_3genE0ELNS1_11target_archE4294967295ELNS1_3gpuE0ELNS1_3repE0EEENS1_30default_config_static_selectorELNS0_4arch9wavefront6targetE0EEEvT1_: ; @_ZN7rocprim17ROCPRIM_400000_NS6detail17trampoline_kernelINS0_14default_configENS1_25partition_config_selectorILNS1_17partition_subalgoE5EiNS0_10empty_typeEbEEZZNS1_14partition_implILS5_5ELb0ES3_mN6thrust23THRUST_200600_302600_NS6detail15normal_iteratorINSA_10device_ptrIiEEEEPS6_NSA_18transform_iteratorINSB_9not_fun_tINSA_8identityIiEEEESF_NSA_11use_defaultESM_EENS0_5tupleIJSF_S6_EEENSO_IJSG_SG_EEES6_PlJS6_EEE10hipError_tPvRmT3_T4_T5_T6_T7_T9_mT8_P12ihipStream_tbDpT10_ENKUlT_T0_E_clISt17integral_constantIbLb1EES1A_IbLb0EEEEDaS16_S17_EUlS16_E_NS1_11comp_targetILNS1_3genE0ELNS1_11target_archE4294967295ELNS1_3gpuE0ELNS1_3repE0EEENS1_30default_config_static_selectorELNS0_4arch9wavefront6targetE0EEEvT1_
; %bb.0:
	.section	.rodata,"a",@progbits
	.p2align	6, 0x0
	.amdhsa_kernel _ZN7rocprim17ROCPRIM_400000_NS6detail17trampoline_kernelINS0_14default_configENS1_25partition_config_selectorILNS1_17partition_subalgoE5EiNS0_10empty_typeEbEEZZNS1_14partition_implILS5_5ELb0ES3_mN6thrust23THRUST_200600_302600_NS6detail15normal_iteratorINSA_10device_ptrIiEEEEPS6_NSA_18transform_iteratorINSB_9not_fun_tINSA_8identityIiEEEESF_NSA_11use_defaultESM_EENS0_5tupleIJSF_S6_EEENSO_IJSG_SG_EEES6_PlJS6_EEE10hipError_tPvRmT3_T4_T5_T6_T7_T9_mT8_P12ihipStream_tbDpT10_ENKUlT_T0_E_clISt17integral_constantIbLb1EES1A_IbLb0EEEEDaS16_S17_EUlS16_E_NS1_11comp_targetILNS1_3genE0ELNS1_11target_archE4294967295ELNS1_3gpuE0ELNS1_3repE0EEENS1_30default_config_static_selectorELNS0_4arch9wavefront6targetE0EEEvT1_
		.amdhsa_group_segment_fixed_size 0
		.amdhsa_private_segment_fixed_size 0
		.amdhsa_kernarg_size 120
		.amdhsa_user_sgpr_count 2
		.amdhsa_user_sgpr_dispatch_ptr 0
		.amdhsa_user_sgpr_queue_ptr 0
		.amdhsa_user_sgpr_kernarg_segment_ptr 1
		.amdhsa_user_sgpr_dispatch_id 0
		.amdhsa_user_sgpr_private_segment_size 0
		.amdhsa_wavefront_size32 1
		.amdhsa_uses_dynamic_stack 0
		.amdhsa_enable_private_segment 0
		.amdhsa_system_sgpr_workgroup_id_x 1
		.amdhsa_system_sgpr_workgroup_id_y 0
		.amdhsa_system_sgpr_workgroup_id_z 0
		.amdhsa_system_sgpr_workgroup_info 0
		.amdhsa_system_vgpr_workitem_id 0
		.amdhsa_next_free_vgpr 1
		.amdhsa_next_free_sgpr 1
		.amdhsa_reserve_vcc 0
		.amdhsa_float_round_mode_32 0
		.amdhsa_float_round_mode_16_64 0
		.amdhsa_float_denorm_mode_32 3
		.amdhsa_float_denorm_mode_16_64 3
		.amdhsa_fp16_overflow 0
		.amdhsa_workgroup_processor_mode 1
		.amdhsa_memory_ordered 1
		.amdhsa_forward_progress 1
		.amdhsa_inst_pref_size 0
		.amdhsa_round_robin_scheduling 0
		.amdhsa_exception_fp_ieee_invalid_op 0
		.amdhsa_exception_fp_denorm_src 0
		.amdhsa_exception_fp_ieee_div_zero 0
		.amdhsa_exception_fp_ieee_overflow 0
		.amdhsa_exception_fp_ieee_underflow 0
		.amdhsa_exception_fp_ieee_inexact 0
		.amdhsa_exception_int_div_zero 0
	.end_amdhsa_kernel
	.section	.text._ZN7rocprim17ROCPRIM_400000_NS6detail17trampoline_kernelINS0_14default_configENS1_25partition_config_selectorILNS1_17partition_subalgoE5EiNS0_10empty_typeEbEEZZNS1_14partition_implILS5_5ELb0ES3_mN6thrust23THRUST_200600_302600_NS6detail15normal_iteratorINSA_10device_ptrIiEEEEPS6_NSA_18transform_iteratorINSB_9not_fun_tINSA_8identityIiEEEESF_NSA_11use_defaultESM_EENS0_5tupleIJSF_S6_EEENSO_IJSG_SG_EEES6_PlJS6_EEE10hipError_tPvRmT3_T4_T5_T6_T7_T9_mT8_P12ihipStream_tbDpT10_ENKUlT_T0_E_clISt17integral_constantIbLb1EES1A_IbLb0EEEEDaS16_S17_EUlS16_E_NS1_11comp_targetILNS1_3genE0ELNS1_11target_archE4294967295ELNS1_3gpuE0ELNS1_3repE0EEENS1_30default_config_static_selectorELNS0_4arch9wavefront6targetE0EEEvT1_,"axG",@progbits,_ZN7rocprim17ROCPRIM_400000_NS6detail17trampoline_kernelINS0_14default_configENS1_25partition_config_selectorILNS1_17partition_subalgoE5EiNS0_10empty_typeEbEEZZNS1_14partition_implILS5_5ELb0ES3_mN6thrust23THRUST_200600_302600_NS6detail15normal_iteratorINSA_10device_ptrIiEEEEPS6_NSA_18transform_iteratorINSB_9not_fun_tINSA_8identityIiEEEESF_NSA_11use_defaultESM_EENS0_5tupleIJSF_S6_EEENSO_IJSG_SG_EEES6_PlJS6_EEE10hipError_tPvRmT3_T4_T5_T6_T7_T9_mT8_P12ihipStream_tbDpT10_ENKUlT_T0_E_clISt17integral_constantIbLb1EES1A_IbLb0EEEEDaS16_S17_EUlS16_E_NS1_11comp_targetILNS1_3genE0ELNS1_11target_archE4294967295ELNS1_3gpuE0ELNS1_3repE0EEENS1_30default_config_static_selectorELNS0_4arch9wavefront6targetE0EEEvT1_,comdat
.Lfunc_end997:
	.size	_ZN7rocprim17ROCPRIM_400000_NS6detail17trampoline_kernelINS0_14default_configENS1_25partition_config_selectorILNS1_17partition_subalgoE5EiNS0_10empty_typeEbEEZZNS1_14partition_implILS5_5ELb0ES3_mN6thrust23THRUST_200600_302600_NS6detail15normal_iteratorINSA_10device_ptrIiEEEEPS6_NSA_18transform_iteratorINSB_9not_fun_tINSA_8identityIiEEEESF_NSA_11use_defaultESM_EENS0_5tupleIJSF_S6_EEENSO_IJSG_SG_EEES6_PlJS6_EEE10hipError_tPvRmT3_T4_T5_T6_T7_T9_mT8_P12ihipStream_tbDpT10_ENKUlT_T0_E_clISt17integral_constantIbLb1EES1A_IbLb0EEEEDaS16_S17_EUlS16_E_NS1_11comp_targetILNS1_3genE0ELNS1_11target_archE4294967295ELNS1_3gpuE0ELNS1_3repE0EEENS1_30default_config_static_selectorELNS0_4arch9wavefront6targetE0EEEvT1_, .Lfunc_end997-_ZN7rocprim17ROCPRIM_400000_NS6detail17trampoline_kernelINS0_14default_configENS1_25partition_config_selectorILNS1_17partition_subalgoE5EiNS0_10empty_typeEbEEZZNS1_14partition_implILS5_5ELb0ES3_mN6thrust23THRUST_200600_302600_NS6detail15normal_iteratorINSA_10device_ptrIiEEEEPS6_NSA_18transform_iteratorINSB_9not_fun_tINSA_8identityIiEEEESF_NSA_11use_defaultESM_EENS0_5tupleIJSF_S6_EEENSO_IJSG_SG_EEES6_PlJS6_EEE10hipError_tPvRmT3_T4_T5_T6_T7_T9_mT8_P12ihipStream_tbDpT10_ENKUlT_T0_E_clISt17integral_constantIbLb1EES1A_IbLb0EEEEDaS16_S17_EUlS16_E_NS1_11comp_targetILNS1_3genE0ELNS1_11target_archE4294967295ELNS1_3gpuE0ELNS1_3repE0EEENS1_30default_config_static_selectorELNS0_4arch9wavefront6targetE0EEEvT1_
                                        ; -- End function
	.set _ZN7rocprim17ROCPRIM_400000_NS6detail17trampoline_kernelINS0_14default_configENS1_25partition_config_selectorILNS1_17partition_subalgoE5EiNS0_10empty_typeEbEEZZNS1_14partition_implILS5_5ELb0ES3_mN6thrust23THRUST_200600_302600_NS6detail15normal_iteratorINSA_10device_ptrIiEEEEPS6_NSA_18transform_iteratorINSB_9not_fun_tINSA_8identityIiEEEESF_NSA_11use_defaultESM_EENS0_5tupleIJSF_S6_EEENSO_IJSG_SG_EEES6_PlJS6_EEE10hipError_tPvRmT3_T4_T5_T6_T7_T9_mT8_P12ihipStream_tbDpT10_ENKUlT_T0_E_clISt17integral_constantIbLb1EES1A_IbLb0EEEEDaS16_S17_EUlS16_E_NS1_11comp_targetILNS1_3genE0ELNS1_11target_archE4294967295ELNS1_3gpuE0ELNS1_3repE0EEENS1_30default_config_static_selectorELNS0_4arch9wavefront6targetE0EEEvT1_.num_vgpr, 0
	.set _ZN7rocprim17ROCPRIM_400000_NS6detail17trampoline_kernelINS0_14default_configENS1_25partition_config_selectorILNS1_17partition_subalgoE5EiNS0_10empty_typeEbEEZZNS1_14partition_implILS5_5ELb0ES3_mN6thrust23THRUST_200600_302600_NS6detail15normal_iteratorINSA_10device_ptrIiEEEEPS6_NSA_18transform_iteratorINSB_9not_fun_tINSA_8identityIiEEEESF_NSA_11use_defaultESM_EENS0_5tupleIJSF_S6_EEENSO_IJSG_SG_EEES6_PlJS6_EEE10hipError_tPvRmT3_T4_T5_T6_T7_T9_mT8_P12ihipStream_tbDpT10_ENKUlT_T0_E_clISt17integral_constantIbLb1EES1A_IbLb0EEEEDaS16_S17_EUlS16_E_NS1_11comp_targetILNS1_3genE0ELNS1_11target_archE4294967295ELNS1_3gpuE0ELNS1_3repE0EEENS1_30default_config_static_selectorELNS0_4arch9wavefront6targetE0EEEvT1_.num_agpr, 0
	.set _ZN7rocprim17ROCPRIM_400000_NS6detail17trampoline_kernelINS0_14default_configENS1_25partition_config_selectorILNS1_17partition_subalgoE5EiNS0_10empty_typeEbEEZZNS1_14partition_implILS5_5ELb0ES3_mN6thrust23THRUST_200600_302600_NS6detail15normal_iteratorINSA_10device_ptrIiEEEEPS6_NSA_18transform_iteratorINSB_9not_fun_tINSA_8identityIiEEEESF_NSA_11use_defaultESM_EENS0_5tupleIJSF_S6_EEENSO_IJSG_SG_EEES6_PlJS6_EEE10hipError_tPvRmT3_T4_T5_T6_T7_T9_mT8_P12ihipStream_tbDpT10_ENKUlT_T0_E_clISt17integral_constantIbLb1EES1A_IbLb0EEEEDaS16_S17_EUlS16_E_NS1_11comp_targetILNS1_3genE0ELNS1_11target_archE4294967295ELNS1_3gpuE0ELNS1_3repE0EEENS1_30default_config_static_selectorELNS0_4arch9wavefront6targetE0EEEvT1_.numbered_sgpr, 0
	.set _ZN7rocprim17ROCPRIM_400000_NS6detail17trampoline_kernelINS0_14default_configENS1_25partition_config_selectorILNS1_17partition_subalgoE5EiNS0_10empty_typeEbEEZZNS1_14partition_implILS5_5ELb0ES3_mN6thrust23THRUST_200600_302600_NS6detail15normal_iteratorINSA_10device_ptrIiEEEEPS6_NSA_18transform_iteratorINSB_9not_fun_tINSA_8identityIiEEEESF_NSA_11use_defaultESM_EENS0_5tupleIJSF_S6_EEENSO_IJSG_SG_EEES6_PlJS6_EEE10hipError_tPvRmT3_T4_T5_T6_T7_T9_mT8_P12ihipStream_tbDpT10_ENKUlT_T0_E_clISt17integral_constantIbLb1EES1A_IbLb0EEEEDaS16_S17_EUlS16_E_NS1_11comp_targetILNS1_3genE0ELNS1_11target_archE4294967295ELNS1_3gpuE0ELNS1_3repE0EEENS1_30default_config_static_selectorELNS0_4arch9wavefront6targetE0EEEvT1_.num_named_barrier, 0
	.set _ZN7rocprim17ROCPRIM_400000_NS6detail17trampoline_kernelINS0_14default_configENS1_25partition_config_selectorILNS1_17partition_subalgoE5EiNS0_10empty_typeEbEEZZNS1_14partition_implILS5_5ELb0ES3_mN6thrust23THRUST_200600_302600_NS6detail15normal_iteratorINSA_10device_ptrIiEEEEPS6_NSA_18transform_iteratorINSB_9not_fun_tINSA_8identityIiEEEESF_NSA_11use_defaultESM_EENS0_5tupleIJSF_S6_EEENSO_IJSG_SG_EEES6_PlJS6_EEE10hipError_tPvRmT3_T4_T5_T6_T7_T9_mT8_P12ihipStream_tbDpT10_ENKUlT_T0_E_clISt17integral_constantIbLb1EES1A_IbLb0EEEEDaS16_S17_EUlS16_E_NS1_11comp_targetILNS1_3genE0ELNS1_11target_archE4294967295ELNS1_3gpuE0ELNS1_3repE0EEENS1_30default_config_static_selectorELNS0_4arch9wavefront6targetE0EEEvT1_.private_seg_size, 0
	.set _ZN7rocprim17ROCPRIM_400000_NS6detail17trampoline_kernelINS0_14default_configENS1_25partition_config_selectorILNS1_17partition_subalgoE5EiNS0_10empty_typeEbEEZZNS1_14partition_implILS5_5ELb0ES3_mN6thrust23THRUST_200600_302600_NS6detail15normal_iteratorINSA_10device_ptrIiEEEEPS6_NSA_18transform_iteratorINSB_9not_fun_tINSA_8identityIiEEEESF_NSA_11use_defaultESM_EENS0_5tupleIJSF_S6_EEENSO_IJSG_SG_EEES6_PlJS6_EEE10hipError_tPvRmT3_T4_T5_T6_T7_T9_mT8_P12ihipStream_tbDpT10_ENKUlT_T0_E_clISt17integral_constantIbLb1EES1A_IbLb0EEEEDaS16_S17_EUlS16_E_NS1_11comp_targetILNS1_3genE0ELNS1_11target_archE4294967295ELNS1_3gpuE0ELNS1_3repE0EEENS1_30default_config_static_selectorELNS0_4arch9wavefront6targetE0EEEvT1_.uses_vcc, 0
	.set _ZN7rocprim17ROCPRIM_400000_NS6detail17trampoline_kernelINS0_14default_configENS1_25partition_config_selectorILNS1_17partition_subalgoE5EiNS0_10empty_typeEbEEZZNS1_14partition_implILS5_5ELb0ES3_mN6thrust23THRUST_200600_302600_NS6detail15normal_iteratorINSA_10device_ptrIiEEEEPS6_NSA_18transform_iteratorINSB_9not_fun_tINSA_8identityIiEEEESF_NSA_11use_defaultESM_EENS0_5tupleIJSF_S6_EEENSO_IJSG_SG_EEES6_PlJS6_EEE10hipError_tPvRmT3_T4_T5_T6_T7_T9_mT8_P12ihipStream_tbDpT10_ENKUlT_T0_E_clISt17integral_constantIbLb1EES1A_IbLb0EEEEDaS16_S17_EUlS16_E_NS1_11comp_targetILNS1_3genE0ELNS1_11target_archE4294967295ELNS1_3gpuE0ELNS1_3repE0EEENS1_30default_config_static_selectorELNS0_4arch9wavefront6targetE0EEEvT1_.uses_flat_scratch, 0
	.set _ZN7rocprim17ROCPRIM_400000_NS6detail17trampoline_kernelINS0_14default_configENS1_25partition_config_selectorILNS1_17partition_subalgoE5EiNS0_10empty_typeEbEEZZNS1_14partition_implILS5_5ELb0ES3_mN6thrust23THRUST_200600_302600_NS6detail15normal_iteratorINSA_10device_ptrIiEEEEPS6_NSA_18transform_iteratorINSB_9not_fun_tINSA_8identityIiEEEESF_NSA_11use_defaultESM_EENS0_5tupleIJSF_S6_EEENSO_IJSG_SG_EEES6_PlJS6_EEE10hipError_tPvRmT3_T4_T5_T6_T7_T9_mT8_P12ihipStream_tbDpT10_ENKUlT_T0_E_clISt17integral_constantIbLb1EES1A_IbLb0EEEEDaS16_S17_EUlS16_E_NS1_11comp_targetILNS1_3genE0ELNS1_11target_archE4294967295ELNS1_3gpuE0ELNS1_3repE0EEENS1_30default_config_static_selectorELNS0_4arch9wavefront6targetE0EEEvT1_.has_dyn_sized_stack, 0
	.set _ZN7rocprim17ROCPRIM_400000_NS6detail17trampoline_kernelINS0_14default_configENS1_25partition_config_selectorILNS1_17partition_subalgoE5EiNS0_10empty_typeEbEEZZNS1_14partition_implILS5_5ELb0ES3_mN6thrust23THRUST_200600_302600_NS6detail15normal_iteratorINSA_10device_ptrIiEEEEPS6_NSA_18transform_iteratorINSB_9not_fun_tINSA_8identityIiEEEESF_NSA_11use_defaultESM_EENS0_5tupleIJSF_S6_EEENSO_IJSG_SG_EEES6_PlJS6_EEE10hipError_tPvRmT3_T4_T5_T6_T7_T9_mT8_P12ihipStream_tbDpT10_ENKUlT_T0_E_clISt17integral_constantIbLb1EES1A_IbLb0EEEEDaS16_S17_EUlS16_E_NS1_11comp_targetILNS1_3genE0ELNS1_11target_archE4294967295ELNS1_3gpuE0ELNS1_3repE0EEENS1_30default_config_static_selectorELNS0_4arch9wavefront6targetE0EEEvT1_.has_recursion, 0
	.set _ZN7rocprim17ROCPRIM_400000_NS6detail17trampoline_kernelINS0_14default_configENS1_25partition_config_selectorILNS1_17partition_subalgoE5EiNS0_10empty_typeEbEEZZNS1_14partition_implILS5_5ELb0ES3_mN6thrust23THRUST_200600_302600_NS6detail15normal_iteratorINSA_10device_ptrIiEEEEPS6_NSA_18transform_iteratorINSB_9not_fun_tINSA_8identityIiEEEESF_NSA_11use_defaultESM_EENS0_5tupleIJSF_S6_EEENSO_IJSG_SG_EEES6_PlJS6_EEE10hipError_tPvRmT3_T4_T5_T6_T7_T9_mT8_P12ihipStream_tbDpT10_ENKUlT_T0_E_clISt17integral_constantIbLb1EES1A_IbLb0EEEEDaS16_S17_EUlS16_E_NS1_11comp_targetILNS1_3genE0ELNS1_11target_archE4294967295ELNS1_3gpuE0ELNS1_3repE0EEENS1_30default_config_static_selectorELNS0_4arch9wavefront6targetE0EEEvT1_.has_indirect_call, 0
	.section	.AMDGPU.csdata,"",@progbits
; Kernel info:
; codeLenInByte = 0
; TotalNumSgprs: 0
; NumVgprs: 0
; ScratchSize: 0
; MemoryBound: 0
; FloatMode: 240
; IeeeMode: 1
; LDSByteSize: 0 bytes/workgroup (compile time only)
; SGPRBlocks: 0
; VGPRBlocks: 0
; NumSGPRsForWavesPerEU: 1
; NumVGPRsForWavesPerEU: 1
; Occupancy: 16
; WaveLimiterHint : 0
; COMPUTE_PGM_RSRC2:SCRATCH_EN: 0
; COMPUTE_PGM_RSRC2:USER_SGPR: 2
; COMPUTE_PGM_RSRC2:TRAP_HANDLER: 0
; COMPUTE_PGM_RSRC2:TGID_X_EN: 1
; COMPUTE_PGM_RSRC2:TGID_Y_EN: 0
; COMPUTE_PGM_RSRC2:TGID_Z_EN: 0
; COMPUTE_PGM_RSRC2:TIDIG_COMP_CNT: 0
	.section	.text._ZN7rocprim17ROCPRIM_400000_NS6detail17trampoline_kernelINS0_14default_configENS1_25partition_config_selectorILNS1_17partition_subalgoE5EiNS0_10empty_typeEbEEZZNS1_14partition_implILS5_5ELb0ES3_mN6thrust23THRUST_200600_302600_NS6detail15normal_iteratorINSA_10device_ptrIiEEEEPS6_NSA_18transform_iteratorINSB_9not_fun_tINSA_8identityIiEEEESF_NSA_11use_defaultESM_EENS0_5tupleIJSF_S6_EEENSO_IJSG_SG_EEES6_PlJS6_EEE10hipError_tPvRmT3_T4_T5_T6_T7_T9_mT8_P12ihipStream_tbDpT10_ENKUlT_T0_E_clISt17integral_constantIbLb1EES1A_IbLb0EEEEDaS16_S17_EUlS16_E_NS1_11comp_targetILNS1_3genE5ELNS1_11target_archE942ELNS1_3gpuE9ELNS1_3repE0EEENS1_30default_config_static_selectorELNS0_4arch9wavefront6targetE0EEEvT1_,"axG",@progbits,_ZN7rocprim17ROCPRIM_400000_NS6detail17trampoline_kernelINS0_14default_configENS1_25partition_config_selectorILNS1_17partition_subalgoE5EiNS0_10empty_typeEbEEZZNS1_14partition_implILS5_5ELb0ES3_mN6thrust23THRUST_200600_302600_NS6detail15normal_iteratorINSA_10device_ptrIiEEEEPS6_NSA_18transform_iteratorINSB_9not_fun_tINSA_8identityIiEEEESF_NSA_11use_defaultESM_EENS0_5tupleIJSF_S6_EEENSO_IJSG_SG_EEES6_PlJS6_EEE10hipError_tPvRmT3_T4_T5_T6_T7_T9_mT8_P12ihipStream_tbDpT10_ENKUlT_T0_E_clISt17integral_constantIbLb1EES1A_IbLb0EEEEDaS16_S17_EUlS16_E_NS1_11comp_targetILNS1_3genE5ELNS1_11target_archE942ELNS1_3gpuE9ELNS1_3repE0EEENS1_30default_config_static_selectorELNS0_4arch9wavefront6targetE0EEEvT1_,comdat
	.protected	_ZN7rocprim17ROCPRIM_400000_NS6detail17trampoline_kernelINS0_14default_configENS1_25partition_config_selectorILNS1_17partition_subalgoE5EiNS0_10empty_typeEbEEZZNS1_14partition_implILS5_5ELb0ES3_mN6thrust23THRUST_200600_302600_NS6detail15normal_iteratorINSA_10device_ptrIiEEEEPS6_NSA_18transform_iteratorINSB_9not_fun_tINSA_8identityIiEEEESF_NSA_11use_defaultESM_EENS0_5tupleIJSF_S6_EEENSO_IJSG_SG_EEES6_PlJS6_EEE10hipError_tPvRmT3_T4_T5_T6_T7_T9_mT8_P12ihipStream_tbDpT10_ENKUlT_T0_E_clISt17integral_constantIbLb1EES1A_IbLb0EEEEDaS16_S17_EUlS16_E_NS1_11comp_targetILNS1_3genE5ELNS1_11target_archE942ELNS1_3gpuE9ELNS1_3repE0EEENS1_30default_config_static_selectorELNS0_4arch9wavefront6targetE0EEEvT1_ ; -- Begin function _ZN7rocprim17ROCPRIM_400000_NS6detail17trampoline_kernelINS0_14default_configENS1_25partition_config_selectorILNS1_17partition_subalgoE5EiNS0_10empty_typeEbEEZZNS1_14partition_implILS5_5ELb0ES3_mN6thrust23THRUST_200600_302600_NS6detail15normal_iteratorINSA_10device_ptrIiEEEEPS6_NSA_18transform_iteratorINSB_9not_fun_tINSA_8identityIiEEEESF_NSA_11use_defaultESM_EENS0_5tupleIJSF_S6_EEENSO_IJSG_SG_EEES6_PlJS6_EEE10hipError_tPvRmT3_T4_T5_T6_T7_T9_mT8_P12ihipStream_tbDpT10_ENKUlT_T0_E_clISt17integral_constantIbLb1EES1A_IbLb0EEEEDaS16_S17_EUlS16_E_NS1_11comp_targetILNS1_3genE5ELNS1_11target_archE942ELNS1_3gpuE9ELNS1_3repE0EEENS1_30default_config_static_selectorELNS0_4arch9wavefront6targetE0EEEvT1_
	.globl	_ZN7rocprim17ROCPRIM_400000_NS6detail17trampoline_kernelINS0_14default_configENS1_25partition_config_selectorILNS1_17partition_subalgoE5EiNS0_10empty_typeEbEEZZNS1_14partition_implILS5_5ELb0ES3_mN6thrust23THRUST_200600_302600_NS6detail15normal_iteratorINSA_10device_ptrIiEEEEPS6_NSA_18transform_iteratorINSB_9not_fun_tINSA_8identityIiEEEESF_NSA_11use_defaultESM_EENS0_5tupleIJSF_S6_EEENSO_IJSG_SG_EEES6_PlJS6_EEE10hipError_tPvRmT3_T4_T5_T6_T7_T9_mT8_P12ihipStream_tbDpT10_ENKUlT_T0_E_clISt17integral_constantIbLb1EES1A_IbLb0EEEEDaS16_S17_EUlS16_E_NS1_11comp_targetILNS1_3genE5ELNS1_11target_archE942ELNS1_3gpuE9ELNS1_3repE0EEENS1_30default_config_static_selectorELNS0_4arch9wavefront6targetE0EEEvT1_
	.p2align	8
	.type	_ZN7rocprim17ROCPRIM_400000_NS6detail17trampoline_kernelINS0_14default_configENS1_25partition_config_selectorILNS1_17partition_subalgoE5EiNS0_10empty_typeEbEEZZNS1_14partition_implILS5_5ELb0ES3_mN6thrust23THRUST_200600_302600_NS6detail15normal_iteratorINSA_10device_ptrIiEEEEPS6_NSA_18transform_iteratorINSB_9not_fun_tINSA_8identityIiEEEESF_NSA_11use_defaultESM_EENS0_5tupleIJSF_S6_EEENSO_IJSG_SG_EEES6_PlJS6_EEE10hipError_tPvRmT3_T4_T5_T6_T7_T9_mT8_P12ihipStream_tbDpT10_ENKUlT_T0_E_clISt17integral_constantIbLb1EES1A_IbLb0EEEEDaS16_S17_EUlS16_E_NS1_11comp_targetILNS1_3genE5ELNS1_11target_archE942ELNS1_3gpuE9ELNS1_3repE0EEENS1_30default_config_static_selectorELNS0_4arch9wavefront6targetE0EEEvT1_,@function
_ZN7rocprim17ROCPRIM_400000_NS6detail17trampoline_kernelINS0_14default_configENS1_25partition_config_selectorILNS1_17partition_subalgoE5EiNS0_10empty_typeEbEEZZNS1_14partition_implILS5_5ELb0ES3_mN6thrust23THRUST_200600_302600_NS6detail15normal_iteratorINSA_10device_ptrIiEEEEPS6_NSA_18transform_iteratorINSB_9not_fun_tINSA_8identityIiEEEESF_NSA_11use_defaultESM_EENS0_5tupleIJSF_S6_EEENSO_IJSG_SG_EEES6_PlJS6_EEE10hipError_tPvRmT3_T4_T5_T6_T7_T9_mT8_P12ihipStream_tbDpT10_ENKUlT_T0_E_clISt17integral_constantIbLb1EES1A_IbLb0EEEEDaS16_S17_EUlS16_E_NS1_11comp_targetILNS1_3genE5ELNS1_11target_archE942ELNS1_3gpuE9ELNS1_3repE0EEENS1_30default_config_static_selectorELNS0_4arch9wavefront6targetE0EEEvT1_: ; @_ZN7rocprim17ROCPRIM_400000_NS6detail17trampoline_kernelINS0_14default_configENS1_25partition_config_selectorILNS1_17partition_subalgoE5EiNS0_10empty_typeEbEEZZNS1_14partition_implILS5_5ELb0ES3_mN6thrust23THRUST_200600_302600_NS6detail15normal_iteratorINSA_10device_ptrIiEEEEPS6_NSA_18transform_iteratorINSB_9not_fun_tINSA_8identityIiEEEESF_NSA_11use_defaultESM_EENS0_5tupleIJSF_S6_EEENSO_IJSG_SG_EEES6_PlJS6_EEE10hipError_tPvRmT3_T4_T5_T6_T7_T9_mT8_P12ihipStream_tbDpT10_ENKUlT_T0_E_clISt17integral_constantIbLb1EES1A_IbLb0EEEEDaS16_S17_EUlS16_E_NS1_11comp_targetILNS1_3genE5ELNS1_11target_archE942ELNS1_3gpuE9ELNS1_3repE0EEENS1_30default_config_static_selectorELNS0_4arch9wavefront6targetE0EEEvT1_
; %bb.0:
	.section	.rodata,"a",@progbits
	.p2align	6, 0x0
	.amdhsa_kernel _ZN7rocprim17ROCPRIM_400000_NS6detail17trampoline_kernelINS0_14default_configENS1_25partition_config_selectorILNS1_17partition_subalgoE5EiNS0_10empty_typeEbEEZZNS1_14partition_implILS5_5ELb0ES3_mN6thrust23THRUST_200600_302600_NS6detail15normal_iteratorINSA_10device_ptrIiEEEEPS6_NSA_18transform_iteratorINSB_9not_fun_tINSA_8identityIiEEEESF_NSA_11use_defaultESM_EENS0_5tupleIJSF_S6_EEENSO_IJSG_SG_EEES6_PlJS6_EEE10hipError_tPvRmT3_T4_T5_T6_T7_T9_mT8_P12ihipStream_tbDpT10_ENKUlT_T0_E_clISt17integral_constantIbLb1EES1A_IbLb0EEEEDaS16_S17_EUlS16_E_NS1_11comp_targetILNS1_3genE5ELNS1_11target_archE942ELNS1_3gpuE9ELNS1_3repE0EEENS1_30default_config_static_selectorELNS0_4arch9wavefront6targetE0EEEvT1_
		.amdhsa_group_segment_fixed_size 0
		.amdhsa_private_segment_fixed_size 0
		.amdhsa_kernarg_size 120
		.amdhsa_user_sgpr_count 2
		.amdhsa_user_sgpr_dispatch_ptr 0
		.amdhsa_user_sgpr_queue_ptr 0
		.amdhsa_user_sgpr_kernarg_segment_ptr 1
		.amdhsa_user_sgpr_dispatch_id 0
		.amdhsa_user_sgpr_private_segment_size 0
		.amdhsa_wavefront_size32 1
		.amdhsa_uses_dynamic_stack 0
		.amdhsa_enable_private_segment 0
		.amdhsa_system_sgpr_workgroup_id_x 1
		.amdhsa_system_sgpr_workgroup_id_y 0
		.amdhsa_system_sgpr_workgroup_id_z 0
		.amdhsa_system_sgpr_workgroup_info 0
		.amdhsa_system_vgpr_workitem_id 0
		.amdhsa_next_free_vgpr 1
		.amdhsa_next_free_sgpr 1
		.amdhsa_reserve_vcc 0
		.amdhsa_float_round_mode_32 0
		.amdhsa_float_round_mode_16_64 0
		.amdhsa_float_denorm_mode_32 3
		.amdhsa_float_denorm_mode_16_64 3
		.amdhsa_fp16_overflow 0
		.amdhsa_workgroup_processor_mode 1
		.amdhsa_memory_ordered 1
		.amdhsa_forward_progress 1
		.amdhsa_inst_pref_size 0
		.amdhsa_round_robin_scheduling 0
		.amdhsa_exception_fp_ieee_invalid_op 0
		.amdhsa_exception_fp_denorm_src 0
		.amdhsa_exception_fp_ieee_div_zero 0
		.amdhsa_exception_fp_ieee_overflow 0
		.amdhsa_exception_fp_ieee_underflow 0
		.amdhsa_exception_fp_ieee_inexact 0
		.amdhsa_exception_int_div_zero 0
	.end_amdhsa_kernel
	.section	.text._ZN7rocprim17ROCPRIM_400000_NS6detail17trampoline_kernelINS0_14default_configENS1_25partition_config_selectorILNS1_17partition_subalgoE5EiNS0_10empty_typeEbEEZZNS1_14partition_implILS5_5ELb0ES3_mN6thrust23THRUST_200600_302600_NS6detail15normal_iteratorINSA_10device_ptrIiEEEEPS6_NSA_18transform_iteratorINSB_9not_fun_tINSA_8identityIiEEEESF_NSA_11use_defaultESM_EENS0_5tupleIJSF_S6_EEENSO_IJSG_SG_EEES6_PlJS6_EEE10hipError_tPvRmT3_T4_T5_T6_T7_T9_mT8_P12ihipStream_tbDpT10_ENKUlT_T0_E_clISt17integral_constantIbLb1EES1A_IbLb0EEEEDaS16_S17_EUlS16_E_NS1_11comp_targetILNS1_3genE5ELNS1_11target_archE942ELNS1_3gpuE9ELNS1_3repE0EEENS1_30default_config_static_selectorELNS0_4arch9wavefront6targetE0EEEvT1_,"axG",@progbits,_ZN7rocprim17ROCPRIM_400000_NS6detail17trampoline_kernelINS0_14default_configENS1_25partition_config_selectorILNS1_17partition_subalgoE5EiNS0_10empty_typeEbEEZZNS1_14partition_implILS5_5ELb0ES3_mN6thrust23THRUST_200600_302600_NS6detail15normal_iteratorINSA_10device_ptrIiEEEEPS6_NSA_18transform_iteratorINSB_9not_fun_tINSA_8identityIiEEEESF_NSA_11use_defaultESM_EENS0_5tupleIJSF_S6_EEENSO_IJSG_SG_EEES6_PlJS6_EEE10hipError_tPvRmT3_T4_T5_T6_T7_T9_mT8_P12ihipStream_tbDpT10_ENKUlT_T0_E_clISt17integral_constantIbLb1EES1A_IbLb0EEEEDaS16_S17_EUlS16_E_NS1_11comp_targetILNS1_3genE5ELNS1_11target_archE942ELNS1_3gpuE9ELNS1_3repE0EEENS1_30default_config_static_selectorELNS0_4arch9wavefront6targetE0EEEvT1_,comdat
.Lfunc_end998:
	.size	_ZN7rocprim17ROCPRIM_400000_NS6detail17trampoline_kernelINS0_14default_configENS1_25partition_config_selectorILNS1_17partition_subalgoE5EiNS0_10empty_typeEbEEZZNS1_14partition_implILS5_5ELb0ES3_mN6thrust23THRUST_200600_302600_NS6detail15normal_iteratorINSA_10device_ptrIiEEEEPS6_NSA_18transform_iteratorINSB_9not_fun_tINSA_8identityIiEEEESF_NSA_11use_defaultESM_EENS0_5tupleIJSF_S6_EEENSO_IJSG_SG_EEES6_PlJS6_EEE10hipError_tPvRmT3_T4_T5_T6_T7_T9_mT8_P12ihipStream_tbDpT10_ENKUlT_T0_E_clISt17integral_constantIbLb1EES1A_IbLb0EEEEDaS16_S17_EUlS16_E_NS1_11comp_targetILNS1_3genE5ELNS1_11target_archE942ELNS1_3gpuE9ELNS1_3repE0EEENS1_30default_config_static_selectorELNS0_4arch9wavefront6targetE0EEEvT1_, .Lfunc_end998-_ZN7rocprim17ROCPRIM_400000_NS6detail17trampoline_kernelINS0_14default_configENS1_25partition_config_selectorILNS1_17partition_subalgoE5EiNS0_10empty_typeEbEEZZNS1_14partition_implILS5_5ELb0ES3_mN6thrust23THRUST_200600_302600_NS6detail15normal_iteratorINSA_10device_ptrIiEEEEPS6_NSA_18transform_iteratorINSB_9not_fun_tINSA_8identityIiEEEESF_NSA_11use_defaultESM_EENS0_5tupleIJSF_S6_EEENSO_IJSG_SG_EEES6_PlJS6_EEE10hipError_tPvRmT3_T4_T5_T6_T7_T9_mT8_P12ihipStream_tbDpT10_ENKUlT_T0_E_clISt17integral_constantIbLb1EES1A_IbLb0EEEEDaS16_S17_EUlS16_E_NS1_11comp_targetILNS1_3genE5ELNS1_11target_archE942ELNS1_3gpuE9ELNS1_3repE0EEENS1_30default_config_static_selectorELNS0_4arch9wavefront6targetE0EEEvT1_
                                        ; -- End function
	.set _ZN7rocprim17ROCPRIM_400000_NS6detail17trampoline_kernelINS0_14default_configENS1_25partition_config_selectorILNS1_17partition_subalgoE5EiNS0_10empty_typeEbEEZZNS1_14partition_implILS5_5ELb0ES3_mN6thrust23THRUST_200600_302600_NS6detail15normal_iteratorINSA_10device_ptrIiEEEEPS6_NSA_18transform_iteratorINSB_9not_fun_tINSA_8identityIiEEEESF_NSA_11use_defaultESM_EENS0_5tupleIJSF_S6_EEENSO_IJSG_SG_EEES6_PlJS6_EEE10hipError_tPvRmT3_T4_T5_T6_T7_T9_mT8_P12ihipStream_tbDpT10_ENKUlT_T0_E_clISt17integral_constantIbLb1EES1A_IbLb0EEEEDaS16_S17_EUlS16_E_NS1_11comp_targetILNS1_3genE5ELNS1_11target_archE942ELNS1_3gpuE9ELNS1_3repE0EEENS1_30default_config_static_selectorELNS0_4arch9wavefront6targetE0EEEvT1_.num_vgpr, 0
	.set _ZN7rocprim17ROCPRIM_400000_NS6detail17trampoline_kernelINS0_14default_configENS1_25partition_config_selectorILNS1_17partition_subalgoE5EiNS0_10empty_typeEbEEZZNS1_14partition_implILS5_5ELb0ES3_mN6thrust23THRUST_200600_302600_NS6detail15normal_iteratorINSA_10device_ptrIiEEEEPS6_NSA_18transform_iteratorINSB_9not_fun_tINSA_8identityIiEEEESF_NSA_11use_defaultESM_EENS0_5tupleIJSF_S6_EEENSO_IJSG_SG_EEES6_PlJS6_EEE10hipError_tPvRmT3_T4_T5_T6_T7_T9_mT8_P12ihipStream_tbDpT10_ENKUlT_T0_E_clISt17integral_constantIbLb1EES1A_IbLb0EEEEDaS16_S17_EUlS16_E_NS1_11comp_targetILNS1_3genE5ELNS1_11target_archE942ELNS1_3gpuE9ELNS1_3repE0EEENS1_30default_config_static_selectorELNS0_4arch9wavefront6targetE0EEEvT1_.num_agpr, 0
	.set _ZN7rocprim17ROCPRIM_400000_NS6detail17trampoline_kernelINS0_14default_configENS1_25partition_config_selectorILNS1_17partition_subalgoE5EiNS0_10empty_typeEbEEZZNS1_14partition_implILS5_5ELb0ES3_mN6thrust23THRUST_200600_302600_NS6detail15normal_iteratorINSA_10device_ptrIiEEEEPS6_NSA_18transform_iteratorINSB_9not_fun_tINSA_8identityIiEEEESF_NSA_11use_defaultESM_EENS0_5tupleIJSF_S6_EEENSO_IJSG_SG_EEES6_PlJS6_EEE10hipError_tPvRmT3_T4_T5_T6_T7_T9_mT8_P12ihipStream_tbDpT10_ENKUlT_T0_E_clISt17integral_constantIbLb1EES1A_IbLb0EEEEDaS16_S17_EUlS16_E_NS1_11comp_targetILNS1_3genE5ELNS1_11target_archE942ELNS1_3gpuE9ELNS1_3repE0EEENS1_30default_config_static_selectorELNS0_4arch9wavefront6targetE0EEEvT1_.numbered_sgpr, 0
	.set _ZN7rocprim17ROCPRIM_400000_NS6detail17trampoline_kernelINS0_14default_configENS1_25partition_config_selectorILNS1_17partition_subalgoE5EiNS0_10empty_typeEbEEZZNS1_14partition_implILS5_5ELb0ES3_mN6thrust23THRUST_200600_302600_NS6detail15normal_iteratorINSA_10device_ptrIiEEEEPS6_NSA_18transform_iteratorINSB_9not_fun_tINSA_8identityIiEEEESF_NSA_11use_defaultESM_EENS0_5tupleIJSF_S6_EEENSO_IJSG_SG_EEES6_PlJS6_EEE10hipError_tPvRmT3_T4_T5_T6_T7_T9_mT8_P12ihipStream_tbDpT10_ENKUlT_T0_E_clISt17integral_constantIbLb1EES1A_IbLb0EEEEDaS16_S17_EUlS16_E_NS1_11comp_targetILNS1_3genE5ELNS1_11target_archE942ELNS1_3gpuE9ELNS1_3repE0EEENS1_30default_config_static_selectorELNS0_4arch9wavefront6targetE0EEEvT1_.num_named_barrier, 0
	.set _ZN7rocprim17ROCPRIM_400000_NS6detail17trampoline_kernelINS0_14default_configENS1_25partition_config_selectorILNS1_17partition_subalgoE5EiNS0_10empty_typeEbEEZZNS1_14partition_implILS5_5ELb0ES3_mN6thrust23THRUST_200600_302600_NS6detail15normal_iteratorINSA_10device_ptrIiEEEEPS6_NSA_18transform_iteratorINSB_9not_fun_tINSA_8identityIiEEEESF_NSA_11use_defaultESM_EENS0_5tupleIJSF_S6_EEENSO_IJSG_SG_EEES6_PlJS6_EEE10hipError_tPvRmT3_T4_T5_T6_T7_T9_mT8_P12ihipStream_tbDpT10_ENKUlT_T0_E_clISt17integral_constantIbLb1EES1A_IbLb0EEEEDaS16_S17_EUlS16_E_NS1_11comp_targetILNS1_3genE5ELNS1_11target_archE942ELNS1_3gpuE9ELNS1_3repE0EEENS1_30default_config_static_selectorELNS0_4arch9wavefront6targetE0EEEvT1_.private_seg_size, 0
	.set _ZN7rocprim17ROCPRIM_400000_NS6detail17trampoline_kernelINS0_14default_configENS1_25partition_config_selectorILNS1_17partition_subalgoE5EiNS0_10empty_typeEbEEZZNS1_14partition_implILS5_5ELb0ES3_mN6thrust23THRUST_200600_302600_NS6detail15normal_iteratorINSA_10device_ptrIiEEEEPS6_NSA_18transform_iteratorINSB_9not_fun_tINSA_8identityIiEEEESF_NSA_11use_defaultESM_EENS0_5tupleIJSF_S6_EEENSO_IJSG_SG_EEES6_PlJS6_EEE10hipError_tPvRmT3_T4_T5_T6_T7_T9_mT8_P12ihipStream_tbDpT10_ENKUlT_T0_E_clISt17integral_constantIbLb1EES1A_IbLb0EEEEDaS16_S17_EUlS16_E_NS1_11comp_targetILNS1_3genE5ELNS1_11target_archE942ELNS1_3gpuE9ELNS1_3repE0EEENS1_30default_config_static_selectorELNS0_4arch9wavefront6targetE0EEEvT1_.uses_vcc, 0
	.set _ZN7rocprim17ROCPRIM_400000_NS6detail17trampoline_kernelINS0_14default_configENS1_25partition_config_selectorILNS1_17partition_subalgoE5EiNS0_10empty_typeEbEEZZNS1_14partition_implILS5_5ELb0ES3_mN6thrust23THRUST_200600_302600_NS6detail15normal_iteratorINSA_10device_ptrIiEEEEPS6_NSA_18transform_iteratorINSB_9not_fun_tINSA_8identityIiEEEESF_NSA_11use_defaultESM_EENS0_5tupleIJSF_S6_EEENSO_IJSG_SG_EEES6_PlJS6_EEE10hipError_tPvRmT3_T4_T5_T6_T7_T9_mT8_P12ihipStream_tbDpT10_ENKUlT_T0_E_clISt17integral_constantIbLb1EES1A_IbLb0EEEEDaS16_S17_EUlS16_E_NS1_11comp_targetILNS1_3genE5ELNS1_11target_archE942ELNS1_3gpuE9ELNS1_3repE0EEENS1_30default_config_static_selectorELNS0_4arch9wavefront6targetE0EEEvT1_.uses_flat_scratch, 0
	.set _ZN7rocprim17ROCPRIM_400000_NS6detail17trampoline_kernelINS0_14default_configENS1_25partition_config_selectorILNS1_17partition_subalgoE5EiNS0_10empty_typeEbEEZZNS1_14partition_implILS5_5ELb0ES3_mN6thrust23THRUST_200600_302600_NS6detail15normal_iteratorINSA_10device_ptrIiEEEEPS6_NSA_18transform_iteratorINSB_9not_fun_tINSA_8identityIiEEEESF_NSA_11use_defaultESM_EENS0_5tupleIJSF_S6_EEENSO_IJSG_SG_EEES6_PlJS6_EEE10hipError_tPvRmT3_T4_T5_T6_T7_T9_mT8_P12ihipStream_tbDpT10_ENKUlT_T0_E_clISt17integral_constantIbLb1EES1A_IbLb0EEEEDaS16_S17_EUlS16_E_NS1_11comp_targetILNS1_3genE5ELNS1_11target_archE942ELNS1_3gpuE9ELNS1_3repE0EEENS1_30default_config_static_selectorELNS0_4arch9wavefront6targetE0EEEvT1_.has_dyn_sized_stack, 0
	.set _ZN7rocprim17ROCPRIM_400000_NS6detail17trampoline_kernelINS0_14default_configENS1_25partition_config_selectorILNS1_17partition_subalgoE5EiNS0_10empty_typeEbEEZZNS1_14partition_implILS5_5ELb0ES3_mN6thrust23THRUST_200600_302600_NS6detail15normal_iteratorINSA_10device_ptrIiEEEEPS6_NSA_18transform_iteratorINSB_9not_fun_tINSA_8identityIiEEEESF_NSA_11use_defaultESM_EENS0_5tupleIJSF_S6_EEENSO_IJSG_SG_EEES6_PlJS6_EEE10hipError_tPvRmT3_T4_T5_T6_T7_T9_mT8_P12ihipStream_tbDpT10_ENKUlT_T0_E_clISt17integral_constantIbLb1EES1A_IbLb0EEEEDaS16_S17_EUlS16_E_NS1_11comp_targetILNS1_3genE5ELNS1_11target_archE942ELNS1_3gpuE9ELNS1_3repE0EEENS1_30default_config_static_selectorELNS0_4arch9wavefront6targetE0EEEvT1_.has_recursion, 0
	.set _ZN7rocprim17ROCPRIM_400000_NS6detail17trampoline_kernelINS0_14default_configENS1_25partition_config_selectorILNS1_17partition_subalgoE5EiNS0_10empty_typeEbEEZZNS1_14partition_implILS5_5ELb0ES3_mN6thrust23THRUST_200600_302600_NS6detail15normal_iteratorINSA_10device_ptrIiEEEEPS6_NSA_18transform_iteratorINSB_9not_fun_tINSA_8identityIiEEEESF_NSA_11use_defaultESM_EENS0_5tupleIJSF_S6_EEENSO_IJSG_SG_EEES6_PlJS6_EEE10hipError_tPvRmT3_T4_T5_T6_T7_T9_mT8_P12ihipStream_tbDpT10_ENKUlT_T0_E_clISt17integral_constantIbLb1EES1A_IbLb0EEEEDaS16_S17_EUlS16_E_NS1_11comp_targetILNS1_3genE5ELNS1_11target_archE942ELNS1_3gpuE9ELNS1_3repE0EEENS1_30default_config_static_selectorELNS0_4arch9wavefront6targetE0EEEvT1_.has_indirect_call, 0
	.section	.AMDGPU.csdata,"",@progbits
; Kernel info:
; codeLenInByte = 0
; TotalNumSgprs: 0
; NumVgprs: 0
; ScratchSize: 0
; MemoryBound: 0
; FloatMode: 240
; IeeeMode: 1
; LDSByteSize: 0 bytes/workgroup (compile time only)
; SGPRBlocks: 0
; VGPRBlocks: 0
; NumSGPRsForWavesPerEU: 1
; NumVGPRsForWavesPerEU: 1
; Occupancy: 16
; WaveLimiterHint : 0
; COMPUTE_PGM_RSRC2:SCRATCH_EN: 0
; COMPUTE_PGM_RSRC2:USER_SGPR: 2
; COMPUTE_PGM_RSRC2:TRAP_HANDLER: 0
; COMPUTE_PGM_RSRC2:TGID_X_EN: 1
; COMPUTE_PGM_RSRC2:TGID_Y_EN: 0
; COMPUTE_PGM_RSRC2:TGID_Z_EN: 0
; COMPUTE_PGM_RSRC2:TIDIG_COMP_CNT: 0
	.section	.text._ZN7rocprim17ROCPRIM_400000_NS6detail17trampoline_kernelINS0_14default_configENS1_25partition_config_selectorILNS1_17partition_subalgoE5EiNS0_10empty_typeEbEEZZNS1_14partition_implILS5_5ELb0ES3_mN6thrust23THRUST_200600_302600_NS6detail15normal_iteratorINSA_10device_ptrIiEEEEPS6_NSA_18transform_iteratorINSB_9not_fun_tINSA_8identityIiEEEESF_NSA_11use_defaultESM_EENS0_5tupleIJSF_S6_EEENSO_IJSG_SG_EEES6_PlJS6_EEE10hipError_tPvRmT3_T4_T5_T6_T7_T9_mT8_P12ihipStream_tbDpT10_ENKUlT_T0_E_clISt17integral_constantIbLb1EES1A_IbLb0EEEEDaS16_S17_EUlS16_E_NS1_11comp_targetILNS1_3genE4ELNS1_11target_archE910ELNS1_3gpuE8ELNS1_3repE0EEENS1_30default_config_static_selectorELNS0_4arch9wavefront6targetE0EEEvT1_,"axG",@progbits,_ZN7rocprim17ROCPRIM_400000_NS6detail17trampoline_kernelINS0_14default_configENS1_25partition_config_selectorILNS1_17partition_subalgoE5EiNS0_10empty_typeEbEEZZNS1_14partition_implILS5_5ELb0ES3_mN6thrust23THRUST_200600_302600_NS6detail15normal_iteratorINSA_10device_ptrIiEEEEPS6_NSA_18transform_iteratorINSB_9not_fun_tINSA_8identityIiEEEESF_NSA_11use_defaultESM_EENS0_5tupleIJSF_S6_EEENSO_IJSG_SG_EEES6_PlJS6_EEE10hipError_tPvRmT3_T4_T5_T6_T7_T9_mT8_P12ihipStream_tbDpT10_ENKUlT_T0_E_clISt17integral_constantIbLb1EES1A_IbLb0EEEEDaS16_S17_EUlS16_E_NS1_11comp_targetILNS1_3genE4ELNS1_11target_archE910ELNS1_3gpuE8ELNS1_3repE0EEENS1_30default_config_static_selectorELNS0_4arch9wavefront6targetE0EEEvT1_,comdat
	.protected	_ZN7rocprim17ROCPRIM_400000_NS6detail17trampoline_kernelINS0_14default_configENS1_25partition_config_selectorILNS1_17partition_subalgoE5EiNS0_10empty_typeEbEEZZNS1_14partition_implILS5_5ELb0ES3_mN6thrust23THRUST_200600_302600_NS6detail15normal_iteratorINSA_10device_ptrIiEEEEPS6_NSA_18transform_iteratorINSB_9not_fun_tINSA_8identityIiEEEESF_NSA_11use_defaultESM_EENS0_5tupleIJSF_S6_EEENSO_IJSG_SG_EEES6_PlJS6_EEE10hipError_tPvRmT3_T4_T5_T6_T7_T9_mT8_P12ihipStream_tbDpT10_ENKUlT_T0_E_clISt17integral_constantIbLb1EES1A_IbLb0EEEEDaS16_S17_EUlS16_E_NS1_11comp_targetILNS1_3genE4ELNS1_11target_archE910ELNS1_3gpuE8ELNS1_3repE0EEENS1_30default_config_static_selectorELNS0_4arch9wavefront6targetE0EEEvT1_ ; -- Begin function _ZN7rocprim17ROCPRIM_400000_NS6detail17trampoline_kernelINS0_14default_configENS1_25partition_config_selectorILNS1_17partition_subalgoE5EiNS0_10empty_typeEbEEZZNS1_14partition_implILS5_5ELb0ES3_mN6thrust23THRUST_200600_302600_NS6detail15normal_iteratorINSA_10device_ptrIiEEEEPS6_NSA_18transform_iteratorINSB_9not_fun_tINSA_8identityIiEEEESF_NSA_11use_defaultESM_EENS0_5tupleIJSF_S6_EEENSO_IJSG_SG_EEES6_PlJS6_EEE10hipError_tPvRmT3_T4_T5_T6_T7_T9_mT8_P12ihipStream_tbDpT10_ENKUlT_T0_E_clISt17integral_constantIbLb1EES1A_IbLb0EEEEDaS16_S17_EUlS16_E_NS1_11comp_targetILNS1_3genE4ELNS1_11target_archE910ELNS1_3gpuE8ELNS1_3repE0EEENS1_30default_config_static_selectorELNS0_4arch9wavefront6targetE0EEEvT1_
	.globl	_ZN7rocprim17ROCPRIM_400000_NS6detail17trampoline_kernelINS0_14default_configENS1_25partition_config_selectorILNS1_17partition_subalgoE5EiNS0_10empty_typeEbEEZZNS1_14partition_implILS5_5ELb0ES3_mN6thrust23THRUST_200600_302600_NS6detail15normal_iteratorINSA_10device_ptrIiEEEEPS6_NSA_18transform_iteratorINSB_9not_fun_tINSA_8identityIiEEEESF_NSA_11use_defaultESM_EENS0_5tupleIJSF_S6_EEENSO_IJSG_SG_EEES6_PlJS6_EEE10hipError_tPvRmT3_T4_T5_T6_T7_T9_mT8_P12ihipStream_tbDpT10_ENKUlT_T0_E_clISt17integral_constantIbLb1EES1A_IbLb0EEEEDaS16_S17_EUlS16_E_NS1_11comp_targetILNS1_3genE4ELNS1_11target_archE910ELNS1_3gpuE8ELNS1_3repE0EEENS1_30default_config_static_selectorELNS0_4arch9wavefront6targetE0EEEvT1_
	.p2align	8
	.type	_ZN7rocprim17ROCPRIM_400000_NS6detail17trampoline_kernelINS0_14default_configENS1_25partition_config_selectorILNS1_17partition_subalgoE5EiNS0_10empty_typeEbEEZZNS1_14partition_implILS5_5ELb0ES3_mN6thrust23THRUST_200600_302600_NS6detail15normal_iteratorINSA_10device_ptrIiEEEEPS6_NSA_18transform_iteratorINSB_9not_fun_tINSA_8identityIiEEEESF_NSA_11use_defaultESM_EENS0_5tupleIJSF_S6_EEENSO_IJSG_SG_EEES6_PlJS6_EEE10hipError_tPvRmT3_T4_T5_T6_T7_T9_mT8_P12ihipStream_tbDpT10_ENKUlT_T0_E_clISt17integral_constantIbLb1EES1A_IbLb0EEEEDaS16_S17_EUlS16_E_NS1_11comp_targetILNS1_3genE4ELNS1_11target_archE910ELNS1_3gpuE8ELNS1_3repE0EEENS1_30default_config_static_selectorELNS0_4arch9wavefront6targetE0EEEvT1_,@function
_ZN7rocprim17ROCPRIM_400000_NS6detail17trampoline_kernelINS0_14default_configENS1_25partition_config_selectorILNS1_17partition_subalgoE5EiNS0_10empty_typeEbEEZZNS1_14partition_implILS5_5ELb0ES3_mN6thrust23THRUST_200600_302600_NS6detail15normal_iteratorINSA_10device_ptrIiEEEEPS6_NSA_18transform_iteratorINSB_9not_fun_tINSA_8identityIiEEEESF_NSA_11use_defaultESM_EENS0_5tupleIJSF_S6_EEENSO_IJSG_SG_EEES6_PlJS6_EEE10hipError_tPvRmT3_T4_T5_T6_T7_T9_mT8_P12ihipStream_tbDpT10_ENKUlT_T0_E_clISt17integral_constantIbLb1EES1A_IbLb0EEEEDaS16_S17_EUlS16_E_NS1_11comp_targetILNS1_3genE4ELNS1_11target_archE910ELNS1_3gpuE8ELNS1_3repE0EEENS1_30default_config_static_selectorELNS0_4arch9wavefront6targetE0EEEvT1_: ; @_ZN7rocprim17ROCPRIM_400000_NS6detail17trampoline_kernelINS0_14default_configENS1_25partition_config_selectorILNS1_17partition_subalgoE5EiNS0_10empty_typeEbEEZZNS1_14partition_implILS5_5ELb0ES3_mN6thrust23THRUST_200600_302600_NS6detail15normal_iteratorINSA_10device_ptrIiEEEEPS6_NSA_18transform_iteratorINSB_9not_fun_tINSA_8identityIiEEEESF_NSA_11use_defaultESM_EENS0_5tupleIJSF_S6_EEENSO_IJSG_SG_EEES6_PlJS6_EEE10hipError_tPvRmT3_T4_T5_T6_T7_T9_mT8_P12ihipStream_tbDpT10_ENKUlT_T0_E_clISt17integral_constantIbLb1EES1A_IbLb0EEEEDaS16_S17_EUlS16_E_NS1_11comp_targetILNS1_3genE4ELNS1_11target_archE910ELNS1_3gpuE8ELNS1_3repE0EEENS1_30default_config_static_selectorELNS0_4arch9wavefront6targetE0EEEvT1_
; %bb.0:
	.section	.rodata,"a",@progbits
	.p2align	6, 0x0
	.amdhsa_kernel _ZN7rocprim17ROCPRIM_400000_NS6detail17trampoline_kernelINS0_14default_configENS1_25partition_config_selectorILNS1_17partition_subalgoE5EiNS0_10empty_typeEbEEZZNS1_14partition_implILS5_5ELb0ES3_mN6thrust23THRUST_200600_302600_NS6detail15normal_iteratorINSA_10device_ptrIiEEEEPS6_NSA_18transform_iteratorINSB_9not_fun_tINSA_8identityIiEEEESF_NSA_11use_defaultESM_EENS0_5tupleIJSF_S6_EEENSO_IJSG_SG_EEES6_PlJS6_EEE10hipError_tPvRmT3_T4_T5_T6_T7_T9_mT8_P12ihipStream_tbDpT10_ENKUlT_T0_E_clISt17integral_constantIbLb1EES1A_IbLb0EEEEDaS16_S17_EUlS16_E_NS1_11comp_targetILNS1_3genE4ELNS1_11target_archE910ELNS1_3gpuE8ELNS1_3repE0EEENS1_30default_config_static_selectorELNS0_4arch9wavefront6targetE0EEEvT1_
		.amdhsa_group_segment_fixed_size 0
		.amdhsa_private_segment_fixed_size 0
		.amdhsa_kernarg_size 120
		.amdhsa_user_sgpr_count 2
		.amdhsa_user_sgpr_dispatch_ptr 0
		.amdhsa_user_sgpr_queue_ptr 0
		.amdhsa_user_sgpr_kernarg_segment_ptr 1
		.amdhsa_user_sgpr_dispatch_id 0
		.amdhsa_user_sgpr_private_segment_size 0
		.amdhsa_wavefront_size32 1
		.amdhsa_uses_dynamic_stack 0
		.amdhsa_enable_private_segment 0
		.amdhsa_system_sgpr_workgroup_id_x 1
		.amdhsa_system_sgpr_workgroup_id_y 0
		.amdhsa_system_sgpr_workgroup_id_z 0
		.amdhsa_system_sgpr_workgroup_info 0
		.amdhsa_system_vgpr_workitem_id 0
		.amdhsa_next_free_vgpr 1
		.amdhsa_next_free_sgpr 1
		.amdhsa_reserve_vcc 0
		.amdhsa_float_round_mode_32 0
		.amdhsa_float_round_mode_16_64 0
		.amdhsa_float_denorm_mode_32 3
		.amdhsa_float_denorm_mode_16_64 3
		.amdhsa_fp16_overflow 0
		.amdhsa_workgroup_processor_mode 1
		.amdhsa_memory_ordered 1
		.amdhsa_forward_progress 1
		.amdhsa_inst_pref_size 0
		.amdhsa_round_robin_scheduling 0
		.amdhsa_exception_fp_ieee_invalid_op 0
		.amdhsa_exception_fp_denorm_src 0
		.amdhsa_exception_fp_ieee_div_zero 0
		.amdhsa_exception_fp_ieee_overflow 0
		.amdhsa_exception_fp_ieee_underflow 0
		.amdhsa_exception_fp_ieee_inexact 0
		.amdhsa_exception_int_div_zero 0
	.end_amdhsa_kernel
	.section	.text._ZN7rocprim17ROCPRIM_400000_NS6detail17trampoline_kernelINS0_14default_configENS1_25partition_config_selectorILNS1_17partition_subalgoE5EiNS0_10empty_typeEbEEZZNS1_14partition_implILS5_5ELb0ES3_mN6thrust23THRUST_200600_302600_NS6detail15normal_iteratorINSA_10device_ptrIiEEEEPS6_NSA_18transform_iteratorINSB_9not_fun_tINSA_8identityIiEEEESF_NSA_11use_defaultESM_EENS0_5tupleIJSF_S6_EEENSO_IJSG_SG_EEES6_PlJS6_EEE10hipError_tPvRmT3_T4_T5_T6_T7_T9_mT8_P12ihipStream_tbDpT10_ENKUlT_T0_E_clISt17integral_constantIbLb1EES1A_IbLb0EEEEDaS16_S17_EUlS16_E_NS1_11comp_targetILNS1_3genE4ELNS1_11target_archE910ELNS1_3gpuE8ELNS1_3repE0EEENS1_30default_config_static_selectorELNS0_4arch9wavefront6targetE0EEEvT1_,"axG",@progbits,_ZN7rocprim17ROCPRIM_400000_NS6detail17trampoline_kernelINS0_14default_configENS1_25partition_config_selectorILNS1_17partition_subalgoE5EiNS0_10empty_typeEbEEZZNS1_14partition_implILS5_5ELb0ES3_mN6thrust23THRUST_200600_302600_NS6detail15normal_iteratorINSA_10device_ptrIiEEEEPS6_NSA_18transform_iteratorINSB_9not_fun_tINSA_8identityIiEEEESF_NSA_11use_defaultESM_EENS0_5tupleIJSF_S6_EEENSO_IJSG_SG_EEES6_PlJS6_EEE10hipError_tPvRmT3_T4_T5_T6_T7_T9_mT8_P12ihipStream_tbDpT10_ENKUlT_T0_E_clISt17integral_constantIbLb1EES1A_IbLb0EEEEDaS16_S17_EUlS16_E_NS1_11comp_targetILNS1_3genE4ELNS1_11target_archE910ELNS1_3gpuE8ELNS1_3repE0EEENS1_30default_config_static_selectorELNS0_4arch9wavefront6targetE0EEEvT1_,comdat
.Lfunc_end999:
	.size	_ZN7rocprim17ROCPRIM_400000_NS6detail17trampoline_kernelINS0_14default_configENS1_25partition_config_selectorILNS1_17partition_subalgoE5EiNS0_10empty_typeEbEEZZNS1_14partition_implILS5_5ELb0ES3_mN6thrust23THRUST_200600_302600_NS6detail15normal_iteratorINSA_10device_ptrIiEEEEPS6_NSA_18transform_iteratorINSB_9not_fun_tINSA_8identityIiEEEESF_NSA_11use_defaultESM_EENS0_5tupleIJSF_S6_EEENSO_IJSG_SG_EEES6_PlJS6_EEE10hipError_tPvRmT3_T4_T5_T6_T7_T9_mT8_P12ihipStream_tbDpT10_ENKUlT_T0_E_clISt17integral_constantIbLb1EES1A_IbLb0EEEEDaS16_S17_EUlS16_E_NS1_11comp_targetILNS1_3genE4ELNS1_11target_archE910ELNS1_3gpuE8ELNS1_3repE0EEENS1_30default_config_static_selectorELNS0_4arch9wavefront6targetE0EEEvT1_, .Lfunc_end999-_ZN7rocprim17ROCPRIM_400000_NS6detail17trampoline_kernelINS0_14default_configENS1_25partition_config_selectorILNS1_17partition_subalgoE5EiNS0_10empty_typeEbEEZZNS1_14partition_implILS5_5ELb0ES3_mN6thrust23THRUST_200600_302600_NS6detail15normal_iteratorINSA_10device_ptrIiEEEEPS6_NSA_18transform_iteratorINSB_9not_fun_tINSA_8identityIiEEEESF_NSA_11use_defaultESM_EENS0_5tupleIJSF_S6_EEENSO_IJSG_SG_EEES6_PlJS6_EEE10hipError_tPvRmT3_T4_T5_T6_T7_T9_mT8_P12ihipStream_tbDpT10_ENKUlT_T0_E_clISt17integral_constantIbLb1EES1A_IbLb0EEEEDaS16_S17_EUlS16_E_NS1_11comp_targetILNS1_3genE4ELNS1_11target_archE910ELNS1_3gpuE8ELNS1_3repE0EEENS1_30default_config_static_selectorELNS0_4arch9wavefront6targetE0EEEvT1_
                                        ; -- End function
	.set _ZN7rocprim17ROCPRIM_400000_NS6detail17trampoline_kernelINS0_14default_configENS1_25partition_config_selectorILNS1_17partition_subalgoE5EiNS0_10empty_typeEbEEZZNS1_14partition_implILS5_5ELb0ES3_mN6thrust23THRUST_200600_302600_NS6detail15normal_iteratorINSA_10device_ptrIiEEEEPS6_NSA_18transform_iteratorINSB_9not_fun_tINSA_8identityIiEEEESF_NSA_11use_defaultESM_EENS0_5tupleIJSF_S6_EEENSO_IJSG_SG_EEES6_PlJS6_EEE10hipError_tPvRmT3_T4_T5_T6_T7_T9_mT8_P12ihipStream_tbDpT10_ENKUlT_T0_E_clISt17integral_constantIbLb1EES1A_IbLb0EEEEDaS16_S17_EUlS16_E_NS1_11comp_targetILNS1_3genE4ELNS1_11target_archE910ELNS1_3gpuE8ELNS1_3repE0EEENS1_30default_config_static_selectorELNS0_4arch9wavefront6targetE0EEEvT1_.num_vgpr, 0
	.set _ZN7rocprim17ROCPRIM_400000_NS6detail17trampoline_kernelINS0_14default_configENS1_25partition_config_selectorILNS1_17partition_subalgoE5EiNS0_10empty_typeEbEEZZNS1_14partition_implILS5_5ELb0ES3_mN6thrust23THRUST_200600_302600_NS6detail15normal_iteratorINSA_10device_ptrIiEEEEPS6_NSA_18transform_iteratorINSB_9not_fun_tINSA_8identityIiEEEESF_NSA_11use_defaultESM_EENS0_5tupleIJSF_S6_EEENSO_IJSG_SG_EEES6_PlJS6_EEE10hipError_tPvRmT3_T4_T5_T6_T7_T9_mT8_P12ihipStream_tbDpT10_ENKUlT_T0_E_clISt17integral_constantIbLb1EES1A_IbLb0EEEEDaS16_S17_EUlS16_E_NS1_11comp_targetILNS1_3genE4ELNS1_11target_archE910ELNS1_3gpuE8ELNS1_3repE0EEENS1_30default_config_static_selectorELNS0_4arch9wavefront6targetE0EEEvT1_.num_agpr, 0
	.set _ZN7rocprim17ROCPRIM_400000_NS6detail17trampoline_kernelINS0_14default_configENS1_25partition_config_selectorILNS1_17partition_subalgoE5EiNS0_10empty_typeEbEEZZNS1_14partition_implILS5_5ELb0ES3_mN6thrust23THRUST_200600_302600_NS6detail15normal_iteratorINSA_10device_ptrIiEEEEPS6_NSA_18transform_iteratorINSB_9not_fun_tINSA_8identityIiEEEESF_NSA_11use_defaultESM_EENS0_5tupleIJSF_S6_EEENSO_IJSG_SG_EEES6_PlJS6_EEE10hipError_tPvRmT3_T4_T5_T6_T7_T9_mT8_P12ihipStream_tbDpT10_ENKUlT_T0_E_clISt17integral_constantIbLb1EES1A_IbLb0EEEEDaS16_S17_EUlS16_E_NS1_11comp_targetILNS1_3genE4ELNS1_11target_archE910ELNS1_3gpuE8ELNS1_3repE0EEENS1_30default_config_static_selectorELNS0_4arch9wavefront6targetE0EEEvT1_.numbered_sgpr, 0
	.set _ZN7rocprim17ROCPRIM_400000_NS6detail17trampoline_kernelINS0_14default_configENS1_25partition_config_selectorILNS1_17partition_subalgoE5EiNS0_10empty_typeEbEEZZNS1_14partition_implILS5_5ELb0ES3_mN6thrust23THRUST_200600_302600_NS6detail15normal_iteratorINSA_10device_ptrIiEEEEPS6_NSA_18transform_iteratorINSB_9not_fun_tINSA_8identityIiEEEESF_NSA_11use_defaultESM_EENS0_5tupleIJSF_S6_EEENSO_IJSG_SG_EEES6_PlJS6_EEE10hipError_tPvRmT3_T4_T5_T6_T7_T9_mT8_P12ihipStream_tbDpT10_ENKUlT_T0_E_clISt17integral_constantIbLb1EES1A_IbLb0EEEEDaS16_S17_EUlS16_E_NS1_11comp_targetILNS1_3genE4ELNS1_11target_archE910ELNS1_3gpuE8ELNS1_3repE0EEENS1_30default_config_static_selectorELNS0_4arch9wavefront6targetE0EEEvT1_.num_named_barrier, 0
	.set _ZN7rocprim17ROCPRIM_400000_NS6detail17trampoline_kernelINS0_14default_configENS1_25partition_config_selectorILNS1_17partition_subalgoE5EiNS0_10empty_typeEbEEZZNS1_14partition_implILS5_5ELb0ES3_mN6thrust23THRUST_200600_302600_NS6detail15normal_iteratorINSA_10device_ptrIiEEEEPS6_NSA_18transform_iteratorINSB_9not_fun_tINSA_8identityIiEEEESF_NSA_11use_defaultESM_EENS0_5tupleIJSF_S6_EEENSO_IJSG_SG_EEES6_PlJS6_EEE10hipError_tPvRmT3_T4_T5_T6_T7_T9_mT8_P12ihipStream_tbDpT10_ENKUlT_T0_E_clISt17integral_constantIbLb1EES1A_IbLb0EEEEDaS16_S17_EUlS16_E_NS1_11comp_targetILNS1_3genE4ELNS1_11target_archE910ELNS1_3gpuE8ELNS1_3repE0EEENS1_30default_config_static_selectorELNS0_4arch9wavefront6targetE0EEEvT1_.private_seg_size, 0
	.set _ZN7rocprim17ROCPRIM_400000_NS6detail17trampoline_kernelINS0_14default_configENS1_25partition_config_selectorILNS1_17partition_subalgoE5EiNS0_10empty_typeEbEEZZNS1_14partition_implILS5_5ELb0ES3_mN6thrust23THRUST_200600_302600_NS6detail15normal_iteratorINSA_10device_ptrIiEEEEPS6_NSA_18transform_iteratorINSB_9not_fun_tINSA_8identityIiEEEESF_NSA_11use_defaultESM_EENS0_5tupleIJSF_S6_EEENSO_IJSG_SG_EEES6_PlJS6_EEE10hipError_tPvRmT3_T4_T5_T6_T7_T9_mT8_P12ihipStream_tbDpT10_ENKUlT_T0_E_clISt17integral_constantIbLb1EES1A_IbLb0EEEEDaS16_S17_EUlS16_E_NS1_11comp_targetILNS1_3genE4ELNS1_11target_archE910ELNS1_3gpuE8ELNS1_3repE0EEENS1_30default_config_static_selectorELNS0_4arch9wavefront6targetE0EEEvT1_.uses_vcc, 0
	.set _ZN7rocprim17ROCPRIM_400000_NS6detail17trampoline_kernelINS0_14default_configENS1_25partition_config_selectorILNS1_17partition_subalgoE5EiNS0_10empty_typeEbEEZZNS1_14partition_implILS5_5ELb0ES3_mN6thrust23THRUST_200600_302600_NS6detail15normal_iteratorINSA_10device_ptrIiEEEEPS6_NSA_18transform_iteratorINSB_9not_fun_tINSA_8identityIiEEEESF_NSA_11use_defaultESM_EENS0_5tupleIJSF_S6_EEENSO_IJSG_SG_EEES6_PlJS6_EEE10hipError_tPvRmT3_T4_T5_T6_T7_T9_mT8_P12ihipStream_tbDpT10_ENKUlT_T0_E_clISt17integral_constantIbLb1EES1A_IbLb0EEEEDaS16_S17_EUlS16_E_NS1_11comp_targetILNS1_3genE4ELNS1_11target_archE910ELNS1_3gpuE8ELNS1_3repE0EEENS1_30default_config_static_selectorELNS0_4arch9wavefront6targetE0EEEvT1_.uses_flat_scratch, 0
	.set _ZN7rocprim17ROCPRIM_400000_NS6detail17trampoline_kernelINS0_14default_configENS1_25partition_config_selectorILNS1_17partition_subalgoE5EiNS0_10empty_typeEbEEZZNS1_14partition_implILS5_5ELb0ES3_mN6thrust23THRUST_200600_302600_NS6detail15normal_iteratorINSA_10device_ptrIiEEEEPS6_NSA_18transform_iteratorINSB_9not_fun_tINSA_8identityIiEEEESF_NSA_11use_defaultESM_EENS0_5tupleIJSF_S6_EEENSO_IJSG_SG_EEES6_PlJS6_EEE10hipError_tPvRmT3_T4_T5_T6_T7_T9_mT8_P12ihipStream_tbDpT10_ENKUlT_T0_E_clISt17integral_constantIbLb1EES1A_IbLb0EEEEDaS16_S17_EUlS16_E_NS1_11comp_targetILNS1_3genE4ELNS1_11target_archE910ELNS1_3gpuE8ELNS1_3repE0EEENS1_30default_config_static_selectorELNS0_4arch9wavefront6targetE0EEEvT1_.has_dyn_sized_stack, 0
	.set _ZN7rocprim17ROCPRIM_400000_NS6detail17trampoline_kernelINS0_14default_configENS1_25partition_config_selectorILNS1_17partition_subalgoE5EiNS0_10empty_typeEbEEZZNS1_14partition_implILS5_5ELb0ES3_mN6thrust23THRUST_200600_302600_NS6detail15normal_iteratorINSA_10device_ptrIiEEEEPS6_NSA_18transform_iteratorINSB_9not_fun_tINSA_8identityIiEEEESF_NSA_11use_defaultESM_EENS0_5tupleIJSF_S6_EEENSO_IJSG_SG_EEES6_PlJS6_EEE10hipError_tPvRmT3_T4_T5_T6_T7_T9_mT8_P12ihipStream_tbDpT10_ENKUlT_T0_E_clISt17integral_constantIbLb1EES1A_IbLb0EEEEDaS16_S17_EUlS16_E_NS1_11comp_targetILNS1_3genE4ELNS1_11target_archE910ELNS1_3gpuE8ELNS1_3repE0EEENS1_30default_config_static_selectorELNS0_4arch9wavefront6targetE0EEEvT1_.has_recursion, 0
	.set _ZN7rocprim17ROCPRIM_400000_NS6detail17trampoline_kernelINS0_14default_configENS1_25partition_config_selectorILNS1_17partition_subalgoE5EiNS0_10empty_typeEbEEZZNS1_14partition_implILS5_5ELb0ES3_mN6thrust23THRUST_200600_302600_NS6detail15normal_iteratorINSA_10device_ptrIiEEEEPS6_NSA_18transform_iteratorINSB_9not_fun_tINSA_8identityIiEEEESF_NSA_11use_defaultESM_EENS0_5tupleIJSF_S6_EEENSO_IJSG_SG_EEES6_PlJS6_EEE10hipError_tPvRmT3_T4_T5_T6_T7_T9_mT8_P12ihipStream_tbDpT10_ENKUlT_T0_E_clISt17integral_constantIbLb1EES1A_IbLb0EEEEDaS16_S17_EUlS16_E_NS1_11comp_targetILNS1_3genE4ELNS1_11target_archE910ELNS1_3gpuE8ELNS1_3repE0EEENS1_30default_config_static_selectorELNS0_4arch9wavefront6targetE0EEEvT1_.has_indirect_call, 0
	.section	.AMDGPU.csdata,"",@progbits
; Kernel info:
; codeLenInByte = 0
; TotalNumSgprs: 0
; NumVgprs: 0
; ScratchSize: 0
; MemoryBound: 0
; FloatMode: 240
; IeeeMode: 1
; LDSByteSize: 0 bytes/workgroup (compile time only)
; SGPRBlocks: 0
; VGPRBlocks: 0
; NumSGPRsForWavesPerEU: 1
; NumVGPRsForWavesPerEU: 1
; Occupancy: 16
; WaveLimiterHint : 0
; COMPUTE_PGM_RSRC2:SCRATCH_EN: 0
; COMPUTE_PGM_RSRC2:USER_SGPR: 2
; COMPUTE_PGM_RSRC2:TRAP_HANDLER: 0
; COMPUTE_PGM_RSRC2:TGID_X_EN: 1
; COMPUTE_PGM_RSRC2:TGID_Y_EN: 0
; COMPUTE_PGM_RSRC2:TGID_Z_EN: 0
; COMPUTE_PGM_RSRC2:TIDIG_COMP_CNT: 0
	.section	.text._ZN7rocprim17ROCPRIM_400000_NS6detail17trampoline_kernelINS0_14default_configENS1_25partition_config_selectorILNS1_17partition_subalgoE5EiNS0_10empty_typeEbEEZZNS1_14partition_implILS5_5ELb0ES3_mN6thrust23THRUST_200600_302600_NS6detail15normal_iteratorINSA_10device_ptrIiEEEEPS6_NSA_18transform_iteratorINSB_9not_fun_tINSA_8identityIiEEEESF_NSA_11use_defaultESM_EENS0_5tupleIJSF_S6_EEENSO_IJSG_SG_EEES6_PlJS6_EEE10hipError_tPvRmT3_T4_T5_T6_T7_T9_mT8_P12ihipStream_tbDpT10_ENKUlT_T0_E_clISt17integral_constantIbLb1EES1A_IbLb0EEEEDaS16_S17_EUlS16_E_NS1_11comp_targetILNS1_3genE3ELNS1_11target_archE908ELNS1_3gpuE7ELNS1_3repE0EEENS1_30default_config_static_selectorELNS0_4arch9wavefront6targetE0EEEvT1_,"axG",@progbits,_ZN7rocprim17ROCPRIM_400000_NS6detail17trampoline_kernelINS0_14default_configENS1_25partition_config_selectorILNS1_17partition_subalgoE5EiNS0_10empty_typeEbEEZZNS1_14partition_implILS5_5ELb0ES3_mN6thrust23THRUST_200600_302600_NS6detail15normal_iteratorINSA_10device_ptrIiEEEEPS6_NSA_18transform_iteratorINSB_9not_fun_tINSA_8identityIiEEEESF_NSA_11use_defaultESM_EENS0_5tupleIJSF_S6_EEENSO_IJSG_SG_EEES6_PlJS6_EEE10hipError_tPvRmT3_T4_T5_T6_T7_T9_mT8_P12ihipStream_tbDpT10_ENKUlT_T0_E_clISt17integral_constantIbLb1EES1A_IbLb0EEEEDaS16_S17_EUlS16_E_NS1_11comp_targetILNS1_3genE3ELNS1_11target_archE908ELNS1_3gpuE7ELNS1_3repE0EEENS1_30default_config_static_selectorELNS0_4arch9wavefront6targetE0EEEvT1_,comdat
	.protected	_ZN7rocprim17ROCPRIM_400000_NS6detail17trampoline_kernelINS0_14default_configENS1_25partition_config_selectorILNS1_17partition_subalgoE5EiNS0_10empty_typeEbEEZZNS1_14partition_implILS5_5ELb0ES3_mN6thrust23THRUST_200600_302600_NS6detail15normal_iteratorINSA_10device_ptrIiEEEEPS6_NSA_18transform_iteratorINSB_9not_fun_tINSA_8identityIiEEEESF_NSA_11use_defaultESM_EENS0_5tupleIJSF_S6_EEENSO_IJSG_SG_EEES6_PlJS6_EEE10hipError_tPvRmT3_T4_T5_T6_T7_T9_mT8_P12ihipStream_tbDpT10_ENKUlT_T0_E_clISt17integral_constantIbLb1EES1A_IbLb0EEEEDaS16_S17_EUlS16_E_NS1_11comp_targetILNS1_3genE3ELNS1_11target_archE908ELNS1_3gpuE7ELNS1_3repE0EEENS1_30default_config_static_selectorELNS0_4arch9wavefront6targetE0EEEvT1_ ; -- Begin function _ZN7rocprim17ROCPRIM_400000_NS6detail17trampoline_kernelINS0_14default_configENS1_25partition_config_selectorILNS1_17partition_subalgoE5EiNS0_10empty_typeEbEEZZNS1_14partition_implILS5_5ELb0ES3_mN6thrust23THRUST_200600_302600_NS6detail15normal_iteratorINSA_10device_ptrIiEEEEPS6_NSA_18transform_iteratorINSB_9not_fun_tINSA_8identityIiEEEESF_NSA_11use_defaultESM_EENS0_5tupleIJSF_S6_EEENSO_IJSG_SG_EEES6_PlJS6_EEE10hipError_tPvRmT3_T4_T5_T6_T7_T9_mT8_P12ihipStream_tbDpT10_ENKUlT_T0_E_clISt17integral_constantIbLb1EES1A_IbLb0EEEEDaS16_S17_EUlS16_E_NS1_11comp_targetILNS1_3genE3ELNS1_11target_archE908ELNS1_3gpuE7ELNS1_3repE0EEENS1_30default_config_static_selectorELNS0_4arch9wavefront6targetE0EEEvT1_
	.globl	_ZN7rocprim17ROCPRIM_400000_NS6detail17trampoline_kernelINS0_14default_configENS1_25partition_config_selectorILNS1_17partition_subalgoE5EiNS0_10empty_typeEbEEZZNS1_14partition_implILS5_5ELb0ES3_mN6thrust23THRUST_200600_302600_NS6detail15normal_iteratorINSA_10device_ptrIiEEEEPS6_NSA_18transform_iteratorINSB_9not_fun_tINSA_8identityIiEEEESF_NSA_11use_defaultESM_EENS0_5tupleIJSF_S6_EEENSO_IJSG_SG_EEES6_PlJS6_EEE10hipError_tPvRmT3_T4_T5_T6_T7_T9_mT8_P12ihipStream_tbDpT10_ENKUlT_T0_E_clISt17integral_constantIbLb1EES1A_IbLb0EEEEDaS16_S17_EUlS16_E_NS1_11comp_targetILNS1_3genE3ELNS1_11target_archE908ELNS1_3gpuE7ELNS1_3repE0EEENS1_30default_config_static_selectorELNS0_4arch9wavefront6targetE0EEEvT1_
	.p2align	8
	.type	_ZN7rocprim17ROCPRIM_400000_NS6detail17trampoline_kernelINS0_14default_configENS1_25partition_config_selectorILNS1_17partition_subalgoE5EiNS0_10empty_typeEbEEZZNS1_14partition_implILS5_5ELb0ES3_mN6thrust23THRUST_200600_302600_NS6detail15normal_iteratorINSA_10device_ptrIiEEEEPS6_NSA_18transform_iteratorINSB_9not_fun_tINSA_8identityIiEEEESF_NSA_11use_defaultESM_EENS0_5tupleIJSF_S6_EEENSO_IJSG_SG_EEES6_PlJS6_EEE10hipError_tPvRmT3_T4_T5_T6_T7_T9_mT8_P12ihipStream_tbDpT10_ENKUlT_T0_E_clISt17integral_constantIbLb1EES1A_IbLb0EEEEDaS16_S17_EUlS16_E_NS1_11comp_targetILNS1_3genE3ELNS1_11target_archE908ELNS1_3gpuE7ELNS1_3repE0EEENS1_30default_config_static_selectorELNS0_4arch9wavefront6targetE0EEEvT1_,@function
_ZN7rocprim17ROCPRIM_400000_NS6detail17trampoline_kernelINS0_14default_configENS1_25partition_config_selectorILNS1_17partition_subalgoE5EiNS0_10empty_typeEbEEZZNS1_14partition_implILS5_5ELb0ES3_mN6thrust23THRUST_200600_302600_NS6detail15normal_iteratorINSA_10device_ptrIiEEEEPS6_NSA_18transform_iteratorINSB_9not_fun_tINSA_8identityIiEEEESF_NSA_11use_defaultESM_EENS0_5tupleIJSF_S6_EEENSO_IJSG_SG_EEES6_PlJS6_EEE10hipError_tPvRmT3_T4_T5_T6_T7_T9_mT8_P12ihipStream_tbDpT10_ENKUlT_T0_E_clISt17integral_constantIbLb1EES1A_IbLb0EEEEDaS16_S17_EUlS16_E_NS1_11comp_targetILNS1_3genE3ELNS1_11target_archE908ELNS1_3gpuE7ELNS1_3repE0EEENS1_30default_config_static_selectorELNS0_4arch9wavefront6targetE0EEEvT1_: ; @_ZN7rocprim17ROCPRIM_400000_NS6detail17trampoline_kernelINS0_14default_configENS1_25partition_config_selectorILNS1_17partition_subalgoE5EiNS0_10empty_typeEbEEZZNS1_14partition_implILS5_5ELb0ES3_mN6thrust23THRUST_200600_302600_NS6detail15normal_iteratorINSA_10device_ptrIiEEEEPS6_NSA_18transform_iteratorINSB_9not_fun_tINSA_8identityIiEEEESF_NSA_11use_defaultESM_EENS0_5tupleIJSF_S6_EEENSO_IJSG_SG_EEES6_PlJS6_EEE10hipError_tPvRmT3_T4_T5_T6_T7_T9_mT8_P12ihipStream_tbDpT10_ENKUlT_T0_E_clISt17integral_constantIbLb1EES1A_IbLb0EEEEDaS16_S17_EUlS16_E_NS1_11comp_targetILNS1_3genE3ELNS1_11target_archE908ELNS1_3gpuE7ELNS1_3repE0EEENS1_30default_config_static_selectorELNS0_4arch9wavefront6targetE0EEEvT1_
; %bb.0:
	.section	.rodata,"a",@progbits
	.p2align	6, 0x0
	.amdhsa_kernel _ZN7rocprim17ROCPRIM_400000_NS6detail17trampoline_kernelINS0_14default_configENS1_25partition_config_selectorILNS1_17partition_subalgoE5EiNS0_10empty_typeEbEEZZNS1_14partition_implILS5_5ELb0ES3_mN6thrust23THRUST_200600_302600_NS6detail15normal_iteratorINSA_10device_ptrIiEEEEPS6_NSA_18transform_iteratorINSB_9not_fun_tINSA_8identityIiEEEESF_NSA_11use_defaultESM_EENS0_5tupleIJSF_S6_EEENSO_IJSG_SG_EEES6_PlJS6_EEE10hipError_tPvRmT3_T4_T5_T6_T7_T9_mT8_P12ihipStream_tbDpT10_ENKUlT_T0_E_clISt17integral_constantIbLb1EES1A_IbLb0EEEEDaS16_S17_EUlS16_E_NS1_11comp_targetILNS1_3genE3ELNS1_11target_archE908ELNS1_3gpuE7ELNS1_3repE0EEENS1_30default_config_static_selectorELNS0_4arch9wavefront6targetE0EEEvT1_
		.amdhsa_group_segment_fixed_size 0
		.amdhsa_private_segment_fixed_size 0
		.amdhsa_kernarg_size 120
		.amdhsa_user_sgpr_count 2
		.amdhsa_user_sgpr_dispatch_ptr 0
		.amdhsa_user_sgpr_queue_ptr 0
		.amdhsa_user_sgpr_kernarg_segment_ptr 1
		.amdhsa_user_sgpr_dispatch_id 0
		.amdhsa_user_sgpr_private_segment_size 0
		.amdhsa_wavefront_size32 1
		.amdhsa_uses_dynamic_stack 0
		.amdhsa_enable_private_segment 0
		.amdhsa_system_sgpr_workgroup_id_x 1
		.amdhsa_system_sgpr_workgroup_id_y 0
		.amdhsa_system_sgpr_workgroup_id_z 0
		.amdhsa_system_sgpr_workgroup_info 0
		.amdhsa_system_vgpr_workitem_id 0
		.amdhsa_next_free_vgpr 1
		.amdhsa_next_free_sgpr 1
		.amdhsa_reserve_vcc 0
		.amdhsa_float_round_mode_32 0
		.amdhsa_float_round_mode_16_64 0
		.amdhsa_float_denorm_mode_32 3
		.amdhsa_float_denorm_mode_16_64 3
		.amdhsa_fp16_overflow 0
		.amdhsa_workgroup_processor_mode 1
		.amdhsa_memory_ordered 1
		.amdhsa_forward_progress 1
		.amdhsa_inst_pref_size 0
		.amdhsa_round_robin_scheduling 0
		.amdhsa_exception_fp_ieee_invalid_op 0
		.amdhsa_exception_fp_denorm_src 0
		.amdhsa_exception_fp_ieee_div_zero 0
		.amdhsa_exception_fp_ieee_overflow 0
		.amdhsa_exception_fp_ieee_underflow 0
		.amdhsa_exception_fp_ieee_inexact 0
		.amdhsa_exception_int_div_zero 0
	.end_amdhsa_kernel
	.section	.text._ZN7rocprim17ROCPRIM_400000_NS6detail17trampoline_kernelINS0_14default_configENS1_25partition_config_selectorILNS1_17partition_subalgoE5EiNS0_10empty_typeEbEEZZNS1_14partition_implILS5_5ELb0ES3_mN6thrust23THRUST_200600_302600_NS6detail15normal_iteratorINSA_10device_ptrIiEEEEPS6_NSA_18transform_iteratorINSB_9not_fun_tINSA_8identityIiEEEESF_NSA_11use_defaultESM_EENS0_5tupleIJSF_S6_EEENSO_IJSG_SG_EEES6_PlJS6_EEE10hipError_tPvRmT3_T4_T5_T6_T7_T9_mT8_P12ihipStream_tbDpT10_ENKUlT_T0_E_clISt17integral_constantIbLb1EES1A_IbLb0EEEEDaS16_S17_EUlS16_E_NS1_11comp_targetILNS1_3genE3ELNS1_11target_archE908ELNS1_3gpuE7ELNS1_3repE0EEENS1_30default_config_static_selectorELNS0_4arch9wavefront6targetE0EEEvT1_,"axG",@progbits,_ZN7rocprim17ROCPRIM_400000_NS6detail17trampoline_kernelINS0_14default_configENS1_25partition_config_selectorILNS1_17partition_subalgoE5EiNS0_10empty_typeEbEEZZNS1_14partition_implILS5_5ELb0ES3_mN6thrust23THRUST_200600_302600_NS6detail15normal_iteratorINSA_10device_ptrIiEEEEPS6_NSA_18transform_iteratorINSB_9not_fun_tINSA_8identityIiEEEESF_NSA_11use_defaultESM_EENS0_5tupleIJSF_S6_EEENSO_IJSG_SG_EEES6_PlJS6_EEE10hipError_tPvRmT3_T4_T5_T6_T7_T9_mT8_P12ihipStream_tbDpT10_ENKUlT_T0_E_clISt17integral_constantIbLb1EES1A_IbLb0EEEEDaS16_S17_EUlS16_E_NS1_11comp_targetILNS1_3genE3ELNS1_11target_archE908ELNS1_3gpuE7ELNS1_3repE0EEENS1_30default_config_static_selectorELNS0_4arch9wavefront6targetE0EEEvT1_,comdat
.Lfunc_end1000:
	.size	_ZN7rocprim17ROCPRIM_400000_NS6detail17trampoline_kernelINS0_14default_configENS1_25partition_config_selectorILNS1_17partition_subalgoE5EiNS0_10empty_typeEbEEZZNS1_14partition_implILS5_5ELb0ES3_mN6thrust23THRUST_200600_302600_NS6detail15normal_iteratorINSA_10device_ptrIiEEEEPS6_NSA_18transform_iteratorINSB_9not_fun_tINSA_8identityIiEEEESF_NSA_11use_defaultESM_EENS0_5tupleIJSF_S6_EEENSO_IJSG_SG_EEES6_PlJS6_EEE10hipError_tPvRmT3_T4_T5_T6_T7_T9_mT8_P12ihipStream_tbDpT10_ENKUlT_T0_E_clISt17integral_constantIbLb1EES1A_IbLb0EEEEDaS16_S17_EUlS16_E_NS1_11comp_targetILNS1_3genE3ELNS1_11target_archE908ELNS1_3gpuE7ELNS1_3repE0EEENS1_30default_config_static_selectorELNS0_4arch9wavefront6targetE0EEEvT1_, .Lfunc_end1000-_ZN7rocprim17ROCPRIM_400000_NS6detail17trampoline_kernelINS0_14default_configENS1_25partition_config_selectorILNS1_17partition_subalgoE5EiNS0_10empty_typeEbEEZZNS1_14partition_implILS5_5ELb0ES3_mN6thrust23THRUST_200600_302600_NS6detail15normal_iteratorINSA_10device_ptrIiEEEEPS6_NSA_18transform_iteratorINSB_9not_fun_tINSA_8identityIiEEEESF_NSA_11use_defaultESM_EENS0_5tupleIJSF_S6_EEENSO_IJSG_SG_EEES6_PlJS6_EEE10hipError_tPvRmT3_T4_T5_T6_T7_T9_mT8_P12ihipStream_tbDpT10_ENKUlT_T0_E_clISt17integral_constantIbLb1EES1A_IbLb0EEEEDaS16_S17_EUlS16_E_NS1_11comp_targetILNS1_3genE3ELNS1_11target_archE908ELNS1_3gpuE7ELNS1_3repE0EEENS1_30default_config_static_selectorELNS0_4arch9wavefront6targetE0EEEvT1_
                                        ; -- End function
	.set _ZN7rocprim17ROCPRIM_400000_NS6detail17trampoline_kernelINS0_14default_configENS1_25partition_config_selectorILNS1_17partition_subalgoE5EiNS0_10empty_typeEbEEZZNS1_14partition_implILS5_5ELb0ES3_mN6thrust23THRUST_200600_302600_NS6detail15normal_iteratorINSA_10device_ptrIiEEEEPS6_NSA_18transform_iteratorINSB_9not_fun_tINSA_8identityIiEEEESF_NSA_11use_defaultESM_EENS0_5tupleIJSF_S6_EEENSO_IJSG_SG_EEES6_PlJS6_EEE10hipError_tPvRmT3_T4_T5_T6_T7_T9_mT8_P12ihipStream_tbDpT10_ENKUlT_T0_E_clISt17integral_constantIbLb1EES1A_IbLb0EEEEDaS16_S17_EUlS16_E_NS1_11comp_targetILNS1_3genE3ELNS1_11target_archE908ELNS1_3gpuE7ELNS1_3repE0EEENS1_30default_config_static_selectorELNS0_4arch9wavefront6targetE0EEEvT1_.num_vgpr, 0
	.set _ZN7rocprim17ROCPRIM_400000_NS6detail17trampoline_kernelINS0_14default_configENS1_25partition_config_selectorILNS1_17partition_subalgoE5EiNS0_10empty_typeEbEEZZNS1_14partition_implILS5_5ELb0ES3_mN6thrust23THRUST_200600_302600_NS6detail15normal_iteratorINSA_10device_ptrIiEEEEPS6_NSA_18transform_iteratorINSB_9not_fun_tINSA_8identityIiEEEESF_NSA_11use_defaultESM_EENS0_5tupleIJSF_S6_EEENSO_IJSG_SG_EEES6_PlJS6_EEE10hipError_tPvRmT3_T4_T5_T6_T7_T9_mT8_P12ihipStream_tbDpT10_ENKUlT_T0_E_clISt17integral_constantIbLb1EES1A_IbLb0EEEEDaS16_S17_EUlS16_E_NS1_11comp_targetILNS1_3genE3ELNS1_11target_archE908ELNS1_3gpuE7ELNS1_3repE0EEENS1_30default_config_static_selectorELNS0_4arch9wavefront6targetE0EEEvT1_.num_agpr, 0
	.set _ZN7rocprim17ROCPRIM_400000_NS6detail17trampoline_kernelINS0_14default_configENS1_25partition_config_selectorILNS1_17partition_subalgoE5EiNS0_10empty_typeEbEEZZNS1_14partition_implILS5_5ELb0ES3_mN6thrust23THRUST_200600_302600_NS6detail15normal_iteratorINSA_10device_ptrIiEEEEPS6_NSA_18transform_iteratorINSB_9not_fun_tINSA_8identityIiEEEESF_NSA_11use_defaultESM_EENS0_5tupleIJSF_S6_EEENSO_IJSG_SG_EEES6_PlJS6_EEE10hipError_tPvRmT3_T4_T5_T6_T7_T9_mT8_P12ihipStream_tbDpT10_ENKUlT_T0_E_clISt17integral_constantIbLb1EES1A_IbLb0EEEEDaS16_S17_EUlS16_E_NS1_11comp_targetILNS1_3genE3ELNS1_11target_archE908ELNS1_3gpuE7ELNS1_3repE0EEENS1_30default_config_static_selectorELNS0_4arch9wavefront6targetE0EEEvT1_.numbered_sgpr, 0
	.set _ZN7rocprim17ROCPRIM_400000_NS6detail17trampoline_kernelINS0_14default_configENS1_25partition_config_selectorILNS1_17partition_subalgoE5EiNS0_10empty_typeEbEEZZNS1_14partition_implILS5_5ELb0ES3_mN6thrust23THRUST_200600_302600_NS6detail15normal_iteratorINSA_10device_ptrIiEEEEPS6_NSA_18transform_iteratorINSB_9not_fun_tINSA_8identityIiEEEESF_NSA_11use_defaultESM_EENS0_5tupleIJSF_S6_EEENSO_IJSG_SG_EEES6_PlJS6_EEE10hipError_tPvRmT3_T4_T5_T6_T7_T9_mT8_P12ihipStream_tbDpT10_ENKUlT_T0_E_clISt17integral_constantIbLb1EES1A_IbLb0EEEEDaS16_S17_EUlS16_E_NS1_11comp_targetILNS1_3genE3ELNS1_11target_archE908ELNS1_3gpuE7ELNS1_3repE0EEENS1_30default_config_static_selectorELNS0_4arch9wavefront6targetE0EEEvT1_.num_named_barrier, 0
	.set _ZN7rocprim17ROCPRIM_400000_NS6detail17trampoline_kernelINS0_14default_configENS1_25partition_config_selectorILNS1_17partition_subalgoE5EiNS0_10empty_typeEbEEZZNS1_14partition_implILS5_5ELb0ES3_mN6thrust23THRUST_200600_302600_NS6detail15normal_iteratorINSA_10device_ptrIiEEEEPS6_NSA_18transform_iteratorINSB_9not_fun_tINSA_8identityIiEEEESF_NSA_11use_defaultESM_EENS0_5tupleIJSF_S6_EEENSO_IJSG_SG_EEES6_PlJS6_EEE10hipError_tPvRmT3_T4_T5_T6_T7_T9_mT8_P12ihipStream_tbDpT10_ENKUlT_T0_E_clISt17integral_constantIbLb1EES1A_IbLb0EEEEDaS16_S17_EUlS16_E_NS1_11comp_targetILNS1_3genE3ELNS1_11target_archE908ELNS1_3gpuE7ELNS1_3repE0EEENS1_30default_config_static_selectorELNS0_4arch9wavefront6targetE0EEEvT1_.private_seg_size, 0
	.set _ZN7rocprim17ROCPRIM_400000_NS6detail17trampoline_kernelINS0_14default_configENS1_25partition_config_selectorILNS1_17partition_subalgoE5EiNS0_10empty_typeEbEEZZNS1_14partition_implILS5_5ELb0ES3_mN6thrust23THRUST_200600_302600_NS6detail15normal_iteratorINSA_10device_ptrIiEEEEPS6_NSA_18transform_iteratorINSB_9not_fun_tINSA_8identityIiEEEESF_NSA_11use_defaultESM_EENS0_5tupleIJSF_S6_EEENSO_IJSG_SG_EEES6_PlJS6_EEE10hipError_tPvRmT3_T4_T5_T6_T7_T9_mT8_P12ihipStream_tbDpT10_ENKUlT_T0_E_clISt17integral_constantIbLb1EES1A_IbLb0EEEEDaS16_S17_EUlS16_E_NS1_11comp_targetILNS1_3genE3ELNS1_11target_archE908ELNS1_3gpuE7ELNS1_3repE0EEENS1_30default_config_static_selectorELNS0_4arch9wavefront6targetE0EEEvT1_.uses_vcc, 0
	.set _ZN7rocprim17ROCPRIM_400000_NS6detail17trampoline_kernelINS0_14default_configENS1_25partition_config_selectorILNS1_17partition_subalgoE5EiNS0_10empty_typeEbEEZZNS1_14partition_implILS5_5ELb0ES3_mN6thrust23THRUST_200600_302600_NS6detail15normal_iteratorINSA_10device_ptrIiEEEEPS6_NSA_18transform_iteratorINSB_9not_fun_tINSA_8identityIiEEEESF_NSA_11use_defaultESM_EENS0_5tupleIJSF_S6_EEENSO_IJSG_SG_EEES6_PlJS6_EEE10hipError_tPvRmT3_T4_T5_T6_T7_T9_mT8_P12ihipStream_tbDpT10_ENKUlT_T0_E_clISt17integral_constantIbLb1EES1A_IbLb0EEEEDaS16_S17_EUlS16_E_NS1_11comp_targetILNS1_3genE3ELNS1_11target_archE908ELNS1_3gpuE7ELNS1_3repE0EEENS1_30default_config_static_selectorELNS0_4arch9wavefront6targetE0EEEvT1_.uses_flat_scratch, 0
	.set _ZN7rocprim17ROCPRIM_400000_NS6detail17trampoline_kernelINS0_14default_configENS1_25partition_config_selectorILNS1_17partition_subalgoE5EiNS0_10empty_typeEbEEZZNS1_14partition_implILS5_5ELb0ES3_mN6thrust23THRUST_200600_302600_NS6detail15normal_iteratorINSA_10device_ptrIiEEEEPS6_NSA_18transform_iteratorINSB_9not_fun_tINSA_8identityIiEEEESF_NSA_11use_defaultESM_EENS0_5tupleIJSF_S6_EEENSO_IJSG_SG_EEES6_PlJS6_EEE10hipError_tPvRmT3_T4_T5_T6_T7_T9_mT8_P12ihipStream_tbDpT10_ENKUlT_T0_E_clISt17integral_constantIbLb1EES1A_IbLb0EEEEDaS16_S17_EUlS16_E_NS1_11comp_targetILNS1_3genE3ELNS1_11target_archE908ELNS1_3gpuE7ELNS1_3repE0EEENS1_30default_config_static_selectorELNS0_4arch9wavefront6targetE0EEEvT1_.has_dyn_sized_stack, 0
	.set _ZN7rocprim17ROCPRIM_400000_NS6detail17trampoline_kernelINS0_14default_configENS1_25partition_config_selectorILNS1_17partition_subalgoE5EiNS0_10empty_typeEbEEZZNS1_14partition_implILS5_5ELb0ES3_mN6thrust23THRUST_200600_302600_NS6detail15normal_iteratorINSA_10device_ptrIiEEEEPS6_NSA_18transform_iteratorINSB_9not_fun_tINSA_8identityIiEEEESF_NSA_11use_defaultESM_EENS0_5tupleIJSF_S6_EEENSO_IJSG_SG_EEES6_PlJS6_EEE10hipError_tPvRmT3_T4_T5_T6_T7_T9_mT8_P12ihipStream_tbDpT10_ENKUlT_T0_E_clISt17integral_constantIbLb1EES1A_IbLb0EEEEDaS16_S17_EUlS16_E_NS1_11comp_targetILNS1_3genE3ELNS1_11target_archE908ELNS1_3gpuE7ELNS1_3repE0EEENS1_30default_config_static_selectorELNS0_4arch9wavefront6targetE0EEEvT1_.has_recursion, 0
	.set _ZN7rocprim17ROCPRIM_400000_NS6detail17trampoline_kernelINS0_14default_configENS1_25partition_config_selectorILNS1_17partition_subalgoE5EiNS0_10empty_typeEbEEZZNS1_14partition_implILS5_5ELb0ES3_mN6thrust23THRUST_200600_302600_NS6detail15normal_iteratorINSA_10device_ptrIiEEEEPS6_NSA_18transform_iteratorINSB_9not_fun_tINSA_8identityIiEEEESF_NSA_11use_defaultESM_EENS0_5tupleIJSF_S6_EEENSO_IJSG_SG_EEES6_PlJS6_EEE10hipError_tPvRmT3_T4_T5_T6_T7_T9_mT8_P12ihipStream_tbDpT10_ENKUlT_T0_E_clISt17integral_constantIbLb1EES1A_IbLb0EEEEDaS16_S17_EUlS16_E_NS1_11comp_targetILNS1_3genE3ELNS1_11target_archE908ELNS1_3gpuE7ELNS1_3repE0EEENS1_30default_config_static_selectorELNS0_4arch9wavefront6targetE0EEEvT1_.has_indirect_call, 0
	.section	.AMDGPU.csdata,"",@progbits
; Kernel info:
; codeLenInByte = 0
; TotalNumSgprs: 0
; NumVgprs: 0
; ScratchSize: 0
; MemoryBound: 0
; FloatMode: 240
; IeeeMode: 1
; LDSByteSize: 0 bytes/workgroup (compile time only)
; SGPRBlocks: 0
; VGPRBlocks: 0
; NumSGPRsForWavesPerEU: 1
; NumVGPRsForWavesPerEU: 1
; Occupancy: 16
; WaveLimiterHint : 0
; COMPUTE_PGM_RSRC2:SCRATCH_EN: 0
; COMPUTE_PGM_RSRC2:USER_SGPR: 2
; COMPUTE_PGM_RSRC2:TRAP_HANDLER: 0
; COMPUTE_PGM_RSRC2:TGID_X_EN: 1
; COMPUTE_PGM_RSRC2:TGID_Y_EN: 0
; COMPUTE_PGM_RSRC2:TGID_Z_EN: 0
; COMPUTE_PGM_RSRC2:TIDIG_COMP_CNT: 0
	.section	.text._ZN7rocprim17ROCPRIM_400000_NS6detail17trampoline_kernelINS0_14default_configENS1_25partition_config_selectorILNS1_17partition_subalgoE5EiNS0_10empty_typeEbEEZZNS1_14partition_implILS5_5ELb0ES3_mN6thrust23THRUST_200600_302600_NS6detail15normal_iteratorINSA_10device_ptrIiEEEEPS6_NSA_18transform_iteratorINSB_9not_fun_tINSA_8identityIiEEEESF_NSA_11use_defaultESM_EENS0_5tupleIJSF_S6_EEENSO_IJSG_SG_EEES6_PlJS6_EEE10hipError_tPvRmT3_T4_T5_T6_T7_T9_mT8_P12ihipStream_tbDpT10_ENKUlT_T0_E_clISt17integral_constantIbLb1EES1A_IbLb0EEEEDaS16_S17_EUlS16_E_NS1_11comp_targetILNS1_3genE2ELNS1_11target_archE906ELNS1_3gpuE6ELNS1_3repE0EEENS1_30default_config_static_selectorELNS0_4arch9wavefront6targetE0EEEvT1_,"axG",@progbits,_ZN7rocprim17ROCPRIM_400000_NS6detail17trampoline_kernelINS0_14default_configENS1_25partition_config_selectorILNS1_17partition_subalgoE5EiNS0_10empty_typeEbEEZZNS1_14partition_implILS5_5ELb0ES3_mN6thrust23THRUST_200600_302600_NS6detail15normal_iteratorINSA_10device_ptrIiEEEEPS6_NSA_18transform_iteratorINSB_9not_fun_tINSA_8identityIiEEEESF_NSA_11use_defaultESM_EENS0_5tupleIJSF_S6_EEENSO_IJSG_SG_EEES6_PlJS6_EEE10hipError_tPvRmT3_T4_T5_T6_T7_T9_mT8_P12ihipStream_tbDpT10_ENKUlT_T0_E_clISt17integral_constantIbLb1EES1A_IbLb0EEEEDaS16_S17_EUlS16_E_NS1_11comp_targetILNS1_3genE2ELNS1_11target_archE906ELNS1_3gpuE6ELNS1_3repE0EEENS1_30default_config_static_selectorELNS0_4arch9wavefront6targetE0EEEvT1_,comdat
	.protected	_ZN7rocprim17ROCPRIM_400000_NS6detail17trampoline_kernelINS0_14default_configENS1_25partition_config_selectorILNS1_17partition_subalgoE5EiNS0_10empty_typeEbEEZZNS1_14partition_implILS5_5ELb0ES3_mN6thrust23THRUST_200600_302600_NS6detail15normal_iteratorINSA_10device_ptrIiEEEEPS6_NSA_18transform_iteratorINSB_9not_fun_tINSA_8identityIiEEEESF_NSA_11use_defaultESM_EENS0_5tupleIJSF_S6_EEENSO_IJSG_SG_EEES6_PlJS6_EEE10hipError_tPvRmT3_T4_T5_T6_T7_T9_mT8_P12ihipStream_tbDpT10_ENKUlT_T0_E_clISt17integral_constantIbLb1EES1A_IbLb0EEEEDaS16_S17_EUlS16_E_NS1_11comp_targetILNS1_3genE2ELNS1_11target_archE906ELNS1_3gpuE6ELNS1_3repE0EEENS1_30default_config_static_selectorELNS0_4arch9wavefront6targetE0EEEvT1_ ; -- Begin function _ZN7rocprim17ROCPRIM_400000_NS6detail17trampoline_kernelINS0_14default_configENS1_25partition_config_selectorILNS1_17partition_subalgoE5EiNS0_10empty_typeEbEEZZNS1_14partition_implILS5_5ELb0ES3_mN6thrust23THRUST_200600_302600_NS6detail15normal_iteratorINSA_10device_ptrIiEEEEPS6_NSA_18transform_iteratorINSB_9not_fun_tINSA_8identityIiEEEESF_NSA_11use_defaultESM_EENS0_5tupleIJSF_S6_EEENSO_IJSG_SG_EEES6_PlJS6_EEE10hipError_tPvRmT3_T4_T5_T6_T7_T9_mT8_P12ihipStream_tbDpT10_ENKUlT_T0_E_clISt17integral_constantIbLb1EES1A_IbLb0EEEEDaS16_S17_EUlS16_E_NS1_11comp_targetILNS1_3genE2ELNS1_11target_archE906ELNS1_3gpuE6ELNS1_3repE0EEENS1_30default_config_static_selectorELNS0_4arch9wavefront6targetE0EEEvT1_
	.globl	_ZN7rocprim17ROCPRIM_400000_NS6detail17trampoline_kernelINS0_14default_configENS1_25partition_config_selectorILNS1_17partition_subalgoE5EiNS0_10empty_typeEbEEZZNS1_14partition_implILS5_5ELb0ES3_mN6thrust23THRUST_200600_302600_NS6detail15normal_iteratorINSA_10device_ptrIiEEEEPS6_NSA_18transform_iteratorINSB_9not_fun_tINSA_8identityIiEEEESF_NSA_11use_defaultESM_EENS0_5tupleIJSF_S6_EEENSO_IJSG_SG_EEES6_PlJS6_EEE10hipError_tPvRmT3_T4_T5_T6_T7_T9_mT8_P12ihipStream_tbDpT10_ENKUlT_T0_E_clISt17integral_constantIbLb1EES1A_IbLb0EEEEDaS16_S17_EUlS16_E_NS1_11comp_targetILNS1_3genE2ELNS1_11target_archE906ELNS1_3gpuE6ELNS1_3repE0EEENS1_30default_config_static_selectorELNS0_4arch9wavefront6targetE0EEEvT1_
	.p2align	8
	.type	_ZN7rocprim17ROCPRIM_400000_NS6detail17trampoline_kernelINS0_14default_configENS1_25partition_config_selectorILNS1_17partition_subalgoE5EiNS0_10empty_typeEbEEZZNS1_14partition_implILS5_5ELb0ES3_mN6thrust23THRUST_200600_302600_NS6detail15normal_iteratorINSA_10device_ptrIiEEEEPS6_NSA_18transform_iteratorINSB_9not_fun_tINSA_8identityIiEEEESF_NSA_11use_defaultESM_EENS0_5tupleIJSF_S6_EEENSO_IJSG_SG_EEES6_PlJS6_EEE10hipError_tPvRmT3_T4_T5_T6_T7_T9_mT8_P12ihipStream_tbDpT10_ENKUlT_T0_E_clISt17integral_constantIbLb1EES1A_IbLb0EEEEDaS16_S17_EUlS16_E_NS1_11comp_targetILNS1_3genE2ELNS1_11target_archE906ELNS1_3gpuE6ELNS1_3repE0EEENS1_30default_config_static_selectorELNS0_4arch9wavefront6targetE0EEEvT1_,@function
_ZN7rocprim17ROCPRIM_400000_NS6detail17trampoline_kernelINS0_14default_configENS1_25partition_config_selectorILNS1_17partition_subalgoE5EiNS0_10empty_typeEbEEZZNS1_14partition_implILS5_5ELb0ES3_mN6thrust23THRUST_200600_302600_NS6detail15normal_iteratorINSA_10device_ptrIiEEEEPS6_NSA_18transform_iteratorINSB_9not_fun_tINSA_8identityIiEEEESF_NSA_11use_defaultESM_EENS0_5tupleIJSF_S6_EEENSO_IJSG_SG_EEES6_PlJS6_EEE10hipError_tPvRmT3_T4_T5_T6_T7_T9_mT8_P12ihipStream_tbDpT10_ENKUlT_T0_E_clISt17integral_constantIbLb1EES1A_IbLb0EEEEDaS16_S17_EUlS16_E_NS1_11comp_targetILNS1_3genE2ELNS1_11target_archE906ELNS1_3gpuE6ELNS1_3repE0EEENS1_30default_config_static_selectorELNS0_4arch9wavefront6targetE0EEEvT1_: ; @_ZN7rocprim17ROCPRIM_400000_NS6detail17trampoline_kernelINS0_14default_configENS1_25partition_config_selectorILNS1_17partition_subalgoE5EiNS0_10empty_typeEbEEZZNS1_14partition_implILS5_5ELb0ES3_mN6thrust23THRUST_200600_302600_NS6detail15normal_iteratorINSA_10device_ptrIiEEEEPS6_NSA_18transform_iteratorINSB_9not_fun_tINSA_8identityIiEEEESF_NSA_11use_defaultESM_EENS0_5tupleIJSF_S6_EEENSO_IJSG_SG_EEES6_PlJS6_EEE10hipError_tPvRmT3_T4_T5_T6_T7_T9_mT8_P12ihipStream_tbDpT10_ENKUlT_T0_E_clISt17integral_constantIbLb1EES1A_IbLb0EEEEDaS16_S17_EUlS16_E_NS1_11comp_targetILNS1_3genE2ELNS1_11target_archE906ELNS1_3gpuE6ELNS1_3repE0EEENS1_30default_config_static_selectorELNS0_4arch9wavefront6targetE0EEEvT1_
; %bb.0:
	.section	.rodata,"a",@progbits
	.p2align	6, 0x0
	.amdhsa_kernel _ZN7rocprim17ROCPRIM_400000_NS6detail17trampoline_kernelINS0_14default_configENS1_25partition_config_selectorILNS1_17partition_subalgoE5EiNS0_10empty_typeEbEEZZNS1_14partition_implILS5_5ELb0ES3_mN6thrust23THRUST_200600_302600_NS6detail15normal_iteratorINSA_10device_ptrIiEEEEPS6_NSA_18transform_iteratorINSB_9not_fun_tINSA_8identityIiEEEESF_NSA_11use_defaultESM_EENS0_5tupleIJSF_S6_EEENSO_IJSG_SG_EEES6_PlJS6_EEE10hipError_tPvRmT3_T4_T5_T6_T7_T9_mT8_P12ihipStream_tbDpT10_ENKUlT_T0_E_clISt17integral_constantIbLb1EES1A_IbLb0EEEEDaS16_S17_EUlS16_E_NS1_11comp_targetILNS1_3genE2ELNS1_11target_archE906ELNS1_3gpuE6ELNS1_3repE0EEENS1_30default_config_static_selectorELNS0_4arch9wavefront6targetE0EEEvT1_
		.amdhsa_group_segment_fixed_size 0
		.amdhsa_private_segment_fixed_size 0
		.amdhsa_kernarg_size 120
		.amdhsa_user_sgpr_count 2
		.amdhsa_user_sgpr_dispatch_ptr 0
		.amdhsa_user_sgpr_queue_ptr 0
		.amdhsa_user_sgpr_kernarg_segment_ptr 1
		.amdhsa_user_sgpr_dispatch_id 0
		.amdhsa_user_sgpr_private_segment_size 0
		.amdhsa_wavefront_size32 1
		.amdhsa_uses_dynamic_stack 0
		.amdhsa_enable_private_segment 0
		.amdhsa_system_sgpr_workgroup_id_x 1
		.amdhsa_system_sgpr_workgroup_id_y 0
		.amdhsa_system_sgpr_workgroup_id_z 0
		.amdhsa_system_sgpr_workgroup_info 0
		.amdhsa_system_vgpr_workitem_id 0
		.amdhsa_next_free_vgpr 1
		.amdhsa_next_free_sgpr 1
		.amdhsa_reserve_vcc 0
		.amdhsa_float_round_mode_32 0
		.amdhsa_float_round_mode_16_64 0
		.amdhsa_float_denorm_mode_32 3
		.amdhsa_float_denorm_mode_16_64 3
		.amdhsa_fp16_overflow 0
		.amdhsa_workgroup_processor_mode 1
		.amdhsa_memory_ordered 1
		.amdhsa_forward_progress 1
		.amdhsa_inst_pref_size 0
		.amdhsa_round_robin_scheduling 0
		.amdhsa_exception_fp_ieee_invalid_op 0
		.amdhsa_exception_fp_denorm_src 0
		.amdhsa_exception_fp_ieee_div_zero 0
		.amdhsa_exception_fp_ieee_overflow 0
		.amdhsa_exception_fp_ieee_underflow 0
		.amdhsa_exception_fp_ieee_inexact 0
		.amdhsa_exception_int_div_zero 0
	.end_amdhsa_kernel
	.section	.text._ZN7rocprim17ROCPRIM_400000_NS6detail17trampoline_kernelINS0_14default_configENS1_25partition_config_selectorILNS1_17partition_subalgoE5EiNS0_10empty_typeEbEEZZNS1_14partition_implILS5_5ELb0ES3_mN6thrust23THRUST_200600_302600_NS6detail15normal_iteratorINSA_10device_ptrIiEEEEPS6_NSA_18transform_iteratorINSB_9not_fun_tINSA_8identityIiEEEESF_NSA_11use_defaultESM_EENS0_5tupleIJSF_S6_EEENSO_IJSG_SG_EEES6_PlJS6_EEE10hipError_tPvRmT3_T4_T5_T6_T7_T9_mT8_P12ihipStream_tbDpT10_ENKUlT_T0_E_clISt17integral_constantIbLb1EES1A_IbLb0EEEEDaS16_S17_EUlS16_E_NS1_11comp_targetILNS1_3genE2ELNS1_11target_archE906ELNS1_3gpuE6ELNS1_3repE0EEENS1_30default_config_static_selectorELNS0_4arch9wavefront6targetE0EEEvT1_,"axG",@progbits,_ZN7rocprim17ROCPRIM_400000_NS6detail17trampoline_kernelINS0_14default_configENS1_25partition_config_selectorILNS1_17partition_subalgoE5EiNS0_10empty_typeEbEEZZNS1_14partition_implILS5_5ELb0ES3_mN6thrust23THRUST_200600_302600_NS6detail15normal_iteratorINSA_10device_ptrIiEEEEPS6_NSA_18transform_iteratorINSB_9not_fun_tINSA_8identityIiEEEESF_NSA_11use_defaultESM_EENS0_5tupleIJSF_S6_EEENSO_IJSG_SG_EEES6_PlJS6_EEE10hipError_tPvRmT3_T4_T5_T6_T7_T9_mT8_P12ihipStream_tbDpT10_ENKUlT_T0_E_clISt17integral_constantIbLb1EES1A_IbLb0EEEEDaS16_S17_EUlS16_E_NS1_11comp_targetILNS1_3genE2ELNS1_11target_archE906ELNS1_3gpuE6ELNS1_3repE0EEENS1_30default_config_static_selectorELNS0_4arch9wavefront6targetE0EEEvT1_,comdat
.Lfunc_end1001:
	.size	_ZN7rocprim17ROCPRIM_400000_NS6detail17trampoline_kernelINS0_14default_configENS1_25partition_config_selectorILNS1_17partition_subalgoE5EiNS0_10empty_typeEbEEZZNS1_14partition_implILS5_5ELb0ES3_mN6thrust23THRUST_200600_302600_NS6detail15normal_iteratorINSA_10device_ptrIiEEEEPS6_NSA_18transform_iteratorINSB_9not_fun_tINSA_8identityIiEEEESF_NSA_11use_defaultESM_EENS0_5tupleIJSF_S6_EEENSO_IJSG_SG_EEES6_PlJS6_EEE10hipError_tPvRmT3_T4_T5_T6_T7_T9_mT8_P12ihipStream_tbDpT10_ENKUlT_T0_E_clISt17integral_constantIbLb1EES1A_IbLb0EEEEDaS16_S17_EUlS16_E_NS1_11comp_targetILNS1_3genE2ELNS1_11target_archE906ELNS1_3gpuE6ELNS1_3repE0EEENS1_30default_config_static_selectorELNS0_4arch9wavefront6targetE0EEEvT1_, .Lfunc_end1001-_ZN7rocprim17ROCPRIM_400000_NS6detail17trampoline_kernelINS0_14default_configENS1_25partition_config_selectorILNS1_17partition_subalgoE5EiNS0_10empty_typeEbEEZZNS1_14partition_implILS5_5ELb0ES3_mN6thrust23THRUST_200600_302600_NS6detail15normal_iteratorINSA_10device_ptrIiEEEEPS6_NSA_18transform_iteratorINSB_9not_fun_tINSA_8identityIiEEEESF_NSA_11use_defaultESM_EENS0_5tupleIJSF_S6_EEENSO_IJSG_SG_EEES6_PlJS6_EEE10hipError_tPvRmT3_T4_T5_T6_T7_T9_mT8_P12ihipStream_tbDpT10_ENKUlT_T0_E_clISt17integral_constantIbLb1EES1A_IbLb0EEEEDaS16_S17_EUlS16_E_NS1_11comp_targetILNS1_3genE2ELNS1_11target_archE906ELNS1_3gpuE6ELNS1_3repE0EEENS1_30default_config_static_selectorELNS0_4arch9wavefront6targetE0EEEvT1_
                                        ; -- End function
	.set _ZN7rocprim17ROCPRIM_400000_NS6detail17trampoline_kernelINS0_14default_configENS1_25partition_config_selectorILNS1_17partition_subalgoE5EiNS0_10empty_typeEbEEZZNS1_14partition_implILS5_5ELb0ES3_mN6thrust23THRUST_200600_302600_NS6detail15normal_iteratorINSA_10device_ptrIiEEEEPS6_NSA_18transform_iteratorINSB_9not_fun_tINSA_8identityIiEEEESF_NSA_11use_defaultESM_EENS0_5tupleIJSF_S6_EEENSO_IJSG_SG_EEES6_PlJS6_EEE10hipError_tPvRmT3_T4_T5_T6_T7_T9_mT8_P12ihipStream_tbDpT10_ENKUlT_T0_E_clISt17integral_constantIbLb1EES1A_IbLb0EEEEDaS16_S17_EUlS16_E_NS1_11comp_targetILNS1_3genE2ELNS1_11target_archE906ELNS1_3gpuE6ELNS1_3repE0EEENS1_30default_config_static_selectorELNS0_4arch9wavefront6targetE0EEEvT1_.num_vgpr, 0
	.set _ZN7rocprim17ROCPRIM_400000_NS6detail17trampoline_kernelINS0_14default_configENS1_25partition_config_selectorILNS1_17partition_subalgoE5EiNS0_10empty_typeEbEEZZNS1_14partition_implILS5_5ELb0ES3_mN6thrust23THRUST_200600_302600_NS6detail15normal_iteratorINSA_10device_ptrIiEEEEPS6_NSA_18transform_iteratorINSB_9not_fun_tINSA_8identityIiEEEESF_NSA_11use_defaultESM_EENS0_5tupleIJSF_S6_EEENSO_IJSG_SG_EEES6_PlJS6_EEE10hipError_tPvRmT3_T4_T5_T6_T7_T9_mT8_P12ihipStream_tbDpT10_ENKUlT_T0_E_clISt17integral_constantIbLb1EES1A_IbLb0EEEEDaS16_S17_EUlS16_E_NS1_11comp_targetILNS1_3genE2ELNS1_11target_archE906ELNS1_3gpuE6ELNS1_3repE0EEENS1_30default_config_static_selectorELNS0_4arch9wavefront6targetE0EEEvT1_.num_agpr, 0
	.set _ZN7rocprim17ROCPRIM_400000_NS6detail17trampoline_kernelINS0_14default_configENS1_25partition_config_selectorILNS1_17partition_subalgoE5EiNS0_10empty_typeEbEEZZNS1_14partition_implILS5_5ELb0ES3_mN6thrust23THRUST_200600_302600_NS6detail15normal_iteratorINSA_10device_ptrIiEEEEPS6_NSA_18transform_iteratorINSB_9not_fun_tINSA_8identityIiEEEESF_NSA_11use_defaultESM_EENS0_5tupleIJSF_S6_EEENSO_IJSG_SG_EEES6_PlJS6_EEE10hipError_tPvRmT3_T4_T5_T6_T7_T9_mT8_P12ihipStream_tbDpT10_ENKUlT_T0_E_clISt17integral_constantIbLb1EES1A_IbLb0EEEEDaS16_S17_EUlS16_E_NS1_11comp_targetILNS1_3genE2ELNS1_11target_archE906ELNS1_3gpuE6ELNS1_3repE0EEENS1_30default_config_static_selectorELNS0_4arch9wavefront6targetE0EEEvT1_.numbered_sgpr, 0
	.set _ZN7rocprim17ROCPRIM_400000_NS6detail17trampoline_kernelINS0_14default_configENS1_25partition_config_selectorILNS1_17partition_subalgoE5EiNS0_10empty_typeEbEEZZNS1_14partition_implILS5_5ELb0ES3_mN6thrust23THRUST_200600_302600_NS6detail15normal_iteratorINSA_10device_ptrIiEEEEPS6_NSA_18transform_iteratorINSB_9not_fun_tINSA_8identityIiEEEESF_NSA_11use_defaultESM_EENS0_5tupleIJSF_S6_EEENSO_IJSG_SG_EEES6_PlJS6_EEE10hipError_tPvRmT3_T4_T5_T6_T7_T9_mT8_P12ihipStream_tbDpT10_ENKUlT_T0_E_clISt17integral_constantIbLb1EES1A_IbLb0EEEEDaS16_S17_EUlS16_E_NS1_11comp_targetILNS1_3genE2ELNS1_11target_archE906ELNS1_3gpuE6ELNS1_3repE0EEENS1_30default_config_static_selectorELNS0_4arch9wavefront6targetE0EEEvT1_.num_named_barrier, 0
	.set _ZN7rocprim17ROCPRIM_400000_NS6detail17trampoline_kernelINS0_14default_configENS1_25partition_config_selectorILNS1_17partition_subalgoE5EiNS0_10empty_typeEbEEZZNS1_14partition_implILS5_5ELb0ES3_mN6thrust23THRUST_200600_302600_NS6detail15normal_iteratorINSA_10device_ptrIiEEEEPS6_NSA_18transform_iteratorINSB_9not_fun_tINSA_8identityIiEEEESF_NSA_11use_defaultESM_EENS0_5tupleIJSF_S6_EEENSO_IJSG_SG_EEES6_PlJS6_EEE10hipError_tPvRmT3_T4_T5_T6_T7_T9_mT8_P12ihipStream_tbDpT10_ENKUlT_T0_E_clISt17integral_constantIbLb1EES1A_IbLb0EEEEDaS16_S17_EUlS16_E_NS1_11comp_targetILNS1_3genE2ELNS1_11target_archE906ELNS1_3gpuE6ELNS1_3repE0EEENS1_30default_config_static_selectorELNS0_4arch9wavefront6targetE0EEEvT1_.private_seg_size, 0
	.set _ZN7rocprim17ROCPRIM_400000_NS6detail17trampoline_kernelINS0_14default_configENS1_25partition_config_selectorILNS1_17partition_subalgoE5EiNS0_10empty_typeEbEEZZNS1_14partition_implILS5_5ELb0ES3_mN6thrust23THRUST_200600_302600_NS6detail15normal_iteratorINSA_10device_ptrIiEEEEPS6_NSA_18transform_iteratorINSB_9not_fun_tINSA_8identityIiEEEESF_NSA_11use_defaultESM_EENS0_5tupleIJSF_S6_EEENSO_IJSG_SG_EEES6_PlJS6_EEE10hipError_tPvRmT3_T4_T5_T6_T7_T9_mT8_P12ihipStream_tbDpT10_ENKUlT_T0_E_clISt17integral_constantIbLb1EES1A_IbLb0EEEEDaS16_S17_EUlS16_E_NS1_11comp_targetILNS1_3genE2ELNS1_11target_archE906ELNS1_3gpuE6ELNS1_3repE0EEENS1_30default_config_static_selectorELNS0_4arch9wavefront6targetE0EEEvT1_.uses_vcc, 0
	.set _ZN7rocprim17ROCPRIM_400000_NS6detail17trampoline_kernelINS0_14default_configENS1_25partition_config_selectorILNS1_17partition_subalgoE5EiNS0_10empty_typeEbEEZZNS1_14partition_implILS5_5ELb0ES3_mN6thrust23THRUST_200600_302600_NS6detail15normal_iteratorINSA_10device_ptrIiEEEEPS6_NSA_18transform_iteratorINSB_9not_fun_tINSA_8identityIiEEEESF_NSA_11use_defaultESM_EENS0_5tupleIJSF_S6_EEENSO_IJSG_SG_EEES6_PlJS6_EEE10hipError_tPvRmT3_T4_T5_T6_T7_T9_mT8_P12ihipStream_tbDpT10_ENKUlT_T0_E_clISt17integral_constantIbLb1EES1A_IbLb0EEEEDaS16_S17_EUlS16_E_NS1_11comp_targetILNS1_3genE2ELNS1_11target_archE906ELNS1_3gpuE6ELNS1_3repE0EEENS1_30default_config_static_selectorELNS0_4arch9wavefront6targetE0EEEvT1_.uses_flat_scratch, 0
	.set _ZN7rocprim17ROCPRIM_400000_NS6detail17trampoline_kernelINS0_14default_configENS1_25partition_config_selectorILNS1_17partition_subalgoE5EiNS0_10empty_typeEbEEZZNS1_14partition_implILS5_5ELb0ES3_mN6thrust23THRUST_200600_302600_NS6detail15normal_iteratorINSA_10device_ptrIiEEEEPS6_NSA_18transform_iteratorINSB_9not_fun_tINSA_8identityIiEEEESF_NSA_11use_defaultESM_EENS0_5tupleIJSF_S6_EEENSO_IJSG_SG_EEES6_PlJS6_EEE10hipError_tPvRmT3_T4_T5_T6_T7_T9_mT8_P12ihipStream_tbDpT10_ENKUlT_T0_E_clISt17integral_constantIbLb1EES1A_IbLb0EEEEDaS16_S17_EUlS16_E_NS1_11comp_targetILNS1_3genE2ELNS1_11target_archE906ELNS1_3gpuE6ELNS1_3repE0EEENS1_30default_config_static_selectorELNS0_4arch9wavefront6targetE0EEEvT1_.has_dyn_sized_stack, 0
	.set _ZN7rocprim17ROCPRIM_400000_NS6detail17trampoline_kernelINS0_14default_configENS1_25partition_config_selectorILNS1_17partition_subalgoE5EiNS0_10empty_typeEbEEZZNS1_14partition_implILS5_5ELb0ES3_mN6thrust23THRUST_200600_302600_NS6detail15normal_iteratorINSA_10device_ptrIiEEEEPS6_NSA_18transform_iteratorINSB_9not_fun_tINSA_8identityIiEEEESF_NSA_11use_defaultESM_EENS0_5tupleIJSF_S6_EEENSO_IJSG_SG_EEES6_PlJS6_EEE10hipError_tPvRmT3_T4_T5_T6_T7_T9_mT8_P12ihipStream_tbDpT10_ENKUlT_T0_E_clISt17integral_constantIbLb1EES1A_IbLb0EEEEDaS16_S17_EUlS16_E_NS1_11comp_targetILNS1_3genE2ELNS1_11target_archE906ELNS1_3gpuE6ELNS1_3repE0EEENS1_30default_config_static_selectorELNS0_4arch9wavefront6targetE0EEEvT1_.has_recursion, 0
	.set _ZN7rocprim17ROCPRIM_400000_NS6detail17trampoline_kernelINS0_14default_configENS1_25partition_config_selectorILNS1_17partition_subalgoE5EiNS0_10empty_typeEbEEZZNS1_14partition_implILS5_5ELb0ES3_mN6thrust23THRUST_200600_302600_NS6detail15normal_iteratorINSA_10device_ptrIiEEEEPS6_NSA_18transform_iteratorINSB_9not_fun_tINSA_8identityIiEEEESF_NSA_11use_defaultESM_EENS0_5tupleIJSF_S6_EEENSO_IJSG_SG_EEES6_PlJS6_EEE10hipError_tPvRmT3_T4_T5_T6_T7_T9_mT8_P12ihipStream_tbDpT10_ENKUlT_T0_E_clISt17integral_constantIbLb1EES1A_IbLb0EEEEDaS16_S17_EUlS16_E_NS1_11comp_targetILNS1_3genE2ELNS1_11target_archE906ELNS1_3gpuE6ELNS1_3repE0EEENS1_30default_config_static_selectorELNS0_4arch9wavefront6targetE0EEEvT1_.has_indirect_call, 0
	.section	.AMDGPU.csdata,"",@progbits
; Kernel info:
; codeLenInByte = 0
; TotalNumSgprs: 0
; NumVgprs: 0
; ScratchSize: 0
; MemoryBound: 0
; FloatMode: 240
; IeeeMode: 1
; LDSByteSize: 0 bytes/workgroup (compile time only)
; SGPRBlocks: 0
; VGPRBlocks: 0
; NumSGPRsForWavesPerEU: 1
; NumVGPRsForWavesPerEU: 1
; Occupancy: 16
; WaveLimiterHint : 0
; COMPUTE_PGM_RSRC2:SCRATCH_EN: 0
; COMPUTE_PGM_RSRC2:USER_SGPR: 2
; COMPUTE_PGM_RSRC2:TRAP_HANDLER: 0
; COMPUTE_PGM_RSRC2:TGID_X_EN: 1
; COMPUTE_PGM_RSRC2:TGID_Y_EN: 0
; COMPUTE_PGM_RSRC2:TGID_Z_EN: 0
; COMPUTE_PGM_RSRC2:TIDIG_COMP_CNT: 0
	.section	.text._ZN7rocprim17ROCPRIM_400000_NS6detail17trampoline_kernelINS0_14default_configENS1_25partition_config_selectorILNS1_17partition_subalgoE5EiNS0_10empty_typeEbEEZZNS1_14partition_implILS5_5ELb0ES3_mN6thrust23THRUST_200600_302600_NS6detail15normal_iteratorINSA_10device_ptrIiEEEEPS6_NSA_18transform_iteratorINSB_9not_fun_tINSA_8identityIiEEEESF_NSA_11use_defaultESM_EENS0_5tupleIJSF_S6_EEENSO_IJSG_SG_EEES6_PlJS6_EEE10hipError_tPvRmT3_T4_T5_T6_T7_T9_mT8_P12ihipStream_tbDpT10_ENKUlT_T0_E_clISt17integral_constantIbLb1EES1A_IbLb0EEEEDaS16_S17_EUlS16_E_NS1_11comp_targetILNS1_3genE10ELNS1_11target_archE1200ELNS1_3gpuE4ELNS1_3repE0EEENS1_30default_config_static_selectorELNS0_4arch9wavefront6targetE0EEEvT1_,"axG",@progbits,_ZN7rocprim17ROCPRIM_400000_NS6detail17trampoline_kernelINS0_14default_configENS1_25partition_config_selectorILNS1_17partition_subalgoE5EiNS0_10empty_typeEbEEZZNS1_14partition_implILS5_5ELb0ES3_mN6thrust23THRUST_200600_302600_NS6detail15normal_iteratorINSA_10device_ptrIiEEEEPS6_NSA_18transform_iteratorINSB_9not_fun_tINSA_8identityIiEEEESF_NSA_11use_defaultESM_EENS0_5tupleIJSF_S6_EEENSO_IJSG_SG_EEES6_PlJS6_EEE10hipError_tPvRmT3_T4_T5_T6_T7_T9_mT8_P12ihipStream_tbDpT10_ENKUlT_T0_E_clISt17integral_constantIbLb1EES1A_IbLb0EEEEDaS16_S17_EUlS16_E_NS1_11comp_targetILNS1_3genE10ELNS1_11target_archE1200ELNS1_3gpuE4ELNS1_3repE0EEENS1_30default_config_static_selectorELNS0_4arch9wavefront6targetE0EEEvT1_,comdat
	.protected	_ZN7rocprim17ROCPRIM_400000_NS6detail17trampoline_kernelINS0_14default_configENS1_25partition_config_selectorILNS1_17partition_subalgoE5EiNS0_10empty_typeEbEEZZNS1_14partition_implILS5_5ELb0ES3_mN6thrust23THRUST_200600_302600_NS6detail15normal_iteratorINSA_10device_ptrIiEEEEPS6_NSA_18transform_iteratorINSB_9not_fun_tINSA_8identityIiEEEESF_NSA_11use_defaultESM_EENS0_5tupleIJSF_S6_EEENSO_IJSG_SG_EEES6_PlJS6_EEE10hipError_tPvRmT3_T4_T5_T6_T7_T9_mT8_P12ihipStream_tbDpT10_ENKUlT_T0_E_clISt17integral_constantIbLb1EES1A_IbLb0EEEEDaS16_S17_EUlS16_E_NS1_11comp_targetILNS1_3genE10ELNS1_11target_archE1200ELNS1_3gpuE4ELNS1_3repE0EEENS1_30default_config_static_selectorELNS0_4arch9wavefront6targetE0EEEvT1_ ; -- Begin function _ZN7rocprim17ROCPRIM_400000_NS6detail17trampoline_kernelINS0_14default_configENS1_25partition_config_selectorILNS1_17partition_subalgoE5EiNS0_10empty_typeEbEEZZNS1_14partition_implILS5_5ELb0ES3_mN6thrust23THRUST_200600_302600_NS6detail15normal_iteratorINSA_10device_ptrIiEEEEPS6_NSA_18transform_iteratorINSB_9not_fun_tINSA_8identityIiEEEESF_NSA_11use_defaultESM_EENS0_5tupleIJSF_S6_EEENSO_IJSG_SG_EEES6_PlJS6_EEE10hipError_tPvRmT3_T4_T5_T6_T7_T9_mT8_P12ihipStream_tbDpT10_ENKUlT_T0_E_clISt17integral_constantIbLb1EES1A_IbLb0EEEEDaS16_S17_EUlS16_E_NS1_11comp_targetILNS1_3genE10ELNS1_11target_archE1200ELNS1_3gpuE4ELNS1_3repE0EEENS1_30default_config_static_selectorELNS0_4arch9wavefront6targetE0EEEvT1_
	.globl	_ZN7rocprim17ROCPRIM_400000_NS6detail17trampoline_kernelINS0_14default_configENS1_25partition_config_selectorILNS1_17partition_subalgoE5EiNS0_10empty_typeEbEEZZNS1_14partition_implILS5_5ELb0ES3_mN6thrust23THRUST_200600_302600_NS6detail15normal_iteratorINSA_10device_ptrIiEEEEPS6_NSA_18transform_iteratorINSB_9not_fun_tINSA_8identityIiEEEESF_NSA_11use_defaultESM_EENS0_5tupleIJSF_S6_EEENSO_IJSG_SG_EEES6_PlJS6_EEE10hipError_tPvRmT3_T4_T5_T6_T7_T9_mT8_P12ihipStream_tbDpT10_ENKUlT_T0_E_clISt17integral_constantIbLb1EES1A_IbLb0EEEEDaS16_S17_EUlS16_E_NS1_11comp_targetILNS1_3genE10ELNS1_11target_archE1200ELNS1_3gpuE4ELNS1_3repE0EEENS1_30default_config_static_selectorELNS0_4arch9wavefront6targetE0EEEvT1_
	.p2align	8
	.type	_ZN7rocprim17ROCPRIM_400000_NS6detail17trampoline_kernelINS0_14default_configENS1_25partition_config_selectorILNS1_17partition_subalgoE5EiNS0_10empty_typeEbEEZZNS1_14partition_implILS5_5ELb0ES3_mN6thrust23THRUST_200600_302600_NS6detail15normal_iteratorINSA_10device_ptrIiEEEEPS6_NSA_18transform_iteratorINSB_9not_fun_tINSA_8identityIiEEEESF_NSA_11use_defaultESM_EENS0_5tupleIJSF_S6_EEENSO_IJSG_SG_EEES6_PlJS6_EEE10hipError_tPvRmT3_T4_T5_T6_T7_T9_mT8_P12ihipStream_tbDpT10_ENKUlT_T0_E_clISt17integral_constantIbLb1EES1A_IbLb0EEEEDaS16_S17_EUlS16_E_NS1_11comp_targetILNS1_3genE10ELNS1_11target_archE1200ELNS1_3gpuE4ELNS1_3repE0EEENS1_30default_config_static_selectorELNS0_4arch9wavefront6targetE0EEEvT1_,@function
_ZN7rocprim17ROCPRIM_400000_NS6detail17trampoline_kernelINS0_14default_configENS1_25partition_config_selectorILNS1_17partition_subalgoE5EiNS0_10empty_typeEbEEZZNS1_14partition_implILS5_5ELb0ES3_mN6thrust23THRUST_200600_302600_NS6detail15normal_iteratorINSA_10device_ptrIiEEEEPS6_NSA_18transform_iteratorINSB_9not_fun_tINSA_8identityIiEEEESF_NSA_11use_defaultESM_EENS0_5tupleIJSF_S6_EEENSO_IJSG_SG_EEES6_PlJS6_EEE10hipError_tPvRmT3_T4_T5_T6_T7_T9_mT8_P12ihipStream_tbDpT10_ENKUlT_T0_E_clISt17integral_constantIbLb1EES1A_IbLb0EEEEDaS16_S17_EUlS16_E_NS1_11comp_targetILNS1_3genE10ELNS1_11target_archE1200ELNS1_3gpuE4ELNS1_3repE0EEENS1_30default_config_static_selectorELNS0_4arch9wavefront6targetE0EEEvT1_: ; @_ZN7rocprim17ROCPRIM_400000_NS6detail17trampoline_kernelINS0_14default_configENS1_25partition_config_selectorILNS1_17partition_subalgoE5EiNS0_10empty_typeEbEEZZNS1_14partition_implILS5_5ELb0ES3_mN6thrust23THRUST_200600_302600_NS6detail15normal_iteratorINSA_10device_ptrIiEEEEPS6_NSA_18transform_iteratorINSB_9not_fun_tINSA_8identityIiEEEESF_NSA_11use_defaultESM_EENS0_5tupleIJSF_S6_EEENSO_IJSG_SG_EEES6_PlJS6_EEE10hipError_tPvRmT3_T4_T5_T6_T7_T9_mT8_P12ihipStream_tbDpT10_ENKUlT_T0_E_clISt17integral_constantIbLb1EES1A_IbLb0EEEEDaS16_S17_EUlS16_E_NS1_11comp_targetILNS1_3genE10ELNS1_11target_archE1200ELNS1_3gpuE4ELNS1_3repE0EEENS1_30default_config_static_selectorELNS0_4arch9wavefront6targetE0EEEvT1_
; %bb.0:
	s_endpgm
	.section	.rodata,"a",@progbits
	.p2align	6, 0x0
	.amdhsa_kernel _ZN7rocprim17ROCPRIM_400000_NS6detail17trampoline_kernelINS0_14default_configENS1_25partition_config_selectorILNS1_17partition_subalgoE5EiNS0_10empty_typeEbEEZZNS1_14partition_implILS5_5ELb0ES3_mN6thrust23THRUST_200600_302600_NS6detail15normal_iteratorINSA_10device_ptrIiEEEEPS6_NSA_18transform_iteratorINSB_9not_fun_tINSA_8identityIiEEEESF_NSA_11use_defaultESM_EENS0_5tupleIJSF_S6_EEENSO_IJSG_SG_EEES6_PlJS6_EEE10hipError_tPvRmT3_T4_T5_T6_T7_T9_mT8_P12ihipStream_tbDpT10_ENKUlT_T0_E_clISt17integral_constantIbLb1EES1A_IbLb0EEEEDaS16_S17_EUlS16_E_NS1_11comp_targetILNS1_3genE10ELNS1_11target_archE1200ELNS1_3gpuE4ELNS1_3repE0EEENS1_30default_config_static_selectorELNS0_4arch9wavefront6targetE0EEEvT1_
		.amdhsa_group_segment_fixed_size 0
		.amdhsa_private_segment_fixed_size 0
		.amdhsa_kernarg_size 120
		.amdhsa_user_sgpr_count 2
		.amdhsa_user_sgpr_dispatch_ptr 0
		.amdhsa_user_sgpr_queue_ptr 0
		.amdhsa_user_sgpr_kernarg_segment_ptr 1
		.amdhsa_user_sgpr_dispatch_id 0
		.amdhsa_user_sgpr_private_segment_size 0
		.amdhsa_wavefront_size32 1
		.amdhsa_uses_dynamic_stack 0
		.amdhsa_enable_private_segment 0
		.amdhsa_system_sgpr_workgroup_id_x 1
		.amdhsa_system_sgpr_workgroup_id_y 0
		.amdhsa_system_sgpr_workgroup_id_z 0
		.amdhsa_system_sgpr_workgroup_info 0
		.amdhsa_system_vgpr_workitem_id 0
		.amdhsa_next_free_vgpr 1
		.amdhsa_next_free_sgpr 1
		.amdhsa_reserve_vcc 0
		.amdhsa_float_round_mode_32 0
		.amdhsa_float_round_mode_16_64 0
		.amdhsa_float_denorm_mode_32 3
		.amdhsa_float_denorm_mode_16_64 3
		.amdhsa_fp16_overflow 0
		.amdhsa_workgroup_processor_mode 1
		.amdhsa_memory_ordered 1
		.amdhsa_forward_progress 1
		.amdhsa_inst_pref_size 1
		.amdhsa_round_robin_scheduling 0
		.amdhsa_exception_fp_ieee_invalid_op 0
		.amdhsa_exception_fp_denorm_src 0
		.amdhsa_exception_fp_ieee_div_zero 0
		.amdhsa_exception_fp_ieee_overflow 0
		.amdhsa_exception_fp_ieee_underflow 0
		.amdhsa_exception_fp_ieee_inexact 0
		.amdhsa_exception_int_div_zero 0
	.end_amdhsa_kernel
	.section	.text._ZN7rocprim17ROCPRIM_400000_NS6detail17trampoline_kernelINS0_14default_configENS1_25partition_config_selectorILNS1_17partition_subalgoE5EiNS0_10empty_typeEbEEZZNS1_14partition_implILS5_5ELb0ES3_mN6thrust23THRUST_200600_302600_NS6detail15normal_iteratorINSA_10device_ptrIiEEEEPS6_NSA_18transform_iteratorINSB_9not_fun_tINSA_8identityIiEEEESF_NSA_11use_defaultESM_EENS0_5tupleIJSF_S6_EEENSO_IJSG_SG_EEES6_PlJS6_EEE10hipError_tPvRmT3_T4_T5_T6_T7_T9_mT8_P12ihipStream_tbDpT10_ENKUlT_T0_E_clISt17integral_constantIbLb1EES1A_IbLb0EEEEDaS16_S17_EUlS16_E_NS1_11comp_targetILNS1_3genE10ELNS1_11target_archE1200ELNS1_3gpuE4ELNS1_3repE0EEENS1_30default_config_static_selectorELNS0_4arch9wavefront6targetE0EEEvT1_,"axG",@progbits,_ZN7rocprim17ROCPRIM_400000_NS6detail17trampoline_kernelINS0_14default_configENS1_25partition_config_selectorILNS1_17partition_subalgoE5EiNS0_10empty_typeEbEEZZNS1_14partition_implILS5_5ELb0ES3_mN6thrust23THRUST_200600_302600_NS6detail15normal_iteratorINSA_10device_ptrIiEEEEPS6_NSA_18transform_iteratorINSB_9not_fun_tINSA_8identityIiEEEESF_NSA_11use_defaultESM_EENS0_5tupleIJSF_S6_EEENSO_IJSG_SG_EEES6_PlJS6_EEE10hipError_tPvRmT3_T4_T5_T6_T7_T9_mT8_P12ihipStream_tbDpT10_ENKUlT_T0_E_clISt17integral_constantIbLb1EES1A_IbLb0EEEEDaS16_S17_EUlS16_E_NS1_11comp_targetILNS1_3genE10ELNS1_11target_archE1200ELNS1_3gpuE4ELNS1_3repE0EEENS1_30default_config_static_selectorELNS0_4arch9wavefront6targetE0EEEvT1_,comdat
.Lfunc_end1002:
	.size	_ZN7rocprim17ROCPRIM_400000_NS6detail17trampoline_kernelINS0_14default_configENS1_25partition_config_selectorILNS1_17partition_subalgoE5EiNS0_10empty_typeEbEEZZNS1_14partition_implILS5_5ELb0ES3_mN6thrust23THRUST_200600_302600_NS6detail15normal_iteratorINSA_10device_ptrIiEEEEPS6_NSA_18transform_iteratorINSB_9not_fun_tINSA_8identityIiEEEESF_NSA_11use_defaultESM_EENS0_5tupleIJSF_S6_EEENSO_IJSG_SG_EEES6_PlJS6_EEE10hipError_tPvRmT3_T4_T5_T6_T7_T9_mT8_P12ihipStream_tbDpT10_ENKUlT_T0_E_clISt17integral_constantIbLb1EES1A_IbLb0EEEEDaS16_S17_EUlS16_E_NS1_11comp_targetILNS1_3genE10ELNS1_11target_archE1200ELNS1_3gpuE4ELNS1_3repE0EEENS1_30default_config_static_selectorELNS0_4arch9wavefront6targetE0EEEvT1_, .Lfunc_end1002-_ZN7rocprim17ROCPRIM_400000_NS6detail17trampoline_kernelINS0_14default_configENS1_25partition_config_selectorILNS1_17partition_subalgoE5EiNS0_10empty_typeEbEEZZNS1_14partition_implILS5_5ELb0ES3_mN6thrust23THRUST_200600_302600_NS6detail15normal_iteratorINSA_10device_ptrIiEEEEPS6_NSA_18transform_iteratorINSB_9not_fun_tINSA_8identityIiEEEESF_NSA_11use_defaultESM_EENS0_5tupleIJSF_S6_EEENSO_IJSG_SG_EEES6_PlJS6_EEE10hipError_tPvRmT3_T4_T5_T6_T7_T9_mT8_P12ihipStream_tbDpT10_ENKUlT_T0_E_clISt17integral_constantIbLb1EES1A_IbLb0EEEEDaS16_S17_EUlS16_E_NS1_11comp_targetILNS1_3genE10ELNS1_11target_archE1200ELNS1_3gpuE4ELNS1_3repE0EEENS1_30default_config_static_selectorELNS0_4arch9wavefront6targetE0EEEvT1_
                                        ; -- End function
	.set _ZN7rocprim17ROCPRIM_400000_NS6detail17trampoline_kernelINS0_14default_configENS1_25partition_config_selectorILNS1_17partition_subalgoE5EiNS0_10empty_typeEbEEZZNS1_14partition_implILS5_5ELb0ES3_mN6thrust23THRUST_200600_302600_NS6detail15normal_iteratorINSA_10device_ptrIiEEEEPS6_NSA_18transform_iteratorINSB_9not_fun_tINSA_8identityIiEEEESF_NSA_11use_defaultESM_EENS0_5tupleIJSF_S6_EEENSO_IJSG_SG_EEES6_PlJS6_EEE10hipError_tPvRmT3_T4_T5_T6_T7_T9_mT8_P12ihipStream_tbDpT10_ENKUlT_T0_E_clISt17integral_constantIbLb1EES1A_IbLb0EEEEDaS16_S17_EUlS16_E_NS1_11comp_targetILNS1_3genE10ELNS1_11target_archE1200ELNS1_3gpuE4ELNS1_3repE0EEENS1_30default_config_static_selectorELNS0_4arch9wavefront6targetE0EEEvT1_.num_vgpr, 0
	.set _ZN7rocprim17ROCPRIM_400000_NS6detail17trampoline_kernelINS0_14default_configENS1_25partition_config_selectorILNS1_17partition_subalgoE5EiNS0_10empty_typeEbEEZZNS1_14partition_implILS5_5ELb0ES3_mN6thrust23THRUST_200600_302600_NS6detail15normal_iteratorINSA_10device_ptrIiEEEEPS6_NSA_18transform_iteratorINSB_9not_fun_tINSA_8identityIiEEEESF_NSA_11use_defaultESM_EENS0_5tupleIJSF_S6_EEENSO_IJSG_SG_EEES6_PlJS6_EEE10hipError_tPvRmT3_T4_T5_T6_T7_T9_mT8_P12ihipStream_tbDpT10_ENKUlT_T0_E_clISt17integral_constantIbLb1EES1A_IbLb0EEEEDaS16_S17_EUlS16_E_NS1_11comp_targetILNS1_3genE10ELNS1_11target_archE1200ELNS1_3gpuE4ELNS1_3repE0EEENS1_30default_config_static_selectorELNS0_4arch9wavefront6targetE0EEEvT1_.num_agpr, 0
	.set _ZN7rocprim17ROCPRIM_400000_NS6detail17trampoline_kernelINS0_14default_configENS1_25partition_config_selectorILNS1_17partition_subalgoE5EiNS0_10empty_typeEbEEZZNS1_14partition_implILS5_5ELb0ES3_mN6thrust23THRUST_200600_302600_NS6detail15normal_iteratorINSA_10device_ptrIiEEEEPS6_NSA_18transform_iteratorINSB_9not_fun_tINSA_8identityIiEEEESF_NSA_11use_defaultESM_EENS0_5tupleIJSF_S6_EEENSO_IJSG_SG_EEES6_PlJS6_EEE10hipError_tPvRmT3_T4_T5_T6_T7_T9_mT8_P12ihipStream_tbDpT10_ENKUlT_T0_E_clISt17integral_constantIbLb1EES1A_IbLb0EEEEDaS16_S17_EUlS16_E_NS1_11comp_targetILNS1_3genE10ELNS1_11target_archE1200ELNS1_3gpuE4ELNS1_3repE0EEENS1_30default_config_static_selectorELNS0_4arch9wavefront6targetE0EEEvT1_.numbered_sgpr, 0
	.set _ZN7rocprim17ROCPRIM_400000_NS6detail17trampoline_kernelINS0_14default_configENS1_25partition_config_selectorILNS1_17partition_subalgoE5EiNS0_10empty_typeEbEEZZNS1_14partition_implILS5_5ELb0ES3_mN6thrust23THRUST_200600_302600_NS6detail15normal_iteratorINSA_10device_ptrIiEEEEPS6_NSA_18transform_iteratorINSB_9not_fun_tINSA_8identityIiEEEESF_NSA_11use_defaultESM_EENS0_5tupleIJSF_S6_EEENSO_IJSG_SG_EEES6_PlJS6_EEE10hipError_tPvRmT3_T4_T5_T6_T7_T9_mT8_P12ihipStream_tbDpT10_ENKUlT_T0_E_clISt17integral_constantIbLb1EES1A_IbLb0EEEEDaS16_S17_EUlS16_E_NS1_11comp_targetILNS1_3genE10ELNS1_11target_archE1200ELNS1_3gpuE4ELNS1_3repE0EEENS1_30default_config_static_selectorELNS0_4arch9wavefront6targetE0EEEvT1_.num_named_barrier, 0
	.set _ZN7rocprim17ROCPRIM_400000_NS6detail17trampoline_kernelINS0_14default_configENS1_25partition_config_selectorILNS1_17partition_subalgoE5EiNS0_10empty_typeEbEEZZNS1_14partition_implILS5_5ELb0ES3_mN6thrust23THRUST_200600_302600_NS6detail15normal_iteratorINSA_10device_ptrIiEEEEPS6_NSA_18transform_iteratorINSB_9not_fun_tINSA_8identityIiEEEESF_NSA_11use_defaultESM_EENS0_5tupleIJSF_S6_EEENSO_IJSG_SG_EEES6_PlJS6_EEE10hipError_tPvRmT3_T4_T5_T6_T7_T9_mT8_P12ihipStream_tbDpT10_ENKUlT_T0_E_clISt17integral_constantIbLb1EES1A_IbLb0EEEEDaS16_S17_EUlS16_E_NS1_11comp_targetILNS1_3genE10ELNS1_11target_archE1200ELNS1_3gpuE4ELNS1_3repE0EEENS1_30default_config_static_selectorELNS0_4arch9wavefront6targetE0EEEvT1_.private_seg_size, 0
	.set _ZN7rocprim17ROCPRIM_400000_NS6detail17trampoline_kernelINS0_14default_configENS1_25partition_config_selectorILNS1_17partition_subalgoE5EiNS0_10empty_typeEbEEZZNS1_14partition_implILS5_5ELb0ES3_mN6thrust23THRUST_200600_302600_NS6detail15normal_iteratorINSA_10device_ptrIiEEEEPS6_NSA_18transform_iteratorINSB_9not_fun_tINSA_8identityIiEEEESF_NSA_11use_defaultESM_EENS0_5tupleIJSF_S6_EEENSO_IJSG_SG_EEES6_PlJS6_EEE10hipError_tPvRmT3_T4_T5_T6_T7_T9_mT8_P12ihipStream_tbDpT10_ENKUlT_T0_E_clISt17integral_constantIbLb1EES1A_IbLb0EEEEDaS16_S17_EUlS16_E_NS1_11comp_targetILNS1_3genE10ELNS1_11target_archE1200ELNS1_3gpuE4ELNS1_3repE0EEENS1_30default_config_static_selectorELNS0_4arch9wavefront6targetE0EEEvT1_.uses_vcc, 0
	.set _ZN7rocprim17ROCPRIM_400000_NS6detail17trampoline_kernelINS0_14default_configENS1_25partition_config_selectorILNS1_17partition_subalgoE5EiNS0_10empty_typeEbEEZZNS1_14partition_implILS5_5ELb0ES3_mN6thrust23THRUST_200600_302600_NS6detail15normal_iteratorINSA_10device_ptrIiEEEEPS6_NSA_18transform_iteratorINSB_9not_fun_tINSA_8identityIiEEEESF_NSA_11use_defaultESM_EENS0_5tupleIJSF_S6_EEENSO_IJSG_SG_EEES6_PlJS6_EEE10hipError_tPvRmT3_T4_T5_T6_T7_T9_mT8_P12ihipStream_tbDpT10_ENKUlT_T0_E_clISt17integral_constantIbLb1EES1A_IbLb0EEEEDaS16_S17_EUlS16_E_NS1_11comp_targetILNS1_3genE10ELNS1_11target_archE1200ELNS1_3gpuE4ELNS1_3repE0EEENS1_30default_config_static_selectorELNS0_4arch9wavefront6targetE0EEEvT1_.uses_flat_scratch, 0
	.set _ZN7rocprim17ROCPRIM_400000_NS6detail17trampoline_kernelINS0_14default_configENS1_25partition_config_selectorILNS1_17partition_subalgoE5EiNS0_10empty_typeEbEEZZNS1_14partition_implILS5_5ELb0ES3_mN6thrust23THRUST_200600_302600_NS6detail15normal_iteratorINSA_10device_ptrIiEEEEPS6_NSA_18transform_iteratorINSB_9not_fun_tINSA_8identityIiEEEESF_NSA_11use_defaultESM_EENS0_5tupleIJSF_S6_EEENSO_IJSG_SG_EEES6_PlJS6_EEE10hipError_tPvRmT3_T4_T5_T6_T7_T9_mT8_P12ihipStream_tbDpT10_ENKUlT_T0_E_clISt17integral_constantIbLb1EES1A_IbLb0EEEEDaS16_S17_EUlS16_E_NS1_11comp_targetILNS1_3genE10ELNS1_11target_archE1200ELNS1_3gpuE4ELNS1_3repE0EEENS1_30default_config_static_selectorELNS0_4arch9wavefront6targetE0EEEvT1_.has_dyn_sized_stack, 0
	.set _ZN7rocprim17ROCPRIM_400000_NS6detail17trampoline_kernelINS0_14default_configENS1_25partition_config_selectorILNS1_17partition_subalgoE5EiNS0_10empty_typeEbEEZZNS1_14partition_implILS5_5ELb0ES3_mN6thrust23THRUST_200600_302600_NS6detail15normal_iteratorINSA_10device_ptrIiEEEEPS6_NSA_18transform_iteratorINSB_9not_fun_tINSA_8identityIiEEEESF_NSA_11use_defaultESM_EENS0_5tupleIJSF_S6_EEENSO_IJSG_SG_EEES6_PlJS6_EEE10hipError_tPvRmT3_T4_T5_T6_T7_T9_mT8_P12ihipStream_tbDpT10_ENKUlT_T0_E_clISt17integral_constantIbLb1EES1A_IbLb0EEEEDaS16_S17_EUlS16_E_NS1_11comp_targetILNS1_3genE10ELNS1_11target_archE1200ELNS1_3gpuE4ELNS1_3repE0EEENS1_30default_config_static_selectorELNS0_4arch9wavefront6targetE0EEEvT1_.has_recursion, 0
	.set _ZN7rocprim17ROCPRIM_400000_NS6detail17trampoline_kernelINS0_14default_configENS1_25partition_config_selectorILNS1_17partition_subalgoE5EiNS0_10empty_typeEbEEZZNS1_14partition_implILS5_5ELb0ES3_mN6thrust23THRUST_200600_302600_NS6detail15normal_iteratorINSA_10device_ptrIiEEEEPS6_NSA_18transform_iteratorINSB_9not_fun_tINSA_8identityIiEEEESF_NSA_11use_defaultESM_EENS0_5tupleIJSF_S6_EEENSO_IJSG_SG_EEES6_PlJS6_EEE10hipError_tPvRmT3_T4_T5_T6_T7_T9_mT8_P12ihipStream_tbDpT10_ENKUlT_T0_E_clISt17integral_constantIbLb1EES1A_IbLb0EEEEDaS16_S17_EUlS16_E_NS1_11comp_targetILNS1_3genE10ELNS1_11target_archE1200ELNS1_3gpuE4ELNS1_3repE0EEENS1_30default_config_static_selectorELNS0_4arch9wavefront6targetE0EEEvT1_.has_indirect_call, 0
	.section	.AMDGPU.csdata,"",@progbits
; Kernel info:
; codeLenInByte = 4
; TotalNumSgprs: 0
; NumVgprs: 0
; ScratchSize: 0
; MemoryBound: 0
; FloatMode: 240
; IeeeMode: 1
; LDSByteSize: 0 bytes/workgroup (compile time only)
; SGPRBlocks: 0
; VGPRBlocks: 0
; NumSGPRsForWavesPerEU: 1
; NumVGPRsForWavesPerEU: 1
; Occupancy: 16
; WaveLimiterHint : 0
; COMPUTE_PGM_RSRC2:SCRATCH_EN: 0
; COMPUTE_PGM_RSRC2:USER_SGPR: 2
; COMPUTE_PGM_RSRC2:TRAP_HANDLER: 0
; COMPUTE_PGM_RSRC2:TGID_X_EN: 1
; COMPUTE_PGM_RSRC2:TGID_Y_EN: 0
; COMPUTE_PGM_RSRC2:TGID_Z_EN: 0
; COMPUTE_PGM_RSRC2:TIDIG_COMP_CNT: 0
	.section	.text._ZN7rocprim17ROCPRIM_400000_NS6detail17trampoline_kernelINS0_14default_configENS1_25partition_config_selectorILNS1_17partition_subalgoE5EiNS0_10empty_typeEbEEZZNS1_14partition_implILS5_5ELb0ES3_mN6thrust23THRUST_200600_302600_NS6detail15normal_iteratorINSA_10device_ptrIiEEEEPS6_NSA_18transform_iteratorINSB_9not_fun_tINSA_8identityIiEEEESF_NSA_11use_defaultESM_EENS0_5tupleIJSF_S6_EEENSO_IJSG_SG_EEES6_PlJS6_EEE10hipError_tPvRmT3_T4_T5_T6_T7_T9_mT8_P12ihipStream_tbDpT10_ENKUlT_T0_E_clISt17integral_constantIbLb1EES1A_IbLb0EEEEDaS16_S17_EUlS16_E_NS1_11comp_targetILNS1_3genE9ELNS1_11target_archE1100ELNS1_3gpuE3ELNS1_3repE0EEENS1_30default_config_static_selectorELNS0_4arch9wavefront6targetE0EEEvT1_,"axG",@progbits,_ZN7rocprim17ROCPRIM_400000_NS6detail17trampoline_kernelINS0_14default_configENS1_25partition_config_selectorILNS1_17partition_subalgoE5EiNS0_10empty_typeEbEEZZNS1_14partition_implILS5_5ELb0ES3_mN6thrust23THRUST_200600_302600_NS6detail15normal_iteratorINSA_10device_ptrIiEEEEPS6_NSA_18transform_iteratorINSB_9not_fun_tINSA_8identityIiEEEESF_NSA_11use_defaultESM_EENS0_5tupleIJSF_S6_EEENSO_IJSG_SG_EEES6_PlJS6_EEE10hipError_tPvRmT3_T4_T5_T6_T7_T9_mT8_P12ihipStream_tbDpT10_ENKUlT_T0_E_clISt17integral_constantIbLb1EES1A_IbLb0EEEEDaS16_S17_EUlS16_E_NS1_11comp_targetILNS1_3genE9ELNS1_11target_archE1100ELNS1_3gpuE3ELNS1_3repE0EEENS1_30default_config_static_selectorELNS0_4arch9wavefront6targetE0EEEvT1_,comdat
	.protected	_ZN7rocprim17ROCPRIM_400000_NS6detail17trampoline_kernelINS0_14default_configENS1_25partition_config_selectorILNS1_17partition_subalgoE5EiNS0_10empty_typeEbEEZZNS1_14partition_implILS5_5ELb0ES3_mN6thrust23THRUST_200600_302600_NS6detail15normal_iteratorINSA_10device_ptrIiEEEEPS6_NSA_18transform_iteratorINSB_9not_fun_tINSA_8identityIiEEEESF_NSA_11use_defaultESM_EENS0_5tupleIJSF_S6_EEENSO_IJSG_SG_EEES6_PlJS6_EEE10hipError_tPvRmT3_T4_T5_T6_T7_T9_mT8_P12ihipStream_tbDpT10_ENKUlT_T0_E_clISt17integral_constantIbLb1EES1A_IbLb0EEEEDaS16_S17_EUlS16_E_NS1_11comp_targetILNS1_3genE9ELNS1_11target_archE1100ELNS1_3gpuE3ELNS1_3repE0EEENS1_30default_config_static_selectorELNS0_4arch9wavefront6targetE0EEEvT1_ ; -- Begin function _ZN7rocprim17ROCPRIM_400000_NS6detail17trampoline_kernelINS0_14default_configENS1_25partition_config_selectorILNS1_17partition_subalgoE5EiNS0_10empty_typeEbEEZZNS1_14partition_implILS5_5ELb0ES3_mN6thrust23THRUST_200600_302600_NS6detail15normal_iteratorINSA_10device_ptrIiEEEEPS6_NSA_18transform_iteratorINSB_9not_fun_tINSA_8identityIiEEEESF_NSA_11use_defaultESM_EENS0_5tupleIJSF_S6_EEENSO_IJSG_SG_EEES6_PlJS6_EEE10hipError_tPvRmT3_T4_T5_T6_T7_T9_mT8_P12ihipStream_tbDpT10_ENKUlT_T0_E_clISt17integral_constantIbLb1EES1A_IbLb0EEEEDaS16_S17_EUlS16_E_NS1_11comp_targetILNS1_3genE9ELNS1_11target_archE1100ELNS1_3gpuE3ELNS1_3repE0EEENS1_30default_config_static_selectorELNS0_4arch9wavefront6targetE0EEEvT1_
	.globl	_ZN7rocprim17ROCPRIM_400000_NS6detail17trampoline_kernelINS0_14default_configENS1_25partition_config_selectorILNS1_17partition_subalgoE5EiNS0_10empty_typeEbEEZZNS1_14partition_implILS5_5ELb0ES3_mN6thrust23THRUST_200600_302600_NS6detail15normal_iteratorINSA_10device_ptrIiEEEEPS6_NSA_18transform_iteratorINSB_9not_fun_tINSA_8identityIiEEEESF_NSA_11use_defaultESM_EENS0_5tupleIJSF_S6_EEENSO_IJSG_SG_EEES6_PlJS6_EEE10hipError_tPvRmT3_T4_T5_T6_T7_T9_mT8_P12ihipStream_tbDpT10_ENKUlT_T0_E_clISt17integral_constantIbLb1EES1A_IbLb0EEEEDaS16_S17_EUlS16_E_NS1_11comp_targetILNS1_3genE9ELNS1_11target_archE1100ELNS1_3gpuE3ELNS1_3repE0EEENS1_30default_config_static_selectorELNS0_4arch9wavefront6targetE0EEEvT1_
	.p2align	8
	.type	_ZN7rocprim17ROCPRIM_400000_NS6detail17trampoline_kernelINS0_14default_configENS1_25partition_config_selectorILNS1_17partition_subalgoE5EiNS0_10empty_typeEbEEZZNS1_14partition_implILS5_5ELb0ES3_mN6thrust23THRUST_200600_302600_NS6detail15normal_iteratorINSA_10device_ptrIiEEEEPS6_NSA_18transform_iteratorINSB_9not_fun_tINSA_8identityIiEEEESF_NSA_11use_defaultESM_EENS0_5tupleIJSF_S6_EEENSO_IJSG_SG_EEES6_PlJS6_EEE10hipError_tPvRmT3_T4_T5_T6_T7_T9_mT8_P12ihipStream_tbDpT10_ENKUlT_T0_E_clISt17integral_constantIbLb1EES1A_IbLb0EEEEDaS16_S17_EUlS16_E_NS1_11comp_targetILNS1_3genE9ELNS1_11target_archE1100ELNS1_3gpuE3ELNS1_3repE0EEENS1_30default_config_static_selectorELNS0_4arch9wavefront6targetE0EEEvT1_,@function
_ZN7rocprim17ROCPRIM_400000_NS6detail17trampoline_kernelINS0_14default_configENS1_25partition_config_selectorILNS1_17partition_subalgoE5EiNS0_10empty_typeEbEEZZNS1_14partition_implILS5_5ELb0ES3_mN6thrust23THRUST_200600_302600_NS6detail15normal_iteratorINSA_10device_ptrIiEEEEPS6_NSA_18transform_iteratorINSB_9not_fun_tINSA_8identityIiEEEESF_NSA_11use_defaultESM_EENS0_5tupleIJSF_S6_EEENSO_IJSG_SG_EEES6_PlJS6_EEE10hipError_tPvRmT3_T4_T5_T6_T7_T9_mT8_P12ihipStream_tbDpT10_ENKUlT_T0_E_clISt17integral_constantIbLb1EES1A_IbLb0EEEEDaS16_S17_EUlS16_E_NS1_11comp_targetILNS1_3genE9ELNS1_11target_archE1100ELNS1_3gpuE3ELNS1_3repE0EEENS1_30default_config_static_selectorELNS0_4arch9wavefront6targetE0EEEvT1_: ; @_ZN7rocprim17ROCPRIM_400000_NS6detail17trampoline_kernelINS0_14default_configENS1_25partition_config_selectorILNS1_17partition_subalgoE5EiNS0_10empty_typeEbEEZZNS1_14partition_implILS5_5ELb0ES3_mN6thrust23THRUST_200600_302600_NS6detail15normal_iteratorINSA_10device_ptrIiEEEEPS6_NSA_18transform_iteratorINSB_9not_fun_tINSA_8identityIiEEEESF_NSA_11use_defaultESM_EENS0_5tupleIJSF_S6_EEENSO_IJSG_SG_EEES6_PlJS6_EEE10hipError_tPvRmT3_T4_T5_T6_T7_T9_mT8_P12ihipStream_tbDpT10_ENKUlT_T0_E_clISt17integral_constantIbLb1EES1A_IbLb0EEEEDaS16_S17_EUlS16_E_NS1_11comp_targetILNS1_3genE9ELNS1_11target_archE1100ELNS1_3gpuE3ELNS1_3repE0EEENS1_30default_config_static_selectorELNS0_4arch9wavefront6targetE0EEEvT1_
; %bb.0:
	.section	.rodata,"a",@progbits
	.p2align	6, 0x0
	.amdhsa_kernel _ZN7rocprim17ROCPRIM_400000_NS6detail17trampoline_kernelINS0_14default_configENS1_25partition_config_selectorILNS1_17partition_subalgoE5EiNS0_10empty_typeEbEEZZNS1_14partition_implILS5_5ELb0ES3_mN6thrust23THRUST_200600_302600_NS6detail15normal_iteratorINSA_10device_ptrIiEEEEPS6_NSA_18transform_iteratorINSB_9not_fun_tINSA_8identityIiEEEESF_NSA_11use_defaultESM_EENS0_5tupleIJSF_S6_EEENSO_IJSG_SG_EEES6_PlJS6_EEE10hipError_tPvRmT3_T4_T5_T6_T7_T9_mT8_P12ihipStream_tbDpT10_ENKUlT_T0_E_clISt17integral_constantIbLb1EES1A_IbLb0EEEEDaS16_S17_EUlS16_E_NS1_11comp_targetILNS1_3genE9ELNS1_11target_archE1100ELNS1_3gpuE3ELNS1_3repE0EEENS1_30default_config_static_selectorELNS0_4arch9wavefront6targetE0EEEvT1_
		.amdhsa_group_segment_fixed_size 0
		.amdhsa_private_segment_fixed_size 0
		.amdhsa_kernarg_size 120
		.amdhsa_user_sgpr_count 2
		.amdhsa_user_sgpr_dispatch_ptr 0
		.amdhsa_user_sgpr_queue_ptr 0
		.amdhsa_user_sgpr_kernarg_segment_ptr 1
		.amdhsa_user_sgpr_dispatch_id 0
		.amdhsa_user_sgpr_private_segment_size 0
		.amdhsa_wavefront_size32 1
		.amdhsa_uses_dynamic_stack 0
		.amdhsa_enable_private_segment 0
		.amdhsa_system_sgpr_workgroup_id_x 1
		.amdhsa_system_sgpr_workgroup_id_y 0
		.amdhsa_system_sgpr_workgroup_id_z 0
		.amdhsa_system_sgpr_workgroup_info 0
		.amdhsa_system_vgpr_workitem_id 0
		.amdhsa_next_free_vgpr 1
		.amdhsa_next_free_sgpr 1
		.amdhsa_reserve_vcc 0
		.amdhsa_float_round_mode_32 0
		.amdhsa_float_round_mode_16_64 0
		.amdhsa_float_denorm_mode_32 3
		.amdhsa_float_denorm_mode_16_64 3
		.amdhsa_fp16_overflow 0
		.amdhsa_workgroup_processor_mode 1
		.amdhsa_memory_ordered 1
		.amdhsa_forward_progress 1
		.amdhsa_inst_pref_size 0
		.amdhsa_round_robin_scheduling 0
		.amdhsa_exception_fp_ieee_invalid_op 0
		.amdhsa_exception_fp_denorm_src 0
		.amdhsa_exception_fp_ieee_div_zero 0
		.amdhsa_exception_fp_ieee_overflow 0
		.amdhsa_exception_fp_ieee_underflow 0
		.amdhsa_exception_fp_ieee_inexact 0
		.amdhsa_exception_int_div_zero 0
	.end_amdhsa_kernel
	.section	.text._ZN7rocprim17ROCPRIM_400000_NS6detail17trampoline_kernelINS0_14default_configENS1_25partition_config_selectorILNS1_17partition_subalgoE5EiNS0_10empty_typeEbEEZZNS1_14partition_implILS5_5ELb0ES3_mN6thrust23THRUST_200600_302600_NS6detail15normal_iteratorINSA_10device_ptrIiEEEEPS6_NSA_18transform_iteratorINSB_9not_fun_tINSA_8identityIiEEEESF_NSA_11use_defaultESM_EENS0_5tupleIJSF_S6_EEENSO_IJSG_SG_EEES6_PlJS6_EEE10hipError_tPvRmT3_T4_T5_T6_T7_T9_mT8_P12ihipStream_tbDpT10_ENKUlT_T0_E_clISt17integral_constantIbLb1EES1A_IbLb0EEEEDaS16_S17_EUlS16_E_NS1_11comp_targetILNS1_3genE9ELNS1_11target_archE1100ELNS1_3gpuE3ELNS1_3repE0EEENS1_30default_config_static_selectorELNS0_4arch9wavefront6targetE0EEEvT1_,"axG",@progbits,_ZN7rocprim17ROCPRIM_400000_NS6detail17trampoline_kernelINS0_14default_configENS1_25partition_config_selectorILNS1_17partition_subalgoE5EiNS0_10empty_typeEbEEZZNS1_14partition_implILS5_5ELb0ES3_mN6thrust23THRUST_200600_302600_NS6detail15normal_iteratorINSA_10device_ptrIiEEEEPS6_NSA_18transform_iteratorINSB_9not_fun_tINSA_8identityIiEEEESF_NSA_11use_defaultESM_EENS0_5tupleIJSF_S6_EEENSO_IJSG_SG_EEES6_PlJS6_EEE10hipError_tPvRmT3_T4_T5_T6_T7_T9_mT8_P12ihipStream_tbDpT10_ENKUlT_T0_E_clISt17integral_constantIbLb1EES1A_IbLb0EEEEDaS16_S17_EUlS16_E_NS1_11comp_targetILNS1_3genE9ELNS1_11target_archE1100ELNS1_3gpuE3ELNS1_3repE0EEENS1_30default_config_static_selectorELNS0_4arch9wavefront6targetE0EEEvT1_,comdat
.Lfunc_end1003:
	.size	_ZN7rocprim17ROCPRIM_400000_NS6detail17trampoline_kernelINS0_14default_configENS1_25partition_config_selectorILNS1_17partition_subalgoE5EiNS0_10empty_typeEbEEZZNS1_14partition_implILS5_5ELb0ES3_mN6thrust23THRUST_200600_302600_NS6detail15normal_iteratorINSA_10device_ptrIiEEEEPS6_NSA_18transform_iteratorINSB_9not_fun_tINSA_8identityIiEEEESF_NSA_11use_defaultESM_EENS0_5tupleIJSF_S6_EEENSO_IJSG_SG_EEES6_PlJS6_EEE10hipError_tPvRmT3_T4_T5_T6_T7_T9_mT8_P12ihipStream_tbDpT10_ENKUlT_T0_E_clISt17integral_constantIbLb1EES1A_IbLb0EEEEDaS16_S17_EUlS16_E_NS1_11comp_targetILNS1_3genE9ELNS1_11target_archE1100ELNS1_3gpuE3ELNS1_3repE0EEENS1_30default_config_static_selectorELNS0_4arch9wavefront6targetE0EEEvT1_, .Lfunc_end1003-_ZN7rocprim17ROCPRIM_400000_NS6detail17trampoline_kernelINS0_14default_configENS1_25partition_config_selectorILNS1_17partition_subalgoE5EiNS0_10empty_typeEbEEZZNS1_14partition_implILS5_5ELb0ES3_mN6thrust23THRUST_200600_302600_NS6detail15normal_iteratorINSA_10device_ptrIiEEEEPS6_NSA_18transform_iteratorINSB_9not_fun_tINSA_8identityIiEEEESF_NSA_11use_defaultESM_EENS0_5tupleIJSF_S6_EEENSO_IJSG_SG_EEES6_PlJS6_EEE10hipError_tPvRmT3_T4_T5_T6_T7_T9_mT8_P12ihipStream_tbDpT10_ENKUlT_T0_E_clISt17integral_constantIbLb1EES1A_IbLb0EEEEDaS16_S17_EUlS16_E_NS1_11comp_targetILNS1_3genE9ELNS1_11target_archE1100ELNS1_3gpuE3ELNS1_3repE0EEENS1_30default_config_static_selectorELNS0_4arch9wavefront6targetE0EEEvT1_
                                        ; -- End function
	.set _ZN7rocprim17ROCPRIM_400000_NS6detail17trampoline_kernelINS0_14default_configENS1_25partition_config_selectorILNS1_17partition_subalgoE5EiNS0_10empty_typeEbEEZZNS1_14partition_implILS5_5ELb0ES3_mN6thrust23THRUST_200600_302600_NS6detail15normal_iteratorINSA_10device_ptrIiEEEEPS6_NSA_18transform_iteratorINSB_9not_fun_tINSA_8identityIiEEEESF_NSA_11use_defaultESM_EENS0_5tupleIJSF_S6_EEENSO_IJSG_SG_EEES6_PlJS6_EEE10hipError_tPvRmT3_T4_T5_T6_T7_T9_mT8_P12ihipStream_tbDpT10_ENKUlT_T0_E_clISt17integral_constantIbLb1EES1A_IbLb0EEEEDaS16_S17_EUlS16_E_NS1_11comp_targetILNS1_3genE9ELNS1_11target_archE1100ELNS1_3gpuE3ELNS1_3repE0EEENS1_30default_config_static_selectorELNS0_4arch9wavefront6targetE0EEEvT1_.num_vgpr, 0
	.set _ZN7rocprim17ROCPRIM_400000_NS6detail17trampoline_kernelINS0_14default_configENS1_25partition_config_selectorILNS1_17partition_subalgoE5EiNS0_10empty_typeEbEEZZNS1_14partition_implILS5_5ELb0ES3_mN6thrust23THRUST_200600_302600_NS6detail15normal_iteratorINSA_10device_ptrIiEEEEPS6_NSA_18transform_iteratorINSB_9not_fun_tINSA_8identityIiEEEESF_NSA_11use_defaultESM_EENS0_5tupleIJSF_S6_EEENSO_IJSG_SG_EEES6_PlJS6_EEE10hipError_tPvRmT3_T4_T5_T6_T7_T9_mT8_P12ihipStream_tbDpT10_ENKUlT_T0_E_clISt17integral_constantIbLb1EES1A_IbLb0EEEEDaS16_S17_EUlS16_E_NS1_11comp_targetILNS1_3genE9ELNS1_11target_archE1100ELNS1_3gpuE3ELNS1_3repE0EEENS1_30default_config_static_selectorELNS0_4arch9wavefront6targetE0EEEvT1_.num_agpr, 0
	.set _ZN7rocprim17ROCPRIM_400000_NS6detail17trampoline_kernelINS0_14default_configENS1_25partition_config_selectorILNS1_17partition_subalgoE5EiNS0_10empty_typeEbEEZZNS1_14partition_implILS5_5ELb0ES3_mN6thrust23THRUST_200600_302600_NS6detail15normal_iteratorINSA_10device_ptrIiEEEEPS6_NSA_18transform_iteratorINSB_9not_fun_tINSA_8identityIiEEEESF_NSA_11use_defaultESM_EENS0_5tupleIJSF_S6_EEENSO_IJSG_SG_EEES6_PlJS6_EEE10hipError_tPvRmT3_T4_T5_T6_T7_T9_mT8_P12ihipStream_tbDpT10_ENKUlT_T0_E_clISt17integral_constantIbLb1EES1A_IbLb0EEEEDaS16_S17_EUlS16_E_NS1_11comp_targetILNS1_3genE9ELNS1_11target_archE1100ELNS1_3gpuE3ELNS1_3repE0EEENS1_30default_config_static_selectorELNS0_4arch9wavefront6targetE0EEEvT1_.numbered_sgpr, 0
	.set _ZN7rocprim17ROCPRIM_400000_NS6detail17trampoline_kernelINS0_14default_configENS1_25partition_config_selectorILNS1_17partition_subalgoE5EiNS0_10empty_typeEbEEZZNS1_14partition_implILS5_5ELb0ES3_mN6thrust23THRUST_200600_302600_NS6detail15normal_iteratorINSA_10device_ptrIiEEEEPS6_NSA_18transform_iteratorINSB_9not_fun_tINSA_8identityIiEEEESF_NSA_11use_defaultESM_EENS0_5tupleIJSF_S6_EEENSO_IJSG_SG_EEES6_PlJS6_EEE10hipError_tPvRmT3_T4_T5_T6_T7_T9_mT8_P12ihipStream_tbDpT10_ENKUlT_T0_E_clISt17integral_constantIbLb1EES1A_IbLb0EEEEDaS16_S17_EUlS16_E_NS1_11comp_targetILNS1_3genE9ELNS1_11target_archE1100ELNS1_3gpuE3ELNS1_3repE0EEENS1_30default_config_static_selectorELNS0_4arch9wavefront6targetE0EEEvT1_.num_named_barrier, 0
	.set _ZN7rocprim17ROCPRIM_400000_NS6detail17trampoline_kernelINS0_14default_configENS1_25partition_config_selectorILNS1_17partition_subalgoE5EiNS0_10empty_typeEbEEZZNS1_14partition_implILS5_5ELb0ES3_mN6thrust23THRUST_200600_302600_NS6detail15normal_iteratorINSA_10device_ptrIiEEEEPS6_NSA_18transform_iteratorINSB_9not_fun_tINSA_8identityIiEEEESF_NSA_11use_defaultESM_EENS0_5tupleIJSF_S6_EEENSO_IJSG_SG_EEES6_PlJS6_EEE10hipError_tPvRmT3_T4_T5_T6_T7_T9_mT8_P12ihipStream_tbDpT10_ENKUlT_T0_E_clISt17integral_constantIbLb1EES1A_IbLb0EEEEDaS16_S17_EUlS16_E_NS1_11comp_targetILNS1_3genE9ELNS1_11target_archE1100ELNS1_3gpuE3ELNS1_3repE0EEENS1_30default_config_static_selectorELNS0_4arch9wavefront6targetE0EEEvT1_.private_seg_size, 0
	.set _ZN7rocprim17ROCPRIM_400000_NS6detail17trampoline_kernelINS0_14default_configENS1_25partition_config_selectorILNS1_17partition_subalgoE5EiNS0_10empty_typeEbEEZZNS1_14partition_implILS5_5ELb0ES3_mN6thrust23THRUST_200600_302600_NS6detail15normal_iteratorINSA_10device_ptrIiEEEEPS6_NSA_18transform_iteratorINSB_9not_fun_tINSA_8identityIiEEEESF_NSA_11use_defaultESM_EENS0_5tupleIJSF_S6_EEENSO_IJSG_SG_EEES6_PlJS6_EEE10hipError_tPvRmT3_T4_T5_T6_T7_T9_mT8_P12ihipStream_tbDpT10_ENKUlT_T0_E_clISt17integral_constantIbLb1EES1A_IbLb0EEEEDaS16_S17_EUlS16_E_NS1_11comp_targetILNS1_3genE9ELNS1_11target_archE1100ELNS1_3gpuE3ELNS1_3repE0EEENS1_30default_config_static_selectorELNS0_4arch9wavefront6targetE0EEEvT1_.uses_vcc, 0
	.set _ZN7rocprim17ROCPRIM_400000_NS6detail17trampoline_kernelINS0_14default_configENS1_25partition_config_selectorILNS1_17partition_subalgoE5EiNS0_10empty_typeEbEEZZNS1_14partition_implILS5_5ELb0ES3_mN6thrust23THRUST_200600_302600_NS6detail15normal_iteratorINSA_10device_ptrIiEEEEPS6_NSA_18transform_iteratorINSB_9not_fun_tINSA_8identityIiEEEESF_NSA_11use_defaultESM_EENS0_5tupleIJSF_S6_EEENSO_IJSG_SG_EEES6_PlJS6_EEE10hipError_tPvRmT3_T4_T5_T6_T7_T9_mT8_P12ihipStream_tbDpT10_ENKUlT_T0_E_clISt17integral_constantIbLb1EES1A_IbLb0EEEEDaS16_S17_EUlS16_E_NS1_11comp_targetILNS1_3genE9ELNS1_11target_archE1100ELNS1_3gpuE3ELNS1_3repE0EEENS1_30default_config_static_selectorELNS0_4arch9wavefront6targetE0EEEvT1_.uses_flat_scratch, 0
	.set _ZN7rocprim17ROCPRIM_400000_NS6detail17trampoline_kernelINS0_14default_configENS1_25partition_config_selectorILNS1_17partition_subalgoE5EiNS0_10empty_typeEbEEZZNS1_14partition_implILS5_5ELb0ES3_mN6thrust23THRUST_200600_302600_NS6detail15normal_iteratorINSA_10device_ptrIiEEEEPS6_NSA_18transform_iteratorINSB_9not_fun_tINSA_8identityIiEEEESF_NSA_11use_defaultESM_EENS0_5tupleIJSF_S6_EEENSO_IJSG_SG_EEES6_PlJS6_EEE10hipError_tPvRmT3_T4_T5_T6_T7_T9_mT8_P12ihipStream_tbDpT10_ENKUlT_T0_E_clISt17integral_constantIbLb1EES1A_IbLb0EEEEDaS16_S17_EUlS16_E_NS1_11comp_targetILNS1_3genE9ELNS1_11target_archE1100ELNS1_3gpuE3ELNS1_3repE0EEENS1_30default_config_static_selectorELNS0_4arch9wavefront6targetE0EEEvT1_.has_dyn_sized_stack, 0
	.set _ZN7rocprim17ROCPRIM_400000_NS6detail17trampoline_kernelINS0_14default_configENS1_25partition_config_selectorILNS1_17partition_subalgoE5EiNS0_10empty_typeEbEEZZNS1_14partition_implILS5_5ELb0ES3_mN6thrust23THRUST_200600_302600_NS6detail15normal_iteratorINSA_10device_ptrIiEEEEPS6_NSA_18transform_iteratorINSB_9not_fun_tINSA_8identityIiEEEESF_NSA_11use_defaultESM_EENS0_5tupleIJSF_S6_EEENSO_IJSG_SG_EEES6_PlJS6_EEE10hipError_tPvRmT3_T4_T5_T6_T7_T9_mT8_P12ihipStream_tbDpT10_ENKUlT_T0_E_clISt17integral_constantIbLb1EES1A_IbLb0EEEEDaS16_S17_EUlS16_E_NS1_11comp_targetILNS1_3genE9ELNS1_11target_archE1100ELNS1_3gpuE3ELNS1_3repE0EEENS1_30default_config_static_selectorELNS0_4arch9wavefront6targetE0EEEvT1_.has_recursion, 0
	.set _ZN7rocprim17ROCPRIM_400000_NS6detail17trampoline_kernelINS0_14default_configENS1_25partition_config_selectorILNS1_17partition_subalgoE5EiNS0_10empty_typeEbEEZZNS1_14partition_implILS5_5ELb0ES3_mN6thrust23THRUST_200600_302600_NS6detail15normal_iteratorINSA_10device_ptrIiEEEEPS6_NSA_18transform_iteratorINSB_9not_fun_tINSA_8identityIiEEEESF_NSA_11use_defaultESM_EENS0_5tupleIJSF_S6_EEENSO_IJSG_SG_EEES6_PlJS6_EEE10hipError_tPvRmT3_T4_T5_T6_T7_T9_mT8_P12ihipStream_tbDpT10_ENKUlT_T0_E_clISt17integral_constantIbLb1EES1A_IbLb0EEEEDaS16_S17_EUlS16_E_NS1_11comp_targetILNS1_3genE9ELNS1_11target_archE1100ELNS1_3gpuE3ELNS1_3repE0EEENS1_30default_config_static_selectorELNS0_4arch9wavefront6targetE0EEEvT1_.has_indirect_call, 0
	.section	.AMDGPU.csdata,"",@progbits
; Kernel info:
; codeLenInByte = 0
; TotalNumSgprs: 0
; NumVgprs: 0
; ScratchSize: 0
; MemoryBound: 0
; FloatMode: 240
; IeeeMode: 1
; LDSByteSize: 0 bytes/workgroup (compile time only)
; SGPRBlocks: 0
; VGPRBlocks: 0
; NumSGPRsForWavesPerEU: 1
; NumVGPRsForWavesPerEU: 1
; Occupancy: 16
; WaveLimiterHint : 0
; COMPUTE_PGM_RSRC2:SCRATCH_EN: 0
; COMPUTE_PGM_RSRC2:USER_SGPR: 2
; COMPUTE_PGM_RSRC2:TRAP_HANDLER: 0
; COMPUTE_PGM_RSRC2:TGID_X_EN: 1
; COMPUTE_PGM_RSRC2:TGID_Y_EN: 0
; COMPUTE_PGM_RSRC2:TGID_Z_EN: 0
; COMPUTE_PGM_RSRC2:TIDIG_COMP_CNT: 0
	.section	.text._ZN7rocprim17ROCPRIM_400000_NS6detail17trampoline_kernelINS0_14default_configENS1_25partition_config_selectorILNS1_17partition_subalgoE5EiNS0_10empty_typeEbEEZZNS1_14partition_implILS5_5ELb0ES3_mN6thrust23THRUST_200600_302600_NS6detail15normal_iteratorINSA_10device_ptrIiEEEEPS6_NSA_18transform_iteratorINSB_9not_fun_tINSA_8identityIiEEEESF_NSA_11use_defaultESM_EENS0_5tupleIJSF_S6_EEENSO_IJSG_SG_EEES6_PlJS6_EEE10hipError_tPvRmT3_T4_T5_T6_T7_T9_mT8_P12ihipStream_tbDpT10_ENKUlT_T0_E_clISt17integral_constantIbLb1EES1A_IbLb0EEEEDaS16_S17_EUlS16_E_NS1_11comp_targetILNS1_3genE8ELNS1_11target_archE1030ELNS1_3gpuE2ELNS1_3repE0EEENS1_30default_config_static_selectorELNS0_4arch9wavefront6targetE0EEEvT1_,"axG",@progbits,_ZN7rocprim17ROCPRIM_400000_NS6detail17trampoline_kernelINS0_14default_configENS1_25partition_config_selectorILNS1_17partition_subalgoE5EiNS0_10empty_typeEbEEZZNS1_14partition_implILS5_5ELb0ES3_mN6thrust23THRUST_200600_302600_NS6detail15normal_iteratorINSA_10device_ptrIiEEEEPS6_NSA_18transform_iteratorINSB_9not_fun_tINSA_8identityIiEEEESF_NSA_11use_defaultESM_EENS0_5tupleIJSF_S6_EEENSO_IJSG_SG_EEES6_PlJS6_EEE10hipError_tPvRmT3_T4_T5_T6_T7_T9_mT8_P12ihipStream_tbDpT10_ENKUlT_T0_E_clISt17integral_constantIbLb1EES1A_IbLb0EEEEDaS16_S17_EUlS16_E_NS1_11comp_targetILNS1_3genE8ELNS1_11target_archE1030ELNS1_3gpuE2ELNS1_3repE0EEENS1_30default_config_static_selectorELNS0_4arch9wavefront6targetE0EEEvT1_,comdat
	.protected	_ZN7rocprim17ROCPRIM_400000_NS6detail17trampoline_kernelINS0_14default_configENS1_25partition_config_selectorILNS1_17partition_subalgoE5EiNS0_10empty_typeEbEEZZNS1_14partition_implILS5_5ELb0ES3_mN6thrust23THRUST_200600_302600_NS6detail15normal_iteratorINSA_10device_ptrIiEEEEPS6_NSA_18transform_iteratorINSB_9not_fun_tINSA_8identityIiEEEESF_NSA_11use_defaultESM_EENS0_5tupleIJSF_S6_EEENSO_IJSG_SG_EEES6_PlJS6_EEE10hipError_tPvRmT3_T4_T5_T6_T7_T9_mT8_P12ihipStream_tbDpT10_ENKUlT_T0_E_clISt17integral_constantIbLb1EES1A_IbLb0EEEEDaS16_S17_EUlS16_E_NS1_11comp_targetILNS1_3genE8ELNS1_11target_archE1030ELNS1_3gpuE2ELNS1_3repE0EEENS1_30default_config_static_selectorELNS0_4arch9wavefront6targetE0EEEvT1_ ; -- Begin function _ZN7rocprim17ROCPRIM_400000_NS6detail17trampoline_kernelINS0_14default_configENS1_25partition_config_selectorILNS1_17partition_subalgoE5EiNS0_10empty_typeEbEEZZNS1_14partition_implILS5_5ELb0ES3_mN6thrust23THRUST_200600_302600_NS6detail15normal_iteratorINSA_10device_ptrIiEEEEPS6_NSA_18transform_iteratorINSB_9not_fun_tINSA_8identityIiEEEESF_NSA_11use_defaultESM_EENS0_5tupleIJSF_S6_EEENSO_IJSG_SG_EEES6_PlJS6_EEE10hipError_tPvRmT3_T4_T5_T6_T7_T9_mT8_P12ihipStream_tbDpT10_ENKUlT_T0_E_clISt17integral_constantIbLb1EES1A_IbLb0EEEEDaS16_S17_EUlS16_E_NS1_11comp_targetILNS1_3genE8ELNS1_11target_archE1030ELNS1_3gpuE2ELNS1_3repE0EEENS1_30default_config_static_selectorELNS0_4arch9wavefront6targetE0EEEvT1_
	.globl	_ZN7rocprim17ROCPRIM_400000_NS6detail17trampoline_kernelINS0_14default_configENS1_25partition_config_selectorILNS1_17partition_subalgoE5EiNS0_10empty_typeEbEEZZNS1_14partition_implILS5_5ELb0ES3_mN6thrust23THRUST_200600_302600_NS6detail15normal_iteratorINSA_10device_ptrIiEEEEPS6_NSA_18transform_iteratorINSB_9not_fun_tINSA_8identityIiEEEESF_NSA_11use_defaultESM_EENS0_5tupleIJSF_S6_EEENSO_IJSG_SG_EEES6_PlJS6_EEE10hipError_tPvRmT3_T4_T5_T6_T7_T9_mT8_P12ihipStream_tbDpT10_ENKUlT_T0_E_clISt17integral_constantIbLb1EES1A_IbLb0EEEEDaS16_S17_EUlS16_E_NS1_11comp_targetILNS1_3genE8ELNS1_11target_archE1030ELNS1_3gpuE2ELNS1_3repE0EEENS1_30default_config_static_selectorELNS0_4arch9wavefront6targetE0EEEvT1_
	.p2align	8
	.type	_ZN7rocprim17ROCPRIM_400000_NS6detail17trampoline_kernelINS0_14default_configENS1_25partition_config_selectorILNS1_17partition_subalgoE5EiNS0_10empty_typeEbEEZZNS1_14partition_implILS5_5ELb0ES3_mN6thrust23THRUST_200600_302600_NS6detail15normal_iteratorINSA_10device_ptrIiEEEEPS6_NSA_18transform_iteratorINSB_9not_fun_tINSA_8identityIiEEEESF_NSA_11use_defaultESM_EENS0_5tupleIJSF_S6_EEENSO_IJSG_SG_EEES6_PlJS6_EEE10hipError_tPvRmT3_T4_T5_T6_T7_T9_mT8_P12ihipStream_tbDpT10_ENKUlT_T0_E_clISt17integral_constantIbLb1EES1A_IbLb0EEEEDaS16_S17_EUlS16_E_NS1_11comp_targetILNS1_3genE8ELNS1_11target_archE1030ELNS1_3gpuE2ELNS1_3repE0EEENS1_30default_config_static_selectorELNS0_4arch9wavefront6targetE0EEEvT1_,@function
_ZN7rocprim17ROCPRIM_400000_NS6detail17trampoline_kernelINS0_14default_configENS1_25partition_config_selectorILNS1_17partition_subalgoE5EiNS0_10empty_typeEbEEZZNS1_14partition_implILS5_5ELb0ES3_mN6thrust23THRUST_200600_302600_NS6detail15normal_iteratorINSA_10device_ptrIiEEEEPS6_NSA_18transform_iteratorINSB_9not_fun_tINSA_8identityIiEEEESF_NSA_11use_defaultESM_EENS0_5tupleIJSF_S6_EEENSO_IJSG_SG_EEES6_PlJS6_EEE10hipError_tPvRmT3_T4_T5_T6_T7_T9_mT8_P12ihipStream_tbDpT10_ENKUlT_T0_E_clISt17integral_constantIbLb1EES1A_IbLb0EEEEDaS16_S17_EUlS16_E_NS1_11comp_targetILNS1_3genE8ELNS1_11target_archE1030ELNS1_3gpuE2ELNS1_3repE0EEENS1_30default_config_static_selectorELNS0_4arch9wavefront6targetE0EEEvT1_: ; @_ZN7rocprim17ROCPRIM_400000_NS6detail17trampoline_kernelINS0_14default_configENS1_25partition_config_selectorILNS1_17partition_subalgoE5EiNS0_10empty_typeEbEEZZNS1_14partition_implILS5_5ELb0ES3_mN6thrust23THRUST_200600_302600_NS6detail15normal_iteratorINSA_10device_ptrIiEEEEPS6_NSA_18transform_iteratorINSB_9not_fun_tINSA_8identityIiEEEESF_NSA_11use_defaultESM_EENS0_5tupleIJSF_S6_EEENSO_IJSG_SG_EEES6_PlJS6_EEE10hipError_tPvRmT3_T4_T5_T6_T7_T9_mT8_P12ihipStream_tbDpT10_ENKUlT_T0_E_clISt17integral_constantIbLb1EES1A_IbLb0EEEEDaS16_S17_EUlS16_E_NS1_11comp_targetILNS1_3genE8ELNS1_11target_archE1030ELNS1_3gpuE2ELNS1_3repE0EEENS1_30default_config_static_selectorELNS0_4arch9wavefront6targetE0EEEvT1_
; %bb.0:
	.section	.rodata,"a",@progbits
	.p2align	6, 0x0
	.amdhsa_kernel _ZN7rocprim17ROCPRIM_400000_NS6detail17trampoline_kernelINS0_14default_configENS1_25partition_config_selectorILNS1_17partition_subalgoE5EiNS0_10empty_typeEbEEZZNS1_14partition_implILS5_5ELb0ES3_mN6thrust23THRUST_200600_302600_NS6detail15normal_iteratorINSA_10device_ptrIiEEEEPS6_NSA_18transform_iteratorINSB_9not_fun_tINSA_8identityIiEEEESF_NSA_11use_defaultESM_EENS0_5tupleIJSF_S6_EEENSO_IJSG_SG_EEES6_PlJS6_EEE10hipError_tPvRmT3_T4_T5_T6_T7_T9_mT8_P12ihipStream_tbDpT10_ENKUlT_T0_E_clISt17integral_constantIbLb1EES1A_IbLb0EEEEDaS16_S17_EUlS16_E_NS1_11comp_targetILNS1_3genE8ELNS1_11target_archE1030ELNS1_3gpuE2ELNS1_3repE0EEENS1_30default_config_static_selectorELNS0_4arch9wavefront6targetE0EEEvT1_
		.amdhsa_group_segment_fixed_size 0
		.amdhsa_private_segment_fixed_size 0
		.amdhsa_kernarg_size 120
		.amdhsa_user_sgpr_count 2
		.amdhsa_user_sgpr_dispatch_ptr 0
		.amdhsa_user_sgpr_queue_ptr 0
		.amdhsa_user_sgpr_kernarg_segment_ptr 1
		.amdhsa_user_sgpr_dispatch_id 0
		.amdhsa_user_sgpr_private_segment_size 0
		.amdhsa_wavefront_size32 1
		.amdhsa_uses_dynamic_stack 0
		.amdhsa_enable_private_segment 0
		.amdhsa_system_sgpr_workgroup_id_x 1
		.amdhsa_system_sgpr_workgroup_id_y 0
		.amdhsa_system_sgpr_workgroup_id_z 0
		.amdhsa_system_sgpr_workgroup_info 0
		.amdhsa_system_vgpr_workitem_id 0
		.amdhsa_next_free_vgpr 1
		.amdhsa_next_free_sgpr 1
		.amdhsa_reserve_vcc 0
		.amdhsa_float_round_mode_32 0
		.amdhsa_float_round_mode_16_64 0
		.amdhsa_float_denorm_mode_32 3
		.amdhsa_float_denorm_mode_16_64 3
		.amdhsa_fp16_overflow 0
		.amdhsa_workgroup_processor_mode 1
		.amdhsa_memory_ordered 1
		.amdhsa_forward_progress 1
		.amdhsa_inst_pref_size 0
		.amdhsa_round_robin_scheduling 0
		.amdhsa_exception_fp_ieee_invalid_op 0
		.amdhsa_exception_fp_denorm_src 0
		.amdhsa_exception_fp_ieee_div_zero 0
		.amdhsa_exception_fp_ieee_overflow 0
		.amdhsa_exception_fp_ieee_underflow 0
		.amdhsa_exception_fp_ieee_inexact 0
		.amdhsa_exception_int_div_zero 0
	.end_amdhsa_kernel
	.section	.text._ZN7rocprim17ROCPRIM_400000_NS6detail17trampoline_kernelINS0_14default_configENS1_25partition_config_selectorILNS1_17partition_subalgoE5EiNS0_10empty_typeEbEEZZNS1_14partition_implILS5_5ELb0ES3_mN6thrust23THRUST_200600_302600_NS6detail15normal_iteratorINSA_10device_ptrIiEEEEPS6_NSA_18transform_iteratorINSB_9not_fun_tINSA_8identityIiEEEESF_NSA_11use_defaultESM_EENS0_5tupleIJSF_S6_EEENSO_IJSG_SG_EEES6_PlJS6_EEE10hipError_tPvRmT3_T4_T5_T6_T7_T9_mT8_P12ihipStream_tbDpT10_ENKUlT_T0_E_clISt17integral_constantIbLb1EES1A_IbLb0EEEEDaS16_S17_EUlS16_E_NS1_11comp_targetILNS1_3genE8ELNS1_11target_archE1030ELNS1_3gpuE2ELNS1_3repE0EEENS1_30default_config_static_selectorELNS0_4arch9wavefront6targetE0EEEvT1_,"axG",@progbits,_ZN7rocprim17ROCPRIM_400000_NS6detail17trampoline_kernelINS0_14default_configENS1_25partition_config_selectorILNS1_17partition_subalgoE5EiNS0_10empty_typeEbEEZZNS1_14partition_implILS5_5ELb0ES3_mN6thrust23THRUST_200600_302600_NS6detail15normal_iteratorINSA_10device_ptrIiEEEEPS6_NSA_18transform_iteratorINSB_9not_fun_tINSA_8identityIiEEEESF_NSA_11use_defaultESM_EENS0_5tupleIJSF_S6_EEENSO_IJSG_SG_EEES6_PlJS6_EEE10hipError_tPvRmT3_T4_T5_T6_T7_T9_mT8_P12ihipStream_tbDpT10_ENKUlT_T0_E_clISt17integral_constantIbLb1EES1A_IbLb0EEEEDaS16_S17_EUlS16_E_NS1_11comp_targetILNS1_3genE8ELNS1_11target_archE1030ELNS1_3gpuE2ELNS1_3repE0EEENS1_30default_config_static_selectorELNS0_4arch9wavefront6targetE0EEEvT1_,comdat
.Lfunc_end1004:
	.size	_ZN7rocprim17ROCPRIM_400000_NS6detail17trampoline_kernelINS0_14default_configENS1_25partition_config_selectorILNS1_17partition_subalgoE5EiNS0_10empty_typeEbEEZZNS1_14partition_implILS5_5ELb0ES3_mN6thrust23THRUST_200600_302600_NS6detail15normal_iteratorINSA_10device_ptrIiEEEEPS6_NSA_18transform_iteratorINSB_9not_fun_tINSA_8identityIiEEEESF_NSA_11use_defaultESM_EENS0_5tupleIJSF_S6_EEENSO_IJSG_SG_EEES6_PlJS6_EEE10hipError_tPvRmT3_T4_T5_T6_T7_T9_mT8_P12ihipStream_tbDpT10_ENKUlT_T0_E_clISt17integral_constantIbLb1EES1A_IbLb0EEEEDaS16_S17_EUlS16_E_NS1_11comp_targetILNS1_3genE8ELNS1_11target_archE1030ELNS1_3gpuE2ELNS1_3repE0EEENS1_30default_config_static_selectorELNS0_4arch9wavefront6targetE0EEEvT1_, .Lfunc_end1004-_ZN7rocprim17ROCPRIM_400000_NS6detail17trampoline_kernelINS0_14default_configENS1_25partition_config_selectorILNS1_17partition_subalgoE5EiNS0_10empty_typeEbEEZZNS1_14partition_implILS5_5ELb0ES3_mN6thrust23THRUST_200600_302600_NS6detail15normal_iteratorINSA_10device_ptrIiEEEEPS6_NSA_18transform_iteratorINSB_9not_fun_tINSA_8identityIiEEEESF_NSA_11use_defaultESM_EENS0_5tupleIJSF_S6_EEENSO_IJSG_SG_EEES6_PlJS6_EEE10hipError_tPvRmT3_T4_T5_T6_T7_T9_mT8_P12ihipStream_tbDpT10_ENKUlT_T0_E_clISt17integral_constantIbLb1EES1A_IbLb0EEEEDaS16_S17_EUlS16_E_NS1_11comp_targetILNS1_3genE8ELNS1_11target_archE1030ELNS1_3gpuE2ELNS1_3repE0EEENS1_30default_config_static_selectorELNS0_4arch9wavefront6targetE0EEEvT1_
                                        ; -- End function
	.set _ZN7rocprim17ROCPRIM_400000_NS6detail17trampoline_kernelINS0_14default_configENS1_25partition_config_selectorILNS1_17partition_subalgoE5EiNS0_10empty_typeEbEEZZNS1_14partition_implILS5_5ELb0ES3_mN6thrust23THRUST_200600_302600_NS6detail15normal_iteratorINSA_10device_ptrIiEEEEPS6_NSA_18transform_iteratorINSB_9not_fun_tINSA_8identityIiEEEESF_NSA_11use_defaultESM_EENS0_5tupleIJSF_S6_EEENSO_IJSG_SG_EEES6_PlJS6_EEE10hipError_tPvRmT3_T4_T5_T6_T7_T9_mT8_P12ihipStream_tbDpT10_ENKUlT_T0_E_clISt17integral_constantIbLb1EES1A_IbLb0EEEEDaS16_S17_EUlS16_E_NS1_11comp_targetILNS1_3genE8ELNS1_11target_archE1030ELNS1_3gpuE2ELNS1_3repE0EEENS1_30default_config_static_selectorELNS0_4arch9wavefront6targetE0EEEvT1_.num_vgpr, 0
	.set _ZN7rocprim17ROCPRIM_400000_NS6detail17trampoline_kernelINS0_14default_configENS1_25partition_config_selectorILNS1_17partition_subalgoE5EiNS0_10empty_typeEbEEZZNS1_14partition_implILS5_5ELb0ES3_mN6thrust23THRUST_200600_302600_NS6detail15normal_iteratorINSA_10device_ptrIiEEEEPS6_NSA_18transform_iteratorINSB_9not_fun_tINSA_8identityIiEEEESF_NSA_11use_defaultESM_EENS0_5tupleIJSF_S6_EEENSO_IJSG_SG_EEES6_PlJS6_EEE10hipError_tPvRmT3_T4_T5_T6_T7_T9_mT8_P12ihipStream_tbDpT10_ENKUlT_T0_E_clISt17integral_constantIbLb1EES1A_IbLb0EEEEDaS16_S17_EUlS16_E_NS1_11comp_targetILNS1_3genE8ELNS1_11target_archE1030ELNS1_3gpuE2ELNS1_3repE0EEENS1_30default_config_static_selectorELNS0_4arch9wavefront6targetE0EEEvT1_.num_agpr, 0
	.set _ZN7rocprim17ROCPRIM_400000_NS6detail17trampoline_kernelINS0_14default_configENS1_25partition_config_selectorILNS1_17partition_subalgoE5EiNS0_10empty_typeEbEEZZNS1_14partition_implILS5_5ELb0ES3_mN6thrust23THRUST_200600_302600_NS6detail15normal_iteratorINSA_10device_ptrIiEEEEPS6_NSA_18transform_iteratorINSB_9not_fun_tINSA_8identityIiEEEESF_NSA_11use_defaultESM_EENS0_5tupleIJSF_S6_EEENSO_IJSG_SG_EEES6_PlJS6_EEE10hipError_tPvRmT3_T4_T5_T6_T7_T9_mT8_P12ihipStream_tbDpT10_ENKUlT_T0_E_clISt17integral_constantIbLb1EES1A_IbLb0EEEEDaS16_S17_EUlS16_E_NS1_11comp_targetILNS1_3genE8ELNS1_11target_archE1030ELNS1_3gpuE2ELNS1_3repE0EEENS1_30default_config_static_selectorELNS0_4arch9wavefront6targetE0EEEvT1_.numbered_sgpr, 0
	.set _ZN7rocprim17ROCPRIM_400000_NS6detail17trampoline_kernelINS0_14default_configENS1_25partition_config_selectorILNS1_17partition_subalgoE5EiNS0_10empty_typeEbEEZZNS1_14partition_implILS5_5ELb0ES3_mN6thrust23THRUST_200600_302600_NS6detail15normal_iteratorINSA_10device_ptrIiEEEEPS6_NSA_18transform_iteratorINSB_9not_fun_tINSA_8identityIiEEEESF_NSA_11use_defaultESM_EENS0_5tupleIJSF_S6_EEENSO_IJSG_SG_EEES6_PlJS6_EEE10hipError_tPvRmT3_T4_T5_T6_T7_T9_mT8_P12ihipStream_tbDpT10_ENKUlT_T0_E_clISt17integral_constantIbLb1EES1A_IbLb0EEEEDaS16_S17_EUlS16_E_NS1_11comp_targetILNS1_3genE8ELNS1_11target_archE1030ELNS1_3gpuE2ELNS1_3repE0EEENS1_30default_config_static_selectorELNS0_4arch9wavefront6targetE0EEEvT1_.num_named_barrier, 0
	.set _ZN7rocprim17ROCPRIM_400000_NS6detail17trampoline_kernelINS0_14default_configENS1_25partition_config_selectorILNS1_17partition_subalgoE5EiNS0_10empty_typeEbEEZZNS1_14partition_implILS5_5ELb0ES3_mN6thrust23THRUST_200600_302600_NS6detail15normal_iteratorINSA_10device_ptrIiEEEEPS6_NSA_18transform_iteratorINSB_9not_fun_tINSA_8identityIiEEEESF_NSA_11use_defaultESM_EENS0_5tupleIJSF_S6_EEENSO_IJSG_SG_EEES6_PlJS6_EEE10hipError_tPvRmT3_T4_T5_T6_T7_T9_mT8_P12ihipStream_tbDpT10_ENKUlT_T0_E_clISt17integral_constantIbLb1EES1A_IbLb0EEEEDaS16_S17_EUlS16_E_NS1_11comp_targetILNS1_3genE8ELNS1_11target_archE1030ELNS1_3gpuE2ELNS1_3repE0EEENS1_30default_config_static_selectorELNS0_4arch9wavefront6targetE0EEEvT1_.private_seg_size, 0
	.set _ZN7rocprim17ROCPRIM_400000_NS6detail17trampoline_kernelINS0_14default_configENS1_25partition_config_selectorILNS1_17partition_subalgoE5EiNS0_10empty_typeEbEEZZNS1_14partition_implILS5_5ELb0ES3_mN6thrust23THRUST_200600_302600_NS6detail15normal_iteratorINSA_10device_ptrIiEEEEPS6_NSA_18transform_iteratorINSB_9not_fun_tINSA_8identityIiEEEESF_NSA_11use_defaultESM_EENS0_5tupleIJSF_S6_EEENSO_IJSG_SG_EEES6_PlJS6_EEE10hipError_tPvRmT3_T4_T5_T6_T7_T9_mT8_P12ihipStream_tbDpT10_ENKUlT_T0_E_clISt17integral_constantIbLb1EES1A_IbLb0EEEEDaS16_S17_EUlS16_E_NS1_11comp_targetILNS1_3genE8ELNS1_11target_archE1030ELNS1_3gpuE2ELNS1_3repE0EEENS1_30default_config_static_selectorELNS0_4arch9wavefront6targetE0EEEvT1_.uses_vcc, 0
	.set _ZN7rocprim17ROCPRIM_400000_NS6detail17trampoline_kernelINS0_14default_configENS1_25partition_config_selectorILNS1_17partition_subalgoE5EiNS0_10empty_typeEbEEZZNS1_14partition_implILS5_5ELb0ES3_mN6thrust23THRUST_200600_302600_NS6detail15normal_iteratorINSA_10device_ptrIiEEEEPS6_NSA_18transform_iteratorINSB_9not_fun_tINSA_8identityIiEEEESF_NSA_11use_defaultESM_EENS0_5tupleIJSF_S6_EEENSO_IJSG_SG_EEES6_PlJS6_EEE10hipError_tPvRmT3_T4_T5_T6_T7_T9_mT8_P12ihipStream_tbDpT10_ENKUlT_T0_E_clISt17integral_constantIbLb1EES1A_IbLb0EEEEDaS16_S17_EUlS16_E_NS1_11comp_targetILNS1_3genE8ELNS1_11target_archE1030ELNS1_3gpuE2ELNS1_3repE0EEENS1_30default_config_static_selectorELNS0_4arch9wavefront6targetE0EEEvT1_.uses_flat_scratch, 0
	.set _ZN7rocprim17ROCPRIM_400000_NS6detail17trampoline_kernelINS0_14default_configENS1_25partition_config_selectorILNS1_17partition_subalgoE5EiNS0_10empty_typeEbEEZZNS1_14partition_implILS5_5ELb0ES3_mN6thrust23THRUST_200600_302600_NS6detail15normal_iteratorINSA_10device_ptrIiEEEEPS6_NSA_18transform_iteratorINSB_9not_fun_tINSA_8identityIiEEEESF_NSA_11use_defaultESM_EENS0_5tupleIJSF_S6_EEENSO_IJSG_SG_EEES6_PlJS6_EEE10hipError_tPvRmT3_T4_T5_T6_T7_T9_mT8_P12ihipStream_tbDpT10_ENKUlT_T0_E_clISt17integral_constantIbLb1EES1A_IbLb0EEEEDaS16_S17_EUlS16_E_NS1_11comp_targetILNS1_3genE8ELNS1_11target_archE1030ELNS1_3gpuE2ELNS1_3repE0EEENS1_30default_config_static_selectorELNS0_4arch9wavefront6targetE0EEEvT1_.has_dyn_sized_stack, 0
	.set _ZN7rocprim17ROCPRIM_400000_NS6detail17trampoline_kernelINS0_14default_configENS1_25partition_config_selectorILNS1_17partition_subalgoE5EiNS0_10empty_typeEbEEZZNS1_14partition_implILS5_5ELb0ES3_mN6thrust23THRUST_200600_302600_NS6detail15normal_iteratorINSA_10device_ptrIiEEEEPS6_NSA_18transform_iteratorINSB_9not_fun_tINSA_8identityIiEEEESF_NSA_11use_defaultESM_EENS0_5tupleIJSF_S6_EEENSO_IJSG_SG_EEES6_PlJS6_EEE10hipError_tPvRmT3_T4_T5_T6_T7_T9_mT8_P12ihipStream_tbDpT10_ENKUlT_T0_E_clISt17integral_constantIbLb1EES1A_IbLb0EEEEDaS16_S17_EUlS16_E_NS1_11comp_targetILNS1_3genE8ELNS1_11target_archE1030ELNS1_3gpuE2ELNS1_3repE0EEENS1_30default_config_static_selectorELNS0_4arch9wavefront6targetE0EEEvT1_.has_recursion, 0
	.set _ZN7rocprim17ROCPRIM_400000_NS6detail17trampoline_kernelINS0_14default_configENS1_25partition_config_selectorILNS1_17partition_subalgoE5EiNS0_10empty_typeEbEEZZNS1_14partition_implILS5_5ELb0ES3_mN6thrust23THRUST_200600_302600_NS6detail15normal_iteratorINSA_10device_ptrIiEEEEPS6_NSA_18transform_iteratorINSB_9not_fun_tINSA_8identityIiEEEESF_NSA_11use_defaultESM_EENS0_5tupleIJSF_S6_EEENSO_IJSG_SG_EEES6_PlJS6_EEE10hipError_tPvRmT3_T4_T5_T6_T7_T9_mT8_P12ihipStream_tbDpT10_ENKUlT_T0_E_clISt17integral_constantIbLb1EES1A_IbLb0EEEEDaS16_S17_EUlS16_E_NS1_11comp_targetILNS1_3genE8ELNS1_11target_archE1030ELNS1_3gpuE2ELNS1_3repE0EEENS1_30default_config_static_selectorELNS0_4arch9wavefront6targetE0EEEvT1_.has_indirect_call, 0
	.section	.AMDGPU.csdata,"",@progbits
; Kernel info:
; codeLenInByte = 0
; TotalNumSgprs: 0
; NumVgprs: 0
; ScratchSize: 0
; MemoryBound: 0
; FloatMode: 240
; IeeeMode: 1
; LDSByteSize: 0 bytes/workgroup (compile time only)
; SGPRBlocks: 0
; VGPRBlocks: 0
; NumSGPRsForWavesPerEU: 1
; NumVGPRsForWavesPerEU: 1
; Occupancy: 16
; WaveLimiterHint : 0
; COMPUTE_PGM_RSRC2:SCRATCH_EN: 0
; COMPUTE_PGM_RSRC2:USER_SGPR: 2
; COMPUTE_PGM_RSRC2:TRAP_HANDLER: 0
; COMPUTE_PGM_RSRC2:TGID_X_EN: 1
; COMPUTE_PGM_RSRC2:TGID_Y_EN: 0
; COMPUTE_PGM_RSRC2:TGID_Z_EN: 0
; COMPUTE_PGM_RSRC2:TIDIG_COMP_CNT: 0
	.section	.text._ZN7rocprim17ROCPRIM_400000_NS6detail17trampoline_kernelINS0_14default_configENS1_25partition_config_selectorILNS1_17partition_subalgoE5EiNS0_10empty_typeEbEEZZNS1_14partition_implILS5_5ELb0ES3_mN6thrust23THRUST_200600_302600_NS6detail15normal_iteratorINSA_10device_ptrIiEEEEPS6_NSA_18transform_iteratorINSB_9not_fun_tINSA_8identityIiEEEESF_NSA_11use_defaultESM_EENS0_5tupleIJSF_S6_EEENSO_IJSG_SG_EEES6_PlJS6_EEE10hipError_tPvRmT3_T4_T5_T6_T7_T9_mT8_P12ihipStream_tbDpT10_ENKUlT_T0_E_clISt17integral_constantIbLb0EES1A_IbLb1EEEEDaS16_S17_EUlS16_E_NS1_11comp_targetILNS1_3genE0ELNS1_11target_archE4294967295ELNS1_3gpuE0ELNS1_3repE0EEENS1_30default_config_static_selectorELNS0_4arch9wavefront6targetE0EEEvT1_,"axG",@progbits,_ZN7rocprim17ROCPRIM_400000_NS6detail17trampoline_kernelINS0_14default_configENS1_25partition_config_selectorILNS1_17partition_subalgoE5EiNS0_10empty_typeEbEEZZNS1_14partition_implILS5_5ELb0ES3_mN6thrust23THRUST_200600_302600_NS6detail15normal_iteratorINSA_10device_ptrIiEEEEPS6_NSA_18transform_iteratorINSB_9not_fun_tINSA_8identityIiEEEESF_NSA_11use_defaultESM_EENS0_5tupleIJSF_S6_EEENSO_IJSG_SG_EEES6_PlJS6_EEE10hipError_tPvRmT3_T4_T5_T6_T7_T9_mT8_P12ihipStream_tbDpT10_ENKUlT_T0_E_clISt17integral_constantIbLb0EES1A_IbLb1EEEEDaS16_S17_EUlS16_E_NS1_11comp_targetILNS1_3genE0ELNS1_11target_archE4294967295ELNS1_3gpuE0ELNS1_3repE0EEENS1_30default_config_static_selectorELNS0_4arch9wavefront6targetE0EEEvT1_,comdat
	.protected	_ZN7rocprim17ROCPRIM_400000_NS6detail17trampoline_kernelINS0_14default_configENS1_25partition_config_selectorILNS1_17partition_subalgoE5EiNS0_10empty_typeEbEEZZNS1_14partition_implILS5_5ELb0ES3_mN6thrust23THRUST_200600_302600_NS6detail15normal_iteratorINSA_10device_ptrIiEEEEPS6_NSA_18transform_iteratorINSB_9not_fun_tINSA_8identityIiEEEESF_NSA_11use_defaultESM_EENS0_5tupleIJSF_S6_EEENSO_IJSG_SG_EEES6_PlJS6_EEE10hipError_tPvRmT3_T4_T5_T6_T7_T9_mT8_P12ihipStream_tbDpT10_ENKUlT_T0_E_clISt17integral_constantIbLb0EES1A_IbLb1EEEEDaS16_S17_EUlS16_E_NS1_11comp_targetILNS1_3genE0ELNS1_11target_archE4294967295ELNS1_3gpuE0ELNS1_3repE0EEENS1_30default_config_static_selectorELNS0_4arch9wavefront6targetE0EEEvT1_ ; -- Begin function _ZN7rocprim17ROCPRIM_400000_NS6detail17trampoline_kernelINS0_14default_configENS1_25partition_config_selectorILNS1_17partition_subalgoE5EiNS0_10empty_typeEbEEZZNS1_14partition_implILS5_5ELb0ES3_mN6thrust23THRUST_200600_302600_NS6detail15normal_iteratorINSA_10device_ptrIiEEEEPS6_NSA_18transform_iteratorINSB_9not_fun_tINSA_8identityIiEEEESF_NSA_11use_defaultESM_EENS0_5tupleIJSF_S6_EEENSO_IJSG_SG_EEES6_PlJS6_EEE10hipError_tPvRmT3_T4_T5_T6_T7_T9_mT8_P12ihipStream_tbDpT10_ENKUlT_T0_E_clISt17integral_constantIbLb0EES1A_IbLb1EEEEDaS16_S17_EUlS16_E_NS1_11comp_targetILNS1_3genE0ELNS1_11target_archE4294967295ELNS1_3gpuE0ELNS1_3repE0EEENS1_30default_config_static_selectorELNS0_4arch9wavefront6targetE0EEEvT1_
	.globl	_ZN7rocprim17ROCPRIM_400000_NS6detail17trampoline_kernelINS0_14default_configENS1_25partition_config_selectorILNS1_17partition_subalgoE5EiNS0_10empty_typeEbEEZZNS1_14partition_implILS5_5ELb0ES3_mN6thrust23THRUST_200600_302600_NS6detail15normal_iteratorINSA_10device_ptrIiEEEEPS6_NSA_18transform_iteratorINSB_9not_fun_tINSA_8identityIiEEEESF_NSA_11use_defaultESM_EENS0_5tupleIJSF_S6_EEENSO_IJSG_SG_EEES6_PlJS6_EEE10hipError_tPvRmT3_T4_T5_T6_T7_T9_mT8_P12ihipStream_tbDpT10_ENKUlT_T0_E_clISt17integral_constantIbLb0EES1A_IbLb1EEEEDaS16_S17_EUlS16_E_NS1_11comp_targetILNS1_3genE0ELNS1_11target_archE4294967295ELNS1_3gpuE0ELNS1_3repE0EEENS1_30default_config_static_selectorELNS0_4arch9wavefront6targetE0EEEvT1_
	.p2align	8
	.type	_ZN7rocprim17ROCPRIM_400000_NS6detail17trampoline_kernelINS0_14default_configENS1_25partition_config_selectorILNS1_17partition_subalgoE5EiNS0_10empty_typeEbEEZZNS1_14partition_implILS5_5ELb0ES3_mN6thrust23THRUST_200600_302600_NS6detail15normal_iteratorINSA_10device_ptrIiEEEEPS6_NSA_18transform_iteratorINSB_9not_fun_tINSA_8identityIiEEEESF_NSA_11use_defaultESM_EENS0_5tupleIJSF_S6_EEENSO_IJSG_SG_EEES6_PlJS6_EEE10hipError_tPvRmT3_T4_T5_T6_T7_T9_mT8_P12ihipStream_tbDpT10_ENKUlT_T0_E_clISt17integral_constantIbLb0EES1A_IbLb1EEEEDaS16_S17_EUlS16_E_NS1_11comp_targetILNS1_3genE0ELNS1_11target_archE4294967295ELNS1_3gpuE0ELNS1_3repE0EEENS1_30default_config_static_selectorELNS0_4arch9wavefront6targetE0EEEvT1_,@function
_ZN7rocprim17ROCPRIM_400000_NS6detail17trampoline_kernelINS0_14default_configENS1_25partition_config_selectorILNS1_17partition_subalgoE5EiNS0_10empty_typeEbEEZZNS1_14partition_implILS5_5ELb0ES3_mN6thrust23THRUST_200600_302600_NS6detail15normal_iteratorINSA_10device_ptrIiEEEEPS6_NSA_18transform_iteratorINSB_9not_fun_tINSA_8identityIiEEEESF_NSA_11use_defaultESM_EENS0_5tupleIJSF_S6_EEENSO_IJSG_SG_EEES6_PlJS6_EEE10hipError_tPvRmT3_T4_T5_T6_T7_T9_mT8_P12ihipStream_tbDpT10_ENKUlT_T0_E_clISt17integral_constantIbLb0EES1A_IbLb1EEEEDaS16_S17_EUlS16_E_NS1_11comp_targetILNS1_3genE0ELNS1_11target_archE4294967295ELNS1_3gpuE0ELNS1_3repE0EEENS1_30default_config_static_selectorELNS0_4arch9wavefront6targetE0EEEvT1_: ; @_ZN7rocprim17ROCPRIM_400000_NS6detail17trampoline_kernelINS0_14default_configENS1_25partition_config_selectorILNS1_17partition_subalgoE5EiNS0_10empty_typeEbEEZZNS1_14partition_implILS5_5ELb0ES3_mN6thrust23THRUST_200600_302600_NS6detail15normal_iteratorINSA_10device_ptrIiEEEEPS6_NSA_18transform_iteratorINSB_9not_fun_tINSA_8identityIiEEEESF_NSA_11use_defaultESM_EENS0_5tupleIJSF_S6_EEENSO_IJSG_SG_EEES6_PlJS6_EEE10hipError_tPvRmT3_T4_T5_T6_T7_T9_mT8_P12ihipStream_tbDpT10_ENKUlT_T0_E_clISt17integral_constantIbLb0EES1A_IbLb1EEEEDaS16_S17_EUlS16_E_NS1_11comp_targetILNS1_3genE0ELNS1_11target_archE4294967295ELNS1_3gpuE0ELNS1_3repE0EEENS1_30default_config_static_selectorELNS0_4arch9wavefront6targetE0EEEvT1_
; %bb.0:
	.section	.rodata,"a",@progbits
	.p2align	6, 0x0
	.amdhsa_kernel _ZN7rocprim17ROCPRIM_400000_NS6detail17trampoline_kernelINS0_14default_configENS1_25partition_config_selectorILNS1_17partition_subalgoE5EiNS0_10empty_typeEbEEZZNS1_14partition_implILS5_5ELb0ES3_mN6thrust23THRUST_200600_302600_NS6detail15normal_iteratorINSA_10device_ptrIiEEEEPS6_NSA_18transform_iteratorINSB_9not_fun_tINSA_8identityIiEEEESF_NSA_11use_defaultESM_EENS0_5tupleIJSF_S6_EEENSO_IJSG_SG_EEES6_PlJS6_EEE10hipError_tPvRmT3_T4_T5_T6_T7_T9_mT8_P12ihipStream_tbDpT10_ENKUlT_T0_E_clISt17integral_constantIbLb0EES1A_IbLb1EEEEDaS16_S17_EUlS16_E_NS1_11comp_targetILNS1_3genE0ELNS1_11target_archE4294967295ELNS1_3gpuE0ELNS1_3repE0EEENS1_30default_config_static_selectorELNS0_4arch9wavefront6targetE0EEEvT1_
		.amdhsa_group_segment_fixed_size 0
		.amdhsa_private_segment_fixed_size 0
		.amdhsa_kernarg_size 136
		.amdhsa_user_sgpr_count 2
		.amdhsa_user_sgpr_dispatch_ptr 0
		.amdhsa_user_sgpr_queue_ptr 0
		.amdhsa_user_sgpr_kernarg_segment_ptr 1
		.amdhsa_user_sgpr_dispatch_id 0
		.amdhsa_user_sgpr_private_segment_size 0
		.amdhsa_wavefront_size32 1
		.amdhsa_uses_dynamic_stack 0
		.amdhsa_enable_private_segment 0
		.amdhsa_system_sgpr_workgroup_id_x 1
		.amdhsa_system_sgpr_workgroup_id_y 0
		.amdhsa_system_sgpr_workgroup_id_z 0
		.amdhsa_system_sgpr_workgroup_info 0
		.amdhsa_system_vgpr_workitem_id 0
		.amdhsa_next_free_vgpr 1
		.amdhsa_next_free_sgpr 1
		.amdhsa_reserve_vcc 0
		.amdhsa_float_round_mode_32 0
		.amdhsa_float_round_mode_16_64 0
		.amdhsa_float_denorm_mode_32 3
		.amdhsa_float_denorm_mode_16_64 3
		.amdhsa_fp16_overflow 0
		.amdhsa_workgroup_processor_mode 1
		.amdhsa_memory_ordered 1
		.amdhsa_forward_progress 1
		.amdhsa_inst_pref_size 0
		.amdhsa_round_robin_scheduling 0
		.amdhsa_exception_fp_ieee_invalid_op 0
		.amdhsa_exception_fp_denorm_src 0
		.amdhsa_exception_fp_ieee_div_zero 0
		.amdhsa_exception_fp_ieee_overflow 0
		.amdhsa_exception_fp_ieee_underflow 0
		.amdhsa_exception_fp_ieee_inexact 0
		.amdhsa_exception_int_div_zero 0
	.end_amdhsa_kernel
	.section	.text._ZN7rocprim17ROCPRIM_400000_NS6detail17trampoline_kernelINS0_14default_configENS1_25partition_config_selectorILNS1_17partition_subalgoE5EiNS0_10empty_typeEbEEZZNS1_14partition_implILS5_5ELb0ES3_mN6thrust23THRUST_200600_302600_NS6detail15normal_iteratorINSA_10device_ptrIiEEEEPS6_NSA_18transform_iteratorINSB_9not_fun_tINSA_8identityIiEEEESF_NSA_11use_defaultESM_EENS0_5tupleIJSF_S6_EEENSO_IJSG_SG_EEES6_PlJS6_EEE10hipError_tPvRmT3_T4_T5_T6_T7_T9_mT8_P12ihipStream_tbDpT10_ENKUlT_T0_E_clISt17integral_constantIbLb0EES1A_IbLb1EEEEDaS16_S17_EUlS16_E_NS1_11comp_targetILNS1_3genE0ELNS1_11target_archE4294967295ELNS1_3gpuE0ELNS1_3repE0EEENS1_30default_config_static_selectorELNS0_4arch9wavefront6targetE0EEEvT1_,"axG",@progbits,_ZN7rocprim17ROCPRIM_400000_NS6detail17trampoline_kernelINS0_14default_configENS1_25partition_config_selectorILNS1_17partition_subalgoE5EiNS0_10empty_typeEbEEZZNS1_14partition_implILS5_5ELb0ES3_mN6thrust23THRUST_200600_302600_NS6detail15normal_iteratorINSA_10device_ptrIiEEEEPS6_NSA_18transform_iteratorINSB_9not_fun_tINSA_8identityIiEEEESF_NSA_11use_defaultESM_EENS0_5tupleIJSF_S6_EEENSO_IJSG_SG_EEES6_PlJS6_EEE10hipError_tPvRmT3_T4_T5_T6_T7_T9_mT8_P12ihipStream_tbDpT10_ENKUlT_T0_E_clISt17integral_constantIbLb0EES1A_IbLb1EEEEDaS16_S17_EUlS16_E_NS1_11comp_targetILNS1_3genE0ELNS1_11target_archE4294967295ELNS1_3gpuE0ELNS1_3repE0EEENS1_30default_config_static_selectorELNS0_4arch9wavefront6targetE0EEEvT1_,comdat
.Lfunc_end1005:
	.size	_ZN7rocprim17ROCPRIM_400000_NS6detail17trampoline_kernelINS0_14default_configENS1_25partition_config_selectorILNS1_17partition_subalgoE5EiNS0_10empty_typeEbEEZZNS1_14partition_implILS5_5ELb0ES3_mN6thrust23THRUST_200600_302600_NS6detail15normal_iteratorINSA_10device_ptrIiEEEEPS6_NSA_18transform_iteratorINSB_9not_fun_tINSA_8identityIiEEEESF_NSA_11use_defaultESM_EENS0_5tupleIJSF_S6_EEENSO_IJSG_SG_EEES6_PlJS6_EEE10hipError_tPvRmT3_T4_T5_T6_T7_T9_mT8_P12ihipStream_tbDpT10_ENKUlT_T0_E_clISt17integral_constantIbLb0EES1A_IbLb1EEEEDaS16_S17_EUlS16_E_NS1_11comp_targetILNS1_3genE0ELNS1_11target_archE4294967295ELNS1_3gpuE0ELNS1_3repE0EEENS1_30default_config_static_selectorELNS0_4arch9wavefront6targetE0EEEvT1_, .Lfunc_end1005-_ZN7rocprim17ROCPRIM_400000_NS6detail17trampoline_kernelINS0_14default_configENS1_25partition_config_selectorILNS1_17partition_subalgoE5EiNS0_10empty_typeEbEEZZNS1_14partition_implILS5_5ELb0ES3_mN6thrust23THRUST_200600_302600_NS6detail15normal_iteratorINSA_10device_ptrIiEEEEPS6_NSA_18transform_iteratorINSB_9not_fun_tINSA_8identityIiEEEESF_NSA_11use_defaultESM_EENS0_5tupleIJSF_S6_EEENSO_IJSG_SG_EEES6_PlJS6_EEE10hipError_tPvRmT3_T4_T5_T6_T7_T9_mT8_P12ihipStream_tbDpT10_ENKUlT_T0_E_clISt17integral_constantIbLb0EES1A_IbLb1EEEEDaS16_S17_EUlS16_E_NS1_11comp_targetILNS1_3genE0ELNS1_11target_archE4294967295ELNS1_3gpuE0ELNS1_3repE0EEENS1_30default_config_static_selectorELNS0_4arch9wavefront6targetE0EEEvT1_
                                        ; -- End function
	.set _ZN7rocprim17ROCPRIM_400000_NS6detail17trampoline_kernelINS0_14default_configENS1_25partition_config_selectorILNS1_17partition_subalgoE5EiNS0_10empty_typeEbEEZZNS1_14partition_implILS5_5ELb0ES3_mN6thrust23THRUST_200600_302600_NS6detail15normal_iteratorINSA_10device_ptrIiEEEEPS6_NSA_18transform_iteratorINSB_9not_fun_tINSA_8identityIiEEEESF_NSA_11use_defaultESM_EENS0_5tupleIJSF_S6_EEENSO_IJSG_SG_EEES6_PlJS6_EEE10hipError_tPvRmT3_T4_T5_T6_T7_T9_mT8_P12ihipStream_tbDpT10_ENKUlT_T0_E_clISt17integral_constantIbLb0EES1A_IbLb1EEEEDaS16_S17_EUlS16_E_NS1_11comp_targetILNS1_3genE0ELNS1_11target_archE4294967295ELNS1_3gpuE0ELNS1_3repE0EEENS1_30default_config_static_selectorELNS0_4arch9wavefront6targetE0EEEvT1_.num_vgpr, 0
	.set _ZN7rocprim17ROCPRIM_400000_NS6detail17trampoline_kernelINS0_14default_configENS1_25partition_config_selectorILNS1_17partition_subalgoE5EiNS0_10empty_typeEbEEZZNS1_14partition_implILS5_5ELb0ES3_mN6thrust23THRUST_200600_302600_NS6detail15normal_iteratorINSA_10device_ptrIiEEEEPS6_NSA_18transform_iteratorINSB_9not_fun_tINSA_8identityIiEEEESF_NSA_11use_defaultESM_EENS0_5tupleIJSF_S6_EEENSO_IJSG_SG_EEES6_PlJS6_EEE10hipError_tPvRmT3_T4_T5_T6_T7_T9_mT8_P12ihipStream_tbDpT10_ENKUlT_T0_E_clISt17integral_constantIbLb0EES1A_IbLb1EEEEDaS16_S17_EUlS16_E_NS1_11comp_targetILNS1_3genE0ELNS1_11target_archE4294967295ELNS1_3gpuE0ELNS1_3repE0EEENS1_30default_config_static_selectorELNS0_4arch9wavefront6targetE0EEEvT1_.num_agpr, 0
	.set _ZN7rocprim17ROCPRIM_400000_NS6detail17trampoline_kernelINS0_14default_configENS1_25partition_config_selectorILNS1_17partition_subalgoE5EiNS0_10empty_typeEbEEZZNS1_14partition_implILS5_5ELb0ES3_mN6thrust23THRUST_200600_302600_NS6detail15normal_iteratorINSA_10device_ptrIiEEEEPS6_NSA_18transform_iteratorINSB_9not_fun_tINSA_8identityIiEEEESF_NSA_11use_defaultESM_EENS0_5tupleIJSF_S6_EEENSO_IJSG_SG_EEES6_PlJS6_EEE10hipError_tPvRmT3_T4_T5_T6_T7_T9_mT8_P12ihipStream_tbDpT10_ENKUlT_T0_E_clISt17integral_constantIbLb0EES1A_IbLb1EEEEDaS16_S17_EUlS16_E_NS1_11comp_targetILNS1_3genE0ELNS1_11target_archE4294967295ELNS1_3gpuE0ELNS1_3repE0EEENS1_30default_config_static_selectorELNS0_4arch9wavefront6targetE0EEEvT1_.numbered_sgpr, 0
	.set _ZN7rocprim17ROCPRIM_400000_NS6detail17trampoline_kernelINS0_14default_configENS1_25partition_config_selectorILNS1_17partition_subalgoE5EiNS0_10empty_typeEbEEZZNS1_14partition_implILS5_5ELb0ES3_mN6thrust23THRUST_200600_302600_NS6detail15normal_iteratorINSA_10device_ptrIiEEEEPS6_NSA_18transform_iteratorINSB_9not_fun_tINSA_8identityIiEEEESF_NSA_11use_defaultESM_EENS0_5tupleIJSF_S6_EEENSO_IJSG_SG_EEES6_PlJS6_EEE10hipError_tPvRmT3_T4_T5_T6_T7_T9_mT8_P12ihipStream_tbDpT10_ENKUlT_T0_E_clISt17integral_constantIbLb0EES1A_IbLb1EEEEDaS16_S17_EUlS16_E_NS1_11comp_targetILNS1_3genE0ELNS1_11target_archE4294967295ELNS1_3gpuE0ELNS1_3repE0EEENS1_30default_config_static_selectorELNS0_4arch9wavefront6targetE0EEEvT1_.num_named_barrier, 0
	.set _ZN7rocprim17ROCPRIM_400000_NS6detail17trampoline_kernelINS0_14default_configENS1_25partition_config_selectorILNS1_17partition_subalgoE5EiNS0_10empty_typeEbEEZZNS1_14partition_implILS5_5ELb0ES3_mN6thrust23THRUST_200600_302600_NS6detail15normal_iteratorINSA_10device_ptrIiEEEEPS6_NSA_18transform_iteratorINSB_9not_fun_tINSA_8identityIiEEEESF_NSA_11use_defaultESM_EENS0_5tupleIJSF_S6_EEENSO_IJSG_SG_EEES6_PlJS6_EEE10hipError_tPvRmT3_T4_T5_T6_T7_T9_mT8_P12ihipStream_tbDpT10_ENKUlT_T0_E_clISt17integral_constantIbLb0EES1A_IbLb1EEEEDaS16_S17_EUlS16_E_NS1_11comp_targetILNS1_3genE0ELNS1_11target_archE4294967295ELNS1_3gpuE0ELNS1_3repE0EEENS1_30default_config_static_selectorELNS0_4arch9wavefront6targetE0EEEvT1_.private_seg_size, 0
	.set _ZN7rocprim17ROCPRIM_400000_NS6detail17trampoline_kernelINS0_14default_configENS1_25partition_config_selectorILNS1_17partition_subalgoE5EiNS0_10empty_typeEbEEZZNS1_14partition_implILS5_5ELb0ES3_mN6thrust23THRUST_200600_302600_NS6detail15normal_iteratorINSA_10device_ptrIiEEEEPS6_NSA_18transform_iteratorINSB_9not_fun_tINSA_8identityIiEEEESF_NSA_11use_defaultESM_EENS0_5tupleIJSF_S6_EEENSO_IJSG_SG_EEES6_PlJS6_EEE10hipError_tPvRmT3_T4_T5_T6_T7_T9_mT8_P12ihipStream_tbDpT10_ENKUlT_T0_E_clISt17integral_constantIbLb0EES1A_IbLb1EEEEDaS16_S17_EUlS16_E_NS1_11comp_targetILNS1_3genE0ELNS1_11target_archE4294967295ELNS1_3gpuE0ELNS1_3repE0EEENS1_30default_config_static_selectorELNS0_4arch9wavefront6targetE0EEEvT1_.uses_vcc, 0
	.set _ZN7rocprim17ROCPRIM_400000_NS6detail17trampoline_kernelINS0_14default_configENS1_25partition_config_selectorILNS1_17partition_subalgoE5EiNS0_10empty_typeEbEEZZNS1_14partition_implILS5_5ELb0ES3_mN6thrust23THRUST_200600_302600_NS6detail15normal_iteratorINSA_10device_ptrIiEEEEPS6_NSA_18transform_iteratorINSB_9not_fun_tINSA_8identityIiEEEESF_NSA_11use_defaultESM_EENS0_5tupleIJSF_S6_EEENSO_IJSG_SG_EEES6_PlJS6_EEE10hipError_tPvRmT3_T4_T5_T6_T7_T9_mT8_P12ihipStream_tbDpT10_ENKUlT_T0_E_clISt17integral_constantIbLb0EES1A_IbLb1EEEEDaS16_S17_EUlS16_E_NS1_11comp_targetILNS1_3genE0ELNS1_11target_archE4294967295ELNS1_3gpuE0ELNS1_3repE0EEENS1_30default_config_static_selectorELNS0_4arch9wavefront6targetE0EEEvT1_.uses_flat_scratch, 0
	.set _ZN7rocprim17ROCPRIM_400000_NS6detail17trampoline_kernelINS0_14default_configENS1_25partition_config_selectorILNS1_17partition_subalgoE5EiNS0_10empty_typeEbEEZZNS1_14partition_implILS5_5ELb0ES3_mN6thrust23THRUST_200600_302600_NS6detail15normal_iteratorINSA_10device_ptrIiEEEEPS6_NSA_18transform_iteratorINSB_9not_fun_tINSA_8identityIiEEEESF_NSA_11use_defaultESM_EENS0_5tupleIJSF_S6_EEENSO_IJSG_SG_EEES6_PlJS6_EEE10hipError_tPvRmT3_T4_T5_T6_T7_T9_mT8_P12ihipStream_tbDpT10_ENKUlT_T0_E_clISt17integral_constantIbLb0EES1A_IbLb1EEEEDaS16_S17_EUlS16_E_NS1_11comp_targetILNS1_3genE0ELNS1_11target_archE4294967295ELNS1_3gpuE0ELNS1_3repE0EEENS1_30default_config_static_selectorELNS0_4arch9wavefront6targetE0EEEvT1_.has_dyn_sized_stack, 0
	.set _ZN7rocprim17ROCPRIM_400000_NS6detail17trampoline_kernelINS0_14default_configENS1_25partition_config_selectorILNS1_17partition_subalgoE5EiNS0_10empty_typeEbEEZZNS1_14partition_implILS5_5ELb0ES3_mN6thrust23THRUST_200600_302600_NS6detail15normal_iteratorINSA_10device_ptrIiEEEEPS6_NSA_18transform_iteratorINSB_9not_fun_tINSA_8identityIiEEEESF_NSA_11use_defaultESM_EENS0_5tupleIJSF_S6_EEENSO_IJSG_SG_EEES6_PlJS6_EEE10hipError_tPvRmT3_T4_T5_T6_T7_T9_mT8_P12ihipStream_tbDpT10_ENKUlT_T0_E_clISt17integral_constantIbLb0EES1A_IbLb1EEEEDaS16_S17_EUlS16_E_NS1_11comp_targetILNS1_3genE0ELNS1_11target_archE4294967295ELNS1_3gpuE0ELNS1_3repE0EEENS1_30default_config_static_selectorELNS0_4arch9wavefront6targetE0EEEvT1_.has_recursion, 0
	.set _ZN7rocprim17ROCPRIM_400000_NS6detail17trampoline_kernelINS0_14default_configENS1_25partition_config_selectorILNS1_17partition_subalgoE5EiNS0_10empty_typeEbEEZZNS1_14partition_implILS5_5ELb0ES3_mN6thrust23THRUST_200600_302600_NS6detail15normal_iteratorINSA_10device_ptrIiEEEEPS6_NSA_18transform_iteratorINSB_9not_fun_tINSA_8identityIiEEEESF_NSA_11use_defaultESM_EENS0_5tupleIJSF_S6_EEENSO_IJSG_SG_EEES6_PlJS6_EEE10hipError_tPvRmT3_T4_T5_T6_T7_T9_mT8_P12ihipStream_tbDpT10_ENKUlT_T0_E_clISt17integral_constantIbLb0EES1A_IbLb1EEEEDaS16_S17_EUlS16_E_NS1_11comp_targetILNS1_3genE0ELNS1_11target_archE4294967295ELNS1_3gpuE0ELNS1_3repE0EEENS1_30default_config_static_selectorELNS0_4arch9wavefront6targetE0EEEvT1_.has_indirect_call, 0
	.section	.AMDGPU.csdata,"",@progbits
; Kernel info:
; codeLenInByte = 0
; TotalNumSgprs: 0
; NumVgprs: 0
; ScratchSize: 0
; MemoryBound: 0
; FloatMode: 240
; IeeeMode: 1
; LDSByteSize: 0 bytes/workgroup (compile time only)
; SGPRBlocks: 0
; VGPRBlocks: 0
; NumSGPRsForWavesPerEU: 1
; NumVGPRsForWavesPerEU: 1
; Occupancy: 16
; WaveLimiterHint : 0
; COMPUTE_PGM_RSRC2:SCRATCH_EN: 0
; COMPUTE_PGM_RSRC2:USER_SGPR: 2
; COMPUTE_PGM_RSRC2:TRAP_HANDLER: 0
; COMPUTE_PGM_RSRC2:TGID_X_EN: 1
; COMPUTE_PGM_RSRC2:TGID_Y_EN: 0
; COMPUTE_PGM_RSRC2:TGID_Z_EN: 0
; COMPUTE_PGM_RSRC2:TIDIG_COMP_CNT: 0
	.section	.text._ZN7rocprim17ROCPRIM_400000_NS6detail17trampoline_kernelINS0_14default_configENS1_25partition_config_selectorILNS1_17partition_subalgoE5EiNS0_10empty_typeEbEEZZNS1_14partition_implILS5_5ELb0ES3_mN6thrust23THRUST_200600_302600_NS6detail15normal_iteratorINSA_10device_ptrIiEEEEPS6_NSA_18transform_iteratorINSB_9not_fun_tINSA_8identityIiEEEESF_NSA_11use_defaultESM_EENS0_5tupleIJSF_S6_EEENSO_IJSG_SG_EEES6_PlJS6_EEE10hipError_tPvRmT3_T4_T5_T6_T7_T9_mT8_P12ihipStream_tbDpT10_ENKUlT_T0_E_clISt17integral_constantIbLb0EES1A_IbLb1EEEEDaS16_S17_EUlS16_E_NS1_11comp_targetILNS1_3genE5ELNS1_11target_archE942ELNS1_3gpuE9ELNS1_3repE0EEENS1_30default_config_static_selectorELNS0_4arch9wavefront6targetE0EEEvT1_,"axG",@progbits,_ZN7rocprim17ROCPRIM_400000_NS6detail17trampoline_kernelINS0_14default_configENS1_25partition_config_selectorILNS1_17partition_subalgoE5EiNS0_10empty_typeEbEEZZNS1_14partition_implILS5_5ELb0ES3_mN6thrust23THRUST_200600_302600_NS6detail15normal_iteratorINSA_10device_ptrIiEEEEPS6_NSA_18transform_iteratorINSB_9not_fun_tINSA_8identityIiEEEESF_NSA_11use_defaultESM_EENS0_5tupleIJSF_S6_EEENSO_IJSG_SG_EEES6_PlJS6_EEE10hipError_tPvRmT3_T4_T5_T6_T7_T9_mT8_P12ihipStream_tbDpT10_ENKUlT_T0_E_clISt17integral_constantIbLb0EES1A_IbLb1EEEEDaS16_S17_EUlS16_E_NS1_11comp_targetILNS1_3genE5ELNS1_11target_archE942ELNS1_3gpuE9ELNS1_3repE0EEENS1_30default_config_static_selectorELNS0_4arch9wavefront6targetE0EEEvT1_,comdat
	.protected	_ZN7rocprim17ROCPRIM_400000_NS6detail17trampoline_kernelINS0_14default_configENS1_25partition_config_selectorILNS1_17partition_subalgoE5EiNS0_10empty_typeEbEEZZNS1_14partition_implILS5_5ELb0ES3_mN6thrust23THRUST_200600_302600_NS6detail15normal_iteratorINSA_10device_ptrIiEEEEPS6_NSA_18transform_iteratorINSB_9not_fun_tINSA_8identityIiEEEESF_NSA_11use_defaultESM_EENS0_5tupleIJSF_S6_EEENSO_IJSG_SG_EEES6_PlJS6_EEE10hipError_tPvRmT3_T4_T5_T6_T7_T9_mT8_P12ihipStream_tbDpT10_ENKUlT_T0_E_clISt17integral_constantIbLb0EES1A_IbLb1EEEEDaS16_S17_EUlS16_E_NS1_11comp_targetILNS1_3genE5ELNS1_11target_archE942ELNS1_3gpuE9ELNS1_3repE0EEENS1_30default_config_static_selectorELNS0_4arch9wavefront6targetE0EEEvT1_ ; -- Begin function _ZN7rocprim17ROCPRIM_400000_NS6detail17trampoline_kernelINS0_14default_configENS1_25partition_config_selectorILNS1_17partition_subalgoE5EiNS0_10empty_typeEbEEZZNS1_14partition_implILS5_5ELb0ES3_mN6thrust23THRUST_200600_302600_NS6detail15normal_iteratorINSA_10device_ptrIiEEEEPS6_NSA_18transform_iteratorINSB_9not_fun_tINSA_8identityIiEEEESF_NSA_11use_defaultESM_EENS0_5tupleIJSF_S6_EEENSO_IJSG_SG_EEES6_PlJS6_EEE10hipError_tPvRmT3_T4_T5_T6_T7_T9_mT8_P12ihipStream_tbDpT10_ENKUlT_T0_E_clISt17integral_constantIbLb0EES1A_IbLb1EEEEDaS16_S17_EUlS16_E_NS1_11comp_targetILNS1_3genE5ELNS1_11target_archE942ELNS1_3gpuE9ELNS1_3repE0EEENS1_30default_config_static_selectorELNS0_4arch9wavefront6targetE0EEEvT1_
	.globl	_ZN7rocprim17ROCPRIM_400000_NS6detail17trampoline_kernelINS0_14default_configENS1_25partition_config_selectorILNS1_17partition_subalgoE5EiNS0_10empty_typeEbEEZZNS1_14partition_implILS5_5ELb0ES3_mN6thrust23THRUST_200600_302600_NS6detail15normal_iteratorINSA_10device_ptrIiEEEEPS6_NSA_18transform_iteratorINSB_9not_fun_tINSA_8identityIiEEEESF_NSA_11use_defaultESM_EENS0_5tupleIJSF_S6_EEENSO_IJSG_SG_EEES6_PlJS6_EEE10hipError_tPvRmT3_T4_T5_T6_T7_T9_mT8_P12ihipStream_tbDpT10_ENKUlT_T0_E_clISt17integral_constantIbLb0EES1A_IbLb1EEEEDaS16_S17_EUlS16_E_NS1_11comp_targetILNS1_3genE5ELNS1_11target_archE942ELNS1_3gpuE9ELNS1_3repE0EEENS1_30default_config_static_selectorELNS0_4arch9wavefront6targetE0EEEvT1_
	.p2align	8
	.type	_ZN7rocprim17ROCPRIM_400000_NS6detail17trampoline_kernelINS0_14default_configENS1_25partition_config_selectorILNS1_17partition_subalgoE5EiNS0_10empty_typeEbEEZZNS1_14partition_implILS5_5ELb0ES3_mN6thrust23THRUST_200600_302600_NS6detail15normal_iteratorINSA_10device_ptrIiEEEEPS6_NSA_18transform_iteratorINSB_9not_fun_tINSA_8identityIiEEEESF_NSA_11use_defaultESM_EENS0_5tupleIJSF_S6_EEENSO_IJSG_SG_EEES6_PlJS6_EEE10hipError_tPvRmT3_T4_T5_T6_T7_T9_mT8_P12ihipStream_tbDpT10_ENKUlT_T0_E_clISt17integral_constantIbLb0EES1A_IbLb1EEEEDaS16_S17_EUlS16_E_NS1_11comp_targetILNS1_3genE5ELNS1_11target_archE942ELNS1_3gpuE9ELNS1_3repE0EEENS1_30default_config_static_selectorELNS0_4arch9wavefront6targetE0EEEvT1_,@function
_ZN7rocprim17ROCPRIM_400000_NS6detail17trampoline_kernelINS0_14default_configENS1_25partition_config_selectorILNS1_17partition_subalgoE5EiNS0_10empty_typeEbEEZZNS1_14partition_implILS5_5ELb0ES3_mN6thrust23THRUST_200600_302600_NS6detail15normal_iteratorINSA_10device_ptrIiEEEEPS6_NSA_18transform_iteratorINSB_9not_fun_tINSA_8identityIiEEEESF_NSA_11use_defaultESM_EENS0_5tupleIJSF_S6_EEENSO_IJSG_SG_EEES6_PlJS6_EEE10hipError_tPvRmT3_T4_T5_T6_T7_T9_mT8_P12ihipStream_tbDpT10_ENKUlT_T0_E_clISt17integral_constantIbLb0EES1A_IbLb1EEEEDaS16_S17_EUlS16_E_NS1_11comp_targetILNS1_3genE5ELNS1_11target_archE942ELNS1_3gpuE9ELNS1_3repE0EEENS1_30default_config_static_selectorELNS0_4arch9wavefront6targetE0EEEvT1_: ; @_ZN7rocprim17ROCPRIM_400000_NS6detail17trampoline_kernelINS0_14default_configENS1_25partition_config_selectorILNS1_17partition_subalgoE5EiNS0_10empty_typeEbEEZZNS1_14partition_implILS5_5ELb0ES3_mN6thrust23THRUST_200600_302600_NS6detail15normal_iteratorINSA_10device_ptrIiEEEEPS6_NSA_18transform_iteratorINSB_9not_fun_tINSA_8identityIiEEEESF_NSA_11use_defaultESM_EENS0_5tupleIJSF_S6_EEENSO_IJSG_SG_EEES6_PlJS6_EEE10hipError_tPvRmT3_T4_T5_T6_T7_T9_mT8_P12ihipStream_tbDpT10_ENKUlT_T0_E_clISt17integral_constantIbLb0EES1A_IbLb1EEEEDaS16_S17_EUlS16_E_NS1_11comp_targetILNS1_3genE5ELNS1_11target_archE942ELNS1_3gpuE9ELNS1_3repE0EEENS1_30default_config_static_selectorELNS0_4arch9wavefront6targetE0EEEvT1_
; %bb.0:
	.section	.rodata,"a",@progbits
	.p2align	6, 0x0
	.amdhsa_kernel _ZN7rocprim17ROCPRIM_400000_NS6detail17trampoline_kernelINS0_14default_configENS1_25partition_config_selectorILNS1_17partition_subalgoE5EiNS0_10empty_typeEbEEZZNS1_14partition_implILS5_5ELb0ES3_mN6thrust23THRUST_200600_302600_NS6detail15normal_iteratorINSA_10device_ptrIiEEEEPS6_NSA_18transform_iteratorINSB_9not_fun_tINSA_8identityIiEEEESF_NSA_11use_defaultESM_EENS0_5tupleIJSF_S6_EEENSO_IJSG_SG_EEES6_PlJS6_EEE10hipError_tPvRmT3_T4_T5_T6_T7_T9_mT8_P12ihipStream_tbDpT10_ENKUlT_T0_E_clISt17integral_constantIbLb0EES1A_IbLb1EEEEDaS16_S17_EUlS16_E_NS1_11comp_targetILNS1_3genE5ELNS1_11target_archE942ELNS1_3gpuE9ELNS1_3repE0EEENS1_30default_config_static_selectorELNS0_4arch9wavefront6targetE0EEEvT1_
		.amdhsa_group_segment_fixed_size 0
		.amdhsa_private_segment_fixed_size 0
		.amdhsa_kernarg_size 136
		.amdhsa_user_sgpr_count 2
		.amdhsa_user_sgpr_dispatch_ptr 0
		.amdhsa_user_sgpr_queue_ptr 0
		.amdhsa_user_sgpr_kernarg_segment_ptr 1
		.amdhsa_user_sgpr_dispatch_id 0
		.amdhsa_user_sgpr_private_segment_size 0
		.amdhsa_wavefront_size32 1
		.amdhsa_uses_dynamic_stack 0
		.amdhsa_enable_private_segment 0
		.amdhsa_system_sgpr_workgroup_id_x 1
		.amdhsa_system_sgpr_workgroup_id_y 0
		.amdhsa_system_sgpr_workgroup_id_z 0
		.amdhsa_system_sgpr_workgroup_info 0
		.amdhsa_system_vgpr_workitem_id 0
		.amdhsa_next_free_vgpr 1
		.amdhsa_next_free_sgpr 1
		.amdhsa_reserve_vcc 0
		.amdhsa_float_round_mode_32 0
		.amdhsa_float_round_mode_16_64 0
		.amdhsa_float_denorm_mode_32 3
		.amdhsa_float_denorm_mode_16_64 3
		.amdhsa_fp16_overflow 0
		.amdhsa_workgroup_processor_mode 1
		.amdhsa_memory_ordered 1
		.amdhsa_forward_progress 1
		.amdhsa_inst_pref_size 0
		.amdhsa_round_robin_scheduling 0
		.amdhsa_exception_fp_ieee_invalid_op 0
		.amdhsa_exception_fp_denorm_src 0
		.amdhsa_exception_fp_ieee_div_zero 0
		.amdhsa_exception_fp_ieee_overflow 0
		.amdhsa_exception_fp_ieee_underflow 0
		.amdhsa_exception_fp_ieee_inexact 0
		.amdhsa_exception_int_div_zero 0
	.end_amdhsa_kernel
	.section	.text._ZN7rocprim17ROCPRIM_400000_NS6detail17trampoline_kernelINS0_14default_configENS1_25partition_config_selectorILNS1_17partition_subalgoE5EiNS0_10empty_typeEbEEZZNS1_14partition_implILS5_5ELb0ES3_mN6thrust23THRUST_200600_302600_NS6detail15normal_iteratorINSA_10device_ptrIiEEEEPS6_NSA_18transform_iteratorINSB_9not_fun_tINSA_8identityIiEEEESF_NSA_11use_defaultESM_EENS0_5tupleIJSF_S6_EEENSO_IJSG_SG_EEES6_PlJS6_EEE10hipError_tPvRmT3_T4_T5_T6_T7_T9_mT8_P12ihipStream_tbDpT10_ENKUlT_T0_E_clISt17integral_constantIbLb0EES1A_IbLb1EEEEDaS16_S17_EUlS16_E_NS1_11comp_targetILNS1_3genE5ELNS1_11target_archE942ELNS1_3gpuE9ELNS1_3repE0EEENS1_30default_config_static_selectorELNS0_4arch9wavefront6targetE0EEEvT1_,"axG",@progbits,_ZN7rocprim17ROCPRIM_400000_NS6detail17trampoline_kernelINS0_14default_configENS1_25partition_config_selectorILNS1_17partition_subalgoE5EiNS0_10empty_typeEbEEZZNS1_14partition_implILS5_5ELb0ES3_mN6thrust23THRUST_200600_302600_NS6detail15normal_iteratorINSA_10device_ptrIiEEEEPS6_NSA_18transform_iteratorINSB_9not_fun_tINSA_8identityIiEEEESF_NSA_11use_defaultESM_EENS0_5tupleIJSF_S6_EEENSO_IJSG_SG_EEES6_PlJS6_EEE10hipError_tPvRmT3_T4_T5_T6_T7_T9_mT8_P12ihipStream_tbDpT10_ENKUlT_T0_E_clISt17integral_constantIbLb0EES1A_IbLb1EEEEDaS16_S17_EUlS16_E_NS1_11comp_targetILNS1_3genE5ELNS1_11target_archE942ELNS1_3gpuE9ELNS1_3repE0EEENS1_30default_config_static_selectorELNS0_4arch9wavefront6targetE0EEEvT1_,comdat
.Lfunc_end1006:
	.size	_ZN7rocprim17ROCPRIM_400000_NS6detail17trampoline_kernelINS0_14default_configENS1_25partition_config_selectorILNS1_17partition_subalgoE5EiNS0_10empty_typeEbEEZZNS1_14partition_implILS5_5ELb0ES3_mN6thrust23THRUST_200600_302600_NS6detail15normal_iteratorINSA_10device_ptrIiEEEEPS6_NSA_18transform_iteratorINSB_9not_fun_tINSA_8identityIiEEEESF_NSA_11use_defaultESM_EENS0_5tupleIJSF_S6_EEENSO_IJSG_SG_EEES6_PlJS6_EEE10hipError_tPvRmT3_T4_T5_T6_T7_T9_mT8_P12ihipStream_tbDpT10_ENKUlT_T0_E_clISt17integral_constantIbLb0EES1A_IbLb1EEEEDaS16_S17_EUlS16_E_NS1_11comp_targetILNS1_3genE5ELNS1_11target_archE942ELNS1_3gpuE9ELNS1_3repE0EEENS1_30default_config_static_selectorELNS0_4arch9wavefront6targetE0EEEvT1_, .Lfunc_end1006-_ZN7rocprim17ROCPRIM_400000_NS6detail17trampoline_kernelINS0_14default_configENS1_25partition_config_selectorILNS1_17partition_subalgoE5EiNS0_10empty_typeEbEEZZNS1_14partition_implILS5_5ELb0ES3_mN6thrust23THRUST_200600_302600_NS6detail15normal_iteratorINSA_10device_ptrIiEEEEPS6_NSA_18transform_iteratorINSB_9not_fun_tINSA_8identityIiEEEESF_NSA_11use_defaultESM_EENS0_5tupleIJSF_S6_EEENSO_IJSG_SG_EEES6_PlJS6_EEE10hipError_tPvRmT3_T4_T5_T6_T7_T9_mT8_P12ihipStream_tbDpT10_ENKUlT_T0_E_clISt17integral_constantIbLb0EES1A_IbLb1EEEEDaS16_S17_EUlS16_E_NS1_11comp_targetILNS1_3genE5ELNS1_11target_archE942ELNS1_3gpuE9ELNS1_3repE0EEENS1_30default_config_static_selectorELNS0_4arch9wavefront6targetE0EEEvT1_
                                        ; -- End function
	.set _ZN7rocprim17ROCPRIM_400000_NS6detail17trampoline_kernelINS0_14default_configENS1_25partition_config_selectorILNS1_17partition_subalgoE5EiNS0_10empty_typeEbEEZZNS1_14partition_implILS5_5ELb0ES3_mN6thrust23THRUST_200600_302600_NS6detail15normal_iteratorINSA_10device_ptrIiEEEEPS6_NSA_18transform_iteratorINSB_9not_fun_tINSA_8identityIiEEEESF_NSA_11use_defaultESM_EENS0_5tupleIJSF_S6_EEENSO_IJSG_SG_EEES6_PlJS6_EEE10hipError_tPvRmT3_T4_T5_T6_T7_T9_mT8_P12ihipStream_tbDpT10_ENKUlT_T0_E_clISt17integral_constantIbLb0EES1A_IbLb1EEEEDaS16_S17_EUlS16_E_NS1_11comp_targetILNS1_3genE5ELNS1_11target_archE942ELNS1_3gpuE9ELNS1_3repE0EEENS1_30default_config_static_selectorELNS0_4arch9wavefront6targetE0EEEvT1_.num_vgpr, 0
	.set _ZN7rocprim17ROCPRIM_400000_NS6detail17trampoline_kernelINS0_14default_configENS1_25partition_config_selectorILNS1_17partition_subalgoE5EiNS0_10empty_typeEbEEZZNS1_14partition_implILS5_5ELb0ES3_mN6thrust23THRUST_200600_302600_NS6detail15normal_iteratorINSA_10device_ptrIiEEEEPS6_NSA_18transform_iteratorINSB_9not_fun_tINSA_8identityIiEEEESF_NSA_11use_defaultESM_EENS0_5tupleIJSF_S6_EEENSO_IJSG_SG_EEES6_PlJS6_EEE10hipError_tPvRmT3_T4_T5_T6_T7_T9_mT8_P12ihipStream_tbDpT10_ENKUlT_T0_E_clISt17integral_constantIbLb0EES1A_IbLb1EEEEDaS16_S17_EUlS16_E_NS1_11comp_targetILNS1_3genE5ELNS1_11target_archE942ELNS1_3gpuE9ELNS1_3repE0EEENS1_30default_config_static_selectorELNS0_4arch9wavefront6targetE0EEEvT1_.num_agpr, 0
	.set _ZN7rocprim17ROCPRIM_400000_NS6detail17trampoline_kernelINS0_14default_configENS1_25partition_config_selectorILNS1_17partition_subalgoE5EiNS0_10empty_typeEbEEZZNS1_14partition_implILS5_5ELb0ES3_mN6thrust23THRUST_200600_302600_NS6detail15normal_iteratorINSA_10device_ptrIiEEEEPS6_NSA_18transform_iteratorINSB_9not_fun_tINSA_8identityIiEEEESF_NSA_11use_defaultESM_EENS0_5tupleIJSF_S6_EEENSO_IJSG_SG_EEES6_PlJS6_EEE10hipError_tPvRmT3_T4_T5_T6_T7_T9_mT8_P12ihipStream_tbDpT10_ENKUlT_T0_E_clISt17integral_constantIbLb0EES1A_IbLb1EEEEDaS16_S17_EUlS16_E_NS1_11comp_targetILNS1_3genE5ELNS1_11target_archE942ELNS1_3gpuE9ELNS1_3repE0EEENS1_30default_config_static_selectorELNS0_4arch9wavefront6targetE0EEEvT1_.numbered_sgpr, 0
	.set _ZN7rocprim17ROCPRIM_400000_NS6detail17trampoline_kernelINS0_14default_configENS1_25partition_config_selectorILNS1_17partition_subalgoE5EiNS0_10empty_typeEbEEZZNS1_14partition_implILS5_5ELb0ES3_mN6thrust23THRUST_200600_302600_NS6detail15normal_iteratorINSA_10device_ptrIiEEEEPS6_NSA_18transform_iteratorINSB_9not_fun_tINSA_8identityIiEEEESF_NSA_11use_defaultESM_EENS0_5tupleIJSF_S6_EEENSO_IJSG_SG_EEES6_PlJS6_EEE10hipError_tPvRmT3_T4_T5_T6_T7_T9_mT8_P12ihipStream_tbDpT10_ENKUlT_T0_E_clISt17integral_constantIbLb0EES1A_IbLb1EEEEDaS16_S17_EUlS16_E_NS1_11comp_targetILNS1_3genE5ELNS1_11target_archE942ELNS1_3gpuE9ELNS1_3repE0EEENS1_30default_config_static_selectorELNS0_4arch9wavefront6targetE0EEEvT1_.num_named_barrier, 0
	.set _ZN7rocprim17ROCPRIM_400000_NS6detail17trampoline_kernelINS0_14default_configENS1_25partition_config_selectorILNS1_17partition_subalgoE5EiNS0_10empty_typeEbEEZZNS1_14partition_implILS5_5ELb0ES3_mN6thrust23THRUST_200600_302600_NS6detail15normal_iteratorINSA_10device_ptrIiEEEEPS6_NSA_18transform_iteratorINSB_9not_fun_tINSA_8identityIiEEEESF_NSA_11use_defaultESM_EENS0_5tupleIJSF_S6_EEENSO_IJSG_SG_EEES6_PlJS6_EEE10hipError_tPvRmT3_T4_T5_T6_T7_T9_mT8_P12ihipStream_tbDpT10_ENKUlT_T0_E_clISt17integral_constantIbLb0EES1A_IbLb1EEEEDaS16_S17_EUlS16_E_NS1_11comp_targetILNS1_3genE5ELNS1_11target_archE942ELNS1_3gpuE9ELNS1_3repE0EEENS1_30default_config_static_selectorELNS0_4arch9wavefront6targetE0EEEvT1_.private_seg_size, 0
	.set _ZN7rocprim17ROCPRIM_400000_NS6detail17trampoline_kernelINS0_14default_configENS1_25partition_config_selectorILNS1_17partition_subalgoE5EiNS0_10empty_typeEbEEZZNS1_14partition_implILS5_5ELb0ES3_mN6thrust23THRUST_200600_302600_NS6detail15normal_iteratorINSA_10device_ptrIiEEEEPS6_NSA_18transform_iteratorINSB_9not_fun_tINSA_8identityIiEEEESF_NSA_11use_defaultESM_EENS0_5tupleIJSF_S6_EEENSO_IJSG_SG_EEES6_PlJS6_EEE10hipError_tPvRmT3_T4_T5_T6_T7_T9_mT8_P12ihipStream_tbDpT10_ENKUlT_T0_E_clISt17integral_constantIbLb0EES1A_IbLb1EEEEDaS16_S17_EUlS16_E_NS1_11comp_targetILNS1_3genE5ELNS1_11target_archE942ELNS1_3gpuE9ELNS1_3repE0EEENS1_30default_config_static_selectorELNS0_4arch9wavefront6targetE0EEEvT1_.uses_vcc, 0
	.set _ZN7rocprim17ROCPRIM_400000_NS6detail17trampoline_kernelINS0_14default_configENS1_25partition_config_selectorILNS1_17partition_subalgoE5EiNS0_10empty_typeEbEEZZNS1_14partition_implILS5_5ELb0ES3_mN6thrust23THRUST_200600_302600_NS6detail15normal_iteratorINSA_10device_ptrIiEEEEPS6_NSA_18transform_iteratorINSB_9not_fun_tINSA_8identityIiEEEESF_NSA_11use_defaultESM_EENS0_5tupleIJSF_S6_EEENSO_IJSG_SG_EEES6_PlJS6_EEE10hipError_tPvRmT3_T4_T5_T6_T7_T9_mT8_P12ihipStream_tbDpT10_ENKUlT_T0_E_clISt17integral_constantIbLb0EES1A_IbLb1EEEEDaS16_S17_EUlS16_E_NS1_11comp_targetILNS1_3genE5ELNS1_11target_archE942ELNS1_3gpuE9ELNS1_3repE0EEENS1_30default_config_static_selectorELNS0_4arch9wavefront6targetE0EEEvT1_.uses_flat_scratch, 0
	.set _ZN7rocprim17ROCPRIM_400000_NS6detail17trampoline_kernelINS0_14default_configENS1_25partition_config_selectorILNS1_17partition_subalgoE5EiNS0_10empty_typeEbEEZZNS1_14partition_implILS5_5ELb0ES3_mN6thrust23THRUST_200600_302600_NS6detail15normal_iteratorINSA_10device_ptrIiEEEEPS6_NSA_18transform_iteratorINSB_9not_fun_tINSA_8identityIiEEEESF_NSA_11use_defaultESM_EENS0_5tupleIJSF_S6_EEENSO_IJSG_SG_EEES6_PlJS6_EEE10hipError_tPvRmT3_T4_T5_T6_T7_T9_mT8_P12ihipStream_tbDpT10_ENKUlT_T0_E_clISt17integral_constantIbLb0EES1A_IbLb1EEEEDaS16_S17_EUlS16_E_NS1_11comp_targetILNS1_3genE5ELNS1_11target_archE942ELNS1_3gpuE9ELNS1_3repE0EEENS1_30default_config_static_selectorELNS0_4arch9wavefront6targetE0EEEvT1_.has_dyn_sized_stack, 0
	.set _ZN7rocprim17ROCPRIM_400000_NS6detail17trampoline_kernelINS0_14default_configENS1_25partition_config_selectorILNS1_17partition_subalgoE5EiNS0_10empty_typeEbEEZZNS1_14partition_implILS5_5ELb0ES3_mN6thrust23THRUST_200600_302600_NS6detail15normal_iteratorINSA_10device_ptrIiEEEEPS6_NSA_18transform_iteratorINSB_9not_fun_tINSA_8identityIiEEEESF_NSA_11use_defaultESM_EENS0_5tupleIJSF_S6_EEENSO_IJSG_SG_EEES6_PlJS6_EEE10hipError_tPvRmT3_T4_T5_T6_T7_T9_mT8_P12ihipStream_tbDpT10_ENKUlT_T0_E_clISt17integral_constantIbLb0EES1A_IbLb1EEEEDaS16_S17_EUlS16_E_NS1_11comp_targetILNS1_3genE5ELNS1_11target_archE942ELNS1_3gpuE9ELNS1_3repE0EEENS1_30default_config_static_selectorELNS0_4arch9wavefront6targetE0EEEvT1_.has_recursion, 0
	.set _ZN7rocprim17ROCPRIM_400000_NS6detail17trampoline_kernelINS0_14default_configENS1_25partition_config_selectorILNS1_17partition_subalgoE5EiNS0_10empty_typeEbEEZZNS1_14partition_implILS5_5ELb0ES3_mN6thrust23THRUST_200600_302600_NS6detail15normal_iteratorINSA_10device_ptrIiEEEEPS6_NSA_18transform_iteratorINSB_9not_fun_tINSA_8identityIiEEEESF_NSA_11use_defaultESM_EENS0_5tupleIJSF_S6_EEENSO_IJSG_SG_EEES6_PlJS6_EEE10hipError_tPvRmT3_T4_T5_T6_T7_T9_mT8_P12ihipStream_tbDpT10_ENKUlT_T0_E_clISt17integral_constantIbLb0EES1A_IbLb1EEEEDaS16_S17_EUlS16_E_NS1_11comp_targetILNS1_3genE5ELNS1_11target_archE942ELNS1_3gpuE9ELNS1_3repE0EEENS1_30default_config_static_selectorELNS0_4arch9wavefront6targetE0EEEvT1_.has_indirect_call, 0
	.section	.AMDGPU.csdata,"",@progbits
; Kernel info:
; codeLenInByte = 0
; TotalNumSgprs: 0
; NumVgprs: 0
; ScratchSize: 0
; MemoryBound: 0
; FloatMode: 240
; IeeeMode: 1
; LDSByteSize: 0 bytes/workgroup (compile time only)
; SGPRBlocks: 0
; VGPRBlocks: 0
; NumSGPRsForWavesPerEU: 1
; NumVGPRsForWavesPerEU: 1
; Occupancy: 16
; WaveLimiterHint : 0
; COMPUTE_PGM_RSRC2:SCRATCH_EN: 0
; COMPUTE_PGM_RSRC2:USER_SGPR: 2
; COMPUTE_PGM_RSRC2:TRAP_HANDLER: 0
; COMPUTE_PGM_RSRC2:TGID_X_EN: 1
; COMPUTE_PGM_RSRC2:TGID_Y_EN: 0
; COMPUTE_PGM_RSRC2:TGID_Z_EN: 0
; COMPUTE_PGM_RSRC2:TIDIG_COMP_CNT: 0
	.section	.text._ZN7rocprim17ROCPRIM_400000_NS6detail17trampoline_kernelINS0_14default_configENS1_25partition_config_selectorILNS1_17partition_subalgoE5EiNS0_10empty_typeEbEEZZNS1_14partition_implILS5_5ELb0ES3_mN6thrust23THRUST_200600_302600_NS6detail15normal_iteratorINSA_10device_ptrIiEEEEPS6_NSA_18transform_iteratorINSB_9not_fun_tINSA_8identityIiEEEESF_NSA_11use_defaultESM_EENS0_5tupleIJSF_S6_EEENSO_IJSG_SG_EEES6_PlJS6_EEE10hipError_tPvRmT3_T4_T5_T6_T7_T9_mT8_P12ihipStream_tbDpT10_ENKUlT_T0_E_clISt17integral_constantIbLb0EES1A_IbLb1EEEEDaS16_S17_EUlS16_E_NS1_11comp_targetILNS1_3genE4ELNS1_11target_archE910ELNS1_3gpuE8ELNS1_3repE0EEENS1_30default_config_static_selectorELNS0_4arch9wavefront6targetE0EEEvT1_,"axG",@progbits,_ZN7rocprim17ROCPRIM_400000_NS6detail17trampoline_kernelINS0_14default_configENS1_25partition_config_selectorILNS1_17partition_subalgoE5EiNS0_10empty_typeEbEEZZNS1_14partition_implILS5_5ELb0ES3_mN6thrust23THRUST_200600_302600_NS6detail15normal_iteratorINSA_10device_ptrIiEEEEPS6_NSA_18transform_iteratorINSB_9not_fun_tINSA_8identityIiEEEESF_NSA_11use_defaultESM_EENS0_5tupleIJSF_S6_EEENSO_IJSG_SG_EEES6_PlJS6_EEE10hipError_tPvRmT3_T4_T5_T6_T7_T9_mT8_P12ihipStream_tbDpT10_ENKUlT_T0_E_clISt17integral_constantIbLb0EES1A_IbLb1EEEEDaS16_S17_EUlS16_E_NS1_11comp_targetILNS1_3genE4ELNS1_11target_archE910ELNS1_3gpuE8ELNS1_3repE0EEENS1_30default_config_static_selectorELNS0_4arch9wavefront6targetE0EEEvT1_,comdat
	.protected	_ZN7rocprim17ROCPRIM_400000_NS6detail17trampoline_kernelINS0_14default_configENS1_25partition_config_selectorILNS1_17partition_subalgoE5EiNS0_10empty_typeEbEEZZNS1_14partition_implILS5_5ELb0ES3_mN6thrust23THRUST_200600_302600_NS6detail15normal_iteratorINSA_10device_ptrIiEEEEPS6_NSA_18transform_iteratorINSB_9not_fun_tINSA_8identityIiEEEESF_NSA_11use_defaultESM_EENS0_5tupleIJSF_S6_EEENSO_IJSG_SG_EEES6_PlJS6_EEE10hipError_tPvRmT3_T4_T5_T6_T7_T9_mT8_P12ihipStream_tbDpT10_ENKUlT_T0_E_clISt17integral_constantIbLb0EES1A_IbLb1EEEEDaS16_S17_EUlS16_E_NS1_11comp_targetILNS1_3genE4ELNS1_11target_archE910ELNS1_3gpuE8ELNS1_3repE0EEENS1_30default_config_static_selectorELNS0_4arch9wavefront6targetE0EEEvT1_ ; -- Begin function _ZN7rocprim17ROCPRIM_400000_NS6detail17trampoline_kernelINS0_14default_configENS1_25partition_config_selectorILNS1_17partition_subalgoE5EiNS0_10empty_typeEbEEZZNS1_14partition_implILS5_5ELb0ES3_mN6thrust23THRUST_200600_302600_NS6detail15normal_iteratorINSA_10device_ptrIiEEEEPS6_NSA_18transform_iteratorINSB_9not_fun_tINSA_8identityIiEEEESF_NSA_11use_defaultESM_EENS0_5tupleIJSF_S6_EEENSO_IJSG_SG_EEES6_PlJS6_EEE10hipError_tPvRmT3_T4_T5_T6_T7_T9_mT8_P12ihipStream_tbDpT10_ENKUlT_T0_E_clISt17integral_constantIbLb0EES1A_IbLb1EEEEDaS16_S17_EUlS16_E_NS1_11comp_targetILNS1_3genE4ELNS1_11target_archE910ELNS1_3gpuE8ELNS1_3repE0EEENS1_30default_config_static_selectorELNS0_4arch9wavefront6targetE0EEEvT1_
	.globl	_ZN7rocprim17ROCPRIM_400000_NS6detail17trampoline_kernelINS0_14default_configENS1_25partition_config_selectorILNS1_17partition_subalgoE5EiNS0_10empty_typeEbEEZZNS1_14partition_implILS5_5ELb0ES3_mN6thrust23THRUST_200600_302600_NS6detail15normal_iteratorINSA_10device_ptrIiEEEEPS6_NSA_18transform_iteratorINSB_9not_fun_tINSA_8identityIiEEEESF_NSA_11use_defaultESM_EENS0_5tupleIJSF_S6_EEENSO_IJSG_SG_EEES6_PlJS6_EEE10hipError_tPvRmT3_T4_T5_T6_T7_T9_mT8_P12ihipStream_tbDpT10_ENKUlT_T0_E_clISt17integral_constantIbLb0EES1A_IbLb1EEEEDaS16_S17_EUlS16_E_NS1_11comp_targetILNS1_3genE4ELNS1_11target_archE910ELNS1_3gpuE8ELNS1_3repE0EEENS1_30default_config_static_selectorELNS0_4arch9wavefront6targetE0EEEvT1_
	.p2align	8
	.type	_ZN7rocprim17ROCPRIM_400000_NS6detail17trampoline_kernelINS0_14default_configENS1_25partition_config_selectorILNS1_17partition_subalgoE5EiNS0_10empty_typeEbEEZZNS1_14partition_implILS5_5ELb0ES3_mN6thrust23THRUST_200600_302600_NS6detail15normal_iteratorINSA_10device_ptrIiEEEEPS6_NSA_18transform_iteratorINSB_9not_fun_tINSA_8identityIiEEEESF_NSA_11use_defaultESM_EENS0_5tupleIJSF_S6_EEENSO_IJSG_SG_EEES6_PlJS6_EEE10hipError_tPvRmT3_T4_T5_T6_T7_T9_mT8_P12ihipStream_tbDpT10_ENKUlT_T0_E_clISt17integral_constantIbLb0EES1A_IbLb1EEEEDaS16_S17_EUlS16_E_NS1_11comp_targetILNS1_3genE4ELNS1_11target_archE910ELNS1_3gpuE8ELNS1_3repE0EEENS1_30default_config_static_selectorELNS0_4arch9wavefront6targetE0EEEvT1_,@function
_ZN7rocprim17ROCPRIM_400000_NS6detail17trampoline_kernelINS0_14default_configENS1_25partition_config_selectorILNS1_17partition_subalgoE5EiNS0_10empty_typeEbEEZZNS1_14partition_implILS5_5ELb0ES3_mN6thrust23THRUST_200600_302600_NS6detail15normal_iteratorINSA_10device_ptrIiEEEEPS6_NSA_18transform_iteratorINSB_9not_fun_tINSA_8identityIiEEEESF_NSA_11use_defaultESM_EENS0_5tupleIJSF_S6_EEENSO_IJSG_SG_EEES6_PlJS6_EEE10hipError_tPvRmT3_T4_T5_T6_T7_T9_mT8_P12ihipStream_tbDpT10_ENKUlT_T0_E_clISt17integral_constantIbLb0EES1A_IbLb1EEEEDaS16_S17_EUlS16_E_NS1_11comp_targetILNS1_3genE4ELNS1_11target_archE910ELNS1_3gpuE8ELNS1_3repE0EEENS1_30default_config_static_selectorELNS0_4arch9wavefront6targetE0EEEvT1_: ; @_ZN7rocprim17ROCPRIM_400000_NS6detail17trampoline_kernelINS0_14default_configENS1_25partition_config_selectorILNS1_17partition_subalgoE5EiNS0_10empty_typeEbEEZZNS1_14partition_implILS5_5ELb0ES3_mN6thrust23THRUST_200600_302600_NS6detail15normal_iteratorINSA_10device_ptrIiEEEEPS6_NSA_18transform_iteratorINSB_9not_fun_tINSA_8identityIiEEEESF_NSA_11use_defaultESM_EENS0_5tupleIJSF_S6_EEENSO_IJSG_SG_EEES6_PlJS6_EEE10hipError_tPvRmT3_T4_T5_T6_T7_T9_mT8_P12ihipStream_tbDpT10_ENKUlT_T0_E_clISt17integral_constantIbLb0EES1A_IbLb1EEEEDaS16_S17_EUlS16_E_NS1_11comp_targetILNS1_3genE4ELNS1_11target_archE910ELNS1_3gpuE8ELNS1_3repE0EEENS1_30default_config_static_selectorELNS0_4arch9wavefront6targetE0EEEvT1_
; %bb.0:
	.section	.rodata,"a",@progbits
	.p2align	6, 0x0
	.amdhsa_kernel _ZN7rocprim17ROCPRIM_400000_NS6detail17trampoline_kernelINS0_14default_configENS1_25partition_config_selectorILNS1_17partition_subalgoE5EiNS0_10empty_typeEbEEZZNS1_14partition_implILS5_5ELb0ES3_mN6thrust23THRUST_200600_302600_NS6detail15normal_iteratorINSA_10device_ptrIiEEEEPS6_NSA_18transform_iteratorINSB_9not_fun_tINSA_8identityIiEEEESF_NSA_11use_defaultESM_EENS0_5tupleIJSF_S6_EEENSO_IJSG_SG_EEES6_PlJS6_EEE10hipError_tPvRmT3_T4_T5_T6_T7_T9_mT8_P12ihipStream_tbDpT10_ENKUlT_T0_E_clISt17integral_constantIbLb0EES1A_IbLb1EEEEDaS16_S17_EUlS16_E_NS1_11comp_targetILNS1_3genE4ELNS1_11target_archE910ELNS1_3gpuE8ELNS1_3repE0EEENS1_30default_config_static_selectorELNS0_4arch9wavefront6targetE0EEEvT1_
		.amdhsa_group_segment_fixed_size 0
		.amdhsa_private_segment_fixed_size 0
		.amdhsa_kernarg_size 136
		.amdhsa_user_sgpr_count 2
		.amdhsa_user_sgpr_dispatch_ptr 0
		.amdhsa_user_sgpr_queue_ptr 0
		.amdhsa_user_sgpr_kernarg_segment_ptr 1
		.amdhsa_user_sgpr_dispatch_id 0
		.amdhsa_user_sgpr_private_segment_size 0
		.amdhsa_wavefront_size32 1
		.amdhsa_uses_dynamic_stack 0
		.amdhsa_enable_private_segment 0
		.amdhsa_system_sgpr_workgroup_id_x 1
		.amdhsa_system_sgpr_workgroup_id_y 0
		.amdhsa_system_sgpr_workgroup_id_z 0
		.amdhsa_system_sgpr_workgroup_info 0
		.amdhsa_system_vgpr_workitem_id 0
		.amdhsa_next_free_vgpr 1
		.amdhsa_next_free_sgpr 1
		.amdhsa_reserve_vcc 0
		.amdhsa_float_round_mode_32 0
		.amdhsa_float_round_mode_16_64 0
		.amdhsa_float_denorm_mode_32 3
		.amdhsa_float_denorm_mode_16_64 3
		.amdhsa_fp16_overflow 0
		.amdhsa_workgroup_processor_mode 1
		.amdhsa_memory_ordered 1
		.amdhsa_forward_progress 1
		.amdhsa_inst_pref_size 0
		.amdhsa_round_robin_scheduling 0
		.amdhsa_exception_fp_ieee_invalid_op 0
		.amdhsa_exception_fp_denorm_src 0
		.amdhsa_exception_fp_ieee_div_zero 0
		.amdhsa_exception_fp_ieee_overflow 0
		.amdhsa_exception_fp_ieee_underflow 0
		.amdhsa_exception_fp_ieee_inexact 0
		.amdhsa_exception_int_div_zero 0
	.end_amdhsa_kernel
	.section	.text._ZN7rocprim17ROCPRIM_400000_NS6detail17trampoline_kernelINS0_14default_configENS1_25partition_config_selectorILNS1_17partition_subalgoE5EiNS0_10empty_typeEbEEZZNS1_14partition_implILS5_5ELb0ES3_mN6thrust23THRUST_200600_302600_NS6detail15normal_iteratorINSA_10device_ptrIiEEEEPS6_NSA_18transform_iteratorINSB_9not_fun_tINSA_8identityIiEEEESF_NSA_11use_defaultESM_EENS0_5tupleIJSF_S6_EEENSO_IJSG_SG_EEES6_PlJS6_EEE10hipError_tPvRmT3_T4_T5_T6_T7_T9_mT8_P12ihipStream_tbDpT10_ENKUlT_T0_E_clISt17integral_constantIbLb0EES1A_IbLb1EEEEDaS16_S17_EUlS16_E_NS1_11comp_targetILNS1_3genE4ELNS1_11target_archE910ELNS1_3gpuE8ELNS1_3repE0EEENS1_30default_config_static_selectorELNS0_4arch9wavefront6targetE0EEEvT1_,"axG",@progbits,_ZN7rocprim17ROCPRIM_400000_NS6detail17trampoline_kernelINS0_14default_configENS1_25partition_config_selectorILNS1_17partition_subalgoE5EiNS0_10empty_typeEbEEZZNS1_14partition_implILS5_5ELb0ES3_mN6thrust23THRUST_200600_302600_NS6detail15normal_iteratorINSA_10device_ptrIiEEEEPS6_NSA_18transform_iteratorINSB_9not_fun_tINSA_8identityIiEEEESF_NSA_11use_defaultESM_EENS0_5tupleIJSF_S6_EEENSO_IJSG_SG_EEES6_PlJS6_EEE10hipError_tPvRmT3_T4_T5_T6_T7_T9_mT8_P12ihipStream_tbDpT10_ENKUlT_T0_E_clISt17integral_constantIbLb0EES1A_IbLb1EEEEDaS16_S17_EUlS16_E_NS1_11comp_targetILNS1_3genE4ELNS1_11target_archE910ELNS1_3gpuE8ELNS1_3repE0EEENS1_30default_config_static_selectorELNS0_4arch9wavefront6targetE0EEEvT1_,comdat
.Lfunc_end1007:
	.size	_ZN7rocprim17ROCPRIM_400000_NS6detail17trampoline_kernelINS0_14default_configENS1_25partition_config_selectorILNS1_17partition_subalgoE5EiNS0_10empty_typeEbEEZZNS1_14partition_implILS5_5ELb0ES3_mN6thrust23THRUST_200600_302600_NS6detail15normal_iteratorINSA_10device_ptrIiEEEEPS6_NSA_18transform_iteratorINSB_9not_fun_tINSA_8identityIiEEEESF_NSA_11use_defaultESM_EENS0_5tupleIJSF_S6_EEENSO_IJSG_SG_EEES6_PlJS6_EEE10hipError_tPvRmT3_T4_T5_T6_T7_T9_mT8_P12ihipStream_tbDpT10_ENKUlT_T0_E_clISt17integral_constantIbLb0EES1A_IbLb1EEEEDaS16_S17_EUlS16_E_NS1_11comp_targetILNS1_3genE4ELNS1_11target_archE910ELNS1_3gpuE8ELNS1_3repE0EEENS1_30default_config_static_selectorELNS0_4arch9wavefront6targetE0EEEvT1_, .Lfunc_end1007-_ZN7rocprim17ROCPRIM_400000_NS6detail17trampoline_kernelINS0_14default_configENS1_25partition_config_selectorILNS1_17partition_subalgoE5EiNS0_10empty_typeEbEEZZNS1_14partition_implILS5_5ELb0ES3_mN6thrust23THRUST_200600_302600_NS6detail15normal_iteratorINSA_10device_ptrIiEEEEPS6_NSA_18transform_iteratorINSB_9not_fun_tINSA_8identityIiEEEESF_NSA_11use_defaultESM_EENS0_5tupleIJSF_S6_EEENSO_IJSG_SG_EEES6_PlJS6_EEE10hipError_tPvRmT3_T4_T5_T6_T7_T9_mT8_P12ihipStream_tbDpT10_ENKUlT_T0_E_clISt17integral_constantIbLb0EES1A_IbLb1EEEEDaS16_S17_EUlS16_E_NS1_11comp_targetILNS1_3genE4ELNS1_11target_archE910ELNS1_3gpuE8ELNS1_3repE0EEENS1_30default_config_static_selectorELNS0_4arch9wavefront6targetE0EEEvT1_
                                        ; -- End function
	.set _ZN7rocprim17ROCPRIM_400000_NS6detail17trampoline_kernelINS0_14default_configENS1_25partition_config_selectorILNS1_17partition_subalgoE5EiNS0_10empty_typeEbEEZZNS1_14partition_implILS5_5ELb0ES3_mN6thrust23THRUST_200600_302600_NS6detail15normal_iteratorINSA_10device_ptrIiEEEEPS6_NSA_18transform_iteratorINSB_9not_fun_tINSA_8identityIiEEEESF_NSA_11use_defaultESM_EENS0_5tupleIJSF_S6_EEENSO_IJSG_SG_EEES6_PlJS6_EEE10hipError_tPvRmT3_T4_T5_T6_T7_T9_mT8_P12ihipStream_tbDpT10_ENKUlT_T0_E_clISt17integral_constantIbLb0EES1A_IbLb1EEEEDaS16_S17_EUlS16_E_NS1_11comp_targetILNS1_3genE4ELNS1_11target_archE910ELNS1_3gpuE8ELNS1_3repE0EEENS1_30default_config_static_selectorELNS0_4arch9wavefront6targetE0EEEvT1_.num_vgpr, 0
	.set _ZN7rocprim17ROCPRIM_400000_NS6detail17trampoline_kernelINS0_14default_configENS1_25partition_config_selectorILNS1_17partition_subalgoE5EiNS0_10empty_typeEbEEZZNS1_14partition_implILS5_5ELb0ES3_mN6thrust23THRUST_200600_302600_NS6detail15normal_iteratorINSA_10device_ptrIiEEEEPS6_NSA_18transform_iteratorINSB_9not_fun_tINSA_8identityIiEEEESF_NSA_11use_defaultESM_EENS0_5tupleIJSF_S6_EEENSO_IJSG_SG_EEES6_PlJS6_EEE10hipError_tPvRmT3_T4_T5_T6_T7_T9_mT8_P12ihipStream_tbDpT10_ENKUlT_T0_E_clISt17integral_constantIbLb0EES1A_IbLb1EEEEDaS16_S17_EUlS16_E_NS1_11comp_targetILNS1_3genE4ELNS1_11target_archE910ELNS1_3gpuE8ELNS1_3repE0EEENS1_30default_config_static_selectorELNS0_4arch9wavefront6targetE0EEEvT1_.num_agpr, 0
	.set _ZN7rocprim17ROCPRIM_400000_NS6detail17trampoline_kernelINS0_14default_configENS1_25partition_config_selectorILNS1_17partition_subalgoE5EiNS0_10empty_typeEbEEZZNS1_14partition_implILS5_5ELb0ES3_mN6thrust23THRUST_200600_302600_NS6detail15normal_iteratorINSA_10device_ptrIiEEEEPS6_NSA_18transform_iteratorINSB_9not_fun_tINSA_8identityIiEEEESF_NSA_11use_defaultESM_EENS0_5tupleIJSF_S6_EEENSO_IJSG_SG_EEES6_PlJS6_EEE10hipError_tPvRmT3_T4_T5_T6_T7_T9_mT8_P12ihipStream_tbDpT10_ENKUlT_T0_E_clISt17integral_constantIbLb0EES1A_IbLb1EEEEDaS16_S17_EUlS16_E_NS1_11comp_targetILNS1_3genE4ELNS1_11target_archE910ELNS1_3gpuE8ELNS1_3repE0EEENS1_30default_config_static_selectorELNS0_4arch9wavefront6targetE0EEEvT1_.numbered_sgpr, 0
	.set _ZN7rocprim17ROCPRIM_400000_NS6detail17trampoline_kernelINS0_14default_configENS1_25partition_config_selectorILNS1_17partition_subalgoE5EiNS0_10empty_typeEbEEZZNS1_14partition_implILS5_5ELb0ES3_mN6thrust23THRUST_200600_302600_NS6detail15normal_iteratorINSA_10device_ptrIiEEEEPS6_NSA_18transform_iteratorINSB_9not_fun_tINSA_8identityIiEEEESF_NSA_11use_defaultESM_EENS0_5tupleIJSF_S6_EEENSO_IJSG_SG_EEES6_PlJS6_EEE10hipError_tPvRmT3_T4_T5_T6_T7_T9_mT8_P12ihipStream_tbDpT10_ENKUlT_T0_E_clISt17integral_constantIbLb0EES1A_IbLb1EEEEDaS16_S17_EUlS16_E_NS1_11comp_targetILNS1_3genE4ELNS1_11target_archE910ELNS1_3gpuE8ELNS1_3repE0EEENS1_30default_config_static_selectorELNS0_4arch9wavefront6targetE0EEEvT1_.num_named_barrier, 0
	.set _ZN7rocprim17ROCPRIM_400000_NS6detail17trampoline_kernelINS0_14default_configENS1_25partition_config_selectorILNS1_17partition_subalgoE5EiNS0_10empty_typeEbEEZZNS1_14partition_implILS5_5ELb0ES3_mN6thrust23THRUST_200600_302600_NS6detail15normal_iteratorINSA_10device_ptrIiEEEEPS6_NSA_18transform_iteratorINSB_9not_fun_tINSA_8identityIiEEEESF_NSA_11use_defaultESM_EENS0_5tupleIJSF_S6_EEENSO_IJSG_SG_EEES6_PlJS6_EEE10hipError_tPvRmT3_T4_T5_T6_T7_T9_mT8_P12ihipStream_tbDpT10_ENKUlT_T0_E_clISt17integral_constantIbLb0EES1A_IbLb1EEEEDaS16_S17_EUlS16_E_NS1_11comp_targetILNS1_3genE4ELNS1_11target_archE910ELNS1_3gpuE8ELNS1_3repE0EEENS1_30default_config_static_selectorELNS0_4arch9wavefront6targetE0EEEvT1_.private_seg_size, 0
	.set _ZN7rocprim17ROCPRIM_400000_NS6detail17trampoline_kernelINS0_14default_configENS1_25partition_config_selectorILNS1_17partition_subalgoE5EiNS0_10empty_typeEbEEZZNS1_14partition_implILS5_5ELb0ES3_mN6thrust23THRUST_200600_302600_NS6detail15normal_iteratorINSA_10device_ptrIiEEEEPS6_NSA_18transform_iteratorINSB_9not_fun_tINSA_8identityIiEEEESF_NSA_11use_defaultESM_EENS0_5tupleIJSF_S6_EEENSO_IJSG_SG_EEES6_PlJS6_EEE10hipError_tPvRmT3_T4_T5_T6_T7_T9_mT8_P12ihipStream_tbDpT10_ENKUlT_T0_E_clISt17integral_constantIbLb0EES1A_IbLb1EEEEDaS16_S17_EUlS16_E_NS1_11comp_targetILNS1_3genE4ELNS1_11target_archE910ELNS1_3gpuE8ELNS1_3repE0EEENS1_30default_config_static_selectorELNS0_4arch9wavefront6targetE0EEEvT1_.uses_vcc, 0
	.set _ZN7rocprim17ROCPRIM_400000_NS6detail17trampoline_kernelINS0_14default_configENS1_25partition_config_selectorILNS1_17partition_subalgoE5EiNS0_10empty_typeEbEEZZNS1_14partition_implILS5_5ELb0ES3_mN6thrust23THRUST_200600_302600_NS6detail15normal_iteratorINSA_10device_ptrIiEEEEPS6_NSA_18transform_iteratorINSB_9not_fun_tINSA_8identityIiEEEESF_NSA_11use_defaultESM_EENS0_5tupleIJSF_S6_EEENSO_IJSG_SG_EEES6_PlJS6_EEE10hipError_tPvRmT3_T4_T5_T6_T7_T9_mT8_P12ihipStream_tbDpT10_ENKUlT_T0_E_clISt17integral_constantIbLb0EES1A_IbLb1EEEEDaS16_S17_EUlS16_E_NS1_11comp_targetILNS1_3genE4ELNS1_11target_archE910ELNS1_3gpuE8ELNS1_3repE0EEENS1_30default_config_static_selectorELNS0_4arch9wavefront6targetE0EEEvT1_.uses_flat_scratch, 0
	.set _ZN7rocprim17ROCPRIM_400000_NS6detail17trampoline_kernelINS0_14default_configENS1_25partition_config_selectorILNS1_17partition_subalgoE5EiNS0_10empty_typeEbEEZZNS1_14partition_implILS5_5ELb0ES3_mN6thrust23THRUST_200600_302600_NS6detail15normal_iteratorINSA_10device_ptrIiEEEEPS6_NSA_18transform_iteratorINSB_9not_fun_tINSA_8identityIiEEEESF_NSA_11use_defaultESM_EENS0_5tupleIJSF_S6_EEENSO_IJSG_SG_EEES6_PlJS6_EEE10hipError_tPvRmT3_T4_T5_T6_T7_T9_mT8_P12ihipStream_tbDpT10_ENKUlT_T0_E_clISt17integral_constantIbLb0EES1A_IbLb1EEEEDaS16_S17_EUlS16_E_NS1_11comp_targetILNS1_3genE4ELNS1_11target_archE910ELNS1_3gpuE8ELNS1_3repE0EEENS1_30default_config_static_selectorELNS0_4arch9wavefront6targetE0EEEvT1_.has_dyn_sized_stack, 0
	.set _ZN7rocprim17ROCPRIM_400000_NS6detail17trampoline_kernelINS0_14default_configENS1_25partition_config_selectorILNS1_17partition_subalgoE5EiNS0_10empty_typeEbEEZZNS1_14partition_implILS5_5ELb0ES3_mN6thrust23THRUST_200600_302600_NS6detail15normal_iteratorINSA_10device_ptrIiEEEEPS6_NSA_18transform_iteratorINSB_9not_fun_tINSA_8identityIiEEEESF_NSA_11use_defaultESM_EENS0_5tupleIJSF_S6_EEENSO_IJSG_SG_EEES6_PlJS6_EEE10hipError_tPvRmT3_T4_T5_T6_T7_T9_mT8_P12ihipStream_tbDpT10_ENKUlT_T0_E_clISt17integral_constantIbLb0EES1A_IbLb1EEEEDaS16_S17_EUlS16_E_NS1_11comp_targetILNS1_3genE4ELNS1_11target_archE910ELNS1_3gpuE8ELNS1_3repE0EEENS1_30default_config_static_selectorELNS0_4arch9wavefront6targetE0EEEvT1_.has_recursion, 0
	.set _ZN7rocprim17ROCPRIM_400000_NS6detail17trampoline_kernelINS0_14default_configENS1_25partition_config_selectorILNS1_17partition_subalgoE5EiNS0_10empty_typeEbEEZZNS1_14partition_implILS5_5ELb0ES3_mN6thrust23THRUST_200600_302600_NS6detail15normal_iteratorINSA_10device_ptrIiEEEEPS6_NSA_18transform_iteratorINSB_9not_fun_tINSA_8identityIiEEEESF_NSA_11use_defaultESM_EENS0_5tupleIJSF_S6_EEENSO_IJSG_SG_EEES6_PlJS6_EEE10hipError_tPvRmT3_T4_T5_T6_T7_T9_mT8_P12ihipStream_tbDpT10_ENKUlT_T0_E_clISt17integral_constantIbLb0EES1A_IbLb1EEEEDaS16_S17_EUlS16_E_NS1_11comp_targetILNS1_3genE4ELNS1_11target_archE910ELNS1_3gpuE8ELNS1_3repE0EEENS1_30default_config_static_selectorELNS0_4arch9wavefront6targetE0EEEvT1_.has_indirect_call, 0
	.section	.AMDGPU.csdata,"",@progbits
; Kernel info:
; codeLenInByte = 0
; TotalNumSgprs: 0
; NumVgprs: 0
; ScratchSize: 0
; MemoryBound: 0
; FloatMode: 240
; IeeeMode: 1
; LDSByteSize: 0 bytes/workgroup (compile time only)
; SGPRBlocks: 0
; VGPRBlocks: 0
; NumSGPRsForWavesPerEU: 1
; NumVGPRsForWavesPerEU: 1
; Occupancy: 16
; WaveLimiterHint : 0
; COMPUTE_PGM_RSRC2:SCRATCH_EN: 0
; COMPUTE_PGM_RSRC2:USER_SGPR: 2
; COMPUTE_PGM_RSRC2:TRAP_HANDLER: 0
; COMPUTE_PGM_RSRC2:TGID_X_EN: 1
; COMPUTE_PGM_RSRC2:TGID_Y_EN: 0
; COMPUTE_PGM_RSRC2:TGID_Z_EN: 0
; COMPUTE_PGM_RSRC2:TIDIG_COMP_CNT: 0
	.section	.text._ZN7rocprim17ROCPRIM_400000_NS6detail17trampoline_kernelINS0_14default_configENS1_25partition_config_selectorILNS1_17partition_subalgoE5EiNS0_10empty_typeEbEEZZNS1_14partition_implILS5_5ELb0ES3_mN6thrust23THRUST_200600_302600_NS6detail15normal_iteratorINSA_10device_ptrIiEEEEPS6_NSA_18transform_iteratorINSB_9not_fun_tINSA_8identityIiEEEESF_NSA_11use_defaultESM_EENS0_5tupleIJSF_S6_EEENSO_IJSG_SG_EEES6_PlJS6_EEE10hipError_tPvRmT3_T4_T5_T6_T7_T9_mT8_P12ihipStream_tbDpT10_ENKUlT_T0_E_clISt17integral_constantIbLb0EES1A_IbLb1EEEEDaS16_S17_EUlS16_E_NS1_11comp_targetILNS1_3genE3ELNS1_11target_archE908ELNS1_3gpuE7ELNS1_3repE0EEENS1_30default_config_static_selectorELNS0_4arch9wavefront6targetE0EEEvT1_,"axG",@progbits,_ZN7rocprim17ROCPRIM_400000_NS6detail17trampoline_kernelINS0_14default_configENS1_25partition_config_selectorILNS1_17partition_subalgoE5EiNS0_10empty_typeEbEEZZNS1_14partition_implILS5_5ELb0ES3_mN6thrust23THRUST_200600_302600_NS6detail15normal_iteratorINSA_10device_ptrIiEEEEPS6_NSA_18transform_iteratorINSB_9not_fun_tINSA_8identityIiEEEESF_NSA_11use_defaultESM_EENS0_5tupleIJSF_S6_EEENSO_IJSG_SG_EEES6_PlJS6_EEE10hipError_tPvRmT3_T4_T5_T6_T7_T9_mT8_P12ihipStream_tbDpT10_ENKUlT_T0_E_clISt17integral_constantIbLb0EES1A_IbLb1EEEEDaS16_S17_EUlS16_E_NS1_11comp_targetILNS1_3genE3ELNS1_11target_archE908ELNS1_3gpuE7ELNS1_3repE0EEENS1_30default_config_static_selectorELNS0_4arch9wavefront6targetE0EEEvT1_,comdat
	.protected	_ZN7rocprim17ROCPRIM_400000_NS6detail17trampoline_kernelINS0_14default_configENS1_25partition_config_selectorILNS1_17partition_subalgoE5EiNS0_10empty_typeEbEEZZNS1_14partition_implILS5_5ELb0ES3_mN6thrust23THRUST_200600_302600_NS6detail15normal_iteratorINSA_10device_ptrIiEEEEPS6_NSA_18transform_iteratorINSB_9not_fun_tINSA_8identityIiEEEESF_NSA_11use_defaultESM_EENS0_5tupleIJSF_S6_EEENSO_IJSG_SG_EEES6_PlJS6_EEE10hipError_tPvRmT3_T4_T5_T6_T7_T9_mT8_P12ihipStream_tbDpT10_ENKUlT_T0_E_clISt17integral_constantIbLb0EES1A_IbLb1EEEEDaS16_S17_EUlS16_E_NS1_11comp_targetILNS1_3genE3ELNS1_11target_archE908ELNS1_3gpuE7ELNS1_3repE0EEENS1_30default_config_static_selectorELNS0_4arch9wavefront6targetE0EEEvT1_ ; -- Begin function _ZN7rocprim17ROCPRIM_400000_NS6detail17trampoline_kernelINS0_14default_configENS1_25partition_config_selectorILNS1_17partition_subalgoE5EiNS0_10empty_typeEbEEZZNS1_14partition_implILS5_5ELb0ES3_mN6thrust23THRUST_200600_302600_NS6detail15normal_iteratorINSA_10device_ptrIiEEEEPS6_NSA_18transform_iteratorINSB_9not_fun_tINSA_8identityIiEEEESF_NSA_11use_defaultESM_EENS0_5tupleIJSF_S6_EEENSO_IJSG_SG_EEES6_PlJS6_EEE10hipError_tPvRmT3_T4_T5_T6_T7_T9_mT8_P12ihipStream_tbDpT10_ENKUlT_T0_E_clISt17integral_constantIbLb0EES1A_IbLb1EEEEDaS16_S17_EUlS16_E_NS1_11comp_targetILNS1_3genE3ELNS1_11target_archE908ELNS1_3gpuE7ELNS1_3repE0EEENS1_30default_config_static_selectorELNS0_4arch9wavefront6targetE0EEEvT1_
	.globl	_ZN7rocprim17ROCPRIM_400000_NS6detail17trampoline_kernelINS0_14default_configENS1_25partition_config_selectorILNS1_17partition_subalgoE5EiNS0_10empty_typeEbEEZZNS1_14partition_implILS5_5ELb0ES3_mN6thrust23THRUST_200600_302600_NS6detail15normal_iteratorINSA_10device_ptrIiEEEEPS6_NSA_18transform_iteratorINSB_9not_fun_tINSA_8identityIiEEEESF_NSA_11use_defaultESM_EENS0_5tupleIJSF_S6_EEENSO_IJSG_SG_EEES6_PlJS6_EEE10hipError_tPvRmT3_T4_T5_T6_T7_T9_mT8_P12ihipStream_tbDpT10_ENKUlT_T0_E_clISt17integral_constantIbLb0EES1A_IbLb1EEEEDaS16_S17_EUlS16_E_NS1_11comp_targetILNS1_3genE3ELNS1_11target_archE908ELNS1_3gpuE7ELNS1_3repE0EEENS1_30default_config_static_selectorELNS0_4arch9wavefront6targetE0EEEvT1_
	.p2align	8
	.type	_ZN7rocprim17ROCPRIM_400000_NS6detail17trampoline_kernelINS0_14default_configENS1_25partition_config_selectorILNS1_17partition_subalgoE5EiNS0_10empty_typeEbEEZZNS1_14partition_implILS5_5ELb0ES3_mN6thrust23THRUST_200600_302600_NS6detail15normal_iteratorINSA_10device_ptrIiEEEEPS6_NSA_18transform_iteratorINSB_9not_fun_tINSA_8identityIiEEEESF_NSA_11use_defaultESM_EENS0_5tupleIJSF_S6_EEENSO_IJSG_SG_EEES6_PlJS6_EEE10hipError_tPvRmT3_T4_T5_T6_T7_T9_mT8_P12ihipStream_tbDpT10_ENKUlT_T0_E_clISt17integral_constantIbLb0EES1A_IbLb1EEEEDaS16_S17_EUlS16_E_NS1_11comp_targetILNS1_3genE3ELNS1_11target_archE908ELNS1_3gpuE7ELNS1_3repE0EEENS1_30default_config_static_selectorELNS0_4arch9wavefront6targetE0EEEvT1_,@function
_ZN7rocprim17ROCPRIM_400000_NS6detail17trampoline_kernelINS0_14default_configENS1_25partition_config_selectorILNS1_17partition_subalgoE5EiNS0_10empty_typeEbEEZZNS1_14partition_implILS5_5ELb0ES3_mN6thrust23THRUST_200600_302600_NS6detail15normal_iteratorINSA_10device_ptrIiEEEEPS6_NSA_18transform_iteratorINSB_9not_fun_tINSA_8identityIiEEEESF_NSA_11use_defaultESM_EENS0_5tupleIJSF_S6_EEENSO_IJSG_SG_EEES6_PlJS6_EEE10hipError_tPvRmT3_T4_T5_T6_T7_T9_mT8_P12ihipStream_tbDpT10_ENKUlT_T0_E_clISt17integral_constantIbLb0EES1A_IbLb1EEEEDaS16_S17_EUlS16_E_NS1_11comp_targetILNS1_3genE3ELNS1_11target_archE908ELNS1_3gpuE7ELNS1_3repE0EEENS1_30default_config_static_selectorELNS0_4arch9wavefront6targetE0EEEvT1_: ; @_ZN7rocprim17ROCPRIM_400000_NS6detail17trampoline_kernelINS0_14default_configENS1_25partition_config_selectorILNS1_17partition_subalgoE5EiNS0_10empty_typeEbEEZZNS1_14partition_implILS5_5ELb0ES3_mN6thrust23THRUST_200600_302600_NS6detail15normal_iteratorINSA_10device_ptrIiEEEEPS6_NSA_18transform_iteratorINSB_9not_fun_tINSA_8identityIiEEEESF_NSA_11use_defaultESM_EENS0_5tupleIJSF_S6_EEENSO_IJSG_SG_EEES6_PlJS6_EEE10hipError_tPvRmT3_T4_T5_T6_T7_T9_mT8_P12ihipStream_tbDpT10_ENKUlT_T0_E_clISt17integral_constantIbLb0EES1A_IbLb1EEEEDaS16_S17_EUlS16_E_NS1_11comp_targetILNS1_3genE3ELNS1_11target_archE908ELNS1_3gpuE7ELNS1_3repE0EEENS1_30default_config_static_selectorELNS0_4arch9wavefront6targetE0EEEvT1_
; %bb.0:
	.section	.rodata,"a",@progbits
	.p2align	6, 0x0
	.amdhsa_kernel _ZN7rocprim17ROCPRIM_400000_NS6detail17trampoline_kernelINS0_14default_configENS1_25partition_config_selectorILNS1_17partition_subalgoE5EiNS0_10empty_typeEbEEZZNS1_14partition_implILS5_5ELb0ES3_mN6thrust23THRUST_200600_302600_NS6detail15normal_iteratorINSA_10device_ptrIiEEEEPS6_NSA_18transform_iteratorINSB_9not_fun_tINSA_8identityIiEEEESF_NSA_11use_defaultESM_EENS0_5tupleIJSF_S6_EEENSO_IJSG_SG_EEES6_PlJS6_EEE10hipError_tPvRmT3_T4_T5_T6_T7_T9_mT8_P12ihipStream_tbDpT10_ENKUlT_T0_E_clISt17integral_constantIbLb0EES1A_IbLb1EEEEDaS16_S17_EUlS16_E_NS1_11comp_targetILNS1_3genE3ELNS1_11target_archE908ELNS1_3gpuE7ELNS1_3repE0EEENS1_30default_config_static_selectorELNS0_4arch9wavefront6targetE0EEEvT1_
		.amdhsa_group_segment_fixed_size 0
		.amdhsa_private_segment_fixed_size 0
		.amdhsa_kernarg_size 136
		.amdhsa_user_sgpr_count 2
		.amdhsa_user_sgpr_dispatch_ptr 0
		.amdhsa_user_sgpr_queue_ptr 0
		.amdhsa_user_sgpr_kernarg_segment_ptr 1
		.amdhsa_user_sgpr_dispatch_id 0
		.amdhsa_user_sgpr_private_segment_size 0
		.amdhsa_wavefront_size32 1
		.amdhsa_uses_dynamic_stack 0
		.amdhsa_enable_private_segment 0
		.amdhsa_system_sgpr_workgroup_id_x 1
		.amdhsa_system_sgpr_workgroup_id_y 0
		.amdhsa_system_sgpr_workgroup_id_z 0
		.amdhsa_system_sgpr_workgroup_info 0
		.amdhsa_system_vgpr_workitem_id 0
		.amdhsa_next_free_vgpr 1
		.amdhsa_next_free_sgpr 1
		.amdhsa_reserve_vcc 0
		.amdhsa_float_round_mode_32 0
		.amdhsa_float_round_mode_16_64 0
		.amdhsa_float_denorm_mode_32 3
		.amdhsa_float_denorm_mode_16_64 3
		.amdhsa_fp16_overflow 0
		.amdhsa_workgroup_processor_mode 1
		.amdhsa_memory_ordered 1
		.amdhsa_forward_progress 1
		.amdhsa_inst_pref_size 0
		.amdhsa_round_robin_scheduling 0
		.amdhsa_exception_fp_ieee_invalid_op 0
		.amdhsa_exception_fp_denorm_src 0
		.amdhsa_exception_fp_ieee_div_zero 0
		.amdhsa_exception_fp_ieee_overflow 0
		.amdhsa_exception_fp_ieee_underflow 0
		.amdhsa_exception_fp_ieee_inexact 0
		.amdhsa_exception_int_div_zero 0
	.end_amdhsa_kernel
	.section	.text._ZN7rocprim17ROCPRIM_400000_NS6detail17trampoline_kernelINS0_14default_configENS1_25partition_config_selectorILNS1_17partition_subalgoE5EiNS0_10empty_typeEbEEZZNS1_14partition_implILS5_5ELb0ES3_mN6thrust23THRUST_200600_302600_NS6detail15normal_iteratorINSA_10device_ptrIiEEEEPS6_NSA_18transform_iteratorINSB_9not_fun_tINSA_8identityIiEEEESF_NSA_11use_defaultESM_EENS0_5tupleIJSF_S6_EEENSO_IJSG_SG_EEES6_PlJS6_EEE10hipError_tPvRmT3_T4_T5_T6_T7_T9_mT8_P12ihipStream_tbDpT10_ENKUlT_T0_E_clISt17integral_constantIbLb0EES1A_IbLb1EEEEDaS16_S17_EUlS16_E_NS1_11comp_targetILNS1_3genE3ELNS1_11target_archE908ELNS1_3gpuE7ELNS1_3repE0EEENS1_30default_config_static_selectorELNS0_4arch9wavefront6targetE0EEEvT1_,"axG",@progbits,_ZN7rocprim17ROCPRIM_400000_NS6detail17trampoline_kernelINS0_14default_configENS1_25partition_config_selectorILNS1_17partition_subalgoE5EiNS0_10empty_typeEbEEZZNS1_14partition_implILS5_5ELb0ES3_mN6thrust23THRUST_200600_302600_NS6detail15normal_iteratorINSA_10device_ptrIiEEEEPS6_NSA_18transform_iteratorINSB_9not_fun_tINSA_8identityIiEEEESF_NSA_11use_defaultESM_EENS0_5tupleIJSF_S6_EEENSO_IJSG_SG_EEES6_PlJS6_EEE10hipError_tPvRmT3_T4_T5_T6_T7_T9_mT8_P12ihipStream_tbDpT10_ENKUlT_T0_E_clISt17integral_constantIbLb0EES1A_IbLb1EEEEDaS16_S17_EUlS16_E_NS1_11comp_targetILNS1_3genE3ELNS1_11target_archE908ELNS1_3gpuE7ELNS1_3repE0EEENS1_30default_config_static_selectorELNS0_4arch9wavefront6targetE0EEEvT1_,comdat
.Lfunc_end1008:
	.size	_ZN7rocprim17ROCPRIM_400000_NS6detail17trampoline_kernelINS0_14default_configENS1_25partition_config_selectorILNS1_17partition_subalgoE5EiNS0_10empty_typeEbEEZZNS1_14partition_implILS5_5ELb0ES3_mN6thrust23THRUST_200600_302600_NS6detail15normal_iteratorINSA_10device_ptrIiEEEEPS6_NSA_18transform_iteratorINSB_9not_fun_tINSA_8identityIiEEEESF_NSA_11use_defaultESM_EENS0_5tupleIJSF_S6_EEENSO_IJSG_SG_EEES6_PlJS6_EEE10hipError_tPvRmT3_T4_T5_T6_T7_T9_mT8_P12ihipStream_tbDpT10_ENKUlT_T0_E_clISt17integral_constantIbLb0EES1A_IbLb1EEEEDaS16_S17_EUlS16_E_NS1_11comp_targetILNS1_3genE3ELNS1_11target_archE908ELNS1_3gpuE7ELNS1_3repE0EEENS1_30default_config_static_selectorELNS0_4arch9wavefront6targetE0EEEvT1_, .Lfunc_end1008-_ZN7rocprim17ROCPRIM_400000_NS6detail17trampoline_kernelINS0_14default_configENS1_25partition_config_selectorILNS1_17partition_subalgoE5EiNS0_10empty_typeEbEEZZNS1_14partition_implILS5_5ELb0ES3_mN6thrust23THRUST_200600_302600_NS6detail15normal_iteratorINSA_10device_ptrIiEEEEPS6_NSA_18transform_iteratorINSB_9not_fun_tINSA_8identityIiEEEESF_NSA_11use_defaultESM_EENS0_5tupleIJSF_S6_EEENSO_IJSG_SG_EEES6_PlJS6_EEE10hipError_tPvRmT3_T4_T5_T6_T7_T9_mT8_P12ihipStream_tbDpT10_ENKUlT_T0_E_clISt17integral_constantIbLb0EES1A_IbLb1EEEEDaS16_S17_EUlS16_E_NS1_11comp_targetILNS1_3genE3ELNS1_11target_archE908ELNS1_3gpuE7ELNS1_3repE0EEENS1_30default_config_static_selectorELNS0_4arch9wavefront6targetE0EEEvT1_
                                        ; -- End function
	.set _ZN7rocprim17ROCPRIM_400000_NS6detail17trampoline_kernelINS0_14default_configENS1_25partition_config_selectorILNS1_17partition_subalgoE5EiNS0_10empty_typeEbEEZZNS1_14partition_implILS5_5ELb0ES3_mN6thrust23THRUST_200600_302600_NS6detail15normal_iteratorINSA_10device_ptrIiEEEEPS6_NSA_18transform_iteratorINSB_9not_fun_tINSA_8identityIiEEEESF_NSA_11use_defaultESM_EENS0_5tupleIJSF_S6_EEENSO_IJSG_SG_EEES6_PlJS6_EEE10hipError_tPvRmT3_T4_T5_T6_T7_T9_mT8_P12ihipStream_tbDpT10_ENKUlT_T0_E_clISt17integral_constantIbLb0EES1A_IbLb1EEEEDaS16_S17_EUlS16_E_NS1_11comp_targetILNS1_3genE3ELNS1_11target_archE908ELNS1_3gpuE7ELNS1_3repE0EEENS1_30default_config_static_selectorELNS0_4arch9wavefront6targetE0EEEvT1_.num_vgpr, 0
	.set _ZN7rocprim17ROCPRIM_400000_NS6detail17trampoline_kernelINS0_14default_configENS1_25partition_config_selectorILNS1_17partition_subalgoE5EiNS0_10empty_typeEbEEZZNS1_14partition_implILS5_5ELb0ES3_mN6thrust23THRUST_200600_302600_NS6detail15normal_iteratorINSA_10device_ptrIiEEEEPS6_NSA_18transform_iteratorINSB_9not_fun_tINSA_8identityIiEEEESF_NSA_11use_defaultESM_EENS0_5tupleIJSF_S6_EEENSO_IJSG_SG_EEES6_PlJS6_EEE10hipError_tPvRmT3_T4_T5_T6_T7_T9_mT8_P12ihipStream_tbDpT10_ENKUlT_T0_E_clISt17integral_constantIbLb0EES1A_IbLb1EEEEDaS16_S17_EUlS16_E_NS1_11comp_targetILNS1_3genE3ELNS1_11target_archE908ELNS1_3gpuE7ELNS1_3repE0EEENS1_30default_config_static_selectorELNS0_4arch9wavefront6targetE0EEEvT1_.num_agpr, 0
	.set _ZN7rocprim17ROCPRIM_400000_NS6detail17trampoline_kernelINS0_14default_configENS1_25partition_config_selectorILNS1_17partition_subalgoE5EiNS0_10empty_typeEbEEZZNS1_14partition_implILS5_5ELb0ES3_mN6thrust23THRUST_200600_302600_NS6detail15normal_iteratorINSA_10device_ptrIiEEEEPS6_NSA_18transform_iteratorINSB_9not_fun_tINSA_8identityIiEEEESF_NSA_11use_defaultESM_EENS0_5tupleIJSF_S6_EEENSO_IJSG_SG_EEES6_PlJS6_EEE10hipError_tPvRmT3_T4_T5_T6_T7_T9_mT8_P12ihipStream_tbDpT10_ENKUlT_T0_E_clISt17integral_constantIbLb0EES1A_IbLb1EEEEDaS16_S17_EUlS16_E_NS1_11comp_targetILNS1_3genE3ELNS1_11target_archE908ELNS1_3gpuE7ELNS1_3repE0EEENS1_30default_config_static_selectorELNS0_4arch9wavefront6targetE0EEEvT1_.numbered_sgpr, 0
	.set _ZN7rocprim17ROCPRIM_400000_NS6detail17trampoline_kernelINS0_14default_configENS1_25partition_config_selectorILNS1_17partition_subalgoE5EiNS0_10empty_typeEbEEZZNS1_14partition_implILS5_5ELb0ES3_mN6thrust23THRUST_200600_302600_NS6detail15normal_iteratorINSA_10device_ptrIiEEEEPS6_NSA_18transform_iteratorINSB_9not_fun_tINSA_8identityIiEEEESF_NSA_11use_defaultESM_EENS0_5tupleIJSF_S6_EEENSO_IJSG_SG_EEES6_PlJS6_EEE10hipError_tPvRmT3_T4_T5_T6_T7_T9_mT8_P12ihipStream_tbDpT10_ENKUlT_T0_E_clISt17integral_constantIbLb0EES1A_IbLb1EEEEDaS16_S17_EUlS16_E_NS1_11comp_targetILNS1_3genE3ELNS1_11target_archE908ELNS1_3gpuE7ELNS1_3repE0EEENS1_30default_config_static_selectorELNS0_4arch9wavefront6targetE0EEEvT1_.num_named_barrier, 0
	.set _ZN7rocprim17ROCPRIM_400000_NS6detail17trampoline_kernelINS0_14default_configENS1_25partition_config_selectorILNS1_17partition_subalgoE5EiNS0_10empty_typeEbEEZZNS1_14partition_implILS5_5ELb0ES3_mN6thrust23THRUST_200600_302600_NS6detail15normal_iteratorINSA_10device_ptrIiEEEEPS6_NSA_18transform_iteratorINSB_9not_fun_tINSA_8identityIiEEEESF_NSA_11use_defaultESM_EENS0_5tupleIJSF_S6_EEENSO_IJSG_SG_EEES6_PlJS6_EEE10hipError_tPvRmT3_T4_T5_T6_T7_T9_mT8_P12ihipStream_tbDpT10_ENKUlT_T0_E_clISt17integral_constantIbLb0EES1A_IbLb1EEEEDaS16_S17_EUlS16_E_NS1_11comp_targetILNS1_3genE3ELNS1_11target_archE908ELNS1_3gpuE7ELNS1_3repE0EEENS1_30default_config_static_selectorELNS0_4arch9wavefront6targetE0EEEvT1_.private_seg_size, 0
	.set _ZN7rocprim17ROCPRIM_400000_NS6detail17trampoline_kernelINS0_14default_configENS1_25partition_config_selectorILNS1_17partition_subalgoE5EiNS0_10empty_typeEbEEZZNS1_14partition_implILS5_5ELb0ES3_mN6thrust23THRUST_200600_302600_NS6detail15normal_iteratorINSA_10device_ptrIiEEEEPS6_NSA_18transform_iteratorINSB_9not_fun_tINSA_8identityIiEEEESF_NSA_11use_defaultESM_EENS0_5tupleIJSF_S6_EEENSO_IJSG_SG_EEES6_PlJS6_EEE10hipError_tPvRmT3_T4_T5_T6_T7_T9_mT8_P12ihipStream_tbDpT10_ENKUlT_T0_E_clISt17integral_constantIbLb0EES1A_IbLb1EEEEDaS16_S17_EUlS16_E_NS1_11comp_targetILNS1_3genE3ELNS1_11target_archE908ELNS1_3gpuE7ELNS1_3repE0EEENS1_30default_config_static_selectorELNS0_4arch9wavefront6targetE0EEEvT1_.uses_vcc, 0
	.set _ZN7rocprim17ROCPRIM_400000_NS6detail17trampoline_kernelINS0_14default_configENS1_25partition_config_selectorILNS1_17partition_subalgoE5EiNS0_10empty_typeEbEEZZNS1_14partition_implILS5_5ELb0ES3_mN6thrust23THRUST_200600_302600_NS6detail15normal_iteratorINSA_10device_ptrIiEEEEPS6_NSA_18transform_iteratorINSB_9not_fun_tINSA_8identityIiEEEESF_NSA_11use_defaultESM_EENS0_5tupleIJSF_S6_EEENSO_IJSG_SG_EEES6_PlJS6_EEE10hipError_tPvRmT3_T4_T5_T6_T7_T9_mT8_P12ihipStream_tbDpT10_ENKUlT_T0_E_clISt17integral_constantIbLb0EES1A_IbLb1EEEEDaS16_S17_EUlS16_E_NS1_11comp_targetILNS1_3genE3ELNS1_11target_archE908ELNS1_3gpuE7ELNS1_3repE0EEENS1_30default_config_static_selectorELNS0_4arch9wavefront6targetE0EEEvT1_.uses_flat_scratch, 0
	.set _ZN7rocprim17ROCPRIM_400000_NS6detail17trampoline_kernelINS0_14default_configENS1_25partition_config_selectorILNS1_17partition_subalgoE5EiNS0_10empty_typeEbEEZZNS1_14partition_implILS5_5ELb0ES3_mN6thrust23THRUST_200600_302600_NS6detail15normal_iteratorINSA_10device_ptrIiEEEEPS6_NSA_18transform_iteratorINSB_9not_fun_tINSA_8identityIiEEEESF_NSA_11use_defaultESM_EENS0_5tupleIJSF_S6_EEENSO_IJSG_SG_EEES6_PlJS6_EEE10hipError_tPvRmT3_T4_T5_T6_T7_T9_mT8_P12ihipStream_tbDpT10_ENKUlT_T0_E_clISt17integral_constantIbLb0EES1A_IbLb1EEEEDaS16_S17_EUlS16_E_NS1_11comp_targetILNS1_3genE3ELNS1_11target_archE908ELNS1_3gpuE7ELNS1_3repE0EEENS1_30default_config_static_selectorELNS0_4arch9wavefront6targetE0EEEvT1_.has_dyn_sized_stack, 0
	.set _ZN7rocprim17ROCPRIM_400000_NS6detail17trampoline_kernelINS0_14default_configENS1_25partition_config_selectorILNS1_17partition_subalgoE5EiNS0_10empty_typeEbEEZZNS1_14partition_implILS5_5ELb0ES3_mN6thrust23THRUST_200600_302600_NS6detail15normal_iteratorINSA_10device_ptrIiEEEEPS6_NSA_18transform_iteratorINSB_9not_fun_tINSA_8identityIiEEEESF_NSA_11use_defaultESM_EENS0_5tupleIJSF_S6_EEENSO_IJSG_SG_EEES6_PlJS6_EEE10hipError_tPvRmT3_T4_T5_T6_T7_T9_mT8_P12ihipStream_tbDpT10_ENKUlT_T0_E_clISt17integral_constantIbLb0EES1A_IbLb1EEEEDaS16_S17_EUlS16_E_NS1_11comp_targetILNS1_3genE3ELNS1_11target_archE908ELNS1_3gpuE7ELNS1_3repE0EEENS1_30default_config_static_selectorELNS0_4arch9wavefront6targetE0EEEvT1_.has_recursion, 0
	.set _ZN7rocprim17ROCPRIM_400000_NS6detail17trampoline_kernelINS0_14default_configENS1_25partition_config_selectorILNS1_17partition_subalgoE5EiNS0_10empty_typeEbEEZZNS1_14partition_implILS5_5ELb0ES3_mN6thrust23THRUST_200600_302600_NS6detail15normal_iteratorINSA_10device_ptrIiEEEEPS6_NSA_18transform_iteratorINSB_9not_fun_tINSA_8identityIiEEEESF_NSA_11use_defaultESM_EENS0_5tupleIJSF_S6_EEENSO_IJSG_SG_EEES6_PlJS6_EEE10hipError_tPvRmT3_T4_T5_T6_T7_T9_mT8_P12ihipStream_tbDpT10_ENKUlT_T0_E_clISt17integral_constantIbLb0EES1A_IbLb1EEEEDaS16_S17_EUlS16_E_NS1_11comp_targetILNS1_3genE3ELNS1_11target_archE908ELNS1_3gpuE7ELNS1_3repE0EEENS1_30default_config_static_selectorELNS0_4arch9wavefront6targetE0EEEvT1_.has_indirect_call, 0
	.section	.AMDGPU.csdata,"",@progbits
; Kernel info:
; codeLenInByte = 0
; TotalNumSgprs: 0
; NumVgprs: 0
; ScratchSize: 0
; MemoryBound: 0
; FloatMode: 240
; IeeeMode: 1
; LDSByteSize: 0 bytes/workgroup (compile time only)
; SGPRBlocks: 0
; VGPRBlocks: 0
; NumSGPRsForWavesPerEU: 1
; NumVGPRsForWavesPerEU: 1
; Occupancy: 16
; WaveLimiterHint : 0
; COMPUTE_PGM_RSRC2:SCRATCH_EN: 0
; COMPUTE_PGM_RSRC2:USER_SGPR: 2
; COMPUTE_PGM_RSRC2:TRAP_HANDLER: 0
; COMPUTE_PGM_RSRC2:TGID_X_EN: 1
; COMPUTE_PGM_RSRC2:TGID_Y_EN: 0
; COMPUTE_PGM_RSRC2:TGID_Z_EN: 0
; COMPUTE_PGM_RSRC2:TIDIG_COMP_CNT: 0
	.section	.text._ZN7rocprim17ROCPRIM_400000_NS6detail17trampoline_kernelINS0_14default_configENS1_25partition_config_selectorILNS1_17partition_subalgoE5EiNS0_10empty_typeEbEEZZNS1_14partition_implILS5_5ELb0ES3_mN6thrust23THRUST_200600_302600_NS6detail15normal_iteratorINSA_10device_ptrIiEEEEPS6_NSA_18transform_iteratorINSB_9not_fun_tINSA_8identityIiEEEESF_NSA_11use_defaultESM_EENS0_5tupleIJSF_S6_EEENSO_IJSG_SG_EEES6_PlJS6_EEE10hipError_tPvRmT3_T4_T5_T6_T7_T9_mT8_P12ihipStream_tbDpT10_ENKUlT_T0_E_clISt17integral_constantIbLb0EES1A_IbLb1EEEEDaS16_S17_EUlS16_E_NS1_11comp_targetILNS1_3genE2ELNS1_11target_archE906ELNS1_3gpuE6ELNS1_3repE0EEENS1_30default_config_static_selectorELNS0_4arch9wavefront6targetE0EEEvT1_,"axG",@progbits,_ZN7rocprim17ROCPRIM_400000_NS6detail17trampoline_kernelINS0_14default_configENS1_25partition_config_selectorILNS1_17partition_subalgoE5EiNS0_10empty_typeEbEEZZNS1_14partition_implILS5_5ELb0ES3_mN6thrust23THRUST_200600_302600_NS6detail15normal_iteratorINSA_10device_ptrIiEEEEPS6_NSA_18transform_iteratorINSB_9not_fun_tINSA_8identityIiEEEESF_NSA_11use_defaultESM_EENS0_5tupleIJSF_S6_EEENSO_IJSG_SG_EEES6_PlJS6_EEE10hipError_tPvRmT3_T4_T5_T6_T7_T9_mT8_P12ihipStream_tbDpT10_ENKUlT_T0_E_clISt17integral_constantIbLb0EES1A_IbLb1EEEEDaS16_S17_EUlS16_E_NS1_11comp_targetILNS1_3genE2ELNS1_11target_archE906ELNS1_3gpuE6ELNS1_3repE0EEENS1_30default_config_static_selectorELNS0_4arch9wavefront6targetE0EEEvT1_,comdat
	.protected	_ZN7rocprim17ROCPRIM_400000_NS6detail17trampoline_kernelINS0_14default_configENS1_25partition_config_selectorILNS1_17partition_subalgoE5EiNS0_10empty_typeEbEEZZNS1_14partition_implILS5_5ELb0ES3_mN6thrust23THRUST_200600_302600_NS6detail15normal_iteratorINSA_10device_ptrIiEEEEPS6_NSA_18transform_iteratorINSB_9not_fun_tINSA_8identityIiEEEESF_NSA_11use_defaultESM_EENS0_5tupleIJSF_S6_EEENSO_IJSG_SG_EEES6_PlJS6_EEE10hipError_tPvRmT3_T4_T5_T6_T7_T9_mT8_P12ihipStream_tbDpT10_ENKUlT_T0_E_clISt17integral_constantIbLb0EES1A_IbLb1EEEEDaS16_S17_EUlS16_E_NS1_11comp_targetILNS1_3genE2ELNS1_11target_archE906ELNS1_3gpuE6ELNS1_3repE0EEENS1_30default_config_static_selectorELNS0_4arch9wavefront6targetE0EEEvT1_ ; -- Begin function _ZN7rocprim17ROCPRIM_400000_NS6detail17trampoline_kernelINS0_14default_configENS1_25partition_config_selectorILNS1_17partition_subalgoE5EiNS0_10empty_typeEbEEZZNS1_14partition_implILS5_5ELb0ES3_mN6thrust23THRUST_200600_302600_NS6detail15normal_iteratorINSA_10device_ptrIiEEEEPS6_NSA_18transform_iteratorINSB_9not_fun_tINSA_8identityIiEEEESF_NSA_11use_defaultESM_EENS0_5tupleIJSF_S6_EEENSO_IJSG_SG_EEES6_PlJS6_EEE10hipError_tPvRmT3_T4_T5_T6_T7_T9_mT8_P12ihipStream_tbDpT10_ENKUlT_T0_E_clISt17integral_constantIbLb0EES1A_IbLb1EEEEDaS16_S17_EUlS16_E_NS1_11comp_targetILNS1_3genE2ELNS1_11target_archE906ELNS1_3gpuE6ELNS1_3repE0EEENS1_30default_config_static_selectorELNS0_4arch9wavefront6targetE0EEEvT1_
	.globl	_ZN7rocprim17ROCPRIM_400000_NS6detail17trampoline_kernelINS0_14default_configENS1_25partition_config_selectorILNS1_17partition_subalgoE5EiNS0_10empty_typeEbEEZZNS1_14partition_implILS5_5ELb0ES3_mN6thrust23THRUST_200600_302600_NS6detail15normal_iteratorINSA_10device_ptrIiEEEEPS6_NSA_18transform_iteratorINSB_9not_fun_tINSA_8identityIiEEEESF_NSA_11use_defaultESM_EENS0_5tupleIJSF_S6_EEENSO_IJSG_SG_EEES6_PlJS6_EEE10hipError_tPvRmT3_T4_T5_T6_T7_T9_mT8_P12ihipStream_tbDpT10_ENKUlT_T0_E_clISt17integral_constantIbLb0EES1A_IbLb1EEEEDaS16_S17_EUlS16_E_NS1_11comp_targetILNS1_3genE2ELNS1_11target_archE906ELNS1_3gpuE6ELNS1_3repE0EEENS1_30default_config_static_selectorELNS0_4arch9wavefront6targetE0EEEvT1_
	.p2align	8
	.type	_ZN7rocprim17ROCPRIM_400000_NS6detail17trampoline_kernelINS0_14default_configENS1_25partition_config_selectorILNS1_17partition_subalgoE5EiNS0_10empty_typeEbEEZZNS1_14partition_implILS5_5ELb0ES3_mN6thrust23THRUST_200600_302600_NS6detail15normal_iteratorINSA_10device_ptrIiEEEEPS6_NSA_18transform_iteratorINSB_9not_fun_tINSA_8identityIiEEEESF_NSA_11use_defaultESM_EENS0_5tupleIJSF_S6_EEENSO_IJSG_SG_EEES6_PlJS6_EEE10hipError_tPvRmT3_T4_T5_T6_T7_T9_mT8_P12ihipStream_tbDpT10_ENKUlT_T0_E_clISt17integral_constantIbLb0EES1A_IbLb1EEEEDaS16_S17_EUlS16_E_NS1_11comp_targetILNS1_3genE2ELNS1_11target_archE906ELNS1_3gpuE6ELNS1_3repE0EEENS1_30default_config_static_selectorELNS0_4arch9wavefront6targetE0EEEvT1_,@function
_ZN7rocprim17ROCPRIM_400000_NS6detail17trampoline_kernelINS0_14default_configENS1_25partition_config_selectorILNS1_17partition_subalgoE5EiNS0_10empty_typeEbEEZZNS1_14partition_implILS5_5ELb0ES3_mN6thrust23THRUST_200600_302600_NS6detail15normal_iteratorINSA_10device_ptrIiEEEEPS6_NSA_18transform_iteratorINSB_9not_fun_tINSA_8identityIiEEEESF_NSA_11use_defaultESM_EENS0_5tupleIJSF_S6_EEENSO_IJSG_SG_EEES6_PlJS6_EEE10hipError_tPvRmT3_T4_T5_T6_T7_T9_mT8_P12ihipStream_tbDpT10_ENKUlT_T0_E_clISt17integral_constantIbLb0EES1A_IbLb1EEEEDaS16_S17_EUlS16_E_NS1_11comp_targetILNS1_3genE2ELNS1_11target_archE906ELNS1_3gpuE6ELNS1_3repE0EEENS1_30default_config_static_selectorELNS0_4arch9wavefront6targetE0EEEvT1_: ; @_ZN7rocprim17ROCPRIM_400000_NS6detail17trampoline_kernelINS0_14default_configENS1_25partition_config_selectorILNS1_17partition_subalgoE5EiNS0_10empty_typeEbEEZZNS1_14partition_implILS5_5ELb0ES3_mN6thrust23THRUST_200600_302600_NS6detail15normal_iteratorINSA_10device_ptrIiEEEEPS6_NSA_18transform_iteratorINSB_9not_fun_tINSA_8identityIiEEEESF_NSA_11use_defaultESM_EENS0_5tupleIJSF_S6_EEENSO_IJSG_SG_EEES6_PlJS6_EEE10hipError_tPvRmT3_T4_T5_T6_T7_T9_mT8_P12ihipStream_tbDpT10_ENKUlT_T0_E_clISt17integral_constantIbLb0EES1A_IbLb1EEEEDaS16_S17_EUlS16_E_NS1_11comp_targetILNS1_3genE2ELNS1_11target_archE906ELNS1_3gpuE6ELNS1_3repE0EEENS1_30default_config_static_selectorELNS0_4arch9wavefront6targetE0EEEvT1_
; %bb.0:
	.section	.rodata,"a",@progbits
	.p2align	6, 0x0
	.amdhsa_kernel _ZN7rocprim17ROCPRIM_400000_NS6detail17trampoline_kernelINS0_14default_configENS1_25partition_config_selectorILNS1_17partition_subalgoE5EiNS0_10empty_typeEbEEZZNS1_14partition_implILS5_5ELb0ES3_mN6thrust23THRUST_200600_302600_NS6detail15normal_iteratorINSA_10device_ptrIiEEEEPS6_NSA_18transform_iteratorINSB_9not_fun_tINSA_8identityIiEEEESF_NSA_11use_defaultESM_EENS0_5tupleIJSF_S6_EEENSO_IJSG_SG_EEES6_PlJS6_EEE10hipError_tPvRmT3_T4_T5_T6_T7_T9_mT8_P12ihipStream_tbDpT10_ENKUlT_T0_E_clISt17integral_constantIbLb0EES1A_IbLb1EEEEDaS16_S17_EUlS16_E_NS1_11comp_targetILNS1_3genE2ELNS1_11target_archE906ELNS1_3gpuE6ELNS1_3repE0EEENS1_30default_config_static_selectorELNS0_4arch9wavefront6targetE0EEEvT1_
		.amdhsa_group_segment_fixed_size 0
		.amdhsa_private_segment_fixed_size 0
		.amdhsa_kernarg_size 136
		.amdhsa_user_sgpr_count 2
		.amdhsa_user_sgpr_dispatch_ptr 0
		.amdhsa_user_sgpr_queue_ptr 0
		.amdhsa_user_sgpr_kernarg_segment_ptr 1
		.amdhsa_user_sgpr_dispatch_id 0
		.amdhsa_user_sgpr_private_segment_size 0
		.amdhsa_wavefront_size32 1
		.amdhsa_uses_dynamic_stack 0
		.amdhsa_enable_private_segment 0
		.amdhsa_system_sgpr_workgroup_id_x 1
		.amdhsa_system_sgpr_workgroup_id_y 0
		.amdhsa_system_sgpr_workgroup_id_z 0
		.amdhsa_system_sgpr_workgroup_info 0
		.amdhsa_system_vgpr_workitem_id 0
		.amdhsa_next_free_vgpr 1
		.amdhsa_next_free_sgpr 1
		.amdhsa_reserve_vcc 0
		.amdhsa_float_round_mode_32 0
		.amdhsa_float_round_mode_16_64 0
		.amdhsa_float_denorm_mode_32 3
		.amdhsa_float_denorm_mode_16_64 3
		.amdhsa_fp16_overflow 0
		.amdhsa_workgroup_processor_mode 1
		.amdhsa_memory_ordered 1
		.amdhsa_forward_progress 1
		.amdhsa_inst_pref_size 0
		.amdhsa_round_robin_scheduling 0
		.amdhsa_exception_fp_ieee_invalid_op 0
		.amdhsa_exception_fp_denorm_src 0
		.amdhsa_exception_fp_ieee_div_zero 0
		.amdhsa_exception_fp_ieee_overflow 0
		.amdhsa_exception_fp_ieee_underflow 0
		.amdhsa_exception_fp_ieee_inexact 0
		.amdhsa_exception_int_div_zero 0
	.end_amdhsa_kernel
	.section	.text._ZN7rocprim17ROCPRIM_400000_NS6detail17trampoline_kernelINS0_14default_configENS1_25partition_config_selectorILNS1_17partition_subalgoE5EiNS0_10empty_typeEbEEZZNS1_14partition_implILS5_5ELb0ES3_mN6thrust23THRUST_200600_302600_NS6detail15normal_iteratorINSA_10device_ptrIiEEEEPS6_NSA_18transform_iteratorINSB_9not_fun_tINSA_8identityIiEEEESF_NSA_11use_defaultESM_EENS0_5tupleIJSF_S6_EEENSO_IJSG_SG_EEES6_PlJS6_EEE10hipError_tPvRmT3_T4_T5_T6_T7_T9_mT8_P12ihipStream_tbDpT10_ENKUlT_T0_E_clISt17integral_constantIbLb0EES1A_IbLb1EEEEDaS16_S17_EUlS16_E_NS1_11comp_targetILNS1_3genE2ELNS1_11target_archE906ELNS1_3gpuE6ELNS1_3repE0EEENS1_30default_config_static_selectorELNS0_4arch9wavefront6targetE0EEEvT1_,"axG",@progbits,_ZN7rocprim17ROCPRIM_400000_NS6detail17trampoline_kernelINS0_14default_configENS1_25partition_config_selectorILNS1_17partition_subalgoE5EiNS0_10empty_typeEbEEZZNS1_14partition_implILS5_5ELb0ES3_mN6thrust23THRUST_200600_302600_NS6detail15normal_iteratorINSA_10device_ptrIiEEEEPS6_NSA_18transform_iteratorINSB_9not_fun_tINSA_8identityIiEEEESF_NSA_11use_defaultESM_EENS0_5tupleIJSF_S6_EEENSO_IJSG_SG_EEES6_PlJS6_EEE10hipError_tPvRmT3_T4_T5_T6_T7_T9_mT8_P12ihipStream_tbDpT10_ENKUlT_T0_E_clISt17integral_constantIbLb0EES1A_IbLb1EEEEDaS16_S17_EUlS16_E_NS1_11comp_targetILNS1_3genE2ELNS1_11target_archE906ELNS1_3gpuE6ELNS1_3repE0EEENS1_30default_config_static_selectorELNS0_4arch9wavefront6targetE0EEEvT1_,comdat
.Lfunc_end1009:
	.size	_ZN7rocprim17ROCPRIM_400000_NS6detail17trampoline_kernelINS0_14default_configENS1_25partition_config_selectorILNS1_17partition_subalgoE5EiNS0_10empty_typeEbEEZZNS1_14partition_implILS5_5ELb0ES3_mN6thrust23THRUST_200600_302600_NS6detail15normal_iteratorINSA_10device_ptrIiEEEEPS6_NSA_18transform_iteratorINSB_9not_fun_tINSA_8identityIiEEEESF_NSA_11use_defaultESM_EENS0_5tupleIJSF_S6_EEENSO_IJSG_SG_EEES6_PlJS6_EEE10hipError_tPvRmT3_T4_T5_T6_T7_T9_mT8_P12ihipStream_tbDpT10_ENKUlT_T0_E_clISt17integral_constantIbLb0EES1A_IbLb1EEEEDaS16_S17_EUlS16_E_NS1_11comp_targetILNS1_3genE2ELNS1_11target_archE906ELNS1_3gpuE6ELNS1_3repE0EEENS1_30default_config_static_selectorELNS0_4arch9wavefront6targetE0EEEvT1_, .Lfunc_end1009-_ZN7rocprim17ROCPRIM_400000_NS6detail17trampoline_kernelINS0_14default_configENS1_25partition_config_selectorILNS1_17partition_subalgoE5EiNS0_10empty_typeEbEEZZNS1_14partition_implILS5_5ELb0ES3_mN6thrust23THRUST_200600_302600_NS6detail15normal_iteratorINSA_10device_ptrIiEEEEPS6_NSA_18transform_iteratorINSB_9not_fun_tINSA_8identityIiEEEESF_NSA_11use_defaultESM_EENS0_5tupleIJSF_S6_EEENSO_IJSG_SG_EEES6_PlJS6_EEE10hipError_tPvRmT3_T4_T5_T6_T7_T9_mT8_P12ihipStream_tbDpT10_ENKUlT_T0_E_clISt17integral_constantIbLb0EES1A_IbLb1EEEEDaS16_S17_EUlS16_E_NS1_11comp_targetILNS1_3genE2ELNS1_11target_archE906ELNS1_3gpuE6ELNS1_3repE0EEENS1_30default_config_static_selectorELNS0_4arch9wavefront6targetE0EEEvT1_
                                        ; -- End function
	.set _ZN7rocprim17ROCPRIM_400000_NS6detail17trampoline_kernelINS0_14default_configENS1_25partition_config_selectorILNS1_17partition_subalgoE5EiNS0_10empty_typeEbEEZZNS1_14partition_implILS5_5ELb0ES3_mN6thrust23THRUST_200600_302600_NS6detail15normal_iteratorINSA_10device_ptrIiEEEEPS6_NSA_18transform_iteratorINSB_9not_fun_tINSA_8identityIiEEEESF_NSA_11use_defaultESM_EENS0_5tupleIJSF_S6_EEENSO_IJSG_SG_EEES6_PlJS6_EEE10hipError_tPvRmT3_T4_T5_T6_T7_T9_mT8_P12ihipStream_tbDpT10_ENKUlT_T0_E_clISt17integral_constantIbLb0EES1A_IbLb1EEEEDaS16_S17_EUlS16_E_NS1_11comp_targetILNS1_3genE2ELNS1_11target_archE906ELNS1_3gpuE6ELNS1_3repE0EEENS1_30default_config_static_selectorELNS0_4arch9wavefront6targetE0EEEvT1_.num_vgpr, 0
	.set _ZN7rocprim17ROCPRIM_400000_NS6detail17trampoline_kernelINS0_14default_configENS1_25partition_config_selectorILNS1_17partition_subalgoE5EiNS0_10empty_typeEbEEZZNS1_14partition_implILS5_5ELb0ES3_mN6thrust23THRUST_200600_302600_NS6detail15normal_iteratorINSA_10device_ptrIiEEEEPS6_NSA_18transform_iteratorINSB_9not_fun_tINSA_8identityIiEEEESF_NSA_11use_defaultESM_EENS0_5tupleIJSF_S6_EEENSO_IJSG_SG_EEES6_PlJS6_EEE10hipError_tPvRmT3_T4_T5_T6_T7_T9_mT8_P12ihipStream_tbDpT10_ENKUlT_T0_E_clISt17integral_constantIbLb0EES1A_IbLb1EEEEDaS16_S17_EUlS16_E_NS1_11comp_targetILNS1_3genE2ELNS1_11target_archE906ELNS1_3gpuE6ELNS1_3repE0EEENS1_30default_config_static_selectorELNS0_4arch9wavefront6targetE0EEEvT1_.num_agpr, 0
	.set _ZN7rocprim17ROCPRIM_400000_NS6detail17trampoline_kernelINS0_14default_configENS1_25partition_config_selectorILNS1_17partition_subalgoE5EiNS0_10empty_typeEbEEZZNS1_14partition_implILS5_5ELb0ES3_mN6thrust23THRUST_200600_302600_NS6detail15normal_iteratorINSA_10device_ptrIiEEEEPS6_NSA_18transform_iteratorINSB_9not_fun_tINSA_8identityIiEEEESF_NSA_11use_defaultESM_EENS0_5tupleIJSF_S6_EEENSO_IJSG_SG_EEES6_PlJS6_EEE10hipError_tPvRmT3_T4_T5_T6_T7_T9_mT8_P12ihipStream_tbDpT10_ENKUlT_T0_E_clISt17integral_constantIbLb0EES1A_IbLb1EEEEDaS16_S17_EUlS16_E_NS1_11comp_targetILNS1_3genE2ELNS1_11target_archE906ELNS1_3gpuE6ELNS1_3repE0EEENS1_30default_config_static_selectorELNS0_4arch9wavefront6targetE0EEEvT1_.numbered_sgpr, 0
	.set _ZN7rocprim17ROCPRIM_400000_NS6detail17trampoline_kernelINS0_14default_configENS1_25partition_config_selectorILNS1_17partition_subalgoE5EiNS0_10empty_typeEbEEZZNS1_14partition_implILS5_5ELb0ES3_mN6thrust23THRUST_200600_302600_NS6detail15normal_iteratorINSA_10device_ptrIiEEEEPS6_NSA_18transform_iteratorINSB_9not_fun_tINSA_8identityIiEEEESF_NSA_11use_defaultESM_EENS0_5tupleIJSF_S6_EEENSO_IJSG_SG_EEES6_PlJS6_EEE10hipError_tPvRmT3_T4_T5_T6_T7_T9_mT8_P12ihipStream_tbDpT10_ENKUlT_T0_E_clISt17integral_constantIbLb0EES1A_IbLb1EEEEDaS16_S17_EUlS16_E_NS1_11comp_targetILNS1_3genE2ELNS1_11target_archE906ELNS1_3gpuE6ELNS1_3repE0EEENS1_30default_config_static_selectorELNS0_4arch9wavefront6targetE0EEEvT1_.num_named_barrier, 0
	.set _ZN7rocprim17ROCPRIM_400000_NS6detail17trampoline_kernelINS0_14default_configENS1_25partition_config_selectorILNS1_17partition_subalgoE5EiNS0_10empty_typeEbEEZZNS1_14partition_implILS5_5ELb0ES3_mN6thrust23THRUST_200600_302600_NS6detail15normal_iteratorINSA_10device_ptrIiEEEEPS6_NSA_18transform_iteratorINSB_9not_fun_tINSA_8identityIiEEEESF_NSA_11use_defaultESM_EENS0_5tupleIJSF_S6_EEENSO_IJSG_SG_EEES6_PlJS6_EEE10hipError_tPvRmT3_T4_T5_T6_T7_T9_mT8_P12ihipStream_tbDpT10_ENKUlT_T0_E_clISt17integral_constantIbLb0EES1A_IbLb1EEEEDaS16_S17_EUlS16_E_NS1_11comp_targetILNS1_3genE2ELNS1_11target_archE906ELNS1_3gpuE6ELNS1_3repE0EEENS1_30default_config_static_selectorELNS0_4arch9wavefront6targetE0EEEvT1_.private_seg_size, 0
	.set _ZN7rocprim17ROCPRIM_400000_NS6detail17trampoline_kernelINS0_14default_configENS1_25partition_config_selectorILNS1_17partition_subalgoE5EiNS0_10empty_typeEbEEZZNS1_14partition_implILS5_5ELb0ES3_mN6thrust23THRUST_200600_302600_NS6detail15normal_iteratorINSA_10device_ptrIiEEEEPS6_NSA_18transform_iteratorINSB_9not_fun_tINSA_8identityIiEEEESF_NSA_11use_defaultESM_EENS0_5tupleIJSF_S6_EEENSO_IJSG_SG_EEES6_PlJS6_EEE10hipError_tPvRmT3_T4_T5_T6_T7_T9_mT8_P12ihipStream_tbDpT10_ENKUlT_T0_E_clISt17integral_constantIbLb0EES1A_IbLb1EEEEDaS16_S17_EUlS16_E_NS1_11comp_targetILNS1_3genE2ELNS1_11target_archE906ELNS1_3gpuE6ELNS1_3repE0EEENS1_30default_config_static_selectorELNS0_4arch9wavefront6targetE0EEEvT1_.uses_vcc, 0
	.set _ZN7rocprim17ROCPRIM_400000_NS6detail17trampoline_kernelINS0_14default_configENS1_25partition_config_selectorILNS1_17partition_subalgoE5EiNS0_10empty_typeEbEEZZNS1_14partition_implILS5_5ELb0ES3_mN6thrust23THRUST_200600_302600_NS6detail15normal_iteratorINSA_10device_ptrIiEEEEPS6_NSA_18transform_iteratorINSB_9not_fun_tINSA_8identityIiEEEESF_NSA_11use_defaultESM_EENS0_5tupleIJSF_S6_EEENSO_IJSG_SG_EEES6_PlJS6_EEE10hipError_tPvRmT3_T4_T5_T6_T7_T9_mT8_P12ihipStream_tbDpT10_ENKUlT_T0_E_clISt17integral_constantIbLb0EES1A_IbLb1EEEEDaS16_S17_EUlS16_E_NS1_11comp_targetILNS1_3genE2ELNS1_11target_archE906ELNS1_3gpuE6ELNS1_3repE0EEENS1_30default_config_static_selectorELNS0_4arch9wavefront6targetE0EEEvT1_.uses_flat_scratch, 0
	.set _ZN7rocprim17ROCPRIM_400000_NS6detail17trampoline_kernelINS0_14default_configENS1_25partition_config_selectorILNS1_17partition_subalgoE5EiNS0_10empty_typeEbEEZZNS1_14partition_implILS5_5ELb0ES3_mN6thrust23THRUST_200600_302600_NS6detail15normal_iteratorINSA_10device_ptrIiEEEEPS6_NSA_18transform_iteratorINSB_9not_fun_tINSA_8identityIiEEEESF_NSA_11use_defaultESM_EENS0_5tupleIJSF_S6_EEENSO_IJSG_SG_EEES6_PlJS6_EEE10hipError_tPvRmT3_T4_T5_T6_T7_T9_mT8_P12ihipStream_tbDpT10_ENKUlT_T0_E_clISt17integral_constantIbLb0EES1A_IbLb1EEEEDaS16_S17_EUlS16_E_NS1_11comp_targetILNS1_3genE2ELNS1_11target_archE906ELNS1_3gpuE6ELNS1_3repE0EEENS1_30default_config_static_selectorELNS0_4arch9wavefront6targetE0EEEvT1_.has_dyn_sized_stack, 0
	.set _ZN7rocprim17ROCPRIM_400000_NS6detail17trampoline_kernelINS0_14default_configENS1_25partition_config_selectorILNS1_17partition_subalgoE5EiNS0_10empty_typeEbEEZZNS1_14partition_implILS5_5ELb0ES3_mN6thrust23THRUST_200600_302600_NS6detail15normal_iteratorINSA_10device_ptrIiEEEEPS6_NSA_18transform_iteratorINSB_9not_fun_tINSA_8identityIiEEEESF_NSA_11use_defaultESM_EENS0_5tupleIJSF_S6_EEENSO_IJSG_SG_EEES6_PlJS6_EEE10hipError_tPvRmT3_T4_T5_T6_T7_T9_mT8_P12ihipStream_tbDpT10_ENKUlT_T0_E_clISt17integral_constantIbLb0EES1A_IbLb1EEEEDaS16_S17_EUlS16_E_NS1_11comp_targetILNS1_3genE2ELNS1_11target_archE906ELNS1_3gpuE6ELNS1_3repE0EEENS1_30default_config_static_selectorELNS0_4arch9wavefront6targetE0EEEvT1_.has_recursion, 0
	.set _ZN7rocprim17ROCPRIM_400000_NS6detail17trampoline_kernelINS0_14default_configENS1_25partition_config_selectorILNS1_17partition_subalgoE5EiNS0_10empty_typeEbEEZZNS1_14partition_implILS5_5ELb0ES3_mN6thrust23THRUST_200600_302600_NS6detail15normal_iteratorINSA_10device_ptrIiEEEEPS6_NSA_18transform_iteratorINSB_9not_fun_tINSA_8identityIiEEEESF_NSA_11use_defaultESM_EENS0_5tupleIJSF_S6_EEENSO_IJSG_SG_EEES6_PlJS6_EEE10hipError_tPvRmT3_T4_T5_T6_T7_T9_mT8_P12ihipStream_tbDpT10_ENKUlT_T0_E_clISt17integral_constantIbLb0EES1A_IbLb1EEEEDaS16_S17_EUlS16_E_NS1_11comp_targetILNS1_3genE2ELNS1_11target_archE906ELNS1_3gpuE6ELNS1_3repE0EEENS1_30default_config_static_selectorELNS0_4arch9wavefront6targetE0EEEvT1_.has_indirect_call, 0
	.section	.AMDGPU.csdata,"",@progbits
; Kernel info:
; codeLenInByte = 0
; TotalNumSgprs: 0
; NumVgprs: 0
; ScratchSize: 0
; MemoryBound: 0
; FloatMode: 240
; IeeeMode: 1
; LDSByteSize: 0 bytes/workgroup (compile time only)
; SGPRBlocks: 0
; VGPRBlocks: 0
; NumSGPRsForWavesPerEU: 1
; NumVGPRsForWavesPerEU: 1
; Occupancy: 16
; WaveLimiterHint : 0
; COMPUTE_PGM_RSRC2:SCRATCH_EN: 0
; COMPUTE_PGM_RSRC2:USER_SGPR: 2
; COMPUTE_PGM_RSRC2:TRAP_HANDLER: 0
; COMPUTE_PGM_RSRC2:TGID_X_EN: 1
; COMPUTE_PGM_RSRC2:TGID_Y_EN: 0
; COMPUTE_PGM_RSRC2:TGID_Z_EN: 0
; COMPUTE_PGM_RSRC2:TIDIG_COMP_CNT: 0
	.section	.text._ZN7rocprim17ROCPRIM_400000_NS6detail17trampoline_kernelINS0_14default_configENS1_25partition_config_selectorILNS1_17partition_subalgoE5EiNS0_10empty_typeEbEEZZNS1_14partition_implILS5_5ELb0ES3_mN6thrust23THRUST_200600_302600_NS6detail15normal_iteratorINSA_10device_ptrIiEEEEPS6_NSA_18transform_iteratorINSB_9not_fun_tINSA_8identityIiEEEESF_NSA_11use_defaultESM_EENS0_5tupleIJSF_S6_EEENSO_IJSG_SG_EEES6_PlJS6_EEE10hipError_tPvRmT3_T4_T5_T6_T7_T9_mT8_P12ihipStream_tbDpT10_ENKUlT_T0_E_clISt17integral_constantIbLb0EES1A_IbLb1EEEEDaS16_S17_EUlS16_E_NS1_11comp_targetILNS1_3genE10ELNS1_11target_archE1200ELNS1_3gpuE4ELNS1_3repE0EEENS1_30default_config_static_selectorELNS0_4arch9wavefront6targetE0EEEvT1_,"axG",@progbits,_ZN7rocprim17ROCPRIM_400000_NS6detail17trampoline_kernelINS0_14default_configENS1_25partition_config_selectorILNS1_17partition_subalgoE5EiNS0_10empty_typeEbEEZZNS1_14partition_implILS5_5ELb0ES3_mN6thrust23THRUST_200600_302600_NS6detail15normal_iteratorINSA_10device_ptrIiEEEEPS6_NSA_18transform_iteratorINSB_9not_fun_tINSA_8identityIiEEEESF_NSA_11use_defaultESM_EENS0_5tupleIJSF_S6_EEENSO_IJSG_SG_EEES6_PlJS6_EEE10hipError_tPvRmT3_T4_T5_T6_T7_T9_mT8_P12ihipStream_tbDpT10_ENKUlT_T0_E_clISt17integral_constantIbLb0EES1A_IbLb1EEEEDaS16_S17_EUlS16_E_NS1_11comp_targetILNS1_3genE10ELNS1_11target_archE1200ELNS1_3gpuE4ELNS1_3repE0EEENS1_30default_config_static_selectorELNS0_4arch9wavefront6targetE0EEEvT1_,comdat
	.protected	_ZN7rocprim17ROCPRIM_400000_NS6detail17trampoline_kernelINS0_14default_configENS1_25partition_config_selectorILNS1_17partition_subalgoE5EiNS0_10empty_typeEbEEZZNS1_14partition_implILS5_5ELb0ES3_mN6thrust23THRUST_200600_302600_NS6detail15normal_iteratorINSA_10device_ptrIiEEEEPS6_NSA_18transform_iteratorINSB_9not_fun_tINSA_8identityIiEEEESF_NSA_11use_defaultESM_EENS0_5tupleIJSF_S6_EEENSO_IJSG_SG_EEES6_PlJS6_EEE10hipError_tPvRmT3_T4_T5_T6_T7_T9_mT8_P12ihipStream_tbDpT10_ENKUlT_T0_E_clISt17integral_constantIbLb0EES1A_IbLb1EEEEDaS16_S17_EUlS16_E_NS1_11comp_targetILNS1_3genE10ELNS1_11target_archE1200ELNS1_3gpuE4ELNS1_3repE0EEENS1_30default_config_static_selectorELNS0_4arch9wavefront6targetE0EEEvT1_ ; -- Begin function _ZN7rocprim17ROCPRIM_400000_NS6detail17trampoline_kernelINS0_14default_configENS1_25partition_config_selectorILNS1_17partition_subalgoE5EiNS0_10empty_typeEbEEZZNS1_14partition_implILS5_5ELb0ES3_mN6thrust23THRUST_200600_302600_NS6detail15normal_iteratorINSA_10device_ptrIiEEEEPS6_NSA_18transform_iteratorINSB_9not_fun_tINSA_8identityIiEEEESF_NSA_11use_defaultESM_EENS0_5tupleIJSF_S6_EEENSO_IJSG_SG_EEES6_PlJS6_EEE10hipError_tPvRmT3_T4_T5_T6_T7_T9_mT8_P12ihipStream_tbDpT10_ENKUlT_T0_E_clISt17integral_constantIbLb0EES1A_IbLb1EEEEDaS16_S17_EUlS16_E_NS1_11comp_targetILNS1_3genE10ELNS1_11target_archE1200ELNS1_3gpuE4ELNS1_3repE0EEENS1_30default_config_static_selectorELNS0_4arch9wavefront6targetE0EEEvT1_
	.globl	_ZN7rocprim17ROCPRIM_400000_NS6detail17trampoline_kernelINS0_14default_configENS1_25partition_config_selectorILNS1_17partition_subalgoE5EiNS0_10empty_typeEbEEZZNS1_14partition_implILS5_5ELb0ES3_mN6thrust23THRUST_200600_302600_NS6detail15normal_iteratorINSA_10device_ptrIiEEEEPS6_NSA_18transform_iteratorINSB_9not_fun_tINSA_8identityIiEEEESF_NSA_11use_defaultESM_EENS0_5tupleIJSF_S6_EEENSO_IJSG_SG_EEES6_PlJS6_EEE10hipError_tPvRmT3_T4_T5_T6_T7_T9_mT8_P12ihipStream_tbDpT10_ENKUlT_T0_E_clISt17integral_constantIbLb0EES1A_IbLb1EEEEDaS16_S17_EUlS16_E_NS1_11comp_targetILNS1_3genE10ELNS1_11target_archE1200ELNS1_3gpuE4ELNS1_3repE0EEENS1_30default_config_static_selectorELNS0_4arch9wavefront6targetE0EEEvT1_
	.p2align	8
	.type	_ZN7rocprim17ROCPRIM_400000_NS6detail17trampoline_kernelINS0_14default_configENS1_25partition_config_selectorILNS1_17partition_subalgoE5EiNS0_10empty_typeEbEEZZNS1_14partition_implILS5_5ELb0ES3_mN6thrust23THRUST_200600_302600_NS6detail15normal_iteratorINSA_10device_ptrIiEEEEPS6_NSA_18transform_iteratorINSB_9not_fun_tINSA_8identityIiEEEESF_NSA_11use_defaultESM_EENS0_5tupleIJSF_S6_EEENSO_IJSG_SG_EEES6_PlJS6_EEE10hipError_tPvRmT3_T4_T5_T6_T7_T9_mT8_P12ihipStream_tbDpT10_ENKUlT_T0_E_clISt17integral_constantIbLb0EES1A_IbLb1EEEEDaS16_S17_EUlS16_E_NS1_11comp_targetILNS1_3genE10ELNS1_11target_archE1200ELNS1_3gpuE4ELNS1_3repE0EEENS1_30default_config_static_selectorELNS0_4arch9wavefront6targetE0EEEvT1_,@function
_ZN7rocprim17ROCPRIM_400000_NS6detail17trampoline_kernelINS0_14default_configENS1_25partition_config_selectorILNS1_17partition_subalgoE5EiNS0_10empty_typeEbEEZZNS1_14partition_implILS5_5ELb0ES3_mN6thrust23THRUST_200600_302600_NS6detail15normal_iteratorINSA_10device_ptrIiEEEEPS6_NSA_18transform_iteratorINSB_9not_fun_tINSA_8identityIiEEEESF_NSA_11use_defaultESM_EENS0_5tupleIJSF_S6_EEENSO_IJSG_SG_EEES6_PlJS6_EEE10hipError_tPvRmT3_T4_T5_T6_T7_T9_mT8_P12ihipStream_tbDpT10_ENKUlT_T0_E_clISt17integral_constantIbLb0EES1A_IbLb1EEEEDaS16_S17_EUlS16_E_NS1_11comp_targetILNS1_3genE10ELNS1_11target_archE1200ELNS1_3gpuE4ELNS1_3repE0EEENS1_30default_config_static_selectorELNS0_4arch9wavefront6targetE0EEEvT1_: ; @_ZN7rocprim17ROCPRIM_400000_NS6detail17trampoline_kernelINS0_14default_configENS1_25partition_config_selectorILNS1_17partition_subalgoE5EiNS0_10empty_typeEbEEZZNS1_14partition_implILS5_5ELb0ES3_mN6thrust23THRUST_200600_302600_NS6detail15normal_iteratorINSA_10device_ptrIiEEEEPS6_NSA_18transform_iteratorINSB_9not_fun_tINSA_8identityIiEEEESF_NSA_11use_defaultESM_EENS0_5tupleIJSF_S6_EEENSO_IJSG_SG_EEES6_PlJS6_EEE10hipError_tPvRmT3_T4_T5_T6_T7_T9_mT8_P12ihipStream_tbDpT10_ENKUlT_T0_E_clISt17integral_constantIbLb0EES1A_IbLb1EEEEDaS16_S17_EUlS16_E_NS1_11comp_targetILNS1_3genE10ELNS1_11target_archE1200ELNS1_3gpuE4ELNS1_3repE0EEENS1_30default_config_static_selectorELNS0_4arch9wavefront6targetE0EEEvT1_
; %bb.0:
	s_clause 0x3
	s_load_b64 s[12:13], s[0:1], 0x30
	s_load_b128 s[4:7], s[0:1], 0x48
	s_load_b64 s[18:19], s[0:1], 0x58
	s_load_b64 s[14:15], s[0:1], 0x68
	v_cmp_eq_u32_e64 s2, 0, v0
	s_and_saveexec_b32 s3, s2
	s_cbranch_execz .LBB1010_4
; %bb.1:
	s_mov_b32 s9, exec_lo
	s_mov_b32 s8, exec_lo
	v_mbcnt_lo_u32_b32 v1, s9, 0
                                        ; implicit-def: $vgpr2
	s_delay_alu instid0(VALU_DEP_1)
	v_cmpx_eq_u32_e32 0, v1
	s_cbranch_execz .LBB1010_3
; %bb.2:
	s_load_b64 s[10:11], s[0:1], 0x78
	s_bcnt1_i32_b32 s9, s9
	s_wait_alu 0xfffe
	v_dual_mov_b32 v2, 0 :: v_dual_mov_b32 v3, s9
	s_wait_kmcnt 0x0
	global_atomic_add_u32 v2, v2, v3, s[10:11] th:TH_ATOMIC_RETURN scope:SCOPE_DEV
.LBB1010_3:
	s_or_b32 exec_lo, exec_lo, s8
	s_wait_loadcnt 0x0
	v_readfirstlane_b32 s8, v2
	s_wait_alu 0xf1ff
	s_delay_alu instid0(VALU_DEP_1)
	v_dual_mov_b32 v2, 0 :: v_dual_add_nc_u32 v1, s8, v1
	ds_store_b32 v2, v1
.LBB1010_4:
	s_or_b32 exec_lo, exec_lo, s3
	v_dual_mov_b32 v1, 0 :: v_dual_add_nc_u32 v24, 0x180, v0
	s_clause 0x2
	s_load_b128 s[8:11], s[0:1], 0x8
	s_load_b64 s[16:17], s[0:1], 0x20
	s_load_b32 s0, s[0:1], 0x70
	s_wait_dscnt 0x0
	s_barrier_signal -1
	s_barrier_wait -1
	global_inv scope:SCOPE_SE
	ds_load_b32 v2, v1
	s_wait_loadcnt_dscnt 0x0
	s_barrier_signal -1
	s_barrier_wait -1
	global_inv scope:SCOPE_SE
	s_wait_kmcnt 0x0
	global_load_b64 v[9:10], v1, s[6:7]
	v_lshlrev_b32_e32 v25, 2, v0
	v_lshrrev_b32_e32 v11, 3, v0
	v_add_nc_u32_e32 v23, 0x240, v0
	v_or_b32_e32 v22, 0x300, v0
	v_add_nc_u32_e32 v21, 0x3c0, v0
	v_add_nc_u32_e32 v20, 0x480, v0
	;; [unrolled: 1-line block ×3, first 2 shown]
	s_lshl_b64 s[6:7], s[10:11], 2
	s_delay_alu instid0(SALU_CYCLE_1)
	s_add_nc_u64 s[22:23], s[8:9], s[6:7]
	s_mul_i32 s8, s0, 0x600
	s_mov_b32 s9, 0
	s_wait_alu 0xfffe
	s_add_co_i32 s3, s8, s10
	s_add_co_i32 s21, s0, -1
	v_readfirstlane_b32 s20, v2
	s_add_nc_u64 s[0:1], s[10:11], s[8:9]
	s_sub_co_i32 s3, s18, s3
	v_cmp_le_u64_e64 s0, s[18:19], s[0:1]
	s_addk_co_i32 s3, 0x600
	s_cmp_eq_u32 s20, s21
	s_mul_i32 s8, s20, 0x600
	s_cselect_b32 s18, -1, 0
	s_wait_alu 0xfffe
	s_lshl_b64 s[8:9], s[8:9], 2
	s_and_b32 s0, s0, s18
	s_mov_b32 s1, -1
	s_wait_alu 0xfffe
	s_xor_b32 s19, s0, -1
	s_add_nc_u64 s[10:11], s[22:23], s[8:9]
	s_wait_alu 0xfffe
	s_and_b32 vcc_lo, exec_lo, s19
	s_cbranch_vccz .LBB1010_6
; %bb.5:
	v_add_co_u32 v1, s0, s10, v25
	s_wait_alu 0xf1ff
	v_add_co_ci_u32_e64 v2, null, s11, 0, s0
	v_add_nc_u32_e32 v13, 0xc0, v0
	v_lshrrev_b32_e32 v14, 3, v24
	v_lshrrev_b32_e32 v15, 3, v23
	s_clause 0x7
	flat_load_b32 v3, v[1:2]
	flat_load_b32 v4, v[1:2] offset:768
	flat_load_b32 v5, v[1:2] offset:1536
	;; [unrolled: 1-line block ×7, first 2 shown]
	v_lshrrev_b32_e32 v16, 3, v22
	v_lshrrev_b32_e32 v13, 3, v13
	v_and_b32_e32 v2, 28, v11
	v_lshrrev_b32_e32 v17, 3, v21
	v_lshrrev_b32_e32 v18, 3, v20
	;; [unrolled: 1-line block ×3, first 2 shown]
	v_and_b32_e32 v13, 60, v13
	v_and_b32_e32 v14, 0x7c, v14
	;; [unrolled: 1-line block ×4, first 2 shown]
	v_add_nc_u32_e32 v2, v2, v25
	v_and_b32_e32 v17, 0xfc, v17
	v_and_b32_e32 v18, 0xbc, v18
	;; [unrolled: 1-line block ×3, first 2 shown]
	v_add_nc_u32_e32 v13, v13, v25
	v_add_nc_u32_e32 v14, v14, v25
	;; [unrolled: 1-line block ×4, first 2 shown]
	s_mov_b32 s1, 0
	v_add_nc_u32_e32 v17, v17, v25
	v_add_nc_u32_e32 v18, v18, v25
	;; [unrolled: 1-line block ×3, first 2 shown]
	s_wait_loadcnt_dscnt 0x707
	ds_store_b32 v2, v3
	s_wait_loadcnt_dscnt 0x607
	ds_store_b32 v13, v4 offset:768
	s_wait_loadcnt_dscnt 0x507
	ds_store_b32 v14, v5 offset:1536
	;; [unrolled: 2-line block ×7, first 2 shown]
	s_wait_dscnt 0x0
	s_barrier_signal -1
	s_barrier_wait -1
.LBB1010_6:
	v_cmp_gt_u32_e64 s0, s3, v0
	s_wait_alu 0xfffe
	s_and_not1_b32 vcc_lo, exec_lo, s1
	s_cbranch_vccnz .LBB1010_18
; %bb.7:
	v_mov_b32_e32 v1, 0
	s_delay_alu instid0(VALU_DEP_1)
	v_dual_mov_b32 v2, v1 :: v_dual_mov_b32 v3, v1
	v_dual_mov_b32 v4, v1 :: v_dual_mov_b32 v5, v1
	;; [unrolled: 1-line block ×3, first 2 shown]
	v_mov_b32_e32 v8, v1
	s_and_saveexec_b32 s1, s0
	s_cbranch_execz .LBB1010_9
; %bb.8:
	v_add_co_u32 v2, s0, s10, v25
	s_wait_alu 0xf1ff
	v_add_co_ci_u32_e64 v3, null, s11, 0, s0
	v_dual_mov_b32 v27, v1 :: v_dual_mov_b32 v28, v1
	v_dual_mov_b32 v29, v1 :: v_dual_mov_b32 v30, v1
	flat_load_b32 v26, v[2:3]
	v_dual_mov_b32 v31, v1 :: v_dual_mov_b32 v32, v1
	v_mov_b32_e32 v33, v1
	s_wait_loadcnt_dscnt 0x0
	v_dual_mov_b32 v1, v26 :: v_dual_mov_b32 v2, v27
	v_dual_mov_b32 v3, v28 :: v_dual_mov_b32 v4, v29
	;; [unrolled: 1-line block ×4, first 2 shown]
.LBB1010_9:
	s_wait_alu 0xfffe
	s_or_b32 exec_lo, exec_lo, s1
	v_add_nc_u32_e32 v12, 0xc0, v0
	s_mov_b32 s0, exec_lo
	s_delay_alu instid0(VALU_DEP_1)
	v_cmpx_gt_u32_e64 s3, v12
	s_cbranch_execnz .LBB1010_162
; %bb.10:
	s_wait_alu 0xfffe
	s_or_b32 exec_lo, exec_lo, s0
	s_delay_alu instid0(SALU_CYCLE_1)
	s_mov_b32 s0, exec_lo
	v_cmpx_gt_u32_e64 s3, v24
	s_cbranch_execnz .LBB1010_163
.LBB1010_11:
	s_wait_alu 0xfffe
	s_or_b32 exec_lo, exec_lo, s0
	s_delay_alu instid0(SALU_CYCLE_1)
	s_mov_b32 s0, exec_lo
	v_cmpx_gt_u32_e64 s3, v23
	s_cbranch_execnz .LBB1010_164
.LBB1010_12:
	s_wait_alu 0xfffe
	s_or_b32 exec_lo, exec_lo, s0
	s_delay_alu instid0(SALU_CYCLE_1)
	s_mov_b32 s0, exec_lo
	v_cmpx_gt_u32_e64 s3, v22
	s_cbranch_execnz .LBB1010_165
.LBB1010_13:
	s_wait_alu 0xfffe
	s_or_b32 exec_lo, exec_lo, s0
	s_delay_alu instid0(SALU_CYCLE_1)
	s_mov_b32 s0, exec_lo
	v_cmpx_gt_u32_e64 s3, v21
	s_cbranch_execnz .LBB1010_166
.LBB1010_14:
	s_wait_alu 0xfffe
	s_or_b32 exec_lo, exec_lo, s0
	s_delay_alu instid0(SALU_CYCLE_1)
	s_mov_b32 s0, exec_lo
	v_cmpx_gt_u32_e64 s3, v20
	s_cbranch_execnz .LBB1010_167
.LBB1010_15:
	s_wait_alu 0xfffe
	s_or_b32 exec_lo, exec_lo, s0
	s_delay_alu instid0(SALU_CYCLE_1)
	s_mov_b32 s0, exec_lo
	v_cmpx_gt_u32_e64 s3, v19
	s_cbranch_execz .LBB1010_17
.LBB1010_16:
	v_add_co_u32 v13, s1, s10, v25
	s_wait_alu 0xf1ff
	v_add_co_ci_u32_e64 v14, null, s11, 0, s1
	flat_load_b32 v8, v[13:14] offset:5376
.LBB1010_17:
	s_wait_alu 0xfffe
	s_or_b32 exec_lo, exec_lo, s0
	v_lshrrev_b32_e32 v12, 3, v12
	v_lshrrev_b32_e32 v13, 3, v24
	;; [unrolled: 1-line block ×4, first 2 shown]
	v_and_b32_e32 v11, 28, v11
	v_lshrrev_b32_e32 v16, 3, v21
	v_lshrrev_b32_e32 v17, 3, v20
	;; [unrolled: 1-line block ×3, first 2 shown]
	v_and_b32_e32 v12, 60, v12
	v_and_b32_e32 v13, 0x7c, v13
	v_and_b32_e32 v14, 0x7c, v14
	v_and_b32_e32 v15, 0x7c, v15
	v_add_nc_u32_e32 v11, v11, v25
	v_and_b32_e32 v16, 0xfc, v16
	v_and_b32_e32 v17, 0xfc, v17
	;; [unrolled: 1-line block ×3, first 2 shown]
	v_add_nc_u32_e32 v12, v12, v25
	v_add_nc_u32_e32 v13, v13, v25
	;; [unrolled: 1-line block ×7, first 2 shown]
	ds_store_b32 v11, v1
	s_wait_loadcnt_dscnt 0x1
	ds_store_b32 v12, v2 offset:768
	ds_store_b32 v13, v3 offset:1536
	;; [unrolled: 1-line block ×7, first 2 shown]
	s_wait_dscnt 0x0
	s_barrier_signal -1
	s_barrier_wait -1
.LBB1010_18:
	v_and_b32_e32 v1, 0xfc, v0
	s_wait_loadcnt 0x0
	global_inv scope:SCOPE_SE
	v_lshrrev_b32_e32 v37, 5, v0
	s_add_nc_u64 s[0:1], s[16:17], s[6:7]
	s_and_b32 vcc_lo, exec_lo, s19
	v_lshl_add_u32 v1, v0, 5, v1
	s_wait_alu 0xfffe
	s_add_nc_u64 s[0:1], s[0:1], s[8:9]
	s_mov_b32 s6, -1
	ds_load_2addr_b32 v[17:18], v1 offset1:1
	ds_load_2addr_b32 v[15:16], v1 offset0:2 offset1:3
	ds_load_2addr_b32 v[13:14], v1 offset0:4 offset1:5
	ds_load_2addr_b32 v[11:12], v1 offset0:6 offset1:7
	s_wait_loadcnt_dscnt 0x0
	s_barrier_signal -1
	s_barrier_wait -1
	global_inv scope:SCOPE_SE
	s_cbranch_vccz .LBB1010_20
; %bb.19:
	s_clause 0x7
	global_load_b32 v1, v25, s[0:1]
	global_load_b32 v2, v25, s[0:1] offset:768
	global_load_b32 v3, v25, s[0:1] offset:1536
	;; [unrolled: 1-line block ×7, first 2 shown]
	v_add_nc_u32_e32 v27, 0xc0, v0
	v_lshrrev_b32_e32 v28, 5, v24
	v_lshrrev_b32_e32 v29, 5, v23
	;; [unrolled: 1-line block ×3, first 2 shown]
	v_and_b32_e32 v26, 4, v37
	v_lshrrev_b32_e32 v27, 5, v27
	v_lshrrev_b32_e32 v31, 5, v21
	;; [unrolled: 1-line block ×4, first 2 shown]
	v_and_b32_e32 v28, 28, v28
	v_and_b32_e32 v27, 12, v27
	;; [unrolled: 1-line block ×4, first 2 shown]
	v_add_nc_u32_e32 v26, v26, v0
	v_and_b32_e32 v31, 60, v31
	v_and_b32_e32 v32, 44, v32
	;; [unrolled: 1-line block ×3, first 2 shown]
	v_add_nc_u32_e32 v27, v27, v0
	v_add_nc_u32_e32 v28, v28, v0
	;; [unrolled: 1-line block ×4, first 2 shown]
	s_mov_b32 s6, 0
	v_add_nc_u32_e32 v31, v31, v0
	v_add_nc_u32_e32 v32, v32, v0
	;; [unrolled: 1-line block ×3, first 2 shown]
	s_wait_loadcnt 0x7
	v_cmp_eq_u32_e32 vcc_lo, 0, v1
	v_cndmask_b32_e64 v1, 0, 1, vcc_lo
	s_wait_loadcnt 0x6
	v_cmp_eq_u32_e32 vcc_lo, 0, v2
	s_wait_alu 0xfffd
	v_cndmask_b32_e64 v2, 0, 1, vcc_lo
	s_wait_loadcnt 0x5
	v_cmp_eq_u32_e32 vcc_lo, 0, v3
	s_wait_alu 0xfffd
	v_cndmask_b32_e64 v3, 0, 1, vcc_lo
	s_wait_loadcnt 0x4
	v_cmp_eq_u32_e32 vcc_lo, 0, v4
	s_wait_alu 0xfffd
	v_cndmask_b32_e64 v4, 0, 1, vcc_lo
	s_wait_loadcnt 0x3
	v_cmp_eq_u32_e32 vcc_lo, 0, v5
	s_wait_alu 0xfffd
	v_cndmask_b32_e64 v5, 0, 1, vcc_lo
	s_wait_loadcnt 0x2
	v_cmp_eq_u32_e32 vcc_lo, 0, v6
	s_wait_alu 0xfffd
	v_cndmask_b32_e64 v6, 0, 1, vcc_lo
	s_wait_loadcnt 0x1
	v_cmp_eq_u32_e32 vcc_lo, 0, v7
	s_wait_alu 0xfffd
	v_cndmask_b32_e64 v7, 0, 1, vcc_lo
	s_wait_loadcnt 0x0
	v_cmp_eq_u32_e32 vcc_lo, 0, v8
	s_wait_alu 0xfffd
	v_cndmask_b32_e64 v8, 0, 1, vcc_lo
	ds_store_b8 v26, v1
	ds_store_b8 v27, v2 offset:192
	ds_store_b8 v28, v3 offset:384
	ds_store_b8 v29, v4 offset:576
	ds_store_b8 v30, v5 offset:768
	ds_store_b8 v31, v6 offset:960
	ds_store_b8 v32, v7 offset:1152
	ds_store_b8 v33, v8 offset:1344
	s_wait_dscnt 0x0
	s_barrier_signal -1
	s_barrier_wait -1
.LBB1010_20:
	v_lshlrev_b32_e32 v40, 3, v0
	v_lshrrev_b32_e32 v1, 2, v0
	s_and_not1_b32 vcc_lo, exec_lo, s6
	s_wait_alu 0xfffe
	s_cbranch_vccnz .LBB1010_32
; %bb.21:
	v_mov_b32_e32 v2, 0
	s_mov_b32 s7, 0
	s_mov_b32 s6, exec_lo
	s_delay_alu instid0(VALU_DEP_1)
	v_dual_mov_b32 v3, v2 :: v_dual_mov_b32 v4, v2
	v_cmpx_gt_u32_e64 s3, v0
	s_cbranch_execz .LBB1010_23
; %bb.22:
	global_load_b32 v2, v25, s[0:1]
	s_wait_loadcnt 0x0
	v_cmp_eq_u32_e32 vcc_lo, 0, v2
	s_wait_alu 0xfffd
	v_cndmask_b32_e64 v2, 0, 1, vcc_lo
	s_delay_alu instid0(VALU_DEP_1)
	v_dual_mov_b32 v3, s7 :: v_dual_mov_b32 v4, v2
.LBB1010_23:
	s_or_b32 exec_lo, exec_lo, s6
	v_add_nc_u32_e32 v5, 0xc0, v0
	s_mov_b32 s6, exec_lo
	s_delay_alu instid0(VALU_DEP_1)
	v_cmpx_gt_u32_e64 s3, v5
	s_cbranch_execnz .LBB1010_168
; %bb.24:
	s_wait_alu 0xfffe
	s_or_b32 exec_lo, exec_lo, s6
	s_delay_alu instid0(SALU_CYCLE_1)
	s_mov_b32 s6, exec_lo
	v_cmpx_gt_u32_e64 s3, v24
	s_cbranch_execnz .LBB1010_169
.LBB1010_25:
	s_wait_alu 0xfffe
	s_or_b32 exec_lo, exec_lo, s6
	s_delay_alu instid0(SALU_CYCLE_1)
	s_mov_b32 s6, exec_lo
	v_cmpx_gt_u32_e64 s3, v23
	s_cbranch_execnz .LBB1010_170
.LBB1010_26:
	s_wait_alu 0xfffe
	s_or_b32 exec_lo, exec_lo, s6
	s_delay_alu instid0(SALU_CYCLE_1)
	s_mov_b32 s6, exec_lo
	v_cmpx_gt_u32_e64 s3, v22
	s_cbranch_execnz .LBB1010_171
.LBB1010_27:
	s_wait_alu 0xfffe
	s_or_b32 exec_lo, exec_lo, s6
	s_delay_alu instid0(SALU_CYCLE_1)
	s_mov_b32 s6, exec_lo
	v_cmpx_gt_u32_e64 s3, v21
	s_cbranch_execnz .LBB1010_172
.LBB1010_28:
	s_wait_alu 0xfffe
	s_or_b32 exec_lo, exec_lo, s6
	s_delay_alu instid0(SALU_CYCLE_1)
	s_mov_b32 s6, exec_lo
	v_cmpx_gt_u32_e64 s3, v20
	s_cbranch_execnz .LBB1010_173
.LBB1010_29:
	s_wait_alu 0xfffe
	s_or_b32 exec_lo, exec_lo, s6
	v_cmp_gt_u32_e32 vcc_lo, s3, v19
	s_and_saveexec_b32 s3, vcc_lo
	s_cbranch_execz .LBB1010_31
.LBB1010_30:
	global_load_b32 v6, v25, s[0:1] offset:5376
	v_lshrrev_b32_e32 v7, 16, v3
	s_delay_alu instid0(VALU_DEP_1) | instskip(SKIP_4) | instid1(VALU_DEP_1)
	v_and_b32_e32 v7, 0xff, v7
	s_wait_loadcnt 0x0
	v_cmp_eq_u32_e32 vcc_lo, 0, v6
	s_wait_alu 0xfffd
	v_cndmask_b32_e64 v6, 0, 1, vcc_lo
	v_lshlrev_b16 v6, 8, v6
	s_delay_alu instid0(VALU_DEP_1) | instskip(NEXT) | instid1(VALU_DEP_1)
	v_or_b32_e32 v6, v7, v6
	v_lshlrev_b32_e32 v6, 16, v6
	s_delay_alu instid0(VALU_DEP_1)
	v_and_or_b32 v3, 0xffff, v3, v6
.LBB1010_31:
	s_wait_alu 0xfffe
	s_or_b32 exec_lo, exec_lo, s3
	v_lshrrev_b32_e32 v5, 5, v5
	v_lshrrev_b32_e32 v6, 5, v24
	;; [unrolled: 1-line block ×4, first 2 shown]
	v_and_b32_e32 v7, 4, v37
	v_lshrrev_b32_e32 v21, 5, v21
	v_lshrrev_b32_e32 v20, 5, v20
	v_lshrrev_b32_e32 v19, 5, v19
	v_and_b32_e32 v5, 12, v5
	v_and_b32_e32 v6, 28, v6
	;; [unrolled: 1-line block ×4, first 2 shown]
	v_add_nc_u32_e32 v7, v7, v0
	v_and_b32_e32 v21, 60, v21
	v_and_b32_e32 v20, 60, v20
	v_and_b32_e32 v19, 60, v19
	v_lshrrev_b32_e32 v8, 8, v2
	v_add_nc_u32_e32 v5, v5, v0
	v_add_nc_u32_e32 v6, v6, v0
	v_lshrrev_b32_e32 v24, 24, v2
	v_add_nc_u32_e32 v23, v23, v0
	v_add_nc_u32_e32 v22, v22, v0
	;; [unrolled: 3-line block ×3, first 2 shown]
	v_lshrrev_b32_e32 v26, 24, v3
	v_add_nc_u32_e32 v19, v19, v0
	ds_store_b8 v7, v4
	ds_store_b8 v5, v8 offset:192
	ds_store_b8_d16_hi v6, v2 offset:384
	ds_store_b8 v23, v24 offset:576
	ds_store_b8 v22, v3 offset:768
	;; [unrolled: 1-line block ×3, first 2 shown]
	ds_store_b8_d16_hi v20, v3 offset:1152
	ds_store_b8 v19, v26 offset:1344
	s_wait_loadcnt_dscnt 0x0
	s_barrier_signal -1
	s_barrier_wait -1
.LBB1010_32:
	s_delay_alu instid0(VALU_DEP_1)
	v_dual_mov_b32 v2, 0 :: v_dual_and_b32 v1, 60, v1
	s_wait_loadcnt 0x0
	global_inv scope:SCOPE_SE
	v_mbcnt_lo_u32_b32 v47, -1, 0
	s_cmp_lg_u32 s20, 0
	v_add_nc_u32_e32 v1, v1, v40
	s_mov_b32 s1, -1
	s_delay_alu instid0(VALU_DEP_2)
	v_and_b32_e32 v48, 15, v47
	ds_load_2addr_b32 v[19:20], v1 offset1:1
	s_wait_loadcnt_dscnt 0x0
	s_barrier_signal -1
	s_barrier_wait -1
	global_inv scope:SCOPE_SE
	v_and_b32_e32 v43, 0xff, v19
	v_bfe_u32 v42, v19, 8, 8
	v_bfe_u32 v41, v19, 16, 8
	v_lshrrev_b32_e32 v39, 24, v19
	v_and_b32_e32 v46, 0xff, v20
	v_bfe_u32 v45, v20, 8, 8
	v_bfe_u32 v44, v20, 16, 8
	v_add3_u32 v1, v42, v43, v41
	v_lshrrev_b32_e32 v38, 24, v20
	s_delay_alu instid0(VALU_DEP_2) | instskip(SKIP_3) | instid1(VALU_DEP_3)
	v_add_co_u32 v1, s0, v1, v39
	s_wait_alu 0xf1ff
	v_add_co_ci_u32_e64 v3, null, 0, 0, s0
	v_cmp_ne_u32_e64 s0, 0, v48
	v_add_co_u32 v1, vcc_lo, v1, v46
	s_wait_alu 0xfffd
	s_delay_alu instid0(VALU_DEP_3) | instskip(NEXT) | instid1(VALU_DEP_2)
	v_add_co_ci_u32_e64 v3, null, 0, v3, vcc_lo
	v_add_co_u32 v1, vcc_lo, v1, v45
	s_wait_alu 0xfffd
	s_delay_alu instid0(VALU_DEP_2) | instskip(NEXT) | instid1(VALU_DEP_2)
	v_add_co_ci_u32_e64 v3, null, 0, v3, vcc_lo
	v_add_co_u32 v1, vcc_lo, v1, v44
	s_wait_alu 0xfffd
	s_delay_alu instid0(VALU_DEP_2) | instskip(NEXT) | instid1(VALU_DEP_2)
	v_add_co_ci_u32_e64 v3, null, 0, v3, vcc_lo
	v_add_co_u32 v21, vcc_lo, v1, v38
	s_wait_alu 0xfffd
	s_delay_alu instid0(VALU_DEP_2)
	v_add_co_ci_u32_e64 v22, null, 0, v3, vcc_lo
	s_cbranch_scc0 .LBB1010_89
; %bb.33:
	v_mov_b32_e32 v3, v21
	v_mov_b32_dpp v1, v21 row_shr:1 row_mask:0xf bank_mask:0xf
	v_mov_b32_dpp v6, v2 row_shr:1 row_mask:0xf bank_mask:0xf
	v_dual_mov_b32 v5, v21 :: v_dual_mov_b32 v4, v22
	s_and_saveexec_b32 s1, s0
; %bb.34:
	s_delay_alu instid0(VALU_DEP_3) | instskip(SKIP_2) | instid1(VALU_DEP_2)
	v_add_co_u32 v5, vcc_lo, v21, v1
	s_wait_alu 0xfffd
	v_add_co_ci_u32_e64 v2, null, 0, v22, vcc_lo
	v_add_co_u32 v1, vcc_lo, 0, v5
	s_wait_alu 0xfffd
	s_delay_alu instid0(VALU_DEP_2) | instskip(NEXT) | instid1(VALU_DEP_1)
	v_add_co_ci_u32_e64 v2, null, v6, v2, vcc_lo
	v_dual_mov_b32 v4, v2 :: v_dual_mov_b32 v3, v1
; %bb.35:
	s_wait_alu 0xfffe
	s_or_b32 exec_lo, exec_lo, s1
	v_mov_b32_dpp v1, v5 row_shr:2 row_mask:0xf bank_mask:0xf
	v_mov_b32_dpp v6, v2 row_shr:2 row_mask:0xf bank_mask:0xf
	s_mov_b32 s1, exec_lo
	v_cmpx_lt_u32_e32 1, v48
; %bb.36:
	s_delay_alu instid0(VALU_DEP_3) | instskip(SKIP_2) | instid1(VALU_DEP_2)
	v_add_co_u32 v5, vcc_lo, v3, v1
	s_wait_alu 0xfffd
	v_add_co_ci_u32_e64 v2, null, 0, v4, vcc_lo
	v_add_co_u32 v1, vcc_lo, 0, v5
	s_wait_alu 0xfffd
	s_delay_alu instid0(VALU_DEP_2) | instskip(NEXT) | instid1(VALU_DEP_1)
	v_add_co_ci_u32_e64 v2, null, v6, v2, vcc_lo
	v_dual_mov_b32 v4, v2 :: v_dual_mov_b32 v3, v1
; %bb.37:
	s_wait_alu 0xfffe
	s_or_b32 exec_lo, exec_lo, s1
	v_mov_b32_dpp v1, v5 row_shr:4 row_mask:0xf bank_mask:0xf
	v_mov_b32_dpp v6, v2 row_shr:4 row_mask:0xf bank_mask:0xf
	s_mov_b32 s1, exec_lo
	v_cmpx_lt_u32_e32 3, v48
	;; [unrolled: 17-line block ×3, first 2 shown]
; %bb.40:
	s_delay_alu instid0(VALU_DEP_3) | instskip(SKIP_2) | instid1(VALU_DEP_2)
	v_add_co_u32 v5, vcc_lo, v3, v6
	s_wait_alu 0xfffd
	v_add_co_ci_u32_e64 v2, null, 0, v4, vcc_lo
	v_add_co_u32 v3, vcc_lo, 0, v5
	s_wait_alu 0xfffd
	s_delay_alu instid0(VALU_DEP_2) | instskip(NEXT) | instid1(VALU_DEP_1)
	v_add_co_ci_u32_e64 v4, null, v1, v2, vcc_lo
	v_mov_b32_e32 v2, v4
; %bb.41:
	s_wait_alu 0xfffe
	s_or_b32 exec_lo, exec_lo, s1
	ds_swizzle_b32 v1, v5 offset:swizzle(BROADCAST,32,15)
	ds_swizzle_b32 v6, v2 offset:swizzle(BROADCAST,32,15)
	v_and_b32_e32 v7, 16, v47
	s_mov_b32 s1, exec_lo
	s_delay_alu instid0(VALU_DEP_1)
	v_cmpx_ne_u32_e32 0, v7
	s_cbranch_execz .LBB1010_43
; %bb.42:
	s_wait_dscnt 0x1
	v_add_co_u32 v5, vcc_lo, v3, v1
	s_wait_alu 0xfffd
	v_add_co_ci_u32_e64 v2, null, 0, v4, vcc_lo
	s_delay_alu instid0(VALU_DEP_2) | instskip(SKIP_2) | instid1(VALU_DEP_2)
	v_add_co_u32 v1, vcc_lo, 0, v5
	s_wait_dscnt 0x0
	s_wait_alu 0xfffd
	v_add_co_ci_u32_e64 v2, null, v6, v2, vcc_lo
	s_delay_alu instid0(VALU_DEP_1)
	v_dual_mov_b32 v4, v2 :: v_dual_mov_b32 v3, v1
.LBB1010_43:
	s_wait_alu 0xfffe
	s_or_b32 exec_lo, exec_lo, s1
	s_wait_dscnt 0x1
	v_and_b32_e32 v1, 0xe0, v0
	s_mov_b32 s1, exec_lo
	s_delay_alu instid0(VALU_DEP_1) | instskip(NEXT) | instid1(VALU_DEP_1)
	v_min_u32_e32 v1, 0xa0, v1
	v_or_b32_e32 v1, 31, v1
	s_delay_alu instid0(VALU_DEP_1)
	v_cmpx_eq_u32_e64 v0, v1
; %bb.44:
	v_lshlrev_b32_e32 v1, 3, v37
	ds_store_b64 v1, v[3:4]
; %bb.45:
	s_wait_alu 0xfffe
	s_or_b32 exec_lo, exec_lo, s1
	s_delay_alu instid0(SALU_CYCLE_1)
	s_mov_b32 s1, exec_lo
	s_wait_loadcnt_dscnt 0x0
	s_barrier_signal -1
	s_barrier_wait -1
	global_inv scope:SCOPE_SE
	v_cmpx_gt_u32_e32 6, v0
	s_cbranch_execz .LBB1010_53
; %bb.46:
	ds_load_b64 v[3:4], v40
	v_and_b32_e32 v1, 7, v47
	s_mov_b32 s3, exec_lo
	s_wait_dscnt 0x0
	v_mov_b32_dpp v8, v3 row_shr:1 row_mask:0xf bank_mask:0xf
	v_mov_b32_dpp v7, v4 row_shr:1 row_mask:0xf bank_mask:0xf
	v_mov_b32_e32 v6, v3
	v_cmpx_ne_u32_e32 0, v1
; %bb.47:
	s_delay_alu instid0(VALU_DEP_4) | instskip(SKIP_2) | instid1(VALU_DEP_2)
	v_add_co_u32 v6, vcc_lo, v3, v8
	s_wait_alu 0xfffd
	v_add_co_ci_u32_e64 v4, null, 0, v4, vcc_lo
	v_add_co_u32 v3, vcc_lo, 0, v6
	s_wait_alu 0xfffd
	s_delay_alu instid0(VALU_DEP_2)
	v_add_co_ci_u32_e64 v4, null, v7, v4, vcc_lo
; %bb.48:
	s_wait_alu 0xfffe
	s_or_b32 exec_lo, exec_lo, s3
	v_mov_b32_dpp v8, v6 row_shr:2 row_mask:0xf bank_mask:0xf
	s_delay_alu instid0(VALU_DEP_2)
	v_mov_b32_dpp v7, v4 row_shr:2 row_mask:0xf bank_mask:0xf
	s_mov_b32 s3, exec_lo
	v_cmpx_lt_u32_e32 1, v1
; %bb.49:
	s_delay_alu instid0(VALU_DEP_3) | instskip(SKIP_2) | instid1(VALU_DEP_2)
	v_add_co_u32 v6, vcc_lo, v3, v8
	s_wait_alu 0xfffd
	v_add_co_ci_u32_e64 v4, null, 0, v4, vcc_lo
	v_add_co_u32 v3, vcc_lo, 0, v6
	s_wait_alu 0xfffd
	s_delay_alu instid0(VALU_DEP_2)
	v_add_co_ci_u32_e64 v4, null, v7, v4, vcc_lo
; %bb.50:
	s_wait_alu 0xfffe
	s_or_b32 exec_lo, exec_lo, s3
	v_mov_b32_dpp v7, v6 row_shr:4 row_mask:0xf bank_mask:0xf
	s_delay_alu instid0(VALU_DEP_2)
	v_mov_b32_dpp v6, v4 row_shr:4 row_mask:0xf bank_mask:0xf
	s_mov_b32 s3, exec_lo
	v_cmpx_lt_u32_e32 3, v1
; %bb.51:
	s_delay_alu instid0(VALU_DEP_3) | instskip(SKIP_2) | instid1(VALU_DEP_2)
	v_add_co_u32 v1, vcc_lo, v3, v7
	s_wait_alu 0xfffd
	v_add_co_ci_u32_e64 v4, null, 0, v4, vcc_lo
	v_add_co_u32 v3, vcc_lo, v1, 0
	s_wait_alu 0xfffd
	s_delay_alu instid0(VALU_DEP_2)
	v_add_co_ci_u32_e64 v4, null, v4, v6, vcc_lo
; %bb.52:
	s_wait_alu 0xfffe
	s_or_b32 exec_lo, exec_lo, s3
	ds_store_b64 v40, v[3:4]
.LBB1010_53:
	s_wait_alu 0xfffe
	s_or_b32 exec_lo, exec_lo, s1
	s_delay_alu instid0(SALU_CYCLE_1)
	s_mov_b32 s3, exec_lo
	v_cmp_gt_u32_e32 vcc_lo, 32, v0
	s_wait_loadcnt_dscnt 0x0
	s_barrier_signal -1
	s_barrier_wait -1
	global_inv scope:SCOPE_SE
                                        ; implicit-def: $vgpr23_vgpr24
	v_cmpx_lt_u32_e32 31, v0
	s_cbranch_execz .LBB1010_55
; %bb.54:
	v_lshl_add_u32 v1, v37, 3, -8
	ds_load_b64 v[23:24], v1
	s_wait_dscnt 0x0
	v_add_co_u32 v5, s1, v5, v23
	s_wait_alu 0xf1ff
	v_add_co_ci_u32_e64 v2, null, v2, v24, s1
.LBB1010_55:
	s_wait_alu 0xfffe
	s_or_b32 exec_lo, exec_lo, s3
	v_sub_co_u32 v1, s1, v47, 1
	s_delay_alu instid0(VALU_DEP_1) | instskip(SKIP_1) | instid1(VALU_DEP_1)
	v_cmp_gt_i32_e64 s3, 0, v1
	s_wait_alu 0xf1ff
	v_cndmask_b32_e64 v1, v1, v47, s3
	s_delay_alu instid0(VALU_DEP_1)
	v_lshlrev_b32_e32 v1, 2, v1
	ds_bpermute_b32 v29, v1, v5
	ds_bpermute_b32 v30, v1, v2
	s_and_saveexec_b32 s3, vcc_lo
	s_cbranch_execz .LBB1010_94
; %bb.56:
	v_mov_b32_e32 v4, 0
	ds_load_b64 v[1:2], v4 offset:40
	s_and_saveexec_b32 s6, s1
	s_cbranch_execz .LBB1010_58
; %bb.57:
	s_add_co_i32 s8, s20, 32
	s_mov_b32 s9, 0
	s_wait_alu 0xfffe
	s_lshl_b64 s[8:9], s[8:9], 4
	s_wait_alu 0xfffe
	s_add_nc_u64 s[8:9], s[14:15], s[8:9]
	v_mov_b32_e32 v3, 1
	s_wait_alu 0xfffe
	v_dual_mov_b32 v5, s8 :: v_dual_mov_b32 v6, s9
	s_wait_dscnt 0x0
	;;#ASMSTART
	global_store_b128 v[5:6], v[1:4] off scope:SCOPE_DEV	
s_wait_storecnt 0x0
	;;#ASMEND
.LBB1010_58:
	s_wait_alu 0xfffe
	s_or_b32 exec_lo, exec_lo, s6
	v_xad_u32 v25, v47, -1, s20
	s_mov_b32 s7, 0
	s_mov_b32 s6, exec_lo
	s_delay_alu instid0(VALU_DEP_1) | instskip(NEXT) | instid1(VALU_DEP_1)
	v_add_nc_u32_e32 v3, 32, v25
	v_lshlrev_b64_e32 v[3:4], 4, v[3:4]
	s_delay_alu instid0(VALU_DEP_1) | instskip(SKIP_1) | instid1(VALU_DEP_2)
	v_add_co_u32 v3, vcc_lo, s14, v3
	s_wait_alu 0xfffd
	v_add_co_ci_u32_e64 v4, null, s15, v4, vcc_lo
	;;#ASMSTART
	global_load_b128 v[5:8], v[3:4] off scope:SCOPE_DEV	
s_wait_loadcnt 0x0
	;;#ASMEND
	v_and_b32_e32 v8, 0xff, v7
	s_delay_alu instid0(VALU_DEP_1)
	v_cmpx_eq_u16_e32 0, v8
	s_cbranch_execz .LBB1010_61
.LBB1010_59:                            ; =>This Inner Loop Header: Depth=1
	;;#ASMSTART
	global_load_b128 v[5:8], v[3:4] off scope:SCOPE_DEV	
s_wait_loadcnt 0x0
	;;#ASMEND
	v_and_b32_e32 v8, 0xff, v7
	s_delay_alu instid0(VALU_DEP_1)
	v_cmp_ne_u16_e32 vcc_lo, 0, v8
	s_wait_alu 0xfffe
	s_or_b32 s7, vcc_lo, s7
	s_wait_alu 0xfffe
	s_and_not1_b32 exec_lo, exec_lo, s7
	s_cbranch_execnz .LBB1010_59
; %bb.60:
	s_or_b32 exec_lo, exec_lo, s7
.LBB1010_61:
	s_wait_alu 0xfffe
	s_or_b32 exec_lo, exec_lo, s6
	v_cmp_ne_u32_e32 vcc_lo, 31, v47
	v_and_b32_e32 v4, 0xff, v7
	v_lshlrev_b32_e64 v32, v47, -1
	s_mov_b32 s6, exec_lo
	s_wait_alu 0xfffd
	v_add_co_ci_u32_e64 v3, null, 0, v47, vcc_lo
	v_cmp_eq_u16_e32 vcc_lo, 2, v4
	s_delay_alu instid0(VALU_DEP_2)
	v_dual_mov_b32 v4, v5 :: v_dual_lshlrev_b32 v31, 2, v3
	s_wait_alu 0xfffd
	v_and_or_b32 v3, vcc_lo, v32, 0x80000000
	ds_bpermute_b32 v26, v31, v5
	ds_bpermute_b32 v8, v31, v6
	v_ctz_i32_b32_e32 v3, v3
	s_delay_alu instid0(VALU_DEP_1)
	v_cmpx_lt_u32_e64 v47, v3
	s_cbranch_execz .LBB1010_63
; %bb.62:
	s_wait_dscnt 0x1
	v_add_co_u32 v4, vcc_lo, v5, v26
	s_wait_alu 0xfffd
	v_add_co_ci_u32_e64 v6, null, 0, v6, vcc_lo
	s_delay_alu instid0(VALU_DEP_2) | instskip(SKIP_2) | instid1(VALU_DEP_2)
	v_add_co_u32 v5, vcc_lo, 0, v4
	s_wait_dscnt 0x0
	s_wait_alu 0xfffd
	v_add_co_ci_u32_e64 v6, null, v8, v6, vcc_lo
.LBB1010_63:
	s_wait_alu 0xfffe
	s_or_b32 exec_lo, exec_lo, s6
	v_cmp_gt_u32_e32 vcc_lo, 30, v47
	v_add_nc_u32_e32 v34, 2, v47
	s_mov_b32 s6, exec_lo
	s_wait_dscnt 0x0
	s_wait_alu 0xfffd
	v_cndmask_b32_e64 v8, 0, 2, vcc_lo
	s_delay_alu instid0(VALU_DEP_1)
	v_add_lshl_u32 v33, v8, v47, 2
	ds_bpermute_b32 v26, v33, v4
	ds_bpermute_b32 v8, v33, v6
	v_cmpx_le_u32_e64 v34, v3
	s_cbranch_execz .LBB1010_65
; %bb.64:
	s_wait_dscnt 0x1
	v_add_co_u32 v4, vcc_lo, v5, v26
	s_wait_alu 0xfffd
	v_add_co_ci_u32_e64 v6, null, 0, v6, vcc_lo
	s_delay_alu instid0(VALU_DEP_2) | instskip(SKIP_2) | instid1(VALU_DEP_2)
	v_add_co_u32 v5, vcc_lo, 0, v4
	s_wait_dscnt 0x0
	s_wait_alu 0xfffd
	v_add_co_ci_u32_e64 v6, null, v8, v6, vcc_lo
.LBB1010_65:
	s_wait_alu 0xfffe
	s_or_b32 exec_lo, exec_lo, s6
	v_cmp_gt_u32_e32 vcc_lo, 28, v47
	v_add_nc_u32_e32 v36, 4, v47
	s_mov_b32 s6, exec_lo
	s_wait_dscnt 0x0
	s_wait_alu 0xfffd
	v_cndmask_b32_e64 v8, 0, 4, vcc_lo
	s_delay_alu instid0(VALU_DEP_1)
	v_add_lshl_u32 v35, v8, v47, 2
	ds_bpermute_b32 v26, v35, v4
	ds_bpermute_b32 v8, v35, v6
	v_cmpx_le_u32_e64 v36, v3
	;; [unrolled: 25-line block ×3, first 2 shown]
	s_cbranch_execz .LBB1010_69
; %bb.68:
	s_wait_dscnt 0x1
	v_add_co_u32 v4, vcc_lo, v5, v26
	s_wait_alu 0xfffd
	v_add_co_ci_u32_e64 v6, null, 0, v6, vcc_lo
	s_delay_alu instid0(VALU_DEP_2) | instskip(SKIP_2) | instid1(VALU_DEP_2)
	v_add_co_u32 v5, vcc_lo, 0, v4
	s_wait_dscnt 0x0
	s_wait_alu 0xfffd
	v_add_co_ci_u32_e64 v6, null, v8, v6, vcc_lo
.LBB1010_69:
	s_wait_alu 0xfffe
	s_or_b32 exec_lo, exec_lo, s6
	v_lshl_or_b32 v51, v47, 2, 64
	v_add_nc_u32_e32 v52, 16, v47
	s_mov_b32 s6, exec_lo
	s_wait_dscnt 0x0
	ds_bpermute_b32 v8, v51, v4
	ds_bpermute_b32 v4, v51, v6
	v_cmpx_le_u32_e64 v52, v3
	s_cbranch_execz .LBB1010_71
; %bb.70:
	s_wait_dscnt 0x1
	v_add_co_u32 v3, vcc_lo, v5, v8
	s_wait_alu 0xfffd
	v_add_co_ci_u32_e64 v6, null, 0, v6, vcc_lo
	s_delay_alu instid0(VALU_DEP_2) | instskip(SKIP_2) | instid1(VALU_DEP_2)
	v_add_co_u32 v5, vcc_lo, v3, 0
	s_wait_dscnt 0x0
	s_wait_alu 0xfffd
	v_add_co_ci_u32_e64 v6, null, v6, v4, vcc_lo
.LBB1010_71:
	s_wait_alu 0xfffe
	s_or_b32 exec_lo, exec_lo, s6
	v_mov_b32_e32 v26, 0
	s_branch .LBB1010_74
.LBB1010_72:                            ;   in Loop: Header=BB1010_74 Depth=1
	s_wait_alu 0xfffe
	s_or_b32 exec_lo, exec_lo, s6
	v_add_co_u32 v5, vcc_lo, v5, v3
	v_subrev_nc_u32_e32 v25, 32, v25
	s_wait_alu 0xfffd
	v_add_co_ci_u32_e64 v6, null, v6, v4, vcc_lo
	s_mov_b32 s6, 0
.LBB1010_73:                            ;   in Loop: Header=BB1010_74 Depth=1
	s_wait_alu 0xfffe
	s_and_b32 vcc_lo, exec_lo, s6
	s_wait_alu 0xfffe
	s_cbranch_vccnz .LBB1010_90
.LBB1010_74:                            ; =>This Loop Header: Depth=1
                                        ;     Child Loop BB1010_77 Depth 2
	v_and_b32_e32 v3, 0xff, v7
	s_mov_b32 s6, -1
	s_delay_alu instid0(VALU_DEP_1)
	v_cmp_ne_u16_e32 vcc_lo, 2, v3
	s_wait_dscnt 0x0
	v_dual_mov_b32 v3, v5 :: v_dual_mov_b32 v4, v6
                                        ; implicit-def: $vgpr5_vgpr6
	s_cmp_lg_u32 vcc_lo, exec_lo
	s_cbranch_scc1 .LBB1010_73
; %bb.75:                               ;   in Loop: Header=BB1010_74 Depth=1
	v_lshlrev_b64_e32 v[5:6], 4, v[25:26]
	s_mov_b32 s6, exec_lo
	s_delay_alu instid0(VALU_DEP_1) | instskip(SKIP_1) | instid1(VALU_DEP_2)
	v_add_co_u32 v27, vcc_lo, s14, v5
	s_wait_alu 0xfffd
	v_add_co_ci_u32_e64 v28, null, s15, v6, vcc_lo
	;;#ASMSTART
	global_load_b128 v[5:8], v[27:28] off scope:SCOPE_DEV	
s_wait_loadcnt 0x0
	;;#ASMEND
	v_and_b32_e32 v8, 0xff, v7
	s_delay_alu instid0(VALU_DEP_1)
	v_cmpx_eq_u16_e32 0, v8
	s_cbranch_execz .LBB1010_79
; %bb.76:                               ;   in Loop: Header=BB1010_74 Depth=1
	s_mov_b32 s7, 0
.LBB1010_77:                            ;   Parent Loop BB1010_74 Depth=1
                                        ; =>  This Inner Loop Header: Depth=2
	;;#ASMSTART
	global_load_b128 v[5:8], v[27:28] off scope:SCOPE_DEV	
s_wait_loadcnt 0x0
	;;#ASMEND
	v_and_b32_e32 v8, 0xff, v7
	s_delay_alu instid0(VALU_DEP_1)
	v_cmp_ne_u16_e32 vcc_lo, 0, v8
	s_wait_alu 0xfffe
	s_or_b32 s7, vcc_lo, s7
	s_wait_alu 0xfffe
	s_and_not1_b32 exec_lo, exec_lo, s7
	s_cbranch_execnz .LBB1010_77
; %bb.78:                               ;   in Loop: Header=BB1010_74 Depth=1
	s_or_b32 exec_lo, exec_lo, s7
.LBB1010_79:                            ;   in Loop: Header=BB1010_74 Depth=1
	s_wait_alu 0xfffe
	s_or_b32 exec_lo, exec_lo, s6
	v_dual_mov_b32 v27, v5 :: v_dual_and_b32 v8, 0xff, v7
	ds_bpermute_b32 v53, v31, v5
	ds_bpermute_b32 v28, v31, v6
	s_mov_b32 s6, exec_lo
	v_cmp_eq_u16_e32 vcc_lo, 2, v8
	s_wait_alu 0xfffd
	v_and_or_b32 v8, vcc_lo, v32, 0x80000000
	s_delay_alu instid0(VALU_DEP_1) | instskip(NEXT) | instid1(VALU_DEP_1)
	v_ctz_i32_b32_e32 v8, v8
	v_cmpx_lt_u32_e64 v47, v8
	s_cbranch_execz .LBB1010_81
; %bb.80:                               ;   in Loop: Header=BB1010_74 Depth=1
	s_wait_dscnt 0x1
	v_add_co_u32 v27, vcc_lo, v5, v53
	s_wait_alu 0xfffd
	v_add_co_ci_u32_e64 v6, null, 0, v6, vcc_lo
	s_delay_alu instid0(VALU_DEP_2) | instskip(SKIP_2) | instid1(VALU_DEP_2)
	v_add_co_u32 v5, vcc_lo, 0, v27
	s_wait_dscnt 0x0
	s_wait_alu 0xfffd
	v_add_co_ci_u32_e64 v6, null, v28, v6, vcc_lo
.LBB1010_81:                            ;   in Loop: Header=BB1010_74 Depth=1
	s_wait_alu 0xfffe
	s_or_b32 exec_lo, exec_lo, s6
	s_wait_dscnt 0x1
	ds_bpermute_b32 v53, v33, v27
	s_wait_dscnt 0x1
	ds_bpermute_b32 v28, v33, v6
	s_mov_b32 s6, exec_lo
	v_cmpx_le_u32_e64 v34, v8
	s_cbranch_execz .LBB1010_83
; %bb.82:                               ;   in Loop: Header=BB1010_74 Depth=1
	s_wait_dscnt 0x1
	v_add_co_u32 v27, vcc_lo, v5, v53
	s_wait_alu 0xfffd
	v_add_co_ci_u32_e64 v6, null, 0, v6, vcc_lo
	s_delay_alu instid0(VALU_DEP_2) | instskip(SKIP_2) | instid1(VALU_DEP_2)
	v_add_co_u32 v5, vcc_lo, 0, v27
	s_wait_dscnt 0x0
	s_wait_alu 0xfffd
	v_add_co_ci_u32_e64 v6, null, v28, v6, vcc_lo
.LBB1010_83:                            ;   in Loop: Header=BB1010_74 Depth=1
	s_wait_alu 0xfffe
	s_or_b32 exec_lo, exec_lo, s6
	s_wait_dscnt 0x1
	ds_bpermute_b32 v53, v35, v27
	s_wait_dscnt 0x1
	ds_bpermute_b32 v28, v35, v6
	s_mov_b32 s6, exec_lo
	v_cmpx_le_u32_e64 v36, v8
	s_cbranch_execz .LBB1010_85
; %bb.84:                               ;   in Loop: Header=BB1010_74 Depth=1
	s_wait_dscnt 0x1
	v_add_co_u32 v27, vcc_lo, v5, v53
	s_wait_alu 0xfffd
	v_add_co_ci_u32_e64 v6, null, 0, v6, vcc_lo
	s_delay_alu instid0(VALU_DEP_2) | instskip(SKIP_2) | instid1(VALU_DEP_2)
	v_add_co_u32 v5, vcc_lo, 0, v27
	s_wait_dscnt 0x0
	s_wait_alu 0xfffd
	v_add_co_ci_u32_e64 v6, null, v28, v6, vcc_lo
.LBB1010_85:                            ;   in Loop: Header=BB1010_74 Depth=1
	s_wait_alu 0xfffe
	s_or_b32 exec_lo, exec_lo, s6
	s_wait_dscnt 0x1
	ds_bpermute_b32 v53, v49, v27
	s_wait_dscnt 0x1
	ds_bpermute_b32 v28, v49, v6
	s_mov_b32 s6, exec_lo
	v_cmpx_le_u32_e64 v50, v8
	s_cbranch_execz .LBB1010_87
; %bb.86:                               ;   in Loop: Header=BB1010_74 Depth=1
	s_wait_dscnt 0x1
	v_add_co_u32 v27, vcc_lo, v5, v53
	s_wait_alu 0xfffd
	v_add_co_ci_u32_e64 v6, null, 0, v6, vcc_lo
	s_delay_alu instid0(VALU_DEP_2) | instskip(SKIP_2) | instid1(VALU_DEP_2)
	v_add_co_u32 v5, vcc_lo, 0, v27
	s_wait_dscnt 0x0
	s_wait_alu 0xfffd
	v_add_co_ci_u32_e64 v6, null, v28, v6, vcc_lo
.LBB1010_87:                            ;   in Loop: Header=BB1010_74 Depth=1
	s_wait_alu 0xfffe
	s_or_b32 exec_lo, exec_lo, s6
	s_wait_dscnt 0x0
	ds_bpermute_b32 v28, v51, v27
	ds_bpermute_b32 v27, v51, v6
	s_mov_b32 s6, exec_lo
	v_cmpx_le_u32_e64 v52, v8
	s_cbranch_execz .LBB1010_72
; %bb.88:                               ;   in Loop: Header=BB1010_74 Depth=1
	s_wait_dscnt 0x1
	v_add_co_u32 v5, vcc_lo, v5, v28
	s_wait_alu 0xfffd
	v_add_co_ci_u32_e64 v6, null, 0, v6, vcc_lo
	s_delay_alu instid0(VALU_DEP_2) | instskip(SKIP_2) | instid1(VALU_DEP_2)
	v_add_co_u32 v5, vcc_lo, v5, 0
	s_wait_dscnt 0x0
	s_wait_alu 0xfffd
	v_add_co_ci_u32_e64 v6, null, v6, v27, vcc_lo
	s_branch .LBB1010_72
.LBB1010_89:
                                        ; implicit-def: $vgpr23_vgpr24
                                        ; implicit-def: $vgpr6_vgpr7
                                        ; implicit-def: $vgpr25_vgpr26
                                        ; implicit-def: $vgpr27_vgpr28
                                        ; implicit-def: $vgpr29_vgpr30
                                        ; implicit-def: $vgpr31_vgpr32
                                        ; implicit-def: $vgpr33_vgpr34
                                        ; implicit-def: $vgpr35_vgpr36
                                        ; implicit-def: $vgpr4_vgpr5
	s_wait_alu 0xfffe
	s_and_b32 vcc_lo, exec_lo, s1
	s_wait_alu 0xfffe
	s_cbranch_vccnz .LBB1010_95
	s_branch .LBB1010_120
.LBB1010_90:
	s_and_saveexec_b32 s6, s1
	s_cbranch_execz .LBB1010_92
; %bb.91:
	s_add_co_i32 s8, s20, 32
	s_mov_b32 s9, 0
	v_add_co_u32 v5, vcc_lo, v3, v1
	s_wait_alu 0xfffe
	s_lshl_b64 s[8:9], s[8:9], 4
	v_dual_mov_b32 v7, 2 :: v_dual_mov_b32 v8, 0
	s_wait_alu 0xfffe
	s_add_nc_u64 s[8:9], s[14:15], s[8:9]
	s_wait_alu 0xfffd
	v_add_co_ci_u32_e64 v6, null, v4, v2, vcc_lo
	s_wait_alu 0xfffe
	v_dual_mov_b32 v26, s9 :: v_dual_mov_b32 v25, s8
	;;#ASMSTART
	global_store_b128 v[25:26], v[5:8] off scope:SCOPE_DEV	
s_wait_storecnt 0x0
	;;#ASMEND
	ds_store_b128 v8, v[1:4] offset:6336
.LBB1010_92:
	s_wait_alu 0xfffe
	s_or_b32 exec_lo, exec_lo, s6
	s_delay_alu instid0(SALU_CYCLE_1)
	s_and_b32 exec_lo, exec_lo, s2
; %bb.93:
	v_mov_b32_e32 v1, 0
	ds_store_b64 v1, v[3:4] offset:40
.LBB1010_94:
	s_wait_alu 0xfffe
	s_or_b32 exec_lo, exec_lo, s3
	v_mov_b32_e32 v3, 0
	s_wait_loadcnt_dscnt 0x0
	s_barrier_signal -1
	s_barrier_wait -1
	global_inv scope:SCOPE_SE
	ds_load_b64 v[1:2], v3 offset:40
	v_cndmask_b32_e64 v4, v29, v23, s1
	v_cndmask_b32_e64 v5, v30, v24, s1
	s_wait_loadcnt_dscnt 0x0
	s_barrier_signal -1
	s_barrier_wait -1
	v_cndmask_b32_e64 v4, v4, 0, s2
	v_cndmask_b32_e64 v5, v5, 0, s2
	global_inv scope:SCOPE_SE
	v_add_co_u32 v35, vcc_lo, v1, v4
	s_wait_alu 0xfffd
	v_add_co_ci_u32_e64 v36, null, v2, v5, vcc_lo
	ds_load_b128 v[2:5], v3 offset:6336
	v_add_co_u32 v33, vcc_lo, v35, v43
	s_wait_alu 0xfffd
	v_add_co_ci_u32_e64 v34, null, 0, v36, vcc_lo
	s_delay_alu instid0(VALU_DEP_2) | instskip(SKIP_1) | instid1(VALU_DEP_2)
	v_add_co_u32 v31, vcc_lo, v33, v42
	s_wait_alu 0xfffd
	v_add_co_ci_u32_e64 v32, null, 0, v34, vcc_lo
	s_delay_alu instid0(VALU_DEP_2) | instskip(SKIP_1) | instid1(VALU_DEP_2)
	;; [unrolled: 4-line block ×6, first 2 shown]
	v_add_co_u32 v23, vcc_lo, v6, v44
	s_wait_alu 0xfffd
	v_add_co_ci_u32_e64 v24, null, 0, v7, vcc_lo
	s_branch .LBB1010_120
.LBB1010_95:
	s_wait_dscnt 0x0
	v_dual_mov_b32 v2, 0 :: v_dual_mov_b32 v3, v21
	v_mov_b32_dpp v4, v21 row_shr:1 row_mask:0xf bank_mask:0xf
	s_delay_alu instid0(VALU_DEP_2)
	v_mov_b32_dpp v1, v2 row_shr:1 row_mask:0xf bank_mask:0xf
	s_and_saveexec_b32 s1, s0
; %bb.96:
	s_delay_alu instid0(VALU_DEP_2) | instskip(SKIP_2) | instid1(VALU_DEP_2)
	v_add_co_u32 v3, vcc_lo, v21, v4
	s_wait_alu 0xfffd
	v_add_co_ci_u32_e64 v2, null, 0, v22, vcc_lo
	v_add_co_u32 v21, vcc_lo, 0, v3
	s_wait_alu 0xfffd
	s_delay_alu instid0(VALU_DEP_2) | instskip(NEXT) | instid1(VALU_DEP_1)
	v_add_co_ci_u32_e64 v22, null, v1, v2, vcc_lo
	v_mov_b32_e32 v2, v22
; %bb.97:
	s_wait_alu 0xfffe
	s_or_b32 exec_lo, exec_lo, s1
	v_mov_b32_dpp v1, v3 row_shr:2 row_mask:0xf bank_mask:0xf
	s_delay_alu instid0(VALU_DEP_2)
	v_mov_b32_dpp v4, v2 row_shr:2 row_mask:0xf bank_mask:0xf
	s_mov_b32 s0, exec_lo
	v_cmpx_lt_u32_e32 1, v48
; %bb.98:
	s_delay_alu instid0(VALU_DEP_3) | instskip(SKIP_2) | instid1(VALU_DEP_2)
	v_add_co_u32 v3, vcc_lo, v21, v1
	s_wait_alu 0xfffd
	v_add_co_ci_u32_e64 v2, null, 0, v22, vcc_lo
	v_add_co_u32 v1, vcc_lo, 0, v3
	s_wait_alu 0xfffd
	s_delay_alu instid0(VALU_DEP_2) | instskip(NEXT) | instid1(VALU_DEP_1)
	v_add_co_ci_u32_e64 v2, null, v4, v2, vcc_lo
	v_dual_mov_b32 v22, v2 :: v_dual_mov_b32 v21, v1
; %bb.99:
	s_wait_alu 0xfffe
	s_or_b32 exec_lo, exec_lo, s0
	v_mov_b32_dpp v1, v3 row_shr:4 row_mask:0xf bank_mask:0xf
	v_mov_b32_dpp v4, v2 row_shr:4 row_mask:0xf bank_mask:0xf
	s_mov_b32 s0, exec_lo
	v_cmpx_lt_u32_e32 3, v48
; %bb.100:
	s_delay_alu instid0(VALU_DEP_3) | instskip(SKIP_2) | instid1(VALU_DEP_2)
	v_add_co_u32 v3, vcc_lo, v21, v1
	s_wait_alu 0xfffd
	v_add_co_ci_u32_e64 v2, null, 0, v22, vcc_lo
	v_add_co_u32 v1, vcc_lo, 0, v3
	s_wait_alu 0xfffd
	s_delay_alu instid0(VALU_DEP_2) | instskip(NEXT) | instid1(VALU_DEP_1)
	v_add_co_ci_u32_e64 v2, null, v4, v2, vcc_lo
	v_dual_mov_b32 v22, v2 :: v_dual_mov_b32 v21, v1
; %bb.101:
	s_wait_alu 0xfffe
	s_or_b32 exec_lo, exec_lo, s0
	v_mov_b32_dpp v4, v3 row_shr:8 row_mask:0xf bank_mask:0xf
	v_mov_b32_dpp v1, v2 row_shr:8 row_mask:0xf bank_mask:0xf
	s_mov_b32 s0, exec_lo
	v_cmpx_lt_u32_e32 7, v48
; %bb.102:
	s_delay_alu instid0(VALU_DEP_3) | instskip(SKIP_2) | instid1(VALU_DEP_2)
	v_add_co_u32 v3, vcc_lo, v21, v4
	s_wait_alu 0xfffd
	v_add_co_ci_u32_e64 v2, null, 0, v22, vcc_lo
	v_add_co_u32 v21, vcc_lo, 0, v3
	s_wait_alu 0xfffd
	s_delay_alu instid0(VALU_DEP_2) | instskip(NEXT) | instid1(VALU_DEP_1)
	v_add_co_ci_u32_e64 v22, null, v1, v2, vcc_lo
	v_mov_b32_e32 v2, v22
; %bb.103:
	s_wait_alu 0xfffe
	s_or_b32 exec_lo, exec_lo, s0
	ds_swizzle_b32 v3, v3 offset:swizzle(BROADCAST,32,15)
	ds_swizzle_b32 v1, v2 offset:swizzle(BROADCAST,32,15)
	v_and_b32_e32 v2, 16, v47
	s_mov_b32 s0, exec_lo
	s_delay_alu instid0(VALU_DEP_1)
	v_cmpx_ne_u32_e32 0, v2
	s_cbranch_execz .LBB1010_105
; %bb.104:
	s_wait_dscnt 0x1
	v_add_co_u32 v2, vcc_lo, v21, v3
	s_wait_alu 0xfffd
	v_add_co_ci_u32_e64 v3, null, 0, v22, vcc_lo
	s_delay_alu instid0(VALU_DEP_2) | instskip(SKIP_2) | instid1(VALU_DEP_2)
	v_add_co_u32 v21, vcc_lo, v2, 0
	s_wait_dscnt 0x0
	s_wait_alu 0xfffd
	v_add_co_ci_u32_e64 v22, null, v3, v1, vcc_lo
.LBB1010_105:
	s_wait_alu 0xfffe
	s_or_b32 exec_lo, exec_lo, s0
	s_wait_dscnt 0x0
	v_and_b32_e32 v1, 0xe0, v0
	s_mov_b32 s0, exec_lo
	s_delay_alu instid0(VALU_DEP_1) | instskip(NEXT) | instid1(VALU_DEP_1)
	v_min_u32_e32 v1, 0xa0, v1
	v_or_b32_e32 v1, 31, v1
	s_delay_alu instid0(VALU_DEP_1)
	v_cmpx_eq_u32_e64 v0, v1
; %bb.106:
	v_lshlrev_b32_e32 v1, 3, v37
	ds_store_b64 v1, v[21:22]
; %bb.107:
	s_wait_alu 0xfffe
	s_or_b32 exec_lo, exec_lo, s0
	s_delay_alu instid0(SALU_CYCLE_1)
	s_mov_b32 s0, exec_lo
	s_wait_loadcnt_dscnt 0x0
	s_barrier_signal -1
	s_barrier_wait -1
	global_inv scope:SCOPE_SE
	v_cmpx_gt_u32_e32 6, v0
	s_cbranch_execz .LBB1010_115
; %bb.108:
	ds_load_b64 v[1:2], v40
	v_and_b32_e32 v3, 7, v47
	s_mov_b32 s1, exec_lo
	s_wait_dscnt 0x0
	v_mov_b32_dpp v6, v1 row_shr:1 row_mask:0xf bank_mask:0xf
	v_mov_b32_dpp v5, v2 row_shr:1 row_mask:0xf bank_mask:0xf
	v_mov_b32_e32 v4, v1
	v_cmpx_ne_u32_e32 0, v3
; %bb.109:
	s_delay_alu instid0(VALU_DEP_4) | instskip(SKIP_2) | instid1(VALU_DEP_2)
	v_add_co_u32 v4, vcc_lo, v1, v6
	s_wait_alu 0xfffd
	v_add_co_ci_u32_e64 v2, null, 0, v2, vcc_lo
	v_add_co_u32 v1, vcc_lo, 0, v4
	s_wait_alu 0xfffd
	s_delay_alu instid0(VALU_DEP_2)
	v_add_co_ci_u32_e64 v2, null, v5, v2, vcc_lo
; %bb.110:
	s_wait_alu 0xfffe
	s_or_b32 exec_lo, exec_lo, s1
	v_mov_b32_dpp v6, v4 row_shr:2 row_mask:0xf bank_mask:0xf
	s_delay_alu instid0(VALU_DEP_2)
	v_mov_b32_dpp v5, v2 row_shr:2 row_mask:0xf bank_mask:0xf
	s_mov_b32 s1, exec_lo
	v_cmpx_lt_u32_e32 1, v3
; %bb.111:
	s_delay_alu instid0(VALU_DEP_3) | instskip(SKIP_2) | instid1(VALU_DEP_2)
	v_add_co_u32 v4, vcc_lo, v1, v6
	s_wait_alu 0xfffd
	v_add_co_ci_u32_e64 v2, null, 0, v2, vcc_lo
	v_add_co_u32 v1, vcc_lo, 0, v4
	s_wait_alu 0xfffd
	s_delay_alu instid0(VALU_DEP_2)
	v_add_co_ci_u32_e64 v2, null, v5, v2, vcc_lo
; %bb.112:
	s_wait_alu 0xfffe
	s_or_b32 exec_lo, exec_lo, s1
	v_mov_b32_dpp v5, v4 row_shr:4 row_mask:0xf bank_mask:0xf
	s_delay_alu instid0(VALU_DEP_2)
	v_mov_b32_dpp v4, v2 row_shr:4 row_mask:0xf bank_mask:0xf
	s_mov_b32 s1, exec_lo
	v_cmpx_lt_u32_e32 3, v3
; %bb.113:
	s_delay_alu instid0(VALU_DEP_3) | instskip(SKIP_2) | instid1(VALU_DEP_2)
	v_add_co_u32 v1, vcc_lo, v1, v5
	s_wait_alu 0xfffd
	v_add_co_ci_u32_e64 v2, null, 0, v2, vcc_lo
	v_add_co_u32 v1, vcc_lo, v1, 0
	s_wait_alu 0xfffd
	s_delay_alu instid0(VALU_DEP_2)
	v_add_co_ci_u32_e64 v2, null, v2, v4, vcc_lo
; %bb.114:
	s_wait_alu 0xfffe
	s_or_b32 exec_lo, exec_lo, s1
	ds_store_b64 v40, v[1:2]
.LBB1010_115:
	s_wait_alu 0xfffe
	s_or_b32 exec_lo, exec_lo, s0
	v_mov_b32_e32 v6, 0
	v_mov_b32_e32 v7, 0
	s_mov_b32 s0, exec_lo
	s_wait_loadcnt_dscnt 0x0
	s_barrier_signal -1
	s_barrier_wait -1
	global_inv scope:SCOPE_SE
	v_cmpx_lt_u32_e32 31, v0
; %bb.116:
	v_lshl_add_u32 v1, v37, 3, -8
	ds_load_b64 v[6:7], v1
; %bb.117:
	s_wait_alu 0xfffe
	s_or_b32 exec_lo, exec_lo, s0
	v_sub_co_u32 v1, vcc_lo, v47, 1
	v_mov_b32_e32 v5, 0
	s_delay_alu instid0(VALU_DEP_2) | instskip(SKIP_1) | instid1(VALU_DEP_1)
	v_cmp_gt_i32_e64 s0, 0, v1
	s_wait_alu 0xf1ff
	v_cndmask_b32_e64 v1, v1, v47, s0
	s_delay_alu instid0(VALU_DEP_1)
	v_lshlrev_b32_e32 v2, 2, v1
	s_wait_dscnt 0x0
	v_add_co_u32 v1, s0, v6, v21
	s_wait_alu 0xf1ff
	v_add_co_ci_u32_e64 v3, null, v7, v22, s0
	ds_bpermute_b32 v1, v2, v1
	ds_bpermute_b32 v8, v2, v3
	ds_load_b64 v[2:3], v5 offset:40
	s_and_saveexec_b32 s0, s2
	s_cbranch_execz .LBB1010_119
; %bb.118:
	s_add_nc_u64 s[6:7], s[14:15], 0x200
	v_mov_b32_e32 v4, 2
	s_wait_alu 0xfffe
	v_dual_mov_b32 v22, s7 :: v_dual_mov_b32 v21, s6
	s_wait_dscnt 0x0
	;;#ASMSTART
	global_store_b128 v[21:22], v[2:5] off scope:SCOPE_DEV	
s_wait_storecnt 0x0
	;;#ASMEND
.LBB1010_119:
	s_wait_alu 0xfffe
	s_or_b32 exec_lo, exec_lo, s0
	s_wait_dscnt 0x1
	s_wait_alu 0xfffd
	v_dual_cndmask_b32 v1, v1, v6 :: v_dual_cndmask_b32 v4, v8, v7
	s_wait_loadcnt_dscnt 0x0
	s_barrier_signal -1
	s_barrier_wait -1
	s_delay_alu instid0(VALU_DEP_1)
	v_cndmask_b32_e64 v35, v1, 0, s2
	v_cndmask_b32_e64 v36, v4, 0, s2
	v_mov_b32_e32 v4, 0
	v_mov_b32_e32 v5, 0
	global_inv scope:SCOPE_SE
	v_add_co_u32 v33, vcc_lo, v35, v43
	s_wait_alu 0xfffd
	v_add_co_ci_u32_e64 v34, null, 0, v36, vcc_lo
	s_delay_alu instid0(VALU_DEP_2) | instskip(SKIP_1) | instid1(VALU_DEP_2)
	v_add_co_u32 v31, vcc_lo, v33, v42
	s_wait_alu 0xfffd
	v_add_co_ci_u32_e64 v32, null, 0, v34, vcc_lo
	s_delay_alu instid0(VALU_DEP_2) | instskip(SKIP_1) | instid1(VALU_DEP_2)
	;; [unrolled: 4-line block ×6, first 2 shown]
	v_add_co_u32 v23, vcc_lo, v6, v44
	s_wait_alu 0xfffd
	v_add_co_ci_u32_e64 v24, null, 0, v7, vcc_lo
.LBB1010_120:
	v_lshrrev_b32_e32 v40, 8, v19
	v_lshrrev_b32_e32 v37, 16, v19
	v_and_b32_e32 v19, 1, v19
	s_wait_dscnt 0x0
	v_cmp_gt_u64_e32 vcc_lo, 0xc1, v[2:3]
	v_lshrrev_b32_e32 v8, 8, v20
	v_lshrrev_b32_e32 v1, 16, v20
	s_mov_b32 s1, -1
	v_cmp_eq_u32_e64 s0, 1, v19
	s_cbranch_vccnz .LBB1010_124
; %bb.121:
	s_wait_alu 0xfffe
	s_and_b32 vcc_lo, exec_lo, s1
	s_wait_alu 0xfffe
	s_cbranch_vccnz .LBB1010_141
.LBB1010_122:
	s_and_b32 s0, s2, s18
	s_wait_alu 0xfffe
	s_and_saveexec_b32 s1, s0
	s_cbranch_execnz .LBB1010_161
.LBB1010_123:
	s_endpgm
.LBB1010_124:
	v_add_co_u32 v21, vcc_lo, v4, v2
	s_wait_alu 0xfffd
	v_add_co_ci_u32_e64 v22, null, v5, v3, vcc_lo
	v_lshlrev_b64_e32 v[41:42], 2, v[9:10]
	s_delay_alu instid0(VALU_DEP_2) | instskip(NEXT) | instid1(VALU_DEP_2)
	v_cmp_lt_u64_e32 vcc_lo, v[35:36], v[21:22]
	v_add_co_u32 v41, s1, s12, v41
	s_wait_alu 0xf1fe
	s_delay_alu instid0(VALU_DEP_3)
	v_add_co_ci_u32_e64 v42, null, s13, v42, s1
	s_or_b32 s1, s19, vcc_lo
	s_wait_alu 0xfffe
	s_and_b32 s1, s1, s0
	s_wait_alu 0xfffe
	s_and_saveexec_b32 s0, s1
	s_cbranch_execz .LBB1010_126
; %bb.125:
	v_lshlrev_b64_e32 v[43:44], 2, v[35:36]
	s_delay_alu instid0(VALU_DEP_1) | instskip(SKIP_1) | instid1(VALU_DEP_2)
	v_add_co_u32 v43, vcc_lo, v41, v43
	s_wait_alu 0xfffd
	v_add_co_ci_u32_e64 v44, null, v42, v44, vcc_lo
	global_store_b32 v[43:44], v17, off
.LBB1010_126:
	s_wait_alu 0xfffe
	s_or_b32 exec_lo, exec_lo, s0
	v_and_b32_e32 v36, 1, v40
	v_cmp_lt_u64_e32 vcc_lo, v[33:34], v[21:22]
	s_delay_alu instid0(VALU_DEP_2)
	v_cmp_eq_u32_e64 s0, 1, v36
	s_or_b32 s1, s19, vcc_lo
	s_wait_alu 0xfffe
	s_and_b32 s1, s1, s0
	s_wait_alu 0xfffe
	s_and_saveexec_b32 s0, s1
	s_cbranch_execz .LBB1010_128
; %bb.127:
	v_lshlrev_b64_e32 v[43:44], 2, v[33:34]
	s_delay_alu instid0(VALU_DEP_1) | instskip(SKIP_1) | instid1(VALU_DEP_2)
	v_add_co_u32 v43, vcc_lo, v41, v43
	s_wait_alu 0xfffd
	v_add_co_ci_u32_e64 v44, null, v42, v44, vcc_lo
	global_store_b32 v[43:44], v18, off
.LBB1010_128:
	s_wait_alu 0xfffe
	s_or_b32 exec_lo, exec_lo, s0
	v_and_b32_e32 v34, 1, v37
	v_cmp_lt_u64_e32 vcc_lo, v[31:32], v[21:22]
	s_delay_alu instid0(VALU_DEP_2)
	v_cmp_eq_u32_e64 s0, 1, v34
	;; [unrolled: 20-line block ×7, first 2 shown]
	s_or_b32 s1, s19, vcc_lo
	s_wait_alu 0xfffe
	s_and_b32 s1, s1, s0
	s_wait_alu 0xfffe
	s_and_saveexec_b32 s0, s1
	s_cbranch_execz .LBB1010_140
; %bb.139:
	v_lshlrev_b64_e32 v[21:22], 2, v[23:24]
	s_delay_alu instid0(VALU_DEP_1) | instskip(SKIP_1) | instid1(VALU_DEP_2)
	v_add_co_u32 v21, vcc_lo, v41, v21
	s_wait_alu 0xfffd
	v_add_co_ci_u32_e64 v22, null, v42, v22, vcc_lo
	global_store_b32 v[21:22], v12, off
.LBB1010_140:
	s_wait_alu 0xfffe
	s_or_b32 exec_lo, exec_lo, s0
	s_branch .LBB1010_122
.LBB1010_141:
	s_mov_b32 s0, exec_lo
	v_cmpx_eq_u32_e32 1, v19
; %bb.142:
	v_sub_nc_u32_e32 v7, v35, v4
	s_delay_alu instid0(VALU_DEP_1)
	v_lshlrev_b32_e32 v7, 2, v7
	ds_store_b32 v7, v17
; %bb.143:
	s_wait_alu 0xfffe
	s_or_b32 exec_lo, exec_lo, s0
	v_and_b32_e32 v7, 1, v40
	s_mov_b32 s0, exec_lo
	s_delay_alu instid0(VALU_DEP_1)
	v_cmpx_eq_u32_e32 1, v7
; %bb.144:
	v_sub_nc_u32_e32 v7, v33, v4
	s_delay_alu instid0(VALU_DEP_1)
	v_lshlrev_b32_e32 v7, 2, v7
	ds_store_b32 v7, v18
; %bb.145:
	s_wait_alu 0xfffe
	s_or_b32 exec_lo, exec_lo, s0
	v_and_b32_e32 v7, 1, v37
	s_mov_b32 s0, exec_lo
	s_delay_alu instid0(VALU_DEP_1)
	v_cmpx_eq_u32_e32 1, v7
; %bb.146:
	v_sub_nc_u32_e32 v7, v31, v4
	s_delay_alu instid0(VALU_DEP_1)
	v_lshlrev_b32_e32 v7, 2, v7
	ds_store_b32 v7, v15
; %bb.147:
	s_wait_alu 0xfffe
	s_or_b32 exec_lo, exec_lo, s0
	v_and_b32_e32 v7, 1, v39
	s_mov_b32 s0, exec_lo
	s_delay_alu instid0(VALU_DEP_1)
	v_cmpx_eq_u32_e32 1, v7
; %bb.148:
	v_sub_nc_u32_e32 v7, v29, v4
	s_delay_alu instid0(VALU_DEP_1)
	v_lshlrev_b32_e32 v7, 2, v7
	ds_store_b32 v7, v16
; %bb.149:
	s_wait_alu 0xfffe
	s_or_b32 exec_lo, exec_lo, s0
	v_and_b32_e32 v7, 1, v20
	s_mov_b32 s0, exec_lo
	s_delay_alu instid0(VALU_DEP_1)
	v_cmpx_eq_u32_e32 1, v7
; %bb.150:
	v_sub_nc_u32_e32 v7, v27, v4
	s_delay_alu instid0(VALU_DEP_1)
	v_lshlrev_b32_e32 v7, 2, v7
	ds_store_b32 v7, v13
; %bb.151:
	s_wait_alu 0xfffe
	s_or_b32 exec_lo, exec_lo, s0
	v_and_b32_e32 v7, 1, v8
	s_mov_b32 s0, exec_lo
	s_delay_alu instid0(VALU_DEP_1)
	v_cmpx_eq_u32_e32 1, v7
; %bb.152:
	v_sub_nc_u32_e32 v7, v25, v4
	s_delay_alu instid0(VALU_DEP_1)
	v_lshlrev_b32_e32 v7, 2, v7
	ds_store_b32 v7, v14
; %bb.153:
	s_wait_alu 0xfffe
	s_or_b32 exec_lo, exec_lo, s0
	v_and_b32_e32 v1, 1, v1
	s_mov_b32 s0, exec_lo
	s_delay_alu instid0(VALU_DEP_1)
	v_cmpx_eq_u32_e32 1, v1
; %bb.154:
	v_sub_nc_u32_e32 v1, v6, v4
	s_delay_alu instid0(VALU_DEP_1)
	v_lshlrev_b32_e32 v1, 2, v1
	ds_store_b32 v1, v11
; %bb.155:
	s_wait_alu 0xfffe
	s_or_b32 exec_lo, exec_lo, s0
	v_and_b32_e32 v1, 1, v38
	s_mov_b32 s0, exec_lo
	s_delay_alu instid0(VALU_DEP_1)
	v_cmpx_eq_u32_e32 1, v1
; %bb.156:
	v_sub_nc_u32_e32 v1, v23, v4
	s_delay_alu instid0(VALU_DEP_1)
	v_lshlrev_b32_e32 v1, 2, v1
	ds_store_b32 v1, v12
; %bb.157:
	s_wait_alu 0xfffe
	s_or_b32 exec_lo, exec_lo, s0
	v_mov_b32_e32 v1, 0
	s_mov_b32 s1, exec_lo
	s_wait_storecnt 0x0
	s_wait_loadcnt_dscnt 0x0
	s_barrier_signal -1
	s_barrier_wait -1
	global_inv scope:SCOPE_SE
	v_cmpx_gt_u64_e64 v[2:3], v[0:1]
	s_cbranch_execz .LBB1010_160
; %bb.158:
	v_lshlrev_b64_e32 v[6:7], 2, v[9:10]
	v_lshlrev_b64_e32 v[11:12], 2, v[4:5]
	s_mov_b32 s3, 0
	s_delay_alu instid0(VALU_DEP_2) | instskip(SKIP_1) | instid1(VALU_DEP_3)
	v_add_co_u32 v8, vcc_lo, s12, v6
	s_wait_alu 0xfffd
	v_add_co_ci_u32_e64 v13, null, s13, v7, vcc_lo
	v_dual_mov_b32 v7, v1 :: v_dual_mov_b32 v6, v0
	s_delay_alu instid0(VALU_DEP_3) | instskip(SKIP_1) | instid1(VALU_DEP_3)
	v_add_co_u32 v8, vcc_lo, v8, v11
	s_wait_alu 0xfffd
	v_add_co_ci_u32_e64 v11, null, v13, v12, vcc_lo
	v_add_nc_u32_e32 v0, 0xc0, v0
.LBB1010_159:                           ; =>This Inner Loop Header: Depth=1
	v_lshlrev_b32_e32 v12, 2, v6
	s_delay_alu instid0(VALU_DEP_2)
	v_cmp_le_u64_e32 vcc_lo, v[2:3], v[0:1]
	ds_load_b32 v14, v12
	v_lshlrev_b64_e32 v[12:13], 2, v[6:7]
	v_dual_mov_b32 v7, v1 :: v_dual_mov_b32 v6, v0
	v_add_nc_u32_e32 v0, 0xc0, v0
	s_wait_alu 0xfffe
	s_or_b32 s3, vcc_lo, s3
	s_delay_alu instid0(VALU_DEP_3)
	v_add_co_u32 v12, s0, v8, v12
	s_wait_alu 0xf1ff
	v_add_co_ci_u32_e64 v13, null, v11, v13, s0
	s_wait_dscnt 0x0
	global_store_b32 v[12:13], v14, off
	s_wait_alu 0xfffe
	s_and_not1_b32 exec_lo, exec_lo, s3
	s_cbranch_execnz .LBB1010_159
.LBB1010_160:
	s_wait_alu 0xfffe
	s_or_b32 exec_lo, exec_lo, s1
	s_and_b32 s0, s2, s18
	s_wait_alu 0xfffe
	s_and_saveexec_b32 s1, s0
	s_cbranch_execz .LBB1010_123
.LBB1010_161:
	v_add_co_u32 v0, vcc_lo, v4, v2
	s_wait_alu 0xfffd
	v_add_co_ci_u32_e64 v1, null, v5, v3, vcc_lo
	v_mov_b32_e32 v2, 0
	s_delay_alu instid0(VALU_DEP_3) | instskip(SKIP_1) | instid1(VALU_DEP_3)
	v_add_co_u32 v0, vcc_lo, v0, v9
	s_wait_alu 0xfffd
	v_add_co_ci_u32_e64 v1, null, v1, v10, vcc_lo
	global_store_b64 v2, v[0:1], s[4:5]
	s_endpgm
.LBB1010_162:
	v_add_co_u32 v13, s1, s10, v25
	s_wait_alu 0xf1ff
	v_add_co_ci_u32_e64 v14, null, s11, 0, s1
	flat_load_b32 v2, v[13:14] offset:768
	s_wait_alu 0xfffe
	s_or_b32 exec_lo, exec_lo, s0
	s_delay_alu instid0(SALU_CYCLE_1)
	s_mov_b32 s0, exec_lo
	v_cmpx_gt_u32_e64 s3, v24
	s_cbranch_execz .LBB1010_11
.LBB1010_163:
	v_add_co_u32 v13, s1, s10, v25
	s_wait_alu 0xf1ff
	v_add_co_ci_u32_e64 v14, null, s11, 0, s1
	flat_load_b32 v3, v[13:14] offset:1536
	s_wait_alu 0xfffe
	s_or_b32 exec_lo, exec_lo, s0
	s_delay_alu instid0(SALU_CYCLE_1)
	s_mov_b32 s0, exec_lo
	v_cmpx_gt_u32_e64 s3, v23
	s_cbranch_execz .LBB1010_12
.LBB1010_164:
	v_add_co_u32 v13, s1, s10, v25
	s_wait_alu 0xf1ff
	v_add_co_ci_u32_e64 v14, null, s11, 0, s1
	flat_load_b32 v4, v[13:14] offset:2304
	s_wait_alu 0xfffe
	s_or_b32 exec_lo, exec_lo, s0
	s_delay_alu instid0(SALU_CYCLE_1)
	s_mov_b32 s0, exec_lo
	v_cmpx_gt_u32_e64 s3, v22
	s_cbranch_execz .LBB1010_13
.LBB1010_165:
	v_add_co_u32 v13, s1, s10, v25
	s_wait_alu 0xf1ff
	v_add_co_ci_u32_e64 v14, null, s11, 0, s1
	flat_load_b32 v5, v[13:14] offset:3072
	s_wait_alu 0xfffe
	s_or_b32 exec_lo, exec_lo, s0
	s_delay_alu instid0(SALU_CYCLE_1)
	s_mov_b32 s0, exec_lo
	v_cmpx_gt_u32_e64 s3, v21
	s_cbranch_execz .LBB1010_14
.LBB1010_166:
	v_add_co_u32 v13, s1, s10, v25
	s_wait_alu 0xf1ff
	v_add_co_ci_u32_e64 v14, null, s11, 0, s1
	flat_load_b32 v6, v[13:14] offset:3840
	s_wait_alu 0xfffe
	s_or_b32 exec_lo, exec_lo, s0
	s_delay_alu instid0(SALU_CYCLE_1)
	s_mov_b32 s0, exec_lo
	v_cmpx_gt_u32_e64 s3, v20
	s_cbranch_execz .LBB1010_15
.LBB1010_167:
	v_add_co_u32 v13, s1, s10, v25
	s_wait_alu 0xf1ff
	v_add_co_ci_u32_e64 v14, null, s11, 0, s1
	flat_load_b32 v7, v[13:14] offset:4608
	s_wait_alu 0xfffe
	s_or_b32 exec_lo, exec_lo, s0
	s_delay_alu instid0(SALU_CYCLE_1)
	s_mov_b32 s0, exec_lo
	v_cmpx_gt_u32_e64 s3, v19
	s_cbranch_execnz .LBB1010_16
	s_branch .LBB1010_17
.LBB1010_168:
	global_load_b32 v6, v25, s[0:1] offset:768
	v_and_b32_e32 v7, 0xff, v2
	s_wait_loadcnt 0x0
	v_cmp_eq_u32_e32 vcc_lo, 0, v6
	s_wait_alu 0xfffd
	v_cndmask_b32_e64 v6, 0, 1, vcc_lo
	s_delay_alu instid0(VALU_DEP_1) | instskip(NEXT) | instid1(VALU_DEP_1)
	v_lshlrev_b16 v6, 8, v6
	v_or_b32_e32 v6, v7, v6
	s_delay_alu instid0(VALU_DEP_1) | instskip(NEXT) | instid1(VALU_DEP_1)
	v_and_b32_e32 v6, 0xffff, v6
	v_and_or_b32 v2, 0xffff0000, v2, v6
	s_wait_alu 0xfffe
	s_or_b32 exec_lo, exec_lo, s6
	s_delay_alu instid0(SALU_CYCLE_1)
	s_mov_b32 s6, exec_lo
	v_cmpx_gt_u32_e64 s3, v24
	s_cbranch_execz .LBB1010_25
.LBB1010_169:
	global_load_b32 v6, v25, s[0:1] offset:1536
	v_lshrrev_b32_e32 v7, 16, v2
	s_delay_alu instid0(VALU_DEP_1) | instskip(SKIP_4) | instid1(VALU_DEP_1)
	v_and_b32_e32 v7, 0xffffff00, v7
	s_wait_loadcnt 0x0
	v_cmp_eq_u32_e32 vcc_lo, 0, v6
	s_wait_alu 0xfffd
	v_cndmask_b32_e64 v6, 0, 1, vcc_lo
	v_or_b32_e32 v6, v6, v7
	s_delay_alu instid0(VALU_DEP_1) | instskip(NEXT) | instid1(VALU_DEP_1)
	v_lshlrev_b32_e32 v6, 16, v6
	v_and_or_b32 v2, 0xffff, v2, v6
	s_wait_alu 0xfffe
	s_or_b32 exec_lo, exec_lo, s6
	s_delay_alu instid0(SALU_CYCLE_1)
	s_mov_b32 s6, exec_lo
	v_cmpx_gt_u32_e64 s3, v23
	s_cbranch_execz .LBB1010_26
.LBB1010_170:
	global_load_b32 v6, v25, s[0:1] offset:2304
	v_lshrrev_b32_e32 v7, 16, v2
	s_delay_alu instid0(VALU_DEP_1) | instskip(SKIP_4) | instid1(VALU_DEP_1)
	v_and_b32_e32 v7, 0xff, v7
	s_wait_loadcnt 0x0
	v_cmp_eq_u32_e32 vcc_lo, 0, v6
	s_wait_alu 0xfffd
	v_cndmask_b32_e64 v6, 0, 1, vcc_lo
	v_lshlrev_b16 v6, 8, v6
	s_delay_alu instid0(VALU_DEP_1) | instskip(NEXT) | instid1(VALU_DEP_1)
	v_or_b32_e32 v6, v7, v6
	v_lshlrev_b32_e32 v6, 16, v6
	s_delay_alu instid0(VALU_DEP_1) | instskip(SKIP_2) | instid1(SALU_CYCLE_1)
	v_and_or_b32 v2, 0xffff, v2, v6
	s_wait_alu 0xfffe
	s_or_b32 exec_lo, exec_lo, s6
	s_mov_b32 s6, exec_lo
	v_cmpx_gt_u32_e64 s3, v22
	s_cbranch_execz .LBB1010_27
.LBB1010_171:
	global_load_b32 v6, v25, s[0:1] offset:3072
	v_and_b32_e32 v7, 0xffffff00, v3
	s_wait_loadcnt 0x0
	v_cmp_eq_u32_e32 vcc_lo, 0, v6
	s_wait_alu 0xfffd
	v_cndmask_b32_e64 v6, 0, 1, vcc_lo
	s_delay_alu instid0(VALU_DEP_1) | instskip(NEXT) | instid1(VALU_DEP_1)
	v_or_b32_e32 v6, v6, v7
	v_and_b32_e32 v6, 0xffff, v6
	s_delay_alu instid0(VALU_DEP_1) | instskip(SKIP_2) | instid1(SALU_CYCLE_1)
	v_and_or_b32 v3, 0xffff0000, v3, v6
	s_wait_alu 0xfffe
	s_or_b32 exec_lo, exec_lo, s6
	s_mov_b32 s6, exec_lo
	v_cmpx_gt_u32_e64 s3, v21
	s_cbranch_execz .LBB1010_28
.LBB1010_172:
	global_load_b32 v6, v25, s[0:1] offset:3840
	v_and_b32_e32 v7, 0xff, v3
	s_wait_loadcnt 0x0
	v_cmp_eq_u32_e32 vcc_lo, 0, v6
	s_wait_alu 0xfffd
	v_cndmask_b32_e64 v6, 0, 1, vcc_lo
	s_delay_alu instid0(VALU_DEP_1) | instskip(NEXT) | instid1(VALU_DEP_1)
	v_lshlrev_b16 v6, 8, v6
	v_or_b32_e32 v6, v7, v6
	s_delay_alu instid0(VALU_DEP_1) | instskip(NEXT) | instid1(VALU_DEP_1)
	v_and_b32_e32 v6, 0xffff, v6
	v_and_or_b32 v3, 0xffff0000, v3, v6
	s_wait_alu 0xfffe
	s_or_b32 exec_lo, exec_lo, s6
	s_delay_alu instid0(SALU_CYCLE_1)
	s_mov_b32 s6, exec_lo
	v_cmpx_gt_u32_e64 s3, v20
	s_cbranch_execz .LBB1010_29
.LBB1010_173:
	global_load_b32 v6, v25, s[0:1] offset:4608
	v_lshrrev_b32_e32 v7, 16, v3
	s_delay_alu instid0(VALU_DEP_1) | instskip(SKIP_4) | instid1(VALU_DEP_1)
	v_and_b32_e32 v7, 0xffffff00, v7
	s_wait_loadcnt 0x0
	v_cmp_eq_u32_e32 vcc_lo, 0, v6
	s_wait_alu 0xfffd
	v_cndmask_b32_e64 v6, 0, 1, vcc_lo
	v_or_b32_e32 v6, v6, v7
	s_delay_alu instid0(VALU_DEP_1) | instskip(NEXT) | instid1(VALU_DEP_1)
	v_lshlrev_b32_e32 v6, 16, v6
	v_and_or_b32 v3, 0xffff, v3, v6
	s_wait_alu 0xfffe
	s_or_b32 exec_lo, exec_lo, s6
	v_cmp_gt_u32_e32 vcc_lo, s3, v19
	s_and_saveexec_b32 s3, vcc_lo
	s_cbranch_execnz .LBB1010_30
	s_branch .LBB1010_31
	.section	.rodata,"a",@progbits
	.p2align	6, 0x0
	.amdhsa_kernel _ZN7rocprim17ROCPRIM_400000_NS6detail17trampoline_kernelINS0_14default_configENS1_25partition_config_selectorILNS1_17partition_subalgoE5EiNS0_10empty_typeEbEEZZNS1_14partition_implILS5_5ELb0ES3_mN6thrust23THRUST_200600_302600_NS6detail15normal_iteratorINSA_10device_ptrIiEEEEPS6_NSA_18transform_iteratorINSB_9not_fun_tINSA_8identityIiEEEESF_NSA_11use_defaultESM_EENS0_5tupleIJSF_S6_EEENSO_IJSG_SG_EEES6_PlJS6_EEE10hipError_tPvRmT3_T4_T5_T6_T7_T9_mT8_P12ihipStream_tbDpT10_ENKUlT_T0_E_clISt17integral_constantIbLb0EES1A_IbLb1EEEEDaS16_S17_EUlS16_E_NS1_11comp_targetILNS1_3genE10ELNS1_11target_archE1200ELNS1_3gpuE4ELNS1_3repE0EEENS1_30default_config_static_selectorELNS0_4arch9wavefront6targetE0EEEvT1_
		.amdhsa_group_segment_fixed_size 6352
		.amdhsa_private_segment_fixed_size 0
		.amdhsa_kernarg_size 136
		.amdhsa_user_sgpr_count 2
		.amdhsa_user_sgpr_dispatch_ptr 0
		.amdhsa_user_sgpr_queue_ptr 0
		.amdhsa_user_sgpr_kernarg_segment_ptr 1
		.amdhsa_user_sgpr_dispatch_id 0
		.amdhsa_user_sgpr_private_segment_size 0
		.amdhsa_wavefront_size32 1
		.amdhsa_uses_dynamic_stack 0
		.amdhsa_enable_private_segment 0
		.amdhsa_system_sgpr_workgroup_id_x 1
		.amdhsa_system_sgpr_workgroup_id_y 0
		.amdhsa_system_sgpr_workgroup_id_z 0
		.amdhsa_system_sgpr_workgroup_info 0
		.amdhsa_system_vgpr_workitem_id 0
		.amdhsa_next_free_vgpr 54
		.amdhsa_next_free_sgpr 24
		.amdhsa_reserve_vcc 1
		.amdhsa_float_round_mode_32 0
		.amdhsa_float_round_mode_16_64 0
		.amdhsa_float_denorm_mode_32 3
		.amdhsa_float_denorm_mode_16_64 3
		.amdhsa_fp16_overflow 0
		.amdhsa_workgroup_processor_mode 1
		.amdhsa_memory_ordered 1
		.amdhsa_forward_progress 1
		.amdhsa_inst_pref_size 75
		.amdhsa_round_robin_scheduling 0
		.amdhsa_exception_fp_ieee_invalid_op 0
		.amdhsa_exception_fp_denorm_src 0
		.amdhsa_exception_fp_ieee_div_zero 0
		.amdhsa_exception_fp_ieee_overflow 0
		.amdhsa_exception_fp_ieee_underflow 0
		.amdhsa_exception_fp_ieee_inexact 0
		.amdhsa_exception_int_div_zero 0
	.end_amdhsa_kernel
	.section	.text._ZN7rocprim17ROCPRIM_400000_NS6detail17trampoline_kernelINS0_14default_configENS1_25partition_config_selectorILNS1_17partition_subalgoE5EiNS0_10empty_typeEbEEZZNS1_14partition_implILS5_5ELb0ES3_mN6thrust23THRUST_200600_302600_NS6detail15normal_iteratorINSA_10device_ptrIiEEEEPS6_NSA_18transform_iteratorINSB_9not_fun_tINSA_8identityIiEEEESF_NSA_11use_defaultESM_EENS0_5tupleIJSF_S6_EEENSO_IJSG_SG_EEES6_PlJS6_EEE10hipError_tPvRmT3_T4_T5_T6_T7_T9_mT8_P12ihipStream_tbDpT10_ENKUlT_T0_E_clISt17integral_constantIbLb0EES1A_IbLb1EEEEDaS16_S17_EUlS16_E_NS1_11comp_targetILNS1_3genE10ELNS1_11target_archE1200ELNS1_3gpuE4ELNS1_3repE0EEENS1_30default_config_static_selectorELNS0_4arch9wavefront6targetE0EEEvT1_,"axG",@progbits,_ZN7rocprim17ROCPRIM_400000_NS6detail17trampoline_kernelINS0_14default_configENS1_25partition_config_selectorILNS1_17partition_subalgoE5EiNS0_10empty_typeEbEEZZNS1_14partition_implILS5_5ELb0ES3_mN6thrust23THRUST_200600_302600_NS6detail15normal_iteratorINSA_10device_ptrIiEEEEPS6_NSA_18transform_iteratorINSB_9not_fun_tINSA_8identityIiEEEESF_NSA_11use_defaultESM_EENS0_5tupleIJSF_S6_EEENSO_IJSG_SG_EEES6_PlJS6_EEE10hipError_tPvRmT3_T4_T5_T6_T7_T9_mT8_P12ihipStream_tbDpT10_ENKUlT_T0_E_clISt17integral_constantIbLb0EES1A_IbLb1EEEEDaS16_S17_EUlS16_E_NS1_11comp_targetILNS1_3genE10ELNS1_11target_archE1200ELNS1_3gpuE4ELNS1_3repE0EEENS1_30default_config_static_selectorELNS0_4arch9wavefront6targetE0EEEvT1_,comdat
.Lfunc_end1010:
	.size	_ZN7rocprim17ROCPRIM_400000_NS6detail17trampoline_kernelINS0_14default_configENS1_25partition_config_selectorILNS1_17partition_subalgoE5EiNS0_10empty_typeEbEEZZNS1_14partition_implILS5_5ELb0ES3_mN6thrust23THRUST_200600_302600_NS6detail15normal_iteratorINSA_10device_ptrIiEEEEPS6_NSA_18transform_iteratorINSB_9not_fun_tINSA_8identityIiEEEESF_NSA_11use_defaultESM_EENS0_5tupleIJSF_S6_EEENSO_IJSG_SG_EEES6_PlJS6_EEE10hipError_tPvRmT3_T4_T5_T6_T7_T9_mT8_P12ihipStream_tbDpT10_ENKUlT_T0_E_clISt17integral_constantIbLb0EES1A_IbLb1EEEEDaS16_S17_EUlS16_E_NS1_11comp_targetILNS1_3genE10ELNS1_11target_archE1200ELNS1_3gpuE4ELNS1_3repE0EEENS1_30default_config_static_selectorELNS0_4arch9wavefront6targetE0EEEvT1_, .Lfunc_end1010-_ZN7rocprim17ROCPRIM_400000_NS6detail17trampoline_kernelINS0_14default_configENS1_25partition_config_selectorILNS1_17partition_subalgoE5EiNS0_10empty_typeEbEEZZNS1_14partition_implILS5_5ELb0ES3_mN6thrust23THRUST_200600_302600_NS6detail15normal_iteratorINSA_10device_ptrIiEEEEPS6_NSA_18transform_iteratorINSB_9not_fun_tINSA_8identityIiEEEESF_NSA_11use_defaultESM_EENS0_5tupleIJSF_S6_EEENSO_IJSG_SG_EEES6_PlJS6_EEE10hipError_tPvRmT3_T4_T5_T6_T7_T9_mT8_P12ihipStream_tbDpT10_ENKUlT_T0_E_clISt17integral_constantIbLb0EES1A_IbLb1EEEEDaS16_S17_EUlS16_E_NS1_11comp_targetILNS1_3genE10ELNS1_11target_archE1200ELNS1_3gpuE4ELNS1_3repE0EEENS1_30default_config_static_selectorELNS0_4arch9wavefront6targetE0EEEvT1_
                                        ; -- End function
	.set _ZN7rocprim17ROCPRIM_400000_NS6detail17trampoline_kernelINS0_14default_configENS1_25partition_config_selectorILNS1_17partition_subalgoE5EiNS0_10empty_typeEbEEZZNS1_14partition_implILS5_5ELb0ES3_mN6thrust23THRUST_200600_302600_NS6detail15normal_iteratorINSA_10device_ptrIiEEEEPS6_NSA_18transform_iteratorINSB_9not_fun_tINSA_8identityIiEEEESF_NSA_11use_defaultESM_EENS0_5tupleIJSF_S6_EEENSO_IJSG_SG_EEES6_PlJS6_EEE10hipError_tPvRmT3_T4_T5_T6_T7_T9_mT8_P12ihipStream_tbDpT10_ENKUlT_T0_E_clISt17integral_constantIbLb0EES1A_IbLb1EEEEDaS16_S17_EUlS16_E_NS1_11comp_targetILNS1_3genE10ELNS1_11target_archE1200ELNS1_3gpuE4ELNS1_3repE0EEENS1_30default_config_static_selectorELNS0_4arch9wavefront6targetE0EEEvT1_.num_vgpr, 54
	.set _ZN7rocprim17ROCPRIM_400000_NS6detail17trampoline_kernelINS0_14default_configENS1_25partition_config_selectorILNS1_17partition_subalgoE5EiNS0_10empty_typeEbEEZZNS1_14partition_implILS5_5ELb0ES3_mN6thrust23THRUST_200600_302600_NS6detail15normal_iteratorINSA_10device_ptrIiEEEEPS6_NSA_18transform_iteratorINSB_9not_fun_tINSA_8identityIiEEEESF_NSA_11use_defaultESM_EENS0_5tupleIJSF_S6_EEENSO_IJSG_SG_EEES6_PlJS6_EEE10hipError_tPvRmT3_T4_T5_T6_T7_T9_mT8_P12ihipStream_tbDpT10_ENKUlT_T0_E_clISt17integral_constantIbLb0EES1A_IbLb1EEEEDaS16_S17_EUlS16_E_NS1_11comp_targetILNS1_3genE10ELNS1_11target_archE1200ELNS1_3gpuE4ELNS1_3repE0EEENS1_30default_config_static_selectorELNS0_4arch9wavefront6targetE0EEEvT1_.num_agpr, 0
	.set _ZN7rocprim17ROCPRIM_400000_NS6detail17trampoline_kernelINS0_14default_configENS1_25partition_config_selectorILNS1_17partition_subalgoE5EiNS0_10empty_typeEbEEZZNS1_14partition_implILS5_5ELb0ES3_mN6thrust23THRUST_200600_302600_NS6detail15normal_iteratorINSA_10device_ptrIiEEEEPS6_NSA_18transform_iteratorINSB_9not_fun_tINSA_8identityIiEEEESF_NSA_11use_defaultESM_EENS0_5tupleIJSF_S6_EEENSO_IJSG_SG_EEES6_PlJS6_EEE10hipError_tPvRmT3_T4_T5_T6_T7_T9_mT8_P12ihipStream_tbDpT10_ENKUlT_T0_E_clISt17integral_constantIbLb0EES1A_IbLb1EEEEDaS16_S17_EUlS16_E_NS1_11comp_targetILNS1_3genE10ELNS1_11target_archE1200ELNS1_3gpuE4ELNS1_3repE0EEENS1_30default_config_static_selectorELNS0_4arch9wavefront6targetE0EEEvT1_.numbered_sgpr, 24
	.set _ZN7rocprim17ROCPRIM_400000_NS6detail17trampoline_kernelINS0_14default_configENS1_25partition_config_selectorILNS1_17partition_subalgoE5EiNS0_10empty_typeEbEEZZNS1_14partition_implILS5_5ELb0ES3_mN6thrust23THRUST_200600_302600_NS6detail15normal_iteratorINSA_10device_ptrIiEEEEPS6_NSA_18transform_iteratorINSB_9not_fun_tINSA_8identityIiEEEESF_NSA_11use_defaultESM_EENS0_5tupleIJSF_S6_EEENSO_IJSG_SG_EEES6_PlJS6_EEE10hipError_tPvRmT3_T4_T5_T6_T7_T9_mT8_P12ihipStream_tbDpT10_ENKUlT_T0_E_clISt17integral_constantIbLb0EES1A_IbLb1EEEEDaS16_S17_EUlS16_E_NS1_11comp_targetILNS1_3genE10ELNS1_11target_archE1200ELNS1_3gpuE4ELNS1_3repE0EEENS1_30default_config_static_selectorELNS0_4arch9wavefront6targetE0EEEvT1_.num_named_barrier, 0
	.set _ZN7rocprim17ROCPRIM_400000_NS6detail17trampoline_kernelINS0_14default_configENS1_25partition_config_selectorILNS1_17partition_subalgoE5EiNS0_10empty_typeEbEEZZNS1_14partition_implILS5_5ELb0ES3_mN6thrust23THRUST_200600_302600_NS6detail15normal_iteratorINSA_10device_ptrIiEEEEPS6_NSA_18transform_iteratorINSB_9not_fun_tINSA_8identityIiEEEESF_NSA_11use_defaultESM_EENS0_5tupleIJSF_S6_EEENSO_IJSG_SG_EEES6_PlJS6_EEE10hipError_tPvRmT3_T4_T5_T6_T7_T9_mT8_P12ihipStream_tbDpT10_ENKUlT_T0_E_clISt17integral_constantIbLb0EES1A_IbLb1EEEEDaS16_S17_EUlS16_E_NS1_11comp_targetILNS1_3genE10ELNS1_11target_archE1200ELNS1_3gpuE4ELNS1_3repE0EEENS1_30default_config_static_selectorELNS0_4arch9wavefront6targetE0EEEvT1_.private_seg_size, 0
	.set _ZN7rocprim17ROCPRIM_400000_NS6detail17trampoline_kernelINS0_14default_configENS1_25partition_config_selectorILNS1_17partition_subalgoE5EiNS0_10empty_typeEbEEZZNS1_14partition_implILS5_5ELb0ES3_mN6thrust23THRUST_200600_302600_NS6detail15normal_iteratorINSA_10device_ptrIiEEEEPS6_NSA_18transform_iteratorINSB_9not_fun_tINSA_8identityIiEEEESF_NSA_11use_defaultESM_EENS0_5tupleIJSF_S6_EEENSO_IJSG_SG_EEES6_PlJS6_EEE10hipError_tPvRmT3_T4_T5_T6_T7_T9_mT8_P12ihipStream_tbDpT10_ENKUlT_T0_E_clISt17integral_constantIbLb0EES1A_IbLb1EEEEDaS16_S17_EUlS16_E_NS1_11comp_targetILNS1_3genE10ELNS1_11target_archE1200ELNS1_3gpuE4ELNS1_3repE0EEENS1_30default_config_static_selectorELNS0_4arch9wavefront6targetE0EEEvT1_.uses_vcc, 1
	.set _ZN7rocprim17ROCPRIM_400000_NS6detail17trampoline_kernelINS0_14default_configENS1_25partition_config_selectorILNS1_17partition_subalgoE5EiNS0_10empty_typeEbEEZZNS1_14partition_implILS5_5ELb0ES3_mN6thrust23THRUST_200600_302600_NS6detail15normal_iteratorINSA_10device_ptrIiEEEEPS6_NSA_18transform_iteratorINSB_9not_fun_tINSA_8identityIiEEEESF_NSA_11use_defaultESM_EENS0_5tupleIJSF_S6_EEENSO_IJSG_SG_EEES6_PlJS6_EEE10hipError_tPvRmT3_T4_T5_T6_T7_T9_mT8_P12ihipStream_tbDpT10_ENKUlT_T0_E_clISt17integral_constantIbLb0EES1A_IbLb1EEEEDaS16_S17_EUlS16_E_NS1_11comp_targetILNS1_3genE10ELNS1_11target_archE1200ELNS1_3gpuE4ELNS1_3repE0EEENS1_30default_config_static_selectorELNS0_4arch9wavefront6targetE0EEEvT1_.uses_flat_scratch, 1
	.set _ZN7rocprim17ROCPRIM_400000_NS6detail17trampoline_kernelINS0_14default_configENS1_25partition_config_selectorILNS1_17partition_subalgoE5EiNS0_10empty_typeEbEEZZNS1_14partition_implILS5_5ELb0ES3_mN6thrust23THRUST_200600_302600_NS6detail15normal_iteratorINSA_10device_ptrIiEEEEPS6_NSA_18transform_iteratorINSB_9not_fun_tINSA_8identityIiEEEESF_NSA_11use_defaultESM_EENS0_5tupleIJSF_S6_EEENSO_IJSG_SG_EEES6_PlJS6_EEE10hipError_tPvRmT3_T4_T5_T6_T7_T9_mT8_P12ihipStream_tbDpT10_ENKUlT_T0_E_clISt17integral_constantIbLb0EES1A_IbLb1EEEEDaS16_S17_EUlS16_E_NS1_11comp_targetILNS1_3genE10ELNS1_11target_archE1200ELNS1_3gpuE4ELNS1_3repE0EEENS1_30default_config_static_selectorELNS0_4arch9wavefront6targetE0EEEvT1_.has_dyn_sized_stack, 0
	.set _ZN7rocprim17ROCPRIM_400000_NS6detail17trampoline_kernelINS0_14default_configENS1_25partition_config_selectorILNS1_17partition_subalgoE5EiNS0_10empty_typeEbEEZZNS1_14partition_implILS5_5ELb0ES3_mN6thrust23THRUST_200600_302600_NS6detail15normal_iteratorINSA_10device_ptrIiEEEEPS6_NSA_18transform_iteratorINSB_9not_fun_tINSA_8identityIiEEEESF_NSA_11use_defaultESM_EENS0_5tupleIJSF_S6_EEENSO_IJSG_SG_EEES6_PlJS6_EEE10hipError_tPvRmT3_T4_T5_T6_T7_T9_mT8_P12ihipStream_tbDpT10_ENKUlT_T0_E_clISt17integral_constantIbLb0EES1A_IbLb1EEEEDaS16_S17_EUlS16_E_NS1_11comp_targetILNS1_3genE10ELNS1_11target_archE1200ELNS1_3gpuE4ELNS1_3repE0EEENS1_30default_config_static_selectorELNS0_4arch9wavefront6targetE0EEEvT1_.has_recursion, 0
	.set _ZN7rocprim17ROCPRIM_400000_NS6detail17trampoline_kernelINS0_14default_configENS1_25partition_config_selectorILNS1_17partition_subalgoE5EiNS0_10empty_typeEbEEZZNS1_14partition_implILS5_5ELb0ES3_mN6thrust23THRUST_200600_302600_NS6detail15normal_iteratorINSA_10device_ptrIiEEEEPS6_NSA_18transform_iteratorINSB_9not_fun_tINSA_8identityIiEEEESF_NSA_11use_defaultESM_EENS0_5tupleIJSF_S6_EEENSO_IJSG_SG_EEES6_PlJS6_EEE10hipError_tPvRmT3_T4_T5_T6_T7_T9_mT8_P12ihipStream_tbDpT10_ENKUlT_T0_E_clISt17integral_constantIbLb0EES1A_IbLb1EEEEDaS16_S17_EUlS16_E_NS1_11comp_targetILNS1_3genE10ELNS1_11target_archE1200ELNS1_3gpuE4ELNS1_3repE0EEENS1_30default_config_static_selectorELNS0_4arch9wavefront6targetE0EEEvT1_.has_indirect_call, 0
	.section	.AMDGPU.csdata,"",@progbits
; Kernel info:
; codeLenInByte = 9576
; TotalNumSgprs: 26
; NumVgprs: 54
; ScratchSize: 0
; MemoryBound: 0
; FloatMode: 240
; IeeeMode: 1
; LDSByteSize: 6352 bytes/workgroup (compile time only)
; SGPRBlocks: 0
; VGPRBlocks: 6
; NumSGPRsForWavesPerEU: 26
; NumVGPRsForWavesPerEU: 54
; Occupancy: 15
; WaveLimiterHint : 1
; COMPUTE_PGM_RSRC2:SCRATCH_EN: 0
; COMPUTE_PGM_RSRC2:USER_SGPR: 2
; COMPUTE_PGM_RSRC2:TRAP_HANDLER: 0
; COMPUTE_PGM_RSRC2:TGID_X_EN: 1
; COMPUTE_PGM_RSRC2:TGID_Y_EN: 0
; COMPUTE_PGM_RSRC2:TGID_Z_EN: 0
; COMPUTE_PGM_RSRC2:TIDIG_COMP_CNT: 0
	.section	.text._ZN7rocprim17ROCPRIM_400000_NS6detail17trampoline_kernelINS0_14default_configENS1_25partition_config_selectorILNS1_17partition_subalgoE5EiNS0_10empty_typeEbEEZZNS1_14partition_implILS5_5ELb0ES3_mN6thrust23THRUST_200600_302600_NS6detail15normal_iteratorINSA_10device_ptrIiEEEEPS6_NSA_18transform_iteratorINSB_9not_fun_tINSA_8identityIiEEEESF_NSA_11use_defaultESM_EENS0_5tupleIJSF_S6_EEENSO_IJSG_SG_EEES6_PlJS6_EEE10hipError_tPvRmT3_T4_T5_T6_T7_T9_mT8_P12ihipStream_tbDpT10_ENKUlT_T0_E_clISt17integral_constantIbLb0EES1A_IbLb1EEEEDaS16_S17_EUlS16_E_NS1_11comp_targetILNS1_3genE9ELNS1_11target_archE1100ELNS1_3gpuE3ELNS1_3repE0EEENS1_30default_config_static_selectorELNS0_4arch9wavefront6targetE0EEEvT1_,"axG",@progbits,_ZN7rocprim17ROCPRIM_400000_NS6detail17trampoline_kernelINS0_14default_configENS1_25partition_config_selectorILNS1_17partition_subalgoE5EiNS0_10empty_typeEbEEZZNS1_14partition_implILS5_5ELb0ES3_mN6thrust23THRUST_200600_302600_NS6detail15normal_iteratorINSA_10device_ptrIiEEEEPS6_NSA_18transform_iteratorINSB_9not_fun_tINSA_8identityIiEEEESF_NSA_11use_defaultESM_EENS0_5tupleIJSF_S6_EEENSO_IJSG_SG_EEES6_PlJS6_EEE10hipError_tPvRmT3_T4_T5_T6_T7_T9_mT8_P12ihipStream_tbDpT10_ENKUlT_T0_E_clISt17integral_constantIbLb0EES1A_IbLb1EEEEDaS16_S17_EUlS16_E_NS1_11comp_targetILNS1_3genE9ELNS1_11target_archE1100ELNS1_3gpuE3ELNS1_3repE0EEENS1_30default_config_static_selectorELNS0_4arch9wavefront6targetE0EEEvT1_,comdat
	.protected	_ZN7rocprim17ROCPRIM_400000_NS6detail17trampoline_kernelINS0_14default_configENS1_25partition_config_selectorILNS1_17partition_subalgoE5EiNS0_10empty_typeEbEEZZNS1_14partition_implILS5_5ELb0ES3_mN6thrust23THRUST_200600_302600_NS6detail15normal_iteratorINSA_10device_ptrIiEEEEPS6_NSA_18transform_iteratorINSB_9not_fun_tINSA_8identityIiEEEESF_NSA_11use_defaultESM_EENS0_5tupleIJSF_S6_EEENSO_IJSG_SG_EEES6_PlJS6_EEE10hipError_tPvRmT3_T4_T5_T6_T7_T9_mT8_P12ihipStream_tbDpT10_ENKUlT_T0_E_clISt17integral_constantIbLb0EES1A_IbLb1EEEEDaS16_S17_EUlS16_E_NS1_11comp_targetILNS1_3genE9ELNS1_11target_archE1100ELNS1_3gpuE3ELNS1_3repE0EEENS1_30default_config_static_selectorELNS0_4arch9wavefront6targetE0EEEvT1_ ; -- Begin function _ZN7rocprim17ROCPRIM_400000_NS6detail17trampoline_kernelINS0_14default_configENS1_25partition_config_selectorILNS1_17partition_subalgoE5EiNS0_10empty_typeEbEEZZNS1_14partition_implILS5_5ELb0ES3_mN6thrust23THRUST_200600_302600_NS6detail15normal_iteratorINSA_10device_ptrIiEEEEPS6_NSA_18transform_iteratorINSB_9not_fun_tINSA_8identityIiEEEESF_NSA_11use_defaultESM_EENS0_5tupleIJSF_S6_EEENSO_IJSG_SG_EEES6_PlJS6_EEE10hipError_tPvRmT3_T4_T5_T6_T7_T9_mT8_P12ihipStream_tbDpT10_ENKUlT_T0_E_clISt17integral_constantIbLb0EES1A_IbLb1EEEEDaS16_S17_EUlS16_E_NS1_11comp_targetILNS1_3genE9ELNS1_11target_archE1100ELNS1_3gpuE3ELNS1_3repE0EEENS1_30default_config_static_selectorELNS0_4arch9wavefront6targetE0EEEvT1_
	.globl	_ZN7rocprim17ROCPRIM_400000_NS6detail17trampoline_kernelINS0_14default_configENS1_25partition_config_selectorILNS1_17partition_subalgoE5EiNS0_10empty_typeEbEEZZNS1_14partition_implILS5_5ELb0ES3_mN6thrust23THRUST_200600_302600_NS6detail15normal_iteratorINSA_10device_ptrIiEEEEPS6_NSA_18transform_iteratorINSB_9not_fun_tINSA_8identityIiEEEESF_NSA_11use_defaultESM_EENS0_5tupleIJSF_S6_EEENSO_IJSG_SG_EEES6_PlJS6_EEE10hipError_tPvRmT3_T4_T5_T6_T7_T9_mT8_P12ihipStream_tbDpT10_ENKUlT_T0_E_clISt17integral_constantIbLb0EES1A_IbLb1EEEEDaS16_S17_EUlS16_E_NS1_11comp_targetILNS1_3genE9ELNS1_11target_archE1100ELNS1_3gpuE3ELNS1_3repE0EEENS1_30default_config_static_selectorELNS0_4arch9wavefront6targetE0EEEvT1_
	.p2align	8
	.type	_ZN7rocprim17ROCPRIM_400000_NS6detail17trampoline_kernelINS0_14default_configENS1_25partition_config_selectorILNS1_17partition_subalgoE5EiNS0_10empty_typeEbEEZZNS1_14partition_implILS5_5ELb0ES3_mN6thrust23THRUST_200600_302600_NS6detail15normal_iteratorINSA_10device_ptrIiEEEEPS6_NSA_18transform_iteratorINSB_9not_fun_tINSA_8identityIiEEEESF_NSA_11use_defaultESM_EENS0_5tupleIJSF_S6_EEENSO_IJSG_SG_EEES6_PlJS6_EEE10hipError_tPvRmT3_T4_T5_T6_T7_T9_mT8_P12ihipStream_tbDpT10_ENKUlT_T0_E_clISt17integral_constantIbLb0EES1A_IbLb1EEEEDaS16_S17_EUlS16_E_NS1_11comp_targetILNS1_3genE9ELNS1_11target_archE1100ELNS1_3gpuE3ELNS1_3repE0EEENS1_30default_config_static_selectorELNS0_4arch9wavefront6targetE0EEEvT1_,@function
_ZN7rocprim17ROCPRIM_400000_NS6detail17trampoline_kernelINS0_14default_configENS1_25partition_config_selectorILNS1_17partition_subalgoE5EiNS0_10empty_typeEbEEZZNS1_14partition_implILS5_5ELb0ES3_mN6thrust23THRUST_200600_302600_NS6detail15normal_iteratorINSA_10device_ptrIiEEEEPS6_NSA_18transform_iteratorINSB_9not_fun_tINSA_8identityIiEEEESF_NSA_11use_defaultESM_EENS0_5tupleIJSF_S6_EEENSO_IJSG_SG_EEES6_PlJS6_EEE10hipError_tPvRmT3_T4_T5_T6_T7_T9_mT8_P12ihipStream_tbDpT10_ENKUlT_T0_E_clISt17integral_constantIbLb0EES1A_IbLb1EEEEDaS16_S17_EUlS16_E_NS1_11comp_targetILNS1_3genE9ELNS1_11target_archE1100ELNS1_3gpuE3ELNS1_3repE0EEENS1_30default_config_static_selectorELNS0_4arch9wavefront6targetE0EEEvT1_: ; @_ZN7rocprim17ROCPRIM_400000_NS6detail17trampoline_kernelINS0_14default_configENS1_25partition_config_selectorILNS1_17partition_subalgoE5EiNS0_10empty_typeEbEEZZNS1_14partition_implILS5_5ELb0ES3_mN6thrust23THRUST_200600_302600_NS6detail15normal_iteratorINSA_10device_ptrIiEEEEPS6_NSA_18transform_iteratorINSB_9not_fun_tINSA_8identityIiEEEESF_NSA_11use_defaultESM_EENS0_5tupleIJSF_S6_EEENSO_IJSG_SG_EEES6_PlJS6_EEE10hipError_tPvRmT3_T4_T5_T6_T7_T9_mT8_P12ihipStream_tbDpT10_ENKUlT_T0_E_clISt17integral_constantIbLb0EES1A_IbLb1EEEEDaS16_S17_EUlS16_E_NS1_11comp_targetILNS1_3genE9ELNS1_11target_archE1100ELNS1_3gpuE3ELNS1_3repE0EEENS1_30default_config_static_selectorELNS0_4arch9wavefront6targetE0EEEvT1_
; %bb.0:
	.section	.rodata,"a",@progbits
	.p2align	6, 0x0
	.amdhsa_kernel _ZN7rocprim17ROCPRIM_400000_NS6detail17trampoline_kernelINS0_14default_configENS1_25partition_config_selectorILNS1_17partition_subalgoE5EiNS0_10empty_typeEbEEZZNS1_14partition_implILS5_5ELb0ES3_mN6thrust23THRUST_200600_302600_NS6detail15normal_iteratorINSA_10device_ptrIiEEEEPS6_NSA_18transform_iteratorINSB_9not_fun_tINSA_8identityIiEEEESF_NSA_11use_defaultESM_EENS0_5tupleIJSF_S6_EEENSO_IJSG_SG_EEES6_PlJS6_EEE10hipError_tPvRmT3_T4_T5_T6_T7_T9_mT8_P12ihipStream_tbDpT10_ENKUlT_T0_E_clISt17integral_constantIbLb0EES1A_IbLb1EEEEDaS16_S17_EUlS16_E_NS1_11comp_targetILNS1_3genE9ELNS1_11target_archE1100ELNS1_3gpuE3ELNS1_3repE0EEENS1_30default_config_static_selectorELNS0_4arch9wavefront6targetE0EEEvT1_
		.amdhsa_group_segment_fixed_size 0
		.amdhsa_private_segment_fixed_size 0
		.amdhsa_kernarg_size 136
		.amdhsa_user_sgpr_count 2
		.amdhsa_user_sgpr_dispatch_ptr 0
		.amdhsa_user_sgpr_queue_ptr 0
		.amdhsa_user_sgpr_kernarg_segment_ptr 1
		.amdhsa_user_sgpr_dispatch_id 0
		.amdhsa_user_sgpr_private_segment_size 0
		.amdhsa_wavefront_size32 1
		.amdhsa_uses_dynamic_stack 0
		.amdhsa_enable_private_segment 0
		.amdhsa_system_sgpr_workgroup_id_x 1
		.amdhsa_system_sgpr_workgroup_id_y 0
		.amdhsa_system_sgpr_workgroup_id_z 0
		.amdhsa_system_sgpr_workgroup_info 0
		.amdhsa_system_vgpr_workitem_id 0
		.amdhsa_next_free_vgpr 1
		.amdhsa_next_free_sgpr 1
		.amdhsa_reserve_vcc 0
		.amdhsa_float_round_mode_32 0
		.amdhsa_float_round_mode_16_64 0
		.amdhsa_float_denorm_mode_32 3
		.amdhsa_float_denorm_mode_16_64 3
		.amdhsa_fp16_overflow 0
		.amdhsa_workgroup_processor_mode 1
		.amdhsa_memory_ordered 1
		.amdhsa_forward_progress 1
		.amdhsa_inst_pref_size 0
		.amdhsa_round_robin_scheduling 0
		.amdhsa_exception_fp_ieee_invalid_op 0
		.amdhsa_exception_fp_denorm_src 0
		.amdhsa_exception_fp_ieee_div_zero 0
		.amdhsa_exception_fp_ieee_overflow 0
		.amdhsa_exception_fp_ieee_underflow 0
		.amdhsa_exception_fp_ieee_inexact 0
		.amdhsa_exception_int_div_zero 0
	.end_amdhsa_kernel
	.section	.text._ZN7rocprim17ROCPRIM_400000_NS6detail17trampoline_kernelINS0_14default_configENS1_25partition_config_selectorILNS1_17partition_subalgoE5EiNS0_10empty_typeEbEEZZNS1_14partition_implILS5_5ELb0ES3_mN6thrust23THRUST_200600_302600_NS6detail15normal_iteratorINSA_10device_ptrIiEEEEPS6_NSA_18transform_iteratorINSB_9not_fun_tINSA_8identityIiEEEESF_NSA_11use_defaultESM_EENS0_5tupleIJSF_S6_EEENSO_IJSG_SG_EEES6_PlJS6_EEE10hipError_tPvRmT3_T4_T5_T6_T7_T9_mT8_P12ihipStream_tbDpT10_ENKUlT_T0_E_clISt17integral_constantIbLb0EES1A_IbLb1EEEEDaS16_S17_EUlS16_E_NS1_11comp_targetILNS1_3genE9ELNS1_11target_archE1100ELNS1_3gpuE3ELNS1_3repE0EEENS1_30default_config_static_selectorELNS0_4arch9wavefront6targetE0EEEvT1_,"axG",@progbits,_ZN7rocprim17ROCPRIM_400000_NS6detail17trampoline_kernelINS0_14default_configENS1_25partition_config_selectorILNS1_17partition_subalgoE5EiNS0_10empty_typeEbEEZZNS1_14partition_implILS5_5ELb0ES3_mN6thrust23THRUST_200600_302600_NS6detail15normal_iteratorINSA_10device_ptrIiEEEEPS6_NSA_18transform_iteratorINSB_9not_fun_tINSA_8identityIiEEEESF_NSA_11use_defaultESM_EENS0_5tupleIJSF_S6_EEENSO_IJSG_SG_EEES6_PlJS6_EEE10hipError_tPvRmT3_T4_T5_T6_T7_T9_mT8_P12ihipStream_tbDpT10_ENKUlT_T0_E_clISt17integral_constantIbLb0EES1A_IbLb1EEEEDaS16_S17_EUlS16_E_NS1_11comp_targetILNS1_3genE9ELNS1_11target_archE1100ELNS1_3gpuE3ELNS1_3repE0EEENS1_30default_config_static_selectorELNS0_4arch9wavefront6targetE0EEEvT1_,comdat
.Lfunc_end1011:
	.size	_ZN7rocprim17ROCPRIM_400000_NS6detail17trampoline_kernelINS0_14default_configENS1_25partition_config_selectorILNS1_17partition_subalgoE5EiNS0_10empty_typeEbEEZZNS1_14partition_implILS5_5ELb0ES3_mN6thrust23THRUST_200600_302600_NS6detail15normal_iteratorINSA_10device_ptrIiEEEEPS6_NSA_18transform_iteratorINSB_9not_fun_tINSA_8identityIiEEEESF_NSA_11use_defaultESM_EENS0_5tupleIJSF_S6_EEENSO_IJSG_SG_EEES6_PlJS6_EEE10hipError_tPvRmT3_T4_T5_T6_T7_T9_mT8_P12ihipStream_tbDpT10_ENKUlT_T0_E_clISt17integral_constantIbLb0EES1A_IbLb1EEEEDaS16_S17_EUlS16_E_NS1_11comp_targetILNS1_3genE9ELNS1_11target_archE1100ELNS1_3gpuE3ELNS1_3repE0EEENS1_30default_config_static_selectorELNS0_4arch9wavefront6targetE0EEEvT1_, .Lfunc_end1011-_ZN7rocprim17ROCPRIM_400000_NS6detail17trampoline_kernelINS0_14default_configENS1_25partition_config_selectorILNS1_17partition_subalgoE5EiNS0_10empty_typeEbEEZZNS1_14partition_implILS5_5ELb0ES3_mN6thrust23THRUST_200600_302600_NS6detail15normal_iteratorINSA_10device_ptrIiEEEEPS6_NSA_18transform_iteratorINSB_9not_fun_tINSA_8identityIiEEEESF_NSA_11use_defaultESM_EENS0_5tupleIJSF_S6_EEENSO_IJSG_SG_EEES6_PlJS6_EEE10hipError_tPvRmT3_T4_T5_T6_T7_T9_mT8_P12ihipStream_tbDpT10_ENKUlT_T0_E_clISt17integral_constantIbLb0EES1A_IbLb1EEEEDaS16_S17_EUlS16_E_NS1_11comp_targetILNS1_3genE9ELNS1_11target_archE1100ELNS1_3gpuE3ELNS1_3repE0EEENS1_30default_config_static_selectorELNS0_4arch9wavefront6targetE0EEEvT1_
                                        ; -- End function
	.set _ZN7rocprim17ROCPRIM_400000_NS6detail17trampoline_kernelINS0_14default_configENS1_25partition_config_selectorILNS1_17partition_subalgoE5EiNS0_10empty_typeEbEEZZNS1_14partition_implILS5_5ELb0ES3_mN6thrust23THRUST_200600_302600_NS6detail15normal_iteratorINSA_10device_ptrIiEEEEPS6_NSA_18transform_iteratorINSB_9not_fun_tINSA_8identityIiEEEESF_NSA_11use_defaultESM_EENS0_5tupleIJSF_S6_EEENSO_IJSG_SG_EEES6_PlJS6_EEE10hipError_tPvRmT3_T4_T5_T6_T7_T9_mT8_P12ihipStream_tbDpT10_ENKUlT_T0_E_clISt17integral_constantIbLb0EES1A_IbLb1EEEEDaS16_S17_EUlS16_E_NS1_11comp_targetILNS1_3genE9ELNS1_11target_archE1100ELNS1_3gpuE3ELNS1_3repE0EEENS1_30default_config_static_selectorELNS0_4arch9wavefront6targetE0EEEvT1_.num_vgpr, 0
	.set _ZN7rocprim17ROCPRIM_400000_NS6detail17trampoline_kernelINS0_14default_configENS1_25partition_config_selectorILNS1_17partition_subalgoE5EiNS0_10empty_typeEbEEZZNS1_14partition_implILS5_5ELb0ES3_mN6thrust23THRUST_200600_302600_NS6detail15normal_iteratorINSA_10device_ptrIiEEEEPS6_NSA_18transform_iteratorINSB_9not_fun_tINSA_8identityIiEEEESF_NSA_11use_defaultESM_EENS0_5tupleIJSF_S6_EEENSO_IJSG_SG_EEES6_PlJS6_EEE10hipError_tPvRmT3_T4_T5_T6_T7_T9_mT8_P12ihipStream_tbDpT10_ENKUlT_T0_E_clISt17integral_constantIbLb0EES1A_IbLb1EEEEDaS16_S17_EUlS16_E_NS1_11comp_targetILNS1_3genE9ELNS1_11target_archE1100ELNS1_3gpuE3ELNS1_3repE0EEENS1_30default_config_static_selectorELNS0_4arch9wavefront6targetE0EEEvT1_.num_agpr, 0
	.set _ZN7rocprim17ROCPRIM_400000_NS6detail17trampoline_kernelINS0_14default_configENS1_25partition_config_selectorILNS1_17partition_subalgoE5EiNS0_10empty_typeEbEEZZNS1_14partition_implILS5_5ELb0ES3_mN6thrust23THRUST_200600_302600_NS6detail15normal_iteratorINSA_10device_ptrIiEEEEPS6_NSA_18transform_iteratorINSB_9not_fun_tINSA_8identityIiEEEESF_NSA_11use_defaultESM_EENS0_5tupleIJSF_S6_EEENSO_IJSG_SG_EEES6_PlJS6_EEE10hipError_tPvRmT3_T4_T5_T6_T7_T9_mT8_P12ihipStream_tbDpT10_ENKUlT_T0_E_clISt17integral_constantIbLb0EES1A_IbLb1EEEEDaS16_S17_EUlS16_E_NS1_11comp_targetILNS1_3genE9ELNS1_11target_archE1100ELNS1_3gpuE3ELNS1_3repE0EEENS1_30default_config_static_selectorELNS0_4arch9wavefront6targetE0EEEvT1_.numbered_sgpr, 0
	.set _ZN7rocprim17ROCPRIM_400000_NS6detail17trampoline_kernelINS0_14default_configENS1_25partition_config_selectorILNS1_17partition_subalgoE5EiNS0_10empty_typeEbEEZZNS1_14partition_implILS5_5ELb0ES3_mN6thrust23THRUST_200600_302600_NS6detail15normal_iteratorINSA_10device_ptrIiEEEEPS6_NSA_18transform_iteratorINSB_9not_fun_tINSA_8identityIiEEEESF_NSA_11use_defaultESM_EENS0_5tupleIJSF_S6_EEENSO_IJSG_SG_EEES6_PlJS6_EEE10hipError_tPvRmT3_T4_T5_T6_T7_T9_mT8_P12ihipStream_tbDpT10_ENKUlT_T0_E_clISt17integral_constantIbLb0EES1A_IbLb1EEEEDaS16_S17_EUlS16_E_NS1_11comp_targetILNS1_3genE9ELNS1_11target_archE1100ELNS1_3gpuE3ELNS1_3repE0EEENS1_30default_config_static_selectorELNS0_4arch9wavefront6targetE0EEEvT1_.num_named_barrier, 0
	.set _ZN7rocprim17ROCPRIM_400000_NS6detail17trampoline_kernelINS0_14default_configENS1_25partition_config_selectorILNS1_17partition_subalgoE5EiNS0_10empty_typeEbEEZZNS1_14partition_implILS5_5ELb0ES3_mN6thrust23THRUST_200600_302600_NS6detail15normal_iteratorINSA_10device_ptrIiEEEEPS6_NSA_18transform_iteratorINSB_9not_fun_tINSA_8identityIiEEEESF_NSA_11use_defaultESM_EENS0_5tupleIJSF_S6_EEENSO_IJSG_SG_EEES6_PlJS6_EEE10hipError_tPvRmT3_T4_T5_T6_T7_T9_mT8_P12ihipStream_tbDpT10_ENKUlT_T0_E_clISt17integral_constantIbLb0EES1A_IbLb1EEEEDaS16_S17_EUlS16_E_NS1_11comp_targetILNS1_3genE9ELNS1_11target_archE1100ELNS1_3gpuE3ELNS1_3repE0EEENS1_30default_config_static_selectorELNS0_4arch9wavefront6targetE0EEEvT1_.private_seg_size, 0
	.set _ZN7rocprim17ROCPRIM_400000_NS6detail17trampoline_kernelINS0_14default_configENS1_25partition_config_selectorILNS1_17partition_subalgoE5EiNS0_10empty_typeEbEEZZNS1_14partition_implILS5_5ELb0ES3_mN6thrust23THRUST_200600_302600_NS6detail15normal_iteratorINSA_10device_ptrIiEEEEPS6_NSA_18transform_iteratorINSB_9not_fun_tINSA_8identityIiEEEESF_NSA_11use_defaultESM_EENS0_5tupleIJSF_S6_EEENSO_IJSG_SG_EEES6_PlJS6_EEE10hipError_tPvRmT3_T4_T5_T6_T7_T9_mT8_P12ihipStream_tbDpT10_ENKUlT_T0_E_clISt17integral_constantIbLb0EES1A_IbLb1EEEEDaS16_S17_EUlS16_E_NS1_11comp_targetILNS1_3genE9ELNS1_11target_archE1100ELNS1_3gpuE3ELNS1_3repE0EEENS1_30default_config_static_selectorELNS0_4arch9wavefront6targetE0EEEvT1_.uses_vcc, 0
	.set _ZN7rocprim17ROCPRIM_400000_NS6detail17trampoline_kernelINS0_14default_configENS1_25partition_config_selectorILNS1_17partition_subalgoE5EiNS0_10empty_typeEbEEZZNS1_14partition_implILS5_5ELb0ES3_mN6thrust23THRUST_200600_302600_NS6detail15normal_iteratorINSA_10device_ptrIiEEEEPS6_NSA_18transform_iteratorINSB_9not_fun_tINSA_8identityIiEEEESF_NSA_11use_defaultESM_EENS0_5tupleIJSF_S6_EEENSO_IJSG_SG_EEES6_PlJS6_EEE10hipError_tPvRmT3_T4_T5_T6_T7_T9_mT8_P12ihipStream_tbDpT10_ENKUlT_T0_E_clISt17integral_constantIbLb0EES1A_IbLb1EEEEDaS16_S17_EUlS16_E_NS1_11comp_targetILNS1_3genE9ELNS1_11target_archE1100ELNS1_3gpuE3ELNS1_3repE0EEENS1_30default_config_static_selectorELNS0_4arch9wavefront6targetE0EEEvT1_.uses_flat_scratch, 0
	.set _ZN7rocprim17ROCPRIM_400000_NS6detail17trampoline_kernelINS0_14default_configENS1_25partition_config_selectorILNS1_17partition_subalgoE5EiNS0_10empty_typeEbEEZZNS1_14partition_implILS5_5ELb0ES3_mN6thrust23THRUST_200600_302600_NS6detail15normal_iteratorINSA_10device_ptrIiEEEEPS6_NSA_18transform_iteratorINSB_9not_fun_tINSA_8identityIiEEEESF_NSA_11use_defaultESM_EENS0_5tupleIJSF_S6_EEENSO_IJSG_SG_EEES6_PlJS6_EEE10hipError_tPvRmT3_T4_T5_T6_T7_T9_mT8_P12ihipStream_tbDpT10_ENKUlT_T0_E_clISt17integral_constantIbLb0EES1A_IbLb1EEEEDaS16_S17_EUlS16_E_NS1_11comp_targetILNS1_3genE9ELNS1_11target_archE1100ELNS1_3gpuE3ELNS1_3repE0EEENS1_30default_config_static_selectorELNS0_4arch9wavefront6targetE0EEEvT1_.has_dyn_sized_stack, 0
	.set _ZN7rocprim17ROCPRIM_400000_NS6detail17trampoline_kernelINS0_14default_configENS1_25partition_config_selectorILNS1_17partition_subalgoE5EiNS0_10empty_typeEbEEZZNS1_14partition_implILS5_5ELb0ES3_mN6thrust23THRUST_200600_302600_NS6detail15normal_iteratorINSA_10device_ptrIiEEEEPS6_NSA_18transform_iteratorINSB_9not_fun_tINSA_8identityIiEEEESF_NSA_11use_defaultESM_EENS0_5tupleIJSF_S6_EEENSO_IJSG_SG_EEES6_PlJS6_EEE10hipError_tPvRmT3_T4_T5_T6_T7_T9_mT8_P12ihipStream_tbDpT10_ENKUlT_T0_E_clISt17integral_constantIbLb0EES1A_IbLb1EEEEDaS16_S17_EUlS16_E_NS1_11comp_targetILNS1_3genE9ELNS1_11target_archE1100ELNS1_3gpuE3ELNS1_3repE0EEENS1_30default_config_static_selectorELNS0_4arch9wavefront6targetE0EEEvT1_.has_recursion, 0
	.set _ZN7rocprim17ROCPRIM_400000_NS6detail17trampoline_kernelINS0_14default_configENS1_25partition_config_selectorILNS1_17partition_subalgoE5EiNS0_10empty_typeEbEEZZNS1_14partition_implILS5_5ELb0ES3_mN6thrust23THRUST_200600_302600_NS6detail15normal_iteratorINSA_10device_ptrIiEEEEPS6_NSA_18transform_iteratorINSB_9not_fun_tINSA_8identityIiEEEESF_NSA_11use_defaultESM_EENS0_5tupleIJSF_S6_EEENSO_IJSG_SG_EEES6_PlJS6_EEE10hipError_tPvRmT3_T4_T5_T6_T7_T9_mT8_P12ihipStream_tbDpT10_ENKUlT_T0_E_clISt17integral_constantIbLb0EES1A_IbLb1EEEEDaS16_S17_EUlS16_E_NS1_11comp_targetILNS1_3genE9ELNS1_11target_archE1100ELNS1_3gpuE3ELNS1_3repE0EEENS1_30default_config_static_selectorELNS0_4arch9wavefront6targetE0EEEvT1_.has_indirect_call, 0
	.section	.AMDGPU.csdata,"",@progbits
; Kernel info:
; codeLenInByte = 0
; TotalNumSgprs: 0
; NumVgprs: 0
; ScratchSize: 0
; MemoryBound: 0
; FloatMode: 240
; IeeeMode: 1
; LDSByteSize: 0 bytes/workgroup (compile time only)
; SGPRBlocks: 0
; VGPRBlocks: 0
; NumSGPRsForWavesPerEU: 1
; NumVGPRsForWavesPerEU: 1
; Occupancy: 16
; WaveLimiterHint : 0
; COMPUTE_PGM_RSRC2:SCRATCH_EN: 0
; COMPUTE_PGM_RSRC2:USER_SGPR: 2
; COMPUTE_PGM_RSRC2:TRAP_HANDLER: 0
; COMPUTE_PGM_RSRC2:TGID_X_EN: 1
; COMPUTE_PGM_RSRC2:TGID_Y_EN: 0
; COMPUTE_PGM_RSRC2:TGID_Z_EN: 0
; COMPUTE_PGM_RSRC2:TIDIG_COMP_CNT: 0
	.section	.text._ZN7rocprim17ROCPRIM_400000_NS6detail17trampoline_kernelINS0_14default_configENS1_25partition_config_selectorILNS1_17partition_subalgoE5EiNS0_10empty_typeEbEEZZNS1_14partition_implILS5_5ELb0ES3_mN6thrust23THRUST_200600_302600_NS6detail15normal_iteratorINSA_10device_ptrIiEEEEPS6_NSA_18transform_iteratorINSB_9not_fun_tINSA_8identityIiEEEESF_NSA_11use_defaultESM_EENS0_5tupleIJSF_S6_EEENSO_IJSG_SG_EEES6_PlJS6_EEE10hipError_tPvRmT3_T4_T5_T6_T7_T9_mT8_P12ihipStream_tbDpT10_ENKUlT_T0_E_clISt17integral_constantIbLb0EES1A_IbLb1EEEEDaS16_S17_EUlS16_E_NS1_11comp_targetILNS1_3genE8ELNS1_11target_archE1030ELNS1_3gpuE2ELNS1_3repE0EEENS1_30default_config_static_selectorELNS0_4arch9wavefront6targetE0EEEvT1_,"axG",@progbits,_ZN7rocprim17ROCPRIM_400000_NS6detail17trampoline_kernelINS0_14default_configENS1_25partition_config_selectorILNS1_17partition_subalgoE5EiNS0_10empty_typeEbEEZZNS1_14partition_implILS5_5ELb0ES3_mN6thrust23THRUST_200600_302600_NS6detail15normal_iteratorINSA_10device_ptrIiEEEEPS6_NSA_18transform_iteratorINSB_9not_fun_tINSA_8identityIiEEEESF_NSA_11use_defaultESM_EENS0_5tupleIJSF_S6_EEENSO_IJSG_SG_EEES6_PlJS6_EEE10hipError_tPvRmT3_T4_T5_T6_T7_T9_mT8_P12ihipStream_tbDpT10_ENKUlT_T0_E_clISt17integral_constantIbLb0EES1A_IbLb1EEEEDaS16_S17_EUlS16_E_NS1_11comp_targetILNS1_3genE8ELNS1_11target_archE1030ELNS1_3gpuE2ELNS1_3repE0EEENS1_30default_config_static_selectorELNS0_4arch9wavefront6targetE0EEEvT1_,comdat
	.protected	_ZN7rocprim17ROCPRIM_400000_NS6detail17trampoline_kernelINS0_14default_configENS1_25partition_config_selectorILNS1_17partition_subalgoE5EiNS0_10empty_typeEbEEZZNS1_14partition_implILS5_5ELb0ES3_mN6thrust23THRUST_200600_302600_NS6detail15normal_iteratorINSA_10device_ptrIiEEEEPS6_NSA_18transform_iteratorINSB_9not_fun_tINSA_8identityIiEEEESF_NSA_11use_defaultESM_EENS0_5tupleIJSF_S6_EEENSO_IJSG_SG_EEES6_PlJS6_EEE10hipError_tPvRmT3_T4_T5_T6_T7_T9_mT8_P12ihipStream_tbDpT10_ENKUlT_T0_E_clISt17integral_constantIbLb0EES1A_IbLb1EEEEDaS16_S17_EUlS16_E_NS1_11comp_targetILNS1_3genE8ELNS1_11target_archE1030ELNS1_3gpuE2ELNS1_3repE0EEENS1_30default_config_static_selectorELNS0_4arch9wavefront6targetE0EEEvT1_ ; -- Begin function _ZN7rocprim17ROCPRIM_400000_NS6detail17trampoline_kernelINS0_14default_configENS1_25partition_config_selectorILNS1_17partition_subalgoE5EiNS0_10empty_typeEbEEZZNS1_14partition_implILS5_5ELb0ES3_mN6thrust23THRUST_200600_302600_NS6detail15normal_iteratorINSA_10device_ptrIiEEEEPS6_NSA_18transform_iteratorINSB_9not_fun_tINSA_8identityIiEEEESF_NSA_11use_defaultESM_EENS0_5tupleIJSF_S6_EEENSO_IJSG_SG_EEES6_PlJS6_EEE10hipError_tPvRmT3_T4_T5_T6_T7_T9_mT8_P12ihipStream_tbDpT10_ENKUlT_T0_E_clISt17integral_constantIbLb0EES1A_IbLb1EEEEDaS16_S17_EUlS16_E_NS1_11comp_targetILNS1_3genE8ELNS1_11target_archE1030ELNS1_3gpuE2ELNS1_3repE0EEENS1_30default_config_static_selectorELNS0_4arch9wavefront6targetE0EEEvT1_
	.globl	_ZN7rocprim17ROCPRIM_400000_NS6detail17trampoline_kernelINS0_14default_configENS1_25partition_config_selectorILNS1_17partition_subalgoE5EiNS0_10empty_typeEbEEZZNS1_14partition_implILS5_5ELb0ES3_mN6thrust23THRUST_200600_302600_NS6detail15normal_iteratorINSA_10device_ptrIiEEEEPS6_NSA_18transform_iteratorINSB_9not_fun_tINSA_8identityIiEEEESF_NSA_11use_defaultESM_EENS0_5tupleIJSF_S6_EEENSO_IJSG_SG_EEES6_PlJS6_EEE10hipError_tPvRmT3_T4_T5_T6_T7_T9_mT8_P12ihipStream_tbDpT10_ENKUlT_T0_E_clISt17integral_constantIbLb0EES1A_IbLb1EEEEDaS16_S17_EUlS16_E_NS1_11comp_targetILNS1_3genE8ELNS1_11target_archE1030ELNS1_3gpuE2ELNS1_3repE0EEENS1_30default_config_static_selectorELNS0_4arch9wavefront6targetE0EEEvT1_
	.p2align	8
	.type	_ZN7rocprim17ROCPRIM_400000_NS6detail17trampoline_kernelINS0_14default_configENS1_25partition_config_selectorILNS1_17partition_subalgoE5EiNS0_10empty_typeEbEEZZNS1_14partition_implILS5_5ELb0ES3_mN6thrust23THRUST_200600_302600_NS6detail15normal_iteratorINSA_10device_ptrIiEEEEPS6_NSA_18transform_iteratorINSB_9not_fun_tINSA_8identityIiEEEESF_NSA_11use_defaultESM_EENS0_5tupleIJSF_S6_EEENSO_IJSG_SG_EEES6_PlJS6_EEE10hipError_tPvRmT3_T4_T5_T6_T7_T9_mT8_P12ihipStream_tbDpT10_ENKUlT_T0_E_clISt17integral_constantIbLb0EES1A_IbLb1EEEEDaS16_S17_EUlS16_E_NS1_11comp_targetILNS1_3genE8ELNS1_11target_archE1030ELNS1_3gpuE2ELNS1_3repE0EEENS1_30default_config_static_selectorELNS0_4arch9wavefront6targetE0EEEvT1_,@function
_ZN7rocprim17ROCPRIM_400000_NS6detail17trampoline_kernelINS0_14default_configENS1_25partition_config_selectorILNS1_17partition_subalgoE5EiNS0_10empty_typeEbEEZZNS1_14partition_implILS5_5ELb0ES3_mN6thrust23THRUST_200600_302600_NS6detail15normal_iteratorINSA_10device_ptrIiEEEEPS6_NSA_18transform_iteratorINSB_9not_fun_tINSA_8identityIiEEEESF_NSA_11use_defaultESM_EENS0_5tupleIJSF_S6_EEENSO_IJSG_SG_EEES6_PlJS6_EEE10hipError_tPvRmT3_T4_T5_T6_T7_T9_mT8_P12ihipStream_tbDpT10_ENKUlT_T0_E_clISt17integral_constantIbLb0EES1A_IbLb1EEEEDaS16_S17_EUlS16_E_NS1_11comp_targetILNS1_3genE8ELNS1_11target_archE1030ELNS1_3gpuE2ELNS1_3repE0EEENS1_30default_config_static_selectorELNS0_4arch9wavefront6targetE0EEEvT1_: ; @_ZN7rocprim17ROCPRIM_400000_NS6detail17trampoline_kernelINS0_14default_configENS1_25partition_config_selectorILNS1_17partition_subalgoE5EiNS0_10empty_typeEbEEZZNS1_14partition_implILS5_5ELb0ES3_mN6thrust23THRUST_200600_302600_NS6detail15normal_iteratorINSA_10device_ptrIiEEEEPS6_NSA_18transform_iteratorINSB_9not_fun_tINSA_8identityIiEEEESF_NSA_11use_defaultESM_EENS0_5tupleIJSF_S6_EEENSO_IJSG_SG_EEES6_PlJS6_EEE10hipError_tPvRmT3_T4_T5_T6_T7_T9_mT8_P12ihipStream_tbDpT10_ENKUlT_T0_E_clISt17integral_constantIbLb0EES1A_IbLb1EEEEDaS16_S17_EUlS16_E_NS1_11comp_targetILNS1_3genE8ELNS1_11target_archE1030ELNS1_3gpuE2ELNS1_3repE0EEENS1_30default_config_static_selectorELNS0_4arch9wavefront6targetE0EEEvT1_
; %bb.0:
	.section	.rodata,"a",@progbits
	.p2align	6, 0x0
	.amdhsa_kernel _ZN7rocprim17ROCPRIM_400000_NS6detail17trampoline_kernelINS0_14default_configENS1_25partition_config_selectorILNS1_17partition_subalgoE5EiNS0_10empty_typeEbEEZZNS1_14partition_implILS5_5ELb0ES3_mN6thrust23THRUST_200600_302600_NS6detail15normal_iteratorINSA_10device_ptrIiEEEEPS6_NSA_18transform_iteratorINSB_9not_fun_tINSA_8identityIiEEEESF_NSA_11use_defaultESM_EENS0_5tupleIJSF_S6_EEENSO_IJSG_SG_EEES6_PlJS6_EEE10hipError_tPvRmT3_T4_T5_T6_T7_T9_mT8_P12ihipStream_tbDpT10_ENKUlT_T0_E_clISt17integral_constantIbLb0EES1A_IbLb1EEEEDaS16_S17_EUlS16_E_NS1_11comp_targetILNS1_3genE8ELNS1_11target_archE1030ELNS1_3gpuE2ELNS1_3repE0EEENS1_30default_config_static_selectorELNS0_4arch9wavefront6targetE0EEEvT1_
		.amdhsa_group_segment_fixed_size 0
		.amdhsa_private_segment_fixed_size 0
		.amdhsa_kernarg_size 136
		.amdhsa_user_sgpr_count 2
		.amdhsa_user_sgpr_dispatch_ptr 0
		.amdhsa_user_sgpr_queue_ptr 0
		.amdhsa_user_sgpr_kernarg_segment_ptr 1
		.amdhsa_user_sgpr_dispatch_id 0
		.amdhsa_user_sgpr_private_segment_size 0
		.amdhsa_wavefront_size32 1
		.amdhsa_uses_dynamic_stack 0
		.amdhsa_enable_private_segment 0
		.amdhsa_system_sgpr_workgroup_id_x 1
		.amdhsa_system_sgpr_workgroup_id_y 0
		.amdhsa_system_sgpr_workgroup_id_z 0
		.amdhsa_system_sgpr_workgroup_info 0
		.amdhsa_system_vgpr_workitem_id 0
		.amdhsa_next_free_vgpr 1
		.amdhsa_next_free_sgpr 1
		.amdhsa_reserve_vcc 0
		.amdhsa_float_round_mode_32 0
		.amdhsa_float_round_mode_16_64 0
		.amdhsa_float_denorm_mode_32 3
		.amdhsa_float_denorm_mode_16_64 3
		.amdhsa_fp16_overflow 0
		.amdhsa_workgroup_processor_mode 1
		.amdhsa_memory_ordered 1
		.amdhsa_forward_progress 1
		.amdhsa_inst_pref_size 0
		.amdhsa_round_robin_scheduling 0
		.amdhsa_exception_fp_ieee_invalid_op 0
		.amdhsa_exception_fp_denorm_src 0
		.amdhsa_exception_fp_ieee_div_zero 0
		.amdhsa_exception_fp_ieee_overflow 0
		.amdhsa_exception_fp_ieee_underflow 0
		.amdhsa_exception_fp_ieee_inexact 0
		.amdhsa_exception_int_div_zero 0
	.end_amdhsa_kernel
	.section	.text._ZN7rocprim17ROCPRIM_400000_NS6detail17trampoline_kernelINS0_14default_configENS1_25partition_config_selectorILNS1_17partition_subalgoE5EiNS0_10empty_typeEbEEZZNS1_14partition_implILS5_5ELb0ES3_mN6thrust23THRUST_200600_302600_NS6detail15normal_iteratorINSA_10device_ptrIiEEEEPS6_NSA_18transform_iteratorINSB_9not_fun_tINSA_8identityIiEEEESF_NSA_11use_defaultESM_EENS0_5tupleIJSF_S6_EEENSO_IJSG_SG_EEES6_PlJS6_EEE10hipError_tPvRmT3_T4_T5_T6_T7_T9_mT8_P12ihipStream_tbDpT10_ENKUlT_T0_E_clISt17integral_constantIbLb0EES1A_IbLb1EEEEDaS16_S17_EUlS16_E_NS1_11comp_targetILNS1_3genE8ELNS1_11target_archE1030ELNS1_3gpuE2ELNS1_3repE0EEENS1_30default_config_static_selectorELNS0_4arch9wavefront6targetE0EEEvT1_,"axG",@progbits,_ZN7rocprim17ROCPRIM_400000_NS6detail17trampoline_kernelINS0_14default_configENS1_25partition_config_selectorILNS1_17partition_subalgoE5EiNS0_10empty_typeEbEEZZNS1_14partition_implILS5_5ELb0ES3_mN6thrust23THRUST_200600_302600_NS6detail15normal_iteratorINSA_10device_ptrIiEEEEPS6_NSA_18transform_iteratorINSB_9not_fun_tINSA_8identityIiEEEESF_NSA_11use_defaultESM_EENS0_5tupleIJSF_S6_EEENSO_IJSG_SG_EEES6_PlJS6_EEE10hipError_tPvRmT3_T4_T5_T6_T7_T9_mT8_P12ihipStream_tbDpT10_ENKUlT_T0_E_clISt17integral_constantIbLb0EES1A_IbLb1EEEEDaS16_S17_EUlS16_E_NS1_11comp_targetILNS1_3genE8ELNS1_11target_archE1030ELNS1_3gpuE2ELNS1_3repE0EEENS1_30default_config_static_selectorELNS0_4arch9wavefront6targetE0EEEvT1_,comdat
.Lfunc_end1012:
	.size	_ZN7rocprim17ROCPRIM_400000_NS6detail17trampoline_kernelINS0_14default_configENS1_25partition_config_selectorILNS1_17partition_subalgoE5EiNS0_10empty_typeEbEEZZNS1_14partition_implILS5_5ELb0ES3_mN6thrust23THRUST_200600_302600_NS6detail15normal_iteratorINSA_10device_ptrIiEEEEPS6_NSA_18transform_iteratorINSB_9not_fun_tINSA_8identityIiEEEESF_NSA_11use_defaultESM_EENS0_5tupleIJSF_S6_EEENSO_IJSG_SG_EEES6_PlJS6_EEE10hipError_tPvRmT3_T4_T5_T6_T7_T9_mT8_P12ihipStream_tbDpT10_ENKUlT_T0_E_clISt17integral_constantIbLb0EES1A_IbLb1EEEEDaS16_S17_EUlS16_E_NS1_11comp_targetILNS1_3genE8ELNS1_11target_archE1030ELNS1_3gpuE2ELNS1_3repE0EEENS1_30default_config_static_selectorELNS0_4arch9wavefront6targetE0EEEvT1_, .Lfunc_end1012-_ZN7rocprim17ROCPRIM_400000_NS6detail17trampoline_kernelINS0_14default_configENS1_25partition_config_selectorILNS1_17partition_subalgoE5EiNS0_10empty_typeEbEEZZNS1_14partition_implILS5_5ELb0ES3_mN6thrust23THRUST_200600_302600_NS6detail15normal_iteratorINSA_10device_ptrIiEEEEPS6_NSA_18transform_iteratorINSB_9not_fun_tINSA_8identityIiEEEESF_NSA_11use_defaultESM_EENS0_5tupleIJSF_S6_EEENSO_IJSG_SG_EEES6_PlJS6_EEE10hipError_tPvRmT3_T4_T5_T6_T7_T9_mT8_P12ihipStream_tbDpT10_ENKUlT_T0_E_clISt17integral_constantIbLb0EES1A_IbLb1EEEEDaS16_S17_EUlS16_E_NS1_11comp_targetILNS1_3genE8ELNS1_11target_archE1030ELNS1_3gpuE2ELNS1_3repE0EEENS1_30default_config_static_selectorELNS0_4arch9wavefront6targetE0EEEvT1_
                                        ; -- End function
	.set _ZN7rocprim17ROCPRIM_400000_NS6detail17trampoline_kernelINS0_14default_configENS1_25partition_config_selectorILNS1_17partition_subalgoE5EiNS0_10empty_typeEbEEZZNS1_14partition_implILS5_5ELb0ES3_mN6thrust23THRUST_200600_302600_NS6detail15normal_iteratorINSA_10device_ptrIiEEEEPS6_NSA_18transform_iteratorINSB_9not_fun_tINSA_8identityIiEEEESF_NSA_11use_defaultESM_EENS0_5tupleIJSF_S6_EEENSO_IJSG_SG_EEES6_PlJS6_EEE10hipError_tPvRmT3_T4_T5_T6_T7_T9_mT8_P12ihipStream_tbDpT10_ENKUlT_T0_E_clISt17integral_constantIbLb0EES1A_IbLb1EEEEDaS16_S17_EUlS16_E_NS1_11comp_targetILNS1_3genE8ELNS1_11target_archE1030ELNS1_3gpuE2ELNS1_3repE0EEENS1_30default_config_static_selectorELNS0_4arch9wavefront6targetE0EEEvT1_.num_vgpr, 0
	.set _ZN7rocprim17ROCPRIM_400000_NS6detail17trampoline_kernelINS0_14default_configENS1_25partition_config_selectorILNS1_17partition_subalgoE5EiNS0_10empty_typeEbEEZZNS1_14partition_implILS5_5ELb0ES3_mN6thrust23THRUST_200600_302600_NS6detail15normal_iteratorINSA_10device_ptrIiEEEEPS6_NSA_18transform_iteratorINSB_9not_fun_tINSA_8identityIiEEEESF_NSA_11use_defaultESM_EENS0_5tupleIJSF_S6_EEENSO_IJSG_SG_EEES6_PlJS6_EEE10hipError_tPvRmT3_T4_T5_T6_T7_T9_mT8_P12ihipStream_tbDpT10_ENKUlT_T0_E_clISt17integral_constantIbLb0EES1A_IbLb1EEEEDaS16_S17_EUlS16_E_NS1_11comp_targetILNS1_3genE8ELNS1_11target_archE1030ELNS1_3gpuE2ELNS1_3repE0EEENS1_30default_config_static_selectorELNS0_4arch9wavefront6targetE0EEEvT1_.num_agpr, 0
	.set _ZN7rocprim17ROCPRIM_400000_NS6detail17trampoline_kernelINS0_14default_configENS1_25partition_config_selectorILNS1_17partition_subalgoE5EiNS0_10empty_typeEbEEZZNS1_14partition_implILS5_5ELb0ES3_mN6thrust23THRUST_200600_302600_NS6detail15normal_iteratorINSA_10device_ptrIiEEEEPS6_NSA_18transform_iteratorINSB_9not_fun_tINSA_8identityIiEEEESF_NSA_11use_defaultESM_EENS0_5tupleIJSF_S6_EEENSO_IJSG_SG_EEES6_PlJS6_EEE10hipError_tPvRmT3_T4_T5_T6_T7_T9_mT8_P12ihipStream_tbDpT10_ENKUlT_T0_E_clISt17integral_constantIbLb0EES1A_IbLb1EEEEDaS16_S17_EUlS16_E_NS1_11comp_targetILNS1_3genE8ELNS1_11target_archE1030ELNS1_3gpuE2ELNS1_3repE0EEENS1_30default_config_static_selectorELNS0_4arch9wavefront6targetE0EEEvT1_.numbered_sgpr, 0
	.set _ZN7rocprim17ROCPRIM_400000_NS6detail17trampoline_kernelINS0_14default_configENS1_25partition_config_selectorILNS1_17partition_subalgoE5EiNS0_10empty_typeEbEEZZNS1_14partition_implILS5_5ELb0ES3_mN6thrust23THRUST_200600_302600_NS6detail15normal_iteratorINSA_10device_ptrIiEEEEPS6_NSA_18transform_iteratorINSB_9not_fun_tINSA_8identityIiEEEESF_NSA_11use_defaultESM_EENS0_5tupleIJSF_S6_EEENSO_IJSG_SG_EEES6_PlJS6_EEE10hipError_tPvRmT3_T4_T5_T6_T7_T9_mT8_P12ihipStream_tbDpT10_ENKUlT_T0_E_clISt17integral_constantIbLb0EES1A_IbLb1EEEEDaS16_S17_EUlS16_E_NS1_11comp_targetILNS1_3genE8ELNS1_11target_archE1030ELNS1_3gpuE2ELNS1_3repE0EEENS1_30default_config_static_selectorELNS0_4arch9wavefront6targetE0EEEvT1_.num_named_barrier, 0
	.set _ZN7rocprim17ROCPRIM_400000_NS6detail17trampoline_kernelINS0_14default_configENS1_25partition_config_selectorILNS1_17partition_subalgoE5EiNS0_10empty_typeEbEEZZNS1_14partition_implILS5_5ELb0ES3_mN6thrust23THRUST_200600_302600_NS6detail15normal_iteratorINSA_10device_ptrIiEEEEPS6_NSA_18transform_iteratorINSB_9not_fun_tINSA_8identityIiEEEESF_NSA_11use_defaultESM_EENS0_5tupleIJSF_S6_EEENSO_IJSG_SG_EEES6_PlJS6_EEE10hipError_tPvRmT3_T4_T5_T6_T7_T9_mT8_P12ihipStream_tbDpT10_ENKUlT_T0_E_clISt17integral_constantIbLb0EES1A_IbLb1EEEEDaS16_S17_EUlS16_E_NS1_11comp_targetILNS1_3genE8ELNS1_11target_archE1030ELNS1_3gpuE2ELNS1_3repE0EEENS1_30default_config_static_selectorELNS0_4arch9wavefront6targetE0EEEvT1_.private_seg_size, 0
	.set _ZN7rocprim17ROCPRIM_400000_NS6detail17trampoline_kernelINS0_14default_configENS1_25partition_config_selectorILNS1_17partition_subalgoE5EiNS0_10empty_typeEbEEZZNS1_14partition_implILS5_5ELb0ES3_mN6thrust23THRUST_200600_302600_NS6detail15normal_iteratorINSA_10device_ptrIiEEEEPS6_NSA_18transform_iteratorINSB_9not_fun_tINSA_8identityIiEEEESF_NSA_11use_defaultESM_EENS0_5tupleIJSF_S6_EEENSO_IJSG_SG_EEES6_PlJS6_EEE10hipError_tPvRmT3_T4_T5_T6_T7_T9_mT8_P12ihipStream_tbDpT10_ENKUlT_T0_E_clISt17integral_constantIbLb0EES1A_IbLb1EEEEDaS16_S17_EUlS16_E_NS1_11comp_targetILNS1_3genE8ELNS1_11target_archE1030ELNS1_3gpuE2ELNS1_3repE0EEENS1_30default_config_static_selectorELNS0_4arch9wavefront6targetE0EEEvT1_.uses_vcc, 0
	.set _ZN7rocprim17ROCPRIM_400000_NS6detail17trampoline_kernelINS0_14default_configENS1_25partition_config_selectorILNS1_17partition_subalgoE5EiNS0_10empty_typeEbEEZZNS1_14partition_implILS5_5ELb0ES3_mN6thrust23THRUST_200600_302600_NS6detail15normal_iteratorINSA_10device_ptrIiEEEEPS6_NSA_18transform_iteratorINSB_9not_fun_tINSA_8identityIiEEEESF_NSA_11use_defaultESM_EENS0_5tupleIJSF_S6_EEENSO_IJSG_SG_EEES6_PlJS6_EEE10hipError_tPvRmT3_T4_T5_T6_T7_T9_mT8_P12ihipStream_tbDpT10_ENKUlT_T0_E_clISt17integral_constantIbLb0EES1A_IbLb1EEEEDaS16_S17_EUlS16_E_NS1_11comp_targetILNS1_3genE8ELNS1_11target_archE1030ELNS1_3gpuE2ELNS1_3repE0EEENS1_30default_config_static_selectorELNS0_4arch9wavefront6targetE0EEEvT1_.uses_flat_scratch, 0
	.set _ZN7rocprim17ROCPRIM_400000_NS6detail17trampoline_kernelINS0_14default_configENS1_25partition_config_selectorILNS1_17partition_subalgoE5EiNS0_10empty_typeEbEEZZNS1_14partition_implILS5_5ELb0ES3_mN6thrust23THRUST_200600_302600_NS6detail15normal_iteratorINSA_10device_ptrIiEEEEPS6_NSA_18transform_iteratorINSB_9not_fun_tINSA_8identityIiEEEESF_NSA_11use_defaultESM_EENS0_5tupleIJSF_S6_EEENSO_IJSG_SG_EEES6_PlJS6_EEE10hipError_tPvRmT3_T4_T5_T6_T7_T9_mT8_P12ihipStream_tbDpT10_ENKUlT_T0_E_clISt17integral_constantIbLb0EES1A_IbLb1EEEEDaS16_S17_EUlS16_E_NS1_11comp_targetILNS1_3genE8ELNS1_11target_archE1030ELNS1_3gpuE2ELNS1_3repE0EEENS1_30default_config_static_selectorELNS0_4arch9wavefront6targetE0EEEvT1_.has_dyn_sized_stack, 0
	.set _ZN7rocprim17ROCPRIM_400000_NS6detail17trampoline_kernelINS0_14default_configENS1_25partition_config_selectorILNS1_17partition_subalgoE5EiNS0_10empty_typeEbEEZZNS1_14partition_implILS5_5ELb0ES3_mN6thrust23THRUST_200600_302600_NS6detail15normal_iteratorINSA_10device_ptrIiEEEEPS6_NSA_18transform_iteratorINSB_9not_fun_tINSA_8identityIiEEEESF_NSA_11use_defaultESM_EENS0_5tupleIJSF_S6_EEENSO_IJSG_SG_EEES6_PlJS6_EEE10hipError_tPvRmT3_T4_T5_T6_T7_T9_mT8_P12ihipStream_tbDpT10_ENKUlT_T0_E_clISt17integral_constantIbLb0EES1A_IbLb1EEEEDaS16_S17_EUlS16_E_NS1_11comp_targetILNS1_3genE8ELNS1_11target_archE1030ELNS1_3gpuE2ELNS1_3repE0EEENS1_30default_config_static_selectorELNS0_4arch9wavefront6targetE0EEEvT1_.has_recursion, 0
	.set _ZN7rocprim17ROCPRIM_400000_NS6detail17trampoline_kernelINS0_14default_configENS1_25partition_config_selectorILNS1_17partition_subalgoE5EiNS0_10empty_typeEbEEZZNS1_14partition_implILS5_5ELb0ES3_mN6thrust23THRUST_200600_302600_NS6detail15normal_iteratorINSA_10device_ptrIiEEEEPS6_NSA_18transform_iteratorINSB_9not_fun_tINSA_8identityIiEEEESF_NSA_11use_defaultESM_EENS0_5tupleIJSF_S6_EEENSO_IJSG_SG_EEES6_PlJS6_EEE10hipError_tPvRmT3_T4_T5_T6_T7_T9_mT8_P12ihipStream_tbDpT10_ENKUlT_T0_E_clISt17integral_constantIbLb0EES1A_IbLb1EEEEDaS16_S17_EUlS16_E_NS1_11comp_targetILNS1_3genE8ELNS1_11target_archE1030ELNS1_3gpuE2ELNS1_3repE0EEENS1_30default_config_static_selectorELNS0_4arch9wavefront6targetE0EEEvT1_.has_indirect_call, 0
	.section	.AMDGPU.csdata,"",@progbits
; Kernel info:
; codeLenInByte = 0
; TotalNumSgprs: 0
; NumVgprs: 0
; ScratchSize: 0
; MemoryBound: 0
; FloatMode: 240
; IeeeMode: 1
; LDSByteSize: 0 bytes/workgroup (compile time only)
; SGPRBlocks: 0
; VGPRBlocks: 0
; NumSGPRsForWavesPerEU: 1
; NumVGPRsForWavesPerEU: 1
; Occupancy: 16
; WaveLimiterHint : 0
; COMPUTE_PGM_RSRC2:SCRATCH_EN: 0
; COMPUTE_PGM_RSRC2:USER_SGPR: 2
; COMPUTE_PGM_RSRC2:TRAP_HANDLER: 0
; COMPUTE_PGM_RSRC2:TGID_X_EN: 1
; COMPUTE_PGM_RSRC2:TGID_Y_EN: 0
; COMPUTE_PGM_RSRC2:TGID_Z_EN: 0
; COMPUTE_PGM_RSRC2:TIDIG_COMP_CNT: 0
	.section	.text._ZN7rocprim17ROCPRIM_400000_NS6detail17trampoline_kernelINS0_14default_configENS1_25partition_config_selectorILNS1_17partition_subalgoE5EsNS0_10empty_typeEbEEZZNS1_14partition_implILS5_5ELb0ES3_mN6thrust23THRUST_200600_302600_NS6detail15normal_iteratorINSA_10device_ptrIsEEEEPS6_NSA_18transform_iteratorINSB_9not_fun_tINSA_8identityIsEEEESF_NSA_11use_defaultESM_EENS0_5tupleIJSF_S6_EEENSO_IJSG_SG_EEES6_PlJS6_EEE10hipError_tPvRmT3_T4_T5_T6_T7_T9_mT8_P12ihipStream_tbDpT10_ENKUlT_T0_E_clISt17integral_constantIbLb0EES1B_EEDaS16_S17_EUlS16_E_NS1_11comp_targetILNS1_3genE0ELNS1_11target_archE4294967295ELNS1_3gpuE0ELNS1_3repE0EEENS1_30default_config_static_selectorELNS0_4arch9wavefront6targetE0EEEvT1_,"axG",@progbits,_ZN7rocprim17ROCPRIM_400000_NS6detail17trampoline_kernelINS0_14default_configENS1_25partition_config_selectorILNS1_17partition_subalgoE5EsNS0_10empty_typeEbEEZZNS1_14partition_implILS5_5ELb0ES3_mN6thrust23THRUST_200600_302600_NS6detail15normal_iteratorINSA_10device_ptrIsEEEEPS6_NSA_18transform_iteratorINSB_9not_fun_tINSA_8identityIsEEEESF_NSA_11use_defaultESM_EENS0_5tupleIJSF_S6_EEENSO_IJSG_SG_EEES6_PlJS6_EEE10hipError_tPvRmT3_T4_T5_T6_T7_T9_mT8_P12ihipStream_tbDpT10_ENKUlT_T0_E_clISt17integral_constantIbLb0EES1B_EEDaS16_S17_EUlS16_E_NS1_11comp_targetILNS1_3genE0ELNS1_11target_archE4294967295ELNS1_3gpuE0ELNS1_3repE0EEENS1_30default_config_static_selectorELNS0_4arch9wavefront6targetE0EEEvT1_,comdat
	.protected	_ZN7rocprim17ROCPRIM_400000_NS6detail17trampoline_kernelINS0_14default_configENS1_25partition_config_selectorILNS1_17partition_subalgoE5EsNS0_10empty_typeEbEEZZNS1_14partition_implILS5_5ELb0ES3_mN6thrust23THRUST_200600_302600_NS6detail15normal_iteratorINSA_10device_ptrIsEEEEPS6_NSA_18transform_iteratorINSB_9not_fun_tINSA_8identityIsEEEESF_NSA_11use_defaultESM_EENS0_5tupleIJSF_S6_EEENSO_IJSG_SG_EEES6_PlJS6_EEE10hipError_tPvRmT3_T4_T5_T6_T7_T9_mT8_P12ihipStream_tbDpT10_ENKUlT_T0_E_clISt17integral_constantIbLb0EES1B_EEDaS16_S17_EUlS16_E_NS1_11comp_targetILNS1_3genE0ELNS1_11target_archE4294967295ELNS1_3gpuE0ELNS1_3repE0EEENS1_30default_config_static_selectorELNS0_4arch9wavefront6targetE0EEEvT1_ ; -- Begin function _ZN7rocprim17ROCPRIM_400000_NS6detail17trampoline_kernelINS0_14default_configENS1_25partition_config_selectorILNS1_17partition_subalgoE5EsNS0_10empty_typeEbEEZZNS1_14partition_implILS5_5ELb0ES3_mN6thrust23THRUST_200600_302600_NS6detail15normal_iteratorINSA_10device_ptrIsEEEEPS6_NSA_18transform_iteratorINSB_9not_fun_tINSA_8identityIsEEEESF_NSA_11use_defaultESM_EENS0_5tupleIJSF_S6_EEENSO_IJSG_SG_EEES6_PlJS6_EEE10hipError_tPvRmT3_T4_T5_T6_T7_T9_mT8_P12ihipStream_tbDpT10_ENKUlT_T0_E_clISt17integral_constantIbLb0EES1B_EEDaS16_S17_EUlS16_E_NS1_11comp_targetILNS1_3genE0ELNS1_11target_archE4294967295ELNS1_3gpuE0ELNS1_3repE0EEENS1_30default_config_static_selectorELNS0_4arch9wavefront6targetE0EEEvT1_
	.globl	_ZN7rocprim17ROCPRIM_400000_NS6detail17trampoline_kernelINS0_14default_configENS1_25partition_config_selectorILNS1_17partition_subalgoE5EsNS0_10empty_typeEbEEZZNS1_14partition_implILS5_5ELb0ES3_mN6thrust23THRUST_200600_302600_NS6detail15normal_iteratorINSA_10device_ptrIsEEEEPS6_NSA_18transform_iteratorINSB_9not_fun_tINSA_8identityIsEEEESF_NSA_11use_defaultESM_EENS0_5tupleIJSF_S6_EEENSO_IJSG_SG_EEES6_PlJS6_EEE10hipError_tPvRmT3_T4_T5_T6_T7_T9_mT8_P12ihipStream_tbDpT10_ENKUlT_T0_E_clISt17integral_constantIbLb0EES1B_EEDaS16_S17_EUlS16_E_NS1_11comp_targetILNS1_3genE0ELNS1_11target_archE4294967295ELNS1_3gpuE0ELNS1_3repE0EEENS1_30default_config_static_selectorELNS0_4arch9wavefront6targetE0EEEvT1_
	.p2align	8
	.type	_ZN7rocprim17ROCPRIM_400000_NS6detail17trampoline_kernelINS0_14default_configENS1_25partition_config_selectorILNS1_17partition_subalgoE5EsNS0_10empty_typeEbEEZZNS1_14partition_implILS5_5ELb0ES3_mN6thrust23THRUST_200600_302600_NS6detail15normal_iteratorINSA_10device_ptrIsEEEEPS6_NSA_18transform_iteratorINSB_9not_fun_tINSA_8identityIsEEEESF_NSA_11use_defaultESM_EENS0_5tupleIJSF_S6_EEENSO_IJSG_SG_EEES6_PlJS6_EEE10hipError_tPvRmT3_T4_T5_T6_T7_T9_mT8_P12ihipStream_tbDpT10_ENKUlT_T0_E_clISt17integral_constantIbLb0EES1B_EEDaS16_S17_EUlS16_E_NS1_11comp_targetILNS1_3genE0ELNS1_11target_archE4294967295ELNS1_3gpuE0ELNS1_3repE0EEENS1_30default_config_static_selectorELNS0_4arch9wavefront6targetE0EEEvT1_,@function
_ZN7rocprim17ROCPRIM_400000_NS6detail17trampoline_kernelINS0_14default_configENS1_25partition_config_selectorILNS1_17partition_subalgoE5EsNS0_10empty_typeEbEEZZNS1_14partition_implILS5_5ELb0ES3_mN6thrust23THRUST_200600_302600_NS6detail15normal_iteratorINSA_10device_ptrIsEEEEPS6_NSA_18transform_iteratorINSB_9not_fun_tINSA_8identityIsEEEESF_NSA_11use_defaultESM_EENS0_5tupleIJSF_S6_EEENSO_IJSG_SG_EEES6_PlJS6_EEE10hipError_tPvRmT3_T4_T5_T6_T7_T9_mT8_P12ihipStream_tbDpT10_ENKUlT_T0_E_clISt17integral_constantIbLb0EES1B_EEDaS16_S17_EUlS16_E_NS1_11comp_targetILNS1_3genE0ELNS1_11target_archE4294967295ELNS1_3gpuE0ELNS1_3repE0EEENS1_30default_config_static_selectorELNS0_4arch9wavefront6targetE0EEEvT1_: ; @_ZN7rocprim17ROCPRIM_400000_NS6detail17trampoline_kernelINS0_14default_configENS1_25partition_config_selectorILNS1_17partition_subalgoE5EsNS0_10empty_typeEbEEZZNS1_14partition_implILS5_5ELb0ES3_mN6thrust23THRUST_200600_302600_NS6detail15normal_iteratorINSA_10device_ptrIsEEEEPS6_NSA_18transform_iteratorINSB_9not_fun_tINSA_8identityIsEEEESF_NSA_11use_defaultESM_EENS0_5tupleIJSF_S6_EEENSO_IJSG_SG_EEES6_PlJS6_EEE10hipError_tPvRmT3_T4_T5_T6_T7_T9_mT8_P12ihipStream_tbDpT10_ENKUlT_T0_E_clISt17integral_constantIbLb0EES1B_EEDaS16_S17_EUlS16_E_NS1_11comp_targetILNS1_3genE0ELNS1_11target_archE4294967295ELNS1_3gpuE0ELNS1_3repE0EEENS1_30default_config_static_selectorELNS0_4arch9wavefront6targetE0EEEvT1_
; %bb.0:
	.section	.rodata,"a",@progbits
	.p2align	6, 0x0
	.amdhsa_kernel _ZN7rocprim17ROCPRIM_400000_NS6detail17trampoline_kernelINS0_14default_configENS1_25partition_config_selectorILNS1_17partition_subalgoE5EsNS0_10empty_typeEbEEZZNS1_14partition_implILS5_5ELb0ES3_mN6thrust23THRUST_200600_302600_NS6detail15normal_iteratorINSA_10device_ptrIsEEEEPS6_NSA_18transform_iteratorINSB_9not_fun_tINSA_8identityIsEEEESF_NSA_11use_defaultESM_EENS0_5tupleIJSF_S6_EEENSO_IJSG_SG_EEES6_PlJS6_EEE10hipError_tPvRmT3_T4_T5_T6_T7_T9_mT8_P12ihipStream_tbDpT10_ENKUlT_T0_E_clISt17integral_constantIbLb0EES1B_EEDaS16_S17_EUlS16_E_NS1_11comp_targetILNS1_3genE0ELNS1_11target_archE4294967295ELNS1_3gpuE0ELNS1_3repE0EEENS1_30default_config_static_selectorELNS0_4arch9wavefront6targetE0EEEvT1_
		.amdhsa_group_segment_fixed_size 0
		.amdhsa_private_segment_fixed_size 0
		.amdhsa_kernarg_size 120
		.amdhsa_user_sgpr_count 2
		.amdhsa_user_sgpr_dispatch_ptr 0
		.amdhsa_user_sgpr_queue_ptr 0
		.amdhsa_user_sgpr_kernarg_segment_ptr 1
		.amdhsa_user_sgpr_dispatch_id 0
		.amdhsa_user_sgpr_private_segment_size 0
		.amdhsa_wavefront_size32 1
		.amdhsa_uses_dynamic_stack 0
		.amdhsa_enable_private_segment 0
		.amdhsa_system_sgpr_workgroup_id_x 1
		.amdhsa_system_sgpr_workgroup_id_y 0
		.amdhsa_system_sgpr_workgroup_id_z 0
		.amdhsa_system_sgpr_workgroup_info 0
		.amdhsa_system_vgpr_workitem_id 0
		.amdhsa_next_free_vgpr 1
		.amdhsa_next_free_sgpr 1
		.amdhsa_reserve_vcc 0
		.amdhsa_float_round_mode_32 0
		.amdhsa_float_round_mode_16_64 0
		.amdhsa_float_denorm_mode_32 3
		.amdhsa_float_denorm_mode_16_64 3
		.amdhsa_fp16_overflow 0
		.amdhsa_workgroup_processor_mode 1
		.amdhsa_memory_ordered 1
		.amdhsa_forward_progress 1
		.amdhsa_inst_pref_size 0
		.amdhsa_round_robin_scheduling 0
		.amdhsa_exception_fp_ieee_invalid_op 0
		.amdhsa_exception_fp_denorm_src 0
		.amdhsa_exception_fp_ieee_div_zero 0
		.amdhsa_exception_fp_ieee_overflow 0
		.amdhsa_exception_fp_ieee_underflow 0
		.amdhsa_exception_fp_ieee_inexact 0
		.amdhsa_exception_int_div_zero 0
	.end_amdhsa_kernel
	.section	.text._ZN7rocprim17ROCPRIM_400000_NS6detail17trampoline_kernelINS0_14default_configENS1_25partition_config_selectorILNS1_17partition_subalgoE5EsNS0_10empty_typeEbEEZZNS1_14partition_implILS5_5ELb0ES3_mN6thrust23THRUST_200600_302600_NS6detail15normal_iteratorINSA_10device_ptrIsEEEEPS6_NSA_18transform_iteratorINSB_9not_fun_tINSA_8identityIsEEEESF_NSA_11use_defaultESM_EENS0_5tupleIJSF_S6_EEENSO_IJSG_SG_EEES6_PlJS6_EEE10hipError_tPvRmT3_T4_T5_T6_T7_T9_mT8_P12ihipStream_tbDpT10_ENKUlT_T0_E_clISt17integral_constantIbLb0EES1B_EEDaS16_S17_EUlS16_E_NS1_11comp_targetILNS1_3genE0ELNS1_11target_archE4294967295ELNS1_3gpuE0ELNS1_3repE0EEENS1_30default_config_static_selectorELNS0_4arch9wavefront6targetE0EEEvT1_,"axG",@progbits,_ZN7rocprim17ROCPRIM_400000_NS6detail17trampoline_kernelINS0_14default_configENS1_25partition_config_selectorILNS1_17partition_subalgoE5EsNS0_10empty_typeEbEEZZNS1_14partition_implILS5_5ELb0ES3_mN6thrust23THRUST_200600_302600_NS6detail15normal_iteratorINSA_10device_ptrIsEEEEPS6_NSA_18transform_iteratorINSB_9not_fun_tINSA_8identityIsEEEESF_NSA_11use_defaultESM_EENS0_5tupleIJSF_S6_EEENSO_IJSG_SG_EEES6_PlJS6_EEE10hipError_tPvRmT3_T4_T5_T6_T7_T9_mT8_P12ihipStream_tbDpT10_ENKUlT_T0_E_clISt17integral_constantIbLb0EES1B_EEDaS16_S17_EUlS16_E_NS1_11comp_targetILNS1_3genE0ELNS1_11target_archE4294967295ELNS1_3gpuE0ELNS1_3repE0EEENS1_30default_config_static_selectorELNS0_4arch9wavefront6targetE0EEEvT1_,comdat
.Lfunc_end1013:
	.size	_ZN7rocprim17ROCPRIM_400000_NS6detail17trampoline_kernelINS0_14default_configENS1_25partition_config_selectorILNS1_17partition_subalgoE5EsNS0_10empty_typeEbEEZZNS1_14partition_implILS5_5ELb0ES3_mN6thrust23THRUST_200600_302600_NS6detail15normal_iteratorINSA_10device_ptrIsEEEEPS6_NSA_18transform_iteratorINSB_9not_fun_tINSA_8identityIsEEEESF_NSA_11use_defaultESM_EENS0_5tupleIJSF_S6_EEENSO_IJSG_SG_EEES6_PlJS6_EEE10hipError_tPvRmT3_T4_T5_T6_T7_T9_mT8_P12ihipStream_tbDpT10_ENKUlT_T0_E_clISt17integral_constantIbLb0EES1B_EEDaS16_S17_EUlS16_E_NS1_11comp_targetILNS1_3genE0ELNS1_11target_archE4294967295ELNS1_3gpuE0ELNS1_3repE0EEENS1_30default_config_static_selectorELNS0_4arch9wavefront6targetE0EEEvT1_, .Lfunc_end1013-_ZN7rocprim17ROCPRIM_400000_NS6detail17trampoline_kernelINS0_14default_configENS1_25partition_config_selectorILNS1_17partition_subalgoE5EsNS0_10empty_typeEbEEZZNS1_14partition_implILS5_5ELb0ES3_mN6thrust23THRUST_200600_302600_NS6detail15normal_iteratorINSA_10device_ptrIsEEEEPS6_NSA_18transform_iteratorINSB_9not_fun_tINSA_8identityIsEEEESF_NSA_11use_defaultESM_EENS0_5tupleIJSF_S6_EEENSO_IJSG_SG_EEES6_PlJS6_EEE10hipError_tPvRmT3_T4_T5_T6_T7_T9_mT8_P12ihipStream_tbDpT10_ENKUlT_T0_E_clISt17integral_constantIbLb0EES1B_EEDaS16_S17_EUlS16_E_NS1_11comp_targetILNS1_3genE0ELNS1_11target_archE4294967295ELNS1_3gpuE0ELNS1_3repE0EEENS1_30default_config_static_selectorELNS0_4arch9wavefront6targetE0EEEvT1_
                                        ; -- End function
	.set _ZN7rocprim17ROCPRIM_400000_NS6detail17trampoline_kernelINS0_14default_configENS1_25partition_config_selectorILNS1_17partition_subalgoE5EsNS0_10empty_typeEbEEZZNS1_14partition_implILS5_5ELb0ES3_mN6thrust23THRUST_200600_302600_NS6detail15normal_iteratorINSA_10device_ptrIsEEEEPS6_NSA_18transform_iteratorINSB_9not_fun_tINSA_8identityIsEEEESF_NSA_11use_defaultESM_EENS0_5tupleIJSF_S6_EEENSO_IJSG_SG_EEES6_PlJS6_EEE10hipError_tPvRmT3_T4_T5_T6_T7_T9_mT8_P12ihipStream_tbDpT10_ENKUlT_T0_E_clISt17integral_constantIbLb0EES1B_EEDaS16_S17_EUlS16_E_NS1_11comp_targetILNS1_3genE0ELNS1_11target_archE4294967295ELNS1_3gpuE0ELNS1_3repE0EEENS1_30default_config_static_selectorELNS0_4arch9wavefront6targetE0EEEvT1_.num_vgpr, 0
	.set _ZN7rocprim17ROCPRIM_400000_NS6detail17trampoline_kernelINS0_14default_configENS1_25partition_config_selectorILNS1_17partition_subalgoE5EsNS0_10empty_typeEbEEZZNS1_14partition_implILS5_5ELb0ES3_mN6thrust23THRUST_200600_302600_NS6detail15normal_iteratorINSA_10device_ptrIsEEEEPS6_NSA_18transform_iteratorINSB_9not_fun_tINSA_8identityIsEEEESF_NSA_11use_defaultESM_EENS0_5tupleIJSF_S6_EEENSO_IJSG_SG_EEES6_PlJS6_EEE10hipError_tPvRmT3_T4_T5_T6_T7_T9_mT8_P12ihipStream_tbDpT10_ENKUlT_T0_E_clISt17integral_constantIbLb0EES1B_EEDaS16_S17_EUlS16_E_NS1_11comp_targetILNS1_3genE0ELNS1_11target_archE4294967295ELNS1_3gpuE0ELNS1_3repE0EEENS1_30default_config_static_selectorELNS0_4arch9wavefront6targetE0EEEvT1_.num_agpr, 0
	.set _ZN7rocprim17ROCPRIM_400000_NS6detail17trampoline_kernelINS0_14default_configENS1_25partition_config_selectorILNS1_17partition_subalgoE5EsNS0_10empty_typeEbEEZZNS1_14partition_implILS5_5ELb0ES3_mN6thrust23THRUST_200600_302600_NS6detail15normal_iteratorINSA_10device_ptrIsEEEEPS6_NSA_18transform_iteratorINSB_9not_fun_tINSA_8identityIsEEEESF_NSA_11use_defaultESM_EENS0_5tupleIJSF_S6_EEENSO_IJSG_SG_EEES6_PlJS6_EEE10hipError_tPvRmT3_T4_T5_T6_T7_T9_mT8_P12ihipStream_tbDpT10_ENKUlT_T0_E_clISt17integral_constantIbLb0EES1B_EEDaS16_S17_EUlS16_E_NS1_11comp_targetILNS1_3genE0ELNS1_11target_archE4294967295ELNS1_3gpuE0ELNS1_3repE0EEENS1_30default_config_static_selectorELNS0_4arch9wavefront6targetE0EEEvT1_.numbered_sgpr, 0
	.set _ZN7rocprim17ROCPRIM_400000_NS6detail17trampoline_kernelINS0_14default_configENS1_25partition_config_selectorILNS1_17partition_subalgoE5EsNS0_10empty_typeEbEEZZNS1_14partition_implILS5_5ELb0ES3_mN6thrust23THRUST_200600_302600_NS6detail15normal_iteratorINSA_10device_ptrIsEEEEPS6_NSA_18transform_iteratorINSB_9not_fun_tINSA_8identityIsEEEESF_NSA_11use_defaultESM_EENS0_5tupleIJSF_S6_EEENSO_IJSG_SG_EEES6_PlJS6_EEE10hipError_tPvRmT3_T4_T5_T6_T7_T9_mT8_P12ihipStream_tbDpT10_ENKUlT_T0_E_clISt17integral_constantIbLb0EES1B_EEDaS16_S17_EUlS16_E_NS1_11comp_targetILNS1_3genE0ELNS1_11target_archE4294967295ELNS1_3gpuE0ELNS1_3repE0EEENS1_30default_config_static_selectorELNS0_4arch9wavefront6targetE0EEEvT1_.num_named_barrier, 0
	.set _ZN7rocprim17ROCPRIM_400000_NS6detail17trampoline_kernelINS0_14default_configENS1_25partition_config_selectorILNS1_17partition_subalgoE5EsNS0_10empty_typeEbEEZZNS1_14partition_implILS5_5ELb0ES3_mN6thrust23THRUST_200600_302600_NS6detail15normal_iteratorINSA_10device_ptrIsEEEEPS6_NSA_18transform_iteratorINSB_9not_fun_tINSA_8identityIsEEEESF_NSA_11use_defaultESM_EENS0_5tupleIJSF_S6_EEENSO_IJSG_SG_EEES6_PlJS6_EEE10hipError_tPvRmT3_T4_T5_T6_T7_T9_mT8_P12ihipStream_tbDpT10_ENKUlT_T0_E_clISt17integral_constantIbLb0EES1B_EEDaS16_S17_EUlS16_E_NS1_11comp_targetILNS1_3genE0ELNS1_11target_archE4294967295ELNS1_3gpuE0ELNS1_3repE0EEENS1_30default_config_static_selectorELNS0_4arch9wavefront6targetE0EEEvT1_.private_seg_size, 0
	.set _ZN7rocprim17ROCPRIM_400000_NS6detail17trampoline_kernelINS0_14default_configENS1_25partition_config_selectorILNS1_17partition_subalgoE5EsNS0_10empty_typeEbEEZZNS1_14partition_implILS5_5ELb0ES3_mN6thrust23THRUST_200600_302600_NS6detail15normal_iteratorINSA_10device_ptrIsEEEEPS6_NSA_18transform_iteratorINSB_9not_fun_tINSA_8identityIsEEEESF_NSA_11use_defaultESM_EENS0_5tupleIJSF_S6_EEENSO_IJSG_SG_EEES6_PlJS6_EEE10hipError_tPvRmT3_T4_T5_T6_T7_T9_mT8_P12ihipStream_tbDpT10_ENKUlT_T0_E_clISt17integral_constantIbLb0EES1B_EEDaS16_S17_EUlS16_E_NS1_11comp_targetILNS1_3genE0ELNS1_11target_archE4294967295ELNS1_3gpuE0ELNS1_3repE0EEENS1_30default_config_static_selectorELNS0_4arch9wavefront6targetE0EEEvT1_.uses_vcc, 0
	.set _ZN7rocprim17ROCPRIM_400000_NS6detail17trampoline_kernelINS0_14default_configENS1_25partition_config_selectorILNS1_17partition_subalgoE5EsNS0_10empty_typeEbEEZZNS1_14partition_implILS5_5ELb0ES3_mN6thrust23THRUST_200600_302600_NS6detail15normal_iteratorINSA_10device_ptrIsEEEEPS6_NSA_18transform_iteratorINSB_9not_fun_tINSA_8identityIsEEEESF_NSA_11use_defaultESM_EENS0_5tupleIJSF_S6_EEENSO_IJSG_SG_EEES6_PlJS6_EEE10hipError_tPvRmT3_T4_T5_T6_T7_T9_mT8_P12ihipStream_tbDpT10_ENKUlT_T0_E_clISt17integral_constantIbLb0EES1B_EEDaS16_S17_EUlS16_E_NS1_11comp_targetILNS1_3genE0ELNS1_11target_archE4294967295ELNS1_3gpuE0ELNS1_3repE0EEENS1_30default_config_static_selectorELNS0_4arch9wavefront6targetE0EEEvT1_.uses_flat_scratch, 0
	.set _ZN7rocprim17ROCPRIM_400000_NS6detail17trampoline_kernelINS0_14default_configENS1_25partition_config_selectorILNS1_17partition_subalgoE5EsNS0_10empty_typeEbEEZZNS1_14partition_implILS5_5ELb0ES3_mN6thrust23THRUST_200600_302600_NS6detail15normal_iteratorINSA_10device_ptrIsEEEEPS6_NSA_18transform_iteratorINSB_9not_fun_tINSA_8identityIsEEEESF_NSA_11use_defaultESM_EENS0_5tupleIJSF_S6_EEENSO_IJSG_SG_EEES6_PlJS6_EEE10hipError_tPvRmT3_T4_T5_T6_T7_T9_mT8_P12ihipStream_tbDpT10_ENKUlT_T0_E_clISt17integral_constantIbLb0EES1B_EEDaS16_S17_EUlS16_E_NS1_11comp_targetILNS1_3genE0ELNS1_11target_archE4294967295ELNS1_3gpuE0ELNS1_3repE0EEENS1_30default_config_static_selectorELNS0_4arch9wavefront6targetE0EEEvT1_.has_dyn_sized_stack, 0
	.set _ZN7rocprim17ROCPRIM_400000_NS6detail17trampoline_kernelINS0_14default_configENS1_25partition_config_selectorILNS1_17partition_subalgoE5EsNS0_10empty_typeEbEEZZNS1_14partition_implILS5_5ELb0ES3_mN6thrust23THRUST_200600_302600_NS6detail15normal_iteratorINSA_10device_ptrIsEEEEPS6_NSA_18transform_iteratorINSB_9not_fun_tINSA_8identityIsEEEESF_NSA_11use_defaultESM_EENS0_5tupleIJSF_S6_EEENSO_IJSG_SG_EEES6_PlJS6_EEE10hipError_tPvRmT3_T4_T5_T6_T7_T9_mT8_P12ihipStream_tbDpT10_ENKUlT_T0_E_clISt17integral_constantIbLb0EES1B_EEDaS16_S17_EUlS16_E_NS1_11comp_targetILNS1_3genE0ELNS1_11target_archE4294967295ELNS1_3gpuE0ELNS1_3repE0EEENS1_30default_config_static_selectorELNS0_4arch9wavefront6targetE0EEEvT1_.has_recursion, 0
	.set _ZN7rocprim17ROCPRIM_400000_NS6detail17trampoline_kernelINS0_14default_configENS1_25partition_config_selectorILNS1_17partition_subalgoE5EsNS0_10empty_typeEbEEZZNS1_14partition_implILS5_5ELb0ES3_mN6thrust23THRUST_200600_302600_NS6detail15normal_iteratorINSA_10device_ptrIsEEEEPS6_NSA_18transform_iteratorINSB_9not_fun_tINSA_8identityIsEEEESF_NSA_11use_defaultESM_EENS0_5tupleIJSF_S6_EEENSO_IJSG_SG_EEES6_PlJS6_EEE10hipError_tPvRmT3_T4_T5_T6_T7_T9_mT8_P12ihipStream_tbDpT10_ENKUlT_T0_E_clISt17integral_constantIbLb0EES1B_EEDaS16_S17_EUlS16_E_NS1_11comp_targetILNS1_3genE0ELNS1_11target_archE4294967295ELNS1_3gpuE0ELNS1_3repE0EEENS1_30default_config_static_selectorELNS0_4arch9wavefront6targetE0EEEvT1_.has_indirect_call, 0
	.section	.AMDGPU.csdata,"",@progbits
; Kernel info:
; codeLenInByte = 0
; TotalNumSgprs: 0
; NumVgprs: 0
; ScratchSize: 0
; MemoryBound: 0
; FloatMode: 240
; IeeeMode: 1
; LDSByteSize: 0 bytes/workgroup (compile time only)
; SGPRBlocks: 0
; VGPRBlocks: 0
; NumSGPRsForWavesPerEU: 1
; NumVGPRsForWavesPerEU: 1
; Occupancy: 16
; WaveLimiterHint : 0
; COMPUTE_PGM_RSRC2:SCRATCH_EN: 0
; COMPUTE_PGM_RSRC2:USER_SGPR: 2
; COMPUTE_PGM_RSRC2:TRAP_HANDLER: 0
; COMPUTE_PGM_RSRC2:TGID_X_EN: 1
; COMPUTE_PGM_RSRC2:TGID_Y_EN: 0
; COMPUTE_PGM_RSRC2:TGID_Z_EN: 0
; COMPUTE_PGM_RSRC2:TIDIG_COMP_CNT: 0
	.section	.text._ZN7rocprim17ROCPRIM_400000_NS6detail17trampoline_kernelINS0_14default_configENS1_25partition_config_selectorILNS1_17partition_subalgoE5EsNS0_10empty_typeEbEEZZNS1_14partition_implILS5_5ELb0ES3_mN6thrust23THRUST_200600_302600_NS6detail15normal_iteratorINSA_10device_ptrIsEEEEPS6_NSA_18transform_iteratorINSB_9not_fun_tINSA_8identityIsEEEESF_NSA_11use_defaultESM_EENS0_5tupleIJSF_S6_EEENSO_IJSG_SG_EEES6_PlJS6_EEE10hipError_tPvRmT3_T4_T5_T6_T7_T9_mT8_P12ihipStream_tbDpT10_ENKUlT_T0_E_clISt17integral_constantIbLb0EES1B_EEDaS16_S17_EUlS16_E_NS1_11comp_targetILNS1_3genE5ELNS1_11target_archE942ELNS1_3gpuE9ELNS1_3repE0EEENS1_30default_config_static_selectorELNS0_4arch9wavefront6targetE0EEEvT1_,"axG",@progbits,_ZN7rocprim17ROCPRIM_400000_NS6detail17trampoline_kernelINS0_14default_configENS1_25partition_config_selectorILNS1_17partition_subalgoE5EsNS0_10empty_typeEbEEZZNS1_14partition_implILS5_5ELb0ES3_mN6thrust23THRUST_200600_302600_NS6detail15normal_iteratorINSA_10device_ptrIsEEEEPS6_NSA_18transform_iteratorINSB_9not_fun_tINSA_8identityIsEEEESF_NSA_11use_defaultESM_EENS0_5tupleIJSF_S6_EEENSO_IJSG_SG_EEES6_PlJS6_EEE10hipError_tPvRmT3_T4_T5_T6_T7_T9_mT8_P12ihipStream_tbDpT10_ENKUlT_T0_E_clISt17integral_constantIbLb0EES1B_EEDaS16_S17_EUlS16_E_NS1_11comp_targetILNS1_3genE5ELNS1_11target_archE942ELNS1_3gpuE9ELNS1_3repE0EEENS1_30default_config_static_selectorELNS0_4arch9wavefront6targetE0EEEvT1_,comdat
	.protected	_ZN7rocprim17ROCPRIM_400000_NS6detail17trampoline_kernelINS0_14default_configENS1_25partition_config_selectorILNS1_17partition_subalgoE5EsNS0_10empty_typeEbEEZZNS1_14partition_implILS5_5ELb0ES3_mN6thrust23THRUST_200600_302600_NS6detail15normal_iteratorINSA_10device_ptrIsEEEEPS6_NSA_18transform_iteratorINSB_9not_fun_tINSA_8identityIsEEEESF_NSA_11use_defaultESM_EENS0_5tupleIJSF_S6_EEENSO_IJSG_SG_EEES6_PlJS6_EEE10hipError_tPvRmT3_T4_T5_T6_T7_T9_mT8_P12ihipStream_tbDpT10_ENKUlT_T0_E_clISt17integral_constantIbLb0EES1B_EEDaS16_S17_EUlS16_E_NS1_11comp_targetILNS1_3genE5ELNS1_11target_archE942ELNS1_3gpuE9ELNS1_3repE0EEENS1_30default_config_static_selectorELNS0_4arch9wavefront6targetE0EEEvT1_ ; -- Begin function _ZN7rocprim17ROCPRIM_400000_NS6detail17trampoline_kernelINS0_14default_configENS1_25partition_config_selectorILNS1_17partition_subalgoE5EsNS0_10empty_typeEbEEZZNS1_14partition_implILS5_5ELb0ES3_mN6thrust23THRUST_200600_302600_NS6detail15normal_iteratorINSA_10device_ptrIsEEEEPS6_NSA_18transform_iteratorINSB_9not_fun_tINSA_8identityIsEEEESF_NSA_11use_defaultESM_EENS0_5tupleIJSF_S6_EEENSO_IJSG_SG_EEES6_PlJS6_EEE10hipError_tPvRmT3_T4_T5_T6_T7_T9_mT8_P12ihipStream_tbDpT10_ENKUlT_T0_E_clISt17integral_constantIbLb0EES1B_EEDaS16_S17_EUlS16_E_NS1_11comp_targetILNS1_3genE5ELNS1_11target_archE942ELNS1_3gpuE9ELNS1_3repE0EEENS1_30default_config_static_selectorELNS0_4arch9wavefront6targetE0EEEvT1_
	.globl	_ZN7rocprim17ROCPRIM_400000_NS6detail17trampoline_kernelINS0_14default_configENS1_25partition_config_selectorILNS1_17partition_subalgoE5EsNS0_10empty_typeEbEEZZNS1_14partition_implILS5_5ELb0ES3_mN6thrust23THRUST_200600_302600_NS6detail15normal_iteratorINSA_10device_ptrIsEEEEPS6_NSA_18transform_iteratorINSB_9not_fun_tINSA_8identityIsEEEESF_NSA_11use_defaultESM_EENS0_5tupleIJSF_S6_EEENSO_IJSG_SG_EEES6_PlJS6_EEE10hipError_tPvRmT3_T4_T5_T6_T7_T9_mT8_P12ihipStream_tbDpT10_ENKUlT_T0_E_clISt17integral_constantIbLb0EES1B_EEDaS16_S17_EUlS16_E_NS1_11comp_targetILNS1_3genE5ELNS1_11target_archE942ELNS1_3gpuE9ELNS1_3repE0EEENS1_30default_config_static_selectorELNS0_4arch9wavefront6targetE0EEEvT1_
	.p2align	8
	.type	_ZN7rocprim17ROCPRIM_400000_NS6detail17trampoline_kernelINS0_14default_configENS1_25partition_config_selectorILNS1_17partition_subalgoE5EsNS0_10empty_typeEbEEZZNS1_14partition_implILS5_5ELb0ES3_mN6thrust23THRUST_200600_302600_NS6detail15normal_iteratorINSA_10device_ptrIsEEEEPS6_NSA_18transform_iteratorINSB_9not_fun_tINSA_8identityIsEEEESF_NSA_11use_defaultESM_EENS0_5tupleIJSF_S6_EEENSO_IJSG_SG_EEES6_PlJS6_EEE10hipError_tPvRmT3_T4_T5_T6_T7_T9_mT8_P12ihipStream_tbDpT10_ENKUlT_T0_E_clISt17integral_constantIbLb0EES1B_EEDaS16_S17_EUlS16_E_NS1_11comp_targetILNS1_3genE5ELNS1_11target_archE942ELNS1_3gpuE9ELNS1_3repE0EEENS1_30default_config_static_selectorELNS0_4arch9wavefront6targetE0EEEvT1_,@function
_ZN7rocprim17ROCPRIM_400000_NS6detail17trampoline_kernelINS0_14default_configENS1_25partition_config_selectorILNS1_17partition_subalgoE5EsNS0_10empty_typeEbEEZZNS1_14partition_implILS5_5ELb0ES3_mN6thrust23THRUST_200600_302600_NS6detail15normal_iteratorINSA_10device_ptrIsEEEEPS6_NSA_18transform_iteratorINSB_9not_fun_tINSA_8identityIsEEEESF_NSA_11use_defaultESM_EENS0_5tupleIJSF_S6_EEENSO_IJSG_SG_EEES6_PlJS6_EEE10hipError_tPvRmT3_T4_T5_T6_T7_T9_mT8_P12ihipStream_tbDpT10_ENKUlT_T0_E_clISt17integral_constantIbLb0EES1B_EEDaS16_S17_EUlS16_E_NS1_11comp_targetILNS1_3genE5ELNS1_11target_archE942ELNS1_3gpuE9ELNS1_3repE0EEENS1_30default_config_static_selectorELNS0_4arch9wavefront6targetE0EEEvT1_: ; @_ZN7rocprim17ROCPRIM_400000_NS6detail17trampoline_kernelINS0_14default_configENS1_25partition_config_selectorILNS1_17partition_subalgoE5EsNS0_10empty_typeEbEEZZNS1_14partition_implILS5_5ELb0ES3_mN6thrust23THRUST_200600_302600_NS6detail15normal_iteratorINSA_10device_ptrIsEEEEPS6_NSA_18transform_iteratorINSB_9not_fun_tINSA_8identityIsEEEESF_NSA_11use_defaultESM_EENS0_5tupleIJSF_S6_EEENSO_IJSG_SG_EEES6_PlJS6_EEE10hipError_tPvRmT3_T4_T5_T6_T7_T9_mT8_P12ihipStream_tbDpT10_ENKUlT_T0_E_clISt17integral_constantIbLb0EES1B_EEDaS16_S17_EUlS16_E_NS1_11comp_targetILNS1_3genE5ELNS1_11target_archE942ELNS1_3gpuE9ELNS1_3repE0EEENS1_30default_config_static_selectorELNS0_4arch9wavefront6targetE0EEEvT1_
; %bb.0:
	.section	.rodata,"a",@progbits
	.p2align	6, 0x0
	.amdhsa_kernel _ZN7rocprim17ROCPRIM_400000_NS6detail17trampoline_kernelINS0_14default_configENS1_25partition_config_selectorILNS1_17partition_subalgoE5EsNS0_10empty_typeEbEEZZNS1_14partition_implILS5_5ELb0ES3_mN6thrust23THRUST_200600_302600_NS6detail15normal_iteratorINSA_10device_ptrIsEEEEPS6_NSA_18transform_iteratorINSB_9not_fun_tINSA_8identityIsEEEESF_NSA_11use_defaultESM_EENS0_5tupleIJSF_S6_EEENSO_IJSG_SG_EEES6_PlJS6_EEE10hipError_tPvRmT3_T4_T5_T6_T7_T9_mT8_P12ihipStream_tbDpT10_ENKUlT_T0_E_clISt17integral_constantIbLb0EES1B_EEDaS16_S17_EUlS16_E_NS1_11comp_targetILNS1_3genE5ELNS1_11target_archE942ELNS1_3gpuE9ELNS1_3repE0EEENS1_30default_config_static_selectorELNS0_4arch9wavefront6targetE0EEEvT1_
		.amdhsa_group_segment_fixed_size 0
		.amdhsa_private_segment_fixed_size 0
		.amdhsa_kernarg_size 120
		.amdhsa_user_sgpr_count 2
		.amdhsa_user_sgpr_dispatch_ptr 0
		.amdhsa_user_sgpr_queue_ptr 0
		.amdhsa_user_sgpr_kernarg_segment_ptr 1
		.amdhsa_user_sgpr_dispatch_id 0
		.amdhsa_user_sgpr_private_segment_size 0
		.amdhsa_wavefront_size32 1
		.amdhsa_uses_dynamic_stack 0
		.amdhsa_enable_private_segment 0
		.amdhsa_system_sgpr_workgroup_id_x 1
		.amdhsa_system_sgpr_workgroup_id_y 0
		.amdhsa_system_sgpr_workgroup_id_z 0
		.amdhsa_system_sgpr_workgroup_info 0
		.amdhsa_system_vgpr_workitem_id 0
		.amdhsa_next_free_vgpr 1
		.amdhsa_next_free_sgpr 1
		.amdhsa_reserve_vcc 0
		.amdhsa_float_round_mode_32 0
		.amdhsa_float_round_mode_16_64 0
		.amdhsa_float_denorm_mode_32 3
		.amdhsa_float_denorm_mode_16_64 3
		.amdhsa_fp16_overflow 0
		.amdhsa_workgroup_processor_mode 1
		.amdhsa_memory_ordered 1
		.amdhsa_forward_progress 1
		.amdhsa_inst_pref_size 0
		.amdhsa_round_robin_scheduling 0
		.amdhsa_exception_fp_ieee_invalid_op 0
		.amdhsa_exception_fp_denorm_src 0
		.amdhsa_exception_fp_ieee_div_zero 0
		.amdhsa_exception_fp_ieee_overflow 0
		.amdhsa_exception_fp_ieee_underflow 0
		.amdhsa_exception_fp_ieee_inexact 0
		.amdhsa_exception_int_div_zero 0
	.end_amdhsa_kernel
	.section	.text._ZN7rocprim17ROCPRIM_400000_NS6detail17trampoline_kernelINS0_14default_configENS1_25partition_config_selectorILNS1_17partition_subalgoE5EsNS0_10empty_typeEbEEZZNS1_14partition_implILS5_5ELb0ES3_mN6thrust23THRUST_200600_302600_NS6detail15normal_iteratorINSA_10device_ptrIsEEEEPS6_NSA_18transform_iteratorINSB_9not_fun_tINSA_8identityIsEEEESF_NSA_11use_defaultESM_EENS0_5tupleIJSF_S6_EEENSO_IJSG_SG_EEES6_PlJS6_EEE10hipError_tPvRmT3_T4_T5_T6_T7_T9_mT8_P12ihipStream_tbDpT10_ENKUlT_T0_E_clISt17integral_constantIbLb0EES1B_EEDaS16_S17_EUlS16_E_NS1_11comp_targetILNS1_3genE5ELNS1_11target_archE942ELNS1_3gpuE9ELNS1_3repE0EEENS1_30default_config_static_selectorELNS0_4arch9wavefront6targetE0EEEvT1_,"axG",@progbits,_ZN7rocprim17ROCPRIM_400000_NS6detail17trampoline_kernelINS0_14default_configENS1_25partition_config_selectorILNS1_17partition_subalgoE5EsNS0_10empty_typeEbEEZZNS1_14partition_implILS5_5ELb0ES3_mN6thrust23THRUST_200600_302600_NS6detail15normal_iteratorINSA_10device_ptrIsEEEEPS6_NSA_18transform_iteratorINSB_9not_fun_tINSA_8identityIsEEEESF_NSA_11use_defaultESM_EENS0_5tupleIJSF_S6_EEENSO_IJSG_SG_EEES6_PlJS6_EEE10hipError_tPvRmT3_T4_T5_T6_T7_T9_mT8_P12ihipStream_tbDpT10_ENKUlT_T0_E_clISt17integral_constantIbLb0EES1B_EEDaS16_S17_EUlS16_E_NS1_11comp_targetILNS1_3genE5ELNS1_11target_archE942ELNS1_3gpuE9ELNS1_3repE0EEENS1_30default_config_static_selectorELNS0_4arch9wavefront6targetE0EEEvT1_,comdat
.Lfunc_end1014:
	.size	_ZN7rocprim17ROCPRIM_400000_NS6detail17trampoline_kernelINS0_14default_configENS1_25partition_config_selectorILNS1_17partition_subalgoE5EsNS0_10empty_typeEbEEZZNS1_14partition_implILS5_5ELb0ES3_mN6thrust23THRUST_200600_302600_NS6detail15normal_iteratorINSA_10device_ptrIsEEEEPS6_NSA_18transform_iteratorINSB_9not_fun_tINSA_8identityIsEEEESF_NSA_11use_defaultESM_EENS0_5tupleIJSF_S6_EEENSO_IJSG_SG_EEES6_PlJS6_EEE10hipError_tPvRmT3_T4_T5_T6_T7_T9_mT8_P12ihipStream_tbDpT10_ENKUlT_T0_E_clISt17integral_constantIbLb0EES1B_EEDaS16_S17_EUlS16_E_NS1_11comp_targetILNS1_3genE5ELNS1_11target_archE942ELNS1_3gpuE9ELNS1_3repE0EEENS1_30default_config_static_selectorELNS0_4arch9wavefront6targetE0EEEvT1_, .Lfunc_end1014-_ZN7rocprim17ROCPRIM_400000_NS6detail17trampoline_kernelINS0_14default_configENS1_25partition_config_selectorILNS1_17partition_subalgoE5EsNS0_10empty_typeEbEEZZNS1_14partition_implILS5_5ELb0ES3_mN6thrust23THRUST_200600_302600_NS6detail15normal_iteratorINSA_10device_ptrIsEEEEPS6_NSA_18transform_iteratorINSB_9not_fun_tINSA_8identityIsEEEESF_NSA_11use_defaultESM_EENS0_5tupleIJSF_S6_EEENSO_IJSG_SG_EEES6_PlJS6_EEE10hipError_tPvRmT3_T4_T5_T6_T7_T9_mT8_P12ihipStream_tbDpT10_ENKUlT_T0_E_clISt17integral_constantIbLb0EES1B_EEDaS16_S17_EUlS16_E_NS1_11comp_targetILNS1_3genE5ELNS1_11target_archE942ELNS1_3gpuE9ELNS1_3repE0EEENS1_30default_config_static_selectorELNS0_4arch9wavefront6targetE0EEEvT1_
                                        ; -- End function
	.set _ZN7rocprim17ROCPRIM_400000_NS6detail17trampoline_kernelINS0_14default_configENS1_25partition_config_selectorILNS1_17partition_subalgoE5EsNS0_10empty_typeEbEEZZNS1_14partition_implILS5_5ELb0ES3_mN6thrust23THRUST_200600_302600_NS6detail15normal_iteratorINSA_10device_ptrIsEEEEPS6_NSA_18transform_iteratorINSB_9not_fun_tINSA_8identityIsEEEESF_NSA_11use_defaultESM_EENS0_5tupleIJSF_S6_EEENSO_IJSG_SG_EEES6_PlJS6_EEE10hipError_tPvRmT3_T4_T5_T6_T7_T9_mT8_P12ihipStream_tbDpT10_ENKUlT_T0_E_clISt17integral_constantIbLb0EES1B_EEDaS16_S17_EUlS16_E_NS1_11comp_targetILNS1_3genE5ELNS1_11target_archE942ELNS1_3gpuE9ELNS1_3repE0EEENS1_30default_config_static_selectorELNS0_4arch9wavefront6targetE0EEEvT1_.num_vgpr, 0
	.set _ZN7rocprim17ROCPRIM_400000_NS6detail17trampoline_kernelINS0_14default_configENS1_25partition_config_selectorILNS1_17partition_subalgoE5EsNS0_10empty_typeEbEEZZNS1_14partition_implILS5_5ELb0ES3_mN6thrust23THRUST_200600_302600_NS6detail15normal_iteratorINSA_10device_ptrIsEEEEPS6_NSA_18transform_iteratorINSB_9not_fun_tINSA_8identityIsEEEESF_NSA_11use_defaultESM_EENS0_5tupleIJSF_S6_EEENSO_IJSG_SG_EEES6_PlJS6_EEE10hipError_tPvRmT3_T4_T5_T6_T7_T9_mT8_P12ihipStream_tbDpT10_ENKUlT_T0_E_clISt17integral_constantIbLb0EES1B_EEDaS16_S17_EUlS16_E_NS1_11comp_targetILNS1_3genE5ELNS1_11target_archE942ELNS1_3gpuE9ELNS1_3repE0EEENS1_30default_config_static_selectorELNS0_4arch9wavefront6targetE0EEEvT1_.num_agpr, 0
	.set _ZN7rocprim17ROCPRIM_400000_NS6detail17trampoline_kernelINS0_14default_configENS1_25partition_config_selectorILNS1_17partition_subalgoE5EsNS0_10empty_typeEbEEZZNS1_14partition_implILS5_5ELb0ES3_mN6thrust23THRUST_200600_302600_NS6detail15normal_iteratorINSA_10device_ptrIsEEEEPS6_NSA_18transform_iteratorINSB_9not_fun_tINSA_8identityIsEEEESF_NSA_11use_defaultESM_EENS0_5tupleIJSF_S6_EEENSO_IJSG_SG_EEES6_PlJS6_EEE10hipError_tPvRmT3_T4_T5_T6_T7_T9_mT8_P12ihipStream_tbDpT10_ENKUlT_T0_E_clISt17integral_constantIbLb0EES1B_EEDaS16_S17_EUlS16_E_NS1_11comp_targetILNS1_3genE5ELNS1_11target_archE942ELNS1_3gpuE9ELNS1_3repE0EEENS1_30default_config_static_selectorELNS0_4arch9wavefront6targetE0EEEvT1_.numbered_sgpr, 0
	.set _ZN7rocprim17ROCPRIM_400000_NS6detail17trampoline_kernelINS0_14default_configENS1_25partition_config_selectorILNS1_17partition_subalgoE5EsNS0_10empty_typeEbEEZZNS1_14partition_implILS5_5ELb0ES3_mN6thrust23THRUST_200600_302600_NS6detail15normal_iteratorINSA_10device_ptrIsEEEEPS6_NSA_18transform_iteratorINSB_9not_fun_tINSA_8identityIsEEEESF_NSA_11use_defaultESM_EENS0_5tupleIJSF_S6_EEENSO_IJSG_SG_EEES6_PlJS6_EEE10hipError_tPvRmT3_T4_T5_T6_T7_T9_mT8_P12ihipStream_tbDpT10_ENKUlT_T0_E_clISt17integral_constantIbLb0EES1B_EEDaS16_S17_EUlS16_E_NS1_11comp_targetILNS1_3genE5ELNS1_11target_archE942ELNS1_3gpuE9ELNS1_3repE0EEENS1_30default_config_static_selectorELNS0_4arch9wavefront6targetE0EEEvT1_.num_named_barrier, 0
	.set _ZN7rocprim17ROCPRIM_400000_NS6detail17trampoline_kernelINS0_14default_configENS1_25partition_config_selectorILNS1_17partition_subalgoE5EsNS0_10empty_typeEbEEZZNS1_14partition_implILS5_5ELb0ES3_mN6thrust23THRUST_200600_302600_NS6detail15normal_iteratorINSA_10device_ptrIsEEEEPS6_NSA_18transform_iteratorINSB_9not_fun_tINSA_8identityIsEEEESF_NSA_11use_defaultESM_EENS0_5tupleIJSF_S6_EEENSO_IJSG_SG_EEES6_PlJS6_EEE10hipError_tPvRmT3_T4_T5_T6_T7_T9_mT8_P12ihipStream_tbDpT10_ENKUlT_T0_E_clISt17integral_constantIbLb0EES1B_EEDaS16_S17_EUlS16_E_NS1_11comp_targetILNS1_3genE5ELNS1_11target_archE942ELNS1_3gpuE9ELNS1_3repE0EEENS1_30default_config_static_selectorELNS0_4arch9wavefront6targetE0EEEvT1_.private_seg_size, 0
	.set _ZN7rocprim17ROCPRIM_400000_NS6detail17trampoline_kernelINS0_14default_configENS1_25partition_config_selectorILNS1_17partition_subalgoE5EsNS0_10empty_typeEbEEZZNS1_14partition_implILS5_5ELb0ES3_mN6thrust23THRUST_200600_302600_NS6detail15normal_iteratorINSA_10device_ptrIsEEEEPS6_NSA_18transform_iteratorINSB_9not_fun_tINSA_8identityIsEEEESF_NSA_11use_defaultESM_EENS0_5tupleIJSF_S6_EEENSO_IJSG_SG_EEES6_PlJS6_EEE10hipError_tPvRmT3_T4_T5_T6_T7_T9_mT8_P12ihipStream_tbDpT10_ENKUlT_T0_E_clISt17integral_constantIbLb0EES1B_EEDaS16_S17_EUlS16_E_NS1_11comp_targetILNS1_3genE5ELNS1_11target_archE942ELNS1_3gpuE9ELNS1_3repE0EEENS1_30default_config_static_selectorELNS0_4arch9wavefront6targetE0EEEvT1_.uses_vcc, 0
	.set _ZN7rocprim17ROCPRIM_400000_NS6detail17trampoline_kernelINS0_14default_configENS1_25partition_config_selectorILNS1_17partition_subalgoE5EsNS0_10empty_typeEbEEZZNS1_14partition_implILS5_5ELb0ES3_mN6thrust23THRUST_200600_302600_NS6detail15normal_iteratorINSA_10device_ptrIsEEEEPS6_NSA_18transform_iteratorINSB_9not_fun_tINSA_8identityIsEEEESF_NSA_11use_defaultESM_EENS0_5tupleIJSF_S6_EEENSO_IJSG_SG_EEES6_PlJS6_EEE10hipError_tPvRmT3_T4_T5_T6_T7_T9_mT8_P12ihipStream_tbDpT10_ENKUlT_T0_E_clISt17integral_constantIbLb0EES1B_EEDaS16_S17_EUlS16_E_NS1_11comp_targetILNS1_3genE5ELNS1_11target_archE942ELNS1_3gpuE9ELNS1_3repE0EEENS1_30default_config_static_selectorELNS0_4arch9wavefront6targetE0EEEvT1_.uses_flat_scratch, 0
	.set _ZN7rocprim17ROCPRIM_400000_NS6detail17trampoline_kernelINS0_14default_configENS1_25partition_config_selectorILNS1_17partition_subalgoE5EsNS0_10empty_typeEbEEZZNS1_14partition_implILS5_5ELb0ES3_mN6thrust23THRUST_200600_302600_NS6detail15normal_iteratorINSA_10device_ptrIsEEEEPS6_NSA_18transform_iteratorINSB_9not_fun_tINSA_8identityIsEEEESF_NSA_11use_defaultESM_EENS0_5tupleIJSF_S6_EEENSO_IJSG_SG_EEES6_PlJS6_EEE10hipError_tPvRmT3_T4_T5_T6_T7_T9_mT8_P12ihipStream_tbDpT10_ENKUlT_T0_E_clISt17integral_constantIbLb0EES1B_EEDaS16_S17_EUlS16_E_NS1_11comp_targetILNS1_3genE5ELNS1_11target_archE942ELNS1_3gpuE9ELNS1_3repE0EEENS1_30default_config_static_selectorELNS0_4arch9wavefront6targetE0EEEvT1_.has_dyn_sized_stack, 0
	.set _ZN7rocprim17ROCPRIM_400000_NS6detail17trampoline_kernelINS0_14default_configENS1_25partition_config_selectorILNS1_17partition_subalgoE5EsNS0_10empty_typeEbEEZZNS1_14partition_implILS5_5ELb0ES3_mN6thrust23THRUST_200600_302600_NS6detail15normal_iteratorINSA_10device_ptrIsEEEEPS6_NSA_18transform_iteratorINSB_9not_fun_tINSA_8identityIsEEEESF_NSA_11use_defaultESM_EENS0_5tupleIJSF_S6_EEENSO_IJSG_SG_EEES6_PlJS6_EEE10hipError_tPvRmT3_T4_T5_T6_T7_T9_mT8_P12ihipStream_tbDpT10_ENKUlT_T0_E_clISt17integral_constantIbLb0EES1B_EEDaS16_S17_EUlS16_E_NS1_11comp_targetILNS1_3genE5ELNS1_11target_archE942ELNS1_3gpuE9ELNS1_3repE0EEENS1_30default_config_static_selectorELNS0_4arch9wavefront6targetE0EEEvT1_.has_recursion, 0
	.set _ZN7rocprim17ROCPRIM_400000_NS6detail17trampoline_kernelINS0_14default_configENS1_25partition_config_selectorILNS1_17partition_subalgoE5EsNS0_10empty_typeEbEEZZNS1_14partition_implILS5_5ELb0ES3_mN6thrust23THRUST_200600_302600_NS6detail15normal_iteratorINSA_10device_ptrIsEEEEPS6_NSA_18transform_iteratorINSB_9not_fun_tINSA_8identityIsEEEESF_NSA_11use_defaultESM_EENS0_5tupleIJSF_S6_EEENSO_IJSG_SG_EEES6_PlJS6_EEE10hipError_tPvRmT3_T4_T5_T6_T7_T9_mT8_P12ihipStream_tbDpT10_ENKUlT_T0_E_clISt17integral_constantIbLb0EES1B_EEDaS16_S17_EUlS16_E_NS1_11comp_targetILNS1_3genE5ELNS1_11target_archE942ELNS1_3gpuE9ELNS1_3repE0EEENS1_30default_config_static_selectorELNS0_4arch9wavefront6targetE0EEEvT1_.has_indirect_call, 0
	.section	.AMDGPU.csdata,"",@progbits
; Kernel info:
; codeLenInByte = 0
; TotalNumSgprs: 0
; NumVgprs: 0
; ScratchSize: 0
; MemoryBound: 0
; FloatMode: 240
; IeeeMode: 1
; LDSByteSize: 0 bytes/workgroup (compile time only)
; SGPRBlocks: 0
; VGPRBlocks: 0
; NumSGPRsForWavesPerEU: 1
; NumVGPRsForWavesPerEU: 1
; Occupancy: 16
; WaveLimiterHint : 0
; COMPUTE_PGM_RSRC2:SCRATCH_EN: 0
; COMPUTE_PGM_RSRC2:USER_SGPR: 2
; COMPUTE_PGM_RSRC2:TRAP_HANDLER: 0
; COMPUTE_PGM_RSRC2:TGID_X_EN: 1
; COMPUTE_PGM_RSRC2:TGID_Y_EN: 0
; COMPUTE_PGM_RSRC2:TGID_Z_EN: 0
; COMPUTE_PGM_RSRC2:TIDIG_COMP_CNT: 0
	.section	.text._ZN7rocprim17ROCPRIM_400000_NS6detail17trampoline_kernelINS0_14default_configENS1_25partition_config_selectorILNS1_17partition_subalgoE5EsNS0_10empty_typeEbEEZZNS1_14partition_implILS5_5ELb0ES3_mN6thrust23THRUST_200600_302600_NS6detail15normal_iteratorINSA_10device_ptrIsEEEEPS6_NSA_18transform_iteratorINSB_9not_fun_tINSA_8identityIsEEEESF_NSA_11use_defaultESM_EENS0_5tupleIJSF_S6_EEENSO_IJSG_SG_EEES6_PlJS6_EEE10hipError_tPvRmT3_T4_T5_T6_T7_T9_mT8_P12ihipStream_tbDpT10_ENKUlT_T0_E_clISt17integral_constantIbLb0EES1B_EEDaS16_S17_EUlS16_E_NS1_11comp_targetILNS1_3genE4ELNS1_11target_archE910ELNS1_3gpuE8ELNS1_3repE0EEENS1_30default_config_static_selectorELNS0_4arch9wavefront6targetE0EEEvT1_,"axG",@progbits,_ZN7rocprim17ROCPRIM_400000_NS6detail17trampoline_kernelINS0_14default_configENS1_25partition_config_selectorILNS1_17partition_subalgoE5EsNS0_10empty_typeEbEEZZNS1_14partition_implILS5_5ELb0ES3_mN6thrust23THRUST_200600_302600_NS6detail15normal_iteratorINSA_10device_ptrIsEEEEPS6_NSA_18transform_iteratorINSB_9not_fun_tINSA_8identityIsEEEESF_NSA_11use_defaultESM_EENS0_5tupleIJSF_S6_EEENSO_IJSG_SG_EEES6_PlJS6_EEE10hipError_tPvRmT3_T4_T5_T6_T7_T9_mT8_P12ihipStream_tbDpT10_ENKUlT_T0_E_clISt17integral_constantIbLb0EES1B_EEDaS16_S17_EUlS16_E_NS1_11comp_targetILNS1_3genE4ELNS1_11target_archE910ELNS1_3gpuE8ELNS1_3repE0EEENS1_30default_config_static_selectorELNS0_4arch9wavefront6targetE0EEEvT1_,comdat
	.protected	_ZN7rocprim17ROCPRIM_400000_NS6detail17trampoline_kernelINS0_14default_configENS1_25partition_config_selectorILNS1_17partition_subalgoE5EsNS0_10empty_typeEbEEZZNS1_14partition_implILS5_5ELb0ES3_mN6thrust23THRUST_200600_302600_NS6detail15normal_iteratorINSA_10device_ptrIsEEEEPS6_NSA_18transform_iteratorINSB_9not_fun_tINSA_8identityIsEEEESF_NSA_11use_defaultESM_EENS0_5tupleIJSF_S6_EEENSO_IJSG_SG_EEES6_PlJS6_EEE10hipError_tPvRmT3_T4_T5_T6_T7_T9_mT8_P12ihipStream_tbDpT10_ENKUlT_T0_E_clISt17integral_constantIbLb0EES1B_EEDaS16_S17_EUlS16_E_NS1_11comp_targetILNS1_3genE4ELNS1_11target_archE910ELNS1_3gpuE8ELNS1_3repE0EEENS1_30default_config_static_selectorELNS0_4arch9wavefront6targetE0EEEvT1_ ; -- Begin function _ZN7rocprim17ROCPRIM_400000_NS6detail17trampoline_kernelINS0_14default_configENS1_25partition_config_selectorILNS1_17partition_subalgoE5EsNS0_10empty_typeEbEEZZNS1_14partition_implILS5_5ELb0ES3_mN6thrust23THRUST_200600_302600_NS6detail15normal_iteratorINSA_10device_ptrIsEEEEPS6_NSA_18transform_iteratorINSB_9not_fun_tINSA_8identityIsEEEESF_NSA_11use_defaultESM_EENS0_5tupleIJSF_S6_EEENSO_IJSG_SG_EEES6_PlJS6_EEE10hipError_tPvRmT3_T4_T5_T6_T7_T9_mT8_P12ihipStream_tbDpT10_ENKUlT_T0_E_clISt17integral_constantIbLb0EES1B_EEDaS16_S17_EUlS16_E_NS1_11comp_targetILNS1_3genE4ELNS1_11target_archE910ELNS1_3gpuE8ELNS1_3repE0EEENS1_30default_config_static_selectorELNS0_4arch9wavefront6targetE0EEEvT1_
	.globl	_ZN7rocprim17ROCPRIM_400000_NS6detail17trampoline_kernelINS0_14default_configENS1_25partition_config_selectorILNS1_17partition_subalgoE5EsNS0_10empty_typeEbEEZZNS1_14partition_implILS5_5ELb0ES3_mN6thrust23THRUST_200600_302600_NS6detail15normal_iteratorINSA_10device_ptrIsEEEEPS6_NSA_18transform_iteratorINSB_9not_fun_tINSA_8identityIsEEEESF_NSA_11use_defaultESM_EENS0_5tupleIJSF_S6_EEENSO_IJSG_SG_EEES6_PlJS6_EEE10hipError_tPvRmT3_T4_T5_T6_T7_T9_mT8_P12ihipStream_tbDpT10_ENKUlT_T0_E_clISt17integral_constantIbLb0EES1B_EEDaS16_S17_EUlS16_E_NS1_11comp_targetILNS1_3genE4ELNS1_11target_archE910ELNS1_3gpuE8ELNS1_3repE0EEENS1_30default_config_static_selectorELNS0_4arch9wavefront6targetE0EEEvT1_
	.p2align	8
	.type	_ZN7rocprim17ROCPRIM_400000_NS6detail17trampoline_kernelINS0_14default_configENS1_25partition_config_selectorILNS1_17partition_subalgoE5EsNS0_10empty_typeEbEEZZNS1_14partition_implILS5_5ELb0ES3_mN6thrust23THRUST_200600_302600_NS6detail15normal_iteratorINSA_10device_ptrIsEEEEPS6_NSA_18transform_iteratorINSB_9not_fun_tINSA_8identityIsEEEESF_NSA_11use_defaultESM_EENS0_5tupleIJSF_S6_EEENSO_IJSG_SG_EEES6_PlJS6_EEE10hipError_tPvRmT3_T4_T5_T6_T7_T9_mT8_P12ihipStream_tbDpT10_ENKUlT_T0_E_clISt17integral_constantIbLb0EES1B_EEDaS16_S17_EUlS16_E_NS1_11comp_targetILNS1_3genE4ELNS1_11target_archE910ELNS1_3gpuE8ELNS1_3repE0EEENS1_30default_config_static_selectorELNS0_4arch9wavefront6targetE0EEEvT1_,@function
_ZN7rocprim17ROCPRIM_400000_NS6detail17trampoline_kernelINS0_14default_configENS1_25partition_config_selectorILNS1_17partition_subalgoE5EsNS0_10empty_typeEbEEZZNS1_14partition_implILS5_5ELb0ES3_mN6thrust23THRUST_200600_302600_NS6detail15normal_iteratorINSA_10device_ptrIsEEEEPS6_NSA_18transform_iteratorINSB_9not_fun_tINSA_8identityIsEEEESF_NSA_11use_defaultESM_EENS0_5tupleIJSF_S6_EEENSO_IJSG_SG_EEES6_PlJS6_EEE10hipError_tPvRmT3_T4_T5_T6_T7_T9_mT8_P12ihipStream_tbDpT10_ENKUlT_T0_E_clISt17integral_constantIbLb0EES1B_EEDaS16_S17_EUlS16_E_NS1_11comp_targetILNS1_3genE4ELNS1_11target_archE910ELNS1_3gpuE8ELNS1_3repE0EEENS1_30default_config_static_selectorELNS0_4arch9wavefront6targetE0EEEvT1_: ; @_ZN7rocprim17ROCPRIM_400000_NS6detail17trampoline_kernelINS0_14default_configENS1_25partition_config_selectorILNS1_17partition_subalgoE5EsNS0_10empty_typeEbEEZZNS1_14partition_implILS5_5ELb0ES3_mN6thrust23THRUST_200600_302600_NS6detail15normal_iteratorINSA_10device_ptrIsEEEEPS6_NSA_18transform_iteratorINSB_9not_fun_tINSA_8identityIsEEEESF_NSA_11use_defaultESM_EENS0_5tupleIJSF_S6_EEENSO_IJSG_SG_EEES6_PlJS6_EEE10hipError_tPvRmT3_T4_T5_T6_T7_T9_mT8_P12ihipStream_tbDpT10_ENKUlT_T0_E_clISt17integral_constantIbLb0EES1B_EEDaS16_S17_EUlS16_E_NS1_11comp_targetILNS1_3genE4ELNS1_11target_archE910ELNS1_3gpuE8ELNS1_3repE0EEENS1_30default_config_static_selectorELNS0_4arch9wavefront6targetE0EEEvT1_
; %bb.0:
	.section	.rodata,"a",@progbits
	.p2align	6, 0x0
	.amdhsa_kernel _ZN7rocprim17ROCPRIM_400000_NS6detail17trampoline_kernelINS0_14default_configENS1_25partition_config_selectorILNS1_17partition_subalgoE5EsNS0_10empty_typeEbEEZZNS1_14partition_implILS5_5ELb0ES3_mN6thrust23THRUST_200600_302600_NS6detail15normal_iteratorINSA_10device_ptrIsEEEEPS6_NSA_18transform_iteratorINSB_9not_fun_tINSA_8identityIsEEEESF_NSA_11use_defaultESM_EENS0_5tupleIJSF_S6_EEENSO_IJSG_SG_EEES6_PlJS6_EEE10hipError_tPvRmT3_T4_T5_T6_T7_T9_mT8_P12ihipStream_tbDpT10_ENKUlT_T0_E_clISt17integral_constantIbLb0EES1B_EEDaS16_S17_EUlS16_E_NS1_11comp_targetILNS1_3genE4ELNS1_11target_archE910ELNS1_3gpuE8ELNS1_3repE0EEENS1_30default_config_static_selectorELNS0_4arch9wavefront6targetE0EEEvT1_
		.amdhsa_group_segment_fixed_size 0
		.amdhsa_private_segment_fixed_size 0
		.amdhsa_kernarg_size 120
		.amdhsa_user_sgpr_count 2
		.amdhsa_user_sgpr_dispatch_ptr 0
		.amdhsa_user_sgpr_queue_ptr 0
		.amdhsa_user_sgpr_kernarg_segment_ptr 1
		.amdhsa_user_sgpr_dispatch_id 0
		.amdhsa_user_sgpr_private_segment_size 0
		.amdhsa_wavefront_size32 1
		.amdhsa_uses_dynamic_stack 0
		.amdhsa_enable_private_segment 0
		.amdhsa_system_sgpr_workgroup_id_x 1
		.amdhsa_system_sgpr_workgroup_id_y 0
		.amdhsa_system_sgpr_workgroup_id_z 0
		.amdhsa_system_sgpr_workgroup_info 0
		.amdhsa_system_vgpr_workitem_id 0
		.amdhsa_next_free_vgpr 1
		.amdhsa_next_free_sgpr 1
		.amdhsa_reserve_vcc 0
		.amdhsa_float_round_mode_32 0
		.amdhsa_float_round_mode_16_64 0
		.amdhsa_float_denorm_mode_32 3
		.amdhsa_float_denorm_mode_16_64 3
		.amdhsa_fp16_overflow 0
		.amdhsa_workgroup_processor_mode 1
		.amdhsa_memory_ordered 1
		.amdhsa_forward_progress 1
		.amdhsa_inst_pref_size 0
		.amdhsa_round_robin_scheduling 0
		.amdhsa_exception_fp_ieee_invalid_op 0
		.amdhsa_exception_fp_denorm_src 0
		.amdhsa_exception_fp_ieee_div_zero 0
		.amdhsa_exception_fp_ieee_overflow 0
		.amdhsa_exception_fp_ieee_underflow 0
		.amdhsa_exception_fp_ieee_inexact 0
		.amdhsa_exception_int_div_zero 0
	.end_amdhsa_kernel
	.section	.text._ZN7rocprim17ROCPRIM_400000_NS6detail17trampoline_kernelINS0_14default_configENS1_25partition_config_selectorILNS1_17partition_subalgoE5EsNS0_10empty_typeEbEEZZNS1_14partition_implILS5_5ELb0ES3_mN6thrust23THRUST_200600_302600_NS6detail15normal_iteratorINSA_10device_ptrIsEEEEPS6_NSA_18transform_iteratorINSB_9not_fun_tINSA_8identityIsEEEESF_NSA_11use_defaultESM_EENS0_5tupleIJSF_S6_EEENSO_IJSG_SG_EEES6_PlJS6_EEE10hipError_tPvRmT3_T4_T5_T6_T7_T9_mT8_P12ihipStream_tbDpT10_ENKUlT_T0_E_clISt17integral_constantIbLb0EES1B_EEDaS16_S17_EUlS16_E_NS1_11comp_targetILNS1_3genE4ELNS1_11target_archE910ELNS1_3gpuE8ELNS1_3repE0EEENS1_30default_config_static_selectorELNS0_4arch9wavefront6targetE0EEEvT1_,"axG",@progbits,_ZN7rocprim17ROCPRIM_400000_NS6detail17trampoline_kernelINS0_14default_configENS1_25partition_config_selectorILNS1_17partition_subalgoE5EsNS0_10empty_typeEbEEZZNS1_14partition_implILS5_5ELb0ES3_mN6thrust23THRUST_200600_302600_NS6detail15normal_iteratorINSA_10device_ptrIsEEEEPS6_NSA_18transform_iteratorINSB_9not_fun_tINSA_8identityIsEEEESF_NSA_11use_defaultESM_EENS0_5tupleIJSF_S6_EEENSO_IJSG_SG_EEES6_PlJS6_EEE10hipError_tPvRmT3_T4_T5_T6_T7_T9_mT8_P12ihipStream_tbDpT10_ENKUlT_T0_E_clISt17integral_constantIbLb0EES1B_EEDaS16_S17_EUlS16_E_NS1_11comp_targetILNS1_3genE4ELNS1_11target_archE910ELNS1_3gpuE8ELNS1_3repE0EEENS1_30default_config_static_selectorELNS0_4arch9wavefront6targetE0EEEvT1_,comdat
.Lfunc_end1015:
	.size	_ZN7rocprim17ROCPRIM_400000_NS6detail17trampoline_kernelINS0_14default_configENS1_25partition_config_selectorILNS1_17partition_subalgoE5EsNS0_10empty_typeEbEEZZNS1_14partition_implILS5_5ELb0ES3_mN6thrust23THRUST_200600_302600_NS6detail15normal_iteratorINSA_10device_ptrIsEEEEPS6_NSA_18transform_iteratorINSB_9not_fun_tINSA_8identityIsEEEESF_NSA_11use_defaultESM_EENS0_5tupleIJSF_S6_EEENSO_IJSG_SG_EEES6_PlJS6_EEE10hipError_tPvRmT3_T4_T5_T6_T7_T9_mT8_P12ihipStream_tbDpT10_ENKUlT_T0_E_clISt17integral_constantIbLb0EES1B_EEDaS16_S17_EUlS16_E_NS1_11comp_targetILNS1_3genE4ELNS1_11target_archE910ELNS1_3gpuE8ELNS1_3repE0EEENS1_30default_config_static_selectorELNS0_4arch9wavefront6targetE0EEEvT1_, .Lfunc_end1015-_ZN7rocprim17ROCPRIM_400000_NS6detail17trampoline_kernelINS0_14default_configENS1_25partition_config_selectorILNS1_17partition_subalgoE5EsNS0_10empty_typeEbEEZZNS1_14partition_implILS5_5ELb0ES3_mN6thrust23THRUST_200600_302600_NS6detail15normal_iteratorINSA_10device_ptrIsEEEEPS6_NSA_18transform_iteratorINSB_9not_fun_tINSA_8identityIsEEEESF_NSA_11use_defaultESM_EENS0_5tupleIJSF_S6_EEENSO_IJSG_SG_EEES6_PlJS6_EEE10hipError_tPvRmT3_T4_T5_T6_T7_T9_mT8_P12ihipStream_tbDpT10_ENKUlT_T0_E_clISt17integral_constantIbLb0EES1B_EEDaS16_S17_EUlS16_E_NS1_11comp_targetILNS1_3genE4ELNS1_11target_archE910ELNS1_3gpuE8ELNS1_3repE0EEENS1_30default_config_static_selectorELNS0_4arch9wavefront6targetE0EEEvT1_
                                        ; -- End function
	.set _ZN7rocprim17ROCPRIM_400000_NS6detail17trampoline_kernelINS0_14default_configENS1_25partition_config_selectorILNS1_17partition_subalgoE5EsNS0_10empty_typeEbEEZZNS1_14partition_implILS5_5ELb0ES3_mN6thrust23THRUST_200600_302600_NS6detail15normal_iteratorINSA_10device_ptrIsEEEEPS6_NSA_18transform_iteratorINSB_9not_fun_tINSA_8identityIsEEEESF_NSA_11use_defaultESM_EENS0_5tupleIJSF_S6_EEENSO_IJSG_SG_EEES6_PlJS6_EEE10hipError_tPvRmT3_T4_T5_T6_T7_T9_mT8_P12ihipStream_tbDpT10_ENKUlT_T0_E_clISt17integral_constantIbLb0EES1B_EEDaS16_S17_EUlS16_E_NS1_11comp_targetILNS1_3genE4ELNS1_11target_archE910ELNS1_3gpuE8ELNS1_3repE0EEENS1_30default_config_static_selectorELNS0_4arch9wavefront6targetE0EEEvT1_.num_vgpr, 0
	.set _ZN7rocprim17ROCPRIM_400000_NS6detail17trampoline_kernelINS0_14default_configENS1_25partition_config_selectorILNS1_17partition_subalgoE5EsNS0_10empty_typeEbEEZZNS1_14partition_implILS5_5ELb0ES3_mN6thrust23THRUST_200600_302600_NS6detail15normal_iteratorINSA_10device_ptrIsEEEEPS6_NSA_18transform_iteratorINSB_9not_fun_tINSA_8identityIsEEEESF_NSA_11use_defaultESM_EENS0_5tupleIJSF_S6_EEENSO_IJSG_SG_EEES6_PlJS6_EEE10hipError_tPvRmT3_T4_T5_T6_T7_T9_mT8_P12ihipStream_tbDpT10_ENKUlT_T0_E_clISt17integral_constantIbLb0EES1B_EEDaS16_S17_EUlS16_E_NS1_11comp_targetILNS1_3genE4ELNS1_11target_archE910ELNS1_3gpuE8ELNS1_3repE0EEENS1_30default_config_static_selectorELNS0_4arch9wavefront6targetE0EEEvT1_.num_agpr, 0
	.set _ZN7rocprim17ROCPRIM_400000_NS6detail17trampoline_kernelINS0_14default_configENS1_25partition_config_selectorILNS1_17partition_subalgoE5EsNS0_10empty_typeEbEEZZNS1_14partition_implILS5_5ELb0ES3_mN6thrust23THRUST_200600_302600_NS6detail15normal_iteratorINSA_10device_ptrIsEEEEPS6_NSA_18transform_iteratorINSB_9not_fun_tINSA_8identityIsEEEESF_NSA_11use_defaultESM_EENS0_5tupleIJSF_S6_EEENSO_IJSG_SG_EEES6_PlJS6_EEE10hipError_tPvRmT3_T4_T5_T6_T7_T9_mT8_P12ihipStream_tbDpT10_ENKUlT_T0_E_clISt17integral_constantIbLb0EES1B_EEDaS16_S17_EUlS16_E_NS1_11comp_targetILNS1_3genE4ELNS1_11target_archE910ELNS1_3gpuE8ELNS1_3repE0EEENS1_30default_config_static_selectorELNS0_4arch9wavefront6targetE0EEEvT1_.numbered_sgpr, 0
	.set _ZN7rocprim17ROCPRIM_400000_NS6detail17trampoline_kernelINS0_14default_configENS1_25partition_config_selectorILNS1_17partition_subalgoE5EsNS0_10empty_typeEbEEZZNS1_14partition_implILS5_5ELb0ES3_mN6thrust23THRUST_200600_302600_NS6detail15normal_iteratorINSA_10device_ptrIsEEEEPS6_NSA_18transform_iteratorINSB_9not_fun_tINSA_8identityIsEEEESF_NSA_11use_defaultESM_EENS0_5tupleIJSF_S6_EEENSO_IJSG_SG_EEES6_PlJS6_EEE10hipError_tPvRmT3_T4_T5_T6_T7_T9_mT8_P12ihipStream_tbDpT10_ENKUlT_T0_E_clISt17integral_constantIbLb0EES1B_EEDaS16_S17_EUlS16_E_NS1_11comp_targetILNS1_3genE4ELNS1_11target_archE910ELNS1_3gpuE8ELNS1_3repE0EEENS1_30default_config_static_selectorELNS0_4arch9wavefront6targetE0EEEvT1_.num_named_barrier, 0
	.set _ZN7rocprim17ROCPRIM_400000_NS6detail17trampoline_kernelINS0_14default_configENS1_25partition_config_selectorILNS1_17partition_subalgoE5EsNS0_10empty_typeEbEEZZNS1_14partition_implILS5_5ELb0ES3_mN6thrust23THRUST_200600_302600_NS6detail15normal_iteratorINSA_10device_ptrIsEEEEPS6_NSA_18transform_iteratorINSB_9not_fun_tINSA_8identityIsEEEESF_NSA_11use_defaultESM_EENS0_5tupleIJSF_S6_EEENSO_IJSG_SG_EEES6_PlJS6_EEE10hipError_tPvRmT3_T4_T5_T6_T7_T9_mT8_P12ihipStream_tbDpT10_ENKUlT_T0_E_clISt17integral_constantIbLb0EES1B_EEDaS16_S17_EUlS16_E_NS1_11comp_targetILNS1_3genE4ELNS1_11target_archE910ELNS1_3gpuE8ELNS1_3repE0EEENS1_30default_config_static_selectorELNS0_4arch9wavefront6targetE0EEEvT1_.private_seg_size, 0
	.set _ZN7rocprim17ROCPRIM_400000_NS6detail17trampoline_kernelINS0_14default_configENS1_25partition_config_selectorILNS1_17partition_subalgoE5EsNS0_10empty_typeEbEEZZNS1_14partition_implILS5_5ELb0ES3_mN6thrust23THRUST_200600_302600_NS6detail15normal_iteratorINSA_10device_ptrIsEEEEPS6_NSA_18transform_iteratorINSB_9not_fun_tINSA_8identityIsEEEESF_NSA_11use_defaultESM_EENS0_5tupleIJSF_S6_EEENSO_IJSG_SG_EEES6_PlJS6_EEE10hipError_tPvRmT3_T4_T5_T6_T7_T9_mT8_P12ihipStream_tbDpT10_ENKUlT_T0_E_clISt17integral_constantIbLb0EES1B_EEDaS16_S17_EUlS16_E_NS1_11comp_targetILNS1_3genE4ELNS1_11target_archE910ELNS1_3gpuE8ELNS1_3repE0EEENS1_30default_config_static_selectorELNS0_4arch9wavefront6targetE0EEEvT1_.uses_vcc, 0
	.set _ZN7rocprim17ROCPRIM_400000_NS6detail17trampoline_kernelINS0_14default_configENS1_25partition_config_selectorILNS1_17partition_subalgoE5EsNS0_10empty_typeEbEEZZNS1_14partition_implILS5_5ELb0ES3_mN6thrust23THRUST_200600_302600_NS6detail15normal_iteratorINSA_10device_ptrIsEEEEPS6_NSA_18transform_iteratorINSB_9not_fun_tINSA_8identityIsEEEESF_NSA_11use_defaultESM_EENS0_5tupleIJSF_S6_EEENSO_IJSG_SG_EEES6_PlJS6_EEE10hipError_tPvRmT3_T4_T5_T6_T7_T9_mT8_P12ihipStream_tbDpT10_ENKUlT_T0_E_clISt17integral_constantIbLb0EES1B_EEDaS16_S17_EUlS16_E_NS1_11comp_targetILNS1_3genE4ELNS1_11target_archE910ELNS1_3gpuE8ELNS1_3repE0EEENS1_30default_config_static_selectorELNS0_4arch9wavefront6targetE0EEEvT1_.uses_flat_scratch, 0
	.set _ZN7rocprim17ROCPRIM_400000_NS6detail17trampoline_kernelINS0_14default_configENS1_25partition_config_selectorILNS1_17partition_subalgoE5EsNS0_10empty_typeEbEEZZNS1_14partition_implILS5_5ELb0ES3_mN6thrust23THRUST_200600_302600_NS6detail15normal_iteratorINSA_10device_ptrIsEEEEPS6_NSA_18transform_iteratorINSB_9not_fun_tINSA_8identityIsEEEESF_NSA_11use_defaultESM_EENS0_5tupleIJSF_S6_EEENSO_IJSG_SG_EEES6_PlJS6_EEE10hipError_tPvRmT3_T4_T5_T6_T7_T9_mT8_P12ihipStream_tbDpT10_ENKUlT_T0_E_clISt17integral_constantIbLb0EES1B_EEDaS16_S17_EUlS16_E_NS1_11comp_targetILNS1_3genE4ELNS1_11target_archE910ELNS1_3gpuE8ELNS1_3repE0EEENS1_30default_config_static_selectorELNS0_4arch9wavefront6targetE0EEEvT1_.has_dyn_sized_stack, 0
	.set _ZN7rocprim17ROCPRIM_400000_NS6detail17trampoline_kernelINS0_14default_configENS1_25partition_config_selectorILNS1_17partition_subalgoE5EsNS0_10empty_typeEbEEZZNS1_14partition_implILS5_5ELb0ES3_mN6thrust23THRUST_200600_302600_NS6detail15normal_iteratorINSA_10device_ptrIsEEEEPS6_NSA_18transform_iteratorINSB_9not_fun_tINSA_8identityIsEEEESF_NSA_11use_defaultESM_EENS0_5tupleIJSF_S6_EEENSO_IJSG_SG_EEES6_PlJS6_EEE10hipError_tPvRmT3_T4_T5_T6_T7_T9_mT8_P12ihipStream_tbDpT10_ENKUlT_T0_E_clISt17integral_constantIbLb0EES1B_EEDaS16_S17_EUlS16_E_NS1_11comp_targetILNS1_3genE4ELNS1_11target_archE910ELNS1_3gpuE8ELNS1_3repE0EEENS1_30default_config_static_selectorELNS0_4arch9wavefront6targetE0EEEvT1_.has_recursion, 0
	.set _ZN7rocprim17ROCPRIM_400000_NS6detail17trampoline_kernelINS0_14default_configENS1_25partition_config_selectorILNS1_17partition_subalgoE5EsNS0_10empty_typeEbEEZZNS1_14partition_implILS5_5ELb0ES3_mN6thrust23THRUST_200600_302600_NS6detail15normal_iteratorINSA_10device_ptrIsEEEEPS6_NSA_18transform_iteratorINSB_9not_fun_tINSA_8identityIsEEEESF_NSA_11use_defaultESM_EENS0_5tupleIJSF_S6_EEENSO_IJSG_SG_EEES6_PlJS6_EEE10hipError_tPvRmT3_T4_T5_T6_T7_T9_mT8_P12ihipStream_tbDpT10_ENKUlT_T0_E_clISt17integral_constantIbLb0EES1B_EEDaS16_S17_EUlS16_E_NS1_11comp_targetILNS1_3genE4ELNS1_11target_archE910ELNS1_3gpuE8ELNS1_3repE0EEENS1_30default_config_static_selectorELNS0_4arch9wavefront6targetE0EEEvT1_.has_indirect_call, 0
	.section	.AMDGPU.csdata,"",@progbits
; Kernel info:
; codeLenInByte = 0
; TotalNumSgprs: 0
; NumVgprs: 0
; ScratchSize: 0
; MemoryBound: 0
; FloatMode: 240
; IeeeMode: 1
; LDSByteSize: 0 bytes/workgroup (compile time only)
; SGPRBlocks: 0
; VGPRBlocks: 0
; NumSGPRsForWavesPerEU: 1
; NumVGPRsForWavesPerEU: 1
; Occupancy: 16
; WaveLimiterHint : 0
; COMPUTE_PGM_RSRC2:SCRATCH_EN: 0
; COMPUTE_PGM_RSRC2:USER_SGPR: 2
; COMPUTE_PGM_RSRC2:TRAP_HANDLER: 0
; COMPUTE_PGM_RSRC2:TGID_X_EN: 1
; COMPUTE_PGM_RSRC2:TGID_Y_EN: 0
; COMPUTE_PGM_RSRC2:TGID_Z_EN: 0
; COMPUTE_PGM_RSRC2:TIDIG_COMP_CNT: 0
	.section	.text._ZN7rocprim17ROCPRIM_400000_NS6detail17trampoline_kernelINS0_14default_configENS1_25partition_config_selectorILNS1_17partition_subalgoE5EsNS0_10empty_typeEbEEZZNS1_14partition_implILS5_5ELb0ES3_mN6thrust23THRUST_200600_302600_NS6detail15normal_iteratorINSA_10device_ptrIsEEEEPS6_NSA_18transform_iteratorINSB_9not_fun_tINSA_8identityIsEEEESF_NSA_11use_defaultESM_EENS0_5tupleIJSF_S6_EEENSO_IJSG_SG_EEES6_PlJS6_EEE10hipError_tPvRmT3_T4_T5_T6_T7_T9_mT8_P12ihipStream_tbDpT10_ENKUlT_T0_E_clISt17integral_constantIbLb0EES1B_EEDaS16_S17_EUlS16_E_NS1_11comp_targetILNS1_3genE3ELNS1_11target_archE908ELNS1_3gpuE7ELNS1_3repE0EEENS1_30default_config_static_selectorELNS0_4arch9wavefront6targetE0EEEvT1_,"axG",@progbits,_ZN7rocprim17ROCPRIM_400000_NS6detail17trampoline_kernelINS0_14default_configENS1_25partition_config_selectorILNS1_17partition_subalgoE5EsNS0_10empty_typeEbEEZZNS1_14partition_implILS5_5ELb0ES3_mN6thrust23THRUST_200600_302600_NS6detail15normal_iteratorINSA_10device_ptrIsEEEEPS6_NSA_18transform_iteratorINSB_9not_fun_tINSA_8identityIsEEEESF_NSA_11use_defaultESM_EENS0_5tupleIJSF_S6_EEENSO_IJSG_SG_EEES6_PlJS6_EEE10hipError_tPvRmT3_T4_T5_T6_T7_T9_mT8_P12ihipStream_tbDpT10_ENKUlT_T0_E_clISt17integral_constantIbLb0EES1B_EEDaS16_S17_EUlS16_E_NS1_11comp_targetILNS1_3genE3ELNS1_11target_archE908ELNS1_3gpuE7ELNS1_3repE0EEENS1_30default_config_static_selectorELNS0_4arch9wavefront6targetE0EEEvT1_,comdat
	.protected	_ZN7rocprim17ROCPRIM_400000_NS6detail17trampoline_kernelINS0_14default_configENS1_25partition_config_selectorILNS1_17partition_subalgoE5EsNS0_10empty_typeEbEEZZNS1_14partition_implILS5_5ELb0ES3_mN6thrust23THRUST_200600_302600_NS6detail15normal_iteratorINSA_10device_ptrIsEEEEPS6_NSA_18transform_iteratorINSB_9not_fun_tINSA_8identityIsEEEESF_NSA_11use_defaultESM_EENS0_5tupleIJSF_S6_EEENSO_IJSG_SG_EEES6_PlJS6_EEE10hipError_tPvRmT3_T4_T5_T6_T7_T9_mT8_P12ihipStream_tbDpT10_ENKUlT_T0_E_clISt17integral_constantIbLb0EES1B_EEDaS16_S17_EUlS16_E_NS1_11comp_targetILNS1_3genE3ELNS1_11target_archE908ELNS1_3gpuE7ELNS1_3repE0EEENS1_30default_config_static_selectorELNS0_4arch9wavefront6targetE0EEEvT1_ ; -- Begin function _ZN7rocprim17ROCPRIM_400000_NS6detail17trampoline_kernelINS0_14default_configENS1_25partition_config_selectorILNS1_17partition_subalgoE5EsNS0_10empty_typeEbEEZZNS1_14partition_implILS5_5ELb0ES3_mN6thrust23THRUST_200600_302600_NS6detail15normal_iteratorINSA_10device_ptrIsEEEEPS6_NSA_18transform_iteratorINSB_9not_fun_tINSA_8identityIsEEEESF_NSA_11use_defaultESM_EENS0_5tupleIJSF_S6_EEENSO_IJSG_SG_EEES6_PlJS6_EEE10hipError_tPvRmT3_T4_T5_T6_T7_T9_mT8_P12ihipStream_tbDpT10_ENKUlT_T0_E_clISt17integral_constantIbLb0EES1B_EEDaS16_S17_EUlS16_E_NS1_11comp_targetILNS1_3genE3ELNS1_11target_archE908ELNS1_3gpuE7ELNS1_3repE0EEENS1_30default_config_static_selectorELNS0_4arch9wavefront6targetE0EEEvT1_
	.globl	_ZN7rocprim17ROCPRIM_400000_NS6detail17trampoline_kernelINS0_14default_configENS1_25partition_config_selectorILNS1_17partition_subalgoE5EsNS0_10empty_typeEbEEZZNS1_14partition_implILS5_5ELb0ES3_mN6thrust23THRUST_200600_302600_NS6detail15normal_iteratorINSA_10device_ptrIsEEEEPS6_NSA_18transform_iteratorINSB_9not_fun_tINSA_8identityIsEEEESF_NSA_11use_defaultESM_EENS0_5tupleIJSF_S6_EEENSO_IJSG_SG_EEES6_PlJS6_EEE10hipError_tPvRmT3_T4_T5_T6_T7_T9_mT8_P12ihipStream_tbDpT10_ENKUlT_T0_E_clISt17integral_constantIbLb0EES1B_EEDaS16_S17_EUlS16_E_NS1_11comp_targetILNS1_3genE3ELNS1_11target_archE908ELNS1_3gpuE7ELNS1_3repE0EEENS1_30default_config_static_selectorELNS0_4arch9wavefront6targetE0EEEvT1_
	.p2align	8
	.type	_ZN7rocprim17ROCPRIM_400000_NS6detail17trampoline_kernelINS0_14default_configENS1_25partition_config_selectorILNS1_17partition_subalgoE5EsNS0_10empty_typeEbEEZZNS1_14partition_implILS5_5ELb0ES3_mN6thrust23THRUST_200600_302600_NS6detail15normal_iteratorINSA_10device_ptrIsEEEEPS6_NSA_18transform_iteratorINSB_9not_fun_tINSA_8identityIsEEEESF_NSA_11use_defaultESM_EENS0_5tupleIJSF_S6_EEENSO_IJSG_SG_EEES6_PlJS6_EEE10hipError_tPvRmT3_T4_T5_T6_T7_T9_mT8_P12ihipStream_tbDpT10_ENKUlT_T0_E_clISt17integral_constantIbLb0EES1B_EEDaS16_S17_EUlS16_E_NS1_11comp_targetILNS1_3genE3ELNS1_11target_archE908ELNS1_3gpuE7ELNS1_3repE0EEENS1_30default_config_static_selectorELNS0_4arch9wavefront6targetE0EEEvT1_,@function
_ZN7rocprim17ROCPRIM_400000_NS6detail17trampoline_kernelINS0_14default_configENS1_25partition_config_selectorILNS1_17partition_subalgoE5EsNS0_10empty_typeEbEEZZNS1_14partition_implILS5_5ELb0ES3_mN6thrust23THRUST_200600_302600_NS6detail15normal_iteratorINSA_10device_ptrIsEEEEPS6_NSA_18transform_iteratorINSB_9not_fun_tINSA_8identityIsEEEESF_NSA_11use_defaultESM_EENS0_5tupleIJSF_S6_EEENSO_IJSG_SG_EEES6_PlJS6_EEE10hipError_tPvRmT3_T4_T5_T6_T7_T9_mT8_P12ihipStream_tbDpT10_ENKUlT_T0_E_clISt17integral_constantIbLb0EES1B_EEDaS16_S17_EUlS16_E_NS1_11comp_targetILNS1_3genE3ELNS1_11target_archE908ELNS1_3gpuE7ELNS1_3repE0EEENS1_30default_config_static_selectorELNS0_4arch9wavefront6targetE0EEEvT1_: ; @_ZN7rocprim17ROCPRIM_400000_NS6detail17trampoline_kernelINS0_14default_configENS1_25partition_config_selectorILNS1_17partition_subalgoE5EsNS0_10empty_typeEbEEZZNS1_14partition_implILS5_5ELb0ES3_mN6thrust23THRUST_200600_302600_NS6detail15normal_iteratorINSA_10device_ptrIsEEEEPS6_NSA_18transform_iteratorINSB_9not_fun_tINSA_8identityIsEEEESF_NSA_11use_defaultESM_EENS0_5tupleIJSF_S6_EEENSO_IJSG_SG_EEES6_PlJS6_EEE10hipError_tPvRmT3_T4_T5_T6_T7_T9_mT8_P12ihipStream_tbDpT10_ENKUlT_T0_E_clISt17integral_constantIbLb0EES1B_EEDaS16_S17_EUlS16_E_NS1_11comp_targetILNS1_3genE3ELNS1_11target_archE908ELNS1_3gpuE7ELNS1_3repE0EEENS1_30default_config_static_selectorELNS0_4arch9wavefront6targetE0EEEvT1_
; %bb.0:
	.section	.rodata,"a",@progbits
	.p2align	6, 0x0
	.amdhsa_kernel _ZN7rocprim17ROCPRIM_400000_NS6detail17trampoline_kernelINS0_14default_configENS1_25partition_config_selectorILNS1_17partition_subalgoE5EsNS0_10empty_typeEbEEZZNS1_14partition_implILS5_5ELb0ES3_mN6thrust23THRUST_200600_302600_NS6detail15normal_iteratorINSA_10device_ptrIsEEEEPS6_NSA_18transform_iteratorINSB_9not_fun_tINSA_8identityIsEEEESF_NSA_11use_defaultESM_EENS0_5tupleIJSF_S6_EEENSO_IJSG_SG_EEES6_PlJS6_EEE10hipError_tPvRmT3_T4_T5_T6_T7_T9_mT8_P12ihipStream_tbDpT10_ENKUlT_T0_E_clISt17integral_constantIbLb0EES1B_EEDaS16_S17_EUlS16_E_NS1_11comp_targetILNS1_3genE3ELNS1_11target_archE908ELNS1_3gpuE7ELNS1_3repE0EEENS1_30default_config_static_selectorELNS0_4arch9wavefront6targetE0EEEvT1_
		.amdhsa_group_segment_fixed_size 0
		.amdhsa_private_segment_fixed_size 0
		.amdhsa_kernarg_size 120
		.amdhsa_user_sgpr_count 2
		.amdhsa_user_sgpr_dispatch_ptr 0
		.amdhsa_user_sgpr_queue_ptr 0
		.amdhsa_user_sgpr_kernarg_segment_ptr 1
		.amdhsa_user_sgpr_dispatch_id 0
		.amdhsa_user_sgpr_private_segment_size 0
		.amdhsa_wavefront_size32 1
		.amdhsa_uses_dynamic_stack 0
		.amdhsa_enable_private_segment 0
		.amdhsa_system_sgpr_workgroup_id_x 1
		.amdhsa_system_sgpr_workgroup_id_y 0
		.amdhsa_system_sgpr_workgroup_id_z 0
		.amdhsa_system_sgpr_workgroup_info 0
		.amdhsa_system_vgpr_workitem_id 0
		.amdhsa_next_free_vgpr 1
		.amdhsa_next_free_sgpr 1
		.amdhsa_reserve_vcc 0
		.amdhsa_float_round_mode_32 0
		.amdhsa_float_round_mode_16_64 0
		.amdhsa_float_denorm_mode_32 3
		.amdhsa_float_denorm_mode_16_64 3
		.amdhsa_fp16_overflow 0
		.amdhsa_workgroup_processor_mode 1
		.amdhsa_memory_ordered 1
		.amdhsa_forward_progress 1
		.amdhsa_inst_pref_size 0
		.amdhsa_round_robin_scheduling 0
		.amdhsa_exception_fp_ieee_invalid_op 0
		.amdhsa_exception_fp_denorm_src 0
		.amdhsa_exception_fp_ieee_div_zero 0
		.amdhsa_exception_fp_ieee_overflow 0
		.amdhsa_exception_fp_ieee_underflow 0
		.amdhsa_exception_fp_ieee_inexact 0
		.amdhsa_exception_int_div_zero 0
	.end_amdhsa_kernel
	.section	.text._ZN7rocprim17ROCPRIM_400000_NS6detail17trampoline_kernelINS0_14default_configENS1_25partition_config_selectorILNS1_17partition_subalgoE5EsNS0_10empty_typeEbEEZZNS1_14partition_implILS5_5ELb0ES3_mN6thrust23THRUST_200600_302600_NS6detail15normal_iteratorINSA_10device_ptrIsEEEEPS6_NSA_18transform_iteratorINSB_9not_fun_tINSA_8identityIsEEEESF_NSA_11use_defaultESM_EENS0_5tupleIJSF_S6_EEENSO_IJSG_SG_EEES6_PlJS6_EEE10hipError_tPvRmT3_T4_T5_T6_T7_T9_mT8_P12ihipStream_tbDpT10_ENKUlT_T0_E_clISt17integral_constantIbLb0EES1B_EEDaS16_S17_EUlS16_E_NS1_11comp_targetILNS1_3genE3ELNS1_11target_archE908ELNS1_3gpuE7ELNS1_3repE0EEENS1_30default_config_static_selectorELNS0_4arch9wavefront6targetE0EEEvT1_,"axG",@progbits,_ZN7rocprim17ROCPRIM_400000_NS6detail17trampoline_kernelINS0_14default_configENS1_25partition_config_selectorILNS1_17partition_subalgoE5EsNS0_10empty_typeEbEEZZNS1_14partition_implILS5_5ELb0ES3_mN6thrust23THRUST_200600_302600_NS6detail15normal_iteratorINSA_10device_ptrIsEEEEPS6_NSA_18transform_iteratorINSB_9not_fun_tINSA_8identityIsEEEESF_NSA_11use_defaultESM_EENS0_5tupleIJSF_S6_EEENSO_IJSG_SG_EEES6_PlJS6_EEE10hipError_tPvRmT3_T4_T5_T6_T7_T9_mT8_P12ihipStream_tbDpT10_ENKUlT_T0_E_clISt17integral_constantIbLb0EES1B_EEDaS16_S17_EUlS16_E_NS1_11comp_targetILNS1_3genE3ELNS1_11target_archE908ELNS1_3gpuE7ELNS1_3repE0EEENS1_30default_config_static_selectorELNS0_4arch9wavefront6targetE0EEEvT1_,comdat
.Lfunc_end1016:
	.size	_ZN7rocprim17ROCPRIM_400000_NS6detail17trampoline_kernelINS0_14default_configENS1_25partition_config_selectorILNS1_17partition_subalgoE5EsNS0_10empty_typeEbEEZZNS1_14partition_implILS5_5ELb0ES3_mN6thrust23THRUST_200600_302600_NS6detail15normal_iteratorINSA_10device_ptrIsEEEEPS6_NSA_18transform_iteratorINSB_9not_fun_tINSA_8identityIsEEEESF_NSA_11use_defaultESM_EENS0_5tupleIJSF_S6_EEENSO_IJSG_SG_EEES6_PlJS6_EEE10hipError_tPvRmT3_T4_T5_T6_T7_T9_mT8_P12ihipStream_tbDpT10_ENKUlT_T0_E_clISt17integral_constantIbLb0EES1B_EEDaS16_S17_EUlS16_E_NS1_11comp_targetILNS1_3genE3ELNS1_11target_archE908ELNS1_3gpuE7ELNS1_3repE0EEENS1_30default_config_static_selectorELNS0_4arch9wavefront6targetE0EEEvT1_, .Lfunc_end1016-_ZN7rocprim17ROCPRIM_400000_NS6detail17trampoline_kernelINS0_14default_configENS1_25partition_config_selectorILNS1_17partition_subalgoE5EsNS0_10empty_typeEbEEZZNS1_14partition_implILS5_5ELb0ES3_mN6thrust23THRUST_200600_302600_NS6detail15normal_iteratorINSA_10device_ptrIsEEEEPS6_NSA_18transform_iteratorINSB_9not_fun_tINSA_8identityIsEEEESF_NSA_11use_defaultESM_EENS0_5tupleIJSF_S6_EEENSO_IJSG_SG_EEES6_PlJS6_EEE10hipError_tPvRmT3_T4_T5_T6_T7_T9_mT8_P12ihipStream_tbDpT10_ENKUlT_T0_E_clISt17integral_constantIbLb0EES1B_EEDaS16_S17_EUlS16_E_NS1_11comp_targetILNS1_3genE3ELNS1_11target_archE908ELNS1_3gpuE7ELNS1_3repE0EEENS1_30default_config_static_selectorELNS0_4arch9wavefront6targetE0EEEvT1_
                                        ; -- End function
	.set _ZN7rocprim17ROCPRIM_400000_NS6detail17trampoline_kernelINS0_14default_configENS1_25partition_config_selectorILNS1_17partition_subalgoE5EsNS0_10empty_typeEbEEZZNS1_14partition_implILS5_5ELb0ES3_mN6thrust23THRUST_200600_302600_NS6detail15normal_iteratorINSA_10device_ptrIsEEEEPS6_NSA_18transform_iteratorINSB_9not_fun_tINSA_8identityIsEEEESF_NSA_11use_defaultESM_EENS0_5tupleIJSF_S6_EEENSO_IJSG_SG_EEES6_PlJS6_EEE10hipError_tPvRmT3_T4_T5_T6_T7_T9_mT8_P12ihipStream_tbDpT10_ENKUlT_T0_E_clISt17integral_constantIbLb0EES1B_EEDaS16_S17_EUlS16_E_NS1_11comp_targetILNS1_3genE3ELNS1_11target_archE908ELNS1_3gpuE7ELNS1_3repE0EEENS1_30default_config_static_selectorELNS0_4arch9wavefront6targetE0EEEvT1_.num_vgpr, 0
	.set _ZN7rocprim17ROCPRIM_400000_NS6detail17trampoline_kernelINS0_14default_configENS1_25partition_config_selectorILNS1_17partition_subalgoE5EsNS0_10empty_typeEbEEZZNS1_14partition_implILS5_5ELb0ES3_mN6thrust23THRUST_200600_302600_NS6detail15normal_iteratorINSA_10device_ptrIsEEEEPS6_NSA_18transform_iteratorINSB_9not_fun_tINSA_8identityIsEEEESF_NSA_11use_defaultESM_EENS0_5tupleIJSF_S6_EEENSO_IJSG_SG_EEES6_PlJS6_EEE10hipError_tPvRmT3_T4_T5_T6_T7_T9_mT8_P12ihipStream_tbDpT10_ENKUlT_T0_E_clISt17integral_constantIbLb0EES1B_EEDaS16_S17_EUlS16_E_NS1_11comp_targetILNS1_3genE3ELNS1_11target_archE908ELNS1_3gpuE7ELNS1_3repE0EEENS1_30default_config_static_selectorELNS0_4arch9wavefront6targetE0EEEvT1_.num_agpr, 0
	.set _ZN7rocprim17ROCPRIM_400000_NS6detail17trampoline_kernelINS0_14default_configENS1_25partition_config_selectorILNS1_17partition_subalgoE5EsNS0_10empty_typeEbEEZZNS1_14partition_implILS5_5ELb0ES3_mN6thrust23THRUST_200600_302600_NS6detail15normal_iteratorINSA_10device_ptrIsEEEEPS6_NSA_18transform_iteratorINSB_9not_fun_tINSA_8identityIsEEEESF_NSA_11use_defaultESM_EENS0_5tupleIJSF_S6_EEENSO_IJSG_SG_EEES6_PlJS6_EEE10hipError_tPvRmT3_T4_T5_T6_T7_T9_mT8_P12ihipStream_tbDpT10_ENKUlT_T0_E_clISt17integral_constantIbLb0EES1B_EEDaS16_S17_EUlS16_E_NS1_11comp_targetILNS1_3genE3ELNS1_11target_archE908ELNS1_3gpuE7ELNS1_3repE0EEENS1_30default_config_static_selectorELNS0_4arch9wavefront6targetE0EEEvT1_.numbered_sgpr, 0
	.set _ZN7rocprim17ROCPRIM_400000_NS6detail17trampoline_kernelINS0_14default_configENS1_25partition_config_selectorILNS1_17partition_subalgoE5EsNS0_10empty_typeEbEEZZNS1_14partition_implILS5_5ELb0ES3_mN6thrust23THRUST_200600_302600_NS6detail15normal_iteratorINSA_10device_ptrIsEEEEPS6_NSA_18transform_iteratorINSB_9not_fun_tINSA_8identityIsEEEESF_NSA_11use_defaultESM_EENS0_5tupleIJSF_S6_EEENSO_IJSG_SG_EEES6_PlJS6_EEE10hipError_tPvRmT3_T4_T5_T6_T7_T9_mT8_P12ihipStream_tbDpT10_ENKUlT_T0_E_clISt17integral_constantIbLb0EES1B_EEDaS16_S17_EUlS16_E_NS1_11comp_targetILNS1_3genE3ELNS1_11target_archE908ELNS1_3gpuE7ELNS1_3repE0EEENS1_30default_config_static_selectorELNS0_4arch9wavefront6targetE0EEEvT1_.num_named_barrier, 0
	.set _ZN7rocprim17ROCPRIM_400000_NS6detail17trampoline_kernelINS0_14default_configENS1_25partition_config_selectorILNS1_17partition_subalgoE5EsNS0_10empty_typeEbEEZZNS1_14partition_implILS5_5ELb0ES3_mN6thrust23THRUST_200600_302600_NS6detail15normal_iteratorINSA_10device_ptrIsEEEEPS6_NSA_18transform_iteratorINSB_9not_fun_tINSA_8identityIsEEEESF_NSA_11use_defaultESM_EENS0_5tupleIJSF_S6_EEENSO_IJSG_SG_EEES6_PlJS6_EEE10hipError_tPvRmT3_T4_T5_T6_T7_T9_mT8_P12ihipStream_tbDpT10_ENKUlT_T0_E_clISt17integral_constantIbLb0EES1B_EEDaS16_S17_EUlS16_E_NS1_11comp_targetILNS1_3genE3ELNS1_11target_archE908ELNS1_3gpuE7ELNS1_3repE0EEENS1_30default_config_static_selectorELNS0_4arch9wavefront6targetE0EEEvT1_.private_seg_size, 0
	.set _ZN7rocprim17ROCPRIM_400000_NS6detail17trampoline_kernelINS0_14default_configENS1_25partition_config_selectorILNS1_17partition_subalgoE5EsNS0_10empty_typeEbEEZZNS1_14partition_implILS5_5ELb0ES3_mN6thrust23THRUST_200600_302600_NS6detail15normal_iteratorINSA_10device_ptrIsEEEEPS6_NSA_18transform_iteratorINSB_9not_fun_tINSA_8identityIsEEEESF_NSA_11use_defaultESM_EENS0_5tupleIJSF_S6_EEENSO_IJSG_SG_EEES6_PlJS6_EEE10hipError_tPvRmT3_T4_T5_T6_T7_T9_mT8_P12ihipStream_tbDpT10_ENKUlT_T0_E_clISt17integral_constantIbLb0EES1B_EEDaS16_S17_EUlS16_E_NS1_11comp_targetILNS1_3genE3ELNS1_11target_archE908ELNS1_3gpuE7ELNS1_3repE0EEENS1_30default_config_static_selectorELNS0_4arch9wavefront6targetE0EEEvT1_.uses_vcc, 0
	.set _ZN7rocprim17ROCPRIM_400000_NS6detail17trampoline_kernelINS0_14default_configENS1_25partition_config_selectorILNS1_17partition_subalgoE5EsNS0_10empty_typeEbEEZZNS1_14partition_implILS5_5ELb0ES3_mN6thrust23THRUST_200600_302600_NS6detail15normal_iteratorINSA_10device_ptrIsEEEEPS6_NSA_18transform_iteratorINSB_9not_fun_tINSA_8identityIsEEEESF_NSA_11use_defaultESM_EENS0_5tupleIJSF_S6_EEENSO_IJSG_SG_EEES6_PlJS6_EEE10hipError_tPvRmT3_T4_T5_T6_T7_T9_mT8_P12ihipStream_tbDpT10_ENKUlT_T0_E_clISt17integral_constantIbLb0EES1B_EEDaS16_S17_EUlS16_E_NS1_11comp_targetILNS1_3genE3ELNS1_11target_archE908ELNS1_3gpuE7ELNS1_3repE0EEENS1_30default_config_static_selectorELNS0_4arch9wavefront6targetE0EEEvT1_.uses_flat_scratch, 0
	.set _ZN7rocprim17ROCPRIM_400000_NS6detail17trampoline_kernelINS0_14default_configENS1_25partition_config_selectorILNS1_17partition_subalgoE5EsNS0_10empty_typeEbEEZZNS1_14partition_implILS5_5ELb0ES3_mN6thrust23THRUST_200600_302600_NS6detail15normal_iteratorINSA_10device_ptrIsEEEEPS6_NSA_18transform_iteratorINSB_9not_fun_tINSA_8identityIsEEEESF_NSA_11use_defaultESM_EENS0_5tupleIJSF_S6_EEENSO_IJSG_SG_EEES6_PlJS6_EEE10hipError_tPvRmT3_T4_T5_T6_T7_T9_mT8_P12ihipStream_tbDpT10_ENKUlT_T0_E_clISt17integral_constantIbLb0EES1B_EEDaS16_S17_EUlS16_E_NS1_11comp_targetILNS1_3genE3ELNS1_11target_archE908ELNS1_3gpuE7ELNS1_3repE0EEENS1_30default_config_static_selectorELNS0_4arch9wavefront6targetE0EEEvT1_.has_dyn_sized_stack, 0
	.set _ZN7rocprim17ROCPRIM_400000_NS6detail17trampoline_kernelINS0_14default_configENS1_25partition_config_selectorILNS1_17partition_subalgoE5EsNS0_10empty_typeEbEEZZNS1_14partition_implILS5_5ELb0ES3_mN6thrust23THRUST_200600_302600_NS6detail15normal_iteratorINSA_10device_ptrIsEEEEPS6_NSA_18transform_iteratorINSB_9not_fun_tINSA_8identityIsEEEESF_NSA_11use_defaultESM_EENS0_5tupleIJSF_S6_EEENSO_IJSG_SG_EEES6_PlJS6_EEE10hipError_tPvRmT3_T4_T5_T6_T7_T9_mT8_P12ihipStream_tbDpT10_ENKUlT_T0_E_clISt17integral_constantIbLb0EES1B_EEDaS16_S17_EUlS16_E_NS1_11comp_targetILNS1_3genE3ELNS1_11target_archE908ELNS1_3gpuE7ELNS1_3repE0EEENS1_30default_config_static_selectorELNS0_4arch9wavefront6targetE0EEEvT1_.has_recursion, 0
	.set _ZN7rocprim17ROCPRIM_400000_NS6detail17trampoline_kernelINS0_14default_configENS1_25partition_config_selectorILNS1_17partition_subalgoE5EsNS0_10empty_typeEbEEZZNS1_14partition_implILS5_5ELb0ES3_mN6thrust23THRUST_200600_302600_NS6detail15normal_iteratorINSA_10device_ptrIsEEEEPS6_NSA_18transform_iteratorINSB_9not_fun_tINSA_8identityIsEEEESF_NSA_11use_defaultESM_EENS0_5tupleIJSF_S6_EEENSO_IJSG_SG_EEES6_PlJS6_EEE10hipError_tPvRmT3_T4_T5_T6_T7_T9_mT8_P12ihipStream_tbDpT10_ENKUlT_T0_E_clISt17integral_constantIbLb0EES1B_EEDaS16_S17_EUlS16_E_NS1_11comp_targetILNS1_3genE3ELNS1_11target_archE908ELNS1_3gpuE7ELNS1_3repE0EEENS1_30default_config_static_selectorELNS0_4arch9wavefront6targetE0EEEvT1_.has_indirect_call, 0
	.section	.AMDGPU.csdata,"",@progbits
; Kernel info:
; codeLenInByte = 0
; TotalNumSgprs: 0
; NumVgprs: 0
; ScratchSize: 0
; MemoryBound: 0
; FloatMode: 240
; IeeeMode: 1
; LDSByteSize: 0 bytes/workgroup (compile time only)
; SGPRBlocks: 0
; VGPRBlocks: 0
; NumSGPRsForWavesPerEU: 1
; NumVGPRsForWavesPerEU: 1
; Occupancy: 16
; WaveLimiterHint : 0
; COMPUTE_PGM_RSRC2:SCRATCH_EN: 0
; COMPUTE_PGM_RSRC2:USER_SGPR: 2
; COMPUTE_PGM_RSRC2:TRAP_HANDLER: 0
; COMPUTE_PGM_RSRC2:TGID_X_EN: 1
; COMPUTE_PGM_RSRC2:TGID_Y_EN: 0
; COMPUTE_PGM_RSRC2:TGID_Z_EN: 0
; COMPUTE_PGM_RSRC2:TIDIG_COMP_CNT: 0
	.section	.text._ZN7rocprim17ROCPRIM_400000_NS6detail17trampoline_kernelINS0_14default_configENS1_25partition_config_selectorILNS1_17partition_subalgoE5EsNS0_10empty_typeEbEEZZNS1_14partition_implILS5_5ELb0ES3_mN6thrust23THRUST_200600_302600_NS6detail15normal_iteratorINSA_10device_ptrIsEEEEPS6_NSA_18transform_iteratorINSB_9not_fun_tINSA_8identityIsEEEESF_NSA_11use_defaultESM_EENS0_5tupleIJSF_S6_EEENSO_IJSG_SG_EEES6_PlJS6_EEE10hipError_tPvRmT3_T4_T5_T6_T7_T9_mT8_P12ihipStream_tbDpT10_ENKUlT_T0_E_clISt17integral_constantIbLb0EES1B_EEDaS16_S17_EUlS16_E_NS1_11comp_targetILNS1_3genE2ELNS1_11target_archE906ELNS1_3gpuE6ELNS1_3repE0EEENS1_30default_config_static_selectorELNS0_4arch9wavefront6targetE0EEEvT1_,"axG",@progbits,_ZN7rocprim17ROCPRIM_400000_NS6detail17trampoline_kernelINS0_14default_configENS1_25partition_config_selectorILNS1_17partition_subalgoE5EsNS0_10empty_typeEbEEZZNS1_14partition_implILS5_5ELb0ES3_mN6thrust23THRUST_200600_302600_NS6detail15normal_iteratorINSA_10device_ptrIsEEEEPS6_NSA_18transform_iteratorINSB_9not_fun_tINSA_8identityIsEEEESF_NSA_11use_defaultESM_EENS0_5tupleIJSF_S6_EEENSO_IJSG_SG_EEES6_PlJS6_EEE10hipError_tPvRmT3_T4_T5_T6_T7_T9_mT8_P12ihipStream_tbDpT10_ENKUlT_T0_E_clISt17integral_constantIbLb0EES1B_EEDaS16_S17_EUlS16_E_NS1_11comp_targetILNS1_3genE2ELNS1_11target_archE906ELNS1_3gpuE6ELNS1_3repE0EEENS1_30default_config_static_selectorELNS0_4arch9wavefront6targetE0EEEvT1_,comdat
	.protected	_ZN7rocprim17ROCPRIM_400000_NS6detail17trampoline_kernelINS0_14default_configENS1_25partition_config_selectorILNS1_17partition_subalgoE5EsNS0_10empty_typeEbEEZZNS1_14partition_implILS5_5ELb0ES3_mN6thrust23THRUST_200600_302600_NS6detail15normal_iteratorINSA_10device_ptrIsEEEEPS6_NSA_18transform_iteratorINSB_9not_fun_tINSA_8identityIsEEEESF_NSA_11use_defaultESM_EENS0_5tupleIJSF_S6_EEENSO_IJSG_SG_EEES6_PlJS6_EEE10hipError_tPvRmT3_T4_T5_T6_T7_T9_mT8_P12ihipStream_tbDpT10_ENKUlT_T0_E_clISt17integral_constantIbLb0EES1B_EEDaS16_S17_EUlS16_E_NS1_11comp_targetILNS1_3genE2ELNS1_11target_archE906ELNS1_3gpuE6ELNS1_3repE0EEENS1_30default_config_static_selectorELNS0_4arch9wavefront6targetE0EEEvT1_ ; -- Begin function _ZN7rocprim17ROCPRIM_400000_NS6detail17trampoline_kernelINS0_14default_configENS1_25partition_config_selectorILNS1_17partition_subalgoE5EsNS0_10empty_typeEbEEZZNS1_14partition_implILS5_5ELb0ES3_mN6thrust23THRUST_200600_302600_NS6detail15normal_iteratorINSA_10device_ptrIsEEEEPS6_NSA_18transform_iteratorINSB_9not_fun_tINSA_8identityIsEEEESF_NSA_11use_defaultESM_EENS0_5tupleIJSF_S6_EEENSO_IJSG_SG_EEES6_PlJS6_EEE10hipError_tPvRmT3_T4_T5_T6_T7_T9_mT8_P12ihipStream_tbDpT10_ENKUlT_T0_E_clISt17integral_constantIbLb0EES1B_EEDaS16_S17_EUlS16_E_NS1_11comp_targetILNS1_3genE2ELNS1_11target_archE906ELNS1_3gpuE6ELNS1_3repE0EEENS1_30default_config_static_selectorELNS0_4arch9wavefront6targetE0EEEvT1_
	.globl	_ZN7rocprim17ROCPRIM_400000_NS6detail17trampoline_kernelINS0_14default_configENS1_25partition_config_selectorILNS1_17partition_subalgoE5EsNS0_10empty_typeEbEEZZNS1_14partition_implILS5_5ELb0ES3_mN6thrust23THRUST_200600_302600_NS6detail15normal_iteratorINSA_10device_ptrIsEEEEPS6_NSA_18transform_iteratorINSB_9not_fun_tINSA_8identityIsEEEESF_NSA_11use_defaultESM_EENS0_5tupleIJSF_S6_EEENSO_IJSG_SG_EEES6_PlJS6_EEE10hipError_tPvRmT3_T4_T5_T6_T7_T9_mT8_P12ihipStream_tbDpT10_ENKUlT_T0_E_clISt17integral_constantIbLb0EES1B_EEDaS16_S17_EUlS16_E_NS1_11comp_targetILNS1_3genE2ELNS1_11target_archE906ELNS1_3gpuE6ELNS1_3repE0EEENS1_30default_config_static_selectorELNS0_4arch9wavefront6targetE0EEEvT1_
	.p2align	8
	.type	_ZN7rocprim17ROCPRIM_400000_NS6detail17trampoline_kernelINS0_14default_configENS1_25partition_config_selectorILNS1_17partition_subalgoE5EsNS0_10empty_typeEbEEZZNS1_14partition_implILS5_5ELb0ES3_mN6thrust23THRUST_200600_302600_NS6detail15normal_iteratorINSA_10device_ptrIsEEEEPS6_NSA_18transform_iteratorINSB_9not_fun_tINSA_8identityIsEEEESF_NSA_11use_defaultESM_EENS0_5tupleIJSF_S6_EEENSO_IJSG_SG_EEES6_PlJS6_EEE10hipError_tPvRmT3_T4_T5_T6_T7_T9_mT8_P12ihipStream_tbDpT10_ENKUlT_T0_E_clISt17integral_constantIbLb0EES1B_EEDaS16_S17_EUlS16_E_NS1_11comp_targetILNS1_3genE2ELNS1_11target_archE906ELNS1_3gpuE6ELNS1_3repE0EEENS1_30default_config_static_selectorELNS0_4arch9wavefront6targetE0EEEvT1_,@function
_ZN7rocprim17ROCPRIM_400000_NS6detail17trampoline_kernelINS0_14default_configENS1_25partition_config_selectorILNS1_17partition_subalgoE5EsNS0_10empty_typeEbEEZZNS1_14partition_implILS5_5ELb0ES3_mN6thrust23THRUST_200600_302600_NS6detail15normal_iteratorINSA_10device_ptrIsEEEEPS6_NSA_18transform_iteratorINSB_9not_fun_tINSA_8identityIsEEEESF_NSA_11use_defaultESM_EENS0_5tupleIJSF_S6_EEENSO_IJSG_SG_EEES6_PlJS6_EEE10hipError_tPvRmT3_T4_T5_T6_T7_T9_mT8_P12ihipStream_tbDpT10_ENKUlT_T0_E_clISt17integral_constantIbLb0EES1B_EEDaS16_S17_EUlS16_E_NS1_11comp_targetILNS1_3genE2ELNS1_11target_archE906ELNS1_3gpuE6ELNS1_3repE0EEENS1_30default_config_static_selectorELNS0_4arch9wavefront6targetE0EEEvT1_: ; @_ZN7rocprim17ROCPRIM_400000_NS6detail17trampoline_kernelINS0_14default_configENS1_25partition_config_selectorILNS1_17partition_subalgoE5EsNS0_10empty_typeEbEEZZNS1_14partition_implILS5_5ELb0ES3_mN6thrust23THRUST_200600_302600_NS6detail15normal_iteratorINSA_10device_ptrIsEEEEPS6_NSA_18transform_iteratorINSB_9not_fun_tINSA_8identityIsEEEESF_NSA_11use_defaultESM_EENS0_5tupleIJSF_S6_EEENSO_IJSG_SG_EEES6_PlJS6_EEE10hipError_tPvRmT3_T4_T5_T6_T7_T9_mT8_P12ihipStream_tbDpT10_ENKUlT_T0_E_clISt17integral_constantIbLb0EES1B_EEDaS16_S17_EUlS16_E_NS1_11comp_targetILNS1_3genE2ELNS1_11target_archE906ELNS1_3gpuE6ELNS1_3repE0EEENS1_30default_config_static_selectorELNS0_4arch9wavefront6targetE0EEEvT1_
; %bb.0:
	.section	.rodata,"a",@progbits
	.p2align	6, 0x0
	.amdhsa_kernel _ZN7rocprim17ROCPRIM_400000_NS6detail17trampoline_kernelINS0_14default_configENS1_25partition_config_selectorILNS1_17partition_subalgoE5EsNS0_10empty_typeEbEEZZNS1_14partition_implILS5_5ELb0ES3_mN6thrust23THRUST_200600_302600_NS6detail15normal_iteratorINSA_10device_ptrIsEEEEPS6_NSA_18transform_iteratorINSB_9not_fun_tINSA_8identityIsEEEESF_NSA_11use_defaultESM_EENS0_5tupleIJSF_S6_EEENSO_IJSG_SG_EEES6_PlJS6_EEE10hipError_tPvRmT3_T4_T5_T6_T7_T9_mT8_P12ihipStream_tbDpT10_ENKUlT_T0_E_clISt17integral_constantIbLb0EES1B_EEDaS16_S17_EUlS16_E_NS1_11comp_targetILNS1_3genE2ELNS1_11target_archE906ELNS1_3gpuE6ELNS1_3repE0EEENS1_30default_config_static_selectorELNS0_4arch9wavefront6targetE0EEEvT1_
		.amdhsa_group_segment_fixed_size 0
		.amdhsa_private_segment_fixed_size 0
		.amdhsa_kernarg_size 120
		.amdhsa_user_sgpr_count 2
		.amdhsa_user_sgpr_dispatch_ptr 0
		.amdhsa_user_sgpr_queue_ptr 0
		.amdhsa_user_sgpr_kernarg_segment_ptr 1
		.amdhsa_user_sgpr_dispatch_id 0
		.amdhsa_user_sgpr_private_segment_size 0
		.amdhsa_wavefront_size32 1
		.amdhsa_uses_dynamic_stack 0
		.amdhsa_enable_private_segment 0
		.amdhsa_system_sgpr_workgroup_id_x 1
		.amdhsa_system_sgpr_workgroup_id_y 0
		.amdhsa_system_sgpr_workgroup_id_z 0
		.amdhsa_system_sgpr_workgroup_info 0
		.amdhsa_system_vgpr_workitem_id 0
		.amdhsa_next_free_vgpr 1
		.amdhsa_next_free_sgpr 1
		.amdhsa_reserve_vcc 0
		.amdhsa_float_round_mode_32 0
		.amdhsa_float_round_mode_16_64 0
		.amdhsa_float_denorm_mode_32 3
		.amdhsa_float_denorm_mode_16_64 3
		.amdhsa_fp16_overflow 0
		.amdhsa_workgroup_processor_mode 1
		.amdhsa_memory_ordered 1
		.amdhsa_forward_progress 1
		.amdhsa_inst_pref_size 0
		.amdhsa_round_robin_scheduling 0
		.amdhsa_exception_fp_ieee_invalid_op 0
		.amdhsa_exception_fp_denorm_src 0
		.amdhsa_exception_fp_ieee_div_zero 0
		.amdhsa_exception_fp_ieee_overflow 0
		.amdhsa_exception_fp_ieee_underflow 0
		.amdhsa_exception_fp_ieee_inexact 0
		.amdhsa_exception_int_div_zero 0
	.end_amdhsa_kernel
	.section	.text._ZN7rocprim17ROCPRIM_400000_NS6detail17trampoline_kernelINS0_14default_configENS1_25partition_config_selectorILNS1_17partition_subalgoE5EsNS0_10empty_typeEbEEZZNS1_14partition_implILS5_5ELb0ES3_mN6thrust23THRUST_200600_302600_NS6detail15normal_iteratorINSA_10device_ptrIsEEEEPS6_NSA_18transform_iteratorINSB_9not_fun_tINSA_8identityIsEEEESF_NSA_11use_defaultESM_EENS0_5tupleIJSF_S6_EEENSO_IJSG_SG_EEES6_PlJS6_EEE10hipError_tPvRmT3_T4_T5_T6_T7_T9_mT8_P12ihipStream_tbDpT10_ENKUlT_T0_E_clISt17integral_constantIbLb0EES1B_EEDaS16_S17_EUlS16_E_NS1_11comp_targetILNS1_3genE2ELNS1_11target_archE906ELNS1_3gpuE6ELNS1_3repE0EEENS1_30default_config_static_selectorELNS0_4arch9wavefront6targetE0EEEvT1_,"axG",@progbits,_ZN7rocprim17ROCPRIM_400000_NS6detail17trampoline_kernelINS0_14default_configENS1_25partition_config_selectorILNS1_17partition_subalgoE5EsNS0_10empty_typeEbEEZZNS1_14partition_implILS5_5ELb0ES3_mN6thrust23THRUST_200600_302600_NS6detail15normal_iteratorINSA_10device_ptrIsEEEEPS6_NSA_18transform_iteratorINSB_9not_fun_tINSA_8identityIsEEEESF_NSA_11use_defaultESM_EENS0_5tupleIJSF_S6_EEENSO_IJSG_SG_EEES6_PlJS6_EEE10hipError_tPvRmT3_T4_T5_T6_T7_T9_mT8_P12ihipStream_tbDpT10_ENKUlT_T0_E_clISt17integral_constantIbLb0EES1B_EEDaS16_S17_EUlS16_E_NS1_11comp_targetILNS1_3genE2ELNS1_11target_archE906ELNS1_3gpuE6ELNS1_3repE0EEENS1_30default_config_static_selectorELNS0_4arch9wavefront6targetE0EEEvT1_,comdat
.Lfunc_end1017:
	.size	_ZN7rocprim17ROCPRIM_400000_NS6detail17trampoline_kernelINS0_14default_configENS1_25partition_config_selectorILNS1_17partition_subalgoE5EsNS0_10empty_typeEbEEZZNS1_14partition_implILS5_5ELb0ES3_mN6thrust23THRUST_200600_302600_NS6detail15normal_iteratorINSA_10device_ptrIsEEEEPS6_NSA_18transform_iteratorINSB_9not_fun_tINSA_8identityIsEEEESF_NSA_11use_defaultESM_EENS0_5tupleIJSF_S6_EEENSO_IJSG_SG_EEES6_PlJS6_EEE10hipError_tPvRmT3_T4_T5_T6_T7_T9_mT8_P12ihipStream_tbDpT10_ENKUlT_T0_E_clISt17integral_constantIbLb0EES1B_EEDaS16_S17_EUlS16_E_NS1_11comp_targetILNS1_3genE2ELNS1_11target_archE906ELNS1_3gpuE6ELNS1_3repE0EEENS1_30default_config_static_selectorELNS0_4arch9wavefront6targetE0EEEvT1_, .Lfunc_end1017-_ZN7rocprim17ROCPRIM_400000_NS6detail17trampoline_kernelINS0_14default_configENS1_25partition_config_selectorILNS1_17partition_subalgoE5EsNS0_10empty_typeEbEEZZNS1_14partition_implILS5_5ELb0ES3_mN6thrust23THRUST_200600_302600_NS6detail15normal_iteratorINSA_10device_ptrIsEEEEPS6_NSA_18transform_iteratorINSB_9not_fun_tINSA_8identityIsEEEESF_NSA_11use_defaultESM_EENS0_5tupleIJSF_S6_EEENSO_IJSG_SG_EEES6_PlJS6_EEE10hipError_tPvRmT3_T4_T5_T6_T7_T9_mT8_P12ihipStream_tbDpT10_ENKUlT_T0_E_clISt17integral_constantIbLb0EES1B_EEDaS16_S17_EUlS16_E_NS1_11comp_targetILNS1_3genE2ELNS1_11target_archE906ELNS1_3gpuE6ELNS1_3repE0EEENS1_30default_config_static_selectorELNS0_4arch9wavefront6targetE0EEEvT1_
                                        ; -- End function
	.set _ZN7rocprim17ROCPRIM_400000_NS6detail17trampoline_kernelINS0_14default_configENS1_25partition_config_selectorILNS1_17partition_subalgoE5EsNS0_10empty_typeEbEEZZNS1_14partition_implILS5_5ELb0ES3_mN6thrust23THRUST_200600_302600_NS6detail15normal_iteratorINSA_10device_ptrIsEEEEPS6_NSA_18transform_iteratorINSB_9not_fun_tINSA_8identityIsEEEESF_NSA_11use_defaultESM_EENS0_5tupleIJSF_S6_EEENSO_IJSG_SG_EEES6_PlJS6_EEE10hipError_tPvRmT3_T4_T5_T6_T7_T9_mT8_P12ihipStream_tbDpT10_ENKUlT_T0_E_clISt17integral_constantIbLb0EES1B_EEDaS16_S17_EUlS16_E_NS1_11comp_targetILNS1_3genE2ELNS1_11target_archE906ELNS1_3gpuE6ELNS1_3repE0EEENS1_30default_config_static_selectorELNS0_4arch9wavefront6targetE0EEEvT1_.num_vgpr, 0
	.set _ZN7rocprim17ROCPRIM_400000_NS6detail17trampoline_kernelINS0_14default_configENS1_25partition_config_selectorILNS1_17partition_subalgoE5EsNS0_10empty_typeEbEEZZNS1_14partition_implILS5_5ELb0ES3_mN6thrust23THRUST_200600_302600_NS6detail15normal_iteratorINSA_10device_ptrIsEEEEPS6_NSA_18transform_iteratorINSB_9not_fun_tINSA_8identityIsEEEESF_NSA_11use_defaultESM_EENS0_5tupleIJSF_S6_EEENSO_IJSG_SG_EEES6_PlJS6_EEE10hipError_tPvRmT3_T4_T5_T6_T7_T9_mT8_P12ihipStream_tbDpT10_ENKUlT_T0_E_clISt17integral_constantIbLb0EES1B_EEDaS16_S17_EUlS16_E_NS1_11comp_targetILNS1_3genE2ELNS1_11target_archE906ELNS1_3gpuE6ELNS1_3repE0EEENS1_30default_config_static_selectorELNS0_4arch9wavefront6targetE0EEEvT1_.num_agpr, 0
	.set _ZN7rocprim17ROCPRIM_400000_NS6detail17trampoline_kernelINS0_14default_configENS1_25partition_config_selectorILNS1_17partition_subalgoE5EsNS0_10empty_typeEbEEZZNS1_14partition_implILS5_5ELb0ES3_mN6thrust23THRUST_200600_302600_NS6detail15normal_iteratorINSA_10device_ptrIsEEEEPS6_NSA_18transform_iteratorINSB_9not_fun_tINSA_8identityIsEEEESF_NSA_11use_defaultESM_EENS0_5tupleIJSF_S6_EEENSO_IJSG_SG_EEES6_PlJS6_EEE10hipError_tPvRmT3_T4_T5_T6_T7_T9_mT8_P12ihipStream_tbDpT10_ENKUlT_T0_E_clISt17integral_constantIbLb0EES1B_EEDaS16_S17_EUlS16_E_NS1_11comp_targetILNS1_3genE2ELNS1_11target_archE906ELNS1_3gpuE6ELNS1_3repE0EEENS1_30default_config_static_selectorELNS0_4arch9wavefront6targetE0EEEvT1_.numbered_sgpr, 0
	.set _ZN7rocprim17ROCPRIM_400000_NS6detail17trampoline_kernelINS0_14default_configENS1_25partition_config_selectorILNS1_17partition_subalgoE5EsNS0_10empty_typeEbEEZZNS1_14partition_implILS5_5ELb0ES3_mN6thrust23THRUST_200600_302600_NS6detail15normal_iteratorINSA_10device_ptrIsEEEEPS6_NSA_18transform_iteratorINSB_9not_fun_tINSA_8identityIsEEEESF_NSA_11use_defaultESM_EENS0_5tupleIJSF_S6_EEENSO_IJSG_SG_EEES6_PlJS6_EEE10hipError_tPvRmT3_T4_T5_T6_T7_T9_mT8_P12ihipStream_tbDpT10_ENKUlT_T0_E_clISt17integral_constantIbLb0EES1B_EEDaS16_S17_EUlS16_E_NS1_11comp_targetILNS1_3genE2ELNS1_11target_archE906ELNS1_3gpuE6ELNS1_3repE0EEENS1_30default_config_static_selectorELNS0_4arch9wavefront6targetE0EEEvT1_.num_named_barrier, 0
	.set _ZN7rocprim17ROCPRIM_400000_NS6detail17trampoline_kernelINS0_14default_configENS1_25partition_config_selectorILNS1_17partition_subalgoE5EsNS0_10empty_typeEbEEZZNS1_14partition_implILS5_5ELb0ES3_mN6thrust23THRUST_200600_302600_NS6detail15normal_iteratorINSA_10device_ptrIsEEEEPS6_NSA_18transform_iteratorINSB_9not_fun_tINSA_8identityIsEEEESF_NSA_11use_defaultESM_EENS0_5tupleIJSF_S6_EEENSO_IJSG_SG_EEES6_PlJS6_EEE10hipError_tPvRmT3_T4_T5_T6_T7_T9_mT8_P12ihipStream_tbDpT10_ENKUlT_T0_E_clISt17integral_constantIbLb0EES1B_EEDaS16_S17_EUlS16_E_NS1_11comp_targetILNS1_3genE2ELNS1_11target_archE906ELNS1_3gpuE6ELNS1_3repE0EEENS1_30default_config_static_selectorELNS0_4arch9wavefront6targetE0EEEvT1_.private_seg_size, 0
	.set _ZN7rocprim17ROCPRIM_400000_NS6detail17trampoline_kernelINS0_14default_configENS1_25partition_config_selectorILNS1_17partition_subalgoE5EsNS0_10empty_typeEbEEZZNS1_14partition_implILS5_5ELb0ES3_mN6thrust23THRUST_200600_302600_NS6detail15normal_iteratorINSA_10device_ptrIsEEEEPS6_NSA_18transform_iteratorINSB_9not_fun_tINSA_8identityIsEEEESF_NSA_11use_defaultESM_EENS0_5tupleIJSF_S6_EEENSO_IJSG_SG_EEES6_PlJS6_EEE10hipError_tPvRmT3_T4_T5_T6_T7_T9_mT8_P12ihipStream_tbDpT10_ENKUlT_T0_E_clISt17integral_constantIbLb0EES1B_EEDaS16_S17_EUlS16_E_NS1_11comp_targetILNS1_3genE2ELNS1_11target_archE906ELNS1_3gpuE6ELNS1_3repE0EEENS1_30default_config_static_selectorELNS0_4arch9wavefront6targetE0EEEvT1_.uses_vcc, 0
	.set _ZN7rocprim17ROCPRIM_400000_NS6detail17trampoline_kernelINS0_14default_configENS1_25partition_config_selectorILNS1_17partition_subalgoE5EsNS0_10empty_typeEbEEZZNS1_14partition_implILS5_5ELb0ES3_mN6thrust23THRUST_200600_302600_NS6detail15normal_iteratorINSA_10device_ptrIsEEEEPS6_NSA_18transform_iteratorINSB_9not_fun_tINSA_8identityIsEEEESF_NSA_11use_defaultESM_EENS0_5tupleIJSF_S6_EEENSO_IJSG_SG_EEES6_PlJS6_EEE10hipError_tPvRmT3_T4_T5_T6_T7_T9_mT8_P12ihipStream_tbDpT10_ENKUlT_T0_E_clISt17integral_constantIbLb0EES1B_EEDaS16_S17_EUlS16_E_NS1_11comp_targetILNS1_3genE2ELNS1_11target_archE906ELNS1_3gpuE6ELNS1_3repE0EEENS1_30default_config_static_selectorELNS0_4arch9wavefront6targetE0EEEvT1_.uses_flat_scratch, 0
	.set _ZN7rocprim17ROCPRIM_400000_NS6detail17trampoline_kernelINS0_14default_configENS1_25partition_config_selectorILNS1_17partition_subalgoE5EsNS0_10empty_typeEbEEZZNS1_14partition_implILS5_5ELb0ES3_mN6thrust23THRUST_200600_302600_NS6detail15normal_iteratorINSA_10device_ptrIsEEEEPS6_NSA_18transform_iteratorINSB_9not_fun_tINSA_8identityIsEEEESF_NSA_11use_defaultESM_EENS0_5tupleIJSF_S6_EEENSO_IJSG_SG_EEES6_PlJS6_EEE10hipError_tPvRmT3_T4_T5_T6_T7_T9_mT8_P12ihipStream_tbDpT10_ENKUlT_T0_E_clISt17integral_constantIbLb0EES1B_EEDaS16_S17_EUlS16_E_NS1_11comp_targetILNS1_3genE2ELNS1_11target_archE906ELNS1_3gpuE6ELNS1_3repE0EEENS1_30default_config_static_selectorELNS0_4arch9wavefront6targetE0EEEvT1_.has_dyn_sized_stack, 0
	.set _ZN7rocprim17ROCPRIM_400000_NS6detail17trampoline_kernelINS0_14default_configENS1_25partition_config_selectorILNS1_17partition_subalgoE5EsNS0_10empty_typeEbEEZZNS1_14partition_implILS5_5ELb0ES3_mN6thrust23THRUST_200600_302600_NS6detail15normal_iteratorINSA_10device_ptrIsEEEEPS6_NSA_18transform_iteratorINSB_9not_fun_tINSA_8identityIsEEEESF_NSA_11use_defaultESM_EENS0_5tupleIJSF_S6_EEENSO_IJSG_SG_EEES6_PlJS6_EEE10hipError_tPvRmT3_T4_T5_T6_T7_T9_mT8_P12ihipStream_tbDpT10_ENKUlT_T0_E_clISt17integral_constantIbLb0EES1B_EEDaS16_S17_EUlS16_E_NS1_11comp_targetILNS1_3genE2ELNS1_11target_archE906ELNS1_3gpuE6ELNS1_3repE0EEENS1_30default_config_static_selectorELNS0_4arch9wavefront6targetE0EEEvT1_.has_recursion, 0
	.set _ZN7rocprim17ROCPRIM_400000_NS6detail17trampoline_kernelINS0_14default_configENS1_25partition_config_selectorILNS1_17partition_subalgoE5EsNS0_10empty_typeEbEEZZNS1_14partition_implILS5_5ELb0ES3_mN6thrust23THRUST_200600_302600_NS6detail15normal_iteratorINSA_10device_ptrIsEEEEPS6_NSA_18transform_iteratorINSB_9not_fun_tINSA_8identityIsEEEESF_NSA_11use_defaultESM_EENS0_5tupleIJSF_S6_EEENSO_IJSG_SG_EEES6_PlJS6_EEE10hipError_tPvRmT3_T4_T5_T6_T7_T9_mT8_P12ihipStream_tbDpT10_ENKUlT_T0_E_clISt17integral_constantIbLb0EES1B_EEDaS16_S17_EUlS16_E_NS1_11comp_targetILNS1_3genE2ELNS1_11target_archE906ELNS1_3gpuE6ELNS1_3repE0EEENS1_30default_config_static_selectorELNS0_4arch9wavefront6targetE0EEEvT1_.has_indirect_call, 0
	.section	.AMDGPU.csdata,"",@progbits
; Kernel info:
; codeLenInByte = 0
; TotalNumSgprs: 0
; NumVgprs: 0
; ScratchSize: 0
; MemoryBound: 0
; FloatMode: 240
; IeeeMode: 1
; LDSByteSize: 0 bytes/workgroup (compile time only)
; SGPRBlocks: 0
; VGPRBlocks: 0
; NumSGPRsForWavesPerEU: 1
; NumVGPRsForWavesPerEU: 1
; Occupancy: 16
; WaveLimiterHint : 0
; COMPUTE_PGM_RSRC2:SCRATCH_EN: 0
; COMPUTE_PGM_RSRC2:USER_SGPR: 2
; COMPUTE_PGM_RSRC2:TRAP_HANDLER: 0
; COMPUTE_PGM_RSRC2:TGID_X_EN: 1
; COMPUTE_PGM_RSRC2:TGID_Y_EN: 0
; COMPUTE_PGM_RSRC2:TGID_Z_EN: 0
; COMPUTE_PGM_RSRC2:TIDIG_COMP_CNT: 0
	.section	.text._ZN7rocprim17ROCPRIM_400000_NS6detail17trampoline_kernelINS0_14default_configENS1_25partition_config_selectorILNS1_17partition_subalgoE5EsNS0_10empty_typeEbEEZZNS1_14partition_implILS5_5ELb0ES3_mN6thrust23THRUST_200600_302600_NS6detail15normal_iteratorINSA_10device_ptrIsEEEEPS6_NSA_18transform_iteratorINSB_9not_fun_tINSA_8identityIsEEEESF_NSA_11use_defaultESM_EENS0_5tupleIJSF_S6_EEENSO_IJSG_SG_EEES6_PlJS6_EEE10hipError_tPvRmT3_T4_T5_T6_T7_T9_mT8_P12ihipStream_tbDpT10_ENKUlT_T0_E_clISt17integral_constantIbLb0EES1B_EEDaS16_S17_EUlS16_E_NS1_11comp_targetILNS1_3genE10ELNS1_11target_archE1200ELNS1_3gpuE4ELNS1_3repE0EEENS1_30default_config_static_selectorELNS0_4arch9wavefront6targetE0EEEvT1_,"axG",@progbits,_ZN7rocprim17ROCPRIM_400000_NS6detail17trampoline_kernelINS0_14default_configENS1_25partition_config_selectorILNS1_17partition_subalgoE5EsNS0_10empty_typeEbEEZZNS1_14partition_implILS5_5ELb0ES3_mN6thrust23THRUST_200600_302600_NS6detail15normal_iteratorINSA_10device_ptrIsEEEEPS6_NSA_18transform_iteratorINSB_9not_fun_tINSA_8identityIsEEEESF_NSA_11use_defaultESM_EENS0_5tupleIJSF_S6_EEENSO_IJSG_SG_EEES6_PlJS6_EEE10hipError_tPvRmT3_T4_T5_T6_T7_T9_mT8_P12ihipStream_tbDpT10_ENKUlT_T0_E_clISt17integral_constantIbLb0EES1B_EEDaS16_S17_EUlS16_E_NS1_11comp_targetILNS1_3genE10ELNS1_11target_archE1200ELNS1_3gpuE4ELNS1_3repE0EEENS1_30default_config_static_selectorELNS0_4arch9wavefront6targetE0EEEvT1_,comdat
	.protected	_ZN7rocprim17ROCPRIM_400000_NS6detail17trampoline_kernelINS0_14default_configENS1_25partition_config_selectorILNS1_17partition_subalgoE5EsNS0_10empty_typeEbEEZZNS1_14partition_implILS5_5ELb0ES3_mN6thrust23THRUST_200600_302600_NS6detail15normal_iteratorINSA_10device_ptrIsEEEEPS6_NSA_18transform_iteratorINSB_9not_fun_tINSA_8identityIsEEEESF_NSA_11use_defaultESM_EENS0_5tupleIJSF_S6_EEENSO_IJSG_SG_EEES6_PlJS6_EEE10hipError_tPvRmT3_T4_T5_T6_T7_T9_mT8_P12ihipStream_tbDpT10_ENKUlT_T0_E_clISt17integral_constantIbLb0EES1B_EEDaS16_S17_EUlS16_E_NS1_11comp_targetILNS1_3genE10ELNS1_11target_archE1200ELNS1_3gpuE4ELNS1_3repE0EEENS1_30default_config_static_selectorELNS0_4arch9wavefront6targetE0EEEvT1_ ; -- Begin function _ZN7rocprim17ROCPRIM_400000_NS6detail17trampoline_kernelINS0_14default_configENS1_25partition_config_selectorILNS1_17partition_subalgoE5EsNS0_10empty_typeEbEEZZNS1_14partition_implILS5_5ELb0ES3_mN6thrust23THRUST_200600_302600_NS6detail15normal_iteratorINSA_10device_ptrIsEEEEPS6_NSA_18transform_iteratorINSB_9not_fun_tINSA_8identityIsEEEESF_NSA_11use_defaultESM_EENS0_5tupleIJSF_S6_EEENSO_IJSG_SG_EEES6_PlJS6_EEE10hipError_tPvRmT3_T4_T5_T6_T7_T9_mT8_P12ihipStream_tbDpT10_ENKUlT_T0_E_clISt17integral_constantIbLb0EES1B_EEDaS16_S17_EUlS16_E_NS1_11comp_targetILNS1_3genE10ELNS1_11target_archE1200ELNS1_3gpuE4ELNS1_3repE0EEENS1_30default_config_static_selectorELNS0_4arch9wavefront6targetE0EEEvT1_
	.globl	_ZN7rocprim17ROCPRIM_400000_NS6detail17trampoline_kernelINS0_14default_configENS1_25partition_config_selectorILNS1_17partition_subalgoE5EsNS0_10empty_typeEbEEZZNS1_14partition_implILS5_5ELb0ES3_mN6thrust23THRUST_200600_302600_NS6detail15normal_iteratorINSA_10device_ptrIsEEEEPS6_NSA_18transform_iteratorINSB_9not_fun_tINSA_8identityIsEEEESF_NSA_11use_defaultESM_EENS0_5tupleIJSF_S6_EEENSO_IJSG_SG_EEES6_PlJS6_EEE10hipError_tPvRmT3_T4_T5_T6_T7_T9_mT8_P12ihipStream_tbDpT10_ENKUlT_T0_E_clISt17integral_constantIbLb0EES1B_EEDaS16_S17_EUlS16_E_NS1_11comp_targetILNS1_3genE10ELNS1_11target_archE1200ELNS1_3gpuE4ELNS1_3repE0EEENS1_30default_config_static_selectorELNS0_4arch9wavefront6targetE0EEEvT1_
	.p2align	8
	.type	_ZN7rocprim17ROCPRIM_400000_NS6detail17trampoline_kernelINS0_14default_configENS1_25partition_config_selectorILNS1_17partition_subalgoE5EsNS0_10empty_typeEbEEZZNS1_14partition_implILS5_5ELb0ES3_mN6thrust23THRUST_200600_302600_NS6detail15normal_iteratorINSA_10device_ptrIsEEEEPS6_NSA_18transform_iteratorINSB_9not_fun_tINSA_8identityIsEEEESF_NSA_11use_defaultESM_EENS0_5tupleIJSF_S6_EEENSO_IJSG_SG_EEES6_PlJS6_EEE10hipError_tPvRmT3_T4_T5_T6_T7_T9_mT8_P12ihipStream_tbDpT10_ENKUlT_T0_E_clISt17integral_constantIbLb0EES1B_EEDaS16_S17_EUlS16_E_NS1_11comp_targetILNS1_3genE10ELNS1_11target_archE1200ELNS1_3gpuE4ELNS1_3repE0EEENS1_30default_config_static_selectorELNS0_4arch9wavefront6targetE0EEEvT1_,@function
_ZN7rocprim17ROCPRIM_400000_NS6detail17trampoline_kernelINS0_14default_configENS1_25partition_config_selectorILNS1_17partition_subalgoE5EsNS0_10empty_typeEbEEZZNS1_14partition_implILS5_5ELb0ES3_mN6thrust23THRUST_200600_302600_NS6detail15normal_iteratorINSA_10device_ptrIsEEEEPS6_NSA_18transform_iteratorINSB_9not_fun_tINSA_8identityIsEEEESF_NSA_11use_defaultESM_EENS0_5tupleIJSF_S6_EEENSO_IJSG_SG_EEES6_PlJS6_EEE10hipError_tPvRmT3_T4_T5_T6_T7_T9_mT8_P12ihipStream_tbDpT10_ENKUlT_T0_E_clISt17integral_constantIbLb0EES1B_EEDaS16_S17_EUlS16_E_NS1_11comp_targetILNS1_3genE10ELNS1_11target_archE1200ELNS1_3gpuE4ELNS1_3repE0EEENS1_30default_config_static_selectorELNS0_4arch9wavefront6targetE0EEEvT1_: ; @_ZN7rocprim17ROCPRIM_400000_NS6detail17trampoline_kernelINS0_14default_configENS1_25partition_config_selectorILNS1_17partition_subalgoE5EsNS0_10empty_typeEbEEZZNS1_14partition_implILS5_5ELb0ES3_mN6thrust23THRUST_200600_302600_NS6detail15normal_iteratorINSA_10device_ptrIsEEEEPS6_NSA_18transform_iteratorINSB_9not_fun_tINSA_8identityIsEEEESF_NSA_11use_defaultESM_EENS0_5tupleIJSF_S6_EEENSO_IJSG_SG_EEES6_PlJS6_EEE10hipError_tPvRmT3_T4_T5_T6_T7_T9_mT8_P12ihipStream_tbDpT10_ENKUlT_T0_E_clISt17integral_constantIbLb0EES1B_EEDaS16_S17_EUlS16_E_NS1_11comp_targetILNS1_3genE10ELNS1_11target_archE1200ELNS1_3gpuE4ELNS1_3repE0EEENS1_30default_config_static_selectorELNS0_4arch9wavefront6targetE0EEEvT1_
; %bb.0:
	s_clause 0x3
	s_load_b128 s[12:15], s[0:1], 0x8
	s_load_b128 s[8:11], s[0:1], 0x48
	s_load_b32 s18, s[0:1], 0x70
	s_load_b64 s[2:3], s[0:1], 0x58
	s_mov_b32 s17, 0
	s_mul_i32 s20, ttmp9, 0xc00
	s_mov_b32 s21, s17
	v_lshlrev_b32_e32 v9, 1, v0
	s_wait_kmcnt 0x0
	s_lshl_b64 s[4:5], s[14:15], 1
	s_load_b64 s[6:7], s[10:11], 0x0
	s_mul_i32 s16, s18, 0xc00
	s_add_co_i32 s19, s18, -1
	s_add_co_i32 s18, s16, s14
	s_add_nc_u64 s[10:11], s[14:15], s[16:17]
	s_sub_co_i32 s18, s2, s18
	v_cmp_le_u64_e64 s2, s[2:3], s[10:11]
	s_addk_co_i32 s18, 0xc00
	s_cmp_eq_u32 ttmp9, s19
	s_add_nc_u64 s[12:13], s[12:13], s[4:5]
	s_cselect_b32 s16, -1, 0
	s_lshl_b64 s[10:11], s[20:21], 1
	s_and_b32 s2, s16, s2
	s_mov_b32 s3, -1
	s_wait_alu 0xfffe
	s_xor_b32 s17, s2, -1
	s_add_nc_u64 s[12:13], s[12:13], s[10:11]
	s_and_b32 vcc_lo, exec_lo, s17
	s_cbranch_vccz .LBB1018_2
; %bb.1:
	v_add_co_u32 v1, s2, s12, v9
	s_wait_alu 0xf1ff
	v_add_co_ci_u32_e64 v2, null, s13, 0, s2
	s_mov_b32 s3, 0
	s_clause 0xb
	flat_load_u16 v3, v[1:2]
	flat_load_u16 v4, v[1:2] offset:512
	flat_load_u16 v5, v[1:2] offset:1024
	;; [unrolled: 1-line block ×11, first 2 shown]
	s_wait_loadcnt_dscnt 0xb0b
	ds_store_b16 v9, v3
	s_wait_loadcnt_dscnt 0xa0b
	ds_store_b16 v9, v4 offset:512
	s_wait_loadcnt_dscnt 0x90b
	ds_store_b16 v9, v5 offset:1024
	;; [unrolled: 2-line block ×11, first 2 shown]
	s_wait_dscnt 0x0
	s_barrier_signal -1
	s_barrier_wait -1
.LBB1018_2:
	s_load_b64 s[14:15], s[0:1], 0x20
	v_cmp_gt_u32_e64 s2, s18, v0
	s_and_not1_b32 vcc_lo, exec_lo, s3
	s_cbranch_vccnz .LBB1018_28
; %bb.3:
	v_mov_b32_e32 v1, 0
	s_delay_alu instid0(VALU_DEP_1)
	v_dual_mov_b32 v2, v1 :: v_dual_mov_b32 v3, v1
	v_dual_mov_b32 v4, v1 :: v_dual_mov_b32 v5, v1
	v_mov_b32_e32 v6, v1
	s_and_saveexec_b32 s3, s2
	s_cbranch_execz .LBB1018_5
; %bb.4:
	v_add_co_u32 v3, s2, s12, v9
	s_wait_alu 0xf1ff
	v_add_co_ci_u32_e64 v4, null, s13, 0, s2
	v_mov_b32_e32 v2, v1
	v_dual_mov_b32 v6, v1 :: v_dual_mov_b32 v7, v1
	v_mov_b32_e32 v5, v1
	flat_load_d16_b16 v2, v[3:4]
	v_dual_mov_b32 v3, v1 :: v_dual_mov_b32 v4, v1
	s_wait_loadcnt_dscnt 0x0
	v_mov_b32_e32 v1, v2
	s_delay_alu instid0(VALU_DEP_2) | instskip(NEXT) | instid1(VALU_DEP_3)
	v_mov_b32_e32 v2, v3
	v_mov_b32_e32 v3, v4
	;; [unrolled: 1-line block ×7, first 2 shown]
.LBB1018_5:
	s_wait_alu 0xfffe
	s_or_b32 exec_lo, exec_lo, s3
	v_or_b32_e32 v7, 0x100, v0
	s_mov_b32 s2, exec_lo
	s_delay_alu instid0(VALU_DEP_1)
	v_cmpx_gt_u32_e64 s18, v7
	s_cbranch_execz .LBB1018_7
; %bb.6:
	v_add_co_u32 v7, s3, s12, v9
	s_wait_alu 0xf1ff
	v_add_co_ci_u32_e64 v8, null, s13, 0, s3
	flat_load_d16_hi_b16 v1, v[7:8] offset:512
.LBB1018_7:
	s_wait_alu 0xfffe
	s_or_b32 exec_lo, exec_lo, s2
	v_or_b32_e32 v7, 0x200, v0
	s_mov_b32 s2, exec_lo
	s_delay_alu instid0(VALU_DEP_1)
	v_cmpx_gt_u32_e64 s18, v7
	s_cbranch_execz .LBB1018_9
; %bb.8:
	v_add_co_u32 v7, s3, s12, v9
	s_wait_alu 0xf1ff
	v_add_co_ci_u32_e64 v8, null, s13, 0, s3
	flat_load_d16_b16 v2, v[7:8] offset:1024
.LBB1018_9:
	s_wait_alu 0xfffe
	s_or_b32 exec_lo, exec_lo, s2
	v_or_b32_e32 v7, 0x300, v0
	s_mov_b32 s2, exec_lo
	s_delay_alu instid0(VALU_DEP_1)
	v_cmpx_gt_u32_e64 s18, v7
	s_cbranch_execz .LBB1018_11
; %bb.10:
	v_add_co_u32 v7, s3, s12, v9
	s_wait_alu 0xf1ff
	v_add_co_ci_u32_e64 v8, null, s13, 0, s3
	s_wait_loadcnt_dscnt 0x0
	flat_load_d16_hi_b16 v2, v[7:8] offset:1536
.LBB1018_11:
	s_wait_alu 0xfffe
	s_or_b32 exec_lo, exec_lo, s2
	v_or_b32_e32 v7, 0x400, v0
	s_mov_b32 s2, exec_lo
	s_delay_alu instid0(VALU_DEP_1)
	v_cmpx_gt_u32_e64 s18, v7
	s_cbranch_execz .LBB1018_13
; %bb.12:
	v_add_co_u32 v7, s3, s12, v9
	s_wait_alu 0xf1ff
	v_add_co_ci_u32_e64 v8, null, s13, 0, s3
	flat_load_d16_b16 v3, v[7:8] offset:2048
.LBB1018_13:
	s_wait_alu 0xfffe
	s_or_b32 exec_lo, exec_lo, s2
	v_or_b32_e32 v7, 0x500, v0
	s_mov_b32 s2, exec_lo
	s_delay_alu instid0(VALU_DEP_1)
	v_cmpx_gt_u32_e64 s18, v7
	s_cbranch_execz .LBB1018_15
; %bb.14:
	v_add_co_u32 v7, s3, s12, v9
	s_wait_alu 0xf1ff
	v_add_co_ci_u32_e64 v8, null, s13, 0, s3
	s_wait_loadcnt_dscnt 0x0
	flat_load_d16_hi_b16 v3, v[7:8] offset:2560
.LBB1018_15:
	;; [unrolled: 27-line block ×5, first 2 shown]
	s_wait_alu 0xfffe
	s_or_b32 exec_lo, exec_lo, s2
	s_wait_loadcnt_dscnt 0x0
	ds_store_b16 v9, v1
	ds_store_b16_d16_hi v9, v1 offset:512
	ds_store_b16 v9, v2 offset:1024
	ds_store_b16_d16_hi v9, v2 offset:1536
	ds_store_b16 v9, v3 offset:2048
	;; [unrolled: 2-line block ×5, first 2 shown]
	ds_store_b16_d16_hi v9, v6 offset:5632
	s_wait_dscnt 0x0
	s_barrier_signal -1
	s_barrier_wait -1
.LBB1018_28:
	v_mul_u32_u24_e32 v51, 12, v0
	global_inv scope:SCOPE_SE
	s_wait_kmcnt 0x0
	s_add_nc_u64 s[2:3], s[14:15], s[4:5]
	s_and_b32 vcc_lo, exec_lo, s17
	s_wait_alu 0xfffe
	s_add_nc_u64 s[2:3], s[2:3], s[10:11]
	v_lshlrev_b32_e32 v1, 1, v51
	s_mov_b32 s4, -1
	ds_load_2addr_b64 v[33:36], v1 offset1:1
	ds_load_b64 v[41:42], v1 offset:16
	s_wait_loadcnt_dscnt 0x0
	s_barrier_signal -1
	s_barrier_wait -1
	global_inv scope:SCOPE_SE
	s_cbranch_vccz .LBB1018_30
; %bb.29:
	s_clause 0xb
	global_load_u16 v1, v9, s[2:3]
	global_load_u16 v2, v9, s[2:3] offset:512
	global_load_u16 v3, v9, s[2:3] offset:1024
	;; [unrolled: 1-line block ×11, first 2 shown]
	s_mov_b32 s4, 0
	s_wait_loadcnt 0xb
	v_cmp_eq_u16_e32 vcc_lo, 0, v1
	v_cndmask_b32_e64 v1, 0, 1, vcc_lo
	s_wait_loadcnt 0xa
	v_cmp_eq_u16_e32 vcc_lo, 0, v2
	s_wait_alu 0xfffd
	v_cndmask_b32_e64 v2, 0, 1, vcc_lo
	s_wait_loadcnt 0x9
	v_cmp_eq_u16_e32 vcc_lo, 0, v3
	s_wait_alu 0xfffd
	;; [unrolled: 4-line block ×11, first 2 shown]
	v_cndmask_b32_e64 v13, 0, 1, vcc_lo
	ds_store_b8 v0, v1
	ds_store_b8 v0, v2 offset:256
	ds_store_b8 v0, v3 offset:512
	;; [unrolled: 1-line block ×11, first 2 shown]
	s_wait_dscnt 0x0
	s_barrier_signal -1
	s_barrier_wait -1
.LBB1018_30:
	s_and_not1_b32 vcc_lo, exec_lo, s4
	s_wait_alu 0xfffe
	s_cbranch_vccnz .LBB1018_56
; %bb.31:
	v_mov_b32_e32 v3, 0
	s_mov_b32 s4, exec_lo
	s_delay_alu instid0(VALU_DEP_1)
	v_dual_mov_b32 v1, v3 :: v_dual_mov_b32 v2, v3
	v_mov_b32_e32 v4, v3
	v_cmpx_gt_u32_e64 s18, v0
	s_cbranch_execz .LBB1018_33
; %bb.32:
	global_load_u16 v1, v9, s[2:3]
	s_wait_loadcnt 0x0
	v_cmp_eq_u16_e32 vcc_lo, 0, v1
	v_mov_b32_e32 v1, 0
	s_wait_alu 0xfffd
	v_cndmask_b32_e64 v4, 0, 1, vcc_lo
	s_delay_alu instid0(VALU_DEP_1)
	v_dual_mov_b32 v2, v1 :: v_dual_and_b32 v3, 0xffff, v4
.LBB1018_33:
	s_or_b32 exec_lo, exec_lo, s4
	v_or_b32_e32 v5, 0x100, v0
	s_mov_b32 s4, exec_lo
	s_delay_alu instid0(VALU_DEP_1)
	v_cmpx_gt_u32_e64 s18, v5
	s_cbranch_execz .LBB1018_35
; %bb.34:
	global_load_u16 v5, v9, s[2:3] offset:512
	v_and_b32_e32 v6, 0xff, v3
	s_wait_loadcnt 0x0
	v_cmp_eq_u16_e32 vcc_lo, 0, v5
	s_wait_alu 0xfffd
	v_cndmask_b32_e64 v5, 0, 1, vcc_lo
	s_delay_alu instid0(VALU_DEP_1) | instskip(NEXT) | instid1(VALU_DEP_1)
	v_lshlrev_b16 v5, 8, v5
	v_or_b32_e32 v5, v6, v5
	s_delay_alu instid0(VALU_DEP_1) | instskip(NEXT) | instid1(VALU_DEP_1)
	v_and_b32_e32 v5, 0xffff, v5
	v_and_or_b32 v3, 0xffff0000, v3, v5
.LBB1018_35:
	s_or_b32 exec_lo, exec_lo, s4
	v_or_b32_e32 v5, 0x200, v0
	s_mov_b32 s4, exec_lo
	s_delay_alu instid0(VALU_DEP_1)
	v_cmpx_gt_u32_e64 s18, v5
	s_cbranch_execz .LBB1018_37
; %bb.36:
	global_load_u16 v5, v9, s[2:3] offset:1024
	v_lshrrev_b32_e32 v6, 16, v3
	s_delay_alu instid0(VALU_DEP_1) | instskip(SKIP_4) | instid1(VALU_DEP_1)
	v_and_b32_e32 v6, 0xffffff00, v6
	s_wait_loadcnt 0x0
	v_cmp_eq_u16_e32 vcc_lo, 0, v5
	s_wait_alu 0xfffd
	v_cndmask_b32_e64 v5, 0, 1, vcc_lo
	v_or_b32_e32 v5, v5, v6
	s_delay_alu instid0(VALU_DEP_1) | instskip(NEXT) | instid1(VALU_DEP_1)
	v_lshlrev_b32_e32 v5, 16, v5
	v_and_or_b32 v3, 0xffff, v3, v5
.LBB1018_37:
	s_or_b32 exec_lo, exec_lo, s4
	v_or_b32_e32 v5, 0x300, v0
	s_mov_b32 s4, exec_lo
	s_delay_alu instid0(VALU_DEP_1)
	v_cmpx_gt_u32_e64 s18, v5
	s_cbranch_execz .LBB1018_39
; %bb.38:
	global_load_u16 v5, v9, s[2:3] offset:1536
	v_lshrrev_b32_e32 v6, 16, v3
	s_delay_alu instid0(VALU_DEP_1) | instskip(SKIP_4) | instid1(VALU_DEP_1)
	v_and_b32_e32 v6, 0xff, v6
	s_wait_loadcnt 0x0
	v_cmp_eq_u16_e32 vcc_lo, 0, v5
	s_wait_alu 0xfffd
	v_cndmask_b32_e64 v5, 0, 1, vcc_lo
	v_lshlrev_b16 v5, 8, v5
	s_delay_alu instid0(VALU_DEP_1) | instskip(NEXT) | instid1(VALU_DEP_1)
	v_or_b32_e32 v5, v6, v5
	v_lshlrev_b32_e32 v5, 16, v5
	s_delay_alu instid0(VALU_DEP_1)
	v_and_or_b32 v3, 0xffff, v3, v5
.LBB1018_39:
	s_or_b32 exec_lo, exec_lo, s4
	v_or_b32_e32 v5, 0x400, v0
	s_mov_b32 s4, exec_lo
	s_delay_alu instid0(VALU_DEP_1)
	v_cmpx_gt_u32_e64 s18, v5
	s_cbranch_execz .LBB1018_41
; %bb.40:
	global_load_u16 v5, v9, s[2:3] offset:2048
	v_and_b32_e32 v6, 0xffffff00, v1
	s_wait_loadcnt 0x0
	v_cmp_eq_u16_e32 vcc_lo, 0, v5
	s_wait_alu 0xfffd
	v_cndmask_b32_e64 v5, 0, 1, vcc_lo
	s_delay_alu instid0(VALU_DEP_1) | instskip(NEXT) | instid1(VALU_DEP_1)
	v_or_b32_e32 v5, v5, v6
	v_and_b32_e32 v5, 0xffff, v5
	s_delay_alu instid0(VALU_DEP_1)
	v_and_or_b32 v1, 0xffff0000, v1, v5
.LBB1018_41:
	s_or_b32 exec_lo, exec_lo, s4
	v_or_b32_e32 v5, 0x500, v0
	s_mov_b32 s4, exec_lo
	s_delay_alu instid0(VALU_DEP_1)
	v_cmpx_gt_u32_e64 s18, v5
	s_cbranch_execz .LBB1018_43
; %bb.42:
	global_load_u16 v5, v9, s[2:3] offset:2560
	v_and_b32_e32 v6, 0xff, v1
	s_wait_loadcnt 0x0
	v_cmp_eq_u16_e32 vcc_lo, 0, v5
	s_wait_alu 0xfffd
	v_cndmask_b32_e64 v5, 0, 1, vcc_lo
	s_delay_alu instid0(VALU_DEP_1) | instskip(NEXT) | instid1(VALU_DEP_1)
	v_lshlrev_b16 v5, 8, v5
	v_or_b32_e32 v5, v6, v5
	s_delay_alu instid0(VALU_DEP_1) | instskip(NEXT) | instid1(VALU_DEP_1)
	v_and_b32_e32 v5, 0xffff, v5
	v_and_or_b32 v1, 0xffff0000, v1, v5
.LBB1018_43:
	s_or_b32 exec_lo, exec_lo, s4
	v_or_b32_e32 v5, 0x600, v0
	s_mov_b32 s4, exec_lo
	s_delay_alu instid0(VALU_DEP_1)
	v_cmpx_gt_u32_e64 s18, v5
	s_cbranch_execz .LBB1018_45
; %bb.44:
	global_load_u16 v5, v9, s[2:3] offset:3072
	v_lshrrev_b32_e32 v6, 16, v1
	s_delay_alu instid0(VALU_DEP_1) | instskip(SKIP_4) | instid1(VALU_DEP_1)
	v_and_b32_e32 v6, 0xffffff00, v6
	s_wait_loadcnt 0x0
	v_cmp_eq_u16_e32 vcc_lo, 0, v5
	s_wait_alu 0xfffd
	v_cndmask_b32_e64 v5, 0, 1, vcc_lo
	v_or_b32_e32 v5, v5, v6
	s_delay_alu instid0(VALU_DEP_1) | instskip(NEXT) | instid1(VALU_DEP_1)
	v_lshlrev_b32_e32 v5, 16, v5
	v_and_or_b32 v1, 0xffff, v1, v5
.LBB1018_45:
	s_or_b32 exec_lo, exec_lo, s4
	v_or_b32_e32 v5, 0x700, v0
	s_mov_b32 s4, exec_lo
	s_delay_alu instid0(VALU_DEP_1)
	v_cmpx_gt_u32_e64 s18, v5
	s_cbranch_execz .LBB1018_47
; %bb.46:
	global_load_u16 v5, v9, s[2:3] offset:3584
	v_lshrrev_b32_e32 v6, 16, v1
	s_delay_alu instid0(VALU_DEP_1) | instskip(SKIP_4) | instid1(VALU_DEP_1)
	v_and_b32_e32 v6, 0xff, v6
	s_wait_loadcnt 0x0
	v_cmp_eq_u16_e32 vcc_lo, 0, v5
	s_wait_alu 0xfffd
	v_cndmask_b32_e64 v5, 0, 1, vcc_lo
	v_lshlrev_b16 v5, 8, v5
	s_delay_alu instid0(VALU_DEP_1) | instskip(NEXT) | instid1(VALU_DEP_1)
	v_or_b32_e32 v5, v6, v5
	v_lshlrev_b32_e32 v5, 16, v5
	s_delay_alu instid0(VALU_DEP_1)
	v_and_or_b32 v1, 0xffff, v1, v5
.LBB1018_47:
	s_or_b32 exec_lo, exec_lo, s4
	v_or_b32_e32 v5, 0x800, v0
	s_mov_b32 s4, exec_lo
	s_delay_alu instid0(VALU_DEP_1)
	v_cmpx_gt_u32_e64 s18, v5
	s_cbranch_execz .LBB1018_49
; %bb.48:
	global_load_u16 v5, v9, s[2:3] offset:4096
	v_and_b32_e32 v6, 0xffffff00, v2
	s_wait_loadcnt 0x0
	v_cmp_eq_u16_e32 vcc_lo, 0, v5
	s_wait_alu 0xfffd
	v_cndmask_b32_e64 v5, 0, 1, vcc_lo
	s_delay_alu instid0(VALU_DEP_1) | instskip(NEXT) | instid1(VALU_DEP_1)
	v_or_b32_e32 v5, v5, v6
	v_and_b32_e32 v5, 0xffff, v5
	s_delay_alu instid0(VALU_DEP_1)
	v_and_or_b32 v2, 0xffff0000, v2, v5
.LBB1018_49:
	s_or_b32 exec_lo, exec_lo, s4
	v_or_b32_e32 v5, 0x900, v0
	s_mov_b32 s4, exec_lo
	s_delay_alu instid0(VALU_DEP_1)
	v_cmpx_gt_u32_e64 s18, v5
	s_cbranch_execz .LBB1018_51
; %bb.50:
	global_load_u16 v5, v9, s[2:3] offset:4608
	v_and_b32_e32 v6, 0xff, v2
	s_wait_loadcnt 0x0
	v_cmp_eq_u16_e32 vcc_lo, 0, v5
	s_wait_alu 0xfffd
	v_cndmask_b32_e64 v5, 0, 1, vcc_lo
	s_delay_alu instid0(VALU_DEP_1) | instskip(NEXT) | instid1(VALU_DEP_1)
	v_lshlrev_b16 v5, 8, v5
	v_or_b32_e32 v5, v6, v5
	s_delay_alu instid0(VALU_DEP_1) | instskip(NEXT) | instid1(VALU_DEP_1)
	v_and_b32_e32 v5, 0xffff, v5
	v_and_or_b32 v2, 0xffff0000, v2, v5
.LBB1018_51:
	s_or_b32 exec_lo, exec_lo, s4
	v_or_b32_e32 v5, 0xa00, v0
	s_mov_b32 s4, exec_lo
	s_delay_alu instid0(VALU_DEP_1)
	v_cmpx_gt_u32_e64 s18, v5
	s_cbranch_execz .LBB1018_53
; %bb.52:
	global_load_u16 v5, v9, s[2:3] offset:5120
	v_lshrrev_b32_e32 v6, 16, v2
	s_delay_alu instid0(VALU_DEP_1) | instskip(SKIP_4) | instid1(VALU_DEP_1)
	v_and_b32_e32 v6, 0xffffff00, v6
	s_wait_loadcnt 0x0
	v_cmp_eq_u16_e32 vcc_lo, 0, v5
	s_wait_alu 0xfffd
	v_cndmask_b32_e64 v5, 0, 1, vcc_lo
	v_or_b32_e32 v5, v5, v6
	s_delay_alu instid0(VALU_DEP_1) | instskip(NEXT) | instid1(VALU_DEP_1)
	v_lshlrev_b32_e32 v5, 16, v5
	v_and_or_b32 v2, 0xffff, v2, v5
.LBB1018_53:
	s_or_b32 exec_lo, exec_lo, s4
	v_or_b32_e32 v5, 0xb00, v0
	s_mov_b32 s4, exec_lo
	s_delay_alu instid0(VALU_DEP_1)
	v_cmpx_gt_u32_e64 s18, v5
	s_cbranch_execz .LBB1018_55
; %bb.54:
	global_load_u16 v5, v9, s[2:3] offset:5632
	v_lshrrev_b32_e32 v6, 16, v2
	s_delay_alu instid0(VALU_DEP_1) | instskip(SKIP_4) | instid1(VALU_DEP_1)
	v_and_b32_e32 v6, 0xff, v6
	s_wait_loadcnt 0x0
	v_cmp_eq_u16_e32 vcc_lo, 0, v5
	s_wait_alu 0xfffd
	v_cndmask_b32_e64 v5, 0, 1, vcc_lo
	v_lshlrev_b16 v5, 8, v5
	s_delay_alu instid0(VALU_DEP_1) | instskip(NEXT) | instid1(VALU_DEP_1)
	v_or_b32_e32 v5, v6, v5
	v_lshlrev_b32_e32 v5, 16, v5
	s_delay_alu instid0(VALU_DEP_1)
	v_and_or_b32 v2, 0xffff, v2, v5
.LBB1018_55:
	s_or_b32 exec_lo, exec_lo, s4
	v_lshrrev_b32_e32 v5, 8, v3
	v_lshrrev_b32_e32 v6, 24, v3
	;; [unrolled: 1-line block ×6, first 2 shown]
	ds_store_b8 v0, v4
	ds_store_b8 v0, v5 offset:256
	ds_store_b8_d16_hi v0, v3 offset:512
	ds_store_b8 v0, v6 offset:768
	ds_store_b8 v0, v1 offset:1024
	;; [unrolled: 1-line block ×3, first 2 shown]
	ds_store_b8_d16_hi v0, v1 offset:1536
	ds_store_b8 v0, v8 offset:1792
	ds_store_b8 v0, v2 offset:2048
	;; [unrolled: 1-line block ×3, first 2 shown]
	ds_store_b8_d16_hi v0, v2 offset:2560
	ds_store_b8 v0, v10 offset:2816
	s_wait_loadcnt_dscnt 0x0
	s_barrier_signal -1
	s_barrier_wait -1
.LBB1018_56:
	s_wait_loadcnt 0x0
	global_inv scope:SCOPE_SE
	ds_load_2addr_b32 v[43:44], v51 offset1:1
	ds_load_b32 v47, v51 offset:8
	s_load_b64 s[10:11], s[0:1], 0x68
	v_mbcnt_lo_u32_b32 v61, -1, 0
	s_cmp_lg_u32 ttmp9, 0
	s_mov_b32 s3, -1
	s_wait_loadcnt_dscnt 0x0
	s_barrier_signal -1
	v_and_b32_e32 v62, 15, v61
	s_barrier_wait -1
	global_inv scope:SCOPE_SE
	v_dual_mov_b32 v2, 0 :: v_dual_and_b32 v53, 0xff, v43
	v_bfe_u32 v54, v43, 8, 8
	v_bfe_u32 v52, v43, 16, 8
	v_lshrrev_b32_e32 v50, 24, v43
	v_and_b32_e32 v56, 0xff, v44
	v_bfe_u32 v57, v44, 8, 8
	v_bfe_u32 v58, v44, 16, 8
	v_add3_u32 v1, v54, v53, v52
	v_lshrrev_b32_e32 v49, 24, v44
	v_and_b32_e32 v59, 0xff, v47
	v_bfe_u32 v60, v47, 8, 8
	v_bfe_u32 v55, v47, 16, 8
	v_add_co_u32 v1, s2, v1, v50
	s_wait_alu 0xf1ff
	v_add_co_ci_u32_e64 v3, null, 0, 0, s2
	v_lshrrev_b32_e32 v48, 24, v47
	s_delay_alu instid0(VALU_DEP_3) | instskip(SKIP_1) | instid1(VALU_DEP_3)
	v_add_co_u32 v1, vcc_lo, v1, v56
	s_wait_alu 0xfffd
	v_add_co_ci_u32_e64 v3, null, 0, v3, vcc_lo
	v_cmp_ne_u32_e64 s2, 0, v62
	s_delay_alu instid0(VALU_DEP_3) | instskip(SKIP_1) | instid1(VALU_DEP_3)
	v_add_co_u32 v1, vcc_lo, v1, v57
	s_wait_alu 0xfffd
	v_add_co_ci_u32_e64 v3, null, 0, v3, vcc_lo
	s_delay_alu instid0(VALU_DEP_2) | instskip(SKIP_1) | instid1(VALU_DEP_2)
	v_add_co_u32 v1, vcc_lo, v1, v58
	s_wait_alu 0xfffd
	v_add_co_ci_u32_e64 v3, null, 0, v3, vcc_lo
	s_delay_alu instid0(VALU_DEP_2) | instskip(SKIP_1) | instid1(VALU_DEP_2)
	v_add_co_u32 v1, vcc_lo, v1, v49
	s_wait_alu 0xfffd
	v_add_co_ci_u32_e64 v3, null, 0, v3, vcc_lo
	s_delay_alu instid0(VALU_DEP_2) | instskip(SKIP_1) | instid1(VALU_DEP_2)
	v_add_co_u32 v1, vcc_lo, v1, v59
	s_wait_alu 0xfffd
	v_add_co_ci_u32_e64 v3, null, 0, v3, vcc_lo
	s_delay_alu instid0(VALU_DEP_2) | instskip(SKIP_1) | instid1(VALU_DEP_2)
	v_add_co_u32 v1, vcc_lo, v1, v60
	s_wait_alu 0xfffd
	v_add_co_ci_u32_e64 v3, null, 0, v3, vcc_lo
	s_delay_alu instid0(VALU_DEP_2) | instskip(SKIP_1) | instid1(VALU_DEP_2)
	v_add_co_u32 v1, vcc_lo, v1, v55
	s_wait_alu 0xfffd
	v_add_co_ci_u32_e64 v3, null, 0, v3, vcc_lo
	s_delay_alu instid0(VALU_DEP_2) | instskip(SKIP_1) | instid1(VALU_DEP_2)
	v_add_co_u32 v45, vcc_lo, v1, v48
	s_wait_alu 0xfffd
	v_add_co_ci_u32_e64 v46, null, 0, v3, vcc_lo
	s_cbranch_scc0 .LBB1018_113
; %bb.57:
	v_mov_b32_e32 v3, v45
	v_mov_b32_dpp v1, v45 row_shr:1 row_mask:0xf bank_mask:0xf
	v_mov_b32_dpp v6, v2 row_shr:1 row_mask:0xf bank_mask:0xf
	v_dual_mov_b32 v5, v45 :: v_dual_mov_b32 v4, v46
	s_and_saveexec_b32 s3, s2
; %bb.58:
	s_delay_alu instid0(VALU_DEP_3) | instskip(SKIP_2) | instid1(VALU_DEP_2)
	v_add_co_u32 v5, vcc_lo, v45, v1
	s_wait_alu 0xfffd
	v_add_co_ci_u32_e64 v2, null, 0, v46, vcc_lo
	v_add_co_u32 v1, vcc_lo, 0, v5
	s_wait_alu 0xfffd
	s_delay_alu instid0(VALU_DEP_2) | instskip(NEXT) | instid1(VALU_DEP_1)
	v_add_co_ci_u32_e64 v2, null, v6, v2, vcc_lo
	v_dual_mov_b32 v4, v2 :: v_dual_mov_b32 v3, v1
; %bb.59:
	s_wait_alu 0xfffe
	s_or_b32 exec_lo, exec_lo, s3
	v_mov_b32_dpp v1, v5 row_shr:2 row_mask:0xf bank_mask:0xf
	v_mov_b32_dpp v6, v2 row_shr:2 row_mask:0xf bank_mask:0xf
	s_mov_b32 s3, exec_lo
	v_cmpx_lt_u32_e32 1, v62
; %bb.60:
	s_delay_alu instid0(VALU_DEP_3) | instskip(SKIP_2) | instid1(VALU_DEP_2)
	v_add_co_u32 v5, vcc_lo, v3, v1
	s_wait_alu 0xfffd
	v_add_co_ci_u32_e64 v2, null, 0, v4, vcc_lo
	v_add_co_u32 v1, vcc_lo, 0, v5
	s_wait_alu 0xfffd
	s_delay_alu instid0(VALU_DEP_2) | instskip(NEXT) | instid1(VALU_DEP_1)
	v_add_co_ci_u32_e64 v2, null, v6, v2, vcc_lo
	v_dual_mov_b32 v4, v2 :: v_dual_mov_b32 v3, v1
; %bb.61:
	s_wait_alu 0xfffe
	s_or_b32 exec_lo, exec_lo, s3
	v_mov_b32_dpp v1, v5 row_shr:4 row_mask:0xf bank_mask:0xf
	v_mov_b32_dpp v6, v2 row_shr:4 row_mask:0xf bank_mask:0xf
	s_mov_b32 s3, exec_lo
	v_cmpx_lt_u32_e32 3, v62
	;; [unrolled: 17-line block ×3, first 2 shown]
; %bb.64:
	s_delay_alu instid0(VALU_DEP_3) | instskip(SKIP_2) | instid1(VALU_DEP_2)
	v_add_co_u32 v5, vcc_lo, v3, v6
	s_wait_alu 0xfffd
	v_add_co_ci_u32_e64 v2, null, 0, v4, vcc_lo
	v_add_co_u32 v3, vcc_lo, 0, v5
	s_wait_alu 0xfffd
	s_delay_alu instid0(VALU_DEP_2) | instskip(NEXT) | instid1(VALU_DEP_1)
	v_add_co_ci_u32_e64 v4, null, v1, v2, vcc_lo
	v_mov_b32_e32 v2, v4
; %bb.65:
	s_wait_alu 0xfffe
	s_or_b32 exec_lo, exec_lo, s3
	ds_swizzle_b32 v1, v5 offset:swizzle(BROADCAST,32,15)
	ds_swizzle_b32 v6, v2 offset:swizzle(BROADCAST,32,15)
	v_and_b32_e32 v7, 16, v61
	s_mov_b32 s3, exec_lo
	s_delay_alu instid0(VALU_DEP_1)
	v_cmpx_ne_u32_e32 0, v7
	s_cbranch_execz .LBB1018_67
; %bb.66:
	s_wait_dscnt 0x1
	v_add_co_u32 v5, vcc_lo, v3, v1
	s_wait_alu 0xfffd
	v_add_co_ci_u32_e64 v2, null, 0, v4, vcc_lo
	s_delay_alu instid0(VALU_DEP_2) | instskip(SKIP_2) | instid1(VALU_DEP_2)
	v_add_co_u32 v1, vcc_lo, 0, v5
	s_wait_dscnt 0x0
	s_wait_alu 0xfffd
	v_add_co_ci_u32_e64 v2, null, v6, v2, vcc_lo
	s_delay_alu instid0(VALU_DEP_1)
	v_dual_mov_b32 v4, v2 :: v_dual_mov_b32 v3, v1
.LBB1018_67:
	s_wait_alu 0xfffe
	s_or_b32 exec_lo, exec_lo, s3
	s_wait_dscnt 0x0
	v_or_b32_e32 v6, 31, v0
	v_lshrrev_b32_e32 v1, 5, v0
	s_mov_b32 s3, exec_lo
	s_delay_alu instid0(VALU_DEP_2)
	v_cmpx_eq_u32_e64 v0, v6
; %bb.68:
	s_delay_alu instid0(VALU_DEP_2)
	v_lshlrev_b32_e32 v6, 3, v1
	ds_store_b64 v6, v[3:4]
; %bb.69:
	s_wait_alu 0xfffe
	s_or_b32 exec_lo, exec_lo, s3
	s_delay_alu instid0(SALU_CYCLE_1)
	s_mov_b32 s3, exec_lo
	s_wait_loadcnt_dscnt 0x0
	s_barrier_signal -1
	s_barrier_wait -1
	global_inv scope:SCOPE_SE
	v_cmpx_gt_u32_e32 8, v0
	s_cbranch_execz .LBB1018_77
; %bb.70:
	v_lshlrev_b32_e32 v6, 3, v0
	s_mov_b32 s4, exec_lo
	ds_load_b64 v[3:4], v6
	s_wait_dscnt 0x0
	v_dual_mov_b32 v8, v3 :: v_dual_and_b32 v7, 7, v61
	v_mov_b32_dpp v10, v3 row_shr:1 row_mask:0xf bank_mask:0xf
	v_mov_b32_dpp v9, v4 row_shr:1 row_mask:0xf bank_mask:0xf
	s_delay_alu instid0(VALU_DEP_3)
	v_cmpx_ne_u32_e32 0, v7
; %bb.71:
	s_delay_alu instid0(VALU_DEP_3) | instskip(SKIP_2) | instid1(VALU_DEP_2)
	v_add_co_u32 v8, vcc_lo, v3, v10
	s_wait_alu 0xfffd
	v_add_co_ci_u32_e64 v4, null, 0, v4, vcc_lo
	v_add_co_u32 v3, vcc_lo, 0, v8
	s_wait_alu 0xfffd
	s_delay_alu instid0(VALU_DEP_2)
	v_add_co_ci_u32_e64 v4, null, v9, v4, vcc_lo
; %bb.72:
	s_or_b32 exec_lo, exec_lo, s4
	v_mov_b32_dpp v10, v8 row_shr:2 row_mask:0xf bank_mask:0xf
	s_delay_alu instid0(VALU_DEP_2)
	v_mov_b32_dpp v9, v4 row_shr:2 row_mask:0xf bank_mask:0xf
	s_mov_b32 s4, exec_lo
	v_cmpx_lt_u32_e32 1, v7
; %bb.73:
	s_delay_alu instid0(VALU_DEP_3) | instskip(SKIP_2) | instid1(VALU_DEP_2)
	v_add_co_u32 v8, vcc_lo, v3, v10
	s_wait_alu 0xfffd
	v_add_co_ci_u32_e64 v4, null, 0, v4, vcc_lo
	v_add_co_u32 v3, vcc_lo, 0, v8
	s_wait_alu 0xfffd
	s_delay_alu instid0(VALU_DEP_2)
	v_add_co_ci_u32_e64 v4, null, v9, v4, vcc_lo
; %bb.74:
	s_or_b32 exec_lo, exec_lo, s4
	v_mov_b32_dpp v9, v8 row_shr:4 row_mask:0xf bank_mask:0xf
	s_delay_alu instid0(VALU_DEP_2)
	v_mov_b32_dpp v8, v4 row_shr:4 row_mask:0xf bank_mask:0xf
	s_mov_b32 s4, exec_lo
	v_cmpx_lt_u32_e32 3, v7
; %bb.75:
	s_delay_alu instid0(VALU_DEP_3) | instskip(SKIP_2) | instid1(VALU_DEP_2)
	v_add_co_u32 v3, vcc_lo, v3, v9
	s_wait_alu 0xfffd
	v_add_co_ci_u32_e64 v4, null, 0, v4, vcc_lo
	v_add_co_u32 v3, vcc_lo, v3, 0
	s_wait_alu 0xfffd
	s_delay_alu instid0(VALU_DEP_2)
	v_add_co_ci_u32_e64 v4, null, v4, v8, vcc_lo
; %bb.76:
	s_or_b32 exec_lo, exec_lo, s4
	ds_store_b64 v6, v[3:4]
.LBB1018_77:
	s_wait_alu 0xfffe
	s_or_b32 exec_lo, exec_lo, s3
	s_delay_alu instid0(SALU_CYCLE_1)
	s_mov_b32 s4, exec_lo
	v_cmp_gt_u32_e32 vcc_lo, 32, v0
	s_wait_loadcnt_dscnt 0x0
	s_barrier_signal -1
	s_barrier_wait -1
	global_inv scope:SCOPE_SE
                                        ; implicit-def: $vgpr9_vgpr10
	v_cmpx_lt_u32_e32 31, v0
	s_cbranch_execz .LBB1018_79
; %bb.78:
	v_lshl_add_u32 v1, v1, 3, -8
	ds_load_b64 v[9:10], v1
	s_wait_dscnt 0x0
	v_add_co_u32 v5, s3, v5, v9
	s_wait_alu 0xf1ff
	v_add_co_ci_u32_e64 v2, null, v2, v10, s3
.LBB1018_79:
	s_or_b32 exec_lo, exec_lo, s4
	v_sub_co_u32 v1, s3, v61, 1
	s_delay_alu instid0(VALU_DEP_1) | instskip(NEXT) | instid1(VALU_DEP_1)
	v_cmp_gt_i32_e64 s4, 0, v1
	v_cndmask_b32_e64 v1, v1, v61, s4
	s_delay_alu instid0(VALU_DEP_1)
	v_lshlrev_b32_e32 v1, 2, v1
	ds_bpermute_b32 v15, v1, v5
	ds_bpermute_b32 v16, v1, v2
	s_and_saveexec_b32 s4, vcc_lo
	s_cbranch_execz .LBB1018_118
; %bb.80:
	v_mov_b32_e32 v4, 0
	ds_load_b64 v[1:2], v4 offset:56
	s_and_saveexec_b32 s5, s3
	s_cbranch_execz .LBB1018_82
; %bb.81:
	s_add_co_i32 s12, ttmp9, 32
	s_mov_b32 s13, 0
	s_wait_alu 0xfffe
	s_lshl_b64 s[12:13], s[12:13], 4
	s_wait_kmcnt 0x0
	s_wait_alu 0xfffe
	s_add_nc_u64 s[12:13], s[10:11], s[12:13]
	v_mov_b32_e32 v3, 1
	s_wait_alu 0xfffe
	v_dual_mov_b32 v5, s12 :: v_dual_mov_b32 v6, s13
	s_wait_dscnt 0x0
	;;#ASMSTART
	global_store_b128 v[5:6], v[1:4] off scope:SCOPE_DEV	
s_wait_storecnt 0x0
	;;#ASMEND
.LBB1018_82:
	s_wait_alu 0xfffe
	s_or_b32 exec_lo, exec_lo, s5
	v_xad_u32 v11, v61, -1, ttmp9
	s_mov_b32 s12, 0
	s_mov_b32 s5, exec_lo
	s_delay_alu instid0(VALU_DEP_1) | instskip(NEXT) | instid1(VALU_DEP_1)
	v_add_nc_u32_e32 v3, 32, v11
	v_lshlrev_b64_e32 v[3:4], 4, v[3:4]
	s_wait_kmcnt 0x0
	s_delay_alu instid0(VALU_DEP_1) | instskip(SKIP_1) | instid1(VALU_DEP_2)
	v_add_co_u32 v3, vcc_lo, s10, v3
	s_wait_alu 0xfffd
	v_add_co_ci_u32_e64 v4, null, s11, v4, vcc_lo
	;;#ASMSTART
	global_load_b128 v[5:8], v[3:4] off scope:SCOPE_DEV	
s_wait_loadcnt 0x0
	;;#ASMEND
	v_and_b32_e32 v8, 0xff, v7
	s_delay_alu instid0(VALU_DEP_1)
	v_cmpx_eq_u16_e32 0, v8
	s_cbranch_execz .LBB1018_85
.LBB1018_83:                            ; =>This Inner Loop Header: Depth=1
	;;#ASMSTART
	global_load_b128 v[5:8], v[3:4] off scope:SCOPE_DEV	
s_wait_loadcnt 0x0
	;;#ASMEND
	v_and_b32_e32 v8, 0xff, v7
	s_delay_alu instid0(VALU_DEP_1)
	v_cmp_ne_u16_e32 vcc_lo, 0, v8
	s_wait_alu 0xfffe
	s_or_b32 s12, vcc_lo, s12
	s_wait_alu 0xfffe
	s_and_not1_b32 exec_lo, exec_lo, s12
	s_cbranch_execnz .LBB1018_83
; %bb.84:
	s_or_b32 exec_lo, exec_lo, s12
.LBB1018_85:
	s_wait_alu 0xfffe
	s_or_b32 exec_lo, exec_lo, s5
	v_cmp_ne_u32_e32 vcc_lo, 31, v61
	v_and_b32_e32 v4, 0xff, v7
	v_lshlrev_b32_e64 v18, v61, -1
	s_mov_b32 s5, exec_lo
	s_wait_alu 0xfffd
	v_add_co_ci_u32_e64 v3, null, 0, v61, vcc_lo
	v_cmp_eq_u16_e32 vcc_lo, 2, v4
	s_delay_alu instid0(VALU_DEP_2)
	v_dual_mov_b32 v4, v5 :: v_dual_lshlrev_b32 v17, 2, v3
	s_wait_alu 0xfffd
	v_and_or_b32 v3, vcc_lo, v18, 0x80000000
	ds_bpermute_b32 v12, v17, v5
	ds_bpermute_b32 v8, v17, v6
	v_ctz_i32_b32_e32 v3, v3
	s_delay_alu instid0(VALU_DEP_1)
	v_cmpx_lt_u32_e64 v61, v3
	s_cbranch_execz .LBB1018_87
; %bb.86:
	s_wait_dscnt 0x1
	v_add_co_u32 v4, vcc_lo, v5, v12
	s_wait_alu 0xfffd
	v_add_co_ci_u32_e64 v6, null, 0, v6, vcc_lo
	s_delay_alu instid0(VALU_DEP_2) | instskip(SKIP_2) | instid1(VALU_DEP_2)
	v_add_co_u32 v5, vcc_lo, 0, v4
	s_wait_dscnt 0x0
	s_wait_alu 0xfffd
	v_add_co_ci_u32_e64 v6, null, v8, v6, vcc_lo
.LBB1018_87:
	s_wait_alu 0xfffe
	s_or_b32 exec_lo, exec_lo, s5
	v_cmp_gt_u32_e32 vcc_lo, 30, v61
	v_add_nc_u32_e32 v20, 2, v61
	s_mov_b32 s5, exec_lo
	s_wait_dscnt 0x0
	s_wait_alu 0xfffd
	v_cndmask_b32_e64 v8, 0, 2, vcc_lo
	s_delay_alu instid0(VALU_DEP_1)
	v_add_lshl_u32 v19, v8, v61, 2
	ds_bpermute_b32 v12, v19, v4
	ds_bpermute_b32 v8, v19, v6
	v_cmpx_le_u32_e64 v20, v3
	s_cbranch_execz .LBB1018_89
; %bb.88:
	s_wait_dscnt 0x1
	v_add_co_u32 v4, vcc_lo, v5, v12
	s_wait_alu 0xfffd
	v_add_co_ci_u32_e64 v6, null, 0, v6, vcc_lo
	s_delay_alu instid0(VALU_DEP_2) | instskip(SKIP_2) | instid1(VALU_DEP_2)
	v_add_co_u32 v5, vcc_lo, 0, v4
	s_wait_dscnt 0x0
	s_wait_alu 0xfffd
	v_add_co_ci_u32_e64 v6, null, v8, v6, vcc_lo
.LBB1018_89:
	s_wait_alu 0xfffe
	s_or_b32 exec_lo, exec_lo, s5
	v_cmp_gt_u32_e32 vcc_lo, 28, v61
	v_add_nc_u32_e32 v22, 4, v61
	s_mov_b32 s5, exec_lo
	s_wait_dscnt 0x0
	s_wait_alu 0xfffd
	v_cndmask_b32_e64 v8, 0, 4, vcc_lo
	s_delay_alu instid0(VALU_DEP_1)
	v_add_lshl_u32 v21, v8, v61, 2
	ds_bpermute_b32 v12, v21, v4
	ds_bpermute_b32 v8, v21, v6
	v_cmpx_le_u32_e64 v22, v3
	;; [unrolled: 25-line block ×3, first 2 shown]
	s_cbranch_execz .LBB1018_93
; %bb.92:
	s_wait_dscnt 0x1
	v_add_co_u32 v4, vcc_lo, v5, v12
	s_wait_alu 0xfffd
	v_add_co_ci_u32_e64 v6, null, 0, v6, vcc_lo
	s_delay_alu instid0(VALU_DEP_2) | instskip(SKIP_2) | instid1(VALU_DEP_2)
	v_add_co_u32 v5, vcc_lo, 0, v4
	s_wait_dscnt 0x0
	s_wait_alu 0xfffd
	v_add_co_ci_u32_e64 v6, null, v8, v6, vcc_lo
.LBB1018_93:
	s_wait_alu 0xfffe
	s_or_b32 exec_lo, exec_lo, s5
	v_lshl_or_b32 v25, v61, 2, 64
	v_add_nc_u32_e32 v26, 16, v61
	s_mov_b32 s5, exec_lo
	s_wait_dscnt 0x0
	ds_bpermute_b32 v8, v25, v4
	ds_bpermute_b32 v4, v25, v6
	v_cmpx_le_u32_e64 v26, v3
	s_cbranch_execz .LBB1018_95
; %bb.94:
	s_wait_dscnt 0x1
	v_add_co_u32 v3, vcc_lo, v5, v8
	s_wait_alu 0xfffd
	v_add_co_ci_u32_e64 v6, null, 0, v6, vcc_lo
	s_delay_alu instid0(VALU_DEP_2) | instskip(SKIP_2) | instid1(VALU_DEP_2)
	v_add_co_u32 v5, vcc_lo, v3, 0
	s_wait_dscnt 0x0
	s_wait_alu 0xfffd
	v_add_co_ci_u32_e64 v6, null, v6, v4, vcc_lo
.LBB1018_95:
	s_wait_alu 0xfffe
	s_or_b32 exec_lo, exec_lo, s5
	v_mov_b32_e32 v12, 0
	s_branch .LBB1018_98
.LBB1018_96:                            ;   in Loop: Header=BB1018_98 Depth=1
	s_wait_alu 0xfffe
	s_or_b32 exec_lo, exec_lo, s5
	v_add_co_u32 v5, vcc_lo, v5, v3
	v_subrev_nc_u32_e32 v11, 32, v11
	s_wait_alu 0xfffd
	v_add_co_ci_u32_e64 v6, null, v6, v4, vcc_lo
	s_mov_b32 s5, 0
.LBB1018_97:                            ;   in Loop: Header=BB1018_98 Depth=1
	s_wait_alu 0xfffe
	s_and_b32 vcc_lo, exec_lo, s5
	s_wait_alu 0xfffe
	s_cbranch_vccnz .LBB1018_114
.LBB1018_98:                            ; =>This Loop Header: Depth=1
                                        ;     Child Loop BB1018_101 Depth 2
	v_and_b32_e32 v3, 0xff, v7
	s_mov_b32 s5, -1
	s_delay_alu instid0(VALU_DEP_1)
	v_cmp_ne_u16_e32 vcc_lo, 2, v3
	s_wait_dscnt 0x0
	v_dual_mov_b32 v3, v5 :: v_dual_mov_b32 v4, v6
                                        ; implicit-def: $vgpr5_vgpr6
	s_cmp_lg_u32 vcc_lo, exec_lo
	s_cbranch_scc1 .LBB1018_97
; %bb.99:                               ;   in Loop: Header=BB1018_98 Depth=1
	v_lshlrev_b64_e32 v[5:6], 4, v[11:12]
	s_mov_b32 s5, exec_lo
	s_delay_alu instid0(VALU_DEP_1) | instskip(SKIP_1) | instid1(VALU_DEP_2)
	v_add_co_u32 v13, vcc_lo, s10, v5
	s_wait_alu 0xfffd
	v_add_co_ci_u32_e64 v14, null, s11, v6, vcc_lo
	;;#ASMSTART
	global_load_b128 v[5:8], v[13:14] off scope:SCOPE_DEV	
s_wait_loadcnt 0x0
	;;#ASMEND
	v_and_b32_e32 v8, 0xff, v7
	s_delay_alu instid0(VALU_DEP_1)
	v_cmpx_eq_u16_e32 0, v8
	s_cbranch_execz .LBB1018_103
; %bb.100:                              ;   in Loop: Header=BB1018_98 Depth=1
	s_mov_b32 s12, 0
.LBB1018_101:                           ;   Parent Loop BB1018_98 Depth=1
                                        ; =>  This Inner Loop Header: Depth=2
	;;#ASMSTART
	global_load_b128 v[5:8], v[13:14] off scope:SCOPE_DEV	
s_wait_loadcnt 0x0
	;;#ASMEND
	v_and_b32_e32 v8, 0xff, v7
	s_delay_alu instid0(VALU_DEP_1)
	v_cmp_ne_u16_e32 vcc_lo, 0, v8
	s_wait_alu 0xfffe
	s_or_b32 s12, vcc_lo, s12
	s_wait_alu 0xfffe
	s_and_not1_b32 exec_lo, exec_lo, s12
	s_cbranch_execnz .LBB1018_101
; %bb.102:                              ;   in Loop: Header=BB1018_98 Depth=1
	s_or_b32 exec_lo, exec_lo, s12
.LBB1018_103:                           ;   in Loop: Header=BB1018_98 Depth=1
	s_wait_alu 0xfffe
	s_or_b32 exec_lo, exec_lo, s5
	v_dual_mov_b32 v13, v5 :: v_dual_and_b32 v8, 0xff, v7
	ds_bpermute_b32 v27, v17, v5
	ds_bpermute_b32 v14, v17, v6
	s_mov_b32 s5, exec_lo
	v_cmp_eq_u16_e32 vcc_lo, 2, v8
	s_wait_alu 0xfffd
	v_and_or_b32 v8, vcc_lo, v18, 0x80000000
	s_delay_alu instid0(VALU_DEP_1) | instskip(NEXT) | instid1(VALU_DEP_1)
	v_ctz_i32_b32_e32 v8, v8
	v_cmpx_lt_u32_e64 v61, v8
	s_cbranch_execz .LBB1018_105
; %bb.104:                              ;   in Loop: Header=BB1018_98 Depth=1
	s_wait_dscnt 0x1
	v_add_co_u32 v13, vcc_lo, v5, v27
	s_wait_alu 0xfffd
	v_add_co_ci_u32_e64 v6, null, 0, v6, vcc_lo
	s_delay_alu instid0(VALU_DEP_2) | instskip(SKIP_2) | instid1(VALU_DEP_2)
	v_add_co_u32 v5, vcc_lo, 0, v13
	s_wait_dscnt 0x0
	s_wait_alu 0xfffd
	v_add_co_ci_u32_e64 v6, null, v14, v6, vcc_lo
.LBB1018_105:                           ;   in Loop: Header=BB1018_98 Depth=1
	s_wait_alu 0xfffe
	s_or_b32 exec_lo, exec_lo, s5
	s_wait_dscnt 0x1
	ds_bpermute_b32 v27, v19, v13
	s_wait_dscnt 0x1
	ds_bpermute_b32 v14, v19, v6
	s_mov_b32 s5, exec_lo
	v_cmpx_le_u32_e64 v20, v8
	s_cbranch_execz .LBB1018_107
; %bb.106:                              ;   in Loop: Header=BB1018_98 Depth=1
	s_wait_dscnt 0x1
	v_add_co_u32 v13, vcc_lo, v5, v27
	s_wait_alu 0xfffd
	v_add_co_ci_u32_e64 v6, null, 0, v6, vcc_lo
	s_delay_alu instid0(VALU_DEP_2) | instskip(SKIP_2) | instid1(VALU_DEP_2)
	v_add_co_u32 v5, vcc_lo, 0, v13
	s_wait_dscnt 0x0
	s_wait_alu 0xfffd
	v_add_co_ci_u32_e64 v6, null, v14, v6, vcc_lo
.LBB1018_107:                           ;   in Loop: Header=BB1018_98 Depth=1
	s_wait_alu 0xfffe
	s_or_b32 exec_lo, exec_lo, s5
	s_wait_dscnt 0x1
	ds_bpermute_b32 v27, v21, v13
	s_wait_dscnt 0x1
	ds_bpermute_b32 v14, v21, v6
	s_mov_b32 s5, exec_lo
	v_cmpx_le_u32_e64 v22, v8
	;; [unrolled: 20-line block ×3, first 2 shown]
	s_cbranch_execz .LBB1018_111
; %bb.110:                              ;   in Loop: Header=BB1018_98 Depth=1
	s_wait_dscnt 0x1
	v_add_co_u32 v13, vcc_lo, v5, v27
	s_wait_alu 0xfffd
	v_add_co_ci_u32_e64 v6, null, 0, v6, vcc_lo
	s_delay_alu instid0(VALU_DEP_2) | instskip(SKIP_2) | instid1(VALU_DEP_2)
	v_add_co_u32 v5, vcc_lo, 0, v13
	s_wait_dscnt 0x0
	s_wait_alu 0xfffd
	v_add_co_ci_u32_e64 v6, null, v14, v6, vcc_lo
.LBB1018_111:                           ;   in Loop: Header=BB1018_98 Depth=1
	s_wait_alu 0xfffe
	s_or_b32 exec_lo, exec_lo, s5
	s_wait_dscnt 0x0
	ds_bpermute_b32 v14, v25, v13
	ds_bpermute_b32 v13, v25, v6
	s_mov_b32 s5, exec_lo
	v_cmpx_le_u32_e64 v26, v8
	s_cbranch_execz .LBB1018_96
; %bb.112:                              ;   in Loop: Header=BB1018_98 Depth=1
	s_wait_dscnt 0x1
	v_add_co_u32 v5, vcc_lo, v5, v14
	s_wait_alu 0xfffd
	v_add_co_ci_u32_e64 v6, null, 0, v6, vcc_lo
	s_delay_alu instid0(VALU_DEP_2) | instskip(SKIP_2) | instid1(VALU_DEP_2)
	v_add_co_u32 v5, vcc_lo, v5, 0
	s_wait_dscnt 0x0
	s_wait_alu 0xfffd
	v_add_co_ci_u32_e64 v6, null, v6, v13, vcc_lo
	s_branch .LBB1018_96
.LBB1018_113:
                                        ; implicit-def: $vgpr39_vgpr40
                                        ; implicit-def: $vgpr1_vgpr2_vgpr3_vgpr4_vgpr5_vgpr6_vgpr7_vgpr8_vgpr9_vgpr10_vgpr11_vgpr12_vgpr13_vgpr14_vgpr15_vgpr16_vgpr17_vgpr18_vgpr19_vgpr20_vgpr21_vgpr22_vgpr23_vgpr24_vgpr25_vgpr26_vgpr27_vgpr28_vgpr29_vgpr30_vgpr31_vgpr32
	s_wait_alu 0xfffe
	s_and_b32 vcc_lo, exec_lo, s3
	s_wait_alu 0xfffe
	s_cbranch_vccnz .LBB1018_119
	s_branch .LBB1018_144
.LBB1018_114:
	s_and_saveexec_b32 s5, s3
	s_cbranch_execz .LBB1018_116
; %bb.115:
	s_add_co_i32 s12, ttmp9, 32
	s_mov_b32 s13, 0
	v_add_co_u32 v5, vcc_lo, v3, v1
	s_wait_alu 0xfffe
	s_lshl_b64 s[12:13], s[12:13], 4
	v_dual_mov_b32 v7, 2 :: v_dual_mov_b32 v8, 0
	s_wait_alu 0xfffe
	s_add_nc_u64 s[12:13], s[10:11], s[12:13]
	s_wait_alu 0xfffd
	v_add_co_ci_u32_e64 v6, null, v4, v2, vcc_lo
	s_wait_alu 0xfffe
	v_dual_mov_b32 v11, s12 :: v_dual_mov_b32 v12, s13
	;;#ASMSTART
	global_store_b128 v[11:12], v[5:8] off scope:SCOPE_DEV	
s_wait_storecnt 0x0
	;;#ASMEND
	ds_store_b128 v8, v[1:4] offset:6144
.LBB1018_116:
	s_wait_alu 0xfffe
	s_or_b32 exec_lo, exec_lo, s5
	v_cmp_eq_u32_e32 vcc_lo, 0, v0
	s_and_b32 exec_lo, exec_lo, vcc_lo
; %bb.117:
	v_mov_b32_e32 v1, 0
	ds_store_b64 v1, v[3:4] offset:56
.LBB1018_118:
	s_wait_alu 0xfffe
	s_or_b32 exec_lo, exec_lo, s4
	s_wait_dscnt 0x0
	v_cndmask_b32_e64 v4, v16, v10, s3
	v_cmp_ne_u32_e32 vcc_lo, 0, v0
	v_mov_b32_e32 v17, 0
	s_wait_loadcnt 0x0
	s_barrier_signal -1
	s_barrier_wait -1
	global_inv scope:SCOPE_SE
	s_wait_alu 0xfffd
	v_cndmask_b32_e32 v4, 0, v4, vcc_lo
	ds_load_b64 v[1:2], v17 offset:56
	v_cndmask_b32_e64 v3, v15, v9, s3
	s_wait_loadcnt_dscnt 0x0
	s_barrier_signal -1
	s_barrier_wait -1
	global_inv scope:SCOPE_SE
	v_cndmask_b32_e32 v3, 0, v3, vcc_lo
	ds_load_b128 v[37:40], v17 offset:6144
	v_add_co_u32 v1, vcc_lo, v1, v3
	s_wait_alu 0xfffd
	v_add_co_ci_u32_e64 v2, null, v2, v4, vcc_lo
	s_delay_alu instid0(VALU_DEP_2) | instskip(SKIP_1) | instid1(VALU_DEP_2)
	v_add_co_u32 v3, vcc_lo, v1, v53
	s_wait_alu 0xfffd
	v_add_co_ci_u32_e64 v4, null, 0, v2, vcc_lo
	s_delay_alu instid0(VALU_DEP_2) | instskip(SKIP_1) | instid1(VALU_DEP_2)
	;; [unrolled: 4-line block ×11, first 2 shown]
	v_add_co_u32 v23, vcc_lo, v21, v55
	s_wait_alu 0xfffd
	v_add_co_ci_u32_e64 v24, null, 0, v22, vcc_lo
	s_branch .LBB1018_144
.LBB1018_119:
	v_dual_mov_b32 v2, 0 :: v_dual_mov_b32 v3, v45
	v_mov_b32_dpp v4, v45 row_shr:1 row_mask:0xf bank_mask:0xf
	s_delay_alu instid0(VALU_DEP_2)
	v_mov_b32_dpp v1, v2 row_shr:1 row_mask:0xf bank_mask:0xf
	s_and_saveexec_b32 s3, s2
; %bb.120:
	s_delay_alu instid0(VALU_DEP_2) | instskip(SKIP_2) | instid1(VALU_DEP_2)
	v_add_co_u32 v3, vcc_lo, v45, v4
	s_wait_alu 0xfffd
	v_add_co_ci_u32_e64 v2, null, 0, v46, vcc_lo
	v_add_co_u32 v45, vcc_lo, 0, v3
	s_wait_alu 0xfffd
	s_delay_alu instid0(VALU_DEP_2) | instskip(NEXT) | instid1(VALU_DEP_1)
	v_add_co_ci_u32_e64 v46, null, v1, v2, vcc_lo
	v_mov_b32_e32 v2, v46
; %bb.121:
	s_wait_alu 0xfffe
	s_or_b32 exec_lo, exec_lo, s3
	v_mov_b32_dpp v1, v3 row_shr:2 row_mask:0xf bank_mask:0xf
	s_delay_alu instid0(VALU_DEP_2)
	v_mov_b32_dpp v4, v2 row_shr:2 row_mask:0xf bank_mask:0xf
	s_mov_b32 s2, exec_lo
	v_cmpx_lt_u32_e32 1, v62
; %bb.122:
	s_delay_alu instid0(VALU_DEP_3) | instskip(SKIP_2) | instid1(VALU_DEP_2)
	v_add_co_u32 v3, vcc_lo, v45, v1
	s_wait_alu 0xfffd
	v_add_co_ci_u32_e64 v2, null, 0, v46, vcc_lo
	v_add_co_u32 v1, vcc_lo, 0, v3
	s_wait_alu 0xfffd
	s_delay_alu instid0(VALU_DEP_2) | instskip(NEXT) | instid1(VALU_DEP_1)
	v_add_co_ci_u32_e64 v2, null, v4, v2, vcc_lo
	v_dual_mov_b32 v46, v2 :: v_dual_mov_b32 v45, v1
; %bb.123:
	s_wait_alu 0xfffe
	s_or_b32 exec_lo, exec_lo, s2
	v_mov_b32_dpp v1, v3 row_shr:4 row_mask:0xf bank_mask:0xf
	v_mov_b32_dpp v4, v2 row_shr:4 row_mask:0xf bank_mask:0xf
	s_mov_b32 s2, exec_lo
	v_cmpx_lt_u32_e32 3, v62
; %bb.124:
	s_delay_alu instid0(VALU_DEP_3) | instskip(SKIP_2) | instid1(VALU_DEP_2)
	v_add_co_u32 v3, vcc_lo, v45, v1
	s_wait_alu 0xfffd
	v_add_co_ci_u32_e64 v2, null, 0, v46, vcc_lo
	v_add_co_u32 v1, vcc_lo, 0, v3
	s_wait_alu 0xfffd
	s_delay_alu instid0(VALU_DEP_2) | instskip(NEXT) | instid1(VALU_DEP_1)
	v_add_co_ci_u32_e64 v2, null, v4, v2, vcc_lo
	v_dual_mov_b32 v46, v2 :: v_dual_mov_b32 v45, v1
; %bb.125:
	s_wait_alu 0xfffe
	s_or_b32 exec_lo, exec_lo, s2
	v_mov_b32_dpp v4, v3 row_shr:8 row_mask:0xf bank_mask:0xf
	v_mov_b32_dpp v1, v2 row_shr:8 row_mask:0xf bank_mask:0xf
	s_mov_b32 s2, exec_lo
	v_cmpx_lt_u32_e32 7, v62
; %bb.126:
	s_delay_alu instid0(VALU_DEP_3) | instskip(SKIP_2) | instid1(VALU_DEP_2)
	v_add_co_u32 v3, vcc_lo, v45, v4
	s_wait_alu 0xfffd
	v_add_co_ci_u32_e64 v2, null, 0, v46, vcc_lo
	v_add_co_u32 v45, vcc_lo, 0, v3
	s_wait_alu 0xfffd
	s_delay_alu instid0(VALU_DEP_2) | instskip(NEXT) | instid1(VALU_DEP_1)
	v_add_co_ci_u32_e64 v46, null, v1, v2, vcc_lo
	v_mov_b32_e32 v2, v46
; %bb.127:
	s_wait_alu 0xfffe
	s_or_b32 exec_lo, exec_lo, s2
	ds_swizzle_b32 v3, v3 offset:swizzle(BROADCAST,32,15)
	ds_swizzle_b32 v1, v2 offset:swizzle(BROADCAST,32,15)
	v_and_b32_e32 v2, 16, v61
	s_mov_b32 s2, exec_lo
	s_delay_alu instid0(VALU_DEP_1)
	v_cmpx_ne_u32_e32 0, v2
	s_cbranch_execz .LBB1018_129
; %bb.128:
	s_wait_dscnt 0x1
	v_add_co_u32 v2, vcc_lo, v45, v3
	s_wait_alu 0xfffd
	v_add_co_ci_u32_e64 v3, null, 0, v46, vcc_lo
	s_delay_alu instid0(VALU_DEP_2) | instskip(SKIP_2) | instid1(VALU_DEP_2)
	v_add_co_u32 v45, vcc_lo, v2, 0
	s_wait_dscnt 0x0
	s_wait_alu 0xfffd
	v_add_co_ci_u32_e64 v46, null, v3, v1, vcc_lo
.LBB1018_129:
	s_wait_alu 0xfffe
	s_or_b32 exec_lo, exec_lo, s2
	s_wait_dscnt 0x0
	v_or_b32_e32 v1, 31, v0
	v_lshrrev_b32_e32 v3, 5, v0
	s_mov_b32 s2, exec_lo
	s_delay_alu instid0(VALU_DEP_2)
	v_cmpx_eq_u32_e64 v0, v1
; %bb.130:
	s_delay_alu instid0(VALU_DEP_2)
	v_lshlrev_b32_e32 v1, 3, v3
	ds_store_b64 v1, v[45:46]
; %bb.131:
	s_wait_alu 0xfffe
	s_or_b32 exec_lo, exec_lo, s2
	s_delay_alu instid0(SALU_CYCLE_1)
	s_mov_b32 s2, exec_lo
	s_wait_loadcnt_dscnt 0x0
	s_barrier_signal -1
	s_barrier_wait -1
	global_inv scope:SCOPE_SE
	v_cmpx_gt_u32_e32 8, v0
	s_cbranch_execz .LBB1018_139
; %bb.132:
	v_lshlrev_b32_e32 v4, 2, v0
	s_mov_b32 s3, exec_lo
	s_delay_alu instid0(VALU_DEP_1)
	v_sub_nc_u32_e32 v1, v51, v4
	ds_load_b64 v[1:2], v1
	s_wait_dscnt 0x0
	v_dual_mov_b32 v6, v1 :: v_dual_and_b32 v5, 7, v61
	v_mov_b32_dpp v8, v1 row_shr:1 row_mask:0xf bank_mask:0xf
	v_mov_b32_dpp v7, v2 row_shr:1 row_mask:0xf bank_mask:0xf
	s_delay_alu instid0(VALU_DEP_3)
	v_cmpx_ne_u32_e32 0, v5
; %bb.133:
	s_delay_alu instid0(VALU_DEP_3) | instskip(SKIP_2) | instid1(VALU_DEP_2)
	v_add_co_u32 v6, vcc_lo, v1, v8
	s_wait_alu 0xfffd
	v_add_co_ci_u32_e64 v2, null, 0, v2, vcc_lo
	v_add_co_u32 v1, vcc_lo, 0, v6
	s_wait_alu 0xfffd
	s_delay_alu instid0(VALU_DEP_2)
	v_add_co_ci_u32_e64 v2, null, v7, v2, vcc_lo
; %bb.134:
	s_wait_alu 0xfffe
	s_or_b32 exec_lo, exec_lo, s3
	v_mov_b32_dpp v8, v6 row_shr:2 row_mask:0xf bank_mask:0xf
	s_delay_alu instid0(VALU_DEP_2)
	v_mov_b32_dpp v7, v2 row_shr:2 row_mask:0xf bank_mask:0xf
	s_mov_b32 s3, exec_lo
	v_cmpx_lt_u32_e32 1, v5
; %bb.135:
	s_delay_alu instid0(VALU_DEP_3) | instskip(SKIP_2) | instid1(VALU_DEP_2)
	v_add_co_u32 v6, vcc_lo, v1, v8
	s_wait_alu 0xfffd
	v_add_co_ci_u32_e64 v2, null, 0, v2, vcc_lo
	v_add_co_u32 v1, vcc_lo, 0, v6
	s_wait_alu 0xfffd
	s_delay_alu instid0(VALU_DEP_2)
	v_add_co_ci_u32_e64 v2, null, v7, v2, vcc_lo
; %bb.136:
	s_wait_alu 0xfffe
	s_or_b32 exec_lo, exec_lo, s3
	v_sub_nc_u32_e32 v4, 0, v4
	v_mov_b32_dpp v7, v6 row_shr:4 row_mask:0xf bank_mask:0xf
	v_mov_b32_dpp v6, v2 row_shr:4 row_mask:0xf bank_mask:0xf
	s_mov_b32 s3, exec_lo
	v_cmpx_lt_u32_e32 3, v5
; %bb.137:
	s_delay_alu instid0(VALU_DEP_3) | instskip(SKIP_2) | instid1(VALU_DEP_2)
	v_add_co_u32 v1, vcc_lo, v1, v7
	s_wait_alu 0xfffd
	v_add_co_ci_u32_e64 v2, null, 0, v2, vcc_lo
	v_add_co_u32 v1, vcc_lo, v1, 0
	s_wait_alu 0xfffd
	s_delay_alu instid0(VALU_DEP_2)
	v_add_co_ci_u32_e64 v2, null, v2, v6, vcc_lo
; %bb.138:
	s_wait_alu 0xfffe
	s_or_b32 exec_lo, exec_lo, s3
	v_add_nc_u32_e32 v4, v51, v4
	ds_store_b64 v4, v[1:2]
.LBB1018_139:
	s_wait_alu 0xfffe
	s_or_b32 exec_lo, exec_lo, s2
	v_mov_b32_e32 v1, 0
	v_mov_b32_e32 v2, 0
	s_mov_b32 s2, exec_lo
	s_wait_loadcnt_dscnt 0x0
	s_barrier_signal -1
	s_barrier_wait -1
	global_inv scope:SCOPE_SE
	v_cmpx_lt_u32_e32 31, v0
; %bb.140:
	v_lshl_add_u32 v1, v3, 3, -8
	ds_load_b64 v[1:2], v1
; %bb.141:
	s_wait_alu 0xfffe
	s_or_b32 exec_lo, exec_lo, s2
	v_sub_co_u32 v3, vcc_lo, v61, 1
	v_mov_b32_e32 v40, 0
	s_delay_alu instid0(VALU_DEP_2) | instskip(SKIP_3) | instid1(VALU_DEP_1)
	v_cmp_gt_i32_e64 s2, 0, v3
	ds_load_b64 v[37:38], v40 offset:56
	s_wait_alu 0xf1ff
	v_cndmask_b32_e64 v3, v3, v61, s2
	v_lshlrev_b32_e32 v4, 2, v3
	s_wait_dscnt 0x1
	v_add_co_u32 v3, s2, v1, v45
	s_wait_alu 0xf1ff
	v_add_co_ci_u32_e64 v5, null, v2, v46, s2
	v_cmp_eq_u32_e64 s2, 0, v0
	ds_bpermute_b32 v3, v4, v3
	ds_bpermute_b32 v4, v4, v5
	s_and_saveexec_b32 s3, s2
	s_cbranch_execz .LBB1018_143
; %bb.142:
	s_wait_kmcnt 0x0
	s_add_nc_u64 s[4:5], s[10:11], 0x200
	s_delay_alu instid0(SALU_CYCLE_1)
	v_dual_mov_b32 v39, 2 :: v_dual_mov_b32 v6, s5
	v_mov_b32_e32 v5, s4
	s_wait_dscnt 0x2
	;;#ASMSTART
	global_store_b128 v[5:6], v[37:40] off scope:SCOPE_DEV	
s_wait_storecnt 0x0
	;;#ASMEND
.LBB1018_143:
	s_wait_alu 0xfffe
	s_or_b32 exec_lo, exec_lo, s3
	s_wait_dscnt 0x0
	s_wait_alu 0xfffd
	v_dual_cndmask_b32 v1, v3, v1 :: v_dual_cndmask_b32 v2, v4, v2
	v_mov_b32_e32 v39, 0
	v_mov_b32_e32 v40, 0
	s_wait_loadcnt 0x0
	s_delay_alu instid0(VALU_DEP_3)
	v_cndmask_b32_e64 v1, v1, 0, s2
	v_cndmask_b32_e64 v2, v2, 0, s2
	s_barrier_signal -1
	s_barrier_wait -1
	global_inv scope:SCOPE_SE
	v_add_co_u32 v3, vcc_lo, v1, v53
	s_wait_alu 0xfffd
	v_add_co_ci_u32_e64 v4, null, 0, v2, vcc_lo
	s_delay_alu instid0(VALU_DEP_2) | instskip(SKIP_1) | instid1(VALU_DEP_2)
	v_add_co_u32 v5, vcc_lo, v3, v54
	s_wait_alu 0xfffd
	v_add_co_ci_u32_e64 v6, null, 0, v4, vcc_lo
	s_delay_alu instid0(VALU_DEP_2) | instskip(SKIP_1) | instid1(VALU_DEP_2)
	;; [unrolled: 4-line block ×10, first 2 shown]
	v_add_co_u32 v23, vcc_lo, v21, v55
	s_wait_alu 0xfffd
	v_add_co_ci_u32_e64 v24, null, 0, v22, vcc_lo
.LBB1018_144:
	s_load_b64 s[2:3], s[0:1], 0x30
	v_lshrrev_b32_e32 v54, 8, v43
	v_lshrrev_b32_e32 v52, 16, v43
	v_and_b32_e32 v43, 1, v43
	s_wait_dscnt 0x0
	v_cmp_gt_u64_e32 vcc_lo, 0x101, v[37:38]
	v_lshrrev_b32_e32 v45, 8, v44
	v_lshrrev_b32_e32 v32, 16, v44
	;; [unrolled: 1-line block ×10, first 2 shown]
	v_cmp_eq_u32_e64 s0, 1, v43
	s_mov_b32 s1, -1
	s_cbranch_vccnz .LBB1018_148
; %bb.145:
	s_wait_alu 0xfffe
	s_and_b32 vcc_lo, exec_lo, s1
	s_wait_alu 0xfffe
	s_cbranch_vccnz .LBB1018_173
.LBB1018_146:
	v_cmp_eq_u32_e32 vcc_lo, 0, v0
	s_and_b32 s0, vcc_lo, s16
	s_wait_alu 0xfffe
	s_and_saveexec_b32 s1, s0
	s_cbranch_execnz .LBB1018_200
.LBB1018_147:
	s_endpgm
.LBB1018_148:
	v_add_co_u32 v25, vcc_lo, v39, v37
	s_wait_alu 0xfffd
	v_add_co_ci_u32_e64 v26, null, v40, v38, vcc_lo
	s_lshl_b64 s[4:5], s[6:7], 1
	s_wait_kmcnt 0x0
	s_wait_alu 0xfffe
	s_add_nc_u64 s[4:5], s[2:3], s[4:5]
	v_cmp_lt_u64_e32 vcc_lo, v[1:2], v[25:26]
	s_or_b32 s1, s17, vcc_lo
	s_wait_alu 0xfffe
	s_and_b32 s1, s1, s0
	s_wait_alu 0xfffe
	s_and_saveexec_b32 s0, s1
	s_cbranch_execz .LBB1018_150
; %bb.149:
	v_lshlrev_b64_e32 v[55:56], 1, v[1:2]
	s_delay_alu instid0(VALU_DEP_1) | instskip(SKIP_1) | instid1(VALU_DEP_2)
	v_add_co_u32 v55, vcc_lo, s4, v55
	s_wait_alu 0xfffd
	v_add_co_ci_u32_e64 v56, null, s5, v56, vcc_lo
	global_store_b16 v[55:56], v33, off
.LBB1018_150:
	s_wait_alu 0xfffe
	s_or_b32 exec_lo, exec_lo, s0
	v_and_b32_e32 v2, 1, v54
	v_cmp_lt_u64_e32 vcc_lo, v[3:4], v[25:26]
	s_delay_alu instid0(VALU_DEP_2)
	v_cmp_eq_u32_e64 s0, 1, v2
	s_or_b32 s1, s17, vcc_lo
	s_wait_alu 0xfffe
	s_and_b32 s1, s1, s0
	s_wait_alu 0xfffe
	s_and_saveexec_b32 s0, s1
	s_cbranch_execz .LBB1018_152
; %bb.151:
	v_lshlrev_b64_e32 v[55:56], 1, v[3:4]
	s_delay_alu instid0(VALU_DEP_1) | instskip(SKIP_1) | instid1(VALU_DEP_2)
	v_add_co_u32 v55, vcc_lo, s4, v55
	s_wait_alu 0xfffd
	v_add_co_ci_u32_e64 v56, null, s5, v56, vcc_lo
	global_store_b16 v[55:56], v53, off
.LBB1018_152:
	s_wait_alu 0xfffe
	s_or_b32 exec_lo, exec_lo, s0
	v_and_b32_e32 v2, 1, v52
	v_cmp_lt_u64_e32 vcc_lo, v[5:6], v[25:26]
	s_delay_alu instid0(VALU_DEP_2)
	v_cmp_eq_u32_e64 s0, 1, v2
	;; [unrolled: 20-line block ×11, first 2 shown]
	s_or_b32 s1, s17, vcc_lo
	s_wait_alu 0xfffe
	s_and_b32 s1, s1, s0
	s_wait_alu 0xfffe
	s_and_saveexec_b32 s0, s1
	s_cbranch_execz .LBB1018_172
; %bb.171:
	v_lshlrev_b64_e32 v[24:25], 1, v[23:24]
	s_delay_alu instid0(VALU_DEP_1) | instskip(SKIP_1) | instid1(VALU_DEP_2)
	v_add_co_u32 v24, vcc_lo, s4, v24
	s_wait_alu 0xfffd
	v_add_co_ci_u32_e64 v25, null, s5, v25, vcc_lo
	global_store_b16 v[24:25], v27, off
.LBB1018_172:
	s_wait_alu 0xfffe
	s_or_b32 exec_lo, exec_lo, s0
	s_branch .LBB1018_146
.LBB1018_173:
	s_mov_b32 s0, exec_lo
	v_cmpx_eq_u32_e32 1, v43
; %bb.174:
	v_sub_nc_u32_e32 v1, v1, v39
	s_delay_alu instid0(VALU_DEP_1)
	v_lshlrev_b32_e32 v1, 1, v1
	ds_store_b16 v1, v33
; %bb.175:
	s_wait_alu 0xfffe
	s_or_b32 exec_lo, exec_lo, s0
	v_and_b32_e32 v1, 1, v54
	s_mov_b32 s0, exec_lo
	s_delay_alu instid0(VALU_DEP_1)
	v_cmpx_eq_u32_e32 1, v1
; %bb.176:
	v_sub_nc_u32_e32 v1, v3, v39
	s_delay_alu instid0(VALU_DEP_1)
	v_lshlrev_b32_e32 v1, 1, v1
	ds_store_b16 v1, v53
; %bb.177:
	s_wait_alu 0xfffe
	s_or_b32 exec_lo, exec_lo, s0
	v_and_b32_e32 v1, 1, v52
	s_mov_b32 s0, exec_lo
	s_delay_alu instid0(VALU_DEP_1)
	;; [unrolled: 12-line block ×11, first 2 shown]
	v_cmpx_eq_u32_e32 1, v1
; %bb.196:
	v_sub_nc_u32_e32 v1, v23, v39
	s_delay_alu instid0(VALU_DEP_1)
	v_lshlrev_b32_e32 v1, 1, v1
	ds_store_b16 v1, v27
; %bb.197:
	s_wait_alu 0xfffe
	s_or_b32 exec_lo, exec_lo, s0
	v_mov_b32_e32 v3, 0
	v_lshlrev_b64_e32 v[4:5], 1, v[39:40]
	s_lshl_b64 s[0:1], s[6:7], 1
	v_or_b32_e32 v2, 0x100, v0
	s_wait_kmcnt 0x0
	s_wait_alu 0xfffe
	s_add_nc_u64 s[0:1], s[2:3], s[0:1]
	v_mov_b32_e32 v1, v3
	s_wait_storecnt 0x0
	s_wait_loadcnt_dscnt 0x0
	s_wait_alu 0xfffe
	v_add_co_u32 v6, vcc_lo, s0, v4
	s_wait_alu 0xfffd
	v_add_co_ci_u32_e64 v7, null, s1, v5, vcc_lo
	v_dual_mov_b32 v5, v1 :: v_dual_mov_b32 v4, v0
	s_mov_b32 s1, 0
	s_barrier_signal -1
	s_barrier_wait -1
	global_inv scope:SCOPE_SE
.LBB1018_198:                           ; =>This Inner Loop Header: Depth=1
	v_lshlrev_b32_e32 v1, 1, v4
	v_lshlrev_b64_e32 v[8:9], 1, v[4:5]
	v_dual_mov_b32 v5, v3 :: v_dual_mov_b32 v4, v2
	v_cmp_le_u64_e32 vcc_lo, v[37:38], v[2:3]
	ds_load_u16 v1, v1
	v_add_nc_u32_e32 v2, 0x100, v2
	v_add_co_u32 v8, s0, v6, v8
	s_wait_alu 0xf1ff
	v_add_co_ci_u32_e64 v9, null, v7, v9, s0
	s_wait_alu 0xfffe
	s_or_b32 s1, vcc_lo, s1
	s_wait_dscnt 0x0
	global_store_b16 v[8:9], v1, off
	s_wait_alu 0xfffe
	s_and_not1_b32 exec_lo, exec_lo, s1
	s_cbranch_execnz .LBB1018_198
; %bb.199:
	s_or_b32 exec_lo, exec_lo, s1
	v_cmp_eq_u32_e32 vcc_lo, 0, v0
	s_and_b32 s0, vcc_lo, s16
	s_wait_alu 0xfffe
	s_and_saveexec_b32 s1, s0
	s_cbranch_execz .LBB1018_147
.LBB1018_200:
	v_add_co_u32 v0, vcc_lo, v39, v37
	s_wait_alu 0xfffd
	v_add_co_ci_u32_e64 v1, null, v40, v38, vcc_lo
	v_mov_b32_e32 v2, 0
	s_delay_alu instid0(VALU_DEP_3) | instskip(SKIP_1) | instid1(VALU_DEP_3)
	v_add_co_u32 v0, vcc_lo, v0, s6
	s_wait_alu 0xfffd
	v_add_co_ci_u32_e64 v1, null, s7, v1, vcc_lo
	global_store_b64 v2, v[0:1], s[8:9]
	s_endpgm
	.section	.rodata,"a",@progbits
	.p2align	6, 0x0
	.amdhsa_kernel _ZN7rocprim17ROCPRIM_400000_NS6detail17trampoline_kernelINS0_14default_configENS1_25partition_config_selectorILNS1_17partition_subalgoE5EsNS0_10empty_typeEbEEZZNS1_14partition_implILS5_5ELb0ES3_mN6thrust23THRUST_200600_302600_NS6detail15normal_iteratorINSA_10device_ptrIsEEEEPS6_NSA_18transform_iteratorINSB_9not_fun_tINSA_8identityIsEEEESF_NSA_11use_defaultESM_EENS0_5tupleIJSF_S6_EEENSO_IJSG_SG_EEES6_PlJS6_EEE10hipError_tPvRmT3_T4_T5_T6_T7_T9_mT8_P12ihipStream_tbDpT10_ENKUlT_T0_E_clISt17integral_constantIbLb0EES1B_EEDaS16_S17_EUlS16_E_NS1_11comp_targetILNS1_3genE10ELNS1_11target_archE1200ELNS1_3gpuE4ELNS1_3repE0EEENS1_30default_config_static_selectorELNS0_4arch9wavefront6targetE0EEEvT1_
		.amdhsa_group_segment_fixed_size 6160
		.amdhsa_private_segment_fixed_size 0
		.amdhsa_kernarg_size 120
		.amdhsa_user_sgpr_count 2
		.amdhsa_user_sgpr_dispatch_ptr 0
		.amdhsa_user_sgpr_queue_ptr 0
		.amdhsa_user_sgpr_kernarg_segment_ptr 1
		.amdhsa_user_sgpr_dispatch_id 0
		.amdhsa_user_sgpr_private_segment_size 0
		.amdhsa_wavefront_size32 1
		.amdhsa_uses_dynamic_stack 0
		.amdhsa_enable_private_segment 0
		.amdhsa_system_sgpr_workgroup_id_x 1
		.amdhsa_system_sgpr_workgroup_id_y 0
		.amdhsa_system_sgpr_workgroup_id_z 0
		.amdhsa_system_sgpr_workgroup_info 0
		.amdhsa_system_vgpr_workitem_id 0
		.amdhsa_next_free_vgpr 63
		.amdhsa_next_free_sgpr 22
		.amdhsa_reserve_vcc 1
		.amdhsa_float_round_mode_32 0
		.amdhsa_float_round_mode_16_64 0
		.amdhsa_float_denorm_mode_32 3
		.amdhsa_float_denorm_mode_16_64 3
		.amdhsa_fp16_overflow 0
		.amdhsa_workgroup_processor_mode 1
		.amdhsa_memory_ordered 1
		.amdhsa_forward_progress 1
		.amdhsa_inst_pref_size 82
		.amdhsa_round_robin_scheduling 0
		.amdhsa_exception_fp_ieee_invalid_op 0
		.amdhsa_exception_fp_denorm_src 0
		.amdhsa_exception_fp_ieee_div_zero 0
		.amdhsa_exception_fp_ieee_overflow 0
		.amdhsa_exception_fp_ieee_underflow 0
		.amdhsa_exception_fp_ieee_inexact 0
		.amdhsa_exception_int_div_zero 0
	.end_amdhsa_kernel
	.section	.text._ZN7rocprim17ROCPRIM_400000_NS6detail17trampoline_kernelINS0_14default_configENS1_25partition_config_selectorILNS1_17partition_subalgoE5EsNS0_10empty_typeEbEEZZNS1_14partition_implILS5_5ELb0ES3_mN6thrust23THRUST_200600_302600_NS6detail15normal_iteratorINSA_10device_ptrIsEEEEPS6_NSA_18transform_iteratorINSB_9not_fun_tINSA_8identityIsEEEESF_NSA_11use_defaultESM_EENS0_5tupleIJSF_S6_EEENSO_IJSG_SG_EEES6_PlJS6_EEE10hipError_tPvRmT3_T4_T5_T6_T7_T9_mT8_P12ihipStream_tbDpT10_ENKUlT_T0_E_clISt17integral_constantIbLb0EES1B_EEDaS16_S17_EUlS16_E_NS1_11comp_targetILNS1_3genE10ELNS1_11target_archE1200ELNS1_3gpuE4ELNS1_3repE0EEENS1_30default_config_static_selectorELNS0_4arch9wavefront6targetE0EEEvT1_,"axG",@progbits,_ZN7rocprim17ROCPRIM_400000_NS6detail17trampoline_kernelINS0_14default_configENS1_25partition_config_selectorILNS1_17partition_subalgoE5EsNS0_10empty_typeEbEEZZNS1_14partition_implILS5_5ELb0ES3_mN6thrust23THRUST_200600_302600_NS6detail15normal_iteratorINSA_10device_ptrIsEEEEPS6_NSA_18transform_iteratorINSB_9not_fun_tINSA_8identityIsEEEESF_NSA_11use_defaultESM_EENS0_5tupleIJSF_S6_EEENSO_IJSG_SG_EEES6_PlJS6_EEE10hipError_tPvRmT3_T4_T5_T6_T7_T9_mT8_P12ihipStream_tbDpT10_ENKUlT_T0_E_clISt17integral_constantIbLb0EES1B_EEDaS16_S17_EUlS16_E_NS1_11comp_targetILNS1_3genE10ELNS1_11target_archE1200ELNS1_3gpuE4ELNS1_3repE0EEENS1_30default_config_static_selectorELNS0_4arch9wavefront6targetE0EEEvT1_,comdat
.Lfunc_end1018:
	.size	_ZN7rocprim17ROCPRIM_400000_NS6detail17trampoline_kernelINS0_14default_configENS1_25partition_config_selectorILNS1_17partition_subalgoE5EsNS0_10empty_typeEbEEZZNS1_14partition_implILS5_5ELb0ES3_mN6thrust23THRUST_200600_302600_NS6detail15normal_iteratorINSA_10device_ptrIsEEEEPS6_NSA_18transform_iteratorINSB_9not_fun_tINSA_8identityIsEEEESF_NSA_11use_defaultESM_EENS0_5tupleIJSF_S6_EEENSO_IJSG_SG_EEES6_PlJS6_EEE10hipError_tPvRmT3_T4_T5_T6_T7_T9_mT8_P12ihipStream_tbDpT10_ENKUlT_T0_E_clISt17integral_constantIbLb0EES1B_EEDaS16_S17_EUlS16_E_NS1_11comp_targetILNS1_3genE10ELNS1_11target_archE1200ELNS1_3gpuE4ELNS1_3repE0EEENS1_30default_config_static_selectorELNS0_4arch9wavefront6targetE0EEEvT1_, .Lfunc_end1018-_ZN7rocprim17ROCPRIM_400000_NS6detail17trampoline_kernelINS0_14default_configENS1_25partition_config_selectorILNS1_17partition_subalgoE5EsNS0_10empty_typeEbEEZZNS1_14partition_implILS5_5ELb0ES3_mN6thrust23THRUST_200600_302600_NS6detail15normal_iteratorINSA_10device_ptrIsEEEEPS6_NSA_18transform_iteratorINSB_9not_fun_tINSA_8identityIsEEEESF_NSA_11use_defaultESM_EENS0_5tupleIJSF_S6_EEENSO_IJSG_SG_EEES6_PlJS6_EEE10hipError_tPvRmT3_T4_T5_T6_T7_T9_mT8_P12ihipStream_tbDpT10_ENKUlT_T0_E_clISt17integral_constantIbLb0EES1B_EEDaS16_S17_EUlS16_E_NS1_11comp_targetILNS1_3genE10ELNS1_11target_archE1200ELNS1_3gpuE4ELNS1_3repE0EEENS1_30default_config_static_selectorELNS0_4arch9wavefront6targetE0EEEvT1_
                                        ; -- End function
	.set _ZN7rocprim17ROCPRIM_400000_NS6detail17trampoline_kernelINS0_14default_configENS1_25partition_config_selectorILNS1_17partition_subalgoE5EsNS0_10empty_typeEbEEZZNS1_14partition_implILS5_5ELb0ES3_mN6thrust23THRUST_200600_302600_NS6detail15normal_iteratorINSA_10device_ptrIsEEEEPS6_NSA_18transform_iteratorINSB_9not_fun_tINSA_8identityIsEEEESF_NSA_11use_defaultESM_EENS0_5tupleIJSF_S6_EEENSO_IJSG_SG_EEES6_PlJS6_EEE10hipError_tPvRmT3_T4_T5_T6_T7_T9_mT8_P12ihipStream_tbDpT10_ENKUlT_T0_E_clISt17integral_constantIbLb0EES1B_EEDaS16_S17_EUlS16_E_NS1_11comp_targetILNS1_3genE10ELNS1_11target_archE1200ELNS1_3gpuE4ELNS1_3repE0EEENS1_30default_config_static_selectorELNS0_4arch9wavefront6targetE0EEEvT1_.num_vgpr, 63
	.set _ZN7rocprim17ROCPRIM_400000_NS6detail17trampoline_kernelINS0_14default_configENS1_25partition_config_selectorILNS1_17partition_subalgoE5EsNS0_10empty_typeEbEEZZNS1_14partition_implILS5_5ELb0ES3_mN6thrust23THRUST_200600_302600_NS6detail15normal_iteratorINSA_10device_ptrIsEEEEPS6_NSA_18transform_iteratorINSB_9not_fun_tINSA_8identityIsEEEESF_NSA_11use_defaultESM_EENS0_5tupleIJSF_S6_EEENSO_IJSG_SG_EEES6_PlJS6_EEE10hipError_tPvRmT3_T4_T5_T6_T7_T9_mT8_P12ihipStream_tbDpT10_ENKUlT_T0_E_clISt17integral_constantIbLb0EES1B_EEDaS16_S17_EUlS16_E_NS1_11comp_targetILNS1_3genE10ELNS1_11target_archE1200ELNS1_3gpuE4ELNS1_3repE0EEENS1_30default_config_static_selectorELNS0_4arch9wavefront6targetE0EEEvT1_.num_agpr, 0
	.set _ZN7rocprim17ROCPRIM_400000_NS6detail17trampoline_kernelINS0_14default_configENS1_25partition_config_selectorILNS1_17partition_subalgoE5EsNS0_10empty_typeEbEEZZNS1_14partition_implILS5_5ELb0ES3_mN6thrust23THRUST_200600_302600_NS6detail15normal_iteratorINSA_10device_ptrIsEEEEPS6_NSA_18transform_iteratorINSB_9not_fun_tINSA_8identityIsEEEESF_NSA_11use_defaultESM_EENS0_5tupleIJSF_S6_EEENSO_IJSG_SG_EEES6_PlJS6_EEE10hipError_tPvRmT3_T4_T5_T6_T7_T9_mT8_P12ihipStream_tbDpT10_ENKUlT_T0_E_clISt17integral_constantIbLb0EES1B_EEDaS16_S17_EUlS16_E_NS1_11comp_targetILNS1_3genE10ELNS1_11target_archE1200ELNS1_3gpuE4ELNS1_3repE0EEENS1_30default_config_static_selectorELNS0_4arch9wavefront6targetE0EEEvT1_.numbered_sgpr, 22
	.set _ZN7rocprim17ROCPRIM_400000_NS6detail17trampoline_kernelINS0_14default_configENS1_25partition_config_selectorILNS1_17partition_subalgoE5EsNS0_10empty_typeEbEEZZNS1_14partition_implILS5_5ELb0ES3_mN6thrust23THRUST_200600_302600_NS6detail15normal_iteratorINSA_10device_ptrIsEEEEPS6_NSA_18transform_iteratorINSB_9not_fun_tINSA_8identityIsEEEESF_NSA_11use_defaultESM_EENS0_5tupleIJSF_S6_EEENSO_IJSG_SG_EEES6_PlJS6_EEE10hipError_tPvRmT3_T4_T5_T6_T7_T9_mT8_P12ihipStream_tbDpT10_ENKUlT_T0_E_clISt17integral_constantIbLb0EES1B_EEDaS16_S17_EUlS16_E_NS1_11comp_targetILNS1_3genE10ELNS1_11target_archE1200ELNS1_3gpuE4ELNS1_3repE0EEENS1_30default_config_static_selectorELNS0_4arch9wavefront6targetE0EEEvT1_.num_named_barrier, 0
	.set _ZN7rocprim17ROCPRIM_400000_NS6detail17trampoline_kernelINS0_14default_configENS1_25partition_config_selectorILNS1_17partition_subalgoE5EsNS0_10empty_typeEbEEZZNS1_14partition_implILS5_5ELb0ES3_mN6thrust23THRUST_200600_302600_NS6detail15normal_iteratorINSA_10device_ptrIsEEEEPS6_NSA_18transform_iteratorINSB_9not_fun_tINSA_8identityIsEEEESF_NSA_11use_defaultESM_EENS0_5tupleIJSF_S6_EEENSO_IJSG_SG_EEES6_PlJS6_EEE10hipError_tPvRmT3_T4_T5_T6_T7_T9_mT8_P12ihipStream_tbDpT10_ENKUlT_T0_E_clISt17integral_constantIbLb0EES1B_EEDaS16_S17_EUlS16_E_NS1_11comp_targetILNS1_3genE10ELNS1_11target_archE1200ELNS1_3gpuE4ELNS1_3repE0EEENS1_30default_config_static_selectorELNS0_4arch9wavefront6targetE0EEEvT1_.private_seg_size, 0
	.set _ZN7rocprim17ROCPRIM_400000_NS6detail17trampoline_kernelINS0_14default_configENS1_25partition_config_selectorILNS1_17partition_subalgoE5EsNS0_10empty_typeEbEEZZNS1_14partition_implILS5_5ELb0ES3_mN6thrust23THRUST_200600_302600_NS6detail15normal_iteratorINSA_10device_ptrIsEEEEPS6_NSA_18transform_iteratorINSB_9not_fun_tINSA_8identityIsEEEESF_NSA_11use_defaultESM_EENS0_5tupleIJSF_S6_EEENSO_IJSG_SG_EEES6_PlJS6_EEE10hipError_tPvRmT3_T4_T5_T6_T7_T9_mT8_P12ihipStream_tbDpT10_ENKUlT_T0_E_clISt17integral_constantIbLb0EES1B_EEDaS16_S17_EUlS16_E_NS1_11comp_targetILNS1_3genE10ELNS1_11target_archE1200ELNS1_3gpuE4ELNS1_3repE0EEENS1_30default_config_static_selectorELNS0_4arch9wavefront6targetE0EEEvT1_.uses_vcc, 1
	.set _ZN7rocprim17ROCPRIM_400000_NS6detail17trampoline_kernelINS0_14default_configENS1_25partition_config_selectorILNS1_17partition_subalgoE5EsNS0_10empty_typeEbEEZZNS1_14partition_implILS5_5ELb0ES3_mN6thrust23THRUST_200600_302600_NS6detail15normal_iteratorINSA_10device_ptrIsEEEEPS6_NSA_18transform_iteratorINSB_9not_fun_tINSA_8identityIsEEEESF_NSA_11use_defaultESM_EENS0_5tupleIJSF_S6_EEENSO_IJSG_SG_EEES6_PlJS6_EEE10hipError_tPvRmT3_T4_T5_T6_T7_T9_mT8_P12ihipStream_tbDpT10_ENKUlT_T0_E_clISt17integral_constantIbLb0EES1B_EEDaS16_S17_EUlS16_E_NS1_11comp_targetILNS1_3genE10ELNS1_11target_archE1200ELNS1_3gpuE4ELNS1_3repE0EEENS1_30default_config_static_selectorELNS0_4arch9wavefront6targetE0EEEvT1_.uses_flat_scratch, 1
	.set _ZN7rocprim17ROCPRIM_400000_NS6detail17trampoline_kernelINS0_14default_configENS1_25partition_config_selectorILNS1_17partition_subalgoE5EsNS0_10empty_typeEbEEZZNS1_14partition_implILS5_5ELb0ES3_mN6thrust23THRUST_200600_302600_NS6detail15normal_iteratorINSA_10device_ptrIsEEEEPS6_NSA_18transform_iteratorINSB_9not_fun_tINSA_8identityIsEEEESF_NSA_11use_defaultESM_EENS0_5tupleIJSF_S6_EEENSO_IJSG_SG_EEES6_PlJS6_EEE10hipError_tPvRmT3_T4_T5_T6_T7_T9_mT8_P12ihipStream_tbDpT10_ENKUlT_T0_E_clISt17integral_constantIbLb0EES1B_EEDaS16_S17_EUlS16_E_NS1_11comp_targetILNS1_3genE10ELNS1_11target_archE1200ELNS1_3gpuE4ELNS1_3repE0EEENS1_30default_config_static_selectorELNS0_4arch9wavefront6targetE0EEEvT1_.has_dyn_sized_stack, 0
	.set _ZN7rocprim17ROCPRIM_400000_NS6detail17trampoline_kernelINS0_14default_configENS1_25partition_config_selectorILNS1_17partition_subalgoE5EsNS0_10empty_typeEbEEZZNS1_14partition_implILS5_5ELb0ES3_mN6thrust23THRUST_200600_302600_NS6detail15normal_iteratorINSA_10device_ptrIsEEEEPS6_NSA_18transform_iteratorINSB_9not_fun_tINSA_8identityIsEEEESF_NSA_11use_defaultESM_EENS0_5tupleIJSF_S6_EEENSO_IJSG_SG_EEES6_PlJS6_EEE10hipError_tPvRmT3_T4_T5_T6_T7_T9_mT8_P12ihipStream_tbDpT10_ENKUlT_T0_E_clISt17integral_constantIbLb0EES1B_EEDaS16_S17_EUlS16_E_NS1_11comp_targetILNS1_3genE10ELNS1_11target_archE1200ELNS1_3gpuE4ELNS1_3repE0EEENS1_30default_config_static_selectorELNS0_4arch9wavefront6targetE0EEEvT1_.has_recursion, 0
	.set _ZN7rocprim17ROCPRIM_400000_NS6detail17trampoline_kernelINS0_14default_configENS1_25partition_config_selectorILNS1_17partition_subalgoE5EsNS0_10empty_typeEbEEZZNS1_14partition_implILS5_5ELb0ES3_mN6thrust23THRUST_200600_302600_NS6detail15normal_iteratorINSA_10device_ptrIsEEEEPS6_NSA_18transform_iteratorINSB_9not_fun_tINSA_8identityIsEEEESF_NSA_11use_defaultESM_EENS0_5tupleIJSF_S6_EEENSO_IJSG_SG_EEES6_PlJS6_EEE10hipError_tPvRmT3_T4_T5_T6_T7_T9_mT8_P12ihipStream_tbDpT10_ENKUlT_T0_E_clISt17integral_constantIbLb0EES1B_EEDaS16_S17_EUlS16_E_NS1_11comp_targetILNS1_3genE10ELNS1_11target_archE1200ELNS1_3gpuE4ELNS1_3repE0EEENS1_30default_config_static_selectorELNS0_4arch9wavefront6targetE0EEEvT1_.has_indirect_call, 0
	.section	.AMDGPU.csdata,"",@progbits
; Kernel info:
; codeLenInByte = 10488
; TotalNumSgprs: 24
; NumVgprs: 63
; ScratchSize: 0
; MemoryBound: 0
; FloatMode: 240
; IeeeMode: 1
; LDSByteSize: 6160 bytes/workgroup (compile time only)
; SGPRBlocks: 0
; VGPRBlocks: 7
; NumSGPRsForWavesPerEU: 24
; NumVGPRsForWavesPerEU: 63
; Occupancy: 16
; WaveLimiterHint : 1
; COMPUTE_PGM_RSRC2:SCRATCH_EN: 0
; COMPUTE_PGM_RSRC2:USER_SGPR: 2
; COMPUTE_PGM_RSRC2:TRAP_HANDLER: 0
; COMPUTE_PGM_RSRC2:TGID_X_EN: 1
; COMPUTE_PGM_RSRC2:TGID_Y_EN: 0
; COMPUTE_PGM_RSRC2:TGID_Z_EN: 0
; COMPUTE_PGM_RSRC2:TIDIG_COMP_CNT: 0
	.section	.text._ZN7rocprim17ROCPRIM_400000_NS6detail17trampoline_kernelINS0_14default_configENS1_25partition_config_selectorILNS1_17partition_subalgoE5EsNS0_10empty_typeEbEEZZNS1_14partition_implILS5_5ELb0ES3_mN6thrust23THRUST_200600_302600_NS6detail15normal_iteratorINSA_10device_ptrIsEEEEPS6_NSA_18transform_iteratorINSB_9not_fun_tINSA_8identityIsEEEESF_NSA_11use_defaultESM_EENS0_5tupleIJSF_S6_EEENSO_IJSG_SG_EEES6_PlJS6_EEE10hipError_tPvRmT3_T4_T5_T6_T7_T9_mT8_P12ihipStream_tbDpT10_ENKUlT_T0_E_clISt17integral_constantIbLb0EES1B_EEDaS16_S17_EUlS16_E_NS1_11comp_targetILNS1_3genE9ELNS1_11target_archE1100ELNS1_3gpuE3ELNS1_3repE0EEENS1_30default_config_static_selectorELNS0_4arch9wavefront6targetE0EEEvT1_,"axG",@progbits,_ZN7rocprim17ROCPRIM_400000_NS6detail17trampoline_kernelINS0_14default_configENS1_25partition_config_selectorILNS1_17partition_subalgoE5EsNS0_10empty_typeEbEEZZNS1_14partition_implILS5_5ELb0ES3_mN6thrust23THRUST_200600_302600_NS6detail15normal_iteratorINSA_10device_ptrIsEEEEPS6_NSA_18transform_iteratorINSB_9not_fun_tINSA_8identityIsEEEESF_NSA_11use_defaultESM_EENS0_5tupleIJSF_S6_EEENSO_IJSG_SG_EEES6_PlJS6_EEE10hipError_tPvRmT3_T4_T5_T6_T7_T9_mT8_P12ihipStream_tbDpT10_ENKUlT_T0_E_clISt17integral_constantIbLb0EES1B_EEDaS16_S17_EUlS16_E_NS1_11comp_targetILNS1_3genE9ELNS1_11target_archE1100ELNS1_3gpuE3ELNS1_3repE0EEENS1_30default_config_static_selectorELNS0_4arch9wavefront6targetE0EEEvT1_,comdat
	.protected	_ZN7rocprim17ROCPRIM_400000_NS6detail17trampoline_kernelINS0_14default_configENS1_25partition_config_selectorILNS1_17partition_subalgoE5EsNS0_10empty_typeEbEEZZNS1_14partition_implILS5_5ELb0ES3_mN6thrust23THRUST_200600_302600_NS6detail15normal_iteratorINSA_10device_ptrIsEEEEPS6_NSA_18transform_iteratorINSB_9not_fun_tINSA_8identityIsEEEESF_NSA_11use_defaultESM_EENS0_5tupleIJSF_S6_EEENSO_IJSG_SG_EEES6_PlJS6_EEE10hipError_tPvRmT3_T4_T5_T6_T7_T9_mT8_P12ihipStream_tbDpT10_ENKUlT_T0_E_clISt17integral_constantIbLb0EES1B_EEDaS16_S17_EUlS16_E_NS1_11comp_targetILNS1_3genE9ELNS1_11target_archE1100ELNS1_3gpuE3ELNS1_3repE0EEENS1_30default_config_static_selectorELNS0_4arch9wavefront6targetE0EEEvT1_ ; -- Begin function _ZN7rocprim17ROCPRIM_400000_NS6detail17trampoline_kernelINS0_14default_configENS1_25partition_config_selectorILNS1_17partition_subalgoE5EsNS0_10empty_typeEbEEZZNS1_14partition_implILS5_5ELb0ES3_mN6thrust23THRUST_200600_302600_NS6detail15normal_iteratorINSA_10device_ptrIsEEEEPS6_NSA_18transform_iteratorINSB_9not_fun_tINSA_8identityIsEEEESF_NSA_11use_defaultESM_EENS0_5tupleIJSF_S6_EEENSO_IJSG_SG_EEES6_PlJS6_EEE10hipError_tPvRmT3_T4_T5_T6_T7_T9_mT8_P12ihipStream_tbDpT10_ENKUlT_T0_E_clISt17integral_constantIbLb0EES1B_EEDaS16_S17_EUlS16_E_NS1_11comp_targetILNS1_3genE9ELNS1_11target_archE1100ELNS1_3gpuE3ELNS1_3repE0EEENS1_30default_config_static_selectorELNS0_4arch9wavefront6targetE0EEEvT1_
	.globl	_ZN7rocprim17ROCPRIM_400000_NS6detail17trampoline_kernelINS0_14default_configENS1_25partition_config_selectorILNS1_17partition_subalgoE5EsNS0_10empty_typeEbEEZZNS1_14partition_implILS5_5ELb0ES3_mN6thrust23THRUST_200600_302600_NS6detail15normal_iteratorINSA_10device_ptrIsEEEEPS6_NSA_18transform_iteratorINSB_9not_fun_tINSA_8identityIsEEEESF_NSA_11use_defaultESM_EENS0_5tupleIJSF_S6_EEENSO_IJSG_SG_EEES6_PlJS6_EEE10hipError_tPvRmT3_T4_T5_T6_T7_T9_mT8_P12ihipStream_tbDpT10_ENKUlT_T0_E_clISt17integral_constantIbLb0EES1B_EEDaS16_S17_EUlS16_E_NS1_11comp_targetILNS1_3genE9ELNS1_11target_archE1100ELNS1_3gpuE3ELNS1_3repE0EEENS1_30default_config_static_selectorELNS0_4arch9wavefront6targetE0EEEvT1_
	.p2align	8
	.type	_ZN7rocprim17ROCPRIM_400000_NS6detail17trampoline_kernelINS0_14default_configENS1_25partition_config_selectorILNS1_17partition_subalgoE5EsNS0_10empty_typeEbEEZZNS1_14partition_implILS5_5ELb0ES3_mN6thrust23THRUST_200600_302600_NS6detail15normal_iteratorINSA_10device_ptrIsEEEEPS6_NSA_18transform_iteratorINSB_9not_fun_tINSA_8identityIsEEEESF_NSA_11use_defaultESM_EENS0_5tupleIJSF_S6_EEENSO_IJSG_SG_EEES6_PlJS6_EEE10hipError_tPvRmT3_T4_T5_T6_T7_T9_mT8_P12ihipStream_tbDpT10_ENKUlT_T0_E_clISt17integral_constantIbLb0EES1B_EEDaS16_S17_EUlS16_E_NS1_11comp_targetILNS1_3genE9ELNS1_11target_archE1100ELNS1_3gpuE3ELNS1_3repE0EEENS1_30default_config_static_selectorELNS0_4arch9wavefront6targetE0EEEvT1_,@function
_ZN7rocprim17ROCPRIM_400000_NS6detail17trampoline_kernelINS0_14default_configENS1_25partition_config_selectorILNS1_17partition_subalgoE5EsNS0_10empty_typeEbEEZZNS1_14partition_implILS5_5ELb0ES3_mN6thrust23THRUST_200600_302600_NS6detail15normal_iteratorINSA_10device_ptrIsEEEEPS6_NSA_18transform_iteratorINSB_9not_fun_tINSA_8identityIsEEEESF_NSA_11use_defaultESM_EENS0_5tupleIJSF_S6_EEENSO_IJSG_SG_EEES6_PlJS6_EEE10hipError_tPvRmT3_T4_T5_T6_T7_T9_mT8_P12ihipStream_tbDpT10_ENKUlT_T0_E_clISt17integral_constantIbLb0EES1B_EEDaS16_S17_EUlS16_E_NS1_11comp_targetILNS1_3genE9ELNS1_11target_archE1100ELNS1_3gpuE3ELNS1_3repE0EEENS1_30default_config_static_selectorELNS0_4arch9wavefront6targetE0EEEvT1_: ; @_ZN7rocprim17ROCPRIM_400000_NS6detail17trampoline_kernelINS0_14default_configENS1_25partition_config_selectorILNS1_17partition_subalgoE5EsNS0_10empty_typeEbEEZZNS1_14partition_implILS5_5ELb0ES3_mN6thrust23THRUST_200600_302600_NS6detail15normal_iteratorINSA_10device_ptrIsEEEEPS6_NSA_18transform_iteratorINSB_9not_fun_tINSA_8identityIsEEEESF_NSA_11use_defaultESM_EENS0_5tupleIJSF_S6_EEENSO_IJSG_SG_EEES6_PlJS6_EEE10hipError_tPvRmT3_T4_T5_T6_T7_T9_mT8_P12ihipStream_tbDpT10_ENKUlT_T0_E_clISt17integral_constantIbLb0EES1B_EEDaS16_S17_EUlS16_E_NS1_11comp_targetILNS1_3genE9ELNS1_11target_archE1100ELNS1_3gpuE3ELNS1_3repE0EEENS1_30default_config_static_selectorELNS0_4arch9wavefront6targetE0EEEvT1_
; %bb.0:
	.section	.rodata,"a",@progbits
	.p2align	6, 0x0
	.amdhsa_kernel _ZN7rocprim17ROCPRIM_400000_NS6detail17trampoline_kernelINS0_14default_configENS1_25partition_config_selectorILNS1_17partition_subalgoE5EsNS0_10empty_typeEbEEZZNS1_14partition_implILS5_5ELb0ES3_mN6thrust23THRUST_200600_302600_NS6detail15normal_iteratorINSA_10device_ptrIsEEEEPS6_NSA_18transform_iteratorINSB_9not_fun_tINSA_8identityIsEEEESF_NSA_11use_defaultESM_EENS0_5tupleIJSF_S6_EEENSO_IJSG_SG_EEES6_PlJS6_EEE10hipError_tPvRmT3_T4_T5_T6_T7_T9_mT8_P12ihipStream_tbDpT10_ENKUlT_T0_E_clISt17integral_constantIbLb0EES1B_EEDaS16_S17_EUlS16_E_NS1_11comp_targetILNS1_3genE9ELNS1_11target_archE1100ELNS1_3gpuE3ELNS1_3repE0EEENS1_30default_config_static_selectorELNS0_4arch9wavefront6targetE0EEEvT1_
		.amdhsa_group_segment_fixed_size 0
		.amdhsa_private_segment_fixed_size 0
		.amdhsa_kernarg_size 120
		.amdhsa_user_sgpr_count 2
		.amdhsa_user_sgpr_dispatch_ptr 0
		.amdhsa_user_sgpr_queue_ptr 0
		.amdhsa_user_sgpr_kernarg_segment_ptr 1
		.amdhsa_user_sgpr_dispatch_id 0
		.amdhsa_user_sgpr_private_segment_size 0
		.amdhsa_wavefront_size32 1
		.amdhsa_uses_dynamic_stack 0
		.amdhsa_enable_private_segment 0
		.amdhsa_system_sgpr_workgroup_id_x 1
		.amdhsa_system_sgpr_workgroup_id_y 0
		.amdhsa_system_sgpr_workgroup_id_z 0
		.amdhsa_system_sgpr_workgroup_info 0
		.amdhsa_system_vgpr_workitem_id 0
		.amdhsa_next_free_vgpr 1
		.amdhsa_next_free_sgpr 1
		.amdhsa_reserve_vcc 0
		.amdhsa_float_round_mode_32 0
		.amdhsa_float_round_mode_16_64 0
		.amdhsa_float_denorm_mode_32 3
		.amdhsa_float_denorm_mode_16_64 3
		.amdhsa_fp16_overflow 0
		.amdhsa_workgroup_processor_mode 1
		.amdhsa_memory_ordered 1
		.amdhsa_forward_progress 1
		.amdhsa_inst_pref_size 0
		.amdhsa_round_robin_scheduling 0
		.amdhsa_exception_fp_ieee_invalid_op 0
		.amdhsa_exception_fp_denorm_src 0
		.amdhsa_exception_fp_ieee_div_zero 0
		.amdhsa_exception_fp_ieee_overflow 0
		.amdhsa_exception_fp_ieee_underflow 0
		.amdhsa_exception_fp_ieee_inexact 0
		.amdhsa_exception_int_div_zero 0
	.end_amdhsa_kernel
	.section	.text._ZN7rocprim17ROCPRIM_400000_NS6detail17trampoline_kernelINS0_14default_configENS1_25partition_config_selectorILNS1_17partition_subalgoE5EsNS0_10empty_typeEbEEZZNS1_14partition_implILS5_5ELb0ES3_mN6thrust23THRUST_200600_302600_NS6detail15normal_iteratorINSA_10device_ptrIsEEEEPS6_NSA_18transform_iteratorINSB_9not_fun_tINSA_8identityIsEEEESF_NSA_11use_defaultESM_EENS0_5tupleIJSF_S6_EEENSO_IJSG_SG_EEES6_PlJS6_EEE10hipError_tPvRmT3_T4_T5_T6_T7_T9_mT8_P12ihipStream_tbDpT10_ENKUlT_T0_E_clISt17integral_constantIbLb0EES1B_EEDaS16_S17_EUlS16_E_NS1_11comp_targetILNS1_3genE9ELNS1_11target_archE1100ELNS1_3gpuE3ELNS1_3repE0EEENS1_30default_config_static_selectorELNS0_4arch9wavefront6targetE0EEEvT1_,"axG",@progbits,_ZN7rocprim17ROCPRIM_400000_NS6detail17trampoline_kernelINS0_14default_configENS1_25partition_config_selectorILNS1_17partition_subalgoE5EsNS0_10empty_typeEbEEZZNS1_14partition_implILS5_5ELb0ES3_mN6thrust23THRUST_200600_302600_NS6detail15normal_iteratorINSA_10device_ptrIsEEEEPS6_NSA_18transform_iteratorINSB_9not_fun_tINSA_8identityIsEEEESF_NSA_11use_defaultESM_EENS0_5tupleIJSF_S6_EEENSO_IJSG_SG_EEES6_PlJS6_EEE10hipError_tPvRmT3_T4_T5_T6_T7_T9_mT8_P12ihipStream_tbDpT10_ENKUlT_T0_E_clISt17integral_constantIbLb0EES1B_EEDaS16_S17_EUlS16_E_NS1_11comp_targetILNS1_3genE9ELNS1_11target_archE1100ELNS1_3gpuE3ELNS1_3repE0EEENS1_30default_config_static_selectorELNS0_4arch9wavefront6targetE0EEEvT1_,comdat
.Lfunc_end1019:
	.size	_ZN7rocprim17ROCPRIM_400000_NS6detail17trampoline_kernelINS0_14default_configENS1_25partition_config_selectorILNS1_17partition_subalgoE5EsNS0_10empty_typeEbEEZZNS1_14partition_implILS5_5ELb0ES3_mN6thrust23THRUST_200600_302600_NS6detail15normal_iteratorINSA_10device_ptrIsEEEEPS6_NSA_18transform_iteratorINSB_9not_fun_tINSA_8identityIsEEEESF_NSA_11use_defaultESM_EENS0_5tupleIJSF_S6_EEENSO_IJSG_SG_EEES6_PlJS6_EEE10hipError_tPvRmT3_T4_T5_T6_T7_T9_mT8_P12ihipStream_tbDpT10_ENKUlT_T0_E_clISt17integral_constantIbLb0EES1B_EEDaS16_S17_EUlS16_E_NS1_11comp_targetILNS1_3genE9ELNS1_11target_archE1100ELNS1_3gpuE3ELNS1_3repE0EEENS1_30default_config_static_selectorELNS0_4arch9wavefront6targetE0EEEvT1_, .Lfunc_end1019-_ZN7rocprim17ROCPRIM_400000_NS6detail17trampoline_kernelINS0_14default_configENS1_25partition_config_selectorILNS1_17partition_subalgoE5EsNS0_10empty_typeEbEEZZNS1_14partition_implILS5_5ELb0ES3_mN6thrust23THRUST_200600_302600_NS6detail15normal_iteratorINSA_10device_ptrIsEEEEPS6_NSA_18transform_iteratorINSB_9not_fun_tINSA_8identityIsEEEESF_NSA_11use_defaultESM_EENS0_5tupleIJSF_S6_EEENSO_IJSG_SG_EEES6_PlJS6_EEE10hipError_tPvRmT3_T4_T5_T6_T7_T9_mT8_P12ihipStream_tbDpT10_ENKUlT_T0_E_clISt17integral_constantIbLb0EES1B_EEDaS16_S17_EUlS16_E_NS1_11comp_targetILNS1_3genE9ELNS1_11target_archE1100ELNS1_3gpuE3ELNS1_3repE0EEENS1_30default_config_static_selectorELNS0_4arch9wavefront6targetE0EEEvT1_
                                        ; -- End function
	.set _ZN7rocprim17ROCPRIM_400000_NS6detail17trampoline_kernelINS0_14default_configENS1_25partition_config_selectorILNS1_17partition_subalgoE5EsNS0_10empty_typeEbEEZZNS1_14partition_implILS5_5ELb0ES3_mN6thrust23THRUST_200600_302600_NS6detail15normal_iteratorINSA_10device_ptrIsEEEEPS6_NSA_18transform_iteratorINSB_9not_fun_tINSA_8identityIsEEEESF_NSA_11use_defaultESM_EENS0_5tupleIJSF_S6_EEENSO_IJSG_SG_EEES6_PlJS6_EEE10hipError_tPvRmT3_T4_T5_T6_T7_T9_mT8_P12ihipStream_tbDpT10_ENKUlT_T0_E_clISt17integral_constantIbLb0EES1B_EEDaS16_S17_EUlS16_E_NS1_11comp_targetILNS1_3genE9ELNS1_11target_archE1100ELNS1_3gpuE3ELNS1_3repE0EEENS1_30default_config_static_selectorELNS0_4arch9wavefront6targetE0EEEvT1_.num_vgpr, 0
	.set _ZN7rocprim17ROCPRIM_400000_NS6detail17trampoline_kernelINS0_14default_configENS1_25partition_config_selectorILNS1_17partition_subalgoE5EsNS0_10empty_typeEbEEZZNS1_14partition_implILS5_5ELb0ES3_mN6thrust23THRUST_200600_302600_NS6detail15normal_iteratorINSA_10device_ptrIsEEEEPS6_NSA_18transform_iteratorINSB_9not_fun_tINSA_8identityIsEEEESF_NSA_11use_defaultESM_EENS0_5tupleIJSF_S6_EEENSO_IJSG_SG_EEES6_PlJS6_EEE10hipError_tPvRmT3_T4_T5_T6_T7_T9_mT8_P12ihipStream_tbDpT10_ENKUlT_T0_E_clISt17integral_constantIbLb0EES1B_EEDaS16_S17_EUlS16_E_NS1_11comp_targetILNS1_3genE9ELNS1_11target_archE1100ELNS1_3gpuE3ELNS1_3repE0EEENS1_30default_config_static_selectorELNS0_4arch9wavefront6targetE0EEEvT1_.num_agpr, 0
	.set _ZN7rocprim17ROCPRIM_400000_NS6detail17trampoline_kernelINS0_14default_configENS1_25partition_config_selectorILNS1_17partition_subalgoE5EsNS0_10empty_typeEbEEZZNS1_14partition_implILS5_5ELb0ES3_mN6thrust23THRUST_200600_302600_NS6detail15normal_iteratorINSA_10device_ptrIsEEEEPS6_NSA_18transform_iteratorINSB_9not_fun_tINSA_8identityIsEEEESF_NSA_11use_defaultESM_EENS0_5tupleIJSF_S6_EEENSO_IJSG_SG_EEES6_PlJS6_EEE10hipError_tPvRmT3_T4_T5_T6_T7_T9_mT8_P12ihipStream_tbDpT10_ENKUlT_T0_E_clISt17integral_constantIbLb0EES1B_EEDaS16_S17_EUlS16_E_NS1_11comp_targetILNS1_3genE9ELNS1_11target_archE1100ELNS1_3gpuE3ELNS1_3repE0EEENS1_30default_config_static_selectorELNS0_4arch9wavefront6targetE0EEEvT1_.numbered_sgpr, 0
	.set _ZN7rocprim17ROCPRIM_400000_NS6detail17trampoline_kernelINS0_14default_configENS1_25partition_config_selectorILNS1_17partition_subalgoE5EsNS0_10empty_typeEbEEZZNS1_14partition_implILS5_5ELb0ES3_mN6thrust23THRUST_200600_302600_NS6detail15normal_iteratorINSA_10device_ptrIsEEEEPS6_NSA_18transform_iteratorINSB_9not_fun_tINSA_8identityIsEEEESF_NSA_11use_defaultESM_EENS0_5tupleIJSF_S6_EEENSO_IJSG_SG_EEES6_PlJS6_EEE10hipError_tPvRmT3_T4_T5_T6_T7_T9_mT8_P12ihipStream_tbDpT10_ENKUlT_T0_E_clISt17integral_constantIbLb0EES1B_EEDaS16_S17_EUlS16_E_NS1_11comp_targetILNS1_3genE9ELNS1_11target_archE1100ELNS1_3gpuE3ELNS1_3repE0EEENS1_30default_config_static_selectorELNS0_4arch9wavefront6targetE0EEEvT1_.num_named_barrier, 0
	.set _ZN7rocprim17ROCPRIM_400000_NS6detail17trampoline_kernelINS0_14default_configENS1_25partition_config_selectorILNS1_17partition_subalgoE5EsNS0_10empty_typeEbEEZZNS1_14partition_implILS5_5ELb0ES3_mN6thrust23THRUST_200600_302600_NS6detail15normal_iteratorINSA_10device_ptrIsEEEEPS6_NSA_18transform_iteratorINSB_9not_fun_tINSA_8identityIsEEEESF_NSA_11use_defaultESM_EENS0_5tupleIJSF_S6_EEENSO_IJSG_SG_EEES6_PlJS6_EEE10hipError_tPvRmT3_T4_T5_T6_T7_T9_mT8_P12ihipStream_tbDpT10_ENKUlT_T0_E_clISt17integral_constantIbLb0EES1B_EEDaS16_S17_EUlS16_E_NS1_11comp_targetILNS1_3genE9ELNS1_11target_archE1100ELNS1_3gpuE3ELNS1_3repE0EEENS1_30default_config_static_selectorELNS0_4arch9wavefront6targetE0EEEvT1_.private_seg_size, 0
	.set _ZN7rocprim17ROCPRIM_400000_NS6detail17trampoline_kernelINS0_14default_configENS1_25partition_config_selectorILNS1_17partition_subalgoE5EsNS0_10empty_typeEbEEZZNS1_14partition_implILS5_5ELb0ES3_mN6thrust23THRUST_200600_302600_NS6detail15normal_iteratorINSA_10device_ptrIsEEEEPS6_NSA_18transform_iteratorINSB_9not_fun_tINSA_8identityIsEEEESF_NSA_11use_defaultESM_EENS0_5tupleIJSF_S6_EEENSO_IJSG_SG_EEES6_PlJS6_EEE10hipError_tPvRmT3_T4_T5_T6_T7_T9_mT8_P12ihipStream_tbDpT10_ENKUlT_T0_E_clISt17integral_constantIbLb0EES1B_EEDaS16_S17_EUlS16_E_NS1_11comp_targetILNS1_3genE9ELNS1_11target_archE1100ELNS1_3gpuE3ELNS1_3repE0EEENS1_30default_config_static_selectorELNS0_4arch9wavefront6targetE0EEEvT1_.uses_vcc, 0
	.set _ZN7rocprim17ROCPRIM_400000_NS6detail17trampoline_kernelINS0_14default_configENS1_25partition_config_selectorILNS1_17partition_subalgoE5EsNS0_10empty_typeEbEEZZNS1_14partition_implILS5_5ELb0ES3_mN6thrust23THRUST_200600_302600_NS6detail15normal_iteratorINSA_10device_ptrIsEEEEPS6_NSA_18transform_iteratorINSB_9not_fun_tINSA_8identityIsEEEESF_NSA_11use_defaultESM_EENS0_5tupleIJSF_S6_EEENSO_IJSG_SG_EEES6_PlJS6_EEE10hipError_tPvRmT3_T4_T5_T6_T7_T9_mT8_P12ihipStream_tbDpT10_ENKUlT_T0_E_clISt17integral_constantIbLb0EES1B_EEDaS16_S17_EUlS16_E_NS1_11comp_targetILNS1_3genE9ELNS1_11target_archE1100ELNS1_3gpuE3ELNS1_3repE0EEENS1_30default_config_static_selectorELNS0_4arch9wavefront6targetE0EEEvT1_.uses_flat_scratch, 0
	.set _ZN7rocprim17ROCPRIM_400000_NS6detail17trampoline_kernelINS0_14default_configENS1_25partition_config_selectorILNS1_17partition_subalgoE5EsNS0_10empty_typeEbEEZZNS1_14partition_implILS5_5ELb0ES3_mN6thrust23THRUST_200600_302600_NS6detail15normal_iteratorINSA_10device_ptrIsEEEEPS6_NSA_18transform_iteratorINSB_9not_fun_tINSA_8identityIsEEEESF_NSA_11use_defaultESM_EENS0_5tupleIJSF_S6_EEENSO_IJSG_SG_EEES6_PlJS6_EEE10hipError_tPvRmT3_T4_T5_T6_T7_T9_mT8_P12ihipStream_tbDpT10_ENKUlT_T0_E_clISt17integral_constantIbLb0EES1B_EEDaS16_S17_EUlS16_E_NS1_11comp_targetILNS1_3genE9ELNS1_11target_archE1100ELNS1_3gpuE3ELNS1_3repE0EEENS1_30default_config_static_selectorELNS0_4arch9wavefront6targetE0EEEvT1_.has_dyn_sized_stack, 0
	.set _ZN7rocprim17ROCPRIM_400000_NS6detail17trampoline_kernelINS0_14default_configENS1_25partition_config_selectorILNS1_17partition_subalgoE5EsNS0_10empty_typeEbEEZZNS1_14partition_implILS5_5ELb0ES3_mN6thrust23THRUST_200600_302600_NS6detail15normal_iteratorINSA_10device_ptrIsEEEEPS6_NSA_18transform_iteratorINSB_9not_fun_tINSA_8identityIsEEEESF_NSA_11use_defaultESM_EENS0_5tupleIJSF_S6_EEENSO_IJSG_SG_EEES6_PlJS6_EEE10hipError_tPvRmT3_T4_T5_T6_T7_T9_mT8_P12ihipStream_tbDpT10_ENKUlT_T0_E_clISt17integral_constantIbLb0EES1B_EEDaS16_S17_EUlS16_E_NS1_11comp_targetILNS1_3genE9ELNS1_11target_archE1100ELNS1_3gpuE3ELNS1_3repE0EEENS1_30default_config_static_selectorELNS0_4arch9wavefront6targetE0EEEvT1_.has_recursion, 0
	.set _ZN7rocprim17ROCPRIM_400000_NS6detail17trampoline_kernelINS0_14default_configENS1_25partition_config_selectorILNS1_17partition_subalgoE5EsNS0_10empty_typeEbEEZZNS1_14partition_implILS5_5ELb0ES3_mN6thrust23THRUST_200600_302600_NS6detail15normal_iteratorINSA_10device_ptrIsEEEEPS6_NSA_18transform_iteratorINSB_9not_fun_tINSA_8identityIsEEEESF_NSA_11use_defaultESM_EENS0_5tupleIJSF_S6_EEENSO_IJSG_SG_EEES6_PlJS6_EEE10hipError_tPvRmT3_T4_T5_T6_T7_T9_mT8_P12ihipStream_tbDpT10_ENKUlT_T0_E_clISt17integral_constantIbLb0EES1B_EEDaS16_S17_EUlS16_E_NS1_11comp_targetILNS1_3genE9ELNS1_11target_archE1100ELNS1_3gpuE3ELNS1_3repE0EEENS1_30default_config_static_selectorELNS0_4arch9wavefront6targetE0EEEvT1_.has_indirect_call, 0
	.section	.AMDGPU.csdata,"",@progbits
; Kernel info:
; codeLenInByte = 0
; TotalNumSgprs: 0
; NumVgprs: 0
; ScratchSize: 0
; MemoryBound: 0
; FloatMode: 240
; IeeeMode: 1
; LDSByteSize: 0 bytes/workgroup (compile time only)
; SGPRBlocks: 0
; VGPRBlocks: 0
; NumSGPRsForWavesPerEU: 1
; NumVGPRsForWavesPerEU: 1
; Occupancy: 16
; WaveLimiterHint : 0
; COMPUTE_PGM_RSRC2:SCRATCH_EN: 0
; COMPUTE_PGM_RSRC2:USER_SGPR: 2
; COMPUTE_PGM_RSRC2:TRAP_HANDLER: 0
; COMPUTE_PGM_RSRC2:TGID_X_EN: 1
; COMPUTE_PGM_RSRC2:TGID_Y_EN: 0
; COMPUTE_PGM_RSRC2:TGID_Z_EN: 0
; COMPUTE_PGM_RSRC2:TIDIG_COMP_CNT: 0
	.section	.text._ZN7rocprim17ROCPRIM_400000_NS6detail17trampoline_kernelINS0_14default_configENS1_25partition_config_selectorILNS1_17partition_subalgoE5EsNS0_10empty_typeEbEEZZNS1_14partition_implILS5_5ELb0ES3_mN6thrust23THRUST_200600_302600_NS6detail15normal_iteratorINSA_10device_ptrIsEEEEPS6_NSA_18transform_iteratorINSB_9not_fun_tINSA_8identityIsEEEESF_NSA_11use_defaultESM_EENS0_5tupleIJSF_S6_EEENSO_IJSG_SG_EEES6_PlJS6_EEE10hipError_tPvRmT3_T4_T5_T6_T7_T9_mT8_P12ihipStream_tbDpT10_ENKUlT_T0_E_clISt17integral_constantIbLb0EES1B_EEDaS16_S17_EUlS16_E_NS1_11comp_targetILNS1_3genE8ELNS1_11target_archE1030ELNS1_3gpuE2ELNS1_3repE0EEENS1_30default_config_static_selectorELNS0_4arch9wavefront6targetE0EEEvT1_,"axG",@progbits,_ZN7rocprim17ROCPRIM_400000_NS6detail17trampoline_kernelINS0_14default_configENS1_25partition_config_selectorILNS1_17partition_subalgoE5EsNS0_10empty_typeEbEEZZNS1_14partition_implILS5_5ELb0ES3_mN6thrust23THRUST_200600_302600_NS6detail15normal_iteratorINSA_10device_ptrIsEEEEPS6_NSA_18transform_iteratorINSB_9not_fun_tINSA_8identityIsEEEESF_NSA_11use_defaultESM_EENS0_5tupleIJSF_S6_EEENSO_IJSG_SG_EEES6_PlJS6_EEE10hipError_tPvRmT3_T4_T5_T6_T7_T9_mT8_P12ihipStream_tbDpT10_ENKUlT_T0_E_clISt17integral_constantIbLb0EES1B_EEDaS16_S17_EUlS16_E_NS1_11comp_targetILNS1_3genE8ELNS1_11target_archE1030ELNS1_3gpuE2ELNS1_3repE0EEENS1_30default_config_static_selectorELNS0_4arch9wavefront6targetE0EEEvT1_,comdat
	.protected	_ZN7rocprim17ROCPRIM_400000_NS6detail17trampoline_kernelINS0_14default_configENS1_25partition_config_selectorILNS1_17partition_subalgoE5EsNS0_10empty_typeEbEEZZNS1_14partition_implILS5_5ELb0ES3_mN6thrust23THRUST_200600_302600_NS6detail15normal_iteratorINSA_10device_ptrIsEEEEPS6_NSA_18transform_iteratorINSB_9not_fun_tINSA_8identityIsEEEESF_NSA_11use_defaultESM_EENS0_5tupleIJSF_S6_EEENSO_IJSG_SG_EEES6_PlJS6_EEE10hipError_tPvRmT3_T4_T5_T6_T7_T9_mT8_P12ihipStream_tbDpT10_ENKUlT_T0_E_clISt17integral_constantIbLb0EES1B_EEDaS16_S17_EUlS16_E_NS1_11comp_targetILNS1_3genE8ELNS1_11target_archE1030ELNS1_3gpuE2ELNS1_3repE0EEENS1_30default_config_static_selectorELNS0_4arch9wavefront6targetE0EEEvT1_ ; -- Begin function _ZN7rocprim17ROCPRIM_400000_NS6detail17trampoline_kernelINS0_14default_configENS1_25partition_config_selectorILNS1_17partition_subalgoE5EsNS0_10empty_typeEbEEZZNS1_14partition_implILS5_5ELb0ES3_mN6thrust23THRUST_200600_302600_NS6detail15normal_iteratorINSA_10device_ptrIsEEEEPS6_NSA_18transform_iteratorINSB_9not_fun_tINSA_8identityIsEEEESF_NSA_11use_defaultESM_EENS0_5tupleIJSF_S6_EEENSO_IJSG_SG_EEES6_PlJS6_EEE10hipError_tPvRmT3_T4_T5_T6_T7_T9_mT8_P12ihipStream_tbDpT10_ENKUlT_T0_E_clISt17integral_constantIbLb0EES1B_EEDaS16_S17_EUlS16_E_NS1_11comp_targetILNS1_3genE8ELNS1_11target_archE1030ELNS1_3gpuE2ELNS1_3repE0EEENS1_30default_config_static_selectorELNS0_4arch9wavefront6targetE0EEEvT1_
	.globl	_ZN7rocprim17ROCPRIM_400000_NS6detail17trampoline_kernelINS0_14default_configENS1_25partition_config_selectorILNS1_17partition_subalgoE5EsNS0_10empty_typeEbEEZZNS1_14partition_implILS5_5ELb0ES3_mN6thrust23THRUST_200600_302600_NS6detail15normal_iteratorINSA_10device_ptrIsEEEEPS6_NSA_18transform_iteratorINSB_9not_fun_tINSA_8identityIsEEEESF_NSA_11use_defaultESM_EENS0_5tupleIJSF_S6_EEENSO_IJSG_SG_EEES6_PlJS6_EEE10hipError_tPvRmT3_T4_T5_T6_T7_T9_mT8_P12ihipStream_tbDpT10_ENKUlT_T0_E_clISt17integral_constantIbLb0EES1B_EEDaS16_S17_EUlS16_E_NS1_11comp_targetILNS1_3genE8ELNS1_11target_archE1030ELNS1_3gpuE2ELNS1_3repE0EEENS1_30default_config_static_selectorELNS0_4arch9wavefront6targetE0EEEvT1_
	.p2align	8
	.type	_ZN7rocprim17ROCPRIM_400000_NS6detail17trampoline_kernelINS0_14default_configENS1_25partition_config_selectorILNS1_17partition_subalgoE5EsNS0_10empty_typeEbEEZZNS1_14partition_implILS5_5ELb0ES3_mN6thrust23THRUST_200600_302600_NS6detail15normal_iteratorINSA_10device_ptrIsEEEEPS6_NSA_18transform_iteratorINSB_9not_fun_tINSA_8identityIsEEEESF_NSA_11use_defaultESM_EENS0_5tupleIJSF_S6_EEENSO_IJSG_SG_EEES6_PlJS6_EEE10hipError_tPvRmT3_T4_T5_T6_T7_T9_mT8_P12ihipStream_tbDpT10_ENKUlT_T0_E_clISt17integral_constantIbLb0EES1B_EEDaS16_S17_EUlS16_E_NS1_11comp_targetILNS1_3genE8ELNS1_11target_archE1030ELNS1_3gpuE2ELNS1_3repE0EEENS1_30default_config_static_selectorELNS0_4arch9wavefront6targetE0EEEvT1_,@function
_ZN7rocprim17ROCPRIM_400000_NS6detail17trampoline_kernelINS0_14default_configENS1_25partition_config_selectorILNS1_17partition_subalgoE5EsNS0_10empty_typeEbEEZZNS1_14partition_implILS5_5ELb0ES3_mN6thrust23THRUST_200600_302600_NS6detail15normal_iteratorINSA_10device_ptrIsEEEEPS6_NSA_18transform_iteratorINSB_9not_fun_tINSA_8identityIsEEEESF_NSA_11use_defaultESM_EENS0_5tupleIJSF_S6_EEENSO_IJSG_SG_EEES6_PlJS6_EEE10hipError_tPvRmT3_T4_T5_T6_T7_T9_mT8_P12ihipStream_tbDpT10_ENKUlT_T0_E_clISt17integral_constantIbLb0EES1B_EEDaS16_S17_EUlS16_E_NS1_11comp_targetILNS1_3genE8ELNS1_11target_archE1030ELNS1_3gpuE2ELNS1_3repE0EEENS1_30default_config_static_selectorELNS0_4arch9wavefront6targetE0EEEvT1_: ; @_ZN7rocprim17ROCPRIM_400000_NS6detail17trampoline_kernelINS0_14default_configENS1_25partition_config_selectorILNS1_17partition_subalgoE5EsNS0_10empty_typeEbEEZZNS1_14partition_implILS5_5ELb0ES3_mN6thrust23THRUST_200600_302600_NS6detail15normal_iteratorINSA_10device_ptrIsEEEEPS6_NSA_18transform_iteratorINSB_9not_fun_tINSA_8identityIsEEEESF_NSA_11use_defaultESM_EENS0_5tupleIJSF_S6_EEENSO_IJSG_SG_EEES6_PlJS6_EEE10hipError_tPvRmT3_T4_T5_T6_T7_T9_mT8_P12ihipStream_tbDpT10_ENKUlT_T0_E_clISt17integral_constantIbLb0EES1B_EEDaS16_S17_EUlS16_E_NS1_11comp_targetILNS1_3genE8ELNS1_11target_archE1030ELNS1_3gpuE2ELNS1_3repE0EEENS1_30default_config_static_selectorELNS0_4arch9wavefront6targetE0EEEvT1_
; %bb.0:
	.section	.rodata,"a",@progbits
	.p2align	6, 0x0
	.amdhsa_kernel _ZN7rocprim17ROCPRIM_400000_NS6detail17trampoline_kernelINS0_14default_configENS1_25partition_config_selectorILNS1_17partition_subalgoE5EsNS0_10empty_typeEbEEZZNS1_14partition_implILS5_5ELb0ES3_mN6thrust23THRUST_200600_302600_NS6detail15normal_iteratorINSA_10device_ptrIsEEEEPS6_NSA_18transform_iteratorINSB_9not_fun_tINSA_8identityIsEEEESF_NSA_11use_defaultESM_EENS0_5tupleIJSF_S6_EEENSO_IJSG_SG_EEES6_PlJS6_EEE10hipError_tPvRmT3_T4_T5_T6_T7_T9_mT8_P12ihipStream_tbDpT10_ENKUlT_T0_E_clISt17integral_constantIbLb0EES1B_EEDaS16_S17_EUlS16_E_NS1_11comp_targetILNS1_3genE8ELNS1_11target_archE1030ELNS1_3gpuE2ELNS1_3repE0EEENS1_30default_config_static_selectorELNS0_4arch9wavefront6targetE0EEEvT1_
		.amdhsa_group_segment_fixed_size 0
		.amdhsa_private_segment_fixed_size 0
		.amdhsa_kernarg_size 120
		.amdhsa_user_sgpr_count 2
		.amdhsa_user_sgpr_dispatch_ptr 0
		.amdhsa_user_sgpr_queue_ptr 0
		.amdhsa_user_sgpr_kernarg_segment_ptr 1
		.amdhsa_user_sgpr_dispatch_id 0
		.amdhsa_user_sgpr_private_segment_size 0
		.amdhsa_wavefront_size32 1
		.amdhsa_uses_dynamic_stack 0
		.amdhsa_enable_private_segment 0
		.amdhsa_system_sgpr_workgroup_id_x 1
		.amdhsa_system_sgpr_workgroup_id_y 0
		.amdhsa_system_sgpr_workgroup_id_z 0
		.amdhsa_system_sgpr_workgroup_info 0
		.amdhsa_system_vgpr_workitem_id 0
		.amdhsa_next_free_vgpr 1
		.amdhsa_next_free_sgpr 1
		.amdhsa_reserve_vcc 0
		.amdhsa_float_round_mode_32 0
		.amdhsa_float_round_mode_16_64 0
		.amdhsa_float_denorm_mode_32 3
		.amdhsa_float_denorm_mode_16_64 3
		.amdhsa_fp16_overflow 0
		.amdhsa_workgroup_processor_mode 1
		.amdhsa_memory_ordered 1
		.amdhsa_forward_progress 1
		.amdhsa_inst_pref_size 0
		.amdhsa_round_robin_scheduling 0
		.amdhsa_exception_fp_ieee_invalid_op 0
		.amdhsa_exception_fp_denorm_src 0
		.amdhsa_exception_fp_ieee_div_zero 0
		.amdhsa_exception_fp_ieee_overflow 0
		.amdhsa_exception_fp_ieee_underflow 0
		.amdhsa_exception_fp_ieee_inexact 0
		.amdhsa_exception_int_div_zero 0
	.end_amdhsa_kernel
	.section	.text._ZN7rocprim17ROCPRIM_400000_NS6detail17trampoline_kernelINS0_14default_configENS1_25partition_config_selectorILNS1_17partition_subalgoE5EsNS0_10empty_typeEbEEZZNS1_14partition_implILS5_5ELb0ES3_mN6thrust23THRUST_200600_302600_NS6detail15normal_iteratorINSA_10device_ptrIsEEEEPS6_NSA_18transform_iteratorINSB_9not_fun_tINSA_8identityIsEEEESF_NSA_11use_defaultESM_EENS0_5tupleIJSF_S6_EEENSO_IJSG_SG_EEES6_PlJS6_EEE10hipError_tPvRmT3_T4_T5_T6_T7_T9_mT8_P12ihipStream_tbDpT10_ENKUlT_T0_E_clISt17integral_constantIbLb0EES1B_EEDaS16_S17_EUlS16_E_NS1_11comp_targetILNS1_3genE8ELNS1_11target_archE1030ELNS1_3gpuE2ELNS1_3repE0EEENS1_30default_config_static_selectorELNS0_4arch9wavefront6targetE0EEEvT1_,"axG",@progbits,_ZN7rocprim17ROCPRIM_400000_NS6detail17trampoline_kernelINS0_14default_configENS1_25partition_config_selectorILNS1_17partition_subalgoE5EsNS0_10empty_typeEbEEZZNS1_14partition_implILS5_5ELb0ES3_mN6thrust23THRUST_200600_302600_NS6detail15normal_iteratorINSA_10device_ptrIsEEEEPS6_NSA_18transform_iteratorINSB_9not_fun_tINSA_8identityIsEEEESF_NSA_11use_defaultESM_EENS0_5tupleIJSF_S6_EEENSO_IJSG_SG_EEES6_PlJS6_EEE10hipError_tPvRmT3_T4_T5_T6_T7_T9_mT8_P12ihipStream_tbDpT10_ENKUlT_T0_E_clISt17integral_constantIbLb0EES1B_EEDaS16_S17_EUlS16_E_NS1_11comp_targetILNS1_3genE8ELNS1_11target_archE1030ELNS1_3gpuE2ELNS1_3repE0EEENS1_30default_config_static_selectorELNS0_4arch9wavefront6targetE0EEEvT1_,comdat
.Lfunc_end1020:
	.size	_ZN7rocprim17ROCPRIM_400000_NS6detail17trampoline_kernelINS0_14default_configENS1_25partition_config_selectorILNS1_17partition_subalgoE5EsNS0_10empty_typeEbEEZZNS1_14partition_implILS5_5ELb0ES3_mN6thrust23THRUST_200600_302600_NS6detail15normal_iteratorINSA_10device_ptrIsEEEEPS6_NSA_18transform_iteratorINSB_9not_fun_tINSA_8identityIsEEEESF_NSA_11use_defaultESM_EENS0_5tupleIJSF_S6_EEENSO_IJSG_SG_EEES6_PlJS6_EEE10hipError_tPvRmT3_T4_T5_T6_T7_T9_mT8_P12ihipStream_tbDpT10_ENKUlT_T0_E_clISt17integral_constantIbLb0EES1B_EEDaS16_S17_EUlS16_E_NS1_11comp_targetILNS1_3genE8ELNS1_11target_archE1030ELNS1_3gpuE2ELNS1_3repE0EEENS1_30default_config_static_selectorELNS0_4arch9wavefront6targetE0EEEvT1_, .Lfunc_end1020-_ZN7rocprim17ROCPRIM_400000_NS6detail17trampoline_kernelINS0_14default_configENS1_25partition_config_selectorILNS1_17partition_subalgoE5EsNS0_10empty_typeEbEEZZNS1_14partition_implILS5_5ELb0ES3_mN6thrust23THRUST_200600_302600_NS6detail15normal_iteratorINSA_10device_ptrIsEEEEPS6_NSA_18transform_iteratorINSB_9not_fun_tINSA_8identityIsEEEESF_NSA_11use_defaultESM_EENS0_5tupleIJSF_S6_EEENSO_IJSG_SG_EEES6_PlJS6_EEE10hipError_tPvRmT3_T4_T5_T6_T7_T9_mT8_P12ihipStream_tbDpT10_ENKUlT_T0_E_clISt17integral_constantIbLb0EES1B_EEDaS16_S17_EUlS16_E_NS1_11comp_targetILNS1_3genE8ELNS1_11target_archE1030ELNS1_3gpuE2ELNS1_3repE0EEENS1_30default_config_static_selectorELNS0_4arch9wavefront6targetE0EEEvT1_
                                        ; -- End function
	.set _ZN7rocprim17ROCPRIM_400000_NS6detail17trampoline_kernelINS0_14default_configENS1_25partition_config_selectorILNS1_17partition_subalgoE5EsNS0_10empty_typeEbEEZZNS1_14partition_implILS5_5ELb0ES3_mN6thrust23THRUST_200600_302600_NS6detail15normal_iteratorINSA_10device_ptrIsEEEEPS6_NSA_18transform_iteratorINSB_9not_fun_tINSA_8identityIsEEEESF_NSA_11use_defaultESM_EENS0_5tupleIJSF_S6_EEENSO_IJSG_SG_EEES6_PlJS6_EEE10hipError_tPvRmT3_T4_T5_T6_T7_T9_mT8_P12ihipStream_tbDpT10_ENKUlT_T0_E_clISt17integral_constantIbLb0EES1B_EEDaS16_S17_EUlS16_E_NS1_11comp_targetILNS1_3genE8ELNS1_11target_archE1030ELNS1_3gpuE2ELNS1_3repE0EEENS1_30default_config_static_selectorELNS0_4arch9wavefront6targetE0EEEvT1_.num_vgpr, 0
	.set _ZN7rocprim17ROCPRIM_400000_NS6detail17trampoline_kernelINS0_14default_configENS1_25partition_config_selectorILNS1_17partition_subalgoE5EsNS0_10empty_typeEbEEZZNS1_14partition_implILS5_5ELb0ES3_mN6thrust23THRUST_200600_302600_NS6detail15normal_iteratorINSA_10device_ptrIsEEEEPS6_NSA_18transform_iteratorINSB_9not_fun_tINSA_8identityIsEEEESF_NSA_11use_defaultESM_EENS0_5tupleIJSF_S6_EEENSO_IJSG_SG_EEES6_PlJS6_EEE10hipError_tPvRmT3_T4_T5_T6_T7_T9_mT8_P12ihipStream_tbDpT10_ENKUlT_T0_E_clISt17integral_constantIbLb0EES1B_EEDaS16_S17_EUlS16_E_NS1_11comp_targetILNS1_3genE8ELNS1_11target_archE1030ELNS1_3gpuE2ELNS1_3repE0EEENS1_30default_config_static_selectorELNS0_4arch9wavefront6targetE0EEEvT1_.num_agpr, 0
	.set _ZN7rocprim17ROCPRIM_400000_NS6detail17trampoline_kernelINS0_14default_configENS1_25partition_config_selectorILNS1_17partition_subalgoE5EsNS0_10empty_typeEbEEZZNS1_14partition_implILS5_5ELb0ES3_mN6thrust23THRUST_200600_302600_NS6detail15normal_iteratorINSA_10device_ptrIsEEEEPS6_NSA_18transform_iteratorINSB_9not_fun_tINSA_8identityIsEEEESF_NSA_11use_defaultESM_EENS0_5tupleIJSF_S6_EEENSO_IJSG_SG_EEES6_PlJS6_EEE10hipError_tPvRmT3_T4_T5_T6_T7_T9_mT8_P12ihipStream_tbDpT10_ENKUlT_T0_E_clISt17integral_constantIbLb0EES1B_EEDaS16_S17_EUlS16_E_NS1_11comp_targetILNS1_3genE8ELNS1_11target_archE1030ELNS1_3gpuE2ELNS1_3repE0EEENS1_30default_config_static_selectorELNS0_4arch9wavefront6targetE0EEEvT1_.numbered_sgpr, 0
	.set _ZN7rocprim17ROCPRIM_400000_NS6detail17trampoline_kernelINS0_14default_configENS1_25partition_config_selectorILNS1_17partition_subalgoE5EsNS0_10empty_typeEbEEZZNS1_14partition_implILS5_5ELb0ES3_mN6thrust23THRUST_200600_302600_NS6detail15normal_iteratorINSA_10device_ptrIsEEEEPS6_NSA_18transform_iteratorINSB_9not_fun_tINSA_8identityIsEEEESF_NSA_11use_defaultESM_EENS0_5tupleIJSF_S6_EEENSO_IJSG_SG_EEES6_PlJS6_EEE10hipError_tPvRmT3_T4_T5_T6_T7_T9_mT8_P12ihipStream_tbDpT10_ENKUlT_T0_E_clISt17integral_constantIbLb0EES1B_EEDaS16_S17_EUlS16_E_NS1_11comp_targetILNS1_3genE8ELNS1_11target_archE1030ELNS1_3gpuE2ELNS1_3repE0EEENS1_30default_config_static_selectorELNS0_4arch9wavefront6targetE0EEEvT1_.num_named_barrier, 0
	.set _ZN7rocprim17ROCPRIM_400000_NS6detail17trampoline_kernelINS0_14default_configENS1_25partition_config_selectorILNS1_17partition_subalgoE5EsNS0_10empty_typeEbEEZZNS1_14partition_implILS5_5ELb0ES3_mN6thrust23THRUST_200600_302600_NS6detail15normal_iteratorINSA_10device_ptrIsEEEEPS6_NSA_18transform_iteratorINSB_9not_fun_tINSA_8identityIsEEEESF_NSA_11use_defaultESM_EENS0_5tupleIJSF_S6_EEENSO_IJSG_SG_EEES6_PlJS6_EEE10hipError_tPvRmT3_T4_T5_T6_T7_T9_mT8_P12ihipStream_tbDpT10_ENKUlT_T0_E_clISt17integral_constantIbLb0EES1B_EEDaS16_S17_EUlS16_E_NS1_11comp_targetILNS1_3genE8ELNS1_11target_archE1030ELNS1_3gpuE2ELNS1_3repE0EEENS1_30default_config_static_selectorELNS0_4arch9wavefront6targetE0EEEvT1_.private_seg_size, 0
	.set _ZN7rocprim17ROCPRIM_400000_NS6detail17trampoline_kernelINS0_14default_configENS1_25partition_config_selectorILNS1_17partition_subalgoE5EsNS0_10empty_typeEbEEZZNS1_14partition_implILS5_5ELb0ES3_mN6thrust23THRUST_200600_302600_NS6detail15normal_iteratorINSA_10device_ptrIsEEEEPS6_NSA_18transform_iteratorINSB_9not_fun_tINSA_8identityIsEEEESF_NSA_11use_defaultESM_EENS0_5tupleIJSF_S6_EEENSO_IJSG_SG_EEES6_PlJS6_EEE10hipError_tPvRmT3_T4_T5_T6_T7_T9_mT8_P12ihipStream_tbDpT10_ENKUlT_T0_E_clISt17integral_constantIbLb0EES1B_EEDaS16_S17_EUlS16_E_NS1_11comp_targetILNS1_3genE8ELNS1_11target_archE1030ELNS1_3gpuE2ELNS1_3repE0EEENS1_30default_config_static_selectorELNS0_4arch9wavefront6targetE0EEEvT1_.uses_vcc, 0
	.set _ZN7rocprim17ROCPRIM_400000_NS6detail17trampoline_kernelINS0_14default_configENS1_25partition_config_selectorILNS1_17partition_subalgoE5EsNS0_10empty_typeEbEEZZNS1_14partition_implILS5_5ELb0ES3_mN6thrust23THRUST_200600_302600_NS6detail15normal_iteratorINSA_10device_ptrIsEEEEPS6_NSA_18transform_iteratorINSB_9not_fun_tINSA_8identityIsEEEESF_NSA_11use_defaultESM_EENS0_5tupleIJSF_S6_EEENSO_IJSG_SG_EEES6_PlJS6_EEE10hipError_tPvRmT3_T4_T5_T6_T7_T9_mT8_P12ihipStream_tbDpT10_ENKUlT_T0_E_clISt17integral_constantIbLb0EES1B_EEDaS16_S17_EUlS16_E_NS1_11comp_targetILNS1_3genE8ELNS1_11target_archE1030ELNS1_3gpuE2ELNS1_3repE0EEENS1_30default_config_static_selectorELNS0_4arch9wavefront6targetE0EEEvT1_.uses_flat_scratch, 0
	.set _ZN7rocprim17ROCPRIM_400000_NS6detail17trampoline_kernelINS0_14default_configENS1_25partition_config_selectorILNS1_17partition_subalgoE5EsNS0_10empty_typeEbEEZZNS1_14partition_implILS5_5ELb0ES3_mN6thrust23THRUST_200600_302600_NS6detail15normal_iteratorINSA_10device_ptrIsEEEEPS6_NSA_18transform_iteratorINSB_9not_fun_tINSA_8identityIsEEEESF_NSA_11use_defaultESM_EENS0_5tupleIJSF_S6_EEENSO_IJSG_SG_EEES6_PlJS6_EEE10hipError_tPvRmT3_T4_T5_T6_T7_T9_mT8_P12ihipStream_tbDpT10_ENKUlT_T0_E_clISt17integral_constantIbLb0EES1B_EEDaS16_S17_EUlS16_E_NS1_11comp_targetILNS1_3genE8ELNS1_11target_archE1030ELNS1_3gpuE2ELNS1_3repE0EEENS1_30default_config_static_selectorELNS0_4arch9wavefront6targetE0EEEvT1_.has_dyn_sized_stack, 0
	.set _ZN7rocprim17ROCPRIM_400000_NS6detail17trampoline_kernelINS0_14default_configENS1_25partition_config_selectorILNS1_17partition_subalgoE5EsNS0_10empty_typeEbEEZZNS1_14partition_implILS5_5ELb0ES3_mN6thrust23THRUST_200600_302600_NS6detail15normal_iteratorINSA_10device_ptrIsEEEEPS6_NSA_18transform_iteratorINSB_9not_fun_tINSA_8identityIsEEEESF_NSA_11use_defaultESM_EENS0_5tupleIJSF_S6_EEENSO_IJSG_SG_EEES6_PlJS6_EEE10hipError_tPvRmT3_T4_T5_T6_T7_T9_mT8_P12ihipStream_tbDpT10_ENKUlT_T0_E_clISt17integral_constantIbLb0EES1B_EEDaS16_S17_EUlS16_E_NS1_11comp_targetILNS1_3genE8ELNS1_11target_archE1030ELNS1_3gpuE2ELNS1_3repE0EEENS1_30default_config_static_selectorELNS0_4arch9wavefront6targetE0EEEvT1_.has_recursion, 0
	.set _ZN7rocprim17ROCPRIM_400000_NS6detail17trampoline_kernelINS0_14default_configENS1_25partition_config_selectorILNS1_17partition_subalgoE5EsNS0_10empty_typeEbEEZZNS1_14partition_implILS5_5ELb0ES3_mN6thrust23THRUST_200600_302600_NS6detail15normal_iteratorINSA_10device_ptrIsEEEEPS6_NSA_18transform_iteratorINSB_9not_fun_tINSA_8identityIsEEEESF_NSA_11use_defaultESM_EENS0_5tupleIJSF_S6_EEENSO_IJSG_SG_EEES6_PlJS6_EEE10hipError_tPvRmT3_T4_T5_T6_T7_T9_mT8_P12ihipStream_tbDpT10_ENKUlT_T0_E_clISt17integral_constantIbLb0EES1B_EEDaS16_S17_EUlS16_E_NS1_11comp_targetILNS1_3genE8ELNS1_11target_archE1030ELNS1_3gpuE2ELNS1_3repE0EEENS1_30default_config_static_selectorELNS0_4arch9wavefront6targetE0EEEvT1_.has_indirect_call, 0
	.section	.AMDGPU.csdata,"",@progbits
; Kernel info:
; codeLenInByte = 0
; TotalNumSgprs: 0
; NumVgprs: 0
; ScratchSize: 0
; MemoryBound: 0
; FloatMode: 240
; IeeeMode: 1
; LDSByteSize: 0 bytes/workgroup (compile time only)
; SGPRBlocks: 0
; VGPRBlocks: 0
; NumSGPRsForWavesPerEU: 1
; NumVGPRsForWavesPerEU: 1
; Occupancy: 16
; WaveLimiterHint : 0
; COMPUTE_PGM_RSRC2:SCRATCH_EN: 0
; COMPUTE_PGM_RSRC2:USER_SGPR: 2
; COMPUTE_PGM_RSRC2:TRAP_HANDLER: 0
; COMPUTE_PGM_RSRC2:TGID_X_EN: 1
; COMPUTE_PGM_RSRC2:TGID_Y_EN: 0
; COMPUTE_PGM_RSRC2:TGID_Z_EN: 0
; COMPUTE_PGM_RSRC2:TIDIG_COMP_CNT: 0
	.section	.text._ZN7rocprim17ROCPRIM_400000_NS6detail17trampoline_kernelINS0_14default_configENS1_25partition_config_selectorILNS1_17partition_subalgoE5EsNS0_10empty_typeEbEEZZNS1_14partition_implILS5_5ELb0ES3_mN6thrust23THRUST_200600_302600_NS6detail15normal_iteratorINSA_10device_ptrIsEEEEPS6_NSA_18transform_iteratorINSB_9not_fun_tINSA_8identityIsEEEESF_NSA_11use_defaultESM_EENS0_5tupleIJSF_S6_EEENSO_IJSG_SG_EEES6_PlJS6_EEE10hipError_tPvRmT3_T4_T5_T6_T7_T9_mT8_P12ihipStream_tbDpT10_ENKUlT_T0_E_clISt17integral_constantIbLb1EES1B_EEDaS16_S17_EUlS16_E_NS1_11comp_targetILNS1_3genE0ELNS1_11target_archE4294967295ELNS1_3gpuE0ELNS1_3repE0EEENS1_30default_config_static_selectorELNS0_4arch9wavefront6targetE0EEEvT1_,"axG",@progbits,_ZN7rocprim17ROCPRIM_400000_NS6detail17trampoline_kernelINS0_14default_configENS1_25partition_config_selectorILNS1_17partition_subalgoE5EsNS0_10empty_typeEbEEZZNS1_14partition_implILS5_5ELb0ES3_mN6thrust23THRUST_200600_302600_NS6detail15normal_iteratorINSA_10device_ptrIsEEEEPS6_NSA_18transform_iteratorINSB_9not_fun_tINSA_8identityIsEEEESF_NSA_11use_defaultESM_EENS0_5tupleIJSF_S6_EEENSO_IJSG_SG_EEES6_PlJS6_EEE10hipError_tPvRmT3_T4_T5_T6_T7_T9_mT8_P12ihipStream_tbDpT10_ENKUlT_T0_E_clISt17integral_constantIbLb1EES1B_EEDaS16_S17_EUlS16_E_NS1_11comp_targetILNS1_3genE0ELNS1_11target_archE4294967295ELNS1_3gpuE0ELNS1_3repE0EEENS1_30default_config_static_selectorELNS0_4arch9wavefront6targetE0EEEvT1_,comdat
	.protected	_ZN7rocprim17ROCPRIM_400000_NS6detail17trampoline_kernelINS0_14default_configENS1_25partition_config_selectorILNS1_17partition_subalgoE5EsNS0_10empty_typeEbEEZZNS1_14partition_implILS5_5ELb0ES3_mN6thrust23THRUST_200600_302600_NS6detail15normal_iteratorINSA_10device_ptrIsEEEEPS6_NSA_18transform_iteratorINSB_9not_fun_tINSA_8identityIsEEEESF_NSA_11use_defaultESM_EENS0_5tupleIJSF_S6_EEENSO_IJSG_SG_EEES6_PlJS6_EEE10hipError_tPvRmT3_T4_T5_T6_T7_T9_mT8_P12ihipStream_tbDpT10_ENKUlT_T0_E_clISt17integral_constantIbLb1EES1B_EEDaS16_S17_EUlS16_E_NS1_11comp_targetILNS1_3genE0ELNS1_11target_archE4294967295ELNS1_3gpuE0ELNS1_3repE0EEENS1_30default_config_static_selectorELNS0_4arch9wavefront6targetE0EEEvT1_ ; -- Begin function _ZN7rocprim17ROCPRIM_400000_NS6detail17trampoline_kernelINS0_14default_configENS1_25partition_config_selectorILNS1_17partition_subalgoE5EsNS0_10empty_typeEbEEZZNS1_14partition_implILS5_5ELb0ES3_mN6thrust23THRUST_200600_302600_NS6detail15normal_iteratorINSA_10device_ptrIsEEEEPS6_NSA_18transform_iteratorINSB_9not_fun_tINSA_8identityIsEEEESF_NSA_11use_defaultESM_EENS0_5tupleIJSF_S6_EEENSO_IJSG_SG_EEES6_PlJS6_EEE10hipError_tPvRmT3_T4_T5_T6_T7_T9_mT8_P12ihipStream_tbDpT10_ENKUlT_T0_E_clISt17integral_constantIbLb1EES1B_EEDaS16_S17_EUlS16_E_NS1_11comp_targetILNS1_3genE0ELNS1_11target_archE4294967295ELNS1_3gpuE0ELNS1_3repE0EEENS1_30default_config_static_selectorELNS0_4arch9wavefront6targetE0EEEvT1_
	.globl	_ZN7rocprim17ROCPRIM_400000_NS6detail17trampoline_kernelINS0_14default_configENS1_25partition_config_selectorILNS1_17partition_subalgoE5EsNS0_10empty_typeEbEEZZNS1_14partition_implILS5_5ELb0ES3_mN6thrust23THRUST_200600_302600_NS6detail15normal_iteratorINSA_10device_ptrIsEEEEPS6_NSA_18transform_iteratorINSB_9not_fun_tINSA_8identityIsEEEESF_NSA_11use_defaultESM_EENS0_5tupleIJSF_S6_EEENSO_IJSG_SG_EEES6_PlJS6_EEE10hipError_tPvRmT3_T4_T5_T6_T7_T9_mT8_P12ihipStream_tbDpT10_ENKUlT_T0_E_clISt17integral_constantIbLb1EES1B_EEDaS16_S17_EUlS16_E_NS1_11comp_targetILNS1_3genE0ELNS1_11target_archE4294967295ELNS1_3gpuE0ELNS1_3repE0EEENS1_30default_config_static_selectorELNS0_4arch9wavefront6targetE0EEEvT1_
	.p2align	8
	.type	_ZN7rocprim17ROCPRIM_400000_NS6detail17trampoline_kernelINS0_14default_configENS1_25partition_config_selectorILNS1_17partition_subalgoE5EsNS0_10empty_typeEbEEZZNS1_14partition_implILS5_5ELb0ES3_mN6thrust23THRUST_200600_302600_NS6detail15normal_iteratorINSA_10device_ptrIsEEEEPS6_NSA_18transform_iteratorINSB_9not_fun_tINSA_8identityIsEEEESF_NSA_11use_defaultESM_EENS0_5tupleIJSF_S6_EEENSO_IJSG_SG_EEES6_PlJS6_EEE10hipError_tPvRmT3_T4_T5_T6_T7_T9_mT8_P12ihipStream_tbDpT10_ENKUlT_T0_E_clISt17integral_constantIbLb1EES1B_EEDaS16_S17_EUlS16_E_NS1_11comp_targetILNS1_3genE0ELNS1_11target_archE4294967295ELNS1_3gpuE0ELNS1_3repE0EEENS1_30default_config_static_selectorELNS0_4arch9wavefront6targetE0EEEvT1_,@function
_ZN7rocprim17ROCPRIM_400000_NS6detail17trampoline_kernelINS0_14default_configENS1_25partition_config_selectorILNS1_17partition_subalgoE5EsNS0_10empty_typeEbEEZZNS1_14partition_implILS5_5ELb0ES3_mN6thrust23THRUST_200600_302600_NS6detail15normal_iteratorINSA_10device_ptrIsEEEEPS6_NSA_18transform_iteratorINSB_9not_fun_tINSA_8identityIsEEEESF_NSA_11use_defaultESM_EENS0_5tupleIJSF_S6_EEENSO_IJSG_SG_EEES6_PlJS6_EEE10hipError_tPvRmT3_T4_T5_T6_T7_T9_mT8_P12ihipStream_tbDpT10_ENKUlT_T0_E_clISt17integral_constantIbLb1EES1B_EEDaS16_S17_EUlS16_E_NS1_11comp_targetILNS1_3genE0ELNS1_11target_archE4294967295ELNS1_3gpuE0ELNS1_3repE0EEENS1_30default_config_static_selectorELNS0_4arch9wavefront6targetE0EEEvT1_: ; @_ZN7rocprim17ROCPRIM_400000_NS6detail17trampoline_kernelINS0_14default_configENS1_25partition_config_selectorILNS1_17partition_subalgoE5EsNS0_10empty_typeEbEEZZNS1_14partition_implILS5_5ELb0ES3_mN6thrust23THRUST_200600_302600_NS6detail15normal_iteratorINSA_10device_ptrIsEEEEPS6_NSA_18transform_iteratorINSB_9not_fun_tINSA_8identityIsEEEESF_NSA_11use_defaultESM_EENS0_5tupleIJSF_S6_EEENSO_IJSG_SG_EEES6_PlJS6_EEE10hipError_tPvRmT3_T4_T5_T6_T7_T9_mT8_P12ihipStream_tbDpT10_ENKUlT_T0_E_clISt17integral_constantIbLb1EES1B_EEDaS16_S17_EUlS16_E_NS1_11comp_targetILNS1_3genE0ELNS1_11target_archE4294967295ELNS1_3gpuE0ELNS1_3repE0EEENS1_30default_config_static_selectorELNS0_4arch9wavefront6targetE0EEEvT1_
; %bb.0:
	.section	.rodata,"a",@progbits
	.p2align	6, 0x0
	.amdhsa_kernel _ZN7rocprim17ROCPRIM_400000_NS6detail17trampoline_kernelINS0_14default_configENS1_25partition_config_selectorILNS1_17partition_subalgoE5EsNS0_10empty_typeEbEEZZNS1_14partition_implILS5_5ELb0ES3_mN6thrust23THRUST_200600_302600_NS6detail15normal_iteratorINSA_10device_ptrIsEEEEPS6_NSA_18transform_iteratorINSB_9not_fun_tINSA_8identityIsEEEESF_NSA_11use_defaultESM_EENS0_5tupleIJSF_S6_EEENSO_IJSG_SG_EEES6_PlJS6_EEE10hipError_tPvRmT3_T4_T5_T6_T7_T9_mT8_P12ihipStream_tbDpT10_ENKUlT_T0_E_clISt17integral_constantIbLb1EES1B_EEDaS16_S17_EUlS16_E_NS1_11comp_targetILNS1_3genE0ELNS1_11target_archE4294967295ELNS1_3gpuE0ELNS1_3repE0EEENS1_30default_config_static_selectorELNS0_4arch9wavefront6targetE0EEEvT1_
		.amdhsa_group_segment_fixed_size 0
		.amdhsa_private_segment_fixed_size 0
		.amdhsa_kernarg_size 136
		.amdhsa_user_sgpr_count 2
		.amdhsa_user_sgpr_dispatch_ptr 0
		.amdhsa_user_sgpr_queue_ptr 0
		.amdhsa_user_sgpr_kernarg_segment_ptr 1
		.amdhsa_user_sgpr_dispatch_id 0
		.amdhsa_user_sgpr_private_segment_size 0
		.amdhsa_wavefront_size32 1
		.amdhsa_uses_dynamic_stack 0
		.amdhsa_enable_private_segment 0
		.amdhsa_system_sgpr_workgroup_id_x 1
		.amdhsa_system_sgpr_workgroup_id_y 0
		.amdhsa_system_sgpr_workgroup_id_z 0
		.amdhsa_system_sgpr_workgroup_info 0
		.amdhsa_system_vgpr_workitem_id 0
		.amdhsa_next_free_vgpr 1
		.amdhsa_next_free_sgpr 1
		.amdhsa_reserve_vcc 0
		.amdhsa_float_round_mode_32 0
		.amdhsa_float_round_mode_16_64 0
		.amdhsa_float_denorm_mode_32 3
		.amdhsa_float_denorm_mode_16_64 3
		.amdhsa_fp16_overflow 0
		.amdhsa_workgroup_processor_mode 1
		.amdhsa_memory_ordered 1
		.amdhsa_forward_progress 1
		.amdhsa_inst_pref_size 0
		.amdhsa_round_robin_scheduling 0
		.amdhsa_exception_fp_ieee_invalid_op 0
		.amdhsa_exception_fp_denorm_src 0
		.amdhsa_exception_fp_ieee_div_zero 0
		.amdhsa_exception_fp_ieee_overflow 0
		.amdhsa_exception_fp_ieee_underflow 0
		.amdhsa_exception_fp_ieee_inexact 0
		.amdhsa_exception_int_div_zero 0
	.end_amdhsa_kernel
	.section	.text._ZN7rocprim17ROCPRIM_400000_NS6detail17trampoline_kernelINS0_14default_configENS1_25partition_config_selectorILNS1_17partition_subalgoE5EsNS0_10empty_typeEbEEZZNS1_14partition_implILS5_5ELb0ES3_mN6thrust23THRUST_200600_302600_NS6detail15normal_iteratorINSA_10device_ptrIsEEEEPS6_NSA_18transform_iteratorINSB_9not_fun_tINSA_8identityIsEEEESF_NSA_11use_defaultESM_EENS0_5tupleIJSF_S6_EEENSO_IJSG_SG_EEES6_PlJS6_EEE10hipError_tPvRmT3_T4_T5_T6_T7_T9_mT8_P12ihipStream_tbDpT10_ENKUlT_T0_E_clISt17integral_constantIbLb1EES1B_EEDaS16_S17_EUlS16_E_NS1_11comp_targetILNS1_3genE0ELNS1_11target_archE4294967295ELNS1_3gpuE0ELNS1_3repE0EEENS1_30default_config_static_selectorELNS0_4arch9wavefront6targetE0EEEvT1_,"axG",@progbits,_ZN7rocprim17ROCPRIM_400000_NS6detail17trampoline_kernelINS0_14default_configENS1_25partition_config_selectorILNS1_17partition_subalgoE5EsNS0_10empty_typeEbEEZZNS1_14partition_implILS5_5ELb0ES3_mN6thrust23THRUST_200600_302600_NS6detail15normal_iteratorINSA_10device_ptrIsEEEEPS6_NSA_18transform_iteratorINSB_9not_fun_tINSA_8identityIsEEEESF_NSA_11use_defaultESM_EENS0_5tupleIJSF_S6_EEENSO_IJSG_SG_EEES6_PlJS6_EEE10hipError_tPvRmT3_T4_T5_T6_T7_T9_mT8_P12ihipStream_tbDpT10_ENKUlT_T0_E_clISt17integral_constantIbLb1EES1B_EEDaS16_S17_EUlS16_E_NS1_11comp_targetILNS1_3genE0ELNS1_11target_archE4294967295ELNS1_3gpuE0ELNS1_3repE0EEENS1_30default_config_static_selectorELNS0_4arch9wavefront6targetE0EEEvT1_,comdat
.Lfunc_end1021:
	.size	_ZN7rocprim17ROCPRIM_400000_NS6detail17trampoline_kernelINS0_14default_configENS1_25partition_config_selectorILNS1_17partition_subalgoE5EsNS0_10empty_typeEbEEZZNS1_14partition_implILS5_5ELb0ES3_mN6thrust23THRUST_200600_302600_NS6detail15normal_iteratorINSA_10device_ptrIsEEEEPS6_NSA_18transform_iteratorINSB_9not_fun_tINSA_8identityIsEEEESF_NSA_11use_defaultESM_EENS0_5tupleIJSF_S6_EEENSO_IJSG_SG_EEES6_PlJS6_EEE10hipError_tPvRmT3_T4_T5_T6_T7_T9_mT8_P12ihipStream_tbDpT10_ENKUlT_T0_E_clISt17integral_constantIbLb1EES1B_EEDaS16_S17_EUlS16_E_NS1_11comp_targetILNS1_3genE0ELNS1_11target_archE4294967295ELNS1_3gpuE0ELNS1_3repE0EEENS1_30default_config_static_selectorELNS0_4arch9wavefront6targetE0EEEvT1_, .Lfunc_end1021-_ZN7rocprim17ROCPRIM_400000_NS6detail17trampoline_kernelINS0_14default_configENS1_25partition_config_selectorILNS1_17partition_subalgoE5EsNS0_10empty_typeEbEEZZNS1_14partition_implILS5_5ELb0ES3_mN6thrust23THRUST_200600_302600_NS6detail15normal_iteratorINSA_10device_ptrIsEEEEPS6_NSA_18transform_iteratorINSB_9not_fun_tINSA_8identityIsEEEESF_NSA_11use_defaultESM_EENS0_5tupleIJSF_S6_EEENSO_IJSG_SG_EEES6_PlJS6_EEE10hipError_tPvRmT3_T4_T5_T6_T7_T9_mT8_P12ihipStream_tbDpT10_ENKUlT_T0_E_clISt17integral_constantIbLb1EES1B_EEDaS16_S17_EUlS16_E_NS1_11comp_targetILNS1_3genE0ELNS1_11target_archE4294967295ELNS1_3gpuE0ELNS1_3repE0EEENS1_30default_config_static_selectorELNS0_4arch9wavefront6targetE0EEEvT1_
                                        ; -- End function
	.set _ZN7rocprim17ROCPRIM_400000_NS6detail17trampoline_kernelINS0_14default_configENS1_25partition_config_selectorILNS1_17partition_subalgoE5EsNS0_10empty_typeEbEEZZNS1_14partition_implILS5_5ELb0ES3_mN6thrust23THRUST_200600_302600_NS6detail15normal_iteratorINSA_10device_ptrIsEEEEPS6_NSA_18transform_iteratorINSB_9not_fun_tINSA_8identityIsEEEESF_NSA_11use_defaultESM_EENS0_5tupleIJSF_S6_EEENSO_IJSG_SG_EEES6_PlJS6_EEE10hipError_tPvRmT3_T4_T5_T6_T7_T9_mT8_P12ihipStream_tbDpT10_ENKUlT_T0_E_clISt17integral_constantIbLb1EES1B_EEDaS16_S17_EUlS16_E_NS1_11comp_targetILNS1_3genE0ELNS1_11target_archE4294967295ELNS1_3gpuE0ELNS1_3repE0EEENS1_30default_config_static_selectorELNS0_4arch9wavefront6targetE0EEEvT1_.num_vgpr, 0
	.set _ZN7rocprim17ROCPRIM_400000_NS6detail17trampoline_kernelINS0_14default_configENS1_25partition_config_selectorILNS1_17partition_subalgoE5EsNS0_10empty_typeEbEEZZNS1_14partition_implILS5_5ELb0ES3_mN6thrust23THRUST_200600_302600_NS6detail15normal_iteratorINSA_10device_ptrIsEEEEPS6_NSA_18transform_iteratorINSB_9not_fun_tINSA_8identityIsEEEESF_NSA_11use_defaultESM_EENS0_5tupleIJSF_S6_EEENSO_IJSG_SG_EEES6_PlJS6_EEE10hipError_tPvRmT3_T4_T5_T6_T7_T9_mT8_P12ihipStream_tbDpT10_ENKUlT_T0_E_clISt17integral_constantIbLb1EES1B_EEDaS16_S17_EUlS16_E_NS1_11comp_targetILNS1_3genE0ELNS1_11target_archE4294967295ELNS1_3gpuE0ELNS1_3repE0EEENS1_30default_config_static_selectorELNS0_4arch9wavefront6targetE0EEEvT1_.num_agpr, 0
	.set _ZN7rocprim17ROCPRIM_400000_NS6detail17trampoline_kernelINS0_14default_configENS1_25partition_config_selectorILNS1_17partition_subalgoE5EsNS0_10empty_typeEbEEZZNS1_14partition_implILS5_5ELb0ES3_mN6thrust23THRUST_200600_302600_NS6detail15normal_iteratorINSA_10device_ptrIsEEEEPS6_NSA_18transform_iteratorINSB_9not_fun_tINSA_8identityIsEEEESF_NSA_11use_defaultESM_EENS0_5tupleIJSF_S6_EEENSO_IJSG_SG_EEES6_PlJS6_EEE10hipError_tPvRmT3_T4_T5_T6_T7_T9_mT8_P12ihipStream_tbDpT10_ENKUlT_T0_E_clISt17integral_constantIbLb1EES1B_EEDaS16_S17_EUlS16_E_NS1_11comp_targetILNS1_3genE0ELNS1_11target_archE4294967295ELNS1_3gpuE0ELNS1_3repE0EEENS1_30default_config_static_selectorELNS0_4arch9wavefront6targetE0EEEvT1_.numbered_sgpr, 0
	.set _ZN7rocprim17ROCPRIM_400000_NS6detail17trampoline_kernelINS0_14default_configENS1_25partition_config_selectorILNS1_17partition_subalgoE5EsNS0_10empty_typeEbEEZZNS1_14partition_implILS5_5ELb0ES3_mN6thrust23THRUST_200600_302600_NS6detail15normal_iteratorINSA_10device_ptrIsEEEEPS6_NSA_18transform_iteratorINSB_9not_fun_tINSA_8identityIsEEEESF_NSA_11use_defaultESM_EENS0_5tupleIJSF_S6_EEENSO_IJSG_SG_EEES6_PlJS6_EEE10hipError_tPvRmT3_T4_T5_T6_T7_T9_mT8_P12ihipStream_tbDpT10_ENKUlT_T0_E_clISt17integral_constantIbLb1EES1B_EEDaS16_S17_EUlS16_E_NS1_11comp_targetILNS1_3genE0ELNS1_11target_archE4294967295ELNS1_3gpuE0ELNS1_3repE0EEENS1_30default_config_static_selectorELNS0_4arch9wavefront6targetE0EEEvT1_.num_named_barrier, 0
	.set _ZN7rocprim17ROCPRIM_400000_NS6detail17trampoline_kernelINS0_14default_configENS1_25partition_config_selectorILNS1_17partition_subalgoE5EsNS0_10empty_typeEbEEZZNS1_14partition_implILS5_5ELb0ES3_mN6thrust23THRUST_200600_302600_NS6detail15normal_iteratorINSA_10device_ptrIsEEEEPS6_NSA_18transform_iteratorINSB_9not_fun_tINSA_8identityIsEEEESF_NSA_11use_defaultESM_EENS0_5tupleIJSF_S6_EEENSO_IJSG_SG_EEES6_PlJS6_EEE10hipError_tPvRmT3_T4_T5_T6_T7_T9_mT8_P12ihipStream_tbDpT10_ENKUlT_T0_E_clISt17integral_constantIbLb1EES1B_EEDaS16_S17_EUlS16_E_NS1_11comp_targetILNS1_3genE0ELNS1_11target_archE4294967295ELNS1_3gpuE0ELNS1_3repE0EEENS1_30default_config_static_selectorELNS0_4arch9wavefront6targetE0EEEvT1_.private_seg_size, 0
	.set _ZN7rocprim17ROCPRIM_400000_NS6detail17trampoline_kernelINS0_14default_configENS1_25partition_config_selectorILNS1_17partition_subalgoE5EsNS0_10empty_typeEbEEZZNS1_14partition_implILS5_5ELb0ES3_mN6thrust23THRUST_200600_302600_NS6detail15normal_iteratorINSA_10device_ptrIsEEEEPS6_NSA_18transform_iteratorINSB_9not_fun_tINSA_8identityIsEEEESF_NSA_11use_defaultESM_EENS0_5tupleIJSF_S6_EEENSO_IJSG_SG_EEES6_PlJS6_EEE10hipError_tPvRmT3_T4_T5_T6_T7_T9_mT8_P12ihipStream_tbDpT10_ENKUlT_T0_E_clISt17integral_constantIbLb1EES1B_EEDaS16_S17_EUlS16_E_NS1_11comp_targetILNS1_3genE0ELNS1_11target_archE4294967295ELNS1_3gpuE0ELNS1_3repE0EEENS1_30default_config_static_selectorELNS0_4arch9wavefront6targetE0EEEvT1_.uses_vcc, 0
	.set _ZN7rocprim17ROCPRIM_400000_NS6detail17trampoline_kernelINS0_14default_configENS1_25partition_config_selectorILNS1_17partition_subalgoE5EsNS0_10empty_typeEbEEZZNS1_14partition_implILS5_5ELb0ES3_mN6thrust23THRUST_200600_302600_NS6detail15normal_iteratorINSA_10device_ptrIsEEEEPS6_NSA_18transform_iteratorINSB_9not_fun_tINSA_8identityIsEEEESF_NSA_11use_defaultESM_EENS0_5tupleIJSF_S6_EEENSO_IJSG_SG_EEES6_PlJS6_EEE10hipError_tPvRmT3_T4_T5_T6_T7_T9_mT8_P12ihipStream_tbDpT10_ENKUlT_T0_E_clISt17integral_constantIbLb1EES1B_EEDaS16_S17_EUlS16_E_NS1_11comp_targetILNS1_3genE0ELNS1_11target_archE4294967295ELNS1_3gpuE0ELNS1_3repE0EEENS1_30default_config_static_selectorELNS0_4arch9wavefront6targetE0EEEvT1_.uses_flat_scratch, 0
	.set _ZN7rocprim17ROCPRIM_400000_NS6detail17trampoline_kernelINS0_14default_configENS1_25partition_config_selectorILNS1_17partition_subalgoE5EsNS0_10empty_typeEbEEZZNS1_14partition_implILS5_5ELb0ES3_mN6thrust23THRUST_200600_302600_NS6detail15normal_iteratorINSA_10device_ptrIsEEEEPS6_NSA_18transform_iteratorINSB_9not_fun_tINSA_8identityIsEEEESF_NSA_11use_defaultESM_EENS0_5tupleIJSF_S6_EEENSO_IJSG_SG_EEES6_PlJS6_EEE10hipError_tPvRmT3_T4_T5_T6_T7_T9_mT8_P12ihipStream_tbDpT10_ENKUlT_T0_E_clISt17integral_constantIbLb1EES1B_EEDaS16_S17_EUlS16_E_NS1_11comp_targetILNS1_3genE0ELNS1_11target_archE4294967295ELNS1_3gpuE0ELNS1_3repE0EEENS1_30default_config_static_selectorELNS0_4arch9wavefront6targetE0EEEvT1_.has_dyn_sized_stack, 0
	.set _ZN7rocprim17ROCPRIM_400000_NS6detail17trampoline_kernelINS0_14default_configENS1_25partition_config_selectorILNS1_17partition_subalgoE5EsNS0_10empty_typeEbEEZZNS1_14partition_implILS5_5ELb0ES3_mN6thrust23THRUST_200600_302600_NS6detail15normal_iteratorINSA_10device_ptrIsEEEEPS6_NSA_18transform_iteratorINSB_9not_fun_tINSA_8identityIsEEEESF_NSA_11use_defaultESM_EENS0_5tupleIJSF_S6_EEENSO_IJSG_SG_EEES6_PlJS6_EEE10hipError_tPvRmT3_T4_T5_T6_T7_T9_mT8_P12ihipStream_tbDpT10_ENKUlT_T0_E_clISt17integral_constantIbLb1EES1B_EEDaS16_S17_EUlS16_E_NS1_11comp_targetILNS1_3genE0ELNS1_11target_archE4294967295ELNS1_3gpuE0ELNS1_3repE0EEENS1_30default_config_static_selectorELNS0_4arch9wavefront6targetE0EEEvT1_.has_recursion, 0
	.set _ZN7rocprim17ROCPRIM_400000_NS6detail17trampoline_kernelINS0_14default_configENS1_25partition_config_selectorILNS1_17partition_subalgoE5EsNS0_10empty_typeEbEEZZNS1_14partition_implILS5_5ELb0ES3_mN6thrust23THRUST_200600_302600_NS6detail15normal_iteratorINSA_10device_ptrIsEEEEPS6_NSA_18transform_iteratorINSB_9not_fun_tINSA_8identityIsEEEESF_NSA_11use_defaultESM_EENS0_5tupleIJSF_S6_EEENSO_IJSG_SG_EEES6_PlJS6_EEE10hipError_tPvRmT3_T4_T5_T6_T7_T9_mT8_P12ihipStream_tbDpT10_ENKUlT_T0_E_clISt17integral_constantIbLb1EES1B_EEDaS16_S17_EUlS16_E_NS1_11comp_targetILNS1_3genE0ELNS1_11target_archE4294967295ELNS1_3gpuE0ELNS1_3repE0EEENS1_30default_config_static_selectorELNS0_4arch9wavefront6targetE0EEEvT1_.has_indirect_call, 0
	.section	.AMDGPU.csdata,"",@progbits
; Kernel info:
; codeLenInByte = 0
; TotalNumSgprs: 0
; NumVgprs: 0
; ScratchSize: 0
; MemoryBound: 0
; FloatMode: 240
; IeeeMode: 1
; LDSByteSize: 0 bytes/workgroup (compile time only)
; SGPRBlocks: 0
; VGPRBlocks: 0
; NumSGPRsForWavesPerEU: 1
; NumVGPRsForWavesPerEU: 1
; Occupancy: 16
; WaveLimiterHint : 0
; COMPUTE_PGM_RSRC2:SCRATCH_EN: 0
; COMPUTE_PGM_RSRC2:USER_SGPR: 2
; COMPUTE_PGM_RSRC2:TRAP_HANDLER: 0
; COMPUTE_PGM_RSRC2:TGID_X_EN: 1
; COMPUTE_PGM_RSRC2:TGID_Y_EN: 0
; COMPUTE_PGM_RSRC2:TGID_Z_EN: 0
; COMPUTE_PGM_RSRC2:TIDIG_COMP_CNT: 0
	.section	.text._ZN7rocprim17ROCPRIM_400000_NS6detail17trampoline_kernelINS0_14default_configENS1_25partition_config_selectorILNS1_17partition_subalgoE5EsNS0_10empty_typeEbEEZZNS1_14partition_implILS5_5ELb0ES3_mN6thrust23THRUST_200600_302600_NS6detail15normal_iteratorINSA_10device_ptrIsEEEEPS6_NSA_18transform_iteratorINSB_9not_fun_tINSA_8identityIsEEEESF_NSA_11use_defaultESM_EENS0_5tupleIJSF_S6_EEENSO_IJSG_SG_EEES6_PlJS6_EEE10hipError_tPvRmT3_T4_T5_T6_T7_T9_mT8_P12ihipStream_tbDpT10_ENKUlT_T0_E_clISt17integral_constantIbLb1EES1B_EEDaS16_S17_EUlS16_E_NS1_11comp_targetILNS1_3genE5ELNS1_11target_archE942ELNS1_3gpuE9ELNS1_3repE0EEENS1_30default_config_static_selectorELNS0_4arch9wavefront6targetE0EEEvT1_,"axG",@progbits,_ZN7rocprim17ROCPRIM_400000_NS6detail17trampoline_kernelINS0_14default_configENS1_25partition_config_selectorILNS1_17partition_subalgoE5EsNS0_10empty_typeEbEEZZNS1_14partition_implILS5_5ELb0ES3_mN6thrust23THRUST_200600_302600_NS6detail15normal_iteratorINSA_10device_ptrIsEEEEPS6_NSA_18transform_iteratorINSB_9not_fun_tINSA_8identityIsEEEESF_NSA_11use_defaultESM_EENS0_5tupleIJSF_S6_EEENSO_IJSG_SG_EEES6_PlJS6_EEE10hipError_tPvRmT3_T4_T5_T6_T7_T9_mT8_P12ihipStream_tbDpT10_ENKUlT_T0_E_clISt17integral_constantIbLb1EES1B_EEDaS16_S17_EUlS16_E_NS1_11comp_targetILNS1_3genE5ELNS1_11target_archE942ELNS1_3gpuE9ELNS1_3repE0EEENS1_30default_config_static_selectorELNS0_4arch9wavefront6targetE0EEEvT1_,comdat
	.protected	_ZN7rocprim17ROCPRIM_400000_NS6detail17trampoline_kernelINS0_14default_configENS1_25partition_config_selectorILNS1_17partition_subalgoE5EsNS0_10empty_typeEbEEZZNS1_14partition_implILS5_5ELb0ES3_mN6thrust23THRUST_200600_302600_NS6detail15normal_iteratorINSA_10device_ptrIsEEEEPS6_NSA_18transform_iteratorINSB_9not_fun_tINSA_8identityIsEEEESF_NSA_11use_defaultESM_EENS0_5tupleIJSF_S6_EEENSO_IJSG_SG_EEES6_PlJS6_EEE10hipError_tPvRmT3_T4_T5_T6_T7_T9_mT8_P12ihipStream_tbDpT10_ENKUlT_T0_E_clISt17integral_constantIbLb1EES1B_EEDaS16_S17_EUlS16_E_NS1_11comp_targetILNS1_3genE5ELNS1_11target_archE942ELNS1_3gpuE9ELNS1_3repE0EEENS1_30default_config_static_selectorELNS0_4arch9wavefront6targetE0EEEvT1_ ; -- Begin function _ZN7rocprim17ROCPRIM_400000_NS6detail17trampoline_kernelINS0_14default_configENS1_25partition_config_selectorILNS1_17partition_subalgoE5EsNS0_10empty_typeEbEEZZNS1_14partition_implILS5_5ELb0ES3_mN6thrust23THRUST_200600_302600_NS6detail15normal_iteratorINSA_10device_ptrIsEEEEPS6_NSA_18transform_iteratorINSB_9not_fun_tINSA_8identityIsEEEESF_NSA_11use_defaultESM_EENS0_5tupleIJSF_S6_EEENSO_IJSG_SG_EEES6_PlJS6_EEE10hipError_tPvRmT3_T4_T5_T6_T7_T9_mT8_P12ihipStream_tbDpT10_ENKUlT_T0_E_clISt17integral_constantIbLb1EES1B_EEDaS16_S17_EUlS16_E_NS1_11comp_targetILNS1_3genE5ELNS1_11target_archE942ELNS1_3gpuE9ELNS1_3repE0EEENS1_30default_config_static_selectorELNS0_4arch9wavefront6targetE0EEEvT1_
	.globl	_ZN7rocprim17ROCPRIM_400000_NS6detail17trampoline_kernelINS0_14default_configENS1_25partition_config_selectorILNS1_17partition_subalgoE5EsNS0_10empty_typeEbEEZZNS1_14partition_implILS5_5ELb0ES3_mN6thrust23THRUST_200600_302600_NS6detail15normal_iteratorINSA_10device_ptrIsEEEEPS6_NSA_18transform_iteratorINSB_9not_fun_tINSA_8identityIsEEEESF_NSA_11use_defaultESM_EENS0_5tupleIJSF_S6_EEENSO_IJSG_SG_EEES6_PlJS6_EEE10hipError_tPvRmT3_T4_T5_T6_T7_T9_mT8_P12ihipStream_tbDpT10_ENKUlT_T0_E_clISt17integral_constantIbLb1EES1B_EEDaS16_S17_EUlS16_E_NS1_11comp_targetILNS1_3genE5ELNS1_11target_archE942ELNS1_3gpuE9ELNS1_3repE0EEENS1_30default_config_static_selectorELNS0_4arch9wavefront6targetE0EEEvT1_
	.p2align	8
	.type	_ZN7rocprim17ROCPRIM_400000_NS6detail17trampoline_kernelINS0_14default_configENS1_25partition_config_selectorILNS1_17partition_subalgoE5EsNS0_10empty_typeEbEEZZNS1_14partition_implILS5_5ELb0ES3_mN6thrust23THRUST_200600_302600_NS6detail15normal_iteratorINSA_10device_ptrIsEEEEPS6_NSA_18transform_iteratorINSB_9not_fun_tINSA_8identityIsEEEESF_NSA_11use_defaultESM_EENS0_5tupleIJSF_S6_EEENSO_IJSG_SG_EEES6_PlJS6_EEE10hipError_tPvRmT3_T4_T5_T6_T7_T9_mT8_P12ihipStream_tbDpT10_ENKUlT_T0_E_clISt17integral_constantIbLb1EES1B_EEDaS16_S17_EUlS16_E_NS1_11comp_targetILNS1_3genE5ELNS1_11target_archE942ELNS1_3gpuE9ELNS1_3repE0EEENS1_30default_config_static_selectorELNS0_4arch9wavefront6targetE0EEEvT1_,@function
_ZN7rocprim17ROCPRIM_400000_NS6detail17trampoline_kernelINS0_14default_configENS1_25partition_config_selectorILNS1_17partition_subalgoE5EsNS0_10empty_typeEbEEZZNS1_14partition_implILS5_5ELb0ES3_mN6thrust23THRUST_200600_302600_NS6detail15normal_iteratorINSA_10device_ptrIsEEEEPS6_NSA_18transform_iteratorINSB_9not_fun_tINSA_8identityIsEEEESF_NSA_11use_defaultESM_EENS0_5tupleIJSF_S6_EEENSO_IJSG_SG_EEES6_PlJS6_EEE10hipError_tPvRmT3_T4_T5_T6_T7_T9_mT8_P12ihipStream_tbDpT10_ENKUlT_T0_E_clISt17integral_constantIbLb1EES1B_EEDaS16_S17_EUlS16_E_NS1_11comp_targetILNS1_3genE5ELNS1_11target_archE942ELNS1_3gpuE9ELNS1_3repE0EEENS1_30default_config_static_selectorELNS0_4arch9wavefront6targetE0EEEvT1_: ; @_ZN7rocprim17ROCPRIM_400000_NS6detail17trampoline_kernelINS0_14default_configENS1_25partition_config_selectorILNS1_17partition_subalgoE5EsNS0_10empty_typeEbEEZZNS1_14partition_implILS5_5ELb0ES3_mN6thrust23THRUST_200600_302600_NS6detail15normal_iteratorINSA_10device_ptrIsEEEEPS6_NSA_18transform_iteratorINSB_9not_fun_tINSA_8identityIsEEEESF_NSA_11use_defaultESM_EENS0_5tupleIJSF_S6_EEENSO_IJSG_SG_EEES6_PlJS6_EEE10hipError_tPvRmT3_T4_T5_T6_T7_T9_mT8_P12ihipStream_tbDpT10_ENKUlT_T0_E_clISt17integral_constantIbLb1EES1B_EEDaS16_S17_EUlS16_E_NS1_11comp_targetILNS1_3genE5ELNS1_11target_archE942ELNS1_3gpuE9ELNS1_3repE0EEENS1_30default_config_static_selectorELNS0_4arch9wavefront6targetE0EEEvT1_
; %bb.0:
	.section	.rodata,"a",@progbits
	.p2align	6, 0x0
	.amdhsa_kernel _ZN7rocprim17ROCPRIM_400000_NS6detail17trampoline_kernelINS0_14default_configENS1_25partition_config_selectorILNS1_17partition_subalgoE5EsNS0_10empty_typeEbEEZZNS1_14partition_implILS5_5ELb0ES3_mN6thrust23THRUST_200600_302600_NS6detail15normal_iteratorINSA_10device_ptrIsEEEEPS6_NSA_18transform_iteratorINSB_9not_fun_tINSA_8identityIsEEEESF_NSA_11use_defaultESM_EENS0_5tupleIJSF_S6_EEENSO_IJSG_SG_EEES6_PlJS6_EEE10hipError_tPvRmT3_T4_T5_T6_T7_T9_mT8_P12ihipStream_tbDpT10_ENKUlT_T0_E_clISt17integral_constantIbLb1EES1B_EEDaS16_S17_EUlS16_E_NS1_11comp_targetILNS1_3genE5ELNS1_11target_archE942ELNS1_3gpuE9ELNS1_3repE0EEENS1_30default_config_static_selectorELNS0_4arch9wavefront6targetE0EEEvT1_
		.amdhsa_group_segment_fixed_size 0
		.amdhsa_private_segment_fixed_size 0
		.amdhsa_kernarg_size 136
		.amdhsa_user_sgpr_count 2
		.amdhsa_user_sgpr_dispatch_ptr 0
		.amdhsa_user_sgpr_queue_ptr 0
		.amdhsa_user_sgpr_kernarg_segment_ptr 1
		.amdhsa_user_sgpr_dispatch_id 0
		.amdhsa_user_sgpr_private_segment_size 0
		.amdhsa_wavefront_size32 1
		.amdhsa_uses_dynamic_stack 0
		.amdhsa_enable_private_segment 0
		.amdhsa_system_sgpr_workgroup_id_x 1
		.amdhsa_system_sgpr_workgroup_id_y 0
		.amdhsa_system_sgpr_workgroup_id_z 0
		.amdhsa_system_sgpr_workgroup_info 0
		.amdhsa_system_vgpr_workitem_id 0
		.amdhsa_next_free_vgpr 1
		.amdhsa_next_free_sgpr 1
		.amdhsa_reserve_vcc 0
		.amdhsa_float_round_mode_32 0
		.amdhsa_float_round_mode_16_64 0
		.amdhsa_float_denorm_mode_32 3
		.amdhsa_float_denorm_mode_16_64 3
		.amdhsa_fp16_overflow 0
		.amdhsa_workgroup_processor_mode 1
		.amdhsa_memory_ordered 1
		.amdhsa_forward_progress 1
		.amdhsa_inst_pref_size 0
		.amdhsa_round_robin_scheduling 0
		.amdhsa_exception_fp_ieee_invalid_op 0
		.amdhsa_exception_fp_denorm_src 0
		.amdhsa_exception_fp_ieee_div_zero 0
		.amdhsa_exception_fp_ieee_overflow 0
		.amdhsa_exception_fp_ieee_underflow 0
		.amdhsa_exception_fp_ieee_inexact 0
		.amdhsa_exception_int_div_zero 0
	.end_amdhsa_kernel
	.section	.text._ZN7rocprim17ROCPRIM_400000_NS6detail17trampoline_kernelINS0_14default_configENS1_25partition_config_selectorILNS1_17partition_subalgoE5EsNS0_10empty_typeEbEEZZNS1_14partition_implILS5_5ELb0ES3_mN6thrust23THRUST_200600_302600_NS6detail15normal_iteratorINSA_10device_ptrIsEEEEPS6_NSA_18transform_iteratorINSB_9not_fun_tINSA_8identityIsEEEESF_NSA_11use_defaultESM_EENS0_5tupleIJSF_S6_EEENSO_IJSG_SG_EEES6_PlJS6_EEE10hipError_tPvRmT3_T4_T5_T6_T7_T9_mT8_P12ihipStream_tbDpT10_ENKUlT_T0_E_clISt17integral_constantIbLb1EES1B_EEDaS16_S17_EUlS16_E_NS1_11comp_targetILNS1_3genE5ELNS1_11target_archE942ELNS1_3gpuE9ELNS1_3repE0EEENS1_30default_config_static_selectorELNS0_4arch9wavefront6targetE0EEEvT1_,"axG",@progbits,_ZN7rocprim17ROCPRIM_400000_NS6detail17trampoline_kernelINS0_14default_configENS1_25partition_config_selectorILNS1_17partition_subalgoE5EsNS0_10empty_typeEbEEZZNS1_14partition_implILS5_5ELb0ES3_mN6thrust23THRUST_200600_302600_NS6detail15normal_iteratorINSA_10device_ptrIsEEEEPS6_NSA_18transform_iteratorINSB_9not_fun_tINSA_8identityIsEEEESF_NSA_11use_defaultESM_EENS0_5tupleIJSF_S6_EEENSO_IJSG_SG_EEES6_PlJS6_EEE10hipError_tPvRmT3_T4_T5_T6_T7_T9_mT8_P12ihipStream_tbDpT10_ENKUlT_T0_E_clISt17integral_constantIbLb1EES1B_EEDaS16_S17_EUlS16_E_NS1_11comp_targetILNS1_3genE5ELNS1_11target_archE942ELNS1_3gpuE9ELNS1_3repE0EEENS1_30default_config_static_selectorELNS0_4arch9wavefront6targetE0EEEvT1_,comdat
.Lfunc_end1022:
	.size	_ZN7rocprim17ROCPRIM_400000_NS6detail17trampoline_kernelINS0_14default_configENS1_25partition_config_selectorILNS1_17partition_subalgoE5EsNS0_10empty_typeEbEEZZNS1_14partition_implILS5_5ELb0ES3_mN6thrust23THRUST_200600_302600_NS6detail15normal_iteratorINSA_10device_ptrIsEEEEPS6_NSA_18transform_iteratorINSB_9not_fun_tINSA_8identityIsEEEESF_NSA_11use_defaultESM_EENS0_5tupleIJSF_S6_EEENSO_IJSG_SG_EEES6_PlJS6_EEE10hipError_tPvRmT3_T4_T5_T6_T7_T9_mT8_P12ihipStream_tbDpT10_ENKUlT_T0_E_clISt17integral_constantIbLb1EES1B_EEDaS16_S17_EUlS16_E_NS1_11comp_targetILNS1_3genE5ELNS1_11target_archE942ELNS1_3gpuE9ELNS1_3repE0EEENS1_30default_config_static_selectorELNS0_4arch9wavefront6targetE0EEEvT1_, .Lfunc_end1022-_ZN7rocprim17ROCPRIM_400000_NS6detail17trampoline_kernelINS0_14default_configENS1_25partition_config_selectorILNS1_17partition_subalgoE5EsNS0_10empty_typeEbEEZZNS1_14partition_implILS5_5ELb0ES3_mN6thrust23THRUST_200600_302600_NS6detail15normal_iteratorINSA_10device_ptrIsEEEEPS6_NSA_18transform_iteratorINSB_9not_fun_tINSA_8identityIsEEEESF_NSA_11use_defaultESM_EENS0_5tupleIJSF_S6_EEENSO_IJSG_SG_EEES6_PlJS6_EEE10hipError_tPvRmT3_T4_T5_T6_T7_T9_mT8_P12ihipStream_tbDpT10_ENKUlT_T0_E_clISt17integral_constantIbLb1EES1B_EEDaS16_S17_EUlS16_E_NS1_11comp_targetILNS1_3genE5ELNS1_11target_archE942ELNS1_3gpuE9ELNS1_3repE0EEENS1_30default_config_static_selectorELNS0_4arch9wavefront6targetE0EEEvT1_
                                        ; -- End function
	.set _ZN7rocprim17ROCPRIM_400000_NS6detail17trampoline_kernelINS0_14default_configENS1_25partition_config_selectorILNS1_17partition_subalgoE5EsNS0_10empty_typeEbEEZZNS1_14partition_implILS5_5ELb0ES3_mN6thrust23THRUST_200600_302600_NS6detail15normal_iteratorINSA_10device_ptrIsEEEEPS6_NSA_18transform_iteratorINSB_9not_fun_tINSA_8identityIsEEEESF_NSA_11use_defaultESM_EENS0_5tupleIJSF_S6_EEENSO_IJSG_SG_EEES6_PlJS6_EEE10hipError_tPvRmT3_T4_T5_T6_T7_T9_mT8_P12ihipStream_tbDpT10_ENKUlT_T0_E_clISt17integral_constantIbLb1EES1B_EEDaS16_S17_EUlS16_E_NS1_11comp_targetILNS1_3genE5ELNS1_11target_archE942ELNS1_3gpuE9ELNS1_3repE0EEENS1_30default_config_static_selectorELNS0_4arch9wavefront6targetE0EEEvT1_.num_vgpr, 0
	.set _ZN7rocprim17ROCPRIM_400000_NS6detail17trampoline_kernelINS0_14default_configENS1_25partition_config_selectorILNS1_17partition_subalgoE5EsNS0_10empty_typeEbEEZZNS1_14partition_implILS5_5ELb0ES3_mN6thrust23THRUST_200600_302600_NS6detail15normal_iteratorINSA_10device_ptrIsEEEEPS6_NSA_18transform_iteratorINSB_9not_fun_tINSA_8identityIsEEEESF_NSA_11use_defaultESM_EENS0_5tupleIJSF_S6_EEENSO_IJSG_SG_EEES6_PlJS6_EEE10hipError_tPvRmT3_T4_T5_T6_T7_T9_mT8_P12ihipStream_tbDpT10_ENKUlT_T0_E_clISt17integral_constantIbLb1EES1B_EEDaS16_S17_EUlS16_E_NS1_11comp_targetILNS1_3genE5ELNS1_11target_archE942ELNS1_3gpuE9ELNS1_3repE0EEENS1_30default_config_static_selectorELNS0_4arch9wavefront6targetE0EEEvT1_.num_agpr, 0
	.set _ZN7rocprim17ROCPRIM_400000_NS6detail17trampoline_kernelINS0_14default_configENS1_25partition_config_selectorILNS1_17partition_subalgoE5EsNS0_10empty_typeEbEEZZNS1_14partition_implILS5_5ELb0ES3_mN6thrust23THRUST_200600_302600_NS6detail15normal_iteratorINSA_10device_ptrIsEEEEPS6_NSA_18transform_iteratorINSB_9not_fun_tINSA_8identityIsEEEESF_NSA_11use_defaultESM_EENS0_5tupleIJSF_S6_EEENSO_IJSG_SG_EEES6_PlJS6_EEE10hipError_tPvRmT3_T4_T5_T6_T7_T9_mT8_P12ihipStream_tbDpT10_ENKUlT_T0_E_clISt17integral_constantIbLb1EES1B_EEDaS16_S17_EUlS16_E_NS1_11comp_targetILNS1_3genE5ELNS1_11target_archE942ELNS1_3gpuE9ELNS1_3repE0EEENS1_30default_config_static_selectorELNS0_4arch9wavefront6targetE0EEEvT1_.numbered_sgpr, 0
	.set _ZN7rocprim17ROCPRIM_400000_NS6detail17trampoline_kernelINS0_14default_configENS1_25partition_config_selectorILNS1_17partition_subalgoE5EsNS0_10empty_typeEbEEZZNS1_14partition_implILS5_5ELb0ES3_mN6thrust23THRUST_200600_302600_NS6detail15normal_iteratorINSA_10device_ptrIsEEEEPS6_NSA_18transform_iteratorINSB_9not_fun_tINSA_8identityIsEEEESF_NSA_11use_defaultESM_EENS0_5tupleIJSF_S6_EEENSO_IJSG_SG_EEES6_PlJS6_EEE10hipError_tPvRmT3_T4_T5_T6_T7_T9_mT8_P12ihipStream_tbDpT10_ENKUlT_T0_E_clISt17integral_constantIbLb1EES1B_EEDaS16_S17_EUlS16_E_NS1_11comp_targetILNS1_3genE5ELNS1_11target_archE942ELNS1_3gpuE9ELNS1_3repE0EEENS1_30default_config_static_selectorELNS0_4arch9wavefront6targetE0EEEvT1_.num_named_barrier, 0
	.set _ZN7rocprim17ROCPRIM_400000_NS6detail17trampoline_kernelINS0_14default_configENS1_25partition_config_selectorILNS1_17partition_subalgoE5EsNS0_10empty_typeEbEEZZNS1_14partition_implILS5_5ELb0ES3_mN6thrust23THRUST_200600_302600_NS6detail15normal_iteratorINSA_10device_ptrIsEEEEPS6_NSA_18transform_iteratorINSB_9not_fun_tINSA_8identityIsEEEESF_NSA_11use_defaultESM_EENS0_5tupleIJSF_S6_EEENSO_IJSG_SG_EEES6_PlJS6_EEE10hipError_tPvRmT3_T4_T5_T6_T7_T9_mT8_P12ihipStream_tbDpT10_ENKUlT_T0_E_clISt17integral_constantIbLb1EES1B_EEDaS16_S17_EUlS16_E_NS1_11comp_targetILNS1_3genE5ELNS1_11target_archE942ELNS1_3gpuE9ELNS1_3repE0EEENS1_30default_config_static_selectorELNS0_4arch9wavefront6targetE0EEEvT1_.private_seg_size, 0
	.set _ZN7rocprim17ROCPRIM_400000_NS6detail17trampoline_kernelINS0_14default_configENS1_25partition_config_selectorILNS1_17partition_subalgoE5EsNS0_10empty_typeEbEEZZNS1_14partition_implILS5_5ELb0ES3_mN6thrust23THRUST_200600_302600_NS6detail15normal_iteratorINSA_10device_ptrIsEEEEPS6_NSA_18transform_iteratorINSB_9not_fun_tINSA_8identityIsEEEESF_NSA_11use_defaultESM_EENS0_5tupleIJSF_S6_EEENSO_IJSG_SG_EEES6_PlJS6_EEE10hipError_tPvRmT3_T4_T5_T6_T7_T9_mT8_P12ihipStream_tbDpT10_ENKUlT_T0_E_clISt17integral_constantIbLb1EES1B_EEDaS16_S17_EUlS16_E_NS1_11comp_targetILNS1_3genE5ELNS1_11target_archE942ELNS1_3gpuE9ELNS1_3repE0EEENS1_30default_config_static_selectorELNS0_4arch9wavefront6targetE0EEEvT1_.uses_vcc, 0
	.set _ZN7rocprim17ROCPRIM_400000_NS6detail17trampoline_kernelINS0_14default_configENS1_25partition_config_selectorILNS1_17partition_subalgoE5EsNS0_10empty_typeEbEEZZNS1_14partition_implILS5_5ELb0ES3_mN6thrust23THRUST_200600_302600_NS6detail15normal_iteratorINSA_10device_ptrIsEEEEPS6_NSA_18transform_iteratorINSB_9not_fun_tINSA_8identityIsEEEESF_NSA_11use_defaultESM_EENS0_5tupleIJSF_S6_EEENSO_IJSG_SG_EEES6_PlJS6_EEE10hipError_tPvRmT3_T4_T5_T6_T7_T9_mT8_P12ihipStream_tbDpT10_ENKUlT_T0_E_clISt17integral_constantIbLb1EES1B_EEDaS16_S17_EUlS16_E_NS1_11comp_targetILNS1_3genE5ELNS1_11target_archE942ELNS1_3gpuE9ELNS1_3repE0EEENS1_30default_config_static_selectorELNS0_4arch9wavefront6targetE0EEEvT1_.uses_flat_scratch, 0
	.set _ZN7rocprim17ROCPRIM_400000_NS6detail17trampoline_kernelINS0_14default_configENS1_25partition_config_selectorILNS1_17partition_subalgoE5EsNS0_10empty_typeEbEEZZNS1_14partition_implILS5_5ELb0ES3_mN6thrust23THRUST_200600_302600_NS6detail15normal_iteratorINSA_10device_ptrIsEEEEPS6_NSA_18transform_iteratorINSB_9not_fun_tINSA_8identityIsEEEESF_NSA_11use_defaultESM_EENS0_5tupleIJSF_S6_EEENSO_IJSG_SG_EEES6_PlJS6_EEE10hipError_tPvRmT3_T4_T5_T6_T7_T9_mT8_P12ihipStream_tbDpT10_ENKUlT_T0_E_clISt17integral_constantIbLb1EES1B_EEDaS16_S17_EUlS16_E_NS1_11comp_targetILNS1_3genE5ELNS1_11target_archE942ELNS1_3gpuE9ELNS1_3repE0EEENS1_30default_config_static_selectorELNS0_4arch9wavefront6targetE0EEEvT1_.has_dyn_sized_stack, 0
	.set _ZN7rocprim17ROCPRIM_400000_NS6detail17trampoline_kernelINS0_14default_configENS1_25partition_config_selectorILNS1_17partition_subalgoE5EsNS0_10empty_typeEbEEZZNS1_14partition_implILS5_5ELb0ES3_mN6thrust23THRUST_200600_302600_NS6detail15normal_iteratorINSA_10device_ptrIsEEEEPS6_NSA_18transform_iteratorINSB_9not_fun_tINSA_8identityIsEEEESF_NSA_11use_defaultESM_EENS0_5tupleIJSF_S6_EEENSO_IJSG_SG_EEES6_PlJS6_EEE10hipError_tPvRmT3_T4_T5_T6_T7_T9_mT8_P12ihipStream_tbDpT10_ENKUlT_T0_E_clISt17integral_constantIbLb1EES1B_EEDaS16_S17_EUlS16_E_NS1_11comp_targetILNS1_3genE5ELNS1_11target_archE942ELNS1_3gpuE9ELNS1_3repE0EEENS1_30default_config_static_selectorELNS0_4arch9wavefront6targetE0EEEvT1_.has_recursion, 0
	.set _ZN7rocprim17ROCPRIM_400000_NS6detail17trampoline_kernelINS0_14default_configENS1_25partition_config_selectorILNS1_17partition_subalgoE5EsNS0_10empty_typeEbEEZZNS1_14partition_implILS5_5ELb0ES3_mN6thrust23THRUST_200600_302600_NS6detail15normal_iteratorINSA_10device_ptrIsEEEEPS6_NSA_18transform_iteratorINSB_9not_fun_tINSA_8identityIsEEEESF_NSA_11use_defaultESM_EENS0_5tupleIJSF_S6_EEENSO_IJSG_SG_EEES6_PlJS6_EEE10hipError_tPvRmT3_T4_T5_T6_T7_T9_mT8_P12ihipStream_tbDpT10_ENKUlT_T0_E_clISt17integral_constantIbLb1EES1B_EEDaS16_S17_EUlS16_E_NS1_11comp_targetILNS1_3genE5ELNS1_11target_archE942ELNS1_3gpuE9ELNS1_3repE0EEENS1_30default_config_static_selectorELNS0_4arch9wavefront6targetE0EEEvT1_.has_indirect_call, 0
	.section	.AMDGPU.csdata,"",@progbits
; Kernel info:
; codeLenInByte = 0
; TotalNumSgprs: 0
; NumVgprs: 0
; ScratchSize: 0
; MemoryBound: 0
; FloatMode: 240
; IeeeMode: 1
; LDSByteSize: 0 bytes/workgroup (compile time only)
; SGPRBlocks: 0
; VGPRBlocks: 0
; NumSGPRsForWavesPerEU: 1
; NumVGPRsForWavesPerEU: 1
; Occupancy: 16
; WaveLimiterHint : 0
; COMPUTE_PGM_RSRC2:SCRATCH_EN: 0
; COMPUTE_PGM_RSRC2:USER_SGPR: 2
; COMPUTE_PGM_RSRC2:TRAP_HANDLER: 0
; COMPUTE_PGM_RSRC2:TGID_X_EN: 1
; COMPUTE_PGM_RSRC2:TGID_Y_EN: 0
; COMPUTE_PGM_RSRC2:TGID_Z_EN: 0
; COMPUTE_PGM_RSRC2:TIDIG_COMP_CNT: 0
	.section	.text._ZN7rocprim17ROCPRIM_400000_NS6detail17trampoline_kernelINS0_14default_configENS1_25partition_config_selectorILNS1_17partition_subalgoE5EsNS0_10empty_typeEbEEZZNS1_14partition_implILS5_5ELb0ES3_mN6thrust23THRUST_200600_302600_NS6detail15normal_iteratorINSA_10device_ptrIsEEEEPS6_NSA_18transform_iteratorINSB_9not_fun_tINSA_8identityIsEEEESF_NSA_11use_defaultESM_EENS0_5tupleIJSF_S6_EEENSO_IJSG_SG_EEES6_PlJS6_EEE10hipError_tPvRmT3_T4_T5_T6_T7_T9_mT8_P12ihipStream_tbDpT10_ENKUlT_T0_E_clISt17integral_constantIbLb1EES1B_EEDaS16_S17_EUlS16_E_NS1_11comp_targetILNS1_3genE4ELNS1_11target_archE910ELNS1_3gpuE8ELNS1_3repE0EEENS1_30default_config_static_selectorELNS0_4arch9wavefront6targetE0EEEvT1_,"axG",@progbits,_ZN7rocprim17ROCPRIM_400000_NS6detail17trampoline_kernelINS0_14default_configENS1_25partition_config_selectorILNS1_17partition_subalgoE5EsNS0_10empty_typeEbEEZZNS1_14partition_implILS5_5ELb0ES3_mN6thrust23THRUST_200600_302600_NS6detail15normal_iteratorINSA_10device_ptrIsEEEEPS6_NSA_18transform_iteratorINSB_9not_fun_tINSA_8identityIsEEEESF_NSA_11use_defaultESM_EENS0_5tupleIJSF_S6_EEENSO_IJSG_SG_EEES6_PlJS6_EEE10hipError_tPvRmT3_T4_T5_T6_T7_T9_mT8_P12ihipStream_tbDpT10_ENKUlT_T0_E_clISt17integral_constantIbLb1EES1B_EEDaS16_S17_EUlS16_E_NS1_11comp_targetILNS1_3genE4ELNS1_11target_archE910ELNS1_3gpuE8ELNS1_3repE0EEENS1_30default_config_static_selectorELNS0_4arch9wavefront6targetE0EEEvT1_,comdat
	.protected	_ZN7rocprim17ROCPRIM_400000_NS6detail17trampoline_kernelINS0_14default_configENS1_25partition_config_selectorILNS1_17partition_subalgoE5EsNS0_10empty_typeEbEEZZNS1_14partition_implILS5_5ELb0ES3_mN6thrust23THRUST_200600_302600_NS6detail15normal_iteratorINSA_10device_ptrIsEEEEPS6_NSA_18transform_iteratorINSB_9not_fun_tINSA_8identityIsEEEESF_NSA_11use_defaultESM_EENS0_5tupleIJSF_S6_EEENSO_IJSG_SG_EEES6_PlJS6_EEE10hipError_tPvRmT3_T4_T5_T6_T7_T9_mT8_P12ihipStream_tbDpT10_ENKUlT_T0_E_clISt17integral_constantIbLb1EES1B_EEDaS16_S17_EUlS16_E_NS1_11comp_targetILNS1_3genE4ELNS1_11target_archE910ELNS1_3gpuE8ELNS1_3repE0EEENS1_30default_config_static_selectorELNS0_4arch9wavefront6targetE0EEEvT1_ ; -- Begin function _ZN7rocprim17ROCPRIM_400000_NS6detail17trampoline_kernelINS0_14default_configENS1_25partition_config_selectorILNS1_17partition_subalgoE5EsNS0_10empty_typeEbEEZZNS1_14partition_implILS5_5ELb0ES3_mN6thrust23THRUST_200600_302600_NS6detail15normal_iteratorINSA_10device_ptrIsEEEEPS6_NSA_18transform_iteratorINSB_9not_fun_tINSA_8identityIsEEEESF_NSA_11use_defaultESM_EENS0_5tupleIJSF_S6_EEENSO_IJSG_SG_EEES6_PlJS6_EEE10hipError_tPvRmT3_T4_T5_T6_T7_T9_mT8_P12ihipStream_tbDpT10_ENKUlT_T0_E_clISt17integral_constantIbLb1EES1B_EEDaS16_S17_EUlS16_E_NS1_11comp_targetILNS1_3genE4ELNS1_11target_archE910ELNS1_3gpuE8ELNS1_3repE0EEENS1_30default_config_static_selectorELNS0_4arch9wavefront6targetE0EEEvT1_
	.globl	_ZN7rocprim17ROCPRIM_400000_NS6detail17trampoline_kernelINS0_14default_configENS1_25partition_config_selectorILNS1_17partition_subalgoE5EsNS0_10empty_typeEbEEZZNS1_14partition_implILS5_5ELb0ES3_mN6thrust23THRUST_200600_302600_NS6detail15normal_iteratorINSA_10device_ptrIsEEEEPS6_NSA_18transform_iteratorINSB_9not_fun_tINSA_8identityIsEEEESF_NSA_11use_defaultESM_EENS0_5tupleIJSF_S6_EEENSO_IJSG_SG_EEES6_PlJS6_EEE10hipError_tPvRmT3_T4_T5_T6_T7_T9_mT8_P12ihipStream_tbDpT10_ENKUlT_T0_E_clISt17integral_constantIbLb1EES1B_EEDaS16_S17_EUlS16_E_NS1_11comp_targetILNS1_3genE4ELNS1_11target_archE910ELNS1_3gpuE8ELNS1_3repE0EEENS1_30default_config_static_selectorELNS0_4arch9wavefront6targetE0EEEvT1_
	.p2align	8
	.type	_ZN7rocprim17ROCPRIM_400000_NS6detail17trampoline_kernelINS0_14default_configENS1_25partition_config_selectorILNS1_17partition_subalgoE5EsNS0_10empty_typeEbEEZZNS1_14partition_implILS5_5ELb0ES3_mN6thrust23THRUST_200600_302600_NS6detail15normal_iteratorINSA_10device_ptrIsEEEEPS6_NSA_18transform_iteratorINSB_9not_fun_tINSA_8identityIsEEEESF_NSA_11use_defaultESM_EENS0_5tupleIJSF_S6_EEENSO_IJSG_SG_EEES6_PlJS6_EEE10hipError_tPvRmT3_T4_T5_T6_T7_T9_mT8_P12ihipStream_tbDpT10_ENKUlT_T0_E_clISt17integral_constantIbLb1EES1B_EEDaS16_S17_EUlS16_E_NS1_11comp_targetILNS1_3genE4ELNS1_11target_archE910ELNS1_3gpuE8ELNS1_3repE0EEENS1_30default_config_static_selectorELNS0_4arch9wavefront6targetE0EEEvT1_,@function
_ZN7rocprim17ROCPRIM_400000_NS6detail17trampoline_kernelINS0_14default_configENS1_25partition_config_selectorILNS1_17partition_subalgoE5EsNS0_10empty_typeEbEEZZNS1_14partition_implILS5_5ELb0ES3_mN6thrust23THRUST_200600_302600_NS6detail15normal_iteratorINSA_10device_ptrIsEEEEPS6_NSA_18transform_iteratorINSB_9not_fun_tINSA_8identityIsEEEESF_NSA_11use_defaultESM_EENS0_5tupleIJSF_S6_EEENSO_IJSG_SG_EEES6_PlJS6_EEE10hipError_tPvRmT3_T4_T5_T6_T7_T9_mT8_P12ihipStream_tbDpT10_ENKUlT_T0_E_clISt17integral_constantIbLb1EES1B_EEDaS16_S17_EUlS16_E_NS1_11comp_targetILNS1_3genE4ELNS1_11target_archE910ELNS1_3gpuE8ELNS1_3repE0EEENS1_30default_config_static_selectorELNS0_4arch9wavefront6targetE0EEEvT1_: ; @_ZN7rocprim17ROCPRIM_400000_NS6detail17trampoline_kernelINS0_14default_configENS1_25partition_config_selectorILNS1_17partition_subalgoE5EsNS0_10empty_typeEbEEZZNS1_14partition_implILS5_5ELb0ES3_mN6thrust23THRUST_200600_302600_NS6detail15normal_iteratorINSA_10device_ptrIsEEEEPS6_NSA_18transform_iteratorINSB_9not_fun_tINSA_8identityIsEEEESF_NSA_11use_defaultESM_EENS0_5tupleIJSF_S6_EEENSO_IJSG_SG_EEES6_PlJS6_EEE10hipError_tPvRmT3_T4_T5_T6_T7_T9_mT8_P12ihipStream_tbDpT10_ENKUlT_T0_E_clISt17integral_constantIbLb1EES1B_EEDaS16_S17_EUlS16_E_NS1_11comp_targetILNS1_3genE4ELNS1_11target_archE910ELNS1_3gpuE8ELNS1_3repE0EEENS1_30default_config_static_selectorELNS0_4arch9wavefront6targetE0EEEvT1_
; %bb.0:
	.section	.rodata,"a",@progbits
	.p2align	6, 0x0
	.amdhsa_kernel _ZN7rocprim17ROCPRIM_400000_NS6detail17trampoline_kernelINS0_14default_configENS1_25partition_config_selectorILNS1_17partition_subalgoE5EsNS0_10empty_typeEbEEZZNS1_14partition_implILS5_5ELb0ES3_mN6thrust23THRUST_200600_302600_NS6detail15normal_iteratorINSA_10device_ptrIsEEEEPS6_NSA_18transform_iteratorINSB_9not_fun_tINSA_8identityIsEEEESF_NSA_11use_defaultESM_EENS0_5tupleIJSF_S6_EEENSO_IJSG_SG_EEES6_PlJS6_EEE10hipError_tPvRmT3_T4_T5_T6_T7_T9_mT8_P12ihipStream_tbDpT10_ENKUlT_T0_E_clISt17integral_constantIbLb1EES1B_EEDaS16_S17_EUlS16_E_NS1_11comp_targetILNS1_3genE4ELNS1_11target_archE910ELNS1_3gpuE8ELNS1_3repE0EEENS1_30default_config_static_selectorELNS0_4arch9wavefront6targetE0EEEvT1_
		.amdhsa_group_segment_fixed_size 0
		.amdhsa_private_segment_fixed_size 0
		.amdhsa_kernarg_size 136
		.amdhsa_user_sgpr_count 2
		.amdhsa_user_sgpr_dispatch_ptr 0
		.amdhsa_user_sgpr_queue_ptr 0
		.amdhsa_user_sgpr_kernarg_segment_ptr 1
		.amdhsa_user_sgpr_dispatch_id 0
		.amdhsa_user_sgpr_private_segment_size 0
		.amdhsa_wavefront_size32 1
		.amdhsa_uses_dynamic_stack 0
		.amdhsa_enable_private_segment 0
		.amdhsa_system_sgpr_workgroup_id_x 1
		.amdhsa_system_sgpr_workgroup_id_y 0
		.amdhsa_system_sgpr_workgroup_id_z 0
		.amdhsa_system_sgpr_workgroup_info 0
		.amdhsa_system_vgpr_workitem_id 0
		.amdhsa_next_free_vgpr 1
		.amdhsa_next_free_sgpr 1
		.amdhsa_reserve_vcc 0
		.amdhsa_float_round_mode_32 0
		.amdhsa_float_round_mode_16_64 0
		.amdhsa_float_denorm_mode_32 3
		.amdhsa_float_denorm_mode_16_64 3
		.amdhsa_fp16_overflow 0
		.amdhsa_workgroup_processor_mode 1
		.amdhsa_memory_ordered 1
		.amdhsa_forward_progress 1
		.amdhsa_inst_pref_size 0
		.amdhsa_round_robin_scheduling 0
		.amdhsa_exception_fp_ieee_invalid_op 0
		.amdhsa_exception_fp_denorm_src 0
		.amdhsa_exception_fp_ieee_div_zero 0
		.amdhsa_exception_fp_ieee_overflow 0
		.amdhsa_exception_fp_ieee_underflow 0
		.amdhsa_exception_fp_ieee_inexact 0
		.amdhsa_exception_int_div_zero 0
	.end_amdhsa_kernel
	.section	.text._ZN7rocprim17ROCPRIM_400000_NS6detail17trampoline_kernelINS0_14default_configENS1_25partition_config_selectorILNS1_17partition_subalgoE5EsNS0_10empty_typeEbEEZZNS1_14partition_implILS5_5ELb0ES3_mN6thrust23THRUST_200600_302600_NS6detail15normal_iteratorINSA_10device_ptrIsEEEEPS6_NSA_18transform_iteratorINSB_9not_fun_tINSA_8identityIsEEEESF_NSA_11use_defaultESM_EENS0_5tupleIJSF_S6_EEENSO_IJSG_SG_EEES6_PlJS6_EEE10hipError_tPvRmT3_T4_T5_T6_T7_T9_mT8_P12ihipStream_tbDpT10_ENKUlT_T0_E_clISt17integral_constantIbLb1EES1B_EEDaS16_S17_EUlS16_E_NS1_11comp_targetILNS1_3genE4ELNS1_11target_archE910ELNS1_3gpuE8ELNS1_3repE0EEENS1_30default_config_static_selectorELNS0_4arch9wavefront6targetE0EEEvT1_,"axG",@progbits,_ZN7rocprim17ROCPRIM_400000_NS6detail17trampoline_kernelINS0_14default_configENS1_25partition_config_selectorILNS1_17partition_subalgoE5EsNS0_10empty_typeEbEEZZNS1_14partition_implILS5_5ELb0ES3_mN6thrust23THRUST_200600_302600_NS6detail15normal_iteratorINSA_10device_ptrIsEEEEPS6_NSA_18transform_iteratorINSB_9not_fun_tINSA_8identityIsEEEESF_NSA_11use_defaultESM_EENS0_5tupleIJSF_S6_EEENSO_IJSG_SG_EEES6_PlJS6_EEE10hipError_tPvRmT3_T4_T5_T6_T7_T9_mT8_P12ihipStream_tbDpT10_ENKUlT_T0_E_clISt17integral_constantIbLb1EES1B_EEDaS16_S17_EUlS16_E_NS1_11comp_targetILNS1_3genE4ELNS1_11target_archE910ELNS1_3gpuE8ELNS1_3repE0EEENS1_30default_config_static_selectorELNS0_4arch9wavefront6targetE0EEEvT1_,comdat
.Lfunc_end1023:
	.size	_ZN7rocprim17ROCPRIM_400000_NS6detail17trampoline_kernelINS0_14default_configENS1_25partition_config_selectorILNS1_17partition_subalgoE5EsNS0_10empty_typeEbEEZZNS1_14partition_implILS5_5ELb0ES3_mN6thrust23THRUST_200600_302600_NS6detail15normal_iteratorINSA_10device_ptrIsEEEEPS6_NSA_18transform_iteratorINSB_9not_fun_tINSA_8identityIsEEEESF_NSA_11use_defaultESM_EENS0_5tupleIJSF_S6_EEENSO_IJSG_SG_EEES6_PlJS6_EEE10hipError_tPvRmT3_T4_T5_T6_T7_T9_mT8_P12ihipStream_tbDpT10_ENKUlT_T0_E_clISt17integral_constantIbLb1EES1B_EEDaS16_S17_EUlS16_E_NS1_11comp_targetILNS1_3genE4ELNS1_11target_archE910ELNS1_3gpuE8ELNS1_3repE0EEENS1_30default_config_static_selectorELNS0_4arch9wavefront6targetE0EEEvT1_, .Lfunc_end1023-_ZN7rocprim17ROCPRIM_400000_NS6detail17trampoline_kernelINS0_14default_configENS1_25partition_config_selectorILNS1_17partition_subalgoE5EsNS0_10empty_typeEbEEZZNS1_14partition_implILS5_5ELb0ES3_mN6thrust23THRUST_200600_302600_NS6detail15normal_iteratorINSA_10device_ptrIsEEEEPS6_NSA_18transform_iteratorINSB_9not_fun_tINSA_8identityIsEEEESF_NSA_11use_defaultESM_EENS0_5tupleIJSF_S6_EEENSO_IJSG_SG_EEES6_PlJS6_EEE10hipError_tPvRmT3_T4_T5_T6_T7_T9_mT8_P12ihipStream_tbDpT10_ENKUlT_T0_E_clISt17integral_constantIbLb1EES1B_EEDaS16_S17_EUlS16_E_NS1_11comp_targetILNS1_3genE4ELNS1_11target_archE910ELNS1_3gpuE8ELNS1_3repE0EEENS1_30default_config_static_selectorELNS0_4arch9wavefront6targetE0EEEvT1_
                                        ; -- End function
	.set _ZN7rocprim17ROCPRIM_400000_NS6detail17trampoline_kernelINS0_14default_configENS1_25partition_config_selectorILNS1_17partition_subalgoE5EsNS0_10empty_typeEbEEZZNS1_14partition_implILS5_5ELb0ES3_mN6thrust23THRUST_200600_302600_NS6detail15normal_iteratorINSA_10device_ptrIsEEEEPS6_NSA_18transform_iteratorINSB_9not_fun_tINSA_8identityIsEEEESF_NSA_11use_defaultESM_EENS0_5tupleIJSF_S6_EEENSO_IJSG_SG_EEES6_PlJS6_EEE10hipError_tPvRmT3_T4_T5_T6_T7_T9_mT8_P12ihipStream_tbDpT10_ENKUlT_T0_E_clISt17integral_constantIbLb1EES1B_EEDaS16_S17_EUlS16_E_NS1_11comp_targetILNS1_3genE4ELNS1_11target_archE910ELNS1_3gpuE8ELNS1_3repE0EEENS1_30default_config_static_selectorELNS0_4arch9wavefront6targetE0EEEvT1_.num_vgpr, 0
	.set _ZN7rocprim17ROCPRIM_400000_NS6detail17trampoline_kernelINS0_14default_configENS1_25partition_config_selectorILNS1_17partition_subalgoE5EsNS0_10empty_typeEbEEZZNS1_14partition_implILS5_5ELb0ES3_mN6thrust23THRUST_200600_302600_NS6detail15normal_iteratorINSA_10device_ptrIsEEEEPS6_NSA_18transform_iteratorINSB_9not_fun_tINSA_8identityIsEEEESF_NSA_11use_defaultESM_EENS0_5tupleIJSF_S6_EEENSO_IJSG_SG_EEES6_PlJS6_EEE10hipError_tPvRmT3_T4_T5_T6_T7_T9_mT8_P12ihipStream_tbDpT10_ENKUlT_T0_E_clISt17integral_constantIbLb1EES1B_EEDaS16_S17_EUlS16_E_NS1_11comp_targetILNS1_3genE4ELNS1_11target_archE910ELNS1_3gpuE8ELNS1_3repE0EEENS1_30default_config_static_selectorELNS0_4arch9wavefront6targetE0EEEvT1_.num_agpr, 0
	.set _ZN7rocprim17ROCPRIM_400000_NS6detail17trampoline_kernelINS0_14default_configENS1_25partition_config_selectorILNS1_17partition_subalgoE5EsNS0_10empty_typeEbEEZZNS1_14partition_implILS5_5ELb0ES3_mN6thrust23THRUST_200600_302600_NS6detail15normal_iteratorINSA_10device_ptrIsEEEEPS6_NSA_18transform_iteratorINSB_9not_fun_tINSA_8identityIsEEEESF_NSA_11use_defaultESM_EENS0_5tupleIJSF_S6_EEENSO_IJSG_SG_EEES6_PlJS6_EEE10hipError_tPvRmT3_T4_T5_T6_T7_T9_mT8_P12ihipStream_tbDpT10_ENKUlT_T0_E_clISt17integral_constantIbLb1EES1B_EEDaS16_S17_EUlS16_E_NS1_11comp_targetILNS1_3genE4ELNS1_11target_archE910ELNS1_3gpuE8ELNS1_3repE0EEENS1_30default_config_static_selectorELNS0_4arch9wavefront6targetE0EEEvT1_.numbered_sgpr, 0
	.set _ZN7rocprim17ROCPRIM_400000_NS6detail17trampoline_kernelINS0_14default_configENS1_25partition_config_selectorILNS1_17partition_subalgoE5EsNS0_10empty_typeEbEEZZNS1_14partition_implILS5_5ELb0ES3_mN6thrust23THRUST_200600_302600_NS6detail15normal_iteratorINSA_10device_ptrIsEEEEPS6_NSA_18transform_iteratorINSB_9not_fun_tINSA_8identityIsEEEESF_NSA_11use_defaultESM_EENS0_5tupleIJSF_S6_EEENSO_IJSG_SG_EEES6_PlJS6_EEE10hipError_tPvRmT3_T4_T5_T6_T7_T9_mT8_P12ihipStream_tbDpT10_ENKUlT_T0_E_clISt17integral_constantIbLb1EES1B_EEDaS16_S17_EUlS16_E_NS1_11comp_targetILNS1_3genE4ELNS1_11target_archE910ELNS1_3gpuE8ELNS1_3repE0EEENS1_30default_config_static_selectorELNS0_4arch9wavefront6targetE0EEEvT1_.num_named_barrier, 0
	.set _ZN7rocprim17ROCPRIM_400000_NS6detail17trampoline_kernelINS0_14default_configENS1_25partition_config_selectorILNS1_17partition_subalgoE5EsNS0_10empty_typeEbEEZZNS1_14partition_implILS5_5ELb0ES3_mN6thrust23THRUST_200600_302600_NS6detail15normal_iteratorINSA_10device_ptrIsEEEEPS6_NSA_18transform_iteratorINSB_9not_fun_tINSA_8identityIsEEEESF_NSA_11use_defaultESM_EENS0_5tupleIJSF_S6_EEENSO_IJSG_SG_EEES6_PlJS6_EEE10hipError_tPvRmT3_T4_T5_T6_T7_T9_mT8_P12ihipStream_tbDpT10_ENKUlT_T0_E_clISt17integral_constantIbLb1EES1B_EEDaS16_S17_EUlS16_E_NS1_11comp_targetILNS1_3genE4ELNS1_11target_archE910ELNS1_3gpuE8ELNS1_3repE0EEENS1_30default_config_static_selectorELNS0_4arch9wavefront6targetE0EEEvT1_.private_seg_size, 0
	.set _ZN7rocprim17ROCPRIM_400000_NS6detail17trampoline_kernelINS0_14default_configENS1_25partition_config_selectorILNS1_17partition_subalgoE5EsNS0_10empty_typeEbEEZZNS1_14partition_implILS5_5ELb0ES3_mN6thrust23THRUST_200600_302600_NS6detail15normal_iteratorINSA_10device_ptrIsEEEEPS6_NSA_18transform_iteratorINSB_9not_fun_tINSA_8identityIsEEEESF_NSA_11use_defaultESM_EENS0_5tupleIJSF_S6_EEENSO_IJSG_SG_EEES6_PlJS6_EEE10hipError_tPvRmT3_T4_T5_T6_T7_T9_mT8_P12ihipStream_tbDpT10_ENKUlT_T0_E_clISt17integral_constantIbLb1EES1B_EEDaS16_S17_EUlS16_E_NS1_11comp_targetILNS1_3genE4ELNS1_11target_archE910ELNS1_3gpuE8ELNS1_3repE0EEENS1_30default_config_static_selectorELNS0_4arch9wavefront6targetE0EEEvT1_.uses_vcc, 0
	.set _ZN7rocprim17ROCPRIM_400000_NS6detail17trampoline_kernelINS0_14default_configENS1_25partition_config_selectorILNS1_17partition_subalgoE5EsNS0_10empty_typeEbEEZZNS1_14partition_implILS5_5ELb0ES3_mN6thrust23THRUST_200600_302600_NS6detail15normal_iteratorINSA_10device_ptrIsEEEEPS6_NSA_18transform_iteratorINSB_9not_fun_tINSA_8identityIsEEEESF_NSA_11use_defaultESM_EENS0_5tupleIJSF_S6_EEENSO_IJSG_SG_EEES6_PlJS6_EEE10hipError_tPvRmT3_T4_T5_T6_T7_T9_mT8_P12ihipStream_tbDpT10_ENKUlT_T0_E_clISt17integral_constantIbLb1EES1B_EEDaS16_S17_EUlS16_E_NS1_11comp_targetILNS1_3genE4ELNS1_11target_archE910ELNS1_3gpuE8ELNS1_3repE0EEENS1_30default_config_static_selectorELNS0_4arch9wavefront6targetE0EEEvT1_.uses_flat_scratch, 0
	.set _ZN7rocprim17ROCPRIM_400000_NS6detail17trampoline_kernelINS0_14default_configENS1_25partition_config_selectorILNS1_17partition_subalgoE5EsNS0_10empty_typeEbEEZZNS1_14partition_implILS5_5ELb0ES3_mN6thrust23THRUST_200600_302600_NS6detail15normal_iteratorINSA_10device_ptrIsEEEEPS6_NSA_18transform_iteratorINSB_9not_fun_tINSA_8identityIsEEEESF_NSA_11use_defaultESM_EENS0_5tupleIJSF_S6_EEENSO_IJSG_SG_EEES6_PlJS6_EEE10hipError_tPvRmT3_T4_T5_T6_T7_T9_mT8_P12ihipStream_tbDpT10_ENKUlT_T0_E_clISt17integral_constantIbLb1EES1B_EEDaS16_S17_EUlS16_E_NS1_11comp_targetILNS1_3genE4ELNS1_11target_archE910ELNS1_3gpuE8ELNS1_3repE0EEENS1_30default_config_static_selectorELNS0_4arch9wavefront6targetE0EEEvT1_.has_dyn_sized_stack, 0
	.set _ZN7rocprim17ROCPRIM_400000_NS6detail17trampoline_kernelINS0_14default_configENS1_25partition_config_selectorILNS1_17partition_subalgoE5EsNS0_10empty_typeEbEEZZNS1_14partition_implILS5_5ELb0ES3_mN6thrust23THRUST_200600_302600_NS6detail15normal_iteratorINSA_10device_ptrIsEEEEPS6_NSA_18transform_iteratorINSB_9not_fun_tINSA_8identityIsEEEESF_NSA_11use_defaultESM_EENS0_5tupleIJSF_S6_EEENSO_IJSG_SG_EEES6_PlJS6_EEE10hipError_tPvRmT3_T4_T5_T6_T7_T9_mT8_P12ihipStream_tbDpT10_ENKUlT_T0_E_clISt17integral_constantIbLb1EES1B_EEDaS16_S17_EUlS16_E_NS1_11comp_targetILNS1_3genE4ELNS1_11target_archE910ELNS1_3gpuE8ELNS1_3repE0EEENS1_30default_config_static_selectorELNS0_4arch9wavefront6targetE0EEEvT1_.has_recursion, 0
	.set _ZN7rocprim17ROCPRIM_400000_NS6detail17trampoline_kernelINS0_14default_configENS1_25partition_config_selectorILNS1_17partition_subalgoE5EsNS0_10empty_typeEbEEZZNS1_14partition_implILS5_5ELb0ES3_mN6thrust23THRUST_200600_302600_NS6detail15normal_iteratorINSA_10device_ptrIsEEEEPS6_NSA_18transform_iteratorINSB_9not_fun_tINSA_8identityIsEEEESF_NSA_11use_defaultESM_EENS0_5tupleIJSF_S6_EEENSO_IJSG_SG_EEES6_PlJS6_EEE10hipError_tPvRmT3_T4_T5_T6_T7_T9_mT8_P12ihipStream_tbDpT10_ENKUlT_T0_E_clISt17integral_constantIbLb1EES1B_EEDaS16_S17_EUlS16_E_NS1_11comp_targetILNS1_3genE4ELNS1_11target_archE910ELNS1_3gpuE8ELNS1_3repE0EEENS1_30default_config_static_selectorELNS0_4arch9wavefront6targetE0EEEvT1_.has_indirect_call, 0
	.section	.AMDGPU.csdata,"",@progbits
; Kernel info:
; codeLenInByte = 0
; TotalNumSgprs: 0
; NumVgprs: 0
; ScratchSize: 0
; MemoryBound: 0
; FloatMode: 240
; IeeeMode: 1
; LDSByteSize: 0 bytes/workgroup (compile time only)
; SGPRBlocks: 0
; VGPRBlocks: 0
; NumSGPRsForWavesPerEU: 1
; NumVGPRsForWavesPerEU: 1
; Occupancy: 16
; WaveLimiterHint : 0
; COMPUTE_PGM_RSRC2:SCRATCH_EN: 0
; COMPUTE_PGM_RSRC2:USER_SGPR: 2
; COMPUTE_PGM_RSRC2:TRAP_HANDLER: 0
; COMPUTE_PGM_RSRC2:TGID_X_EN: 1
; COMPUTE_PGM_RSRC2:TGID_Y_EN: 0
; COMPUTE_PGM_RSRC2:TGID_Z_EN: 0
; COMPUTE_PGM_RSRC2:TIDIG_COMP_CNT: 0
	.section	.text._ZN7rocprim17ROCPRIM_400000_NS6detail17trampoline_kernelINS0_14default_configENS1_25partition_config_selectorILNS1_17partition_subalgoE5EsNS0_10empty_typeEbEEZZNS1_14partition_implILS5_5ELb0ES3_mN6thrust23THRUST_200600_302600_NS6detail15normal_iteratorINSA_10device_ptrIsEEEEPS6_NSA_18transform_iteratorINSB_9not_fun_tINSA_8identityIsEEEESF_NSA_11use_defaultESM_EENS0_5tupleIJSF_S6_EEENSO_IJSG_SG_EEES6_PlJS6_EEE10hipError_tPvRmT3_T4_T5_T6_T7_T9_mT8_P12ihipStream_tbDpT10_ENKUlT_T0_E_clISt17integral_constantIbLb1EES1B_EEDaS16_S17_EUlS16_E_NS1_11comp_targetILNS1_3genE3ELNS1_11target_archE908ELNS1_3gpuE7ELNS1_3repE0EEENS1_30default_config_static_selectorELNS0_4arch9wavefront6targetE0EEEvT1_,"axG",@progbits,_ZN7rocprim17ROCPRIM_400000_NS6detail17trampoline_kernelINS0_14default_configENS1_25partition_config_selectorILNS1_17partition_subalgoE5EsNS0_10empty_typeEbEEZZNS1_14partition_implILS5_5ELb0ES3_mN6thrust23THRUST_200600_302600_NS6detail15normal_iteratorINSA_10device_ptrIsEEEEPS6_NSA_18transform_iteratorINSB_9not_fun_tINSA_8identityIsEEEESF_NSA_11use_defaultESM_EENS0_5tupleIJSF_S6_EEENSO_IJSG_SG_EEES6_PlJS6_EEE10hipError_tPvRmT3_T4_T5_T6_T7_T9_mT8_P12ihipStream_tbDpT10_ENKUlT_T0_E_clISt17integral_constantIbLb1EES1B_EEDaS16_S17_EUlS16_E_NS1_11comp_targetILNS1_3genE3ELNS1_11target_archE908ELNS1_3gpuE7ELNS1_3repE0EEENS1_30default_config_static_selectorELNS0_4arch9wavefront6targetE0EEEvT1_,comdat
	.protected	_ZN7rocprim17ROCPRIM_400000_NS6detail17trampoline_kernelINS0_14default_configENS1_25partition_config_selectorILNS1_17partition_subalgoE5EsNS0_10empty_typeEbEEZZNS1_14partition_implILS5_5ELb0ES3_mN6thrust23THRUST_200600_302600_NS6detail15normal_iteratorINSA_10device_ptrIsEEEEPS6_NSA_18transform_iteratorINSB_9not_fun_tINSA_8identityIsEEEESF_NSA_11use_defaultESM_EENS0_5tupleIJSF_S6_EEENSO_IJSG_SG_EEES6_PlJS6_EEE10hipError_tPvRmT3_T4_T5_T6_T7_T9_mT8_P12ihipStream_tbDpT10_ENKUlT_T0_E_clISt17integral_constantIbLb1EES1B_EEDaS16_S17_EUlS16_E_NS1_11comp_targetILNS1_3genE3ELNS1_11target_archE908ELNS1_3gpuE7ELNS1_3repE0EEENS1_30default_config_static_selectorELNS0_4arch9wavefront6targetE0EEEvT1_ ; -- Begin function _ZN7rocprim17ROCPRIM_400000_NS6detail17trampoline_kernelINS0_14default_configENS1_25partition_config_selectorILNS1_17partition_subalgoE5EsNS0_10empty_typeEbEEZZNS1_14partition_implILS5_5ELb0ES3_mN6thrust23THRUST_200600_302600_NS6detail15normal_iteratorINSA_10device_ptrIsEEEEPS6_NSA_18transform_iteratorINSB_9not_fun_tINSA_8identityIsEEEESF_NSA_11use_defaultESM_EENS0_5tupleIJSF_S6_EEENSO_IJSG_SG_EEES6_PlJS6_EEE10hipError_tPvRmT3_T4_T5_T6_T7_T9_mT8_P12ihipStream_tbDpT10_ENKUlT_T0_E_clISt17integral_constantIbLb1EES1B_EEDaS16_S17_EUlS16_E_NS1_11comp_targetILNS1_3genE3ELNS1_11target_archE908ELNS1_3gpuE7ELNS1_3repE0EEENS1_30default_config_static_selectorELNS0_4arch9wavefront6targetE0EEEvT1_
	.globl	_ZN7rocprim17ROCPRIM_400000_NS6detail17trampoline_kernelINS0_14default_configENS1_25partition_config_selectorILNS1_17partition_subalgoE5EsNS0_10empty_typeEbEEZZNS1_14partition_implILS5_5ELb0ES3_mN6thrust23THRUST_200600_302600_NS6detail15normal_iteratorINSA_10device_ptrIsEEEEPS6_NSA_18transform_iteratorINSB_9not_fun_tINSA_8identityIsEEEESF_NSA_11use_defaultESM_EENS0_5tupleIJSF_S6_EEENSO_IJSG_SG_EEES6_PlJS6_EEE10hipError_tPvRmT3_T4_T5_T6_T7_T9_mT8_P12ihipStream_tbDpT10_ENKUlT_T0_E_clISt17integral_constantIbLb1EES1B_EEDaS16_S17_EUlS16_E_NS1_11comp_targetILNS1_3genE3ELNS1_11target_archE908ELNS1_3gpuE7ELNS1_3repE0EEENS1_30default_config_static_selectorELNS0_4arch9wavefront6targetE0EEEvT1_
	.p2align	8
	.type	_ZN7rocprim17ROCPRIM_400000_NS6detail17trampoline_kernelINS0_14default_configENS1_25partition_config_selectorILNS1_17partition_subalgoE5EsNS0_10empty_typeEbEEZZNS1_14partition_implILS5_5ELb0ES3_mN6thrust23THRUST_200600_302600_NS6detail15normal_iteratorINSA_10device_ptrIsEEEEPS6_NSA_18transform_iteratorINSB_9not_fun_tINSA_8identityIsEEEESF_NSA_11use_defaultESM_EENS0_5tupleIJSF_S6_EEENSO_IJSG_SG_EEES6_PlJS6_EEE10hipError_tPvRmT3_T4_T5_T6_T7_T9_mT8_P12ihipStream_tbDpT10_ENKUlT_T0_E_clISt17integral_constantIbLb1EES1B_EEDaS16_S17_EUlS16_E_NS1_11comp_targetILNS1_3genE3ELNS1_11target_archE908ELNS1_3gpuE7ELNS1_3repE0EEENS1_30default_config_static_selectorELNS0_4arch9wavefront6targetE0EEEvT1_,@function
_ZN7rocprim17ROCPRIM_400000_NS6detail17trampoline_kernelINS0_14default_configENS1_25partition_config_selectorILNS1_17partition_subalgoE5EsNS0_10empty_typeEbEEZZNS1_14partition_implILS5_5ELb0ES3_mN6thrust23THRUST_200600_302600_NS6detail15normal_iteratorINSA_10device_ptrIsEEEEPS6_NSA_18transform_iteratorINSB_9not_fun_tINSA_8identityIsEEEESF_NSA_11use_defaultESM_EENS0_5tupleIJSF_S6_EEENSO_IJSG_SG_EEES6_PlJS6_EEE10hipError_tPvRmT3_T4_T5_T6_T7_T9_mT8_P12ihipStream_tbDpT10_ENKUlT_T0_E_clISt17integral_constantIbLb1EES1B_EEDaS16_S17_EUlS16_E_NS1_11comp_targetILNS1_3genE3ELNS1_11target_archE908ELNS1_3gpuE7ELNS1_3repE0EEENS1_30default_config_static_selectorELNS0_4arch9wavefront6targetE0EEEvT1_: ; @_ZN7rocprim17ROCPRIM_400000_NS6detail17trampoline_kernelINS0_14default_configENS1_25partition_config_selectorILNS1_17partition_subalgoE5EsNS0_10empty_typeEbEEZZNS1_14partition_implILS5_5ELb0ES3_mN6thrust23THRUST_200600_302600_NS6detail15normal_iteratorINSA_10device_ptrIsEEEEPS6_NSA_18transform_iteratorINSB_9not_fun_tINSA_8identityIsEEEESF_NSA_11use_defaultESM_EENS0_5tupleIJSF_S6_EEENSO_IJSG_SG_EEES6_PlJS6_EEE10hipError_tPvRmT3_T4_T5_T6_T7_T9_mT8_P12ihipStream_tbDpT10_ENKUlT_T0_E_clISt17integral_constantIbLb1EES1B_EEDaS16_S17_EUlS16_E_NS1_11comp_targetILNS1_3genE3ELNS1_11target_archE908ELNS1_3gpuE7ELNS1_3repE0EEENS1_30default_config_static_selectorELNS0_4arch9wavefront6targetE0EEEvT1_
; %bb.0:
	.section	.rodata,"a",@progbits
	.p2align	6, 0x0
	.amdhsa_kernel _ZN7rocprim17ROCPRIM_400000_NS6detail17trampoline_kernelINS0_14default_configENS1_25partition_config_selectorILNS1_17partition_subalgoE5EsNS0_10empty_typeEbEEZZNS1_14partition_implILS5_5ELb0ES3_mN6thrust23THRUST_200600_302600_NS6detail15normal_iteratorINSA_10device_ptrIsEEEEPS6_NSA_18transform_iteratorINSB_9not_fun_tINSA_8identityIsEEEESF_NSA_11use_defaultESM_EENS0_5tupleIJSF_S6_EEENSO_IJSG_SG_EEES6_PlJS6_EEE10hipError_tPvRmT3_T4_T5_T6_T7_T9_mT8_P12ihipStream_tbDpT10_ENKUlT_T0_E_clISt17integral_constantIbLb1EES1B_EEDaS16_S17_EUlS16_E_NS1_11comp_targetILNS1_3genE3ELNS1_11target_archE908ELNS1_3gpuE7ELNS1_3repE0EEENS1_30default_config_static_selectorELNS0_4arch9wavefront6targetE0EEEvT1_
		.amdhsa_group_segment_fixed_size 0
		.amdhsa_private_segment_fixed_size 0
		.amdhsa_kernarg_size 136
		.amdhsa_user_sgpr_count 2
		.amdhsa_user_sgpr_dispatch_ptr 0
		.amdhsa_user_sgpr_queue_ptr 0
		.amdhsa_user_sgpr_kernarg_segment_ptr 1
		.amdhsa_user_sgpr_dispatch_id 0
		.amdhsa_user_sgpr_private_segment_size 0
		.amdhsa_wavefront_size32 1
		.amdhsa_uses_dynamic_stack 0
		.amdhsa_enable_private_segment 0
		.amdhsa_system_sgpr_workgroup_id_x 1
		.amdhsa_system_sgpr_workgroup_id_y 0
		.amdhsa_system_sgpr_workgroup_id_z 0
		.amdhsa_system_sgpr_workgroup_info 0
		.amdhsa_system_vgpr_workitem_id 0
		.amdhsa_next_free_vgpr 1
		.amdhsa_next_free_sgpr 1
		.amdhsa_reserve_vcc 0
		.amdhsa_float_round_mode_32 0
		.amdhsa_float_round_mode_16_64 0
		.amdhsa_float_denorm_mode_32 3
		.amdhsa_float_denorm_mode_16_64 3
		.amdhsa_fp16_overflow 0
		.amdhsa_workgroup_processor_mode 1
		.amdhsa_memory_ordered 1
		.amdhsa_forward_progress 1
		.amdhsa_inst_pref_size 0
		.amdhsa_round_robin_scheduling 0
		.amdhsa_exception_fp_ieee_invalid_op 0
		.amdhsa_exception_fp_denorm_src 0
		.amdhsa_exception_fp_ieee_div_zero 0
		.amdhsa_exception_fp_ieee_overflow 0
		.amdhsa_exception_fp_ieee_underflow 0
		.amdhsa_exception_fp_ieee_inexact 0
		.amdhsa_exception_int_div_zero 0
	.end_amdhsa_kernel
	.section	.text._ZN7rocprim17ROCPRIM_400000_NS6detail17trampoline_kernelINS0_14default_configENS1_25partition_config_selectorILNS1_17partition_subalgoE5EsNS0_10empty_typeEbEEZZNS1_14partition_implILS5_5ELb0ES3_mN6thrust23THRUST_200600_302600_NS6detail15normal_iteratorINSA_10device_ptrIsEEEEPS6_NSA_18transform_iteratorINSB_9not_fun_tINSA_8identityIsEEEESF_NSA_11use_defaultESM_EENS0_5tupleIJSF_S6_EEENSO_IJSG_SG_EEES6_PlJS6_EEE10hipError_tPvRmT3_T4_T5_T6_T7_T9_mT8_P12ihipStream_tbDpT10_ENKUlT_T0_E_clISt17integral_constantIbLb1EES1B_EEDaS16_S17_EUlS16_E_NS1_11comp_targetILNS1_3genE3ELNS1_11target_archE908ELNS1_3gpuE7ELNS1_3repE0EEENS1_30default_config_static_selectorELNS0_4arch9wavefront6targetE0EEEvT1_,"axG",@progbits,_ZN7rocprim17ROCPRIM_400000_NS6detail17trampoline_kernelINS0_14default_configENS1_25partition_config_selectorILNS1_17partition_subalgoE5EsNS0_10empty_typeEbEEZZNS1_14partition_implILS5_5ELb0ES3_mN6thrust23THRUST_200600_302600_NS6detail15normal_iteratorINSA_10device_ptrIsEEEEPS6_NSA_18transform_iteratorINSB_9not_fun_tINSA_8identityIsEEEESF_NSA_11use_defaultESM_EENS0_5tupleIJSF_S6_EEENSO_IJSG_SG_EEES6_PlJS6_EEE10hipError_tPvRmT3_T4_T5_T6_T7_T9_mT8_P12ihipStream_tbDpT10_ENKUlT_T0_E_clISt17integral_constantIbLb1EES1B_EEDaS16_S17_EUlS16_E_NS1_11comp_targetILNS1_3genE3ELNS1_11target_archE908ELNS1_3gpuE7ELNS1_3repE0EEENS1_30default_config_static_selectorELNS0_4arch9wavefront6targetE0EEEvT1_,comdat
.Lfunc_end1024:
	.size	_ZN7rocprim17ROCPRIM_400000_NS6detail17trampoline_kernelINS0_14default_configENS1_25partition_config_selectorILNS1_17partition_subalgoE5EsNS0_10empty_typeEbEEZZNS1_14partition_implILS5_5ELb0ES3_mN6thrust23THRUST_200600_302600_NS6detail15normal_iteratorINSA_10device_ptrIsEEEEPS6_NSA_18transform_iteratorINSB_9not_fun_tINSA_8identityIsEEEESF_NSA_11use_defaultESM_EENS0_5tupleIJSF_S6_EEENSO_IJSG_SG_EEES6_PlJS6_EEE10hipError_tPvRmT3_T4_T5_T6_T7_T9_mT8_P12ihipStream_tbDpT10_ENKUlT_T0_E_clISt17integral_constantIbLb1EES1B_EEDaS16_S17_EUlS16_E_NS1_11comp_targetILNS1_3genE3ELNS1_11target_archE908ELNS1_3gpuE7ELNS1_3repE0EEENS1_30default_config_static_selectorELNS0_4arch9wavefront6targetE0EEEvT1_, .Lfunc_end1024-_ZN7rocprim17ROCPRIM_400000_NS6detail17trampoline_kernelINS0_14default_configENS1_25partition_config_selectorILNS1_17partition_subalgoE5EsNS0_10empty_typeEbEEZZNS1_14partition_implILS5_5ELb0ES3_mN6thrust23THRUST_200600_302600_NS6detail15normal_iteratorINSA_10device_ptrIsEEEEPS6_NSA_18transform_iteratorINSB_9not_fun_tINSA_8identityIsEEEESF_NSA_11use_defaultESM_EENS0_5tupleIJSF_S6_EEENSO_IJSG_SG_EEES6_PlJS6_EEE10hipError_tPvRmT3_T4_T5_T6_T7_T9_mT8_P12ihipStream_tbDpT10_ENKUlT_T0_E_clISt17integral_constantIbLb1EES1B_EEDaS16_S17_EUlS16_E_NS1_11comp_targetILNS1_3genE3ELNS1_11target_archE908ELNS1_3gpuE7ELNS1_3repE0EEENS1_30default_config_static_selectorELNS0_4arch9wavefront6targetE0EEEvT1_
                                        ; -- End function
	.set _ZN7rocprim17ROCPRIM_400000_NS6detail17trampoline_kernelINS0_14default_configENS1_25partition_config_selectorILNS1_17partition_subalgoE5EsNS0_10empty_typeEbEEZZNS1_14partition_implILS5_5ELb0ES3_mN6thrust23THRUST_200600_302600_NS6detail15normal_iteratorINSA_10device_ptrIsEEEEPS6_NSA_18transform_iteratorINSB_9not_fun_tINSA_8identityIsEEEESF_NSA_11use_defaultESM_EENS0_5tupleIJSF_S6_EEENSO_IJSG_SG_EEES6_PlJS6_EEE10hipError_tPvRmT3_T4_T5_T6_T7_T9_mT8_P12ihipStream_tbDpT10_ENKUlT_T0_E_clISt17integral_constantIbLb1EES1B_EEDaS16_S17_EUlS16_E_NS1_11comp_targetILNS1_3genE3ELNS1_11target_archE908ELNS1_3gpuE7ELNS1_3repE0EEENS1_30default_config_static_selectorELNS0_4arch9wavefront6targetE0EEEvT1_.num_vgpr, 0
	.set _ZN7rocprim17ROCPRIM_400000_NS6detail17trampoline_kernelINS0_14default_configENS1_25partition_config_selectorILNS1_17partition_subalgoE5EsNS0_10empty_typeEbEEZZNS1_14partition_implILS5_5ELb0ES3_mN6thrust23THRUST_200600_302600_NS6detail15normal_iteratorINSA_10device_ptrIsEEEEPS6_NSA_18transform_iteratorINSB_9not_fun_tINSA_8identityIsEEEESF_NSA_11use_defaultESM_EENS0_5tupleIJSF_S6_EEENSO_IJSG_SG_EEES6_PlJS6_EEE10hipError_tPvRmT3_T4_T5_T6_T7_T9_mT8_P12ihipStream_tbDpT10_ENKUlT_T0_E_clISt17integral_constantIbLb1EES1B_EEDaS16_S17_EUlS16_E_NS1_11comp_targetILNS1_3genE3ELNS1_11target_archE908ELNS1_3gpuE7ELNS1_3repE0EEENS1_30default_config_static_selectorELNS0_4arch9wavefront6targetE0EEEvT1_.num_agpr, 0
	.set _ZN7rocprim17ROCPRIM_400000_NS6detail17trampoline_kernelINS0_14default_configENS1_25partition_config_selectorILNS1_17partition_subalgoE5EsNS0_10empty_typeEbEEZZNS1_14partition_implILS5_5ELb0ES3_mN6thrust23THRUST_200600_302600_NS6detail15normal_iteratorINSA_10device_ptrIsEEEEPS6_NSA_18transform_iteratorINSB_9not_fun_tINSA_8identityIsEEEESF_NSA_11use_defaultESM_EENS0_5tupleIJSF_S6_EEENSO_IJSG_SG_EEES6_PlJS6_EEE10hipError_tPvRmT3_T4_T5_T6_T7_T9_mT8_P12ihipStream_tbDpT10_ENKUlT_T0_E_clISt17integral_constantIbLb1EES1B_EEDaS16_S17_EUlS16_E_NS1_11comp_targetILNS1_3genE3ELNS1_11target_archE908ELNS1_3gpuE7ELNS1_3repE0EEENS1_30default_config_static_selectorELNS0_4arch9wavefront6targetE0EEEvT1_.numbered_sgpr, 0
	.set _ZN7rocprim17ROCPRIM_400000_NS6detail17trampoline_kernelINS0_14default_configENS1_25partition_config_selectorILNS1_17partition_subalgoE5EsNS0_10empty_typeEbEEZZNS1_14partition_implILS5_5ELb0ES3_mN6thrust23THRUST_200600_302600_NS6detail15normal_iteratorINSA_10device_ptrIsEEEEPS6_NSA_18transform_iteratorINSB_9not_fun_tINSA_8identityIsEEEESF_NSA_11use_defaultESM_EENS0_5tupleIJSF_S6_EEENSO_IJSG_SG_EEES6_PlJS6_EEE10hipError_tPvRmT3_T4_T5_T6_T7_T9_mT8_P12ihipStream_tbDpT10_ENKUlT_T0_E_clISt17integral_constantIbLb1EES1B_EEDaS16_S17_EUlS16_E_NS1_11comp_targetILNS1_3genE3ELNS1_11target_archE908ELNS1_3gpuE7ELNS1_3repE0EEENS1_30default_config_static_selectorELNS0_4arch9wavefront6targetE0EEEvT1_.num_named_barrier, 0
	.set _ZN7rocprim17ROCPRIM_400000_NS6detail17trampoline_kernelINS0_14default_configENS1_25partition_config_selectorILNS1_17partition_subalgoE5EsNS0_10empty_typeEbEEZZNS1_14partition_implILS5_5ELb0ES3_mN6thrust23THRUST_200600_302600_NS6detail15normal_iteratorINSA_10device_ptrIsEEEEPS6_NSA_18transform_iteratorINSB_9not_fun_tINSA_8identityIsEEEESF_NSA_11use_defaultESM_EENS0_5tupleIJSF_S6_EEENSO_IJSG_SG_EEES6_PlJS6_EEE10hipError_tPvRmT3_T4_T5_T6_T7_T9_mT8_P12ihipStream_tbDpT10_ENKUlT_T0_E_clISt17integral_constantIbLb1EES1B_EEDaS16_S17_EUlS16_E_NS1_11comp_targetILNS1_3genE3ELNS1_11target_archE908ELNS1_3gpuE7ELNS1_3repE0EEENS1_30default_config_static_selectorELNS0_4arch9wavefront6targetE0EEEvT1_.private_seg_size, 0
	.set _ZN7rocprim17ROCPRIM_400000_NS6detail17trampoline_kernelINS0_14default_configENS1_25partition_config_selectorILNS1_17partition_subalgoE5EsNS0_10empty_typeEbEEZZNS1_14partition_implILS5_5ELb0ES3_mN6thrust23THRUST_200600_302600_NS6detail15normal_iteratorINSA_10device_ptrIsEEEEPS6_NSA_18transform_iteratorINSB_9not_fun_tINSA_8identityIsEEEESF_NSA_11use_defaultESM_EENS0_5tupleIJSF_S6_EEENSO_IJSG_SG_EEES6_PlJS6_EEE10hipError_tPvRmT3_T4_T5_T6_T7_T9_mT8_P12ihipStream_tbDpT10_ENKUlT_T0_E_clISt17integral_constantIbLb1EES1B_EEDaS16_S17_EUlS16_E_NS1_11comp_targetILNS1_3genE3ELNS1_11target_archE908ELNS1_3gpuE7ELNS1_3repE0EEENS1_30default_config_static_selectorELNS0_4arch9wavefront6targetE0EEEvT1_.uses_vcc, 0
	.set _ZN7rocprim17ROCPRIM_400000_NS6detail17trampoline_kernelINS0_14default_configENS1_25partition_config_selectorILNS1_17partition_subalgoE5EsNS0_10empty_typeEbEEZZNS1_14partition_implILS5_5ELb0ES3_mN6thrust23THRUST_200600_302600_NS6detail15normal_iteratorINSA_10device_ptrIsEEEEPS6_NSA_18transform_iteratorINSB_9not_fun_tINSA_8identityIsEEEESF_NSA_11use_defaultESM_EENS0_5tupleIJSF_S6_EEENSO_IJSG_SG_EEES6_PlJS6_EEE10hipError_tPvRmT3_T4_T5_T6_T7_T9_mT8_P12ihipStream_tbDpT10_ENKUlT_T0_E_clISt17integral_constantIbLb1EES1B_EEDaS16_S17_EUlS16_E_NS1_11comp_targetILNS1_3genE3ELNS1_11target_archE908ELNS1_3gpuE7ELNS1_3repE0EEENS1_30default_config_static_selectorELNS0_4arch9wavefront6targetE0EEEvT1_.uses_flat_scratch, 0
	.set _ZN7rocprim17ROCPRIM_400000_NS6detail17trampoline_kernelINS0_14default_configENS1_25partition_config_selectorILNS1_17partition_subalgoE5EsNS0_10empty_typeEbEEZZNS1_14partition_implILS5_5ELb0ES3_mN6thrust23THRUST_200600_302600_NS6detail15normal_iteratorINSA_10device_ptrIsEEEEPS6_NSA_18transform_iteratorINSB_9not_fun_tINSA_8identityIsEEEESF_NSA_11use_defaultESM_EENS0_5tupleIJSF_S6_EEENSO_IJSG_SG_EEES6_PlJS6_EEE10hipError_tPvRmT3_T4_T5_T6_T7_T9_mT8_P12ihipStream_tbDpT10_ENKUlT_T0_E_clISt17integral_constantIbLb1EES1B_EEDaS16_S17_EUlS16_E_NS1_11comp_targetILNS1_3genE3ELNS1_11target_archE908ELNS1_3gpuE7ELNS1_3repE0EEENS1_30default_config_static_selectorELNS0_4arch9wavefront6targetE0EEEvT1_.has_dyn_sized_stack, 0
	.set _ZN7rocprim17ROCPRIM_400000_NS6detail17trampoline_kernelINS0_14default_configENS1_25partition_config_selectorILNS1_17partition_subalgoE5EsNS0_10empty_typeEbEEZZNS1_14partition_implILS5_5ELb0ES3_mN6thrust23THRUST_200600_302600_NS6detail15normal_iteratorINSA_10device_ptrIsEEEEPS6_NSA_18transform_iteratorINSB_9not_fun_tINSA_8identityIsEEEESF_NSA_11use_defaultESM_EENS0_5tupleIJSF_S6_EEENSO_IJSG_SG_EEES6_PlJS6_EEE10hipError_tPvRmT3_T4_T5_T6_T7_T9_mT8_P12ihipStream_tbDpT10_ENKUlT_T0_E_clISt17integral_constantIbLb1EES1B_EEDaS16_S17_EUlS16_E_NS1_11comp_targetILNS1_3genE3ELNS1_11target_archE908ELNS1_3gpuE7ELNS1_3repE0EEENS1_30default_config_static_selectorELNS0_4arch9wavefront6targetE0EEEvT1_.has_recursion, 0
	.set _ZN7rocprim17ROCPRIM_400000_NS6detail17trampoline_kernelINS0_14default_configENS1_25partition_config_selectorILNS1_17partition_subalgoE5EsNS0_10empty_typeEbEEZZNS1_14partition_implILS5_5ELb0ES3_mN6thrust23THRUST_200600_302600_NS6detail15normal_iteratorINSA_10device_ptrIsEEEEPS6_NSA_18transform_iteratorINSB_9not_fun_tINSA_8identityIsEEEESF_NSA_11use_defaultESM_EENS0_5tupleIJSF_S6_EEENSO_IJSG_SG_EEES6_PlJS6_EEE10hipError_tPvRmT3_T4_T5_T6_T7_T9_mT8_P12ihipStream_tbDpT10_ENKUlT_T0_E_clISt17integral_constantIbLb1EES1B_EEDaS16_S17_EUlS16_E_NS1_11comp_targetILNS1_3genE3ELNS1_11target_archE908ELNS1_3gpuE7ELNS1_3repE0EEENS1_30default_config_static_selectorELNS0_4arch9wavefront6targetE0EEEvT1_.has_indirect_call, 0
	.section	.AMDGPU.csdata,"",@progbits
; Kernel info:
; codeLenInByte = 0
; TotalNumSgprs: 0
; NumVgprs: 0
; ScratchSize: 0
; MemoryBound: 0
; FloatMode: 240
; IeeeMode: 1
; LDSByteSize: 0 bytes/workgroup (compile time only)
; SGPRBlocks: 0
; VGPRBlocks: 0
; NumSGPRsForWavesPerEU: 1
; NumVGPRsForWavesPerEU: 1
; Occupancy: 16
; WaveLimiterHint : 0
; COMPUTE_PGM_RSRC2:SCRATCH_EN: 0
; COMPUTE_PGM_RSRC2:USER_SGPR: 2
; COMPUTE_PGM_RSRC2:TRAP_HANDLER: 0
; COMPUTE_PGM_RSRC2:TGID_X_EN: 1
; COMPUTE_PGM_RSRC2:TGID_Y_EN: 0
; COMPUTE_PGM_RSRC2:TGID_Z_EN: 0
; COMPUTE_PGM_RSRC2:TIDIG_COMP_CNT: 0
	.section	.text._ZN7rocprim17ROCPRIM_400000_NS6detail17trampoline_kernelINS0_14default_configENS1_25partition_config_selectorILNS1_17partition_subalgoE5EsNS0_10empty_typeEbEEZZNS1_14partition_implILS5_5ELb0ES3_mN6thrust23THRUST_200600_302600_NS6detail15normal_iteratorINSA_10device_ptrIsEEEEPS6_NSA_18transform_iteratorINSB_9not_fun_tINSA_8identityIsEEEESF_NSA_11use_defaultESM_EENS0_5tupleIJSF_S6_EEENSO_IJSG_SG_EEES6_PlJS6_EEE10hipError_tPvRmT3_T4_T5_T6_T7_T9_mT8_P12ihipStream_tbDpT10_ENKUlT_T0_E_clISt17integral_constantIbLb1EES1B_EEDaS16_S17_EUlS16_E_NS1_11comp_targetILNS1_3genE2ELNS1_11target_archE906ELNS1_3gpuE6ELNS1_3repE0EEENS1_30default_config_static_selectorELNS0_4arch9wavefront6targetE0EEEvT1_,"axG",@progbits,_ZN7rocprim17ROCPRIM_400000_NS6detail17trampoline_kernelINS0_14default_configENS1_25partition_config_selectorILNS1_17partition_subalgoE5EsNS0_10empty_typeEbEEZZNS1_14partition_implILS5_5ELb0ES3_mN6thrust23THRUST_200600_302600_NS6detail15normal_iteratorINSA_10device_ptrIsEEEEPS6_NSA_18transform_iteratorINSB_9not_fun_tINSA_8identityIsEEEESF_NSA_11use_defaultESM_EENS0_5tupleIJSF_S6_EEENSO_IJSG_SG_EEES6_PlJS6_EEE10hipError_tPvRmT3_T4_T5_T6_T7_T9_mT8_P12ihipStream_tbDpT10_ENKUlT_T0_E_clISt17integral_constantIbLb1EES1B_EEDaS16_S17_EUlS16_E_NS1_11comp_targetILNS1_3genE2ELNS1_11target_archE906ELNS1_3gpuE6ELNS1_3repE0EEENS1_30default_config_static_selectorELNS0_4arch9wavefront6targetE0EEEvT1_,comdat
	.protected	_ZN7rocprim17ROCPRIM_400000_NS6detail17trampoline_kernelINS0_14default_configENS1_25partition_config_selectorILNS1_17partition_subalgoE5EsNS0_10empty_typeEbEEZZNS1_14partition_implILS5_5ELb0ES3_mN6thrust23THRUST_200600_302600_NS6detail15normal_iteratorINSA_10device_ptrIsEEEEPS6_NSA_18transform_iteratorINSB_9not_fun_tINSA_8identityIsEEEESF_NSA_11use_defaultESM_EENS0_5tupleIJSF_S6_EEENSO_IJSG_SG_EEES6_PlJS6_EEE10hipError_tPvRmT3_T4_T5_T6_T7_T9_mT8_P12ihipStream_tbDpT10_ENKUlT_T0_E_clISt17integral_constantIbLb1EES1B_EEDaS16_S17_EUlS16_E_NS1_11comp_targetILNS1_3genE2ELNS1_11target_archE906ELNS1_3gpuE6ELNS1_3repE0EEENS1_30default_config_static_selectorELNS0_4arch9wavefront6targetE0EEEvT1_ ; -- Begin function _ZN7rocprim17ROCPRIM_400000_NS6detail17trampoline_kernelINS0_14default_configENS1_25partition_config_selectorILNS1_17partition_subalgoE5EsNS0_10empty_typeEbEEZZNS1_14partition_implILS5_5ELb0ES3_mN6thrust23THRUST_200600_302600_NS6detail15normal_iteratorINSA_10device_ptrIsEEEEPS6_NSA_18transform_iteratorINSB_9not_fun_tINSA_8identityIsEEEESF_NSA_11use_defaultESM_EENS0_5tupleIJSF_S6_EEENSO_IJSG_SG_EEES6_PlJS6_EEE10hipError_tPvRmT3_T4_T5_T6_T7_T9_mT8_P12ihipStream_tbDpT10_ENKUlT_T0_E_clISt17integral_constantIbLb1EES1B_EEDaS16_S17_EUlS16_E_NS1_11comp_targetILNS1_3genE2ELNS1_11target_archE906ELNS1_3gpuE6ELNS1_3repE0EEENS1_30default_config_static_selectorELNS0_4arch9wavefront6targetE0EEEvT1_
	.globl	_ZN7rocprim17ROCPRIM_400000_NS6detail17trampoline_kernelINS0_14default_configENS1_25partition_config_selectorILNS1_17partition_subalgoE5EsNS0_10empty_typeEbEEZZNS1_14partition_implILS5_5ELb0ES3_mN6thrust23THRUST_200600_302600_NS6detail15normal_iteratorINSA_10device_ptrIsEEEEPS6_NSA_18transform_iteratorINSB_9not_fun_tINSA_8identityIsEEEESF_NSA_11use_defaultESM_EENS0_5tupleIJSF_S6_EEENSO_IJSG_SG_EEES6_PlJS6_EEE10hipError_tPvRmT3_T4_T5_T6_T7_T9_mT8_P12ihipStream_tbDpT10_ENKUlT_T0_E_clISt17integral_constantIbLb1EES1B_EEDaS16_S17_EUlS16_E_NS1_11comp_targetILNS1_3genE2ELNS1_11target_archE906ELNS1_3gpuE6ELNS1_3repE0EEENS1_30default_config_static_selectorELNS0_4arch9wavefront6targetE0EEEvT1_
	.p2align	8
	.type	_ZN7rocprim17ROCPRIM_400000_NS6detail17trampoline_kernelINS0_14default_configENS1_25partition_config_selectorILNS1_17partition_subalgoE5EsNS0_10empty_typeEbEEZZNS1_14partition_implILS5_5ELb0ES3_mN6thrust23THRUST_200600_302600_NS6detail15normal_iteratorINSA_10device_ptrIsEEEEPS6_NSA_18transform_iteratorINSB_9not_fun_tINSA_8identityIsEEEESF_NSA_11use_defaultESM_EENS0_5tupleIJSF_S6_EEENSO_IJSG_SG_EEES6_PlJS6_EEE10hipError_tPvRmT3_T4_T5_T6_T7_T9_mT8_P12ihipStream_tbDpT10_ENKUlT_T0_E_clISt17integral_constantIbLb1EES1B_EEDaS16_S17_EUlS16_E_NS1_11comp_targetILNS1_3genE2ELNS1_11target_archE906ELNS1_3gpuE6ELNS1_3repE0EEENS1_30default_config_static_selectorELNS0_4arch9wavefront6targetE0EEEvT1_,@function
_ZN7rocprim17ROCPRIM_400000_NS6detail17trampoline_kernelINS0_14default_configENS1_25partition_config_selectorILNS1_17partition_subalgoE5EsNS0_10empty_typeEbEEZZNS1_14partition_implILS5_5ELb0ES3_mN6thrust23THRUST_200600_302600_NS6detail15normal_iteratorINSA_10device_ptrIsEEEEPS6_NSA_18transform_iteratorINSB_9not_fun_tINSA_8identityIsEEEESF_NSA_11use_defaultESM_EENS0_5tupleIJSF_S6_EEENSO_IJSG_SG_EEES6_PlJS6_EEE10hipError_tPvRmT3_T4_T5_T6_T7_T9_mT8_P12ihipStream_tbDpT10_ENKUlT_T0_E_clISt17integral_constantIbLb1EES1B_EEDaS16_S17_EUlS16_E_NS1_11comp_targetILNS1_3genE2ELNS1_11target_archE906ELNS1_3gpuE6ELNS1_3repE0EEENS1_30default_config_static_selectorELNS0_4arch9wavefront6targetE0EEEvT1_: ; @_ZN7rocprim17ROCPRIM_400000_NS6detail17trampoline_kernelINS0_14default_configENS1_25partition_config_selectorILNS1_17partition_subalgoE5EsNS0_10empty_typeEbEEZZNS1_14partition_implILS5_5ELb0ES3_mN6thrust23THRUST_200600_302600_NS6detail15normal_iteratorINSA_10device_ptrIsEEEEPS6_NSA_18transform_iteratorINSB_9not_fun_tINSA_8identityIsEEEESF_NSA_11use_defaultESM_EENS0_5tupleIJSF_S6_EEENSO_IJSG_SG_EEES6_PlJS6_EEE10hipError_tPvRmT3_T4_T5_T6_T7_T9_mT8_P12ihipStream_tbDpT10_ENKUlT_T0_E_clISt17integral_constantIbLb1EES1B_EEDaS16_S17_EUlS16_E_NS1_11comp_targetILNS1_3genE2ELNS1_11target_archE906ELNS1_3gpuE6ELNS1_3repE0EEENS1_30default_config_static_selectorELNS0_4arch9wavefront6targetE0EEEvT1_
; %bb.0:
	.section	.rodata,"a",@progbits
	.p2align	6, 0x0
	.amdhsa_kernel _ZN7rocprim17ROCPRIM_400000_NS6detail17trampoline_kernelINS0_14default_configENS1_25partition_config_selectorILNS1_17partition_subalgoE5EsNS0_10empty_typeEbEEZZNS1_14partition_implILS5_5ELb0ES3_mN6thrust23THRUST_200600_302600_NS6detail15normal_iteratorINSA_10device_ptrIsEEEEPS6_NSA_18transform_iteratorINSB_9not_fun_tINSA_8identityIsEEEESF_NSA_11use_defaultESM_EENS0_5tupleIJSF_S6_EEENSO_IJSG_SG_EEES6_PlJS6_EEE10hipError_tPvRmT3_T4_T5_T6_T7_T9_mT8_P12ihipStream_tbDpT10_ENKUlT_T0_E_clISt17integral_constantIbLb1EES1B_EEDaS16_S17_EUlS16_E_NS1_11comp_targetILNS1_3genE2ELNS1_11target_archE906ELNS1_3gpuE6ELNS1_3repE0EEENS1_30default_config_static_selectorELNS0_4arch9wavefront6targetE0EEEvT1_
		.amdhsa_group_segment_fixed_size 0
		.amdhsa_private_segment_fixed_size 0
		.amdhsa_kernarg_size 136
		.amdhsa_user_sgpr_count 2
		.amdhsa_user_sgpr_dispatch_ptr 0
		.amdhsa_user_sgpr_queue_ptr 0
		.amdhsa_user_sgpr_kernarg_segment_ptr 1
		.amdhsa_user_sgpr_dispatch_id 0
		.amdhsa_user_sgpr_private_segment_size 0
		.amdhsa_wavefront_size32 1
		.amdhsa_uses_dynamic_stack 0
		.amdhsa_enable_private_segment 0
		.amdhsa_system_sgpr_workgroup_id_x 1
		.amdhsa_system_sgpr_workgroup_id_y 0
		.amdhsa_system_sgpr_workgroup_id_z 0
		.amdhsa_system_sgpr_workgroup_info 0
		.amdhsa_system_vgpr_workitem_id 0
		.amdhsa_next_free_vgpr 1
		.amdhsa_next_free_sgpr 1
		.amdhsa_reserve_vcc 0
		.amdhsa_float_round_mode_32 0
		.amdhsa_float_round_mode_16_64 0
		.amdhsa_float_denorm_mode_32 3
		.amdhsa_float_denorm_mode_16_64 3
		.amdhsa_fp16_overflow 0
		.amdhsa_workgroup_processor_mode 1
		.amdhsa_memory_ordered 1
		.amdhsa_forward_progress 1
		.amdhsa_inst_pref_size 0
		.amdhsa_round_robin_scheduling 0
		.amdhsa_exception_fp_ieee_invalid_op 0
		.amdhsa_exception_fp_denorm_src 0
		.amdhsa_exception_fp_ieee_div_zero 0
		.amdhsa_exception_fp_ieee_overflow 0
		.amdhsa_exception_fp_ieee_underflow 0
		.amdhsa_exception_fp_ieee_inexact 0
		.amdhsa_exception_int_div_zero 0
	.end_amdhsa_kernel
	.section	.text._ZN7rocprim17ROCPRIM_400000_NS6detail17trampoline_kernelINS0_14default_configENS1_25partition_config_selectorILNS1_17partition_subalgoE5EsNS0_10empty_typeEbEEZZNS1_14partition_implILS5_5ELb0ES3_mN6thrust23THRUST_200600_302600_NS6detail15normal_iteratorINSA_10device_ptrIsEEEEPS6_NSA_18transform_iteratorINSB_9not_fun_tINSA_8identityIsEEEESF_NSA_11use_defaultESM_EENS0_5tupleIJSF_S6_EEENSO_IJSG_SG_EEES6_PlJS6_EEE10hipError_tPvRmT3_T4_T5_T6_T7_T9_mT8_P12ihipStream_tbDpT10_ENKUlT_T0_E_clISt17integral_constantIbLb1EES1B_EEDaS16_S17_EUlS16_E_NS1_11comp_targetILNS1_3genE2ELNS1_11target_archE906ELNS1_3gpuE6ELNS1_3repE0EEENS1_30default_config_static_selectorELNS0_4arch9wavefront6targetE0EEEvT1_,"axG",@progbits,_ZN7rocprim17ROCPRIM_400000_NS6detail17trampoline_kernelINS0_14default_configENS1_25partition_config_selectorILNS1_17partition_subalgoE5EsNS0_10empty_typeEbEEZZNS1_14partition_implILS5_5ELb0ES3_mN6thrust23THRUST_200600_302600_NS6detail15normal_iteratorINSA_10device_ptrIsEEEEPS6_NSA_18transform_iteratorINSB_9not_fun_tINSA_8identityIsEEEESF_NSA_11use_defaultESM_EENS0_5tupleIJSF_S6_EEENSO_IJSG_SG_EEES6_PlJS6_EEE10hipError_tPvRmT3_T4_T5_T6_T7_T9_mT8_P12ihipStream_tbDpT10_ENKUlT_T0_E_clISt17integral_constantIbLb1EES1B_EEDaS16_S17_EUlS16_E_NS1_11comp_targetILNS1_3genE2ELNS1_11target_archE906ELNS1_3gpuE6ELNS1_3repE0EEENS1_30default_config_static_selectorELNS0_4arch9wavefront6targetE0EEEvT1_,comdat
.Lfunc_end1025:
	.size	_ZN7rocprim17ROCPRIM_400000_NS6detail17trampoline_kernelINS0_14default_configENS1_25partition_config_selectorILNS1_17partition_subalgoE5EsNS0_10empty_typeEbEEZZNS1_14partition_implILS5_5ELb0ES3_mN6thrust23THRUST_200600_302600_NS6detail15normal_iteratorINSA_10device_ptrIsEEEEPS6_NSA_18transform_iteratorINSB_9not_fun_tINSA_8identityIsEEEESF_NSA_11use_defaultESM_EENS0_5tupleIJSF_S6_EEENSO_IJSG_SG_EEES6_PlJS6_EEE10hipError_tPvRmT3_T4_T5_T6_T7_T9_mT8_P12ihipStream_tbDpT10_ENKUlT_T0_E_clISt17integral_constantIbLb1EES1B_EEDaS16_S17_EUlS16_E_NS1_11comp_targetILNS1_3genE2ELNS1_11target_archE906ELNS1_3gpuE6ELNS1_3repE0EEENS1_30default_config_static_selectorELNS0_4arch9wavefront6targetE0EEEvT1_, .Lfunc_end1025-_ZN7rocprim17ROCPRIM_400000_NS6detail17trampoline_kernelINS0_14default_configENS1_25partition_config_selectorILNS1_17partition_subalgoE5EsNS0_10empty_typeEbEEZZNS1_14partition_implILS5_5ELb0ES3_mN6thrust23THRUST_200600_302600_NS6detail15normal_iteratorINSA_10device_ptrIsEEEEPS6_NSA_18transform_iteratorINSB_9not_fun_tINSA_8identityIsEEEESF_NSA_11use_defaultESM_EENS0_5tupleIJSF_S6_EEENSO_IJSG_SG_EEES6_PlJS6_EEE10hipError_tPvRmT3_T4_T5_T6_T7_T9_mT8_P12ihipStream_tbDpT10_ENKUlT_T0_E_clISt17integral_constantIbLb1EES1B_EEDaS16_S17_EUlS16_E_NS1_11comp_targetILNS1_3genE2ELNS1_11target_archE906ELNS1_3gpuE6ELNS1_3repE0EEENS1_30default_config_static_selectorELNS0_4arch9wavefront6targetE0EEEvT1_
                                        ; -- End function
	.set _ZN7rocprim17ROCPRIM_400000_NS6detail17trampoline_kernelINS0_14default_configENS1_25partition_config_selectorILNS1_17partition_subalgoE5EsNS0_10empty_typeEbEEZZNS1_14partition_implILS5_5ELb0ES3_mN6thrust23THRUST_200600_302600_NS6detail15normal_iteratorINSA_10device_ptrIsEEEEPS6_NSA_18transform_iteratorINSB_9not_fun_tINSA_8identityIsEEEESF_NSA_11use_defaultESM_EENS0_5tupleIJSF_S6_EEENSO_IJSG_SG_EEES6_PlJS6_EEE10hipError_tPvRmT3_T4_T5_T6_T7_T9_mT8_P12ihipStream_tbDpT10_ENKUlT_T0_E_clISt17integral_constantIbLb1EES1B_EEDaS16_S17_EUlS16_E_NS1_11comp_targetILNS1_3genE2ELNS1_11target_archE906ELNS1_3gpuE6ELNS1_3repE0EEENS1_30default_config_static_selectorELNS0_4arch9wavefront6targetE0EEEvT1_.num_vgpr, 0
	.set _ZN7rocprim17ROCPRIM_400000_NS6detail17trampoline_kernelINS0_14default_configENS1_25partition_config_selectorILNS1_17partition_subalgoE5EsNS0_10empty_typeEbEEZZNS1_14partition_implILS5_5ELb0ES3_mN6thrust23THRUST_200600_302600_NS6detail15normal_iteratorINSA_10device_ptrIsEEEEPS6_NSA_18transform_iteratorINSB_9not_fun_tINSA_8identityIsEEEESF_NSA_11use_defaultESM_EENS0_5tupleIJSF_S6_EEENSO_IJSG_SG_EEES6_PlJS6_EEE10hipError_tPvRmT3_T4_T5_T6_T7_T9_mT8_P12ihipStream_tbDpT10_ENKUlT_T0_E_clISt17integral_constantIbLb1EES1B_EEDaS16_S17_EUlS16_E_NS1_11comp_targetILNS1_3genE2ELNS1_11target_archE906ELNS1_3gpuE6ELNS1_3repE0EEENS1_30default_config_static_selectorELNS0_4arch9wavefront6targetE0EEEvT1_.num_agpr, 0
	.set _ZN7rocprim17ROCPRIM_400000_NS6detail17trampoline_kernelINS0_14default_configENS1_25partition_config_selectorILNS1_17partition_subalgoE5EsNS0_10empty_typeEbEEZZNS1_14partition_implILS5_5ELb0ES3_mN6thrust23THRUST_200600_302600_NS6detail15normal_iteratorINSA_10device_ptrIsEEEEPS6_NSA_18transform_iteratorINSB_9not_fun_tINSA_8identityIsEEEESF_NSA_11use_defaultESM_EENS0_5tupleIJSF_S6_EEENSO_IJSG_SG_EEES6_PlJS6_EEE10hipError_tPvRmT3_T4_T5_T6_T7_T9_mT8_P12ihipStream_tbDpT10_ENKUlT_T0_E_clISt17integral_constantIbLb1EES1B_EEDaS16_S17_EUlS16_E_NS1_11comp_targetILNS1_3genE2ELNS1_11target_archE906ELNS1_3gpuE6ELNS1_3repE0EEENS1_30default_config_static_selectorELNS0_4arch9wavefront6targetE0EEEvT1_.numbered_sgpr, 0
	.set _ZN7rocprim17ROCPRIM_400000_NS6detail17trampoline_kernelINS0_14default_configENS1_25partition_config_selectorILNS1_17partition_subalgoE5EsNS0_10empty_typeEbEEZZNS1_14partition_implILS5_5ELb0ES3_mN6thrust23THRUST_200600_302600_NS6detail15normal_iteratorINSA_10device_ptrIsEEEEPS6_NSA_18transform_iteratorINSB_9not_fun_tINSA_8identityIsEEEESF_NSA_11use_defaultESM_EENS0_5tupleIJSF_S6_EEENSO_IJSG_SG_EEES6_PlJS6_EEE10hipError_tPvRmT3_T4_T5_T6_T7_T9_mT8_P12ihipStream_tbDpT10_ENKUlT_T0_E_clISt17integral_constantIbLb1EES1B_EEDaS16_S17_EUlS16_E_NS1_11comp_targetILNS1_3genE2ELNS1_11target_archE906ELNS1_3gpuE6ELNS1_3repE0EEENS1_30default_config_static_selectorELNS0_4arch9wavefront6targetE0EEEvT1_.num_named_barrier, 0
	.set _ZN7rocprim17ROCPRIM_400000_NS6detail17trampoline_kernelINS0_14default_configENS1_25partition_config_selectorILNS1_17partition_subalgoE5EsNS0_10empty_typeEbEEZZNS1_14partition_implILS5_5ELb0ES3_mN6thrust23THRUST_200600_302600_NS6detail15normal_iteratorINSA_10device_ptrIsEEEEPS6_NSA_18transform_iteratorINSB_9not_fun_tINSA_8identityIsEEEESF_NSA_11use_defaultESM_EENS0_5tupleIJSF_S6_EEENSO_IJSG_SG_EEES6_PlJS6_EEE10hipError_tPvRmT3_T4_T5_T6_T7_T9_mT8_P12ihipStream_tbDpT10_ENKUlT_T0_E_clISt17integral_constantIbLb1EES1B_EEDaS16_S17_EUlS16_E_NS1_11comp_targetILNS1_3genE2ELNS1_11target_archE906ELNS1_3gpuE6ELNS1_3repE0EEENS1_30default_config_static_selectorELNS0_4arch9wavefront6targetE0EEEvT1_.private_seg_size, 0
	.set _ZN7rocprim17ROCPRIM_400000_NS6detail17trampoline_kernelINS0_14default_configENS1_25partition_config_selectorILNS1_17partition_subalgoE5EsNS0_10empty_typeEbEEZZNS1_14partition_implILS5_5ELb0ES3_mN6thrust23THRUST_200600_302600_NS6detail15normal_iteratorINSA_10device_ptrIsEEEEPS6_NSA_18transform_iteratorINSB_9not_fun_tINSA_8identityIsEEEESF_NSA_11use_defaultESM_EENS0_5tupleIJSF_S6_EEENSO_IJSG_SG_EEES6_PlJS6_EEE10hipError_tPvRmT3_T4_T5_T6_T7_T9_mT8_P12ihipStream_tbDpT10_ENKUlT_T0_E_clISt17integral_constantIbLb1EES1B_EEDaS16_S17_EUlS16_E_NS1_11comp_targetILNS1_3genE2ELNS1_11target_archE906ELNS1_3gpuE6ELNS1_3repE0EEENS1_30default_config_static_selectorELNS0_4arch9wavefront6targetE0EEEvT1_.uses_vcc, 0
	.set _ZN7rocprim17ROCPRIM_400000_NS6detail17trampoline_kernelINS0_14default_configENS1_25partition_config_selectorILNS1_17partition_subalgoE5EsNS0_10empty_typeEbEEZZNS1_14partition_implILS5_5ELb0ES3_mN6thrust23THRUST_200600_302600_NS6detail15normal_iteratorINSA_10device_ptrIsEEEEPS6_NSA_18transform_iteratorINSB_9not_fun_tINSA_8identityIsEEEESF_NSA_11use_defaultESM_EENS0_5tupleIJSF_S6_EEENSO_IJSG_SG_EEES6_PlJS6_EEE10hipError_tPvRmT3_T4_T5_T6_T7_T9_mT8_P12ihipStream_tbDpT10_ENKUlT_T0_E_clISt17integral_constantIbLb1EES1B_EEDaS16_S17_EUlS16_E_NS1_11comp_targetILNS1_3genE2ELNS1_11target_archE906ELNS1_3gpuE6ELNS1_3repE0EEENS1_30default_config_static_selectorELNS0_4arch9wavefront6targetE0EEEvT1_.uses_flat_scratch, 0
	.set _ZN7rocprim17ROCPRIM_400000_NS6detail17trampoline_kernelINS0_14default_configENS1_25partition_config_selectorILNS1_17partition_subalgoE5EsNS0_10empty_typeEbEEZZNS1_14partition_implILS5_5ELb0ES3_mN6thrust23THRUST_200600_302600_NS6detail15normal_iteratorINSA_10device_ptrIsEEEEPS6_NSA_18transform_iteratorINSB_9not_fun_tINSA_8identityIsEEEESF_NSA_11use_defaultESM_EENS0_5tupleIJSF_S6_EEENSO_IJSG_SG_EEES6_PlJS6_EEE10hipError_tPvRmT3_T4_T5_T6_T7_T9_mT8_P12ihipStream_tbDpT10_ENKUlT_T0_E_clISt17integral_constantIbLb1EES1B_EEDaS16_S17_EUlS16_E_NS1_11comp_targetILNS1_3genE2ELNS1_11target_archE906ELNS1_3gpuE6ELNS1_3repE0EEENS1_30default_config_static_selectorELNS0_4arch9wavefront6targetE0EEEvT1_.has_dyn_sized_stack, 0
	.set _ZN7rocprim17ROCPRIM_400000_NS6detail17trampoline_kernelINS0_14default_configENS1_25partition_config_selectorILNS1_17partition_subalgoE5EsNS0_10empty_typeEbEEZZNS1_14partition_implILS5_5ELb0ES3_mN6thrust23THRUST_200600_302600_NS6detail15normal_iteratorINSA_10device_ptrIsEEEEPS6_NSA_18transform_iteratorINSB_9not_fun_tINSA_8identityIsEEEESF_NSA_11use_defaultESM_EENS0_5tupleIJSF_S6_EEENSO_IJSG_SG_EEES6_PlJS6_EEE10hipError_tPvRmT3_T4_T5_T6_T7_T9_mT8_P12ihipStream_tbDpT10_ENKUlT_T0_E_clISt17integral_constantIbLb1EES1B_EEDaS16_S17_EUlS16_E_NS1_11comp_targetILNS1_3genE2ELNS1_11target_archE906ELNS1_3gpuE6ELNS1_3repE0EEENS1_30default_config_static_selectorELNS0_4arch9wavefront6targetE0EEEvT1_.has_recursion, 0
	.set _ZN7rocprim17ROCPRIM_400000_NS6detail17trampoline_kernelINS0_14default_configENS1_25partition_config_selectorILNS1_17partition_subalgoE5EsNS0_10empty_typeEbEEZZNS1_14partition_implILS5_5ELb0ES3_mN6thrust23THRUST_200600_302600_NS6detail15normal_iteratorINSA_10device_ptrIsEEEEPS6_NSA_18transform_iteratorINSB_9not_fun_tINSA_8identityIsEEEESF_NSA_11use_defaultESM_EENS0_5tupleIJSF_S6_EEENSO_IJSG_SG_EEES6_PlJS6_EEE10hipError_tPvRmT3_T4_T5_T6_T7_T9_mT8_P12ihipStream_tbDpT10_ENKUlT_T0_E_clISt17integral_constantIbLb1EES1B_EEDaS16_S17_EUlS16_E_NS1_11comp_targetILNS1_3genE2ELNS1_11target_archE906ELNS1_3gpuE6ELNS1_3repE0EEENS1_30default_config_static_selectorELNS0_4arch9wavefront6targetE0EEEvT1_.has_indirect_call, 0
	.section	.AMDGPU.csdata,"",@progbits
; Kernel info:
; codeLenInByte = 0
; TotalNumSgprs: 0
; NumVgprs: 0
; ScratchSize: 0
; MemoryBound: 0
; FloatMode: 240
; IeeeMode: 1
; LDSByteSize: 0 bytes/workgroup (compile time only)
; SGPRBlocks: 0
; VGPRBlocks: 0
; NumSGPRsForWavesPerEU: 1
; NumVGPRsForWavesPerEU: 1
; Occupancy: 16
; WaveLimiterHint : 0
; COMPUTE_PGM_RSRC2:SCRATCH_EN: 0
; COMPUTE_PGM_RSRC2:USER_SGPR: 2
; COMPUTE_PGM_RSRC2:TRAP_HANDLER: 0
; COMPUTE_PGM_RSRC2:TGID_X_EN: 1
; COMPUTE_PGM_RSRC2:TGID_Y_EN: 0
; COMPUTE_PGM_RSRC2:TGID_Z_EN: 0
; COMPUTE_PGM_RSRC2:TIDIG_COMP_CNT: 0
	.section	.text._ZN7rocprim17ROCPRIM_400000_NS6detail17trampoline_kernelINS0_14default_configENS1_25partition_config_selectorILNS1_17partition_subalgoE5EsNS0_10empty_typeEbEEZZNS1_14partition_implILS5_5ELb0ES3_mN6thrust23THRUST_200600_302600_NS6detail15normal_iteratorINSA_10device_ptrIsEEEEPS6_NSA_18transform_iteratorINSB_9not_fun_tINSA_8identityIsEEEESF_NSA_11use_defaultESM_EENS0_5tupleIJSF_S6_EEENSO_IJSG_SG_EEES6_PlJS6_EEE10hipError_tPvRmT3_T4_T5_T6_T7_T9_mT8_P12ihipStream_tbDpT10_ENKUlT_T0_E_clISt17integral_constantIbLb1EES1B_EEDaS16_S17_EUlS16_E_NS1_11comp_targetILNS1_3genE10ELNS1_11target_archE1200ELNS1_3gpuE4ELNS1_3repE0EEENS1_30default_config_static_selectorELNS0_4arch9wavefront6targetE0EEEvT1_,"axG",@progbits,_ZN7rocprim17ROCPRIM_400000_NS6detail17trampoline_kernelINS0_14default_configENS1_25partition_config_selectorILNS1_17partition_subalgoE5EsNS0_10empty_typeEbEEZZNS1_14partition_implILS5_5ELb0ES3_mN6thrust23THRUST_200600_302600_NS6detail15normal_iteratorINSA_10device_ptrIsEEEEPS6_NSA_18transform_iteratorINSB_9not_fun_tINSA_8identityIsEEEESF_NSA_11use_defaultESM_EENS0_5tupleIJSF_S6_EEENSO_IJSG_SG_EEES6_PlJS6_EEE10hipError_tPvRmT3_T4_T5_T6_T7_T9_mT8_P12ihipStream_tbDpT10_ENKUlT_T0_E_clISt17integral_constantIbLb1EES1B_EEDaS16_S17_EUlS16_E_NS1_11comp_targetILNS1_3genE10ELNS1_11target_archE1200ELNS1_3gpuE4ELNS1_3repE0EEENS1_30default_config_static_selectorELNS0_4arch9wavefront6targetE0EEEvT1_,comdat
	.protected	_ZN7rocprim17ROCPRIM_400000_NS6detail17trampoline_kernelINS0_14default_configENS1_25partition_config_selectorILNS1_17partition_subalgoE5EsNS0_10empty_typeEbEEZZNS1_14partition_implILS5_5ELb0ES3_mN6thrust23THRUST_200600_302600_NS6detail15normal_iteratorINSA_10device_ptrIsEEEEPS6_NSA_18transform_iteratorINSB_9not_fun_tINSA_8identityIsEEEESF_NSA_11use_defaultESM_EENS0_5tupleIJSF_S6_EEENSO_IJSG_SG_EEES6_PlJS6_EEE10hipError_tPvRmT3_T4_T5_T6_T7_T9_mT8_P12ihipStream_tbDpT10_ENKUlT_T0_E_clISt17integral_constantIbLb1EES1B_EEDaS16_S17_EUlS16_E_NS1_11comp_targetILNS1_3genE10ELNS1_11target_archE1200ELNS1_3gpuE4ELNS1_3repE0EEENS1_30default_config_static_selectorELNS0_4arch9wavefront6targetE0EEEvT1_ ; -- Begin function _ZN7rocprim17ROCPRIM_400000_NS6detail17trampoline_kernelINS0_14default_configENS1_25partition_config_selectorILNS1_17partition_subalgoE5EsNS0_10empty_typeEbEEZZNS1_14partition_implILS5_5ELb0ES3_mN6thrust23THRUST_200600_302600_NS6detail15normal_iteratorINSA_10device_ptrIsEEEEPS6_NSA_18transform_iteratorINSB_9not_fun_tINSA_8identityIsEEEESF_NSA_11use_defaultESM_EENS0_5tupleIJSF_S6_EEENSO_IJSG_SG_EEES6_PlJS6_EEE10hipError_tPvRmT3_T4_T5_T6_T7_T9_mT8_P12ihipStream_tbDpT10_ENKUlT_T0_E_clISt17integral_constantIbLb1EES1B_EEDaS16_S17_EUlS16_E_NS1_11comp_targetILNS1_3genE10ELNS1_11target_archE1200ELNS1_3gpuE4ELNS1_3repE0EEENS1_30default_config_static_selectorELNS0_4arch9wavefront6targetE0EEEvT1_
	.globl	_ZN7rocprim17ROCPRIM_400000_NS6detail17trampoline_kernelINS0_14default_configENS1_25partition_config_selectorILNS1_17partition_subalgoE5EsNS0_10empty_typeEbEEZZNS1_14partition_implILS5_5ELb0ES3_mN6thrust23THRUST_200600_302600_NS6detail15normal_iteratorINSA_10device_ptrIsEEEEPS6_NSA_18transform_iteratorINSB_9not_fun_tINSA_8identityIsEEEESF_NSA_11use_defaultESM_EENS0_5tupleIJSF_S6_EEENSO_IJSG_SG_EEES6_PlJS6_EEE10hipError_tPvRmT3_T4_T5_T6_T7_T9_mT8_P12ihipStream_tbDpT10_ENKUlT_T0_E_clISt17integral_constantIbLb1EES1B_EEDaS16_S17_EUlS16_E_NS1_11comp_targetILNS1_3genE10ELNS1_11target_archE1200ELNS1_3gpuE4ELNS1_3repE0EEENS1_30default_config_static_selectorELNS0_4arch9wavefront6targetE0EEEvT1_
	.p2align	8
	.type	_ZN7rocprim17ROCPRIM_400000_NS6detail17trampoline_kernelINS0_14default_configENS1_25partition_config_selectorILNS1_17partition_subalgoE5EsNS0_10empty_typeEbEEZZNS1_14partition_implILS5_5ELb0ES3_mN6thrust23THRUST_200600_302600_NS6detail15normal_iteratorINSA_10device_ptrIsEEEEPS6_NSA_18transform_iteratorINSB_9not_fun_tINSA_8identityIsEEEESF_NSA_11use_defaultESM_EENS0_5tupleIJSF_S6_EEENSO_IJSG_SG_EEES6_PlJS6_EEE10hipError_tPvRmT3_T4_T5_T6_T7_T9_mT8_P12ihipStream_tbDpT10_ENKUlT_T0_E_clISt17integral_constantIbLb1EES1B_EEDaS16_S17_EUlS16_E_NS1_11comp_targetILNS1_3genE10ELNS1_11target_archE1200ELNS1_3gpuE4ELNS1_3repE0EEENS1_30default_config_static_selectorELNS0_4arch9wavefront6targetE0EEEvT1_,@function
_ZN7rocprim17ROCPRIM_400000_NS6detail17trampoline_kernelINS0_14default_configENS1_25partition_config_selectorILNS1_17partition_subalgoE5EsNS0_10empty_typeEbEEZZNS1_14partition_implILS5_5ELb0ES3_mN6thrust23THRUST_200600_302600_NS6detail15normal_iteratorINSA_10device_ptrIsEEEEPS6_NSA_18transform_iteratorINSB_9not_fun_tINSA_8identityIsEEEESF_NSA_11use_defaultESM_EENS0_5tupleIJSF_S6_EEENSO_IJSG_SG_EEES6_PlJS6_EEE10hipError_tPvRmT3_T4_T5_T6_T7_T9_mT8_P12ihipStream_tbDpT10_ENKUlT_T0_E_clISt17integral_constantIbLb1EES1B_EEDaS16_S17_EUlS16_E_NS1_11comp_targetILNS1_3genE10ELNS1_11target_archE1200ELNS1_3gpuE4ELNS1_3repE0EEENS1_30default_config_static_selectorELNS0_4arch9wavefront6targetE0EEEvT1_: ; @_ZN7rocprim17ROCPRIM_400000_NS6detail17trampoline_kernelINS0_14default_configENS1_25partition_config_selectorILNS1_17partition_subalgoE5EsNS0_10empty_typeEbEEZZNS1_14partition_implILS5_5ELb0ES3_mN6thrust23THRUST_200600_302600_NS6detail15normal_iteratorINSA_10device_ptrIsEEEEPS6_NSA_18transform_iteratorINSB_9not_fun_tINSA_8identityIsEEEESF_NSA_11use_defaultESM_EENS0_5tupleIJSF_S6_EEENSO_IJSG_SG_EEES6_PlJS6_EEE10hipError_tPvRmT3_T4_T5_T6_T7_T9_mT8_P12ihipStream_tbDpT10_ENKUlT_T0_E_clISt17integral_constantIbLb1EES1B_EEDaS16_S17_EUlS16_E_NS1_11comp_targetILNS1_3genE10ELNS1_11target_archE1200ELNS1_3gpuE4ELNS1_3repE0EEENS1_30default_config_static_selectorELNS0_4arch9wavefront6targetE0EEEvT1_
; %bb.0:
	s_endpgm
	.section	.rodata,"a",@progbits
	.p2align	6, 0x0
	.amdhsa_kernel _ZN7rocprim17ROCPRIM_400000_NS6detail17trampoline_kernelINS0_14default_configENS1_25partition_config_selectorILNS1_17partition_subalgoE5EsNS0_10empty_typeEbEEZZNS1_14partition_implILS5_5ELb0ES3_mN6thrust23THRUST_200600_302600_NS6detail15normal_iteratorINSA_10device_ptrIsEEEEPS6_NSA_18transform_iteratorINSB_9not_fun_tINSA_8identityIsEEEESF_NSA_11use_defaultESM_EENS0_5tupleIJSF_S6_EEENSO_IJSG_SG_EEES6_PlJS6_EEE10hipError_tPvRmT3_T4_T5_T6_T7_T9_mT8_P12ihipStream_tbDpT10_ENKUlT_T0_E_clISt17integral_constantIbLb1EES1B_EEDaS16_S17_EUlS16_E_NS1_11comp_targetILNS1_3genE10ELNS1_11target_archE1200ELNS1_3gpuE4ELNS1_3repE0EEENS1_30default_config_static_selectorELNS0_4arch9wavefront6targetE0EEEvT1_
		.amdhsa_group_segment_fixed_size 0
		.amdhsa_private_segment_fixed_size 0
		.amdhsa_kernarg_size 136
		.amdhsa_user_sgpr_count 2
		.amdhsa_user_sgpr_dispatch_ptr 0
		.amdhsa_user_sgpr_queue_ptr 0
		.amdhsa_user_sgpr_kernarg_segment_ptr 1
		.amdhsa_user_sgpr_dispatch_id 0
		.amdhsa_user_sgpr_private_segment_size 0
		.amdhsa_wavefront_size32 1
		.amdhsa_uses_dynamic_stack 0
		.amdhsa_enable_private_segment 0
		.amdhsa_system_sgpr_workgroup_id_x 1
		.amdhsa_system_sgpr_workgroup_id_y 0
		.amdhsa_system_sgpr_workgroup_id_z 0
		.amdhsa_system_sgpr_workgroup_info 0
		.amdhsa_system_vgpr_workitem_id 0
		.amdhsa_next_free_vgpr 1
		.amdhsa_next_free_sgpr 1
		.amdhsa_reserve_vcc 0
		.amdhsa_float_round_mode_32 0
		.amdhsa_float_round_mode_16_64 0
		.amdhsa_float_denorm_mode_32 3
		.amdhsa_float_denorm_mode_16_64 3
		.amdhsa_fp16_overflow 0
		.amdhsa_workgroup_processor_mode 1
		.amdhsa_memory_ordered 1
		.amdhsa_forward_progress 1
		.amdhsa_inst_pref_size 1
		.amdhsa_round_robin_scheduling 0
		.amdhsa_exception_fp_ieee_invalid_op 0
		.amdhsa_exception_fp_denorm_src 0
		.amdhsa_exception_fp_ieee_div_zero 0
		.amdhsa_exception_fp_ieee_overflow 0
		.amdhsa_exception_fp_ieee_underflow 0
		.amdhsa_exception_fp_ieee_inexact 0
		.amdhsa_exception_int_div_zero 0
	.end_amdhsa_kernel
	.section	.text._ZN7rocprim17ROCPRIM_400000_NS6detail17trampoline_kernelINS0_14default_configENS1_25partition_config_selectorILNS1_17partition_subalgoE5EsNS0_10empty_typeEbEEZZNS1_14partition_implILS5_5ELb0ES3_mN6thrust23THRUST_200600_302600_NS6detail15normal_iteratorINSA_10device_ptrIsEEEEPS6_NSA_18transform_iteratorINSB_9not_fun_tINSA_8identityIsEEEESF_NSA_11use_defaultESM_EENS0_5tupleIJSF_S6_EEENSO_IJSG_SG_EEES6_PlJS6_EEE10hipError_tPvRmT3_T4_T5_T6_T7_T9_mT8_P12ihipStream_tbDpT10_ENKUlT_T0_E_clISt17integral_constantIbLb1EES1B_EEDaS16_S17_EUlS16_E_NS1_11comp_targetILNS1_3genE10ELNS1_11target_archE1200ELNS1_3gpuE4ELNS1_3repE0EEENS1_30default_config_static_selectorELNS0_4arch9wavefront6targetE0EEEvT1_,"axG",@progbits,_ZN7rocprim17ROCPRIM_400000_NS6detail17trampoline_kernelINS0_14default_configENS1_25partition_config_selectorILNS1_17partition_subalgoE5EsNS0_10empty_typeEbEEZZNS1_14partition_implILS5_5ELb0ES3_mN6thrust23THRUST_200600_302600_NS6detail15normal_iteratorINSA_10device_ptrIsEEEEPS6_NSA_18transform_iteratorINSB_9not_fun_tINSA_8identityIsEEEESF_NSA_11use_defaultESM_EENS0_5tupleIJSF_S6_EEENSO_IJSG_SG_EEES6_PlJS6_EEE10hipError_tPvRmT3_T4_T5_T6_T7_T9_mT8_P12ihipStream_tbDpT10_ENKUlT_T0_E_clISt17integral_constantIbLb1EES1B_EEDaS16_S17_EUlS16_E_NS1_11comp_targetILNS1_3genE10ELNS1_11target_archE1200ELNS1_3gpuE4ELNS1_3repE0EEENS1_30default_config_static_selectorELNS0_4arch9wavefront6targetE0EEEvT1_,comdat
.Lfunc_end1026:
	.size	_ZN7rocprim17ROCPRIM_400000_NS6detail17trampoline_kernelINS0_14default_configENS1_25partition_config_selectorILNS1_17partition_subalgoE5EsNS0_10empty_typeEbEEZZNS1_14partition_implILS5_5ELb0ES3_mN6thrust23THRUST_200600_302600_NS6detail15normal_iteratorINSA_10device_ptrIsEEEEPS6_NSA_18transform_iteratorINSB_9not_fun_tINSA_8identityIsEEEESF_NSA_11use_defaultESM_EENS0_5tupleIJSF_S6_EEENSO_IJSG_SG_EEES6_PlJS6_EEE10hipError_tPvRmT3_T4_T5_T6_T7_T9_mT8_P12ihipStream_tbDpT10_ENKUlT_T0_E_clISt17integral_constantIbLb1EES1B_EEDaS16_S17_EUlS16_E_NS1_11comp_targetILNS1_3genE10ELNS1_11target_archE1200ELNS1_3gpuE4ELNS1_3repE0EEENS1_30default_config_static_selectorELNS0_4arch9wavefront6targetE0EEEvT1_, .Lfunc_end1026-_ZN7rocprim17ROCPRIM_400000_NS6detail17trampoline_kernelINS0_14default_configENS1_25partition_config_selectorILNS1_17partition_subalgoE5EsNS0_10empty_typeEbEEZZNS1_14partition_implILS5_5ELb0ES3_mN6thrust23THRUST_200600_302600_NS6detail15normal_iteratorINSA_10device_ptrIsEEEEPS6_NSA_18transform_iteratorINSB_9not_fun_tINSA_8identityIsEEEESF_NSA_11use_defaultESM_EENS0_5tupleIJSF_S6_EEENSO_IJSG_SG_EEES6_PlJS6_EEE10hipError_tPvRmT3_T4_T5_T6_T7_T9_mT8_P12ihipStream_tbDpT10_ENKUlT_T0_E_clISt17integral_constantIbLb1EES1B_EEDaS16_S17_EUlS16_E_NS1_11comp_targetILNS1_3genE10ELNS1_11target_archE1200ELNS1_3gpuE4ELNS1_3repE0EEENS1_30default_config_static_selectorELNS0_4arch9wavefront6targetE0EEEvT1_
                                        ; -- End function
	.set _ZN7rocprim17ROCPRIM_400000_NS6detail17trampoline_kernelINS0_14default_configENS1_25partition_config_selectorILNS1_17partition_subalgoE5EsNS0_10empty_typeEbEEZZNS1_14partition_implILS5_5ELb0ES3_mN6thrust23THRUST_200600_302600_NS6detail15normal_iteratorINSA_10device_ptrIsEEEEPS6_NSA_18transform_iteratorINSB_9not_fun_tINSA_8identityIsEEEESF_NSA_11use_defaultESM_EENS0_5tupleIJSF_S6_EEENSO_IJSG_SG_EEES6_PlJS6_EEE10hipError_tPvRmT3_T4_T5_T6_T7_T9_mT8_P12ihipStream_tbDpT10_ENKUlT_T0_E_clISt17integral_constantIbLb1EES1B_EEDaS16_S17_EUlS16_E_NS1_11comp_targetILNS1_3genE10ELNS1_11target_archE1200ELNS1_3gpuE4ELNS1_3repE0EEENS1_30default_config_static_selectorELNS0_4arch9wavefront6targetE0EEEvT1_.num_vgpr, 0
	.set _ZN7rocprim17ROCPRIM_400000_NS6detail17trampoline_kernelINS0_14default_configENS1_25partition_config_selectorILNS1_17partition_subalgoE5EsNS0_10empty_typeEbEEZZNS1_14partition_implILS5_5ELb0ES3_mN6thrust23THRUST_200600_302600_NS6detail15normal_iteratorINSA_10device_ptrIsEEEEPS6_NSA_18transform_iteratorINSB_9not_fun_tINSA_8identityIsEEEESF_NSA_11use_defaultESM_EENS0_5tupleIJSF_S6_EEENSO_IJSG_SG_EEES6_PlJS6_EEE10hipError_tPvRmT3_T4_T5_T6_T7_T9_mT8_P12ihipStream_tbDpT10_ENKUlT_T0_E_clISt17integral_constantIbLb1EES1B_EEDaS16_S17_EUlS16_E_NS1_11comp_targetILNS1_3genE10ELNS1_11target_archE1200ELNS1_3gpuE4ELNS1_3repE0EEENS1_30default_config_static_selectorELNS0_4arch9wavefront6targetE0EEEvT1_.num_agpr, 0
	.set _ZN7rocprim17ROCPRIM_400000_NS6detail17trampoline_kernelINS0_14default_configENS1_25partition_config_selectorILNS1_17partition_subalgoE5EsNS0_10empty_typeEbEEZZNS1_14partition_implILS5_5ELb0ES3_mN6thrust23THRUST_200600_302600_NS6detail15normal_iteratorINSA_10device_ptrIsEEEEPS6_NSA_18transform_iteratorINSB_9not_fun_tINSA_8identityIsEEEESF_NSA_11use_defaultESM_EENS0_5tupleIJSF_S6_EEENSO_IJSG_SG_EEES6_PlJS6_EEE10hipError_tPvRmT3_T4_T5_T6_T7_T9_mT8_P12ihipStream_tbDpT10_ENKUlT_T0_E_clISt17integral_constantIbLb1EES1B_EEDaS16_S17_EUlS16_E_NS1_11comp_targetILNS1_3genE10ELNS1_11target_archE1200ELNS1_3gpuE4ELNS1_3repE0EEENS1_30default_config_static_selectorELNS0_4arch9wavefront6targetE0EEEvT1_.numbered_sgpr, 0
	.set _ZN7rocprim17ROCPRIM_400000_NS6detail17trampoline_kernelINS0_14default_configENS1_25partition_config_selectorILNS1_17partition_subalgoE5EsNS0_10empty_typeEbEEZZNS1_14partition_implILS5_5ELb0ES3_mN6thrust23THRUST_200600_302600_NS6detail15normal_iteratorINSA_10device_ptrIsEEEEPS6_NSA_18transform_iteratorINSB_9not_fun_tINSA_8identityIsEEEESF_NSA_11use_defaultESM_EENS0_5tupleIJSF_S6_EEENSO_IJSG_SG_EEES6_PlJS6_EEE10hipError_tPvRmT3_T4_T5_T6_T7_T9_mT8_P12ihipStream_tbDpT10_ENKUlT_T0_E_clISt17integral_constantIbLb1EES1B_EEDaS16_S17_EUlS16_E_NS1_11comp_targetILNS1_3genE10ELNS1_11target_archE1200ELNS1_3gpuE4ELNS1_3repE0EEENS1_30default_config_static_selectorELNS0_4arch9wavefront6targetE0EEEvT1_.num_named_barrier, 0
	.set _ZN7rocprim17ROCPRIM_400000_NS6detail17trampoline_kernelINS0_14default_configENS1_25partition_config_selectorILNS1_17partition_subalgoE5EsNS0_10empty_typeEbEEZZNS1_14partition_implILS5_5ELb0ES3_mN6thrust23THRUST_200600_302600_NS6detail15normal_iteratorINSA_10device_ptrIsEEEEPS6_NSA_18transform_iteratorINSB_9not_fun_tINSA_8identityIsEEEESF_NSA_11use_defaultESM_EENS0_5tupleIJSF_S6_EEENSO_IJSG_SG_EEES6_PlJS6_EEE10hipError_tPvRmT3_T4_T5_T6_T7_T9_mT8_P12ihipStream_tbDpT10_ENKUlT_T0_E_clISt17integral_constantIbLb1EES1B_EEDaS16_S17_EUlS16_E_NS1_11comp_targetILNS1_3genE10ELNS1_11target_archE1200ELNS1_3gpuE4ELNS1_3repE0EEENS1_30default_config_static_selectorELNS0_4arch9wavefront6targetE0EEEvT1_.private_seg_size, 0
	.set _ZN7rocprim17ROCPRIM_400000_NS6detail17trampoline_kernelINS0_14default_configENS1_25partition_config_selectorILNS1_17partition_subalgoE5EsNS0_10empty_typeEbEEZZNS1_14partition_implILS5_5ELb0ES3_mN6thrust23THRUST_200600_302600_NS6detail15normal_iteratorINSA_10device_ptrIsEEEEPS6_NSA_18transform_iteratorINSB_9not_fun_tINSA_8identityIsEEEESF_NSA_11use_defaultESM_EENS0_5tupleIJSF_S6_EEENSO_IJSG_SG_EEES6_PlJS6_EEE10hipError_tPvRmT3_T4_T5_T6_T7_T9_mT8_P12ihipStream_tbDpT10_ENKUlT_T0_E_clISt17integral_constantIbLb1EES1B_EEDaS16_S17_EUlS16_E_NS1_11comp_targetILNS1_3genE10ELNS1_11target_archE1200ELNS1_3gpuE4ELNS1_3repE0EEENS1_30default_config_static_selectorELNS0_4arch9wavefront6targetE0EEEvT1_.uses_vcc, 0
	.set _ZN7rocprim17ROCPRIM_400000_NS6detail17trampoline_kernelINS0_14default_configENS1_25partition_config_selectorILNS1_17partition_subalgoE5EsNS0_10empty_typeEbEEZZNS1_14partition_implILS5_5ELb0ES3_mN6thrust23THRUST_200600_302600_NS6detail15normal_iteratorINSA_10device_ptrIsEEEEPS6_NSA_18transform_iteratorINSB_9not_fun_tINSA_8identityIsEEEESF_NSA_11use_defaultESM_EENS0_5tupleIJSF_S6_EEENSO_IJSG_SG_EEES6_PlJS6_EEE10hipError_tPvRmT3_T4_T5_T6_T7_T9_mT8_P12ihipStream_tbDpT10_ENKUlT_T0_E_clISt17integral_constantIbLb1EES1B_EEDaS16_S17_EUlS16_E_NS1_11comp_targetILNS1_3genE10ELNS1_11target_archE1200ELNS1_3gpuE4ELNS1_3repE0EEENS1_30default_config_static_selectorELNS0_4arch9wavefront6targetE0EEEvT1_.uses_flat_scratch, 0
	.set _ZN7rocprim17ROCPRIM_400000_NS6detail17trampoline_kernelINS0_14default_configENS1_25partition_config_selectorILNS1_17partition_subalgoE5EsNS0_10empty_typeEbEEZZNS1_14partition_implILS5_5ELb0ES3_mN6thrust23THRUST_200600_302600_NS6detail15normal_iteratorINSA_10device_ptrIsEEEEPS6_NSA_18transform_iteratorINSB_9not_fun_tINSA_8identityIsEEEESF_NSA_11use_defaultESM_EENS0_5tupleIJSF_S6_EEENSO_IJSG_SG_EEES6_PlJS6_EEE10hipError_tPvRmT3_T4_T5_T6_T7_T9_mT8_P12ihipStream_tbDpT10_ENKUlT_T0_E_clISt17integral_constantIbLb1EES1B_EEDaS16_S17_EUlS16_E_NS1_11comp_targetILNS1_3genE10ELNS1_11target_archE1200ELNS1_3gpuE4ELNS1_3repE0EEENS1_30default_config_static_selectorELNS0_4arch9wavefront6targetE0EEEvT1_.has_dyn_sized_stack, 0
	.set _ZN7rocprim17ROCPRIM_400000_NS6detail17trampoline_kernelINS0_14default_configENS1_25partition_config_selectorILNS1_17partition_subalgoE5EsNS0_10empty_typeEbEEZZNS1_14partition_implILS5_5ELb0ES3_mN6thrust23THRUST_200600_302600_NS6detail15normal_iteratorINSA_10device_ptrIsEEEEPS6_NSA_18transform_iteratorINSB_9not_fun_tINSA_8identityIsEEEESF_NSA_11use_defaultESM_EENS0_5tupleIJSF_S6_EEENSO_IJSG_SG_EEES6_PlJS6_EEE10hipError_tPvRmT3_T4_T5_T6_T7_T9_mT8_P12ihipStream_tbDpT10_ENKUlT_T0_E_clISt17integral_constantIbLb1EES1B_EEDaS16_S17_EUlS16_E_NS1_11comp_targetILNS1_3genE10ELNS1_11target_archE1200ELNS1_3gpuE4ELNS1_3repE0EEENS1_30default_config_static_selectorELNS0_4arch9wavefront6targetE0EEEvT1_.has_recursion, 0
	.set _ZN7rocprim17ROCPRIM_400000_NS6detail17trampoline_kernelINS0_14default_configENS1_25partition_config_selectorILNS1_17partition_subalgoE5EsNS0_10empty_typeEbEEZZNS1_14partition_implILS5_5ELb0ES3_mN6thrust23THRUST_200600_302600_NS6detail15normal_iteratorINSA_10device_ptrIsEEEEPS6_NSA_18transform_iteratorINSB_9not_fun_tINSA_8identityIsEEEESF_NSA_11use_defaultESM_EENS0_5tupleIJSF_S6_EEENSO_IJSG_SG_EEES6_PlJS6_EEE10hipError_tPvRmT3_T4_T5_T6_T7_T9_mT8_P12ihipStream_tbDpT10_ENKUlT_T0_E_clISt17integral_constantIbLb1EES1B_EEDaS16_S17_EUlS16_E_NS1_11comp_targetILNS1_3genE10ELNS1_11target_archE1200ELNS1_3gpuE4ELNS1_3repE0EEENS1_30default_config_static_selectorELNS0_4arch9wavefront6targetE0EEEvT1_.has_indirect_call, 0
	.section	.AMDGPU.csdata,"",@progbits
; Kernel info:
; codeLenInByte = 4
; TotalNumSgprs: 0
; NumVgprs: 0
; ScratchSize: 0
; MemoryBound: 0
; FloatMode: 240
; IeeeMode: 1
; LDSByteSize: 0 bytes/workgroup (compile time only)
; SGPRBlocks: 0
; VGPRBlocks: 0
; NumSGPRsForWavesPerEU: 1
; NumVGPRsForWavesPerEU: 1
; Occupancy: 16
; WaveLimiterHint : 0
; COMPUTE_PGM_RSRC2:SCRATCH_EN: 0
; COMPUTE_PGM_RSRC2:USER_SGPR: 2
; COMPUTE_PGM_RSRC2:TRAP_HANDLER: 0
; COMPUTE_PGM_RSRC2:TGID_X_EN: 1
; COMPUTE_PGM_RSRC2:TGID_Y_EN: 0
; COMPUTE_PGM_RSRC2:TGID_Z_EN: 0
; COMPUTE_PGM_RSRC2:TIDIG_COMP_CNT: 0
	.section	.text._ZN7rocprim17ROCPRIM_400000_NS6detail17trampoline_kernelINS0_14default_configENS1_25partition_config_selectorILNS1_17partition_subalgoE5EsNS0_10empty_typeEbEEZZNS1_14partition_implILS5_5ELb0ES3_mN6thrust23THRUST_200600_302600_NS6detail15normal_iteratorINSA_10device_ptrIsEEEEPS6_NSA_18transform_iteratorINSB_9not_fun_tINSA_8identityIsEEEESF_NSA_11use_defaultESM_EENS0_5tupleIJSF_S6_EEENSO_IJSG_SG_EEES6_PlJS6_EEE10hipError_tPvRmT3_T4_T5_T6_T7_T9_mT8_P12ihipStream_tbDpT10_ENKUlT_T0_E_clISt17integral_constantIbLb1EES1B_EEDaS16_S17_EUlS16_E_NS1_11comp_targetILNS1_3genE9ELNS1_11target_archE1100ELNS1_3gpuE3ELNS1_3repE0EEENS1_30default_config_static_selectorELNS0_4arch9wavefront6targetE0EEEvT1_,"axG",@progbits,_ZN7rocprim17ROCPRIM_400000_NS6detail17trampoline_kernelINS0_14default_configENS1_25partition_config_selectorILNS1_17partition_subalgoE5EsNS0_10empty_typeEbEEZZNS1_14partition_implILS5_5ELb0ES3_mN6thrust23THRUST_200600_302600_NS6detail15normal_iteratorINSA_10device_ptrIsEEEEPS6_NSA_18transform_iteratorINSB_9not_fun_tINSA_8identityIsEEEESF_NSA_11use_defaultESM_EENS0_5tupleIJSF_S6_EEENSO_IJSG_SG_EEES6_PlJS6_EEE10hipError_tPvRmT3_T4_T5_T6_T7_T9_mT8_P12ihipStream_tbDpT10_ENKUlT_T0_E_clISt17integral_constantIbLb1EES1B_EEDaS16_S17_EUlS16_E_NS1_11comp_targetILNS1_3genE9ELNS1_11target_archE1100ELNS1_3gpuE3ELNS1_3repE0EEENS1_30default_config_static_selectorELNS0_4arch9wavefront6targetE0EEEvT1_,comdat
	.protected	_ZN7rocprim17ROCPRIM_400000_NS6detail17trampoline_kernelINS0_14default_configENS1_25partition_config_selectorILNS1_17partition_subalgoE5EsNS0_10empty_typeEbEEZZNS1_14partition_implILS5_5ELb0ES3_mN6thrust23THRUST_200600_302600_NS6detail15normal_iteratorINSA_10device_ptrIsEEEEPS6_NSA_18transform_iteratorINSB_9not_fun_tINSA_8identityIsEEEESF_NSA_11use_defaultESM_EENS0_5tupleIJSF_S6_EEENSO_IJSG_SG_EEES6_PlJS6_EEE10hipError_tPvRmT3_T4_T5_T6_T7_T9_mT8_P12ihipStream_tbDpT10_ENKUlT_T0_E_clISt17integral_constantIbLb1EES1B_EEDaS16_S17_EUlS16_E_NS1_11comp_targetILNS1_3genE9ELNS1_11target_archE1100ELNS1_3gpuE3ELNS1_3repE0EEENS1_30default_config_static_selectorELNS0_4arch9wavefront6targetE0EEEvT1_ ; -- Begin function _ZN7rocprim17ROCPRIM_400000_NS6detail17trampoline_kernelINS0_14default_configENS1_25partition_config_selectorILNS1_17partition_subalgoE5EsNS0_10empty_typeEbEEZZNS1_14partition_implILS5_5ELb0ES3_mN6thrust23THRUST_200600_302600_NS6detail15normal_iteratorINSA_10device_ptrIsEEEEPS6_NSA_18transform_iteratorINSB_9not_fun_tINSA_8identityIsEEEESF_NSA_11use_defaultESM_EENS0_5tupleIJSF_S6_EEENSO_IJSG_SG_EEES6_PlJS6_EEE10hipError_tPvRmT3_T4_T5_T6_T7_T9_mT8_P12ihipStream_tbDpT10_ENKUlT_T0_E_clISt17integral_constantIbLb1EES1B_EEDaS16_S17_EUlS16_E_NS1_11comp_targetILNS1_3genE9ELNS1_11target_archE1100ELNS1_3gpuE3ELNS1_3repE0EEENS1_30default_config_static_selectorELNS0_4arch9wavefront6targetE0EEEvT1_
	.globl	_ZN7rocprim17ROCPRIM_400000_NS6detail17trampoline_kernelINS0_14default_configENS1_25partition_config_selectorILNS1_17partition_subalgoE5EsNS0_10empty_typeEbEEZZNS1_14partition_implILS5_5ELb0ES3_mN6thrust23THRUST_200600_302600_NS6detail15normal_iteratorINSA_10device_ptrIsEEEEPS6_NSA_18transform_iteratorINSB_9not_fun_tINSA_8identityIsEEEESF_NSA_11use_defaultESM_EENS0_5tupleIJSF_S6_EEENSO_IJSG_SG_EEES6_PlJS6_EEE10hipError_tPvRmT3_T4_T5_T6_T7_T9_mT8_P12ihipStream_tbDpT10_ENKUlT_T0_E_clISt17integral_constantIbLb1EES1B_EEDaS16_S17_EUlS16_E_NS1_11comp_targetILNS1_3genE9ELNS1_11target_archE1100ELNS1_3gpuE3ELNS1_3repE0EEENS1_30default_config_static_selectorELNS0_4arch9wavefront6targetE0EEEvT1_
	.p2align	8
	.type	_ZN7rocprim17ROCPRIM_400000_NS6detail17trampoline_kernelINS0_14default_configENS1_25partition_config_selectorILNS1_17partition_subalgoE5EsNS0_10empty_typeEbEEZZNS1_14partition_implILS5_5ELb0ES3_mN6thrust23THRUST_200600_302600_NS6detail15normal_iteratorINSA_10device_ptrIsEEEEPS6_NSA_18transform_iteratorINSB_9not_fun_tINSA_8identityIsEEEESF_NSA_11use_defaultESM_EENS0_5tupleIJSF_S6_EEENSO_IJSG_SG_EEES6_PlJS6_EEE10hipError_tPvRmT3_T4_T5_T6_T7_T9_mT8_P12ihipStream_tbDpT10_ENKUlT_T0_E_clISt17integral_constantIbLb1EES1B_EEDaS16_S17_EUlS16_E_NS1_11comp_targetILNS1_3genE9ELNS1_11target_archE1100ELNS1_3gpuE3ELNS1_3repE0EEENS1_30default_config_static_selectorELNS0_4arch9wavefront6targetE0EEEvT1_,@function
_ZN7rocprim17ROCPRIM_400000_NS6detail17trampoline_kernelINS0_14default_configENS1_25partition_config_selectorILNS1_17partition_subalgoE5EsNS0_10empty_typeEbEEZZNS1_14partition_implILS5_5ELb0ES3_mN6thrust23THRUST_200600_302600_NS6detail15normal_iteratorINSA_10device_ptrIsEEEEPS6_NSA_18transform_iteratorINSB_9not_fun_tINSA_8identityIsEEEESF_NSA_11use_defaultESM_EENS0_5tupleIJSF_S6_EEENSO_IJSG_SG_EEES6_PlJS6_EEE10hipError_tPvRmT3_T4_T5_T6_T7_T9_mT8_P12ihipStream_tbDpT10_ENKUlT_T0_E_clISt17integral_constantIbLb1EES1B_EEDaS16_S17_EUlS16_E_NS1_11comp_targetILNS1_3genE9ELNS1_11target_archE1100ELNS1_3gpuE3ELNS1_3repE0EEENS1_30default_config_static_selectorELNS0_4arch9wavefront6targetE0EEEvT1_: ; @_ZN7rocprim17ROCPRIM_400000_NS6detail17trampoline_kernelINS0_14default_configENS1_25partition_config_selectorILNS1_17partition_subalgoE5EsNS0_10empty_typeEbEEZZNS1_14partition_implILS5_5ELb0ES3_mN6thrust23THRUST_200600_302600_NS6detail15normal_iteratorINSA_10device_ptrIsEEEEPS6_NSA_18transform_iteratorINSB_9not_fun_tINSA_8identityIsEEEESF_NSA_11use_defaultESM_EENS0_5tupleIJSF_S6_EEENSO_IJSG_SG_EEES6_PlJS6_EEE10hipError_tPvRmT3_T4_T5_T6_T7_T9_mT8_P12ihipStream_tbDpT10_ENKUlT_T0_E_clISt17integral_constantIbLb1EES1B_EEDaS16_S17_EUlS16_E_NS1_11comp_targetILNS1_3genE9ELNS1_11target_archE1100ELNS1_3gpuE3ELNS1_3repE0EEENS1_30default_config_static_selectorELNS0_4arch9wavefront6targetE0EEEvT1_
; %bb.0:
	.section	.rodata,"a",@progbits
	.p2align	6, 0x0
	.amdhsa_kernel _ZN7rocprim17ROCPRIM_400000_NS6detail17trampoline_kernelINS0_14default_configENS1_25partition_config_selectorILNS1_17partition_subalgoE5EsNS0_10empty_typeEbEEZZNS1_14partition_implILS5_5ELb0ES3_mN6thrust23THRUST_200600_302600_NS6detail15normal_iteratorINSA_10device_ptrIsEEEEPS6_NSA_18transform_iteratorINSB_9not_fun_tINSA_8identityIsEEEESF_NSA_11use_defaultESM_EENS0_5tupleIJSF_S6_EEENSO_IJSG_SG_EEES6_PlJS6_EEE10hipError_tPvRmT3_T4_T5_T6_T7_T9_mT8_P12ihipStream_tbDpT10_ENKUlT_T0_E_clISt17integral_constantIbLb1EES1B_EEDaS16_S17_EUlS16_E_NS1_11comp_targetILNS1_3genE9ELNS1_11target_archE1100ELNS1_3gpuE3ELNS1_3repE0EEENS1_30default_config_static_selectorELNS0_4arch9wavefront6targetE0EEEvT1_
		.amdhsa_group_segment_fixed_size 0
		.amdhsa_private_segment_fixed_size 0
		.amdhsa_kernarg_size 136
		.amdhsa_user_sgpr_count 2
		.amdhsa_user_sgpr_dispatch_ptr 0
		.amdhsa_user_sgpr_queue_ptr 0
		.amdhsa_user_sgpr_kernarg_segment_ptr 1
		.amdhsa_user_sgpr_dispatch_id 0
		.amdhsa_user_sgpr_private_segment_size 0
		.amdhsa_wavefront_size32 1
		.amdhsa_uses_dynamic_stack 0
		.amdhsa_enable_private_segment 0
		.amdhsa_system_sgpr_workgroup_id_x 1
		.amdhsa_system_sgpr_workgroup_id_y 0
		.amdhsa_system_sgpr_workgroup_id_z 0
		.amdhsa_system_sgpr_workgroup_info 0
		.amdhsa_system_vgpr_workitem_id 0
		.amdhsa_next_free_vgpr 1
		.amdhsa_next_free_sgpr 1
		.amdhsa_reserve_vcc 0
		.amdhsa_float_round_mode_32 0
		.amdhsa_float_round_mode_16_64 0
		.amdhsa_float_denorm_mode_32 3
		.amdhsa_float_denorm_mode_16_64 3
		.amdhsa_fp16_overflow 0
		.amdhsa_workgroup_processor_mode 1
		.amdhsa_memory_ordered 1
		.amdhsa_forward_progress 1
		.amdhsa_inst_pref_size 0
		.amdhsa_round_robin_scheduling 0
		.amdhsa_exception_fp_ieee_invalid_op 0
		.amdhsa_exception_fp_denorm_src 0
		.amdhsa_exception_fp_ieee_div_zero 0
		.amdhsa_exception_fp_ieee_overflow 0
		.amdhsa_exception_fp_ieee_underflow 0
		.amdhsa_exception_fp_ieee_inexact 0
		.amdhsa_exception_int_div_zero 0
	.end_amdhsa_kernel
	.section	.text._ZN7rocprim17ROCPRIM_400000_NS6detail17trampoline_kernelINS0_14default_configENS1_25partition_config_selectorILNS1_17partition_subalgoE5EsNS0_10empty_typeEbEEZZNS1_14partition_implILS5_5ELb0ES3_mN6thrust23THRUST_200600_302600_NS6detail15normal_iteratorINSA_10device_ptrIsEEEEPS6_NSA_18transform_iteratorINSB_9not_fun_tINSA_8identityIsEEEESF_NSA_11use_defaultESM_EENS0_5tupleIJSF_S6_EEENSO_IJSG_SG_EEES6_PlJS6_EEE10hipError_tPvRmT3_T4_T5_T6_T7_T9_mT8_P12ihipStream_tbDpT10_ENKUlT_T0_E_clISt17integral_constantIbLb1EES1B_EEDaS16_S17_EUlS16_E_NS1_11comp_targetILNS1_3genE9ELNS1_11target_archE1100ELNS1_3gpuE3ELNS1_3repE0EEENS1_30default_config_static_selectorELNS0_4arch9wavefront6targetE0EEEvT1_,"axG",@progbits,_ZN7rocprim17ROCPRIM_400000_NS6detail17trampoline_kernelINS0_14default_configENS1_25partition_config_selectorILNS1_17partition_subalgoE5EsNS0_10empty_typeEbEEZZNS1_14partition_implILS5_5ELb0ES3_mN6thrust23THRUST_200600_302600_NS6detail15normal_iteratorINSA_10device_ptrIsEEEEPS6_NSA_18transform_iteratorINSB_9not_fun_tINSA_8identityIsEEEESF_NSA_11use_defaultESM_EENS0_5tupleIJSF_S6_EEENSO_IJSG_SG_EEES6_PlJS6_EEE10hipError_tPvRmT3_T4_T5_T6_T7_T9_mT8_P12ihipStream_tbDpT10_ENKUlT_T0_E_clISt17integral_constantIbLb1EES1B_EEDaS16_S17_EUlS16_E_NS1_11comp_targetILNS1_3genE9ELNS1_11target_archE1100ELNS1_3gpuE3ELNS1_3repE0EEENS1_30default_config_static_selectorELNS0_4arch9wavefront6targetE0EEEvT1_,comdat
.Lfunc_end1027:
	.size	_ZN7rocprim17ROCPRIM_400000_NS6detail17trampoline_kernelINS0_14default_configENS1_25partition_config_selectorILNS1_17partition_subalgoE5EsNS0_10empty_typeEbEEZZNS1_14partition_implILS5_5ELb0ES3_mN6thrust23THRUST_200600_302600_NS6detail15normal_iteratorINSA_10device_ptrIsEEEEPS6_NSA_18transform_iteratorINSB_9not_fun_tINSA_8identityIsEEEESF_NSA_11use_defaultESM_EENS0_5tupleIJSF_S6_EEENSO_IJSG_SG_EEES6_PlJS6_EEE10hipError_tPvRmT3_T4_T5_T6_T7_T9_mT8_P12ihipStream_tbDpT10_ENKUlT_T0_E_clISt17integral_constantIbLb1EES1B_EEDaS16_S17_EUlS16_E_NS1_11comp_targetILNS1_3genE9ELNS1_11target_archE1100ELNS1_3gpuE3ELNS1_3repE0EEENS1_30default_config_static_selectorELNS0_4arch9wavefront6targetE0EEEvT1_, .Lfunc_end1027-_ZN7rocprim17ROCPRIM_400000_NS6detail17trampoline_kernelINS0_14default_configENS1_25partition_config_selectorILNS1_17partition_subalgoE5EsNS0_10empty_typeEbEEZZNS1_14partition_implILS5_5ELb0ES3_mN6thrust23THRUST_200600_302600_NS6detail15normal_iteratorINSA_10device_ptrIsEEEEPS6_NSA_18transform_iteratorINSB_9not_fun_tINSA_8identityIsEEEESF_NSA_11use_defaultESM_EENS0_5tupleIJSF_S6_EEENSO_IJSG_SG_EEES6_PlJS6_EEE10hipError_tPvRmT3_T4_T5_T6_T7_T9_mT8_P12ihipStream_tbDpT10_ENKUlT_T0_E_clISt17integral_constantIbLb1EES1B_EEDaS16_S17_EUlS16_E_NS1_11comp_targetILNS1_3genE9ELNS1_11target_archE1100ELNS1_3gpuE3ELNS1_3repE0EEENS1_30default_config_static_selectorELNS0_4arch9wavefront6targetE0EEEvT1_
                                        ; -- End function
	.set _ZN7rocprim17ROCPRIM_400000_NS6detail17trampoline_kernelINS0_14default_configENS1_25partition_config_selectorILNS1_17partition_subalgoE5EsNS0_10empty_typeEbEEZZNS1_14partition_implILS5_5ELb0ES3_mN6thrust23THRUST_200600_302600_NS6detail15normal_iteratorINSA_10device_ptrIsEEEEPS6_NSA_18transform_iteratorINSB_9not_fun_tINSA_8identityIsEEEESF_NSA_11use_defaultESM_EENS0_5tupleIJSF_S6_EEENSO_IJSG_SG_EEES6_PlJS6_EEE10hipError_tPvRmT3_T4_T5_T6_T7_T9_mT8_P12ihipStream_tbDpT10_ENKUlT_T0_E_clISt17integral_constantIbLb1EES1B_EEDaS16_S17_EUlS16_E_NS1_11comp_targetILNS1_3genE9ELNS1_11target_archE1100ELNS1_3gpuE3ELNS1_3repE0EEENS1_30default_config_static_selectorELNS0_4arch9wavefront6targetE0EEEvT1_.num_vgpr, 0
	.set _ZN7rocprim17ROCPRIM_400000_NS6detail17trampoline_kernelINS0_14default_configENS1_25partition_config_selectorILNS1_17partition_subalgoE5EsNS0_10empty_typeEbEEZZNS1_14partition_implILS5_5ELb0ES3_mN6thrust23THRUST_200600_302600_NS6detail15normal_iteratorINSA_10device_ptrIsEEEEPS6_NSA_18transform_iteratorINSB_9not_fun_tINSA_8identityIsEEEESF_NSA_11use_defaultESM_EENS0_5tupleIJSF_S6_EEENSO_IJSG_SG_EEES6_PlJS6_EEE10hipError_tPvRmT3_T4_T5_T6_T7_T9_mT8_P12ihipStream_tbDpT10_ENKUlT_T0_E_clISt17integral_constantIbLb1EES1B_EEDaS16_S17_EUlS16_E_NS1_11comp_targetILNS1_3genE9ELNS1_11target_archE1100ELNS1_3gpuE3ELNS1_3repE0EEENS1_30default_config_static_selectorELNS0_4arch9wavefront6targetE0EEEvT1_.num_agpr, 0
	.set _ZN7rocprim17ROCPRIM_400000_NS6detail17trampoline_kernelINS0_14default_configENS1_25partition_config_selectorILNS1_17partition_subalgoE5EsNS0_10empty_typeEbEEZZNS1_14partition_implILS5_5ELb0ES3_mN6thrust23THRUST_200600_302600_NS6detail15normal_iteratorINSA_10device_ptrIsEEEEPS6_NSA_18transform_iteratorINSB_9not_fun_tINSA_8identityIsEEEESF_NSA_11use_defaultESM_EENS0_5tupleIJSF_S6_EEENSO_IJSG_SG_EEES6_PlJS6_EEE10hipError_tPvRmT3_T4_T5_T6_T7_T9_mT8_P12ihipStream_tbDpT10_ENKUlT_T0_E_clISt17integral_constantIbLb1EES1B_EEDaS16_S17_EUlS16_E_NS1_11comp_targetILNS1_3genE9ELNS1_11target_archE1100ELNS1_3gpuE3ELNS1_3repE0EEENS1_30default_config_static_selectorELNS0_4arch9wavefront6targetE0EEEvT1_.numbered_sgpr, 0
	.set _ZN7rocprim17ROCPRIM_400000_NS6detail17trampoline_kernelINS0_14default_configENS1_25partition_config_selectorILNS1_17partition_subalgoE5EsNS0_10empty_typeEbEEZZNS1_14partition_implILS5_5ELb0ES3_mN6thrust23THRUST_200600_302600_NS6detail15normal_iteratorINSA_10device_ptrIsEEEEPS6_NSA_18transform_iteratorINSB_9not_fun_tINSA_8identityIsEEEESF_NSA_11use_defaultESM_EENS0_5tupleIJSF_S6_EEENSO_IJSG_SG_EEES6_PlJS6_EEE10hipError_tPvRmT3_T4_T5_T6_T7_T9_mT8_P12ihipStream_tbDpT10_ENKUlT_T0_E_clISt17integral_constantIbLb1EES1B_EEDaS16_S17_EUlS16_E_NS1_11comp_targetILNS1_3genE9ELNS1_11target_archE1100ELNS1_3gpuE3ELNS1_3repE0EEENS1_30default_config_static_selectorELNS0_4arch9wavefront6targetE0EEEvT1_.num_named_barrier, 0
	.set _ZN7rocprim17ROCPRIM_400000_NS6detail17trampoline_kernelINS0_14default_configENS1_25partition_config_selectorILNS1_17partition_subalgoE5EsNS0_10empty_typeEbEEZZNS1_14partition_implILS5_5ELb0ES3_mN6thrust23THRUST_200600_302600_NS6detail15normal_iteratorINSA_10device_ptrIsEEEEPS6_NSA_18transform_iteratorINSB_9not_fun_tINSA_8identityIsEEEESF_NSA_11use_defaultESM_EENS0_5tupleIJSF_S6_EEENSO_IJSG_SG_EEES6_PlJS6_EEE10hipError_tPvRmT3_T4_T5_T6_T7_T9_mT8_P12ihipStream_tbDpT10_ENKUlT_T0_E_clISt17integral_constantIbLb1EES1B_EEDaS16_S17_EUlS16_E_NS1_11comp_targetILNS1_3genE9ELNS1_11target_archE1100ELNS1_3gpuE3ELNS1_3repE0EEENS1_30default_config_static_selectorELNS0_4arch9wavefront6targetE0EEEvT1_.private_seg_size, 0
	.set _ZN7rocprim17ROCPRIM_400000_NS6detail17trampoline_kernelINS0_14default_configENS1_25partition_config_selectorILNS1_17partition_subalgoE5EsNS0_10empty_typeEbEEZZNS1_14partition_implILS5_5ELb0ES3_mN6thrust23THRUST_200600_302600_NS6detail15normal_iteratorINSA_10device_ptrIsEEEEPS6_NSA_18transform_iteratorINSB_9not_fun_tINSA_8identityIsEEEESF_NSA_11use_defaultESM_EENS0_5tupleIJSF_S6_EEENSO_IJSG_SG_EEES6_PlJS6_EEE10hipError_tPvRmT3_T4_T5_T6_T7_T9_mT8_P12ihipStream_tbDpT10_ENKUlT_T0_E_clISt17integral_constantIbLb1EES1B_EEDaS16_S17_EUlS16_E_NS1_11comp_targetILNS1_3genE9ELNS1_11target_archE1100ELNS1_3gpuE3ELNS1_3repE0EEENS1_30default_config_static_selectorELNS0_4arch9wavefront6targetE0EEEvT1_.uses_vcc, 0
	.set _ZN7rocprim17ROCPRIM_400000_NS6detail17trampoline_kernelINS0_14default_configENS1_25partition_config_selectorILNS1_17partition_subalgoE5EsNS0_10empty_typeEbEEZZNS1_14partition_implILS5_5ELb0ES3_mN6thrust23THRUST_200600_302600_NS6detail15normal_iteratorINSA_10device_ptrIsEEEEPS6_NSA_18transform_iteratorINSB_9not_fun_tINSA_8identityIsEEEESF_NSA_11use_defaultESM_EENS0_5tupleIJSF_S6_EEENSO_IJSG_SG_EEES6_PlJS6_EEE10hipError_tPvRmT3_T4_T5_T6_T7_T9_mT8_P12ihipStream_tbDpT10_ENKUlT_T0_E_clISt17integral_constantIbLb1EES1B_EEDaS16_S17_EUlS16_E_NS1_11comp_targetILNS1_3genE9ELNS1_11target_archE1100ELNS1_3gpuE3ELNS1_3repE0EEENS1_30default_config_static_selectorELNS0_4arch9wavefront6targetE0EEEvT1_.uses_flat_scratch, 0
	.set _ZN7rocprim17ROCPRIM_400000_NS6detail17trampoline_kernelINS0_14default_configENS1_25partition_config_selectorILNS1_17partition_subalgoE5EsNS0_10empty_typeEbEEZZNS1_14partition_implILS5_5ELb0ES3_mN6thrust23THRUST_200600_302600_NS6detail15normal_iteratorINSA_10device_ptrIsEEEEPS6_NSA_18transform_iteratorINSB_9not_fun_tINSA_8identityIsEEEESF_NSA_11use_defaultESM_EENS0_5tupleIJSF_S6_EEENSO_IJSG_SG_EEES6_PlJS6_EEE10hipError_tPvRmT3_T4_T5_T6_T7_T9_mT8_P12ihipStream_tbDpT10_ENKUlT_T0_E_clISt17integral_constantIbLb1EES1B_EEDaS16_S17_EUlS16_E_NS1_11comp_targetILNS1_3genE9ELNS1_11target_archE1100ELNS1_3gpuE3ELNS1_3repE0EEENS1_30default_config_static_selectorELNS0_4arch9wavefront6targetE0EEEvT1_.has_dyn_sized_stack, 0
	.set _ZN7rocprim17ROCPRIM_400000_NS6detail17trampoline_kernelINS0_14default_configENS1_25partition_config_selectorILNS1_17partition_subalgoE5EsNS0_10empty_typeEbEEZZNS1_14partition_implILS5_5ELb0ES3_mN6thrust23THRUST_200600_302600_NS6detail15normal_iteratorINSA_10device_ptrIsEEEEPS6_NSA_18transform_iteratorINSB_9not_fun_tINSA_8identityIsEEEESF_NSA_11use_defaultESM_EENS0_5tupleIJSF_S6_EEENSO_IJSG_SG_EEES6_PlJS6_EEE10hipError_tPvRmT3_T4_T5_T6_T7_T9_mT8_P12ihipStream_tbDpT10_ENKUlT_T0_E_clISt17integral_constantIbLb1EES1B_EEDaS16_S17_EUlS16_E_NS1_11comp_targetILNS1_3genE9ELNS1_11target_archE1100ELNS1_3gpuE3ELNS1_3repE0EEENS1_30default_config_static_selectorELNS0_4arch9wavefront6targetE0EEEvT1_.has_recursion, 0
	.set _ZN7rocprim17ROCPRIM_400000_NS6detail17trampoline_kernelINS0_14default_configENS1_25partition_config_selectorILNS1_17partition_subalgoE5EsNS0_10empty_typeEbEEZZNS1_14partition_implILS5_5ELb0ES3_mN6thrust23THRUST_200600_302600_NS6detail15normal_iteratorINSA_10device_ptrIsEEEEPS6_NSA_18transform_iteratorINSB_9not_fun_tINSA_8identityIsEEEESF_NSA_11use_defaultESM_EENS0_5tupleIJSF_S6_EEENSO_IJSG_SG_EEES6_PlJS6_EEE10hipError_tPvRmT3_T4_T5_T6_T7_T9_mT8_P12ihipStream_tbDpT10_ENKUlT_T0_E_clISt17integral_constantIbLb1EES1B_EEDaS16_S17_EUlS16_E_NS1_11comp_targetILNS1_3genE9ELNS1_11target_archE1100ELNS1_3gpuE3ELNS1_3repE0EEENS1_30default_config_static_selectorELNS0_4arch9wavefront6targetE0EEEvT1_.has_indirect_call, 0
	.section	.AMDGPU.csdata,"",@progbits
; Kernel info:
; codeLenInByte = 0
; TotalNumSgprs: 0
; NumVgprs: 0
; ScratchSize: 0
; MemoryBound: 0
; FloatMode: 240
; IeeeMode: 1
; LDSByteSize: 0 bytes/workgroup (compile time only)
; SGPRBlocks: 0
; VGPRBlocks: 0
; NumSGPRsForWavesPerEU: 1
; NumVGPRsForWavesPerEU: 1
; Occupancy: 16
; WaveLimiterHint : 0
; COMPUTE_PGM_RSRC2:SCRATCH_EN: 0
; COMPUTE_PGM_RSRC2:USER_SGPR: 2
; COMPUTE_PGM_RSRC2:TRAP_HANDLER: 0
; COMPUTE_PGM_RSRC2:TGID_X_EN: 1
; COMPUTE_PGM_RSRC2:TGID_Y_EN: 0
; COMPUTE_PGM_RSRC2:TGID_Z_EN: 0
; COMPUTE_PGM_RSRC2:TIDIG_COMP_CNT: 0
	.section	.text._ZN7rocprim17ROCPRIM_400000_NS6detail17trampoline_kernelINS0_14default_configENS1_25partition_config_selectorILNS1_17partition_subalgoE5EsNS0_10empty_typeEbEEZZNS1_14partition_implILS5_5ELb0ES3_mN6thrust23THRUST_200600_302600_NS6detail15normal_iteratorINSA_10device_ptrIsEEEEPS6_NSA_18transform_iteratorINSB_9not_fun_tINSA_8identityIsEEEESF_NSA_11use_defaultESM_EENS0_5tupleIJSF_S6_EEENSO_IJSG_SG_EEES6_PlJS6_EEE10hipError_tPvRmT3_T4_T5_T6_T7_T9_mT8_P12ihipStream_tbDpT10_ENKUlT_T0_E_clISt17integral_constantIbLb1EES1B_EEDaS16_S17_EUlS16_E_NS1_11comp_targetILNS1_3genE8ELNS1_11target_archE1030ELNS1_3gpuE2ELNS1_3repE0EEENS1_30default_config_static_selectorELNS0_4arch9wavefront6targetE0EEEvT1_,"axG",@progbits,_ZN7rocprim17ROCPRIM_400000_NS6detail17trampoline_kernelINS0_14default_configENS1_25partition_config_selectorILNS1_17partition_subalgoE5EsNS0_10empty_typeEbEEZZNS1_14partition_implILS5_5ELb0ES3_mN6thrust23THRUST_200600_302600_NS6detail15normal_iteratorINSA_10device_ptrIsEEEEPS6_NSA_18transform_iteratorINSB_9not_fun_tINSA_8identityIsEEEESF_NSA_11use_defaultESM_EENS0_5tupleIJSF_S6_EEENSO_IJSG_SG_EEES6_PlJS6_EEE10hipError_tPvRmT3_T4_T5_T6_T7_T9_mT8_P12ihipStream_tbDpT10_ENKUlT_T0_E_clISt17integral_constantIbLb1EES1B_EEDaS16_S17_EUlS16_E_NS1_11comp_targetILNS1_3genE8ELNS1_11target_archE1030ELNS1_3gpuE2ELNS1_3repE0EEENS1_30default_config_static_selectorELNS0_4arch9wavefront6targetE0EEEvT1_,comdat
	.protected	_ZN7rocprim17ROCPRIM_400000_NS6detail17trampoline_kernelINS0_14default_configENS1_25partition_config_selectorILNS1_17partition_subalgoE5EsNS0_10empty_typeEbEEZZNS1_14partition_implILS5_5ELb0ES3_mN6thrust23THRUST_200600_302600_NS6detail15normal_iteratorINSA_10device_ptrIsEEEEPS6_NSA_18transform_iteratorINSB_9not_fun_tINSA_8identityIsEEEESF_NSA_11use_defaultESM_EENS0_5tupleIJSF_S6_EEENSO_IJSG_SG_EEES6_PlJS6_EEE10hipError_tPvRmT3_T4_T5_T6_T7_T9_mT8_P12ihipStream_tbDpT10_ENKUlT_T0_E_clISt17integral_constantIbLb1EES1B_EEDaS16_S17_EUlS16_E_NS1_11comp_targetILNS1_3genE8ELNS1_11target_archE1030ELNS1_3gpuE2ELNS1_3repE0EEENS1_30default_config_static_selectorELNS0_4arch9wavefront6targetE0EEEvT1_ ; -- Begin function _ZN7rocprim17ROCPRIM_400000_NS6detail17trampoline_kernelINS0_14default_configENS1_25partition_config_selectorILNS1_17partition_subalgoE5EsNS0_10empty_typeEbEEZZNS1_14partition_implILS5_5ELb0ES3_mN6thrust23THRUST_200600_302600_NS6detail15normal_iteratorINSA_10device_ptrIsEEEEPS6_NSA_18transform_iteratorINSB_9not_fun_tINSA_8identityIsEEEESF_NSA_11use_defaultESM_EENS0_5tupleIJSF_S6_EEENSO_IJSG_SG_EEES6_PlJS6_EEE10hipError_tPvRmT3_T4_T5_T6_T7_T9_mT8_P12ihipStream_tbDpT10_ENKUlT_T0_E_clISt17integral_constantIbLb1EES1B_EEDaS16_S17_EUlS16_E_NS1_11comp_targetILNS1_3genE8ELNS1_11target_archE1030ELNS1_3gpuE2ELNS1_3repE0EEENS1_30default_config_static_selectorELNS0_4arch9wavefront6targetE0EEEvT1_
	.globl	_ZN7rocprim17ROCPRIM_400000_NS6detail17trampoline_kernelINS0_14default_configENS1_25partition_config_selectorILNS1_17partition_subalgoE5EsNS0_10empty_typeEbEEZZNS1_14partition_implILS5_5ELb0ES3_mN6thrust23THRUST_200600_302600_NS6detail15normal_iteratorINSA_10device_ptrIsEEEEPS6_NSA_18transform_iteratorINSB_9not_fun_tINSA_8identityIsEEEESF_NSA_11use_defaultESM_EENS0_5tupleIJSF_S6_EEENSO_IJSG_SG_EEES6_PlJS6_EEE10hipError_tPvRmT3_T4_T5_T6_T7_T9_mT8_P12ihipStream_tbDpT10_ENKUlT_T0_E_clISt17integral_constantIbLb1EES1B_EEDaS16_S17_EUlS16_E_NS1_11comp_targetILNS1_3genE8ELNS1_11target_archE1030ELNS1_3gpuE2ELNS1_3repE0EEENS1_30default_config_static_selectorELNS0_4arch9wavefront6targetE0EEEvT1_
	.p2align	8
	.type	_ZN7rocprim17ROCPRIM_400000_NS6detail17trampoline_kernelINS0_14default_configENS1_25partition_config_selectorILNS1_17partition_subalgoE5EsNS0_10empty_typeEbEEZZNS1_14partition_implILS5_5ELb0ES3_mN6thrust23THRUST_200600_302600_NS6detail15normal_iteratorINSA_10device_ptrIsEEEEPS6_NSA_18transform_iteratorINSB_9not_fun_tINSA_8identityIsEEEESF_NSA_11use_defaultESM_EENS0_5tupleIJSF_S6_EEENSO_IJSG_SG_EEES6_PlJS6_EEE10hipError_tPvRmT3_T4_T5_T6_T7_T9_mT8_P12ihipStream_tbDpT10_ENKUlT_T0_E_clISt17integral_constantIbLb1EES1B_EEDaS16_S17_EUlS16_E_NS1_11comp_targetILNS1_3genE8ELNS1_11target_archE1030ELNS1_3gpuE2ELNS1_3repE0EEENS1_30default_config_static_selectorELNS0_4arch9wavefront6targetE0EEEvT1_,@function
_ZN7rocprim17ROCPRIM_400000_NS6detail17trampoline_kernelINS0_14default_configENS1_25partition_config_selectorILNS1_17partition_subalgoE5EsNS0_10empty_typeEbEEZZNS1_14partition_implILS5_5ELb0ES3_mN6thrust23THRUST_200600_302600_NS6detail15normal_iteratorINSA_10device_ptrIsEEEEPS6_NSA_18transform_iteratorINSB_9not_fun_tINSA_8identityIsEEEESF_NSA_11use_defaultESM_EENS0_5tupleIJSF_S6_EEENSO_IJSG_SG_EEES6_PlJS6_EEE10hipError_tPvRmT3_T4_T5_T6_T7_T9_mT8_P12ihipStream_tbDpT10_ENKUlT_T0_E_clISt17integral_constantIbLb1EES1B_EEDaS16_S17_EUlS16_E_NS1_11comp_targetILNS1_3genE8ELNS1_11target_archE1030ELNS1_3gpuE2ELNS1_3repE0EEENS1_30default_config_static_selectorELNS0_4arch9wavefront6targetE0EEEvT1_: ; @_ZN7rocprim17ROCPRIM_400000_NS6detail17trampoline_kernelINS0_14default_configENS1_25partition_config_selectorILNS1_17partition_subalgoE5EsNS0_10empty_typeEbEEZZNS1_14partition_implILS5_5ELb0ES3_mN6thrust23THRUST_200600_302600_NS6detail15normal_iteratorINSA_10device_ptrIsEEEEPS6_NSA_18transform_iteratorINSB_9not_fun_tINSA_8identityIsEEEESF_NSA_11use_defaultESM_EENS0_5tupleIJSF_S6_EEENSO_IJSG_SG_EEES6_PlJS6_EEE10hipError_tPvRmT3_T4_T5_T6_T7_T9_mT8_P12ihipStream_tbDpT10_ENKUlT_T0_E_clISt17integral_constantIbLb1EES1B_EEDaS16_S17_EUlS16_E_NS1_11comp_targetILNS1_3genE8ELNS1_11target_archE1030ELNS1_3gpuE2ELNS1_3repE0EEENS1_30default_config_static_selectorELNS0_4arch9wavefront6targetE0EEEvT1_
; %bb.0:
	.section	.rodata,"a",@progbits
	.p2align	6, 0x0
	.amdhsa_kernel _ZN7rocprim17ROCPRIM_400000_NS6detail17trampoline_kernelINS0_14default_configENS1_25partition_config_selectorILNS1_17partition_subalgoE5EsNS0_10empty_typeEbEEZZNS1_14partition_implILS5_5ELb0ES3_mN6thrust23THRUST_200600_302600_NS6detail15normal_iteratorINSA_10device_ptrIsEEEEPS6_NSA_18transform_iteratorINSB_9not_fun_tINSA_8identityIsEEEESF_NSA_11use_defaultESM_EENS0_5tupleIJSF_S6_EEENSO_IJSG_SG_EEES6_PlJS6_EEE10hipError_tPvRmT3_T4_T5_T6_T7_T9_mT8_P12ihipStream_tbDpT10_ENKUlT_T0_E_clISt17integral_constantIbLb1EES1B_EEDaS16_S17_EUlS16_E_NS1_11comp_targetILNS1_3genE8ELNS1_11target_archE1030ELNS1_3gpuE2ELNS1_3repE0EEENS1_30default_config_static_selectorELNS0_4arch9wavefront6targetE0EEEvT1_
		.amdhsa_group_segment_fixed_size 0
		.amdhsa_private_segment_fixed_size 0
		.amdhsa_kernarg_size 136
		.amdhsa_user_sgpr_count 2
		.amdhsa_user_sgpr_dispatch_ptr 0
		.amdhsa_user_sgpr_queue_ptr 0
		.amdhsa_user_sgpr_kernarg_segment_ptr 1
		.amdhsa_user_sgpr_dispatch_id 0
		.amdhsa_user_sgpr_private_segment_size 0
		.amdhsa_wavefront_size32 1
		.amdhsa_uses_dynamic_stack 0
		.amdhsa_enable_private_segment 0
		.amdhsa_system_sgpr_workgroup_id_x 1
		.amdhsa_system_sgpr_workgroup_id_y 0
		.amdhsa_system_sgpr_workgroup_id_z 0
		.amdhsa_system_sgpr_workgroup_info 0
		.amdhsa_system_vgpr_workitem_id 0
		.amdhsa_next_free_vgpr 1
		.amdhsa_next_free_sgpr 1
		.amdhsa_reserve_vcc 0
		.amdhsa_float_round_mode_32 0
		.amdhsa_float_round_mode_16_64 0
		.amdhsa_float_denorm_mode_32 3
		.amdhsa_float_denorm_mode_16_64 3
		.amdhsa_fp16_overflow 0
		.amdhsa_workgroup_processor_mode 1
		.amdhsa_memory_ordered 1
		.amdhsa_forward_progress 1
		.amdhsa_inst_pref_size 0
		.amdhsa_round_robin_scheduling 0
		.amdhsa_exception_fp_ieee_invalid_op 0
		.amdhsa_exception_fp_denorm_src 0
		.amdhsa_exception_fp_ieee_div_zero 0
		.amdhsa_exception_fp_ieee_overflow 0
		.amdhsa_exception_fp_ieee_underflow 0
		.amdhsa_exception_fp_ieee_inexact 0
		.amdhsa_exception_int_div_zero 0
	.end_amdhsa_kernel
	.section	.text._ZN7rocprim17ROCPRIM_400000_NS6detail17trampoline_kernelINS0_14default_configENS1_25partition_config_selectorILNS1_17partition_subalgoE5EsNS0_10empty_typeEbEEZZNS1_14partition_implILS5_5ELb0ES3_mN6thrust23THRUST_200600_302600_NS6detail15normal_iteratorINSA_10device_ptrIsEEEEPS6_NSA_18transform_iteratorINSB_9not_fun_tINSA_8identityIsEEEESF_NSA_11use_defaultESM_EENS0_5tupleIJSF_S6_EEENSO_IJSG_SG_EEES6_PlJS6_EEE10hipError_tPvRmT3_T4_T5_T6_T7_T9_mT8_P12ihipStream_tbDpT10_ENKUlT_T0_E_clISt17integral_constantIbLb1EES1B_EEDaS16_S17_EUlS16_E_NS1_11comp_targetILNS1_3genE8ELNS1_11target_archE1030ELNS1_3gpuE2ELNS1_3repE0EEENS1_30default_config_static_selectorELNS0_4arch9wavefront6targetE0EEEvT1_,"axG",@progbits,_ZN7rocprim17ROCPRIM_400000_NS6detail17trampoline_kernelINS0_14default_configENS1_25partition_config_selectorILNS1_17partition_subalgoE5EsNS0_10empty_typeEbEEZZNS1_14partition_implILS5_5ELb0ES3_mN6thrust23THRUST_200600_302600_NS6detail15normal_iteratorINSA_10device_ptrIsEEEEPS6_NSA_18transform_iteratorINSB_9not_fun_tINSA_8identityIsEEEESF_NSA_11use_defaultESM_EENS0_5tupleIJSF_S6_EEENSO_IJSG_SG_EEES6_PlJS6_EEE10hipError_tPvRmT3_T4_T5_T6_T7_T9_mT8_P12ihipStream_tbDpT10_ENKUlT_T0_E_clISt17integral_constantIbLb1EES1B_EEDaS16_S17_EUlS16_E_NS1_11comp_targetILNS1_3genE8ELNS1_11target_archE1030ELNS1_3gpuE2ELNS1_3repE0EEENS1_30default_config_static_selectorELNS0_4arch9wavefront6targetE0EEEvT1_,comdat
.Lfunc_end1028:
	.size	_ZN7rocprim17ROCPRIM_400000_NS6detail17trampoline_kernelINS0_14default_configENS1_25partition_config_selectorILNS1_17partition_subalgoE5EsNS0_10empty_typeEbEEZZNS1_14partition_implILS5_5ELb0ES3_mN6thrust23THRUST_200600_302600_NS6detail15normal_iteratorINSA_10device_ptrIsEEEEPS6_NSA_18transform_iteratorINSB_9not_fun_tINSA_8identityIsEEEESF_NSA_11use_defaultESM_EENS0_5tupleIJSF_S6_EEENSO_IJSG_SG_EEES6_PlJS6_EEE10hipError_tPvRmT3_T4_T5_T6_T7_T9_mT8_P12ihipStream_tbDpT10_ENKUlT_T0_E_clISt17integral_constantIbLb1EES1B_EEDaS16_S17_EUlS16_E_NS1_11comp_targetILNS1_3genE8ELNS1_11target_archE1030ELNS1_3gpuE2ELNS1_3repE0EEENS1_30default_config_static_selectorELNS0_4arch9wavefront6targetE0EEEvT1_, .Lfunc_end1028-_ZN7rocprim17ROCPRIM_400000_NS6detail17trampoline_kernelINS0_14default_configENS1_25partition_config_selectorILNS1_17partition_subalgoE5EsNS0_10empty_typeEbEEZZNS1_14partition_implILS5_5ELb0ES3_mN6thrust23THRUST_200600_302600_NS6detail15normal_iteratorINSA_10device_ptrIsEEEEPS6_NSA_18transform_iteratorINSB_9not_fun_tINSA_8identityIsEEEESF_NSA_11use_defaultESM_EENS0_5tupleIJSF_S6_EEENSO_IJSG_SG_EEES6_PlJS6_EEE10hipError_tPvRmT3_T4_T5_T6_T7_T9_mT8_P12ihipStream_tbDpT10_ENKUlT_T0_E_clISt17integral_constantIbLb1EES1B_EEDaS16_S17_EUlS16_E_NS1_11comp_targetILNS1_3genE8ELNS1_11target_archE1030ELNS1_3gpuE2ELNS1_3repE0EEENS1_30default_config_static_selectorELNS0_4arch9wavefront6targetE0EEEvT1_
                                        ; -- End function
	.set _ZN7rocprim17ROCPRIM_400000_NS6detail17trampoline_kernelINS0_14default_configENS1_25partition_config_selectorILNS1_17partition_subalgoE5EsNS0_10empty_typeEbEEZZNS1_14partition_implILS5_5ELb0ES3_mN6thrust23THRUST_200600_302600_NS6detail15normal_iteratorINSA_10device_ptrIsEEEEPS6_NSA_18transform_iteratorINSB_9not_fun_tINSA_8identityIsEEEESF_NSA_11use_defaultESM_EENS0_5tupleIJSF_S6_EEENSO_IJSG_SG_EEES6_PlJS6_EEE10hipError_tPvRmT3_T4_T5_T6_T7_T9_mT8_P12ihipStream_tbDpT10_ENKUlT_T0_E_clISt17integral_constantIbLb1EES1B_EEDaS16_S17_EUlS16_E_NS1_11comp_targetILNS1_3genE8ELNS1_11target_archE1030ELNS1_3gpuE2ELNS1_3repE0EEENS1_30default_config_static_selectorELNS0_4arch9wavefront6targetE0EEEvT1_.num_vgpr, 0
	.set _ZN7rocprim17ROCPRIM_400000_NS6detail17trampoline_kernelINS0_14default_configENS1_25partition_config_selectorILNS1_17partition_subalgoE5EsNS0_10empty_typeEbEEZZNS1_14partition_implILS5_5ELb0ES3_mN6thrust23THRUST_200600_302600_NS6detail15normal_iteratorINSA_10device_ptrIsEEEEPS6_NSA_18transform_iteratorINSB_9not_fun_tINSA_8identityIsEEEESF_NSA_11use_defaultESM_EENS0_5tupleIJSF_S6_EEENSO_IJSG_SG_EEES6_PlJS6_EEE10hipError_tPvRmT3_T4_T5_T6_T7_T9_mT8_P12ihipStream_tbDpT10_ENKUlT_T0_E_clISt17integral_constantIbLb1EES1B_EEDaS16_S17_EUlS16_E_NS1_11comp_targetILNS1_3genE8ELNS1_11target_archE1030ELNS1_3gpuE2ELNS1_3repE0EEENS1_30default_config_static_selectorELNS0_4arch9wavefront6targetE0EEEvT1_.num_agpr, 0
	.set _ZN7rocprim17ROCPRIM_400000_NS6detail17trampoline_kernelINS0_14default_configENS1_25partition_config_selectorILNS1_17partition_subalgoE5EsNS0_10empty_typeEbEEZZNS1_14partition_implILS5_5ELb0ES3_mN6thrust23THRUST_200600_302600_NS6detail15normal_iteratorINSA_10device_ptrIsEEEEPS6_NSA_18transform_iteratorINSB_9not_fun_tINSA_8identityIsEEEESF_NSA_11use_defaultESM_EENS0_5tupleIJSF_S6_EEENSO_IJSG_SG_EEES6_PlJS6_EEE10hipError_tPvRmT3_T4_T5_T6_T7_T9_mT8_P12ihipStream_tbDpT10_ENKUlT_T0_E_clISt17integral_constantIbLb1EES1B_EEDaS16_S17_EUlS16_E_NS1_11comp_targetILNS1_3genE8ELNS1_11target_archE1030ELNS1_3gpuE2ELNS1_3repE0EEENS1_30default_config_static_selectorELNS0_4arch9wavefront6targetE0EEEvT1_.numbered_sgpr, 0
	.set _ZN7rocprim17ROCPRIM_400000_NS6detail17trampoline_kernelINS0_14default_configENS1_25partition_config_selectorILNS1_17partition_subalgoE5EsNS0_10empty_typeEbEEZZNS1_14partition_implILS5_5ELb0ES3_mN6thrust23THRUST_200600_302600_NS6detail15normal_iteratorINSA_10device_ptrIsEEEEPS6_NSA_18transform_iteratorINSB_9not_fun_tINSA_8identityIsEEEESF_NSA_11use_defaultESM_EENS0_5tupleIJSF_S6_EEENSO_IJSG_SG_EEES6_PlJS6_EEE10hipError_tPvRmT3_T4_T5_T6_T7_T9_mT8_P12ihipStream_tbDpT10_ENKUlT_T0_E_clISt17integral_constantIbLb1EES1B_EEDaS16_S17_EUlS16_E_NS1_11comp_targetILNS1_3genE8ELNS1_11target_archE1030ELNS1_3gpuE2ELNS1_3repE0EEENS1_30default_config_static_selectorELNS0_4arch9wavefront6targetE0EEEvT1_.num_named_barrier, 0
	.set _ZN7rocprim17ROCPRIM_400000_NS6detail17trampoline_kernelINS0_14default_configENS1_25partition_config_selectorILNS1_17partition_subalgoE5EsNS0_10empty_typeEbEEZZNS1_14partition_implILS5_5ELb0ES3_mN6thrust23THRUST_200600_302600_NS6detail15normal_iteratorINSA_10device_ptrIsEEEEPS6_NSA_18transform_iteratorINSB_9not_fun_tINSA_8identityIsEEEESF_NSA_11use_defaultESM_EENS0_5tupleIJSF_S6_EEENSO_IJSG_SG_EEES6_PlJS6_EEE10hipError_tPvRmT3_T4_T5_T6_T7_T9_mT8_P12ihipStream_tbDpT10_ENKUlT_T0_E_clISt17integral_constantIbLb1EES1B_EEDaS16_S17_EUlS16_E_NS1_11comp_targetILNS1_3genE8ELNS1_11target_archE1030ELNS1_3gpuE2ELNS1_3repE0EEENS1_30default_config_static_selectorELNS0_4arch9wavefront6targetE0EEEvT1_.private_seg_size, 0
	.set _ZN7rocprim17ROCPRIM_400000_NS6detail17trampoline_kernelINS0_14default_configENS1_25partition_config_selectorILNS1_17partition_subalgoE5EsNS0_10empty_typeEbEEZZNS1_14partition_implILS5_5ELb0ES3_mN6thrust23THRUST_200600_302600_NS6detail15normal_iteratorINSA_10device_ptrIsEEEEPS6_NSA_18transform_iteratorINSB_9not_fun_tINSA_8identityIsEEEESF_NSA_11use_defaultESM_EENS0_5tupleIJSF_S6_EEENSO_IJSG_SG_EEES6_PlJS6_EEE10hipError_tPvRmT3_T4_T5_T6_T7_T9_mT8_P12ihipStream_tbDpT10_ENKUlT_T0_E_clISt17integral_constantIbLb1EES1B_EEDaS16_S17_EUlS16_E_NS1_11comp_targetILNS1_3genE8ELNS1_11target_archE1030ELNS1_3gpuE2ELNS1_3repE0EEENS1_30default_config_static_selectorELNS0_4arch9wavefront6targetE0EEEvT1_.uses_vcc, 0
	.set _ZN7rocprim17ROCPRIM_400000_NS6detail17trampoline_kernelINS0_14default_configENS1_25partition_config_selectorILNS1_17partition_subalgoE5EsNS0_10empty_typeEbEEZZNS1_14partition_implILS5_5ELb0ES3_mN6thrust23THRUST_200600_302600_NS6detail15normal_iteratorINSA_10device_ptrIsEEEEPS6_NSA_18transform_iteratorINSB_9not_fun_tINSA_8identityIsEEEESF_NSA_11use_defaultESM_EENS0_5tupleIJSF_S6_EEENSO_IJSG_SG_EEES6_PlJS6_EEE10hipError_tPvRmT3_T4_T5_T6_T7_T9_mT8_P12ihipStream_tbDpT10_ENKUlT_T0_E_clISt17integral_constantIbLb1EES1B_EEDaS16_S17_EUlS16_E_NS1_11comp_targetILNS1_3genE8ELNS1_11target_archE1030ELNS1_3gpuE2ELNS1_3repE0EEENS1_30default_config_static_selectorELNS0_4arch9wavefront6targetE0EEEvT1_.uses_flat_scratch, 0
	.set _ZN7rocprim17ROCPRIM_400000_NS6detail17trampoline_kernelINS0_14default_configENS1_25partition_config_selectorILNS1_17partition_subalgoE5EsNS0_10empty_typeEbEEZZNS1_14partition_implILS5_5ELb0ES3_mN6thrust23THRUST_200600_302600_NS6detail15normal_iteratorINSA_10device_ptrIsEEEEPS6_NSA_18transform_iteratorINSB_9not_fun_tINSA_8identityIsEEEESF_NSA_11use_defaultESM_EENS0_5tupleIJSF_S6_EEENSO_IJSG_SG_EEES6_PlJS6_EEE10hipError_tPvRmT3_T4_T5_T6_T7_T9_mT8_P12ihipStream_tbDpT10_ENKUlT_T0_E_clISt17integral_constantIbLb1EES1B_EEDaS16_S17_EUlS16_E_NS1_11comp_targetILNS1_3genE8ELNS1_11target_archE1030ELNS1_3gpuE2ELNS1_3repE0EEENS1_30default_config_static_selectorELNS0_4arch9wavefront6targetE0EEEvT1_.has_dyn_sized_stack, 0
	.set _ZN7rocprim17ROCPRIM_400000_NS6detail17trampoline_kernelINS0_14default_configENS1_25partition_config_selectorILNS1_17partition_subalgoE5EsNS0_10empty_typeEbEEZZNS1_14partition_implILS5_5ELb0ES3_mN6thrust23THRUST_200600_302600_NS6detail15normal_iteratorINSA_10device_ptrIsEEEEPS6_NSA_18transform_iteratorINSB_9not_fun_tINSA_8identityIsEEEESF_NSA_11use_defaultESM_EENS0_5tupleIJSF_S6_EEENSO_IJSG_SG_EEES6_PlJS6_EEE10hipError_tPvRmT3_T4_T5_T6_T7_T9_mT8_P12ihipStream_tbDpT10_ENKUlT_T0_E_clISt17integral_constantIbLb1EES1B_EEDaS16_S17_EUlS16_E_NS1_11comp_targetILNS1_3genE8ELNS1_11target_archE1030ELNS1_3gpuE2ELNS1_3repE0EEENS1_30default_config_static_selectorELNS0_4arch9wavefront6targetE0EEEvT1_.has_recursion, 0
	.set _ZN7rocprim17ROCPRIM_400000_NS6detail17trampoline_kernelINS0_14default_configENS1_25partition_config_selectorILNS1_17partition_subalgoE5EsNS0_10empty_typeEbEEZZNS1_14partition_implILS5_5ELb0ES3_mN6thrust23THRUST_200600_302600_NS6detail15normal_iteratorINSA_10device_ptrIsEEEEPS6_NSA_18transform_iteratorINSB_9not_fun_tINSA_8identityIsEEEESF_NSA_11use_defaultESM_EENS0_5tupleIJSF_S6_EEENSO_IJSG_SG_EEES6_PlJS6_EEE10hipError_tPvRmT3_T4_T5_T6_T7_T9_mT8_P12ihipStream_tbDpT10_ENKUlT_T0_E_clISt17integral_constantIbLb1EES1B_EEDaS16_S17_EUlS16_E_NS1_11comp_targetILNS1_3genE8ELNS1_11target_archE1030ELNS1_3gpuE2ELNS1_3repE0EEENS1_30default_config_static_selectorELNS0_4arch9wavefront6targetE0EEEvT1_.has_indirect_call, 0
	.section	.AMDGPU.csdata,"",@progbits
; Kernel info:
; codeLenInByte = 0
; TotalNumSgprs: 0
; NumVgprs: 0
; ScratchSize: 0
; MemoryBound: 0
; FloatMode: 240
; IeeeMode: 1
; LDSByteSize: 0 bytes/workgroup (compile time only)
; SGPRBlocks: 0
; VGPRBlocks: 0
; NumSGPRsForWavesPerEU: 1
; NumVGPRsForWavesPerEU: 1
; Occupancy: 16
; WaveLimiterHint : 0
; COMPUTE_PGM_RSRC2:SCRATCH_EN: 0
; COMPUTE_PGM_RSRC2:USER_SGPR: 2
; COMPUTE_PGM_RSRC2:TRAP_HANDLER: 0
; COMPUTE_PGM_RSRC2:TGID_X_EN: 1
; COMPUTE_PGM_RSRC2:TGID_Y_EN: 0
; COMPUTE_PGM_RSRC2:TGID_Z_EN: 0
; COMPUTE_PGM_RSRC2:TIDIG_COMP_CNT: 0
	.section	.text._ZN7rocprim17ROCPRIM_400000_NS6detail17trampoline_kernelINS0_14default_configENS1_25partition_config_selectorILNS1_17partition_subalgoE5EsNS0_10empty_typeEbEEZZNS1_14partition_implILS5_5ELb0ES3_mN6thrust23THRUST_200600_302600_NS6detail15normal_iteratorINSA_10device_ptrIsEEEEPS6_NSA_18transform_iteratorINSB_9not_fun_tINSA_8identityIsEEEESF_NSA_11use_defaultESM_EENS0_5tupleIJSF_S6_EEENSO_IJSG_SG_EEES6_PlJS6_EEE10hipError_tPvRmT3_T4_T5_T6_T7_T9_mT8_P12ihipStream_tbDpT10_ENKUlT_T0_E_clISt17integral_constantIbLb1EES1A_IbLb0EEEEDaS16_S17_EUlS16_E_NS1_11comp_targetILNS1_3genE0ELNS1_11target_archE4294967295ELNS1_3gpuE0ELNS1_3repE0EEENS1_30default_config_static_selectorELNS0_4arch9wavefront6targetE0EEEvT1_,"axG",@progbits,_ZN7rocprim17ROCPRIM_400000_NS6detail17trampoline_kernelINS0_14default_configENS1_25partition_config_selectorILNS1_17partition_subalgoE5EsNS0_10empty_typeEbEEZZNS1_14partition_implILS5_5ELb0ES3_mN6thrust23THRUST_200600_302600_NS6detail15normal_iteratorINSA_10device_ptrIsEEEEPS6_NSA_18transform_iteratorINSB_9not_fun_tINSA_8identityIsEEEESF_NSA_11use_defaultESM_EENS0_5tupleIJSF_S6_EEENSO_IJSG_SG_EEES6_PlJS6_EEE10hipError_tPvRmT3_T4_T5_T6_T7_T9_mT8_P12ihipStream_tbDpT10_ENKUlT_T0_E_clISt17integral_constantIbLb1EES1A_IbLb0EEEEDaS16_S17_EUlS16_E_NS1_11comp_targetILNS1_3genE0ELNS1_11target_archE4294967295ELNS1_3gpuE0ELNS1_3repE0EEENS1_30default_config_static_selectorELNS0_4arch9wavefront6targetE0EEEvT1_,comdat
	.protected	_ZN7rocprim17ROCPRIM_400000_NS6detail17trampoline_kernelINS0_14default_configENS1_25partition_config_selectorILNS1_17partition_subalgoE5EsNS0_10empty_typeEbEEZZNS1_14partition_implILS5_5ELb0ES3_mN6thrust23THRUST_200600_302600_NS6detail15normal_iteratorINSA_10device_ptrIsEEEEPS6_NSA_18transform_iteratorINSB_9not_fun_tINSA_8identityIsEEEESF_NSA_11use_defaultESM_EENS0_5tupleIJSF_S6_EEENSO_IJSG_SG_EEES6_PlJS6_EEE10hipError_tPvRmT3_T4_T5_T6_T7_T9_mT8_P12ihipStream_tbDpT10_ENKUlT_T0_E_clISt17integral_constantIbLb1EES1A_IbLb0EEEEDaS16_S17_EUlS16_E_NS1_11comp_targetILNS1_3genE0ELNS1_11target_archE4294967295ELNS1_3gpuE0ELNS1_3repE0EEENS1_30default_config_static_selectorELNS0_4arch9wavefront6targetE0EEEvT1_ ; -- Begin function _ZN7rocprim17ROCPRIM_400000_NS6detail17trampoline_kernelINS0_14default_configENS1_25partition_config_selectorILNS1_17partition_subalgoE5EsNS0_10empty_typeEbEEZZNS1_14partition_implILS5_5ELb0ES3_mN6thrust23THRUST_200600_302600_NS6detail15normal_iteratorINSA_10device_ptrIsEEEEPS6_NSA_18transform_iteratorINSB_9not_fun_tINSA_8identityIsEEEESF_NSA_11use_defaultESM_EENS0_5tupleIJSF_S6_EEENSO_IJSG_SG_EEES6_PlJS6_EEE10hipError_tPvRmT3_T4_T5_T6_T7_T9_mT8_P12ihipStream_tbDpT10_ENKUlT_T0_E_clISt17integral_constantIbLb1EES1A_IbLb0EEEEDaS16_S17_EUlS16_E_NS1_11comp_targetILNS1_3genE0ELNS1_11target_archE4294967295ELNS1_3gpuE0ELNS1_3repE0EEENS1_30default_config_static_selectorELNS0_4arch9wavefront6targetE0EEEvT1_
	.globl	_ZN7rocprim17ROCPRIM_400000_NS6detail17trampoline_kernelINS0_14default_configENS1_25partition_config_selectorILNS1_17partition_subalgoE5EsNS0_10empty_typeEbEEZZNS1_14partition_implILS5_5ELb0ES3_mN6thrust23THRUST_200600_302600_NS6detail15normal_iteratorINSA_10device_ptrIsEEEEPS6_NSA_18transform_iteratorINSB_9not_fun_tINSA_8identityIsEEEESF_NSA_11use_defaultESM_EENS0_5tupleIJSF_S6_EEENSO_IJSG_SG_EEES6_PlJS6_EEE10hipError_tPvRmT3_T4_T5_T6_T7_T9_mT8_P12ihipStream_tbDpT10_ENKUlT_T0_E_clISt17integral_constantIbLb1EES1A_IbLb0EEEEDaS16_S17_EUlS16_E_NS1_11comp_targetILNS1_3genE0ELNS1_11target_archE4294967295ELNS1_3gpuE0ELNS1_3repE0EEENS1_30default_config_static_selectorELNS0_4arch9wavefront6targetE0EEEvT1_
	.p2align	8
	.type	_ZN7rocprim17ROCPRIM_400000_NS6detail17trampoline_kernelINS0_14default_configENS1_25partition_config_selectorILNS1_17partition_subalgoE5EsNS0_10empty_typeEbEEZZNS1_14partition_implILS5_5ELb0ES3_mN6thrust23THRUST_200600_302600_NS6detail15normal_iteratorINSA_10device_ptrIsEEEEPS6_NSA_18transform_iteratorINSB_9not_fun_tINSA_8identityIsEEEESF_NSA_11use_defaultESM_EENS0_5tupleIJSF_S6_EEENSO_IJSG_SG_EEES6_PlJS6_EEE10hipError_tPvRmT3_T4_T5_T6_T7_T9_mT8_P12ihipStream_tbDpT10_ENKUlT_T0_E_clISt17integral_constantIbLb1EES1A_IbLb0EEEEDaS16_S17_EUlS16_E_NS1_11comp_targetILNS1_3genE0ELNS1_11target_archE4294967295ELNS1_3gpuE0ELNS1_3repE0EEENS1_30default_config_static_selectorELNS0_4arch9wavefront6targetE0EEEvT1_,@function
_ZN7rocprim17ROCPRIM_400000_NS6detail17trampoline_kernelINS0_14default_configENS1_25partition_config_selectorILNS1_17partition_subalgoE5EsNS0_10empty_typeEbEEZZNS1_14partition_implILS5_5ELb0ES3_mN6thrust23THRUST_200600_302600_NS6detail15normal_iteratorINSA_10device_ptrIsEEEEPS6_NSA_18transform_iteratorINSB_9not_fun_tINSA_8identityIsEEEESF_NSA_11use_defaultESM_EENS0_5tupleIJSF_S6_EEENSO_IJSG_SG_EEES6_PlJS6_EEE10hipError_tPvRmT3_T4_T5_T6_T7_T9_mT8_P12ihipStream_tbDpT10_ENKUlT_T0_E_clISt17integral_constantIbLb1EES1A_IbLb0EEEEDaS16_S17_EUlS16_E_NS1_11comp_targetILNS1_3genE0ELNS1_11target_archE4294967295ELNS1_3gpuE0ELNS1_3repE0EEENS1_30default_config_static_selectorELNS0_4arch9wavefront6targetE0EEEvT1_: ; @_ZN7rocprim17ROCPRIM_400000_NS6detail17trampoline_kernelINS0_14default_configENS1_25partition_config_selectorILNS1_17partition_subalgoE5EsNS0_10empty_typeEbEEZZNS1_14partition_implILS5_5ELb0ES3_mN6thrust23THRUST_200600_302600_NS6detail15normal_iteratorINSA_10device_ptrIsEEEEPS6_NSA_18transform_iteratorINSB_9not_fun_tINSA_8identityIsEEEESF_NSA_11use_defaultESM_EENS0_5tupleIJSF_S6_EEENSO_IJSG_SG_EEES6_PlJS6_EEE10hipError_tPvRmT3_T4_T5_T6_T7_T9_mT8_P12ihipStream_tbDpT10_ENKUlT_T0_E_clISt17integral_constantIbLb1EES1A_IbLb0EEEEDaS16_S17_EUlS16_E_NS1_11comp_targetILNS1_3genE0ELNS1_11target_archE4294967295ELNS1_3gpuE0ELNS1_3repE0EEENS1_30default_config_static_selectorELNS0_4arch9wavefront6targetE0EEEvT1_
; %bb.0:
	.section	.rodata,"a",@progbits
	.p2align	6, 0x0
	.amdhsa_kernel _ZN7rocprim17ROCPRIM_400000_NS6detail17trampoline_kernelINS0_14default_configENS1_25partition_config_selectorILNS1_17partition_subalgoE5EsNS0_10empty_typeEbEEZZNS1_14partition_implILS5_5ELb0ES3_mN6thrust23THRUST_200600_302600_NS6detail15normal_iteratorINSA_10device_ptrIsEEEEPS6_NSA_18transform_iteratorINSB_9not_fun_tINSA_8identityIsEEEESF_NSA_11use_defaultESM_EENS0_5tupleIJSF_S6_EEENSO_IJSG_SG_EEES6_PlJS6_EEE10hipError_tPvRmT3_T4_T5_T6_T7_T9_mT8_P12ihipStream_tbDpT10_ENKUlT_T0_E_clISt17integral_constantIbLb1EES1A_IbLb0EEEEDaS16_S17_EUlS16_E_NS1_11comp_targetILNS1_3genE0ELNS1_11target_archE4294967295ELNS1_3gpuE0ELNS1_3repE0EEENS1_30default_config_static_selectorELNS0_4arch9wavefront6targetE0EEEvT1_
		.amdhsa_group_segment_fixed_size 0
		.amdhsa_private_segment_fixed_size 0
		.amdhsa_kernarg_size 120
		.amdhsa_user_sgpr_count 2
		.amdhsa_user_sgpr_dispatch_ptr 0
		.amdhsa_user_sgpr_queue_ptr 0
		.amdhsa_user_sgpr_kernarg_segment_ptr 1
		.amdhsa_user_sgpr_dispatch_id 0
		.amdhsa_user_sgpr_private_segment_size 0
		.amdhsa_wavefront_size32 1
		.amdhsa_uses_dynamic_stack 0
		.amdhsa_enable_private_segment 0
		.amdhsa_system_sgpr_workgroup_id_x 1
		.amdhsa_system_sgpr_workgroup_id_y 0
		.amdhsa_system_sgpr_workgroup_id_z 0
		.amdhsa_system_sgpr_workgroup_info 0
		.amdhsa_system_vgpr_workitem_id 0
		.amdhsa_next_free_vgpr 1
		.amdhsa_next_free_sgpr 1
		.amdhsa_reserve_vcc 0
		.amdhsa_float_round_mode_32 0
		.amdhsa_float_round_mode_16_64 0
		.amdhsa_float_denorm_mode_32 3
		.amdhsa_float_denorm_mode_16_64 3
		.amdhsa_fp16_overflow 0
		.amdhsa_workgroup_processor_mode 1
		.amdhsa_memory_ordered 1
		.amdhsa_forward_progress 1
		.amdhsa_inst_pref_size 0
		.amdhsa_round_robin_scheduling 0
		.amdhsa_exception_fp_ieee_invalid_op 0
		.amdhsa_exception_fp_denorm_src 0
		.amdhsa_exception_fp_ieee_div_zero 0
		.amdhsa_exception_fp_ieee_overflow 0
		.amdhsa_exception_fp_ieee_underflow 0
		.amdhsa_exception_fp_ieee_inexact 0
		.amdhsa_exception_int_div_zero 0
	.end_amdhsa_kernel
	.section	.text._ZN7rocprim17ROCPRIM_400000_NS6detail17trampoline_kernelINS0_14default_configENS1_25partition_config_selectorILNS1_17partition_subalgoE5EsNS0_10empty_typeEbEEZZNS1_14partition_implILS5_5ELb0ES3_mN6thrust23THRUST_200600_302600_NS6detail15normal_iteratorINSA_10device_ptrIsEEEEPS6_NSA_18transform_iteratorINSB_9not_fun_tINSA_8identityIsEEEESF_NSA_11use_defaultESM_EENS0_5tupleIJSF_S6_EEENSO_IJSG_SG_EEES6_PlJS6_EEE10hipError_tPvRmT3_T4_T5_T6_T7_T9_mT8_P12ihipStream_tbDpT10_ENKUlT_T0_E_clISt17integral_constantIbLb1EES1A_IbLb0EEEEDaS16_S17_EUlS16_E_NS1_11comp_targetILNS1_3genE0ELNS1_11target_archE4294967295ELNS1_3gpuE0ELNS1_3repE0EEENS1_30default_config_static_selectorELNS0_4arch9wavefront6targetE0EEEvT1_,"axG",@progbits,_ZN7rocprim17ROCPRIM_400000_NS6detail17trampoline_kernelINS0_14default_configENS1_25partition_config_selectorILNS1_17partition_subalgoE5EsNS0_10empty_typeEbEEZZNS1_14partition_implILS5_5ELb0ES3_mN6thrust23THRUST_200600_302600_NS6detail15normal_iteratorINSA_10device_ptrIsEEEEPS6_NSA_18transform_iteratorINSB_9not_fun_tINSA_8identityIsEEEESF_NSA_11use_defaultESM_EENS0_5tupleIJSF_S6_EEENSO_IJSG_SG_EEES6_PlJS6_EEE10hipError_tPvRmT3_T4_T5_T6_T7_T9_mT8_P12ihipStream_tbDpT10_ENKUlT_T0_E_clISt17integral_constantIbLb1EES1A_IbLb0EEEEDaS16_S17_EUlS16_E_NS1_11comp_targetILNS1_3genE0ELNS1_11target_archE4294967295ELNS1_3gpuE0ELNS1_3repE0EEENS1_30default_config_static_selectorELNS0_4arch9wavefront6targetE0EEEvT1_,comdat
.Lfunc_end1029:
	.size	_ZN7rocprim17ROCPRIM_400000_NS6detail17trampoline_kernelINS0_14default_configENS1_25partition_config_selectorILNS1_17partition_subalgoE5EsNS0_10empty_typeEbEEZZNS1_14partition_implILS5_5ELb0ES3_mN6thrust23THRUST_200600_302600_NS6detail15normal_iteratorINSA_10device_ptrIsEEEEPS6_NSA_18transform_iteratorINSB_9not_fun_tINSA_8identityIsEEEESF_NSA_11use_defaultESM_EENS0_5tupleIJSF_S6_EEENSO_IJSG_SG_EEES6_PlJS6_EEE10hipError_tPvRmT3_T4_T5_T6_T7_T9_mT8_P12ihipStream_tbDpT10_ENKUlT_T0_E_clISt17integral_constantIbLb1EES1A_IbLb0EEEEDaS16_S17_EUlS16_E_NS1_11comp_targetILNS1_3genE0ELNS1_11target_archE4294967295ELNS1_3gpuE0ELNS1_3repE0EEENS1_30default_config_static_selectorELNS0_4arch9wavefront6targetE0EEEvT1_, .Lfunc_end1029-_ZN7rocprim17ROCPRIM_400000_NS6detail17trampoline_kernelINS0_14default_configENS1_25partition_config_selectorILNS1_17partition_subalgoE5EsNS0_10empty_typeEbEEZZNS1_14partition_implILS5_5ELb0ES3_mN6thrust23THRUST_200600_302600_NS6detail15normal_iteratorINSA_10device_ptrIsEEEEPS6_NSA_18transform_iteratorINSB_9not_fun_tINSA_8identityIsEEEESF_NSA_11use_defaultESM_EENS0_5tupleIJSF_S6_EEENSO_IJSG_SG_EEES6_PlJS6_EEE10hipError_tPvRmT3_T4_T5_T6_T7_T9_mT8_P12ihipStream_tbDpT10_ENKUlT_T0_E_clISt17integral_constantIbLb1EES1A_IbLb0EEEEDaS16_S17_EUlS16_E_NS1_11comp_targetILNS1_3genE0ELNS1_11target_archE4294967295ELNS1_3gpuE0ELNS1_3repE0EEENS1_30default_config_static_selectorELNS0_4arch9wavefront6targetE0EEEvT1_
                                        ; -- End function
	.set _ZN7rocprim17ROCPRIM_400000_NS6detail17trampoline_kernelINS0_14default_configENS1_25partition_config_selectorILNS1_17partition_subalgoE5EsNS0_10empty_typeEbEEZZNS1_14partition_implILS5_5ELb0ES3_mN6thrust23THRUST_200600_302600_NS6detail15normal_iteratorINSA_10device_ptrIsEEEEPS6_NSA_18transform_iteratorINSB_9not_fun_tINSA_8identityIsEEEESF_NSA_11use_defaultESM_EENS0_5tupleIJSF_S6_EEENSO_IJSG_SG_EEES6_PlJS6_EEE10hipError_tPvRmT3_T4_T5_T6_T7_T9_mT8_P12ihipStream_tbDpT10_ENKUlT_T0_E_clISt17integral_constantIbLb1EES1A_IbLb0EEEEDaS16_S17_EUlS16_E_NS1_11comp_targetILNS1_3genE0ELNS1_11target_archE4294967295ELNS1_3gpuE0ELNS1_3repE0EEENS1_30default_config_static_selectorELNS0_4arch9wavefront6targetE0EEEvT1_.num_vgpr, 0
	.set _ZN7rocprim17ROCPRIM_400000_NS6detail17trampoline_kernelINS0_14default_configENS1_25partition_config_selectorILNS1_17partition_subalgoE5EsNS0_10empty_typeEbEEZZNS1_14partition_implILS5_5ELb0ES3_mN6thrust23THRUST_200600_302600_NS6detail15normal_iteratorINSA_10device_ptrIsEEEEPS6_NSA_18transform_iteratorINSB_9not_fun_tINSA_8identityIsEEEESF_NSA_11use_defaultESM_EENS0_5tupleIJSF_S6_EEENSO_IJSG_SG_EEES6_PlJS6_EEE10hipError_tPvRmT3_T4_T5_T6_T7_T9_mT8_P12ihipStream_tbDpT10_ENKUlT_T0_E_clISt17integral_constantIbLb1EES1A_IbLb0EEEEDaS16_S17_EUlS16_E_NS1_11comp_targetILNS1_3genE0ELNS1_11target_archE4294967295ELNS1_3gpuE0ELNS1_3repE0EEENS1_30default_config_static_selectorELNS0_4arch9wavefront6targetE0EEEvT1_.num_agpr, 0
	.set _ZN7rocprim17ROCPRIM_400000_NS6detail17trampoline_kernelINS0_14default_configENS1_25partition_config_selectorILNS1_17partition_subalgoE5EsNS0_10empty_typeEbEEZZNS1_14partition_implILS5_5ELb0ES3_mN6thrust23THRUST_200600_302600_NS6detail15normal_iteratorINSA_10device_ptrIsEEEEPS6_NSA_18transform_iteratorINSB_9not_fun_tINSA_8identityIsEEEESF_NSA_11use_defaultESM_EENS0_5tupleIJSF_S6_EEENSO_IJSG_SG_EEES6_PlJS6_EEE10hipError_tPvRmT3_T4_T5_T6_T7_T9_mT8_P12ihipStream_tbDpT10_ENKUlT_T0_E_clISt17integral_constantIbLb1EES1A_IbLb0EEEEDaS16_S17_EUlS16_E_NS1_11comp_targetILNS1_3genE0ELNS1_11target_archE4294967295ELNS1_3gpuE0ELNS1_3repE0EEENS1_30default_config_static_selectorELNS0_4arch9wavefront6targetE0EEEvT1_.numbered_sgpr, 0
	.set _ZN7rocprim17ROCPRIM_400000_NS6detail17trampoline_kernelINS0_14default_configENS1_25partition_config_selectorILNS1_17partition_subalgoE5EsNS0_10empty_typeEbEEZZNS1_14partition_implILS5_5ELb0ES3_mN6thrust23THRUST_200600_302600_NS6detail15normal_iteratorINSA_10device_ptrIsEEEEPS6_NSA_18transform_iteratorINSB_9not_fun_tINSA_8identityIsEEEESF_NSA_11use_defaultESM_EENS0_5tupleIJSF_S6_EEENSO_IJSG_SG_EEES6_PlJS6_EEE10hipError_tPvRmT3_T4_T5_T6_T7_T9_mT8_P12ihipStream_tbDpT10_ENKUlT_T0_E_clISt17integral_constantIbLb1EES1A_IbLb0EEEEDaS16_S17_EUlS16_E_NS1_11comp_targetILNS1_3genE0ELNS1_11target_archE4294967295ELNS1_3gpuE0ELNS1_3repE0EEENS1_30default_config_static_selectorELNS0_4arch9wavefront6targetE0EEEvT1_.num_named_barrier, 0
	.set _ZN7rocprim17ROCPRIM_400000_NS6detail17trampoline_kernelINS0_14default_configENS1_25partition_config_selectorILNS1_17partition_subalgoE5EsNS0_10empty_typeEbEEZZNS1_14partition_implILS5_5ELb0ES3_mN6thrust23THRUST_200600_302600_NS6detail15normal_iteratorINSA_10device_ptrIsEEEEPS6_NSA_18transform_iteratorINSB_9not_fun_tINSA_8identityIsEEEESF_NSA_11use_defaultESM_EENS0_5tupleIJSF_S6_EEENSO_IJSG_SG_EEES6_PlJS6_EEE10hipError_tPvRmT3_T4_T5_T6_T7_T9_mT8_P12ihipStream_tbDpT10_ENKUlT_T0_E_clISt17integral_constantIbLb1EES1A_IbLb0EEEEDaS16_S17_EUlS16_E_NS1_11comp_targetILNS1_3genE0ELNS1_11target_archE4294967295ELNS1_3gpuE0ELNS1_3repE0EEENS1_30default_config_static_selectorELNS0_4arch9wavefront6targetE0EEEvT1_.private_seg_size, 0
	.set _ZN7rocprim17ROCPRIM_400000_NS6detail17trampoline_kernelINS0_14default_configENS1_25partition_config_selectorILNS1_17partition_subalgoE5EsNS0_10empty_typeEbEEZZNS1_14partition_implILS5_5ELb0ES3_mN6thrust23THRUST_200600_302600_NS6detail15normal_iteratorINSA_10device_ptrIsEEEEPS6_NSA_18transform_iteratorINSB_9not_fun_tINSA_8identityIsEEEESF_NSA_11use_defaultESM_EENS0_5tupleIJSF_S6_EEENSO_IJSG_SG_EEES6_PlJS6_EEE10hipError_tPvRmT3_T4_T5_T6_T7_T9_mT8_P12ihipStream_tbDpT10_ENKUlT_T0_E_clISt17integral_constantIbLb1EES1A_IbLb0EEEEDaS16_S17_EUlS16_E_NS1_11comp_targetILNS1_3genE0ELNS1_11target_archE4294967295ELNS1_3gpuE0ELNS1_3repE0EEENS1_30default_config_static_selectorELNS0_4arch9wavefront6targetE0EEEvT1_.uses_vcc, 0
	.set _ZN7rocprim17ROCPRIM_400000_NS6detail17trampoline_kernelINS0_14default_configENS1_25partition_config_selectorILNS1_17partition_subalgoE5EsNS0_10empty_typeEbEEZZNS1_14partition_implILS5_5ELb0ES3_mN6thrust23THRUST_200600_302600_NS6detail15normal_iteratorINSA_10device_ptrIsEEEEPS6_NSA_18transform_iteratorINSB_9not_fun_tINSA_8identityIsEEEESF_NSA_11use_defaultESM_EENS0_5tupleIJSF_S6_EEENSO_IJSG_SG_EEES6_PlJS6_EEE10hipError_tPvRmT3_T4_T5_T6_T7_T9_mT8_P12ihipStream_tbDpT10_ENKUlT_T0_E_clISt17integral_constantIbLb1EES1A_IbLb0EEEEDaS16_S17_EUlS16_E_NS1_11comp_targetILNS1_3genE0ELNS1_11target_archE4294967295ELNS1_3gpuE0ELNS1_3repE0EEENS1_30default_config_static_selectorELNS0_4arch9wavefront6targetE0EEEvT1_.uses_flat_scratch, 0
	.set _ZN7rocprim17ROCPRIM_400000_NS6detail17trampoline_kernelINS0_14default_configENS1_25partition_config_selectorILNS1_17partition_subalgoE5EsNS0_10empty_typeEbEEZZNS1_14partition_implILS5_5ELb0ES3_mN6thrust23THRUST_200600_302600_NS6detail15normal_iteratorINSA_10device_ptrIsEEEEPS6_NSA_18transform_iteratorINSB_9not_fun_tINSA_8identityIsEEEESF_NSA_11use_defaultESM_EENS0_5tupleIJSF_S6_EEENSO_IJSG_SG_EEES6_PlJS6_EEE10hipError_tPvRmT3_T4_T5_T6_T7_T9_mT8_P12ihipStream_tbDpT10_ENKUlT_T0_E_clISt17integral_constantIbLb1EES1A_IbLb0EEEEDaS16_S17_EUlS16_E_NS1_11comp_targetILNS1_3genE0ELNS1_11target_archE4294967295ELNS1_3gpuE0ELNS1_3repE0EEENS1_30default_config_static_selectorELNS0_4arch9wavefront6targetE0EEEvT1_.has_dyn_sized_stack, 0
	.set _ZN7rocprim17ROCPRIM_400000_NS6detail17trampoline_kernelINS0_14default_configENS1_25partition_config_selectorILNS1_17partition_subalgoE5EsNS0_10empty_typeEbEEZZNS1_14partition_implILS5_5ELb0ES3_mN6thrust23THRUST_200600_302600_NS6detail15normal_iteratorINSA_10device_ptrIsEEEEPS6_NSA_18transform_iteratorINSB_9not_fun_tINSA_8identityIsEEEESF_NSA_11use_defaultESM_EENS0_5tupleIJSF_S6_EEENSO_IJSG_SG_EEES6_PlJS6_EEE10hipError_tPvRmT3_T4_T5_T6_T7_T9_mT8_P12ihipStream_tbDpT10_ENKUlT_T0_E_clISt17integral_constantIbLb1EES1A_IbLb0EEEEDaS16_S17_EUlS16_E_NS1_11comp_targetILNS1_3genE0ELNS1_11target_archE4294967295ELNS1_3gpuE0ELNS1_3repE0EEENS1_30default_config_static_selectorELNS0_4arch9wavefront6targetE0EEEvT1_.has_recursion, 0
	.set _ZN7rocprim17ROCPRIM_400000_NS6detail17trampoline_kernelINS0_14default_configENS1_25partition_config_selectorILNS1_17partition_subalgoE5EsNS0_10empty_typeEbEEZZNS1_14partition_implILS5_5ELb0ES3_mN6thrust23THRUST_200600_302600_NS6detail15normal_iteratorINSA_10device_ptrIsEEEEPS6_NSA_18transform_iteratorINSB_9not_fun_tINSA_8identityIsEEEESF_NSA_11use_defaultESM_EENS0_5tupleIJSF_S6_EEENSO_IJSG_SG_EEES6_PlJS6_EEE10hipError_tPvRmT3_T4_T5_T6_T7_T9_mT8_P12ihipStream_tbDpT10_ENKUlT_T0_E_clISt17integral_constantIbLb1EES1A_IbLb0EEEEDaS16_S17_EUlS16_E_NS1_11comp_targetILNS1_3genE0ELNS1_11target_archE4294967295ELNS1_3gpuE0ELNS1_3repE0EEENS1_30default_config_static_selectorELNS0_4arch9wavefront6targetE0EEEvT1_.has_indirect_call, 0
	.section	.AMDGPU.csdata,"",@progbits
; Kernel info:
; codeLenInByte = 0
; TotalNumSgprs: 0
; NumVgprs: 0
; ScratchSize: 0
; MemoryBound: 0
; FloatMode: 240
; IeeeMode: 1
; LDSByteSize: 0 bytes/workgroup (compile time only)
; SGPRBlocks: 0
; VGPRBlocks: 0
; NumSGPRsForWavesPerEU: 1
; NumVGPRsForWavesPerEU: 1
; Occupancy: 16
; WaveLimiterHint : 0
; COMPUTE_PGM_RSRC2:SCRATCH_EN: 0
; COMPUTE_PGM_RSRC2:USER_SGPR: 2
; COMPUTE_PGM_RSRC2:TRAP_HANDLER: 0
; COMPUTE_PGM_RSRC2:TGID_X_EN: 1
; COMPUTE_PGM_RSRC2:TGID_Y_EN: 0
; COMPUTE_PGM_RSRC2:TGID_Z_EN: 0
; COMPUTE_PGM_RSRC2:TIDIG_COMP_CNT: 0
	.section	.text._ZN7rocprim17ROCPRIM_400000_NS6detail17trampoline_kernelINS0_14default_configENS1_25partition_config_selectorILNS1_17partition_subalgoE5EsNS0_10empty_typeEbEEZZNS1_14partition_implILS5_5ELb0ES3_mN6thrust23THRUST_200600_302600_NS6detail15normal_iteratorINSA_10device_ptrIsEEEEPS6_NSA_18transform_iteratorINSB_9not_fun_tINSA_8identityIsEEEESF_NSA_11use_defaultESM_EENS0_5tupleIJSF_S6_EEENSO_IJSG_SG_EEES6_PlJS6_EEE10hipError_tPvRmT3_T4_T5_T6_T7_T9_mT8_P12ihipStream_tbDpT10_ENKUlT_T0_E_clISt17integral_constantIbLb1EES1A_IbLb0EEEEDaS16_S17_EUlS16_E_NS1_11comp_targetILNS1_3genE5ELNS1_11target_archE942ELNS1_3gpuE9ELNS1_3repE0EEENS1_30default_config_static_selectorELNS0_4arch9wavefront6targetE0EEEvT1_,"axG",@progbits,_ZN7rocprim17ROCPRIM_400000_NS6detail17trampoline_kernelINS0_14default_configENS1_25partition_config_selectorILNS1_17partition_subalgoE5EsNS0_10empty_typeEbEEZZNS1_14partition_implILS5_5ELb0ES3_mN6thrust23THRUST_200600_302600_NS6detail15normal_iteratorINSA_10device_ptrIsEEEEPS6_NSA_18transform_iteratorINSB_9not_fun_tINSA_8identityIsEEEESF_NSA_11use_defaultESM_EENS0_5tupleIJSF_S6_EEENSO_IJSG_SG_EEES6_PlJS6_EEE10hipError_tPvRmT3_T4_T5_T6_T7_T9_mT8_P12ihipStream_tbDpT10_ENKUlT_T0_E_clISt17integral_constantIbLb1EES1A_IbLb0EEEEDaS16_S17_EUlS16_E_NS1_11comp_targetILNS1_3genE5ELNS1_11target_archE942ELNS1_3gpuE9ELNS1_3repE0EEENS1_30default_config_static_selectorELNS0_4arch9wavefront6targetE0EEEvT1_,comdat
	.protected	_ZN7rocprim17ROCPRIM_400000_NS6detail17trampoline_kernelINS0_14default_configENS1_25partition_config_selectorILNS1_17partition_subalgoE5EsNS0_10empty_typeEbEEZZNS1_14partition_implILS5_5ELb0ES3_mN6thrust23THRUST_200600_302600_NS6detail15normal_iteratorINSA_10device_ptrIsEEEEPS6_NSA_18transform_iteratorINSB_9not_fun_tINSA_8identityIsEEEESF_NSA_11use_defaultESM_EENS0_5tupleIJSF_S6_EEENSO_IJSG_SG_EEES6_PlJS6_EEE10hipError_tPvRmT3_T4_T5_T6_T7_T9_mT8_P12ihipStream_tbDpT10_ENKUlT_T0_E_clISt17integral_constantIbLb1EES1A_IbLb0EEEEDaS16_S17_EUlS16_E_NS1_11comp_targetILNS1_3genE5ELNS1_11target_archE942ELNS1_3gpuE9ELNS1_3repE0EEENS1_30default_config_static_selectorELNS0_4arch9wavefront6targetE0EEEvT1_ ; -- Begin function _ZN7rocprim17ROCPRIM_400000_NS6detail17trampoline_kernelINS0_14default_configENS1_25partition_config_selectorILNS1_17partition_subalgoE5EsNS0_10empty_typeEbEEZZNS1_14partition_implILS5_5ELb0ES3_mN6thrust23THRUST_200600_302600_NS6detail15normal_iteratorINSA_10device_ptrIsEEEEPS6_NSA_18transform_iteratorINSB_9not_fun_tINSA_8identityIsEEEESF_NSA_11use_defaultESM_EENS0_5tupleIJSF_S6_EEENSO_IJSG_SG_EEES6_PlJS6_EEE10hipError_tPvRmT3_T4_T5_T6_T7_T9_mT8_P12ihipStream_tbDpT10_ENKUlT_T0_E_clISt17integral_constantIbLb1EES1A_IbLb0EEEEDaS16_S17_EUlS16_E_NS1_11comp_targetILNS1_3genE5ELNS1_11target_archE942ELNS1_3gpuE9ELNS1_3repE0EEENS1_30default_config_static_selectorELNS0_4arch9wavefront6targetE0EEEvT1_
	.globl	_ZN7rocprim17ROCPRIM_400000_NS6detail17trampoline_kernelINS0_14default_configENS1_25partition_config_selectorILNS1_17partition_subalgoE5EsNS0_10empty_typeEbEEZZNS1_14partition_implILS5_5ELb0ES3_mN6thrust23THRUST_200600_302600_NS6detail15normal_iteratorINSA_10device_ptrIsEEEEPS6_NSA_18transform_iteratorINSB_9not_fun_tINSA_8identityIsEEEESF_NSA_11use_defaultESM_EENS0_5tupleIJSF_S6_EEENSO_IJSG_SG_EEES6_PlJS6_EEE10hipError_tPvRmT3_T4_T5_T6_T7_T9_mT8_P12ihipStream_tbDpT10_ENKUlT_T0_E_clISt17integral_constantIbLb1EES1A_IbLb0EEEEDaS16_S17_EUlS16_E_NS1_11comp_targetILNS1_3genE5ELNS1_11target_archE942ELNS1_3gpuE9ELNS1_3repE0EEENS1_30default_config_static_selectorELNS0_4arch9wavefront6targetE0EEEvT1_
	.p2align	8
	.type	_ZN7rocprim17ROCPRIM_400000_NS6detail17trampoline_kernelINS0_14default_configENS1_25partition_config_selectorILNS1_17partition_subalgoE5EsNS0_10empty_typeEbEEZZNS1_14partition_implILS5_5ELb0ES3_mN6thrust23THRUST_200600_302600_NS6detail15normal_iteratorINSA_10device_ptrIsEEEEPS6_NSA_18transform_iteratorINSB_9not_fun_tINSA_8identityIsEEEESF_NSA_11use_defaultESM_EENS0_5tupleIJSF_S6_EEENSO_IJSG_SG_EEES6_PlJS6_EEE10hipError_tPvRmT3_T4_T5_T6_T7_T9_mT8_P12ihipStream_tbDpT10_ENKUlT_T0_E_clISt17integral_constantIbLb1EES1A_IbLb0EEEEDaS16_S17_EUlS16_E_NS1_11comp_targetILNS1_3genE5ELNS1_11target_archE942ELNS1_3gpuE9ELNS1_3repE0EEENS1_30default_config_static_selectorELNS0_4arch9wavefront6targetE0EEEvT1_,@function
_ZN7rocprim17ROCPRIM_400000_NS6detail17trampoline_kernelINS0_14default_configENS1_25partition_config_selectorILNS1_17partition_subalgoE5EsNS0_10empty_typeEbEEZZNS1_14partition_implILS5_5ELb0ES3_mN6thrust23THRUST_200600_302600_NS6detail15normal_iteratorINSA_10device_ptrIsEEEEPS6_NSA_18transform_iteratorINSB_9not_fun_tINSA_8identityIsEEEESF_NSA_11use_defaultESM_EENS0_5tupleIJSF_S6_EEENSO_IJSG_SG_EEES6_PlJS6_EEE10hipError_tPvRmT3_T4_T5_T6_T7_T9_mT8_P12ihipStream_tbDpT10_ENKUlT_T0_E_clISt17integral_constantIbLb1EES1A_IbLb0EEEEDaS16_S17_EUlS16_E_NS1_11comp_targetILNS1_3genE5ELNS1_11target_archE942ELNS1_3gpuE9ELNS1_3repE0EEENS1_30default_config_static_selectorELNS0_4arch9wavefront6targetE0EEEvT1_: ; @_ZN7rocprim17ROCPRIM_400000_NS6detail17trampoline_kernelINS0_14default_configENS1_25partition_config_selectorILNS1_17partition_subalgoE5EsNS0_10empty_typeEbEEZZNS1_14partition_implILS5_5ELb0ES3_mN6thrust23THRUST_200600_302600_NS6detail15normal_iteratorINSA_10device_ptrIsEEEEPS6_NSA_18transform_iteratorINSB_9not_fun_tINSA_8identityIsEEEESF_NSA_11use_defaultESM_EENS0_5tupleIJSF_S6_EEENSO_IJSG_SG_EEES6_PlJS6_EEE10hipError_tPvRmT3_T4_T5_T6_T7_T9_mT8_P12ihipStream_tbDpT10_ENKUlT_T0_E_clISt17integral_constantIbLb1EES1A_IbLb0EEEEDaS16_S17_EUlS16_E_NS1_11comp_targetILNS1_3genE5ELNS1_11target_archE942ELNS1_3gpuE9ELNS1_3repE0EEENS1_30default_config_static_selectorELNS0_4arch9wavefront6targetE0EEEvT1_
; %bb.0:
	.section	.rodata,"a",@progbits
	.p2align	6, 0x0
	.amdhsa_kernel _ZN7rocprim17ROCPRIM_400000_NS6detail17trampoline_kernelINS0_14default_configENS1_25partition_config_selectorILNS1_17partition_subalgoE5EsNS0_10empty_typeEbEEZZNS1_14partition_implILS5_5ELb0ES3_mN6thrust23THRUST_200600_302600_NS6detail15normal_iteratorINSA_10device_ptrIsEEEEPS6_NSA_18transform_iteratorINSB_9not_fun_tINSA_8identityIsEEEESF_NSA_11use_defaultESM_EENS0_5tupleIJSF_S6_EEENSO_IJSG_SG_EEES6_PlJS6_EEE10hipError_tPvRmT3_T4_T5_T6_T7_T9_mT8_P12ihipStream_tbDpT10_ENKUlT_T0_E_clISt17integral_constantIbLb1EES1A_IbLb0EEEEDaS16_S17_EUlS16_E_NS1_11comp_targetILNS1_3genE5ELNS1_11target_archE942ELNS1_3gpuE9ELNS1_3repE0EEENS1_30default_config_static_selectorELNS0_4arch9wavefront6targetE0EEEvT1_
		.amdhsa_group_segment_fixed_size 0
		.amdhsa_private_segment_fixed_size 0
		.amdhsa_kernarg_size 120
		.amdhsa_user_sgpr_count 2
		.amdhsa_user_sgpr_dispatch_ptr 0
		.amdhsa_user_sgpr_queue_ptr 0
		.amdhsa_user_sgpr_kernarg_segment_ptr 1
		.amdhsa_user_sgpr_dispatch_id 0
		.amdhsa_user_sgpr_private_segment_size 0
		.amdhsa_wavefront_size32 1
		.amdhsa_uses_dynamic_stack 0
		.amdhsa_enable_private_segment 0
		.amdhsa_system_sgpr_workgroup_id_x 1
		.amdhsa_system_sgpr_workgroup_id_y 0
		.amdhsa_system_sgpr_workgroup_id_z 0
		.amdhsa_system_sgpr_workgroup_info 0
		.amdhsa_system_vgpr_workitem_id 0
		.amdhsa_next_free_vgpr 1
		.amdhsa_next_free_sgpr 1
		.amdhsa_reserve_vcc 0
		.amdhsa_float_round_mode_32 0
		.amdhsa_float_round_mode_16_64 0
		.amdhsa_float_denorm_mode_32 3
		.amdhsa_float_denorm_mode_16_64 3
		.amdhsa_fp16_overflow 0
		.amdhsa_workgroup_processor_mode 1
		.amdhsa_memory_ordered 1
		.amdhsa_forward_progress 1
		.amdhsa_inst_pref_size 0
		.amdhsa_round_robin_scheduling 0
		.amdhsa_exception_fp_ieee_invalid_op 0
		.amdhsa_exception_fp_denorm_src 0
		.amdhsa_exception_fp_ieee_div_zero 0
		.amdhsa_exception_fp_ieee_overflow 0
		.amdhsa_exception_fp_ieee_underflow 0
		.amdhsa_exception_fp_ieee_inexact 0
		.amdhsa_exception_int_div_zero 0
	.end_amdhsa_kernel
	.section	.text._ZN7rocprim17ROCPRIM_400000_NS6detail17trampoline_kernelINS0_14default_configENS1_25partition_config_selectorILNS1_17partition_subalgoE5EsNS0_10empty_typeEbEEZZNS1_14partition_implILS5_5ELb0ES3_mN6thrust23THRUST_200600_302600_NS6detail15normal_iteratorINSA_10device_ptrIsEEEEPS6_NSA_18transform_iteratorINSB_9not_fun_tINSA_8identityIsEEEESF_NSA_11use_defaultESM_EENS0_5tupleIJSF_S6_EEENSO_IJSG_SG_EEES6_PlJS6_EEE10hipError_tPvRmT3_T4_T5_T6_T7_T9_mT8_P12ihipStream_tbDpT10_ENKUlT_T0_E_clISt17integral_constantIbLb1EES1A_IbLb0EEEEDaS16_S17_EUlS16_E_NS1_11comp_targetILNS1_3genE5ELNS1_11target_archE942ELNS1_3gpuE9ELNS1_3repE0EEENS1_30default_config_static_selectorELNS0_4arch9wavefront6targetE0EEEvT1_,"axG",@progbits,_ZN7rocprim17ROCPRIM_400000_NS6detail17trampoline_kernelINS0_14default_configENS1_25partition_config_selectorILNS1_17partition_subalgoE5EsNS0_10empty_typeEbEEZZNS1_14partition_implILS5_5ELb0ES3_mN6thrust23THRUST_200600_302600_NS6detail15normal_iteratorINSA_10device_ptrIsEEEEPS6_NSA_18transform_iteratorINSB_9not_fun_tINSA_8identityIsEEEESF_NSA_11use_defaultESM_EENS0_5tupleIJSF_S6_EEENSO_IJSG_SG_EEES6_PlJS6_EEE10hipError_tPvRmT3_T4_T5_T6_T7_T9_mT8_P12ihipStream_tbDpT10_ENKUlT_T0_E_clISt17integral_constantIbLb1EES1A_IbLb0EEEEDaS16_S17_EUlS16_E_NS1_11comp_targetILNS1_3genE5ELNS1_11target_archE942ELNS1_3gpuE9ELNS1_3repE0EEENS1_30default_config_static_selectorELNS0_4arch9wavefront6targetE0EEEvT1_,comdat
.Lfunc_end1030:
	.size	_ZN7rocprim17ROCPRIM_400000_NS6detail17trampoline_kernelINS0_14default_configENS1_25partition_config_selectorILNS1_17partition_subalgoE5EsNS0_10empty_typeEbEEZZNS1_14partition_implILS5_5ELb0ES3_mN6thrust23THRUST_200600_302600_NS6detail15normal_iteratorINSA_10device_ptrIsEEEEPS6_NSA_18transform_iteratorINSB_9not_fun_tINSA_8identityIsEEEESF_NSA_11use_defaultESM_EENS0_5tupleIJSF_S6_EEENSO_IJSG_SG_EEES6_PlJS6_EEE10hipError_tPvRmT3_T4_T5_T6_T7_T9_mT8_P12ihipStream_tbDpT10_ENKUlT_T0_E_clISt17integral_constantIbLb1EES1A_IbLb0EEEEDaS16_S17_EUlS16_E_NS1_11comp_targetILNS1_3genE5ELNS1_11target_archE942ELNS1_3gpuE9ELNS1_3repE0EEENS1_30default_config_static_selectorELNS0_4arch9wavefront6targetE0EEEvT1_, .Lfunc_end1030-_ZN7rocprim17ROCPRIM_400000_NS6detail17trampoline_kernelINS0_14default_configENS1_25partition_config_selectorILNS1_17partition_subalgoE5EsNS0_10empty_typeEbEEZZNS1_14partition_implILS5_5ELb0ES3_mN6thrust23THRUST_200600_302600_NS6detail15normal_iteratorINSA_10device_ptrIsEEEEPS6_NSA_18transform_iteratorINSB_9not_fun_tINSA_8identityIsEEEESF_NSA_11use_defaultESM_EENS0_5tupleIJSF_S6_EEENSO_IJSG_SG_EEES6_PlJS6_EEE10hipError_tPvRmT3_T4_T5_T6_T7_T9_mT8_P12ihipStream_tbDpT10_ENKUlT_T0_E_clISt17integral_constantIbLb1EES1A_IbLb0EEEEDaS16_S17_EUlS16_E_NS1_11comp_targetILNS1_3genE5ELNS1_11target_archE942ELNS1_3gpuE9ELNS1_3repE0EEENS1_30default_config_static_selectorELNS0_4arch9wavefront6targetE0EEEvT1_
                                        ; -- End function
	.set _ZN7rocprim17ROCPRIM_400000_NS6detail17trampoline_kernelINS0_14default_configENS1_25partition_config_selectorILNS1_17partition_subalgoE5EsNS0_10empty_typeEbEEZZNS1_14partition_implILS5_5ELb0ES3_mN6thrust23THRUST_200600_302600_NS6detail15normal_iteratorINSA_10device_ptrIsEEEEPS6_NSA_18transform_iteratorINSB_9not_fun_tINSA_8identityIsEEEESF_NSA_11use_defaultESM_EENS0_5tupleIJSF_S6_EEENSO_IJSG_SG_EEES6_PlJS6_EEE10hipError_tPvRmT3_T4_T5_T6_T7_T9_mT8_P12ihipStream_tbDpT10_ENKUlT_T0_E_clISt17integral_constantIbLb1EES1A_IbLb0EEEEDaS16_S17_EUlS16_E_NS1_11comp_targetILNS1_3genE5ELNS1_11target_archE942ELNS1_3gpuE9ELNS1_3repE0EEENS1_30default_config_static_selectorELNS0_4arch9wavefront6targetE0EEEvT1_.num_vgpr, 0
	.set _ZN7rocprim17ROCPRIM_400000_NS6detail17trampoline_kernelINS0_14default_configENS1_25partition_config_selectorILNS1_17partition_subalgoE5EsNS0_10empty_typeEbEEZZNS1_14partition_implILS5_5ELb0ES3_mN6thrust23THRUST_200600_302600_NS6detail15normal_iteratorINSA_10device_ptrIsEEEEPS6_NSA_18transform_iteratorINSB_9not_fun_tINSA_8identityIsEEEESF_NSA_11use_defaultESM_EENS0_5tupleIJSF_S6_EEENSO_IJSG_SG_EEES6_PlJS6_EEE10hipError_tPvRmT3_T4_T5_T6_T7_T9_mT8_P12ihipStream_tbDpT10_ENKUlT_T0_E_clISt17integral_constantIbLb1EES1A_IbLb0EEEEDaS16_S17_EUlS16_E_NS1_11comp_targetILNS1_3genE5ELNS1_11target_archE942ELNS1_3gpuE9ELNS1_3repE0EEENS1_30default_config_static_selectorELNS0_4arch9wavefront6targetE0EEEvT1_.num_agpr, 0
	.set _ZN7rocprim17ROCPRIM_400000_NS6detail17trampoline_kernelINS0_14default_configENS1_25partition_config_selectorILNS1_17partition_subalgoE5EsNS0_10empty_typeEbEEZZNS1_14partition_implILS5_5ELb0ES3_mN6thrust23THRUST_200600_302600_NS6detail15normal_iteratorINSA_10device_ptrIsEEEEPS6_NSA_18transform_iteratorINSB_9not_fun_tINSA_8identityIsEEEESF_NSA_11use_defaultESM_EENS0_5tupleIJSF_S6_EEENSO_IJSG_SG_EEES6_PlJS6_EEE10hipError_tPvRmT3_T4_T5_T6_T7_T9_mT8_P12ihipStream_tbDpT10_ENKUlT_T0_E_clISt17integral_constantIbLb1EES1A_IbLb0EEEEDaS16_S17_EUlS16_E_NS1_11comp_targetILNS1_3genE5ELNS1_11target_archE942ELNS1_3gpuE9ELNS1_3repE0EEENS1_30default_config_static_selectorELNS0_4arch9wavefront6targetE0EEEvT1_.numbered_sgpr, 0
	.set _ZN7rocprim17ROCPRIM_400000_NS6detail17trampoline_kernelINS0_14default_configENS1_25partition_config_selectorILNS1_17partition_subalgoE5EsNS0_10empty_typeEbEEZZNS1_14partition_implILS5_5ELb0ES3_mN6thrust23THRUST_200600_302600_NS6detail15normal_iteratorINSA_10device_ptrIsEEEEPS6_NSA_18transform_iteratorINSB_9not_fun_tINSA_8identityIsEEEESF_NSA_11use_defaultESM_EENS0_5tupleIJSF_S6_EEENSO_IJSG_SG_EEES6_PlJS6_EEE10hipError_tPvRmT3_T4_T5_T6_T7_T9_mT8_P12ihipStream_tbDpT10_ENKUlT_T0_E_clISt17integral_constantIbLb1EES1A_IbLb0EEEEDaS16_S17_EUlS16_E_NS1_11comp_targetILNS1_3genE5ELNS1_11target_archE942ELNS1_3gpuE9ELNS1_3repE0EEENS1_30default_config_static_selectorELNS0_4arch9wavefront6targetE0EEEvT1_.num_named_barrier, 0
	.set _ZN7rocprim17ROCPRIM_400000_NS6detail17trampoline_kernelINS0_14default_configENS1_25partition_config_selectorILNS1_17partition_subalgoE5EsNS0_10empty_typeEbEEZZNS1_14partition_implILS5_5ELb0ES3_mN6thrust23THRUST_200600_302600_NS6detail15normal_iteratorINSA_10device_ptrIsEEEEPS6_NSA_18transform_iteratorINSB_9not_fun_tINSA_8identityIsEEEESF_NSA_11use_defaultESM_EENS0_5tupleIJSF_S6_EEENSO_IJSG_SG_EEES6_PlJS6_EEE10hipError_tPvRmT3_T4_T5_T6_T7_T9_mT8_P12ihipStream_tbDpT10_ENKUlT_T0_E_clISt17integral_constantIbLb1EES1A_IbLb0EEEEDaS16_S17_EUlS16_E_NS1_11comp_targetILNS1_3genE5ELNS1_11target_archE942ELNS1_3gpuE9ELNS1_3repE0EEENS1_30default_config_static_selectorELNS0_4arch9wavefront6targetE0EEEvT1_.private_seg_size, 0
	.set _ZN7rocprim17ROCPRIM_400000_NS6detail17trampoline_kernelINS0_14default_configENS1_25partition_config_selectorILNS1_17partition_subalgoE5EsNS0_10empty_typeEbEEZZNS1_14partition_implILS5_5ELb0ES3_mN6thrust23THRUST_200600_302600_NS6detail15normal_iteratorINSA_10device_ptrIsEEEEPS6_NSA_18transform_iteratorINSB_9not_fun_tINSA_8identityIsEEEESF_NSA_11use_defaultESM_EENS0_5tupleIJSF_S6_EEENSO_IJSG_SG_EEES6_PlJS6_EEE10hipError_tPvRmT3_T4_T5_T6_T7_T9_mT8_P12ihipStream_tbDpT10_ENKUlT_T0_E_clISt17integral_constantIbLb1EES1A_IbLb0EEEEDaS16_S17_EUlS16_E_NS1_11comp_targetILNS1_3genE5ELNS1_11target_archE942ELNS1_3gpuE9ELNS1_3repE0EEENS1_30default_config_static_selectorELNS0_4arch9wavefront6targetE0EEEvT1_.uses_vcc, 0
	.set _ZN7rocprim17ROCPRIM_400000_NS6detail17trampoline_kernelINS0_14default_configENS1_25partition_config_selectorILNS1_17partition_subalgoE5EsNS0_10empty_typeEbEEZZNS1_14partition_implILS5_5ELb0ES3_mN6thrust23THRUST_200600_302600_NS6detail15normal_iteratorINSA_10device_ptrIsEEEEPS6_NSA_18transform_iteratorINSB_9not_fun_tINSA_8identityIsEEEESF_NSA_11use_defaultESM_EENS0_5tupleIJSF_S6_EEENSO_IJSG_SG_EEES6_PlJS6_EEE10hipError_tPvRmT3_T4_T5_T6_T7_T9_mT8_P12ihipStream_tbDpT10_ENKUlT_T0_E_clISt17integral_constantIbLb1EES1A_IbLb0EEEEDaS16_S17_EUlS16_E_NS1_11comp_targetILNS1_3genE5ELNS1_11target_archE942ELNS1_3gpuE9ELNS1_3repE0EEENS1_30default_config_static_selectorELNS0_4arch9wavefront6targetE0EEEvT1_.uses_flat_scratch, 0
	.set _ZN7rocprim17ROCPRIM_400000_NS6detail17trampoline_kernelINS0_14default_configENS1_25partition_config_selectorILNS1_17partition_subalgoE5EsNS0_10empty_typeEbEEZZNS1_14partition_implILS5_5ELb0ES3_mN6thrust23THRUST_200600_302600_NS6detail15normal_iteratorINSA_10device_ptrIsEEEEPS6_NSA_18transform_iteratorINSB_9not_fun_tINSA_8identityIsEEEESF_NSA_11use_defaultESM_EENS0_5tupleIJSF_S6_EEENSO_IJSG_SG_EEES6_PlJS6_EEE10hipError_tPvRmT3_T4_T5_T6_T7_T9_mT8_P12ihipStream_tbDpT10_ENKUlT_T0_E_clISt17integral_constantIbLb1EES1A_IbLb0EEEEDaS16_S17_EUlS16_E_NS1_11comp_targetILNS1_3genE5ELNS1_11target_archE942ELNS1_3gpuE9ELNS1_3repE0EEENS1_30default_config_static_selectorELNS0_4arch9wavefront6targetE0EEEvT1_.has_dyn_sized_stack, 0
	.set _ZN7rocprim17ROCPRIM_400000_NS6detail17trampoline_kernelINS0_14default_configENS1_25partition_config_selectorILNS1_17partition_subalgoE5EsNS0_10empty_typeEbEEZZNS1_14partition_implILS5_5ELb0ES3_mN6thrust23THRUST_200600_302600_NS6detail15normal_iteratorINSA_10device_ptrIsEEEEPS6_NSA_18transform_iteratorINSB_9not_fun_tINSA_8identityIsEEEESF_NSA_11use_defaultESM_EENS0_5tupleIJSF_S6_EEENSO_IJSG_SG_EEES6_PlJS6_EEE10hipError_tPvRmT3_T4_T5_T6_T7_T9_mT8_P12ihipStream_tbDpT10_ENKUlT_T0_E_clISt17integral_constantIbLb1EES1A_IbLb0EEEEDaS16_S17_EUlS16_E_NS1_11comp_targetILNS1_3genE5ELNS1_11target_archE942ELNS1_3gpuE9ELNS1_3repE0EEENS1_30default_config_static_selectorELNS0_4arch9wavefront6targetE0EEEvT1_.has_recursion, 0
	.set _ZN7rocprim17ROCPRIM_400000_NS6detail17trampoline_kernelINS0_14default_configENS1_25partition_config_selectorILNS1_17partition_subalgoE5EsNS0_10empty_typeEbEEZZNS1_14partition_implILS5_5ELb0ES3_mN6thrust23THRUST_200600_302600_NS6detail15normal_iteratorINSA_10device_ptrIsEEEEPS6_NSA_18transform_iteratorINSB_9not_fun_tINSA_8identityIsEEEESF_NSA_11use_defaultESM_EENS0_5tupleIJSF_S6_EEENSO_IJSG_SG_EEES6_PlJS6_EEE10hipError_tPvRmT3_T4_T5_T6_T7_T9_mT8_P12ihipStream_tbDpT10_ENKUlT_T0_E_clISt17integral_constantIbLb1EES1A_IbLb0EEEEDaS16_S17_EUlS16_E_NS1_11comp_targetILNS1_3genE5ELNS1_11target_archE942ELNS1_3gpuE9ELNS1_3repE0EEENS1_30default_config_static_selectorELNS0_4arch9wavefront6targetE0EEEvT1_.has_indirect_call, 0
	.section	.AMDGPU.csdata,"",@progbits
; Kernel info:
; codeLenInByte = 0
; TotalNumSgprs: 0
; NumVgprs: 0
; ScratchSize: 0
; MemoryBound: 0
; FloatMode: 240
; IeeeMode: 1
; LDSByteSize: 0 bytes/workgroup (compile time only)
; SGPRBlocks: 0
; VGPRBlocks: 0
; NumSGPRsForWavesPerEU: 1
; NumVGPRsForWavesPerEU: 1
; Occupancy: 16
; WaveLimiterHint : 0
; COMPUTE_PGM_RSRC2:SCRATCH_EN: 0
; COMPUTE_PGM_RSRC2:USER_SGPR: 2
; COMPUTE_PGM_RSRC2:TRAP_HANDLER: 0
; COMPUTE_PGM_RSRC2:TGID_X_EN: 1
; COMPUTE_PGM_RSRC2:TGID_Y_EN: 0
; COMPUTE_PGM_RSRC2:TGID_Z_EN: 0
; COMPUTE_PGM_RSRC2:TIDIG_COMP_CNT: 0
	.section	.text._ZN7rocprim17ROCPRIM_400000_NS6detail17trampoline_kernelINS0_14default_configENS1_25partition_config_selectorILNS1_17partition_subalgoE5EsNS0_10empty_typeEbEEZZNS1_14partition_implILS5_5ELb0ES3_mN6thrust23THRUST_200600_302600_NS6detail15normal_iteratorINSA_10device_ptrIsEEEEPS6_NSA_18transform_iteratorINSB_9not_fun_tINSA_8identityIsEEEESF_NSA_11use_defaultESM_EENS0_5tupleIJSF_S6_EEENSO_IJSG_SG_EEES6_PlJS6_EEE10hipError_tPvRmT3_T4_T5_T6_T7_T9_mT8_P12ihipStream_tbDpT10_ENKUlT_T0_E_clISt17integral_constantIbLb1EES1A_IbLb0EEEEDaS16_S17_EUlS16_E_NS1_11comp_targetILNS1_3genE4ELNS1_11target_archE910ELNS1_3gpuE8ELNS1_3repE0EEENS1_30default_config_static_selectorELNS0_4arch9wavefront6targetE0EEEvT1_,"axG",@progbits,_ZN7rocprim17ROCPRIM_400000_NS6detail17trampoline_kernelINS0_14default_configENS1_25partition_config_selectorILNS1_17partition_subalgoE5EsNS0_10empty_typeEbEEZZNS1_14partition_implILS5_5ELb0ES3_mN6thrust23THRUST_200600_302600_NS6detail15normal_iteratorINSA_10device_ptrIsEEEEPS6_NSA_18transform_iteratorINSB_9not_fun_tINSA_8identityIsEEEESF_NSA_11use_defaultESM_EENS0_5tupleIJSF_S6_EEENSO_IJSG_SG_EEES6_PlJS6_EEE10hipError_tPvRmT3_T4_T5_T6_T7_T9_mT8_P12ihipStream_tbDpT10_ENKUlT_T0_E_clISt17integral_constantIbLb1EES1A_IbLb0EEEEDaS16_S17_EUlS16_E_NS1_11comp_targetILNS1_3genE4ELNS1_11target_archE910ELNS1_3gpuE8ELNS1_3repE0EEENS1_30default_config_static_selectorELNS0_4arch9wavefront6targetE0EEEvT1_,comdat
	.protected	_ZN7rocprim17ROCPRIM_400000_NS6detail17trampoline_kernelINS0_14default_configENS1_25partition_config_selectorILNS1_17partition_subalgoE5EsNS0_10empty_typeEbEEZZNS1_14partition_implILS5_5ELb0ES3_mN6thrust23THRUST_200600_302600_NS6detail15normal_iteratorINSA_10device_ptrIsEEEEPS6_NSA_18transform_iteratorINSB_9not_fun_tINSA_8identityIsEEEESF_NSA_11use_defaultESM_EENS0_5tupleIJSF_S6_EEENSO_IJSG_SG_EEES6_PlJS6_EEE10hipError_tPvRmT3_T4_T5_T6_T7_T9_mT8_P12ihipStream_tbDpT10_ENKUlT_T0_E_clISt17integral_constantIbLb1EES1A_IbLb0EEEEDaS16_S17_EUlS16_E_NS1_11comp_targetILNS1_3genE4ELNS1_11target_archE910ELNS1_3gpuE8ELNS1_3repE0EEENS1_30default_config_static_selectorELNS0_4arch9wavefront6targetE0EEEvT1_ ; -- Begin function _ZN7rocprim17ROCPRIM_400000_NS6detail17trampoline_kernelINS0_14default_configENS1_25partition_config_selectorILNS1_17partition_subalgoE5EsNS0_10empty_typeEbEEZZNS1_14partition_implILS5_5ELb0ES3_mN6thrust23THRUST_200600_302600_NS6detail15normal_iteratorINSA_10device_ptrIsEEEEPS6_NSA_18transform_iteratorINSB_9not_fun_tINSA_8identityIsEEEESF_NSA_11use_defaultESM_EENS0_5tupleIJSF_S6_EEENSO_IJSG_SG_EEES6_PlJS6_EEE10hipError_tPvRmT3_T4_T5_T6_T7_T9_mT8_P12ihipStream_tbDpT10_ENKUlT_T0_E_clISt17integral_constantIbLb1EES1A_IbLb0EEEEDaS16_S17_EUlS16_E_NS1_11comp_targetILNS1_3genE4ELNS1_11target_archE910ELNS1_3gpuE8ELNS1_3repE0EEENS1_30default_config_static_selectorELNS0_4arch9wavefront6targetE0EEEvT1_
	.globl	_ZN7rocprim17ROCPRIM_400000_NS6detail17trampoline_kernelINS0_14default_configENS1_25partition_config_selectorILNS1_17partition_subalgoE5EsNS0_10empty_typeEbEEZZNS1_14partition_implILS5_5ELb0ES3_mN6thrust23THRUST_200600_302600_NS6detail15normal_iteratorINSA_10device_ptrIsEEEEPS6_NSA_18transform_iteratorINSB_9not_fun_tINSA_8identityIsEEEESF_NSA_11use_defaultESM_EENS0_5tupleIJSF_S6_EEENSO_IJSG_SG_EEES6_PlJS6_EEE10hipError_tPvRmT3_T4_T5_T6_T7_T9_mT8_P12ihipStream_tbDpT10_ENKUlT_T0_E_clISt17integral_constantIbLb1EES1A_IbLb0EEEEDaS16_S17_EUlS16_E_NS1_11comp_targetILNS1_3genE4ELNS1_11target_archE910ELNS1_3gpuE8ELNS1_3repE0EEENS1_30default_config_static_selectorELNS0_4arch9wavefront6targetE0EEEvT1_
	.p2align	8
	.type	_ZN7rocprim17ROCPRIM_400000_NS6detail17trampoline_kernelINS0_14default_configENS1_25partition_config_selectorILNS1_17partition_subalgoE5EsNS0_10empty_typeEbEEZZNS1_14partition_implILS5_5ELb0ES3_mN6thrust23THRUST_200600_302600_NS6detail15normal_iteratorINSA_10device_ptrIsEEEEPS6_NSA_18transform_iteratorINSB_9not_fun_tINSA_8identityIsEEEESF_NSA_11use_defaultESM_EENS0_5tupleIJSF_S6_EEENSO_IJSG_SG_EEES6_PlJS6_EEE10hipError_tPvRmT3_T4_T5_T6_T7_T9_mT8_P12ihipStream_tbDpT10_ENKUlT_T0_E_clISt17integral_constantIbLb1EES1A_IbLb0EEEEDaS16_S17_EUlS16_E_NS1_11comp_targetILNS1_3genE4ELNS1_11target_archE910ELNS1_3gpuE8ELNS1_3repE0EEENS1_30default_config_static_selectorELNS0_4arch9wavefront6targetE0EEEvT1_,@function
_ZN7rocprim17ROCPRIM_400000_NS6detail17trampoline_kernelINS0_14default_configENS1_25partition_config_selectorILNS1_17partition_subalgoE5EsNS0_10empty_typeEbEEZZNS1_14partition_implILS5_5ELb0ES3_mN6thrust23THRUST_200600_302600_NS6detail15normal_iteratorINSA_10device_ptrIsEEEEPS6_NSA_18transform_iteratorINSB_9not_fun_tINSA_8identityIsEEEESF_NSA_11use_defaultESM_EENS0_5tupleIJSF_S6_EEENSO_IJSG_SG_EEES6_PlJS6_EEE10hipError_tPvRmT3_T4_T5_T6_T7_T9_mT8_P12ihipStream_tbDpT10_ENKUlT_T0_E_clISt17integral_constantIbLb1EES1A_IbLb0EEEEDaS16_S17_EUlS16_E_NS1_11comp_targetILNS1_3genE4ELNS1_11target_archE910ELNS1_3gpuE8ELNS1_3repE0EEENS1_30default_config_static_selectorELNS0_4arch9wavefront6targetE0EEEvT1_: ; @_ZN7rocprim17ROCPRIM_400000_NS6detail17trampoline_kernelINS0_14default_configENS1_25partition_config_selectorILNS1_17partition_subalgoE5EsNS0_10empty_typeEbEEZZNS1_14partition_implILS5_5ELb0ES3_mN6thrust23THRUST_200600_302600_NS6detail15normal_iteratorINSA_10device_ptrIsEEEEPS6_NSA_18transform_iteratorINSB_9not_fun_tINSA_8identityIsEEEESF_NSA_11use_defaultESM_EENS0_5tupleIJSF_S6_EEENSO_IJSG_SG_EEES6_PlJS6_EEE10hipError_tPvRmT3_T4_T5_T6_T7_T9_mT8_P12ihipStream_tbDpT10_ENKUlT_T0_E_clISt17integral_constantIbLb1EES1A_IbLb0EEEEDaS16_S17_EUlS16_E_NS1_11comp_targetILNS1_3genE4ELNS1_11target_archE910ELNS1_3gpuE8ELNS1_3repE0EEENS1_30default_config_static_selectorELNS0_4arch9wavefront6targetE0EEEvT1_
; %bb.0:
	.section	.rodata,"a",@progbits
	.p2align	6, 0x0
	.amdhsa_kernel _ZN7rocprim17ROCPRIM_400000_NS6detail17trampoline_kernelINS0_14default_configENS1_25partition_config_selectorILNS1_17partition_subalgoE5EsNS0_10empty_typeEbEEZZNS1_14partition_implILS5_5ELb0ES3_mN6thrust23THRUST_200600_302600_NS6detail15normal_iteratorINSA_10device_ptrIsEEEEPS6_NSA_18transform_iteratorINSB_9not_fun_tINSA_8identityIsEEEESF_NSA_11use_defaultESM_EENS0_5tupleIJSF_S6_EEENSO_IJSG_SG_EEES6_PlJS6_EEE10hipError_tPvRmT3_T4_T5_T6_T7_T9_mT8_P12ihipStream_tbDpT10_ENKUlT_T0_E_clISt17integral_constantIbLb1EES1A_IbLb0EEEEDaS16_S17_EUlS16_E_NS1_11comp_targetILNS1_3genE4ELNS1_11target_archE910ELNS1_3gpuE8ELNS1_3repE0EEENS1_30default_config_static_selectorELNS0_4arch9wavefront6targetE0EEEvT1_
		.amdhsa_group_segment_fixed_size 0
		.amdhsa_private_segment_fixed_size 0
		.amdhsa_kernarg_size 120
		.amdhsa_user_sgpr_count 2
		.amdhsa_user_sgpr_dispatch_ptr 0
		.amdhsa_user_sgpr_queue_ptr 0
		.amdhsa_user_sgpr_kernarg_segment_ptr 1
		.amdhsa_user_sgpr_dispatch_id 0
		.amdhsa_user_sgpr_private_segment_size 0
		.amdhsa_wavefront_size32 1
		.amdhsa_uses_dynamic_stack 0
		.amdhsa_enable_private_segment 0
		.amdhsa_system_sgpr_workgroup_id_x 1
		.amdhsa_system_sgpr_workgroup_id_y 0
		.amdhsa_system_sgpr_workgroup_id_z 0
		.amdhsa_system_sgpr_workgroup_info 0
		.amdhsa_system_vgpr_workitem_id 0
		.amdhsa_next_free_vgpr 1
		.amdhsa_next_free_sgpr 1
		.amdhsa_reserve_vcc 0
		.amdhsa_float_round_mode_32 0
		.amdhsa_float_round_mode_16_64 0
		.amdhsa_float_denorm_mode_32 3
		.amdhsa_float_denorm_mode_16_64 3
		.amdhsa_fp16_overflow 0
		.amdhsa_workgroup_processor_mode 1
		.amdhsa_memory_ordered 1
		.amdhsa_forward_progress 1
		.amdhsa_inst_pref_size 0
		.amdhsa_round_robin_scheduling 0
		.amdhsa_exception_fp_ieee_invalid_op 0
		.amdhsa_exception_fp_denorm_src 0
		.amdhsa_exception_fp_ieee_div_zero 0
		.amdhsa_exception_fp_ieee_overflow 0
		.amdhsa_exception_fp_ieee_underflow 0
		.amdhsa_exception_fp_ieee_inexact 0
		.amdhsa_exception_int_div_zero 0
	.end_amdhsa_kernel
	.section	.text._ZN7rocprim17ROCPRIM_400000_NS6detail17trampoline_kernelINS0_14default_configENS1_25partition_config_selectorILNS1_17partition_subalgoE5EsNS0_10empty_typeEbEEZZNS1_14partition_implILS5_5ELb0ES3_mN6thrust23THRUST_200600_302600_NS6detail15normal_iteratorINSA_10device_ptrIsEEEEPS6_NSA_18transform_iteratorINSB_9not_fun_tINSA_8identityIsEEEESF_NSA_11use_defaultESM_EENS0_5tupleIJSF_S6_EEENSO_IJSG_SG_EEES6_PlJS6_EEE10hipError_tPvRmT3_T4_T5_T6_T7_T9_mT8_P12ihipStream_tbDpT10_ENKUlT_T0_E_clISt17integral_constantIbLb1EES1A_IbLb0EEEEDaS16_S17_EUlS16_E_NS1_11comp_targetILNS1_3genE4ELNS1_11target_archE910ELNS1_3gpuE8ELNS1_3repE0EEENS1_30default_config_static_selectorELNS0_4arch9wavefront6targetE0EEEvT1_,"axG",@progbits,_ZN7rocprim17ROCPRIM_400000_NS6detail17trampoline_kernelINS0_14default_configENS1_25partition_config_selectorILNS1_17partition_subalgoE5EsNS0_10empty_typeEbEEZZNS1_14partition_implILS5_5ELb0ES3_mN6thrust23THRUST_200600_302600_NS6detail15normal_iteratorINSA_10device_ptrIsEEEEPS6_NSA_18transform_iteratorINSB_9not_fun_tINSA_8identityIsEEEESF_NSA_11use_defaultESM_EENS0_5tupleIJSF_S6_EEENSO_IJSG_SG_EEES6_PlJS6_EEE10hipError_tPvRmT3_T4_T5_T6_T7_T9_mT8_P12ihipStream_tbDpT10_ENKUlT_T0_E_clISt17integral_constantIbLb1EES1A_IbLb0EEEEDaS16_S17_EUlS16_E_NS1_11comp_targetILNS1_3genE4ELNS1_11target_archE910ELNS1_3gpuE8ELNS1_3repE0EEENS1_30default_config_static_selectorELNS0_4arch9wavefront6targetE0EEEvT1_,comdat
.Lfunc_end1031:
	.size	_ZN7rocprim17ROCPRIM_400000_NS6detail17trampoline_kernelINS0_14default_configENS1_25partition_config_selectorILNS1_17partition_subalgoE5EsNS0_10empty_typeEbEEZZNS1_14partition_implILS5_5ELb0ES3_mN6thrust23THRUST_200600_302600_NS6detail15normal_iteratorINSA_10device_ptrIsEEEEPS6_NSA_18transform_iteratorINSB_9not_fun_tINSA_8identityIsEEEESF_NSA_11use_defaultESM_EENS0_5tupleIJSF_S6_EEENSO_IJSG_SG_EEES6_PlJS6_EEE10hipError_tPvRmT3_T4_T5_T6_T7_T9_mT8_P12ihipStream_tbDpT10_ENKUlT_T0_E_clISt17integral_constantIbLb1EES1A_IbLb0EEEEDaS16_S17_EUlS16_E_NS1_11comp_targetILNS1_3genE4ELNS1_11target_archE910ELNS1_3gpuE8ELNS1_3repE0EEENS1_30default_config_static_selectorELNS0_4arch9wavefront6targetE0EEEvT1_, .Lfunc_end1031-_ZN7rocprim17ROCPRIM_400000_NS6detail17trampoline_kernelINS0_14default_configENS1_25partition_config_selectorILNS1_17partition_subalgoE5EsNS0_10empty_typeEbEEZZNS1_14partition_implILS5_5ELb0ES3_mN6thrust23THRUST_200600_302600_NS6detail15normal_iteratorINSA_10device_ptrIsEEEEPS6_NSA_18transform_iteratorINSB_9not_fun_tINSA_8identityIsEEEESF_NSA_11use_defaultESM_EENS0_5tupleIJSF_S6_EEENSO_IJSG_SG_EEES6_PlJS6_EEE10hipError_tPvRmT3_T4_T5_T6_T7_T9_mT8_P12ihipStream_tbDpT10_ENKUlT_T0_E_clISt17integral_constantIbLb1EES1A_IbLb0EEEEDaS16_S17_EUlS16_E_NS1_11comp_targetILNS1_3genE4ELNS1_11target_archE910ELNS1_3gpuE8ELNS1_3repE0EEENS1_30default_config_static_selectorELNS0_4arch9wavefront6targetE0EEEvT1_
                                        ; -- End function
	.set _ZN7rocprim17ROCPRIM_400000_NS6detail17trampoline_kernelINS0_14default_configENS1_25partition_config_selectorILNS1_17partition_subalgoE5EsNS0_10empty_typeEbEEZZNS1_14partition_implILS5_5ELb0ES3_mN6thrust23THRUST_200600_302600_NS6detail15normal_iteratorINSA_10device_ptrIsEEEEPS6_NSA_18transform_iteratorINSB_9not_fun_tINSA_8identityIsEEEESF_NSA_11use_defaultESM_EENS0_5tupleIJSF_S6_EEENSO_IJSG_SG_EEES6_PlJS6_EEE10hipError_tPvRmT3_T4_T5_T6_T7_T9_mT8_P12ihipStream_tbDpT10_ENKUlT_T0_E_clISt17integral_constantIbLb1EES1A_IbLb0EEEEDaS16_S17_EUlS16_E_NS1_11comp_targetILNS1_3genE4ELNS1_11target_archE910ELNS1_3gpuE8ELNS1_3repE0EEENS1_30default_config_static_selectorELNS0_4arch9wavefront6targetE0EEEvT1_.num_vgpr, 0
	.set _ZN7rocprim17ROCPRIM_400000_NS6detail17trampoline_kernelINS0_14default_configENS1_25partition_config_selectorILNS1_17partition_subalgoE5EsNS0_10empty_typeEbEEZZNS1_14partition_implILS5_5ELb0ES3_mN6thrust23THRUST_200600_302600_NS6detail15normal_iteratorINSA_10device_ptrIsEEEEPS6_NSA_18transform_iteratorINSB_9not_fun_tINSA_8identityIsEEEESF_NSA_11use_defaultESM_EENS0_5tupleIJSF_S6_EEENSO_IJSG_SG_EEES6_PlJS6_EEE10hipError_tPvRmT3_T4_T5_T6_T7_T9_mT8_P12ihipStream_tbDpT10_ENKUlT_T0_E_clISt17integral_constantIbLb1EES1A_IbLb0EEEEDaS16_S17_EUlS16_E_NS1_11comp_targetILNS1_3genE4ELNS1_11target_archE910ELNS1_3gpuE8ELNS1_3repE0EEENS1_30default_config_static_selectorELNS0_4arch9wavefront6targetE0EEEvT1_.num_agpr, 0
	.set _ZN7rocprim17ROCPRIM_400000_NS6detail17trampoline_kernelINS0_14default_configENS1_25partition_config_selectorILNS1_17partition_subalgoE5EsNS0_10empty_typeEbEEZZNS1_14partition_implILS5_5ELb0ES3_mN6thrust23THRUST_200600_302600_NS6detail15normal_iteratorINSA_10device_ptrIsEEEEPS6_NSA_18transform_iteratorINSB_9not_fun_tINSA_8identityIsEEEESF_NSA_11use_defaultESM_EENS0_5tupleIJSF_S6_EEENSO_IJSG_SG_EEES6_PlJS6_EEE10hipError_tPvRmT3_T4_T5_T6_T7_T9_mT8_P12ihipStream_tbDpT10_ENKUlT_T0_E_clISt17integral_constantIbLb1EES1A_IbLb0EEEEDaS16_S17_EUlS16_E_NS1_11comp_targetILNS1_3genE4ELNS1_11target_archE910ELNS1_3gpuE8ELNS1_3repE0EEENS1_30default_config_static_selectorELNS0_4arch9wavefront6targetE0EEEvT1_.numbered_sgpr, 0
	.set _ZN7rocprim17ROCPRIM_400000_NS6detail17trampoline_kernelINS0_14default_configENS1_25partition_config_selectorILNS1_17partition_subalgoE5EsNS0_10empty_typeEbEEZZNS1_14partition_implILS5_5ELb0ES3_mN6thrust23THRUST_200600_302600_NS6detail15normal_iteratorINSA_10device_ptrIsEEEEPS6_NSA_18transform_iteratorINSB_9not_fun_tINSA_8identityIsEEEESF_NSA_11use_defaultESM_EENS0_5tupleIJSF_S6_EEENSO_IJSG_SG_EEES6_PlJS6_EEE10hipError_tPvRmT3_T4_T5_T6_T7_T9_mT8_P12ihipStream_tbDpT10_ENKUlT_T0_E_clISt17integral_constantIbLb1EES1A_IbLb0EEEEDaS16_S17_EUlS16_E_NS1_11comp_targetILNS1_3genE4ELNS1_11target_archE910ELNS1_3gpuE8ELNS1_3repE0EEENS1_30default_config_static_selectorELNS0_4arch9wavefront6targetE0EEEvT1_.num_named_barrier, 0
	.set _ZN7rocprim17ROCPRIM_400000_NS6detail17trampoline_kernelINS0_14default_configENS1_25partition_config_selectorILNS1_17partition_subalgoE5EsNS0_10empty_typeEbEEZZNS1_14partition_implILS5_5ELb0ES3_mN6thrust23THRUST_200600_302600_NS6detail15normal_iteratorINSA_10device_ptrIsEEEEPS6_NSA_18transform_iteratorINSB_9not_fun_tINSA_8identityIsEEEESF_NSA_11use_defaultESM_EENS0_5tupleIJSF_S6_EEENSO_IJSG_SG_EEES6_PlJS6_EEE10hipError_tPvRmT3_T4_T5_T6_T7_T9_mT8_P12ihipStream_tbDpT10_ENKUlT_T0_E_clISt17integral_constantIbLb1EES1A_IbLb0EEEEDaS16_S17_EUlS16_E_NS1_11comp_targetILNS1_3genE4ELNS1_11target_archE910ELNS1_3gpuE8ELNS1_3repE0EEENS1_30default_config_static_selectorELNS0_4arch9wavefront6targetE0EEEvT1_.private_seg_size, 0
	.set _ZN7rocprim17ROCPRIM_400000_NS6detail17trampoline_kernelINS0_14default_configENS1_25partition_config_selectorILNS1_17partition_subalgoE5EsNS0_10empty_typeEbEEZZNS1_14partition_implILS5_5ELb0ES3_mN6thrust23THRUST_200600_302600_NS6detail15normal_iteratorINSA_10device_ptrIsEEEEPS6_NSA_18transform_iteratorINSB_9not_fun_tINSA_8identityIsEEEESF_NSA_11use_defaultESM_EENS0_5tupleIJSF_S6_EEENSO_IJSG_SG_EEES6_PlJS6_EEE10hipError_tPvRmT3_T4_T5_T6_T7_T9_mT8_P12ihipStream_tbDpT10_ENKUlT_T0_E_clISt17integral_constantIbLb1EES1A_IbLb0EEEEDaS16_S17_EUlS16_E_NS1_11comp_targetILNS1_3genE4ELNS1_11target_archE910ELNS1_3gpuE8ELNS1_3repE0EEENS1_30default_config_static_selectorELNS0_4arch9wavefront6targetE0EEEvT1_.uses_vcc, 0
	.set _ZN7rocprim17ROCPRIM_400000_NS6detail17trampoline_kernelINS0_14default_configENS1_25partition_config_selectorILNS1_17partition_subalgoE5EsNS0_10empty_typeEbEEZZNS1_14partition_implILS5_5ELb0ES3_mN6thrust23THRUST_200600_302600_NS6detail15normal_iteratorINSA_10device_ptrIsEEEEPS6_NSA_18transform_iteratorINSB_9not_fun_tINSA_8identityIsEEEESF_NSA_11use_defaultESM_EENS0_5tupleIJSF_S6_EEENSO_IJSG_SG_EEES6_PlJS6_EEE10hipError_tPvRmT3_T4_T5_T6_T7_T9_mT8_P12ihipStream_tbDpT10_ENKUlT_T0_E_clISt17integral_constantIbLb1EES1A_IbLb0EEEEDaS16_S17_EUlS16_E_NS1_11comp_targetILNS1_3genE4ELNS1_11target_archE910ELNS1_3gpuE8ELNS1_3repE0EEENS1_30default_config_static_selectorELNS0_4arch9wavefront6targetE0EEEvT1_.uses_flat_scratch, 0
	.set _ZN7rocprim17ROCPRIM_400000_NS6detail17trampoline_kernelINS0_14default_configENS1_25partition_config_selectorILNS1_17partition_subalgoE5EsNS0_10empty_typeEbEEZZNS1_14partition_implILS5_5ELb0ES3_mN6thrust23THRUST_200600_302600_NS6detail15normal_iteratorINSA_10device_ptrIsEEEEPS6_NSA_18transform_iteratorINSB_9not_fun_tINSA_8identityIsEEEESF_NSA_11use_defaultESM_EENS0_5tupleIJSF_S6_EEENSO_IJSG_SG_EEES6_PlJS6_EEE10hipError_tPvRmT3_T4_T5_T6_T7_T9_mT8_P12ihipStream_tbDpT10_ENKUlT_T0_E_clISt17integral_constantIbLb1EES1A_IbLb0EEEEDaS16_S17_EUlS16_E_NS1_11comp_targetILNS1_3genE4ELNS1_11target_archE910ELNS1_3gpuE8ELNS1_3repE0EEENS1_30default_config_static_selectorELNS0_4arch9wavefront6targetE0EEEvT1_.has_dyn_sized_stack, 0
	.set _ZN7rocprim17ROCPRIM_400000_NS6detail17trampoline_kernelINS0_14default_configENS1_25partition_config_selectorILNS1_17partition_subalgoE5EsNS0_10empty_typeEbEEZZNS1_14partition_implILS5_5ELb0ES3_mN6thrust23THRUST_200600_302600_NS6detail15normal_iteratorINSA_10device_ptrIsEEEEPS6_NSA_18transform_iteratorINSB_9not_fun_tINSA_8identityIsEEEESF_NSA_11use_defaultESM_EENS0_5tupleIJSF_S6_EEENSO_IJSG_SG_EEES6_PlJS6_EEE10hipError_tPvRmT3_T4_T5_T6_T7_T9_mT8_P12ihipStream_tbDpT10_ENKUlT_T0_E_clISt17integral_constantIbLb1EES1A_IbLb0EEEEDaS16_S17_EUlS16_E_NS1_11comp_targetILNS1_3genE4ELNS1_11target_archE910ELNS1_3gpuE8ELNS1_3repE0EEENS1_30default_config_static_selectorELNS0_4arch9wavefront6targetE0EEEvT1_.has_recursion, 0
	.set _ZN7rocprim17ROCPRIM_400000_NS6detail17trampoline_kernelINS0_14default_configENS1_25partition_config_selectorILNS1_17partition_subalgoE5EsNS0_10empty_typeEbEEZZNS1_14partition_implILS5_5ELb0ES3_mN6thrust23THRUST_200600_302600_NS6detail15normal_iteratorINSA_10device_ptrIsEEEEPS6_NSA_18transform_iteratorINSB_9not_fun_tINSA_8identityIsEEEESF_NSA_11use_defaultESM_EENS0_5tupleIJSF_S6_EEENSO_IJSG_SG_EEES6_PlJS6_EEE10hipError_tPvRmT3_T4_T5_T6_T7_T9_mT8_P12ihipStream_tbDpT10_ENKUlT_T0_E_clISt17integral_constantIbLb1EES1A_IbLb0EEEEDaS16_S17_EUlS16_E_NS1_11comp_targetILNS1_3genE4ELNS1_11target_archE910ELNS1_3gpuE8ELNS1_3repE0EEENS1_30default_config_static_selectorELNS0_4arch9wavefront6targetE0EEEvT1_.has_indirect_call, 0
	.section	.AMDGPU.csdata,"",@progbits
; Kernel info:
; codeLenInByte = 0
; TotalNumSgprs: 0
; NumVgprs: 0
; ScratchSize: 0
; MemoryBound: 0
; FloatMode: 240
; IeeeMode: 1
; LDSByteSize: 0 bytes/workgroup (compile time only)
; SGPRBlocks: 0
; VGPRBlocks: 0
; NumSGPRsForWavesPerEU: 1
; NumVGPRsForWavesPerEU: 1
; Occupancy: 16
; WaveLimiterHint : 0
; COMPUTE_PGM_RSRC2:SCRATCH_EN: 0
; COMPUTE_PGM_RSRC2:USER_SGPR: 2
; COMPUTE_PGM_RSRC2:TRAP_HANDLER: 0
; COMPUTE_PGM_RSRC2:TGID_X_EN: 1
; COMPUTE_PGM_RSRC2:TGID_Y_EN: 0
; COMPUTE_PGM_RSRC2:TGID_Z_EN: 0
; COMPUTE_PGM_RSRC2:TIDIG_COMP_CNT: 0
	.section	.text._ZN7rocprim17ROCPRIM_400000_NS6detail17trampoline_kernelINS0_14default_configENS1_25partition_config_selectorILNS1_17partition_subalgoE5EsNS0_10empty_typeEbEEZZNS1_14partition_implILS5_5ELb0ES3_mN6thrust23THRUST_200600_302600_NS6detail15normal_iteratorINSA_10device_ptrIsEEEEPS6_NSA_18transform_iteratorINSB_9not_fun_tINSA_8identityIsEEEESF_NSA_11use_defaultESM_EENS0_5tupleIJSF_S6_EEENSO_IJSG_SG_EEES6_PlJS6_EEE10hipError_tPvRmT3_T4_T5_T6_T7_T9_mT8_P12ihipStream_tbDpT10_ENKUlT_T0_E_clISt17integral_constantIbLb1EES1A_IbLb0EEEEDaS16_S17_EUlS16_E_NS1_11comp_targetILNS1_3genE3ELNS1_11target_archE908ELNS1_3gpuE7ELNS1_3repE0EEENS1_30default_config_static_selectorELNS0_4arch9wavefront6targetE0EEEvT1_,"axG",@progbits,_ZN7rocprim17ROCPRIM_400000_NS6detail17trampoline_kernelINS0_14default_configENS1_25partition_config_selectorILNS1_17partition_subalgoE5EsNS0_10empty_typeEbEEZZNS1_14partition_implILS5_5ELb0ES3_mN6thrust23THRUST_200600_302600_NS6detail15normal_iteratorINSA_10device_ptrIsEEEEPS6_NSA_18transform_iteratorINSB_9not_fun_tINSA_8identityIsEEEESF_NSA_11use_defaultESM_EENS0_5tupleIJSF_S6_EEENSO_IJSG_SG_EEES6_PlJS6_EEE10hipError_tPvRmT3_T4_T5_T6_T7_T9_mT8_P12ihipStream_tbDpT10_ENKUlT_T0_E_clISt17integral_constantIbLb1EES1A_IbLb0EEEEDaS16_S17_EUlS16_E_NS1_11comp_targetILNS1_3genE3ELNS1_11target_archE908ELNS1_3gpuE7ELNS1_3repE0EEENS1_30default_config_static_selectorELNS0_4arch9wavefront6targetE0EEEvT1_,comdat
	.protected	_ZN7rocprim17ROCPRIM_400000_NS6detail17trampoline_kernelINS0_14default_configENS1_25partition_config_selectorILNS1_17partition_subalgoE5EsNS0_10empty_typeEbEEZZNS1_14partition_implILS5_5ELb0ES3_mN6thrust23THRUST_200600_302600_NS6detail15normal_iteratorINSA_10device_ptrIsEEEEPS6_NSA_18transform_iteratorINSB_9not_fun_tINSA_8identityIsEEEESF_NSA_11use_defaultESM_EENS0_5tupleIJSF_S6_EEENSO_IJSG_SG_EEES6_PlJS6_EEE10hipError_tPvRmT3_T4_T5_T6_T7_T9_mT8_P12ihipStream_tbDpT10_ENKUlT_T0_E_clISt17integral_constantIbLb1EES1A_IbLb0EEEEDaS16_S17_EUlS16_E_NS1_11comp_targetILNS1_3genE3ELNS1_11target_archE908ELNS1_3gpuE7ELNS1_3repE0EEENS1_30default_config_static_selectorELNS0_4arch9wavefront6targetE0EEEvT1_ ; -- Begin function _ZN7rocprim17ROCPRIM_400000_NS6detail17trampoline_kernelINS0_14default_configENS1_25partition_config_selectorILNS1_17partition_subalgoE5EsNS0_10empty_typeEbEEZZNS1_14partition_implILS5_5ELb0ES3_mN6thrust23THRUST_200600_302600_NS6detail15normal_iteratorINSA_10device_ptrIsEEEEPS6_NSA_18transform_iteratorINSB_9not_fun_tINSA_8identityIsEEEESF_NSA_11use_defaultESM_EENS0_5tupleIJSF_S6_EEENSO_IJSG_SG_EEES6_PlJS6_EEE10hipError_tPvRmT3_T4_T5_T6_T7_T9_mT8_P12ihipStream_tbDpT10_ENKUlT_T0_E_clISt17integral_constantIbLb1EES1A_IbLb0EEEEDaS16_S17_EUlS16_E_NS1_11comp_targetILNS1_3genE3ELNS1_11target_archE908ELNS1_3gpuE7ELNS1_3repE0EEENS1_30default_config_static_selectorELNS0_4arch9wavefront6targetE0EEEvT1_
	.globl	_ZN7rocprim17ROCPRIM_400000_NS6detail17trampoline_kernelINS0_14default_configENS1_25partition_config_selectorILNS1_17partition_subalgoE5EsNS0_10empty_typeEbEEZZNS1_14partition_implILS5_5ELb0ES3_mN6thrust23THRUST_200600_302600_NS6detail15normal_iteratorINSA_10device_ptrIsEEEEPS6_NSA_18transform_iteratorINSB_9not_fun_tINSA_8identityIsEEEESF_NSA_11use_defaultESM_EENS0_5tupleIJSF_S6_EEENSO_IJSG_SG_EEES6_PlJS6_EEE10hipError_tPvRmT3_T4_T5_T6_T7_T9_mT8_P12ihipStream_tbDpT10_ENKUlT_T0_E_clISt17integral_constantIbLb1EES1A_IbLb0EEEEDaS16_S17_EUlS16_E_NS1_11comp_targetILNS1_3genE3ELNS1_11target_archE908ELNS1_3gpuE7ELNS1_3repE0EEENS1_30default_config_static_selectorELNS0_4arch9wavefront6targetE0EEEvT1_
	.p2align	8
	.type	_ZN7rocprim17ROCPRIM_400000_NS6detail17trampoline_kernelINS0_14default_configENS1_25partition_config_selectorILNS1_17partition_subalgoE5EsNS0_10empty_typeEbEEZZNS1_14partition_implILS5_5ELb0ES3_mN6thrust23THRUST_200600_302600_NS6detail15normal_iteratorINSA_10device_ptrIsEEEEPS6_NSA_18transform_iteratorINSB_9not_fun_tINSA_8identityIsEEEESF_NSA_11use_defaultESM_EENS0_5tupleIJSF_S6_EEENSO_IJSG_SG_EEES6_PlJS6_EEE10hipError_tPvRmT3_T4_T5_T6_T7_T9_mT8_P12ihipStream_tbDpT10_ENKUlT_T0_E_clISt17integral_constantIbLb1EES1A_IbLb0EEEEDaS16_S17_EUlS16_E_NS1_11comp_targetILNS1_3genE3ELNS1_11target_archE908ELNS1_3gpuE7ELNS1_3repE0EEENS1_30default_config_static_selectorELNS0_4arch9wavefront6targetE0EEEvT1_,@function
_ZN7rocprim17ROCPRIM_400000_NS6detail17trampoline_kernelINS0_14default_configENS1_25partition_config_selectorILNS1_17partition_subalgoE5EsNS0_10empty_typeEbEEZZNS1_14partition_implILS5_5ELb0ES3_mN6thrust23THRUST_200600_302600_NS6detail15normal_iteratorINSA_10device_ptrIsEEEEPS6_NSA_18transform_iteratorINSB_9not_fun_tINSA_8identityIsEEEESF_NSA_11use_defaultESM_EENS0_5tupleIJSF_S6_EEENSO_IJSG_SG_EEES6_PlJS6_EEE10hipError_tPvRmT3_T4_T5_T6_T7_T9_mT8_P12ihipStream_tbDpT10_ENKUlT_T0_E_clISt17integral_constantIbLb1EES1A_IbLb0EEEEDaS16_S17_EUlS16_E_NS1_11comp_targetILNS1_3genE3ELNS1_11target_archE908ELNS1_3gpuE7ELNS1_3repE0EEENS1_30default_config_static_selectorELNS0_4arch9wavefront6targetE0EEEvT1_: ; @_ZN7rocprim17ROCPRIM_400000_NS6detail17trampoline_kernelINS0_14default_configENS1_25partition_config_selectorILNS1_17partition_subalgoE5EsNS0_10empty_typeEbEEZZNS1_14partition_implILS5_5ELb0ES3_mN6thrust23THRUST_200600_302600_NS6detail15normal_iteratorINSA_10device_ptrIsEEEEPS6_NSA_18transform_iteratorINSB_9not_fun_tINSA_8identityIsEEEESF_NSA_11use_defaultESM_EENS0_5tupleIJSF_S6_EEENSO_IJSG_SG_EEES6_PlJS6_EEE10hipError_tPvRmT3_T4_T5_T6_T7_T9_mT8_P12ihipStream_tbDpT10_ENKUlT_T0_E_clISt17integral_constantIbLb1EES1A_IbLb0EEEEDaS16_S17_EUlS16_E_NS1_11comp_targetILNS1_3genE3ELNS1_11target_archE908ELNS1_3gpuE7ELNS1_3repE0EEENS1_30default_config_static_selectorELNS0_4arch9wavefront6targetE0EEEvT1_
; %bb.0:
	.section	.rodata,"a",@progbits
	.p2align	6, 0x0
	.amdhsa_kernel _ZN7rocprim17ROCPRIM_400000_NS6detail17trampoline_kernelINS0_14default_configENS1_25partition_config_selectorILNS1_17partition_subalgoE5EsNS0_10empty_typeEbEEZZNS1_14partition_implILS5_5ELb0ES3_mN6thrust23THRUST_200600_302600_NS6detail15normal_iteratorINSA_10device_ptrIsEEEEPS6_NSA_18transform_iteratorINSB_9not_fun_tINSA_8identityIsEEEESF_NSA_11use_defaultESM_EENS0_5tupleIJSF_S6_EEENSO_IJSG_SG_EEES6_PlJS6_EEE10hipError_tPvRmT3_T4_T5_T6_T7_T9_mT8_P12ihipStream_tbDpT10_ENKUlT_T0_E_clISt17integral_constantIbLb1EES1A_IbLb0EEEEDaS16_S17_EUlS16_E_NS1_11comp_targetILNS1_3genE3ELNS1_11target_archE908ELNS1_3gpuE7ELNS1_3repE0EEENS1_30default_config_static_selectorELNS0_4arch9wavefront6targetE0EEEvT1_
		.amdhsa_group_segment_fixed_size 0
		.amdhsa_private_segment_fixed_size 0
		.amdhsa_kernarg_size 120
		.amdhsa_user_sgpr_count 2
		.amdhsa_user_sgpr_dispatch_ptr 0
		.amdhsa_user_sgpr_queue_ptr 0
		.amdhsa_user_sgpr_kernarg_segment_ptr 1
		.amdhsa_user_sgpr_dispatch_id 0
		.amdhsa_user_sgpr_private_segment_size 0
		.amdhsa_wavefront_size32 1
		.amdhsa_uses_dynamic_stack 0
		.amdhsa_enable_private_segment 0
		.amdhsa_system_sgpr_workgroup_id_x 1
		.amdhsa_system_sgpr_workgroup_id_y 0
		.amdhsa_system_sgpr_workgroup_id_z 0
		.amdhsa_system_sgpr_workgroup_info 0
		.amdhsa_system_vgpr_workitem_id 0
		.amdhsa_next_free_vgpr 1
		.amdhsa_next_free_sgpr 1
		.amdhsa_reserve_vcc 0
		.amdhsa_float_round_mode_32 0
		.amdhsa_float_round_mode_16_64 0
		.amdhsa_float_denorm_mode_32 3
		.amdhsa_float_denorm_mode_16_64 3
		.amdhsa_fp16_overflow 0
		.amdhsa_workgroup_processor_mode 1
		.amdhsa_memory_ordered 1
		.amdhsa_forward_progress 1
		.amdhsa_inst_pref_size 0
		.amdhsa_round_robin_scheduling 0
		.amdhsa_exception_fp_ieee_invalid_op 0
		.amdhsa_exception_fp_denorm_src 0
		.amdhsa_exception_fp_ieee_div_zero 0
		.amdhsa_exception_fp_ieee_overflow 0
		.amdhsa_exception_fp_ieee_underflow 0
		.amdhsa_exception_fp_ieee_inexact 0
		.amdhsa_exception_int_div_zero 0
	.end_amdhsa_kernel
	.section	.text._ZN7rocprim17ROCPRIM_400000_NS6detail17trampoline_kernelINS0_14default_configENS1_25partition_config_selectorILNS1_17partition_subalgoE5EsNS0_10empty_typeEbEEZZNS1_14partition_implILS5_5ELb0ES3_mN6thrust23THRUST_200600_302600_NS6detail15normal_iteratorINSA_10device_ptrIsEEEEPS6_NSA_18transform_iteratorINSB_9not_fun_tINSA_8identityIsEEEESF_NSA_11use_defaultESM_EENS0_5tupleIJSF_S6_EEENSO_IJSG_SG_EEES6_PlJS6_EEE10hipError_tPvRmT3_T4_T5_T6_T7_T9_mT8_P12ihipStream_tbDpT10_ENKUlT_T0_E_clISt17integral_constantIbLb1EES1A_IbLb0EEEEDaS16_S17_EUlS16_E_NS1_11comp_targetILNS1_3genE3ELNS1_11target_archE908ELNS1_3gpuE7ELNS1_3repE0EEENS1_30default_config_static_selectorELNS0_4arch9wavefront6targetE0EEEvT1_,"axG",@progbits,_ZN7rocprim17ROCPRIM_400000_NS6detail17trampoline_kernelINS0_14default_configENS1_25partition_config_selectorILNS1_17partition_subalgoE5EsNS0_10empty_typeEbEEZZNS1_14partition_implILS5_5ELb0ES3_mN6thrust23THRUST_200600_302600_NS6detail15normal_iteratorINSA_10device_ptrIsEEEEPS6_NSA_18transform_iteratorINSB_9not_fun_tINSA_8identityIsEEEESF_NSA_11use_defaultESM_EENS0_5tupleIJSF_S6_EEENSO_IJSG_SG_EEES6_PlJS6_EEE10hipError_tPvRmT3_T4_T5_T6_T7_T9_mT8_P12ihipStream_tbDpT10_ENKUlT_T0_E_clISt17integral_constantIbLb1EES1A_IbLb0EEEEDaS16_S17_EUlS16_E_NS1_11comp_targetILNS1_3genE3ELNS1_11target_archE908ELNS1_3gpuE7ELNS1_3repE0EEENS1_30default_config_static_selectorELNS0_4arch9wavefront6targetE0EEEvT1_,comdat
.Lfunc_end1032:
	.size	_ZN7rocprim17ROCPRIM_400000_NS6detail17trampoline_kernelINS0_14default_configENS1_25partition_config_selectorILNS1_17partition_subalgoE5EsNS0_10empty_typeEbEEZZNS1_14partition_implILS5_5ELb0ES3_mN6thrust23THRUST_200600_302600_NS6detail15normal_iteratorINSA_10device_ptrIsEEEEPS6_NSA_18transform_iteratorINSB_9not_fun_tINSA_8identityIsEEEESF_NSA_11use_defaultESM_EENS0_5tupleIJSF_S6_EEENSO_IJSG_SG_EEES6_PlJS6_EEE10hipError_tPvRmT3_T4_T5_T6_T7_T9_mT8_P12ihipStream_tbDpT10_ENKUlT_T0_E_clISt17integral_constantIbLb1EES1A_IbLb0EEEEDaS16_S17_EUlS16_E_NS1_11comp_targetILNS1_3genE3ELNS1_11target_archE908ELNS1_3gpuE7ELNS1_3repE0EEENS1_30default_config_static_selectorELNS0_4arch9wavefront6targetE0EEEvT1_, .Lfunc_end1032-_ZN7rocprim17ROCPRIM_400000_NS6detail17trampoline_kernelINS0_14default_configENS1_25partition_config_selectorILNS1_17partition_subalgoE5EsNS0_10empty_typeEbEEZZNS1_14partition_implILS5_5ELb0ES3_mN6thrust23THRUST_200600_302600_NS6detail15normal_iteratorINSA_10device_ptrIsEEEEPS6_NSA_18transform_iteratorINSB_9not_fun_tINSA_8identityIsEEEESF_NSA_11use_defaultESM_EENS0_5tupleIJSF_S6_EEENSO_IJSG_SG_EEES6_PlJS6_EEE10hipError_tPvRmT3_T4_T5_T6_T7_T9_mT8_P12ihipStream_tbDpT10_ENKUlT_T0_E_clISt17integral_constantIbLb1EES1A_IbLb0EEEEDaS16_S17_EUlS16_E_NS1_11comp_targetILNS1_3genE3ELNS1_11target_archE908ELNS1_3gpuE7ELNS1_3repE0EEENS1_30default_config_static_selectorELNS0_4arch9wavefront6targetE0EEEvT1_
                                        ; -- End function
	.set _ZN7rocprim17ROCPRIM_400000_NS6detail17trampoline_kernelINS0_14default_configENS1_25partition_config_selectorILNS1_17partition_subalgoE5EsNS0_10empty_typeEbEEZZNS1_14partition_implILS5_5ELb0ES3_mN6thrust23THRUST_200600_302600_NS6detail15normal_iteratorINSA_10device_ptrIsEEEEPS6_NSA_18transform_iteratorINSB_9not_fun_tINSA_8identityIsEEEESF_NSA_11use_defaultESM_EENS0_5tupleIJSF_S6_EEENSO_IJSG_SG_EEES6_PlJS6_EEE10hipError_tPvRmT3_T4_T5_T6_T7_T9_mT8_P12ihipStream_tbDpT10_ENKUlT_T0_E_clISt17integral_constantIbLb1EES1A_IbLb0EEEEDaS16_S17_EUlS16_E_NS1_11comp_targetILNS1_3genE3ELNS1_11target_archE908ELNS1_3gpuE7ELNS1_3repE0EEENS1_30default_config_static_selectorELNS0_4arch9wavefront6targetE0EEEvT1_.num_vgpr, 0
	.set _ZN7rocprim17ROCPRIM_400000_NS6detail17trampoline_kernelINS0_14default_configENS1_25partition_config_selectorILNS1_17partition_subalgoE5EsNS0_10empty_typeEbEEZZNS1_14partition_implILS5_5ELb0ES3_mN6thrust23THRUST_200600_302600_NS6detail15normal_iteratorINSA_10device_ptrIsEEEEPS6_NSA_18transform_iteratorINSB_9not_fun_tINSA_8identityIsEEEESF_NSA_11use_defaultESM_EENS0_5tupleIJSF_S6_EEENSO_IJSG_SG_EEES6_PlJS6_EEE10hipError_tPvRmT3_T4_T5_T6_T7_T9_mT8_P12ihipStream_tbDpT10_ENKUlT_T0_E_clISt17integral_constantIbLb1EES1A_IbLb0EEEEDaS16_S17_EUlS16_E_NS1_11comp_targetILNS1_3genE3ELNS1_11target_archE908ELNS1_3gpuE7ELNS1_3repE0EEENS1_30default_config_static_selectorELNS0_4arch9wavefront6targetE0EEEvT1_.num_agpr, 0
	.set _ZN7rocprim17ROCPRIM_400000_NS6detail17trampoline_kernelINS0_14default_configENS1_25partition_config_selectorILNS1_17partition_subalgoE5EsNS0_10empty_typeEbEEZZNS1_14partition_implILS5_5ELb0ES3_mN6thrust23THRUST_200600_302600_NS6detail15normal_iteratorINSA_10device_ptrIsEEEEPS6_NSA_18transform_iteratorINSB_9not_fun_tINSA_8identityIsEEEESF_NSA_11use_defaultESM_EENS0_5tupleIJSF_S6_EEENSO_IJSG_SG_EEES6_PlJS6_EEE10hipError_tPvRmT3_T4_T5_T6_T7_T9_mT8_P12ihipStream_tbDpT10_ENKUlT_T0_E_clISt17integral_constantIbLb1EES1A_IbLb0EEEEDaS16_S17_EUlS16_E_NS1_11comp_targetILNS1_3genE3ELNS1_11target_archE908ELNS1_3gpuE7ELNS1_3repE0EEENS1_30default_config_static_selectorELNS0_4arch9wavefront6targetE0EEEvT1_.numbered_sgpr, 0
	.set _ZN7rocprim17ROCPRIM_400000_NS6detail17trampoline_kernelINS0_14default_configENS1_25partition_config_selectorILNS1_17partition_subalgoE5EsNS0_10empty_typeEbEEZZNS1_14partition_implILS5_5ELb0ES3_mN6thrust23THRUST_200600_302600_NS6detail15normal_iteratorINSA_10device_ptrIsEEEEPS6_NSA_18transform_iteratorINSB_9not_fun_tINSA_8identityIsEEEESF_NSA_11use_defaultESM_EENS0_5tupleIJSF_S6_EEENSO_IJSG_SG_EEES6_PlJS6_EEE10hipError_tPvRmT3_T4_T5_T6_T7_T9_mT8_P12ihipStream_tbDpT10_ENKUlT_T0_E_clISt17integral_constantIbLb1EES1A_IbLb0EEEEDaS16_S17_EUlS16_E_NS1_11comp_targetILNS1_3genE3ELNS1_11target_archE908ELNS1_3gpuE7ELNS1_3repE0EEENS1_30default_config_static_selectorELNS0_4arch9wavefront6targetE0EEEvT1_.num_named_barrier, 0
	.set _ZN7rocprim17ROCPRIM_400000_NS6detail17trampoline_kernelINS0_14default_configENS1_25partition_config_selectorILNS1_17partition_subalgoE5EsNS0_10empty_typeEbEEZZNS1_14partition_implILS5_5ELb0ES3_mN6thrust23THRUST_200600_302600_NS6detail15normal_iteratorINSA_10device_ptrIsEEEEPS6_NSA_18transform_iteratorINSB_9not_fun_tINSA_8identityIsEEEESF_NSA_11use_defaultESM_EENS0_5tupleIJSF_S6_EEENSO_IJSG_SG_EEES6_PlJS6_EEE10hipError_tPvRmT3_T4_T5_T6_T7_T9_mT8_P12ihipStream_tbDpT10_ENKUlT_T0_E_clISt17integral_constantIbLb1EES1A_IbLb0EEEEDaS16_S17_EUlS16_E_NS1_11comp_targetILNS1_3genE3ELNS1_11target_archE908ELNS1_3gpuE7ELNS1_3repE0EEENS1_30default_config_static_selectorELNS0_4arch9wavefront6targetE0EEEvT1_.private_seg_size, 0
	.set _ZN7rocprim17ROCPRIM_400000_NS6detail17trampoline_kernelINS0_14default_configENS1_25partition_config_selectorILNS1_17partition_subalgoE5EsNS0_10empty_typeEbEEZZNS1_14partition_implILS5_5ELb0ES3_mN6thrust23THRUST_200600_302600_NS6detail15normal_iteratorINSA_10device_ptrIsEEEEPS6_NSA_18transform_iteratorINSB_9not_fun_tINSA_8identityIsEEEESF_NSA_11use_defaultESM_EENS0_5tupleIJSF_S6_EEENSO_IJSG_SG_EEES6_PlJS6_EEE10hipError_tPvRmT3_T4_T5_T6_T7_T9_mT8_P12ihipStream_tbDpT10_ENKUlT_T0_E_clISt17integral_constantIbLb1EES1A_IbLb0EEEEDaS16_S17_EUlS16_E_NS1_11comp_targetILNS1_3genE3ELNS1_11target_archE908ELNS1_3gpuE7ELNS1_3repE0EEENS1_30default_config_static_selectorELNS0_4arch9wavefront6targetE0EEEvT1_.uses_vcc, 0
	.set _ZN7rocprim17ROCPRIM_400000_NS6detail17trampoline_kernelINS0_14default_configENS1_25partition_config_selectorILNS1_17partition_subalgoE5EsNS0_10empty_typeEbEEZZNS1_14partition_implILS5_5ELb0ES3_mN6thrust23THRUST_200600_302600_NS6detail15normal_iteratorINSA_10device_ptrIsEEEEPS6_NSA_18transform_iteratorINSB_9not_fun_tINSA_8identityIsEEEESF_NSA_11use_defaultESM_EENS0_5tupleIJSF_S6_EEENSO_IJSG_SG_EEES6_PlJS6_EEE10hipError_tPvRmT3_T4_T5_T6_T7_T9_mT8_P12ihipStream_tbDpT10_ENKUlT_T0_E_clISt17integral_constantIbLb1EES1A_IbLb0EEEEDaS16_S17_EUlS16_E_NS1_11comp_targetILNS1_3genE3ELNS1_11target_archE908ELNS1_3gpuE7ELNS1_3repE0EEENS1_30default_config_static_selectorELNS0_4arch9wavefront6targetE0EEEvT1_.uses_flat_scratch, 0
	.set _ZN7rocprim17ROCPRIM_400000_NS6detail17trampoline_kernelINS0_14default_configENS1_25partition_config_selectorILNS1_17partition_subalgoE5EsNS0_10empty_typeEbEEZZNS1_14partition_implILS5_5ELb0ES3_mN6thrust23THRUST_200600_302600_NS6detail15normal_iteratorINSA_10device_ptrIsEEEEPS6_NSA_18transform_iteratorINSB_9not_fun_tINSA_8identityIsEEEESF_NSA_11use_defaultESM_EENS0_5tupleIJSF_S6_EEENSO_IJSG_SG_EEES6_PlJS6_EEE10hipError_tPvRmT3_T4_T5_T6_T7_T9_mT8_P12ihipStream_tbDpT10_ENKUlT_T0_E_clISt17integral_constantIbLb1EES1A_IbLb0EEEEDaS16_S17_EUlS16_E_NS1_11comp_targetILNS1_3genE3ELNS1_11target_archE908ELNS1_3gpuE7ELNS1_3repE0EEENS1_30default_config_static_selectorELNS0_4arch9wavefront6targetE0EEEvT1_.has_dyn_sized_stack, 0
	.set _ZN7rocprim17ROCPRIM_400000_NS6detail17trampoline_kernelINS0_14default_configENS1_25partition_config_selectorILNS1_17partition_subalgoE5EsNS0_10empty_typeEbEEZZNS1_14partition_implILS5_5ELb0ES3_mN6thrust23THRUST_200600_302600_NS6detail15normal_iteratorINSA_10device_ptrIsEEEEPS6_NSA_18transform_iteratorINSB_9not_fun_tINSA_8identityIsEEEESF_NSA_11use_defaultESM_EENS0_5tupleIJSF_S6_EEENSO_IJSG_SG_EEES6_PlJS6_EEE10hipError_tPvRmT3_T4_T5_T6_T7_T9_mT8_P12ihipStream_tbDpT10_ENKUlT_T0_E_clISt17integral_constantIbLb1EES1A_IbLb0EEEEDaS16_S17_EUlS16_E_NS1_11comp_targetILNS1_3genE3ELNS1_11target_archE908ELNS1_3gpuE7ELNS1_3repE0EEENS1_30default_config_static_selectorELNS0_4arch9wavefront6targetE0EEEvT1_.has_recursion, 0
	.set _ZN7rocprim17ROCPRIM_400000_NS6detail17trampoline_kernelINS0_14default_configENS1_25partition_config_selectorILNS1_17partition_subalgoE5EsNS0_10empty_typeEbEEZZNS1_14partition_implILS5_5ELb0ES3_mN6thrust23THRUST_200600_302600_NS6detail15normal_iteratorINSA_10device_ptrIsEEEEPS6_NSA_18transform_iteratorINSB_9not_fun_tINSA_8identityIsEEEESF_NSA_11use_defaultESM_EENS0_5tupleIJSF_S6_EEENSO_IJSG_SG_EEES6_PlJS6_EEE10hipError_tPvRmT3_T4_T5_T6_T7_T9_mT8_P12ihipStream_tbDpT10_ENKUlT_T0_E_clISt17integral_constantIbLb1EES1A_IbLb0EEEEDaS16_S17_EUlS16_E_NS1_11comp_targetILNS1_3genE3ELNS1_11target_archE908ELNS1_3gpuE7ELNS1_3repE0EEENS1_30default_config_static_selectorELNS0_4arch9wavefront6targetE0EEEvT1_.has_indirect_call, 0
	.section	.AMDGPU.csdata,"",@progbits
; Kernel info:
; codeLenInByte = 0
; TotalNumSgprs: 0
; NumVgprs: 0
; ScratchSize: 0
; MemoryBound: 0
; FloatMode: 240
; IeeeMode: 1
; LDSByteSize: 0 bytes/workgroup (compile time only)
; SGPRBlocks: 0
; VGPRBlocks: 0
; NumSGPRsForWavesPerEU: 1
; NumVGPRsForWavesPerEU: 1
; Occupancy: 16
; WaveLimiterHint : 0
; COMPUTE_PGM_RSRC2:SCRATCH_EN: 0
; COMPUTE_PGM_RSRC2:USER_SGPR: 2
; COMPUTE_PGM_RSRC2:TRAP_HANDLER: 0
; COMPUTE_PGM_RSRC2:TGID_X_EN: 1
; COMPUTE_PGM_RSRC2:TGID_Y_EN: 0
; COMPUTE_PGM_RSRC2:TGID_Z_EN: 0
; COMPUTE_PGM_RSRC2:TIDIG_COMP_CNT: 0
	.section	.text._ZN7rocprim17ROCPRIM_400000_NS6detail17trampoline_kernelINS0_14default_configENS1_25partition_config_selectorILNS1_17partition_subalgoE5EsNS0_10empty_typeEbEEZZNS1_14partition_implILS5_5ELb0ES3_mN6thrust23THRUST_200600_302600_NS6detail15normal_iteratorINSA_10device_ptrIsEEEEPS6_NSA_18transform_iteratorINSB_9not_fun_tINSA_8identityIsEEEESF_NSA_11use_defaultESM_EENS0_5tupleIJSF_S6_EEENSO_IJSG_SG_EEES6_PlJS6_EEE10hipError_tPvRmT3_T4_T5_T6_T7_T9_mT8_P12ihipStream_tbDpT10_ENKUlT_T0_E_clISt17integral_constantIbLb1EES1A_IbLb0EEEEDaS16_S17_EUlS16_E_NS1_11comp_targetILNS1_3genE2ELNS1_11target_archE906ELNS1_3gpuE6ELNS1_3repE0EEENS1_30default_config_static_selectorELNS0_4arch9wavefront6targetE0EEEvT1_,"axG",@progbits,_ZN7rocprim17ROCPRIM_400000_NS6detail17trampoline_kernelINS0_14default_configENS1_25partition_config_selectorILNS1_17partition_subalgoE5EsNS0_10empty_typeEbEEZZNS1_14partition_implILS5_5ELb0ES3_mN6thrust23THRUST_200600_302600_NS6detail15normal_iteratorINSA_10device_ptrIsEEEEPS6_NSA_18transform_iteratorINSB_9not_fun_tINSA_8identityIsEEEESF_NSA_11use_defaultESM_EENS0_5tupleIJSF_S6_EEENSO_IJSG_SG_EEES6_PlJS6_EEE10hipError_tPvRmT3_T4_T5_T6_T7_T9_mT8_P12ihipStream_tbDpT10_ENKUlT_T0_E_clISt17integral_constantIbLb1EES1A_IbLb0EEEEDaS16_S17_EUlS16_E_NS1_11comp_targetILNS1_3genE2ELNS1_11target_archE906ELNS1_3gpuE6ELNS1_3repE0EEENS1_30default_config_static_selectorELNS0_4arch9wavefront6targetE0EEEvT1_,comdat
	.protected	_ZN7rocprim17ROCPRIM_400000_NS6detail17trampoline_kernelINS0_14default_configENS1_25partition_config_selectorILNS1_17partition_subalgoE5EsNS0_10empty_typeEbEEZZNS1_14partition_implILS5_5ELb0ES3_mN6thrust23THRUST_200600_302600_NS6detail15normal_iteratorINSA_10device_ptrIsEEEEPS6_NSA_18transform_iteratorINSB_9not_fun_tINSA_8identityIsEEEESF_NSA_11use_defaultESM_EENS0_5tupleIJSF_S6_EEENSO_IJSG_SG_EEES6_PlJS6_EEE10hipError_tPvRmT3_T4_T5_T6_T7_T9_mT8_P12ihipStream_tbDpT10_ENKUlT_T0_E_clISt17integral_constantIbLb1EES1A_IbLb0EEEEDaS16_S17_EUlS16_E_NS1_11comp_targetILNS1_3genE2ELNS1_11target_archE906ELNS1_3gpuE6ELNS1_3repE0EEENS1_30default_config_static_selectorELNS0_4arch9wavefront6targetE0EEEvT1_ ; -- Begin function _ZN7rocprim17ROCPRIM_400000_NS6detail17trampoline_kernelINS0_14default_configENS1_25partition_config_selectorILNS1_17partition_subalgoE5EsNS0_10empty_typeEbEEZZNS1_14partition_implILS5_5ELb0ES3_mN6thrust23THRUST_200600_302600_NS6detail15normal_iteratorINSA_10device_ptrIsEEEEPS6_NSA_18transform_iteratorINSB_9not_fun_tINSA_8identityIsEEEESF_NSA_11use_defaultESM_EENS0_5tupleIJSF_S6_EEENSO_IJSG_SG_EEES6_PlJS6_EEE10hipError_tPvRmT3_T4_T5_T6_T7_T9_mT8_P12ihipStream_tbDpT10_ENKUlT_T0_E_clISt17integral_constantIbLb1EES1A_IbLb0EEEEDaS16_S17_EUlS16_E_NS1_11comp_targetILNS1_3genE2ELNS1_11target_archE906ELNS1_3gpuE6ELNS1_3repE0EEENS1_30default_config_static_selectorELNS0_4arch9wavefront6targetE0EEEvT1_
	.globl	_ZN7rocprim17ROCPRIM_400000_NS6detail17trampoline_kernelINS0_14default_configENS1_25partition_config_selectorILNS1_17partition_subalgoE5EsNS0_10empty_typeEbEEZZNS1_14partition_implILS5_5ELb0ES3_mN6thrust23THRUST_200600_302600_NS6detail15normal_iteratorINSA_10device_ptrIsEEEEPS6_NSA_18transform_iteratorINSB_9not_fun_tINSA_8identityIsEEEESF_NSA_11use_defaultESM_EENS0_5tupleIJSF_S6_EEENSO_IJSG_SG_EEES6_PlJS6_EEE10hipError_tPvRmT3_T4_T5_T6_T7_T9_mT8_P12ihipStream_tbDpT10_ENKUlT_T0_E_clISt17integral_constantIbLb1EES1A_IbLb0EEEEDaS16_S17_EUlS16_E_NS1_11comp_targetILNS1_3genE2ELNS1_11target_archE906ELNS1_3gpuE6ELNS1_3repE0EEENS1_30default_config_static_selectorELNS0_4arch9wavefront6targetE0EEEvT1_
	.p2align	8
	.type	_ZN7rocprim17ROCPRIM_400000_NS6detail17trampoline_kernelINS0_14default_configENS1_25partition_config_selectorILNS1_17partition_subalgoE5EsNS0_10empty_typeEbEEZZNS1_14partition_implILS5_5ELb0ES3_mN6thrust23THRUST_200600_302600_NS6detail15normal_iteratorINSA_10device_ptrIsEEEEPS6_NSA_18transform_iteratorINSB_9not_fun_tINSA_8identityIsEEEESF_NSA_11use_defaultESM_EENS0_5tupleIJSF_S6_EEENSO_IJSG_SG_EEES6_PlJS6_EEE10hipError_tPvRmT3_T4_T5_T6_T7_T9_mT8_P12ihipStream_tbDpT10_ENKUlT_T0_E_clISt17integral_constantIbLb1EES1A_IbLb0EEEEDaS16_S17_EUlS16_E_NS1_11comp_targetILNS1_3genE2ELNS1_11target_archE906ELNS1_3gpuE6ELNS1_3repE0EEENS1_30default_config_static_selectorELNS0_4arch9wavefront6targetE0EEEvT1_,@function
_ZN7rocprim17ROCPRIM_400000_NS6detail17trampoline_kernelINS0_14default_configENS1_25partition_config_selectorILNS1_17partition_subalgoE5EsNS0_10empty_typeEbEEZZNS1_14partition_implILS5_5ELb0ES3_mN6thrust23THRUST_200600_302600_NS6detail15normal_iteratorINSA_10device_ptrIsEEEEPS6_NSA_18transform_iteratorINSB_9not_fun_tINSA_8identityIsEEEESF_NSA_11use_defaultESM_EENS0_5tupleIJSF_S6_EEENSO_IJSG_SG_EEES6_PlJS6_EEE10hipError_tPvRmT3_T4_T5_T6_T7_T9_mT8_P12ihipStream_tbDpT10_ENKUlT_T0_E_clISt17integral_constantIbLb1EES1A_IbLb0EEEEDaS16_S17_EUlS16_E_NS1_11comp_targetILNS1_3genE2ELNS1_11target_archE906ELNS1_3gpuE6ELNS1_3repE0EEENS1_30default_config_static_selectorELNS0_4arch9wavefront6targetE0EEEvT1_: ; @_ZN7rocprim17ROCPRIM_400000_NS6detail17trampoline_kernelINS0_14default_configENS1_25partition_config_selectorILNS1_17partition_subalgoE5EsNS0_10empty_typeEbEEZZNS1_14partition_implILS5_5ELb0ES3_mN6thrust23THRUST_200600_302600_NS6detail15normal_iteratorINSA_10device_ptrIsEEEEPS6_NSA_18transform_iteratorINSB_9not_fun_tINSA_8identityIsEEEESF_NSA_11use_defaultESM_EENS0_5tupleIJSF_S6_EEENSO_IJSG_SG_EEES6_PlJS6_EEE10hipError_tPvRmT3_T4_T5_T6_T7_T9_mT8_P12ihipStream_tbDpT10_ENKUlT_T0_E_clISt17integral_constantIbLb1EES1A_IbLb0EEEEDaS16_S17_EUlS16_E_NS1_11comp_targetILNS1_3genE2ELNS1_11target_archE906ELNS1_3gpuE6ELNS1_3repE0EEENS1_30default_config_static_selectorELNS0_4arch9wavefront6targetE0EEEvT1_
; %bb.0:
	.section	.rodata,"a",@progbits
	.p2align	6, 0x0
	.amdhsa_kernel _ZN7rocprim17ROCPRIM_400000_NS6detail17trampoline_kernelINS0_14default_configENS1_25partition_config_selectorILNS1_17partition_subalgoE5EsNS0_10empty_typeEbEEZZNS1_14partition_implILS5_5ELb0ES3_mN6thrust23THRUST_200600_302600_NS6detail15normal_iteratorINSA_10device_ptrIsEEEEPS6_NSA_18transform_iteratorINSB_9not_fun_tINSA_8identityIsEEEESF_NSA_11use_defaultESM_EENS0_5tupleIJSF_S6_EEENSO_IJSG_SG_EEES6_PlJS6_EEE10hipError_tPvRmT3_T4_T5_T6_T7_T9_mT8_P12ihipStream_tbDpT10_ENKUlT_T0_E_clISt17integral_constantIbLb1EES1A_IbLb0EEEEDaS16_S17_EUlS16_E_NS1_11comp_targetILNS1_3genE2ELNS1_11target_archE906ELNS1_3gpuE6ELNS1_3repE0EEENS1_30default_config_static_selectorELNS0_4arch9wavefront6targetE0EEEvT1_
		.amdhsa_group_segment_fixed_size 0
		.amdhsa_private_segment_fixed_size 0
		.amdhsa_kernarg_size 120
		.amdhsa_user_sgpr_count 2
		.amdhsa_user_sgpr_dispatch_ptr 0
		.amdhsa_user_sgpr_queue_ptr 0
		.amdhsa_user_sgpr_kernarg_segment_ptr 1
		.amdhsa_user_sgpr_dispatch_id 0
		.amdhsa_user_sgpr_private_segment_size 0
		.amdhsa_wavefront_size32 1
		.amdhsa_uses_dynamic_stack 0
		.amdhsa_enable_private_segment 0
		.amdhsa_system_sgpr_workgroup_id_x 1
		.amdhsa_system_sgpr_workgroup_id_y 0
		.amdhsa_system_sgpr_workgroup_id_z 0
		.amdhsa_system_sgpr_workgroup_info 0
		.amdhsa_system_vgpr_workitem_id 0
		.amdhsa_next_free_vgpr 1
		.amdhsa_next_free_sgpr 1
		.amdhsa_reserve_vcc 0
		.amdhsa_float_round_mode_32 0
		.amdhsa_float_round_mode_16_64 0
		.amdhsa_float_denorm_mode_32 3
		.amdhsa_float_denorm_mode_16_64 3
		.amdhsa_fp16_overflow 0
		.amdhsa_workgroup_processor_mode 1
		.amdhsa_memory_ordered 1
		.amdhsa_forward_progress 1
		.amdhsa_inst_pref_size 0
		.amdhsa_round_robin_scheduling 0
		.amdhsa_exception_fp_ieee_invalid_op 0
		.amdhsa_exception_fp_denorm_src 0
		.amdhsa_exception_fp_ieee_div_zero 0
		.amdhsa_exception_fp_ieee_overflow 0
		.amdhsa_exception_fp_ieee_underflow 0
		.amdhsa_exception_fp_ieee_inexact 0
		.amdhsa_exception_int_div_zero 0
	.end_amdhsa_kernel
	.section	.text._ZN7rocprim17ROCPRIM_400000_NS6detail17trampoline_kernelINS0_14default_configENS1_25partition_config_selectorILNS1_17partition_subalgoE5EsNS0_10empty_typeEbEEZZNS1_14partition_implILS5_5ELb0ES3_mN6thrust23THRUST_200600_302600_NS6detail15normal_iteratorINSA_10device_ptrIsEEEEPS6_NSA_18transform_iteratorINSB_9not_fun_tINSA_8identityIsEEEESF_NSA_11use_defaultESM_EENS0_5tupleIJSF_S6_EEENSO_IJSG_SG_EEES6_PlJS6_EEE10hipError_tPvRmT3_T4_T5_T6_T7_T9_mT8_P12ihipStream_tbDpT10_ENKUlT_T0_E_clISt17integral_constantIbLb1EES1A_IbLb0EEEEDaS16_S17_EUlS16_E_NS1_11comp_targetILNS1_3genE2ELNS1_11target_archE906ELNS1_3gpuE6ELNS1_3repE0EEENS1_30default_config_static_selectorELNS0_4arch9wavefront6targetE0EEEvT1_,"axG",@progbits,_ZN7rocprim17ROCPRIM_400000_NS6detail17trampoline_kernelINS0_14default_configENS1_25partition_config_selectorILNS1_17partition_subalgoE5EsNS0_10empty_typeEbEEZZNS1_14partition_implILS5_5ELb0ES3_mN6thrust23THRUST_200600_302600_NS6detail15normal_iteratorINSA_10device_ptrIsEEEEPS6_NSA_18transform_iteratorINSB_9not_fun_tINSA_8identityIsEEEESF_NSA_11use_defaultESM_EENS0_5tupleIJSF_S6_EEENSO_IJSG_SG_EEES6_PlJS6_EEE10hipError_tPvRmT3_T4_T5_T6_T7_T9_mT8_P12ihipStream_tbDpT10_ENKUlT_T0_E_clISt17integral_constantIbLb1EES1A_IbLb0EEEEDaS16_S17_EUlS16_E_NS1_11comp_targetILNS1_3genE2ELNS1_11target_archE906ELNS1_3gpuE6ELNS1_3repE0EEENS1_30default_config_static_selectorELNS0_4arch9wavefront6targetE0EEEvT1_,comdat
.Lfunc_end1033:
	.size	_ZN7rocprim17ROCPRIM_400000_NS6detail17trampoline_kernelINS0_14default_configENS1_25partition_config_selectorILNS1_17partition_subalgoE5EsNS0_10empty_typeEbEEZZNS1_14partition_implILS5_5ELb0ES3_mN6thrust23THRUST_200600_302600_NS6detail15normal_iteratorINSA_10device_ptrIsEEEEPS6_NSA_18transform_iteratorINSB_9not_fun_tINSA_8identityIsEEEESF_NSA_11use_defaultESM_EENS0_5tupleIJSF_S6_EEENSO_IJSG_SG_EEES6_PlJS6_EEE10hipError_tPvRmT3_T4_T5_T6_T7_T9_mT8_P12ihipStream_tbDpT10_ENKUlT_T0_E_clISt17integral_constantIbLb1EES1A_IbLb0EEEEDaS16_S17_EUlS16_E_NS1_11comp_targetILNS1_3genE2ELNS1_11target_archE906ELNS1_3gpuE6ELNS1_3repE0EEENS1_30default_config_static_selectorELNS0_4arch9wavefront6targetE0EEEvT1_, .Lfunc_end1033-_ZN7rocprim17ROCPRIM_400000_NS6detail17trampoline_kernelINS0_14default_configENS1_25partition_config_selectorILNS1_17partition_subalgoE5EsNS0_10empty_typeEbEEZZNS1_14partition_implILS5_5ELb0ES3_mN6thrust23THRUST_200600_302600_NS6detail15normal_iteratorINSA_10device_ptrIsEEEEPS6_NSA_18transform_iteratorINSB_9not_fun_tINSA_8identityIsEEEESF_NSA_11use_defaultESM_EENS0_5tupleIJSF_S6_EEENSO_IJSG_SG_EEES6_PlJS6_EEE10hipError_tPvRmT3_T4_T5_T6_T7_T9_mT8_P12ihipStream_tbDpT10_ENKUlT_T0_E_clISt17integral_constantIbLb1EES1A_IbLb0EEEEDaS16_S17_EUlS16_E_NS1_11comp_targetILNS1_3genE2ELNS1_11target_archE906ELNS1_3gpuE6ELNS1_3repE0EEENS1_30default_config_static_selectorELNS0_4arch9wavefront6targetE0EEEvT1_
                                        ; -- End function
	.set _ZN7rocprim17ROCPRIM_400000_NS6detail17trampoline_kernelINS0_14default_configENS1_25partition_config_selectorILNS1_17partition_subalgoE5EsNS0_10empty_typeEbEEZZNS1_14partition_implILS5_5ELb0ES3_mN6thrust23THRUST_200600_302600_NS6detail15normal_iteratorINSA_10device_ptrIsEEEEPS6_NSA_18transform_iteratorINSB_9not_fun_tINSA_8identityIsEEEESF_NSA_11use_defaultESM_EENS0_5tupleIJSF_S6_EEENSO_IJSG_SG_EEES6_PlJS6_EEE10hipError_tPvRmT3_T4_T5_T6_T7_T9_mT8_P12ihipStream_tbDpT10_ENKUlT_T0_E_clISt17integral_constantIbLb1EES1A_IbLb0EEEEDaS16_S17_EUlS16_E_NS1_11comp_targetILNS1_3genE2ELNS1_11target_archE906ELNS1_3gpuE6ELNS1_3repE0EEENS1_30default_config_static_selectorELNS0_4arch9wavefront6targetE0EEEvT1_.num_vgpr, 0
	.set _ZN7rocprim17ROCPRIM_400000_NS6detail17trampoline_kernelINS0_14default_configENS1_25partition_config_selectorILNS1_17partition_subalgoE5EsNS0_10empty_typeEbEEZZNS1_14partition_implILS5_5ELb0ES3_mN6thrust23THRUST_200600_302600_NS6detail15normal_iteratorINSA_10device_ptrIsEEEEPS6_NSA_18transform_iteratorINSB_9not_fun_tINSA_8identityIsEEEESF_NSA_11use_defaultESM_EENS0_5tupleIJSF_S6_EEENSO_IJSG_SG_EEES6_PlJS6_EEE10hipError_tPvRmT3_T4_T5_T6_T7_T9_mT8_P12ihipStream_tbDpT10_ENKUlT_T0_E_clISt17integral_constantIbLb1EES1A_IbLb0EEEEDaS16_S17_EUlS16_E_NS1_11comp_targetILNS1_3genE2ELNS1_11target_archE906ELNS1_3gpuE6ELNS1_3repE0EEENS1_30default_config_static_selectorELNS0_4arch9wavefront6targetE0EEEvT1_.num_agpr, 0
	.set _ZN7rocprim17ROCPRIM_400000_NS6detail17trampoline_kernelINS0_14default_configENS1_25partition_config_selectorILNS1_17partition_subalgoE5EsNS0_10empty_typeEbEEZZNS1_14partition_implILS5_5ELb0ES3_mN6thrust23THRUST_200600_302600_NS6detail15normal_iteratorINSA_10device_ptrIsEEEEPS6_NSA_18transform_iteratorINSB_9not_fun_tINSA_8identityIsEEEESF_NSA_11use_defaultESM_EENS0_5tupleIJSF_S6_EEENSO_IJSG_SG_EEES6_PlJS6_EEE10hipError_tPvRmT3_T4_T5_T6_T7_T9_mT8_P12ihipStream_tbDpT10_ENKUlT_T0_E_clISt17integral_constantIbLb1EES1A_IbLb0EEEEDaS16_S17_EUlS16_E_NS1_11comp_targetILNS1_3genE2ELNS1_11target_archE906ELNS1_3gpuE6ELNS1_3repE0EEENS1_30default_config_static_selectorELNS0_4arch9wavefront6targetE0EEEvT1_.numbered_sgpr, 0
	.set _ZN7rocprim17ROCPRIM_400000_NS6detail17trampoline_kernelINS0_14default_configENS1_25partition_config_selectorILNS1_17partition_subalgoE5EsNS0_10empty_typeEbEEZZNS1_14partition_implILS5_5ELb0ES3_mN6thrust23THRUST_200600_302600_NS6detail15normal_iteratorINSA_10device_ptrIsEEEEPS6_NSA_18transform_iteratorINSB_9not_fun_tINSA_8identityIsEEEESF_NSA_11use_defaultESM_EENS0_5tupleIJSF_S6_EEENSO_IJSG_SG_EEES6_PlJS6_EEE10hipError_tPvRmT3_T4_T5_T6_T7_T9_mT8_P12ihipStream_tbDpT10_ENKUlT_T0_E_clISt17integral_constantIbLb1EES1A_IbLb0EEEEDaS16_S17_EUlS16_E_NS1_11comp_targetILNS1_3genE2ELNS1_11target_archE906ELNS1_3gpuE6ELNS1_3repE0EEENS1_30default_config_static_selectorELNS0_4arch9wavefront6targetE0EEEvT1_.num_named_barrier, 0
	.set _ZN7rocprim17ROCPRIM_400000_NS6detail17trampoline_kernelINS0_14default_configENS1_25partition_config_selectorILNS1_17partition_subalgoE5EsNS0_10empty_typeEbEEZZNS1_14partition_implILS5_5ELb0ES3_mN6thrust23THRUST_200600_302600_NS6detail15normal_iteratorINSA_10device_ptrIsEEEEPS6_NSA_18transform_iteratorINSB_9not_fun_tINSA_8identityIsEEEESF_NSA_11use_defaultESM_EENS0_5tupleIJSF_S6_EEENSO_IJSG_SG_EEES6_PlJS6_EEE10hipError_tPvRmT3_T4_T5_T6_T7_T9_mT8_P12ihipStream_tbDpT10_ENKUlT_T0_E_clISt17integral_constantIbLb1EES1A_IbLb0EEEEDaS16_S17_EUlS16_E_NS1_11comp_targetILNS1_3genE2ELNS1_11target_archE906ELNS1_3gpuE6ELNS1_3repE0EEENS1_30default_config_static_selectorELNS0_4arch9wavefront6targetE0EEEvT1_.private_seg_size, 0
	.set _ZN7rocprim17ROCPRIM_400000_NS6detail17trampoline_kernelINS0_14default_configENS1_25partition_config_selectorILNS1_17partition_subalgoE5EsNS0_10empty_typeEbEEZZNS1_14partition_implILS5_5ELb0ES3_mN6thrust23THRUST_200600_302600_NS6detail15normal_iteratorINSA_10device_ptrIsEEEEPS6_NSA_18transform_iteratorINSB_9not_fun_tINSA_8identityIsEEEESF_NSA_11use_defaultESM_EENS0_5tupleIJSF_S6_EEENSO_IJSG_SG_EEES6_PlJS6_EEE10hipError_tPvRmT3_T4_T5_T6_T7_T9_mT8_P12ihipStream_tbDpT10_ENKUlT_T0_E_clISt17integral_constantIbLb1EES1A_IbLb0EEEEDaS16_S17_EUlS16_E_NS1_11comp_targetILNS1_3genE2ELNS1_11target_archE906ELNS1_3gpuE6ELNS1_3repE0EEENS1_30default_config_static_selectorELNS0_4arch9wavefront6targetE0EEEvT1_.uses_vcc, 0
	.set _ZN7rocprim17ROCPRIM_400000_NS6detail17trampoline_kernelINS0_14default_configENS1_25partition_config_selectorILNS1_17partition_subalgoE5EsNS0_10empty_typeEbEEZZNS1_14partition_implILS5_5ELb0ES3_mN6thrust23THRUST_200600_302600_NS6detail15normal_iteratorINSA_10device_ptrIsEEEEPS6_NSA_18transform_iteratorINSB_9not_fun_tINSA_8identityIsEEEESF_NSA_11use_defaultESM_EENS0_5tupleIJSF_S6_EEENSO_IJSG_SG_EEES6_PlJS6_EEE10hipError_tPvRmT3_T4_T5_T6_T7_T9_mT8_P12ihipStream_tbDpT10_ENKUlT_T0_E_clISt17integral_constantIbLb1EES1A_IbLb0EEEEDaS16_S17_EUlS16_E_NS1_11comp_targetILNS1_3genE2ELNS1_11target_archE906ELNS1_3gpuE6ELNS1_3repE0EEENS1_30default_config_static_selectorELNS0_4arch9wavefront6targetE0EEEvT1_.uses_flat_scratch, 0
	.set _ZN7rocprim17ROCPRIM_400000_NS6detail17trampoline_kernelINS0_14default_configENS1_25partition_config_selectorILNS1_17partition_subalgoE5EsNS0_10empty_typeEbEEZZNS1_14partition_implILS5_5ELb0ES3_mN6thrust23THRUST_200600_302600_NS6detail15normal_iteratorINSA_10device_ptrIsEEEEPS6_NSA_18transform_iteratorINSB_9not_fun_tINSA_8identityIsEEEESF_NSA_11use_defaultESM_EENS0_5tupleIJSF_S6_EEENSO_IJSG_SG_EEES6_PlJS6_EEE10hipError_tPvRmT3_T4_T5_T6_T7_T9_mT8_P12ihipStream_tbDpT10_ENKUlT_T0_E_clISt17integral_constantIbLb1EES1A_IbLb0EEEEDaS16_S17_EUlS16_E_NS1_11comp_targetILNS1_3genE2ELNS1_11target_archE906ELNS1_3gpuE6ELNS1_3repE0EEENS1_30default_config_static_selectorELNS0_4arch9wavefront6targetE0EEEvT1_.has_dyn_sized_stack, 0
	.set _ZN7rocprim17ROCPRIM_400000_NS6detail17trampoline_kernelINS0_14default_configENS1_25partition_config_selectorILNS1_17partition_subalgoE5EsNS0_10empty_typeEbEEZZNS1_14partition_implILS5_5ELb0ES3_mN6thrust23THRUST_200600_302600_NS6detail15normal_iteratorINSA_10device_ptrIsEEEEPS6_NSA_18transform_iteratorINSB_9not_fun_tINSA_8identityIsEEEESF_NSA_11use_defaultESM_EENS0_5tupleIJSF_S6_EEENSO_IJSG_SG_EEES6_PlJS6_EEE10hipError_tPvRmT3_T4_T5_T6_T7_T9_mT8_P12ihipStream_tbDpT10_ENKUlT_T0_E_clISt17integral_constantIbLb1EES1A_IbLb0EEEEDaS16_S17_EUlS16_E_NS1_11comp_targetILNS1_3genE2ELNS1_11target_archE906ELNS1_3gpuE6ELNS1_3repE0EEENS1_30default_config_static_selectorELNS0_4arch9wavefront6targetE0EEEvT1_.has_recursion, 0
	.set _ZN7rocprim17ROCPRIM_400000_NS6detail17trampoline_kernelINS0_14default_configENS1_25partition_config_selectorILNS1_17partition_subalgoE5EsNS0_10empty_typeEbEEZZNS1_14partition_implILS5_5ELb0ES3_mN6thrust23THRUST_200600_302600_NS6detail15normal_iteratorINSA_10device_ptrIsEEEEPS6_NSA_18transform_iteratorINSB_9not_fun_tINSA_8identityIsEEEESF_NSA_11use_defaultESM_EENS0_5tupleIJSF_S6_EEENSO_IJSG_SG_EEES6_PlJS6_EEE10hipError_tPvRmT3_T4_T5_T6_T7_T9_mT8_P12ihipStream_tbDpT10_ENKUlT_T0_E_clISt17integral_constantIbLb1EES1A_IbLb0EEEEDaS16_S17_EUlS16_E_NS1_11comp_targetILNS1_3genE2ELNS1_11target_archE906ELNS1_3gpuE6ELNS1_3repE0EEENS1_30default_config_static_selectorELNS0_4arch9wavefront6targetE0EEEvT1_.has_indirect_call, 0
	.section	.AMDGPU.csdata,"",@progbits
; Kernel info:
; codeLenInByte = 0
; TotalNumSgprs: 0
; NumVgprs: 0
; ScratchSize: 0
; MemoryBound: 0
; FloatMode: 240
; IeeeMode: 1
; LDSByteSize: 0 bytes/workgroup (compile time only)
; SGPRBlocks: 0
; VGPRBlocks: 0
; NumSGPRsForWavesPerEU: 1
; NumVGPRsForWavesPerEU: 1
; Occupancy: 16
; WaveLimiterHint : 0
; COMPUTE_PGM_RSRC2:SCRATCH_EN: 0
; COMPUTE_PGM_RSRC2:USER_SGPR: 2
; COMPUTE_PGM_RSRC2:TRAP_HANDLER: 0
; COMPUTE_PGM_RSRC2:TGID_X_EN: 1
; COMPUTE_PGM_RSRC2:TGID_Y_EN: 0
; COMPUTE_PGM_RSRC2:TGID_Z_EN: 0
; COMPUTE_PGM_RSRC2:TIDIG_COMP_CNT: 0
	.section	.text._ZN7rocprim17ROCPRIM_400000_NS6detail17trampoline_kernelINS0_14default_configENS1_25partition_config_selectorILNS1_17partition_subalgoE5EsNS0_10empty_typeEbEEZZNS1_14partition_implILS5_5ELb0ES3_mN6thrust23THRUST_200600_302600_NS6detail15normal_iteratorINSA_10device_ptrIsEEEEPS6_NSA_18transform_iteratorINSB_9not_fun_tINSA_8identityIsEEEESF_NSA_11use_defaultESM_EENS0_5tupleIJSF_S6_EEENSO_IJSG_SG_EEES6_PlJS6_EEE10hipError_tPvRmT3_T4_T5_T6_T7_T9_mT8_P12ihipStream_tbDpT10_ENKUlT_T0_E_clISt17integral_constantIbLb1EES1A_IbLb0EEEEDaS16_S17_EUlS16_E_NS1_11comp_targetILNS1_3genE10ELNS1_11target_archE1200ELNS1_3gpuE4ELNS1_3repE0EEENS1_30default_config_static_selectorELNS0_4arch9wavefront6targetE0EEEvT1_,"axG",@progbits,_ZN7rocprim17ROCPRIM_400000_NS6detail17trampoline_kernelINS0_14default_configENS1_25partition_config_selectorILNS1_17partition_subalgoE5EsNS0_10empty_typeEbEEZZNS1_14partition_implILS5_5ELb0ES3_mN6thrust23THRUST_200600_302600_NS6detail15normal_iteratorINSA_10device_ptrIsEEEEPS6_NSA_18transform_iteratorINSB_9not_fun_tINSA_8identityIsEEEESF_NSA_11use_defaultESM_EENS0_5tupleIJSF_S6_EEENSO_IJSG_SG_EEES6_PlJS6_EEE10hipError_tPvRmT3_T4_T5_T6_T7_T9_mT8_P12ihipStream_tbDpT10_ENKUlT_T0_E_clISt17integral_constantIbLb1EES1A_IbLb0EEEEDaS16_S17_EUlS16_E_NS1_11comp_targetILNS1_3genE10ELNS1_11target_archE1200ELNS1_3gpuE4ELNS1_3repE0EEENS1_30default_config_static_selectorELNS0_4arch9wavefront6targetE0EEEvT1_,comdat
	.protected	_ZN7rocprim17ROCPRIM_400000_NS6detail17trampoline_kernelINS0_14default_configENS1_25partition_config_selectorILNS1_17partition_subalgoE5EsNS0_10empty_typeEbEEZZNS1_14partition_implILS5_5ELb0ES3_mN6thrust23THRUST_200600_302600_NS6detail15normal_iteratorINSA_10device_ptrIsEEEEPS6_NSA_18transform_iteratorINSB_9not_fun_tINSA_8identityIsEEEESF_NSA_11use_defaultESM_EENS0_5tupleIJSF_S6_EEENSO_IJSG_SG_EEES6_PlJS6_EEE10hipError_tPvRmT3_T4_T5_T6_T7_T9_mT8_P12ihipStream_tbDpT10_ENKUlT_T0_E_clISt17integral_constantIbLb1EES1A_IbLb0EEEEDaS16_S17_EUlS16_E_NS1_11comp_targetILNS1_3genE10ELNS1_11target_archE1200ELNS1_3gpuE4ELNS1_3repE0EEENS1_30default_config_static_selectorELNS0_4arch9wavefront6targetE0EEEvT1_ ; -- Begin function _ZN7rocprim17ROCPRIM_400000_NS6detail17trampoline_kernelINS0_14default_configENS1_25partition_config_selectorILNS1_17partition_subalgoE5EsNS0_10empty_typeEbEEZZNS1_14partition_implILS5_5ELb0ES3_mN6thrust23THRUST_200600_302600_NS6detail15normal_iteratorINSA_10device_ptrIsEEEEPS6_NSA_18transform_iteratorINSB_9not_fun_tINSA_8identityIsEEEESF_NSA_11use_defaultESM_EENS0_5tupleIJSF_S6_EEENSO_IJSG_SG_EEES6_PlJS6_EEE10hipError_tPvRmT3_T4_T5_T6_T7_T9_mT8_P12ihipStream_tbDpT10_ENKUlT_T0_E_clISt17integral_constantIbLb1EES1A_IbLb0EEEEDaS16_S17_EUlS16_E_NS1_11comp_targetILNS1_3genE10ELNS1_11target_archE1200ELNS1_3gpuE4ELNS1_3repE0EEENS1_30default_config_static_selectorELNS0_4arch9wavefront6targetE0EEEvT1_
	.globl	_ZN7rocprim17ROCPRIM_400000_NS6detail17trampoline_kernelINS0_14default_configENS1_25partition_config_selectorILNS1_17partition_subalgoE5EsNS0_10empty_typeEbEEZZNS1_14partition_implILS5_5ELb0ES3_mN6thrust23THRUST_200600_302600_NS6detail15normal_iteratorINSA_10device_ptrIsEEEEPS6_NSA_18transform_iteratorINSB_9not_fun_tINSA_8identityIsEEEESF_NSA_11use_defaultESM_EENS0_5tupleIJSF_S6_EEENSO_IJSG_SG_EEES6_PlJS6_EEE10hipError_tPvRmT3_T4_T5_T6_T7_T9_mT8_P12ihipStream_tbDpT10_ENKUlT_T0_E_clISt17integral_constantIbLb1EES1A_IbLb0EEEEDaS16_S17_EUlS16_E_NS1_11comp_targetILNS1_3genE10ELNS1_11target_archE1200ELNS1_3gpuE4ELNS1_3repE0EEENS1_30default_config_static_selectorELNS0_4arch9wavefront6targetE0EEEvT1_
	.p2align	8
	.type	_ZN7rocprim17ROCPRIM_400000_NS6detail17trampoline_kernelINS0_14default_configENS1_25partition_config_selectorILNS1_17partition_subalgoE5EsNS0_10empty_typeEbEEZZNS1_14partition_implILS5_5ELb0ES3_mN6thrust23THRUST_200600_302600_NS6detail15normal_iteratorINSA_10device_ptrIsEEEEPS6_NSA_18transform_iteratorINSB_9not_fun_tINSA_8identityIsEEEESF_NSA_11use_defaultESM_EENS0_5tupleIJSF_S6_EEENSO_IJSG_SG_EEES6_PlJS6_EEE10hipError_tPvRmT3_T4_T5_T6_T7_T9_mT8_P12ihipStream_tbDpT10_ENKUlT_T0_E_clISt17integral_constantIbLb1EES1A_IbLb0EEEEDaS16_S17_EUlS16_E_NS1_11comp_targetILNS1_3genE10ELNS1_11target_archE1200ELNS1_3gpuE4ELNS1_3repE0EEENS1_30default_config_static_selectorELNS0_4arch9wavefront6targetE0EEEvT1_,@function
_ZN7rocprim17ROCPRIM_400000_NS6detail17trampoline_kernelINS0_14default_configENS1_25partition_config_selectorILNS1_17partition_subalgoE5EsNS0_10empty_typeEbEEZZNS1_14partition_implILS5_5ELb0ES3_mN6thrust23THRUST_200600_302600_NS6detail15normal_iteratorINSA_10device_ptrIsEEEEPS6_NSA_18transform_iteratorINSB_9not_fun_tINSA_8identityIsEEEESF_NSA_11use_defaultESM_EENS0_5tupleIJSF_S6_EEENSO_IJSG_SG_EEES6_PlJS6_EEE10hipError_tPvRmT3_T4_T5_T6_T7_T9_mT8_P12ihipStream_tbDpT10_ENKUlT_T0_E_clISt17integral_constantIbLb1EES1A_IbLb0EEEEDaS16_S17_EUlS16_E_NS1_11comp_targetILNS1_3genE10ELNS1_11target_archE1200ELNS1_3gpuE4ELNS1_3repE0EEENS1_30default_config_static_selectorELNS0_4arch9wavefront6targetE0EEEvT1_: ; @_ZN7rocprim17ROCPRIM_400000_NS6detail17trampoline_kernelINS0_14default_configENS1_25partition_config_selectorILNS1_17partition_subalgoE5EsNS0_10empty_typeEbEEZZNS1_14partition_implILS5_5ELb0ES3_mN6thrust23THRUST_200600_302600_NS6detail15normal_iteratorINSA_10device_ptrIsEEEEPS6_NSA_18transform_iteratorINSB_9not_fun_tINSA_8identityIsEEEESF_NSA_11use_defaultESM_EENS0_5tupleIJSF_S6_EEENSO_IJSG_SG_EEES6_PlJS6_EEE10hipError_tPvRmT3_T4_T5_T6_T7_T9_mT8_P12ihipStream_tbDpT10_ENKUlT_T0_E_clISt17integral_constantIbLb1EES1A_IbLb0EEEEDaS16_S17_EUlS16_E_NS1_11comp_targetILNS1_3genE10ELNS1_11target_archE1200ELNS1_3gpuE4ELNS1_3repE0EEENS1_30default_config_static_selectorELNS0_4arch9wavefront6targetE0EEEvT1_
; %bb.0:
	s_endpgm
	.section	.rodata,"a",@progbits
	.p2align	6, 0x0
	.amdhsa_kernel _ZN7rocprim17ROCPRIM_400000_NS6detail17trampoline_kernelINS0_14default_configENS1_25partition_config_selectorILNS1_17partition_subalgoE5EsNS0_10empty_typeEbEEZZNS1_14partition_implILS5_5ELb0ES3_mN6thrust23THRUST_200600_302600_NS6detail15normal_iteratorINSA_10device_ptrIsEEEEPS6_NSA_18transform_iteratorINSB_9not_fun_tINSA_8identityIsEEEESF_NSA_11use_defaultESM_EENS0_5tupleIJSF_S6_EEENSO_IJSG_SG_EEES6_PlJS6_EEE10hipError_tPvRmT3_T4_T5_T6_T7_T9_mT8_P12ihipStream_tbDpT10_ENKUlT_T0_E_clISt17integral_constantIbLb1EES1A_IbLb0EEEEDaS16_S17_EUlS16_E_NS1_11comp_targetILNS1_3genE10ELNS1_11target_archE1200ELNS1_3gpuE4ELNS1_3repE0EEENS1_30default_config_static_selectorELNS0_4arch9wavefront6targetE0EEEvT1_
		.amdhsa_group_segment_fixed_size 0
		.amdhsa_private_segment_fixed_size 0
		.amdhsa_kernarg_size 120
		.amdhsa_user_sgpr_count 2
		.amdhsa_user_sgpr_dispatch_ptr 0
		.amdhsa_user_sgpr_queue_ptr 0
		.amdhsa_user_sgpr_kernarg_segment_ptr 1
		.amdhsa_user_sgpr_dispatch_id 0
		.amdhsa_user_sgpr_private_segment_size 0
		.amdhsa_wavefront_size32 1
		.amdhsa_uses_dynamic_stack 0
		.amdhsa_enable_private_segment 0
		.amdhsa_system_sgpr_workgroup_id_x 1
		.amdhsa_system_sgpr_workgroup_id_y 0
		.amdhsa_system_sgpr_workgroup_id_z 0
		.amdhsa_system_sgpr_workgroup_info 0
		.amdhsa_system_vgpr_workitem_id 0
		.amdhsa_next_free_vgpr 1
		.amdhsa_next_free_sgpr 1
		.amdhsa_reserve_vcc 0
		.amdhsa_float_round_mode_32 0
		.amdhsa_float_round_mode_16_64 0
		.amdhsa_float_denorm_mode_32 3
		.amdhsa_float_denorm_mode_16_64 3
		.amdhsa_fp16_overflow 0
		.amdhsa_workgroup_processor_mode 1
		.amdhsa_memory_ordered 1
		.amdhsa_forward_progress 1
		.amdhsa_inst_pref_size 1
		.amdhsa_round_robin_scheduling 0
		.amdhsa_exception_fp_ieee_invalid_op 0
		.amdhsa_exception_fp_denorm_src 0
		.amdhsa_exception_fp_ieee_div_zero 0
		.amdhsa_exception_fp_ieee_overflow 0
		.amdhsa_exception_fp_ieee_underflow 0
		.amdhsa_exception_fp_ieee_inexact 0
		.amdhsa_exception_int_div_zero 0
	.end_amdhsa_kernel
	.section	.text._ZN7rocprim17ROCPRIM_400000_NS6detail17trampoline_kernelINS0_14default_configENS1_25partition_config_selectorILNS1_17partition_subalgoE5EsNS0_10empty_typeEbEEZZNS1_14partition_implILS5_5ELb0ES3_mN6thrust23THRUST_200600_302600_NS6detail15normal_iteratorINSA_10device_ptrIsEEEEPS6_NSA_18transform_iteratorINSB_9not_fun_tINSA_8identityIsEEEESF_NSA_11use_defaultESM_EENS0_5tupleIJSF_S6_EEENSO_IJSG_SG_EEES6_PlJS6_EEE10hipError_tPvRmT3_T4_T5_T6_T7_T9_mT8_P12ihipStream_tbDpT10_ENKUlT_T0_E_clISt17integral_constantIbLb1EES1A_IbLb0EEEEDaS16_S17_EUlS16_E_NS1_11comp_targetILNS1_3genE10ELNS1_11target_archE1200ELNS1_3gpuE4ELNS1_3repE0EEENS1_30default_config_static_selectorELNS0_4arch9wavefront6targetE0EEEvT1_,"axG",@progbits,_ZN7rocprim17ROCPRIM_400000_NS6detail17trampoline_kernelINS0_14default_configENS1_25partition_config_selectorILNS1_17partition_subalgoE5EsNS0_10empty_typeEbEEZZNS1_14partition_implILS5_5ELb0ES3_mN6thrust23THRUST_200600_302600_NS6detail15normal_iteratorINSA_10device_ptrIsEEEEPS6_NSA_18transform_iteratorINSB_9not_fun_tINSA_8identityIsEEEESF_NSA_11use_defaultESM_EENS0_5tupleIJSF_S6_EEENSO_IJSG_SG_EEES6_PlJS6_EEE10hipError_tPvRmT3_T4_T5_T6_T7_T9_mT8_P12ihipStream_tbDpT10_ENKUlT_T0_E_clISt17integral_constantIbLb1EES1A_IbLb0EEEEDaS16_S17_EUlS16_E_NS1_11comp_targetILNS1_3genE10ELNS1_11target_archE1200ELNS1_3gpuE4ELNS1_3repE0EEENS1_30default_config_static_selectorELNS0_4arch9wavefront6targetE0EEEvT1_,comdat
.Lfunc_end1034:
	.size	_ZN7rocprim17ROCPRIM_400000_NS6detail17trampoline_kernelINS0_14default_configENS1_25partition_config_selectorILNS1_17partition_subalgoE5EsNS0_10empty_typeEbEEZZNS1_14partition_implILS5_5ELb0ES3_mN6thrust23THRUST_200600_302600_NS6detail15normal_iteratorINSA_10device_ptrIsEEEEPS6_NSA_18transform_iteratorINSB_9not_fun_tINSA_8identityIsEEEESF_NSA_11use_defaultESM_EENS0_5tupleIJSF_S6_EEENSO_IJSG_SG_EEES6_PlJS6_EEE10hipError_tPvRmT3_T4_T5_T6_T7_T9_mT8_P12ihipStream_tbDpT10_ENKUlT_T0_E_clISt17integral_constantIbLb1EES1A_IbLb0EEEEDaS16_S17_EUlS16_E_NS1_11comp_targetILNS1_3genE10ELNS1_11target_archE1200ELNS1_3gpuE4ELNS1_3repE0EEENS1_30default_config_static_selectorELNS0_4arch9wavefront6targetE0EEEvT1_, .Lfunc_end1034-_ZN7rocprim17ROCPRIM_400000_NS6detail17trampoline_kernelINS0_14default_configENS1_25partition_config_selectorILNS1_17partition_subalgoE5EsNS0_10empty_typeEbEEZZNS1_14partition_implILS5_5ELb0ES3_mN6thrust23THRUST_200600_302600_NS6detail15normal_iteratorINSA_10device_ptrIsEEEEPS6_NSA_18transform_iteratorINSB_9not_fun_tINSA_8identityIsEEEESF_NSA_11use_defaultESM_EENS0_5tupleIJSF_S6_EEENSO_IJSG_SG_EEES6_PlJS6_EEE10hipError_tPvRmT3_T4_T5_T6_T7_T9_mT8_P12ihipStream_tbDpT10_ENKUlT_T0_E_clISt17integral_constantIbLb1EES1A_IbLb0EEEEDaS16_S17_EUlS16_E_NS1_11comp_targetILNS1_3genE10ELNS1_11target_archE1200ELNS1_3gpuE4ELNS1_3repE0EEENS1_30default_config_static_selectorELNS0_4arch9wavefront6targetE0EEEvT1_
                                        ; -- End function
	.set _ZN7rocprim17ROCPRIM_400000_NS6detail17trampoline_kernelINS0_14default_configENS1_25partition_config_selectorILNS1_17partition_subalgoE5EsNS0_10empty_typeEbEEZZNS1_14partition_implILS5_5ELb0ES3_mN6thrust23THRUST_200600_302600_NS6detail15normal_iteratorINSA_10device_ptrIsEEEEPS6_NSA_18transform_iteratorINSB_9not_fun_tINSA_8identityIsEEEESF_NSA_11use_defaultESM_EENS0_5tupleIJSF_S6_EEENSO_IJSG_SG_EEES6_PlJS6_EEE10hipError_tPvRmT3_T4_T5_T6_T7_T9_mT8_P12ihipStream_tbDpT10_ENKUlT_T0_E_clISt17integral_constantIbLb1EES1A_IbLb0EEEEDaS16_S17_EUlS16_E_NS1_11comp_targetILNS1_3genE10ELNS1_11target_archE1200ELNS1_3gpuE4ELNS1_3repE0EEENS1_30default_config_static_selectorELNS0_4arch9wavefront6targetE0EEEvT1_.num_vgpr, 0
	.set _ZN7rocprim17ROCPRIM_400000_NS6detail17trampoline_kernelINS0_14default_configENS1_25partition_config_selectorILNS1_17partition_subalgoE5EsNS0_10empty_typeEbEEZZNS1_14partition_implILS5_5ELb0ES3_mN6thrust23THRUST_200600_302600_NS6detail15normal_iteratorINSA_10device_ptrIsEEEEPS6_NSA_18transform_iteratorINSB_9not_fun_tINSA_8identityIsEEEESF_NSA_11use_defaultESM_EENS0_5tupleIJSF_S6_EEENSO_IJSG_SG_EEES6_PlJS6_EEE10hipError_tPvRmT3_T4_T5_T6_T7_T9_mT8_P12ihipStream_tbDpT10_ENKUlT_T0_E_clISt17integral_constantIbLb1EES1A_IbLb0EEEEDaS16_S17_EUlS16_E_NS1_11comp_targetILNS1_3genE10ELNS1_11target_archE1200ELNS1_3gpuE4ELNS1_3repE0EEENS1_30default_config_static_selectorELNS0_4arch9wavefront6targetE0EEEvT1_.num_agpr, 0
	.set _ZN7rocprim17ROCPRIM_400000_NS6detail17trampoline_kernelINS0_14default_configENS1_25partition_config_selectorILNS1_17partition_subalgoE5EsNS0_10empty_typeEbEEZZNS1_14partition_implILS5_5ELb0ES3_mN6thrust23THRUST_200600_302600_NS6detail15normal_iteratorINSA_10device_ptrIsEEEEPS6_NSA_18transform_iteratorINSB_9not_fun_tINSA_8identityIsEEEESF_NSA_11use_defaultESM_EENS0_5tupleIJSF_S6_EEENSO_IJSG_SG_EEES6_PlJS6_EEE10hipError_tPvRmT3_T4_T5_T6_T7_T9_mT8_P12ihipStream_tbDpT10_ENKUlT_T0_E_clISt17integral_constantIbLb1EES1A_IbLb0EEEEDaS16_S17_EUlS16_E_NS1_11comp_targetILNS1_3genE10ELNS1_11target_archE1200ELNS1_3gpuE4ELNS1_3repE0EEENS1_30default_config_static_selectorELNS0_4arch9wavefront6targetE0EEEvT1_.numbered_sgpr, 0
	.set _ZN7rocprim17ROCPRIM_400000_NS6detail17trampoline_kernelINS0_14default_configENS1_25partition_config_selectorILNS1_17partition_subalgoE5EsNS0_10empty_typeEbEEZZNS1_14partition_implILS5_5ELb0ES3_mN6thrust23THRUST_200600_302600_NS6detail15normal_iteratorINSA_10device_ptrIsEEEEPS6_NSA_18transform_iteratorINSB_9not_fun_tINSA_8identityIsEEEESF_NSA_11use_defaultESM_EENS0_5tupleIJSF_S6_EEENSO_IJSG_SG_EEES6_PlJS6_EEE10hipError_tPvRmT3_T4_T5_T6_T7_T9_mT8_P12ihipStream_tbDpT10_ENKUlT_T0_E_clISt17integral_constantIbLb1EES1A_IbLb0EEEEDaS16_S17_EUlS16_E_NS1_11comp_targetILNS1_3genE10ELNS1_11target_archE1200ELNS1_3gpuE4ELNS1_3repE0EEENS1_30default_config_static_selectorELNS0_4arch9wavefront6targetE0EEEvT1_.num_named_barrier, 0
	.set _ZN7rocprim17ROCPRIM_400000_NS6detail17trampoline_kernelINS0_14default_configENS1_25partition_config_selectorILNS1_17partition_subalgoE5EsNS0_10empty_typeEbEEZZNS1_14partition_implILS5_5ELb0ES3_mN6thrust23THRUST_200600_302600_NS6detail15normal_iteratorINSA_10device_ptrIsEEEEPS6_NSA_18transform_iteratorINSB_9not_fun_tINSA_8identityIsEEEESF_NSA_11use_defaultESM_EENS0_5tupleIJSF_S6_EEENSO_IJSG_SG_EEES6_PlJS6_EEE10hipError_tPvRmT3_T4_T5_T6_T7_T9_mT8_P12ihipStream_tbDpT10_ENKUlT_T0_E_clISt17integral_constantIbLb1EES1A_IbLb0EEEEDaS16_S17_EUlS16_E_NS1_11comp_targetILNS1_3genE10ELNS1_11target_archE1200ELNS1_3gpuE4ELNS1_3repE0EEENS1_30default_config_static_selectorELNS0_4arch9wavefront6targetE0EEEvT1_.private_seg_size, 0
	.set _ZN7rocprim17ROCPRIM_400000_NS6detail17trampoline_kernelINS0_14default_configENS1_25partition_config_selectorILNS1_17partition_subalgoE5EsNS0_10empty_typeEbEEZZNS1_14partition_implILS5_5ELb0ES3_mN6thrust23THRUST_200600_302600_NS6detail15normal_iteratorINSA_10device_ptrIsEEEEPS6_NSA_18transform_iteratorINSB_9not_fun_tINSA_8identityIsEEEESF_NSA_11use_defaultESM_EENS0_5tupleIJSF_S6_EEENSO_IJSG_SG_EEES6_PlJS6_EEE10hipError_tPvRmT3_T4_T5_T6_T7_T9_mT8_P12ihipStream_tbDpT10_ENKUlT_T0_E_clISt17integral_constantIbLb1EES1A_IbLb0EEEEDaS16_S17_EUlS16_E_NS1_11comp_targetILNS1_3genE10ELNS1_11target_archE1200ELNS1_3gpuE4ELNS1_3repE0EEENS1_30default_config_static_selectorELNS0_4arch9wavefront6targetE0EEEvT1_.uses_vcc, 0
	.set _ZN7rocprim17ROCPRIM_400000_NS6detail17trampoline_kernelINS0_14default_configENS1_25partition_config_selectorILNS1_17partition_subalgoE5EsNS0_10empty_typeEbEEZZNS1_14partition_implILS5_5ELb0ES3_mN6thrust23THRUST_200600_302600_NS6detail15normal_iteratorINSA_10device_ptrIsEEEEPS6_NSA_18transform_iteratorINSB_9not_fun_tINSA_8identityIsEEEESF_NSA_11use_defaultESM_EENS0_5tupleIJSF_S6_EEENSO_IJSG_SG_EEES6_PlJS6_EEE10hipError_tPvRmT3_T4_T5_T6_T7_T9_mT8_P12ihipStream_tbDpT10_ENKUlT_T0_E_clISt17integral_constantIbLb1EES1A_IbLb0EEEEDaS16_S17_EUlS16_E_NS1_11comp_targetILNS1_3genE10ELNS1_11target_archE1200ELNS1_3gpuE4ELNS1_3repE0EEENS1_30default_config_static_selectorELNS0_4arch9wavefront6targetE0EEEvT1_.uses_flat_scratch, 0
	.set _ZN7rocprim17ROCPRIM_400000_NS6detail17trampoline_kernelINS0_14default_configENS1_25partition_config_selectorILNS1_17partition_subalgoE5EsNS0_10empty_typeEbEEZZNS1_14partition_implILS5_5ELb0ES3_mN6thrust23THRUST_200600_302600_NS6detail15normal_iteratorINSA_10device_ptrIsEEEEPS6_NSA_18transform_iteratorINSB_9not_fun_tINSA_8identityIsEEEESF_NSA_11use_defaultESM_EENS0_5tupleIJSF_S6_EEENSO_IJSG_SG_EEES6_PlJS6_EEE10hipError_tPvRmT3_T4_T5_T6_T7_T9_mT8_P12ihipStream_tbDpT10_ENKUlT_T0_E_clISt17integral_constantIbLb1EES1A_IbLb0EEEEDaS16_S17_EUlS16_E_NS1_11comp_targetILNS1_3genE10ELNS1_11target_archE1200ELNS1_3gpuE4ELNS1_3repE0EEENS1_30default_config_static_selectorELNS0_4arch9wavefront6targetE0EEEvT1_.has_dyn_sized_stack, 0
	.set _ZN7rocprim17ROCPRIM_400000_NS6detail17trampoline_kernelINS0_14default_configENS1_25partition_config_selectorILNS1_17partition_subalgoE5EsNS0_10empty_typeEbEEZZNS1_14partition_implILS5_5ELb0ES3_mN6thrust23THRUST_200600_302600_NS6detail15normal_iteratorINSA_10device_ptrIsEEEEPS6_NSA_18transform_iteratorINSB_9not_fun_tINSA_8identityIsEEEESF_NSA_11use_defaultESM_EENS0_5tupleIJSF_S6_EEENSO_IJSG_SG_EEES6_PlJS6_EEE10hipError_tPvRmT3_T4_T5_T6_T7_T9_mT8_P12ihipStream_tbDpT10_ENKUlT_T0_E_clISt17integral_constantIbLb1EES1A_IbLb0EEEEDaS16_S17_EUlS16_E_NS1_11comp_targetILNS1_3genE10ELNS1_11target_archE1200ELNS1_3gpuE4ELNS1_3repE0EEENS1_30default_config_static_selectorELNS0_4arch9wavefront6targetE0EEEvT1_.has_recursion, 0
	.set _ZN7rocprim17ROCPRIM_400000_NS6detail17trampoline_kernelINS0_14default_configENS1_25partition_config_selectorILNS1_17partition_subalgoE5EsNS0_10empty_typeEbEEZZNS1_14partition_implILS5_5ELb0ES3_mN6thrust23THRUST_200600_302600_NS6detail15normal_iteratorINSA_10device_ptrIsEEEEPS6_NSA_18transform_iteratorINSB_9not_fun_tINSA_8identityIsEEEESF_NSA_11use_defaultESM_EENS0_5tupleIJSF_S6_EEENSO_IJSG_SG_EEES6_PlJS6_EEE10hipError_tPvRmT3_T4_T5_T6_T7_T9_mT8_P12ihipStream_tbDpT10_ENKUlT_T0_E_clISt17integral_constantIbLb1EES1A_IbLb0EEEEDaS16_S17_EUlS16_E_NS1_11comp_targetILNS1_3genE10ELNS1_11target_archE1200ELNS1_3gpuE4ELNS1_3repE0EEENS1_30default_config_static_selectorELNS0_4arch9wavefront6targetE0EEEvT1_.has_indirect_call, 0
	.section	.AMDGPU.csdata,"",@progbits
; Kernel info:
; codeLenInByte = 4
; TotalNumSgprs: 0
; NumVgprs: 0
; ScratchSize: 0
; MemoryBound: 0
; FloatMode: 240
; IeeeMode: 1
; LDSByteSize: 0 bytes/workgroup (compile time only)
; SGPRBlocks: 0
; VGPRBlocks: 0
; NumSGPRsForWavesPerEU: 1
; NumVGPRsForWavesPerEU: 1
; Occupancy: 16
; WaveLimiterHint : 0
; COMPUTE_PGM_RSRC2:SCRATCH_EN: 0
; COMPUTE_PGM_RSRC2:USER_SGPR: 2
; COMPUTE_PGM_RSRC2:TRAP_HANDLER: 0
; COMPUTE_PGM_RSRC2:TGID_X_EN: 1
; COMPUTE_PGM_RSRC2:TGID_Y_EN: 0
; COMPUTE_PGM_RSRC2:TGID_Z_EN: 0
; COMPUTE_PGM_RSRC2:TIDIG_COMP_CNT: 0
	.section	.text._ZN7rocprim17ROCPRIM_400000_NS6detail17trampoline_kernelINS0_14default_configENS1_25partition_config_selectorILNS1_17partition_subalgoE5EsNS0_10empty_typeEbEEZZNS1_14partition_implILS5_5ELb0ES3_mN6thrust23THRUST_200600_302600_NS6detail15normal_iteratorINSA_10device_ptrIsEEEEPS6_NSA_18transform_iteratorINSB_9not_fun_tINSA_8identityIsEEEESF_NSA_11use_defaultESM_EENS0_5tupleIJSF_S6_EEENSO_IJSG_SG_EEES6_PlJS6_EEE10hipError_tPvRmT3_T4_T5_T6_T7_T9_mT8_P12ihipStream_tbDpT10_ENKUlT_T0_E_clISt17integral_constantIbLb1EES1A_IbLb0EEEEDaS16_S17_EUlS16_E_NS1_11comp_targetILNS1_3genE9ELNS1_11target_archE1100ELNS1_3gpuE3ELNS1_3repE0EEENS1_30default_config_static_selectorELNS0_4arch9wavefront6targetE0EEEvT1_,"axG",@progbits,_ZN7rocprim17ROCPRIM_400000_NS6detail17trampoline_kernelINS0_14default_configENS1_25partition_config_selectorILNS1_17partition_subalgoE5EsNS0_10empty_typeEbEEZZNS1_14partition_implILS5_5ELb0ES3_mN6thrust23THRUST_200600_302600_NS6detail15normal_iteratorINSA_10device_ptrIsEEEEPS6_NSA_18transform_iteratorINSB_9not_fun_tINSA_8identityIsEEEESF_NSA_11use_defaultESM_EENS0_5tupleIJSF_S6_EEENSO_IJSG_SG_EEES6_PlJS6_EEE10hipError_tPvRmT3_T4_T5_T6_T7_T9_mT8_P12ihipStream_tbDpT10_ENKUlT_T0_E_clISt17integral_constantIbLb1EES1A_IbLb0EEEEDaS16_S17_EUlS16_E_NS1_11comp_targetILNS1_3genE9ELNS1_11target_archE1100ELNS1_3gpuE3ELNS1_3repE0EEENS1_30default_config_static_selectorELNS0_4arch9wavefront6targetE0EEEvT1_,comdat
	.protected	_ZN7rocprim17ROCPRIM_400000_NS6detail17trampoline_kernelINS0_14default_configENS1_25partition_config_selectorILNS1_17partition_subalgoE5EsNS0_10empty_typeEbEEZZNS1_14partition_implILS5_5ELb0ES3_mN6thrust23THRUST_200600_302600_NS6detail15normal_iteratorINSA_10device_ptrIsEEEEPS6_NSA_18transform_iteratorINSB_9not_fun_tINSA_8identityIsEEEESF_NSA_11use_defaultESM_EENS0_5tupleIJSF_S6_EEENSO_IJSG_SG_EEES6_PlJS6_EEE10hipError_tPvRmT3_T4_T5_T6_T7_T9_mT8_P12ihipStream_tbDpT10_ENKUlT_T0_E_clISt17integral_constantIbLb1EES1A_IbLb0EEEEDaS16_S17_EUlS16_E_NS1_11comp_targetILNS1_3genE9ELNS1_11target_archE1100ELNS1_3gpuE3ELNS1_3repE0EEENS1_30default_config_static_selectorELNS0_4arch9wavefront6targetE0EEEvT1_ ; -- Begin function _ZN7rocprim17ROCPRIM_400000_NS6detail17trampoline_kernelINS0_14default_configENS1_25partition_config_selectorILNS1_17partition_subalgoE5EsNS0_10empty_typeEbEEZZNS1_14partition_implILS5_5ELb0ES3_mN6thrust23THRUST_200600_302600_NS6detail15normal_iteratorINSA_10device_ptrIsEEEEPS6_NSA_18transform_iteratorINSB_9not_fun_tINSA_8identityIsEEEESF_NSA_11use_defaultESM_EENS0_5tupleIJSF_S6_EEENSO_IJSG_SG_EEES6_PlJS6_EEE10hipError_tPvRmT3_T4_T5_T6_T7_T9_mT8_P12ihipStream_tbDpT10_ENKUlT_T0_E_clISt17integral_constantIbLb1EES1A_IbLb0EEEEDaS16_S17_EUlS16_E_NS1_11comp_targetILNS1_3genE9ELNS1_11target_archE1100ELNS1_3gpuE3ELNS1_3repE0EEENS1_30default_config_static_selectorELNS0_4arch9wavefront6targetE0EEEvT1_
	.globl	_ZN7rocprim17ROCPRIM_400000_NS6detail17trampoline_kernelINS0_14default_configENS1_25partition_config_selectorILNS1_17partition_subalgoE5EsNS0_10empty_typeEbEEZZNS1_14partition_implILS5_5ELb0ES3_mN6thrust23THRUST_200600_302600_NS6detail15normal_iteratorINSA_10device_ptrIsEEEEPS6_NSA_18transform_iteratorINSB_9not_fun_tINSA_8identityIsEEEESF_NSA_11use_defaultESM_EENS0_5tupleIJSF_S6_EEENSO_IJSG_SG_EEES6_PlJS6_EEE10hipError_tPvRmT3_T4_T5_T6_T7_T9_mT8_P12ihipStream_tbDpT10_ENKUlT_T0_E_clISt17integral_constantIbLb1EES1A_IbLb0EEEEDaS16_S17_EUlS16_E_NS1_11comp_targetILNS1_3genE9ELNS1_11target_archE1100ELNS1_3gpuE3ELNS1_3repE0EEENS1_30default_config_static_selectorELNS0_4arch9wavefront6targetE0EEEvT1_
	.p2align	8
	.type	_ZN7rocprim17ROCPRIM_400000_NS6detail17trampoline_kernelINS0_14default_configENS1_25partition_config_selectorILNS1_17partition_subalgoE5EsNS0_10empty_typeEbEEZZNS1_14partition_implILS5_5ELb0ES3_mN6thrust23THRUST_200600_302600_NS6detail15normal_iteratorINSA_10device_ptrIsEEEEPS6_NSA_18transform_iteratorINSB_9not_fun_tINSA_8identityIsEEEESF_NSA_11use_defaultESM_EENS0_5tupleIJSF_S6_EEENSO_IJSG_SG_EEES6_PlJS6_EEE10hipError_tPvRmT3_T4_T5_T6_T7_T9_mT8_P12ihipStream_tbDpT10_ENKUlT_T0_E_clISt17integral_constantIbLb1EES1A_IbLb0EEEEDaS16_S17_EUlS16_E_NS1_11comp_targetILNS1_3genE9ELNS1_11target_archE1100ELNS1_3gpuE3ELNS1_3repE0EEENS1_30default_config_static_selectorELNS0_4arch9wavefront6targetE0EEEvT1_,@function
_ZN7rocprim17ROCPRIM_400000_NS6detail17trampoline_kernelINS0_14default_configENS1_25partition_config_selectorILNS1_17partition_subalgoE5EsNS0_10empty_typeEbEEZZNS1_14partition_implILS5_5ELb0ES3_mN6thrust23THRUST_200600_302600_NS6detail15normal_iteratorINSA_10device_ptrIsEEEEPS6_NSA_18transform_iteratorINSB_9not_fun_tINSA_8identityIsEEEESF_NSA_11use_defaultESM_EENS0_5tupleIJSF_S6_EEENSO_IJSG_SG_EEES6_PlJS6_EEE10hipError_tPvRmT3_T4_T5_T6_T7_T9_mT8_P12ihipStream_tbDpT10_ENKUlT_T0_E_clISt17integral_constantIbLb1EES1A_IbLb0EEEEDaS16_S17_EUlS16_E_NS1_11comp_targetILNS1_3genE9ELNS1_11target_archE1100ELNS1_3gpuE3ELNS1_3repE0EEENS1_30default_config_static_selectorELNS0_4arch9wavefront6targetE0EEEvT1_: ; @_ZN7rocprim17ROCPRIM_400000_NS6detail17trampoline_kernelINS0_14default_configENS1_25partition_config_selectorILNS1_17partition_subalgoE5EsNS0_10empty_typeEbEEZZNS1_14partition_implILS5_5ELb0ES3_mN6thrust23THRUST_200600_302600_NS6detail15normal_iteratorINSA_10device_ptrIsEEEEPS6_NSA_18transform_iteratorINSB_9not_fun_tINSA_8identityIsEEEESF_NSA_11use_defaultESM_EENS0_5tupleIJSF_S6_EEENSO_IJSG_SG_EEES6_PlJS6_EEE10hipError_tPvRmT3_T4_T5_T6_T7_T9_mT8_P12ihipStream_tbDpT10_ENKUlT_T0_E_clISt17integral_constantIbLb1EES1A_IbLb0EEEEDaS16_S17_EUlS16_E_NS1_11comp_targetILNS1_3genE9ELNS1_11target_archE1100ELNS1_3gpuE3ELNS1_3repE0EEENS1_30default_config_static_selectorELNS0_4arch9wavefront6targetE0EEEvT1_
; %bb.0:
	.section	.rodata,"a",@progbits
	.p2align	6, 0x0
	.amdhsa_kernel _ZN7rocprim17ROCPRIM_400000_NS6detail17trampoline_kernelINS0_14default_configENS1_25partition_config_selectorILNS1_17partition_subalgoE5EsNS0_10empty_typeEbEEZZNS1_14partition_implILS5_5ELb0ES3_mN6thrust23THRUST_200600_302600_NS6detail15normal_iteratorINSA_10device_ptrIsEEEEPS6_NSA_18transform_iteratorINSB_9not_fun_tINSA_8identityIsEEEESF_NSA_11use_defaultESM_EENS0_5tupleIJSF_S6_EEENSO_IJSG_SG_EEES6_PlJS6_EEE10hipError_tPvRmT3_T4_T5_T6_T7_T9_mT8_P12ihipStream_tbDpT10_ENKUlT_T0_E_clISt17integral_constantIbLb1EES1A_IbLb0EEEEDaS16_S17_EUlS16_E_NS1_11comp_targetILNS1_3genE9ELNS1_11target_archE1100ELNS1_3gpuE3ELNS1_3repE0EEENS1_30default_config_static_selectorELNS0_4arch9wavefront6targetE0EEEvT1_
		.amdhsa_group_segment_fixed_size 0
		.amdhsa_private_segment_fixed_size 0
		.amdhsa_kernarg_size 120
		.amdhsa_user_sgpr_count 2
		.amdhsa_user_sgpr_dispatch_ptr 0
		.amdhsa_user_sgpr_queue_ptr 0
		.amdhsa_user_sgpr_kernarg_segment_ptr 1
		.amdhsa_user_sgpr_dispatch_id 0
		.amdhsa_user_sgpr_private_segment_size 0
		.amdhsa_wavefront_size32 1
		.amdhsa_uses_dynamic_stack 0
		.amdhsa_enable_private_segment 0
		.amdhsa_system_sgpr_workgroup_id_x 1
		.amdhsa_system_sgpr_workgroup_id_y 0
		.amdhsa_system_sgpr_workgroup_id_z 0
		.amdhsa_system_sgpr_workgroup_info 0
		.amdhsa_system_vgpr_workitem_id 0
		.amdhsa_next_free_vgpr 1
		.amdhsa_next_free_sgpr 1
		.amdhsa_reserve_vcc 0
		.amdhsa_float_round_mode_32 0
		.amdhsa_float_round_mode_16_64 0
		.amdhsa_float_denorm_mode_32 3
		.amdhsa_float_denorm_mode_16_64 3
		.amdhsa_fp16_overflow 0
		.amdhsa_workgroup_processor_mode 1
		.amdhsa_memory_ordered 1
		.amdhsa_forward_progress 1
		.amdhsa_inst_pref_size 0
		.amdhsa_round_robin_scheduling 0
		.amdhsa_exception_fp_ieee_invalid_op 0
		.amdhsa_exception_fp_denorm_src 0
		.amdhsa_exception_fp_ieee_div_zero 0
		.amdhsa_exception_fp_ieee_overflow 0
		.amdhsa_exception_fp_ieee_underflow 0
		.amdhsa_exception_fp_ieee_inexact 0
		.amdhsa_exception_int_div_zero 0
	.end_amdhsa_kernel
	.section	.text._ZN7rocprim17ROCPRIM_400000_NS6detail17trampoline_kernelINS0_14default_configENS1_25partition_config_selectorILNS1_17partition_subalgoE5EsNS0_10empty_typeEbEEZZNS1_14partition_implILS5_5ELb0ES3_mN6thrust23THRUST_200600_302600_NS6detail15normal_iteratorINSA_10device_ptrIsEEEEPS6_NSA_18transform_iteratorINSB_9not_fun_tINSA_8identityIsEEEESF_NSA_11use_defaultESM_EENS0_5tupleIJSF_S6_EEENSO_IJSG_SG_EEES6_PlJS6_EEE10hipError_tPvRmT3_T4_T5_T6_T7_T9_mT8_P12ihipStream_tbDpT10_ENKUlT_T0_E_clISt17integral_constantIbLb1EES1A_IbLb0EEEEDaS16_S17_EUlS16_E_NS1_11comp_targetILNS1_3genE9ELNS1_11target_archE1100ELNS1_3gpuE3ELNS1_3repE0EEENS1_30default_config_static_selectorELNS0_4arch9wavefront6targetE0EEEvT1_,"axG",@progbits,_ZN7rocprim17ROCPRIM_400000_NS6detail17trampoline_kernelINS0_14default_configENS1_25partition_config_selectorILNS1_17partition_subalgoE5EsNS0_10empty_typeEbEEZZNS1_14partition_implILS5_5ELb0ES3_mN6thrust23THRUST_200600_302600_NS6detail15normal_iteratorINSA_10device_ptrIsEEEEPS6_NSA_18transform_iteratorINSB_9not_fun_tINSA_8identityIsEEEESF_NSA_11use_defaultESM_EENS0_5tupleIJSF_S6_EEENSO_IJSG_SG_EEES6_PlJS6_EEE10hipError_tPvRmT3_T4_T5_T6_T7_T9_mT8_P12ihipStream_tbDpT10_ENKUlT_T0_E_clISt17integral_constantIbLb1EES1A_IbLb0EEEEDaS16_S17_EUlS16_E_NS1_11comp_targetILNS1_3genE9ELNS1_11target_archE1100ELNS1_3gpuE3ELNS1_3repE0EEENS1_30default_config_static_selectorELNS0_4arch9wavefront6targetE0EEEvT1_,comdat
.Lfunc_end1035:
	.size	_ZN7rocprim17ROCPRIM_400000_NS6detail17trampoline_kernelINS0_14default_configENS1_25partition_config_selectorILNS1_17partition_subalgoE5EsNS0_10empty_typeEbEEZZNS1_14partition_implILS5_5ELb0ES3_mN6thrust23THRUST_200600_302600_NS6detail15normal_iteratorINSA_10device_ptrIsEEEEPS6_NSA_18transform_iteratorINSB_9not_fun_tINSA_8identityIsEEEESF_NSA_11use_defaultESM_EENS0_5tupleIJSF_S6_EEENSO_IJSG_SG_EEES6_PlJS6_EEE10hipError_tPvRmT3_T4_T5_T6_T7_T9_mT8_P12ihipStream_tbDpT10_ENKUlT_T0_E_clISt17integral_constantIbLb1EES1A_IbLb0EEEEDaS16_S17_EUlS16_E_NS1_11comp_targetILNS1_3genE9ELNS1_11target_archE1100ELNS1_3gpuE3ELNS1_3repE0EEENS1_30default_config_static_selectorELNS0_4arch9wavefront6targetE0EEEvT1_, .Lfunc_end1035-_ZN7rocprim17ROCPRIM_400000_NS6detail17trampoline_kernelINS0_14default_configENS1_25partition_config_selectorILNS1_17partition_subalgoE5EsNS0_10empty_typeEbEEZZNS1_14partition_implILS5_5ELb0ES3_mN6thrust23THRUST_200600_302600_NS6detail15normal_iteratorINSA_10device_ptrIsEEEEPS6_NSA_18transform_iteratorINSB_9not_fun_tINSA_8identityIsEEEESF_NSA_11use_defaultESM_EENS0_5tupleIJSF_S6_EEENSO_IJSG_SG_EEES6_PlJS6_EEE10hipError_tPvRmT3_T4_T5_T6_T7_T9_mT8_P12ihipStream_tbDpT10_ENKUlT_T0_E_clISt17integral_constantIbLb1EES1A_IbLb0EEEEDaS16_S17_EUlS16_E_NS1_11comp_targetILNS1_3genE9ELNS1_11target_archE1100ELNS1_3gpuE3ELNS1_3repE0EEENS1_30default_config_static_selectorELNS0_4arch9wavefront6targetE0EEEvT1_
                                        ; -- End function
	.set _ZN7rocprim17ROCPRIM_400000_NS6detail17trampoline_kernelINS0_14default_configENS1_25partition_config_selectorILNS1_17partition_subalgoE5EsNS0_10empty_typeEbEEZZNS1_14partition_implILS5_5ELb0ES3_mN6thrust23THRUST_200600_302600_NS6detail15normal_iteratorINSA_10device_ptrIsEEEEPS6_NSA_18transform_iteratorINSB_9not_fun_tINSA_8identityIsEEEESF_NSA_11use_defaultESM_EENS0_5tupleIJSF_S6_EEENSO_IJSG_SG_EEES6_PlJS6_EEE10hipError_tPvRmT3_T4_T5_T6_T7_T9_mT8_P12ihipStream_tbDpT10_ENKUlT_T0_E_clISt17integral_constantIbLb1EES1A_IbLb0EEEEDaS16_S17_EUlS16_E_NS1_11comp_targetILNS1_3genE9ELNS1_11target_archE1100ELNS1_3gpuE3ELNS1_3repE0EEENS1_30default_config_static_selectorELNS0_4arch9wavefront6targetE0EEEvT1_.num_vgpr, 0
	.set _ZN7rocprim17ROCPRIM_400000_NS6detail17trampoline_kernelINS0_14default_configENS1_25partition_config_selectorILNS1_17partition_subalgoE5EsNS0_10empty_typeEbEEZZNS1_14partition_implILS5_5ELb0ES3_mN6thrust23THRUST_200600_302600_NS6detail15normal_iteratorINSA_10device_ptrIsEEEEPS6_NSA_18transform_iteratorINSB_9not_fun_tINSA_8identityIsEEEESF_NSA_11use_defaultESM_EENS0_5tupleIJSF_S6_EEENSO_IJSG_SG_EEES6_PlJS6_EEE10hipError_tPvRmT3_T4_T5_T6_T7_T9_mT8_P12ihipStream_tbDpT10_ENKUlT_T0_E_clISt17integral_constantIbLb1EES1A_IbLb0EEEEDaS16_S17_EUlS16_E_NS1_11comp_targetILNS1_3genE9ELNS1_11target_archE1100ELNS1_3gpuE3ELNS1_3repE0EEENS1_30default_config_static_selectorELNS0_4arch9wavefront6targetE0EEEvT1_.num_agpr, 0
	.set _ZN7rocprim17ROCPRIM_400000_NS6detail17trampoline_kernelINS0_14default_configENS1_25partition_config_selectorILNS1_17partition_subalgoE5EsNS0_10empty_typeEbEEZZNS1_14partition_implILS5_5ELb0ES3_mN6thrust23THRUST_200600_302600_NS6detail15normal_iteratorINSA_10device_ptrIsEEEEPS6_NSA_18transform_iteratorINSB_9not_fun_tINSA_8identityIsEEEESF_NSA_11use_defaultESM_EENS0_5tupleIJSF_S6_EEENSO_IJSG_SG_EEES6_PlJS6_EEE10hipError_tPvRmT3_T4_T5_T6_T7_T9_mT8_P12ihipStream_tbDpT10_ENKUlT_T0_E_clISt17integral_constantIbLb1EES1A_IbLb0EEEEDaS16_S17_EUlS16_E_NS1_11comp_targetILNS1_3genE9ELNS1_11target_archE1100ELNS1_3gpuE3ELNS1_3repE0EEENS1_30default_config_static_selectorELNS0_4arch9wavefront6targetE0EEEvT1_.numbered_sgpr, 0
	.set _ZN7rocprim17ROCPRIM_400000_NS6detail17trampoline_kernelINS0_14default_configENS1_25partition_config_selectorILNS1_17partition_subalgoE5EsNS0_10empty_typeEbEEZZNS1_14partition_implILS5_5ELb0ES3_mN6thrust23THRUST_200600_302600_NS6detail15normal_iteratorINSA_10device_ptrIsEEEEPS6_NSA_18transform_iteratorINSB_9not_fun_tINSA_8identityIsEEEESF_NSA_11use_defaultESM_EENS0_5tupleIJSF_S6_EEENSO_IJSG_SG_EEES6_PlJS6_EEE10hipError_tPvRmT3_T4_T5_T6_T7_T9_mT8_P12ihipStream_tbDpT10_ENKUlT_T0_E_clISt17integral_constantIbLb1EES1A_IbLb0EEEEDaS16_S17_EUlS16_E_NS1_11comp_targetILNS1_3genE9ELNS1_11target_archE1100ELNS1_3gpuE3ELNS1_3repE0EEENS1_30default_config_static_selectorELNS0_4arch9wavefront6targetE0EEEvT1_.num_named_barrier, 0
	.set _ZN7rocprim17ROCPRIM_400000_NS6detail17trampoline_kernelINS0_14default_configENS1_25partition_config_selectorILNS1_17partition_subalgoE5EsNS0_10empty_typeEbEEZZNS1_14partition_implILS5_5ELb0ES3_mN6thrust23THRUST_200600_302600_NS6detail15normal_iteratorINSA_10device_ptrIsEEEEPS6_NSA_18transform_iteratorINSB_9not_fun_tINSA_8identityIsEEEESF_NSA_11use_defaultESM_EENS0_5tupleIJSF_S6_EEENSO_IJSG_SG_EEES6_PlJS6_EEE10hipError_tPvRmT3_T4_T5_T6_T7_T9_mT8_P12ihipStream_tbDpT10_ENKUlT_T0_E_clISt17integral_constantIbLb1EES1A_IbLb0EEEEDaS16_S17_EUlS16_E_NS1_11comp_targetILNS1_3genE9ELNS1_11target_archE1100ELNS1_3gpuE3ELNS1_3repE0EEENS1_30default_config_static_selectorELNS0_4arch9wavefront6targetE0EEEvT1_.private_seg_size, 0
	.set _ZN7rocprim17ROCPRIM_400000_NS6detail17trampoline_kernelINS0_14default_configENS1_25partition_config_selectorILNS1_17partition_subalgoE5EsNS0_10empty_typeEbEEZZNS1_14partition_implILS5_5ELb0ES3_mN6thrust23THRUST_200600_302600_NS6detail15normal_iteratorINSA_10device_ptrIsEEEEPS6_NSA_18transform_iteratorINSB_9not_fun_tINSA_8identityIsEEEESF_NSA_11use_defaultESM_EENS0_5tupleIJSF_S6_EEENSO_IJSG_SG_EEES6_PlJS6_EEE10hipError_tPvRmT3_T4_T5_T6_T7_T9_mT8_P12ihipStream_tbDpT10_ENKUlT_T0_E_clISt17integral_constantIbLb1EES1A_IbLb0EEEEDaS16_S17_EUlS16_E_NS1_11comp_targetILNS1_3genE9ELNS1_11target_archE1100ELNS1_3gpuE3ELNS1_3repE0EEENS1_30default_config_static_selectorELNS0_4arch9wavefront6targetE0EEEvT1_.uses_vcc, 0
	.set _ZN7rocprim17ROCPRIM_400000_NS6detail17trampoline_kernelINS0_14default_configENS1_25partition_config_selectorILNS1_17partition_subalgoE5EsNS0_10empty_typeEbEEZZNS1_14partition_implILS5_5ELb0ES3_mN6thrust23THRUST_200600_302600_NS6detail15normal_iteratorINSA_10device_ptrIsEEEEPS6_NSA_18transform_iteratorINSB_9not_fun_tINSA_8identityIsEEEESF_NSA_11use_defaultESM_EENS0_5tupleIJSF_S6_EEENSO_IJSG_SG_EEES6_PlJS6_EEE10hipError_tPvRmT3_T4_T5_T6_T7_T9_mT8_P12ihipStream_tbDpT10_ENKUlT_T0_E_clISt17integral_constantIbLb1EES1A_IbLb0EEEEDaS16_S17_EUlS16_E_NS1_11comp_targetILNS1_3genE9ELNS1_11target_archE1100ELNS1_3gpuE3ELNS1_3repE0EEENS1_30default_config_static_selectorELNS0_4arch9wavefront6targetE0EEEvT1_.uses_flat_scratch, 0
	.set _ZN7rocprim17ROCPRIM_400000_NS6detail17trampoline_kernelINS0_14default_configENS1_25partition_config_selectorILNS1_17partition_subalgoE5EsNS0_10empty_typeEbEEZZNS1_14partition_implILS5_5ELb0ES3_mN6thrust23THRUST_200600_302600_NS6detail15normal_iteratorINSA_10device_ptrIsEEEEPS6_NSA_18transform_iteratorINSB_9not_fun_tINSA_8identityIsEEEESF_NSA_11use_defaultESM_EENS0_5tupleIJSF_S6_EEENSO_IJSG_SG_EEES6_PlJS6_EEE10hipError_tPvRmT3_T4_T5_T6_T7_T9_mT8_P12ihipStream_tbDpT10_ENKUlT_T0_E_clISt17integral_constantIbLb1EES1A_IbLb0EEEEDaS16_S17_EUlS16_E_NS1_11comp_targetILNS1_3genE9ELNS1_11target_archE1100ELNS1_3gpuE3ELNS1_3repE0EEENS1_30default_config_static_selectorELNS0_4arch9wavefront6targetE0EEEvT1_.has_dyn_sized_stack, 0
	.set _ZN7rocprim17ROCPRIM_400000_NS6detail17trampoline_kernelINS0_14default_configENS1_25partition_config_selectorILNS1_17partition_subalgoE5EsNS0_10empty_typeEbEEZZNS1_14partition_implILS5_5ELb0ES3_mN6thrust23THRUST_200600_302600_NS6detail15normal_iteratorINSA_10device_ptrIsEEEEPS6_NSA_18transform_iteratorINSB_9not_fun_tINSA_8identityIsEEEESF_NSA_11use_defaultESM_EENS0_5tupleIJSF_S6_EEENSO_IJSG_SG_EEES6_PlJS6_EEE10hipError_tPvRmT3_T4_T5_T6_T7_T9_mT8_P12ihipStream_tbDpT10_ENKUlT_T0_E_clISt17integral_constantIbLb1EES1A_IbLb0EEEEDaS16_S17_EUlS16_E_NS1_11comp_targetILNS1_3genE9ELNS1_11target_archE1100ELNS1_3gpuE3ELNS1_3repE0EEENS1_30default_config_static_selectorELNS0_4arch9wavefront6targetE0EEEvT1_.has_recursion, 0
	.set _ZN7rocprim17ROCPRIM_400000_NS6detail17trampoline_kernelINS0_14default_configENS1_25partition_config_selectorILNS1_17partition_subalgoE5EsNS0_10empty_typeEbEEZZNS1_14partition_implILS5_5ELb0ES3_mN6thrust23THRUST_200600_302600_NS6detail15normal_iteratorINSA_10device_ptrIsEEEEPS6_NSA_18transform_iteratorINSB_9not_fun_tINSA_8identityIsEEEESF_NSA_11use_defaultESM_EENS0_5tupleIJSF_S6_EEENSO_IJSG_SG_EEES6_PlJS6_EEE10hipError_tPvRmT3_T4_T5_T6_T7_T9_mT8_P12ihipStream_tbDpT10_ENKUlT_T0_E_clISt17integral_constantIbLb1EES1A_IbLb0EEEEDaS16_S17_EUlS16_E_NS1_11comp_targetILNS1_3genE9ELNS1_11target_archE1100ELNS1_3gpuE3ELNS1_3repE0EEENS1_30default_config_static_selectorELNS0_4arch9wavefront6targetE0EEEvT1_.has_indirect_call, 0
	.section	.AMDGPU.csdata,"",@progbits
; Kernel info:
; codeLenInByte = 0
; TotalNumSgprs: 0
; NumVgprs: 0
; ScratchSize: 0
; MemoryBound: 0
; FloatMode: 240
; IeeeMode: 1
; LDSByteSize: 0 bytes/workgroup (compile time only)
; SGPRBlocks: 0
; VGPRBlocks: 0
; NumSGPRsForWavesPerEU: 1
; NumVGPRsForWavesPerEU: 1
; Occupancy: 16
; WaveLimiterHint : 0
; COMPUTE_PGM_RSRC2:SCRATCH_EN: 0
; COMPUTE_PGM_RSRC2:USER_SGPR: 2
; COMPUTE_PGM_RSRC2:TRAP_HANDLER: 0
; COMPUTE_PGM_RSRC2:TGID_X_EN: 1
; COMPUTE_PGM_RSRC2:TGID_Y_EN: 0
; COMPUTE_PGM_RSRC2:TGID_Z_EN: 0
; COMPUTE_PGM_RSRC2:TIDIG_COMP_CNT: 0
	.section	.text._ZN7rocprim17ROCPRIM_400000_NS6detail17trampoline_kernelINS0_14default_configENS1_25partition_config_selectorILNS1_17partition_subalgoE5EsNS0_10empty_typeEbEEZZNS1_14partition_implILS5_5ELb0ES3_mN6thrust23THRUST_200600_302600_NS6detail15normal_iteratorINSA_10device_ptrIsEEEEPS6_NSA_18transform_iteratorINSB_9not_fun_tINSA_8identityIsEEEESF_NSA_11use_defaultESM_EENS0_5tupleIJSF_S6_EEENSO_IJSG_SG_EEES6_PlJS6_EEE10hipError_tPvRmT3_T4_T5_T6_T7_T9_mT8_P12ihipStream_tbDpT10_ENKUlT_T0_E_clISt17integral_constantIbLb1EES1A_IbLb0EEEEDaS16_S17_EUlS16_E_NS1_11comp_targetILNS1_3genE8ELNS1_11target_archE1030ELNS1_3gpuE2ELNS1_3repE0EEENS1_30default_config_static_selectorELNS0_4arch9wavefront6targetE0EEEvT1_,"axG",@progbits,_ZN7rocprim17ROCPRIM_400000_NS6detail17trampoline_kernelINS0_14default_configENS1_25partition_config_selectorILNS1_17partition_subalgoE5EsNS0_10empty_typeEbEEZZNS1_14partition_implILS5_5ELb0ES3_mN6thrust23THRUST_200600_302600_NS6detail15normal_iteratorINSA_10device_ptrIsEEEEPS6_NSA_18transform_iteratorINSB_9not_fun_tINSA_8identityIsEEEESF_NSA_11use_defaultESM_EENS0_5tupleIJSF_S6_EEENSO_IJSG_SG_EEES6_PlJS6_EEE10hipError_tPvRmT3_T4_T5_T6_T7_T9_mT8_P12ihipStream_tbDpT10_ENKUlT_T0_E_clISt17integral_constantIbLb1EES1A_IbLb0EEEEDaS16_S17_EUlS16_E_NS1_11comp_targetILNS1_3genE8ELNS1_11target_archE1030ELNS1_3gpuE2ELNS1_3repE0EEENS1_30default_config_static_selectorELNS0_4arch9wavefront6targetE0EEEvT1_,comdat
	.protected	_ZN7rocprim17ROCPRIM_400000_NS6detail17trampoline_kernelINS0_14default_configENS1_25partition_config_selectorILNS1_17partition_subalgoE5EsNS0_10empty_typeEbEEZZNS1_14partition_implILS5_5ELb0ES3_mN6thrust23THRUST_200600_302600_NS6detail15normal_iteratorINSA_10device_ptrIsEEEEPS6_NSA_18transform_iteratorINSB_9not_fun_tINSA_8identityIsEEEESF_NSA_11use_defaultESM_EENS0_5tupleIJSF_S6_EEENSO_IJSG_SG_EEES6_PlJS6_EEE10hipError_tPvRmT3_T4_T5_T6_T7_T9_mT8_P12ihipStream_tbDpT10_ENKUlT_T0_E_clISt17integral_constantIbLb1EES1A_IbLb0EEEEDaS16_S17_EUlS16_E_NS1_11comp_targetILNS1_3genE8ELNS1_11target_archE1030ELNS1_3gpuE2ELNS1_3repE0EEENS1_30default_config_static_selectorELNS0_4arch9wavefront6targetE0EEEvT1_ ; -- Begin function _ZN7rocprim17ROCPRIM_400000_NS6detail17trampoline_kernelINS0_14default_configENS1_25partition_config_selectorILNS1_17partition_subalgoE5EsNS0_10empty_typeEbEEZZNS1_14partition_implILS5_5ELb0ES3_mN6thrust23THRUST_200600_302600_NS6detail15normal_iteratorINSA_10device_ptrIsEEEEPS6_NSA_18transform_iteratorINSB_9not_fun_tINSA_8identityIsEEEESF_NSA_11use_defaultESM_EENS0_5tupleIJSF_S6_EEENSO_IJSG_SG_EEES6_PlJS6_EEE10hipError_tPvRmT3_T4_T5_T6_T7_T9_mT8_P12ihipStream_tbDpT10_ENKUlT_T0_E_clISt17integral_constantIbLb1EES1A_IbLb0EEEEDaS16_S17_EUlS16_E_NS1_11comp_targetILNS1_3genE8ELNS1_11target_archE1030ELNS1_3gpuE2ELNS1_3repE0EEENS1_30default_config_static_selectorELNS0_4arch9wavefront6targetE0EEEvT1_
	.globl	_ZN7rocprim17ROCPRIM_400000_NS6detail17trampoline_kernelINS0_14default_configENS1_25partition_config_selectorILNS1_17partition_subalgoE5EsNS0_10empty_typeEbEEZZNS1_14partition_implILS5_5ELb0ES3_mN6thrust23THRUST_200600_302600_NS6detail15normal_iteratorINSA_10device_ptrIsEEEEPS6_NSA_18transform_iteratorINSB_9not_fun_tINSA_8identityIsEEEESF_NSA_11use_defaultESM_EENS0_5tupleIJSF_S6_EEENSO_IJSG_SG_EEES6_PlJS6_EEE10hipError_tPvRmT3_T4_T5_T6_T7_T9_mT8_P12ihipStream_tbDpT10_ENKUlT_T0_E_clISt17integral_constantIbLb1EES1A_IbLb0EEEEDaS16_S17_EUlS16_E_NS1_11comp_targetILNS1_3genE8ELNS1_11target_archE1030ELNS1_3gpuE2ELNS1_3repE0EEENS1_30default_config_static_selectorELNS0_4arch9wavefront6targetE0EEEvT1_
	.p2align	8
	.type	_ZN7rocprim17ROCPRIM_400000_NS6detail17trampoline_kernelINS0_14default_configENS1_25partition_config_selectorILNS1_17partition_subalgoE5EsNS0_10empty_typeEbEEZZNS1_14partition_implILS5_5ELb0ES3_mN6thrust23THRUST_200600_302600_NS6detail15normal_iteratorINSA_10device_ptrIsEEEEPS6_NSA_18transform_iteratorINSB_9not_fun_tINSA_8identityIsEEEESF_NSA_11use_defaultESM_EENS0_5tupleIJSF_S6_EEENSO_IJSG_SG_EEES6_PlJS6_EEE10hipError_tPvRmT3_T4_T5_T6_T7_T9_mT8_P12ihipStream_tbDpT10_ENKUlT_T0_E_clISt17integral_constantIbLb1EES1A_IbLb0EEEEDaS16_S17_EUlS16_E_NS1_11comp_targetILNS1_3genE8ELNS1_11target_archE1030ELNS1_3gpuE2ELNS1_3repE0EEENS1_30default_config_static_selectorELNS0_4arch9wavefront6targetE0EEEvT1_,@function
_ZN7rocprim17ROCPRIM_400000_NS6detail17trampoline_kernelINS0_14default_configENS1_25partition_config_selectorILNS1_17partition_subalgoE5EsNS0_10empty_typeEbEEZZNS1_14partition_implILS5_5ELb0ES3_mN6thrust23THRUST_200600_302600_NS6detail15normal_iteratorINSA_10device_ptrIsEEEEPS6_NSA_18transform_iteratorINSB_9not_fun_tINSA_8identityIsEEEESF_NSA_11use_defaultESM_EENS0_5tupleIJSF_S6_EEENSO_IJSG_SG_EEES6_PlJS6_EEE10hipError_tPvRmT3_T4_T5_T6_T7_T9_mT8_P12ihipStream_tbDpT10_ENKUlT_T0_E_clISt17integral_constantIbLb1EES1A_IbLb0EEEEDaS16_S17_EUlS16_E_NS1_11comp_targetILNS1_3genE8ELNS1_11target_archE1030ELNS1_3gpuE2ELNS1_3repE0EEENS1_30default_config_static_selectorELNS0_4arch9wavefront6targetE0EEEvT1_: ; @_ZN7rocprim17ROCPRIM_400000_NS6detail17trampoline_kernelINS0_14default_configENS1_25partition_config_selectorILNS1_17partition_subalgoE5EsNS0_10empty_typeEbEEZZNS1_14partition_implILS5_5ELb0ES3_mN6thrust23THRUST_200600_302600_NS6detail15normal_iteratorINSA_10device_ptrIsEEEEPS6_NSA_18transform_iteratorINSB_9not_fun_tINSA_8identityIsEEEESF_NSA_11use_defaultESM_EENS0_5tupleIJSF_S6_EEENSO_IJSG_SG_EEES6_PlJS6_EEE10hipError_tPvRmT3_T4_T5_T6_T7_T9_mT8_P12ihipStream_tbDpT10_ENKUlT_T0_E_clISt17integral_constantIbLb1EES1A_IbLb0EEEEDaS16_S17_EUlS16_E_NS1_11comp_targetILNS1_3genE8ELNS1_11target_archE1030ELNS1_3gpuE2ELNS1_3repE0EEENS1_30default_config_static_selectorELNS0_4arch9wavefront6targetE0EEEvT1_
; %bb.0:
	.section	.rodata,"a",@progbits
	.p2align	6, 0x0
	.amdhsa_kernel _ZN7rocprim17ROCPRIM_400000_NS6detail17trampoline_kernelINS0_14default_configENS1_25partition_config_selectorILNS1_17partition_subalgoE5EsNS0_10empty_typeEbEEZZNS1_14partition_implILS5_5ELb0ES3_mN6thrust23THRUST_200600_302600_NS6detail15normal_iteratorINSA_10device_ptrIsEEEEPS6_NSA_18transform_iteratorINSB_9not_fun_tINSA_8identityIsEEEESF_NSA_11use_defaultESM_EENS0_5tupleIJSF_S6_EEENSO_IJSG_SG_EEES6_PlJS6_EEE10hipError_tPvRmT3_T4_T5_T6_T7_T9_mT8_P12ihipStream_tbDpT10_ENKUlT_T0_E_clISt17integral_constantIbLb1EES1A_IbLb0EEEEDaS16_S17_EUlS16_E_NS1_11comp_targetILNS1_3genE8ELNS1_11target_archE1030ELNS1_3gpuE2ELNS1_3repE0EEENS1_30default_config_static_selectorELNS0_4arch9wavefront6targetE0EEEvT1_
		.amdhsa_group_segment_fixed_size 0
		.amdhsa_private_segment_fixed_size 0
		.amdhsa_kernarg_size 120
		.amdhsa_user_sgpr_count 2
		.amdhsa_user_sgpr_dispatch_ptr 0
		.amdhsa_user_sgpr_queue_ptr 0
		.amdhsa_user_sgpr_kernarg_segment_ptr 1
		.amdhsa_user_sgpr_dispatch_id 0
		.amdhsa_user_sgpr_private_segment_size 0
		.amdhsa_wavefront_size32 1
		.amdhsa_uses_dynamic_stack 0
		.amdhsa_enable_private_segment 0
		.amdhsa_system_sgpr_workgroup_id_x 1
		.amdhsa_system_sgpr_workgroup_id_y 0
		.amdhsa_system_sgpr_workgroup_id_z 0
		.amdhsa_system_sgpr_workgroup_info 0
		.amdhsa_system_vgpr_workitem_id 0
		.amdhsa_next_free_vgpr 1
		.amdhsa_next_free_sgpr 1
		.amdhsa_reserve_vcc 0
		.amdhsa_float_round_mode_32 0
		.amdhsa_float_round_mode_16_64 0
		.amdhsa_float_denorm_mode_32 3
		.amdhsa_float_denorm_mode_16_64 3
		.amdhsa_fp16_overflow 0
		.amdhsa_workgroup_processor_mode 1
		.amdhsa_memory_ordered 1
		.amdhsa_forward_progress 1
		.amdhsa_inst_pref_size 0
		.amdhsa_round_robin_scheduling 0
		.amdhsa_exception_fp_ieee_invalid_op 0
		.amdhsa_exception_fp_denorm_src 0
		.amdhsa_exception_fp_ieee_div_zero 0
		.amdhsa_exception_fp_ieee_overflow 0
		.amdhsa_exception_fp_ieee_underflow 0
		.amdhsa_exception_fp_ieee_inexact 0
		.amdhsa_exception_int_div_zero 0
	.end_amdhsa_kernel
	.section	.text._ZN7rocprim17ROCPRIM_400000_NS6detail17trampoline_kernelINS0_14default_configENS1_25partition_config_selectorILNS1_17partition_subalgoE5EsNS0_10empty_typeEbEEZZNS1_14partition_implILS5_5ELb0ES3_mN6thrust23THRUST_200600_302600_NS6detail15normal_iteratorINSA_10device_ptrIsEEEEPS6_NSA_18transform_iteratorINSB_9not_fun_tINSA_8identityIsEEEESF_NSA_11use_defaultESM_EENS0_5tupleIJSF_S6_EEENSO_IJSG_SG_EEES6_PlJS6_EEE10hipError_tPvRmT3_T4_T5_T6_T7_T9_mT8_P12ihipStream_tbDpT10_ENKUlT_T0_E_clISt17integral_constantIbLb1EES1A_IbLb0EEEEDaS16_S17_EUlS16_E_NS1_11comp_targetILNS1_3genE8ELNS1_11target_archE1030ELNS1_3gpuE2ELNS1_3repE0EEENS1_30default_config_static_selectorELNS0_4arch9wavefront6targetE0EEEvT1_,"axG",@progbits,_ZN7rocprim17ROCPRIM_400000_NS6detail17trampoline_kernelINS0_14default_configENS1_25partition_config_selectorILNS1_17partition_subalgoE5EsNS0_10empty_typeEbEEZZNS1_14partition_implILS5_5ELb0ES3_mN6thrust23THRUST_200600_302600_NS6detail15normal_iteratorINSA_10device_ptrIsEEEEPS6_NSA_18transform_iteratorINSB_9not_fun_tINSA_8identityIsEEEESF_NSA_11use_defaultESM_EENS0_5tupleIJSF_S6_EEENSO_IJSG_SG_EEES6_PlJS6_EEE10hipError_tPvRmT3_T4_T5_T6_T7_T9_mT8_P12ihipStream_tbDpT10_ENKUlT_T0_E_clISt17integral_constantIbLb1EES1A_IbLb0EEEEDaS16_S17_EUlS16_E_NS1_11comp_targetILNS1_3genE8ELNS1_11target_archE1030ELNS1_3gpuE2ELNS1_3repE0EEENS1_30default_config_static_selectorELNS0_4arch9wavefront6targetE0EEEvT1_,comdat
.Lfunc_end1036:
	.size	_ZN7rocprim17ROCPRIM_400000_NS6detail17trampoline_kernelINS0_14default_configENS1_25partition_config_selectorILNS1_17partition_subalgoE5EsNS0_10empty_typeEbEEZZNS1_14partition_implILS5_5ELb0ES3_mN6thrust23THRUST_200600_302600_NS6detail15normal_iteratorINSA_10device_ptrIsEEEEPS6_NSA_18transform_iteratorINSB_9not_fun_tINSA_8identityIsEEEESF_NSA_11use_defaultESM_EENS0_5tupleIJSF_S6_EEENSO_IJSG_SG_EEES6_PlJS6_EEE10hipError_tPvRmT3_T4_T5_T6_T7_T9_mT8_P12ihipStream_tbDpT10_ENKUlT_T0_E_clISt17integral_constantIbLb1EES1A_IbLb0EEEEDaS16_S17_EUlS16_E_NS1_11comp_targetILNS1_3genE8ELNS1_11target_archE1030ELNS1_3gpuE2ELNS1_3repE0EEENS1_30default_config_static_selectorELNS0_4arch9wavefront6targetE0EEEvT1_, .Lfunc_end1036-_ZN7rocprim17ROCPRIM_400000_NS6detail17trampoline_kernelINS0_14default_configENS1_25partition_config_selectorILNS1_17partition_subalgoE5EsNS0_10empty_typeEbEEZZNS1_14partition_implILS5_5ELb0ES3_mN6thrust23THRUST_200600_302600_NS6detail15normal_iteratorINSA_10device_ptrIsEEEEPS6_NSA_18transform_iteratorINSB_9not_fun_tINSA_8identityIsEEEESF_NSA_11use_defaultESM_EENS0_5tupleIJSF_S6_EEENSO_IJSG_SG_EEES6_PlJS6_EEE10hipError_tPvRmT3_T4_T5_T6_T7_T9_mT8_P12ihipStream_tbDpT10_ENKUlT_T0_E_clISt17integral_constantIbLb1EES1A_IbLb0EEEEDaS16_S17_EUlS16_E_NS1_11comp_targetILNS1_3genE8ELNS1_11target_archE1030ELNS1_3gpuE2ELNS1_3repE0EEENS1_30default_config_static_selectorELNS0_4arch9wavefront6targetE0EEEvT1_
                                        ; -- End function
	.set _ZN7rocprim17ROCPRIM_400000_NS6detail17trampoline_kernelINS0_14default_configENS1_25partition_config_selectorILNS1_17partition_subalgoE5EsNS0_10empty_typeEbEEZZNS1_14partition_implILS5_5ELb0ES3_mN6thrust23THRUST_200600_302600_NS6detail15normal_iteratorINSA_10device_ptrIsEEEEPS6_NSA_18transform_iteratorINSB_9not_fun_tINSA_8identityIsEEEESF_NSA_11use_defaultESM_EENS0_5tupleIJSF_S6_EEENSO_IJSG_SG_EEES6_PlJS6_EEE10hipError_tPvRmT3_T4_T5_T6_T7_T9_mT8_P12ihipStream_tbDpT10_ENKUlT_T0_E_clISt17integral_constantIbLb1EES1A_IbLb0EEEEDaS16_S17_EUlS16_E_NS1_11comp_targetILNS1_3genE8ELNS1_11target_archE1030ELNS1_3gpuE2ELNS1_3repE0EEENS1_30default_config_static_selectorELNS0_4arch9wavefront6targetE0EEEvT1_.num_vgpr, 0
	.set _ZN7rocprim17ROCPRIM_400000_NS6detail17trampoline_kernelINS0_14default_configENS1_25partition_config_selectorILNS1_17partition_subalgoE5EsNS0_10empty_typeEbEEZZNS1_14partition_implILS5_5ELb0ES3_mN6thrust23THRUST_200600_302600_NS6detail15normal_iteratorINSA_10device_ptrIsEEEEPS6_NSA_18transform_iteratorINSB_9not_fun_tINSA_8identityIsEEEESF_NSA_11use_defaultESM_EENS0_5tupleIJSF_S6_EEENSO_IJSG_SG_EEES6_PlJS6_EEE10hipError_tPvRmT3_T4_T5_T6_T7_T9_mT8_P12ihipStream_tbDpT10_ENKUlT_T0_E_clISt17integral_constantIbLb1EES1A_IbLb0EEEEDaS16_S17_EUlS16_E_NS1_11comp_targetILNS1_3genE8ELNS1_11target_archE1030ELNS1_3gpuE2ELNS1_3repE0EEENS1_30default_config_static_selectorELNS0_4arch9wavefront6targetE0EEEvT1_.num_agpr, 0
	.set _ZN7rocprim17ROCPRIM_400000_NS6detail17trampoline_kernelINS0_14default_configENS1_25partition_config_selectorILNS1_17partition_subalgoE5EsNS0_10empty_typeEbEEZZNS1_14partition_implILS5_5ELb0ES3_mN6thrust23THRUST_200600_302600_NS6detail15normal_iteratorINSA_10device_ptrIsEEEEPS6_NSA_18transform_iteratorINSB_9not_fun_tINSA_8identityIsEEEESF_NSA_11use_defaultESM_EENS0_5tupleIJSF_S6_EEENSO_IJSG_SG_EEES6_PlJS6_EEE10hipError_tPvRmT3_T4_T5_T6_T7_T9_mT8_P12ihipStream_tbDpT10_ENKUlT_T0_E_clISt17integral_constantIbLb1EES1A_IbLb0EEEEDaS16_S17_EUlS16_E_NS1_11comp_targetILNS1_3genE8ELNS1_11target_archE1030ELNS1_3gpuE2ELNS1_3repE0EEENS1_30default_config_static_selectorELNS0_4arch9wavefront6targetE0EEEvT1_.numbered_sgpr, 0
	.set _ZN7rocprim17ROCPRIM_400000_NS6detail17trampoline_kernelINS0_14default_configENS1_25partition_config_selectorILNS1_17partition_subalgoE5EsNS0_10empty_typeEbEEZZNS1_14partition_implILS5_5ELb0ES3_mN6thrust23THRUST_200600_302600_NS6detail15normal_iteratorINSA_10device_ptrIsEEEEPS6_NSA_18transform_iteratorINSB_9not_fun_tINSA_8identityIsEEEESF_NSA_11use_defaultESM_EENS0_5tupleIJSF_S6_EEENSO_IJSG_SG_EEES6_PlJS6_EEE10hipError_tPvRmT3_T4_T5_T6_T7_T9_mT8_P12ihipStream_tbDpT10_ENKUlT_T0_E_clISt17integral_constantIbLb1EES1A_IbLb0EEEEDaS16_S17_EUlS16_E_NS1_11comp_targetILNS1_3genE8ELNS1_11target_archE1030ELNS1_3gpuE2ELNS1_3repE0EEENS1_30default_config_static_selectorELNS0_4arch9wavefront6targetE0EEEvT1_.num_named_barrier, 0
	.set _ZN7rocprim17ROCPRIM_400000_NS6detail17trampoline_kernelINS0_14default_configENS1_25partition_config_selectorILNS1_17partition_subalgoE5EsNS0_10empty_typeEbEEZZNS1_14partition_implILS5_5ELb0ES3_mN6thrust23THRUST_200600_302600_NS6detail15normal_iteratorINSA_10device_ptrIsEEEEPS6_NSA_18transform_iteratorINSB_9not_fun_tINSA_8identityIsEEEESF_NSA_11use_defaultESM_EENS0_5tupleIJSF_S6_EEENSO_IJSG_SG_EEES6_PlJS6_EEE10hipError_tPvRmT3_T4_T5_T6_T7_T9_mT8_P12ihipStream_tbDpT10_ENKUlT_T0_E_clISt17integral_constantIbLb1EES1A_IbLb0EEEEDaS16_S17_EUlS16_E_NS1_11comp_targetILNS1_3genE8ELNS1_11target_archE1030ELNS1_3gpuE2ELNS1_3repE0EEENS1_30default_config_static_selectorELNS0_4arch9wavefront6targetE0EEEvT1_.private_seg_size, 0
	.set _ZN7rocprim17ROCPRIM_400000_NS6detail17trampoline_kernelINS0_14default_configENS1_25partition_config_selectorILNS1_17partition_subalgoE5EsNS0_10empty_typeEbEEZZNS1_14partition_implILS5_5ELb0ES3_mN6thrust23THRUST_200600_302600_NS6detail15normal_iteratorINSA_10device_ptrIsEEEEPS6_NSA_18transform_iteratorINSB_9not_fun_tINSA_8identityIsEEEESF_NSA_11use_defaultESM_EENS0_5tupleIJSF_S6_EEENSO_IJSG_SG_EEES6_PlJS6_EEE10hipError_tPvRmT3_T4_T5_T6_T7_T9_mT8_P12ihipStream_tbDpT10_ENKUlT_T0_E_clISt17integral_constantIbLb1EES1A_IbLb0EEEEDaS16_S17_EUlS16_E_NS1_11comp_targetILNS1_3genE8ELNS1_11target_archE1030ELNS1_3gpuE2ELNS1_3repE0EEENS1_30default_config_static_selectorELNS0_4arch9wavefront6targetE0EEEvT1_.uses_vcc, 0
	.set _ZN7rocprim17ROCPRIM_400000_NS6detail17trampoline_kernelINS0_14default_configENS1_25partition_config_selectorILNS1_17partition_subalgoE5EsNS0_10empty_typeEbEEZZNS1_14partition_implILS5_5ELb0ES3_mN6thrust23THRUST_200600_302600_NS6detail15normal_iteratorINSA_10device_ptrIsEEEEPS6_NSA_18transform_iteratorINSB_9not_fun_tINSA_8identityIsEEEESF_NSA_11use_defaultESM_EENS0_5tupleIJSF_S6_EEENSO_IJSG_SG_EEES6_PlJS6_EEE10hipError_tPvRmT3_T4_T5_T6_T7_T9_mT8_P12ihipStream_tbDpT10_ENKUlT_T0_E_clISt17integral_constantIbLb1EES1A_IbLb0EEEEDaS16_S17_EUlS16_E_NS1_11comp_targetILNS1_3genE8ELNS1_11target_archE1030ELNS1_3gpuE2ELNS1_3repE0EEENS1_30default_config_static_selectorELNS0_4arch9wavefront6targetE0EEEvT1_.uses_flat_scratch, 0
	.set _ZN7rocprim17ROCPRIM_400000_NS6detail17trampoline_kernelINS0_14default_configENS1_25partition_config_selectorILNS1_17partition_subalgoE5EsNS0_10empty_typeEbEEZZNS1_14partition_implILS5_5ELb0ES3_mN6thrust23THRUST_200600_302600_NS6detail15normal_iteratorINSA_10device_ptrIsEEEEPS6_NSA_18transform_iteratorINSB_9not_fun_tINSA_8identityIsEEEESF_NSA_11use_defaultESM_EENS0_5tupleIJSF_S6_EEENSO_IJSG_SG_EEES6_PlJS6_EEE10hipError_tPvRmT3_T4_T5_T6_T7_T9_mT8_P12ihipStream_tbDpT10_ENKUlT_T0_E_clISt17integral_constantIbLb1EES1A_IbLb0EEEEDaS16_S17_EUlS16_E_NS1_11comp_targetILNS1_3genE8ELNS1_11target_archE1030ELNS1_3gpuE2ELNS1_3repE0EEENS1_30default_config_static_selectorELNS0_4arch9wavefront6targetE0EEEvT1_.has_dyn_sized_stack, 0
	.set _ZN7rocprim17ROCPRIM_400000_NS6detail17trampoline_kernelINS0_14default_configENS1_25partition_config_selectorILNS1_17partition_subalgoE5EsNS0_10empty_typeEbEEZZNS1_14partition_implILS5_5ELb0ES3_mN6thrust23THRUST_200600_302600_NS6detail15normal_iteratorINSA_10device_ptrIsEEEEPS6_NSA_18transform_iteratorINSB_9not_fun_tINSA_8identityIsEEEESF_NSA_11use_defaultESM_EENS0_5tupleIJSF_S6_EEENSO_IJSG_SG_EEES6_PlJS6_EEE10hipError_tPvRmT3_T4_T5_T6_T7_T9_mT8_P12ihipStream_tbDpT10_ENKUlT_T0_E_clISt17integral_constantIbLb1EES1A_IbLb0EEEEDaS16_S17_EUlS16_E_NS1_11comp_targetILNS1_3genE8ELNS1_11target_archE1030ELNS1_3gpuE2ELNS1_3repE0EEENS1_30default_config_static_selectorELNS0_4arch9wavefront6targetE0EEEvT1_.has_recursion, 0
	.set _ZN7rocprim17ROCPRIM_400000_NS6detail17trampoline_kernelINS0_14default_configENS1_25partition_config_selectorILNS1_17partition_subalgoE5EsNS0_10empty_typeEbEEZZNS1_14partition_implILS5_5ELb0ES3_mN6thrust23THRUST_200600_302600_NS6detail15normal_iteratorINSA_10device_ptrIsEEEEPS6_NSA_18transform_iteratorINSB_9not_fun_tINSA_8identityIsEEEESF_NSA_11use_defaultESM_EENS0_5tupleIJSF_S6_EEENSO_IJSG_SG_EEES6_PlJS6_EEE10hipError_tPvRmT3_T4_T5_T6_T7_T9_mT8_P12ihipStream_tbDpT10_ENKUlT_T0_E_clISt17integral_constantIbLb1EES1A_IbLb0EEEEDaS16_S17_EUlS16_E_NS1_11comp_targetILNS1_3genE8ELNS1_11target_archE1030ELNS1_3gpuE2ELNS1_3repE0EEENS1_30default_config_static_selectorELNS0_4arch9wavefront6targetE0EEEvT1_.has_indirect_call, 0
	.section	.AMDGPU.csdata,"",@progbits
; Kernel info:
; codeLenInByte = 0
; TotalNumSgprs: 0
; NumVgprs: 0
; ScratchSize: 0
; MemoryBound: 0
; FloatMode: 240
; IeeeMode: 1
; LDSByteSize: 0 bytes/workgroup (compile time only)
; SGPRBlocks: 0
; VGPRBlocks: 0
; NumSGPRsForWavesPerEU: 1
; NumVGPRsForWavesPerEU: 1
; Occupancy: 16
; WaveLimiterHint : 0
; COMPUTE_PGM_RSRC2:SCRATCH_EN: 0
; COMPUTE_PGM_RSRC2:USER_SGPR: 2
; COMPUTE_PGM_RSRC2:TRAP_HANDLER: 0
; COMPUTE_PGM_RSRC2:TGID_X_EN: 1
; COMPUTE_PGM_RSRC2:TGID_Y_EN: 0
; COMPUTE_PGM_RSRC2:TGID_Z_EN: 0
; COMPUTE_PGM_RSRC2:TIDIG_COMP_CNT: 0
	.section	.text._ZN7rocprim17ROCPRIM_400000_NS6detail17trampoline_kernelINS0_14default_configENS1_25partition_config_selectorILNS1_17partition_subalgoE5EsNS0_10empty_typeEbEEZZNS1_14partition_implILS5_5ELb0ES3_mN6thrust23THRUST_200600_302600_NS6detail15normal_iteratorINSA_10device_ptrIsEEEEPS6_NSA_18transform_iteratorINSB_9not_fun_tINSA_8identityIsEEEESF_NSA_11use_defaultESM_EENS0_5tupleIJSF_S6_EEENSO_IJSG_SG_EEES6_PlJS6_EEE10hipError_tPvRmT3_T4_T5_T6_T7_T9_mT8_P12ihipStream_tbDpT10_ENKUlT_T0_E_clISt17integral_constantIbLb0EES1A_IbLb1EEEEDaS16_S17_EUlS16_E_NS1_11comp_targetILNS1_3genE0ELNS1_11target_archE4294967295ELNS1_3gpuE0ELNS1_3repE0EEENS1_30default_config_static_selectorELNS0_4arch9wavefront6targetE0EEEvT1_,"axG",@progbits,_ZN7rocprim17ROCPRIM_400000_NS6detail17trampoline_kernelINS0_14default_configENS1_25partition_config_selectorILNS1_17partition_subalgoE5EsNS0_10empty_typeEbEEZZNS1_14partition_implILS5_5ELb0ES3_mN6thrust23THRUST_200600_302600_NS6detail15normal_iteratorINSA_10device_ptrIsEEEEPS6_NSA_18transform_iteratorINSB_9not_fun_tINSA_8identityIsEEEESF_NSA_11use_defaultESM_EENS0_5tupleIJSF_S6_EEENSO_IJSG_SG_EEES6_PlJS6_EEE10hipError_tPvRmT3_T4_T5_T6_T7_T9_mT8_P12ihipStream_tbDpT10_ENKUlT_T0_E_clISt17integral_constantIbLb0EES1A_IbLb1EEEEDaS16_S17_EUlS16_E_NS1_11comp_targetILNS1_3genE0ELNS1_11target_archE4294967295ELNS1_3gpuE0ELNS1_3repE0EEENS1_30default_config_static_selectorELNS0_4arch9wavefront6targetE0EEEvT1_,comdat
	.protected	_ZN7rocprim17ROCPRIM_400000_NS6detail17trampoline_kernelINS0_14default_configENS1_25partition_config_selectorILNS1_17partition_subalgoE5EsNS0_10empty_typeEbEEZZNS1_14partition_implILS5_5ELb0ES3_mN6thrust23THRUST_200600_302600_NS6detail15normal_iteratorINSA_10device_ptrIsEEEEPS6_NSA_18transform_iteratorINSB_9not_fun_tINSA_8identityIsEEEESF_NSA_11use_defaultESM_EENS0_5tupleIJSF_S6_EEENSO_IJSG_SG_EEES6_PlJS6_EEE10hipError_tPvRmT3_T4_T5_T6_T7_T9_mT8_P12ihipStream_tbDpT10_ENKUlT_T0_E_clISt17integral_constantIbLb0EES1A_IbLb1EEEEDaS16_S17_EUlS16_E_NS1_11comp_targetILNS1_3genE0ELNS1_11target_archE4294967295ELNS1_3gpuE0ELNS1_3repE0EEENS1_30default_config_static_selectorELNS0_4arch9wavefront6targetE0EEEvT1_ ; -- Begin function _ZN7rocprim17ROCPRIM_400000_NS6detail17trampoline_kernelINS0_14default_configENS1_25partition_config_selectorILNS1_17partition_subalgoE5EsNS0_10empty_typeEbEEZZNS1_14partition_implILS5_5ELb0ES3_mN6thrust23THRUST_200600_302600_NS6detail15normal_iteratorINSA_10device_ptrIsEEEEPS6_NSA_18transform_iteratorINSB_9not_fun_tINSA_8identityIsEEEESF_NSA_11use_defaultESM_EENS0_5tupleIJSF_S6_EEENSO_IJSG_SG_EEES6_PlJS6_EEE10hipError_tPvRmT3_T4_T5_T6_T7_T9_mT8_P12ihipStream_tbDpT10_ENKUlT_T0_E_clISt17integral_constantIbLb0EES1A_IbLb1EEEEDaS16_S17_EUlS16_E_NS1_11comp_targetILNS1_3genE0ELNS1_11target_archE4294967295ELNS1_3gpuE0ELNS1_3repE0EEENS1_30default_config_static_selectorELNS0_4arch9wavefront6targetE0EEEvT1_
	.globl	_ZN7rocprim17ROCPRIM_400000_NS6detail17trampoline_kernelINS0_14default_configENS1_25partition_config_selectorILNS1_17partition_subalgoE5EsNS0_10empty_typeEbEEZZNS1_14partition_implILS5_5ELb0ES3_mN6thrust23THRUST_200600_302600_NS6detail15normal_iteratorINSA_10device_ptrIsEEEEPS6_NSA_18transform_iteratorINSB_9not_fun_tINSA_8identityIsEEEESF_NSA_11use_defaultESM_EENS0_5tupleIJSF_S6_EEENSO_IJSG_SG_EEES6_PlJS6_EEE10hipError_tPvRmT3_T4_T5_T6_T7_T9_mT8_P12ihipStream_tbDpT10_ENKUlT_T0_E_clISt17integral_constantIbLb0EES1A_IbLb1EEEEDaS16_S17_EUlS16_E_NS1_11comp_targetILNS1_3genE0ELNS1_11target_archE4294967295ELNS1_3gpuE0ELNS1_3repE0EEENS1_30default_config_static_selectorELNS0_4arch9wavefront6targetE0EEEvT1_
	.p2align	8
	.type	_ZN7rocprim17ROCPRIM_400000_NS6detail17trampoline_kernelINS0_14default_configENS1_25partition_config_selectorILNS1_17partition_subalgoE5EsNS0_10empty_typeEbEEZZNS1_14partition_implILS5_5ELb0ES3_mN6thrust23THRUST_200600_302600_NS6detail15normal_iteratorINSA_10device_ptrIsEEEEPS6_NSA_18transform_iteratorINSB_9not_fun_tINSA_8identityIsEEEESF_NSA_11use_defaultESM_EENS0_5tupleIJSF_S6_EEENSO_IJSG_SG_EEES6_PlJS6_EEE10hipError_tPvRmT3_T4_T5_T6_T7_T9_mT8_P12ihipStream_tbDpT10_ENKUlT_T0_E_clISt17integral_constantIbLb0EES1A_IbLb1EEEEDaS16_S17_EUlS16_E_NS1_11comp_targetILNS1_3genE0ELNS1_11target_archE4294967295ELNS1_3gpuE0ELNS1_3repE0EEENS1_30default_config_static_selectorELNS0_4arch9wavefront6targetE0EEEvT1_,@function
_ZN7rocprim17ROCPRIM_400000_NS6detail17trampoline_kernelINS0_14default_configENS1_25partition_config_selectorILNS1_17partition_subalgoE5EsNS0_10empty_typeEbEEZZNS1_14partition_implILS5_5ELb0ES3_mN6thrust23THRUST_200600_302600_NS6detail15normal_iteratorINSA_10device_ptrIsEEEEPS6_NSA_18transform_iteratorINSB_9not_fun_tINSA_8identityIsEEEESF_NSA_11use_defaultESM_EENS0_5tupleIJSF_S6_EEENSO_IJSG_SG_EEES6_PlJS6_EEE10hipError_tPvRmT3_T4_T5_T6_T7_T9_mT8_P12ihipStream_tbDpT10_ENKUlT_T0_E_clISt17integral_constantIbLb0EES1A_IbLb1EEEEDaS16_S17_EUlS16_E_NS1_11comp_targetILNS1_3genE0ELNS1_11target_archE4294967295ELNS1_3gpuE0ELNS1_3repE0EEENS1_30default_config_static_selectorELNS0_4arch9wavefront6targetE0EEEvT1_: ; @_ZN7rocprim17ROCPRIM_400000_NS6detail17trampoline_kernelINS0_14default_configENS1_25partition_config_selectorILNS1_17partition_subalgoE5EsNS0_10empty_typeEbEEZZNS1_14partition_implILS5_5ELb0ES3_mN6thrust23THRUST_200600_302600_NS6detail15normal_iteratorINSA_10device_ptrIsEEEEPS6_NSA_18transform_iteratorINSB_9not_fun_tINSA_8identityIsEEEESF_NSA_11use_defaultESM_EENS0_5tupleIJSF_S6_EEENSO_IJSG_SG_EEES6_PlJS6_EEE10hipError_tPvRmT3_T4_T5_T6_T7_T9_mT8_P12ihipStream_tbDpT10_ENKUlT_T0_E_clISt17integral_constantIbLb0EES1A_IbLb1EEEEDaS16_S17_EUlS16_E_NS1_11comp_targetILNS1_3genE0ELNS1_11target_archE4294967295ELNS1_3gpuE0ELNS1_3repE0EEENS1_30default_config_static_selectorELNS0_4arch9wavefront6targetE0EEEvT1_
; %bb.0:
	.section	.rodata,"a",@progbits
	.p2align	6, 0x0
	.amdhsa_kernel _ZN7rocprim17ROCPRIM_400000_NS6detail17trampoline_kernelINS0_14default_configENS1_25partition_config_selectorILNS1_17partition_subalgoE5EsNS0_10empty_typeEbEEZZNS1_14partition_implILS5_5ELb0ES3_mN6thrust23THRUST_200600_302600_NS6detail15normal_iteratorINSA_10device_ptrIsEEEEPS6_NSA_18transform_iteratorINSB_9not_fun_tINSA_8identityIsEEEESF_NSA_11use_defaultESM_EENS0_5tupleIJSF_S6_EEENSO_IJSG_SG_EEES6_PlJS6_EEE10hipError_tPvRmT3_T4_T5_T6_T7_T9_mT8_P12ihipStream_tbDpT10_ENKUlT_T0_E_clISt17integral_constantIbLb0EES1A_IbLb1EEEEDaS16_S17_EUlS16_E_NS1_11comp_targetILNS1_3genE0ELNS1_11target_archE4294967295ELNS1_3gpuE0ELNS1_3repE0EEENS1_30default_config_static_selectorELNS0_4arch9wavefront6targetE0EEEvT1_
		.amdhsa_group_segment_fixed_size 0
		.amdhsa_private_segment_fixed_size 0
		.amdhsa_kernarg_size 136
		.amdhsa_user_sgpr_count 2
		.amdhsa_user_sgpr_dispatch_ptr 0
		.amdhsa_user_sgpr_queue_ptr 0
		.amdhsa_user_sgpr_kernarg_segment_ptr 1
		.amdhsa_user_sgpr_dispatch_id 0
		.amdhsa_user_sgpr_private_segment_size 0
		.amdhsa_wavefront_size32 1
		.amdhsa_uses_dynamic_stack 0
		.amdhsa_enable_private_segment 0
		.amdhsa_system_sgpr_workgroup_id_x 1
		.amdhsa_system_sgpr_workgroup_id_y 0
		.amdhsa_system_sgpr_workgroup_id_z 0
		.amdhsa_system_sgpr_workgroup_info 0
		.amdhsa_system_vgpr_workitem_id 0
		.amdhsa_next_free_vgpr 1
		.amdhsa_next_free_sgpr 1
		.amdhsa_reserve_vcc 0
		.amdhsa_float_round_mode_32 0
		.amdhsa_float_round_mode_16_64 0
		.amdhsa_float_denorm_mode_32 3
		.amdhsa_float_denorm_mode_16_64 3
		.amdhsa_fp16_overflow 0
		.amdhsa_workgroup_processor_mode 1
		.amdhsa_memory_ordered 1
		.amdhsa_forward_progress 1
		.amdhsa_inst_pref_size 0
		.amdhsa_round_robin_scheduling 0
		.amdhsa_exception_fp_ieee_invalid_op 0
		.amdhsa_exception_fp_denorm_src 0
		.amdhsa_exception_fp_ieee_div_zero 0
		.amdhsa_exception_fp_ieee_overflow 0
		.amdhsa_exception_fp_ieee_underflow 0
		.amdhsa_exception_fp_ieee_inexact 0
		.amdhsa_exception_int_div_zero 0
	.end_amdhsa_kernel
	.section	.text._ZN7rocprim17ROCPRIM_400000_NS6detail17trampoline_kernelINS0_14default_configENS1_25partition_config_selectorILNS1_17partition_subalgoE5EsNS0_10empty_typeEbEEZZNS1_14partition_implILS5_5ELb0ES3_mN6thrust23THRUST_200600_302600_NS6detail15normal_iteratorINSA_10device_ptrIsEEEEPS6_NSA_18transform_iteratorINSB_9not_fun_tINSA_8identityIsEEEESF_NSA_11use_defaultESM_EENS0_5tupleIJSF_S6_EEENSO_IJSG_SG_EEES6_PlJS6_EEE10hipError_tPvRmT3_T4_T5_T6_T7_T9_mT8_P12ihipStream_tbDpT10_ENKUlT_T0_E_clISt17integral_constantIbLb0EES1A_IbLb1EEEEDaS16_S17_EUlS16_E_NS1_11comp_targetILNS1_3genE0ELNS1_11target_archE4294967295ELNS1_3gpuE0ELNS1_3repE0EEENS1_30default_config_static_selectorELNS0_4arch9wavefront6targetE0EEEvT1_,"axG",@progbits,_ZN7rocprim17ROCPRIM_400000_NS6detail17trampoline_kernelINS0_14default_configENS1_25partition_config_selectorILNS1_17partition_subalgoE5EsNS0_10empty_typeEbEEZZNS1_14partition_implILS5_5ELb0ES3_mN6thrust23THRUST_200600_302600_NS6detail15normal_iteratorINSA_10device_ptrIsEEEEPS6_NSA_18transform_iteratorINSB_9not_fun_tINSA_8identityIsEEEESF_NSA_11use_defaultESM_EENS0_5tupleIJSF_S6_EEENSO_IJSG_SG_EEES6_PlJS6_EEE10hipError_tPvRmT3_T4_T5_T6_T7_T9_mT8_P12ihipStream_tbDpT10_ENKUlT_T0_E_clISt17integral_constantIbLb0EES1A_IbLb1EEEEDaS16_S17_EUlS16_E_NS1_11comp_targetILNS1_3genE0ELNS1_11target_archE4294967295ELNS1_3gpuE0ELNS1_3repE0EEENS1_30default_config_static_selectorELNS0_4arch9wavefront6targetE0EEEvT1_,comdat
.Lfunc_end1037:
	.size	_ZN7rocprim17ROCPRIM_400000_NS6detail17trampoline_kernelINS0_14default_configENS1_25partition_config_selectorILNS1_17partition_subalgoE5EsNS0_10empty_typeEbEEZZNS1_14partition_implILS5_5ELb0ES3_mN6thrust23THRUST_200600_302600_NS6detail15normal_iteratorINSA_10device_ptrIsEEEEPS6_NSA_18transform_iteratorINSB_9not_fun_tINSA_8identityIsEEEESF_NSA_11use_defaultESM_EENS0_5tupleIJSF_S6_EEENSO_IJSG_SG_EEES6_PlJS6_EEE10hipError_tPvRmT3_T4_T5_T6_T7_T9_mT8_P12ihipStream_tbDpT10_ENKUlT_T0_E_clISt17integral_constantIbLb0EES1A_IbLb1EEEEDaS16_S17_EUlS16_E_NS1_11comp_targetILNS1_3genE0ELNS1_11target_archE4294967295ELNS1_3gpuE0ELNS1_3repE0EEENS1_30default_config_static_selectorELNS0_4arch9wavefront6targetE0EEEvT1_, .Lfunc_end1037-_ZN7rocprim17ROCPRIM_400000_NS6detail17trampoline_kernelINS0_14default_configENS1_25partition_config_selectorILNS1_17partition_subalgoE5EsNS0_10empty_typeEbEEZZNS1_14partition_implILS5_5ELb0ES3_mN6thrust23THRUST_200600_302600_NS6detail15normal_iteratorINSA_10device_ptrIsEEEEPS6_NSA_18transform_iteratorINSB_9not_fun_tINSA_8identityIsEEEESF_NSA_11use_defaultESM_EENS0_5tupleIJSF_S6_EEENSO_IJSG_SG_EEES6_PlJS6_EEE10hipError_tPvRmT3_T4_T5_T6_T7_T9_mT8_P12ihipStream_tbDpT10_ENKUlT_T0_E_clISt17integral_constantIbLb0EES1A_IbLb1EEEEDaS16_S17_EUlS16_E_NS1_11comp_targetILNS1_3genE0ELNS1_11target_archE4294967295ELNS1_3gpuE0ELNS1_3repE0EEENS1_30default_config_static_selectorELNS0_4arch9wavefront6targetE0EEEvT1_
                                        ; -- End function
	.set _ZN7rocprim17ROCPRIM_400000_NS6detail17trampoline_kernelINS0_14default_configENS1_25partition_config_selectorILNS1_17partition_subalgoE5EsNS0_10empty_typeEbEEZZNS1_14partition_implILS5_5ELb0ES3_mN6thrust23THRUST_200600_302600_NS6detail15normal_iteratorINSA_10device_ptrIsEEEEPS6_NSA_18transform_iteratorINSB_9not_fun_tINSA_8identityIsEEEESF_NSA_11use_defaultESM_EENS0_5tupleIJSF_S6_EEENSO_IJSG_SG_EEES6_PlJS6_EEE10hipError_tPvRmT3_T4_T5_T6_T7_T9_mT8_P12ihipStream_tbDpT10_ENKUlT_T0_E_clISt17integral_constantIbLb0EES1A_IbLb1EEEEDaS16_S17_EUlS16_E_NS1_11comp_targetILNS1_3genE0ELNS1_11target_archE4294967295ELNS1_3gpuE0ELNS1_3repE0EEENS1_30default_config_static_selectorELNS0_4arch9wavefront6targetE0EEEvT1_.num_vgpr, 0
	.set _ZN7rocprim17ROCPRIM_400000_NS6detail17trampoline_kernelINS0_14default_configENS1_25partition_config_selectorILNS1_17partition_subalgoE5EsNS0_10empty_typeEbEEZZNS1_14partition_implILS5_5ELb0ES3_mN6thrust23THRUST_200600_302600_NS6detail15normal_iteratorINSA_10device_ptrIsEEEEPS6_NSA_18transform_iteratorINSB_9not_fun_tINSA_8identityIsEEEESF_NSA_11use_defaultESM_EENS0_5tupleIJSF_S6_EEENSO_IJSG_SG_EEES6_PlJS6_EEE10hipError_tPvRmT3_T4_T5_T6_T7_T9_mT8_P12ihipStream_tbDpT10_ENKUlT_T0_E_clISt17integral_constantIbLb0EES1A_IbLb1EEEEDaS16_S17_EUlS16_E_NS1_11comp_targetILNS1_3genE0ELNS1_11target_archE4294967295ELNS1_3gpuE0ELNS1_3repE0EEENS1_30default_config_static_selectorELNS0_4arch9wavefront6targetE0EEEvT1_.num_agpr, 0
	.set _ZN7rocprim17ROCPRIM_400000_NS6detail17trampoline_kernelINS0_14default_configENS1_25partition_config_selectorILNS1_17partition_subalgoE5EsNS0_10empty_typeEbEEZZNS1_14partition_implILS5_5ELb0ES3_mN6thrust23THRUST_200600_302600_NS6detail15normal_iteratorINSA_10device_ptrIsEEEEPS6_NSA_18transform_iteratorINSB_9not_fun_tINSA_8identityIsEEEESF_NSA_11use_defaultESM_EENS0_5tupleIJSF_S6_EEENSO_IJSG_SG_EEES6_PlJS6_EEE10hipError_tPvRmT3_T4_T5_T6_T7_T9_mT8_P12ihipStream_tbDpT10_ENKUlT_T0_E_clISt17integral_constantIbLb0EES1A_IbLb1EEEEDaS16_S17_EUlS16_E_NS1_11comp_targetILNS1_3genE0ELNS1_11target_archE4294967295ELNS1_3gpuE0ELNS1_3repE0EEENS1_30default_config_static_selectorELNS0_4arch9wavefront6targetE0EEEvT1_.numbered_sgpr, 0
	.set _ZN7rocprim17ROCPRIM_400000_NS6detail17trampoline_kernelINS0_14default_configENS1_25partition_config_selectorILNS1_17partition_subalgoE5EsNS0_10empty_typeEbEEZZNS1_14partition_implILS5_5ELb0ES3_mN6thrust23THRUST_200600_302600_NS6detail15normal_iteratorINSA_10device_ptrIsEEEEPS6_NSA_18transform_iteratorINSB_9not_fun_tINSA_8identityIsEEEESF_NSA_11use_defaultESM_EENS0_5tupleIJSF_S6_EEENSO_IJSG_SG_EEES6_PlJS6_EEE10hipError_tPvRmT3_T4_T5_T6_T7_T9_mT8_P12ihipStream_tbDpT10_ENKUlT_T0_E_clISt17integral_constantIbLb0EES1A_IbLb1EEEEDaS16_S17_EUlS16_E_NS1_11comp_targetILNS1_3genE0ELNS1_11target_archE4294967295ELNS1_3gpuE0ELNS1_3repE0EEENS1_30default_config_static_selectorELNS0_4arch9wavefront6targetE0EEEvT1_.num_named_barrier, 0
	.set _ZN7rocprim17ROCPRIM_400000_NS6detail17trampoline_kernelINS0_14default_configENS1_25partition_config_selectorILNS1_17partition_subalgoE5EsNS0_10empty_typeEbEEZZNS1_14partition_implILS5_5ELb0ES3_mN6thrust23THRUST_200600_302600_NS6detail15normal_iteratorINSA_10device_ptrIsEEEEPS6_NSA_18transform_iteratorINSB_9not_fun_tINSA_8identityIsEEEESF_NSA_11use_defaultESM_EENS0_5tupleIJSF_S6_EEENSO_IJSG_SG_EEES6_PlJS6_EEE10hipError_tPvRmT3_T4_T5_T6_T7_T9_mT8_P12ihipStream_tbDpT10_ENKUlT_T0_E_clISt17integral_constantIbLb0EES1A_IbLb1EEEEDaS16_S17_EUlS16_E_NS1_11comp_targetILNS1_3genE0ELNS1_11target_archE4294967295ELNS1_3gpuE0ELNS1_3repE0EEENS1_30default_config_static_selectorELNS0_4arch9wavefront6targetE0EEEvT1_.private_seg_size, 0
	.set _ZN7rocprim17ROCPRIM_400000_NS6detail17trampoline_kernelINS0_14default_configENS1_25partition_config_selectorILNS1_17partition_subalgoE5EsNS0_10empty_typeEbEEZZNS1_14partition_implILS5_5ELb0ES3_mN6thrust23THRUST_200600_302600_NS6detail15normal_iteratorINSA_10device_ptrIsEEEEPS6_NSA_18transform_iteratorINSB_9not_fun_tINSA_8identityIsEEEESF_NSA_11use_defaultESM_EENS0_5tupleIJSF_S6_EEENSO_IJSG_SG_EEES6_PlJS6_EEE10hipError_tPvRmT3_T4_T5_T6_T7_T9_mT8_P12ihipStream_tbDpT10_ENKUlT_T0_E_clISt17integral_constantIbLb0EES1A_IbLb1EEEEDaS16_S17_EUlS16_E_NS1_11comp_targetILNS1_3genE0ELNS1_11target_archE4294967295ELNS1_3gpuE0ELNS1_3repE0EEENS1_30default_config_static_selectorELNS0_4arch9wavefront6targetE0EEEvT1_.uses_vcc, 0
	.set _ZN7rocprim17ROCPRIM_400000_NS6detail17trampoline_kernelINS0_14default_configENS1_25partition_config_selectorILNS1_17partition_subalgoE5EsNS0_10empty_typeEbEEZZNS1_14partition_implILS5_5ELb0ES3_mN6thrust23THRUST_200600_302600_NS6detail15normal_iteratorINSA_10device_ptrIsEEEEPS6_NSA_18transform_iteratorINSB_9not_fun_tINSA_8identityIsEEEESF_NSA_11use_defaultESM_EENS0_5tupleIJSF_S6_EEENSO_IJSG_SG_EEES6_PlJS6_EEE10hipError_tPvRmT3_T4_T5_T6_T7_T9_mT8_P12ihipStream_tbDpT10_ENKUlT_T0_E_clISt17integral_constantIbLb0EES1A_IbLb1EEEEDaS16_S17_EUlS16_E_NS1_11comp_targetILNS1_3genE0ELNS1_11target_archE4294967295ELNS1_3gpuE0ELNS1_3repE0EEENS1_30default_config_static_selectorELNS0_4arch9wavefront6targetE0EEEvT1_.uses_flat_scratch, 0
	.set _ZN7rocprim17ROCPRIM_400000_NS6detail17trampoline_kernelINS0_14default_configENS1_25partition_config_selectorILNS1_17partition_subalgoE5EsNS0_10empty_typeEbEEZZNS1_14partition_implILS5_5ELb0ES3_mN6thrust23THRUST_200600_302600_NS6detail15normal_iteratorINSA_10device_ptrIsEEEEPS6_NSA_18transform_iteratorINSB_9not_fun_tINSA_8identityIsEEEESF_NSA_11use_defaultESM_EENS0_5tupleIJSF_S6_EEENSO_IJSG_SG_EEES6_PlJS6_EEE10hipError_tPvRmT3_T4_T5_T6_T7_T9_mT8_P12ihipStream_tbDpT10_ENKUlT_T0_E_clISt17integral_constantIbLb0EES1A_IbLb1EEEEDaS16_S17_EUlS16_E_NS1_11comp_targetILNS1_3genE0ELNS1_11target_archE4294967295ELNS1_3gpuE0ELNS1_3repE0EEENS1_30default_config_static_selectorELNS0_4arch9wavefront6targetE0EEEvT1_.has_dyn_sized_stack, 0
	.set _ZN7rocprim17ROCPRIM_400000_NS6detail17trampoline_kernelINS0_14default_configENS1_25partition_config_selectorILNS1_17partition_subalgoE5EsNS0_10empty_typeEbEEZZNS1_14partition_implILS5_5ELb0ES3_mN6thrust23THRUST_200600_302600_NS6detail15normal_iteratorINSA_10device_ptrIsEEEEPS6_NSA_18transform_iteratorINSB_9not_fun_tINSA_8identityIsEEEESF_NSA_11use_defaultESM_EENS0_5tupleIJSF_S6_EEENSO_IJSG_SG_EEES6_PlJS6_EEE10hipError_tPvRmT3_T4_T5_T6_T7_T9_mT8_P12ihipStream_tbDpT10_ENKUlT_T0_E_clISt17integral_constantIbLb0EES1A_IbLb1EEEEDaS16_S17_EUlS16_E_NS1_11comp_targetILNS1_3genE0ELNS1_11target_archE4294967295ELNS1_3gpuE0ELNS1_3repE0EEENS1_30default_config_static_selectorELNS0_4arch9wavefront6targetE0EEEvT1_.has_recursion, 0
	.set _ZN7rocprim17ROCPRIM_400000_NS6detail17trampoline_kernelINS0_14default_configENS1_25partition_config_selectorILNS1_17partition_subalgoE5EsNS0_10empty_typeEbEEZZNS1_14partition_implILS5_5ELb0ES3_mN6thrust23THRUST_200600_302600_NS6detail15normal_iteratorINSA_10device_ptrIsEEEEPS6_NSA_18transform_iteratorINSB_9not_fun_tINSA_8identityIsEEEESF_NSA_11use_defaultESM_EENS0_5tupleIJSF_S6_EEENSO_IJSG_SG_EEES6_PlJS6_EEE10hipError_tPvRmT3_T4_T5_T6_T7_T9_mT8_P12ihipStream_tbDpT10_ENKUlT_T0_E_clISt17integral_constantIbLb0EES1A_IbLb1EEEEDaS16_S17_EUlS16_E_NS1_11comp_targetILNS1_3genE0ELNS1_11target_archE4294967295ELNS1_3gpuE0ELNS1_3repE0EEENS1_30default_config_static_selectorELNS0_4arch9wavefront6targetE0EEEvT1_.has_indirect_call, 0
	.section	.AMDGPU.csdata,"",@progbits
; Kernel info:
; codeLenInByte = 0
; TotalNumSgprs: 0
; NumVgprs: 0
; ScratchSize: 0
; MemoryBound: 0
; FloatMode: 240
; IeeeMode: 1
; LDSByteSize: 0 bytes/workgroup (compile time only)
; SGPRBlocks: 0
; VGPRBlocks: 0
; NumSGPRsForWavesPerEU: 1
; NumVGPRsForWavesPerEU: 1
; Occupancy: 16
; WaveLimiterHint : 0
; COMPUTE_PGM_RSRC2:SCRATCH_EN: 0
; COMPUTE_PGM_RSRC2:USER_SGPR: 2
; COMPUTE_PGM_RSRC2:TRAP_HANDLER: 0
; COMPUTE_PGM_RSRC2:TGID_X_EN: 1
; COMPUTE_PGM_RSRC2:TGID_Y_EN: 0
; COMPUTE_PGM_RSRC2:TGID_Z_EN: 0
; COMPUTE_PGM_RSRC2:TIDIG_COMP_CNT: 0
	.section	.text._ZN7rocprim17ROCPRIM_400000_NS6detail17trampoline_kernelINS0_14default_configENS1_25partition_config_selectorILNS1_17partition_subalgoE5EsNS0_10empty_typeEbEEZZNS1_14partition_implILS5_5ELb0ES3_mN6thrust23THRUST_200600_302600_NS6detail15normal_iteratorINSA_10device_ptrIsEEEEPS6_NSA_18transform_iteratorINSB_9not_fun_tINSA_8identityIsEEEESF_NSA_11use_defaultESM_EENS0_5tupleIJSF_S6_EEENSO_IJSG_SG_EEES6_PlJS6_EEE10hipError_tPvRmT3_T4_T5_T6_T7_T9_mT8_P12ihipStream_tbDpT10_ENKUlT_T0_E_clISt17integral_constantIbLb0EES1A_IbLb1EEEEDaS16_S17_EUlS16_E_NS1_11comp_targetILNS1_3genE5ELNS1_11target_archE942ELNS1_3gpuE9ELNS1_3repE0EEENS1_30default_config_static_selectorELNS0_4arch9wavefront6targetE0EEEvT1_,"axG",@progbits,_ZN7rocprim17ROCPRIM_400000_NS6detail17trampoline_kernelINS0_14default_configENS1_25partition_config_selectorILNS1_17partition_subalgoE5EsNS0_10empty_typeEbEEZZNS1_14partition_implILS5_5ELb0ES3_mN6thrust23THRUST_200600_302600_NS6detail15normal_iteratorINSA_10device_ptrIsEEEEPS6_NSA_18transform_iteratorINSB_9not_fun_tINSA_8identityIsEEEESF_NSA_11use_defaultESM_EENS0_5tupleIJSF_S6_EEENSO_IJSG_SG_EEES6_PlJS6_EEE10hipError_tPvRmT3_T4_T5_T6_T7_T9_mT8_P12ihipStream_tbDpT10_ENKUlT_T0_E_clISt17integral_constantIbLb0EES1A_IbLb1EEEEDaS16_S17_EUlS16_E_NS1_11comp_targetILNS1_3genE5ELNS1_11target_archE942ELNS1_3gpuE9ELNS1_3repE0EEENS1_30default_config_static_selectorELNS0_4arch9wavefront6targetE0EEEvT1_,comdat
	.protected	_ZN7rocprim17ROCPRIM_400000_NS6detail17trampoline_kernelINS0_14default_configENS1_25partition_config_selectorILNS1_17partition_subalgoE5EsNS0_10empty_typeEbEEZZNS1_14partition_implILS5_5ELb0ES3_mN6thrust23THRUST_200600_302600_NS6detail15normal_iteratorINSA_10device_ptrIsEEEEPS6_NSA_18transform_iteratorINSB_9not_fun_tINSA_8identityIsEEEESF_NSA_11use_defaultESM_EENS0_5tupleIJSF_S6_EEENSO_IJSG_SG_EEES6_PlJS6_EEE10hipError_tPvRmT3_T4_T5_T6_T7_T9_mT8_P12ihipStream_tbDpT10_ENKUlT_T0_E_clISt17integral_constantIbLb0EES1A_IbLb1EEEEDaS16_S17_EUlS16_E_NS1_11comp_targetILNS1_3genE5ELNS1_11target_archE942ELNS1_3gpuE9ELNS1_3repE0EEENS1_30default_config_static_selectorELNS0_4arch9wavefront6targetE0EEEvT1_ ; -- Begin function _ZN7rocprim17ROCPRIM_400000_NS6detail17trampoline_kernelINS0_14default_configENS1_25partition_config_selectorILNS1_17partition_subalgoE5EsNS0_10empty_typeEbEEZZNS1_14partition_implILS5_5ELb0ES3_mN6thrust23THRUST_200600_302600_NS6detail15normal_iteratorINSA_10device_ptrIsEEEEPS6_NSA_18transform_iteratorINSB_9not_fun_tINSA_8identityIsEEEESF_NSA_11use_defaultESM_EENS0_5tupleIJSF_S6_EEENSO_IJSG_SG_EEES6_PlJS6_EEE10hipError_tPvRmT3_T4_T5_T6_T7_T9_mT8_P12ihipStream_tbDpT10_ENKUlT_T0_E_clISt17integral_constantIbLb0EES1A_IbLb1EEEEDaS16_S17_EUlS16_E_NS1_11comp_targetILNS1_3genE5ELNS1_11target_archE942ELNS1_3gpuE9ELNS1_3repE0EEENS1_30default_config_static_selectorELNS0_4arch9wavefront6targetE0EEEvT1_
	.globl	_ZN7rocprim17ROCPRIM_400000_NS6detail17trampoline_kernelINS0_14default_configENS1_25partition_config_selectorILNS1_17partition_subalgoE5EsNS0_10empty_typeEbEEZZNS1_14partition_implILS5_5ELb0ES3_mN6thrust23THRUST_200600_302600_NS6detail15normal_iteratorINSA_10device_ptrIsEEEEPS6_NSA_18transform_iteratorINSB_9not_fun_tINSA_8identityIsEEEESF_NSA_11use_defaultESM_EENS0_5tupleIJSF_S6_EEENSO_IJSG_SG_EEES6_PlJS6_EEE10hipError_tPvRmT3_T4_T5_T6_T7_T9_mT8_P12ihipStream_tbDpT10_ENKUlT_T0_E_clISt17integral_constantIbLb0EES1A_IbLb1EEEEDaS16_S17_EUlS16_E_NS1_11comp_targetILNS1_3genE5ELNS1_11target_archE942ELNS1_3gpuE9ELNS1_3repE0EEENS1_30default_config_static_selectorELNS0_4arch9wavefront6targetE0EEEvT1_
	.p2align	8
	.type	_ZN7rocprim17ROCPRIM_400000_NS6detail17trampoline_kernelINS0_14default_configENS1_25partition_config_selectorILNS1_17partition_subalgoE5EsNS0_10empty_typeEbEEZZNS1_14partition_implILS5_5ELb0ES3_mN6thrust23THRUST_200600_302600_NS6detail15normal_iteratorINSA_10device_ptrIsEEEEPS6_NSA_18transform_iteratorINSB_9not_fun_tINSA_8identityIsEEEESF_NSA_11use_defaultESM_EENS0_5tupleIJSF_S6_EEENSO_IJSG_SG_EEES6_PlJS6_EEE10hipError_tPvRmT3_T4_T5_T6_T7_T9_mT8_P12ihipStream_tbDpT10_ENKUlT_T0_E_clISt17integral_constantIbLb0EES1A_IbLb1EEEEDaS16_S17_EUlS16_E_NS1_11comp_targetILNS1_3genE5ELNS1_11target_archE942ELNS1_3gpuE9ELNS1_3repE0EEENS1_30default_config_static_selectorELNS0_4arch9wavefront6targetE0EEEvT1_,@function
_ZN7rocprim17ROCPRIM_400000_NS6detail17trampoline_kernelINS0_14default_configENS1_25partition_config_selectorILNS1_17partition_subalgoE5EsNS0_10empty_typeEbEEZZNS1_14partition_implILS5_5ELb0ES3_mN6thrust23THRUST_200600_302600_NS6detail15normal_iteratorINSA_10device_ptrIsEEEEPS6_NSA_18transform_iteratorINSB_9not_fun_tINSA_8identityIsEEEESF_NSA_11use_defaultESM_EENS0_5tupleIJSF_S6_EEENSO_IJSG_SG_EEES6_PlJS6_EEE10hipError_tPvRmT3_T4_T5_T6_T7_T9_mT8_P12ihipStream_tbDpT10_ENKUlT_T0_E_clISt17integral_constantIbLb0EES1A_IbLb1EEEEDaS16_S17_EUlS16_E_NS1_11comp_targetILNS1_3genE5ELNS1_11target_archE942ELNS1_3gpuE9ELNS1_3repE0EEENS1_30default_config_static_selectorELNS0_4arch9wavefront6targetE0EEEvT1_: ; @_ZN7rocprim17ROCPRIM_400000_NS6detail17trampoline_kernelINS0_14default_configENS1_25partition_config_selectorILNS1_17partition_subalgoE5EsNS0_10empty_typeEbEEZZNS1_14partition_implILS5_5ELb0ES3_mN6thrust23THRUST_200600_302600_NS6detail15normal_iteratorINSA_10device_ptrIsEEEEPS6_NSA_18transform_iteratorINSB_9not_fun_tINSA_8identityIsEEEESF_NSA_11use_defaultESM_EENS0_5tupleIJSF_S6_EEENSO_IJSG_SG_EEES6_PlJS6_EEE10hipError_tPvRmT3_T4_T5_T6_T7_T9_mT8_P12ihipStream_tbDpT10_ENKUlT_T0_E_clISt17integral_constantIbLb0EES1A_IbLb1EEEEDaS16_S17_EUlS16_E_NS1_11comp_targetILNS1_3genE5ELNS1_11target_archE942ELNS1_3gpuE9ELNS1_3repE0EEENS1_30default_config_static_selectorELNS0_4arch9wavefront6targetE0EEEvT1_
; %bb.0:
	.section	.rodata,"a",@progbits
	.p2align	6, 0x0
	.amdhsa_kernel _ZN7rocprim17ROCPRIM_400000_NS6detail17trampoline_kernelINS0_14default_configENS1_25partition_config_selectorILNS1_17partition_subalgoE5EsNS0_10empty_typeEbEEZZNS1_14partition_implILS5_5ELb0ES3_mN6thrust23THRUST_200600_302600_NS6detail15normal_iteratorINSA_10device_ptrIsEEEEPS6_NSA_18transform_iteratorINSB_9not_fun_tINSA_8identityIsEEEESF_NSA_11use_defaultESM_EENS0_5tupleIJSF_S6_EEENSO_IJSG_SG_EEES6_PlJS6_EEE10hipError_tPvRmT3_T4_T5_T6_T7_T9_mT8_P12ihipStream_tbDpT10_ENKUlT_T0_E_clISt17integral_constantIbLb0EES1A_IbLb1EEEEDaS16_S17_EUlS16_E_NS1_11comp_targetILNS1_3genE5ELNS1_11target_archE942ELNS1_3gpuE9ELNS1_3repE0EEENS1_30default_config_static_selectorELNS0_4arch9wavefront6targetE0EEEvT1_
		.amdhsa_group_segment_fixed_size 0
		.amdhsa_private_segment_fixed_size 0
		.amdhsa_kernarg_size 136
		.amdhsa_user_sgpr_count 2
		.amdhsa_user_sgpr_dispatch_ptr 0
		.amdhsa_user_sgpr_queue_ptr 0
		.amdhsa_user_sgpr_kernarg_segment_ptr 1
		.amdhsa_user_sgpr_dispatch_id 0
		.amdhsa_user_sgpr_private_segment_size 0
		.amdhsa_wavefront_size32 1
		.amdhsa_uses_dynamic_stack 0
		.amdhsa_enable_private_segment 0
		.amdhsa_system_sgpr_workgroup_id_x 1
		.amdhsa_system_sgpr_workgroup_id_y 0
		.amdhsa_system_sgpr_workgroup_id_z 0
		.amdhsa_system_sgpr_workgroup_info 0
		.amdhsa_system_vgpr_workitem_id 0
		.amdhsa_next_free_vgpr 1
		.amdhsa_next_free_sgpr 1
		.amdhsa_reserve_vcc 0
		.amdhsa_float_round_mode_32 0
		.amdhsa_float_round_mode_16_64 0
		.amdhsa_float_denorm_mode_32 3
		.amdhsa_float_denorm_mode_16_64 3
		.amdhsa_fp16_overflow 0
		.amdhsa_workgroup_processor_mode 1
		.amdhsa_memory_ordered 1
		.amdhsa_forward_progress 1
		.amdhsa_inst_pref_size 0
		.amdhsa_round_robin_scheduling 0
		.amdhsa_exception_fp_ieee_invalid_op 0
		.amdhsa_exception_fp_denorm_src 0
		.amdhsa_exception_fp_ieee_div_zero 0
		.amdhsa_exception_fp_ieee_overflow 0
		.amdhsa_exception_fp_ieee_underflow 0
		.amdhsa_exception_fp_ieee_inexact 0
		.amdhsa_exception_int_div_zero 0
	.end_amdhsa_kernel
	.section	.text._ZN7rocprim17ROCPRIM_400000_NS6detail17trampoline_kernelINS0_14default_configENS1_25partition_config_selectorILNS1_17partition_subalgoE5EsNS0_10empty_typeEbEEZZNS1_14partition_implILS5_5ELb0ES3_mN6thrust23THRUST_200600_302600_NS6detail15normal_iteratorINSA_10device_ptrIsEEEEPS6_NSA_18transform_iteratorINSB_9not_fun_tINSA_8identityIsEEEESF_NSA_11use_defaultESM_EENS0_5tupleIJSF_S6_EEENSO_IJSG_SG_EEES6_PlJS6_EEE10hipError_tPvRmT3_T4_T5_T6_T7_T9_mT8_P12ihipStream_tbDpT10_ENKUlT_T0_E_clISt17integral_constantIbLb0EES1A_IbLb1EEEEDaS16_S17_EUlS16_E_NS1_11comp_targetILNS1_3genE5ELNS1_11target_archE942ELNS1_3gpuE9ELNS1_3repE0EEENS1_30default_config_static_selectorELNS0_4arch9wavefront6targetE0EEEvT1_,"axG",@progbits,_ZN7rocprim17ROCPRIM_400000_NS6detail17trampoline_kernelINS0_14default_configENS1_25partition_config_selectorILNS1_17partition_subalgoE5EsNS0_10empty_typeEbEEZZNS1_14partition_implILS5_5ELb0ES3_mN6thrust23THRUST_200600_302600_NS6detail15normal_iteratorINSA_10device_ptrIsEEEEPS6_NSA_18transform_iteratorINSB_9not_fun_tINSA_8identityIsEEEESF_NSA_11use_defaultESM_EENS0_5tupleIJSF_S6_EEENSO_IJSG_SG_EEES6_PlJS6_EEE10hipError_tPvRmT3_T4_T5_T6_T7_T9_mT8_P12ihipStream_tbDpT10_ENKUlT_T0_E_clISt17integral_constantIbLb0EES1A_IbLb1EEEEDaS16_S17_EUlS16_E_NS1_11comp_targetILNS1_3genE5ELNS1_11target_archE942ELNS1_3gpuE9ELNS1_3repE0EEENS1_30default_config_static_selectorELNS0_4arch9wavefront6targetE0EEEvT1_,comdat
.Lfunc_end1038:
	.size	_ZN7rocprim17ROCPRIM_400000_NS6detail17trampoline_kernelINS0_14default_configENS1_25partition_config_selectorILNS1_17partition_subalgoE5EsNS0_10empty_typeEbEEZZNS1_14partition_implILS5_5ELb0ES3_mN6thrust23THRUST_200600_302600_NS6detail15normal_iteratorINSA_10device_ptrIsEEEEPS6_NSA_18transform_iteratorINSB_9not_fun_tINSA_8identityIsEEEESF_NSA_11use_defaultESM_EENS0_5tupleIJSF_S6_EEENSO_IJSG_SG_EEES6_PlJS6_EEE10hipError_tPvRmT3_T4_T5_T6_T7_T9_mT8_P12ihipStream_tbDpT10_ENKUlT_T0_E_clISt17integral_constantIbLb0EES1A_IbLb1EEEEDaS16_S17_EUlS16_E_NS1_11comp_targetILNS1_3genE5ELNS1_11target_archE942ELNS1_3gpuE9ELNS1_3repE0EEENS1_30default_config_static_selectorELNS0_4arch9wavefront6targetE0EEEvT1_, .Lfunc_end1038-_ZN7rocprim17ROCPRIM_400000_NS6detail17trampoline_kernelINS0_14default_configENS1_25partition_config_selectorILNS1_17partition_subalgoE5EsNS0_10empty_typeEbEEZZNS1_14partition_implILS5_5ELb0ES3_mN6thrust23THRUST_200600_302600_NS6detail15normal_iteratorINSA_10device_ptrIsEEEEPS6_NSA_18transform_iteratorINSB_9not_fun_tINSA_8identityIsEEEESF_NSA_11use_defaultESM_EENS0_5tupleIJSF_S6_EEENSO_IJSG_SG_EEES6_PlJS6_EEE10hipError_tPvRmT3_T4_T5_T6_T7_T9_mT8_P12ihipStream_tbDpT10_ENKUlT_T0_E_clISt17integral_constantIbLb0EES1A_IbLb1EEEEDaS16_S17_EUlS16_E_NS1_11comp_targetILNS1_3genE5ELNS1_11target_archE942ELNS1_3gpuE9ELNS1_3repE0EEENS1_30default_config_static_selectorELNS0_4arch9wavefront6targetE0EEEvT1_
                                        ; -- End function
	.set _ZN7rocprim17ROCPRIM_400000_NS6detail17trampoline_kernelINS0_14default_configENS1_25partition_config_selectorILNS1_17partition_subalgoE5EsNS0_10empty_typeEbEEZZNS1_14partition_implILS5_5ELb0ES3_mN6thrust23THRUST_200600_302600_NS6detail15normal_iteratorINSA_10device_ptrIsEEEEPS6_NSA_18transform_iteratorINSB_9not_fun_tINSA_8identityIsEEEESF_NSA_11use_defaultESM_EENS0_5tupleIJSF_S6_EEENSO_IJSG_SG_EEES6_PlJS6_EEE10hipError_tPvRmT3_T4_T5_T6_T7_T9_mT8_P12ihipStream_tbDpT10_ENKUlT_T0_E_clISt17integral_constantIbLb0EES1A_IbLb1EEEEDaS16_S17_EUlS16_E_NS1_11comp_targetILNS1_3genE5ELNS1_11target_archE942ELNS1_3gpuE9ELNS1_3repE0EEENS1_30default_config_static_selectorELNS0_4arch9wavefront6targetE0EEEvT1_.num_vgpr, 0
	.set _ZN7rocprim17ROCPRIM_400000_NS6detail17trampoline_kernelINS0_14default_configENS1_25partition_config_selectorILNS1_17partition_subalgoE5EsNS0_10empty_typeEbEEZZNS1_14partition_implILS5_5ELb0ES3_mN6thrust23THRUST_200600_302600_NS6detail15normal_iteratorINSA_10device_ptrIsEEEEPS6_NSA_18transform_iteratorINSB_9not_fun_tINSA_8identityIsEEEESF_NSA_11use_defaultESM_EENS0_5tupleIJSF_S6_EEENSO_IJSG_SG_EEES6_PlJS6_EEE10hipError_tPvRmT3_T4_T5_T6_T7_T9_mT8_P12ihipStream_tbDpT10_ENKUlT_T0_E_clISt17integral_constantIbLb0EES1A_IbLb1EEEEDaS16_S17_EUlS16_E_NS1_11comp_targetILNS1_3genE5ELNS1_11target_archE942ELNS1_3gpuE9ELNS1_3repE0EEENS1_30default_config_static_selectorELNS0_4arch9wavefront6targetE0EEEvT1_.num_agpr, 0
	.set _ZN7rocprim17ROCPRIM_400000_NS6detail17trampoline_kernelINS0_14default_configENS1_25partition_config_selectorILNS1_17partition_subalgoE5EsNS0_10empty_typeEbEEZZNS1_14partition_implILS5_5ELb0ES3_mN6thrust23THRUST_200600_302600_NS6detail15normal_iteratorINSA_10device_ptrIsEEEEPS6_NSA_18transform_iteratorINSB_9not_fun_tINSA_8identityIsEEEESF_NSA_11use_defaultESM_EENS0_5tupleIJSF_S6_EEENSO_IJSG_SG_EEES6_PlJS6_EEE10hipError_tPvRmT3_T4_T5_T6_T7_T9_mT8_P12ihipStream_tbDpT10_ENKUlT_T0_E_clISt17integral_constantIbLb0EES1A_IbLb1EEEEDaS16_S17_EUlS16_E_NS1_11comp_targetILNS1_3genE5ELNS1_11target_archE942ELNS1_3gpuE9ELNS1_3repE0EEENS1_30default_config_static_selectorELNS0_4arch9wavefront6targetE0EEEvT1_.numbered_sgpr, 0
	.set _ZN7rocprim17ROCPRIM_400000_NS6detail17trampoline_kernelINS0_14default_configENS1_25partition_config_selectorILNS1_17partition_subalgoE5EsNS0_10empty_typeEbEEZZNS1_14partition_implILS5_5ELb0ES3_mN6thrust23THRUST_200600_302600_NS6detail15normal_iteratorINSA_10device_ptrIsEEEEPS6_NSA_18transform_iteratorINSB_9not_fun_tINSA_8identityIsEEEESF_NSA_11use_defaultESM_EENS0_5tupleIJSF_S6_EEENSO_IJSG_SG_EEES6_PlJS6_EEE10hipError_tPvRmT3_T4_T5_T6_T7_T9_mT8_P12ihipStream_tbDpT10_ENKUlT_T0_E_clISt17integral_constantIbLb0EES1A_IbLb1EEEEDaS16_S17_EUlS16_E_NS1_11comp_targetILNS1_3genE5ELNS1_11target_archE942ELNS1_3gpuE9ELNS1_3repE0EEENS1_30default_config_static_selectorELNS0_4arch9wavefront6targetE0EEEvT1_.num_named_barrier, 0
	.set _ZN7rocprim17ROCPRIM_400000_NS6detail17trampoline_kernelINS0_14default_configENS1_25partition_config_selectorILNS1_17partition_subalgoE5EsNS0_10empty_typeEbEEZZNS1_14partition_implILS5_5ELb0ES3_mN6thrust23THRUST_200600_302600_NS6detail15normal_iteratorINSA_10device_ptrIsEEEEPS6_NSA_18transform_iteratorINSB_9not_fun_tINSA_8identityIsEEEESF_NSA_11use_defaultESM_EENS0_5tupleIJSF_S6_EEENSO_IJSG_SG_EEES6_PlJS6_EEE10hipError_tPvRmT3_T4_T5_T6_T7_T9_mT8_P12ihipStream_tbDpT10_ENKUlT_T0_E_clISt17integral_constantIbLb0EES1A_IbLb1EEEEDaS16_S17_EUlS16_E_NS1_11comp_targetILNS1_3genE5ELNS1_11target_archE942ELNS1_3gpuE9ELNS1_3repE0EEENS1_30default_config_static_selectorELNS0_4arch9wavefront6targetE0EEEvT1_.private_seg_size, 0
	.set _ZN7rocprim17ROCPRIM_400000_NS6detail17trampoline_kernelINS0_14default_configENS1_25partition_config_selectorILNS1_17partition_subalgoE5EsNS0_10empty_typeEbEEZZNS1_14partition_implILS5_5ELb0ES3_mN6thrust23THRUST_200600_302600_NS6detail15normal_iteratorINSA_10device_ptrIsEEEEPS6_NSA_18transform_iteratorINSB_9not_fun_tINSA_8identityIsEEEESF_NSA_11use_defaultESM_EENS0_5tupleIJSF_S6_EEENSO_IJSG_SG_EEES6_PlJS6_EEE10hipError_tPvRmT3_T4_T5_T6_T7_T9_mT8_P12ihipStream_tbDpT10_ENKUlT_T0_E_clISt17integral_constantIbLb0EES1A_IbLb1EEEEDaS16_S17_EUlS16_E_NS1_11comp_targetILNS1_3genE5ELNS1_11target_archE942ELNS1_3gpuE9ELNS1_3repE0EEENS1_30default_config_static_selectorELNS0_4arch9wavefront6targetE0EEEvT1_.uses_vcc, 0
	.set _ZN7rocprim17ROCPRIM_400000_NS6detail17trampoline_kernelINS0_14default_configENS1_25partition_config_selectorILNS1_17partition_subalgoE5EsNS0_10empty_typeEbEEZZNS1_14partition_implILS5_5ELb0ES3_mN6thrust23THRUST_200600_302600_NS6detail15normal_iteratorINSA_10device_ptrIsEEEEPS6_NSA_18transform_iteratorINSB_9not_fun_tINSA_8identityIsEEEESF_NSA_11use_defaultESM_EENS0_5tupleIJSF_S6_EEENSO_IJSG_SG_EEES6_PlJS6_EEE10hipError_tPvRmT3_T4_T5_T6_T7_T9_mT8_P12ihipStream_tbDpT10_ENKUlT_T0_E_clISt17integral_constantIbLb0EES1A_IbLb1EEEEDaS16_S17_EUlS16_E_NS1_11comp_targetILNS1_3genE5ELNS1_11target_archE942ELNS1_3gpuE9ELNS1_3repE0EEENS1_30default_config_static_selectorELNS0_4arch9wavefront6targetE0EEEvT1_.uses_flat_scratch, 0
	.set _ZN7rocprim17ROCPRIM_400000_NS6detail17trampoline_kernelINS0_14default_configENS1_25partition_config_selectorILNS1_17partition_subalgoE5EsNS0_10empty_typeEbEEZZNS1_14partition_implILS5_5ELb0ES3_mN6thrust23THRUST_200600_302600_NS6detail15normal_iteratorINSA_10device_ptrIsEEEEPS6_NSA_18transform_iteratorINSB_9not_fun_tINSA_8identityIsEEEESF_NSA_11use_defaultESM_EENS0_5tupleIJSF_S6_EEENSO_IJSG_SG_EEES6_PlJS6_EEE10hipError_tPvRmT3_T4_T5_T6_T7_T9_mT8_P12ihipStream_tbDpT10_ENKUlT_T0_E_clISt17integral_constantIbLb0EES1A_IbLb1EEEEDaS16_S17_EUlS16_E_NS1_11comp_targetILNS1_3genE5ELNS1_11target_archE942ELNS1_3gpuE9ELNS1_3repE0EEENS1_30default_config_static_selectorELNS0_4arch9wavefront6targetE0EEEvT1_.has_dyn_sized_stack, 0
	.set _ZN7rocprim17ROCPRIM_400000_NS6detail17trampoline_kernelINS0_14default_configENS1_25partition_config_selectorILNS1_17partition_subalgoE5EsNS0_10empty_typeEbEEZZNS1_14partition_implILS5_5ELb0ES3_mN6thrust23THRUST_200600_302600_NS6detail15normal_iteratorINSA_10device_ptrIsEEEEPS6_NSA_18transform_iteratorINSB_9not_fun_tINSA_8identityIsEEEESF_NSA_11use_defaultESM_EENS0_5tupleIJSF_S6_EEENSO_IJSG_SG_EEES6_PlJS6_EEE10hipError_tPvRmT3_T4_T5_T6_T7_T9_mT8_P12ihipStream_tbDpT10_ENKUlT_T0_E_clISt17integral_constantIbLb0EES1A_IbLb1EEEEDaS16_S17_EUlS16_E_NS1_11comp_targetILNS1_3genE5ELNS1_11target_archE942ELNS1_3gpuE9ELNS1_3repE0EEENS1_30default_config_static_selectorELNS0_4arch9wavefront6targetE0EEEvT1_.has_recursion, 0
	.set _ZN7rocprim17ROCPRIM_400000_NS6detail17trampoline_kernelINS0_14default_configENS1_25partition_config_selectorILNS1_17partition_subalgoE5EsNS0_10empty_typeEbEEZZNS1_14partition_implILS5_5ELb0ES3_mN6thrust23THRUST_200600_302600_NS6detail15normal_iteratorINSA_10device_ptrIsEEEEPS6_NSA_18transform_iteratorINSB_9not_fun_tINSA_8identityIsEEEESF_NSA_11use_defaultESM_EENS0_5tupleIJSF_S6_EEENSO_IJSG_SG_EEES6_PlJS6_EEE10hipError_tPvRmT3_T4_T5_T6_T7_T9_mT8_P12ihipStream_tbDpT10_ENKUlT_T0_E_clISt17integral_constantIbLb0EES1A_IbLb1EEEEDaS16_S17_EUlS16_E_NS1_11comp_targetILNS1_3genE5ELNS1_11target_archE942ELNS1_3gpuE9ELNS1_3repE0EEENS1_30default_config_static_selectorELNS0_4arch9wavefront6targetE0EEEvT1_.has_indirect_call, 0
	.section	.AMDGPU.csdata,"",@progbits
; Kernel info:
; codeLenInByte = 0
; TotalNumSgprs: 0
; NumVgprs: 0
; ScratchSize: 0
; MemoryBound: 0
; FloatMode: 240
; IeeeMode: 1
; LDSByteSize: 0 bytes/workgroup (compile time only)
; SGPRBlocks: 0
; VGPRBlocks: 0
; NumSGPRsForWavesPerEU: 1
; NumVGPRsForWavesPerEU: 1
; Occupancy: 16
; WaveLimiterHint : 0
; COMPUTE_PGM_RSRC2:SCRATCH_EN: 0
; COMPUTE_PGM_RSRC2:USER_SGPR: 2
; COMPUTE_PGM_RSRC2:TRAP_HANDLER: 0
; COMPUTE_PGM_RSRC2:TGID_X_EN: 1
; COMPUTE_PGM_RSRC2:TGID_Y_EN: 0
; COMPUTE_PGM_RSRC2:TGID_Z_EN: 0
; COMPUTE_PGM_RSRC2:TIDIG_COMP_CNT: 0
	.section	.text._ZN7rocprim17ROCPRIM_400000_NS6detail17trampoline_kernelINS0_14default_configENS1_25partition_config_selectorILNS1_17partition_subalgoE5EsNS0_10empty_typeEbEEZZNS1_14partition_implILS5_5ELb0ES3_mN6thrust23THRUST_200600_302600_NS6detail15normal_iteratorINSA_10device_ptrIsEEEEPS6_NSA_18transform_iteratorINSB_9not_fun_tINSA_8identityIsEEEESF_NSA_11use_defaultESM_EENS0_5tupleIJSF_S6_EEENSO_IJSG_SG_EEES6_PlJS6_EEE10hipError_tPvRmT3_T4_T5_T6_T7_T9_mT8_P12ihipStream_tbDpT10_ENKUlT_T0_E_clISt17integral_constantIbLb0EES1A_IbLb1EEEEDaS16_S17_EUlS16_E_NS1_11comp_targetILNS1_3genE4ELNS1_11target_archE910ELNS1_3gpuE8ELNS1_3repE0EEENS1_30default_config_static_selectorELNS0_4arch9wavefront6targetE0EEEvT1_,"axG",@progbits,_ZN7rocprim17ROCPRIM_400000_NS6detail17trampoline_kernelINS0_14default_configENS1_25partition_config_selectorILNS1_17partition_subalgoE5EsNS0_10empty_typeEbEEZZNS1_14partition_implILS5_5ELb0ES3_mN6thrust23THRUST_200600_302600_NS6detail15normal_iteratorINSA_10device_ptrIsEEEEPS6_NSA_18transform_iteratorINSB_9not_fun_tINSA_8identityIsEEEESF_NSA_11use_defaultESM_EENS0_5tupleIJSF_S6_EEENSO_IJSG_SG_EEES6_PlJS6_EEE10hipError_tPvRmT3_T4_T5_T6_T7_T9_mT8_P12ihipStream_tbDpT10_ENKUlT_T0_E_clISt17integral_constantIbLb0EES1A_IbLb1EEEEDaS16_S17_EUlS16_E_NS1_11comp_targetILNS1_3genE4ELNS1_11target_archE910ELNS1_3gpuE8ELNS1_3repE0EEENS1_30default_config_static_selectorELNS0_4arch9wavefront6targetE0EEEvT1_,comdat
	.protected	_ZN7rocprim17ROCPRIM_400000_NS6detail17trampoline_kernelINS0_14default_configENS1_25partition_config_selectorILNS1_17partition_subalgoE5EsNS0_10empty_typeEbEEZZNS1_14partition_implILS5_5ELb0ES3_mN6thrust23THRUST_200600_302600_NS6detail15normal_iteratorINSA_10device_ptrIsEEEEPS6_NSA_18transform_iteratorINSB_9not_fun_tINSA_8identityIsEEEESF_NSA_11use_defaultESM_EENS0_5tupleIJSF_S6_EEENSO_IJSG_SG_EEES6_PlJS6_EEE10hipError_tPvRmT3_T4_T5_T6_T7_T9_mT8_P12ihipStream_tbDpT10_ENKUlT_T0_E_clISt17integral_constantIbLb0EES1A_IbLb1EEEEDaS16_S17_EUlS16_E_NS1_11comp_targetILNS1_3genE4ELNS1_11target_archE910ELNS1_3gpuE8ELNS1_3repE0EEENS1_30default_config_static_selectorELNS0_4arch9wavefront6targetE0EEEvT1_ ; -- Begin function _ZN7rocprim17ROCPRIM_400000_NS6detail17trampoline_kernelINS0_14default_configENS1_25partition_config_selectorILNS1_17partition_subalgoE5EsNS0_10empty_typeEbEEZZNS1_14partition_implILS5_5ELb0ES3_mN6thrust23THRUST_200600_302600_NS6detail15normal_iteratorINSA_10device_ptrIsEEEEPS6_NSA_18transform_iteratorINSB_9not_fun_tINSA_8identityIsEEEESF_NSA_11use_defaultESM_EENS0_5tupleIJSF_S6_EEENSO_IJSG_SG_EEES6_PlJS6_EEE10hipError_tPvRmT3_T4_T5_T6_T7_T9_mT8_P12ihipStream_tbDpT10_ENKUlT_T0_E_clISt17integral_constantIbLb0EES1A_IbLb1EEEEDaS16_S17_EUlS16_E_NS1_11comp_targetILNS1_3genE4ELNS1_11target_archE910ELNS1_3gpuE8ELNS1_3repE0EEENS1_30default_config_static_selectorELNS0_4arch9wavefront6targetE0EEEvT1_
	.globl	_ZN7rocprim17ROCPRIM_400000_NS6detail17trampoline_kernelINS0_14default_configENS1_25partition_config_selectorILNS1_17partition_subalgoE5EsNS0_10empty_typeEbEEZZNS1_14partition_implILS5_5ELb0ES3_mN6thrust23THRUST_200600_302600_NS6detail15normal_iteratorINSA_10device_ptrIsEEEEPS6_NSA_18transform_iteratorINSB_9not_fun_tINSA_8identityIsEEEESF_NSA_11use_defaultESM_EENS0_5tupleIJSF_S6_EEENSO_IJSG_SG_EEES6_PlJS6_EEE10hipError_tPvRmT3_T4_T5_T6_T7_T9_mT8_P12ihipStream_tbDpT10_ENKUlT_T0_E_clISt17integral_constantIbLb0EES1A_IbLb1EEEEDaS16_S17_EUlS16_E_NS1_11comp_targetILNS1_3genE4ELNS1_11target_archE910ELNS1_3gpuE8ELNS1_3repE0EEENS1_30default_config_static_selectorELNS0_4arch9wavefront6targetE0EEEvT1_
	.p2align	8
	.type	_ZN7rocprim17ROCPRIM_400000_NS6detail17trampoline_kernelINS0_14default_configENS1_25partition_config_selectorILNS1_17partition_subalgoE5EsNS0_10empty_typeEbEEZZNS1_14partition_implILS5_5ELb0ES3_mN6thrust23THRUST_200600_302600_NS6detail15normal_iteratorINSA_10device_ptrIsEEEEPS6_NSA_18transform_iteratorINSB_9not_fun_tINSA_8identityIsEEEESF_NSA_11use_defaultESM_EENS0_5tupleIJSF_S6_EEENSO_IJSG_SG_EEES6_PlJS6_EEE10hipError_tPvRmT3_T4_T5_T6_T7_T9_mT8_P12ihipStream_tbDpT10_ENKUlT_T0_E_clISt17integral_constantIbLb0EES1A_IbLb1EEEEDaS16_S17_EUlS16_E_NS1_11comp_targetILNS1_3genE4ELNS1_11target_archE910ELNS1_3gpuE8ELNS1_3repE0EEENS1_30default_config_static_selectorELNS0_4arch9wavefront6targetE0EEEvT1_,@function
_ZN7rocprim17ROCPRIM_400000_NS6detail17trampoline_kernelINS0_14default_configENS1_25partition_config_selectorILNS1_17partition_subalgoE5EsNS0_10empty_typeEbEEZZNS1_14partition_implILS5_5ELb0ES3_mN6thrust23THRUST_200600_302600_NS6detail15normal_iteratorINSA_10device_ptrIsEEEEPS6_NSA_18transform_iteratorINSB_9not_fun_tINSA_8identityIsEEEESF_NSA_11use_defaultESM_EENS0_5tupleIJSF_S6_EEENSO_IJSG_SG_EEES6_PlJS6_EEE10hipError_tPvRmT3_T4_T5_T6_T7_T9_mT8_P12ihipStream_tbDpT10_ENKUlT_T0_E_clISt17integral_constantIbLb0EES1A_IbLb1EEEEDaS16_S17_EUlS16_E_NS1_11comp_targetILNS1_3genE4ELNS1_11target_archE910ELNS1_3gpuE8ELNS1_3repE0EEENS1_30default_config_static_selectorELNS0_4arch9wavefront6targetE0EEEvT1_: ; @_ZN7rocprim17ROCPRIM_400000_NS6detail17trampoline_kernelINS0_14default_configENS1_25partition_config_selectorILNS1_17partition_subalgoE5EsNS0_10empty_typeEbEEZZNS1_14partition_implILS5_5ELb0ES3_mN6thrust23THRUST_200600_302600_NS6detail15normal_iteratorINSA_10device_ptrIsEEEEPS6_NSA_18transform_iteratorINSB_9not_fun_tINSA_8identityIsEEEESF_NSA_11use_defaultESM_EENS0_5tupleIJSF_S6_EEENSO_IJSG_SG_EEES6_PlJS6_EEE10hipError_tPvRmT3_T4_T5_T6_T7_T9_mT8_P12ihipStream_tbDpT10_ENKUlT_T0_E_clISt17integral_constantIbLb0EES1A_IbLb1EEEEDaS16_S17_EUlS16_E_NS1_11comp_targetILNS1_3genE4ELNS1_11target_archE910ELNS1_3gpuE8ELNS1_3repE0EEENS1_30default_config_static_selectorELNS0_4arch9wavefront6targetE0EEEvT1_
; %bb.0:
	.section	.rodata,"a",@progbits
	.p2align	6, 0x0
	.amdhsa_kernel _ZN7rocprim17ROCPRIM_400000_NS6detail17trampoline_kernelINS0_14default_configENS1_25partition_config_selectorILNS1_17partition_subalgoE5EsNS0_10empty_typeEbEEZZNS1_14partition_implILS5_5ELb0ES3_mN6thrust23THRUST_200600_302600_NS6detail15normal_iteratorINSA_10device_ptrIsEEEEPS6_NSA_18transform_iteratorINSB_9not_fun_tINSA_8identityIsEEEESF_NSA_11use_defaultESM_EENS0_5tupleIJSF_S6_EEENSO_IJSG_SG_EEES6_PlJS6_EEE10hipError_tPvRmT3_T4_T5_T6_T7_T9_mT8_P12ihipStream_tbDpT10_ENKUlT_T0_E_clISt17integral_constantIbLb0EES1A_IbLb1EEEEDaS16_S17_EUlS16_E_NS1_11comp_targetILNS1_3genE4ELNS1_11target_archE910ELNS1_3gpuE8ELNS1_3repE0EEENS1_30default_config_static_selectorELNS0_4arch9wavefront6targetE0EEEvT1_
		.amdhsa_group_segment_fixed_size 0
		.amdhsa_private_segment_fixed_size 0
		.amdhsa_kernarg_size 136
		.amdhsa_user_sgpr_count 2
		.amdhsa_user_sgpr_dispatch_ptr 0
		.amdhsa_user_sgpr_queue_ptr 0
		.amdhsa_user_sgpr_kernarg_segment_ptr 1
		.amdhsa_user_sgpr_dispatch_id 0
		.amdhsa_user_sgpr_private_segment_size 0
		.amdhsa_wavefront_size32 1
		.amdhsa_uses_dynamic_stack 0
		.amdhsa_enable_private_segment 0
		.amdhsa_system_sgpr_workgroup_id_x 1
		.amdhsa_system_sgpr_workgroup_id_y 0
		.amdhsa_system_sgpr_workgroup_id_z 0
		.amdhsa_system_sgpr_workgroup_info 0
		.amdhsa_system_vgpr_workitem_id 0
		.amdhsa_next_free_vgpr 1
		.amdhsa_next_free_sgpr 1
		.amdhsa_reserve_vcc 0
		.amdhsa_float_round_mode_32 0
		.amdhsa_float_round_mode_16_64 0
		.amdhsa_float_denorm_mode_32 3
		.amdhsa_float_denorm_mode_16_64 3
		.amdhsa_fp16_overflow 0
		.amdhsa_workgroup_processor_mode 1
		.amdhsa_memory_ordered 1
		.amdhsa_forward_progress 1
		.amdhsa_inst_pref_size 0
		.amdhsa_round_robin_scheduling 0
		.amdhsa_exception_fp_ieee_invalid_op 0
		.amdhsa_exception_fp_denorm_src 0
		.amdhsa_exception_fp_ieee_div_zero 0
		.amdhsa_exception_fp_ieee_overflow 0
		.amdhsa_exception_fp_ieee_underflow 0
		.amdhsa_exception_fp_ieee_inexact 0
		.amdhsa_exception_int_div_zero 0
	.end_amdhsa_kernel
	.section	.text._ZN7rocprim17ROCPRIM_400000_NS6detail17trampoline_kernelINS0_14default_configENS1_25partition_config_selectorILNS1_17partition_subalgoE5EsNS0_10empty_typeEbEEZZNS1_14partition_implILS5_5ELb0ES3_mN6thrust23THRUST_200600_302600_NS6detail15normal_iteratorINSA_10device_ptrIsEEEEPS6_NSA_18transform_iteratorINSB_9not_fun_tINSA_8identityIsEEEESF_NSA_11use_defaultESM_EENS0_5tupleIJSF_S6_EEENSO_IJSG_SG_EEES6_PlJS6_EEE10hipError_tPvRmT3_T4_T5_T6_T7_T9_mT8_P12ihipStream_tbDpT10_ENKUlT_T0_E_clISt17integral_constantIbLb0EES1A_IbLb1EEEEDaS16_S17_EUlS16_E_NS1_11comp_targetILNS1_3genE4ELNS1_11target_archE910ELNS1_3gpuE8ELNS1_3repE0EEENS1_30default_config_static_selectorELNS0_4arch9wavefront6targetE0EEEvT1_,"axG",@progbits,_ZN7rocprim17ROCPRIM_400000_NS6detail17trampoline_kernelINS0_14default_configENS1_25partition_config_selectorILNS1_17partition_subalgoE5EsNS0_10empty_typeEbEEZZNS1_14partition_implILS5_5ELb0ES3_mN6thrust23THRUST_200600_302600_NS6detail15normal_iteratorINSA_10device_ptrIsEEEEPS6_NSA_18transform_iteratorINSB_9not_fun_tINSA_8identityIsEEEESF_NSA_11use_defaultESM_EENS0_5tupleIJSF_S6_EEENSO_IJSG_SG_EEES6_PlJS6_EEE10hipError_tPvRmT3_T4_T5_T6_T7_T9_mT8_P12ihipStream_tbDpT10_ENKUlT_T0_E_clISt17integral_constantIbLb0EES1A_IbLb1EEEEDaS16_S17_EUlS16_E_NS1_11comp_targetILNS1_3genE4ELNS1_11target_archE910ELNS1_3gpuE8ELNS1_3repE0EEENS1_30default_config_static_selectorELNS0_4arch9wavefront6targetE0EEEvT1_,comdat
.Lfunc_end1039:
	.size	_ZN7rocprim17ROCPRIM_400000_NS6detail17trampoline_kernelINS0_14default_configENS1_25partition_config_selectorILNS1_17partition_subalgoE5EsNS0_10empty_typeEbEEZZNS1_14partition_implILS5_5ELb0ES3_mN6thrust23THRUST_200600_302600_NS6detail15normal_iteratorINSA_10device_ptrIsEEEEPS6_NSA_18transform_iteratorINSB_9not_fun_tINSA_8identityIsEEEESF_NSA_11use_defaultESM_EENS0_5tupleIJSF_S6_EEENSO_IJSG_SG_EEES6_PlJS6_EEE10hipError_tPvRmT3_T4_T5_T6_T7_T9_mT8_P12ihipStream_tbDpT10_ENKUlT_T0_E_clISt17integral_constantIbLb0EES1A_IbLb1EEEEDaS16_S17_EUlS16_E_NS1_11comp_targetILNS1_3genE4ELNS1_11target_archE910ELNS1_3gpuE8ELNS1_3repE0EEENS1_30default_config_static_selectorELNS0_4arch9wavefront6targetE0EEEvT1_, .Lfunc_end1039-_ZN7rocprim17ROCPRIM_400000_NS6detail17trampoline_kernelINS0_14default_configENS1_25partition_config_selectorILNS1_17partition_subalgoE5EsNS0_10empty_typeEbEEZZNS1_14partition_implILS5_5ELb0ES3_mN6thrust23THRUST_200600_302600_NS6detail15normal_iteratorINSA_10device_ptrIsEEEEPS6_NSA_18transform_iteratorINSB_9not_fun_tINSA_8identityIsEEEESF_NSA_11use_defaultESM_EENS0_5tupleIJSF_S6_EEENSO_IJSG_SG_EEES6_PlJS6_EEE10hipError_tPvRmT3_T4_T5_T6_T7_T9_mT8_P12ihipStream_tbDpT10_ENKUlT_T0_E_clISt17integral_constantIbLb0EES1A_IbLb1EEEEDaS16_S17_EUlS16_E_NS1_11comp_targetILNS1_3genE4ELNS1_11target_archE910ELNS1_3gpuE8ELNS1_3repE0EEENS1_30default_config_static_selectorELNS0_4arch9wavefront6targetE0EEEvT1_
                                        ; -- End function
	.set _ZN7rocprim17ROCPRIM_400000_NS6detail17trampoline_kernelINS0_14default_configENS1_25partition_config_selectorILNS1_17partition_subalgoE5EsNS0_10empty_typeEbEEZZNS1_14partition_implILS5_5ELb0ES3_mN6thrust23THRUST_200600_302600_NS6detail15normal_iteratorINSA_10device_ptrIsEEEEPS6_NSA_18transform_iteratorINSB_9not_fun_tINSA_8identityIsEEEESF_NSA_11use_defaultESM_EENS0_5tupleIJSF_S6_EEENSO_IJSG_SG_EEES6_PlJS6_EEE10hipError_tPvRmT3_T4_T5_T6_T7_T9_mT8_P12ihipStream_tbDpT10_ENKUlT_T0_E_clISt17integral_constantIbLb0EES1A_IbLb1EEEEDaS16_S17_EUlS16_E_NS1_11comp_targetILNS1_3genE4ELNS1_11target_archE910ELNS1_3gpuE8ELNS1_3repE0EEENS1_30default_config_static_selectorELNS0_4arch9wavefront6targetE0EEEvT1_.num_vgpr, 0
	.set _ZN7rocprim17ROCPRIM_400000_NS6detail17trampoline_kernelINS0_14default_configENS1_25partition_config_selectorILNS1_17partition_subalgoE5EsNS0_10empty_typeEbEEZZNS1_14partition_implILS5_5ELb0ES3_mN6thrust23THRUST_200600_302600_NS6detail15normal_iteratorINSA_10device_ptrIsEEEEPS6_NSA_18transform_iteratorINSB_9not_fun_tINSA_8identityIsEEEESF_NSA_11use_defaultESM_EENS0_5tupleIJSF_S6_EEENSO_IJSG_SG_EEES6_PlJS6_EEE10hipError_tPvRmT3_T4_T5_T6_T7_T9_mT8_P12ihipStream_tbDpT10_ENKUlT_T0_E_clISt17integral_constantIbLb0EES1A_IbLb1EEEEDaS16_S17_EUlS16_E_NS1_11comp_targetILNS1_3genE4ELNS1_11target_archE910ELNS1_3gpuE8ELNS1_3repE0EEENS1_30default_config_static_selectorELNS0_4arch9wavefront6targetE0EEEvT1_.num_agpr, 0
	.set _ZN7rocprim17ROCPRIM_400000_NS6detail17trampoline_kernelINS0_14default_configENS1_25partition_config_selectorILNS1_17partition_subalgoE5EsNS0_10empty_typeEbEEZZNS1_14partition_implILS5_5ELb0ES3_mN6thrust23THRUST_200600_302600_NS6detail15normal_iteratorINSA_10device_ptrIsEEEEPS6_NSA_18transform_iteratorINSB_9not_fun_tINSA_8identityIsEEEESF_NSA_11use_defaultESM_EENS0_5tupleIJSF_S6_EEENSO_IJSG_SG_EEES6_PlJS6_EEE10hipError_tPvRmT3_T4_T5_T6_T7_T9_mT8_P12ihipStream_tbDpT10_ENKUlT_T0_E_clISt17integral_constantIbLb0EES1A_IbLb1EEEEDaS16_S17_EUlS16_E_NS1_11comp_targetILNS1_3genE4ELNS1_11target_archE910ELNS1_3gpuE8ELNS1_3repE0EEENS1_30default_config_static_selectorELNS0_4arch9wavefront6targetE0EEEvT1_.numbered_sgpr, 0
	.set _ZN7rocprim17ROCPRIM_400000_NS6detail17trampoline_kernelINS0_14default_configENS1_25partition_config_selectorILNS1_17partition_subalgoE5EsNS0_10empty_typeEbEEZZNS1_14partition_implILS5_5ELb0ES3_mN6thrust23THRUST_200600_302600_NS6detail15normal_iteratorINSA_10device_ptrIsEEEEPS6_NSA_18transform_iteratorINSB_9not_fun_tINSA_8identityIsEEEESF_NSA_11use_defaultESM_EENS0_5tupleIJSF_S6_EEENSO_IJSG_SG_EEES6_PlJS6_EEE10hipError_tPvRmT3_T4_T5_T6_T7_T9_mT8_P12ihipStream_tbDpT10_ENKUlT_T0_E_clISt17integral_constantIbLb0EES1A_IbLb1EEEEDaS16_S17_EUlS16_E_NS1_11comp_targetILNS1_3genE4ELNS1_11target_archE910ELNS1_3gpuE8ELNS1_3repE0EEENS1_30default_config_static_selectorELNS0_4arch9wavefront6targetE0EEEvT1_.num_named_barrier, 0
	.set _ZN7rocprim17ROCPRIM_400000_NS6detail17trampoline_kernelINS0_14default_configENS1_25partition_config_selectorILNS1_17partition_subalgoE5EsNS0_10empty_typeEbEEZZNS1_14partition_implILS5_5ELb0ES3_mN6thrust23THRUST_200600_302600_NS6detail15normal_iteratorINSA_10device_ptrIsEEEEPS6_NSA_18transform_iteratorINSB_9not_fun_tINSA_8identityIsEEEESF_NSA_11use_defaultESM_EENS0_5tupleIJSF_S6_EEENSO_IJSG_SG_EEES6_PlJS6_EEE10hipError_tPvRmT3_T4_T5_T6_T7_T9_mT8_P12ihipStream_tbDpT10_ENKUlT_T0_E_clISt17integral_constantIbLb0EES1A_IbLb1EEEEDaS16_S17_EUlS16_E_NS1_11comp_targetILNS1_3genE4ELNS1_11target_archE910ELNS1_3gpuE8ELNS1_3repE0EEENS1_30default_config_static_selectorELNS0_4arch9wavefront6targetE0EEEvT1_.private_seg_size, 0
	.set _ZN7rocprim17ROCPRIM_400000_NS6detail17trampoline_kernelINS0_14default_configENS1_25partition_config_selectorILNS1_17partition_subalgoE5EsNS0_10empty_typeEbEEZZNS1_14partition_implILS5_5ELb0ES3_mN6thrust23THRUST_200600_302600_NS6detail15normal_iteratorINSA_10device_ptrIsEEEEPS6_NSA_18transform_iteratorINSB_9not_fun_tINSA_8identityIsEEEESF_NSA_11use_defaultESM_EENS0_5tupleIJSF_S6_EEENSO_IJSG_SG_EEES6_PlJS6_EEE10hipError_tPvRmT3_T4_T5_T6_T7_T9_mT8_P12ihipStream_tbDpT10_ENKUlT_T0_E_clISt17integral_constantIbLb0EES1A_IbLb1EEEEDaS16_S17_EUlS16_E_NS1_11comp_targetILNS1_3genE4ELNS1_11target_archE910ELNS1_3gpuE8ELNS1_3repE0EEENS1_30default_config_static_selectorELNS0_4arch9wavefront6targetE0EEEvT1_.uses_vcc, 0
	.set _ZN7rocprim17ROCPRIM_400000_NS6detail17trampoline_kernelINS0_14default_configENS1_25partition_config_selectorILNS1_17partition_subalgoE5EsNS0_10empty_typeEbEEZZNS1_14partition_implILS5_5ELb0ES3_mN6thrust23THRUST_200600_302600_NS6detail15normal_iteratorINSA_10device_ptrIsEEEEPS6_NSA_18transform_iteratorINSB_9not_fun_tINSA_8identityIsEEEESF_NSA_11use_defaultESM_EENS0_5tupleIJSF_S6_EEENSO_IJSG_SG_EEES6_PlJS6_EEE10hipError_tPvRmT3_T4_T5_T6_T7_T9_mT8_P12ihipStream_tbDpT10_ENKUlT_T0_E_clISt17integral_constantIbLb0EES1A_IbLb1EEEEDaS16_S17_EUlS16_E_NS1_11comp_targetILNS1_3genE4ELNS1_11target_archE910ELNS1_3gpuE8ELNS1_3repE0EEENS1_30default_config_static_selectorELNS0_4arch9wavefront6targetE0EEEvT1_.uses_flat_scratch, 0
	.set _ZN7rocprim17ROCPRIM_400000_NS6detail17trampoline_kernelINS0_14default_configENS1_25partition_config_selectorILNS1_17partition_subalgoE5EsNS0_10empty_typeEbEEZZNS1_14partition_implILS5_5ELb0ES3_mN6thrust23THRUST_200600_302600_NS6detail15normal_iteratorINSA_10device_ptrIsEEEEPS6_NSA_18transform_iteratorINSB_9not_fun_tINSA_8identityIsEEEESF_NSA_11use_defaultESM_EENS0_5tupleIJSF_S6_EEENSO_IJSG_SG_EEES6_PlJS6_EEE10hipError_tPvRmT3_T4_T5_T6_T7_T9_mT8_P12ihipStream_tbDpT10_ENKUlT_T0_E_clISt17integral_constantIbLb0EES1A_IbLb1EEEEDaS16_S17_EUlS16_E_NS1_11comp_targetILNS1_3genE4ELNS1_11target_archE910ELNS1_3gpuE8ELNS1_3repE0EEENS1_30default_config_static_selectorELNS0_4arch9wavefront6targetE0EEEvT1_.has_dyn_sized_stack, 0
	.set _ZN7rocprim17ROCPRIM_400000_NS6detail17trampoline_kernelINS0_14default_configENS1_25partition_config_selectorILNS1_17partition_subalgoE5EsNS0_10empty_typeEbEEZZNS1_14partition_implILS5_5ELb0ES3_mN6thrust23THRUST_200600_302600_NS6detail15normal_iteratorINSA_10device_ptrIsEEEEPS6_NSA_18transform_iteratorINSB_9not_fun_tINSA_8identityIsEEEESF_NSA_11use_defaultESM_EENS0_5tupleIJSF_S6_EEENSO_IJSG_SG_EEES6_PlJS6_EEE10hipError_tPvRmT3_T4_T5_T6_T7_T9_mT8_P12ihipStream_tbDpT10_ENKUlT_T0_E_clISt17integral_constantIbLb0EES1A_IbLb1EEEEDaS16_S17_EUlS16_E_NS1_11comp_targetILNS1_3genE4ELNS1_11target_archE910ELNS1_3gpuE8ELNS1_3repE0EEENS1_30default_config_static_selectorELNS0_4arch9wavefront6targetE0EEEvT1_.has_recursion, 0
	.set _ZN7rocprim17ROCPRIM_400000_NS6detail17trampoline_kernelINS0_14default_configENS1_25partition_config_selectorILNS1_17partition_subalgoE5EsNS0_10empty_typeEbEEZZNS1_14partition_implILS5_5ELb0ES3_mN6thrust23THRUST_200600_302600_NS6detail15normal_iteratorINSA_10device_ptrIsEEEEPS6_NSA_18transform_iteratorINSB_9not_fun_tINSA_8identityIsEEEESF_NSA_11use_defaultESM_EENS0_5tupleIJSF_S6_EEENSO_IJSG_SG_EEES6_PlJS6_EEE10hipError_tPvRmT3_T4_T5_T6_T7_T9_mT8_P12ihipStream_tbDpT10_ENKUlT_T0_E_clISt17integral_constantIbLb0EES1A_IbLb1EEEEDaS16_S17_EUlS16_E_NS1_11comp_targetILNS1_3genE4ELNS1_11target_archE910ELNS1_3gpuE8ELNS1_3repE0EEENS1_30default_config_static_selectorELNS0_4arch9wavefront6targetE0EEEvT1_.has_indirect_call, 0
	.section	.AMDGPU.csdata,"",@progbits
; Kernel info:
; codeLenInByte = 0
; TotalNumSgprs: 0
; NumVgprs: 0
; ScratchSize: 0
; MemoryBound: 0
; FloatMode: 240
; IeeeMode: 1
; LDSByteSize: 0 bytes/workgroup (compile time only)
; SGPRBlocks: 0
; VGPRBlocks: 0
; NumSGPRsForWavesPerEU: 1
; NumVGPRsForWavesPerEU: 1
; Occupancy: 16
; WaveLimiterHint : 0
; COMPUTE_PGM_RSRC2:SCRATCH_EN: 0
; COMPUTE_PGM_RSRC2:USER_SGPR: 2
; COMPUTE_PGM_RSRC2:TRAP_HANDLER: 0
; COMPUTE_PGM_RSRC2:TGID_X_EN: 1
; COMPUTE_PGM_RSRC2:TGID_Y_EN: 0
; COMPUTE_PGM_RSRC2:TGID_Z_EN: 0
; COMPUTE_PGM_RSRC2:TIDIG_COMP_CNT: 0
	.section	.text._ZN7rocprim17ROCPRIM_400000_NS6detail17trampoline_kernelINS0_14default_configENS1_25partition_config_selectorILNS1_17partition_subalgoE5EsNS0_10empty_typeEbEEZZNS1_14partition_implILS5_5ELb0ES3_mN6thrust23THRUST_200600_302600_NS6detail15normal_iteratorINSA_10device_ptrIsEEEEPS6_NSA_18transform_iteratorINSB_9not_fun_tINSA_8identityIsEEEESF_NSA_11use_defaultESM_EENS0_5tupleIJSF_S6_EEENSO_IJSG_SG_EEES6_PlJS6_EEE10hipError_tPvRmT3_T4_T5_T6_T7_T9_mT8_P12ihipStream_tbDpT10_ENKUlT_T0_E_clISt17integral_constantIbLb0EES1A_IbLb1EEEEDaS16_S17_EUlS16_E_NS1_11comp_targetILNS1_3genE3ELNS1_11target_archE908ELNS1_3gpuE7ELNS1_3repE0EEENS1_30default_config_static_selectorELNS0_4arch9wavefront6targetE0EEEvT1_,"axG",@progbits,_ZN7rocprim17ROCPRIM_400000_NS6detail17trampoline_kernelINS0_14default_configENS1_25partition_config_selectorILNS1_17partition_subalgoE5EsNS0_10empty_typeEbEEZZNS1_14partition_implILS5_5ELb0ES3_mN6thrust23THRUST_200600_302600_NS6detail15normal_iteratorINSA_10device_ptrIsEEEEPS6_NSA_18transform_iteratorINSB_9not_fun_tINSA_8identityIsEEEESF_NSA_11use_defaultESM_EENS0_5tupleIJSF_S6_EEENSO_IJSG_SG_EEES6_PlJS6_EEE10hipError_tPvRmT3_T4_T5_T6_T7_T9_mT8_P12ihipStream_tbDpT10_ENKUlT_T0_E_clISt17integral_constantIbLb0EES1A_IbLb1EEEEDaS16_S17_EUlS16_E_NS1_11comp_targetILNS1_3genE3ELNS1_11target_archE908ELNS1_3gpuE7ELNS1_3repE0EEENS1_30default_config_static_selectorELNS0_4arch9wavefront6targetE0EEEvT1_,comdat
	.protected	_ZN7rocprim17ROCPRIM_400000_NS6detail17trampoline_kernelINS0_14default_configENS1_25partition_config_selectorILNS1_17partition_subalgoE5EsNS0_10empty_typeEbEEZZNS1_14partition_implILS5_5ELb0ES3_mN6thrust23THRUST_200600_302600_NS6detail15normal_iteratorINSA_10device_ptrIsEEEEPS6_NSA_18transform_iteratorINSB_9not_fun_tINSA_8identityIsEEEESF_NSA_11use_defaultESM_EENS0_5tupleIJSF_S6_EEENSO_IJSG_SG_EEES6_PlJS6_EEE10hipError_tPvRmT3_T4_T5_T6_T7_T9_mT8_P12ihipStream_tbDpT10_ENKUlT_T0_E_clISt17integral_constantIbLb0EES1A_IbLb1EEEEDaS16_S17_EUlS16_E_NS1_11comp_targetILNS1_3genE3ELNS1_11target_archE908ELNS1_3gpuE7ELNS1_3repE0EEENS1_30default_config_static_selectorELNS0_4arch9wavefront6targetE0EEEvT1_ ; -- Begin function _ZN7rocprim17ROCPRIM_400000_NS6detail17trampoline_kernelINS0_14default_configENS1_25partition_config_selectorILNS1_17partition_subalgoE5EsNS0_10empty_typeEbEEZZNS1_14partition_implILS5_5ELb0ES3_mN6thrust23THRUST_200600_302600_NS6detail15normal_iteratorINSA_10device_ptrIsEEEEPS6_NSA_18transform_iteratorINSB_9not_fun_tINSA_8identityIsEEEESF_NSA_11use_defaultESM_EENS0_5tupleIJSF_S6_EEENSO_IJSG_SG_EEES6_PlJS6_EEE10hipError_tPvRmT3_T4_T5_T6_T7_T9_mT8_P12ihipStream_tbDpT10_ENKUlT_T0_E_clISt17integral_constantIbLb0EES1A_IbLb1EEEEDaS16_S17_EUlS16_E_NS1_11comp_targetILNS1_3genE3ELNS1_11target_archE908ELNS1_3gpuE7ELNS1_3repE0EEENS1_30default_config_static_selectorELNS0_4arch9wavefront6targetE0EEEvT1_
	.globl	_ZN7rocprim17ROCPRIM_400000_NS6detail17trampoline_kernelINS0_14default_configENS1_25partition_config_selectorILNS1_17partition_subalgoE5EsNS0_10empty_typeEbEEZZNS1_14partition_implILS5_5ELb0ES3_mN6thrust23THRUST_200600_302600_NS6detail15normal_iteratorINSA_10device_ptrIsEEEEPS6_NSA_18transform_iteratorINSB_9not_fun_tINSA_8identityIsEEEESF_NSA_11use_defaultESM_EENS0_5tupleIJSF_S6_EEENSO_IJSG_SG_EEES6_PlJS6_EEE10hipError_tPvRmT3_T4_T5_T6_T7_T9_mT8_P12ihipStream_tbDpT10_ENKUlT_T0_E_clISt17integral_constantIbLb0EES1A_IbLb1EEEEDaS16_S17_EUlS16_E_NS1_11comp_targetILNS1_3genE3ELNS1_11target_archE908ELNS1_3gpuE7ELNS1_3repE0EEENS1_30default_config_static_selectorELNS0_4arch9wavefront6targetE0EEEvT1_
	.p2align	8
	.type	_ZN7rocprim17ROCPRIM_400000_NS6detail17trampoline_kernelINS0_14default_configENS1_25partition_config_selectorILNS1_17partition_subalgoE5EsNS0_10empty_typeEbEEZZNS1_14partition_implILS5_5ELb0ES3_mN6thrust23THRUST_200600_302600_NS6detail15normal_iteratorINSA_10device_ptrIsEEEEPS6_NSA_18transform_iteratorINSB_9not_fun_tINSA_8identityIsEEEESF_NSA_11use_defaultESM_EENS0_5tupleIJSF_S6_EEENSO_IJSG_SG_EEES6_PlJS6_EEE10hipError_tPvRmT3_T4_T5_T6_T7_T9_mT8_P12ihipStream_tbDpT10_ENKUlT_T0_E_clISt17integral_constantIbLb0EES1A_IbLb1EEEEDaS16_S17_EUlS16_E_NS1_11comp_targetILNS1_3genE3ELNS1_11target_archE908ELNS1_3gpuE7ELNS1_3repE0EEENS1_30default_config_static_selectorELNS0_4arch9wavefront6targetE0EEEvT1_,@function
_ZN7rocprim17ROCPRIM_400000_NS6detail17trampoline_kernelINS0_14default_configENS1_25partition_config_selectorILNS1_17partition_subalgoE5EsNS0_10empty_typeEbEEZZNS1_14partition_implILS5_5ELb0ES3_mN6thrust23THRUST_200600_302600_NS6detail15normal_iteratorINSA_10device_ptrIsEEEEPS6_NSA_18transform_iteratorINSB_9not_fun_tINSA_8identityIsEEEESF_NSA_11use_defaultESM_EENS0_5tupleIJSF_S6_EEENSO_IJSG_SG_EEES6_PlJS6_EEE10hipError_tPvRmT3_T4_T5_T6_T7_T9_mT8_P12ihipStream_tbDpT10_ENKUlT_T0_E_clISt17integral_constantIbLb0EES1A_IbLb1EEEEDaS16_S17_EUlS16_E_NS1_11comp_targetILNS1_3genE3ELNS1_11target_archE908ELNS1_3gpuE7ELNS1_3repE0EEENS1_30default_config_static_selectorELNS0_4arch9wavefront6targetE0EEEvT1_: ; @_ZN7rocprim17ROCPRIM_400000_NS6detail17trampoline_kernelINS0_14default_configENS1_25partition_config_selectorILNS1_17partition_subalgoE5EsNS0_10empty_typeEbEEZZNS1_14partition_implILS5_5ELb0ES3_mN6thrust23THRUST_200600_302600_NS6detail15normal_iteratorINSA_10device_ptrIsEEEEPS6_NSA_18transform_iteratorINSB_9not_fun_tINSA_8identityIsEEEESF_NSA_11use_defaultESM_EENS0_5tupleIJSF_S6_EEENSO_IJSG_SG_EEES6_PlJS6_EEE10hipError_tPvRmT3_T4_T5_T6_T7_T9_mT8_P12ihipStream_tbDpT10_ENKUlT_T0_E_clISt17integral_constantIbLb0EES1A_IbLb1EEEEDaS16_S17_EUlS16_E_NS1_11comp_targetILNS1_3genE3ELNS1_11target_archE908ELNS1_3gpuE7ELNS1_3repE0EEENS1_30default_config_static_selectorELNS0_4arch9wavefront6targetE0EEEvT1_
; %bb.0:
	.section	.rodata,"a",@progbits
	.p2align	6, 0x0
	.amdhsa_kernel _ZN7rocprim17ROCPRIM_400000_NS6detail17trampoline_kernelINS0_14default_configENS1_25partition_config_selectorILNS1_17partition_subalgoE5EsNS0_10empty_typeEbEEZZNS1_14partition_implILS5_5ELb0ES3_mN6thrust23THRUST_200600_302600_NS6detail15normal_iteratorINSA_10device_ptrIsEEEEPS6_NSA_18transform_iteratorINSB_9not_fun_tINSA_8identityIsEEEESF_NSA_11use_defaultESM_EENS0_5tupleIJSF_S6_EEENSO_IJSG_SG_EEES6_PlJS6_EEE10hipError_tPvRmT3_T4_T5_T6_T7_T9_mT8_P12ihipStream_tbDpT10_ENKUlT_T0_E_clISt17integral_constantIbLb0EES1A_IbLb1EEEEDaS16_S17_EUlS16_E_NS1_11comp_targetILNS1_3genE3ELNS1_11target_archE908ELNS1_3gpuE7ELNS1_3repE0EEENS1_30default_config_static_selectorELNS0_4arch9wavefront6targetE0EEEvT1_
		.amdhsa_group_segment_fixed_size 0
		.amdhsa_private_segment_fixed_size 0
		.amdhsa_kernarg_size 136
		.amdhsa_user_sgpr_count 2
		.amdhsa_user_sgpr_dispatch_ptr 0
		.amdhsa_user_sgpr_queue_ptr 0
		.amdhsa_user_sgpr_kernarg_segment_ptr 1
		.amdhsa_user_sgpr_dispatch_id 0
		.amdhsa_user_sgpr_private_segment_size 0
		.amdhsa_wavefront_size32 1
		.amdhsa_uses_dynamic_stack 0
		.amdhsa_enable_private_segment 0
		.amdhsa_system_sgpr_workgroup_id_x 1
		.amdhsa_system_sgpr_workgroup_id_y 0
		.amdhsa_system_sgpr_workgroup_id_z 0
		.amdhsa_system_sgpr_workgroup_info 0
		.amdhsa_system_vgpr_workitem_id 0
		.amdhsa_next_free_vgpr 1
		.amdhsa_next_free_sgpr 1
		.amdhsa_reserve_vcc 0
		.amdhsa_float_round_mode_32 0
		.amdhsa_float_round_mode_16_64 0
		.amdhsa_float_denorm_mode_32 3
		.amdhsa_float_denorm_mode_16_64 3
		.amdhsa_fp16_overflow 0
		.amdhsa_workgroup_processor_mode 1
		.amdhsa_memory_ordered 1
		.amdhsa_forward_progress 1
		.amdhsa_inst_pref_size 0
		.amdhsa_round_robin_scheduling 0
		.amdhsa_exception_fp_ieee_invalid_op 0
		.amdhsa_exception_fp_denorm_src 0
		.amdhsa_exception_fp_ieee_div_zero 0
		.amdhsa_exception_fp_ieee_overflow 0
		.amdhsa_exception_fp_ieee_underflow 0
		.amdhsa_exception_fp_ieee_inexact 0
		.amdhsa_exception_int_div_zero 0
	.end_amdhsa_kernel
	.section	.text._ZN7rocprim17ROCPRIM_400000_NS6detail17trampoline_kernelINS0_14default_configENS1_25partition_config_selectorILNS1_17partition_subalgoE5EsNS0_10empty_typeEbEEZZNS1_14partition_implILS5_5ELb0ES3_mN6thrust23THRUST_200600_302600_NS6detail15normal_iteratorINSA_10device_ptrIsEEEEPS6_NSA_18transform_iteratorINSB_9not_fun_tINSA_8identityIsEEEESF_NSA_11use_defaultESM_EENS0_5tupleIJSF_S6_EEENSO_IJSG_SG_EEES6_PlJS6_EEE10hipError_tPvRmT3_T4_T5_T6_T7_T9_mT8_P12ihipStream_tbDpT10_ENKUlT_T0_E_clISt17integral_constantIbLb0EES1A_IbLb1EEEEDaS16_S17_EUlS16_E_NS1_11comp_targetILNS1_3genE3ELNS1_11target_archE908ELNS1_3gpuE7ELNS1_3repE0EEENS1_30default_config_static_selectorELNS0_4arch9wavefront6targetE0EEEvT1_,"axG",@progbits,_ZN7rocprim17ROCPRIM_400000_NS6detail17trampoline_kernelINS0_14default_configENS1_25partition_config_selectorILNS1_17partition_subalgoE5EsNS0_10empty_typeEbEEZZNS1_14partition_implILS5_5ELb0ES3_mN6thrust23THRUST_200600_302600_NS6detail15normal_iteratorINSA_10device_ptrIsEEEEPS6_NSA_18transform_iteratorINSB_9not_fun_tINSA_8identityIsEEEESF_NSA_11use_defaultESM_EENS0_5tupleIJSF_S6_EEENSO_IJSG_SG_EEES6_PlJS6_EEE10hipError_tPvRmT3_T4_T5_T6_T7_T9_mT8_P12ihipStream_tbDpT10_ENKUlT_T0_E_clISt17integral_constantIbLb0EES1A_IbLb1EEEEDaS16_S17_EUlS16_E_NS1_11comp_targetILNS1_3genE3ELNS1_11target_archE908ELNS1_3gpuE7ELNS1_3repE0EEENS1_30default_config_static_selectorELNS0_4arch9wavefront6targetE0EEEvT1_,comdat
.Lfunc_end1040:
	.size	_ZN7rocprim17ROCPRIM_400000_NS6detail17trampoline_kernelINS0_14default_configENS1_25partition_config_selectorILNS1_17partition_subalgoE5EsNS0_10empty_typeEbEEZZNS1_14partition_implILS5_5ELb0ES3_mN6thrust23THRUST_200600_302600_NS6detail15normal_iteratorINSA_10device_ptrIsEEEEPS6_NSA_18transform_iteratorINSB_9not_fun_tINSA_8identityIsEEEESF_NSA_11use_defaultESM_EENS0_5tupleIJSF_S6_EEENSO_IJSG_SG_EEES6_PlJS6_EEE10hipError_tPvRmT3_T4_T5_T6_T7_T9_mT8_P12ihipStream_tbDpT10_ENKUlT_T0_E_clISt17integral_constantIbLb0EES1A_IbLb1EEEEDaS16_S17_EUlS16_E_NS1_11comp_targetILNS1_3genE3ELNS1_11target_archE908ELNS1_3gpuE7ELNS1_3repE0EEENS1_30default_config_static_selectorELNS0_4arch9wavefront6targetE0EEEvT1_, .Lfunc_end1040-_ZN7rocprim17ROCPRIM_400000_NS6detail17trampoline_kernelINS0_14default_configENS1_25partition_config_selectorILNS1_17partition_subalgoE5EsNS0_10empty_typeEbEEZZNS1_14partition_implILS5_5ELb0ES3_mN6thrust23THRUST_200600_302600_NS6detail15normal_iteratorINSA_10device_ptrIsEEEEPS6_NSA_18transform_iteratorINSB_9not_fun_tINSA_8identityIsEEEESF_NSA_11use_defaultESM_EENS0_5tupleIJSF_S6_EEENSO_IJSG_SG_EEES6_PlJS6_EEE10hipError_tPvRmT3_T4_T5_T6_T7_T9_mT8_P12ihipStream_tbDpT10_ENKUlT_T0_E_clISt17integral_constantIbLb0EES1A_IbLb1EEEEDaS16_S17_EUlS16_E_NS1_11comp_targetILNS1_3genE3ELNS1_11target_archE908ELNS1_3gpuE7ELNS1_3repE0EEENS1_30default_config_static_selectorELNS0_4arch9wavefront6targetE0EEEvT1_
                                        ; -- End function
	.set _ZN7rocprim17ROCPRIM_400000_NS6detail17trampoline_kernelINS0_14default_configENS1_25partition_config_selectorILNS1_17partition_subalgoE5EsNS0_10empty_typeEbEEZZNS1_14partition_implILS5_5ELb0ES3_mN6thrust23THRUST_200600_302600_NS6detail15normal_iteratorINSA_10device_ptrIsEEEEPS6_NSA_18transform_iteratorINSB_9not_fun_tINSA_8identityIsEEEESF_NSA_11use_defaultESM_EENS0_5tupleIJSF_S6_EEENSO_IJSG_SG_EEES6_PlJS6_EEE10hipError_tPvRmT3_T4_T5_T6_T7_T9_mT8_P12ihipStream_tbDpT10_ENKUlT_T0_E_clISt17integral_constantIbLb0EES1A_IbLb1EEEEDaS16_S17_EUlS16_E_NS1_11comp_targetILNS1_3genE3ELNS1_11target_archE908ELNS1_3gpuE7ELNS1_3repE0EEENS1_30default_config_static_selectorELNS0_4arch9wavefront6targetE0EEEvT1_.num_vgpr, 0
	.set _ZN7rocprim17ROCPRIM_400000_NS6detail17trampoline_kernelINS0_14default_configENS1_25partition_config_selectorILNS1_17partition_subalgoE5EsNS0_10empty_typeEbEEZZNS1_14partition_implILS5_5ELb0ES3_mN6thrust23THRUST_200600_302600_NS6detail15normal_iteratorINSA_10device_ptrIsEEEEPS6_NSA_18transform_iteratorINSB_9not_fun_tINSA_8identityIsEEEESF_NSA_11use_defaultESM_EENS0_5tupleIJSF_S6_EEENSO_IJSG_SG_EEES6_PlJS6_EEE10hipError_tPvRmT3_T4_T5_T6_T7_T9_mT8_P12ihipStream_tbDpT10_ENKUlT_T0_E_clISt17integral_constantIbLb0EES1A_IbLb1EEEEDaS16_S17_EUlS16_E_NS1_11comp_targetILNS1_3genE3ELNS1_11target_archE908ELNS1_3gpuE7ELNS1_3repE0EEENS1_30default_config_static_selectorELNS0_4arch9wavefront6targetE0EEEvT1_.num_agpr, 0
	.set _ZN7rocprim17ROCPRIM_400000_NS6detail17trampoline_kernelINS0_14default_configENS1_25partition_config_selectorILNS1_17partition_subalgoE5EsNS0_10empty_typeEbEEZZNS1_14partition_implILS5_5ELb0ES3_mN6thrust23THRUST_200600_302600_NS6detail15normal_iteratorINSA_10device_ptrIsEEEEPS6_NSA_18transform_iteratorINSB_9not_fun_tINSA_8identityIsEEEESF_NSA_11use_defaultESM_EENS0_5tupleIJSF_S6_EEENSO_IJSG_SG_EEES6_PlJS6_EEE10hipError_tPvRmT3_T4_T5_T6_T7_T9_mT8_P12ihipStream_tbDpT10_ENKUlT_T0_E_clISt17integral_constantIbLb0EES1A_IbLb1EEEEDaS16_S17_EUlS16_E_NS1_11comp_targetILNS1_3genE3ELNS1_11target_archE908ELNS1_3gpuE7ELNS1_3repE0EEENS1_30default_config_static_selectorELNS0_4arch9wavefront6targetE0EEEvT1_.numbered_sgpr, 0
	.set _ZN7rocprim17ROCPRIM_400000_NS6detail17trampoline_kernelINS0_14default_configENS1_25partition_config_selectorILNS1_17partition_subalgoE5EsNS0_10empty_typeEbEEZZNS1_14partition_implILS5_5ELb0ES3_mN6thrust23THRUST_200600_302600_NS6detail15normal_iteratorINSA_10device_ptrIsEEEEPS6_NSA_18transform_iteratorINSB_9not_fun_tINSA_8identityIsEEEESF_NSA_11use_defaultESM_EENS0_5tupleIJSF_S6_EEENSO_IJSG_SG_EEES6_PlJS6_EEE10hipError_tPvRmT3_T4_T5_T6_T7_T9_mT8_P12ihipStream_tbDpT10_ENKUlT_T0_E_clISt17integral_constantIbLb0EES1A_IbLb1EEEEDaS16_S17_EUlS16_E_NS1_11comp_targetILNS1_3genE3ELNS1_11target_archE908ELNS1_3gpuE7ELNS1_3repE0EEENS1_30default_config_static_selectorELNS0_4arch9wavefront6targetE0EEEvT1_.num_named_barrier, 0
	.set _ZN7rocprim17ROCPRIM_400000_NS6detail17trampoline_kernelINS0_14default_configENS1_25partition_config_selectorILNS1_17partition_subalgoE5EsNS0_10empty_typeEbEEZZNS1_14partition_implILS5_5ELb0ES3_mN6thrust23THRUST_200600_302600_NS6detail15normal_iteratorINSA_10device_ptrIsEEEEPS6_NSA_18transform_iteratorINSB_9not_fun_tINSA_8identityIsEEEESF_NSA_11use_defaultESM_EENS0_5tupleIJSF_S6_EEENSO_IJSG_SG_EEES6_PlJS6_EEE10hipError_tPvRmT3_T4_T5_T6_T7_T9_mT8_P12ihipStream_tbDpT10_ENKUlT_T0_E_clISt17integral_constantIbLb0EES1A_IbLb1EEEEDaS16_S17_EUlS16_E_NS1_11comp_targetILNS1_3genE3ELNS1_11target_archE908ELNS1_3gpuE7ELNS1_3repE0EEENS1_30default_config_static_selectorELNS0_4arch9wavefront6targetE0EEEvT1_.private_seg_size, 0
	.set _ZN7rocprim17ROCPRIM_400000_NS6detail17trampoline_kernelINS0_14default_configENS1_25partition_config_selectorILNS1_17partition_subalgoE5EsNS0_10empty_typeEbEEZZNS1_14partition_implILS5_5ELb0ES3_mN6thrust23THRUST_200600_302600_NS6detail15normal_iteratorINSA_10device_ptrIsEEEEPS6_NSA_18transform_iteratorINSB_9not_fun_tINSA_8identityIsEEEESF_NSA_11use_defaultESM_EENS0_5tupleIJSF_S6_EEENSO_IJSG_SG_EEES6_PlJS6_EEE10hipError_tPvRmT3_T4_T5_T6_T7_T9_mT8_P12ihipStream_tbDpT10_ENKUlT_T0_E_clISt17integral_constantIbLb0EES1A_IbLb1EEEEDaS16_S17_EUlS16_E_NS1_11comp_targetILNS1_3genE3ELNS1_11target_archE908ELNS1_3gpuE7ELNS1_3repE0EEENS1_30default_config_static_selectorELNS0_4arch9wavefront6targetE0EEEvT1_.uses_vcc, 0
	.set _ZN7rocprim17ROCPRIM_400000_NS6detail17trampoline_kernelINS0_14default_configENS1_25partition_config_selectorILNS1_17partition_subalgoE5EsNS0_10empty_typeEbEEZZNS1_14partition_implILS5_5ELb0ES3_mN6thrust23THRUST_200600_302600_NS6detail15normal_iteratorINSA_10device_ptrIsEEEEPS6_NSA_18transform_iteratorINSB_9not_fun_tINSA_8identityIsEEEESF_NSA_11use_defaultESM_EENS0_5tupleIJSF_S6_EEENSO_IJSG_SG_EEES6_PlJS6_EEE10hipError_tPvRmT3_T4_T5_T6_T7_T9_mT8_P12ihipStream_tbDpT10_ENKUlT_T0_E_clISt17integral_constantIbLb0EES1A_IbLb1EEEEDaS16_S17_EUlS16_E_NS1_11comp_targetILNS1_3genE3ELNS1_11target_archE908ELNS1_3gpuE7ELNS1_3repE0EEENS1_30default_config_static_selectorELNS0_4arch9wavefront6targetE0EEEvT1_.uses_flat_scratch, 0
	.set _ZN7rocprim17ROCPRIM_400000_NS6detail17trampoline_kernelINS0_14default_configENS1_25partition_config_selectorILNS1_17partition_subalgoE5EsNS0_10empty_typeEbEEZZNS1_14partition_implILS5_5ELb0ES3_mN6thrust23THRUST_200600_302600_NS6detail15normal_iteratorINSA_10device_ptrIsEEEEPS6_NSA_18transform_iteratorINSB_9not_fun_tINSA_8identityIsEEEESF_NSA_11use_defaultESM_EENS0_5tupleIJSF_S6_EEENSO_IJSG_SG_EEES6_PlJS6_EEE10hipError_tPvRmT3_T4_T5_T6_T7_T9_mT8_P12ihipStream_tbDpT10_ENKUlT_T0_E_clISt17integral_constantIbLb0EES1A_IbLb1EEEEDaS16_S17_EUlS16_E_NS1_11comp_targetILNS1_3genE3ELNS1_11target_archE908ELNS1_3gpuE7ELNS1_3repE0EEENS1_30default_config_static_selectorELNS0_4arch9wavefront6targetE0EEEvT1_.has_dyn_sized_stack, 0
	.set _ZN7rocprim17ROCPRIM_400000_NS6detail17trampoline_kernelINS0_14default_configENS1_25partition_config_selectorILNS1_17partition_subalgoE5EsNS0_10empty_typeEbEEZZNS1_14partition_implILS5_5ELb0ES3_mN6thrust23THRUST_200600_302600_NS6detail15normal_iteratorINSA_10device_ptrIsEEEEPS6_NSA_18transform_iteratorINSB_9not_fun_tINSA_8identityIsEEEESF_NSA_11use_defaultESM_EENS0_5tupleIJSF_S6_EEENSO_IJSG_SG_EEES6_PlJS6_EEE10hipError_tPvRmT3_T4_T5_T6_T7_T9_mT8_P12ihipStream_tbDpT10_ENKUlT_T0_E_clISt17integral_constantIbLb0EES1A_IbLb1EEEEDaS16_S17_EUlS16_E_NS1_11comp_targetILNS1_3genE3ELNS1_11target_archE908ELNS1_3gpuE7ELNS1_3repE0EEENS1_30default_config_static_selectorELNS0_4arch9wavefront6targetE0EEEvT1_.has_recursion, 0
	.set _ZN7rocprim17ROCPRIM_400000_NS6detail17trampoline_kernelINS0_14default_configENS1_25partition_config_selectorILNS1_17partition_subalgoE5EsNS0_10empty_typeEbEEZZNS1_14partition_implILS5_5ELb0ES3_mN6thrust23THRUST_200600_302600_NS6detail15normal_iteratorINSA_10device_ptrIsEEEEPS6_NSA_18transform_iteratorINSB_9not_fun_tINSA_8identityIsEEEESF_NSA_11use_defaultESM_EENS0_5tupleIJSF_S6_EEENSO_IJSG_SG_EEES6_PlJS6_EEE10hipError_tPvRmT3_T4_T5_T6_T7_T9_mT8_P12ihipStream_tbDpT10_ENKUlT_T0_E_clISt17integral_constantIbLb0EES1A_IbLb1EEEEDaS16_S17_EUlS16_E_NS1_11comp_targetILNS1_3genE3ELNS1_11target_archE908ELNS1_3gpuE7ELNS1_3repE0EEENS1_30default_config_static_selectorELNS0_4arch9wavefront6targetE0EEEvT1_.has_indirect_call, 0
	.section	.AMDGPU.csdata,"",@progbits
; Kernel info:
; codeLenInByte = 0
; TotalNumSgprs: 0
; NumVgprs: 0
; ScratchSize: 0
; MemoryBound: 0
; FloatMode: 240
; IeeeMode: 1
; LDSByteSize: 0 bytes/workgroup (compile time only)
; SGPRBlocks: 0
; VGPRBlocks: 0
; NumSGPRsForWavesPerEU: 1
; NumVGPRsForWavesPerEU: 1
; Occupancy: 16
; WaveLimiterHint : 0
; COMPUTE_PGM_RSRC2:SCRATCH_EN: 0
; COMPUTE_PGM_RSRC2:USER_SGPR: 2
; COMPUTE_PGM_RSRC2:TRAP_HANDLER: 0
; COMPUTE_PGM_RSRC2:TGID_X_EN: 1
; COMPUTE_PGM_RSRC2:TGID_Y_EN: 0
; COMPUTE_PGM_RSRC2:TGID_Z_EN: 0
; COMPUTE_PGM_RSRC2:TIDIG_COMP_CNT: 0
	.section	.text._ZN7rocprim17ROCPRIM_400000_NS6detail17trampoline_kernelINS0_14default_configENS1_25partition_config_selectorILNS1_17partition_subalgoE5EsNS0_10empty_typeEbEEZZNS1_14partition_implILS5_5ELb0ES3_mN6thrust23THRUST_200600_302600_NS6detail15normal_iteratorINSA_10device_ptrIsEEEEPS6_NSA_18transform_iteratorINSB_9not_fun_tINSA_8identityIsEEEESF_NSA_11use_defaultESM_EENS0_5tupleIJSF_S6_EEENSO_IJSG_SG_EEES6_PlJS6_EEE10hipError_tPvRmT3_T4_T5_T6_T7_T9_mT8_P12ihipStream_tbDpT10_ENKUlT_T0_E_clISt17integral_constantIbLb0EES1A_IbLb1EEEEDaS16_S17_EUlS16_E_NS1_11comp_targetILNS1_3genE2ELNS1_11target_archE906ELNS1_3gpuE6ELNS1_3repE0EEENS1_30default_config_static_selectorELNS0_4arch9wavefront6targetE0EEEvT1_,"axG",@progbits,_ZN7rocprim17ROCPRIM_400000_NS6detail17trampoline_kernelINS0_14default_configENS1_25partition_config_selectorILNS1_17partition_subalgoE5EsNS0_10empty_typeEbEEZZNS1_14partition_implILS5_5ELb0ES3_mN6thrust23THRUST_200600_302600_NS6detail15normal_iteratorINSA_10device_ptrIsEEEEPS6_NSA_18transform_iteratorINSB_9not_fun_tINSA_8identityIsEEEESF_NSA_11use_defaultESM_EENS0_5tupleIJSF_S6_EEENSO_IJSG_SG_EEES6_PlJS6_EEE10hipError_tPvRmT3_T4_T5_T6_T7_T9_mT8_P12ihipStream_tbDpT10_ENKUlT_T0_E_clISt17integral_constantIbLb0EES1A_IbLb1EEEEDaS16_S17_EUlS16_E_NS1_11comp_targetILNS1_3genE2ELNS1_11target_archE906ELNS1_3gpuE6ELNS1_3repE0EEENS1_30default_config_static_selectorELNS0_4arch9wavefront6targetE0EEEvT1_,comdat
	.protected	_ZN7rocprim17ROCPRIM_400000_NS6detail17trampoline_kernelINS0_14default_configENS1_25partition_config_selectorILNS1_17partition_subalgoE5EsNS0_10empty_typeEbEEZZNS1_14partition_implILS5_5ELb0ES3_mN6thrust23THRUST_200600_302600_NS6detail15normal_iteratorINSA_10device_ptrIsEEEEPS6_NSA_18transform_iteratorINSB_9not_fun_tINSA_8identityIsEEEESF_NSA_11use_defaultESM_EENS0_5tupleIJSF_S6_EEENSO_IJSG_SG_EEES6_PlJS6_EEE10hipError_tPvRmT3_T4_T5_T6_T7_T9_mT8_P12ihipStream_tbDpT10_ENKUlT_T0_E_clISt17integral_constantIbLb0EES1A_IbLb1EEEEDaS16_S17_EUlS16_E_NS1_11comp_targetILNS1_3genE2ELNS1_11target_archE906ELNS1_3gpuE6ELNS1_3repE0EEENS1_30default_config_static_selectorELNS0_4arch9wavefront6targetE0EEEvT1_ ; -- Begin function _ZN7rocprim17ROCPRIM_400000_NS6detail17trampoline_kernelINS0_14default_configENS1_25partition_config_selectorILNS1_17partition_subalgoE5EsNS0_10empty_typeEbEEZZNS1_14partition_implILS5_5ELb0ES3_mN6thrust23THRUST_200600_302600_NS6detail15normal_iteratorINSA_10device_ptrIsEEEEPS6_NSA_18transform_iteratorINSB_9not_fun_tINSA_8identityIsEEEESF_NSA_11use_defaultESM_EENS0_5tupleIJSF_S6_EEENSO_IJSG_SG_EEES6_PlJS6_EEE10hipError_tPvRmT3_T4_T5_T6_T7_T9_mT8_P12ihipStream_tbDpT10_ENKUlT_T0_E_clISt17integral_constantIbLb0EES1A_IbLb1EEEEDaS16_S17_EUlS16_E_NS1_11comp_targetILNS1_3genE2ELNS1_11target_archE906ELNS1_3gpuE6ELNS1_3repE0EEENS1_30default_config_static_selectorELNS0_4arch9wavefront6targetE0EEEvT1_
	.globl	_ZN7rocprim17ROCPRIM_400000_NS6detail17trampoline_kernelINS0_14default_configENS1_25partition_config_selectorILNS1_17partition_subalgoE5EsNS0_10empty_typeEbEEZZNS1_14partition_implILS5_5ELb0ES3_mN6thrust23THRUST_200600_302600_NS6detail15normal_iteratorINSA_10device_ptrIsEEEEPS6_NSA_18transform_iteratorINSB_9not_fun_tINSA_8identityIsEEEESF_NSA_11use_defaultESM_EENS0_5tupleIJSF_S6_EEENSO_IJSG_SG_EEES6_PlJS6_EEE10hipError_tPvRmT3_T4_T5_T6_T7_T9_mT8_P12ihipStream_tbDpT10_ENKUlT_T0_E_clISt17integral_constantIbLb0EES1A_IbLb1EEEEDaS16_S17_EUlS16_E_NS1_11comp_targetILNS1_3genE2ELNS1_11target_archE906ELNS1_3gpuE6ELNS1_3repE0EEENS1_30default_config_static_selectorELNS0_4arch9wavefront6targetE0EEEvT1_
	.p2align	8
	.type	_ZN7rocprim17ROCPRIM_400000_NS6detail17trampoline_kernelINS0_14default_configENS1_25partition_config_selectorILNS1_17partition_subalgoE5EsNS0_10empty_typeEbEEZZNS1_14partition_implILS5_5ELb0ES3_mN6thrust23THRUST_200600_302600_NS6detail15normal_iteratorINSA_10device_ptrIsEEEEPS6_NSA_18transform_iteratorINSB_9not_fun_tINSA_8identityIsEEEESF_NSA_11use_defaultESM_EENS0_5tupleIJSF_S6_EEENSO_IJSG_SG_EEES6_PlJS6_EEE10hipError_tPvRmT3_T4_T5_T6_T7_T9_mT8_P12ihipStream_tbDpT10_ENKUlT_T0_E_clISt17integral_constantIbLb0EES1A_IbLb1EEEEDaS16_S17_EUlS16_E_NS1_11comp_targetILNS1_3genE2ELNS1_11target_archE906ELNS1_3gpuE6ELNS1_3repE0EEENS1_30default_config_static_selectorELNS0_4arch9wavefront6targetE0EEEvT1_,@function
_ZN7rocprim17ROCPRIM_400000_NS6detail17trampoline_kernelINS0_14default_configENS1_25partition_config_selectorILNS1_17partition_subalgoE5EsNS0_10empty_typeEbEEZZNS1_14partition_implILS5_5ELb0ES3_mN6thrust23THRUST_200600_302600_NS6detail15normal_iteratorINSA_10device_ptrIsEEEEPS6_NSA_18transform_iteratorINSB_9not_fun_tINSA_8identityIsEEEESF_NSA_11use_defaultESM_EENS0_5tupleIJSF_S6_EEENSO_IJSG_SG_EEES6_PlJS6_EEE10hipError_tPvRmT3_T4_T5_T6_T7_T9_mT8_P12ihipStream_tbDpT10_ENKUlT_T0_E_clISt17integral_constantIbLb0EES1A_IbLb1EEEEDaS16_S17_EUlS16_E_NS1_11comp_targetILNS1_3genE2ELNS1_11target_archE906ELNS1_3gpuE6ELNS1_3repE0EEENS1_30default_config_static_selectorELNS0_4arch9wavefront6targetE0EEEvT1_: ; @_ZN7rocprim17ROCPRIM_400000_NS6detail17trampoline_kernelINS0_14default_configENS1_25partition_config_selectorILNS1_17partition_subalgoE5EsNS0_10empty_typeEbEEZZNS1_14partition_implILS5_5ELb0ES3_mN6thrust23THRUST_200600_302600_NS6detail15normal_iteratorINSA_10device_ptrIsEEEEPS6_NSA_18transform_iteratorINSB_9not_fun_tINSA_8identityIsEEEESF_NSA_11use_defaultESM_EENS0_5tupleIJSF_S6_EEENSO_IJSG_SG_EEES6_PlJS6_EEE10hipError_tPvRmT3_T4_T5_T6_T7_T9_mT8_P12ihipStream_tbDpT10_ENKUlT_T0_E_clISt17integral_constantIbLb0EES1A_IbLb1EEEEDaS16_S17_EUlS16_E_NS1_11comp_targetILNS1_3genE2ELNS1_11target_archE906ELNS1_3gpuE6ELNS1_3repE0EEENS1_30default_config_static_selectorELNS0_4arch9wavefront6targetE0EEEvT1_
; %bb.0:
	.section	.rodata,"a",@progbits
	.p2align	6, 0x0
	.amdhsa_kernel _ZN7rocprim17ROCPRIM_400000_NS6detail17trampoline_kernelINS0_14default_configENS1_25partition_config_selectorILNS1_17partition_subalgoE5EsNS0_10empty_typeEbEEZZNS1_14partition_implILS5_5ELb0ES3_mN6thrust23THRUST_200600_302600_NS6detail15normal_iteratorINSA_10device_ptrIsEEEEPS6_NSA_18transform_iteratorINSB_9not_fun_tINSA_8identityIsEEEESF_NSA_11use_defaultESM_EENS0_5tupleIJSF_S6_EEENSO_IJSG_SG_EEES6_PlJS6_EEE10hipError_tPvRmT3_T4_T5_T6_T7_T9_mT8_P12ihipStream_tbDpT10_ENKUlT_T0_E_clISt17integral_constantIbLb0EES1A_IbLb1EEEEDaS16_S17_EUlS16_E_NS1_11comp_targetILNS1_3genE2ELNS1_11target_archE906ELNS1_3gpuE6ELNS1_3repE0EEENS1_30default_config_static_selectorELNS0_4arch9wavefront6targetE0EEEvT1_
		.amdhsa_group_segment_fixed_size 0
		.amdhsa_private_segment_fixed_size 0
		.amdhsa_kernarg_size 136
		.amdhsa_user_sgpr_count 2
		.amdhsa_user_sgpr_dispatch_ptr 0
		.amdhsa_user_sgpr_queue_ptr 0
		.amdhsa_user_sgpr_kernarg_segment_ptr 1
		.amdhsa_user_sgpr_dispatch_id 0
		.amdhsa_user_sgpr_private_segment_size 0
		.amdhsa_wavefront_size32 1
		.amdhsa_uses_dynamic_stack 0
		.amdhsa_enable_private_segment 0
		.amdhsa_system_sgpr_workgroup_id_x 1
		.amdhsa_system_sgpr_workgroup_id_y 0
		.amdhsa_system_sgpr_workgroup_id_z 0
		.amdhsa_system_sgpr_workgroup_info 0
		.amdhsa_system_vgpr_workitem_id 0
		.amdhsa_next_free_vgpr 1
		.amdhsa_next_free_sgpr 1
		.amdhsa_reserve_vcc 0
		.amdhsa_float_round_mode_32 0
		.amdhsa_float_round_mode_16_64 0
		.amdhsa_float_denorm_mode_32 3
		.amdhsa_float_denorm_mode_16_64 3
		.amdhsa_fp16_overflow 0
		.amdhsa_workgroup_processor_mode 1
		.amdhsa_memory_ordered 1
		.amdhsa_forward_progress 1
		.amdhsa_inst_pref_size 0
		.amdhsa_round_robin_scheduling 0
		.amdhsa_exception_fp_ieee_invalid_op 0
		.amdhsa_exception_fp_denorm_src 0
		.amdhsa_exception_fp_ieee_div_zero 0
		.amdhsa_exception_fp_ieee_overflow 0
		.amdhsa_exception_fp_ieee_underflow 0
		.amdhsa_exception_fp_ieee_inexact 0
		.amdhsa_exception_int_div_zero 0
	.end_amdhsa_kernel
	.section	.text._ZN7rocprim17ROCPRIM_400000_NS6detail17trampoline_kernelINS0_14default_configENS1_25partition_config_selectorILNS1_17partition_subalgoE5EsNS0_10empty_typeEbEEZZNS1_14partition_implILS5_5ELb0ES3_mN6thrust23THRUST_200600_302600_NS6detail15normal_iteratorINSA_10device_ptrIsEEEEPS6_NSA_18transform_iteratorINSB_9not_fun_tINSA_8identityIsEEEESF_NSA_11use_defaultESM_EENS0_5tupleIJSF_S6_EEENSO_IJSG_SG_EEES6_PlJS6_EEE10hipError_tPvRmT3_T4_T5_T6_T7_T9_mT8_P12ihipStream_tbDpT10_ENKUlT_T0_E_clISt17integral_constantIbLb0EES1A_IbLb1EEEEDaS16_S17_EUlS16_E_NS1_11comp_targetILNS1_3genE2ELNS1_11target_archE906ELNS1_3gpuE6ELNS1_3repE0EEENS1_30default_config_static_selectorELNS0_4arch9wavefront6targetE0EEEvT1_,"axG",@progbits,_ZN7rocprim17ROCPRIM_400000_NS6detail17trampoline_kernelINS0_14default_configENS1_25partition_config_selectorILNS1_17partition_subalgoE5EsNS0_10empty_typeEbEEZZNS1_14partition_implILS5_5ELb0ES3_mN6thrust23THRUST_200600_302600_NS6detail15normal_iteratorINSA_10device_ptrIsEEEEPS6_NSA_18transform_iteratorINSB_9not_fun_tINSA_8identityIsEEEESF_NSA_11use_defaultESM_EENS0_5tupleIJSF_S6_EEENSO_IJSG_SG_EEES6_PlJS6_EEE10hipError_tPvRmT3_T4_T5_T6_T7_T9_mT8_P12ihipStream_tbDpT10_ENKUlT_T0_E_clISt17integral_constantIbLb0EES1A_IbLb1EEEEDaS16_S17_EUlS16_E_NS1_11comp_targetILNS1_3genE2ELNS1_11target_archE906ELNS1_3gpuE6ELNS1_3repE0EEENS1_30default_config_static_selectorELNS0_4arch9wavefront6targetE0EEEvT1_,comdat
.Lfunc_end1041:
	.size	_ZN7rocprim17ROCPRIM_400000_NS6detail17trampoline_kernelINS0_14default_configENS1_25partition_config_selectorILNS1_17partition_subalgoE5EsNS0_10empty_typeEbEEZZNS1_14partition_implILS5_5ELb0ES3_mN6thrust23THRUST_200600_302600_NS6detail15normal_iteratorINSA_10device_ptrIsEEEEPS6_NSA_18transform_iteratorINSB_9not_fun_tINSA_8identityIsEEEESF_NSA_11use_defaultESM_EENS0_5tupleIJSF_S6_EEENSO_IJSG_SG_EEES6_PlJS6_EEE10hipError_tPvRmT3_T4_T5_T6_T7_T9_mT8_P12ihipStream_tbDpT10_ENKUlT_T0_E_clISt17integral_constantIbLb0EES1A_IbLb1EEEEDaS16_S17_EUlS16_E_NS1_11comp_targetILNS1_3genE2ELNS1_11target_archE906ELNS1_3gpuE6ELNS1_3repE0EEENS1_30default_config_static_selectorELNS0_4arch9wavefront6targetE0EEEvT1_, .Lfunc_end1041-_ZN7rocprim17ROCPRIM_400000_NS6detail17trampoline_kernelINS0_14default_configENS1_25partition_config_selectorILNS1_17partition_subalgoE5EsNS0_10empty_typeEbEEZZNS1_14partition_implILS5_5ELb0ES3_mN6thrust23THRUST_200600_302600_NS6detail15normal_iteratorINSA_10device_ptrIsEEEEPS6_NSA_18transform_iteratorINSB_9not_fun_tINSA_8identityIsEEEESF_NSA_11use_defaultESM_EENS0_5tupleIJSF_S6_EEENSO_IJSG_SG_EEES6_PlJS6_EEE10hipError_tPvRmT3_T4_T5_T6_T7_T9_mT8_P12ihipStream_tbDpT10_ENKUlT_T0_E_clISt17integral_constantIbLb0EES1A_IbLb1EEEEDaS16_S17_EUlS16_E_NS1_11comp_targetILNS1_3genE2ELNS1_11target_archE906ELNS1_3gpuE6ELNS1_3repE0EEENS1_30default_config_static_selectorELNS0_4arch9wavefront6targetE0EEEvT1_
                                        ; -- End function
	.set _ZN7rocprim17ROCPRIM_400000_NS6detail17trampoline_kernelINS0_14default_configENS1_25partition_config_selectorILNS1_17partition_subalgoE5EsNS0_10empty_typeEbEEZZNS1_14partition_implILS5_5ELb0ES3_mN6thrust23THRUST_200600_302600_NS6detail15normal_iteratorINSA_10device_ptrIsEEEEPS6_NSA_18transform_iteratorINSB_9not_fun_tINSA_8identityIsEEEESF_NSA_11use_defaultESM_EENS0_5tupleIJSF_S6_EEENSO_IJSG_SG_EEES6_PlJS6_EEE10hipError_tPvRmT3_T4_T5_T6_T7_T9_mT8_P12ihipStream_tbDpT10_ENKUlT_T0_E_clISt17integral_constantIbLb0EES1A_IbLb1EEEEDaS16_S17_EUlS16_E_NS1_11comp_targetILNS1_3genE2ELNS1_11target_archE906ELNS1_3gpuE6ELNS1_3repE0EEENS1_30default_config_static_selectorELNS0_4arch9wavefront6targetE0EEEvT1_.num_vgpr, 0
	.set _ZN7rocprim17ROCPRIM_400000_NS6detail17trampoline_kernelINS0_14default_configENS1_25partition_config_selectorILNS1_17partition_subalgoE5EsNS0_10empty_typeEbEEZZNS1_14partition_implILS5_5ELb0ES3_mN6thrust23THRUST_200600_302600_NS6detail15normal_iteratorINSA_10device_ptrIsEEEEPS6_NSA_18transform_iteratorINSB_9not_fun_tINSA_8identityIsEEEESF_NSA_11use_defaultESM_EENS0_5tupleIJSF_S6_EEENSO_IJSG_SG_EEES6_PlJS6_EEE10hipError_tPvRmT3_T4_T5_T6_T7_T9_mT8_P12ihipStream_tbDpT10_ENKUlT_T0_E_clISt17integral_constantIbLb0EES1A_IbLb1EEEEDaS16_S17_EUlS16_E_NS1_11comp_targetILNS1_3genE2ELNS1_11target_archE906ELNS1_3gpuE6ELNS1_3repE0EEENS1_30default_config_static_selectorELNS0_4arch9wavefront6targetE0EEEvT1_.num_agpr, 0
	.set _ZN7rocprim17ROCPRIM_400000_NS6detail17trampoline_kernelINS0_14default_configENS1_25partition_config_selectorILNS1_17partition_subalgoE5EsNS0_10empty_typeEbEEZZNS1_14partition_implILS5_5ELb0ES3_mN6thrust23THRUST_200600_302600_NS6detail15normal_iteratorINSA_10device_ptrIsEEEEPS6_NSA_18transform_iteratorINSB_9not_fun_tINSA_8identityIsEEEESF_NSA_11use_defaultESM_EENS0_5tupleIJSF_S6_EEENSO_IJSG_SG_EEES6_PlJS6_EEE10hipError_tPvRmT3_T4_T5_T6_T7_T9_mT8_P12ihipStream_tbDpT10_ENKUlT_T0_E_clISt17integral_constantIbLb0EES1A_IbLb1EEEEDaS16_S17_EUlS16_E_NS1_11comp_targetILNS1_3genE2ELNS1_11target_archE906ELNS1_3gpuE6ELNS1_3repE0EEENS1_30default_config_static_selectorELNS0_4arch9wavefront6targetE0EEEvT1_.numbered_sgpr, 0
	.set _ZN7rocprim17ROCPRIM_400000_NS6detail17trampoline_kernelINS0_14default_configENS1_25partition_config_selectorILNS1_17partition_subalgoE5EsNS0_10empty_typeEbEEZZNS1_14partition_implILS5_5ELb0ES3_mN6thrust23THRUST_200600_302600_NS6detail15normal_iteratorINSA_10device_ptrIsEEEEPS6_NSA_18transform_iteratorINSB_9not_fun_tINSA_8identityIsEEEESF_NSA_11use_defaultESM_EENS0_5tupleIJSF_S6_EEENSO_IJSG_SG_EEES6_PlJS6_EEE10hipError_tPvRmT3_T4_T5_T6_T7_T9_mT8_P12ihipStream_tbDpT10_ENKUlT_T0_E_clISt17integral_constantIbLb0EES1A_IbLb1EEEEDaS16_S17_EUlS16_E_NS1_11comp_targetILNS1_3genE2ELNS1_11target_archE906ELNS1_3gpuE6ELNS1_3repE0EEENS1_30default_config_static_selectorELNS0_4arch9wavefront6targetE0EEEvT1_.num_named_barrier, 0
	.set _ZN7rocprim17ROCPRIM_400000_NS6detail17trampoline_kernelINS0_14default_configENS1_25partition_config_selectorILNS1_17partition_subalgoE5EsNS0_10empty_typeEbEEZZNS1_14partition_implILS5_5ELb0ES3_mN6thrust23THRUST_200600_302600_NS6detail15normal_iteratorINSA_10device_ptrIsEEEEPS6_NSA_18transform_iteratorINSB_9not_fun_tINSA_8identityIsEEEESF_NSA_11use_defaultESM_EENS0_5tupleIJSF_S6_EEENSO_IJSG_SG_EEES6_PlJS6_EEE10hipError_tPvRmT3_T4_T5_T6_T7_T9_mT8_P12ihipStream_tbDpT10_ENKUlT_T0_E_clISt17integral_constantIbLb0EES1A_IbLb1EEEEDaS16_S17_EUlS16_E_NS1_11comp_targetILNS1_3genE2ELNS1_11target_archE906ELNS1_3gpuE6ELNS1_3repE0EEENS1_30default_config_static_selectorELNS0_4arch9wavefront6targetE0EEEvT1_.private_seg_size, 0
	.set _ZN7rocprim17ROCPRIM_400000_NS6detail17trampoline_kernelINS0_14default_configENS1_25partition_config_selectorILNS1_17partition_subalgoE5EsNS0_10empty_typeEbEEZZNS1_14partition_implILS5_5ELb0ES3_mN6thrust23THRUST_200600_302600_NS6detail15normal_iteratorINSA_10device_ptrIsEEEEPS6_NSA_18transform_iteratorINSB_9not_fun_tINSA_8identityIsEEEESF_NSA_11use_defaultESM_EENS0_5tupleIJSF_S6_EEENSO_IJSG_SG_EEES6_PlJS6_EEE10hipError_tPvRmT3_T4_T5_T6_T7_T9_mT8_P12ihipStream_tbDpT10_ENKUlT_T0_E_clISt17integral_constantIbLb0EES1A_IbLb1EEEEDaS16_S17_EUlS16_E_NS1_11comp_targetILNS1_3genE2ELNS1_11target_archE906ELNS1_3gpuE6ELNS1_3repE0EEENS1_30default_config_static_selectorELNS0_4arch9wavefront6targetE0EEEvT1_.uses_vcc, 0
	.set _ZN7rocprim17ROCPRIM_400000_NS6detail17trampoline_kernelINS0_14default_configENS1_25partition_config_selectorILNS1_17partition_subalgoE5EsNS0_10empty_typeEbEEZZNS1_14partition_implILS5_5ELb0ES3_mN6thrust23THRUST_200600_302600_NS6detail15normal_iteratorINSA_10device_ptrIsEEEEPS6_NSA_18transform_iteratorINSB_9not_fun_tINSA_8identityIsEEEESF_NSA_11use_defaultESM_EENS0_5tupleIJSF_S6_EEENSO_IJSG_SG_EEES6_PlJS6_EEE10hipError_tPvRmT3_T4_T5_T6_T7_T9_mT8_P12ihipStream_tbDpT10_ENKUlT_T0_E_clISt17integral_constantIbLb0EES1A_IbLb1EEEEDaS16_S17_EUlS16_E_NS1_11comp_targetILNS1_3genE2ELNS1_11target_archE906ELNS1_3gpuE6ELNS1_3repE0EEENS1_30default_config_static_selectorELNS0_4arch9wavefront6targetE0EEEvT1_.uses_flat_scratch, 0
	.set _ZN7rocprim17ROCPRIM_400000_NS6detail17trampoline_kernelINS0_14default_configENS1_25partition_config_selectorILNS1_17partition_subalgoE5EsNS0_10empty_typeEbEEZZNS1_14partition_implILS5_5ELb0ES3_mN6thrust23THRUST_200600_302600_NS6detail15normal_iteratorINSA_10device_ptrIsEEEEPS6_NSA_18transform_iteratorINSB_9not_fun_tINSA_8identityIsEEEESF_NSA_11use_defaultESM_EENS0_5tupleIJSF_S6_EEENSO_IJSG_SG_EEES6_PlJS6_EEE10hipError_tPvRmT3_T4_T5_T6_T7_T9_mT8_P12ihipStream_tbDpT10_ENKUlT_T0_E_clISt17integral_constantIbLb0EES1A_IbLb1EEEEDaS16_S17_EUlS16_E_NS1_11comp_targetILNS1_3genE2ELNS1_11target_archE906ELNS1_3gpuE6ELNS1_3repE0EEENS1_30default_config_static_selectorELNS0_4arch9wavefront6targetE0EEEvT1_.has_dyn_sized_stack, 0
	.set _ZN7rocprim17ROCPRIM_400000_NS6detail17trampoline_kernelINS0_14default_configENS1_25partition_config_selectorILNS1_17partition_subalgoE5EsNS0_10empty_typeEbEEZZNS1_14partition_implILS5_5ELb0ES3_mN6thrust23THRUST_200600_302600_NS6detail15normal_iteratorINSA_10device_ptrIsEEEEPS6_NSA_18transform_iteratorINSB_9not_fun_tINSA_8identityIsEEEESF_NSA_11use_defaultESM_EENS0_5tupleIJSF_S6_EEENSO_IJSG_SG_EEES6_PlJS6_EEE10hipError_tPvRmT3_T4_T5_T6_T7_T9_mT8_P12ihipStream_tbDpT10_ENKUlT_T0_E_clISt17integral_constantIbLb0EES1A_IbLb1EEEEDaS16_S17_EUlS16_E_NS1_11comp_targetILNS1_3genE2ELNS1_11target_archE906ELNS1_3gpuE6ELNS1_3repE0EEENS1_30default_config_static_selectorELNS0_4arch9wavefront6targetE0EEEvT1_.has_recursion, 0
	.set _ZN7rocprim17ROCPRIM_400000_NS6detail17trampoline_kernelINS0_14default_configENS1_25partition_config_selectorILNS1_17partition_subalgoE5EsNS0_10empty_typeEbEEZZNS1_14partition_implILS5_5ELb0ES3_mN6thrust23THRUST_200600_302600_NS6detail15normal_iteratorINSA_10device_ptrIsEEEEPS6_NSA_18transform_iteratorINSB_9not_fun_tINSA_8identityIsEEEESF_NSA_11use_defaultESM_EENS0_5tupleIJSF_S6_EEENSO_IJSG_SG_EEES6_PlJS6_EEE10hipError_tPvRmT3_T4_T5_T6_T7_T9_mT8_P12ihipStream_tbDpT10_ENKUlT_T0_E_clISt17integral_constantIbLb0EES1A_IbLb1EEEEDaS16_S17_EUlS16_E_NS1_11comp_targetILNS1_3genE2ELNS1_11target_archE906ELNS1_3gpuE6ELNS1_3repE0EEENS1_30default_config_static_selectorELNS0_4arch9wavefront6targetE0EEEvT1_.has_indirect_call, 0
	.section	.AMDGPU.csdata,"",@progbits
; Kernel info:
; codeLenInByte = 0
; TotalNumSgprs: 0
; NumVgprs: 0
; ScratchSize: 0
; MemoryBound: 0
; FloatMode: 240
; IeeeMode: 1
; LDSByteSize: 0 bytes/workgroup (compile time only)
; SGPRBlocks: 0
; VGPRBlocks: 0
; NumSGPRsForWavesPerEU: 1
; NumVGPRsForWavesPerEU: 1
; Occupancy: 16
; WaveLimiterHint : 0
; COMPUTE_PGM_RSRC2:SCRATCH_EN: 0
; COMPUTE_PGM_RSRC2:USER_SGPR: 2
; COMPUTE_PGM_RSRC2:TRAP_HANDLER: 0
; COMPUTE_PGM_RSRC2:TGID_X_EN: 1
; COMPUTE_PGM_RSRC2:TGID_Y_EN: 0
; COMPUTE_PGM_RSRC2:TGID_Z_EN: 0
; COMPUTE_PGM_RSRC2:TIDIG_COMP_CNT: 0
	.section	.text._ZN7rocprim17ROCPRIM_400000_NS6detail17trampoline_kernelINS0_14default_configENS1_25partition_config_selectorILNS1_17partition_subalgoE5EsNS0_10empty_typeEbEEZZNS1_14partition_implILS5_5ELb0ES3_mN6thrust23THRUST_200600_302600_NS6detail15normal_iteratorINSA_10device_ptrIsEEEEPS6_NSA_18transform_iteratorINSB_9not_fun_tINSA_8identityIsEEEESF_NSA_11use_defaultESM_EENS0_5tupleIJSF_S6_EEENSO_IJSG_SG_EEES6_PlJS6_EEE10hipError_tPvRmT3_T4_T5_T6_T7_T9_mT8_P12ihipStream_tbDpT10_ENKUlT_T0_E_clISt17integral_constantIbLb0EES1A_IbLb1EEEEDaS16_S17_EUlS16_E_NS1_11comp_targetILNS1_3genE10ELNS1_11target_archE1200ELNS1_3gpuE4ELNS1_3repE0EEENS1_30default_config_static_selectorELNS0_4arch9wavefront6targetE0EEEvT1_,"axG",@progbits,_ZN7rocprim17ROCPRIM_400000_NS6detail17trampoline_kernelINS0_14default_configENS1_25partition_config_selectorILNS1_17partition_subalgoE5EsNS0_10empty_typeEbEEZZNS1_14partition_implILS5_5ELb0ES3_mN6thrust23THRUST_200600_302600_NS6detail15normal_iteratorINSA_10device_ptrIsEEEEPS6_NSA_18transform_iteratorINSB_9not_fun_tINSA_8identityIsEEEESF_NSA_11use_defaultESM_EENS0_5tupleIJSF_S6_EEENSO_IJSG_SG_EEES6_PlJS6_EEE10hipError_tPvRmT3_T4_T5_T6_T7_T9_mT8_P12ihipStream_tbDpT10_ENKUlT_T0_E_clISt17integral_constantIbLb0EES1A_IbLb1EEEEDaS16_S17_EUlS16_E_NS1_11comp_targetILNS1_3genE10ELNS1_11target_archE1200ELNS1_3gpuE4ELNS1_3repE0EEENS1_30default_config_static_selectorELNS0_4arch9wavefront6targetE0EEEvT1_,comdat
	.protected	_ZN7rocprim17ROCPRIM_400000_NS6detail17trampoline_kernelINS0_14default_configENS1_25partition_config_selectorILNS1_17partition_subalgoE5EsNS0_10empty_typeEbEEZZNS1_14partition_implILS5_5ELb0ES3_mN6thrust23THRUST_200600_302600_NS6detail15normal_iteratorINSA_10device_ptrIsEEEEPS6_NSA_18transform_iteratorINSB_9not_fun_tINSA_8identityIsEEEESF_NSA_11use_defaultESM_EENS0_5tupleIJSF_S6_EEENSO_IJSG_SG_EEES6_PlJS6_EEE10hipError_tPvRmT3_T4_T5_T6_T7_T9_mT8_P12ihipStream_tbDpT10_ENKUlT_T0_E_clISt17integral_constantIbLb0EES1A_IbLb1EEEEDaS16_S17_EUlS16_E_NS1_11comp_targetILNS1_3genE10ELNS1_11target_archE1200ELNS1_3gpuE4ELNS1_3repE0EEENS1_30default_config_static_selectorELNS0_4arch9wavefront6targetE0EEEvT1_ ; -- Begin function _ZN7rocprim17ROCPRIM_400000_NS6detail17trampoline_kernelINS0_14default_configENS1_25partition_config_selectorILNS1_17partition_subalgoE5EsNS0_10empty_typeEbEEZZNS1_14partition_implILS5_5ELb0ES3_mN6thrust23THRUST_200600_302600_NS6detail15normal_iteratorINSA_10device_ptrIsEEEEPS6_NSA_18transform_iteratorINSB_9not_fun_tINSA_8identityIsEEEESF_NSA_11use_defaultESM_EENS0_5tupleIJSF_S6_EEENSO_IJSG_SG_EEES6_PlJS6_EEE10hipError_tPvRmT3_T4_T5_T6_T7_T9_mT8_P12ihipStream_tbDpT10_ENKUlT_T0_E_clISt17integral_constantIbLb0EES1A_IbLb1EEEEDaS16_S17_EUlS16_E_NS1_11comp_targetILNS1_3genE10ELNS1_11target_archE1200ELNS1_3gpuE4ELNS1_3repE0EEENS1_30default_config_static_selectorELNS0_4arch9wavefront6targetE0EEEvT1_
	.globl	_ZN7rocprim17ROCPRIM_400000_NS6detail17trampoline_kernelINS0_14default_configENS1_25partition_config_selectorILNS1_17partition_subalgoE5EsNS0_10empty_typeEbEEZZNS1_14partition_implILS5_5ELb0ES3_mN6thrust23THRUST_200600_302600_NS6detail15normal_iteratorINSA_10device_ptrIsEEEEPS6_NSA_18transform_iteratorINSB_9not_fun_tINSA_8identityIsEEEESF_NSA_11use_defaultESM_EENS0_5tupleIJSF_S6_EEENSO_IJSG_SG_EEES6_PlJS6_EEE10hipError_tPvRmT3_T4_T5_T6_T7_T9_mT8_P12ihipStream_tbDpT10_ENKUlT_T0_E_clISt17integral_constantIbLb0EES1A_IbLb1EEEEDaS16_S17_EUlS16_E_NS1_11comp_targetILNS1_3genE10ELNS1_11target_archE1200ELNS1_3gpuE4ELNS1_3repE0EEENS1_30default_config_static_selectorELNS0_4arch9wavefront6targetE0EEEvT1_
	.p2align	8
	.type	_ZN7rocprim17ROCPRIM_400000_NS6detail17trampoline_kernelINS0_14default_configENS1_25partition_config_selectorILNS1_17partition_subalgoE5EsNS0_10empty_typeEbEEZZNS1_14partition_implILS5_5ELb0ES3_mN6thrust23THRUST_200600_302600_NS6detail15normal_iteratorINSA_10device_ptrIsEEEEPS6_NSA_18transform_iteratorINSB_9not_fun_tINSA_8identityIsEEEESF_NSA_11use_defaultESM_EENS0_5tupleIJSF_S6_EEENSO_IJSG_SG_EEES6_PlJS6_EEE10hipError_tPvRmT3_T4_T5_T6_T7_T9_mT8_P12ihipStream_tbDpT10_ENKUlT_T0_E_clISt17integral_constantIbLb0EES1A_IbLb1EEEEDaS16_S17_EUlS16_E_NS1_11comp_targetILNS1_3genE10ELNS1_11target_archE1200ELNS1_3gpuE4ELNS1_3repE0EEENS1_30default_config_static_selectorELNS0_4arch9wavefront6targetE0EEEvT1_,@function
_ZN7rocprim17ROCPRIM_400000_NS6detail17trampoline_kernelINS0_14default_configENS1_25partition_config_selectorILNS1_17partition_subalgoE5EsNS0_10empty_typeEbEEZZNS1_14partition_implILS5_5ELb0ES3_mN6thrust23THRUST_200600_302600_NS6detail15normal_iteratorINSA_10device_ptrIsEEEEPS6_NSA_18transform_iteratorINSB_9not_fun_tINSA_8identityIsEEEESF_NSA_11use_defaultESM_EENS0_5tupleIJSF_S6_EEENSO_IJSG_SG_EEES6_PlJS6_EEE10hipError_tPvRmT3_T4_T5_T6_T7_T9_mT8_P12ihipStream_tbDpT10_ENKUlT_T0_E_clISt17integral_constantIbLb0EES1A_IbLb1EEEEDaS16_S17_EUlS16_E_NS1_11comp_targetILNS1_3genE10ELNS1_11target_archE1200ELNS1_3gpuE4ELNS1_3repE0EEENS1_30default_config_static_selectorELNS0_4arch9wavefront6targetE0EEEvT1_: ; @_ZN7rocprim17ROCPRIM_400000_NS6detail17trampoline_kernelINS0_14default_configENS1_25partition_config_selectorILNS1_17partition_subalgoE5EsNS0_10empty_typeEbEEZZNS1_14partition_implILS5_5ELb0ES3_mN6thrust23THRUST_200600_302600_NS6detail15normal_iteratorINSA_10device_ptrIsEEEEPS6_NSA_18transform_iteratorINSB_9not_fun_tINSA_8identityIsEEEESF_NSA_11use_defaultESM_EENS0_5tupleIJSF_S6_EEENSO_IJSG_SG_EEES6_PlJS6_EEE10hipError_tPvRmT3_T4_T5_T6_T7_T9_mT8_P12ihipStream_tbDpT10_ENKUlT_T0_E_clISt17integral_constantIbLb0EES1A_IbLb1EEEEDaS16_S17_EUlS16_E_NS1_11comp_targetILNS1_3genE10ELNS1_11target_archE1200ELNS1_3gpuE4ELNS1_3repE0EEENS1_30default_config_static_selectorELNS0_4arch9wavefront6targetE0EEEvT1_
; %bb.0:
	s_clause 0x3
	s_load_b64 s[12:13], s[0:1], 0x30
	s_load_b128 s[4:7], s[0:1], 0x48
	s_load_b64 s[18:19], s[0:1], 0x58
	s_load_b64 s[14:15], s[0:1], 0x68
	v_cmp_eq_u32_e64 s2, 0, v0
	s_and_saveexec_b32 s3, s2
	s_cbranch_execz .LBB1042_4
; %bb.1:
	s_mov_b32 s9, exec_lo
	s_mov_b32 s8, exec_lo
	v_mbcnt_lo_u32_b32 v1, s9, 0
                                        ; implicit-def: $vgpr2
	s_delay_alu instid0(VALU_DEP_1)
	v_cmpx_eq_u32_e32 0, v1
	s_cbranch_execz .LBB1042_3
; %bb.2:
	s_load_b64 s[10:11], s[0:1], 0x78
	s_bcnt1_i32_b32 s9, s9
	s_wait_alu 0xfffe
	v_dual_mov_b32 v2, 0 :: v_dual_mov_b32 v3, s9
	s_wait_kmcnt 0x0
	global_atomic_add_u32 v2, v2, v3, s[10:11] th:TH_ATOMIC_RETURN scope:SCOPE_DEV
.LBB1042_3:
	s_or_b32 exec_lo, exec_lo, s8
	s_wait_loadcnt 0x0
	v_readfirstlane_b32 s8, v2
	s_wait_alu 0xf1ff
	s_delay_alu instid0(VALU_DEP_1)
	v_dual_mov_b32 v2, 0 :: v_dual_add_nc_u32 v1, s8, v1
	ds_store_b32 v2, v1
.LBB1042_4:
	s_or_b32 exec_lo, exec_lo, s3
	v_mov_b32_e32 v1, 0
	s_clause 0x2
	s_load_b128 s[8:11], s[0:1], 0x8
	s_load_b64 s[16:17], s[0:1], 0x20
	s_load_b32 s0, s[0:1], 0x70
	s_wait_dscnt 0x0
	s_barrier_signal -1
	s_barrier_wait -1
	global_inv scope:SCOPE_SE
	ds_load_b32 v2, v1
	s_wait_loadcnt_dscnt 0x0
	s_barrier_signal -1
	s_barrier_wait -1
	global_inv scope:SCOPE_SE
	s_wait_kmcnt 0x0
	global_load_b64 v[41:42], v1, s[6:7]
	v_lshlrev_b32_e32 v9, 1, v0
	s_lshl_b64 s[6:7], s[10:11], 1
	s_delay_alu instid0(SALU_CYCLE_1)
	s_add_nc_u64 s[22:23], s[8:9], s[6:7]
	s_mul_i32 s8, s0, 0xc00
	s_mov_b32 s9, 0
	s_wait_alu 0xfffe
	s_add_co_i32 s3, s8, s10
	s_add_co_i32 s21, s0, -1
	v_readfirstlane_b32 s20, v2
	s_add_nc_u64 s[0:1], s[10:11], s[8:9]
	s_sub_co_i32 s3, s18, s3
	v_cmp_le_u64_e64 s0, s[18:19], s[0:1]
	s_addk_co_i32 s3, 0xc00
	s_cmp_eq_u32 s20, s21
	s_mul_i32 s8, s20, 0xc00
	s_cselect_b32 s18, -1, 0
	s_wait_alu 0xfffe
	s_lshl_b64 s[8:9], s[8:9], 1
	s_and_b32 s0, s0, s18
	s_mov_b32 s1, -1
	s_wait_alu 0xfffe
	s_xor_b32 s19, s0, -1
	s_add_nc_u64 s[10:11], s[22:23], s[8:9]
	s_wait_alu 0xfffe
	s_and_b32 vcc_lo, exec_lo, s19
	s_cbranch_vccz .LBB1042_6
; %bb.5:
	v_add_co_u32 v1, s0, s10, v9
	s_wait_alu 0xf1ff
	v_add_co_ci_u32_e64 v2, null, s11, 0, s0
	s_mov_b32 s1, 0
	s_clause 0xb
	flat_load_u16 v3, v[1:2]
	flat_load_u16 v4, v[1:2] offset:512
	flat_load_u16 v5, v[1:2] offset:1024
	;; [unrolled: 1-line block ×11, first 2 shown]
	s_wait_loadcnt_dscnt 0xb0b
	ds_store_b16 v9, v3
	s_wait_loadcnt_dscnt 0xa0b
	ds_store_b16 v9, v4 offset:512
	s_wait_loadcnt_dscnt 0x90b
	ds_store_b16 v9, v5 offset:1024
	;; [unrolled: 2-line block ×11, first 2 shown]
	s_wait_dscnt 0x0
	s_barrier_signal -1
	s_barrier_wait -1
.LBB1042_6:
	v_cmp_gt_u32_e64 s0, s3, v0
	s_wait_alu 0xfffe
	s_and_not1_b32 vcc_lo, exec_lo, s1
	s_cbranch_vccnz .LBB1042_32
; %bb.7:
	v_mov_b32_e32 v1, 0
	s_delay_alu instid0(VALU_DEP_1)
	v_dual_mov_b32 v2, v1 :: v_dual_mov_b32 v3, v1
	v_dual_mov_b32 v4, v1 :: v_dual_mov_b32 v5, v1
	v_mov_b32_e32 v6, v1
	s_and_saveexec_b32 s1, s0
	s_cbranch_execz .LBB1042_9
; %bb.8:
	v_add_co_u32 v3, s0, s10, v9
	s_wait_alu 0xf1ff
	v_add_co_ci_u32_e64 v4, null, s11, 0, s0
	v_mov_b32_e32 v2, v1
	v_dual_mov_b32 v6, v1 :: v_dual_mov_b32 v7, v1
	v_mov_b32_e32 v5, v1
	flat_load_d16_b16 v2, v[3:4]
	v_dual_mov_b32 v3, v1 :: v_dual_mov_b32 v4, v1
	s_wait_loadcnt_dscnt 0x0
	v_mov_b32_e32 v1, v2
	s_delay_alu instid0(VALU_DEP_2) | instskip(NEXT) | instid1(VALU_DEP_3)
	v_mov_b32_e32 v2, v3
	v_mov_b32_e32 v3, v4
	;; [unrolled: 1-line block ×7, first 2 shown]
.LBB1042_9:
	s_wait_alu 0xfffe
	s_or_b32 exec_lo, exec_lo, s1
	v_or_b32_e32 v7, 0x100, v0
	s_mov_b32 s0, exec_lo
	s_delay_alu instid0(VALU_DEP_1)
	v_cmpx_gt_u32_e64 s3, v7
	s_cbranch_execz .LBB1042_11
; %bb.10:
	v_add_co_u32 v7, s1, s10, v9
	s_wait_alu 0xf1ff
	v_add_co_ci_u32_e64 v8, null, s11, 0, s1
	flat_load_d16_hi_b16 v1, v[7:8] offset:512
.LBB1042_11:
	s_wait_alu 0xfffe
	s_or_b32 exec_lo, exec_lo, s0
	v_or_b32_e32 v7, 0x200, v0
	s_mov_b32 s0, exec_lo
	s_delay_alu instid0(VALU_DEP_1)
	v_cmpx_gt_u32_e64 s3, v7
	s_cbranch_execz .LBB1042_13
; %bb.12:
	v_add_co_u32 v7, s1, s10, v9
	s_wait_alu 0xf1ff
	v_add_co_ci_u32_e64 v8, null, s11, 0, s1
	flat_load_d16_b16 v2, v[7:8] offset:1024
.LBB1042_13:
	s_wait_alu 0xfffe
	s_or_b32 exec_lo, exec_lo, s0
	v_or_b32_e32 v7, 0x300, v0
	s_mov_b32 s0, exec_lo
	s_delay_alu instid0(VALU_DEP_1)
	v_cmpx_gt_u32_e64 s3, v7
	s_cbranch_execz .LBB1042_15
; %bb.14:
	v_add_co_u32 v7, s1, s10, v9
	s_wait_alu 0xf1ff
	v_add_co_ci_u32_e64 v8, null, s11, 0, s1
	s_wait_loadcnt_dscnt 0x0
	flat_load_d16_hi_b16 v2, v[7:8] offset:1536
.LBB1042_15:
	s_wait_alu 0xfffe
	s_or_b32 exec_lo, exec_lo, s0
	v_or_b32_e32 v7, 0x400, v0
	s_mov_b32 s0, exec_lo
	s_delay_alu instid0(VALU_DEP_1)
	v_cmpx_gt_u32_e64 s3, v7
	s_cbranch_execz .LBB1042_17
; %bb.16:
	v_add_co_u32 v7, s1, s10, v9
	s_wait_alu 0xf1ff
	v_add_co_ci_u32_e64 v8, null, s11, 0, s1
	flat_load_d16_b16 v3, v[7:8] offset:2048
.LBB1042_17:
	s_wait_alu 0xfffe
	s_or_b32 exec_lo, exec_lo, s0
	v_or_b32_e32 v7, 0x500, v0
	s_mov_b32 s0, exec_lo
	s_delay_alu instid0(VALU_DEP_1)
	v_cmpx_gt_u32_e64 s3, v7
	s_cbranch_execz .LBB1042_19
; %bb.18:
	v_add_co_u32 v7, s1, s10, v9
	s_wait_alu 0xf1ff
	v_add_co_ci_u32_e64 v8, null, s11, 0, s1
	s_wait_loadcnt_dscnt 0x0
	flat_load_d16_hi_b16 v3, v[7:8] offset:2560
.LBB1042_19:
	s_wait_alu 0xfffe
	s_or_b32 exec_lo, exec_lo, s0
	v_or_b32_e32 v7, 0x600, v0
	s_mov_b32 s0, exec_lo
	s_delay_alu instid0(VALU_DEP_1)
	v_cmpx_gt_u32_e64 s3, v7
	s_cbranch_execz .LBB1042_21
; %bb.20:
	v_add_co_u32 v7, s1, s10, v9
	s_wait_alu 0xf1ff
	v_add_co_ci_u32_e64 v8, null, s11, 0, s1
	flat_load_d16_b16 v4, v[7:8] offset:3072
.LBB1042_21:
	s_wait_alu 0xfffe
	s_or_b32 exec_lo, exec_lo, s0
	v_or_b32_e32 v7, 0x700, v0
	s_mov_b32 s0, exec_lo
	s_delay_alu instid0(VALU_DEP_1)
	v_cmpx_gt_u32_e64 s3, v7
	s_cbranch_execz .LBB1042_23
; %bb.22:
	v_add_co_u32 v7, s1, s10, v9
	s_wait_alu 0xf1ff
	v_add_co_ci_u32_e64 v8, null, s11, 0, s1
	s_wait_loadcnt_dscnt 0x0
	flat_load_d16_hi_b16 v4, v[7:8] offset:3584
.LBB1042_23:
	s_wait_alu 0xfffe
	s_or_b32 exec_lo, exec_lo, s0
	v_or_b32_e32 v7, 0x800, v0
	s_mov_b32 s0, exec_lo
	s_delay_alu instid0(VALU_DEP_1)
	v_cmpx_gt_u32_e64 s3, v7
	s_cbranch_execz .LBB1042_25
; %bb.24:
	v_add_co_u32 v7, s1, s10, v9
	s_wait_alu 0xf1ff
	v_add_co_ci_u32_e64 v8, null, s11, 0, s1
	flat_load_d16_b16 v5, v[7:8] offset:4096
.LBB1042_25:
	s_wait_alu 0xfffe
	s_or_b32 exec_lo, exec_lo, s0
	v_or_b32_e32 v7, 0x900, v0
	s_mov_b32 s0, exec_lo
	s_delay_alu instid0(VALU_DEP_1)
	v_cmpx_gt_u32_e64 s3, v7
	s_cbranch_execz .LBB1042_27
; %bb.26:
	v_add_co_u32 v7, s1, s10, v9
	s_wait_alu 0xf1ff
	v_add_co_ci_u32_e64 v8, null, s11, 0, s1
	s_wait_loadcnt_dscnt 0x0
	flat_load_d16_hi_b16 v5, v[7:8] offset:4608
.LBB1042_27:
	s_wait_alu 0xfffe
	s_or_b32 exec_lo, exec_lo, s0
	v_or_b32_e32 v7, 0xa00, v0
	s_mov_b32 s0, exec_lo
	s_delay_alu instid0(VALU_DEP_1)
	v_cmpx_gt_u32_e64 s3, v7
	s_cbranch_execz .LBB1042_29
; %bb.28:
	v_add_co_u32 v7, s1, s10, v9
	s_wait_alu 0xf1ff
	v_add_co_ci_u32_e64 v8, null, s11, 0, s1
	flat_load_d16_b16 v6, v[7:8] offset:5120
.LBB1042_29:
	s_wait_alu 0xfffe
	s_or_b32 exec_lo, exec_lo, s0
	v_or_b32_e32 v7, 0xb00, v0
	s_mov_b32 s0, exec_lo
	s_delay_alu instid0(VALU_DEP_1)
	v_cmpx_gt_u32_e64 s3, v7
	s_cbranch_execz .LBB1042_31
; %bb.30:
	v_add_co_u32 v7, s1, s10, v9
	s_wait_alu 0xf1ff
	v_add_co_ci_u32_e64 v8, null, s11, 0, s1
	s_wait_loadcnt_dscnt 0x0
	flat_load_d16_hi_b16 v6, v[7:8] offset:5632
.LBB1042_31:
	s_wait_alu 0xfffe
	s_or_b32 exec_lo, exec_lo, s0
	s_wait_loadcnt_dscnt 0x0
	ds_store_b16 v9, v1
	ds_store_b16_d16_hi v9, v1 offset:512
	ds_store_b16 v9, v2 offset:1024
	ds_store_b16_d16_hi v9, v2 offset:1536
	ds_store_b16 v9, v3 offset:2048
	;; [unrolled: 2-line block ×5, first 2 shown]
	ds_store_b16_d16_hi v9, v6 offset:5632
	s_wait_dscnt 0x0
	s_barrier_signal -1
	s_barrier_wait -1
.LBB1042_32:
	v_mul_u32_u24_e32 v53, 12, v0
	s_wait_loadcnt 0x0
	global_inv scope:SCOPE_SE
	s_add_nc_u64 s[0:1], s[16:17], s[6:7]
	s_and_b32 vcc_lo, exec_lo, s19
	s_wait_alu 0xfffe
	s_add_nc_u64 s[0:1], s[0:1], s[8:9]
	v_lshlrev_b32_e32 v1, 1, v53
	s_mov_b32 s6, -1
	ds_load_2addr_b64 v[33:36], v1 offset1:1
	ds_load_b64 v[43:44], v1 offset:16
	s_wait_loadcnt_dscnt 0x0
	s_barrier_signal -1
	s_barrier_wait -1
	global_inv scope:SCOPE_SE
	s_cbranch_vccz .LBB1042_34
; %bb.33:
	s_clause 0xb
	global_load_u16 v1, v9, s[0:1]
	global_load_u16 v2, v9, s[0:1] offset:512
	global_load_u16 v3, v9, s[0:1] offset:1024
	;; [unrolled: 1-line block ×11, first 2 shown]
	s_mov_b32 s6, 0
	s_wait_loadcnt 0xb
	v_cmp_eq_u16_e32 vcc_lo, 0, v1
	v_cndmask_b32_e64 v1, 0, 1, vcc_lo
	s_wait_loadcnt 0xa
	v_cmp_eq_u16_e32 vcc_lo, 0, v2
	s_wait_alu 0xfffd
	v_cndmask_b32_e64 v2, 0, 1, vcc_lo
	s_wait_loadcnt 0x9
	v_cmp_eq_u16_e32 vcc_lo, 0, v3
	s_wait_alu 0xfffd
	;; [unrolled: 4-line block ×11, first 2 shown]
	v_cndmask_b32_e64 v13, 0, 1, vcc_lo
	ds_store_b8 v0, v1
	ds_store_b8 v0, v2 offset:256
	ds_store_b8 v0, v3 offset:512
	;; [unrolled: 1-line block ×11, first 2 shown]
	s_wait_dscnt 0x0
	s_barrier_signal -1
	s_barrier_wait -1
.LBB1042_34:
	s_and_not1_b32 vcc_lo, exec_lo, s6
	s_wait_alu 0xfffe
	s_cbranch_vccnz .LBB1042_60
; %bb.35:
	v_mov_b32_e32 v3, 0
	s_mov_b32 s6, exec_lo
	s_delay_alu instid0(VALU_DEP_1)
	v_dual_mov_b32 v1, v3 :: v_dual_mov_b32 v2, v3
	v_mov_b32_e32 v4, v3
	v_cmpx_gt_u32_e64 s3, v0
	s_cbranch_execz .LBB1042_37
; %bb.36:
	global_load_u16 v1, v9, s[0:1]
	s_wait_loadcnt 0x0
	v_cmp_eq_u16_e32 vcc_lo, 0, v1
	v_mov_b32_e32 v1, 0
	s_wait_alu 0xfffd
	v_cndmask_b32_e64 v4, 0, 1, vcc_lo
	s_delay_alu instid0(VALU_DEP_1)
	v_dual_mov_b32 v2, v1 :: v_dual_and_b32 v3, 0xffff, v4
.LBB1042_37:
	s_or_b32 exec_lo, exec_lo, s6
	v_or_b32_e32 v5, 0x100, v0
	s_mov_b32 s6, exec_lo
	s_delay_alu instid0(VALU_DEP_1)
	v_cmpx_gt_u32_e64 s3, v5
	s_cbranch_execz .LBB1042_39
; %bb.38:
	global_load_u16 v5, v9, s[0:1] offset:512
	v_and_b32_e32 v6, 0xff, v3
	s_wait_loadcnt 0x0
	v_cmp_eq_u16_e32 vcc_lo, 0, v5
	s_wait_alu 0xfffd
	v_cndmask_b32_e64 v5, 0, 1, vcc_lo
	s_delay_alu instid0(VALU_DEP_1) | instskip(NEXT) | instid1(VALU_DEP_1)
	v_lshlrev_b16 v5, 8, v5
	v_or_b32_e32 v5, v6, v5
	s_delay_alu instid0(VALU_DEP_1) | instskip(NEXT) | instid1(VALU_DEP_1)
	v_and_b32_e32 v5, 0xffff, v5
	v_and_or_b32 v3, 0xffff0000, v3, v5
.LBB1042_39:
	s_or_b32 exec_lo, exec_lo, s6
	v_or_b32_e32 v5, 0x200, v0
	s_mov_b32 s6, exec_lo
	s_delay_alu instid0(VALU_DEP_1)
	v_cmpx_gt_u32_e64 s3, v5
	s_cbranch_execz .LBB1042_41
; %bb.40:
	global_load_u16 v5, v9, s[0:1] offset:1024
	v_lshrrev_b32_e32 v6, 16, v3
	s_delay_alu instid0(VALU_DEP_1) | instskip(SKIP_4) | instid1(VALU_DEP_1)
	v_and_b32_e32 v6, 0xffffff00, v6
	s_wait_loadcnt 0x0
	v_cmp_eq_u16_e32 vcc_lo, 0, v5
	s_wait_alu 0xfffd
	v_cndmask_b32_e64 v5, 0, 1, vcc_lo
	v_or_b32_e32 v5, v5, v6
	s_delay_alu instid0(VALU_DEP_1) | instskip(NEXT) | instid1(VALU_DEP_1)
	v_lshlrev_b32_e32 v5, 16, v5
	v_and_or_b32 v3, 0xffff, v3, v5
.LBB1042_41:
	s_or_b32 exec_lo, exec_lo, s6
	v_or_b32_e32 v5, 0x300, v0
	s_mov_b32 s6, exec_lo
	s_delay_alu instid0(VALU_DEP_1)
	v_cmpx_gt_u32_e64 s3, v5
	s_cbranch_execz .LBB1042_43
; %bb.42:
	global_load_u16 v5, v9, s[0:1] offset:1536
	v_lshrrev_b32_e32 v6, 16, v3
	s_delay_alu instid0(VALU_DEP_1) | instskip(SKIP_4) | instid1(VALU_DEP_1)
	v_and_b32_e32 v6, 0xff, v6
	s_wait_loadcnt 0x0
	v_cmp_eq_u16_e32 vcc_lo, 0, v5
	s_wait_alu 0xfffd
	v_cndmask_b32_e64 v5, 0, 1, vcc_lo
	v_lshlrev_b16 v5, 8, v5
	s_delay_alu instid0(VALU_DEP_1) | instskip(NEXT) | instid1(VALU_DEP_1)
	v_or_b32_e32 v5, v6, v5
	v_lshlrev_b32_e32 v5, 16, v5
	s_delay_alu instid0(VALU_DEP_1)
	v_and_or_b32 v3, 0xffff, v3, v5
.LBB1042_43:
	s_or_b32 exec_lo, exec_lo, s6
	v_or_b32_e32 v5, 0x400, v0
	s_mov_b32 s6, exec_lo
	s_delay_alu instid0(VALU_DEP_1)
	v_cmpx_gt_u32_e64 s3, v5
	s_cbranch_execz .LBB1042_45
; %bb.44:
	global_load_u16 v5, v9, s[0:1] offset:2048
	v_and_b32_e32 v6, 0xffffff00, v1
	s_wait_loadcnt 0x0
	v_cmp_eq_u16_e32 vcc_lo, 0, v5
	s_wait_alu 0xfffd
	v_cndmask_b32_e64 v5, 0, 1, vcc_lo
	s_delay_alu instid0(VALU_DEP_1) | instskip(NEXT) | instid1(VALU_DEP_1)
	v_or_b32_e32 v5, v5, v6
	v_and_b32_e32 v5, 0xffff, v5
	s_delay_alu instid0(VALU_DEP_1)
	v_and_or_b32 v1, 0xffff0000, v1, v5
.LBB1042_45:
	s_or_b32 exec_lo, exec_lo, s6
	v_or_b32_e32 v5, 0x500, v0
	s_mov_b32 s6, exec_lo
	s_delay_alu instid0(VALU_DEP_1)
	v_cmpx_gt_u32_e64 s3, v5
	s_cbranch_execz .LBB1042_47
; %bb.46:
	global_load_u16 v5, v9, s[0:1] offset:2560
	v_and_b32_e32 v6, 0xff, v1
	s_wait_loadcnt 0x0
	v_cmp_eq_u16_e32 vcc_lo, 0, v5
	s_wait_alu 0xfffd
	v_cndmask_b32_e64 v5, 0, 1, vcc_lo
	s_delay_alu instid0(VALU_DEP_1) | instskip(NEXT) | instid1(VALU_DEP_1)
	v_lshlrev_b16 v5, 8, v5
	v_or_b32_e32 v5, v6, v5
	s_delay_alu instid0(VALU_DEP_1) | instskip(NEXT) | instid1(VALU_DEP_1)
	v_and_b32_e32 v5, 0xffff, v5
	v_and_or_b32 v1, 0xffff0000, v1, v5
.LBB1042_47:
	s_or_b32 exec_lo, exec_lo, s6
	v_or_b32_e32 v5, 0x600, v0
	s_mov_b32 s6, exec_lo
	s_delay_alu instid0(VALU_DEP_1)
	v_cmpx_gt_u32_e64 s3, v5
	s_cbranch_execz .LBB1042_49
; %bb.48:
	global_load_u16 v5, v9, s[0:1] offset:3072
	v_lshrrev_b32_e32 v6, 16, v1
	s_delay_alu instid0(VALU_DEP_1) | instskip(SKIP_4) | instid1(VALU_DEP_1)
	v_and_b32_e32 v6, 0xffffff00, v6
	s_wait_loadcnt 0x0
	v_cmp_eq_u16_e32 vcc_lo, 0, v5
	s_wait_alu 0xfffd
	v_cndmask_b32_e64 v5, 0, 1, vcc_lo
	v_or_b32_e32 v5, v5, v6
	s_delay_alu instid0(VALU_DEP_1) | instskip(NEXT) | instid1(VALU_DEP_1)
	v_lshlrev_b32_e32 v5, 16, v5
	v_and_or_b32 v1, 0xffff, v1, v5
.LBB1042_49:
	s_or_b32 exec_lo, exec_lo, s6
	v_or_b32_e32 v5, 0x700, v0
	s_mov_b32 s6, exec_lo
	s_delay_alu instid0(VALU_DEP_1)
	v_cmpx_gt_u32_e64 s3, v5
	s_cbranch_execz .LBB1042_51
; %bb.50:
	global_load_u16 v5, v9, s[0:1] offset:3584
	v_lshrrev_b32_e32 v6, 16, v1
	s_delay_alu instid0(VALU_DEP_1) | instskip(SKIP_4) | instid1(VALU_DEP_1)
	v_and_b32_e32 v6, 0xff, v6
	s_wait_loadcnt 0x0
	v_cmp_eq_u16_e32 vcc_lo, 0, v5
	s_wait_alu 0xfffd
	v_cndmask_b32_e64 v5, 0, 1, vcc_lo
	v_lshlrev_b16 v5, 8, v5
	s_delay_alu instid0(VALU_DEP_1) | instskip(NEXT) | instid1(VALU_DEP_1)
	v_or_b32_e32 v5, v6, v5
	v_lshlrev_b32_e32 v5, 16, v5
	s_delay_alu instid0(VALU_DEP_1)
	v_and_or_b32 v1, 0xffff, v1, v5
.LBB1042_51:
	s_or_b32 exec_lo, exec_lo, s6
	v_or_b32_e32 v5, 0x800, v0
	s_mov_b32 s6, exec_lo
	s_delay_alu instid0(VALU_DEP_1)
	v_cmpx_gt_u32_e64 s3, v5
	s_cbranch_execz .LBB1042_53
; %bb.52:
	global_load_u16 v5, v9, s[0:1] offset:4096
	v_and_b32_e32 v6, 0xffffff00, v2
	s_wait_loadcnt 0x0
	v_cmp_eq_u16_e32 vcc_lo, 0, v5
	s_wait_alu 0xfffd
	v_cndmask_b32_e64 v5, 0, 1, vcc_lo
	s_delay_alu instid0(VALU_DEP_1) | instskip(NEXT) | instid1(VALU_DEP_1)
	v_or_b32_e32 v5, v5, v6
	v_and_b32_e32 v5, 0xffff, v5
	s_delay_alu instid0(VALU_DEP_1)
	v_and_or_b32 v2, 0xffff0000, v2, v5
.LBB1042_53:
	s_or_b32 exec_lo, exec_lo, s6
	v_or_b32_e32 v5, 0x900, v0
	s_mov_b32 s6, exec_lo
	s_delay_alu instid0(VALU_DEP_1)
	v_cmpx_gt_u32_e64 s3, v5
	s_cbranch_execz .LBB1042_55
; %bb.54:
	global_load_u16 v5, v9, s[0:1] offset:4608
	v_and_b32_e32 v6, 0xff, v2
	s_wait_loadcnt 0x0
	v_cmp_eq_u16_e32 vcc_lo, 0, v5
	s_wait_alu 0xfffd
	v_cndmask_b32_e64 v5, 0, 1, vcc_lo
	s_delay_alu instid0(VALU_DEP_1) | instskip(NEXT) | instid1(VALU_DEP_1)
	v_lshlrev_b16 v5, 8, v5
	v_or_b32_e32 v5, v6, v5
	s_delay_alu instid0(VALU_DEP_1) | instskip(NEXT) | instid1(VALU_DEP_1)
	v_and_b32_e32 v5, 0xffff, v5
	v_and_or_b32 v2, 0xffff0000, v2, v5
.LBB1042_55:
	s_or_b32 exec_lo, exec_lo, s6
	v_or_b32_e32 v5, 0xa00, v0
	s_mov_b32 s6, exec_lo
	s_delay_alu instid0(VALU_DEP_1)
	v_cmpx_gt_u32_e64 s3, v5
	s_cbranch_execz .LBB1042_57
; %bb.56:
	global_load_u16 v5, v9, s[0:1] offset:5120
	v_lshrrev_b32_e32 v6, 16, v2
	s_delay_alu instid0(VALU_DEP_1) | instskip(SKIP_4) | instid1(VALU_DEP_1)
	v_and_b32_e32 v6, 0xffffff00, v6
	s_wait_loadcnt 0x0
	v_cmp_eq_u16_e32 vcc_lo, 0, v5
	s_wait_alu 0xfffd
	v_cndmask_b32_e64 v5, 0, 1, vcc_lo
	v_or_b32_e32 v5, v5, v6
	s_delay_alu instid0(VALU_DEP_1) | instskip(NEXT) | instid1(VALU_DEP_1)
	v_lshlrev_b32_e32 v5, 16, v5
	v_and_or_b32 v2, 0xffff, v2, v5
.LBB1042_57:
	s_or_b32 exec_lo, exec_lo, s6
	v_or_b32_e32 v5, 0xb00, v0
	s_delay_alu instid0(VALU_DEP_1)
	v_cmp_gt_u32_e32 vcc_lo, s3, v5
	s_and_saveexec_b32 s3, vcc_lo
	s_cbranch_execz .LBB1042_59
; %bb.58:
	global_load_u16 v5, v9, s[0:1] offset:5632
	v_lshrrev_b32_e32 v6, 16, v2
	s_delay_alu instid0(VALU_DEP_1) | instskip(SKIP_4) | instid1(VALU_DEP_1)
	v_and_b32_e32 v6, 0xff, v6
	s_wait_loadcnt 0x0
	v_cmp_eq_u16_e32 vcc_lo, 0, v5
	s_wait_alu 0xfffd
	v_cndmask_b32_e64 v5, 0, 1, vcc_lo
	v_lshlrev_b16 v5, 8, v5
	s_delay_alu instid0(VALU_DEP_1) | instskip(NEXT) | instid1(VALU_DEP_1)
	v_or_b32_e32 v5, v6, v5
	v_lshlrev_b32_e32 v5, 16, v5
	s_delay_alu instid0(VALU_DEP_1)
	v_and_or_b32 v2, 0xffff, v2, v5
.LBB1042_59:
	s_wait_alu 0xfffe
	s_or_b32 exec_lo, exec_lo, s3
	v_lshrrev_b32_e32 v5, 8, v3
	v_lshrrev_b32_e32 v6, 24, v3
	;; [unrolled: 1-line block ×6, first 2 shown]
	ds_store_b8 v0, v4
	ds_store_b8 v0, v5 offset:256
	ds_store_b8_d16_hi v0, v3 offset:512
	ds_store_b8 v0, v6 offset:768
	ds_store_b8 v0, v1 offset:1024
	;; [unrolled: 1-line block ×3, first 2 shown]
	ds_store_b8_d16_hi v0, v1 offset:1536
	ds_store_b8 v0, v8 offset:1792
	ds_store_b8 v0, v2 offset:2048
	;; [unrolled: 1-line block ×3, first 2 shown]
	ds_store_b8_d16_hi v0, v2 offset:2560
	ds_store_b8 v0, v10 offset:2816
	s_wait_loadcnt_dscnt 0x0
	s_barrier_signal -1
	s_barrier_wait -1
.LBB1042_60:
	s_wait_loadcnt 0x0
	global_inv scope:SCOPE_SE
	ds_load_2addr_b32 v[45:46], v53 offset1:1
	ds_load_b32 v49, v53 offset:8
	v_mbcnt_lo_u32_b32 v63, -1, 0
	s_cmp_lg_u32 s20, 0
	s_mov_b32 s1, -1
	s_wait_loadcnt_dscnt 0x0
	s_barrier_signal -1
	v_and_b32_e32 v64, 15, v63
	s_barrier_wait -1
	global_inv scope:SCOPE_SE
	v_dual_mov_b32 v2, 0 :: v_dual_and_b32 v55, 0xff, v45
	v_bfe_u32 v56, v45, 8, 8
	v_bfe_u32 v54, v45, 16, 8
	v_lshrrev_b32_e32 v52, 24, v45
	v_and_b32_e32 v58, 0xff, v46
	v_bfe_u32 v59, v46, 8, 8
	v_bfe_u32 v60, v46, 16, 8
	v_add3_u32 v1, v56, v55, v54
	v_lshrrev_b32_e32 v51, 24, v46
	v_and_b32_e32 v61, 0xff, v49
	v_bfe_u32 v62, v49, 8, 8
	v_bfe_u32 v57, v49, 16, 8
	v_add_co_u32 v1, s0, v1, v52
	s_wait_alu 0xf1ff
	v_add_co_ci_u32_e64 v3, null, 0, 0, s0
	v_lshrrev_b32_e32 v50, 24, v49
	s_delay_alu instid0(VALU_DEP_3) | instskip(SKIP_1) | instid1(VALU_DEP_3)
	v_add_co_u32 v1, vcc_lo, v1, v58
	s_wait_alu 0xfffd
	v_add_co_ci_u32_e64 v3, null, 0, v3, vcc_lo
	v_cmp_ne_u32_e64 s0, 0, v64
	s_delay_alu instid0(VALU_DEP_3) | instskip(SKIP_1) | instid1(VALU_DEP_3)
	v_add_co_u32 v1, vcc_lo, v1, v59
	s_wait_alu 0xfffd
	v_add_co_ci_u32_e64 v3, null, 0, v3, vcc_lo
	s_delay_alu instid0(VALU_DEP_2) | instskip(SKIP_1) | instid1(VALU_DEP_2)
	v_add_co_u32 v1, vcc_lo, v1, v60
	s_wait_alu 0xfffd
	v_add_co_ci_u32_e64 v3, null, 0, v3, vcc_lo
	s_delay_alu instid0(VALU_DEP_2) | instskip(SKIP_1) | instid1(VALU_DEP_2)
	;; [unrolled: 4-line block ×6, first 2 shown]
	v_add_co_u32 v47, vcc_lo, v1, v50
	s_wait_alu 0xfffd
	v_add_co_ci_u32_e64 v48, null, 0, v3, vcc_lo
	s_cbranch_scc0 .LBB1042_117
; %bb.61:
	v_mov_b32_e32 v3, v47
	v_mov_b32_dpp v1, v47 row_shr:1 row_mask:0xf bank_mask:0xf
	v_mov_b32_dpp v6, v2 row_shr:1 row_mask:0xf bank_mask:0xf
	v_dual_mov_b32 v5, v47 :: v_dual_mov_b32 v4, v48
	s_and_saveexec_b32 s1, s0
; %bb.62:
	s_delay_alu instid0(VALU_DEP_3) | instskip(SKIP_2) | instid1(VALU_DEP_2)
	v_add_co_u32 v5, vcc_lo, v47, v1
	s_wait_alu 0xfffd
	v_add_co_ci_u32_e64 v2, null, 0, v48, vcc_lo
	v_add_co_u32 v1, vcc_lo, 0, v5
	s_wait_alu 0xfffd
	s_delay_alu instid0(VALU_DEP_2) | instskip(NEXT) | instid1(VALU_DEP_1)
	v_add_co_ci_u32_e64 v2, null, v6, v2, vcc_lo
	v_dual_mov_b32 v4, v2 :: v_dual_mov_b32 v3, v1
; %bb.63:
	s_wait_alu 0xfffe
	s_or_b32 exec_lo, exec_lo, s1
	v_mov_b32_dpp v1, v5 row_shr:2 row_mask:0xf bank_mask:0xf
	v_mov_b32_dpp v6, v2 row_shr:2 row_mask:0xf bank_mask:0xf
	s_mov_b32 s1, exec_lo
	v_cmpx_lt_u32_e32 1, v64
; %bb.64:
	s_delay_alu instid0(VALU_DEP_3) | instskip(SKIP_2) | instid1(VALU_DEP_2)
	v_add_co_u32 v5, vcc_lo, v3, v1
	s_wait_alu 0xfffd
	v_add_co_ci_u32_e64 v2, null, 0, v4, vcc_lo
	v_add_co_u32 v1, vcc_lo, 0, v5
	s_wait_alu 0xfffd
	s_delay_alu instid0(VALU_DEP_2) | instskip(NEXT) | instid1(VALU_DEP_1)
	v_add_co_ci_u32_e64 v2, null, v6, v2, vcc_lo
	v_dual_mov_b32 v4, v2 :: v_dual_mov_b32 v3, v1
; %bb.65:
	s_wait_alu 0xfffe
	s_or_b32 exec_lo, exec_lo, s1
	v_mov_b32_dpp v1, v5 row_shr:4 row_mask:0xf bank_mask:0xf
	v_mov_b32_dpp v6, v2 row_shr:4 row_mask:0xf bank_mask:0xf
	s_mov_b32 s1, exec_lo
	v_cmpx_lt_u32_e32 3, v64
	;; [unrolled: 17-line block ×3, first 2 shown]
; %bb.68:
	s_delay_alu instid0(VALU_DEP_3) | instskip(SKIP_2) | instid1(VALU_DEP_2)
	v_add_co_u32 v5, vcc_lo, v3, v6
	s_wait_alu 0xfffd
	v_add_co_ci_u32_e64 v2, null, 0, v4, vcc_lo
	v_add_co_u32 v3, vcc_lo, 0, v5
	s_wait_alu 0xfffd
	s_delay_alu instid0(VALU_DEP_2) | instskip(NEXT) | instid1(VALU_DEP_1)
	v_add_co_ci_u32_e64 v4, null, v1, v2, vcc_lo
	v_mov_b32_e32 v2, v4
; %bb.69:
	s_wait_alu 0xfffe
	s_or_b32 exec_lo, exec_lo, s1
	ds_swizzle_b32 v1, v5 offset:swizzle(BROADCAST,32,15)
	ds_swizzle_b32 v6, v2 offset:swizzle(BROADCAST,32,15)
	v_and_b32_e32 v7, 16, v63
	s_mov_b32 s1, exec_lo
	s_delay_alu instid0(VALU_DEP_1)
	v_cmpx_ne_u32_e32 0, v7
	s_cbranch_execz .LBB1042_71
; %bb.70:
	s_wait_dscnt 0x1
	v_add_co_u32 v5, vcc_lo, v3, v1
	s_wait_alu 0xfffd
	v_add_co_ci_u32_e64 v2, null, 0, v4, vcc_lo
	s_delay_alu instid0(VALU_DEP_2) | instskip(SKIP_2) | instid1(VALU_DEP_2)
	v_add_co_u32 v1, vcc_lo, 0, v5
	s_wait_dscnt 0x0
	s_wait_alu 0xfffd
	v_add_co_ci_u32_e64 v2, null, v6, v2, vcc_lo
	s_delay_alu instid0(VALU_DEP_1)
	v_dual_mov_b32 v4, v2 :: v_dual_mov_b32 v3, v1
.LBB1042_71:
	s_wait_alu 0xfffe
	s_or_b32 exec_lo, exec_lo, s1
	s_wait_dscnt 0x0
	v_or_b32_e32 v6, 31, v0
	v_lshrrev_b32_e32 v1, 5, v0
	s_mov_b32 s1, exec_lo
	s_delay_alu instid0(VALU_DEP_2)
	v_cmpx_eq_u32_e64 v0, v6
; %bb.72:
	s_delay_alu instid0(VALU_DEP_2)
	v_lshlrev_b32_e32 v6, 3, v1
	ds_store_b64 v6, v[3:4]
; %bb.73:
	s_wait_alu 0xfffe
	s_or_b32 exec_lo, exec_lo, s1
	s_delay_alu instid0(SALU_CYCLE_1)
	s_mov_b32 s1, exec_lo
	s_wait_loadcnt_dscnt 0x0
	s_barrier_signal -1
	s_barrier_wait -1
	global_inv scope:SCOPE_SE
	v_cmpx_gt_u32_e32 8, v0
	s_cbranch_execz .LBB1042_81
; %bb.74:
	v_lshlrev_b32_e32 v6, 3, v0
	s_mov_b32 s3, exec_lo
	ds_load_b64 v[3:4], v6
	s_wait_dscnt 0x0
	v_dual_mov_b32 v8, v3 :: v_dual_and_b32 v7, 7, v63
	v_mov_b32_dpp v10, v3 row_shr:1 row_mask:0xf bank_mask:0xf
	v_mov_b32_dpp v9, v4 row_shr:1 row_mask:0xf bank_mask:0xf
	s_delay_alu instid0(VALU_DEP_3)
	v_cmpx_ne_u32_e32 0, v7
; %bb.75:
	s_delay_alu instid0(VALU_DEP_3) | instskip(SKIP_2) | instid1(VALU_DEP_2)
	v_add_co_u32 v8, vcc_lo, v3, v10
	s_wait_alu 0xfffd
	v_add_co_ci_u32_e64 v4, null, 0, v4, vcc_lo
	v_add_co_u32 v3, vcc_lo, 0, v8
	s_wait_alu 0xfffd
	s_delay_alu instid0(VALU_DEP_2)
	v_add_co_ci_u32_e64 v4, null, v9, v4, vcc_lo
; %bb.76:
	s_wait_alu 0xfffe
	s_or_b32 exec_lo, exec_lo, s3
	v_mov_b32_dpp v10, v8 row_shr:2 row_mask:0xf bank_mask:0xf
	s_delay_alu instid0(VALU_DEP_2)
	v_mov_b32_dpp v9, v4 row_shr:2 row_mask:0xf bank_mask:0xf
	s_mov_b32 s3, exec_lo
	v_cmpx_lt_u32_e32 1, v7
; %bb.77:
	s_delay_alu instid0(VALU_DEP_3) | instskip(SKIP_2) | instid1(VALU_DEP_2)
	v_add_co_u32 v8, vcc_lo, v3, v10
	s_wait_alu 0xfffd
	v_add_co_ci_u32_e64 v4, null, 0, v4, vcc_lo
	v_add_co_u32 v3, vcc_lo, 0, v8
	s_wait_alu 0xfffd
	s_delay_alu instid0(VALU_DEP_2)
	v_add_co_ci_u32_e64 v4, null, v9, v4, vcc_lo
; %bb.78:
	s_wait_alu 0xfffe
	s_or_b32 exec_lo, exec_lo, s3
	v_mov_b32_dpp v9, v8 row_shr:4 row_mask:0xf bank_mask:0xf
	s_delay_alu instid0(VALU_DEP_2)
	v_mov_b32_dpp v8, v4 row_shr:4 row_mask:0xf bank_mask:0xf
	s_mov_b32 s3, exec_lo
	v_cmpx_lt_u32_e32 3, v7
; %bb.79:
	s_delay_alu instid0(VALU_DEP_3) | instskip(SKIP_2) | instid1(VALU_DEP_2)
	v_add_co_u32 v3, vcc_lo, v3, v9
	s_wait_alu 0xfffd
	v_add_co_ci_u32_e64 v4, null, 0, v4, vcc_lo
	v_add_co_u32 v3, vcc_lo, v3, 0
	s_wait_alu 0xfffd
	s_delay_alu instid0(VALU_DEP_2)
	v_add_co_ci_u32_e64 v4, null, v4, v8, vcc_lo
; %bb.80:
	s_wait_alu 0xfffe
	s_or_b32 exec_lo, exec_lo, s3
	ds_store_b64 v6, v[3:4]
.LBB1042_81:
	s_wait_alu 0xfffe
	s_or_b32 exec_lo, exec_lo, s1
	s_delay_alu instid0(SALU_CYCLE_1)
	s_mov_b32 s3, exec_lo
	v_cmp_gt_u32_e32 vcc_lo, 32, v0
	s_wait_loadcnt_dscnt 0x0
	s_barrier_signal -1
	s_barrier_wait -1
	global_inv scope:SCOPE_SE
                                        ; implicit-def: $vgpr9_vgpr10
	v_cmpx_lt_u32_e32 31, v0
	s_cbranch_execz .LBB1042_83
; %bb.82:
	v_lshl_add_u32 v1, v1, 3, -8
	ds_load_b64 v[9:10], v1
	s_wait_dscnt 0x0
	v_add_co_u32 v5, s1, v5, v9
	s_wait_alu 0xf1ff
	v_add_co_ci_u32_e64 v2, null, v2, v10, s1
.LBB1042_83:
	s_wait_alu 0xfffe
	s_or_b32 exec_lo, exec_lo, s3
	v_sub_co_u32 v1, s1, v63, 1
	s_delay_alu instid0(VALU_DEP_1) | instskip(SKIP_1) | instid1(VALU_DEP_1)
	v_cmp_gt_i32_e64 s3, 0, v1
	s_wait_alu 0xf1ff
	v_cndmask_b32_e64 v1, v1, v63, s3
	s_delay_alu instid0(VALU_DEP_1)
	v_lshlrev_b32_e32 v1, 2, v1
	ds_bpermute_b32 v15, v1, v5
	ds_bpermute_b32 v16, v1, v2
	s_and_saveexec_b32 s3, vcc_lo
	s_cbranch_execz .LBB1042_122
; %bb.84:
	v_mov_b32_e32 v4, 0
	ds_load_b64 v[1:2], v4 offset:56
	s_and_saveexec_b32 s6, s1
	s_cbranch_execz .LBB1042_86
; %bb.85:
	s_add_co_i32 s8, s20, 32
	s_mov_b32 s9, 0
	s_wait_alu 0xfffe
	s_lshl_b64 s[8:9], s[8:9], 4
	s_wait_alu 0xfffe
	s_add_nc_u64 s[8:9], s[14:15], s[8:9]
	v_mov_b32_e32 v3, 1
	s_wait_alu 0xfffe
	v_dual_mov_b32 v5, s8 :: v_dual_mov_b32 v6, s9
	s_wait_dscnt 0x0
	;;#ASMSTART
	global_store_b128 v[5:6], v[1:4] off scope:SCOPE_DEV	
s_wait_storecnt 0x0
	;;#ASMEND
.LBB1042_86:
	s_or_b32 exec_lo, exec_lo, s6
	v_xad_u32 v11, v63, -1, s20
	s_mov_b32 s7, 0
	s_mov_b32 s6, exec_lo
	s_delay_alu instid0(VALU_DEP_1) | instskip(NEXT) | instid1(VALU_DEP_1)
	v_add_nc_u32_e32 v3, 32, v11
	v_lshlrev_b64_e32 v[3:4], 4, v[3:4]
	s_delay_alu instid0(VALU_DEP_1) | instskip(SKIP_1) | instid1(VALU_DEP_2)
	v_add_co_u32 v3, vcc_lo, s14, v3
	s_wait_alu 0xfffd
	v_add_co_ci_u32_e64 v4, null, s15, v4, vcc_lo
	;;#ASMSTART
	global_load_b128 v[5:8], v[3:4] off scope:SCOPE_DEV	
s_wait_loadcnt 0x0
	;;#ASMEND
	v_and_b32_e32 v8, 0xff, v7
	s_delay_alu instid0(VALU_DEP_1)
	v_cmpx_eq_u16_e32 0, v8
	s_cbranch_execz .LBB1042_89
.LBB1042_87:                            ; =>This Inner Loop Header: Depth=1
	;;#ASMSTART
	global_load_b128 v[5:8], v[3:4] off scope:SCOPE_DEV	
s_wait_loadcnt 0x0
	;;#ASMEND
	v_and_b32_e32 v8, 0xff, v7
	s_delay_alu instid0(VALU_DEP_1) | instskip(SKIP_1) | instid1(SALU_CYCLE_1)
	v_cmp_ne_u16_e32 vcc_lo, 0, v8
	s_or_b32 s7, vcc_lo, s7
	s_and_not1_b32 exec_lo, exec_lo, s7
	s_cbranch_execnz .LBB1042_87
; %bb.88:
	s_or_b32 exec_lo, exec_lo, s7
.LBB1042_89:
	s_delay_alu instid0(SALU_CYCLE_1)
	s_or_b32 exec_lo, exec_lo, s6
	v_cmp_ne_u32_e32 vcc_lo, 31, v63
	v_and_b32_e32 v4, 0xff, v7
	v_lshlrev_b32_e64 v18, v63, -1
	s_mov_b32 s6, exec_lo
	s_wait_alu 0xfffd
	v_add_co_ci_u32_e64 v3, null, 0, v63, vcc_lo
	v_cmp_eq_u16_e32 vcc_lo, 2, v4
	s_delay_alu instid0(VALU_DEP_2)
	v_dual_mov_b32 v4, v5 :: v_dual_lshlrev_b32 v17, 2, v3
	s_wait_alu 0xfffd
	v_and_or_b32 v3, vcc_lo, v18, 0x80000000
	ds_bpermute_b32 v12, v17, v5
	ds_bpermute_b32 v8, v17, v6
	v_ctz_i32_b32_e32 v3, v3
	s_delay_alu instid0(VALU_DEP_1)
	v_cmpx_lt_u32_e64 v63, v3
	s_cbranch_execz .LBB1042_91
; %bb.90:
	s_wait_dscnt 0x1
	v_add_co_u32 v4, vcc_lo, v5, v12
	s_wait_alu 0xfffd
	v_add_co_ci_u32_e64 v6, null, 0, v6, vcc_lo
	s_delay_alu instid0(VALU_DEP_2) | instskip(SKIP_2) | instid1(VALU_DEP_2)
	v_add_co_u32 v5, vcc_lo, 0, v4
	s_wait_dscnt 0x0
	s_wait_alu 0xfffd
	v_add_co_ci_u32_e64 v6, null, v8, v6, vcc_lo
.LBB1042_91:
	s_or_b32 exec_lo, exec_lo, s6
	v_cmp_gt_u32_e32 vcc_lo, 30, v63
	v_add_nc_u32_e32 v20, 2, v63
	s_mov_b32 s6, exec_lo
	s_wait_dscnt 0x0
	s_wait_alu 0xfffd
	v_cndmask_b32_e64 v8, 0, 2, vcc_lo
	s_delay_alu instid0(VALU_DEP_1)
	v_add_lshl_u32 v19, v8, v63, 2
	ds_bpermute_b32 v12, v19, v4
	ds_bpermute_b32 v8, v19, v6
	v_cmpx_le_u32_e64 v20, v3
	s_cbranch_execz .LBB1042_93
; %bb.92:
	s_wait_dscnt 0x1
	v_add_co_u32 v4, vcc_lo, v5, v12
	s_wait_alu 0xfffd
	v_add_co_ci_u32_e64 v6, null, 0, v6, vcc_lo
	s_delay_alu instid0(VALU_DEP_2) | instskip(SKIP_2) | instid1(VALU_DEP_2)
	v_add_co_u32 v5, vcc_lo, 0, v4
	s_wait_dscnt 0x0
	s_wait_alu 0xfffd
	v_add_co_ci_u32_e64 v6, null, v8, v6, vcc_lo
.LBB1042_93:
	s_or_b32 exec_lo, exec_lo, s6
	v_cmp_gt_u32_e32 vcc_lo, 28, v63
	v_add_nc_u32_e32 v22, 4, v63
	s_mov_b32 s6, exec_lo
	s_wait_dscnt 0x0
	s_wait_alu 0xfffd
	v_cndmask_b32_e64 v8, 0, 4, vcc_lo
	s_delay_alu instid0(VALU_DEP_1)
	v_add_lshl_u32 v21, v8, v63, 2
	ds_bpermute_b32 v12, v21, v4
	ds_bpermute_b32 v8, v21, v6
	v_cmpx_le_u32_e64 v22, v3
	;; [unrolled: 24-line block ×3, first 2 shown]
	s_cbranch_execz .LBB1042_97
; %bb.96:
	s_wait_dscnt 0x1
	v_add_co_u32 v4, vcc_lo, v5, v12
	s_wait_alu 0xfffd
	v_add_co_ci_u32_e64 v6, null, 0, v6, vcc_lo
	s_delay_alu instid0(VALU_DEP_2) | instskip(SKIP_2) | instid1(VALU_DEP_2)
	v_add_co_u32 v5, vcc_lo, 0, v4
	s_wait_dscnt 0x0
	s_wait_alu 0xfffd
	v_add_co_ci_u32_e64 v6, null, v8, v6, vcc_lo
.LBB1042_97:
	s_or_b32 exec_lo, exec_lo, s6
	v_lshl_or_b32 v25, v63, 2, 64
	v_add_nc_u32_e32 v26, 16, v63
	s_mov_b32 s6, exec_lo
	s_wait_dscnt 0x0
	ds_bpermute_b32 v8, v25, v4
	ds_bpermute_b32 v4, v25, v6
	v_cmpx_le_u32_e64 v26, v3
	s_cbranch_execz .LBB1042_99
; %bb.98:
	s_wait_dscnt 0x1
	v_add_co_u32 v3, vcc_lo, v5, v8
	s_wait_alu 0xfffd
	v_add_co_ci_u32_e64 v6, null, 0, v6, vcc_lo
	s_delay_alu instid0(VALU_DEP_2) | instskip(SKIP_2) | instid1(VALU_DEP_2)
	v_add_co_u32 v5, vcc_lo, v3, 0
	s_wait_dscnt 0x0
	s_wait_alu 0xfffd
	v_add_co_ci_u32_e64 v6, null, v6, v4, vcc_lo
.LBB1042_99:
	s_or_b32 exec_lo, exec_lo, s6
	v_mov_b32_e32 v12, 0
	s_branch .LBB1042_102
.LBB1042_100:                           ;   in Loop: Header=BB1042_102 Depth=1
	s_or_b32 exec_lo, exec_lo, s6
	v_add_co_u32 v5, vcc_lo, v5, v3
	v_subrev_nc_u32_e32 v11, 32, v11
	s_wait_alu 0xfffd
	v_add_co_ci_u32_e64 v6, null, v6, v4, vcc_lo
	s_mov_b32 s6, 0
.LBB1042_101:                           ;   in Loop: Header=BB1042_102 Depth=1
	s_delay_alu instid0(SALU_CYCLE_1)
	s_and_b32 vcc_lo, exec_lo, s6
	s_wait_alu 0xfffe
	s_cbranch_vccnz .LBB1042_118
.LBB1042_102:                           ; =>This Loop Header: Depth=1
                                        ;     Child Loop BB1042_105 Depth 2
	v_and_b32_e32 v3, 0xff, v7
	s_mov_b32 s6, -1
	s_delay_alu instid0(VALU_DEP_1)
	v_cmp_ne_u16_e32 vcc_lo, 2, v3
	s_wait_dscnt 0x0
	v_dual_mov_b32 v3, v5 :: v_dual_mov_b32 v4, v6
                                        ; implicit-def: $vgpr5_vgpr6
	s_cmp_lg_u32 vcc_lo, exec_lo
	s_cbranch_scc1 .LBB1042_101
; %bb.103:                              ;   in Loop: Header=BB1042_102 Depth=1
	v_lshlrev_b64_e32 v[5:6], 4, v[11:12]
	s_mov_b32 s6, exec_lo
	s_delay_alu instid0(VALU_DEP_1) | instskip(SKIP_1) | instid1(VALU_DEP_2)
	v_add_co_u32 v13, vcc_lo, s14, v5
	s_wait_alu 0xfffd
	v_add_co_ci_u32_e64 v14, null, s15, v6, vcc_lo
	;;#ASMSTART
	global_load_b128 v[5:8], v[13:14] off scope:SCOPE_DEV	
s_wait_loadcnt 0x0
	;;#ASMEND
	v_and_b32_e32 v8, 0xff, v7
	s_delay_alu instid0(VALU_DEP_1)
	v_cmpx_eq_u16_e32 0, v8
	s_cbranch_execz .LBB1042_107
; %bb.104:                              ;   in Loop: Header=BB1042_102 Depth=1
	s_mov_b32 s7, 0
.LBB1042_105:                           ;   Parent Loop BB1042_102 Depth=1
                                        ; =>  This Inner Loop Header: Depth=2
	;;#ASMSTART
	global_load_b128 v[5:8], v[13:14] off scope:SCOPE_DEV	
s_wait_loadcnt 0x0
	;;#ASMEND
	v_and_b32_e32 v8, 0xff, v7
	s_delay_alu instid0(VALU_DEP_1) | instskip(SKIP_1) | instid1(SALU_CYCLE_1)
	v_cmp_ne_u16_e32 vcc_lo, 0, v8
	s_or_b32 s7, vcc_lo, s7
	s_and_not1_b32 exec_lo, exec_lo, s7
	s_cbranch_execnz .LBB1042_105
; %bb.106:                              ;   in Loop: Header=BB1042_102 Depth=1
	s_or_b32 exec_lo, exec_lo, s7
.LBB1042_107:                           ;   in Loop: Header=BB1042_102 Depth=1
	s_delay_alu instid0(SALU_CYCLE_1)
	s_or_b32 exec_lo, exec_lo, s6
	v_dual_mov_b32 v13, v5 :: v_dual_and_b32 v8, 0xff, v7
	ds_bpermute_b32 v27, v17, v5
	ds_bpermute_b32 v14, v17, v6
	s_mov_b32 s6, exec_lo
	v_cmp_eq_u16_e32 vcc_lo, 2, v8
	s_wait_alu 0xfffd
	v_and_or_b32 v8, vcc_lo, v18, 0x80000000
	s_delay_alu instid0(VALU_DEP_1) | instskip(NEXT) | instid1(VALU_DEP_1)
	v_ctz_i32_b32_e32 v8, v8
	v_cmpx_lt_u32_e64 v63, v8
	s_cbranch_execz .LBB1042_109
; %bb.108:                              ;   in Loop: Header=BB1042_102 Depth=1
	s_wait_dscnt 0x1
	v_add_co_u32 v13, vcc_lo, v5, v27
	s_wait_alu 0xfffd
	v_add_co_ci_u32_e64 v6, null, 0, v6, vcc_lo
	s_delay_alu instid0(VALU_DEP_2) | instskip(SKIP_2) | instid1(VALU_DEP_2)
	v_add_co_u32 v5, vcc_lo, 0, v13
	s_wait_dscnt 0x0
	s_wait_alu 0xfffd
	v_add_co_ci_u32_e64 v6, null, v14, v6, vcc_lo
.LBB1042_109:                           ;   in Loop: Header=BB1042_102 Depth=1
	s_or_b32 exec_lo, exec_lo, s6
	s_wait_dscnt 0x1
	ds_bpermute_b32 v27, v19, v13
	s_wait_dscnt 0x1
	ds_bpermute_b32 v14, v19, v6
	s_mov_b32 s6, exec_lo
	v_cmpx_le_u32_e64 v20, v8
	s_cbranch_execz .LBB1042_111
; %bb.110:                              ;   in Loop: Header=BB1042_102 Depth=1
	s_wait_dscnt 0x1
	v_add_co_u32 v13, vcc_lo, v5, v27
	s_wait_alu 0xfffd
	v_add_co_ci_u32_e64 v6, null, 0, v6, vcc_lo
	s_delay_alu instid0(VALU_DEP_2) | instskip(SKIP_2) | instid1(VALU_DEP_2)
	v_add_co_u32 v5, vcc_lo, 0, v13
	s_wait_dscnt 0x0
	s_wait_alu 0xfffd
	v_add_co_ci_u32_e64 v6, null, v14, v6, vcc_lo
.LBB1042_111:                           ;   in Loop: Header=BB1042_102 Depth=1
	s_or_b32 exec_lo, exec_lo, s6
	s_wait_dscnt 0x1
	ds_bpermute_b32 v27, v21, v13
	s_wait_dscnt 0x1
	ds_bpermute_b32 v14, v21, v6
	s_mov_b32 s6, exec_lo
	v_cmpx_le_u32_e64 v22, v8
	;; [unrolled: 19-line block ×3, first 2 shown]
	s_cbranch_execz .LBB1042_115
; %bb.114:                              ;   in Loop: Header=BB1042_102 Depth=1
	s_wait_dscnt 0x1
	v_add_co_u32 v13, vcc_lo, v5, v27
	s_wait_alu 0xfffd
	v_add_co_ci_u32_e64 v6, null, 0, v6, vcc_lo
	s_delay_alu instid0(VALU_DEP_2) | instskip(SKIP_2) | instid1(VALU_DEP_2)
	v_add_co_u32 v5, vcc_lo, 0, v13
	s_wait_dscnt 0x0
	s_wait_alu 0xfffd
	v_add_co_ci_u32_e64 v6, null, v14, v6, vcc_lo
.LBB1042_115:                           ;   in Loop: Header=BB1042_102 Depth=1
	s_or_b32 exec_lo, exec_lo, s6
	s_wait_dscnt 0x0
	ds_bpermute_b32 v14, v25, v13
	ds_bpermute_b32 v13, v25, v6
	s_mov_b32 s6, exec_lo
	v_cmpx_le_u32_e64 v26, v8
	s_cbranch_execz .LBB1042_100
; %bb.116:                              ;   in Loop: Header=BB1042_102 Depth=1
	s_wait_dscnt 0x1
	v_add_co_u32 v5, vcc_lo, v5, v14
	s_wait_alu 0xfffd
	v_add_co_ci_u32_e64 v6, null, 0, v6, vcc_lo
	s_delay_alu instid0(VALU_DEP_2) | instskip(SKIP_2) | instid1(VALU_DEP_2)
	v_add_co_u32 v5, vcc_lo, v5, 0
	s_wait_dscnt 0x0
	s_wait_alu 0xfffd
	v_add_co_ci_u32_e64 v6, null, v6, v13, vcc_lo
	s_branch .LBB1042_100
.LBB1042_117:
                                        ; implicit-def: $vgpr39_vgpr40
                                        ; implicit-def: $vgpr1_vgpr2_vgpr3_vgpr4_vgpr5_vgpr6_vgpr7_vgpr8_vgpr9_vgpr10_vgpr11_vgpr12_vgpr13_vgpr14_vgpr15_vgpr16_vgpr17_vgpr18_vgpr19_vgpr20_vgpr21_vgpr22_vgpr23_vgpr24_vgpr25_vgpr26_vgpr27_vgpr28_vgpr29_vgpr30_vgpr31_vgpr32
	s_wait_alu 0xfffe
	s_and_b32 vcc_lo, exec_lo, s1
	s_wait_alu 0xfffe
	s_cbranch_vccnz .LBB1042_123
	s_branch .LBB1042_148
.LBB1042_118:
	s_and_saveexec_b32 s6, s1
	s_cbranch_execz .LBB1042_120
; %bb.119:
	s_add_co_i32 s8, s20, 32
	s_mov_b32 s9, 0
	v_add_co_u32 v5, vcc_lo, v3, v1
	s_wait_alu 0xfffe
	s_lshl_b64 s[8:9], s[8:9], 4
	v_dual_mov_b32 v7, 2 :: v_dual_mov_b32 v8, 0
	s_wait_alu 0xfffe
	s_add_nc_u64 s[8:9], s[14:15], s[8:9]
	s_wait_alu 0xfffd
	v_add_co_ci_u32_e64 v6, null, v4, v2, vcc_lo
	s_wait_alu 0xfffe
	v_dual_mov_b32 v12, s9 :: v_dual_mov_b32 v11, s8
	;;#ASMSTART
	global_store_b128 v[11:12], v[5:8] off scope:SCOPE_DEV	
s_wait_storecnt 0x0
	;;#ASMEND
	ds_store_b128 v8, v[1:4] offset:6144
.LBB1042_120:
	s_or_b32 exec_lo, exec_lo, s6
	s_delay_alu instid0(SALU_CYCLE_1)
	s_and_b32 exec_lo, exec_lo, s2
; %bb.121:
	v_mov_b32_e32 v1, 0
	ds_store_b64 v1, v[3:4] offset:56
.LBB1042_122:
	s_wait_alu 0xfffe
	s_or_b32 exec_lo, exec_lo, s3
	v_mov_b32_e32 v17, 0
	s_wait_loadcnt_dscnt 0x0
	s_barrier_signal -1
	s_barrier_wait -1
	global_inv scope:SCOPE_SE
	ds_load_b64 v[1:2], v17 offset:56
	v_cndmask_b32_e64 v3, v15, v9, s1
	v_cndmask_b32_e64 v4, v16, v10, s1
	s_wait_loadcnt_dscnt 0x0
	s_barrier_signal -1
	s_barrier_wait -1
	v_cndmask_b32_e64 v3, v3, 0, s2
	v_cndmask_b32_e64 v4, v4, 0, s2
	global_inv scope:SCOPE_SE
	ds_load_b128 v[37:40], v17 offset:6144
	v_add_co_u32 v1, vcc_lo, v1, v3
	s_wait_alu 0xfffd
	v_add_co_ci_u32_e64 v2, null, v2, v4, vcc_lo
	s_delay_alu instid0(VALU_DEP_2) | instskip(SKIP_1) | instid1(VALU_DEP_2)
	v_add_co_u32 v3, vcc_lo, v1, v55
	s_wait_alu 0xfffd
	v_add_co_ci_u32_e64 v4, null, 0, v2, vcc_lo
	s_delay_alu instid0(VALU_DEP_2) | instskip(SKIP_1) | instid1(VALU_DEP_2)
	;; [unrolled: 4-line block ×11, first 2 shown]
	v_add_co_u32 v23, vcc_lo, v21, v57
	s_wait_alu 0xfffd
	v_add_co_ci_u32_e64 v24, null, 0, v22, vcc_lo
	s_branch .LBB1042_148
.LBB1042_123:
	v_dual_mov_b32 v2, 0 :: v_dual_mov_b32 v3, v47
	v_mov_b32_dpp v4, v47 row_shr:1 row_mask:0xf bank_mask:0xf
	s_delay_alu instid0(VALU_DEP_2)
	v_mov_b32_dpp v1, v2 row_shr:1 row_mask:0xf bank_mask:0xf
	s_and_saveexec_b32 s1, s0
; %bb.124:
	s_delay_alu instid0(VALU_DEP_2) | instskip(SKIP_2) | instid1(VALU_DEP_2)
	v_add_co_u32 v3, vcc_lo, v47, v4
	s_wait_alu 0xfffd
	v_add_co_ci_u32_e64 v2, null, 0, v48, vcc_lo
	v_add_co_u32 v47, vcc_lo, 0, v3
	s_wait_alu 0xfffd
	s_delay_alu instid0(VALU_DEP_2) | instskip(NEXT) | instid1(VALU_DEP_1)
	v_add_co_ci_u32_e64 v48, null, v1, v2, vcc_lo
	v_mov_b32_e32 v2, v48
; %bb.125:
	s_wait_alu 0xfffe
	s_or_b32 exec_lo, exec_lo, s1
	v_mov_b32_dpp v1, v3 row_shr:2 row_mask:0xf bank_mask:0xf
	s_delay_alu instid0(VALU_DEP_2)
	v_mov_b32_dpp v4, v2 row_shr:2 row_mask:0xf bank_mask:0xf
	s_mov_b32 s0, exec_lo
	v_cmpx_lt_u32_e32 1, v64
; %bb.126:
	s_delay_alu instid0(VALU_DEP_3) | instskip(SKIP_2) | instid1(VALU_DEP_2)
	v_add_co_u32 v3, vcc_lo, v47, v1
	s_wait_alu 0xfffd
	v_add_co_ci_u32_e64 v2, null, 0, v48, vcc_lo
	v_add_co_u32 v1, vcc_lo, 0, v3
	s_wait_alu 0xfffd
	s_delay_alu instid0(VALU_DEP_2) | instskip(NEXT) | instid1(VALU_DEP_1)
	v_add_co_ci_u32_e64 v2, null, v4, v2, vcc_lo
	v_dual_mov_b32 v48, v2 :: v_dual_mov_b32 v47, v1
; %bb.127:
	s_wait_alu 0xfffe
	s_or_b32 exec_lo, exec_lo, s0
	v_mov_b32_dpp v1, v3 row_shr:4 row_mask:0xf bank_mask:0xf
	v_mov_b32_dpp v4, v2 row_shr:4 row_mask:0xf bank_mask:0xf
	s_mov_b32 s0, exec_lo
	v_cmpx_lt_u32_e32 3, v64
; %bb.128:
	s_delay_alu instid0(VALU_DEP_3) | instskip(SKIP_2) | instid1(VALU_DEP_2)
	v_add_co_u32 v3, vcc_lo, v47, v1
	s_wait_alu 0xfffd
	v_add_co_ci_u32_e64 v2, null, 0, v48, vcc_lo
	v_add_co_u32 v1, vcc_lo, 0, v3
	s_wait_alu 0xfffd
	s_delay_alu instid0(VALU_DEP_2) | instskip(NEXT) | instid1(VALU_DEP_1)
	v_add_co_ci_u32_e64 v2, null, v4, v2, vcc_lo
	v_dual_mov_b32 v48, v2 :: v_dual_mov_b32 v47, v1
; %bb.129:
	s_wait_alu 0xfffe
	s_or_b32 exec_lo, exec_lo, s0
	v_mov_b32_dpp v4, v3 row_shr:8 row_mask:0xf bank_mask:0xf
	v_mov_b32_dpp v1, v2 row_shr:8 row_mask:0xf bank_mask:0xf
	s_mov_b32 s0, exec_lo
	v_cmpx_lt_u32_e32 7, v64
; %bb.130:
	s_delay_alu instid0(VALU_DEP_3) | instskip(SKIP_2) | instid1(VALU_DEP_2)
	v_add_co_u32 v3, vcc_lo, v47, v4
	s_wait_alu 0xfffd
	v_add_co_ci_u32_e64 v2, null, 0, v48, vcc_lo
	v_add_co_u32 v47, vcc_lo, 0, v3
	s_wait_alu 0xfffd
	s_delay_alu instid0(VALU_DEP_2) | instskip(NEXT) | instid1(VALU_DEP_1)
	v_add_co_ci_u32_e64 v48, null, v1, v2, vcc_lo
	v_mov_b32_e32 v2, v48
; %bb.131:
	s_wait_alu 0xfffe
	s_or_b32 exec_lo, exec_lo, s0
	ds_swizzle_b32 v3, v3 offset:swizzle(BROADCAST,32,15)
	ds_swizzle_b32 v1, v2 offset:swizzle(BROADCAST,32,15)
	v_and_b32_e32 v2, 16, v63
	s_mov_b32 s0, exec_lo
	s_delay_alu instid0(VALU_DEP_1)
	v_cmpx_ne_u32_e32 0, v2
	s_cbranch_execz .LBB1042_133
; %bb.132:
	s_wait_dscnt 0x1
	v_add_co_u32 v2, vcc_lo, v47, v3
	s_wait_alu 0xfffd
	v_add_co_ci_u32_e64 v3, null, 0, v48, vcc_lo
	s_delay_alu instid0(VALU_DEP_2) | instskip(SKIP_2) | instid1(VALU_DEP_2)
	v_add_co_u32 v47, vcc_lo, v2, 0
	s_wait_dscnt 0x0
	s_wait_alu 0xfffd
	v_add_co_ci_u32_e64 v48, null, v3, v1, vcc_lo
.LBB1042_133:
	s_wait_alu 0xfffe
	s_or_b32 exec_lo, exec_lo, s0
	s_wait_dscnt 0x0
	v_or_b32_e32 v1, 31, v0
	v_lshrrev_b32_e32 v3, 5, v0
	s_mov_b32 s0, exec_lo
	s_delay_alu instid0(VALU_DEP_2)
	v_cmpx_eq_u32_e64 v0, v1
; %bb.134:
	s_delay_alu instid0(VALU_DEP_2)
	v_lshlrev_b32_e32 v1, 3, v3
	ds_store_b64 v1, v[47:48]
; %bb.135:
	s_wait_alu 0xfffe
	s_or_b32 exec_lo, exec_lo, s0
	s_delay_alu instid0(SALU_CYCLE_1)
	s_mov_b32 s0, exec_lo
	s_wait_loadcnt_dscnt 0x0
	s_barrier_signal -1
	s_barrier_wait -1
	global_inv scope:SCOPE_SE
	v_cmpx_gt_u32_e32 8, v0
	s_cbranch_execz .LBB1042_143
; %bb.136:
	v_lshlrev_b32_e32 v4, 2, v0
	s_mov_b32 s1, exec_lo
	s_delay_alu instid0(VALU_DEP_1)
	v_sub_nc_u32_e32 v1, v53, v4
	ds_load_b64 v[1:2], v1
	s_wait_dscnt 0x0
	v_dual_mov_b32 v6, v1 :: v_dual_and_b32 v5, 7, v63
	v_mov_b32_dpp v8, v1 row_shr:1 row_mask:0xf bank_mask:0xf
	v_mov_b32_dpp v7, v2 row_shr:1 row_mask:0xf bank_mask:0xf
	s_delay_alu instid0(VALU_DEP_3)
	v_cmpx_ne_u32_e32 0, v5
; %bb.137:
	s_delay_alu instid0(VALU_DEP_3) | instskip(SKIP_2) | instid1(VALU_DEP_2)
	v_add_co_u32 v6, vcc_lo, v1, v8
	s_wait_alu 0xfffd
	v_add_co_ci_u32_e64 v2, null, 0, v2, vcc_lo
	v_add_co_u32 v1, vcc_lo, 0, v6
	s_wait_alu 0xfffd
	s_delay_alu instid0(VALU_DEP_2)
	v_add_co_ci_u32_e64 v2, null, v7, v2, vcc_lo
; %bb.138:
	s_wait_alu 0xfffe
	s_or_b32 exec_lo, exec_lo, s1
	v_mov_b32_dpp v8, v6 row_shr:2 row_mask:0xf bank_mask:0xf
	s_delay_alu instid0(VALU_DEP_2)
	v_mov_b32_dpp v7, v2 row_shr:2 row_mask:0xf bank_mask:0xf
	s_mov_b32 s1, exec_lo
	v_cmpx_lt_u32_e32 1, v5
; %bb.139:
	s_delay_alu instid0(VALU_DEP_3) | instskip(SKIP_2) | instid1(VALU_DEP_2)
	v_add_co_u32 v6, vcc_lo, v1, v8
	s_wait_alu 0xfffd
	v_add_co_ci_u32_e64 v2, null, 0, v2, vcc_lo
	v_add_co_u32 v1, vcc_lo, 0, v6
	s_wait_alu 0xfffd
	s_delay_alu instid0(VALU_DEP_2)
	v_add_co_ci_u32_e64 v2, null, v7, v2, vcc_lo
; %bb.140:
	s_wait_alu 0xfffe
	s_or_b32 exec_lo, exec_lo, s1
	v_sub_nc_u32_e32 v4, 0, v4
	v_mov_b32_dpp v7, v6 row_shr:4 row_mask:0xf bank_mask:0xf
	v_mov_b32_dpp v6, v2 row_shr:4 row_mask:0xf bank_mask:0xf
	s_mov_b32 s1, exec_lo
	v_cmpx_lt_u32_e32 3, v5
; %bb.141:
	s_delay_alu instid0(VALU_DEP_3) | instskip(SKIP_2) | instid1(VALU_DEP_2)
	v_add_co_u32 v1, vcc_lo, v1, v7
	s_wait_alu 0xfffd
	v_add_co_ci_u32_e64 v2, null, 0, v2, vcc_lo
	v_add_co_u32 v1, vcc_lo, v1, 0
	s_wait_alu 0xfffd
	s_delay_alu instid0(VALU_DEP_2)
	v_add_co_ci_u32_e64 v2, null, v2, v6, vcc_lo
; %bb.142:
	s_wait_alu 0xfffe
	s_or_b32 exec_lo, exec_lo, s1
	v_add_nc_u32_e32 v4, v53, v4
	ds_store_b64 v4, v[1:2]
.LBB1042_143:
	s_wait_alu 0xfffe
	s_or_b32 exec_lo, exec_lo, s0
	v_mov_b32_e32 v1, 0
	v_mov_b32_e32 v2, 0
	s_mov_b32 s0, exec_lo
	s_wait_loadcnt_dscnt 0x0
	s_barrier_signal -1
	s_barrier_wait -1
	global_inv scope:SCOPE_SE
	v_cmpx_lt_u32_e32 31, v0
; %bb.144:
	v_lshl_add_u32 v1, v3, 3, -8
	ds_load_b64 v[1:2], v1
; %bb.145:
	s_wait_alu 0xfffe
	s_or_b32 exec_lo, exec_lo, s0
	v_sub_co_u32 v3, vcc_lo, v63, 1
	v_mov_b32_e32 v40, 0
	s_delay_alu instid0(VALU_DEP_2) | instskip(SKIP_3) | instid1(VALU_DEP_1)
	v_cmp_gt_i32_e64 s0, 0, v3
	ds_load_b64 v[37:38], v40 offset:56
	s_wait_alu 0xf1ff
	v_cndmask_b32_e64 v3, v3, v63, s0
	v_lshlrev_b32_e32 v4, 2, v3
	s_wait_dscnt 0x1
	v_add_co_u32 v3, s0, v1, v47
	s_wait_alu 0xf1ff
	v_add_co_ci_u32_e64 v5, null, v2, v48, s0
	ds_bpermute_b32 v3, v4, v3
	ds_bpermute_b32 v4, v4, v5
	s_and_saveexec_b32 s0, s2
	s_cbranch_execz .LBB1042_147
; %bb.146:
	s_add_nc_u64 s[6:7], s[14:15], 0x200
	v_mov_b32_e32 v39, 2
	v_dual_mov_b32 v5, s6 :: v_dual_mov_b32 v6, s7
	s_wait_dscnt 0x2
	;;#ASMSTART
	global_store_b128 v[5:6], v[37:40] off scope:SCOPE_DEV	
s_wait_storecnt 0x0
	;;#ASMEND
.LBB1042_147:
	s_wait_alu 0xfffe
	s_or_b32 exec_lo, exec_lo, s0
	s_wait_dscnt 0x0
	s_wait_alu 0xfffd
	v_dual_cndmask_b32 v1, v3, v1 :: v_dual_cndmask_b32 v2, v4, v2
	v_mov_b32_e32 v39, 0
	v_mov_b32_e32 v40, 0
	s_wait_loadcnt 0x0
	s_delay_alu instid0(VALU_DEP_3)
	v_cndmask_b32_e64 v1, v1, 0, s2
	v_cndmask_b32_e64 v2, v2, 0, s2
	s_barrier_signal -1
	s_barrier_wait -1
	global_inv scope:SCOPE_SE
	v_add_co_u32 v3, vcc_lo, v1, v55
	s_wait_alu 0xfffd
	v_add_co_ci_u32_e64 v4, null, 0, v2, vcc_lo
	s_delay_alu instid0(VALU_DEP_2) | instskip(SKIP_1) | instid1(VALU_DEP_2)
	v_add_co_u32 v5, vcc_lo, v3, v56
	s_wait_alu 0xfffd
	v_add_co_ci_u32_e64 v6, null, 0, v4, vcc_lo
	s_delay_alu instid0(VALU_DEP_2) | instskip(SKIP_1) | instid1(VALU_DEP_2)
	;; [unrolled: 4-line block ×10, first 2 shown]
	v_add_co_u32 v23, vcc_lo, v21, v57
	s_wait_alu 0xfffd
	v_add_co_ci_u32_e64 v24, null, 0, v22, vcc_lo
.LBB1042_148:
	v_lshrrev_b32_e32 v58, 8, v45
	v_lshrrev_b32_e32 v56, 16, v45
	v_and_b32_e32 v45, 1, v45
	s_wait_dscnt 0x0
	v_cmp_gt_u64_e32 vcc_lo, 0x101, v[37:38]
	v_lshlrev_b64_e32 v[25:26], 1, v[41:42]
	v_lshrrev_b32_e32 v53, 8, v46
	v_lshrrev_b32_e32 v48, 16, v46
	;; [unrolled: 1-line block ×10, first 2 shown]
	v_cmp_eq_u32_e64 s0, 1, v45
	s_mov_b32 s1, -1
	s_cbranch_vccnz .LBB1042_152
; %bb.149:
	s_wait_alu 0xfffe
	s_and_b32 vcc_lo, exec_lo, s1
	s_wait_alu 0xfffe
	s_cbranch_vccnz .LBB1042_177
.LBB1042_150:
	s_and_b32 s0, s2, s18
	s_wait_alu 0xfffe
	s_and_saveexec_b32 s1, s0
	s_cbranch_execnz .LBB1042_204
.LBB1042_151:
	s_endpgm
.LBB1042_152:
	v_add_co_u32 v27, vcc_lo, v39, v37
	s_wait_alu 0xfffd
	v_add_co_ci_u32_e64 v28, null, v40, v38, vcc_lo
	v_add_co_u32 v59, s1, s12, v25
	s_wait_alu 0xf1fe
	v_add_co_ci_u32_e64 v60, null, s13, v26, s1
	s_delay_alu instid0(VALU_DEP_3)
	v_cmp_lt_u64_e32 vcc_lo, v[1:2], v[27:28]
	s_or_b32 s1, s19, vcc_lo
	s_wait_alu 0xfffe
	s_and_b32 s1, s1, s0
	s_wait_alu 0xfffe
	s_and_saveexec_b32 s0, s1
	s_cbranch_execz .LBB1042_154
; %bb.153:
	v_lshlrev_b64_e32 v[61:62], 1, v[1:2]
	s_delay_alu instid0(VALU_DEP_1) | instskip(SKIP_1) | instid1(VALU_DEP_2)
	v_add_co_u32 v61, vcc_lo, v59, v61
	s_wait_alu 0xfffd
	v_add_co_ci_u32_e64 v62, null, v60, v62, vcc_lo
	global_store_b16 v[61:62], v33, off
.LBB1042_154:
	s_wait_alu 0xfffe
	s_or_b32 exec_lo, exec_lo, s0
	v_and_b32_e32 v2, 1, v58
	v_cmp_lt_u64_e32 vcc_lo, v[3:4], v[27:28]
	s_delay_alu instid0(VALU_DEP_2)
	v_cmp_eq_u32_e64 s0, 1, v2
	s_or_b32 s1, s19, vcc_lo
	s_wait_alu 0xfffe
	s_and_b32 s1, s1, s0
	s_wait_alu 0xfffe
	s_and_saveexec_b32 s0, s1
	s_cbranch_execz .LBB1042_156
; %bb.155:
	v_lshlrev_b64_e32 v[61:62], 1, v[3:4]
	s_delay_alu instid0(VALU_DEP_1) | instskip(SKIP_1) | instid1(VALU_DEP_2)
	v_add_co_u32 v61, vcc_lo, v59, v61
	s_wait_alu 0xfffd
	v_add_co_ci_u32_e64 v62, null, v60, v62, vcc_lo
	global_store_b16 v[61:62], v57, off
.LBB1042_156:
	s_wait_alu 0xfffe
	s_or_b32 exec_lo, exec_lo, s0
	v_and_b32_e32 v2, 1, v56
	v_cmp_lt_u64_e32 vcc_lo, v[5:6], v[27:28]
	s_delay_alu instid0(VALU_DEP_2)
	v_cmp_eq_u32_e64 s0, 1, v2
	s_or_b32 s1, s19, vcc_lo
	s_wait_alu 0xfffe
	s_and_b32 s1, s1, s0
	s_wait_alu 0xfffe
	s_and_saveexec_b32 s0, s1
	s_cbranch_execz .LBB1042_158
; %bb.157:
	v_lshlrev_b64_e32 v[61:62], 1, v[5:6]
	s_delay_alu instid0(VALU_DEP_1) | instskip(SKIP_1) | instid1(VALU_DEP_2)
	v_add_co_u32 v61, vcc_lo, v59, v61
	s_wait_alu 0xfffd
	v_add_co_ci_u32_e64 v62, null, v60, v62, vcc_lo
	global_store_b16 v[61:62], v34, off
.LBB1042_158:
	s_wait_alu 0xfffe
	s_or_b32 exec_lo, exec_lo, s0
	v_and_b32_e32 v2, 1, v52
	v_cmp_lt_u64_e32 vcc_lo, v[7:8], v[27:28]
	s_delay_alu instid0(VALU_DEP_2)
	v_cmp_eq_u32_e64 s0, 1, v2
	s_or_b32 s1, s19, vcc_lo
	s_wait_alu 0xfffe
	s_and_b32 s1, s1, s0
	s_wait_alu 0xfffe
	s_and_saveexec_b32 s0, s1
	s_cbranch_execz .LBB1042_160
; %bb.159:
	v_lshlrev_b64_e32 v[61:62], 1, v[7:8]
	s_delay_alu instid0(VALU_DEP_1) | instskip(SKIP_1) | instid1(VALU_DEP_2)
	v_add_co_u32 v61, vcc_lo, v59, v61
	s_wait_alu 0xfffd
	v_add_co_ci_u32_e64 v62, null, v60, v62, vcc_lo
	global_store_b16 v[61:62], v55, off
.LBB1042_160:
	s_wait_alu 0xfffe
	s_or_b32 exec_lo, exec_lo, s0
	v_and_b32_e32 v2, 1, v46
	v_cmp_lt_u64_e32 vcc_lo, v[9:10], v[27:28]
	s_delay_alu instid0(VALU_DEP_2)
	v_cmp_eq_u32_e64 s0, 1, v2
	s_or_b32 s1, s19, vcc_lo
	s_wait_alu 0xfffe
	s_and_b32 s1, s1, s0
	s_wait_alu 0xfffe
	s_and_saveexec_b32 s0, s1
	s_cbranch_execz .LBB1042_162
; %bb.161:
	v_lshlrev_b64_e32 v[61:62], 1, v[9:10]
	s_delay_alu instid0(VALU_DEP_1) | instskip(SKIP_1) | instid1(VALU_DEP_2)
	v_add_co_u32 v61, vcc_lo, v59, v61
	s_wait_alu 0xfffd
	v_add_co_ci_u32_e64 v62, null, v60, v62, vcc_lo
	global_store_b16 v[61:62], v35, off
.LBB1042_162:
	s_wait_alu 0xfffe
	s_or_b32 exec_lo, exec_lo, s0
	v_and_b32_e32 v2, 1, v53
	v_cmp_lt_u64_e32 vcc_lo, v[11:12], v[27:28]
	s_delay_alu instid0(VALU_DEP_2)
	v_cmp_eq_u32_e64 s0, 1, v2
	s_or_b32 s1, s19, vcc_lo
	s_wait_alu 0xfffe
	s_and_b32 s1, s1, s0
	s_wait_alu 0xfffe
	s_and_saveexec_b32 s0, s1
	s_cbranch_execz .LBB1042_164
; %bb.163:
	v_lshlrev_b64_e32 v[61:62], 1, v[11:12]
	s_delay_alu instid0(VALU_DEP_1) | instskip(SKIP_1) | instid1(VALU_DEP_2)
	v_add_co_u32 v61, vcc_lo, v59, v61
	s_wait_alu 0xfffd
	v_add_co_ci_u32_e64 v62, null, v60, v62, vcc_lo
	global_store_b16 v[61:62], v54, off
.LBB1042_164:
	s_wait_alu 0xfffe
	s_or_b32 exec_lo, exec_lo, s0
	v_and_b32_e32 v2, 1, v48
	v_cmp_lt_u64_e32 vcc_lo, v[13:14], v[27:28]
	s_delay_alu instid0(VALU_DEP_2)
	v_cmp_eq_u32_e64 s0, 1, v2
	s_or_b32 s1, s19, vcc_lo
	s_wait_alu 0xfffe
	s_and_b32 s1, s1, s0
	s_wait_alu 0xfffe
	s_and_saveexec_b32 s0, s1
	s_cbranch_execz .LBB1042_166
; %bb.165:
	v_lshlrev_b64_e32 v[61:62], 1, v[13:14]
	s_delay_alu instid0(VALU_DEP_1) | instskip(SKIP_1) | instid1(VALU_DEP_2)
	v_add_co_u32 v61, vcc_lo, v59, v61
	s_wait_alu 0xfffd
	v_add_co_ci_u32_e64 v62, null, v60, v62, vcc_lo
	global_store_b16 v[61:62], v36, off
.LBB1042_166:
	s_wait_alu 0xfffe
	s_or_b32 exec_lo, exec_lo, s0
	v_and_b32_e32 v2, 1, v51
	v_cmp_lt_u64_e32 vcc_lo, v[15:16], v[27:28]
	s_delay_alu instid0(VALU_DEP_2)
	v_cmp_eq_u32_e64 s0, 1, v2
	s_or_b32 s1, s19, vcc_lo
	s_wait_alu 0xfffe
	s_and_b32 s1, s1, s0
	s_wait_alu 0xfffe
	s_and_saveexec_b32 s0, s1
	s_cbranch_execz .LBB1042_168
; %bb.167:
	v_lshlrev_b64_e32 v[61:62], 1, v[15:16]
	s_delay_alu instid0(VALU_DEP_1) | instskip(SKIP_1) | instid1(VALU_DEP_2)
	v_add_co_u32 v61, vcc_lo, v59, v61
	s_wait_alu 0xfffd
	v_add_co_ci_u32_e64 v62, null, v60, v62, vcc_lo
	global_store_b16 v[61:62], v47, off
.LBB1042_168:
	s_wait_alu 0xfffe
	s_or_b32 exec_lo, exec_lo, s0
	v_and_b32_e32 v2, 1, v49
	v_cmp_lt_u64_e32 vcc_lo, v[17:18], v[27:28]
	s_delay_alu instid0(VALU_DEP_2)
	v_cmp_eq_u32_e64 s0, 1, v2
	s_or_b32 s1, s19, vcc_lo
	s_wait_alu 0xfffe
	s_and_b32 s1, s1, s0
	s_wait_alu 0xfffe
	s_and_saveexec_b32 s0, s1
	s_cbranch_execz .LBB1042_170
; %bb.169:
	v_lshlrev_b64_e32 v[61:62], 1, v[17:18]
	s_delay_alu instid0(VALU_DEP_1) | instskip(SKIP_1) | instid1(VALU_DEP_2)
	v_add_co_u32 v61, vcc_lo, v59, v61
	s_wait_alu 0xfffd
	v_add_co_ci_u32_e64 v62, null, v60, v62, vcc_lo
	global_store_b16 v[61:62], v43, off
.LBB1042_170:
	s_wait_alu 0xfffe
	s_or_b32 exec_lo, exec_lo, s0
	v_and_b32_e32 v2, 1, v31
	v_cmp_lt_u64_e32 vcc_lo, v[19:20], v[27:28]
	s_delay_alu instid0(VALU_DEP_2)
	v_cmp_eq_u32_e64 s0, 1, v2
	s_or_b32 s1, s19, vcc_lo
	s_wait_alu 0xfffe
	s_and_b32 s1, s1, s0
	s_wait_alu 0xfffe
	s_and_saveexec_b32 s0, s1
	s_cbranch_execz .LBB1042_172
; %bb.171:
	v_lshlrev_b64_e32 v[61:62], 1, v[19:20]
	s_delay_alu instid0(VALU_DEP_1) | instskip(SKIP_1) | instid1(VALU_DEP_2)
	v_add_co_u32 v61, vcc_lo, v59, v61
	s_wait_alu 0xfffd
	v_add_co_ci_u32_e64 v62, null, v60, v62, vcc_lo
	global_store_b16 v[61:62], v32, off
.LBB1042_172:
	s_wait_alu 0xfffe
	s_or_b32 exec_lo, exec_lo, s0
	v_and_b32_e32 v2, 1, v30
	v_cmp_lt_u64_e32 vcc_lo, v[21:22], v[27:28]
	s_delay_alu instid0(VALU_DEP_2)
	v_cmp_eq_u32_e64 s0, 1, v2
	s_or_b32 s1, s19, vcc_lo
	s_wait_alu 0xfffe
	s_and_b32 s1, s1, s0
	s_wait_alu 0xfffe
	s_and_saveexec_b32 s0, s1
	s_cbranch_execz .LBB1042_174
; %bb.173:
	v_lshlrev_b64_e32 v[61:62], 1, v[21:22]
	s_delay_alu instid0(VALU_DEP_1) | instskip(SKIP_1) | instid1(VALU_DEP_2)
	v_add_co_u32 v61, vcc_lo, v59, v61
	s_wait_alu 0xfffd
	v_add_co_ci_u32_e64 v62, null, v60, v62, vcc_lo
	global_store_b16 v[61:62], v44, off
.LBB1042_174:
	s_wait_alu 0xfffe
	s_or_b32 exec_lo, exec_lo, s0
	v_and_b32_e32 v2, 1, v50
	v_cmp_lt_u64_e32 vcc_lo, v[23:24], v[27:28]
	s_delay_alu instid0(VALU_DEP_2)
	v_cmp_eq_u32_e64 s0, 1, v2
	s_or_b32 s1, s19, vcc_lo
	s_wait_alu 0xfffe
	s_and_b32 s1, s1, s0
	s_wait_alu 0xfffe
	s_and_saveexec_b32 s0, s1
	s_cbranch_execz .LBB1042_176
; %bb.175:
	v_lshlrev_b64_e32 v[27:28], 1, v[23:24]
	s_delay_alu instid0(VALU_DEP_1) | instskip(SKIP_1) | instid1(VALU_DEP_2)
	v_add_co_u32 v27, vcc_lo, v59, v27
	s_wait_alu 0xfffd
	v_add_co_ci_u32_e64 v28, null, v60, v28, vcc_lo
	global_store_b16 v[27:28], v29, off
.LBB1042_176:
	s_wait_alu 0xfffe
	s_or_b32 exec_lo, exec_lo, s0
	s_branch .LBB1042_150
.LBB1042_177:
	s_mov_b32 s0, exec_lo
	v_cmpx_eq_u32_e32 1, v45
; %bb.178:
	v_sub_nc_u32_e32 v1, v1, v39
	s_delay_alu instid0(VALU_DEP_1)
	v_lshlrev_b32_e32 v1, 1, v1
	ds_store_b16 v1, v33
; %bb.179:
	s_wait_alu 0xfffe
	s_or_b32 exec_lo, exec_lo, s0
	v_and_b32_e32 v1, 1, v58
	s_mov_b32 s0, exec_lo
	s_delay_alu instid0(VALU_DEP_1)
	v_cmpx_eq_u32_e32 1, v1
; %bb.180:
	v_sub_nc_u32_e32 v1, v3, v39
	s_delay_alu instid0(VALU_DEP_1)
	v_lshlrev_b32_e32 v1, 1, v1
	ds_store_b16 v1, v57
; %bb.181:
	s_wait_alu 0xfffe
	s_or_b32 exec_lo, exec_lo, s0
	v_and_b32_e32 v1, 1, v56
	s_mov_b32 s0, exec_lo
	s_delay_alu instid0(VALU_DEP_1)
	;; [unrolled: 12-line block ×11, first 2 shown]
	v_cmpx_eq_u32_e32 1, v1
; %bb.200:
	v_sub_nc_u32_e32 v1, v23, v39
	s_delay_alu instid0(VALU_DEP_1)
	v_lshlrev_b32_e32 v1, 1, v1
	ds_store_b16 v1, v29
; %bb.201:
	s_wait_alu 0xfffe
	s_or_b32 exec_lo, exec_lo, s0
	v_lshlrev_b64_e32 v[4:5], 1, v[39:40]
	v_add_co_u32 v6, vcc_lo, s12, v25
	v_mov_b32_e32 v1, 0
	s_wait_alu 0xfffd
	v_add_co_ci_u32_e64 v7, null, s13, v26, vcc_lo
	s_delay_alu instid0(VALU_DEP_3) | instskip(NEXT) | instid1(VALU_DEP_3)
	v_add_co_u32 v4, vcc_lo, v6, v4
	v_dual_mov_b32 v3, v1 :: v_dual_mov_b32 v2, v0
	s_wait_alu 0xfffd
	s_delay_alu instid0(VALU_DEP_3)
	v_add_co_ci_u32_e64 v5, null, v7, v5, vcc_lo
	v_or_b32_e32 v0, 0x100, v0
	s_mov_b32 s1, 0
	s_wait_storecnt 0x0
	s_wait_loadcnt_dscnt 0x0
	s_barrier_signal -1
	s_barrier_wait -1
	global_inv scope:SCOPE_SE
.LBB1042_202:                           ; =>This Inner Loop Header: Depth=1
	v_lshlrev_b32_e32 v6, 1, v2
	v_cmp_le_u64_e32 vcc_lo, v[37:38], v[0:1]
	ds_load_u16 v8, v6
	v_lshlrev_b64_e32 v[6:7], 1, v[2:3]
	v_dual_mov_b32 v3, v1 :: v_dual_mov_b32 v2, v0
	v_add_nc_u32_e32 v0, 0x100, v0
	s_wait_alu 0xfffe
	s_or_b32 s1, vcc_lo, s1
	s_delay_alu instid0(VALU_DEP_3)
	v_add_co_u32 v6, s0, v4, v6
	s_wait_alu 0xf1ff
	v_add_co_ci_u32_e64 v7, null, v5, v7, s0
	s_wait_dscnt 0x0
	global_store_b16 v[6:7], v8, off
	s_wait_alu 0xfffe
	s_and_not1_b32 exec_lo, exec_lo, s1
	s_cbranch_execnz .LBB1042_202
; %bb.203:
	s_or_b32 exec_lo, exec_lo, s1
	s_and_b32 s0, s2, s18
	s_wait_alu 0xfffe
	s_and_saveexec_b32 s1, s0
	s_cbranch_execz .LBB1042_151
.LBB1042_204:
	v_add_co_u32 v0, vcc_lo, v39, v37
	s_wait_alu 0xfffd
	v_add_co_ci_u32_e64 v1, null, v40, v38, vcc_lo
	v_mov_b32_e32 v2, 0
	s_delay_alu instid0(VALU_DEP_3) | instskip(SKIP_1) | instid1(VALU_DEP_3)
	v_add_co_u32 v0, vcc_lo, v0, v41
	s_wait_alu 0xfffd
	v_add_co_ci_u32_e64 v1, null, v1, v42, vcc_lo
	global_store_b64 v2, v[0:1], s[4:5]
	s_endpgm
	.section	.rodata,"a",@progbits
	.p2align	6, 0x0
	.amdhsa_kernel _ZN7rocprim17ROCPRIM_400000_NS6detail17trampoline_kernelINS0_14default_configENS1_25partition_config_selectorILNS1_17partition_subalgoE5EsNS0_10empty_typeEbEEZZNS1_14partition_implILS5_5ELb0ES3_mN6thrust23THRUST_200600_302600_NS6detail15normal_iteratorINSA_10device_ptrIsEEEEPS6_NSA_18transform_iteratorINSB_9not_fun_tINSA_8identityIsEEEESF_NSA_11use_defaultESM_EENS0_5tupleIJSF_S6_EEENSO_IJSG_SG_EEES6_PlJS6_EEE10hipError_tPvRmT3_T4_T5_T6_T7_T9_mT8_P12ihipStream_tbDpT10_ENKUlT_T0_E_clISt17integral_constantIbLb0EES1A_IbLb1EEEEDaS16_S17_EUlS16_E_NS1_11comp_targetILNS1_3genE10ELNS1_11target_archE1200ELNS1_3gpuE4ELNS1_3repE0EEENS1_30default_config_static_selectorELNS0_4arch9wavefront6targetE0EEEvT1_
		.amdhsa_group_segment_fixed_size 6160
		.amdhsa_private_segment_fixed_size 0
		.amdhsa_kernarg_size 136
		.amdhsa_user_sgpr_count 2
		.amdhsa_user_sgpr_dispatch_ptr 0
		.amdhsa_user_sgpr_queue_ptr 0
		.amdhsa_user_sgpr_kernarg_segment_ptr 1
		.amdhsa_user_sgpr_dispatch_id 0
		.amdhsa_user_sgpr_private_segment_size 0
		.amdhsa_wavefront_size32 1
		.amdhsa_uses_dynamic_stack 0
		.amdhsa_enable_private_segment 0
		.amdhsa_system_sgpr_workgroup_id_x 1
		.amdhsa_system_sgpr_workgroup_id_y 0
		.amdhsa_system_sgpr_workgroup_id_z 0
		.amdhsa_system_sgpr_workgroup_info 0
		.amdhsa_system_vgpr_workitem_id 0
		.amdhsa_next_free_vgpr 65
		.amdhsa_next_free_sgpr 24
		.amdhsa_reserve_vcc 1
		.amdhsa_float_round_mode_32 0
		.amdhsa_float_round_mode_16_64 0
		.amdhsa_float_denorm_mode_32 3
		.amdhsa_float_denorm_mode_16_64 3
		.amdhsa_fp16_overflow 0
		.amdhsa_workgroup_processor_mode 1
		.amdhsa_memory_ordered 1
		.amdhsa_forward_progress 1
		.amdhsa_inst_pref_size 84
		.amdhsa_round_robin_scheduling 0
		.amdhsa_exception_fp_ieee_invalid_op 0
		.amdhsa_exception_fp_denorm_src 0
		.amdhsa_exception_fp_ieee_div_zero 0
		.amdhsa_exception_fp_ieee_overflow 0
		.amdhsa_exception_fp_ieee_underflow 0
		.amdhsa_exception_fp_ieee_inexact 0
		.amdhsa_exception_int_div_zero 0
	.end_amdhsa_kernel
	.section	.text._ZN7rocprim17ROCPRIM_400000_NS6detail17trampoline_kernelINS0_14default_configENS1_25partition_config_selectorILNS1_17partition_subalgoE5EsNS0_10empty_typeEbEEZZNS1_14partition_implILS5_5ELb0ES3_mN6thrust23THRUST_200600_302600_NS6detail15normal_iteratorINSA_10device_ptrIsEEEEPS6_NSA_18transform_iteratorINSB_9not_fun_tINSA_8identityIsEEEESF_NSA_11use_defaultESM_EENS0_5tupleIJSF_S6_EEENSO_IJSG_SG_EEES6_PlJS6_EEE10hipError_tPvRmT3_T4_T5_T6_T7_T9_mT8_P12ihipStream_tbDpT10_ENKUlT_T0_E_clISt17integral_constantIbLb0EES1A_IbLb1EEEEDaS16_S17_EUlS16_E_NS1_11comp_targetILNS1_3genE10ELNS1_11target_archE1200ELNS1_3gpuE4ELNS1_3repE0EEENS1_30default_config_static_selectorELNS0_4arch9wavefront6targetE0EEEvT1_,"axG",@progbits,_ZN7rocprim17ROCPRIM_400000_NS6detail17trampoline_kernelINS0_14default_configENS1_25partition_config_selectorILNS1_17partition_subalgoE5EsNS0_10empty_typeEbEEZZNS1_14partition_implILS5_5ELb0ES3_mN6thrust23THRUST_200600_302600_NS6detail15normal_iteratorINSA_10device_ptrIsEEEEPS6_NSA_18transform_iteratorINSB_9not_fun_tINSA_8identityIsEEEESF_NSA_11use_defaultESM_EENS0_5tupleIJSF_S6_EEENSO_IJSG_SG_EEES6_PlJS6_EEE10hipError_tPvRmT3_T4_T5_T6_T7_T9_mT8_P12ihipStream_tbDpT10_ENKUlT_T0_E_clISt17integral_constantIbLb0EES1A_IbLb1EEEEDaS16_S17_EUlS16_E_NS1_11comp_targetILNS1_3genE10ELNS1_11target_archE1200ELNS1_3gpuE4ELNS1_3repE0EEENS1_30default_config_static_selectorELNS0_4arch9wavefront6targetE0EEEvT1_,comdat
.Lfunc_end1042:
	.size	_ZN7rocprim17ROCPRIM_400000_NS6detail17trampoline_kernelINS0_14default_configENS1_25partition_config_selectorILNS1_17partition_subalgoE5EsNS0_10empty_typeEbEEZZNS1_14partition_implILS5_5ELb0ES3_mN6thrust23THRUST_200600_302600_NS6detail15normal_iteratorINSA_10device_ptrIsEEEEPS6_NSA_18transform_iteratorINSB_9not_fun_tINSA_8identityIsEEEESF_NSA_11use_defaultESM_EENS0_5tupleIJSF_S6_EEENSO_IJSG_SG_EEES6_PlJS6_EEE10hipError_tPvRmT3_T4_T5_T6_T7_T9_mT8_P12ihipStream_tbDpT10_ENKUlT_T0_E_clISt17integral_constantIbLb0EES1A_IbLb1EEEEDaS16_S17_EUlS16_E_NS1_11comp_targetILNS1_3genE10ELNS1_11target_archE1200ELNS1_3gpuE4ELNS1_3repE0EEENS1_30default_config_static_selectorELNS0_4arch9wavefront6targetE0EEEvT1_, .Lfunc_end1042-_ZN7rocprim17ROCPRIM_400000_NS6detail17trampoline_kernelINS0_14default_configENS1_25partition_config_selectorILNS1_17partition_subalgoE5EsNS0_10empty_typeEbEEZZNS1_14partition_implILS5_5ELb0ES3_mN6thrust23THRUST_200600_302600_NS6detail15normal_iteratorINSA_10device_ptrIsEEEEPS6_NSA_18transform_iteratorINSB_9not_fun_tINSA_8identityIsEEEESF_NSA_11use_defaultESM_EENS0_5tupleIJSF_S6_EEENSO_IJSG_SG_EEES6_PlJS6_EEE10hipError_tPvRmT3_T4_T5_T6_T7_T9_mT8_P12ihipStream_tbDpT10_ENKUlT_T0_E_clISt17integral_constantIbLb0EES1A_IbLb1EEEEDaS16_S17_EUlS16_E_NS1_11comp_targetILNS1_3genE10ELNS1_11target_archE1200ELNS1_3gpuE4ELNS1_3repE0EEENS1_30default_config_static_selectorELNS0_4arch9wavefront6targetE0EEEvT1_
                                        ; -- End function
	.set _ZN7rocprim17ROCPRIM_400000_NS6detail17trampoline_kernelINS0_14default_configENS1_25partition_config_selectorILNS1_17partition_subalgoE5EsNS0_10empty_typeEbEEZZNS1_14partition_implILS5_5ELb0ES3_mN6thrust23THRUST_200600_302600_NS6detail15normal_iteratorINSA_10device_ptrIsEEEEPS6_NSA_18transform_iteratorINSB_9not_fun_tINSA_8identityIsEEEESF_NSA_11use_defaultESM_EENS0_5tupleIJSF_S6_EEENSO_IJSG_SG_EEES6_PlJS6_EEE10hipError_tPvRmT3_T4_T5_T6_T7_T9_mT8_P12ihipStream_tbDpT10_ENKUlT_T0_E_clISt17integral_constantIbLb0EES1A_IbLb1EEEEDaS16_S17_EUlS16_E_NS1_11comp_targetILNS1_3genE10ELNS1_11target_archE1200ELNS1_3gpuE4ELNS1_3repE0EEENS1_30default_config_static_selectorELNS0_4arch9wavefront6targetE0EEEvT1_.num_vgpr, 65
	.set _ZN7rocprim17ROCPRIM_400000_NS6detail17trampoline_kernelINS0_14default_configENS1_25partition_config_selectorILNS1_17partition_subalgoE5EsNS0_10empty_typeEbEEZZNS1_14partition_implILS5_5ELb0ES3_mN6thrust23THRUST_200600_302600_NS6detail15normal_iteratorINSA_10device_ptrIsEEEEPS6_NSA_18transform_iteratorINSB_9not_fun_tINSA_8identityIsEEEESF_NSA_11use_defaultESM_EENS0_5tupleIJSF_S6_EEENSO_IJSG_SG_EEES6_PlJS6_EEE10hipError_tPvRmT3_T4_T5_T6_T7_T9_mT8_P12ihipStream_tbDpT10_ENKUlT_T0_E_clISt17integral_constantIbLb0EES1A_IbLb1EEEEDaS16_S17_EUlS16_E_NS1_11comp_targetILNS1_3genE10ELNS1_11target_archE1200ELNS1_3gpuE4ELNS1_3repE0EEENS1_30default_config_static_selectorELNS0_4arch9wavefront6targetE0EEEvT1_.num_agpr, 0
	.set _ZN7rocprim17ROCPRIM_400000_NS6detail17trampoline_kernelINS0_14default_configENS1_25partition_config_selectorILNS1_17partition_subalgoE5EsNS0_10empty_typeEbEEZZNS1_14partition_implILS5_5ELb0ES3_mN6thrust23THRUST_200600_302600_NS6detail15normal_iteratorINSA_10device_ptrIsEEEEPS6_NSA_18transform_iteratorINSB_9not_fun_tINSA_8identityIsEEEESF_NSA_11use_defaultESM_EENS0_5tupleIJSF_S6_EEENSO_IJSG_SG_EEES6_PlJS6_EEE10hipError_tPvRmT3_T4_T5_T6_T7_T9_mT8_P12ihipStream_tbDpT10_ENKUlT_T0_E_clISt17integral_constantIbLb0EES1A_IbLb1EEEEDaS16_S17_EUlS16_E_NS1_11comp_targetILNS1_3genE10ELNS1_11target_archE1200ELNS1_3gpuE4ELNS1_3repE0EEENS1_30default_config_static_selectorELNS0_4arch9wavefront6targetE0EEEvT1_.numbered_sgpr, 24
	.set _ZN7rocprim17ROCPRIM_400000_NS6detail17trampoline_kernelINS0_14default_configENS1_25partition_config_selectorILNS1_17partition_subalgoE5EsNS0_10empty_typeEbEEZZNS1_14partition_implILS5_5ELb0ES3_mN6thrust23THRUST_200600_302600_NS6detail15normal_iteratorINSA_10device_ptrIsEEEEPS6_NSA_18transform_iteratorINSB_9not_fun_tINSA_8identityIsEEEESF_NSA_11use_defaultESM_EENS0_5tupleIJSF_S6_EEENSO_IJSG_SG_EEES6_PlJS6_EEE10hipError_tPvRmT3_T4_T5_T6_T7_T9_mT8_P12ihipStream_tbDpT10_ENKUlT_T0_E_clISt17integral_constantIbLb0EES1A_IbLb1EEEEDaS16_S17_EUlS16_E_NS1_11comp_targetILNS1_3genE10ELNS1_11target_archE1200ELNS1_3gpuE4ELNS1_3repE0EEENS1_30default_config_static_selectorELNS0_4arch9wavefront6targetE0EEEvT1_.num_named_barrier, 0
	.set _ZN7rocprim17ROCPRIM_400000_NS6detail17trampoline_kernelINS0_14default_configENS1_25partition_config_selectorILNS1_17partition_subalgoE5EsNS0_10empty_typeEbEEZZNS1_14partition_implILS5_5ELb0ES3_mN6thrust23THRUST_200600_302600_NS6detail15normal_iteratorINSA_10device_ptrIsEEEEPS6_NSA_18transform_iteratorINSB_9not_fun_tINSA_8identityIsEEEESF_NSA_11use_defaultESM_EENS0_5tupleIJSF_S6_EEENSO_IJSG_SG_EEES6_PlJS6_EEE10hipError_tPvRmT3_T4_T5_T6_T7_T9_mT8_P12ihipStream_tbDpT10_ENKUlT_T0_E_clISt17integral_constantIbLb0EES1A_IbLb1EEEEDaS16_S17_EUlS16_E_NS1_11comp_targetILNS1_3genE10ELNS1_11target_archE1200ELNS1_3gpuE4ELNS1_3repE0EEENS1_30default_config_static_selectorELNS0_4arch9wavefront6targetE0EEEvT1_.private_seg_size, 0
	.set _ZN7rocprim17ROCPRIM_400000_NS6detail17trampoline_kernelINS0_14default_configENS1_25partition_config_selectorILNS1_17partition_subalgoE5EsNS0_10empty_typeEbEEZZNS1_14partition_implILS5_5ELb0ES3_mN6thrust23THRUST_200600_302600_NS6detail15normal_iteratorINSA_10device_ptrIsEEEEPS6_NSA_18transform_iteratorINSB_9not_fun_tINSA_8identityIsEEEESF_NSA_11use_defaultESM_EENS0_5tupleIJSF_S6_EEENSO_IJSG_SG_EEES6_PlJS6_EEE10hipError_tPvRmT3_T4_T5_T6_T7_T9_mT8_P12ihipStream_tbDpT10_ENKUlT_T0_E_clISt17integral_constantIbLb0EES1A_IbLb1EEEEDaS16_S17_EUlS16_E_NS1_11comp_targetILNS1_3genE10ELNS1_11target_archE1200ELNS1_3gpuE4ELNS1_3repE0EEENS1_30default_config_static_selectorELNS0_4arch9wavefront6targetE0EEEvT1_.uses_vcc, 1
	.set _ZN7rocprim17ROCPRIM_400000_NS6detail17trampoline_kernelINS0_14default_configENS1_25partition_config_selectorILNS1_17partition_subalgoE5EsNS0_10empty_typeEbEEZZNS1_14partition_implILS5_5ELb0ES3_mN6thrust23THRUST_200600_302600_NS6detail15normal_iteratorINSA_10device_ptrIsEEEEPS6_NSA_18transform_iteratorINSB_9not_fun_tINSA_8identityIsEEEESF_NSA_11use_defaultESM_EENS0_5tupleIJSF_S6_EEENSO_IJSG_SG_EEES6_PlJS6_EEE10hipError_tPvRmT3_T4_T5_T6_T7_T9_mT8_P12ihipStream_tbDpT10_ENKUlT_T0_E_clISt17integral_constantIbLb0EES1A_IbLb1EEEEDaS16_S17_EUlS16_E_NS1_11comp_targetILNS1_3genE10ELNS1_11target_archE1200ELNS1_3gpuE4ELNS1_3repE0EEENS1_30default_config_static_selectorELNS0_4arch9wavefront6targetE0EEEvT1_.uses_flat_scratch, 1
	.set _ZN7rocprim17ROCPRIM_400000_NS6detail17trampoline_kernelINS0_14default_configENS1_25partition_config_selectorILNS1_17partition_subalgoE5EsNS0_10empty_typeEbEEZZNS1_14partition_implILS5_5ELb0ES3_mN6thrust23THRUST_200600_302600_NS6detail15normal_iteratorINSA_10device_ptrIsEEEEPS6_NSA_18transform_iteratorINSB_9not_fun_tINSA_8identityIsEEEESF_NSA_11use_defaultESM_EENS0_5tupleIJSF_S6_EEENSO_IJSG_SG_EEES6_PlJS6_EEE10hipError_tPvRmT3_T4_T5_T6_T7_T9_mT8_P12ihipStream_tbDpT10_ENKUlT_T0_E_clISt17integral_constantIbLb0EES1A_IbLb1EEEEDaS16_S17_EUlS16_E_NS1_11comp_targetILNS1_3genE10ELNS1_11target_archE1200ELNS1_3gpuE4ELNS1_3repE0EEENS1_30default_config_static_selectorELNS0_4arch9wavefront6targetE0EEEvT1_.has_dyn_sized_stack, 0
	.set _ZN7rocprim17ROCPRIM_400000_NS6detail17trampoline_kernelINS0_14default_configENS1_25partition_config_selectorILNS1_17partition_subalgoE5EsNS0_10empty_typeEbEEZZNS1_14partition_implILS5_5ELb0ES3_mN6thrust23THRUST_200600_302600_NS6detail15normal_iteratorINSA_10device_ptrIsEEEEPS6_NSA_18transform_iteratorINSB_9not_fun_tINSA_8identityIsEEEESF_NSA_11use_defaultESM_EENS0_5tupleIJSF_S6_EEENSO_IJSG_SG_EEES6_PlJS6_EEE10hipError_tPvRmT3_T4_T5_T6_T7_T9_mT8_P12ihipStream_tbDpT10_ENKUlT_T0_E_clISt17integral_constantIbLb0EES1A_IbLb1EEEEDaS16_S17_EUlS16_E_NS1_11comp_targetILNS1_3genE10ELNS1_11target_archE1200ELNS1_3gpuE4ELNS1_3repE0EEENS1_30default_config_static_selectorELNS0_4arch9wavefront6targetE0EEEvT1_.has_recursion, 0
	.set _ZN7rocprim17ROCPRIM_400000_NS6detail17trampoline_kernelINS0_14default_configENS1_25partition_config_selectorILNS1_17partition_subalgoE5EsNS0_10empty_typeEbEEZZNS1_14partition_implILS5_5ELb0ES3_mN6thrust23THRUST_200600_302600_NS6detail15normal_iteratorINSA_10device_ptrIsEEEEPS6_NSA_18transform_iteratorINSB_9not_fun_tINSA_8identityIsEEEESF_NSA_11use_defaultESM_EENS0_5tupleIJSF_S6_EEENSO_IJSG_SG_EEES6_PlJS6_EEE10hipError_tPvRmT3_T4_T5_T6_T7_T9_mT8_P12ihipStream_tbDpT10_ENKUlT_T0_E_clISt17integral_constantIbLb0EES1A_IbLb1EEEEDaS16_S17_EUlS16_E_NS1_11comp_targetILNS1_3genE10ELNS1_11target_archE1200ELNS1_3gpuE4ELNS1_3repE0EEENS1_30default_config_static_selectorELNS0_4arch9wavefront6targetE0EEEvT1_.has_indirect_call, 0
	.section	.AMDGPU.csdata,"",@progbits
; Kernel info:
; codeLenInByte = 10640
; TotalNumSgprs: 26
; NumVgprs: 65
; ScratchSize: 0
; MemoryBound: 0
; FloatMode: 240
; IeeeMode: 1
; LDSByteSize: 6160 bytes/workgroup (compile time only)
; SGPRBlocks: 0
; VGPRBlocks: 8
; NumSGPRsForWavesPerEU: 26
; NumVGPRsForWavesPerEU: 65
; Occupancy: 16
; WaveLimiterHint : 1
; COMPUTE_PGM_RSRC2:SCRATCH_EN: 0
; COMPUTE_PGM_RSRC2:USER_SGPR: 2
; COMPUTE_PGM_RSRC2:TRAP_HANDLER: 0
; COMPUTE_PGM_RSRC2:TGID_X_EN: 1
; COMPUTE_PGM_RSRC2:TGID_Y_EN: 0
; COMPUTE_PGM_RSRC2:TGID_Z_EN: 0
; COMPUTE_PGM_RSRC2:TIDIG_COMP_CNT: 0
	.section	.text._ZN7rocprim17ROCPRIM_400000_NS6detail17trampoline_kernelINS0_14default_configENS1_25partition_config_selectorILNS1_17partition_subalgoE5EsNS0_10empty_typeEbEEZZNS1_14partition_implILS5_5ELb0ES3_mN6thrust23THRUST_200600_302600_NS6detail15normal_iteratorINSA_10device_ptrIsEEEEPS6_NSA_18transform_iteratorINSB_9not_fun_tINSA_8identityIsEEEESF_NSA_11use_defaultESM_EENS0_5tupleIJSF_S6_EEENSO_IJSG_SG_EEES6_PlJS6_EEE10hipError_tPvRmT3_T4_T5_T6_T7_T9_mT8_P12ihipStream_tbDpT10_ENKUlT_T0_E_clISt17integral_constantIbLb0EES1A_IbLb1EEEEDaS16_S17_EUlS16_E_NS1_11comp_targetILNS1_3genE9ELNS1_11target_archE1100ELNS1_3gpuE3ELNS1_3repE0EEENS1_30default_config_static_selectorELNS0_4arch9wavefront6targetE0EEEvT1_,"axG",@progbits,_ZN7rocprim17ROCPRIM_400000_NS6detail17trampoline_kernelINS0_14default_configENS1_25partition_config_selectorILNS1_17partition_subalgoE5EsNS0_10empty_typeEbEEZZNS1_14partition_implILS5_5ELb0ES3_mN6thrust23THRUST_200600_302600_NS6detail15normal_iteratorINSA_10device_ptrIsEEEEPS6_NSA_18transform_iteratorINSB_9not_fun_tINSA_8identityIsEEEESF_NSA_11use_defaultESM_EENS0_5tupleIJSF_S6_EEENSO_IJSG_SG_EEES6_PlJS6_EEE10hipError_tPvRmT3_T4_T5_T6_T7_T9_mT8_P12ihipStream_tbDpT10_ENKUlT_T0_E_clISt17integral_constantIbLb0EES1A_IbLb1EEEEDaS16_S17_EUlS16_E_NS1_11comp_targetILNS1_3genE9ELNS1_11target_archE1100ELNS1_3gpuE3ELNS1_3repE0EEENS1_30default_config_static_selectorELNS0_4arch9wavefront6targetE0EEEvT1_,comdat
	.protected	_ZN7rocprim17ROCPRIM_400000_NS6detail17trampoline_kernelINS0_14default_configENS1_25partition_config_selectorILNS1_17partition_subalgoE5EsNS0_10empty_typeEbEEZZNS1_14partition_implILS5_5ELb0ES3_mN6thrust23THRUST_200600_302600_NS6detail15normal_iteratorINSA_10device_ptrIsEEEEPS6_NSA_18transform_iteratorINSB_9not_fun_tINSA_8identityIsEEEESF_NSA_11use_defaultESM_EENS0_5tupleIJSF_S6_EEENSO_IJSG_SG_EEES6_PlJS6_EEE10hipError_tPvRmT3_T4_T5_T6_T7_T9_mT8_P12ihipStream_tbDpT10_ENKUlT_T0_E_clISt17integral_constantIbLb0EES1A_IbLb1EEEEDaS16_S17_EUlS16_E_NS1_11comp_targetILNS1_3genE9ELNS1_11target_archE1100ELNS1_3gpuE3ELNS1_3repE0EEENS1_30default_config_static_selectorELNS0_4arch9wavefront6targetE0EEEvT1_ ; -- Begin function _ZN7rocprim17ROCPRIM_400000_NS6detail17trampoline_kernelINS0_14default_configENS1_25partition_config_selectorILNS1_17partition_subalgoE5EsNS0_10empty_typeEbEEZZNS1_14partition_implILS5_5ELb0ES3_mN6thrust23THRUST_200600_302600_NS6detail15normal_iteratorINSA_10device_ptrIsEEEEPS6_NSA_18transform_iteratorINSB_9not_fun_tINSA_8identityIsEEEESF_NSA_11use_defaultESM_EENS0_5tupleIJSF_S6_EEENSO_IJSG_SG_EEES6_PlJS6_EEE10hipError_tPvRmT3_T4_T5_T6_T7_T9_mT8_P12ihipStream_tbDpT10_ENKUlT_T0_E_clISt17integral_constantIbLb0EES1A_IbLb1EEEEDaS16_S17_EUlS16_E_NS1_11comp_targetILNS1_3genE9ELNS1_11target_archE1100ELNS1_3gpuE3ELNS1_3repE0EEENS1_30default_config_static_selectorELNS0_4arch9wavefront6targetE0EEEvT1_
	.globl	_ZN7rocprim17ROCPRIM_400000_NS6detail17trampoline_kernelINS0_14default_configENS1_25partition_config_selectorILNS1_17partition_subalgoE5EsNS0_10empty_typeEbEEZZNS1_14partition_implILS5_5ELb0ES3_mN6thrust23THRUST_200600_302600_NS6detail15normal_iteratorINSA_10device_ptrIsEEEEPS6_NSA_18transform_iteratorINSB_9not_fun_tINSA_8identityIsEEEESF_NSA_11use_defaultESM_EENS0_5tupleIJSF_S6_EEENSO_IJSG_SG_EEES6_PlJS6_EEE10hipError_tPvRmT3_T4_T5_T6_T7_T9_mT8_P12ihipStream_tbDpT10_ENKUlT_T0_E_clISt17integral_constantIbLb0EES1A_IbLb1EEEEDaS16_S17_EUlS16_E_NS1_11comp_targetILNS1_3genE9ELNS1_11target_archE1100ELNS1_3gpuE3ELNS1_3repE0EEENS1_30default_config_static_selectorELNS0_4arch9wavefront6targetE0EEEvT1_
	.p2align	8
	.type	_ZN7rocprim17ROCPRIM_400000_NS6detail17trampoline_kernelINS0_14default_configENS1_25partition_config_selectorILNS1_17partition_subalgoE5EsNS0_10empty_typeEbEEZZNS1_14partition_implILS5_5ELb0ES3_mN6thrust23THRUST_200600_302600_NS6detail15normal_iteratorINSA_10device_ptrIsEEEEPS6_NSA_18transform_iteratorINSB_9not_fun_tINSA_8identityIsEEEESF_NSA_11use_defaultESM_EENS0_5tupleIJSF_S6_EEENSO_IJSG_SG_EEES6_PlJS6_EEE10hipError_tPvRmT3_T4_T5_T6_T7_T9_mT8_P12ihipStream_tbDpT10_ENKUlT_T0_E_clISt17integral_constantIbLb0EES1A_IbLb1EEEEDaS16_S17_EUlS16_E_NS1_11comp_targetILNS1_3genE9ELNS1_11target_archE1100ELNS1_3gpuE3ELNS1_3repE0EEENS1_30default_config_static_selectorELNS0_4arch9wavefront6targetE0EEEvT1_,@function
_ZN7rocprim17ROCPRIM_400000_NS6detail17trampoline_kernelINS0_14default_configENS1_25partition_config_selectorILNS1_17partition_subalgoE5EsNS0_10empty_typeEbEEZZNS1_14partition_implILS5_5ELb0ES3_mN6thrust23THRUST_200600_302600_NS6detail15normal_iteratorINSA_10device_ptrIsEEEEPS6_NSA_18transform_iteratorINSB_9not_fun_tINSA_8identityIsEEEESF_NSA_11use_defaultESM_EENS0_5tupleIJSF_S6_EEENSO_IJSG_SG_EEES6_PlJS6_EEE10hipError_tPvRmT3_T4_T5_T6_T7_T9_mT8_P12ihipStream_tbDpT10_ENKUlT_T0_E_clISt17integral_constantIbLb0EES1A_IbLb1EEEEDaS16_S17_EUlS16_E_NS1_11comp_targetILNS1_3genE9ELNS1_11target_archE1100ELNS1_3gpuE3ELNS1_3repE0EEENS1_30default_config_static_selectorELNS0_4arch9wavefront6targetE0EEEvT1_: ; @_ZN7rocprim17ROCPRIM_400000_NS6detail17trampoline_kernelINS0_14default_configENS1_25partition_config_selectorILNS1_17partition_subalgoE5EsNS0_10empty_typeEbEEZZNS1_14partition_implILS5_5ELb0ES3_mN6thrust23THRUST_200600_302600_NS6detail15normal_iteratorINSA_10device_ptrIsEEEEPS6_NSA_18transform_iteratorINSB_9not_fun_tINSA_8identityIsEEEESF_NSA_11use_defaultESM_EENS0_5tupleIJSF_S6_EEENSO_IJSG_SG_EEES6_PlJS6_EEE10hipError_tPvRmT3_T4_T5_T6_T7_T9_mT8_P12ihipStream_tbDpT10_ENKUlT_T0_E_clISt17integral_constantIbLb0EES1A_IbLb1EEEEDaS16_S17_EUlS16_E_NS1_11comp_targetILNS1_3genE9ELNS1_11target_archE1100ELNS1_3gpuE3ELNS1_3repE0EEENS1_30default_config_static_selectorELNS0_4arch9wavefront6targetE0EEEvT1_
; %bb.0:
	.section	.rodata,"a",@progbits
	.p2align	6, 0x0
	.amdhsa_kernel _ZN7rocprim17ROCPRIM_400000_NS6detail17trampoline_kernelINS0_14default_configENS1_25partition_config_selectorILNS1_17partition_subalgoE5EsNS0_10empty_typeEbEEZZNS1_14partition_implILS5_5ELb0ES3_mN6thrust23THRUST_200600_302600_NS6detail15normal_iteratorINSA_10device_ptrIsEEEEPS6_NSA_18transform_iteratorINSB_9not_fun_tINSA_8identityIsEEEESF_NSA_11use_defaultESM_EENS0_5tupleIJSF_S6_EEENSO_IJSG_SG_EEES6_PlJS6_EEE10hipError_tPvRmT3_T4_T5_T6_T7_T9_mT8_P12ihipStream_tbDpT10_ENKUlT_T0_E_clISt17integral_constantIbLb0EES1A_IbLb1EEEEDaS16_S17_EUlS16_E_NS1_11comp_targetILNS1_3genE9ELNS1_11target_archE1100ELNS1_3gpuE3ELNS1_3repE0EEENS1_30default_config_static_selectorELNS0_4arch9wavefront6targetE0EEEvT1_
		.amdhsa_group_segment_fixed_size 0
		.amdhsa_private_segment_fixed_size 0
		.amdhsa_kernarg_size 136
		.amdhsa_user_sgpr_count 2
		.amdhsa_user_sgpr_dispatch_ptr 0
		.amdhsa_user_sgpr_queue_ptr 0
		.amdhsa_user_sgpr_kernarg_segment_ptr 1
		.amdhsa_user_sgpr_dispatch_id 0
		.amdhsa_user_sgpr_private_segment_size 0
		.amdhsa_wavefront_size32 1
		.amdhsa_uses_dynamic_stack 0
		.amdhsa_enable_private_segment 0
		.amdhsa_system_sgpr_workgroup_id_x 1
		.amdhsa_system_sgpr_workgroup_id_y 0
		.amdhsa_system_sgpr_workgroup_id_z 0
		.amdhsa_system_sgpr_workgroup_info 0
		.amdhsa_system_vgpr_workitem_id 0
		.amdhsa_next_free_vgpr 1
		.amdhsa_next_free_sgpr 1
		.amdhsa_reserve_vcc 0
		.amdhsa_float_round_mode_32 0
		.amdhsa_float_round_mode_16_64 0
		.amdhsa_float_denorm_mode_32 3
		.amdhsa_float_denorm_mode_16_64 3
		.amdhsa_fp16_overflow 0
		.amdhsa_workgroup_processor_mode 1
		.amdhsa_memory_ordered 1
		.amdhsa_forward_progress 1
		.amdhsa_inst_pref_size 0
		.amdhsa_round_robin_scheduling 0
		.amdhsa_exception_fp_ieee_invalid_op 0
		.amdhsa_exception_fp_denorm_src 0
		.amdhsa_exception_fp_ieee_div_zero 0
		.amdhsa_exception_fp_ieee_overflow 0
		.amdhsa_exception_fp_ieee_underflow 0
		.amdhsa_exception_fp_ieee_inexact 0
		.amdhsa_exception_int_div_zero 0
	.end_amdhsa_kernel
	.section	.text._ZN7rocprim17ROCPRIM_400000_NS6detail17trampoline_kernelINS0_14default_configENS1_25partition_config_selectorILNS1_17partition_subalgoE5EsNS0_10empty_typeEbEEZZNS1_14partition_implILS5_5ELb0ES3_mN6thrust23THRUST_200600_302600_NS6detail15normal_iteratorINSA_10device_ptrIsEEEEPS6_NSA_18transform_iteratorINSB_9not_fun_tINSA_8identityIsEEEESF_NSA_11use_defaultESM_EENS0_5tupleIJSF_S6_EEENSO_IJSG_SG_EEES6_PlJS6_EEE10hipError_tPvRmT3_T4_T5_T6_T7_T9_mT8_P12ihipStream_tbDpT10_ENKUlT_T0_E_clISt17integral_constantIbLb0EES1A_IbLb1EEEEDaS16_S17_EUlS16_E_NS1_11comp_targetILNS1_3genE9ELNS1_11target_archE1100ELNS1_3gpuE3ELNS1_3repE0EEENS1_30default_config_static_selectorELNS0_4arch9wavefront6targetE0EEEvT1_,"axG",@progbits,_ZN7rocprim17ROCPRIM_400000_NS6detail17trampoline_kernelINS0_14default_configENS1_25partition_config_selectorILNS1_17partition_subalgoE5EsNS0_10empty_typeEbEEZZNS1_14partition_implILS5_5ELb0ES3_mN6thrust23THRUST_200600_302600_NS6detail15normal_iteratorINSA_10device_ptrIsEEEEPS6_NSA_18transform_iteratorINSB_9not_fun_tINSA_8identityIsEEEESF_NSA_11use_defaultESM_EENS0_5tupleIJSF_S6_EEENSO_IJSG_SG_EEES6_PlJS6_EEE10hipError_tPvRmT3_T4_T5_T6_T7_T9_mT8_P12ihipStream_tbDpT10_ENKUlT_T0_E_clISt17integral_constantIbLb0EES1A_IbLb1EEEEDaS16_S17_EUlS16_E_NS1_11comp_targetILNS1_3genE9ELNS1_11target_archE1100ELNS1_3gpuE3ELNS1_3repE0EEENS1_30default_config_static_selectorELNS0_4arch9wavefront6targetE0EEEvT1_,comdat
.Lfunc_end1043:
	.size	_ZN7rocprim17ROCPRIM_400000_NS6detail17trampoline_kernelINS0_14default_configENS1_25partition_config_selectorILNS1_17partition_subalgoE5EsNS0_10empty_typeEbEEZZNS1_14partition_implILS5_5ELb0ES3_mN6thrust23THRUST_200600_302600_NS6detail15normal_iteratorINSA_10device_ptrIsEEEEPS6_NSA_18transform_iteratorINSB_9not_fun_tINSA_8identityIsEEEESF_NSA_11use_defaultESM_EENS0_5tupleIJSF_S6_EEENSO_IJSG_SG_EEES6_PlJS6_EEE10hipError_tPvRmT3_T4_T5_T6_T7_T9_mT8_P12ihipStream_tbDpT10_ENKUlT_T0_E_clISt17integral_constantIbLb0EES1A_IbLb1EEEEDaS16_S17_EUlS16_E_NS1_11comp_targetILNS1_3genE9ELNS1_11target_archE1100ELNS1_3gpuE3ELNS1_3repE0EEENS1_30default_config_static_selectorELNS0_4arch9wavefront6targetE0EEEvT1_, .Lfunc_end1043-_ZN7rocprim17ROCPRIM_400000_NS6detail17trampoline_kernelINS0_14default_configENS1_25partition_config_selectorILNS1_17partition_subalgoE5EsNS0_10empty_typeEbEEZZNS1_14partition_implILS5_5ELb0ES3_mN6thrust23THRUST_200600_302600_NS6detail15normal_iteratorINSA_10device_ptrIsEEEEPS6_NSA_18transform_iteratorINSB_9not_fun_tINSA_8identityIsEEEESF_NSA_11use_defaultESM_EENS0_5tupleIJSF_S6_EEENSO_IJSG_SG_EEES6_PlJS6_EEE10hipError_tPvRmT3_T4_T5_T6_T7_T9_mT8_P12ihipStream_tbDpT10_ENKUlT_T0_E_clISt17integral_constantIbLb0EES1A_IbLb1EEEEDaS16_S17_EUlS16_E_NS1_11comp_targetILNS1_3genE9ELNS1_11target_archE1100ELNS1_3gpuE3ELNS1_3repE0EEENS1_30default_config_static_selectorELNS0_4arch9wavefront6targetE0EEEvT1_
                                        ; -- End function
	.set _ZN7rocprim17ROCPRIM_400000_NS6detail17trampoline_kernelINS0_14default_configENS1_25partition_config_selectorILNS1_17partition_subalgoE5EsNS0_10empty_typeEbEEZZNS1_14partition_implILS5_5ELb0ES3_mN6thrust23THRUST_200600_302600_NS6detail15normal_iteratorINSA_10device_ptrIsEEEEPS6_NSA_18transform_iteratorINSB_9not_fun_tINSA_8identityIsEEEESF_NSA_11use_defaultESM_EENS0_5tupleIJSF_S6_EEENSO_IJSG_SG_EEES6_PlJS6_EEE10hipError_tPvRmT3_T4_T5_T6_T7_T9_mT8_P12ihipStream_tbDpT10_ENKUlT_T0_E_clISt17integral_constantIbLb0EES1A_IbLb1EEEEDaS16_S17_EUlS16_E_NS1_11comp_targetILNS1_3genE9ELNS1_11target_archE1100ELNS1_3gpuE3ELNS1_3repE0EEENS1_30default_config_static_selectorELNS0_4arch9wavefront6targetE0EEEvT1_.num_vgpr, 0
	.set _ZN7rocprim17ROCPRIM_400000_NS6detail17trampoline_kernelINS0_14default_configENS1_25partition_config_selectorILNS1_17partition_subalgoE5EsNS0_10empty_typeEbEEZZNS1_14partition_implILS5_5ELb0ES3_mN6thrust23THRUST_200600_302600_NS6detail15normal_iteratorINSA_10device_ptrIsEEEEPS6_NSA_18transform_iteratorINSB_9not_fun_tINSA_8identityIsEEEESF_NSA_11use_defaultESM_EENS0_5tupleIJSF_S6_EEENSO_IJSG_SG_EEES6_PlJS6_EEE10hipError_tPvRmT3_T4_T5_T6_T7_T9_mT8_P12ihipStream_tbDpT10_ENKUlT_T0_E_clISt17integral_constantIbLb0EES1A_IbLb1EEEEDaS16_S17_EUlS16_E_NS1_11comp_targetILNS1_3genE9ELNS1_11target_archE1100ELNS1_3gpuE3ELNS1_3repE0EEENS1_30default_config_static_selectorELNS0_4arch9wavefront6targetE0EEEvT1_.num_agpr, 0
	.set _ZN7rocprim17ROCPRIM_400000_NS6detail17trampoline_kernelINS0_14default_configENS1_25partition_config_selectorILNS1_17partition_subalgoE5EsNS0_10empty_typeEbEEZZNS1_14partition_implILS5_5ELb0ES3_mN6thrust23THRUST_200600_302600_NS6detail15normal_iteratorINSA_10device_ptrIsEEEEPS6_NSA_18transform_iteratorINSB_9not_fun_tINSA_8identityIsEEEESF_NSA_11use_defaultESM_EENS0_5tupleIJSF_S6_EEENSO_IJSG_SG_EEES6_PlJS6_EEE10hipError_tPvRmT3_T4_T5_T6_T7_T9_mT8_P12ihipStream_tbDpT10_ENKUlT_T0_E_clISt17integral_constantIbLb0EES1A_IbLb1EEEEDaS16_S17_EUlS16_E_NS1_11comp_targetILNS1_3genE9ELNS1_11target_archE1100ELNS1_3gpuE3ELNS1_3repE0EEENS1_30default_config_static_selectorELNS0_4arch9wavefront6targetE0EEEvT1_.numbered_sgpr, 0
	.set _ZN7rocprim17ROCPRIM_400000_NS6detail17trampoline_kernelINS0_14default_configENS1_25partition_config_selectorILNS1_17partition_subalgoE5EsNS0_10empty_typeEbEEZZNS1_14partition_implILS5_5ELb0ES3_mN6thrust23THRUST_200600_302600_NS6detail15normal_iteratorINSA_10device_ptrIsEEEEPS6_NSA_18transform_iteratorINSB_9not_fun_tINSA_8identityIsEEEESF_NSA_11use_defaultESM_EENS0_5tupleIJSF_S6_EEENSO_IJSG_SG_EEES6_PlJS6_EEE10hipError_tPvRmT3_T4_T5_T6_T7_T9_mT8_P12ihipStream_tbDpT10_ENKUlT_T0_E_clISt17integral_constantIbLb0EES1A_IbLb1EEEEDaS16_S17_EUlS16_E_NS1_11comp_targetILNS1_3genE9ELNS1_11target_archE1100ELNS1_3gpuE3ELNS1_3repE0EEENS1_30default_config_static_selectorELNS0_4arch9wavefront6targetE0EEEvT1_.num_named_barrier, 0
	.set _ZN7rocprim17ROCPRIM_400000_NS6detail17trampoline_kernelINS0_14default_configENS1_25partition_config_selectorILNS1_17partition_subalgoE5EsNS0_10empty_typeEbEEZZNS1_14partition_implILS5_5ELb0ES3_mN6thrust23THRUST_200600_302600_NS6detail15normal_iteratorINSA_10device_ptrIsEEEEPS6_NSA_18transform_iteratorINSB_9not_fun_tINSA_8identityIsEEEESF_NSA_11use_defaultESM_EENS0_5tupleIJSF_S6_EEENSO_IJSG_SG_EEES6_PlJS6_EEE10hipError_tPvRmT3_T4_T5_T6_T7_T9_mT8_P12ihipStream_tbDpT10_ENKUlT_T0_E_clISt17integral_constantIbLb0EES1A_IbLb1EEEEDaS16_S17_EUlS16_E_NS1_11comp_targetILNS1_3genE9ELNS1_11target_archE1100ELNS1_3gpuE3ELNS1_3repE0EEENS1_30default_config_static_selectorELNS0_4arch9wavefront6targetE0EEEvT1_.private_seg_size, 0
	.set _ZN7rocprim17ROCPRIM_400000_NS6detail17trampoline_kernelINS0_14default_configENS1_25partition_config_selectorILNS1_17partition_subalgoE5EsNS0_10empty_typeEbEEZZNS1_14partition_implILS5_5ELb0ES3_mN6thrust23THRUST_200600_302600_NS6detail15normal_iteratorINSA_10device_ptrIsEEEEPS6_NSA_18transform_iteratorINSB_9not_fun_tINSA_8identityIsEEEESF_NSA_11use_defaultESM_EENS0_5tupleIJSF_S6_EEENSO_IJSG_SG_EEES6_PlJS6_EEE10hipError_tPvRmT3_T4_T5_T6_T7_T9_mT8_P12ihipStream_tbDpT10_ENKUlT_T0_E_clISt17integral_constantIbLb0EES1A_IbLb1EEEEDaS16_S17_EUlS16_E_NS1_11comp_targetILNS1_3genE9ELNS1_11target_archE1100ELNS1_3gpuE3ELNS1_3repE0EEENS1_30default_config_static_selectorELNS0_4arch9wavefront6targetE0EEEvT1_.uses_vcc, 0
	.set _ZN7rocprim17ROCPRIM_400000_NS6detail17trampoline_kernelINS0_14default_configENS1_25partition_config_selectorILNS1_17partition_subalgoE5EsNS0_10empty_typeEbEEZZNS1_14partition_implILS5_5ELb0ES3_mN6thrust23THRUST_200600_302600_NS6detail15normal_iteratorINSA_10device_ptrIsEEEEPS6_NSA_18transform_iteratorINSB_9not_fun_tINSA_8identityIsEEEESF_NSA_11use_defaultESM_EENS0_5tupleIJSF_S6_EEENSO_IJSG_SG_EEES6_PlJS6_EEE10hipError_tPvRmT3_T4_T5_T6_T7_T9_mT8_P12ihipStream_tbDpT10_ENKUlT_T0_E_clISt17integral_constantIbLb0EES1A_IbLb1EEEEDaS16_S17_EUlS16_E_NS1_11comp_targetILNS1_3genE9ELNS1_11target_archE1100ELNS1_3gpuE3ELNS1_3repE0EEENS1_30default_config_static_selectorELNS0_4arch9wavefront6targetE0EEEvT1_.uses_flat_scratch, 0
	.set _ZN7rocprim17ROCPRIM_400000_NS6detail17trampoline_kernelINS0_14default_configENS1_25partition_config_selectorILNS1_17partition_subalgoE5EsNS0_10empty_typeEbEEZZNS1_14partition_implILS5_5ELb0ES3_mN6thrust23THRUST_200600_302600_NS6detail15normal_iteratorINSA_10device_ptrIsEEEEPS6_NSA_18transform_iteratorINSB_9not_fun_tINSA_8identityIsEEEESF_NSA_11use_defaultESM_EENS0_5tupleIJSF_S6_EEENSO_IJSG_SG_EEES6_PlJS6_EEE10hipError_tPvRmT3_T4_T5_T6_T7_T9_mT8_P12ihipStream_tbDpT10_ENKUlT_T0_E_clISt17integral_constantIbLb0EES1A_IbLb1EEEEDaS16_S17_EUlS16_E_NS1_11comp_targetILNS1_3genE9ELNS1_11target_archE1100ELNS1_3gpuE3ELNS1_3repE0EEENS1_30default_config_static_selectorELNS0_4arch9wavefront6targetE0EEEvT1_.has_dyn_sized_stack, 0
	.set _ZN7rocprim17ROCPRIM_400000_NS6detail17trampoline_kernelINS0_14default_configENS1_25partition_config_selectorILNS1_17partition_subalgoE5EsNS0_10empty_typeEbEEZZNS1_14partition_implILS5_5ELb0ES3_mN6thrust23THRUST_200600_302600_NS6detail15normal_iteratorINSA_10device_ptrIsEEEEPS6_NSA_18transform_iteratorINSB_9not_fun_tINSA_8identityIsEEEESF_NSA_11use_defaultESM_EENS0_5tupleIJSF_S6_EEENSO_IJSG_SG_EEES6_PlJS6_EEE10hipError_tPvRmT3_T4_T5_T6_T7_T9_mT8_P12ihipStream_tbDpT10_ENKUlT_T0_E_clISt17integral_constantIbLb0EES1A_IbLb1EEEEDaS16_S17_EUlS16_E_NS1_11comp_targetILNS1_3genE9ELNS1_11target_archE1100ELNS1_3gpuE3ELNS1_3repE0EEENS1_30default_config_static_selectorELNS0_4arch9wavefront6targetE0EEEvT1_.has_recursion, 0
	.set _ZN7rocprim17ROCPRIM_400000_NS6detail17trampoline_kernelINS0_14default_configENS1_25partition_config_selectorILNS1_17partition_subalgoE5EsNS0_10empty_typeEbEEZZNS1_14partition_implILS5_5ELb0ES3_mN6thrust23THRUST_200600_302600_NS6detail15normal_iteratorINSA_10device_ptrIsEEEEPS6_NSA_18transform_iteratorINSB_9not_fun_tINSA_8identityIsEEEESF_NSA_11use_defaultESM_EENS0_5tupleIJSF_S6_EEENSO_IJSG_SG_EEES6_PlJS6_EEE10hipError_tPvRmT3_T4_T5_T6_T7_T9_mT8_P12ihipStream_tbDpT10_ENKUlT_T0_E_clISt17integral_constantIbLb0EES1A_IbLb1EEEEDaS16_S17_EUlS16_E_NS1_11comp_targetILNS1_3genE9ELNS1_11target_archE1100ELNS1_3gpuE3ELNS1_3repE0EEENS1_30default_config_static_selectorELNS0_4arch9wavefront6targetE0EEEvT1_.has_indirect_call, 0
	.section	.AMDGPU.csdata,"",@progbits
; Kernel info:
; codeLenInByte = 0
; TotalNumSgprs: 0
; NumVgprs: 0
; ScratchSize: 0
; MemoryBound: 0
; FloatMode: 240
; IeeeMode: 1
; LDSByteSize: 0 bytes/workgroup (compile time only)
; SGPRBlocks: 0
; VGPRBlocks: 0
; NumSGPRsForWavesPerEU: 1
; NumVGPRsForWavesPerEU: 1
; Occupancy: 16
; WaveLimiterHint : 0
; COMPUTE_PGM_RSRC2:SCRATCH_EN: 0
; COMPUTE_PGM_RSRC2:USER_SGPR: 2
; COMPUTE_PGM_RSRC2:TRAP_HANDLER: 0
; COMPUTE_PGM_RSRC2:TGID_X_EN: 1
; COMPUTE_PGM_RSRC2:TGID_Y_EN: 0
; COMPUTE_PGM_RSRC2:TGID_Z_EN: 0
; COMPUTE_PGM_RSRC2:TIDIG_COMP_CNT: 0
	.section	.text._ZN7rocprim17ROCPRIM_400000_NS6detail17trampoline_kernelINS0_14default_configENS1_25partition_config_selectorILNS1_17partition_subalgoE5EsNS0_10empty_typeEbEEZZNS1_14partition_implILS5_5ELb0ES3_mN6thrust23THRUST_200600_302600_NS6detail15normal_iteratorINSA_10device_ptrIsEEEEPS6_NSA_18transform_iteratorINSB_9not_fun_tINSA_8identityIsEEEESF_NSA_11use_defaultESM_EENS0_5tupleIJSF_S6_EEENSO_IJSG_SG_EEES6_PlJS6_EEE10hipError_tPvRmT3_T4_T5_T6_T7_T9_mT8_P12ihipStream_tbDpT10_ENKUlT_T0_E_clISt17integral_constantIbLb0EES1A_IbLb1EEEEDaS16_S17_EUlS16_E_NS1_11comp_targetILNS1_3genE8ELNS1_11target_archE1030ELNS1_3gpuE2ELNS1_3repE0EEENS1_30default_config_static_selectorELNS0_4arch9wavefront6targetE0EEEvT1_,"axG",@progbits,_ZN7rocprim17ROCPRIM_400000_NS6detail17trampoline_kernelINS0_14default_configENS1_25partition_config_selectorILNS1_17partition_subalgoE5EsNS0_10empty_typeEbEEZZNS1_14partition_implILS5_5ELb0ES3_mN6thrust23THRUST_200600_302600_NS6detail15normal_iteratorINSA_10device_ptrIsEEEEPS6_NSA_18transform_iteratorINSB_9not_fun_tINSA_8identityIsEEEESF_NSA_11use_defaultESM_EENS0_5tupleIJSF_S6_EEENSO_IJSG_SG_EEES6_PlJS6_EEE10hipError_tPvRmT3_T4_T5_T6_T7_T9_mT8_P12ihipStream_tbDpT10_ENKUlT_T0_E_clISt17integral_constantIbLb0EES1A_IbLb1EEEEDaS16_S17_EUlS16_E_NS1_11comp_targetILNS1_3genE8ELNS1_11target_archE1030ELNS1_3gpuE2ELNS1_3repE0EEENS1_30default_config_static_selectorELNS0_4arch9wavefront6targetE0EEEvT1_,comdat
	.protected	_ZN7rocprim17ROCPRIM_400000_NS6detail17trampoline_kernelINS0_14default_configENS1_25partition_config_selectorILNS1_17partition_subalgoE5EsNS0_10empty_typeEbEEZZNS1_14partition_implILS5_5ELb0ES3_mN6thrust23THRUST_200600_302600_NS6detail15normal_iteratorINSA_10device_ptrIsEEEEPS6_NSA_18transform_iteratorINSB_9not_fun_tINSA_8identityIsEEEESF_NSA_11use_defaultESM_EENS0_5tupleIJSF_S6_EEENSO_IJSG_SG_EEES6_PlJS6_EEE10hipError_tPvRmT3_T4_T5_T6_T7_T9_mT8_P12ihipStream_tbDpT10_ENKUlT_T0_E_clISt17integral_constantIbLb0EES1A_IbLb1EEEEDaS16_S17_EUlS16_E_NS1_11comp_targetILNS1_3genE8ELNS1_11target_archE1030ELNS1_3gpuE2ELNS1_3repE0EEENS1_30default_config_static_selectorELNS0_4arch9wavefront6targetE0EEEvT1_ ; -- Begin function _ZN7rocprim17ROCPRIM_400000_NS6detail17trampoline_kernelINS0_14default_configENS1_25partition_config_selectorILNS1_17partition_subalgoE5EsNS0_10empty_typeEbEEZZNS1_14partition_implILS5_5ELb0ES3_mN6thrust23THRUST_200600_302600_NS6detail15normal_iteratorINSA_10device_ptrIsEEEEPS6_NSA_18transform_iteratorINSB_9not_fun_tINSA_8identityIsEEEESF_NSA_11use_defaultESM_EENS0_5tupleIJSF_S6_EEENSO_IJSG_SG_EEES6_PlJS6_EEE10hipError_tPvRmT3_T4_T5_T6_T7_T9_mT8_P12ihipStream_tbDpT10_ENKUlT_T0_E_clISt17integral_constantIbLb0EES1A_IbLb1EEEEDaS16_S17_EUlS16_E_NS1_11comp_targetILNS1_3genE8ELNS1_11target_archE1030ELNS1_3gpuE2ELNS1_3repE0EEENS1_30default_config_static_selectorELNS0_4arch9wavefront6targetE0EEEvT1_
	.globl	_ZN7rocprim17ROCPRIM_400000_NS6detail17trampoline_kernelINS0_14default_configENS1_25partition_config_selectorILNS1_17partition_subalgoE5EsNS0_10empty_typeEbEEZZNS1_14partition_implILS5_5ELb0ES3_mN6thrust23THRUST_200600_302600_NS6detail15normal_iteratorINSA_10device_ptrIsEEEEPS6_NSA_18transform_iteratorINSB_9not_fun_tINSA_8identityIsEEEESF_NSA_11use_defaultESM_EENS0_5tupleIJSF_S6_EEENSO_IJSG_SG_EEES6_PlJS6_EEE10hipError_tPvRmT3_T4_T5_T6_T7_T9_mT8_P12ihipStream_tbDpT10_ENKUlT_T0_E_clISt17integral_constantIbLb0EES1A_IbLb1EEEEDaS16_S17_EUlS16_E_NS1_11comp_targetILNS1_3genE8ELNS1_11target_archE1030ELNS1_3gpuE2ELNS1_3repE0EEENS1_30default_config_static_selectorELNS0_4arch9wavefront6targetE0EEEvT1_
	.p2align	8
	.type	_ZN7rocprim17ROCPRIM_400000_NS6detail17trampoline_kernelINS0_14default_configENS1_25partition_config_selectorILNS1_17partition_subalgoE5EsNS0_10empty_typeEbEEZZNS1_14partition_implILS5_5ELb0ES3_mN6thrust23THRUST_200600_302600_NS6detail15normal_iteratorINSA_10device_ptrIsEEEEPS6_NSA_18transform_iteratorINSB_9not_fun_tINSA_8identityIsEEEESF_NSA_11use_defaultESM_EENS0_5tupleIJSF_S6_EEENSO_IJSG_SG_EEES6_PlJS6_EEE10hipError_tPvRmT3_T4_T5_T6_T7_T9_mT8_P12ihipStream_tbDpT10_ENKUlT_T0_E_clISt17integral_constantIbLb0EES1A_IbLb1EEEEDaS16_S17_EUlS16_E_NS1_11comp_targetILNS1_3genE8ELNS1_11target_archE1030ELNS1_3gpuE2ELNS1_3repE0EEENS1_30default_config_static_selectorELNS0_4arch9wavefront6targetE0EEEvT1_,@function
_ZN7rocprim17ROCPRIM_400000_NS6detail17trampoline_kernelINS0_14default_configENS1_25partition_config_selectorILNS1_17partition_subalgoE5EsNS0_10empty_typeEbEEZZNS1_14partition_implILS5_5ELb0ES3_mN6thrust23THRUST_200600_302600_NS6detail15normal_iteratorINSA_10device_ptrIsEEEEPS6_NSA_18transform_iteratorINSB_9not_fun_tINSA_8identityIsEEEESF_NSA_11use_defaultESM_EENS0_5tupleIJSF_S6_EEENSO_IJSG_SG_EEES6_PlJS6_EEE10hipError_tPvRmT3_T4_T5_T6_T7_T9_mT8_P12ihipStream_tbDpT10_ENKUlT_T0_E_clISt17integral_constantIbLb0EES1A_IbLb1EEEEDaS16_S17_EUlS16_E_NS1_11comp_targetILNS1_3genE8ELNS1_11target_archE1030ELNS1_3gpuE2ELNS1_3repE0EEENS1_30default_config_static_selectorELNS0_4arch9wavefront6targetE0EEEvT1_: ; @_ZN7rocprim17ROCPRIM_400000_NS6detail17trampoline_kernelINS0_14default_configENS1_25partition_config_selectorILNS1_17partition_subalgoE5EsNS0_10empty_typeEbEEZZNS1_14partition_implILS5_5ELb0ES3_mN6thrust23THRUST_200600_302600_NS6detail15normal_iteratorINSA_10device_ptrIsEEEEPS6_NSA_18transform_iteratorINSB_9not_fun_tINSA_8identityIsEEEESF_NSA_11use_defaultESM_EENS0_5tupleIJSF_S6_EEENSO_IJSG_SG_EEES6_PlJS6_EEE10hipError_tPvRmT3_T4_T5_T6_T7_T9_mT8_P12ihipStream_tbDpT10_ENKUlT_T0_E_clISt17integral_constantIbLb0EES1A_IbLb1EEEEDaS16_S17_EUlS16_E_NS1_11comp_targetILNS1_3genE8ELNS1_11target_archE1030ELNS1_3gpuE2ELNS1_3repE0EEENS1_30default_config_static_selectorELNS0_4arch9wavefront6targetE0EEEvT1_
; %bb.0:
	.section	.rodata,"a",@progbits
	.p2align	6, 0x0
	.amdhsa_kernel _ZN7rocprim17ROCPRIM_400000_NS6detail17trampoline_kernelINS0_14default_configENS1_25partition_config_selectorILNS1_17partition_subalgoE5EsNS0_10empty_typeEbEEZZNS1_14partition_implILS5_5ELb0ES3_mN6thrust23THRUST_200600_302600_NS6detail15normal_iteratorINSA_10device_ptrIsEEEEPS6_NSA_18transform_iteratorINSB_9not_fun_tINSA_8identityIsEEEESF_NSA_11use_defaultESM_EENS0_5tupleIJSF_S6_EEENSO_IJSG_SG_EEES6_PlJS6_EEE10hipError_tPvRmT3_T4_T5_T6_T7_T9_mT8_P12ihipStream_tbDpT10_ENKUlT_T0_E_clISt17integral_constantIbLb0EES1A_IbLb1EEEEDaS16_S17_EUlS16_E_NS1_11comp_targetILNS1_3genE8ELNS1_11target_archE1030ELNS1_3gpuE2ELNS1_3repE0EEENS1_30default_config_static_selectorELNS0_4arch9wavefront6targetE0EEEvT1_
		.amdhsa_group_segment_fixed_size 0
		.amdhsa_private_segment_fixed_size 0
		.amdhsa_kernarg_size 136
		.amdhsa_user_sgpr_count 2
		.amdhsa_user_sgpr_dispatch_ptr 0
		.amdhsa_user_sgpr_queue_ptr 0
		.amdhsa_user_sgpr_kernarg_segment_ptr 1
		.amdhsa_user_sgpr_dispatch_id 0
		.amdhsa_user_sgpr_private_segment_size 0
		.amdhsa_wavefront_size32 1
		.amdhsa_uses_dynamic_stack 0
		.amdhsa_enable_private_segment 0
		.amdhsa_system_sgpr_workgroup_id_x 1
		.amdhsa_system_sgpr_workgroup_id_y 0
		.amdhsa_system_sgpr_workgroup_id_z 0
		.amdhsa_system_sgpr_workgroup_info 0
		.amdhsa_system_vgpr_workitem_id 0
		.amdhsa_next_free_vgpr 1
		.amdhsa_next_free_sgpr 1
		.amdhsa_reserve_vcc 0
		.amdhsa_float_round_mode_32 0
		.amdhsa_float_round_mode_16_64 0
		.amdhsa_float_denorm_mode_32 3
		.amdhsa_float_denorm_mode_16_64 3
		.amdhsa_fp16_overflow 0
		.amdhsa_workgroup_processor_mode 1
		.amdhsa_memory_ordered 1
		.amdhsa_forward_progress 1
		.amdhsa_inst_pref_size 0
		.amdhsa_round_robin_scheduling 0
		.amdhsa_exception_fp_ieee_invalid_op 0
		.amdhsa_exception_fp_denorm_src 0
		.amdhsa_exception_fp_ieee_div_zero 0
		.amdhsa_exception_fp_ieee_overflow 0
		.amdhsa_exception_fp_ieee_underflow 0
		.amdhsa_exception_fp_ieee_inexact 0
		.amdhsa_exception_int_div_zero 0
	.end_amdhsa_kernel
	.section	.text._ZN7rocprim17ROCPRIM_400000_NS6detail17trampoline_kernelINS0_14default_configENS1_25partition_config_selectorILNS1_17partition_subalgoE5EsNS0_10empty_typeEbEEZZNS1_14partition_implILS5_5ELb0ES3_mN6thrust23THRUST_200600_302600_NS6detail15normal_iteratorINSA_10device_ptrIsEEEEPS6_NSA_18transform_iteratorINSB_9not_fun_tINSA_8identityIsEEEESF_NSA_11use_defaultESM_EENS0_5tupleIJSF_S6_EEENSO_IJSG_SG_EEES6_PlJS6_EEE10hipError_tPvRmT3_T4_T5_T6_T7_T9_mT8_P12ihipStream_tbDpT10_ENKUlT_T0_E_clISt17integral_constantIbLb0EES1A_IbLb1EEEEDaS16_S17_EUlS16_E_NS1_11comp_targetILNS1_3genE8ELNS1_11target_archE1030ELNS1_3gpuE2ELNS1_3repE0EEENS1_30default_config_static_selectorELNS0_4arch9wavefront6targetE0EEEvT1_,"axG",@progbits,_ZN7rocprim17ROCPRIM_400000_NS6detail17trampoline_kernelINS0_14default_configENS1_25partition_config_selectorILNS1_17partition_subalgoE5EsNS0_10empty_typeEbEEZZNS1_14partition_implILS5_5ELb0ES3_mN6thrust23THRUST_200600_302600_NS6detail15normal_iteratorINSA_10device_ptrIsEEEEPS6_NSA_18transform_iteratorINSB_9not_fun_tINSA_8identityIsEEEESF_NSA_11use_defaultESM_EENS0_5tupleIJSF_S6_EEENSO_IJSG_SG_EEES6_PlJS6_EEE10hipError_tPvRmT3_T4_T5_T6_T7_T9_mT8_P12ihipStream_tbDpT10_ENKUlT_T0_E_clISt17integral_constantIbLb0EES1A_IbLb1EEEEDaS16_S17_EUlS16_E_NS1_11comp_targetILNS1_3genE8ELNS1_11target_archE1030ELNS1_3gpuE2ELNS1_3repE0EEENS1_30default_config_static_selectorELNS0_4arch9wavefront6targetE0EEEvT1_,comdat
.Lfunc_end1044:
	.size	_ZN7rocprim17ROCPRIM_400000_NS6detail17trampoline_kernelINS0_14default_configENS1_25partition_config_selectorILNS1_17partition_subalgoE5EsNS0_10empty_typeEbEEZZNS1_14partition_implILS5_5ELb0ES3_mN6thrust23THRUST_200600_302600_NS6detail15normal_iteratorINSA_10device_ptrIsEEEEPS6_NSA_18transform_iteratorINSB_9not_fun_tINSA_8identityIsEEEESF_NSA_11use_defaultESM_EENS0_5tupleIJSF_S6_EEENSO_IJSG_SG_EEES6_PlJS6_EEE10hipError_tPvRmT3_T4_T5_T6_T7_T9_mT8_P12ihipStream_tbDpT10_ENKUlT_T0_E_clISt17integral_constantIbLb0EES1A_IbLb1EEEEDaS16_S17_EUlS16_E_NS1_11comp_targetILNS1_3genE8ELNS1_11target_archE1030ELNS1_3gpuE2ELNS1_3repE0EEENS1_30default_config_static_selectorELNS0_4arch9wavefront6targetE0EEEvT1_, .Lfunc_end1044-_ZN7rocprim17ROCPRIM_400000_NS6detail17trampoline_kernelINS0_14default_configENS1_25partition_config_selectorILNS1_17partition_subalgoE5EsNS0_10empty_typeEbEEZZNS1_14partition_implILS5_5ELb0ES3_mN6thrust23THRUST_200600_302600_NS6detail15normal_iteratorINSA_10device_ptrIsEEEEPS6_NSA_18transform_iteratorINSB_9not_fun_tINSA_8identityIsEEEESF_NSA_11use_defaultESM_EENS0_5tupleIJSF_S6_EEENSO_IJSG_SG_EEES6_PlJS6_EEE10hipError_tPvRmT3_T4_T5_T6_T7_T9_mT8_P12ihipStream_tbDpT10_ENKUlT_T0_E_clISt17integral_constantIbLb0EES1A_IbLb1EEEEDaS16_S17_EUlS16_E_NS1_11comp_targetILNS1_3genE8ELNS1_11target_archE1030ELNS1_3gpuE2ELNS1_3repE0EEENS1_30default_config_static_selectorELNS0_4arch9wavefront6targetE0EEEvT1_
                                        ; -- End function
	.set _ZN7rocprim17ROCPRIM_400000_NS6detail17trampoline_kernelINS0_14default_configENS1_25partition_config_selectorILNS1_17partition_subalgoE5EsNS0_10empty_typeEbEEZZNS1_14partition_implILS5_5ELb0ES3_mN6thrust23THRUST_200600_302600_NS6detail15normal_iteratorINSA_10device_ptrIsEEEEPS6_NSA_18transform_iteratorINSB_9not_fun_tINSA_8identityIsEEEESF_NSA_11use_defaultESM_EENS0_5tupleIJSF_S6_EEENSO_IJSG_SG_EEES6_PlJS6_EEE10hipError_tPvRmT3_T4_T5_T6_T7_T9_mT8_P12ihipStream_tbDpT10_ENKUlT_T0_E_clISt17integral_constantIbLb0EES1A_IbLb1EEEEDaS16_S17_EUlS16_E_NS1_11comp_targetILNS1_3genE8ELNS1_11target_archE1030ELNS1_3gpuE2ELNS1_3repE0EEENS1_30default_config_static_selectorELNS0_4arch9wavefront6targetE0EEEvT1_.num_vgpr, 0
	.set _ZN7rocprim17ROCPRIM_400000_NS6detail17trampoline_kernelINS0_14default_configENS1_25partition_config_selectorILNS1_17partition_subalgoE5EsNS0_10empty_typeEbEEZZNS1_14partition_implILS5_5ELb0ES3_mN6thrust23THRUST_200600_302600_NS6detail15normal_iteratorINSA_10device_ptrIsEEEEPS6_NSA_18transform_iteratorINSB_9not_fun_tINSA_8identityIsEEEESF_NSA_11use_defaultESM_EENS0_5tupleIJSF_S6_EEENSO_IJSG_SG_EEES6_PlJS6_EEE10hipError_tPvRmT3_T4_T5_T6_T7_T9_mT8_P12ihipStream_tbDpT10_ENKUlT_T0_E_clISt17integral_constantIbLb0EES1A_IbLb1EEEEDaS16_S17_EUlS16_E_NS1_11comp_targetILNS1_3genE8ELNS1_11target_archE1030ELNS1_3gpuE2ELNS1_3repE0EEENS1_30default_config_static_selectorELNS0_4arch9wavefront6targetE0EEEvT1_.num_agpr, 0
	.set _ZN7rocprim17ROCPRIM_400000_NS6detail17trampoline_kernelINS0_14default_configENS1_25partition_config_selectorILNS1_17partition_subalgoE5EsNS0_10empty_typeEbEEZZNS1_14partition_implILS5_5ELb0ES3_mN6thrust23THRUST_200600_302600_NS6detail15normal_iteratorINSA_10device_ptrIsEEEEPS6_NSA_18transform_iteratorINSB_9not_fun_tINSA_8identityIsEEEESF_NSA_11use_defaultESM_EENS0_5tupleIJSF_S6_EEENSO_IJSG_SG_EEES6_PlJS6_EEE10hipError_tPvRmT3_T4_T5_T6_T7_T9_mT8_P12ihipStream_tbDpT10_ENKUlT_T0_E_clISt17integral_constantIbLb0EES1A_IbLb1EEEEDaS16_S17_EUlS16_E_NS1_11comp_targetILNS1_3genE8ELNS1_11target_archE1030ELNS1_3gpuE2ELNS1_3repE0EEENS1_30default_config_static_selectorELNS0_4arch9wavefront6targetE0EEEvT1_.numbered_sgpr, 0
	.set _ZN7rocprim17ROCPRIM_400000_NS6detail17trampoline_kernelINS0_14default_configENS1_25partition_config_selectorILNS1_17partition_subalgoE5EsNS0_10empty_typeEbEEZZNS1_14partition_implILS5_5ELb0ES3_mN6thrust23THRUST_200600_302600_NS6detail15normal_iteratorINSA_10device_ptrIsEEEEPS6_NSA_18transform_iteratorINSB_9not_fun_tINSA_8identityIsEEEESF_NSA_11use_defaultESM_EENS0_5tupleIJSF_S6_EEENSO_IJSG_SG_EEES6_PlJS6_EEE10hipError_tPvRmT3_T4_T5_T6_T7_T9_mT8_P12ihipStream_tbDpT10_ENKUlT_T0_E_clISt17integral_constantIbLb0EES1A_IbLb1EEEEDaS16_S17_EUlS16_E_NS1_11comp_targetILNS1_3genE8ELNS1_11target_archE1030ELNS1_3gpuE2ELNS1_3repE0EEENS1_30default_config_static_selectorELNS0_4arch9wavefront6targetE0EEEvT1_.num_named_barrier, 0
	.set _ZN7rocprim17ROCPRIM_400000_NS6detail17trampoline_kernelINS0_14default_configENS1_25partition_config_selectorILNS1_17partition_subalgoE5EsNS0_10empty_typeEbEEZZNS1_14partition_implILS5_5ELb0ES3_mN6thrust23THRUST_200600_302600_NS6detail15normal_iteratorINSA_10device_ptrIsEEEEPS6_NSA_18transform_iteratorINSB_9not_fun_tINSA_8identityIsEEEESF_NSA_11use_defaultESM_EENS0_5tupleIJSF_S6_EEENSO_IJSG_SG_EEES6_PlJS6_EEE10hipError_tPvRmT3_T4_T5_T6_T7_T9_mT8_P12ihipStream_tbDpT10_ENKUlT_T0_E_clISt17integral_constantIbLb0EES1A_IbLb1EEEEDaS16_S17_EUlS16_E_NS1_11comp_targetILNS1_3genE8ELNS1_11target_archE1030ELNS1_3gpuE2ELNS1_3repE0EEENS1_30default_config_static_selectorELNS0_4arch9wavefront6targetE0EEEvT1_.private_seg_size, 0
	.set _ZN7rocprim17ROCPRIM_400000_NS6detail17trampoline_kernelINS0_14default_configENS1_25partition_config_selectorILNS1_17partition_subalgoE5EsNS0_10empty_typeEbEEZZNS1_14partition_implILS5_5ELb0ES3_mN6thrust23THRUST_200600_302600_NS6detail15normal_iteratorINSA_10device_ptrIsEEEEPS6_NSA_18transform_iteratorINSB_9not_fun_tINSA_8identityIsEEEESF_NSA_11use_defaultESM_EENS0_5tupleIJSF_S6_EEENSO_IJSG_SG_EEES6_PlJS6_EEE10hipError_tPvRmT3_T4_T5_T6_T7_T9_mT8_P12ihipStream_tbDpT10_ENKUlT_T0_E_clISt17integral_constantIbLb0EES1A_IbLb1EEEEDaS16_S17_EUlS16_E_NS1_11comp_targetILNS1_3genE8ELNS1_11target_archE1030ELNS1_3gpuE2ELNS1_3repE0EEENS1_30default_config_static_selectorELNS0_4arch9wavefront6targetE0EEEvT1_.uses_vcc, 0
	.set _ZN7rocprim17ROCPRIM_400000_NS6detail17trampoline_kernelINS0_14default_configENS1_25partition_config_selectorILNS1_17partition_subalgoE5EsNS0_10empty_typeEbEEZZNS1_14partition_implILS5_5ELb0ES3_mN6thrust23THRUST_200600_302600_NS6detail15normal_iteratorINSA_10device_ptrIsEEEEPS6_NSA_18transform_iteratorINSB_9not_fun_tINSA_8identityIsEEEESF_NSA_11use_defaultESM_EENS0_5tupleIJSF_S6_EEENSO_IJSG_SG_EEES6_PlJS6_EEE10hipError_tPvRmT3_T4_T5_T6_T7_T9_mT8_P12ihipStream_tbDpT10_ENKUlT_T0_E_clISt17integral_constantIbLb0EES1A_IbLb1EEEEDaS16_S17_EUlS16_E_NS1_11comp_targetILNS1_3genE8ELNS1_11target_archE1030ELNS1_3gpuE2ELNS1_3repE0EEENS1_30default_config_static_selectorELNS0_4arch9wavefront6targetE0EEEvT1_.uses_flat_scratch, 0
	.set _ZN7rocprim17ROCPRIM_400000_NS6detail17trampoline_kernelINS0_14default_configENS1_25partition_config_selectorILNS1_17partition_subalgoE5EsNS0_10empty_typeEbEEZZNS1_14partition_implILS5_5ELb0ES3_mN6thrust23THRUST_200600_302600_NS6detail15normal_iteratorINSA_10device_ptrIsEEEEPS6_NSA_18transform_iteratorINSB_9not_fun_tINSA_8identityIsEEEESF_NSA_11use_defaultESM_EENS0_5tupleIJSF_S6_EEENSO_IJSG_SG_EEES6_PlJS6_EEE10hipError_tPvRmT3_T4_T5_T6_T7_T9_mT8_P12ihipStream_tbDpT10_ENKUlT_T0_E_clISt17integral_constantIbLb0EES1A_IbLb1EEEEDaS16_S17_EUlS16_E_NS1_11comp_targetILNS1_3genE8ELNS1_11target_archE1030ELNS1_3gpuE2ELNS1_3repE0EEENS1_30default_config_static_selectorELNS0_4arch9wavefront6targetE0EEEvT1_.has_dyn_sized_stack, 0
	.set _ZN7rocprim17ROCPRIM_400000_NS6detail17trampoline_kernelINS0_14default_configENS1_25partition_config_selectorILNS1_17partition_subalgoE5EsNS0_10empty_typeEbEEZZNS1_14partition_implILS5_5ELb0ES3_mN6thrust23THRUST_200600_302600_NS6detail15normal_iteratorINSA_10device_ptrIsEEEEPS6_NSA_18transform_iteratorINSB_9not_fun_tINSA_8identityIsEEEESF_NSA_11use_defaultESM_EENS0_5tupleIJSF_S6_EEENSO_IJSG_SG_EEES6_PlJS6_EEE10hipError_tPvRmT3_T4_T5_T6_T7_T9_mT8_P12ihipStream_tbDpT10_ENKUlT_T0_E_clISt17integral_constantIbLb0EES1A_IbLb1EEEEDaS16_S17_EUlS16_E_NS1_11comp_targetILNS1_3genE8ELNS1_11target_archE1030ELNS1_3gpuE2ELNS1_3repE0EEENS1_30default_config_static_selectorELNS0_4arch9wavefront6targetE0EEEvT1_.has_recursion, 0
	.set _ZN7rocprim17ROCPRIM_400000_NS6detail17trampoline_kernelINS0_14default_configENS1_25partition_config_selectorILNS1_17partition_subalgoE5EsNS0_10empty_typeEbEEZZNS1_14partition_implILS5_5ELb0ES3_mN6thrust23THRUST_200600_302600_NS6detail15normal_iteratorINSA_10device_ptrIsEEEEPS6_NSA_18transform_iteratorINSB_9not_fun_tINSA_8identityIsEEEESF_NSA_11use_defaultESM_EENS0_5tupleIJSF_S6_EEENSO_IJSG_SG_EEES6_PlJS6_EEE10hipError_tPvRmT3_T4_T5_T6_T7_T9_mT8_P12ihipStream_tbDpT10_ENKUlT_T0_E_clISt17integral_constantIbLb0EES1A_IbLb1EEEEDaS16_S17_EUlS16_E_NS1_11comp_targetILNS1_3genE8ELNS1_11target_archE1030ELNS1_3gpuE2ELNS1_3repE0EEENS1_30default_config_static_selectorELNS0_4arch9wavefront6targetE0EEEvT1_.has_indirect_call, 0
	.section	.AMDGPU.csdata,"",@progbits
; Kernel info:
; codeLenInByte = 0
; TotalNumSgprs: 0
; NumVgprs: 0
; ScratchSize: 0
; MemoryBound: 0
; FloatMode: 240
; IeeeMode: 1
; LDSByteSize: 0 bytes/workgroup (compile time only)
; SGPRBlocks: 0
; VGPRBlocks: 0
; NumSGPRsForWavesPerEU: 1
; NumVGPRsForWavesPerEU: 1
; Occupancy: 16
; WaveLimiterHint : 0
; COMPUTE_PGM_RSRC2:SCRATCH_EN: 0
; COMPUTE_PGM_RSRC2:USER_SGPR: 2
; COMPUTE_PGM_RSRC2:TRAP_HANDLER: 0
; COMPUTE_PGM_RSRC2:TGID_X_EN: 1
; COMPUTE_PGM_RSRC2:TGID_Y_EN: 0
; COMPUTE_PGM_RSRC2:TGID_Z_EN: 0
; COMPUTE_PGM_RSRC2:TIDIG_COMP_CNT: 0
	.section	.text._ZN7rocprim17ROCPRIM_400000_NS6detail17trampoline_kernelINS0_14default_configENS1_25partition_config_selectorILNS1_17partition_subalgoE6EdNS0_10empty_typeEbEEZZNS1_14partition_implILS5_6ELb0ES3_mN6thrust23THRUST_200600_302600_NS6detail15normal_iteratorINSA_10device_ptrIdEEEEPS6_SG_NS0_5tupleIJSF_S6_EEENSH_IJSG_SG_EEES6_PlJNSB_9not_fun_tI7is_trueIdEEEEEE10hipError_tPvRmT3_T4_T5_T6_T7_T9_mT8_P12ihipStream_tbDpT10_ENKUlT_T0_E_clISt17integral_constantIbLb0EES18_EEDaS13_S14_EUlS13_E_NS1_11comp_targetILNS1_3genE0ELNS1_11target_archE4294967295ELNS1_3gpuE0ELNS1_3repE0EEENS1_30default_config_static_selectorELNS0_4arch9wavefront6targetE0EEEvT1_,"axG",@progbits,_ZN7rocprim17ROCPRIM_400000_NS6detail17trampoline_kernelINS0_14default_configENS1_25partition_config_selectorILNS1_17partition_subalgoE6EdNS0_10empty_typeEbEEZZNS1_14partition_implILS5_6ELb0ES3_mN6thrust23THRUST_200600_302600_NS6detail15normal_iteratorINSA_10device_ptrIdEEEEPS6_SG_NS0_5tupleIJSF_S6_EEENSH_IJSG_SG_EEES6_PlJNSB_9not_fun_tI7is_trueIdEEEEEE10hipError_tPvRmT3_T4_T5_T6_T7_T9_mT8_P12ihipStream_tbDpT10_ENKUlT_T0_E_clISt17integral_constantIbLb0EES18_EEDaS13_S14_EUlS13_E_NS1_11comp_targetILNS1_3genE0ELNS1_11target_archE4294967295ELNS1_3gpuE0ELNS1_3repE0EEENS1_30default_config_static_selectorELNS0_4arch9wavefront6targetE0EEEvT1_,comdat
	.protected	_ZN7rocprim17ROCPRIM_400000_NS6detail17trampoline_kernelINS0_14default_configENS1_25partition_config_selectorILNS1_17partition_subalgoE6EdNS0_10empty_typeEbEEZZNS1_14partition_implILS5_6ELb0ES3_mN6thrust23THRUST_200600_302600_NS6detail15normal_iteratorINSA_10device_ptrIdEEEEPS6_SG_NS0_5tupleIJSF_S6_EEENSH_IJSG_SG_EEES6_PlJNSB_9not_fun_tI7is_trueIdEEEEEE10hipError_tPvRmT3_T4_T5_T6_T7_T9_mT8_P12ihipStream_tbDpT10_ENKUlT_T0_E_clISt17integral_constantIbLb0EES18_EEDaS13_S14_EUlS13_E_NS1_11comp_targetILNS1_3genE0ELNS1_11target_archE4294967295ELNS1_3gpuE0ELNS1_3repE0EEENS1_30default_config_static_selectorELNS0_4arch9wavefront6targetE0EEEvT1_ ; -- Begin function _ZN7rocprim17ROCPRIM_400000_NS6detail17trampoline_kernelINS0_14default_configENS1_25partition_config_selectorILNS1_17partition_subalgoE6EdNS0_10empty_typeEbEEZZNS1_14partition_implILS5_6ELb0ES3_mN6thrust23THRUST_200600_302600_NS6detail15normal_iteratorINSA_10device_ptrIdEEEEPS6_SG_NS0_5tupleIJSF_S6_EEENSH_IJSG_SG_EEES6_PlJNSB_9not_fun_tI7is_trueIdEEEEEE10hipError_tPvRmT3_T4_T5_T6_T7_T9_mT8_P12ihipStream_tbDpT10_ENKUlT_T0_E_clISt17integral_constantIbLb0EES18_EEDaS13_S14_EUlS13_E_NS1_11comp_targetILNS1_3genE0ELNS1_11target_archE4294967295ELNS1_3gpuE0ELNS1_3repE0EEENS1_30default_config_static_selectorELNS0_4arch9wavefront6targetE0EEEvT1_
	.globl	_ZN7rocprim17ROCPRIM_400000_NS6detail17trampoline_kernelINS0_14default_configENS1_25partition_config_selectorILNS1_17partition_subalgoE6EdNS0_10empty_typeEbEEZZNS1_14partition_implILS5_6ELb0ES3_mN6thrust23THRUST_200600_302600_NS6detail15normal_iteratorINSA_10device_ptrIdEEEEPS6_SG_NS0_5tupleIJSF_S6_EEENSH_IJSG_SG_EEES6_PlJNSB_9not_fun_tI7is_trueIdEEEEEE10hipError_tPvRmT3_T4_T5_T6_T7_T9_mT8_P12ihipStream_tbDpT10_ENKUlT_T0_E_clISt17integral_constantIbLb0EES18_EEDaS13_S14_EUlS13_E_NS1_11comp_targetILNS1_3genE0ELNS1_11target_archE4294967295ELNS1_3gpuE0ELNS1_3repE0EEENS1_30default_config_static_selectorELNS0_4arch9wavefront6targetE0EEEvT1_
	.p2align	8
	.type	_ZN7rocprim17ROCPRIM_400000_NS6detail17trampoline_kernelINS0_14default_configENS1_25partition_config_selectorILNS1_17partition_subalgoE6EdNS0_10empty_typeEbEEZZNS1_14partition_implILS5_6ELb0ES3_mN6thrust23THRUST_200600_302600_NS6detail15normal_iteratorINSA_10device_ptrIdEEEEPS6_SG_NS0_5tupleIJSF_S6_EEENSH_IJSG_SG_EEES6_PlJNSB_9not_fun_tI7is_trueIdEEEEEE10hipError_tPvRmT3_T4_T5_T6_T7_T9_mT8_P12ihipStream_tbDpT10_ENKUlT_T0_E_clISt17integral_constantIbLb0EES18_EEDaS13_S14_EUlS13_E_NS1_11comp_targetILNS1_3genE0ELNS1_11target_archE4294967295ELNS1_3gpuE0ELNS1_3repE0EEENS1_30default_config_static_selectorELNS0_4arch9wavefront6targetE0EEEvT1_,@function
_ZN7rocprim17ROCPRIM_400000_NS6detail17trampoline_kernelINS0_14default_configENS1_25partition_config_selectorILNS1_17partition_subalgoE6EdNS0_10empty_typeEbEEZZNS1_14partition_implILS5_6ELb0ES3_mN6thrust23THRUST_200600_302600_NS6detail15normal_iteratorINSA_10device_ptrIdEEEEPS6_SG_NS0_5tupleIJSF_S6_EEENSH_IJSG_SG_EEES6_PlJNSB_9not_fun_tI7is_trueIdEEEEEE10hipError_tPvRmT3_T4_T5_T6_T7_T9_mT8_P12ihipStream_tbDpT10_ENKUlT_T0_E_clISt17integral_constantIbLb0EES18_EEDaS13_S14_EUlS13_E_NS1_11comp_targetILNS1_3genE0ELNS1_11target_archE4294967295ELNS1_3gpuE0ELNS1_3repE0EEENS1_30default_config_static_selectorELNS0_4arch9wavefront6targetE0EEEvT1_: ; @_ZN7rocprim17ROCPRIM_400000_NS6detail17trampoline_kernelINS0_14default_configENS1_25partition_config_selectorILNS1_17partition_subalgoE6EdNS0_10empty_typeEbEEZZNS1_14partition_implILS5_6ELb0ES3_mN6thrust23THRUST_200600_302600_NS6detail15normal_iteratorINSA_10device_ptrIdEEEEPS6_SG_NS0_5tupleIJSF_S6_EEENSH_IJSG_SG_EEES6_PlJNSB_9not_fun_tI7is_trueIdEEEEEE10hipError_tPvRmT3_T4_T5_T6_T7_T9_mT8_P12ihipStream_tbDpT10_ENKUlT_T0_E_clISt17integral_constantIbLb0EES18_EEDaS13_S14_EUlS13_E_NS1_11comp_targetILNS1_3genE0ELNS1_11target_archE4294967295ELNS1_3gpuE0ELNS1_3repE0EEENS1_30default_config_static_selectorELNS0_4arch9wavefront6targetE0EEEvT1_
; %bb.0:
	.section	.rodata,"a",@progbits
	.p2align	6, 0x0
	.amdhsa_kernel _ZN7rocprim17ROCPRIM_400000_NS6detail17trampoline_kernelINS0_14default_configENS1_25partition_config_selectorILNS1_17partition_subalgoE6EdNS0_10empty_typeEbEEZZNS1_14partition_implILS5_6ELb0ES3_mN6thrust23THRUST_200600_302600_NS6detail15normal_iteratorINSA_10device_ptrIdEEEEPS6_SG_NS0_5tupleIJSF_S6_EEENSH_IJSG_SG_EEES6_PlJNSB_9not_fun_tI7is_trueIdEEEEEE10hipError_tPvRmT3_T4_T5_T6_T7_T9_mT8_P12ihipStream_tbDpT10_ENKUlT_T0_E_clISt17integral_constantIbLb0EES18_EEDaS13_S14_EUlS13_E_NS1_11comp_targetILNS1_3genE0ELNS1_11target_archE4294967295ELNS1_3gpuE0ELNS1_3repE0EEENS1_30default_config_static_selectorELNS0_4arch9wavefront6targetE0EEEvT1_
		.amdhsa_group_segment_fixed_size 0
		.amdhsa_private_segment_fixed_size 0
		.amdhsa_kernarg_size 112
		.amdhsa_user_sgpr_count 2
		.amdhsa_user_sgpr_dispatch_ptr 0
		.amdhsa_user_sgpr_queue_ptr 0
		.amdhsa_user_sgpr_kernarg_segment_ptr 1
		.amdhsa_user_sgpr_dispatch_id 0
		.amdhsa_user_sgpr_private_segment_size 0
		.amdhsa_wavefront_size32 1
		.amdhsa_uses_dynamic_stack 0
		.amdhsa_enable_private_segment 0
		.amdhsa_system_sgpr_workgroup_id_x 1
		.amdhsa_system_sgpr_workgroup_id_y 0
		.amdhsa_system_sgpr_workgroup_id_z 0
		.amdhsa_system_sgpr_workgroup_info 0
		.amdhsa_system_vgpr_workitem_id 0
		.amdhsa_next_free_vgpr 1
		.amdhsa_next_free_sgpr 1
		.amdhsa_reserve_vcc 0
		.amdhsa_float_round_mode_32 0
		.amdhsa_float_round_mode_16_64 0
		.amdhsa_float_denorm_mode_32 3
		.amdhsa_float_denorm_mode_16_64 3
		.amdhsa_fp16_overflow 0
		.amdhsa_workgroup_processor_mode 1
		.amdhsa_memory_ordered 1
		.amdhsa_forward_progress 1
		.amdhsa_inst_pref_size 0
		.amdhsa_round_robin_scheduling 0
		.amdhsa_exception_fp_ieee_invalid_op 0
		.amdhsa_exception_fp_denorm_src 0
		.amdhsa_exception_fp_ieee_div_zero 0
		.amdhsa_exception_fp_ieee_overflow 0
		.amdhsa_exception_fp_ieee_underflow 0
		.amdhsa_exception_fp_ieee_inexact 0
		.amdhsa_exception_int_div_zero 0
	.end_amdhsa_kernel
	.section	.text._ZN7rocprim17ROCPRIM_400000_NS6detail17trampoline_kernelINS0_14default_configENS1_25partition_config_selectorILNS1_17partition_subalgoE6EdNS0_10empty_typeEbEEZZNS1_14partition_implILS5_6ELb0ES3_mN6thrust23THRUST_200600_302600_NS6detail15normal_iteratorINSA_10device_ptrIdEEEEPS6_SG_NS0_5tupleIJSF_S6_EEENSH_IJSG_SG_EEES6_PlJNSB_9not_fun_tI7is_trueIdEEEEEE10hipError_tPvRmT3_T4_T5_T6_T7_T9_mT8_P12ihipStream_tbDpT10_ENKUlT_T0_E_clISt17integral_constantIbLb0EES18_EEDaS13_S14_EUlS13_E_NS1_11comp_targetILNS1_3genE0ELNS1_11target_archE4294967295ELNS1_3gpuE0ELNS1_3repE0EEENS1_30default_config_static_selectorELNS0_4arch9wavefront6targetE0EEEvT1_,"axG",@progbits,_ZN7rocprim17ROCPRIM_400000_NS6detail17trampoline_kernelINS0_14default_configENS1_25partition_config_selectorILNS1_17partition_subalgoE6EdNS0_10empty_typeEbEEZZNS1_14partition_implILS5_6ELb0ES3_mN6thrust23THRUST_200600_302600_NS6detail15normal_iteratorINSA_10device_ptrIdEEEEPS6_SG_NS0_5tupleIJSF_S6_EEENSH_IJSG_SG_EEES6_PlJNSB_9not_fun_tI7is_trueIdEEEEEE10hipError_tPvRmT3_T4_T5_T6_T7_T9_mT8_P12ihipStream_tbDpT10_ENKUlT_T0_E_clISt17integral_constantIbLb0EES18_EEDaS13_S14_EUlS13_E_NS1_11comp_targetILNS1_3genE0ELNS1_11target_archE4294967295ELNS1_3gpuE0ELNS1_3repE0EEENS1_30default_config_static_selectorELNS0_4arch9wavefront6targetE0EEEvT1_,comdat
.Lfunc_end1045:
	.size	_ZN7rocprim17ROCPRIM_400000_NS6detail17trampoline_kernelINS0_14default_configENS1_25partition_config_selectorILNS1_17partition_subalgoE6EdNS0_10empty_typeEbEEZZNS1_14partition_implILS5_6ELb0ES3_mN6thrust23THRUST_200600_302600_NS6detail15normal_iteratorINSA_10device_ptrIdEEEEPS6_SG_NS0_5tupleIJSF_S6_EEENSH_IJSG_SG_EEES6_PlJNSB_9not_fun_tI7is_trueIdEEEEEE10hipError_tPvRmT3_T4_T5_T6_T7_T9_mT8_P12ihipStream_tbDpT10_ENKUlT_T0_E_clISt17integral_constantIbLb0EES18_EEDaS13_S14_EUlS13_E_NS1_11comp_targetILNS1_3genE0ELNS1_11target_archE4294967295ELNS1_3gpuE0ELNS1_3repE0EEENS1_30default_config_static_selectorELNS0_4arch9wavefront6targetE0EEEvT1_, .Lfunc_end1045-_ZN7rocprim17ROCPRIM_400000_NS6detail17trampoline_kernelINS0_14default_configENS1_25partition_config_selectorILNS1_17partition_subalgoE6EdNS0_10empty_typeEbEEZZNS1_14partition_implILS5_6ELb0ES3_mN6thrust23THRUST_200600_302600_NS6detail15normal_iteratorINSA_10device_ptrIdEEEEPS6_SG_NS0_5tupleIJSF_S6_EEENSH_IJSG_SG_EEES6_PlJNSB_9not_fun_tI7is_trueIdEEEEEE10hipError_tPvRmT3_T4_T5_T6_T7_T9_mT8_P12ihipStream_tbDpT10_ENKUlT_T0_E_clISt17integral_constantIbLb0EES18_EEDaS13_S14_EUlS13_E_NS1_11comp_targetILNS1_3genE0ELNS1_11target_archE4294967295ELNS1_3gpuE0ELNS1_3repE0EEENS1_30default_config_static_selectorELNS0_4arch9wavefront6targetE0EEEvT1_
                                        ; -- End function
	.set _ZN7rocprim17ROCPRIM_400000_NS6detail17trampoline_kernelINS0_14default_configENS1_25partition_config_selectorILNS1_17partition_subalgoE6EdNS0_10empty_typeEbEEZZNS1_14partition_implILS5_6ELb0ES3_mN6thrust23THRUST_200600_302600_NS6detail15normal_iteratorINSA_10device_ptrIdEEEEPS6_SG_NS0_5tupleIJSF_S6_EEENSH_IJSG_SG_EEES6_PlJNSB_9not_fun_tI7is_trueIdEEEEEE10hipError_tPvRmT3_T4_T5_T6_T7_T9_mT8_P12ihipStream_tbDpT10_ENKUlT_T0_E_clISt17integral_constantIbLb0EES18_EEDaS13_S14_EUlS13_E_NS1_11comp_targetILNS1_3genE0ELNS1_11target_archE4294967295ELNS1_3gpuE0ELNS1_3repE0EEENS1_30default_config_static_selectorELNS0_4arch9wavefront6targetE0EEEvT1_.num_vgpr, 0
	.set _ZN7rocprim17ROCPRIM_400000_NS6detail17trampoline_kernelINS0_14default_configENS1_25partition_config_selectorILNS1_17partition_subalgoE6EdNS0_10empty_typeEbEEZZNS1_14partition_implILS5_6ELb0ES3_mN6thrust23THRUST_200600_302600_NS6detail15normal_iteratorINSA_10device_ptrIdEEEEPS6_SG_NS0_5tupleIJSF_S6_EEENSH_IJSG_SG_EEES6_PlJNSB_9not_fun_tI7is_trueIdEEEEEE10hipError_tPvRmT3_T4_T5_T6_T7_T9_mT8_P12ihipStream_tbDpT10_ENKUlT_T0_E_clISt17integral_constantIbLb0EES18_EEDaS13_S14_EUlS13_E_NS1_11comp_targetILNS1_3genE0ELNS1_11target_archE4294967295ELNS1_3gpuE0ELNS1_3repE0EEENS1_30default_config_static_selectorELNS0_4arch9wavefront6targetE0EEEvT1_.num_agpr, 0
	.set _ZN7rocprim17ROCPRIM_400000_NS6detail17trampoline_kernelINS0_14default_configENS1_25partition_config_selectorILNS1_17partition_subalgoE6EdNS0_10empty_typeEbEEZZNS1_14partition_implILS5_6ELb0ES3_mN6thrust23THRUST_200600_302600_NS6detail15normal_iteratorINSA_10device_ptrIdEEEEPS6_SG_NS0_5tupleIJSF_S6_EEENSH_IJSG_SG_EEES6_PlJNSB_9not_fun_tI7is_trueIdEEEEEE10hipError_tPvRmT3_T4_T5_T6_T7_T9_mT8_P12ihipStream_tbDpT10_ENKUlT_T0_E_clISt17integral_constantIbLb0EES18_EEDaS13_S14_EUlS13_E_NS1_11comp_targetILNS1_3genE0ELNS1_11target_archE4294967295ELNS1_3gpuE0ELNS1_3repE0EEENS1_30default_config_static_selectorELNS0_4arch9wavefront6targetE0EEEvT1_.numbered_sgpr, 0
	.set _ZN7rocprim17ROCPRIM_400000_NS6detail17trampoline_kernelINS0_14default_configENS1_25partition_config_selectorILNS1_17partition_subalgoE6EdNS0_10empty_typeEbEEZZNS1_14partition_implILS5_6ELb0ES3_mN6thrust23THRUST_200600_302600_NS6detail15normal_iteratorINSA_10device_ptrIdEEEEPS6_SG_NS0_5tupleIJSF_S6_EEENSH_IJSG_SG_EEES6_PlJNSB_9not_fun_tI7is_trueIdEEEEEE10hipError_tPvRmT3_T4_T5_T6_T7_T9_mT8_P12ihipStream_tbDpT10_ENKUlT_T0_E_clISt17integral_constantIbLb0EES18_EEDaS13_S14_EUlS13_E_NS1_11comp_targetILNS1_3genE0ELNS1_11target_archE4294967295ELNS1_3gpuE0ELNS1_3repE0EEENS1_30default_config_static_selectorELNS0_4arch9wavefront6targetE0EEEvT1_.num_named_barrier, 0
	.set _ZN7rocprim17ROCPRIM_400000_NS6detail17trampoline_kernelINS0_14default_configENS1_25partition_config_selectorILNS1_17partition_subalgoE6EdNS0_10empty_typeEbEEZZNS1_14partition_implILS5_6ELb0ES3_mN6thrust23THRUST_200600_302600_NS6detail15normal_iteratorINSA_10device_ptrIdEEEEPS6_SG_NS0_5tupleIJSF_S6_EEENSH_IJSG_SG_EEES6_PlJNSB_9not_fun_tI7is_trueIdEEEEEE10hipError_tPvRmT3_T4_T5_T6_T7_T9_mT8_P12ihipStream_tbDpT10_ENKUlT_T0_E_clISt17integral_constantIbLb0EES18_EEDaS13_S14_EUlS13_E_NS1_11comp_targetILNS1_3genE0ELNS1_11target_archE4294967295ELNS1_3gpuE0ELNS1_3repE0EEENS1_30default_config_static_selectorELNS0_4arch9wavefront6targetE0EEEvT1_.private_seg_size, 0
	.set _ZN7rocprim17ROCPRIM_400000_NS6detail17trampoline_kernelINS0_14default_configENS1_25partition_config_selectorILNS1_17partition_subalgoE6EdNS0_10empty_typeEbEEZZNS1_14partition_implILS5_6ELb0ES3_mN6thrust23THRUST_200600_302600_NS6detail15normal_iteratorINSA_10device_ptrIdEEEEPS6_SG_NS0_5tupleIJSF_S6_EEENSH_IJSG_SG_EEES6_PlJNSB_9not_fun_tI7is_trueIdEEEEEE10hipError_tPvRmT3_T4_T5_T6_T7_T9_mT8_P12ihipStream_tbDpT10_ENKUlT_T0_E_clISt17integral_constantIbLb0EES18_EEDaS13_S14_EUlS13_E_NS1_11comp_targetILNS1_3genE0ELNS1_11target_archE4294967295ELNS1_3gpuE0ELNS1_3repE0EEENS1_30default_config_static_selectorELNS0_4arch9wavefront6targetE0EEEvT1_.uses_vcc, 0
	.set _ZN7rocprim17ROCPRIM_400000_NS6detail17trampoline_kernelINS0_14default_configENS1_25partition_config_selectorILNS1_17partition_subalgoE6EdNS0_10empty_typeEbEEZZNS1_14partition_implILS5_6ELb0ES3_mN6thrust23THRUST_200600_302600_NS6detail15normal_iteratorINSA_10device_ptrIdEEEEPS6_SG_NS0_5tupleIJSF_S6_EEENSH_IJSG_SG_EEES6_PlJNSB_9not_fun_tI7is_trueIdEEEEEE10hipError_tPvRmT3_T4_T5_T6_T7_T9_mT8_P12ihipStream_tbDpT10_ENKUlT_T0_E_clISt17integral_constantIbLb0EES18_EEDaS13_S14_EUlS13_E_NS1_11comp_targetILNS1_3genE0ELNS1_11target_archE4294967295ELNS1_3gpuE0ELNS1_3repE0EEENS1_30default_config_static_selectorELNS0_4arch9wavefront6targetE0EEEvT1_.uses_flat_scratch, 0
	.set _ZN7rocprim17ROCPRIM_400000_NS6detail17trampoline_kernelINS0_14default_configENS1_25partition_config_selectorILNS1_17partition_subalgoE6EdNS0_10empty_typeEbEEZZNS1_14partition_implILS5_6ELb0ES3_mN6thrust23THRUST_200600_302600_NS6detail15normal_iteratorINSA_10device_ptrIdEEEEPS6_SG_NS0_5tupleIJSF_S6_EEENSH_IJSG_SG_EEES6_PlJNSB_9not_fun_tI7is_trueIdEEEEEE10hipError_tPvRmT3_T4_T5_T6_T7_T9_mT8_P12ihipStream_tbDpT10_ENKUlT_T0_E_clISt17integral_constantIbLb0EES18_EEDaS13_S14_EUlS13_E_NS1_11comp_targetILNS1_3genE0ELNS1_11target_archE4294967295ELNS1_3gpuE0ELNS1_3repE0EEENS1_30default_config_static_selectorELNS0_4arch9wavefront6targetE0EEEvT1_.has_dyn_sized_stack, 0
	.set _ZN7rocprim17ROCPRIM_400000_NS6detail17trampoline_kernelINS0_14default_configENS1_25partition_config_selectorILNS1_17partition_subalgoE6EdNS0_10empty_typeEbEEZZNS1_14partition_implILS5_6ELb0ES3_mN6thrust23THRUST_200600_302600_NS6detail15normal_iteratorINSA_10device_ptrIdEEEEPS6_SG_NS0_5tupleIJSF_S6_EEENSH_IJSG_SG_EEES6_PlJNSB_9not_fun_tI7is_trueIdEEEEEE10hipError_tPvRmT3_T4_T5_T6_T7_T9_mT8_P12ihipStream_tbDpT10_ENKUlT_T0_E_clISt17integral_constantIbLb0EES18_EEDaS13_S14_EUlS13_E_NS1_11comp_targetILNS1_3genE0ELNS1_11target_archE4294967295ELNS1_3gpuE0ELNS1_3repE0EEENS1_30default_config_static_selectorELNS0_4arch9wavefront6targetE0EEEvT1_.has_recursion, 0
	.set _ZN7rocprim17ROCPRIM_400000_NS6detail17trampoline_kernelINS0_14default_configENS1_25partition_config_selectorILNS1_17partition_subalgoE6EdNS0_10empty_typeEbEEZZNS1_14partition_implILS5_6ELb0ES3_mN6thrust23THRUST_200600_302600_NS6detail15normal_iteratorINSA_10device_ptrIdEEEEPS6_SG_NS0_5tupleIJSF_S6_EEENSH_IJSG_SG_EEES6_PlJNSB_9not_fun_tI7is_trueIdEEEEEE10hipError_tPvRmT3_T4_T5_T6_T7_T9_mT8_P12ihipStream_tbDpT10_ENKUlT_T0_E_clISt17integral_constantIbLb0EES18_EEDaS13_S14_EUlS13_E_NS1_11comp_targetILNS1_3genE0ELNS1_11target_archE4294967295ELNS1_3gpuE0ELNS1_3repE0EEENS1_30default_config_static_selectorELNS0_4arch9wavefront6targetE0EEEvT1_.has_indirect_call, 0
	.section	.AMDGPU.csdata,"",@progbits
; Kernel info:
; codeLenInByte = 0
; TotalNumSgprs: 0
; NumVgprs: 0
; ScratchSize: 0
; MemoryBound: 0
; FloatMode: 240
; IeeeMode: 1
; LDSByteSize: 0 bytes/workgroup (compile time only)
; SGPRBlocks: 0
; VGPRBlocks: 0
; NumSGPRsForWavesPerEU: 1
; NumVGPRsForWavesPerEU: 1
; Occupancy: 16
; WaveLimiterHint : 0
; COMPUTE_PGM_RSRC2:SCRATCH_EN: 0
; COMPUTE_PGM_RSRC2:USER_SGPR: 2
; COMPUTE_PGM_RSRC2:TRAP_HANDLER: 0
; COMPUTE_PGM_RSRC2:TGID_X_EN: 1
; COMPUTE_PGM_RSRC2:TGID_Y_EN: 0
; COMPUTE_PGM_RSRC2:TGID_Z_EN: 0
; COMPUTE_PGM_RSRC2:TIDIG_COMP_CNT: 0
	.section	.text._ZN7rocprim17ROCPRIM_400000_NS6detail17trampoline_kernelINS0_14default_configENS1_25partition_config_selectorILNS1_17partition_subalgoE6EdNS0_10empty_typeEbEEZZNS1_14partition_implILS5_6ELb0ES3_mN6thrust23THRUST_200600_302600_NS6detail15normal_iteratorINSA_10device_ptrIdEEEEPS6_SG_NS0_5tupleIJSF_S6_EEENSH_IJSG_SG_EEES6_PlJNSB_9not_fun_tI7is_trueIdEEEEEE10hipError_tPvRmT3_T4_T5_T6_T7_T9_mT8_P12ihipStream_tbDpT10_ENKUlT_T0_E_clISt17integral_constantIbLb0EES18_EEDaS13_S14_EUlS13_E_NS1_11comp_targetILNS1_3genE5ELNS1_11target_archE942ELNS1_3gpuE9ELNS1_3repE0EEENS1_30default_config_static_selectorELNS0_4arch9wavefront6targetE0EEEvT1_,"axG",@progbits,_ZN7rocprim17ROCPRIM_400000_NS6detail17trampoline_kernelINS0_14default_configENS1_25partition_config_selectorILNS1_17partition_subalgoE6EdNS0_10empty_typeEbEEZZNS1_14partition_implILS5_6ELb0ES3_mN6thrust23THRUST_200600_302600_NS6detail15normal_iteratorINSA_10device_ptrIdEEEEPS6_SG_NS0_5tupleIJSF_S6_EEENSH_IJSG_SG_EEES6_PlJNSB_9not_fun_tI7is_trueIdEEEEEE10hipError_tPvRmT3_T4_T5_T6_T7_T9_mT8_P12ihipStream_tbDpT10_ENKUlT_T0_E_clISt17integral_constantIbLb0EES18_EEDaS13_S14_EUlS13_E_NS1_11comp_targetILNS1_3genE5ELNS1_11target_archE942ELNS1_3gpuE9ELNS1_3repE0EEENS1_30default_config_static_selectorELNS0_4arch9wavefront6targetE0EEEvT1_,comdat
	.protected	_ZN7rocprim17ROCPRIM_400000_NS6detail17trampoline_kernelINS0_14default_configENS1_25partition_config_selectorILNS1_17partition_subalgoE6EdNS0_10empty_typeEbEEZZNS1_14partition_implILS5_6ELb0ES3_mN6thrust23THRUST_200600_302600_NS6detail15normal_iteratorINSA_10device_ptrIdEEEEPS6_SG_NS0_5tupleIJSF_S6_EEENSH_IJSG_SG_EEES6_PlJNSB_9not_fun_tI7is_trueIdEEEEEE10hipError_tPvRmT3_T4_T5_T6_T7_T9_mT8_P12ihipStream_tbDpT10_ENKUlT_T0_E_clISt17integral_constantIbLb0EES18_EEDaS13_S14_EUlS13_E_NS1_11comp_targetILNS1_3genE5ELNS1_11target_archE942ELNS1_3gpuE9ELNS1_3repE0EEENS1_30default_config_static_selectorELNS0_4arch9wavefront6targetE0EEEvT1_ ; -- Begin function _ZN7rocprim17ROCPRIM_400000_NS6detail17trampoline_kernelINS0_14default_configENS1_25partition_config_selectorILNS1_17partition_subalgoE6EdNS0_10empty_typeEbEEZZNS1_14partition_implILS5_6ELb0ES3_mN6thrust23THRUST_200600_302600_NS6detail15normal_iteratorINSA_10device_ptrIdEEEEPS6_SG_NS0_5tupleIJSF_S6_EEENSH_IJSG_SG_EEES6_PlJNSB_9not_fun_tI7is_trueIdEEEEEE10hipError_tPvRmT3_T4_T5_T6_T7_T9_mT8_P12ihipStream_tbDpT10_ENKUlT_T0_E_clISt17integral_constantIbLb0EES18_EEDaS13_S14_EUlS13_E_NS1_11comp_targetILNS1_3genE5ELNS1_11target_archE942ELNS1_3gpuE9ELNS1_3repE0EEENS1_30default_config_static_selectorELNS0_4arch9wavefront6targetE0EEEvT1_
	.globl	_ZN7rocprim17ROCPRIM_400000_NS6detail17trampoline_kernelINS0_14default_configENS1_25partition_config_selectorILNS1_17partition_subalgoE6EdNS0_10empty_typeEbEEZZNS1_14partition_implILS5_6ELb0ES3_mN6thrust23THRUST_200600_302600_NS6detail15normal_iteratorINSA_10device_ptrIdEEEEPS6_SG_NS0_5tupleIJSF_S6_EEENSH_IJSG_SG_EEES6_PlJNSB_9not_fun_tI7is_trueIdEEEEEE10hipError_tPvRmT3_T4_T5_T6_T7_T9_mT8_P12ihipStream_tbDpT10_ENKUlT_T0_E_clISt17integral_constantIbLb0EES18_EEDaS13_S14_EUlS13_E_NS1_11comp_targetILNS1_3genE5ELNS1_11target_archE942ELNS1_3gpuE9ELNS1_3repE0EEENS1_30default_config_static_selectorELNS0_4arch9wavefront6targetE0EEEvT1_
	.p2align	8
	.type	_ZN7rocprim17ROCPRIM_400000_NS6detail17trampoline_kernelINS0_14default_configENS1_25partition_config_selectorILNS1_17partition_subalgoE6EdNS0_10empty_typeEbEEZZNS1_14partition_implILS5_6ELb0ES3_mN6thrust23THRUST_200600_302600_NS6detail15normal_iteratorINSA_10device_ptrIdEEEEPS6_SG_NS0_5tupleIJSF_S6_EEENSH_IJSG_SG_EEES6_PlJNSB_9not_fun_tI7is_trueIdEEEEEE10hipError_tPvRmT3_T4_T5_T6_T7_T9_mT8_P12ihipStream_tbDpT10_ENKUlT_T0_E_clISt17integral_constantIbLb0EES18_EEDaS13_S14_EUlS13_E_NS1_11comp_targetILNS1_3genE5ELNS1_11target_archE942ELNS1_3gpuE9ELNS1_3repE0EEENS1_30default_config_static_selectorELNS0_4arch9wavefront6targetE0EEEvT1_,@function
_ZN7rocprim17ROCPRIM_400000_NS6detail17trampoline_kernelINS0_14default_configENS1_25partition_config_selectorILNS1_17partition_subalgoE6EdNS0_10empty_typeEbEEZZNS1_14partition_implILS5_6ELb0ES3_mN6thrust23THRUST_200600_302600_NS6detail15normal_iteratorINSA_10device_ptrIdEEEEPS6_SG_NS0_5tupleIJSF_S6_EEENSH_IJSG_SG_EEES6_PlJNSB_9not_fun_tI7is_trueIdEEEEEE10hipError_tPvRmT3_T4_T5_T6_T7_T9_mT8_P12ihipStream_tbDpT10_ENKUlT_T0_E_clISt17integral_constantIbLb0EES18_EEDaS13_S14_EUlS13_E_NS1_11comp_targetILNS1_3genE5ELNS1_11target_archE942ELNS1_3gpuE9ELNS1_3repE0EEENS1_30default_config_static_selectorELNS0_4arch9wavefront6targetE0EEEvT1_: ; @_ZN7rocprim17ROCPRIM_400000_NS6detail17trampoline_kernelINS0_14default_configENS1_25partition_config_selectorILNS1_17partition_subalgoE6EdNS0_10empty_typeEbEEZZNS1_14partition_implILS5_6ELb0ES3_mN6thrust23THRUST_200600_302600_NS6detail15normal_iteratorINSA_10device_ptrIdEEEEPS6_SG_NS0_5tupleIJSF_S6_EEENSH_IJSG_SG_EEES6_PlJNSB_9not_fun_tI7is_trueIdEEEEEE10hipError_tPvRmT3_T4_T5_T6_T7_T9_mT8_P12ihipStream_tbDpT10_ENKUlT_T0_E_clISt17integral_constantIbLb0EES18_EEDaS13_S14_EUlS13_E_NS1_11comp_targetILNS1_3genE5ELNS1_11target_archE942ELNS1_3gpuE9ELNS1_3repE0EEENS1_30default_config_static_selectorELNS0_4arch9wavefront6targetE0EEEvT1_
; %bb.0:
	.section	.rodata,"a",@progbits
	.p2align	6, 0x0
	.amdhsa_kernel _ZN7rocprim17ROCPRIM_400000_NS6detail17trampoline_kernelINS0_14default_configENS1_25partition_config_selectorILNS1_17partition_subalgoE6EdNS0_10empty_typeEbEEZZNS1_14partition_implILS5_6ELb0ES3_mN6thrust23THRUST_200600_302600_NS6detail15normal_iteratorINSA_10device_ptrIdEEEEPS6_SG_NS0_5tupleIJSF_S6_EEENSH_IJSG_SG_EEES6_PlJNSB_9not_fun_tI7is_trueIdEEEEEE10hipError_tPvRmT3_T4_T5_T6_T7_T9_mT8_P12ihipStream_tbDpT10_ENKUlT_T0_E_clISt17integral_constantIbLb0EES18_EEDaS13_S14_EUlS13_E_NS1_11comp_targetILNS1_3genE5ELNS1_11target_archE942ELNS1_3gpuE9ELNS1_3repE0EEENS1_30default_config_static_selectorELNS0_4arch9wavefront6targetE0EEEvT1_
		.amdhsa_group_segment_fixed_size 0
		.amdhsa_private_segment_fixed_size 0
		.amdhsa_kernarg_size 112
		.amdhsa_user_sgpr_count 2
		.amdhsa_user_sgpr_dispatch_ptr 0
		.amdhsa_user_sgpr_queue_ptr 0
		.amdhsa_user_sgpr_kernarg_segment_ptr 1
		.amdhsa_user_sgpr_dispatch_id 0
		.amdhsa_user_sgpr_private_segment_size 0
		.amdhsa_wavefront_size32 1
		.amdhsa_uses_dynamic_stack 0
		.amdhsa_enable_private_segment 0
		.amdhsa_system_sgpr_workgroup_id_x 1
		.amdhsa_system_sgpr_workgroup_id_y 0
		.amdhsa_system_sgpr_workgroup_id_z 0
		.amdhsa_system_sgpr_workgroup_info 0
		.amdhsa_system_vgpr_workitem_id 0
		.amdhsa_next_free_vgpr 1
		.amdhsa_next_free_sgpr 1
		.amdhsa_reserve_vcc 0
		.amdhsa_float_round_mode_32 0
		.amdhsa_float_round_mode_16_64 0
		.amdhsa_float_denorm_mode_32 3
		.amdhsa_float_denorm_mode_16_64 3
		.amdhsa_fp16_overflow 0
		.amdhsa_workgroup_processor_mode 1
		.amdhsa_memory_ordered 1
		.amdhsa_forward_progress 1
		.amdhsa_inst_pref_size 0
		.amdhsa_round_robin_scheduling 0
		.amdhsa_exception_fp_ieee_invalid_op 0
		.amdhsa_exception_fp_denorm_src 0
		.amdhsa_exception_fp_ieee_div_zero 0
		.amdhsa_exception_fp_ieee_overflow 0
		.amdhsa_exception_fp_ieee_underflow 0
		.amdhsa_exception_fp_ieee_inexact 0
		.amdhsa_exception_int_div_zero 0
	.end_amdhsa_kernel
	.section	.text._ZN7rocprim17ROCPRIM_400000_NS6detail17trampoline_kernelINS0_14default_configENS1_25partition_config_selectorILNS1_17partition_subalgoE6EdNS0_10empty_typeEbEEZZNS1_14partition_implILS5_6ELb0ES3_mN6thrust23THRUST_200600_302600_NS6detail15normal_iteratorINSA_10device_ptrIdEEEEPS6_SG_NS0_5tupleIJSF_S6_EEENSH_IJSG_SG_EEES6_PlJNSB_9not_fun_tI7is_trueIdEEEEEE10hipError_tPvRmT3_T4_T5_T6_T7_T9_mT8_P12ihipStream_tbDpT10_ENKUlT_T0_E_clISt17integral_constantIbLb0EES18_EEDaS13_S14_EUlS13_E_NS1_11comp_targetILNS1_3genE5ELNS1_11target_archE942ELNS1_3gpuE9ELNS1_3repE0EEENS1_30default_config_static_selectorELNS0_4arch9wavefront6targetE0EEEvT1_,"axG",@progbits,_ZN7rocprim17ROCPRIM_400000_NS6detail17trampoline_kernelINS0_14default_configENS1_25partition_config_selectorILNS1_17partition_subalgoE6EdNS0_10empty_typeEbEEZZNS1_14partition_implILS5_6ELb0ES3_mN6thrust23THRUST_200600_302600_NS6detail15normal_iteratorINSA_10device_ptrIdEEEEPS6_SG_NS0_5tupleIJSF_S6_EEENSH_IJSG_SG_EEES6_PlJNSB_9not_fun_tI7is_trueIdEEEEEE10hipError_tPvRmT3_T4_T5_T6_T7_T9_mT8_P12ihipStream_tbDpT10_ENKUlT_T0_E_clISt17integral_constantIbLb0EES18_EEDaS13_S14_EUlS13_E_NS1_11comp_targetILNS1_3genE5ELNS1_11target_archE942ELNS1_3gpuE9ELNS1_3repE0EEENS1_30default_config_static_selectorELNS0_4arch9wavefront6targetE0EEEvT1_,comdat
.Lfunc_end1046:
	.size	_ZN7rocprim17ROCPRIM_400000_NS6detail17trampoline_kernelINS0_14default_configENS1_25partition_config_selectorILNS1_17partition_subalgoE6EdNS0_10empty_typeEbEEZZNS1_14partition_implILS5_6ELb0ES3_mN6thrust23THRUST_200600_302600_NS6detail15normal_iteratorINSA_10device_ptrIdEEEEPS6_SG_NS0_5tupleIJSF_S6_EEENSH_IJSG_SG_EEES6_PlJNSB_9not_fun_tI7is_trueIdEEEEEE10hipError_tPvRmT3_T4_T5_T6_T7_T9_mT8_P12ihipStream_tbDpT10_ENKUlT_T0_E_clISt17integral_constantIbLb0EES18_EEDaS13_S14_EUlS13_E_NS1_11comp_targetILNS1_3genE5ELNS1_11target_archE942ELNS1_3gpuE9ELNS1_3repE0EEENS1_30default_config_static_selectorELNS0_4arch9wavefront6targetE0EEEvT1_, .Lfunc_end1046-_ZN7rocprim17ROCPRIM_400000_NS6detail17trampoline_kernelINS0_14default_configENS1_25partition_config_selectorILNS1_17partition_subalgoE6EdNS0_10empty_typeEbEEZZNS1_14partition_implILS5_6ELb0ES3_mN6thrust23THRUST_200600_302600_NS6detail15normal_iteratorINSA_10device_ptrIdEEEEPS6_SG_NS0_5tupleIJSF_S6_EEENSH_IJSG_SG_EEES6_PlJNSB_9not_fun_tI7is_trueIdEEEEEE10hipError_tPvRmT3_T4_T5_T6_T7_T9_mT8_P12ihipStream_tbDpT10_ENKUlT_T0_E_clISt17integral_constantIbLb0EES18_EEDaS13_S14_EUlS13_E_NS1_11comp_targetILNS1_3genE5ELNS1_11target_archE942ELNS1_3gpuE9ELNS1_3repE0EEENS1_30default_config_static_selectorELNS0_4arch9wavefront6targetE0EEEvT1_
                                        ; -- End function
	.set _ZN7rocprim17ROCPRIM_400000_NS6detail17trampoline_kernelINS0_14default_configENS1_25partition_config_selectorILNS1_17partition_subalgoE6EdNS0_10empty_typeEbEEZZNS1_14partition_implILS5_6ELb0ES3_mN6thrust23THRUST_200600_302600_NS6detail15normal_iteratorINSA_10device_ptrIdEEEEPS6_SG_NS0_5tupleIJSF_S6_EEENSH_IJSG_SG_EEES6_PlJNSB_9not_fun_tI7is_trueIdEEEEEE10hipError_tPvRmT3_T4_T5_T6_T7_T9_mT8_P12ihipStream_tbDpT10_ENKUlT_T0_E_clISt17integral_constantIbLb0EES18_EEDaS13_S14_EUlS13_E_NS1_11comp_targetILNS1_3genE5ELNS1_11target_archE942ELNS1_3gpuE9ELNS1_3repE0EEENS1_30default_config_static_selectorELNS0_4arch9wavefront6targetE0EEEvT1_.num_vgpr, 0
	.set _ZN7rocprim17ROCPRIM_400000_NS6detail17trampoline_kernelINS0_14default_configENS1_25partition_config_selectorILNS1_17partition_subalgoE6EdNS0_10empty_typeEbEEZZNS1_14partition_implILS5_6ELb0ES3_mN6thrust23THRUST_200600_302600_NS6detail15normal_iteratorINSA_10device_ptrIdEEEEPS6_SG_NS0_5tupleIJSF_S6_EEENSH_IJSG_SG_EEES6_PlJNSB_9not_fun_tI7is_trueIdEEEEEE10hipError_tPvRmT3_T4_T5_T6_T7_T9_mT8_P12ihipStream_tbDpT10_ENKUlT_T0_E_clISt17integral_constantIbLb0EES18_EEDaS13_S14_EUlS13_E_NS1_11comp_targetILNS1_3genE5ELNS1_11target_archE942ELNS1_3gpuE9ELNS1_3repE0EEENS1_30default_config_static_selectorELNS0_4arch9wavefront6targetE0EEEvT1_.num_agpr, 0
	.set _ZN7rocprim17ROCPRIM_400000_NS6detail17trampoline_kernelINS0_14default_configENS1_25partition_config_selectorILNS1_17partition_subalgoE6EdNS0_10empty_typeEbEEZZNS1_14partition_implILS5_6ELb0ES3_mN6thrust23THRUST_200600_302600_NS6detail15normal_iteratorINSA_10device_ptrIdEEEEPS6_SG_NS0_5tupleIJSF_S6_EEENSH_IJSG_SG_EEES6_PlJNSB_9not_fun_tI7is_trueIdEEEEEE10hipError_tPvRmT3_T4_T5_T6_T7_T9_mT8_P12ihipStream_tbDpT10_ENKUlT_T0_E_clISt17integral_constantIbLb0EES18_EEDaS13_S14_EUlS13_E_NS1_11comp_targetILNS1_3genE5ELNS1_11target_archE942ELNS1_3gpuE9ELNS1_3repE0EEENS1_30default_config_static_selectorELNS0_4arch9wavefront6targetE0EEEvT1_.numbered_sgpr, 0
	.set _ZN7rocprim17ROCPRIM_400000_NS6detail17trampoline_kernelINS0_14default_configENS1_25partition_config_selectorILNS1_17partition_subalgoE6EdNS0_10empty_typeEbEEZZNS1_14partition_implILS5_6ELb0ES3_mN6thrust23THRUST_200600_302600_NS6detail15normal_iteratorINSA_10device_ptrIdEEEEPS6_SG_NS0_5tupleIJSF_S6_EEENSH_IJSG_SG_EEES6_PlJNSB_9not_fun_tI7is_trueIdEEEEEE10hipError_tPvRmT3_T4_T5_T6_T7_T9_mT8_P12ihipStream_tbDpT10_ENKUlT_T0_E_clISt17integral_constantIbLb0EES18_EEDaS13_S14_EUlS13_E_NS1_11comp_targetILNS1_3genE5ELNS1_11target_archE942ELNS1_3gpuE9ELNS1_3repE0EEENS1_30default_config_static_selectorELNS0_4arch9wavefront6targetE0EEEvT1_.num_named_barrier, 0
	.set _ZN7rocprim17ROCPRIM_400000_NS6detail17trampoline_kernelINS0_14default_configENS1_25partition_config_selectorILNS1_17partition_subalgoE6EdNS0_10empty_typeEbEEZZNS1_14partition_implILS5_6ELb0ES3_mN6thrust23THRUST_200600_302600_NS6detail15normal_iteratorINSA_10device_ptrIdEEEEPS6_SG_NS0_5tupleIJSF_S6_EEENSH_IJSG_SG_EEES6_PlJNSB_9not_fun_tI7is_trueIdEEEEEE10hipError_tPvRmT3_T4_T5_T6_T7_T9_mT8_P12ihipStream_tbDpT10_ENKUlT_T0_E_clISt17integral_constantIbLb0EES18_EEDaS13_S14_EUlS13_E_NS1_11comp_targetILNS1_3genE5ELNS1_11target_archE942ELNS1_3gpuE9ELNS1_3repE0EEENS1_30default_config_static_selectorELNS0_4arch9wavefront6targetE0EEEvT1_.private_seg_size, 0
	.set _ZN7rocprim17ROCPRIM_400000_NS6detail17trampoline_kernelINS0_14default_configENS1_25partition_config_selectorILNS1_17partition_subalgoE6EdNS0_10empty_typeEbEEZZNS1_14partition_implILS5_6ELb0ES3_mN6thrust23THRUST_200600_302600_NS6detail15normal_iteratorINSA_10device_ptrIdEEEEPS6_SG_NS0_5tupleIJSF_S6_EEENSH_IJSG_SG_EEES6_PlJNSB_9not_fun_tI7is_trueIdEEEEEE10hipError_tPvRmT3_T4_T5_T6_T7_T9_mT8_P12ihipStream_tbDpT10_ENKUlT_T0_E_clISt17integral_constantIbLb0EES18_EEDaS13_S14_EUlS13_E_NS1_11comp_targetILNS1_3genE5ELNS1_11target_archE942ELNS1_3gpuE9ELNS1_3repE0EEENS1_30default_config_static_selectorELNS0_4arch9wavefront6targetE0EEEvT1_.uses_vcc, 0
	.set _ZN7rocprim17ROCPRIM_400000_NS6detail17trampoline_kernelINS0_14default_configENS1_25partition_config_selectorILNS1_17partition_subalgoE6EdNS0_10empty_typeEbEEZZNS1_14partition_implILS5_6ELb0ES3_mN6thrust23THRUST_200600_302600_NS6detail15normal_iteratorINSA_10device_ptrIdEEEEPS6_SG_NS0_5tupleIJSF_S6_EEENSH_IJSG_SG_EEES6_PlJNSB_9not_fun_tI7is_trueIdEEEEEE10hipError_tPvRmT3_T4_T5_T6_T7_T9_mT8_P12ihipStream_tbDpT10_ENKUlT_T0_E_clISt17integral_constantIbLb0EES18_EEDaS13_S14_EUlS13_E_NS1_11comp_targetILNS1_3genE5ELNS1_11target_archE942ELNS1_3gpuE9ELNS1_3repE0EEENS1_30default_config_static_selectorELNS0_4arch9wavefront6targetE0EEEvT1_.uses_flat_scratch, 0
	.set _ZN7rocprim17ROCPRIM_400000_NS6detail17trampoline_kernelINS0_14default_configENS1_25partition_config_selectorILNS1_17partition_subalgoE6EdNS0_10empty_typeEbEEZZNS1_14partition_implILS5_6ELb0ES3_mN6thrust23THRUST_200600_302600_NS6detail15normal_iteratorINSA_10device_ptrIdEEEEPS6_SG_NS0_5tupleIJSF_S6_EEENSH_IJSG_SG_EEES6_PlJNSB_9not_fun_tI7is_trueIdEEEEEE10hipError_tPvRmT3_T4_T5_T6_T7_T9_mT8_P12ihipStream_tbDpT10_ENKUlT_T0_E_clISt17integral_constantIbLb0EES18_EEDaS13_S14_EUlS13_E_NS1_11comp_targetILNS1_3genE5ELNS1_11target_archE942ELNS1_3gpuE9ELNS1_3repE0EEENS1_30default_config_static_selectorELNS0_4arch9wavefront6targetE0EEEvT1_.has_dyn_sized_stack, 0
	.set _ZN7rocprim17ROCPRIM_400000_NS6detail17trampoline_kernelINS0_14default_configENS1_25partition_config_selectorILNS1_17partition_subalgoE6EdNS0_10empty_typeEbEEZZNS1_14partition_implILS5_6ELb0ES3_mN6thrust23THRUST_200600_302600_NS6detail15normal_iteratorINSA_10device_ptrIdEEEEPS6_SG_NS0_5tupleIJSF_S6_EEENSH_IJSG_SG_EEES6_PlJNSB_9not_fun_tI7is_trueIdEEEEEE10hipError_tPvRmT3_T4_T5_T6_T7_T9_mT8_P12ihipStream_tbDpT10_ENKUlT_T0_E_clISt17integral_constantIbLb0EES18_EEDaS13_S14_EUlS13_E_NS1_11comp_targetILNS1_3genE5ELNS1_11target_archE942ELNS1_3gpuE9ELNS1_3repE0EEENS1_30default_config_static_selectorELNS0_4arch9wavefront6targetE0EEEvT1_.has_recursion, 0
	.set _ZN7rocprim17ROCPRIM_400000_NS6detail17trampoline_kernelINS0_14default_configENS1_25partition_config_selectorILNS1_17partition_subalgoE6EdNS0_10empty_typeEbEEZZNS1_14partition_implILS5_6ELb0ES3_mN6thrust23THRUST_200600_302600_NS6detail15normal_iteratorINSA_10device_ptrIdEEEEPS6_SG_NS0_5tupleIJSF_S6_EEENSH_IJSG_SG_EEES6_PlJNSB_9not_fun_tI7is_trueIdEEEEEE10hipError_tPvRmT3_T4_T5_T6_T7_T9_mT8_P12ihipStream_tbDpT10_ENKUlT_T0_E_clISt17integral_constantIbLb0EES18_EEDaS13_S14_EUlS13_E_NS1_11comp_targetILNS1_3genE5ELNS1_11target_archE942ELNS1_3gpuE9ELNS1_3repE0EEENS1_30default_config_static_selectorELNS0_4arch9wavefront6targetE0EEEvT1_.has_indirect_call, 0
	.section	.AMDGPU.csdata,"",@progbits
; Kernel info:
; codeLenInByte = 0
; TotalNumSgprs: 0
; NumVgprs: 0
; ScratchSize: 0
; MemoryBound: 0
; FloatMode: 240
; IeeeMode: 1
; LDSByteSize: 0 bytes/workgroup (compile time only)
; SGPRBlocks: 0
; VGPRBlocks: 0
; NumSGPRsForWavesPerEU: 1
; NumVGPRsForWavesPerEU: 1
; Occupancy: 16
; WaveLimiterHint : 0
; COMPUTE_PGM_RSRC2:SCRATCH_EN: 0
; COMPUTE_PGM_RSRC2:USER_SGPR: 2
; COMPUTE_PGM_RSRC2:TRAP_HANDLER: 0
; COMPUTE_PGM_RSRC2:TGID_X_EN: 1
; COMPUTE_PGM_RSRC2:TGID_Y_EN: 0
; COMPUTE_PGM_RSRC2:TGID_Z_EN: 0
; COMPUTE_PGM_RSRC2:TIDIG_COMP_CNT: 0
	.section	.text._ZN7rocprim17ROCPRIM_400000_NS6detail17trampoline_kernelINS0_14default_configENS1_25partition_config_selectorILNS1_17partition_subalgoE6EdNS0_10empty_typeEbEEZZNS1_14partition_implILS5_6ELb0ES3_mN6thrust23THRUST_200600_302600_NS6detail15normal_iteratorINSA_10device_ptrIdEEEEPS6_SG_NS0_5tupleIJSF_S6_EEENSH_IJSG_SG_EEES6_PlJNSB_9not_fun_tI7is_trueIdEEEEEE10hipError_tPvRmT3_T4_T5_T6_T7_T9_mT8_P12ihipStream_tbDpT10_ENKUlT_T0_E_clISt17integral_constantIbLb0EES18_EEDaS13_S14_EUlS13_E_NS1_11comp_targetILNS1_3genE4ELNS1_11target_archE910ELNS1_3gpuE8ELNS1_3repE0EEENS1_30default_config_static_selectorELNS0_4arch9wavefront6targetE0EEEvT1_,"axG",@progbits,_ZN7rocprim17ROCPRIM_400000_NS6detail17trampoline_kernelINS0_14default_configENS1_25partition_config_selectorILNS1_17partition_subalgoE6EdNS0_10empty_typeEbEEZZNS1_14partition_implILS5_6ELb0ES3_mN6thrust23THRUST_200600_302600_NS6detail15normal_iteratorINSA_10device_ptrIdEEEEPS6_SG_NS0_5tupleIJSF_S6_EEENSH_IJSG_SG_EEES6_PlJNSB_9not_fun_tI7is_trueIdEEEEEE10hipError_tPvRmT3_T4_T5_T6_T7_T9_mT8_P12ihipStream_tbDpT10_ENKUlT_T0_E_clISt17integral_constantIbLb0EES18_EEDaS13_S14_EUlS13_E_NS1_11comp_targetILNS1_3genE4ELNS1_11target_archE910ELNS1_3gpuE8ELNS1_3repE0EEENS1_30default_config_static_selectorELNS0_4arch9wavefront6targetE0EEEvT1_,comdat
	.protected	_ZN7rocprim17ROCPRIM_400000_NS6detail17trampoline_kernelINS0_14default_configENS1_25partition_config_selectorILNS1_17partition_subalgoE6EdNS0_10empty_typeEbEEZZNS1_14partition_implILS5_6ELb0ES3_mN6thrust23THRUST_200600_302600_NS6detail15normal_iteratorINSA_10device_ptrIdEEEEPS6_SG_NS0_5tupleIJSF_S6_EEENSH_IJSG_SG_EEES6_PlJNSB_9not_fun_tI7is_trueIdEEEEEE10hipError_tPvRmT3_T4_T5_T6_T7_T9_mT8_P12ihipStream_tbDpT10_ENKUlT_T0_E_clISt17integral_constantIbLb0EES18_EEDaS13_S14_EUlS13_E_NS1_11comp_targetILNS1_3genE4ELNS1_11target_archE910ELNS1_3gpuE8ELNS1_3repE0EEENS1_30default_config_static_selectorELNS0_4arch9wavefront6targetE0EEEvT1_ ; -- Begin function _ZN7rocprim17ROCPRIM_400000_NS6detail17trampoline_kernelINS0_14default_configENS1_25partition_config_selectorILNS1_17partition_subalgoE6EdNS0_10empty_typeEbEEZZNS1_14partition_implILS5_6ELb0ES3_mN6thrust23THRUST_200600_302600_NS6detail15normal_iteratorINSA_10device_ptrIdEEEEPS6_SG_NS0_5tupleIJSF_S6_EEENSH_IJSG_SG_EEES6_PlJNSB_9not_fun_tI7is_trueIdEEEEEE10hipError_tPvRmT3_T4_T5_T6_T7_T9_mT8_P12ihipStream_tbDpT10_ENKUlT_T0_E_clISt17integral_constantIbLb0EES18_EEDaS13_S14_EUlS13_E_NS1_11comp_targetILNS1_3genE4ELNS1_11target_archE910ELNS1_3gpuE8ELNS1_3repE0EEENS1_30default_config_static_selectorELNS0_4arch9wavefront6targetE0EEEvT1_
	.globl	_ZN7rocprim17ROCPRIM_400000_NS6detail17trampoline_kernelINS0_14default_configENS1_25partition_config_selectorILNS1_17partition_subalgoE6EdNS0_10empty_typeEbEEZZNS1_14partition_implILS5_6ELb0ES3_mN6thrust23THRUST_200600_302600_NS6detail15normal_iteratorINSA_10device_ptrIdEEEEPS6_SG_NS0_5tupleIJSF_S6_EEENSH_IJSG_SG_EEES6_PlJNSB_9not_fun_tI7is_trueIdEEEEEE10hipError_tPvRmT3_T4_T5_T6_T7_T9_mT8_P12ihipStream_tbDpT10_ENKUlT_T0_E_clISt17integral_constantIbLb0EES18_EEDaS13_S14_EUlS13_E_NS1_11comp_targetILNS1_3genE4ELNS1_11target_archE910ELNS1_3gpuE8ELNS1_3repE0EEENS1_30default_config_static_selectorELNS0_4arch9wavefront6targetE0EEEvT1_
	.p2align	8
	.type	_ZN7rocprim17ROCPRIM_400000_NS6detail17trampoline_kernelINS0_14default_configENS1_25partition_config_selectorILNS1_17partition_subalgoE6EdNS0_10empty_typeEbEEZZNS1_14partition_implILS5_6ELb0ES3_mN6thrust23THRUST_200600_302600_NS6detail15normal_iteratorINSA_10device_ptrIdEEEEPS6_SG_NS0_5tupleIJSF_S6_EEENSH_IJSG_SG_EEES6_PlJNSB_9not_fun_tI7is_trueIdEEEEEE10hipError_tPvRmT3_T4_T5_T6_T7_T9_mT8_P12ihipStream_tbDpT10_ENKUlT_T0_E_clISt17integral_constantIbLb0EES18_EEDaS13_S14_EUlS13_E_NS1_11comp_targetILNS1_3genE4ELNS1_11target_archE910ELNS1_3gpuE8ELNS1_3repE0EEENS1_30default_config_static_selectorELNS0_4arch9wavefront6targetE0EEEvT1_,@function
_ZN7rocprim17ROCPRIM_400000_NS6detail17trampoline_kernelINS0_14default_configENS1_25partition_config_selectorILNS1_17partition_subalgoE6EdNS0_10empty_typeEbEEZZNS1_14partition_implILS5_6ELb0ES3_mN6thrust23THRUST_200600_302600_NS6detail15normal_iteratorINSA_10device_ptrIdEEEEPS6_SG_NS0_5tupleIJSF_S6_EEENSH_IJSG_SG_EEES6_PlJNSB_9not_fun_tI7is_trueIdEEEEEE10hipError_tPvRmT3_T4_T5_T6_T7_T9_mT8_P12ihipStream_tbDpT10_ENKUlT_T0_E_clISt17integral_constantIbLb0EES18_EEDaS13_S14_EUlS13_E_NS1_11comp_targetILNS1_3genE4ELNS1_11target_archE910ELNS1_3gpuE8ELNS1_3repE0EEENS1_30default_config_static_selectorELNS0_4arch9wavefront6targetE0EEEvT1_: ; @_ZN7rocprim17ROCPRIM_400000_NS6detail17trampoline_kernelINS0_14default_configENS1_25partition_config_selectorILNS1_17partition_subalgoE6EdNS0_10empty_typeEbEEZZNS1_14partition_implILS5_6ELb0ES3_mN6thrust23THRUST_200600_302600_NS6detail15normal_iteratorINSA_10device_ptrIdEEEEPS6_SG_NS0_5tupleIJSF_S6_EEENSH_IJSG_SG_EEES6_PlJNSB_9not_fun_tI7is_trueIdEEEEEE10hipError_tPvRmT3_T4_T5_T6_T7_T9_mT8_P12ihipStream_tbDpT10_ENKUlT_T0_E_clISt17integral_constantIbLb0EES18_EEDaS13_S14_EUlS13_E_NS1_11comp_targetILNS1_3genE4ELNS1_11target_archE910ELNS1_3gpuE8ELNS1_3repE0EEENS1_30default_config_static_selectorELNS0_4arch9wavefront6targetE0EEEvT1_
; %bb.0:
	.section	.rodata,"a",@progbits
	.p2align	6, 0x0
	.amdhsa_kernel _ZN7rocprim17ROCPRIM_400000_NS6detail17trampoline_kernelINS0_14default_configENS1_25partition_config_selectorILNS1_17partition_subalgoE6EdNS0_10empty_typeEbEEZZNS1_14partition_implILS5_6ELb0ES3_mN6thrust23THRUST_200600_302600_NS6detail15normal_iteratorINSA_10device_ptrIdEEEEPS6_SG_NS0_5tupleIJSF_S6_EEENSH_IJSG_SG_EEES6_PlJNSB_9not_fun_tI7is_trueIdEEEEEE10hipError_tPvRmT3_T4_T5_T6_T7_T9_mT8_P12ihipStream_tbDpT10_ENKUlT_T0_E_clISt17integral_constantIbLb0EES18_EEDaS13_S14_EUlS13_E_NS1_11comp_targetILNS1_3genE4ELNS1_11target_archE910ELNS1_3gpuE8ELNS1_3repE0EEENS1_30default_config_static_selectorELNS0_4arch9wavefront6targetE0EEEvT1_
		.amdhsa_group_segment_fixed_size 0
		.amdhsa_private_segment_fixed_size 0
		.amdhsa_kernarg_size 112
		.amdhsa_user_sgpr_count 2
		.amdhsa_user_sgpr_dispatch_ptr 0
		.amdhsa_user_sgpr_queue_ptr 0
		.amdhsa_user_sgpr_kernarg_segment_ptr 1
		.amdhsa_user_sgpr_dispatch_id 0
		.amdhsa_user_sgpr_private_segment_size 0
		.amdhsa_wavefront_size32 1
		.amdhsa_uses_dynamic_stack 0
		.amdhsa_enable_private_segment 0
		.amdhsa_system_sgpr_workgroup_id_x 1
		.amdhsa_system_sgpr_workgroup_id_y 0
		.amdhsa_system_sgpr_workgroup_id_z 0
		.amdhsa_system_sgpr_workgroup_info 0
		.amdhsa_system_vgpr_workitem_id 0
		.amdhsa_next_free_vgpr 1
		.amdhsa_next_free_sgpr 1
		.amdhsa_reserve_vcc 0
		.amdhsa_float_round_mode_32 0
		.amdhsa_float_round_mode_16_64 0
		.amdhsa_float_denorm_mode_32 3
		.amdhsa_float_denorm_mode_16_64 3
		.amdhsa_fp16_overflow 0
		.amdhsa_workgroup_processor_mode 1
		.amdhsa_memory_ordered 1
		.amdhsa_forward_progress 1
		.amdhsa_inst_pref_size 0
		.amdhsa_round_robin_scheduling 0
		.amdhsa_exception_fp_ieee_invalid_op 0
		.amdhsa_exception_fp_denorm_src 0
		.amdhsa_exception_fp_ieee_div_zero 0
		.amdhsa_exception_fp_ieee_overflow 0
		.amdhsa_exception_fp_ieee_underflow 0
		.amdhsa_exception_fp_ieee_inexact 0
		.amdhsa_exception_int_div_zero 0
	.end_amdhsa_kernel
	.section	.text._ZN7rocprim17ROCPRIM_400000_NS6detail17trampoline_kernelINS0_14default_configENS1_25partition_config_selectorILNS1_17partition_subalgoE6EdNS0_10empty_typeEbEEZZNS1_14partition_implILS5_6ELb0ES3_mN6thrust23THRUST_200600_302600_NS6detail15normal_iteratorINSA_10device_ptrIdEEEEPS6_SG_NS0_5tupleIJSF_S6_EEENSH_IJSG_SG_EEES6_PlJNSB_9not_fun_tI7is_trueIdEEEEEE10hipError_tPvRmT3_T4_T5_T6_T7_T9_mT8_P12ihipStream_tbDpT10_ENKUlT_T0_E_clISt17integral_constantIbLb0EES18_EEDaS13_S14_EUlS13_E_NS1_11comp_targetILNS1_3genE4ELNS1_11target_archE910ELNS1_3gpuE8ELNS1_3repE0EEENS1_30default_config_static_selectorELNS0_4arch9wavefront6targetE0EEEvT1_,"axG",@progbits,_ZN7rocprim17ROCPRIM_400000_NS6detail17trampoline_kernelINS0_14default_configENS1_25partition_config_selectorILNS1_17partition_subalgoE6EdNS0_10empty_typeEbEEZZNS1_14partition_implILS5_6ELb0ES3_mN6thrust23THRUST_200600_302600_NS6detail15normal_iteratorINSA_10device_ptrIdEEEEPS6_SG_NS0_5tupleIJSF_S6_EEENSH_IJSG_SG_EEES6_PlJNSB_9not_fun_tI7is_trueIdEEEEEE10hipError_tPvRmT3_T4_T5_T6_T7_T9_mT8_P12ihipStream_tbDpT10_ENKUlT_T0_E_clISt17integral_constantIbLb0EES18_EEDaS13_S14_EUlS13_E_NS1_11comp_targetILNS1_3genE4ELNS1_11target_archE910ELNS1_3gpuE8ELNS1_3repE0EEENS1_30default_config_static_selectorELNS0_4arch9wavefront6targetE0EEEvT1_,comdat
.Lfunc_end1047:
	.size	_ZN7rocprim17ROCPRIM_400000_NS6detail17trampoline_kernelINS0_14default_configENS1_25partition_config_selectorILNS1_17partition_subalgoE6EdNS0_10empty_typeEbEEZZNS1_14partition_implILS5_6ELb0ES3_mN6thrust23THRUST_200600_302600_NS6detail15normal_iteratorINSA_10device_ptrIdEEEEPS6_SG_NS0_5tupleIJSF_S6_EEENSH_IJSG_SG_EEES6_PlJNSB_9not_fun_tI7is_trueIdEEEEEE10hipError_tPvRmT3_T4_T5_T6_T7_T9_mT8_P12ihipStream_tbDpT10_ENKUlT_T0_E_clISt17integral_constantIbLb0EES18_EEDaS13_S14_EUlS13_E_NS1_11comp_targetILNS1_3genE4ELNS1_11target_archE910ELNS1_3gpuE8ELNS1_3repE0EEENS1_30default_config_static_selectorELNS0_4arch9wavefront6targetE0EEEvT1_, .Lfunc_end1047-_ZN7rocprim17ROCPRIM_400000_NS6detail17trampoline_kernelINS0_14default_configENS1_25partition_config_selectorILNS1_17partition_subalgoE6EdNS0_10empty_typeEbEEZZNS1_14partition_implILS5_6ELb0ES3_mN6thrust23THRUST_200600_302600_NS6detail15normal_iteratorINSA_10device_ptrIdEEEEPS6_SG_NS0_5tupleIJSF_S6_EEENSH_IJSG_SG_EEES6_PlJNSB_9not_fun_tI7is_trueIdEEEEEE10hipError_tPvRmT3_T4_T5_T6_T7_T9_mT8_P12ihipStream_tbDpT10_ENKUlT_T0_E_clISt17integral_constantIbLb0EES18_EEDaS13_S14_EUlS13_E_NS1_11comp_targetILNS1_3genE4ELNS1_11target_archE910ELNS1_3gpuE8ELNS1_3repE0EEENS1_30default_config_static_selectorELNS0_4arch9wavefront6targetE0EEEvT1_
                                        ; -- End function
	.set _ZN7rocprim17ROCPRIM_400000_NS6detail17trampoline_kernelINS0_14default_configENS1_25partition_config_selectorILNS1_17partition_subalgoE6EdNS0_10empty_typeEbEEZZNS1_14partition_implILS5_6ELb0ES3_mN6thrust23THRUST_200600_302600_NS6detail15normal_iteratorINSA_10device_ptrIdEEEEPS6_SG_NS0_5tupleIJSF_S6_EEENSH_IJSG_SG_EEES6_PlJNSB_9not_fun_tI7is_trueIdEEEEEE10hipError_tPvRmT3_T4_T5_T6_T7_T9_mT8_P12ihipStream_tbDpT10_ENKUlT_T0_E_clISt17integral_constantIbLb0EES18_EEDaS13_S14_EUlS13_E_NS1_11comp_targetILNS1_3genE4ELNS1_11target_archE910ELNS1_3gpuE8ELNS1_3repE0EEENS1_30default_config_static_selectorELNS0_4arch9wavefront6targetE0EEEvT1_.num_vgpr, 0
	.set _ZN7rocprim17ROCPRIM_400000_NS6detail17trampoline_kernelINS0_14default_configENS1_25partition_config_selectorILNS1_17partition_subalgoE6EdNS0_10empty_typeEbEEZZNS1_14partition_implILS5_6ELb0ES3_mN6thrust23THRUST_200600_302600_NS6detail15normal_iteratorINSA_10device_ptrIdEEEEPS6_SG_NS0_5tupleIJSF_S6_EEENSH_IJSG_SG_EEES6_PlJNSB_9not_fun_tI7is_trueIdEEEEEE10hipError_tPvRmT3_T4_T5_T6_T7_T9_mT8_P12ihipStream_tbDpT10_ENKUlT_T0_E_clISt17integral_constantIbLb0EES18_EEDaS13_S14_EUlS13_E_NS1_11comp_targetILNS1_3genE4ELNS1_11target_archE910ELNS1_3gpuE8ELNS1_3repE0EEENS1_30default_config_static_selectorELNS0_4arch9wavefront6targetE0EEEvT1_.num_agpr, 0
	.set _ZN7rocprim17ROCPRIM_400000_NS6detail17trampoline_kernelINS0_14default_configENS1_25partition_config_selectorILNS1_17partition_subalgoE6EdNS0_10empty_typeEbEEZZNS1_14partition_implILS5_6ELb0ES3_mN6thrust23THRUST_200600_302600_NS6detail15normal_iteratorINSA_10device_ptrIdEEEEPS6_SG_NS0_5tupleIJSF_S6_EEENSH_IJSG_SG_EEES6_PlJNSB_9not_fun_tI7is_trueIdEEEEEE10hipError_tPvRmT3_T4_T5_T6_T7_T9_mT8_P12ihipStream_tbDpT10_ENKUlT_T0_E_clISt17integral_constantIbLb0EES18_EEDaS13_S14_EUlS13_E_NS1_11comp_targetILNS1_3genE4ELNS1_11target_archE910ELNS1_3gpuE8ELNS1_3repE0EEENS1_30default_config_static_selectorELNS0_4arch9wavefront6targetE0EEEvT1_.numbered_sgpr, 0
	.set _ZN7rocprim17ROCPRIM_400000_NS6detail17trampoline_kernelINS0_14default_configENS1_25partition_config_selectorILNS1_17partition_subalgoE6EdNS0_10empty_typeEbEEZZNS1_14partition_implILS5_6ELb0ES3_mN6thrust23THRUST_200600_302600_NS6detail15normal_iteratorINSA_10device_ptrIdEEEEPS6_SG_NS0_5tupleIJSF_S6_EEENSH_IJSG_SG_EEES6_PlJNSB_9not_fun_tI7is_trueIdEEEEEE10hipError_tPvRmT3_T4_T5_T6_T7_T9_mT8_P12ihipStream_tbDpT10_ENKUlT_T0_E_clISt17integral_constantIbLb0EES18_EEDaS13_S14_EUlS13_E_NS1_11comp_targetILNS1_3genE4ELNS1_11target_archE910ELNS1_3gpuE8ELNS1_3repE0EEENS1_30default_config_static_selectorELNS0_4arch9wavefront6targetE0EEEvT1_.num_named_barrier, 0
	.set _ZN7rocprim17ROCPRIM_400000_NS6detail17trampoline_kernelINS0_14default_configENS1_25partition_config_selectorILNS1_17partition_subalgoE6EdNS0_10empty_typeEbEEZZNS1_14partition_implILS5_6ELb0ES3_mN6thrust23THRUST_200600_302600_NS6detail15normal_iteratorINSA_10device_ptrIdEEEEPS6_SG_NS0_5tupleIJSF_S6_EEENSH_IJSG_SG_EEES6_PlJNSB_9not_fun_tI7is_trueIdEEEEEE10hipError_tPvRmT3_T4_T5_T6_T7_T9_mT8_P12ihipStream_tbDpT10_ENKUlT_T0_E_clISt17integral_constantIbLb0EES18_EEDaS13_S14_EUlS13_E_NS1_11comp_targetILNS1_3genE4ELNS1_11target_archE910ELNS1_3gpuE8ELNS1_3repE0EEENS1_30default_config_static_selectorELNS0_4arch9wavefront6targetE0EEEvT1_.private_seg_size, 0
	.set _ZN7rocprim17ROCPRIM_400000_NS6detail17trampoline_kernelINS0_14default_configENS1_25partition_config_selectorILNS1_17partition_subalgoE6EdNS0_10empty_typeEbEEZZNS1_14partition_implILS5_6ELb0ES3_mN6thrust23THRUST_200600_302600_NS6detail15normal_iteratorINSA_10device_ptrIdEEEEPS6_SG_NS0_5tupleIJSF_S6_EEENSH_IJSG_SG_EEES6_PlJNSB_9not_fun_tI7is_trueIdEEEEEE10hipError_tPvRmT3_T4_T5_T6_T7_T9_mT8_P12ihipStream_tbDpT10_ENKUlT_T0_E_clISt17integral_constantIbLb0EES18_EEDaS13_S14_EUlS13_E_NS1_11comp_targetILNS1_3genE4ELNS1_11target_archE910ELNS1_3gpuE8ELNS1_3repE0EEENS1_30default_config_static_selectorELNS0_4arch9wavefront6targetE0EEEvT1_.uses_vcc, 0
	.set _ZN7rocprim17ROCPRIM_400000_NS6detail17trampoline_kernelINS0_14default_configENS1_25partition_config_selectorILNS1_17partition_subalgoE6EdNS0_10empty_typeEbEEZZNS1_14partition_implILS5_6ELb0ES3_mN6thrust23THRUST_200600_302600_NS6detail15normal_iteratorINSA_10device_ptrIdEEEEPS6_SG_NS0_5tupleIJSF_S6_EEENSH_IJSG_SG_EEES6_PlJNSB_9not_fun_tI7is_trueIdEEEEEE10hipError_tPvRmT3_T4_T5_T6_T7_T9_mT8_P12ihipStream_tbDpT10_ENKUlT_T0_E_clISt17integral_constantIbLb0EES18_EEDaS13_S14_EUlS13_E_NS1_11comp_targetILNS1_3genE4ELNS1_11target_archE910ELNS1_3gpuE8ELNS1_3repE0EEENS1_30default_config_static_selectorELNS0_4arch9wavefront6targetE0EEEvT1_.uses_flat_scratch, 0
	.set _ZN7rocprim17ROCPRIM_400000_NS6detail17trampoline_kernelINS0_14default_configENS1_25partition_config_selectorILNS1_17partition_subalgoE6EdNS0_10empty_typeEbEEZZNS1_14partition_implILS5_6ELb0ES3_mN6thrust23THRUST_200600_302600_NS6detail15normal_iteratorINSA_10device_ptrIdEEEEPS6_SG_NS0_5tupleIJSF_S6_EEENSH_IJSG_SG_EEES6_PlJNSB_9not_fun_tI7is_trueIdEEEEEE10hipError_tPvRmT3_T4_T5_T6_T7_T9_mT8_P12ihipStream_tbDpT10_ENKUlT_T0_E_clISt17integral_constantIbLb0EES18_EEDaS13_S14_EUlS13_E_NS1_11comp_targetILNS1_3genE4ELNS1_11target_archE910ELNS1_3gpuE8ELNS1_3repE0EEENS1_30default_config_static_selectorELNS0_4arch9wavefront6targetE0EEEvT1_.has_dyn_sized_stack, 0
	.set _ZN7rocprim17ROCPRIM_400000_NS6detail17trampoline_kernelINS0_14default_configENS1_25partition_config_selectorILNS1_17partition_subalgoE6EdNS0_10empty_typeEbEEZZNS1_14partition_implILS5_6ELb0ES3_mN6thrust23THRUST_200600_302600_NS6detail15normal_iteratorINSA_10device_ptrIdEEEEPS6_SG_NS0_5tupleIJSF_S6_EEENSH_IJSG_SG_EEES6_PlJNSB_9not_fun_tI7is_trueIdEEEEEE10hipError_tPvRmT3_T4_T5_T6_T7_T9_mT8_P12ihipStream_tbDpT10_ENKUlT_T0_E_clISt17integral_constantIbLb0EES18_EEDaS13_S14_EUlS13_E_NS1_11comp_targetILNS1_3genE4ELNS1_11target_archE910ELNS1_3gpuE8ELNS1_3repE0EEENS1_30default_config_static_selectorELNS0_4arch9wavefront6targetE0EEEvT1_.has_recursion, 0
	.set _ZN7rocprim17ROCPRIM_400000_NS6detail17trampoline_kernelINS0_14default_configENS1_25partition_config_selectorILNS1_17partition_subalgoE6EdNS0_10empty_typeEbEEZZNS1_14partition_implILS5_6ELb0ES3_mN6thrust23THRUST_200600_302600_NS6detail15normal_iteratorINSA_10device_ptrIdEEEEPS6_SG_NS0_5tupleIJSF_S6_EEENSH_IJSG_SG_EEES6_PlJNSB_9not_fun_tI7is_trueIdEEEEEE10hipError_tPvRmT3_T4_T5_T6_T7_T9_mT8_P12ihipStream_tbDpT10_ENKUlT_T0_E_clISt17integral_constantIbLb0EES18_EEDaS13_S14_EUlS13_E_NS1_11comp_targetILNS1_3genE4ELNS1_11target_archE910ELNS1_3gpuE8ELNS1_3repE0EEENS1_30default_config_static_selectorELNS0_4arch9wavefront6targetE0EEEvT1_.has_indirect_call, 0
	.section	.AMDGPU.csdata,"",@progbits
; Kernel info:
; codeLenInByte = 0
; TotalNumSgprs: 0
; NumVgprs: 0
; ScratchSize: 0
; MemoryBound: 0
; FloatMode: 240
; IeeeMode: 1
; LDSByteSize: 0 bytes/workgroup (compile time only)
; SGPRBlocks: 0
; VGPRBlocks: 0
; NumSGPRsForWavesPerEU: 1
; NumVGPRsForWavesPerEU: 1
; Occupancy: 16
; WaveLimiterHint : 0
; COMPUTE_PGM_RSRC2:SCRATCH_EN: 0
; COMPUTE_PGM_RSRC2:USER_SGPR: 2
; COMPUTE_PGM_RSRC2:TRAP_HANDLER: 0
; COMPUTE_PGM_RSRC2:TGID_X_EN: 1
; COMPUTE_PGM_RSRC2:TGID_Y_EN: 0
; COMPUTE_PGM_RSRC2:TGID_Z_EN: 0
; COMPUTE_PGM_RSRC2:TIDIG_COMP_CNT: 0
	.section	.text._ZN7rocprim17ROCPRIM_400000_NS6detail17trampoline_kernelINS0_14default_configENS1_25partition_config_selectorILNS1_17partition_subalgoE6EdNS0_10empty_typeEbEEZZNS1_14partition_implILS5_6ELb0ES3_mN6thrust23THRUST_200600_302600_NS6detail15normal_iteratorINSA_10device_ptrIdEEEEPS6_SG_NS0_5tupleIJSF_S6_EEENSH_IJSG_SG_EEES6_PlJNSB_9not_fun_tI7is_trueIdEEEEEE10hipError_tPvRmT3_T4_T5_T6_T7_T9_mT8_P12ihipStream_tbDpT10_ENKUlT_T0_E_clISt17integral_constantIbLb0EES18_EEDaS13_S14_EUlS13_E_NS1_11comp_targetILNS1_3genE3ELNS1_11target_archE908ELNS1_3gpuE7ELNS1_3repE0EEENS1_30default_config_static_selectorELNS0_4arch9wavefront6targetE0EEEvT1_,"axG",@progbits,_ZN7rocprim17ROCPRIM_400000_NS6detail17trampoline_kernelINS0_14default_configENS1_25partition_config_selectorILNS1_17partition_subalgoE6EdNS0_10empty_typeEbEEZZNS1_14partition_implILS5_6ELb0ES3_mN6thrust23THRUST_200600_302600_NS6detail15normal_iteratorINSA_10device_ptrIdEEEEPS6_SG_NS0_5tupleIJSF_S6_EEENSH_IJSG_SG_EEES6_PlJNSB_9not_fun_tI7is_trueIdEEEEEE10hipError_tPvRmT3_T4_T5_T6_T7_T9_mT8_P12ihipStream_tbDpT10_ENKUlT_T0_E_clISt17integral_constantIbLb0EES18_EEDaS13_S14_EUlS13_E_NS1_11comp_targetILNS1_3genE3ELNS1_11target_archE908ELNS1_3gpuE7ELNS1_3repE0EEENS1_30default_config_static_selectorELNS0_4arch9wavefront6targetE0EEEvT1_,comdat
	.protected	_ZN7rocprim17ROCPRIM_400000_NS6detail17trampoline_kernelINS0_14default_configENS1_25partition_config_selectorILNS1_17partition_subalgoE6EdNS0_10empty_typeEbEEZZNS1_14partition_implILS5_6ELb0ES3_mN6thrust23THRUST_200600_302600_NS6detail15normal_iteratorINSA_10device_ptrIdEEEEPS6_SG_NS0_5tupleIJSF_S6_EEENSH_IJSG_SG_EEES6_PlJNSB_9not_fun_tI7is_trueIdEEEEEE10hipError_tPvRmT3_T4_T5_T6_T7_T9_mT8_P12ihipStream_tbDpT10_ENKUlT_T0_E_clISt17integral_constantIbLb0EES18_EEDaS13_S14_EUlS13_E_NS1_11comp_targetILNS1_3genE3ELNS1_11target_archE908ELNS1_3gpuE7ELNS1_3repE0EEENS1_30default_config_static_selectorELNS0_4arch9wavefront6targetE0EEEvT1_ ; -- Begin function _ZN7rocprim17ROCPRIM_400000_NS6detail17trampoline_kernelINS0_14default_configENS1_25partition_config_selectorILNS1_17partition_subalgoE6EdNS0_10empty_typeEbEEZZNS1_14partition_implILS5_6ELb0ES3_mN6thrust23THRUST_200600_302600_NS6detail15normal_iteratorINSA_10device_ptrIdEEEEPS6_SG_NS0_5tupleIJSF_S6_EEENSH_IJSG_SG_EEES6_PlJNSB_9not_fun_tI7is_trueIdEEEEEE10hipError_tPvRmT3_T4_T5_T6_T7_T9_mT8_P12ihipStream_tbDpT10_ENKUlT_T0_E_clISt17integral_constantIbLb0EES18_EEDaS13_S14_EUlS13_E_NS1_11comp_targetILNS1_3genE3ELNS1_11target_archE908ELNS1_3gpuE7ELNS1_3repE0EEENS1_30default_config_static_selectorELNS0_4arch9wavefront6targetE0EEEvT1_
	.globl	_ZN7rocprim17ROCPRIM_400000_NS6detail17trampoline_kernelINS0_14default_configENS1_25partition_config_selectorILNS1_17partition_subalgoE6EdNS0_10empty_typeEbEEZZNS1_14partition_implILS5_6ELb0ES3_mN6thrust23THRUST_200600_302600_NS6detail15normal_iteratorINSA_10device_ptrIdEEEEPS6_SG_NS0_5tupleIJSF_S6_EEENSH_IJSG_SG_EEES6_PlJNSB_9not_fun_tI7is_trueIdEEEEEE10hipError_tPvRmT3_T4_T5_T6_T7_T9_mT8_P12ihipStream_tbDpT10_ENKUlT_T0_E_clISt17integral_constantIbLb0EES18_EEDaS13_S14_EUlS13_E_NS1_11comp_targetILNS1_3genE3ELNS1_11target_archE908ELNS1_3gpuE7ELNS1_3repE0EEENS1_30default_config_static_selectorELNS0_4arch9wavefront6targetE0EEEvT1_
	.p2align	8
	.type	_ZN7rocprim17ROCPRIM_400000_NS6detail17trampoline_kernelINS0_14default_configENS1_25partition_config_selectorILNS1_17partition_subalgoE6EdNS0_10empty_typeEbEEZZNS1_14partition_implILS5_6ELb0ES3_mN6thrust23THRUST_200600_302600_NS6detail15normal_iteratorINSA_10device_ptrIdEEEEPS6_SG_NS0_5tupleIJSF_S6_EEENSH_IJSG_SG_EEES6_PlJNSB_9not_fun_tI7is_trueIdEEEEEE10hipError_tPvRmT3_T4_T5_T6_T7_T9_mT8_P12ihipStream_tbDpT10_ENKUlT_T0_E_clISt17integral_constantIbLb0EES18_EEDaS13_S14_EUlS13_E_NS1_11comp_targetILNS1_3genE3ELNS1_11target_archE908ELNS1_3gpuE7ELNS1_3repE0EEENS1_30default_config_static_selectorELNS0_4arch9wavefront6targetE0EEEvT1_,@function
_ZN7rocprim17ROCPRIM_400000_NS6detail17trampoline_kernelINS0_14default_configENS1_25partition_config_selectorILNS1_17partition_subalgoE6EdNS0_10empty_typeEbEEZZNS1_14partition_implILS5_6ELb0ES3_mN6thrust23THRUST_200600_302600_NS6detail15normal_iteratorINSA_10device_ptrIdEEEEPS6_SG_NS0_5tupleIJSF_S6_EEENSH_IJSG_SG_EEES6_PlJNSB_9not_fun_tI7is_trueIdEEEEEE10hipError_tPvRmT3_T4_T5_T6_T7_T9_mT8_P12ihipStream_tbDpT10_ENKUlT_T0_E_clISt17integral_constantIbLb0EES18_EEDaS13_S14_EUlS13_E_NS1_11comp_targetILNS1_3genE3ELNS1_11target_archE908ELNS1_3gpuE7ELNS1_3repE0EEENS1_30default_config_static_selectorELNS0_4arch9wavefront6targetE0EEEvT1_: ; @_ZN7rocprim17ROCPRIM_400000_NS6detail17trampoline_kernelINS0_14default_configENS1_25partition_config_selectorILNS1_17partition_subalgoE6EdNS0_10empty_typeEbEEZZNS1_14partition_implILS5_6ELb0ES3_mN6thrust23THRUST_200600_302600_NS6detail15normal_iteratorINSA_10device_ptrIdEEEEPS6_SG_NS0_5tupleIJSF_S6_EEENSH_IJSG_SG_EEES6_PlJNSB_9not_fun_tI7is_trueIdEEEEEE10hipError_tPvRmT3_T4_T5_T6_T7_T9_mT8_P12ihipStream_tbDpT10_ENKUlT_T0_E_clISt17integral_constantIbLb0EES18_EEDaS13_S14_EUlS13_E_NS1_11comp_targetILNS1_3genE3ELNS1_11target_archE908ELNS1_3gpuE7ELNS1_3repE0EEENS1_30default_config_static_selectorELNS0_4arch9wavefront6targetE0EEEvT1_
; %bb.0:
	.section	.rodata,"a",@progbits
	.p2align	6, 0x0
	.amdhsa_kernel _ZN7rocprim17ROCPRIM_400000_NS6detail17trampoline_kernelINS0_14default_configENS1_25partition_config_selectorILNS1_17partition_subalgoE6EdNS0_10empty_typeEbEEZZNS1_14partition_implILS5_6ELb0ES3_mN6thrust23THRUST_200600_302600_NS6detail15normal_iteratorINSA_10device_ptrIdEEEEPS6_SG_NS0_5tupleIJSF_S6_EEENSH_IJSG_SG_EEES6_PlJNSB_9not_fun_tI7is_trueIdEEEEEE10hipError_tPvRmT3_T4_T5_T6_T7_T9_mT8_P12ihipStream_tbDpT10_ENKUlT_T0_E_clISt17integral_constantIbLb0EES18_EEDaS13_S14_EUlS13_E_NS1_11comp_targetILNS1_3genE3ELNS1_11target_archE908ELNS1_3gpuE7ELNS1_3repE0EEENS1_30default_config_static_selectorELNS0_4arch9wavefront6targetE0EEEvT1_
		.amdhsa_group_segment_fixed_size 0
		.amdhsa_private_segment_fixed_size 0
		.amdhsa_kernarg_size 112
		.amdhsa_user_sgpr_count 2
		.amdhsa_user_sgpr_dispatch_ptr 0
		.amdhsa_user_sgpr_queue_ptr 0
		.amdhsa_user_sgpr_kernarg_segment_ptr 1
		.amdhsa_user_sgpr_dispatch_id 0
		.amdhsa_user_sgpr_private_segment_size 0
		.amdhsa_wavefront_size32 1
		.amdhsa_uses_dynamic_stack 0
		.amdhsa_enable_private_segment 0
		.amdhsa_system_sgpr_workgroup_id_x 1
		.amdhsa_system_sgpr_workgroup_id_y 0
		.amdhsa_system_sgpr_workgroup_id_z 0
		.amdhsa_system_sgpr_workgroup_info 0
		.amdhsa_system_vgpr_workitem_id 0
		.amdhsa_next_free_vgpr 1
		.amdhsa_next_free_sgpr 1
		.amdhsa_reserve_vcc 0
		.amdhsa_float_round_mode_32 0
		.amdhsa_float_round_mode_16_64 0
		.amdhsa_float_denorm_mode_32 3
		.amdhsa_float_denorm_mode_16_64 3
		.amdhsa_fp16_overflow 0
		.amdhsa_workgroup_processor_mode 1
		.amdhsa_memory_ordered 1
		.amdhsa_forward_progress 1
		.amdhsa_inst_pref_size 0
		.amdhsa_round_robin_scheduling 0
		.amdhsa_exception_fp_ieee_invalid_op 0
		.amdhsa_exception_fp_denorm_src 0
		.amdhsa_exception_fp_ieee_div_zero 0
		.amdhsa_exception_fp_ieee_overflow 0
		.amdhsa_exception_fp_ieee_underflow 0
		.amdhsa_exception_fp_ieee_inexact 0
		.amdhsa_exception_int_div_zero 0
	.end_amdhsa_kernel
	.section	.text._ZN7rocprim17ROCPRIM_400000_NS6detail17trampoline_kernelINS0_14default_configENS1_25partition_config_selectorILNS1_17partition_subalgoE6EdNS0_10empty_typeEbEEZZNS1_14partition_implILS5_6ELb0ES3_mN6thrust23THRUST_200600_302600_NS6detail15normal_iteratorINSA_10device_ptrIdEEEEPS6_SG_NS0_5tupleIJSF_S6_EEENSH_IJSG_SG_EEES6_PlJNSB_9not_fun_tI7is_trueIdEEEEEE10hipError_tPvRmT3_T4_T5_T6_T7_T9_mT8_P12ihipStream_tbDpT10_ENKUlT_T0_E_clISt17integral_constantIbLb0EES18_EEDaS13_S14_EUlS13_E_NS1_11comp_targetILNS1_3genE3ELNS1_11target_archE908ELNS1_3gpuE7ELNS1_3repE0EEENS1_30default_config_static_selectorELNS0_4arch9wavefront6targetE0EEEvT1_,"axG",@progbits,_ZN7rocprim17ROCPRIM_400000_NS6detail17trampoline_kernelINS0_14default_configENS1_25partition_config_selectorILNS1_17partition_subalgoE6EdNS0_10empty_typeEbEEZZNS1_14partition_implILS5_6ELb0ES3_mN6thrust23THRUST_200600_302600_NS6detail15normal_iteratorINSA_10device_ptrIdEEEEPS6_SG_NS0_5tupleIJSF_S6_EEENSH_IJSG_SG_EEES6_PlJNSB_9not_fun_tI7is_trueIdEEEEEE10hipError_tPvRmT3_T4_T5_T6_T7_T9_mT8_P12ihipStream_tbDpT10_ENKUlT_T0_E_clISt17integral_constantIbLb0EES18_EEDaS13_S14_EUlS13_E_NS1_11comp_targetILNS1_3genE3ELNS1_11target_archE908ELNS1_3gpuE7ELNS1_3repE0EEENS1_30default_config_static_selectorELNS0_4arch9wavefront6targetE0EEEvT1_,comdat
.Lfunc_end1048:
	.size	_ZN7rocprim17ROCPRIM_400000_NS6detail17trampoline_kernelINS0_14default_configENS1_25partition_config_selectorILNS1_17partition_subalgoE6EdNS0_10empty_typeEbEEZZNS1_14partition_implILS5_6ELb0ES3_mN6thrust23THRUST_200600_302600_NS6detail15normal_iteratorINSA_10device_ptrIdEEEEPS6_SG_NS0_5tupleIJSF_S6_EEENSH_IJSG_SG_EEES6_PlJNSB_9not_fun_tI7is_trueIdEEEEEE10hipError_tPvRmT3_T4_T5_T6_T7_T9_mT8_P12ihipStream_tbDpT10_ENKUlT_T0_E_clISt17integral_constantIbLb0EES18_EEDaS13_S14_EUlS13_E_NS1_11comp_targetILNS1_3genE3ELNS1_11target_archE908ELNS1_3gpuE7ELNS1_3repE0EEENS1_30default_config_static_selectorELNS0_4arch9wavefront6targetE0EEEvT1_, .Lfunc_end1048-_ZN7rocprim17ROCPRIM_400000_NS6detail17trampoline_kernelINS0_14default_configENS1_25partition_config_selectorILNS1_17partition_subalgoE6EdNS0_10empty_typeEbEEZZNS1_14partition_implILS5_6ELb0ES3_mN6thrust23THRUST_200600_302600_NS6detail15normal_iteratorINSA_10device_ptrIdEEEEPS6_SG_NS0_5tupleIJSF_S6_EEENSH_IJSG_SG_EEES6_PlJNSB_9not_fun_tI7is_trueIdEEEEEE10hipError_tPvRmT3_T4_T5_T6_T7_T9_mT8_P12ihipStream_tbDpT10_ENKUlT_T0_E_clISt17integral_constantIbLb0EES18_EEDaS13_S14_EUlS13_E_NS1_11comp_targetILNS1_3genE3ELNS1_11target_archE908ELNS1_3gpuE7ELNS1_3repE0EEENS1_30default_config_static_selectorELNS0_4arch9wavefront6targetE0EEEvT1_
                                        ; -- End function
	.set _ZN7rocprim17ROCPRIM_400000_NS6detail17trampoline_kernelINS0_14default_configENS1_25partition_config_selectorILNS1_17partition_subalgoE6EdNS0_10empty_typeEbEEZZNS1_14partition_implILS5_6ELb0ES3_mN6thrust23THRUST_200600_302600_NS6detail15normal_iteratorINSA_10device_ptrIdEEEEPS6_SG_NS0_5tupleIJSF_S6_EEENSH_IJSG_SG_EEES6_PlJNSB_9not_fun_tI7is_trueIdEEEEEE10hipError_tPvRmT3_T4_T5_T6_T7_T9_mT8_P12ihipStream_tbDpT10_ENKUlT_T0_E_clISt17integral_constantIbLb0EES18_EEDaS13_S14_EUlS13_E_NS1_11comp_targetILNS1_3genE3ELNS1_11target_archE908ELNS1_3gpuE7ELNS1_3repE0EEENS1_30default_config_static_selectorELNS0_4arch9wavefront6targetE0EEEvT1_.num_vgpr, 0
	.set _ZN7rocprim17ROCPRIM_400000_NS6detail17trampoline_kernelINS0_14default_configENS1_25partition_config_selectorILNS1_17partition_subalgoE6EdNS0_10empty_typeEbEEZZNS1_14partition_implILS5_6ELb0ES3_mN6thrust23THRUST_200600_302600_NS6detail15normal_iteratorINSA_10device_ptrIdEEEEPS6_SG_NS0_5tupleIJSF_S6_EEENSH_IJSG_SG_EEES6_PlJNSB_9not_fun_tI7is_trueIdEEEEEE10hipError_tPvRmT3_T4_T5_T6_T7_T9_mT8_P12ihipStream_tbDpT10_ENKUlT_T0_E_clISt17integral_constantIbLb0EES18_EEDaS13_S14_EUlS13_E_NS1_11comp_targetILNS1_3genE3ELNS1_11target_archE908ELNS1_3gpuE7ELNS1_3repE0EEENS1_30default_config_static_selectorELNS0_4arch9wavefront6targetE0EEEvT1_.num_agpr, 0
	.set _ZN7rocprim17ROCPRIM_400000_NS6detail17trampoline_kernelINS0_14default_configENS1_25partition_config_selectorILNS1_17partition_subalgoE6EdNS0_10empty_typeEbEEZZNS1_14partition_implILS5_6ELb0ES3_mN6thrust23THRUST_200600_302600_NS6detail15normal_iteratorINSA_10device_ptrIdEEEEPS6_SG_NS0_5tupleIJSF_S6_EEENSH_IJSG_SG_EEES6_PlJNSB_9not_fun_tI7is_trueIdEEEEEE10hipError_tPvRmT3_T4_T5_T6_T7_T9_mT8_P12ihipStream_tbDpT10_ENKUlT_T0_E_clISt17integral_constantIbLb0EES18_EEDaS13_S14_EUlS13_E_NS1_11comp_targetILNS1_3genE3ELNS1_11target_archE908ELNS1_3gpuE7ELNS1_3repE0EEENS1_30default_config_static_selectorELNS0_4arch9wavefront6targetE0EEEvT1_.numbered_sgpr, 0
	.set _ZN7rocprim17ROCPRIM_400000_NS6detail17trampoline_kernelINS0_14default_configENS1_25partition_config_selectorILNS1_17partition_subalgoE6EdNS0_10empty_typeEbEEZZNS1_14partition_implILS5_6ELb0ES3_mN6thrust23THRUST_200600_302600_NS6detail15normal_iteratorINSA_10device_ptrIdEEEEPS6_SG_NS0_5tupleIJSF_S6_EEENSH_IJSG_SG_EEES6_PlJNSB_9not_fun_tI7is_trueIdEEEEEE10hipError_tPvRmT3_T4_T5_T6_T7_T9_mT8_P12ihipStream_tbDpT10_ENKUlT_T0_E_clISt17integral_constantIbLb0EES18_EEDaS13_S14_EUlS13_E_NS1_11comp_targetILNS1_3genE3ELNS1_11target_archE908ELNS1_3gpuE7ELNS1_3repE0EEENS1_30default_config_static_selectorELNS0_4arch9wavefront6targetE0EEEvT1_.num_named_barrier, 0
	.set _ZN7rocprim17ROCPRIM_400000_NS6detail17trampoline_kernelINS0_14default_configENS1_25partition_config_selectorILNS1_17partition_subalgoE6EdNS0_10empty_typeEbEEZZNS1_14partition_implILS5_6ELb0ES3_mN6thrust23THRUST_200600_302600_NS6detail15normal_iteratorINSA_10device_ptrIdEEEEPS6_SG_NS0_5tupleIJSF_S6_EEENSH_IJSG_SG_EEES6_PlJNSB_9not_fun_tI7is_trueIdEEEEEE10hipError_tPvRmT3_T4_T5_T6_T7_T9_mT8_P12ihipStream_tbDpT10_ENKUlT_T0_E_clISt17integral_constantIbLb0EES18_EEDaS13_S14_EUlS13_E_NS1_11comp_targetILNS1_3genE3ELNS1_11target_archE908ELNS1_3gpuE7ELNS1_3repE0EEENS1_30default_config_static_selectorELNS0_4arch9wavefront6targetE0EEEvT1_.private_seg_size, 0
	.set _ZN7rocprim17ROCPRIM_400000_NS6detail17trampoline_kernelINS0_14default_configENS1_25partition_config_selectorILNS1_17partition_subalgoE6EdNS0_10empty_typeEbEEZZNS1_14partition_implILS5_6ELb0ES3_mN6thrust23THRUST_200600_302600_NS6detail15normal_iteratorINSA_10device_ptrIdEEEEPS6_SG_NS0_5tupleIJSF_S6_EEENSH_IJSG_SG_EEES6_PlJNSB_9not_fun_tI7is_trueIdEEEEEE10hipError_tPvRmT3_T4_T5_T6_T7_T9_mT8_P12ihipStream_tbDpT10_ENKUlT_T0_E_clISt17integral_constantIbLb0EES18_EEDaS13_S14_EUlS13_E_NS1_11comp_targetILNS1_3genE3ELNS1_11target_archE908ELNS1_3gpuE7ELNS1_3repE0EEENS1_30default_config_static_selectorELNS0_4arch9wavefront6targetE0EEEvT1_.uses_vcc, 0
	.set _ZN7rocprim17ROCPRIM_400000_NS6detail17trampoline_kernelINS0_14default_configENS1_25partition_config_selectorILNS1_17partition_subalgoE6EdNS0_10empty_typeEbEEZZNS1_14partition_implILS5_6ELb0ES3_mN6thrust23THRUST_200600_302600_NS6detail15normal_iteratorINSA_10device_ptrIdEEEEPS6_SG_NS0_5tupleIJSF_S6_EEENSH_IJSG_SG_EEES6_PlJNSB_9not_fun_tI7is_trueIdEEEEEE10hipError_tPvRmT3_T4_T5_T6_T7_T9_mT8_P12ihipStream_tbDpT10_ENKUlT_T0_E_clISt17integral_constantIbLb0EES18_EEDaS13_S14_EUlS13_E_NS1_11comp_targetILNS1_3genE3ELNS1_11target_archE908ELNS1_3gpuE7ELNS1_3repE0EEENS1_30default_config_static_selectorELNS0_4arch9wavefront6targetE0EEEvT1_.uses_flat_scratch, 0
	.set _ZN7rocprim17ROCPRIM_400000_NS6detail17trampoline_kernelINS0_14default_configENS1_25partition_config_selectorILNS1_17partition_subalgoE6EdNS0_10empty_typeEbEEZZNS1_14partition_implILS5_6ELb0ES3_mN6thrust23THRUST_200600_302600_NS6detail15normal_iteratorINSA_10device_ptrIdEEEEPS6_SG_NS0_5tupleIJSF_S6_EEENSH_IJSG_SG_EEES6_PlJNSB_9not_fun_tI7is_trueIdEEEEEE10hipError_tPvRmT3_T4_T5_T6_T7_T9_mT8_P12ihipStream_tbDpT10_ENKUlT_T0_E_clISt17integral_constantIbLb0EES18_EEDaS13_S14_EUlS13_E_NS1_11comp_targetILNS1_3genE3ELNS1_11target_archE908ELNS1_3gpuE7ELNS1_3repE0EEENS1_30default_config_static_selectorELNS0_4arch9wavefront6targetE0EEEvT1_.has_dyn_sized_stack, 0
	.set _ZN7rocprim17ROCPRIM_400000_NS6detail17trampoline_kernelINS0_14default_configENS1_25partition_config_selectorILNS1_17partition_subalgoE6EdNS0_10empty_typeEbEEZZNS1_14partition_implILS5_6ELb0ES3_mN6thrust23THRUST_200600_302600_NS6detail15normal_iteratorINSA_10device_ptrIdEEEEPS6_SG_NS0_5tupleIJSF_S6_EEENSH_IJSG_SG_EEES6_PlJNSB_9not_fun_tI7is_trueIdEEEEEE10hipError_tPvRmT3_T4_T5_T6_T7_T9_mT8_P12ihipStream_tbDpT10_ENKUlT_T0_E_clISt17integral_constantIbLb0EES18_EEDaS13_S14_EUlS13_E_NS1_11comp_targetILNS1_3genE3ELNS1_11target_archE908ELNS1_3gpuE7ELNS1_3repE0EEENS1_30default_config_static_selectorELNS0_4arch9wavefront6targetE0EEEvT1_.has_recursion, 0
	.set _ZN7rocprim17ROCPRIM_400000_NS6detail17trampoline_kernelINS0_14default_configENS1_25partition_config_selectorILNS1_17partition_subalgoE6EdNS0_10empty_typeEbEEZZNS1_14partition_implILS5_6ELb0ES3_mN6thrust23THRUST_200600_302600_NS6detail15normal_iteratorINSA_10device_ptrIdEEEEPS6_SG_NS0_5tupleIJSF_S6_EEENSH_IJSG_SG_EEES6_PlJNSB_9not_fun_tI7is_trueIdEEEEEE10hipError_tPvRmT3_T4_T5_T6_T7_T9_mT8_P12ihipStream_tbDpT10_ENKUlT_T0_E_clISt17integral_constantIbLb0EES18_EEDaS13_S14_EUlS13_E_NS1_11comp_targetILNS1_3genE3ELNS1_11target_archE908ELNS1_3gpuE7ELNS1_3repE0EEENS1_30default_config_static_selectorELNS0_4arch9wavefront6targetE0EEEvT1_.has_indirect_call, 0
	.section	.AMDGPU.csdata,"",@progbits
; Kernel info:
; codeLenInByte = 0
; TotalNumSgprs: 0
; NumVgprs: 0
; ScratchSize: 0
; MemoryBound: 0
; FloatMode: 240
; IeeeMode: 1
; LDSByteSize: 0 bytes/workgroup (compile time only)
; SGPRBlocks: 0
; VGPRBlocks: 0
; NumSGPRsForWavesPerEU: 1
; NumVGPRsForWavesPerEU: 1
; Occupancy: 16
; WaveLimiterHint : 0
; COMPUTE_PGM_RSRC2:SCRATCH_EN: 0
; COMPUTE_PGM_RSRC2:USER_SGPR: 2
; COMPUTE_PGM_RSRC2:TRAP_HANDLER: 0
; COMPUTE_PGM_RSRC2:TGID_X_EN: 1
; COMPUTE_PGM_RSRC2:TGID_Y_EN: 0
; COMPUTE_PGM_RSRC2:TGID_Z_EN: 0
; COMPUTE_PGM_RSRC2:TIDIG_COMP_CNT: 0
	.section	.text._ZN7rocprim17ROCPRIM_400000_NS6detail17trampoline_kernelINS0_14default_configENS1_25partition_config_selectorILNS1_17partition_subalgoE6EdNS0_10empty_typeEbEEZZNS1_14partition_implILS5_6ELb0ES3_mN6thrust23THRUST_200600_302600_NS6detail15normal_iteratorINSA_10device_ptrIdEEEEPS6_SG_NS0_5tupleIJSF_S6_EEENSH_IJSG_SG_EEES6_PlJNSB_9not_fun_tI7is_trueIdEEEEEE10hipError_tPvRmT3_T4_T5_T6_T7_T9_mT8_P12ihipStream_tbDpT10_ENKUlT_T0_E_clISt17integral_constantIbLb0EES18_EEDaS13_S14_EUlS13_E_NS1_11comp_targetILNS1_3genE2ELNS1_11target_archE906ELNS1_3gpuE6ELNS1_3repE0EEENS1_30default_config_static_selectorELNS0_4arch9wavefront6targetE0EEEvT1_,"axG",@progbits,_ZN7rocprim17ROCPRIM_400000_NS6detail17trampoline_kernelINS0_14default_configENS1_25partition_config_selectorILNS1_17partition_subalgoE6EdNS0_10empty_typeEbEEZZNS1_14partition_implILS5_6ELb0ES3_mN6thrust23THRUST_200600_302600_NS6detail15normal_iteratorINSA_10device_ptrIdEEEEPS6_SG_NS0_5tupleIJSF_S6_EEENSH_IJSG_SG_EEES6_PlJNSB_9not_fun_tI7is_trueIdEEEEEE10hipError_tPvRmT3_T4_T5_T6_T7_T9_mT8_P12ihipStream_tbDpT10_ENKUlT_T0_E_clISt17integral_constantIbLb0EES18_EEDaS13_S14_EUlS13_E_NS1_11comp_targetILNS1_3genE2ELNS1_11target_archE906ELNS1_3gpuE6ELNS1_3repE0EEENS1_30default_config_static_selectorELNS0_4arch9wavefront6targetE0EEEvT1_,comdat
	.protected	_ZN7rocprim17ROCPRIM_400000_NS6detail17trampoline_kernelINS0_14default_configENS1_25partition_config_selectorILNS1_17partition_subalgoE6EdNS0_10empty_typeEbEEZZNS1_14partition_implILS5_6ELb0ES3_mN6thrust23THRUST_200600_302600_NS6detail15normal_iteratorINSA_10device_ptrIdEEEEPS6_SG_NS0_5tupleIJSF_S6_EEENSH_IJSG_SG_EEES6_PlJNSB_9not_fun_tI7is_trueIdEEEEEE10hipError_tPvRmT3_T4_T5_T6_T7_T9_mT8_P12ihipStream_tbDpT10_ENKUlT_T0_E_clISt17integral_constantIbLb0EES18_EEDaS13_S14_EUlS13_E_NS1_11comp_targetILNS1_3genE2ELNS1_11target_archE906ELNS1_3gpuE6ELNS1_3repE0EEENS1_30default_config_static_selectorELNS0_4arch9wavefront6targetE0EEEvT1_ ; -- Begin function _ZN7rocprim17ROCPRIM_400000_NS6detail17trampoline_kernelINS0_14default_configENS1_25partition_config_selectorILNS1_17partition_subalgoE6EdNS0_10empty_typeEbEEZZNS1_14partition_implILS5_6ELb0ES3_mN6thrust23THRUST_200600_302600_NS6detail15normal_iteratorINSA_10device_ptrIdEEEEPS6_SG_NS0_5tupleIJSF_S6_EEENSH_IJSG_SG_EEES6_PlJNSB_9not_fun_tI7is_trueIdEEEEEE10hipError_tPvRmT3_T4_T5_T6_T7_T9_mT8_P12ihipStream_tbDpT10_ENKUlT_T0_E_clISt17integral_constantIbLb0EES18_EEDaS13_S14_EUlS13_E_NS1_11comp_targetILNS1_3genE2ELNS1_11target_archE906ELNS1_3gpuE6ELNS1_3repE0EEENS1_30default_config_static_selectorELNS0_4arch9wavefront6targetE0EEEvT1_
	.globl	_ZN7rocprim17ROCPRIM_400000_NS6detail17trampoline_kernelINS0_14default_configENS1_25partition_config_selectorILNS1_17partition_subalgoE6EdNS0_10empty_typeEbEEZZNS1_14partition_implILS5_6ELb0ES3_mN6thrust23THRUST_200600_302600_NS6detail15normal_iteratorINSA_10device_ptrIdEEEEPS6_SG_NS0_5tupleIJSF_S6_EEENSH_IJSG_SG_EEES6_PlJNSB_9not_fun_tI7is_trueIdEEEEEE10hipError_tPvRmT3_T4_T5_T6_T7_T9_mT8_P12ihipStream_tbDpT10_ENKUlT_T0_E_clISt17integral_constantIbLb0EES18_EEDaS13_S14_EUlS13_E_NS1_11comp_targetILNS1_3genE2ELNS1_11target_archE906ELNS1_3gpuE6ELNS1_3repE0EEENS1_30default_config_static_selectorELNS0_4arch9wavefront6targetE0EEEvT1_
	.p2align	8
	.type	_ZN7rocprim17ROCPRIM_400000_NS6detail17trampoline_kernelINS0_14default_configENS1_25partition_config_selectorILNS1_17partition_subalgoE6EdNS0_10empty_typeEbEEZZNS1_14partition_implILS5_6ELb0ES3_mN6thrust23THRUST_200600_302600_NS6detail15normal_iteratorINSA_10device_ptrIdEEEEPS6_SG_NS0_5tupleIJSF_S6_EEENSH_IJSG_SG_EEES6_PlJNSB_9not_fun_tI7is_trueIdEEEEEE10hipError_tPvRmT3_T4_T5_T6_T7_T9_mT8_P12ihipStream_tbDpT10_ENKUlT_T0_E_clISt17integral_constantIbLb0EES18_EEDaS13_S14_EUlS13_E_NS1_11comp_targetILNS1_3genE2ELNS1_11target_archE906ELNS1_3gpuE6ELNS1_3repE0EEENS1_30default_config_static_selectorELNS0_4arch9wavefront6targetE0EEEvT1_,@function
_ZN7rocprim17ROCPRIM_400000_NS6detail17trampoline_kernelINS0_14default_configENS1_25partition_config_selectorILNS1_17partition_subalgoE6EdNS0_10empty_typeEbEEZZNS1_14partition_implILS5_6ELb0ES3_mN6thrust23THRUST_200600_302600_NS6detail15normal_iteratorINSA_10device_ptrIdEEEEPS6_SG_NS0_5tupleIJSF_S6_EEENSH_IJSG_SG_EEES6_PlJNSB_9not_fun_tI7is_trueIdEEEEEE10hipError_tPvRmT3_T4_T5_T6_T7_T9_mT8_P12ihipStream_tbDpT10_ENKUlT_T0_E_clISt17integral_constantIbLb0EES18_EEDaS13_S14_EUlS13_E_NS1_11comp_targetILNS1_3genE2ELNS1_11target_archE906ELNS1_3gpuE6ELNS1_3repE0EEENS1_30default_config_static_selectorELNS0_4arch9wavefront6targetE0EEEvT1_: ; @_ZN7rocprim17ROCPRIM_400000_NS6detail17trampoline_kernelINS0_14default_configENS1_25partition_config_selectorILNS1_17partition_subalgoE6EdNS0_10empty_typeEbEEZZNS1_14partition_implILS5_6ELb0ES3_mN6thrust23THRUST_200600_302600_NS6detail15normal_iteratorINSA_10device_ptrIdEEEEPS6_SG_NS0_5tupleIJSF_S6_EEENSH_IJSG_SG_EEES6_PlJNSB_9not_fun_tI7is_trueIdEEEEEE10hipError_tPvRmT3_T4_T5_T6_T7_T9_mT8_P12ihipStream_tbDpT10_ENKUlT_T0_E_clISt17integral_constantIbLb0EES18_EEDaS13_S14_EUlS13_E_NS1_11comp_targetILNS1_3genE2ELNS1_11target_archE906ELNS1_3gpuE6ELNS1_3repE0EEENS1_30default_config_static_selectorELNS0_4arch9wavefront6targetE0EEEvT1_
; %bb.0:
	.section	.rodata,"a",@progbits
	.p2align	6, 0x0
	.amdhsa_kernel _ZN7rocprim17ROCPRIM_400000_NS6detail17trampoline_kernelINS0_14default_configENS1_25partition_config_selectorILNS1_17partition_subalgoE6EdNS0_10empty_typeEbEEZZNS1_14partition_implILS5_6ELb0ES3_mN6thrust23THRUST_200600_302600_NS6detail15normal_iteratorINSA_10device_ptrIdEEEEPS6_SG_NS0_5tupleIJSF_S6_EEENSH_IJSG_SG_EEES6_PlJNSB_9not_fun_tI7is_trueIdEEEEEE10hipError_tPvRmT3_T4_T5_T6_T7_T9_mT8_P12ihipStream_tbDpT10_ENKUlT_T0_E_clISt17integral_constantIbLb0EES18_EEDaS13_S14_EUlS13_E_NS1_11comp_targetILNS1_3genE2ELNS1_11target_archE906ELNS1_3gpuE6ELNS1_3repE0EEENS1_30default_config_static_selectorELNS0_4arch9wavefront6targetE0EEEvT1_
		.amdhsa_group_segment_fixed_size 0
		.amdhsa_private_segment_fixed_size 0
		.amdhsa_kernarg_size 112
		.amdhsa_user_sgpr_count 2
		.amdhsa_user_sgpr_dispatch_ptr 0
		.amdhsa_user_sgpr_queue_ptr 0
		.amdhsa_user_sgpr_kernarg_segment_ptr 1
		.amdhsa_user_sgpr_dispatch_id 0
		.amdhsa_user_sgpr_private_segment_size 0
		.amdhsa_wavefront_size32 1
		.amdhsa_uses_dynamic_stack 0
		.amdhsa_enable_private_segment 0
		.amdhsa_system_sgpr_workgroup_id_x 1
		.amdhsa_system_sgpr_workgroup_id_y 0
		.amdhsa_system_sgpr_workgroup_id_z 0
		.amdhsa_system_sgpr_workgroup_info 0
		.amdhsa_system_vgpr_workitem_id 0
		.amdhsa_next_free_vgpr 1
		.amdhsa_next_free_sgpr 1
		.amdhsa_reserve_vcc 0
		.amdhsa_float_round_mode_32 0
		.amdhsa_float_round_mode_16_64 0
		.amdhsa_float_denorm_mode_32 3
		.amdhsa_float_denorm_mode_16_64 3
		.amdhsa_fp16_overflow 0
		.amdhsa_workgroup_processor_mode 1
		.amdhsa_memory_ordered 1
		.amdhsa_forward_progress 1
		.amdhsa_inst_pref_size 0
		.amdhsa_round_robin_scheduling 0
		.amdhsa_exception_fp_ieee_invalid_op 0
		.amdhsa_exception_fp_denorm_src 0
		.amdhsa_exception_fp_ieee_div_zero 0
		.amdhsa_exception_fp_ieee_overflow 0
		.amdhsa_exception_fp_ieee_underflow 0
		.amdhsa_exception_fp_ieee_inexact 0
		.amdhsa_exception_int_div_zero 0
	.end_amdhsa_kernel
	.section	.text._ZN7rocprim17ROCPRIM_400000_NS6detail17trampoline_kernelINS0_14default_configENS1_25partition_config_selectorILNS1_17partition_subalgoE6EdNS0_10empty_typeEbEEZZNS1_14partition_implILS5_6ELb0ES3_mN6thrust23THRUST_200600_302600_NS6detail15normal_iteratorINSA_10device_ptrIdEEEEPS6_SG_NS0_5tupleIJSF_S6_EEENSH_IJSG_SG_EEES6_PlJNSB_9not_fun_tI7is_trueIdEEEEEE10hipError_tPvRmT3_T4_T5_T6_T7_T9_mT8_P12ihipStream_tbDpT10_ENKUlT_T0_E_clISt17integral_constantIbLb0EES18_EEDaS13_S14_EUlS13_E_NS1_11comp_targetILNS1_3genE2ELNS1_11target_archE906ELNS1_3gpuE6ELNS1_3repE0EEENS1_30default_config_static_selectorELNS0_4arch9wavefront6targetE0EEEvT1_,"axG",@progbits,_ZN7rocprim17ROCPRIM_400000_NS6detail17trampoline_kernelINS0_14default_configENS1_25partition_config_selectorILNS1_17partition_subalgoE6EdNS0_10empty_typeEbEEZZNS1_14partition_implILS5_6ELb0ES3_mN6thrust23THRUST_200600_302600_NS6detail15normal_iteratorINSA_10device_ptrIdEEEEPS6_SG_NS0_5tupleIJSF_S6_EEENSH_IJSG_SG_EEES6_PlJNSB_9not_fun_tI7is_trueIdEEEEEE10hipError_tPvRmT3_T4_T5_T6_T7_T9_mT8_P12ihipStream_tbDpT10_ENKUlT_T0_E_clISt17integral_constantIbLb0EES18_EEDaS13_S14_EUlS13_E_NS1_11comp_targetILNS1_3genE2ELNS1_11target_archE906ELNS1_3gpuE6ELNS1_3repE0EEENS1_30default_config_static_selectorELNS0_4arch9wavefront6targetE0EEEvT1_,comdat
.Lfunc_end1049:
	.size	_ZN7rocprim17ROCPRIM_400000_NS6detail17trampoline_kernelINS0_14default_configENS1_25partition_config_selectorILNS1_17partition_subalgoE6EdNS0_10empty_typeEbEEZZNS1_14partition_implILS5_6ELb0ES3_mN6thrust23THRUST_200600_302600_NS6detail15normal_iteratorINSA_10device_ptrIdEEEEPS6_SG_NS0_5tupleIJSF_S6_EEENSH_IJSG_SG_EEES6_PlJNSB_9not_fun_tI7is_trueIdEEEEEE10hipError_tPvRmT3_T4_T5_T6_T7_T9_mT8_P12ihipStream_tbDpT10_ENKUlT_T0_E_clISt17integral_constantIbLb0EES18_EEDaS13_S14_EUlS13_E_NS1_11comp_targetILNS1_3genE2ELNS1_11target_archE906ELNS1_3gpuE6ELNS1_3repE0EEENS1_30default_config_static_selectorELNS0_4arch9wavefront6targetE0EEEvT1_, .Lfunc_end1049-_ZN7rocprim17ROCPRIM_400000_NS6detail17trampoline_kernelINS0_14default_configENS1_25partition_config_selectorILNS1_17partition_subalgoE6EdNS0_10empty_typeEbEEZZNS1_14partition_implILS5_6ELb0ES3_mN6thrust23THRUST_200600_302600_NS6detail15normal_iteratorINSA_10device_ptrIdEEEEPS6_SG_NS0_5tupleIJSF_S6_EEENSH_IJSG_SG_EEES6_PlJNSB_9not_fun_tI7is_trueIdEEEEEE10hipError_tPvRmT3_T4_T5_T6_T7_T9_mT8_P12ihipStream_tbDpT10_ENKUlT_T0_E_clISt17integral_constantIbLb0EES18_EEDaS13_S14_EUlS13_E_NS1_11comp_targetILNS1_3genE2ELNS1_11target_archE906ELNS1_3gpuE6ELNS1_3repE0EEENS1_30default_config_static_selectorELNS0_4arch9wavefront6targetE0EEEvT1_
                                        ; -- End function
	.set _ZN7rocprim17ROCPRIM_400000_NS6detail17trampoline_kernelINS0_14default_configENS1_25partition_config_selectorILNS1_17partition_subalgoE6EdNS0_10empty_typeEbEEZZNS1_14partition_implILS5_6ELb0ES3_mN6thrust23THRUST_200600_302600_NS6detail15normal_iteratorINSA_10device_ptrIdEEEEPS6_SG_NS0_5tupleIJSF_S6_EEENSH_IJSG_SG_EEES6_PlJNSB_9not_fun_tI7is_trueIdEEEEEE10hipError_tPvRmT3_T4_T5_T6_T7_T9_mT8_P12ihipStream_tbDpT10_ENKUlT_T0_E_clISt17integral_constantIbLb0EES18_EEDaS13_S14_EUlS13_E_NS1_11comp_targetILNS1_3genE2ELNS1_11target_archE906ELNS1_3gpuE6ELNS1_3repE0EEENS1_30default_config_static_selectorELNS0_4arch9wavefront6targetE0EEEvT1_.num_vgpr, 0
	.set _ZN7rocprim17ROCPRIM_400000_NS6detail17trampoline_kernelINS0_14default_configENS1_25partition_config_selectorILNS1_17partition_subalgoE6EdNS0_10empty_typeEbEEZZNS1_14partition_implILS5_6ELb0ES3_mN6thrust23THRUST_200600_302600_NS6detail15normal_iteratorINSA_10device_ptrIdEEEEPS6_SG_NS0_5tupleIJSF_S6_EEENSH_IJSG_SG_EEES6_PlJNSB_9not_fun_tI7is_trueIdEEEEEE10hipError_tPvRmT3_T4_T5_T6_T7_T9_mT8_P12ihipStream_tbDpT10_ENKUlT_T0_E_clISt17integral_constantIbLb0EES18_EEDaS13_S14_EUlS13_E_NS1_11comp_targetILNS1_3genE2ELNS1_11target_archE906ELNS1_3gpuE6ELNS1_3repE0EEENS1_30default_config_static_selectorELNS0_4arch9wavefront6targetE0EEEvT1_.num_agpr, 0
	.set _ZN7rocprim17ROCPRIM_400000_NS6detail17trampoline_kernelINS0_14default_configENS1_25partition_config_selectorILNS1_17partition_subalgoE6EdNS0_10empty_typeEbEEZZNS1_14partition_implILS5_6ELb0ES3_mN6thrust23THRUST_200600_302600_NS6detail15normal_iteratorINSA_10device_ptrIdEEEEPS6_SG_NS0_5tupleIJSF_S6_EEENSH_IJSG_SG_EEES6_PlJNSB_9not_fun_tI7is_trueIdEEEEEE10hipError_tPvRmT3_T4_T5_T6_T7_T9_mT8_P12ihipStream_tbDpT10_ENKUlT_T0_E_clISt17integral_constantIbLb0EES18_EEDaS13_S14_EUlS13_E_NS1_11comp_targetILNS1_3genE2ELNS1_11target_archE906ELNS1_3gpuE6ELNS1_3repE0EEENS1_30default_config_static_selectorELNS0_4arch9wavefront6targetE0EEEvT1_.numbered_sgpr, 0
	.set _ZN7rocprim17ROCPRIM_400000_NS6detail17trampoline_kernelINS0_14default_configENS1_25partition_config_selectorILNS1_17partition_subalgoE6EdNS0_10empty_typeEbEEZZNS1_14partition_implILS5_6ELb0ES3_mN6thrust23THRUST_200600_302600_NS6detail15normal_iteratorINSA_10device_ptrIdEEEEPS6_SG_NS0_5tupleIJSF_S6_EEENSH_IJSG_SG_EEES6_PlJNSB_9not_fun_tI7is_trueIdEEEEEE10hipError_tPvRmT3_T4_T5_T6_T7_T9_mT8_P12ihipStream_tbDpT10_ENKUlT_T0_E_clISt17integral_constantIbLb0EES18_EEDaS13_S14_EUlS13_E_NS1_11comp_targetILNS1_3genE2ELNS1_11target_archE906ELNS1_3gpuE6ELNS1_3repE0EEENS1_30default_config_static_selectorELNS0_4arch9wavefront6targetE0EEEvT1_.num_named_barrier, 0
	.set _ZN7rocprim17ROCPRIM_400000_NS6detail17trampoline_kernelINS0_14default_configENS1_25partition_config_selectorILNS1_17partition_subalgoE6EdNS0_10empty_typeEbEEZZNS1_14partition_implILS5_6ELb0ES3_mN6thrust23THRUST_200600_302600_NS6detail15normal_iteratorINSA_10device_ptrIdEEEEPS6_SG_NS0_5tupleIJSF_S6_EEENSH_IJSG_SG_EEES6_PlJNSB_9not_fun_tI7is_trueIdEEEEEE10hipError_tPvRmT3_T4_T5_T6_T7_T9_mT8_P12ihipStream_tbDpT10_ENKUlT_T0_E_clISt17integral_constantIbLb0EES18_EEDaS13_S14_EUlS13_E_NS1_11comp_targetILNS1_3genE2ELNS1_11target_archE906ELNS1_3gpuE6ELNS1_3repE0EEENS1_30default_config_static_selectorELNS0_4arch9wavefront6targetE0EEEvT1_.private_seg_size, 0
	.set _ZN7rocprim17ROCPRIM_400000_NS6detail17trampoline_kernelINS0_14default_configENS1_25partition_config_selectorILNS1_17partition_subalgoE6EdNS0_10empty_typeEbEEZZNS1_14partition_implILS5_6ELb0ES3_mN6thrust23THRUST_200600_302600_NS6detail15normal_iteratorINSA_10device_ptrIdEEEEPS6_SG_NS0_5tupleIJSF_S6_EEENSH_IJSG_SG_EEES6_PlJNSB_9not_fun_tI7is_trueIdEEEEEE10hipError_tPvRmT3_T4_T5_T6_T7_T9_mT8_P12ihipStream_tbDpT10_ENKUlT_T0_E_clISt17integral_constantIbLb0EES18_EEDaS13_S14_EUlS13_E_NS1_11comp_targetILNS1_3genE2ELNS1_11target_archE906ELNS1_3gpuE6ELNS1_3repE0EEENS1_30default_config_static_selectorELNS0_4arch9wavefront6targetE0EEEvT1_.uses_vcc, 0
	.set _ZN7rocprim17ROCPRIM_400000_NS6detail17trampoline_kernelINS0_14default_configENS1_25partition_config_selectorILNS1_17partition_subalgoE6EdNS0_10empty_typeEbEEZZNS1_14partition_implILS5_6ELb0ES3_mN6thrust23THRUST_200600_302600_NS6detail15normal_iteratorINSA_10device_ptrIdEEEEPS6_SG_NS0_5tupleIJSF_S6_EEENSH_IJSG_SG_EEES6_PlJNSB_9not_fun_tI7is_trueIdEEEEEE10hipError_tPvRmT3_T4_T5_T6_T7_T9_mT8_P12ihipStream_tbDpT10_ENKUlT_T0_E_clISt17integral_constantIbLb0EES18_EEDaS13_S14_EUlS13_E_NS1_11comp_targetILNS1_3genE2ELNS1_11target_archE906ELNS1_3gpuE6ELNS1_3repE0EEENS1_30default_config_static_selectorELNS0_4arch9wavefront6targetE0EEEvT1_.uses_flat_scratch, 0
	.set _ZN7rocprim17ROCPRIM_400000_NS6detail17trampoline_kernelINS0_14default_configENS1_25partition_config_selectorILNS1_17partition_subalgoE6EdNS0_10empty_typeEbEEZZNS1_14partition_implILS5_6ELb0ES3_mN6thrust23THRUST_200600_302600_NS6detail15normal_iteratorINSA_10device_ptrIdEEEEPS6_SG_NS0_5tupleIJSF_S6_EEENSH_IJSG_SG_EEES6_PlJNSB_9not_fun_tI7is_trueIdEEEEEE10hipError_tPvRmT3_T4_T5_T6_T7_T9_mT8_P12ihipStream_tbDpT10_ENKUlT_T0_E_clISt17integral_constantIbLb0EES18_EEDaS13_S14_EUlS13_E_NS1_11comp_targetILNS1_3genE2ELNS1_11target_archE906ELNS1_3gpuE6ELNS1_3repE0EEENS1_30default_config_static_selectorELNS0_4arch9wavefront6targetE0EEEvT1_.has_dyn_sized_stack, 0
	.set _ZN7rocprim17ROCPRIM_400000_NS6detail17trampoline_kernelINS0_14default_configENS1_25partition_config_selectorILNS1_17partition_subalgoE6EdNS0_10empty_typeEbEEZZNS1_14partition_implILS5_6ELb0ES3_mN6thrust23THRUST_200600_302600_NS6detail15normal_iteratorINSA_10device_ptrIdEEEEPS6_SG_NS0_5tupleIJSF_S6_EEENSH_IJSG_SG_EEES6_PlJNSB_9not_fun_tI7is_trueIdEEEEEE10hipError_tPvRmT3_T4_T5_T6_T7_T9_mT8_P12ihipStream_tbDpT10_ENKUlT_T0_E_clISt17integral_constantIbLb0EES18_EEDaS13_S14_EUlS13_E_NS1_11comp_targetILNS1_3genE2ELNS1_11target_archE906ELNS1_3gpuE6ELNS1_3repE0EEENS1_30default_config_static_selectorELNS0_4arch9wavefront6targetE0EEEvT1_.has_recursion, 0
	.set _ZN7rocprim17ROCPRIM_400000_NS6detail17trampoline_kernelINS0_14default_configENS1_25partition_config_selectorILNS1_17partition_subalgoE6EdNS0_10empty_typeEbEEZZNS1_14partition_implILS5_6ELb0ES3_mN6thrust23THRUST_200600_302600_NS6detail15normal_iteratorINSA_10device_ptrIdEEEEPS6_SG_NS0_5tupleIJSF_S6_EEENSH_IJSG_SG_EEES6_PlJNSB_9not_fun_tI7is_trueIdEEEEEE10hipError_tPvRmT3_T4_T5_T6_T7_T9_mT8_P12ihipStream_tbDpT10_ENKUlT_T0_E_clISt17integral_constantIbLb0EES18_EEDaS13_S14_EUlS13_E_NS1_11comp_targetILNS1_3genE2ELNS1_11target_archE906ELNS1_3gpuE6ELNS1_3repE0EEENS1_30default_config_static_selectorELNS0_4arch9wavefront6targetE0EEEvT1_.has_indirect_call, 0
	.section	.AMDGPU.csdata,"",@progbits
; Kernel info:
; codeLenInByte = 0
; TotalNumSgprs: 0
; NumVgprs: 0
; ScratchSize: 0
; MemoryBound: 0
; FloatMode: 240
; IeeeMode: 1
; LDSByteSize: 0 bytes/workgroup (compile time only)
; SGPRBlocks: 0
; VGPRBlocks: 0
; NumSGPRsForWavesPerEU: 1
; NumVGPRsForWavesPerEU: 1
; Occupancy: 16
; WaveLimiterHint : 0
; COMPUTE_PGM_RSRC2:SCRATCH_EN: 0
; COMPUTE_PGM_RSRC2:USER_SGPR: 2
; COMPUTE_PGM_RSRC2:TRAP_HANDLER: 0
; COMPUTE_PGM_RSRC2:TGID_X_EN: 1
; COMPUTE_PGM_RSRC2:TGID_Y_EN: 0
; COMPUTE_PGM_RSRC2:TGID_Z_EN: 0
; COMPUTE_PGM_RSRC2:TIDIG_COMP_CNT: 0
	.section	.text._ZN7rocprim17ROCPRIM_400000_NS6detail17trampoline_kernelINS0_14default_configENS1_25partition_config_selectorILNS1_17partition_subalgoE6EdNS0_10empty_typeEbEEZZNS1_14partition_implILS5_6ELb0ES3_mN6thrust23THRUST_200600_302600_NS6detail15normal_iteratorINSA_10device_ptrIdEEEEPS6_SG_NS0_5tupleIJSF_S6_EEENSH_IJSG_SG_EEES6_PlJNSB_9not_fun_tI7is_trueIdEEEEEE10hipError_tPvRmT3_T4_T5_T6_T7_T9_mT8_P12ihipStream_tbDpT10_ENKUlT_T0_E_clISt17integral_constantIbLb0EES18_EEDaS13_S14_EUlS13_E_NS1_11comp_targetILNS1_3genE10ELNS1_11target_archE1200ELNS1_3gpuE4ELNS1_3repE0EEENS1_30default_config_static_selectorELNS0_4arch9wavefront6targetE0EEEvT1_,"axG",@progbits,_ZN7rocprim17ROCPRIM_400000_NS6detail17trampoline_kernelINS0_14default_configENS1_25partition_config_selectorILNS1_17partition_subalgoE6EdNS0_10empty_typeEbEEZZNS1_14partition_implILS5_6ELb0ES3_mN6thrust23THRUST_200600_302600_NS6detail15normal_iteratorINSA_10device_ptrIdEEEEPS6_SG_NS0_5tupleIJSF_S6_EEENSH_IJSG_SG_EEES6_PlJNSB_9not_fun_tI7is_trueIdEEEEEE10hipError_tPvRmT3_T4_T5_T6_T7_T9_mT8_P12ihipStream_tbDpT10_ENKUlT_T0_E_clISt17integral_constantIbLb0EES18_EEDaS13_S14_EUlS13_E_NS1_11comp_targetILNS1_3genE10ELNS1_11target_archE1200ELNS1_3gpuE4ELNS1_3repE0EEENS1_30default_config_static_selectorELNS0_4arch9wavefront6targetE0EEEvT1_,comdat
	.protected	_ZN7rocprim17ROCPRIM_400000_NS6detail17trampoline_kernelINS0_14default_configENS1_25partition_config_selectorILNS1_17partition_subalgoE6EdNS0_10empty_typeEbEEZZNS1_14partition_implILS5_6ELb0ES3_mN6thrust23THRUST_200600_302600_NS6detail15normal_iteratorINSA_10device_ptrIdEEEEPS6_SG_NS0_5tupleIJSF_S6_EEENSH_IJSG_SG_EEES6_PlJNSB_9not_fun_tI7is_trueIdEEEEEE10hipError_tPvRmT3_T4_T5_T6_T7_T9_mT8_P12ihipStream_tbDpT10_ENKUlT_T0_E_clISt17integral_constantIbLb0EES18_EEDaS13_S14_EUlS13_E_NS1_11comp_targetILNS1_3genE10ELNS1_11target_archE1200ELNS1_3gpuE4ELNS1_3repE0EEENS1_30default_config_static_selectorELNS0_4arch9wavefront6targetE0EEEvT1_ ; -- Begin function _ZN7rocprim17ROCPRIM_400000_NS6detail17trampoline_kernelINS0_14default_configENS1_25partition_config_selectorILNS1_17partition_subalgoE6EdNS0_10empty_typeEbEEZZNS1_14partition_implILS5_6ELb0ES3_mN6thrust23THRUST_200600_302600_NS6detail15normal_iteratorINSA_10device_ptrIdEEEEPS6_SG_NS0_5tupleIJSF_S6_EEENSH_IJSG_SG_EEES6_PlJNSB_9not_fun_tI7is_trueIdEEEEEE10hipError_tPvRmT3_T4_T5_T6_T7_T9_mT8_P12ihipStream_tbDpT10_ENKUlT_T0_E_clISt17integral_constantIbLb0EES18_EEDaS13_S14_EUlS13_E_NS1_11comp_targetILNS1_3genE10ELNS1_11target_archE1200ELNS1_3gpuE4ELNS1_3repE0EEENS1_30default_config_static_selectorELNS0_4arch9wavefront6targetE0EEEvT1_
	.globl	_ZN7rocprim17ROCPRIM_400000_NS6detail17trampoline_kernelINS0_14default_configENS1_25partition_config_selectorILNS1_17partition_subalgoE6EdNS0_10empty_typeEbEEZZNS1_14partition_implILS5_6ELb0ES3_mN6thrust23THRUST_200600_302600_NS6detail15normal_iteratorINSA_10device_ptrIdEEEEPS6_SG_NS0_5tupleIJSF_S6_EEENSH_IJSG_SG_EEES6_PlJNSB_9not_fun_tI7is_trueIdEEEEEE10hipError_tPvRmT3_T4_T5_T6_T7_T9_mT8_P12ihipStream_tbDpT10_ENKUlT_T0_E_clISt17integral_constantIbLb0EES18_EEDaS13_S14_EUlS13_E_NS1_11comp_targetILNS1_3genE10ELNS1_11target_archE1200ELNS1_3gpuE4ELNS1_3repE0EEENS1_30default_config_static_selectorELNS0_4arch9wavefront6targetE0EEEvT1_
	.p2align	8
	.type	_ZN7rocprim17ROCPRIM_400000_NS6detail17trampoline_kernelINS0_14default_configENS1_25partition_config_selectorILNS1_17partition_subalgoE6EdNS0_10empty_typeEbEEZZNS1_14partition_implILS5_6ELb0ES3_mN6thrust23THRUST_200600_302600_NS6detail15normal_iteratorINSA_10device_ptrIdEEEEPS6_SG_NS0_5tupleIJSF_S6_EEENSH_IJSG_SG_EEES6_PlJNSB_9not_fun_tI7is_trueIdEEEEEE10hipError_tPvRmT3_T4_T5_T6_T7_T9_mT8_P12ihipStream_tbDpT10_ENKUlT_T0_E_clISt17integral_constantIbLb0EES18_EEDaS13_S14_EUlS13_E_NS1_11comp_targetILNS1_3genE10ELNS1_11target_archE1200ELNS1_3gpuE4ELNS1_3repE0EEENS1_30default_config_static_selectorELNS0_4arch9wavefront6targetE0EEEvT1_,@function
_ZN7rocprim17ROCPRIM_400000_NS6detail17trampoline_kernelINS0_14default_configENS1_25partition_config_selectorILNS1_17partition_subalgoE6EdNS0_10empty_typeEbEEZZNS1_14partition_implILS5_6ELb0ES3_mN6thrust23THRUST_200600_302600_NS6detail15normal_iteratorINSA_10device_ptrIdEEEEPS6_SG_NS0_5tupleIJSF_S6_EEENSH_IJSG_SG_EEES6_PlJNSB_9not_fun_tI7is_trueIdEEEEEE10hipError_tPvRmT3_T4_T5_T6_T7_T9_mT8_P12ihipStream_tbDpT10_ENKUlT_T0_E_clISt17integral_constantIbLb0EES18_EEDaS13_S14_EUlS13_E_NS1_11comp_targetILNS1_3genE10ELNS1_11target_archE1200ELNS1_3gpuE4ELNS1_3repE0EEENS1_30default_config_static_selectorELNS0_4arch9wavefront6targetE0EEEvT1_: ; @_ZN7rocprim17ROCPRIM_400000_NS6detail17trampoline_kernelINS0_14default_configENS1_25partition_config_selectorILNS1_17partition_subalgoE6EdNS0_10empty_typeEbEEZZNS1_14partition_implILS5_6ELb0ES3_mN6thrust23THRUST_200600_302600_NS6detail15normal_iteratorINSA_10device_ptrIdEEEEPS6_SG_NS0_5tupleIJSF_S6_EEENSH_IJSG_SG_EEES6_PlJNSB_9not_fun_tI7is_trueIdEEEEEE10hipError_tPvRmT3_T4_T5_T6_T7_T9_mT8_P12ihipStream_tbDpT10_ENKUlT_T0_E_clISt17integral_constantIbLb0EES18_EEDaS13_S14_EUlS13_E_NS1_11comp_targetILNS1_3genE10ELNS1_11target_archE1200ELNS1_3gpuE4ELNS1_3repE0EEENS1_30default_config_static_selectorELNS0_4arch9wavefront6targetE0EEEvT1_
; %bb.0:
	s_clause 0x3
	s_load_b128 s[16:19], s[0:1], 0x8
	s_load_b128 s[8:11], s[0:1], 0x40
	s_load_b32 s3, s[0:1], 0x68
	s_load_b64 s[4:5], s[0:1], 0x50
	s_mov_b32 s13, 0
	s_lshl_b32 s2, ttmp9, 10
	v_lshrrev_b32_e32 v9, 2, v0
	v_or_b32_e32 v11, 0x200, v0
	v_or_b32_e32 v10, 0x300, v0
	s_mov_b32 s6, -1
	s_wait_kmcnt 0x0
	s_lshl_b64 s[14:15], s[18:19], 3
	s_load_b64 s[10:11], s[10:11], 0x0
	s_lshl_b32 s12, s3, 10
	s_add_co_i32 s3, s3, -1
	s_add_nc_u64 s[20:21], s[18:19], s[12:13]
	s_lshl_b32 s7, s3, 10
	v_cmp_le_u64_e64 s19, s[4:5], s[20:21]
	s_add_co_i32 s5, s18, s7
	s_cmp_eq_u32 ttmp9, s3
	s_mov_b32 s3, s13
	s_cselect_b32 s12, -1, 0
	s_add_nc_u64 s[14:15], s[16:17], s[14:15]
	s_and_b32 s7, s12, s19
	s_lshl_b64 s[2:3], s[2:3], 3
	s_xor_b32 s13, s7, -1
	s_add_nc_u64 s[2:3], s[14:15], s[2:3]
	s_and_b32 vcc_lo, exec_lo, s13
	s_cbranch_vccz .LBB1050_2
; %bb.1:
	v_lshlrev_b32_e32 v12, 3, v0
	v_or_b32_e32 v13, 0x100, v0
	v_lshrrev_b32_e32 v14, 2, v11
	v_lshrrev_b32_e32 v15, 2, v10
	v_and_b32_e32 v16, 56, v9
	v_add_co_u32 v1, s6, s2, v12
	s_delay_alu instid0(VALU_DEP_1)
	v_add_co_ci_u32_e64 v2, null, s3, 0, s6
	v_lshrrev_b32_e32 v13, 2, v13
	v_and_b32_e32 v14, 0xb8, v14
	v_and_b32_e32 v15, 0xf8, v15
	s_clause 0x3
	flat_load_b64 v[3:4], v[1:2]
	flat_load_b64 v[5:6], v[1:2] offset:2048
	flat_load_b64 v[7:8], v[1:2] offset:4096
	flat_load_b64 v[1:2], v[1:2] offset:6144
	v_add_nc_u32_e32 v16, v16, v12
	v_and_b32_e32 v13, 0x78, v13
	v_add_nc_u32_e32 v14, v14, v12
	s_mov_b32 s6, 0
	s_delay_alu instid0(VALU_DEP_2)
	v_add_nc_u32_e32 v13, v13, v12
	v_add_nc_u32_e32 v12, v15, v12
	s_wait_loadcnt_dscnt 0x303
	ds_store_b64 v16, v[3:4]
	s_wait_loadcnt_dscnt 0x203
	ds_store_b64 v13, v[5:6] offset:2048
	s_wait_loadcnt_dscnt 0x103
	ds_store_b64 v14, v[7:8] offset:4096
	;; [unrolled: 2-line block ×3, first 2 shown]
	s_wait_dscnt 0x0
	s_barrier_signal -1
	s_barrier_wait -1
.LBB1050_2:
	s_wait_alu 0xfffe
	s_and_not1_b32 vcc_lo, exec_lo, s6
	s_sub_co_i32 s7, s4, s5
	s_cbranch_vccnz .LBB1050_10
; %bb.3:
	v_mov_b32_e32 v1, 0
	s_mov_b32 s4, exec_lo
	s_delay_alu instid0(VALU_DEP_1)
	v_dual_mov_b32 v2, v1 :: v_dual_mov_b32 v3, v1
	v_dual_mov_b32 v4, v1 :: v_dual_mov_b32 v5, v1
	;; [unrolled: 1-line block ×3, first 2 shown]
	v_mov_b32_e32 v8, v1
	s_wait_alu 0xfffe
	v_cmpx_gt_u32_e64 s7, v0
	s_cbranch_execz .LBB1050_5
; %bb.4:
	v_dual_mov_b32 v15, v1 :: v_dual_lshlrev_b32 v2, 3, v0
	v_dual_mov_b32 v14, v1 :: v_dual_mov_b32 v17, v1
	v_dual_mov_b32 v16, v1 :: v_dual_mov_b32 v19, v1
	s_delay_alu instid0(VALU_DEP_3)
	v_add_co_u32 v2, s5, s2, v2
	s_wait_alu 0xf1ff
	v_add_co_ci_u32_e64 v3, null, s3, 0, s5
	v_mov_b32_e32 v18, v1
	flat_load_b64 v[12:13], v[2:3]
	s_wait_loadcnt_dscnt 0x0
	v_dual_mov_b32 v1, v12 :: v_dual_mov_b32 v2, v13
	v_dual_mov_b32 v3, v14 :: v_dual_mov_b32 v4, v15
	;; [unrolled: 1-line block ×4, first 2 shown]
.LBB1050_5:
	s_or_b32 exec_lo, exec_lo, s4
	v_or_b32_e32 v12, 0x100, v0
	s_mov_b32 s4, exec_lo
	s_delay_alu instid0(VALU_DEP_1)
	v_cmpx_gt_u32_e64 s7, v12
	s_cbranch_execnz .LBB1050_128
; %bb.6:
	s_wait_alu 0xfffe
	s_or_b32 exec_lo, exec_lo, s4
	s_delay_alu instid0(SALU_CYCLE_1)
	s_mov_b32 s4, exec_lo
	v_cmpx_gt_u32_e64 s7, v11
	s_cbranch_execnz .LBB1050_129
.LBB1050_7:
	s_wait_alu 0xfffe
	s_or_b32 exec_lo, exec_lo, s4
	s_delay_alu instid0(SALU_CYCLE_1)
	s_mov_b32 s4, exec_lo
	v_cmpx_gt_u32_e64 s7, v10
	s_cbranch_execz .LBB1050_9
.LBB1050_8:
	v_lshlrev_b32_e32 v7, 3, v0
	s_delay_alu instid0(VALU_DEP_1)
	v_add_co_u32 v7, s2, s2, v7
	s_wait_alu 0xf1ff
	v_add_co_ci_u32_e64 v8, null, s3, 0, s2
	flat_load_b64 v[7:8], v[7:8] offset:6144
.LBB1050_9:
	s_wait_alu 0xfffe
	s_or_b32 exec_lo, exec_lo, s4
	v_lshrrev_b32_e32 v12, 2, v12
	v_lshrrev_b32_e32 v11, 2, v11
	;; [unrolled: 1-line block ×3, first 2 shown]
	v_and_b32_e32 v9, 56, v9
	v_lshlrev_b32_e32 v13, 3, v0
	v_and_b32_e32 v12, 0x78, v12
	v_and_b32_e32 v11, 0xf8, v11
	v_and_b32_e32 v10, 0xf8, v10
	s_delay_alu instid0(VALU_DEP_4) | instskip(NEXT) | instid1(VALU_DEP_4)
	v_add_nc_u32_e32 v9, v9, v13
	v_add_nc_u32_e32 v12, v12, v13
	s_delay_alu instid0(VALU_DEP_4) | instskip(NEXT) | instid1(VALU_DEP_4)
	v_add_nc_u32_e32 v11, v11, v13
	v_add_nc_u32_e32 v10, v10, v13
	ds_store_b64 v9, v[1:2]
	s_wait_loadcnt_dscnt 0x1
	ds_store_b64 v12, v[3:4] offset:2048
	ds_store_b64 v11, v[5:6] offset:4096
	ds_store_b64 v10, v[7:8] offset:6144
	s_wait_dscnt 0x0
	s_barrier_signal -1
	s_barrier_wait -1
.LBB1050_10:
	v_and_b32_e32 v1, 0xf8, v0
	global_inv scope:SCOPE_SE
	s_and_not1_b32 vcc_lo, exec_lo, s13
	v_lshl_add_u32 v5, v0, 5, v1
	ds_load_2addr_b64 v[1:4], v5 offset1:3
	ds_load_2addr_b64 v[5:8], v5 offset0:1 offset1:2
	s_wait_loadcnt_dscnt 0x0
	s_barrier_signal -1
	s_barrier_wait -1
	global_inv scope:SCOPE_SE
	v_cmp_eq_f64_e64 s2, 0, v[1:2]
	v_cmp_eq_f64_e64 s14, 0, v[3:4]
	s_cbranch_vccnz .LBB1050_12
; %bb.11:
	v_cmp_eq_f64_e32 vcc_lo, 0, v[7:8]
	s_wait_alu 0xf1ff
	v_cndmask_b32_e64 v27, 0, 1, s2
	v_cndmask_b32_e64 v25, 0, 1, vcc_lo
	v_cmp_eq_f64_e32 vcc_lo, 0, v[5:6]
	s_delay_alu instid0(VALU_DEP_2) | instskip(SKIP_2) | instid1(VALU_DEP_1)
	v_lshlrev_b16 v10, 8, v25
	s_wait_alu 0xfffd
	v_cndmask_b32_e64 v9, 0, 1, vcc_lo
	v_or_b32_e32 v26, v9, v10
	s_cbranch_execz .LBB1050_13
	s_branch .LBB1050_14
.LBB1050_12:
                                        ; implicit-def: $sgpr14
                                        ; implicit-def: $vgpr27
                                        ; implicit-def: $vgpr26
                                        ; implicit-def: $vgpr25
.LBB1050_13:
	v_cmp_eq_f64_e32 vcc_lo, 0, v[7:8]
	v_cmp_eq_f64_e64 s2, 0, v[5:6]
	v_cmp_eq_f64_e64 s3, 0, v[1:2]
	;; [unrolled: 1-line block ×3, first 2 shown]
	v_lshlrev_b32_e32 v9, 2, v0
	s_delay_alu instid0(VALU_DEP_1) | instskip(SKIP_2) | instid1(VALU_DEP_2)
	v_or_b32_e32 v10, 2, v9
	v_or_b32_e32 v11, 1, v9
	s_wait_alu 0xfffe
	v_cmp_gt_u32_e64 s5, s7, v10
	s_delay_alu instid0(VALU_DEP_2)
	v_cmp_gt_u32_e64 s6, s7, v11
	v_or_b32_e32 v10, 3, v9
	s_and_b32 s5, s5, vcc_lo
	v_cmp_gt_u32_e32 vcc_lo, s7, v9
	s_wait_alu 0xfffe
	v_cndmask_b32_e64 v25, 0, 1, s5
	s_and_b32 s2, s6, s2
	v_cmp_gt_u32_e64 s5, s7, v10
	s_wait_alu 0xfffe
	v_cndmask_b32_e64 v9, 0, 1, s2
	s_and_b32 s2, vcc_lo, s3
	v_lshlrev_b16 v10, 8, v25
	s_wait_alu 0xfffe
	v_cndmask_b32_e64 v27, 0, 1, s2
	s_and_b32 s2, s5, s4
	s_and_not1_b32 s3, s14, exec_lo
	s_wait_alu 0xfffe
	s_and_b32 s2, s2, exec_lo
	v_or_b32_e32 v26, v9, v10
	s_wait_alu 0xfffe
	s_or_b32 s14, s3, s2
.LBB1050_14:
	s_load_b64 s[6:7], s[0:1], 0x60
	v_and_b32_e32 v30, 0xff, v27
	v_dual_mov_b32 v10, 0 :: v_dual_and_b32 v29, 0xff, v26
	v_cndmask_b32_e64 v9, 0, 1, s14
	v_mbcnt_lo_u32_b32 v31, -1, 0
	v_and_b32_e32 v28, 0xff, v25
	s_cmp_lg_u32 ttmp9, 0
	s_mov_b32 s3, -1
	v_add3_u32 v9, v30, v9, v29
	v_and_b32_e32 v32, 15, v31
	s_delay_alu instid0(VALU_DEP_2) | instskip(SKIP_2) | instid1(VALU_DEP_3)
	v_add_co_u32 v17, s2, v9, v28
	s_wait_alu 0xf1ff
	v_add_co_ci_u32_e64 v18, null, 0, 0, s2
	v_cmp_ne_u32_e64 s2, 0, v32
	s_cbranch_scc0 .LBB1050_71
; %bb.15:
	v_mov_b32_e32 v11, v17
	v_mov_b32_dpp v9, v17 row_shr:1 row_mask:0xf bank_mask:0xf
	v_mov_b32_dpp v14, v10 row_shr:1 row_mask:0xf bank_mask:0xf
	v_dual_mov_b32 v13, v17 :: v_dual_mov_b32 v12, v18
	s_and_saveexec_b32 s3, s2
; %bb.16:
	s_delay_alu instid0(VALU_DEP_3) | instskip(SKIP_2) | instid1(VALU_DEP_2)
	v_add_co_u32 v13, vcc_lo, v17, v9
	s_wait_alu 0xfffd
	v_add_co_ci_u32_e64 v10, null, 0, v18, vcc_lo
	v_add_co_u32 v9, vcc_lo, 0, v13
	s_wait_alu 0xfffd
	s_delay_alu instid0(VALU_DEP_2) | instskip(NEXT) | instid1(VALU_DEP_1)
	v_add_co_ci_u32_e64 v10, null, v14, v10, vcc_lo
	v_dual_mov_b32 v12, v10 :: v_dual_mov_b32 v11, v9
; %bb.17:
	s_wait_alu 0xfffe
	s_or_b32 exec_lo, exec_lo, s3
	v_mov_b32_dpp v9, v13 row_shr:2 row_mask:0xf bank_mask:0xf
	v_mov_b32_dpp v14, v10 row_shr:2 row_mask:0xf bank_mask:0xf
	s_mov_b32 s3, exec_lo
	v_cmpx_lt_u32_e32 1, v32
; %bb.18:
	s_delay_alu instid0(VALU_DEP_3) | instskip(SKIP_2) | instid1(VALU_DEP_2)
	v_add_co_u32 v13, vcc_lo, v11, v9
	s_wait_alu 0xfffd
	v_add_co_ci_u32_e64 v10, null, 0, v12, vcc_lo
	v_add_co_u32 v9, vcc_lo, 0, v13
	s_wait_alu 0xfffd
	s_delay_alu instid0(VALU_DEP_2) | instskip(NEXT) | instid1(VALU_DEP_1)
	v_add_co_ci_u32_e64 v10, null, v14, v10, vcc_lo
	v_dual_mov_b32 v12, v10 :: v_dual_mov_b32 v11, v9
; %bb.19:
	s_wait_alu 0xfffe
	s_or_b32 exec_lo, exec_lo, s3
	v_mov_b32_dpp v9, v13 row_shr:4 row_mask:0xf bank_mask:0xf
	v_mov_b32_dpp v14, v10 row_shr:4 row_mask:0xf bank_mask:0xf
	s_mov_b32 s3, exec_lo
	v_cmpx_lt_u32_e32 3, v32
	;; [unrolled: 17-line block ×3, first 2 shown]
; %bb.22:
	s_delay_alu instid0(VALU_DEP_3) | instskip(SKIP_2) | instid1(VALU_DEP_2)
	v_add_co_u32 v13, vcc_lo, v11, v14
	s_wait_alu 0xfffd
	v_add_co_ci_u32_e64 v10, null, 0, v12, vcc_lo
	v_add_co_u32 v11, vcc_lo, 0, v13
	s_wait_alu 0xfffd
	s_delay_alu instid0(VALU_DEP_2) | instskip(NEXT) | instid1(VALU_DEP_1)
	v_add_co_ci_u32_e64 v12, null, v9, v10, vcc_lo
	v_mov_b32_e32 v10, v12
; %bb.23:
	s_wait_alu 0xfffe
	s_or_b32 exec_lo, exec_lo, s3
	ds_swizzle_b32 v9, v13 offset:swizzle(BROADCAST,32,15)
	ds_swizzle_b32 v14, v10 offset:swizzle(BROADCAST,32,15)
	v_and_b32_e32 v15, 16, v31
	s_mov_b32 s3, exec_lo
	s_delay_alu instid0(VALU_DEP_1)
	v_cmpx_ne_u32_e32 0, v15
	s_cbranch_execz .LBB1050_25
; %bb.24:
	s_wait_dscnt 0x1
	v_add_co_u32 v13, vcc_lo, v11, v9
	s_wait_alu 0xfffd
	v_add_co_ci_u32_e64 v10, null, 0, v12, vcc_lo
	s_delay_alu instid0(VALU_DEP_2) | instskip(SKIP_2) | instid1(VALU_DEP_2)
	v_add_co_u32 v9, vcc_lo, 0, v13
	s_wait_dscnt 0x0
	s_wait_alu 0xfffd
	v_add_co_ci_u32_e64 v10, null, v14, v10, vcc_lo
	s_delay_alu instid0(VALU_DEP_1)
	v_dual_mov_b32 v12, v10 :: v_dual_mov_b32 v11, v9
.LBB1050_25:
	s_wait_alu 0xfffe
	s_or_b32 exec_lo, exec_lo, s3
	s_wait_dscnt 0x0
	v_or_b32_e32 v14, 31, v0
	v_lshrrev_b32_e32 v9, 5, v0
	s_mov_b32 s3, exec_lo
	s_delay_alu instid0(VALU_DEP_2)
	v_cmpx_eq_u32_e64 v0, v14
; %bb.26:
	s_delay_alu instid0(VALU_DEP_2)
	v_lshlrev_b32_e32 v14, 3, v9
	ds_store_b64 v14, v[11:12]
; %bb.27:
	s_wait_alu 0xfffe
	s_or_b32 exec_lo, exec_lo, s3
	s_delay_alu instid0(SALU_CYCLE_1)
	s_mov_b32 s3, exec_lo
	s_wait_loadcnt_dscnt 0x0
	s_barrier_signal -1
	s_barrier_wait -1
	global_inv scope:SCOPE_SE
	v_cmpx_gt_u32_e32 8, v0
	s_cbranch_execz .LBB1050_35
; %bb.28:
	v_lshlrev_b32_e32 v14, 3, v0
	s_mov_b32 s4, exec_lo
	ds_load_b64 v[11:12], v14
	s_wait_dscnt 0x0
	v_dual_mov_b32 v16, v11 :: v_dual_and_b32 v15, 7, v31
	v_mov_b32_dpp v20, v11 row_shr:1 row_mask:0xf bank_mask:0xf
	v_mov_b32_dpp v19, v12 row_shr:1 row_mask:0xf bank_mask:0xf
	s_delay_alu instid0(VALU_DEP_3)
	v_cmpx_ne_u32_e32 0, v15
; %bb.29:
	s_delay_alu instid0(VALU_DEP_3) | instskip(SKIP_2) | instid1(VALU_DEP_2)
	v_add_co_u32 v16, vcc_lo, v11, v20
	s_wait_alu 0xfffd
	v_add_co_ci_u32_e64 v12, null, 0, v12, vcc_lo
	v_add_co_u32 v11, vcc_lo, 0, v16
	s_wait_alu 0xfffd
	s_delay_alu instid0(VALU_DEP_2)
	v_add_co_ci_u32_e64 v12, null, v19, v12, vcc_lo
; %bb.30:
	s_wait_alu 0xfffe
	s_or_b32 exec_lo, exec_lo, s4
	v_mov_b32_dpp v20, v16 row_shr:2 row_mask:0xf bank_mask:0xf
	s_delay_alu instid0(VALU_DEP_2)
	v_mov_b32_dpp v19, v12 row_shr:2 row_mask:0xf bank_mask:0xf
	s_mov_b32 s4, exec_lo
	v_cmpx_lt_u32_e32 1, v15
; %bb.31:
	s_delay_alu instid0(VALU_DEP_3) | instskip(SKIP_2) | instid1(VALU_DEP_2)
	v_add_co_u32 v16, vcc_lo, v11, v20
	s_wait_alu 0xfffd
	v_add_co_ci_u32_e64 v12, null, 0, v12, vcc_lo
	v_add_co_u32 v11, vcc_lo, 0, v16
	s_wait_alu 0xfffd
	s_delay_alu instid0(VALU_DEP_2)
	v_add_co_ci_u32_e64 v12, null, v19, v12, vcc_lo
; %bb.32:
	s_wait_alu 0xfffe
	s_or_b32 exec_lo, exec_lo, s4
	v_mov_b32_dpp v19, v16 row_shr:4 row_mask:0xf bank_mask:0xf
	s_delay_alu instid0(VALU_DEP_2)
	v_mov_b32_dpp v16, v12 row_shr:4 row_mask:0xf bank_mask:0xf
	s_mov_b32 s4, exec_lo
	v_cmpx_lt_u32_e32 3, v15
; %bb.33:
	s_delay_alu instid0(VALU_DEP_3) | instskip(SKIP_2) | instid1(VALU_DEP_2)
	v_add_co_u32 v11, vcc_lo, v11, v19
	s_wait_alu 0xfffd
	v_add_co_ci_u32_e64 v12, null, 0, v12, vcc_lo
	v_add_co_u32 v11, vcc_lo, v11, 0
	s_wait_alu 0xfffd
	s_delay_alu instid0(VALU_DEP_2)
	v_add_co_ci_u32_e64 v12, null, v12, v16, vcc_lo
; %bb.34:
	s_wait_alu 0xfffe
	s_or_b32 exec_lo, exec_lo, s4
	ds_store_b64 v14, v[11:12]
.LBB1050_35:
	s_wait_alu 0xfffe
	s_or_b32 exec_lo, exec_lo, s3
	s_delay_alu instid0(SALU_CYCLE_1)
	s_mov_b32 s4, exec_lo
	v_cmp_gt_u32_e32 vcc_lo, 32, v0
	s_wait_loadcnt_dscnt 0x0
	s_barrier_signal -1
	s_barrier_wait -1
	global_inv scope:SCOPE_SE
                                        ; implicit-def: $vgpr19_vgpr20
	v_cmpx_lt_u32_e32 31, v0
	s_cbranch_execz .LBB1050_37
; %bb.36:
	v_lshl_add_u32 v9, v9, 3, -8
	ds_load_b64 v[19:20], v9
	s_wait_dscnt 0x0
	v_add_co_u32 v13, s3, v13, v19
	s_wait_alu 0xf1ff
	v_add_co_ci_u32_e64 v10, null, v10, v20, s3
.LBB1050_37:
	s_wait_alu 0xfffe
	s_or_b32 exec_lo, exec_lo, s4
	v_sub_co_u32 v9, s3, v31, 1
	s_delay_alu instid0(VALU_DEP_1) | instskip(SKIP_1) | instid1(VALU_DEP_1)
	v_cmp_gt_i32_e64 s4, 0, v9
	s_wait_alu 0xf1ff
	v_cndmask_b32_e64 v9, v9, v31, s4
	s_delay_alu instid0(VALU_DEP_1)
	v_lshlrev_b32_e32 v9, 2, v9
	ds_bpermute_b32 v33, v9, v13
	ds_bpermute_b32 v34, v9, v10
	s_and_saveexec_b32 s4, vcc_lo
	s_cbranch_execz .LBB1050_76
; %bb.38:
	v_mov_b32_e32 v12, 0
	ds_load_b64 v[9:10], v12 offset:56
	s_and_saveexec_b32 s5, s3
	s_cbranch_execz .LBB1050_40
; %bb.39:
	s_add_co_i32 s16, ttmp9, 32
	s_mov_b32 s17, 0
	s_delay_alu instid0(SALU_CYCLE_1)
	s_lshl_b64 s[16:17], s[16:17], 4
	s_wait_kmcnt 0x0
	s_add_nc_u64 s[16:17], s[6:7], s[16:17]
	v_mov_b32_e32 v11, 1
	v_dual_mov_b32 v13, s16 :: v_dual_mov_b32 v14, s17
	s_wait_dscnt 0x0
	;;#ASMSTART
	global_store_b128 v[13:14], v[9:12] off scope:SCOPE_DEV	
s_wait_storecnt 0x0
	;;#ASMEND
.LBB1050_40:
	s_wait_alu 0xfffe
	s_or_b32 exec_lo, exec_lo, s5
	v_xad_u32 v21, v31, -1, ttmp9
	s_mov_b32 s15, 0
	s_mov_b32 s5, exec_lo
	s_delay_alu instid0(VALU_DEP_1) | instskip(NEXT) | instid1(VALU_DEP_1)
	v_add_nc_u32_e32 v11, 32, v21
	v_lshlrev_b64_e32 v[11:12], 4, v[11:12]
	s_wait_kmcnt 0x0
	s_delay_alu instid0(VALU_DEP_1) | instskip(SKIP_1) | instid1(VALU_DEP_2)
	v_add_co_u32 v11, vcc_lo, s6, v11
	s_wait_alu 0xfffd
	v_add_co_ci_u32_e64 v12, null, s7, v12, vcc_lo
	;;#ASMSTART
	global_load_b128 v[13:16], v[11:12] off scope:SCOPE_DEV	
s_wait_loadcnt 0x0
	;;#ASMEND
	v_and_b32_e32 v16, 0xff, v15
	s_delay_alu instid0(VALU_DEP_1)
	v_cmpx_eq_u16_e32 0, v16
	s_cbranch_execz .LBB1050_43
.LBB1050_41:                            ; =>This Inner Loop Header: Depth=1
	;;#ASMSTART
	global_load_b128 v[13:16], v[11:12] off scope:SCOPE_DEV	
s_wait_loadcnt 0x0
	;;#ASMEND
	v_and_b32_e32 v16, 0xff, v15
	s_delay_alu instid0(VALU_DEP_1)
	v_cmp_ne_u16_e32 vcc_lo, 0, v16
	s_wait_alu 0xfffe
	s_or_b32 s15, vcc_lo, s15
	s_wait_alu 0xfffe
	s_and_not1_b32 exec_lo, exec_lo, s15
	s_cbranch_execnz .LBB1050_41
; %bb.42:
	s_or_b32 exec_lo, exec_lo, s15
.LBB1050_43:
	s_wait_alu 0xfffe
	s_or_b32 exec_lo, exec_lo, s5
	v_cmp_ne_u32_e32 vcc_lo, 31, v31
	v_and_b32_e32 v12, 0xff, v15
	v_lshlrev_b32_e64 v36, v31, -1
	s_mov_b32 s5, exec_lo
	s_wait_alu 0xfffd
	v_add_co_ci_u32_e64 v11, null, 0, v31, vcc_lo
	v_cmp_eq_u16_e32 vcc_lo, 2, v12
	s_delay_alu instid0(VALU_DEP_2)
	v_dual_mov_b32 v12, v13 :: v_dual_lshlrev_b32 v35, 2, v11
	s_wait_alu 0xfffd
	v_and_or_b32 v11, vcc_lo, v36, 0x80000000
	ds_bpermute_b32 v22, v35, v13
	ds_bpermute_b32 v16, v35, v14
	v_ctz_i32_b32_e32 v11, v11
	s_delay_alu instid0(VALU_DEP_1)
	v_cmpx_lt_u32_e64 v31, v11
	s_cbranch_execz .LBB1050_45
; %bb.44:
	s_wait_dscnt 0x1
	v_add_co_u32 v12, vcc_lo, v13, v22
	s_wait_alu 0xfffd
	v_add_co_ci_u32_e64 v14, null, 0, v14, vcc_lo
	s_delay_alu instid0(VALU_DEP_2) | instskip(SKIP_2) | instid1(VALU_DEP_2)
	v_add_co_u32 v13, vcc_lo, 0, v12
	s_wait_dscnt 0x0
	s_wait_alu 0xfffd
	v_add_co_ci_u32_e64 v14, null, v16, v14, vcc_lo
.LBB1050_45:
	s_wait_alu 0xfffe
	s_or_b32 exec_lo, exec_lo, s5
	v_cmp_gt_u32_e32 vcc_lo, 30, v31
	v_add_nc_u32_e32 v38, 2, v31
	s_mov_b32 s5, exec_lo
	s_wait_dscnt 0x0
	s_wait_alu 0xfffd
	v_cndmask_b32_e64 v16, 0, 2, vcc_lo
	s_delay_alu instid0(VALU_DEP_1)
	v_add_lshl_u32 v37, v16, v31, 2
	ds_bpermute_b32 v22, v37, v12
	ds_bpermute_b32 v16, v37, v14
	v_cmpx_le_u32_e64 v38, v11
	s_cbranch_execz .LBB1050_47
; %bb.46:
	s_wait_dscnt 0x1
	v_add_co_u32 v12, vcc_lo, v13, v22
	s_wait_alu 0xfffd
	v_add_co_ci_u32_e64 v14, null, 0, v14, vcc_lo
	s_delay_alu instid0(VALU_DEP_2) | instskip(SKIP_2) | instid1(VALU_DEP_2)
	v_add_co_u32 v13, vcc_lo, 0, v12
	s_wait_dscnt 0x0
	s_wait_alu 0xfffd
	v_add_co_ci_u32_e64 v14, null, v16, v14, vcc_lo
.LBB1050_47:
	s_wait_alu 0xfffe
	s_or_b32 exec_lo, exec_lo, s5
	v_cmp_gt_u32_e32 vcc_lo, 28, v31
	v_add_nc_u32_e32 v40, 4, v31
	s_mov_b32 s5, exec_lo
	s_wait_dscnt 0x0
	s_wait_alu 0xfffd
	v_cndmask_b32_e64 v16, 0, 4, vcc_lo
	s_delay_alu instid0(VALU_DEP_1)
	v_add_lshl_u32 v39, v16, v31, 2
	ds_bpermute_b32 v22, v39, v12
	ds_bpermute_b32 v16, v39, v14
	v_cmpx_le_u32_e64 v40, v11
	;; [unrolled: 25-line block ×3, first 2 shown]
	s_cbranch_execz .LBB1050_51
; %bb.50:
	s_wait_dscnt 0x1
	v_add_co_u32 v12, vcc_lo, v13, v22
	s_wait_alu 0xfffd
	v_add_co_ci_u32_e64 v14, null, 0, v14, vcc_lo
	s_delay_alu instid0(VALU_DEP_2) | instskip(SKIP_2) | instid1(VALU_DEP_2)
	v_add_co_u32 v13, vcc_lo, 0, v12
	s_wait_dscnt 0x0
	s_wait_alu 0xfffd
	v_add_co_ci_u32_e64 v14, null, v16, v14, vcc_lo
.LBB1050_51:
	s_wait_alu 0xfffe
	s_or_b32 exec_lo, exec_lo, s5
	v_lshl_or_b32 v43, v31, 2, 64
	v_add_nc_u32_e32 v44, 16, v31
	s_mov_b32 s5, exec_lo
	s_wait_dscnt 0x0
	ds_bpermute_b32 v16, v43, v12
	ds_bpermute_b32 v12, v43, v14
	v_cmpx_le_u32_e64 v44, v11
	s_cbranch_execz .LBB1050_53
; %bb.52:
	s_wait_dscnt 0x1
	v_add_co_u32 v11, vcc_lo, v13, v16
	s_wait_alu 0xfffd
	v_add_co_ci_u32_e64 v14, null, 0, v14, vcc_lo
	s_delay_alu instid0(VALU_DEP_2) | instskip(SKIP_2) | instid1(VALU_DEP_2)
	v_add_co_u32 v13, vcc_lo, v11, 0
	s_wait_dscnt 0x0
	s_wait_alu 0xfffd
	v_add_co_ci_u32_e64 v14, null, v14, v12, vcc_lo
.LBB1050_53:
	s_wait_alu 0xfffe
	s_or_b32 exec_lo, exec_lo, s5
	v_mov_b32_e32 v22, 0
	s_branch .LBB1050_56
.LBB1050_54:                            ;   in Loop: Header=BB1050_56 Depth=1
	s_wait_alu 0xfffe
	s_or_b32 exec_lo, exec_lo, s5
	v_add_co_u32 v13, vcc_lo, v13, v11
	v_subrev_nc_u32_e32 v21, 32, v21
	s_wait_alu 0xfffd
	v_add_co_ci_u32_e64 v14, null, v14, v12, vcc_lo
	s_mov_b32 s5, 0
.LBB1050_55:                            ;   in Loop: Header=BB1050_56 Depth=1
	s_wait_alu 0xfffe
	s_and_b32 vcc_lo, exec_lo, s5
	s_wait_alu 0xfffe
	s_cbranch_vccnz .LBB1050_72
.LBB1050_56:                            ; =>This Loop Header: Depth=1
                                        ;     Child Loop BB1050_59 Depth 2
	v_and_b32_e32 v11, 0xff, v15
	s_mov_b32 s5, -1
	s_delay_alu instid0(VALU_DEP_1)
	v_cmp_ne_u16_e32 vcc_lo, 2, v11
	s_wait_dscnt 0x0
	v_dual_mov_b32 v11, v13 :: v_dual_mov_b32 v12, v14
                                        ; implicit-def: $vgpr13_vgpr14
	s_cmp_lg_u32 vcc_lo, exec_lo
	s_cbranch_scc1 .LBB1050_55
; %bb.57:                               ;   in Loop: Header=BB1050_56 Depth=1
	v_lshlrev_b64_e32 v[13:14], 4, v[21:22]
	s_mov_b32 s5, exec_lo
	s_delay_alu instid0(VALU_DEP_1) | instskip(SKIP_1) | instid1(VALU_DEP_2)
	v_add_co_u32 v23, vcc_lo, s6, v13
	s_wait_alu 0xfffd
	v_add_co_ci_u32_e64 v24, null, s7, v14, vcc_lo
	;;#ASMSTART
	global_load_b128 v[13:16], v[23:24] off scope:SCOPE_DEV	
s_wait_loadcnt 0x0
	;;#ASMEND
	v_and_b32_e32 v16, 0xff, v15
	s_delay_alu instid0(VALU_DEP_1)
	v_cmpx_eq_u16_e32 0, v16
	s_cbranch_execz .LBB1050_61
; %bb.58:                               ;   in Loop: Header=BB1050_56 Depth=1
	s_mov_b32 s15, 0
.LBB1050_59:                            ;   Parent Loop BB1050_56 Depth=1
                                        ; =>  This Inner Loop Header: Depth=2
	;;#ASMSTART
	global_load_b128 v[13:16], v[23:24] off scope:SCOPE_DEV	
s_wait_loadcnt 0x0
	;;#ASMEND
	v_and_b32_e32 v16, 0xff, v15
	s_delay_alu instid0(VALU_DEP_1)
	v_cmp_ne_u16_e32 vcc_lo, 0, v16
	s_wait_alu 0xfffe
	s_or_b32 s15, vcc_lo, s15
	s_wait_alu 0xfffe
	s_and_not1_b32 exec_lo, exec_lo, s15
	s_cbranch_execnz .LBB1050_59
; %bb.60:                               ;   in Loop: Header=BB1050_56 Depth=1
	s_or_b32 exec_lo, exec_lo, s15
.LBB1050_61:                            ;   in Loop: Header=BB1050_56 Depth=1
	s_wait_alu 0xfffe
	s_or_b32 exec_lo, exec_lo, s5
	v_dual_mov_b32 v23, v13 :: v_dual_and_b32 v16, 0xff, v15
	ds_bpermute_b32 v45, v35, v13
	ds_bpermute_b32 v24, v35, v14
	s_mov_b32 s5, exec_lo
	v_cmp_eq_u16_e32 vcc_lo, 2, v16
	s_wait_alu 0xfffd
	v_and_or_b32 v16, vcc_lo, v36, 0x80000000
	s_delay_alu instid0(VALU_DEP_1) | instskip(NEXT) | instid1(VALU_DEP_1)
	v_ctz_i32_b32_e32 v16, v16
	v_cmpx_lt_u32_e64 v31, v16
	s_cbranch_execz .LBB1050_63
; %bb.62:                               ;   in Loop: Header=BB1050_56 Depth=1
	s_wait_dscnt 0x1
	v_add_co_u32 v23, vcc_lo, v13, v45
	s_wait_alu 0xfffd
	v_add_co_ci_u32_e64 v14, null, 0, v14, vcc_lo
	s_delay_alu instid0(VALU_DEP_2) | instskip(SKIP_2) | instid1(VALU_DEP_2)
	v_add_co_u32 v13, vcc_lo, 0, v23
	s_wait_dscnt 0x0
	s_wait_alu 0xfffd
	v_add_co_ci_u32_e64 v14, null, v24, v14, vcc_lo
.LBB1050_63:                            ;   in Loop: Header=BB1050_56 Depth=1
	s_wait_alu 0xfffe
	s_or_b32 exec_lo, exec_lo, s5
	s_wait_dscnt 0x1
	ds_bpermute_b32 v45, v37, v23
	s_wait_dscnt 0x1
	ds_bpermute_b32 v24, v37, v14
	s_mov_b32 s5, exec_lo
	v_cmpx_le_u32_e64 v38, v16
	s_cbranch_execz .LBB1050_65
; %bb.64:                               ;   in Loop: Header=BB1050_56 Depth=1
	s_wait_dscnt 0x1
	v_add_co_u32 v23, vcc_lo, v13, v45
	s_wait_alu 0xfffd
	v_add_co_ci_u32_e64 v14, null, 0, v14, vcc_lo
	s_delay_alu instid0(VALU_DEP_2) | instskip(SKIP_2) | instid1(VALU_DEP_2)
	v_add_co_u32 v13, vcc_lo, 0, v23
	s_wait_dscnt 0x0
	s_wait_alu 0xfffd
	v_add_co_ci_u32_e64 v14, null, v24, v14, vcc_lo
.LBB1050_65:                            ;   in Loop: Header=BB1050_56 Depth=1
	s_wait_alu 0xfffe
	s_or_b32 exec_lo, exec_lo, s5
	s_wait_dscnt 0x1
	ds_bpermute_b32 v45, v39, v23
	s_wait_dscnt 0x1
	ds_bpermute_b32 v24, v39, v14
	s_mov_b32 s5, exec_lo
	v_cmpx_le_u32_e64 v40, v16
	;; [unrolled: 20-line block ×3, first 2 shown]
	s_cbranch_execz .LBB1050_69
; %bb.68:                               ;   in Loop: Header=BB1050_56 Depth=1
	s_wait_dscnt 0x1
	v_add_co_u32 v23, vcc_lo, v13, v45
	s_wait_alu 0xfffd
	v_add_co_ci_u32_e64 v14, null, 0, v14, vcc_lo
	s_delay_alu instid0(VALU_DEP_2) | instskip(SKIP_2) | instid1(VALU_DEP_2)
	v_add_co_u32 v13, vcc_lo, 0, v23
	s_wait_dscnt 0x0
	s_wait_alu 0xfffd
	v_add_co_ci_u32_e64 v14, null, v24, v14, vcc_lo
.LBB1050_69:                            ;   in Loop: Header=BB1050_56 Depth=1
	s_wait_alu 0xfffe
	s_or_b32 exec_lo, exec_lo, s5
	s_wait_dscnt 0x0
	ds_bpermute_b32 v24, v43, v23
	ds_bpermute_b32 v23, v43, v14
	s_mov_b32 s5, exec_lo
	v_cmpx_le_u32_e64 v44, v16
	s_cbranch_execz .LBB1050_54
; %bb.70:                               ;   in Loop: Header=BB1050_56 Depth=1
	s_wait_dscnt 0x1
	v_add_co_u32 v13, vcc_lo, v13, v24
	s_wait_alu 0xfffd
	v_add_co_ci_u32_e64 v14, null, 0, v14, vcc_lo
	s_delay_alu instid0(VALU_DEP_2) | instskip(SKIP_2) | instid1(VALU_DEP_2)
	v_add_co_u32 v13, vcc_lo, v13, 0
	s_wait_dscnt 0x0
	s_wait_alu 0xfffd
	v_add_co_ci_u32_e64 v14, null, v14, v23, vcc_lo
	s_branch .LBB1050_54
.LBB1050_71:
                                        ; implicit-def: $vgpr15_vgpr16
                                        ; implicit-def: $vgpr13_vgpr14
                                        ; implicit-def: $vgpr19_vgpr20
                                        ; implicit-def: $vgpr21_vgpr22
                                        ; implicit-def: $vgpr11_vgpr12
	s_load_b64 s[4:5], s[0:1], 0x28
	s_and_b32 vcc_lo, exec_lo, s3
	s_wait_alu 0xfffe
	s_cbranch_vccnz .LBB1050_77
	s_branch .LBB1050_102
.LBB1050_72:
	s_and_saveexec_b32 s5, s3
	s_cbranch_execz .LBB1050_74
; %bb.73:
	s_add_co_i32 s16, ttmp9, 32
	s_mov_b32 s17, 0
	v_add_co_u32 v13, vcc_lo, v11, v9
	s_wait_alu 0xfffe
	s_lshl_b64 s[16:17], s[16:17], 4
	v_dual_mov_b32 v15, 2 :: v_dual_mov_b32 v16, 0
	s_wait_alu 0xfffe
	s_add_nc_u64 s[16:17], s[6:7], s[16:17]
	s_wait_alu 0xfffd
	v_add_co_ci_u32_e64 v14, null, v12, v10, vcc_lo
	s_wait_alu 0xfffe
	v_dual_mov_b32 v22, s17 :: v_dual_mov_b32 v21, s16
	;;#ASMSTART
	global_store_b128 v[21:22], v[13:16] off scope:SCOPE_DEV	
s_wait_storecnt 0x0
	;;#ASMEND
	ds_store_b128 v16, v[9:12] offset:8448
.LBB1050_74:
	s_wait_alu 0xfffe
	s_or_b32 exec_lo, exec_lo, s5
	v_cmp_eq_u32_e32 vcc_lo, 0, v0
	s_and_b32 exec_lo, exec_lo, vcc_lo
; %bb.75:
	v_mov_b32_e32 v9, 0
	ds_store_b64 v9, v[11:12] offset:56
.LBB1050_76:
	s_wait_alu 0xfffe
	s_or_b32 exec_lo, exec_lo, s4
	s_wait_dscnt 0x1
	v_cndmask_b32_e64 v10, v33, v19, s3
	v_cmp_ne_u32_e32 vcc_lo, 0, v0
	v_mov_b32_e32 v9, 0
	s_wait_loadcnt_dscnt 0x0
	s_barrier_signal -1
	s_barrier_wait -1
	global_inv scope:SCOPE_SE
	s_wait_alu 0xfffd
	v_cndmask_b32_e32 v16, 0, v10, vcc_lo
	ds_load_b64 v[13:14], v9 offset:56
	v_cndmask_b32_e64 v11, v34, v20, s3
	s_wait_loadcnt_dscnt 0x0
	s_barrier_signal -1
	s_barrier_wait -1
	global_inv scope:SCOPE_SE
	v_cndmask_b32_e32 v15, 0, v11, vcc_lo
	ds_load_b128 v[9:12], v9 offset:8448
	v_add_co_u32 v21, vcc_lo, v13, v16
	s_wait_alu 0xfffd
	v_add_co_ci_u32_e64 v22, null, v14, v15, vcc_lo
	s_delay_alu instid0(VALU_DEP_2) | instskip(SKIP_1) | instid1(VALU_DEP_2)
	v_add_co_u32 v19, vcc_lo, v21, v30
	s_wait_alu 0xfffd
	v_add_co_ci_u32_e64 v20, null, 0, v22, vcc_lo
	s_delay_alu instid0(VALU_DEP_2) | instskip(SKIP_1) | instid1(VALU_DEP_2)
	;; [unrolled: 4-line block ×3, first 2 shown]
	v_add_co_u32 v15, vcc_lo, v13, v28
	s_wait_alu 0xfffd
	v_add_co_ci_u32_e64 v16, null, 0, v14, vcc_lo
	s_load_b64 s[4:5], s[0:1], 0x28
	s_branch .LBB1050_102
.LBB1050_77:
	s_wait_dscnt 0x0
	v_dual_mov_b32 v10, 0 :: v_dual_mov_b32 v11, v17
	v_mov_b32_dpp v12, v17 row_shr:1 row_mask:0xf bank_mask:0xf
	s_delay_alu instid0(VALU_DEP_2)
	v_mov_b32_dpp v9, v10 row_shr:1 row_mask:0xf bank_mask:0xf
	s_and_saveexec_b32 s0, s2
; %bb.78:
	s_delay_alu instid0(VALU_DEP_2) | instskip(SKIP_2) | instid1(VALU_DEP_2)
	v_add_co_u32 v11, vcc_lo, v17, v12
	s_wait_alu 0xfffd
	v_add_co_ci_u32_e64 v10, null, 0, v18, vcc_lo
	v_add_co_u32 v17, vcc_lo, 0, v11
	s_wait_alu 0xfffd
	s_delay_alu instid0(VALU_DEP_2) | instskip(NEXT) | instid1(VALU_DEP_1)
	v_add_co_ci_u32_e64 v18, null, v9, v10, vcc_lo
	v_mov_b32_e32 v10, v18
; %bb.79:
	s_or_b32 exec_lo, exec_lo, s0
	v_mov_b32_dpp v9, v11 row_shr:2 row_mask:0xf bank_mask:0xf
	s_delay_alu instid0(VALU_DEP_2)
	v_mov_b32_dpp v12, v10 row_shr:2 row_mask:0xf bank_mask:0xf
	s_mov_b32 s0, exec_lo
	v_cmpx_lt_u32_e32 1, v32
; %bb.80:
	s_delay_alu instid0(VALU_DEP_3) | instskip(SKIP_2) | instid1(VALU_DEP_2)
	v_add_co_u32 v11, vcc_lo, v17, v9
	s_wait_alu 0xfffd
	v_add_co_ci_u32_e64 v10, null, 0, v18, vcc_lo
	v_add_co_u32 v9, vcc_lo, 0, v11
	s_wait_alu 0xfffd
	s_delay_alu instid0(VALU_DEP_2) | instskip(NEXT) | instid1(VALU_DEP_1)
	v_add_co_ci_u32_e64 v10, null, v12, v10, vcc_lo
	v_dual_mov_b32 v18, v10 :: v_dual_mov_b32 v17, v9
; %bb.81:
	s_or_b32 exec_lo, exec_lo, s0
	v_mov_b32_dpp v9, v11 row_shr:4 row_mask:0xf bank_mask:0xf
	v_mov_b32_dpp v12, v10 row_shr:4 row_mask:0xf bank_mask:0xf
	s_mov_b32 s0, exec_lo
	v_cmpx_lt_u32_e32 3, v32
; %bb.82:
	s_delay_alu instid0(VALU_DEP_3) | instskip(SKIP_2) | instid1(VALU_DEP_2)
	v_add_co_u32 v11, vcc_lo, v17, v9
	s_wait_alu 0xfffd
	v_add_co_ci_u32_e64 v10, null, 0, v18, vcc_lo
	v_add_co_u32 v9, vcc_lo, 0, v11
	s_wait_alu 0xfffd
	s_delay_alu instid0(VALU_DEP_2) | instskip(NEXT) | instid1(VALU_DEP_1)
	v_add_co_ci_u32_e64 v10, null, v12, v10, vcc_lo
	v_dual_mov_b32 v18, v10 :: v_dual_mov_b32 v17, v9
; %bb.83:
	s_or_b32 exec_lo, exec_lo, s0
	v_mov_b32_dpp v12, v11 row_shr:8 row_mask:0xf bank_mask:0xf
	v_mov_b32_dpp v9, v10 row_shr:8 row_mask:0xf bank_mask:0xf
	s_mov_b32 s0, exec_lo
	v_cmpx_lt_u32_e32 7, v32
; %bb.84:
	s_delay_alu instid0(VALU_DEP_3) | instskip(SKIP_2) | instid1(VALU_DEP_2)
	v_add_co_u32 v11, vcc_lo, v17, v12
	s_wait_alu 0xfffd
	v_add_co_ci_u32_e64 v10, null, 0, v18, vcc_lo
	v_add_co_u32 v17, vcc_lo, 0, v11
	s_wait_alu 0xfffd
	s_delay_alu instid0(VALU_DEP_2) | instskip(NEXT) | instid1(VALU_DEP_1)
	v_add_co_ci_u32_e64 v18, null, v9, v10, vcc_lo
	v_mov_b32_e32 v10, v18
; %bb.85:
	s_or_b32 exec_lo, exec_lo, s0
	ds_swizzle_b32 v11, v11 offset:swizzle(BROADCAST,32,15)
	ds_swizzle_b32 v9, v10 offset:swizzle(BROADCAST,32,15)
	v_and_b32_e32 v10, 16, v31
	s_mov_b32 s0, exec_lo
	s_delay_alu instid0(VALU_DEP_1)
	v_cmpx_ne_u32_e32 0, v10
	s_cbranch_execz .LBB1050_87
; %bb.86:
	s_wait_dscnt 0x1
	v_add_co_u32 v10, vcc_lo, v17, v11
	s_wait_alu 0xfffd
	v_add_co_ci_u32_e64 v11, null, 0, v18, vcc_lo
	s_delay_alu instid0(VALU_DEP_2) | instskip(SKIP_2) | instid1(VALU_DEP_2)
	v_add_co_u32 v17, vcc_lo, v10, 0
	s_wait_dscnt 0x0
	s_wait_alu 0xfffd
	v_add_co_ci_u32_e64 v18, null, v11, v9, vcc_lo
.LBB1050_87:
	s_or_b32 exec_lo, exec_lo, s0
	s_wait_dscnt 0x0
	v_or_b32_e32 v9, 31, v0
	v_lshrrev_b32_e32 v11, 5, v0
	s_mov_b32 s0, exec_lo
	s_delay_alu instid0(VALU_DEP_2)
	v_cmpx_eq_u32_e64 v0, v9
; %bb.88:
	s_delay_alu instid0(VALU_DEP_2)
	v_lshlrev_b32_e32 v9, 3, v11
	ds_store_b64 v9, v[17:18]
; %bb.89:
	s_or_b32 exec_lo, exec_lo, s0
	s_delay_alu instid0(SALU_CYCLE_1)
	s_mov_b32 s0, exec_lo
	s_wait_loadcnt_dscnt 0x0
	s_barrier_signal -1
	s_barrier_wait -1
	global_inv scope:SCOPE_SE
	v_cmpx_gt_u32_e32 8, v0
	s_cbranch_execz .LBB1050_97
; %bb.90:
	v_lshlrev_b32_e32 v12, 3, v0
	s_mov_b32 s1, exec_lo
	ds_load_b64 v[9:10], v12
	s_wait_dscnt 0x0
	v_dual_mov_b32 v14, v9 :: v_dual_and_b32 v13, 7, v31
	v_mov_b32_dpp v16, v9 row_shr:1 row_mask:0xf bank_mask:0xf
	v_mov_b32_dpp v15, v10 row_shr:1 row_mask:0xf bank_mask:0xf
	s_delay_alu instid0(VALU_DEP_3)
	v_cmpx_ne_u32_e32 0, v13
; %bb.91:
	s_delay_alu instid0(VALU_DEP_3) | instskip(SKIP_2) | instid1(VALU_DEP_2)
	v_add_co_u32 v14, vcc_lo, v9, v16
	s_wait_alu 0xfffd
	v_add_co_ci_u32_e64 v10, null, 0, v10, vcc_lo
	v_add_co_u32 v9, vcc_lo, 0, v14
	s_wait_alu 0xfffd
	s_delay_alu instid0(VALU_DEP_2)
	v_add_co_ci_u32_e64 v10, null, v15, v10, vcc_lo
; %bb.92:
	s_or_b32 exec_lo, exec_lo, s1
	v_mov_b32_dpp v16, v14 row_shr:2 row_mask:0xf bank_mask:0xf
	s_delay_alu instid0(VALU_DEP_2)
	v_mov_b32_dpp v15, v10 row_shr:2 row_mask:0xf bank_mask:0xf
	s_mov_b32 s1, exec_lo
	v_cmpx_lt_u32_e32 1, v13
; %bb.93:
	s_delay_alu instid0(VALU_DEP_3) | instskip(SKIP_2) | instid1(VALU_DEP_2)
	v_add_co_u32 v14, vcc_lo, v9, v16
	s_wait_alu 0xfffd
	v_add_co_ci_u32_e64 v10, null, 0, v10, vcc_lo
	v_add_co_u32 v9, vcc_lo, 0, v14
	s_wait_alu 0xfffd
	s_delay_alu instid0(VALU_DEP_2)
	v_add_co_ci_u32_e64 v10, null, v15, v10, vcc_lo
; %bb.94:
	s_or_b32 exec_lo, exec_lo, s1
	v_mov_b32_dpp v15, v14 row_shr:4 row_mask:0xf bank_mask:0xf
	s_delay_alu instid0(VALU_DEP_2)
	v_mov_b32_dpp v14, v10 row_shr:4 row_mask:0xf bank_mask:0xf
	s_mov_b32 s1, exec_lo
	v_cmpx_lt_u32_e32 3, v13
; %bb.95:
	s_delay_alu instid0(VALU_DEP_3) | instskip(SKIP_2) | instid1(VALU_DEP_2)
	v_add_co_u32 v9, vcc_lo, v9, v15
	s_wait_alu 0xfffd
	v_add_co_ci_u32_e64 v10, null, 0, v10, vcc_lo
	v_add_co_u32 v9, vcc_lo, v9, 0
	s_wait_alu 0xfffd
	s_delay_alu instid0(VALU_DEP_2)
	v_add_co_ci_u32_e64 v10, null, v10, v14, vcc_lo
; %bb.96:
	s_or_b32 exec_lo, exec_lo, s1
	ds_store_b64 v12, v[9:10]
.LBB1050_97:
	s_or_b32 exec_lo, exec_lo, s0
	v_mov_b32_e32 v13, 0
	v_mov_b32_e32 v14, 0
	s_mov_b32 s0, exec_lo
	s_wait_loadcnt_dscnt 0x0
	s_barrier_signal -1
	s_barrier_wait -1
	global_inv scope:SCOPE_SE
	v_cmpx_lt_u32_e32 31, v0
; %bb.98:
	v_lshl_add_u32 v9, v11, 3, -8
	ds_load_b64 v[13:14], v9
; %bb.99:
	s_or_b32 exec_lo, exec_lo, s0
	v_sub_co_u32 v9, vcc_lo, v31, 1
	v_mov_b32_e32 v12, 0
	s_delay_alu instid0(VALU_DEP_2) | instskip(NEXT) | instid1(VALU_DEP_1)
	v_cmp_gt_i32_e64 s0, 0, v9
	v_cndmask_b32_e64 v9, v9, v31, s0
	s_wait_dscnt 0x0
	v_add_co_u32 v10, s0, v13, v17
	s_wait_alu 0xf1ff
	v_add_co_ci_u32_e64 v11, null, v14, v18, s0
	v_lshlrev_b32_e32 v9, 2, v9
	v_cmp_eq_u32_e64 s0, 0, v0
	ds_bpermute_b32 v15, v9, v10
	ds_bpermute_b32 v16, v9, v11
	ds_load_b64 v[9:10], v12 offset:56
	s_and_saveexec_b32 s1, s0
	s_cbranch_execz .LBB1050_101
; %bb.100:
	s_wait_kmcnt 0x0
	s_add_nc_u64 s[2:3], s[6:7], 0x200
	s_wait_alu 0xfffe
	v_dual_mov_b32 v11, 2 :: v_dual_mov_b32 v18, s3
	v_mov_b32_e32 v17, s2
	s_wait_dscnt 0x0
	;;#ASMSTART
	global_store_b128 v[17:18], v[9:12] off scope:SCOPE_DEV	
s_wait_storecnt 0x0
	;;#ASMEND
.LBB1050_101:
	s_wait_alu 0xfffe
	s_or_b32 exec_lo, exec_lo, s1
	s_wait_dscnt 0x1
	s_wait_alu 0xfffd
	v_dual_cndmask_b32 v11, v15, v13 :: v_dual_cndmask_b32 v12, v16, v14
	s_wait_loadcnt_dscnt 0x0
	s_barrier_signal -1
	s_barrier_wait -1
	s_delay_alu instid0(VALU_DEP_1)
	v_cndmask_b32_e64 v21, v11, 0, s0
	v_cndmask_b32_e64 v22, v12, 0, s0
	v_mov_b32_e32 v11, 0
	v_mov_b32_e32 v12, 0
	global_inv scope:SCOPE_SE
	v_add_co_u32 v19, vcc_lo, v21, v30
	s_wait_alu 0xfffd
	v_add_co_ci_u32_e64 v20, null, 0, v22, vcc_lo
	s_delay_alu instid0(VALU_DEP_2) | instskip(SKIP_1) | instid1(VALU_DEP_2)
	v_add_co_u32 v13, vcc_lo, v19, v29
	s_wait_alu 0xfffd
	v_add_co_ci_u32_e64 v14, null, 0, v20, vcc_lo
	s_delay_alu instid0(VALU_DEP_2) | instskip(SKIP_1) | instid1(VALU_DEP_2)
	v_add_co_u32 v15, vcc_lo, v13, v28
	s_wait_alu 0xfffd
	v_add_co_ci_u32_e64 v16, null, 0, v14, vcc_lo
.LBB1050_102:
	v_and_b32_e32 v23, 1, v27
	s_wait_dscnt 0x0
	v_cmp_gt_u64_e32 vcc_lo, 0x101, v[9:10]
	s_mov_b32 s1, -1
	s_delay_alu instid0(VALU_DEP_2)
	v_cmp_eq_u32_e64 s0, 1, v23
	s_cbranch_vccnz .LBB1050_106
; %bb.103:
	s_wait_alu 0xfffe
	s_and_b32 vcc_lo, exec_lo, s1
	s_wait_alu 0xfffe
	s_cbranch_vccnz .LBB1050_115
.LBB1050_104:
	v_cmp_eq_u32_e32 vcc_lo, 0, v0
	s_and_b32 s0, vcc_lo, s12
	s_wait_alu 0xfffe
	s_and_saveexec_b32 s1, s0
	s_cbranch_execnz .LBB1050_127
.LBB1050_105:
	s_endpgm
.LBB1050_106:
	v_add_co_u32 v17, vcc_lo, v11, v9
	s_wait_alu 0xfffd
	v_add_co_ci_u32_e64 v18, null, v12, v10, vcc_lo
	s_wait_kmcnt 0x0
	s_lshl_b64 s[2:3], s[10:11], 3
	s_wait_alu 0xfffe
	s_add_nc_u64 s[2:3], s[4:5], s[2:3]
	v_cmp_lt_u64_e32 vcc_lo, v[21:22], v[17:18]
	s_or_b32 s1, s13, vcc_lo
	s_wait_alu 0xfffe
	s_and_b32 s1, s1, s0
	s_wait_alu 0xfffe
	s_and_saveexec_b32 s0, s1
	s_cbranch_execz .LBB1050_108
; %bb.107:
	v_lshlrev_b64_e32 v[27:28], 3, v[21:22]
	s_delay_alu instid0(VALU_DEP_1) | instskip(SKIP_1) | instid1(VALU_DEP_2)
	v_add_co_u32 v27, vcc_lo, s2, v27
	s_wait_alu 0xfffd
	v_add_co_ci_u32_e64 v28, null, s3, v28, vcc_lo
	global_store_b64 v[27:28], v[1:2], off
.LBB1050_108:
	s_wait_alu 0xfffe
	s_or_b32 exec_lo, exec_lo, s0
	v_and_b32_e32 v22, 1, v26
	v_cmp_lt_u64_e32 vcc_lo, v[19:20], v[17:18]
	s_delay_alu instid0(VALU_DEP_2)
	v_cmp_eq_u32_e64 s0, 1, v22
	s_or_b32 s1, s13, vcc_lo
	s_wait_alu 0xfffe
	s_and_b32 s1, s1, s0
	s_wait_alu 0xfffe
	s_and_saveexec_b32 s0, s1
	s_cbranch_execz .LBB1050_110
; %bb.109:
	v_lshlrev_b64_e32 v[27:28], 3, v[19:20]
	s_delay_alu instid0(VALU_DEP_1) | instskip(SKIP_1) | instid1(VALU_DEP_2)
	v_add_co_u32 v27, vcc_lo, s2, v27
	s_wait_alu 0xfffd
	v_add_co_ci_u32_e64 v28, null, s3, v28, vcc_lo
	global_store_b64 v[27:28], v[5:6], off
.LBB1050_110:
	s_wait_alu 0xfffe
	s_or_b32 exec_lo, exec_lo, s0
	v_and_b32_e32 v20, 1, v25
	v_cmp_lt_u64_e32 vcc_lo, v[13:14], v[17:18]
	s_delay_alu instid0(VALU_DEP_2)
	v_cmp_eq_u32_e64 s0, 1, v20
	s_or_b32 s1, s13, vcc_lo
	s_wait_alu 0xfffe
	s_and_b32 s1, s1, s0
	s_wait_alu 0xfffe
	s_and_saveexec_b32 s0, s1
	s_cbranch_execz .LBB1050_112
; %bb.111:
	v_lshlrev_b64_e32 v[27:28], 3, v[13:14]
	s_delay_alu instid0(VALU_DEP_1) | instskip(SKIP_1) | instid1(VALU_DEP_2)
	v_add_co_u32 v27, vcc_lo, s2, v27
	s_wait_alu 0xfffd
	v_add_co_ci_u32_e64 v28, null, s3, v28, vcc_lo
	global_store_b64 v[27:28], v[7:8], off
.LBB1050_112:
	s_wait_alu 0xfffe
	s_or_b32 exec_lo, exec_lo, s0
	v_cmp_lt_u64_e32 vcc_lo, v[15:16], v[17:18]
	s_or_b32 s0, s13, vcc_lo
	s_wait_alu 0xfffe
	s_and_b32 s1, s0, s14
	s_wait_alu 0xfffe
	s_and_saveexec_b32 s0, s1
	s_cbranch_execz .LBB1050_114
; %bb.113:
	v_lshlrev_b64_e32 v[16:17], 3, v[15:16]
	s_delay_alu instid0(VALU_DEP_1) | instskip(SKIP_1) | instid1(VALU_DEP_2)
	v_add_co_u32 v16, vcc_lo, s2, v16
	s_wait_alu 0xfffd
	v_add_co_ci_u32_e64 v17, null, s3, v17, vcc_lo
	global_store_b64 v[16:17], v[3:4], off
.LBB1050_114:
	s_wait_alu 0xfffe
	s_or_b32 exec_lo, exec_lo, s0
	s_branch .LBB1050_104
.LBB1050_115:
	s_mov_b32 s0, exec_lo
	v_cmpx_eq_u32_e32 1, v23
; %bb.116:
	v_sub_nc_u32_e32 v14, v21, v11
	s_delay_alu instid0(VALU_DEP_1)
	v_lshlrev_b32_e32 v14, 3, v14
	ds_store_b64 v14, v[1:2]
; %bb.117:
	s_wait_alu 0xfffe
	s_or_b32 exec_lo, exec_lo, s0
	v_and_b32_e32 v1, 1, v26
	s_mov_b32 s0, exec_lo
	s_delay_alu instid0(VALU_DEP_1)
	v_cmpx_eq_u32_e32 1, v1
; %bb.118:
	v_sub_nc_u32_e32 v1, v19, v11
	s_delay_alu instid0(VALU_DEP_1)
	v_lshlrev_b32_e32 v1, 3, v1
	ds_store_b64 v1, v[5:6]
; %bb.119:
	s_wait_alu 0xfffe
	s_or_b32 exec_lo, exec_lo, s0
	v_and_b32_e32 v1, 1, v25
	s_mov_b32 s0, exec_lo
	s_delay_alu instid0(VALU_DEP_1)
	v_cmpx_eq_u32_e32 1, v1
; %bb.120:
	v_sub_nc_u32_e32 v1, v13, v11
	s_delay_alu instid0(VALU_DEP_1)
	v_lshlrev_b32_e32 v1, 3, v1
	ds_store_b64 v1, v[7:8]
; %bb.121:
	s_wait_alu 0xfffe
	s_or_b32 exec_lo, exec_lo, s0
	s_and_saveexec_b32 s0, s14
; %bb.122:
	v_sub_nc_u32_e32 v1, v15, v11
	s_delay_alu instid0(VALU_DEP_1)
	v_lshlrev_b32_e32 v1, 3, v1
	ds_store_b64 v1, v[3:4]
; %bb.123:
	s_wait_alu 0xfffe
	s_or_b32 exec_lo, exec_lo, s0
	v_mov_b32_e32 v3, 0
	s_mov_b32 s1, exec_lo
	s_wait_storecnt 0x0
	s_wait_loadcnt_dscnt 0x0
	s_barrier_signal -1
	s_barrier_wait -1
	v_mov_b32_e32 v1, v3
	global_inv scope:SCOPE_SE
	v_cmpx_gt_u64_e64 v[9:10], v[0:1]
	s_cbranch_execz .LBB1050_126
; %bb.124:
	v_lshlrev_b64_e32 v[4:5], 3, v[11:12]
	s_wait_kmcnt 0x0
	s_lshl_b64 s[2:3], s[10:11], 3
	v_or_b32_e32 v2, 0x100, v0
	s_delay_alu instid0(VALU_DEP_2) | instskip(SKIP_3) | instid1(VALU_DEP_2)
	v_add_co_u32 v4, vcc_lo, s4, v4
	s_wait_alu 0xfffd
	v_add_co_ci_u32_e64 v5, null, s5, v5, vcc_lo
	s_wait_alu 0xfffe
	v_add_co_u32 v6, vcc_lo, v4, s2
	s_wait_alu 0xfffd
	s_delay_alu instid0(VALU_DEP_2)
	v_add_co_ci_u32_e64 v7, null, s3, v5, vcc_lo
	v_dual_mov_b32 v5, v1 :: v_dual_mov_b32 v4, v0
	s_mov_b32 s2, 0
.LBB1050_125:                           ; =>This Inner Loop Header: Depth=1
	s_delay_alu instid0(VALU_DEP_1) | instskip(NEXT) | instid1(VALU_DEP_2)
	v_lshlrev_b32_e32 v1, 3, v4
	v_lshlrev_b64_e32 v[15:16], 3, v[4:5]
	v_dual_mov_b32 v5, v3 :: v_dual_mov_b32 v4, v2
	v_cmp_le_u64_e32 vcc_lo, v[9:10], v[2:3]
	ds_load_b64 v[13:14], v1
	v_add_nc_u32_e32 v2, 0x100, v2
	v_add_co_u32 v15, s0, v6, v15
	s_wait_alu 0xf1ff
	v_add_co_ci_u32_e64 v16, null, v7, v16, s0
	s_wait_alu 0xfffe
	s_or_b32 s2, vcc_lo, s2
	s_wait_dscnt 0x0
	global_store_b64 v[15:16], v[13:14], off
	s_wait_alu 0xfffe
	s_and_not1_b32 exec_lo, exec_lo, s2
	s_cbranch_execnz .LBB1050_125
.LBB1050_126:
	s_wait_alu 0xfffe
	s_or_b32 exec_lo, exec_lo, s1
	v_cmp_eq_u32_e32 vcc_lo, 0, v0
	s_and_b32 s0, vcc_lo, s12
	s_wait_alu 0xfffe
	s_and_saveexec_b32 s1, s0
	s_cbranch_execz .LBB1050_105
.LBB1050_127:
	v_add_co_u32 v0, vcc_lo, v11, v9
	s_wait_alu 0xfffd
	v_add_co_ci_u32_e64 v1, null, v12, v10, vcc_lo
	v_mov_b32_e32 v2, 0
	s_wait_kmcnt 0x0
	v_add_co_u32 v0, vcc_lo, v0, s10
	s_wait_alu 0xfffd
	v_add_co_ci_u32_e64 v1, null, s11, v1, vcc_lo
	global_store_b64 v2, v[0:1], s[8:9]
	s_endpgm
.LBB1050_128:
	v_lshlrev_b32_e32 v3, 3, v0
	s_delay_alu instid0(VALU_DEP_1)
	v_add_co_u32 v3, s5, s2, v3
	s_wait_alu 0xf1ff
	v_add_co_ci_u32_e64 v4, null, s3, 0, s5
	flat_load_b64 v[3:4], v[3:4] offset:2048
	s_wait_alu 0xfffe
	s_or_b32 exec_lo, exec_lo, s4
	s_delay_alu instid0(SALU_CYCLE_1)
	s_mov_b32 s4, exec_lo
	v_cmpx_gt_u32_e64 s7, v11
	s_cbranch_execz .LBB1050_7
.LBB1050_129:
	v_lshlrev_b32_e32 v5, 3, v0
	s_delay_alu instid0(VALU_DEP_1)
	v_add_co_u32 v5, s5, s2, v5
	s_wait_alu 0xf1ff
	v_add_co_ci_u32_e64 v6, null, s3, 0, s5
	flat_load_b64 v[5:6], v[5:6] offset:4096
	s_wait_alu 0xfffe
	s_or_b32 exec_lo, exec_lo, s4
	s_delay_alu instid0(SALU_CYCLE_1)
	s_mov_b32 s4, exec_lo
	v_cmpx_gt_u32_e64 s7, v10
	s_cbranch_execnz .LBB1050_8
	s_branch .LBB1050_9
	.section	.rodata,"a",@progbits
	.p2align	6, 0x0
	.amdhsa_kernel _ZN7rocprim17ROCPRIM_400000_NS6detail17trampoline_kernelINS0_14default_configENS1_25partition_config_selectorILNS1_17partition_subalgoE6EdNS0_10empty_typeEbEEZZNS1_14partition_implILS5_6ELb0ES3_mN6thrust23THRUST_200600_302600_NS6detail15normal_iteratorINSA_10device_ptrIdEEEEPS6_SG_NS0_5tupleIJSF_S6_EEENSH_IJSG_SG_EEES6_PlJNSB_9not_fun_tI7is_trueIdEEEEEE10hipError_tPvRmT3_T4_T5_T6_T7_T9_mT8_P12ihipStream_tbDpT10_ENKUlT_T0_E_clISt17integral_constantIbLb0EES18_EEDaS13_S14_EUlS13_E_NS1_11comp_targetILNS1_3genE10ELNS1_11target_archE1200ELNS1_3gpuE4ELNS1_3repE0EEENS1_30default_config_static_selectorELNS0_4arch9wavefront6targetE0EEEvT1_
		.amdhsa_group_segment_fixed_size 8464
		.amdhsa_private_segment_fixed_size 0
		.amdhsa_kernarg_size 112
		.amdhsa_user_sgpr_count 2
		.amdhsa_user_sgpr_dispatch_ptr 0
		.amdhsa_user_sgpr_queue_ptr 0
		.amdhsa_user_sgpr_kernarg_segment_ptr 1
		.amdhsa_user_sgpr_dispatch_id 0
		.amdhsa_user_sgpr_private_segment_size 0
		.amdhsa_wavefront_size32 1
		.amdhsa_uses_dynamic_stack 0
		.amdhsa_enable_private_segment 0
		.amdhsa_system_sgpr_workgroup_id_x 1
		.amdhsa_system_sgpr_workgroup_id_y 0
		.amdhsa_system_sgpr_workgroup_id_z 0
		.amdhsa_system_sgpr_workgroup_info 0
		.amdhsa_system_vgpr_workitem_id 0
		.amdhsa_next_free_vgpr 46
		.amdhsa_next_free_sgpr 22
		.amdhsa_reserve_vcc 1
		.amdhsa_float_round_mode_32 0
		.amdhsa_float_round_mode_16_64 0
		.amdhsa_float_denorm_mode_32 3
		.amdhsa_float_denorm_mode_16_64 3
		.amdhsa_fp16_overflow 0
		.amdhsa_workgroup_processor_mode 1
		.amdhsa_memory_ordered 1
		.amdhsa_forward_progress 1
		.amdhsa_inst_pref_size 50
		.amdhsa_round_robin_scheduling 0
		.amdhsa_exception_fp_ieee_invalid_op 0
		.amdhsa_exception_fp_denorm_src 0
		.amdhsa_exception_fp_ieee_div_zero 0
		.amdhsa_exception_fp_ieee_overflow 0
		.amdhsa_exception_fp_ieee_underflow 0
		.amdhsa_exception_fp_ieee_inexact 0
		.amdhsa_exception_int_div_zero 0
	.end_amdhsa_kernel
	.section	.text._ZN7rocprim17ROCPRIM_400000_NS6detail17trampoline_kernelINS0_14default_configENS1_25partition_config_selectorILNS1_17partition_subalgoE6EdNS0_10empty_typeEbEEZZNS1_14partition_implILS5_6ELb0ES3_mN6thrust23THRUST_200600_302600_NS6detail15normal_iteratorINSA_10device_ptrIdEEEEPS6_SG_NS0_5tupleIJSF_S6_EEENSH_IJSG_SG_EEES6_PlJNSB_9not_fun_tI7is_trueIdEEEEEE10hipError_tPvRmT3_T4_T5_T6_T7_T9_mT8_P12ihipStream_tbDpT10_ENKUlT_T0_E_clISt17integral_constantIbLb0EES18_EEDaS13_S14_EUlS13_E_NS1_11comp_targetILNS1_3genE10ELNS1_11target_archE1200ELNS1_3gpuE4ELNS1_3repE0EEENS1_30default_config_static_selectorELNS0_4arch9wavefront6targetE0EEEvT1_,"axG",@progbits,_ZN7rocprim17ROCPRIM_400000_NS6detail17trampoline_kernelINS0_14default_configENS1_25partition_config_selectorILNS1_17partition_subalgoE6EdNS0_10empty_typeEbEEZZNS1_14partition_implILS5_6ELb0ES3_mN6thrust23THRUST_200600_302600_NS6detail15normal_iteratorINSA_10device_ptrIdEEEEPS6_SG_NS0_5tupleIJSF_S6_EEENSH_IJSG_SG_EEES6_PlJNSB_9not_fun_tI7is_trueIdEEEEEE10hipError_tPvRmT3_T4_T5_T6_T7_T9_mT8_P12ihipStream_tbDpT10_ENKUlT_T0_E_clISt17integral_constantIbLb0EES18_EEDaS13_S14_EUlS13_E_NS1_11comp_targetILNS1_3genE10ELNS1_11target_archE1200ELNS1_3gpuE4ELNS1_3repE0EEENS1_30default_config_static_selectorELNS0_4arch9wavefront6targetE0EEEvT1_,comdat
.Lfunc_end1050:
	.size	_ZN7rocprim17ROCPRIM_400000_NS6detail17trampoline_kernelINS0_14default_configENS1_25partition_config_selectorILNS1_17partition_subalgoE6EdNS0_10empty_typeEbEEZZNS1_14partition_implILS5_6ELb0ES3_mN6thrust23THRUST_200600_302600_NS6detail15normal_iteratorINSA_10device_ptrIdEEEEPS6_SG_NS0_5tupleIJSF_S6_EEENSH_IJSG_SG_EEES6_PlJNSB_9not_fun_tI7is_trueIdEEEEEE10hipError_tPvRmT3_T4_T5_T6_T7_T9_mT8_P12ihipStream_tbDpT10_ENKUlT_T0_E_clISt17integral_constantIbLb0EES18_EEDaS13_S14_EUlS13_E_NS1_11comp_targetILNS1_3genE10ELNS1_11target_archE1200ELNS1_3gpuE4ELNS1_3repE0EEENS1_30default_config_static_selectorELNS0_4arch9wavefront6targetE0EEEvT1_, .Lfunc_end1050-_ZN7rocprim17ROCPRIM_400000_NS6detail17trampoline_kernelINS0_14default_configENS1_25partition_config_selectorILNS1_17partition_subalgoE6EdNS0_10empty_typeEbEEZZNS1_14partition_implILS5_6ELb0ES3_mN6thrust23THRUST_200600_302600_NS6detail15normal_iteratorINSA_10device_ptrIdEEEEPS6_SG_NS0_5tupleIJSF_S6_EEENSH_IJSG_SG_EEES6_PlJNSB_9not_fun_tI7is_trueIdEEEEEE10hipError_tPvRmT3_T4_T5_T6_T7_T9_mT8_P12ihipStream_tbDpT10_ENKUlT_T0_E_clISt17integral_constantIbLb0EES18_EEDaS13_S14_EUlS13_E_NS1_11comp_targetILNS1_3genE10ELNS1_11target_archE1200ELNS1_3gpuE4ELNS1_3repE0EEENS1_30default_config_static_selectorELNS0_4arch9wavefront6targetE0EEEvT1_
                                        ; -- End function
	.set _ZN7rocprim17ROCPRIM_400000_NS6detail17trampoline_kernelINS0_14default_configENS1_25partition_config_selectorILNS1_17partition_subalgoE6EdNS0_10empty_typeEbEEZZNS1_14partition_implILS5_6ELb0ES3_mN6thrust23THRUST_200600_302600_NS6detail15normal_iteratorINSA_10device_ptrIdEEEEPS6_SG_NS0_5tupleIJSF_S6_EEENSH_IJSG_SG_EEES6_PlJNSB_9not_fun_tI7is_trueIdEEEEEE10hipError_tPvRmT3_T4_T5_T6_T7_T9_mT8_P12ihipStream_tbDpT10_ENKUlT_T0_E_clISt17integral_constantIbLb0EES18_EEDaS13_S14_EUlS13_E_NS1_11comp_targetILNS1_3genE10ELNS1_11target_archE1200ELNS1_3gpuE4ELNS1_3repE0EEENS1_30default_config_static_selectorELNS0_4arch9wavefront6targetE0EEEvT1_.num_vgpr, 46
	.set _ZN7rocprim17ROCPRIM_400000_NS6detail17trampoline_kernelINS0_14default_configENS1_25partition_config_selectorILNS1_17partition_subalgoE6EdNS0_10empty_typeEbEEZZNS1_14partition_implILS5_6ELb0ES3_mN6thrust23THRUST_200600_302600_NS6detail15normal_iteratorINSA_10device_ptrIdEEEEPS6_SG_NS0_5tupleIJSF_S6_EEENSH_IJSG_SG_EEES6_PlJNSB_9not_fun_tI7is_trueIdEEEEEE10hipError_tPvRmT3_T4_T5_T6_T7_T9_mT8_P12ihipStream_tbDpT10_ENKUlT_T0_E_clISt17integral_constantIbLb0EES18_EEDaS13_S14_EUlS13_E_NS1_11comp_targetILNS1_3genE10ELNS1_11target_archE1200ELNS1_3gpuE4ELNS1_3repE0EEENS1_30default_config_static_selectorELNS0_4arch9wavefront6targetE0EEEvT1_.num_agpr, 0
	.set _ZN7rocprim17ROCPRIM_400000_NS6detail17trampoline_kernelINS0_14default_configENS1_25partition_config_selectorILNS1_17partition_subalgoE6EdNS0_10empty_typeEbEEZZNS1_14partition_implILS5_6ELb0ES3_mN6thrust23THRUST_200600_302600_NS6detail15normal_iteratorINSA_10device_ptrIdEEEEPS6_SG_NS0_5tupleIJSF_S6_EEENSH_IJSG_SG_EEES6_PlJNSB_9not_fun_tI7is_trueIdEEEEEE10hipError_tPvRmT3_T4_T5_T6_T7_T9_mT8_P12ihipStream_tbDpT10_ENKUlT_T0_E_clISt17integral_constantIbLb0EES18_EEDaS13_S14_EUlS13_E_NS1_11comp_targetILNS1_3genE10ELNS1_11target_archE1200ELNS1_3gpuE4ELNS1_3repE0EEENS1_30default_config_static_selectorELNS0_4arch9wavefront6targetE0EEEvT1_.numbered_sgpr, 22
	.set _ZN7rocprim17ROCPRIM_400000_NS6detail17trampoline_kernelINS0_14default_configENS1_25partition_config_selectorILNS1_17partition_subalgoE6EdNS0_10empty_typeEbEEZZNS1_14partition_implILS5_6ELb0ES3_mN6thrust23THRUST_200600_302600_NS6detail15normal_iteratorINSA_10device_ptrIdEEEEPS6_SG_NS0_5tupleIJSF_S6_EEENSH_IJSG_SG_EEES6_PlJNSB_9not_fun_tI7is_trueIdEEEEEE10hipError_tPvRmT3_T4_T5_T6_T7_T9_mT8_P12ihipStream_tbDpT10_ENKUlT_T0_E_clISt17integral_constantIbLb0EES18_EEDaS13_S14_EUlS13_E_NS1_11comp_targetILNS1_3genE10ELNS1_11target_archE1200ELNS1_3gpuE4ELNS1_3repE0EEENS1_30default_config_static_selectorELNS0_4arch9wavefront6targetE0EEEvT1_.num_named_barrier, 0
	.set _ZN7rocprim17ROCPRIM_400000_NS6detail17trampoline_kernelINS0_14default_configENS1_25partition_config_selectorILNS1_17partition_subalgoE6EdNS0_10empty_typeEbEEZZNS1_14partition_implILS5_6ELb0ES3_mN6thrust23THRUST_200600_302600_NS6detail15normal_iteratorINSA_10device_ptrIdEEEEPS6_SG_NS0_5tupleIJSF_S6_EEENSH_IJSG_SG_EEES6_PlJNSB_9not_fun_tI7is_trueIdEEEEEE10hipError_tPvRmT3_T4_T5_T6_T7_T9_mT8_P12ihipStream_tbDpT10_ENKUlT_T0_E_clISt17integral_constantIbLb0EES18_EEDaS13_S14_EUlS13_E_NS1_11comp_targetILNS1_3genE10ELNS1_11target_archE1200ELNS1_3gpuE4ELNS1_3repE0EEENS1_30default_config_static_selectorELNS0_4arch9wavefront6targetE0EEEvT1_.private_seg_size, 0
	.set _ZN7rocprim17ROCPRIM_400000_NS6detail17trampoline_kernelINS0_14default_configENS1_25partition_config_selectorILNS1_17partition_subalgoE6EdNS0_10empty_typeEbEEZZNS1_14partition_implILS5_6ELb0ES3_mN6thrust23THRUST_200600_302600_NS6detail15normal_iteratorINSA_10device_ptrIdEEEEPS6_SG_NS0_5tupleIJSF_S6_EEENSH_IJSG_SG_EEES6_PlJNSB_9not_fun_tI7is_trueIdEEEEEE10hipError_tPvRmT3_T4_T5_T6_T7_T9_mT8_P12ihipStream_tbDpT10_ENKUlT_T0_E_clISt17integral_constantIbLb0EES18_EEDaS13_S14_EUlS13_E_NS1_11comp_targetILNS1_3genE10ELNS1_11target_archE1200ELNS1_3gpuE4ELNS1_3repE0EEENS1_30default_config_static_selectorELNS0_4arch9wavefront6targetE0EEEvT1_.uses_vcc, 1
	.set _ZN7rocprim17ROCPRIM_400000_NS6detail17trampoline_kernelINS0_14default_configENS1_25partition_config_selectorILNS1_17partition_subalgoE6EdNS0_10empty_typeEbEEZZNS1_14partition_implILS5_6ELb0ES3_mN6thrust23THRUST_200600_302600_NS6detail15normal_iteratorINSA_10device_ptrIdEEEEPS6_SG_NS0_5tupleIJSF_S6_EEENSH_IJSG_SG_EEES6_PlJNSB_9not_fun_tI7is_trueIdEEEEEE10hipError_tPvRmT3_T4_T5_T6_T7_T9_mT8_P12ihipStream_tbDpT10_ENKUlT_T0_E_clISt17integral_constantIbLb0EES18_EEDaS13_S14_EUlS13_E_NS1_11comp_targetILNS1_3genE10ELNS1_11target_archE1200ELNS1_3gpuE4ELNS1_3repE0EEENS1_30default_config_static_selectorELNS0_4arch9wavefront6targetE0EEEvT1_.uses_flat_scratch, 1
	.set _ZN7rocprim17ROCPRIM_400000_NS6detail17trampoline_kernelINS0_14default_configENS1_25partition_config_selectorILNS1_17partition_subalgoE6EdNS0_10empty_typeEbEEZZNS1_14partition_implILS5_6ELb0ES3_mN6thrust23THRUST_200600_302600_NS6detail15normal_iteratorINSA_10device_ptrIdEEEEPS6_SG_NS0_5tupleIJSF_S6_EEENSH_IJSG_SG_EEES6_PlJNSB_9not_fun_tI7is_trueIdEEEEEE10hipError_tPvRmT3_T4_T5_T6_T7_T9_mT8_P12ihipStream_tbDpT10_ENKUlT_T0_E_clISt17integral_constantIbLb0EES18_EEDaS13_S14_EUlS13_E_NS1_11comp_targetILNS1_3genE10ELNS1_11target_archE1200ELNS1_3gpuE4ELNS1_3repE0EEENS1_30default_config_static_selectorELNS0_4arch9wavefront6targetE0EEEvT1_.has_dyn_sized_stack, 0
	.set _ZN7rocprim17ROCPRIM_400000_NS6detail17trampoline_kernelINS0_14default_configENS1_25partition_config_selectorILNS1_17partition_subalgoE6EdNS0_10empty_typeEbEEZZNS1_14partition_implILS5_6ELb0ES3_mN6thrust23THRUST_200600_302600_NS6detail15normal_iteratorINSA_10device_ptrIdEEEEPS6_SG_NS0_5tupleIJSF_S6_EEENSH_IJSG_SG_EEES6_PlJNSB_9not_fun_tI7is_trueIdEEEEEE10hipError_tPvRmT3_T4_T5_T6_T7_T9_mT8_P12ihipStream_tbDpT10_ENKUlT_T0_E_clISt17integral_constantIbLb0EES18_EEDaS13_S14_EUlS13_E_NS1_11comp_targetILNS1_3genE10ELNS1_11target_archE1200ELNS1_3gpuE4ELNS1_3repE0EEENS1_30default_config_static_selectorELNS0_4arch9wavefront6targetE0EEEvT1_.has_recursion, 0
	.set _ZN7rocprim17ROCPRIM_400000_NS6detail17trampoline_kernelINS0_14default_configENS1_25partition_config_selectorILNS1_17partition_subalgoE6EdNS0_10empty_typeEbEEZZNS1_14partition_implILS5_6ELb0ES3_mN6thrust23THRUST_200600_302600_NS6detail15normal_iteratorINSA_10device_ptrIdEEEEPS6_SG_NS0_5tupleIJSF_S6_EEENSH_IJSG_SG_EEES6_PlJNSB_9not_fun_tI7is_trueIdEEEEEE10hipError_tPvRmT3_T4_T5_T6_T7_T9_mT8_P12ihipStream_tbDpT10_ENKUlT_T0_E_clISt17integral_constantIbLb0EES18_EEDaS13_S14_EUlS13_E_NS1_11comp_targetILNS1_3genE10ELNS1_11target_archE1200ELNS1_3gpuE4ELNS1_3repE0EEENS1_30default_config_static_selectorELNS0_4arch9wavefront6targetE0EEEvT1_.has_indirect_call, 0
	.section	.AMDGPU.csdata,"",@progbits
; Kernel info:
; codeLenInByte = 6352
; TotalNumSgprs: 24
; NumVgprs: 46
; ScratchSize: 0
; MemoryBound: 0
; FloatMode: 240
; IeeeMode: 1
; LDSByteSize: 8464 bytes/workgroup (compile time only)
; SGPRBlocks: 0
; VGPRBlocks: 5
; NumSGPRsForWavesPerEU: 24
; NumVGPRsForWavesPerEU: 46
; Occupancy: 16
; WaveLimiterHint : 1
; COMPUTE_PGM_RSRC2:SCRATCH_EN: 0
; COMPUTE_PGM_RSRC2:USER_SGPR: 2
; COMPUTE_PGM_RSRC2:TRAP_HANDLER: 0
; COMPUTE_PGM_RSRC2:TGID_X_EN: 1
; COMPUTE_PGM_RSRC2:TGID_Y_EN: 0
; COMPUTE_PGM_RSRC2:TGID_Z_EN: 0
; COMPUTE_PGM_RSRC2:TIDIG_COMP_CNT: 0
	.section	.text._ZN7rocprim17ROCPRIM_400000_NS6detail17trampoline_kernelINS0_14default_configENS1_25partition_config_selectorILNS1_17partition_subalgoE6EdNS0_10empty_typeEbEEZZNS1_14partition_implILS5_6ELb0ES3_mN6thrust23THRUST_200600_302600_NS6detail15normal_iteratorINSA_10device_ptrIdEEEEPS6_SG_NS0_5tupleIJSF_S6_EEENSH_IJSG_SG_EEES6_PlJNSB_9not_fun_tI7is_trueIdEEEEEE10hipError_tPvRmT3_T4_T5_T6_T7_T9_mT8_P12ihipStream_tbDpT10_ENKUlT_T0_E_clISt17integral_constantIbLb0EES18_EEDaS13_S14_EUlS13_E_NS1_11comp_targetILNS1_3genE9ELNS1_11target_archE1100ELNS1_3gpuE3ELNS1_3repE0EEENS1_30default_config_static_selectorELNS0_4arch9wavefront6targetE0EEEvT1_,"axG",@progbits,_ZN7rocprim17ROCPRIM_400000_NS6detail17trampoline_kernelINS0_14default_configENS1_25partition_config_selectorILNS1_17partition_subalgoE6EdNS0_10empty_typeEbEEZZNS1_14partition_implILS5_6ELb0ES3_mN6thrust23THRUST_200600_302600_NS6detail15normal_iteratorINSA_10device_ptrIdEEEEPS6_SG_NS0_5tupleIJSF_S6_EEENSH_IJSG_SG_EEES6_PlJNSB_9not_fun_tI7is_trueIdEEEEEE10hipError_tPvRmT3_T4_T5_T6_T7_T9_mT8_P12ihipStream_tbDpT10_ENKUlT_T0_E_clISt17integral_constantIbLb0EES18_EEDaS13_S14_EUlS13_E_NS1_11comp_targetILNS1_3genE9ELNS1_11target_archE1100ELNS1_3gpuE3ELNS1_3repE0EEENS1_30default_config_static_selectorELNS0_4arch9wavefront6targetE0EEEvT1_,comdat
	.protected	_ZN7rocprim17ROCPRIM_400000_NS6detail17trampoline_kernelINS0_14default_configENS1_25partition_config_selectorILNS1_17partition_subalgoE6EdNS0_10empty_typeEbEEZZNS1_14partition_implILS5_6ELb0ES3_mN6thrust23THRUST_200600_302600_NS6detail15normal_iteratorINSA_10device_ptrIdEEEEPS6_SG_NS0_5tupleIJSF_S6_EEENSH_IJSG_SG_EEES6_PlJNSB_9not_fun_tI7is_trueIdEEEEEE10hipError_tPvRmT3_T4_T5_T6_T7_T9_mT8_P12ihipStream_tbDpT10_ENKUlT_T0_E_clISt17integral_constantIbLb0EES18_EEDaS13_S14_EUlS13_E_NS1_11comp_targetILNS1_3genE9ELNS1_11target_archE1100ELNS1_3gpuE3ELNS1_3repE0EEENS1_30default_config_static_selectorELNS0_4arch9wavefront6targetE0EEEvT1_ ; -- Begin function _ZN7rocprim17ROCPRIM_400000_NS6detail17trampoline_kernelINS0_14default_configENS1_25partition_config_selectorILNS1_17partition_subalgoE6EdNS0_10empty_typeEbEEZZNS1_14partition_implILS5_6ELb0ES3_mN6thrust23THRUST_200600_302600_NS6detail15normal_iteratorINSA_10device_ptrIdEEEEPS6_SG_NS0_5tupleIJSF_S6_EEENSH_IJSG_SG_EEES6_PlJNSB_9not_fun_tI7is_trueIdEEEEEE10hipError_tPvRmT3_T4_T5_T6_T7_T9_mT8_P12ihipStream_tbDpT10_ENKUlT_T0_E_clISt17integral_constantIbLb0EES18_EEDaS13_S14_EUlS13_E_NS1_11comp_targetILNS1_3genE9ELNS1_11target_archE1100ELNS1_3gpuE3ELNS1_3repE0EEENS1_30default_config_static_selectorELNS0_4arch9wavefront6targetE0EEEvT1_
	.globl	_ZN7rocprim17ROCPRIM_400000_NS6detail17trampoline_kernelINS0_14default_configENS1_25partition_config_selectorILNS1_17partition_subalgoE6EdNS0_10empty_typeEbEEZZNS1_14partition_implILS5_6ELb0ES3_mN6thrust23THRUST_200600_302600_NS6detail15normal_iteratorINSA_10device_ptrIdEEEEPS6_SG_NS0_5tupleIJSF_S6_EEENSH_IJSG_SG_EEES6_PlJNSB_9not_fun_tI7is_trueIdEEEEEE10hipError_tPvRmT3_T4_T5_T6_T7_T9_mT8_P12ihipStream_tbDpT10_ENKUlT_T0_E_clISt17integral_constantIbLb0EES18_EEDaS13_S14_EUlS13_E_NS1_11comp_targetILNS1_3genE9ELNS1_11target_archE1100ELNS1_3gpuE3ELNS1_3repE0EEENS1_30default_config_static_selectorELNS0_4arch9wavefront6targetE0EEEvT1_
	.p2align	8
	.type	_ZN7rocprim17ROCPRIM_400000_NS6detail17trampoline_kernelINS0_14default_configENS1_25partition_config_selectorILNS1_17partition_subalgoE6EdNS0_10empty_typeEbEEZZNS1_14partition_implILS5_6ELb0ES3_mN6thrust23THRUST_200600_302600_NS6detail15normal_iteratorINSA_10device_ptrIdEEEEPS6_SG_NS0_5tupleIJSF_S6_EEENSH_IJSG_SG_EEES6_PlJNSB_9not_fun_tI7is_trueIdEEEEEE10hipError_tPvRmT3_T4_T5_T6_T7_T9_mT8_P12ihipStream_tbDpT10_ENKUlT_T0_E_clISt17integral_constantIbLb0EES18_EEDaS13_S14_EUlS13_E_NS1_11comp_targetILNS1_3genE9ELNS1_11target_archE1100ELNS1_3gpuE3ELNS1_3repE0EEENS1_30default_config_static_selectorELNS0_4arch9wavefront6targetE0EEEvT1_,@function
_ZN7rocprim17ROCPRIM_400000_NS6detail17trampoline_kernelINS0_14default_configENS1_25partition_config_selectorILNS1_17partition_subalgoE6EdNS0_10empty_typeEbEEZZNS1_14partition_implILS5_6ELb0ES3_mN6thrust23THRUST_200600_302600_NS6detail15normal_iteratorINSA_10device_ptrIdEEEEPS6_SG_NS0_5tupleIJSF_S6_EEENSH_IJSG_SG_EEES6_PlJNSB_9not_fun_tI7is_trueIdEEEEEE10hipError_tPvRmT3_T4_T5_T6_T7_T9_mT8_P12ihipStream_tbDpT10_ENKUlT_T0_E_clISt17integral_constantIbLb0EES18_EEDaS13_S14_EUlS13_E_NS1_11comp_targetILNS1_3genE9ELNS1_11target_archE1100ELNS1_3gpuE3ELNS1_3repE0EEENS1_30default_config_static_selectorELNS0_4arch9wavefront6targetE0EEEvT1_: ; @_ZN7rocprim17ROCPRIM_400000_NS6detail17trampoline_kernelINS0_14default_configENS1_25partition_config_selectorILNS1_17partition_subalgoE6EdNS0_10empty_typeEbEEZZNS1_14partition_implILS5_6ELb0ES3_mN6thrust23THRUST_200600_302600_NS6detail15normal_iteratorINSA_10device_ptrIdEEEEPS6_SG_NS0_5tupleIJSF_S6_EEENSH_IJSG_SG_EEES6_PlJNSB_9not_fun_tI7is_trueIdEEEEEE10hipError_tPvRmT3_T4_T5_T6_T7_T9_mT8_P12ihipStream_tbDpT10_ENKUlT_T0_E_clISt17integral_constantIbLb0EES18_EEDaS13_S14_EUlS13_E_NS1_11comp_targetILNS1_3genE9ELNS1_11target_archE1100ELNS1_3gpuE3ELNS1_3repE0EEENS1_30default_config_static_selectorELNS0_4arch9wavefront6targetE0EEEvT1_
; %bb.0:
	.section	.rodata,"a",@progbits
	.p2align	6, 0x0
	.amdhsa_kernel _ZN7rocprim17ROCPRIM_400000_NS6detail17trampoline_kernelINS0_14default_configENS1_25partition_config_selectorILNS1_17partition_subalgoE6EdNS0_10empty_typeEbEEZZNS1_14partition_implILS5_6ELb0ES3_mN6thrust23THRUST_200600_302600_NS6detail15normal_iteratorINSA_10device_ptrIdEEEEPS6_SG_NS0_5tupleIJSF_S6_EEENSH_IJSG_SG_EEES6_PlJNSB_9not_fun_tI7is_trueIdEEEEEE10hipError_tPvRmT3_T4_T5_T6_T7_T9_mT8_P12ihipStream_tbDpT10_ENKUlT_T0_E_clISt17integral_constantIbLb0EES18_EEDaS13_S14_EUlS13_E_NS1_11comp_targetILNS1_3genE9ELNS1_11target_archE1100ELNS1_3gpuE3ELNS1_3repE0EEENS1_30default_config_static_selectorELNS0_4arch9wavefront6targetE0EEEvT1_
		.amdhsa_group_segment_fixed_size 0
		.amdhsa_private_segment_fixed_size 0
		.amdhsa_kernarg_size 112
		.amdhsa_user_sgpr_count 2
		.amdhsa_user_sgpr_dispatch_ptr 0
		.amdhsa_user_sgpr_queue_ptr 0
		.amdhsa_user_sgpr_kernarg_segment_ptr 1
		.amdhsa_user_sgpr_dispatch_id 0
		.amdhsa_user_sgpr_private_segment_size 0
		.amdhsa_wavefront_size32 1
		.amdhsa_uses_dynamic_stack 0
		.amdhsa_enable_private_segment 0
		.amdhsa_system_sgpr_workgroup_id_x 1
		.amdhsa_system_sgpr_workgroup_id_y 0
		.amdhsa_system_sgpr_workgroup_id_z 0
		.amdhsa_system_sgpr_workgroup_info 0
		.amdhsa_system_vgpr_workitem_id 0
		.amdhsa_next_free_vgpr 1
		.amdhsa_next_free_sgpr 1
		.amdhsa_reserve_vcc 0
		.amdhsa_float_round_mode_32 0
		.amdhsa_float_round_mode_16_64 0
		.amdhsa_float_denorm_mode_32 3
		.amdhsa_float_denorm_mode_16_64 3
		.amdhsa_fp16_overflow 0
		.amdhsa_workgroup_processor_mode 1
		.amdhsa_memory_ordered 1
		.amdhsa_forward_progress 1
		.amdhsa_inst_pref_size 0
		.amdhsa_round_robin_scheduling 0
		.amdhsa_exception_fp_ieee_invalid_op 0
		.amdhsa_exception_fp_denorm_src 0
		.amdhsa_exception_fp_ieee_div_zero 0
		.amdhsa_exception_fp_ieee_overflow 0
		.amdhsa_exception_fp_ieee_underflow 0
		.amdhsa_exception_fp_ieee_inexact 0
		.amdhsa_exception_int_div_zero 0
	.end_amdhsa_kernel
	.section	.text._ZN7rocprim17ROCPRIM_400000_NS6detail17trampoline_kernelINS0_14default_configENS1_25partition_config_selectorILNS1_17partition_subalgoE6EdNS0_10empty_typeEbEEZZNS1_14partition_implILS5_6ELb0ES3_mN6thrust23THRUST_200600_302600_NS6detail15normal_iteratorINSA_10device_ptrIdEEEEPS6_SG_NS0_5tupleIJSF_S6_EEENSH_IJSG_SG_EEES6_PlJNSB_9not_fun_tI7is_trueIdEEEEEE10hipError_tPvRmT3_T4_T5_T6_T7_T9_mT8_P12ihipStream_tbDpT10_ENKUlT_T0_E_clISt17integral_constantIbLb0EES18_EEDaS13_S14_EUlS13_E_NS1_11comp_targetILNS1_3genE9ELNS1_11target_archE1100ELNS1_3gpuE3ELNS1_3repE0EEENS1_30default_config_static_selectorELNS0_4arch9wavefront6targetE0EEEvT1_,"axG",@progbits,_ZN7rocprim17ROCPRIM_400000_NS6detail17trampoline_kernelINS0_14default_configENS1_25partition_config_selectorILNS1_17partition_subalgoE6EdNS0_10empty_typeEbEEZZNS1_14partition_implILS5_6ELb0ES3_mN6thrust23THRUST_200600_302600_NS6detail15normal_iteratorINSA_10device_ptrIdEEEEPS6_SG_NS0_5tupleIJSF_S6_EEENSH_IJSG_SG_EEES6_PlJNSB_9not_fun_tI7is_trueIdEEEEEE10hipError_tPvRmT3_T4_T5_T6_T7_T9_mT8_P12ihipStream_tbDpT10_ENKUlT_T0_E_clISt17integral_constantIbLb0EES18_EEDaS13_S14_EUlS13_E_NS1_11comp_targetILNS1_3genE9ELNS1_11target_archE1100ELNS1_3gpuE3ELNS1_3repE0EEENS1_30default_config_static_selectorELNS0_4arch9wavefront6targetE0EEEvT1_,comdat
.Lfunc_end1051:
	.size	_ZN7rocprim17ROCPRIM_400000_NS6detail17trampoline_kernelINS0_14default_configENS1_25partition_config_selectorILNS1_17partition_subalgoE6EdNS0_10empty_typeEbEEZZNS1_14partition_implILS5_6ELb0ES3_mN6thrust23THRUST_200600_302600_NS6detail15normal_iteratorINSA_10device_ptrIdEEEEPS6_SG_NS0_5tupleIJSF_S6_EEENSH_IJSG_SG_EEES6_PlJNSB_9not_fun_tI7is_trueIdEEEEEE10hipError_tPvRmT3_T4_T5_T6_T7_T9_mT8_P12ihipStream_tbDpT10_ENKUlT_T0_E_clISt17integral_constantIbLb0EES18_EEDaS13_S14_EUlS13_E_NS1_11comp_targetILNS1_3genE9ELNS1_11target_archE1100ELNS1_3gpuE3ELNS1_3repE0EEENS1_30default_config_static_selectorELNS0_4arch9wavefront6targetE0EEEvT1_, .Lfunc_end1051-_ZN7rocprim17ROCPRIM_400000_NS6detail17trampoline_kernelINS0_14default_configENS1_25partition_config_selectorILNS1_17partition_subalgoE6EdNS0_10empty_typeEbEEZZNS1_14partition_implILS5_6ELb0ES3_mN6thrust23THRUST_200600_302600_NS6detail15normal_iteratorINSA_10device_ptrIdEEEEPS6_SG_NS0_5tupleIJSF_S6_EEENSH_IJSG_SG_EEES6_PlJNSB_9not_fun_tI7is_trueIdEEEEEE10hipError_tPvRmT3_T4_T5_T6_T7_T9_mT8_P12ihipStream_tbDpT10_ENKUlT_T0_E_clISt17integral_constantIbLb0EES18_EEDaS13_S14_EUlS13_E_NS1_11comp_targetILNS1_3genE9ELNS1_11target_archE1100ELNS1_3gpuE3ELNS1_3repE0EEENS1_30default_config_static_selectorELNS0_4arch9wavefront6targetE0EEEvT1_
                                        ; -- End function
	.set _ZN7rocprim17ROCPRIM_400000_NS6detail17trampoline_kernelINS0_14default_configENS1_25partition_config_selectorILNS1_17partition_subalgoE6EdNS0_10empty_typeEbEEZZNS1_14partition_implILS5_6ELb0ES3_mN6thrust23THRUST_200600_302600_NS6detail15normal_iteratorINSA_10device_ptrIdEEEEPS6_SG_NS0_5tupleIJSF_S6_EEENSH_IJSG_SG_EEES6_PlJNSB_9not_fun_tI7is_trueIdEEEEEE10hipError_tPvRmT3_T4_T5_T6_T7_T9_mT8_P12ihipStream_tbDpT10_ENKUlT_T0_E_clISt17integral_constantIbLb0EES18_EEDaS13_S14_EUlS13_E_NS1_11comp_targetILNS1_3genE9ELNS1_11target_archE1100ELNS1_3gpuE3ELNS1_3repE0EEENS1_30default_config_static_selectorELNS0_4arch9wavefront6targetE0EEEvT1_.num_vgpr, 0
	.set _ZN7rocprim17ROCPRIM_400000_NS6detail17trampoline_kernelINS0_14default_configENS1_25partition_config_selectorILNS1_17partition_subalgoE6EdNS0_10empty_typeEbEEZZNS1_14partition_implILS5_6ELb0ES3_mN6thrust23THRUST_200600_302600_NS6detail15normal_iteratorINSA_10device_ptrIdEEEEPS6_SG_NS0_5tupleIJSF_S6_EEENSH_IJSG_SG_EEES6_PlJNSB_9not_fun_tI7is_trueIdEEEEEE10hipError_tPvRmT3_T4_T5_T6_T7_T9_mT8_P12ihipStream_tbDpT10_ENKUlT_T0_E_clISt17integral_constantIbLb0EES18_EEDaS13_S14_EUlS13_E_NS1_11comp_targetILNS1_3genE9ELNS1_11target_archE1100ELNS1_3gpuE3ELNS1_3repE0EEENS1_30default_config_static_selectorELNS0_4arch9wavefront6targetE0EEEvT1_.num_agpr, 0
	.set _ZN7rocprim17ROCPRIM_400000_NS6detail17trampoline_kernelINS0_14default_configENS1_25partition_config_selectorILNS1_17partition_subalgoE6EdNS0_10empty_typeEbEEZZNS1_14partition_implILS5_6ELb0ES3_mN6thrust23THRUST_200600_302600_NS6detail15normal_iteratorINSA_10device_ptrIdEEEEPS6_SG_NS0_5tupleIJSF_S6_EEENSH_IJSG_SG_EEES6_PlJNSB_9not_fun_tI7is_trueIdEEEEEE10hipError_tPvRmT3_T4_T5_T6_T7_T9_mT8_P12ihipStream_tbDpT10_ENKUlT_T0_E_clISt17integral_constantIbLb0EES18_EEDaS13_S14_EUlS13_E_NS1_11comp_targetILNS1_3genE9ELNS1_11target_archE1100ELNS1_3gpuE3ELNS1_3repE0EEENS1_30default_config_static_selectorELNS0_4arch9wavefront6targetE0EEEvT1_.numbered_sgpr, 0
	.set _ZN7rocprim17ROCPRIM_400000_NS6detail17trampoline_kernelINS0_14default_configENS1_25partition_config_selectorILNS1_17partition_subalgoE6EdNS0_10empty_typeEbEEZZNS1_14partition_implILS5_6ELb0ES3_mN6thrust23THRUST_200600_302600_NS6detail15normal_iteratorINSA_10device_ptrIdEEEEPS6_SG_NS0_5tupleIJSF_S6_EEENSH_IJSG_SG_EEES6_PlJNSB_9not_fun_tI7is_trueIdEEEEEE10hipError_tPvRmT3_T4_T5_T6_T7_T9_mT8_P12ihipStream_tbDpT10_ENKUlT_T0_E_clISt17integral_constantIbLb0EES18_EEDaS13_S14_EUlS13_E_NS1_11comp_targetILNS1_3genE9ELNS1_11target_archE1100ELNS1_3gpuE3ELNS1_3repE0EEENS1_30default_config_static_selectorELNS0_4arch9wavefront6targetE0EEEvT1_.num_named_barrier, 0
	.set _ZN7rocprim17ROCPRIM_400000_NS6detail17trampoline_kernelINS0_14default_configENS1_25partition_config_selectorILNS1_17partition_subalgoE6EdNS0_10empty_typeEbEEZZNS1_14partition_implILS5_6ELb0ES3_mN6thrust23THRUST_200600_302600_NS6detail15normal_iteratorINSA_10device_ptrIdEEEEPS6_SG_NS0_5tupleIJSF_S6_EEENSH_IJSG_SG_EEES6_PlJNSB_9not_fun_tI7is_trueIdEEEEEE10hipError_tPvRmT3_T4_T5_T6_T7_T9_mT8_P12ihipStream_tbDpT10_ENKUlT_T0_E_clISt17integral_constantIbLb0EES18_EEDaS13_S14_EUlS13_E_NS1_11comp_targetILNS1_3genE9ELNS1_11target_archE1100ELNS1_3gpuE3ELNS1_3repE0EEENS1_30default_config_static_selectorELNS0_4arch9wavefront6targetE0EEEvT1_.private_seg_size, 0
	.set _ZN7rocprim17ROCPRIM_400000_NS6detail17trampoline_kernelINS0_14default_configENS1_25partition_config_selectorILNS1_17partition_subalgoE6EdNS0_10empty_typeEbEEZZNS1_14partition_implILS5_6ELb0ES3_mN6thrust23THRUST_200600_302600_NS6detail15normal_iteratorINSA_10device_ptrIdEEEEPS6_SG_NS0_5tupleIJSF_S6_EEENSH_IJSG_SG_EEES6_PlJNSB_9not_fun_tI7is_trueIdEEEEEE10hipError_tPvRmT3_T4_T5_T6_T7_T9_mT8_P12ihipStream_tbDpT10_ENKUlT_T0_E_clISt17integral_constantIbLb0EES18_EEDaS13_S14_EUlS13_E_NS1_11comp_targetILNS1_3genE9ELNS1_11target_archE1100ELNS1_3gpuE3ELNS1_3repE0EEENS1_30default_config_static_selectorELNS0_4arch9wavefront6targetE0EEEvT1_.uses_vcc, 0
	.set _ZN7rocprim17ROCPRIM_400000_NS6detail17trampoline_kernelINS0_14default_configENS1_25partition_config_selectorILNS1_17partition_subalgoE6EdNS0_10empty_typeEbEEZZNS1_14partition_implILS5_6ELb0ES3_mN6thrust23THRUST_200600_302600_NS6detail15normal_iteratorINSA_10device_ptrIdEEEEPS6_SG_NS0_5tupleIJSF_S6_EEENSH_IJSG_SG_EEES6_PlJNSB_9not_fun_tI7is_trueIdEEEEEE10hipError_tPvRmT3_T4_T5_T6_T7_T9_mT8_P12ihipStream_tbDpT10_ENKUlT_T0_E_clISt17integral_constantIbLb0EES18_EEDaS13_S14_EUlS13_E_NS1_11comp_targetILNS1_3genE9ELNS1_11target_archE1100ELNS1_3gpuE3ELNS1_3repE0EEENS1_30default_config_static_selectorELNS0_4arch9wavefront6targetE0EEEvT1_.uses_flat_scratch, 0
	.set _ZN7rocprim17ROCPRIM_400000_NS6detail17trampoline_kernelINS0_14default_configENS1_25partition_config_selectorILNS1_17partition_subalgoE6EdNS0_10empty_typeEbEEZZNS1_14partition_implILS5_6ELb0ES3_mN6thrust23THRUST_200600_302600_NS6detail15normal_iteratorINSA_10device_ptrIdEEEEPS6_SG_NS0_5tupleIJSF_S6_EEENSH_IJSG_SG_EEES6_PlJNSB_9not_fun_tI7is_trueIdEEEEEE10hipError_tPvRmT3_T4_T5_T6_T7_T9_mT8_P12ihipStream_tbDpT10_ENKUlT_T0_E_clISt17integral_constantIbLb0EES18_EEDaS13_S14_EUlS13_E_NS1_11comp_targetILNS1_3genE9ELNS1_11target_archE1100ELNS1_3gpuE3ELNS1_3repE0EEENS1_30default_config_static_selectorELNS0_4arch9wavefront6targetE0EEEvT1_.has_dyn_sized_stack, 0
	.set _ZN7rocprim17ROCPRIM_400000_NS6detail17trampoline_kernelINS0_14default_configENS1_25partition_config_selectorILNS1_17partition_subalgoE6EdNS0_10empty_typeEbEEZZNS1_14partition_implILS5_6ELb0ES3_mN6thrust23THRUST_200600_302600_NS6detail15normal_iteratorINSA_10device_ptrIdEEEEPS6_SG_NS0_5tupleIJSF_S6_EEENSH_IJSG_SG_EEES6_PlJNSB_9not_fun_tI7is_trueIdEEEEEE10hipError_tPvRmT3_T4_T5_T6_T7_T9_mT8_P12ihipStream_tbDpT10_ENKUlT_T0_E_clISt17integral_constantIbLb0EES18_EEDaS13_S14_EUlS13_E_NS1_11comp_targetILNS1_3genE9ELNS1_11target_archE1100ELNS1_3gpuE3ELNS1_3repE0EEENS1_30default_config_static_selectorELNS0_4arch9wavefront6targetE0EEEvT1_.has_recursion, 0
	.set _ZN7rocprim17ROCPRIM_400000_NS6detail17trampoline_kernelINS0_14default_configENS1_25partition_config_selectorILNS1_17partition_subalgoE6EdNS0_10empty_typeEbEEZZNS1_14partition_implILS5_6ELb0ES3_mN6thrust23THRUST_200600_302600_NS6detail15normal_iteratorINSA_10device_ptrIdEEEEPS6_SG_NS0_5tupleIJSF_S6_EEENSH_IJSG_SG_EEES6_PlJNSB_9not_fun_tI7is_trueIdEEEEEE10hipError_tPvRmT3_T4_T5_T6_T7_T9_mT8_P12ihipStream_tbDpT10_ENKUlT_T0_E_clISt17integral_constantIbLb0EES18_EEDaS13_S14_EUlS13_E_NS1_11comp_targetILNS1_3genE9ELNS1_11target_archE1100ELNS1_3gpuE3ELNS1_3repE0EEENS1_30default_config_static_selectorELNS0_4arch9wavefront6targetE0EEEvT1_.has_indirect_call, 0
	.section	.AMDGPU.csdata,"",@progbits
; Kernel info:
; codeLenInByte = 0
; TotalNumSgprs: 0
; NumVgprs: 0
; ScratchSize: 0
; MemoryBound: 0
; FloatMode: 240
; IeeeMode: 1
; LDSByteSize: 0 bytes/workgroup (compile time only)
; SGPRBlocks: 0
; VGPRBlocks: 0
; NumSGPRsForWavesPerEU: 1
; NumVGPRsForWavesPerEU: 1
; Occupancy: 16
; WaveLimiterHint : 0
; COMPUTE_PGM_RSRC2:SCRATCH_EN: 0
; COMPUTE_PGM_RSRC2:USER_SGPR: 2
; COMPUTE_PGM_RSRC2:TRAP_HANDLER: 0
; COMPUTE_PGM_RSRC2:TGID_X_EN: 1
; COMPUTE_PGM_RSRC2:TGID_Y_EN: 0
; COMPUTE_PGM_RSRC2:TGID_Z_EN: 0
; COMPUTE_PGM_RSRC2:TIDIG_COMP_CNT: 0
	.section	.text._ZN7rocprim17ROCPRIM_400000_NS6detail17trampoline_kernelINS0_14default_configENS1_25partition_config_selectorILNS1_17partition_subalgoE6EdNS0_10empty_typeEbEEZZNS1_14partition_implILS5_6ELb0ES3_mN6thrust23THRUST_200600_302600_NS6detail15normal_iteratorINSA_10device_ptrIdEEEEPS6_SG_NS0_5tupleIJSF_S6_EEENSH_IJSG_SG_EEES6_PlJNSB_9not_fun_tI7is_trueIdEEEEEE10hipError_tPvRmT3_T4_T5_T6_T7_T9_mT8_P12ihipStream_tbDpT10_ENKUlT_T0_E_clISt17integral_constantIbLb0EES18_EEDaS13_S14_EUlS13_E_NS1_11comp_targetILNS1_3genE8ELNS1_11target_archE1030ELNS1_3gpuE2ELNS1_3repE0EEENS1_30default_config_static_selectorELNS0_4arch9wavefront6targetE0EEEvT1_,"axG",@progbits,_ZN7rocprim17ROCPRIM_400000_NS6detail17trampoline_kernelINS0_14default_configENS1_25partition_config_selectorILNS1_17partition_subalgoE6EdNS0_10empty_typeEbEEZZNS1_14partition_implILS5_6ELb0ES3_mN6thrust23THRUST_200600_302600_NS6detail15normal_iteratorINSA_10device_ptrIdEEEEPS6_SG_NS0_5tupleIJSF_S6_EEENSH_IJSG_SG_EEES6_PlJNSB_9not_fun_tI7is_trueIdEEEEEE10hipError_tPvRmT3_T4_T5_T6_T7_T9_mT8_P12ihipStream_tbDpT10_ENKUlT_T0_E_clISt17integral_constantIbLb0EES18_EEDaS13_S14_EUlS13_E_NS1_11comp_targetILNS1_3genE8ELNS1_11target_archE1030ELNS1_3gpuE2ELNS1_3repE0EEENS1_30default_config_static_selectorELNS0_4arch9wavefront6targetE0EEEvT1_,comdat
	.protected	_ZN7rocprim17ROCPRIM_400000_NS6detail17trampoline_kernelINS0_14default_configENS1_25partition_config_selectorILNS1_17partition_subalgoE6EdNS0_10empty_typeEbEEZZNS1_14partition_implILS5_6ELb0ES3_mN6thrust23THRUST_200600_302600_NS6detail15normal_iteratorINSA_10device_ptrIdEEEEPS6_SG_NS0_5tupleIJSF_S6_EEENSH_IJSG_SG_EEES6_PlJNSB_9not_fun_tI7is_trueIdEEEEEE10hipError_tPvRmT3_T4_T5_T6_T7_T9_mT8_P12ihipStream_tbDpT10_ENKUlT_T0_E_clISt17integral_constantIbLb0EES18_EEDaS13_S14_EUlS13_E_NS1_11comp_targetILNS1_3genE8ELNS1_11target_archE1030ELNS1_3gpuE2ELNS1_3repE0EEENS1_30default_config_static_selectorELNS0_4arch9wavefront6targetE0EEEvT1_ ; -- Begin function _ZN7rocprim17ROCPRIM_400000_NS6detail17trampoline_kernelINS0_14default_configENS1_25partition_config_selectorILNS1_17partition_subalgoE6EdNS0_10empty_typeEbEEZZNS1_14partition_implILS5_6ELb0ES3_mN6thrust23THRUST_200600_302600_NS6detail15normal_iteratorINSA_10device_ptrIdEEEEPS6_SG_NS0_5tupleIJSF_S6_EEENSH_IJSG_SG_EEES6_PlJNSB_9not_fun_tI7is_trueIdEEEEEE10hipError_tPvRmT3_T4_T5_T6_T7_T9_mT8_P12ihipStream_tbDpT10_ENKUlT_T0_E_clISt17integral_constantIbLb0EES18_EEDaS13_S14_EUlS13_E_NS1_11comp_targetILNS1_3genE8ELNS1_11target_archE1030ELNS1_3gpuE2ELNS1_3repE0EEENS1_30default_config_static_selectorELNS0_4arch9wavefront6targetE0EEEvT1_
	.globl	_ZN7rocprim17ROCPRIM_400000_NS6detail17trampoline_kernelINS0_14default_configENS1_25partition_config_selectorILNS1_17partition_subalgoE6EdNS0_10empty_typeEbEEZZNS1_14partition_implILS5_6ELb0ES3_mN6thrust23THRUST_200600_302600_NS6detail15normal_iteratorINSA_10device_ptrIdEEEEPS6_SG_NS0_5tupleIJSF_S6_EEENSH_IJSG_SG_EEES6_PlJNSB_9not_fun_tI7is_trueIdEEEEEE10hipError_tPvRmT3_T4_T5_T6_T7_T9_mT8_P12ihipStream_tbDpT10_ENKUlT_T0_E_clISt17integral_constantIbLb0EES18_EEDaS13_S14_EUlS13_E_NS1_11comp_targetILNS1_3genE8ELNS1_11target_archE1030ELNS1_3gpuE2ELNS1_3repE0EEENS1_30default_config_static_selectorELNS0_4arch9wavefront6targetE0EEEvT1_
	.p2align	8
	.type	_ZN7rocprim17ROCPRIM_400000_NS6detail17trampoline_kernelINS0_14default_configENS1_25partition_config_selectorILNS1_17partition_subalgoE6EdNS0_10empty_typeEbEEZZNS1_14partition_implILS5_6ELb0ES3_mN6thrust23THRUST_200600_302600_NS6detail15normal_iteratorINSA_10device_ptrIdEEEEPS6_SG_NS0_5tupleIJSF_S6_EEENSH_IJSG_SG_EEES6_PlJNSB_9not_fun_tI7is_trueIdEEEEEE10hipError_tPvRmT3_T4_T5_T6_T7_T9_mT8_P12ihipStream_tbDpT10_ENKUlT_T0_E_clISt17integral_constantIbLb0EES18_EEDaS13_S14_EUlS13_E_NS1_11comp_targetILNS1_3genE8ELNS1_11target_archE1030ELNS1_3gpuE2ELNS1_3repE0EEENS1_30default_config_static_selectorELNS0_4arch9wavefront6targetE0EEEvT1_,@function
_ZN7rocprim17ROCPRIM_400000_NS6detail17trampoline_kernelINS0_14default_configENS1_25partition_config_selectorILNS1_17partition_subalgoE6EdNS0_10empty_typeEbEEZZNS1_14partition_implILS5_6ELb0ES3_mN6thrust23THRUST_200600_302600_NS6detail15normal_iteratorINSA_10device_ptrIdEEEEPS6_SG_NS0_5tupleIJSF_S6_EEENSH_IJSG_SG_EEES6_PlJNSB_9not_fun_tI7is_trueIdEEEEEE10hipError_tPvRmT3_T4_T5_T6_T7_T9_mT8_P12ihipStream_tbDpT10_ENKUlT_T0_E_clISt17integral_constantIbLb0EES18_EEDaS13_S14_EUlS13_E_NS1_11comp_targetILNS1_3genE8ELNS1_11target_archE1030ELNS1_3gpuE2ELNS1_3repE0EEENS1_30default_config_static_selectorELNS0_4arch9wavefront6targetE0EEEvT1_: ; @_ZN7rocprim17ROCPRIM_400000_NS6detail17trampoline_kernelINS0_14default_configENS1_25partition_config_selectorILNS1_17partition_subalgoE6EdNS0_10empty_typeEbEEZZNS1_14partition_implILS5_6ELb0ES3_mN6thrust23THRUST_200600_302600_NS6detail15normal_iteratorINSA_10device_ptrIdEEEEPS6_SG_NS0_5tupleIJSF_S6_EEENSH_IJSG_SG_EEES6_PlJNSB_9not_fun_tI7is_trueIdEEEEEE10hipError_tPvRmT3_T4_T5_T6_T7_T9_mT8_P12ihipStream_tbDpT10_ENKUlT_T0_E_clISt17integral_constantIbLb0EES18_EEDaS13_S14_EUlS13_E_NS1_11comp_targetILNS1_3genE8ELNS1_11target_archE1030ELNS1_3gpuE2ELNS1_3repE0EEENS1_30default_config_static_selectorELNS0_4arch9wavefront6targetE0EEEvT1_
; %bb.0:
	.section	.rodata,"a",@progbits
	.p2align	6, 0x0
	.amdhsa_kernel _ZN7rocprim17ROCPRIM_400000_NS6detail17trampoline_kernelINS0_14default_configENS1_25partition_config_selectorILNS1_17partition_subalgoE6EdNS0_10empty_typeEbEEZZNS1_14partition_implILS5_6ELb0ES3_mN6thrust23THRUST_200600_302600_NS6detail15normal_iteratorINSA_10device_ptrIdEEEEPS6_SG_NS0_5tupleIJSF_S6_EEENSH_IJSG_SG_EEES6_PlJNSB_9not_fun_tI7is_trueIdEEEEEE10hipError_tPvRmT3_T4_T5_T6_T7_T9_mT8_P12ihipStream_tbDpT10_ENKUlT_T0_E_clISt17integral_constantIbLb0EES18_EEDaS13_S14_EUlS13_E_NS1_11comp_targetILNS1_3genE8ELNS1_11target_archE1030ELNS1_3gpuE2ELNS1_3repE0EEENS1_30default_config_static_selectorELNS0_4arch9wavefront6targetE0EEEvT1_
		.amdhsa_group_segment_fixed_size 0
		.amdhsa_private_segment_fixed_size 0
		.amdhsa_kernarg_size 112
		.amdhsa_user_sgpr_count 2
		.amdhsa_user_sgpr_dispatch_ptr 0
		.amdhsa_user_sgpr_queue_ptr 0
		.amdhsa_user_sgpr_kernarg_segment_ptr 1
		.amdhsa_user_sgpr_dispatch_id 0
		.amdhsa_user_sgpr_private_segment_size 0
		.amdhsa_wavefront_size32 1
		.amdhsa_uses_dynamic_stack 0
		.amdhsa_enable_private_segment 0
		.amdhsa_system_sgpr_workgroup_id_x 1
		.amdhsa_system_sgpr_workgroup_id_y 0
		.amdhsa_system_sgpr_workgroup_id_z 0
		.amdhsa_system_sgpr_workgroup_info 0
		.amdhsa_system_vgpr_workitem_id 0
		.amdhsa_next_free_vgpr 1
		.amdhsa_next_free_sgpr 1
		.amdhsa_reserve_vcc 0
		.amdhsa_float_round_mode_32 0
		.amdhsa_float_round_mode_16_64 0
		.amdhsa_float_denorm_mode_32 3
		.amdhsa_float_denorm_mode_16_64 3
		.amdhsa_fp16_overflow 0
		.amdhsa_workgroup_processor_mode 1
		.amdhsa_memory_ordered 1
		.amdhsa_forward_progress 1
		.amdhsa_inst_pref_size 0
		.amdhsa_round_robin_scheduling 0
		.amdhsa_exception_fp_ieee_invalid_op 0
		.amdhsa_exception_fp_denorm_src 0
		.amdhsa_exception_fp_ieee_div_zero 0
		.amdhsa_exception_fp_ieee_overflow 0
		.amdhsa_exception_fp_ieee_underflow 0
		.amdhsa_exception_fp_ieee_inexact 0
		.amdhsa_exception_int_div_zero 0
	.end_amdhsa_kernel
	.section	.text._ZN7rocprim17ROCPRIM_400000_NS6detail17trampoline_kernelINS0_14default_configENS1_25partition_config_selectorILNS1_17partition_subalgoE6EdNS0_10empty_typeEbEEZZNS1_14partition_implILS5_6ELb0ES3_mN6thrust23THRUST_200600_302600_NS6detail15normal_iteratorINSA_10device_ptrIdEEEEPS6_SG_NS0_5tupleIJSF_S6_EEENSH_IJSG_SG_EEES6_PlJNSB_9not_fun_tI7is_trueIdEEEEEE10hipError_tPvRmT3_T4_T5_T6_T7_T9_mT8_P12ihipStream_tbDpT10_ENKUlT_T0_E_clISt17integral_constantIbLb0EES18_EEDaS13_S14_EUlS13_E_NS1_11comp_targetILNS1_3genE8ELNS1_11target_archE1030ELNS1_3gpuE2ELNS1_3repE0EEENS1_30default_config_static_selectorELNS0_4arch9wavefront6targetE0EEEvT1_,"axG",@progbits,_ZN7rocprim17ROCPRIM_400000_NS6detail17trampoline_kernelINS0_14default_configENS1_25partition_config_selectorILNS1_17partition_subalgoE6EdNS0_10empty_typeEbEEZZNS1_14partition_implILS5_6ELb0ES3_mN6thrust23THRUST_200600_302600_NS6detail15normal_iteratorINSA_10device_ptrIdEEEEPS6_SG_NS0_5tupleIJSF_S6_EEENSH_IJSG_SG_EEES6_PlJNSB_9not_fun_tI7is_trueIdEEEEEE10hipError_tPvRmT3_T4_T5_T6_T7_T9_mT8_P12ihipStream_tbDpT10_ENKUlT_T0_E_clISt17integral_constantIbLb0EES18_EEDaS13_S14_EUlS13_E_NS1_11comp_targetILNS1_3genE8ELNS1_11target_archE1030ELNS1_3gpuE2ELNS1_3repE0EEENS1_30default_config_static_selectorELNS0_4arch9wavefront6targetE0EEEvT1_,comdat
.Lfunc_end1052:
	.size	_ZN7rocprim17ROCPRIM_400000_NS6detail17trampoline_kernelINS0_14default_configENS1_25partition_config_selectorILNS1_17partition_subalgoE6EdNS0_10empty_typeEbEEZZNS1_14partition_implILS5_6ELb0ES3_mN6thrust23THRUST_200600_302600_NS6detail15normal_iteratorINSA_10device_ptrIdEEEEPS6_SG_NS0_5tupleIJSF_S6_EEENSH_IJSG_SG_EEES6_PlJNSB_9not_fun_tI7is_trueIdEEEEEE10hipError_tPvRmT3_T4_T5_T6_T7_T9_mT8_P12ihipStream_tbDpT10_ENKUlT_T0_E_clISt17integral_constantIbLb0EES18_EEDaS13_S14_EUlS13_E_NS1_11comp_targetILNS1_3genE8ELNS1_11target_archE1030ELNS1_3gpuE2ELNS1_3repE0EEENS1_30default_config_static_selectorELNS0_4arch9wavefront6targetE0EEEvT1_, .Lfunc_end1052-_ZN7rocprim17ROCPRIM_400000_NS6detail17trampoline_kernelINS0_14default_configENS1_25partition_config_selectorILNS1_17partition_subalgoE6EdNS0_10empty_typeEbEEZZNS1_14partition_implILS5_6ELb0ES3_mN6thrust23THRUST_200600_302600_NS6detail15normal_iteratorINSA_10device_ptrIdEEEEPS6_SG_NS0_5tupleIJSF_S6_EEENSH_IJSG_SG_EEES6_PlJNSB_9not_fun_tI7is_trueIdEEEEEE10hipError_tPvRmT3_T4_T5_T6_T7_T9_mT8_P12ihipStream_tbDpT10_ENKUlT_T0_E_clISt17integral_constantIbLb0EES18_EEDaS13_S14_EUlS13_E_NS1_11comp_targetILNS1_3genE8ELNS1_11target_archE1030ELNS1_3gpuE2ELNS1_3repE0EEENS1_30default_config_static_selectorELNS0_4arch9wavefront6targetE0EEEvT1_
                                        ; -- End function
	.set _ZN7rocprim17ROCPRIM_400000_NS6detail17trampoline_kernelINS0_14default_configENS1_25partition_config_selectorILNS1_17partition_subalgoE6EdNS0_10empty_typeEbEEZZNS1_14partition_implILS5_6ELb0ES3_mN6thrust23THRUST_200600_302600_NS6detail15normal_iteratorINSA_10device_ptrIdEEEEPS6_SG_NS0_5tupleIJSF_S6_EEENSH_IJSG_SG_EEES6_PlJNSB_9not_fun_tI7is_trueIdEEEEEE10hipError_tPvRmT3_T4_T5_T6_T7_T9_mT8_P12ihipStream_tbDpT10_ENKUlT_T0_E_clISt17integral_constantIbLb0EES18_EEDaS13_S14_EUlS13_E_NS1_11comp_targetILNS1_3genE8ELNS1_11target_archE1030ELNS1_3gpuE2ELNS1_3repE0EEENS1_30default_config_static_selectorELNS0_4arch9wavefront6targetE0EEEvT1_.num_vgpr, 0
	.set _ZN7rocprim17ROCPRIM_400000_NS6detail17trampoline_kernelINS0_14default_configENS1_25partition_config_selectorILNS1_17partition_subalgoE6EdNS0_10empty_typeEbEEZZNS1_14partition_implILS5_6ELb0ES3_mN6thrust23THRUST_200600_302600_NS6detail15normal_iteratorINSA_10device_ptrIdEEEEPS6_SG_NS0_5tupleIJSF_S6_EEENSH_IJSG_SG_EEES6_PlJNSB_9not_fun_tI7is_trueIdEEEEEE10hipError_tPvRmT3_T4_T5_T6_T7_T9_mT8_P12ihipStream_tbDpT10_ENKUlT_T0_E_clISt17integral_constantIbLb0EES18_EEDaS13_S14_EUlS13_E_NS1_11comp_targetILNS1_3genE8ELNS1_11target_archE1030ELNS1_3gpuE2ELNS1_3repE0EEENS1_30default_config_static_selectorELNS0_4arch9wavefront6targetE0EEEvT1_.num_agpr, 0
	.set _ZN7rocprim17ROCPRIM_400000_NS6detail17trampoline_kernelINS0_14default_configENS1_25partition_config_selectorILNS1_17partition_subalgoE6EdNS0_10empty_typeEbEEZZNS1_14partition_implILS5_6ELb0ES3_mN6thrust23THRUST_200600_302600_NS6detail15normal_iteratorINSA_10device_ptrIdEEEEPS6_SG_NS0_5tupleIJSF_S6_EEENSH_IJSG_SG_EEES6_PlJNSB_9not_fun_tI7is_trueIdEEEEEE10hipError_tPvRmT3_T4_T5_T6_T7_T9_mT8_P12ihipStream_tbDpT10_ENKUlT_T0_E_clISt17integral_constantIbLb0EES18_EEDaS13_S14_EUlS13_E_NS1_11comp_targetILNS1_3genE8ELNS1_11target_archE1030ELNS1_3gpuE2ELNS1_3repE0EEENS1_30default_config_static_selectorELNS0_4arch9wavefront6targetE0EEEvT1_.numbered_sgpr, 0
	.set _ZN7rocprim17ROCPRIM_400000_NS6detail17trampoline_kernelINS0_14default_configENS1_25partition_config_selectorILNS1_17partition_subalgoE6EdNS0_10empty_typeEbEEZZNS1_14partition_implILS5_6ELb0ES3_mN6thrust23THRUST_200600_302600_NS6detail15normal_iteratorINSA_10device_ptrIdEEEEPS6_SG_NS0_5tupleIJSF_S6_EEENSH_IJSG_SG_EEES6_PlJNSB_9not_fun_tI7is_trueIdEEEEEE10hipError_tPvRmT3_T4_T5_T6_T7_T9_mT8_P12ihipStream_tbDpT10_ENKUlT_T0_E_clISt17integral_constantIbLb0EES18_EEDaS13_S14_EUlS13_E_NS1_11comp_targetILNS1_3genE8ELNS1_11target_archE1030ELNS1_3gpuE2ELNS1_3repE0EEENS1_30default_config_static_selectorELNS0_4arch9wavefront6targetE0EEEvT1_.num_named_barrier, 0
	.set _ZN7rocprim17ROCPRIM_400000_NS6detail17trampoline_kernelINS0_14default_configENS1_25partition_config_selectorILNS1_17partition_subalgoE6EdNS0_10empty_typeEbEEZZNS1_14partition_implILS5_6ELb0ES3_mN6thrust23THRUST_200600_302600_NS6detail15normal_iteratorINSA_10device_ptrIdEEEEPS6_SG_NS0_5tupleIJSF_S6_EEENSH_IJSG_SG_EEES6_PlJNSB_9not_fun_tI7is_trueIdEEEEEE10hipError_tPvRmT3_T4_T5_T6_T7_T9_mT8_P12ihipStream_tbDpT10_ENKUlT_T0_E_clISt17integral_constantIbLb0EES18_EEDaS13_S14_EUlS13_E_NS1_11comp_targetILNS1_3genE8ELNS1_11target_archE1030ELNS1_3gpuE2ELNS1_3repE0EEENS1_30default_config_static_selectorELNS0_4arch9wavefront6targetE0EEEvT1_.private_seg_size, 0
	.set _ZN7rocprim17ROCPRIM_400000_NS6detail17trampoline_kernelINS0_14default_configENS1_25partition_config_selectorILNS1_17partition_subalgoE6EdNS0_10empty_typeEbEEZZNS1_14partition_implILS5_6ELb0ES3_mN6thrust23THRUST_200600_302600_NS6detail15normal_iteratorINSA_10device_ptrIdEEEEPS6_SG_NS0_5tupleIJSF_S6_EEENSH_IJSG_SG_EEES6_PlJNSB_9not_fun_tI7is_trueIdEEEEEE10hipError_tPvRmT3_T4_T5_T6_T7_T9_mT8_P12ihipStream_tbDpT10_ENKUlT_T0_E_clISt17integral_constantIbLb0EES18_EEDaS13_S14_EUlS13_E_NS1_11comp_targetILNS1_3genE8ELNS1_11target_archE1030ELNS1_3gpuE2ELNS1_3repE0EEENS1_30default_config_static_selectorELNS0_4arch9wavefront6targetE0EEEvT1_.uses_vcc, 0
	.set _ZN7rocprim17ROCPRIM_400000_NS6detail17trampoline_kernelINS0_14default_configENS1_25partition_config_selectorILNS1_17partition_subalgoE6EdNS0_10empty_typeEbEEZZNS1_14partition_implILS5_6ELb0ES3_mN6thrust23THRUST_200600_302600_NS6detail15normal_iteratorINSA_10device_ptrIdEEEEPS6_SG_NS0_5tupleIJSF_S6_EEENSH_IJSG_SG_EEES6_PlJNSB_9not_fun_tI7is_trueIdEEEEEE10hipError_tPvRmT3_T4_T5_T6_T7_T9_mT8_P12ihipStream_tbDpT10_ENKUlT_T0_E_clISt17integral_constantIbLb0EES18_EEDaS13_S14_EUlS13_E_NS1_11comp_targetILNS1_3genE8ELNS1_11target_archE1030ELNS1_3gpuE2ELNS1_3repE0EEENS1_30default_config_static_selectorELNS0_4arch9wavefront6targetE0EEEvT1_.uses_flat_scratch, 0
	.set _ZN7rocprim17ROCPRIM_400000_NS6detail17trampoline_kernelINS0_14default_configENS1_25partition_config_selectorILNS1_17partition_subalgoE6EdNS0_10empty_typeEbEEZZNS1_14partition_implILS5_6ELb0ES3_mN6thrust23THRUST_200600_302600_NS6detail15normal_iteratorINSA_10device_ptrIdEEEEPS6_SG_NS0_5tupleIJSF_S6_EEENSH_IJSG_SG_EEES6_PlJNSB_9not_fun_tI7is_trueIdEEEEEE10hipError_tPvRmT3_T4_T5_T6_T7_T9_mT8_P12ihipStream_tbDpT10_ENKUlT_T0_E_clISt17integral_constantIbLb0EES18_EEDaS13_S14_EUlS13_E_NS1_11comp_targetILNS1_3genE8ELNS1_11target_archE1030ELNS1_3gpuE2ELNS1_3repE0EEENS1_30default_config_static_selectorELNS0_4arch9wavefront6targetE0EEEvT1_.has_dyn_sized_stack, 0
	.set _ZN7rocprim17ROCPRIM_400000_NS6detail17trampoline_kernelINS0_14default_configENS1_25partition_config_selectorILNS1_17partition_subalgoE6EdNS0_10empty_typeEbEEZZNS1_14partition_implILS5_6ELb0ES3_mN6thrust23THRUST_200600_302600_NS6detail15normal_iteratorINSA_10device_ptrIdEEEEPS6_SG_NS0_5tupleIJSF_S6_EEENSH_IJSG_SG_EEES6_PlJNSB_9not_fun_tI7is_trueIdEEEEEE10hipError_tPvRmT3_T4_T5_T6_T7_T9_mT8_P12ihipStream_tbDpT10_ENKUlT_T0_E_clISt17integral_constantIbLb0EES18_EEDaS13_S14_EUlS13_E_NS1_11comp_targetILNS1_3genE8ELNS1_11target_archE1030ELNS1_3gpuE2ELNS1_3repE0EEENS1_30default_config_static_selectorELNS0_4arch9wavefront6targetE0EEEvT1_.has_recursion, 0
	.set _ZN7rocprim17ROCPRIM_400000_NS6detail17trampoline_kernelINS0_14default_configENS1_25partition_config_selectorILNS1_17partition_subalgoE6EdNS0_10empty_typeEbEEZZNS1_14partition_implILS5_6ELb0ES3_mN6thrust23THRUST_200600_302600_NS6detail15normal_iteratorINSA_10device_ptrIdEEEEPS6_SG_NS0_5tupleIJSF_S6_EEENSH_IJSG_SG_EEES6_PlJNSB_9not_fun_tI7is_trueIdEEEEEE10hipError_tPvRmT3_T4_T5_T6_T7_T9_mT8_P12ihipStream_tbDpT10_ENKUlT_T0_E_clISt17integral_constantIbLb0EES18_EEDaS13_S14_EUlS13_E_NS1_11comp_targetILNS1_3genE8ELNS1_11target_archE1030ELNS1_3gpuE2ELNS1_3repE0EEENS1_30default_config_static_selectorELNS0_4arch9wavefront6targetE0EEEvT1_.has_indirect_call, 0
	.section	.AMDGPU.csdata,"",@progbits
; Kernel info:
; codeLenInByte = 0
; TotalNumSgprs: 0
; NumVgprs: 0
; ScratchSize: 0
; MemoryBound: 0
; FloatMode: 240
; IeeeMode: 1
; LDSByteSize: 0 bytes/workgroup (compile time only)
; SGPRBlocks: 0
; VGPRBlocks: 0
; NumSGPRsForWavesPerEU: 1
; NumVGPRsForWavesPerEU: 1
; Occupancy: 16
; WaveLimiterHint : 0
; COMPUTE_PGM_RSRC2:SCRATCH_EN: 0
; COMPUTE_PGM_RSRC2:USER_SGPR: 2
; COMPUTE_PGM_RSRC2:TRAP_HANDLER: 0
; COMPUTE_PGM_RSRC2:TGID_X_EN: 1
; COMPUTE_PGM_RSRC2:TGID_Y_EN: 0
; COMPUTE_PGM_RSRC2:TGID_Z_EN: 0
; COMPUTE_PGM_RSRC2:TIDIG_COMP_CNT: 0
	.section	.text._ZN7rocprim17ROCPRIM_400000_NS6detail17trampoline_kernelINS0_14default_configENS1_25partition_config_selectorILNS1_17partition_subalgoE6EdNS0_10empty_typeEbEEZZNS1_14partition_implILS5_6ELb0ES3_mN6thrust23THRUST_200600_302600_NS6detail15normal_iteratorINSA_10device_ptrIdEEEEPS6_SG_NS0_5tupleIJSF_S6_EEENSH_IJSG_SG_EEES6_PlJNSB_9not_fun_tI7is_trueIdEEEEEE10hipError_tPvRmT3_T4_T5_T6_T7_T9_mT8_P12ihipStream_tbDpT10_ENKUlT_T0_E_clISt17integral_constantIbLb1EES18_EEDaS13_S14_EUlS13_E_NS1_11comp_targetILNS1_3genE0ELNS1_11target_archE4294967295ELNS1_3gpuE0ELNS1_3repE0EEENS1_30default_config_static_selectorELNS0_4arch9wavefront6targetE0EEEvT1_,"axG",@progbits,_ZN7rocprim17ROCPRIM_400000_NS6detail17trampoline_kernelINS0_14default_configENS1_25partition_config_selectorILNS1_17partition_subalgoE6EdNS0_10empty_typeEbEEZZNS1_14partition_implILS5_6ELb0ES3_mN6thrust23THRUST_200600_302600_NS6detail15normal_iteratorINSA_10device_ptrIdEEEEPS6_SG_NS0_5tupleIJSF_S6_EEENSH_IJSG_SG_EEES6_PlJNSB_9not_fun_tI7is_trueIdEEEEEE10hipError_tPvRmT3_T4_T5_T6_T7_T9_mT8_P12ihipStream_tbDpT10_ENKUlT_T0_E_clISt17integral_constantIbLb1EES18_EEDaS13_S14_EUlS13_E_NS1_11comp_targetILNS1_3genE0ELNS1_11target_archE4294967295ELNS1_3gpuE0ELNS1_3repE0EEENS1_30default_config_static_selectorELNS0_4arch9wavefront6targetE0EEEvT1_,comdat
	.protected	_ZN7rocprim17ROCPRIM_400000_NS6detail17trampoline_kernelINS0_14default_configENS1_25partition_config_selectorILNS1_17partition_subalgoE6EdNS0_10empty_typeEbEEZZNS1_14partition_implILS5_6ELb0ES3_mN6thrust23THRUST_200600_302600_NS6detail15normal_iteratorINSA_10device_ptrIdEEEEPS6_SG_NS0_5tupleIJSF_S6_EEENSH_IJSG_SG_EEES6_PlJNSB_9not_fun_tI7is_trueIdEEEEEE10hipError_tPvRmT3_T4_T5_T6_T7_T9_mT8_P12ihipStream_tbDpT10_ENKUlT_T0_E_clISt17integral_constantIbLb1EES18_EEDaS13_S14_EUlS13_E_NS1_11comp_targetILNS1_3genE0ELNS1_11target_archE4294967295ELNS1_3gpuE0ELNS1_3repE0EEENS1_30default_config_static_selectorELNS0_4arch9wavefront6targetE0EEEvT1_ ; -- Begin function _ZN7rocprim17ROCPRIM_400000_NS6detail17trampoline_kernelINS0_14default_configENS1_25partition_config_selectorILNS1_17partition_subalgoE6EdNS0_10empty_typeEbEEZZNS1_14partition_implILS5_6ELb0ES3_mN6thrust23THRUST_200600_302600_NS6detail15normal_iteratorINSA_10device_ptrIdEEEEPS6_SG_NS0_5tupleIJSF_S6_EEENSH_IJSG_SG_EEES6_PlJNSB_9not_fun_tI7is_trueIdEEEEEE10hipError_tPvRmT3_T4_T5_T6_T7_T9_mT8_P12ihipStream_tbDpT10_ENKUlT_T0_E_clISt17integral_constantIbLb1EES18_EEDaS13_S14_EUlS13_E_NS1_11comp_targetILNS1_3genE0ELNS1_11target_archE4294967295ELNS1_3gpuE0ELNS1_3repE0EEENS1_30default_config_static_selectorELNS0_4arch9wavefront6targetE0EEEvT1_
	.globl	_ZN7rocprim17ROCPRIM_400000_NS6detail17trampoline_kernelINS0_14default_configENS1_25partition_config_selectorILNS1_17partition_subalgoE6EdNS0_10empty_typeEbEEZZNS1_14partition_implILS5_6ELb0ES3_mN6thrust23THRUST_200600_302600_NS6detail15normal_iteratorINSA_10device_ptrIdEEEEPS6_SG_NS0_5tupleIJSF_S6_EEENSH_IJSG_SG_EEES6_PlJNSB_9not_fun_tI7is_trueIdEEEEEE10hipError_tPvRmT3_T4_T5_T6_T7_T9_mT8_P12ihipStream_tbDpT10_ENKUlT_T0_E_clISt17integral_constantIbLb1EES18_EEDaS13_S14_EUlS13_E_NS1_11comp_targetILNS1_3genE0ELNS1_11target_archE4294967295ELNS1_3gpuE0ELNS1_3repE0EEENS1_30default_config_static_selectorELNS0_4arch9wavefront6targetE0EEEvT1_
	.p2align	8
	.type	_ZN7rocprim17ROCPRIM_400000_NS6detail17trampoline_kernelINS0_14default_configENS1_25partition_config_selectorILNS1_17partition_subalgoE6EdNS0_10empty_typeEbEEZZNS1_14partition_implILS5_6ELb0ES3_mN6thrust23THRUST_200600_302600_NS6detail15normal_iteratorINSA_10device_ptrIdEEEEPS6_SG_NS0_5tupleIJSF_S6_EEENSH_IJSG_SG_EEES6_PlJNSB_9not_fun_tI7is_trueIdEEEEEE10hipError_tPvRmT3_T4_T5_T6_T7_T9_mT8_P12ihipStream_tbDpT10_ENKUlT_T0_E_clISt17integral_constantIbLb1EES18_EEDaS13_S14_EUlS13_E_NS1_11comp_targetILNS1_3genE0ELNS1_11target_archE4294967295ELNS1_3gpuE0ELNS1_3repE0EEENS1_30default_config_static_selectorELNS0_4arch9wavefront6targetE0EEEvT1_,@function
_ZN7rocprim17ROCPRIM_400000_NS6detail17trampoline_kernelINS0_14default_configENS1_25partition_config_selectorILNS1_17partition_subalgoE6EdNS0_10empty_typeEbEEZZNS1_14partition_implILS5_6ELb0ES3_mN6thrust23THRUST_200600_302600_NS6detail15normal_iteratorINSA_10device_ptrIdEEEEPS6_SG_NS0_5tupleIJSF_S6_EEENSH_IJSG_SG_EEES6_PlJNSB_9not_fun_tI7is_trueIdEEEEEE10hipError_tPvRmT3_T4_T5_T6_T7_T9_mT8_P12ihipStream_tbDpT10_ENKUlT_T0_E_clISt17integral_constantIbLb1EES18_EEDaS13_S14_EUlS13_E_NS1_11comp_targetILNS1_3genE0ELNS1_11target_archE4294967295ELNS1_3gpuE0ELNS1_3repE0EEENS1_30default_config_static_selectorELNS0_4arch9wavefront6targetE0EEEvT1_: ; @_ZN7rocprim17ROCPRIM_400000_NS6detail17trampoline_kernelINS0_14default_configENS1_25partition_config_selectorILNS1_17partition_subalgoE6EdNS0_10empty_typeEbEEZZNS1_14partition_implILS5_6ELb0ES3_mN6thrust23THRUST_200600_302600_NS6detail15normal_iteratorINSA_10device_ptrIdEEEEPS6_SG_NS0_5tupleIJSF_S6_EEENSH_IJSG_SG_EEES6_PlJNSB_9not_fun_tI7is_trueIdEEEEEE10hipError_tPvRmT3_T4_T5_T6_T7_T9_mT8_P12ihipStream_tbDpT10_ENKUlT_T0_E_clISt17integral_constantIbLb1EES18_EEDaS13_S14_EUlS13_E_NS1_11comp_targetILNS1_3genE0ELNS1_11target_archE4294967295ELNS1_3gpuE0ELNS1_3repE0EEENS1_30default_config_static_selectorELNS0_4arch9wavefront6targetE0EEEvT1_
; %bb.0:
	.section	.rodata,"a",@progbits
	.p2align	6, 0x0
	.amdhsa_kernel _ZN7rocprim17ROCPRIM_400000_NS6detail17trampoline_kernelINS0_14default_configENS1_25partition_config_selectorILNS1_17partition_subalgoE6EdNS0_10empty_typeEbEEZZNS1_14partition_implILS5_6ELb0ES3_mN6thrust23THRUST_200600_302600_NS6detail15normal_iteratorINSA_10device_ptrIdEEEEPS6_SG_NS0_5tupleIJSF_S6_EEENSH_IJSG_SG_EEES6_PlJNSB_9not_fun_tI7is_trueIdEEEEEE10hipError_tPvRmT3_T4_T5_T6_T7_T9_mT8_P12ihipStream_tbDpT10_ENKUlT_T0_E_clISt17integral_constantIbLb1EES18_EEDaS13_S14_EUlS13_E_NS1_11comp_targetILNS1_3genE0ELNS1_11target_archE4294967295ELNS1_3gpuE0ELNS1_3repE0EEENS1_30default_config_static_selectorELNS0_4arch9wavefront6targetE0EEEvT1_
		.amdhsa_group_segment_fixed_size 0
		.amdhsa_private_segment_fixed_size 0
		.amdhsa_kernarg_size 128
		.amdhsa_user_sgpr_count 2
		.amdhsa_user_sgpr_dispatch_ptr 0
		.amdhsa_user_sgpr_queue_ptr 0
		.amdhsa_user_sgpr_kernarg_segment_ptr 1
		.amdhsa_user_sgpr_dispatch_id 0
		.amdhsa_user_sgpr_private_segment_size 0
		.amdhsa_wavefront_size32 1
		.amdhsa_uses_dynamic_stack 0
		.amdhsa_enable_private_segment 0
		.amdhsa_system_sgpr_workgroup_id_x 1
		.amdhsa_system_sgpr_workgroup_id_y 0
		.amdhsa_system_sgpr_workgroup_id_z 0
		.amdhsa_system_sgpr_workgroup_info 0
		.amdhsa_system_vgpr_workitem_id 0
		.amdhsa_next_free_vgpr 1
		.amdhsa_next_free_sgpr 1
		.amdhsa_reserve_vcc 0
		.amdhsa_float_round_mode_32 0
		.amdhsa_float_round_mode_16_64 0
		.amdhsa_float_denorm_mode_32 3
		.amdhsa_float_denorm_mode_16_64 3
		.amdhsa_fp16_overflow 0
		.amdhsa_workgroup_processor_mode 1
		.amdhsa_memory_ordered 1
		.amdhsa_forward_progress 1
		.amdhsa_inst_pref_size 0
		.amdhsa_round_robin_scheduling 0
		.amdhsa_exception_fp_ieee_invalid_op 0
		.amdhsa_exception_fp_denorm_src 0
		.amdhsa_exception_fp_ieee_div_zero 0
		.amdhsa_exception_fp_ieee_overflow 0
		.amdhsa_exception_fp_ieee_underflow 0
		.amdhsa_exception_fp_ieee_inexact 0
		.amdhsa_exception_int_div_zero 0
	.end_amdhsa_kernel
	.section	.text._ZN7rocprim17ROCPRIM_400000_NS6detail17trampoline_kernelINS0_14default_configENS1_25partition_config_selectorILNS1_17partition_subalgoE6EdNS0_10empty_typeEbEEZZNS1_14partition_implILS5_6ELb0ES3_mN6thrust23THRUST_200600_302600_NS6detail15normal_iteratorINSA_10device_ptrIdEEEEPS6_SG_NS0_5tupleIJSF_S6_EEENSH_IJSG_SG_EEES6_PlJNSB_9not_fun_tI7is_trueIdEEEEEE10hipError_tPvRmT3_T4_T5_T6_T7_T9_mT8_P12ihipStream_tbDpT10_ENKUlT_T0_E_clISt17integral_constantIbLb1EES18_EEDaS13_S14_EUlS13_E_NS1_11comp_targetILNS1_3genE0ELNS1_11target_archE4294967295ELNS1_3gpuE0ELNS1_3repE0EEENS1_30default_config_static_selectorELNS0_4arch9wavefront6targetE0EEEvT1_,"axG",@progbits,_ZN7rocprim17ROCPRIM_400000_NS6detail17trampoline_kernelINS0_14default_configENS1_25partition_config_selectorILNS1_17partition_subalgoE6EdNS0_10empty_typeEbEEZZNS1_14partition_implILS5_6ELb0ES3_mN6thrust23THRUST_200600_302600_NS6detail15normal_iteratorINSA_10device_ptrIdEEEEPS6_SG_NS0_5tupleIJSF_S6_EEENSH_IJSG_SG_EEES6_PlJNSB_9not_fun_tI7is_trueIdEEEEEE10hipError_tPvRmT3_T4_T5_T6_T7_T9_mT8_P12ihipStream_tbDpT10_ENKUlT_T0_E_clISt17integral_constantIbLb1EES18_EEDaS13_S14_EUlS13_E_NS1_11comp_targetILNS1_3genE0ELNS1_11target_archE4294967295ELNS1_3gpuE0ELNS1_3repE0EEENS1_30default_config_static_selectorELNS0_4arch9wavefront6targetE0EEEvT1_,comdat
.Lfunc_end1053:
	.size	_ZN7rocprim17ROCPRIM_400000_NS6detail17trampoline_kernelINS0_14default_configENS1_25partition_config_selectorILNS1_17partition_subalgoE6EdNS0_10empty_typeEbEEZZNS1_14partition_implILS5_6ELb0ES3_mN6thrust23THRUST_200600_302600_NS6detail15normal_iteratorINSA_10device_ptrIdEEEEPS6_SG_NS0_5tupleIJSF_S6_EEENSH_IJSG_SG_EEES6_PlJNSB_9not_fun_tI7is_trueIdEEEEEE10hipError_tPvRmT3_T4_T5_T6_T7_T9_mT8_P12ihipStream_tbDpT10_ENKUlT_T0_E_clISt17integral_constantIbLb1EES18_EEDaS13_S14_EUlS13_E_NS1_11comp_targetILNS1_3genE0ELNS1_11target_archE4294967295ELNS1_3gpuE0ELNS1_3repE0EEENS1_30default_config_static_selectorELNS0_4arch9wavefront6targetE0EEEvT1_, .Lfunc_end1053-_ZN7rocprim17ROCPRIM_400000_NS6detail17trampoline_kernelINS0_14default_configENS1_25partition_config_selectorILNS1_17partition_subalgoE6EdNS0_10empty_typeEbEEZZNS1_14partition_implILS5_6ELb0ES3_mN6thrust23THRUST_200600_302600_NS6detail15normal_iteratorINSA_10device_ptrIdEEEEPS6_SG_NS0_5tupleIJSF_S6_EEENSH_IJSG_SG_EEES6_PlJNSB_9not_fun_tI7is_trueIdEEEEEE10hipError_tPvRmT3_T4_T5_T6_T7_T9_mT8_P12ihipStream_tbDpT10_ENKUlT_T0_E_clISt17integral_constantIbLb1EES18_EEDaS13_S14_EUlS13_E_NS1_11comp_targetILNS1_3genE0ELNS1_11target_archE4294967295ELNS1_3gpuE0ELNS1_3repE0EEENS1_30default_config_static_selectorELNS0_4arch9wavefront6targetE0EEEvT1_
                                        ; -- End function
	.set _ZN7rocprim17ROCPRIM_400000_NS6detail17trampoline_kernelINS0_14default_configENS1_25partition_config_selectorILNS1_17partition_subalgoE6EdNS0_10empty_typeEbEEZZNS1_14partition_implILS5_6ELb0ES3_mN6thrust23THRUST_200600_302600_NS6detail15normal_iteratorINSA_10device_ptrIdEEEEPS6_SG_NS0_5tupleIJSF_S6_EEENSH_IJSG_SG_EEES6_PlJNSB_9not_fun_tI7is_trueIdEEEEEE10hipError_tPvRmT3_T4_T5_T6_T7_T9_mT8_P12ihipStream_tbDpT10_ENKUlT_T0_E_clISt17integral_constantIbLb1EES18_EEDaS13_S14_EUlS13_E_NS1_11comp_targetILNS1_3genE0ELNS1_11target_archE4294967295ELNS1_3gpuE0ELNS1_3repE0EEENS1_30default_config_static_selectorELNS0_4arch9wavefront6targetE0EEEvT1_.num_vgpr, 0
	.set _ZN7rocprim17ROCPRIM_400000_NS6detail17trampoline_kernelINS0_14default_configENS1_25partition_config_selectorILNS1_17partition_subalgoE6EdNS0_10empty_typeEbEEZZNS1_14partition_implILS5_6ELb0ES3_mN6thrust23THRUST_200600_302600_NS6detail15normal_iteratorINSA_10device_ptrIdEEEEPS6_SG_NS0_5tupleIJSF_S6_EEENSH_IJSG_SG_EEES6_PlJNSB_9not_fun_tI7is_trueIdEEEEEE10hipError_tPvRmT3_T4_T5_T6_T7_T9_mT8_P12ihipStream_tbDpT10_ENKUlT_T0_E_clISt17integral_constantIbLb1EES18_EEDaS13_S14_EUlS13_E_NS1_11comp_targetILNS1_3genE0ELNS1_11target_archE4294967295ELNS1_3gpuE0ELNS1_3repE0EEENS1_30default_config_static_selectorELNS0_4arch9wavefront6targetE0EEEvT1_.num_agpr, 0
	.set _ZN7rocprim17ROCPRIM_400000_NS6detail17trampoline_kernelINS0_14default_configENS1_25partition_config_selectorILNS1_17partition_subalgoE6EdNS0_10empty_typeEbEEZZNS1_14partition_implILS5_6ELb0ES3_mN6thrust23THRUST_200600_302600_NS6detail15normal_iteratorINSA_10device_ptrIdEEEEPS6_SG_NS0_5tupleIJSF_S6_EEENSH_IJSG_SG_EEES6_PlJNSB_9not_fun_tI7is_trueIdEEEEEE10hipError_tPvRmT3_T4_T5_T6_T7_T9_mT8_P12ihipStream_tbDpT10_ENKUlT_T0_E_clISt17integral_constantIbLb1EES18_EEDaS13_S14_EUlS13_E_NS1_11comp_targetILNS1_3genE0ELNS1_11target_archE4294967295ELNS1_3gpuE0ELNS1_3repE0EEENS1_30default_config_static_selectorELNS0_4arch9wavefront6targetE0EEEvT1_.numbered_sgpr, 0
	.set _ZN7rocprim17ROCPRIM_400000_NS6detail17trampoline_kernelINS0_14default_configENS1_25partition_config_selectorILNS1_17partition_subalgoE6EdNS0_10empty_typeEbEEZZNS1_14partition_implILS5_6ELb0ES3_mN6thrust23THRUST_200600_302600_NS6detail15normal_iteratorINSA_10device_ptrIdEEEEPS6_SG_NS0_5tupleIJSF_S6_EEENSH_IJSG_SG_EEES6_PlJNSB_9not_fun_tI7is_trueIdEEEEEE10hipError_tPvRmT3_T4_T5_T6_T7_T9_mT8_P12ihipStream_tbDpT10_ENKUlT_T0_E_clISt17integral_constantIbLb1EES18_EEDaS13_S14_EUlS13_E_NS1_11comp_targetILNS1_3genE0ELNS1_11target_archE4294967295ELNS1_3gpuE0ELNS1_3repE0EEENS1_30default_config_static_selectorELNS0_4arch9wavefront6targetE0EEEvT1_.num_named_barrier, 0
	.set _ZN7rocprim17ROCPRIM_400000_NS6detail17trampoline_kernelINS0_14default_configENS1_25partition_config_selectorILNS1_17partition_subalgoE6EdNS0_10empty_typeEbEEZZNS1_14partition_implILS5_6ELb0ES3_mN6thrust23THRUST_200600_302600_NS6detail15normal_iteratorINSA_10device_ptrIdEEEEPS6_SG_NS0_5tupleIJSF_S6_EEENSH_IJSG_SG_EEES6_PlJNSB_9not_fun_tI7is_trueIdEEEEEE10hipError_tPvRmT3_T4_T5_T6_T7_T9_mT8_P12ihipStream_tbDpT10_ENKUlT_T0_E_clISt17integral_constantIbLb1EES18_EEDaS13_S14_EUlS13_E_NS1_11comp_targetILNS1_3genE0ELNS1_11target_archE4294967295ELNS1_3gpuE0ELNS1_3repE0EEENS1_30default_config_static_selectorELNS0_4arch9wavefront6targetE0EEEvT1_.private_seg_size, 0
	.set _ZN7rocprim17ROCPRIM_400000_NS6detail17trampoline_kernelINS0_14default_configENS1_25partition_config_selectorILNS1_17partition_subalgoE6EdNS0_10empty_typeEbEEZZNS1_14partition_implILS5_6ELb0ES3_mN6thrust23THRUST_200600_302600_NS6detail15normal_iteratorINSA_10device_ptrIdEEEEPS6_SG_NS0_5tupleIJSF_S6_EEENSH_IJSG_SG_EEES6_PlJNSB_9not_fun_tI7is_trueIdEEEEEE10hipError_tPvRmT3_T4_T5_T6_T7_T9_mT8_P12ihipStream_tbDpT10_ENKUlT_T0_E_clISt17integral_constantIbLb1EES18_EEDaS13_S14_EUlS13_E_NS1_11comp_targetILNS1_3genE0ELNS1_11target_archE4294967295ELNS1_3gpuE0ELNS1_3repE0EEENS1_30default_config_static_selectorELNS0_4arch9wavefront6targetE0EEEvT1_.uses_vcc, 0
	.set _ZN7rocprim17ROCPRIM_400000_NS6detail17trampoline_kernelINS0_14default_configENS1_25partition_config_selectorILNS1_17partition_subalgoE6EdNS0_10empty_typeEbEEZZNS1_14partition_implILS5_6ELb0ES3_mN6thrust23THRUST_200600_302600_NS6detail15normal_iteratorINSA_10device_ptrIdEEEEPS6_SG_NS0_5tupleIJSF_S6_EEENSH_IJSG_SG_EEES6_PlJNSB_9not_fun_tI7is_trueIdEEEEEE10hipError_tPvRmT3_T4_T5_T6_T7_T9_mT8_P12ihipStream_tbDpT10_ENKUlT_T0_E_clISt17integral_constantIbLb1EES18_EEDaS13_S14_EUlS13_E_NS1_11comp_targetILNS1_3genE0ELNS1_11target_archE4294967295ELNS1_3gpuE0ELNS1_3repE0EEENS1_30default_config_static_selectorELNS0_4arch9wavefront6targetE0EEEvT1_.uses_flat_scratch, 0
	.set _ZN7rocprim17ROCPRIM_400000_NS6detail17trampoline_kernelINS0_14default_configENS1_25partition_config_selectorILNS1_17partition_subalgoE6EdNS0_10empty_typeEbEEZZNS1_14partition_implILS5_6ELb0ES3_mN6thrust23THRUST_200600_302600_NS6detail15normal_iteratorINSA_10device_ptrIdEEEEPS6_SG_NS0_5tupleIJSF_S6_EEENSH_IJSG_SG_EEES6_PlJNSB_9not_fun_tI7is_trueIdEEEEEE10hipError_tPvRmT3_T4_T5_T6_T7_T9_mT8_P12ihipStream_tbDpT10_ENKUlT_T0_E_clISt17integral_constantIbLb1EES18_EEDaS13_S14_EUlS13_E_NS1_11comp_targetILNS1_3genE0ELNS1_11target_archE4294967295ELNS1_3gpuE0ELNS1_3repE0EEENS1_30default_config_static_selectorELNS0_4arch9wavefront6targetE0EEEvT1_.has_dyn_sized_stack, 0
	.set _ZN7rocprim17ROCPRIM_400000_NS6detail17trampoline_kernelINS0_14default_configENS1_25partition_config_selectorILNS1_17partition_subalgoE6EdNS0_10empty_typeEbEEZZNS1_14partition_implILS5_6ELb0ES3_mN6thrust23THRUST_200600_302600_NS6detail15normal_iteratorINSA_10device_ptrIdEEEEPS6_SG_NS0_5tupleIJSF_S6_EEENSH_IJSG_SG_EEES6_PlJNSB_9not_fun_tI7is_trueIdEEEEEE10hipError_tPvRmT3_T4_T5_T6_T7_T9_mT8_P12ihipStream_tbDpT10_ENKUlT_T0_E_clISt17integral_constantIbLb1EES18_EEDaS13_S14_EUlS13_E_NS1_11comp_targetILNS1_3genE0ELNS1_11target_archE4294967295ELNS1_3gpuE0ELNS1_3repE0EEENS1_30default_config_static_selectorELNS0_4arch9wavefront6targetE0EEEvT1_.has_recursion, 0
	.set _ZN7rocprim17ROCPRIM_400000_NS6detail17trampoline_kernelINS0_14default_configENS1_25partition_config_selectorILNS1_17partition_subalgoE6EdNS0_10empty_typeEbEEZZNS1_14partition_implILS5_6ELb0ES3_mN6thrust23THRUST_200600_302600_NS6detail15normal_iteratorINSA_10device_ptrIdEEEEPS6_SG_NS0_5tupleIJSF_S6_EEENSH_IJSG_SG_EEES6_PlJNSB_9not_fun_tI7is_trueIdEEEEEE10hipError_tPvRmT3_T4_T5_T6_T7_T9_mT8_P12ihipStream_tbDpT10_ENKUlT_T0_E_clISt17integral_constantIbLb1EES18_EEDaS13_S14_EUlS13_E_NS1_11comp_targetILNS1_3genE0ELNS1_11target_archE4294967295ELNS1_3gpuE0ELNS1_3repE0EEENS1_30default_config_static_selectorELNS0_4arch9wavefront6targetE0EEEvT1_.has_indirect_call, 0
	.section	.AMDGPU.csdata,"",@progbits
; Kernel info:
; codeLenInByte = 0
; TotalNumSgprs: 0
; NumVgprs: 0
; ScratchSize: 0
; MemoryBound: 0
; FloatMode: 240
; IeeeMode: 1
; LDSByteSize: 0 bytes/workgroup (compile time only)
; SGPRBlocks: 0
; VGPRBlocks: 0
; NumSGPRsForWavesPerEU: 1
; NumVGPRsForWavesPerEU: 1
; Occupancy: 16
; WaveLimiterHint : 0
; COMPUTE_PGM_RSRC2:SCRATCH_EN: 0
; COMPUTE_PGM_RSRC2:USER_SGPR: 2
; COMPUTE_PGM_RSRC2:TRAP_HANDLER: 0
; COMPUTE_PGM_RSRC2:TGID_X_EN: 1
; COMPUTE_PGM_RSRC2:TGID_Y_EN: 0
; COMPUTE_PGM_RSRC2:TGID_Z_EN: 0
; COMPUTE_PGM_RSRC2:TIDIG_COMP_CNT: 0
	.section	.text._ZN7rocprim17ROCPRIM_400000_NS6detail17trampoline_kernelINS0_14default_configENS1_25partition_config_selectorILNS1_17partition_subalgoE6EdNS0_10empty_typeEbEEZZNS1_14partition_implILS5_6ELb0ES3_mN6thrust23THRUST_200600_302600_NS6detail15normal_iteratorINSA_10device_ptrIdEEEEPS6_SG_NS0_5tupleIJSF_S6_EEENSH_IJSG_SG_EEES6_PlJNSB_9not_fun_tI7is_trueIdEEEEEE10hipError_tPvRmT3_T4_T5_T6_T7_T9_mT8_P12ihipStream_tbDpT10_ENKUlT_T0_E_clISt17integral_constantIbLb1EES18_EEDaS13_S14_EUlS13_E_NS1_11comp_targetILNS1_3genE5ELNS1_11target_archE942ELNS1_3gpuE9ELNS1_3repE0EEENS1_30default_config_static_selectorELNS0_4arch9wavefront6targetE0EEEvT1_,"axG",@progbits,_ZN7rocprim17ROCPRIM_400000_NS6detail17trampoline_kernelINS0_14default_configENS1_25partition_config_selectorILNS1_17partition_subalgoE6EdNS0_10empty_typeEbEEZZNS1_14partition_implILS5_6ELb0ES3_mN6thrust23THRUST_200600_302600_NS6detail15normal_iteratorINSA_10device_ptrIdEEEEPS6_SG_NS0_5tupleIJSF_S6_EEENSH_IJSG_SG_EEES6_PlJNSB_9not_fun_tI7is_trueIdEEEEEE10hipError_tPvRmT3_T4_T5_T6_T7_T9_mT8_P12ihipStream_tbDpT10_ENKUlT_T0_E_clISt17integral_constantIbLb1EES18_EEDaS13_S14_EUlS13_E_NS1_11comp_targetILNS1_3genE5ELNS1_11target_archE942ELNS1_3gpuE9ELNS1_3repE0EEENS1_30default_config_static_selectorELNS0_4arch9wavefront6targetE0EEEvT1_,comdat
	.protected	_ZN7rocprim17ROCPRIM_400000_NS6detail17trampoline_kernelINS0_14default_configENS1_25partition_config_selectorILNS1_17partition_subalgoE6EdNS0_10empty_typeEbEEZZNS1_14partition_implILS5_6ELb0ES3_mN6thrust23THRUST_200600_302600_NS6detail15normal_iteratorINSA_10device_ptrIdEEEEPS6_SG_NS0_5tupleIJSF_S6_EEENSH_IJSG_SG_EEES6_PlJNSB_9not_fun_tI7is_trueIdEEEEEE10hipError_tPvRmT3_T4_T5_T6_T7_T9_mT8_P12ihipStream_tbDpT10_ENKUlT_T0_E_clISt17integral_constantIbLb1EES18_EEDaS13_S14_EUlS13_E_NS1_11comp_targetILNS1_3genE5ELNS1_11target_archE942ELNS1_3gpuE9ELNS1_3repE0EEENS1_30default_config_static_selectorELNS0_4arch9wavefront6targetE0EEEvT1_ ; -- Begin function _ZN7rocprim17ROCPRIM_400000_NS6detail17trampoline_kernelINS0_14default_configENS1_25partition_config_selectorILNS1_17partition_subalgoE6EdNS0_10empty_typeEbEEZZNS1_14partition_implILS5_6ELb0ES3_mN6thrust23THRUST_200600_302600_NS6detail15normal_iteratorINSA_10device_ptrIdEEEEPS6_SG_NS0_5tupleIJSF_S6_EEENSH_IJSG_SG_EEES6_PlJNSB_9not_fun_tI7is_trueIdEEEEEE10hipError_tPvRmT3_T4_T5_T6_T7_T9_mT8_P12ihipStream_tbDpT10_ENKUlT_T0_E_clISt17integral_constantIbLb1EES18_EEDaS13_S14_EUlS13_E_NS1_11comp_targetILNS1_3genE5ELNS1_11target_archE942ELNS1_3gpuE9ELNS1_3repE0EEENS1_30default_config_static_selectorELNS0_4arch9wavefront6targetE0EEEvT1_
	.globl	_ZN7rocprim17ROCPRIM_400000_NS6detail17trampoline_kernelINS0_14default_configENS1_25partition_config_selectorILNS1_17partition_subalgoE6EdNS0_10empty_typeEbEEZZNS1_14partition_implILS5_6ELb0ES3_mN6thrust23THRUST_200600_302600_NS6detail15normal_iteratorINSA_10device_ptrIdEEEEPS6_SG_NS0_5tupleIJSF_S6_EEENSH_IJSG_SG_EEES6_PlJNSB_9not_fun_tI7is_trueIdEEEEEE10hipError_tPvRmT3_T4_T5_T6_T7_T9_mT8_P12ihipStream_tbDpT10_ENKUlT_T0_E_clISt17integral_constantIbLb1EES18_EEDaS13_S14_EUlS13_E_NS1_11comp_targetILNS1_3genE5ELNS1_11target_archE942ELNS1_3gpuE9ELNS1_3repE0EEENS1_30default_config_static_selectorELNS0_4arch9wavefront6targetE0EEEvT1_
	.p2align	8
	.type	_ZN7rocprim17ROCPRIM_400000_NS6detail17trampoline_kernelINS0_14default_configENS1_25partition_config_selectorILNS1_17partition_subalgoE6EdNS0_10empty_typeEbEEZZNS1_14partition_implILS5_6ELb0ES3_mN6thrust23THRUST_200600_302600_NS6detail15normal_iteratorINSA_10device_ptrIdEEEEPS6_SG_NS0_5tupleIJSF_S6_EEENSH_IJSG_SG_EEES6_PlJNSB_9not_fun_tI7is_trueIdEEEEEE10hipError_tPvRmT3_T4_T5_T6_T7_T9_mT8_P12ihipStream_tbDpT10_ENKUlT_T0_E_clISt17integral_constantIbLb1EES18_EEDaS13_S14_EUlS13_E_NS1_11comp_targetILNS1_3genE5ELNS1_11target_archE942ELNS1_3gpuE9ELNS1_3repE0EEENS1_30default_config_static_selectorELNS0_4arch9wavefront6targetE0EEEvT1_,@function
_ZN7rocprim17ROCPRIM_400000_NS6detail17trampoline_kernelINS0_14default_configENS1_25partition_config_selectorILNS1_17partition_subalgoE6EdNS0_10empty_typeEbEEZZNS1_14partition_implILS5_6ELb0ES3_mN6thrust23THRUST_200600_302600_NS6detail15normal_iteratorINSA_10device_ptrIdEEEEPS6_SG_NS0_5tupleIJSF_S6_EEENSH_IJSG_SG_EEES6_PlJNSB_9not_fun_tI7is_trueIdEEEEEE10hipError_tPvRmT3_T4_T5_T6_T7_T9_mT8_P12ihipStream_tbDpT10_ENKUlT_T0_E_clISt17integral_constantIbLb1EES18_EEDaS13_S14_EUlS13_E_NS1_11comp_targetILNS1_3genE5ELNS1_11target_archE942ELNS1_3gpuE9ELNS1_3repE0EEENS1_30default_config_static_selectorELNS0_4arch9wavefront6targetE0EEEvT1_: ; @_ZN7rocprim17ROCPRIM_400000_NS6detail17trampoline_kernelINS0_14default_configENS1_25partition_config_selectorILNS1_17partition_subalgoE6EdNS0_10empty_typeEbEEZZNS1_14partition_implILS5_6ELb0ES3_mN6thrust23THRUST_200600_302600_NS6detail15normal_iteratorINSA_10device_ptrIdEEEEPS6_SG_NS0_5tupleIJSF_S6_EEENSH_IJSG_SG_EEES6_PlJNSB_9not_fun_tI7is_trueIdEEEEEE10hipError_tPvRmT3_T4_T5_T6_T7_T9_mT8_P12ihipStream_tbDpT10_ENKUlT_T0_E_clISt17integral_constantIbLb1EES18_EEDaS13_S14_EUlS13_E_NS1_11comp_targetILNS1_3genE5ELNS1_11target_archE942ELNS1_3gpuE9ELNS1_3repE0EEENS1_30default_config_static_selectorELNS0_4arch9wavefront6targetE0EEEvT1_
; %bb.0:
	.section	.rodata,"a",@progbits
	.p2align	6, 0x0
	.amdhsa_kernel _ZN7rocprim17ROCPRIM_400000_NS6detail17trampoline_kernelINS0_14default_configENS1_25partition_config_selectorILNS1_17partition_subalgoE6EdNS0_10empty_typeEbEEZZNS1_14partition_implILS5_6ELb0ES3_mN6thrust23THRUST_200600_302600_NS6detail15normal_iteratorINSA_10device_ptrIdEEEEPS6_SG_NS0_5tupleIJSF_S6_EEENSH_IJSG_SG_EEES6_PlJNSB_9not_fun_tI7is_trueIdEEEEEE10hipError_tPvRmT3_T4_T5_T6_T7_T9_mT8_P12ihipStream_tbDpT10_ENKUlT_T0_E_clISt17integral_constantIbLb1EES18_EEDaS13_S14_EUlS13_E_NS1_11comp_targetILNS1_3genE5ELNS1_11target_archE942ELNS1_3gpuE9ELNS1_3repE0EEENS1_30default_config_static_selectorELNS0_4arch9wavefront6targetE0EEEvT1_
		.amdhsa_group_segment_fixed_size 0
		.amdhsa_private_segment_fixed_size 0
		.amdhsa_kernarg_size 128
		.amdhsa_user_sgpr_count 2
		.amdhsa_user_sgpr_dispatch_ptr 0
		.amdhsa_user_sgpr_queue_ptr 0
		.amdhsa_user_sgpr_kernarg_segment_ptr 1
		.amdhsa_user_sgpr_dispatch_id 0
		.amdhsa_user_sgpr_private_segment_size 0
		.amdhsa_wavefront_size32 1
		.amdhsa_uses_dynamic_stack 0
		.amdhsa_enable_private_segment 0
		.amdhsa_system_sgpr_workgroup_id_x 1
		.amdhsa_system_sgpr_workgroup_id_y 0
		.amdhsa_system_sgpr_workgroup_id_z 0
		.amdhsa_system_sgpr_workgroup_info 0
		.amdhsa_system_vgpr_workitem_id 0
		.amdhsa_next_free_vgpr 1
		.amdhsa_next_free_sgpr 1
		.amdhsa_reserve_vcc 0
		.amdhsa_float_round_mode_32 0
		.amdhsa_float_round_mode_16_64 0
		.amdhsa_float_denorm_mode_32 3
		.amdhsa_float_denorm_mode_16_64 3
		.amdhsa_fp16_overflow 0
		.amdhsa_workgroup_processor_mode 1
		.amdhsa_memory_ordered 1
		.amdhsa_forward_progress 1
		.amdhsa_inst_pref_size 0
		.amdhsa_round_robin_scheduling 0
		.amdhsa_exception_fp_ieee_invalid_op 0
		.amdhsa_exception_fp_denorm_src 0
		.amdhsa_exception_fp_ieee_div_zero 0
		.amdhsa_exception_fp_ieee_overflow 0
		.amdhsa_exception_fp_ieee_underflow 0
		.amdhsa_exception_fp_ieee_inexact 0
		.amdhsa_exception_int_div_zero 0
	.end_amdhsa_kernel
	.section	.text._ZN7rocprim17ROCPRIM_400000_NS6detail17trampoline_kernelINS0_14default_configENS1_25partition_config_selectorILNS1_17partition_subalgoE6EdNS0_10empty_typeEbEEZZNS1_14partition_implILS5_6ELb0ES3_mN6thrust23THRUST_200600_302600_NS6detail15normal_iteratorINSA_10device_ptrIdEEEEPS6_SG_NS0_5tupleIJSF_S6_EEENSH_IJSG_SG_EEES6_PlJNSB_9not_fun_tI7is_trueIdEEEEEE10hipError_tPvRmT3_T4_T5_T6_T7_T9_mT8_P12ihipStream_tbDpT10_ENKUlT_T0_E_clISt17integral_constantIbLb1EES18_EEDaS13_S14_EUlS13_E_NS1_11comp_targetILNS1_3genE5ELNS1_11target_archE942ELNS1_3gpuE9ELNS1_3repE0EEENS1_30default_config_static_selectorELNS0_4arch9wavefront6targetE0EEEvT1_,"axG",@progbits,_ZN7rocprim17ROCPRIM_400000_NS6detail17trampoline_kernelINS0_14default_configENS1_25partition_config_selectorILNS1_17partition_subalgoE6EdNS0_10empty_typeEbEEZZNS1_14partition_implILS5_6ELb0ES3_mN6thrust23THRUST_200600_302600_NS6detail15normal_iteratorINSA_10device_ptrIdEEEEPS6_SG_NS0_5tupleIJSF_S6_EEENSH_IJSG_SG_EEES6_PlJNSB_9not_fun_tI7is_trueIdEEEEEE10hipError_tPvRmT3_T4_T5_T6_T7_T9_mT8_P12ihipStream_tbDpT10_ENKUlT_T0_E_clISt17integral_constantIbLb1EES18_EEDaS13_S14_EUlS13_E_NS1_11comp_targetILNS1_3genE5ELNS1_11target_archE942ELNS1_3gpuE9ELNS1_3repE0EEENS1_30default_config_static_selectorELNS0_4arch9wavefront6targetE0EEEvT1_,comdat
.Lfunc_end1054:
	.size	_ZN7rocprim17ROCPRIM_400000_NS6detail17trampoline_kernelINS0_14default_configENS1_25partition_config_selectorILNS1_17partition_subalgoE6EdNS0_10empty_typeEbEEZZNS1_14partition_implILS5_6ELb0ES3_mN6thrust23THRUST_200600_302600_NS6detail15normal_iteratorINSA_10device_ptrIdEEEEPS6_SG_NS0_5tupleIJSF_S6_EEENSH_IJSG_SG_EEES6_PlJNSB_9not_fun_tI7is_trueIdEEEEEE10hipError_tPvRmT3_T4_T5_T6_T7_T9_mT8_P12ihipStream_tbDpT10_ENKUlT_T0_E_clISt17integral_constantIbLb1EES18_EEDaS13_S14_EUlS13_E_NS1_11comp_targetILNS1_3genE5ELNS1_11target_archE942ELNS1_3gpuE9ELNS1_3repE0EEENS1_30default_config_static_selectorELNS0_4arch9wavefront6targetE0EEEvT1_, .Lfunc_end1054-_ZN7rocprim17ROCPRIM_400000_NS6detail17trampoline_kernelINS0_14default_configENS1_25partition_config_selectorILNS1_17partition_subalgoE6EdNS0_10empty_typeEbEEZZNS1_14partition_implILS5_6ELb0ES3_mN6thrust23THRUST_200600_302600_NS6detail15normal_iteratorINSA_10device_ptrIdEEEEPS6_SG_NS0_5tupleIJSF_S6_EEENSH_IJSG_SG_EEES6_PlJNSB_9not_fun_tI7is_trueIdEEEEEE10hipError_tPvRmT3_T4_T5_T6_T7_T9_mT8_P12ihipStream_tbDpT10_ENKUlT_T0_E_clISt17integral_constantIbLb1EES18_EEDaS13_S14_EUlS13_E_NS1_11comp_targetILNS1_3genE5ELNS1_11target_archE942ELNS1_3gpuE9ELNS1_3repE0EEENS1_30default_config_static_selectorELNS0_4arch9wavefront6targetE0EEEvT1_
                                        ; -- End function
	.set _ZN7rocprim17ROCPRIM_400000_NS6detail17trampoline_kernelINS0_14default_configENS1_25partition_config_selectorILNS1_17partition_subalgoE6EdNS0_10empty_typeEbEEZZNS1_14partition_implILS5_6ELb0ES3_mN6thrust23THRUST_200600_302600_NS6detail15normal_iteratorINSA_10device_ptrIdEEEEPS6_SG_NS0_5tupleIJSF_S6_EEENSH_IJSG_SG_EEES6_PlJNSB_9not_fun_tI7is_trueIdEEEEEE10hipError_tPvRmT3_T4_T5_T6_T7_T9_mT8_P12ihipStream_tbDpT10_ENKUlT_T0_E_clISt17integral_constantIbLb1EES18_EEDaS13_S14_EUlS13_E_NS1_11comp_targetILNS1_3genE5ELNS1_11target_archE942ELNS1_3gpuE9ELNS1_3repE0EEENS1_30default_config_static_selectorELNS0_4arch9wavefront6targetE0EEEvT1_.num_vgpr, 0
	.set _ZN7rocprim17ROCPRIM_400000_NS6detail17trampoline_kernelINS0_14default_configENS1_25partition_config_selectorILNS1_17partition_subalgoE6EdNS0_10empty_typeEbEEZZNS1_14partition_implILS5_6ELb0ES3_mN6thrust23THRUST_200600_302600_NS6detail15normal_iteratorINSA_10device_ptrIdEEEEPS6_SG_NS0_5tupleIJSF_S6_EEENSH_IJSG_SG_EEES6_PlJNSB_9not_fun_tI7is_trueIdEEEEEE10hipError_tPvRmT3_T4_T5_T6_T7_T9_mT8_P12ihipStream_tbDpT10_ENKUlT_T0_E_clISt17integral_constantIbLb1EES18_EEDaS13_S14_EUlS13_E_NS1_11comp_targetILNS1_3genE5ELNS1_11target_archE942ELNS1_3gpuE9ELNS1_3repE0EEENS1_30default_config_static_selectorELNS0_4arch9wavefront6targetE0EEEvT1_.num_agpr, 0
	.set _ZN7rocprim17ROCPRIM_400000_NS6detail17trampoline_kernelINS0_14default_configENS1_25partition_config_selectorILNS1_17partition_subalgoE6EdNS0_10empty_typeEbEEZZNS1_14partition_implILS5_6ELb0ES3_mN6thrust23THRUST_200600_302600_NS6detail15normal_iteratorINSA_10device_ptrIdEEEEPS6_SG_NS0_5tupleIJSF_S6_EEENSH_IJSG_SG_EEES6_PlJNSB_9not_fun_tI7is_trueIdEEEEEE10hipError_tPvRmT3_T4_T5_T6_T7_T9_mT8_P12ihipStream_tbDpT10_ENKUlT_T0_E_clISt17integral_constantIbLb1EES18_EEDaS13_S14_EUlS13_E_NS1_11comp_targetILNS1_3genE5ELNS1_11target_archE942ELNS1_3gpuE9ELNS1_3repE0EEENS1_30default_config_static_selectorELNS0_4arch9wavefront6targetE0EEEvT1_.numbered_sgpr, 0
	.set _ZN7rocprim17ROCPRIM_400000_NS6detail17trampoline_kernelINS0_14default_configENS1_25partition_config_selectorILNS1_17partition_subalgoE6EdNS0_10empty_typeEbEEZZNS1_14partition_implILS5_6ELb0ES3_mN6thrust23THRUST_200600_302600_NS6detail15normal_iteratorINSA_10device_ptrIdEEEEPS6_SG_NS0_5tupleIJSF_S6_EEENSH_IJSG_SG_EEES6_PlJNSB_9not_fun_tI7is_trueIdEEEEEE10hipError_tPvRmT3_T4_T5_T6_T7_T9_mT8_P12ihipStream_tbDpT10_ENKUlT_T0_E_clISt17integral_constantIbLb1EES18_EEDaS13_S14_EUlS13_E_NS1_11comp_targetILNS1_3genE5ELNS1_11target_archE942ELNS1_3gpuE9ELNS1_3repE0EEENS1_30default_config_static_selectorELNS0_4arch9wavefront6targetE0EEEvT1_.num_named_barrier, 0
	.set _ZN7rocprim17ROCPRIM_400000_NS6detail17trampoline_kernelINS0_14default_configENS1_25partition_config_selectorILNS1_17partition_subalgoE6EdNS0_10empty_typeEbEEZZNS1_14partition_implILS5_6ELb0ES3_mN6thrust23THRUST_200600_302600_NS6detail15normal_iteratorINSA_10device_ptrIdEEEEPS6_SG_NS0_5tupleIJSF_S6_EEENSH_IJSG_SG_EEES6_PlJNSB_9not_fun_tI7is_trueIdEEEEEE10hipError_tPvRmT3_T4_T5_T6_T7_T9_mT8_P12ihipStream_tbDpT10_ENKUlT_T0_E_clISt17integral_constantIbLb1EES18_EEDaS13_S14_EUlS13_E_NS1_11comp_targetILNS1_3genE5ELNS1_11target_archE942ELNS1_3gpuE9ELNS1_3repE0EEENS1_30default_config_static_selectorELNS0_4arch9wavefront6targetE0EEEvT1_.private_seg_size, 0
	.set _ZN7rocprim17ROCPRIM_400000_NS6detail17trampoline_kernelINS0_14default_configENS1_25partition_config_selectorILNS1_17partition_subalgoE6EdNS0_10empty_typeEbEEZZNS1_14partition_implILS5_6ELb0ES3_mN6thrust23THRUST_200600_302600_NS6detail15normal_iteratorINSA_10device_ptrIdEEEEPS6_SG_NS0_5tupleIJSF_S6_EEENSH_IJSG_SG_EEES6_PlJNSB_9not_fun_tI7is_trueIdEEEEEE10hipError_tPvRmT3_T4_T5_T6_T7_T9_mT8_P12ihipStream_tbDpT10_ENKUlT_T0_E_clISt17integral_constantIbLb1EES18_EEDaS13_S14_EUlS13_E_NS1_11comp_targetILNS1_3genE5ELNS1_11target_archE942ELNS1_3gpuE9ELNS1_3repE0EEENS1_30default_config_static_selectorELNS0_4arch9wavefront6targetE0EEEvT1_.uses_vcc, 0
	.set _ZN7rocprim17ROCPRIM_400000_NS6detail17trampoline_kernelINS0_14default_configENS1_25partition_config_selectorILNS1_17partition_subalgoE6EdNS0_10empty_typeEbEEZZNS1_14partition_implILS5_6ELb0ES3_mN6thrust23THRUST_200600_302600_NS6detail15normal_iteratorINSA_10device_ptrIdEEEEPS6_SG_NS0_5tupleIJSF_S6_EEENSH_IJSG_SG_EEES6_PlJNSB_9not_fun_tI7is_trueIdEEEEEE10hipError_tPvRmT3_T4_T5_T6_T7_T9_mT8_P12ihipStream_tbDpT10_ENKUlT_T0_E_clISt17integral_constantIbLb1EES18_EEDaS13_S14_EUlS13_E_NS1_11comp_targetILNS1_3genE5ELNS1_11target_archE942ELNS1_3gpuE9ELNS1_3repE0EEENS1_30default_config_static_selectorELNS0_4arch9wavefront6targetE0EEEvT1_.uses_flat_scratch, 0
	.set _ZN7rocprim17ROCPRIM_400000_NS6detail17trampoline_kernelINS0_14default_configENS1_25partition_config_selectorILNS1_17partition_subalgoE6EdNS0_10empty_typeEbEEZZNS1_14partition_implILS5_6ELb0ES3_mN6thrust23THRUST_200600_302600_NS6detail15normal_iteratorINSA_10device_ptrIdEEEEPS6_SG_NS0_5tupleIJSF_S6_EEENSH_IJSG_SG_EEES6_PlJNSB_9not_fun_tI7is_trueIdEEEEEE10hipError_tPvRmT3_T4_T5_T6_T7_T9_mT8_P12ihipStream_tbDpT10_ENKUlT_T0_E_clISt17integral_constantIbLb1EES18_EEDaS13_S14_EUlS13_E_NS1_11comp_targetILNS1_3genE5ELNS1_11target_archE942ELNS1_3gpuE9ELNS1_3repE0EEENS1_30default_config_static_selectorELNS0_4arch9wavefront6targetE0EEEvT1_.has_dyn_sized_stack, 0
	.set _ZN7rocprim17ROCPRIM_400000_NS6detail17trampoline_kernelINS0_14default_configENS1_25partition_config_selectorILNS1_17partition_subalgoE6EdNS0_10empty_typeEbEEZZNS1_14partition_implILS5_6ELb0ES3_mN6thrust23THRUST_200600_302600_NS6detail15normal_iteratorINSA_10device_ptrIdEEEEPS6_SG_NS0_5tupleIJSF_S6_EEENSH_IJSG_SG_EEES6_PlJNSB_9not_fun_tI7is_trueIdEEEEEE10hipError_tPvRmT3_T4_T5_T6_T7_T9_mT8_P12ihipStream_tbDpT10_ENKUlT_T0_E_clISt17integral_constantIbLb1EES18_EEDaS13_S14_EUlS13_E_NS1_11comp_targetILNS1_3genE5ELNS1_11target_archE942ELNS1_3gpuE9ELNS1_3repE0EEENS1_30default_config_static_selectorELNS0_4arch9wavefront6targetE0EEEvT1_.has_recursion, 0
	.set _ZN7rocprim17ROCPRIM_400000_NS6detail17trampoline_kernelINS0_14default_configENS1_25partition_config_selectorILNS1_17partition_subalgoE6EdNS0_10empty_typeEbEEZZNS1_14partition_implILS5_6ELb0ES3_mN6thrust23THRUST_200600_302600_NS6detail15normal_iteratorINSA_10device_ptrIdEEEEPS6_SG_NS0_5tupleIJSF_S6_EEENSH_IJSG_SG_EEES6_PlJNSB_9not_fun_tI7is_trueIdEEEEEE10hipError_tPvRmT3_T4_T5_T6_T7_T9_mT8_P12ihipStream_tbDpT10_ENKUlT_T0_E_clISt17integral_constantIbLb1EES18_EEDaS13_S14_EUlS13_E_NS1_11comp_targetILNS1_3genE5ELNS1_11target_archE942ELNS1_3gpuE9ELNS1_3repE0EEENS1_30default_config_static_selectorELNS0_4arch9wavefront6targetE0EEEvT1_.has_indirect_call, 0
	.section	.AMDGPU.csdata,"",@progbits
; Kernel info:
; codeLenInByte = 0
; TotalNumSgprs: 0
; NumVgprs: 0
; ScratchSize: 0
; MemoryBound: 0
; FloatMode: 240
; IeeeMode: 1
; LDSByteSize: 0 bytes/workgroup (compile time only)
; SGPRBlocks: 0
; VGPRBlocks: 0
; NumSGPRsForWavesPerEU: 1
; NumVGPRsForWavesPerEU: 1
; Occupancy: 16
; WaveLimiterHint : 0
; COMPUTE_PGM_RSRC2:SCRATCH_EN: 0
; COMPUTE_PGM_RSRC2:USER_SGPR: 2
; COMPUTE_PGM_RSRC2:TRAP_HANDLER: 0
; COMPUTE_PGM_RSRC2:TGID_X_EN: 1
; COMPUTE_PGM_RSRC2:TGID_Y_EN: 0
; COMPUTE_PGM_RSRC2:TGID_Z_EN: 0
; COMPUTE_PGM_RSRC2:TIDIG_COMP_CNT: 0
	.section	.text._ZN7rocprim17ROCPRIM_400000_NS6detail17trampoline_kernelINS0_14default_configENS1_25partition_config_selectorILNS1_17partition_subalgoE6EdNS0_10empty_typeEbEEZZNS1_14partition_implILS5_6ELb0ES3_mN6thrust23THRUST_200600_302600_NS6detail15normal_iteratorINSA_10device_ptrIdEEEEPS6_SG_NS0_5tupleIJSF_S6_EEENSH_IJSG_SG_EEES6_PlJNSB_9not_fun_tI7is_trueIdEEEEEE10hipError_tPvRmT3_T4_T5_T6_T7_T9_mT8_P12ihipStream_tbDpT10_ENKUlT_T0_E_clISt17integral_constantIbLb1EES18_EEDaS13_S14_EUlS13_E_NS1_11comp_targetILNS1_3genE4ELNS1_11target_archE910ELNS1_3gpuE8ELNS1_3repE0EEENS1_30default_config_static_selectorELNS0_4arch9wavefront6targetE0EEEvT1_,"axG",@progbits,_ZN7rocprim17ROCPRIM_400000_NS6detail17trampoline_kernelINS0_14default_configENS1_25partition_config_selectorILNS1_17partition_subalgoE6EdNS0_10empty_typeEbEEZZNS1_14partition_implILS5_6ELb0ES3_mN6thrust23THRUST_200600_302600_NS6detail15normal_iteratorINSA_10device_ptrIdEEEEPS6_SG_NS0_5tupleIJSF_S6_EEENSH_IJSG_SG_EEES6_PlJNSB_9not_fun_tI7is_trueIdEEEEEE10hipError_tPvRmT3_T4_T5_T6_T7_T9_mT8_P12ihipStream_tbDpT10_ENKUlT_T0_E_clISt17integral_constantIbLb1EES18_EEDaS13_S14_EUlS13_E_NS1_11comp_targetILNS1_3genE4ELNS1_11target_archE910ELNS1_3gpuE8ELNS1_3repE0EEENS1_30default_config_static_selectorELNS0_4arch9wavefront6targetE0EEEvT1_,comdat
	.protected	_ZN7rocprim17ROCPRIM_400000_NS6detail17trampoline_kernelINS0_14default_configENS1_25partition_config_selectorILNS1_17partition_subalgoE6EdNS0_10empty_typeEbEEZZNS1_14partition_implILS5_6ELb0ES3_mN6thrust23THRUST_200600_302600_NS6detail15normal_iteratorINSA_10device_ptrIdEEEEPS6_SG_NS0_5tupleIJSF_S6_EEENSH_IJSG_SG_EEES6_PlJNSB_9not_fun_tI7is_trueIdEEEEEE10hipError_tPvRmT3_T4_T5_T6_T7_T9_mT8_P12ihipStream_tbDpT10_ENKUlT_T0_E_clISt17integral_constantIbLb1EES18_EEDaS13_S14_EUlS13_E_NS1_11comp_targetILNS1_3genE4ELNS1_11target_archE910ELNS1_3gpuE8ELNS1_3repE0EEENS1_30default_config_static_selectorELNS0_4arch9wavefront6targetE0EEEvT1_ ; -- Begin function _ZN7rocprim17ROCPRIM_400000_NS6detail17trampoline_kernelINS0_14default_configENS1_25partition_config_selectorILNS1_17partition_subalgoE6EdNS0_10empty_typeEbEEZZNS1_14partition_implILS5_6ELb0ES3_mN6thrust23THRUST_200600_302600_NS6detail15normal_iteratorINSA_10device_ptrIdEEEEPS6_SG_NS0_5tupleIJSF_S6_EEENSH_IJSG_SG_EEES6_PlJNSB_9not_fun_tI7is_trueIdEEEEEE10hipError_tPvRmT3_T4_T5_T6_T7_T9_mT8_P12ihipStream_tbDpT10_ENKUlT_T0_E_clISt17integral_constantIbLb1EES18_EEDaS13_S14_EUlS13_E_NS1_11comp_targetILNS1_3genE4ELNS1_11target_archE910ELNS1_3gpuE8ELNS1_3repE0EEENS1_30default_config_static_selectorELNS0_4arch9wavefront6targetE0EEEvT1_
	.globl	_ZN7rocprim17ROCPRIM_400000_NS6detail17trampoline_kernelINS0_14default_configENS1_25partition_config_selectorILNS1_17partition_subalgoE6EdNS0_10empty_typeEbEEZZNS1_14partition_implILS5_6ELb0ES3_mN6thrust23THRUST_200600_302600_NS6detail15normal_iteratorINSA_10device_ptrIdEEEEPS6_SG_NS0_5tupleIJSF_S6_EEENSH_IJSG_SG_EEES6_PlJNSB_9not_fun_tI7is_trueIdEEEEEE10hipError_tPvRmT3_T4_T5_T6_T7_T9_mT8_P12ihipStream_tbDpT10_ENKUlT_T0_E_clISt17integral_constantIbLb1EES18_EEDaS13_S14_EUlS13_E_NS1_11comp_targetILNS1_3genE4ELNS1_11target_archE910ELNS1_3gpuE8ELNS1_3repE0EEENS1_30default_config_static_selectorELNS0_4arch9wavefront6targetE0EEEvT1_
	.p2align	8
	.type	_ZN7rocprim17ROCPRIM_400000_NS6detail17trampoline_kernelINS0_14default_configENS1_25partition_config_selectorILNS1_17partition_subalgoE6EdNS0_10empty_typeEbEEZZNS1_14partition_implILS5_6ELb0ES3_mN6thrust23THRUST_200600_302600_NS6detail15normal_iteratorINSA_10device_ptrIdEEEEPS6_SG_NS0_5tupleIJSF_S6_EEENSH_IJSG_SG_EEES6_PlJNSB_9not_fun_tI7is_trueIdEEEEEE10hipError_tPvRmT3_T4_T5_T6_T7_T9_mT8_P12ihipStream_tbDpT10_ENKUlT_T0_E_clISt17integral_constantIbLb1EES18_EEDaS13_S14_EUlS13_E_NS1_11comp_targetILNS1_3genE4ELNS1_11target_archE910ELNS1_3gpuE8ELNS1_3repE0EEENS1_30default_config_static_selectorELNS0_4arch9wavefront6targetE0EEEvT1_,@function
_ZN7rocprim17ROCPRIM_400000_NS6detail17trampoline_kernelINS0_14default_configENS1_25partition_config_selectorILNS1_17partition_subalgoE6EdNS0_10empty_typeEbEEZZNS1_14partition_implILS5_6ELb0ES3_mN6thrust23THRUST_200600_302600_NS6detail15normal_iteratorINSA_10device_ptrIdEEEEPS6_SG_NS0_5tupleIJSF_S6_EEENSH_IJSG_SG_EEES6_PlJNSB_9not_fun_tI7is_trueIdEEEEEE10hipError_tPvRmT3_T4_T5_T6_T7_T9_mT8_P12ihipStream_tbDpT10_ENKUlT_T0_E_clISt17integral_constantIbLb1EES18_EEDaS13_S14_EUlS13_E_NS1_11comp_targetILNS1_3genE4ELNS1_11target_archE910ELNS1_3gpuE8ELNS1_3repE0EEENS1_30default_config_static_selectorELNS0_4arch9wavefront6targetE0EEEvT1_: ; @_ZN7rocprim17ROCPRIM_400000_NS6detail17trampoline_kernelINS0_14default_configENS1_25partition_config_selectorILNS1_17partition_subalgoE6EdNS0_10empty_typeEbEEZZNS1_14partition_implILS5_6ELb0ES3_mN6thrust23THRUST_200600_302600_NS6detail15normal_iteratorINSA_10device_ptrIdEEEEPS6_SG_NS0_5tupleIJSF_S6_EEENSH_IJSG_SG_EEES6_PlJNSB_9not_fun_tI7is_trueIdEEEEEE10hipError_tPvRmT3_T4_T5_T6_T7_T9_mT8_P12ihipStream_tbDpT10_ENKUlT_T0_E_clISt17integral_constantIbLb1EES18_EEDaS13_S14_EUlS13_E_NS1_11comp_targetILNS1_3genE4ELNS1_11target_archE910ELNS1_3gpuE8ELNS1_3repE0EEENS1_30default_config_static_selectorELNS0_4arch9wavefront6targetE0EEEvT1_
; %bb.0:
	.section	.rodata,"a",@progbits
	.p2align	6, 0x0
	.amdhsa_kernel _ZN7rocprim17ROCPRIM_400000_NS6detail17trampoline_kernelINS0_14default_configENS1_25partition_config_selectorILNS1_17partition_subalgoE6EdNS0_10empty_typeEbEEZZNS1_14partition_implILS5_6ELb0ES3_mN6thrust23THRUST_200600_302600_NS6detail15normal_iteratorINSA_10device_ptrIdEEEEPS6_SG_NS0_5tupleIJSF_S6_EEENSH_IJSG_SG_EEES6_PlJNSB_9not_fun_tI7is_trueIdEEEEEE10hipError_tPvRmT3_T4_T5_T6_T7_T9_mT8_P12ihipStream_tbDpT10_ENKUlT_T0_E_clISt17integral_constantIbLb1EES18_EEDaS13_S14_EUlS13_E_NS1_11comp_targetILNS1_3genE4ELNS1_11target_archE910ELNS1_3gpuE8ELNS1_3repE0EEENS1_30default_config_static_selectorELNS0_4arch9wavefront6targetE0EEEvT1_
		.amdhsa_group_segment_fixed_size 0
		.amdhsa_private_segment_fixed_size 0
		.amdhsa_kernarg_size 128
		.amdhsa_user_sgpr_count 2
		.amdhsa_user_sgpr_dispatch_ptr 0
		.amdhsa_user_sgpr_queue_ptr 0
		.amdhsa_user_sgpr_kernarg_segment_ptr 1
		.amdhsa_user_sgpr_dispatch_id 0
		.amdhsa_user_sgpr_private_segment_size 0
		.amdhsa_wavefront_size32 1
		.amdhsa_uses_dynamic_stack 0
		.amdhsa_enable_private_segment 0
		.amdhsa_system_sgpr_workgroup_id_x 1
		.amdhsa_system_sgpr_workgroup_id_y 0
		.amdhsa_system_sgpr_workgroup_id_z 0
		.amdhsa_system_sgpr_workgroup_info 0
		.amdhsa_system_vgpr_workitem_id 0
		.amdhsa_next_free_vgpr 1
		.amdhsa_next_free_sgpr 1
		.amdhsa_reserve_vcc 0
		.amdhsa_float_round_mode_32 0
		.amdhsa_float_round_mode_16_64 0
		.amdhsa_float_denorm_mode_32 3
		.amdhsa_float_denorm_mode_16_64 3
		.amdhsa_fp16_overflow 0
		.amdhsa_workgroup_processor_mode 1
		.amdhsa_memory_ordered 1
		.amdhsa_forward_progress 1
		.amdhsa_inst_pref_size 0
		.amdhsa_round_robin_scheduling 0
		.amdhsa_exception_fp_ieee_invalid_op 0
		.amdhsa_exception_fp_denorm_src 0
		.amdhsa_exception_fp_ieee_div_zero 0
		.amdhsa_exception_fp_ieee_overflow 0
		.amdhsa_exception_fp_ieee_underflow 0
		.amdhsa_exception_fp_ieee_inexact 0
		.amdhsa_exception_int_div_zero 0
	.end_amdhsa_kernel
	.section	.text._ZN7rocprim17ROCPRIM_400000_NS6detail17trampoline_kernelINS0_14default_configENS1_25partition_config_selectorILNS1_17partition_subalgoE6EdNS0_10empty_typeEbEEZZNS1_14partition_implILS5_6ELb0ES3_mN6thrust23THRUST_200600_302600_NS6detail15normal_iteratorINSA_10device_ptrIdEEEEPS6_SG_NS0_5tupleIJSF_S6_EEENSH_IJSG_SG_EEES6_PlJNSB_9not_fun_tI7is_trueIdEEEEEE10hipError_tPvRmT3_T4_T5_T6_T7_T9_mT8_P12ihipStream_tbDpT10_ENKUlT_T0_E_clISt17integral_constantIbLb1EES18_EEDaS13_S14_EUlS13_E_NS1_11comp_targetILNS1_3genE4ELNS1_11target_archE910ELNS1_3gpuE8ELNS1_3repE0EEENS1_30default_config_static_selectorELNS0_4arch9wavefront6targetE0EEEvT1_,"axG",@progbits,_ZN7rocprim17ROCPRIM_400000_NS6detail17trampoline_kernelINS0_14default_configENS1_25partition_config_selectorILNS1_17partition_subalgoE6EdNS0_10empty_typeEbEEZZNS1_14partition_implILS5_6ELb0ES3_mN6thrust23THRUST_200600_302600_NS6detail15normal_iteratorINSA_10device_ptrIdEEEEPS6_SG_NS0_5tupleIJSF_S6_EEENSH_IJSG_SG_EEES6_PlJNSB_9not_fun_tI7is_trueIdEEEEEE10hipError_tPvRmT3_T4_T5_T6_T7_T9_mT8_P12ihipStream_tbDpT10_ENKUlT_T0_E_clISt17integral_constantIbLb1EES18_EEDaS13_S14_EUlS13_E_NS1_11comp_targetILNS1_3genE4ELNS1_11target_archE910ELNS1_3gpuE8ELNS1_3repE0EEENS1_30default_config_static_selectorELNS0_4arch9wavefront6targetE0EEEvT1_,comdat
.Lfunc_end1055:
	.size	_ZN7rocprim17ROCPRIM_400000_NS6detail17trampoline_kernelINS0_14default_configENS1_25partition_config_selectorILNS1_17partition_subalgoE6EdNS0_10empty_typeEbEEZZNS1_14partition_implILS5_6ELb0ES3_mN6thrust23THRUST_200600_302600_NS6detail15normal_iteratorINSA_10device_ptrIdEEEEPS6_SG_NS0_5tupleIJSF_S6_EEENSH_IJSG_SG_EEES6_PlJNSB_9not_fun_tI7is_trueIdEEEEEE10hipError_tPvRmT3_T4_T5_T6_T7_T9_mT8_P12ihipStream_tbDpT10_ENKUlT_T0_E_clISt17integral_constantIbLb1EES18_EEDaS13_S14_EUlS13_E_NS1_11comp_targetILNS1_3genE4ELNS1_11target_archE910ELNS1_3gpuE8ELNS1_3repE0EEENS1_30default_config_static_selectorELNS0_4arch9wavefront6targetE0EEEvT1_, .Lfunc_end1055-_ZN7rocprim17ROCPRIM_400000_NS6detail17trampoline_kernelINS0_14default_configENS1_25partition_config_selectorILNS1_17partition_subalgoE6EdNS0_10empty_typeEbEEZZNS1_14partition_implILS5_6ELb0ES3_mN6thrust23THRUST_200600_302600_NS6detail15normal_iteratorINSA_10device_ptrIdEEEEPS6_SG_NS0_5tupleIJSF_S6_EEENSH_IJSG_SG_EEES6_PlJNSB_9not_fun_tI7is_trueIdEEEEEE10hipError_tPvRmT3_T4_T5_T6_T7_T9_mT8_P12ihipStream_tbDpT10_ENKUlT_T0_E_clISt17integral_constantIbLb1EES18_EEDaS13_S14_EUlS13_E_NS1_11comp_targetILNS1_3genE4ELNS1_11target_archE910ELNS1_3gpuE8ELNS1_3repE0EEENS1_30default_config_static_selectorELNS0_4arch9wavefront6targetE0EEEvT1_
                                        ; -- End function
	.set _ZN7rocprim17ROCPRIM_400000_NS6detail17trampoline_kernelINS0_14default_configENS1_25partition_config_selectorILNS1_17partition_subalgoE6EdNS0_10empty_typeEbEEZZNS1_14partition_implILS5_6ELb0ES3_mN6thrust23THRUST_200600_302600_NS6detail15normal_iteratorINSA_10device_ptrIdEEEEPS6_SG_NS0_5tupleIJSF_S6_EEENSH_IJSG_SG_EEES6_PlJNSB_9not_fun_tI7is_trueIdEEEEEE10hipError_tPvRmT3_T4_T5_T6_T7_T9_mT8_P12ihipStream_tbDpT10_ENKUlT_T0_E_clISt17integral_constantIbLb1EES18_EEDaS13_S14_EUlS13_E_NS1_11comp_targetILNS1_3genE4ELNS1_11target_archE910ELNS1_3gpuE8ELNS1_3repE0EEENS1_30default_config_static_selectorELNS0_4arch9wavefront6targetE0EEEvT1_.num_vgpr, 0
	.set _ZN7rocprim17ROCPRIM_400000_NS6detail17trampoline_kernelINS0_14default_configENS1_25partition_config_selectorILNS1_17partition_subalgoE6EdNS0_10empty_typeEbEEZZNS1_14partition_implILS5_6ELb0ES3_mN6thrust23THRUST_200600_302600_NS6detail15normal_iteratorINSA_10device_ptrIdEEEEPS6_SG_NS0_5tupleIJSF_S6_EEENSH_IJSG_SG_EEES6_PlJNSB_9not_fun_tI7is_trueIdEEEEEE10hipError_tPvRmT3_T4_T5_T6_T7_T9_mT8_P12ihipStream_tbDpT10_ENKUlT_T0_E_clISt17integral_constantIbLb1EES18_EEDaS13_S14_EUlS13_E_NS1_11comp_targetILNS1_3genE4ELNS1_11target_archE910ELNS1_3gpuE8ELNS1_3repE0EEENS1_30default_config_static_selectorELNS0_4arch9wavefront6targetE0EEEvT1_.num_agpr, 0
	.set _ZN7rocprim17ROCPRIM_400000_NS6detail17trampoline_kernelINS0_14default_configENS1_25partition_config_selectorILNS1_17partition_subalgoE6EdNS0_10empty_typeEbEEZZNS1_14partition_implILS5_6ELb0ES3_mN6thrust23THRUST_200600_302600_NS6detail15normal_iteratorINSA_10device_ptrIdEEEEPS6_SG_NS0_5tupleIJSF_S6_EEENSH_IJSG_SG_EEES6_PlJNSB_9not_fun_tI7is_trueIdEEEEEE10hipError_tPvRmT3_T4_T5_T6_T7_T9_mT8_P12ihipStream_tbDpT10_ENKUlT_T0_E_clISt17integral_constantIbLb1EES18_EEDaS13_S14_EUlS13_E_NS1_11comp_targetILNS1_3genE4ELNS1_11target_archE910ELNS1_3gpuE8ELNS1_3repE0EEENS1_30default_config_static_selectorELNS0_4arch9wavefront6targetE0EEEvT1_.numbered_sgpr, 0
	.set _ZN7rocprim17ROCPRIM_400000_NS6detail17trampoline_kernelINS0_14default_configENS1_25partition_config_selectorILNS1_17partition_subalgoE6EdNS0_10empty_typeEbEEZZNS1_14partition_implILS5_6ELb0ES3_mN6thrust23THRUST_200600_302600_NS6detail15normal_iteratorINSA_10device_ptrIdEEEEPS6_SG_NS0_5tupleIJSF_S6_EEENSH_IJSG_SG_EEES6_PlJNSB_9not_fun_tI7is_trueIdEEEEEE10hipError_tPvRmT3_T4_T5_T6_T7_T9_mT8_P12ihipStream_tbDpT10_ENKUlT_T0_E_clISt17integral_constantIbLb1EES18_EEDaS13_S14_EUlS13_E_NS1_11comp_targetILNS1_3genE4ELNS1_11target_archE910ELNS1_3gpuE8ELNS1_3repE0EEENS1_30default_config_static_selectorELNS0_4arch9wavefront6targetE0EEEvT1_.num_named_barrier, 0
	.set _ZN7rocprim17ROCPRIM_400000_NS6detail17trampoline_kernelINS0_14default_configENS1_25partition_config_selectorILNS1_17partition_subalgoE6EdNS0_10empty_typeEbEEZZNS1_14partition_implILS5_6ELb0ES3_mN6thrust23THRUST_200600_302600_NS6detail15normal_iteratorINSA_10device_ptrIdEEEEPS6_SG_NS0_5tupleIJSF_S6_EEENSH_IJSG_SG_EEES6_PlJNSB_9not_fun_tI7is_trueIdEEEEEE10hipError_tPvRmT3_T4_T5_T6_T7_T9_mT8_P12ihipStream_tbDpT10_ENKUlT_T0_E_clISt17integral_constantIbLb1EES18_EEDaS13_S14_EUlS13_E_NS1_11comp_targetILNS1_3genE4ELNS1_11target_archE910ELNS1_3gpuE8ELNS1_3repE0EEENS1_30default_config_static_selectorELNS0_4arch9wavefront6targetE0EEEvT1_.private_seg_size, 0
	.set _ZN7rocprim17ROCPRIM_400000_NS6detail17trampoline_kernelINS0_14default_configENS1_25partition_config_selectorILNS1_17partition_subalgoE6EdNS0_10empty_typeEbEEZZNS1_14partition_implILS5_6ELb0ES3_mN6thrust23THRUST_200600_302600_NS6detail15normal_iteratorINSA_10device_ptrIdEEEEPS6_SG_NS0_5tupleIJSF_S6_EEENSH_IJSG_SG_EEES6_PlJNSB_9not_fun_tI7is_trueIdEEEEEE10hipError_tPvRmT3_T4_T5_T6_T7_T9_mT8_P12ihipStream_tbDpT10_ENKUlT_T0_E_clISt17integral_constantIbLb1EES18_EEDaS13_S14_EUlS13_E_NS1_11comp_targetILNS1_3genE4ELNS1_11target_archE910ELNS1_3gpuE8ELNS1_3repE0EEENS1_30default_config_static_selectorELNS0_4arch9wavefront6targetE0EEEvT1_.uses_vcc, 0
	.set _ZN7rocprim17ROCPRIM_400000_NS6detail17trampoline_kernelINS0_14default_configENS1_25partition_config_selectorILNS1_17partition_subalgoE6EdNS0_10empty_typeEbEEZZNS1_14partition_implILS5_6ELb0ES3_mN6thrust23THRUST_200600_302600_NS6detail15normal_iteratorINSA_10device_ptrIdEEEEPS6_SG_NS0_5tupleIJSF_S6_EEENSH_IJSG_SG_EEES6_PlJNSB_9not_fun_tI7is_trueIdEEEEEE10hipError_tPvRmT3_T4_T5_T6_T7_T9_mT8_P12ihipStream_tbDpT10_ENKUlT_T0_E_clISt17integral_constantIbLb1EES18_EEDaS13_S14_EUlS13_E_NS1_11comp_targetILNS1_3genE4ELNS1_11target_archE910ELNS1_3gpuE8ELNS1_3repE0EEENS1_30default_config_static_selectorELNS0_4arch9wavefront6targetE0EEEvT1_.uses_flat_scratch, 0
	.set _ZN7rocprim17ROCPRIM_400000_NS6detail17trampoline_kernelINS0_14default_configENS1_25partition_config_selectorILNS1_17partition_subalgoE6EdNS0_10empty_typeEbEEZZNS1_14partition_implILS5_6ELb0ES3_mN6thrust23THRUST_200600_302600_NS6detail15normal_iteratorINSA_10device_ptrIdEEEEPS6_SG_NS0_5tupleIJSF_S6_EEENSH_IJSG_SG_EEES6_PlJNSB_9not_fun_tI7is_trueIdEEEEEE10hipError_tPvRmT3_T4_T5_T6_T7_T9_mT8_P12ihipStream_tbDpT10_ENKUlT_T0_E_clISt17integral_constantIbLb1EES18_EEDaS13_S14_EUlS13_E_NS1_11comp_targetILNS1_3genE4ELNS1_11target_archE910ELNS1_3gpuE8ELNS1_3repE0EEENS1_30default_config_static_selectorELNS0_4arch9wavefront6targetE0EEEvT1_.has_dyn_sized_stack, 0
	.set _ZN7rocprim17ROCPRIM_400000_NS6detail17trampoline_kernelINS0_14default_configENS1_25partition_config_selectorILNS1_17partition_subalgoE6EdNS0_10empty_typeEbEEZZNS1_14partition_implILS5_6ELb0ES3_mN6thrust23THRUST_200600_302600_NS6detail15normal_iteratorINSA_10device_ptrIdEEEEPS6_SG_NS0_5tupleIJSF_S6_EEENSH_IJSG_SG_EEES6_PlJNSB_9not_fun_tI7is_trueIdEEEEEE10hipError_tPvRmT3_T4_T5_T6_T7_T9_mT8_P12ihipStream_tbDpT10_ENKUlT_T0_E_clISt17integral_constantIbLb1EES18_EEDaS13_S14_EUlS13_E_NS1_11comp_targetILNS1_3genE4ELNS1_11target_archE910ELNS1_3gpuE8ELNS1_3repE0EEENS1_30default_config_static_selectorELNS0_4arch9wavefront6targetE0EEEvT1_.has_recursion, 0
	.set _ZN7rocprim17ROCPRIM_400000_NS6detail17trampoline_kernelINS0_14default_configENS1_25partition_config_selectorILNS1_17partition_subalgoE6EdNS0_10empty_typeEbEEZZNS1_14partition_implILS5_6ELb0ES3_mN6thrust23THRUST_200600_302600_NS6detail15normal_iteratorINSA_10device_ptrIdEEEEPS6_SG_NS0_5tupleIJSF_S6_EEENSH_IJSG_SG_EEES6_PlJNSB_9not_fun_tI7is_trueIdEEEEEE10hipError_tPvRmT3_T4_T5_T6_T7_T9_mT8_P12ihipStream_tbDpT10_ENKUlT_T0_E_clISt17integral_constantIbLb1EES18_EEDaS13_S14_EUlS13_E_NS1_11comp_targetILNS1_3genE4ELNS1_11target_archE910ELNS1_3gpuE8ELNS1_3repE0EEENS1_30default_config_static_selectorELNS0_4arch9wavefront6targetE0EEEvT1_.has_indirect_call, 0
	.section	.AMDGPU.csdata,"",@progbits
; Kernel info:
; codeLenInByte = 0
; TotalNumSgprs: 0
; NumVgprs: 0
; ScratchSize: 0
; MemoryBound: 0
; FloatMode: 240
; IeeeMode: 1
; LDSByteSize: 0 bytes/workgroup (compile time only)
; SGPRBlocks: 0
; VGPRBlocks: 0
; NumSGPRsForWavesPerEU: 1
; NumVGPRsForWavesPerEU: 1
; Occupancy: 16
; WaveLimiterHint : 0
; COMPUTE_PGM_RSRC2:SCRATCH_EN: 0
; COMPUTE_PGM_RSRC2:USER_SGPR: 2
; COMPUTE_PGM_RSRC2:TRAP_HANDLER: 0
; COMPUTE_PGM_RSRC2:TGID_X_EN: 1
; COMPUTE_PGM_RSRC2:TGID_Y_EN: 0
; COMPUTE_PGM_RSRC2:TGID_Z_EN: 0
; COMPUTE_PGM_RSRC2:TIDIG_COMP_CNT: 0
	.section	.text._ZN7rocprim17ROCPRIM_400000_NS6detail17trampoline_kernelINS0_14default_configENS1_25partition_config_selectorILNS1_17partition_subalgoE6EdNS0_10empty_typeEbEEZZNS1_14partition_implILS5_6ELb0ES3_mN6thrust23THRUST_200600_302600_NS6detail15normal_iteratorINSA_10device_ptrIdEEEEPS6_SG_NS0_5tupleIJSF_S6_EEENSH_IJSG_SG_EEES6_PlJNSB_9not_fun_tI7is_trueIdEEEEEE10hipError_tPvRmT3_T4_T5_T6_T7_T9_mT8_P12ihipStream_tbDpT10_ENKUlT_T0_E_clISt17integral_constantIbLb1EES18_EEDaS13_S14_EUlS13_E_NS1_11comp_targetILNS1_3genE3ELNS1_11target_archE908ELNS1_3gpuE7ELNS1_3repE0EEENS1_30default_config_static_selectorELNS0_4arch9wavefront6targetE0EEEvT1_,"axG",@progbits,_ZN7rocprim17ROCPRIM_400000_NS6detail17trampoline_kernelINS0_14default_configENS1_25partition_config_selectorILNS1_17partition_subalgoE6EdNS0_10empty_typeEbEEZZNS1_14partition_implILS5_6ELb0ES3_mN6thrust23THRUST_200600_302600_NS6detail15normal_iteratorINSA_10device_ptrIdEEEEPS6_SG_NS0_5tupleIJSF_S6_EEENSH_IJSG_SG_EEES6_PlJNSB_9not_fun_tI7is_trueIdEEEEEE10hipError_tPvRmT3_T4_T5_T6_T7_T9_mT8_P12ihipStream_tbDpT10_ENKUlT_T0_E_clISt17integral_constantIbLb1EES18_EEDaS13_S14_EUlS13_E_NS1_11comp_targetILNS1_3genE3ELNS1_11target_archE908ELNS1_3gpuE7ELNS1_3repE0EEENS1_30default_config_static_selectorELNS0_4arch9wavefront6targetE0EEEvT1_,comdat
	.protected	_ZN7rocprim17ROCPRIM_400000_NS6detail17trampoline_kernelINS0_14default_configENS1_25partition_config_selectorILNS1_17partition_subalgoE6EdNS0_10empty_typeEbEEZZNS1_14partition_implILS5_6ELb0ES3_mN6thrust23THRUST_200600_302600_NS6detail15normal_iteratorINSA_10device_ptrIdEEEEPS6_SG_NS0_5tupleIJSF_S6_EEENSH_IJSG_SG_EEES6_PlJNSB_9not_fun_tI7is_trueIdEEEEEE10hipError_tPvRmT3_T4_T5_T6_T7_T9_mT8_P12ihipStream_tbDpT10_ENKUlT_T0_E_clISt17integral_constantIbLb1EES18_EEDaS13_S14_EUlS13_E_NS1_11comp_targetILNS1_3genE3ELNS1_11target_archE908ELNS1_3gpuE7ELNS1_3repE0EEENS1_30default_config_static_selectorELNS0_4arch9wavefront6targetE0EEEvT1_ ; -- Begin function _ZN7rocprim17ROCPRIM_400000_NS6detail17trampoline_kernelINS0_14default_configENS1_25partition_config_selectorILNS1_17partition_subalgoE6EdNS0_10empty_typeEbEEZZNS1_14partition_implILS5_6ELb0ES3_mN6thrust23THRUST_200600_302600_NS6detail15normal_iteratorINSA_10device_ptrIdEEEEPS6_SG_NS0_5tupleIJSF_S6_EEENSH_IJSG_SG_EEES6_PlJNSB_9not_fun_tI7is_trueIdEEEEEE10hipError_tPvRmT3_T4_T5_T6_T7_T9_mT8_P12ihipStream_tbDpT10_ENKUlT_T0_E_clISt17integral_constantIbLb1EES18_EEDaS13_S14_EUlS13_E_NS1_11comp_targetILNS1_3genE3ELNS1_11target_archE908ELNS1_3gpuE7ELNS1_3repE0EEENS1_30default_config_static_selectorELNS0_4arch9wavefront6targetE0EEEvT1_
	.globl	_ZN7rocprim17ROCPRIM_400000_NS6detail17trampoline_kernelINS0_14default_configENS1_25partition_config_selectorILNS1_17partition_subalgoE6EdNS0_10empty_typeEbEEZZNS1_14partition_implILS5_6ELb0ES3_mN6thrust23THRUST_200600_302600_NS6detail15normal_iteratorINSA_10device_ptrIdEEEEPS6_SG_NS0_5tupleIJSF_S6_EEENSH_IJSG_SG_EEES6_PlJNSB_9not_fun_tI7is_trueIdEEEEEE10hipError_tPvRmT3_T4_T5_T6_T7_T9_mT8_P12ihipStream_tbDpT10_ENKUlT_T0_E_clISt17integral_constantIbLb1EES18_EEDaS13_S14_EUlS13_E_NS1_11comp_targetILNS1_3genE3ELNS1_11target_archE908ELNS1_3gpuE7ELNS1_3repE0EEENS1_30default_config_static_selectorELNS0_4arch9wavefront6targetE0EEEvT1_
	.p2align	8
	.type	_ZN7rocprim17ROCPRIM_400000_NS6detail17trampoline_kernelINS0_14default_configENS1_25partition_config_selectorILNS1_17partition_subalgoE6EdNS0_10empty_typeEbEEZZNS1_14partition_implILS5_6ELb0ES3_mN6thrust23THRUST_200600_302600_NS6detail15normal_iteratorINSA_10device_ptrIdEEEEPS6_SG_NS0_5tupleIJSF_S6_EEENSH_IJSG_SG_EEES6_PlJNSB_9not_fun_tI7is_trueIdEEEEEE10hipError_tPvRmT3_T4_T5_T6_T7_T9_mT8_P12ihipStream_tbDpT10_ENKUlT_T0_E_clISt17integral_constantIbLb1EES18_EEDaS13_S14_EUlS13_E_NS1_11comp_targetILNS1_3genE3ELNS1_11target_archE908ELNS1_3gpuE7ELNS1_3repE0EEENS1_30default_config_static_selectorELNS0_4arch9wavefront6targetE0EEEvT1_,@function
_ZN7rocprim17ROCPRIM_400000_NS6detail17trampoline_kernelINS0_14default_configENS1_25partition_config_selectorILNS1_17partition_subalgoE6EdNS0_10empty_typeEbEEZZNS1_14partition_implILS5_6ELb0ES3_mN6thrust23THRUST_200600_302600_NS6detail15normal_iteratorINSA_10device_ptrIdEEEEPS6_SG_NS0_5tupleIJSF_S6_EEENSH_IJSG_SG_EEES6_PlJNSB_9not_fun_tI7is_trueIdEEEEEE10hipError_tPvRmT3_T4_T5_T6_T7_T9_mT8_P12ihipStream_tbDpT10_ENKUlT_T0_E_clISt17integral_constantIbLb1EES18_EEDaS13_S14_EUlS13_E_NS1_11comp_targetILNS1_3genE3ELNS1_11target_archE908ELNS1_3gpuE7ELNS1_3repE0EEENS1_30default_config_static_selectorELNS0_4arch9wavefront6targetE0EEEvT1_: ; @_ZN7rocprim17ROCPRIM_400000_NS6detail17trampoline_kernelINS0_14default_configENS1_25partition_config_selectorILNS1_17partition_subalgoE6EdNS0_10empty_typeEbEEZZNS1_14partition_implILS5_6ELb0ES3_mN6thrust23THRUST_200600_302600_NS6detail15normal_iteratorINSA_10device_ptrIdEEEEPS6_SG_NS0_5tupleIJSF_S6_EEENSH_IJSG_SG_EEES6_PlJNSB_9not_fun_tI7is_trueIdEEEEEE10hipError_tPvRmT3_T4_T5_T6_T7_T9_mT8_P12ihipStream_tbDpT10_ENKUlT_T0_E_clISt17integral_constantIbLb1EES18_EEDaS13_S14_EUlS13_E_NS1_11comp_targetILNS1_3genE3ELNS1_11target_archE908ELNS1_3gpuE7ELNS1_3repE0EEENS1_30default_config_static_selectorELNS0_4arch9wavefront6targetE0EEEvT1_
; %bb.0:
	.section	.rodata,"a",@progbits
	.p2align	6, 0x0
	.amdhsa_kernel _ZN7rocprim17ROCPRIM_400000_NS6detail17trampoline_kernelINS0_14default_configENS1_25partition_config_selectorILNS1_17partition_subalgoE6EdNS0_10empty_typeEbEEZZNS1_14partition_implILS5_6ELb0ES3_mN6thrust23THRUST_200600_302600_NS6detail15normal_iteratorINSA_10device_ptrIdEEEEPS6_SG_NS0_5tupleIJSF_S6_EEENSH_IJSG_SG_EEES6_PlJNSB_9not_fun_tI7is_trueIdEEEEEE10hipError_tPvRmT3_T4_T5_T6_T7_T9_mT8_P12ihipStream_tbDpT10_ENKUlT_T0_E_clISt17integral_constantIbLb1EES18_EEDaS13_S14_EUlS13_E_NS1_11comp_targetILNS1_3genE3ELNS1_11target_archE908ELNS1_3gpuE7ELNS1_3repE0EEENS1_30default_config_static_selectorELNS0_4arch9wavefront6targetE0EEEvT1_
		.amdhsa_group_segment_fixed_size 0
		.amdhsa_private_segment_fixed_size 0
		.amdhsa_kernarg_size 128
		.amdhsa_user_sgpr_count 2
		.amdhsa_user_sgpr_dispatch_ptr 0
		.amdhsa_user_sgpr_queue_ptr 0
		.amdhsa_user_sgpr_kernarg_segment_ptr 1
		.amdhsa_user_sgpr_dispatch_id 0
		.amdhsa_user_sgpr_private_segment_size 0
		.amdhsa_wavefront_size32 1
		.amdhsa_uses_dynamic_stack 0
		.amdhsa_enable_private_segment 0
		.amdhsa_system_sgpr_workgroup_id_x 1
		.amdhsa_system_sgpr_workgroup_id_y 0
		.amdhsa_system_sgpr_workgroup_id_z 0
		.amdhsa_system_sgpr_workgroup_info 0
		.amdhsa_system_vgpr_workitem_id 0
		.amdhsa_next_free_vgpr 1
		.amdhsa_next_free_sgpr 1
		.amdhsa_reserve_vcc 0
		.amdhsa_float_round_mode_32 0
		.amdhsa_float_round_mode_16_64 0
		.amdhsa_float_denorm_mode_32 3
		.amdhsa_float_denorm_mode_16_64 3
		.amdhsa_fp16_overflow 0
		.amdhsa_workgroup_processor_mode 1
		.amdhsa_memory_ordered 1
		.amdhsa_forward_progress 1
		.amdhsa_inst_pref_size 0
		.amdhsa_round_robin_scheduling 0
		.amdhsa_exception_fp_ieee_invalid_op 0
		.amdhsa_exception_fp_denorm_src 0
		.amdhsa_exception_fp_ieee_div_zero 0
		.amdhsa_exception_fp_ieee_overflow 0
		.amdhsa_exception_fp_ieee_underflow 0
		.amdhsa_exception_fp_ieee_inexact 0
		.amdhsa_exception_int_div_zero 0
	.end_amdhsa_kernel
	.section	.text._ZN7rocprim17ROCPRIM_400000_NS6detail17trampoline_kernelINS0_14default_configENS1_25partition_config_selectorILNS1_17partition_subalgoE6EdNS0_10empty_typeEbEEZZNS1_14partition_implILS5_6ELb0ES3_mN6thrust23THRUST_200600_302600_NS6detail15normal_iteratorINSA_10device_ptrIdEEEEPS6_SG_NS0_5tupleIJSF_S6_EEENSH_IJSG_SG_EEES6_PlJNSB_9not_fun_tI7is_trueIdEEEEEE10hipError_tPvRmT3_T4_T5_T6_T7_T9_mT8_P12ihipStream_tbDpT10_ENKUlT_T0_E_clISt17integral_constantIbLb1EES18_EEDaS13_S14_EUlS13_E_NS1_11comp_targetILNS1_3genE3ELNS1_11target_archE908ELNS1_3gpuE7ELNS1_3repE0EEENS1_30default_config_static_selectorELNS0_4arch9wavefront6targetE0EEEvT1_,"axG",@progbits,_ZN7rocprim17ROCPRIM_400000_NS6detail17trampoline_kernelINS0_14default_configENS1_25partition_config_selectorILNS1_17partition_subalgoE6EdNS0_10empty_typeEbEEZZNS1_14partition_implILS5_6ELb0ES3_mN6thrust23THRUST_200600_302600_NS6detail15normal_iteratorINSA_10device_ptrIdEEEEPS6_SG_NS0_5tupleIJSF_S6_EEENSH_IJSG_SG_EEES6_PlJNSB_9not_fun_tI7is_trueIdEEEEEE10hipError_tPvRmT3_T4_T5_T6_T7_T9_mT8_P12ihipStream_tbDpT10_ENKUlT_T0_E_clISt17integral_constantIbLb1EES18_EEDaS13_S14_EUlS13_E_NS1_11comp_targetILNS1_3genE3ELNS1_11target_archE908ELNS1_3gpuE7ELNS1_3repE0EEENS1_30default_config_static_selectorELNS0_4arch9wavefront6targetE0EEEvT1_,comdat
.Lfunc_end1056:
	.size	_ZN7rocprim17ROCPRIM_400000_NS6detail17trampoline_kernelINS0_14default_configENS1_25partition_config_selectorILNS1_17partition_subalgoE6EdNS0_10empty_typeEbEEZZNS1_14partition_implILS5_6ELb0ES3_mN6thrust23THRUST_200600_302600_NS6detail15normal_iteratorINSA_10device_ptrIdEEEEPS6_SG_NS0_5tupleIJSF_S6_EEENSH_IJSG_SG_EEES6_PlJNSB_9not_fun_tI7is_trueIdEEEEEE10hipError_tPvRmT3_T4_T5_T6_T7_T9_mT8_P12ihipStream_tbDpT10_ENKUlT_T0_E_clISt17integral_constantIbLb1EES18_EEDaS13_S14_EUlS13_E_NS1_11comp_targetILNS1_3genE3ELNS1_11target_archE908ELNS1_3gpuE7ELNS1_3repE0EEENS1_30default_config_static_selectorELNS0_4arch9wavefront6targetE0EEEvT1_, .Lfunc_end1056-_ZN7rocprim17ROCPRIM_400000_NS6detail17trampoline_kernelINS0_14default_configENS1_25partition_config_selectorILNS1_17partition_subalgoE6EdNS0_10empty_typeEbEEZZNS1_14partition_implILS5_6ELb0ES3_mN6thrust23THRUST_200600_302600_NS6detail15normal_iteratorINSA_10device_ptrIdEEEEPS6_SG_NS0_5tupleIJSF_S6_EEENSH_IJSG_SG_EEES6_PlJNSB_9not_fun_tI7is_trueIdEEEEEE10hipError_tPvRmT3_T4_T5_T6_T7_T9_mT8_P12ihipStream_tbDpT10_ENKUlT_T0_E_clISt17integral_constantIbLb1EES18_EEDaS13_S14_EUlS13_E_NS1_11comp_targetILNS1_3genE3ELNS1_11target_archE908ELNS1_3gpuE7ELNS1_3repE0EEENS1_30default_config_static_selectorELNS0_4arch9wavefront6targetE0EEEvT1_
                                        ; -- End function
	.set _ZN7rocprim17ROCPRIM_400000_NS6detail17trampoline_kernelINS0_14default_configENS1_25partition_config_selectorILNS1_17partition_subalgoE6EdNS0_10empty_typeEbEEZZNS1_14partition_implILS5_6ELb0ES3_mN6thrust23THRUST_200600_302600_NS6detail15normal_iteratorINSA_10device_ptrIdEEEEPS6_SG_NS0_5tupleIJSF_S6_EEENSH_IJSG_SG_EEES6_PlJNSB_9not_fun_tI7is_trueIdEEEEEE10hipError_tPvRmT3_T4_T5_T6_T7_T9_mT8_P12ihipStream_tbDpT10_ENKUlT_T0_E_clISt17integral_constantIbLb1EES18_EEDaS13_S14_EUlS13_E_NS1_11comp_targetILNS1_3genE3ELNS1_11target_archE908ELNS1_3gpuE7ELNS1_3repE0EEENS1_30default_config_static_selectorELNS0_4arch9wavefront6targetE0EEEvT1_.num_vgpr, 0
	.set _ZN7rocprim17ROCPRIM_400000_NS6detail17trampoline_kernelINS0_14default_configENS1_25partition_config_selectorILNS1_17partition_subalgoE6EdNS0_10empty_typeEbEEZZNS1_14partition_implILS5_6ELb0ES3_mN6thrust23THRUST_200600_302600_NS6detail15normal_iteratorINSA_10device_ptrIdEEEEPS6_SG_NS0_5tupleIJSF_S6_EEENSH_IJSG_SG_EEES6_PlJNSB_9not_fun_tI7is_trueIdEEEEEE10hipError_tPvRmT3_T4_T5_T6_T7_T9_mT8_P12ihipStream_tbDpT10_ENKUlT_T0_E_clISt17integral_constantIbLb1EES18_EEDaS13_S14_EUlS13_E_NS1_11comp_targetILNS1_3genE3ELNS1_11target_archE908ELNS1_3gpuE7ELNS1_3repE0EEENS1_30default_config_static_selectorELNS0_4arch9wavefront6targetE0EEEvT1_.num_agpr, 0
	.set _ZN7rocprim17ROCPRIM_400000_NS6detail17trampoline_kernelINS0_14default_configENS1_25partition_config_selectorILNS1_17partition_subalgoE6EdNS0_10empty_typeEbEEZZNS1_14partition_implILS5_6ELb0ES3_mN6thrust23THRUST_200600_302600_NS6detail15normal_iteratorINSA_10device_ptrIdEEEEPS6_SG_NS0_5tupleIJSF_S6_EEENSH_IJSG_SG_EEES6_PlJNSB_9not_fun_tI7is_trueIdEEEEEE10hipError_tPvRmT3_T4_T5_T6_T7_T9_mT8_P12ihipStream_tbDpT10_ENKUlT_T0_E_clISt17integral_constantIbLb1EES18_EEDaS13_S14_EUlS13_E_NS1_11comp_targetILNS1_3genE3ELNS1_11target_archE908ELNS1_3gpuE7ELNS1_3repE0EEENS1_30default_config_static_selectorELNS0_4arch9wavefront6targetE0EEEvT1_.numbered_sgpr, 0
	.set _ZN7rocprim17ROCPRIM_400000_NS6detail17trampoline_kernelINS0_14default_configENS1_25partition_config_selectorILNS1_17partition_subalgoE6EdNS0_10empty_typeEbEEZZNS1_14partition_implILS5_6ELb0ES3_mN6thrust23THRUST_200600_302600_NS6detail15normal_iteratorINSA_10device_ptrIdEEEEPS6_SG_NS0_5tupleIJSF_S6_EEENSH_IJSG_SG_EEES6_PlJNSB_9not_fun_tI7is_trueIdEEEEEE10hipError_tPvRmT3_T4_T5_T6_T7_T9_mT8_P12ihipStream_tbDpT10_ENKUlT_T0_E_clISt17integral_constantIbLb1EES18_EEDaS13_S14_EUlS13_E_NS1_11comp_targetILNS1_3genE3ELNS1_11target_archE908ELNS1_3gpuE7ELNS1_3repE0EEENS1_30default_config_static_selectorELNS0_4arch9wavefront6targetE0EEEvT1_.num_named_barrier, 0
	.set _ZN7rocprim17ROCPRIM_400000_NS6detail17trampoline_kernelINS0_14default_configENS1_25partition_config_selectorILNS1_17partition_subalgoE6EdNS0_10empty_typeEbEEZZNS1_14partition_implILS5_6ELb0ES3_mN6thrust23THRUST_200600_302600_NS6detail15normal_iteratorINSA_10device_ptrIdEEEEPS6_SG_NS0_5tupleIJSF_S6_EEENSH_IJSG_SG_EEES6_PlJNSB_9not_fun_tI7is_trueIdEEEEEE10hipError_tPvRmT3_T4_T5_T6_T7_T9_mT8_P12ihipStream_tbDpT10_ENKUlT_T0_E_clISt17integral_constantIbLb1EES18_EEDaS13_S14_EUlS13_E_NS1_11comp_targetILNS1_3genE3ELNS1_11target_archE908ELNS1_3gpuE7ELNS1_3repE0EEENS1_30default_config_static_selectorELNS0_4arch9wavefront6targetE0EEEvT1_.private_seg_size, 0
	.set _ZN7rocprim17ROCPRIM_400000_NS6detail17trampoline_kernelINS0_14default_configENS1_25partition_config_selectorILNS1_17partition_subalgoE6EdNS0_10empty_typeEbEEZZNS1_14partition_implILS5_6ELb0ES3_mN6thrust23THRUST_200600_302600_NS6detail15normal_iteratorINSA_10device_ptrIdEEEEPS6_SG_NS0_5tupleIJSF_S6_EEENSH_IJSG_SG_EEES6_PlJNSB_9not_fun_tI7is_trueIdEEEEEE10hipError_tPvRmT3_T4_T5_T6_T7_T9_mT8_P12ihipStream_tbDpT10_ENKUlT_T0_E_clISt17integral_constantIbLb1EES18_EEDaS13_S14_EUlS13_E_NS1_11comp_targetILNS1_3genE3ELNS1_11target_archE908ELNS1_3gpuE7ELNS1_3repE0EEENS1_30default_config_static_selectorELNS0_4arch9wavefront6targetE0EEEvT1_.uses_vcc, 0
	.set _ZN7rocprim17ROCPRIM_400000_NS6detail17trampoline_kernelINS0_14default_configENS1_25partition_config_selectorILNS1_17partition_subalgoE6EdNS0_10empty_typeEbEEZZNS1_14partition_implILS5_6ELb0ES3_mN6thrust23THRUST_200600_302600_NS6detail15normal_iteratorINSA_10device_ptrIdEEEEPS6_SG_NS0_5tupleIJSF_S6_EEENSH_IJSG_SG_EEES6_PlJNSB_9not_fun_tI7is_trueIdEEEEEE10hipError_tPvRmT3_T4_T5_T6_T7_T9_mT8_P12ihipStream_tbDpT10_ENKUlT_T0_E_clISt17integral_constantIbLb1EES18_EEDaS13_S14_EUlS13_E_NS1_11comp_targetILNS1_3genE3ELNS1_11target_archE908ELNS1_3gpuE7ELNS1_3repE0EEENS1_30default_config_static_selectorELNS0_4arch9wavefront6targetE0EEEvT1_.uses_flat_scratch, 0
	.set _ZN7rocprim17ROCPRIM_400000_NS6detail17trampoline_kernelINS0_14default_configENS1_25partition_config_selectorILNS1_17partition_subalgoE6EdNS0_10empty_typeEbEEZZNS1_14partition_implILS5_6ELb0ES3_mN6thrust23THRUST_200600_302600_NS6detail15normal_iteratorINSA_10device_ptrIdEEEEPS6_SG_NS0_5tupleIJSF_S6_EEENSH_IJSG_SG_EEES6_PlJNSB_9not_fun_tI7is_trueIdEEEEEE10hipError_tPvRmT3_T4_T5_T6_T7_T9_mT8_P12ihipStream_tbDpT10_ENKUlT_T0_E_clISt17integral_constantIbLb1EES18_EEDaS13_S14_EUlS13_E_NS1_11comp_targetILNS1_3genE3ELNS1_11target_archE908ELNS1_3gpuE7ELNS1_3repE0EEENS1_30default_config_static_selectorELNS0_4arch9wavefront6targetE0EEEvT1_.has_dyn_sized_stack, 0
	.set _ZN7rocprim17ROCPRIM_400000_NS6detail17trampoline_kernelINS0_14default_configENS1_25partition_config_selectorILNS1_17partition_subalgoE6EdNS0_10empty_typeEbEEZZNS1_14partition_implILS5_6ELb0ES3_mN6thrust23THRUST_200600_302600_NS6detail15normal_iteratorINSA_10device_ptrIdEEEEPS6_SG_NS0_5tupleIJSF_S6_EEENSH_IJSG_SG_EEES6_PlJNSB_9not_fun_tI7is_trueIdEEEEEE10hipError_tPvRmT3_T4_T5_T6_T7_T9_mT8_P12ihipStream_tbDpT10_ENKUlT_T0_E_clISt17integral_constantIbLb1EES18_EEDaS13_S14_EUlS13_E_NS1_11comp_targetILNS1_3genE3ELNS1_11target_archE908ELNS1_3gpuE7ELNS1_3repE0EEENS1_30default_config_static_selectorELNS0_4arch9wavefront6targetE0EEEvT1_.has_recursion, 0
	.set _ZN7rocprim17ROCPRIM_400000_NS6detail17trampoline_kernelINS0_14default_configENS1_25partition_config_selectorILNS1_17partition_subalgoE6EdNS0_10empty_typeEbEEZZNS1_14partition_implILS5_6ELb0ES3_mN6thrust23THRUST_200600_302600_NS6detail15normal_iteratorINSA_10device_ptrIdEEEEPS6_SG_NS0_5tupleIJSF_S6_EEENSH_IJSG_SG_EEES6_PlJNSB_9not_fun_tI7is_trueIdEEEEEE10hipError_tPvRmT3_T4_T5_T6_T7_T9_mT8_P12ihipStream_tbDpT10_ENKUlT_T0_E_clISt17integral_constantIbLb1EES18_EEDaS13_S14_EUlS13_E_NS1_11comp_targetILNS1_3genE3ELNS1_11target_archE908ELNS1_3gpuE7ELNS1_3repE0EEENS1_30default_config_static_selectorELNS0_4arch9wavefront6targetE0EEEvT1_.has_indirect_call, 0
	.section	.AMDGPU.csdata,"",@progbits
; Kernel info:
; codeLenInByte = 0
; TotalNumSgprs: 0
; NumVgprs: 0
; ScratchSize: 0
; MemoryBound: 0
; FloatMode: 240
; IeeeMode: 1
; LDSByteSize: 0 bytes/workgroup (compile time only)
; SGPRBlocks: 0
; VGPRBlocks: 0
; NumSGPRsForWavesPerEU: 1
; NumVGPRsForWavesPerEU: 1
; Occupancy: 16
; WaveLimiterHint : 0
; COMPUTE_PGM_RSRC2:SCRATCH_EN: 0
; COMPUTE_PGM_RSRC2:USER_SGPR: 2
; COMPUTE_PGM_RSRC2:TRAP_HANDLER: 0
; COMPUTE_PGM_RSRC2:TGID_X_EN: 1
; COMPUTE_PGM_RSRC2:TGID_Y_EN: 0
; COMPUTE_PGM_RSRC2:TGID_Z_EN: 0
; COMPUTE_PGM_RSRC2:TIDIG_COMP_CNT: 0
	.section	.text._ZN7rocprim17ROCPRIM_400000_NS6detail17trampoline_kernelINS0_14default_configENS1_25partition_config_selectorILNS1_17partition_subalgoE6EdNS0_10empty_typeEbEEZZNS1_14partition_implILS5_6ELb0ES3_mN6thrust23THRUST_200600_302600_NS6detail15normal_iteratorINSA_10device_ptrIdEEEEPS6_SG_NS0_5tupleIJSF_S6_EEENSH_IJSG_SG_EEES6_PlJNSB_9not_fun_tI7is_trueIdEEEEEE10hipError_tPvRmT3_T4_T5_T6_T7_T9_mT8_P12ihipStream_tbDpT10_ENKUlT_T0_E_clISt17integral_constantIbLb1EES18_EEDaS13_S14_EUlS13_E_NS1_11comp_targetILNS1_3genE2ELNS1_11target_archE906ELNS1_3gpuE6ELNS1_3repE0EEENS1_30default_config_static_selectorELNS0_4arch9wavefront6targetE0EEEvT1_,"axG",@progbits,_ZN7rocprim17ROCPRIM_400000_NS6detail17trampoline_kernelINS0_14default_configENS1_25partition_config_selectorILNS1_17partition_subalgoE6EdNS0_10empty_typeEbEEZZNS1_14partition_implILS5_6ELb0ES3_mN6thrust23THRUST_200600_302600_NS6detail15normal_iteratorINSA_10device_ptrIdEEEEPS6_SG_NS0_5tupleIJSF_S6_EEENSH_IJSG_SG_EEES6_PlJNSB_9not_fun_tI7is_trueIdEEEEEE10hipError_tPvRmT3_T4_T5_T6_T7_T9_mT8_P12ihipStream_tbDpT10_ENKUlT_T0_E_clISt17integral_constantIbLb1EES18_EEDaS13_S14_EUlS13_E_NS1_11comp_targetILNS1_3genE2ELNS1_11target_archE906ELNS1_3gpuE6ELNS1_3repE0EEENS1_30default_config_static_selectorELNS0_4arch9wavefront6targetE0EEEvT1_,comdat
	.protected	_ZN7rocprim17ROCPRIM_400000_NS6detail17trampoline_kernelINS0_14default_configENS1_25partition_config_selectorILNS1_17partition_subalgoE6EdNS0_10empty_typeEbEEZZNS1_14partition_implILS5_6ELb0ES3_mN6thrust23THRUST_200600_302600_NS6detail15normal_iteratorINSA_10device_ptrIdEEEEPS6_SG_NS0_5tupleIJSF_S6_EEENSH_IJSG_SG_EEES6_PlJNSB_9not_fun_tI7is_trueIdEEEEEE10hipError_tPvRmT3_T4_T5_T6_T7_T9_mT8_P12ihipStream_tbDpT10_ENKUlT_T0_E_clISt17integral_constantIbLb1EES18_EEDaS13_S14_EUlS13_E_NS1_11comp_targetILNS1_3genE2ELNS1_11target_archE906ELNS1_3gpuE6ELNS1_3repE0EEENS1_30default_config_static_selectorELNS0_4arch9wavefront6targetE0EEEvT1_ ; -- Begin function _ZN7rocprim17ROCPRIM_400000_NS6detail17trampoline_kernelINS0_14default_configENS1_25partition_config_selectorILNS1_17partition_subalgoE6EdNS0_10empty_typeEbEEZZNS1_14partition_implILS5_6ELb0ES3_mN6thrust23THRUST_200600_302600_NS6detail15normal_iteratorINSA_10device_ptrIdEEEEPS6_SG_NS0_5tupleIJSF_S6_EEENSH_IJSG_SG_EEES6_PlJNSB_9not_fun_tI7is_trueIdEEEEEE10hipError_tPvRmT3_T4_T5_T6_T7_T9_mT8_P12ihipStream_tbDpT10_ENKUlT_T0_E_clISt17integral_constantIbLb1EES18_EEDaS13_S14_EUlS13_E_NS1_11comp_targetILNS1_3genE2ELNS1_11target_archE906ELNS1_3gpuE6ELNS1_3repE0EEENS1_30default_config_static_selectorELNS0_4arch9wavefront6targetE0EEEvT1_
	.globl	_ZN7rocprim17ROCPRIM_400000_NS6detail17trampoline_kernelINS0_14default_configENS1_25partition_config_selectorILNS1_17partition_subalgoE6EdNS0_10empty_typeEbEEZZNS1_14partition_implILS5_6ELb0ES3_mN6thrust23THRUST_200600_302600_NS6detail15normal_iteratorINSA_10device_ptrIdEEEEPS6_SG_NS0_5tupleIJSF_S6_EEENSH_IJSG_SG_EEES6_PlJNSB_9not_fun_tI7is_trueIdEEEEEE10hipError_tPvRmT3_T4_T5_T6_T7_T9_mT8_P12ihipStream_tbDpT10_ENKUlT_T0_E_clISt17integral_constantIbLb1EES18_EEDaS13_S14_EUlS13_E_NS1_11comp_targetILNS1_3genE2ELNS1_11target_archE906ELNS1_3gpuE6ELNS1_3repE0EEENS1_30default_config_static_selectorELNS0_4arch9wavefront6targetE0EEEvT1_
	.p2align	8
	.type	_ZN7rocprim17ROCPRIM_400000_NS6detail17trampoline_kernelINS0_14default_configENS1_25partition_config_selectorILNS1_17partition_subalgoE6EdNS0_10empty_typeEbEEZZNS1_14partition_implILS5_6ELb0ES3_mN6thrust23THRUST_200600_302600_NS6detail15normal_iteratorINSA_10device_ptrIdEEEEPS6_SG_NS0_5tupleIJSF_S6_EEENSH_IJSG_SG_EEES6_PlJNSB_9not_fun_tI7is_trueIdEEEEEE10hipError_tPvRmT3_T4_T5_T6_T7_T9_mT8_P12ihipStream_tbDpT10_ENKUlT_T0_E_clISt17integral_constantIbLb1EES18_EEDaS13_S14_EUlS13_E_NS1_11comp_targetILNS1_3genE2ELNS1_11target_archE906ELNS1_3gpuE6ELNS1_3repE0EEENS1_30default_config_static_selectorELNS0_4arch9wavefront6targetE0EEEvT1_,@function
_ZN7rocprim17ROCPRIM_400000_NS6detail17trampoline_kernelINS0_14default_configENS1_25partition_config_selectorILNS1_17partition_subalgoE6EdNS0_10empty_typeEbEEZZNS1_14partition_implILS5_6ELb0ES3_mN6thrust23THRUST_200600_302600_NS6detail15normal_iteratorINSA_10device_ptrIdEEEEPS6_SG_NS0_5tupleIJSF_S6_EEENSH_IJSG_SG_EEES6_PlJNSB_9not_fun_tI7is_trueIdEEEEEE10hipError_tPvRmT3_T4_T5_T6_T7_T9_mT8_P12ihipStream_tbDpT10_ENKUlT_T0_E_clISt17integral_constantIbLb1EES18_EEDaS13_S14_EUlS13_E_NS1_11comp_targetILNS1_3genE2ELNS1_11target_archE906ELNS1_3gpuE6ELNS1_3repE0EEENS1_30default_config_static_selectorELNS0_4arch9wavefront6targetE0EEEvT1_: ; @_ZN7rocprim17ROCPRIM_400000_NS6detail17trampoline_kernelINS0_14default_configENS1_25partition_config_selectorILNS1_17partition_subalgoE6EdNS0_10empty_typeEbEEZZNS1_14partition_implILS5_6ELb0ES3_mN6thrust23THRUST_200600_302600_NS6detail15normal_iteratorINSA_10device_ptrIdEEEEPS6_SG_NS0_5tupleIJSF_S6_EEENSH_IJSG_SG_EEES6_PlJNSB_9not_fun_tI7is_trueIdEEEEEE10hipError_tPvRmT3_T4_T5_T6_T7_T9_mT8_P12ihipStream_tbDpT10_ENKUlT_T0_E_clISt17integral_constantIbLb1EES18_EEDaS13_S14_EUlS13_E_NS1_11comp_targetILNS1_3genE2ELNS1_11target_archE906ELNS1_3gpuE6ELNS1_3repE0EEENS1_30default_config_static_selectorELNS0_4arch9wavefront6targetE0EEEvT1_
; %bb.0:
	.section	.rodata,"a",@progbits
	.p2align	6, 0x0
	.amdhsa_kernel _ZN7rocprim17ROCPRIM_400000_NS6detail17trampoline_kernelINS0_14default_configENS1_25partition_config_selectorILNS1_17partition_subalgoE6EdNS0_10empty_typeEbEEZZNS1_14partition_implILS5_6ELb0ES3_mN6thrust23THRUST_200600_302600_NS6detail15normal_iteratorINSA_10device_ptrIdEEEEPS6_SG_NS0_5tupleIJSF_S6_EEENSH_IJSG_SG_EEES6_PlJNSB_9not_fun_tI7is_trueIdEEEEEE10hipError_tPvRmT3_T4_T5_T6_T7_T9_mT8_P12ihipStream_tbDpT10_ENKUlT_T0_E_clISt17integral_constantIbLb1EES18_EEDaS13_S14_EUlS13_E_NS1_11comp_targetILNS1_3genE2ELNS1_11target_archE906ELNS1_3gpuE6ELNS1_3repE0EEENS1_30default_config_static_selectorELNS0_4arch9wavefront6targetE0EEEvT1_
		.amdhsa_group_segment_fixed_size 0
		.amdhsa_private_segment_fixed_size 0
		.amdhsa_kernarg_size 128
		.amdhsa_user_sgpr_count 2
		.amdhsa_user_sgpr_dispatch_ptr 0
		.amdhsa_user_sgpr_queue_ptr 0
		.amdhsa_user_sgpr_kernarg_segment_ptr 1
		.amdhsa_user_sgpr_dispatch_id 0
		.amdhsa_user_sgpr_private_segment_size 0
		.amdhsa_wavefront_size32 1
		.amdhsa_uses_dynamic_stack 0
		.amdhsa_enable_private_segment 0
		.amdhsa_system_sgpr_workgroup_id_x 1
		.amdhsa_system_sgpr_workgroup_id_y 0
		.amdhsa_system_sgpr_workgroup_id_z 0
		.amdhsa_system_sgpr_workgroup_info 0
		.amdhsa_system_vgpr_workitem_id 0
		.amdhsa_next_free_vgpr 1
		.amdhsa_next_free_sgpr 1
		.amdhsa_reserve_vcc 0
		.amdhsa_float_round_mode_32 0
		.amdhsa_float_round_mode_16_64 0
		.amdhsa_float_denorm_mode_32 3
		.amdhsa_float_denorm_mode_16_64 3
		.amdhsa_fp16_overflow 0
		.amdhsa_workgroup_processor_mode 1
		.amdhsa_memory_ordered 1
		.amdhsa_forward_progress 1
		.amdhsa_inst_pref_size 0
		.amdhsa_round_robin_scheduling 0
		.amdhsa_exception_fp_ieee_invalid_op 0
		.amdhsa_exception_fp_denorm_src 0
		.amdhsa_exception_fp_ieee_div_zero 0
		.amdhsa_exception_fp_ieee_overflow 0
		.amdhsa_exception_fp_ieee_underflow 0
		.amdhsa_exception_fp_ieee_inexact 0
		.amdhsa_exception_int_div_zero 0
	.end_amdhsa_kernel
	.section	.text._ZN7rocprim17ROCPRIM_400000_NS6detail17trampoline_kernelINS0_14default_configENS1_25partition_config_selectorILNS1_17partition_subalgoE6EdNS0_10empty_typeEbEEZZNS1_14partition_implILS5_6ELb0ES3_mN6thrust23THRUST_200600_302600_NS6detail15normal_iteratorINSA_10device_ptrIdEEEEPS6_SG_NS0_5tupleIJSF_S6_EEENSH_IJSG_SG_EEES6_PlJNSB_9not_fun_tI7is_trueIdEEEEEE10hipError_tPvRmT3_T4_T5_T6_T7_T9_mT8_P12ihipStream_tbDpT10_ENKUlT_T0_E_clISt17integral_constantIbLb1EES18_EEDaS13_S14_EUlS13_E_NS1_11comp_targetILNS1_3genE2ELNS1_11target_archE906ELNS1_3gpuE6ELNS1_3repE0EEENS1_30default_config_static_selectorELNS0_4arch9wavefront6targetE0EEEvT1_,"axG",@progbits,_ZN7rocprim17ROCPRIM_400000_NS6detail17trampoline_kernelINS0_14default_configENS1_25partition_config_selectorILNS1_17partition_subalgoE6EdNS0_10empty_typeEbEEZZNS1_14partition_implILS5_6ELb0ES3_mN6thrust23THRUST_200600_302600_NS6detail15normal_iteratorINSA_10device_ptrIdEEEEPS6_SG_NS0_5tupleIJSF_S6_EEENSH_IJSG_SG_EEES6_PlJNSB_9not_fun_tI7is_trueIdEEEEEE10hipError_tPvRmT3_T4_T5_T6_T7_T9_mT8_P12ihipStream_tbDpT10_ENKUlT_T0_E_clISt17integral_constantIbLb1EES18_EEDaS13_S14_EUlS13_E_NS1_11comp_targetILNS1_3genE2ELNS1_11target_archE906ELNS1_3gpuE6ELNS1_3repE0EEENS1_30default_config_static_selectorELNS0_4arch9wavefront6targetE0EEEvT1_,comdat
.Lfunc_end1057:
	.size	_ZN7rocprim17ROCPRIM_400000_NS6detail17trampoline_kernelINS0_14default_configENS1_25partition_config_selectorILNS1_17partition_subalgoE6EdNS0_10empty_typeEbEEZZNS1_14partition_implILS5_6ELb0ES3_mN6thrust23THRUST_200600_302600_NS6detail15normal_iteratorINSA_10device_ptrIdEEEEPS6_SG_NS0_5tupleIJSF_S6_EEENSH_IJSG_SG_EEES6_PlJNSB_9not_fun_tI7is_trueIdEEEEEE10hipError_tPvRmT3_T4_T5_T6_T7_T9_mT8_P12ihipStream_tbDpT10_ENKUlT_T0_E_clISt17integral_constantIbLb1EES18_EEDaS13_S14_EUlS13_E_NS1_11comp_targetILNS1_3genE2ELNS1_11target_archE906ELNS1_3gpuE6ELNS1_3repE0EEENS1_30default_config_static_selectorELNS0_4arch9wavefront6targetE0EEEvT1_, .Lfunc_end1057-_ZN7rocprim17ROCPRIM_400000_NS6detail17trampoline_kernelINS0_14default_configENS1_25partition_config_selectorILNS1_17partition_subalgoE6EdNS0_10empty_typeEbEEZZNS1_14partition_implILS5_6ELb0ES3_mN6thrust23THRUST_200600_302600_NS6detail15normal_iteratorINSA_10device_ptrIdEEEEPS6_SG_NS0_5tupleIJSF_S6_EEENSH_IJSG_SG_EEES6_PlJNSB_9not_fun_tI7is_trueIdEEEEEE10hipError_tPvRmT3_T4_T5_T6_T7_T9_mT8_P12ihipStream_tbDpT10_ENKUlT_T0_E_clISt17integral_constantIbLb1EES18_EEDaS13_S14_EUlS13_E_NS1_11comp_targetILNS1_3genE2ELNS1_11target_archE906ELNS1_3gpuE6ELNS1_3repE0EEENS1_30default_config_static_selectorELNS0_4arch9wavefront6targetE0EEEvT1_
                                        ; -- End function
	.set _ZN7rocprim17ROCPRIM_400000_NS6detail17trampoline_kernelINS0_14default_configENS1_25partition_config_selectorILNS1_17partition_subalgoE6EdNS0_10empty_typeEbEEZZNS1_14partition_implILS5_6ELb0ES3_mN6thrust23THRUST_200600_302600_NS6detail15normal_iteratorINSA_10device_ptrIdEEEEPS6_SG_NS0_5tupleIJSF_S6_EEENSH_IJSG_SG_EEES6_PlJNSB_9not_fun_tI7is_trueIdEEEEEE10hipError_tPvRmT3_T4_T5_T6_T7_T9_mT8_P12ihipStream_tbDpT10_ENKUlT_T0_E_clISt17integral_constantIbLb1EES18_EEDaS13_S14_EUlS13_E_NS1_11comp_targetILNS1_3genE2ELNS1_11target_archE906ELNS1_3gpuE6ELNS1_3repE0EEENS1_30default_config_static_selectorELNS0_4arch9wavefront6targetE0EEEvT1_.num_vgpr, 0
	.set _ZN7rocprim17ROCPRIM_400000_NS6detail17trampoline_kernelINS0_14default_configENS1_25partition_config_selectorILNS1_17partition_subalgoE6EdNS0_10empty_typeEbEEZZNS1_14partition_implILS5_6ELb0ES3_mN6thrust23THRUST_200600_302600_NS6detail15normal_iteratorINSA_10device_ptrIdEEEEPS6_SG_NS0_5tupleIJSF_S6_EEENSH_IJSG_SG_EEES6_PlJNSB_9not_fun_tI7is_trueIdEEEEEE10hipError_tPvRmT3_T4_T5_T6_T7_T9_mT8_P12ihipStream_tbDpT10_ENKUlT_T0_E_clISt17integral_constantIbLb1EES18_EEDaS13_S14_EUlS13_E_NS1_11comp_targetILNS1_3genE2ELNS1_11target_archE906ELNS1_3gpuE6ELNS1_3repE0EEENS1_30default_config_static_selectorELNS0_4arch9wavefront6targetE0EEEvT1_.num_agpr, 0
	.set _ZN7rocprim17ROCPRIM_400000_NS6detail17trampoline_kernelINS0_14default_configENS1_25partition_config_selectorILNS1_17partition_subalgoE6EdNS0_10empty_typeEbEEZZNS1_14partition_implILS5_6ELb0ES3_mN6thrust23THRUST_200600_302600_NS6detail15normal_iteratorINSA_10device_ptrIdEEEEPS6_SG_NS0_5tupleIJSF_S6_EEENSH_IJSG_SG_EEES6_PlJNSB_9not_fun_tI7is_trueIdEEEEEE10hipError_tPvRmT3_T4_T5_T6_T7_T9_mT8_P12ihipStream_tbDpT10_ENKUlT_T0_E_clISt17integral_constantIbLb1EES18_EEDaS13_S14_EUlS13_E_NS1_11comp_targetILNS1_3genE2ELNS1_11target_archE906ELNS1_3gpuE6ELNS1_3repE0EEENS1_30default_config_static_selectorELNS0_4arch9wavefront6targetE0EEEvT1_.numbered_sgpr, 0
	.set _ZN7rocprim17ROCPRIM_400000_NS6detail17trampoline_kernelINS0_14default_configENS1_25partition_config_selectorILNS1_17partition_subalgoE6EdNS0_10empty_typeEbEEZZNS1_14partition_implILS5_6ELb0ES3_mN6thrust23THRUST_200600_302600_NS6detail15normal_iteratorINSA_10device_ptrIdEEEEPS6_SG_NS0_5tupleIJSF_S6_EEENSH_IJSG_SG_EEES6_PlJNSB_9not_fun_tI7is_trueIdEEEEEE10hipError_tPvRmT3_T4_T5_T6_T7_T9_mT8_P12ihipStream_tbDpT10_ENKUlT_T0_E_clISt17integral_constantIbLb1EES18_EEDaS13_S14_EUlS13_E_NS1_11comp_targetILNS1_3genE2ELNS1_11target_archE906ELNS1_3gpuE6ELNS1_3repE0EEENS1_30default_config_static_selectorELNS0_4arch9wavefront6targetE0EEEvT1_.num_named_barrier, 0
	.set _ZN7rocprim17ROCPRIM_400000_NS6detail17trampoline_kernelINS0_14default_configENS1_25partition_config_selectorILNS1_17partition_subalgoE6EdNS0_10empty_typeEbEEZZNS1_14partition_implILS5_6ELb0ES3_mN6thrust23THRUST_200600_302600_NS6detail15normal_iteratorINSA_10device_ptrIdEEEEPS6_SG_NS0_5tupleIJSF_S6_EEENSH_IJSG_SG_EEES6_PlJNSB_9not_fun_tI7is_trueIdEEEEEE10hipError_tPvRmT3_T4_T5_T6_T7_T9_mT8_P12ihipStream_tbDpT10_ENKUlT_T0_E_clISt17integral_constantIbLb1EES18_EEDaS13_S14_EUlS13_E_NS1_11comp_targetILNS1_3genE2ELNS1_11target_archE906ELNS1_3gpuE6ELNS1_3repE0EEENS1_30default_config_static_selectorELNS0_4arch9wavefront6targetE0EEEvT1_.private_seg_size, 0
	.set _ZN7rocprim17ROCPRIM_400000_NS6detail17trampoline_kernelINS0_14default_configENS1_25partition_config_selectorILNS1_17partition_subalgoE6EdNS0_10empty_typeEbEEZZNS1_14partition_implILS5_6ELb0ES3_mN6thrust23THRUST_200600_302600_NS6detail15normal_iteratorINSA_10device_ptrIdEEEEPS6_SG_NS0_5tupleIJSF_S6_EEENSH_IJSG_SG_EEES6_PlJNSB_9not_fun_tI7is_trueIdEEEEEE10hipError_tPvRmT3_T4_T5_T6_T7_T9_mT8_P12ihipStream_tbDpT10_ENKUlT_T0_E_clISt17integral_constantIbLb1EES18_EEDaS13_S14_EUlS13_E_NS1_11comp_targetILNS1_3genE2ELNS1_11target_archE906ELNS1_3gpuE6ELNS1_3repE0EEENS1_30default_config_static_selectorELNS0_4arch9wavefront6targetE0EEEvT1_.uses_vcc, 0
	.set _ZN7rocprim17ROCPRIM_400000_NS6detail17trampoline_kernelINS0_14default_configENS1_25partition_config_selectorILNS1_17partition_subalgoE6EdNS0_10empty_typeEbEEZZNS1_14partition_implILS5_6ELb0ES3_mN6thrust23THRUST_200600_302600_NS6detail15normal_iteratorINSA_10device_ptrIdEEEEPS6_SG_NS0_5tupleIJSF_S6_EEENSH_IJSG_SG_EEES6_PlJNSB_9not_fun_tI7is_trueIdEEEEEE10hipError_tPvRmT3_T4_T5_T6_T7_T9_mT8_P12ihipStream_tbDpT10_ENKUlT_T0_E_clISt17integral_constantIbLb1EES18_EEDaS13_S14_EUlS13_E_NS1_11comp_targetILNS1_3genE2ELNS1_11target_archE906ELNS1_3gpuE6ELNS1_3repE0EEENS1_30default_config_static_selectorELNS0_4arch9wavefront6targetE0EEEvT1_.uses_flat_scratch, 0
	.set _ZN7rocprim17ROCPRIM_400000_NS6detail17trampoline_kernelINS0_14default_configENS1_25partition_config_selectorILNS1_17partition_subalgoE6EdNS0_10empty_typeEbEEZZNS1_14partition_implILS5_6ELb0ES3_mN6thrust23THRUST_200600_302600_NS6detail15normal_iteratorINSA_10device_ptrIdEEEEPS6_SG_NS0_5tupleIJSF_S6_EEENSH_IJSG_SG_EEES6_PlJNSB_9not_fun_tI7is_trueIdEEEEEE10hipError_tPvRmT3_T4_T5_T6_T7_T9_mT8_P12ihipStream_tbDpT10_ENKUlT_T0_E_clISt17integral_constantIbLb1EES18_EEDaS13_S14_EUlS13_E_NS1_11comp_targetILNS1_3genE2ELNS1_11target_archE906ELNS1_3gpuE6ELNS1_3repE0EEENS1_30default_config_static_selectorELNS0_4arch9wavefront6targetE0EEEvT1_.has_dyn_sized_stack, 0
	.set _ZN7rocprim17ROCPRIM_400000_NS6detail17trampoline_kernelINS0_14default_configENS1_25partition_config_selectorILNS1_17partition_subalgoE6EdNS0_10empty_typeEbEEZZNS1_14partition_implILS5_6ELb0ES3_mN6thrust23THRUST_200600_302600_NS6detail15normal_iteratorINSA_10device_ptrIdEEEEPS6_SG_NS0_5tupleIJSF_S6_EEENSH_IJSG_SG_EEES6_PlJNSB_9not_fun_tI7is_trueIdEEEEEE10hipError_tPvRmT3_T4_T5_T6_T7_T9_mT8_P12ihipStream_tbDpT10_ENKUlT_T0_E_clISt17integral_constantIbLb1EES18_EEDaS13_S14_EUlS13_E_NS1_11comp_targetILNS1_3genE2ELNS1_11target_archE906ELNS1_3gpuE6ELNS1_3repE0EEENS1_30default_config_static_selectorELNS0_4arch9wavefront6targetE0EEEvT1_.has_recursion, 0
	.set _ZN7rocprim17ROCPRIM_400000_NS6detail17trampoline_kernelINS0_14default_configENS1_25partition_config_selectorILNS1_17partition_subalgoE6EdNS0_10empty_typeEbEEZZNS1_14partition_implILS5_6ELb0ES3_mN6thrust23THRUST_200600_302600_NS6detail15normal_iteratorINSA_10device_ptrIdEEEEPS6_SG_NS0_5tupleIJSF_S6_EEENSH_IJSG_SG_EEES6_PlJNSB_9not_fun_tI7is_trueIdEEEEEE10hipError_tPvRmT3_T4_T5_T6_T7_T9_mT8_P12ihipStream_tbDpT10_ENKUlT_T0_E_clISt17integral_constantIbLb1EES18_EEDaS13_S14_EUlS13_E_NS1_11comp_targetILNS1_3genE2ELNS1_11target_archE906ELNS1_3gpuE6ELNS1_3repE0EEENS1_30default_config_static_selectorELNS0_4arch9wavefront6targetE0EEEvT1_.has_indirect_call, 0
	.section	.AMDGPU.csdata,"",@progbits
; Kernel info:
; codeLenInByte = 0
; TotalNumSgprs: 0
; NumVgprs: 0
; ScratchSize: 0
; MemoryBound: 0
; FloatMode: 240
; IeeeMode: 1
; LDSByteSize: 0 bytes/workgroup (compile time only)
; SGPRBlocks: 0
; VGPRBlocks: 0
; NumSGPRsForWavesPerEU: 1
; NumVGPRsForWavesPerEU: 1
; Occupancy: 16
; WaveLimiterHint : 0
; COMPUTE_PGM_RSRC2:SCRATCH_EN: 0
; COMPUTE_PGM_RSRC2:USER_SGPR: 2
; COMPUTE_PGM_RSRC2:TRAP_HANDLER: 0
; COMPUTE_PGM_RSRC2:TGID_X_EN: 1
; COMPUTE_PGM_RSRC2:TGID_Y_EN: 0
; COMPUTE_PGM_RSRC2:TGID_Z_EN: 0
; COMPUTE_PGM_RSRC2:TIDIG_COMP_CNT: 0
	.section	.text._ZN7rocprim17ROCPRIM_400000_NS6detail17trampoline_kernelINS0_14default_configENS1_25partition_config_selectorILNS1_17partition_subalgoE6EdNS0_10empty_typeEbEEZZNS1_14partition_implILS5_6ELb0ES3_mN6thrust23THRUST_200600_302600_NS6detail15normal_iteratorINSA_10device_ptrIdEEEEPS6_SG_NS0_5tupleIJSF_S6_EEENSH_IJSG_SG_EEES6_PlJNSB_9not_fun_tI7is_trueIdEEEEEE10hipError_tPvRmT3_T4_T5_T6_T7_T9_mT8_P12ihipStream_tbDpT10_ENKUlT_T0_E_clISt17integral_constantIbLb1EES18_EEDaS13_S14_EUlS13_E_NS1_11comp_targetILNS1_3genE10ELNS1_11target_archE1200ELNS1_3gpuE4ELNS1_3repE0EEENS1_30default_config_static_selectorELNS0_4arch9wavefront6targetE0EEEvT1_,"axG",@progbits,_ZN7rocprim17ROCPRIM_400000_NS6detail17trampoline_kernelINS0_14default_configENS1_25partition_config_selectorILNS1_17partition_subalgoE6EdNS0_10empty_typeEbEEZZNS1_14partition_implILS5_6ELb0ES3_mN6thrust23THRUST_200600_302600_NS6detail15normal_iteratorINSA_10device_ptrIdEEEEPS6_SG_NS0_5tupleIJSF_S6_EEENSH_IJSG_SG_EEES6_PlJNSB_9not_fun_tI7is_trueIdEEEEEE10hipError_tPvRmT3_T4_T5_T6_T7_T9_mT8_P12ihipStream_tbDpT10_ENKUlT_T0_E_clISt17integral_constantIbLb1EES18_EEDaS13_S14_EUlS13_E_NS1_11comp_targetILNS1_3genE10ELNS1_11target_archE1200ELNS1_3gpuE4ELNS1_3repE0EEENS1_30default_config_static_selectorELNS0_4arch9wavefront6targetE0EEEvT1_,comdat
	.protected	_ZN7rocprim17ROCPRIM_400000_NS6detail17trampoline_kernelINS0_14default_configENS1_25partition_config_selectorILNS1_17partition_subalgoE6EdNS0_10empty_typeEbEEZZNS1_14partition_implILS5_6ELb0ES3_mN6thrust23THRUST_200600_302600_NS6detail15normal_iteratorINSA_10device_ptrIdEEEEPS6_SG_NS0_5tupleIJSF_S6_EEENSH_IJSG_SG_EEES6_PlJNSB_9not_fun_tI7is_trueIdEEEEEE10hipError_tPvRmT3_T4_T5_T6_T7_T9_mT8_P12ihipStream_tbDpT10_ENKUlT_T0_E_clISt17integral_constantIbLb1EES18_EEDaS13_S14_EUlS13_E_NS1_11comp_targetILNS1_3genE10ELNS1_11target_archE1200ELNS1_3gpuE4ELNS1_3repE0EEENS1_30default_config_static_selectorELNS0_4arch9wavefront6targetE0EEEvT1_ ; -- Begin function _ZN7rocprim17ROCPRIM_400000_NS6detail17trampoline_kernelINS0_14default_configENS1_25partition_config_selectorILNS1_17partition_subalgoE6EdNS0_10empty_typeEbEEZZNS1_14partition_implILS5_6ELb0ES3_mN6thrust23THRUST_200600_302600_NS6detail15normal_iteratorINSA_10device_ptrIdEEEEPS6_SG_NS0_5tupleIJSF_S6_EEENSH_IJSG_SG_EEES6_PlJNSB_9not_fun_tI7is_trueIdEEEEEE10hipError_tPvRmT3_T4_T5_T6_T7_T9_mT8_P12ihipStream_tbDpT10_ENKUlT_T0_E_clISt17integral_constantIbLb1EES18_EEDaS13_S14_EUlS13_E_NS1_11comp_targetILNS1_3genE10ELNS1_11target_archE1200ELNS1_3gpuE4ELNS1_3repE0EEENS1_30default_config_static_selectorELNS0_4arch9wavefront6targetE0EEEvT1_
	.globl	_ZN7rocprim17ROCPRIM_400000_NS6detail17trampoline_kernelINS0_14default_configENS1_25partition_config_selectorILNS1_17partition_subalgoE6EdNS0_10empty_typeEbEEZZNS1_14partition_implILS5_6ELb0ES3_mN6thrust23THRUST_200600_302600_NS6detail15normal_iteratorINSA_10device_ptrIdEEEEPS6_SG_NS0_5tupleIJSF_S6_EEENSH_IJSG_SG_EEES6_PlJNSB_9not_fun_tI7is_trueIdEEEEEE10hipError_tPvRmT3_T4_T5_T6_T7_T9_mT8_P12ihipStream_tbDpT10_ENKUlT_T0_E_clISt17integral_constantIbLb1EES18_EEDaS13_S14_EUlS13_E_NS1_11comp_targetILNS1_3genE10ELNS1_11target_archE1200ELNS1_3gpuE4ELNS1_3repE0EEENS1_30default_config_static_selectorELNS0_4arch9wavefront6targetE0EEEvT1_
	.p2align	8
	.type	_ZN7rocprim17ROCPRIM_400000_NS6detail17trampoline_kernelINS0_14default_configENS1_25partition_config_selectorILNS1_17partition_subalgoE6EdNS0_10empty_typeEbEEZZNS1_14partition_implILS5_6ELb0ES3_mN6thrust23THRUST_200600_302600_NS6detail15normal_iteratorINSA_10device_ptrIdEEEEPS6_SG_NS0_5tupleIJSF_S6_EEENSH_IJSG_SG_EEES6_PlJNSB_9not_fun_tI7is_trueIdEEEEEE10hipError_tPvRmT3_T4_T5_T6_T7_T9_mT8_P12ihipStream_tbDpT10_ENKUlT_T0_E_clISt17integral_constantIbLb1EES18_EEDaS13_S14_EUlS13_E_NS1_11comp_targetILNS1_3genE10ELNS1_11target_archE1200ELNS1_3gpuE4ELNS1_3repE0EEENS1_30default_config_static_selectorELNS0_4arch9wavefront6targetE0EEEvT1_,@function
_ZN7rocprim17ROCPRIM_400000_NS6detail17trampoline_kernelINS0_14default_configENS1_25partition_config_selectorILNS1_17partition_subalgoE6EdNS0_10empty_typeEbEEZZNS1_14partition_implILS5_6ELb0ES3_mN6thrust23THRUST_200600_302600_NS6detail15normal_iteratorINSA_10device_ptrIdEEEEPS6_SG_NS0_5tupleIJSF_S6_EEENSH_IJSG_SG_EEES6_PlJNSB_9not_fun_tI7is_trueIdEEEEEE10hipError_tPvRmT3_T4_T5_T6_T7_T9_mT8_P12ihipStream_tbDpT10_ENKUlT_T0_E_clISt17integral_constantIbLb1EES18_EEDaS13_S14_EUlS13_E_NS1_11comp_targetILNS1_3genE10ELNS1_11target_archE1200ELNS1_3gpuE4ELNS1_3repE0EEENS1_30default_config_static_selectorELNS0_4arch9wavefront6targetE0EEEvT1_: ; @_ZN7rocprim17ROCPRIM_400000_NS6detail17trampoline_kernelINS0_14default_configENS1_25partition_config_selectorILNS1_17partition_subalgoE6EdNS0_10empty_typeEbEEZZNS1_14partition_implILS5_6ELb0ES3_mN6thrust23THRUST_200600_302600_NS6detail15normal_iteratorINSA_10device_ptrIdEEEEPS6_SG_NS0_5tupleIJSF_S6_EEENSH_IJSG_SG_EEES6_PlJNSB_9not_fun_tI7is_trueIdEEEEEE10hipError_tPvRmT3_T4_T5_T6_T7_T9_mT8_P12ihipStream_tbDpT10_ENKUlT_T0_E_clISt17integral_constantIbLb1EES18_EEDaS13_S14_EUlS13_E_NS1_11comp_targetILNS1_3genE10ELNS1_11target_archE1200ELNS1_3gpuE4ELNS1_3repE0EEENS1_30default_config_static_selectorELNS0_4arch9wavefront6targetE0EEEvT1_
; %bb.0:
	s_endpgm
	.section	.rodata,"a",@progbits
	.p2align	6, 0x0
	.amdhsa_kernel _ZN7rocprim17ROCPRIM_400000_NS6detail17trampoline_kernelINS0_14default_configENS1_25partition_config_selectorILNS1_17partition_subalgoE6EdNS0_10empty_typeEbEEZZNS1_14partition_implILS5_6ELb0ES3_mN6thrust23THRUST_200600_302600_NS6detail15normal_iteratorINSA_10device_ptrIdEEEEPS6_SG_NS0_5tupleIJSF_S6_EEENSH_IJSG_SG_EEES6_PlJNSB_9not_fun_tI7is_trueIdEEEEEE10hipError_tPvRmT3_T4_T5_T6_T7_T9_mT8_P12ihipStream_tbDpT10_ENKUlT_T0_E_clISt17integral_constantIbLb1EES18_EEDaS13_S14_EUlS13_E_NS1_11comp_targetILNS1_3genE10ELNS1_11target_archE1200ELNS1_3gpuE4ELNS1_3repE0EEENS1_30default_config_static_selectorELNS0_4arch9wavefront6targetE0EEEvT1_
		.amdhsa_group_segment_fixed_size 0
		.amdhsa_private_segment_fixed_size 0
		.amdhsa_kernarg_size 128
		.amdhsa_user_sgpr_count 2
		.amdhsa_user_sgpr_dispatch_ptr 0
		.amdhsa_user_sgpr_queue_ptr 0
		.amdhsa_user_sgpr_kernarg_segment_ptr 1
		.amdhsa_user_sgpr_dispatch_id 0
		.amdhsa_user_sgpr_private_segment_size 0
		.amdhsa_wavefront_size32 1
		.amdhsa_uses_dynamic_stack 0
		.amdhsa_enable_private_segment 0
		.amdhsa_system_sgpr_workgroup_id_x 1
		.amdhsa_system_sgpr_workgroup_id_y 0
		.amdhsa_system_sgpr_workgroup_id_z 0
		.amdhsa_system_sgpr_workgroup_info 0
		.amdhsa_system_vgpr_workitem_id 0
		.amdhsa_next_free_vgpr 1
		.amdhsa_next_free_sgpr 1
		.amdhsa_reserve_vcc 0
		.amdhsa_float_round_mode_32 0
		.amdhsa_float_round_mode_16_64 0
		.amdhsa_float_denorm_mode_32 3
		.amdhsa_float_denorm_mode_16_64 3
		.amdhsa_fp16_overflow 0
		.amdhsa_workgroup_processor_mode 1
		.amdhsa_memory_ordered 1
		.amdhsa_forward_progress 1
		.amdhsa_inst_pref_size 1
		.amdhsa_round_robin_scheduling 0
		.amdhsa_exception_fp_ieee_invalid_op 0
		.amdhsa_exception_fp_denorm_src 0
		.amdhsa_exception_fp_ieee_div_zero 0
		.amdhsa_exception_fp_ieee_overflow 0
		.amdhsa_exception_fp_ieee_underflow 0
		.amdhsa_exception_fp_ieee_inexact 0
		.amdhsa_exception_int_div_zero 0
	.end_amdhsa_kernel
	.section	.text._ZN7rocprim17ROCPRIM_400000_NS6detail17trampoline_kernelINS0_14default_configENS1_25partition_config_selectorILNS1_17partition_subalgoE6EdNS0_10empty_typeEbEEZZNS1_14partition_implILS5_6ELb0ES3_mN6thrust23THRUST_200600_302600_NS6detail15normal_iteratorINSA_10device_ptrIdEEEEPS6_SG_NS0_5tupleIJSF_S6_EEENSH_IJSG_SG_EEES6_PlJNSB_9not_fun_tI7is_trueIdEEEEEE10hipError_tPvRmT3_T4_T5_T6_T7_T9_mT8_P12ihipStream_tbDpT10_ENKUlT_T0_E_clISt17integral_constantIbLb1EES18_EEDaS13_S14_EUlS13_E_NS1_11comp_targetILNS1_3genE10ELNS1_11target_archE1200ELNS1_3gpuE4ELNS1_3repE0EEENS1_30default_config_static_selectorELNS0_4arch9wavefront6targetE0EEEvT1_,"axG",@progbits,_ZN7rocprim17ROCPRIM_400000_NS6detail17trampoline_kernelINS0_14default_configENS1_25partition_config_selectorILNS1_17partition_subalgoE6EdNS0_10empty_typeEbEEZZNS1_14partition_implILS5_6ELb0ES3_mN6thrust23THRUST_200600_302600_NS6detail15normal_iteratorINSA_10device_ptrIdEEEEPS6_SG_NS0_5tupleIJSF_S6_EEENSH_IJSG_SG_EEES6_PlJNSB_9not_fun_tI7is_trueIdEEEEEE10hipError_tPvRmT3_T4_T5_T6_T7_T9_mT8_P12ihipStream_tbDpT10_ENKUlT_T0_E_clISt17integral_constantIbLb1EES18_EEDaS13_S14_EUlS13_E_NS1_11comp_targetILNS1_3genE10ELNS1_11target_archE1200ELNS1_3gpuE4ELNS1_3repE0EEENS1_30default_config_static_selectorELNS0_4arch9wavefront6targetE0EEEvT1_,comdat
.Lfunc_end1058:
	.size	_ZN7rocprim17ROCPRIM_400000_NS6detail17trampoline_kernelINS0_14default_configENS1_25partition_config_selectorILNS1_17partition_subalgoE6EdNS0_10empty_typeEbEEZZNS1_14partition_implILS5_6ELb0ES3_mN6thrust23THRUST_200600_302600_NS6detail15normal_iteratorINSA_10device_ptrIdEEEEPS6_SG_NS0_5tupleIJSF_S6_EEENSH_IJSG_SG_EEES6_PlJNSB_9not_fun_tI7is_trueIdEEEEEE10hipError_tPvRmT3_T4_T5_T6_T7_T9_mT8_P12ihipStream_tbDpT10_ENKUlT_T0_E_clISt17integral_constantIbLb1EES18_EEDaS13_S14_EUlS13_E_NS1_11comp_targetILNS1_3genE10ELNS1_11target_archE1200ELNS1_3gpuE4ELNS1_3repE0EEENS1_30default_config_static_selectorELNS0_4arch9wavefront6targetE0EEEvT1_, .Lfunc_end1058-_ZN7rocprim17ROCPRIM_400000_NS6detail17trampoline_kernelINS0_14default_configENS1_25partition_config_selectorILNS1_17partition_subalgoE6EdNS0_10empty_typeEbEEZZNS1_14partition_implILS5_6ELb0ES3_mN6thrust23THRUST_200600_302600_NS6detail15normal_iteratorINSA_10device_ptrIdEEEEPS6_SG_NS0_5tupleIJSF_S6_EEENSH_IJSG_SG_EEES6_PlJNSB_9not_fun_tI7is_trueIdEEEEEE10hipError_tPvRmT3_T4_T5_T6_T7_T9_mT8_P12ihipStream_tbDpT10_ENKUlT_T0_E_clISt17integral_constantIbLb1EES18_EEDaS13_S14_EUlS13_E_NS1_11comp_targetILNS1_3genE10ELNS1_11target_archE1200ELNS1_3gpuE4ELNS1_3repE0EEENS1_30default_config_static_selectorELNS0_4arch9wavefront6targetE0EEEvT1_
                                        ; -- End function
	.set _ZN7rocprim17ROCPRIM_400000_NS6detail17trampoline_kernelINS0_14default_configENS1_25partition_config_selectorILNS1_17partition_subalgoE6EdNS0_10empty_typeEbEEZZNS1_14partition_implILS5_6ELb0ES3_mN6thrust23THRUST_200600_302600_NS6detail15normal_iteratorINSA_10device_ptrIdEEEEPS6_SG_NS0_5tupleIJSF_S6_EEENSH_IJSG_SG_EEES6_PlJNSB_9not_fun_tI7is_trueIdEEEEEE10hipError_tPvRmT3_T4_T5_T6_T7_T9_mT8_P12ihipStream_tbDpT10_ENKUlT_T0_E_clISt17integral_constantIbLb1EES18_EEDaS13_S14_EUlS13_E_NS1_11comp_targetILNS1_3genE10ELNS1_11target_archE1200ELNS1_3gpuE4ELNS1_3repE0EEENS1_30default_config_static_selectorELNS0_4arch9wavefront6targetE0EEEvT1_.num_vgpr, 0
	.set _ZN7rocprim17ROCPRIM_400000_NS6detail17trampoline_kernelINS0_14default_configENS1_25partition_config_selectorILNS1_17partition_subalgoE6EdNS0_10empty_typeEbEEZZNS1_14partition_implILS5_6ELb0ES3_mN6thrust23THRUST_200600_302600_NS6detail15normal_iteratorINSA_10device_ptrIdEEEEPS6_SG_NS0_5tupleIJSF_S6_EEENSH_IJSG_SG_EEES6_PlJNSB_9not_fun_tI7is_trueIdEEEEEE10hipError_tPvRmT3_T4_T5_T6_T7_T9_mT8_P12ihipStream_tbDpT10_ENKUlT_T0_E_clISt17integral_constantIbLb1EES18_EEDaS13_S14_EUlS13_E_NS1_11comp_targetILNS1_3genE10ELNS1_11target_archE1200ELNS1_3gpuE4ELNS1_3repE0EEENS1_30default_config_static_selectorELNS0_4arch9wavefront6targetE0EEEvT1_.num_agpr, 0
	.set _ZN7rocprim17ROCPRIM_400000_NS6detail17trampoline_kernelINS0_14default_configENS1_25partition_config_selectorILNS1_17partition_subalgoE6EdNS0_10empty_typeEbEEZZNS1_14partition_implILS5_6ELb0ES3_mN6thrust23THRUST_200600_302600_NS6detail15normal_iteratorINSA_10device_ptrIdEEEEPS6_SG_NS0_5tupleIJSF_S6_EEENSH_IJSG_SG_EEES6_PlJNSB_9not_fun_tI7is_trueIdEEEEEE10hipError_tPvRmT3_T4_T5_T6_T7_T9_mT8_P12ihipStream_tbDpT10_ENKUlT_T0_E_clISt17integral_constantIbLb1EES18_EEDaS13_S14_EUlS13_E_NS1_11comp_targetILNS1_3genE10ELNS1_11target_archE1200ELNS1_3gpuE4ELNS1_3repE0EEENS1_30default_config_static_selectorELNS0_4arch9wavefront6targetE0EEEvT1_.numbered_sgpr, 0
	.set _ZN7rocprim17ROCPRIM_400000_NS6detail17trampoline_kernelINS0_14default_configENS1_25partition_config_selectorILNS1_17partition_subalgoE6EdNS0_10empty_typeEbEEZZNS1_14partition_implILS5_6ELb0ES3_mN6thrust23THRUST_200600_302600_NS6detail15normal_iteratorINSA_10device_ptrIdEEEEPS6_SG_NS0_5tupleIJSF_S6_EEENSH_IJSG_SG_EEES6_PlJNSB_9not_fun_tI7is_trueIdEEEEEE10hipError_tPvRmT3_T4_T5_T6_T7_T9_mT8_P12ihipStream_tbDpT10_ENKUlT_T0_E_clISt17integral_constantIbLb1EES18_EEDaS13_S14_EUlS13_E_NS1_11comp_targetILNS1_3genE10ELNS1_11target_archE1200ELNS1_3gpuE4ELNS1_3repE0EEENS1_30default_config_static_selectorELNS0_4arch9wavefront6targetE0EEEvT1_.num_named_barrier, 0
	.set _ZN7rocprim17ROCPRIM_400000_NS6detail17trampoline_kernelINS0_14default_configENS1_25partition_config_selectorILNS1_17partition_subalgoE6EdNS0_10empty_typeEbEEZZNS1_14partition_implILS5_6ELb0ES3_mN6thrust23THRUST_200600_302600_NS6detail15normal_iteratorINSA_10device_ptrIdEEEEPS6_SG_NS0_5tupleIJSF_S6_EEENSH_IJSG_SG_EEES6_PlJNSB_9not_fun_tI7is_trueIdEEEEEE10hipError_tPvRmT3_T4_T5_T6_T7_T9_mT8_P12ihipStream_tbDpT10_ENKUlT_T0_E_clISt17integral_constantIbLb1EES18_EEDaS13_S14_EUlS13_E_NS1_11comp_targetILNS1_3genE10ELNS1_11target_archE1200ELNS1_3gpuE4ELNS1_3repE0EEENS1_30default_config_static_selectorELNS0_4arch9wavefront6targetE0EEEvT1_.private_seg_size, 0
	.set _ZN7rocprim17ROCPRIM_400000_NS6detail17trampoline_kernelINS0_14default_configENS1_25partition_config_selectorILNS1_17partition_subalgoE6EdNS0_10empty_typeEbEEZZNS1_14partition_implILS5_6ELb0ES3_mN6thrust23THRUST_200600_302600_NS6detail15normal_iteratorINSA_10device_ptrIdEEEEPS6_SG_NS0_5tupleIJSF_S6_EEENSH_IJSG_SG_EEES6_PlJNSB_9not_fun_tI7is_trueIdEEEEEE10hipError_tPvRmT3_T4_T5_T6_T7_T9_mT8_P12ihipStream_tbDpT10_ENKUlT_T0_E_clISt17integral_constantIbLb1EES18_EEDaS13_S14_EUlS13_E_NS1_11comp_targetILNS1_3genE10ELNS1_11target_archE1200ELNS1_3gpuE4ELNS1_3repE0EEENS1_30default_config_static_selectorELNS0_4arch9wavefront6targetE0EEEvT1_.uses_vcc, 0
	.set _ZN7rocprim17ROCPRIM_400000_NS6detail17trampoline_kernelINS0_14default_configENS1_25partition_config_selectorILNS1_17partition_subalgoE6EdNS0_10empty_typeEbEEZZNS1_14partition_implILS5_6ELb0ES3_mN6thrust23THRUST_200600_302600_NS6detail15normal_iteratorINSA_10device_ptrIdEEEEPS6_SG_NS0_5tupleIJSF_S6_EEENSH_IJSG_SG_EEES6_PlJNSB_9not_fun_tI7is_trueIdEEEEEE10hipError_tPvRmT3_T4_T5_T6_T7_T9_mT8_P12ihipStream_tbDpT10_ENKUlT_T0_E_clISt17integral_constantIbLb1EES18_EEDaS13_S14_EUlS13_E_NS1_11comp_targetILNS1_3genE10ELNS1_11target_archE1200ELNS1_3gpuE4ELNS1_3repE0EEENS1_30default_config_static_selectorELNS0_4arch9wavefront6targetE0EEEvT1_.uses_flat_scratch, 0
	.set _ZN7rocprim17ROCPRIM_400000_NS6detail17trampoline_kernelINS0_14default_configENS1_25partition_config_selectorILNS1_17partition_subalgoE6EdNS0_10empty_typeEbEEZZNS1_14partition_implILS5_6ELb0ES3_mN6thrust23THRUST_200600_302600_NS6detail15normal_iteratorINSA_10device_ptrIdEEEEPS6_SG_NS0_5tupleIJSF_S6_EEENSH_IJSG_SG_EEES6_PlJNSB_9not_fun_tI7is_trueIdEEEEEE10hipError_tPvRmT3_T4_T5_T6_T7_T9_mT8_P12ihipStream_tbDpT10_ENKUlT_T0_E_clISt17integral_constantIbLb1EES18_EEDaS13_S14_EUlS13_E_NS1_11comp_targetILNS1_3genE10ELNS1_11target_archE1200ELNS1_3gpuE4ELNS1_3repE0EEENS1_30default_config_static_selectorELNS0_4arch9wavefront6targetE0EEEvT1_.has_dyn_sized_stack, 0
	.set _ZN7rocprim17ROCPRIM_400000_NS6detail17trampoline_kernelINS0_14default_configENS1_25partition_config_selectorILNS1_17partition_subalgoE6EdNS0_10empty_typeEbEEZZNS1_14partition_implILS5_6ELb0ES3_mN6thrust23THRUST_200600_302600_NS6detail15normal_iteratorINSA_10device_ptrIdEEEEPS6_SG_NS0_5tupleIJSF_S6_EEENSH_IJSG_SG_EEES6_PlJNSB_9not_fun_tI7is_trueIdEEEEEE10hipError_tPvRmT3_T4_T5_T6_T7_T9_mT8_P12ihipStream_tbDpT10_ENKUlT_T0_E_clISt17integral_constantIbLb1EES18_EEDaS13_S14_EUlS13_E_NS1_11comp_targetILNS1_3genE10ELNS1_11target_archE1200ELNS1_3gpuE4ELNS1_3repE0EEENS1_30default_config_static_selectorELNS0_4arch9wavefront6targetE0EEEvT1_.has_recursion, 0
	.set _ZN7rocprim17ROCPRIM_400000_NS6detail17trampoline_kernelINS0_14default_configENS1_25partition_config_selectorILNS1_17partition_subalgoE6EdNS0_10empty_typeEbEEZZNS1_14partition_implILS5_6ELb0ES3_mN6thrust23THRUST_200600_302600_NS6detail15normal_iteratorINSA_10device_ptrIdEEEEPS6_SG_NS0_5tupleIJSF_S6_EEENSH_IJSG_SG_EEES6_PlJNSB_9not_fun_tI7is_trueIdEEEEEE10hipError_tPvRmT3_T4_T5_T6_T7_T9_mT8_P12ihipStream_tbDpT10_ENKUlT_T0_E_clISt17integral_constantIbLb1EES18_EEDaS13_S14_EUlS13_E_NS1_11comp_targetILNS1_3genE10ELNS1_11target_archE1200ELNS1_3gpuE4ELNS1_3repE0EEENS1_30default_config_static_selectorELNS0_4arch9wavefront6targetE0EEEvT1_.has_indirect_call, 0
	.section	.AMDGPU.csdata,"",@progbits
; Kernel info:
; codeLenInByte = 4
; TotalNumSgprs: 0
; NumVgprs: 0
; ScratchSize: 0
; MemoryBound: 0
; FloatMode: 240
; IeeeMode: 1
; LDSByteSize: 0 bytes/workgroup (compile time only)
; SGPRBlocks: 0
; VGPRBlocks: 0
; NumSGPRsForWavesPerEU: 1
; NumVGPRsForWavesPerEU: 1
; Occupancy: 16
; WaveLimiterHint : 0
; COMPUTE_PGM_RSRC2:SCRATCH_EN: 0
; COMPUTE_PGM_RSRC2:USER_SGPR: 2
; COMPUTE_PGM_RSRC2:TRAP_HANDLER: 0
; COMPUTE_PGM_RSRC2:TGID_X_EN: 1
; COMPUTE_PGM_RSRC2:TGID_Y_EN: 0
; COMPUTE_PGM_RSRC2:TGID_Z_EN: 0
; COMPUTE_PGM_RSRC2:TIDIG_COMP_CNT: 0
	.section	.text._ZN7rocprim17ROCPRIM_400000_NS6detail17trampoline_kernelINS0_14default_configENS1_25partition_config_selectorILNS1_17partition_subalgoE6EdNS0_10empty_typeEbEEZZNS1_14partition_implILS5_6ELb0ES3_mN6thrust23THRUST_200600_302600_NS6detail15normal_iteratorINSA_10device_ptrIdEEEEPS6_SG_NS0_5tupleIJSF_S6_EEENSH_IJSG_SG_EEES6_PlJNSB_9not_fun_tI7is_trueIdEEEEEE10hipError_tPvRmT3_T4_T5_T6_T7_T9_mT8_P12ihipStream_tbDpT10_ENKUlT_T0_E_clISt17integral_constantIbLb1EES18_EEDaS13_S14_EUlS13_E_NS1_11comp_targetILNS1_3genE9ELNS1_11target_archE1100ELNS1_3gpuE3ELNS1_3repE0EEENS1_30default_config_static_selectorELNS0_4arch9wavefront6targetE0EEEvT1_,"axG",@progbits,_ZN7rocprim17ROCPRIM_400000_NS6detail17trampoline_kernelINS0_14default_configENS1_25partition_config_selectorILNS1_17partition_subalgoE6EdNS0_10empty_typeEbEEZZNS1_14partition_implILS5_6ELb0ES3_mN6thrust23THRUST_200600_302600_NS6detail15normal_iteratorINSA_10device_ptrIdEEEEPS6_SG_NS0_5tupleIJSF_S6_EEENSH_IJSG_SG_EEES6_PlJNSB_9not_fun_tI7is_trueIdEEEEEE10hipError_tPvRmT3_T4_T5_T6_T7_T9_mT8_P12ihipStream_tbDpT10_ENKUlT_T0_E_clISt17integral_constantIbLb1EES18_EEDaS13_S14_EUlS13_E_NS1_11comp_targetILNS1_3genE9ELNS1_11target_archE1100ELNS1_3gpuE3ELNS1_3repE0EEENS1_30default_config_static_selectorELNS0_4arch9wavefront6targetE0EEEvT1_,comdat
	.protected	_ZN7rocprim17ROCPRIM_400000_NS6detail17trampoline_kernelINS0_14default_configENS1_25partition_config_selectorILNS1_17partition_subalgoE6EdNS0_10empty_typeEbEEZZNS1_14partition_implILS5_6ELb0ES3_mN6thrust23THRUST_200600_302600_NS6detail15normal_iteratorINSA_10device_ptrIdEEEEPS6_SG_NS0_5tupleIJSF_S6_EEENSH_IJSG_SG_EEES6_PlJNSB_9not_fun_tI7is_trueIdEEEEEE10hipError_tPvRmT3_T4_T5_T6_T7_T9_mT8_P12ihipStream_tbDpT10_ENKUlT_T0_E_clISt17integral_constantIbLb1EES18_EEDaS13_S14_EUlS13_E_NS1_11comp_targetILNS1_3genE9ELNS1_11target_archE1100ELNS1_3gpuE3ELNS1_3repE0EEENS1_30default_config_static_selectorELNS0_4arch9wavefront6targetE0EEEvT1_ ; -- Begin function _ZN7rocprim17ROCPRIM_400000_NS6detail17trampoline_kernelINS0_14default_configENS1_25partition_config_selectorILNS1_17partition_subalgoE6EdNS0_10empty_typeEbEEZZNS1_14partition_implILS5_6ELb0ES3_mN6thrust23THRUST_200600_302600_NS6detail15normal_iteratorINSA_10device_ptrIdEEEEPS6_SG_NS0_5tupleIJSF_S6_EEENSH_IJSG_SG_EEES6_PlJNSB_9not_fun_tI7is_trueIdEEEEEE10hipError_tPvRmT3_T4_T5_T6_T7_T9_mT8_P12ihipStream_tbDpT10_ENKUlT_T0_E_clISt17integral_constantIbLb1EES18_EEDaS13_S14_EUlS13_E_NS1_11comp_targetILNS1_3genE9ELNS1_11target_archE1100ELNS1_3gpuE3ELNS1_3repE0EEENS1_30default_config_static_selectorELNS0_4arch9wavefront6targetE0EEEvT1_
	.globl	_ZN7rocprim17ROCPRIM_400000_NS6detail17trampoline_kernelINS0_14default_configENS1_25partition_config_selectorILNS1_17partition_subalgoE6EdNS0_10empty_typeEbEEZZNS1_14partition_implILS5_6ELb0ES3_mN6thrust23THRUST_200600_302600_NS6detail15normal_iteratorINSA_10device_ptrIdEEEEPS6_SG_NS0_5tupleIJSF_S6_EEENSH_IJSG_SG_EEES6_PlJNSB_9not_fun_tI7is_trueIdEEEEEE10hipError_tPvRmT3_T4_T5_T6_T7_T9_mT8_P12ihipStream_tbDpT10_ENKUlT_T0_E_clISt17integral_constantIbLb1EES18_EEDaS13_S14_EUlS13_E_NS1_11comp_targetILNS1_3genE9ELNS1_11target_archE1100ELNS1_3gpuE3ELNS1_3repE0EEENS1_30default_config_static_selectorELNS0_4arch9wavefront6targetE0EEEvT1_
	.p2align	8
	.type	_ZN7rocprim17ROCPRIM_400000_NS6detail17trampoline_kernelINS0_14default_configENS1_25partition_config_selectorILNS1_17partition_subalgoE6EdNS0_10empty_typeEbEEZZNS1_14partition_implILS5_6ELb0ES3_mN6thrust23THRUST_200600_302600_NS6detail15normal_iteratorINSA_10device_ptrIdEEEEPS6_SG_NS0_5tupleIJSF_S6_EEENSH_IJSG_SG_EEES6_PlJNSB_9not_fun_tI7is_trueIdEEEEEE10hipError_tPvRmT3_T4_T5_T6_T7_T9_mT8_P12ihipStream_tbDpT10_ENKUlT_T0_E_clISt17integral_constantIbLb1EES18_EEDaS13_S14_EUlS13_E_NS1_11comp_targetILNS1_3genE9ELNS1_11target_archE1100ELNS1_3gpuE3ELNS1_3repE0EEENS1_30default_config_static_selectorELNS0_4arch9wavefront6targetE0EEEvT1_,@function
_ZN7rocprim17ROCPRIM_400000_NS6detail17trampoline_kernelINS0_14default_configENS1_25partition_config_selectorILNS1_17partition_subalgoE6EdNS0_10empty_typeEbEEZZNS1_14partition_implILS5_6ELb0ES3_mN6thrust23THRUST_200600_302600_NS6detail15normal_iteratorINSA_10device_ptrIdEEEEPS6_SG_NS0_5tupleIJSF_S6_EEENSH_IJSG_SG_EEES6_PlJNSB_9not_fun_tI7is_trueIdEEEEEE10hipError_tPvRmT3_T4_T5_T6_T7_T9_mT8_P12ihipStream_tbDpT10_ENKUlT_T0_E_clISt17integral_constantIbLb1EES18_EEDaS13_S14_EUlS13_E_NS1_11comp_targetILNS1_3genE9ELNS1_11target_archE1100ELNS1_3gpuE3ELNS1_3repE0EEENS1_30default_config_static_selectorELNS0_4arch9wavefront6targetE0EEEvT1_: ; @_ZN7rocprim17ROCPRIM_400000_NS6detail17trampoline_kernelINS0_14default_configENS1_25partition_config_selectorILNS1_17partition_subalgoE6EdNS0_10empty_typeEbEEZZNS1_14partition_implILS5_6ELb0ES3_mN6thrust23THRUST_200600_302600_NS6detail15normal_iteratorINSA_10device_ptrIdEEEEPS6_SG_NS0_5tupleIJSF_S6_EEENSH_IJSG_SG_EEES6_PlJNSB_9not_fun_tI7is_trueIdEEEEEE10hipError_tPvRmT3_T4_T5_T6_T7_T9_mT8_P12ihipStream_tbDpT10_ENKUlT_T0_E_clISt17integral_constantIbLb1EES18_EEDaS13_S14_EUlS13_E_NS1_11comp_targetILNS1_3genE9ELNS1_11target_archE1100ELNS1_3gpuE3ELNS1_3repE0EEENS1_30default_config_static_selectorELNS0_4arch9wavefront6targetE0EEEvT1_
; %bb.0:
	.section	.rodata,"a",@progbits
	.p2align	6, 0x0
	.amdhsa_kernel _ZN7rocprim17ROCPRIM_400000_NS6detail17trampoline_kernelINS0_14default_configENS1_25partition_config_selectorILNS1_17partition_subalgoE6EdNS0_10empty_typeEbEEZZNS1_14partition_implILS5_6ELb0ES3_mN6thrust23THRUST_200600_302600_NS6detail15normal_iteratorINSA_10device_ptrIdEEEEPS6_SG_NS0_5tupleIJSF_S6_EEENSH_IJSG_SG_EEES6_PlJNSB_9not_fun_tI7is_trueIdEEEEEE10hipError_tPvRmT3_T4_T5_T6_T7_T9_mT8_P12ihipStream_tbDpT10_ENKUlT_T0_E_clISt17integral_constantIbLb1EES18_EEDaS13_S14_EUlS13_E_NS1_11comp_targetILNS1_3genE9ELNS1_11target_archE1100ELNS1_3gpuE3ELNS1_3repE0EEENS1_30default_config_static_selectorELNS0_4arch9wavefront6targetE0EEEvT1_
		.amdhsa_group_segment_fixed_size 0
		.amdhsa_private_segment_fixed_size 0
		.amdhsa_kernarg_size 128
		.amdhsa_user_sgpr_count 2
		.amdhsa_user_sgpr_dispatch_ptr 0
		.amdhsa_user_sgpr_queue_ptr 0
		.amdhsa_user_sgpr_kernarg_segment_ptr 1
		.amdhsa_user_sgpr_dispatch_id 0
		.amdhsa_user_sgpr_private_segment_size 0
		.amdhsa_wavefront_size32 1
		.amdhsa_uses_dynamic_stack 0
		.amdhsa_enable_private_segment 0
		.amdhsa_system_sgpr_workgroup_id_x 1
		.amdhsa_system_sgpr_workgroup_id_y 0
		.amdhsa_system_sgpr_workgroup_id_z 0
		.amdhsa_system_sgpr_workgroup_info 0
		.amdhsa_system_vgpr_workitem_id 0
		.amdhsa_next_free_vgpr 1
		.amdhsa_next_free_sgpr 1
		.amdhsa_reserve_vcc 0
		.amdhsa_float_round_mode_32 0
		.amdhsa_float_round_mode_16_64 0
		.amdhsa_float_denorm_mode_32 3
		.amdhsa_float_denorm_mode_16_64 3
		.amdhsa_fp16_overflow 0
		.amdhsa_workgroup_processor_mode 1
		.amdhsa_memory_ordered 1
		.amdhsa_forward_progress 1
		.amdhsa_inst_pref_size 0
		.amdhsa_round_robin_scheduling 0
		.amdhsa_exception_fp_ieee_invalid_op 0
		.amdhsa_exception_fp_denorm_src 0
		.amdhsa_exception_fp_ieee_div_zero 0
		.amdhsa_exception_fp_ieee_overflow 0
		.amdhsa_exception_fp_ieee_underflow 0
		.amdhsa_exception_fp_ieee_inexact 0
		.amdhsa_exception_int_div_zero 0
	.end_amdhsa_kernel
	.section	.text._ZN7rocprim17ROCPRIM_400000_NS6detail17trampoline_kernelINS0_14default_configENS1_25partition_config_selectorILNS1_17partition_subalgoE6EdNS0_10empty_typeEbEEZZNS1_14partition_implILS5_6ELb0ES3_mN6thrust23THRUST_200600_302600_NS6detail15normal_iteratorINSA_10device_ptrIdEEEEPS6_SG_NS0_5tupleIJSF_S6_EEENSH_IJSG_SG_EEES6_PlJNSB_9not_fun_tI7is_trueIdEEEEEE10hipError_tPvRmT3_T4_T5_T6_T7_T9_mT8_P12ihipStream_tbDpT10_ENKUlT_T0_E_clISt17integral_constantIbLb1EES18_EEDaS13_S14_EUlS13_E_NS1_11comp_targetILNS1_3genE9ELNS1_11target_archE1100ELNS1_3gpuE3ELNS1_3repE0EEENS1_30default_config_static_selectorELNS0_4arch9wavefront6targetE0EEEvT1_,"axG",@progbits,_ZN7rocprim17ROCPRIM_400000_NS6detail17trampoline_kernelINS0_14default_configENS1_25partition_config_selectorILNS1_17partition_subalgoE6EdNS0_10empty_typeEbEEZZNS1_14partition_implILS5_6ELb0ES3_mN6thrust23THRUST_200600_302600_NS6detail15normal_iteratorINSA_10device_ptrIdEEEEPS6_SG_NS0_5tupleIJSF_S6_EEENSH_IJSG_SG_EEES6_PlJNSB_9not_fun_tI7is_trueIdEEEEEE10hipError_tPvRmT3_T4_T5_T6_T7_T9_mT8_P12ihipStream_tbDpT10_ENKUlT_T0_E_clISt17integral_constantIbLb1EES18_EEDaS13_S14_EUlS13_E_NS1_11comp_targetILNS1_3genE9ELNS1_11target_archE1100ELNS1_3gpuE3ELNS1_3repE0EEENS1_30default_config_static_selectorELNS0_4arch9wavefront6targetE0EEEvT1_,comdat
.Lfunc_end1059:
	.size	_ZN7rocprim17ROCPRIM_400000_NS6detail17trampoline_kernelINS0_14default_configENS1_25partition_config_selectorILNS1_17partition_subalgoE6EdNS0_10empty_typeEbEEZZNS1_14partition_implILS5_6ELb0ES3_mN6thrust23THRUST_200600_302600_NS6detail15normal_iteratorINSA_10device_ptrIdEEEEPS6_SG_NS0_5tupleIJSF_S6_EEENSH_IJSG_SG_EEES6_PlJNSB_9not_fun_tI7is_trueIdEEEEEE10hipError_tPvRmT3_T4_T5_T6_T7_T9_mT8_P12ihipStream_tbDpT10_ENKUlT_T0_E_clISt17integral_constantIbLb1EES18_EEDaS13_S14_EUlS13_E_NS1_11comp_targetILNS1_3genE9ELNS1_11target_archE1100ELNS1_3gpuE3ELNS1_3repE0EEENS1_30default_config_static_selectorELNS0_4arch9wavefront6targetE0EEEvT1_, .Lfunc_end1059-_ZN7rocprim17ROCPRIM_400000_NS6detail17trampoline_kernelINS0_14default_configENS1_25partition_config_selectorILNS1_17partition_subalgoE6EdNS0_10empty_typeEbEEZZNS1_14partition_implILS5_6ELb0ES3_mN6thrust23THRUST_200600_302600_NS6detail15normal_iteratorINSA_10device_ptrIdEEEEPS6_SG_NS0_5tupleIJSF_S6_EEENSH_IJSG_SG_EEES6_PlJNSB_9not_fun_tI7is_trueIdEEEEEE10hipError_tPvRmT3_T4_T5_T6_T7_T9_mT8_P12ihipStream_tbDpT10_ENKUlT_T0_E_clISt17integral_constantIbLb1EES18_EEDaS13_S14_EUlS13_E_NS1_11comp_targetILNS1_3genE9ELNS1_11target_archE1100ELNS1_3gpuE3ELNS1_3repE0EEENS1_30default_config_static_selectorELNS0_4arch9wavefront6targetE0EEEvT1_
                                        ; -- End function
	.set _ZN7rocprim17ROCPRIM_400000_NS6detail17trampoline_kernelINS0_14default_configENS1_25partition_config_selectorILNS1_17partition_subalgoE6EdNS0_10empty_typeEbEEZZNS1_14partition_implILS5_6ELb0ES3_mN6thrust23THRUST_200600_302600_NS6detail15normal_iteratorINSA_10device_ptrIdEEEEPS6_SG_NS0_5tupleIJSF_S6_EEENSH_IJSG_SG_EEES6_PlJNSB_9not_fun_tI7is_trueIdEEEEEE10hipError_tPvRmT3_T4_T5_T6_T7_T9_mT8_P12ihipStream_tbDpT10_ENKUlT_T0_E_clISt17integral_constantIbLb1EES18_EEDaS13_S14_EUlS13_E_NS1_11comp_targetILNS1_3genE9ELNS1_11target_archE1100ELNS1_3gpuE3ELNS1_3repE0EEENS1_30default_config_static_selectorELNS0_4arch9wavefront6targetE0EEEvT1_.num_vgpr, 0
	.set _ZN7rocprim17ROCPRIM_400000_NS6detail17trampoline_kernelINS0_14default_configENS1_25partition_config_selectorILNS1_17partition_subalgoE6EdNS0_10empty_typeEbEEZZNS1_14partition_implILS5_6ELb0ES3_mN6thrust23THRUST_200600_302600_NS6detail15normal_iteratorINSA_10device_ptrIdEEEEPS6_SG_NS0_5tupleIJSF_S6_EEENSH_IJSG_SG_EEES6_PlJNSB_9not_fun_tI7is_trueIdEEEEEE10hipError_tPvRmT3_T4_T5_T6_T7_T9_mT8_P12ihipStream_tbDpT10_ENKUlT_T0_E_clISt17integral_constantIbLb1EES18_EEDaS13_S14_EUlS13_E_NS1_11comp_targetILNS1_3genE9ELNS1_11target_archE1100ELNS1_3gpuE3ELNS1_3repE0EEENS1_30default_config_static_selectorELNS0_4arch9wavefront6targetE0EEEvT1_.num_agpr, 0
	.set _ZN7rocprim17ROCPRIM_400000_NS6detail17trampoline_kernelINS0_14default_configENS1_25partition_config_selectorILNS1_17partition_subalgoE6EdNS0_10empty_typeEbEEZZNS1_14partition_implILS5_6ELb0ES3_mN6thrust23THRUST_200600_302600_NS6detail15normal_iteratorINSA_10device_ptrIdEEEEPS6_SG_NS0_5tupleIJSF_S6_EEENSH_IJSG_SG_EEES6_PlJNSB_9not_fun_tI7is_trueIdEEEEEE10hipError_tPvRmT3_T4_T5_T6_T7_T9_mT8_P12ihipStream_tbDpT10_ENKUlT_T0_E_clISt17integral_constantIbLb1EES18_EEDaS13_S14_EUlS13_E_NS1_11comp_targetILNS1_3genE9ELNS1_11target_archE1100ELNS1_3gpuE3ELNS1_3repE0EEENS1_30default_config_static_selectorELNS0_4arch9wavefront6targetE0EEEvT1_.numbered_sgpr, 0
	.set _ZN7rocprim17ROCPRIM_400000_NS6detail17trampoline_kernelINS0_14default_configENS1_25partition_config_selectorILNS1_17partition_subalgoE6EdNS0_10empty_typeEbEEZZNS1_14partition_implILS5_6ELb0ES3_mN6thrust23THRUST_200600_302600_NS6detail15normal_iteratorINSA_10device_ptrIdEEEEPS6_SG_NS0_5tupleIJSF_S6_EEENSH_IJSG_SG_EEES6_PlJNSB_9not_fun_tI7is_trueIdEEEEEE10hipError_tPvRmT3_T4_T5_T6_T7_T9_mT8_P12ihipStream_tbDpT10_ENKUlT_T0_E_clISt17integral_constantIbLb1EES18_EEDaS13_S14_EUlS13_E_NS1_11comp_targetILNS1_3genE9ELNS1_11target_archE1100ELNS1_3gpuE3ELNS1_3repE0EEENS1_30default_config_static_selectorELNS0_4arch9wavefront6targetE0EEEvT1_.num_named_barrier, 0
	.set _ZN7rocprim17ROCPRIM_400000_NS6detail17trampoline_kernelINS0_14default_configENS1_25partition_config_selectorILNS1_17partition_subalgoE6EdNS0_10empty_typeEbEEZZNS1_14partition_implILS5_6ELb0ES3_mN6thrust23THRUST_200600_302600_NS6detail15normal_iteratorINSA_10device_ptrIdEEEEPS6_SG_NS0_5tupleIJSF_S6_EEENSH_IJSG_SG_EEES6_PlJNSB_9not_fun_tI7is_trueIdEEEEEE10hipError_tPvRmT3_T4_T5_T6_T7_T9_mT8_P12ihipStream_tbDpT10_ENKUlT_T0_E_clISt17integral_constantIbLb1EES18_EEDaS13_S14_EUlS13_E_NS1_11comp_targetILNS1_3genE9ELNS1_11target_archE1100ELNS1_3gpuE3ELNS1_3repE0EEENS1_30default_config_static_selectorELNS0_4arch9wavefront6targetE0EEEvT1_.private_seg_size, 0
	.set _ZN7rocprim17ROCPRIM_400000_NS6detail17trampoline_kernelINS0_14default_configENS1_25partition_config_selectorILNS1_17partition_subalgoE6EdNS0_10empty_typeEbEEZZNS1_14partition_implILS5_6ELb0ES3_mN6thrust23THRUST_200600_302600_NS6detail15normal_iteratorINSA_10device_ptrIdEEEEPS6_SG_NS0_5tupleIJSF_S6_EEENSH_IJSG_SG_EEES6_PlJNSB_9not_fun_tI7is_trueIdEEEEEE10hipError_tPvRmT3_T4_T5_T6_T7_T9_mT8_P12ihipStream_tbDpT10_ENKUlT_T0_E_clISt17integral_constantIbLb1EES18_EEDaS13_S14_EUlS13_E_NS1_11comp_targetILNS1_3genE9ELNS1_11target_archE1100ELNS1_3gpuE3ELNS1_3repE0EEENS1_30default_config_static_selectorELNS0_4arch9wavefront6targetE0EEEvT1_.uses_vcc, 0
	.set _ZN7rocprim17ROCPRIM_400000_NS6detail17trampoline_kernelINS0_14default_configENS1_25partition_config_selectorILNS1_17partition_subalgoE6EdNS0_10empty_typeEbEEZZNS1_14partition_implILS5_6ELb0ES3_mN6thrust23THRUST_200600_302600_NS6detail15normal_iteratorINSA_10device_ptrIdEEEEPS6_SG_NS0_5tupleIJSF_S6_EEENSH_IJSG_SG_EEES6_PlJNSB_9not_fun_tI7is_trueIdEEEEEE10hipError_tPvRmT3_T4_T5_T6_T7_T9_mT8_P12ihipStream_tbDpT10_ENKUlT_T0_E_clISt17integral_constantIbLb1EES18_EEDaS13_S14_EUlS13_E_NS1_11comp_targetILNS1_3genE9ELNS1_11target_archE1100ELNS1_3gpuE3ELNS1_3repE0EEENS1_30default_config_static_selectorELNS0_4arch9wavefront6targetE0EEEvT1_.uses_flat_scratch, 0
	.set _ZN7rocprim17ROCPRIM_400000_NS6detail17trampoline_kernelINS0_14default_configENS1_25partition_config_selectorILNS1_17partition_subalgoE6EdNS0_10empty_typeEbEEZZNS1_14partition_implILS5_6ELb0ES3_mN6thrust23THRUST_200600_302600_NS6detail15normal_iteratorINSA_10device_ptrIdEEEEPS6_SG_NS0_5tupleIJSF_S6_EEENSH_IJSG_SG_EEES6_PlJNSB_9not_fun_tI7is_trueIdEEEEEE10hipError_tPvRmT3_T4_T5_T6_T7_T9_mT8_P12ihipStream_tbDpT10_ENKUlT_T0_E_clISt17integral_constantIbLb1EES18_EEDaS13_S14_EUlS13_E_NS1_11comp_targetILNS1_3genE9ELNS1_11target_archE1100ELNS1_3gpuE3ELNS1_3repE0EEENS1_30default_config_static_selectorELNS0_4arch9wavefront6targetE0EEEvT1_.has_dyn_sized_stack, 0
	.set _ZN7rocprim17ROCPRIM_400000_NS6detail17trampoline_kernelINS0_14default_configENS1_25partition_config_selectorILNS1_17partition_subalgoE6EdNS0_10empty_typeEbEEZZNS1_14partition_implILS5_6ELb0ES3_mN6thrust23THRUST_200600_302600_NS6detail15normal_iteratorINSA_10device_ptrIdEEEEPS6_SG_NS0_5tupleIJSF_S6_EEENSH_IJSG_SG_EEES6_PlJNSB_9not_fun_tI7is_trueIdEEEEEE10hipError_tPvRmT3_T4_T5_T6_T7_T9_mT8_P12ihipStream_tbDpT10_ENKUlT_T0_E_clISt17integral_constantIbLb1EES18_EEDaS13_S14_EUlS13_E_NS1_11comp_targetILNS1_3genE9ELNS1_11target_archE1100ELNS1_3gpuE3ELNS1_3repE0EEENS1_30default_config_static_selectorELNS0_4arch9wavefront6targetE0EEEvT1_.has_recursion, 0
	.set _ZN7rocprim17ROCPRIM_400000_NS6detail17trampoline_kernelINS0_14default_configENS1_25partition_config_selectorILNS1_17partition_subalgoE6EdNS0_10empty_typeEbEEZZNS1_14partition_implILS5_6ELb0ES3_mN6thrust23THRUST_200600_302600_NS6detail15normal_iteratorINSA_10device_ptrIdEEEEPS6_SG_NS0_5tupleIJSF_S6_EEENSH_IJSG_SG_EEES6_PlJNSB_9not_fun_tI7is_trueIdEEEEEE10hipError_tPvRmT3_T4_T5_T6_T7_T9_mT8_P12ihipStream_tbDpT10_ENKUlT_T0_E_clISt17integral_constantIbLb1EES18_EEDaS13_S14_EUlS13_E_NS1_11comp_targetILNS1_3genE9ELNS1_11target_archE1100ELNS1_3gpuE3ELNS1_3repE0EEENS1_30default_config_static_selectorELNS0_4arch9wavefront6targetE0EEEvT1_.has_indirect_call, 0
	.section	.AMDGPU.csdata,"",@progbits
; Kernel info:
; codeLenInByte = 0
; TotalNumSgprs: 0
; NumVgprs: 0
; ScratchSize: 0
; MemoryBound: 0
; FloatMode: 240
; IeeeMode: 1
; LDSByteSize: 0 bytes/workgroup (compile time only)
; SGPRBlocks: 0
; VGPRBlocks: 0
; NumSGPRsForWavesPerEU: 1
; NumVGPRsForWavesPerEU: 1
; Occupancy: 16
; WaveLimiterHint : 0
; COMPUTE_PGM_RSRC2:SCRATCH_EN: 0
; COMPUTE_PGM_RSRC2:USER_SGPR: 2
; COMPUTE_PGM_RSRC2:TRAP_HANDLER: 0
; COMPUTE_PGM_RSRC2:TGID_X_EN: 1
; COMPUTE_PGM_RSRC2:TGID_Y_EN: 0
; COMPUTE_PGM_RSRC2:TGID_Z_EN: 0
; COMPUTE_PGM_RSRC2:TIDIG_COMP_CNT: 0
	.section	.text._ZN7rocprim17ROCPRIM_400000_NS6detail17trampoline_kernelINS0_14default_configENS1_25partition_config_selectorILNS1_17partition_subalgoE6EdNS0_10empty_typeEbEEZZNS1_14partition_implILS5_6ELb0ES3_mN6thrust23THRUST_200600_302600_NS6detail15normal_iteratorINSA_10device_ptrIdEEEEPS6_SG_NS0_5tupleIJSF_S6_EEENSH_IJSG_SG_EEES6_PlJNSB_9not_fun_tI7is_trueIdEEEEEE10hipError_tPvRmT3_T4_T5_T6_T7_T9_mT8_P12ihipStream_tbDpT10_ENKUlT_T0_E_clISt17integral_constantIbLb1EES18_EEDaS13_S14_EUlS13_E_NS1_11comp_targetILNS1_3genE8ELNS1_11target_archE1030ELNS1_3gpuE2ELNS1_3repE0EEENS1_30default_config_static_selectorELNS0_4arch9wavefront6targetE0EEEvT1_,"axG",@progbits,_ZN7rocprim17ROCPRIM_400000_NS6detail17trampoline_kernelINS0_14default_configENS1_25partition_config_selectorILNS1_17partition_subalgoE6EdNS0_10empty_typeEbEEZZNS1_14partition_implILS5_6ELb0ES3_mN6thrust23THRUST_200600_302600_NS6detail15normal_iteratorINSA_10device_ptrIdEEEEPS6_SG_NS0_5tupleIJSF_S6_EEENSH_IJSG_SG_EEES6_PlJNSB_9not_fun_tI7is_trueIdEEEEEE10hipError_tPvRmT3_T4_T5_T6_T7_T9_mT8_P12ihipStream_tbDpT10_ENKUlT_T0_E_clISt17integral_constantIbLb1EES18_EEDaS13_S14_EUlS13_E_NS1_11comp_targetILNS1_3genE8ELNS1_11target_archE1030ELNS1_3gpuE2ELNS1_3repE0EEENS1_30default_config_static_selectorELNS0_4arch9wavefront6targetE0EEEvT1_,comdat
	.protected	_ZN7rocprim17ROCPRIM_400000_NS6detail17trampoline_kernelINS0_14default_configENS1_25partition_config_selectorILNS1_17partition_subalgoE6EdNS0_10empty_typeEbEEZZNS1_14partition_implILS5_6ELb0ES3_mN6thrust23THRUST_200600_302600_NS6detail15normal_iteratorINSA_10device_ptrIdEEEEPS6_SG_NS0_5tupleIJSF_S6_EEENSH_IJSG_SG_EEES6_PlJNSB_9not_fun_tI7is_trueIdEEEEEE10hipError_tPvRmT3_T4_T5_T6_T7_T9_mT8_P12ihipStream_tbDpT10_ENKUlT_T0_E_clISt17integral_constantIbLb1EES18_EEDaS13_S14_EUlS13_E_NS1_11comp_targetILNS1_3genE8ELNS1_11target_archE1030ELNS1_3gpuE2ELNS1_3repE0EEENS1_30default_config_static_selectorELNS0_4arch9wavefront6targetE0EEEvT1_ ; -- Begin function _ZN7rocprim17ROCPRIM_400000_NS6detail17trampoline_kernelINS0_14default_configENS1_25partition_config_selectorILNS1_17partition_subalgoE6EdNS0_10empty_typeEbEEZZNS1_14partition_implILS5_6ELb0ES3_mN6thrust23THRUST_200600_302600_NS6detail15normal_iteratorINSA_10device_ptrIdEEEEPS6_SG_NS0_5tupleIJSF_S6_EEENSH_IJSG_SG_EEES6_PlJNSB_9not_fun_tI7is_trueIdEEEEEE10hipError_tPvRmT3_T4_T5_T6_T7_T9_mT8_P12ihipStream_tbDpT10_ENKUlT_T0_E_clISt17integral_constantIbLb1EES18_EEDaS13_S14_EUlS13_E_NS1_11comp_targetILNS1_3genE8ELNS1_11target_archE1030ELNS1_3gpuE2ELNS1_3repE0EEENS1_30default_config_static_selectorELNS0_4arch9wavefront6targetE0EEEvT1_
	.globl	_ZN7rocprim17ROCPRIM_400000_NS6detail17trampoline_kernelINS0_14default_configENS1_25partition_config_selectorILNS1_17partition_subalgoE6EdNS0_10empty_typeEbEEZZNS1_14partition_implILS5_6ELb0ES3_mN6thrust23THRUST_200600_302600_NS6detail15normal_iteratorINSA_10device_ptrIdEEEEPS6_SG_NS0_5tupleIJSF_S6_EEENSH_IJSG_SG_EEES6_PlJNSB_9not_fun_tI7is_trueIdEEEEEE10hipError_tPvRmT3_T4_T5_T6_T7_T9_mT8_P12ihipStream_tbDpT10_ENKUlT_T0_E_clISt17integral_constantIbLb1EES18_EEDaS13_S14_EUlS13_E_NS1_11comp_targetILNS1_3genE8ELNS1_11target_archE1030ELNS1_3gpuE2ELNS1_3repE0EEENS1_30default_config_static_selectorELNS0_4arch9wavefront6targetE0EEEvT1_
	.p2align	8
	.type	_ZN7rocprim17ROCPRIM_400000_NS6detail17trampoline_kernelINS0_14default_configENS1_25partition_config_selectorILNS1_17partition_subalgoE6EdNS0_10empty_typeEbEEZZNS1_14partition_implILS5_6ELb0ES3_mN6thrust23THRUST_200600_302600_NS6detail15normal_iteratorINSA_10device_ptrIdEEEEPS6_SG_NS0_5tupleIJSF_S6_EEENSH_IJSG_SG_EEES6_PlJNSB_9not_fun_tI7is_trueIdEEEEEE10hipError_tPvRmT3_T4_T5_T6_T7_T9_mT8_P12ihipStream_tbDpT10_ENKUlT_T0_E_clISt17integral_constantIbLb1EES18_EEDaS13_S14_EUlS13_E_NS1_11comp_targetILNS1_3genE8ELNS1_11target_archE1030ELNS1_3gpuE2ELNS1_3repE0EEENS1_30default_config_static_selectorELNS0_4arch9wavefront6targetE0EEEvT1_,@function
_ZN7rocprim17ROCPRIM_400000_NS6detail17trampoline_kernelINS0_14default_configENS1_25partition_config_selectorILNS1_17partition_subalgoE6EdNS0_10empty_typeEbEEZZNS1_14partition_implILS5_6ELb0ES3_mN6thrust23THRUST_200600_302600_NS6detail15normal_iteratorINSA_10device_ptrIdEEEEPS6_SG_NS0_5tupleIJSF_S6_EEENSH_IJSG_SG_EEES6_PlJNSB_9not_fun_tI7is_trueIdEEEEEE10hipError_tPvRmT3_T4_T5_T6_T7_T9_mT8_P12ihipStream_tbDpT10_ENKUlT_T0_E_clISt17integral_constantIbLb1EES18_EEDaS13_S14_EUlS13_E_NS1_11comp_targetILNS1_3genE8ELNS1_11target_archE1030ELNS1_3gpuE2ELNS1_3repE0EEENS1_30default_config_static_selectorELNS0_4arch9wavefront6targetE0EEEvT1_: ; @_ZN7rocprim17ROCPRIM_400000_NS6detail17trampoline_kernelINS0_14default_configENS1_25partition_config_selectorILNS1_17partition_subalgoE6EdNS0_10empty_typeEbEEZZNS1_14partition_implILS5_6ELb0ES3_mN6thrust23THRUST_200600_302600_NS6detail15normal_iteratorINSA_10device_ptrIdEEEEPS6_SG_NS0_5tupleIJSF_S6_EEENSH_IJSG_SG_EEES6_PlJNSB_9not_fun_tI7is_trueIdEEEEEE10hipError_tPvRmT3_T4_T5_T6_T7_T9_mT8_P12ihipStream_tbDpT10_ENKUlT_T0_E_clISt17integral_constantIbLb1EES18_EEDaS13_S14_EUlS13_E_NS1_11comp_targetILNS1_3genE8ELNS1_11target_archE1030ELNS1_3gpuE2ELNS1_3repE0EEENS1_30default_config_static_selectorELNS0_4arch9wavefront6targetE0EEEvT1_
; %bb.0:
	.section	.rodata,"a",@progbits
	.p2align	6, 0x0
	.amdhsa_kernel _ZN7rocprim17ROCPRIM_400000_NS6detail17trampoline_kernelINS0_14default_configENS1_25partition_config_selectorILNS1_17partition_subalgoE6EdNS0_10empty_typeEbEEZZNS1_14partition_implILS5_6ELb0ES3_mN6thrust23THRUST_200600_302600_NS6detail15normal_iteratorINSA_10device_ptrIdEEEEPS6_SG_NS0_5tupleIJSF_S6_EEENSH_IJSG_SG_EEES6_PlJNSB_9not_fun_tI7is_trueIdEEEEEE10hipError_tPvRmT3_T4_T5_T6_T7_T9_mT8_P12ihipStream_tbDpT10_ENKUlT_T0_E_clISt17integral_constantIbLb1EES18_EEDaS13_S14_EUlS13_E_NS1_11comp_targetILNS1_3genE8ELNS1_11target_archE1030ELNS1_3gpuE2ELNS1_3repE0EEENS1_30default_config_static_selectorELNS0_4arch9wavefront6targetE0EEEvT1_
		.amdhsa_group_segment_fixed_size 0
		.amdhsa_private_segment_fixed_size 0
		.amdhsa_kernarg_size 128
		.amdhsa_user_sgpr_count 2
		.amdhsa_user_sgpr_dispatch_ptr 0
		.amdhsa_user_sgpr_queue_ptr 0
		.amdhsa_user_sgpr_kernarg_segment_ptr 1
		.amdhsa_user_sgpr_dispatch_id 0
		.amdhsa_user_sgpr_private_segment_size 0
		.amdhsa_wavefront_size32 1
		.amdhsa_uses_dynamic_stack 0
		.amdhsa_enable_private_segment 0
		.amdhsa_system_sgpr_workgroup_id_x 1
		.amdhsa_system_sgpr_workgroup_id_y 0
		.amdhsa_system_sgpr_workgroup_id_z 0
		.amdhsa_system_sgpr_workgroup_info 0
		.amdhsa_system_vgpr_workitem_id 0
		.amdhsa_next_free_vgpr 1
		.amdhsa_next_free_sgpr 1
		.amdhsa_reserve_vcc 0
		.amdhsa_float_round_mode_32 0
		.amdhsa_float_round_mode_16_64 0
		.amdhsa_float_denorm_mode_32 3
		.amdhsa_float_denorm_mode_16_64 3
		.amdhsa_fp16_overflow 0
		.amdhsa_workgroup_processor_mode 1
		.amdhsa_memory_ordered 1
		.amdhsa_forward_progress 1
		.amdhsa_inst_pref_size 0
		.amdhsa_round_robin_scheduling 0
		.amdhsa_exception_fp_ieee_invalid_op 0
		.amdhsa_exception_fp_denorm_src 0
		.amdhsa_exception_fp_ieee_div_zero 0
		.amdhsa_exception_fp_ieee_overflow 0
		.amdhsa_exception_fp_ieee_underflow 0
		.amdhsa_exception_fp_ieee_inexact 0
		.amdhsa_exception_int_div_zero 0
	.end_amdhsa_kernel
	.section	.text._ZN7rocprim17ROCPRIM_400000_NS6detail17trampoline_kernelINS0_14default_configENS1_25partition_config_selectorILNS1_17partition_subalgoE6EdNS0_10empty_typeEbEEZZNS1_14partition_implILS5_6ELb0ES3_mN6thrust23THRUST_200600_302600_NS6detail15normal_iteratorINSA_10device_ptrIdEEEEPS6_SG_NS0_5tupleIJSF_S6_EEENSH_IJSG_SG_EEES6_PlJNSB_9not_fun_tI7is_trueIdEEEEEE10hipError_tPvRmT3_T4_T5_T6_T7_T9_mT8_P12ihipStream_tbDpT10_ENKUlT_T0_E_clISt17integral_constantIbLb1EES18_EEDaS13_S14_EUlS13_E_NS1_11comp_targetILNS1_3genE8ELNS1_11target_archE1030ELNS1_3gpuE2ELNS1_3repE0EEENS1_30default_config_static_selectorELNS0_4arch9wavefront6targetE0EEEvT1_,"axG",@progbits,_ZN7rocprim17ROCPRIM_400000_NS6detail17trampoline_kernelINS0_14default_configENS1_25partition_config_selectorILNS1_17partition_subalgoE6EdNS0_10empty_typeEbEEZZNS1_14partition_implILS5_6ELb0ES3_mN6thrust23THRUST_200600_302600_NS6detail15normal_iteratorINSA_10device_ptrIdEEEEPS6_SG_NS0_5tupleIJSF_S6_EEENSH_IJSG_SG_EEES6_PlJNSB_9not_fun_tI7is_trueIdEEEEEE10hipError_tPvRmT3_T4_T5_T6_T7_T9_mT8_P12ihipStream_tbDpT10_ENKUlT_T0_E_clISt17integral_constantIbLb1EES18_EEDaS13_S14_EUlS13_E_NS1_11comp_targetILNS1_3genE8ELNS1_11target_archE1030ELNS1_3gpuE2ELNS1_3repE0EEENS1_30default_config_static_selectorELNS0_4arch9wavefront6targetE0EEEvT1_,comdat
.Lfunc_end1060:
	.size	_ZN7rocprim17ROCPRIM_400000_NS6detail17trampoline_kernelINS0_14default_configENS1_25partition_config_selectorILNS1_17partition_subalgoE6EdNS0_10empty_typeEbEEZZNS1_14partition_implILS5_6ELb0ES3_mN6thrust23THRUST_200600_302600_NS6detail15normal_iteratorINSA_10device_ptrIdEEEEPS6_SG_NS0_5tupleIJSF_S6_EEENSH_IJSG_SG_EEES6_PlJNSB_9not_fun_tI7is_trueIdEEEEEE10hipError_tPvRmT3_T4_T5_T6_T7_T9_mT8_P12ihipStream_tbDpT10_ENKUlT_T0_E_clISt17integral_constantIbLb1EES18_EEDaS13_S14_EUlS13_E_NS1_11comp_targetILNS1_3genE8ELNS1_11target_archE1030ELNS1_3gpuE2ELNS1_3repE0EEENS1_30default_config_static_selectorELNS0_4arch9wavefront6targetE0EEEvT1_, .Lfunc_end1060-_ZN7rocprim17ROCPRIM_400000_NS6detail17trampoline_kernelINS0_14default_configENS1_25partition_config_selectorILNS1_17partition_subalgoE6EdNS0_10empty_typeEbEEZZNS1_14partition_implILS5_6ELb0ES3_mN6thrust23THRUST_200600_302600_NS6detail15normal_iteratorINSA_10device_ptrIdEEEEPS6_SG_NS0_5tupleIJSF_S6_EEENSH_IJSG_SG_EEES6_PlJNSB_9not_fun_tI7is_trueIdEEEEEE10hipError_tPvRmT3_T4_T5_T6_T7_T9_mT8_P12ihipStream_tbDpT10_ENKUlT_T0_E_clISt17integral_constantIbLb1EES18_EEDaS13_S14_EUlS13_E_NS1_11comp_targetILNS1_3genE8ELNS1_11target_archE1030ELNS1_3gpuE2ELNS1_3repE0EEENS1_30default_config_static_selectorELNS0_4arch9wavefront6targetE0EEEvT1_
                                        ; -- End function
	.set _ZN7rocprim17ROCPRIM_400000_NS6detail17trampoline_kernelINS0_14default_configENS1_25partition_config_selectorILNS1_17partition_subalgoE6EdNS0_10empty_typeEbEEZZNS1_14partition_implILS5_6ELb0ES3_mN6thrust23THRUST_200600_302600_NS6detail15normal_iteratorINSA_10device_ptrIdEEEEPS6_SG_NS0_5tupleIJSF_S6_EEENSH_IJSG_SG_EEES6_PlJNSB_9not_fun_tI7is_trueIdEEEEEE10hipError_tPvRmT3_T4_T5_T6_T7_T9_mT8_P12ihipStream_tbDpT10_ENKUlT_T0_E_clISt17integral_constantIbLb1EES18_EEDaS13_S14_EUlS13_E_NS1_11comp_targetILNS1_3genE8ELNS1_11target_archE1030ELNS1_3gpuE2ELNS1_3repE0EEENS1_30default_config_static_selectorELNS0_4arch9wavefront6targetE0EEEvT1_.num_vgpr, 0
	.set _ZN7rocprim17ROCPRIM_400000_NS6detail17trampoline_kernelINS0_14default_configENS1_25partition_config_selectorILNS1_17partition_subalgoE6EdNS0_10empty_typeEbEEZZNS1_14partition_implILS5_6ELb0ES3_mN6thrust23THRUST_200600_302600_NS6detail15normal_iteratorINSA_10device_ptrIdEEEEPS6_SG_NS0_5tupleIJSF_S6_EEENSH_IJSG_SG_EEES6_PlJNSB_9not_fun_tI7is_trueIdEEEEEE10hipError_tPvRmT3_T4_T5_T6_T7_T9_mT8_P12ihipStream_tbDpT10_ENKUlT_T0_E_clISt17integral_constantIbLb1EES18_EEDaS13_S14_EUlS13_E_NS1_11comp_targetILNS1_3genE8ELNS1_11target_archE1030ELNS1_3gpuE2ELNS1_3repE0EEENS1_30default_config_static_selectorELNS0_4arch9wavefront6targetE0EEEvT1_.num_agpr, 0
	.set _ZN7rocprim17ROCPRIM_400000_NS6detail17trampoline_kernelINS0_14default_configENS1_25partition_config_selectorILNS1_17partition_subalgoE6EdNS0_10empty_typeEbEEZZNS1_14partition_implILS5_6ELb0ES3_mN6thrust23THRUST_200600_302600_NS6detail15normal_iteratorINSA_10device_ptrIdEEEEPS6_SG_NS0_5tupleIJSF_S6_EEENSH_IJSG_SG_EEES6_PlJNSB_9not_fun_tI7is_trueIdEEEEEE10hipError_tPvRmT3_T4_T5_T6_T7_T9_mT8_P12ihipStream_tbDpT10_ENKUlT_T0_E_clISt17integral_constantIbLb1EES18_EEDaS13_S14_EUlS13_E_NS1_11comp_targetILNS1_3genE8ELNS1_11target_archE1030ELNS1_3gpuE2ELNS1_3repE0EEENS1_30default_config_static_selectorELNS0_4arch9wavefront6targetE0EEEvT1_.numbered_sgpr, 0
	.set _ZN7rocprim17ROCPRIM_400000_NS6detail17trampoline_kernelINS0_14default_configENS1_25partition_config_selectorILNS1_17partition_subalgoE6EdNS0_10empty_typeEbEEZZNS1_14partition_implILS5_6ELb0ES3_mN6thrust23THRUST_200600_302600_NS6detail15normal_iteratorINSA_10device_ptrIdEEEEPS6_SG_NS0_5tupleIJSF_S6_EEENSH_IJSG_SG_EEES6_PlJNSB_9not_fun_tI7is_trueIdEEEEEE10hipError_tPvRmT3_T4_T5_T6_T7_T9_mT8_P12ihipStream_tbDpT10_ENKUlT_T0_E_clISt17integral_constantIbLb1EES18_EEDaS13_S14_EUlS13_E_NS1_11comp_targetILNS1_3genE8ELNS1_11target_archE1030ELNS1_3gpuE2ELNS1_3repE0EEENS1_30default_config_static_selectorELNS0_4arch9wavefront6targetE0EEEvT1_.num_named_barrier, 0
	.set _ZN7rocprim17ROCPRIM_400000_NS6detail17trampoline_kernelINS0_14default_configENS1_25partition_config_selectorILNS1_17partition_subalgoE6EdNS0_10empty_typeEbEEZZNS1_14partition_implILS5_6ELb0ES3_mN6thrust23THRUST_200600_302600_NS6detail15normal_iteratorINSA_10device_ptrIdEEEEPS6_SG_NS0_5tupleIJSF_S6_EEENSH_IJSG_SG_EEES6_PlJNSB_9not_fun_tI7is_trueIdEEEEEE10hipError_tPvRmT3_T4_T5_T6_T7_T9_mT8_P12ihipStream_tbDpT10_ENKUlT_T0_E_clISt17integral_constantIbLb1EES18_EEDaS13_S14_EUlS13_E_NS1_11comp_targetILNS1_3genE8ELNS1_11target_archE1030ELNS1_3gpuE2ELNS1_3repE0EEENS1_30default_config_static_selectorELNS0_4arch9wavefront6targetE0EEEvT1_.private_seg_size, 0
	.set _ZN7rocprim17ROCPRIM_400000_NS6detail17trampoline_kernelINS0_14default_configENS1_25partition_config_selectorILNS1_17partition_subalgoE6EdNS0_10empty_typeEbEEZZNS1_14partition_implILS5_6ELb0ES3_mN6thrust23THRUST_200600_302600_NS6detail15normal_iteratorINSA_10device_ptrIdEEEEPS6_SG_NS0_5tupleIJSF_S6_EEENSH_IJSG_SG_EEES6_PlJNSB_9not_fun_tI7is_trueIdEEEEEE10hipError_tPvRmT3_T4_T5_T6_T7_T9_mT8_P12ihipStream_tbDpT10_ENKUlT_T0_E_clISt17integral_constantIbLb1EES18_EEDaS13_S14_EUlS13_E_NS1_11comp_targetILNS1_3genE8ELNS1_11target_archE1030ELNS1_3gpuE2ELNS1_3repE0EEENS1_30default_config_static_selectorELNS0_4arch9wavefront6targetE0EEEvT1_.uses_vcc, 0
	.set _ZN7rocprim17ROCPRIM_400000_NS6detail17trampoline_kernelINS0_14default_configENS1_25partition_config_selectorILNS1_17partition_subalgoE6EdNS0_10empty_typeEbEEZZNS1_14partition_implILS5_6ELb0ES3_mN6thrust23THRUST_200600_302600_NS6detail15normal_iteratorINSA_10device_ptrIdEEEEPS6_SG_NS0_5tupleIJSF_S6_EEENSH_IJSG_SG_EEES6_PlJNSB_9not_fun_tI7is_trueIdEEEEEE10hipError_tPvRmT3_T4_T5_T6_T7_T9_mT8_P12ihipStream_tbDpT10_ENKUlT_T0_E_clISt17integral_constantIbLb1EES18_EEDaS13_S14_EUlS13_E_NS1_11comp_targetILNS1_3genE8ELNS1_11target_archE1030ELNS1_3gpuE2ELNS1_3repE0EEENS1_30default_config_static_selectorELNS0_4arch9wavefront6targetE0EEEvT1_.uses_flat_scratch, 0
	.set _ZN7rocprim17ROCPRIM_400000_NS6detail17trampoline_kernelINS0_14default_configENS1_25partition_config_selectorILNS1_17partition_subalgoE6EdNS0_10empty_typeEbEEZZNS1_14partition_implILS5_6ELb0ES3_mN6thrust23THRUST_200600_302600_NS6detail15normal_iteratorINSA_10device_ptrIdEEEEPS6_SG_NS0_5tupleIJSF_S6_EEENSH_IJSG_SG_EEES6_PlJNSB_9not_fun_tI7is_trueIdEEEEEE10hipError_tPvRmT3_T4_T5_T6_T7_T9_mT8_P12ihipStream_tbDpT10_ENKUlT_T0_E_clISt17integral_constantIbLb1EES18_EEDaS13_S14_EUlS13_E_NS1_11comp_targetILNS1_3genE8ELNS1_11target_archE1030ELNS1_3gpuE2ELNS1_3repE0EEENS1_30default_config_static_selectorELNS0_4arch9wavefront6targetE0EEEvT1_.has_dyn_sized_stack, 0
	.set _ZN7rocprim17ROCPRIM_400000_NS6detail17trampoline_kernelINS0_14default_configENS1_25partition_config_selectorILNS1_17partition_subalgoE6EdNS0_10empty_typeEbEEZZNS1_14partition_implILS5_6ELb0ES3_mN6thrust23THRUST_200600_302600_NS6detail15normal_iteratorINSA_10device_ptrIdEEEEPS6_SG_NS0_5tupleIJSF_S6_EEENSH_IJSG_SG_EEES6_PlJNSB_9not_fun_tI7is_trueIdEEEEEE10hipError_tPvRmT3_T4_T5_T6_T7_T9_mT8_P12ihipStream_tbDpT10_ENKUlT_T0_E_clISt17integral_constantIbLb1EES18_EEDaS13_S14_EUlS13_E_NS1_11comp_targetILNS1_3genE8ELNS1_11target_archE1030ELNS1_3gpuE2ELNS1_3repE0EEENS1_30default_config_static_selectorELNS0_4arch9wavefront6targetE0EEEvT1_.has_recursion, 0
	.set _ZN7rocprim17ROCPRIM_400000_NS6detail17trampoline_kernelINS0_14default_configENS1_25partition_config_selectorILNS1_17partition_subalgoE6EdNS0_10empty_typeEbEEZZNS1_14partition_implILS5_6ELb0ES3_mN6thrust23THRUST_200600_302600_NS6detail15normal_iteratorINSA_10device_ptrIdEEEEPS6_SG_NS0_5tupleIJSF_S6_EEENSH_IJSG_SG_EEES6_PlJNSB_9not_fun_tI7is_trueIdEEEEEE10hipError_tPvRmT3_T4_T5_T6_T7_T9_mT8_P12ihipStream_tbDpT10_ENKUlT_T0_E_clISt17integral_constantIbLb1EES18_EEDaS13_S14_EUlS13_E_NS1_11comp_targetILNS1_3genE8ELNS1_11target_archE1030ELNS1_3gpuE2ELNS1_3repE0EEENS1_30default_config_static_selectorELNS0_4arch9wavefront6targetE0EEEvT1_.has_indirect_call, 0
	.section	.AMDGPU.csdata,"",@progbits
; Kernel info:
; codeLenInByte = 0
; TotalNumSgprs: 0
; NumVgprs: 0
; ScratchSize: 0
; MemoryBound: 0
; FloatMode: 240
; IeeeMode: 1
; LDSByteSize: 0 bytes/workgroup (compile time only)
; SGPRBlocks: 0
; VGPRBlocks: 0
; NumSGPRsForWavesPerEU: 1
; NumVGPRsForWavesPerEU: 1
; Occupancy: 16
; WaveLimiterHint : 0
; COMPUTE_PGM_RSRC2:SCRATCH_EN: 0
; COMPUTE_PGM_RSRC2:USER_SGPR: 2
; COMPUTE_PGM_RSRC2:TRAP_HANDLER: 0
; COMPUTE_PGM_RSRC2:TGID_X_EN: 1
; COMPUTE_PGM_RSRC2:TGID_Y_EN: 0
; COMPUTE_PGM_RSRC2:TGID_Z_EN: 0
; COMPUTE_PGM_RSRC2:TIDIG_COMP_CNT: 0
	.section	.text._ZN7rocprim17ROCPRIM_400000_NS6detail17trampoline_kernelINS0_14default_configENS1_25partition_config_selectorILNS1_17partition_subalgoE6EdNS0_10empty_typeEbEEZZNS1_14partition_implILS5_6ELb0ES3_mN6thrust23THRUST_200600_302600_NS6detail15normal_iteratorINSA_10device_ptrIdEEEEPS6_SG_NS0_5tupleIJSF_S6_EEENSH_IJSG_SG_EEES6_PlJNSB_9not_fun_tI7is_trueIdEEEEEE10hipError_tPvRmT3_T4_T5_T6_T7_T9_mT8_P12ihipStream_tbDpT10_ENKUlT_T0_E_clISt17integral_constantIbLb1EES17_IbLb0EEEEDaS13_S14_EUlS13_E_NS1_11comp_targetILNS1_3genE0ELNS1_11target_archE4294967295ELNS1_3gpuE0ELNS1_3repE0EEENS1_30default_config_static_selectorELNS0_4arch9wavefront6targetE0EEEvT1_,"axG",@progbits,_ZN7rocprim17ROCPRIM_400000_NS6detail17trampoline_kernelINS0_14default_configENS1_25partition_config_selectorILNS1_17partition_subalgoE6EdNS0_10empty_typeEbEEZZNS1_14partition_implILS5_6ELb0ES3_mN6thrust23THRUST_200600_302600_NS6detail15normal_iteratorINSA_10device_ptrIdEEEEPS6_SG_NS0_5tupleIJSF_S6_EEENSH_IJSG_SG_EEES6_PlJNSB_9not_fun_tI7is_trueIdEEEEEE10hipError_tPvRmT3_T4_T5_T6_T7_T9_mT8_P12ihipStream_tbDpT10_ENKUlT_T0_E_clISt17integral_constantIbLb1EES17_IbLb0EEEEDaS13_S14_EUlS13_E_NS1_11comp_targetILNS1_3genE0ELNS1_11target_archE4294967295ELNS1_3gpuE0ELNS1_3repE0EEENS1_30default_config_static_selectorELNS0_4arch9wavefront6targetE0EEEvT1_,comdat
	.protected	_ZN7rocprim17ROCPRIM_400000_NS6detail17trampoline_kernelINS0_14default_configENS1_25partition_config_selectorILNS1_17partition_subalgoE6EdNS0_10empty_typeEbEEZZNS1_14partition_implILS5_6ELb0ES3_mN6thrust23THRUST_200600_302600_NS6detail15normal_iteratorINSA_10device_ptrIdEEEEPS6_SG_NS0_5tupleIJSF_S6_EEENSH_IJSG_SG_EEES6_PlJNSB_9not_fun_tI7is_trueIdEEEEEE10hipError_tPvRmT3_T4_T5_T6_T7_T9_mT8_P12ihipStream_tbDpT10_ENKUlT_T0_E_clISt17integral_constantIbLb1EES17_IbLb0EEEEDaS13_S14_EUlS13_E_NS1_11comp_targetILNS1_3genE0ELNS1_11target_archE4294967295ELNS1_3gpuE0ELNS1_3repE0EEENS1_30default_config_static_selectorELNS0_4arch9wavefront6targetE0EEEvT1_ ; -- Begin function _ZN7rocprim17ROCPRIM_400000_NS6detail17trampoline_kernelINS0_14default_configENS1_25partition_config_selectorILNS1_17partition_subalgoE6EdNS0_10empty_typeEbEEZZNS1_14partition_implILS5_6ELb0ES3_mN6thrust23THRUST_200600_302600_NS6detail15normal_iteratorINSA_10device_ptrIdEEEEPS6_SG_NS0_5tupleIJSF_S6_EEENSH_IJSG_SG_EEES6_PlJNSB_9not_fun_tI7is_trueIdEEEEEE10hipError_tPvRmT3_T4_T5_T6_T7_T9_mT8_P12ihipStream_tbDpT10_ENKUlT_T0_E_clISt17integral_constantIbLb1EES17_IbLb0EEEEDaS13_S14_EUlS13_E_NS1_11comp_targetILNS1_3genE0ELNS1_11target_archE4294967295ELNS1_3gpuE0ELNS1_3repE0EEENS1_30default_config_static_selectorELNS0_4arch9wavefront6targetE0EEEvT1_
	.globl	_ZN7rocprim17ROCPRIM_400000_NS6detail17trampoline_kernelINS0_14default_configENS1_25partition_config_selectorILNS1_17partition_subalgoE6EdNS0_10empty_typeEbEEZZNS1_14partition_implILS5_6ELb0ES3_mN6thrust23THRUST_200600_302600_NS6detail15normal_iteratorINSA_10device_ptrIdEEEEPS6_SG_NS0_5tupleIJSF_S6_EEENSH_IJSG_SG_EEES6_PlJNSB_9not_fun_tI7is_trueIdEEEEEE10hipError_tPvRmT3_T4_T5_T6_T7_T9_mT8_P12ihipStream_tbDpT10_ENKUlT_T0_E_clISt17integral_constantIbLb1EES17_IbLb0EEEEDaS13_S14_EUlS13_E_NS1_11comp_targetILNS1_3genE0ELNS1_11target_archE4294967295ELNS1_3gpuE0ELNS1_3repE0EEENS1_30default_config_static_selectorELNS0_4arch9wavefront6targetE0EEEvT1_
	.p2align	8
	.type	_ZN7rocprim17ROCPRIM_400000_NS6detail17trampoline_kernelINS0_14default_configENS1_25partition_config_selectorILNS1_17partition_subalgoE6EdNS0_10empty_typeEbEEZZNS1_14partition_implILS5_6ELb0ES3_mN6thrust23THRUST_200600_302600_NS6detail15normal_iteratorINSA_10device_ptrIdEEEEPS6_SG_NS0_5tupleIJSF_S6_EEENSH_IJSG_SG_EEES6_PlJNSB_9not_fun_tI7is_trueIdEEEEEE10hipError_tPvRmT3_T4_T5_T6_T7_T9_mT8_P12ihipStream_tbDpT10_ENKUlT_T0_E_clISt17integral_constantIbLb1EES17_IbLb0EEEEDaS13_S14_EUlS13_E_NS1_11comp_targetILNS1_3genE0ELNS1_11target_archE4294967295ELNS1_3gpuE0ELNS1_3repE0EEENS1_30default_config_static_selectorELNS0_4arch9wavefront6targetE0EEEvT1_,@function
_ZN7rocprim17ROCPRIM_400000_NS6detail17trampoline_kernelINS0_14default_configENS1_25partition_config_selectorILNS1_17partition_subalgoE6EdNS0_10empty_typeEbEEZZNS1_14partition_implILS5_6ELb0ES3_mN6thrust23THRUST_200600_302600_NS6detail15normal_iteratorINSA_10device_ptrIdEEEEPS6_SG_NS0_5tupleIJSF_S6_EEENSH_IJSG_SG_EEES6_PlJNSB_9not_fun_tI7is_trueIdEEEEEE10hipError_tPvRmT3_T4_T5_T6_T7_T9_mT8_P12ihipStream_tbDpT10_ENKUlT_T0_E_clISt17integral_constantIbLb1EES17_IbLb0EEEEDaS13_S14_EUlS13_E_NS1_11comp_targetILNS1_3genE0ELNS1_11target_archE4294967295ELNS1_3gpuE0ELNS1_3repE0EEENS1_30default_config_static_selectorELNS0_4arch9wavefront6targetE0EEEvT1_: ; @_ZN7rocprim17ROCPRIM_400000_NS6detail17trampoline_kernelINS0_14default_configENS1_25partition_config_selectorILNS1_17partition_subalgoE6EdNS0_10empty_typeEbEEZZNS1_14partition_implILS5_6ELb0ES3_mN6thrust23THRUST_200600_302600_NS6detail15normal_iteratorINSA_10device_ptrIdEEEEPS6_SG_NS0_5tupleIJSF_S6_EEENSH_IJSG_SG_EEES6_PlJNSB_9not_fun_tI7is_trueIdEEEEEE10hipError_tPvRmT3_T4_T5_T6_T7_T9_mT8_P12ihipStream_tbDpT10_ENKUlT_T0_E_clISt17integral_constantIbLb1EES17_IbLb0EEEEDaS13_S14_EUlS13_E_NS1_11comp_targetILNS1_3genE0ELNS1_11target_archE4294967295ELNS1_3gpuE0ELNS1_3repE0EEENS1_30default_config_static_selectorELNS0_4arch9wavefront6targetE0EEEvT1_
; %bb.0:
	.section	.rodata,"a",@progbits
	.p2align	6, 0x0
	.amdhsa_kernel _ZN7rocprim17ROCPRIM_400000_NS6detail17trampoline_kernelINS0_14default_configENS1_25partition_config_selectorILNS1_17partition_subalgoE6EdNS0_10empty_typeEbEEZZNS1_14partition_implILS5_6ELb0ES3_mN6thrust23THRUST_200600_302600_NS6detail15normal_iteratorINSA_10device_ptrIdEEEEPS6_SG_NS0_5tupleIJSF_S6_EEENSH_IJSG_SG_EEES6_PlJNSB_9not_fun_tI7is_trueIdEEEEEE10hipError_tPvRmT3_T4_T5_T6_T7_T9_mT8_P12ihipStream_tbDpT10_ENKUlT_T0_E_clISt17integral_constantIbLb1EES17_IbLb0EEEEDaS13_S14_EUlS13_E_NS1_11comp_targetILNS1_3genE0ELNS1_11target_archE4294967295ELNS1_3gpuE0ELNS1_3repE0EEENS1_30default_config_static_selectorELNS0_4arch9wavefront6targetE0EEEvT1_
		.amdhsa_group_segment_fixed_size 0
		.amdhsa_private_segment_fixed_size 0
		.amdhsa_kernarg_size 112
		.amdhsa_user_sgpr_count 2
		.amdhsa_user_sgpr_dispatch_ptr 0
		.amdhsa_user_sgpr_queue_ptr 0
		.amdhsa_user_sgpr_kernarg_segment_ptr 1
		.amdhsa_user_sgpr_dispatch_id 0
		.amdhsa_user_sgpr_private_segment_size 0
		.amdhsa_wavefront_size32 1
		.amdhsa_uses_dynamic_stack 0
		.amdhsa_enable_private_segment 0
		.amdhsa_system_sgpr_workgroup_id_x 1
		.amdhsa_system_sgpr_workgroup_id_y 0
		.amdhsa_system_sgpr_workgroup_id_z 0
		.amdhsa_system_sgpr_workgroup_info 0
		.amdhsa_system_vgpr_workitem_id 0
		.amdhsa_next_free_vgpr 1
		.amdhsa_next_free_sgpr 1
		.amdhsa_reserve_vcc 0
		.amdhsa_float_round_mode_32 0
		.amdhsa_float_round_mode_16_64 0
		.amdhsa_float_denorm_mode_32 3
		.amdhsa_float_denorm_mode_16_64 3
		.amdhsa_fp16_overflow 0
		.amdhsa_workgroup_processor_mode 1
		.amdhsa_memory_ordered 1
		.amdhsa_forward_progress 1
		.amdhsa_inst_pref_size 0
		.amdhsa_round_robin_scheduling 0
		.amdhsa_exception_fp_ieee_invalid_op 0
		.amdhsa_exception_fp_denorm_src 0
		.amdhsa_exception_fp_ieee_div_zero 0
		.amdhsa_exception_fp_ieee_overflow 0
		.amdhsa_exception_fp_ieee_underflow 0
		.amdhsa_exception_fp_ieee_inexact 0
		.amdhsa_exception_int_div_zero 0
	.end_amdhsa_kernel
	.section	.text._ZN7rocprim17ROCPRIM_400000_NS6detail17trampoline_kernelINS0_14default_configENS1_25partition_config_selectorILNS1_17partition_subalgoE6EdNS0_10empty_typeEbEEZZNS1_14partition_implILS5_6ELb0ES3_mN6thrust23THRUST_200600_302600_NS6detail15normal_iteratorINSA_10device_ptrIdEEEEPS6_SG_NS0_5tupleIJSF_S6_EEENSH_IJSG_SG_EEES6_PlJNSB_9not_fun_tI7is_trueIdEEEEEE10hipError_tPvRmT3_T4_T5_T6_T7_T9_mT8_P12ihipStream_tbDpT10_ENKUlT_T0_E_clISt17integral_constantIbLb1EES17_IbLb0EEEEDaS13_S14_EUlS13_E_NS1_11comp_targetILNS1_3genE0ELNS1_11target_archE4294967295ELNS1_3gpuE0ELNS1_3repE0EEENS1_30default_config_static_selectorELNS0_4arch9wavefront6targetE0EEEvT1_,"axG",@progbits,_ZN7rocprim17ROCPRIM_400000_NS6detail17trampoline_kernelINS0_14default_configENS1_25partition_config_selectorILNS1_17partition_subalgoE6EdNS0_10empty_typeEbEEZZNS1_14partition_implILS5_6ELb0ES3_mN6thrust23THRUST_200600_302600_NS6detail15normal_iteratorINSA_10device_ptrIdEEEEPS6_SG_NS0_5tupleIJSF_S6_EEENSH_IJSG_SG_EEES6_PlJNSB_9not_fun_tI7is_trueIdEEEEEE10hipError_tPvRmT3_T4_T5_T6_T7_T9_mT8_P12ihipStream_tbDpT10_ENKUlT_T0_E_clISt17integral_constantIbLb1EES17_IbLb0EEEEDaS13_S14_EUlS13_E_NS1_11comp_targetILNS1_3genE0ELNS1_11target_archE4294967295ELNS1_3gpuE0ELNS1_3repE0EEENS1_30default_config_static_selectorELNS0_4arch9wavefront6targetE0EEEvT1_,comdat
.Lfunc_end1061:
	.size	_ZN7rocprim17ROCPRIM_400000_NS6detail17trampoline_kernelINS0_14default_configENS1_25partition_config_selectorILNS1_17partition_subalgoE6EdNS0_10empty_typeEbEEZZNS1_14partition_implILS5_6ELb0ES3_mN6thrust23THRUST_200600_302600_NS6detail15normal_iteratorINSA_10device_ptrIdEEEEPS6_SG_NS0_5tupleIJSF_S6_EEENSH_IJSG_SG_EEES6_PlJNSB_9not_fun_tI7is_trueIdEEEEEE10hipError_tPvRmT3_T4_T5_T6_T7_T9_mT8_P12ihipStream_tbDpT10_ENKUlT_T0_E_clISt17integral_constantIbLb1EES17_IbLb0EEEEDaS13_S14_EUlS13_E_NS1_11comp_targetILNS1_3genE0ELNS1_11target_archE4294967295ELNS1_3gpuE0ELNS1_3repE0EEENS1_30default_config_static_selectorELNS0_4arch9wavefront6targetE0EEEvT1_, .Lfunc_end1061-_ZN7rocprim17ROCPRIM_400000_NS6detail17trampoline_kernelINS0_14default_configENS1_25partition_config_selectorILNS1_17partition_subalgoE6EdNS0_10empty_typeEbEEZZNS1_14partition_implILS5_6ELb0ES3_mN6thrust23THRUST_200600_302600_NS6detail15normal_iteratorINSA_10device_ptrIdEEEEPS6_SG_NS0_5tupleIJSF_S6_EEENSH_IJSG_SG_EEES6_PlJNSB_9not_fun_tI7is_trueIdEEEEEE10hipError_tPvRmT3_T4_T5_T6_T7_T9_mT8_P12ihipStream_tbDpT10_ENKUlT_T0_E_clISt17integral_constantIbLb1EES17_IbLb0EEEEDaS13_S14_EUlS13_E_NS1_11comp_targetILNS1_3genE0ELNS1_11target_archE4294967295ELNS1_3gpuE0ELNS1_3repE0EEENS1_30default_config_static_selectorELNS0_4arch9wavefront6targetE0EEEvT1_
                                        ; -- End function
	.set _ZN7rocprim17ROCPRIM_400000_NS6detail17trampoline_kernelINS0_14default_configENS1_25partition_config_selectorILNS1_17partition_subalgoE6EdNS0_10empty_typeEbEEZZNS1_14partition_implILS5_6ELb0ES3_mN6thrust23THRUST_200600_302600_NS6detail15normal_iteratorINSA_10device_ptrIdEEEEPS6_SG_NS0_5tupleIJSF_S6_EEENSH_IJSG_SG_EEES6_PlJNSB_9not_fun_tI7is_trueIdEEEEEE10hipError_tPvRmT3_T4_T5_T6_T7_T9_mT8_P12ihipStream_tbDpT10_ENKUlT_T0_E_clISt17integral_constantIbLb1EES17_IbLb0EEEEDaS13_S14_EUlS13_E_NS1_11comp_targetILNS1_3genE0ELNS1_11target_archE4294967295ELNS1_3gpuE0ELNS1_3repE0EEENS1_30default_config_static_selectorELNS0_4arch9wavefront6targetE0EEEvT1_.num_vgpr, 0
	.set _ZN7rocprim17ROCPRIM_400000_NS6detail17trampoline_kernelINS0_14default_configENS1_25partition_config_selectorILNS1_17partition_subalgoE6EdNS0_10empty_typeEbEEZZNS1_14partition_implILS5_6ELb0ES3_mN6thrust23THRUST_200600_302600_NS6detail15normal_iteratorINSA_10device_ptrIdEEEEPS6_SG_NS0_5tupleIJSF_S6_EEENSH_IJSG_SG_EEES6_PlJNSB_9not_fun_tI7is_trueIdEEEEEE10hipError_tPvRmT3_T4_T5_T6_T7_T9_mT8_P12ihipStream_tbDpT10_ENKUlT_T0_E_clISt17integral_constantIbLb1EES17_IbLb0EEEEDaS13_S14_EUlS13_E_NS1_11comp_targetILNS1_3genE0ELNS1_11target_archE4294967295ELNS1_3gpuE0ELNS1_3repE0EEENS1_30default_config_static_selectorELNS0_4arch9wavefront6targetE0EEEvT1_.num_agpr, 0
	.set _ZN7rocprim17ROCPRIM_400000_NS6detail17trampoline_kernelINS0_14default_configENS1_25partition_config_selectorILNS1_17partition_subalgoE6EdNS0_10empty_typeEbEEZZNS1_14partition_implILS5_6ELb0ES3_mN6thrust23THRUST_200600_302600_NS6detail15normal_iteratorINSA_10device_ptrIdEEEEPS6_SG_NS0_5tupleIJSF_S6_EEENSH_IJSG_SG_EEES6_PlJNSB_9not_fun_tI7is_trueIdEEEEEE10hipError_tPvRmT3_T4_T5_T6_T7_T9_mT8_P12ihipStream_tbDpT10_ENKUlT_T0_E_clISt17integral_constantIbLb1EES17_IbLb0EEEEDaS13_S14_EUlS13_E_NS1_11comp_targetILNS1_3genE0ELNS1_11target_archE4294967295ELNS1_3gpuE0ELNS1_3repE0EEENS1_30default_config_static_selectorELNS0_4arch9wavefront6targetE0EEEvT1_.numbered_sgpr, 0
	.set _ZN7rocprim17ROCPRIM_400000_NS6detail17trampoline_kernelINS0_14default_configENS1_25partition_config_selectorILNS1_17partition_subalgoE6EdNS0_10empty_typeEbEEZZNS1_14partition_implILS5_6ELb0ES3_mN6thrust23THRUST_200600_302600_NS6detail15normal_iteratorINSA_10device_ptrIdEEEEPS6_SG_NS0_5tupleIJSF_S6_EEENSH_IJSG_SG_EEES6_PlJNSB_9not_fun_tI7is_trueIdEEEEEE10hipError_tPvRmT3_T4_T5_T6_T7_T9_mT8_P12ihipStream_tbDpT10_ENKUlT_T0_E_clISt17integral_constantIbLb1EES17_IbLb0EEEEDaS13_S14_EUlS13_E_NS1_11comp_targetILNS1_3genE0ELNS1_11target_archE4294967295ELNS1_3gpuE0ELNS1_3repE0EEENS1_30default_config_static_selectorELNS0_4arch9wavefront6targetE0EEEvT1_.num_named_barrier, 0
	.set _ZN7rocprim17ROCPRIM_400000_NS6detail17trampoline_kernelINS0_14default_configENS1_25partition_config_selectorILNS1_17partition_subalgoE6EdNS0_10empty_typeEbEEZZNS1_14partition_implILS5_6ELb0ES3_mN6thrust23THRUST_200600_302600_NS6detail15normal_iteratorINSA_10device_ptrIdEEEEPS6_SG_NS0_5tupleIJSF_S6_EEENSH_IJSG_SG_EEES6_PlJNSB_9not_fun_tI7is_trueIdEEEEEE10hipError_tPvRmT3_T4_T5_T6_T7_T9_mT8_P12ihipStream_tbDpT10_ENKUlT_T0_E_clISt17integral_constantIbLb1EES17_IbLb0EEEEDaS13_S14_EUlS13_E_NS1_11comp_targetILNS1_3genE0ELNS1_11target_archE4294967295ELNS1_3gpuE0ELNS1_3repE0EEENS1_30default_config_static_selectorELNS0_4arch9wavefront6targetE0EEEvT1_.private_seg_size, 0
	.set _ZN7rocprim17ROCPRIM_400000_NS6detail17trampoline_kernelINS0_14default_configENS1_25partition_config_selectorILNS1_17partition_subalgoE6EdNS0_10empty_typeEbEEZZNS1_14partition_implILS5_6ELb0ES3_mN6thrust23THRUST_200600_302600_NS6detail15normal_iteratorINSA_10device_ptrIdEEEEPS6_SG_NS0_5tupleIJSF_S6_EEENSH_IJSG_SG_EEES6_PlJNSB_9not_fun_tI7is_trueIdEEEEEE10hipError_tPvRmT3_T4_T5_T6_T7_T9_mT8_P12ihipStream_tbDpT10_ENKUlT_T0_E_clISt17integral_constantIbLb1EES17_IbLb0EEEEDaS13_S14_EUlS13_E_NS1_11comp_targetILNS1_3genE0ELNS1_11target_archE4294967295ELNS1_3gpuE0ELNS1_3repE0EEENS1_30default_config_static_selectorELNS0_4arch9wavefront6targetE0EEEvT1_.uses_vcc, 0
	.set _ZN7rocprim17ROCPRIM_400000_NS6detail17trampoline_kernelINS0_14default_configENS1_25partition_config_selectorILNS1_17partition_subalgoE6EdNS0_10empty_typeEbEEZZNS1_14partition_implILS5_6ELb0ES3_mN6thrust23THRUST_200600_302600_NS6detail15normal_iteratorINSA_10device_ptrIdEEEEPS6_SG_NS0_5tupleIJSF_S6_EEENSH_IJSG_SG_EEES6_PlJNSB_9not_fun_tI7is_trueIdEEEEEE10hipError_tPvRmT3_T4_T5_T6_T7_T9_mT8_P12ihipStream_tbDpT10_ENKUlT_T0_E_clISt17integral_constantIbLb1EES17_IbLb0EEEEDaS13_S14_EUlS13_E_NS1_11comp_targetILNS1_3genE0ELNS1_11target_archE4294967295ELNS1_3gpuE0ELNS1_3repE0EEENS1_30default_config_static_selectorELNS0_4arch9wavefront6targetE0EEEvT1_.uses_flat_scratch, 0
	.set _ZN7rocprim17ROCPRIM_400000_NS6detail17trampoline_kernelINS0_14default_configENS1_25partition_config_selectorILNS1_17partition_subalgoE6EdNS0_10empty_typeEbEEZZNS1_14partition_implILS5_6ELb0ES3_mN6thrust23THRUST_200600_302600_NS6detail15normal_iteratorINSA_10device_ptrIdEEEEPS6_SG_NS0_5tupleIJSF_S6_EEENSH_IJSG_SG_EEES6_PlJNSB_9not_fun_tI7is_trueIdEEEEEE10hipError_tPvRmT3_T4_T5_T6_T7_T9_mT8_P12ihipStream_tbDpT10_ENKUlT_T0_E_clISt17integral_constantIbLb1EES17_IbLb0EEEEDaS13_S14_EUlS13_E_NS1_11comp_targetILNS1_3genE0ELNS1_11target_archE4294967295ELNS1_3gpuE0ELNS1_3repE0EEENS1_30default_config_static_selectorELNS0_4arch9wavefront6targetE0EEEvT1_.has_dyn_sized_stack, 0
	.set _ZN7rocprim17ROCPRIM_400000_NS6detail17trampoline_kernelINS0_14default_configENS1_25partition_config_selectorILNS1_17partition_subalgoE6EdNS0_10empty_typeEbEEZZNS1_14partition_implILS5_6ELb0ES3_mN6thrust23THRUST_200600_302600_NS6detail15normal_iteratorINSA_10device_ptrIdEEEEPS6_SG_NS0_5tupleIJSF_S6_EEENSH_IJSG_SG_EEES6_PlJNSB_9not_fun_tI7is_trueIdEEEEEE10hipError_tPvRmT3_T4_T5_T6_T7_T9_mT8_P12ihipStream_tbDpT10_ENKUlT_T0_E_clISt17integral_constantIbLb1EES17_IbLb0EEEEDaS13_S14_EUlS13_E_NS1_11comp_targetILNS1_3genE0ELNS1_11target_archE4294967295ELNS1_3gpuE0ELNS1_3repE0EEENS1_30default_config_static_selectorELNS0_4arch9wavefront6targetE0EEEvT1_.has_recursion, 0
	.set _ZN7rocprim17ROCPRIM_400000_NS6detail17trampoline_kernelINS0_14default_configENS1_25partition_config_selectorILNS1_17partition_subalgoE6EdNS0_10empty_typeEbEEZZNS1_14partition_implILS5_6ELb0ES3_mN6thrust23THRUST_200600_302600_NS6detail15normal_iteratorINSA_10device_ptrIdEEEEPS6_SG_NS0_5tupleIJSF_S6_EEENSH_IJSG_SG_EEES6_PlJNSB_9not_fun_tI7is_trueIdEEEEEE10hipError_tPvRmT3_T4_T5_T6_T7_T9_mT8_P12ihipStream_tbDpT10_ENKUlT_T0_E_clISt17integral_constantIbLb1EES17_IbLb0EEEEDaS13_S14_EUlS13_E_NS1_11comp_targetILNS1_3genE0ELNS1_11target_archE4294967295ELNS1_3gpuE0ELNS1_3repE0EEENS1_30default_config_static_selectorELNS0_4arch9wavefront6targetE0EEEvT1_.has_indirect_call, 0
	.section	.AMDGPU.csdata,"",@progbits
; Kernel info:
; codeLenInByte = 0
; TotalNumSgprs: 0
; NumVgprs: 0
; ScratchSize: 0
; MemoryBound: 0
; FloatMode: 240
; IeeeMode: 1
; LDSByteSize: 0 bytes/workgroup (compile time only)
; SGPRBlocks: 0
; VGPRBlocks: 0
; NumSGPRsForWavesPerEU: 1
; NumVGPRsForWavesPerEU: 1
; Occupancy: 16
; WaveLimiterHint : 0
; COMPUTE_PGM_RSRC2:SCRATCH_EN: 0
; COMPUTE_PGM_RSRC2:USER_SGPR: 2
; COMPUTE_PGM_RSRC2:TRAP_HANDLER: 0
; COMPUTE_PGM_RSRC2:TGID_X_EN: 1
; COMPUTE_PGM_RSRC2:TGID_Y_EN: 0
; COMPUTE_PGM_RSRC2:TGID_Z_EN: 0
; COMPUTE_PGM_RSRC2:TIDIG_COMP_CNT: 0
	.section	.text._ZN7rocprim17ROCPRIM_400000_NS6detail17trampoline_kernelINS0_14default_configENS1_25partition_config_selectorILNS1_17partition_subalgoE6EdNS0_10empty_typeEbEEZZNS1_14partition_implILS5_6ELb0ES3_mN6thrust23THRUST_200600_302600_NS6detail15normal_iteratorINSA_10device_ptrIdEEEEPS6_SG_NS0_5tupleIJSF_S6_EEENSH_IJSG_SG_EEES6_PlJNSB_9not_fun_tI7is_trueIdEEEEEE10hipError_tPvRmT3_T4_T5_T6_T7_T9_mT8_P12ihipStream_tbDpT10_ENKUlT_T0_E_clISt17integral_constantIbLb1EES17_IbLb0EEEEDaS13_S14_EUlS13_E_NS1_11comp_targetILNS1_3genE5ELNS1_11target_archE942ELNS1_3gpuE9ELNS1_3repE0EEENS1_30default_config_static_selectorELNS0_4arch9wavefront6targetE0EEEvT1_,"axG",@progbits,_ZN7rocprim17ROCPRIM_400000_NS6detail17trampoline_kernelINS0_14default_configENS1_25partition_config_selectorILNS1_17partition_subalgoE6EdNS0_10empty_typeEbEEZZNS1_14partition_implILS5_6ELb0ES3_mN6thrust23THRUST_200600_302600_NS6detail15normal_iteratorINSA_10device_ptrIdEEEEPS6_SG_NS0_5tupleIJSF_S6_EEENSH_IJSG_SG_EEES6_PlJNSB_9not_fun_tI7is_trueIdEEEEEE10hipError_tPvRmT3_T4_T5_T6_T7_T9_mT8_P12ihipStream_tbDpT10_ENKUlT_T0_E_clISt17integral_constantIbLb1EES17_IbLb0EEEEDaS13_S14_EUlS13_E_NS1_11comp_targetILNS1_3genE5ELNS1_11target_archE942ELNS1_3gpuE9ELNS1_3repE0EEENS1_30default_config_static_selectorELNS0_4arch9wavefront6targetE0EEEvT1_,comdat
	.protected	_ZN7rocprim17ROCPRIM_400000_NS6detail17trampoline_kernelINS0_14default_configENS1_25partition_config_selectorILNS1_17partition_subalgoE6EdNS0_10empty_typeEbEEZZNS1_14partition_implILS5_6ELb0ES3_mN6thrust23THRUST_200600_302600_NS6detail15normal_iteratorINSA_10device_ptrIdEEEEPS6_SG_NS0_5tupleIJSF_S6_EEENSH_IJSG_SG_EEES6_PlJNSB_9not_fun_tI7is_trueIdEEEEEE10hipError_tPvRmT3_T4_T5_T6_T7_T9_mT8_P12ihipStream_tbDpT10_ENKUlT_T0_E_clISt17integral_constantIbLb1EES17_IbLb0EEEEDaS13_S14_EUlS13_E_NS1_11comp_targetILNS1_3genE5ELNS1_11target_archE942ELNS1_3gpuE9ELNS1_3repE0EEENS1_30default_config_static_selectorELNS0_4arch9wavefront6targetE0EEEvT1_ ; -- Begin function _ZN7rocprim17ROCPRIM_400000_NS6detail17trampoline_kernelINS0_14default_configENS1_25partition_config_selectorILNS1_17partition_subalgoE6EdNS0_10empty_typeEbEEZZNS1_14partition_implILS5_6ELb0ES3_mN6thrust23THRUST_200600_302600_NS6detail15normal_iteratorINSA_10device_ptrIdEEEEPS6_SG_NS0_5tupleIJSF_S6_EEENSH_IJSG_SG_EEES6_PlJNSB_9not_fun_tI7is_trueIdEEEEEE10hipError_tPvRmT3_T4_T5_T6_T7_T9_mT8_P12ihipStream_tbDpT10_ENKUlT_T0_E_clISt17integral_constantIbLb1EES17_IbLb0EEEEDaS13_S14_EUlS13_E_NS1_11comp_targetILNS1_3genE5ELNS1_11target_archE942ELNS1_3gpuE9ELNS1_3repE0EEENS1_30default_config_static_selectorELNS0_4arch9wavefront6targetE0EEEvT1_
	.globl	_ZN7rocprim17ROCPRIM_400000_NS6detail17trampoline_kernelINS0_14default_configENS1_25partition_config_selectorILNS1_17partition_subalgoE6EdNS0_10empty_typeEbEEZZNS1_14partition_implILS5_6ELb0ES3_mN6thrust23THRUST_200600_302600_NS6detail15normal_iteratorINSA_10device_ptrIdEEEEPS6_SG_NS0_5tupleIJSF_S6_EEENSH_IJSG_SG_EEES6_PlJNSB_9not_fun_tI7is_trueIdEEEEEE10hipError_tPvRmT3_T4_T5_T6_T7_T9_mT8_P12ihipStream_tbDpT10_ENKUlT_T0_E_clISt17integral_constantIbLb1EES17_IbLb0EEEEDaS13_S14_EUlS13_E_NS1_11comp_targetILNS1_3genE5ELNS1_11target_archE942ELNS1_3gpuE9ELNS1_3repE0EEENS1_30default_config_static_selectorELNS0_4arch9wavefront6targetE0EEEvT1_
	.p2align	8
	.type	_ZN7rocprim17ROCPRIM_400000_NS6detail17trampoline_kernelINS0_14default_configENS1_25partition_config_selectorILNS1_17partition_subalgoE6EdNS0_10empty_typeEbEEZZNS1_14partition_implILS5_6ELb0ES3_mN6thrust23THRUST_200600_302600_NS6detail15normal_iteratorINSA_10device_ptrIdEEEEPS6_SG_NS0_5tupleIJSF_S6_EEENSH_IJSG_SG_EEES6_PlJNSB_9not_fun_tI7is_trueIdEEEEEE10hipError_tPvRmT3_T4_T5_T6_T7_T9_mT8_P12ihipStream_tbDpT10_ENKUlT_T0_E_clISt17integral_constantIbLb1EES17_IbLb0EEEEDaS13_S14_EUlS13_E_NS1_11comp_targetILNS1_3genE5ELNS1_11target_archE942ELNS1_3gpuE9ELNS1_3repE0EEENS1_30default_config_static_selectorELNS0_4arch9wavefront6targetE0EEEvT1_,@function
_ZN7rocprim17ROCPRIM_400000_NS6detail17trampoline_kernelINS0_14default_configENS1_25partition_config_selectorILNS1_17partition_subalgoE6EdNS0_10empty_typeEbEEZZNS1_14partition_implILS5_6ELb0ES3_mN6thrust23THRUST_200600_302600_NS6detail15normal_iteratorINSA_10device_ptrIdEEEEPS6_SG_NS0_5tupleIJSF_S6_EEENSH_IJSG_SG_EEES6_PlJNSB_9not_fun_tI7is_trueIdEEEEEE10hipError_tPvRmT3_T4_T5_T6_T7_T9_mT8_P12ihipStream_tbDpT10_ENKUlT_T0_E_clISt17integral_constantIbLb1EES17_IbLb0EEEEDaS13_S14_EUlS13_E_NS1_11comp_targetILNS1_3genE5ELNS1_11target_archE942ELNS1_3gpuE9ELNS1_3repE0EEENS1_30default_config_static_selectorELNS0_4arch9wavefront6targetE0EEEvT1_: ; @_ZN7rocprim17ROCPRIM_400000_NS6detail17trampoline_kernelINS0_14default_configENS1_25partition_config_selectorILNS1_17partition_subalgoE6EdNS0_10empty_typeEbEEZZNS1_14partition_implILS5_6ELb0ES3_mN6thrust23THRUST_200600_302600_NS6detail15normal_iteratorINSA_10device_ptrIdEEEEPS6_SG_NS0_5tupleIJSF_S6_EEENSH_IJSG_SG_EEES6_PlJNSB_9not_fun_tI7is_trueIdEEEEEE10hipError_tPvRmT3_T4_T5_T6_T7_T9_mT8_P12ihipStream_tbDpT10_ENKUlT_T0_E_clISt17integral_constantIbLb1EES17_IbLb0EEEEDaS13_S14_EUlS13_E_NS1_11comp_targetILNS1_3genE5ELNS1_11target_archE942ELNS1_3gpuE9ELNS1_3repE0EEENS1_30default_config_static_selectorELNS0_4arch9wavefront6targetE0EEEvT1_
; %bb.0:
	.section	.rodata,"a",@progbits
	.p2align	6, 0x0
	.amdhsa_kernel _ZN7rocprim17ROCPRIM_400000_NS6detail17trampoline_kernelINS0_14default_configENS1_25partition_config_selectorILNS1_17partition_subalgoE6EdNS0_10empty_typeEbEEZZNS1_14partition_implILS5_6ELb0ES3_mN6thrust23THRUST_200600_302600_NS6detail15normal_iteratorINSA_10device_ptrIdEEEEPS6_SG_NS0_5tupleIJSF_S6_EEENSH_IJSG_SG_EEES6_PlJNSB_9not_fun_tI7is_trueIdEEEEEE10hipError_tPvRmT3_T4_T5_T6_T7_T9_mT8_P12ihipStream_tbDpT10_ENKUlT_T0_E_clISt17integral_constantIbLb1EES17_IbLb0EEEEDaS13_S14_EUlS13_E_NS1_11comp_targetILNS1_3genE5ELNS1_11target_archE942ELNS1_3gpuE9ELNS1_3repE0EEENS1_30default_config_static_selectorELNS0_4arch9wavefront6targetE0EEEvT1_
		.amdhsa_group_segment_fixed_size 0
		.amdhsa_private_segment_fixed_size 0
		.amdhsa_kernarg_size 112
		.amdhsa_user_sgpr_count 2
		.amdhsa_user_sgpr_dispatch_ptr 0
		.amdhsa_user_sgpr_queue_ptr 0
		.amdhsa_user_sgpr_kernarg_segment_ptr 1
		.amdhsa_user_sgpr_dispatch_id 0
		.amdhsa_user_sgpr_private_segment_size 0
		.amdhsa_wavefront_size32 1
		.amdhsa_uses_dynamic_stack 0
		.amdhsa_enable_private_segment 0
		.amdhsa_system_sgpr_workgroup_id_x 1
		.amdhsa_system_sgpr_workgroup_id_y 0
		.amdhsa_system_sgpr_workgroup_id_z 0
		.amdhsa_system_sgpr_workgroup_info 0
		.amdhsa_system_vgpr_workitem_id 0
		.amdhsa_next_free_vgpr 1
		.amdhsa_next_free_sgpr 1
		.amdhsa_reserve_vcc 0
		.amdhsa_float_round_mode_32 0
		.amdhsa_float_round_mode_16_64 0
		.amdhsa_float_denorm_mode_32 3
		.amdhsa_float_denorm_mode_16_64 3
		.amdhsa_fp16_overflow 0
		.amdhsa_workgroup_processor_mode 1
		.amdhsa_memory_ordered 1
		.amdhsa_forward_progress 1
		.amdhsa_inst_pref_size 0
		.amdhsa_round_robin_scheduling 0
		.amdhsa_exception_fp_ieee_invalid_op 0
		.amdhsa_exception_fp_denorm_src 0
		.amdhsa_exception_fp_ieee_div_zero 0
		.amdhsa_exception_fp_ieee_overflow 0
		.amdhsa_exception_fp_ieee_underflow 0
		.amdhsa_exception_fp_ieee_inexact 0
		.amdhsa_exception_int_div_zero 0
	.end_amdhsa_kernel
	.section	.text._ZN7rocprim17ROCPRIM_400000_NS6detail17trampoline_kernelINS0_14default_configENS1_25partition_config_selectorILNS1_17partition_subalgoE6EdNS0_10empty_typeEbEEZZNS1_14partition_implILS5_6ELb0ES3_mN6thrust23THRUST_200600_302600_NS6detail15normal_iteratorINSA_10device_ptrIdEEEEPS6_SG_NS0_5tupleIJSF_S6_EEENSH_IJSG_SG_EEES6_PlJNSB_9not_fun_tI7is_trueIdEEEEEE10hipError_tPvRmT3_T4_T5_T6_T7_T9_mT8_P12ihipStream_tbDpT10_ENKUlT_T0_E_clISt17integral_constantIbLb1EES17_IbLb0EEEEDaS13_S14_EUlS13_E_NS1_11comp_targetILNS1_3genE5ELNS1_11target_archE942ELNS1_3gpuE9ELNS1_3repE0EEENS1_30default_config_static_selectorELNS0_4arch9wavefront6targetE0EEEvT1_,"axG",@progbits,_ZN7rocprim17ROCPRIM_400000_NS6detail17trampoline_kernelINS0_14default_configENS1_25partition_config_selectorILNS1_17partition_subalgoE6EdNS0_10empty_typeEbEEZZNS1_14partition_implILS5_6ELb0ES3_mN6thrust23THRUST_200600_302600_NS6detail15normal_iteratorINSA_10device_ptrIdEEEEPS6_SG_NS0_5tupleIJSF_S6_EEENSH_IJSG_SG_EEES6_PlJNSB_9not_fun_tI7is_trueIdEEEEEE10hipError_tPvRmT3_T4_T5_T6_T7_T9_mT8_P12ihipStream_tbDpT10_ENKUlT_T0_E_clISt17integral_constantIbLb1EES17_IbLb0EEEEDaS13_S14_EUlS13_E_NS1_11comp_targetILNS1_3genE5ELNS1_11target_archE942ELNS1_3gpuE9ELNS1_3repE0EEENS1_30default_config_static_selectorELNS0_4arch9wavefront6targetE0EEEvT1_,comdat
.Lfunc_end1062:
	.size	_ZN7rocprim17ROCPRIM_400000_NS6detail17trampoline_kernelINS0_14default_configENS1_25partition_config_selectorILNS1_17partition_subalgoE6EdNS0_10empty_typeEbEEZZNS1_14partition_implILS5_6ELb0ES3_mN6thrust23THRUST_200600_302600_NS6detail15normal_iteratorINSA_10device_ptrIdEEEEPS6_SG_NS0_5tupleIJSF_S6_EEENSH_IJSG_SG_EEES6_PlJNSB_9not_fun_tI7is_trueIdEEEEEE10hipError_tPvRmT3_T4_T5_T6_T7_T9_mT8_P12ihipStream_tbDpT10_ENKUlT_T0_E_clISt17integral_constantIbLb1EES17_IbLb0EEEEDaS13_S14_EUlS13_E_NS1_11comp_targetILNS1_3genE5ELNS1_11target_archE942ELNS1_3gpuE9ELNS1_3repE0EEENS1_30default_config_static_selectorELNS0_4arch9wavefront6targetE0EEEvT1_, .Lfunc_end1062-_ZN7rocprim17ROCPRIM_400000_NS6detail17trampoline_kernelINS0_14default_configENS1_25partition_config_selectorILNS1_17partition_subalgoE6EdNS0_10empty_typeEbEEZZNS1_14partition_implILS5_6ELb0ES3_mN6thrust23THRUST_200600_302600_NS6detail15normal_iteratorINSA_10device_ptrIdEEEEPS6_SG_NS0_5tupleIJSF_S6_EEENSH_IJSG_SG_EEES6_PlJNSB_9not_fun_tI7is_trueIdEEEEEE10hipError_tPvRmT3_T4_T5_T6_T7_T9_mT8_P12ihipStream_tbDpT10_ENKUlT_T0_E_clISt17integral_constantIbLb1EES17_IbLb0EEEEDaS13_S14_EUlS13_E_NS1_11comp_targetILNS1_3genE5ELNS1_11target_archE942ELNS1_3gpuE9ELNS1_3repE0EEENS1_30default_config_static_selectorELNS0_4arch9wavefront6targetE0EEEvT1_
                                        ; -- End function
	.set _ZN7rocprim17ROCPRIM_400000_NS6detail17trampoline_kernelINS0_14default_configENS1_25partition_config_selectorILNS1_17partition_subalgoE6EdNS0_10empty_typeEbEEZZNS1_14partition_implILS5_6ELb0ES3_mN6thrust23THRUST_200600_302600_NS6detail15normal_iteratorINSA_10device_ptrIdEEEEPS6_SG_NS0_5tupleIJSF_S6_EEENSH_IJSG_SG_EEES6_PlJNSB_9not_fun_tI7is_trueIdEEEEEE10hipError_tPvRmT3_T4_T5_T6_T7_T9_mT8_P12ihipStream_tbDpT10_ENKUlT_T0_E_clISt17integral_constantIbLb1EES17_IbLb0EEEEDaS13_S14_EUlS13_E_NS1_11comp_targetILNS1_3genE5ELNS1_11target_archE942ELNS1_3gpuE9ELNS1_3repE0EEENS1_30default_config_static_selectorELNS0_4arch9wavefront6targetE0EEEvT1_.num_vgpr, 0
	.set _ZN7rocprim17ROCPRIM_400000_NS6detail17trampoline_kernelINS0_14default_configENS1_25partition_config_selectorILNS1_17partition_subalgoE6EdNS0_10empty_typeEbEEZZNS1_14partition_implILS5_6ELb0ES3_mN6thrust23THRUST_200600_302600_NS6detail15normal_iteratorINSA_10device_ptrIdEEEEPS6_SG_NS0_5tupleIJSF_S6_EEENSH_IJSG_SG_EEES6_PlJNSB_9not_fun_tI7is_trueIdEEEEEE10hipError_tPvRmT3_T4_T5_T6_T7_T9_mT8_P12ihipStream_tbDpT10_ENKUlT_T0_E_clISt17integral_constantIbLb1EES17_IbLb0EEEEDaS13_S14_EUlS13_E_NS1_11comp_targetILNS1_3genE5ELNS1_11target_archE942ELNS1_3gpuE9ELNS1_3repE0EEENS1_30default_config_static_selectorELNS0_4arch9wavefront6targetE0EEEvT1_.num_agpr, 0
	.set _ZN7rocprim17ROCPRIM_400000_NS6detail17trampoline_kernelINS0_14default_configENS1_25partition_config_selectorILNS1_17partition_subalgoE6EdNS0_10empty_typeEbEEZZNS1_14partition_implILS5_6ELb0ES3_mN6thrust23THRUST_200600_302600_NS6detail15normal_iteratorINSA_10device_ptrIdEEEEPS6_SG_NS0_5tupleIJSF_S6_EEENSH_IJSG_SG_EEES6_PlJNSB_9not_fun_tI7is_trueIdEEEEEE10hipError_tPvRmT3_T4_T5_T6_T7_T9_mT8_P12ihipStream_tbDpT10_ENKUlT_T0_E_clISt17integral_constantIbLb1EES17_IbLb0EEEEDaS13_S14_EUlS13_E_NS1_11comp_targetILNS1_3genE5ELNS1_11target_archE942ELNS1_3gpuE9ELNS1_3repE0EEENS1_30default_config_static_selectorELNS0_4arch9wavefront6targetE0EEEvT1_.numbered_sgpr, 0
	.set _ZN7rocprim17ROCPRIM_400000_NS6detail17trampoline_kernelINS0_14default_configENS1_25partition_config_selectorILNS1_17partition_subalgoE6EdNS0_10empty_typeEbEEZZNS1_14partition_implILS5_6ELb0ES3_mN6thrust23THRUST_200600_302600_NS6detail15normal_iteratorINSA_10device_ptrIdEEEEPS6_SG_NS0_5tupleIJSF_S6_EEENSH_IJSG_SG_EEES6_PlJNSB_9not_fun_tI7is_trueIdEEEEEE10hipError_tPvRmT3_T4_T5_T6_T7_T9_mT8_P12ihipStream_tbDpT10_ENKUlT_T0_E_clISt17integral_constantIbLb1EES17_IbLb0EEEEDaS13_S14_EUlS13_E_NS1_11comp_targetILNS1_3genE5ELNS1_11target_archE942ELNS1_3gpuE9ELNS1_3repE0EEENS1_30default_config_static_selectorELNS0_4arch9wavefront6targetE0EEEvT1_.num_named_barrier, 0
	.set _ZN7rocprim17ROCPRIM_400000_NS6detail17trampoline_kernelINS0_14default_configENS1_25partition_config_selectorILNS1_17partition_subalgoE6EdNS0_10empty_typeEbEEZZNS1_14partition_implILS5_6ELb0ES3_mN6thrust23THRUST_200600_302600_NS6detail15normal_iteratorINSA_10device_ptrIdEEEEPS6_SG_NS0_5tupleIJSF_S6_EEENSH_IJSG_SG_EEES6_PlJNSB_9not_fun_tI7is_trueIdEEEEEE10hipError_tPvRmT3_T4_T5_T6_T7_T9_mT8_P12ihipStream_tbDpT10_ENKUlT_T0_E_clISt17integral_constantIbLb1EES17_IbLb0EEEEDaS13_S14_EUlS13_E_NS1_11comp_targetILNS1_3genE5ELNS1_11target_archE942ELNS1_3gpuE9ELNS1_3repE0EEENS1_30default_config_static_selectorELNS0_4arch9wavefront6targetE0EEEvT1_.private_seg_size, 0
	.set _ZN7rocprim17ROCPRIM_400000_NS6detail17trampoline_kernelINS0_14default_configENS1_25partition_config_selectorILNS1_17partition_subalgoE6EdNS0_10empty_typeEbEEZZNS1_14partition_implILS5_6ELb0ES3_mN6thrust23THRUST_200600_302600_NS6detail15normal_iteratorINSA_10device_ptrIdEEEEPS6_SG_NS0_5tupleIJSF_S6_EEENSH_IJSG_SG_EEES6_PlJNSB_9not_fun_tI7is_trueIdEEEEEE10hipError_tPvRmT3_T4_T5_T6_T7_T9_mT8_P12ihipStream_tbDpT10_ENKUlT_T0_E_clISt17integral_constantIbLb1EES17_IbLb0EEEEDaS13_S14_EUlS13_E_NS1_11comp_targetILNS1_3genE5ELNS1_11target_archE942ELNS1_3gpuE9ELNS1_3repE0EEENS1_30default_config_static_selectorELNS0_4arch9wavefront6targetE0EEEvT1_.uses_vcc, 0
	.set _ZN7rocprim17ROCPRIM_400000_NS6detail17trampoline_kernelINS0_14default_configENS1_25partition_config_selectorILNS1_17partition_subalgoE6EdNS0_10empty_typeEbEEZZNS1_14partition_implILS5_6ELb0ES3_mN6thrust23THRUST_200600_302600_NS6detail15normal_iteratorINSA_10device_ptrIdEEEEPS6_SG_NS0_5tupleIJSF_S6_EEENSH_IJSG_SG_EEES6_PlJNSB_9not_fun_tI7is_trueIdEEEEEE10hipError_tPvRmT3_T4_T5_T6_T7_T9_mT8_P12ihipStream_tbDpT10_ENKUlT_T0_E_clISt17integral_constantIbLb1EES17_IbLb0EEEEDaS13_S14_EUlS13_E_NS1_11comp_targetILNS1_3genE5ELNS1_11target_archE942ELNS1_3gpuE9ELNS1_3repE0EEENS1_30default_config_static_selectorELNS0_4arch9wavefront6targetE0EEEvT1_.uses_flat_scratch, 0
	.set _ZN7rocprim17ROCPRIM_400000_NS6detail17trampoline_kernelINS0_14default_configENS1_25partition_config_selectorILNS1_17partition_subalgoE6EdNS0_10empty_typeEbEEZZNS1_14partition_implILS5_6ELb0ES3_mN6thrust23THRUST_200600_302600_NS6detail15normal_iteratorINSA_10device_ptrIdEEEEPS6_SG_NS0_5tupleIJSF_S6_EEENSH_IJSG_SG_EEES6_PlJNSB_9not_fun_tI7is_trueIdEEEEEE10hipError_tPvRmT3_T4_T5_T6_T7_T9_mT8_P12ihipStream_tbDpT10_ENKUlT_T0_E_clISt17integral_constantIbLb1EES17_IbLb0EEEEDaS13_S14_EUlS13_E_NS1_11comp_targetILNS1_3genE5ELNS1_11target_archE942ELNS1_3gpuE9ELNS1_3repE0EEENS1_30default_config_static_selectorELNS0_4arch9wavefront6targetE0EEEvT1_.has_dyn_sized_stack, 0
	.set _ZN7rocprim17ROCPRIM_400000_NS6detail17trampoline_kernelINS0_14default_configENS1_25partition_config_selectorILNS1_17partition_subalgoE6EdNS0_10empty_typeEbEEZZNS1_14partition_implILS5_6ELb0ES3_mN6thrust23THRUST_200600_302600_NS6detail15normal_iteratorINSA_10device_ptrIdEEEEPS6_SG_NS0_5tupleIJSF_S6_EEENSH_IJSG_SG_EEES6_PlJNSB_9not_fun_tI7is_trueIdEEEEEE10hipError_tPvRmT3_T4_T5_T6_T7_T9_mT8_P12ihipStream_tbDpT10_ENKUlT_T0_E_clISt17integral_constantIbLb1EES17_IbLb0EEEEDaS13_S14_EUlS13_E_NS1_11comp_targetILNS1_3genE5ELNS1_11target_archE942ELNS1_3gpuE9ELNS1_3repE0EEENS1_30default_config_static_selectorELNS0_4arch9wavefront6targetE0EEEvT1_.has_recursion, 0
	.set _ZN7rocprim17ROCPRIM_400000_NS6detail17trampoline_kernelINS0_14default_configENS1_25partition_config_selectorILNS1_17partition_subalgoE6EdNS0_10empty_typeEbEEZZNS1_14partition_implILS5_6ELb0ES3_mN6thrust23THRUST_200600_302600_NS6detail15normal_iteratorINSA_10device_ptrIdEEEEPS6_SG_NS0_5tupleIJSF_S6_EEENSH_IJSG_SG_EEES6_PlJNSB_9not_fun_tI7is_trueIdEEEEEE10hipError_tPvRmT3_T4_T5_T6_T7_T9_mT8_P12ihipStream_tbDpT10_ENKUlT_T0_E_clISt17integral_constantIbLb1EES17_IbLb0EEEEDaS13_S14_EUlS13_E_NS1_11comp_targetILNS1_3genE5ELNS1_11target_archE942ELNS1_3gpuE9ELNS1_3repE0EEENS1_30default_config_static_selectorELNS0_4arch9wavefront6targetE0EEEvT1_.has_indirect_call, 0
	.section	.AMDGPU.csdata,"",@progbits
; Kernel info:
; codeLenInByte = 0
; TotalNumSgprs: 0
; NumVgprs: 0
; ScratchSize: 0
; MemoryBound: 0
; FloatMode: 240
; IeeeMode: 1
; LDSByteSize: 0 bytes/workgroup (compile time only)
; SGPRBlocks: 0
; VGPRBlocks: 0
; NumSGPRsForWavesPerEU: 1
; NumVGPRsForWavesPerEU: 1
; Occupancy: 16
; WaveLimiterHint : 0
; COMPUTE_PGM_RSRC2:SCRATCH_EN: 0
; COMPUTE_PGM_RSRC2:USER_SGPR: 2
; COMPUTE_PGM_RSRC2:TRAP_HANDLER: 0
; COMPUTE_PGM_RSRC2:TGID_X_EN: 1
; COMPUTE_PGM_RSRC2:TGID_Y_EN: 0
; COMPUTE_PGM_RSRC2:TGID_Z_EN: 0
; COMPUTE_PGM_RSRC2:TIDIG_COMP_CNT: 0
	.section	.text._ZN7rocprim17ROCPRIM_400000_NS6detail17trampoline_kernelINS0_14default_configENS1_25partition_config_selectorILNS1_17partition_subalgoE6EdNS0_10empty_typeEbEEZZNS1_14partition_implILS5_6ELb0ES3_mN6thrust23THRUST_200600_302600_NS6detail15normal_iteratorINSA_10device_ptrIdEEEEPS6_SG_NS0_5tupleIJSF_S6_EEENSH_IJSG_SG_EEES6_PlJNSB_9not_fun_tI7is_trueIdEEEEEE10hipError_tPvRmT3_T4_T5_T6_T7_T9_mT8_P12ihipStream_tbDpT10_ENKUlT_T0_E_clISt17integral_constantIbLb1EES17_IbLb0EEEEDaS13_S14_EUlS13_E_NS1_11comp_targetILNS1_3genE4ELNS1_11target_archE910ELNS1_3gpuE8ELNS1_3repE0EEENS1_30default_config_static_selectorELNS0_4arch9wavefront6targetE0EEEvT1_,"axG",@progbits,_ZN7rocprim17ROCPRIM_400000_NS6detail17trampoline_kernelINS0_14default_configENS1_25partition_config_selectorILNS1_17partition_subalgoE6EdNS0_10empty_typeEbEEZZNS1_14partition_implILS5_6ELb0ES3_mN6thrust23THRUST_200600_302600_NS6detail15normal_iteratorINSA_10device_ptrIdEEEEPS6_SG_NS0_5tupleIJSF_S6_EEENSH_IJSG_SG_EEES6_PlJNSB_9not_fun_tI7is_trueIdEEEEEE10hipError_tPvRmT3_T4_T5_T6_T7_T9_mT8_P12ihipStream_tbDpT10_ENKUlT_T0_E_clISt17integral_constantIbLb1EES17_IbLb0EEEEDaS13_S14_EUlS13_E_NS1_11comp_targetILNS1_3genE4ELNS1_11target_archE910ELNS1_3gpuE8ELNS1_3repE0EEENS1_30default_config_static_selectorELNS0_4arch9wavefront6targetE0EEEvT1_,comdat
	.protected	_ZN7rocprim17ROCPRIM_400000_NS6detail17trampoline_kernelINS0_14default_configENS1_25partition_config_selectorILNS1_17partition_subalgoE6EdNS0_10empty_typeEbEEZZNS1_14partition_implILS5_6ELb0ES3_mN6thrust23THRUST_200600_302600_NS6detail15normal_iteratorINSA_10device_ptrIdEEEEPS6_SG_NS0_5tupleIJSF_S6_EEENSH_IJSG_SG_EEES6_PlJNSB_9not_fun_tI7is_trueIdEEEEEE10hipError_tPvRmT3_T4_T5_T6_T7_T9_mT8_P12ihipStream_tbDpT10_ENKUlT_T0_E_clISt17integral_constantIbLb1EES17_IbLb0EEEEDaS13_S14_EUlS13_E_NS1_11comp_targetILNS1_3genE4ELNS1_11target_archE910ELNS1_3gpuE8ELNS1_3repE0EEENS1_30default_config_static_selectorELNS0_4arch9wavefront6targetE0EEEvT1_ ; -- Begin function _ZN7rocprim17ROCPRIM_400000_NS6detail17trampoline_kernelINS0_14default_configENS1_25partition_config_selectorILNS1_17partition_subalgoE6EdNS0_10empty_typeEbEEZZNS1_14partition_implILS5_6ELb0ES3_mN6thrust23THRUST_200600_302600_NS6detail15normal_iteratorINSA_10device_ptrIdEEEEPS6_SG_NS0_5tupleIJSF_S6_EEENSH_IJSG_SG_EEES6_PlJNSB_9not_fun_tI7is_trueIdEEEEEE10hipError_tPvRmT3_T4_T5_T6_T7_T9_mT8_P12ihipStream_tbDpT10_ENKUlT_T0_E_clISt17integral_constantIbLb1EES17_IbLb0EEEEDaS13_S14_EUlS13_E_NS1_11comp_targetILNS1_3genE4ELNS1_11target_archE910ELNS1_3gpuE8ELNS1_3repE0EEENS1_30default_config_static_selectorELNS0_4arch9wavefront6targetE0EEEvT1_
	.globl	_ZN7rocprim17ROCPRIM_400000_NS6detail17trampoline_kernelINS0_14default_configENS1_25partition_config_selectorILNS1_17partition_subalgoE6EdNS0_10empty_typeEbEEZZNS1_14partition_implILS5_6ELb0ES3_mN6thrust23THRUST_200600_302600_NS6detail15normal_iteratorINSA_10device_ptrIdEEEEPS6_SG_NS0_5tupleIJSF_S6_EEENSH_IJSG_SG_EEES6_PlJNSB_9not_fun_tI7is_trueIdEEEEEE10hipError_tPvRmT3_T4_T5_T6_T7_T9_mT8_P12ihipStream_tbDpT10_ENKUlT_T0_E_clISt17integral_constantIbLb1EES17_IbLb0EEEEDaS13_S14_EUlS13_E_NS1_11comp_targetILNS1_3genE4ELNS1_11target_archE910ELNS1_3gpuE8ELNS1_3repE0EEENS1_30default_config_static_selectorELNS0_4arch9wavefront6targetE0EEEvT1_
	.p2align	8
	.type	_ZN7rocprim17ROCPRIM_400000_NS6detail17trampoline_kernelINS0_14default_configENS1_25partition_config_selectorILNS1_17partition_subalgoE6EdNS0_10empty_typeEbEEZZNS1_14partition_implILS5_6ELb0ES3_mN6thrust23THRUST_200600_302600_NS6detail15normal_iteratorINSA_10device_ptrIdEEEEPS6_SG_NS0_5tupleIJSF_S6_EEENSH_IJSG_SG_EEES6_PlJNSB_9not_fun_tI7is_trueIdEEEEEE10hipError_tPvRmT3_T4_T5_T6_T7_T9_mT8_P12ihipStream_tbDpT10_ENKUlT_T0_E_clISt17integral_constantIbLb1EES17_IbLb0EEEEDaS13_S14_EUlS13_E_NS1_11comp_targetILNS1_3genE4ELNS1_11target_archE910ELNS1_3gpuE8ELNS1_3repE0EEENS1_30default_config_static_selectorELNS0_4arch9wavefront6targetE0EEEvT1_,@function
_ZN7rocprim17ROCPRIM_400000_NS6detail17trampoline_kernelINS0_14default_configENS1_25partition_config_selectorILNS1_17partition_subalgoE6EdNS0_10empty_typeEbEEZZNS1_14partition_implILS5_6ELb0ES3_mN6thrust23THRUST_200600_302600_NS6detail15normal_iteratorINSA_10device_ptrIdEEEEPS6_SG_NS0_5tupleIJSF_S6_EEENSH_IJSG_SG_EEES6_PlJNSB_9not_fun_tI7is_trueIdEEEEEE10hipError_tPvRmT3_T4_T5_T6_T7_T9_mT8_P12ihipStream_tbDpT10_ENKUlT_T0_E_clISt17integral_constantIbLb1EES17_IbLb0EEEEDaS13_S14_EUlS13_E_NS1_11comp_targetILNS1_3genE4ELNS1_11target_archE910ELNS1_3gpuE8ELNS1_3repE0EEENS1_30default_config_static_selectorELNS0_4arch9wavefront6targetE0EEEvT1_: ; @_ZN7rocprim17ROCPRIM_400000_NS6detail17trampoline_kernelINS0_14default_configENS1_25partition_config_selectorILNS1_17partition_subalgoE6EdNS0_10empty_typeEbEEZZNS1_14partition_implILS5_6ELb0ES3_mN6thrust23THRUST_200600_302600_NS6detail15normal_iteratorINSA_10device_ptrIdEEEEPS6_SG_NS0_5tupleIJSF_S6_EEENSH_IJSG_SG_EEES6_PlJNSB_9not_fun_tI7is_trueIdEEEEEE10hipError_tPvRmT3_T4_T5_T6_T7_T9_mT8_P12ihipStream_tbDpT10_ENKUlT_T0_E_clISt17integral_constantIbLb1EES17_IbLb0EEEEDaS13_S14_EUlS13_E_NS1_11comp_targetILNS1_3genE4ELNS1_11target_archE910ELNS1_3gpuE8ELNS1_3repE0EEENS1_30default_config_static_selectorELNS0_4arch9wavefront6targetE0EEEvT1_
; %bb.0:
	.section	.rodata,"a",@progbits
	.p2align	6, 0x0
	.amdhsa_kernel _ZN7rocprim17ROCPRIM_400000_NS6detail17trampoline_kernelINS0_14default_configENS1_25partition_config_selectorILNS1_17partition_subalgoE6EdNS0_10empty_typeEbEEZZNS1_14partition_implILS5_6ELb0ES3_mN6thrust23THRUST_200600_302600_NS6detail15normal_iteratorINSA_10device_ptrIdEEEEPS6_SG_NS0_5tupleIJSF_S6_EEENSH_IJSG_SG_EEES6_PlJNSB_9not_fun_tI7is_trueIdEEEEEE10hipError_tPvRmT3_T4_T5_T6_T7_T9_mT8_P12ihipStream_tbDpT10_ENKUlT_T0_E_clISt17integral_constantIbLb1EES17_IbLb0EEEEDaS13_S14_EUlS13_E_NS1_11comp_targetILNS1_3genE4ELNS1_11target_archE910ELNS1_3gpuE8ELNS1_3repE0EEENS1_30default_config_static_selectorELNS0_4arch9wavefront6targetE0EEEvT1_
		.amdhsa_group_segment_fixed_size 0
		.amdhsa_private_segment_fixed_size 0
		.amdhsa_kernarg_size 112
		.amdhsa_user_sgpr_count 2
		.amdhsa_user_sgpr_dispatch_ptr 0
		.amdhsa_user_sgpr_queue_ptr 0
		.amdhsa_user_sgpr_kernarg_segment_ptr 1
		.amdhsa_user_sgpr_dispatch_id 0
		.amdhsa_user_sgpr_private_segment_size 0
		.amdhsa_wavefront_size32 1
		.amdhsa_uses_dynamic_stack 0
		.amdhsa_enable_private_segment 0
		.amdhsa_system_sgpr_workgroup_id_x 1
		.amdhsa_system_sgpr_workgroup_id_y 0
		.amdhsa_system_sgpr_workgroup_id_z 0
		.amdhsa_system_sgpr_workgroup_info 0
		.amdhsa_system_vgpr_workitem_id 0
		.amdhsa_next_free_vgpr 1
		.amdhsa_next_free_sgpr 1
		.amdhsa_reserve_vcc 0
		.amdhsa_float_round_mode_32 0
		.amdhsa_float_round_mode_16_64 0
		.amdhsa_float_denorm_mode_32 3
		.amdhsa_float_denorm_mode_16_64 3
		.amdhsa_fp16_overflow 0
		.amdhsa_workgroup_processor_mode 1
		.amdhsa_memory_ordered 1
		.amdhsa_forward_progress 1
		.amdhsa_inst_pref_size 0
		.amdhsa_round_robin_scheduling 0
		.amdhsa_exception_fp_ieee_invalid_op 0
		.amdhsa_exception_fp_denorm_src 0
		.amdhsa_exception_fp_ieee_div_zero 0
		.amdhsa_exception_fp_ieee_overflow 0
		.amdhsa_exception_fp_ieee_underflow 0
		.amdhsa_exception_fp_ieee_inexact 0
		.amdhsa_exception_int_div_zero 0
	.end_amdhsa_kernel
	.section	.text._ZN7rocprim17ROCPRIM_400000_NS6detail17trampoline_kernelINS0_14default_configENS1_25partition_config_selectorILNS1_17partition_subalgoE6EdNS0_10empty_typeEbEEZZNS1_14partition_implILS5_6ELb0ES3_mN6thrust23THRUST_200600_302600_NS6detail15normal_iteratorINSA_10device_ptrIdEEEEPS6_SG_NS0_5tupleIJSF_S6_EEENSH_IJSG_SG_EEES6_PlJNSB_9not_fun_tI7is_trueIdEEEEEE10hipError_tPvRmT3_T4_T5_T6_T7_T9_mT8_P12ihipStream_tbDpT10_ENKUlT_T0_E_clISt17integral_constantIbLb1EES17_IbLb0EEEEDaS13_S14_EUlS13_E_NS1_11comp_targetILNS1_3genE4ELNS1_11target_archE910ELNS1_3gpuE8ELNS1_3repE0EEENS1_30default_config_static_selectorELNS0_4arch9wavefront6targetE0EEEvT1_,"axG",@progbits,_ZN7rocprim17ROCPRIM_400000_NS6detail17trampoline_kernelINS0_14default_configENS1_25partition_config_selectorILNS1_17partition_subalgoE6EdNS0_10empty_typeEbEEZZNS1_14partition_implILS5_6ELb0ES3_mN6thrust23THRUST_200600_302600_NS6detail15normal_iteratorINSA_10device_ptrIdEEEEPS6_SG_NS0_5tupleIJSF_S6_EEENSH_IJSG_SG_EEES6_PlJNSB_9not_fun_tI7is_trueIdEEEEEE10hipError_tPvRmT3_T4_T5_T6_T7_T9_mT8_P12ihipStream_tbDpT10_ENKUlT_T0_E_clISt17integral_constantIbLb1EES17_IbLb0EEEEDaS13_S14_EUlS13_E_NS1_11comp_targetILNS1_3genE4ELNS1_11target_archE910ELNS1_3gpuE8ELNS1_3repE0EEENS1_30default_config_static_selectorELNS0_4arch9wavefront6targetE0EEEvT1_,comdat
.Lfunc_end1063:
	.size	_ZN7rocprim17ROCPRIM_400000_NS6detail17trampoline_kernelINS0_14default_configENS1_25partition_config_selectorILNS1_17partition_subalgoE6EdNS0_10empty_typeEbEEZZNS1_14partition_implILS5_6ELb0ES3_mN6thrust23THRUST_200600_302600_NS6detail15normal_iteratorINSA_10device_ptrIdEEEEPS6_SG_NS0_5tupleIJSF_S6_EEENSH_IJSG_SG_EEES6_PlJNSB_9not_fun_tI7is_trueIdEEEEEE10hipError_tPvRmT3_T4_T5_T6_T7_T9_mT8_P12ihipStream_tbDpT10_ENKUlT_T0_E_clISt17integral_constantIbLb1EES17_IbLb0EEEEDaS13_S14_EUlS13_E_NS1_11comp_targetILNS1_3genE4ELNS1_11target_archE910ELNS1_3gpuE8ELNS1_3repE0EEENS1_30default_config_static_selectorELNS0_4arch9wavefront6targetE0EEEvT1_, .Lfunc_end1063-_ZN7rocprim17ROCPRIM_400000_NS6detail17trampoline_kernelINS0_14default_configENS1_25partition_config_selectorILNS1_17partition_subalgoE6EdNS0_10empty_typeEbEEZZNS1_14partition_implILS5_6ELb0ES3_mN6thrust23THRUST_200600_302600_NS6detail15normal_iteratorINSA_10device_ptrIdEEEEPS6_SG_NS0_5tupleIJSF_S6_EEENSH_IJSG_SG_EEES6_PlJNSB_9not_fun_tI7is_trueIdEEEEEE10hipError_tPvRmT3_T4_T5_T6_T7_T9_mT8_P12ihipStream_tbDpT10_ENKUlT_T0_E_clISt17integral_constantIbLb1EES17_IbLb0EEEEDaS13_S14_EUlS13_E_NS1_11comp_targetILNS1_3genE4ELNS1_11target_archE910ELNS1_3gpuE8ELNS1_3repE0EEENS1_30default_config_static_selectorELNS0_4arch9wavefront6targetE0EEEvT1_
                                        ; -- End function
	.set _ZN7rocprim17ROCPRIM_400000_NS6detail17trampoline_kernelINS0_14default_configENS1_25partition_config_selectorILNS1_17partition_subalgoE6EdNS0_10empty_typeEbEEZZNS1_14partition_implILS5_6ELb0ES3_mN6thrust23THRUST_200600_302600_NS6detail15normal_iteratorINSA_10device_ptrIdEEEEPS6_SG_NS0_5tupleIJSF_S6_EEENSH_IJSG_SG_EEES6_PlJNSB_9not_fun_tI7is_trueIdEEEEEE10hipError_tPvRmT3_T4_T5_T6_T7_T9_mT8_P12ihipStream_tbDpT10_ENKUlT_T0_E_clISt17integral_constantIbLb1EES17_IbLb0EEEEDaS13_S14_EUlS13_E_NS1_11comp_targetILNS1_3genE4ELNS1_11target_archE910ELNS1_3gpuE8ELNS1_3repE0EEENS1_30default_config_static_selectorELNS0_4arch9wavefront6targetE0EEEvT1_.num_vgpr, 0
	.set _ZN7rocprim17ROCPRIM_400000_NS6detail17trampoline_kernelINS0_14default_configENS1_25partition_config_selectorILNS1_17partition_subalgoE6EdNS0_10empty_typeEbEEZZNS1_14partition_implILS5_6ELb0ES3_mN6thrust23THRUST_200600_302600_NS6detail15normal_iteratorINSA_10device_ptrIdEEEEPS6_SG_NS0_5tupleIJSF_S6_EEENSH_IJSG_SG_EEES6_PlJNSB_9not_fun_tI7is_trueIdEEEEEE10hipError_tPvRmT3_T4_T5_T6_T7_T9_mT8_P12ihipStream_tbDpT10_ENKUlT_T0_E_clISt17integral_constantIbLb1EES17_IbLb0EEEEDaS13_S14_EUlS13_E_NS1_11comp_targetILNS1_3genE4ELNS1_11target_archE910ELNS1_3gpuE8ELNS1_3repE0EEENS1_30default_config_static_selectorELNS0_4arch9wavefront6targetE0EEEvT1_.num_agpr, 0
	.set _ZN7rocprim17ROCPRIM_400000_NS6detail17trampoline_kernelINS0_14default_configENS1_25partition_config_selectorILNS1_17partition_subalgoE6EdNS0_10empty_typeEbEEZZNS1_14partition_implILS5_6ELb0ES3_mN6thrust23THRUST_200600_302600_NS6detail15normal_iteratorINSA_10device_ptrIdEEEEPS6_SG_NS0_5tupleIJSF_S6_EEENSH_IJSG_SG_EEES6_PlJNSB_9not_fun_tI7is_trueIdEEEEEE10hipError_tPvRmT3_T4_T5_T6_T7_T9_mT8_P12ihipStream_tbDpT10_ENKUlT_T0_E_clISt17integral_constantIbLb1EES17_IbLb0EEEEDaS13_S14_EUlS13_E_NS1_11comp_targetILNS1_3genE4ELNS1_11target_archE910ELNS1_3gpuE8ELNS1_3repE0EEENS1_30default_config_static_selectorELNS0_4arch9wavefront6targetE0EEEvT1_.numbered_sgpr, 0
	.set _ZN7rocprim17ROCPRIM_400000_NS6detail17trampoline_kernelINS0_14default_configENS1_25partition_config_selectorILNS1_17partition_subalgoE6EdNS0_10empty_typeEbEEZZNS1_14partition_implILS5_6ELb0ES3_mN6thrust23THRUST_200600_302600_NS6detail15normal_iteratorINSA_10device_ptrIdEEEEPS6_SG_NS0_5tupleIJSF_S6_EEENSH_IJSG_SG_EEES6_PlJNSB_9not_fun_tI7is_trueIdEEEEEE10hipError_tPvRmT3_T4_T5_T6_T7_T9_mT8_P12ihipStream_tbDpT10_ENKUlT_T0_E_clISt17integral_constantIbLb1EES17_IbLb0EEEEDaS13_S14_EUlS13_E_NS1_11comp_targetILNS1_3genE4ELNS1_11target_archE910ELNS1_3gpuE8ELNS1_3repE0EEENS1_30default_config_static_selectorELNS0_4arch9wavefront6targetE0EEEvT1_.num_named_barrier, 0
	.set _ZN7rocprim17ROCPRIM_400000_NS6detail17trampoline_kernelINS0_14default_configENS1_25partition_config_selectorILNS1_17partition_subalgoE6EdNS0_10empty_typeEbEEZZNS1_14partition_implILS5_6ELb0ES3_mN6thrust23THRUST_200600_302600_NS6detail15normal_iteratorINSA_10device_ptrIdEEEEPS6_SG_NS0_5tupleIJSF_S6_EEENSH_IJSG_SG_EEES6_PlJNSB_9not_fun_tI7is_trueIdEEEEEE10hipError_tPvRmT3_T4_T5_T6_T7_T9_mT8_P12ihipStream_tbDpT10_ENKUlT_T0_E_clISt17integral_constantIbLb1EES17_IbLb0EEEEDaS13_S14_EUlS13_E_NS1_11comp_targetILNS1_3genE4ELNS1_11target_archE910ELNS1_3gpuE8ELNS1_3repE0EEENS1_30default_config_static_selectorELNS0_4arch9wavefront6targetE0EEEvT1_.private_seg_size, 0
	.set _ZN7rocprim17ROCPRIM_400000_NS6detail17trampoline_kernelINS0_14default_configENS1_25partition_config_selectorILNS1_17partition_subalgoE6EdNS0_10empty_typeEbEEZZNS1_14partition_implILS5_6ELb0ES3_mN6thrust23THRUST_200600_302600_NS6detail15normal_iteratorINSA_10device_ptrIdEEEEPS6_SG_NS0_5tupleIJSF_S6_EEENSH_IJSG_SG_EEES6_PlJNSB_9not_fun_tI7is_trueIdEEEEEE10hipError_tPvRmT3_T4_T5_T6_T7_T9_mT8_P12ihipStream_tbDpT10_ENKUlT_T0_E_clISt17integral_constantIbLb1EES17_IbLb0EEEEDaS13_S14_EUlS13_E_NS1_11comp_targetILNS1_3genE4ELNS1_11target_archE910ELNS1_3gpuE8ELNS1_3repE0EEENS1_30default_config_static_selectorELNS0_4arch9wavefront6targetE0EEEvT1_.uses_vcc, 0
	.set _ZN7rocprim17ROCPRIM_400000_NS6detail17trampoline_kernelINS0_14default_configENS1_25partition_config_selectorILNS1_17partition_subalgoE6EdNS0_10empty_typeEbEEZZNS1_14partition_implILS5_6ELb0ES3_mN6thrust23THRUST_200600_302600_NS6detail15normal_iteratorINSA_10device_ptrIdEEEEPS6_SG_NS0_5tupleIJSF_S6_EEENSH_IJSG_SG_EEES6_PlJNSB_9not_fun_tI7is_trueIdEEEEEE10hipError_tPvRmT3_T4_T5_T6_T7_T9_mT8_P12ihipStream_tbDpT10_ENKUlT_T0_E_clISt17integral_constantIbLb1EES17_IbLb0EEEEDaS13_S14_EUlS13_E_NS1_11comp_targetILNS1_3genE4ELNS1_11target_archE910ELNS1_3gpuE8ELNS1_3repE0EEENS1_30default_config_static_selectorELNS0_4arch9wavefront6targetE0EEEvT1_.uses_flat_scratch, 0
	.set _ZN7rocprim17ROCPRIM_400000_NS6detail17trampoline_kernelINS0_14default_configENS1_25partition_config_selectorILNS1_17partition_subalgoE6EdNS0_10empty_typeEbEEZZNS1_14partition_implILS5_6ELb0ES3_mN6thrust23THRUST_200600_302600_NS6detail15normal_iteratorINSA_10device_ptrIdEEEEPS6_SG_NS0_5tupleIJSF_S6_EEENSH_IJSG_SG_EEES6_PlJNSB_9not_fun_tI7is_trueIdEEEEEE10hipError_tPvRmT3_T4_T5_T6_T7_T9_mT8_P12ihipStream_tbDpT10_ENKUlT_T0_E_clISt17integral_constantIbLb1EES17_IbLb0EEEEDaS13_S14_EUlS13_E_NS1_11comp_targetILNS1_3genE4ELNS1_11target_archE910ELNS1_3gpuE8ELNS1_3repE0EEENS1_30default_config_static_selectorELNS0_4arch9wavefront6targetE0EEEvT1_.has_dyn_sized_stack, 0
	.set _ZN7rocprim17ROCPRIM_400000_NS6detail17trampoline_kernelINS0_14default_configENS1_25partition_config_selectorILNS1_17partition_subalgoE6EdNS0_10empty_typeEbEEZZNS1_14partition_implILS5_6ELb0ES3_mN6thrust23THRUST_200600_302600_NS6detail15normal_iteratorINSA_10device_ptrIdEEEEPS6_SG_NS0_5tupleIJSF_S6_EEENSH_IJSG_SG_EEES6_PlJNSB_9not_fun_tI7is_trueIdEEEEEE10hipError_tPvRmT3_T4_T5_T6_T7_T9_mT8_P12ihipStream_tbDpT10_ENKUlT_T0_E_clISt17integral_constantIbLb1EES17_IbLb0EEEEDaS13_S14_EUlS13_E_NS1_11comp_targetILNS1_3genE4ELNS1_11target_archE910ELNS1_3gpuE8ELNS1_3repE0EEENS1_30default_config_static_selectorELNS0_4arch9wavefront6targetE0EEEvT1_.has_recursion, 0
	.set _ZN7rocprim17ROCPRIM_400000_NS6detail17trampoline_kernelINS0_14default_configENS1_25partition_config_selectorILNS1_17partition_subalgoE6EdNS0_10empty_typeEbEEZZNS1_14partition_implILS5_6ELb0ES3_mN6thrust23THRUST_200600_302600_NS6detail15normal_iteratorINSA_10device_ptrIdEEEEPS6_SG_NS0_5tupleIJSF_S6_EEENSH_IJSG_SG_EEES6_PlJNSB_9not_fun_tI7is_trueIdEEEEEE10hipError_tPvRmT3_T4_T5_T6_T7_T9_mT8_P12ihipStream_tbDpT10_ENKUlT_T0_E_clISt17integral_constantIbLb1EES17_IbLb0EEEEDaS13_S14_EUlS13_E_NS1_11comp_targetILNS1_3genE4ELNS1_11target_archE910ELNS1_3gpuE8ELNS1_3repE0EEENS1_30default_config_static_selectorELNS0_4arch9wavefront6targetE0EEEvT1_.has_indirect_call, 0
	.section	.AMDGPU.csdata,"",@progbits
; Kernel info:
; codeLenInByte = 0
; TotalNumSgprs: 0
; NumVgprs: 0
; ScratchSize: 0
; MemoryBound: 0
; FloatMode: 240
; IeeeMode: 1
; LDSByteSize: 0 bytes/workgroup (compile time only)
; SGPRBlocks: 0
; VGPRBlocks: 0
; NumSGPRsForWavesPerEU: 1
; NumVGPRsForWavesPerEU: 1
; Occupancy: 16
; WaveLimiterHint : 0
; COMPUTE_PGM_RSRC2:SCRATCH_EN: 0
; COMPUTE_PGM_RSRC2:USER_SGPR: 2
; COMPUTE_PGM_RSRC2:TRAP_HANDLER: 0
; COMPUTE_PGM_RSRC2:TGID_X_EN: 1
; COMPUTE_PGM_RSRC2:TGID_Y_EN: 0
; COMPUTE_PGM_RSRC2:TGID_Z_EN: 0
; COMPUTE_PGM_RSRC2:TIDIG_COMP_CNT: 0
	.section	.text._ZN7rocprim17ROCPRIM_400000_NS6detail17trampoline_kernelINS0_14default_configENS1_25partition_config_selectorILNS1_17partition_subalgoE6EdNS0_10empty_typeEbEEZZNS1_14partition_implILS5_6ELb0ES3_mN6thrust23THRUST_200600_302600_NS6detail15normal_iteratorINSA_10device_ptrIdEEEEPS6_SG_NS0_5tupleIJSF_S6_EEENSH_IJSG_SG_EEES6_PlJNSB_9not_fun_tI7is_trueIdEEEEEE10hipError_tPvRmT3_T4_T5_T6_T7_T9_mT8_P12ihipStream_tbDpT10_ENKUlT_T0_E_clISt17integral_constantIbLb1EES17_IbLb0EEEEDaS13_S14_EUlS13_E_NS1_11comp_targetILNS1_3genE3ELNS1_11target_archE908ELNS1_3gpuE7ELNS1_3repE0EEENS1_30default_config_static_selectorELNS0_4arch9wavefront6targetE0EEEvT1_,"axG",@progbits,_ZN7rocprim17ROCPRIM_400000_NS6detail17trampoline_kernelINS0_14default_configENS1_25partition_config_selectorILNS1_17partition_subalgoE6EdNS0_10empty_typeEbEEZZNS1_14partition_implILS5_6ELb0ES3_mN6thrust23THRUST_200600_302600_NS6detail15normal_iteratorINSA_10device_ptrIdEEEEPS6_SG_NS0_5tupleIJSF_S6_EEENSH_IJSG_SG_EEES6_PlJNSB_9not_fun_tI7is_trueIdEEEEEE10hipError_tPvRmT3_T4_T5_T6_T7_T9_mT8_P12ihipStream_tbDpT10_ENKUlT_T0_E_clISt17integral_constantIbLb1EES17_IbLb0EEEEDaS13_S14_EUlS13_E_NS1_11comp_targetILNS1_3genE3ELNS1_11target_archE908ELNS1_3gpuE7ELNS1_3repE0EEENS1_30default_config_static_selectorELNS0_4arch9wavefront6targetE0EEEvT1_,comdat
	.protected	_ZN7rocprim17ROCPRIM_400000_NS6detail17trampoline_kernelINS0_14default_configENS1_25partition_config_selectorILNS1_17partition_subalgoE6EdNS0_10empty_typeEbEEZZNS1_14partition_implILS5_6ELb0ES3_mN6thrust23THRUST_200600_302600_NS6detail15normal_iteratorINSA_10device_ptrIdEEEEPS6_SG_NS0_5tupleIJSF_S6_EEENSH_IJSG_SG_EEES6_PlJNSB_9not_fun_tI7is_trueIdEEEEEE10hipError_tPvRmT3_T4_T5_T6_T7_T9_mT8_P12ihipStream_tbDpT10_ENKUlT_T0_E_clISt17integral_constantIbLb1EES17_IbLb0EEEEDaS13_S14_EUlS13_E_NS1_11comp_targetILNS1_3genE3ELNS1_11target_archE908ELNS1_3gpuE7ELNS1_3repE0EEENS1_30default_config_static_selectorELNS0_4arch9wavefront6targetE0EEEvT1_ ; -- Begin function _ZN7rocprim17ROCPRIM_400000_NS6detail17trampoline_kernelINS0_14default_configENS1_25partition_config_selectorILNS1_17partition_subalgoE6EdNS0_10empty_typeEbEEZZNS1_14partition_implILS5_6ELb0ES3_mN6thrust23THRUST_200600_302600_NS6detail15normal_iteratorINSA_10device_ptrIdEEEEPS6_SG_NS0_5tupleIJSF_S6_EEENSH_IJSG_SG_EEES6_PlJNSB_9not_fun_tI7is_trueIdEEEEEE10hipError_tPvRmT3_T4_T5_T6_T7_T9_mT8_P12ihipStream_tbDpT10_ENKUlT_T0_E_clISt17integral_constantIbLb1EES17_IbLb0EEEEDaS13_S14_EUlS13_E_NS1_11comp_targetILNS1_3genE3ELNS1_11target_archE908ELNS1_3gpuE7ELNS1_3repE0EEENS1_30default_config_static_selectorELNS0_4arch9wavefront6targetE0EEEvT1_
	.globl	_ZN7rocprim17ROCPRIM_400000_NS6detail17trampoline_kernelINS0_14default_configENS1_25partition_config_selectorILNS1_17partition_subalgoE6EdNS0_10empty_typeEbEEZZNS1_14partition_implILS5_6ELb0ES3_mN6thrust23THRUST_200600_302600_NS6detail15normal_iteratorINSA_10device_ptrIdEEEEPS6_SG_NS0_5tupleIJSF_S6_EEENSH_IJSG_SG_EEES6_PlJNSB_9not_fun_tI7is_trueIdEEEEEE10hipError_tPvRmT3_T4_T5_T6_T7_T9_mT8_P12ihipStream_tbDpT10_ENKUlT_T0_E_clISt17integral_constantIbLb1EES17_IbLb0EEEEDaS13_S14_EUlS13_E_NS1_11comp_targetILNS1_3genE3ELNS1_11target_archE908ELNS1_3gpuE7ELNS1_3repE0EEENS1_30default_config_static_selectorELNS0_4arch9wavefront6targetE0EEEvT1_
	.p2align	8
	.type	_ZN7rocprim17ROCPRIM_400000_NS6detail17trampoline_kernelINS0_14default_configENS1_25partition_config_selectorILNS1_17partition_subalgoE6EdNS0_10empty_typeEbEEZZNS1_14partition_implILS5_6ELb0ES3_mN6thrust23THRUST_200600_302600_NS6detail15normal_iteratorINSA_10device_ptrIdEEEEPS6_SG_NS0_5tupleIJSF_S6_EEENSH_IJSG_SG_EEES6_PlJNSB_9not_fun_tI7is_trueIdEEEEEE10hipError_tPvRmT3_T4_T5_T6_T7_T9_mT8_P12ihipStream_tbDpT10_ENKUlT_T0_E_clISt17integral_constantIbLb1EES17_IbLb0EEEEDaS13_S14_EUlS13_E_NS1_11comp_targetILNS1_3genE3ELNS1_11target_archE908ELNS1_3gpuE7ELNS1_3repE0EEENS1_30default_config_static_selectorELNS0_4arch9wavefront6targetE0EEEvT1_,@function
_ZN7rocprim17ROCPRIM_400000_NS6detail17trampoline_kernelINS0_14default_configENS1_25partition_config_selectorILNS1_17partition_subalgoE6EdNS0_10empty_typeEbEEZZNS1_14partition_implILS5_6ELb0ES3_mN6thrust23THRUST_200600_302600_NS6detail15normal_iteratorINSA_10device_ptrIdEEEEPS6_SG_NS0_5tupleIJSF_S6_EEENSH_IJSG_SG_EEES6_PlJNSB_9not_fun_tI7is_trueIdEEEEEE10hipError_tPvRmT3_T4_T5_T6_T7_T9_mT8_P12ihipStream_tbDpT10_ENKUlT_T0_E_clISt17integral_constantIbLb1EES17_IbLb0EEEEDaS13_S14_EUlS13_E_NS1_11comp_targetILNS1_3genE3ELNS1_11target_archE908ELNS1_3gpuE7ELNS1_3repE0EEENS1_30default_config_static_selectorELNS0_4arch9wavefront6targetE0EEEvT1_: ; @_ZN7rocprim17ROCPRIM_400000_NS6detail17trampoline_kernelINS0_14default_configENS1_25partition_config_selectorILNS1_17partition_subalgoE6EdNS0_10empty_typeEbEEZZNS1_14partition_implILS5_6ELb0ES3_mN6thrust23THRUST_200600_302600_NS6detail15normal_iteratorINSA_10device_ptrIdEEEEPS6_SG_NS0_5tupleIJSF_S6_EEENSH_IJSG_SG_EEES6_PlJNSB_9not_fun_tI7is_trueIdEEEEEE10hipError_tPvRmT3_T4_T5_T6_T7_T9_mT8_P12ihipStream_tbDpT10_ENKUlT_T0_E_clISt17integral_constantIbLb1EES17_IbLb0EEEEDaS13_S14_EUlS13_E_NS1_11comp_targetILNS1_3genE3ELNS1_11target_archE908ELNS1_3gpuE7ELNS1_3repE0EEENS1_30default_config_static_selectorELNS0_4arch9wavefront6targetE0EEEvT1_
; %bb.0:
	.section	.rodata,"a",@progbits
	.p2align	6, 0x0
	.amdhsa_kernel _ZN7rocprim17ROCPRIM_400000_NS6detail17trampoline_kernelINS0_14default_configENS1_25partition_config_selectorILNS1_17partition_subalgoE6EdNS0_10empty_typeEbEEZZNS1_14partition_implILS5_6ELb0ES3_mN6thrust23THRUST_200600_302600_NS6detail15normal_iteratorINSA_10device_ptrIdEEEEPS6_SG_NS0_5tupleIJSF_S6_EEENSH_IJSG_SG_EEES6_PlJNSB_9not_fun_tI7is_trueIdEEEEEE10hipError_tPvRmT3_T4_T5_T6_T7_T9_mT8_P12ihipStream_tbDpT10_ENKUlT_T0_E_clISt17integral_constantIbLb1EES17_IbLb0EEEEDaS13_S14_EUlS13_E_NS1_11comp_targetILNS1_3genE3ELNS1_11target_archE908ELNS1_3gpuE7ELNS1_3repE0EEENS1_30default_config_static_selectorELNS0_4arch9wavefront6targetE0EEEvT1_
		.amdhsa_group_segment_fixed_size 0
		.amdhsa_private_segment_fixed_size 0
		.amdhsa_kernarg_size 112
		.amdhsa_user_sgpr_count 2
		.amdhsa_user_sgpr_dispatch_ptr 0
		.amdhsa_user_sgpr_queue_ptr 0
		.amdhsa_user_sgpr_kernarg_segment_ptr 1
		.amdhsa_user_sgpr_dispatch_id 0
		.amdhsa_user_sgpr_private_segment_size 0
		.amdhsa_wavefront_size32 1
		.amdhsa_uses_dynamic_stack 0
		.amdhsa_enable_private_segment 0
		.amdhsa_system_sgpr_workgroup_id_x 1
		.amdhsa_system_sgpr_workgroup_id_y 0
		.amdhsa_system_sgpr_workgroup_id_z 0
		.amdhsa_system_sgpr_workgroup_info 0
		.amdhsa_system_vgpr_workitem_id 0
		.amdhsa_next_free_vgpr 1
		.amdhsa_next_free_sgpr 1
		.amdhsa_reserve_vcc 0
		.amdhsa_float_round_mode_32 0
		.amdhsa_float_round_mode_16_64 0
		.amdhsa_float_denorm_mode_32 3
		.amdhsa_float_denorm_mode_16_64 3
		.amdhsa_fp16_overflow 0
		.amdhsa_workgroup_processor_mode 1
		.amdhsa_memory_ordered 1
		.amdhsa_forward_progress 1
		.amdhsa_inst_pref_size 0
		.amdhsa_round_robin_scheduling 0
		.amdhsa_exception_fp_ieee_invalid_op 0
		.amdhsa_exception_fp_denorm_src 0
		.amdhsa_exception_fp_ieee_div_zero 0
		.amdhsa_exception_fp_ieee_overflow 0
		.amdhsa_exception_fp_ieee_underflow 0
		.amdhsa_exception_fp_ieee_inexact 0
		.amdhsa_exception_int_div_zero 0
	.end_amdhsa_kernel
	.section	.text._ZN7rocprim17ROCPRIM_400000_NS6detail17trampoline_kernelINS0_14default_configENS1_25partition_config_selectorILNS1_17partition_subalgoE6EdNS0_10empty_typeEbEEZZNS1_14partition_implILS5_6ELb0ES3_mN6thrust23THRUST_200600_302600_NS6detail15normal_iteratorINSA_10device_ptrIdEEEEPS6_SG_NS0_5tupleIJSF_S6_EEENSH_IJSG_SG_EEES6_PlJNSB_9not_fun_tI7is_trueIdEEEEEE10hipError_tPvRmT3_T4_T5_T6_T7_T9_mT8_P12ihipStream_tbDpT10_ENKUlT_T0_E_clISt17integral_constantIbLb1EES17_IbLb0EEEEDaS13_S14_EUlS13_E_NS1_11comp_targetILNS1_3genE3ELNS1_11target_archE908ELNS1_3gpuE7ELNS1_3repE0EEENS1_30default_config_static_selectorELNS0_4arch9wavefront6targetE0EEEvT1_,"axG",@progbits,_ZN7rocprim17ROCPRIM_400000_NS6detail17trampoline_kernelINS0_14default_configENS1_25partition_config_selectorILNS1_17partition_subalgoE6EdNS0_10empty_typeEbEEZZNS1_14partition_implILS5_6ELb0ES3_mN6thrust23THRUST_200600_302600_NS6detail15normal_iteratorINSA_10device_ptrIdEEEEPS6_SG_NS0_5tupleIJSF_S6_EEENSH_IJSG_SG_EEES6_PlJNSB_9not_fun_tI7is_trueIdEEEEEE10hipError_tPvRmT3_T4_T5_T6_T7_T9_mT8_P12ihipStream_tbDpT10_ENKUlT_T0_E_clISt17integral_constantIbLb1EES17_IbLb0EEEEDaS13_S14_EUlS13_E_NS1_11comp_targetILNS1_3genE3ELNS1_11target_archE908ELNS1_3gpuE7ELNS1_3repE0EEENS1_30default_config_static_selectorELNS0_4arch9wavefront6targetE0EEEvT1_,comdat
.Lfunc_end1064:
	.size	_ZN7rocprim17ROCPRIM_400000_NS6detail17trampoline_kernelINS0_14default_configENS1_25partition_config_selectorILNS1_17partition_subalgoE6EdNS0_10empty_typeEbEEZZNS1_14partition_implILS5_6ELb0ES3_mN6thrust23THRUST_200600_302600_NS6detail15normal_iteratorINSA_10device_ptrIdEEEEPS6_SG_NS0_5tupleIJSF_S6_EEENSH_IJSG_SG_EEES6_PlJNSB_9not_fun_tI7is_trueIdEEEEEE10hipError_tPvRmT3_T4_T5_T6_T7_T9_mT8_P12ihipStream_tbDpT10_ENKUlT_T0_E_clISt17integral_constantIbLb1EES17_IbLb0EEEEDaS13_S14_EUlS13_E_NS1_11comp_targetILNS1_3genE3ELNS1_11target_archE908ELNS1_3gpuE7ELNS1_3repE0EEENS1_30default_config_static_selectorELNS0_4arch9wavefront6targetE0EEEvT1_, .Lfunc_end1064-_ZN7rocprim17ROCPRIM_400000_NS6detail17trampoline_kernelINS0_14default_configENS1_25partition_config_selectorILNS1_17partition_subalgoE6EdNS0_10empty_typeEbEEZZNS1_14partition_implILS5_6ELb0ES3_mN6thrust23THRUST_200600_302600_NS6detail15normal_iteratorINSA_10device_ptrIdEEEEPS6_SG_NS0_5tupleIJSF_S6_EEENSH_IJSG_SG_EEES6_PlJNSB_9not_fun_tI7is_trueIdEEEEEE10hipError_tPvRmT3_T4_T5_T6_T7_T9_mT8_P12ihipStream_tbDpT10_ENKUlT_T0_E_clISt17integral_constantIbLb1EES17_IbLb0EEEEDaS13_S14_EUlS13_E_NS1_11comp_targetILNS1_3genE3ELNS1_11target_archE908ELNS1_3gpuE7ELNS1_3repE0EEENS1_30default_config_static_selectorELNS0_4arch9wavefront6targetE0EEEvT1_
                                        ; -- End function
	.set _ZN7rocprim17ROCPRIM_400000_NS6detail17trampoline_kernelINS0_14default_configENS1_25partition_config_selectorILNS1_17partition_subalgoE6EdNS0_10empty_typeEbEEZZNS1_14partition_implILS5_6ELb0ES3_mN6thrust23THRUST_200600_302600_NS6detail15normal_iteratorINSA_10device_ptrIdEEEEPS6_SG_NS0_5tupleIJSF_S6_EEENSH_IJSG_SG_EEES6_PlJNSB_9not_fun_tI7is_trueIdEEEEEE10hipError_tPvRmT3_T4_T5_T6_T7_T9_mT8_P12ihipStream_tbDpT10_ENKUlT_T0_E_clISt17integral_constantIbLb1EES17_IbLb0EEEEDaS13_S14_EUlS13_E_NS1_11comp_targetILNS1_3genE3ELNS1_11target_archE908ELNS1_3gpuE7ELNS1_3repE0EEENS1_30default_config_static_selectorELNS0_4arch9wavefront6targetE0EEEvT1_.num_vgpr, 0
	.set _ZN7rocprim17ROCPRIM_400000_NS6detail17trampoline_kernelINS0_14default_configENS1_25partition_config_selectorILNS1_17partition_subalgoE6EdNS0_10empty_typeEbEEZZNS1_14partition_implILS5_6ELb0ES3_mN6thrust23THRUST_200600_302600_NS6detail15normal_iteratorINSA_10device_ptrIdEEEEPS6_SG_NS0_5tupleIJSF_S6_EEENSH_IJSG_SG_EEES6_PlJNSB_9not_fun_tI7is_trueIdEEEEEE10hipError_tPvRmT3_T4_T5_T6_T7_T9_mT8_P12ihipStream_tbDpT10_ENKUlT_T0_E_clISt17integral_constantIbLb1EES17_IbLb0EEEEDaS13_S14_EUlS13_E_NS1_11comp_targetILNS1_3genE3ELNS1_11target_archE908ELNS1_3gpuE7ELNS1_3repE0EEENS1_30default_config_static_selectorELNS0_4arch9wavefront6targetE0EEEvT1_.num_agpr, 0
	.set _ZN7rocprim17ROCPRIM_400000_NS6detail17trampoline_kernelINS0_14default_configENS1_25partition_config_selectorILNS1_17partition_subalgoE6EdNS0_10empty_typeEbEEZZNS1_14partition_implILS5_6ELb0ES3_mN6thrust23THRUST_200600_302600_NS6detail15normal_iteratorINSA_10device_ptrIdEEEEPS6_SG_NS0_5tupleIJSF_S6_EEENSH_IJSG_SG_EEES6_PlJNSB_9not_fun_tI7is_trueIdEEEEEE10hipError_tPvRmT3_T4_T5_T6_T7_T9_mT8_P12ihipStream_tbDpT10_ENKUlT_T0_E_clISt17integral_constantIbLb1EES17_IbLb0EEEEDaS13_S14_EUlS13_E_NS1_11comp_targetILNS1_3genE3ELNS1_11target_archE908ELNS1_3gpuE7ELNS1_3repE0EEENS1_30default_config_static_selectorELNS0_4arch9wavefront6targetE0EEEvT1_.numbered_sgpr, 0
	.set _ZN7rocprim17ROCPRIM_400000_NS6detail17trampoline_kernelINS0_14default_configENS1_25partition_config_selectorILNS1_17partition_subalgoE6EdNS0_10empty_typeEbEEZZNS1_14partition_implILS5_6ELb0ES3_mN6thrust23THRUST_200600_302600_NS6detail15normal_iteratorINSA_10device_ptrIdEEEEPS6_SG_NS0_5tupleIJSF_S6_EEENSH_IJSG_SG_EEES6_PlJNSB_9not_fun_tI7is_trueIdEEEEEE10hipError_tPvRmT3_T4_T5_T6_T7_T9_mT8_P12ihipStream_tbDpT10_ENKUlT_T0_E_clISt17integral_constantIbLb1EES17_IbLb0EEEEDaS13_S14_EUlS13_E_NS1_11comp_targetILNS1_3genE3ELNS1_11target_archE908ELNS1_3gpuE7ELNS1_3repE0EEENS1_30default_config_static_selectorELNS0_4arch9wavefront6targetE0EEEvT1_.num_named_barrier, 0
	.set _ZN7rocprim17ROCPRIM_400000_NS6detail17trampoline_kernelINS0_14default_configENS1_25partition_config_selectorILNS1_17partition_subalgoE6EdNS0_10empty_typeEbEEZZNS1_14partition_implILS5_6ELb0ES3_mN6thrust23THRUST_200600_302600_NS6detail15normal_iteratorINSA_10device_ptrIdEEEEPS6_SG_NS0_5tupleIJSF_S6_EEENSH_IJSG_SG_EEES6_PlJNSB_9not_fun_tI7is_trueIdEEEEEE10hipError_tPvRmT3_T4_T5_T6_T7_T9_mT8_P12ihipStream_tbDpT10_ENKUlT_T0_E_clISt17integral_constantIbLb1EES17_IbLb0EEEEDaS13_S14_EUlS13_E_NS1_11comp_targetILNS1_3genE3ELNS1_11target_archE908ELNS1_3gpuE7ELNS1_3repE0EEENS1_30default_config_static_selectorELNS0_4arch9wavefront6targetE0EEEvT1_.private_seg_size, 0
	.set _ZN7rocprim17ROCPRIM_400000_NS6detail17trampoline_kernelINS0_14default_configENS1_25partition_config_selectorILNS1_17partition_subalgoE6EdNS0_10empty_typeEbEEZZNS1_14partition_implILS5_6ELb0ES3_mN6thrust23THRUST_200600_302600_NS6detail15normal_iteratorINSA_10device_ptrIdEEEEPS6_SG_NS0_5tupleIJSF_S6_EEENSH_IJSG_SG_EEES6_PlJNSB_9not_fun_tI7is_trueIdEEEEEE10hipError_tPvRmT3_T4_T5_T6_T7_T9_mT8_P12ihipStream_tbDpT10_ENKUlT_T0_E_clISt17integral_constantIbLb1EES17_IbLb0EEEEDaS13_S14_EUlS13_E_NS1_11comp_targetILNS1_3genE3ELNS1_11target_archE908ELNS1_3gpuE7ELNS1_3repE0EEENS1_30default_config_static_selectorELNS0_4arch9wavefront6targetE0EEEvT1_.uses_vcc, 0
	.set _ZN7rocprim17ROCPRIM_400000_NS6detail17trampoline_kernelINS0_14default_configENS1_25partition_config_selectorILNS1_17partition_subalgoE6EdNS0_10empty_typeEbEEZZNS1_14partition_implILS5_6ELb0ES3_mN6thrust23THRUST_200600_302600_NS6detail15normal_iteratorINSA_10device_ptrIdEEEEPS6_SG_NS0_5tupleIJSF_S6_EEENSH_IJSG_SG_EEES6_PlJNSB_9not_fun_tI7is_trueIdEEEEEE10hipError_tPvRmT3_T4_T5_T6_T7_T9_mT8_P12ihipStream_tbDpT10_ENKUlT_T0_E_clISt17integral_constantIbLb1EES17_IbLb0EEEEDaS13_S14_EUlS13_E_NS1_11comp_targetILNS1_3genE3ELNS1_11target_archE908ELNS1_3gpuE7ELNS1_3repE0EEENS1_30default_config_static_selectorELNS0_4arch9wavefront6targetE0EEEvT1_.uses_flat_scratch, 0
	.set _ZN7rocprim17ROCPRIM_400000_NS6detail17trampoline_kernelINS0_14default_configENS1_25partition_config_selectorILNS1_17partition_subalgoE6EdNS0_10empty_typeEbEEZZNS1_14partition_implILS5_6ELb0ES3_mN6thrust23THRUST_200600_302600_NS6detail15normal_iteratorINSA_10device_ptrIdEEEEPS6_SG_NS0_5tupleIJSF_S6_EEENSH_IJSG_SG_EEES6_PlJNSB_9not_fun_tI7is_trueIdEEEEEE10hipError_tPvRmT3_T4_T5_T6_T7_T9_mT8_P12ihipStream_tbDpT10_ENKUlT_T0_E_clISt17integral_constantIbLb1EES17_IbLb0EEEEDaS13_S14_EUlS13_E_NS1_11comp_targetILNS1_3genE3ELNS1_11target_archE908ELNS1_3gpuE7ELNS1_3repE0EEENS1_30default_config_static_selectorELNS0_4arch9wavefront6targetE0EEEvT1_.has_dyn_sized_stack, 0
	.set _ZN7rocprim17ROCPRIM_400000_NS6detail17trampoline_kernelINS0_14default_configENS1_25partition_config_selectorILNS1_17partition_subalgoE6EdNS0_10empty_typeEbEEZZNS1_14partition_implILS5_6ELb0ES3_mN6thrust23THRUST_200600_302600_NS6detail15normal_iteratorINSA_10device_ptrIdEEEEPS6_SG_NS0_5tupleIJSF_S6_EEENSH_IJSG_SG_EEES6_PlJNSB_9not_fun_tI7is_trueIdEEEEEE10hipError_tPvRmT3_T4_T5_T6_T7_T9_mT8_P12ihipStream_tbDpT10_ENKUlT_T0_E_clISt17integral_constantIbLb1EES17_IbLb0EEEEDaS13_S14_EUlS13_E_NS1_11comp_targetILNS1_3genE3ELNS1_11target_archE908ELNS1_3gpuE7ELNS1_3repE0EEENS1_30default_config_static_selectorELNS0_4arch9wavefront6targetE0EEEvT1_.has_recursion, 0
	.set _ZN7rocprim17ROCPRIM_400000_NS6detail17trampoline_kernelINS0_14default_configENS1_25partition_config_selectorILNS1_17partition_subalgoE6EdNS0_10empty_typeEbEEZZNS1_14partition_implILS5_6ELb0ES3_mN6thrust23THRUST_200600_302600_NS6detail15normal_iteratorINSA_10device_ptrIdEEEEPS6_SG_NS0_5tupleIJSF_S6_EEENSH_IJSG_SG_EEES6_PlJNSB_9not_fun_tI7is_trueIdEEEEEE10hipError_tPvRmT3_T4_T5_T6_T7_T9_mT8_P12ihipStream_tbDpT10_ENKUlT_T0_E_clISt17integral_constantIbLb1EES17_IbLb0EEEEDaS13_S14_EUlS13_E_NS1_11comp_targetILNS1_3genE3ELNS1_11target_archE908ELNS1_3gpuE7ELNS1_3repE0EEENS1_30default_config_static_selectorELNS0_4arch9wavefront6targetE0EEEvT1_.has_indirect_call, 0
	.section	.AMDGPU.csdata,"",@progbits
; Kernel info:
; codeLenInByte = 0
; TotalNumSgprs: 0
; NumVgprs: 0
; ScratchSize: 0
; MemoryBound: 0
; FloatMode: 240
; IeeeMode: 1
; LDSByteSize: 0 bytes/workgroup (compile time only)
; SGPRBlocks: 0
; VGPRBlocks: 0
; NumSGPRsForWavesPerEU: 1
; NumVGPRsForWavesPerEU: 1
; Occupancy: 16
; WaveLimiterHint : 0
; COMPUTE_PGM_RSRC2:SCRATCH_EN: 0
; COMPUTE_PGM_RSRC2:USER_SGPR: 2
; COMPUTE_PGM_RSRC2:TRAP_HANDLER: 0
; COMPUTE_PGM_RSRC2:TGID_X_EN: 1
; COMPUTE_PGM_RSRC2:TGID_Y_EN: 0
; COMPUTE_PGM_RSRC2:TGID_Z_EN: 0
; COMPUTE_PGM_RSRC2:TIDIG_COMP_CNT: 0
	.section	.text._ZN7rocprim17ROCPRIM_400000_NS6detail17trampoline_kernelINS0_14default_configENS1_25partition_config_selectorILNS1_17partition_subalgoE6EdNS0_10empty_typeEbEEZZNS1_14partition_implILS5_6ELb0ES3_mN6thrust23THRUST_200600_302600_NS6detail15normal_iteratorINSA_10device_ptrIdEEEEPS6_SG_NS0_5tupleIJSF_S6_EEENSH_IJSG_SG_EEES6_PlJNSB_9not_fun_tI7is_trueIdEEEEEE10hipError_tPvRmT3_T4_T5_T6_T7_T9_mT8_P12ihipStream_tbDpT10_ENKUlT_T0_E_clISt17integral_constantIbLb1EES17_IbLb0EEEEDaS13_S14_EUlS13_E_NS1_11comp_targetILNS1_3genE2ELNS1_11target_archE906ELNS1_3gpuE6ELNS1_3repE0EEENS1_30default_config_static_selectorELNS0_4arch9wavefront6targetE0EEEvT1_,"axG",@progbits,_ZN7rocprim17ROCPRIM_400000_NS6detail17trampoline_kernelINS0_14default_configENS1_25partition_config_selectorILNS1_17partition_subalgoE6EdNS0_10empty_typeEbEEZZNS1_14partition_implILS5_6ELb0ES3_mN6thrust23THRUST_200600_302600_NS6detail15normal_iteratorINSA_10device_ptrIdEEEEPS6_SG_NS0_5tupleIJSF_S6_EEENSH_IJSG_SG_EEES6_PlJNSB_9not_fun_tI7is_trueIdEEEEEE10hipError_tPvRmT3_T4_T5_T6_T7_T9_mT8_P12ihipStream_tbDpT10_ENKUlT_T0_E_clISt17integral_constantIbLb1EES17_IbLb0EEEEDaS13_S14_EUlS13_E_NS1_11comp_targetILNS1_3genE2ELNS1_11target_archE906ELNS1_3gpuE6ELNS1_3repE0EEENS1_30default_config_static_selectorELNS0_4arch9wavefront6targetE0EEEvT1_,comdat
	.protected	_ZN7rocprim17ROCPRIM_400000_NS6detail17trampoline_kernelINS0_14default_configENS1_25partition_config_selectorILNS1_17partition_subalgoE6EdNS0_10empty_typeEbEEZZNS1_14partition_implILS5_6ELb0ES3_mN6thrust23THRUST_200600_302600_NS6detail15normal_iteratorINSA_10device_ptrIdEEEEPS6_SG_NS0_5tupleIJSF_S6_EEENSH_IJSG_SG_EEES6_PlJNSB_9not_fun_tI7is_trueIdEEEEEE10hipError_tPvRmT3_T4_T5_T6_T7_T9_mT8_P12ihipStream_tbDpT10_ENKUlT_T0_E_clISt17integral_constantIbLb1EES17_IbLb0EEEEDaS13_S14_EUlS13_E_NS1_11comp_targetILNS1_3genE2ELNS1_11target_archE906ELNS1_3gpuE6ELNS1_3repE0EEENS1_30default_config_static_selectorELNS0_4arch9wavefront6targetE0EEEvT1_ ; -- Begin function _ZN7rocprim17ROCPRIM_400000_NS6detail17trampoline_kernelINS0_14default_configENS1_25partition_config_selectorILNS1_17partition_subalgoE6EdNS0_10empty_typeEbEEZZNS1_14partition_implILS5_6ELb0ES3_mN6thrust23THRUST_200600_302600_NS6detail15normal_iteratorINSA_10device_ptrIdEEEEPS6_SG_NS0_5tupleIJSF_S6_EEENSH_IJSG_SG_EEES6_PlJNSB_9not_fun_tI7is_trueIdEEEEEE10hipError_tPvRmT3_T4_T5_T6_T7_T9_mT8_P12ihipStream_tbDpT10_ENKUlT_T0_E_clISt17integral_constantIbLb1EES17_IbLb0EEEEDaS13_S14_EUlS13_E_NS1_11comp_targetILNS1_3genE2ELNS1_11target_archE906ELNS1_3gpuE6ELNS1_3repE0EEENS1_30default_config_static_selectorELNS0_4arch9wavefront6targetE0EEEvT1_
	.globl	_ZN7rocprim17ROCPRIM_400000_NS6detail17trampoline_kernelINS0_14default_configENS1_25partition_config_selectorILNS1_17partition_subalgoE6EdNS0_10empty_typeEbEEZZNS1_14partition_implILS5_6ELb0ES3_mN6thrust23THRUST_200600_302600_NS6detail15normal_iteratorINSA_10device_ptrIdEEEEPS6_SG_NS0_5tupleIJSF_S6_EEENSH_IJSG_SG_EEES6_PlJNSB_9not_fun_tI7is_trueIdEEEEEE10hipError_tPvRmT3_T4_T5_T6_T7_T9_mT8_P12ihipStream_tbDpT10_ENKUlT_T0_E_clISt17integral_constantIbLb1EES17_IbLb0EEEEDaS13_S14_EUlS13_E_NS1_11comp_targetILNS1_3genE2ELNS1_11target_archE906ELNS1_3gpuE6ELNS1_3repE0EEENS1_30default_config_static_selectorELNS0_4arch9wavefront6targetE0EEEvT1_
	.p2align	8
	.type	_ZN7rocprim17ROCPRIM_400000_NS6detail17trampoline_kernelINS0_14default_configENS1_25partition_config_selectorILNS1_17partition_subalgoE6EdNS0_10empty_typeEbEEZZNS1_14partition_implILS5_6ELb0ES3_mN6thrust23THRUST_200600_302600_NS6detail15normal_iteratorINSA_10device_ptrIdEEEEPS6_SG_NS0_5tupleIJSF_S6_EEENSH_IJSG_SG_EEES6_PlJNSB_9not_fun_tI7is_trueIdEEEEEE10hipError_tPvRmT3_T4_T5_T6_T7_T9_mT8_P12ihipStream_tbDpT10_ENKUlT_T0_E_clISt17integral_constantIbLb1EES17_IbLb0EEEEDaS13_S14_EUlS13_E_NS1_11comp_targetILNS1_3genE2ELNS1_11target_archE906ELNS1_3gpuE6ELNS1_3repE0EEENS1_30default_config_static_selectorELNS0_4arch9wavefront6targetE0EEEvT1_,@function
_ZN7rocprim17ROCPRIM_400000_NS6detail17trampoline_kernelINS0_14default_configENS1_25partition_config_selectorILNS1_17partition_subalgoE6EdNS0_10empty_typeEbEEZZNS1_14partition_implILS5_6ELb0ES3_mN6thrust23THRUST_200600_302600_NS6detail15normal_iteratorINSA_10device_ptrIdEEEEPS6_SG_NS0_5tupleIJSF_S6_EEENSH_IJSG_SG_EEES6_PlJNSB_9not_fun_tI7is_trueIdEEEEEE10hipError_tPvRmT3_T4_T5_T6_T7_T9_mT8_P12ihipStream_tbDpT10_ENKUlT_T0_E_clISt17integral_constantIbLb1EES17_IbLb0EEEEDaS13_S14_EUlS13_E_NS1_11comp_targetILNS1_3genE2ELNS1_11target_archE906ELNS1_3gpuE6ELNS1_3repE0EEENS1_30default_config_static_selectorELNS0_4arch9wavefront6targetE0EEEvT1_: ; @_ZN7rocprim17ROCPRIM_400000_NS6detail17trampoline_kernelINS0_14default_configENS1_25partition_config_selectorILNS1_17partition_subalgoE6EdNS0_10empty_typeEbEEZZNS1_14partition_implILS5_6ELb0ES3_mN6thrust23THRUST_200600_302600_NS6detail15normal_iteratorINSA_10device_ptrIdEEEEPS6_SG_NS0_5tupleIJSF_S6_EEENSH_IJSG_SG_EEES6_PlJNSB_9not_fun_tI7is_trueIdEEEEEE10hipError_tPvRmT3_T4_T5_T6_T7_T9_mT8_P12ihipStream_tbDpT10_ENKUlT_T0_E_clISt17integral_constantIbLb1EES17_IbLb0EEEEDaS13_S14_EUlS13_E_NS1_11comp_targetILNS1_3genE2ELNS1_11target_archE906ELNS1_3gpuE6ELNS1_3repE0EEENS1_30default_config_static_selectorELNS0_4arch9wavefront6targetE0EEEvT1_
; %bb.0:
	.section	.rodata,"a",@progbits
	.p2align	6, 0x0
	.amdhsa_kernel _ZN7rocprim17ROCPRIM_400000_NS6detail17trampoline_kernelINS0_14default_configENS1_25partition_config_selectorILNS1_17partition_subalgoE6EdNS0_10empty_typeEbEEZZNS1_14partition_implILS5_6ELb0ES3_mN6thrust23THRUST_200600_302600_NS6detail15normal_iteratorINSA_10device_ptrIdEEEEPS6_SG_NS0_5tupleIJSF_S6_EEENSH_IJSG_SG_EEES6_PlJNSB_9not_fun_tI7is_trueIdEEEEEE10hipError_tPvRmT3_T4_T5_T6_T7_T9_mT8_P12ihipStream_tbDpT10_ENKUlT_T0_E_clISt17integral_constantIbLb1EES17_IbLb0EEEEDaS13_S14_EUlS13_E_NS1_11comp_targetILNS1_3genE2ELNS1_11target_archE906ELNS1_3gpuE6ELNS1_3repE0EEENS1_30default_config_static_selectorELNS0_4arch9wavefront6targetE0EEEvT1_
		.amdhsa_group_segment_fixed_size 0
		.amdhsa_private_segment_fixed_size 0
		.amdhsa_kernarg_size 112
		.amdhsa_user_sgpr_count 2
		.amdhsa_user_sgpr_dispatch_ptr 0
		.amdhsa_user_sgpr_queue_ptr 0
		.amdhsa_user_sgpr_kernarg_segment_ptr 1
		.amdhsa_user_sgpr_dispatch_id 0
		.amdhsa_user_sgpr_private_segment_size 0
		.amdhsa_wavefront_size32 1
		.amdhsa_uses_dynamic_stack 0
		.amdhsa_enable_private_segment 0
		.amdhsa_system_sgpr_workgroup_id_x 1
		.amdhsa_system_sgpr_workgroup_id_y 0
		.amdhsa_system_sgpr_workgroup_id_z 0
		.amdhsa_system_sgpr_workgroup_info 0
		.amdhsa_system_vgpr_workitem_id 0
		.amdhsa_next_free_vgpr 1
		.amdhsa_next_free_sgpr 1
		.amdhsa_reserve_vcc 0
		.amdhsa_float_round_mode_32 0
		.amdhsa_float_round_mode_16_64 0
		.amdhsa_float_denorm_mode_32 3
		.amdhsa_float_denorm_mode_16_64 3
		.amdhsa_fp16_overflow 0
		.amdhsa_workgroup_processor_mode 1
		.amdhsa_memory_ordered 1
		.amdhsa_forward_progress 1
		.amdhsa_inst_pref_size 0
		.amdhsa_round_robin_scheduling 0
		.amdhsa_exception_fp_ieee_invalid_op 0
		.amdhsa_exception_fp_denorm_src 0
		.amdhsa_exception_fp_ieee_div_zero 0
		.amdhsa_exception_fp_ieee_overflow 0
		.amdhsa_exception_fp_ieee_underflow 0
		.amdhsa_exception_fp_ieee_inexact 0
		.amdhsa_exception_int_div_zero 0
	.end_amdhsa_kernel
	.section	.text._ZN7rocprim17ROCPRIM_400000_NS6detail17trampoline_kernelINS0_14default_configENS1_25partition_config_selectorILNS1_17partition_subalgoE6EdNS0_10empty_typeEbEEZZNS1_14partition_implILS5_6ELb0ES3_mN6thrust23THRUST_200600_302600_NS6detail15normal_iteratorINSA_10device_ptrIdEEEEPS6_SG_NS0_5tupleIJSF_S6_EEENSH_IJSG_SG_EEES6_PlJNSB_9not_fun_tI7is_trueIdEEEEEE10hipError_tPvRmT3_T4_T5_T6_T7_T9_mT8_P12ihipStream_tbDpT10_ENKUlT_T0_E_clISt17integral_constantIbLb1EES17_IbLb0EEEEDaS13_S14_EUlS13_E_NS1_11comp_targetILNS1_3genE2ELNS1_11target_archE906ELNS1_3gpuE6ELNS1_3repE0EEENS1_30default_config_static_selectorELNS0_4arch9wavefront6targetE0EEEvT1_,"axG",@progbits,_ZN7rocprim17ROCPRIM_400000_NS6detail17trampoline_kernelINS0_14default_configENS1_25partition_config_selectorILNS1_17partition_subalgoE6EdNS0_10empty_typeEbEEZZNS1_14partition_implILS5_6ELb0ES3_mN6thrust23THRUST_200600_302600_NS6detail15normal_iteratorINSA_10device_ptrIdEEEEPS6_SG_NS0_5tupleIJSF_S6_EEENSH_IJSG_SG_EEES6_PlJNSB_9not_fun_tI7is_trueIdEEEEEE10hipError_tPvRmT3_T4_T5_T6_T7_T9_mT8_P12ihipStream_tbDpT10_ENKUlT_T0_E_clISt17integral_constantIbLb1EES17_IbLb0EEEEDaS13_S14_EUlS13_E_NS1_11comp_targetILNS1_3genE2ELNS1_11target_archE906ELNS1_3gpuE6ELNS1_3repE0EEENS1_30default_config_static_selectorELNS0_4arch9wavefront6targetE0EEEvT1_,comdat
.Lfunc_end1065:
	.size	_ZN7rocprim17ROCPRIM_400000_NS6detail17trampoline_kernelINS0_14default_configENS1_25partition_config_selectorILNS1_17partition_subalgoE6EdNS0_10empty_typeEbEEZZNS1_14partition_implILS5_6ELb0ES3_mN6thrust23THRUST_200600_302600_NS6detail15normal_iteratorINSA_10device_ptrIdEEEEPS6_SG_NS0_5tupleIJSF_S6_EEENSH_IJSG_SG_EEES6_PlJNSB_9not_fun_tI7is_trueIdEEEEEE10hipError_tPvRmT3_T4_T5_T6_T7_T9_mT8_P12ihipStream_tbDpT10_ENKUlT_T0_E_clISt17integral_constantIbLb1EES17_IbLb0EEEEDaS13_S14_EUlS13_E_NS1_11comp_targetILNS1_3genE2ELNS1_11target_archE906ELNS1_3gpuE6ELNS1_3repE0EEENS1_30default_config_static_selectorELNS0_4arch9wavefront6targetE0EEEvT1_, .Lfunc_end1065-_ZN7rocprim17ROCPRIM_400000_NS6detail17trampoline_kernelINS0_14default_configENS1_25partition_config_selectorILNS1_17partition_subalgoE6EdNS0_10empty_typeEbEEZZNS1_14partition_implILS5_6ELb0ES3_mN6thrust23THRUST_200600_302600_NS6detail15normal_iteratorINSA_10device_ptrIdEEEEPS6_SG_NS0_5tupleIJSF_S6_EEENSH_IJSG_SG_EEES6_PlJNSB_9not_fun_tI7is_trueIdEEEEEE10hipError_tPvRmT3_T4_T5_T6_T7_T9_mT8_P12ihipStream_tbDpT10_ENKUlT_T0_E_clISt17integral_constantIbLb1EES17_IbLb0EEEEDaS13_S14_EUlS13_E_NS1_11comp_targetILNS1_3genE2ELNS1_11target_archE906ELNS1_3gpuE6ELNS1_3repE0EEENS1_30default_config_static_selectorELNS0_4arch9wavefront6targetE0EEEvT1_
                                        ; -- End function
	.set _ZN7rocprim17ROCPRIM_400000_NS6detail17trampoline_kernelINS0_14default_configENS1_25partition_config_selectorILNS1_17partition_subalgoE6EdNS0_10empty_typeEbEEZZNS1_14partition_implILS5_6ELb0ES3_mN6thrust23THRUST_200600_302600_NS6detail15normal_iteratorINSA_10device_ptrIdEEEEPS6_SG_NS0_5tupleIJSF_S6_EEENSH_IJSG_SG_EEES6_PlJNSB_9not_fun_tI7is_trueIdEEEEEE10hipError_tPvRmT3_T4_T5_T6_T7_T9_mT8_P12ihipStream_tbDpT10_ENKUlT_T0_E_clISt17integral_constantIbLb1EES17_IbLb0EEEEDaS13_S14_EUlS13_E_NS1_11comp_targetILNS1_3genE2ELNS1_11target_archE906ELNS1_3gpuE6ELNS1_3repE0EEENS1_30default_config_static_selectorELNS0_4arch9wavefront6targetE0EEEvT1_.num_vgpr, 0
	.set _ZN7rocprim17ROCPRIM_400000_NS6detail17trampoline_kernelINS0_14default_configENS1_25partition_config_selectorILNS1_17partition_subalgoE6EdNS0_10empty_typeEbEEZZNS1_14partition_implILS5_6ELb0ES3_mN6thrust23THRUST_200600_302600_NS6detail15normal_iteratorINSA_10device_ptrIdEEEEPS6_SG_NS0_5tupleIJSF_S6_EEENSH_IJSG_SG_EEES6_PlJNSB_9not_fun_tI7is_trueIdEEEEEE10hipError_tPvRmT3_T4_T5_T6_T7_T9_mT8_P12ihipStream_tbDpT10_ENKUlT_T0_E_clISt17integral_constantIbLb1EES17_IbLb0EEEEDaS13_S14_EUlS13_E_NS1_11comp_targetILNS1_3genE2ELNS1_11target_archE906ELNS1_3gpuE6ELNS1_3repE0EEENS1_30default_config_static_selectorELNS0_4arch9wavefront6targetE0EEEvT1_.num_agpr, 0
	.set _ZN7rocprim17ROCPRIM_400000_NS6detail17trampoline_kernelINS0_14default_configENS1_25partition_config_selectorILNS1_17partition_subalgoE6EdNS0_10empty_typeEbEEZZNS1_14partition_implILS5_6ELb0ES3_mN6thrust23THRUST_200600_302600_NS6detail15normal_iteratorINSA_10device_ptrIdEEEEPS6_SG_NS0_5tupleIJSF_S6_EEENSH_IJSG_SG_EEES6_PlJNSB_9not_fun_tI7is_trueIdEEEEEE10hipError_tPvRmT3_T4_T5_T6_T7_T9_mT8_P12ihipStream_tbDpT10_ENKUlT_T0_E_clISt17integral_constantIbLb1EES17_IbLb0EEEEDaS13_S14_EUlS13_E_NS1_11comp_targetILNS1_3genE2ELNS1_11target_archE906ELNS1_3gpuE6ELNS1_3repE0EEENS1_30default_config_static_selectorELNS0_4arch9wavefront6targetE0EEEvT1_.numbered_sgpr, 0
	.set _ZN7rocprim17ROCPRIM_400000_NS6detail17trampoline_kernelINS0_14default_configENS1_25partition_config_selectorILNS1_17partition_subalgoE6EdNS0_10empty_typeEbEEZZNS1_14partition_implILS5_6ELb0ES3_mN6thrust23THRUST_200600_302600_NS6detail15normal_iteratorINSA_10device_ptrIdEEEEPS6_SG_NS0_5tupleIJSF_S6_EEENSH_IJSG_SG_EEES6_PlJNSB_9not_fun_tI7is_trueIdEEEEEE10hipError_tPvRmT3_T4_T5_T6_T7_T9_mT8_P12ihipStream_tbDpT10_ENKUlT_T0_E_clISt17integral_constantIbLb1EES17_IbLb0EEEEDaS13_S14_EUlS13_E_NS1_11comp_targetILNS1_3genE2ELNS1_11target_archE906ELNS1_3gpuE6ELNS1_3repE0EEENS1_30default_config_static_selectorELNS0_4arch9wavefront6targetE0EEEvT1_.num_named_barrier, 0
	.set _ZN7rocprim17ROCPRIM_400000_NS6detail17trampoline_kernelINS0_14default_configENS1_25partition_config_selectorILNS1_17partition_subalgoE6EdNS0_10empty_typeEbEEZZNS1_14partition_implILS5_6ELb0ES3_mN6thrust23THRUST_200600_302600_NS6detail15normal_iteratorINSA_10device_ptrIdEEEEPS6_SG_NS0_5tupleIJSF_S6_EEENSH_IJSG_SG_EEES6_PlJNSB_9not_fun_tI7is_trueIdEEEEEE10hipError_tPvRmT3_T4_T5_T6_T7_T9_mT8_P12ihipStream_tbDpT10_ENKUlT_T0_E_clISt17integral_constantIbLb1EES17_IbLb0EEEEDaS13_S14_EUlS13_E_NS1_11comp_targetILNS1_3genE2ELNS1_11target_archE906ELNS1_3gpuE6ELNS1_3repE0EEENS1_30default_config_static_selectorELNS0_4arch9wavefront6targetE0EEEvT1_.private_seg_size, 0
	.set _ZN7rocprim17ROCPRIM_400000_NS6detail17trampoline_kernelINS0_14default_configENS1_25partition_config_selectorILNS1_17partition_subalgoE6EdNS0_10empty_typeEbEEZZNS1_14partition_implILS5_6ELb0ES3_mN6thrust23THRUST_200600_302600_NS6detail15normal_iteratorINSA_10device_ptrIdEEEEPS6_SG_NS0_5tupleIJSF_S6_EEENSH_IJSG_SG_EEES6_PlJNSB_9not_fun_tI7is_trueIdEEEEEE10hipError_tPvRmT3_T4_T5_T6_T7_T9_mT8_P12ihipStream_tbDpT10_ENKUlT_T0_E_clISt17integral_constantIbLb1EES17_IbLb0EEEEDaS13_S14_EUlS13_E_NS1_11comp_targetILNS1_3genE2ELNS1_11target_archE906ELNS1_3gpuE6ELNS1_3repE0EEENS1_30default_config_static_selectorELNS0_4arch9wavefront6targetE0EEEvT1_.uses_vcc, 0
	.set _ZN7rocprim17ROCPRIM_400000_NS6detail17trampoline_kernelINS0_14default_configENS1_25partition_config_selectorILNS1_17partition_subalgoE6EdNS0_10empty_typeEbEEZZNS1_14partition_implILS5_6ELb0ES3_mN6thrust23THRUST_200600_302600_NS6detail15normal_iteratorINSA_10device_ptrIdEEEEPS6_SG_NS0_5tupleIJSF_S6_EEENSH_IJSG_SG_EEES6_PlJNSB_9not_fun_tI7is_trueIdEEEEEE10hipError_tPvRmT3_T4_T5_T6_T7_T9_mT8_P12ihipStream_tbDpT10_ENKUlT_T0_E_clISt17integral_constantIbLb1EES17_IbLb0EEEEDaS13_S14_EUlS13_E_NS1_11comp_targetILNS1_3genE2ELNS1_11target_archE906ELNS1_3gpuE6ELNS1_3repE0EEENS1_30default_config_static_selectorELNS0_4arch9wavefront6targetE0EEEvT1_.uses_flat_scratch, 0
	.set _ZN7rocprim17ROCPRIM_400000_NS6detail17trampoline_kernelINS0_14default_configENS1_25partition_config_selectorILNS1_17partition_subalgoE6EdNS0_10empty_typeEbEEZZNS1_14partition_implILS5_6ELb0ES3_mN6thrust23THRUST_200600_302600_NS6detail15normal_iteratorINSA_10device_ptrIdEEEEPS6_SG_NS0_5tupleIJSF_S6_EEENSH_IJSG_SG_EEES6_PlJNSB_9not_fun_tI7is_trueIdEEEEEE10hipError_tPvRmT3_T4_T5_T6_T7_T9_mT8_P12ihipStream_tbDpT10_ENKUlT_T0_E_clISt17integral_constantIbLb1EES17_IbLb0EEEEDaS13_S14_EUlS13_E_NS1_11comp_targetILNS1_3genE2ELNS1_11target_archE906ELNS1_3gpuE6ELNS1_3repE0EEENS1_30default_config_static_selectorELNS0_4arch9wavefront6targetE0EEEvT1_.has_dyn_sized_stack, 0
	.set _ZN7rocprim17ROCPRIM_400000_NS6detail17trampoline_kernelINS0_14default_configENS1_25partition_config_selectorILNS1_17partition_subalgoE6EdNS0_10empty_typeEbEEZZNS1_14partition_implILS5_6ELb0ES3_mN6thrust23THRUST_200600_302600_NS6detail15normal_iteratorINSA_10device_ptrIdEEEEPS6_SG_NS0_5tupleIJSF_S6_EEENSH_IJSG_SG_EEES6_PlJNSB_9not_fun_tI7is_trueIdEEEEEE10hipError_tPvRmT3_T4_T5_T6_T7_T9_mT8_P12ihipStream_tbDpT10_ENKUlT_T0_E_clISt17integral_constantIbLb1EES17_IbLb0EEEEDaS13_S14_EUlS13_E_NS1_11comp_targetILNS1_3genE2ELNS1_11target_archE906ELNS1_3gpuE6ELNS1_3repE0EEENS1_30default_config_static_selectorELNS0_4arch9wavefront6targetE0EEEvT1_.has_recursion, 0
	.set _ZN7rocprim17ROCPRIM_400000_NS6detail17trampoline_kernelINS0_14default_configENS1_25partition_config_selectorILNS1_17partition_subalgoE6EdNS0_10empty_typeEbEEZZNS1_14partition_implILS5_6ELb0ES3_mN6thrust23THRUST_200600_302600_NS6detail15normal_iteratorINSA_10device_ptrIdEEEEPS6_SG_NS0_5tupleIJSF_S6_EEENSH_IJSG_SG_EEES6_PlJNSB_9not_fun_tI7is_trueIdEEEEEE10hipError_tPvRmT3_T4_T5_T6_T7_T9_mT8_P12ihipStream_tbDpT10_ENKUlT_T0_E_clISt17integral_constantIbLb1EES17_IbLb0EEEEDaS13_S14_EUlS13_E_NS1_11comp_targetILNS1_3genE2ELNS1_11target_archE906ELNS1_3gpuE6ELNS1_3repE0EEENS1_30default_config_static_selectorELNS0_4arch9wavefront6targetE0EEEvT1_.has_indirect_call, 0
	.section	.AMDGPU.csdata,"",@progbits
; Kernel info:
; codeLenInByte = 0
; TotalNumSgprs: 0
; NumVgprs: 0
; ScratchSize: 0
; MemoryBound: 0
; FloatMode: 240
; IeeeMode: 1
; LDSByteSize: 0 bytes/workgroup (compile time only)
; SGPRBlocks: 0
; VGPRBlocks: 0
; NumSGPRsForWavesPerEU: 1
; NumVGPRsForWavesPerEU: 1
; Occupancy: 16
; WaveLimiterHint : 0
; COMPUTE_PGM_RSRC2:SCRATCH_EN: 0
; COMPUTE_PGM_RSRC2:USER_SGPR: 2
; COMPUTE_PGM_RSRC2:TRAP_HANDLER: 0
; COMPUTE_PGM_RSRC2:TGID_X_EN: 1
; COMPUTE_PGM_RSRC2:TGID_Y_EN: 0
; COMPUTE_PGM_RSRC2:TGID_Z_EN: 0
; COMPUTE_PGM_RSRC2:TIDIG_COMP_CNT: 0
	.section	.text._ZN7rocprim17ROCPRIM_400000_NS6detail17trampoline_kernelINS0_14default_configENS1_25partition_config_selectorILNS1_17partition_subalgoE6EdNS0_10empty_typeEbEEZZNS1_14partition_implILS5_6ELb0ES3_mN6thrust23THRUST_200600_302600_NS6detail15normal_iteratorINSA_10device_ptrIdEEEEPS6_SG_NS0_5tupleIJSF_S6_EEENSH_IJSG_SG_EEES6_PlJNSB_9not_fun_tI7is_trueIdEEEEEE10hipError_tPvRmT3_T4_T5_T6_T7_T9_mT8_P12ihipStream_tbDpT10_ENKUlT_T0_E_clISt17integral_constantIbLb1EES17_IbLb0EEEEDaS13_S14_EUlS13_E_NS1_11comp_targetILNS1_3genE10ELNS1_11target_archE1200ELNS1_3gpuE4ELNS1_3repE0EEENS1_30default_config_static_selectorELNS0_4arch9wavefront6targetE0EEEvT1_,"axG",@progbits,_ZN7rocprim17ROCPRIM_400000_NS6detail17trampoline_kernelINS0_14default_configENS1_25partition_config_selectorILNS1_17partition_subalgoE6EdNS0_10empty_typeEbEEZZNS1_14partition_implILS5_6ELb0ES3_mN6thrust23THRUST_200600_302600_NS6detail15normal_iteratorINSA_10device_ptrIdEEEEPS6_SG_NS0_5tupleIJSF_S6_EEENSH_IJSG_SG_EEES6_PlJNSB_9not_fun_tI7is_trueIdEEEEEE10hipError_tPvRmT3_T4_T5_T6_T7_T9_mT8_P12ihipStream_tbDpT10_ENKUlT_T0_E_clISt17integral_constantIbLb1EES17_IbLb0EEEEDaS13_S14_EUlS13_E_NS1_11comp_targetILNS1_3genE10ELNS1_11target_archE1200ELNS1_3gpuE4ELNS1_3repE0EEENS1_30default_config_static_selectorELNS0_4arch9wavefront6targetE0EEEvT1_,comdat
	.protected	_ZN7rocprim17ROCPRIM_400000_NS6detail17trampoline_kernelINS0_14default_configENS1_25partition_config_selectorILNS1_17partition_subalgoE6EdNS0_10empty_typeEbEEZZNS1_14partition_implILS5_6ELb0ES3_mN6thrust23THRUST_200600_302600_NS6detail15normal_iteratorINSA_10device_ptrIdEEEEPS6_SG_NS0_5tupleIJSF_S6_EEENSH_IJSG_SG_EEES6_PlJNSB_9not_fun_tI7is_trueIdEEEEEE10hipError_tPvRmT3_T4_T5_T6_T7_T9_mT8_P12ihipStream_tbDpT10_ENKUlT_T0_E_clISt17integral_constantIbLb1EES17_IbLb0EEEEDaS13_S14_EUlS13_E_NS1_11comp_targetILNS1_3genE10ELNS1_11target_archE1200ELNS1_3gpuE4ELNS1_3repE0EEENS1_30default_config_static_selectorELNS0_4arch9wavefront6targetE0EEEvT1_ ; -- Begin function _ZN7rocprim17ROCPRIM_400000_NS6detail17trampoline_kernelINS0_14default_configENS1_25partition_config_selectorILNS1_17partition_subalgoE6EdNS0_10empty_typeEbEEZZNS1_14partition_implILS5_6ELb0ES3_mN6thrust23THRUST_200600_302600_NS6detail15normal_iteratorINSA_10device_ptrIdEEEEPS6_SG_NS0_5tupleIJSF_S6_EEENSH_IJSG_SG_EEES6_PlJNSB_9not_fun_tI7is_trueIdEEEEEE10hipError_tPvRmT3_T4_T5_T6_T7_T9_mT8_P12ihipStream_tbDpT10_ENKUlT_T0_E_clISt17integral_constantIbLb1EES17_IbLb0EEEEDaS13_S14_EUlS13_E_NS1_11comp_targetILNS1_3genE10ELNS1_11target_archE1200ELNS1_3gpuE4ELNS1_3repE0EEENS1_30default_config_static_selectorELNS0_4arch9wavefront6targetE0EEEvT1_
	.globl	_ZN7rocprim17ROCPRIM_400000_NS6detail17trampoline_kernelINS0_14default_configENS1_25partition_config_selectorILNS1_17partition_subalgoE6EdNS0_10empty_typeEbEEZZNS1_14partition_implILS5_6ELb0ES3_mN6thrust23THRUST_200600_302600_NS6detail15normal_iteratorINSA_10device_ptrIdEEEEPS6_SG_NS0_5tupleIJSF_S6_EEENSH_IJSG_SG_EEES6_PlJNSB_9not_fun_tI7is_trueIdEEEEEE10hipError_tPvRmT3_T4_T5_T6_T7_T9_mT8_P12ihipStream_tbDpT10_ENKUlT_T0_E_clISt17integral_constantIbLb1EES17_IbLb0EEEEDaS13_S14_EUlS13_E_NS1_11comp_targetILNS1_3genE10ELNS1_11target_archE1200ELNS1_3gpuE4ELNS1_3repE0EEENS1_30default_config_static_selectorELNS0_4arch9wavefront6targetE0EEEvT1_
	.p2align	8
	.type	_ZN7rocprim17ROCPRIM_400000_NS6detail17trampoline_kernelINS0_14default_configENS1_25partition_config_selectorILNS1_17partition_subalgoE6EdNS0_10empty_typeEbEEZZNS1_14partition_implILS5_6ELb0ES3_mN6thrust23THRUST_200600_302600_NS6detail15normal_iteratorINSA_10device_ptrIdEEEEPS6_SG_NS0_5tupleIJSF_S6_EEENSH_IJSG_SG_EEES6_PlJNSB_9not_fun_tI7is_trueIdEEEEEE10hipError_tPvRmT3_T4_T5_T6_T7_T9_mT8_P12ihipStream_tbDpT10_ENKUlT_T0_E_clISt17integral_constantIbLb1EES17_IbLb0EEEEDaS13_S14_EUlS13_E_NS1_11comp_targetILNS1_3genE10ELNS1_11target_archE1200ELNS1_3gpuE4ELNS1_3repE0EEENS1_30default_config_static_selectorELNS0_4arch9wavefront6targetE0EEEvT1_,@function
_ZN7rocprim17ROCPRIM_400000_NS6detail17trampoline_kernelINS0_14default_configENS1_25partition_config_selectorILNS1_17partition_subalgoE6EdNS0_10empty_typeEbEEZZNS1_14partition_implILS5_6ELb0ES3_mN6thrust23THRUST_200600_302600_NS6detail15normal_iteratorINSA_10device_ptrIdEEEEPS6_SG_NS0_5tupleIJSF_S6_EEENSH_IJSG_SG_EEES6_PlJNSB_9not_fun_tI7is_trueIdEEEEEE10hipError_tPvRmT3_T4_T5_T6_T7_T9_mT8_P12ihipStream_tbDpT10_ENKUlT_T0_E_clISt17integral_constantIbLb1EES17_IbLb0EEEEDaS13_S14_EUlS13_E_NS1_11comp_targetILNS1_3genE10ELNS1_11target_archE1200ELNS1_3gpuE4ELNS1_3repE0EEENS1_30default_config_static_selectorELNS0_4arch9wavefront6targetE0EEEvT1_: ; @_ZN7rocprim17ROCPRIM_400000_NS6detail17trampoline_kernelINS0_14default_configENS1_25partition_config_selectorILNS1_17partition_subalgoE6EdNS0_10empty_typeEbEEZZNS1_14partition_implILS5_6ELb0ES3_mN6thrust23THRUST_200600_302600_NS6detail15normal_iteratorINSA_10device_ptrIdEEEEPS6_SG_NS0_5tupleIJSF_S6_EEENSH_IJSG_SG_EEES6_PlJNSB_9not_fun_tI7is_trueIdEEEEEE10hipError_tPvRmT3_T4_T5_T6_T7_T9_mT8_P12ihipStream_tbDpT10_ENKUlT_T0_E_clISt17integral_constantIbLb1EES17_IbLb0EEEEDaS13_S14_EUlS13_E_NS1_11comp_targetILNS1_3genE10ELNS1_11target_archE1200ELNS1_3gpuE4ELNS1_3repE0EEENS1_30default_config_static_selectorELNS0_4arch9wavefront6targetE0EEEvT1_
; %bb.0:
	s_endpgm
	.section	.rodata,"a",@progbits
	.p2align	6, 0x0
	.amdhsa_kernel _ZN7rocprim17ROCPRIM_400000_NS6detail17trampoline_kernelINS0_14default_configENS1_25partition_config_selectorILNS1_17partition_subalgoE6EdNS0_10empty_typeEbEEZZNS1_14partition_implILS5_6ELb0ES3_mN6thrust23THRUST_200600_302600_NS6detail15normal_iteratorINSA_10device_ptrIdEEEEPS6_SG_NS0_5tupleIJSF_S6_EEENSH_IJSG_SG_EEES6_PlJNSB_9not_fun_tI7is_trueIdEEEEEE10hipError_tPvRmT3_T4_T5_T6_T7_T9_mT8_P12ihipStream_tbDpT10_ENKUlT_T0_E_clISt17integral_constantIbLb1EES17_IbLb0EEEEDaS13_S14_EUlS13_E_NS1_11comp_targetILNS1_3genE10ELNS1_11target_archE1200ELNS1_3gpuE4ELNS1_3repE0EEENS1_30default_config_static_selectorELNS0_4arch9wavefront6targetE0EEEvT1_
		.amdhsa_group_segment_fixed_size 0
		.amdhsa_private_segment_fixed_size 0
		.amdhsa_kernarg_size 112
		.amdhsa_user_sgpr_count 2
		.amdhsa_user_sgpr_dispatch_ptr 0
		.amdhsa_user_sgpr_queue_ptr 0
		.amdhsa_user_sgpr_kernarg_segment_ptr 1
		.amdhsa_user_sgpr_dispatch_id 0
		.amdhsa_user_sgpr_private_segment_size 0
		.amdhsa_wavefront_size32 1
		.amdhsa_uses_dynamic_stack 0
		.amdhsa_enable_private_segment 0
		.amdhsa_system_sgpr_workgroup_id_x 1
		.amdhsa_system_sgpr_workgroup_id_y 0
		.amdhsa_system_sgpr_workgroup_id_z 0
		.amdhsa_system_sgpr_workgroup_info 0
		.amdhsa_system_vgpr_workitem_id 0
		.amdhsa_next_free_vgpr 1
		.amdhsa_next_free_sgpr 1
		.amdhsa_reserve_vcc 0
		.amdhsa_float_round_mode_32 0
		.amdhsa_float_round_mode_16_64 0
		.amdhsa_float_denorm_mode_32 3
		.amdhsa_float_denorm_mode_16_64 3
		.amdhsa_fp16_overflow 0
		.amdhsa_workgroup_processor_mode 1
		.amdhsa_memory_ordered 1
		.amdhsa_forward_progress 1
		.amdhsa_inst_pref_size 1
		.amdhsa_round_robin_scheduling 0
		.amdhsa_exception_fp_ieee_invalid_op 0
		.amdhsa_exception_fp_denorm_src 0
		.amdhsa_exception_fp_ieee_div_zero 0
		.amdhsa_exception_fp_ieee_overflow 0
		.amdhsa_exception_fp_ieee_underflow 0
		.amdhsa_exception_fp_ieee_inexact 0
		.amdhsa_exception_int_div_zero 0
	.end_amdhsa_kernel
	.section	.text._ZN7rocprim17ROCPRIM_400000_NS6detail17trampoline_kernelINS0_14default_configENS1_25partition_config_selectorILNS1_17partition_subalgoE6EdNS0_10empty_typeEbEEZZNS1_14partition_implILS5_6ELb0ES3_mN6thrust23THRUST_200600_302600_NS6detail15normal_iteratorINSA_10device_ptrIdEEEEPS6_SG_NS0_5tupleIJSF_S6_EEENSH_IJSG_SG_EEES6_PlJNSB_9not_fun_tI7is_trueIdEEEEEE10hipError_tPvRmT3_T4_T5_T6_T7_T9_mT8_P12ihipStream_tbDpT10_ENKUlT_T0_E_clISt17integral_constantIbLb1EES17_IbLb0EEEEDaS13_S14_EUlS13_E_NS1_11comp_targetILNS1_3genE10ELNS1_11target_archE1200ELNS1_3gpuE4ELNS1_3repE0EEENS1_30default_config_static_selectorELNS0_4arch9wavefront6targetE0EEEvT1_,"axG",@progbits,_ZN7rocprim17ROCPRIM_400000_NS6detail17trampoline_kernelINS0_14default_configENS1_25partition_config_selectorILNS1_17partition_subalgoE6EdNS0_10empty_typeEbEEZZNS1_14partition_implILS5_6ELb0ES3_mN6thrust23THRUST_200600_302600_NS6detail15normal_iteratorINSA_10device_ptrIdEEEEPS6_SG_NS0_5tupleIJSF_S6_EEENSH_IJSG_SG_EEES6_PlJNSB_9not_fun_tI7is_trueIdEEEEEE10hipError_tPvRmT3_T4_T5_T6_T7_T9_mT8_P12ihipStream_tbDpT10_ENKUlT_T0_E_clISt17integral_constantIbLb1EES17_IbLb0EEEEDaS13_S14_EUlS13_E_NS1_11comp_targetILNS1_3genE10ELNS1_11target_archE1200ELNS1_3gpuE4ELNS1_3repE0EEENS1_30default_config_static_selectorELNS0_4arch9wavefront6targetE0EEEvT1_,comdat
.Lfunc_end1066:
	.size	_ZN7rocprim17ROCPRIM_400000_NS6detail17trampoline_kernelINS0_14default_configENS1_25partition_config_selectorILNS1_17partition_subalgoE6EdNS0_10empty_typeEbEEZZNS1_14partition_implILS5_6ELb0ES3_mN6thrust23THRUST_200600_302600_NS6detail15normal_iteratorINSA_10device_ptrIdEEEEPS6_SG_NS0_5tupleIJSF_S6_EEENSH_IJSG_SG_EEES6_PlJNSB_9not_fun_tI7is_trueIdEEEEEE10hipError_tPvRmT3_T4_T5_T6_T7_T9_mT8_P12ihipStream_tbDpT10_ENKUlT_T0_E_clISt17integral_constantIbLb1EES17_IbLb0EEEEDaS13_S14_EUlS13_E_NS1_11comp_targetILNS1_3genE10ELNS1_11target_archE1200ELNS1_3gpuE4ELNS1_3repE0EEENS1_30default_config_static_selectorELNS0_4arch9wavefront6targetE0EEEvT1_, .Lfunc_end1066-_ZN7rocprim17ROCPRIM_400000_NS6detail17trampoline_kernelINS0_14default_configENS1_25partition_config_selectorILNS1_17partition_subalgoE6EdNS0_10empty_typeEbEEZZNS1_14partition_implILS5_6ELb0ES3_mN6thrust23THRUST_200600_302600_NS6detail15normal_iteratorINSA_10device_ptrIdEEEEPS6_SG_NS0_5tupleIJSF_S6_EEENSH_IJSG_SG_EEES6_PlJNSB_9not_fun_tI7is_trueIdEEEEEE10hipError_tPvRmT3_T4_T5_T6_T7_T9_mT8_P12ihipStream_tbDpT10_ENKUlT_T0_E_clISt17integral_constantIbLb1EES17_IbLb0EEEEDaS13_S14_EUlS13_E_NS1_11comp_targetILNS1_3genE10ELNS1_11target_archE1200ELNS1_3gpuE4ELNS1_3repE0EEENS1_30default_config_static_selectorELNS0_4arch9wavefront6targetE0EEEvT1_
                                        ; -- End function
	.set _ZN7rocprim17ROCPRIM_400000_NS6detail17trampoline_kernelINS0_14default_configENS1_25partition_config_selectorILNS1_17partition_subalgoE6EdNS0_10empty_typeEbEEZZNS1_14partition_implILS5_6ELb0ES3_mN6thrust23THRUST_200600_302600_NS6detail15normal_iteratorINSA_10device_ptrIdEEEEPS6_SG_NS0_5tupleIJSF_S6_EEENSH_IJSG_SG_EEES6_PlJNSB_9not_fun_tI7is_trueIdEEEEEE10hipError_tPvRmT3_T4_T5_T6_T7_T9_mT8_P12ihipStream_tbDpT10_ENKUlT_T0_E_clISt17integral_constantIbLb1EES17_IbLb0EEEEDaS13_S14_EUlS13_E_NS1_11comp_targetILNS1_3genE10ELNS1_11target_archE1200ELNS1_3gpuE4ELNS1_3repE0EEENS1_30default_config_static_selectorELNS0_4arch9wavefront6targetE0EEEvT1_.num_vgpr, 0
	.set _ZN7rocprim17ROCPRIM_400000_NS6detail17trampoline_kernelINS0_14default_configENS1_25partition_config_selectorILNS1_17partition_subalgoE6EdNS0_10empty_typeEbEEZZNS1_14partition_implILS5_6ELb0ES3_mN6thrust23THRUST_200600_302600_NS6detail15normal_iteratorINSA_10device_ptrIdEEEEPS6_SG_NS0_5tupleIJSF_S6_EEENSH_IJSG_SG_EEES6_PlJNSB_9not_fun_tI7is_trueIdEEEEEE10hipError_tPvRmT3_T4_T5_T6_T7_T9_mT8_P12ihipStream_tbDpT10_ENKUlT_T0_E_clISt17integral_constantIbLb1EES17_IbLb0EEEEDaS13_S14_EUlS13_E_NS1_11comp_targetILNS1_3genE10ELNS1_11target_archE1200ELNS1_3gpuE4ELNS1_3repE0EEENS1_30default_config_static_selectorELNS0_4arch9wavefront6targetE0EEEvT1_.num_agpr, 0
	.set _ZN7rocprim17ROCPRIM_400000_NS6detail17trampoline_kernelINS0_14default_configENS1_25partition_config_selectorILNS1_17partition_subalgoE6EdNS0_10empty_typeEbEEZZNS1_14partition_implILS5_6ELb0ES3_mN6thrust23THRUST_200600_302600_NS6detail15normal_iteratorINSA_10device_ptrIdEEEEPS6_SG_NS0_5tupleIJSF_S6_EEENSH_IJSG_SG_EEES6_PlJNSB_9not_fun_tI7is_trueIdEEEEEE10hipError_tPvRmT3_T4_T5_T6_T7_T9_mT8_P12ihipStream_tbDpT10_ENKUlT_T0_E_clISt17integral_constantIbLb1EES17_IbLb0EEEEDaS13_S14_EUlS13_E_NS1_11comp_targetILNS1_3genE10ELNS1_11target_archE1200ELNS1_3gpuE4ELNS1_3repE0EEENS1_30default_config_static_selectorELNS0_4arch9wavefront6targetE0EEEvT1_.numbered_sgpr, 0
	.set _ZN7rocprim17ROCPRIM_400000_NS6detail17trampoline_kernelINS0_14default_configENS1_25partition_config_selectorILNS1_17partition_subalgoE6EdNS0_10empty_typeEbEEZZNS1_14partition_implILS5_6ELb0ES3_mN6thrust23THRUST_200600_302600_NS6detail15normal_iteratorINSA_10device_ptrIdEEEEPS6_SG_NS0_5tupleIJSF_S6_EEENSH_IJSG_SG_EEES6_PlJNSB_9not_fun_tI7is_trueIdEEEEEE10hipError_tPvRmT3_T4_T5_T6_T7_T9_mT8_P12ihipStream_tbDpT10_ENKUlT_T0_E_clISt17integral_constantIbLb1EES17_IbLb0EEEEDaS13_S14_EUlS13_E_NS1_11comp_targetILNS1_3genE10ELNS1_11target_archE1200ELNS1_3gpuE4ELNS1_3repE0EEENS1_30default_config_static_selectorELNS0_4arch9wavefront6targetE0EEEvT1_.num_named_barrier, 0
	.set _ZN7rocprim17ROCPRIM_400000_NS6detail17trampoline_kernelINS0_14default_configENS1_25partition_config_selectorILNS1_17partition_subalgoE6EdNS0_10empty_typeEbEEZZNS1_14partition_implILS5_6ELb0ES3_mN6thrust23THRUST_200600_302600_NS6detail15normal_iteratorINSA_10device_ptrIdEEEEPS6_SG_NS0_5tupleIJSF_S6_EEENSH_IJSG_SG_EEES6_PlJNSB_9not_fun_tI7is_trueIdEEEEEE10hipError_tPvRmT3_T4_T5_T6_T7_T9_mT8_P12ihipStream_tbDpT10_ENKUlT_T0_E_clISt17integral_constantIbLb1EES17_IbLb0EEEEDaS13_S14_EUlS13_E_NS1_11comp_targetILNS1_3genE10ELNS1_11target_archE1200ELNS1_3gpuE4ELNS1_3repE0EEENS1_30default_config_static_selectorELNS0_4arch9wavefront6targetE0EEEvT1_.private_seg_size, 0
	.set _ZN7rocprim17ROCPRIM_400000_NS6detail17trampoline_kernelINS0_14default_configENS1_25partition_config_selectorILNS1_17partition_subalgoE6EdNS0_10empty_typeEbEEZZNS1_14partition_implILS5_6ELb0ES3_mN6thrust23THRUST_200600_302600_NS6detail15normal_iteratorINSA_10device_ptrIdEEEEPS6_SG_NS0_5tupleIJSF_S6_EEENSH_IJSG_SG_EEES6_PlJNSB_9not_fun_tI7is_trueIdEEEEEE10hipError_tPvRmT3_T4_T5_T6_T7_T9_mT8_P12ihipStream_tbDpT10_ENKUlT_T0_E_clISt17integral_constantIbLb1EES17_IbLb0EEEEDaS13_S14_EUlS13_E_NS1_11comp_targetILNS1_3genE10ELNS1_11target_archE1200ELNS1_3gpuE4ELNS1_3repE0EEENS1_30default_config_static_selectorELNS0_4arch9wavefront6targetE0EEEvT1_.uses_vcc, 0
	.set _ZN7rocprim17ROCPRIM_400000_NS6detail17trampoline_kernelINS0_14default_configENS1_25partition_config_selectorILNS1_17partition_subalgoE6EdNS0_10empty_typeEbEEZZNS1_14partition_implILS5_6ELb0ES3_mN6thrust23THRUST_200600_302600_NS6detail15normal_iteratorINSA_10device_ptrIdEEEEPS6_SG_NS0_5tupleIJSF_S6_EEENSH_IJSG_SG_EEES6_PlJNSB_9not_fun_tI7is_trueIdEEEEEE10hipError_tPvRmT3_T4_T5_T6_T7_T9_mT8_P12ihipStream_tbDpT10_ENKUlT_T0_E_clISt17integral_constantIbLb1EES17_IbLb0EEEEDaS13_S14_EUlS13_E_NS1_11comp_targetILNS1_3genE10ELNS1_11target_archE1200ELNS1_3gpuE4ELNS1_3repE0EEENS1_30default_config_static_selectorELNS0_4arch9wavefront6targetE0EEEvT1_.uses_flat_scratch, 0
	.set _ZN7rocprim17ROCPRIM_400000_NS6detail17trampoline_kernelINS0_14default_configENS1_25partition_config_selectorILNS1_17partition_subalgoE6EdNS0_10empty_typeEbEEZZNS1_14partition_implILS5_6ELb0ES3_mN6thrust23THRUST_200600_302600_NS6detail15normal_iteratorINSA_10device_ptrIdEEEEPS6_SG_NS0_5tupleIJSF_S6_EEENSH_IJSG_SG_EEES6_PlJNSB_9not_fun_tI7is_trueIdEEEEEE10hipError_tPvRmT3_T4_T5_T6_T7_T9_mT8_P12ihipStream_tbDpT10_ENKUlT_T0_E_clISt17integral_constantIbLb1EES17_IbLb0EEEEDaS13_S14_EUlS13_E_NS1_11comp_targetILNS1_3genE10ELNS1_11target_archE1200ELNS1_3gpuE4ELNS1_3repE0EEENS1_30default_config_static_selectorELNS0_4arch9wavefront6targetE0EEEvT1_.has_dyn_sized_stack, 0
	.set _ZN7rocprim17ROCPRIM_400000_NS6detail17trampoline_kernelINS0_14default_configENS1_25partition_config_selectorILNS1_17partition_subalgoE6EdNS0_10empty_typeEbEEZZNS1_14partition_implILS5_6ELb0ES3_mN6thrust23THRUST_200600_302600_NS6detail15normal_iteratorINSA_10device_ptrIdEEEEPS6_SG_NS0_5tupleIJSF_S6_EEENSH_IJSG_SG_EEES6_PlJNSB_9not_fun_tI7is_trueIdEEEEEE10hipError_tPvRmT3_T4_T5_T6_T7_T9_mT8_P12ihipStream_tbDpT10_ENKUlT_T0_E_clISt17integral_constantIbLb1EES17_IbLb0EEEEDaS13_S14_EUlS13_E_NS1_11comp_targetILNS1_3genE10ELNS1_11target_archE1200ELNS1_3gpuE4ELNS1_3repE0EEENS1_30default_config_static_selectorELNS0_4arch9wavefront6targetE0EEEvT1_.has_recursion, 0
	.set _ZN7rocprim17ROCPRIM_400000_NS6detail17trampoline_kernelINS0_14default_configENS1_25partition_config_selectorILNS1_17partition_subalgoE6EdNS0_10empty_typeEbEEZZNS1_14partition_implILS5_6ELb0ES3_mN6thrust23THRUST_200600_302600_NS6detail15normal_iteratorINSA_10device_ptrIdEEEEPS6_SG_NS0_5tupleIJSF_S6_EEENSH_IJSG_SG_EEES6_PlJNSB_9not_fun_tI7is_trueIdEEEEEE10hipError_tPvRmT3_T4_T5_T6_T7_T9_mT8_P12ihipStream_tbDpT10_ENKUlT_T0_E_clISt17integral_constantIbLb1EES17_IbLb0EEEEDaS13_S14_EUlS13_E_NS1_11comp_targetILNS1_3genE10ELNS1_11target_archE1200ELNS1_3gpuE4ELNS1_3repE0EEENS1_30default_config_static_selectorELNS0_4arch9wavefront6targetE0EEEvT1_.has_indirect_call, 0
	.section	.AMDGPU.csdata,"",@progbits
; Kernel info:
; codeLenInByte = 4
; TotalNumSgprs: 0
; NumVgprs: 0
; ScratchSize: 0
; MemoryBound: 0
; FloatMode: 240
; IeeeMode: 1
; LDSByteSize: 0 bytes/workgroup (compile time only)
; SGPRBlocks: 0
; VGPRBlocks: 0
; NumSGPRsForWavesPerEU: 1
; NumVGPRsForWavesPerEU: 1
; Occupancy: 16
; WaveLimiterHint : 0
; COMPUTE_PGM_RSRC2:SCRATCH_EN: 0
; COMPUTE_PGM_RSRC2:USER_SGPR: 2
; COMPUTE_PGM_RSRC2:TRAP_HANDLER: 0
; COMPUTE_PGM_RSRC2:TGID_X_EN: 1
; COMPUTE_PGM_RSRC2:TGID_Y_EN: 0
; COMPUTE_PGM_RSRC2:TGID_Z_EN: 0
; COMPUTE_PGM_RSRC2:TIDIG_COMP_CNT: 0
	.section	.text._ZN7rocprim17ROCPRIM_400000_NS6detail17trampoline_kernelINS0_14default_configENS1_25partition_config_selectorILNS1_17partition_subalgoE6EdNS0_10empty_typeEbEEZZNS1_14partition_implILS5_6ELb0ES3_mN6thrust23THRUST_200600_302600_NS6detail15normal_iteratorINSA_10device_ptrIdEEEEPS6_SG_NS0_5tupleIJSF_S6_EEENSH_IJSG_SG_EEES6_PlJNSB_9not_fun_tI7is_trueIdEEEEEE10hipError_tPvRmT3_T4_T5_T6_T7_T9_mT8_P12ihipStream_tbDpT10_ENKUlT_T0_E_clISt17integral_constantIbLb1EES17_IbLb0EEEEDaS13_S14_EUlS13_E_NS1_11comp_targetILNS1_3genE9ELNS1_11target_archE1100ELNS1_3gpuE3ELNS1_3repE0EEENS1_30default_config_static_selectorELNS0_4arch9wavefront6targetE0EEEvT1_,"axG",@progbits,_ZN7rocprim17ROCPRIM_400000_NS6detail17trampoline_kernelINS0_14default_configENS1_25partition_config_selectorILNS1_17partition_subalgoE6EdNS0_10empty_typeEbEEZZNS1_14partition_implILS5_6ELb0ES3_mN6thrust23THRUST_200600_302600_NS6detail15normal_iteratorINSA_10device_ptrIdEEEEPS6_SG_NS0_5tupleIJSF_S6_EEENSH_IJSG_SG_EEES6_PlJNSB_9not_fun_tI7is_trueIdEEEEEE10hipError_tPvRmT3_T4_T5_T6_T7_T9_mT8_P12ihipStream_tbDpT10_ENKUlT_T0_E_clISt17integral_constantIbLb1EES17_IbLb0EEEEDaS13_S14_EUlS13_E_NS1_11comp_targetILNS1_3genE9ELNS1_11target_archE1100ELNS1_3gpuE3ELNS1_3repE0EEENS1_30default_config_static_selectorELNS0_4arch9wavefront6targetE0EEEvT1_,comdat
	.protected	_ZN7rocprim17ROCPRIM_400000_NS6detail17trampoline_kernelINS0_14default_configENS1_25partition_config_selectorILNS1_17partition_subalgoE6EdNS0_10empty_typeEbEEZZNS1_14partition_implILS5_6ELb0ES3_mN6thrust23THRUST_200600_302600_NS6detail15normal_iteratorINSA_10device_ptrIdEEEEPS6_SG_NS0_5tupleIJSF_S6_EEENSH_IJSG_SG_EEES6_PlJNSB_9not_fun_tI7is_trueIdEEEEEE10hipError_tPvRmT3_T4_T5_T6_T7_T9_mT8_P12ihipStream_tbDpT10_ENKUlT_T0_E_clISt17integral_constantIbLb1EES17_IbLb0EEEEDaS13_S14_EUlS13_E_NS1_11comp_targetILNS1_3genE9ELNS1_11target_archE1100ELNS1_3gpuE3ELNS1_3repE0EEENS1_30default_config_static_selectorELNS0_4arch9wavefront6targetE0EEEvT1_ ; -- Begin function _ZN7rocprim17ROCPRIM_400000_NS6detail17trampoline_kernelINS0_14default_configENS1_25partition_config_selectorILNS1_17partition_subalgoE6EdNS0_10empty_typeEbEEZZNS1_14partition_implILS5_6ELb0ES3_mN6thrust23THRUST_200600_302600_NS6detail15normal_iteratorINSA_10device_ptrIdEEEEPS6_SG_NS0_5tupleIJSF_S6_EEENSH_IJSG_SG_EEES6_PlJNSB_9not_fun_tI7is_trueIdEEEEEE10hipError_tPvRmT3_T4_T5_T6_T7_T9_mT8_P12ihipStream_tbDpT10_ENKUlT_T0_E_clISt17integral_constantIbLb1EES17_IbLb0EEEEDaS13_S14_EUlS13_E_NS1_11comp_targetILNS1_3genE9ELNS1_11target_archE1100ELNS1_3gpuE3ELNS1_3repE0EEENS1_30default_config_static_selectorELNS0_4arch9wavefront6targetE0EEEvT1_
	.globl	_ZN7rocprim17ROCPRIM_400000_NS6detail17trampoline_kernelINS0_14default_configENS1_25partition_config_selectorILNS1_17partition_subalgoE6EdNS0_10empty_typeEbEEZZNS1_14partition_implILS5_6ELb0ES3_mN6thrust23THRUST_200600_302600_NS6detail15normal_iteratorINSA_10device_ptrIdEEEEPS6_SG_NS0_5tupleIJSF_S6_EEENSH_IJSG_SG_EEES6_PlJNSB_9not_fun_tI7is_trueIdEEEEEE10hipError_tPvRmT3_T4_T5_T6_T7_T9_mT8_P12ihipStream_tbDpT10_ENKUlT_T0_E_clISt17integral_constantIbLb1EES17_IbLb0EEEEDaS13_S14_EUlS13_E_NS1_11comp_targetILNS1_3genE9ELNS1_11target_archE1100ELNS1_3gpuE3ELNS1_3repE0EEENS1_30default_config_static_selectorELNS0_4arch9wavefront6targetE0EEEvT1_
	.p2align	8
	.type	_ZN7rocprim17ROCPRIM_400000_NS6detail17trampoline_kernelINS0_14default_configENS1_25partition_config_selectorILNS1_17partition_subalgoE6EdNS0_10empty_typeEbEEZZNS1_14partition_implILS5_6ELb0ES3_mN6thrust23THRUST_200600_302600_NS6detail15normal_iteratorINSA_10device_ptrIdEEEEPS6_SG_NS0_5tupleIJSF_S6_EEENSH_IJSG_SG_EEES6_PlJNSB_9not_fun_tI7is_trueIdEEEEEE10hipError_tPvRmT3_T4_T5_T6_T7_T9_mT8_P12ihipStream_tbDpT10_ENKUlT_T0_E_clISt17integral_constantIbLb1EES17_IbLb0EEEEDaS13_S14_EUlS13_E_NS1_11comp_targetILNS1_3genE9ELNS1_11target_archE1100ELNS1_3gpuE3ELNS1_3repE0EEENS1_30default_config_static_selectorELNS0_4arch9wavefront6targetE0EEEvT1_,@function
_ZN7rocprim17ROCPRIM_400000_NS6detail17trampoline_kernelINS0_14default_configENS1_25partition_config_selectorILNS1_17partition_subalgoE6EdNS0_10empty_typeEbEEZZNS1_14partition_implILS5_6ELb0ES3_mN6thrust23THRUST_200600_302600_NS6detail15normal_iteratorINSA_10device_ptrIdEEEEPS6_SG_NS0_5tupleIJSF_S6_EEENSH_IJSG_SG_EEES6_PlJNSB_9not_fun_tI7is_trueIdEEEEEE10hipError_tPvRmT3_T4_T5_T6_T7_T9_mT8_P12ihipStream_tbDpT10_ENKUlT_T0_E_clISt17integral_constantIbLb1EES17_IbLb0EEEEDaS13_S14_EUlS13_E_NS1_11comp_targetILNS1_3genE9ELNS1_11target_archE1100ELNS1_3gpuE3ELNS1_3repE0EEENS1_30default_config_static_selectorELNS0_4arch9wavefront6targetE0EEEvT1_: ; @_ZN7rocprim17ROCPRIM_400000_NS6detail17trampoline_kernelINS0_14default_configENS1_25partition_config_selectorILNS1_17partition_subalgoE6EdNS0_10empty_typeEbEEZZNS1_14partition_implILS5_6ELb0ES3_mN6thrust23THRUST_200600_302600_NS6detail15normal_iteratorINSA_10device_ptrIdEEEEPS6_SG_NS0_5tupleIJSF_S6_EEENSH_IJSG_SG_EEES6_PlJNSB_9not_fun_tI7is_trueIdEEEEEE10hipError_tPvRmT3_T4_T5_T6_T7_T9_mT8_P12ihipStream_tbDpT10_ENKUlT_T0_E_clISt17integral_constantIbLb1EES17_IbLb0EEEEDaS13_S14_EUlS13_E_NS1_11comp_targetILNS1_3genE9ELNS1_11target_archE1100ELNS1_3gpuE3ELNS1_3repE0EEENS1_30default_config_static_selectorELNS0_4arch9wavefront6targetE0EEEvT1_
; %bb.0:
	.section	.rodata,"a",@progbits
	.p2align	6, 0x0
	.amdhsa_kernel _ZN7rocprim17ROCPRIM_400000_NS6detail17trampoline_kernelINS0_14default_configENS1_25partition_config_selectorILNS1_17partition_subalgoE6EdNS0_10empty_typeEbEEZZNS1_14partition_implILS5_6ELb0ES3_mN6thrust23THRUST_200600_302600_NS6detail15normal_iteratorINSA_10device_ptrIdEEEEPS6_SG_NS0_5tupleIJSF_S6_EEENSH_IJSG_SG_EEES6_PlJNSB_9not_fun_tI7is_trueIdEEEEEE10hipError_tPvRmT3_T4_T5_T6_T7_T9_mT8_P12ihipStream_tbDpT10_ENKUlT_T0_E_clISt17integral_constantIbLb1EES17_IbLb0EEEEDaS13_S14_EUlS13_E_NS1_11comp_targetILNS1_3genE9ELNS1_11target_archE1100ELNS1_3gpuE3ELNS1_3repE0EEENS1_30default_config_static_selectorELNS0_4arch9wavefront6targetE0EEEvT1_
		.amdhsa_group_segment_fixed_size 0
		.amdhsa_private_segment_fixed_size 0
		.amdhsa_kernarg_size 112
		.amdhsa_user_sgpr_count 2
		.amdhsa_user_sgpr_dispatch_ptr 0
		.amdhsa_user_sgpr_queue_ptr 0
		.amdhsa_user_sgpr_kernarg_segment_ptr 1
		.amdhsa_user_sgpr_dispatch_id 0
		.amdhsa_user_sgpr_private_segment_size 0
		.amdhsa_wavefront_size32 1
		.amdhsa_uses_dynamic_stack 0
		.amdhsa_enable_private_segment 0
		.amdhsa_system_sgpr_workgroup_id_x 1
		.amdhsa_system_sgpr_workgroup_id_y 0
		.amdhsa_system_sgpr_workgroup_id_z 0
		.amdhsa_system_sgpr_workgroup_info 0
		.amdhsa_system_vgpr_workitem_id 0
		.amdhsa_next_free_vgpr 1
		.amdhsa_next_free_sgpr 1
		.amdhsa_reserve_vcc 0
		.amdhsa_float_round_mode_32 0
		.amdhsa_float_round_mode_16_64 0
		.amdhsa_float_denorm_mode_32 3
		.amdhsa_float_denorm_mode_16_64 3
		.amdhsa_fp16_overflow 0
		.amdhsa_workgroup_processor_mode 1
		.amdhsa_memory_ordered 1
		.amdhsa_forward_progress 1
		.amdhsa_inst_pref_size 0
		.amdhsa_round_robin_scheduling 0
		.amdhsa_exception_fp_ieee_invalid_op 0
		.amdhsa_exception_fp_denorm_src 0
		.amdhsa_exception_fp_ieee_div_zero 0
		.amdhsa_exception_fp_ieee_overflow 0
		.amdhsa_exception_fp_ieee_underflow 0
		.amdhsa_exception_fp_ieee_inexact 0
		.amdhsa_exception_int_div_zero 0
	.end_amdhsa_kernel
	.section	.text._ZN7rocprim17ROCPRIM_400000_NS6detail17trampoline_kernelINS0_14default_configENS1_25partition_config_selectorILNS1_17partition_subalgoE6EdNS0_10empty_typeEbEEZZNS1_14partition_implILS5_6ELb0ES3_mN6thrust23THRUST_200600_302600_NS6detail15normal_iteratorINSA_10device_ptrIdEEEEPS6_SG_NS0_5tupleIJSF_S6_EEENSH_IJSG_SG_EEES6_PlJNSB_9not_fun_tI7is_trueIdEEEEEE10hipError_tPvRmT3_T4_T5_T6_T7_T9_mT8_P12ihipStream_tbDpT10_ENKUlT_T0_E_clISt17integral_constantIbLb1EES17_IbLb0EEEEDaS13_S14_EUlS13_E_NS1_11comp_targetILNS1_3genE9ELNS1_11target_archE1100ELNS1_3gpuE3ELNS1_3repE0EEENS1_30default_config_static_selectorELNS0_4arch9wavefront6targetE0EEEvT1_,"axG",@progbits,_ZN7rocprim17ROCPRIM_400000_NS6detail17trampoline_kernelINS0_14default_configENS1_25partition_config_selectorILNS1_17partition_subalgoE6EdNS0_10empty_typeEbEEZZNS1_14partition_implILS5_6ELb0ES3_mN6thrust23THRUST_200600_302600_NS6detail15normal_iteratorINSA_10device_ptrIdEEEEPS6_SG_NS0_5tupleIJSF_S6_EEENSH_IJSG_SG_EEES6_PlJNSB_9not_fun_tI7is_trueIdEEEEEE10hipError_tPvRmT3_T4_T5_T6_T7_T9_mT8_P12ihipStream_tbDpT10_ENKUlT_T0_E_clISt17integral_constantIbLb1EES17_IbLb0EEEEDaS13_S14_EUlS13_E_NS1_11comp_targetILNS1_3genE9ELNS1_11target_archE1100ELNS1_3gpuE3ELNS1_3repE0EEENS1_30default_config_static_selectorELNS0_4arch9wavefront6targetE0EEEvT1_,comdat
.Lfunc_end1067:
	.size	_ZN7rocprim17ROCPRIM_400000_NS6detail17trampoline_kernelINS0_14default_configENS1_25partition_config_selectorILNS1_17partition_subalgoE6EdNS0_10empty_typeEbEEZZNS1_14partition_implILS5_6ELb0ES3_mN6thrust23THRUST_200600_302600_NS6detail15normal_iteratorINSA_10device_ptrIdEEEEPS6_SG_NS0_5tupleIJSF_S6_EEENSH_IJSG_SG_EEES6_PlJNSB_9not_fun_tI7is_trueIdEEEEEE10hipError_tPvRmT3_T4_T5_T6_T7_T9_mT8_P12ihipStream_tbDpT10_ENKUlT_T0_E_clISt17integral_constantIbLb1EES17_IbLb0EEEEDaS13_S14_EUlS13_E_NS1_11comp_targetILNS1_3genE9ELNS1_11target_archE1100ELNS1_3gpuE3ELNS1_3repE0EEENS1_30default_config_static_selectorELNS0_4arch9wavefront6targetE0EEEvT1_, .Lfunc_end1067-_ZN7rocprim17ROCPRIM_400000_NS6detail17trampoline_kernelINS0_14default_configENS1_25partition_config_selectorILNS1_17partition_subalgoE6EdNS0_10empty_typeEbEEZZNS1_14partition_implILS5_6ELb0ES3_mN6thrust23THRUST_200600_302600_NS6detail15normal_iteratorINSA_10device_ptrIdEEEEPS6_SG_NS0_5tupleIJSF_S6_EEENSH_IJSG_SG_EEES6_PlJNSB_9not_fun_tI7is_trueIdEEEEEE10hipError_tPvRmT3_T4_T5_T6_T7_T9_mT8_P12ihipStream_tbDpT10_ENKUlT_T0_E_clISt17integral_constantIbLb1EES17_IbLb0EEEEDaS13_S14_EUlS13_E_NS1_11comp_targetILNS1_3genE9ELNS1_11target_archE1100ELNS1_3gpuE3ELNS1_3repE0EEENS1_30default_config_static_selectorELNS0_4arch9wavefront6targetE0EEEvT1_
                                        ; -- End function
	.set _ZN7rocprim17ROCPRIM_400000_NS6detail17trampoline_kernelINS0_14default_configENS1_25partition_config_selectorILNS1_17partition_subalgoE6EdNS0_10empty_typeEbEEZZNS1_14partition_implILS5_6ELb0ES3_mN6thrust23THRUST_200600_302600_NS6detail15normal_iteratorINSA_10device_ptrIdEEEEPS6_SG_NS0_5tupleIJSF_S6_EEENSH_IJSG_SG_EEES6_PlJNSB_9not_fun_tI7is_trueIdEEEEEE10hipError_tPvRmT3_T4_T5_T6_T7_T9_mT8_P12ihipStream_tbDpT10_ENKUlT_T0_E_clISt17integral_constantIbLb1EES17_IbLb0EEEEDaS13_S14_EUlS13_E_NS1_11comp_targetILNS1_3genE9ELNS1_11target_archE1100ELNS1_3gpuE3ELNS1_3repE0EEENS1_30default_config_static_selectorELNS0_4arch9wavefront6targetE0EEEvT1_.num_vgpr, 0
	.set _ZN7rocprim17ROCPRIM_400000_NS6detail17trampoline_kernelINS0_14default_configENS1_25partition_config_selectorILNS1_17partition_subalgoE6EdNS0_10empty_typeEbEEZZNS1_14partition_implILS5_6ELb0ES3_mN6thrust23THRUST_200600_302600_NS6detail15normal_iteratorINSA_10device_ptrIdEEEEPS6_SG_NS0_5tupleIJSF_S6_EEENSH_IJSG_SG_EEES6_PlJNSB_9not_fun_tI7is_trueIdEEEEEE10hipError_tPvRmT3_T4_T5_T6_T7_T9_mT8_P12ihipStream_tbDpT10_ENKUlT_T0_E_clISt17integral_constantIbLb1EES17_IbLb0EEEEDaS13_S14_EUlS13_E_NS1_11comp_targetILNS1_3genE9ELNS1_11target_archE1100ELNS1_3gpuE3ELNS1_3repE0EEENS1_30default_config_static_selectorELNS0_4arch9wavefront6targetE0EEEvT1_.num_agpr, 0
	.set _ZN7rocprim17ROCPRIM_400000_NS6detail17trampoline_kernelINS0_14default_configENS1_25partition_config_selectorILNS1_17partition_subalgoE6EdNS0_10empty_typeEbEEZZNS1_14partition_implILS5_6ELb0ES3_mN6thrust23THRUST_200600_302600_NS6detail15normal_iteratorINSA_10device_ptrIdEEEEPS6_SG_NS0_5tupleIJSF_S6_EEENSH_IJSG_SG_EEES6_PlJNSB_9not_fun_tI7is_trueIdEEEEEE10hipError_tPvRmT3_T4_T5_T6_T7_T9_mT8_P12ihipStream_tbDpT10_ENKUlT_T0_E_clISt17integral_constantIbLb1EES17_IbLb0EEEEDaS13_S14_EUlS13_E_NS1_11comp_targetILNS1_3genE9ELNS1_11target_archE1100ELNS1_3gpuE3ELNS1_3repE0EEENS1_30default_config_static_selectorELNS0_4arch9wavefront6targetE0EEEvT1_.numbered_sgpr, 0
	.set _ZN7rocprim17ROCPRIM_400000_NS6detail17trampoline_kernelINS0_14default_configENS1_25partition_config_selectorILNS1_17partition_subalgoE6EdNS0_10empty_typeEbEEZZNS1_14partition_implILS5_6ELb0ES3_mN6thrust23THRUST_200600_302600_NS6detail15normal_iteratorINSA_10device_ptrIdEEEEPS6_SG_NS0_5tupleIJSF_S6_EEENSH_IJSG_SG_EEES6_PlJNSB_9not_fun_tI7is_trueIdEEEEEE10hipError_tPvRmT3_T4_T5_T6_T7_T9_mT8_P12ihipStream_tbDpT10_ENKUlT_T0_E_clISt17integral_constantIbLb1EES17_IbLb0EEEEDaS13_S14_EUlS13_E_NS1_11comp_targetILNS1_3genE9ELNS1_11target_archE1100ELNS1_3gpuE3ELNS1_3repE0EEENS1_30default_config_static_selectorELNS0_4arch9wavefront6targetE0EEEvT1_.num_named_barrier, 0
	.set _ZN7rocprim17ROCPRIM_400000_NS6detail17trampoline_kernelINS0_14default_configENS1_25partition_config_selectorILNS1_17partition_subalgoE6EdNS0_10empty_typeEbEEZZNS1_14partition_implILS5_6ELb0ES3_mN6thrust23THRUST_200600_302600_NS6detail15normal_iteratorINSA_10device_ptrIdEEEEPS6_SG_NS0_5tupleIJSF_S6_EEENSH_IJSG_SG_EEES6_PlJNSB_9not_fun_tI7is_trueIdEEEEEE10hipError_tPvRmT3_T4_T5_T6_T7_T9_mT8_P12ihipStream_tbDpT10_ENKUlT_T0_E_clISt17integral_constantIbLb1EES17_IbLb0EEEEDaS13_S14_EUlS13_E_NS1_11comp_targetILNS1_3genE9ELNS1_11target_archE1100ELNS1_3gpuE3ELNS1_3repE0EEENS1_30default_config_static_selectorELNS0_4arch9wavefront6targetE0EEEvT1_.private_seg_size, 0
	.set _ZN7rocprim17ROCPRIM_400000_NS6detail17trampoline_kernelINS0_14default_configENS1_25partition_config_selectorILNS1_17partition_subalgoE6EdNS0_10empty_typeEbEEZZNS1_14partition_implILS5_6ELb0ES3_mN6thrust23THRUST_200600_302600_NS6detail15normal_iteratorINSA_10device_ptrIdEEEEPS6_SG_NS0_5tupleIJSF_S6_EEENSH_IJSG_SG_EEES6_PlJNSB_9not_fun_tI7is_trueIdEEEEEE10hipError_tPvRmT3_T4_T5_T6_T7_T9_mT8_P12ihipStream_tbDpT10_ENKUlT_T0_E_clISt17integral_constantIbLb1EES17_IbLb0EEEEDaS13_S14_EUlS13_E_NS1_11comp_targetILNS1_3genE9ELNS1_11target_archE1100ELNS1_3gpuE3ELNS1_3repE0EEENS1_30default_config_static_selectorELNS0_4arch9wavefront6targetE0EEEvT1_.uses_vcc, 0
	.set _ZN7rocprim17ROCPRIM_400000_NS6detail17trampoline_kernelINS0_14default_configENS1_25partition_config_selectorILNS1_17partition_subalgoE6EdNS0_10empty_typeEbEEZZNS1_14partition_implILS5_6ELb0ES3_mN6thrust23THRUST_200600_302600_NS6detail15normal_iteratorINSA_10device_ptrIdEEEEPS6_SG_NS0_5tupleIJSF_S6_EEENSH_IJSG_SG_EEES6_PlJNSB_9not_fun_tI7is_trueIdEEEEEE10hipError_tPvRmT3_T4_T5_T6_T7_T9_mT8_P12ihipStream_tbDpT10_ENKUlT_T0_E_clISt17integral_constantIbLb1EES17_IbLb0EEEEDaS13_S14_EUlS13_E_NS1_11comp_targetILNS1_3genE9ELNS1_11target_archE1100ELNS1_3gpuE3ELNS1_3repE0EEENS1_30default_config_static_selectorELNS0_4arch9wavefront6targetE0EEEvT1_.uses_flat_scratch, 0
	.set _ZN7rocprim17ROCPRIM_400000_NS6detail17trampoline_kernelINS0_14default_configENS1_25partition_config_selectorILNS1_17partition_subalgoE6EdNS0_10empty_typeEbEEZZNS1_14partition_implILS5_6ELb0ES3_mN6thrust23THRUST_200600_302600_NS6detail15normal_iteratorINSA_10device_ptrIdEEEEPS6_SG_NS0_5tupleIJSF_S6_EEENSH_IJSG_SG_EEES6_PlJNSB_9not_fun_tI7is_trueIdEEEEEE10hipError_tPvRmT3_T4_T5_T6_T7_T9_mT8_P12ihipStream_tbDpT10_ENKUlT_T0_E_clISt17integral_constantIbLb1EES17_IbLb0EEEEDaS13_S14_EUlS13_E_NS1_11comp_targetILNS1_3genE9ELNS1_11target_archE1100ELNS1_3gpuE3ELNS1_3repE0EEENS1_30default_config_static_selectorELNS0_4arch9wavefront6targetE0EEEvT1_.has_dyn_sized_stack, 0
	.set _ZN7rocprim17ROCPRIM_400000_NS6detail17trampoline_kernelINS0_14default_configENS1_25partition_config_selectorILNS1_17partition_subalgoE6EdNS0_10empty_typeEbEEZZNS1_14partition_implILS5_6ELb0ES3_mN6thrust23THRUST_200600_302600_NS6detail15normal_iteratorINSA_10device_ptrIdEEEEPS6_SG_NS0_5tupleIJSF_S6_EEENSH_IJSG_SG_EEES6_PlJNSB_9not_fun_tI7is_trueIdEEEEEE10hipError_tPvRmT3_T4_T5_T6_T7_T9_mT8_P12ihipStream_tbDpT10_ENKUlT_T0_E_clISt17integral_constantIbLb1EES17_IbLb0EEEEDaS13_S14_EUlS13_E_NS1_11comp_targetILNS1_3genE9ELNS1_11target_archE1100ELNS1_3gpuE3ELNS1_3repE0EEENS1_30default_config_static_selectorELNS0_4arch9wavefront6targetE0EEEvT1_.has_recursion, 0
	.set _ZN7rocprim17ROCPRIM_400000_NS6detail17trampoline_kernelINS0_14default_configENS1_25partition_config_selectorILNS1_17partition_subalgoE6EdNS0_10empty_typeEbEEZZNS1_14partition_implILS5_6ELb0ES3_mN6thrust23THRUST_200600_302600_NS6detail15normal_iteratorINSA_10device_ptrIdEEEEPS6_SG_NS0_5tupleIJSF_S6_EEENSH_IJSG_SG_EEES6_PlJNSB_9not_fun_tI7is_trueIdEEEEEE10hipError_tPvRmT3_T4_T5_T6_T7_T9_mT8_P12ihipStream_tbDpT10_ENKUlT_T0_E_clISt17integral_constantIbLb1EES17_IbLb0EEEEDaS13_S14_EUlS13_E_NS1_11comp_targetILNS1_3genE9ELNS1_11target_archE1100ELNS1_3gpuE3ELNS1_3repE0EEENS1_30default_config_static_selectorELNS0_4arch9wavefront6targetE0EEEvT1_.has_indirect_call, 0
	.section	.AMDGPU.csdata,"",@progbits
; Kernel info:
; codeLenInByte = 0
; TotalNumSgprs: 0
; NumVgprs: 0
; ScratchSize: 0
; MemoryBound: 0
; FloatMode: 240
; IeeeMode: 1
; LDSByteSize: 0 bytes/workgroup (compile time only)
; SGPRBlocks: 0
; VGPRBlocks: 0
; NumSGPRsForWavesPerEU: 1
; NumVGPRsForWavesPerEU: 1
; Occupancy: 16
; WaveLimiterHint : 0
; COMPUTE_PGM_RSRC2:SCRATCH_EN: 0
; COMPUTE_PGM_RSRC2:USER_SGPR: 2
; COMPUTE_PGM_RSRC2:TRAP_HANDLER: 0
; COMPUTE_PGM_RSRC2:TGID_X_EN: 1
; COMPUTE_PGM_RSRC2:TGID_Y_EN: 0
; COMPUTE_PGM_RSRC2:TGID_Z_EN: 0
; COMPUTE_PGM_RSRC2:TIDIG_COMP_CNT: 0
	.section	.text._ZN7rocprim17ROCPRIM_400000_NS6detail17trampoline_kernelINS0_14default_configENS1_25partition_config_selectorILNS1_17partition_subalgoE6EdNS0_10empty_typeEbEEZZNS1_14partition_implILS5_6ELb0ES3_mN6thrust23THRUST_200600_302600_NS6detail15normal_iteratorINSA_10device_ptrIdEEEEPS6_SG_NS0_5tupleIJSF_S6_EEENSH_IJSG_SG_EEES6_PlJNSB_9not_fun_tI7is_trueIdEEEEEE10hipError_tPvRmT3_T4_T5_T6_T7_T9_mT8_P12ihipStream_tbDpT10_ENKUlT_T0_E_clISt17integral_constantIbLb1EES17_IbLb0EEEEDaS13_S14_EUlS13_E_NS1_11comp_targetILNS1_3genE8ELNS1_11target_archE1030ELNS1_3gpuE2ELNS1_3repE0EEENS1_30default_config_static_selectorELNS0_4arch9wavefront6targetE0EEEvT1_,"axG",@progbits,_ZN7rocprim17ROCPRIM_400000_NS6detail17trampoline_kernelINS0_14default_configENS1_25partition_config_selectorILNS1_17partition_subalgoE6EdNS0_10empty_typeEbEEZZNS1_14partition_implILS5_6ELb0ES3_mN6thrust23THRUST_200600_302600_NS6detail15normal_iteratorINSA_10device_ptrIdEEEEPS6_SG_NS0_5tupleIJSF_S6_EEENSH_IJSG_SG_EEES6_PlJNSB_9not_fun_tI7is_trueIdEEEEEE10hipError_tPvRmT3_T4_T5_T6_T7_T9_mT8_P12ihipStream_tbDpT10_ENKUlT_T0_E_clISt17integral_constantIbLb1EES17_IbLb0EEEEDaS13_S14_EUlS13_E_NS1_11comp_targetILNS1_3genE8ELNS1_11target_archE1030ELNS1_3gpuE2ELNS1_3repE0EEENS1_30default_config_static_selectorELNS0_4arch9wavefront6targetE0EEEvT1_,comdat
	.protected	_ZN7rocprim17ROCPRIM_400000_NS6detail17trampoline_kernelINS0_14default_configENS1_25partition_config_selectorILNS1_17partition_subalgoE6EdNS0_10empty_typeEbEEZZNS1_14partition_implILS5_6ELb0ES3_mN6thrust23THRUST_200600_302600_NS6detail15normal_iteratorINSA_10device_ptrIdEEEEPS6_SG_NS0_5tupleIJSF_S6_EEENSH_IJSG_SG_EEES6_PlJNSB_9not_fun_tI7is_trueIdEEEEEE10hipError_tPvRmT3_T4_T5_T6_T7_T9_mT8_P12ihipStream_tbDpT10_ENKUlT_T0_E_clISt17integral_constantIbLb1EES17_IbLb0EEEEDaS13_S14_EUlS13_E_NS1_11comp_targetILNS1_3genE8ELNS1_11target_archE1030ELNS1_3gpuE2ELNS1_3repE0EEENS1_30default_config_static_selectorELNS0_4arch9wavefront6targetE0EEEvT1_ ; -- Begin function _ZN7rocprim17ROCPRIM_400000_NS6detail17trampoline_kernelINS0_14default_configENS1_25partition_config_selectorILNS1_17partition_subalgoE6EdNS0_10empty_typeEbEEZZNS1_14partition_implILS5_6ELb0ES3_mN6thrust23THRUST_200600_302600_NS6detail15normal_iteratorINSA_10device_ptrIdEEEEPS6_SG_NS0_5tupleIJSF_S6_EEENSH_IJSG_SG_EEES6_PlJNSB_9not_fun_tI7is_trueIdEEEEEE10hipError_tPvRmT3_T4_T5_T6_T7_T9_mT8_P12ihipStream_tbDpT10_ENKUlT_T0_E_clISt17integral_constantIbLb1EES17_IbLb0EEEEDaS13_S14_EUlS13_E_NS1_11comp_targetILNS1_3genE8ELNS1_11target_archE1030ELNS1_3gpuE2ELNS1_3repE0EEENS1_30default_config_static_selectorELNS0_4arch9wavefront6targetE0EEEvT1_
	.globl	_ZN7rocprim17ROCPRIM_400000_NS6detail17trampoline_kernelINS0_14default_configENS1_25partition_config_selectorILNS1_17partition_subalgoE6EdNS0_10empty_typeEbEEZZNS1_14partition_implILS5_6ELb0ES3_mN6thrust23THRUST_200600_302600_NS6detail15normal_iteratorINSA_10device_ptrIdEEEEPS6_SG_NS0_5tupleIJSF_S6_EEENSH_IJSG_SG_EEES6_PlJNSB_9not_fun_tI7is_trueIdEEEEEE10hipError_tPvRmT3_T4_T5_T6_T7_T9_mT8_P12ihipStream_tbDpT10_ENKUlT_T0_E_clISt17integral_constantIbLb1EES17_IbLb0EEEEDaS13_S14_EUlS13_E_NS1_11comp_targetILNS1_3genE8ELNS1_11target_archE1030ELNS1_3gpuE2ELNS1_3repE0EEENS1_30default_config_static_selectorELNS0_4arch9wavefront6targetE0EEEvT1_
	.p2align	8
	.type	_ZN7rocprim17ROCPRIM_400000_NS6detail17trampoline_kernelINS0_14default_configENS1_25partition_config_selectorILNS1_17partition_subalgoE6EdNS0_10empty_typeEbEEZZNS1_14partition_implILS5_6ELb0ES3_mN6thrust23THRUST_200600_302600_NS6detail15normal_iteratorINSA_10device_ptrIdEEEEPS6_SG_NS0_5tupleIJSF_S6_EEENSH_IJSG_SG_EEES6_PlJNSB_9not_fun_tI7is_trueIdEEEEEE10hipError_tPvRmT3_T4_T5_T6_T7_T9_mT8_P12ihipStream_tbDpT10_ENKUlT_T0_E_clISt17integral_constantIbLb1EES17_IbLb0EEEEDaS13_S14_EUlS13_E_NS1_11comp_targetILNS1_3genE8ELNS1_11target_archE1030ELNS1_3gpuE2ELNS1_3repE0EEENS1_30default_config_static_selectorELNS0_4arch9wavefront6targetE0EEEvT1_,@function
_ZN7rocprim17ROCPRIM_400000_NS6detail17trampoline_kernelINS0_14default_configENS1_25partition_config_selectorILNS1_17partition_subalgoE6EdNS0_10empty_typeEbEEZZNS1_14partition_implILS5_6ELb0ES3_mN6thrust23THRUST_200600_302600_NS6detail15normal_iteratorINSA_10device_ptrIdEEEEPS6_SG_NS0_5tupleIJSF_S6_EEENSH_IJSG_SG_EEES6_PlJNSB_9not_fun_tI7is_trueIdEEEEEE10hipError_tPvRmT3_T4_T5_T6_T7_T9_mT8_P12ihipStream_tbDpT10_ENKUlT_T0_E_clISt17integral_constantIbLb1EES17_IbLb0EEEEDaS13_S14_EUlS13_E_NS1_11comp_targetILNS1_3genE8ELNS1_11target_archE1030ELNS1_3gpuE2ELNS1_3repE0EEENS1_30default_config_static_selectorELNS0_4arch9wavefront6targetE0EEEvT1_: ; @_ZN7rocprim17ROCPRIM_400000_NS6detail17trampoline_kernelINS0_14default_configENS1_25partition_config_selectorILNS1_17partition_subalgoE6EdNS0_10empty_typeEbEEZZNS1_14partition_implILS5_6ELb0ES3_mN6thrust23THRUST_200600_302600_NS6detail15normal_iteratorINSA_10device_ptrIdEEEEPS6_SG_NS0_5tupleIJSF_S6_EEENSH_IJSG_SG_EEES6_PlJNSB_9not_fun_tI7is_trueIdEEEEEE10hipError_tPvRmT3_T4_T5_T6_T7_T9_mT8_P12ihipStream_tbDpT10_ENKUlT_T0_E_clISt17integral_constantIbLb1EES17_IbLb0EEEEDaS13_S14_EUlS13_E_NS1_11comp_targetILNS1_3genE8ELNS1_11target_archE1030ELNS1_3gpuE2ELNS1_3repE0EEENS1_30default_config_static_selectorELNS0_4arch9wavefront6targetE0EEEvT1_
; %bb.0:
	.section	.rodata,"a",@progbits
	.p2align	6, 0x0
	.amdhsa_kernel _ZN7rocprim17ROCPRIM_400000_NS6detail17trampoline_kernelINS0_14default_configENS1_25partition_config_selectorILNS1_17partition_subalgoE6EdNS0_10empty_typeEbEEZZNS1_14partition_implILS5_6ELb0ES3_mN6thrust23THRUST_200600_302600_NS6detail15normal_iteratorINSA_10device_ptrIdEEEEPS6_SG_NS0_5tupleIJSF_S6_EEENSH_IJSG_SG_EEES6_PlJNSB_9not_fun_tI7is_trueIdEEEEEE10hipError_tPvRmT3_T4_T5_T6_T7_T9_mT8_P12ihipStream_tbDpT10_ENKUlT_T0_E_clISt17integral_constantIbLb1EES17_IbLb0EEEEDaS13_S14_EUlS13_E_NS1_11comp_targetILNS1_3genE8ELNS1_11target_archE1030ELNS1_3gpuE2ELNS1_3repE0EEENS1_30default_config_static_selectorELNS0_4arch9wavefront6targetE0EEEvT1_
		.amdhsa_group_segment_fixed_size 0
		.amdhsa_private_segment_fixed_size 0
		.amdhsa_kernarg_size 112
		.amdhsa_user_sgpr_count 2
		.amdhsa_user_sgpr_dispatch_ptr 0
		.amdhsa_user_sgpr_queue_ptr 0
		.amdhsa_user_sgpr_kernarg_segment_ptr 1
		.amdhsa_user_sgpr_dispatch_id 0
		.amdhsa_user_sgpr_private_segment_size 0
		.amdhsa_wavefront_size32 1
		.amdhsa_uses_dynamic_stack 0
		.amdhsa_enable_private_segment 0
		.amdhsa_system_sgpr_workgroup_id_x 1
		.amdhsa_system_sgpr_workgroup_id_y 0
		.amdhsa_system_sgpr_workgroup_id_z 0
		.amdhsa_system_sgpr_workgroup_info 0
		.amdhsa_system_vgpr_workitem_id 0
		.amdhsa_next_free_vgpr 1
		.amdhsa_next_free_sgpr 1
		.amdhsa_reserve_vcc 0
		.amdhsa_float_round_mode_32 0
		.amdhsa_float_round_mode_16_64 0
		.amdhsa_float_denorm_mode_32 3
		.amdhsa_float_denorm_mode_16_64 3
		.amdhsa_fp16_overflow 0
		.amdhsa_workgroup_processor_mode 1
		.amdhsa_memory_ordered 1
		.amdhsa_forward_progress 1
		.amdhsa_inst_pref_size 0
		.amdhsa_round_robin_scheduling 0
		.amdhsa_exception_fp_ieee_invalid_op 0
		.amdhsa_exception_fp_denorm_src 0
		.amdhsa_exception_fp_ieee_div_zero 0
		.amdhsa_exception_fp_ieee_overflow 0
		.amdhsa_exception_fp_ieee_underflow 0
		.amdhsa_exception_fp_ieee_inexact 0
		.amdhsa_exception_int_div_zero 0
	.end_amdhsa_kernel
	.section	.text._ZN7rocprim17ROCPRIM_400000_NS6detail17trampoline_kernelINS0_14default_configENS1_25partition_config_selectorILNS1_17partition_subalgoE6EdNS0_10empty_typeEbEEZZNS1_14partition_implILS5_6ELb0ES3_mN6thrust23THRUST_200600_302600_NS6detail15normal_iteratorINSA_10device_ptrIdEEEEPS6_SG_NS0_5tupleIJSF_S6_EEENSH_IJSG_SG_EEES6_PlJNSB_9not_fun_tI7is_trueIdEEEEEE10hipError_tPvRmT3_T4_T5_T6_T7_T9_mT8_P12ihipStream_tbDpT10_ENKUlT_T0_E_clISt17integral_constantIbLb1EES17_IbLb0EEEEDaS13_S14_EUlS13_E_NS1_11comp_targetILNS1_3genE8ELNS1_11target_archE1030ELNS1_3gpuE2ELNS1_3repE0EEENS1_30default_config_static_selectorELNS0_4arch9wavefront6targetE0EEEvT1_,"axG",@progbits,_ZN7rocprim17ROCPRIM_400000_NS6detail17trampoline_kernelINS0_14default_configENS1_25partition_config_selectorILNS1_17partition_subalgoE6EdNS0_10empty_typeEbEEZZNS1_14partition_implILS5_6ELb0ES3_mN6thrust23THRUST_200600_302600_NS6detail15normal_iteratorINSA_10device_ptrIdEEEEPS6_SG_NS0_5tupleIJSF_S6_EEENSH_IJSG_SG_EEES6_PlJNSB_9not_fun_tI7is_trueIdEEEEEE10hipError_tPvRmT3_T4_T5_T6_T7_T9_mT8_P12ihipStream_tbDpT10_ENKUlT_T0_E_clISt17integral_constantIbLb1EES17_IbLb0EEEEDaS13_S14_EUlS13_E_NS1_11comp_targetILNS1_3genE8ELNS1_11target_archE1030ELNS1_3gpuE2ELNS1_3repE0EEENS1_30default_config_static_selectorELNS0_4arch9wavefront6targetE0EEEvT1_,comdat
.Lfunc_end1068:
	.size	_ZN7rocprim17ROCPRIM_400000_NS6detail17trampoline_kernelINS0_14default_configENS1_25partition_config_selectorILNS1_17partition_subalgoE6EdNS0_10empty_typeEbEEZZNS1_14partition_implILS5_6ELb0ES3_mN6thrust23THRUST_200600_302600_NS6detail15normal_iteratorINSA_10device_ptrIdEEEEPS6_SG_NS0_5tupleIJSF_S6_EEENSH_IJSG_SG_EEES6_PlJNSB_9not_fun_tI7is_trueIdEEEEEE10hipError_tPvRmT3_T4_T5_T6_T7_T9_mT8_P12ihipStream_tbDpT10_ENKUlT_T0_E_clISt17integral_constantIbLb1EES17_IbLb0EEEEDaS13_S14_EUlS13_E_NS1_11comp_targetILNS1_3genE8ELNS1_11target_archE1030ELNS1_3gpuE2ELNS1_3repE0EEENS1_30default_config_static_selectorELNS0_4arch9wavefront6targetE0EEEvT1_, .Lfunc_end1068-_ZN7rocprim17ROCPRIM_400000_NS6detail17trampoline_kernelINS0_14default_configENS1_25partition_config_selectorILNS1_17partition_subalgoE6EdNS0_10empty_typeEbEEZZNS1_14partition_implILS5_6ELb0ES3_mN6thrust23THRUST_200600_302600_NS6detail15normal_iteratorINSA_10device_ptrIdEEEEPS6_SG_NS0_5tupleIJSF_S6_EEENSH_IJSG_SG_EEES6_PlJNSB_9not_fun_tI7is_trueIdEEEEEE10hipError_tPvRmT3_T4_T5_T6_T7_T9_mT8_P12ihipStream_tbDpT10_ENKUlT_T0_E_clISt17integral_constantIbLb1EES17_IbLb0EEEEDaS13_S14_EUlS13_E_NS1_11comp_targetILNS1_3genE8ELNS1_11target_archE1030ELNS1_3gpuE2ELNS1_3repE0EEENS1_30default_config_static_selectorELNS0_4arch9wavefront6targetE0EEEvT1_
                                        ; -- End function
	.set _ZN7rocprim17ROCPRIM_400000_NS6detail17trampoline_kernelINS0_14default_configENS1_25partition_config_selectorILNS1_17partition_subalgoE6EdNS0_10empty_typeEbEEZZNS1_14partition_implILS5_6ELb0ES3_mN6thrust23THRUST_200600_302600_NS6detail15normal_iteratorINSA_10device_ptrIdEEEEPS6_SG_NS0_5tupleIJSF_S6_EEENSH_IJSG_SG_EEES6_PlJNSB_9not_fun_tI7is_trueIdEEEEEE10hipError_tPvRmT3_T4_T5_T6_T7_T9_mT8_P12ihipStream_tbDpT10_ENKUlT_T0_E_clISt17integral_constantIbLb1EES17_IbLb0EEEEDaS13_S14_EUlS13_E_NS1_11comp_targetILNS1_3genE8ELNS1_11target_archE1030ELNS1_3gpuE2ELNS1_3repE0EEENS1_30default_config_static_selectorELNS0_4arch9wavefront6targetE0EEEvT1_.num_vgpr, 0
	.set _ZN7rocprim17ROCPRIM_400000_NS6detail17trampoline_kernelINS0_14default_configENS1_25partition_config_selectorILNS1_17partition_subalgoE6EdNS0_10empty_typeEbEEZZNS1_14partition_implILS5_6ELb0ES3_mN6thrust23THRUST_200600_302600_NS6detail15normal_iteratorINSA_10device_ptrIdEEEEPS6_SG_NS0_5tupleIJSF_S6_EEENSH_IJSG_SG_EEES6_PlJNSB_9not_fun_tI7is_trueIdEEEEEE10hipError_tPvRmT3_T4_T5_T6_T7_T9_mT8_P12ihipStream_tbDpT10_ENKUlT_T0_E_clISt17integral_constantIbLb1EES17_IbLb0EEEEDaS13_S14_EUlS13_E_NS1_11comp_targetILNS1_3genE8ELNS1_11target_archE1030ELNS1_3gpuE2ELNS1_3repE0EEENS1_30default_config_static_selectorELNS0_4arch9wavefront6targetE0EEEvT1_.num_agpr, 0
	.set _ZN7rocprim17ROCPRIM_400000_NS6detail17trampoline_kernelINS0_14default_configENS1_25partition_config_selectorILNS1_17partition_subalgoE6EdNS0_10empty_typeEbEEZZNS1_14partition_implILS5_6ELb0ES3_mN6thrust23THRUST_200600_302600_NS6detail15normal_iteratorINSA_10device_ptrIdEEEEPS6_SG_NS0_5tupleIJSF_S6_EEENSH_IJSG_SG_EEES6_PlJNSB_9not_fun_tI7is_trueIdEEEEEE10hipError_tPvRmT3_T4_T5_T6_T7_T9_mT8_P12ihipStream_tbDpT10_ENKUlT_T0_E_clISt17integral_constantIbLb1EES17_IbLb0EEEEDaS13_S14_EUlS13_E_NS1_11comp_targetILNS1_3genE8ELNS1_11target_archE1030ELNS1_3gpuE2ELNS1_3repE0EEENS1_30default_config_static_selectorELNS0_4arch9wavefront6targetE0EEEvT1_.numbered_sgpr, 0
	.set _ZN7rocprim17ROCPRIM_400000_NS6detail17trampoline_kernelINS0_14default_configENS1_25partition_config_selectorILNS1_17partition_subalgoE6EdNS0_10empty_typeEbEEZZNS1_14partition_implILS5_6ELb0ES3_mN6thrust23THRUST_200600_302600_NS6detail15normal_iteratorINSA_10device_ptrIdEEEEPS6_SG_NS0_5tupleIJSF_S6_EEENSH_IJSG_SG_EEES6_PlJNSB_9not_fun_tI7is_trueIdEEEEEE10hipError_tPvRmT3_T4_T5_T6_T7_T9_mT8_P12ihipStream_tbDpT10_ENKUlT_T0_E_clISt17integral_constantIbLb1EES17_IbLb0EEEEDaS13_S14_EUlS13_E_NS1_11comp_targetILNS1_3genE8ELNS1_11target_archE1030ELNS1_3gpuE2ELNS1_3repE0EEENS1_30default_config_static_selectorELNS0_4arch9wavefront6targetE0EEEvT1_.num_named_barrier, 0
	.set _ZN7rocprim17ROCPRIM_400000_NS6detail17trampoline_kernelINS0_14default_configENS1_25partition_config_selectorILNS1_17partition_subalgoE6EdNS0_10empty_typeEbEEZZNS1_14partition_implILS5_6ELb0ES3_mN6thrust23THRUST_200600_302600_NS6detail15normal_iteratorINSA_10device_ptrIdEEEEPS6_SG_NS0_5tupleIJSF_S6_EEENSH_IJSG_SG_EEES6_PlJNSB_9not_fun_tI7is_trueIdEEEEEE10hipError_tPvRmT3_T4_T5_T6_T7_T9_mT8_P12ihipStream_tbDpT10_ENKUlT_T0_E_clISt17integral_constantIbLb1EES17_IbLb0EEEEDaS13_S14_EUlS13_E_NS1_11comp_targetILNS1_3genE8ELNS1_11target_archE1030ELNS1_3gpuE2ELNS1_3repE0EEENS1_30default_config_static_selectorELNS0_4arch9wavefront6targetE0EEEvT1_.private_seg_size, 0
	.set _ZN7rocprim17ROCPRIM_400000_NS6detail17trampoline_kernelINS0_14default_configENS1_25partition_config_selectorILNS1_17partition_subalgoE6EdNS0_10empty_typeEbEEZZNS1_14partition_implILS5_6ELb0ES3_mN6thrust23THRUST_200600_302600_NS6detail15normal_iteratorINSA_10device_ptrIdEEEEPS6_SG_NS0_5tupleIJSF_S6_EEENSH_IJSG_SG_EEES6_PlJNSB_9not_fun_tI7is_trueIdEEEEEE10hipError_tPvRmT3_T4_T5_T6_T7_T9_mT8_P12ihipStream_tbDpT10_ENKUlT_T0_E_clISt17integral_constantIbLb1EES17_IbLb0EEEEDaS13_S14_EUlS13_E_NS1_11comp_targetILNS1_3genE8ELNS1_11target_archE1030ELNS1_3gpuE2ELNS1_3repE0EEENS1_30default_config_static_selectorELNS0_4arch9wavefront6targetE0EEEvT1_.uses_vcc, 0
	.set _ZN7rocprim17ROCPRIM_400000_NS6detail17trampoline_kernelINS0_14default_configENS1_25partition_config_selectorILNS1_17partition_subalgoE6EdNS0_10empty_typeEbEEZZNS1_14partition_implILS5_6ELb0ES3_mN6thrust23THRUST_200600_302600_NS6detail15normal_iteratorINSA_10device_ptrIdEEEEPS6_SG_NS0_5tupleIJSF_S6_EEENSH_IJSG_SG_EEES6_PlJNSB_9not_fun_tI7is_trueIdEEEEEE10hipError_tPvRmT3_T4_T5_T6_T7_T9_mT8_P12ihipStream_tbDpT10_ENKUlT_T0_E_clISt17integral_constantIbLb1EES17_IbLb0EEEEDaS13_S14_EUlS13_E_NS1_11comp_targetILNS1_3genE8ELNS1_11target_archE1030ELNS1_3gpuE2ELNS1_3repE0EEENS1_30default_config_static_selectorELNS0_4arch9wavefront6targetE0EEEvT1_.uses_flat_scratch, 0
	.set _ZN7rocprim17ROCPRIM_400000_NS6detail17trampoline_kernelINS0_14default_configENS1_25partition_config_selectorILNS1_17partition_subalgoE6EdNS0_10empty_typeEbEEZZNS1_14partition_implILS5_6ELb0ES3_mN6thrust23THRUST_200600_302600_NS6detail15normal_iteratorINSA_10device_ptrIdEEEEPS6_SG_NS0_5tupleIJSF_S6_EEENSH_IJSG_SG_EEES6_PlJNSB_9not_fun_tI7is_trueIdEEEEEE10hipError_tPvRmT3_T4_T5_T6_T7_T9_mT8_P12ihipStream_tbDpT10_ENKUlT_T0_E_clISt17integral_constantIbLb1EES17_IbLb0EEEEDaS13_S14_EUlS13_E_NS1_11comp_targetILNS1_3genE8ELNS1_11target_archE1030ELNS1_3gpuE2ELNS1_3repE0EEENS1_30default_config_static_selectorELNS0_4arch9wavefront6targetE0EEEvT1_.has_dyn_sized_stack, 0
	.set _ZN7rocprim17ROCPRIM_400000_NS6detail17trampoline_kernelINS0_14default_configENS1_25partition_config_selectorILNS1_17partition_subalgoE6EdNS0_10empty_typeEbEEZZNS1_14partition_implILS5_6ELb0ES3_mN6thrust23THRUST_200600_302600_NS6detail15normal_iteratorINSA_10device_ptrIdEEEEPS6_SG_NS0_5tupleIJSF_S6_EEENSH_IJSG_SG_EEES6_PlJNSB_9not_fun_tI7is_trueIdEEEEEE10hipError_tPvRmT3_T4_T5_T6_T7_T9_mT8_P12ihipStream_tbDpT10_ENKUlT_T0_E_clISt17integral_constantIbLb1EES17_IbLb0EEEEDaS13_S14_EUlS13_E_NS1_11comp_targetILNS1_3genE8ELNS1_11target_archE1030ELNS1_3gpuE2ELNS1_3repE0EEENS1_30default_config_static_selectorELNS0_4arch9wavefront6targetE0EEEvT1_.has_recursion, 0
	.set _ZN7rocprim17ROCPRIM_400000_NS6detail17trampoline_kernelINS0_14default_configENS1_25partition_config_selectorILNS1_17partition_subalgoE6EdNS0_10empty_typeEbEEZZNS1_14partition_implILS5_6ELb0ES3_mN6thrust23THRUST_200600_302600_NS6detail15normal_iteratorINSA_10device_ptrIdEEEEPS6_SG_NS0_5tupleIJSF_S6_EEENSH_IJSG_SG_EEES6_PlJNSB_9not_fun_tI7is_trueIdEEEEEE10hipError_tPvRmT3_T4_T5_T6_T7_T9_mT8_P12ihipStream_tbDpT10_ENKUlT_T0_E_clISt17integral_constantIbLb1EES17_IbLb0EEEEDaS13_S14_EUlS13_E_NS1_11comp_targetILNS1_3genE8ELNS1_11target_archE1030ELNS1_3gpuE2ELNS1_3repE0EEENS1_30default_config_static_selectorELNS0_4arch9wavefront6targetE0EEEvT1_.has_indirect_call, 0
	.section	.AMDGPU.csdata,"",@progbits
; Kernel info:
; codeLenInByte = 0
; TotalNumSgprs: 0
; NumVgprs: 0
; ScratchSize: 0
; MemoryBound: 0
; FloatMode: 240
; IeeeMode: 1
; LDSByteSize: 0 bytes/workgroup (compile time only)
; SGPRBlocks: 0
; VGPRBlocks: 0
; NumSGPRsForWavesPerEU: 1
; NumVGPRsForWavesPerEU: 1
; Occupancy: 16
; WaveLimiterHint : 0
; COMPUTE_PGM_RSRC2:SCRATCH_EN: 0
; COMPUTE_PGM_RSRC2:USER_SGPR: 2
; COMPUTE_PGM_RSRC2:TRAP_HANDLER: 0
; COMPUTE_PGM_RSRC2:TGID_X_EN: 1
; COMPUTE_PGM_RSRC2:TGID_Y_EN: 0
; COMPUTE_PGM_RSRC2:TGID_Z_EN: 0
; COMPUTE_PGM_RSRC2:TIDIG_COMP_CNT: 0
	.section	.text._ZN7rocprim17ROCPRIM_400000_NS6detail17trampoline_kernelINS0_14default_configENS1_25partition_config_selectorILNS1_17partition_subalgoE6EdNS0_10empty_typeEbEEZZNS1_14partition_implILS5_6ELb0ES3_mN6thrust23THRUST_200600_302600_NS6detail15normal_iteratorINSA_10device_ptrIdEEEEPS6_SG_NS0_5tupleIJSF_S6_EEENSH_IJSG_SG_EEES6_PlJNSB_9not_fun_tI7is_trueIdEEEEEE10hipError_tPvRmT3_T4_T5_T6_T7_T9_mT8_P12ihipStream_tbDpT10_ENKUlT_T0_E_clISt17integral_constantIbLb0EES17_IbLb1EEEEDaS13_S14_EUlS13_E_NS1_11comp_targetILNS1_3genE0ELNS1_11target_archE4294967295ELNS1_3gpuE0ELNS1_3repE0EEENS1_30default_config_static_selectorELNS0_4arch9wavefront6targetE0EEEvT1_,"axG",@progbits,_ZN7rocprim17ROCPRIM_400000_NS6detail17trampoline_kernelINS0_14default_configENS1_25partition_config_selectorILNS1_17partition_subalgoE6EdNS0_10empty_typeEbEEZZNS1_14partition_implILS5_6ELb0ES3_mN6thrust23THRUST_200600_302600_NS6detail15normal_iteratorINSA_10device_ptrIdEEEEPS6_SG_NS0_5tupleIJSF_S6_EEENSH_IJSG_SG_EEES6_PlJNSB_9not_fun_tI7is_trueIdEEEEEE10hipError_tPvRmT3_T4_T5_T6_T7_T9_mT8_P12ihipStream_tbDpT10_ENKUlT_T0_E_clISt17integral_constantIbLb0EES17_IbLb1EEEEDaS13_S14_EUlS13_E_NS1_11comp_targetILNS1_3genE0ELNS1_11target_archE4294967295ELNS1_3gpuE0ELNS1_3repE0EEENS1_30default_config_static_selectorELNS0_4arch9wavefront6targetE0EEEvT1_,comdat
	.protected	_ZN7rocprim17ROCPRIM_400000_NS6detail17trampoline_kernelINS0_14default_configENS1_25partition_config_selectorILNS1_17partition_subalgoE6EdNS0_10empty_typeEbEEZZNS1_14partition_implILS5_6ELb0ES3_mN6thrust23THRUST_200600_302600_NS6detail15normal_iteratorINSA_10device_ptrIdEEEEPS6_SG_NS0_5tupleIJSF_S6_EEENSH_IJSG_SG_EEES6_PlJNSB_9not_fun_tI7is_trueIdEEEEEE10hipError_tPvRmT3_T4_T5_T6_T7_T9_mT8_P12ihipStream_tbDpT10_ENKUlT_T0_E_clISt17integral_constantIbLb0EES17_IbLb1EEEEDaS13_S14_EUlS13_E_NS1_11comp_targetILNS1_3genE0ELNS1_11target_archE4294967295ELNS1_3gpuE0ELNS1_3repE0EEENS1_30default_config_static_selectorELNS0_4arch9wavefront6targetE0EEEvT1_ ; -- Begin function _ZN7rocprim17ROCPRIM_400000_NS6detail17trampoline_kernelINS0_14default_configENS1_25partition_config_selectorILNS1_17partition_subalgoE6EdNS0_10empty_typeEbEEZZNS1_14partition_implILS5_6ELb0ES3_mN6thrust23THRUST_200600_302600_NS6detail15normal_iteratorINSA_10device_ptrIdEEEEPS6_SG_NS0_5tupleIJSF_S6_EEENSH_IJSG_SG_EEES6_PlJNSB_9not_fun_tI7is_trueIdEEEEEE10hipError_tPvRmT3_T4_T5_T6_T7_T9_mT8_P12ihipStream_tbDpT10_ENKUlT_T0_E_clISt17integral_constantIbLb0EES17_IbLb1EEEEDaS13_S14_EUlS13_E_NS1_11comp_targetILNS1_3genE0ELNS1_11target_archE4294967295ELNS1_3gpuE0ELNS1_3repE0EEENS1_30default_config_static_selectorELNS0_4arch9wavefront6targetE0EEEvT1_
	.globl	_ZN7rocprim17ROCPRIM_400000_NS6detail17trampoline_kernelINS0_14default_configENS1_25partition_config_selectorILNS1_17partition_subalgoE6EdNS0_10empty_typeEbEEZZNS1_14partition_implILS5_6ELb0ES3_mN6thrust23THRUST_200600_302600_NS6detail15normal_iteratorINSA_10device_ptrIdEEEEPS6_SG_NS0_5tupleIJSF_S6_EEENSH_IJSG_SG_EEES6_PlJNSB_9not_fun_tI7is_trueIdEEEEEE10hipError_tPvRmT3_T4_T5_T6_T7_T9_mT8_P12ihipStream_tbDpT10_ENKUlT_T0_E_clISt17integral_constantIbLb0EES17_IbLb1EEEEDaS13_S14_EUlS13_E_NS1_11comp_targetILNS1_3genE0ELNS1_11target_archE4294967295ELNS1_3gpuE0ELNS1_3repE0EEENS1_30default_config_static_selectorELNS0_4arch9wavefront6targetE0EEEvT1_
	.p2align	8
	.type	_ZN7rocprim17ROCPRIM_400000_NS6detail17trampoline_kernelINS0_14default_configENS1_25partition_config_selectorILNS1_17partition_subalgoE6EdNS0_10empty_typeEbEEZZNS1_14partition_implILS5_6ELb0ES3_mN6thrust23THRUST_200600_302600_NS6detail15normal_iteratorINSA_10device_ptrIdEEEEPS6_SG_NS0_5tupleIJSF_S6_EEENSH_IJSG_SG_EEES6_PlJNSB_9not_fun_tI7is_trueIdEEEEEE10hipError_tPvRmT3_T4_T5_T6_T7_T9_mT8_P12ihipStream_tbDpT10_ENKUlT_T0_E_clISt17integral_constantIbLb0EES17_IbLb1EEEEDaS13_S14_EUlS13_E_NS1_11comp_targetILNS1_3genE0ELNS1_11target_archE4294967295ELNS1_3gpuE0ELNS1_3repE0EEENS1_30default_config_static_selectorELNS0_4arch9wavefront6targetE0EEEvT1_,@function
_ZN7rocprim17ROCPRIM_400000_NS6detail17trampoline_kernelINS0_14default_configENS1_25partition_config_selectorILNS1_17partition_subalgoE6EdNS0_10empty_typeEbEEZZNS1_14partition_implILS5_6ELb0ES3_mN6thrust23THRUST_200600_302600_NS6detail15normal_iteratorINSA_10device_ptrIdEEEEPS6_SG_NS0_5tupleIJSF_S6_EEENSH_IJSG_SG_EEES6_PlJNSB_9not_fun_tI7is_trueIdEEEEEE10hipError_tPvRmT3_T4_T5_T6_T7_T9_mT8_P12ihipStream_tbDpT10_ENKUlT_T0_E_clISt17integral_constantIbLb0EES17_IbLb1EEEEDaS13_S14_EUlS13_E_NS1_11comp_targetILNS1_3genE0ELNS1_11target_archE4294967295ELNS1_3gpuE0ELNS1_3repE0EEENS1_30default_config_static_selectorELNS0_4arch9wavefront6targetE0EEEvT1_: ; @_ZN7rocprim17ROCPRIM_400000_NS6detail17trampoline_kernelINS0_14default_configENS1_25partition_config_selectorILNS1_17partition_subalgoE6EdNS0_10empty_typeEbEEZZNS1_14partition_implILS5_6ELb0ES3_mN6thrust23THRUST_200600_302600_NS6detail15normal_iteratorINSA_10device_ptrIdEEEEPS6_SG_NS0_5tupleIJSF_S6_EEENSH_IJSG_SG_EEES6_PlJNSB_9not_fun_tI7is_trueIdEEEEEE10hipError_tPvRmT3_T4_T5_T6_T7_T9_mT8_P12ihipStream_tbDpT10_ENKUlT_T0_E_clISt17integral_constantIbLb0EES17_IbLb1EEEEDaS13_S14_EUlS13_E_NS1_11comp_targetILNS1_3genE0ELNS1_11target_archE4294967295ELNS1_3gpuE0ELNS1_3repE0EEENS1_30default_config_static_selectorELNS0_4arch9wavefront6targetE0EEEvT1_
; %bb.0:
	.section	.rodata,"a",@progbits
	.p2align	6, 0x0
	.amdhsa_kernel _ZN7rocprim17ROCPRIM_400000_NS6detail17trampoline_kernelINS0_14default_configENS1_25partition_config_selectorILNS1_17partition_subalgoE6EdNS0_10empty_typeEbEEZZNS1_14partition_implILS5_6ELb0ES3_mN6thrust23THRUST_200600_302600_NS6detail15normal_iteratorINSA_10device_ptrIdEEEEPS6_SG_NS0_5tupleIJSF_S6_EEENSH_IJSG_SG_EEES6_PlJNSB_9not_fun_tI7is_trueIdEEEEEE10hipError_tPvRmT3_T4_T5_T6_T7_T9_mT8_P12ihipStream_tbDpT10_ENKUlT_T0_E_clISt17integral_constantIbLb0EES17_IbLb1EEEEDaS13_S14_EUlS13_E_NS1_11comp_targetILNS1_3genE0ELNS1_11target_archE4294967295ELNS1_3gpuE0ELNS1_3repE0EEENS1_30default_config_static_selectorELNS0_4arch9wavefront6targetE0EEEvT1_
		.amdhsa_group_segment_fixed_size 0
		.amdhsa_private_segment_fixed_size 0
		.amdhsa_kernarg_size 128
		.amdhsa_user_sgpr_count 2
		.amdhsa_user_sgpr_dispatch_ptr 0
		.amdhsa_user_sgpr_queue_ptr 0
		.amdhsa_user_sgpr_kernarg_segment_ptr 1
		.amdhsa_user_sgpr_dispatch_id 0
		.amdhsa_user_sgpr_private_segment_size 0
		.amdhsa_wavefront_size32 1
		.amdhsa_uses_dynamic_stack 0
		.amdhsa_enable_private_segment 0
		.amdhsa_system_sgpr_workgroup_id_x 1
		.amdhsa_system_sgpr_workgroup_id_y 0
		.amdhsa_system_sgpr_workgroup_id_z 0
		.amdhsa_system_sgpr_workgroup_info 0
		.amdhsa_system_vgpr_workitem_id 0
		.amdhsa_next_free_vgpr 1
		.amdhsa_next_free_sgpr 1
		.amdhsa_reserve_vcc 0
		.amdhsa_float_round_mode_32 0
		.amdhsa_float_round_mode_16_64 0
		.amdhsa_float_denorm_mode_32 3
		.amdhsa_float_denorm_mode_16_64 3
		.amdhsa_fp16_overflow 0
		.amdhsa_workgroup_processor_mode 1
		.amdhsa_memory_ordered 1
		.amdhsa_forward_progress 1
		.amdhsa_inst_pref_size 0
		.amdhsa_round_robin_scheduling 0
		.amdhsa_exception_fp_ieee_invalid_op 0
		.amdhsa_exception_fp_denorm_src 0
		.amdhsa_exception_fp_ieee_div_zero 0
		.amdhsa_exception_fp_ieee_overflow 0
		.amdhsa_exception_fp_ieee_underflow 0
		.amdhsa_exception_fp_ieee_inexact 0
		.amdhsa_exception_int_div_zero 0
	.end_amdhsa_kernel
	.section	.text._ZN7rocprim17ROCPRIM_400000_NS6detail17trampoline_kernelINS0_14default_configENS1_25partition_config_selectorILNS1_17partition_subalgoE6EdNS0_10empty_typeEbEEZZNS1_14partition_implILS5_6ELb0ES3_mN6thrust23THRUST_200600_302600_NS6detail15normal_iteratorINSA_10device_ptrIdEEEEPS6_SG_NS0_5tupleIJSF_S6_EEENSH_IJSG_SG_EEES6_PlJNSB_9not_fun_tI7is_trueIdEEEEEE10hipError_tPvRmT3_T4_T5_T6_T7_T9_mT8_P12ihipStream_tbDpT10_ENKUlT_T0_E_clISt17integral_constantIbLb0EES17_IbLb1EEEEDaS13_S14_EUlS13_E_NS1_11comp_targetILNS1_3genE0ELNS1_11target_archE4294967295ELNS1_3gpuE0ELNS1_3repE0EEENS1_30default_config_static_selectorELNS0_4arch9wavefront6targetE0EEEvT1_,"axG",@progbits,_ZN7rocprim17ROCPRIM_400000_NS6detail17trampoline_kernelINS0_14default_configENS1_25partition_config_selectorILNS1_17partition_subalgoE6EdNS0_10empty_typeEbEEZZNS1_14partition_implILS5_6ELb0ES3_mN6thrust23THRUST_200600_302600_NS6detail15normal_iteratorINSA_10device_ptrIdEEEEPS6_SG_NS0_5tupleIJSF_S6_EEENSH_IJSG_SG_EEES6_PlJNSB_9not_fun_tI7is_trueIdEEEEEE10hipError_tPvRmT3_T4_T5_T6_T7_T9_mT8_P12ihipStream_tbDpT10_ENKUlT_T0_E_clISt17integral_constantIbLb0EES17_IbLb1EEEEDaS13_S14_EUlS13_E_NS1_11comp_targetILNS1_3genE0ELNS1_11target_archE4294967295ELNS1_3gpuE0ELNS1_3repE0EEENS1_30default_config_static_selectorELNS0_4arch9wavefront6targetE0EEEvT1_,comdat
.Lfunc_end1069:
	.size	_ZN7rocprim17ROCPRIM_400000_NS6detail17trampoline_kernelINS0_14default_configENS1_25partition_config_selectorILNS1_17partition_subalgoE6EdNS0_10empty_typeEbEEZZNS1_14partition_implILS5_6ELb0ES3_mN6thrust23THRUST_200600_302600_NS6detail15normal_iteratorINSA_10device_ptrIdEEEEPS6_SG_NS0_5tupleIJSF_S6_EEENSH_IJSG_SG_EEES6_PlJNSB_9not_fun_tI7is_trueIdEEEEEE10hipError_tPvRmT3_T4_T5_T6_T7_T9_mT8_P12ihipStream_tbDpT10_ENKUlT_T0_E_clISt17integral_constantIbLb0EES17_IbLb1EEEEDaS13_S14_EUlS13_E_NS1_11comp_targetILNS1_3genE0ELNS1_11target_archE4294967295ELNS1_3gpuE0ELNS1_3repE0EEENS1_30default_config_static_selectorELNS0_4arch9wavefront6targetE0EEEvT1_, .Lfunc_end1069-_ZN7rocprim17ROCPRIM_400000_NS6detail17trampoline_kernelINS0_14default_configENS1_25partition_config_selectorILNS1_17partition_subalgoE6EdNS0_10empty_typeEbEEZZNS1_14partition_implILS5_6ELb0ES3_mN6thrust23THRUST_200600_302600_NS6detail15normal_iteratorINSA_10device_ptrIdEEEEPS6_SG_NS0_5tupleIJSF_S6_EEENSH_IJSG_SG_EEES6_PlJNSB_9not_fun_tI7is_trueIdEEEEEE10hipError_tPvRmT3_T4_T5_T6_T7_T9_mT8_P12ihipStream_tbDpT10_ENKUlT_T0_E_clISt17integral_constantIbLb0EES17_IbLb1EEEEDaS13_S14_EUlS13_E_NS1_11comp_targetILNS1_3genE0ELNS1_11target_archE4294967295ELNS1_3gpuE0ELNS1_3repE0EEENS1_30default_config_static_selectorELNS0_4arch9wavefront6targetE0EEEvT1_
                                        ; -- End function
	.set _ZN7rocprim17ROCPRIM_400000_NS6detail17trampoline_kernelINS0_14default_configENS1_25partition_config_selectorILNS1_17partition_subalgoE6EdNS0_10empty_typeEbEEZZNS1_14partition_implILS5_6ELb0ES3_mN6thrust23THRUST_200600_302600_NS6detail15normal_iteratorINSA_10device_ptrIdEEEEPS6_SG_NS0_5tupleIJSF_S6_EEENSH_IJSG_SG_EEES6_PlJNSB_9not_fun_tI7is_trueIdEEEEEE10hipError_tPvRmT3_T4_T5_T6_T7_T9_mT8_P12ihipStream_tbDpT10_ENKUlT_T0_E_clISt17integral_constantIbLb0EES17_IbLb1EEEEDaS13_S14_EUlS13_E_NS1_11comp_targetILNS1_3genE0ELNS1_11target_archE4294967295ELNS1_3gpuE0ELNS1_3repE0EEENS1_30default_config_static_selectorELNS0_4arch9wavefront6targetE0EEEvT1_.num_vgpr, 0
	.set _ZN7rocprim17ROCPRIM_400000_NS6detail17trampoline_kernelINS0_14default_configENS1_25partition_config_selectorILNS1_17partition_subalgoE6EdNS0_10empty_typeEbEEZZNS1_14partition_implILS5_6ELb0ES3_mN6thrust23THRUST_200600_302600_NS6detail15normal_iteratorINSA_10device_ptrIdEEEEPS6_SG_NS0_5tupleIJSF_S6_EEENSH_IJSG_SG_EEES6_PlJNSB_9not_fun_tI7is_trueIdEEEEEE10hipError_tPvRmT3_T4_T5_T6_T7_T9_mT8_P12ihipStream_tbDpT10_ENKUlT_T0_E_clISt17integral_constantIbLb0EES17_IbLb1EEEEDaS13_S14_EUlS13_E_NS1_11comp_targetILNS1_3genE0ELNS1_11target_archE4294967295ELNS1_3gpuE0ELNS1_3repE0EEENS1_30default_config_static_selectorELNS0_4arch9wavefront6targetE0EEEvT1_.num_agpr, 0
	.set _ZN7rocprim17ROCPRIM_400000_NS6detail17trampoline_kernelINS0_14default_configENS1_25partition_config_selectorILNS1_17partition_subalgoE6EdNS0_10empty_typeEbEEZZNS1_14partition_implILS5_6ELb0ES3_mN6thrust23THRUST_200600_302600_NS6detail15normal_iteratorINSA_10device_ptrIdEEEEPS6_SG_NS0_5tupleIJSF_S6_EEENSH_IJSG_SG_EEES6_PlJNSB_9not_fun_tI7is_trueIdEEEEEE10hipError_tPvRmT3_T4_T5_T6_T7_T9_mT8_P12ihipStream_tbDpT10_ENKUlT_T0_E_clISt17integral_constantIbLb0EES17_IbLb1EEEEDaS13_S14_EUlS13_E_NS1_11comp_targetILNS1_3genE0ELNS1_11target_archE4294967295ELNS1_3gpuE0ELNS1_3repE0EEENS1_30default_config_static_selectorELNS0_4arch9wavefront6targetE0EEEvT1_.numbered_sgpr, 0
	.set _ZN7rocprim17ROCPRIM_400000_NS6detail17trampoline_kernelINS0_14default_configENS1_25partition_config_selectorILNS1_17partition_subalgoE6EdNS0_10empty_typeEbEEZZNS1_14partition_implILS5_6ELb0ES3_mN6thrust23THRUST_200600_302600_NS6detail15normal_iteratorINSA_10device_ptrIdEEEEPS6_SG_NS0_5tupleIJSF_S6_EEENSH_IJSG_SG_EEES6_PlJNSB_9not_fun_tI7is_trueIdEEEEEE10hipError_tPvRmT3_T4_T5_T6_T7_T9_mT8_P12ihipStream_tbDpT10_ENKUlT_T0_E_clISt17integral_constantIbLb0EES17_IbLb1EEEEDaS13_S14_EUlS13_E_NS1_11comp_targetILNS1_3genE0ELNS1_11target_archE4294967295ELNS1_3gpuE0ELNS1_3repE0EEENS1_30default_config_static_selectorELNS0_4arch9wavefront6targetE0EEEvT1_.num_named_barrier, 0
	.set _ZN7rocprim17ROCPRIM_400000_NS6detail17trampoline_kernelINS0_14default_configENS1_25partition_config_selectorILNS1_17partition_subalgoE6EdNS0_10empty_typeEbEEZZNS1_14partition_implILS5_6ELb0ES3_mN6thrust23THRUST_200600_302600_NS6detail15normal_iteratorINSA_10device_ptrIdEEEEPS6_SG_NS0_5tupleIJSF_S6_EEENSH_IJSG_SG_EEES6_PlJNSB_9not_fun_tI7is_trueIdEEEEEE10hipError_tPvRmT3_T4_T5_T6_T7_T9_mT8_P12ihipStream_tbDpT10_ENKUlT_T0_E_clISt17integral_constantIbLb0EES17_IbLb1EEEEDaS13_S14_EUlS13_E_NS1_11comp_targetILNS1_3genE0ELNS1_11target_archE4294967295ELNS1_3gpuE0ELNS1_3repE0EEENS1_30default_config_static_selectorELNS0_4arch9wavefront6targetE0EEEvT1_.private_seg_size, 0
	.set _ZN7rocprim17ROCPRIM_400000_NS6detail17trampoline_kernelINS0_14default_configENS1_25partition_config_selectorILNS1_17partition_subalgoE6EdNS0_10empty_typeEbEEZZNS1_14partition_implILS5_6ELb0ES3_mN6thrust23THRUST_200600_302600_NS6detail15normal_iteratorINSA_10device_ptrIdEEEEPS6_SG_NS0_5tupleIJSF_S6_EEENSH_IJSG_SG_EEES6_PlJNSB_9not_fun_tI7is_trueIdEEEEEE10hipError_tPvRmT3_T4_T5_T6_T7_T9_mT8_P12ihipStream_tbDpT10_ENKUlT_T0_E_clISt17integral_constantIbLb0EES17_IbLb1EEEEDaS13_S14_EUlS13_E_NS1_11comp_targetILNS1_3genE0ELNS1_11target_archE4294967295ELNS1_3gpuE0ELNS1_3repE0EEENS1_30default_config_static_selectorELNS0_4arch9wavefront6targetE0EEEvT1_.uses_vcc, 0
	.set _ZN7rocprim17ROCPRIM_400000_NS6detail17trampoline_kernelINS0_14default_configENS1_25partition_config_selectorILNS1_17partition_subalgoE6EdNS0_10empty_typeEbEEZZNS1_14partition_implILS5_6ELb0ES3_mN6thrust23THRUST_200600_302600_NS6detail15normal_iteratorINSA_10device_ptrIdEEEEPS6_SG_NS0_5tupleIJSF_S6_EEENSH_IJSG_SG_EEES6_PlJNSB_9not_fun_tI7is_trueIdEEEEEE10hipError_tPvRmT3_T4_T5_T6_T7_T9_mT8_P12ihipStream_tbDpT10_ENKUlT_T0_E_clISt17integral_constantIbLb0EES17_IbLb1EEEEDaS13_S14_EUlS13_E_NS1_11comp_targetILNS1_3genE0ELNS1_11target_archE4294967295ELNS1_3gpuE0ELNS1_3repE0EEENS1_30default_config_static_selectorELNS0_4arch9wavefront6targetE0EEEvT1_.uses_flat_scratch, 0
	.set _ZN7rocprim17ROCPRIM_400000_NS6detail17trampoline_kernelINS0_14default_configENS1_25partition_config_selectorILNS1_17partition_subalgoE6EdNS0_10empty_typeEbEEZZNS1_14partition_implILS5_6ELb0ES3_mN6thrust23THRUST_200600_302600_NS6detail15normal_iteratorINSA_10device_ptrIdEEEEPS6_SG_NS0_5tupleIJSF_S6_EEENSH_IJSG_SG_EEES6_PlJNSB_9not_fun_tI7is_trueIdEEEEEE10hipError_tPvRmT3_T4_T5_T6_T7_T9_mT8_P12ihipStream_tbDpT10_ENKUlT_T0_E_clISt17integral_constantIbLb0EES17_IbLb1EEEEDaS13_S14_EUlS13_E_NS1_11comp_targetILNS1_3genE0ELNS1_11target_archE4294967295ELNS1_3gpuE0ELNS1_3repE0EEENS1_30default_config_static_selectorELNS0_4arch9wavefront6targetE0EEEvT1_.has_dyn_sized_stack, 0
	.set _ZN7rocprim17ROCPRIM_400000_NS6detail17trampoline_kernelINS0_14default_configENS1_25partition_config_selectorILNS1_17partition_subalgoE6EdNS0_10empty_typeEbEEZZNS1_14partition_implILS5_6ELb0ES3_mN6thrust23THRUST_200600_302600_NS6detail15normal_iteratorINSA_10device_ptrIdEEEEPS6_SG_NS0_5tupleIJSF_S6_EEENSH_IJSG_SG_EEES6_PlJNSB_9not_fun_tI7is_trueIdEEEEEE10hipError_tPvRmT3_T4_T5_T6_T7_T9_mT8_P12ihipStream_tbDpT10_ENKUlT_T0_E_clISt17integral_constantIbLb0EES17_IbLb1EEEEDaS13_S14_EUlS13_E_NS1_11comp_targetILNS1_3genE0ELNS1_11target_archE4294967295ELNS1_3gpuE0ELNS1_3repE0EEENS1_30default_config_static_selectorELNS0_4arch9wavefront6targetE0EEEvT1_.has_recursion, 0
	.set _ZN7rocprim17ROCPRIM_400000_NS6detail17trampoline_kernelINS0_14default_configENS1_25partition_config_selectorILNS1_17partition_subalgoE6EdNS0_10empty_typeEbEEZZNS1_14partition_implILS5_6ELb0ES3_mN6thrust23THRUST_200600_302600_NS6detail15normal_iteratorINSA_10device_ptrIdEEEEPS6_SG_NS0_5tupleIJSF_S6_EEENSH_IJSG_SG_EEES6_PlJNSB_9not_fun_tI7is_trueIdEEEEEE10hipError_tPvRmT3_T4_T5_T6_T7_T9_mT8_P12ihipStream_tbDpT10_ENKUlT_T0_E_clISt17integral_constantIbLb0EES17_IbLb1EEEEDaS13_S14_EUlS13_E_NS1_11comp_targetILNS1_3genE0ELNS1_11target_archE4294967295ELNS1_3gpuE0ELNS1_3repE0EEENS1_30default_config_static_selectorELNS0_4arch9wavefront6targetE0EEEvT1_.has_indirect_call, 0
	.section	.AMDGPU.csdata,"",@progbits
; Kernel info:
; codeLenInByte = 0
; TotalNumSgprs: 0
; NumVgprs: 0
; ScratchSize: 0
; MemoryBound: 0
; FloatMode: 240
; IeeeMode: 1
; LDSByteSize: 0 bytes/workgroup (compile time only)
; SGPRBlocks: 0
; VGPRBlocks: 0
; NumSGPRsForWavesPerEU: 1
; NumVGPRsForWavesPerEU: 1
; Occupancy: 16
; WaveLimiterHint : 0
; COMPUTE_PGM_RSRC2:SCRATCH_EN: 0
; COMPUTE_PGM_RSRC2:USER_SGPR: 2
; COMPUTE_PGM_RSRC2:TRAP_HANDLER: 0
; COMPUTE_PGM_RSRC2:TGID_X_EN: 1
; COMPUTE_PGM_RSRC2:TGID_Y_EN: 0
; COMPUTE_PGM_RSRC2:TGID_Z_EN: 0
; COMPUTE_PGM_RSRC2:TIDIG_COMP_CNT: 0
	.section	.text._ZN7rocprim17ROCPRIM_400000_NS6detail17trampoline_kernelINS0_14default_configENS1_25partition_config_selectorILNS1_17partition_subalgoE6EdNS0_10empty_typeEbEEZZNS1_14partition_implILS5_6ELb0ES3_mN6thrust23THRUST_200600_302600_NS6detail15normal_iteratorINSA_10device_ptrIdEEEEPS6_SG_NS0_5tupleIJSF_S6_EEENSH_IJSG_SG_EEES6_PlJNSB_9not_fun_tI7is_trueIdEEEEEE10hipError_tPvRmT3_T4_T5_T6_T7_T9_mT8_P12ihipStream_tbDpT10_ENKUlT_T0_E_clISt17integral_constantIbLb0EES17_IbLb1EEEEDaS13_S14_EUlS13_E_NS1_11comp_targetILNS1_3genE5ELNS1_11target_archE942ELNS1_3gpuE9ELNS1_3repE0EEENS1_30default_config_static_selectorELNS0_4arch9wavefront6targetE0EEEvT1_,"axG",@progbits,_ZN7rocprim17ROCPRIM_400000_NS6detail17trampoline_kernelINS0_14default_configENS1_25partition_config_selectorILNS1_17partition_subalgoE6EdNS0_10empty_typeEbEEZZNS1_14partition_implILS5_6ELb0ES3_mN6thrust23THRUST_200600_302600_NS6detail15normal_iteratorINSA_10device_ptrIdEEEEPS6_SG_NS0_5tupleIJSF_S6_EEENSH_IJSG_SG_EEES6_PlJNSB_9not_fun_tI7is_trueIdEEEEEE10hipError_tPvRmT3_T4_T5_T6_T7_T9_mT8_P12ihipStream_tbDpT10_ENKUlT_T0_E_clISt17integral_constantIbLb0EES17_IbLb1EEEEDaS13_S14_EUlS13_E_NS1_11comp_targetILNS1_3genE5ELNS1_11target_archE942ELNS1_3gpuE9ELNS1_3repE0EEENS1_30default_config_static_selectorELNS0_4arch9wavefront6targetE0EEEvT1_,comdat
	.protected	_ZN7rocprim17ROCPRIM_400000_NS6detail17trampoline_kernelINS0_14default_configENS1_25partition_config_selectorILNS1_17partition_subalgoE6EdNS0_10empty_typeEbEEZZNS1_14partition_implILS5_6ELb0ES3_mN6thrust23THRUST_200600_302600_NS6detail15normal_iteratorINSA_10device_ptrIdEEEEPS6_SG_NS0_5tupleIJSF_S6_EEENSH_IJSG_SG_EEES6_PlJNSB_9not_fun_tI7is_trueIdEEEEEE10hipError_tPvRmT3_T4_T5_T6_T7_T9_mT8_P12ihipStream_tbDpT10_ENKUlT_T0_E_clISt17integral_constantIbLb0EES17_IbLb1EEEEDaS13_S14_EUlS13_E_NS1_11comp_targetILNS1_3genE5ELNS1_11target_archE942ELNS1_3gpuE9ELNS1_3repE0EEENS1_30default_config_static_selectorELNS0_4arch9wavefront6targetE0EEEvT1_ ; -- Begin function _ZN7rocprim17ROCPRIM_400000_NS6detail17trampoline_kernelINS0_14default_configENS1_25partition_config_selectorILNS1_17partition_subalgoE6EdNS0_10empty_typeEbEEZZNS1_14partition_implILS5_6ELb0ES3_mN6thrust23THRUST_200600_302600_NS6detail15normal_iteratorINSA_10device_ptrIdEEEEPS6_SG_NS0_5tupleIJSF_S6_EEENSH_IJSG_SG_EEES6_PlJNSB_9not_fun_tI7is_trueIdEEEEEE10hipError_tPvRmT3_T4_T5_T6_T7_T9_mT8_P12ihipStream_tbDpT10_ENKUlT_T0_E_clISt17integral_constantIbLb0EES17_IbLb1EEEEDaS13_S14_EUlS13_E_NS1_11comp_targetILNS1_3genE5ELNS1_11target_archE942ELNS1_3gpuE9ELNS1_3repE0EEENS1_30default_config_static_selectorELNS0_4arch9wavefront6targetE0EEEvT1_
	.globl	_ZN7rocprim17ROCPRIM_400000_NS6detail17trampoline_kernelINS0_14default_configENS1_25partition_config_selectorILNS1_17partition_subalgoE6EdNS0_10empty_typeEbEEZZNS1_14partition_implILS5_6ELb0ES3_mN6thrust23THRUST_200600_302600_NS6detail15normal_iteratorINSA_10device_ptrIdEEEEPS6_SG_NS0_5tupleIJSF_S6_EEENSH_IJSG_SG_EEES6_PlJNSB_9not_fun_tI7is_trueIdEEEEEE10hipError_tPvRmT3_T4_T5_T6_T7_T9_mT8_P12ihipStream_tbDpT10_ENKUlT_T0_E_clISt17integral_constantIbLb0EES17_IbLb1EEEEDaS13_S14_EUlS13_E_NS1_11comp_targetILNS1_3genE5ELNS1_11target_archE942ELNS1_3gpuE9ELNS1_3repE0EEENS1_30default_config_static_selectorELNS0_4arch9wavefront6targetE0EEEvT1_
	.p2align	8
	.type	_ZN7rocprim17ROCPRIM_400000_NS6detail17trampoline_kernelINS0_14default_configENS1_25partition_config_selectorILNS1_17partition_subalgoE6EdNS0_10empty_typeEbEEZZNS1_14partition_implILS5_6ELb0ES3_mN6thrust23THRUST_200600_302600_NS6detail15normal_iteratorINSA_10device_ptrIdEEEEPS6_SG_NS0_5tupleIJSF_S6_EEENSH_IJSG_SG_EEES6_PlJNSB_9not_fun_tI7is_trueIdEEEEEE10hipError_tPvRmT3_T4_T5_T6_T7_T9_mT8_P12ihipStream_tbDpT10_ENKUlT_T0_E_clISt17integral_constantIbLb0EES17_IbLb1EEEEDaS13_S14_EUlS13_E_NS1_11comp_targetILNS1_3genE5ELNS1_11target_archE942ELNS1_3gpuE9ELNS1_3repE0EEENS1_30default_config_static_selectorELNS0_4arch9wavefront6targetE0EEEvT1_,@function
_ZN7rocprim17ROCPRIM_400000_NS6detail17trampoline_kernelINS0_14default_configENS1_25partition_config_selectorILNS1_17partition_subalgoE6EdNS0_10empty_typeEbEEZZNS1_14partition_implILS5_6ELb0ES3_mN6thrust23THRUST_200600_302600_NS6detail15normal_iteratorINSA_10device_ptrIdEEEEPS6_SG_NS0_5tupleIJSF_S6_EEENSH_IJSG_SG_EEES6_PlJNSB_9not_fun_tI7is_trueIdEEEEEE10hipError_tPvRmT3_T4_T5_T6_T7_T9_mT8_P12ihipStream_tbDpT10_ENKUlT_T0_E_clISt17integral_constantIbLb0EES17_IbLb1EEEEDaS13_S14_EUlS13_E_NS1_11comp_targetILNS1_3genE5ELNS1_11target_archE942ELNS1_3gpuE9ELNS1_3repE0EEENS1_30default_config_static_selectorELNS0_4arch9wavefront6targetE0EEEvT1_: ; @_ZN7rocprim17ROCPRIM_400000_NS6detail17trampoline_kernelINS0_14default_configENS1_25partition_config_selectorILNS1_17partition_subalgoE6EdNS0_10empty_typeEbEEZZNS1_14partition_implILS5_6ELb0ES3_mN6thrust23THRUST_200600_302600_NS6detail15normal_iteratorINSA_10device_ptrIdEEEEPS6_SG_NS0_5tupleIJSF_S6_EEENSH_IJSG_SG_EEES6_PlJNSB_9not_fun_tI7is_trueIdEEEEEE10hipError_tPvRmT3_T4_T5_T6_T7_T9_mT8_P12ihipStream_tbDpT10_ENKUlT_T0_E_clISt17integral_constantIbLb0EES17_IbLb1EEEEDaS13_S14_EUlS13_E_NS1_11comp_targetILNS1_3genE5ELNS1_11target_archE942ELNS1_3gpuE9ELNS1_3repE0EEENS1_30default_config_static_selectorELNS0_4arch9wavefront6targetE0EEEvT1_
; %bb.0:
	.section	.rodata,"a",@progbits
	.p2align	6, 0x0
	.amdhsa_kernel _ZN7rocprim17ROCPRIM_400000_NS6detail17trampoline_kernelINS0_14default_configENS1_25partition_config_selectorILNS1_17partition_subalgoE6EdNS0_10empty_typeEbEEZZNS1_14partition_implILS5_6ELb0ES3_mN6thrust23THRUST_200600_302600_NS6detail15normal_iteratorINSA_10device_ptrIdEEEEPS6_SG_NS0_5tupleIJSF_S6_EEENSH_IJSG_SG_EEES6_PlJNSB_9not_fun_tI7is_trueIdEEEEEE10hipError_tPvRmT3_T4_T5_T6_T7_T9_mT8_P12ihipStream_tbDpT10_ENKUlT_T0_E_clISt17integral_constantIbLb0EES17_IbLb1EEEEDaS13_S14_EUlS13_E_NS1_11comp_targetILNS1_3genE5ELNS1_11target_archE942ELNS1_3gpuE9ELNS1_3repE0EEENS1_30default_config_static_selectorELNS0_4arch9wavefront6targetE0EEEvT1_
		.amdhsa_group_segment_fixed_size 0
		.amdhsa_private_segment_fixed_size 0
		.amdhsa_kernarg_size 128
		.amdhsa_user_sgpr_count 2
		.amdhsa_user_sgpr_dispatch_ptr 0
		.amdhsa_user_sgpr_queue_ptr 0
		.amdhsa_user_sgpr_kernarg_segment_ptr 1
		.amdhsa_user_sgpr_dispatch_id 0
		.amdhsa_user_sgpr_private_segment_size 0
		.amdhsa_wavefront_size32 1
		.amdhsa_uses_dynamic_stack 0
		.amdhsa_enable_private_segment 0
		.amdhsa_system_sgpr_workgroup_id_x 1
		.amdhsa_system_sgpr_workgroup_id_y 0
		.amdhsa_system_sgpr_workgroup_id_z 0
		.amdhsa_system_sgpr_workgroup_info 0
		.amdhsa_system_vgpr_workitem_id 0
		.amdhsa_next_free_vgpr 1
		.amdhsa_next_free_sgpr 1
		.amdhsa_reserve_vcc 0
		.amdhsa_float_round_mode_32 0
		.amdhsa_float_round_mode_16_64 0
		.amdhsa_float_denorm_mode_32 3
		.amdhsa_float_denorm_mode_16_64 3
		.amdhsa_fp16_overflow 0
		.amdhsa_workgroup_processor_mode 1
		.amdhsa_memory_ordered 1
		.amdhsa_forward_progress 1
		.amdhsa_inst_pref_size 0
		.amdhsa_round_robin_scheduling 0
		.amdhsa_exception_fp_ieee_invalid_op 0
		.amdhsa_exception_fp_denorm_src 0
		.amdhsa_exception_fp_ieee_div_zero 0
		.amdhsa_exception_fp_ieee_overflow 0
		.amdhsa_exception_fp_ieee_underflow 0
		.amdhsa_exception_fp_ieee_inexact 0
		.amdhsa_exception_int_div_zero 0
	.end_amdhsa_kernel
	.section	.text._ZN7rocprim17ROCPRIM_400000_NS6detail17trampoline_kernelINS0_14default_configENS1_25partition_config_selectorILNS1_17partition_subalgoE6EdNS0_10empty_typeEbEEZZNS1_14partition_implILS5_6ELb0ES3_mN6thrust23THRUST_200600_302600_NS6detail15normal_iteratorINSA_10device_ptrIdEEEEPS6_SG_NS0_5tupleIJSF_S6_EEENSH_IJSG_SG_EEES6_PlJNSB_9not_fun_tI7is_trueIdEEEEEE10hipError_tPvRmT3_T4_T5_T6_T7_T9_mT8_P12ihipStream_tbDpT10_ENKUlT_T0_E_clISt17integral_constantIbLb0EES17_IbLb1EEEEDaS13_S14_EUlS13_E_NS1_11comp_targetILNS1_3genE5ELNS1_11target_archE942ELNS1_3gpuE9ELNS1_3repE0EEENS1_30default_config_static_selectorELNS0_4arch9wavefront6targetE0EEEvT1_,"axG",@progbits,_ZN7rocprim17ROCPRIM_400000_NS6detail17trampoline_kernelINS0_14default_configENS1_25partition_config_selectorILNS1_17partition_subalgoE6EdNS0_10empty_typeEbEEZZNS1_14partition_implILS5_6ELb0ES3_mN6thrust23THRUST_200600_302600_NS6detail15normal_iteratorINSA_10device_ptrIdEEEEPS6_SG_NS0_5tupleIJSF_S6_EEENSH_IJSG_SG_EEES6_PlJNSB_9not_fun_tI7is_trueIdEEEEEE10hipError_tPvRmT3_T4_T5_T6_T7_T9_mT8_P12ihipStream_tbDpT10_ENKUlT_T0_E_clISt17integral_constantIbLb0EES17_IbLb1EEEEDaS13_S14_EUlS13_E_NS1_11comp_targetILNS1_3genE5ELNS1_11target_archE942ELNS1_3gpuE9ELNS1_3repE0EEENS1_30default_config_static_selectorELNS0_4arch9wavefront6targetE0EEEvT1_,comdat
.Lfunc_end1070:
	.size	_ZN7rocprim17ROCPRIM_400000_NS6detail17trampoline_kernelINS0_14default_configENS1_25partition_config_selectorILNS1_17partition_subalgoE6EdNS0_10empty_typeEbEEZZNS1_14partition_implILS5_6ELb0ES3_mN6thrust23THRUST_200600_302600_NS6detail15normal_iteratorINSA_10device_ptrIdEEEEPS6_SG_NS0_5tupleIJSF_S6_EEENSH_IJSG_SG_EEES6_PlJNSB_9not_fun_tI7is_trueIdEEEEEE10hipError_tPvRmT3_T4_T5_T6_T7_T9_mT8_P12ihipStream_tbDpT10_ENKUlT_T0_E_clISt17integral_constantIbLb0EES17_IbLb1EEEEDaS13_S14_EUlS13_E_NS1_11comp_targetILNS1_3genE5ELNS1_11target_archE942ELNS1_3gpuE9ELNS1_3repE0EEENS1_30default_config_static_selectorELNS0_4arch9wavefront6targetE0EEEvT1_, .Lfunc_end1070-_ZN7rocprim17ROCPRIM_400000_NS6detail17trampoline_kernelINS0_14default_configENS1_25partition_config_selectorILNS1_17partition_subalgoE6EdNS0_10empty_typeEbEEZZNS1_14partition_implILS5_6ELb0ES3_mN6thrust23THRUST_200600_302600_NS6detail15normal_iteratorINSA_10device_ptrIdEEEEPS6_SG_NS0_5tupleIJSF_S6_EEENSH_IJSG_SG_EEES6_PlJNSB_9not_fun_tI7is_trueIdEEEEEE10hipError_tPvRmT3_T4_T5_T6_T7_T9_mT8_P12ihipStream_tbDpT10_ENKUlT_T0_E_clISt17integral_constantIbLb0EES17_IbLb1EEEEDaS13_S14_EUlS13_E_NS1_11comp_targetILNS1_3genE5ELNS1_11target_archE942ELNS1_3gpuE9ELNS1_3repE0EEENS1_30default_config_static_selectorELNS0_4arch9wavefront6targetE0EEEvT1_
                                        ; -- End function
	.set _ZN7rocprim17ROCPRIM_400000_NS6detail17trampoline_kernelINS0_14default_configENS1_25partition_config_selectorILNS1_17partition_subalgoE6EdNS0_10empty_typeEbEEZZNS1_14partition_implILS5_6ELb0ES3_mN6thrust23THRUST_200600_302600_NS6detail15normal_iteratorINSA_10device_ptrIdEEEEPS6_SG_NS0_5tupleIJSF_S6_EEENSH_IJSG_SG_EEES6_PlJNSB_9not_fun_tI7is_trueIdEEEEEE10hipError_tPvRmT3_T4_T5_T6_T7_T9_mT8_P12ihipStream_tbDpT10_ENKUlT_T0_E_clISt17integral_constantIbLb0EES17_IbLb1EEEEDaS13_S14_EUlS13_E_NS1_11comp_targetILNS1_3genE5ELNS1_11target_archE942ELNS1_3gpuE9ELNS1_3repE0EEENS1_30default_config_static_selectorELNS0_4arch9wavefront6targetE0EEEvT1_.num_vgpr, 0
	.set _ZN7rocprim17ROCPRIM_400000_NS6detail17trampoline_kernelINS0_14default_configENS1_25partition_config_selectorILNS1_17partition_subalgoE6EdNS0_10empty_typeEbEEZZNS1_14partition_implILS5_6ELb0ES3_mN6thrust23THRUST_200600_302600_NS6detail15normal_iteratorINSA_10device_ptrIdEEEEPS6_SG_NS0_5tupleIJSF_S6_EEENSH_IJSG_SG_EEES6_PlJNSB_9not_fun_tI7is_trueIdEEEEEE10hipError_tPvRmT3_T4_T5_T6_T7_T9_mT8_P12ihipStream_tbDpT10_ENKUlT_T0_E_clISt17integral_constantIbLb0EES17_IbLb1EEEEDaS13_S14_EUlS13_E_NS1_11comp_targetILNS1_3genE5ELNS1_11target_archE942ELNS1_3gpuE9ELNS1_3repE0EEENS1_30default_config_static_selectorELNS0_4arch9wavefront6targetE0EEEvT1_.num_agpr, 0
	.set _ZN7rocprim17ROCPRIM_400000_NS6detail17trampoline_kernelINS0_14default_configENS1_25partition_config_selectorILNS1_17partition_subalgoE6EdNS0_10empty_typeEbEEZZNS1_14partition_implILS5_6ELb0ES3_mN6thrust23THRUST_200600_302600_NS6detail15normal_iteratorINSA_10device_ptrIdEEEEPS6_SG_NS0_5tupleIJSF_S6_EEENSH_IJSG_SG_EEES6_PlJNSB_9not_fun_tI7is_trueIdEEEEEE10hipError_tPvRmT3_T4_T5_T6_T7_T9_mT8_P12ihipStream_tbDpT10_ENKUlT_T0_E_clISt17integral_constantIbLb0EES17_IbLb1EEEEDaS13_S14_EUlS13_E_NS1_11comp_targetILNS1_3genE5ELNS1_11target_archE942ELNS1_3gpuE9ELNS1_3repE0EEENS1_30default_config_static_selectorELNS0_4arch9wavefront6targetE0EEEvT1_.numbered_sgpr, 0
	.set _ZN7rocprim17ROCPRIM_400000_NS6detail17trampoline_kernelINS0_14default_configENS1_25partition_config_selectorILNS1_17partition_subalgoE6EdNS0_10empty_typeEbEEZZNS1_14partition_implILS5_6ELb0ES3_mN6thrust23THRUST_200600_302600_NS6detail15normal_iteratorINSA_10device_ptrIdEEEEPS6_SG_NS0_5tupleIJSF_S6_EEENSH_IJSG_SG_EEES6_PlJNSB_9not_fun_tI7is_trueIdEEEEEE10hipError_tPvRmT3_T4_T5_T6_T7_T9_mT8_P12ihipStream_tbDpT10_ENKUlT_T0_E_clISt17integral_constantIbLb0EES17_IbLb1EEEEDaS13_S14_EUlS13_E_NS1_11comp_targetILNS1_3genE5ELNS1_11target_archE942ELNS1_3gpuE9ELNS1_3repE0EEENS1_30default_config_static_selectorELNS0_4arch9wavefront6targetE0EEEvT1_.num_named_barrier, 0
	.set _ZN7rocprim17ROCPRIM_400000_NS6detail17trampoline_kernelINS0_14default_configENS1_25partition_config_selectorILNS1_17partition_subalgoE6EdNS0_10empty_typeEbEEZZNS1_14partition_implILS5_6ELb0ES3_mN6thrust23THRUST_200600_302600_NS6detail15normal_iteratorINSA_10device_ptrIdEEEEPS6_SG_NS0_5tupleIJSF_S6_EEENSH_IJSG_SG_EEES6_PlJNSB_9not_fun_tI7is_trueIdEEEEEE10hipError_tPvRmT3_T4_T5_T6_T7_T9_mT8_P12ihipStream_tbDpT10_ENKUlT_T0_E_clISt17integral_constantIbLb0EES17_IbLb1EEEEDaS13_S14_EUlS13_E_NS1_11comp_targetILNS1_3genE5ELNS1_11target_archE942ELNS1_3gpuE9ELNS1_3repE0EEENS1_30default_config_static_selectorELNS0_4arch9wavefront6targetE0EEEvT1_.private_seg_size, 0
	.set _ZN7rocprim17ROCPRIM_400000_NS6detail17trampoline_kernelINS0_14default_configENS1_25partition_config_selectorILNS1_17partition_subalgoE6EdNS0_10empty_typeEbEEZZNS1_14partition_implILS5_6ELb0ES3_mN6thrust23THRUST_200600_302600_NS6detail15normal_iteratorINSA_10device_ptrIdEEEEPS6_SG_NS0_5tupleIJSF_S6_EEENSH_IJSG_SG_EEES6_PlJNSB_9not_fun_tI7is_trueIdEEEEEE10hipError_tPvRmT3_T4_T5_T6_T7_T9_mT8_P12ihipStream_tbDpT10_ENKUlT_T0_E_clISt17integral_constantIbLb0EES17_IbLb1EEEEDaS13_S14_EUlS13_E_NS1_11comp_targetILNS1_3genE5ELNS1_11target_archE942ELNS1_3gpuE9ELNS1_3repE0EEENS1_30default_config_static_selectorELNS0_4arch9wavefront6targetE0EEEvT1_.uses_vcc, 0
	.set _ZN7rocprim17ROCPRIM_400000_NS6detail17trampoline_kernelINS0_14default_configENS1_25partition_config_selectorILNS1_17partition_subalgoE6EdNS0_10empty_typeEbEEZZNS1_14partition_implILS5_6ELb0ES3_mN6thrust23THRUST_200600_302600_NS6detail15normal_iteratorINSA_10device_ptrIdEEEEPS6_SG_NS0_5tupleIJSF_S6_EEENSH_IJSG_SG_EEES6_PlJNSB_9not_fun_tI7is_trueIdEEEEEE10hipError_tPvRmT3_T4_T5_T6_T7_T9_mT8_P12ihipStream_tbDpT10_ENKUlT_T0_E_clISt17integral_constantIbLb0EES17_IbLb1EEEEDaS13_S14_EUlS13_E_NS1_11comp_targetILNS1_3genE5ELNS1_11target_archE942ELNS1_3gpuE9ELNS1_3repE0EEENS1_30default_config_static_selectorELNS0_4arch9wavefront6targetE0EEEvT1_.uses_flat_scratch, 0
	.set _ZN7rocprim17ROCPRIM_400000_NS6detail17trampoline_kernelINS0_14default_configENS1_25partition_config_selectorILNS1_17partition_subalgoE6EdNS0_10empty_typeEbEEZZNS1_14partition_implILS5_6ELb0ES3_mN6thrust23THRUST_200600_302600_NS6detail15normal_iteratorINSA_10device_ptrIdEEEEPS6_SG_NS0_5tupleIJSF_S6_EEENSH_IJSG_SG_EEES6_PlJNSB_9not_fun_tI7is_trueIdEEEEEE10hipError_tPvRmT3_T4_T5_T6_T7_T9_mT8_P12ihipStream_tbDpT10_ENKUlT_T0_E_clISt17integral_constantIbLb0EES17_IbLb1EEEEDaS13_S14_EUlS13_E_NS1_11comp_targetILNS1_3genE5ELNS1_11target_archE942ELNS1_3gpuE9ELNS1_3repE0EEENS1_30default_config_static_selectorELNS0_4arch9wavefront6targetE0EEEvT1_.has_dyn_sized_stack, 0
	.set _ZN7rocprim17ROCPRIM_400000_NS6detail17trampoline_kernelINS0_14default_configENS1_25partition_config_selectorILNS1_17partition_subalgoE6EdNS0_10empty_typeEbEEZZNS1_14partition_implILS5_6ELb0ES3_mN6thrust23THRUST_200600_302600_NS6detail15normal_iteratorINSA_10device_ptrIdEEEEPS6_SG_NS0_5tupleIJSF_S6_EEENSH_IJSG_SG_EEES6_PlJNSB_9not_fun_tI7is_trueIdEEEEEE10hipError_tPvRmT3_T4_T5_T6_T7_T9_mT8_P12ihipStream_tbDpT10_ENKUlT_T0_E_clISt17integral_constantIbLb0EES17_IbLb1EEEEDaS13_S14_EUlS13_E_NS1_11comp_targetILNS1_3genE5ELNS1_11target_archE942ELNS1_3gpuE9ELNS1_3repE0EEENS1_30default_config_static_selectorELNS0_4arch9wavefront6targetE0EEEvT1_.has_recursion, 0
	.set _ZN7rocprim17ROCPRIM_400000_NS6detail17trampoline_kernelINS0_14default_configENS1_25partition_config_selectorILNS1_17partition_subalgoE6EdNS0_10empty_typeEbEEZZNS1_14partition_implILS5_6ELb0ES3_mN6thrust23THRUST_200600_302600_NS6detail15normal_iteratorINSA_10device_ptrIdEEEEPS6_SG_NS0_5tupleIJSF_S6_EEENSH_IJSG_SG_EEES6_PlJNSB_9not_fun_tI7is_trueIdEEEEEE10hipError_tPvRmT3_T4_T5_T6_T7_T9_mT8_P12ihipStream_tbDpT10_ENKUlT_T0_E_clISt17integral_constantIbLb0EES17_IbLb1EEEEDaS13_S14_EUlS13_E_NS1_11comp_targetILNS1_3genE5ELNS1_11target_archE942ELNS1_3gpuE9ELNS1_3repE0EEENS1_30default_config_static_selectorELNS0_4arch9wavefront6targetE0EEEvT1_.has_indirect_call, 0
	.section	.AMDGPU.csdata,"",@progbits
; Kernel info:
; codeLenInByte = 0
; TotalNumSgprs: 0
; NumVgprs: 0
; ScratchSize: 0
; MemoryBound: 0
; FloatMode: 240
; IeeeMode: 1
; LDSByteSize: 0 bytes/workgroup (compile time only)
; SGPRBlocks: 0
; VGPRBlocks: 0
; NumSGPRsForWavesPerEU: 1
; NumVGPRsForWavesPerEU: 1
; Occupancy: 16
; WaveLimiterHint : 0
; COMPUTE_PGM_RSRC2:SCRATCH_EN: 0
; COMPUTE_PGM_RSRC2:USER_SGPR: 2
; COMPUTE_PGM_RSRC2:TRAP_HANDLER: 0
; COMPUTE_PGM_RSRC2:TGID_X_EN: 1
; COMPUTE_PGM_RSRC2:TGID_Y_EN: 0
; COMPUTE_PGM_RSRC2:TGID_Z_EN: 0
; COMPUTE_PGM_RSRC2:TIDIG_COMP_CNT: 0
	.section	.text._ZN7rocprim17ROCPRIM_400000_NS6detail17trampoline_kernelINS0_14default_configENS1_25partition_config_selectorILNS1_17partition_subalgoE6EdNS0_10empty_typeEbEEZZNS1_14partition_implILS5_6ELb0ES3_mN6thrust23THRUST_200600_302600_NS6detail15normal_iteratorINSA_10device_ptrIdEEEEPS6_SG_NS0_5tupleIJSF_S6_EEENSH_IJSG_SG_EEES6_PlJNSB_9not_fun_tI7is_trueIdEEEEEE10hipError_tPvRmT3_T4_T5_T6_T7_T9_mT8_P12ihipStream_tbDpT10_ENKUlT_T0_E_clISt17integral_constantIbLb0EES17_IbLb1EEEEDaS13_S14_EUlS13_E_NS1_11comp_targetILNS1_3genE4ELNS1_11target_archE910ELNS1_3gpuE8ELNS1_3repE0EEENS1_30default_config_static_selectorELNS0_4arch9wavefront6targetE0EEEvT1_,"axG",@progbits,_ZN7rocprim17ROCPRIM_400000_NS6detail17trampoline_kernelINS0_14default_configENS1_25partition_config_selectorILNS1_17partition_subalgoE6EdNS0_10empty_typeEbEEZZNS1_14partition_implILS5_6ELb0ES3_mN6thrust23THRUST_200600_302600_NS6detail15normal_iteratorINSA_10device_ptrIdEEEEPS6_SG_NS0_5tupleIJSF_S6_EEENSH_IJSG_SG_EEES6_PlJNSB_9not_fun_tI7is_trueIdEEEEEE10hipError_tPvRmT3_T4_T5_T6_T7_T9_mT8_P12ihipStream_tbDpT10_ENKUlT_T0_E_clISt17integral_constantIbLb0EES17_IbLb1EEEEDaS13_S14_EUlS13_E_NS1_11comp_targetILNS1_3genE4ELNS1_11target_archE910ELNS1_3gpuE8ELNS1_3repE0EEENS1_30default_config_static_selectorELNS0_4arch9wavefront6targetE0EEEvT1_,comdat
	.protected	_ZN7rocprim17ROCPRIM_400000_NS6detail17trampoline_kernelINS0_14default_configENS1_25partition_config_selectorILNS1_17partition_subalgoE6EdNS0_10empty_typeEbEEZZNS1_14partition_implILS5_6ELb0ES3_mN6thrust23THRUST_200600_302600_NS6detail15normal_iteratorINSA_10device_ptrIdEEEEPS6_SG_NS0_5tupleIJSF_S6_EEENSH_IJSG_SG_EEES6_PlJNSB_9not_fun_tI7is_trueIdEEEEEE10hipError_tPvRmT3_T4_T5_T6_T7_T9_mT8_P12ihipStream_tbDpT10_ENKUlT_T0_E_clISt17integral_constantIbLb0EES17_IbLb1EEEEDaS13_S14_EUlS13_E_NS1_11comp_targetILNS1_3genE4ELNS1_11target_archE910ELNS1_3gpuE8ELNS1_3repE0EEENS1_30default_config_static_selectorELNS0_4arch9wavefront6targetE0EEEvT1_ ; -- Begin function _ZN7rocprim17ROCPRIM_400000_NS6detail17trampoline_kernelINS0_14default_configENS1_25partition_config_selectorILNS1_17partition_subalgoE6EdNS0_10empty_typeEbEEZZNS1_14partition_implILS5_6ELb0ES3_mN6thrust23THRUST_200600_302600_NS6detail15normal_iteratorINSA_10device_ptrIdEEEEPS6_SG_NS0_5tupleIJSF_S6_EEENSH_IJSG_SG_EEES6_PlJNSB_9not_fun_tI7is_trueIdEEEEEE10hipError_tPvRmT3_T4_T5_T6_T7_T9_mT8_P12ihipStream_tbDpT10_ENKUlT_T0_E_clISt17integral_constantIbLb0EES17_IbLb1EEEEDaS13_S14_EUlS13_E_NS1_11comp_targetILNS1_3genE4ELNS1_11target_archE910ELNS1_3gpuE8ELNS1_3repE0EEENS1_30default_config_static_selectorELNS0_4arch9wavefront6targetE0EEEvT1_
	.globl	_ZN7rocprim17ROCPRIM_400000_NS6detail17trampoline_kernelINS0_14default_configENS1_25partition_config_selectorILNS1_17partition_subalgoE6EdNS0_10empty_typeEbEEZZNS1_14partition_implILS5_6ELb0ES3_mN6thrust23THRUST_200600_302600_NS6detail15normal_iteratorINSA_10device_ptrIdEEEEPS6_SG_NS0_5tupleIJSF_S6_EEENSH_IJSG_SG_EEES6_PlJNSB_9not_fun_tI7is_trueIdEEEEEE10hipError_tPvRmT3_T4_T5_T6_T7_T9_mT8_P12ihipStream_tbDpT10_ENKUlT_T0_E_clISt17integral_constantIbLb0EES17_IbLb1EEEEDaS13_S14_EUlS13_E_NS1_11comp_targetILNS1_3genE4ELNS1_11target_archE910ELNS1_3gpuE8ELNS1_3repE0EEENS1_30default_config_static_selectorELNS0_4arch9wavefront6targetE0EEEvT1_
	.p2align	8
	.type	_ZN7rocprim17ROCPRIM_400000_NS6detail17trampoline_kernelINS0_14default_configENS1_25partition_config_selectorILNS1_17partition_subalgoE6EdNS0_10empty_typeEbEEZZNS1_14partition_implILS5_6ELb0ES3_mN6thrust23THRUST_200600_302600_NS6detail15normal_iteratorINSA_10device_ptrIdEEEEPS6_SG_NS0_5tupleIJSF_S6_EEENSH_IJSG_SG_EEES6_PlJNSB_9not_fun_tI7is_trueIdEEEEEE10hipError_tPvRmT3_T4_T5_T6_T7_T9_mT8_P12ihipStream_tbDpT10_ENKUlT_T0_E_clISt17integral_constantIbLb0EES17_IbLb1EEEEDaS13_S14_EUlS13_E_NS1_11comp_targetILNS1_3genE4ELNS1_11target_archE910ELNS1_3gpuE8ELNS1_3repE0EEENS1_30default_config_static_selectorELNS0_4arch9wavefront6targetE0EEEvT1_,@function
_ZN7rocprim17ROCPRIM_400000_NS6detail17trampoline_kernelINS0_14default_configENS1_25partition_config_selectorILNS1_17partition_subalgoE6EdNS0_10empty_typeEbEEZZNS1_14partition_implILS5_6ELb0ES3_mN6thrust23THRUST_200600_302600_NS6detail15normal_iteratorINSA_10device_ptrIdEEEEPS6_SG_NS0_5tupleIJSF_S6_EEENSH_IJSG_SG_EEES6_PlJNSB_9not_fun_tI7is_trueIdEEEEEE10hipError_tPvRmT3_T4_T5_T6_T7_T9_mT8_P12ihipStream_tbDpT10_ENKUlT_T0_E_clISt17integral_constantIbLb0EES17_IbLb1EEEEDaS13_S14_EUlS13_E_NS1_11comp_targetILNS1_3genE4ELNS1_11target_archE910ELNS1_3gpuE8ELNS1_3repE0EEENS1_30default_config_static_selectorELNS0_4arch9wavefront6targetE0EEEvT1_: ; @_ZN7rocprim17ROCPRIM_400000_NS6detail17trampoline_kernelINS0_14default_configENS1_25partition_config_selectorILNS1_17partition_subalgoE6EdNS0_10empty_typeEbEEZZNS1_14partition_implILS5_6ELb0ES3_mN6thrust23THRUST_200600_302600_NS6detail15normal_iteratorINSA_10device_ptrIdEEEEPS6_SG_NS0_5tupleIJSF_S6_EEENSH_IJSG_SG_EEES6_PlJNSB_9not_fun_tI7is_trueIdEEEEEE10hipError_tPvRmT3_T4_T5_T6_T7_T9_mT8_P12ihipStream_tbDpT10_ENKUlT_T0_E_clISt17integral_constantIbLb0EES17_IbLb1EEEEDaS13_S14_EUlS13_E_NS1_11comp_targetILNS1_3genE4ELNS1_11target_archE910ELNS1_3gpuE8ELNS1_3repE0EEENS1_30default_config_static_selectorELNS0_4arch9wavefront6targetE0EEEvT1_
; %bb.0:
	.section	.rodata,"a",@progbits
	.p2align	6, 0x0
	.amdhsa_kernel _ZN7rocprim17ROCPRIM_400000_NS6detail17trampoline_kernelINS0_14default_configENS1_25partition_config_selectorILNS1_17partition_subalgoE6EdNS0_10empty_typeEbEEZZNS1_14partition_implILS5_6ELb0ES3_mN6thrust23THRUST_200600_302600_NS6detail15normal_iteratorINSA_10device_ptrIdEEEEPS6_SG_NS0_5tupleIJSF_S6_EEENSH_IJSG_SG_EEES6_PlJNSB_9not_fun_tI7is_trueIdEEEEEE10hipError_tPvRmT3_T4_T5_T6_T7_T9_mT8_P12ihipStream_tbDpT10_ENKUlT_T0_E_clISt17integral_constantIbLb0EES17_IbLb1EEEEDaS13_S14_EUlS13_E_NS1_11comp_targetILNS1_3genE4ELNS1_11target_archE910ELNS1_3gpuE8ELNS1_3repE0EEENS1_30default_config_static_selectorELNS0_4arch9wavefront6targetE0EEEvT1_
		.amdhsa_group_segment_fixed_size 0
		.amdhsa_private_segment_fixed_size 0
		.amdhsa_kernarg_size 128
		.amdhsa_user_sgpr_count 2
		.amdhsa_user_sgpr_dispatch_ptr 0
		.amdhsa_user_sgpr_queue_ptr 0
		.amdhsa_user_sgpr_kernarg_segment_ptr 1
		.amdhsa_user_sgpr_dispatch_id 0
		.amdhsa_user_sgpr_private_segment_size 0
		.amdhsa_wavefront_size32 1
		.amdhsa_uses_dynamic_stack 0
		.amdhsa_enable_private_segment 0
		.amdhsa_system_sgpr_workgroup_id_x 1
		.amdhsa_system_sgpr_workgroup_id_y 0
		.amdhsa_system_sgpr_workgroup_id_z 0
		.amdhsa_system_sgpr_workgroup_info 0
		.amdhsa_system_vgpr_workitem_id 0
		.amdhsa_next_free_vgpr 1
		.amdhsa_next_free_sgpr 1
		.amdhsa_reserve_vcc 0
		.amdhsa_float_round_mode_32 0
		.amdhsa_float_round_mode_16_64 0
		.amdhsa_float_denorm_mode_32 3
		.amdhsa_float_denorm_mode_16_64 3
		.amdhsa_fp16_overflow 0
		.amdhsa_workgroup_processor_mode 1
		.amdhsa_memory_ordered 1
		.amdhsa_forward_progress 1
		.amdhsa_inst_pref_size 0
		.amdhsa_round_robin_scheduling 0
		.amdhsa_exception_fp_ieee_invalid_op 0
		.amdhsa_exception_fp_denorm_src 0
		.amdhsa_exception_fp_ieee_div_zero 0
		.amdhsa_exception_fp_ieee_overflow 0
		.amdhsa_exception_fp_ieee_underflow 0
		.amdhsa_exception_fp_ieee_inexact 0
		.amdhsa_exception_int_div_zero 0
	.end_amdhsa_kernel
	.section	.text._ZN7rocprim17ROCPRIM_400000_NS6detail17trampoline_kernelINS0_14default_configENS1_25partition_config_selectorILNS1_17partition_subalgoE6EdNS0_10empty_typeEbEEZZNS1_14partition_implILS5_6ELb0ES3_mN6thrust23THRUST_200600_302600_NS6detail15normal_iteratorINSA_10device_ptrIdEEEEPS6_SG_NS0_5tupleIJSF_S6_EEENSH_IJSG_SG_EEES6_PlJNSB_9not_fun_tI7is_trueIdEEEEEE10hipError_tPvRmT3_T4_T5_T6_T7_T9_mT8_P12ihipStream_tbDpT10_ENKUlT_T0_E_clISt17integral_constantIbLb0EES17_IbLb1EEEEDaS13_S14_EUlS13_E_NS1_11comp_targetILNS1_3genE4ELNS1_11target_archE910ELNS1_3gpuE8ELNS1_3repE0EEENS1_30default_config_static_selectorELNS0_4arch9wavefront6targetE0EEEvT1_,"axG",@progbits,_ZN7rocprim17ROCPRIM_400000_NS6detail17trampoline_kernelINS0_14default_configENS1_25partition_config_selectorILNS1_17partition_subalgoE6EdNS0_10empty_typeEbEEZZNS1_14partition_implILS5_6ELb0ES3_mN6thrust23THRUST_200600_302600_NS6detail15normal_iteratorINSA_10device_ptrIdEEEEPS6_SG_NS0_5tupleIJSF_S6_EEENSH_IJSG_SG_EEES6_PlJNSB_9not_fun_tI7is_trueIdEEEEEE10hipError_tPvRmT3_T4_T5_T6_T7_T9_mT8_P12ihipStream_tbDpT10_ENKUlT_T0_E_clISt17integral_constantIbLb0EES17_IbLb1EEEEDaS13_S14_EUlS13_E_NS1_11comp_targetILNS1_3genE4ELNS1_11target_archE910ELNS1_3gpuE8ELNS1_3repE0EEENS1_30default_config_static_selectorELNS0_4arch9wavefront6targetE0EEEvT1_,comdat
.Lfunc_end1071:
	.size	_ZN7rocprim17ROCPRIM_400000_NS6detail17trampoline_kernelINS0_14default_configENS1_25partition_config_selectorILNS1_17partition_subalgoE6EdNS0_10empty_typeEbEEZZNS1_14partition_implILS5_6ELb0ES3_mN6thrust23THRUST_200600_302600_NS6detail15normal_iteratorINSA_10device_ptrIdEEEEPS6_SG_NS0_5tupleIJSF_S6_EEENSH_IJSG_SG_EEES6_PlJNSB_9not_fun_tI7is_trueIdEEEEEE10hipError_tPvRmT3_T4_T5_T6_T7_T9_mT8_P12ihipStream_tbDpT10_ENKUlT_T0_E_clISt17integral_constantIbLb0EES17_IbLb1EEEEDaS13_S14_EUlS13_E_NS1_11comp_targetILNS1_3genE4ELNS1_11target_archE910ELNS1_3gpuE8ELNS1_3repE0EEENS1_30default_config_static_selectorELNS0_4arch9wavefront6targetE0EEEvT1_, .Lfunc_end1071-_ZN7rocprim17ROCPRIM_400000_NS6detail17trampoline_kernelINS0_14default_configENS1_25partition_config_selectorILNS1_17partition_subalgoE6EdNS0_10empty_typeEbEEZZNS1_14partition_implILS5_6ELb0ES3_mN6thrust23THRUST_200600_302600_NS6detail15normal_iteratorINSA_10device_ptrIdEEEEPS6_SG_NS0_5tupleIJSF_S6_EEENSH_IJSG_SG_EEES6_PlJNSB_9not_fun_tI7is_trueIdEEEEEE10hipError_tPvRmT3_T4_T5_T6_T7_T9_mT8_P12ihipStream_tbDpT10_ENKUlT_T0_E_clISt17integral_constantIbLb0EES17_IbLb1EEEEDaS13_S14_EUlS13_E_NS1_11comp_targetILNS1_3genE4ELNS1_11target_archE910ELNS1_3gpuE8ELNS1_3repE0EEENS1_30default_config_static_selectorELNS0_4arch9wavefront6targetE0EEEvT1_
                                        ; -- End function
	.set _ZN7rocprim17ROCPRIM_400000_NS6detail17trampoline_kernelINS0_14default_configENS1_25partition_config_selectorILNS1_17partition_subalgoE6EdNS0_10empty_typeEbEEZZNS1_14partition_implILS5_6ELb0ES3_mN6thrust23THRUST_200600_302600_NS6detail15normal_iteratorINSA_10device_ptrIdEEEEPS6_SG_NS0_5tupleIJSF_S6_EEENSH_IJSG_SG_EEES6_PlJNSB_9not_fun_tI7is_trueIdEEEEEE10hipError_tPvRmT3_T4_T5_T6_T7_T9_mT8_P12ihipStream_tbDpT10_ENKUlT_T0_E_clISt17integral_constantIbLb0EES17_IbLb1EEEEDaS13_S14_EUlS13_E_NS1_11comp_targetILNS1_3genE4ELNS1_11target_archE910ELNS1_3gpuE8ELNS1_3repE0EEENS1_30default_config_static_selectorELNS0_4arch9wavefront6targetE0EEEvT1_.num_vgpr, 0
	.set _ZN7rocprim17ROCPRIM_400000_NS6detail17trampoline_kernelINS0_14default_configENS1_25partition_config_selectorILNS1_17partition_subalgoE6EdNS0_10empty_typeEbEEZZNS1_14partition_implILS5_6ELb0ES3_mN6thrust23THRUST_200600_302600_NS6detail15normal_iteratorINSA_10device_ptrIdEEEEPS6_SG_NS0_5tupleIJSF_S6_EEENSH_IJSG_SG_EEES6_PlJNSB_9not_fun_tI7is_trueIdEEEEEE10hipError_tPvRmT3_T4_T5_T6_T7_T9_mT8_P12ihipStream_tbDpT10_ENKUlT_T0_E_clISt17integral_constantIbLb0EES17_IbLb1EEEEDaS13_S14_EUlS13_E_NS1_11comp_targetILNS1_3genE4ELNS1_11target_archE910ELNS1_3gpuE8ELNS1_3repE0EEENS1_30default_config_static_selectorELNS0_4arch9wavefront6targetE0EEEvT1_.num_agpr, 0
	.set _ZN7rocprim17ROCPRIM_400000_NS6detail17trampoline_kernelINS0_14default_configENS1_25partition_config_selectorILNS1_17partition_subalgoE6EdNS0_10empty_typeEbEEZZNS1_14partition_implILS5_6ELb0ES3_mN6thrust23THRUST_200600_302600_NS6detail15normal_iteratorINSA_10device_ptrIdEEEEPS6_SG_NS0_5tupleIJSF_S6_EEENSH_IJSG_SG_EEES6_PlJNSB_9not_fun_tI7is_trueIdEEEEEE10hipError_tPvRmT3_T4_T5_T6_T7_T9_mT8_P12ihipStream_tbDpT10_ENKUlT_T0_E_clISt17integral_constantIbLb0EES17_IbLb1EEEEDaS13_S14_EUlS13_E_NS1_11comp_targetILNS1_3genE4ELNS1_11target_archE910ELNS1_3gpuE8ELNS1_3repE0EEENS1_30default_config_static_selectorELNS0_4arch9wavefront6targetE0EEEvT1_.numbered_sgpr, 0
	.set _ZN7rocprim17ROCPRIM_400000_NS6detail17trampoline_kernelINS0_14default_configENS1_25partition_config_selectorILNS1_17partition_subalgoE6EdNS0_10empty_typeEbEEZZNS1_14partition_implILS5_6ELb0ES3_mN6thrust23THRUST_200600_302600_NS6detail15normal_iteratorINSA_10device_ptrIdEEEEPS6_SG_NS0_5tupleIJSF_S6_EEENSH_IJSG_SG_EEES6_PlJNSB_9not_fun_tI7is_trueIdEEEEEE10hipError_tPvRmT3_T4_T5_T6_T7_T9_mT8_P12ihipStream_tbDpT10_ENKUlT_T0_E_clISt17integral_constantIbLb0EES17_IbLb1EEEEDaS13_S14_EUlS13_E_NS1_11comp_targetILNS1_3genE4ELNS1_11target_archE910ELNS1_3gpuE8ELNS1_3repE0EEENS1_30default_config_static_selectorELNS0_4arch9wavefront6targetE0EEEvT1_.num_named_barrier, 0
	.set _ZN7rocprim17ROCPRIM_400000_NS6detail17trampoline_kernelINS0_14default_configENS1_25partition_config_selectorILNS1_17partition_subalgoE6EdNS0_10empty_typeEbEEZZNS1_14partition_implILS5_6ELb0ES3_mN6thrust23THRUST_200600_302600_NS6detail15normal_iteratorINSA_10device_ptrIdEEEEPS6_SG_NS0_5tupleIJSF_S6_EEENSH_IJSG_SG_EEES6_PlJNSB_9not_fun_tI7is_trueIdEEEEEE10hipError_tPvRmT3_T4_T5_T6_T7_T9_mT8_P12ihipStream_tbDpT10_ENKUlT_T0_E_clISt17integral_constantIbLb0EES17_IbLb1EEEEDaS13_S14_EUlS13_E_NS1_11comp_targetILNS1_3genE4ELNS1_11target_archE910ELNS1_3gpuE8ELNS1_3repE0EEENS1_30default_config_static_selectorELNS0_4arch9wavefront6targetE0EEEvT1_.private_seg_size, 0
	.set _ZN7rocprim17ROCPRIM_400000_NS6detail17trampoline_kernelINS0_14default_configENS1_25partition_config_selectorILNS1_17partition_subalgoE6EdNS0_10empty_typeEbEEZZNS1_14partition_implILS5_6ELb0ES3_mN6thrust23THRUST_200600_302600_NS6detail15normal_iteratorINSA_10device_ptrIdEEEEPS6_SG_NS0_5tupleIJSF_S6_EEENSH_IJSG_SG_EEES6_PlJNSB_9not_fun_tI7is_trueIdEEEEEE10hipError_tPvRmT3_T4_T5_T6_T7_T9_mT8_P12ihipStream_tbDpT10_ENKUlT_T0_E_clISt17integral_constantIbLb0EES17_IbLb1EEEEDaS13_S14_EUlS13_E_NS1_11comp_targetILNS1_3genE4ELNS1_11target_archE910ELNS1_3gpuE8ELNS1_3repE0EEENS1_30default_config_static_selectorELNS0_4arch9wavefront6targetE0EEEvT1_.uses_vcc, 0
	.set _ZN7rocprim17ROCPRIM_400000_NS6detail17trampoline_kernelINS0_14default_configENS1_25partition_config_selectorILNS1_17partition_subalgoE6EdNS0_10empty_typeEbEEZZNS1_14partition_implILS5_6ELb0ES3_mN6thrust23THRUST_200600_302600_NS6detail15normal_iteratorINSA_10device_ptrIdEEEEPS6_SG_NS0_5tupleIJSF_S6_EEENSH_IJSG_SG_EEES6_PlJNSB_9not_fun_tI7is_trueIdEEEEEE10hipError_tPvRmT3_T4_T5_T6_T7_T9_mT8_P12ihipStream_tbDpT10_ENKUlT_T0_E_clISt17integral_constantIbLb0EES17_IbLb1EEEEDaS13_S14_EUlS13_E_NS1_11comp_targetILNS1_3genE4ELNS1_11target_archE910ELNS1_3gpuE8ELNS1_3repE0EEENS1_30default_config_static_selectorELNS0_4arch9wavefront6targetE0EEEvT1_.uses_flat_scratch, 0
	.set _ZN7rocprim17ROCPRIM_400000_NS6detail17trampoline_kernelINS0_14default_configENS1_25partition_config_selectorILNS1_17partition_subalgoE6EdNS0_10empty_typeEbEEZZNS1_14partition_implILS5_6ELb0ES3_mN6thrust23THRUST_200600_302600_NS6detail15normal_iteratorINSA_10device_ptrIdEEEEPS6_SG_NS0_5tupleIJSF_S6_EEENSH_IJSG_SG_EEES6_PlJNSB_9not_fun_tI7is_trueIdEEEEEE10hipError_tPvRmT3_T4_T5_T6_T7_T9_mT8_P12ihipStream_tbDpT10_ENKUlT_T0_E_clISt17integral_constantIbLb0EES17_IbLb1EEEEDaS13_S14_EUlS13_E_NS1_11comp_targetILNS1_3genE4ELNS1_11target_archE910ELNS1_3gpuE8ELNS1_3repE0EEENS1_30default_config_static_selectorELNS0_4arch9wavefront6targetE0EEEvT1_.has_dyn_sized_stack, 0
	.set _ZN7rocprim17ROCPRIM_400000_NS6detail17trampoline_kernelINS0_14default_configENS1_25partition_config_selectorILNS1_17partition_subalgoE6EdNS0_10empty_typeEbEEZZNS1_14partition_implILS5_6ELb0ES3_mN6thrust23THRUST_200600_302600_NS6detail15normal_iteratorINSA_10device_ptrIdEEEEPS6_SG_NS0_5tupleIJSF_S6_EEENSH_IJSG_SG_EEES6_PlJNSB_9not_fun_tI7is_trueIdEEEEEE10hipError_tPvRmT3_T4_T5_T6_T7_T9_mT8_P12ihipStream_tbDpT10_ENKUlT_T0_E_clISt17integral_constantIbLb0EES17_IbLb1EEEEDaS13_S14_EUlS13_E_NS1_11comp_targetILNS1_3genE4ELNS1_11target_archE910ELNS1_3gpuE8ELNS1_3repE0EEENS1_30default_config_static_selectorELNS0_4arch9wavefront6targetE0EEEvT1_.has_recursion, 0
	.set _ZN7rocprim17ROCPRIM_400000_NS6detail17trampoline_kernelINS0_14default_configENS1_25partition_config_selectorILNS1_17partition_subalgoE6EdNS0_10empty_typeEbEEZZNS1_14partition_implILS5_6ELb0ES3_mN6thrust23THRUST_200600_302600_NS6detail15normal_iteratorINSA_10device_ptrIdEEEEPS6_SG_NS0_5tupleIJSF_S6_EEENSH_IJSG_SG_EEES6_PlJNSB_9not_fun_tI7is_trueIdEEEEEE10hipError_tPvRmT3_T4_T5_T6_T7_T9_mT8_P12ihipStream_tbDpT10_ENKUlT_T0_E_clISt17integral_constantIbLb0EES17_IbLb1EEEEDaS13_S14_EUlS13_E_NS1_11comp_targetILNS1_3genE4ELNS1_11target_archE910ELNS1_3gpuE8ELNS1_3repE0EEENS1_30default_config_static_selectorELNS0_4arch9wavefront6targetE0EEEvT1_.has_indirect_call, 0
	.section	.AMDGPU.csdata,"",@progbits
; Kernel info:
; codeLenInByte = 0
; TotalNumSgprs: 0
; NumVgprs: 0
; ScratchSize: 0
; MemoryBound: 0
; FloatMode: 240
; IeeeMode: 1
; LDSByteSize: 0 bytes/workgroup (compile time only)
; SGPRBlocks: 0
; VGPRBlocks: 0
; NumSGPRsForWavesPerEU: 1
; NumVGPRsForWavesPerEU: 1
; Occupancy: 16
; WaveLimiterHint : 0
; COMPUTE_PGM_RSRC2:SCRATCH_EN: 0
; COMPUTE_PGM_RSRC2:USER_SGPR: 2
; COMPUTE_PGM_RSRC2:TRAP_HANDLER: 0
; COMPUTE_PGM_RSRC2:TGID_X_EN: 1
; COMPUTE_PGM_RSRC2:TGID_Y_EN: 0
; COMPUTE_PGM_RSRC2:TGID_Z_EN: 0
; COMPUTE_PGM_RSRC2:TIDIG_COMP_CNT: 0
	.section	.text._ZN7rocprim17ROCPRIM_400000_NS6detail17trampoline_kernelINS0_14default_configENS1_25partition_config_selectorILNS1_17partition_subalgoE6EdNS0_10empty_typeEbEEZZNS1_14partition_implILS5_6ELb0ES3_mN6thrust23THRUST_200600_302600_NS6detail15normal_iteratorINSA_10device_ptrIdEEEEPS6_SG_NS0_5tupleIJSF_S6_EEENSH_IJSG_SG_EEES6_PlJNSB_9not_fun_tI7is_trueIdEEEEEE10hipError_tPvRmT3_T4_T5_T6_T7_T9_mT8_P12ihipStream_tbDpT10_ENKUlT_T0_E_clISt17integral_constantIbLb0EES17_IbLb1EEEEDaS13_S14_EUlS13_E_NS1_11comp_targetILNS1_3genE3ELNS1_11target_archE908ELNS1_3gpuE7ELNS1_3repE0EEENS1_30default_config_static_selectorELNS0_4arch9wavefront6targetE0EEEvT1_,"axG",@progbits,_ZN7rocprim17ROCPRIM_400000_NS6detail17trampoline_kernelINS0_14default_configENS1_25partition_config_selectorILNS1_17partition_subalgoE6EdNS0_10empty_typeEbEEZZNS1_14partition_implILS5_6ELb0ES3_mN6thrust23THRUST_200600_302600_NS6detail15normal_iteratorINSA_10device_ptrIdEEEEPS6_SG_NS0_5tupleIJSF_S6_EEENSH_IJSG_SG_EEES6_PlJNSB_9not_fun_tI7is_trueIdEEEEEE10hipError_tPvRmT3_T4_T5_T6_T7_T9_mT8_P12ihipStream_tbDpT10_ENKUlT_T0_E_clISt17integral_constantIbLb0EES17_IbLb1EEEEDaS13_S14_EUlS13_E_NS1_11comp_targetILNS1_3genE3ELNS1_11target_archE908ELNS1_3gpuE7ELNS1_3repE0EEENS1_30default_config_static_selectorELNS0_4arch9wavefront6targetE0EEEvT1_,comdat
	.protected	_ZN7rocprim17ROCPRIM_400000_NS6detail17trampoline_kernelINS0_14default_configENS1_25partition_config_selectorILNS1_17partition_subalgoE6EdNS0_10empty_typeEbEEZZNS1_14partition_implILS5_6ELb0ES3_mN6thrust23THRUST_200600_302600_NS6detail15normal_iteratorINSA_10device_ptrIdEEEEPS6_SG_NS0_5tupleIJSF_S6_EEENSH_IJSG_SG_EEES6_PlJNSB_9not_fun_tI7is_trueIdEEEEEE10hipError_tPvRmT3_T4_T5_T6_T7_T9_mT8_P12ihipStream_tbDpT10_ENKUlT_T0_E_clISt17integral_constantIbLb0EES17_IbLb1EEEEDaS13_S14_EUlS13_E_NS1_11comp_targetILNS1_3genE3ELNS1_11target_archE908ELNS1_3gpuE7ELNS1_3repE0EEENS1_30default_config_static_selectorELNS0_4arch9wavefront6targetE0EEEvT1_ ; -- Begin function _ZN7rocprim17ROCPRIM_400000_NS6detail17trampoline_kernelINS0_14default_configENS1_25partition_config_selectorILNS1_17partition_subalgoE6EdNS0_10empty_typeEbEEZZNS1_14partition_implILS5_6ELb0ES3_mN6thrust23THRUST_200600_302600_NS6detail15normal_iteratorINSA_10device_ptrIdEEEEPS6_SG_NS0_5tupleIJSF_S6_EEENSH_IJSG_SG_EEES6_PlJNSB_9not_fun_tI7is_trueIdEEEEEE10hipError_tPvRmT3_T4_T5_T6_T7_T9_mT8_P12ihipStream_tbDpT10_ENKUlT_T0_E_clISt17integral_constantIbLb0EES17_IbLb1EEEEDaS13_S14_EUlS13_E_NS1_11comp_targetILNS1_3genE3ELNS1_11target_archE908ELNS1_3gpuE7ELNS1_3repE0EEENS1_30default_config_static_selectorELNS0_4arch9wavefront6targetE0EEEvT1_
	.globl	_ZN7rocprim17ROCPRIM_400000_NS6detail17trampoline_kernelINS0_14default_configENS1_25partition_config_selectorILNS1_17partition_subalgoE6EdNS0_10empty_typeEbEEZZNS1_14partition_implILS5_6ELb0ES3_mN6thrust23THRUST_200600_302600_NS6detail15normal_iteratorINSA_10device_ptrIdEEEEPS6_SG_NS0_5tupleIJSF_S6_EEENSH_IJSG_SG_EEES6_PlJNSB_9not_fun_tI7is_trueIdEEEEEE10hipError_tPvRmT3_T4_T5_T6_T7_T9_mT8_P12ihipStream_tbDpT10_ENKUlT_T0_E_clISt17integral_constantIbLb0EES17_IbLb1EEEEDaS13_S14_EUlS13_E_NS1_11comp_targetILNS1_3genE3ELNS1_11target_archE908ELNS1_3gpuE7ELNS1_3repE0EEENS1_30default_config_static_selectorELNS0_4arch9wavefront6targetE0EEEvT1_
	.p2align	8
	.type	_ZN7rocprim17ROCPRIM_400000_NS6detail17trampoline_kernelINS0_14default_configENS1_25partition_config_selectorILNS1_17partition_subalgoE6EdNS0_10empty_typeEbEEZZNS1_14partition_implILS5_6ELb0ES3_mN6thrust23THRUST_200600_302600_NS6detail15normal_iteratorINSA_10device_ptrIdEEEEPS6_SG_NS0_5tupleIJSF_S6_EEENSH_IJSG_SG_EEES6_PlJNSB_9not_fun_tI7is_trueIdEEEEEE10hipError_tPvRmT3_T4_T5_T6_T7_T9_mT8_P12ihipStream_tbDpT10_ENKUlT_T0_E_clISt17integral_constantIbLb0EES17_IbLb1EEEEDaS13_S14_EUlS13_E_NS1_11comp_targetILNS1_3genE3ELNS1_11target_archE908ELNS1_3gpuE7ELNS1_3repE0EEENS1_30default_config_static_selectorELNS0_4arch9wavefront6targetE0EEEvT1_,@function
_ZN7rocprim17ROCPRIM_400000_NS6detail17trampoline_kernelINS0_14default_configENS1_25partition_config_selectorILNS1_17partition_subalgoE6EdNS0_10empty_typeEbEEZZNS1_14partition_implILS5_6ELb0ES3_mN6thrust23THRUST_200600_302600_NS6detail15normal_iteratorINSA_10device_ptrIdEEEEPS6_SG_NS0_5tupleIJSF_S6_EEENSH_IJSG_SG_EEES6_PlJNSB_9not_fun_tI7is_trueIdEEEEEE10hipError_tPvRmT3_T4_T5_T6_T7_T9_mT8_P12ihipStream_tbDpT10_ENKUlT_T0_E_clISt17integral_constantIbLb0EES17_IbLb1EEEEDaS13_S14_EUlS13_E_NS1_11comp_targetILNS1_3genE3ELNS1_11target_archE908ELNS1_3gpuE7ELNS1_3repE0EEENS1_30default_config_static_selectorELNS0_4arch9wavefront6targetE0EEEvT1_: ; @_ZN7rocprim17ROCPRIM_400000_NS6detail17trampoline_kernelINS0_14default_configENS1_25partition_config_selectorILNS1_17partition_subalgoE6EdNS0_10empty_typeEbEEZZNS1_14partition_implILS5_6ELb0ES3_mN6thrust23THRUST_200600_302600_NS6detail15normal_iteratorINSA_10device_ptrIdEEEEPS6_SG_NS0_5tupleIJSF_S6_EEENSH_IJSG_SG_EEES6_PlJNSB_9not_fun_tI7is_trueIdEEEEEE10hipError_tPvRmT3_T4_T5_T6_T7_T9_mT8_P12ihipStream_tbDpT10_ENKUlT_T0_E_clISt17integral_constantIbLb0EES17_IbLb1EEEEDaS13_S14_EUlS13_E_NS1_11comp_targetILNS1_3genE3ELNS1_11target_archE908ELNS1_3gpuE7ELNS1_3repE0EEENS1_30default_config_static_selectorELNS0_4arch9wavefront6targetE0EEEvT1_
; %bb.0:
	.section	.rodata,"a",@progbits
	.p2align	6, 0x0
	.amdhsa_kernel _ZN7rocprim17ROCPRIM_400000_NS6detail17trampoline_kernelINS0_14default_configENS1_25partition_config_selectorILNS1_17partition_subalgoE6EdNS0_10empty_typeEbEEZZNS1_14partition_implILS5_6ELb0ES3_mN6thrust23THRUST_200600_302600_NS6detail15normal_iteratorINSA_10device_ptrIdEEEEPS6_SG_NS0_5tupleIJSF_S6_EEENSH_IJSG_SG_EEES6_PlJNSB_9not_fun_tI7is_trueIdEEEEEE10hipError_tPvRmT3_T4_T5_T6_T7_T9_mT8_P12ihipStream_tbDpT10_ENKUlT_T0_E_clISt17integral_constantIbLb0EES17_IbLb1EEEEDaS13_S14_EUlS13_E_NS1_11comp_targetILNS1_3genE3ELNS1_11target_archE908ELNS1_3gpuE7ELNS1_3repE0EEENS1_30default_config_static_selectorELNS0_4arch9wavefront6targetE0EEEvT1_
		.amdhsa_group_segment_fixed_size 0
		.amdhsa_private_segment_fixed_size 0
		.amdhsa_kernarg_size 128
		.amdhsa_user_sgpr_count 2
		.amdhsa_user_sgpr_dispatch_ptr 0
		.amdhsa_user_sgpr_queue_ptr 0
		.amdhsa_user_sgpr_kernarg_segment_ptr 1
		.amdhsa_user_sgpr_dispatch_id 0
		.amdhsa_user_sgpr_private_segment_size 0
		.amdhsa_wavefront_size32 1
		.amdhsa_uses_dynamic_stack 0
		.amdhsa_enable_private_segment 0
		.amdhsa_system_sgpr_workgroup_id_x 1
		.amdhsa_system_sgpr_workgroup_id_y 0
		.amdhsa_system_sgpr_workgroup_id_z 0
		.amdhsa_system_sgpr_workgroup_info 0
		.amdhsa_system_vgpr_workitem_id 0
		.amdhsa_next_free_vgpr 1
		.amdhsa_next_free_sgpr 1
		.amdhsa_reserve_vcc 0
		.amdhsa_float_round_mode_32 0
		.amdhsa_float_round_mode_16_64 0
		.amdhsa_float_denorm_mode_32 3
		.amdhsa_float_denorm_mode_16_64 3
		.amdhsa_fp16_overflow 0
		.amdhsa_workgroup_processor_mode 1
		.amdhsa_memory_ordered 1
		.amdhsa_forward_progress 1
		.amdhsa_inst_pref_size 0
		.amdhsa_round_robin_scheduling 0
		.amdhsa_exception_fp_ieee_invalid_op 0
		.amdhsa_exception_fp_denorm_src 0
		.amdhsa_exception_fp_ieee_div_zero 0
		.amdhsa_exception_fp_ieee_overflow 0
		.amdhsa_exception_fp_ieee_underflow 0
		.amdhsa_exception_fp_ieee_inexact 0
		.amdhsa_exception_int_div_zero 0
	.end_amdhsa_kernel
	.section	.text._ZN7rocprim17ROCPRIM_400000_NS6detail17trampoline_kernelINS0_14default_configENS1_25partition_config_selectorILNS1_17partition_subalgoE6EdNS0_10empty_typeEbEEZZNS1_14partition_implILS5_6ELb0ES3_mN6thrust23THRUST_200600_302600_NS6detail15normal_iteratorINSA_10device_ptrIdEEEEPS6_SG_NS0_5tupleIJSF_S6_EEENSH_IJSG_SG_EEES6_PlJNSB_9not_fun_tI7is_trueIdEEEEEE10hipError_tPvRmT3_T4_T5_T6_T7_T9_mT8_P12ihipStream_tbDpT10_ENKUlT_T0_E_clISt17integral_constantIbLb0EES17_IbLb1EEEEDaS13_S14_EUlS13_E_NS1_11comp_targetILNS1_3genE3ELNS1_11target_archE908ELNS1_3gpuE7ELNS1_3repE0EEENS1_30default_config_static_selectorELNS0_4arch9wavefront6targetE0EEEvT1_,"axG",@progbits,_ZN7rocprim17ROCPRIM_400000_NS6detail17trampoline_kernelINS0_14default_configENS1_25partition_config_selectorILNS1_17partition_subalgoE6EdNS0_10empty_typeEbEEZZNS1_14partition_implILS5_6ELb0ES3_mN6thrust23THRUST_200600_302600_NS6detail15normal_iteratorINSA_10device_ptrIdEEEEPS6_SG_NS0_5tupleIJSF_S6_EEENSH_IJSG_SG_EEES6_PlJNSB_9not_fun_tI7is_trueIdEEEEEE10hipError_tPvRmT3_T4_T5_T6_T7_T9_mT8_P12ihipStream_tbDpT10_ENKUlT_T0_E_clISt17integral_constantIbLb0EES17_IbLb1EEEEDaS13_S14_EUlS13_E_NS1_11comp_targetILNS1_3genE3ELNS1_11target_archE908ELNS1_3gpuE7ELNS1_3repE0EEENS1_30default_config_static_selectorELNS0_4arch9wavefront6targetE0EEEvT1_,comdat
.Lfunc_end1072:
	.size	_ZN7rocprim17ROCPRIM_400000_NS6detail17trampoline_kernelINS0_14default_configENS1_25partition_config_selectorILNS1_17partition_subalgoE6EdNS0_10empty_typeEbEEZZNS1_14partition_implILS5_6ELb0ES3_mN6thrust23THRUST_200600_302600_NS6detail15normal_iteratorINSA_10device_ptrIdEEEEPS6_SG_NS0_5tupleIJSF_S6_EEENSH_IJSG_SG_EEES6_PlJNSB_9not_fun_tI7is_trueIdEEEEEE10hipError_tPvRmT3_T4_T5_T6_T7_T9_mT8_P12ihipStream_tbDpT10_ENKUlT_T0_E_clISt17integral_constantIbLb0EES17_IbLb1EEEEDaS13_S14_EUlS13_E_NS1_11comp_targetILNS1_3genE3ELNS1_11target_archE908ELNS1_3gpuE7ELNS1_3repE0EEENS1_30default_config_static_selectorELNS0_4arch9wavefront6targetE0EEEvT1_, .Lfunc_end1072-_ZN7rocprim17ROCPRIM_400000_NS6detail17trampoline_kernelINS0_14default_configENS1_25partition_config_selectorILNS1_17partition_subalgoE6EdNS0_10empty_typeEbEEZZNS1_14partition_implILS5_6ELb0ES3_mN6thrust23THRUST_200600_302600_NS6detail15normal_iteratorINSA_10device_ptrIdEEEEPS6_SG_NS0_5tupleIJSF_S6_EEENSH_IJSG_SG_EEES6_PlJNSB_9not_fun_tI7is_trueIdEEEEEE10hipError_tPvRmT3_T4_T5_T6_T7_T9_mT8_P12ihipStream_tbDpT10_ENKUlT_T0_E_clISt17integral_constantIbLb0EES17_IbLb1EEEEDaS13_S14_EUlS13_E_NS1_11comp_targetILNS1_3genE3ELNS1_11target_archE908ELNS1_3gpuE7ELNS1_3repE0EEENS1_30default_config_static_selectorELNS0_4arch9wavefront6targetE0EEEvT1_
                                        ; -- End function
	.set _ZN7rocprim17ROCPRIM_400000_NS6detail17trampoline_kernelINS0_14default_configENS1_25partition_config_selectorILNS1_17partition_subalgoE6EdNS0_10empty_typeEbEEZZNS1_14partition_implILS5_6ELb0ES3_mN6thrust23THRUST_200600_302600_NS6detail15normal_iteratorINSA_10device_ptrIdEEEEPS6_SG_NS0_5tupleIJSF_S6_EEENSH_IJSG_SG_EEES6_PlJNSB_9not_fun_tI7is_trueIdEEEEEE10hipError_tPvRmT3_T4_T5_T6_T7_T9_mT8_P12ihipStream_tbDpT10_ENKUlT_T0_E_clISt17integral_constantIbLb0EES17_IbLb1EEEEDaS13_S14_EUlS13_E_NS1_11comp_targetILNS1_3genE3ELNS1_11target_archE908ELNS1_3gpuE7ELNS1_3repE0EEENS1_30default_config_static_selectorELNS0_4arch9wavefront6targetE0EEEvT1_.num_vgpr, 0
	.set _ZN7rocprim17ROCPRIM_400000_NS6detail17trampoline_kernelINS0_14default_configENS1_25partition_config_selectorILNS1_17partition_subalgoE6EdNS0_10empty_typeEbEEZZNS1_14partition_implILS5_6ELb0ES3_mN6thrust23THRUST_200600_302600_NS6detail15normal_iteratorINSA_10device_ptrIdEEEEPS6_SG_NS0_5tupleIJSF_S6_EEENSH_IJSG_SG_EEES6_PlJNSB_9not_fun_tI7is_trueIdEEEEEE10hipError_tPvRmT3_T4_T5_T6_T7_T9_mT8_P12ihipStream_tbDpT10_ENKUlT_T0_E_clISt17integral_constantIbLb0EES17_IbLb1EEEEDaS13_S14_EUlS13_E_NS1_11comp_targetILNS1_3genE3ELNS1_11target_archE908ELNS1_3gpuE7ELNS1_3repE0EEENS1_30default_config_static_selectorELNS0_4arch9wavefront6targetE0EEEvT1_.num_agpr, 0
	.set _ZN7rocprim17ROCPRIM_400000_NS6detail17trampoline_kernelINS0_14default_configENS1_25partition_config_selectorILNS1_17partition_subalgoE6EdNS0_10empty_typeEbEEZZNS1_14partition_implILS5_6ELb0ES3_mN6thrust23THRUST_200600_302600_NS6detail15normal_iteratorINSA_10device_ptrIdEEEEPS6_SG_NS0_5tupleIJSF_S6_EEENSH_IJSG_SG_EEES6_PlJNSB_9not_fun_tI7is_trueIdEEEEEE10hipError_tPvRmT3_T4_T5_T6_T7_T9_mT8_P12ihipStream_tbDpT10_ENKUlT_T0_E_clISt17integral_constantIbLb0EES17_IbLb1EEEEDaS13_S14_EUlS13_E_NS1_11comp_targetILNS1_3genE3ELNS1_11target_archE908ELNS1_3gpuE7ELNS1_3repE0EEENS1_30default_config_static_selectorELNS0_4arch9wavefront6targetE0EEEvT1_.numbered_sgpr, 0
	.set _ZN7rocprim17ROCPRIM_400000_NS6detail17trampoline_kernelINS0_14default_configENS1_25partition_config_selectorILNS1_17partition_subalgoE6EdNS0_10empty_typeEbEEZZNS1_14partition_implILS5_6ELb0ES3_mN6thrust23THRUST_200600_302600_NS6detail15normal_iteratorINSA_10device_ptrIdEEEEPS6_SG_NS0_5tupleIJSF_S6_EEENSH_IJSG_SG_EEES6_PlJNSB_9not_fun_tI7is_trueIdEEEEEE10hipError_tPvRmT3_T4_T5_T6_T7_T9_mT8_P12ihipStream_tbDpT10_ENKUlT_T0_E_clISt17integral_constantIbLb0EES17_IbLb1EEEEDaS13_S14_EUlS13_E_NS1_11comp_targetILNS1_3genE3ELNS1_11target_archE908ELNS1_3gpuE7ELNS1_3repE0EEENS1_30default_config_static_selectorELNS0_4arch9wavefront6targetE0EEEvT1_.num_named_barrier, 0
	.set _ZN7rocprim17ROCPRIM_400000_NS6detail17trampoline_kernelINS0_14default_configENS1_25partition_config_selectorILNS1_17partition_subalgoE6EdNS0_10empty_typeEbEEZZNS1_14partition_implILS5_6ELb0ES3_mN6thrust23THRUST_200600_302600_NS6detail15normal_iteratorINSA_10device_ptrIdEEEEPS6_SG_NS0_5tupleIJSF_S6_EEENSH_IJSG_SG_EEES6_PlJNSB_9not_fun_tI7is_trueIdEEEEEE10hipError_tPvRmT3_T4_T5_T6_T7_T9_mT8_P12ihipStream_tbDpT10_ENKUlT_T0_E_clISt17integral_constantIbLb0EES17_IbLb1EEEEDaS13_S14_EUlS13_E_NS1_11comp_targetILNS1_3genE3ELNS1_11target_archE908ELNS1_3gpuE7ELNS1_3repE0EEENS1_30default_config_static_selectorELNS0_4arch9wavefront6targetE0EEEvT1_.private_seg_size, 0
	.set _ZN7rocprim17ROCPRIM_400000_NS6detail17trampoline_kernelINS0_14default_configENS1_25partition_config_selectorILNS1_17partition_subalgoE6EdNS0_10empty_typeEbEEZZNS1_14partition_implILS5_6ELb0ES3_mN6thrust23THRUST_200600_302600_NS6detail15normal_iteratorINSA_10device_ptrIdEEEEPS6_SG_NS0_5tupleIJSF_S6_EEENSH_IJSG_SG_EEES6_PlJNSB_9not_fun_tI7is_trueIdEEEEEE10hipError_tPvRmT3_T4_T5_T6_T7_T9_mT8_P12ihipStream_tbDpT10_ENKUlT_T0_E_clISt17integral_constantIbLb0EES17_IbLb1EEEEDaS13_S14_EUlS13_E_NS1_11comp_targetILNS1_3genE3ELNS1_11target_archE908ELNS1_3gpuE7ELNS1_3repE0EEENS1_30default_config_static_selectorELNS0_4arch9wavefront6targetE0EEEvT1_.uses_vcc, 0
	.set _ZN7rocprim17ROCPRIM_400000_NS6detail17trampoline_kernelINS0_14default_configENS1_25partition_config_selectorILNS1_17partition_subalgoE6EdNS0_10empty_typeEbEEZZNS1_14partition_implILS5_6ELb0ES3_mN6thrust23THRUST_200600_302600_NS6detail15normal_iteratorINSA_10device_ptrIdEEEEPS6_SG_NS0_5tupleIJSF_S6_EEENSH_IJSG_SG_EEES6_PlJNSB_9not_fun_tI7is_trueIdEEEEEE10hipError_tPvRmT3_T4_T5_T6_T7_T9_mT8_P12ihipStream_tbDpT10_ENKUlT_T0_E_clISt17integral_constantIbLb0EES17_IbLb1EEEEDaS13_S14_EUlS13_E_NS1_11comp_targetILNS1_3genE3ELNS1_11target_archE908ELNS1_3gpuE7ELNS1_3repE0EEENS1_30default_config_static_selectorELNS0_4arch9wavefront6targetE0EEEvT1_.uses_flat_scratch, 0
	.set _ZN7rocprim17ROCPRIM_400000_NS6detail17trampoline_kernelINS0_14default_configENS1_25partition_config_selectorILNS1_17partition_subalgoE6EdNS0_10empty_typeEbEEZZNS1_14partition_implILS5_6ELb0ES3_mN6thrust23THRUST_200600_302600_NS6detail15normal_iteratorINSA_10device_ptrIdEEEEPS6_SG_NS0_5tupleIJSF_S6_EEENSH_IJSG_SG_EEES6_PlJNSB_9not_fun_tI7is_trueIdEEEEEE10hipError_tPvRmT3_T4_T5_T6_T7_T9_mT8_P12ihipStream_tbDpT10_ENKUlT_T0_E_clISt17integral_constantIbLb0EES17_IbLb1EEEEDaS13_S14_EUlS13_E_NS1_11comp_targetILNS1_3genE3ELNS1_11target_archE908ELNS1_3gpuE7ELNS1_3repE0EEENS1_30default_config_static_selectorELNS0_4arch9wavefront6targetE0EEEvT1_.has_dyn_sized_stack, 0
	.set _ZN7rocprim17ROCPRIM_400000_NS6detail17trampoline_kernelINS0_14default_configENS1_25partition_config_selectorILNS1_17partition_subalgoE6EdNS0_10empty_typeEbEEZZNS1_14partition_implILS5_6ELb0ES3_mN6thrust23THRUST_200600_302600_NS6detail15normal_iteratorINSA_10device_ptrIdEEEEPS6_SG_NS0_5tupleIJSF_S6_EEENSH_IJSG_SG_EEES6_PlJNSB_9not_fun_tI7is_trueIdEEEEEE10hipError_tPvRmT3_T4_T5_T6_T7_T9_mT8_P12ihipStream_tbDpT10_ENKUlT_T0_E_clISt17integral_constantIbLb0EES17_IbLb1EEEEDaS13_S14_EUlS13_E_NS1_11comp_targetILNS1_3genE3ELNS1_11target_archE908ELNS1_3gpuE7ELNS1_3repE0EEENS1_30default_config_static_selectorELNS0_4arch9wavefront6targetE0EEEvT1_.has_recursion, 0
	.set _ZN7rocprim17ROCPRIM_400000_NS6detail17trampoline_kernelINS0_14default_configENS1_25partition_config_selectorILNS1_17partition_subalgoE6EdNS0_10empty_typeEbEEZZNS1_14partition_implILS5_6ELb0ES3_mN6thrust23THRUST_200600_302600_NS6detail15normal_iteratorINSA_10device_ptrIdEEEEPS6_SG_NS0_5tupleIJSF_S6_EEENSH_IJSG_SG_EEES6_PlJNSB_9not_fun_tI7is_trueIdEEEEEE10hipError_tPvRmT3_T4_T5_T6_T7_T9_mT8_P12ihipStream_tbDpT10_ENKUlT_T0_E_clISt17integral_constantIbLb0EES17_IbLb1EEEEDaS13_S14_EUlS13_E_NS1_11comp_targetILNS1_3genE3ELNS1_11target_archE908ELNS1_3gpuE7ELNS1_3repE0EEENS1_30default_config_static_selectorELNS0_4arch9wavefront6targetE0EEEvT1_.has_indirect_call, 0
	.section	.AMDGPU.csdata,"",@progbits
; Kernel info:
; codeLenInByte = 0
; TotalNumSgprs: 0
; NumVgprs: 0
; ScratchSize: 0
; MemoryBound: 0
; FloatMode: 240
; IeeeMode: 1
; LDSByteSize: 0 bytes/workgroup (compile time only)
; SGPRBlocks: 0
; VGPRBlocks: 0
; NumSGPRsForWavesPerEU: 1
; NumVGPRsForWavesPerEU: 1
; Occupancy: 16
; WaveLimiterHint : 0
; COMPUTE_PGM_RSRC2:SCRATCH_EN: 0
; COMPUTE_PGM_RSRC2:USER_SGPR: 2
; COMPUTE_PGM_RSRC2:TRAP_HANDLER: 0
; COMPUTE_PGM_RSRC2:TGID_X_EN: 1
; COMPUTE_PGM_RSRC2:TGID_Y_EN: 0
; COMPUTE_PGM_RSRC2:TGID_Z_EN: 0
; COMPUTE_PGM_RSRC2:TIDIG_COMP_CNT: 0
	.section	.text._ZN7rocprim17ROCPRIM_400000_NS6detail17trampoline_kernelINS0_14default_configENS1_25partition_config_selectorILNS1_17partition_subalgoE6EdNS0_10empty_typeEbEEZZNS1_14partition_implILS5_6ELb0ES3_mN6thrust23THRUST_200600_302600_NS6detail15normal_iteratorINSA_10device_ptrIdEEEEPS6_SG_NS0_5tupleIJSF_S6_EEENSH_IJSG_SG_EEES6_PlJNSB_9not_fun_tI7is_trueIdEEEEEE10hipError_tPvRmT3_T4_T5_T6_T7_T9_mT8_P12ihipStream_tbDpT10_ENKUlT_T0_E_clISt17integral_constantIbLb0EES17_IbLb1EEEEDaS13_S14_EUlS13_E_NS1_11comp_targetILNS1_3genE2ELNS1_11target_archE906ELNS1_3gpuE6ELNS1_3repE0EEENS1_30default_config_static_selectorELNS0_4arch9wavefront6targetE0EEEvT1_,"axG",@progbits,_ZN7rocprim17ROCPRIM_400000_NS6detail17trampoline_kernelINS0_14default_configENS1_25partition_config_selectorILNS1_17partition_subalgoE6EdNS0_10empty_typeEbEEZZNS1_14partition_implILS5_6ELb0ES3_mN6thrust23THRUST_200600_302600_NS6detail15normal_iteratorINSA_10device_ptrIdEEEEPS6_SG_NS0_5tupleIJSF_S6_EEENSH_IJSG_SG_EEES6_PlJNSB_9not_fun_tI7is_trueIdEEEEEE10hipError_tPvRmT3_T4_T5_T6_T7_T9_mT8_P12ihipStream_tbDpT10_ENKUlT_T0_E_clISt17integral_constantIbLb0EES17_IbLb1EEEEDaS13_S14_EUlS13_E_NS1_11comp_targetILNS1_3genE2ELNS1_11target_archE906ELNS1_3gpuE6ELNS1_3repE0EEENS1_30default_config_static_selectorELNS0_4arch9wavefront6targetE0EEEvT1_,comdat
	.protected	_ZN7rocprim17ROCPRIM_400000_NS6detail17trampoline_kernelINS0_14default_configENS1_25partition_config_selectorILNS1_17partition_subalgoE6EdNS0_10empty_typeEbEEZZNS1_14partition_implILS5_6ELb0ES3_mN6thrust23THRUST_200600_302600_NS6detail15normal_iteratorINSA_10device_ptrIdEEEEPS6_SG_NS0_5tupleIJSF_S6_EEENSH_IJSG_SG_EEES6_PlJNSB_9not_fun_tI7is_trueIdEEEEEE10hipError_tPvRmT3_T4_T5_T6_T7_T9_mT8_P12ihipStream_tbDpT10_ENKUlT_T0_E_clISt17integral_constantIbLb0EES17_IbLb1EEEEDaS13_S14_EUlS13_E_NS1_11comp_targetILNS1_3genE2ELNS1_11target_archE906ELNS1_3gpuE6ELNS1_3repE0EEENS1_30default_config_static_selectorELNS0_4arch9wavefront6targetE0EEEvT1_ ; -- Begin function _ZN7rocprim17ROCPRIM_400000_NS6detail17trampoline_kernelINS0_14default_configENS1_25partition_config_selectorILNS1_17partition_subalgoE6EdNS0_10empty_typeEbEEZZNS1_14partition_implILS5_6ELb0ES3_mN6thrust23THRUST_200600_302600_NS6detail15normal_iteratorINSA_10device_ptrIdEEEEPS6_SG_NS0_5tupleIJSF_S6_EEENSH_IJSG_SG_EEES6_PlJNSB_9not_fun_tI7is_trueIdEEEEEE10hipError_tPvRmT3_T4_T5_T6_T7_T9_mT8_P12ihipStream_tbDpT10_ENKUlT_T0_E_clISt17integral_constantIbLb0EES17_IbLb1EEEEDaS13_S14_EUlS13_E_NS1_11comp_targetILNS1_3genE2ELNS1_11target_archE906ELNS1_3gpuE6ELNS1_3repE0EEENS1_30default_config_static_selectorELNS0_4arch9wavefront6targetE0EEEvT1_
	.globl	_ZN7rocprim17ROCPRIM_400000_NS6detail17trampoline_kernelINS0_14default_configENS1_25partition_config_selectorILNS1_17partition_subalgoE6EdNS0_10empty_typeEbEEZZNS1_14partition_implILS5_6ELb0ES3_mN6thrust23THRUST_200600_302600_NS6detail15normal_iteratorINSA_10device_ptrIdEEEEPS6_SG_NS0_5tupleIJSF_S6_EEENSH_IJSG_SG_EEES6_PlJNSB_9not_fun_tI7is_trueIdEEEEEE10hipError_tPvRmT3_T4_T5_T6_T7_T9_mT8_P12ihipStream_tbDpT10_ENKUlT_T0_E_clISt17integral_constantIbLb0EES17_IbLb1EEEEDaS13_S14_EUlS13_E_NS1_11comp_targetILNS1_3genE2ELNS1_11target_archE906ELNS1_3gpuE6ELNS1_3repE0EEENS1_30default_config_static_selectorELNS0_4arch9wavefront6targetE0EEEvT1_
	.p2align	8
	.type	_ZN7rocprim17ROCPRIM_400000_NS6detail17trampoline_kernelINS0_14default_configENS1_25partition_config_selectorILNS1_17partition_subalgoE6EdNS0_10empty_typeEbEEZZNS1_14partition_implILS5_6ELb0ES3_mN6thrust23THRUST_200600_302600_NS6detail15normal_iteratorINSA_10device_ptrIdEEEEPS6_SG_NS0_5tupleIJSF_S6_EEENSH_IJSG_SG_EEES6_PlJNSB_9not_fun_tI7is_trueIdEEEEEE10hipError_tPvRmT3_T4_T5_T6_T7_T9_mT8_P12ihipStream_tbDpT10_ENKUlT_T0_E_clISt17integral_constantIbLb0EES17_IbLb1EEEEDaS13_S14_EUlS13_E_NS1_11comp_targetILNS1_3genE2ELNS1_11target_archE906ELNS1_3gpuE6ELNS1_3repE0EEENS1_30default_config_static_selectorELNS0_4arch9wavefront6targetE0EEEvT1_,@function
_ZN7rocprim17ROCPRIM_400000_NS6detail17trampoline_kernelINS0_14default_configENS1_25partition_config_selectorILNS1_17partition_subalgoE6EdNS0_10empty_typeEbEEZZNS1_14partition_implILS5_6ELb0ES3_mN6thrust23THRUST_200600_302600_NS6detail15normal_iteratorINSA_10device_ptrIdEEEEPS6_SG_NS0_5tupleIJSF_S6_EEENSH_IJSG_SG_EEES6_PlJNSB_9not_fun_tI7is_trueIdEEEEEE10hipError_tPvRmT3_T4_T5_T6_T7_T9_mT8_P12ihipStream_tbDpT10_ENKUlT_T0_E_clISt17integral_constantIbLb0EES17_IbLb1EEEEDaS13_S14_EUlS13_E_NS1_11comp_targetILNS1_3genE2ELNS1_11target_archE906ELNS1_3gpuE6ELNS1_3repE0EEENS1_30default_config_static_selectorELNS0_4arch9wavefront6targetE0EEEvT1_: ; @_ZN7rocprim17ROCPRIM_400000_NS6detail17trampoline_kernelINS0_14default_configENS1_25partition_config_selectorILNS1_17partition_subalgoE6EdNS0_10empty_typeEbEEZZNS1_14partition_implILS5_6ELb0ES3_mN6thrust23THRUST_200600_302600_NS6detail15normal_iteratorINSA_10device_ptrIdEEEEPS6_SG_NS0_5tupleIJSF_S6_EEENSH_IJSG_SG_EEES6_PlJNSB_9not_fun_tI7is_trueIdEEEEEE10hipError_tPvRmT3_T4_T5_T6_T7_T9_mT8_P12ihipStream_tbDpT10_ENKUlT_T0_E_clISt17integral_constantIbLb0EES17_IbLb1EEEEDaS13_S14_EUlS13_E_NS1_11comp_targetILNS1_3genE2ELNS1_11target_archE906ELNS1_3gpuE6ELNS1_3repE0EEENS1_30default_config_static_selectorELNS0_4arch9wavefront6targetE0EEEvT1_
; %bb.0:
	.section	.rodata,"a",@progbits
	.p2align	6, 0x0
	.amdhsa_kernel _ZN7rocprim17ROCPRIM_400000_NS6detail17trampoline_kernelINS0_14default_configENS1_25partition_config_selectorILNS1_17partition_subalgoE6EdNS0_10empty_typeEbEEZZNS1_14partition_implILS5_6ELb0ES3_mN6thrust23THRUST_200600_302600_NS6detail15normal_iteratorINSA_10device_ptrIdEEEEPS6_SG_NS0_5tupleIJSF_S6_EEENSH_IJSG_SG_EEES6_PlJNSB_9not_fun_tI7is_trueIdEEEEEE10hipError_tPvRmT3_T4_T5_T6_T7_T9_mT8_P12ihipStream_tbDpT10_ENKUlT_T0_E_clISt17integral_constantIbLb0EES17_IbLb1EEEEDaS13_S14_EUlS13_E_NS1_11comp_targetILNS1_3genE2ELNS1_11target_archE906ELNS1_3gpuE6ELNS1_3repE0EEENS1_30default_config_static_selectorELNS0_4arch9wavefront6targetE0EEEvT1_
		.amdhsa_group_segment_fixed_size 0
		.amdhsa_private_segment_fixed_size 0
		.amdhsa_kernarg_size 128
		.amdhsa_user_sgpr_count 2
		.amdhsa_user_sgpr_dispatch_ptr 0
		.amdhsa_user_sgpr_queue_ptr 0
		.amdhsa_user_sgpr_kernarg_segment_ptr 1
		.amdhsa_user_sgpr_dispatch_id 0
		.amdhsa_user_sgpr_private_segment_size 0
		.amdhsa_wavefront_size32 1
		.amdhsa_uses_dynamic_stack 0
		.amdhsa_enable_private_segment 0
		.amdhsa_system_sgpr_workgroup_id_x 1
		.amdhsa_system_sgpr_workgroup_id_y 0
		.amdhsa_system_sgpr_workgroup_id_z 0
		.amdhsa_system_sgpr_workgroup_info 0
		.amdhsa_system_vgpr_workitem_id 0
		.amdhsa_next_free_vgpr 1
		.amdhsa_next_free_sgpr 1
		.amdhsa_reserve_vcc 0
		.amdhsa_float_round_mode_32 0
		.amdhsa_float_round_mode_16_64 0
		.amdhsa_float_denorm_mode_32 3
		.amdhsa_float_denorm_mode_16_64 3
		.amdhsa_fp16_overflow 0
		.amdhsa_workgroup_processor_mode 1
		.amdhsa_memory_ordered 1
		.amdhsa_forward_progress 1
		.amdhsa_inst_pref_size 0
		.amdhsa_round_robin_scheduling 0
		.amdhsa_exception_fp_ieee_invalid_op 0
		.amdhsa_exception_fp_denorm_src 0
		.amdhsa_exception_fp_ieee_div_zero 0
		.amdhsa_exception_fp_ieee_overflow 0
		.amdhsa_exception_fp_ieee_underflow 0
		.amdhsa_exception_fp_ieee_inexact 0
		.amdhsa_exception_int_div_zero 0
	.end_amdhsa_kernel
	.section	.text._ZN7rocprim17ROCPRIM_400000_NS6detail17trampoline_kernelINS0_14default_configENS1_25partition_config_selectorILNS1_17partition_subalgoE6EdNS0_10empty_typeEbEEZZNS1_14partition_implILS5_6ELb0ES3_mN6thrust23THRUST_200600_302600_NS6detail15normal_iteratorINSA_10device_ptrIdEEEEPS6_SG_NS0_5tupleIJSF_S6_EEENSH_IJSG_SG_EEES6_PlJNSB_9not_fun_tI7is_trueIdEEEEEE10hipError_tPvRmT3_T4_T5_T6_T7_T9_mT8_P12ihipStream_tbDpT10_ENKUlT_T0_E_clISt17integral_constantIbLb0EES17_IbLb1EEEEDaS13_S14_EUlS13_E_NS1_11comp_targetILNS1_3genE2ELNS1_11target_archE906ELNS1_3gpuE6ELNS1_3repE0EEENS1_30default_config_static_selectorELNS0_4arch9wavefront6targetE0EEEvT1_,"axG",@progbits,_ZN7rocprim17ROCPRIM_400000_NS6detail17trampoline_kernelINS0_14default_configENS1_25partition_config_selectorILNS1_17partition_subalgoE6EdNS0_10empty_typeEbEEZZNS1_14partition_implILS5_6ELb0ES3_mN6thrust23THRUST_200600_302600_NS6detail15normal_iteratorINSA_10device_ptrIdEEEEPS6_SG_NS0_5tupleIJSF_S6_EEENSH_IJSG_SG_EEES6_PlJNSB_9not_fun_tI7is_trueIdEEEEEE10hipError_tPvRmT3_T4_T5_T6_T7_T9_mT8_P12ihipStream_tbDpT10_ENKUlT_T0_E_clISt17integral_constantIbLb0EES17_IbLb1EEEEDaS13_S14_EUlS13_E_NS1_11comp_targetILNS1_3genE2ELNS1_11target_archE906ELNS1_3gpuE6ELNS1_3repE0EEENS1_30default_config_static_selectorELNS0_4arch9wavefront6targetE0EEEvT1_,comdat
.Lfunc_end1073:
	.size	_ZN7rocprim17ROCPRIM_400000_NS6detail17trampoline_kernelINS0_14default_configENS1_25partition_config_selectorILNS1_17partition_subalgoE6EdNS0_10empty_typeEbEEZZNS1_14partition_implILS5_6ELb0ES3_mN6thrust23THRUST_200600_302600_NS6detail15normal_iteratorINSA_10device_ptrIdEEEEPS6_SG_NS0_5tupleIJSF_S6_EEENSH_IJSG_SG_EEES6_PlJNSB_9not_fun_tI7is_trueIdEEEEEE10hipError_tPvRmT3_T4_T5_T6_T7_T9_mT8_P12ihipStream_tbDpT10_ENKUlT_T0_E_clISt17integral_constantIbLb0EES17_IbLb1EEEEDaS13_S14_EUlS13_E_NS1_11comp_targetILNS1_3genE2ELNS1_11target_archE906ELNS1_3gpuE6ELNS1_3repE0EEENS1_30default_config_static_selectorELNS0_4arch9wavefront6targetE0EEEvT1_, .Lfunc_end1073-_ZN7rocprim17ROCPRIM_400000_NS6detail17trampoline_kernelINS0_14default_configENS1_25partition_config_selectorILNS1_17partition_subalgoE6EdNS0_10empty_typeEbEEZZNS1_14partition_implILS5_6ELb0ES3_mN6thrust23THRUST_200600_302600_NS6detail15normal_iteratorINSA_10device_ptrIdEEEEPS6_SG_NS0_5tupleIJSF_S6_EEENSH_IJSG_SG_EEES6_PlJNSB_9not_fun_tI7is_trueIdEEEEEE10hipError_tPvRmT3_T4_T5_T6_T7_T9_mT8_P12ihipStream_tbDpT10_ENKUlT_T0_E_clISt17integral_constantIbLb0EES17_IbLb1EEEEDaS13_S14_EUlS13_E_NS1_11comp_targetILNS1_3genE2ELNS1_11target_archE906ELNS1_3gpuE6ELNS1_3repE0EEENS1_30default_config_static_selectorELNS0_4arch9wavefront6targetE0EEEvT1_
                                        ; -- End function
	.set _ZN7rocprim17ROCPRIM_400000_NS6detail17trampoline_kernelINS0_14default_configENS1_25partition_config_selectorILNS1_17partition_subalgoE6EdNS0_10empty_typeEbEEZZNS1_14partition_implILS5_6ELb0ES3_mN6thrust23THRUST_200600_302600_NS6detail15normal_iteratorINSA_10device_ptrIdEEEEPS6_SG_NS0_5tupleIJSF_S6_EEENSH_IJSG_SG_EEES6_PlJNSB_9not_fun_tI7is_trueIdEEEEEE10hipError_tPvRmT3_T4_T5_T6_T7_T9_mT8_P12ihipStream_tbDpT10_ENKUlT_T0_E_clISt17integral_constantIbLb0EES17_IbLb1EEEEDaS13_S14_EUlS13_E_NS1_11comp_targetILNS1_3genE2ELNS1_11target_archE906ELNS1_3gpuE6ELNS1_3repE0EEENS1_30default_config_static_selectorELNS0_4arch9wavefront6targetE0EEEvT1_.num_vgpr, 0
	.set _ZN7rocprim17ROCPRIM_400000_NS6detail17trampoline_kernelINS0_14default_configENS1_25partition_config_selectorILNS1_17partition_subalgoE6EdNS0_10empty_typeEbEEZZNS1_14partition_implILS5_6ELb0ES3_mN6thrust23THRUST_200600_302600_NS6detail15normal_iteratorINSA_10device_ptrIdEEEEPS6_SG_NS0_5tupleIJSF_S6_EEENSH_IJSG_SG_EEES6_PlJNSB_9not_fun_tI7is_trueIdEEEEEE10hipError_tPvRmT3_T4_T5_T6_T7_T9_mT8_P12ihipStream_tbDpT10_ENKUlT_T0_E_clISt17integral_constantIbLb0EES17_IbLb1EEEEDaS13_S14_EUlS13_E_NS1_11comp_targetILNS1_3genE2ELNS1_11target_archE906ELNS1_3gpuE6ELNS1_3repE0EEENS1_30default_config_static_selectorELNS0_4arch9wavefront6targetE0EEEvT1_.num_agpr, 0
	.set _ZN7rocprim17ROCPRIM_400000_NS6detail17trampoline_kernelINS0_14default_configENS1_25partition_config_selectorILNS1_17partition_subalgoE6EdNS0_10empty_typeEbEEZZNS1_14partition_implILS5_6ELb0ES3_mN6thrust23THRUST_200600_302600_NS6detail15normal_iteratorINSA_10device_ptrIdEEEEPS6_SG_NS0_5tupleIJSF_S6_EEENSH_IJSG_SG_EEES6_PlJNSB_9not_fun_tI7is_trueIdEEEEEE10hipError_tPvRmT3_T4_T5_T6_T7_T9_mT8_P12ihipStream_tbDpT10_ENKUlT_T0_E_clISt17integral_constantIbLb0EES17_IbLb1EEEEDaS13_S14_EUlS13_E_NS1_11comp_targetILNS1_3genE2ELNS1_11target_archE906ELNS1_3gpuE6ELNS1_3repE0EEENS1_30default_config_static_selectorELNS0_4arch9wavefront6targetE0EEEvT1_.numbered_sgpr, 0
	.set _ZN7rocprim17ROCPRIM_400000_NS6detail17trampoline_kernelINS0_14default_configENS1_25partition_config_selectorILNS1_17partition_subalgoE6EdNS0_10empty_typeEbEEZZNS1_14partition_implILS5_6ELb0ES3_mN6thrust23THRUST_200600_302600_NS6detail15normal_iteratorINSA_10device_ptrIdEEEEPS6_SG_NS0_5tupleIJSF_S6_EEENSH_IJSG_SG_EEES6_PlJNSB_9not_fun_tI7is_trueIdEEEEEE10hipError_tPvRmT3_T4_T5_T6_T7_T9_mT8_P12ihipStream_tbDpT10_ENKUlT_T0_E_clISt17integral_constantIbLb0EES17_IbLb1EEEEDaS13_S14_EUlS13_E_NS1_11comp_targetILNS1_3genE2ELNS1_11target_archE906ELNS1_3gpuE6ELNS1_3repE0EEENS1_30default_config_static_selectorELNS0_4arch9wavefront6targetE0EEEvT1_.num_named_barrier, 0
	.set _ZN7rocprim17ROCPRIM_400000_NS6detail17trampoline_kernelINS0_14default_configENS1_25partition_config_selectorILNS1_17partition_subalgoE6EdNS0_10empty_typeEbEEZZNS1_14partition_implILS5_6ELb0ES3_mN6thrust23THRUST_200600_302600_NS6detail15normal_iteratorINSA_10device_ptrIdEEEEPS6_SG_NS0_5tupleIJSF_S6_EEENSH_IJSG_SG_EEES6_PlJNSB_9not_fun_tI7is_trueIdEEEEEE10hipError_tPvRmT3_T4_T5_T6_T7_T9_mT8_P12ihipStream_tbDpT10_ENKUlT_T0_E_clISt17integral_constantIbLb0EES17_IbLb1EEEEDaS13_S14_EUlS13_E_NS1_11comp_targetILNS1_3genE2ELNS1_11target_archE906ELNS1_3gpuE6ELNS1_3repE0EEENS1_30default_config_static_selectorELNS0_4arch9wavefront6targetE0EEEvT1_.private_seg_size, 0
	.set _ZN7rocprim17ROCPRIM_400000_NS6detail17trampoline_kernelINS0_14default_configENS1_25partition_config_selectorILNS1_17partition_subalgoE6EdNS0_10empty_typeEbEEZZNS1_14partition_implILS5_6ELb0ES3_mN6thrust23THRUST_200600_302600_NS6detail15normal_iteratorINSA_10device_ptrIdEEEEPS6_SG_NS0_5tupleIJSF_S6_EEENSH_IJSG_SG_EEES6_PlJNSB_9not_fun_tI7is_trueIdEEEEEE10hipError_tPvRmT3_T4_T5_T6_T7_T9_mT8_P12ihipStream_tbDpT10_ENKUlT_T0_E_clISt17integral_constantIbLb0EES17_IbLb1EEEEDaS13_S14_EUlS13_E_NS1_11comp_targetILNS1_3genE2ELNS1_11target_archE906ELNS1_3gpuE6ELNS1_3repE0EEENS1_30default_config_static_selectorELNS0_4arch9wavefront6targetE0EEEvT1_.uses_vcc, 0
	.set _ZN7rocprim17ROCPRIM_400000_NS6detail17trampoline_kernelINS0_14default_configENS1_25partition_config_selectorILNS1_17partition_subalgoE6EdNS0_10empty_typeEbEEZZNS1_14partition_implILS5_6ELb0ES3_mN6thrust23THRUST_200600_302600_NS6detail15normal_iteratorINSA_10device_ptrIdEEEEPS6_SG_NS0_5tupleIJSF_S6_EEENSH_IJSG_SG_EEES6_PlJNSB_9not_fun_tI7is_trueIdEEEEEE10hipError_tPvRmT3_T4_T5_T6_T7_T9_mT8_P12ihipStream_tbDpT10_ENKUlT_T0_E_clISt17integral_constantIbLb0EES17_IbLb1EEEEDaS13_S14_EUlS13_E_NS1_11comp_targetILNS1_3genE2ELNS1_11target_archE906ELNS1_3gpuE6ELNS1_3repE0EEENS1_30default_config_static_selectorELNS0_4arch9wavefront6targetE0EEEvT1_.uses_flat_scratch, 0
	.set _ZN7rocprim17ROCPRIM_400000_NS6detail17trampoline_kernelINS0_14default_configENS1_25partition_config_selectorILNS1_17partition_subalgoE6EdNS0_10empty_typeEbEEZZNS1_14partition_implILS5_6ELb0ES3_mN6thrust23THRUST_200600_302600_NS6detail15normal_iteratorINSA_10device_ptrIdEEEEPS6_SG_NS0_5tupleIJSF_S6_EEENSH_IJSG_SG_EEES6_PlJNSB_9not_fun_tI7is_trueIdEEEEEE10hipError_tPvRmT3_T4_T5_T6_T7_T9_mT8_P12ihipStream_tbDpT10_ENKUlT_T0_E_clISt17integral_constantIbLb0EES17_IbLb1EEEEDaS13_S14_EUlS13_E_NS1_11comp_targetILNS1_3genE2ELNS1_11target_archE906ELNS1_3gpuE6ELNS1_3repE0EEENS1_30default_config_static_selectorELNS0_4arch9wavefront6targetE0EEEvT1_.has_dyn_sized_stack, 0
	.set _ZN7rocprim17ROCPRIM_400000_NS6detail17trampoline_kernelINS0_14default_configENS1_25partition_config_selectorILNS1_17partition_subalgoE6EdNS0_10empty_typeEbEEZZNS1_14partition_implILS5_6ELb0ES3_mN6thrust23THRUST_200600_302600_NS6detail15normal_iteratorINSA_10device_ptrIdEEEEPS6_SG_NS0_5tupleIJSF_S6_EEENSH_IJSG_SG_EEES6_PlJNSB_9not_fun_tI7is_trueIdEEEEEE10hipError_tPvRmT3_T4_T5_T6_T7_T9_mT8_P12ihipStream_tbDpT10_ENKUlT_T0_E_clISt17integral_constantIbLb0EES17_IbLb1EEEEDaS13_S14_EUlS13_E_NS1_11comp_targetILNS1_3genE2ELNS1_11target_archE906ELNS1_3gpuE6ELNS1_3repE0EEENS1_30default_config_static_selectorELNS0_4arch9wavefront6targetE0EEEvT1_.has_recursion, 0
	.set _ZN7rocprim17ROCPRIM_400000_NS6detail17trampoline_kernelINS0_14default_configENS1_25partition_config_selectorILNS1_17partition_subalgoE6EdNS0_10empty_typeEbEEZZNS1_14partition_implILS5_6ELb0ES3_mN6thrust23THRUST_200600_302600_NS6detail15normal_iteratorINSA_10device_ptrIdEEEEPS6_SG_NS0_5tupleIJSF_S6_EEENSH_IJSG_SG_EEES6_PlJNSB_9not_fun_tI7is_trueIdEEEEEE10hipError_tPvRmT3_T4_T5_T6_T7_T9_mT8_P12ihipStream_tbDpT10_ENKUlT_T0_E_clISt17integral_constantIbLb0EES17_IbLb1EEEEDaS13_S14_EUlS13_E_NS1_11comp_targetILNS1_3genE2ELNS1_11target_archE906ELNS1_3gpuE6ELNS1_3repE0EEENS1_30default_config_static_selectorELNS0_4arch9wavefront6targetE0EEEvT1_.has_indirect_call, 0
	.section	.AMDGPU.csdata,"",@progbits
; Kernel info:
; codeLenInByte = 0
; TotalNumSgprs: 0
; NumVgprs: 0
; ScratchSize: 0
; MemoryBound: 0
; FloatMode: 240
; IeeeMode: 1
; LDSByteSize: 0 bytes/workgroup (compile time only)
; SGPRBlocks: 0
; VGPRBlocks: 0
; NumSGPRsForWavesPerEU: 1
; NumVGPRsForWavesPerEU: 1
; Occupancy: 16
; WaveLimiterHint : 0
; COMPUTE_PGM_RSRC2:SCRATCH_EN: 0
; COMPUTE_PGM_RSRC2:USER_SGPR: 2
; COMPUTE_PGM_RSRC2:TRAP_HANDLER: 0
; COMPUTE_PGM_RSRC2:TGID_X_EN: 1
; COMPUTE_PGM_RSRC2:TGID_Y_EN: 0
; COMPUTE_PGM_RSRC2:TGID_Z_EN: 0
; COMPUTE_PGM_RSRC2:TIDIG_COMP_CNT: 0
	.section	.text._ZN7rocprim17ROCPRIM_400000_NS6detail17trampoline_kernelINS0_14default_configENS1_25partition_config_selectorILNS1_17partition_subalgoE6EdNS0_10empty_typeEbEEZZNS1_14partition_implILS5_6ELb0ES3_mN6thrust23THRUST_200600_302600_NS6detail15normal_iteratorINSA_10device_ptrIdEEEEPS6_SG_NS0_5tupleIJSF_S6_EEENSH_IJSG_SG_EEES6_PlJNSB_9not_fun_tI7is_trueIdEEEEEE10hipError_tPvRmT3_T4_T5_T6_T7_T9_mT8_P12ihipStream_tbDpT10_ENKUlT_T0_E_clISt17integral_constantIbLb0EES17_IbLb1EEEEDaS13_S14_EUlS13_E_NS1_11comp_targetILNS1_3genE10ELNS1_11target_archE1200ELNS1_3gpuE4ELNS1_3repE0EEENS1_30default_config_static_selectorELNS0_4arch9wavefront6targetE0EEEvT1_,"axG",@progbits,_ZN7rocprim17ROCPRIM_400000_NS6detail17trampoline_kernelINS0_14default_configENS1_25partition_config_selectorILNS1_17partition_subalgoE6EdNS0_10empty_typeEbEEZZNS1_14partition_implILS5_6ELb0ES3_mN6thrust23THRUST_200600_302600_NS6detail15normal_iteratorINSA_10device_ptrIdEEEEPS6_SG_NS0_5tupleIJSF_S6_EEENSH_IJSG_SG_EEES6_PlJNSB_9not_fun_tI7is_trueIdEEEEEE10hipError_tPvRmT3_T4_T5_T6_T7_T9_mT8_P12ihipStream_tbDpT10_ENKUlT_T0_E_clISt17integral_constantIbLb0EES17_IbLb1EEEEDaS13_S14_EUlS13_E_NS1_11comp_targetILNS1_3genE10ELNS1_11target_archE1200ELNS1_3gpuE4ELNS1_3repE0EEENS1_30default_config_static_selectorELNS0_4arch9wavefront6targetE0EEEvT1_,comdat
	.protected	_ZN7rocprim17ROCPRIM_400000_NS6detail17trampoline_kernelINS0_14default_configENS1_25partition_config_selectorILNS1_17partition_subalgoE6EdNS0_10empty_typeEbEEZZNS1_14partition_implILS5_6ELb0ES3_mN6thrust23THRUST_200600_302600_NS6detail15normal_iteratorINSA_10device_ptrIdEEEEPS6_SG_NS0_5tupleIJSF_S6_EEENSH_IJSG_SG_EEES6_PlJNSB_9not_fun_tI7is_trueIdEEEEEE10hipError_tPvRmT3_T4_T5_T6_T7_T9_mT8_P12ihipStream_tbDpT10_ENKUlT_T0_E_clISt17integral_constantIbLb0EES17_IbLb1EEEEDaS13_S14_EUlS13_E_NS1_11comp_targetILNS1_3genE10ELNS1_11target_archE1200ELNS1_3gpuE4ELNS1_3repE0EEENS1_30default_config_static_selectorELNS0_4arch9wavefront6targetE0EEEvT1_ ; -- Begin function _ZN7rocprim17ROCPRIM_400000_NS6detail17trampoline_kernelINS0_14default_configENS1_25partition_config_selectorILNS1_17partition_subalgoE6EdNS0_10empty_typeEbEEZZNS1_14partition_implILS5_6ELb0ES3_mN6thrust23THRUST_200600_302600_NS6detail15normal_iteratorINSA_10device_ptrIdEEEEPS6_SG_NS0_5tupleIJSF_S6_EEENSH_IJSG_SG_EEES6_PlJNSB_9not_fun_tI7is_trueIdEEEEEE10hipError_tPvRmT3_T4_T5_T6_T7_T9_mT8_P12ihipStream_tbDpT10_ENKUlT_T0_E_clISt17integral_constantIbLb0EES17_IbLb1EEEEDaS13_S14_EUlS13_E_NS1_11comp_targetILNS1_3genE10ELNS1_11target_archE1200ELNS1_3gpuE4ELNS1_3repE0EEENS1_30default_config_static_selectorELNS0_4arch9wavefront6targetE0EEEvT1_
	.globl	_ZN7rocprim17ROCPRIM_400000_NS6detail17trampoline_kernelINS0_14default_configENS1_25partition_config_selectorILNS1_17partition_subalgoE6EdNS0_10empty_typeEbEEZZNS1_14partition_implILS5_6ELb0ES3_mN6thrust23THRUST_200600_302600_NS6detail15normal_iteratorINSA_10device_ptrIdEEEEPS6_SG_NS0_5tupleIJSF_S6_EEENSH_IJSG_SG_EEES6_PlJNSB_9not_fun_tI7is_trueIdEEEEEE10hipError_tPvRmT3_T4_T5_T6_T7_T9_mT8_P12ihipStream_tbDpT10_ENKUlT_T0_E_clISt17integral_constantIbLb0EES17_IbLb1EEEEDaS13_S14_EUlS13_E_NS1_11comp_targetILNS1_3genE10ELNS1_11target_archE1200ELNS1_3gpuE4ELNS1_3repE0EEENS1_30default_config_static_selectorELNS0_4arch9wavefront6targetE0EEEvT1_
	.p2align	8
	.type	_ZN7rocprim17ROCPRIM_400000_NS6detail17trampoline_kernelINS0_14default_configENS1_25partition_config_selectorILNS1_17partition_subalgoE6EdNS0_10empty_typeEbEEZZNS1_14partition_implILS5_6ELb0ES3_mN6thrust23THRUST_200600_302600_NS6detail15normal_iteratorINSA_10device_ptrIdEEEEPS6_SG_NS0_5tupleIJSF_S6_EEENSH_IJSG_SG_EEES6_PlJNSB_9not_fun_tI7is_trueIdEEEEEE10hipError_tPvRmT3_T4_T5_T6_T7_T9_mT8_P12ihipStream_tbDpT10_ENKUlT_T0_E_clISt17integral_constantIbLb0EES17_IbLb1EEEEDaS13_S14_EUlS13_E_NS1_11comp_targetILNS1_3genE10ELNS1_11target_archE1200ELNS1_3gpuE4ELNS1_3repE0EEENS1_30default_config_static_selectorELNS0_4arch9wavefront6targetE0EEEvT1_,@function
_ZN7rocprim17ROCPRIM_400000_NS6detail17trampoline_kernelINS0_14default_configENS1_25partition_config_selectorILNS1_17partition_subalgoE6EdNS0_10empty_typeEbEEZZNS1_14partition_implILS5_6ELb0ES3_mN6thrust23THRUST_200600_302600_NS6detail15normal_iteratorINSA_10device_ptrIdEEEEPS6_SG_NS0_5tupleIJSF_S6_EEENSH_IJSG_SG_EEES6_PlJNSB_9not_fun_tI7is_trueIdEEEEEE10hipError_tPvRmT3_T4_T5_T6_T7_T9_mT8_P12ihipStream_tbDpT10_ENKUlT_T0_E_clISt17integral_constantIbLb0EES17_IbLb1EEEEDaS13_S14_EUlS13_E_NS1_11comp_targetILNS1_3genE10ELNS1_11target_archE1200ELNS1_3gpuE4ELNS1_3repE0EEENS1_30default_config_static_selectorELNS0_4arch9wavefront6targetE0EEEvT1_: ; @_ZN7rocprim17ROCPRIM_400000_NS6detail17trampoline_kernelINS0_14default_configENS1_25partition_config_selectorILNS1_17partition_subalgoE6EdNS0_10empty_typeEbEEZZNS1_14partition_implILS5_6ELb0ES3_mN6thrust23THRUST_200600_302600_NS6detail15normal_iteratorINSA_10device_ptrIdEEEEPS6_SG_NS0_5tupleIJSF_S6_EEENSH_IJSG_SG_EEES6_PlJNSB_9not_fun_tI7is_trueIdEEEEEE10hipError_tPvRmT3_T4_T5_T6_T7_T9_mT8_P12ihipStream_tbDpT10_ENKUlT_T0_E_clISt17integral_constantIbLb0EES17_IbLb1EEEEDaS13_S14_EUlS13_E_NS1_11comp_targetILNS1_3genE10ELNS1_11target_archE1200ELNS1_3gpuE4ELNS1_3repE0EEENS1_30default_config_static_selectorELNS0_4arch9wavefront6targetE0EEEvT1_
; %bb.0:
	s_clause 0x3
	s_load_b64 s[12:13], s[0:1], 0x28
	s_load_b128 s[8:11], s[0:1], 0x40
	s_load_b64 s[16:17], s[0:1], 0x50
	s_load_b64 s[14:15], s[0:1], 0x60
	v_cmp_eq_u32_e64 s2, 0, v0
	s_and_saveexec_b32 s3, s2
	s_cbranch_execz .LBB1074_4
; %bb.1:
	s_mov_b32 s5, exec_lo
	s_mov_b32 s4, exec_lo
	v_mbcnt_lo_u32_b32 v1, s5, 0
                                        ; implicit-def: $vgpr2
	s_delay_alu instid0(VALU_DEP_1)
	v_cmpx_eq_u32_e32 0, v1
	s_cbranch_execz .LBB1074_3
; %bb.2:
	s_load_b64 s[6:7], s[0:1], 0x70
	s_bcnt1_i32_b32 s5, s5
	s_wait_alu 0xfffe
	v_dual_mov_b32 v2, 0 :: v_dual_mov_b32 v3, s5
	s_wait_kmcnt 0x0
	global_atomic_add_u32 v2, v2, v3, s[6:7] th:TH_ATOMIC_RETURN scope:SCOPE_DEV
.LBB1074_3:
	s_or_b32 exec_lo, exec_lo, s4
	s_wait_loadcnt 0x0
	v_readfirstlane_b32 s4, v2
	s_wait_alu 0xf1ff
	s_delay_alu instid0(VALU_DEP_1)
	v_dual_mov_b32 v2, 0 :: v_dual_add_nc_u32 v1, s4, v1
	ds_store_b32 v2, v1
.LBB1074_4:
	s_or_b32 exec_lo, exec_lo, s3
	v_mov_b32_e32 v2, 0
	s_clause 0x1
	s_load_b128 s[4:7], s[0:1], 0x8
	s_load_b32 s0, s[0:1], 0x68
	s_wait_dscnt 0x0
	s_barrier_signal -1
	s_barrier_wait -1
	global_inv scope:SCOPE_SE
	ds_load_b32 v1, v2
	s_wait_loadcnt_dscnt 0x0
	s_barrier_signal -1
	s_barrier_wait -1
	global_inv scope:SCOPE_SE
	s_wait_kmcnt 0x0
	global_load_b64 v[17:18], v2, s[10:11]
	s_mov_b32 s1, 0
	v_lshrrev_b32_e32 v9, 2, v0
	v_or_b32_e32 v11, 0x200, v0
	v_or_b32_e32 v10, 0x300, v0
	s_lshl_b64 s[18:19], s[6:7], 3
	s_add_co_i32 s3, s0, -1
	s_lshl_b32 s0, s0, 10
	s_lshl_b32 s10, s3, 10
	s_add_nc_u64 s[20:21], s[6:7], s[0:1]
	s_add_co_i32 s0, s6, s10
	v_readfirstlane_b32 s11, v1
	v_lshlrev_b32_e32 v1, 10, v1
	v_cmp_le_u64_e64 s1, s[16:17], s[20:21]
	s_add_nc_u64 s[4:5], s[4:5], s[18:19]
	s_cmp_eq_u32 s11, s3
	v_lshlrev_b64_e32 v[1:2], 3, v[1:2]
	s_cselect_b32 s6, -1, 0
	s_delay_alu instid0(SALU_CYCLE_1) | instskip(NEXT) | instid1(SALU_CYCLE_1)
	s_and_b32 s1, s1, s6
	s_xor_b32 s7, s1, -1
	s_wait_alu 0xfffe
	s_delay_alu instid0(VALU_DEP_1) | instskip(NEXT) | instid1(VALU_DEP_1)
	v_add_co_u32 v12, vcc_lo, s4, v1
	v_add_co_ci_u32_e64 v13, null, s5, v2, vcc_lo
	s_and_b32 vcc_lo, exec_lo, s7
	s_mov_b32 s1, -1
	s_wait_alu 0xfffe
	s_cbranch_vccz .LBB1074_6
; %bb.5:
	v_lshlrev_b32_e32 v14, 3, v0
	v_or_b32_e32 v15, 0x100, v0
	v_lshrrev_b32_e32 v16, 2, v11
	v_lshrrev_b32_e32 v19, 2, v10
	v_and_b32_e32 v20, 56, v9
	v_add_co_u32 v1, vcc_lo, v12, v14
	s_wait_alu 0xfffd
	v_add_co_ci_u32_e64 v2, null, 0, v13, vcc_lo
	v_lshrrev_b32_e32 v15, 2, v15
	v_and_b32_e32 v16, 0xb8, v16
	v_and_b32_e32 v19, 0xf8, v19
	s_clause 0x3
	flat_load_b64 v[3:4], v[1:2]
	flat_load_b64 v[5:6], v[1:2] offset:2048
	flat_load_b64 v[7:8], v[1:2] offset:4096
	flat_load_b64 v[1:2], v[1:2] offset:6144
	v_add_nc_u32_e32 v20, v20, v14
	v_and_b32_e32 v15, 0x78, v15
	v_add_nc_u32_e32 v16, v16, v14
	s_mov_b32 s1, 0
	s_delay_alu instid0(VALU_DEP_2)
	v_add_nc_u32_e32 v15, v15, v14
	v_add_nc_u32_e32 v14, v19, v14
	s_wait_loadcnt_dscnt 0x303
	ds_store_b64 v20, v[3:4]
	s_wait_loadcnt_dscnt 0x203
	ds_store_b64 v15, v[5:6] offset:2048
	s_wait_loadcnt_dscnt 0x103
	ds_store_b64 v16, v[7:8] offset:4096
	;; [unrolled: 2-line block ×3, first 2 shown]
	s_wait_dscnt 0x0
	s_barrier_signal -1
	s_barrier_wait -1
.LBB1074_6:
	s_and_not1_b32 vcc_lo, exec_lo, s1
	s_sub_co_i32 s16, s16, s0
	s_wait_alu 0xfffe
	s_cbranch_vccnz .LBB1074_14
; %bb.7:
	v_mov_b32_e32 v1, 0
	s_mov_b32 s0, exec_lo
	s_delay_alu instid0(VALU_DEP_1)
	v_dual_mov_b32 v2, v1 :: v_dual_mov_b32 v3, v1
	v_dual_mov_b32 v4, v1 :: v_dual_mov_b32 v5, v1
	;; [unrolled: 1-line block ×3, first 2 shown]
	v_mov_b32_e32 v8, v1
	v_cmpx_gt_u32_e64 s16, v0
	s_cbranch_execz .LBB1074_9
; %bb.8:
	v_dual_mov_b32 v21, v1 :: v_dual_lshlrev_b32 v2, 3, v0
	v_dual_mov_b32 v22, v1 :: v_dual_mov_b32 v23, v1
	v_dual_mov_b32 v24, v1 :: v_dual_mov_b32 v25, v1
	s_delay_alu instid0(VALU_DEP_3)
	v_add_co_u32 v2, vcc_lo, v12, v2
	s_wait_alu 0xfffd
	v_add_co_ci_u32_e64 v3, null, 0, v13, vcc_lo
	v_mov_b32_e32 v26, v1
	flat_load_b64 v[19:20], v[2:3]
	s_wait_loadcnt_dscnt 0x0
	v_dual_mov_b32 v1, v19 :: v_dual_mov_b32 v2, v20
	v_dual_mov_b32 v3, v21 :: v_dual_mov_b32 v4, v22
	;; [unrolled: 1-line block ×4, first 2 shown]
.LBB1074_9:
	s_or_b32 exec_lo, exec_lo, s0
	v_or_b32_e32 v14, 0x100, v0
	s_mov_b32 s0, exec_lo
	s_delay_alu instid0(VALU_DEP_1)
	v_cmpx_gt_u32_e64 s16, v14
	s_cbranch_execnz .LBB1074_132
; %bb.10:
	s_or_b32 exec_lo, exec_lo, s0
	s_delay_alu instid0(SALU_CYCLE_1)
	s_mov_b32 s0, exec_lo
	v_cmpx_gt_u32_e64 s16, v11
	s_cbranch_execnz .LBB1074_133
.LBB1074_11:
	s_or_b32 exec_lo, exec_lo, s0
	s_delay_alu instid0(SALU_CYCLE_1)
	s_mov_b32 s0, exec_lo
	v_cmpx_gt_u32_e64 s16, v10
	s_cbranch_execz .LBB1074_13
.LBB1074_12:
	v_lshlrev_b32_e32 v7, 3, v0
	s_delay_alu instid0(VALU_DEP_1)
	v_add_co_u32 v7, vcc_lo, v12, v7
	s_wait_alu 0xfffd
	v_add_co_ci_u32_e64 v8, null, 0, v13, vcc_lo
	flat_load_b64 v[7:8], v[7:8] offset:6144
.LBB1074_13:
	s_or_b32 exec_lo, exec_lo, s0
	v_lshrrev_b32_e32 v12, 2, v14
	v_lshrrev_b32_e32 v11, 2, v11
	v_lshrrev_b32_e32 v10, 2, v10
	v_and_b32_e32 v9, 56, v9
	v_lshlrev_b32_e32 v13, 3, v0
	v_and_b32_e32 v12, 0x78, v12
	v_and_b32_e32 v11, 0xf8, v11
	;; [unrolled: 1-line block ×3, first 2 shown]
	s_delay_alu instid0(VALU_DEP_4) | instskip(NEXT) | instid1(VALU_DEP_4)
	v_add_nc_u32_e32 v9, v9, v13
	v_add_nc_u32_e32 v12, v12, v13
	s_delay_alu instid0(VALU_DEP_4) | instskip(NEXT) | instid1(VALU_DEP_4)
	v_add_nc_u32_e32 v11, v11, v13
	v_add_nc_u32_e32 v10, v10, v13
	ds_store_b64 v9, v[1:2]
	s_wait_loadcnt_dscnt 0x1
	ds_store_b64 v12, v[3:4] offset:2048
	ds_store_b64 v11, v[5:6] offset:4096
	;; [unrolled: 1-line block ×3, first 2 shown]
	s_wait_dscnt 0x0
	s_barrier_signal -1
	s_barrier_wait -1
.LBB1074_14:
	v_and_b32_e32 v1, 0xf8, v0
	s_wait_loadcnt 0x0
	global_inv scope:SCOPE_SE
	s_and_not1_b32 vcc_lo, exec_lo, s7
	v_lshl_add_u32 v5, v0, 5, v1
	ds_load_2addr_b64 v[1:4], v5 offset1:3
	ds_load_2addr_b64 v[5:8], v5 offset0:1 offset1:2
	s_wait_loadcnt_dscnt 0x0
	s_barrier_signal -1
	s_barrier_wait -1
	global_inv scope:SCOPE_SE
	v_cmp_eq_f64_e64 s0, 0, v[1:2]
	v_cmp_eq_f64_e64 s10, 0, v[3:4]
	s_wait_alu 0xfffe
	s_cbranch_vccnz .LBB1074_16
; %bb.15:
	v_cmp_eq_f64_e32 vcc_lo, 0, v[7:8]
	v_cndmask_b32_e64 v29, 0, 1, s0
	s_wait_alu 0xfffd
	v_cndmask_b32_e64 v27, 0, 1, vcc_lo
	v_cmp_eq_f64_e32 vcc_lo, 0, v[5:6]
	s_delay_alu instid0(VALU_DEP_2) | instskip(SKIP_2) | instid1(VALU_DEP_1)
	v_lshlrev_b16 v10, 8, v27
	s_wait_alu 0xfffd
	v_cndmask_b32_e64 v9, 0, 1, vcc_lo
	v_or_b32_e32 v28, v9, v10
	s_cbranch_execz .LBB1074_17
	s_branch .LBB1074_18
.LBB1074_16:
                                        ; implicit-def: $sgpr10
                                        ; implicit-def: $vgpr29
                                        ; implicit-def: $vgpr28
                                        ; implicit-def: $vgpr27
.LBB1074_17:
	v_cmp_eq_f64_e32 vcc_lo, 0, v[7:8]
	v_cmp_eq_f64_e64 s0, 0, v[5:6]
	v_cmp_eq_f64_e64 s1, 0, v[1:2]
	;; [unrolled: 1-line block ×3, first 2 shown]
	v_lshlrev_b32_e32 v9, 2, v0
	s_delay_alu instid0(VALU_DEP_1) | instskip(SKIP_1) | instid1(VALU_DEP_2)
	v_or_b32_e32 v10, 2, v9
	v_or_b32_e32 v11, 1, v9
	v_cmp_gt_u32_e64 s4, s16, v10
	s_delay_alu instid0(VALU_DEP_2)
	v_cmp_gt_u32_e64 s5, s16, v11
	v_or_b32_e32 v10, 3, v9
	s_and_b32 s4, s4, vcc_lo
	v_cmp_gt_u32_e32 vcc_lo, s16, v9
	s_wait_alu 0xfffe
	v_cndmask_b32_e64 v27, 0, 1, s4
	s_and_b32 s0, s5, s0
	v_cmp_gt_u32_e64 s4, s16, v10
	s_wait_alu 0xfffe
	v_cndmask_b32_e64 v9, 0, 1, s0
	s_and_b32 s0, vcc_lo, s1
	v_lshlrev_b16 v10, 8, v27
	s_wait_alu 0xfffe
	v_cndmask_b32_e64 v29, 0, 1, s0
	s_and_b32 s0, s4, s3
	s_and_not1_b32 s1, s10, exec_lo
	s_wait_alu 0xfffe
	s_and_b32 s0, s0, exec_lo
	v_or_b32_e32 v28, v9, v10
	s_wait_alu 0xfffe
	s_or_b32 s10, s1, s0
.LBB1074_18:
	v_and_b32_e32 v32, 0xff, v29
	s_delay_alu instid0(VALU_DEP_2)
	v_dual_mov_b32 v10, 0 :: v_dual_and_b32 v31, 0xff, v28
	v_cndmask_b32_e64 v9, 0, 1, s10
	v_mbcnt_lo_u32_b32 v33, -1, 0
	v_and_b32_e32 v30, 0xff, v27
	s_cmp_lg_u32 s11, 0
	s_mov_b32 s1, -1
	v_add3_u32 v9, v32, v9, v31
	v_and_b32_e32 v34, 15, v33
	s_delay_alu instid0(VALU_DEP_2) | instskip(SKIP_2) | instid1(VALU_DEP_3)
	v_add_co_u32 v19, s0, v9, v30
	s_wait_alu 0xf1ff
	v_add_co_ci_u32_e64 v20, null, 0, 0, s0
	v_cmp_ne_u32_e64 s0, 0, v34
	s_cbranch_scc0 .LBB1074_75
; %bb.19:
	v_mov_b32_e32 v11, v19
	v_mov_b32_dpp v9, v19 row_shr:1 row_mask:0xf bank_mask:0xf
	v_mov_b32_dpp v14, v10 row_shr:1 row_mask:0xf bank_mask:0xf
	v_dual_mov_b32 v13, v19 :: v_dual_mov_b32 v12, v20
	s_and_saveexec_b32 s1, s0
; %bb.20:
	s_delay_alu instid0(VALU_DEP_3) | instskip(SKIP_2) | instid1(VALU_DEP_2)
	v_add_co_u32 v13, vcc_lo, v19, v9
	s_wait_alu 0xfffd
	v_add_co_ci_u32_e64 v10, null, 0, v20, vcc_lo
	v_add_co_u32 v9, vcc_lo, 0, v13
	s_wait_alu 0xfffd
	s_delay_alu instid0(VALU_DEP_2) | instskip(NEXT) | instid1(VALU_DEP_1)
	v_add_co_ci_u32_e64 v10, null, v14, v10, vcc_lo
	v_dual_mov_b32 v12, v10 :: v_dual_mov_b32 v11, v9
; %bb.21:
	s_wait_alu 0xfffe
	s_or_b32 exec_lo, exec_lo, s1
	v_mov_b32_dpp v9, v13 row_shr:2 row_mask:0xf bank_mask:0xf
	v_mov_b32_dpp v14, v10 row_shr:2 row_mask:0xf bank_mask:0xf
	s_mov_b32 s1, exec_lo
	v_cmpx_lt_u32_e32 1, v34
; %bb.22:
	s_delay_alu instid0(VALU_DEP_3) | instskip(SKIP_2) | instid1(VALU_DEP_2)
	v_add_co_u32 v13, vcc_lo, v11, v9
	s_wait_alu 0xfffd
	v_add_co_ci_u32_e64 v10, null, 0, v12, vcc_lo
	v_add_co_u32 v9, vcc_lo, 0, v13
	s_wait_alu 0xfffd
	s_delay_alu instid0(VALU_DEP_2) | instskip(NEXT) | instid1(VALU_DEP_1)
	v_add_co_ci_u32_e64 v10, null, v14, v10, vcc_lo
	v_dual_mov_b32 v12, v10 :: v_dual_mov_b32 v11, v9
; %bb.23:
	s_wait_alu 0xfffe
	s_or_b32 exec_lo, exec_lo, s1
	v_mov_b32_dpp v9, v13 row_shr:4 row_mask:0xf bank_mask:0xf
	v_mov_b32_dpp v14, v10 row_shr:4 row_mask:0xf bank_mask:0xf
	s_mov_b32 s1, exec_lo
	v_cmpx_lt_u32_e32 3, v34
	;; [unrolled: 17-line block ×3, first 2 shown]
; %bb.26:
	s_delay_alu instid0(VALU_DEP_3) | instskip(SKIP_2) | instid1(VALU_DEP_2)
	v_add_co_u32 v13, vcc_lo, v11, v14
	s_wait_alu 0xfffd
	v_add_co_ci_u32_e64 v10, null, 0, v12, vcc_lo
	v_add_co_u32 v11, vcc_lo, 0, v13
	s_wait_alu 0xfffd
	s_delay_alu instid0(VALU_DEP_2) | instskip(NEXT) | instid1(VALU_DEP_1)
	v_add_co_ci_u32_e64 v12, null, v9, v10, vcc_lo
	v_mov_b32_e32 v10, v12
; %bb.27:
	s_wait_alu 0xfffe
	s_or_b32 exec_lo, exec_lo, s1
	ds_swizzle_b32 v9, v13 offset:swizzle(BROADCAST,32,15)
	ds_swizzle_b32 v14, v10 offset:swizzle(BROADCAST,32,15)
	v_and_b32_e32 v15, 16, v33
	s_mov_b32 s1, exec_lo
	s_delay_alu instid0(VALU_DEP_1)
	v_cmpx_ne_u32_e32 0, v15
	s_cbranch_execz .LBB1074_29
; %bb.28:
	s_wait_dscnt 0x1
	v_add_co_u32 v13, vcc_lo, v11, v9
	s_wait_alu 0xfffd
	v_add_co_ci_u32_e64 v10, null, 0, v12, vcc_lo
	s_delay_alu instid0(VALU_DEP_2) | instskip(SKIP_2) | instid1(VALU_DEP_2)
	v_add_co_u32 v9, vcc_lo, 0, v13
	s_wait_dscnt 0x0
	s_wait_alu 0xfffd
	v_add_co_ci_u32_e64 v10, null, v14, v10, vcc_lo
	s_delay_alu instid0(VALU_DEP_1)
	v_dual_mov_b32 v12, v10 :: v_dual_mov_b32 v11, v9
.LBB1074_29:
	s_wait_alu 0xfffe
	s_or_b32 exec_lo, exec_lo, s1
	s_wait_dscnt 0x0
	v_or_b32_e32 v14, 31, v0
	v_lshrrev_b32_e32 v9, 5, v0
	s_mov_b32 s1, exec_lo
	s_delay_alu instid0(VALU_DEP_2)
	v_cmpx_eq_u32_e64 v0, v14
; %bb.30:
	s_delay_alu instid0(VALU_DEP_2)
	v_lshlrev_b32_e32 v14, 3, v9
	ds_store_b64 v14, v[11:12]
; %bb.31:
	s_wait_alu 0xfffe
	s_or_b32 exec_lo, exec_lo, s1
	s_delay_alu instid0(SALU_CYCLE_1)
	s_mov_b32 s1, exec_lo
	s_wait_loadcnt_dscnt 0x0
	s_barrier_signal -1
	s_barrier_wait -1
	global_inv scope:SCOPE_SE
	v_cmpx_gt_u32_e32 8, v0
	s_cbranch_execz .LBB1074_39
; %bb.32:
	v_lshlrev_b32_e32 v14, 3, v0
	s_mov_b32 s3, exec_lo
	ds_load_b64 v[11:12], v14
	s_wait_dscnt 0x0
	v_dual_mov_b32 v16, v11 :: v_dual_and_b32 v15, 7, v33
	v_mov_b32_dpp v22, v11 row_shr:1 row_mask:0xf bank_mask:0xf
	v_mov_b32_dpp v21, v12 row_shr:1 row_mask:0xf bank_mask:0xf
	s_delay_alu instid0(VALU_DEP_3)
	v_cmpx_ne_u32_e32 0, v15
; %bb.33:
	s_delay_alu instid0(VALU_DEP_3) | instskip(SKIP_2) | instid1(VALU_DEP_2)
	v_add_co_u32 v16, vcc_lo, v11, v22
	s_wait_alu 0xfffd
	v_add_co_ci_u32_e64 v12, null, 0, v12, vcc_lo
	v_add_co_u32 v11, vcc_lo, 0, v16
	s_wait_alu 0xfffd
	s_delay_alu instid0(VALU_DEP_2)
	v_add_co_ci_u32_e64 v12, null, v21, v12, vcc_lo
; %bb.34:
	s_or_b32 exec_lo, exec_lo, s3
	v_mov_b32_dpp v22, v16 row_shr:2 row_mask:0xf bank_mask:0xf
	s_delay_alu instid0(VALU_DEP_2)
	v_mov_b32_dpp v21, v12 row_shr:2 row_mask:0xf bank_mask:0xf
	s_mov_b32 s3, exec_lo
	v_cmpx_lt_u32_e32 1, v15
; %bb.35:
	s_delay_alu instid0(VALU_DEP_3) | instskip(SKIP_2) | instid1(VALU_DEP_2)
	v_add_co_u32 v16, vcc_lo, v11, v22
	s_wait_alu 0xfffd
	v_add_co_ci_u32_e64 v12, null, 0, v12, vcc_lo
	v_add_co_u32 v11, vcc_lo, 0, v16
	s_wait_alu 0xfffd
	s_delay_alu instid0(VALU_DEP_2)
	v_add_co_ci_u32_e64 v12, null, v21, v12, vcc_lo
; %bb.36:
	s_or_b32 exec_lo, exec_lo, s3
	v_mov_b32_dpp v21, v16 row_shr:4 row_mask:0xf bank_mask:0xf
	s_delay_alu instid0(VALU_DEP_2)
	v_mov_b32_dpp v16, v12 row_shr:4 row_mask:0xf bank_mask:0xf
	s_mov_b32 s3, exec_lo
	v_cmpx_lt_u32_e32 3, v15
; %bb.37:
	s_delay_alu instid0(VALU_DEP_3) | instskip(SKIP_2) | instid1(VALU_DEP_2)
	v_add_co_u32 v11, vcc_lo, v11, v21
	s_wait_alu 0xfffd
	v_add_co_ci_u32_e64 v12, null, 0, v12, vcc_lo
	v_add_co_u32 v11, vcc_lo, v11, 0
	s_wait_alu 0xfffd
	s_delay_alu instid0(VALU_DEP_2)
	v_add_co_ci_u32_e64 v12, null, v12, v16, vcc_lo
; %bb.38:
	s_or_b32 exec_lo, exec_lo, s3
	ds_store_b64 v14, v[11:12]
.LBB1074_39:
	s_wait_alu 0xfffe
	s_or_b32 exec_lo, exec_lo, s1
	s_delay_alu instid0(SALU_CYCLE_1)
	s_mov_b32 s3, exec_lo
	v_cmp_gt_u32_e32 vcc_lo, 32, v0
	s_wait_loadcnt_dscnt 0x0
	s_barrier_signal -1
	s_barrier_wait -1
	global_inv scope:SCOPE_SE
                                        ; implicit-def: $vgpr21_vgpr22
	v_cmpx_lt_u32_e32 31, v0
	s_cbranch_execz .LBB1074_41
; %bb.40:
	v_lshl_add_u32 v9, v9, 3, -8
	ds_load_b64 v[21:22], v9
	s_wait_dscnt 0x0
	v_add_co_u32 v13, s1, v13, v21
	s_wait_alu 0xf1ff
	v_add_co_ci_u32_e64 v10, null, v10, v22, s1
.LBB1074_41:
	s_or_b32 exec_lo, exec_lo, s3
	v_sub_co_u32 v9, s1, v33, 1
	s_delay_alu instid0(VALU_DEP_1) | instskip(NEXT) | instid1(VALU_DEP_1)
	v_cmp_gt_i32_e64 s3, 0, v9
	v_cndmask_b32_e64 v9, v9, v33, s3
	s_delay_alu instid0(VALU_DEP_1)
	v_lshlrev_b32_e32 v9, 2, v9
	ds_bpermute_b32 v35, v9, v13
	ds_bpermute_b32 v36, v9, v10
	s_and_saveexec_b32 s3, vcc_lo
	s_cbranch_execz .LBB1074_80
; %bb.42:
	v_mov_b32_e32 v12, 0
	ds_load_b64 v[9:10], v12 offset:56
	s_and_saveexec_b32 s4, s1
	s_cbranch_execz .LBB1074_44
; %bb.43:
	s_add_co_i32 s16, s11, 32
	s_mov_b32 s17, 0
	s_wait_alu 0xfffe
	s_lshl_b64 s[16:17], s[16:17], 4
	s_wait_alu 0xfffe
	s_add_nc_u64 s[16:17], s[14:15], s[16:17]
	v_mov_b32_e32 v11, 1
	s_wait_alu 0xfffe
	v_dual_mov_b32 v13, s16 :: v_dual_mov_b32 v14, s17
	s_wait_dscnt 0x0
	;;#ASMSTART
	global_store_b128 v[13:14], v[9:12] off scope:SCOPE_DEV	
s_wait_storecnt 0x0
	;;#ASMEND
.LBB1074_44:
	s_wait_alu 0xfffe
	s_or_b32 exec_lo, exec_lo, s4
	v_xad_u32 v23, v33, -1, s11
	s_mov_b32 s5, 0
	s_mov_b32 s4, exec_lo
	s_delay_alu instid0(VALU_DEP_1) | instskip(NEXT) | instid1(VALU_DEP_1)
	v_add_nc_u32_e32 v11, 32, v23
	v_lshlrev_b64_e32 v[11:12], 4, v[11:12]
	s_delay_alu instid0(VALU_DEP_1) | instskip(SKIP_1) | instid1(VALU_DEP_2)
	v_add_co_u32 v11, vcc_lo, s14, v11
	s_wait_alu 0xfffd
	v_add_co_ci_u32_e64 v12, null, s15, v12, vcc_lo
	;;#ASMSTART
	global_load_b128 v[13:16], v[11:12] off scope:SCOPE_DEV	
s_wait_loadcnt 0x0
	;;#ASMEND
	v_and_b32_e32 v16, 0xff, v15
	s_delay_alu instid0(VALU_DEP_1)
	v_cmpx_eq_u16_e32 0, v16
	s_cbranch_execz .LBB1074_47
.LBB1074_45:                            ; =>This Inner Loop Header: Depth=1
	;;#ASMSTART
	global_load_b128 v[13:16], v[11:12] off scope:SCOPE_DEV	
s_wait_loadcnt 0x0
	;;#ASMEND
	v_and_b32_e32 v16, 0xff, v15
	s_delay_alu instid0(VALU_DEP_1)
	v_cmp_ne_u16_e32 vcc_lo, 0, v16
	s_wait_alu 0xfffe
	s_or_b32 s5, vcc_lo, s5
	s_wait_alu 0xfffe
	s_and_not1_b32 exec_lo, exec_lo, s5
	s_cbranch_execnz .LBB1074_45
; %bb.46:
	s_or_b32 exec_lo, exec_lo, s5
.LBB1074_47:
	s_wait_alu 0xfffe
	s_or_b32 exec_lo, exec_lo, s4
	v_cmp_ne_u32_e32 vcc_lo, 31, v33
	v_and_b32_e32 v12, 0xff, v15
	v_lshlrev_b32_e64 v38, v33, -1
	s_mov_b32 s4, exec_lo
	s_wait_alu 0xfffd
	v_add_co_ci_u32_e64 v11, null, 0, v33, vcc_lo
	v_cmp_eq_u16_e32 vcc_lo, 2, v12
	s_delay_alu instid0(VALU_DEP_2)
	v_dual_mov_b32 v12, v13 :: v_dual_lshlrev_b32 v37, 2, v11
	s_wait_alu 0xfffd
	v_and_or_b32 v11, vcc_lo, v38, 0x80000000
	ds_bpermute_b32 v24, v37, v13
	ds_bpermute_b32 v16, v37, v14
	v_ctz_i32_b32_e32 v11, v11
	s_delay_alu instid0(VALU_DEP_1)
	v_cmpx_lt_u32_e64 v33, v11
	s_cbranch_execz .LBB1074_49
; %bb.48:
	s_wait_dscnt 0x1
	v_add_co_u32 v12, vcc_lo, v13, v24
	s_wait_alu 0xfffd
	v_add_co_ci_u32_e64 v14, null, 0, v14, vcc_lo
	s_delay_alu instid0(VALU_DEP_2) | instskip(SKIP_2) | instid1(VALU_DEP_2)
	v_add_co_u32 v13, vcc_lo, 0, v12
	s_wait_dscnt 0x0
	s_wait_alu 0xfffd
	v_add_co_ci_u32_e64 v14, null, v16, v14, vcc_lo
.LBB1074_49:
	s_wait_alu 0xfffe
	s_or_b32 exec_lo, exec_lo, s4
	v_cmp_gt_u32_e32 vcc_lo, 30, v33
	v_add_nc_u32_e32 v40, 2, v33
	s_mov_b32 s4, exec_lo
	s_wait_dscnt 0x0
	s_wait_alu 0xfffd
	v_cndmask_b32_e64 v16, 0, 2, vcc_lo
	s_delay_alu instid0(VALU_DEP_1)
	v_add_lshl_u32 v39, v16, v33, 2
	ds_bpermute_b32 v24, v39, v12
	ds_bpermute_b32 v16, v39, v14
	v_cmpx_le_u32_e64 v40, v11
	s_cbranch_execz .LBB1074_51
; %bb.50:
	s_wait_dscnt 0x1
	v_add_co_u32 v12, vcc_lo, v13, v24
	s_wait_alu 0xfffd
	v_add_co_ci_u32_e64 v14, null, 0, v14, vcc_lo
	s_delay_alu instid0(VALU_DEP_2) | instskip(SKIP_2) | instid1(VALU_DEP_2)
	v_add_co_u32 v13, vcc_lo, 0, v12
	s_wait_dscnt 0x0
	s_wait_alu 0xfffd
	v_add_co_ci_u32_e64 v14, null, v16, v14, vcc_lo
.LBB1074_51:
	s_wait_alu 0xfffe
	s_or_b32 exec_lo, exec_lo, s4
	v_cmp_gt_u32_e32 vcc_lo, 28, v33
	v_add_nc_u32_e32 v42, 4, v33
	s_mov_b32 s4, exec_lo
	s_wait_dscnt 0x0
	s_wait_alu 0xfffd
	v_cndmask_b32_e64 v16, 0, 4, vcc_lo
	s_delay_alu instid0(VALU_DEP_1)
	v_add_lshl_u32 v41, v16, v33, 2
	ds_bpermute_b32 v24, v41, v12
	ds_bpermute_b32 v16, v41, v14
	v_cmpx_le_u32_e64 v42, v11
	;; [unrolled: 25-line block ×3, first 2 shown]
	s_cbranch_execz .LBB1074_55
; %bb.54:
	s_wait_dscnt 0x1
	v_add_co_u32 v12, vcc_lo, v13, v24
	s_wait_alu 0xfffd
	v_add_co_ci_u32_e64 v14, null, 0, v14, vcc_lo
	s_delay_alu instid0(VALU_DEP_2) | instskip(SKIP_2) | instid1(VALU_DEP_2)
	v_add_co_u32 v13, vcc_lo, 0, v12
	s_wait_dscnt 0x0
	s_wait_alu 0xfffd
	v_add_co_ci_u32_e64 v14, null, v16, v14, vcc_lo
.LBB1074_55:
	s_wait_alu 0xfffe
	s_or_b32 exec_lo, exec_lo, s4
	v_lshl_or_b32 v45, v33, 2, 64
	v_add_nc_u32_e32 v46, 16, v33
	s_mov_b32 s4, exec_lo
	s_wait_dscnt 0x0
	ds_bpermute_b32 v16, v45, v12
	ds_bpermute_b32 v12, v45, v14
	v_cmpx_le_u32_e64 v46, v11
	s_cbranch_execz .LBB1074_57
; %bb.56:
	s_wait_dscnt 0x1
	v_add_co_u32 v11, vcc_lo, v13, v16
	s_wait_alu 0xfffd
	v_add_co_ci_u32_e64 v14, null, 0, v14, vcc_lo
	s_delay_alu instid0(VALU_DEP_2) | instskip(SKIP_2) | instid1(VALU_DEP_2)
	v_add_co_u32 v13, vcc_lo, v11, 0
	s_wait_dscnt 0x0
	s_wait_alu 0xfffd
	v_add_co_ci_u32_e64 v14, null, v14, v12, vcc_lo
.LBB1074_57:
	s_wait_alu 0xfffe
	s_or_b32 exec_lo, exec_lo, s4
	v_mov_b32_e32 v24, 0
	s_branch .LBB1074_60
.LBB1074_58:                            ;   in Loop: Header=BB1074_60 Depth=1
	s_wait_alu 0xfffe
	s_or_b32 exec_lo, exec_lo, s4
	v_add_co_u32 v13, vcc_lo, v13, v11
	v_subrev_nc_u32_e32 v23, 32, v23
	s_wait_alu 0xfffd
	v_add_co_ci_u32_e64 v14, null, v14, v12, vcc_lo
	s_mov_b32 s4, 0
.LBB1074_59:                            ;   in Loop: Header=BB1074_60 Depth=1
	s_wait_alu 0xfffe
	s_and_b32 vcc_lo, exec_lo, s4
	s_wait_alu 0xfffe
	s_cbranch_vccnz .LBB1074_76
.LBB1074_60:                            ; =>This Loop Header: Depth=1
                                        ;     Child Loop BB1074_63 Depth 2
	v_and_b32_e32 v11, 0xff, v15
	s_mov_b32 s4, -1
	s_delay_alu instid0(VALU_DEP_1)
	v_cmp_ne_u16_e32 vcc_lo, 2, v11
	s_wait_dscnt 0x0
	v_dual_mov_b32 v11, v13 :: v_dual_mov_b32 v12, v14
                                        ; implicit-def: $vgpr13_vgpr14
	s_cmp_lg_u32 vcc_lo, exec_lo
	s_cbranch_scc1 .LBB1074_59
; %bb.61:                               ;   in Loop: Header=BB1074_60 Depth=1
	v_lshlrev_b64_e32 v[13:14], 4, v[23:24]
	s_mov_b32 s4, exec_lo
	s_delay_alu instid0(VALU_DEP_1) | instskip(SKIP_1) | instid1(VALU_DEP_2)
	v_add_co_u32 v25, vcc_lo, s14, v13
	s_wait_alu 0xfffd
	v_add_co_ci_u32_e64 v26, null, s15, v14, vcc_lo
	;;#ASMSTART
	global_load_b128 v[13:16], v[25:26] off scope:SCOPE_DEV	
s_wait_loadcnt 0x0
	;;#ASMEND
	v_and_b32_e32 v16, 0xff, v15
	s_delay_alu instid0(VALU_DEP_1)
	v_cmpx_eq_u16_e32 0, v16
	s_cbranch_execz .LBB1074_65
; %bb.62:                               ;   in Loop: Header=BB1074_60 Depth=1
	s_mov_b32 s5, 0
.LBB1074_63:                            ;   Parent Loop BB1074_60 Depth=1
                                        ; =>  This Inner Loop Header: Depth=2
	;;#ASMSTART
	global_load_b128 v[13:16], v[25:26] off scope:SCOPE_DEV	
s_wait_loadcnt 0x0
	;;#ASMEND
	v_and_b32_e32 v16, 0xff, v15
	s_delay_alu instid0(VALU_DEP_1)
	v_cmp_ne_u16_e32 vcc_lo, 0, v16
	s_wait_alu 0xfffe
	s_or_b32 s5, vcc_lo, s5
	s_wait_alu 0xfffe
	s_and_not1_b32 exec_lo, exec_lo, s5
	s_cbranch_execnz .LBB1074_63
; %bb.64:                               ;   in Loop: Header=BB1074_60 Depth=1
	s_or_b32 exec_lo, exec_lo, s5
.LBB1074_65:                            ;   in Loop: Header=BB1074_60 Depth=1
	s_wait_alu 0xfffe
	s_or_b32 exec_lo, exec_lo, s4
	v_dual_mov_b32 v25, v13 :: v_dual_and_b32 v16, 0xff, v15
	ds_bpermute_b32 v47, v37, v13
	ds_bpermute_b32 v26, v37, v14
	s_mov_b32 s4, exec_lo
	v_cmp_eq_u16_e32 vcc_lo, 2, v16
	s_wait_alu 0xfffd
	v_and_or_b32 v16, vcc_lo, v38, 0x80000000
	s_delay_alu instid0(VALU_DEP_1) | instskip(NEXT) | instid1(VALU_DEP_1)
	v_ctz_i32_b32_e32 v16, v16
	v_cmpx_lt_u32_e64 v33, v16
	s_cbranch_execz .LBB1074_67
; %bb.66:                               ;   in Loop: Header=BB1074_60 Depth=1
	s_wait_dscnt 0x1
	v_add_co_u32 v25, vcc_lo, v13, v47
	s_wait_alu 0xfffd
	v_add_co_ci_u32_e64 v14, null, 0, v14, vcc_lo
	s_delay_alu instid0(VALU_DEP_2) | instskip(SKIP_2) | instid1(VALU_DEP_2)
	v_add_co_u32 v13, vcc_lo, 0, v25
	s_wait_dscnt 0x0
	s_wait_alu 0xfffd
	v_add_co_ci_u32_e64 v14, null, v26, v14, vcc_lo
.LBB1074_67:                            ;   in Loop: Header=BB1074_60 Depth=1
	s_wait_alu 0xfffe
	s_or_b32 exec_lo, exec_lo, s4
	s_wait_dscnt 0x1
	ds_bpermute_b32 v47, v39, v25
	s_wait_dscnt 0x1
	ds_bpermute_b32 v26, v39, v14
	s_mov_b32 s4, exec_lo
	v_cmpx_le_u32_e64 v40, v16
	s_cbranch_execz .LBB1074_69
; %bb.68:                               ;   in Loop: Header=BB1074_60 Depth=1
	s_wait_dscnt 0x1
	v_add_co_u32 v25, vcc_lo, v13, v47
	s_wait_alu 0xfffd
	v_add_co_ci_u32_e64 v14, null, 0, v14, vcc_lo
	s_delay_alu instid0(VALU_DEP_2) | instskip(SKIP_2) | instid1(VALU_DEP_2)
	v_add_co_u32 v13, vcc_lo, 0, v25
	s_wait_dscnt 0x0
	s_wait_alu 0xfffd
	v_add_co_ci_u32_e64 v14, null, v26, v14, vcc_lo
.LBB1074_69:                            ;   in Loop: Header=BB1074_60 Depth=1
	s_wait_alu 0xfffe
	s_or_b32 exec_lo, exec_lo, s4
	s_wait_dscnt 0x1
	ds_bpermute_b32 v47, v41, v25
	s_wait_dscnt 0x1
	ds_bpermute_b32 v26, v41, v14
	s_mov_b32 s4, exec_lo
	v_cmpx_le_u32_e64 v42, v16
	;; [unrolled: 20-line block ×3, first 2 shown]
	s_cbranch_execz .LBB1074_73
; %bb.72:                               ;   in Loop: Header=BB1074_60 Depth=1
	s_wait_dscnt 0x1
	v_add_co_u32 v25, vcc_lo, v13, v47
	s_wait_alu 0xfffd
	v_add_co_ci_u32_e64 v14, null, 0, v14, vcc_lo
	s_delay_alu instid0(VALU_DEP_2) | instskip(SKIP_2) | instid1(VALU_DEP_2)
	v_add_co_u32 v13, vcc_lo, 0, v25
	s_wait_dscnt 0x0
	s_wait_alu 0xfffd
	v_add_co_ci_u32_e64 v14, null, v26, v14, vcc_lo
.LBB1074_73:                            ;   in Loop: Header=BB1074_60 Depth=1
	s_wait_alu 0xfffe
	s_or_b32 exec_lo, exec_lo, s4
	s_wait_dscnt 0x0
	ds_bpermute_b32 v26, v45, v25
	ds_bpermute_b32 v25, v45, v14
	s_mov_b32 s4, exec_lo
	v_cmpx_le_u32_e64 v46, v16
	s_cbranch_execz .LBB1074_58
; %bb.74:                               ;   in Loop: Header=BB1074_60 Depth=1
	s_wait_dscnt 0x1
	v_add_co_u32 v13, vcc_lo, v13, v26
	s_wait_alu 0xfffd
	v_add_co_ci_u32_e64 v14, null, 0, v14, vcc_lo
	s_delay_alu instid0(VALU_DEP_2) | instskip(SKIP_2) | instid1(VALU_DEP_2)
	v_add_co_u32 v13, vcc_lo, v13, 0
	s_wait_dscnt 0x0
	s_wait_alu 0xfffd
	v_add_co_ci_u32_e64 v14, null, v14, v25, vcc_lo
	s_branch .LBB1074_58
.LBB1074_75:
                                        ; implicit-def: $vgpr15_vgpr16
                                        ; implicit-def: $vgpr13_vgpr14
                                        ; implicit-def: $vgpr21_vgpr22
                                        ; implicit-def: $vgpr23_vgpr24
                                        ; implicit-def: $vgpr11_vgpr12
	s_wait_alu 0xfffe
	s_and_b32 vcc_lo, exec_lo, s1
	s_wait_alu 0xfffe
	s_cbranch_vccnz .LBB1074_81
	s_branch .LBB1074_106
.LBB1074_76:
	s_and_saveexec_b32 s4, s1
	s_cbranch_execz .LBB1074_78
; %bb.77:
	s_add_co_i32 s16, s11, 32
	s_mov_b32 s17, 0
	v_add_co_u32 v13, vcc_lo, v11, v9
	s_wait_alu 0xfffe
	s_lshl_b64 s[16:17], s[16:17], 4
	v_dual_mov_b32 v15, 2 :: v_dual_mov_b32 v16, 0
	s_wait_alu 0xfffe
	s_add_nc_u64 s[16:17], s[14:15], s[16:17]
	s_wait_alu 0xfffd
	v_add_co_ci_u32_e64 v14, null, v12, v10, vcc_lo
	s_wait_alu 0xfffe
	v_dual_mov_b32 v24, s17 :: v_dual_mov_b32 v23, s16
	;;#ASMSTART
	global_store_b128 v[23:24], v[13:16] off scope:SCOPE_DEV	
s_wait_storecnt 0x0
	;;#ASMEND
	ds_store_b128 v16, v[9:12] offset:8448
.LBB1074_78:
	s_wait_alu 0xfffe
	s_or_b32 exec_lo, exec_lo, s4
	s_delay_alu instid0(SALU_CYCLE_1)
	s_and_b32 exec_lo, exec_lo, s2
; %bb.79:
	v_mov_b32_e32 v9, 0
	ds_store_b64 v9, v[11:12] offset:56
.LBB1074_80:
	s_wait_alu 0xfffe
	s_or_b32 exec_lo, exec_lo, s3
	v_mov_b32_e32 v9, 0
	s_wait_loadcnt_dscnt 0x0
	s_barrier_signal -1
	s_barrier_wait -1
	global_inv scope:SCOPE_SE
	ds_load_b64 v[13:14], v9 offset:56
	v_cndmask_b32_e64 v11, v35, v21, s1
	v_cndmask_b32_e64 v10, v36, v22, s1
	s_wait_loadcnt_dscnt 0x0
	s_barrier_signal -1
	s_barrier_wait -1
	v_cndmask_b32_e64 v16, v11, 0, s2
	v_cndmask_b32_e64 v15, v10, 0, s2
	global_inv scope:SCOPE_SE
	ds_load_b128 v[9:12], v9 offset:8448
	v_add_co_u32 v23, vcc_lo, v13, v16
	s_wait_alu 0xfffd
	v_add_co_ci_u32_e64 v24, null, v14, v15, vcc_lo
	s_delay_alu instid0(VALU_DEP_2) | instskip(SKIP_1) | instid1(VALU_DEP_2)
	v_add_co_u32 v21, vcc_lo, v23, v32
	s_wait_alu 0xfffd
	v_add_co_ci_u32_e64 v22, null, 0, v24, vcc_lo
	s_delay_alu instid0(VALU_DEP_2) | instskip(SKIP_1) | instid1(VALU_DEP_2)
	;; [unrolled: 4-line block ×3, first 2 shown]
	v_add_co_u32 v15, vcc_lo, v13, v30
	s_wait_alu 0xfffd
	v_add_co_ci_u32_e64 v16, null, 0, v14, vcc_lo
	s_branch .LBB1074_106
.LBB1074_81:
	s_wait_dscnt 0x0
	v_dual_mov_b32 v10, 0 :: v_dual_mov_b32 v11, v19
	v_mov_b32_dpp v12, v19 row_shr:1 row_mask:0xf bank_mask:0xf
	s_delay_alu instid0(VALU_DEP_2)
	v_mov_b32_dpp v9, v10 row_shr:1 row_mask:0xf bank_mask:0xf
	s_and_saveexec_b32 s1, s0
; %bb.82:
	s_delay_alu instid0(VALU_DEP_2) | instskip(SKIP_2) | instid1(VALU_DEP_2)
	v_add_co_u32 v11, vcc_lo, v19, v12
	s_wait_alu 0xfffd
	v_add_co_ci_u32_e64 v10, null, 0, v20, vcc_lo
	v_add_co_u32 v19, vcc_lo, 0, v11
	s_wait_alu 0xfffd
	s_delay_alu instid0(VALU_DEP_2) | instskip(NEXT) | instid1(VALU_DEP_1)
	v_add_co_ci_u32_e64 v20, null, v9, v10, vcc_lo
	v_mov_b32_e32 v10, v20
; %bb.83:
	s_wait_alu 0xfffe
	s_or_b32 exec_lo, exec_lo, s1
	v_mov_b32_dpp v9, v11 row_shr:2 row_mask:0xf bank_mask:0xf
	s_delay_alu instid0(VALU_DEP_2)
	v_mov_b32_dpp v12, v10 row_shr:2 row_mask:0xf bank_mask:0xf
	s_mov_b32 s0, exec_lo
	v_cmpx_lt_u32_e32 1, v34
; %bb.84:
	s_delay_alu instid0(VALU_DEP_3) | instskip(SKIP_2) | instid1(VALU_DEP_2)
	v_add_co_u32 v11, vcc_lo, v19, v9
	s_wait_alu 0xfffd
	v_add_co_ci_u32_e64 v10, null, 0, v20, vcc_lo
	v_add_co_u32 v9, vcc_lo, 0, v11
	s_wait_alu 0xfffd
	s_delay_alu instid0(VALU_DEP_2) | instskip(NEXT) | instid1(VALU_DEP_1)
	v_add_co_ci_u32_e64 v10, null, v12, v10, vcc_lo
	v_dual_mov_b32 v20, v10 :: v_dual_mov_b32 v19, v9
; %bb.85:
	s_wait_alu 0xfffe
	s_or_b32 exec_lo, exec_lo, s0
	v_mov_b32_dpp v9, v11 row_shr:4 row_mask:0xf bank_mask:0xf
	v_mov_b32_dpp v12, v10 row_shr:4 row_mask:0xf bank_mask:0xf
	s_mov_b32 s0, exec_lo
	v_cmpx_lt_u32_e32 3, v34
; %bb.86:
	s_delay_alu instid0(VALU_DEP_3) | instskip(SKIP_2) | instid1(VALU_DEP_2)
	v_add_co_u32 v11, vcc_lo, v19, v9
	s_wait_alu 0xfffd
	v_add_co_ci_u32_e64 v10, null, 0, v20, vcc_lo
	v_add_co_u32 v9, vcc_lo, 0, v11
	s_wait_alu 0xfffd
	s_delay_alu instid0(VALU_DEP_2) | instskip(NEXT) | instid1(VALU_DEP_1)
	v_add_co_ci_u32_e64 v10, null, v12, v10, vcc_lo
	v_dual_mov_b32 v20, v10 :: v_dual_mov_b32 v19, v9
; %bb.87:
	s_wait_alu 0xfffe
	s_or_b32 exec_lo, exec_lo, s0
	v_mov_b32_dpp v12, v11 row_shr:8 row_mask:0xf bank_mask:0xf
	v_mov_b32_dpp v9, v10 row_shr:8 row_mask:0xf bank_mask:0xf
	s_mov_b32 s0, exec_lo
	v_cmpx_lt_u32_e32 7, v34
; %bb.88:
	s_delay_alu instid0(VALU_DEP_3) | instskip(SKIP_2) | instid1(VALU_DEP_2)
	v_add_co_u32 v11, vcc_lo, v19, v12
	s_wait_alu 0xfffd
	v_add_co_ci_u32_e64 v10, null, 0, v20, vcc_lo
	v_add_co_u32 v19, vcc_lo, 0, v11
	s_wait_alu 0xfffd
	s_delay_alu instid0(VALU_DEP_2) | instskip(NEXT) | instid1(VALU_DEP_1)
	v_add_co_ci_u32_e64 v20, null, v9, v10, vcc_lo
	v_mov_b32_e32 v10, v20
; %bb.89:
	s_wait_alu 0xfffe
	s_or_b32 exec_lo, exec_lo, s0
	ds_swizzle_b32 v11, v11 offset:swizzle(BROADCAST,32,15)
	ds_swizzle_b32 v9, v10 offset:swizzle(BROADCAST,32,15)
	v_and_b32_e32 v10, 16, v33
	s_mov_b32 s0, exec_lo
	s_delay_alu instid0(VALU_DEP_1)
	v_cmpx_ne_u32_e32 0, v10
	s_cbranch_execz .LBB1074_91
; %bb.90:
	s_wait_dscnt 0x1
	v_add_co_u32 v10, vcc_lo, v19, v11
	s_wait_alu 0xfffd
	v_add_co_ci_u32_e64 v11, null, 0, v20, vcc_lo
	s_delay_alu instid0(VALU_DEP_2) | instskip(SKIP_2) | instid1(VALU_DEP_2)
	v_add_co_u32 v19, vcc_lo, v10, 0
	s_wait_dscnt 0x0
	s_wait_alu 0xfffd
	v_add_co_ci_u32_e64 v20, null, v11, v9, vcc_lo
.LBB1074_91:
	s_wait_alu 0xfffe
	s_or_b32 exec_lo, exec_lo, s0
	s_wait_dscnt 0x0
	v_or_b32_e32 v9, 31, v0
	v_lshrrev_b32_e32 v11, 5, v0
	s_mov_b32 s0, exec_lo
	s_delay_alu instid0(VALU_DEP_2)
	v_cmpx_eq_u32_e64 v0, v9
; %bb.92:
	s_delay_alu instid0(VALU_DEP_2)
	v_lshlrev_b32_e32 v9, 3, v11
	ds_store_b64 v9, v[19:20]
; %bb.93:
	s_wait_alu 0xfffe
	s_or_b32 exec_lo, exec_lo, s0
	s_delay_alu instid0(SALU_CYCLE_1)
	s_mov_b32 s0, exec_lo
	s_wait_loadcnt_dscnt 0x0
	s_barrier_signal -1
	s_barrier_wait -1
	global_inv scope:SCOPE_SE
	v_cmpx_gt_u32_e32 8, v0
	s_cbranch_execz .LBB1074_101
; %bb.94:
	v_lshlrev_b32_e32 v12, 3, v0
	s_mov_b32 s1, exec_lo
	ds_load_b64 v[9:10], v12
	s_wait_dscnt 0x0
	v_dual_mov_b32 v14, v9 :: v_dual_and_b32 v13, 7, v33
	v_mov_b32_dpp v16, v9 row_shr:1 row_mask:0xf bank_mask:0xf
	v_mov_b32_dpp v15, v10 row_shr:1 row_mask:0xf bank_mask:0xf
	s_delay_alu instid0(VALU_DEP_3)
	v_cmpx_ne_u32_e32 0, v13
; %bb.95:
	s_delay_alu instid0(VALU_DEP_3) | instskip(SKIP_2) | instid1(VALU_DEP_2)
	v_add_co_u32 v14, vcc_lo, v9, v16
	s_wait_alu 0xfffd
	v_add_co_ci_u32_e64 v10, null, 0, v10, vcc_lo
	v_add_co_u32 v9, vcc_lo, 0, v14
	s_wait_alu 0xfffd
	s_delay_alu instid0(VALU_DEP_2)
	v_add_co_ci_u32_e64 v10, null, v15, v10, vcc_lo
; %bb.96:
	s_wait_alu 0xfffe
	s_or_b32 exec_lo, exec_lo, s1
	v_mov_b32_dpp v16, v14 row_shr:2 row_mask:0xf bank_mask:0xf
	s_delay_alu instid0(VALU_DEP_2)
	v_mov_b32_dpp v15, v10 row_shr:2 row_mask:0xf bank_mask:0xf
	s_mov_b32 s1, exec_lo
	v_cmpx_lt_u32_e32 1, v13
; %bb.97:
	s_delay_alu instid0(VALU_DEP_3) | instskip(SKIP_2) | instid1(VALU_DEP_2)
	v_add_co_u32 v14, vcc_lo, v9, v16
	s_wait_alu 0xfffd
	v_add_co_ci_u32_e64 v10, null, 0, v10, vcc_lo
	v_add_co_u32 v9, vcc_lo, 0, v14
	s_wait_alu 0xfffd
	s_delay_alu instid0(VALU_DEP_2)
	v_add_co_ci_u32_e64 v10, null, v15, v10, vcc_lo
; %bb.98:
	s_wait_alu 0xfffe
	s_or_b32 exec_lo, exec_lo, s1
	v_mov_b32_dpp v15, v14 row_shr:4 row_mask:0xf bank_mask:0xf
	s_delay_alu instid0(VALU_DEP_2)
	v_mov_b32_dpp v14, v10 row_shr:4 row_mask:0xf bank_mask:0xf
	s_mov_b32 s1, exec_lo
	v_cmpx_lt_u32_e32 3, v13
; %bb.99:
	s_delay_alu instid0(VALU_DEP_3) | instskip(SKIP_2) | instid1(VALU_DEP_2)
	v_add_co_u32 v9, vcc_lo, v9, v15
	s_wait_alu 0xfffd
	v_add_co_ci_u32_e64 v10, null, 0, v10, vcc_lo
	v_add_co_u32 v9, vcc_lo, v9, 0
	s_wait_alu 0xfffd
	s_delay_alu instid0(VALU_DEP_2)
	v_add_co_ci_u32_e64 v10, null, v10, v14, vcc_lo
; %bb.100:
	s_wait_alu 0xfffe
	s_or_b32 exec_lo, exec_lo, s1
	ds_store_b64 v12, v[9:10]
.LBB1074_101:
	s_wait_alu 0xfffe
	s_or_b32 exec_lo, exec_lo, s0
	v_mov_b32_e32 v13, 0
	v_mov_b32_e32 v14, 0
	s_mov_b32 s0, exec_lo
	s_wait_loadcnt_dscnt 0x0
	s_barrier_signal -1
	s_barrier_wait -1
	global_inv scope:SCOPE_SE
	v_cmpx_lt_u32_e32 31, v0
; %bb.102:
	v_lshl_add_u32 v9, v11, 3, -8
	ds_load_b64 v[13:14], v9
; %bb.103:
	s_wait_alu 0xfffe
	s_or_b32 exec_lo, exec_lo, s0
	v_sub_co_u32 v9, vcc_lo, v33, 1
	v_mov_b32_e32 v12, 0
	s_delay_alu instid0(VALU_DEP_2) | instskip(SKIP_1) | instid1(VALU_DEP_1)
	v_cmp_gt_i32_e64 s0, 0, v9
	s_wait_alu 0xf1ff
	v_cndmask_b32_e64 v9, v9, v33, s0
	s_wait_dscnt 0x0
	v_add_co_u32 v10, s0, v13, v19
	s_wait_alu 0xf1ff
	v_add_co_ci_u32_e64 v11, null, v14, v20, s0
	v_lshlrev_b32_e32 v9, 2, v9
	ds_bpermute_b32 v15, v9, v10
	ds_bpermute_b32 v16, v9, v11
	ds_load_b64 v[9:10], v12 offset:56
	s_and_saveexec_b32 s0, s2
	s_cbranch_execz .LBB1074_105
; %bb.104:
	s_add_nc_u64 s[4:5], s[14:15], 0x200
	s_wait_alu 0xfffe
	v_dual_mov_b32 v11, 2 :: v_dual_mov_b32 v20, s5
	v_mov_b32_e32 v19, s4
	s_wait_dscnt 0x0
	;;#ASMSTART
	global_store_b128 v[19:20], v[9:12] off scope:SCOPE_DEV	
s_wait_storecnt 0x0
	;;#ASMEND
.LBB1074_105:
	s_wait_alu 0xfffe
	s_or_b32 exec_lo, exec_lo, s0
	s_wait_dscnt 0x1
	s_wait_alu 0xfffd
	v_dual_cndmask_b32 v11, v15, v13 :: v_dual_cndmask_b32 v12, v16, v14
	s_wait_loadcnt_dscnt 0x0
	s_barrier_signal -1
	s_barrier_wait -1
	s_delay_alu instid0(VALU_DEP_1)
	v_cndmask_b32_e64 v23, v11, 0, s2
	v_cndmask_b32_e64 v24, v12, 0, s2
	v_mov_b32_e32 v11, 0
	v_mov_b32_e32 v12, 0
	global_inv scope:SCOPE_SE
	v_add_co_u32 v21, vcc_lo, v23, v32
	s_wait_alu 0xfffd
	v_add_co_ci_u32_e64 v22, null, 0, v24, vcc_lo
	s_delay_alu instid0(VALU_DEP_2) | instskip(SKIP_1) | instid1(VALU_DEP_2)
	v_add_co_u32 v13, vcc_lo, v21, v31
	s_wait_alu 0xfffd
	v_add_co_ci_u32_e64 v14, null, 0, v22, vcc_lo
	s_delay_alu instid0(VALU_DEP_2) | instskip(SKIP_1) | instid1(VALU_DEP_2)
	v_add_co_u32 v15, vcc_lo, v13, v30
	s_wait_alu 0xfffd
	v_add_co_ci_u32_e64 v16, null, 0, v14, vcc_lo
.LBB1074_106:
	v_and_b32_e32 v25, 1, v29
	s_wait_dscnt 0x0
	v_cmp_gt_u64_e32 vcc_lo, 0x101, v[9:10]
	s_mov_b32 s1, -1
	s_delay_alu instid0(VALU_DEP_2)
	v_cmp_eq_u32_e64 s0, 1, v25
	s_cbranch_vccnz .LBB1074_110
; %bb.107:
	s_wait_alu 0xfffe
	s_and_b32 vcc_lo, exec_lo, s1
	s_wait_alu 0xfffe
	s_cbranch_vccnz .LBB1074_119
.LBB1074_108:
	s_and_b32 s0, s2, s6
	s_wait_alu 0xfffe
	s_and_saveexec_b32 s1, s0
	s_cbranch_execnz .LBB1074_131
.LBB1074_109:
	s_endpgm
.LBB1074_110:
	v_add_co_u32 v19, vcc_lo, v11, v9
	s_wait_alu 0xfffd
	v_add_co_ci_u32_e64 v20, null, v12, v10, vcc_lo
	v_lshlrev_b64_e32 v[29:30], 3, v[17:18]
	s_delay_alu instid0(VALU_DEP_2) | instskip(NEXT) | instid1(VALU_DEP_2)
	v_cmp_lt_u64_e32 vcc_lo, v[23:24], v[19:20]
	v_add_co_u32 v26, s1, s12, v29
	s_wait_alu 0xf1fe
	s_delay_alu instid0(VALU_DEP_3)
	v_add_co_ci_u32_e64 v29, null, s13, v30, s1
	s_or_b32 s1, s7, vcc_lo
	s_wait_alu 0xfffe
	s_and_b32 s1, s1, s0
	s_wait_alu 0xfffe
	s_and_saveexec_b32 s0, s1
	s_cbranch_execz .LBB1074_112
; %bb.111:
	v_lshlrev_b64_e32 v[30:31], 3, v[23:24]
	s_delay_alu instid0(VALU_DEP_1) | instskip(SKIP_1) | instid1(VALU_DEP_2)
	v_add_co_u32 v30, vcc_lo, v26, v30
	s_wait_alu 0xfffd
	v_add_co_ci_u32_e64 v31, null, v29, v31, vcc_lo
	global_store_b64 v[30:31], v[1:2], off
.LBB1074_112:
	s_wait_alu 0xfffe
	s_or_b32 exec_lo, exec_lo, s0
	v_and_b32_e32 v24, 1, v28
	v_cmp_lt_u64_e32 vcc_lo, v[21:22], v[19:20]
	s_delay_alu instid0(VALU_DEP_2)
	v_cmp_eq_u32_e64 s0, 1, v24
	s_or_b32 s1, s7, vcc_lo
	s_wait_alu 0xfffe
	s_and_b32 s1, s1, s0
	s_wait_alu 0xfffe
	s_and_saveexec_b32 s0, s1
	s_cbranch_execz .LBB1074_114
; %bb.113:
	v_lshlrev_b64_e32 v[30:31], 3, v[21:22]
	s_delay_alu instid0(VALU_DEP_1) | instskip(SKIP_1) | instid1(VALU_DEP_2)
	v_add_co_u32 v30, vcc_lo, v26, v30
	s_wait_alu 0xfffd
	v_add_co_ci_u32_e64 v31, null, v29, v31, vcc_lo
	global_store_b64 v[30:31], v[5:6], off
.LBB1074_114:
	s_wait_alu 0xfffe
	s_or_b32 exec_lo, exec_lo, s0
	v_and_b32_e32 v22, 1, v27
	v_cmp_lt_u64_e32 vcc_lo, v[13:14], v[19:20]
	s_delay_alu instid0(VALU_DEP_2)
	v_cmp_eq_u32_e64 s0, 1, v22
	s_or_b32 s1, s7, vcc_lo
	s_wait_alu 0xfffe
	s_and_b32 s1, s1, s0
	s_wait_alu 0xfffe
	s_and_saveexec_b32 s0, s1
	s_cbranch_execz .LBB1074_116
; %bb.115:
	v_lshlrev_b64_e32 v[30:31], 3, v[13:14]
	s_delay_alu instid0(VALU_DEP_1) | instskip(SKIP_1) | instid1(VALU_DEP_2)
	v_add_co_u32 v30, vcc_lo, v26, v30
	s_wait_alu 0xfffd
	v_add_co_ci_u32_e64 v31, null, v29, v31, vcc_lo
	global_store_b64 v[30:31], v[7:8], off
.LBB1074_116:
	s_wait_alu 0xfffe
	s_or_b32 exec_lo, exec_lo, s0
	v_cmp_lt_u64_e32 vcc_lo, v[15:16], v[19:20]
	s_or_b32 s0, s7, vcc_lo
	s_wait_alu 0xfffe
	s_and_b32 s1, s0, s10
	s_wait_alu 0xfffe
	s_and_saveexec_b32 s0, s1
	s_cbranch_execz .LBB1074_118
; %bb.117:
	v_lshlrev_b64_e32 v[19:20], 3, v[15:16]
	s_delay_alu instid0(VALU_DEP_1) | instskip(SKIP_1) | instid1(VALU_DEP_2)
	v_add_co_u32 v19, vcc_lo, v26, v19
	s_wait_alu 0xfffd
	v_add_co_ci_u32_e64 v20, null, v29, v20, vcc_lo
	global_store_b64 v[19:20], v[3:4], off
.LBB1074_118:
	s_wait_alu 0xfffe
	s_or_b32 exec_lo, exec_lo, s0
	s_branch .LBB1074_108
.LBB1074_119:
	s_mov_b32 s0, exec_lo
	v_cmpx_eq_u32_e32 1, v25
; %bb.120:
	v_sub_nc_u32_e32 v14, v23, v11
	s_delay_alu instid0(VALU_DEP_1)
	v_lshlrev_b32_e32 v14, 3, v14
	ds_store_b64 v14, v[1:2]
; %bb.121:
	s_wait_alu 0xfffe
	s_or_b32 exec_lo, exec_lo, s0
	v_and_b32_e32 v1, 1, v28
	s_mov_b32 s0, exec_lo
	s_delay_alu instid0(VALU_DEP_1)
	v_cmpx_eq_u32_e32 1, v1
; %bb.122:
	v_sub_nc_u32_e32 v1, v21, v11
	s_delay_alu instid0(VALU_DEP_1)
	v_lshlrev_b32_e32 v1, 3, v1
	ds_store_b64 v1, v[5:6]
; %bb.123:
	s_wait_alu 0xfffe
	s_or_b32 exec_lo, exec_lo, s0
	v_and_b32_e32 v1, 1, v27
	s_mov_b32 s0, exec_lo
	s_delay_alu instid0(VALU_DEP_1)
	v_cmpx_eq_u32_e32 1, v1
; %bb.124:
	v_sub_nc_u32_e32 v1, v13, v11
	s_delay_alu instid0(VALU_DEP_1)
	v_lshlrev_b32_e32 v1, 3, v1
	ds_store_b64 v1, v[7:8]
; %bb.125:
	s_wait_alu 0xfffe
	s_or_b32 exec_lo, exec_lo, s0
	s_and_saveexec_b32 s0, s10
; %bb.126:
	v_sub_nc_u32_e32 v1, v15, v11
	s_delay_alu instid0(VALU_DEP_1)
	v_lshlrev_b32_e32 v1, 3, v1
	ds_store_b64 v1, v[3:4]
; %bb.127:
	s_wait_alu 0xfffe
	s_or_b32 exec_lo, exec_lo, s0
	v_mov_b32_e32 v1, 0
	s_mov_b32 s1, exec_lo
	s_wait_storecnt 0x0
	s_wait_loadcnt_dscnt 0x0
	s_barrier_signal -1
	s_barrier_wait -1
	global_inv scope:SCOPE_SE
	v_cmpx_gt_u64_e64 v[9:10], v[0:1]
	s_cbranch_execz .LBB1074_130
; %bb.128:
	v_lshlrev_b64_e32 v[2:3], 3, v[11:12]
	v_lshlrev_b64_e32 v[4:5], 3, v[17:18]
	s_mov_b32 s3, 0
	s_delay_alu instid0(VALU_DEP_2) | instskip(SKIP_1) | instid1(VALU_DEP_3)
	v_add_co_u32 v6, vcc_lo, s12, v2
	s_wait_alu 0xfffd
	v_add_co_ci_u32_e64 v7, null, s13, v3, vcc_lo
	v_dual_mov_b32 v3, v1 :: v_dual_mov_b32 v2, v0
	s_delay_alu instid0(VALU_DEP_3) | instskip(SKIP_1) | instid1(VALU_DEP_3)
	v_add_co_u32 v4, vcc_lo, v6, v4
	s_wait_alu 0xfffd
	v_add_co_ci_u32_e64 v5, null, v7, v5, vcc_lo
	v_or_b32_e32 v0, 0x100, v0
.LBB1074_129:                           ; =>This Inner Loop Header: Depth=1
	v_lshlrev_b32_e32 v6, 3, v2
	v_lshlrev_b64_e32 v[13:14], 3, v[2:3]
	v_mov_b32_e32 v3, v1
	s_delay_alu instid0(VALU_DEP_4)
	v_cmp_le_u64_e32 vcc_lo, v[9:10], v[0:1]
	v_mov_b32_e32 v2, v0
	ds_load_b64 v[6:7], v6
	v_add_nc_u32_e32 v0, 0x100, v0
	v_add_co_u32 v13, s0, v4, v13
	s_wait_alu 0xf1ff
	v_add_co_ci_u32_e64 v14, null, v5, v14, s0
	s_wait_alu 0xfffe
	s_or_b32 s3, vcc_lo, s3
	s_wait_dscnt 0x0
	global_store_b64 v[13:14], v[6:7], off
	s_wait_alu 0xfffe
	s_and_not1_b32 exec_lo, exec_lo, s3
	s_cbranch_execnz .LBB1074_129
.LBB1074_130:
	s_wait_alu 0xfffe
	s_or_b32 exec_lo, exec_lo, s1
	s_and_b32 s0, s2, s6
	s_wait_alu 0xfffe
	s_and_saveexec_b32 s1, s0
	s_cbranch_execz .LBB1074_109
.LBB1074_131:
	v_add_co_u32 v0, vcc_lo, v11, v9
	s_wait_alu 0xfffd
	v_add_co_ci_u32_e64 v1, null, v12, v10, vcc_lo
	v_mov_b32_e32 v2, 0
	s_delay_alu instid0(VALU_DEP_3) | instskip(SKIP_1) | instid1(VALU_DEP_3)
	v_add_co_u32 v0, vcc_lo, v0, v17
	s_wait_alu 0xfffd
	v_add_co_ci_u32_e64 v1, null, v1, v18, vcc_lo
	global_store_b64 v2, v[0:1], s[8:9]
	s_endpgm
.LBB1074_132:
	v_lshlrev_b32_e32 v3, 3, v0
	s_delay_alu instid0(VALU_DEP_1) | instskip(SKIP_4) | instid1(SALU_CYCLE_1)
	v_add_co_u32 v3, vcc_lo, v12, v3
	s_wait_alu 0xfffd
	v_add_co_ci_u32_e64 v4, null, 0, v13, vcc_lo
	flat_load_b64 v[3:4], v[3:4] offset:2048
	s_or_b32 exec_lo, exec_lo, s0
	s_mov_b32 s0, exec_lo
	v_cmpx_gt_u32_e64 s16, v11
	s_cbranch_execz .LBB1074_11
.LBB1074_133:
	v_lshlrev_b32_e32 v5, 3, v0
	s_delay_alu instid0(VALU_DEP_1) | instskip(SKIP_4) | instid1(SALU_CYCLE_1)
	v_add_co_u32 v5, vcc_lo, v12, v5
	s_wait_alu 0xfffd
	v_add_co_ci_u32_e64 v6, null, 0, v13, vcc_lo
	flat_load_b64 v[5:6], v[5:6] offset:4096
	s_or_b32 exec_lo, exec_lo, s0
	s_mov_b32 s0, exec_lo
	v_cmpx_gt_u32_e64 s16, v10
	s_cbranch_execnz .LBB1074_12
	s_branch .LBB1074_13
	.section	.rodata,"a",@progbits
	.p2align	6, 0x0
	.amdhsa_kernel _ZN7rocprim17ROCPRIM_400000_NS6detail17trampoline_kernelINS0_14default_configENS1_25partition_config_selectorILNS1_17partition_subalgoE6EdNS0_10empty_typeEbEEZZNS1_14partition_implILS5_6ELb0ES3_mN6thrust23THRUST_200600_302600_NS6detail15normal_iteratorINSA_10device_ptrIdEEEEPS6_SG_NS0_5tupleIJSF_S6_EEENSH_IJSG_SG_EEES6_PlJNSB_9not_fun_tI7is_trueIdEEEEEE10hipError_tPvRmT3_T4_T5_T6_T7_T9_mT8_P12ihipStream_tbDpT10_ENKUlT_T0_E_clISt17integral_constantIbLb0EES17_IbLb1EEEEDaS13_S14_EUlS13_E_NS1_11comp_targetILNS1_3genE10ELNS1_11target_archE1200ELNS1_3gpuE4ELNS1_3repE0EEENS1_30default_config_static_selectorELNS0_4arch9wavefront6targetE0EEEvT1_
		.amdhsa_group_segment_fixed_size 8464
		.amdhsa_private_segment_fixed_size 0
		.amdhsa_kernarg_size 128
		.amdhsa_user_sgpr_count 2
		.amdhsa_user_sgpr_dispatch_ptr 0
		.amdhsa_user_sgpr_queue_ptr 0
		.amdhsa_user_sgpr_kernarg_segment_ptr 1
		.amdhsa_user_sgpr_dispatch_id 0
		.amdhsa_user_sgpr_private_segment_size 0
		.amdhsa_wavefront_size32 1
		.amdhsa_uses_dynamic_stack 0
		.amdhsa_enable_private_segment 0
		.amdhsa_system_sgpr_workgroup_id_x 1
		.amdhsa_system_sgpr_workgroup_id_y 0
		.amdhsa_system_sgpr_workgroup_id_z 0
		.amdhsa_system_sgpr_workgroup_info 0
		.amdhsa_system_vgpr_workitem_id 0
		.amdhsa_next_free_vgpr 48
		.amdhsa_next_free_sgpr 22
		.amdhsa_reserve_vcc 1
		.amdhsa_float_round_mode_32 0
		.amdhsa_float_round_mode_16_64 0
		.amdhsa_float_denorm_mode_32 3
		.amdhsa_float_denorm_mode_16_64 3
		.amdhsa_fp16_overflow 0
		.amdhsa_workgroup_processor_mode 1
		.amdhsa_memory_ordered 1
		.amdhsa_forward_progress 1
		.amdhsa_inst_pref_size 52
		.amdhsa_round_robin_scheduling 0
		.amdhsa_exception_fp_ieee_invalid_op 0
		.amdhsa_exception_fp_denorm_src 0
		.amdhsa_exception_fp_ieee_div_zero 0
		.amdhsa_exception_fp_ieee_overflow 0
		.amdhsa_exception_fp_ieee_underflow 0
		.amdhsa_exception_fp_ieee_inexact 0
		.amdhsa_exception_int_div_zero 0
	.end_amdhsa_kernel
	.section	.text._ZN7rocprim17ROCPRIM_400000_NS6detail17trampoline_kernelINS0_14default_configENS1_25partition_config_selectorILNS1_17partition_subalgoE6EdNS0_10empty_typeEbEEZZNS1_14partition_implILS5_6ELb0ES3_mN6thrust23THRUST_200600_302600_NS6detail15normal_iteratorINSA_10device_ptrIdEEEEPS6_SG_NS0_5tupleIJSF_S6_EEENSH_IJSG_SG_EEES6_PlJNSB_9not_fun_tI7is_trueIdEEEEEE10hipError_tPvRmT3_T4_T5_T6_T7_T9_mT8_P12ihipStream_tbDpT10_ENKUlT_T0_E_clISt17integral_constantIbLb0EES17_IbLb1EEEEDaS13_S14_EUlS13_E_NS1_11comp_targetILNS1_3genE10ELNS1_11target_archE1200ELNS1_3gpuE4ELNS1_3repE0EEENS1_30default_config_static_selectorELNS0_4arch9wavefront6targetE0EEEvT1_,"axG",@progbits,_ZN7rocprim17ROCPRIM_400000_NS6detail17trampoline_kernelINS0_14default_configENS1_25partition_config_selectorILNS1_17partition_subalgoE6EdNS0_10empty_typeEbEEZZNS1_14partition_implILS5_6ELb0ES3_mN6thrust23THRUST_200600_302600_NS6detail15normal_iteratorINSA_10device_ptrIdEEEEPS6_SG_NS0_5tupleIJSF_S6_EEENSH_IJSG_SG_EEES6_PlJNSB_9not_fun_tI7is_trueIdEEEEEE10hipError_tPvRmT3_T4_T5_T6_T7_T9_mT8_P12ihipStream_tbDpT10_ENKUlT_T0_E_clISt17integral_constantIbLb0EES17_IbLb1EEEEDaS13_S14_EUlS13_E_NS1_11comp_targetILNS1_3genE10ELNS1_11target_archE1200ELNS1_3gpuE4ELNS1_3repE0EEENS1_30default_config_static_selectorELNS0_4arch9wavefront6targetE0EEEvT1_,comdat
.Lfunc_end1074:
	.size	_ZN7rocprim17ROCPRIM_400000_NS6detail17trampoline_kernelINS0_14default_configENS1_25partition_config_selectorILNS1_17partition_subalgoE6EdNS0_10empty_typeEbEEZZNS1_14partition_implILS5_6ELb0ES3_mN6thrust23THRUST_200600_302600_NS6detail15normal_iteratorINSA_10device_ptrIdEEEEPS6_SG_NS0_5tupleIJSF_S6_EEENSH_IJSG_SG_EEES6_PlJNSB_9not_fun_tI7is_trueIdEEEEEE10hipError_tPvRmT3_T4_T5_T6_T7_T9_mT8_P12ihipStream_tbDpT10_ENKUlT_T0_E_clISt17integral_constantIbLb0EES17_IbLb1EEEEDaS13_S14_EUlS13_E_NS1_11comp_targetILNS1_3genE10ELNS1_11target_archE1200ELNS1_3gpuE4ELNS1_3repE0EEENS1_30default_config_static_selectorELNS0_4arch9wavefront6targetE0EEEvT1_, .Lfunc_end1074-_ZN7rocprim17ROCPRIM_400000_NS6detail17trampoline_kernelINS0_14default_configENS1_25partition_config_selectorILNS1_17partition_subalgoE6EdNS0_10empty_typeEbEEZZNS1_14partition_implILS5_6ELb0ES3_mN6thrust23THRUST_200600_302600_NS6detail15normal_iteratorINSA_10device_ptrIdEEEEPS6_SG_NS0_5tupleIJSF_S6_EEENSH_IJSG_SG_EEES6_PlJNSB_9not_fun_tI7is_trueIdEEEEEE10hipError_tPvRmT3_T4_T5_T6_T7_T9_mT8_P12ihipStream_tbDpT10_ENKUlT_T0_E_clISt17integral_constantIbLb0EES17_IbLb1EEEEDaS13_S14_EUlS13_E_NS1_11comp_targetILNS1_3genE10ELNS1_11target_archE1200ELNS1_3gpuE4ELNS1_3repE0EEENS1_30default_config_static_selectorELNS0_4arch9wavefront6targetE0EEEvT1_
                                        ; -- End function
	.set _ZN7rocprim17ROCPRIM_400000_NS6detail17trampoline_kernelINS0_14default_configENS1_25partition_config_selectorILNS1_17partition_subalgoE6EdNS0_10empty_typeEbEEZZNS1_14partition_implILS5_6ELb0ES3_mN6thrust23THRUST_200600_302600_NS6detail15normal_iteratorINSA_10device_ptrIdEEEEPS6_SG_NS0_5tupleIJSF_S6_EEENSH_IJSG_SG_EEES6_PlJNSB_9not_fun_tI7is_trueIdEEEEEE10hipError_tPvRmT3_T4_T5_T6_T7_T9_mT8_P12ihipStream_tbDpT10_ENKUlT_T0_E_clISt17integral_constantIbLb0EES17_IbLb1EEEEDaS13_S14_EUlS13_E_NS1_11comp_targetILNS1_3genE10ELNS1_11target_archE1200ELNS1_3gpuE4ELNS1_3repE0EEENS1_30default_config_static_selectorELNS0_4arch9wavefront6targetE0EEEvT1_.num_vgpr, 48
	.set _ZN7rocprim17ROCPRIM_400000_NS6detail17trampoline_kernelINS0_14default_configENS1_25partition_config_selectorILNS1_17partition_subalgoE6EdNS0_10empty_typeEbEEZZNS1_14partition_implILS5_6ELb0ES3_mN6thrust23THRUST_200600_302600_NS6detail15normal_iteratorINSA_10device_ptrIdEEEEPS6_SG_NS0_5tupleIJSF_S6_EEENSH_IJSG_SG_EEES6_PlJNSB_9not_fun_tI7is_trueIdEEEEEE10hipError_tPvRmT3_T4_T5_T6_T7_T9_mT8_P12ihipStream_tbDpT10_ENKUlT_T0_E_clISt17integral_constantIbLb0EES17_IbLb1EEEEDaS13_S14_EUlS13_E_NS1_11comp_targetILNS1_3genE10ELNS1_11target_archE1200ELNS1_3gpuE4ELNS1_3repE0EEENS1_30default_config_static_selectorELNS0_4arch9wavefront6targetE0EEEvT1_.num_agpr, 0
	.set _ZN7rocprim17ROCPRIM_400000_NS6detail17trampoline_kernelINS0_14default_configENS1_25partition_config_selectorILNS1_17partition_subalgoE6EdNS0_10empty_typeEbEEZZNS1_14partition_implILS5_6ELb0ES3_mN6thrust23THRUST_200600_302600_NS6detail15normal_iteratorINSA_10device_ptrIdEEEEPS6_SG_NS0_5tupleIJSF_S6_EEENSH_IJSG_SG_EEES6_PlJNSB_9not_fun_tI7is_trueIdEEEEEE10hipError_tPvRmT3_T4_T5_T6_T7_T9_mT8_P12ihipStream_tbDpT10_ENKUlT_T0_E_clISt17integral_constantIbLb0EES17_IbLb1EEEEDaS13_S14_EUlS13_E_NS1_11comp_targetILNS1_3genE10ELNS1_11target_archE1200ELNS1_3gpuE4ELNS1_3repE0EEENS1_30default_config_static_selectorELNS0_4arch9wavefront6targetE0EEEvT1_.numbered_sgpr, 22
	.set _ZN7rocprim17ROCPRIM_400000_NS6detail17trampoline_kernelINS0_14default_configENS1_25partition_config_selectorILNS1_17partition_subalgoE6EdNS0_10empty_typeEbEEZZNS1_14partition_implILS5_6ELb0ES3_mN6thrust23THRUST_200600_302600_NS6detail15normal_iteratorINSA_10device_ptrIdEEEEPS6_SG_NS0_5tupleIJSF_S6_EEENSH_IJSG_SG_EEES6_PlJNSB_9not_fun_tI7is_trueIdEEEEEE10hipError_tPvRmT3_T4_T5_T6_T7_T9_mT8_P12ihipStream_tbDpT10_ENKUlT_T0_E_clISt17integral_constantIbLb0EES17_IbLb1EEEEDaS13_S14_EUlS13_E_NS1_11comp_targetILNS1_3genE10ELNS1_11target_archE1200ELNS1_3gpuE4ELNS1_3repE0EEENS1_30default_config_static_selectorELNS0_4arch9wavefront6targetE0EEEvT1_.num_named_barrier, 0
	.set _ZN7rocprim17ROCPRIM_400000_NS6detail17trampoline_kernelINS0_14default_configENS1_25partition_config_selectorILNS1_17partition_subalgoE6EdNS0_10empty_typeEbEEZZNS1_14partition_implILS5_6ELb0ES3_mN6thrust23THRUST_200600_302600_NS6detail15normal_iteratorINSA_10device_ptrIdEEEEPS6_SG_NS0_5tupleIJSF_S6_EEENSH_IJSG_SG_EEES6_PlJNSB_9not_fun_tI7is_trueIdEEEEEE10hipError_tPvRmT3_T4_T5_T6_T7_T9_mT8_P12ihipStream_tbDpT10_ENKUlT_T0_E_clISt17integral_constantIbLb0EES17_IbLb1EEEEDaS13_S14_EUlS13_E_NS1_11comp_targetILNS1_3genE10ELNS1_11target_archE1200ELNS1_3gpuE4ELNS1_3repE0EEENS1_30default_config_static_selectorELNS0_4arch9wavefront6targetE0EEEvT1_.private_seg_size, 0
	.set _ZN7rocprim17ROCPRIM_400000_NS6detail17trampoline_kernelINS0_14default_configENS1_25partition_config_selectorILNS1_17partition_subalgoE6EdNS0_10empty_typeEbEEZZNS1_14partition_implILS5_6ELb0ES3_mN6thrust23THRUST_200600_302600_NS6detail15normal_iteratorINSA_10device_ptrIdEEEEPS6_SG_NS0_5tupleIJSF_S6_EEENSH_IJSG_SG_EEES6_PlJNSB_9not_fun_tI7is_trueIdEEEEEE10hipError_tPvRmT3_T4_T5_T6_T7_T9_mT8_P12ihipStream_tbDpT10_ENKUlT_T0_E_clISt17integral_constantIbLb0EES17_IbLb1EEEEDaS13_S14_EUlS13_E_NS1_11comp_targetILNS1_3genE10ELNS1_11target_archE1200ELNS1_3gpuE4ELNS1_3repE0EEENS1_30default_config_static_selectorELNS0_4arch9wavefront6targetE0EEEvT1_.uses_vcc, 1
	.set _ZN7rocprim17ROCPRIM_400000_NS6detail17trampoline_kernelINS0_14default_configENS1_25partition_config_selectorILNS1_17partition_subalgoE6EdNS0_10empty_typeEbEEZZNS1_14partition_implILS5_6ELb0ES3_mN6thrust23THRUST_200600_302600_NS6detail15normal_iteratorINSA_10device_ptrIdEEEEPS6_SG_NS0_5tupleIJSF_S6_EEENSH_IJSG_SG_EEES6_PlJNSB_9not_fun_tI7is_trueIdEEEEEE10hipError_tPvRmT3_T4_T5_T6_T7_T9_mT8_P12ihipStream_tbDpT10_ENKUlT_T0_E_clISt17integral_constantIbLb0EES17_IbLb1EEEEDaS13_S14_EUlS13_E_NS1_11comp_targetILNS1_3genE10ELNS1_11target_archE1200ELNS1_3gpuE4ELNS1_3repE0EEENS1_30default_config_static_selectorELNS0_4arch9wavefront6targetE0EEEvT1_.uses_flat_scratch, 1
	.set _ZN7rocprim17ROCPRIM_400000_NS6detail17trampoline_kernelINS0_14default_configENS1_25partition_config_selectorILNS1_17partition_subalgoE6EdNS0_10empty_typeEbEEZZNS1_14partition_implILS5_6ELb0ES3_mN6thrust23THRUST_200600_302600_NS6detail15normal_iteratorINSA_10device_ptrIdEEEEPS6_SG_NS0_5tupleIJSF_S6_EEENSH_IJSG_SG_EEES6_PlJNSB_9not_fun_tI7is_trueIdEEEEEE10hipError_tPvRmT3_T4_T5_T6_T7_T9_mT8_P12ihipStream_tbDpT10_ENKUlT_T0_E_clISt17integral_constantIbLb0EES17_IbLb1EEEEDaS13_S14_EUlS13_E_NS1_11comp_targetILNS1_3genE10ELNS1_11target_archE1200ELNS1_3gpuE4ELNS1_3repE0EEENS1_30default_config_static_selectorELNS0_4arch9wavefront6targetE0EEEvT1_.has_dyn_sized_stack, 0
	.set _ZN7rocprim17ROCPRIM_400000_NS6detail17trampoline_kernelINS0_14default_configENS1_25partition_config_selectorILNS1_17partition_subalgoE6EdNS0_10empty_typeEbEEZZNS1_14partition_implILS5_6ELb0ES3_mN6thrust23THRUST_200600_302600_NS6detail15normal_iteratorINSA_10device_ptrIdEEEEPS6_SG_NS0_5tupleIJSF_S6_EEENSH_IJSG_SG_EEES6_PlJNSB_9not_fun_tI7is_trueIdEEEEEE10hipError_tPvRmT3_T4_T5_T6_T7_T9_mT8_P12ihipStream_tbDpT10_ENKUlT_T0_E_clISt17integral_constantIbLb0EES17_IbLb1EEEEDaS13_S14_EUlS13_E_NS1_11comp_targetILNS1_3genE10ELNS1_11target_archE1200ELNS1_3gpuE4ELNS1_3repE0EEENS1_30default_config_static_selectorELNS0_4arch9wavefront6targetE0EEEvT1_.has_recursion, 0
	.set _ZN7rocprim17ROCPRIM_400000_NS6detail17trampoline_kernelINS0_14default_configENS1_25partition_config_selectorILNS1_17partition_subalgoE6EdNS0_10empty_typeEbEEZZNS1_14partition_implILS5_6ELb0ES3_mN6thrust23THRUST_200600_302600_NS6detail15normal_iteratorINSA_10device_ptrIdEEEEPS6_SG_NS0_5tupleIJSF_S6_EEENSH_IJSG_SG_EEES6_PlJNSB_9not_fun_tI7is_trueIdEEEEEE10hipError_tPvRmT3_T4_T5_T6_T7_T9_mT8_P12ihipStream_tbDpT10_ENKUlT_T0_E_clISt17integral_constantIbLb0EES17_IbLb1EEEEDaS13_S14_EUlS13_E_NS1_11comp_targetILNS1_3genE10ELNS1_11target_archE1200ELNS1_3gpuE4ELNS1_3repE0EEENS1_30default_config_static_selectorELNS0_4arch9wavefront6targetE0EEEvT1_.has_indirect_call, 0
	.section	.AMDGPU.csdata,"",@progbits
; Kernel info:
; codeLenInByte = 6552
; TotalNumSgprs: 24
; NumVgprs: 48
; ScratchSize: 0
; MemoryBound: 0
; FloatMode: 240
; IeeeMode: 1
; LDSByteSize: 8464 bytes/workgroup (compile time only)
; SGPRBlocks: 0
; VGPRBlocks: 5
; NumSGPRsForWavesPerEU: 24
; NumVGPRsForWavesPerEU: 48
; Occupancy: 16
; WaveLimiterHint : 1
; COMPUTE_PGM_RSRC2:SCRATCH_EN: 0
; COMPUTE_PGM_RSRC2:USER_SGPR: 2
; COMPUTE_PGM_RSRC2:TRAP_HANDLER: 0
; COMPUTE_PGM_RSRC2:TGID_X_EN: 1
; COMPUTE_PGM_RSRC2:TGID_Y_EN: 0
; COMPUTE_PGM_RSRC2:TGID_Z_EN: 0
; COMPUTE_PGM_RSRC2:TIDIG_COMP_CNT: 0
	.section	.text._ZN7rocprim17ROCPRIM_400000_NS6detail17trampoline_kernelINS0_14default_configENS1_25partition_config_selectorILNS1_17partition_subalgoE6EdNS0_10empty_typeEbEEZZNS1_14partition_implILS5_6ELb0ES3_mN6thrust23THRUST_200600_302600_NS6detail15normal_iteratorINSA_10device_ptrIdEEEEPS6_SG_NS0_5tupleIJSF_S6_EEENSH_IJSG_SG_EEES6_PlJNSB_9not_fun_tI7is_trueIdEEEEEE10hipError_tPvRmT3_T4_T5_T6_T7_T9_mT8_P12ihipStream_tbDpT10_ENKUlT_T0_E_clISt17integral_constantIbLb0EES17_IbLb1EEEEDaS13_S14_EUlS13_E_NS1_11comp_targetILNS1_3genE9ELNS1_11target_archE1100ELNS1_3gpuE3ELNS1_3repE0EEENS1_30default_config_static_selectorELNS0_4arch9wavefront6targetE0EEEvT1_,"axG",@progbits,_ZN7rocprim17ROCPRIM_400000_NS6detail17trampoline_kernelINS0_14default_configENS1_25partition_config_selectorILNS1_17partition_subalgoE6EdNS0_10empty_typeEbEEZZNS1_14partition_implILS5_6ELb0ES3_mN6thrust23THRUST_200600_302600_NS6detail15normal_iteratorINSA_10device_ptrIdEEEEPS6_SG_NS0_5tupleIJSF_S6_EEENSH_IJSG_SG_EEES6_PlJNSB_9not_fun_tI7is_trueIdEEEEEE10hipError_tPvRmT3_T4_T5_T6_T7_T9_mT8_P12ihipStream_tbDpT10_ENKUlT_T0_E_clISt17integral_constantIbLb0EES17_IbLb1EEEEDaS13_S14_EUlS13_E_NS1_11comp_targetILNS1_3genE9ELNS1_11target_archE1100ELNS1_3gpuE3ELNS1_3repE0EEENS1_30default_config_static_selectorELNS0_4arch9wavefront6targetE0EEEvT1_,comdat
	.protected	_ZN7rocprim17ROCPRIM_400000_NS6detail17trampoline_kernelINS0_14default_configENS1_25partition_config_selectorILNS1_17partition_subalgoE6EdNS0_10empty_typeEbEEZZNS1_14partition_implILS5_6ELb0ES3_mN6thrust23THRUST_200600_302600_NS6detail15normal_iteratorINSA_10device_ptrIdEEEEPS6_SG_NS0_5tupleIJSF_S6_EEENSH_IJSG_SG_EEES6_PlJNSB_9not_fun_tI7is_trueIdEEEEEE10hipError_tPvRmT3_T4_T5_T6_T7_T9_mT8_P12ihipStream_tbDpT10_ENKUlT_T0_E_clISt17integral_constantIbLb0EES17_IbLb1EEEEDaS13_S14_EUlS13_E_NS1_11comp_targetILNS1_3genE9ELNS1_11target_archE1100ELNS1_3gpuE3ELNS1_3repE0EEENS1_30default_config_static_selectorELNS0_4arch9wavefront6targetE0EEEvT1_ ; -- Begin function _ZN7rocprim17ROCPRIM_400000_NS6detail17trampoline_kernelINS0_14default_configENS1_25partition_config_selectorILNS1_17partition_subalgoE6EdNS0_10empty_typeEbEEZZNS1_14partition_implILS5_6ELb0ES3_mN6thrust23THRUST_200600_302600_NS6detail15normal_iteratorINSA_10device_ptrIdEEEEPS6_SG_NS0_5tupleIJSF_S6_EEENSH_IJSG_SG_EEES6_PlJNSB_9not_fun_tI7is_trueIdEEEEEE10hipError_tPvRmT3_T4_T5_T6_T7_T9_mT8_P12ihipStream_tbDpT10_ENKUlT_T0_E_clISt17integral_constantIbLb0EES17_IbLb1EEEEDaS13_S14_EUlS13_E_NS1_11comp_targetILNS1_3genE9ELNS1_11target_archE1100ELNS1_3gpuE3ELNS1_3repE0EEENS1_30default_config_static_selectorELNS0_4arch9wavefront6targetE0EEEvT1_
	.globl	_ZN7rocprim17ROCPRIM_400000_NS6detail17trampoline_kernelINS0_14default_configENS1_25partition_config_selectorILNS1_17partition_subalgoE6EdNS0_10empty_typeEbEEZZNS1_14partition_implILS5_6ELb0ES3_mN6thrust23THRUST_200600_302600_NS6detail15normal_iteratorINSA_10device_ptrIdEEEEPS6_SG_NS0_5tupleIJSF_S6_EEENSH_IJSG_SG_EEES6_PlJNSB_9not_fun_tI7is_trueIdEEEEEE10hipError_tPvRmT3_T4_T5_T6_T7_T9_mT8_P12ihipStream_tbDpT10_ENKUlT_T0_E_clISt17integral_constantIbLb0EES17_IbLb1EEEEDaS13_S14_EUlS13_E_NS1_11comp_targetILNS1_3genE9ELNS1_11target_archE1100ELNS1_3gpuE3ELNS1_3repE0EEENS1_30default_config_static_selectorELNS0_4arch9wavefront6targetE0EEEvT1_
	.p2align	8
	.type	_ZN7rocprim17ROCPRIM_400000_NS6detail17trampoline_kernelINS0_14default_configENS1_25partition_config_selectorILNS1_17partition_subalgoE6EdNS0_10empty_typeEbEEZZNS1_14partition_implILS5_6ELb0ES3_mN6thrust23THRUST_200600_302600_NS6detail15normal_iteratorINSA_10device_ptrIdEEEEPS6_SG_NS0_5tupleIJSF_S6_EEENSH_IJSG_SG_EEES6_PlJNSB_9not_fun_tI7is_trueIdEEEEEE10hipError_tPvRmT3_T4_T5_T6_T7_T9_mT8_P12ihipStream_tbDpT10_ENKUlT_T0_E_clISt17integral_constantIbLb0EES17_IbLb1EEEEDaS13_S14_EUlS13_E_NS1_11comp_targetILNS1_3genE9ELNS1_11target_archE1100ELNS1_3gpuE3ELNS1_3repE0EEENS1_30default_config_static_selectorELNS0_4arch9wavefront6targetE0EEEvT1_,@function
_ZN7rocprim17ROCPRIM_400000_NS6detail17trampoline_kernelINS0_14default_configENS1_25partition_config_selectorILNS1_17partition_subalgoE6EdNS0_10empty_typeEbEEZZNS1_14partition_implILS5_6ELb0ES3_mN6thrust23THRUST_200600_302600_NS6detail15normal_iteratorINSA_10device_ptrIdEEEEPS6_SG_NS0_5tupleIJSF_S6_EEENSH_IJSG_SG_EEES6_PlJNSB_9not_fun_tI7is_trueIdEEEEEE10hipError_tPvRmT3_T4_T5_T6_T7_T9_mT8_P12ihipStream_tbDpT10_ENKUlT_T0_E_clISt17integral_constantIbLb0EES17_IbLb1EEEEDaS13_S14_EUlS13_E_NS1_11comp_targetILNS1_3genE9ELNS1_11target_archE1100ELNS1_3gpuE3ELNS1_3repE0EEENS1_30default_config_static_selectorELNS0_4arch9wavefront6targetE0EEEvT1_: ; @_ZN7rocprim17ROCPRIM_400000_NS6detail17trampoline_kernelINS0_14default_configENS1_25partition_config_selectorILNS1_17partition_subalgoE6EdNS0_10empty_typeEbEEZZNS1_14partition_implILS5_6ELb0ES3_mN6thrust23THRUST_200600_302600_NS6detail15normal_iteratorINSA_10device_ptrIdEEEEPS6_SG_NS0_5tupleIJSF_S6_EEENSH_IJSG_SG_EEES6_PlJNSB_9not_fun_tI7is_trueIdEEEEEE10hipError_tPvRmT3_T4_T5_T6_T7_T9_mT8_P12ihipStream_tbDpT10_ENKUlT_T0_E_clISt17integral_constantIbLb0EES17_IbLb1EEEEDaS13_S14_EUlS13_E_NS1_11comp_targetILNS1_3genE9ELNS1_11target_archE1100ELNS1_3gpuE3ELNS1_3repE0EEENS1_30default_config_static_selectorELNS0_4arch9wavefront6targetE0EEEvT1_
; %bb.0:
	.section	.rodata,"a",@progbits
	.p2align	6, 0x0
	.amdhsa_kernel _ZN7rocprim17ROCPRIM_400000_NS6detail17trampoline_kernelINS0_14default_configENS1_25partition_config_selectorILNS1_17partition_subalgoE6EdNS0_10empty_typeEbEEZZNS1_14partition_implILS5_6ELb0ES3_mN6thrust23THRUST_200600_302600_NS6detail15normal_iteratorINSA_10device_ptrIdEEEEPS6_SG_NS0_5tupleIJSF_S6_EEENSH_IJSG_SG_EEES6_PlJNSB_9not_fun_tI7is_trueIdEEEEEE10hipError_tPvRmT3_T4_T5_T6_T7_T9_mT8_P12ihipStream_tbDpT10_ENKUlT_T0_E_clISt17integral_constantIbLb0EES17_IbLb1EEEEDaS13_S14_EUlS13_E_NS1_11comp_targetILNS1_3genE9ELNS1_11target_archE1100ELNS1_3gpuE3ELNS1_3repE0EEENS1_30default_config_static_selectorELNS0_4arch9wavefront6targetE0EEEvT1_
		.amdhsa_group_segment_fixed_size 0
		.amdhsa_private_segment_fixed_size 0
		.amdhsa_kernarg_size 128
		.amdhsa_user_sgpr_count 2
		.amdhsa_user_sgpr_dispatch_ptr 0
		.amdhsa_user_sgpr_queue_ptr 0
		.amdhsa_user_sgpr_kernarg_segment_ptr 1
		.amdhsa_user_sgpr_dispatch_id 0
		.amdhsa_user_sgpr_private_segment_size 0
		.amdhsa_wavefront_size32 1
		.amdhsa_uses_dynamic_stack 0
		.amdhsa_enable_private_segment 0
		.amdhsa_system_sgpr_workgroup_id_x 1
		.amdhsa_system_sgpr_workgroup_id_y 0
		.amdhsa_system_sgpr_workgroup_id_z 0
		.amdhsa_system_sgpr_workgroup_info 0
		.amdhsa_system_vgpr_workitem_id 0
		.amdhsa_next_free_vgpr 1
		.amdhsa_next_free_sgpr 1
		.amdhsa_reserve_vcc 0
		.amdhsa_float_round_mode_32 0
		.amdhsa_float_round_mode_16_64 0
		.amdhsa_float_denorm_mode_32 3
		.amdhsa_float_denorm_mode_16_64 3
		.amdhsa_fp16_overflow 0
		.amdhsa_workgroup_processor_mode 1
		.amdhsa_memory_ordered 1
		.amdhsa_forward_progress 1
		.amdhsa_inst_pref_size 0
		.amdhsa_round_robin_scheduling 0
		.amdhsa_exception_fp_ieee_invalid_op 0
		.amdhsa_exception_fp_denorm_src 0
		.amdhsa_exception_fp_ieee_div_zero 0
		.amdhsa_exception_fp_ieee_overflow 0
		.amdhsa_exception_fp_ieee_underflow 0
		.amdhsa_exception_fp_ieee_inexact 0
		.amdhsa_exception_int_div_zero 0
	.end_amdhsa_kernel
	.section	.text._ZN7rocprim17ROCPRIM_400000_NS6detail17trampoline_kernelINS0_14default_configENS1_25partition_config_selectorILNS1_17partition_subalgoE6EdNS0_10empty_typeEbEEZZNS1_14partition_implILS5_6ELb0ES3_mN6thrust23THRUST_200600_302600_NS6detail15normal_iteratorINSA_10device_ptrIdEEEEPS6_SG_NS0_5tupleIJSF_S6_EEENSH_IJSG_SG_EEES6_PlJNSB_9not_fun_tI7is_trueIdEEEEEE10hipError_tPvRmT3_T4_T5_T6_T7_T9_mT8_P12ihipStream_tbDpT10_ENKUlT_T0_E_clISt17integral_constantIbLb0EES17_IbLb1EEEEDaS13_S14_EUlS13_E_NS1_11comp_targetILNS1_3genE9ELNS1_11target_archE1100ELNS1_3gpuE3ELNS1_3repE0EEENS1_30default_config_static_selectorELNS0_4arch9wavefront6targetE0EEEvT1_,"axG",@progbits,_ZN7rocprim17ROCPRIM_400000_NS6detail17trampoline_kernelINS0_14default_configENS1_25partition_config_selectorILNS1_17partition_subalgoE6EdNS0_10empty_typeEbEEZZNS1_14partition_implILS5_6ELb0ES3_mN6thrust23THRUST_200600_302600_NS6detail15normal_iteratorINSA_10device_ptrIdEEEEPS6_SG_NS0_5tupleIJSF_S6_EEENSH_IJSG_SG_EEES6_PlJNSB_9not_fun_tI7is_trueIdEEEEEE10hipError_tPvRmT3_T4_T5_T6_T7_T9_mT8_P12ihipStream_tbDpT10_ENKUlT_T0_E_clISt17integral_constantIbLb0EES17_IbLb1EEEEDaS13_S14_EUlS13_E_NS1_11comp_targetILNS1_3genE9ELNS1_11target_archE1100ELNS1_3gpuE3ELNS1_3repE0EEENS1_30default_config_static_selectorELNS0_4arch9wavefront6targetE0EEEvT1_,comdat
.Lfunc_end1075:
	.size	_ZN7rocprim17ROCPRIM_400000_NS6detail17trampoline_kernelINS0_14default_configENS1_25partition_config_selectorILNS1_17partition_subalgoE6EdNS0_10empty_typeEbEEZZNS1_14partition_implILS5_6ELb0ES3_mN6thrust23THRUST_200600_302600_NS6detail15normal_iteratorINSA_10device_ptrIdEEEEPS6_SG_NS0_5tupleIJSF_S6_EEENSH_IJSG_SG_EEES6_PlJNSB_9not_fun_tI7is_trueIdEEEEEE10hipError_tPvRmT3_T4_T5_T6_T7_T9_mT8_P12ihipStream_tbDpT10_ENKUlT_T0_E_clISt17integral_constantIbLb0EES17_IbLb1EEEEDaS13_S14_EUlS13_E_NS1_11comp_targetILNS1_3genE9ELNS1_11target_archE1100ELNS1_3gpuE3ELNS1_3repE0EEENS1_30default_config_static_selectorELNS0_4arch9wavefront6targetE0EEEvT1_, .Lfunc_end1075-_ZN7rocprim17ROCPRIM_400000_NS6detail17trampoline_kernelINS0_14default_configENS1_25partition_config_selectorILNS1_17partition_subalgoE6EdNS0_10empty_typeEbEEZZNS1_14partition_implILS5_6ELb0ES3_mN6thrust23THRUST_200600_302600_NS6detail15normal_iteratorINSA_10device_ptrIdEEEEPS6_SG_NS0_5tupleIJSF_S6_EEENSH_IJSG_SG_EEES6_PlJNSB_9not_fun_tI7is_trueIdEEEEEE10hipError_tPvRmT3_T4_T5_T6_T7_T9_mT8_P12ihipStream_tbDpT10_ENKUlT_T0_E_clISt17integral_constantIbLb0EES17_IbLb1EEEEDaS13_S14_EUlS13_E_NS1_11comp_targetILNS1_3genE9ELNS1_11target_archE1100ELNS1_3gpuE3ELNS1_3repE0EEENS1_30default_config_static_selectorELNS0_4arch9wavefront6targetE0EEEvT1_
                                        ; -- End function
	.set _ZN7rocprim17ROCPRIM_400000_NS6detail17trampoline_kernelINS0_14default_configENS1_25partition_config_selectorILNS1_17partition_subalgoE6EdNS0_10empty_typeEbEEZZNS1_14partition_implILS5_6ELb0ES3_mN6thrust23THRUST_200600_302600_NS6detail15normal_iteratorINSA_10device_ptrIdEEEEPS6_SG_NS0_5tupleIJSF_S6_EEENSH_IJSG_SG_EEES6_PlJNSB_9not_fun_tI7is_trueIdEEEEEE10hipError_tPvRmT3_T4_T5_T6_T7_T9_mT8_P12ihipStream_tbDpT10_ENKUlT_T0_E_clISt17integral_constantIbLb0EES17_IbLb1EEEEDaS13_S14_EUlS13_E_NS1_11comp_targetILNS1_3genE9ELNS1_11target_archE1100ELNS1_3gpuE3ELNS1_3repE0EEENS1_30default_config_static_selectorELNS0_4arch9wavefront6targetE0EEEvT1_.num_vgpr, 0
	.set _ZN7rocprim17ROCPRIM_400000_NS6detail17trampoline_kernelINS0_14default_configENS1_25partition_config_selectorILNS1_17partition_subalgoE6EdNS0_10empty_typeEbEEZZNS1_14partition_implILS5_6ELb0ES3_mN6thrust23THRUST_200600_302600_NS6detail15normal_iteratorINSA_10device_ptrIdEEEEPS6_SG_NS0_5tupleIJSF_S6_EEENSH_IJSG_SG_EEES6_PlJNSB_9not_fun_tI7is_trueIdEEEEEE10hipError_tPvRmT3_T4_T5_T6_T7_T9_mT8_P12ihipStream_tbDpT10_ENKUlT_T0_E_clISt17integral_constantIbLb0EES17_IbLb1EEEEDaS13_S14_EUlS13_E_NS1_11comp_targetILNS1_3genE9ELNS1_11target_archE1100ELNS1_3gpuE3ELNS1_3repE0EEENS1_30default_config_static_selectorELNS0_4arch9wavefront6targetE0EEEvT1_.num_agpr, 0
	.set _ZN7rocprim17ROCPRIM_400000_NS6detail17trampoline_kernelINS0_14default_configENS1_25partition_config_selectorILNS1_17partition_subalgoE6EdNS0_10empty_typeEbEEZZNS1_14partition_implILS5_6ELb0ES3_mN6thrust23THRUST_200600_302600_NS6detail15normal_iteratorINSA_10device_ptrIdEEEEPS6_SG_NS0_5tupleIJSF_S6_EEENSH_IJSG_SG_EEES6_PlJNSB_9not_fun_tI7is_trueIdEEEEEE10hipError_tPvRmT3_T4_T5_T6_T7_T9_mT8_P12ihipStream_tbDpT10_ENKUlT_T0_E_clISt17integral_constantIbLb0EES17_IbLb1EEEEDaS13_S14_EUlS13_E_NS1_11comp_targetILNS1_3genE9ELNS1_11target_archE1100ELNS1_3gpuE3ELNS1_3repE0EEENS1_30default_config_static_selectorELNS0_4arch9wavefront6targetE0EEEvT1_.numbered_sgpr, 0
	.set _ZN7rocprim17ROCPRIM_400000_NS6detail17trampoline_kernelINS0_14default_configENS1_25partition_config_selectorILNS1_17partition_subalgoE6EdNS0_10empty_typeEbEEZZNS1_14partition_implILS5_6ELb0ES3_mN6thrust23THRUST_200600_302600_NS6detail15normal_iteratorINSA_10device_ptrIdEEEEPS6_SG_NS0_5tupleIJSF_S6_EEENSH_IJSG_SG_EEES6_PlJNSB_9not_fun_tI7is_trueIdEEEEEE10hipError_tPvRmT3_T4_T5_T6_T7_T9_mT8_P12ihipStream_tbDpT10_ENKUlT_T0_E_clISt17integral_constantIbLb0EES17_IbLb1EEEEDaS13_S14_EUlS13_E_NS1_11comp_targetILNS1_3genE9ELNS1_11target_archE1100ELNS1_3gpuE3ELNS1_3repE0EEENS1_30default_config_static_selectorELNS0_4arch9wavefront6targetE0EEEvT1_.num_named_barrier, 0
	.set _ZN7rocprim17ROCPRIM_400000_NS6detail17trampoline_kernelINS0_14default_configENS1_25partition_config_selectorILNS1_17partition_subalgoE6EdNS0_10empty_typeEbEEZZNS1_14partition_implILS5_6ELb0ES3_mN6thrust23THRUST_200600_302600_NS6detail15normal_iteratorINSA_10device_ptrIdEEEEPS6_SG_NS0_5tupleIJSF_S6_EEENSH_IJSG_SG_EEES6_PlJNSB_9not_fun_tI7is_trueIdEEEEEE10hipError_tPvRmT3_T4_T5_T6_T7_T9_mT8_P12ihipStream_tbDpT10_ENKUlT_T0_E_clISt17integral_constantIbLb0EES17_IbLb1EEEEDaS13_S14_EUlS13_E_NS1_11comp_targetILNS1_3genE9ELNS1_11target_archE1100ELNS1_3gpuE3ELNS1_3repE0EEENS1_30default_config_static_selectorELNS0_4arch9wavefront6targetE0EEEvT1_.private_seg_size, 0
	.set _ZN7rocprim17ROCPRIM_400000_NS6detail17trampoline_kernelINS0_14default_configENS1_25partition_config_selectorILNS1_17partition_subalgoE6EdNS0_10empty_typeEbEEZZNS1_14partition_implILS5_6ELb0ES3_mN6thrust23THRUST_200600_302600_NS6detail15normal_iteratorINSA_10device_ptrIdEEEEPS6_SG_NS0_5tupleIJSF_S6_EEENSH_IJSG_SG_EEES6_PlJNSB_9not_fun_tI7is_trueIdEEEEEE10hipError_tPvRmT3_T4_T5_T6_T7_T9_mT8_P12ihipStream_tbDpT10_ENKUlT_T0_E_clISt17integral_constantIbLb0EES17_IbLb1EEEEDaS13_S14_EUlS13_E_NS1_11comp_targetILNS1_3genE9ELNS1_11target_archE1100ELNS1_3gpuE3ELNS1_3repE0EEENS1_30default_config_static_selectorELNS0_4arch9wavefront6targetE0EEEvT1_.uses_vcc, 0
	.set _ZN7rocprim17ROCPRIM_400000_NS6detail17trampoline_kernelINS0_14default_configENS1_25partition_config_selectorILNS1_17partition_subalgoE6EdNS0_10empty_typeEbEEZZNS1_14partition_implILS5_6ELb0ES3_mN6thrust23THRUST_200600_302600_NS6detail15normal_iteratorINSA_10device_ptrIdEEEEPS6_SG_NS0_5tupleIJSF_S6_EEENSH_IJSG_SG_EEES6_PlJNSB_9not_fun_tI7is_trueIdEEEEEE10hipError_tPvRmT3_T4_T5_T6_T7_T9_mT8_P12ihipStream_tbDpT10_ENKUlT_T0_E_clISt17integral_constantIbLb0EES17_IbLb1EEEEDaS13_S14_EUlS13_E_NS1_11comp_targetILNS1_3genE9ELNS1_11target_archE1100ELNS1_3gpuE3ELNS1_3repE0EEENS1_30default_config_static_selectorELNS0_4arch9wavefront6targetE0EEEvT1_.uses_flat_scratch, 0
	.set _ZN7rocprim17ROCPRIM_400000_NS6detail17trampoline_kernelINS0_14default_configENS1_25partition_config_selectorILNS1_17partition_subalgoE6EdNS0_10empty_typeEbEEZZNS1_14partition_implILS5_6ELb0ES3_mN6thrust23THRUST_200600_302600_NS6detail15normal_iteratorINSA_10device_ptrIdEEEEPS6_SG_NS0_5tupleIJSF_S6_EEENSH_IJSG_SG_EEES6_PlJNSB_9not_fun_tI7is_trueIdEEEEEE10hipError_tPvRmT3_T4_T5_T6_T7_T9_mT8_P12ihipStream_tbDpT10_ENKUlT_T0_E_clISt17integral_constantIbLb0EES17_IbLb1EEEEDaS13_S14_EUlS13_E_NS1_11comp_targetILNS1_3genE9ELNS1_11target_archE1100ELNS1_3gpuE3ELNS1_3repE0EEENS1_30default_config_static_selectorELNS0_4arch9wavefront6targetE0EEEvT1_.has_dyn_sized_stack, 0
	.set _ZN7rocprim17ROCPRIM_400000_NS6detail17trampoline_kernelINS0_14default_configENS1_25partition_config_selectorILNS1_17partition_subalgoE6EdNS0_10empty_typeEbEEZZNS1_14partition_implILS5_6ELb0ES3_mN6thrust23THRUST_200600_302600_NS6detail15normal_iteratorINSA_10device_ptrIdEEEEPS6_SG_NS0_5tupleIJSF_S6_EEENSH_IJSG_SG_EEES6_PlJNSB_9not_fun_tI7is_trueIdEEEEEE10hipError_tPvRmT3_T4_T5_T6_T7_T9_mT8_P12ihipStream_tbDpT10_ENKUlT_T0_E_clISt17integral_constantIbLb0EES17_IbLb1EEEEDaS13_S14_EUlS13_E_NS1_11comp_targetILNS1_3genE9ELNS1_11target_archE1100ELNS1_3gpuE3ELNS1_3repE0EEENS1_30default_config_static_selectorELNS0_4arch9wavefront6targetE0EEEvT1_.has_recursion, 0
	.set _ZN7rocprim17ROCPRIM_400000_NS6detail17trampoline_kernelINS0_14default_configENS1_25partition_config_selectorILNS1_17partition_subalgoE6EdNS0_10empty_typeEbEEZZNS1_14partition_implILS5_6ELb0ES3_mN6thrust23THRUST_200600_302600_NS6detail15normal_iteratorINSA_10device_ptrIdEEEEPS6_SG_NS0_5tupleIJSF_S6_EEENSH_IJSG_SG_EEES6_PlJNSB_9not_fun_tI7is_trueIdEEEEEE10hipError_tPvRmT3_T4_T5_T6_T7_T9_mT8_P12ihipStream_tbDpT10_ENKUlT_T0_E_clISt17integral_constantIbLb0EES17_IbLb1EEEEDaS13_S14_EUlS13_E_NS1_11comp_targetILNS1_3genE9ELNS1_11target_archE1100ELNS1_3gpuE3ELNS1_3repE0EEENS1_30default_config_static_selectorELNS0_4arch9wavefront6targetE0EEEvT1_.has_indirect_call, 0
	.section	.AMDGPU.csdata,"",@progbits
; Kernel info:
; codeLenInByte = 0
; TotalNumSgprs: 0
; NumVgprs: 0
; ScratchSize: 0
; MemoryBound: 0
; FloatMode: 240
; IeeeMode: 1
; LDSByteSize: 0 bytes/workgroup (compile time only)
; SGPRBlocks: 0
; VGPRBlocks: 0
; NumSGPRsForWavesPerEU: 1
; NumVGPRsForWavesPerEU: 1
; Occupancy: 16
; WaveLimiterHint : 0
; COMPUTE_PGM_RSRC2:SCRATCH_EN: 0
; COMPUTE_PGM_RSRC2:USER_SGPR: 2
; COMPUTE_PGM_RSRC2:TRAP_HANDLER: 0
; COMPUTE_PGM_RSRC2:TGID_X_EN: 1
; COMPUTE_PGM_RSRC2:TGID_Y_EN: 0
; COMPUTE_PGM_RSRC2:TGID_Z_EN: 0
; COMPUTE_PGM_RSRC2:TIDIG_COMP_CNT: 0
	.section	.text._ZN7rocprim17ROCPRIM_400000_NS6detail17trampoline_kernelINS0_14default_configENS1_25partition_config_selectorILNS1_17partition_subalgoE6EdNS0_10empty_typeEbEEZZNS1_14partition_implILS5_6ELb0ES3_mN6thrust23THRUST_200600_302600_NS6detail15normal_iteratorINSA_10device_ptrIdEEEEPS6_SG_NS0_5tupleIJSF_S6_EEENSH_IJSG_SG_EEES6_PlJNSB_9not_fun_tI7is_trueIdEEEEEE10hipError_tPvRmT3_T4_T5_T6_T7_T9_mT8_P12ihipStream_tbDpT10_ENKUlT_T0_E_clISt17integral_constantIbLb0EES17_IbLb1EEEEDaS13_S14_EUlS13_E_NS1_11comp_targetILNS1_3genE8ELNS1_11target_archE1030ELNS1_3gpuE2ELNS1_3repE0EEENS1_30default_config_static_selectorELNS0_4arch9wavefront6targetE0EEEvT1_,"axG",@progbits,_ZN7rocprim17ROCPRIM_400000_NS6detail17trampoline_kernelINS0_14default_configENS1_25partition_config_selectorILNS1_17partition_subalgoE6EdNS0_10empty_typeEbEEZZNS1_14partition_implILS5_6ELb0ES3_mN6thrust23THRUST_200600_302600_NS6detail15normal_iteratorINSA_10device_ptrIdEEEEPS6_SG_NS0_5tupleIJSF_S6_EEENSH_IJSG_SG_EEES6_PlJNSB_9not_fun_tI7is_trueIdEEEEEE10hipError_tPvRmT3_T4_T5_T6_T7_T9_mT8_P12ihipStream_tbDpT10_ENKUlT_T0_E_clISt17integral_constantIbLb0EES17_IbLb1EEEEDaS13_S14_EUlS13_E_NS1_11comp_targetILNS1_3genE8ELNS1_11target_archE1030ELNS1_3gpuE2ELNS1_3repE0EEENS1_30default_config_static_selectorELNS0_4arch9wavefront6targetE0EEEvT1_,comdat
	.protected	_ZN7rocprim17ROCPRIM_400000_NS6detail17trampoline_kernelINS0_14default_configENS1_25partition_config_selectorILNS1_17partition_subalgoE6EdNS0_10empty_typeEbEEZZNS1_14partition_implILS5_6ELb0ES3_mN6thrust23THRUST_200600_302600_NS6detail15normal_iteratorINSA_10device_ptrIdEEEEPS6_SG_NS0_5tupleIJSF_S6_EEENSH_IJSG_SG_EEES6_PlJNSB_9not_fun_tI7is_trueIdEEEEEE10hipError_tPvRmT3_T4_T5_T6_T7_T9_mT8_P12ihipStream_tbDpT10_ENKUlT_T0_E_clISt17integral_constantIbLb0EES17_IbLb1EEEEDaS13_S14_EUlS13_E_NS1_11comp_targetILNS1_3genE8ELNS1_11target_archE1030ELNS1_3gpuE2ELNS1_3repE0EEENS1_30default_config_static_selectorELNS0_4arch9wavefront6targetE0EEEvT1_ ; -- Begin function _ZN7rocprim17ROCPRIM_400000_NS6detail17trampoline_kernelINS0_14default_configENS1_25partition_config_selectorILNS1_17partition_subalgoE6EdNS0_10empty_typeEbEEZZNS1_14partition_implILS5_6ELb0ES3_mN6thrust23THRUST_200600_302600_NS6detail15normal_iteratorINSA_10device_ptrIdEEEEPS6_SG_NS0_5tupleIJSF_S6_EEENSH_IJSG_SG_EEES6_PlJNSB_9not_fun_tI7is_trueIdEEEEEE10hipError_tPvRmT3_T4_T5_T6_T7_T9_mT8_P12ihipStream_tbDpT10_ENKUlT_T0_E_clISt17integral_constantIbLb0EES17_IbLb1EEEEDaS13_S14_EUlS13_E_NS1_11comp_targetILNS1_3genE8ELNS1_11target_archE1030ELNS1_3gpuE2ELNS1_3repE0EEENS1_30default_config_static_selectorELNS0_4arch9wavefront6targetE0EEEvT1_
	.globl	_ZN7rocprim17ROCPRIM_400000_NS6detail17trampoline_kernelINS0_14default_configENS1_25partition_config_selectorILNS1_17partition_subalgoE6EdNS0_10empty_typeEbEEZZNS1_14partition_implILS5_6ELb0ES3_mN6thrust23THRUST_200600_302600_NS6detail15normal_iteratorINSA_10device_ptrIdEEEEPS6_SG_NS0_5tupleIJSF_S6_EEENSH_IJSG_SG_EEES6_PlJNSB_9not_fun_tI7is_trueIdEEEEEE10hipError_tPvRmT3_T4_T5_T6_T7_T9_mT8_P12ihipStream_tbDpT10_ENKUlT_T0_E_clISt17integral_constantIbLb0EES17_IbLb1EEEEDaS13_S14_EUlS13_E_NS1_11comp_targetILNS1_3genE8ELNS1_11target_archE1030ELNS1_3gpuE2ELNS1_3repE0EEENS1_30default_config_static_selectorELNS0_4arch9wavefront6targetE0EEEvT1_
	.p2align	8
	.type	_ZN7rocprim17ROCPRIM_400000_NS6detail17trampoline_kernelINS0_14default_configENS1_25partition_config_selectorILNS1_17partition_subalgoE6EdNS0_10empty_typeEbEEZZNS1_14partition_implILS5_6ELb0ES3_mN6thrust23THRUST_200600_302600_NS6detail15normal_iteratorINSA_10device_ptrIdEEEEPS6_SG_NS0_5tupleIJSF_S6_EEENSH_IJSG_SG_EEES6_PlJNSB_9not_fun_tI7is_trueIdEEEEEE10hipError_tPvRmT3_T4_T5_T6_T7_T9_mT8_P12ihipStream_tbDpT10_ENKUlT_T0_E_clISt17integral_constantIbLb0EES17_IbLb1EEEEDaS13_S14_EUlS13_E_NS1_11comp_targetILNS1_3genE8ELNS1_11target_archE1030ELNS1_3gpuE2ELNS1_3repE0EEENS1_30default_config_static_selectorELNS0_4arch9wavefront6targetE0EEEvT1_,@function
_ZN7rocprim17ROCPRIM_400000_NS6detail17trampoline_kernelINS0_14default_configENS1_25partition_config_selectorILNS1_17partition_subalgoE6EdNS0_10empty_typeEbEEZZNS1_14partition_implILS5_6ELb0ES3_mN6thrust23THRUST_200600_302600_NS6detail15normal_iteratorINSA_10device_ptrIdEEEEPS6_SG_NS0_5tupleIJSF_S6_EEENSH_IJSG_SG_EEES6_PlJNSB_9not_fun_tI7is_trueIdEEEEEE10hipError_tPvRmT3_T4_T5_T6_T7_T9_mT8_P12ihipStream_tbDpT10_ENKUlT_T0_E_clISt17integral_constantIbLb0EES17_IbLb1EEEEDaS13_S14_EUlS13_E_NS1_11comp_targetILNS1_3genE8ELNS1_11target_archE1030ELNS1_3gpuE2ELNS1_3repE0EEENS1_30default_config_static_selectorELNS0_4arch9wavefront6targetE0EEEvT1_: ; @_ZN7rocprim17ROCPRIM_400000_NS6detail17trampoline_kernelINS0_14default_configENS1_25partition_config_selectorILNS1_17partition_subalgoE6EdNS0_10empty_typeEbEEZZNS1_14partition_implILS5_6ELb0ES3_mN6thrust23THRUST_200600_302600_NS6detail15normal_iteratorINSA_10device_ptrIdEEEEPS6_SG_NS0_5tupleIJSF_S6_EEENSH_IJSG_SG_EEES6_PlJNSB_9not_fun_tI7is_trueIdEEEEEE10hipError_tPvRmT3_T4_T5_T6_T7_T9_mT8_P12ihipStream_tbDpT10_ENKUlT_T0_E_clISt17integral_constantIbLb0EES17_IbLb1EEEEDaS13_S14_EUlS13_E_NS1_11comp_targetILNS1_3genE8ELNS1_11target_archE1030ELNS1_3gpuE2ELNS1_3repE0EEENS1_30default_config_static_selectorELNS0_4arch9wavefront6targetE0EEEvT1_
; %bb.0:
	.section	.rodata,"a",@progbits
	.p2align	6, 0x0
	.amdhsa_kernel _ZN7rocprim17ROCPRIM_400000_NS6detail17trampoline_kernelINS0_14default_configENS1_25partition_config_selectorILNS1_17partition_subalgoE6EdNS0_10empty_typeEbEEZZNS1_14partition_implILS5_6ELb0ES3_mN6thrust23THRUST_200600_302600_NS6detail15normal_iteratorINSA_10device_ptrIdEEEEPS6_SG_NS0_5tupleIJSF_S6_EEENSH_IJSG_SG_EEES6_PlJNSB_9not_fun_tI7is_trueIdEEEEEE10hipError_tPvRmT3_T4_T5_T6_T7_T9_mT8_P12ihipStream_tbDpT10_ENKUlT_T0_E_clISt17integral_constantIbLb0EES17_IbLb1EEEEDaS13_S14_EUlS13_E_NS1_11comp_targetILNS1_3genE8ELNS1_11target_archE1030ELNS1_3gpuE2ELNS1_3repE0EEENS1_30default_config_static_selectorELNS0_4arch9wavefront6targetE0EEEvT1_
		.amdhsa_group_segment_fixed_size 0
		.amdhsa_private_segment_fixed_size 0
		.amdhsa_kernarg_size 128
		.amdhsa_user_sgpr_count 2
		.amdhsa_user_sgpr_dispatch_ptr 0
		.amdhsa_user_sgpr_queue_ptr 0
		.amdhsa_user_sgpr_kernarg_segment_ptr 1
		.amdhsa_user_sgpr_dispatch_id 0
		.amdhsa_user_sgpr_private_segment_size 0
		.amdhsa_wavefront_size32 1
		.amdhsa_uses_dynamic_stack 0
		.amdhsa_enable_private_segment 0
		.amdhsa_system_sgpr_workgroup_id_x 1
		.amdhsa_system_sgpr_workgroup_id_y 0
		.amdhsa_system_sgpr_workgroup_id_z 0
		.amdhsa_system_sgpr_workgroup_info 0
		.amdhsa_system_vgpr_workitem_id 0
		.amdhsa_next_free_vgpr 1
		.amdhsa_next_free_sgpr 1
		.amdhsa_reserve_vcc 0
		.amdhsa_float_round_mode_32 0
		.amdhsa_float_round_mode_16_64 0
		.amdhsa_float_denorm_mode_32 3
		.amdhsa_float_denorm_mode_16_64 3
		.amdhsa_fp16_overflow 0
		.amdhsa_workgroup_processor_mode 1
		.amdhsa_memory_ordered 1
		.amdhsa_forward_progress 1
		.amdhsa_inst_pref_size 0
		.amdhsa_round_robin_scheduling 0
		.amdhsa_exception_fp_ieee_invalid_op 0
		.amdhsa_exception_fp_denorm_src 0
		.amdhsa_exception_fp_ieee_div_zero 0
		.amdhsa_exception_fp_ieee_overflow 0
		.amdhsa_exception_fp_ieee_underflow 0
		.amdhsa_exception_fp_ieee_inexact 0
		.amdhsa_exception_int_div_zero 0
	.end_amdhsa_kernel
	.section	.text._ZN7rocprim17ROCPRIM_400000_NS6detail17trampoline_kernelINS0_14default_configENS1_25partition_config_selectorILNS1_17partition_subalgoE6EdNS0_10empty_typeEbEEZZNS1_14partition_implILS5_6ELb0ES3_mN6thrust23THRUST_200600_302600_NS6detail15normal_iteratorINSA_10device_ptrIdEEEEPS6_SG_NS0_5tupleIJSF_S6_EEENSH_IJSG_SG_EEES6_PlJNSB_9not_fun_tI7is_trueIdEEEEEE10hipError_tPvRmT3_T4_T5_T6_T7_T9_mT8_P12ihipStream_tbDpT10_ENKUlT_T0_E_clISt17integral_constantIbLb0EES17_IbLb1EEEEDaS13_S14_EUlS13_E_NS1_11comp_targetILNS1_3genE8ELNS1_11target_archE1030ELNS1_3gpuE2ELNS1_3repE0EEENS1_30default_config_static_selectorELNS0_4arch9wavefront6targetE0EEEvT1_,"axG",@progbits,_ZN7rocprim17ROCPRIM_400000_NS6detail17trampoline_kernelINS0_14default_configENS1_25partition_config_selectorILNS1_17partition_subalgoE6EdNS0_10empty_typeEbEEZZNS1_14partition_implILS5_6ELb0ES3_mN6thrust23THRUST_200600_302600_NS6detail15normal_iteratorINSA_10device_ptrIdEEEEPS6_SG_NS0_5tupleIJSF_S6_EEENSH_IJSG_SG_EEES6_PlJNSB_9not_fun_tI7is_trueIdEEEEEE10hipError_tPvRmT3_T4_T5_T6_T7_T9_mT8_P12ihipStream_tbDpT10_ENKUlT_T0_E_clISt17integral_constantIbLb0EES17_IbLb1EEEEDaS13_S14_EUlS13_E_NS1_11comp_targetILNS1_3genE8ELNS1_11target_archE1030ELNS1_3gpuE2ELNS1_3repE0EEENS1_30default_config_static_selectorELNS0_4arch9wavefront6targetE0EEEvT1_,comdat
.Lfunc_end1076:
	.size	_ZN7rocprim17ROCPRIM_400000_NS6detail17trampoline_kernelINS0_14default_configENS1_25partition_config_selectorILNS1_17partition_subalgoE6EdNS0_10empty_typeEbEEZZNS1_14partition_implILS5_6ELb0ES3_mN6thrust23THRUST_200600_302600_NS6detail15normal_iteratorINSA_10device_ptrIdEEEEPS6_SG_NS0_5tupleIJSF_S6_EEENSH_IJSG_SG_EEES6_PlJNSB_9not_fun_tI7is_trueIdEEEEEE10hipError_tPvRmT3_T4_T5_T6_T7_T9_mT8_P12ihipStream_tbDpT10_ENKUlT_T0_E_clISt17integral_constantIbLb0EES17_IbLb1EEEEDaS13_S14_EUlS13_E_NS1_11comp_targetILNS1_3genE8ELNS1_11target_archE1030ELNS1_3gpuE2ELNS1_3repE0EEENS1_30default_config_static_selectorELNS0_4arch9wavefront6targetE0EEEvT1_, .Lfunc_end1076-_ZN7rocprim17ROCPRIM_400000_NS6detail17trampoline_kernelINS0_14default_configENS1_25partition_config_selectorILNS1_17partition_subalgoE6EdNS0_10empty_typeEbEEZZNS1_14partition_implILS5_6ELb0ES3_mN6thrust23THRUST_200600_302600_NS6detail15normal_iteratorINSA_10device_ptrIdEEEEPS6_SG_NS0_5tupleIJSF_S6_EEENSH_IJSG_SG_EEES6_PlJNSB_9not_fun_tI7is_trueIdEEEEEE10hipError_tPvRmT3_T4_T5_T6_T7_T9_mT8_P12ihipStream_tbDpT10_ENKUlT_T0_E_clISt17integral_constantIbLb0EES17_IbLb1EEEEDaS13_S14_EUlS13_E_NS1_11comp_targetILNS1_3genE8ELNS1_11target_archE1030ELNS1_3gpuE2ELNS1_3repE0EEENS1_30default_config_static_selectorELNS0_4arch9wavefront6targetE0EEEvT1_
                                        ; -- End function
	.set _ZN7rocprim17ROCPRIM_400000_NS6detail17trampoline_kernelINS0_14default_configENS1_25partition_config_selectorILNS1_17partition_subalgoE6EdNS0_10empty_typeEbEEZZNS1_14partition_implILS5_6ELb0ES3_mN6thrust23THRUST_200600_302600_NS6detail15normal_iteratorINSA_10device_ptrIdEEEEPS6_SG_NS0_5tupleIJSF_S6_EEENSH_IJSG_SG_EEES6_PlJNSB_9not_fun_tI7is_trueIdEEEEEE10hipError_tPvRmT3_T4_T5_T6_T7_T9_mT8_P12ihipStream_tbDpT10_ENKUlT_T0_E_clISt17integral_constantIbLb0EES17_IbLb1EEEEDaS13_S14_EUlS13_E_NS1_11comp_targetILNS1_3genE8ELNS1_11target_archE1030ELNS1_3gpuE2ELNS1_3repE0EEENS1_30default_config_static_selectorELNS0_4arch9wavefront6targetE0EEEvT1_.num_vgpr, 0
	.set _ZN7rocprim17ROCPRIM_400000_NS6detail17trampoline_kernelINS0_14default_configENS1_25partition_config_selectorILNS1_17partition_subalgoE6EdNS0_10empty_typeEbEEZZNS1_14partition_implILS5_6ELb0ES3_mN6thrust23THRUST_200600_302600_NS6detail15normal_iteratorINSA_10device_ptrIdEEEEPS6_SG_NS0_5tupleIJSF_S6_EEENSH_IJSG_SG_EEES6_PlJNSB_9not_fun_tI7is_trueIdEEEEEE10hipError_tPvRmT3_T4_T5_T6_T7_T9_mT8_P12ihipStream_tbDpT10_ENKUlT_T0_E_clISt17integral_constantIbLb0EES17_IbLb1EEEEDaS13_S14_EUlS13_E_NS1_11comp_targetILNS1_3genE8ELNS1_11target_archE1030ELNS1_3gpuE2ELNS1_3repE0EEENS1_30default_config_static_selectorELNS0_4arch9wavefront6targetE0EEEvT1_.num_agpr, 0
	.set _ZN7rocprim17ROCPRIM_400000_NS6detail17trampoline_kernelINS0_14default_configENS1_25partition_config_selectorILNS1_17partition_subalgoE6EdNS0_10empty_typeEbEEZZNS1_14partition_implILS5_6ELb0ES3_mN6thrust23THRUST_200600_302600_NS6detail15normal_iteratorINSA_10device_ptrIdEEEEPS6_SG_NS0_5tupleIJSF_S6_EEENSH_IJSG_SG_EEES6_PlJNSB_9not_fun_tI7is_trueIdEEEEEE10hipError_tPvRmT3_T4_T5_T6_T7_T9_mT8_P12ihipStream_tbDpT10_ENKUlT_T0_E_clISt17integral_constantIbLb0EES17_IbLb1EEEEDaS13_S14_EUlS13_E_NS1_11comp_targetILNS1_3genE8ELNS1_11target_archE1030ELNS1_3gpuE2ELNS1_3repE0EEENS1_30default_config_static_selectorELNS0_4arch9wavefront6targetE0EEEvT1_.numbered_sgpr, 0
	.set _ZN7rocprim17ROCPRIM_400000_NS6detail17trampoline_kernelINS0_14default_configENS1_25partition_config_selectorILNS1_17partition_subalgoE6EdNS0_10empty_typeEbEEZZNS1_14partition_implILS5_6ELb0ES3_mN6thrust23THRUST_200600_302600_NS6detail15normal_iteratorINSA_10device_ptrIdEEEEPS6_SG_NS0_5tupleIJSF_S6_EEENSH_IJSG_SG_EEES6_PlJNSB_9not_fun_tI7is_trueIdEEEEEE10hipError_tPvRmT3_T4_T5_T6_T7_T9_mT8_P12ihipStream_tbDpT10_ENKUlT_T0_E_clISt17integral_constantIbLb0EES17_IbLb1EEEEDaS13_S14_EUlS13_E_NS1_11comp_targetILNS1_3genE8ELNS1_11target_archE1030ELNS1_3gpuE2ELNS1_3repE0EEENS1_30default_config_static_selectorELNS0_4arch9wavefront6targetE0EEEvT1_.num_named_barrier, 0
	.set _ZN7rocprim17ROCPRIM_400000_NS6detail17trampoline_kernelINS0_14default_configENS1_25partition_config_selectorILNS1_17partition_subalgoE6EdNS0_10empty_typeEbEEZZNS1_14partition_implILS5_6ELb0ES3_mN6thrust23THRUST_200600_302600_NS6detail15normal_iteratorINSA_10device_ptrIdEEEEPS6_SG_NS0_5tupleIJSF_S6_EEENSH_IJSG_SG_EEES6_PlJNSB_9not_fun_tI7is_trueIdEEEEEE10hipError_tPvRmT3_T4_T5_T6_T7_T9_mT8_P12ihipStream_tbDpT10_ENKUlT_T0_E_clISt17integral_constantIbLb0EES17_IbLb1EEEEDaS13_S14_EUlS13_E_NS1_11comp_targetILNS1_3genE8ELNS1_11target_archE1030ELNS1_3gpuE2ELNS1_3repE0EEENS1_30default_config_static_selectorELNS0_4arch9wavefront6targetE0EEEvT1_.private_seg_size, 0
	.set _ZN7rocprim17ROCPRIM_400000_NS6detail17trampoline_kernelINS0_14default_configENS1_25partition_config_selectorILNS1_17partition_subalgoE6EdNS0_10empty_typeEbEEZZNS1_14partition_implILS5_6ELb0ES3_mN6thrust23THRUST_200600_302600_NS6detail15normal_iteratorINSA_10device_ptrIdEEEEPS6_SG_NS0_5tupleIJSF_S6_EEENSH_IJSG_SG_EEES6_PlJNSB_9not_fun_tI7is_trueIdEEEEEE10hipError_tPvRmT3_T4_T5_T6_T7_T9_mT8_P12ihipStream_tbDpT10_ENKUlT_T0_E_clISt17integral_constantIbLb0EES17_IbLb1EEEEDaS13_S14_EUlS13_E_NS1_11comp_targetILNS1_3genE8ELNS1_11target_archE1030ELNS1_3gpuE2ELNS1_3repE0EEENS1_30default_config_static_selectorELNS0_4arch9wavefront6targetE0EEEvT1_.uses_vcc, 0
	.set _ZN7rocprim17ROCPRIM_400000_NS6detail17trampoline_kernelINS0_14default_configENS1_25partition_config_selectorILNS1_17partition_subalgoE6EdNS0_10empty_typeEbEEZZNS1_14partition_implILS5_6ELb0ES3_mN6thrust23THRUST_200600_302600_NS6detail15normal_iteratorINSA_10device_ptrIdEEEEPS6_SG_NS0_5tupleIJSF_S6_EEENSH_IJSG_SG_EEES6_PlJNSB_9not_fun_tI7is_trueIdEEEEEE10hipError_tPvRmT3_T4_T5_T6_T7_T9_mT8_P12ihipStream_tbDpT10_ENKUlT_T0_E_clISt17integral_constantIbLb0EES17_IbLb1EEEEDaS13_S14_EUlS13_E_NS1_11comp_targetILNS1_3genE8ELNS1_11target_archE1030ELNS1_3gpuE2ELNS1_3repE0EEENS1_30default_config_static_selectorELNS0_4arch9wavefront6targetE0EEEvT1_.uses_flat_scratch, 0
	.set _ZN7rocprim17ROCPRIM_400000_NS6detail17trampoline_kernelINS0_14default_configENS1_25partition_config_selectorILNS1_17partition_subalgoE6EdNS0_10empty_typeEbEEZZNS1_14partition_implILS5_6ELb0ES3_mN6thrust23THRUST_200600_302600_NS6detail15normal_iteratorINSA_10device_ptrIdEEEEPS6_SG_NS0_5tupleIJSF_S6_EEENSH_IJSG_SG_EEES6_PlJNSB_9not_fun_tI7is_trueIdEEEEEE10hipError_tPvRmT3_T4_T5_T6_T7_T9_mT8_P12ihipStream_tbDpT10_ENKUlT_T0_E_clISt17integral_constantIbLb0EES17_IbLb1EEEEDaS13_S14_EUlS13_E_NS1_11comp_targetILNS1_3genE8ELNS1_11target_archE1030ELNS1_3gpuE2ELNS1_3repE0EEENS1_30default_config_static_selectorELNS0_4arch9wavefront6targetE0EEEvT1_.has_dyn_sized_stack, 0
	.set _ZN7rocprim17ROCPRIM_400000_NS6detail17trampoline_kernelINS0_14default_configENS1_25partition_config_selectorILNS1_17partition_subalgoE6EdNS0_10empty_typeEbEEZZNS1_14partition_implILS5_6ELb0ES3_mN6thrust23THRUST_200600_302600_NS6detail15normal_iteratorINSA_10device_ptrIdEEEEPS6_SG_NS0_5tupleIJSF_S6_EEENSH_IJSG_SG_EEES6_PlJNSB_9not_fun_tI7is_trueIdEEEEEE10hipError_tPvRmT3_T4_T5_T6_T7_T9_mT8_P12ihipStream_tbDpT10_ENKUlT_T0_E_clISt17integral_constantIbLb0EES17_IbLb1EEEEDaS13_S14_EUlS13_E_NS1_11comp_targetILNS1_3genE8ELNS1_11target_archE1030ELNS1_3gpuE2ELNS1_3repE0EEENS1_30default_config_static_selectorELNS0_4arch9wavefront6targetE0EEEvT1_.has_recursion, 0
	.set _ZN7rocprim17ROCPRIM_400000_NS6detail17trampoline_kernelINS0_14default_configENS1_25partition_config_selectorILNS1_17partition_subalgoE6EdNS0_10empty_typeEbEEZZNS1_14partition_implILS5_6ELb0ES3_mN6thrust23THRUST_200600_302600_NS6detail15normal_iteratorINSA_10device_ptrIdEEEEPS6_SG_NS0_5tupleIJSF_S6_EEENSH_IJSG_SG_EEES6_PlJNSB_9not_fun_tI7is_trueIdEEEEEE10hipError_tPvRmT3_T4_T5_T6_T7_T9_mT8_P12ihipStream_tbDpT10_ENKUlT_T0_E_clISt17integral_constantIbLb0EES17_IbLb1EEEEDaS13_S14_EUlS13_E_NS1_11comp_targetILNS1_3genE8ELNS1_11target_archE1030ELNS1_3gpuE2ELNS1_3repE0EEENS1_30default_config_static_selectorELNS0_4arch9wavefront6targetE0EEEvT1_.has_indirect_call, 0
	.section	.AMDGPU.csdata,"",@progbits
; Kernel info:
; codeLenInByte = 0
; TotalNumSgprs: 0
; NumVgprs: 0
; ScratchSize: 0
; MemoryBound: 0
; FloatMode: 240
; IeeeMode: 1
; LDSByteSize: 0 bytes/workgroup (compile time only)
; SGPRBlocks: 0
; VGPRBlocks: 0
; NumSGPRsForWavesPerEU: 1
; NumVGPRsForWavesPerEU: 1
; Occupancy: 16
; WaveLimiterHint : 0
; COMPUTE_PGM_RSRC2:SCRATCH_EN: 0
; COMPUTE_PGM_RSRC2:USER_SGPR: 2
; COMPUTE_PGM_RSRC2:TRAP_HANDLER: 0
; COMPUTE_PGM_RSRC2:TGID_X_EN: 1
; COMPUTE_PGM_RSRC2:TGID_Y_EN: 0
; COMPUTE_PGM_RSRC2:TGID_Z_EN: 0
; COMPUTE_PGM_RSRC2:TIDIG_COMP_CNT: 0
	.section	.text._ZN7rocprim17ROCPRIM_400000_NS6detail17trampoline_kernelINS0_14default_configENS1_25partition_config_selectorILNS1_17partition_subalgoE6EfNS0_10empty_typeEbEEZZNS1_14partition_implILS5_6ELb0ES3_mN6thrust23THRUST_200600_302600_NS6detail15normal_iteratorINSA_10device_ptrIfEEEEPS6_SG_NS0_5tupleIJSF_S6_EEENSH_IJSG_SG_EEES6_PlJNSB_9not_fun_tI7is_trueIfEEEEEE10hipError_tPvRmT3_T4_T5_T6_T7_T9_mT8_P12ihipStream_tbDpT10_ENKUlT_T0_E_clISt17integral_constantIbLb0EES18_EEDaS13_S14_EUlS13_E_NS1_11comp_targetILNS1_3genE0ELNS1_11target_archE4294967295ELNS1_3gpuE0ELNS1_3repE0EEENS1_30default_config_static_selectorELNS0_4arch9wavefront6targetE0EEEvT1_,"axG",@progbits,_ZN7rocprim17ROCPRIM_400000_NS6detail17trampoline_kernelINS0_14default_configENS1_25partition_config_selectorILNS1_17partition_subalgoE6EfNS0_10empty_typeEbEEZZNS1_14partition_implILS5_6ELb0ES3_mN6thrust23THRUST_200600_302600_NS6detail15normal_iteratorINSA_10device_ptrIfEEEEPS6_SG_NS0_5tupleIJSF_S6_EEENSH_IJSG_SG_EEES6_PlJNSB_9not_fun_tI7is_trueIfEEEEEE10hipError_tPvRmT3_T4_T5_T6_T7_T9_mT8_P12ihipStream_tbDpT10_ENKUlT_T0_E_clISt17integral_constantIbLb0EES18_EEDaS13_S14_EUlS13_E_NS1_11comp_targetILNS1_3genE0ELNS1_11target_archE4294967295ELNS1_3gpuE0ELNS1_3repE0EEENS1_30default_config_static_selectorELNS0_4arch9wavefront6targetE0EEEvT1_,comdat
	.protected	_ZN7rocprim17ROCPRIM_400000_NS6detail17trampoline_kernelINS0_14default_configENS1_25partition_config_selectorILNS1_17partition_subalgoE6EfNS0_10empty_typeEbEEZZNS1_14partition_implILS5_6ELb0ES3_mN6thrust23THRUST_200600_302600_NS6detail15normal_iteratorINSA_10device_ptrIfEEEEPS6_SG_NS0_5tupleIJSF_S6_EEENSH_IJSG_SG_EEES6_PlJNSB_9not_fun_tI7is_trueIfEEEEEE10hipError_tPvRmT3_T4_T5_T6_T7_T9_mT8_P12ihipStream_tbDpT10_ENKUlT_T0_E_clISt17integral_constantIbLb0EES18_EEDaS13_S14_EUlS13_E_NS1_11comp_targetILNS1_3genE0ELNS1_11target_archE4294967295ELNS1_3gpuE0ELNS1_3repE0EEENS1_30default_config_static_selectorELNS0_4arch9wavefront6targetE0EEEvT1_ ; -- Begin function _ZN7rocprim17ROCPRIM_400000_NS6detail17trampoline_kernelINS0_14default_configENS1_25partition_config_selectorILNS1_17partition_subalgoE6EfNS0_10empty_typeEbEEZZNS1_14partition_implILS5_6ELb0ES3_mN6thrust23THRUST_200600_302600_NS6detail15normal_iteratorINSA_10device_ptrIfEEEEPS6_SG_NS0_5tupleIJSF_S6_EEENSH_IJSG_SG_EEES6_PlJNSB_9not_fun_tI7is_trueIfEEEEEE10hipError_tPvRmT3_T4_T5_T6_T7_T9_mT8_P12ihipStream_tbDpT10_ENKUlT_T0_E_clISt17integral_constantIbLb0EES18_EEDaS13_S14_EUlS13_E_NS1_11comp_targetILNS1_3genE0ELNS1_11target_archE4294967295ELNS1_3gpuE0ELNS1_3repE0EEENS1_30default_config_static_selectorELNS0_4arch9wavefront6targetE0EEEvT1_
	.globl	_ZN7rocprim17ROCPRIM_400000_NS6detail17trampoline_kernelINS0_14default_configENS1_25partition_config_selectorILNS1_17partition_subalgoE6EfNS0_10empty_typeEbEEZZNS1_14partition_implILS5_6ELb0ES3_mN6thrust23THRUST_200600_302600_NS6detail15normal_iteratorINSA_10device_ptrIfEEEEPS6_SG_NS0_5tupleIJSF_S6_EEENSH_IJSG_SG_EEES6_PlJNSB_9not_fun_tI7is_trueIfEEEEEE10hipError_tPvRmT3_T4_T5_T6_T7_T9_mT8_P12ihipStream_tbDpT10_ENKUlT_T0_E_clISt17integral_constantIbLb0EES18_EEDaS13_S14_EUlS13_E_NS1_11comp_targetILNS1_3genE0ELNS1_11target_archE4294967295ELNS1_3gpuE0ELNS1_3repE0EEENS1_30default_config_static_selectorELNS0_4arch9wavefront6targetE0EEEvT1_
	.p2align	8
	.type	_ZN7rocprim17ROCPRIM_400000_NS6detail17trampoline_kernelINS0_14default_configENS1_25partition_config_selectorILNS1_17partition_subalgoE6EfNS0_10empty_typeEbEEZZNS1_14partition_implILS5_6ELb0ES3_mN6thrust23THRUST_200600_302600_NS6detail15normal_iteratorINSA_10device_ptrIfEEEEPS6_SG_NS0_5tupleIJSF_S6_EEENSH_IJSG_SG_EEES6_PlJNSB_9not_fun_tI7is_trueIfEEEEEE10hipError_tPvRmT3_T4_T5_T6_T7_T9_mT8_P12ihipStream_tbDpT10_ENKUlT_T0_E_clISt17integral_constantIbLb0EES18_EEDaS13_S14_EUlS13_E_NS1_11comp_targetILNS1_3genE0ELNS1_11target_archE4294967295ELNS1_3gpuE0ELNS1_3repE0EEENS1_30default_config_static_selectorELNS0_4arch9wavefront6targetE0EEEvT1_,@function
_ZN7rocprim17ROCPRIM_400000_NS6detail17trampoline_kernelINS0_14default_configENS1_25partition_config_selectorILNS1_17partition_subalgoE6EfNS0_10empty_typeEbEEZZNS1_14partition_implILS5_6ELb0ES3_mN6thrust23THRUST_200600_302600_NS6detail15normal_iteratorINSA_10device_ptrIfEEEEPS6_SG_NS0_5tupleIJSF_S6_EEENSH_IJSG_SG_EEES6_PlJNSB_9not_fun_tI7is_trueIfEEEEEE10hipError_tPvRmT3_T4_T5_T6_T7_T9_mT8_P12ihipStream_tbDpT10_ENKUlT_T0_E_clISt17integral_constantIbLb0EES18_EEDaS13_S14_EUlS13_E_NS1_11comp_targetILNS1_3genE0ELNS1_11target_archE4294967295ELNS1_3gpuE0ELNS1_3repE0EEENS1_30default_config_static_selectorELNS0_4arch9wavefront6targetE0EEEvT1_: ; @_ZN7rocprim17ROCPRIM_400000_NS6detail17trampoline_kernelINS0_14default_configENS1_25partition_config_selectorILNS1_17partition_subalgoE6EfNS0_10empty_typeEbEEZZNS1_14partition_implILS5_6ELb0ES3_mN6thrust23THRUST_200600_302600_NS6detail15normal_iteratorINSA_10device_ptrIfEEEEPS6_SG_NS0_5tupleIJSF_S6_EEENSH_IJSG_SG_EEES6_PlJNSB_9not_fun_tI7is_trueIfEEEEEE10hipError_tPvRmT3_T4_T5_T6_T7_T9_mT8_P12ihipStream_tbDpT10_ENKUlT_T0_E_clISt17integral_constantIbLb0EES18_EEDaS13_S14_EUlS13_E_NS1_11comp_targetILNS1_3genE0ELNS1_11target_archE4294967295ELNS1_3gpuE0ELNS1_3repE0EEENS1_30default_config_static_selectorELNS0_4arch9wavefront6targetE0EEEvT1_
; %bb.0:
	.section	.rodata,"a",@progbits
	.p2align	6, 0x0
	.amdhsa_kernel _ZN7rocprim17ROCPRIM_400000_NS6detail17trampoline_kernelINS0_14default_configENS1_25partition_config_selectorILNS1_17partition_subalgoE6EfNS0_10empty_typeEbEEZZNS1_14partition_implILS5_6ELb0ES3_mN6thrust23THRUST_200600_302600_NS6detail15normal_iteratorINSA_10device_ptrIfEEEEPS6_SG_NS0_5tupleIJSF_S6_EEENSH_IJSG_SG_EEES6_PlJNSB_9not_fun_tI7is_trueIfEEEEEE10hipError_tPvRmT3_T4_T5_T6_T7_T9_mT8_P12ihipStream_tbDpT10_ENKUlT_T0_E_clISt17integral_constantIbLb0EES18_EEDaS13_S14_EUlS13_E_NS1_11comp_targetILNS1_3genE0ELNS1_11target_archE4294967295ELNS1_3gpuE0ELNS1_3repE0EEENS1_30default_config_static_selectorELNS0_4arch9wavefront6targetE0EEEvT1_
		.amdhsa_group_segment_fixed_size 0
		.amdhsa_private_segment_fixed_size 0
		.amdhsa_kernarg_size 112
		.amdhsa_user_sgpr_count 2
		.amdhsa_user_sgpr_dispatch_ptr 0
		.amdhsa_user_sgpr_queue_ptr 0
		.amdhsa_user_sgpr_kernarg_segment_ptr 1
		.amdhsa_user_sgpr_dispatch_id 0
		.amdhsa_user_sgpr_private_segment_size 0
		.amdhsa_wavefront_size32 1
		.amdhsa_uses_dynamic_stack 0
		.amdhsa_enable_private_segment 0
		.amdhsa_system_sgpr_workgroup_id_x 1
		.amdhsa_system_sgpr_workgroup_id_y 0
		.amdhsa_system_sgpr_workgroup_id_z 0
		.amdhsa_system_sgpr_workgroup_info 0
		.amdhsa_system_vgpr_workitem_id 0
		.amdhsa_next_free_vgpr 1
		.amdhsa_next_free_sgpr 1
		.amdhsa_reserve_vcc 0
		.amdhsa_float_round_mode_32 0
		.amdhsa_float_round_mode_16_64 0
		.amdhsa_float_denorm_mode_32 3
		.amdhsa_float_denorm_mode_16_64 3
		.amdhsa_fp16_overflow 0
		.amdhsa_workgroup_processor_mode 1
		.amdhsa_memory_ordered 1
		.amdhsa_forward_progress 1
		.amdhsa_inst_pref_size 0
		.amdhsa_round_robin_scheduling 0
		.amdhsa_exception_fp_ieee_invalid_op 0
		.amdhsa_exception_fp_denorm_src 0
		.amdhsa_exception_fp_ieee_div_zero 0
		.amdhsa_exception_fp_ieee_overflow 0
		.amdhsa_exception_fp_ieee_underflow 0
		.amdhsa_exception_fp_ieee_inexact 0
		.amdhsa_exception_int_div_zero 0
	.end_amdhsa_kernel
	.section	.text._ZN7rocprim17ROCPRIM_400000_NS6detail17trampoline_kernelINS0_14default_configENS1_25partition_config_selectorILNS1_17partition_subalgoE6EfNS0_10empty_typeEbEEZZNS1_14partition_implILS5_6ELb0ES3_mN6thrust23THRUST_200600_302600_NS6detail15normal_iteratorINSA_10device_ptrIfEEEEPS6_SG_NS0_5tupleIJSF_S6_EEENSH_IJSG_SG_EEES6_PlJNSB_9not_fun_tI7is_trueIfEEEEEE10hipError_tPvRmT3_T4_T5_T6_T7_T9_mT8_P12ihipStream_tbDpT10_ENKUlT_T0_E_clISt17integral_constantIbLb0EES18_EEDaS13_S14_EUlS13_E_NS1_11comp_targetILNS1_3genE0ELNS1_11target_archE4294967295ELNS1_3gpuE0ELNS1_3repE0EEENS1_30default_config_static_selectorELNS0_4arch9wavefront6targetE0EEEvT1_,"axG",@progbits,_ZN7rocprim17ROCPRIM_400000_NS6detail17trampoline_kernelINS0_14default_configENS1_25partition_config_selectorILNS1_17partition_subalgoE6EfNS0_10empty_typeEbEEZZNS1_14partition_implILS5_6ELb0ES3_mN6thrust23THRUST_200600_302600_NS6detail15normal_iteratorINSA_10device_ptrIfEEEEPS6_SG_NS0_5tupleIJSF_S6_EEENSH_IJSG_SG_EEES6_PlJNSB_9not_fun_tI7is_trueIfEEEEEE10hipError_tPvRmT3_T4_T5_T6_T7_T9_mT8_P12ihipStream_tbDpT10_ENKUlT_T0_E_clISt17integral_constantIbLb0EES18_EEDaS13_S14_EUlS13_E_NS1_11comp_targetILNS1_3genE0ELNS1_11target_archE4294967295ELNS1_3gpuE0ELNS1_3repE0EEENS1_30default_config_static_selectorELNS0_4arch9wavefront6targetE0EEEvT1_,comdat
.Lfunc_end1077:
	.size	_ZN7rocprim17ROCPRIM_400000_NS6detail17trampoline_kernelINS0_14default_configENS1_25partition_config_selectorILNS1_17partition_subalgoE6EfNS0_10empty_typeEbEEZZNS1_14partition_implILS5_6ELb0ES3_mN6thrust23THRUST_200600_302600_NS6detail15normal_iteratorINSA_10device_ptrIfEEEEPS6_SG_NS0_5tupleIJSF_S6_EEENSH_IJSG_SG_EEES6_PlJNSB_9not_fun_tI7is_trueIfEEEEEE10hipError_tPvRmT3_T4_T5_T6_T7_T9_mT8_P12ihipStream_tbDpT10_ENKUlT_T0_E_clISt17integral_constantIbLb0EES18_EEDaS13_S14_EUlS13_E_NS1_11comp_targetILNS1_3genE0ELNS1_11target_archE4294967295ELNS1_3gpuE0ELNS1_3repE0EEENS1_30default_config_static_selectorELNS0_4arch9wavefront6targetE0EEEvT1_, .Lfunc_end1077-_ZN7rocprim17ROCPRIM_400000_NS6detail17trampoline_kernelINS0_14default_configENS1_25partition_config_selectorILNS1_17partition_subalgoE6EfNS0_10empty_typeEbEEZZNS1_14partition_implILS5_6ELb0ES3_mN6thrust23THRUST_200600_302600_NS6detail15normal_iteratorINSA_10device_ptrIfEEEEPS6_SG_NS0_5tupleIJSF_S6_EEENSH_IJSG_SG_EEES6_PlJNSB_9not_fun_tI7is_trueIfEEEEEE10hipError_tPvRmT3_T4_T5_T6_T7_T9_mT8_P12ihipStream_tbDpT10_ENKUlT_T0_E_clISt17integral_constantIbLb0EES18_EEDaS13_S14_EUlS13_E_NS1_11comp_targetILNS1_3genE0ELNS1_11target_archE4294967295ELNS1_3gpuE0ELNS1_3repE0EEENS1_30default_config_static_selectorELNS0_4arch9wavefront6targetE0EEEvT1_
                                        ; -- End function
	.set _ZN7rocprim17ROCPRIM_400000_NS6detail17trampoline_kernelINS0_14default_configENS1_25partition_config_selectorILNS1_17partition_subalgoE6EfNS0_10empty_typeEbEEZZNS1_14partition_implILS5_6ELb0ES3_mN6thrust23THRUST_200600_302600_NS6detail15normal_iteratorINSA_10device_ptrIfEEEEPS6_SG_NS0_5tupleIJSF_S6_EEENSH_IJSG_SG_EEES6_PlJNSB_9not_fun_tI7is_trueIfEEEEEE10hipError_tPvRmT3_T4_T5_T6_T7_T9_mT8_P12ihipStream_tbDpT10_ENKUlT_T0_E_clISt17integral_constantIbLb0EES18_EEDaS13_S14_EUlS13_E_NS1_11comp_targetILNS1_3genE0ELNS1_11target_archE4294967295ELNS1_3gpuE0ELNS1_3repE0EEENS1_30default_config_static_selectorELNS0_4arch9wavefront6targetE0EEEvT1_.num_vgpr, 0
	.set _ZN7rocprim17ROCPRIM_400000_NS6detail17trampoline_kernelINS0_14default_configENS1_25partition_config_selectorILNS1_17partition_subalgoE6EfNS0_10empty_typeEbEEZZNS1_14partition_implILS5_6ELb0ES3_mN6thrust23THRUST_200600_302600_NS6detail15normal_iteratorINSA_10device_ptrIfEEEEPS6_SG_NS0_5tupleIJSF_S6_EEENSH_IJSG_SG_EEES6_PlJNSB_9not_fun_tI7is_trueIfEEEEEE10hipError_tPvRmT3_T4_T5_T6_T7_T9_mT8_P12ihipStream_tbDpT10_ENKUlT_T0_E_clISt17integral_constantIbLb0EES18_EEDaS13_S14_EUlS13_E_NS1_11comp_targetILNS1_3genE0ELNS1_11target_archE4294967295ELNS1_3gpuE0ELNS1_3repE0EEENS1_30default_config_static_selectorELNS0_4arch9wavefront6targetE0EEEvT1_.num_agpr, 0
	.set _ZN7rocprim17ROCPRIM_400000_NS6detail17trampoline_kernelINS0_14default_configENS1_25partition_config_selectorILNS1_17partition_subalgoE6EfNS0_10empty_typeEbEEZZNS1_14partition_implILS5_6ELb0ES3_mN6thrust23THRUST_200600_302600_NS6detail15normal_iteratorINSA_10device_ptrIfEEEEPS6_SG_NS0_5tupleIJSF_S6_EEENSH_IJSG_SG_EEES6_PlJNSB_9not_fun_tI7is_trueIfEEEEEE10hipError_tPvRmT3_T4_T5_T6_T7_T9_mT8_P12ihipStream_tbDpT10_ENKUlT_T0_E_clISt17integral_constantIbLb0EES18_EEDaS13_S14_EUlS13_E_NS1_11comp_targetILNS1_3genE0ELNS1_11target_archE4294967295ELNS1_3gpuE0ELNS1_3repE0EEENS1_30default_config_static_selectorELNS0_4arch9wavefront6targetE0EEEvT1_.numbered_sgpr, 0
	.set _ZN7rocprim17ROCPRIM_400000_NS6detail17trampoline_kernelINS0_14default_configENS1_25partition_config_selectorILNS1_17partition_subalgoE6EfNS0_10empty_typeEbEEZZNS1_14partition_implILS5_6ELb0ES3_mN6thrust23THRUST_200600_302600_NS6detail15normal_iteratorINSA_10device_ptrIfEEEEPS6_SG_NS0_5tupleIJSF_S6_EEENSH_IJSG_SG_EEES6_PlJNSB_9not_fun_tI7is_trueIfEEEEEE10hipError_tPvRmT3_T4_T5_T6_T7_T9_mT8_P12ihipStream_tbDpT10_ENKUlT_T0_E_clISt17integral_constantIbLb0EES18_EEDaS13_S14_EUlS13_E_NS1_11comp_targetILNS1_3genE0ELNS1_11target_archE4294967295ELNS1_3gpuE0ELNS1_3repE0EEENS1_30default_config_static_selectorELNS0_4arch9wavefront6targetE0EEEvT1_.num_named_barrier, 0
	.set _ZN7rocprim17ROCPRIM_400000_NS6detail17trampoline_kernelINS0_14default_configENS1_25partition_config_selectorILNS1_17partition_subalgoE6EfNS0_10empty_typeEbEEZZNS1_14partition_implILS5_6ELb0ES3_mN6thrust23THRUST_200600_302600_NS6detail15normal_iteratorINSA_10device_ptrIfEEEEPS6_SG_NS0_5tupleIJSF_S6_EEENSH_IJSG_SG_EEES6_PlJNSB_9not_fun_tI7is_trueIfEEEEEE10hipError_tPvRmT3_T4_T5_T6_T7_T9_mT8_P12ihipStream_tbDpT10_ENKUlT_T0_E_clISt17integral_constantIbLb0EES18_EEDaS13_S14_EUlS13_E_NS1_11comp_targetILNS1_3genE0ELNS1_11target_archE4294967295ELNS1_3gpuE0ELNS1_3repE0EEENS1_30default_config_static_selectorELNS0_4arch9wavefront6targetE0EEEvT1_.private_seg_size, 0
	.set _ZN7rocprim17ROCPRIM_400000_NS6detail17trampoline_kernelINS0_14default_configENS1_25partition_config_selectorILNS1_17partition_subalgoE6EfNS0_10empty_typeEbEEZZNS1_14partition_implILS5_6ELb0ES3_mN6thrust23THRUST_200600_302600_NS6detail15normal_iteratorINSA_10device_ptrIfEEEEPS6_SG_NS0_5tupleIJSF_S6_EEENSH_IJSG_SG_EEES6_PlJNSB_9not_fun_tI7is_trueIfEEEEEE10hipError_tPvRmT3_T4_T5_T6_T7_T9_mT8_P12ihipStream_tbDpT10_ENKUlT_T0_E_clISt17integral_constantIbLb0EES18_EEDaS13_S14_EUlS13_E_NS1_11comp_targetILNS1_3genE0ELNS1_11target_archE4294967295ELNS1_3gpuE0ELNS1_3repE0EEENS1_30default_config_static_selectorELNS0_4arch9wavefront6targetE0EEEvT1_.uses_vcc, 0
	.set _ZN7rocprim17ROCPRIM_400000_NS6detail17trampoline_kernelINS0_14default_configENS1_25partition_config_selectorILNS1_17partition_subalgoE6EfNS0_10empty_typeEbEEZZNS1_14partition_implILS5_6ELb0ES3_mN6thrust23THRUST_200600_302600_NS6detail15normal_iteratorINSA_10device_ptrIfEEEEPS6_SG_NS0_5tupleIJSF_S6_EEENSH_IJSG_SG_EEES6_PlJNSB_9not_fun_tI7is_trueIfEEEEEE10hipError_tPvRmT3_T4_T5_T6_T7_T9_mT8_P12ihipStream_tbDpT10_ENKUlT_T0_E_clISt17integral_constantIbLb0EES18_EEDaS13_S14_EUlS13_E_NS1_11comp_targetILNS1_3genE0ELNS1_11target_archE4294967295ELNS1_3gpuE0ELNS1_3repE0EEENS1_30default_config_static_selectorELNS0_4arch9wavefront6targetE0EEEvT1_.uses_flat_scratch, 0
	.set _ZN7rocprim17ROCPRIM_400000_NS6detail17trampoline_kernelINS0_14default_configENS1_25partition_config_selectorILNS1_17partition_subalgoE6EfNS0_10empty_typeEbEEZZNS1_14partition_implILS5_6ELb0ES3_mN6thrust23THRUST_200600_302600_NS6detail15normal_iteratorINSA_10device_ptrIfEEEEPS6_SG_NS0_5tupleIJSF_S6_EEENSH_IJSG_SG_EEES6_PlJNSB_9not_fun_tI7is_trueIfEEEEEE10hipError_tPvRmT3_T4_T5_T6_T7_T9_mT8_P12ihipStream_tbDpT10_ENKUlT_T0_E_clISt17integral_constantIbLb0EES18_EEDaS13_S14_EUlS13_E_NS1_11comp_targetILNS1_3genE0ELNS1_11target_archE4294967295ELNS1_3gpuE0ELNS1_3repE0EEENS1_30default_config_static_selectorELNS0_4arch9wavefront6targetE0EEEvT1_.has_dyn_sized_stack, 0
	.set _ZN7rocprim17ROCPRIM_400000_NS6detail17trampoline_kernelINS0_14default_configENS1_25partition_config_selectorILNS1_17partition_subalgoE6EfNS0_10empty_typeEbEEZZNS1_14partition_implILS5_6ELb0ES3_mN6thrust23THRUST_200600_302600_NS6detail15normal_iteratorINSA_10device_ptrIfEEEEPS6_SG_NS0_5tupleIJSF_S6_EEENSH_IJSG_SG_EEES6_PlJNSB_9not_fun_tI7is_trueIfEEEEEE10hipError_tPvRmT3_T4_T5_T6_T7_T9_mT8_P12ihipStream_tbDpT10_ENKUlT_T0_E_clISt17integral_constantIbLb0EES18_EEDaS13_S14_EUlS13_E_NS1_11comp_targetILNS1_3genE0ELNS1_11target_archE4294967295ELNS1_3gpuE0ELNS1_3repE0EEENS1_30default_config_static_selectorELNS0_4arch9wavefront6targetE0EEEvT1_.has_recursion, 0
	.set _ZN7rocprim17ROCPRIM_400000_NS6detail17trampoline_kernelINS0_14default_configENS1_25partition_config_selectorILNS1_17partition_subalgoE6EfNS0_10empty_typeEbEEZZNS1_14partition_implILS5_6ELb0ES3_mN6thrust23THRUST_200600_302600_NS6detail15normal_iteratorINSA_10device_ptrIfEEEEPS6_SG_NS0_5tupleIJSF_S6_EEENSH_IJSG_SG_EEES6_PlJNSB_9not_fun_tI7is_trueIfEEEEEE10hipError_tPvRmT3_T4_T5_T6_T7_T9_mT8_P12ihipStream_tbDpT10_ENKUlT_T0_E_clISt17integral_constantIbLb0EES18_EEDaS13_S14_EUlS13_E_NS1_11comp_targetILNS1_3genE0ELNS1_11target_archE4294967295ELNS1_3gpuE0ELNS1_3repE0EEENS1_30default_config_static_selectorELNS0_4arch9wavefront6targetE0EEEvT1_.has_indirect_call, 0
	.section	.AMDGPU.csdata,"",@progbits
; Kernel info:
; codeLenInByte = 0
; TotalNumSgprs: 0
; NumVgprs: 0
; ScratchSize: 0
; MemoryBound: 0
; FloatMode: 240
; IeeeMode: 1
; LDSByteSize: 0 bytes/workgroup (compile time only)
; SGPRBlocks: 0
; VGPRBlocks: 0
; NumSGPRsForWavesPerEU: 1
; NumVGPRsForWavesPerEU: 1
; Occupancy: 16
; WaveLimiterHint : 0
; COMPUTE_PGM_RSRC2:SCRATCH_EN: 0
; COMPUTE_PGM_RSRC2:USER_SGPR: 2
; COMPUTE_PGM_RSRC2:TRAP_HANDLER: 0
; COMPUTE_PGM_RSRC2:TGID_X_EN: 1
; COMPUTE_PGM_RSRC2:TGID_Y_EN: 0
; COMPUTE_PGM_RSRC2:TGID_Z_EN: 0
; COMPUTE_PGM_RSRC2:TIDIG_COMP_CNT: 0
	.section	.text._ZN7rocprim17ROCPRIM_400000_NS6detail17trampoline_kernelINS0_14default_configENS1_25partition_config_selectorILNS1_17partition_subalgoE6EfNS0_10empty_typeEbEEZZNS1_14partition_implILS5_6ELb0ES3_mN6thrust23THRUST_200600_302600_NS6detail15normal_iteratorINSA_10device_ptrIfEEEEPS6_SG_NS0_5tupleIJSF_S6_EEENSH_IJSG_SG_EEES6_PlJNSB_9not_fun_tI7is_trueIfEEEEEE10hipError_tPvRmT3_T4_T5_T6_T7_T9_mT8_P12ihipStream_tbDpT10_ENKUlT_T0_E_clISt17integral_constantIbLb0EES18_EEDaS13_S14_EUlS13_E_NS1_11comp_targetILNS1_3genE5ELNS1_11target_archE942ELNS1_3gpuE9ELNS1_3repE0EEENS1_30default_config_static_selectorELNS0_4arch9wavefront6targetE0EEEvT1_,"axG",@progbits,_ZN7rocprim17ROCPRIM_400000_NS6detail17trampoline_kernelINS0_14default_configENS1_25partition_config_selectorILNS1_17partition_subalgoE6EfNS0_10empty_typeEbEEZZNS1_14partition_implILS5_6ELb0ES3_mN6thrust23THRUST_200600_302600_NS6detail15normal_iteratorINSA_10device_ptrIfEEEEPS6_SG_NS0_5tupleIJSF_S6_EEENSH_IJSG_SG_EEES6_PlJNSB_9not_fun_tI7is_trueIfEEEEEE10hipError_tPvRmT3_T4_T5_T6_T7_T9_mT8_P12ihipStream_tbDpT10_ENKUlT_T0_E_clISt17integral_constantIbLb0EES18_EEDaS13_S14_EUlS13_E_NS1_11comp_targetILNS1_3genE5ELNS1_11target_archE942ELNS1_3gpuE9ELNS1_3repE0EEENS1_30default_config_static_selectorELNS0_4arch9wavefront6targetE0EEEvT1_,comdat
	.protected	_ZN7rocprim17ROCPRIM_400000_NS6detail17trampoline_kernelINS0_14default_configENS1_25partition_config_selectorILNS1_17partition_subalgoE6EfNS0_10empty_typeEbEEZZNS1_14partition_implILS5_6ELb0ES3_mN6thrust23THRUST_200600_302600_NS6detail15normal_iteratorINSA_10device_ptrIfEEEEPS6_SG_NS0_5tupleIJSF_S6_EEENSH_IJSG_SG_EEES6_PlJNSB_9not_fun_tI7is_trueIfEEEEEE10hipError_tPvRmT3_T4_T5_T6_T7_T9_mT8_P12ihipStream_tbDpT10_ENKUlT_T0_E_clISt17integral_constantIbLb0EES18_EEDaS13_S14_EUlS13_E_NS1_11comp_targetILNS1_3genE5ELNS1_11target_archE942ELNS1_3gpuE9ELNS1_3repE0EEENS1_30default_config_static_selectorELNS0_4arch9wavefront6targetE0EEEvT1_ ; -- Begin function _ZN7rocprim17ROCPRIM_400000_NS6detail17trampoline_kernelINS0_14default_configENS1_25partition_config_selectorILNS1_17partition_subalgoE6EfNS0_10empty_typeEbEEZZNS1_14partition_implILS5_6ELb0ES3_mN6thrust23THRUST_200600_302600_NS6detail15normal_iteratorINSA_10device_ptrIfEEEEPS6_SG_NS0_5tupleIJSF_S6_EEENSH_IJSG_SG_EEES6_PlJNSB_9not_fun_tI7is_trueIfEEEEEE10hipError_tPvRmT3_T4_T5_T6_T7_T9_mT8_P12ihipStream_tbDpT10_ENKUlT_T0_E_clISt17integral_constantIbLb0EES18_EEDaS13_S14_EUlS13_E_NS1_11comp_targetILNS1_3genE5ELNS1_11target_archE942ELNS1_3gpuE9ELNS1_3repE0EEENS1_30default_config_static_selectorELNS0_4arch9wavefront6targetE0EEEvT1_
	.globl	_ZN7rocprim17ROCPRIM_400000_NS6detail17trampoline_kernelINS0_14default_configENS1_25partition_config_selectorILNS1_17partition_subalgoE6EfNS0_10empty_typeEbEEZZNS1_14partition_implILS5_6ELb0ES3_mN6thrust23THRUST_200600_302600_NS6detail15normal_iteratorINSA_10device_ptrIfEEEEPS6_SG_NS0_5tupleIJSF_S6_EEENSH_IJSG_SG_EEES6_PlJNSB_9not_fun_tI7is_trueIfEEEEEE10hipError_tPvRmT3_T4_T5_T6_T7_T9_mT8_P12ihipStream_tbDpT10_ENKUlT_T0_E_clISt17integral_constantIbLb0EES18_EEDaS13_S14_EUlS13_E_NS1_11comp_targetILNS1_3genE5ELNS1_11target_archE942ELNS1_3gpuE9ELNS1_3repE0EEENS1_30default_config_static_selectorELNS0_4arch9wavefront6targetE0EEEvT1_
	.p2align	8
	.type	_ZN7rocprim17ROCPRIM_400000_NS6detail17trampoline_kernelINS0_14default_configENS1_25partition_config_selectorILNS1_17partition_subalgoE6EfNS0_10empty_typeEbEEZZNS1_14partition_implILS5_6ELb0ES3_mN6thrust23THRUST_200600_302600_NS6detail15normal_iteratorINSA_10device_ptrIfEEEEPS6_SG_NS0_5tupleIJSF_S6_EEENSH_IJSG_SG_EEES6_PlJNSB_9not_fun_tI7is_trueIfEEEEEE10hipError_tPvRmT3_T4_T5_T6_T7_T9_mT8_P12ihipStream_tbDpT10_ENKUlT_T0_E_clISt17integral_constantIbLb0EES18_EEDaS13_S14_EUlS13_E_NS1_11comp_targetILNS1_3genE5ELNS1_11target_archE942ELNS1_3gpuE9ELNS1_3repE0EEENS1_30default_config_static_selectorELNS0_4arch9wavefront6targetE0EEEvT1_,@function
_ZN7rocprim17ROCPRIM_400000_NS6detail17trampoline_kernelINS0_14default_configENS1_25partition_config_selectorILNS1_17partition_subalgoE6EfNS0_10empty_typeEbEEZZNS1_14partition_implILS5_6ELb0ES3_mN6thrust23THRUST_200600_302600_NS6detail15normal_iteratorINSA_10device_ptrIfEEEEPS6_SG_NS0_5tupleIJSF_S6_EEENSH_IJSG_SG_EEES6_PlJNSB_9not_fun_tI7is_trueIfEEEEEE10hipError_tPvRmT3_T4_T5_T6_T7_T9_mT8_P12ihipStream_tbDpT10_ENKUlT_T0_E_clISt17integral_constantIbLb0EES18_EEDaS13_S14_EUlS13_E_NS1_11comp_targetILNS1_3genE5ELNS1_11target_archE942ELNS1_3gpuE9ELNS1_3repE0EEENS1_30default_config_static_selectorELNS0_4arch9wavefront6targetE0EEEvT1_: ; @_ZN7rocprim17ROCPRIM_400000_NS6detail17trampoline_kernelINS0_14default_configENS1_25partition_config_selectorILNS1_17partition_subalgoE6EfNS0_10empty_typeEbEEZZNS1_14partition_implILS5_6ELb0ES3_mN6thrust23THRUST_200600_302600_NS6detail15normal_iteratorINSA_10device_ptrIfEEEEPS6_SG_NS0_5tupleIJSF_S6_EEENSH_IJSG_SG_EEES6_PlJNSB_9not_fun_tI7is_trueIfEEEEEE10hipError_tPvRmT3_T4_T5_T6_T7_T9_mT8_P12ihipStream_tbDpT10_ENKUlT_T0_E_clISt17integral_constantIbLb0EES18_EEDaS13_S14_EUlS13_E_NS1_11comp_targetILNS1_3genE5ELNS1_11target_archE942ELNS1_3gpuE9ELNS1_3repE0EEENS1_30default_config_static_selectorELNS0_4arch9wavefront6targetE0EEEvT1_
; %bb.0:
	.section	.rodata,"a",@progbits
	.p2align	6, 0x0
	.amdhsa_kernel _ZN7rocprim17ROCPRIM_400000_NS6detail17trampoline_kernelINS0_14default_configENS1_25partition_config_selectorILNS1_17partition_subalgoE6EfNS0_10empty_typeEbEEZZNS1_14partition_implILS5_6ELb0ES3_mN6thrust23THRUST_200600_302600_NS6detail15normal_iteratorINSA_10device_ptrIfEEEEPS6_SG_NS0_5tupleIJSF_S6_EEENSH_IJSG_SG_EEES6_PlJNSB_9not_fun_tI7is_trueIfEEEEEE10hipError_tPvRmT3_T4_T5_T6_T7_T9_mT8_P12ihipStream_tbDpT10_ENKUlT_T0_E_clISt17integral_constantIbLb0EES18_EEDaS13_S14_EUlS13_E_NS1_11comp_targetILNS1_3genE5ELNS1_11target_archE942ELNS1_3gpuE9ELNS1_3repE0EEENS1_30default_config_static_selectorELNS0_4arch9wavefront6targetE0EEEvT1_
		.amdhsa_group_segment_fixed_size 0
		.amdhsa_private_segment_fixed_size 0
		.amdhsa_kernarg_size 112
		.amdhsa_user_sgpr_count 2
		.amdhsa_user_sgpr_dispatch_ptr 0
		.amdhsa_user_sgpr_queue_ptr 0
		.amdhsa_user_sgpr_kernarg_segment_ptr 1
		.amdhsa_user_sgpr_dispatch_id 0
		.amdhsa_user_sgpr_private_segment_size 0
		.amdhsa_wavefront_size32 1
		.amdhsa_uses_dynamic_stack 0
		.amdhsa_enable_private_segment 0
		.amdhsa_system_sgpr_workgroup_id_x 1
		.amdhsa_system_sgpr_workgroup_id_y 0
		.amdhsa_system_sgpr_workgroup_id_z 0
		.amdhsa_system_sgpr_workgroup_info 0
		.amdhsa_system_vgpr_workitem_id 0
		.amdhsa_next_free_vgpr 1
		.amdhsa_next_free_sgpr 1
		.amdhsa_reserve_vcc 0
		.amdhsa_float_round_mode_32 0
		.amdhsa_float_round_mode_16_64 0
		.amdhsa_float_denorm_mode_32 3
		.amdhsa_float_denorm_mode_16_64 3
		.amdhsa_fp16_overflow 0
		.amdhsa_workgroup_processor_mode 1
		.amdhsa_memory_ordered 1
		.amdhsa_forward_progress 1
		.amdhsa_inst_pref_size 0
		.amdhsa_round_robin_scheduling 0
		.amdhsa_exception_fp_ieee_invalid_op 0
		.amdhsa_exception_fp_denorm_src 0
		.amdhsa_exception_fp_ieee_div_zero 0
		.amdhsa_exception_fp_ieee_overflow 0
		.amdhsa_exception_fp_ieee_underflow 0
		.amdhsa_exception_fp_ieee_inexact 0
		.amdhsa_exception_int_div_zero 0
	.end_amdhsa_kernel
	.section	.text._ZN7rocprim17ROCPRIM_400000_NS6detail17trampoline_kernelINS0_14default_configENS1_25partition_config_selectorILNS1_17partition_subalgoE6EfNS0_10empty_typeEbEEZZNS1_14partition_implILS5_6ELb0ES3_mN6thrust23THRUST_200600_302600_NS6detail15normal_iteratorINSA_10device_ptrIfEEEEPS6_SG_NS0_5tupleIJSF_S6_EEENSH_IJSG_SG_EEES6_PlJNSB_9not_fun_tI7is_trueIfEEEEEE10hipError_tPvRmT3_T4_T5_T6_T7_T9_mT8_P12ihipStream_tbDpT10_ENKUlT_T0_E_clISt17integral_constantIbLb0EES18_EEDaS13_S14_EUlS13_E_NS1_11comp_targetILNS1_3genE5ELNS1_11target_archE942ELNS1_3gpuE9ELNS1_3repE0EEENS1_30default_config_static_selectorELNS0_4arch9wavefront6targetE0EEEvT1_,"axG",@progbits,_ZN7rocprim17ROCPRIM_400000_NS6detail17trampoline_kernelINS0_14default_configENS1_25partition_config_selectorILNS1_17partition_subalgoE6EfNS0_10empty_typeEbEEZZNS1_14partition_implILS5_6ELb0ES3_mN6thrust23THRUST_200600_302600_NS6detail15normal_iteratorINSA_10device_ptrIfEEEEPS6_SG_NS0_5tupleIJSF_S6_EEENSH_IJSG_SG_EEES6_PlJNSB_9not_fun_tI7is_trueIfEEEEEE10hipError_tPvRmT3_T4_T5_T6_T7_T9_mT8_P12ihipStream_tbDpT10_ENKUlT_T0_E_clISt17integral_constantIbLb0EES18_EEDaS13_S14_EUlS13_E_NS1_11comp_targetILNS1_3genE5ELNS1_11target_archE942ELNS1_3gpuE9ELNS1_3repE0EEENS1_30default_config_static_selectorELNS0_4arch9wavefront6targetE0EEEvT1_,comdat
.Lfunc_end1078:
	.size	_ZN7rocprim17ROCPRIM_400000_NS6detail17trampoline_kernelINS0_14default_configENS1_25partition_config_selectorILNS1_17partition_subalgoE6EfNS0_10empty_typeEbEEZZNS1_14partition_implILS5_6ELb0ES3_mN6thrust23THRUST_200600_302600_NS6detail15normal_iteratorINSA_10device_ptrIfEEEEPS6_SG_NS0_5tupleIJSF_S6_EEENSH_IJSG_SG_EEES6_PlJNSB_9not_fun_tI7is_trueIfEEEEEE10hipError_tPvRmT3_T4_T5_T6_T7_T9_mT8_P12ihipStream_tbDpT10_ENKUlT_T0_E_clISt17integral_constantIbLb0EES18_EEDaS13_S14_EUlS13_E_NS1_11comp_targetILNS1_3genE5ELNS1_11target_archE942ELNS1_3gpuE9ELNS1_3repE0EEENS1_30default_config_static_selectorELNS0_4arch9wavefront6targetE0EEEvT1_, .Lfunc_end1078-_ZN7rocprim17ROCPRIM_400000_NS6detail17trampoline_kernelINS0_14default_configENS1_25partition_config_selectorILNS1_17partition_subalgoE6EfNS0_10empty_typeEbEEZZNS1_14partition_implILS5_6ELb0ES3_mN6thrust23THRUST_200600_302600_NS6detail15normal_iteratorINSA_10device_ptrIfEEEEPS6_SG_NS0_5tupleIJSF_S6_EEENSH_IJSG_SG_EEES6_PlJNSB_9not_fun_tI7is_trueIfEEEEEE10hipError_tPvRmT3_T4_T5_T6_T7_T9_mT8_P12ihipStream_tbDpT10_ENKUlT_T0_E_clISt17integral_constantIbLb0EES18_EEDaS13_S14_EUlS13_E_NS1_11comp_targetILNS1_3genE5ELNS1_11target_archE942ELNS1_3gpuE9ELNS1_3repE0EEENS1_30default_config_static_selectorELNS0_4arch9wavefront6targetE0EEEvT1_
                                        ; -- End function
	.set _ZN7rocprim17ROCPRIM_400000_NS6detail17trampoline_kernelINS0_14default_configENS1_25partition_config_selectorILNS1_17partition_subalgoE6EfNS0_10empty_typeEbEEZZNS1_14partition_implILS5_6ELb0ES3_mN6thrust23THRUST_200600_302600_NS6detail15normal_iteratorINSA_10device_ptrIfEEEEPS6_SG_NS0_5tupleIJSF_S6_EEENSH_IJSG_SG_EEES6_PlJNSB_9not_fun_tI7is_trueIfEEEEEE10hipError_tPvRmT3_T4_T5_T6_T7_T9_mT8_P12ihipStream_tbDpT10_ENKUlT_T0_E_clISt17integral_constantIbLb0EES18_EEDaS13_S14_EUlS13_E_NS1_11comp_targetILNS1_3genE5ELNS1_11target_archE942ELNS1_3gpuE9ELNS1_3repE0EEENS1_30default_config_static_selectorELNS0_4arch9wavefront6targetE0EEEvT1_.num_vgpr, 0
	.set _ZN7rocprim17ROCPRIM_400000_NS6detail17trampoline_kernelINS0_14default_configENS1_25partition_config_selectorILNS1_17partition_subalgoE6EfNS0_10empty_typeEbEEZZNS1_14partition_implILS5_6ELb0ES3_mN6thrust23THRUST_200600_302600_NS6detail15normal_iteratorINSA_10device_ptrIfEEEEPS6_SG_NS0_5tupleIJSF_S6_EEENSH_IJSG_SG_EEES6_PlJNSB_9not_fun_tI7is_trueIfEEEEEE10hipError_tPvRmT3_T4_T5_T6_T7_T9_mT8_P12ihipStream_tbDpT10_ENKUlT_T0_E_clISt17integral_constantIbLb0EES18_EEDaS13_S14_EUlS13_E_NS1_11comp_targetILNS1_3genE5ELNS1_11target_archE942ELNS1_3gpuE9ELNS1_3repE0EEENS1_30default_config_static_selectorELNS0_4arch9wavefront6targetE0EEEvT1_.num_agpr, 0
	.set _ZN7rocprim17ROCPRIM_400000_NS6detail17trampoline_kernelINS0_14default_configENS1_25partition_config_selectorILNS1_17partition_subalgoE6EfNS0_10empty_typeEbEEZZNS1_14partition_implILS5_6ELb0ES3_mN6thrust23THRUST_200600_302600_NS6detail15normal_iteratorINSA_10device_ptrIfEEEEPS6_SG_NS0_5tupleIJSF_S6_EEENSH_IJSG_SG_EEES6_PlJNSB_9not_fun_tI7is_trueIfEEEEEE10hipError_tPvRmT3_T4_T5_T6_T7_T9_mT8_P12ihipStream_tbDpT10_ENKUlT_T0_E_clISt17integral_constantIbLb0EES18_EEDaS13_S14_EUlS13_E_NS1_11comp_targetILNS1_3genE5ELNS1_11target_archE942ELNS1_3gpuE9ELNS1_3repE0EEENS1_30default_config_static_selectorELNS0_4arch9wavefront6targetE0EEEvT1_.numbered_sgpr, 0
	.set _ZN7rocprim17ROCPRIM_400000_NS6detail17trampoline_kernelINS0_14default_configENS1_25partition_config_selectorILNS1_17partition_subalgoE6EfNS0_10empty_typeEbEEZZNS1_14partition_implILS5_6ELb0ES3_mN6thrust23THRUST_200600_302600_NS6detail15normal_iteratorINSA_10device_ptrIfEEEEPS6_SG_NS0_5tupleIJSF_S6_EEENSH_IJSG_SG_EEES6_PlJNSB_9not_fun_tI7is_trueIfEEEEEE10hipError_tPvRmT3_T4_T5_T6_T7_T9_mT8_P12ihipStream_tbDpT10_ENKUlT_T0_E_clISt17integral_constantIbLb0EES18_EEDaS13_S14_EUlS13_E_NS1_11comp_targetILNS1_3genE5ELNS1_11target_archE942ELNS1_3gpuE9ELNS1_3repE0EEENS1_30default_config_static_selectorELNS0_4arch9wavefront6targetE0EEEvT1_.num_named_barrier, 0
	.set _ZN7rocprim17ROCPRIM_400000_NS6detail17trampoline_kernelINS0_14default_configENS1_25partition_config_selectorILNS1_17partition_subalgoE6EfNS0_10empty_typeEbEEZZNS1_14partition_implILS5_6ELb0ES3_mN6thrust23THRUST_200600_302600_NS6detail15normal_iteratorINSA_10device_ptrIfEEEEPS6_SG_NS0_5tupleIJSF_S6_EEENSH_IJSG_SG_EEES6_PlJNSB_9not_fun_tI7is_trueIfEEEEEE10hipError_tPvRmT3_T4_T5_T6_T7_T9_mT8_P12ihipStream_tbDpT10_ENKUlT_T0_E_clISt17integral_constantIbLb0EES18_EEDaS13_S14_EUlS13_E_NS1_11comp_targetILNS1_3genE5ELNS1_11target_archE942ELNS1_3gpuE9ELNS1_3repE0EEENS1_30default_config_static_selectorELNS0_4arch9wavefront6targetE0EEEvT1_.private_seg_size, 0
	.set _ZN7rocprim17ROCPRIM_400000_NS6detail17trampoline_kernelINS0_14default_configENS1_25partition_config_selectorILNS1_17partition_subalgoE6EfNS0_10empty_typeEbEEZZNS1_14partition_implILS5_6ELb0ES3_mN6thrust23THRUST_200600_302600_NS6detail15normal_iteratorINSA_10device_ptrIfEEEEPS6_SG_NS0_5tupleIJSF_S6_EEENSH_IJSG_SG_EEES6_PlJNSB_9not_fun_tI7is_trueIfEEEEEE10hipError_tPvRmT3_T4_T5_T6_T7_T9_mT8_P12ihipStream_tbDpT10_ENKUlT_T0_E_clISt17integral_constantIbLb0EES18_EEDaS13_S14_EUlS13_E_NS1_11comp_targetILNS1_3genE5ELNS1_11target_archE942ELNS1_3gpuE9ELNS1_3repE0EEENS1_30default_config_static_selectorELNS0_4arch9wavefront6targetE0EEEvT1_.uses_vcc, 0
	.set _ZN7rocprim17ROCPRIM_400000_NS6detail17trampoline_kernelINS0_14default_configENS1_25partition_config_selectorILNS1_17partition_subalgoE6EfNS0_10empty_typeEbEEZZNS1_14partition_implILS5_6ELb0ES3_mN6thrust23THRUST_200600_302600_NS6detail15normal_iteratorINSA_10device_ptrIfEEEEPS6_SG_NS0_5tupleIJSF_S6_EEENSH_IJSG_SG_EEES6_PlJNSB_9not_fun_tI7is_trueIfEEEEEE10hipError_tPvRmT3_T4_T5_T6_T7_T9_mT8_P12ihipStream_tbDpT10_ENKUlT_T0_E_clISt17integral_constantIbLb0EES18_EEDaS13_S14_EUlS13_E_NS1_11comp_targetILNS1_3genE5ELNS1_11target_archE942ELNS1_3gpuE9ELNS1_3repE0EEENS1_30default_config_static_selectorELNS0_4arch9wavefront6targetE0EEEvT1_.uses_flat_scratch, 0
	.set _ZN7rocprim17ROCPRIM_400000_NS6detail17trampoline_kernelINS0_14default_configENS1_25partition_config_selectorILNS1_17partition_subalgoE6EfNS0_10empty_typeEbEEZZNS1_14partition_implILS5_6ELb0ES3_mN6thrust23THRUST_200600_302600_NS6detail15normal_iteratorINSA_10device_ptrIfEEEEPS6_SG_NS0_5tupleIJSF_S6_EEENSH_IJSG_SG_EEES6_PlJNSB_9not_fun_tI7is_trueIfEEEEEE10hipError_tPvRmT3_T4_T5_T6_T7_T9_mT8_P12ihipStream_tbDpT10_ENKUlT_T0_E_clISt17integral_constantIbLb0EES18_EEDaS13_S14_EUlS13_E_NS1_11comp_targetILNS1_3genE5ELNS1_11target_archE942ELNS1_3gpuE9ELNS1_3repE0EEENS1_30default_config_static_selectorELNS0_4arch9wavefront6targetE0EEEvT1_.has_dyn_sized_stack, 0
	.set _ZN7rocprim17ROCPRIM_400000_NS6detail17trampoline_kernelINS0_14default_configENS1_25partition_config_selectorILNS1_17partition_subalgoE6EfNS0_10empty_typeEbEEZZNS1_14partition_implILS5_6ELb0ES3_mN6thrust23THRUST_200600_302600_NS6detail15normal_iteratorINSA_10device_ptrIfEEEEPS6_SG_NS0_5tupleIJSF_S6_EEENSH_IJSG_SG_EEES6_PlJNSB_9not_fun_tI7is_trueIfEEEEEE10hipError_tPvRmT3_T4_T5_T6_T7_T9_mT8_P12ihipStream_tbDpT10_ENKUlT_T0_E_clISt17integral_constantIbLb0EES18_EEDaS13_S14_EUlS13_E_NS1_11comp_targetILNS1_3genE5ELNS1_11target_archE942ELNS1_3gpuE9ELNS1_3repE0EEENS1_30default_config_static_selectorELNS0_4arch9wavefront6targetE0EEEvT1_.has_recursion, 0
	.set _ZN7rocprim17ROCPRIM_400000_NS6detail17trampoline_kernelINS0_14default_configENS1_25partition_config_selectorILNS1_17partition_subalgoE6EfNS0_10empty_typeEbEEZZNS1_14partition_implILS5_6ELb0ES3_mN6thrust23THRUST_200600_302600_NS6detail15normal_iteratorINSA_10device_ptrIfEEEEPS6_SG_NS0_5tupleIJSF_S6_EEENSH_IJSG_SG_EEES6_PlJNSB_9not_fun_tI7is_trueIfEEEEEE10hipError_tPvRmT3_T4_T5_T6_T7_T9_mT8_P12ihipStream_tbDpT10_ENKUlT_T0_E_clISt17integral_constantIbLb0EES18_EEDaS13_S14_EUlS13_E_NS1_11comp_targetILNS1_3genE5ELNS1_11target_archE942ELNS1_3gpuE9ELNS1_3repE0EEENS1_30default_config_static_selectorELNS0_4arch9wavefront6targetE0EEEvT1_.has_indirect_call, 0
	.section	.AMDGPU.csdata,"",@progbits
; Kernel info:
; codeLenInByte = 0
; TotalNumSgprs: 0
; NumVgprs: 0
; ScratchSize: 0
; MemoryBound: 0
; FloatMode: 240
; IeeeMode: 1
; LDSByteSize: 0 bytes/workgroup (compile time only)
; SGPRBlocks: 0
; VGPRBlocks: 0
; NumSGPRsForWavesPerEU: 1
; NumVGPRsForWavesPerEU: 1
; Occupancy: 16
; WaveLimiterHint : 0
; COMPUTE_PGM_RSRC2:SCRATCH_EN: 0
; COMPUTE_PGM_RSRC2:USER_SGPR: 2
; COMPUTE_PGM_RSRC2:TRAP_HANDLER: 0
; COMPUTE_PGM_RSRC2:TGID_X_EN: 1
; COMPUTE_PGM_RSRC2:TGID_Y_EN: 0
; COMPUTE_PGM_RSRC2:TGID_Z_EN: 0
; COMPUTE_PGM_RSRC2:TIDIG_COMP_CNT: 0
	.section	.text._ZN7rocprim17ROCPRIM_400000_NS6detail17trampoline_kernelINS0_14default_configENS1_25partition_config_selectorILNS1_17partition_subalgoE6EfNS0_10empty_typeEbEEZZNS1_14partition_implILS5_6ELb0ES3_mN6thrust23THRUST_200600_302600_NS6detail15normal_iteratorINSA_10device_ptrIfEEEEPS6_SG_NS0_5tupleIJSF_S6_EEENSH_IJSG_SG_EEES6_PlJNSB_9not_fun_tI7is_trueIfEEEEEE10hipError_tPvRmT3_T4_T5_T6_T7_T9_mT8_P12ihipStream_tbDpT10_ENKUlT_T0_E_clISt17integral_constantIbLb0EES18_EEDaS13_S14_EUlS13_E_NS1_11comp_targetILNS1_3genE4ELNS1_11target_archE910ELNS1_3gpuE8ELNS1_3repE0EEENS1_30default_config_static_selectorELNS0_4arch9wavefront6targetE0EEEvT1_,"axG",@progbits,_ZN7rocprim17ROCPRIM_400000_NS6detail17trampoline_kernelINS0_14default_configENS1_25partition_config_selectorILNS1_17partition_subalgoE6EfNS0_10empty_typeEbEEZZNS1_14partition_implILS5_6ELb0ES3_mN6thrust23THRUST_200600_302600_NS6detail15normal_iteratorINSA_10device_ptrIfEEEEPS6_SG_NS0_5tupleIJSF_S6_EEENSH_IJSG_SG_EEES6_PlJNSB_9not_fun_tI7is_trueIfEEEEEE10hipError_tPvRmT3_T4_T5_T6_T7_T9_mT8_P12ihipStream_tbDpT10_ENKUlT_T0_E_clISt17integral_constantIbLb0EES18_EEDaS13_S14_EUlS13_E_NS1_11comp_targetILNS1_3genE4ELNS1_11target_archE910ELNS1_3gpuE8ELNS1_3repE0EEENS1_30default_config_static_selectorELNS0_4arch9wavefront6targetE0EEEvT1_,comdat
	.protected	_ZN7rocprim17ROCPRIM_400000_NS6detail17trampoline_kernelINS0_14default_configENS1_25partition_config_selectorILNS1_17partition_subalgoE6EfNS0_10empty_typeEbEEZZNS1_14partition_implILS5_6ELb0ES3_mN6thrust23THRUST_200600_302600_NS6detail15normal_iteratorINSA_10device_ptrIfEEEEPS6_SG_NS0_5tupleIJSF_S6_EEENSH_IJSG_SG_EEES6_PlJNSB_9not_fun_tI7is_trueIfEEEEEE10hipError_tPvRmT3_T4_T5_T6_T7_T9_mT8_P12ihipStream_tbDpT10_ENKUlT_T0_E_clISt17integral_constantIbLb0EES18_EEDaS13_S14_EUlS13_E_NS1_11comp_targetILNS1_3genE4ELNS1_11target_archE910ELNS1_3gpuE8ELNS1_3repE0EEENS1_30default_config_static_selectorELNS0_4arch9wavefront6targetE0EEEvT1_ ; -- Begin function _ZN7rocprim17ROCPRIM_400000_NS6detail17trampoline_kernelINS0_14default_configENS1_25partition_config_selectorILNS1_17partition_subalgoE6EfNS0_10empty_typeEbEEZZNS1_14partition_implILS5_6ELb0ES3_mN6thrust23THRUST_200600_302600_NS6detail15normal_iteratorINSA_10device_ptrIfEEEEPS6_SG_NS0_5tupleIJSF_S6_EEENSH_IJSG_SG_EEES6_PlJNSB_9not_fun_tI7is_trueIfEEEEEE10hipError_tPvRmT3_T4_T5_T6_T7_T9_mT8_P12ihipStream_tbDpT10_ENKUlT_T0_E_clISt17integral_constantIbLb0EES18_EEDaS13_S14_EUlS13_E_NS1_11comp_targetILNS1_3genE4ELNS1_11target_archE910ELNS1_3gpuE8ELNS1_3repE0EEENS1_30default_config_static_selectorELNS0_4arch9wavefront6targetE0EEEvT1_
	.globl	_ZN7rocprim17ROCPRIM_400000_NS6detail17trampoline_kernelINS0_14default_configENS1_25partition_config_selectorILNS1_17partition_subalgoE6EfNS0_10empty_typeEbEEZZNS1_14partition_implILS5_6ELb0ES3_mN6thrust23THRUST_200600_302600_NS6detail15normal_iteratorINSA_10device_ptrIfEEEEPS6_SG_NS0_5tupleIJSF_S6_EEENSH_IJSG_SG_EEES6_PlJNSB_9not_fun_tI7is_trueIfEEEEEE10hipError_tPvRmT3_T4_T5_T6_T7_T9_mT8_P12ihipStream_tbDpT10_ENKUlT_T0_E_clISt17integral_constantIbLb0EES18_EEDaS13_S14_EUlS13_E_NS1_11comp_targetILNS1_3genE4ELNS1_11target_archE910ELNS1_3gpuE8ELNS1_3repE0EEENS1_30default_config_static_selectorELNS0_4arch9wavefront6targetE0EEEvT1_
	.p2align	8
	.type	_ZN7rocprim17ROCPRIM_400000_NS6detail17trampoline_kernelINS0_14default_configENS1_25partition_config_selectorILNS1_17partition_subalgoE6EfNS0_10empty_typeEbEEZZNS1_14partition_implILS5_6ELb0ES3_mN6thrust23THRUST_200600_302600_NS6detail15normal_iteratorINSA_10device_ptrIfEEEEPS6_SG_NS0_5tupleIJSF_S6_EEENSH_IJSG_SG_EEES6_PlJNSB_9not_fun_tI7is_trueIfEEEEEE10hipError_tPvRmT3_T4_T5_T6_T7_T9_mT8_P12ihipStream_tbDpT10_ENKUlT_T0_E_clISt17integral_constantIbLb0EES18_EEDaS13_S14_EUlS13_E_NS1_11comp_targetILNS1_3genE4ELNS1_11target_archE910ELNS1_3gpuE8ELNS1_3repE0EEENS1_30default_config_static_selectorELNS0_4arch9wavefront6targetE0EEEvT1_,@function
_ZN7rocprim17ROCPRIM_400000_NS6detail17trampoline_kernelINS0_14default_configENS1_25partition_config_selectorILNS1_17partition_subalgoE6EfNS0_10empty_typeEbEEZZNS1_14partition_implILS5_6ELb0ES3_mN6thrust23THRUST_200600_302600_NS6detail15normal_iteratorINSA_10device_ptrIfEEEEPS6_SG_NS0_5tupleIJSF_S6_EEENSH_IJSG_SG_EEES6_PlJNSB_9not_fun_tI7is_trueIfEEEEEE10hipError_tPvRmT3_T4_T5_T6_T7_T9_mT8_P12ihipStream_tbDpT10_ENKUlT_T0_E_clISt17integral_constantIbLb0EES18_EEDaS13_S14_EUlS13_E_NS1_11comp_targetILNS1_3genE4ELNS1_11target_archE910ELNS1_3gpuE8ELNS1_3repE0EEENS1_30default_config_static_selectorELNS0_4arch9wavefront6targetE0EEEvT1_: ; @_ZN7rocprim17ROCPRIM_400000_NS6detail17trampoline_kernelINS0_14default_configENS1_25partition_config_selectorILNS1_17partition_subalgoE6EfNS0_10empty_typeEbEEZZNS1_14partition_implILS5_6ELb0ES3_mN6thrust23THRUST_200600_302600_NS6detail15normal_iteratorINSA_10device_ptrIfEEEEPS6_SG_NS0_5tupleIJSF_S6_EEENSH_IJSG_SG_EEES6_PlJNSB_9not_fun_tI7is_trueIfEEEEEE10hipError_tPvRmT3_T4_T5_T6_T7_T9_mT8_P12ihipStream_tbDpT10_ENKUlT_T0_E_clISt17integral_constantIbLb0EES18_EEDaS13_S14_EUlS13_E_NS1_11comp_targetILNS1_3genE4ELNS1_11target_archE910ELNS1_3gpuE8ELNS1_3repE0EEENS1_30default_config_static_selectorELNS0_4arch9wavefront6targetE0EEEvT1_
; %bb.0:
	.section	.rodata,"a",@progbits
	.p2align	6, 0x0
	.amdhsa_kernel _ZN7rocprim17ROCPRIM_400000_NS6detail17trampoline_kernelINS0_14default_configENS1_25partition_config_selectorILNS1_17partition_subalgoE6EfNS0_10empty_typeEbEEZZNS1_14partition_implILS5_6ELb0ES3_mN6thrust23THRUST_200600_302600_NS6detail15normal_iteratorINSA_10device_ptrIfEEEEPS6_SG_NS0_5tupleIJSF_S6_EEENSH_IJSG_SG_EEES6_PlJNSB_9not_fun_tI7is_trueIfEEEEEE10hipError_tPvRmT3_T4_T5_T6_T7_T9_mT8_P12ihipStream_tbDpT10_ENKUlT_T0_E_clISt17integral_constantIbLb0EES18_EEDaS13_S14_EUlS13_E_NS1_11comp_targetILNS1_3genE4ELNS1_11target_archE910ELNS1_3gpuE8ELNS1_3repE0EEENS1_30default_config_static_selectorELNS0_4arch9wavefront6targetE0EEEvT1_
		.amdhsa_group_segment_fixed_size 0
		.amdhsa_private_segment_fixed_size 0
		.amdhsa_kernarg_size 112
		.amdhsa_user_sgpr_count 2
		.amdhsa_user_sgpr_dispatch_ptr 0
		.amdhsa_user_sgpr_queue_ptr 0
		.amdhsa_user_sgpr_kernarg_segment_ptr 1
		.amdhsa_user_sgpr_dispatch_id 0
		.amdhsa_user_sgpr_private_segment_size 0
		.amdhsa_wavefront_size32 1
		.amdhsa_uses_dynamic_stack 0
		.amdhsa_enable_private_segment 0
		.amdhsa_system_sgpr_workgroup_id_x 1
		.amdhsa_system_sgpr_workgroup_id_y 0
		.amdhsa_system_sgpr_workgroup_id_z 0
		.amdhsa_system_sgpr_workgroup_info 0
		.amdhsa_system_vgpr_workitem_id 0
		.amdhsa_next_free_vgpr 1
		.amdhsa_next_free_sgpr 1
		.amdhsa_reserve_vcc 0
		.amdhsa_float_round_mode_32 0
		.amdhsa_float_round_mode_16_64 0
		.amdhsa_float_denorm_mode_32 3
		.amdhsa_float_denorm_mode_16_64 3
		.amdhsa_fp16_overflow 0
		.amdhsa_workgroup_processor_mode 1
		.amdhsa_memory_ordered 1
		.amdhsa_forward_progress 1
		.amdhsa_inst_pref_size 0
		.amdhsa_round_robin_scheduling 0
		.amdhsa_exception_fp_ieee_invalid_op 0
		.amdhsa_exception_fp_denorm_src 0
		.amdhsa_exception_fp_ieee_div_zero 0
		.amdhsa_exception_fp_ieee_overflow 0
		.amdhsa_exception_fp_ieee_underflow 0
		.amdhsa_exception_fp_ieee_inexact 0
		.amdhsa_exception_int_div_zero 0
	.end_amdhsa_kernel
	.section	.text._ZN7rocprim17ROCPRIM_400000_NS6detail17trampoline_kernelINS0_14default_configENS1_25partition_config_selectorILNS1_17partition_subalgoE6EfNS0_10empty_typeEbEEZZNS1_14partition_implILS5_6ELb0ES3_mN6thrust23THRUST_200600_302600_NS6detail15normal_iteratorINSA_10device_ptrIfEEEEPS6_SG_NS0_5tupleIJSF_S6_EEENSH_IJSG_SG_EEES6_PlJNSB_9not_fun_tI7is_trueIfEEEEEE10hipError_tPvRmT3_T4_T5_T6_T7_T9_mT8_P12ihipStream_tbDpT10_ENKUlT_T0_E_clISt17integral_constantIbLb0EES18_EEDaS13_S14_EUlS13_E_NS1_11comp_targetILNS1_3genE4ELNS1_11target_archE910ELNS1_3gpuE8ELNS1_3repE0EEENS1_30default_config_static_selectorELNS0_4arch9wavefront6targetE0EEEvT1_,"axG",@progbits,_ZN7rocprim17ROCPRIM_400000_NS6detail17trampoline_kernelINS0_14default_configENS1_25partition_config_selectorILNS1_17partition_subalgoE6EfNS0_10empty_typeEbEEZZNS1_14partition_implILS5_6ELb0ES3_mN6thrust23THRUST_200600_302600_NS6detail15normal_iteratorINSA_10device_ptrIfEEEEPS6_SG_NS0_5tupleIJSF_S6_EEENSH_IJSG_SG_EEES6_PlJNSB_9not_fun_tI7is_trueIfEEEEEE10hipError_tPvRmT3_T4_T5_T6_T7_T9_mT8_P12ihipStream_tbDpT10_ENKUlT_T0_E_clISt17integral_constantIbLb0EES18_EEDaS13_S14_EUlS13_E_NS1_11comp_targetILNS1_3genE4ELNS1_11target_archE910ELNS1_3gpuE8ELNS1_3repE0EEENS1_30default_config_static_selectorELNS0_4arch9wavefront6targetE0EEEvT1_,comdat
.Lfunc_end1079:
	.size	_ZN7rocprim17ROCPRIM_400000_NS6detail17trampoline_kernelINS0_14default_configENS1_25partition_config_selectorILNS1_17partition_subalgoE6EfNS0_10empty_typeEbEEZZNS1_14partition_implILS5_6ELb0ES3_mN6thrust23THRUST_200600_302600_NS6detail15normal_iteratorINSA_10device_ptrIfEEEEPS6_SG_NS0_5tupleIJSF_S6_EEENSH_IJSG_SG_EEES6_PlJNSB_9not_fun_tI7is_trueIfEEEEEE10hipError_tPvRmT3_T4_T5_T6_T7_T9_mT8_P12ihipStream_tbDpT10_ENKUlT_T0_E_clISt17integral_constantIbLb0EES18_EEDaS13_S14_EUlS13_E_NS1_11comp_targetILNS1_3genE4ELNS1_11target_archE910ELNS1_3gpuE8ELNS1_3repE0EEENS1_30default_config_static_selectorELNS0_4arch9wavefront6targetE0EEEvT1_, .Lfunc_end1079-_ZN7rocprim17ROCPRIM_400000_NS6detail17trampoline_kernelINS0_14default_configENS1_25partition_config_selectorILNS1_17partition_subalgoE6EfNS0_10empty_typeEbEEZZNS1_14partition_implILS5_6ELb0ES3_mN6thrust23THRUST_200600_302600_NS6detail15normal_iteratorINSA_10device_ptrIfEEEEPS6_SG_NS0_5tupleIJSF_S6_EEENSH_IJSG_SG_EEES6_PlJNSB_9not_fun_tI7is_trueIfEEEEEE10hipError_tPvRmT3_T4_T5_T6_T7_T9_mT8_P12ihipStream_tbDpT10_ENKUlT_T0_E_clISt17integral_constantIbLb0EES18_EEDaS13_S14_EUlS13_E_NS1_11comp_targetILNS1_3genE4ELNS1_11target_archE910ELNS1_3gpuE8ELNS1_3repE0EEENS1_30default_config_static_selectorELNS0_4arch9wavefront6targetE0EEEvT1_
                                        ; -- End function
	.set _ZN7rocprim17ROCPRIM_400000_NS6detail17trampoline_kernelINS0_14default_configENS1_25partition_config_selectorILNS1_17partition_subalgoE6EfNS0_10empty_typeEbEEZZNS1_14partition_implILS5_6ELb0ES3_mN6thrust23THRUST_200600_302600_NS6detail15normal_iteratorINSA_10device_ptrIfEEEEPS6_SG_NS0_5tupleIJSF_S6_EEENSH_IJSG_SG_EEES6_PlJNSB_9not_fun_tI7is_trueIfEEEEEE10hipError_tPvRmT3_T4_T5_T6_T7_T9_mT8_P12ihipStream_tbDpT10_ENKUlT_T0_E_clISt17integral_constantIbLb0EES18_EEDaS13_S14_EUlS13_E_NS1_11comp_targetILNS1_3genE4ELNS1_11target_archE910ELNS1_3gpuE8ELNS1_3repE0EEENS1_30default_config_static_selectorELNS0_4arch9wavefront6targetE0EEEvT1_.num_vgpr, 0
	.set _ZN7rocprim17ROCPRIM_400000_NS6detail17trampoline_kernelINS0_14default_configENS1_25partition_config_selectorILNS1_17partition_subalgoE6EfNS0_10empty_typeEbEEZZNS1_14partition_implILS5_6ELb0ES3_mN6thrust23THRUST_200600_302600_NS6detail15normal_iteratorINSA_10device_ptrIfEEEEPS6_SG_NS0_5tupleIJSF_S6_EEENSH_IJSG_SG_EEES6_PlJNSB_9not_fun_tI7is_trueIfEEEEEE10hipError_tPvRmT3_T4_T5_T6_T7_T9_mT8_P12ihipStream_tbDpT10_ENKUlT_T0_E_clISt17integral_constantIbLb0EES18_EEDaS13_S14_EUlS13_E_NS1_11comp_targetILNS1_3genE4ELNS1_11target_archE910ELNS1_3gpuE8ELNS1_3repE0EEENS1_30default_config_static_selectorELNS0_4arch9wavefront6targetE0EEEvT1_.num_agpr, 0
	.set _ZN7rocprim17ROCPRIM_400000_NS6detail17trampoline_kernelINS0_14default_configENS1_25partition_config_selectorILNS1_17partition_subalgoE6EfNS0_10empty_typeEbEEZZNS1_14partition_implILS5_6ELb0ES3_mN6thrust23THRUST_200600_302600_NS6detail15normal_iteratorINSA_10device_ptrIfEEEEPS6_SG_NS0_5tupleIJSF_S6_EEENSH_IJSG_SG_EEES6_PlJNSB_9not_fun_tI7is_trueIfEEEEEE10hipError_tPvRmT3_T4_T5_T6_T7_T9_mT8_P12ihipStream_tbDpT10_ENKUlT_T0_E_clISt17integral_constantIbLb0EES18_EEDaS13_S14_EUlS13_E_NS1_11comp_targetILNS1_3genE4ELNS1_11target_archE910ELNS1_3gpuE8ELNS1_3repE0EEENS1_30default_config_static_selectorELNS0_4arch9wavefront6targetE0EEEvT1_.numbered_sgpr, 0
	.set _ZN7rocprim17ROCPRIM_400000_NS6detail17trampoline_kernelINS0_14default_configENS1_25partition_config_selectorILNS1_17partition_subalgoE6EfNS0_10empty_typeEbEEZZNS1_14partition_implILS5_6ELb0ES3_mN6thrust23THRUST_200600_302600_NS6detail15normal_iteratorINSA_10device_ptrIfEEEEPS6_SG_NS0_5tupleIJSF_S6_EEENSH_IJSG_SG_EEES6_PlJNSB_9not_fun_tI7is_trueIfEEEEEE10hipError_tPvRmT3_T4_T5_T6_T7_T9_mT8_P12ihipStream_tbDpT10_ENKUlT_T0_E_clISt17integral_constantIbLb0EES18_EEDaS13_S14_EUlS13_E_NS1_11comp_targetILNS1_3genE4ELNS1_11target_archE910ELNS1_3gpuE8ELNS1_3repE0EEENS1_30default_config_static_selectorELNS0_4arch9wavefront6targetE0EEEvT1_.num_named_barrier, 0
	.set _ZN7rocprim17ROCPRIM_400000_NS6detail17trampoline_kernelINS0_14default_configENS1_25partition_config_selectorILNS1_17partition_subalgoE6EfNS0_10empty_typeEbEEZZNS1_14partition_implILS5_6ELb0ES3_mN6thrust23THRUST_200600_302600_NS6detail15normal_iteratorINSA_10device_ptrIfEEEEPS6_SG_NS0_5tupleIJSF_S6_EEENSH_IJSG_SG_EEES6_PlJNSB_9not_fun_tI7is_trueIfEEEEEE10hipError_tPvRmT3_T4_T5_T6_T7_T9_mT8_P12ihipStream_tbDpT10_ENKUlT_T0_E_clISt17integral_constantIbLb0EES18_EEDaS13_S14_EUlS13_E_NS1_11comp_targetILNS1_3genE4ELNS1_11target_archE910ELNS1_3gpuE8ELNS1_3repE0EEENS1_30default_config_static_selectorELNS0_4arch9wavefront6targetE0EEEvT1_.private_seg_size, 0
	.set _ZN7rocprim17ROCPRIM_400000_NS6detail17trampoline_kernelINS0_14default_configENS1_25partition_config_selectorILNS1_17partition_subalgoE6EfNS0_10empty_typeEbEEZZNS1_14partition_implILS5_6ELb0ES3_mN6thrust23THRUST_200600_302600_NS6detail15normal_iteratorINSA_10device_ptrIfEEEEPS6_SG_NS0_5tupleIJSF_S6_EEENSH_IJSG_SG_EEES6_PlJNSB_9not_fun_tI7is_trueIfEEEEEE10hipError_tPvRmT3_T4_T5_T6_T7_T9_mT8_P12ihipStream_tbDpT10_ENKUlT_T0_E_clISt17integral_constantIbLb0EES18_EEDaS13_S14_EUlS13_E_NS1_11comp_targetILNS1_3genE4ELNS1_11target_archE910ELNS1_3gpuE8ELNS1_3repE0EEENS1_30default_config_static_selectorELNS0_4arch9wavefront6targetE0EEEvT1_.uses_vcc, 0
	.set _ZN7rocprim17ROCPRIM_400000_NS6detail17trampoline_kernelINS0_14default_configENS1_25partition_config_selectorILNS1_17partition_subalgoE6EfNS0_10empty_typeEbEEZZNS1_14partition_implILS5_6ELb0ES3_mN6thrust23THRUST_200600_302600_NS6detail15normal_iteratorINSA_10device_ptrIfEEEEPS6_SG_NS0_5tupleIJSF_S6_EEENSH_IJSG_SG_EEES6_PlJNSB_9not_fun_tI7is_trueIfEEEEEE10hipError_tPvRmT3_T4_T5_T6_T7_T9_mT8_P12ihipStream_tbDpT10_ENKUlT_T0_E_clISt17integral_constantIbLb0EES18_EEDaS13_S14_EUlS13_E_NS1_11comp_targetILNS1_3genE4ELNS1_11target_archE910ELNS1_3gpuE8ELNS1_3repE0EEENS1_30default_config_static_selectorELNS0_4arch9wavefront6targetE0EEEvT1_.uses_flat_scratch, 0
	.set _ZN7rocprim17ROCPRIM_400000_NS6detail17trampoline_kernelINS0_14default_configENS1_25partition_config_selectorILNS1_17partition_subalgoE6EfNS0_10empty_typeEbEEZZNS1_14partition_implILS5_6ELb0ES3_mN6thrust23THRUST_200600_302600_NS6detail15normal_iteratorINSA_10device_ptrIfEEEEPS6_SG_NS0_5tupleIJSF_S6_EEENSH_IJSG_SG_EEES6_PlJNSB_9not_fun_tI7is_trueIfEEEEEE10hipError_tPvRmT3_T4_T5_T6_T7_T9_mT8_P12ihipStream_tbDpT10_ENKUlT_T0_E_clISt17integral_constantIbLb0EES18_EEDaS13_S14_EUlS13_E_NS1_11comp_targetILNS1_3genE4ELNS1_11target_archE910ELNS1_3gpuE8ELNS1_3repE0EEENS1_30default_config_static_selectorELNS0_4arch9wavefront6targetE0EEEvT1_.has_dyn_sized_stack, 0
	.set _ZN7rocprim17ROCPRIM_400000_NS6detail17trampoline_kernelINS0_14default_configENS1_25partition_config_selectorILNS1_17partition_subalgoE6EfNS0_10empty_typeEbEEZZNS1_14partition_implILS5_6ELb0ES3_mN6thrust23THRUST_200600_302600_NS6detail15normal_iteratorINSA_10device_ptrIfEEEEPS6_SG_NS0_5tupleIJSF_S6_EEENSH_IJSG_SG_EEES6_PlJNSB_9not_fun_tI7is_trueIfEEEEEE10hipError_tPvRmT3_T4_T5_T6_T7_T9_mT8_P12ihipStream_tbDpT10_ENKUlT_T0_E_clISt17integral_constantIbLb0EES18_EEDaS13_S14_EUlS13_E_NS1_11comp_targetILNS1_3genE4ELNS1_11target_archE910ELNS1_3gpuE8ELNS1_3repE0EEENS1_30default_config_static_selectorELNS0_4arch9wavefront6targetE0EEEvT1_.has_recursion, 0
	.set _ZN7rocprim17ROCPRIM_400000_NS6detail17trampoline_kernelINS0_14default_configENS1_25partition_config_selectorILNS1_17partition_subalgoE6EfNS0_10empty_typeEbEEZZNS1_14partition_implILS5_6ELb0ES3_mN6thrust23THRUST_200600_302600_NS6detail15normal_iteratorINSA_10device_ptrIfEEEEPS6_SG_NS0_5tupleIJSF_S6_EEENSH_IJSG_SG_EEES6_PlJNSB_9not_fun_tI7is_trueIfEEEEEE10hipError_tPvRmT3_T4_T5_T6_T7_T9_mT8_P12ihipStream_tbDpT10_ENKUlT_T0_E_clISt17integral_constantIbLb0EES18_EEDaS13_S14_EUlS13_E_NS1_11comp_targetILNS1_3genE4ELNS1_11target_archE910ELNS1_3gpuE8ELNS1_3repE0EEENS1_30default_config_static_selectorELNS0_4arch9wavefront6targetE0EEEvT1_.has_indirect_call, 0
	.section	.AMDGPU.csdata,"",@progbits
; Kernel info:
; codeLenInByte = 0
; TotalNumSgprs: 0
; NumVgprs: 0
; ScratchSize: 0
; MemoryBound: 0
; FloatMode: 240
; IeeeMode: 1
; LDSByteSize: 0 bytes/workgroup (compile time only)
; SGPRBlocks: 0
; VGPRBlocks: 0
; NumSGPRsForWavesPerEU: 1
; NumVGPRsForWavesPerEU: 1
; Occupancy: 16
; WaveLimiterHint : 0
; COMPUTE_PGM_RSRC2:SCRATCH_EN: 0
; COMPUTE_PGM_RSRC2:USER_SGPR: 2
; COMPUTE_PGM_RSRC2:TRAP_HANDLER: 0
; COMPUTE_PGM_RSRC2:TGID_X_EN: 1
; COMPUTE_PGM_RSRC2:TGID_Y_EN: 0
; COMPUTE_PGM_RSRC2:TGID_Z_EN: 0
; COMPUTE_PGM_RSRC2:TIDIG_COMP_CNT: 0
	.section	.text._ZN7rocprim17ROCPRIM_400000_NS6detail17trampoline_kernelINS0_14default_configENS1_25partition_config_selectorILNS1_17partition_subalgoE6EfNS0_10empty_typeEbEEZZNS1_14partition_implILS5_6ELb0ES3_mN6thrust23THRUST_200600_302600_NS6detail15normal_iteratorINSA_10device_ptrIfEEEEPS6_SG_NS0_5tupleIJSF_S6_EEENSH_IJSG_SG_EEES6_PlJNSB_9not_fun_tI7is_trueIfEEEEEE10hipError_tPvRmT3_T4_T5_T6_T7_T9_mT8_P12ihipStream_tbDpT10_ENKUlT_T0_E_clISt17integral_constantIbLb0EES18_EEDaS13_S14_EUlS13_E_NS1_11comp_targetILNS1_3genE3ELNS1_11target_archE908ELNS1_3gpuE7ELNS1_3repE0EEENS1_30default_config_static_selectorELNS0_4arch9wavefront6targetE0EEEvT1_,"axG",@progbits,_ZN7rocprim17ROCPRIM_400000_NS6detail17trampoline_kernelINS0_14default_configENS1_25partition_config_selectorILNS1_17partition_subalgoE6EfNS0_10empty_typeEbEEZZNS1_14partition_implILS5_6ELb0ES3_mN6thrust23THRUST_200600_302600_NS6detail15normal_iteratorINSA_10device_ptrIfEEEEPS6_SG_NS0_5tupleIJSF_S6_EEENSH_IJSG_SG_EEES6_PlJNSB_9not_fun_tI7is_trueIfEEEEEE10hipError_tPvRmT3_T4_T5_T6_T7_T9_mT8_P12ihipStream_tbDpT10_ENKUlT_T0_E_clISt17integral_constantIbLb0EES18_EEDaS13_S14_EUlS13_E_NS1_11comp_targetILNS1_3genE3ELNS1_11target_archE908ELNS1_3gpuE7ELNS1_3repE0EEENS1_30default_config_static_selectorELNS0_4arch9wavefront6targetE0EEEvT1_,comdat
	.protected	_ZN7rocprim17ROCPRIM_400000_NS6detail17trampoline_kernelINS0_14default_configENS1_25partition_config_selectorILNS1_17partition_subalgoE6EfNS0_10empty_typeEbEEZZNS1_14partition_implILS5_6ELb0ES3_mN6thrust23THRUST_200600_302600_NS6detail15normal_iteratorINSA_10device_ptrIfEEEEPS6_SG_NS0_5tupleIJSF_S6_EEENSH_IJSG_SG_EEES6_PlJNSB_9not_fun_tI7is_trueIfEEEEEE10hipError_tPvRmT3_T4_T5_T6_T7_T9_mT8_P12ihipStream_tbDpT10_ENKUlT_T0_E_clISt17integral_constantIbLb0EES18_EEDaS13_S14_EUlS13_E_NS1_11comp_targetILNS1_3genE3ELNS1_11target_archE908ELNS1_3gpuE7ELNS1_3repE0EEENS1_30default_config_static_selectorELNS0_4arch9wavefront6targetE0EEEvT1_ ; -- Begin function _ZN7rocprim17ROCPRIM_400000_NS6detail17trampoline_kernelINS0_14default_configENS1_25partition_config_selectorILNS1_17partition_subalgoE6EfNS0_10empty_typeEbEEZZNS1_14partition_implILS5_6ELb0ES3_mN6thrust23THRUST_200600_302600_NS6detail15normal_iteratorINSA_10device_ptrIfEEEEPS6_SG_NS0_5tupleIJSF_S6_EEENSH_IJSG_SG_EEES6_PlJNSB_9not_fun_tI7is_trueIfEEEEEE10hipError_tPvRmT3_T4_T5_T6_T7_T9_mT8_P12ihipStream_tbDpT10_ENKUlT_T0_E_clISt17integral_constantIbLb0EES18_EEDaS13_S14_EUlS13_E_NS1_11comp_targetILNS1_3genE3ELNS1_11target_archE908ELNS1_3gpuE7ELNS1_3repE0EEENS1_30default_config_static_selectorELNS0_4arch9wavefront6targetE0EEEvT1_
	.globl	_ZN7rocprim17ROCPRIM_400000_NS6detail17trampoline_kernelINS0_14default_configENS1_25partition_config_selectorILNS1_17partition_subalgoE6EfNS0_10empty_typeEbEEZZNS1_14partition_implILS5_6ELb0ES3_mN6thrust23THRUST_200600_302600_NS6detail15normal_iteratorINSA_10device_ptrIfEEEEPS6_SG_NS0_5tupleIJSF_S6_EEENSH_IJSG_SG_EEES6_PlJNSB_9not_fun_tI7is_trueIfEEEEEE10hipError_tPvRmT3_T4_T5_T6_T7_T9_mT8_P12ihipStream_tbDpT10_ENKUlT_T0_E_clISt17integral_constantIbLb0EES18_EEDaS13_S14_EUlS13_E_NS1_11comp_targetILNS1_3genE3ELNS1_11target_archE908ELNS1_3gpuE7ELNS1_3repE0EEENS1_30default_config_static_selectorELNS0_4arch9wavefront6targetE0EEEvT1_
	.p2align	8
	.type	_ZN7rocprim17ROCPRIM_400000_NS6detail17trampoline_kernelINS0_14default_configENS1_25partition_config_selectorILNS1_17partition_subalgoE6EfNS0_10empty_typeEbEEZZNS1_14partition_implILS5_6ELb0ES3_mN6thrust23THRUST_200600_302600_NS6detail15normal_iteratorINSA_10device_ptrIfEEEEPS6_SG_NS0_5tupleIJSF_S6_EEENSH_IJSG_SG_EEES6_PlJNSB_9not_fun_tI7is_trueIfEEEEEE10hipError_tPvRmT3_T4_T5_T6_T7_T9_mT8_P12ihipStream_tbDpT10_ENKUlT_T0_E_clISt17integral_constantIbLb0EES18_EEDaS13_S14_EUlS13_E_NS1_11comp_targetILNS1_3genE3ELNS1_11target_archE908ELNS1_3gpuE7ELNS1_3repE0EEENS1_30default_config_static_selectorELNS0_4arch9wavefront6targetE0EEEvT1_,@function
_ZN7rocprim17ROCPRIM_400000_NS6detail17trampoline_kernelINS0_14default_configENS1_25partition_config_selectorILNS1_17partition_subalgoE6EfNS0_10empty_typeEbEEZZNS1_14partition_implILS5_6ELb0ES3_mN6thrust23THRUST_200600_302600_NS6detail15normal_iteratorINSA_10device_ptrIfEEEEPS6_SG_NS0_5tupleIJSF_S6_EEENSH_IJSG_SG_EEES6_PlJNSB_9not_fun_tI7is_trueIfEEEEEE10hipError_tPvRmT3_T4_T5_T6_T7_T9_mT8_P12ihipStream_tbDpT10_ENKUlT_T0_E_clISt17integral_constantIbLb0EES18_EEDaS13_S14_EUlS13_E_NS1_11comp_targetILNS1_3genE3ELNS1_11target_archE908ELNS1_3gpuE7ELNS1_3repE0EEENS1_30default_config_static_selectorELNS0_4arch9wavefront6targetE0EEEvT1_: ; @_ZN7rocprim17ROCPRIM_400000_NS6detail17trampoline_kernelINS0_14default_configENS1_25partition_config_selectorILNS1_17partition_subalgoE6EfNS0_10empty_typeEbEEZZNS1_14partition_implILS5_6ELb0ES3_mN6thrust23THRUST_200600_302600_NS6detail15normal_iteratorINSA_10device_ptrIfEEEEPS6_SG_NS0_5tupleIJSF_S6_EEENSH_IJSG_SG_EEES6_PlJNSB_9not_fun_tI7is_trueIfEEEEEE10hipError_tPvRmT3_T4_T5_T6_T7_T9_mT8_P12ihipStream_tbDpT10_ENKUlT_T0_E_clISt17integral_constantIbLb0EES18_EEDaS13_S14_EUlS13_E_NS1_11comp_targetILNS1_3genE3ELNS1_11target_archE908ELNS1_3gpuE7ELNS1_3repE0EEENS1_30default_config_static_selectorELNS0_4arch9wavefront6targetE0EEEvT1_
; %bb.0:
	.section	.rodata,"a",@progbits
	.p2align	6, 0x0
	.amdhsa_kernel _ZN7rocprim17ROCPRIM_400000_NS6detail17trampoline_kernelINS0_14default_configENS1_25partition_config_selectorILNS1_17partition_subalgoE6EfNS0_10empty_typeEbEEZZNS1_14partition_implILS5_6ELb0ES3_mN6thrust23THRUST_200600_302600_NS6detail15normal_iteratorINSA_10device_ptrIfEEEEPS6_SG_NS0_5tupleIJSF_S6_EEENSH_IJSG_SG_EEES6_PlJNSB_9not_fun_tI7is_trueIfEEEEEE10hipError_tPvRmT3_T4_T5_T6_T7_T9_mT8_P12ihipStream_tbDpT10_ENKUlT_T0_E_clISt17integral_constantIbLb0EES18_EEDaS13_S14_EUlS13_E_NS1_11comp_targetILNS1_3genE3ELNS1_11target_archE908ELNS1_3gpuE7ELNS1_3repE0EEENS1_30default_config_static_selectorELNS0_4arch9wavefront6targetE0EEEvT1_
		.amdhsa_group_segment_fixed_size 0
		.amdhsa_private_segment_fixed_size 0
		.amdhsa_kernarg_size 112
		.amdhsa_user_sgpr_count 2
		.amdhsa_user_sgpr_dispatch_ptr 0
		.amdhsa_user_sgpr_queue_ptr 0
		.amdhsa_user_sgpr_kernarg_segment_ptr 1
		.amdhsa_user_sgpr_dispatch_id 0
		.amdhsa_user_sgpr_private_segment_size 0
		.amdhsa_wavefront_size32 1
		.amdhsa_uses_dynamic_stack 0
		.amdhsa_enable_private_segment 0
		.amdhsa_system_sgpr_workgroup_id_x 1
		.amdhsa_system_sgpr_workgroup_id_y 0
		.amdhsa_system_sgpr_workgroup_id_z 0
		.amdhsa_system_sgpr_workgroup_info 0
		.amdhsa_system_vgpr_workitem_id 0
		.amdhsa_next_free_vgpr 1
		.amdhsa_next_free_sgpr 1
		.amdhsa_reserve_vcc 0
		.amdhsa_float_round_mode_32 0
		.amdhsa_float_round_mode_16_64 0
		.amdhsa_float_denorm_mode_32 3
		.amdhsa_float_denorm_mode_16_64 3
		.amdhsa_fp16_overflow 0
		.amdhsa_workgroup_processor_mode 1
		.amdhsa_memory_ordered 1
		.amdhsa_forward_progress 1
		.amdhsa_inst_pref_size 0
		.amdhsa_round_robin_scheduling 0
		.amdhsa_exception_fp_ieee_invalid_op 0
		.amdhsa_exception_fp_denorm_src 0
		.amdhsa_exception_fp_ieee_div_zero 0
		.amdhsa_exception_fp_ieee_overflow 0
		.amdhsa_exception_fp_ieee_underflow 0
		.amdhsa_exception_fp_ieee_inexact 0
		.amdhsa_exception_int_div_zero 0
	.end_amdhsa_kernel
	.section	.text._ZN7rocprim17ROCPRIM_400000_NS6detail17trampoline_kernelINS0_14default_configENS1_25partition_config_selectorILNS1_17partition_subalgoE6EfNS0_10empty_typeEbEEZZNS1_14partition_implILS5_6ELb0ES3_mN6thrust23THRUST_200600_302600_NS6detail15normal_iteratorINSA_10device_ptrIfEEEEPS6_SG_NS0_5tupleIJSF_S6_EEENSH_IJSG_SG_EEES6_PlJNSB_9not_fun_tI7is_trueIfEEEEEE10hipError_tPvRmT3_T4_T5_T6_T7_T9_mT8_P12ihipStream_tbDpT10_ENKUlT_T0_E_clISt17integral_constantIbLb0EES18_EEDaS13_S14_EUlS13_E_NS1_11comp_targetILNS1_3genE3ELNS1_11target_archE908ELNS1_3gpuE7ELNS1_3repE0EEENS1_30default_config_static_selectorELNS0_4arch9wavefront6targetE0EEEvT1_,"axG",@progbits,_ZN7rocprim17ROCPRIM_400000_NS6detail17trampoline_kernelINS0_14default_configENS1_25partition_config_selectorILNS1_17partition_subalgoE6EfNS0_10empty_typeEbEEZZNS1_14partition_implILS5_6ELb0ES3_mN6thrust23THRUST_200600_302600_NS6detail15normal_iteratorINSA_10device_ptrIfEEEEPS6_SG_NS0_5tupleIJSF_S6_EEENSH_IJSG_SG_EEES6_PlJNSB_9not_fun_tI7is_trueIfEEEEEE10hipError_tPvRmT3_T4_T5_T6_T7_T9_mT8_P12ihipStream_tbDpT10_ENKUlT_T0_E_clISt17integral_constantIbLb0EES18_EEDaS13_S14_EUlS13_E_NS1_11comp_targetILNS1_3genE3ELNS1_11target_archE908ELNS1_3gpuE7ELNS1_3repE0EEENS1_30default_config_static_selectorELNS0_4arch9wavefront6targetE0EEEvT1_,comdat
.Lfunc_end1080:
	.size	_ZN7rocprim17ROCPRIM_400000_NS6detail17trampoline_kernelINS0_14default_configENS1_25partition_config_selectorILNS1_17partition_subalgoE6EfNS0_10empty_typeEbEEZZNS1_14partition_implILS5_6ELb0ES3_mN6thrust23THRUST_200600_302600_NS6detail15normal_iteratorINSA_10device_ptrIfEEEEPS6_SG_NS0_5tupleIJSF_S6_EEENSH_IJSG_SG_EEES6_PlJNSB_9not_fun_tI7is_trueIfEEEEEE10hipError_tPvRmT3_T4_T5_T6_T7_T9_mT8_P12ihipStream_tbDpT10_ENKUlT_T0_E_clISt17integral_constantIbLb0EES18_EEDaS13_S14_EUlS13_E_NS1_11comp_targetILNS1_3genE3ELNS1_11target_archE908ELNS1_3gpuE7ELNS1_3repE0EEENS1_30default_config_static_selectorELNS0_4arch9wavefront6targetE0EEEvT1_, .Lfunc_end1080-_ZN7rocprim17ROCPRIM_400000_NS6detail17trampoline_kernelINS0_14default_configENS1_25partition_config_selectorILNS1_17partition_subalgoE6EfNS0_10empty_typeEbEEZZNS1_14partition_implILS5_6ELb0ES3_mN6thrust23THRUST_200600_302600_NS6detail15normal_iteratorINSA_10device_ptrIfEEEEPS6_SG_NS0_5tupleIJSF_S6_EEENSH_IJSG_SG_EEES6_PlJNSB_9not_fun_tI7is_trueIfEEEEEE10hipError_tPvRmT3_T4_T5_T6_T7_T9_mT8_P12ihipStream_tbDpT10_ENKUlT_T0_E_clISt17integral_constantIbLb0EES18_EEDaS13_S14_EUlS13_E_NS1_11comp_targetILNS1_3genE3ELNS1_11target_archE908ELNS1_3gpuE7ELNS1_3repE0EEENS1_30default_config_static_selectorELNS0_4arch9wavefront6targetE0EEEvT1_
                                        ; -- End function
	.set _ZN7rocprim17ROCPRIM_400000_NS6detail17trampoline_kernelINS0_14default_configENS1_25partition_config_selectorILNS1_17partition_subalgoE6EfNS0_10empty_typeEbEEZZNS1_14partition_implILS5_6ELb0ES3_mN6thrust23THRUST_200600_302600_NS6detail15normal_iteratorINSA_10device_ptrIfEEEEPS6_SG_NS0_5tupleIJSF_S6_EEENSH_IJSG_SG_EEES6_PlJNSB_9not_fun_tI7is_trueIfEEEEEE10hipError_tPvRmT3_T4_T5_T6_T7_T9_mT8_P12ihipStream_tbDpT10_ENKUlT_T0_E_clISt17integral_constantIbLb0EES18_EEDaS13_S14_EUlS13_E_NS1_11comp_targetILNS1_3genE3ELNS1_11target_archE908ELNS1_3gpuE7ELNS1_3repE0EEENS1_30default_config_static_selectorELNS0_4arch9wavefront6targetE0EEEvT1_.num_vgpr, 0
	.set _ZN7rocprim17ROCPRIM_400000_NS6detail17trampoline_kernelINS0_14default_configENS1_25partition_config_selectorILNS1_17partition_subalgoE6EfNS0_10empty_typeEbEEZZNS1_14partition_implILS5_6ELb0ES3_mN6thrust23THRUST_200600_302600_NS6detail15normal_iteratorINSA_10device_ptrIfEEEEPS6_SG_NS0_5tupleIJSF_S6_EEENSH_IJSG_SG_EEES6_PlJNSB_9not_fun_tI7is_trueIfEEEEEE10hipError_tPvRmT3_T4_T5_T6_T7_T9_mT8_P12ihipStream_tbDpT10_ENKUlT_T0_E_clISt17integral_constantIbLb0EES18_EEDaS13_S14_EUlS13_E_NS1_11comp_targetILNS1_3genE3ELNS1_11target_archE908ELNS1_3gpuE7ELNS1_3repE0EEENS1_30default_config_static_selectorELNS0_4arch9wavefront6targetE0EEEvT1_.num_agpr, 0
	.set _ZN7rocprim17ROCPRIM_400000_NS6detail17trampoline_kernelINS0_14default_configENS1_25partition_config_selectorILNS1_17partition_subalgoE6EfNS0_10empty_typeEbEEZZNS1_14partition_implILS5_6ELb0ES3_mN6thrust23THRUST_200600_302600_NS6detail15normal_iteratorINSA_10device_ptrIfEEEEPS6_SG_NS0_5tupleIJSF_S6_EEENSH_IJSG_SG_EEES6_PlJNSB_9not_fun_tI7is_trueIfEEEEEE10hipError_tPvRmT3_T4_T5_T6_T7_T9_mT8_P12ihipStream_tbDpT10_ENKUlT_T0_E_clISt17integral_constantIbLb0EES18_EEDaS13_S14_EUlS13_E_NS1_11comp_targetILNS1_3genE3ELNS1_11target_archE908ELNS1_3gpuE7ELNS1_3repE0EEENS1_30default_config_static_selectorELNS0_4arch9wavefront6targetE0EEEvT1_.numbered_sgpr, 0
	.set _ZN7rocprim17ROCPRIM_400000_NS6detail17trampoline_kernelINS0_14default_configENS1_25partition_config_selectorILNS1_17partition_subalgoE6EfNS0_10empty_typeEbEEZZNS1_14partition_implILS5_6ELb0ES3_mN6thrust23THRUST_200600_302600_NS6detail15normal_iteratorINSA_10device_ptrIfEEEEPS6_SG_NS0_5tupleIJSF_S6_EEENSH_IJSG_SG_EEES6_PlJNSB_9not_fun_tI7is_trueIfEEEEEE10hipError_tPvRmT3_T4_T5_T6_T7_T9_mT8_P12ihipStream_tbDpT10_ENKUlT_T0_E_clISt17integral_constantIbLb0EES18_EEDaS13_S14_EUlS13_E_NS1_11comp_targetILNS1_3genE3ELNS1_11target_archE908ELNS1_3gpuE7ELNS1_3repE0EEENS1_30default_config_static_selectorELNS0_4arch9wavefront6targetE0EEEvT1_.num_named_barrier, 0
	.set _ZN7rocprim17ROCPRIM_400000_NS6detail17trampoline_kernelINS0_14default_configENS1_25partition_config_selectorILNS1_17partition_subalgoE6EfNS0_10empty_typeEbEEZZNS1_14partition_implILS5_6ELb0ES3_mN6thrust23THRUST_200600_302600_NS6detail15normal_iteratorINSA_10device_ptrIfEEEEPS6_SG_NS0_5tupleIJSF_S6_EEENSH_IJSG_SG_EEES6_PlJNSB_9not_fun_tI7is_trueIfEEEEEE10hipError_tPvRmT3_T4_T5_T6_T7_T9_mT8_P12ihipStream_tbDpT10_ENKUlT_T0_E_clISt17integral_constantIbLb0EES18_EEDaS13_S14_EUlS13_E_NS1_11comp_targetILNS1_3genE3ELNS1_11target_archE908ELNS1_3gpuE7ELNS1_3repE0EEENS1_30default_config_static_selectorELNS0_4arch9wavefront6targetE0EEEvT1_.private_seg_size, 0
	.set _ZN7rocprim17ROCPRIM_400000_NS6detail17trampoline_kernelINS0_14default_configENS1_25partition_config_selectorILNS1_17partition_subalgoE6EfNS0_10empty_typeEbEEZZNS1_14partition_implILS5_6ELb0ES3_mN6thrust23THRUST_200600_302600_NS6detail15normal_iteratorINSA_10device_ptrIfEEEEPS6_SG_NS0_5tupleIJSF_S6_EEENSH_IJSG_SG_EEES6_PlJNSB_9not_fun_tI7is_trueIfEEEEEE10hipError_tPvRmT3_T4_T5_T6_T7_T9_mT8_P12ihipStream_tbDpT10_ENKUlT_T0_E_clISt17integral_constantIbLb0EES18_EEDaS13_S14_EUlS13_E_NS1_11comp_targetILNS1_3genE3ELNS1_11target_archE908ELNS1_3gpuE7ELNS1_3repE0EEENS1_30default_config_static_selectorELNS0_4arch9wavefront6targetE0EEEvT1_.uses_vcc, 0
	.set _ZN7rocprim17ROCPRIM_400000_NS6detail17trampoline_kernelINS0_14default_configENS1_25partition_config_selectorILNS1_17partition_subalgoE6EfNS0_10empty_typeEbEEZZNS1_14partition_implILS5_6ELb0ES3_mN6thrust23THRUST_200600_302600_NS6detail15normal_iteratorINSA_10device_ptrIfEEEEPS6_SG_NS0_5tupleIJSF_S6_EEENSH_IJSG_SG_EEES6_PlJNSB_9not_fun_tI7is_trueIfEEEEEE10hipError_tPvRmT3_T4_T5_T6_T7_T9_mT8_P12ihipStream_tbDpT10_ENKUlT_T0_E_clISt17integral_constantIbLb0EES18_EEDaS13_S14_EUlS13_E_NS1_11comp_targetILNS1_3genE3ELNS1_11target_archE908ELNS1_3gpuE7ELNS1_3repE0EEENS1_30default_config_static_selectorELNS0_4arch9wavefront6targetE0EEEvT1_.uses_flat_scratch, 0
	.set _ZN7rocprim17ROCPRIM_400000_NS6detail17trampoline_kernelINS0_14default_configENS1_25partition_config_selectorILNS1_17partition_subalgoE6EfNS0_10empty_typeEbEEZZNS1_14partition_implILS5_6ELb0ES3_mN6thrust23THRUST_200600_302600_NS6detail15normal_iteratorINSA_10device_ptrIfEEEEPS6_SG_NS0_5tupleIJSF_S6_EEENSH_IJSG_SG_EEES6_PlJNSB_9not_fun_tI7is_trueIfEEEEEE10hipError_tPvRmT3_T4_T5_T6_T7_T9_mT8_P12ihipStream_tbDpT10_ENKUlT_T0_E_clISt17integral_constantIbLb0EES18_EEDaS13_S14_EUlS13_E_NS1_11comp_targetILNS1_3genE3ELNS1_11target_archE908ELNS1_3gpuE7ELNS1_3repE0EEENS1_30default_config_static_selectorELNS0_4arch9wavefront6targetE0EEEvT1_.has_dyn_sized_stack, 0
	.set _ZN7rocprim17ROCPRIM_400000_NS6detail17trampoline_kernelINS0_14default_configENS1_25partition_config_selectorILNS1_17partition_subalgoE6EfNS0_10empty_typeEbEEZZNS1_14partition_implILS5_6ELb0ES3_mN6thrust23THRUST_200600_302600_NS6detail15normal_iteratorINSA_10device_ptrIfEEEEPS6_SG_NS0_5tupleIJSF_S6_EEENSH_IJSG_SG_EEES6_PlJNSB_9not_fun_tI7is_trueIfEEEEEE10hipError_tPvRmT3_T4_T5_T6_T7_T9_mT8_P12ihipStream_tbDpT10_ENKUlT_T0_E_clISt17integral_constantIbLb0EES18_EEDaS13_S14_EUlS13_E_NS1_11comp_targetILNS1_3genE3ELNS1_11target_archE908ELNS1_3gpuE7ELNS1_3repE0EEENS1_30default_config_static_selectorELNS0_4arch9wavefront6targetE0EEEvT1_.has_recursion, 0
	.set _ZN7rocprim17ROCPRIM_400000_NS6detail17trampoline_kernelINS0_14default_configENS1_25partition_config_selectorILNS1_17partition_subalgoE6EfNS0_10empty_typeEbEEZZNS1_14partition_implILS5_6ELb0ES3_mN6thrust23THRUST_200600_302600_NS6detail15normal_iteratorINSA_10device_ptrIfEEEEPS6_SG_NS0_5tupleIJSF_S6_EEENSH_IJSG_SG_EEES6_PlJNSB_9not_fun_tI7is_trueIfEEEEEE10hipError_tPvRmT3_T4_T5_T6_T7_T9_mT8_P12ihipStream_tbDpT10_ENKUlT_T0_E_clISt17integral_constantIbLb0EES18_EEDaS13_S14_EUlS13_E_NS1_11comp_targetILNS1_3genE3ELNS1_11target_archE908ELNS1_3gpuE7ELNS1_3repE0EEENS1_30default_config_static_selectorELNS0_4arch9wavefront6targetE0EEEvT1_.has_indirect_call, 0
	.section	.AMDGPU.csdata,"",@progbits
; Kernel info:
; codeLenInByte = 0
; TotalNumSgprs: 0
; NumVgprs: 0
; ScratchSize: 0
; MemoryBound: 0
; FloatMode: 240
; IeeeMode: 1
; LDSByteSize: 0 bytes/workgroup (compile time only)
; SGPRBlocks: 0
; VGPRBlocks: 0
; NumSGPRsForWavesPerEU: 1
; NumVGPRsForWavesPerEU: 1
; Occupancy: 16
; WaveLimiterHint : 0
; COMPUTE_PGM_RSRC2:SCRATCH_EN: 0
; COMPUTE_PGM_RSRC2:USER_SGPR: 2
; COMPUTE_PGM_RSRC2:TRAP_HANDLER: 0
; COMPUTE_PGM_RSRC2:TGID_X_EN: 1
; COMPUTE_PGM_RSRC2:TGID_Y_EN: 0
; COMPUTE_PGM_RSRC2:TGID_Z_EN: 0
; COMPUTE_PGM_RSRC2:TIDIG_COMP_CNT: 0
	.section	.text._ZN7rocprim17ROCPRIM_400000_NS6detail17trampoline_kernelINS0_14default_configENS1_25partition_config_selectorILNS1_17partition_subalgoE6EfNS0_10empty_typeEbEEZZNS1_14partition_implILS5_6ELb0ES3_mN6thrust23THRUST_200600_302600_NS6detail15normal_iteratorINSA_10device_ptrIfEEEEPS6_SG_NS0_5tupleIJSF_S6_EEENSH_IJSG_SG_EEES6_PlJNSB_9not_fun_tI7is_trueIfEEEEEE10hipError_tPvRmT3_T4_T5_T6_T7_T9_mT8_P12ihipStream_tbDpT10_ENKUlT_T0_E_clISt17integral_constantIbLb0EES18_EEDaS13_S14_EUlS13_E_NS1_11comp_targetILNS1_3genE2ELNS1_11target_archE906ELNS1_3gpuE6ELNS1_3repE0EEENS1_30default_config_static_selectorELNS0_4arch9wavefront6targetE0EEEvT1_,"axG",@progbits,_ZN7rocprim17ROCPRIM_400000_NS6detail17trampoline_kernelINS0_14default_configENS1_25partition_config_selectorILNS1_17partition_subalgoE6EfNS0_10empty_typeEbEEZZNS1_14partition_implILS5_6ELb0ES3_mN6thrust23THRUST_200600_302600_NS6detail15normal_iteratorINSA_10device_ptrIfEEEEPS6_SG_NS0_5tupleIJSF_S6_EEENSH_IJSG_SG_EEES6_PlJNSB_9not_fun_tI7is_trueIfEEEEEE10hipError_tPvRmT3_T4_T5_T6_T7_T9_mT8_P12ihipStream_tbDpT10_ENKUlT_T0_E_clISt17integral_constantIbLb0EES18_EEDaS13_S14_EUlS13_E_NS1_11comp_targetILNS1_3genE2ELNS1_11target_archE906ELNS1_3gpuE6ELNS1_3repE0EEENS1_30default_config_static_selectorELNS0_4arch9wavefront6targetE0EEEvT1_,comdat
	.protected	_ZN7rocprim17ROCPRIM_400000_NS6detail17trampoline_kernelINS0_14default_configENS1_25partition_config_selectorILNS1_17partition_subalgoE6EfNS0_10empty_typeEbEEZZNS1_14partition_implILS5_6ELb0ES3_mN6thrust23THRUST_200600_302600_NS6detail15normal_iteratorINSA_10device_ptrIfEEEEPS6_SG_NS0_5tupleIJSF_S6_EEENSH_IJSG_SG_EEES6_PlJNSB_9not_fun_tI7is_trueIfEEEEEE10hipError_tPvRmT3_T4_T5_T6_T7_T9_mT8_P12ihipStream_tbDpT10_ENKUlT_T0_E_clISt17integral_constantIbLb0EES18_EEDaS13_S14_EUlS13_E_NS1_11comp_targetILNS1_3genE2ELNS1_11target_archE906ELNS1_3gpuE6ELNS1_3repE0EEENS1_30default_config_static_selectorELNS0_4arch9wavefront6targetE0EEEvT1_ ; -- Begin function _ZN7rocprim17ROCPRIM_400000_NS6detail17trampoline_kernelINS0_14default_configENS1_25partition_config_selectorILNS1_17partition_subalgoE6EfNS0_10empty_typeEbEEZZNS1_14partition_implILS5_6ELb0ES3_mN6thrust23THRUST_200600_302600_NS6detail15normal_iteratorINSA_10device_ptrIfEEEEPS6_SG_NS0_5tupleIJSF_S6_EEENSH_IJSG_SG_EEES6_PlJNSB_9not_fun_tI7is_trueIfEEEEEE10hipError_tPvRmT3_T4_T5_T6_T7_T9_mT8_P12ihipStream_tbDpT10_ENKUlT_T0_E_clISt17integral_constantIbLb0EES18_EEDaS13_S14_EUlS13_E_NS1_11comp_targetILNS1_3genE2ELNS1_11target_archE906ELNS1_3gpuE6ELNS1_3repE0EEENS1_30default_config_static_selectorELNS0_4arch9wavefront6targetE0EEEvT1_
	.globl	_ZN7rocprim17ROCPRIM_400000_NS6detail17trampoline_kernelINS0_14default_configENS1_25partition_config_selectorILNS1_17partition_subalgoE6EfNS0_10empty_typeEbEEZZNS1_14partition_implILS5_6ELb0ES3_mN6thrust23THRUST_200600_302600_NS6detail15normal_iteratorINSA_10device_ptrIfEEEEPS6_SG_NS0_5tupleIJSF_S6_EEENSH_IJSG_SG_EEES6_PlJNSB_9not_fun_tI7is_trueIfEEEEEE10hipError_tPvRmT3_T4_T5_T6_T7_T9_mT8_P12ihipStream_tbDpT10_ENKUlT_T0_E_clISt17integral_constantIbLb0EES18_EEDaS13_S14_EUlS13_E_NS1_11comp_targetILNS1_3genE2ELNS1_11target_archE906ELNS1_3gpuE6ELNS1_3repE0EEENS1_30default_config_static_selectorELNS0_4arch9wavefront6targetE0EEEvT1_
	.p2align	8
	.type	_ZN7rocprim17ROCPRIM_400000_NS6detail17trampoline_kernelINS0_14default_configENS1_25partition_config_selectorILNS1_17partition_subalgoE6EfNS0_10empty_typeEbEEZZNS1_14partition_implILS5_6ELb0ES3_mN6thrust23THRUST_200600_302600_NS6detail15normal_iteratorINSA_10device_ptrIfEEEEPS6_SG_NS0_5tupleIJSF_S6_EEENSH_IJSG_SG_EEES6_PlJNSB_9not_fun_tI7is_trueIfEEEEEE10hipError_tPvRmT3_T4_T5_T6_T7_T9_mT8_P12ihipStream_tbDpT10_ENKUlT_T0_E_clISt17integral_constantIbLb0EES18_EEDaS13_S14_EUlS13_E_NS1_11comp_targetILNS1_3genE2ELNS1_11target_archE906ELNS1_3gpuE6ELNS1_3repE0EEENS1_30default_config_static_selectorELNS0_4arch9wavefront6targetE0EEEvT1_,@function
_ZN7rocprim17ROCPRIM_400000_NS6detail17trampoline_kernelINS0_14default_configENS1_25partition_config_selectorILNS1_17partition_subalgoE6EfNS0_10empty_typeEbEEZZNS1_14partition_implILS5_6ELb0ES3_mN6thrust23THRUST_200600_302600_NS6detail15normal_iteratorINSA_10device_ptrIfEEEEPS6_SG_NS0_5tupleIJSF_S6_EEENSH_IJSG_SG_EEES6_PlJNSB_9not_fun_tI7is_trueIfEEEEEE10hipError_tPvRmT3_T4_T5_T6_T7_T9_mT8_P12ihipStream_tbDpT10_ENKUlT_T0_E_clISt17integral_constantIbLb0EES18_EEDaS13_S14_EUlS13_E_NS1_11comp_targetILNS1_3genE2ELNS1_11target_archE906ELNS1_3gpuE6ELNS1_3repE0EEENS1_30default_config_static_selectorELNS0_4arch9wavefront6targetE0EEEvT1_: ; @_ZN7rocprim17ROCPRIM_400000_NS6detail17trampoline_kernelINS0_14default_configENS1_25partition_config_selectorILNS1_17partition_subalgoE6EfNS0_10empty_typeEbEEZZNS1_14partition_implILS5_6ELb0ES3_mN6thrust23THRUST_200600_302600_NS6detail15normal_iteratorINSA_10device_ptrIfEEEEPS6_SG_NS0_5tupleIJSF_S6_EEENSH_IJSG_SG_EEES6_PlJNSB_9not_fun_tI7is_trueIfEEEEEE10hipError_tPvRmT3_T4_T5_T6_T7_T9_mT8_P12ihipStream_tbDpT10_ENKUlT_T0_E_clISt17integral_constantIbLb0EES18_EEDaS13_S14_EUlS13_E_NS1_11comp_targetILNS1_3genE2ELNS1_11target_archE906ELNS1_3gpuE6ELNS1_3repE0EEENS1_30default_config_static_selectorELNS0_4arch9wavefront6targetE0EEEvT1_
; %bb.0:
	.section	.rodata,"a",@progbits
	.p2align	6, 0x0
	.amdhsa_kernel _ZN7rocprim17ROCPRIM_400000_NS6detail17trampoline_kernelINS0_14default_configENS1_25partition_config_selectorILNS1_17partition_subalgoE6EfNS0_10empty_typeEbEEZZNS1_14partition_implILS5_6ELb0ES3_mN6thrust23THRUST_200600_302600_NS6detail15normal_iteratorINSA_10device_ptrIfEEEEPS6_SG_NS0_5tupleIJSF_S6_EEENSH_IJSG_SG_EEES6_PlJNSB_9not_fun_tI7is_trueIfEEEEEE10hipError_tPvRmT3_T4_T5_T6_T7_T9_mT8_P12ihipStream_tbDpT10_ENKUlT_T0_E_clISt17integral_constantIbLb0EES18_EEDaS13_S14_EUlS13_E_NS1_11comp_targetILNS1_3genE2ELNS1_11target_archE906ELNS1_3gpuE6ELNS1_3repE0EEENS1_30default_config_static_selectorELNS0_4arch9wavefront6targetE0EEEvT1_
		.amdhsa_group_segment_fixed_size 0
		.amdhsa_private_segment_fixed_size 0
		.amdhsa_kernarg_size 112
		.amdhsa_user_sgpr_count 2
		.amdhsa_user_sgpr_dispatch_ptr 0
		.amdhsa_user_sgpr_queue_ptr 0
		.amdhsa_user_sgpr_kernarg_segment_ptr 1
		.amdhsa_user_sgpr_dispatch_id 0
		.amdhsa_user_sgpr_private_segment_size 0
		.amdhsa_wavefront_size32 1
		.amdhsa_uses_dynamic_stack 0
		.amdhsa_enable_private_segment 0
		.amdhsa_system_sgpr_workgroup_id_x 1
		.amdhsa_system_sgpr_workgroup_id_y 0
		.amdhsa_system_sgpr_workgroup_id_z 0
		.amdhsa_system_sgpr_workgroup_info 0
		.amdhsa_system_vgpr_workitem_id 0
		.amdhsa_next_free_vgpr 1
		.amdhsa_next_free_sgpr 1
		.amdhsa_reserve_vcc 0
		.amdhsa_float_round_mode_32 0
		.amdhsa_float_round_mode_16_64 0
		.amdhsa_float_denorm_mode_32 3
		.amdhsa_float_denorm_mode_16_64 3
		.amdhsa_fp16_overflow 0
		.amdhsa_workgroup_processor_mode 1
		.amdhsa_memory_ordered 1
		.amdhsa_forward_progress 1
		.amdhsa_inst_pref_size 0
		.amdhsa_round_robin_scheduling 0
		.amdhsa_exception_fp_ieee_invalid_op 0
		.amdhsa_exception_fp_denorm_src 0
		.amdhsa_exception_fp_ieee_div_zero 0
		.amdhsa_exception_fp_ieee_overflow 0
		.amdhsa_exception_fp_ieee_underflow 0
		.amdhsa_exception_fp_ieee_inexact 0
		.amdhsa_exception_int_div_zero 0
	.end_amdhsa_kernel
	.section	.text._ZN7rocprim17ROCPRIM_400000_NS6detail17trampoline_kernelINS0_14default_configENS1_25partition_config_selectorILNS1_17partition_subalgoE6EfNS0_10empty_typeEbEEZZNS1_14partition_implILS5_6ELb0ES3_mN6thrust23THRUST_200600_302600_NS6detail15normal_iteratorINSA_10device_ptrIfEEEEPS6_SG_NS0_5tupleIJSF_S6_EEENSH_IJSG_SG_EEES6_PlJNSB_9not_fun_tI7is_trueIfEEEEEE10hipError_tPvRmT3_T4_T5_T6_T7_T9_mT8_P12ihipStream_tbDpT10_ENKUlT_T0_E_clISt17integral_constantIbLb0EES18_EEDaS13_S14_EUlS13_E_NS1_11comp_targetILNS1_3genE2ELNS1_11target_archE906ELNS1_3gpuE6ELNS1_3repE0EEENS1_30default_config_static_selectorELNS0_4arch9wavefront6targetE0EEEvT1_,"axG",@progbits,_ZN7rocprim17ROCPRIM_400000_NS6detail17trampoline_kernelINS0_14default_configENS1_25partition_config_selectorILNS1_17partition_subalgoE6EfNS0_10empty_typeEbEEZZNS1_14partition_implILS5_6ELb0ES3_mN6thrust23THRUST_200600_302600_NS6detail15normal_iteratorINSA_10device_ptrIfEEEEPS6_SG_NS0_5tupleIJSF_S6_EEENSH_IJSG_SG_EEES6_PlJNSB_9not_fun_tI7is_trueIfEEEEEE10hipError_tPvRmT3_T4_T5_T6_T7_T9_mT8_P12ihipStream_tbDpT10_ENKUlT_T0_E_clISt17integral_constantIbLb0EES18_EEDaS13_S14_EUlS13_E_NS1_11comp_targetILNS1_3genE2ELNS1_11target_archE906ELNS1_3gpuE6ELNS1_3repE0EEENS1_30default_config_static_selectorELNS0_4arch9wavefront6targetE0EEEvT1_,comdat
.Lfunc_end1081:
	.size	_ZN7rocprim17ROCPRIM_400000_NS6detail17trampoline_kernelINS0_14default_configENS1_25partition_config_selectorILNS1_17partition_subalgoE6EfNS0_10empty_typeEbEEZZNS1_14partition_implILS5_6ELb0ES3_mN6thrust23THRUST_200600_302600_NS6detail15normal_iteratorINSA_10device_ptrIfEEEEPS6_SG_NS0_5tupleIJSF_S6_EEENSH_IJSG_SG_EEES6_PlJNSB_9not_fun_tI7is_trueIfEEEEEE10hipError_tPvRmT3_T4_T5_T6_T7_T9_mT8_P12ihipStream_tbDpT10_ENKUlT_T0_E_clISt17integral_constantIbLb0EES18_EEDaS13_S14_EUlS13_E_NS1_11comp_targetILNS1_3genE2ELNS1_11target_archE906ELNS1_3gpuE6ELNS1_3repE0EEENS1_30default_config_static_selectorELNS0_4arch9wavefront6targetE0EEEvT1_, .Lfunc_end1081-_ZN7rocprim17ROCPRIM_400000_NS6detail17trampoline_kernelINS0_14default_configENS1_25partition_config_selectorILNS1_17partition_subalgoE6EfNS0_10empty_typeEbEEZZNS1_14partition_implILS5_6ELb0ES3_mN6thrust23THRUST_200600_302600_NS6detail15normal_iteratorINSA_10device_ptrIfEEEEPS6_SG_NS0_5tupleIJSF_S6_EEENSH_IJSG_SG_EEES6_PlJNSB_9not_fun_tI7is_trueIfEEEEEE10hipError_tPvRmT3_T4_T5_T6_T7_T9_mT8_P12ihipStream_tbDpT10_ENKUlT_T0_E_clISt17integral_constantIbLb0EES18_EEDaS13_S14_EUlS13_E_NS1_11comp_targetILNS1_3genE2ELNS1_11target_archE906ELNS1_3gpuE6ELNS1_3repE0EEENS1_30default_config_static_selectorELNS0_4arch9wavefront6targetE0EEEvT1_
                                        ; -- End function
	.set _ZN7rocprim17ROCPRIM_400000_NS6detail17trampoline_kernelINS0_14default_configENS1_25partition_config_selectorILNS1_17partition_subalgoE6EfNS0_10empty_typeEbEEZZNS1_14partition_implILS5_6ELb0ES3_mN6thrust23THRUST_200600_302600_NS6detail15normal_iteratorINSA_10device_ptrIfEEEEPS6_SG_NS0_5tupleIJSF_S6_EEENSH_IJSG_SG_EEES6_PlJNSB_9not_fun_tI7is_trueIfEEEEEE10hipError_tPvRmT3_T4_T5_T6_T7_T9_mT8_P12ihipStream_tbDpT10_ENKUlT_T0_E_clISt17integral_constantIbLb0EES18_EEDaS13_S14_EUlS13_E_NS1_11comp_targetILNS1_3genE2ELNS1_11target_archE906ELNS1_3gpuE6ELNS1_3repE0EEENS1_30default_config_static_selectorELNS0_4arch9wavefront6targetE0EEEvT1_.num_vgpr, 0
	.set _ZN7rocprim17ROCPRIM_400000_NS6detail17trampoline_kernelINS0_14default_configENS1_25partition_config_selectorILNS1_17partition_subalgoE6EfNS0_10empty_typeEbEEZZNS1_14partition_implILS5_6ELb0ES3_mN6thrust23THRUST_200600_302600_NS6detail15normal_iteratorINSA_10device_ptrIfEEEEPS6_SG_NS0_5tupleIJSF_S6_EEENSH_IJSG_SG_EEES6_PlJNSB_9not_fun_tI7is_trueIfEEEEEE10hipError_tPvRmT3_T4_T5_T6_T7_T9_mT8_P12ihipStream_tbDpT10_ENKUlT_T0_E_clISt17integral_constantIbLb0EES18_EEDaS13_S14_EUlS13_E_NS1_11comp_targetILNS1_3genE2ELNS1_11target_archE906ELNS1_3gpuE6ELNS1_3repE0EEENS1_30default_config_static_selectorELNS0_4arch9wavefront6targetE0EEEvT1_.num_agpr, 0
	.set _ZN7rocprim17ROCPRIM_400000_NS6detail17trampoline_kernelINS0_14default_configENS1_25partition_config_selectorILNS1_17partition_subalgoE6EfNS0_10empty_typeEbEEZZNS1_14partition_implILS5_6ELb0ES3_mN6thrust23THRUST_200600_302600_NS6detail15normal_iteratorINSA_10device_ptrIfEEEEPS6_SG_NS0_5tupleIJSF_S6_EEENSH_IJSG_SG_EEES6_PlJNSB_9not_fun_tI7is_trueIfEEEEEE10hipError_tPvRmT3_T4_T5_T6_T7_T9_mT8_P12ihipStream_tbDpT10_ENKUlT_T0_E_clISt17integral_constantIbLb0EES18_EEDaS13_S14_EUlS13_E_NS1_11comp_targetILNS1_3genE2ELNS1_11target_archE906ELNS1_3gpuE6ELNS1_3repE0EEENS1_30default_config_static_selectorELNS0_4arch9wavefront6targetE0EEEvT1_.numbered_sgpr, 0
	.set _ZN7rocprim17ROCPRIM_400000_NS6detail17trampoline_kernelINS0_14default_configENS1_25partition_config_selectorILNS1_17partition_subalgoE6EfNS0_10empty_typeEbEEZZNS1_14partition_implILS5_6ELb0ES3_mN6thrust23THRUST_200600_302600_NS6detail15normal_iteratorINSA_10device_ptrIfEEEEPS6_SG_NS0_5tupleIJSF_S6_EEENSH_IJSG_SG_EEES6_PlJNSB_9not_fun_tI7is_trueIfEEEEEE10hipError_tPvRmT3_T4_T5_T6_T7_T9_mT8_P12ihipStream_tbDpT10_ENKUlT_T0_E_clISt17integral_constantIbLb0EES18_EEDaS13_S14_EUlS13_E_NS1_11comp_targetILNS1_3genE2ELNS1_11target_archE906ELNS1_3gpuE6ELNS1_3repE0EEENS1_30default_config_static_selectorELNS0_4arch9wavefront6targetE0EEEvT1_.num_named_barrier, 0
	.set _ZN7rocprim17ROCPRIM_400000_NS6detail17trampoline_kernelINS0_14default_configENS1_25partition_config_selectorILNS1_17partition_subalgoE6EfNS0_10empty_typeEbEEZZNS1_14partition_implILS5_6ELb0ES3_mN6thrust23THRUST_200600_302600_NS6detail15normal_iteratorINSA_10device_ptrIfEEEEPS6_SG_NS0_5tupleIJSF_S6_EEENSH_IJSG_SG_EEES6_PlJNSB_9not_fun_tI7is_trueIfEEEEEE10hipError_tPvRmT3_T4_T5_T6_T7_T9_mT8_P12ihipStream_tbDpT10_ENKUlT_T0_E_clISt17integral_constantIbLb0EES18_EEDaS13_S14_EUlS13_E_NS1_11comp_targetILNS1_3genE2ELNS1_11target_archE906ELNS1_3gpuE6ELNS1_3repE0EEENS1_30default_config_static_selectorELNS0_4arch9wavefront6targetE0EEEvT1_.private_seg_size, 0
	.set _ZN7rocprim17ROCPRIM_400000_NS6detail17trampoline_kernelINS0_14default_configENS1_25partition_config_selectorILNS1_17partition_subalgoE6EfNS0_10empty_typeEbEEZZNS1_14partition_implILS5_6ELb0ES3_mN6thrust23THRUST_200600_302600_NS6detail15normal_iteratorINSA_10device_ptrIfEEEEPS6_SG_NS0_5tupleIJSF_S6_EEENSH_IJSG_SG_EEES6_PlJNSB_9not_fun_tI7is_trueIfEEEEEE10hipError_tPvRmT3_T4_T5_T6_T7_T9_mT8_P12ihipStream_tbDpT10_ENKUlT_T0_E_clISt17integral_constantIbLb0EES18_EEDaS13_S14_EUlS13_E_NS1_11comp_targetILNS1_3genE2ELNS1_11target_archE906ELNS1_3gpuE6ELNS1_3repE0EEENS1_30default_config_static_selectorELNS0_4arch9wavefront6targetE0EEEvT1_.uses_vcc, 0
	.set _ZN7rocprim17ROCPRIM_400000_NS6detail17trampoline_kernelINS0_14default_configENS1_25partition_config_selectorILNS1_17partition_subalgoE6EfNS0_10empty_typeEbEEZZNS1_14partition_implILS5_6ELb0ES3_mN6thrust23THRUST_200600_302600_NS6detail15normal_iteratorINSA_10device_ptrIfEEEEPS6_SG_NS0_5tupleIJSF_S6_EEENSH_IJSG_SG_EEES6_PlJNSB_9not_fun_tI7is_trueIfEEEEEE10hipError_tPvRmT3_T4_T5_T6_T7_T9_mT8_P12ihipStream_tbDpT10_ENKUlT_T0_E_clISt17integral_constantIbLb0EES18_EEDaS13_S14_EUlS13_E_NS1_11comp_targetILNS1_3genE2ELNS1_11target_archE906ELNS1_3gpuE6ELNS1_3repE0EEENS1_30default_config_static_selectorELNS0_4arch9wavefront6targetE0EEEvT1_.uses_flat_scratch, 0
	.set _ZN7rocprim17ROCPRIM_400000_NS6detail17trampoline_kernelINS0_14default_configENS1_25partition_config_selectorILNS1_17partition_subalgoE6EfNS0_10empty_typeEbEEZZNS1_14partition_implILS5_6ELb0ES3_mN6thrust23THRUST_200600_302600_NS6detail15normal_iteratorINSA_10device_ptrIfEEEEPS6_SG_NS0_5tupleIJSF_S6_EEENSH_IJSG_SG_EEES6_PlJNSB_9not_fun_tI7is_trueIfEEEEEE10hipError_tPvRmT3_T4_T5_T6_T7_T9_mT8_P12ihipStream_tbDpT10_ENKUlT_T0_E_clISt17integral_constantIbLb0EES18_EEDaS13_S14_EUlS13_E_NS1_11comp_targetILNS1_3genE2ELNS1_11target_archE906ELNS1_3gpuE6ELNS1_3repE0EEENS1_30default_config_static_selectorELNS0_4arch9wavefront6targetE0EEEvT1_.has_dyn_sized_stack, 0
	.set _ZN7rocprim17ROCPRIM_400000_NS6detail17trampoline_kernelINS0_14default_configENS1_25partition_config_selectorILNS1_17partition_subalgoE6EfNS0_10empty_typeEbEEZZNS1_14partition_implILS5_6ELb0ES3_mN6thrust23THRUST_200600_302600_NS6detail15normal_iteratorINSA_10device_ptrIfEEEEPS6_SG_NS0_5tupleIJSF_S6_EEENSH_IJSG_SG_EEES6_PlJNSB_9not_fun_tI7is_trueIfEEEEEE10hipError_tPvRmT3_T4_T5_T6_T7_T9_mT8_P12ihipStream_tbDpT10_ENKUlT_T0_E_clISt17integral_constantIbLb0EES18_EEDaS13_S14_EUlS13_E_NS1_11comp_targetILNS1_3genE2ELNS1_11target_archE906ELNS1_3gpuE6ELNS1_3repE0EEENS1_30default_config_static_selectorELNS0_4arch9wavefront6targetE0EEEvT1_.has_recursion, 0
	.set _ZN7rocprim17ROCPRIM_400000_NS6detail17trampoline_kernelINS0_14default_configENS1_25partition_config_selectorILNS1_17partition_subalgoE6EfNS0_10empty_typeEbEEZZNS1_14partition_implILS5_6ELb0ES3_mN6thrust23THRUST_200600_302600_NS6detail15normal_iteratorINSA_10device_ptrIfEEEEPS6_SG_NS0_5tupleIJSF_S6_EEENSH_IJSG_SG_EEES6_PlJNSB_9not_fun_tI7is_trueIfEEEEEE10hipError_tPvRmT3_T4_T5_T6_T7_T9_mT8_P12ihipStream_tbDpT10_ENKUlT_T0_E_clISt17integral_constantIbLb0EES18_EEDaS13_S14_EUlS13_E_NS1_11comp_targetILNS1_3genE2ELNS1_11target_archE906ELNS1_3gpuE6ELNS1_3repE0EEENS1_30default_config_static_selectorELNS0_4arch9wavefront6targetE0EEEvT1_.has_indirect_call, 0
	.section	.AMDGPU.csdata,"",@progbits
; Kernel info:
; codeLenInByte = 0
; TotalNumSgprs: 0
; NumVgprs: 0
; ScratchSize: 0
; MemoryBound: 0
; FloatMode: 240
; IeeeMode: 1
; LDSByteSize: 0 bytes/workgroup (compile time only)
; SGPRBlocks: 0
; VGPRBlocks: 0
; NumSGPRsForWavesPerEU: 1
; NumVGPRsForWavesPerEU: 1
; Occupancy: 16
; WaveLimiterHint : 0
; COMPUTE_PGM_RSRC2:SCRATCH_EN: 0
; COMPUTE_PGM_RSRC2:USER_SGPR: 2
; COMPUTE_PGM_RSRC2:TRAP_HANDLER: 0
; COMPUTE_PGM_RSRC2:TGID_X_EN: 1
; COMPUTE_PGM_RSRC2:TGID_Y_EN: 0
; COMPUTE_PGM_RSRC2:TGID_Z_EN: 0
; COMPUTE_PGM_RSRC2:TIDIG_COMP_CNT: 0
	.section	.text._ZN7rocprim17ROCPRIM_400000_NS6detail17trampoline_kernelINS0_14default_configENS1_25partition_config_selectorILNS1_17partition_subalgoE6EfNS0_10empty_typeEbEEZZNS1_14partition_implILS5_6ELb0ES3_mN6thrust23THRUST_200600_302600_NS6detail15normal_iteratorINSA_10device_ptrIfEEEEPS6_SG_NS0_5tupleIJSF_S6_EEENSH_IJSG_SG_EEES6_PlJNSB_9not_fun_tI7is_trueIfEEEEEE10hipError_tPvRmT3_T4_T5_T6_T7_T9_mT8_P12ihipStream_tbDpT10_ENKUlT_T0_E_clISt17integral_constantIbLb0EES18_EEDaS13_S14_EUlS13_E_NS1_11comp_targetILNS1_3genE10ELNS1_11target_archE1200ELNS1_3gpuE4ELNS1_3repE0EEENS1_30default_config_static_selectorELNS0_4arch9wavefront6targetE0EEEvT1_,"axG",@progbits,_ZN7rocprim17ROCPRIM_400000_NS6detail17trampoline_kernelINS0_14default_configENS1_25partition_config_selectorILNS1_17partition_subalgoE6EfNS0_10empty_typeEbEEZZNS1_14partition_implILS5_6ELb0ES3_mN6thrust23THRUST_200600_302600_NS6detail15normal_iteratorINSA_10device_ptrIfEEEEPS6_SG_NS0_5tupleIJSF_S6_EEENSH_IJSG_SG_EEES6_PlJNSB_9not_fun_tI7is_trueIfEEEEEE10hipError_tPvRmT3_T4_T5_T6_T7_T9_mT8_P12ihipStream_tbDpT10_ENKUlT_T0_E_clISt17integral_constantIbLb0EES18_EEDaS13_S14_EUlS13_E_NS1_11comp_targetILNS1_3genE10ELNS1_11target_archE1200ELNS1_3gpuE4ELNS1_3repE0EEENS1_30default_config_static_selectorELNS0_4arch9wavefront6targetE0EEEvT1_,comdat
	.protected	_ZN7rocprim17ROCPRIM_400000_NS6detail17trampoline_kernelINS0_14default_configENS1_25partition_config_selectorILNS1_17partition_subalgoE6EfNS0_10empty_typeEbEEZZNS1_14partition_implILS5_6ELb0ES3_mN6thrust23THRUST_200600_302600_NS6detail15normal_iteratorINSA_10device_ptrIfEEEEPS6_SG_NS0_5tupleIJSF_S6_EEENSH_IJSG_SG_EEES6_PlJNSB_9not_fun_tI7is_trueIfEEEEEE10hipError_tPvRmT3_T4_T5_T6_T7_T9_mT8_P12ihipStream_tbDpT10_ENKUlT_T0_E_clISt17integral_constantIbLb0EES18_EEDaS13_S14_EUlS13_E_NS1_11comp_targetILNS1_3genE10ELNS1_11target_archE1200ELNS1_3gpuE4ELNS1_3repE0EEENS1_30default_config_static_selectorELNS0_4arch9wavefront6targetE0EEEvT1_ ; -- Begin function _ZN7rocprim17ROCPRIM_400000_NS6detail17trampoline_kernelINS0_14default_configENS1_25partition_config_selectorILNS1_17partition_subalgoE6EfNS0_10empty_typeEbEEZZNS1_14partition_implILS5_6ELb0ES3_mN6thrust23THRUST_200600_302600_NS6detail15normal_iteratorINSA_10device_ptrIfEEEEPS6_SG_NS0_5tupleIJSF_S6_EEENSH_IJSG_SG_EEES6_PlJNSB_9not_fun_tI7is_trueIfEEEEEE10hipError_tPvRmT3_T4_T5_T6_T7_T9_mT8_P12ihipStream_tbDpT10_ENKUlT_T0_E_clISt17integral_constantIbLb0EES18_EEDaS13_S14_EUlS13_E_NS1_11comp_targetILNS1_3genE10ELNS1_11target_archE1200ELNS1_3gpuE4ELNS1_3repE0EEENS1_30default_config_static_selectorELNS0_4arch9wavefront6targetE0EEEvT1_
	.globl	_ZN7rocprim17ROCPRIM_400000_NS6detail17trampoline_kernelINS0_14default_configENS1_25partition_config_selectorILNS1_17partition_subalgoE6EfNS0_10empty_typeEbEEZZNS1_14partition_implILS5_6ELb0ES3_mN6thrust23THRUST_200600_302600_NS6detail15normal_iteratorINSA_10device_ptrIfEEEEPS6_SG_NS0_5tupleIJSF_S6_EEENSH_IJSG_SG_EEES6_PlJNSB_9not_fun_tI7is_trueIfEEEEEE10hipError_tPvRmT3_T4_T5_T6_T7_T9_mT8_P12ihipStream_tbDpT10_ENKUlT_T0_E_clISt17integral_constantIbLb0EES18_EEDaS13_S14_EUlS13_E_NS1_11comp_targetILNS1_3genE10ELNS1_11target_archE1200ELNS1_3gpuE4ELNS1_3repE0EEENS1_30default_config_static_selectorELNS0_4arch9wavefront6targetE0EEEvT1_
	.p2align	8
	.type	_ZN7rocprim17ROCPRIM_400000_NS6detail17trampoline_kernelINS0_14default_configENS1_25partition_config_selectorILNS1_17partition_subalgoE6EfNS0_10empty_typeEbEEZZNS1_14partition_implILS5_6ELb0ES3_mN6thrust23THRUST_200600_302600_NS6detail15normal_iteratorINSA_10device_ptrIfEEEEPS6_SG_NS0_5tupleIJSF_S6_EEENSH_IJSG_SG_EEES6_PlJNSB_9not_fun_tI7is_trueIfEEEEEE10hipError_tPvRmT3_T4_T5_T6_T7_T9_mT8_P12ihipStream_tbDpT10_ENKUlT_T0_E_clISt17integral_constantIbLb0EES18_EEDaS13_S14_EUlS13_E_NS1_11comp_targetILNS1_3genE10ELNS1_11target_archE1200ELNS1_3gpuE4ELNS1_3repE0EEENS1_30default_config_static_selectorELNS0_4arch9wavefront6targetE0EEEvT1_,@function
_ZN7rocprim17ROCPRIM_400000_NS6detail17trampoline_kernelINS0_14default_configENS1_25partition_config_selectorILNS1_17partition_subalgoE6EfNS0_10empty_typeEbEEZZNS1_14partition_implILS5_6ELb0ES3_mN6thrust23THRUST_200600_302600_NS6detail15normal_iteratorINSA_10device_ptrIfEEEEPS6_SG_NS0_5tupleIJSF_S6_EEENSH_IJSG_SG_EEES6_PlJNSB_9not_fun_tI7is_trueIfEEEEEE10hipError_tPvRmT3_T4_T5_T6_T7_T9_mT8_P12ihipStream_tbDpT10_ENKUlT_T0_E_clISt17integral_constantIbLb0EES18_EEDaS13_S14_EUlS13_E_NS1_11comp_targetILNS1_3genE10ELNS1_11target_archE1200ELNS1_3gpuE4ELNS1_3repE0EEENS1_30default_config_static_selectorELNS0_4arch9wavefront6targetE0EEEvT1_: ; @_ZN7rocprim17ROCPRIM_400000_NS6detail17trampoline_kernelINS0_14default_configENS1_25partition_config_selectorILNS1_17partition_subalgoE6EfNS0_10empty_typeEbEEZZNS1_14partition_implILS5_6ELb0ES3_mN6thrust23THRUST_200600_302600_NS6detail15normal_iteratorINSA_10device_ptrIfEEEEPS6_SG_NS0_5tupleIJSF_S6_EEENSH_IJSG_SG_EEES6_PlJNSB_9not_fun_tI7is_trueIfEEEEEE10hipError_tPvRmT3_T4_T5_T6_T7_T9_mT8_P12ihipStream_tbDpT10_ENKUlT_T0_E_clISt17integral_constantIbLb0EES18_EEDaS13_S14_EUlS13_E_NS1_11comp_targetILNS1_3genE10ELNS1_11target_archE1200ELNS1_3gpuE4ELNS1_3repE0EEENS1_30default_config_static_selectorELNS0_4arch9wavefront6targetE0EEEvT1_
; %bb.0:
	s_clause 0x3
	s_load_b128 s[4:7], s[0:1], 0x8
	s_load_b128 s[8:11], s[0:1], 0x40
	s_load_b32 s12, s[0:1], 0x68
	s_load_b64 s[2:3], s[0:1], 0x50
	s_mov_b32 s13, 0
	v_lshlrev_b32_e32 v8, 2, v0
	s_wait_kmcnt 0x0
	s_lshl_b64 s[14:15], s[6:7], 2
	s_load_b64 s[10:11], s[10:11], 0x0
	s_add_co_i32 s18, s12, -1
	s_mulk_i32 s12, 0xa80
	s_add_nc_u64 s[16:17], s[4:5], s[14:15]
	s_add_nc_u64 s[4:5], s[6:7], s[12:13]
	s_add_co_i32 s6, s12, s6
	v_cmp_le_u64_e64 s3, s[2:3], s[4:5]
	s_sub_co_i32 s15, s2, s6
	s_cmp_eq_u32 ttmp9, s18
	s_mul_i32 s2, ttmp9, 0xa80
	s_cselect_b32 s12, -1, 0
	s_mov_b32 s4, -1
	s_and_b32 s5, s12, s3
	s_mov_b32 s3, s13
	s_wait_alu 0xfffe
	s_xor_b32 s13, s5, -1
	s_lshl_b64 s[2:3], s[2:3], 2
	s_and_b32 vcc_lo, exec_lo, s13
	s_wait_alu 0xfffe
	s_add_nc_u64 s[2:3], s[16:17], s[2:3]
	s_cbranch_vccz .LBB1082_2
; %bb.1:
	s_wait_alu 0xfffe
	v_add_co_u32 v1, s4, s2, v8
	s_wait_alu 0xf1ff
	v_add_co_ci_u32_e64 v2, null, s3, 0, s4
	s_mov_b32 s4, 0
	s_clause 0x6
	flat_load_b32 v3, v[1:2]
	flat_load_b32 v4, v[1:2] offset:1536
	flat_load_b32 v5, v[1:2] offset:3072
	;; [unrolled: 1-line block ×6, first 2 shown]
	s_wait_loadcnt_dscnt 0x505
	ds_store_2addr_stride64_b32 v8, v3, v4 offset1:6
	s_wait_loadcnt_dscnt 0x304
	ds_store_2addr_stride64_b32 v8, v5, v6 offset0:12 offset1:18
	s_wait_loadcnt_dscnt 0x103
	ds_store_2addr_stride64_b32 v8, v7, v9 offset0:24 offset1:30
	s_wait_loadcnt_dscnt 0x3
	ds_store_b32 v8, v1 offset:9216
	s_wait_dscnt 0x0
	s_barrier_signal -1
	s_barrier_wait -1
.LBB1082_2:
	s_wait_alu 0xfffe
	s_and_not1_b32 vcc_lo, exec_lo, s4
	s_addk_co_i32 s15, 0xa80
	s_cbranch_vccnz .LBB1082_18
; %bb.3:
	v_mov_b32_e32 v1, 0
	s_mov_b32 s4, exec_lo
	s_delay_alu instid0(VALU_DEP_1)
	v_dual_mov_b32 v2, v1 :: v_dual_mov_b32 v3, v1
	v_dual_mov_b32 v4, v1 :: v_dual_mov_b32 v5, v1
	;; [unrolled: 1-line block ×3, first 2 shown]
	v_cmpx_gt_u32_e64 s15, v0
	s_cbranch_execz .LBB1082_5
; %bb.4:
	v_add_co_u32 v2, s5, s2, v8
	s_wait_alu 0xf1ff
	v_add_co_ci_u32_e64 v3, null, s3, 0, s5
	v_dual_mov_b32 v10, v1 :: v_dual_mov_b32 v11, v1
	v_dual_mov_b32 v12, v1 :: v_dual_mov_b32 v13, v1
	flat_load_b32 v9, v[2:3]
	v_dual_mov_b32 v14, v1 :: v_dual_mov_b32 v15, v1
	s_wait_loadcnt_dscnt 0x0
	v_dual_mov_b32 v1, v9 :: v_dual_mov_b32 v2, v10
	v_dual_mov_b32 v3, v11 :: v_dual_mov_b32 v4, v12
	s_delay_alu instid0(VALU_DEP_3)
	v_dual_mov_b32 v5, v13 :: v_dual_mov_b32 v6, v14
	v_mov_b32_e32 v7, v15
.LBB1082_5:
	s_wait_alu 0xfffe
	s_or_b32 exec_lo, exec_lo, s4
	v_add_nc_u32_e32 v9, 0x180, v0
	s_mov_b32 s4, exec_lo
	s_delay_alu instid0(VALU_DEP_1)
	v_cmpx_gt_u32_e64 s15, v9
	s_cbranch_execz .LBB1082_7
; %bb.6:
	v_add_co_u32 v9, s5, s2, v8
	s_wait_alu 0xf1ff
	v_add_co_ci_u32_e64 v10, null, s3, 0, s5
	flat_load_b32 v2, v[9:10] offset:1536
.LBB1082_7:
	s_wait_alu 0xfffe
	s_or_b32 exec_lo, exec_lo, s4
	v_add_nc_u32_e32 v9, 0x300, v0
	s_mov_b32 s4, exec_lo
	s_delay_alu instid0(VALU_DEP_1)
	v_cmpx_gt_u32_e64 s15, v9
	s_cbranch_execz .LBB1082_9
; %bb.8:
	v_add_co_u32 v9, s5, s2, v8
	s_wait_alu 0xf1ff
	v_add_co_ci_u32_e64 v10, null, s3, 0, s5
	flat_load_b32 v3, v[9:10] offset:3072
.LBB1082_9:
	;; [unrolled: 13-line block ×3, first 2 shown]
	s_wait_alu 0xfffe
	s_or_b32 exec_lo, exec_lo, s4
	v_or_b32_e32 v9, 0x600, v0
	s_mov_b32 s4, exec_lo
	s_delay_alu instid0(VALU_DEP_1)
	v_cmpx_gt_u32_e64 s15, v9
	s_cbranch_execz .LBB1082_13
; %bb.12:
	v_add_co_u32 v9, s5, s2, v8
	s_wait_alu 0xf1ff
	v_add_co_ci_u32_e64 v10, null, s3, 0, s5
	flat_load_b32 v5, v[9:10] offset:6144
.LBB1082_13:
	s_wait_alu 0xfffe
	s_or_b32 exec_lo, exec_lo, s4
	v_add_nc_u32_e32 v9, 0x780, v0
	s_mov_b32 s4, exec_lo
	s_delay_alu instid0(VALU_DEP_1)
	v_cmpx_gt_u32_e64 s15, v9
	s_cbranch_execz .LBB1082_15
; %bb.14:
	v_add_co_u32 v9, s5, s2, v8
	s_wait_alu 0xf1ff
	v_add_co_ci_u32_e64 v10, null, s3, 0, s5
	flat_load_b32 v6, v[9:10] offset:7680
.LBB1082_15:
	s_wait_alu 0xfffe
	s_or_b32 exec_lo, exec_lo, s4
	v_add_nc_u32_e32 v9, 0x900, v0
	s_mov_b32 s4, exec_lo
	s_delay_alu instid0(VALU_DEP_1)
	v_cmpx_gt_u32_e64 s15, v9
	s_cbranch_execz .LBB1082_17
; %bb.16:
	v_add_co_u32 v9, s2, s2, v8
	s_wait_alu 0xf1ff
	v_add_co_ci_u32_e64 v10, null, s3, 0, s2
	flat_load_b32 v7, v[9:10] offset:9216
.LBB1082_17:
	s_wait_alu 0xfffe
	s_or_b32 exec_lo, exec_lo, s4
	s_wait_loadcnt_dscnt 0x0
	ds_store_2addr_stride64_b32 v8, v1, v2 offset1:6
	ds_store_2addr_stride64_b32 v8, v3, v4 offset0:12 offset1:18
	ds_store_2addr_stride64_b32 v8, v5, v6 offset0:24 offset1:30
	ds_store_b32 v8, v7 offset:9216
	s_wait_dscnt 0x0
	s_barrier_signal -1
	s_barrier_wait -1
.LBB1082_18:
	v_mul_u32_u24_e32 v1, 7, v0
	global_inv scope:SCOPE_SE
	s_and_not1_b32 vcc_lo, exec_lo, s13
	v_lshlrev_b32_e32 v34, 2, v1
	ds_load_2addr_b32 v[9:10], v34 offset0:4 offset1:5
	ds_load_b32 v29, v34 offset:24
	ds_load_2addr_b32 v[13:14], v34 offset1:1
	ds_load_2addr_b32 v[11:12], v34 offset0:2 offset1:3
	s_wait_loadcnt_dscnt 0x0
	s_barrier_signal -1
	s_barrier_wait -1
	global_inv scope:SCOPE_SE
	v_cmp_eq_f32_e64 s2, 0, v9
	v_cmp_eq_f32_e64 s3, 0, v10
	;; [unrolled: 1-line block ×7, first 2 shown]
	s_cbranch_vccnz .LBB1082_20
; %bb.19:
	v_cndmask_b32_e64 v2, 0, 1, s6
	v_cndmask_b32_e64 v3, 0, 1, s7
	s_wait_alu 0xf1ff
	v_cndmask_b32_e64 v4, 0, 1, s4
	v_cndmask_b32_e64 v5, 0, 1, s5
	;; [unrolled: 1-line block ×3, first 2 shown]
	v_lshlrev_b16 v2, 8, v2
	v_lshlrev_b16 v3, 8, v3
	v_cndmask_b32_e64 v30, 0, 1, s3
	s_delay_alu instid0(VALU_DEP_3) | instskip(NEXT) | instid1(VALU_DEP_3)
	v_or_b32_e32 v2, v4, v2
	v_or_b32_e32 v3, v5, v3
	s_delay_alu instid0(VALU_DEP_2) | instskip(NEXT) | instid1(VALU_DEP_2)
	v_and_b32_e32 v2, 0xffff, v2
	v_lshlrev_b32_e32 v3, 16, v3
	s_delay_alu instid0(VALU_DEP_1)
	v_or_b32_e32 v33, v2, v3
	s_cbranch_execz .LBB1082_21
	s_branch .LBB1082_22
.LBB1082_20:
                                        ; implicit-def: $sgpr14
                                        ; implicit-def: $vgpr30
                                        ; implicit-def: $vgpr31
                                        ; implicit-def: $vgpr33
.LBB1082_21:
	v_add_nc_u32_e32 v2, 1, v1
	v_cmp_eq_f32_e32 vcc_lo, 0, v14
	v_add_nc_u32_e32 v3, 3, v1
	v_cmp_eq_f32_e64 s2, 0, v13
	v_cmp_eq_f32_e64 s4, 0, v12
	v_cmp_gt_u32_e64 s3, s15, v2
	v_add_nc_u32_e32 v2, 2, v1
	v_cmp_gt_u32_e64 s6, s15, v3
	v_cmp_eq_f32_e64 s5, 0, v11
	v_add_nc_u32_e32 v5, 5, v1
	s_and_b32 s3, s3, vcc_lo
	v_cmp_gt_u32_e32 vcc_lo, s15, v1
	s_wait_alu 0xfffe
	v_cndmask_b32_e64 v3, 0, 1, s3
	v_cmp_gt_u32_e64 s3, s15, v2
	s_and_b32 s4, s6, s4
	s_and_b32 s2, vcc_lo, s2
	v_lshlrev_b16 v3, 8, v3
	s_wait_alu 0xfffe
	v_cndmask_b32_e64 v4, 0, 1, s2
	v_cndmask_b32_e64 v2, 0, 1, s4
	s_and_b32 s2, s3, s5
	v_cmp_eq_f32_e32 vcc_lo, 0, v10
	s_wait_alu 0xfffe
	v_cndmask_b32_e64 v6, 0, 1, s2
	v_cmp_gt_u32_e64 s2, s15, v5
	v_or_b32_e32 v3, v4, v3
	v_add_nc_u32_e32 v4, 4, v1
	v_lshlrev_b16 v2, 8, v2
	v_cmp_eq_f32_e64 s3, 0, v9
	s_and_b32 s2, s2, vcc_lo
	v_add_nc_u32_e32 v1, 6, v1
	v_cmp_gt_u32_e32 vcc_lo, s15, v4
	v_or_b32_e32 v2, v6, v2
	s_wait_alu 0xfffe
	v_cndmask_b32_e64 v30, 0, 1, s2
	v_and_b32_e32 v3, 0xffff, v3
	s_and_b32 s2, vcc_lo, s3
	v_cmp_gt_u32_e32 vcc_lo, s15, v1
	s_wait_alu 0xfffe
	v_cndmask_b32_e64 v5, 0, 1, s2
	v_cmp_eq_f32_e64 s2, 0, v29
	v_lshlrev_b32_e32 v2, 16, v2
	v_lshlrev_b16 v4, 8, v30
	s_and_not1_b32 s3, s14, exec_lo
	s_and_b32 s2, vcc_lo, s2
	s_delay_alu instid0(VALU_DEP_2) | instskip(NEXT) | instid1(VALU_DEP_2)
	v_or_b32_e32 v33, v3, v2
	v_or_b32_e32 v31, v5, v4
	s_wait_alu 0xfffe
	s_and_b32 s2, s2, exec_lo
	s_wait_alu 0xfffe
	s_or_b32 s14, s3, s2
.LBB1082_22:
	s_delay_alu instid0(VALU_DEP_1)
	v_dual_mov_b32 v2, 0 :: v_dual_and_b32 v37, 0xff, v33
	v_bfe_u32 v36, v33, 8, 8
	s_wait_alu 0xfffe
	v_cndmask_b32_e64 v1, 0, 1, s14
	v_bfe_u32 v39, v33, 16, 8
	v_lshrrev_b32_e32 v32, 24, v33
	s_load_b64 s[6:7], s[0:1], 0x60
	v_and_b32_e32 v38, 0xff, v31
	v_add3_u32 v1, v37, v1, v36
	v_mbcnt_lo_u32_b32 v40, -1, 0
	v_and_b32_e32 v35, 0xff, v30
	s_cmp_lg_u32 ttmp9, 0
	s_mov_b32 s3, -1
	v_add_co_u32 v1, s2, v1, v39
	s_wait_alu 0xf1ff
	v_add_co_ci_u32_e64 v3, null, 0, 0, s2
	v_and_b32_e32 v41, 15, v40
	s_delay_alu instid0(VALU_DEP_3) | instskip(NEXT) | instid1(VALU_DEP_1)
	v_add_co_u32 v1, vcc_lo, v1, v32
	v_add_co_ci_u32_e64 v3, null, 0, v3, vcc_lo
	s_delay_alu instid0(VALU_DEP_3) | instskip(NEXT) | instid1(VALU_DEP_3)
	v_cmp_ne_u32_e64 s2, 0, v41
	v_add_co_u32 v1, vcc_lo, v1, v38
	s_wait_alu 0xfffd
	s_delay_alu instid0(VALU_DEP_3) | instskip(NEXT) | instid1(VALU_DEP_2)
	v_add_co_ci_u32_e64 v3, null, 0, v3, vcc_lo
	v_add_co_u32 v15, vcc_lo, v1, v35
	s_wait_alu 0xfffd
	s_delay_alu instid0(VALU_DEP_2)
	v_add_co_ci_u32_e64 v16, null, 0, v3, vcc_lo
	s_cbranch_scc0 .LBB1082_81
; %bb.23:
	v_mov_b32_e32 v3, v15
	v_mov_b32_dpp v1, v15 row_shr:1 row_mask:0xf bank_mask:0xf
	v_mov_b32_dpp v6, v2 row_shr:1 row_mask:0xf bank_mask:0xf
	v_dual_mov_b32 v5, v15 :: v_dual_mov_b32 v4, v16
	s_and_saveexec_b32 s3, s2
; %bb.24:
	s_delay_alu instid0(VALU_DEP_3) | instskip(SKIP_2) | instid1(VALU_DEP_2)
	v_add_co_u32 v5, vcc_lo, v15, v1
	s_wait_alu 0xfffd
	v_add_co_ci_u32_e64 v2, null, 0, v16, vcc_lo
	v_add_co_u32 v1, vcc_lo, 0, v5
	s_wait_alu 0xfffd
	s_delay_alu instid0(VALU_DEP_2) | instskip(NEXT) | instid1(VALU_DEP_1)
	v_add_co_ci_u32_e64 v2, null, v6, v2, vcc_lo
	v_dual_mov_b32 v4, v2 :: v_dual_mov_b32 v3, v1
; %bb.25:
	s_wait_alu 0xfffe
	s_or_b32 exec_lo, exec_lo, s3
	v_mov_b32_dpp v1, v5 row_shr:2 row_mask:0xf bank_mask:0xf
	v_mov_b32_dpp v6, v2 row_shr:2 row_mask:0xf bank_mask:0xf
	v_cmp_lt_u32_e32 vcc_lo, 1, v41
	s_and_saveexec_b32 s4, vcc_lo
; %bb.26:
	s_delay_alu instid0(VALU_DEP_3) | instskip(SKIP_2) | instid1(VALU_DEP_2)
	v_add_co_u32 v5, s3, v3, v1
	s_wait_alu 0xf1ff
	v_add_co_ci_u32_e64 v2, null, 0, v4, s3
	v_add_co_u32 v1, s3, 0, v5
	s_wait_alu 0xf1ff
	s_delay_alu instid0(VALU_DEP_2) | instskip(NEXT) | instid1(VALU_DEP_1)
	v_add_co_ci_u32_e64 v2, null, v6, v2, s3
	v_dual_mov_b32 v4, v2 :: v_dual_mov_b32 v3, v1
; %bb.27:
	s_wait_alu 0xfffe
	s_or_b32 exec_lo, exec_lo, s4
	v_mov_b32_dpp v1, v5 row_shr:4 row_mask:0xf bank_mask:0xf
	v_mov_b32_dpp v6, v2 row_shr:4 row_mask:0xf bank_mask:0xf
	v_cmp_lt_u32_e64 s3, 3, v41
	s_and_saveexec_b32 s5, s3
; %bb.28:
	v_add_co_u32 v5, s4, v3, v1
	s_wait_alu 0xf1ff
	v_add_co_ci_u32_e64 v2, null, 0, v4, s4
	s_delay_alu instid0(VALU_DEP_2) | instskip(SKIP_1) | instid1(VALU_DEP_2)
	v_add_co_u32 v1, s4, 0, v5
	s_wait_alu 0xf1ff
	v_add_co_ci_u32_e64 v2, null, v6, v2, s4
	s_delay_alu instid0(VALU_DEP_1)
	v_dual_mov_b32 v4, v2 :: v_dual_mov_b32 v3, v1
; %bb.29:
	s_wait_alu 0xfffe
	s_or_b32 exec_lo, exec_lo, s5
	v_mov_b32_dpp v6, v5 row_shr:8 row_mask:0xf bank_mask:0xf
	v_mov_b32_dpp v1, v2 row_shr:8 row_mask:0xf bank_mask:0xf
	v_cmp_lt_u32_e64 s4, 7, v41
	s_and_saveexec_b32 s15, s4
; %bb.30:
	v_add_co_u32 v5, s5, v3, v6
	s_wait_alu 0xf1ff
	v_add_co_ci_u32_e64 v2, null, 0, v4, s5
	s_delay_alu instid0(VALU_DEP_2) | instskip(SKIP_1) | instid1(VALU_DEP_2)
	v_add_co_u32 v3, s5, 0, v5
	s_wait_alu 0xf1ff
	v_add_co_ci_u32_e64 v4, null, v1, v2, s5
	s_delay_alu instid0(VALU_DEP_1)
	v_mov_b32_e32 v2, v4
; %bb.31:
	s_wait_alu 0xfffe
	s_or_b32 exec_lo, exec_lo, s15
	ds_swizzle_b32 v1, v5 offset:swizzle(BROADCAST,32,15)
	ds_swizzle_b32 v6, v2 offset:swizzle(BROADCAST,32,15)
	v_and_b32_e32 v7, 16, v40
	s_mov_b32 s15, exec_lo
	s_delay_alu instid0(VALU_DEP_1)
	v_cmpx_ne_u32_e32 0, v7
	s_cbranch_execz .LBB1082_33
; %bb.32:
	s_wait_dscnt 0x1
	v_add_co_u32 v5, s5, v3, v1
	s_wait_alu 0xf1ff
	v_add_co_ci_u32_e64 v2, null, 0, v4, s5
	s_delay_alu instid0(VALU_DEP_2) | instskip(SKIP_2) | instid1(VALU_DEP_2)
	v_add_co_u32 v1, s5, 0, v5
	s_wait_dscnt 0x0
	s_wait_alu 0xf1ff
	v_add_co_ci_u32_e64 v2, null, v6, v2, s5
	s_delay_alu instid0(VALU_DEP_1)
	v_dual_mov_b32 v4, v2 :: v_dual_mov_b32 v3, v1
.LBB1082_33:
	s_wait_alu 0xfffe
	s_or_b32 exec_lo, exec_lo, s15
	s_wait_dscnt 0x1
	v_and_b32_e32 v1, 0x1e0, v0
	s_mov_b32 s15, exec_lo
	s_delay_alu instid0(VALU_DEP_1) | instskip(SKIP_1) | instid1(VALU_DEP_1)
	v_min_u32_e32 v1, 0x160, v1
	s_wait_dscnt 0x0
	v_or_b32_e32 v6, 31, v1
	v_lshrrev_b32_e32 v1, 5, v0
	s_delay_alu instid0(VALU_DEP_2)
	v_cmpx_eq_u32_e64 v0, v6
; %bb.34:
	s_delay_alu instid0(VALU_DEP_2)
	v_lshlrev_b32_e32 v6, 3, v1
	ds_store_b64 v6, v[3:4]
; %bb.35:
	s_wait_alu 0xfffe
	s_or_b32 exec_lo, exec_lo, s15
	s_delay_alu instid0(SALU_CYCLE_1)
	s_mov_b32 s15, exec_lo
	s_wait_loadcnt_dscnt 0x0
	s_barrier_signal -1
	s_barrier_wait -1
	global_inv scope:SCOPE_SE
	v_cmpx_gt_u32_e32 12, v0
	s_cbranch_execz .LBB1082_45
; %bb.36:
	v_lshlrev_b32_e32 v6, 3, v0
	ds_load_b64 v[3:4], v6
	s_wait_dscnt 0x0
	v_mov_b32_dpp v17, v3 row_shr:1 row_mask:0xf bank_mask:0xf
	v_mov_b32_dpp v8, v4 row_shr:1 row_mask:0xf bank_mask:0xf
	v_mov_b32_e32 v7, v3
	s_and_saveexec_b32 s16, s2
; %bb.37:
	s_delay_alu instid0(VALU_DEP_3) | instskip(SKIP_2) | instid1(VALU_DEP_2)
	v_add_co_u32 v7, s5, v3, v17
	s_wait_alu 0xf1ff
	v_add_co_ci_u32_e64 v4, null, 0, v4, s5
	v_add_co_u32 v3, s5, 0, v7
	s_wait_alu 0xf1ff
	s_delay_alu instid0(VALU_DEP_2)
	v_add_co_ci_u32_e64 v4, null, v8, v4, s5
; %bb.38:
	s_or_b32 exec_lo, exec_lo, s16
	v_mov_b32_dpp v17, v7 row_shr:2 row_mask:0xf bank_mask:0xf
	s_delay_alu instid0(VALU_DEP_2)
	v_mov_b32_dpp v8, v4 row_shr:2 row_mask:0xf bank_mask:0xf
	s_and_saveexec_b32 s5, vcc_lo
; %bb.39:
	s_delay_alu instid0(VALU_DEP_2) | instskip(SKIP_2) | instid1(VALU_DEP_2)
	v_add_co_u32 v7, vcc_lo, v3, v17
	s_wait_alu 0xfffd
	v_add_co_ci_u32_e64 v4, null, 0, v4, vcc_lo
	v_add_co_u32 v3, vcc_lo, 0, v7
	s_wait_alu 0xfffd
	s_delay_alu instid0(VALU_DEP_2)
	v_add_co_ci_u32_e64 v4, null, v8, v4, vcc_lo
; %bb.40:
	s_wait_alu 0xfffe
	s_or_b32 exec_lo, exec_lo, s5
	v_mov_b32_dpp v17, v7 row_shr:4 row_mask:0xf bank_mask:0xf
	s_delay_alu instid0(VALU_DEP_2)
	v_mov_b32_dpp v8, v4 row_shr:4 row_mask:0xf bank_mask:0xf
	s_and_saveexec_b32 s5, s3
; %bb.41:
	s_delay_alu instid0(VALU_DEP_2) | instskip(SKIP_2) | instid1(VALU_DEP_2)
	v_add_co_u32 v7, vcc_lo, v3, v17
	s_wait_alu 0xfffd
	v_add_co_ci_u32_e64 v4, null, 0, v4, vcc_lo
	v_add_co_u32 v3, vcc_lo, 0, v7
	s_wait_alu 0xfffd
	s_delay_alu instid0(VALU_DEP_2)
	v_add_co_ci_u32_e64 v4, null, v8, v4, vcc_lo
; %bb.42:
	s_wait_alu 0xfffe
	s_or_b32 exec_lo, exec_lo, s5
	v_mov_b32_dpp v8, v7 row_shr:8 row_mask:0xf bank_mask:0xf
	s_delay_alu instid0(VALU_DEP_2)
	v_mov_b32_dpp v7, v4 row_shr:8 row_mask:0xf bank_mask:0xf
	s_and_saveexec_b32 s3, s4
; %bb.43:
	s_delay_alu instid0(VALU_DEP_2) | instskip(SKIP_2) | instid1(VALU_DEP_2)
	v_add_co_u32 v3, vcc_lo, v3, v8
	s_wait_alu 0xfffd
	v_add_co_ci_u32_e64 v4, null, 0, v4, vcc_lo
	v_add_co_u32 v3, vcc_lo, v3, 0
	s_wait_alu 0xfffd
	s_delay_alu instid0(VALU_DEP_2)
	v_add_co_ci_u32_e64 v4, null, v4, v7, vcc_lo
; %bb.44:
	s_wait_alu 0xfffe
	s_or_b32 exec_lo, exec_lo, s3
	ds_store_b64 v6, v[3:4]
.LBB1082_45:
	s_wait_alu 0xfffe
	s_or_b32 exec_lo, exec_lo, s15
	s_delay_alu instid0(SALU_CYCLE_1)
	s_mov_b32 s4, exec_lo
	v_cmp_gt_u32_e32 vcc_lo, 32, v0
	s_wait_loadcnt_dscnt 0x0
	s_barrier_signal -1
	s_barrier_wait -1
	global_inv scope:SCOPE_SE
                                        ; implicit-def: $vgpr17_vgpr18
	v_cmpx_lt_u32_e32 31, v0
	s_cbranch_execz .LBB1082_47
; %bb.46:
	v_lshl_add_u32 v1, v1, 3, -8
	ds_load_b64 v[17:18], v1
	s_wait_dscnt 0x0
	v_add_co_u32 v5, s3, v5, v17
	s_wait_alu 0xf1ff
	v_add_co_ci_u32_e64 v2, null, v2, v18, s3
.LBB1082_47:
	s_wait_alu 0xfffe
	s_or_b32 exec_lo, exec_lo, s4
	v_sub_co_u32 v1, s3, v40, 1
	s_delay_alu instid0(VALU_DEP_1) | instskip(SKIP_1) | instid1(VALU_DEP_1)
	v_cmp_gt_i32_e64 s4, 0, v1
	s_wait_alu 0xf1ff
	v_cndmask_b32_e64 v1, v1, v40, s4
	s_delay_alu instid0(VALU_DEP_1)
	v_lshlrev_b32_e32 v1, 2, v1
	ds_bpermute_b32 v23, v1, v5
	ds_bpermute_b32 v24, v1, v2
	s_and_saveexec_b32 s4, vcc_lo
	s_cbranch_execz .LBB1082_86
; %bb.48:
	v_mov_b32_e32 v4, 0
	ds_load_b64 v[1:2], v4 offset:88
	s_and_saveexec_b32 s5, s3
	s_cbranch_execz .LBB1082_50
; %bb.49:
	s_add_co_i32 s16, ttmp9, 32
	s_mov_b32 s17, 0
	s_delay_alu instid0(SALU_CYCLE_1)
	s_lshl_b64 s[16:17], s[16:17], 4
	s_wait_kmcnt 0x0
	s_add_nc_u64 s[16:17], s[6:7], s[16:17]
	v_mov_b32_e32 v3, 1
	v_dual_mov_b32 v5, s16 :: v_dual_mov_b32 v6, s17
	s_wait_dscnt 0x0
	;;#ASMSTART
	global_store_b128 v[5:6], v[1:4] off scope:SCOPE_DEV	
s_wait_storecnt 0x0
	;;#ASMEND
.LBB1082_50:
	s_wait_alu 0xfffe
	s_or_b32 exec_lo, exec_lo, s5
	v_xad_u32 v19, v40, -1, ttmp9
	s_mov_b32 s15, 0
	s_mov_b32 s5, exec_lo
	s_delay_alu instid0(VALU_DEP_1) | instskip(NEXT) | instid1(VALU_DEP_1)
	v_add_nc_u32_e32 v3, 32, v19
	v_lshlrev_b64_e32 v[3:4], 4, v[3:4]
	s_wait_kmcnt 0x0
	s_delay_alu instid0(VALU_DEP_1) | instskip(SKIP_1) | instid1(VALU_DEP_2)
	v_add_co_u32 v3, vcc_lo, s6, v3
	s_wait_alu 0xfffd
	v_add_co_ci_u32_e64 v4, null, s7, v4, vcc_lo
	;;#ASMSTART
	global_load_b128 v[5:8], v[3:4] off scope:SCOPE_DEV	
s_wait_loadcnt 0x0
	;;#ASMEND
	v_and_b32_e32 v8, 0xff, v7
	s_delay_alu instid0(VALU_DEP_1)
	v_cmpx_eq_u16_e32 0, v8
	s_cbranch_execz .LBB1082_53
.LBB1082_51:                            ; =>This Inner Loop Header: Depth=1
	;;#ASMSTART
	global_load_b128 v[5:8], v[3:4] off scope:SCOPE_DEV	
s_wait_loadcnt 0x0
	;;#ASMEND
	v_and_b32_e32 v8, 0xff, v7
	s_delay_alu instid0(VALU_DEP_1)
	v_cmp_ne_u16_e32 vcc_lo, 0, v8
	s_wait_alu 0xfffe
	s_or_b32 s15, vcc_lo, s15
	s_wait_alu 0xfffe
	s_and_not1_b32 exec_lo, exec_lo, s15
	s_cbranch_execnz .LBB1082_51
; %bb.52:
	s_or_b32 exec_lo, exec_lo, s15
.LBB1082_53:
	s_wait_alu 0xfffe
	s_or_b32 exec_lo, exec_lo, s5
	v_cmp_ne_u32_e32 vcc_lo, 31, v40
	v_and_b32_e32 v4, 0xff, v7
	v_lshlrev_b32_e64 v26, v40, -1
	s_mov_b32 s5, exec_lo
	s_wait_alu 0xfffd
	v_add_co_ci_u32_e64 v3, null, 0, v40, vcc_lo
	v_cmp_eq_u16_e32 vcc_lo, 2, v4
	s_delay_alu instid0(VALU_DEP_2)
	v_dual_mov_b32 v4, v5 :: v_dual_lshlrev_b32 v25, 2, v3
	s_wait_alu 0xfffd
	v_and_or_b32 v3, vcc_lo, v26, 0x80000000
	ds_bpermute_b32 v20, v25, v5
	ds_bpermute_b32 v8, v25, v6
	v_ctz_i32_b32_e32 v3, v3
	s_delay_alu instid0(VALU_DEP_1)
	v_cmpx_lt_u32_e64 v40, v3
	s_cbranch_execz .LBB1082_55
; %bb.54:
	s_wait_dscnt 0x1
	v_add_co_u32 v4, vcc_lo, v5, v20
	s_wait_alu 0xfffd
	v_add_co_ci_u32_e64 v6, null, 0, v6, vcc_lo
	s_delay_alu instid0(VALU_DEP_2) | instskip(SKIP_2) | instid1(VALU_DEP_2)
	v_add_co_u32 v5, vcc_lo, 0, v4
	s_wait_dscnt 0x0
	s_wait_alu 0xfffd
	v_add_co_ci_u32_e64 v6, null, v8, v6, vcc_lo
.LBB1082_55:
	s_wait_alu 0xfffe
	s_or_b32 exec_lo, exec_lo, s5
	v_cmp_gt_u32_e32 vcc_lo, 30, v40
	v_add_nc_u32_e32 v28, 2, v40
	s_mov_b32 s5, exec_lo
	s_wait_dscnt 0x0
	s_wait_alu 0xfffd
	v_cndmask_b32_e64 v8, 0, 2, vcc_lo
	s_delay_alu instid0(VALU_DEP_1)
	v_add_lshl_u32 v27, v8, v40, 2
	ds_bpermute_b32 v20, v27, v4
	ds_bpermute_b32 v8, v27, v6
	v_cmpx_le_u32_e64 v28, v3
	s_cbranch_execz .LBB1082_57
; %bb.56:
	s_wait_dscnt 0x1
	v_add_co_u32 v4, vcc_lo, v5, v20
	s_wait_alu 0xfffd
	v_add_co_ci_u32_e64 v6, null, 0, v6, vcc_lo
	s_delay_alu instid0(VALU_DEP_2) | instskip(SKIP_2) | instid1(VALU_DEP_2)
	v_add_co_u32 v5, vcc_lo, 0, v4
	s_wait_dscnt 0x0
	s_wait_alu 0xfffd
	v_add_co_ci_u32_e64 v6, null, v8, v6, vcc_lo
.LBB1082_57:
	s_wait_alu 0xfffe
	s_or_b32 exec_lo, exec_lo, s5
	v_cmp_gt_u32_e32 vcc_lo, 28, v40
	v_add_nc_u32_e32 v43, 4, v40
	s_mov_b32 s5, exec_lo
	s_wait_dscnt 0x0
	s_wait_alu 0xfffd
	v_cndmask_b32_e64 v8, 0, 4, vcc_lo
	s_delay_alu instid0(VALU_DEP_1)
	v_add_lshl_u32 v42, v8, v40, 2
	ds_bpermute_b32 v20, v42, v4
	ds_bpermute_b32 v8, v42, v6
	v_cmpx_le_u32_e64 v43, v3
	;; [unrolled: 25-line block ×3, first 2 shown]
	s_cbranch_execz .LBB1082_61
; %bb.60:
	s_wait_dscnt 0x1
	v_add_co_u32 v4, vcc_lo, v5, v20
	s_wait_alu 0xfffd
	v_add_co_ci_u32_e64 v6, null, 0, v6, vcc_lo
	s_delay_alu instid0(VALU_DEP_2) | instskip(SKIP_2) | instid1(VALU_DEP_2)
	v_add_co_u32 v5, vcc_lo, 0, v4
	s_wait_dscnt 0x0
	s_wait_alu 0xfffd
	v_add_co_ci_u32_e64 v6, null, v8, v6, vcc_lo
.LBB1082_61:
	s_wait_alu 0xfffe
	s_or_b32 exec_lo, exec_lo, s5
	v_lshl_or_b32 v46, v40, 2, 64
	v_add_nc_u32_e32 v47, 16, v40
	s_mov_b32 s5, exec_lo
	s_wait_dscnt 0x0
	ds_bpermute_b32 v8, v46, v4
	ds_bpermute_b32 v4, v46, v6
	v_cmpx_le_u32_e64 v47, v3
	s_cbranch_execz .LBB1082_63
; %bb.62:
	s_wait_dscnt 0x1
	v_add_co_u32 v3, vcc_lo, v5, v8
	s_wait_alu 0xfffd
	v_add_co_ci_u32_e64 v6, null, 0, v6, vcc_lo
	s_delay_alu instid0(VALU_DEP_2) | instskip(SKIP_2) | instid1(VALU_DEP_2)
	v_add_co_u32 v5, vcc_lo, v3, 0
	s_wait_dscnt 0x0
	s_wait_alu 0xfffd
	v_add_co_ci_u32_e64 v6, null, v6, v4, vcc_lo
.LBB1082_63:
	s_wait_alu 0xfffe
	s_or_b32 exec_lo, exec_lo, s5
	v_mov_b32_e32 v20, 0
	s_branch .LBB1082_66
.LBB1082_64:                            ;   in Loop: Header=BB1082_66 Depth=1
	s_wait_alu 0xfffe
	s_or_b32 exec_lo, exec_lo, s5
	v_add_co_u32 v5, vcc_lo, v5, v3
	v_subrev_nc_u32_e32 v19, 32, v19
	s_wait_alu 0xfffd
	v_add_co_ci_u32_e64 v6, null, v6, v4, vcc_lo
	s_mov_b32 s5, 0
.LBB1082_65:                            ;   in Loop: Header=BB1082_66 Depth=1
	s_wait_alu 0xfffe
	s_and_b32 vcc_lo, exec_lo, s5
	s_wait_alu 0xfffe
	s_cbranch_vccnz .LBB1082_82
.LBB1082_66:                            ; =>This Loop Header: Depth=1
                                        ;     Child Loop BB1082_69 Depth 2
	v_and_b32_e32 v3, 0xff, v7
	s_mov_b32 s5, -1
	s_delay_alu instid0(VALU_DEP_1)
	v_cmp_ne_u16_e32 vcc_lo, 2, v3
	s_wait_dscnt 0x0
	v_dual_mov_b32 v3, v5 :: v_dual_mov_b32 v4, v6
                                        ; implicit-def: $vgpr5_vgpr6
	s_cmp_lg_u32 vcc_lo, exec_lo
	s_cbranch_scc1 .LBB1082_65
; %bb.67:                               ;   in Loop: Header=BB1082_66 Depth=1
	v_lshlrev_b64_e32 v[5:6], 4, v[19:20]
	s_mov_b32 s5, exec_lo
	s_delay_alu instid0(VALU_DEP_1) | instskip(SKIP_1) | instid1(VALU_DEP_2)
	v_add_co_u32 v21, vcc_lo, s6, v5
	s_wait_alu 0xfffd
	v_add_co_ci_u32_e64 v22, null, s7, v6, vcc_lo
	;;#ASMSTART
	global_load_b128 v[5:8], v[21:22] off scope:SCOPE_DEV	
s_wait_loadcnt 0x0
	;;#ASMEND
	v_and_b32_e32 v8, 0xff, v7
	s_delay_alu instid0(VALU_DEP_1)
	v_cmpx_eq_u16_e32 0, v8
	s_cbranch_execz .LBB1082_71
; %bb.68:                               ;   in Loop: Header=BB1082_66 Depth=1
	s_mov_b32 s15, 0
.LBB1082_69:                            ;   Parent Loop BB1082_66 Depth=1
                                        ; =>  This Inner Loop Header: Depth=2
	;;#ASMSTART
	global_load_b128 v[5:8], v[21:22] off scope:SCOPE_DEV	
s_wait_loadcnt 0x0
	;;#ASMEND
	v_and_b32_e32 v8, 0xff, v7
	s_delay_alu instid0(VALU_DEP_1)
	v_cmp_ne_u16_e32 vcc_lo, 0, v8
	s_wait_alu 0xfffe
	s_or_b32 s15, vcc_lo, s15
	s_wait_alu 0xfffe
	s_and_not1_b32 exec_lo, exec_lo, s15
	s_cbranch_execnz .LBB1082_69
; %bb.70:                               ;   in Loop: Header=BB1082_66 Depth=1
	s_or_b32 exec_lo, exec_lo, s15
.LBB1082_71:                            ;   in Loop: Header=BB1082_66 Depth=1
	s_wait_alu 0xfffe
	s_or_b32 exec_lo, exec_lo, s5
	v_dual_mov_b32 v21, v5 :: v_dual_and_b32 v8, 0xff, v7
	ds_bpermute_b32 v48, v25, v5
	ds_bpermute_b32 v22, v25, v6
	s_mov_b32 s5, exec_lo
	v_cmp_eq_u16_e32 vcc_lo, 2, v8
	s_wait_alu 0xfffd
	v_and_or_b32 v8, vcc_lo, v26, 0x80000000
	s_delay_alu instid0(VALU_DEP_1) | instskip(NEXT) | instid1(VALU_DEP_1)
	v_ctz_i32_b32_e32 v8, v8
	v_cmpx_lt_u32_e64 v40, v8
	s_cbranch_execz .LBB1082_73
; %bb.72:                               ;   in Loop: Header=BB1082_66 Depth=1
	s_wait_dscnt 0x1
	v_add_co_u32 v21, vcc_lo, v5, v48
	s_wait_alu 0xfffd
	v_add_co_ci_u32_e64 v6, null, 0, v6, vcc_lo
	s_delay_alu instid0(VALU_DEP_2) | instskip(SKIP_2) | instid1(VALU_DEP_2)
	v_add_co_u32 v5, vcc_lo, 0, v21
	s_wait_dscnt 0x0
	s_wait_alu 0xfffd
	v_add_co_ci_u32_e64 v6, null, v22, v6, vcc_lo
.LBB1082_73:                            ;   in Loop: Header=BB1082_66 Depth=1
	s_wait_alu 0xfffe
	s_or_b32 exec_lo, exec_lo, s5
	s_wait_dscnt 0x1
	ds_bpermute_b32 v48, v27, v21
	s_wait_dscnt 0x1
	ds_bpermute_b32 v22, v27, v6
	s_mov_b32 s5, exec_lo
	v_cmpx_le_u32_e64 v28, v8
	s_cbranch_execz .LBB1082_75
; %bb.74:                               ;   in Loop: Header=BB1082_66 Depth=1
	s_wait_dscnt 0x1
	v_add_co_u32 v21, vcc_lo, v5, v48
	s_wait_alu 0xfffd
	v_add_co_ci_u32_e64 v6, null, 0, v6, vcc_lo
	s_delay_alu instid0(VALU_DEP_2) | instskip(SKIP_2) | instid1(VALU_DEP_2)
	v_add_co_u32 v5, vcc_lo, 0, v21
	s_wait_dscnt 0x0
	s_wait_alu 0xfffd
	v_add_co_ci_u32_e64 v6, null, v22, v6, vcc_lo
.LBB1082_75:                            ;   in Loop: Header=BB1082_66 Depth=1
	s_wait_alu 0xfffe
	s_or_b32 exec_lo, exec_lo, s5
	s_wait_dscnt 0x1
	ds_bpermute_b32 v48, v42, v21
	s_wait_dscnt 0x1
	ds_bpermute_b32 v22, v42, v6
	s_mov_b32 s5, exec_lo
	v_cmpx_le_u32_e64 v43, v8
	;; [unrolled: 20-line block ×3, first 2 shown]
	s_cbranch_execz .LBB1082_79
; %bb.78:                               ;   in Loop: Header=BB1082_66 Depth=1
	s_wait_dscnt 0x1
	v_add_co_u32 v21, vcc_lo, v5, v48
	s_wait_alu 0xfffd
	v_add_co_ci_u32_e64 v6, null, 0, v6, vcc_lo
	s_delay_alu instid0(VALU_DEP_2) | instskip(SKIP_2) | instid1(VALU_DEP_2)
	v_add_co_u32 v5, vcc_lo, 0, v21
	s_wait_dscnt 0x0
	s_wait_alu 0xfffd
	v_add_co_ci_u32_e64 v6, null, v22, v6, vcc_lo
.LBB1082_79:                            ;   in Loop: Header=BB1082_66 Depth=1
	s_wait_alu 0xfffe
	s_or_b32 exec_lo, exec_lo, s5
	s_wait_dscnt 0x0
	ds_bpermute_b32 v22, v46, v21
	ds_bpermute_b32 v21, v46, v6
	s_mov_b32 s5, exec_lo
	v_cmpx_le_u32_e64 v47, v8
	s_cbranch_execz .LBB1082_64
; %bb.80:                               ;   in Loop: Header=BB1082_66 Depth=1
	s_wait_dscnt 0x1
	v_add_co_u32 v5, vcc_lo, v5, v22
	s_wait_alu 0xfffd
	v_add_co_ci_u32_e64 v6, null, 0, v6, vcc_lo
	s_delay_alu instid0(VALU_DEP_2) | instskip(SKIP_2) | instid1(VALU_DEP_2)
	v_add_co_u32 v5, vcc_lo, v5, 0
	s_wait_dscnt 0x0
	s_wait_alu 0xfffd
	v_add_co_ci_u32_e64 v6, null, v6, v21, vcc_lo
	s_branch .LBB1082_64
.LBB1082_81:
                                        ; implicit-def: $vgpr17_vgpr18
                                        ; implicit-def: $vgpr6_vgpr7
                                        ; implicit-def: $vgpr19_vgpr20
                                        ; implicit-def: $vgpr21_vgpr22
                                        ; implicit-def: $vgpr23_vgpr24
                                        ; implicit-def: $vgpr25_vgpr26
                                        ; implicit-def: $vgpr27_vgpr28
                                        ; implicit-def: $vgpr4_vgpr5
	s_load_b64 s[4:5], s[0:1], 0x28
	s_and_b32 vcc_lo, exec_lo, s3
	s_wait_alu 0xfffe
	s_cbranch_vccnz .LBB1082_87
	s_branch .LBB1082_114
.LBB1082_82:
	s_and_saveexec_b32 s5, s3
	s_cbranch_execz .LBB1082_84
; %bb.83:
	s_add_co_i32 s16, ttmp9, 32
	s_mov_b32 s17, 0
	v_add_co_u32 v5, vcc_lo, v3, v1
	s_wait_alu 0xfffe
	s_lshl_b64 s[16:17], s[16:17], 4
	v_dual_mov_b32 v7, 2 :: v_dual_mov_b32 v8, 0
	s_wait_alu 0xfffe
	s_add_nc_u64 s[16:17], s[6:7], s[16:17]
	s_wait_alu 0xfffd
	v_add_co_ci_u32_e64 v6, null, v4, v2, vcc_lo
	s_wait_alu 0xfffe
	v_dual_mov_b32 v20, s17 :: v_dual_mov_b32 v19, s16
	;;#ASMSTART
	global_store_b128 v[19:20], v[5:8] off scope:SCOPE_DEV	
s_wait_storecnt 0x0
	;;#ASMEND
	ds_store_b128 v8, v[1:4] offset:10752
.LBB1082_84:
	s_wait_alu 0xfffe
	s_or_b32 exec_lo, exec_lo, s5
	v_cmp_eq_u32_e32 vcc_lo, 0, v0
	s_and_b32 exec_lo, exec_lo, vcc_lo
; %bb.85:
	v_mov_b32_e32 v1, 0
	ds_store_b64 v1, v[3:4] offset:88
.LBB1082_86:
	s_wait_alu 0xfffe
	s_or_b32 exec_lo, exec_lo, s4
	s_wait_dscnt 0x1
	v_cndmask_b32_e64 v4, v23, v17, s3
	v_cmp_ne_u32_e32 vcc_lo, 0, v0
	v_mov_b32_e32 v3, 0
	s_wait_loadcnt_dscnt 0x0
	s_barrier_signal -1
	s_barrier_wait -1
	global_inv scope:SCOPE_SE
	s_wait_alu 0xfffd
	v_cndmask_b32_e32 v4, 0, v4, vcc_lo
	ds_load_b64 v[1:2], v3 offset:88
	v_cndmask_b32_e64 v5, v24, v18, s3
	s_wait_loadcnt_dscnt 0x0
	s_barrier_signal -1
	s_barrier_wait -1
	global_inv scope:SCOPE_SE
	v_cndmask_b32_e32 v5, 0, v5, vcc_lo
	v_add_co_u32 v27, vcc_lo, v1, v4
	s_wait_alu 0xfffd
	s_delay_alu instid0(VALU_DEP_2) | instskip(SKIP_4) | instid1(VALU_DEP_2)
	v_add_co_ci_u32_e64 v28, null, v2, v5, vcc_lo
	ds_load_b128 v[2:5], v3 offset:10752
	v_add_co_u32 v25, vcc_lo, v27, v37
	s_wait_alu 0xfffd
	v_add_co_ci_u32_e64 v26, null, 0, v28, vcc_lo
	v_add_co_u32 v23, vcc_lo, v25, v36
	s_wait_alu 0xfffd
	s_delay_alu instid0(VALU_DEP_2) | instskip(NEXT) | instid1(VALU_DEP_2)
	v_add_co_ci_u32_e64 v24, null, 0, v26, vcc_lo
	v_add_co_u32 v21, vcc_lo, v23, v39
	s_wait_alu 0xfffd
	s_delay_alu instid0(VALU_DEP_2) | instskip(NEXT) | instid1(VALU_DEP_2)
	v_add_co_ci_u32_e64 v22, null, 0, v24, vcc_lo
	v_add_co_u32 v19, vcc_lo, v21, v32
	s_wait_alu 0xfffd
	s_delay_alu instid0(VALU_DEP_2) | instskip(NEXT) | instid1(VALU_DEP_2)
	v_add_co_ci_u32_e64 v20, null, 0, v22, vcc_lo
	v_add_co_u32 v6, vcc_lo, v19, v38
	s_wait_alu 0xfffd
	s_delay_alu instid0(VALU_DEP_2) | instskip(NEXT) | instid1(VALU_DEP_2)
	v_add_co_ci_u32_e64 v7, null, 0, v20, vcc_lo
	v_add_co_u32 v17, vcc_lo, v6, v35
	s_wait_alu 0xfffd
	s_delay_alu instid0(VALU_DEP_2)
	v_add_co_ci_u32_e64 v18, null, 0, v7, vcc_lo
	s_load_b64 s[4:5], s[0:1], 0x28
	s_branch .LBB1082_114
.LBB1082_87:
	s_wait_dscnt 0x0
	v_dual_mov_b32 v2, 0 :: v_dual_mov_b32 v3, v15
	v_mov_b32_dpp v4, v15 row_shr:1 row_mask:0xf bank_mask:0xf
	s_delay_alu instid0(VALU_DEP_2)
	v_mov_b32_dpp v1, v2 row_shr:1 row_mask:0xf bank_mask:0xf
	s_and_saveexec_b32 s0, s2
; %bb.88:
	s_delay_alu instid0(VALU_DEP_2) | instskip(SKIP_2) | instid1(VALU_DEP_2)
	v_add_co_u32 v3, vcc_lo, v15, v4
	s_wait_alu 0xfffd
	v_add_co_ci_u32_e64 v2, null, 0, v16, vcc_lo
	v_add_co_u32 v15, vcc_lo, 0, v3
	s_wait_alu 0xfffd
	s_delay_alu instid0(VALU_DEP_2) | instskip(NEXT) | instid1(VALU_DEP_1)
	v_add_co_ci_u32_e64 v16, null, v1, v2, vcc_lo
	v_mov_b32_e32 v2, v16
; %bb.89:
	s_or_b32 exec_lo, exec_lo, s0
	v_mov_b32_dpp v1, v3 row_shr:2 row_mask:0xf bank_mask:0xf
	s_delay_alu instid0(VALU_DEP_2)
	v_mov_b32_dpp v4, v2 row_shr:2 row_mask:0xf bank_mask:0xf
	v_cmp_lt_u32_e32 vcc_lo, 1, v41
	s_and_saveexec_b32 s1, vcc_lo
; %bb.90:
	s_delay_alu instid0(VALU_DEP_3) | instskip(NEXT) | instid1(VALU_DEP_1)
	v_add_co_u32 v3, s0, v15, v1
	v_add_co_ci_u32_e64 v2, null, 0, v16, s0
	s_delay_alu instid0(VALU_DEP_2) | instskip(SKIP_1) | instid1(VALU_DEP_2)
	v_add_co_u32 v1, s0, 0, v3
	s_wait_alu 0xf1ff
	v_add_co_ci_u32_e64 v2, null, v4, v2, s0
	s_delay_alu instid0(VALU_DEP_1)
	v_dual_mov_b32 v16, v2 :: v_dual_mov_b32 v15, v1
; %bb.91:
	s_or_b32 exec_lo, exec_lo, s1
	v_mov_b32_dpp v1, v3 row_shr:4 row_mask:0xf bank_mask:0xf
	v_mov_b32_dpp v4, v2 row_shr:4 row_mask:0xf bank_mask:0xf
	v_cmp_lt_u32_e64 s0, 3, v41
	s_and_saveexec_b32 s3, s0
; %bb.92:
	v_add_co_u32 v3, s1, v15, v1
	s_wait_alu 0xf1ff
	v_add_co_ci_u32_e64 v2, null, 0, v16, s1
	s_delay_alu instid0(VALU_DEP_2) | instskip(SKIP_1) | instid1(VALU_DEP_2)
	v_add_co_u32 v1, s1, 0, v3
	s_wait_alu 0xf1ff
	v_add_co_ci_u32_e64 v2, null, v4, v2, s1
	s_delay_alu instid0(VALU_DEP_1)
	v_dual_mov_b32 v16, v2 :: v_dual_mov_b32 v15, v1
; %bb.93:
	s_wait_alu 0xfffe
	s_or_b32 exec_lo, exec_lo, s3
	v_mov_b32_dpp v4, v3 row_shr:8 row_mask:0xf bank_mask:0xf
	v_mov_b32_dpp v1, v2 row_shr:8 row_mask:0xf bank_mask:0xf
	v_cmp_lt_u32_e64 s1, 7, v41
	s_and_saveexec_b32 s15, s1
; %bb.94:
	v_add_co_u32 v3, s3, v15, v4
	s_wait_alu 0xf1ff
	v_add_co_ci_u32_e64 v2, null, 0, v16, s3
	s_delay_alu instid0(VALU_DEP_2) | instskip(SKIP_1) | instid1(VALU_DEP_2)
	v_add_co_u32 v15, s3, 0, v3
	s_wait_alu 0xf1ff
	v_add_co_ci_u32_e64 v16, null, v1, v2, s3
	s_delay_alu instid0(VALU_DEP_1)
	v_mov_b32_e32 v2, v16
; %bb.95:
	s_wait_alu 0xfffe
	s_or_b32 exec_lo, exec_lo, s15
	ds_swizzle_b32 v3, v3 offset:swizzle(BROADCAST,32,15)
	ds_swizzle_b32 v1, v2 offset:swizzle(BROADCAST,32,15)
	v_and_b32_e32 v2, 16, v40
	s_mov_b32 s15, exec_lo
	s_delay_alu instid0(VALU_DEP_1)
	v_cmpx_ne_u32_e32 0, v2
	s_cbranch_execz .LBB1082_97
; %bb.96:
	s_wait_dscnt 0x1
	v_add_co_u32 v2, s3, v15, v3
	s_wait_alu 0xf1ff
	v_add_co_ci_u32_e64 v3, null, 0, v16, s3
	s_delay_alu instid0(VALU_DEP_2) | instskip(SKIP_2) | instid1(VALU_DEP_2)
	v_add_co_u32 v15, s3, v2, 0
	s_wait_dscnt 0x0
	s_wait_alu 0xf1ff
	v_add_co_ci_u32_e64 v16, null, v3, v1, s3
.LBB1082_97:
	s_wait_alu 0xfffe
	s_or_b32 exec_lo, exec_lo, s15
	s_wait_dscnt 0x0
	v_and_b32_e32 v1, 0x1e0, v0
	v_lshrrev_b32_e32 v3, 5, v0
	s_mov_b32 s15, exec_lo
	s_delay_alu instid0(VALU_DEP_2) | instskip(NEXT) | instid1(VALU_DEP_1)
	v_min_u32_e32 v1, 0x160, v1
	v_or_b32_e32 v1, 31, v1
	s_delay_alu instid0(VALU_DEP_1)
	v_cmpx_eq_u32_e64 v0, v1
; %bb.98:
	v_lshlrev_b32_e32 v1, 3, v3
	ds_store_b64 v1, v[15:16]
; %bb.99:
	s_wait_alu 0xfffe
	s_or_b32 exec_lo, exec_lo, s15
	s_delay_alu instid0(SALU_CYCLE_1)
	s_mov_b32 s15, exec_lo
	s_wait_loadcnt_dscnt 0x0
	s_barrier_signal -1
	s_barrier_wait -1
	global_inv scope:SCOPE_SE
	v_cmpx_gt_u32_e32 12, v0
	s_cbranch_execz .LBB1082_109
; %bb.100:
	v_mad_i32_i24 v1, 0xffffffec, v0, v34
	ds_load_b64 v[1:2], v1
	s_wait_dscnt 0x0
	v_mov_b32_dpp v6, v1 row_shr:1 row_mask:0xf bank_mask:0xf
	v_mov_b32_dpp v5, v2 row_shr:1 row_mask:0xf bank_mask:0xf
	v_mov_b32_e32 v4, v1
	s_and_saveexec_b32 s3, s2
; %bb.101:
	s_delay_alu instid0(VALU_DEP_3) | instskip(SKIP_2) | instid1(VALU_DEP_2)
	v_add_co_u32 v4, s2, v1, v6
	s_wait_alu 0xf1ff
	v_add_co_ci_u32_e64 v2, null, 0, v2, s2
	v_add_co_u32 v1, s2, 0, v4
	s_wait_alu 0xf1ff
	s_delay_alu instid0(VALU_DEP_2)
	v_add_co_ci_u32_e64 v2, null, v5, v2, s2
; %bb.102:
	s_wait_alu 0xfffe
	s_or_b32 exec_lo, exec_lo, s3
	v_mov_b32_dpp v6, v4 row_shr:2 row_mask:0xf bank_mask:0xf
	s_delay_alu instid0(VALU_DEP_2)
	v_mov_b32_dpp v5, v2 row_shr:2 row_mask:0xf bank_mask:0xf
	s_and_saveexec_b32 s2, vcc_lo
; %bb.103:
	s_delay_alu instid0(VALU_DEP_2) | instskip(SKIP_2) | instid1(VALU_DEP_2)
	v_add_co_u32 v4, vcc_lo, v1, v6
	s_wait_alu 0xfffd
	v_add_co_ci_u32_e64 v2, null, 0, v2, vcc_lo
	v_add_co_u32 v1, vcc_lo, 0, v4
	s_wait_alu 0xfffd
	s_delay_alu instid0(VALU_DEP_2)
	v_add_co_ci_u32_e64 v2, null, v5, v2, vcc_lo
; %bb.104:
	s_wait_alu 0xfffe
	s_or_b32 exec_lo, exec_lo, s2
	v_mov_b32_dpp v6, v4 row_shr:4 row_mask:0xf bank_mask:0xf
	s_delay_alu instid0(VALU_DEP_2)
	v_mov_b32_dpp v5, v2 row_shr:4 row_mask:0xf bank_mask:0xf
	s_and_saveexec_b32 s2, s0
; %bb.105:
	s_delay_alu instid0(VALU_DEP_2) | instskip(SKIP_2) | instid1(VALU_DEP_2)
	v_add_co_u32 v4, vcc_lo, v1, v6
	s_wait_alu 0xfffd
	v_add_co_ci_u32_e64 v2, null, 0, v2, vcc_lo
	v_add_co_u32 v1, vcc_lo, 0, v4
	s_wait_alu 0xfffd
	s_delay_alu instid0(VALU_DEP_2)
	v_add_co_ci_u32_e64 v2, null, v5, v2, vcc_lo
; %bb.106:
	s_wait_alu 0xfffe
	s_or_b32 exec_lo, exec_lo, s2
	v_mul_i32_i24_e32 v5, 0xffffffec, v0
	v_mov_b32_dpp v6, v4 row_shr:8 row_mask:0xf bank_mask:0xf
	v_mov_b32_dpp v4, v2 row_shr:8 row_mask:0xf bank_mask:0xf
	s_and_saveexec_b32 s0, s1
; %bb.107:
	s_delay_alu instid0(VALU_DEP_2) | instskip(SKIP_2) | instid1(VALU_DEP_2)
	v_add_co_u32 v1, vcc_lo, v1, v6
	s_wait_alu 0xfffd
	v_add_co_ci_u32_e64 v2, null, 0, v2, vcc_lo
	v_add_co_u32 v1, vcc_lo, v1, 0
	s_wait_alu 0xfffd
	s_delay_alu instid0(VALU_DEP_2)
	v_add_co_ci_u32_e64 v2, null, v2, v4, vcc_lo
; %bb.108:
	s_wait_alu 0xfffe
	s_or_b32 exec_lo, exec_lo, s0
	v_add_nc_u32_e32 v4, v34, v5
	ds_store_b64 v4, v[1:2]
.LBB1082_109:
	s_wait_alu 0xfffe
	s_or_b32 exec_lo, exec_lo, s15
	v_mov_b32_e32 v6, 0
	v_mov_b32_e32 v7, 0
	s_mov_b32 s0, exec_lo
	s_wait_loadcnt_dscnt 0x0
	s_barrier_signal -1
	s_barrier_wait -1
	global_inv scope:SCOPE_SE
	v_cmpx_lt_u32_e32 31, v0
; %bb.110:
	v_lshl_add_u32 v1, v3, 3, -8
	ds_load_b64 v[6:7], v1
; %bb.111:
	s_wait_alu 0xfffe
	s_or_b32 exec_lo, exec_lo, s0
	v_sub_co_u32 v1, vcc_lo, v40, 1
	v_mov_b32_e32 v5, 0
	s_delay_alu instid0(VALU_DEP_2) | instskip(SKIP_1) | instid1(VALU_DEP_1)
	v_cmp_gt_i32_e64 s0, 0, v1
	s_wait_alu 0xf1ff
	v_cndmask_b32_e64 v1, v1, v40, s0
	s_delay_alu instid0(VALU_DEP_1)
	v_lshlrev_b32_e32 v2, 2, v1
	s_wait_dscnt 0x0
	v_add_co_u32 v1, s0, v6, v15
	s_wait_alu 0xf1ff
	v_add_co_ci_u32_e64 v3, null, v7, v16, s0
	v_cmp_eq_u32_e64 s0, 0, v0
	ds_bpermute_b32 v1, v2, v1
	ds_bpermute_b32 v8, v2, v3
	ds_load_b64 v[2:3], v5 offset:88
	s_and_saveexec_b32 s1, s0
	s_cbranch_execz .LBB1082_113
; %bb.112:
	s_wait_kmcnt 0x0
	s_add_nc_u64 s[2:3], s[6:7], 0x200
	v_mov_b32_e32 v4, 2
	s_wait_alu 0xfffe
	v_dual_mov_b32 v16, s3 :: v_dual_mov_b32 v15, s2
	s_wait_dscnt 0x0
	;;#ASMSTART
	global_store_b128 v[15:16], v[2:5] off scope:SCOPE_DEV	
s_wait_storecnt 0x0
	;;#ASMEND
.LBB1082_113:
	s_wait_alu 0xfffe
	s_or_b32 exec_lo, exec_lo, s1
	s_wait_dscnt 0x1
	s_wait_alu 0xfffd
	v_dual_cndmask_b32 v1, v1, v6 :: v_dual_cndmask_b32 v4, v8, v7
	s_wait_loadcnt_dscnt 0x0
	s_barrier_signal -1
	s_barrier_wait -1
	s_delay_alu instid0(VALU_DEP_1)
	v_cndmask_b32_e64 v27, v1, 0, s0
	v_cndmask_b32_e64 v28, v4, 0, s0
	v_mov_b32_e32 v4, 0
	v_mov_b32_e32 v5, 0
	global_inv scope:SCOPE_SE
	v_add_co_u32 v25, vcc_lo, v27, v37
	s_wait_alu 0xfffd
	v_add_co_ci_u32_e64 v26, null, 0, v28, vcc_lo
	s_delay_alu instid0(VALU_DEP_2) | instskip(SKIP_1) | instid1(VALU_DEP_2)
	v_add_co_u32 v23, vcc_lo, v25, v36
	s_wait_alu 0xfffd
	v_add_co_ci_u32_e64 v24, null, 0, v26, vcc_lo
	s_delay_alu instid0(VALU_DEP_2) | instskip(SKIP_1) | instid1(VALU_DEP_2)
	;; [unrolled: 4-line block ×5, first 2 shown]
	v_add_co_u32 v17, vcc_lo, v6, v35
	s_wait_alu 0xfffd
	v_add_co_ci_u32_e64 v18, null, 0, v7, vcc_lo
.LBB1082_114:
	v_lshrrev_b32_e32 v8, 8, v33
	v_lshrrev_b32_e32 v1, 16, v33
	v_and_b32_e32 v33, 1, v33
	s_wait_dscnt 0x0
	v_cmp_gt_u64_e32 vcc_lo, 0x181, v[2:3]
	s_mov_b32 s1, -1
	s_delay_alu instid0(VALU_DEP_2)
	v_cmp_eq_u32_e64 s0, 1, v33
	s_cbranch_vccnz .LBB1082_118
; %bb.115:
	s_wait_alu 0xfffe
	s_and_b32 vcc_lo, exec_lo, s1
	s_wait_alu 0xfffe
	s_cbranch_vccnz .LBB1082_133
.LBB1082_116:
	v_cmp_eq_u32_e32 vcc_lo, 0, v0
	s_and_b32 s0, vcc_lo, s12
	s_wait_alu 0xfffe
	s_and_saveexec_b32 s1, s0
	s_cbranch_execnz .LBB1082_150
.LBB1082_117:
	s_endpgm
.LBB1082_118:
	v_add_co_u32 v15, vcc_lo, v4, v2
	s_wait_alu 0xfffd
	v_add_co_ci_u32_e64 v16, null, v5, v3, vcc_lo
	s_wait_kmcnt 0x0
	s_lshl_b64 s[2:3], s[10:11], 2
	s_wait_alu 0xfffe
	s_add_nc_u64 s[2:3], s[4:5], s[2:3]
	v_cmp_lt_u64_e32 vcc_lo, v[27:28], v[15:16]
	s_or_b32 s1, s13, vcc_lo
	s_wait_alu 0xfffe
	s_and_b32 s1, s1, s0
	s_wait_alu 0xfffe
	s_and_saveexec_b32 s0, s1
	s_cbranch_execz .LBB1082_120
; %bb.119:
	v_lshlrev_b64_e32 v[34:35], 2, v[27:28]
	s_delay_alu instid0(VALU_DEP_1) | instskip(SKIP_1) | instid1(VALU_DEP_2)
	v_add_co_u32 v34, vcc_lo, s2, v34
	s_wait_alu 0xfffd
	v_add_co_ci_u32_e64 v35, null, s3, v35, vcc_lo
	global_store_b32 v[34:35], v13, off
.LBB1082_120:
	s_wait_alu 0xfffe
	s_or_b32 exec_lo, exec_lo, s0
	v_and_b32_e32 v28, 1, v8
	v_cmp_lt_u64_e32 vcc_lo, v[25:26], v[15:16]
	s_delay_alu instid0(VALU_DEP_2)
	v_cmp_eq_u32_e64 s0, 1, v28
	s_or_b32 s1, s13, vcc_lo
	s_wait_alu 0xfffe
	s_and_b32 s1, s1, s0
	s_wait_alu 0xfffe
	s_and_saveexec_b32 s0, s1
	s_cbranch_execz .LBB1082_122
; %bb.121:
	v_lshlrev_b64_e32 v[34:35], 2, v[25:26]
	s_delay_alu instid0(VALU_DEP_1) | instskip(SKIP_1) | instid1(VALU_DEP_2)
	v_add_co_u32 v34, vcc_lo, s2, v34
	s_wait_alu 0xfffd
	v_add_co_ci_u32_e64 v35, null, s3, v35, vcc_lo
	global_store_b32 v[34:35], v14, off
.LBB1082_122:
	s_wait_alu 0xfffe
	s_or_b32 exec_lo, exec_lo, s0
	v_and_b32_e32 v26, 1, v1
	v_cmp_lt_u64_e32 vcc_lo, v[23:24], v[15:16]
	s_delay_alu instid0(VALU_DEP_2)
	v_cmp_eq_u32_e64 s0, 1, v26
	;; [unrolled: 20-line block ×5, first 2 shown]
	s_or_b32 s1, s13, vcc_lo
	s_wait_alu 0xfffe
	s_and_b32 s1, s1, s0
	s_wait_alu 0xfffe
	s_and_saveexec_b32 s0, s1
	s_cbranch_execz .LBB1082_130
; %bb.129:
	v_lshlrev_b64_e32 v[34:35], 2, v[6:7]
	s_delay_alu instid0(VALU_DEP_1) | instskip(SKIP_1) | instid1(VALU_DEP_2)
	v_add_co_u32 v34, vcc_lo, s2, v34
	s_wait_alu 0xfffd
	v_add_co_ci_u32_e64 v35, null, s3, v35, vcc_lo
	global_store_b32 v[34:35], v10, off
.LBB1082_130:
	s_wait_alu 0xfffe
	s_or_b32 exec_lo, exec_lo, s0
	v_cmp_lt_u64_e32 vcc_lo, v[17:18], v[15:16]
	s_or_b32 s0, s13, vcc_lo
	s_wait_alu 0xfffe
	s_and_b32 s1, s0, s14
	s_wait_alu 0xfffe
	s_and_saveexec_b32 s0, s1
	s_cbranch_execz .LBB1082_132
; %bb.131:
	v_lshlrev_b64_e32 v[15:16], 2, v[17:18]
	s_delay_alu instid0(VALU_DEP_1) | instskip(SKIP_1) | instid1(VALU_DEP_2)
	v_add_co_u32 v15, vcc_lo, s2, v15
	s_wait_alu 0xfffd
	v_add_co_ci_u32_e64 v16, null, s3, v16, vcc_lo
	global_store_b32 v[15:16], v29, off
.LBB1082_132:
	s_wait_alu 0xfffe
	s_or_b32 exec_lo, exec_lo, s0
	s_branch .LBB1082_116
.LBB1082_133:
	s_mov_b32 s0, exec_lo
	v_cmpx_eq_u32_e32 1, v33
; %bb.134:
	v_sub_nc_u32_e32 v7, v27, v4
	s_delay_alu instid0(VALU_DEP_1)
	v_lshlrev_b32_e32 v7, 2, v7
	ds_store_b32 v7, v13
; %bb.135:
	s_wait_alu 0xfffe
	s_or_b32 exec_lo, exec_lo, s0
	v_and_b32_e32 v7, 1, v8
	s_mov_b32 s0, exec_lo
	s_delay_alu instid0(VALU_DEP_1)
	v_cmpx_eq_u32_e32 1, v7
; %bb.136:
	v_sub_nc_u32_e32 v7, v25, v4
	s_delay_alu instid0(VALU_DEP_1)
	v_lshlrev_b32_e32 v7, 2, v7
	ds_store_b32 v7, v14
; %bb.137:
	s_wait_alu 0xfffe
	s_or_b32 exec_lo, exec_lo, s0
	v_and_b32_e32 v1, 1, v1
	s_mov_b32 s0, exec_lo
	s_delay_alu instid0(VALU_DEP_1)
	;; [unrolled: 12-line block ×5, first 2 shown]
	v_cmpx_eq_u32_e32 1, v1
; %bb.144:
	v_sub_nc_u32_e32 v1, v6, v4
	s_delay_alu instid0(VALU_DEP_1)
	v_lshlrev_b32_e32 v1, 2, v1
	ds_store_b32 v1, v10
; %bb.145:
	s_wait_alu 0xfffe
	s_or_b32 exec_lo, exec_lo, s0
	s_and_saveexec_b32 s0, s14
; %bb.146:
	v_sub_nc_u32_e32 v1, v17, v4
	s_delay_alu instid0(VALU_DEP_1)
	v_lshlrev_b32_e32 v1, 2, v1
	ds_store_b32 v1, v29
; %bb.147:
	s_wait_alu 0xfffe
	s_or_b32 exec_lo, exec_lo, s0
	v_lshlrev_b64_e32 v[8:9], 2, v[4:5]
	v_mov_b32_e32 v7, 0
	s_wait_kmcnt 0x0
	s_lshl_b64 s[0:1], s[10:11], 2
	s_wait_storecnt 0x0
	s_wait_loadcnt_dscnt 0x0
	s_barrier_signal -1
	s_barrier_wait -1
	v_add_co_u32 v6, vcc_lo, s4, v8
	s_wait_alu 0xfffd
	v_add_co_ci_u32_e64 v8, null, s5, v9, vcc_lo
	global_inv scope:SCOPE_SE
	s_wait_alu 0xfffe
	v_add_co_u32 v10, vcc_lo, v6, s0
	v_dual_mov_b32 v1, v7 :: v_dual_add_nc_u32 v6, 0x180, v0
	s_wait_alu 0xfffd
	v_add_co_ci_u32_e64 v11, null, s1, v8, vcc_lo
	s_mov_b32 s1, 0
	v_dual_mov_b32 v9, v1 :: v_dual_mov_b32 v8, v0
.LBB1082_148:                           ; =>This Inner Loop Header: Depth=1
	s_delay_alu instid0(VALU_DEP_1) | instskip(NEXT) | instid1(VALU_DEP_2)
	v_lshlrev_b32_e32 v1, 2, v8
	v_lshlrev_b64_e32 v[12:13], 2, v[8:9]
	v_dual_mov_b32 v9, v7 :: v_dual_mov_b32 v8, v6
	v_cmp_le_u64_e32 vcc_lo, v[2:3], v[6:7]
	ds_load_b32 v1, v1
	v_add_nc_u32_e32 v6, 0x180, v6
	v_add_co_u32 v12, s0, v10, v12
	s_wait_alu 0xf1ff
	v_add_co_ci_u32_e64 v13, null, v11, v13, s0
	s_wait_alu 0xfffe
	s_or_b32 s1, vcc_lo, s1
	s_wait_dscnt 0x0
	global_store_b32 v[12:13], v1, off
	s_wait_alu 0xfffe
	s_and_not1_b32 exec_lo, exec_lo, s1
	s_cbranch_execnz .LBB1082_148
; %bb.149:
	s_or_b32 exec_lo, exec_lo, s1
	v_cmp_eq_u32_e32 vcc_lo, 0, v0
	s_and_b32 s0, vcc_lo, s12
	s_wait_alu 0xfffe
	s_and_saveexec_b32 s1, s0
	s_cbranch_execz .LBB1082_117
.LBB1082_150:
	v_add_co_u32 v0, vcc_lo, v4, v2
	s_wait_alu 0xfffd
	v_add_co_ci_u32_e64 v1, null, v5, v3, vcc_lo
	v_mov_b32_e32 v2, 0
	s_wait_kmcnt 0x0
	v_add_co_u32 v0, vcc_lo, v0, s10
	s_wait_alu 0xfffd
	v_add_co_ci_u32_e64 v1, null, s11, v1, vcc_lo
	global_store_b64 v2, v[0:1], s[8:9]
	s_endpgm
	.section	.rodata,"a",@progbits
	.p2align	6, 0x0
	.amdhsa_kernel _ZN7rocprim17ROCPRIM_400000_NS6detail17trampoline_kernelINS0_14default_configENS1_25partition_config_selectorILNS1_17partition_subalgoE6EfNS0_10empty_typeEbEEZZNS1_14partition_implILS5_6ELb0ES3_mN6thrust23THRUST_200600_302600_NS6detail15normal_iteratorINSA_10device_ptrIfEEEEPS6_SG_NS0_5tupleIJSF_S6_EEENSH_IJSG_SG_EEES6_PlJNSB_9not_fun_tI7is_trueIfEEEEEE10hipError_tPvRmT3_T4_T5_T6_T7_T9_mT8_P12ihipStream_tbDpT10_ENKUlT_T0_E_clISt17integral_constantIbLb0EES18_EEDaS13_S14_EUlS13_E_NS1_11comp_targetILNS1_3genE10ELNS1_11target_archE1200ELNS1_3gpuE4ELNS1_3repE0EEENS1_30default_config_static_selectorELNS0_4arch9wavefront6targetE0EEEvT1_
		.amdhsa_group_segment_fixed_size 10768
		.amdhsa_private_segment_fixed_size 0
		.amdhsa_kernarg_size 112
		.amdhsa_user_sgpr_count 2
		.amdhsa_user_sgpr_dispatch_ptr 0
		.amdhsa_user_sgpr_queue_ptr 0
		.amdhsa_user_sgpr_kernarg_segment_ptr 1
		.amdhsa_user_sgpr_dispatch_id 0
		.amdhsa_user_sgpr_private_segment_size 0
		.amdhsa_wavefront_size32 1
		.amdhsa_uses_dynamic_stack 0
		.amdhsa_enable_private_segment 0
		.amdhsa_system_sgpr_workgroup_id_x 1
		.amdhsa_system_sgpr_workgroup_id_y 0
		.amdhsa_system_sgpr_workgroup_id_z 0
		.amdhsa_system_sgpr_workgroup_info 0
		.amdhsa_system_vgpr_workitem_id 0
		.amdhsa_next_free_vgpr 49
		.amdhsa_next_free_sgpr 19
		.amdhsa_reserve_vcc 1
		.amdhsa_float_round_mode_32 0
		.amdhsa_float_round_mode_16_64 0
		.amdhsa_float_denorm_mode_32 3
		.amdhsa_float_denorm_mode_16_64 3
		.amdhsa_fp16_overflow 0
		.amdhsa_workgroup_processor_mode 1
		.amdhsa_memory_ordered 1
		.amdhsa_forward_progress 1
		.amdhsa_inst_pref_size 59
		.amdhsa_round_robin_scheduling 0
		.amdhsa_exception_fp_ieee_invalid_op 0
		.amdhsa_exception_fp_denorm_src 0
		.amdhsa_exception_fp_ieee_div_zero 0
		.amdhsa_exception_fp_ieee_overflow 0
		.amdhsa_exception_fp_ieee_underflow 0
		.amdhsa_exception_fp_ieee_inexact 0
		.amdhsa_exception_int_div_zero 0
	.end_amdhsa_kernel
	.section	.text._ZN7rocprim17ROCPRIM_400000_NS6detail17trampoline_kernelINS0_14default_configENS1_25partition_config_selectorILNS1_17partition_subalgoE6EfNS0_10empty_typeEbEEZZNS1_14partition_implILS5_6ELb0ES3_mN6thrust23THRUST_200600_302600_NS6detail15normal_iteratorINSA_10device_ptrIfEEEEPS6_SG_NS0_5tupleIJSF_S6_EEENSH_IJSG_SG_EEES6_PlJNSB_9not_fun_tI7is_trueIfEEEEEE10hipError_tPvRmT3_T4_T5_T6_T7_T9_mT8_P12ihipStream_tbDpT10_ENKUlT_T0_E_clISt17integral_constantIbLb0EES18_EEDaS13_S14_EUlS13_E_NS1_11comp_targetILNS1_3genE10ELNS1_11target_archE1200ELNS1_3gpuE4ELNS1_3repE0EEENS1_30default_config_static_selectorELNS0_4arch9wavefront6targetE0EEEvT1_,"axG",@progbits,_ZN7rocprim17ROCPRIM_400000_NS6detail17trampoline_kernelINS0_14default_configENS1_25partition_config_selectorILNS1_17partition_subalgoE6EfNS0_10empty_typeEbEEZZNS1_14partition_implILS5_6ELb0ES3_mN6thrust23THRUST_200600_302600_NS6detail15normal_iteratorINSA_10device_ptrIfEEEEPS6_SG_NS0_5tupleIJSF_S6_EEENSH_IJSG_SG_EEES6_PlJNSB_9not_fun_tI7is_trueIfEEEEEE10hipError_tPvRmT3_T4_T5_T6_T7_T9_mT8_P12ihipStream_tbDpT10_ENKUlT_T0_E_clISt17integral_constantIbLb0EES18_EEDaS13_S14_EUlS13_E_NS1_11comp_targetILNS1_3genE10ELNS1_11target_archE1200ELNS1_3gpuE4ELNS1_3repE0EEENS1_30default_config_static_selectorELNS0_4arch9wavefront6targetE0EEEvT1_,comdat
.Lfunc_end1082:
	.size	_ZN7rocprim17ROCPRIM_400000_NS6detail17trampoline_kernelINS0_14default_configENS1_25partition_config_selectorILNS1_17partition_subalgoE6EfNS0_10empty_typeEbEEZZNS1_14partition_implILS5_6ELb0ES3_mN6thrust23THRUST_200600_302600_NS6detail15normal_iteratorINSA_10device_ptrIfEEEEPS6_SG_NS0_5tupleIJSF_S6_EEENSH_IJSG_SG_EEES6_PlJNSB_9not_fun_tI7is_trueIfEEEEEE10hipError_tPvRmT3_T4_T5_T6_T7_T9_mT8_P12ihipStream_tbDpT10_ENKUlT_T0_E_clISt17integral_constantIbLb0EES18_EEDaS13_S14_EUlS13_E_NS1_11comp_targetILNS1_3genE10ELNS1_11target_archE1200ELNS1_3gpuE4ELNS1_3repE0EEENS1_30default_config_static_selectorELNS0_4arch9wavefront6targetE0EEEvT1_, .Lfunc_end1082-_ZN7rocprim17ROCPRIM_400000_NS6detail17trampoline_kernelINS0_14default_configENS1_25partition_config_selectorILNS1_17partition_subalgoE6EfNS0_10empty_typeEbEEZZNS1_14partition_implILS5_6ELb0ES3_mN6thrust23THRUST_200600_302600_NS6detail15normal_iteratorINSA_10device_ptrIfEEEEPS6_SG_NS0_5tupleIJSF_S6_EEENSH_IJSG_SG_EEES6_PlJNSB_9not_fun_tI7is_trueIfEEEEEE10hipError_tPvRmT3_T4_T5_T6_T7_T9_mT8_P12ihipStream_tbDpT10_ENKUlT_T0_E_clISt17integral_constantIbLb0EES18_EEDaS13_S14_EUlS13_E_NS1_11comp_targetILNS1_3genE10ELNS1_11target_archE1200ELNS1_3gpuE4ELNS1_3repE0EEENS1_30default_config_static_selectorELNS0_4arch9wavefront6targetE0EEEvT1_
                                        ; -- End function
	.set _ZN7rocprim17ROCPRIM_400000_NS6detail17trampoline_kernelINS0_14default_configENS1_25partition_config_selectorILNS1_17partition_subalgoE6EfNS0_10empty_typeEbEEZZNS1_14partition_implILS5_6ELb0ES3_mN6thrust23THRUST_200600_302600_NS6detail15normal_iteratorINSA_10device_ptrIfEEEEPS6_SG_NS0_5tupleIJSF_S6_EEENSH_IJSG_SG_EEES6_PlJNSB_9not_fun_tI7is_trueIfEEEEEE10hipError_tPvRmT3_T4_T5_T6_T7_T9_mT8_P12ihipStream_tbDpT10_ENKUlT_T0_E_clISt17integral_constantIbLb0EES18_EEDaS13_S14_EUlS13_E_NS1_11comp_targetILNS1_3genE10ELNS1_11target_archE1200ELNS1_3gpuE4ELNS1_3repE0EEENS1_30default_config_static_selectorELNS0_4arch9wavefront6targetE0EEEvT1_.num_vgpr, 49
	.set _ZN7rocprim17ROCPRIM_400000_NS6detail17trampoline_kernelINS0_14default_configENS1_25partition_config_selectorILNS1_17partition_subalgoE6EfNS0_10empty_typeEbEEZZNS1_14partition_implILS5_6ELb0ES3_mN6thrust23THRUST_200600_302600_NS6detail15normal_iteratorINSA_10device_ptrIfEEEEPS6_SG_NS0_5tupleIJSF_S6_EEENSH_IJSG_SG_EEES6_PlJNSB_9not_fun_tI7is_trueIfEEEEEE10hipError_tPvRmT3_T4_T5_T6_T7_T9_mT8_P12ihipStream_tbDpT10_ENKUlT_T0_E_clISt17integral_constantIbLb0EES18_EEDaS13_S14_EUlS13_E_NS1_11comp_targetILNS1_3genE10ELNS1_11target_archE1200ELNS1_3gpuE4ELNS1_3repE0EEENS1_30default_config_static_selectorELNS0_4arch9wavefront6targetE0EEEvT1_.num_agpr, 0
	.set _ZN7rocprim17ROCPRIM_400000_NS6detail17trampoline_kernelINS0_14default_configENS1_25partition_config_selectorILNS1_17partition_subalgoE6EfNS0_10empty_typeEbEEZZNS1_14partition_implILS5_6ELb0ES3_mN6thrust23THRUST_200600_302600_NS6detail15normal_iteratorINSA_10device_ptrIfEEEEPS6_SG_NS0_5tupleIJSF_S6_EEENSH_IJSG_SG_EEES6_PlJNSB_9not_fun_tI7is_trueIfEEEEEE10hipError_tPvRmT3_T4_T5_T6_T7_T9_mT8_P12ihipStream_tbDpT10_ENKUlT_T0_E_clISt17integral_constantIbLb0EES18_EEDaS13_S14_EUlS13_E_NS1_11comp_targetILNS1_3genE10ELNS1_11target_archE1200ELNS1_3gpuE4ELNS1_3repE0EEENS1_30default_config_static_selectorELNS0_4arch9wavefront6targetE0EEEvT1_.numbered_sgpr, 19
	.set _ZN7rocprim17ROCPRIM_400000_NS6detail17trampoline_kernelINS0_14default_configENS1_25partition_config_selectorILNS1_17partition_subalgoE6EfNS0_10empty_typeEbEEZZNS1_14partition_implILS5_6ELb0ES3_mN6thrust23THRUST_200600_302600_NS6detail15normal_iteratorINSA_10device_ptrIfEEEEPS6_SG_NS0_5tupleIJSF_S6_EEENSH_IJSG_SG_EEES6_PlJNSB_9not_fun_tI7is_trueIfEEEEEE10hipError_tPvRmT3_T4_T5_T6_T7_T9_mT8_P12ihipStream_tbDpT10_ENKUlT_T0_E_clISt17integral_constantIbLb0EES18_EEDaS13_S14_EUlS13_E_NS1_11comp_targetILNS1_3genE10ELNS1_11target_archE1200ELNS1_3gpuE4ELNS1_3repE0EEENS1_30default_config_static_selectorELNS0_4arch9wavefront6targetE0EEEvT1_.num_named_barrier, 0
	.set _ZN7rocprim17ROCPRIM_400000_NS6detail17trampoline_kernelINS0_14default_configENS1_25partition_config_selectorILNS1_17partition_subalgoE6EfNS0_10empty_typeEbEEZZNS1_14partition_implILS5_6ELb0ES3_mN6thrust23THRUST_200600_302600_NS6detail15normal_iteratorINSA_10device_ptrIfEEEEPS6_SG_NS0_5tupleIJSF_S6_EEENSH_IJSG_SG_EEES6_PlJNSB_9not_fun_tI7is_trueIfEEEEEE10hipError_tPvRmT3_T4_T5_T6_T7_T9_mT8_P12ihipStream_tbDpT10_ENKUlT_T0_E_clISt17integral_constantIbLb0EES18_EEDaS13_S14_EUlS13_E_NS1_11comp_targetILNS1_3genE10ELNS1_11target_archE1200ELNS1_3gpuE4ELNS1_3repE0EEENS1_30default_config_static_selectorELNS0_4arch9wavefront6targetE0EEEvT1_.private_seg_size, 0
	.set _ZN7rocprim17ROCPRIM_400000_NS6detail17trampoline_kernelINS0_14default_configENS1_25partition_config_selectorILNS1_17partition_subalgoE6EfNS0_10empty_typeEbEEZZNS1_14partition_implILS5_6ELb0ES3_mN6thrust23THRUST_200600_302600_NS6detail15normal_iteratorINSA_10device_ptrIfEEEEPS6_SG_NS0_5tupleIJSF_S6_EEENSH_IJSG_SG_EEES6_PlJNSB_9not_fun_tI7is_trueIfEEEEEE10hipError_tPvRmT3_T4_T5_T6_T7_T9_mT8_P12ihipStream_tbDpT10_ENKUlT_T0_E_clISt17integral_constantIbLb0EES18_EEDaS13_S14_EUlS13_E_NS1_11comp_targetILNS1_3genE10ELNS1_11target_archE1200ELNS1_3gpuE4ELNS1_3repE0EEENS1_30default_config_static_selectorELNS0_4arch9wavefront6targetE0EEEvT1_.uses_vcc, 1
	.set _ZN7rocprim17ROCPRIM_400000_NS6detail17trampoline_kernelINS0_14default_configENS1_25partition_config_selectorILNS1_17partition_subalgoE6EfNS0_10empty_typeEbEEZZNS1_14partition_implILS5_6ELb0ES3_mN6thrust23THRUST_200600_302600_NS6detail15normal_iteratorINSA_10device_ptrIfEEEEPS6_SG_NS0_5tupleIJSF_S6_EEENSH_IJSG_SG_EEES6_PlJNSB_9not_fun_tI7is_trueIfEEEEEE10hipError_tPvRmT3_T4_T5_T6_T7_T9_mT8_P12ihipStream_tbDpT10_ENKUlT_T0_E_clISt17integral_constantIbLb0EES18_EEDaS13_S14_EUlS13_E_NS1_11comp_targetILNS1_3genE10ELNS1_11target_archE1200ELNS1_3gpuE4ELNS1_3repE0EEENS1_30default_config_static_selectorELNS0_4arch9wavefront6targetE0EEEvT1_.uses_flat_scratch, 1
	.set _ZN7rocprim17ROCPRIM_400000_NS6detail17trampoline_kernelINS0_14default_configENS1_25partition_config_selectorILNS1_17partition_subalgoE6EfNS0_10empty_typeEbEEZZNS1_14partition_implILS5_6ELb0ES3_mN6thrust23THRUST_200600_302600_NS6detail15normal_iteratorINSA_10device_ptrIfEEEEPS6_SG_NS0_5tupleIJSF_S6_EEENSH_IJSG_SG_EEES6_PlJNSB_9not_fun_tI7is_trueIfEEEEEE10hipError_tPvRmT3_T4_T5_T6_T7_T9_mT8_P12ihipStream_tbDpT10_ENKUlT_T0_E_clISt17integral_constantIbLb0EES18_EEDaS13_S14_EUlS13_E_NS1_11comp_targetILNS1_3genE10ELNS1_11target_archE1200ELNS1_3gpuE4ELNS1_3repE0EEENS1_30default_config_static_selectorELNS0_4arch9wavefront6targetE0EEEvT1_.has_dyn_sized_stack, 0
	.set _ZN7rocprim17ROCPRIM_400000_NS6detail17trampoline_kernelINS0_14default_configENS1_25partition_config_selectorILNS1_17partition_subalgoE6EfNS0_10empty_typeEbEEZZNS1_14partition_implILS5_6ELb0ES3_mN6thrust23THRUST_200600_302600_NS6detail15normal_iteratorINSA_10device_ptrIfEEEEPS6_SG_NS0_5tupleIJSF_S6_EEENSH_IJSG_SG_EEES6_PlJNSB_9not_fun_tI7is_trueIfEEEEEE10hipError_tPvRmT3_T4_T5_T6_T7_T9_mT8_P12ihipStream_tbDpT10_ENKUlT_T0_E_clISt17integral_constantIbLb0EES18_EEDaS13_S14_EUlS13_E_NS1_11comp_targetILNS1_3genE10ELNS1_11target_archE1200ELNS1_3gpuE4ELNS1_3repE0EEENS1_30default_config_static_selectorELNS0_4arch9wavefront6targetE0EEEvT1_.has_recursion, 0
	.set _ZN7rocprim17ROCPRIM_400000_NS6detail17trampoline_kernelINS0_14default_configENS1_25partition_config_selectorILNS1_17partition_subalgoE6EfNS0_10empty_typeEbEEZZNS1_14partition_implILS5_6ELb0ES3_mN6thrust23THRUST_200600_302600_NS6detail15normal_iteratorINSA_10device_ptrIfEEEEPS6_SG_NS0_5tupleIJSF_S6_EEENSH_IJSG_SG_EEES6_PlJNSB_9not_fun_tI7is_trueIfEEEEEE10hipError_tPvRmT3_T4_T5_T6_T7_T9_mT8_P12ihipStream_tbDpT10_ENKUlT_T0_E_clISt17integral_constantIbLb0EES18_EEDaS13_S14_EUlS13_E_NS1_11comp_targetILNS1_3genE10ELNS1_11target_archE1200ELNS1_3gpuE4ELNS1_3repE0EEENS1_30default_config_static_selectorELNS0_4arch9wavefront6targetE0EEEvT1_.has_indirect_call, 0
	.section	.AMDGPU.csdata,"",@progbits
; Kernel info:
; codeLenInByte = 7448
; TotalNumSgprs: 21
; NumVgprs: 49
; ScratchSize: 0
; MemoryBound: 0
; FloatMode: 240
; IeeeMode: 1
; LDSByteSize: 10768 bytes/workgroup (compile time only)
; SGPRBlocks: 0
; VGPRBlocks: 6
; NumSGPRsForWavesPerEU: 21
; NumVGPRsForWavesPerEU: 49
; Occupancy: 15
; WaveLimiterHint : 1
; COMPUTE_PGM_RSRC2:SCRATCH_EN: 0
; COMPUTE_PGM_RSRC2:USER_SGPR: 2
; COMPUTE_PGM_RSRC2:TRAP_HANDLER: 0
; COMPUTE_PGM_RSRC2:TGID_X_EN: 1
; COMPUTE_PGM_RSRC2:TGID_Y_EN: 0
; COMPUTE_PGM_RSRC2:TGID_Z_EN: 0
; COMPUTE_PGM_RSRC2:TIDIG_COMP_CNT: 0
	.section	.text._ZN7rocprim17ROCPRIM_400000_NS6detail17trampoline_kernelINS0_14default_configENS1_25partition_config_selectorILNS1_17partition_subalgoE6EfNS0_10empty_typeEbEEZZNS1_14partition_implILS5_6ELb0ES3_mN6thrust23THRUST_200600_302600_NS6detail15normal_iteratorINSA_10device_ptrIfEEEEPS6_SG_NS0_5tupleIJSF_S6_EEENSH_IJSG_SG_EEES6_PlJNSB_9not_fun_tI7is_trueIfEEEEEE10hipError_tPvRmT3_T4_T5_T6_T7_T9_mT8_P12ihipStream_tbDpT10_ENKUlT_T0_E_clISt17integral_constantIbLb0EES18_EEDaS13_S14_EUlS13_E_NS1_11comp_targetILNS1_3genE9ELNS1_11target_archE1100ELNS1_3gpuE3ELNS1_3repE0EEENS1_30default_config_static_selectorELNS0_4arch9wavefront6targetE0EEEvT1_,"axG",@progbits,_ZN7rocprim17ROCPRIM_400000_NS6detail17trampoline_kernelINS0_14default_configENS1_25partition_config_selectorILNS1_17partition_subalgoE6EfNS0_10empty_typeEbEEZZNS1_14partition_implILS5_6ELb0ES3_mN6thrust23THRUST_200600_302600_NS6detail15normal_iteratorINSA_10device_ptrIfEEEEPS6_SG_NS0_5tupleIJSF_S6_EEENSH_IJSG_SG_EEES6_PlJNSB_9not_fun_tI7is_trueIfEEEEEE10hipError_tPvRmT3_T4_T5_T6_T7_T9_mT8_P12ihipStream_tbDpT10_ENKUlT_T0_E_clISt17integral_constantIbLb0EES18_EEDaS13_S14_EUlS13_E_NS1_11comp_targetILNS1_3genE9ELNS1_11target_archE1100ELNS1_3gpuE3ELNS1_3repE0EEENS1_30default_config_static_selectorELNS0_4arch9wavefront6targetE0EEEvT1_,comdat
	.protected	_ZN7rocprim17ROCPRIM_400000_NS6detail17trampoline_kernelINS0_14default_configENS1_25partition_config_selectorILNS1_17partition_subalgoE6EfNS0_10empty_typeEbEEZZNS1_14partition_implILS5_6ELb0ES3_mN6thrust23THRUST_200600_302600_NS6detail15normal_iteratorINSA_10device_ptrIfEEEEPS6_SG_NS0_5tupleIJSF_S6_EEENSH_IJSG_SG_EEES6_PlJNSB_9not_fun_tI7is_trueIfEEEEEE10hipError_tPvRmT3_T4_T5_T6_T7_T9_mT8_P12ihipStream_tbDpT10_ENKUlT_T0_E_clISt17integral_constantIbLb0EES18_EEDaS13_S14_EUlS13_E_NS1_11comp_targetILNS1_3genE9ELNS1_11target_archE1100ELNS1_3gpuE3ELNS1_3repE0EEENS1_30default_config_static_selectorELNS0_4arch9wavefront6targetE0EEEvT1_ ; -- Begin function _ZN7rocprim17ROCPRIM_400000_NS6detail17trampoline_kernelINS0_14default_configENS1_25partition_config_selectorILNS1_17partition_subalgoE6EfNS0_10empty_typeEbEEZZNS1_14partition_implILS5_6ELb0ES3_mN6thrust23THRUST_200600_302600_NS6detail15normal_iteratorINSA_10device_ptrIfEEEEPS6_SG_NS0_5tupleIJSF_S6_EEENSH_IJSG_SG_EEES6_PlJNSB_9not_fun_tI7is_trueIfEEEEEE10hipError_tPvRmT3_T4_T5_T6_T7_T9_mT8_P12ihipStream_tbDpT10_ENKUlT_T0_E_clISt17integral_constantIbLb0EES18_EEDaS13_S14_EUlS13_E_NS1_11comp_targetILNS1_3genE9ELNS1_11target_archE1100ELNS1_3gpuE3ELNS1_3repE0EEENS1_30default_config_static_selectorELNS0_4arch9wavefront6targetE0EEEvT1_
	.globl	_ZN7rocprim17ROCPRIM_400000_NS6detail17trampoline_kernelINS0_14default_configENS1_25partition_config_selectorILNS1_17partition_subalgoE6EfNS0_10empty_typeEbEEZZNS1_14partition_implILS5_6ELb0ES3_mN6thrust23THRUST_200600_302600_NS6detail15normal_iteratorINSA_10device_ptrIfEEEEPS6_SG_NS0_5tupleIJSF_S6_EEENSH_IJSG_SG_EEES6_PlJNSB_9not_fun_tI7is_trueIfEEEEEE10hipError_tPvRmT3_T4_T5_T6_T7_T9_mT8_P12ihipStream_tbDpT10_ENKUlT_T0_E_clISt17integral_constantIbLb0EES18_EEDaS13_S14_EUlS13_E_NS1_11comp_targetILNS1_3genE9ELNS1_11target_archE1100ELNS1_3gpuE3ELNS1_3repE0EEENS1_30default_config_static_selectorELNS0_4arch9wavefront6targetE0EEEvT1_
	.p2align	8
	.type	_ZN7rocprim17ROCPRIM_400000_NS6detail17trampoline_kernelINS0_14default_configENS1_25partition_config_selectorILNS1_17partition_subalgoE6EfNS0_10empty_typeEbEEZZNS1_14partition_implILS5_6ELb0ES3_mN6thrust23THRUST_200600_302600_NS6detail15normal_iteratorINSA_10device_ptrIfEEEEPS6_SG_NS0_5tupleIJSF_S6_EEENSH_IJSG_SG_EEES6_PlJNSB_9not_fun_tI7is_trueIfEEEEEE10hipError_tPvRmT3_T4_T5_T6_T7_T9_mT8_P12ihipStream_tbDpT10_ENKUlT_T0_E_clISt17integral_constantIbLb0EES18_EEDaS13_S14_EUlS13_E_NS1_11comp_targetILNS1_3genE9ELNS1_11target_archE1100ELNS1_3gpuE3ELNS1_3repE0EEENS1_30default_config_static_selectorELNS0_4arch9wavefront6targetE0EEEvT1_,@function
_ZN7rocprim17ROCPRIM_400000_NS6detail17trampoline_kernelINS0_14default_configENS1_25partition_config_selectorILNS1_17partition_subalgoE6EfNS0_10empty_typeEbEEZZNS1_14partition_implILS5_6ELb0ES3_mN6thrust23THRUST_200600_302600_NS6detail15normal_iteratorINSA_10device_ptrIfEEEEPS6_SG_NS0_5tupleIJSF_S6_EEENSH_IJSG_SG_EEES6_PlJNSB_9not_fun_tI7is_trueIfEEEEEE10hipError_tPvRmT3_T4_T5_T6_T7_T9_mT8_P12ihipStream_tbDpT10_ENKUlT_T0_E_clISt17integral_constantIbLb0EES18_EEDaS13_S14_EUlS13_E_NS1_11comp_targetILNS1_3genE9ELNS1_11target_archE1100ELNS1_3gpuE3ELNS1_3repE0EEENS1_30default_config_static_selectorELNS0_4arch9wavefront6targetE0EEEvT1_: ; @_ZN7rocprim17ROCPRIM_400000_NS6detail17trampoline_kernelINS0_14default_configENS1_25partition_config_selectorILNS1_17partition_subalgoE6EfNS0_10empty_typeEbEEZZNS1_14partition_implILS5_6ELb0ES3_mN6thrust23THRUST_200600_302600_NS6detail15normal_iteratorINSA_10device_ptrIfEEEEPS6_SG_NS0_5tupleIJSF_S6_EEENSH_IJSG_SG_EEES6_PlJNSB_9not_fun_tI7is_trueIfEEEEEE10hipError_tPvRmT3_T4_T5_T6_T7_T9_mT8_P12ihipStream_tbDpT10_ENKUlT_T0_E_clISt17integral_constantIbLb0EES18_EEDaS13_S14_EUlS13_E_NS1_11comp_targetILNS1_3genE9ELNS1_11target_archE1100ELNS1_3gpuE3ELNS1_3repE0EEENS1_30default_config_static_selectorELNS0_4arch9wavefront6targetE0EEEvT1_
; %bb.0:
	.section	.rodata,"a",@progbits
	.p2align	6, 0x0
	.amdhsa_kernel _ZN7rocprim17ROCPRIM_400000_NS6detail17trampoline_kernelINS0_14default_configENS1_25partition_config_selectorILNS1_17partition_subalgoE6EfNS0_10empty_typeEbEEZZNS1_14partition_implILS5_6ELb0ES3_mN6thrust23THRUST_200600_302600_NS6detail15normal_iteratorINSA_10device_ptrIfEEEEPS6_SG_NS0_5tupleIJSF_S6_EEENSH_IJSG_SG_EEES6_PlJNSB_9not_fun_tI7is_trueIfEEEEEE10hipError_tPvRmT3_T4_T5_T6_T7_T9_mT8_P12ihipStream_tbDpT10_ENKUlT_T0_E_clISt17integral_constantIbLb0EES18_EEDaS13_S14_EUlS13_E_NS1_11comp_targetILNS1_3genE9ELNS1_11target_archE1100ELNS1_3gpuE3ELNS1_3repE0EEENS1_30default_config_static_selectorELNS0_4arch9wavefront6targetE0EEEvT1_
		.amdhsa_group_segment_fixed_size 0
		.amdhsa_private_segment_fixed_size 0
		.amdhsa_kernarg_size 112
		.amdhsa_user_sgpr_count 2
		.amdhsa_user_sgpr_dispatch_ptr 0
		.amdhsa_user_sgpr_queue_ptr 0
		.amdhsa_user_sgpr_kernarg_segment_ptr 1
		.amdhsa_user_sgpr_dispatch_id 0
		.amdhsa_user_sgpr_private_segment_size 0
		.amdhsa_wavefront_size32 1
		.amdhsa_uses_dynamic_stack 0
		.amdhsa_enable_private_segment 0
		.amdhsa_system_sgpr_workgroup_id_x 1
		.amdhsa_system_sgpr_workgroup_id_y 0
		.amdhsa_system_sgpr_workgroup_id_z 0
		.amdhsa_system_sgpr_workgroup_info 0
		.amdhsa_system_vgpr_workitem_id 0
		.amdhsa_next_free_vgpr 1
		.amdhsa_next_free_sgpr 1
		.amdhsa_reserve_vcc 0
		.amdhsa_float_round_mode_32 0
		.amdhsa_float_round_mode_16_64 0
		.amdhsa_float_denorm_mode_32 3
		.amdhsa_float_denorm_mode_16_64 3
		.amdhsa_fp16_overflow 0
		.amdhsa_workgroup_processor_mode 1
		.amdhsa_memory_ordered 1
		.amdhsa_forward_progress 1
		.amdhsa_inst_pref_size 0
		.amdhsa_round_robin_scheduling 0
		.amdhsa_exception_fp_ieee_invalid_op 0
		.amdhsa_exception_fp_denorm_src 0
		.amdhsa_exception_fp_ieee_div_zero 0
		.amdhsa_exception_fp_ieee_overflow 0
		.amdhsa_exception_fp_ieee_underflow 0
		.amdhsa_exception_fp_ieee_inexact 0
		.amdhsa_exception_int_div_zero 0
	.end_amdhsa_kernel
	.section	.text._ZN7rocprim17ROCPRIM_400000_NS6detail17trampoline_kernelINS0_14default_configENS1_25partition_config_selectorILNS1_17partition_subalgoE6EfNS0_10empty_typeEbEEZZNS1_14partition_implILS5_6ELb0ES3_mN6thrust23THRUST_200600_302600_NS6detail15normal_iteratorINSA_10device_ptrIfEEEEPS6_SG_NS0_5tupleIJSF_S6_EEENSH_IJSG_SG_EEES6_PlJNSB_9not_fun_tI7is_trueIfEEEEEE10hipError_tPvRmT3_T4_T5_T6_T7_T9_mT8_P12ihipStream_tbDpT10_ENKUlT_T0_E_clISt17integral_constantIbLb0EES18_EEDaS13_S14_EUlS13_E_NS1_11comp_targetILNS1_3genE9ELNS1_11target_archE1100ELNS1_3gpuE3ELNS1_3repE0EEENS1_30default_config_static_selectorELNS0_4arch9wavefront6targetE0EEEvT1_,"axG",@progbits,_ZN7rocprim17ROCPRIM_400000_NS6detail17trampoline_kernelINS0_14default_configENS1_25partition_config_selectorILNS1_17partition_subalgoE6EfNS0_10empty_typeEbEEZZNS1_14partition_implILS5_6ELb0ES3_mN6thrust23THRUST_200600_302600_NS6detail15normal_iteratorINSA_10device_ptrIfEEEEPS6_SG_NS0_5tupleIJSF_S6_EEENSH_IJSG_SG_EEES6_PlJNSB_9not_fun_tI7is_trueIfEEEEEE10hipError_tPvRmT3_T4_T5_T6_T7_T9_mT8_P12ihipStream_tbDpT10_ENKUlT_T0_E_clISt17integral_constantIbLb0EES18_EEDaS13_S14_EUlS13_E_NS1_11comp_targetILNS1_3genE9ELNS1_11target_archE1100ELNS1_3gpuE3ELNS1_3repE0EEENS1_30default_config_static_selectorELNS0_4arch9wavefront6targetE0EEEvT1_,comdat
.Lfunc_end1083:
	.size	_ZN7rocprim17ROCPRIM_400000_NS6detail17trampoline_kernelINS0_14default_configENS1_25partition_config_selectorILNS1_17partition_subalgoE6EfNS0_10empty_typeEbEEZZNS1_14partition_implILS5_6ELb0ES3_mN6thrust23THRUST_200600_302600_NS6detail15normal_iteratorINSA_10device_ptrIfEEEEPS6_SG_NS0_5tupleIJSF_S6_EEENSH_IJSG_SG_EEES6_PlJNSB_9not_fun_tI7is_trueIfEEEEEE10hipError_tPvRmT3_T4_T5_T6_T7_T9_mT8_P12ihipStream_tbDpT10_ENKUlT_T0_E_clISt17integral_constantIbLb0EES18_EEDaS13_S14_EUlS13_E_NS1_11comp_targetILNS1_3genE9ELNS1_11target_archE1100ELNS1_3gpuE3ELNS1_3repE0EEENS1_30default_config_static_selectorELNS0_4arch9wavefront6targetE0EEEvT1_, .Lfunc_end1083-_ZN7rocprim17ROCPRIM_400000_NS6detail17trampoline_kernelINS0_14default_configENS1_25partition_config_selectorILNS1_17partition_subalgoE6EfNS0_10empty_typeEbEEZZNS1_14partition_implILS5_6ELb0ES3_mN6thrust23THRUST_200600_302600_NS6detail15normal_iteratorINSA_10device_ptrIfEEEEPS6_SG_NS0_5tupleIJSF_S6_EEENSH_IJSG_SG_EEES6_PlJNSB_9not_fun_tI7is_trueIfEEEEEE10hipError_tPvRmT3_T4_T5_T6_T7_T9_mT8_P12ihipStream_tbDpT10_ENKUlT_T0_E_clISt17integral_constantIbLb0EES18_EEDaS13_S14_EUlS13_E_NS1_11comp_targetILNS1_3genE9ELNS1_11target_archE1100ELNS1_3gpuE3ELNS1_3repE0EEENS1_30default_config_static_selectorELNS0_4arch9wavefront6targetE0EEEvT1_
                                        ; -- End function
	.set _ZN7rocprim17ROCPRIM_400000_NS6detail17trampoline_kernelINS0_14default_configENS1_25partition_config_selectorILNS1_17partition_subalgoE6EfNS0_10empty_typeEbEEZZNS1_14partition_implILS5_6ELb0ES3_mN6thrust23THRUST_200600_302600_NS6detail15normal_iteratorINSA_10device_ptrIfEEEEPS6_SG_NS0_5tupleIJSF_S6_EEENSH_IJSG_SG_EEES6_PlJNSB_9not_fun_tI7is_trueIfEEEEEE10hipError_tPvRmT3_T4_T5_T6_T7_T9_mT8_P12ihipStream_tbDpT10_ENKUlT_T0_E_clISt17integral_constantIbLb0EES18_EEDaS13_S14_EUlS13_E_NS1_11comp_targetILNS1_3genE9ELNS1_11target_archE1100ELNS1_3gpuE3ELNS1_3repE0EEENS1_30default_config_static_selectorELNS0_4arch9wavefront6targetE0EEEvT1_.num_vgpr, 0
	.set _ZN7rocprim17ROCPRIM_400000_NS6detail17trampoline_kernelINS0_14default_configENS1_25partition_config_selectorILNS1_17partition_subalgoE6EfNS0_10empty_typeEbEEZZNS1_14partition_implILS5_6ELb0ES3_mN6thrust23THRUST_200600_302600_NS6detail15normal_iteratorINSA_10device_ptrIfEEEEPS6_SG_NS0_5tupleIJSF_S6_EEENSH_IJSG_SG_EEES6_PlJNSB_9not_fun_tI7is_trueIfEEEEEE10hipError_tPvRmT3_T4_T5_T6_T7_T9_mT8_P12ihipStream_tbDpT10_ENKUlT_T0_E_clISt17integral_constantIbLb0EES18_EEDaS13_S14_EUlS13_E_NS1_11comp_targetILNS1_3genE9ELNS1_11target_archE1100ELNS1_3gpuE3ELNS1_3repE0EEENS1_30default_config_static_selectorELNS0_4arch9wavefront6targetE0EEEvT1_.num_agpr, 0
	.set _ZN7rocprim17ROCPRIM_400000_NS6detail17trampoline_kernelINS0_14default_configENS1_25partition_config_selectorILNS1_17partition_subalgoE6EfNS0_10empty_typeEbEEZZNS1_14partition_implILS5_6ELb0ES3_mN6thrust23THRUST_200600_302600_NS6detail15normal_iteratorINSA_10device_ptrIfEEEEPS6_SG_NS0_5tupleIJSF_S6_EEENSH_IJSG_SG_EEES6_PlJNSB_9not_fun_tI7is_trueIfEEEEEE10hipError_tPvRmT3_T4_T5_T6_T7_T9_mT8_P12ihipStream_tbDpT10_ENKUlT_T0_E_clISt17integral_constantIbLb0EES18_EEDaS13_S14_EUlS13_E_NS1_11comp_targetILNS1_3genE9ELNS1_11target_archE1100ELNS1_3gpuE3ELNS1_3repE0EEENS1_30default_config_static_selectorELNS0_4arch9wavefront6targetE0EEEvT1_.numbered_sgpr, 0
	.set _ZN7rocprim17ROCPRIM_400000_NS6detail17trampoline_kernelINS0_14default_configENS1_25partition_config_selectorILNS1_17partition_subalgoE6EfNS0_10empty_typeEbEEZZNS1_14partition_implILS5_6ELb0ES3_mN6thrust23THRUST_200600_302600_NS6detail15normal_iteratorINSA_10device_ptrIfEEEEPS6_SG_NS0_5tupleIJSF_S6_EEENSH_IJSG_SG_EEES6_PlJNSB_9not_fun_tI7is_trueIfEEEEEE10hipError_tPvRmT3_T4_T5_T6_T7_T9_mT8_P12ihipStream_tbDpT10_ENKUlT_T0_E_clISt17integral_constantIbLb0EES18_EEDaS13_S14_EUlS13_E_NS1_11comp_targetILNS1_3genE9ELNS1_11target_archE1100ELNS1_3gpuE3ELNS1_3repE0EEENS1_30default_config_static_selectorELNS0_4arch9wavefront6targetE0EEEvT1_.num_named_barrier, 0
	.set _ZN7rocprim17ROCPRIM_400000_NS6detail17trampoline_kernelINS0_14default_configENS1_25partition_config_selectorILNS1_17partition_subalgoE6EfNS0_10empty_typeEbEEZZNS1_14partition_implILS5_6ELb0ES3_mN6thrust23THRUST_200600_302600_NS6detail15normal_iteratorINSA_10device_ptrIfEEEEPS6_SG_NS0_5tupleIJSF_S6_EEENSH_IJSG_SG_EEES6_PlJNSB_9not_fun_tI7is_trueIfEEEEEE10hipError_tPvRmT3_T4_T5_T6_T7_T9_mT8_P12ihipStream_tbDpT10_ENKUlT_T0_E_clISt17integral_constantIbLb0EES18_EEDaS13_S14_EUlS13_E_NS1_11comp_targetILNS1_3genE9ELNS1_11target_archE1100ELNS1_3gpuE3ELNS1_3repE0EEENS1_30default_config_static_selectorELNS0_4arch9wavefront6targetE0EEEvT1_.private_seg_size, 0
	.set _ZN7rocprim17ROCPRIM_400000_NS6detail17trampoline_kernelINS0_14default_configENS1_25partition_config_selectorILNS1_17partition_subalgoE6EfNS0_10empty_typeEbEEZZNS1_14partition_implILS5_6ELb0ES3_mN6thrust23THRUST_200600_302600_NS6detail15normal_iteratorINSA_10device_ptrIfEEEEPS6_SG_NS0_5tupleIJSF_S6_EEENSH_IJSG_SG_EEES6_PlJNSB_9not_fun_tI7is_trueIfEEEEEE10hipError_tPvRmT3_T4_T5_T6_T7_T9_mT8_P12ihipStream_tbDpT10_ENKUlT_T0_E_clISt17integral_constantIbLb0EES18_EEDaS13_S14_EUlS13_E_NS1_11comp_targetILNS1_3genE9ELNS1_11target_archE1100ELNS1_3gpuE3ELNS1_3repE0EEENS1_30default_config_static_selectorELNS0_4arch9wavefront6targetE0EEEvT1_.uses_vcc, 0
	.set _ZN7rocprim17ROCPRIM_400000_NS6detail17trampoline_kernelINS0_14default_configENS1_25partition_config_selectorILNS1_17partition_subalgoE6EfNS0_10empty_typeEbEEZZNS1_14partition_implILS5_6ELb0ES3_mN6thrust23THRUST_200600_302600_NS6detail15normal_iteratorINSA_10device_ptrIfEEEEPS6_SG_NS0_5tupleIJSF_S6_EEENSH_IJSG_SG_EEES6_PlJNSB_9not_fun_tI7is_trueIfEEEEEE10hipError_tPvRmT3_T4_T5_T6_T7_T9_mT8_P12ihipStream_tbDpT10_ENKUlT_T0_E_clISt17integral_constantIbLb0EES18_EEDaS13_S14_EUlS13_E_NS1_11comp_targetILNS1_3genE9ELNS1_11target_archE1100ELNS1_3gpuE3ELNS1_3repE0EEENS1_30default_config_static_selectorELNS0_4arch9wavefront6targetE0EEEvT1_.uses_flat_scratch, 0
	.set _ZN7rocprim17ROCPRIM_400000_NS6detail17trampoline_kernelINS0_14default_configENS1_25partition_config_selectorILNS1_17partition_subalgoE6EfNS0_10empty_typeEbEEZZNS1_14partition_implILS5_6ELb0ES3_mN6thrust23THRUST_200600_302600_NS6detail15normal_iteratorINSA_10device_ptrIfEEEEPS6_SG_NS0_5tupleIJSF_S6_EEENSH_IJSG_SG_EEES6_PlJNSB_9not_fun_tI7is_trueIfEEEEEE10hipError_tPvRmT3_T4_T5_T6_T7_T9_mT8_P12ihipStream_tbDpT10_ENKUlT_T0_E_clISt17integral_constantIbLb0EES18_EEDaS13_S14_EUlS13_E_NS1_11comp_targetILNS1_3genE9ELNS1_11target_archE1100ELNS1_3gpuE3ELNS1_3repE0EEENS1_30default_config_static_selectorELNS0_4arch9wavefront6targetE0EEEvT1_.has_dyn_sized_stack, 0
	.set _ZN7rocprim17ROCPRIM_400000_NS6detail17trampoline_kernelINS0_14default_configENS1_25partition_config_selectorILNS1_17partition_subalgoE6EfNS0_10empty_typeEbEEZZNS1_14partition_implILS5_6ELb0ES3_mN6thrust23THRUST_200600_302600_NS6detail15normal_iteratorINSA_10device_ptrIfEEEEPS6_SG_NS0_5tupleIJSF_S6_EEENSH_IJSG_SG_EEES6_PlJNSB_9not_fun_tI7is_trueIfEEEEEE10hipError_tPvRmT3_T4_T5_T6_T7_T9_mT8_P12ihipStream_tbDpT10_ENKUlT_T0_E_clISt17integral_constantIbLb0EES18_EEDaS13_S14_EUlS13_E_NS1_11comp_targetILNS1_3genE9ELNS1_11target_archE1100ELNS1_3gpuE3ELNS1_3repE0EEENS1_30default_config_static_selectorELNS0_4arch9wavefront6targetE0EEEvT1_.has_recursion, 0
	.set _ZN7rocprim17ROCPRIM_400000_NS6detail17trampoline_kernelINS0_14default_configENS1_25partition_config_selectorILNS1_17partition_subalgoE6EfNS0_10empty_typeEbEEZZNS1_14partition_implILS5_6ELb0ES3_mN6thrust23THRUST_200600_302600_NS6detail15normal_iteratorINSA_10device_ptrIfEEEEPS6_SG_NS0_5tupleIJSF_S6_EEENSH_IJSG_SG_EEES6_PlJNSB_9not_fun_tI7is_trueIfEEEEEE10hipError_tPvRmT3_T4_T5_T6_T7_T9_mT8_P12ihipStream_tbDpT10_ENKUlT_T0_E_clISt17integral_constantIbLb0EES18_EEDaS13_S14_EUlS13_E_NS1_11comp_targetILNS1_3genE9ELNS1_11target_archE1100ELNS1_3gpuE3ELNS1_3repE0EEENS1_30default_config_static_selectorELNS0_4arch9wavefront6targetE0EEEvT1_.has_indirect_call, 0
	.section	.AMDGPU.csdata,"",@progbits
; Kernel info:
; codeLenInByte = 0
; TotalNumSgprs: 0
; NumVgprs: 0
; ScratchSize: 0
; MemoryBound: 0
; FloatMode: 240
; IeeeMode: 1
; LDSByteSize: 0 bytes/workgroup (compile time only)
; SGPRBlocks: 0
; VGPRBlocks: 0
; NumSGPRsForWavesPerEU: 1
; NumVGPRsForWavesPerEU: 1
; Occupancy: 16
; WaveLimiterHint : 0
; COMPUTE_PGM_RSRC2:SCRATCH_EN: 0
; COMPUTE_PGM_RSRC2:USER_SGPR: 2
; COMPUTE_PGM_RSRC2:TRAP_HANDLER: 0
; COMPUTE_PGM_RSRC2:TGID_X_EN: 1
; COMPUTE_PGM_RSRC2:TGID_Y_EN: 0
; COMPUTE_PGM_RSRC2:TGID_Z_EN: 0
; COMPUTE_PGM_RSRC2:TIDIG_COMP_CNT: 0
	.section	.text._ZN7rocprim17ROCPRIM_400000_NS6detail17trampoline_kernelINS0_14default_configENS1_25partition_config_selectorILNS1_17partition_subalgoE6EfNS0_10empty_typeEbEEZZNS1_14partition_implILS5_6ELb0ES3_mN6thrust23THRUST_200600_302600_NS6detail15normal_iteratorINSA_10device_ptrIfEEEEPS6_SG_NS0_5tupleIJSF_S6_EEENSH_IJSG_SG_EEES6_PlJNSB_9not_fun_tI7is_trueIfEEEEEE10hipError_tPvRmT3_T4_T5_T6_T7_T9_mT8_P12ihipStream_tbDpT10_ENKUlT_T0_E_clISt17integral_constantIbLb0EES18_EEDaS13_S14_EUlS13_E_NS1_11comp_targetILNS1_3genE8ELNS1_11target_archE1030ELNS1_3gpuE2ELNS1_3repE0EEENS1_30default_config_static_selectorELNS0_4arch9wavefront6targetE0EEEvT1_,"axG",@progbits,_ZN7rocprim17ROCPRIM_400000_NS6detail17trampoline_kernelINS0_14default_configENS1_25partition_config_selectorILNS1_17partition_subalgoE6EfNS0_10empty_typeEbEEZZNS1_14partition_implILS5_6ELb0ES3_mN6thrust23THRUST_200600_302600_NS6detail15normal_iteratorINSA_10device_ptrIfEEEEPS6_SG_NS0_5tupleIJSF_S6_EEENSH_IJSG_SG_EEES6_PlJNSB_9not_fun_tI7is_trueIfEEEEEE10hipError_tPvRmT3_T4_T5_T6_T7_T9_mT8_P12ihipStream_tbDpT10_ENKUlT_T0_E_clISt17integral_constantIbLb0EES18_EEDaS13_S14_EUlS13_E_NS1_11comp_targetILNS1_3genE8ELNS1_11target_archE1030ELNS1_3gpuE2ELNS1_3repE0EEENS1_30default_config_static_selectorELNS0_4arch9wavefront6targetE0EEEvT1_,comdat
	.protected	_ZN7rocprim17ROCPRIM_400000_NS6detail17trampoline_kernelINS0_14default_configENS1_25partition_config_selectorILNS1_17partition_subalgoE6EfNS0_10empty_typeEbEEZZNS1_14partition_implILS5_6ELb0ES3_mN6thrust23THRUST_200600_302600_NS6detail15normal_iteratorINSA_10device_ptrIfEEEEPS6_SG_NS0_5tupleIJSF_S6_EEENSH_IJSG_SG_EEES6_PlJNSB_9not_fun_tI7is_trueIfEEEEEE10hipError_tPvRmT3_T4_T5_T6_T7_T9_mT8_P12ihipStream_tbDpT10_ENKUlT_T0_E_clISt17integral_constantIbLb0EES18_EEDaS13_S14_EUlS13_E_NS1_11comp_targetILNS1_3genE8ELNS1_11target_archE1030ELNS1_3gpuE2ELNS1_3repE0EEENS1_30default_config_static_selectorELNS0_4arch9wavefront6targetE0EEEvT1_ ; -- Begin function _ZN7rocprim17ROCPRIM_400000_NS6detail17trampoline_kernelINS0_14default_configENS1_25partition_config_selectorILNS1_17partition_subalgoE6EfNS0_10empty_typeEbEEZZNS1_14partition_implILS5_6ELb0ES3_mN6thrust23THRUST_200600_302600_NS6detail15normal_iteratorINSA_10device_ptrIfEEEEPS6_SG_NS0_5tupleIJSF_S6_EEENSH_IJSG_SG_EEES6_PlJNSB_9not_fun_tI7is_trueIfEEEEEE10hipError_tPvRmT3_T4_T5_T6_T7_T9_mT8_P12ihipStream_tbDpT10_ENKUlT_T0_E_clISt17integral_constantIbLb0EES18_EEDaS13_S14_EUlS13_E_NS1_11comp_targetILNS1_3genE8ELNS1_11target_archE1030ELNS1_3gpuE2ELNS1_3repE0EEENS1_30default_config_static_selectorELNS0_4arch9wavefront6targetE0EEEvT1_
	.globl	_ZN7rocprim17ROCPRIM_400000_NS6detail17trampoline_kernelINS0_14default_configENS1_25partition_config_selectorILNS1_17partition_subalgoE6EfNS0_10empty_typeEbEEZZNS1_14partition_implILS5_6ELb0ES3_mN6thrust23THRUST_200600_302600_NS6detail15normal_iteratorINSA_10device_ptrIfEEEEPS6_SG_NS0_5tupleIJSF_S6_EEENSH_IJSG_SG_EEES6_PlJNSB_9not_fun_tI7is_trueIfEEEEEE10hipError_tPvRmT3_T4_T5_T6_T7_T9_mT8_P12ihipStream_tbDpT10_ENKUlT_T0_E_clISt17integral_constantIbLb0EES18_EEDaS13_S14_EUlS13_E_NS1_11comp_targetILNS1_3genE8ELNS1_11target_archE1030ELNS1_3gpuE2ELNS1_3repE0EEENS1_30default_config_static_selectorELNS0_4arch9wavefront6targetE0EEEvT1_
	.p2align	8
	.type	_ZN7rocprim17ROCPRIM_400000_NS6detail17trampoline_kernelINS0_14default_configENS1_25partition_config_selectorILNS1_17partition_subalgoE6EfNS0_10empty_typeEbEEZZNS1_14partition_implILS5_6ELb0ES3_mN6thrust23THRUST_200600_302600_NS6detail15normal_iteratorINSA_10device_ptrIfEEEEPS6_SG_NS0_5tupleIJSF_S6_EEENSH_IJSG_SG_EEES6_PlJNSB_9not_fun_tI7is_trueIfEEEEEE10hipError_tPvRmT3_T4_T5_T6_T7_T9_mT8_P12ihipStream_tbDpT10_ENKUlT_T0_E_clISt17integral_constantIbLb0EES18_EEDaS13_S14_EUlS13_E_NS1_11comp_targetILNS1_3genE8ELNS1_11target_archE1030ELNS1_3gpuE2ELNS1_3repE0EEENS1_30default_config_static_selectorELNS0_4arch9wavefront6targetE0EEEvT1_,@function
_ZN7rocprim17ROCPRIM_400000_NS6detail17trampoline_kernelINS0_14default_configENS1_25partition_config_selectorILNS1_17partition_subalgoE6EfNS0_10empty_typeEbEEZZNS1_14partition_implILS5_6ELb0ES3_mN6thrust23THRUST_200600_302600_NS6detail15normal_iteratorINSA_10device_ptrIfEEEEPS6_SG_NS0_5tupleIJSF_S6_EEENSH_IJSG_SG_EEES6_PlJNSB_9not_fun_tI7is_trueIfEEEEEE10hipError_tPvRmT3_T4_T5_T6_T7_T9_mT8_P12ihipStream_tbDpT10_ENKUlT_T0_E_clISt17integral_constantIbLb0EES18_EEDaS13_S14_EUlS13_E_NS1_11comp_targetILNS1_3genE8ELNS1_11target_archE1030ELNS1_3gpuE2ELNS1_3repE0EEENS1_30default_config_static_selectorELNS0_4arch9wavefront6targetE0EEEvT1_: ; @_ZN7rocprim17ROCPRIM_400000_NS6detail17trampoline_kernelINS0_14default_configENS1_25partition_config_selectorILNS1_17partition_subalgoE6EfNS0_10empty_typeEbEEZZNS1_14partition_implILS5_6ELb0ES3_mN6thrust23THRUST_200600_302600_NS6detail15normal_iteratorINSA_10device_ptrIfEEEEPS6_SG_NS0_5tupleIJSF_S6_EEENSH_IJSG_SG_EEES6_PlJNSB_9not_fun_tI7is_trueIfEEEEEE10hipError_tPvRmT3_T4_T5_T6_T7_T9_mT8_P12ihipStream_tbDpT10_ENKUlT_T0_E_clISt17integral_constantIbLb0EES18_EEDaS13_S14_EUlS13_E_NS1_11comp_targetILNS1_3genE8ELNS1_11target_archE1030ELNS1_3gpuE2ELNS1_3repE0EEENS1_30default_config_static_selectorELNS0_4arch9wavefront6targetE0EEEvT1_
; %bb.0:
	.section	.rodata,"a",@progbits
	.p2align	6, 0x0
	.amdhsa_kernel _ZN7rocprim17ROCPRIM_400000_NS6detail17trampoline_kernelINS0_14default_configENS1_25partition_config_selectorILNS1_17partition_subalgoE6EfNS0_10empty_typeEbEEZZNS1_14partition_implILS5_6ELb0ES3_mN6thrust23THRUST_200600_302600_NS6detail15normal_iteratorINSA_10device_ptrIfEEEEPS6_SG_NS0_5tupleIJSF_S6_EEENSH_IJSG_SG_EEES6_PlJNSB_9not_fun_tI7is_trueIfEEEEEE10hipError_tPvRmT3_T4_T5_T6_T7_T9_mT8_P12ihipStream_tbDpT10_ENKUlT_T0_E_clISt17integral_constantIbLb0EES18_EEDaS13_S14_EUlS13_E_NS1_11comp_targetILNS1_3genE8ELNS1_11target_archE1030ELNS1_3gpuE2ELNS1_3repE0EEENS1_30default_config_static_selectorELNS0_4arch9wavefront6targetE0EEEvT1_
		.amdhsa_group_segment_fixed_size 0
		.amdhsa_private_segment_fixed_size 0
		.amdhsa_kernarg_size 112
		.amdhsa_user_sgpr_count 2
		.amdhsa_user_sgpr_dispatch_ptr 0
		.amdhsa_user_sgpr_queue_ptr 0
		.amdhsa_user_sgpr_kernarg_segment_ptr 1
		.amdhsa_user_sgpr_dispatch_id 0
		.amdhsa_user_sgpr_private_segment_size 0
		.amdhsa_wavefront_size32 1
		.amdhsa_uses_dynamic_stack 0
		.amdhsa_enable_private_segment 0
		.amdhsa_system_sgpr_workgroup_id_x 1
		.amdhsa_system_sgpr_workgroup_id_y 0
		.amdhsa_system_sgpr_workgroup_id_z 0
		.amdhsa_system_sgpr_workgroup_info 0
		.amdhsa_system_vgpr_workitem_id 0
		.amdhsa_next_free_vgpr 1
		.amdhsa_next_free_sgpr 1
		.amdhsa_reserve_vcc 0
		.amdhsa_float_round_mode_32 0
		.amdhsa_float_round_mode_16_64 0
		.amdhsa_float_denorm_mode_32 3
		.amdhsa_float_denorm_mode_16_64 3
		.amdhsa_fp16_overflow 0
		.amdhsa_workgroup_processor_mode 1
		.amdhsa_memory_ordered 1
		.amdhsa_forward_progress 1
		.amdhsa_inst_pref_size 0
		.amdhsa_round_robin_scheduling 0
		.amdhsa_exception_fp_ieee_invalid_op 0
		.amdhsa_exception_fp_denorm_src 0
		.amdhsa_exception_fp_ieee_div_zero 0
		.amdhsa_exception_fp_ieee_overflow 0
		.amdhsa_exception_fp_ieee_underflow 0
		.amdhsa_exception_fp_ieee_inexact 0
		.amdhsa_exception_int_div_zero 0
	.end_amdhsa_kernel
	.section	.text._ZN7rocprim17ROCPRIM_400000_NS6detail17trampoline_kernelINS0_14default_configENS1_25partition_config_selectorILNS1_17partition_subalgoE6EfNS0_10empty_typeEbEEZZNS1_14partition_implILS5_6ELb0ES3_mN6thrust23THRUST_200600_302600_NS6detail15normal_iteratorINSA_10device_ptrIfEEEEPS6_SG_NS0_5tupleIJSF_S6_EEENSH_IJSG_SG_EEES6_PlJNSB_9not_fun_tI7is_trueIfEEEEEE10hipError_tPvRmT3_T4_T5_T6_T7_T9_mT8_P12ihipStream_tbDpT10_ENKUlT_T0_E_clISt17integral_constantIbLb0EES18_EEDaS13_S14_EUlS13_E_NS1_11comp_targetILNS1_3genE8ELNS1_11target_archE1030ELNS1_3gpuE2ELNS1_3repE0EEENS1_30default_config_static_selectorELNS0_4arch9wavefront6targetE0EEEvT1_,"axG",@progbits,_ZN7rocprim17ROCPRIM_400000_NS6detail17trampoline_kernelINS0_14default_configENS1_25partition_config_selectorILNS1_17partition_subalgoE6EfNS0_10empty_typeEbEEZZNS1_14partition_implILS5_6ELb0ES3_mN6thrust23THRUST_200600_302600_NS6detail15normal_iteratorINSA_10device_ptrIfEEEEPS6_SG_NS0_5tupleIJSF_S6_EEENSH_IJSG_SG_EEES6_PlJNSB_9not_fun_tI7is_trueIfEEEEEE10hipError_tPvRmT3_T4_T5_T6_T7_T9_mT8_P12ihipStream_tbDpT10_ENKUlT_T0_E_clISt17integral_constantIbLb0EES18_EEDaS13_S14_EUlS13_E_NS1_11comp_targetILNS1_3genE8ELNS1_11target_archE1030ELNS1_3gpuE2ELNS1_3repE0EEENS1_30default_config_static_selectorELNS0_4arch9wavefront6targetE0EEEvT1_,comdat
.Lfunc_end1084:
	.size	_ZN7rocprim17ROCPRIM_400000_NS6detail17trampoline_kernelINS0_14default_configENS1_25partition_config_selectorILNS1_17partition_subalgoE6EfNS0_10empty_typeEbEEZZNS1_14partition_implILS5_6ELb0ES3_mN6thrust23THRUST_200600_302600_NS6detail15normal_iteratorINSA_10device_ptrIfEEEEPS6_SG_NS0_5tupleIJSF_S6_EEENSH_IJSG_SG_EEES6_PlJNSB_9not_fun_tI7is_trueIfEEEEEE10hipError_tPvRmT3_T4_T5_T6_T7_T9_mT8_P12ihipStream_tbDpT10_ENKUlT_T0_E_clISt17integral_constantIbLb0EES18_EEDaS13_S14_EUlS13_E_NS1_11comp_targetILNS1_3genE8ELNS1_11target_archE1030ELNS1_3gpuE2ELNS1_3repE0EEENS1_30default_config_static_selectorELNS0_4arch9wavefront6targetE0EEEvT1_, .Lfunc_end1084-_ZN7rocprim17ROCPRIM_400000_NS6detail17trampoline_kernelINS0_14default_configENS1_25partition_config_selectorILNS1_17partition_subalgoE6EfNS0_10empty_typeEbEEZZNS1_14partition_implILS5_6ELb0ES3_mN6thrust23THRUST_200600_302600_NS6detail15normal_iteratorINSA_10device_ptrIfEEEEPS6_SG_NS0_5tupleIJSF_S6_EEENSH_IJSG_SG_EEES6_PlJNSB_9not_fun_tI7is_trueIfEEEEEE10hipError_tPvRmT3_T4_T5_T6_T7_T9_mT8_P12ihipStream_tbDpT10_ENKUlT_T0_E_clISt17integral_constantIbLb0EES18_EEDaS13_S14_EUlS13_E_NS1_11comp_targetILNS1_3genE8ELNS1_11target_archE1030ELNS1_3gpuE2ELNS1_3repE0EEENS1_30default_config_static_selectorELNS0_4arch9wavefront6targetE0EEEvT1_
                                        ; -- End function
	.set _ZN7rocprim17ROCPRIM_400000_NS6detail17trampoline_kernelINS0_14default_configENS1_25partition_config_selectorILNS1_17partition_subalgoE6EfNS0_10empty_typeEbEEZZNS1_14partition_implILS5_6ELb0ES3_mN6thrust23THRUST_200600_302600_NS6detail15normal_iteratorINSA_10device_ptrIfEEEEPS6_SG_NS0_5tupleIJSF_S6_EEENSH_IJSG_SG_EEES6_PlJNSB_9not_fun_tI7is_trueIfEEEEEE10hipError_tPvRmT3_T4_T5_T6_T7_T9_mT8_P12ihipStream_tbDpT10_ENKUlT_T0_E_clISt17integral_constantIbLb0EES18_EEDaS13_S14_EUlS13_E_NS1_11comp_targetILNS1_3genE8ELNS1_11target_archE1030ELNS1_3gpuE2ELNS1_3repE0EEENS1_30default_config_static_selectorELNS0_4arch9wavefront6targetE0EEEvT1_.num_vgpr, 0
	.set _ZN7rocprim17ROCPRIM_400000_NS6detail17trampoline_kernelINS0_14default_configENS1_25partition_config_selectorILNS1_17partition_subalgoE6EfNS0_10empty_typeEbEEZZNS1_14partition_implILS5_6ELb0ES3_mN6thrust23THRUST_200600_302600_NS6detail15normal_iteratorINSA_10device_ptrIfEEEEPS6_SG_NS0_5tupleIJSF_S6_EEENSH_IJSG_SG_EEES6_PlJNSB_9not_fun_tI7is_trueIfEEEEEE10hipError_tPvRmT3_T4_T5_T6_T7_T9_mT8_P12ihipStream_tbDpT10_ENKUlT_T0_E_clISt17integral_constantIbLb0EES18_EEDaS13_S14_EUlS13_E_NS1_11comp_targetILNS1_3genE8ELNS1_11target_archE1030ELNS1_3gpuE2ELNS1_3repE0EEENS1_30default_config_static_selectorELNS0_4arch9wavefront6targetE0EEEvT1_.num_agpr, 0
	.set _ZN7rocprim17ROCPRIM_400000_NS6detail17trampoline_kernelINS0_14default_configENS1_25partition_config_selectorILNS1_17partition_subalgoE6EfNS0_10empty_typeEbEEZZNS1_14partition_implILS5_6ELb0ES3_mN6thrust23THRUST_200600_302600_NS6detail15normal_iteratorINSA_10device_ptrIfEEEEPS6_SG_NS0_5tupleIJSF_S6_EEENSH_IJSG_SG_EEES6_PlJNSB_9not_fun_tI7is_trueIfEEEEEE10hipError_tPvRmT3_T4_T5_T6_T7_T9_mT8_P12ihipStream_tbDpT10_ENKUlT_T0_E_clISt17integral_constantIbLb0EES18_EEDaS13_S14_EUlS13_E_NS1_11comp_targetILNS1_3genE8ELNS1_11target_archE1030ELNS1_3gpuE2ELNS1_3repE0EEENS1_30default_config_static_selectorELNS0_4arch9wavefront6targetE0EEEvT1_.numbered_sgpr, 0
	.set _ZN7rocprim17ROCPRIM_400000_NS6detail17trampoline_kernelINS0_14default_configENS1_25partition_config_selectorILNS1_17partition_subalgoE6EfNS0_10empty_typeEbEEZZNS1_14partition_implILS5_6ELb0ES3_mN6thrust23THRUST_200600_302600_NS6detail15normal_iteratorINSA_10device_ptrIfEEEEPS6_SG_NS0_5tupleIJSF_S6_EEENSH_IJSG_SG_EEES6_PlJNSB_9not_fun_tI7is_trueIfEEEEEE10hipError_tPvRmT3_T4_T5_T6_T7_T9_mT8_P12ihipStream_tbDpT10_ENKUlT_T0_E_clISt17integral_constantIbLb0EES18_EEDaS13_S14_EUlS13_E_NS1_11comp_targetILNS1_3genE8ELNS1_11target_archE1030ELNS1_3gpuE2ELNS1_3repE0EEENS1_30default_config_static_selectorELNS0_4arch9wavefront6targetE0EEEvT1_.num_named_barrier, 0
	.set _ZN7rocprim17ROCPRIM_400000_NS6detail17trampoline_kernelINS0_14default_configENS1_25partition_config_selectorILNS1_17partition_subalgoE6EfNS0_10empty_typeEbEEZZNS1_14partition_implILS5_6ELb0ES3_mN6thrust23THRUST_200600_302600_NS6detail15normal_iteratorINSA_10device_ptrIfEEEEPS6_SG_NS0_5tupleIJSF_S6_EEENSH_IJSG_SG_EEES6_PlJNSB_9not_fun_tI7is_trueIfEEEEEE10hipError_tPvRmT3_T4_T5_T6_T7_T9_mT8_P12ihipStream_tbDpT10_ENKUlT_T0_E_clISt17integral_constantIbLb0EES18_EEDaS13_S14_EUlS13_E_NS1_11comp_targetILNS1_3genE8ELNS1_11target_archE1030ELNS1_3gpuE2ELNS1_3repE0EEENS1_30default_config_static_selectorELNS0_4arch9wavefront6targetE0EEEvT1_.private_seg_size, 0
	.set _ZN7rocprim17ROCPRIM_400000_NS6detail17trampoline_kernelINS0_14default_configENS1_25partition_config_selectorILNS1_17partition_subalgoE6EfNS0_10empty_typeEbEEZZNS1_14partition_implILS5_6ELb0ES3_mN6thrust23THRUST_200600_302600_NS6detail15normal_iteratorINSA_10device_ptrIfEEEEPS6_SG_NS0_5tupleIJSF_S6_EEENSH_IJSG_SG_EEES6_PlJNSB_9not_fun_tI7is_trueIfEEEEEE10hipError_tPvRmT3_T4_T5_T6_T7_T9_mT8_P12ihipStream_tbDpT10_ENKUlT_T0_E_clISt17integral_constantIbLb0EES18_EEDaS13_S14_EUlS13_E_NS1_11comp_targetILNS1_3genE8ELNS1_11target_archE1030ELNS1_3gpuE2ELNS1_3repE0EEENS1_30default_config_static_selectorELNS0_4arch9wavefront6targetE0EEEvT1_.uses_vcc, 0
	.set _ZN7rocprim17ROCPRIM_400000_NS6detail17trampoline_kernelINS0_14default_configENS1_25partition_config_selectorILNS1_17partition_subalgoE6EfNS0_10empty_typeEbEEZZNS1_14partition_implILS5_6ELb0ES3_mN6thrust23THRUST_200600_302600_NS6detail15normal_iteratorINSA_10device_ptrIfEEEEPS6_SG_NS0_5tupleIJSF_S6_EEENSH_IJSG_SG_EEES6_PlJNSB_9not_fun_tI7is_trueIfEEEEEE10hipError_tPvRmT3_T4_T5_T6_T7_T9_mT8_P12ihipStream_tbDpT10_ENKUlT_T0_E_clISt17integral_constantIbLb0EES18_EEDaS13_S14_EUlS13_E_NS1_11comp_targetILNS1_3genE8ELNS1_11target_archE1030ELNS1_3gpuE2ELNS1_3repE0EEENS1_30default_config_static_selectorELNS0_4arch9wavefront6targetE0EEEvT1_.uses_flat_scratch, 0
	.set _ZN7rocprim17ROCPRIM_400000_NS6detail17trampoline_kernelINS0_14default_configENS1_25partition_config_selectorILNS1_17partition_subalgoE6EfNS0_10empty_typeEbEEZZNS1_14partition_implILS5_6ELb0ES3_mN6thrust23THRUST_200600_302600_NS6detail15normal_iteratorINSA_10device_ptrIfEEEEPS6_SG_NS0_5tupleIJSF_S6_EEENSH_IJSG_SG_EEES6_PlJNSB_9not_fun_tI7is_trueIfEEEEEE10hipError_tPvRmT3_T4_T5_T6_T7_T9_mT8_P12ihipStream_tbDpT10_ENKUlT_T0_E_clISt17integral_constantIbLb0EES18_EEDaS13_S14_EUlS13_E_NS1_11comp_targetILNS1_3genE8ELNS1_11target_archE1030ELNS1_3gpuE2ELNS1_3repE0EEENS1_30default_config_static_selectorELNS0_4arch9wavefront6targetE0EEEvT1_.has_dyn_sized_stack, 0
	.set _ZN7rocprim17ROCPRIM_400000_NS6detail17trampoline_kernelINS0_14default_configENS1_25partition_config_selectorILNS1_17partition_subalgoE6EfNS0_10empty_typeEbEEZZNS1_14partition_implILS5_6ELb0ES3_mN6thrust23THRUST_200600_302600_NS6detail15normal_iteratorINSA_10device_ptrIfEEEEPS6_SG_NS0_5tupleIJSF_S6_EEENSH_IJSG_SG_EEES6_PlJNSB_9not_fun_tI7is_trueIfEEEEEE10hipError_tPvRmT3_T4_T5_T6_T7_T9_mT8_P12ihipStream_tbDpT10_ENKUlT_T0_E_clISt17integral_constantIbLb0EES18_EEDaS13_S14_EUlS13_E_NS1_11comp_targetILNS1_3genE8ELNS1_11target_archE1030ELNS1_3gpuE2ELNS1_3repE0EEENS1_30default_config_static_selectorELNS0_4arch9wavefront6targetE0EEEvT1_.has_recursion, 0
	.set _ZN7rocprim17ROCPRIM_400000_NS6detail17trampoline_kernelINS0_14default_configENS1_25partition_config_selectorILNS1_17partition_subalgoE6EfNS0_10empty_typeEbEEZZNS1_14partition_implILS5_6ELb0ES3_mN6thrust23THRUST_200600_302600_NS6detail15normal_iteratorINSA_10device_ptrIfEEEEPS6_SG_NS0_5tupleIJSF_S6_EEENSH_IJSG_SG_EEES6_PlJNSB_9not_fun_tI7is_trueIfEEEEEE10hipError_tPvRmT3_T4_T5_T6_T7_T9_mT8_P12ihipStream_tbDpT10_ENKUlT_T0_E_clISt17integral_constantIbLb0EES18_EEDaS13_S14_EUlS13_E_NS1_11comp_targetILNS1_3genE8ELNS1_11target_archE1030ELNS1_3gpuE2ELNS1_3repE0EEENS1_30default_config_static_selectorELNS0_4arch9wavefront6targetE0EEEvT1_.has_indirect_call, 0
	.section	.AMDGPU.csdata,"",@progbits
; Kernel info:
; codeLenInByte = 0
; TotalNumSgprs: 0
; NumVgprs: 0
; ScratchSize: 0
; MemoryBound: 0
; FloatMode: 240
; IeeeMode: 1
; LDSByteSize: 0 bytes/workgroup (compile time only)
; SGPRBlocks: 0
; VGPRBlocks: 0
; NumSGPRsForWavesPerEU: 1
; NumVGPRsForWavesPerEU: 1
; Occupancy: 16
; WaveLimiterHint : 0
; COMPUTE_PGM_RSRC2:SCRATCH_EN: 0
; COMPUTE_PGM_RSRC2:USER_SGPR: 2
; COMPUTE_PGM_RSRC2:TRAP_HANDLER: 0
; COMPUTE_PGM_RSRC2:TGID_X_EN: 1
; COMPUTE_PGM_RSRC2:TGID_Y_EN: 0
; COMPUTE_PGM_RSRC2:TGID_Z_EN: 0
; COMPUTE_PGM_RSRC2:TIDIG_COMP_CNT: 0
	.section	.text._ZN7rocprim17ROCPRIM_400000_NS6detail17trampoline_kernelINS0_14default_configENS1_25partition_config_selectorILNS1_17partition_subalgoE6EfNS0_10empty_typeEbEEZZNS1_14partition_implILS5_6ELb0ES3_mN6thrust23THRUST_200600_302600_NS6detail15normal_iteratorINSA_10device_ptrIfEEEEPS6_SG_NS0_5tupleIJSF_S6_EEENSH_IJSG_SG_EEES6_PlJNSB_9not_fun_tI7is_trueIfEEEEEE10hipError_tPvRmT3_T4_T5_T6_T7_T9_mT8_P12ihipStream_tbDpT10_ENKUlT_T0_E_clISt17integral_constantIbLb1EES18_EEDaS13_S14_EUlS13_E_NS1_11comp_targetILNS1_3genE0ELNS1_11target_archE4294967295ELNS1_3gpuE0ELNS1_3repE0EEENS1_30default_config_static_selectorELNS0_4arch9wavefront6targetE0EEEvT1_,"axG",@progbits,_ZN7rocprim17ROCPRIM_400000_NS6detail17trampoline_kernelINS0_14default_configENS1_25partition_config_selectorILNS1_17partition_subalgoE6EfNS0_10empty_typeEbEEZZNS1_14partition_implILS5_6ELb0ES3_mN6thrust23THRUST_200600_302600_NS6detail15normal_iteratorINSA_10device_ptrIfEEEEPS6_SG_NS0_5tupleIJSF_S6_EEENSH_IJSG_SG_EEES6_PlJNSB_9not_fun_tI7is_trueIfEEEEEE10hipError_tPvRmT3_T4_T5_T6_T7_T9_mT8_P12ihipStream_tbDpT10_ENKUlT_T0_E_clISt17integral_constantIbLb1EES18_EEDaS13_S14_EUlS13_E_NS1_11comp_targetILNS1_3genE0ELNS1_11target_archE4294967295ELNS1_3gpuE0ELNS1_3repE0EEENS1_30default_config_static_selectorELNS0_4arch9wavefront6targetE0EEEvT1_,comdat
	.protected	_ZN7rocprim17ROCPRIM_400000_NS6detail17trampoline_kernelINS0_14default_configENS1_25partition_config_selectorILNS1_17partition_subalgoE6EfNS0_10empty_typeEbEEZZNS1_14partition_implILS5_6ELb0ES3_mN6thrust23THRUST_200600_302600_NS6detail15normal_iteratorINSA_10device_ptrIfEEEEPS6_SG_NS0_5tupleIJSF_S6_EEENSH_IJSG_SG_EEES6_PlJNSB_9not_fun_tI7is_trueIfEEEEEE10hipError_tPvRmT3_T4_T5_T6_T7_T9_mT8_P12ihipStream_tbDpT10_ENKUlT_T0_E_clISt17integral_constantIbLb1EES18_EEDaS13_S14_EUlS13_E_NS1_11comp_targetILNS1_3genE0ELNS1_11target_archE4294967295ELNS1_3gpuE0ELNS1_3repE0EEENS1_30default_config_static_selectorELNS0_4arch9wavefront6targetE0EEEvT1_ ; -- Begin function _ZN7rocprim17ROCPRIM_400000_NS6detail17trampoline_kernelINS0_14default_configENS1_25partition_config_selectorILNS1_17partition_subalgoE6EfNS0_10empty_typeEbEEZZNS1_14partition_implILS5_6ELb0ES3_mN6thrust23THRUST_200600_302600_NS6detail15normal_iteratorINSA_10device_ptrIfEEEEPS6_SG_NS0_5tupleIJSF_S6_EEENSH_IJSG_SG_EEES6_PlJNSB_9not_fun_tI7is_trueIfEEEEEE10hipError_tPvRmT3_T4_T5_T6_T7_T9_mT8_P12ihipStream_tbDpT10_ENKUlT_T0_E_clISt17integral_constantIbLb1EES18_EEDaS13_S14_EUlS13_E_NS1_11comp_targetILNS1_3genE0ELNS1_11target_archE4294967295ELNS1_3gpuE0ELNS1_3repE0EEENS1_30default_config_static_selectorELNS0_4arch9wavefront6targetE0EEEvT1_
	.globl	_ZN7rocprim17ROCPRIM_400000_NS6detail17trampoline_kernelINS0_14default_configENS1_25partition_config_selectorILNS1_17partition_subalgoE6EfNS0_10empty_typeEbEEZZNS1_14partition_implILS5_6ELb0ES3_mN6thrust23THRUST_200600_302600_NS6detail15normal_iteratorINSA_10device_ptrIfEEEEPS6_SG_NS0_5tupleIJSF_S6_EEENSH_IJSG_SG_EEES6_PlJNSB_9not_fun_tI7is_trueIfEEEEEE10hipError_tPvRmT3_T4_T5_T6_T7_T9_mT8_P12ihipStream_tbDpT10_ENKUlT_T0_E_clISt17integral_constantIbLb1EES18_EEDaS13_S14_EUlS13_E_NS1_11comp_targetILNS1_3genE0ELNS1_11target_archE4294967295ELNS1_3gpuE0ELNS1_3repE0EEENS1_30default_config_static_selectorELNS0_4arch9wavefront6targetE0EEEvT1_
	.p2align	8
	.type	_ZN7rocprim17ROCPRIM_400000_NS6detail17trampoline_kernelINS0_14default_configENS1_25partition_config_selectorILNS1_17partition_subalgoE6EfNS0_10empty_typeEbEEZZNS1_14partition_implILS5_6ELb0ES3_mN6thrust23THRUST_200600_302600_NS6detail15normal_iteratorINSA_10device_ptrIfEEEEPS6_SG_NS0_5tupleIJSF_S6_EEENSH_IJSG_SG_EEES6_PlJNSB_9not_fun_tI7is_trueIfEEEEEE10hipError_tPvRmT3_T4_T5_T6_T7_T9_mT8_P12ihipStream_tbDpT10_ENKUlT_T0_E_clISt17integral_constantIbLb1EES18_EEDaS13_S14_EUlS13_E_NS1_11comp_targetILNS1_3genE0ELNS1_11target_archE4294967295ELNS1_3gpuE0ELNS1_3repE0EEENS1_30default_config_static_selectorELNS0_4arch9wavefront6targetE0EEEvT1_,@function
_ZN7rocprim17ROCPRIM_400000_NS6detail17trampoline_kernelINS0_14default_configENS1_25partition_config_selectorILNS1_17partition_subalgoE6EfNS0_10empty_typeEbEEZZNS1_14partition_implILS5_6ELb0ES3_mN6thrust23THRUST_200600_302600_NS6detail15normal_iteratorINSA_10device_ptrIfEEEEPS6_SG_NS0_5tupleIJSF_S6_EEENSH_IJSG_SG_EEES6_PlJNSB_9not_fun_tI7is_trueIfEEEEEE10hipError_tPvRmT3_T4_T5_T6_T7_T9_mT8_P12ihipStream_tbDpT10_ENKUlT_T0_E_clISt17integral_constantIbLb1EES18_EEDaS13_S14_EUlS13_E_NS1_11comp_targetILNS1_3genE0ELNS1_11target_archE4294967295ELNS1_3gpuE0ELNS1_3repE0EEENS1_30default_config_static_selectorELNS0_4arch9wavefront6targetE0EEEvT1_: ; @_ZN7rocprim17ROCPRIM_400000_NS6detail17trampoline_kernelINS0_14default_configENS1_25partition_config_selectorILNS1_17partition_subalgoE6EfNS0_10empty_typeEbEEZZNS1_14partition_implILS5_6ELb0ES3_mN6thrust23THRUST_200600_302600_NS6detail15normal_iteratorINSA_10device_ptrIfEEEEPS6_SG_NS0_5tupleIJSF_S6_EEENSH_IJSG_SG_EEES6_PlJNSB_9not_fun_tI7is_trueIfEEEEEE10hipError_tPvRmT3_T4_T5_T6_T7_T9_mT8_P12ihipStream_tbDpT10_ENKUlT_T0_E_clISt17integral_constantIbLb1EES18_EEDaS13_S14_EUlS13_E_NS1_11comp_targetILNS1_3genE0ELNS1_11target_archE4294967295ELNS1_3gpuE0ELNS1_3repE0EEENS1_30default_config_static_selectorELNS0_4arch9wavefront6targetE0EEEvT1_
; %bb.0:
	.section	.rodata,"a",@progbits
	.p2align	6, 0x0
	.amdhsa_kernel _ZN7rocprim17ROCPRIM_400000_NS6detail17trampoline_kernelINS0_14default_configENS1_25partition_config_selectorILNS1_17partition_subalgoE6EfNS0_10empty_typeEbEEZZNS1_14partition_implILS5_6ELb0ES3_mN6thrust23THRUST_200600_302600_NS6detail15normal_iteratorINSA_10device_ptrIfEEEEPS6_SG_NS0_5tupleIJSF_S6_EEENSH_IJSG_SG_EEES6_PlJNSB_9not_fun_tI7is_trueIfEEEEEE10hipError_tPvRmT3_T4_T5_T6_T7_T9_mT8_P12ihipStream_tbDpT10_ENKUlT_T0_E_clISt17integral_constantIbLb1EES18_EEDaS13_S14_EUlS13_E_NS1_11comp_targetILNS1_3genE0ELNS1_11target_archE4294967295ELNS1_3gpuE0ELNS1_3repE0EEENS1_30default_config_static_selectorELNS0_4arch9wavefront6targetE0EEEvT1_
		.amdhsa_group_segment_fixed_size 0
		.amdhsa_private_segment_fixed_size 0
		.amdhsa_kernarg_size 128
		.amdhsa_user_sgpr_count 2
		.amdhsa_user_sgpr_dispatch_ptr 0
		.amdhsa_user_sgpr_queue_ptr 0
		.amdhsa_user_sgpr_kernarg_segment_ptr 1
		.amdhsa_user_sgpr_dispatch_id 0
		.amdhsa_user_sgpr_private_segment_size 0
		.amdhsa_wavefront_size32 1
		.amdhsa_uses_dynamic_stack 0
		.amdhsa_enable_private_segment 0
		.amdhsa_system_sgpr_workgroup_id_x 1
		.amdhsa_system_sgpr_workgroup_id_y 0
		.amdhsa_system_sgpr_workgroup_id_z 0
		.amdhsa_system_sgpr_workgroup_info 0
		.amdhsa_system_vgpr_workitem_id 0
		.amdhsa_next_free_vgpr 1
		.amdhsa_next_free_sgpr 1
		.amdhsa_reserve_vcc 0
		.amdhsa_float_round_mode_32 0
		.amdhsa_float_round_mode_16_64 0
		.amdhsa_float_denorm_mode_32 3
		.amdhsa_float_denorm_mode_16_64 3
		.amdhsa_fp16_overflow 0
		.amdhsa_workgroup_processor_mode 1
		.amdhsa_memory_ordered 1
		.amdhsa_forward_progress 1
		.amdhsa_inst_pref_size 0
		.amdhsa_round_robin_scheduling 0
		.amdhsa_exception_fp_ieee_invalid_op 0
		.amdhsa_exception_fp_denorm_src 0
		.amdhsa_exception_fp_ieee_div_zero 0
		.amdhsa_exception_fp_ieee_overflow 0
		.amdhsa_exception_fp_ieee_underflow 0
		.amdhsa_exception_fp_ieee_inexact 0
		.amdhsa_exception_int_div_zero 0
	.end_amdhsa_kernel
	.section	.text._ZN7rocprim17ROCPRIM_400000_NS6detail17trampoline_kernelINS0_14default_configENS1_25partition_config_selectorILNS1_17partition_subalgoE6EfNS0_10empty_typeEbEEZZNS1_14partition_implILS5_6ELb0ES3_mN6thrust23THRUST_200600_302600_NS6detail15normal_iteratorINSA_10device_ptrIfEEEEPS6_SG_NS0_5tupleIJSF_S6_EEENSH_IJSG_SG_EEES6_PlJNSB_9not_fun_tI7is_trueIfEEEEEE10hipError_tPvRmT3_T4_T5_T6_T7_T9_mT8_P12ihipStream_tbDpT10_ENKUlT_T0_E_clISt17integral_constantIbLb1EES18_EEDaS13_S14_EUlS13_E_NS1_11comp_targetILNS1_3genE0ELNS1_11target_archE4294967295ELNS1_3gpuE0ELNS1_3repE0EEENS1_30default_config_static_selectorELNS0_4arch9wavefront6targetE0EEEvT1_,"axG",@progbits,_ZN7rocprim17ROCPRIM_400000_NS6detail17trampoline_kernelINS0_14default_configENS1_25partition_config_selectorILNS1_17partition_subalgoE6EfNS0_10empty_typeEbEEZZNS1_14partition_implILS5_6ELb0ES3_mN6thrust23THRUST_200600_302600_NS6detail15normal_iteratorINSA_10device_ptrIfEEEEPS6_SG_NS0_5tupleIJSF_S6_EEENSH_IJSG_SG_EEES6_PlJNSB_9not_fun_tI7is_trueIfEEEEEE10hipError_tPvRmT3_T4_T5_T6_T7_T9_mT8_P12ihipStream_tbDpT10_ENKUlT_T0_E_clISt17integral_constantIbLb1EES18_EEDaS13_S14_EUlS13_E_NS1_11comp_targetILNS1_3genE0ELNS1_11target_archE4294967295ELNS1_3gpuE0ELNS1_3repE0EEENS1_30default_config_static_selectorELNS0_4arch9wavefront6targetE0EEEvT1_,comdat
.Lfunc_end1085:
	.size	_ZN7rocprim17ROCPRIM_400000_NS6detail17trampoline_kernelINS0_14default_configENS1_25partition_config_selectorILNS1_17partition_subalgoE6EfNS0_10empty_typeEbEEZZNS1_14partition_implILS5_6ELb0ES3_mN6thrust23THRUST_200600_302600_NS6detail15normal_iteratorINSA_10device_ptrIfEEEEPS6_SG_NS0_5tupleIJSF_S6_EEENSH_IJSG_SG_EEES6_PlJNSB_9not_fun_tI7is_trueIfEEEEEE10hipError_tPvRmT3_T4_T5_T6_T7_T9_mT8_P12ihipStream_tbDpT10_ENKUlT_T0_E_clISt17integral_constantIbLb1EES18_EEDaS13_S14_EUlS13_E_NS1_11comp_targetILNS1_3genE0ELNS1_11target_archE4294967295ELNS1_3gpuE0ELNS1_3repE0EEENS1_30default_config_static_selectorELNS0_4arch9wavefront6targetE0EEEvT1_, .Lfunc_end1085-_ZN7rocprim17ROCPRIM_400000_NS6detail17trampoline_kernelINS0_14default_configENS1_25partition_config_selectorILNS1_17partition_subalgoE6EfNS0_10empty_typeEbEEZZNS1_14partition_implILS5_6ELb0ES3_mN6thrust23THRUST_200600_302600_NS6detail15normal_iteratorINSA_10device_ptrIfEEEEPS6_SG_NS0_5tupleIJSF_S6_EEENSH_IJSG_SG_EEES6_PlJNSB_9not_fun_tI7is_trueIfEEEEEE10hipError_tPvRmT3_T4_T5_T6_T7_T9_mT8_P12ihipStream_tbDpT10_ENKUlT_T0_E_clISt17integral_constantIbLb1EES18_EEDaS13_S14_EUlS13_E_NS1_11comp_targetILNS1_3genE0ELNS1_11target_archE4294967295ELNS1_3gpuE0ELNS1_3repE0EEENS1_30default_config_static_selectorELNS0_4arch9wavefront6targetE0EEEvT1_
                                        ; -- End function
	.set _ZN7rocprim17ROCPRIM_400000_NS6detail17trampoline_kernelINS0_14default_configENS1_25partition_config_selectorILNS1_17partition_subalgoE6EfNS0_10empty_typeEbEEZZNS1_14partition_implILS5_6ELb0ES3_mN6thrust23THRUST_200600_302600_NS6detail15normal_iteratorINSA_10device_ptrIfEEEEPS6_SG_NS0_5tupleIJSF_S6_EEENSH_IJSG_SG_EEES6_PlJNSB_9not_fun_tI7is_trueIfEEEEEE10hipError_tPvRmT3_T4_T5_T6_T7_T9_mT8_P12ihipStream_tbDpT10_ENKUlT_T0_E_clISt17integral_constantIbLb1EES18_EEDaS13_S14_EUlS13_E_NS1_11comp_targetILNS1_3genE0ELNS1_11target_archE4294967295ELNS1_3gpuE0ELNS1_3repE0EEENS1_30default_config_static_selectorELNS0_4arch9wavefront6targetE0EEEvT1_.num_vgpr, 0
	.set _ZN7rocprim17ROCPRIM_400000_NS6detail17trampoline_kernelINS0_14default_configENS1_25partition_config_selectorILNS1_17partition_subalgoE6EfNS0_10empty_typeEbEEZZNS1_14partition_implILS5_6ELb0ES3_mN6thrust23THRUST_200600_302600_NS6detail15normal_iteratorINSA_10device_ptrIfEEEEPS6_SG_NS0_5tupleIJSF_S6_EEENSH_IJSG_SG_EEES6_PlJNSB_9not_fun_tI7is_trueIfEEEEEE10hipError_tPvRmT3_T4_T5_T6_T7_T9_mT8_P12ihipStream_tbDpT10_ENKUlT_T0_E_clISt17integral_constantIbLb1EES18_EEDaS13_S14_EUlS13_E_NS1_11comp_targetILNS1_3genE0ELNS1_11target_archE4294967295ELNS1_3gpuE0ELNS1_3repE0EEENS1_30default_config_static_selectorELNS0_4arch9wavefront6targetE0EEEvT1_.num_agpr, 0
	.set _ZN7rocprim17ROCPRIM_400000_NS6detail17trampoline_kernelINS0_14default_configENS1_25partition_config_selectorILNS1_17partition_subalgoE6EfNS0_10empty_typeEbEEZZNS1_14partition_implILS5_6ELb0ES3_mN6thrust23THRUST_200600_302600_NS6detail15normal_iteratorINSA_10device_ptrIfEEEEPS6_SG_NS0_5tupleIJSF_S6_EEENSH_IJSG_SG_EEES6_PlJNSB_9not_fun_tI7is_trueIfEEEEEE10hipError_tPvRmT3_T4_T5_T6_T7_T9_mT8_P12ihipStream_tbDpT10_ENKUlT_T0_E_clISt17integral_constantIbLb1EES18_EEDaS13_S14_EUlS13_E_NS1_11comp_targetILNS1_3genE0ELNS1_11target_archE4294967295ELNS1_3gpuE0ELNS1_3repE0EEENS1_30default_config_static_selectorELNS0_4arch9wavefront6targetE0EEEvT1_.numbered_sgpr, 0
	.set _ZN7rocprim17ROCPRIM_400000_NS6detail17trampoline_kernelINS0_14default_configENS1_25partition_config_selectorILNS1_17partition_subalgoE6EfNS0_10empty_typeEbEEZZNS1_14partition_implILS5_6ELb0ES3_mN6thrust23THRUST_200600_302600_NS6detail15normal_iteratorINSA_10device_ptrIfEEEEPS6_SG_NS0_5tupleIJSF_S6_EEENSH_IJSG_SG_EEES6_PlJNSB_9not_fun_tI7is_trueIfEEEEEE10hipError_tPvRmT3_T4_T5_T6_T7_T9_mT8_P12ihipStream_tbDpT10_ENKUlT_T0_E_clISt17integral_constantIbLb1EES18_EEDaS13_S14_EUlS13_E_NS1_11comp_targetILNS1_3genE0ELNS1_11target_archE4294967295ELNS1_3gpuE0ELNS1_3repE0EEENS1_30default_config_static_selectorELNS0_4arch9wavefront6targetE0EEEvT1_.num_named_barrier, 0
	.set _ZN7rocprim17ROCPRIM_400000_NS6detail17trampoline_kernelINS0_14default_configENS1_25partition_config_selectorILNS1_17partition_subalgoE6EfNS0_10empty_typeEbEEZZNS1_14partition_implILS5_6ELb0ES3_mN6thrust23THRUST_200600_302600_NS6detail15normal_iteratorINSA_10device_ptrIfEEEEPS6_SG_NS0_5tupleIJSF_S6_EEENSH_IJSG_SG_EEES6_PlJNSB_9not_fun_tI7is_trueIfEEEEEE10hipError_tPvRmT3_T4_T5_T6_T7_T9_mT8_P12ihipStream_tbDpT10_ENKUlT_T0_E_clISt17integral_constantIbLb1EES18_EEDaS13_S14_EUlS13_E_NS1_11comp_targetILNS1_3genE0ELNS1_11target_archE4294967295ELNS1_3gpuE0ELNS1_3repE0EEENS1_30default_config_static_selectorELNS0_4arch9wavefront6targetE0EEEvT1_.private_seg_size, 0
	.set _ZN7rocprim17ROCPRIM_400000_NS6detail17trampoline_kernelINS0_14default_configENS1_25partition_config_selectorILNS1_17partition_subalgoE6EfNS0_10empty_typeEbEEZZNS1_14partition_implILS5_6ELb0ES3_mN6thrust23THRUST_200600_302600_NS6detail15normal_iteratorINSA_10device_ptrIfEEEEPS6_SG_NS0_5tupleIJSF_S6_EEENSH_IJSG_SG_EEES6_PlJNSB_9not_fun_tI7is_trueIfEEEEEE10hipError_tPvRmT3_T4_T5_T6_T7_T9_mT8_P12ihipStream_tbDpT10_ENKUlT_T0_E_clISt17integral_constantIbLb1EES18_EEDaS13_S14_EUlS13_E_NS1_11comp_targetILNS1_3genE0ELNS1_11target_archE4294967295ELNS1_3gpuE0ELNS1_3repE0EEENS1_30default_config_static_selectorELNS0_4arch9wavefront6targetE0EEEvT1_.uses_vcc, 0
	.set _ZN7rocprim17ROCPRIM_400000_NS6detail17trampoline_kernelINS0_14default_configENS1_25partition_config_selectorILNS1_17partition_subalgoE6EfNS0_10empty_typeEbEEZZNS1_14partition_implILS5_6ELb0ES3_mN6thrust23THRUST_200600_302600_NS6detail15normal_iteratorINSA_10device_ptrIfEEEEPS6_SG_NS0_5tupleIJSF_S6_EEENSH_IJSG_SG_EEES6_PlJNSB_9not_fun_tI7is_trueIfEEEEEE10hipError_tPvRmT3_T4_T5_T6_T7_T9_mT8_P12ihipStream_tbDpT10_ENKUlT_T0_E_clISt17integral_constantIbLb1EES18_EEDaS13_S14_EUlS13_E_NS1_11comp_targetILNS1_3genE0ELNS1_11target_archE4294967295ELNS1_3gpuE0ELNS1_3repE0EEENS1_30default_config_static_selectorELNS0_4arch9wavefront6targetE0EEEvT1_.uses_flat_scratch, 0
	.set _ZN7rocprim17ROCPRIM_400000_NS6detail17trampoline_kernelINS0_14default_configENS1_25partition_config_selectorILNS1_17partition_subalgoE6EfNS0_10empty_typeEbEEZZNS1_14partition_implILS5_6ELb0ES3_mN6thrust23THRUST_200600_302600_NS6detail15normal_iteratorINSA_10device_ptrIfEEEEPS6_SG_NS0_5tupleIJSF_S6_EEENSH_IJSG_SG_EEES6_PlJNSB_9not_fun_tI7is_trueIfEEEEEE10hipError_tPvRmT3_T4_T5_T6_T7_T9_mT8_P12ihipStream_tbDpT10_ENKUlT_T0_E_clISt17integral_constantIbLb1EES18_EEDaS13_S14_EUlS13_E_NS1_11comp_targetILNS1_3genE0ELNS1_11target_archE4294967295ELNS1_3gpuE0ELNS1_3repE0EEENS1_30default_config_static_selectorELNS0_4arch9wavefront6targetE0EEEvT1_.has_dyn_sized_stack, 0
	.set _ZN7rocprim17ROCPRIM_400000_NS6detail17trampoline_kernelINS0_14default_configENS1_25partition_config_selectorILNS1_17partition_subalgoE6EfNS0_10empty_typeEbEEZZNS1_14partition_implILS5_6ELb0ES3_mN6thrust23THRUST_200600_302600_NS6detail15normal_iteratorINSA_10device_ptrIfEEEEPS6_SG_NS0_5tupleIJSF_S6_EEENSH_IJSG_SG_EEES6_PlJNSB_9not_fun_tI7is_trueIfEEEEEE10hipError_tPvRmT3_T4_T5_T6_T7_T9_mT8_P12ihipStream_tbDpT10_ENKUlT_T0_E_clISt17integral_constantIbLb1EES18_EEDaS13_S14_EUlS13_E_NS1_11comp_targetILNS1_3genE0ELNS1_11target_archE4294967295ELNS1_3gpuE0ELNS1_3repE0EEENS1_30default_config_static_selectorELNS0_4arch9wavefront6targetE0EEEvT1_.has_recursion, 0
	.set _ZN7rocprim17ROCPRIM_400000_NS6detail17trampoline_kernelINS0_14default_configENS1_25partition_config_selectorILNS1_17partition_subalgoE6EfNS0_10empty_typeEbEEZZNS1_14partition_implILS5_6ELb0ES3_mN6thrust23THRUST_200600_302600_NS6detail15normal_iteratorINSA_10device_ptrIfEEEEPS6_SG_NS0_5tupleIJSF_S6_EEENSH_IJSG_SG_EEES6_PlJNSB_9not_fun_tI7is_trueIfEEEEEE10hipError_tPvRmT3_T4_T5_T6_T7_T9_mT8_P12ihipStream_tbDpT10_ENKUlT_T0_E_clISt17integral_constantIbLb1EES18_EEDaS13_S14_EUlS13_E_NS1_11comp_targetILNS1_3genE0ELNS1_11target_archE4294967295ELNS1_3gpuE0ELNS1_3repE0EEENS1_30default_config_static_selectorELNS0_4arch9wavefront6targetE0EEEvT1_.has_indirect_call, 0
	.section	.AMDGPU.csdata,"",@progbits
; Kernel info:
; codeLenInByte = 0
; TotalNumSgprs: 0
; NumVgprs: 0
; ScratchSize: 0
; MemoryBound: 0
; FloatMode: 240
; IeeeMode: 1
; LDSByteSize: 0 bytes/workgroup (compile time only)
; SGPRBlocks: 0
; VGPRBlocks: 0
; NumSGPRsForWavesPerEU: 1
; NumVGPRsForWavesPerEU: 1
; Occupancy: 16
; WaveLimiterHint : 0
; COMPUTE_PGM_RSRC2:SCRATCH_EN: 0
; COMPUTE_PGM_RSRC2:USER_SGPR: 2
; COMPUTE_PGM_RSRC2:TRAP_HANDLER: 0
; COMPUTE_PGM_RSRC2:TGID_X_EN: 1
; COMPUTE_PGM_RSRC2:TGID_Y_EN: 0
; COMPUTE_PGM_RSRC2:TGID_Z_EN: 0
; COMPUTE_PGM_RSRC2:TIDIG_COMP_CNT: 0
	.section	.text._ZN7rocprim17ROCPRIM_400000_NS6detail17trampoline_kernelINS0_14default_configENS1_25partition_config_selectorILNS1_17partition_subalgoE6EfNS0_10empty_typeEbEEZZNS1_14partition_implILS5_6ELb0ES3_mN6thrust23THRUST_200600_302600_NS6detail15normal_iteratorINSA_10device_ptrIfEEEEPS6_SG_NS0_5tupleIJSF_S6_EEENSH_IJSG_SG_EEES6_PlJNSB_9not_fun_tI7is_trueIfEEEEEE10hipError_tPvRmT3_T4_T5_T6_T7_T9_mT8_P12ihipStream_tbDpT10_ENKUlT_T0_E_clISt17integral_constantIbLb1EES18_EEDaS13_S14_EUlS13_E_NS1_11comp_targetILNS1_3genE5ELNS1_11target_archE942ELNS1_3gpuE9ELNS1_3repE0EEENS1_30default_config_static_selectorELNS0_4arch9wavefront6targetE0EEEvT1_,"axG",@progbits,_ZN7rocprim17ROCPRIM_400000_NS6detail17trampoline_kernelINS0_14default_configENS1_25partition_config_selectorILNS1_17partition_subalgoE6EfNS0_10empty_typeEbEEZZNS1_14partition_implILS5_6ELb0ES3_mN6thrust23THRUST_200600_302600_NS6detail15normal_iteratorINSA_10device_ptrIfEEEEPS6_SG_NS0_5tupleIJSF_S6_EEENSH_IJSG_SG_EEES6_PlJNSB_9not_fun_tI7is_trueIfEEEEEE10hipError_tPvRmT3_T4_T5_T6_T7_T9_mT8_P12ihipStream_tbDpT10_ENKUlT_T0_E_clISt17integral_constantIbLb1EES18_EEDaS13_S14_EUlS13_E_NS1_11comp_targetILNS1_3genE5ELNS1_11target_archE942ELNS1_3gpuE9ELNS1_3repE0EEENS1_30default_config_static_selectorELNS0_4arch9wavefront6targetE0EEEvT1_,comdat
	.protected	_ZN7rocprim17ROCPRIM_400000_NS6detail17trampoline_kernelINS0_14default_configENS1_25partition_config_selectorILNS1_17partition_subalgoE6EfNS0_10empty_typeEbEEZZNS1_14partition_implILS5_6ELb0ES3_mN6thrust23THRUST_200600_302600_NS6detail15normal_iteratorINSA_10device_ptrIfEEEEPS6_SG_NS0_5tupleIJSF_S6_EEENSH_IJSG_SG_EEES6_PlJNSB_9not_fun_tI7is_trueIfEEEEEE10hipError_tPvRmT3_T4_T5_T6_T7_T9_mT8_P12ihipStream_tbDpT10_ENKUlT_T0_E_clISt17integral_constantIbLb1EES18_EEDaS13_S14_EUlS13_E_NS1_11comp_targetILNS1_3genE5ELNS1_11target_archE942ELNS1_3gpuE9ELNS1_3repE0EEENS1_30default_config_static_selectorELNS0_4arch9wavefront6targetE0EEEvT1_ ; -- Begin function _ZN7rocprim17ROCPRIM_400000_NS6detail17trampoline_kernelINS0_14default_configENS1_25partition_config_selectorILNS1_17partition_subalgoE6EfNS0_10empty_typeEbEEZZNS1_14partition_implILS5_6ELb0ES3_mN6thrust23THRUST_200600_302600_NS6detail15normal_iteratorINSA_10device_ptrIfEEEEPS6_SG_NS0_5tupleIJSF_S6_EEENSH_IJSG_SG_EEES6_PlJNSB_9not_fun_tI7is_trueIfEEEEEE10hipError_tPvRmT3_T4_T5_T6_T7_T9_mT8_P12ihipStream_tbDpT10_ENKUlT_T0_E_clISt17integral_constantIbLb1EES18_EEDaS13_S14_EUlS13_E_NS1_11comp_targetILNS1_3genE5ELNS1_11target_archE942ELNS1_3gpuE9ELNS1_3repE0EEENS1_30default_config_static_selectorELNS0_4arch9wavefront6targetE0EEEvT1_
	.globl	_ZN7rocprim17ROCPRIM_400000_NS6detail17trampoline_kernelINS0_14default_configENS1_25partition_config_selectorILNS1_17partition_subalgoE6EfNS0_10empty_typeEbEEZZNS1_14partition_implILS5_6ELb0ES3_mN6thrust23THRUST_200600_302600_NS6detail15normal_iteratorINSA_10device_ptrIfEEEEPS6_SG_NS0_5tupleIJSF_S6_EEENSH_IJSG_SG_EEES6_PlJNSB_9not_fun_tI7is_trueIfEEEEEE10hipError_tPvRmT3_T4_T5_T6_T7_T9_mT8_P12ihipStream_tbDpT10_ENKUlT_T0_E_clISt17integral_constantIbLb1EES18_EEDaS13_S14_EUlS13_E_NS1_11comp_targetILNS1_3genE5ELNS1_11target_archE942ELNS1_3gpuE9ELNS1_3repE0EEENS1_30default_config_static_selectorELNS0_4arch9wavefront6targetE0EEEvT1_
	.p2align	8
	.type	_ZN7rocprim17ROCPRIM_400000_NS6detail17trampoline_kernelINS0_14default_configENS1_25partition_config_selectorILNS1_17partition_subalgoE6EfNS0_10empty_typeEbEEZZNS1_14partition_implILS5_6ELb0ES3_mN6thrust23THRUST_200600_302600_NS6detail15normal_iteratorINSA_10device_ptrIfEEEEPS6_SG_NS0_5tupleIJSF_S6_EEENSH_IJSG_SG_EEES6_PlJNSB_9not_fun_tI7is_trueIfEEEEEE10hipError_tPvRmT3_T4_T5_T6_T7_T9_mT8_P12ihipStream_tbDpT10_ENKUlT_T0_E_clISt17integral_constantIbLb1EES18_EEDaS13_S14_EUlS13_E_NS1_11comp_targetILNS1_3genE5ELNS1_11target_archE942ELNS1_3gpuE9ELNS1_3repE0EEENS1_30default_config_static_selectorELNS0_4arch9wavefront6targetE0EEEvT1_,@function
_ZN7rocprim17ROCPRIM_400000_NS6detail17trampoline_kernelINS0_14default_configENS1_25partition_config_selectorILNS1_17partition_subalgoE6EfNS0_10empty_typeEbEEZZNS1_14partition_implILS5_6ELb0ES3_mN6thrust23THRUST_200600_302600_NS6detail15normal_iteratorINSA_10device_ptrIfEEEEPS6_SG_NS0_5tupleIJSF_S6_EEENSH_IJSG_SG_EEES6_PlJNSB_9not_fun_tI7is_trueIfEEEEEE10hipError_tPvRmT3_T4_T5_T6_T7_T9_mT8_P12ihipStream_tbDpT10_ENKUlT_T0_E_clISt17integral_constantIbLb1EES18_EEDaS13_S14_EUlS13_E_NS1_11comp_targetILNS1_3genE5ELNS1_11target_archE942ELNS1_3gpuE9ELNS1_3repE0EEENS1_30default_config_static_selectorELNS0_4arch9wavefront6targetE0EEEvT1_: ; @_ZN7rocprim17ROCPRIM_400000_NS6detail17trampoline_kernelINS0_14default_configENS1_25partition_config_selectorILNS1_17partition_subalgoE6EfNS0_10empty_typeEbEEZZNS1_14partition_implILS5_6ELb0ES3_mN6thrust23THRUST_200600_302600_NS6detail15normal_iteratorINSA_10device_ptrIfEEEEPS6_SG_NS0_5tupleIJSF_S6_EEENSH_IJSG_SG_EEES6_PlJNSB_9not_fun_tI7is_trueIfEEEEEE10hipError_tPvRmT3_T4_T5_T6_T7_T9_mT8_P12ihipStream_tbDpT10_ENKUlT_T0_E_clISt17integral_constantIbLb1EES18_EEDaS13_S14_EUlS13_E_NS1_11comp_targetILNS1_3genE5ELNS1_11target_archE942ELNS1_3gpuE9ELNS1_3repE0EEENS1_30default_config_static_selectorELNS0_4arch9wavefront6targetE0EEEvT1_
; %bb.0:
	.section	.rodata,"a",@progbits
	.p2align	6, 0x0
	.amdhsa_kernel _ZN7rocprim17ROCPRIM_400000_NS6detail17trampoline_kernelINS0_14default_configENS1_25partition_config_selectorILNS1_17partition_subalgoE6EfNS0_10empty_typeEbEEZZNS1_14partition_implILS5_6ELb0ES3_mN6thrust23THRUST_200600_302600_NS6detail15normal_iteratorINSA_10device_ptrIfEEEEPS6_SG_NS0_5tupleIJSF_S6_EEENSH_IJSG_SG_EEES6_PlJNSB_9not_fun_tI7is_trueIfEEEEEE10hipError_tPvRmT3_T4_T5_T6_T7_T9_mT8_P12ihipStream_tbDpT10_ENKUlT_T0_E_clISt17integral_constantIbLb1EES18_EEDaS13_S14_EUlS13_E_NS1_11comp_targetILNS1_3genE5ELNS1_11target_archE942ELNS1_3gpuE9ELNS1_3repE0EEENS1_30default_config_static_selectorELNS0_4arch9wavefront6targetE0EEEvT1_
		.amdhsa_group_segment_fixed_size 0
		.amdhsa_private_segment_fixed_size 0
		.amdhsa_kernarg_size 128
		.amdhsa_user_sgpr_count 2
		.amdhsa_user_sgpr_dispatch_ptr 0
		.amdhsa_user_sgpr_queue_ptr 0
		.amdhsa_user_sgpr_kernarg_segment_ptr 1
		.amdhsa_user_sgpr_dispatch_id 0
		.amdhsa_user_sgpr_private_segment_size 0
		.amdhsa_wavefront_size32 1
		.amdhsa_uses_dynamic_stack 0
		.amdhsa_enable_private_segment 0
		.amdhsa_system_sgpr_workgroup_id_x 1
		.amdhsa_system_sgpr_workgroup_id_y 0
		.amdhsa_system_sgpr_workgroup_id_z 0
		.amdhsa_system_sgpr_workgroup_info 0
		.amdhsa_system_vgpr_workitem_id 0
		.amdhsa_next_free_vgpr 1
		.amdhsa_next_free_sgpr 1
		.amdhsa_reserve_vcc 0
		.amdhsa_float_round_mode_32 0
		.amdhsa_float_round_mode_16_64 0
		.amdhsa_float_denorm_mode_32 3
		.amdhsa_float_denorm_mode_16_64 3
		.amdhsa_fp16_overflow 0
		.amdhsa_workgroup_processor_mode 1
		.amdhsa_memory_ordered 1
		.amdhsa_forward_progress 1
		.amdhsa_inst_pref_size 0
		.amdhsa_round_robin_scheduling 0
		.amdhsa_exception_fp_ieee_invalid_op 0
		.amdhsa_exception_fp_denorm_src 0
		.amdhsa_exception_fp_ieee_div_zero 0
		.amdhsa_exception_fp_ieee_overflow 0
		.amdhsa_exception_fp_ieee_underflow 0
		.amdhsa_exception_fp_ieee_inexact 0
		.amdhsa_exception_int_div_zero 0
	.end_amdhsa_kernel
	.section	.text._ZN7rocprim17ROCPRIM_400000_NS6detail17trampoline_kernelINS0_14default_configENS1_25partition_config_selectorILNS1_17partition_subalgoE6EfNS0_10empty_typeEbEEZZNS1_14partition_implILS5_6ELb0ES3_mN6thrust23THRUST_200600_302600_NS6detail15normal_iteratorINSA_10device_ptrIfEEEEPS6_SG_NS0_5tupleIJSF_S6_EEENSH_IJSG_SG_EEES6_PlJNSB_9not_fun_tI7is_trueIfEEEEEE10hipError_tPvRmT3_T4_T5_T6_T7_T9_mT8_P12ihipStream_tbDpT10_ENKUlT_T0_E_clISt17integral_constantIbLb1EES18_EEDaS13_S14_EUlS13_E_NS1_11comp_targetILNS1_3genE5ELNS1_11target_archE942ELNS1_3gpuE9ELNS1_3repE0EEENS1_30default_config_static_selectorELNS0_4arch9wavefront6targetE0EEEvT1_,"axG",@progbits,_ZN7rocprim17ROCPRIM_400000_NS6detail17trampoline_kernelINS0_14default_configENS1_25partition_config_selectorILNS1_17partition_subalgoE6EfNS0_10empty_typeEbEEZZNS1_14partition_implILS5_6ELb0ES3_mN6thrust23THRUST_200600_302600_NS6detail15normal_iteratorINSA_10device_ptrIfEEEEPS6_SG_NS0_5tupleIJSF_S6_EEENSH_IJSG_SG_EEES6_PlJNSB_9not_fun_tI7is_trueIfEEEEEE10hipError_tPvRmT3_T4_T5_T6_T7_T9_mT8_P12ihipStream_tbDpT10_ENKUlT_T0_E_clISt17integral_constantIbLb1EES18_EEDaS13_S14_EUlS13_E_NS1_11comp_targetILNS1_3genE5ELNS1_11target_archE942ELNS1_3gpuE9ELNS1_3repE0EEENS1_30default_config_static_selectorELNS0_4arch9wavefront6targetE0EEEvT1_,comdat
.Lfunc_end1086:
	.size	_ZN7rocprim17ROCPRIM_400000_NS6detail17trampoline_kernelINS0_14default_configENS1_25partition_config_selectorILNS1_17partition_subalgoE6EfNS0_10empty_typeEbEEZZNS1_14partition_implILS5_6ELb0ES3_mN6thrust23THRUST_200600_302600_NS6detail15normal_iteratorINSA_10device_ptrIfEEEEPS6_SG_NS0_5tupleIJSF_S6_EEENSH_IJSG_SG_EEES6_PlJNSB_9not_fun_tI7is_trueIfEEEEEE10hipError_tPvRmT3_T4_T5_T6_T7_T9_mT8_P12ihipStream_tbDpT10_ENKUlT_T0_E_clISt17integral_constantIbLb1EES18_EEDaS13_S14_EUlS13_E_NS1_11comp_targetILNS1_3genE5ELNS1_11target_archE942ELNS1_3gpuE9ELNS1_3repE0EEENS1_30default_config_static_selectorELNS0_4arch9wavefront6targetE0EEEvT1_, .Lfunc_end1086-_ZN7rocprim17ROCPRIM_400000_NS6detail17trampoline_kernelINS0_14default_configENS1_25partition_config_selectorILNS1_17partition_subalgoE6EfNS0_10empty_typeEbEEZZNS1_14partition_implILS5_6ELb0ES3_mN6thrust23THRUST_200600_302600_NS6detail15normal_iteratorINSA_10device_ptrIfEEEEPS6_SG_NS0_5tupleIJSF_S6_EEENSH_IJSG_SG_EEES6_PlJNSB_9not_fun_tI7is_trueIfEEEEEE10hipError_tPvRmT3_T4_T5_T6_T7_T9_mT8_P12ihipStream_tbDpT10_ENKUlT_T0_E_clISt17integral_constantIbLb1EES18_EEDaS13_S14_EUlS13_E_NS1_11comp_targetILNS1_3genE5ELNS1_11target_archE942ELNS1_3gpuE9ELNS1_3repE0EEENS1_30default_config_static_selectorELNS0_4arch9wavefront6targetE0EEEvT1_
                                        ; -- End function
	.set _ZN7rocprim17ROCPRIM_400000_NS6detail17trampoline_kernelINS0_14default_configENS1_25partition_config_selectorILNS1_17partition_subalgoE6EfNS0_10empty_typeEbEEZZNS1_14partition_implILS5_6ELb0ES3_mN6thrust23THRUST_200600_302600_NS6detail15normal_iteratorINSA_10device_ptrIfEEEEPS6_SG_NS0_5tupleIJSF_S6_EEENSH_IJSG_SG_EEES6_PlJNSB_9not_fun_tI7is_trueIfEEEEEE10hipError_tPvRmT3_T4_T5_T6_T7_T9_mT8_P12ihipStream_tbDpT10_ENKUlT_T0_E_clISt17integral_constantIbLb1EES18_EEDaS13_S14_EUlS13_E_NS1_11comp_targetILNS1_3genE5ELNS1_11target_archE942ELNS1_3gpuE9ELNS1_3repE0EEENS1_30default_config_static_selectorELNS0_4arch9wavefront6targetE0EEEvT1_.num_vgpr, 0
	.set _ZN7rocprim17ROCPRIM_400000_NS6detail17trampoline_kernelINS0_14default_configENS1_25partition_config_selectorILNS1_17partition_subalgoE6EfNS0_10empty_typeEbEEZZNS1_14partition_implILS5_6ELb0ES3_mN6thrust23THRUST_200600_302600_NS6detail15normal_iteratorINSA_10device_ptrIfEEEEPS6_SG_NS0_5tupleIJSF_S6_EEENSH_IJSG_SG_EEES6_PlJNSB_9not_fun_tI7is_trueIfEEEEEE10hipError_tPvRmT3_T4_T5_T6_T7_T9_mT8_P12ihipStream_tbDpT10_ENKUlT_T0_E_clISt17integral_constantIbLb1EES18_EEDaS13_S14_EUlS13_E_NS1_11comp_targetILNS1_3genE5ELNS1_11target_archE942ELNS1_3gpuE9ELNS1_3repE0EEENS1_30default_config_static_selectorELNS0_4arch9wavefront6targetE0EEEvT1_.num_agpr, 0
	.set _ZN7rocprim17ROCPRIM_400000_NS6detail17trampoline_kernelINS0_14default_configENS1_25partition_config_selectorILNS1_17partition_subalgoE6EfNS0_10empty_typeEbEEZZNS1_14partition_implILS5_6ELb0ES3_mN6thrust23THRUST_200600_302600_NS6detail15normal_iteratorINSA_10device_ptrIfEEEEPS6_SG_NS0_5tupleIJSF_S6_EEENSH_IJSG_SG_EEES6_PlJNSB_9not_fun_tI7is_trueIfEEEEEE10hipError_tPvRmT3_T4_T5_T6_T7_T9_mT8_P12ihipStream_tbDpT10_ENKUlT_T0_E_clISt17integral_constantIbLb1EES18_EEDaS13_S14_EUlS13_E_NS1_11comp_targetILNS1_3genE5ELNS1_11target_archE942ELNS1_3gpuE9ELNS1_3repE0EEENS1_30default_config_static_selectorELNS0_4arch9wavefront6targetE0EEEvT1_.numbered_sgpr, 0
	.set _ZN7rocprim17ROCPRIM_400000_NS6detail17trampoline_kernelINS0_14default_configENS1_25partition_config_selectorILNS1_17partition_subalgoE6EfNS0_10empty_typeEbEEZZNS1_14partition_implILS5_6ELb0ES3_mN6thrust23THRUST_200600_302600_NS6detail15normal_iteratorINSA_10device_ptrIfEEEEPS6_SG_NS0_5tupleIJSF_S6_EEENSH_IJSG_SG_EEES6_PlJNSB_9not_fun_tI7is_trueIfEEEEEE10hipError_tPvRmT3_T4_T5_T6_T7_T9_mT8_P12ihipStream_tbDpT10_ENKUlT_T0_E_clISt17integral_constantIbLb1EES18_EEDaS13_S14_EUlS13_E_NS1_11comp_targetILNS1_3genE5ELNS1_11target_archE942ELNS1_3gpuE9ELNS1_3repE0EEENS1_30default_config_static_selectorELNS0_4arch9wavefront6targetE0EEEvT1_.num_named_barrier, 0
	.set _ZN7rocprim17ROCPRIM_400000_NS6detail17trampoline_kernelINS0_14default_configENS1_25partition_config_selectorILNS1_17partition_subalgoE6EfNS0_10empty_typeEbEEZZNS1_14partition_implILS5_6ELb0ES3_mN6thrust23THRUST_200600_302600_NS6detail15normal_iteratorINSA_10device_ptrIfEEEEPS6_SG_NS0_5tupleIJSF_S6_EEENSH_IJSG_SG_EEES6_PlJNSB_9not_fun_tI7is_trueIfEEEEEE10hipError_tPvRmT3_T4_T5_T6_T7_T9_mT8_P12ihipStream_tbDpT10_ENKUlT_T0_E_clISt17integral_constantIbLb1EES18_EEDaS13_S14_EUlS13_E_NS1_11comp_targetILNS1_3genE5ELNS1_11target_archE942ELNS1_3gpuE9ELNS1_3repE0EEENS1_30default_config_static_selectorELNS0_4arch9wavefront6targetE0EEEvT1_.private_seg_size, 0
	.set _ZN7rocprim17ROCPRIM_400000_NS6detail17trampoline_kernelINS0_14default_configENS1_25partition_config_selectorILNS1_17partition_subalgoE6EfNS0_10empty_typeEbEEZZNS1_14partition_implILS5_6ELb0ES3_mN6thrust23THRUST_200600_302600_NS6detail15normal_iteratorINSA_10device_ptrIfEEEEPS6_SG_NS0_5tupleIJSF_S6_EEENSH_IJSG_SG_EEES6_PlJNSB_9not_fun_tI7is_trueIfEEEEEE10hipError_tPvRmT3_T4_T5_T6_T7_T9_mT8_P12ihipStream_tbDpT10_ENKUlT_T0_E_clISt17integral_constantIbLb1EES18_EEDaS13_S14_EUlS13_E_NS1_11comp_targetILNS1_3genE5ELNS1_11target_archE942ELNS1_3gpuE9ELNS1_3repE0EEENS1_30default_config_static_selectorELNS0_4arch9wavefront6targetE0EEEvT1_.uses_vcc, 0
	.set _ZN7rocprim17ROCPRIM_400000_NS6detail17trampoline_kernelINS0_14default_configENS1_25partition_config_selectorILNS1_17partition_subalgoE6EfNS0_10empty_typeEbEEZZNS1_14partition_implILS5_6ELb0ES3_mN6thrust23THRUST_200600_302600_NS6detail15normal_iteratorINSA_10device_ptrIfEEEEPS6_SG_NS0_5tupleIJSF_S6_EEENSH_IJSG_SG_EEES6_PlJNSB_9not_fun_tI7is_trueIfEEEEEE10hipError_tPvRmT3_T4_T5_T6_T7_T9_mT8_P12ihipStream_tbDpT10_ENKUlT_T0_E_clISt17integral_constantIbLb1EES18_EEDaS13_S14_EUlS13_E_NS1_11comp_targetILNS1_3genE5ELNS1_11target_archE942ELNS1_3gpuE9ELNS1_3repE0EEENS1_30default_config_static_selectorELNS0_4arch9wavefront6targetE0EEEvT1_.uses_flat_scratch, 0
	.set _ZN7rocprim17ROCPRIM_400000_NS6detail17trampoline_kernelINS0_14default_configENS1_25partition_config_selectorILNS1_17partition_subalgoE6EfNS0_10empty_typeEbEEZZNS1_14partition_implILS5_6ELb0ES3_mN6thrust23THRUST_200600_302600_NS6detail15normal_iteratorINSA_10device_ptrIfEEEEPS6_SG_NS0_5tupleIJSF_S6_EEENSH_IJSG_SG_EEES6_PlJNSB_9not_fun_tI7is_trueIfEEEEEE10hipError_tPvRmT3_T4_T5_T6_T7_T9_mT8_P12ihipStream_tbDpT10_ENKUlT_T0_E_clISt17integral_constantIbLb1EES18_EEDaS13_S14_EUlS13_E_NS1_11comp_targetILNS1_3genE5ELNS1_11target_archE942ELNS1_3gpuE9ELNS1_3repE0EEENS1_30default_config_static_selectorELNS0_4arch9wavefront6targetE0EEEvT1_.has_dyn_sized_stack, 0
	.set _ZN7rocprim17ROCPRIM_400000_NS6detail17trampoline_kernelINS0_14default_configENS1_25partition_config_selectorILNS1_17partition_subalgoE6EfNS0_10empty_typeEbEEZZNS1_14partition_implILS5_6ELb0ES3_mN6thrust23THRUST_200600_302600_NS6detail15normal_iteratorINSA_10device_ptrIfEEEEPS6_SG_NS0_5tupleIJSF_S6_EEENSH_IJSG_SG_EEES6_PlJNSB_9not_fun_tI7is_trueIfEEEEEE10hipError_tPvRmT3_T4_T5_T6_T7_T9_mT8_P12ihipStream_tbDpT10_ENKUlT_T0_E_clISt17integral_constantIbLb1EES18_EEDaS13_S14_EUlS13_E_NS1_11comp_targetILNS1_3genE5ELNS1_11target_archE942ELNS1_3gpuE9ELNS1_3repE0EEENS1_30default_config_static_selectorELNS0_4arch9wavefront6targetE0EEEvT1_.has_recursion, 0
	.set _ZN7rocprim17ROCPRIM_400000_NS6detail17trampoline_kernelINS0_14default_configENS1_25partition_config_selectorILNS1_17partition_subalgoE6EfNS0_10empty_typeEbEEZZNS1_14partition_implILS5_6ELb0ES3_mN6thrust23THRUST_200600_302600_NS6detail15normal_iteratorINSA_10device_ptrIfEEEEPS6_SG_NS0_5tupleIJSF_S6_EEENSH_IJSG_SG_EEES6_PlJNSB_9not_fun_tI7is_trueIfEEEEEE10hipError_tPvRmT3_T4_T5_T6_T7_T9_mT8_P12ihipStream_tbDpT10_ENKUlT_T0_E_clISt17integral_constantIbLb1EES18_EEDaS13_S14_EUlS13_E_NS1_11comp_targetILNS1_3genE5ELNS1_11target_archE942ELNS1_3gpuE9ELNS1_3repE0EEENS1_30default_config_static_selectorELNS0_4arch9wavefront6targetE0EEEvT1_.has_indirect_call, 0
	.section	.AMDGPU.csdata,"",@progbits
; Kernel info:
; codeLenInByte = 0
; TotalNumSgprs: 0
; NumVgprs: 0
; ScratchSize: 0
; MemoryBound: 0
; FloatMode: 240
; IeeeMode: 1
; LDSByteSize: 0 bytes/workgroup (compile time only)
; SGPRBlocks: 0
; VGPRBlocks: 0
; NumSGPRsForWavesPerEU: 1
; NumVGPRsForWavesPerEU: 1
; Occupancy: 16
; WaveLimiterHint : 0
; COMPUTE_PGM_RSRC2:SCRATCH_EN: 0
; COMPUTE_PGM_RSRC2:USER_SGPR: 2
; COMPUTE_PGM_RSRC2:TRAP_HANDLER: 0
; COMPUTE_PGM_RSRC2:TGID_X_EN: 1
; COMPUTE_PGM_RSRC2:TGID_Y_EN: 0
; COMPUTE_PGM_RSRC2:TGID_Z_EN: 0
; COMPUTE_PGM_RSRC2:TIDIG_COMP_CNT: 0
	.section	.text._ZN7rocprim17ROCPRIM_400000_NS6detail17trampoline_kernelINS0_14default_configENS1_25partition_config_selectorILNS1_17partition_subalgoE6EfNS0_10empty_typeEbEEZZNS1_14partition_implILS5_6ELb0ES3_mN6thrust23THRUST_200600_302600_NS6detail15normal_iteratorINSA_10device_ptrIfEEEEPS6_SG_NS0_5tupleIJSF_S6_EEENSH_IJSG_SG_EEES6_PlJNSB_9not_fun_tI7is_trueIfEEEEEE10hipError_tPvRmT3_T4_T5_T6_T7_T9_mT8_P12ihipStream_tbDpT10_ENKUlT_T0_E_clISt17integral_constantIbLb1EES18_EEDaS13_S14_EUlS13_E_NS1_11comp_targetILNS1_3genE4ELNS1_11target_archE910ELNS1_3gpuE8ELNS1_3repE0EEENS1_30default_config_static_selectorELNS0_4arch9wavefront6targetE0EEEvT1_,"axG",@progbits,_ZN7rocprim17ROCPRIM_400000_NS6detail17trampoline_kernelINS0_14default_configENS1_25partition_config_selectorILNS1_17partition_subalgoE6EfNS0_10empty_typeEbEEZZNS1_14partition_implILS5_6ELb0ES3_mN6thrust23THRUST_200600_302600_NS6detail15normal_iteratorINSA_10device_ptrIfEEEEPS6_SG_NS0_5tupleIJSF_S6_EEENSH_IJSG_SG_EEES6_PlJNSB_9not_fun_tI7is_trueIfEEEEEE10hipError_tPvRmT3_T4_T5_T6_T7_T9_mT8_P12ihipStream_tbDpT10_ENKUlT_T0_E_clISt17integral_constantIbLb1EES18_EEDaS13_S14_EUlS13_E_NS1_11comp_targetILNS1_3genE4ELNS1_11target_archE910ELNS1_3gpuE8ELNS1_3repE0EEENS1_30default_config_static_selectorELNS0_4arch9wavefront6targetE0EEEvT1_,comdat
	.protected	_ZN7rocprim17ROCPRIM_400000_NS6detail17trampoline_kernelINS0_14default_configENS1_25partition_config_selectorILNS1_17partition_subalgoE6EfNS0_10empty_typeEbEEZZNS1_14partition_implILS5_6ELb0ES3_mN6thrust23THRUST_200600_302600_NS6detail15normal_iteratorINSA_10device_ptrIfEEEEPS6_SG_NS0_5tupleIJSF_S6_EEENSH_IJSG_SG_EEES6_PlJNSB_9not_fun_tI7is_trueIfEEEEEE10hipError_tPvRmT3_T4_T5_T6_T7_T9_mT8_P12ihipStream_tbDpT10_ENKUlT_T0_E_clISt17integral_constantIbLb1EES18_EEDaS13_S14_EUlS13_E_NS1_11comp_targetILNS1_3genE4ELNS1_11target_archE910ELNS1_3gpuE8ELNS1_3repE0EEENS1_30default_config_static_selectorELNS0_4arch9wavefront6targetE0EEEvT1_ ; -- Begin function _ZN7rocprim17ROCPRIM_400000_NS6detail17trampoline_kernelINS0_14default_configENS1_25partition_config_selectorILNS1_17partition_subalgoE6EfNS0_10empty_typeEbEEZZNS1_14partition_implILS5_6ELb0ES3_mN6thrust23THRUST_200600_302600_NS6detail15normal_iteratorINSA_10device_ptrIfEEEEPS6_SG_NS0_5tupleIJSF_S6_EEENSH_IJSG_SG_EEES6_PlJNSB_9not_fun_tI7is_trueIfEEEEEE10hipError_tPvRmT3_T4_T5_T6_T7_T9_mT8_P12ihipStream_tbDpT10_ENKUlT_T0_E_clISt17integral_constantIbLb1EES18_EEDaS13_S14_EUlS13_E_NS1_11comp_targetILNS1_3genE4ELNS1_11target_archE910ELNS1_3gpuE8ELNS1_3repE0EEENS1_30default_config_static_selectorELNS0_4arch9wavefront6targetE0EEEvT1_
	.globl	_ZN7rocprim17ROCPRIM_400000_NS6detail17trampoline_kernelINS0_14default_configENS1_25partition_config_selectorILNS1_17partition_subalgoE6EfNS0_10empty_typeEbEEZZNS1_14partition_implILS5_6ELb0ES3_mN6thrust23THRUST_200600_302600_NS6detail15normal_iteratorINSA_10device_ptrIfEEEEPS6_SG_NS0_5tupleIJSF_S6_EEENSH_IJSG_SG_EEES6_PlJNSB_9not_fun_tI7is_trueIfEEEEEE10hipError_tPvRmT3_T4_T5_T6_T7_T9_mT8_P12ihipStream_tbDpT10_ENKUlT_T0_E_clISt17integral_constantIbLb1EES18_EEDaS13_S14_EUlS13_E_NS1_11comp_targetILNS1_3genE4ELNS1_11target_archE910ELNS1_3gpuE8ELNS1_3repE0EEENS1_30default_config_static_selectorELNS0_4arch9wavefront6targetE0EEEvT1_
	.p2align	8
	.type	_ZN7rocprim17ROCPRIM_400000_NS6detail17trampoline_kernelINS0_14default_configENS1_25partition_config_selectorILNS1_17partition_subalgoE6EfNS0_10empty_typeEbEEZZNS1_14partition_implILS5_6ELb0ES3_mN6thrust23THRUST_200600_302600_NS6detail15normal_iteratorINSA_10device_ptrIfEEEEPS6_SG_NS0_5tupleIJSF_S6_EEENSH_IJSG_SG_EEES6_PlJNSB_9not_fun_tI7is_trueIfEEEEEE10hipError_tPvRmT3_T4_T5_T6_T7_T9_mT8_P12ihipStream_tbDpT10_ENKUlT_T0_E_clISt17integral_constantIbLb1EES18_EEDaS13_S14_EUlS13_E_NS1_11comp_targetILNS1_3genE4ELNS1_11target_archE910ELNS1_3gpuE8ELNS1_3repE0EEENS1_30default_config_static_selectorELNS0_4arch9wavefront6targetE0EEEvT1_,@function
_ZN7rocprim17ROCPRIM_400000_NS6detail17trampoline_kernelINS0_14default_configENS1_25partition_config_selectorILNS1_17partition_subalgoE6EfNS0_10empty_typeEbEEZZNS1_14partition_implILS5_6ELb0ES3_mN6thrust23THRUST_200600_302600_NS6detail15normal_iteratorINSA_10device_ptrIfEEEEPS6_SG_NS0_5tupleIJSF_S6_EEENSH_IJSG_SG_EEES6_PlJNSB_9not_fun_tI7is_trueIfEEEEEE10hipError_tPvRmT3_T4_T5_T6_T7_T9_mT8_P12ihipStream_tbDpT10_ENKUlT_T0_E_clISt17integral_constantIbLb1EES18_EEDaS13_S14_EUlS13_E_NS1_11comp_targetILNS1_3genE4ELNS1_11target_archE910ELNS1_3gpuE8ELNS1_3repE0EEENS1_30default_config_static_selectorELNS0_4arch9wavefront6targetE0EEEvT1_: ; @_ZN7rocprim17ROCPRIM_400000_NS6detail17trampoline_kernelINS0_14default_configENS1_25partition_config_selectorILNS1_17partition_subalgoE6EfNS0_10empty_typeEbEEZZNS1_14partition_implILS5_6ELb0ES3_mN6thrust23THRUST_200600_302600_NS6detail15normal_iteratorINSA_10device_ptrIfEEEEPS6_SG_NS0_5tupleIJSF_S6_EEENSH_IJSG_SG_EEES6_PlJNSB_9not_fun_tI7is_trueIfEEEEEE10hipError_tPvRmT3_T4_T5_T6_T7_T9_mT8_P12ihipStream_tbDpT10_ENKUlT_T0_E_clISt17integral_constantIbLb1EES18_EEDaS13_S14_EUlS13_E_NS1_11comp_targetILNS1_3genE4ELNS1_11target_archE910ELNS1_3gpuE8ELNS1_3repE0EEENS1_30default_config_static_selectorELNS0_4arch9wavefront6targetE0EEEvT1_
; %bb.0:
	.section	.rodata,"a",@progbits
	.p2align	6, 0x0
	.amdhsa_kernel _ZN7rocprim17ROCPRIM_400000_NS6detail17trampoline_kernelINS0_14default_configENS1_25partition_config_selectorILNS1_17partition_subalgoE6EfNS0_10empty_typeEbEEZZNS1_14partition_implILS5_6ELb0ES3_mN6thrust23THRUST_200600_302600_NS6detail15normal_iteratorINSA_10device_ptrIfEEEEPS6_SG_NS0_5tupleIJSF_S6_EEENSH_IJSG_SG_EEES6_PlJNSB_9not_fun_tI7is_trueIfEEEEEE10hipError_tPvRmT3_T4_T5_T6_T7_T9_mT8_P12ihipStream_tbDpT10_ENKUlT_T0_E_clISt17integral_constantIbLb1EES18_EEDaS13_S14_EUlS13_E_NS1_11comp_targetILNS1_3genE4ELNS1_11target_archE910ELNS1_3gpuE8ELNS1_3repE0EEENS1_30default_config_static_selectorELNS0_4arch9wavefront6targetE0EEEvT1_
		.amdhsa_group_segment_fixed_size 0
		.amdhsa_private_segment_fixed_size 0
		.amdhsa_kernarg_size 128
		.amdhsa_user_sgpr_count 2
		.amdhsa_user_sgpr_dispatch_ptr 0
		.amdhsa_user_sgpr_queue_ptr 0
		.amdhsa_user_sgpr_kernarg_segment_ptr 1
		.amdhsa_user_sgpr_dispatch_id 0
		.amdhsa_user_sgpr_private_segment_size 0
		.amdhsa_wavefront_size32 1
		.amdhsa_uses_dynamic_stack 0
		.amdhsa_enable_private_segment 0
		.amdhsa_system_sgpr_workgroup_id_x 1
		.amdhsa_system_sgpr_workgroup_id_y 0
		.amdhsa_system_sgpr_workgroup_id_z 0
		.amdhsa_system_sgpr_workgroup_info 0
		.amdhsa_system_vgpr_workitem_id 0
		.amdhsa_next_free_vgpr 1
		.amdhsa_next_free_sgpr 1
		.amdhsa_reserve_vcc 0
		.amdhsa_float_round_mode_32 0
		.amdhsa_float_round_mode_16_64 0
		.amdhsa_float_denorm_mode_32 3
		.amdhsa_float_denorm_mode_16_64 3
		.amdhsa_fp16_overflow 0
		.amdhsa_workgroup_processor_mode 1
		.amdhsa_memory_ordered 1
		.amdhsa_forward_progress 1
		.amdhsa_inst_pref_size 0
		.amdhsa_round_robin_scheduling 0
		.amdhsa_exception_fp_ieee_invalid_op 0
		.amdhsa_exception_fp_denorm_src 0
		.amdhsa_exception_fp_ieee_div_zero 0
		.amdhsa_exception_fp_ieee_overflow 0
		.amdhsa_exception_fp_ieee_underflow 0
		.amdhsa_exception_fp_ieee_inexact 0
		.amdhsa_exception_int_div_zero 0
	.end_amdhsa_kernel
	.section	.text._ZN7rocprim17ROCPRIM_400000_NS6detail17trampoline_kernelINS0_14default_configENS1_25partition_config_selectorILNS1_17partition_subalgoE6EfNS0_10empty_typeEbEEZZNS1_14partition_implILS5_6ELb0ES3_mN6thrust23THRUST_200600_302600_NS6detail15normal_iteratorINSA_10device_ptrIfEEEEPS6_SG_NS0_5tupleIJSF_S6_EEENSH_IJSG_SG_EEES6_PlJNSB_9not_fun_tI7is_trueIfEEEEEE10hipError_tPvRmT3_T4_T5_T6_T7_T9_mT8_P12ihipStream_tbDpT10_ENKUlT_T0_E_clISt17integral_constantIbLb1EES18_EEDaS13_S14_EUlS13_E_NS1_11comp_targetILNS1_3genE4ELNS1_11target_archE910ELNS1_3gpuE8ELNS1_3repE0EEENS1_30default_config_static_selectorELNS0_4arch9wavefront6targetE0EEEvT1_,"axG",@progbits,_ZN7rocprim17ROCPRIM_400000_NS6detail17trampoline_kernelINS0_14default_configENS1_25partition_config_selectorILNS1_17partition_subalgoE6EfNS0_10empty_typeEbEEZZNS1_14partition_implILS5_6ELb0ES3_mN6thrust23THRUST_200600_302600_NS6detail15normal_iteratorINSA_10device_ptrIfEEEEPS6_SG_NS0_5tupleIJSF_S6_EEENSH_IJSG_SG_EEES6_PlJNSB_9not_fun_tI7is_trueIfEEEEEE10hipError_tPvRmT3_T4_T5_T6_T7_T9_mT8_P12ihipStream_tbDpT10_ENKUlT_T0_E_clISt17integral_constantIbLb1EES18_EEDaS13_S14_EUlS13_E_NS1_11comp_targetILNS1_3genE4ELNS1_11target_archE910ELNS1_3gpuE8ELNS1_3repE0EEENS1_30default_config_static_selectorELNS0_4arch9wavefront6targetE0EEEvT1_,comdat
.Lfunc_end1087:
	.size	_ZN7rocprim17ROCPRIM_400000_NS6detail17trampoline_kernelINS0_14default_configENS1_25partition_config_selectorILNS1_17partition_subalgoE6EfNS0_10empty_typeEbEEZZNS1_14partition_implILS5_6ELb0ES3_mN6thrust23THRUST_200600_302600_NS6detail15normal_iteratorINSA_10device_ptrIfEEEEPS6_SG_NS0_5tupleIJSF_S6_EEENSH_IJSG_SG_EEES6_PlJNSB_9not_fun_tI7is_trueIfEEEEEE10hipError_tPvRmT3_T4_T5_T6_T7_T9_mT8_P12ihipStream_tbDpT10_ENKUlT_T0_E_clISt17integral_constantIbLb1EES18_EEDaS13_S14_EUlS13_E_NS1_11comp_targetILNS1_3genE4ELNS1_11target_archE910ELNS1_3gpuE8ELNS1_3repE0EEENS1_30default_config_static_selectorELNS0_4arch9wavefront6targetE0EEEvT1_, .Lfunc_end1087-_ZN7rocprim17ROCPRIM_400000_NS6detail17trampoline_kernelINS0_14default_configENS1_25partition_config_selectorILNS1_17partition_subalgoE6EfNS0_10empty_typeEbEEZZNS1_14partition_implILS5_6ELb0ES3_mN6thrust23THRUST_200600_302600_NS6detail15normal_iteratorINSA_10device_ptrIfEEEEPS6_SG_NS0_5tupleIJSF_S6_EEENSH_IJSG_SG_EEES6_PlJNSB_9not_fun_tI7is_trueIfEEEEEE10hipError_tPvRmT3_T4_T5_T6_T7_T9_mT8_P12ihipStream_tbDpT10_ENKUlT_T0_E_clISt17integral_constantIbLb1EES18_EEDaS13_S14_EUlS13_E_NS1_11comp_targetILNS1_3genE4ELNS1_11target_archE910ELNS1_3gpuE8ELNS1_3repE0EEENS1_30default_config_static_selectorELNS0_4arch9wavefront6targetE0EEEvT1_
                                        ; -- End function
	.set _ZN7rocprim17ROCPRIM_400000_NS6detail17trampoline_kernelINS0_14default_configENS1_25partition_config_selectorILNS1_17partition_subalgoE6EfNS0_10empty_typeEbEEZZNS1_14partition_implILS5_6ELb0ES3_mN6thrust23THRUST_200600_302600_NS6detail15normal_iteratorINSA_10device_ptrIfEEEEPS6_SG_NS0_5tupleIJSF_S6_EEENSH_IJSG_SG_EEES6_PlJNSB_9not_fun_tI7is_trueIfEEEEEE10hipError_tPvRmT3_T4_T5_T6_T7_T9_mT8_P12ihipStream_tbDpT10_ENKUlT_T0_E_clISt17integral_constantIbLb1EES18_EEDaS13_S14_EUlS13_E_NS1_11comp_targetILNS1_3genE4ELNS1_11target_archE910ELNS1_3gpuE8ELNS1_3repE0EEENS1_30default_config_static_selectorELNS0_4arch9wavefront6targetE0EEEvT1_.num_vgpr, 0
	.set _ZN7rocprim17ROCPRIM_400000_NS6detail17trampoline_kernelINS0_14default_configENS1_25partition_config_selectorILNS1_17partition_subalgoE6EfNS0_10empty_typeEbEEZZNS1_14partition_implILS5_6ELb0ES3_mN6thrust23THRUST_200600_302600_NS6detail15normal_iteratorINSA_10device_ptrIfEEEEPS6_SG_NS0_5tupleIJSF_S6_EEENSH_IJSG_SG_EEES6_PlJNSB_9not_fun_tI7is_trueIfEEEEEE10hipError_tPvRmT3_T4_T5_T6_T7_T9_mT8_P12ihipStream_tbDpT10_ENKUlT_T0_E_clISt17integral_constantIbLb1EES18_EEDaS13_S14_EUlS13_E_NS1_11comp_targetILNS1_3genE4ELNS1_11target_archE910ELNS1_3gpuE8ELNS1_3repE0EEENS1_30default_config_static_selectorELNS0_4arch9wavefront6targetE0EEEvT1_.num_agpr, 0
	.set _ZN7rocprim17ROCPRIM_400000_NS6detail17trampoline_kernelINS0_14default_configENS1_25partition_config_selectorILNS1_17partition_subalgoE6EfNS0_10empty_typeEbEEZZNS1_14partition_implILS5_6ELb0ES3_mN6thrust23THRUST_200600_302600_NS6detail15normal_iteratorINSA_10device_ptrIfEEEEPS6_SG_NS0_5tupleIJSF_S6_EEENSH_IJSG_SG_EEES6_PlJNSB_9not_fun_tI7is_trueIfEEEEEE10hipError_tPvRmT3_T4_T5_T6_T7_T9_mT8_P12ihipStream_tbDpT10_ENKUlT_T0_E_clISt17integral_constantIbLb1EES18_EEDaS13_S14_EUlS13_E_NS1_11comp_targetILNS1_3genE4ELNS1_11target_archE910ELNS1_3gpuE8ELNS1_3repE0EEENS1_30default_config_static_selectorELNS0_4arch9wavefront6targetE0EEEvT1_.numbered_sgpr, 0
	.set _ZN7rocprim17ROCPRIM_400000_NS6detail17trampoline_kernelINS0_14default_configENS1_25partition_config_selectorILNS1_17partition_subalgoE6EfNS0_10empty_typeEbEEZZNS1_14partition_implILS5_6ELb0ES3_mN6thrust23THRUST_200600_302600_NS6detail15normal_iteratorINSA_10device_ptrIfEEEEPS6_SG_NS0_5tupleIJSF_S6_EEENSH_IJSG_SG_EEES6_PlJNSB_9not_fun_tI7is_trueIfEEEEEE10hipError_tPvRmT3_T4_T5_T6_T7_T9_mT8_P12ihipStream_tbDpT10_ENKUlT_T0_E_clISt17integral_constantIbLb1EES18_EEDaS13_S14_EUlS13_E_NS1_11comp_targetILNS1_3genE4ELNS1_11target_archE910ELNS1_3gpuE8ELNS1_3repE0EEENS1_30default_config_static_selectorELNS0_4arch9wavefront6targetE0EEEvT1_.num_named_barrier, 0
	.set _ZN7rocprim17ROCPRIM_400000_NS6detail17trampoline_kernelINS0_14default_configENS1_25partition_config_selectorILNS1_17partition_subalgoE6EfNS0_10empty_typeEbEEZZNS1_14partition_implILS5_6ELb0ES3_mN6thrust23THRUST_200600_302600_NS6detail15normal_iteratorINSA_10device_ptrIfEEEEPS6_SG_NS0_5tupleIJSF_S6_EEENSH_IJSG_SG_EEES6_PlJNSB_9not_fun_tI7is_trueIfEEEEEE10hipError_tPvRmT3_T4_T5_T6_T7_T9_mT8_P12ihipStream_tbDpT10_ENKUlT_T0_E_clISt17integral_constantIbLb1EES18_EEDaS13_S14_EUlS13_E_NS1_11comp_targetILNS1_3genE4ELNS1_11target_archE910ELNS1_3gpuE8ELNS1_3repE0EEENS1_30default_config_static_selectorELNS0_4arch9wavefront6targetE0EEEvT1_.private_seg_size, 0
	.set _ZN7rocprim17ROCPRIM_400000_NS6detail17trampoline_kernelINS0_14default_configENS1_25partition_config_selectorILNS1_17partition_subalgoE6EfNS0_10empty_typeEbEEZZNS1_14partition_implILS5_6ELb0ES3_mN6thrust23THRUST_200600_302600_NS6detail15normal_iteratorINSA_10device_ptrIfEEEEPS6_SG_NS0_5tupleIJSF_S6_EEENSH_IJSG_SG_EEES6_PlJNSB_9not_fun_tI7is_trueIfEEEEEE10hipError_tPvRmT3_T4_T5_T6_T7_T9_mT8_P12ihipStream_tbDpT10_ENKUlT_T0_E_clISt17integral_constantIbLb1EES18_EEDaS13_S14_EUlS13_E_NS1_11comp_targetILNS1_3genE4ELNS1_11target_archE910ELNS1_3gpuE8ELNS1_3repE0EEENS1_30default_config_static_selectorELNS0_4arch9wavefront6targetE0EEEvT1_.uses_vcc, 0
	.set _ZN7rocprim17ROCPRIM_400000_NS6detail17trampoline_kernelINS0_14default_configENS1_25partition_config_selectorILNS1_17partition_subalgoE6EfNS0_10empty_typeEbEEZZNS1_14partition_implILS5_6ELb0ES3_mN6thrust23THRUST_200600_302600_NS6detail15normal_iteratorINSA_10device_ptrIfEEEEPS6_SG_NS0_5tupleIJSF_S6_EEENSH_IJSG_SG_EEES6_PlJNSB_9not_fun_tI7is_trueIfEEEEEE10hipError_tPvRmT3_T4_T5_T6_T7_T9_mT8_P12ihipStream_tbDpT10_ENKUlT_T0_E_clISt17integral_constantIbLb1EES18_EEDaS13_S14_EUlS13_E_NS1_11comp_targetILNS1_3genE4ELNS1_11target_archE910ELNS1_3gpuE8ELNS1_3repE0EEENS1_30default_config_static_selectorELNS0_4arch9wavefront6targetE0EEEvT1_.uses_flat_scratch, 0
	.set _ZN7rocprim17ROCPRIM_400000_NS6detail17trampoline_kernelINS0_14default_configENS1_25partition_config_selectorILNS1_17partition_subalgoE6EfNS0_10empty_typeEbEEZZNS1_14partition_implILS5_6ELb0ES3_mN6thrust23THRUST_200600_302600_NS6detail15normal_iteratorINSA_10device_ptrIfEEEEPS6_SG_NS0_5tupleIJSF_S6_EEENSH_IJSG_SG_EEES6_PlJNSB_9not_fun_tI7is_trueIfEEEEEE10hipError_tPvRmT3_T4_T5_T6_T7_T9_mT8_P12ihipStream_tbDpT10_ENKUlT_T0_E_clISt17integral_constantIbLb1EES18_EEDaS13_S14_EUlS13_E_NS1_11comp_targetILNS1_3genE4ELNS1_11target_archE910ELNS1_3gpuE8ELNS1_3repE0EEENS1_30default_config_static_selectorELNS0_4arch9wavefront6targetE0EEEvT1_.has_dyn_sized_stack, 0
	.set _ZN7rocprim17ROCPRIM_400000_NS6detail17trampoline_kernelINS0_14default_configENS1_25partition_config_selectorILNS1_17partition_subalgoE6EfNS0_10empty_typeEbEEZZNS1_14partition_implILS5_6ELb0ES3_mN6thrust23THRUST_200600_302600_NS6detail15normal_iteratorINSA_10device_ptrIfEEEEPS6_SG_NS0_5tupleIJSF_S6_EEENSH_IJSG_SG_EEES6_PlJNSB_9not_fun_tI7is_trueIfEEEEEE10hipError_tPvRmT3_T4_T5_T6_T7_T9_mT8_P12ihipStream_tbDpT10_ENKUlT_T0_E_clISt17integral_constantIbLb1EES18_EEDaS13_S14_EUlS13_E_NS1_11comp_targetILNS1_3genE4ELNS1_11target_archE910ELNS1_3gpuE8ELNS1_3repE0EEENS1_30default_config_static_selectorELNS0_4arch9wavefront6targetE0EEEvT1_.has_recursion, 0
	.set _ZN7rocprim17ROCPRIM_400000_NS6detail17trampoline_kernelINS0_14default_configENS1_25partition_config_selectorILNS1_17partition_subalgoE6EfNS0_10empty_typeEbEEZZNS1_14partition_implILS5_6ELb0ES3_mN6thrust23THRUST_200600_302600_NS6detail15normal_iteratorINSA_10device_ptrIfEEEEPS6_SG_NS0_5tupleIJSF_S6_EEENSH_IJSG_SG_EEES6_PlJNSB_9not_fun_tI7is_trueIfEEEEEE10hipError_tPvRmT3_T4_T5_T6_T7_T9_mT8_P12ihipStream_tbDpT10_ENKUlT_T0_E_clISt17integral_constantIbLb1EES18_EEDaS13_S14_EUlS13_E_NS1_11comp_targetILNS1_3genE4ELNS1_11target_archE910ELNS1_3gpuE8ELNS1_3repE0EEENS1_30default_config_static_selectorELNS0_4arch9wavefront6targetE0EEEvT1_.has_indirect_call, 0
	.section	.AMDGPU.csdata,"",@progbits
; Kernel info:
; codeLenInByte = 0
; TotalNumSgprs: 0
; NumVgprs: 0
; ScratchSize: 0
; MemoryBound: 0
; FloatMode: 240
; IeeeMode: 1
; LDSByteSize: 0 bytes/workgroup (compile time only)
; SGPRBlocks: 0
; VGPRBlocks: 0
; NumSGPRsForWavesPerEU: 1
; NumVGPRsForWavesPerEU: 1
; Occupancy: 16
; WaveLimiterHint : 0
; COMPUTE_PGM_RSRC2:SCRATCH_EN: 0
; COMPUTE_PGM_RSRC2:USER_SGPR: 2
; COMPUTE_PGM_RSRC2:TRAP_HANDLER: 0
; COMPUTE_PGM_RSRC2:TGID_X_EN: 1
; COMPUTE_PGM_RSRC2:TGID_Y_EN: 0
; COMPUTE_PGM_RSRC2:TGID_Z_EN: 0
; COMPUTE_PGM_RSRC2:TIDIG_COMP_CNT: 0
	.section	.text._ZN7rocprim17ROCPRIM_400000_NS6detail17trampoline_kernelINS0_14default_configENS1_25partition_config_selectorILNS1_17partition_subalgoE6EfNS0_10empty_typeEbEEZZNS1_14partition_implILS5_6ELb0ES3_mN6thrust23THRUST_200600_302600_NS6detail15normal_iteratorINSA_10device_ptrIfEEEEPS6_SG_NS0_5tupleIJSF_S6_EEENSH_IJSG_SG_EEES6_PlJNSB_9not_fun_tI7is_trueIfEEEEEE10hipError_tPvRmT3_T4_T5_T6_T7_T9_mT8_P12ihipStream_tbDpT10_ENKUlT_T0_E_clISt17integral_constantIbLb1EES18_EEDaS13_S14_EUlS13_E_NS1_11comp_targetILNS1_3genE3ELNS1_11target_archE908ELNS1_3gpuE7ELNS1_3repE0EEENS1_30default_config_static_selectorELNS0_4arch9wavefront6targetE0EEEvT1_,"axG",@progbits,_ZN7rocprim17ROCPRIM_400000_NS6detail17trampoline_kernelINS0_14default_configENS1_25partition_config_selectorILNS1_17partition_subalgoE6EfNS0_10empty_typeEbEEZZNS1_14partition_implILS5_6ELb0ES3_mN6thrust23THRUST_200600_302600_NS6detail15normal_iteratorINSA_10device_ptrIfEEEEPS6_SG_NS0_5tupleIJSF_S6_EEENSH_IJSG_SG_EEES6_PlJNSB_9not_fun_tI7is_trueIfEEEEEE10hipError_tPvRmT3_T4_T5_T6_T7_T9_mT8_P12ihipStream_tbDpT10_ENKUlT_T0_E_clISt17integral_constantIbLb1EES18_EEDaS13_S14_EUlS13_E_NS1_11comp_targetILNS1_3genE3ELNS1_11target_archE908ELNS1_3gpuE7ELNS1_3repE0EEENS1_30default_config_static_selectorELNS0_4arch9wavefront6targetE0EEEvT1_,comdat
	.protected	_ZN7rocprim17ROCPRIM_400000_NS6detail17trampoline_kernelINS0_14default_configENS1_25partition_config_selectorILNS1_17partition_subalgoE6EfNS0_10empty_typeEbEEZZNS1_14partition_implILS5_6ELb0ES3_mN6thrust23THRUST_200600_302600_NS6detail15normal_iteratorINSA_10device_ptrIfEEEEPS6_SG_NS0_5tupleIJSF_S6_EEENSH_IJSG_SG_EEES6_PlJNSB_9not_fun_tI7is_trueIfEEEEEE10hipError_tPvRmT3_T4_T5_T6_T7_T9_mT8_P12ihipStream_tbDpT10_ENKUlT_T0_E_clISt17integral_constantIbLb1EES18_EEDaS13_S14_EUlS13_E_NS1_11comp_targetILNS1_3genE3ELNS1_11target_archE908ELNS1_3gpuE7ELNS1_3repE0EEENS1_30default_config_static_selectorELNS0_4arch9wavefront6targetE0EEEvT1_ ; -- Begin function _ZN7rocprim17ROCPRIM_400000_NS6detail17trampoline_kernelINS0_14default_configENS1_25partition_config_selectorILNS1_17partition_subalgoE6EfNS0_10empty_typeEbEEZZNS1_14partition_implILS5_6ELb0ES3_mN6thrust23THRUST_200600_302600_NS6detail15normal_iteratorINSA_10device_ptrIfEEEEPS6_SG_NS0_5tupleIJSF_S6_EEENSH_IJSG_SG_EEES6_PlJNSB_9not_fun_tI7is_trueIfEEEEEE10hipError_tPvRmT3_T4_T5_T6_T7_T9_mT8_P12ihipStream_tbDpT10_ENKUlT_T0_E_clISt17integral_constantIbLb1EES18_EEDaS13_S14_EUlS13_E_NS1_11comp_targetILNS1_3genE3ELNS1_11target_archE908ELNS1_3gpuE7ELNS1_3repE0EEENS1_30default_config_static_selectorELNS0_4arch9wavefront6targetE0EEEvT1_
	.globl	_ZN7rocprim17ROCPRIM_400000_NS6detail17trampoline_kernelINS0_14default_configENS1_25partition_config_selectorILNS1_17partition_subalgoE6EfNS0_10empty_typeEbEEZZNS1_14partition_implILS5_6ELb0ES3_mN6thrust23THRUST_200600_302600_NS6detail15normal_iteratorINSA_10device_ptrIfEEEEPS6_SG_NS0_5tupleIJSF_S6_EEENSH_IJSG_SG_EEES6_PlJNSB_9not_fun_tI7is_trueIfEEEEEE10hipError_tPvRmT3_T4_T5_T6_T7_T9_mT8_P12ihipStream_tbDpT10_ENKUlT_T0_E_clISt17integral_constantIbLb1EES18_EEDaS13_S14_EUlS13_E_NS1_11comp_targetILNS1_3genE3ELNS1_11target_archE908ELNS1_3gpuE7ELNS1_3repE0EEENS1_30default_config_static_selectorELNS0_4arch9wavefront6targetE0EEEvT1_
	.p2align	8
	.type	_ZN7rocprim17ROCPRIM_400000_NS6detail17trampoline_kernelINS0_14default_configENS1_25partition_config_selectorILNS1_17partition_subalgoE6EfNS0_10empty_typeEbEEZZNS1_14partition_implILS5_6ELb0ES3_mN6thrust23THRUST_200600_302600_NS6detail15normal_iteratorINSA_10device_ptrIfEEEEPS6_SG_NS0_5tupleIJSF_S6_EEENSH_IJSG_SG_EEES6_PlJNSB_9not_fun_tI7is_trueIfEEEEEE10hipError_tPvRmT3_T4_T5_T6_T7_T9_mT8_P12ihipStream_tbDpT10_ENKUlT_T0_E_clISt17integral_constantIbLb1EES18_EEDaS13_S14_EUlS13_E_NS1_11comp_targetILNS1_3genE3ELNS1_11target_archE908ELNS1_3gpuE7ELNS1_3repE0EEENS1_30default_config_static_selectorELNS0_4arch9wavefront6targetE0EEEvT1_,@function
_ZN7rocprim17ROCPRIM_400000_NS6detail17trampoline_kernelINS0_14default_configENS1_25partition_config_selectorILNS1_17partition_subalgoE6EfNS0_10empty_typeEbEEZZNS1_14partition_implILS5_6ELb0ES3_mN6thrust23THRUST_200600_302600_NS6detail15normal_iteratorINSA_10device_ptrIfEEEEPS6_SG_NS0_5tupleIJSF_S6_EEENSH_IJSG_SG_EEES6_PlJNSB_9not_fun_tI7is_trueIfEEEEEE10hipError_tPvRmT3_T4_T5_T6_T7_T9_mT8_P12ihipStream_tbDpT10_ENKUlT_T0_E_clISt17integral_constantIbLb1EES18_EEDaS13_S14_EUlS13_E_NS1_11comp_targetILNS1_3genE3ELNS1_11target_archE908ELNS1_3gpuE7ELNS1_3repE0EEENS1_30default_config_static_selectorELNS0_4arch9wavefront6targetE0EEEvT1_: ; @_ZN7rocprim17ROCPRIM_400000_NS6detail17trampoline_kernelINS0_14default_configENS1_25partition_config_selectorILNS1_17partition_subalgoE6EfNS0_10empty_typeEbEEZZNS1_14partition_implILS5_6ELb0ES3_mN6thrust23THRUST_200600_302600_NS6detail15normal_iteratorINSA_10device_ptrIfEEEEPS6_SG_NS0_5tupleIJSF_S6_EEENSH_IJSG_SG_EEES6_PlJNSB_9not_fun_tI7is_trueIfEEEEEE10hipError_tPvRmT3_T4_T5_T6_T7_T9_mT8_P12ihipStream_tbDpT10_ENKUlT_T0_E_clISt17integral_constantIbLb1EES18_EEDaS13_S14_EUlS13_E_NS1_11comp_targetILNS1_3genE3ELNS1_11target_archE908ELNS1_3gpuE7ELNS1_3repE0EEENS1_30default_config_static_selectorELNS0_4arch9wavefront6targetE0EEEvT1_
; %bb.0:
	.section	.rodata,"a",@progbits
	.p2align	6, 0x0
	.amdhsa_kernel _ZN7rocprim17ROCPRIM_400000_NS6detail17trampoline_kernelINS0_14default_configENS1_25partition_config_selectorILNS1_17partition_subalgoE6EfNS0_10empty_typeEbEEZZNS1_14partition_implILS5_6ELb0ES3_mN6thrust23THRUST_200600_302600_NS6detail15normal_iteratorINSA_10device_ptrIfEEEEPS6_SG_NS0_5tupleIJSF_S6_EEENSH_IJSG_SG_EEES6_PlJNSB_9not_fun_tI7is_trueIfEEEEEE10hipError_tPvRmT3_T4_T5_T6_T7_T9_mT8_P12ihipStream_tbDpT10_ENKUlT_T0_E_clISt17integral_constantIbLb1EES18_EEDaS13_S14_EUlS13_E_NS1_11comp_targetILNS1_3genE3ELNS1_11target_archE908ELNS1_3gpuE7ELNS1_3repE0EEENS1_30default_config_static_selectorELNS0_4arch9wavefront6targetE0EEEvT1_
		.amdhsa_group_segment_fixed_size 0
		.amdhsa_private_segment_fixed_size 0
		.amdhsa_kernarg_size 128
		.amdhsa_user_sgpr_count 2
		.amdhsa_user_sgpr_dispatch_ptr 0
		.amdhsa_user_sgpr_queue_ptr 0
		.amdhsa_user_sgpr_kernarg_segment_ptr 1
		.amdhsa_user_sgpr_dispatch_id 0
		.amdhsa_user_sgpr_private_segment_size 0
		.amdhsa_wavefront_size32 1
		.amdhsa_uses_dynamic_stack 0
		.amdhsa_enable_private_segment 0
		.amdhsa_system_sgpr_workgroup_id_x 1
		.amdhsa_system_sgpr_workgroup_id_y 0
		.amdhsa_system_sgpr_workgroup_id_z 0
		.amdhsa_system_sgpr_workgroup_info 0
		.amdhsa_system_vgpr_workitem_id 0
		.amdhsa_next_free_vgpr 1
		.amdhsa_next_free_sgpr 1
		.amdhsa_reserve_vcc 0
		.amdhsa_float_round_mode_32 0
		.amdhsa_float_round_mode_16_64 0
		.amdhsa_float_denorm_mode_32 3
		.amdhsa_float_denorm_mode_16_64 3
		.amdhsa_fp16_overflow 0
		.amdhsa_workgroup_processor_mode 1
		.amdhsa_memory_ordered 1
		.amdhsa_forward_progress 1
		.amdhsa_inst_pref_size 0
		.amdhsa_round_robin_scheduling 0
		.amdhsa_exception_fp_ieee_invalid_op 0
		.amdhsa_exception_fp_denorm_src 0
		.amdhsa_exception_fp_ieee_div_zero 0
		.amdhsa_exception_fp_ieee_overflow 0
		.amdhsa_exception_fp_ieee_underflow 0
		.amdhsa_exception_fp_ieee_inexact 0
		.amdhsa_exception_int_div_zero 0
	.end_amdhsa_kernel
	.section	.text._ZN7rocprim17ROCPRIM_400000_NS6detail17trampoline_kernelINS0_14default_configENS1_25partition_config_selectorILNS1_17partition_subalgoE6EfNS0_10empty_typeEbEEZZNS1_14partition_implILS5_6ELb0ES3_mN6thrust23THRUST_200600_302600_NS6detail15normal_iteratorINSA_10device_ptrIfEEEEPS6_SG_NS0_5tupleIJSF_S6_EEENSH_IJSG_SG_EEES6_PlJNSB_9not_fun_tI7is_trueIfEEEEEE10hipError_tPvRmT3_T4_T5_T6_T7_T9_mT8_P12ihipStream_tbDpT10_ENKUlT_T0_E_clISt17integral_constantIbLb1EES18_EEDaS13_S14_EUlS13_E_NS1_11comp_targetILNS1_3genE3ELNS1_11target_archE908ELNS1_3gpuE7ELNS1_3repE0EEENS1_30default_config_static_selectorELNS0_4arch9wavefront6targetE0EEEvT1_,"axG",@progbits,_ZN7rocprim17ROCPRIM_400000_NS6detail17trampoline_kernelINS0_14default_configENS1_25partition_config_selectorILNS1_17partition_subalgoE6EfNS0_10empty_typeEbEEZZNS1_14partition_implILS5_6ELb0ES3_mN6thrust23THRUST_200600_302600_NS6detail15normal_iteratorINSA_10device_ptrIfEEEEPS6_SG_NS0_5tupleIJSF_S6_EEENSH_IJSG_SG_EEES6_PlJNSB_9not_fun_tI7is_trueIfEEEEEE10hipError_tPvRmT3_T4_T5_T6_T7_T9_mT8_P12ihipStream_tbDpT10_ENKUlT_T0_E_clISt17integral_constantIbLb1EES18_EEDaS13_S14_EUlS13_E_NS1_11comp_targetILNS1_3genE3ELNS1_11target_archE908ELNS1_3gpuE7ELNS1_3repE0EEENS1_30default_config_static_selectorELNS0_4arch9wavefront6targetE0EEEvT1_,comdat
.Lfunc_end1088:
	.size	_ZN7rocprim17ROCPRIM_400000_NS6detail17trampoline_kernelINS0_14default_configENS1_25partition_config_selectorILNS1_17partition_subalgoE6EfNS0_10empty_typeEbEEZZNS1_14partition_implILS5_6ELb0ES3_mN6thrust23THRUST_200600_302600_NS6detail15normal_iteratorINSA_10device_ptrIfEEEEPS6_SG_NS0_5tupleIJSF_S6_EEENSH_IJSG_SG_EEES6_PlJNSB_9not_fun_tI7is_trueIfEEEEEE10hipError_tPvRmT3_T4_T5_T6_T7_T9_mT8_P12ihipStream_tbDpT10_ENKUlT_T0_E_clISt17integral_constantIbLb1EES18_EEDaS13_S14_EUlS13_E_NS1_11comp_targetILNS1_3genE3ELNS1_11target_archE908ELNS1_3gpuE7ELNS1_3repE0EEENS1_30default_config_static_selectorELNS0_4arch9wavefront6targetE0EEEvT1_, .Lfunc_end1088-_ZN7rocprim17ROCPRIM_400000_NS6detail17trampoline_kernelINS0_14default_configENS1_25partition_config_selectorILNS1_17partition_subalgoE6EfNS0_10empty_typeEbEEZZNS1_14partition_implILS5_6ELb0ES3_mN6thrust23THRUST_200600_302600_NS6detail15normal_iteratorINSA_10device_ptrIfEEEEPS6_SG_NS0_5tupleIJSF_S6_EEENSH_IJSG_SG_EEES6_PlJNSB_9not_fun_tI7is_trueIfEEEEEE10hipError_tPvRmT3_T4_T5_T6_T7_T9_mT8_P12ihipStream_tbDpT10_ENKUlT_T0_E_clISt17integral_constantIbLb1EES18_EEDaS13_S14_EUlS13_E_NS1_11comp_targetILNS1_3genE3ELNS1_11target_archE908ELNS1_3gpuE7ELNS1_3repE0EEENS1_30default_config_static_selectorELNS0_4arch9wavefront6targetE0EEEvT1_
                                        ; -- End function
	.set _ZN7rocprim17ROCPRIM_400000_NS6detail17trampoline_kernelINS0_14default_configENS1_25partition_config_selectorILNS1_17partition_subalgoE6EfNS0_10empty_typeEbEEZZNS1_14partition_implILS5_6ELb0ES3_mN6thrust23THRUST_200600_302600_NS6detail15normal_iteratorINSA_10device_ptrIfEEEEPS6_SG_NS0_5tupleIJSF_S6_EEENSH_IJSG_SG_EEES6_PlJNSB_9not_fun_tI7is_trueIfEEEEEE10hipError_tPvRmT3_T4_T5_T6_T7_T9_mT8_P12ihipStream_tbDpT10_ENKUlT_T0_E_clISt17integral_constantIbLb1EES18_EEDaS13_S14_EUlS13_E_NS1_11comp_targetILNS1_3genE3ELNS1_11target_archE908ELNS1_3gpuE7ELNS1_3repE0EEENS1_30default_config_static_selectorELNS0_4arch9wavefront6targetE0EEEvT1_.num_vgpr, 0
	.set _ZN7rocprim17ROCPRIM_400000_NS6detail17trampoline_kernelINS0_14default_configENS1_25partition_config_selectorILNS1_17partition_subalgoE6EfNS0_10empty_typeEbEEZZNS1_14partition_implILS5_6ELb0ES3_mN6thrust23THRUST_200600_302600_NS6detail15normal_iteratorINSA_10device_ptrIfEEEEPS6_SG_NS0_5tupleIJSF_S6_EEENSH_IJSG_SG_EEES6_PlJNSB_9not_fun_tI7is_trueIfEEEEEE10hipError_tPvRmT3_T4_T5_T6_T7_T9_mT8_P12ihipStream_tbDpT10_ENKUlT_T0_E_clISt17integral_constantIbLb1EES18_EEDaS13_S14_EUlS13_E_NS1_11comp_targetILNS1_3genE3ELNS1_11target_archE908ELNS1_3gpuE7ELNS1_3repE0EEENS1_30default_config_static_selectorELNS0_4arch9wavefront6targetE0EEEvT1_.num_agpr, 0
	.set _ZN7rocprim17ROCPRIM_400000_NS6detail17trampoline_kernelINS0_14default_configENS1_25partition_config_selectorILNS1_17partition_subalgoE6EfNS0_10empty_typeEbEEZZNS1_14partition_implILS5_6ELb0ES3_mN6thrust23THRUST_200600_302600_NS6detail15normal_iteratorINSA_10device_ptrIfEEEEPS6_SG_NS0_5tupleIJSF_S6_EEENSH_IJSG_SG_EEES6_PlJNSB_9not_fun_tI7is_trueIfEEEEEE10hipError_tPvRmT3_T4_T5_T6_T7_T9_mT8_P12ihipStream_tbDpT10_ENKUlT_T0_E_clISt17integral_constantIbLb1EES18_EEDaS13_S14_EUlS13_E_NS1_11comp_targetILNS1_3genE3ELNS1_11target_archE908ELNS1_3gpuE7ELNS1_3repE0EEENS1_30default_config_static_selectorELNS0_4arch9wavefront6targetE0EEEvT1_.numbered_sgpr, 0
	.set _ZN7rocprim17ROCPRIM_400000_NS6detail17trampoline_kernelINS0_14default_configENS1_25partition_config_selectorILNS1_17partition_subalgoE6EfNS0_10empty_typeEbEEZZNS1_14partition_implILS5_6ELb0ES3_mN6thrust23THRUST_200600_302600_NS6detail15normal_iteratorINSA_10device_ptrIfEEEEPS6_SG_NS0_5tupleIJSF_S6_EEENSH_IJSG_SG_EEES6_PlJNSB_9not_fun_tI7is_trueIfEEEEEE10hipError_tPvRmT3_T4_T5_T6_T7_T9_mT8_P12ihipStream_tbDpT10_ENKUlT_T0_E_clISt17integral_constantIbLb1EES18_EEDaS13_S14_EUlS13_E_NS1_11comp_targetILNS1_3genE3ELNS1_11target_archE908ELNS1_3gpuE7ELNS1_3repE0EEENS1_30default_config_static_selectorELNS0_4arch9wavefront6targetE0EEEvT1_.num_named_barrier, 0
	.set _ZN7rocprim17ROCPRIM_400000_NS6detail17trampoline_kernelINS0_14default_configENS1_25partition_config_selectorILNS1_17partition_subalgoE6EfNS0_10empty_typeEbEEZZNS1_14partition_implILS5_6ELb0ES3_mN6thrust23THRUST_200600_302600_NS6detail15normal_iteratorINSA_10device_ptrIfEEEEPS6_SG_NS0_5tupleIJSF_S6_EEENSH_IJSG_SG_EEES6_PlJNSB_9not_fun_tI7is_trueIfEEEEEE10hipError_tPvRmT3_T4_T5_T6_T7_T9_mT8_P12ihipStream_tbDpT10_ENKUlT_T0_E_clISt17integral_constantIbLb1EES18_EEDaS13_S14_EUlS13_E_NS1_11comp_targetILNS1_3genE3ELNS1_11target_archE908ELNS1_3gpuE7ELNS1_3repE0EEENS1_30default_config_static_selectorELNS0_4arch9wavefront6targetE0EEEvT1_.private_seg_size, 0
	.set _ZN7rocprim17ROCPRIM_400000_NS6detail17trampoline_kernelINS0_14default_configENS1_25partition_config_selectorILNS1_17partition_subalgoE6EfNS0_10empty_typeEbEEZZNS1_14partition_implILS5_6ELb0ES3_mN6thrust23THRUST_200600_302600_NS6detail15normal_iteratorINSA_10device_ptrIfEEEEPS6_SG_NS0_5tupleIJSF_S6_EEENSH_IJSG_SG_EEES6_PlJNSB_9not_fun_tI7is_trueIfEEEEEE10hipError_tPvRmT3_T4_T5_T6_T7_T9_mT8_P12ihipStream_tbDpT10_ENKUlT_T0_E_clISt17integral_constantIbLb1EES18_EEDaS13_S14_EUlS13_E_NS1_11comp_targetILNS1_3genE3ELNS1_11target_archE908ELNS1_3gpuE7ELNS1_3repE0EEENS1_30default_config_static_selectorELNS0_4arch9wavefront6targetE0EEEvT1_.uses_vcc, 0
	.set _ZN7rocprim17ROCPRIM_400000_NS6detail17trampoline_kernelINS0_14default_configENS1_25partition_config_selectorILNS1_17partition_subalgoE6EfNS0_10empty_typeEbEEZZNS1_14partition_implILS5_6ELb0ES3_mN6thrust23THRUST_200600_302600_NS6detail15normal_iteratorINSA_10device_ptrIfEEEEPS6_SG_NS0_5tupleIJSF_S6_EEENSH_IJSG_SG_EEES6_PlJNSB_9not_fun_tI7is_trueIfEEEEEE10hipError_tPvRmT3_T4_T5_T6_T7_T9_mT8_P12ihipStream_tbDpT10_ENKUlT_T0_E_clISt17integral_constantIbLb1EES18_EEDaS13_S14_EUlS13_E_NS1_11comp_targetILNS1_3genE3ELNS1_11target_archE908ELNS1_3gpuE7ELNS1_3repE0EEENS1_30default_config_static_selectorELNS0_4arch9wavefront6targetE0EEEvT1_.uses_flat_scratch, 0
	.set _ZN7rocprim17ROCPRIM_400000_NS6detail17trampoline_kernelINS0_14default_configENS1_25partition_config_selectorILNS1_17partition_subalgoE6EfNS0_10empty_typeEbEEZZNS1_14partition_implILS5_6ELb0ES3_mN6thrust23THRUST_200600_302600_NS6detail15normal_iteratorINSA_10device_ptrIfEEEEPS6_SG_NS0_5tupleIJSF_S6_EEENSH_IJSG_SG_EEES6_PlJNSB_9not_fun_tI7is_trueIfEEEEEE10hipError_tPvRmT3_T4_T5_T6_T7_T9_mT8_P12ihipStream_tbDpT10_ENKUlT_T0_E_clISt17integral_constantIbLb1EES18_EEDaS13_S14_EUlS13_E_NS1_11comp_targetILNS1_3genE3ELNS1_11target_archE908ELNS1_3gpuE7ELNS1_3repE0EEENS1_30default_config_static_selectorELNS0_4arch9wavefront6targetE0EEEvT1_.has_dyn_sized_stack, 0
	.set _ZN7rocprim17ROCPRIM_400000_NS6detail17trampoline_kernelINS0_14default_configENS1_25partition_config_selectorILNS1_17partition_subalgoE6EfNS0_10empty_typeEbEEZZNS1_14partition_implILS5_6ELb0ES3_mN6thrust23THRUST_200600_302600_NS6detail15normal_iteratorINSA_10device_ptrIfEEEEPS6_SG_NS0_5tupleIJSF_S6_EEENSH_IJSG_SG_EEES6_PlJNSB_9not_fun_tI7is_trueIfEEEEEE10hipError_tPvRmT3_T4_T5_T6_T7_T9_mT8_P12ihipStream_tbDpT10_ENKUlT_T0_E_clISt17integral_constantIbLb1EES18_EEDaS13_S14_EUlS13_E_NS1_11comp_targetILNS1_3genE3ELNS1_11target_archE908ELNS1_3gpuE7ELNS1_3repE0EEENS1_30default_config_static_selectorELNS0_4arch9wavefront6targetE0EEEvT1_.has_recursion, 0
	.set _ZN7rocprim17ROCPRIM_400000_NS6detail17trampoline_kernelINS0_14default_configENS1_25partition_config_selectorILNS1_17partition_subalgoE6EfNS0_10empty_typeEbEEZZNS1_14partition_implILS5_6ELb0ES3_mN6thrust23THRUST_200600_302600_NS6detail15normal_iteratorINSA_10device_ptrIfEEEEPS6_SG_NS0_5tupleIJSF_S6_EEENSH_IJSG_SG_EEES6_PlJNSB_9not_fun_tI7is_trueIfEEEEEE10hipError_tPvRmT3_T4_T5_T6_T7_T9_mT8_P12ihipStream_tbDpT10_ENKUlT_T0_E_clISt17integral_constantIbLb1EES18_EEDaS13_S14_EUlS13_E_NS1_11comp_targetILNS1_3genE3ELNS1_11target_archE908ELNS1_3gpuE7ELNS1_3repE0EEENS1_30default_config_static_selectorELNS0_4arch9wavefront6targetE0EEEvT1_.has_indirect_call, 0
	.section	.AMDGPU.csdata,"",@progbits
; Kernel info:
; codeLenInByte = 0
; TotalNumSgprs: 0
; NumVgprs: 0
; ScratchSize: 0
; MemoryBound: 0
; FloatMode: 240
; IeeeMode: 1
; LDSByteSize: 0 bytes/workgroup (compile time only)
; SGPRBlocks: 0
; VGPRBlocks: 0
; NumSGPRsForWavesPerEU: 1
; NumVGPRsForWavesPerEU: 1
; Occupancy: 16
; WaveLimiterHint : 0
; COMPUTE_PGM_RSRC2:SCRATCH_EN: 0
; COMPUTE_PGM_RSRC2:USER_SGPR: 2
; COMPUTE_PGM_RSRC2:TRAP_HANDLER: 0
; COMPUTE_PGM_RSRC2:TGID_X_EN: 1
; COMPUTE_PGM_RSRC2:TGID_Y_EN: 0
; COMPUTE_PGM_RSRC2:TGID_Z_EN: 0
; COMPUTE_PGM_RSRC2:TIDIG_COMP_CNT: 0
	.section	.text._ZN7rocprim17ROCPRIM_400000_NS6detail17trampoline_kernelINS0_14default_configENS1_25partition_config_selectorILNS1_17partition_subalgoE6EfNS0_10empty_typeEbEEZZNS1_14partition_implILS5_6ELb0ES3_mN6thrust23THRUST_200600_302600_NS6detail15normal_iteratorINSA_10device_ptrIfEEEEPS6_SG_NS0_5tupleIJSF_S6_EEENSH_IJSG_SG_EEES6_PlJNSB_9not_fun_tI7is_trueIfEEEEEE10hipError_tPvRmT3_T4_T5_T6_T7_T9_mT8_P12ihipStream_tbDpT10_ENKUlT_T0_E_clISt17integral_constantIbLb1EES18_EEDaS13_S14_EUlS13_E_NS1_11comp_targetILNS1_3genE2ELNS1_11target_archE906ELNS1_3gpuE6ELNS1_3repE0EEENS1_30default_config_static_selectorELNS0_4arch9wavefront6targetE0EEEvT1_,"axG",@progbits,_ZN7rocprim17ROCPRIM_400000_NS6detail17trampoline_kernelINS0_14default_configENS1_25partition_config_selectorILNS1_17partition_subalgoE6EfNS0_10empty_typeEbEEZZNS1_14partition_implILS5_6ELb0ES3_mN6thrust23THRUST_200600_302600_NS6detail15normal_iteratorINSA_10device_ptrIfEEEEPS6_SG_NS0_5tupleIJSF_S6_EEENSH_IJSG_SG_EEES6_PlJNSB_9not_fun_tI7is_trueIfEEEEEE10hipError_tPvRmT3_T4_T5_T6_T7_T9_mT8_P12ihipStream_tbDpT10_ENKUlT_T0_E_clISt17integral_constantIbLb1EES18_EEDaS13_S14_EUlS13_E_NS1_11comp_targetILNS1_3genE2ELNS1_11target_archE906ELNS1_3gpuE6ELNS1_3repE0EEENS1_30default_config_static_selectorELNS0_4arch9wavefront6targetE0EEEvT1_,comdat
	.protected	_ZN7rocprim17ROCPRIM_400000_NS6detail17trampoline_kernelINS0_14default_configENS1_25partition_config_selectorILNS1_17partition_subalgoE6EfNS0_10empty_typeEbEEZZNS1_14partition_implILS5_6ELb0ES3_mN6thrust23THRUST_200600_302600_NS6detail15normal_iteratorINSA_10device_ptrIfEEEEPS6_SG_NS0_5tupleIJSF_S6_EEENSH_IJSG_SG_EEES6_PlJNSB_9not_fun_tI7is_trueIfEEEEEE10hipError_tPvRmT3_T4_T5_T6_T7_T9_mT8_P12ihipStream_tbDpT10_ENKUlT_T0_E_clISt17integral_constantIbLb1EES18_EEDaS13_S14_EUlS13_E_NS1_11comp_targetILNS1_3genE2ELNS1_11target_archE906ELNS1_3gpuE6ELNS1_3repE0EEENS1_30default_config_static_selectorELNS0_4arch9wavefront6targetE0EEEvT1_ ; -- Begin function _ZN7rocprim17ROCPRIM_400000_NS6detail17trampoline_kernelINS0_14default_configENS1_25partition_config_selectorILNS1_17partition_subalgoE6EfNS0_10empty_typeEbEEZZNS1_14partition_implILS5_6ELb0ES3_mN6thrust23THRUST_200600_302600_NS6detail15normal_iteratorINSA_10device_ptrIfEEEEPS6_SG_NS0_5tupleIJSF_S6_EEENSH_IJSG_SG_EEES6_PlJNSB_9not_fun_tI7is_trueIfEEEEEE10hipError_tPvRmT3_T4_T5_T6_T7_T9_mT8_P12ihipStream_tbDpT10_ENKUlT_T0_E_clISt17integral_constantIbLb1EES18_EEDaS13_S14_EUlS13_E_NS1_11comp_targetILNS1_3genE2ELNS1_11target_archE906ELNS1_3gpuE6ELNS1_3repE0EEENS1_30default_config_static_selectorELNS0_4arch9wavefront6targetE0EEEvT1_
	.globl	_ZN7rocprim17ROCPRIM_400000_NS6detail17trampoline_kernelINS0_14default_configENS1_25partition_config_selectorILNS1_17partition_subalgoE6EfNS0_10empty_typeEbEEZZNS1_14partition_implILS5_6ELb0ES3_mN6thrust23THRUST_200600_302600_NS6detail15normal_iteratorINSA_10device_ptrIfEEEEPS6_SG_NS0_5tupleIJSF_S6_EEENSH_IJSG_SG_EEES6_PlJNSB_9not_fun_tI7is_trueIfEEEEEE10hipError_tPvRmT3_T4_T5_T6_T7_T9_mT8_P12ihipStream_tbDpT10_ENKUlT_T0_E_clISt17integral_constantIbLb1EES18_EEDaS13_S14_EUlS13_E_NS1_11comp_targetILNS1_3genE2ELNS1_11target_archE906ELNS1_3gpuE6ELNS1_3repE0EEENS1_30default_config_static_selectorELNS0_4arch9wavefront6targetE0EEEvT1_
	.p2align	8
	.type	_ZN7rocprim17ROCPRIM_400000_NS6detail17trampoline_kernelINS0_14default_configENS1_25partition_config_selectorILNS1_17partition_subalgoE6EfNS0_10empty_typeEbEEZZNS1_14partition_implILS5_6ELb0ES3_mN6thrust23THRUST_200600_302600_NS6detail15normal_iteratorINSA_10device_ptrIfEEEEPS6_SG_NS0_5tupleIJSF_S6_EEENSH_IJSG_SG_EEES6_PlJNSB_9not_fun_tI7is_trueIfEEEEEE10hipError_tPvRmT3_T4_T5_T6_T7_T9_mT8_P12ihipStream_tbDpT10_ENKUlT_T0_E_clISt17integral_constantIbLb1EES18_EEDaS13_S14_EUlS13_E_NS1_11comp_targetILNS1_3genE2ELNS1_11target_archE906ELNS1_3gpuE6ELNS1_3repE0EEENS1_30default_config_static_selectorELNS0_4arch9wavefront6targetE0EEEvT1_,@function
_ZN7rocprim17ROCPRIM_400000_NS6detail17trampoline_kernelINS0_14default_configENS1_25partition_config_selectorILNS1_17partition_subalgoE6EfNS0_10empty_typeEbEEZZNS1_14partition_implILS5_6ELb0ES3_mN6thrust23THRUST_200600_302600_NS6detail15normal_iteratorINSA_10device_ptrIfEEEEPS6_SG_NS0_5tupleIJSF_S6_EEENSH_IJSG_SG_EEES6_PlJNSB_9not_fun_tI7is_trueIfEEEEEE10hipError_tPvRmT3_T4_T5_T6_T7_T9_mT8_P12ihipStream_tbDpT10_ENKUlT_T0_E_clISt17integral_constantIbLb1EES18_EEDaS13_S14_EUlS13_E_NS1_11comp_targetILNS1_3genE2ELNS1_11target_archE906ELNS1_3gpuE6ELNS1_3repE0EEENS1_30default_config_static_selectorELNS0_4arch9wavefront6targetE0EEEvT1_: ; @_ZN7rocprim17ROCPRIM_400000_NS6detail17trampoline_kernelINS0_14default_configENS1_25partition_config_selectorILNS1_17partition_subalgoE6EfNS0_10empty_typeEbEEZZNS1_14partition_implILS5_6ELb0ES3_mN6thrust23THRUST_200600_302600_NS6detail15normal_iteratorINSA_10device_ptrIfEEEEPS6_SG_NS0_5tupleIJSF_S6_EEENSH_IJSG_SG_EEES6_PlJNSB_9not_fun_tI7is_trueIfEEEEEE10hipError_tPvRmT3_T4_T5_T6_T7_T9_mT8_P12ihipStream_tbDpT10_ENKUlT_T0_E_clISt17integral_constantIbLb1EES18_EEDaS13_S14_EUlS13_E_NS1_11comp_targetILNS1_3genE2ELNS1_11target_archE906ELNS1_3gpuE6ELNS1_3repE0EEENS1_30default_config_static_selectorELNS0_4arch9wavefront6targetE0EEEvT1_
; %bb.0:
	.section	.rodata,"a",@progbits
	.p2align	6, 0x0
	.amdhsa_kernel _ZN7rocprim17ROCPRIM_400000_NS6detail17trampoline_kernelINS0_14default_configENS1_25partition_config_selectorILNS1_17partition_subalgoE6EfNS0_10empty_typeEbEEZZNS1_14partition_implILS5_6ELb0ES3_mN6thrust23THRUST_200600_302600_NS6detail15normal_iteratorINSA_10device_ptrIfEEEEPS6_SG_NS0_5tupleIJSF_S6_EEENSH_IJSG_SG_EEES6_PlJNSB_9not_fun_tI7is_trueIfEEEEEE10hipError_tPvRmT3_T4_T5_T6_T7_T9_mT8_P12ihipStream_tbDpT10_ENKUlT_T0_E_clISt17integral_constantIbLb1EES18_EEDaS13_S14_EUlS13_E_NS1_11comp_targetILNS1_3genE2ELNS1_11target_archE906ELNS1_3gpuE6ELNS1_3repE0EEENS1_30default_config_static_selectorELNS0_4arch9wavefront6targetE0EEEvT1_
		.amdhsa_group_segment_fixed_size 0
		.amdhsa_private_segment_fixed_size 0
		.amdhsa_kernarg_size 128
		.amdhsa_user_sgpr_count 2
		.amdhsa_user_sgpr_dispatch_ptr 0
		.amdhsa_user_sgpr_queue_ptr 0
		.amdhsa_user_sgpr_kernarg_segment_ptr 1
		.amdhsa_user_sgpr_dispatch_id 0
		.amdhsa_user_sgpr_private_segment_size 0
		.amdhsa_wavefront_size32 1
		.amdhsa_uses_dynamic_stack 0
		.amdhsa_enable_private_segment 0
		.amdhsa_system_sgpr_workgroup_id_x 1
		.amdhsa_system_sgpr_workgroup_id_y 0
		.amdhsa_system_sgpr_workgroup_id_z 0
		.amdhsa_system_sgpr_workgroup_info 0
		.amdhsa_system_vgpr_workitem_id 0
		.amdhsa_next_free_vgpr 1
		.amdhsa_next_free_sgpr 1
		.amdhsa_reserve_vcc 0
		.amdhsa_float_round_mode_32 0
		.amdhsa_float_round_mode_16_64 0
		.amdhsa_float_denorm_mode_32 3
		.amdhsa_float_denorm_mode_16_64 3
		.amdhsa_fp16_overflow 0
		.amdhsa_workgroup_processor_mode 1
		.amdhsa_memory_ordered 1
		.amdhsa_forward_progress 1
		.amdhsa_inst_pref_size 0
		.amdhsa_round_robin_scheduling 0
		.amdhsa_exception_fp_ieee_invalid_op 0
		.amdhsa_exception_fp_denorm_src 0
		.amdhsa_exception_fp_ieee_div_zero 0
		.amdhsa_exception_fp_ieee_overflow 0
		.amdhsa_exception_fp_ieee_underflow 0
		.amdhsa_exception_fp_ieee_inexact 0
		.amdhsa_exception_int_div_zero 0
	.end_amdhsa_kernel
	.section	.text._ZN7rocprim17ROCPRIM_400000_NS6detail17trampoline_kernelINS0_14default_configENS1_25partition_config_selectorILNS1_17partition_subalgoE6EfNS0_10empty_typeEbEEZZNS1_14partition_implILS5_6ELb0ES3_mN6thrust23THRUST_200600_302600_NS6detail15normal_iteratorINSA_10device_ptrIfEEEEPS6_SG_NS0_5tupleIJSF_S6_EEENSH_IJSG_SG_EEES6_PlJNSB_9not_fun_tI7is_trueIfEEEEEE10hipError_tPvRmT3_T4_T5_T6_T7_T9_mT8_P12ihipStream_tbDpT10_ENKUlT_T0_E_clISt17integral_constantIbLb1EES18_EEDaS13_S14_EUlS13_E_NS1_11comp_targetILNS1_3genE2ELNS1_11target_archE906ELNS1_3gpuE6ELNS1_3repE0EEENS1_30default_config_static_selectorELNS0_4arch9wavefront6targetE0EEEvT1_,"axG",@progbits,_ZN7rocprim17ROCPRIM_400000_NS6detail17trampoline_kernelINS0_14default_configENS1_25partition_config_selectorILNS1_17partition_subalgoE6EfNS0_10empty_typeEbEEZZNS1_14partition_implILS5_6ELb0ES3_mN6thrust23THRUST_200600_302600_NS6detail15normal_iteratorINSA_10device_ptrIfEEEEPS6_SG_NS0_5tupleIJSF_S6_EEENSH_IJSG_SG_EEES6_PlJNSB_9not_fun_tI7is_trueIfEEEEEE10hipError_tPvRmT3_T4_T5_T6_T7_T9_mT8_P12ihipStream_tbDpT10_ENKUlT_T0_E_clISt17integral_constantIbLb1EES18_EEDaS13_S14_EUlS13_E_NS1_11comp_targetILNS1_3genE2ELNS1_11target_archE906ELNS1_3gpuE6ELNS1_3repE0EEENS1_30default_config_static_selectorELNS0_4arch9wavefront6targetE0EEEvT1_,comdat
.Lfunc_end1089:
	.size	_ZN7rocprim17ROCPRIM_400000_NS6detail17trampoline_kernelINS0_14default_configENS1_25partition_config_selectorILNS1_17partition_subalgoE6EfNS0_10empty_typeEbEEZZNS1_14partition_implILS5_6ELb0ES3_mN6thrust23THRUST_200600_302600_NS6detail15normal_iteratorINSA_10device_ptrIfEEEEPS6_SG_NS0_5tupleIJSF_S6_EEENSH_IJSG_SG_EEES6_PlJNSB_9not_fun_tI7is_trueIfEEEEEE10hipError_tPvRmT3_T4_T5_T6_T7_T9_mT8_P12ihipStream_tbDpT10_ENKUlT_T0_E_clISt17integral_constantIbLb1EES18_EEDaS13_S14_EUlS13_E_NS1_11comp_targetILNS1_3genE2ELNS1_11target_archE906ELNS1_3gpuE6ELNS1_3repE0EEENS1_30default_config_static_selectorELNS0_4arch9wavefront6targetE0EEEvT1_, .Lfunc_end1089-_ZN7rocprim17ROCPRIM_400000_NS6detail17trampoline_kernelINS0_14default_configENS1_25partition_config_selectorILNS1_17partition_subalgoE6EfNS0_10empty_typeEbEEZZNS1_14partition_implILS5_6ELb0ES3_mN6thrust23THRUST_200600_302600_NS6detail15normal_iteratorINSA_10device_ptrIfEEEEPS6_SG_NS0_5tupleIJSF_S6_EEENSH_IJSG_SG_EEES6_PlJNSB_9not_fun_tI7is_trueIfEEEEEE10hipError_tPvRmT3_T4_T5_T6_T7_T9_mT8_P12ihipStream_tbDpT10_ENKUlT_T0_E_clISt17integral_constantIbLb1EES18_EEDaS13_S14_EUlS13_E_NS1_11comp_targetILNS1_3genE2ELNS1_11target_archE906ELNS1_3gpuE6ELNS1_3repE0EEENS1_30default_config_static_selectorELNS0_4arch9wavefront6targetE0EEEvT1_
                                        ; -- End function
	.set _ZN7rocprim17ROCPRIM_400000_NS6detail17trampoline_kernelINS0_14default_configENS1_25partition_config_selectorILNS1_17partition_subalgoE6EfNS0_10empty_typeEbEEZZNS1_14partition_implILS5_6ELb0ES3_mN6thrust23THRUST_200600_302600_NS6detail15normal_iteratorINSA_10device_ptrIfEEEEPS6_SG_NS0_5tupleIJSF_S6_EEENSH_IJSG_SG_EEES6_PlJNSB_9not_fun_tI7is_trueIfEEEEEE10hipError_tPvRmT3_T4_T5_T6_T7_T9_mT8_P12ihipStream_tbDpT10_ENKUlT_T0_E_clISt17integral_constantIbLb1EES18_EEDaS13_S14_EUlS13_E_NS1_11comp_targetILNS1_3genE2ELNS1_11target_archE906ELNS1_3gpuE6ELNS1_3repE0EEENS1_30default_config_static_selectorELNS0_4arch9wavefront6targetE0EEEvT1_.num_vgpr, 0
	.set _ZN7rocprim17ROCPRIM_400000_NS6detail17trampoline_kernelINS0_14default_configENS1_25partition_config_selectorILNS1_17partition_subalgoE6EfNS0_10empty_typeEbEEZZNS1_14partition_implILS5_6ELb0ES3_mN6thrust23THRUST_200600_302600_NS6detail15normal_iteratorINSA_10device_ptrIfEEEEPS6_SG_NS0_5tupleIJSF_S6_EEENSH_IJSG_SG_EEES6_PlJNSB_9not_fun_tI7is_trueIfEEEEEE10hipError_tPvRmT3_T4_T5_T6_T7_T9_mT8_P12ihipStream_tbDpT10_ENKUlT_T0_E_clISt17integral_constantIbLb1EES18_EEDaS13_S14_EUlS13_E_NS1_11comp_targetILNS1_3genE2ELNS1_11target_archE906ELNS1_3gpuE6ELNS1_3repE0EEENS1_30default_config_static_selectorELNS0_4arch9wavefront6targetE0EEEvT1_.num_agpr, 0
	.set _ZN7rocprim17ROCPRIM_400000_NS6detail17trampoline_kernelINS0_14default_configENS1_25partition_config_selectorILNS1_17partition_subalgoE6EfNS0_10empty_typeEbEEZZNS1_14partition_implILS5_6ELb0ES3_mN6thrust23THRUST_200600_302600_NS6detail15normal_iteratorINSA_10device_ptrIfEEEEPS6_SG_NS0_5tupleIJSF_S6_EEENSH_IJSG_SG_EEES6_PlJNSB_9not_fun_tI7is_trueIfEEEEEE10hipError_tPvRmT3_T4_T5_T6_T7_T9_mT8_P12ihipStream_tbDpT10_ENKUlT_T0_E_clISt17integral_constantIbLb1EES18_EEDaS13_S14_EUlS13_E_NS1_11comp_targetILNS1_3genE2ELNS1_11target_archE906ELNS1_3gpuE6ELNS1_3repE0EEENS1_30default_config_static_selectorELNS0_4arch9wavefront6targetE0EEEvT1_.numbered_sgpr, 0
	.set _ZN7rocprim17ROCPRIM_400000_NS6detail17trampoline_kernelINS0_14default_configENS1_25partition_config_selectorILNS1_17partition_subalgoE6EfNS0_10empty_typeEbEEZZNS1_14partition_implILS5_6ELb0ES3_mN6thrust23THRUST_200600_302600_NS6detail15normal_iteratorINSA_10device_ptrIfEEEEPS6_SG_NS0_5tupleIJSF_S6_EEENSH_IJSG_SG_EEES6_PlJNSB_9not_fun_tI7is_trueIfEEEEEE10hipError_tPvRmT3_T4_T5_T6_T7_T9_mT8_P12ihipStream_tbDpT10_ENKUlT_T0_E_clISt17integral_constantIbLb1EES18_EEDaS13_S14_EUlS13_E_NS1_11comp_targetILNS1_3genE2ELNS1_11target_archE906ELNS1_3gpuE6ELNS1_3repE0EEENS1_30default_config_static_selectorELNS0_4arch9wavefront6targetE0EEEvT1_.num_named_barrier, 0
	.set _ZN7rocprim17ROCPRIM_400000_NS6detail17trampoline_kernelINS0_14default_configENS1_25partition_config_selectorILNS1_17partition_subalgoE6EfNS0_10empty_typeEbEEZZNS1_14partition_implILS5_6ELb0ES3_mN6thrust23THRUST_200600_302600_NS6detail15normal_iteratorINSA_10device_ptrIfEEEEPS6_SG_NS0_5tupleIJSF_S6_EEENSH_IJSG_SG_EEES6_PlJNSB_9not_fun_tI7is_trueIfEEEEEE10hipError_tPvRmT3_T4_T5_T6_T7_T9_mT8_P12ihipStream_tbDpT10_ENKUlT_T0_E_clISt17integral_constantIbLb1EES18_EEDaS13_S14_EUlS13_E_NS1_11comp_targetILNS1_3genE2ELNS1_11target_archE906ELNS1_3gpuE6ELNS1_3repE0EEENS1_30default_config_static_selectorELNS0_4arch9wavefront6targetE0EEEvT1_.private_seg_size, 0
	.set _ZN7rocprim17ROCPRIM_400000_NS6detail17trampoline_kernelINS0_14default_configENS1_25partition_config_selectorILNS1_17partition_subalgoE6EfNS0_10empty_typeEbEEZZNS1_14partition_implILS5_6ELb0ES3_mN6thrust23THRUST_200600_302600_NS6detail15normal_iteratorINSA_10device_ptrIfEEEEPS6_SG_NS0_5tupleIJSF_S6_EEENSH_IJSG_SG_EEES6_PlJNSB_9not_fun_tI7is_trueIfEEEEEE10hipError_tPvRmT3_T4_T5_T6_T7_T9_mT8_P12ihipStream_tbDpT10_ENKUlT_T0_E_clISt17integral_constantIbLb1EES18_EEDaS13_S14_EUlS13_E_NS1_11comp_targetILNS1_3genE2ELNS1_11target_archE906ELNS1_3gpuE6ELNS1_3repE0EEENS1_30default_config_static_selectorELNS0_4arch9wavefront6targetE0EEEvT1_.uses_vcc, 0
	.set _ZN7rocprim17ROCPRIM_400000_NS6detail17trampoline_kernelINS0_14default_configENS1_25partition_config_selectorILNS1_17partition_subalgoE6EfNS0_10empty_typeEbEEZZNS1_14partition_implILS5_6ELb0ES3_mN6thrust23THRUST_200600_302600_NS6detail15normal_iteratorINSA_10device_ptrIfEEEEPS6_SG_NS0_5tupleIJSF_S6_EEENSH_IJSG_SG_EEES6_PlJNSB_9not_fun_tI7is_trueIfEEEEEE10hipError_tPvRmT3_T4_T5_T6_T7_T9_mT8_P12ihipStream_tbDpT10_ENKUlT_T0_E_clISt17integral_constantIbLb1EES18_EEDaS13_S14_EUlS13_E_NS1_11comp_targetILNS1_3genE2ELNS1_11target_archE906ELNS1_3gpuE6ELNS1_3repE0EEENS1_30default_config_static_selectorELNS0_4arch9wavefront6targetE0EEEvT1_.uses_flat_scratch, 0
	.set _ZN7rocprim17ROCPRIM_400000_NS6detail17trampoline_kernelINS0_14default_configENS1_25partition_config_selectorILNS1_17partition_subalgoE6EfNS0_10empty_typeEbEEZZNS1_14partition_implILS5_6ELb0ES3_mN6thrust23THRUST_200600_302600_NS6detail15normal_iteratorINSA_10device_ptrIfEEEEPS6_SG_NS0_5tupleIJSF_S6_EEENSH_IJSG_SG_EEES6_PlJNSB_9not_fun_tI7is_trueIfEEEEEE10hipError_tPvRmT3_T4_T5_T6_T7_T9_mT8_P12ihipStream_tbDpT10_ENKUlT_T0_E_clISt17integral_constantIbLb1EES18_EEDaS13_S14_EUlS13_E_NS1_11comp_targetILNS1_3genE2ELNS1_11target_archE906ELNS1_3gpuE6ELNS1_3repE0EEENS1_30default_config_static_selectorELNS0_4arch9wavefront6targetE0EEEvT1_.has_dyn_sized_stack, 0
	.set _ZN7rocprim17ROCPRIM_400000_NS6detail17trampoline_kernelINS0_14default_configENS1_25partition_config_selectorILNS1_17partition_subalgoE6EfNS0_10empty_typeEbEEZZNS1_14partition_implILS5_6ELb0ES3_mN6thrust23THRUST_200600_302600_NS6detail15normal_iteratorINSA_10device_ptrIfEEEEPS6_SG_NS0_5tupleIJSF_S6_EEENSH_IJSG_SG_EEES6_PlJNSB_9not_fun_tI7is_trueIfEEEEEE10hipError_tPvRmT3_T4_T5_T6_T7_T9_mT8_P12ihipStream_tbDpT10_ENKUlT_T0_E_clISt17integral_constantIbLb1EES18_EEDaS13_S14_EUlS13_E_NS1_11comp_targetILNS1_3genE2ELNS1_11target_archE906ELNS1_3gpuE6ELNS1_3repE0EEENS1_30default_config_static_selectorELNS0_4arch9wavefront6targetE0EEEvT1_.has_recursion, 0
	.set _ZN7rocprim17ROCPRIM_400000_NS6detail17trampoline_kernelINS0_14default_configENS1_25partition_config_selectorILNS1_17partition_subalgoE6EfNS0_10empty_typeEbEEZZNS1_14partition_implILS5_6ELb0ES3_mN6thrust23THRUST_200600_302600_NS6detail15normal_iteratorINSA_10device_ptrIfEEEEPS6_SG_NS0_5tupleIJSF_S6_EEENSH_IJSG_SG_EEES6_PlJNSB_9not_fun_tI7is_trueIfEEEEEE10hipError_tPvRmT3_T4_T5_T6_T7_T9_mT8_P12ihipStream_tbDpT10_ENKUlT_T0_E_clISt17integral_constantIbLb1EES18_EEDaS13_S14_EUlS13_E_NS1_11comp_targetILNS1_3genE2ELNS1_11target_archE906ELNS1_3gpuE6ELNS1_3repE0EEENS1_30default_config_static_selectorELNS0_4arch9wavefront6targetE0EEEvT1_.has_indirect_call, 0
	.section	.AMDGPU.csdata,"",@progbits
; Kernel info:
; codeLenInByte = 0
; TotalNumSgprs: 0
; NumVgprs: 0
; ScratchSize: 0
; MemoryBound: 0
; FloatMode: 240
; IeeeMode: 1
; LDSByteSize: 0 bytes/workgroup (compile time only)
; SGPRBlocks: 0
; VGPRBlocks: 0
; NumSGPRsForWavesPerEU: 1
; NumVGPRsForWavesPerEU: 1
; Occupancy: 16
; WaveLimiterHint : 0
; COMPUTE_PGM_RSRC2:SCRATCH_EN: 0
; COMPUTE_PGM_RSRC2:USER_SGPR: 2
; COMPUTE_PGM_RSRC2:TRAP_HANDLER: 0
; COMPUTE_PGM_RSRC2:TGID_X_EN: 1
; COMPUTE_PGM_RSRC2:TGID_Y_EN: 0
; COMPUTE_PGM_RSRC2:TGID_Z_EN: 0
; COMPUTE_PGM_RSRC2:TIDIG_COMP_CNT: 0
	.section	.text._ZN7rocprim17ROCPRIM_400000_NS6detail17trampoline_kernelINS0_14default_configENS1_25partition_config_selectorILNS1_17partition_subalgoE6EfNS0_10empty_typeEbEEZZNS1_14partition_implILS5_6ELb0ES3_mN6thrust23THRUST_200600_302600_NS6detail15normal_iteratorINSA_10device_ptrIfEEEEPS6_SG_NS0_5tupleIJSF_S6_EEENSH_IJSG_SG_EEES6_PlJNSB_9not_fun_tI7is_trueIfEEEEEE10hipError_tPvRmT3_T4_T5_T6_T7_T9_mT8_P12ihipStream_tbDpT10_ENKUlT_T0_E_clISt17integral_constantIbLb1EES18_EEDaS13_S14_EUlS13_E_NS1_11comp_targetILNS1_3genE10ELNS1_11target_archE1200ELNS1_3gpuE4ELNS1_3repE0EEENS1_30default_config_static_selectorELNS0_4arch9wavefront6targetE0EEEvT1_,"axG",@progbits,_ZN7rocprim17ROCPRIM_400000_NS6detail17trampoline_kernelINS0_14default_configENS1_25partition_config_selectorILNS1_17partition_subalgoE6EfNS0_10empty_typeEbEEZZNS1_14partition_implILS5_6ELb0ES3_mN6thrust23THRUST_200600_302600_NS6detail15normal_iteratorINSA_10device_ptrIfEEEEPS6_SG_NS0_5tupleIJSF_S6_EEENSH_IJSG_SG_EEES6_PlJNSB_9not_fun_tI7is_trueIfEEEEEE10hipError_tPvRmT3_T4_T5_T6_T7_T9_mT8_P12ihipStream_tbDpT10_ENKUlT_T0_E_clISt17integral_constantIbLb1EES18_EEDaS13_S14_EUlS13_E_NS1_11comp_targetILNS1_3genE10ELNS1_11target_archE1200ELNS1_3gpuE4ELNS1_3repE0EEENS1_30default_config_static_selectorELNS0_4arch9wavefront6targetE0EEEvT1_,comdat
	.protected	_ZN7rocprim17ROCPRIM_400000_NS6detail17trampoline_kernelINS0_14default_configENS1_25partition_config_selectorILNS1_17partition_subalgoE6EfNS0_10empty_typeEbEEZZNS1_14partition_implILS5_6ELb0ES3_mN6thrust23THRUST_200600_302600_NS6detail15normal_iteratorINSA_10device_ptrIfEEEEPS6_SG_NS0_5tupleIJSF_S6_EEENSH_IJSG_SG_EEES6_PlJNSB_9not_fun_tI7is_trueIfEEEEEE10hipError_tPvRmT3_T4_T5_T6_T7_T9_mT8_P12ihipStream_tbDpT10_ENKUlT_T0_E_clISt17integral_constantIbLb1EES18_EEDaS13_S14_EUlS13_E_NS1_11comp_targetILNS1_3genE10ELNS1_11target_archE1200ELNS1_3gpuE4ELNS1_3repE0EEENS1_30default_config_static_selectorELNS0_4arch9wavefront6targetE0EEEvT1_ ; -- Begin function _ZN7rocprim17ROCPRIM_400000_NS6detail17trampoline_kernelINS0_14default_configENS1_25partition_config_selectorILNS1_17partition_subalgoE6EfNS0_10empty_typeEbEEZZNS1_14partition_implILS5_6ELb0ES3_mN6thrust23THRUST_200600_302600_NS6detail15normal_iteratorINSA_10device_ptrIfEEEEPS6_SG_NS0_5tupleIJSF_S6_EEENSH_IJSG_SG_EEES6_PlJNSB_9not_fun_tI7is_trueIfEEEEEE10hipError_tPvRmT3_T4_T5_T6_T7_T9_mT8_P12ihipStream_tbDpT10_ENKUlT_T0_E_clISt17integral_constantIbLb1EES18_EEDaS13_S14_EUlS13_E_NS1_11comp_targetILNS1_3genE10ELNS1_11target_archE1200ELNS1_3gpuE4ELNS1_3repE0EEENS1_30default_config_static_selectorELNS0_4arch9wavefront6targetE0EEEvT1_
	.globl	_ZN7rocprim17ROCPRIM_400000_NS6detail17trampoline_kernelINS0_14default_configENS1_25partition_config_selectorILNS1_17partition_subalgoE6EfNS0_10empty_typeEbEEZZNS1_14partition_implILS5_6ELb0ES3_mN6thrust23THRUST_200600_302600_NS6detail15normal_iteratorINSA_10device_ptrIfEEEEPS6_SG_NS0_5tupleIJSF_S6_EEENSH_IJSG_SG_EEES6_PlJNSB_9not_fun_tI7is_trueIfEEEEEE10hipError_tPvRmT3_T4_T5_T6_T7_T9_mT8_P12ihipStream_tbDpT10_ENKUlT_T0_E_clISt17integral_constantIbLb1EES18_EEDaS13_S14_EUlS13_E_NS1_11comp_targetILNS1_3genE10ELNS1_11target_archE1200ELNS1_3gpuE4ELNS1_3repE0EEENS1_30default_config_static_selectorELNS0_4arch9wavefront6targetE0EEEvT1_
	.p2align	8
	.type	_ZN7rocprim17ROCPRIM_400000_NS6detail17trampoline_kernelINS0_14default_configENS1_25partition_config_selectorILNS1_17partition_subalgoE6EfNS0_10empty_typeEbEEZZNS1_14partition_implILS5_6ELb0ES3_mN6thrust23THRUST_200600_302600_NS6detail15normal_iteratorINSA_10device_ptrIfEEEEPS6_SG_NS0_5tupleIJSF_S6_EEENSH_IJSG_SG_EEES6_PlJNSB_9not_fun_tI7is_trueIfEEEEEE10hipError_tPvRmT3_T4_T5_T6_T7_T9_mT8_P12ihipStream_tbDpT10_ENKUlT_T0_E_clISt17integral_constantIbLb1EES18_EEDaS13_S14_EUlS13_E_NS1_11comp_targetILNS1_3genE10ELNS1_11target_archE1200ELNS1_3gpuE4ELNS1_3repE0EEENS1_30default_config_static_selectorELNS0_4arch9wavefront6targetE0EEEvT1_,@function
_ZN7rocprim17ROCPRIM_400000_NS6detail17trampoline_kernelINS0_14default_configENS1_25partition_config_selectorILNS1_17partition_subalgoE6EfNS0_10empty_typeEbEEZZNS1_14partition_implILS5_6ELb0ES3_mN6thrust23THRUST_200600_302600_NS6detail15normal_iteratorINSA_10device_ptrIfEEEEPS6_SG_NS0_5tupleIJSF_S6_EEENSH_IJSG_SG_EEES6_PlJNSB_9not_fun_tI7is_trueIfEEEEEE10hipError_tPvRmT3_T4_T5_T6_T7_T9_mT8_P12ihipStream_tbDpT10_ENKUlT_T0_E_clISt17integral_constantIbLb1EES18_EEDaS13_S14_EUlS13_E_NS1_11comp_targetILNS1_3genE10ELNS1_11target_archE1200ELNS1_3gpuE4ELNS1_3repE0EEENS1_30default_config_static_selectorELNS0_4arch9wavefront6targetE0EEEvT1_: ; @_ZN7rocprim17ROCPRIM_400000_NS6detail17trampoline_kernelINS0_14default_configENS1_25partition_config_selectorILNS1_17partition_subalgoE6EfNS0_10empty_typeEbEEZZNS1_14partition_implILS5_6ELb0ES3_mN6thrust23THRUST_200600_302600_NS6detail15normal_iteratorINSA_10device_ptrIfEEEEPS6_SG_NS0_5tupleIJSF_S6_EEENSH_IJSG_SG_EEES6_PlJNSB_9not_fun_tI7is_trueIfEEEEEE10hipError_tPvRmT3_T4_T5_T6_T7_T9_mT8_P12ihipStream_tbDpT10_ENKUlT_T0_E_clISt17integral_constantIbLb1EES18_EEDaS13_S14_EUlS13_E_NS1_11comp_targetILNS1_3genE10ELNS1_11target_archE1200ELNS1_3gpuE4ELNS1_3repE0EEENS1_30default_config_static_selectorELNS0_4arch9wavefront6targetE0EEEvT1_
; %bb.0:
	s_endpgm
	.section	.rodata,"a",@progbits
	.p2align	6, 0x0
	.amdhsa_kernel _ZN7rocprim17ROCPRIM_400000_NS6detail17trampoline_kernelINS0_14default_configENS1_25partition_config_selectorILNS1_17partition_subalgoE6EfNS0_10empty_typeEbEEZZNS1_14partition_implILS5_6ELb0ES3_mN6thrust23THRUST_200600_302600_NS6detail15normal_iteratorINSA_10device_ptrIfEEEEPS6_SG_NS0_5tupleIJSF_S6_EEENSH_IJSG_SG_EEES6_PlJNSB_9not_fun_tI7is_trueIfEEEEEE10hipError_tPvRmT3_T4_T5_T6_T7_T9_mT8_P12ihipStream_tbDpT10_ENKUlT_T0_E_clISt17integral_constantIbLb1EES18_EEDaS13_S14_EUlS13_E_NS1_11comp_targetILNS1_3genE10ELNS1_11target_archE1200ELNS1_3gpuE4ELNS1_3repE0EEENS1_30default_config_static_selectorELNS0_4arch9wavefront6targetE0EEEvT1_
		.amdhsa_group_segment_fixed_size 0
		.amdhsa_private_segment_fixed_size 0
		.amdhsa_kernarg_size 128
		.amdhsa_user_sgpr_count 2
		.amdhsa_user_sgpr_dispatch_ptr 0
		.amdhsa_user_sgpr_queue_ptr 0
		.amdhsa_user_sgpr_kernarg_segment_ptr 1
		.amdhsa_user_sgpr_dispatch_id 0
		.amdhsa_user_sgpr_private_segment_size 0
		.amdhsa_wavefront_size32 1
		.amdhsa_uses_dynamic_stack 0
		.amdhsa_enable_private_segment 0
		.amdhsa_system_sgpr_workgroup_id_x 1
		.amdhsa_system_sgpr_workgroup_id_y 0
		.amdhsa_system_sgpr_workgroup_id_z 0
		.amdhsa_system_sgpr_workgroup_info 0
		.amdhsa_system_vgpr_workitem_id 0
		.amdhsa_next_free_vgpr 1
		.amdhsa_next_free_sgpr 1
		.amdhsa_reserve_vcc 0
		.amdhsa_float_round_mode_32 0
		.amdhsa_float_round_mode_16_64 0
		.amdhsa_float_denorm_mode_32 3
		.amdhsa_float_denorm_mode_16_64 3
		.amdhsa_fp16_overflow 0
		.amdhsa_workgroup_processor_mode 1
		.amdhsa_memory_ordered 1
		.amdhsa_forward_progress 1
		.amdhsa_inst_pref_size 1
		.amdhsa_round_robin_scheduling 0
		.amdhsa_exception_fp_ieee_invalid_op 0
		.amdhsa_exception_fp_denorm_src 0
		.amdhsa_exception_fp_ieee_div_zero 0
		.amdhsa_exception_fp_ieee_overflow 0
		.amdhsa_exception_fp_ieee_underflow 0
		.amdhsa_exception_fp_ieee_inexact 0
		.amdhsa_exception_int_div_zero 0
	.end_amdhsa_kernel
	.section	.text._ZN7rocprim17ROCPRIM_400000_NS6detail17trampoline_kernelINS0_14default_configENS1_25partition_config_selectorILNS1_17partition_subalgoE6EfNS0_10empty_typeEbEEZZNS1_14partition_implILS5_6ELb0ES3_mN6thrust23THRUST_200600_302600_NS6detail15normal_iteratorINSA_10device_ptrIfEEEEPS6_SG_NS0_5tupleIJSF_S6_EEENSH_IJSG_SG_EEES6_PlJNSB_9not_fun_tI7is_trueIfEEEEEE10hipError_tPvRmT3_T4_T5_T6_T7_T9_mT8_P12ihipStream_tbDpT10_ENKUlT_T0_E_clISt17integral_constantIbLb1EES18_EEDaS13_S14_EUlS13_E_NS1_11comp_targetILNS1_3genE10ELNS1_11target_archE1200ELNS1_3gpuE4ELNS1_3repE0EEENS1_30default_config_static_selectorELNS0_4arch9wavefront6targetE0EEEvT1_,"axG",@progbits,_ZN7rocprim17ROCPRIM_400000_NS6detail17trampoline_kernelINS0_14default_configENS1_25partition_config_selectorILNS1_17partition_subalgoE6EfNS0_10empty_typeEbEEZZNS1_14partition_implILS5_6ELb0ES3_mN6thrust23THRUST_200600_302600_NS6detail15normal_iteratorINSA_10device_ptrIfEEEEPS6_SG_NS0_5tupleIJSF_S6_EEENSH_IJSG_SG_EEES6_PlJNSB_9not_fun_tI7is_trueIfEEEEEE10hipError_tPvRmT3_T4_T5_T6_T7_T9_mT8_P12ihipStream_tbDpT10_ENKUlT_T0_E_clISt17integral_constantIbLb1EES18_EEDaS13_S14_EUlS13_E_NS1_11comp_targetILNS1_3genE10ELNS1_11target_archE1200ELNS1_3gpuE4ELNS1_3repE0EEENS1_30default_config_static_selectorELNS0_4arch9wavefront6targetE0EEEvT1_,comdat
.Lfunc_end1090:
	.size	_ZN7rocprim17ROCPRIM_400000_NS6detail17trampoline_kernelINS0_14default_configENS1_25partition_config_selectorILNS1_17partition_subalgoE6EfNS0_10empty_typeEbEEZZNS1_14partition_implILS5_6ELb0ES3_mN6thrust23THRUST_200600_302600_NS6detail15normal_iteratorINSA_10device_ptrIfEEEEPS6_SG_NS0_5tupleIJSF_S6_EEENSH_IJSG_SG_EEES6_PlJNSB_9not_fun_tI7is_trueIfEEEEEE10hipError_tPvRmT3_T4_T5_T6_T7_T9_mT8_P12ihipStream_tbDpT10_ENKUlT_T0_E_clISt17integral_constantIbLb1EES18_EEDaS13_S14_EUlS13_E_NS1_11comp_targetILNS1_3genE10ELNS1_11target_archE1200ELNS1_3gpuE4ELNS1_3repE0EEENS1_30default_config_static_selectorELNS0_4arch9wavefront6targetE0EEEvT1_, .Lfunc_end1090-_ZN7rocprim17ROCPRIM_400000_NS6detail17trampoline_kernelINS0_14default_configENS1_25partition_config_selectorILNS1_17partition_subalgoE6EfNS0_10empty_typeEbEEZZNS1_14partition_implILS5_6ELb0ES3_mN6thrust23THRUST_200600_302600_NS6detail15normal_iteratorINSA_10device_ptrIfEEEEPS6_SG_NS0_5tupleIJSF_S6_EEENSH_IJSG_SG_EEES6_PlJNSB_9not_fun_tI7is_trueIfEEEEEE10hipError_tPvRmT3_T4_T5_T6_T7_T9_mT8_P12ihipStream_tbDpT10_ENKUlT_T0_E_clISt17integral_constantIbLb1EES18_EEDaS13_S14_EUlS13_E_NS1_11comp_targetILNS1_3genE10ELNS1_11target_archE1200ELNS1_3gpuE4ELNS1_3repE0EEENS1_30default_config_static_selectorELNS0_4arch9wavefront6targetE0EEEvT1_
                                        ; -- End function
	.set _ZN7rocprim17ROCPRIM_400000_NS6detail17trampoline_kernelINS0_14default_configENS1_25partition_config_selectorILNS1_17partition_subalgoE6EfNS0_10empty_typeEbEEZZNS1_14partition_implILS5_6ELb0ES3_mN6thrust23THRUST_200600_302600_NS6detail15normal_iteratorINSA_10device_ptrIfEEEEPS6_SG_NS0_5tupleIJSF_S6_EEENSH_IJSG_SG_EEES6_PlJNSB_9not_fun_tI7is_trueIfEEEEEE10hipError_tPvRmT3_T4_T5_T6_T7_T9_mT8_P12ihipStream_tbDpT10_ENKUlT_T0_E_clISt17integral_constantIbLb1EES18_EEDaS13_S14_EUlS13_E_NS1_11comp_targetILNS1_3genE10ELNS1_11target_archE1200ELNS1_3gpuE4ELNS1_3repE0EEENS1_30default_config_static_selectorELNS0_4arch9wavefront6targetE0EEEvT1_.num_vgpr, 0
	.set _ZN7rocprim17ROCPRIM_400000_NS6detail17trampoline_kernelINS0_14default_configENS1_25partition_config_selectorILNS1_17partition_subalgoE6EfNS0_10empty_typeEbEEZZNS1_14partition_implILS5_6ELb0ES3_mN6thrust23THRUST_200600_302600_NS6detail15normal_iteratorINSA_10device_ptrIfEEEEPS6_SG_NS0_5tupleIJSF_S6_EEENSH_IJSG_SG_EEES6_PlJNSB_9not_fun_tI7is_trueIfEEEEEE10hipError_tPvRmT3_T4_T5_T6_T7_T9_mT8_P12ihipStream_tbDpT10_ENKUlT_T0_E_clISt17integral_constantIbLb1EES18_EEDaS13_S14_EUlS13_E_NS1_11comp_targetILNS1_3genE10ELNS1_11target_archE1200ELNS1_3gpuE4ELNS1_3repE0EEENS1_30default_config_static_selectorELNS0_4arch9wavefront6targetE0EEEvT1_.num_agpr, 0
	.set _ZN7rocprim17ROCPRIM_400000_NS6detail17trampoline_kernelINS0_14default_configENS1_25partition_config_selectorILNS1_17partition_subalgoE6EfNS0_10empty_typeEbEEZZNS1_14partition_implILS5_6ELb0ES3_mN6thrust23THRUST_200600_302600_NS6detail15normal_iteratorINSA_10device_ptrIfEEEEPS6_SG_NS0_5tupleIJSF_S6_EEENSH_IJSG_SG_EEES6_PlJNSB_9not_fun_tI7is_trueIfEEEEEE10hipError_tPvRmT3_T4_T5_T6_T7_T9_mT8_P12ihipStream_tbDpT10_ENKUlT_T0_E_clISt17integral_constantIbLb1EES18_EEDaS13_S14_EUlS13_E_NS1_11comp_targetILNS1_3genE10ELNS1_11target_archE1200ELNS1_3gpuE4ELNS1_3repE0EEENS1_30default_config_static_selectorELNS0_4arch9wavefront6targetE0EEEvT1_.numbered_sgpr, 0
	.set _ZN7rocprim17ROCPRIM_400000_NS6detail17trampoline_kernelINS0_14default_configENS1_25partition_config_selectorILNS1_17partition_subalgoE6EfNS0_10empty_typeEbEEZZNS1_14partition_implILS5_6ELb0ES3_mN6thrust23THRUST_200600_302600_NS6detail15normal_iteratorINSA_10device_ptrIfEEEEPS6_SG_NS0_5tupleIJSF_S6_EEENSH_IJSG_SG_EEES6_PlJNSB_9not_fun_tI7is_trueIfEEEEEE10hipError_tPvRmT3_T4_T5_T6_T7_T9_mT8_P12ihipStream_tbDpT10_ENKUlT_T0_E_clISt17integral_constantIbLb1EES18_EEDaS13_S14_EUlS13_E_NS1_11comp_targetILNS1_3genE10ELNS1_11target_archE1200ELNS1_3gpuE4ELNS1_3repE0EEENS1_30default_config_static_selectorELNS0_4arch9wavefront6targetE0EEEvT1_.num_named_barrier, 0
	.set _ZN7rocprim17ROCPRIM_400000_NS6detail17trampoline_kernelINS0_14default_configENS1_25partition_config_selectorILNS1_17partition_subalgoE6EfNS0_10empty_typeEbEEZZNS1_14partition_implILS5_6ELb0ES3_mN6thrust23THRUST_200600_302600_NS6detail15normal_iteratorINSA_10device_ptrIfEEEEPS6_SG_NS0_5tupleIJSF_S6_EEENSH_IJSG_SG_EEES6_PlJNSB_9not_fun_tI7is_trueIfEEEEEE10hipError_tPvRmT3_T4_T5_T6_T7_T9_mT8_P12ihipStream_tbDpT10_ENKUlT_T0_E_clISt17integral_constantIbLb1EES18_EEDaS13_S14_EUlS13_E_NS1_11comp_targetILNS1_3genE10ELNS1_11target_archE1200ELNS1_3gpuE4ELNS1_3repE0EEENS1_30default_config_static_selectorELNS0_4arch9wavefront6targetE0EEEvT1_.private_seg_size, 0
	.set _ZN7rocprim17ROCPRIM_400000_NS6detail17trampoline_kernelINS0_14default_configENS1_25partition_config_selectorILNS1_17partition_subalgoE6EfNS0_10empty_typeEbEEZZNS1_14partition_implILS5_6ELb0ES3_mN6thrust23THRUST_200600_302600_NS6detail15normal_iteratorINSA_10device_ptrIfEEEEPS6_SG_NS0_5tupleIJSF_S6_EEENSH_IJSG_SG_EEES6_PlJNSB_9not_fun_tI7is_trueIfEEEEEE10hipError_tPvRmT3_T4_T5_T6_T7_T9_mT8_P12ihipStream_tbDpT10_ENKUlT_T0_E_clISt17integral_constantIbLb1EES18_EEDaS13_S14_EUlS13_E_NS1_11comp_targetILNS1_3genE10ELNS1_11target_archE1200ELNS1_3gpuE4ELNS1_3repE0EEENS1_30default_config_static_selectorELNS0_4arch9wavefront6targetE0EEEvT1_.uses_vcc, 0
	.set _ZN7rocprim17ROCPRIM_400000_NS6detail17trampoline_kernelINS0_14default_configENS1_25partition_config_selectorILNS1_17partition_subalgoE6EfNS0_10empty_typeEbEEZZNS1_14partition_implILS5_6ELb0ES3_mN6thrust23THRUST_200600_302600_NS6detail15normal_iteratorINSA_10device_ptrIfEEEEPS6_SG_NS0_5tupleIJSF_S6_EEENSH_IJSG_SG_EEES6_PlJNSB_9not_fun_tI7is_trueIfEEEEEE10hipError_tPvRmT3_T4_T5_T6_T7_T9_mT8_P12ihipStream_tbDpT10_ENKUlT_T0_E_clISt17integral_constantIbLb1EES18_EEDaS13_S14_EUlS13_E_NS1_11comp_targetILNS1_3genE10ELNS1_11target_archE1200ELNS1_3gpuE4ELNS1_3repE0EEENS1_30default_config_static_selectorELNS0_4arch9wavefront6targetE0EEEvT1_.uses_flat_scratch, 0
	.set _ZN7rocprim17ROCPRIM_400000_NS6detail17trampoline_kernelINS0_14default_configENS1_25partition_config_selectorILNS1_17partition_subalgoE6EfNS0_10empty_typeEbEEZZNS1_14partition_implILS5_6ELb0ES3_mN6thrust23THRUST_200600_302600_NS6detail15normal_iteratorINSA_10device_ptrIfEEEEPS6_SG_NS0_5tupleIJSF_S6_EEENSH_IJSG_SG_EEES6_PlJNSB_9not_fun_tI7is_trueIfEEEEEE10hipError_tPvRmT3_T4_T5_T6_T7_T9_mT8_P12ihipStream_tbDpT10_ENKUlT_T0_E_clISt17integral_constantIbLb1EES18_EEDaS13_S14_EUlS13_E_NS1_11comp_targetILNS1_3genE10ELNS1_11target_archE1200ELNS1_3gpuE4ELNS1_3repE0EEENS1_30default_config_static_selectorELNS0_4arch9wavefront6targetE0EEEvT1_.has_dyn_sized_stack, 0
	.set _ZN7rocprim17ROCPRIM_400000_NS6detail17trampoline_kernelINS0_14default_configENS1_25partition_config_selectorILNS1_17partition_subalgoE6EfNS0_10empty_typeEbEEZZNS1_14partition_implILS5_6ELb0ES3_mN6thrust23THRUST_200600_302600_NS6detail15normal_iteratorINSA_10device_ptrIfEEEEPS6_SG_NS0_5tupleIJSF_S6_EEENSH_IJSG_SG_EEES6_PlJNSB_9not_fun_tI7is_trueIfEEEEEE10hipError_tPvRmT3_T4_T5_T6_T7_T9_mT8_P12ihipStream_tbDpT10_ENKUlT_T0_E_clISt17integral_constantIbLb1EES18_EEDaS13_S14_EUlS13_E_NS1_11comp_targetILNS1_3genE10ELNS1_11target_archE1200ELNS1_3gpuE4ELNS1_3repE0EEENS1_30default_config_static_selectorELNS0_4arch9wavefront6targetE0EEEvT1_.has_recursion, 0
	.set _ZN7rocprim17ROCPRIM_400000_NS6detail17trampoline_kernelINS0_14default_configENS1_25partition_config_selectorILNS1_17partition_subalgoE6EfNS0_10empty_typeEbEEZZNS1_14partition_implILS5_6ELb0ES3_mN6thrust23THRUST_200600_302600_NS6detail15normal_iteratorINSA_10device_ptrIfEEEEPS6_SG_NS0_5tupleIJSF_S6_EEENSH_IJSG_SG_EEES6_PlJNSB_9not_fun_tI7is_trueIfEEEEEE10hipError_tPvRmT3_T4_T5_T6_T7_T9_mT8_P12ihipStream_tbDpT10_ENKUlT_T0_E_clISt17integral_constantIbLb1EES18_EEDaS13_S14_EUlS13_E_NS1_11comp_targetILNS1_3genE10ELNS1_11target_archE1200ELNS1_3gpuE4ELNS1_3repE0EEENS1_30default_config_static_selectorELNS0_4arch9wavefront6targetE0EEEvT1_.has_indirect_call, 0
	.section	.AMDGPU.csdata,"",@progbits
; Kernel info:
; codeLenInByte = 4
; TotalNumSgprs: 0
; NumVgprs: 0
; ScratchSize: 0
; MemoryBound: 0
; FloatMode: 240
; IeeeMode: 1
; LDSByteSize: 0 bytes/workgroup (compile time only)
; SGPRBlocks: 0
; VGPRBlocks: 0
; NumSGPRsForWavesPerEU: 1
; NumVGPRsForWavesPerEU: 1
; Occupancy: 16
; WaveLimiterHint : 0
; COMPUTE_PGM_RSRC2:SCRATCH_EN: 0
; COMPUTE_PGM_RSRC2:USER_SGPR: 2
; COMPUTE_PGM_RSRC2:TRAP_HANDLER: 0
; COMPUTE_PGM_RSRC2:TGID_X_EN: 1
; COMPUTE_PGM_RSRC2:TGID_Y_EN: 0
; COMPUTE_PGM_RSRC2:TGID_Z_EN: 0
; COMPUTE_PGM_RSRC2:TIDIG_COMP_CNT: 0
	.section	.text._ZN7rocprim17ROCPRIM_400000_NS6detail17trampoline_kernelINS0_14default_configENS1_25partition_config_selectorILNS1_17partition_subalgoE6EfNS0_10empty_typeEbEEZZNS1_14partition_implILS5_6ELb0ES3_mN6thrust23THRUST_200600_302600_NS6detail15normal_iteratorINSA_10device_ptrIfEEEEPS6_SG_NS0_5tupleIJSF_S6_EEENSH_IJSG_SG_EEES6_PlJNSB_9not_fun_tI7is_trueIfEEEEEE10hipError_tPvRmT3_T4_T5_T6_T7_T9_mT8_P12ihipStream_tbDpT10_ENKUlT_T0_E_clISt17integral_constantIbLb1EES18_EEDaS13_S14_EUlS13_E_NS1_11comp_targetILNS1_3genE9ELNS1_11target_archE1100ELNS1_3gpuE3ELNS1_3repE0EEENS1_30default_config_static_selectorELNS0_4arch9wavefront6targetE0EEEvT1_,"axG",@progbits,_ZN7rocprim17ROCPRIM_400000_NS6detail17trampoline_kernelINS0_14default_configENS1_25partition_config_selectorILNS1_17partition_subalgoE6EfNS0_10empty_typeEbEEZZNS1_14partition_implILS5_6ELb0ES3_mN6thrust23THRUST_200600_302600_NS6detail15normal_iteratorINSA_10device_ptrIfEEEEPS6_SG_NS0_5tupleIJSF_S6_EEENSH_IJSG_SG_EEES6_PlJNSB_9not_fun_tI7is_trueIfEEEEEE10hipError_tPvRmT3_T4_T5_T6_T7_T9_mT8_P12ihipStream_tbDpT10_ENKUlT_T0_E_clISt17integral_constantIbLb1EES18_EEDaS13_S14_EUlS13_E_NS1_11comp_targetILNS1_3genE9ELNS1_11target_archE1100ELNS1_3gpuE3ELNS1_3repE0EEENS1_30default_config_static_selectorELNS0_4arch9wavefront6targetE0EEEvT1_,comdat
	.protected	_ZN7rocprim17ROCPRIM_400000_NS6detail17trampoline_kernelINS0_14default_configENS1_25partition_config_selectorILNS1_17partition_subalgoE6EfNS0_10empty_typeEbEEZZNS1_14partition_implILS5_6ELb0ES3_mN6thrust23THRUST_200600_302600_NS6detail15normal_iteratorINSA_10device_ptrIfEEEEPS6_SG_NS0_5tupleIJSF_S6_EEENSH_IJSG_SG_EEES6_PlJNSB_9not_fun_tI7is_trueIfEEEEEE10hipError_tPvRmT3_T4_T5_T6_T7_T9_mT8_P12ihipStream_tbDpT10_ENKUlT_T0_E_clISt17integral_constantIbLb1EES18_EEDaS13_S14_EUlS13_E_NS1_11comp_targetILNS1_3genE9ELNS1_11target_archE1100ELNS1_3gpuE3ELNS1_3repE0EEENS1_30default_config_static_selectorELNS0_4arch9wavefront6targetE0EEEvT1_ ; -- Begin function _ZN7rocprim17ROCPRIM_400000_NS6detail17trampoline_kernelINS0_14default_configENS1_25partition_config_selectorILNS1_17partition_subalgoE6EfNS0_10empty_typeEbEEZZNS1_14partition_implILS5_6ELb0ES3_mN6thrust23THRUST_200600_302600_NS6detail15normal_iteratorINSA_10device_ptrIfEEEEPS6_SG_NS0_5tupleIJSF_S6_EEENSH_IJSG_SG_EEES6_PlJNSB_9not_fun_tI7is_trueIfEEEEEE10hipError_tPvRmT3_T4_T5_T6_T7_T9_mT8_P12ihipStream_tbDpT10_ENKUlT_T0_E_clISt17integral_constantIbLb1EES18_EEDaS13_S14_EUlS13_E_NS1_11comp_targetILNS1_3genE9ELNS1_11target_archE1100ELNS1_3gpuE3ELNS1_3repE0EEENS1_30default_config_static_selectorELNS0_4arch9wavefront6targetE0EEEvT1_
	.globl	_ZN7rocprim17ROCPRIM_400000_NS6detail17trampoline_kernelINS0_14default_configENS1_25partition_config_selectorILNS1_17partition_subalgoE6EfNS0_10empty_typeEbEEZZNS1_14partition_implILS5_6ELb0ES3_mN6thrust23THRUST_200600_302600_NS6detail15normal_iteratorINSA_10device_ptrIfEEEEPS6_SG_NS0_5tupleIJSF_S6_EEENSH_IJSG_SG_EEES6_PlJNSB_9not_fun_tI7is_trueIfEEEEEE10hipError_tPvRmT3_T4_T5_T6_T7_T9_mT8_P12ihipStream_tbDpT10_ENKUlT_T0_E_clISt17integral_constantIbLb1EES18_EEDaS13_S14_EUlS13_E_NS1_11comp_targetILNS1_3genE9ELNS1_11target_archE1100ELNS1_3gpuE3ELNS1_3repE0EEENS1_30default_config_static_selectorELNS0_4arch9wavefront6targetE0EEEvT1_
	.p2align	8
	.type	_ZN7rocprim17ROCPRIM_400000_NS6detail17trampoline_kernelINS0_14default_configENS1_25partition_config_selectorILNS1_17partition_subalgoE6EfNS0_10empty_typeEbEEZZNS1_14partition_implILS5_6ELb0ES3_mN6thrust23THRUST_200600_302600_NS6detail15normal_iteratorINSA_10device_ptrIfEEEEPS6_SG_NS0_5tupleIJSF_S6_EEENSH_IJSG_SG_EEES6_PlJNSB_9not_fun_tI7is_trueIfEEEEEE10hipError_tPvRmT3_T4_T5_T6_T7_T9_mT8_P12ihipStream_tbDpT10_ENKUlT_T0_E_clISt17integral_constantIbLb1EES18_EEDaS13_S14_EUlS13_E_NS1_11comp_targetILNS1_3genE9ELNS1_11target_archE1100ELNS1_3gpuE3ELNS1_3repE0EEENS1_30default_config_static_selectorELNS0_4arch9wavefront6targetE0EEEvT1_,@function
_ZN7rocprim17ROCPRIM_400000_NS6detail17trampoline_kernelINS0_14default_configENS1_25partition_config_selectorILNS1_17partition_subalgoE6EfNS0_10empty_typeEbEEZZNS1_14partition_implILS5_6ELb0ES3_mN6thrust23THRUST_200600_302600_NS6detail15normal_iteratorINSA_10device_ptrIfEEEEPS6_SG_NS0_5tupleIJSF_S6_EEENSH_IJSG_SG_EEES6_PlJNSB_9not_fun_tI7is_trueIfEEEEEE10hipError_tPvRmT3_T4_T5_T6_T7_T9_mT8_P12ihipStream_tbDpT10_ENKUlT_T0_E_clISt17integral_constantIbLb1EES18_EEDaS13_S14_EUlS13_E_NS1_11comp_targetILNS1_3genE9ELNS1_11target_archE1100ELNS1_3gpuE3ELNS1_3repE0EEENS1_30default_config_static_selectorELNS0_4arch9wavefront6targetE0EEEvT1_: ; @_ZN7rocprim17ROCPRIM_400000_NS6detail17trampoline_kernelINS0_14default_configENS1_25partition_config_selectorILNS1_17partition_subalgoE6EfNS0_10empty_typeEbEEZZNS1_14partition_implILS5_6ELb0ES3_mN6thrust23THRUST_200600_302600_NS6detail15normal_iteratorINSA_10device_ptrIfEEEEPS6_SG_NS0_5tupleIJSF_S6_EEENSH_IJSG_SG_EEES6_PlJNSB_9not_fun_tI7is_trueIfEEEEEE10hipError_tPvRmT3_T4_T5_T6_T7_T9_mT8_P12ihipStream_tbDpT10_ENKUlT_T0_E_clISt17integral_constantIbLb1EES18_EEDaS13_S14_EUlS13_E_NS1_11comp_targetILNS1_3genE9ELNS1_11target_archE1100ELNS1_3gpuE3ELNS1_3repE0EEENS1_30default_config_static_selectorELNS0_4arch9wavefront6targetE0EEEvT1_
; %bb.0:
	.section	.rodata,"a",@progbits
	.p2align	6, 0x0
	.amdhsa_kernel _ZN7rocprim17ROCPRIM_400000_NS6detail17trampoline_kernelINS0_14default_configENS1_25partition_config_selectorILNS1_17partition_subalgoE6EfNS0_10empty_typeEbEEZZNS1_14partition_implILS5_6ELb0ES3_mN6thrust23THRUST_200600_302600_NS6detail15normal_iteratorINSA_10device_ptrIfEEEEPS6_SG_NS0_5tupleIJSF_S6_EEENSH_IJSG_SG_EEES6_PlJNSB_9not_fun_tI7is_trueIfEEEEEE10hipError_tPvRmT3_T4_T5_T6_T7_T9_mT8_P12ihipStream_tbDpT10_ENKUlT_T0_E_clISt17integral_constantIbLb1EES18_EEDaS13_S14_EUlS13_E_NS1_11comp_targetILNS1_3genE9ELNS1_11target_archE1100ELNS1_3gpuE3ELNS1_3repE0EEENS1_30default_config_static_selectorELNS0_4arch9wavefront6targetE0EEEvT1_
		.amdhsa_group_segment_fixed_size 0
		.amdhsa_private_segment_fixed_size 0
		.amdhsa_kernarg_size 128
		.amdhsa_user_sgpr_count 2
		.amdhsa_user_sgpr_dispatch_ptr 0
		.amdhsa_user_sgpr_queue_ptr 0
		.amdhsa_user_sgpr_kernarg_segment_ptr 1
		.amdhsa_user_sgpr_dispatch_id 0
		.amdhsa_user_sgpr_private_segment_size 0
		.amdhsa_wavefront_size32 1
		.amdhsa_uses_dynamic_stack 0
		.amdhsa_enable_private_segment 0
		.amdhsa_system_sgpr_workgroup_id_x 1
		.amdhsa_system_sgpr_workgroup_id_y 0
		.amdhsa_system_sgpr_workgroup_id_z 0
		.amdhsa_system_sgpr_workgroup_info 0
		.amdhsa_system_vgpr_workitem_id 0
		.amdhsa_next_free_vgpr 1
		.amdhsa_next_free_sgpr 1
		.amdhsa_reserve_vcc 0
		.amdhsa_float_round_mode_32 0
		.amdhsa_float_round_mode_16_64 0
		.amdhsa_float_denorm_mode_32 3
		.amdhsa_float_denorm_mode_16_64 3
		.amdhsa_fp16_overflow 0
		.amdhsa_workgroup_processor_mode 1
		.amdhsa_memory_ordered 1
		.amdhsa_forward_progress 1
		.amdhsa_inst_pref_size 0
		.amdhsa_round_robin_scheduling 0
		.amdhsa_exception_fp_ieee_invalid_op 0
		.amdhsa_exception_fp_denorm_src 0
		.amdhsa_exception_fp_ieee_div_zero 0
		.amdhsa_exception_fp_ieee_overflow 0
		.amdhsa_exception_fp_ieee_underflow 0
		.amdhsa_exception_fp_ieee_inexact 0
		.amdhsa_exception_int_div_zero 0
	.end_amdhsa_kernel
	.section	.text._ZN7rocprim17ROCPRIM_400000_NS6detail17trampoline_kernelINS0_14default_configENS1_25partition_config_selectorILNS1_17partition_subalgoE6EfNS0_10empty_typeEbEEZZNS1_14partition_implILS5_6ELb0ES3_mN6thrust23THRUST_200600_302600_NS6detail15normal_iteratorINSA_10device_ptrIfEEEEPS6_SG_NS0_5tupleIJSF_S6_EEENSH_IJSG_SG_EEES6_PlJNSB_9not_fun_tI7is_trueIfEEEEEE10hipError_tPvRmT3_T4_T5_T6_T7_T9_mT8_P12ihipStream_tbDpT10_ENKUlT_T0_E_clISt17integral_constantIbLb1EES18_EEDaS13_S14_EUlS13_E_NS1_11comp_targetILNS1_3genE9ELNS1_11target_archE1100ELNS1_3gpuE3ELNS1_3repE0EEENS1_30default_config_static_selectorELNS0_4arch9wavefront6targetE0EEEvT1_,"axG",@progbits,_ZN7rocprim17ROCPRIM_400000_NS6detail17trampoline_kernelINS0_14default_configENS1_25partition_config_selectorILNS1_17partition_subalgoE6EfNS0_10empty_typeEbEEZZNS1_14partition_implILS5_6ELb0ES3_mN6thrust23THRUST_200600_302600_NS6detail15normal_iteratorINSA_10device_ptrIfEEEEPS6_SG_NS0_5tupleIJSF_S6_EEENSH_IJSG_SG_EEES6_PlJNSB_9not_fun_tI7is_trueIfEEEEEE10hipError_tPvRmT3_T4_T5_T6_T7_T9_mT8_P12ihipStream_tbDpT10_ENKUlT_T0_E_clISt17integral_constantIbLb1EES18_EEDaS13_S14_EUlS13_E_NS1_11comp_targetILNS1_3genE9ELNS1_11target_archE1100ELNS1_3gpuE3ELNS1_3repE0EEENS1_30default_config_static_selectorELNS0_4arch9wavefront6targetE0EEEvT1_,comdat
.Lfunc_end1091:
	.size	_ZN7rocprim17ROCPRIM_400000_NS6detail17trampoline_kernelINS0_14default_configENS1_25partition_config_selectorILNS1_17partition_subalgoE6EfNS0_10empty_typeEbEEZZNS1_14partition_implILS5_6ELb0ES3_mN6thrust23THRUST_200600_302600_NS6detail15normal_iteratorINSA_10device_ptrIfEEEEPS6_SG_NS0_5tupleIJSF_S6_EEENSH_IJSG_SG_EEES6_PlJNSB_9not_fun_tI7is_trueIfEEEEEE10hipError_tPvRmT3_T4_T5_T6_T7_T9_mT8_P12ihipStream_tbDpT10_ENKUlT_T0_E_clISt17integral_constantIbLb1EES18_EEDaS13_S14_EUlS13_E_NS1_11comp_targetILNS1_3genE9ELNS1_11target_archE1100ELNS1_3gpuE3ELNS1_3repE0EEENS1_30default_config_static_selectorELNS0_4arch9wavefront6targetE0EEEvT1_, .Lfunc_end1091-_ZN7rocprim17ROCPRIM_400000_NS6detail17trampoline_kernelINS0_14default_configENS1_25partition_config_selectorILNS1_17partition_subalgoE6EfNS0_10empty_typeEbEEZZNS1_14partition_implILS5_6ELb0ES3_mN6thrust23THRUST_200600_302600_NS6detail15normal_iteratorINSA_10device_ptrIfEEEEPS6_SG_NS0_5tupleIJSF_S6_EEENSH_IJSG_SG_EEES6_PlJNSB_9not_fun_tI7is_trueIfEEEEEE10hipError_tPvRmT3_T4_T5_T6_T7_T9_mT8_P12ihipStream_tbDpT10_ENKUlT_T0_E_clISt17integral_constantIbLb1EES18_EEDaS13_S14_EUlS13_E_NS1_11comp_targetILNS1_3genE9ELNS1_11target_archE1100ELNS1_3gpuE3ELNS1_3repE0EEENS1_30default_config_static_selectorELNS0_4arch9wavefront6targetE0EEEvT1_
                                        ; -- End function
	.set _ZN7rocprim17ROCPRIM_400000_NS6detail17trampoline_kernelINS0_14default_configENS1_25partition_config_selectorILNS1_17partition_subalgoE6EfNS0_10empty_typeEbEEZZNS1_14partition_implILS5_6ELb0ES3_mN6thrust23THRUST_200600_302600_NS6detail15normal_iteratorINSA_10device_ptrIfEEEEPS6_SG_NS0_5tupleIJSF_S6_EEENSH_IJSG_SG_EEES6_PlJNSB_9not_fun_tI7is_trueIfEEEEEE10hipError_tPvRmT3_T4_T5_T6_T7_T9_mT8_P12ihipStream_tbDpT10_ENKUlT_T0_E_clISt17integral_constantIbLb1EES18_EEDaS13_S14_EUlS13_E_NS1_11comp_targetILNS1_3genE9ELNS1_11target_archE1100ELNS1_3gpuE3ELNS1_3repE0EEENS1_30default_config_static_selectorELNS0_4arch9wavefront6targetE0EEEvT1_.num_vgpr, 0
	.set _ZN7rocprim17ROCPRIM_400000_NS6detail17trampoline_kernelINS0_14default_configENS1_25partition_config_selectorILNS1_17partition_subalgoE6EfNS0_10empty_typeEbEEZZNS1_14partition_implILS5_6ELb0ES3_mN6thrust23THRUST_200600_302600_NS6detail15normal_iteratorINSA_10device_ptrIfEEEEPS6_SG_NS0_5tupleIJSF_S6_EEENSH_IJSG_SG_EEES6_PlJNSB_9not_fun_tI7is_trueIfEEEEEE10hipError_tPvRmT3_T4_T5_T6_T7_T9_mT8_P12ihipStream_tbDpT10_ENKUlT_T0_E_clISt17integral_constantIbLb1EES18_EEDaS13_S14_EUlS13_E_NS1_11comp_targetILNS1_3genE9ELNS1_11target_archE1100ELNS1_3gpuE3ELNS1_3repE0EEENS1_30default_config_static_selectorELNS0_4arch9wavefront6targetE0EEEvT1_.num_agpr, 0
	.set _ZN7rocprim17ROCPRIM_400000_NS6detail17trampoline_kernelINS0_14default_configENS1_25partition_config_selectorILNS1_17partition_subalgoE6EfNS0_10empty_typeEbEEZZNS1_14partition_implILS5_6ELb0ES3_mN6thrust23THRUST_200600_302600_NS6detail15normal_iteratorINSA_10device_ptrIfEEEEPS6_SG_NS0_5tupleIJSF_S6_EEENSH_IJSG_SG_EEES6_PlJNSB_9not_fun_tI7is_trueIfEEEEEE10hipError_tPvRmT3_T4_T5_T6_T7_T9_mT8_P12ihipStream_tbDpT10_ENKUlT_T0_E_clISt17integral_constantIbLb1EES18_EEDaS13_S14_EUlS13_E_NS1_11comp_targetILNS1_3genE9ELNS1_11target_archE1100ELNS1_3gpuE3ELNS1_3repE0EEENS1_30default_config_static_selectorELNS0_4arch9wavefront6targetE0EEEvT1_.numbered_sgpr, 0
	.set _ZN7rocprim17ROCPRIM_400000_NS6detail17trampoline_kernelINS0_14default_configENS1_25partition_config_selectorILNS1_17partition_subalgoE6EfNS0_10empty_typeEbEEZZNS1_14partition_implILS5_6ELb0ES3_mN6thrust23THRUST_200600_302600_NS6detail15normal_iteratorINSA_10device_ptrIfEEEEPS6_SG_NS0_5tupleIJSF_S6_EEENSH_IJSG_SG_EEES6_PlJNSB_9not_fun_tI7is_trueIfEEEEEE10hipError_tPvRmT3_T4_T5_T6_T7_T9_mT8_P12ihipStream_tbDpT10_ENKUlT_T0_E_clISt17integral_constantIbLb1EES18_EEDaS13_S14_EUlS13_E_NS1_11comp_targetILNS1_3genE9ELNS1_11target_archE1100ELNS1_3gpuE3ELNS1_3repE0EEENS1_30default_config_static_selectorELNS0_4arch9wavefront6targetE0EEEvT1_.num_named_barrier, 0
	.set _ZN7rocprim17ROCPRIM_400000_NS6detail17trampoline_kernelINS0_14default_configENS1_25partition_config_selectorILNS1_17partition_subalgoE6EfNS0_10empty_typeEbEEZZNS1_14partition_implILS5_6ELb0ES3_mN6thrust23THRUST_200600_302600_NS6detail15normal_iteratorINSA_10device_ptrIfEEEEPS6_SG_NS0_5tupleIJSF_S6_EEENSH_IJSG_SG_EEES6_PlJNSB_9not_fun_tI7is_trueIfEEEEEE10hipError_tPvRmT3_T4_T5_T6_T7_T9_mT8_P12ihipStream_tbDpT10_ENKUlT_T0_E_clISt17integral_constantIbLb1EES18_EEDaS13_S14_EUlS13_E_NS1_11comp_targetILNS1_3genE9ELNS1_11target_archE1100ELNS1_3gpuE3ELNS1_3repE0EEENS1_30default_config_static_selectorELNS0_4arch9wavefront6targetE0EEEvT1_.private_seg_size, 0
	.set _ZN7rocprim17ROCPRIM_400000_NS6detail17trampoline_kernelINS0_14default_configENS1_25partition_config_selectorILNS1_17partition_subalgoE6EfNS0_10empty_typeEbEEZZNS1_14partition_implILS5_6ELb0ES3_mN6thrust23THRUST_200600_302600_NS6detail15normal_iteratorINSA_10device_ptrIfEEEEPS6_SG_NS0_5tupleIJSF_S6_EEENSH_IJSG_SG_EEES6_PlJNSB_9not_fun_tI7is_trueIfEEEEEE10hipError_tPvRmT3_T4_T5_T6_T7_T9_mT8_P12ihipStream_tbDpT10_ENKUlT_T0_E_clISt17integral_constantIbLb1EES18_EEDaS13_S14_EUlS13_E_NS1_11comp_targetILNS1_3genE9ELNS1_11target_archE1100ELNS1_3gpuE3ELNS1_3repE0EEENS1_30default_config_static_selectorELNS0_4arch9wavefront6targetE0EEEvT1_.uses_vcc, 0
	.set _ZN7rocprim17ROCPRIM_400000_NS6detail17trampoline_kernelINS0_14default_configENS1_25partition_config_selectorILNS1_17partition_subalgoE6EfNS0_10empty_typeEbEEZZNS1_14partition_implILS5_6ELb0ES3_mN6thrust23THRUST_200600_302600_NS6detail15normal_iteratorINSA_10device_ptrIfEEEEPS6_SG_NS0_5tupleIJSF_S6_EEENSH_IJSG_SG_EEES6_PlJNSB_9not_fun_tI7is_trueIfEEEEEE10hipError_tPvRmT3_T4_T5_T6_T7_T9_mT8_P12ihipStream_tbDpT10_ENKUlT_T0_E_clISt17integral_constantIbLb1EES18_EEDaS13_S14_EUlS13_E_NS1_11comp_targetILNS1_3genE9ELNS1_11target_archE1100ELNS1_3gpuE3ELNS1_3repE0EEENS1_30default_config_static_selectorELNS0_4arch9wavefront6targetE0EEEvT1_.uses_flat_scratch, 0
	.set _ZN7rocprim17ROCPRIM_400000_NS6detail17trampoline_kernelINS0_14default_configENS1_25partition_config_selectorILNS1_17partition_subalgoE6EfNS0_10empty_typeEbEEZZNS1_14partition_implILS5_6ELb0ES3_mN6thrust23THRUST_200600_302600_NS6detail15normal_iteratorINSA_10device_ptrIfEEEEPS6_SG_NS0_5tupleIJSF_S6_EEENSH_IJSG_SG_EEES6_PlJNSB_9not_fun_tI7is_trueIfEEEEEE10hipError_tPvRmT3_T4_T5_T6_T7_T9_mT8_P12ihipStream_tbDpT10_ENKUlT_T0_E_clISt17integral_constantIbLb1EES18_EEDaS13_S14_EUlS13_E_NS1_11comp_targetILNS1_3genE9ELNS1_11target_archE1100ELNS1_3gpuE3ELNS1_3repE0EEENS1_30default_config_static_selectorELNS0_4arch9wavefront6targetE0EEEvT1_.has_dyn_sized_stack, 0
	.set _ZN7rocprim17ROCPRIM_400000_NS6detail17trampoline_kernelINS0_14default_configENS1_25partition_config_selectorILNS1_17partition_subalgoE6EfNS0_10empty_typeEbEEZZNS1_14partition_implILS5_6ELb0ES3_mN6thrust23THRUST_200600_302600_NS6detail15normal_iteratorINSA_10device_ptrIfEEEEPS6_SG_NS0_5tupleIJSF_S6_EEENSH_IJSG_SG_EEES6_PlJNSB_9not_fun_tI7is_trueIfEEEEEE10hipError_tPvRmT3_T4_T5_T6_T7_T9_mT8_P12ihipStream_tbDpT10_ENKUlT_T0_E_clISt17integral_constantIbLb1EES18_EEDaS13_S14_EUlS13_E_NS1_11comp_targetILNS1_3genE9ELNS1_11target_archE1100ELNS1_3gpuE3ELNS1_3repE0EEENS1_30default_config_static_selectorELNS0_4arch9wavefront6targetE0EEEvT1_.has_recursion, 0
	.set _ZN7rocprim17ROCPRIM_400000_NS6detail17trampoline_kernelINS0_14default_configENS1_25partition_config_selectorILNS1_17partition_subalgoE6EfNS0_10empty_typeEbEEZZNS1_14partition_implILS5_6ELb0ES3_mN6thrust23THRUST_200600_302600_NS6detail15normal_iteratorINSA_10device_ptrIfEEEEPS6_SG_NS0_5tupleIJSF_S6_EEENSH_IJSG_SG_EEES6_PlJNSB_9not_fun_tI7is_trueIfEEEEEE10hipError_tPvRmT3_T4_T5_T6_T7_T9_mT8_P12ihipStream_tbDpT10_ENKUlT_T0_E_clISt17integral_constantIbLb1EES18_EEDaS13_S14_EUlS13_E_NS1_11comp_targetILNS1_3genE9ELNS1_11target_archE1100ELNS1_3gpuE3ELNS1_3repE0EEENS1_30default_config_static_selectorELNS0_4arch9wavefront6targetE0EEEvT1_.has_indirect_call, 0
	.section	.AMDGPU.csdata,"",@progbits
; Kernel info:
; codeLenInByte = 0
; TotalNumSgprs: 0
; NumVgprs: 0
; ScratchSize: 0
; MemoryBound: 0
; FloatMode: 240
; IeeeMode: 1
; LDSByteSize: 0 bytes/workgroup (compile time only)
; SGPRBlocks: 0
; VGPRBlocks: 0
; NumSGPRsForWavesPerEU: 1
; NumVGPRsForWavesPerEU: 1
; Occupancy: 16
; WaveLimiterHint : 0
; COMPUTE_PGM_RSRC2:SCRATCH_EN: 0
; COMPUTE_PGM_RSRC2:USER_SGPR: 2
; COMPUTE_PGM_RSRC2:TRAP_HANDLER: 0
; COMPUTE_PGM_RSRC2:TGID_X_EN: 1
; COMPUTE_PGM_RSRC2:TGID_Y_EN: 0
; COMPUTE_PGM_RSRC2:TGID_Z_EN: 0
; COMPUTE_PGM_RSRC2:TIDIG_COMP_CNT: 0
	.section	.text._ZN7rocprim17ROCPRIM_400000_NS6detail17trampoline_kernelINS0_14default_configENS1_25partition_config_selectorILNS1_17partition_subalgoE6EfNS0_10empty_typeEbEEZZNS1_14partition_implILS5_6ELb0ES3_mN6thrust23THRUST_200600_302600_NS6detail15normal_iteratorINSA_10device_ptrIfEEEEPS6_SG_NS0_5tupleIJSF_S6_EEENSH_IJSG_SG_EEES6_PlJNSB_9not_fun_tI7is_trueIfEEEEEE10hipError_tPvRmT3_T4_T5_T6_T7_T9_mT8_P12ihipStream_tbDpT10_ENKUlT_T0_E_clISt17integral_constantIbLb1EES18_EEDaS13_S14_EUlS13_E_NS1_11comp_targetILNS1_3genE8ELNS1_11target_archE1030ELNS1_3gpuE2ELNS1_3repE0EEENS1_30default_config_static_selectorELNS0_4arch9wavefront6targetE0EEEvT1_,"axG",@progbits,_ZN7rocprim17ROCPRIM_400000_NS6detail17trampoline_kernelINS0_14default_configENS1_25partition_config_selectorILNS1_17partition_subalgoE6EfNS0_10empty_typeEbEEZZNS1_14partition_implILS5_6ELb0ES3_mN6thrust23THRUST_200600_302600_NS6detail15normal_iteratorINSA_10device_ptrIfEEEEPS6_SG_NS0_5tupleIJSF_S6_EEENSH_IJSG_SG_EEES6_PlJNSB_9not_fun_tI7is_trueIfEEEEEE10hipError_tPvRmT3_T4_T5_T6_T7_T9_mT8_P12ihipStream_tbDpT10_ENKUlT_T0_E_clISt17integral_constantIbLb1EES18_EEDaS13_S14_EUlS13_E_NS1_11comp_targetILNS1_3genE8ELNS1_11target_archE1030ELNS1_3gpuE2ELNS1_3repE0EEENS1_30default_config_static_selectorELNS0_4arch9wavefront6targetE0EEEvT1_,comdat
	.protected	_ZN7rocprim17ROCPRIM_400000_NS6detail17trampoline_kernelINS0_14default_configENS1_25partition_config_selectorILNS1_17partition_subalgoE6EfNS0_10empty_typeEbEEZZNS1_14partition_implILS5_6ELb0ES3_mN6thrust23THRUST_200600_302600_NS6detail15normal_iteratorINSA_10device_ptrIfEEEEPS6_SG_NS0_5tupleIJSF_S6_EEENSH_IJSG_SG_EEES6_PlJNSB_9not_fun_tI7is_trueIfEEEEEE10hipError_tPvRmT3_T4_T5_T6_T7_T9_mT8_P12ihipStream_tbDpT10_ENKUlT_T0_E_clISt17integral_constantIbLb1EES18_EEDaS13_S14_EUlS13_E_NS1_11comp_targetILNS1_3genE8ELNS1_11target_archE1030ELNS1_3gpuE2ELNS1_3repE0EEENS1_30default_config_static_selectorELNS0_4arch9wavefront6targetE0EEEvT1_ ; -- Begin function _ZN7rocprim17ROCPRIM_400000_NS6detail17trampoline_kernelINS0_14default_configENS1_25partition_config_selectorILNS1_17partition_subalgoE6EfNS0_10empty_typeEbEEZZNS1_14partition_implILS5_6ELb0ES3_mN6thrust23THRUST_200600_302600_NS6detail15normal_iteratorINSA_10device_ptrIfEEEEPS6_SG_NS0_5tupleIJSF_S6_EEENSH_IJSG_SG_EEES6_PlJNSB_9not_fun_tI7is_trueIfEEEEEE10hipError_tPvRmT3_T4_T5_T6_T7_T9_mT8_P12ihipStream_tbDpT10_ENKUlT_T0_E_clISt17integral_constantIbLb1EES18_EEDaS13_S14_EUlS13_E_NS1_11comp_targetILNS1_3genE8ELNS1_11target_archE1030ELNS1_3gpuE2ELNS1_3repE0EEENS1_30default_config_static_selectorELNS0_4arch9wavefront6targetE0EEEvT1_
	.globl	_ZN7rocprim17ROCPRIM_400000_NS6detail17trampoline_kernelINS0_14default_configENS1_25partition_config_selectorILNS1_17partition_subalgoE6EfNS0_10empty_typeEbEEZZNS1_14partition_implILS5_6ELb0ES3_mN6thrust23THRUST_200600_302600_NS6detail15normal_iteratorINSA_10device_ptrIfEEEEPS6_SG_NS0_5tupleIJSF_S6_EEENSH_IJSG_SG_EEES6_PlJNSB_9not_fun_tI7is_trueIfEEEEEE10hipError_tPvRmT3_T4_T5_T6_T7_T9_mT8_P12ihipStream_tbDpT10_ENKUlT_T0_E_clISt17integral_constantIbLb1EES18_EEDaS13_S14_EUlS13_E_NS1_11comp_targetILNS1_3genE8ELNS1_11target_archE1030ELNS1_3gpuE2ELNS1_3repE0EEENS1_30default_config_static_selectorELNS0_4arch9wavefront6targetE0EEEvT1_
	.p2align	8
	.type	_ZN7rocprim17ROCPRIM_400000_NS6detail17trampoline_kernelINS0_14default_configENS1_25partition_config_selectorILNS1_17partition_subalgoE6EfNS0_10empty_typeEbEEZZNS1_14partition_implILS5_6ELb0ES3_mN6thrust23THRUST_200600_302600_NS6detail15normal_iteratorINSA_10device_ptrIfEEEEPS6_SG_NS0_5tupleIJSF_S6_EEENSH_IJSG_SG_EEES6_PlJNSB_9not_fun_tI7is_trueIfEEEEEE10hipError_tPvRmT3_T4_T5_T6_T7_T9_mT8_P12ihipStream_tbDpT10_ENKUlT_T0_E_clISt17integral_constantIbLb1EES18_EEDaS13_S14_EUlS13_E_NS1_11comp_targetILNS1_3genE8ELNS1_11target_archE1030ELNS1_3gpuE2ELNS1_3repE0EEENS1_30default_config_static_selectorELNS0_4arch9wavefront6targetE0EEEvT1_,@function
_ZN7rocprim17ROCPRIM_400000_NS6detail17trampoline_kernelINS0_14default_configENS1_25partition_config_selectorILNS1_17partition_subalgoE6EfNS0_10empty_typeEbEEZZNS1_14partition_implILS5_6ELb0ES3_mN6thrust23THRUST_200600_302600_NS6detail15normal_iteratorINSA_10device_ptrIfEEEEPS6_SG_NS0_5tupleIJSF_S6_EEENSH_IJSG_SG_EEES6_PlJNSB_9not_fun_tI7is_trueIfEEEEEE10hipError_tPvRmT3_T4_T5_T6_T7_T9_mT8_P12ihipStream_tbDpT10_ENKUlT_T0_E_clISt17integral_constantIbLb1EES18_EEDaS13_S14_EUlS13_E_NS1_11comp_targetILNS1_3genE8ELNS1_11target_archE1030ELNS1_3gpuE2ELNS1_3repE0EEENS1_30default_config_static_selectorELNS0_4arch9wavefront6targetE0EEEvT1_: ; @_ZN7rocprim17ROCPRIM_400000_NS6detail17trampoline_kernelINS0_14default_configENS1_25partition_config_selectorILNS1_17partition_subalgoE6EfNS0_10empty_typeEbEEZZNS1_14partition_implILS5_6ELb0ES3_mN6thrust23THRUST_200600_302600_NS6detail15normal_iteratorINSA_10device_ptrIfEEEEPS6_SG_NS0_5tupleIJSF_S6_EEENSH_IJSG_SG_EEES6_PlJNSB_9not_fun_tI7is_trueIfEEEEEE10hipError_tPvRmT3_T4_T5_T6_T7_T9_mT8_P12ihipStream_tbDpT10_ENKUlT_T0_E_clISt17integral_constantIbLb1EES18_EEDaS13_S14_EUlS13_E_NS1_11comp_targetILNS1_3genE8ELNS1_11target_archE1030ELNS1_3gpuE2ELNS1_3repE0EEENS1_30default_config_static_selectorELNS0_4arch9wavefront6targetE0EEEvT1_
; %bb.0:
	.section	.rodata,"a",@progbits
	.p2align	6, 0x0
	.amdhsa_kernel _ZN7rocprim17ROCPRIM_400000_NS6detail17trampoline_kernelINS0_14default_configENS1_25partition_config_selectorILNS1_17partition_subalgoE6EfNS0_10empty_typeEbEEZZNS1_14partition_implILS5_6ELb0ES3_mN6thrust23THRUST_200600_302600_NS6detail15normal_iteratorINSA_10device_ptrIfEEEEPS6_SG_NS0_5tupleIJSF_S6_EEENSH_IJSG_SG_EEES6_PlJNSB_9not_fun_tI7is_trueIfEEEEEE10hipError_tPvRmT3_T4_T5_T6_T7_T9_mT8_P12ihipStream_tbDpT10_ENKUlT_T0_E_clISt17integral_constantIbLb1EES18_EEDaS13_S14_EUlS13_E_NS1_11comp_targetILNS1_3genE8ELNS1_11target_archE1030ELNS1_3gpuE2ELNS1_3repE0EEENS1_30default_config_static_selectorELNS0_4arch9wavefront6targetE0EEEvT1_
		.amdhsa_group_segment_fixed_size 0
		.amdhsa_private_segment_fixed_size 0
		.amdhsa_kernarg_size 128
		.amdhsa_user_sgpr_count 2
		.amdhsa_user_sgpr_dispatch_ptr 0
		.amdhsa_user_sgpr_queue_ptr 0
		.amdhsa_user_sgpr_kernarg_segment_ptr 1
		.amdhsa_user_sgpr_dispatch_id 0
		.amdhsa_user_sgpr_private_segment_size 0
		.amdhsa_wavefront_size32 1
		.amdhsa_uses_dynamic_stack 0
		.amdhsa_enable_private_segment 0
		.amdhsa_system_sgpr_workgroup_id_x 1
		.amdhsa_system_sgpr_workgroup_id_y 0
		.amdhsa_system_sgpr_workgroup_id_z 0
		.amdhsa_system_sgpr_workgroup_info 0
		.amdhsa_system_vgpr_workitem_id 0
		.amdhsa_next_free_vgpr 1
		.amdhsa_next_free_sgpr 1
		.amdhsa_reserve_vcc 0
		.amdhsa_float_round_mode_32 0
		.amdhsa_float_round_mode_16_64 0
		.amdhsa_float_denorm_mode_32 3
		.amdhsa_float_denorm_mode_16_64 3
		.amdhsa_fp16_overflow 0
		.amdhsa_workgroup_processor_mode 1
		.amdhsa_memory_ordered 1
		.amdhsa_forward_progress 1
		.amdhsa_inst_pref_size 0
		.amdhsa_round_robin_scheduling 0
		.amdhsa_exception_fp_ieee_invalid_op 0
		.amdhsa_exception_fp_denorm_src 0
		.amdhsa_exception_fp_ieee_div_zero 0
		.amdhsa_exception_fp_ieee_overflow 0
		.amdhsa_exception_fp_ieee_underflow 0
		.amdhsa_exception_fp_ieee_inexact 0
		.amdhsa_exception_int_div_zero 0
	.end_amdhsa_kernel
	.section	.text._ZN7rocprim17ROCPRIM_400000_NS6detail17trampoline_kernelINS0_14default_configENS1_25partition_config_selectorILNS1_17partition_subalgoE6EfNS0_10empty_typeEbEEZZNS1_14partition_implILS5_6ELb0ES3_mN6thrust23THRUST_200600_302600_NS6detail15normal_iteratorINSA_10device_ptrIfEEEEPS6_SG_NS0_5tupleIJSF_S6_EEENSH_IJSG_SG_EEES6_PlJNSB_9not_fun_tI7is_trueIfEEEEEE10hipError_tPvRmT3_T4_T5_T6_T7_T9_mT8_P12ihipStream_tbDpT10_ENKUlT_T0_E_clISt17integral_constantIbLb1EES18_EEDaS13_S14_EUlS13_E_NS1_11comp_targetILNS1_3genE8ELNS1_11target_archE1030ELNS1_3gpuE2ELNS1_3repE0EEENS1_30default_config_static_selectorELNS0_4arch9wavefront6targetE0EEEvT1_,"axG",@progbits,_ZN7rocprim17ROCPRIM_400000_NS6detail17trampoline_kernelINS0_14default_configENS1_25partition_config_selectorILNS1_17partition_subalgoE6EfNS0_10empty_typeEbEEZZNS1_14partition_implILS5_6ELb0ES3_mN6thrust23THRUST_200600_302600_NS6detail15normal_iteratorINSA_10device_ptrIfEEEEPS6_SG_NS0_5tupleIJSF_S6_EEENSH_IJSG_SG_EEES6_PlJNSB_9not_fun_tI7is_trueIfEEEEEE10hipError_tPvRmT3_T4_T5_T6_T7_T9_mT8_P12ihipStream_tbDpT10_ENKUlT_T0_E_clISt17integral_constantIbLb1EES18_EEDaS13_S14_EUlS13_E_NS1_11comp_targetILNS1_3genE8ELNS1_11target_archE1030ELNS1_3gpuE2ELNS1_3repE0EEENS1_30default_config_static_selectorELNS0_4arch9wavefront6targetE0EEEvT1_,comdat
.Lfunc_end1092:
	.size	_ZN7rocprim17ROCPRIM_400000_NS6detail17trampoline_kernelINS0_14default_configENS1_25partition_config_selectorILNS1_17partition_subalgoE6EfNS0_10empty_typeEbEEZZNS1_14partition_implILS5_6ELb0ES3_mN6thrust23THRUST_200600_302600_NS6detail15normal_iteratorINSA_10device_ptrIfEEEEPS6_SG_NS0_5tupleIJSF_S6_EEENSH_IJSG_SG_EEES6_PlJNSB_9not_fun_tI7is_trueIfEEEEEE10hipError_tPvRmT3_T4_T5_T6_T7_T9_mT8_P12ihipStream_tbDpT10_ENKUlT_T0_E_clISt17integral_constantIbLb1EES18_EEDaS13_S14_EUlS13_E_NS1_11comp_targetILNS1_3genE8ELNS1_11target_archE1030ELNS1_3gpuE2ELNS1_3repE0EEENS1_30default_config_static_selectorELNS0_4arch9wavefront6targetE0EEEvT1_, .Lfunc_end1092-_ZN7rocprim17ROCPRIM_400000_NS6detail17trampoline_kernelINS0_14default_configENS1_25partition_config_selectorILNS1_17partition_subalgoE6EfNS0_10empty_typeEbEEZZNS1_14partition_implILS5_6ELb0ES3_mN6thrust23THRUST_200600_302600_NS6detail15normal_iteratorINSA_10device_ptrIfEEEEPS6_SG_NS0_5tupleIJSF_S6_EEENSH_IJSG_SG_EEES6_PlJNSB_9not_fun_tI7is_trueIfEEEEEE10hipError_tPvRmT3_T4_T5_T6_T7_T9_mT8_P12ihipStream_tbDpT10_ENKUlT_T0_E_clISt17integral_constantIbLb1EES18_EEDaS13_S14_EUlS13_E_NS1_11comp_targetILNS1_3genE8ELNS1_11target_archE1030ELNS1_3gpuE2ELNS1_3repE0EEENS1_30default_config_static_selectorELNS0_4arch9wavefront6targetE0EEEvT1_
                                        ; -- End function
	.set _ZN7rocprim17ROCPRIM_400000_NS6detail17trampoline_kernelINS0_14default_configENS1_25partition_config_selectorILNS1_17partition_subalgoE6EfNS0_10empty_typeEbEEZZNS1_14partition_implILS5_6ELb0ES3_mN6thrust23THRUST_200600_302600_NS6detail15normal_iteratorINSA_10device_ptrIfEEEEPS6_SG_NS0_5tupleIJSF_S6_EEENSH_IJSG_SG_EEES6_PlJNSB_9not_fun_tI7is_trueIfEEEEEE10hipError_tPvRmT3_T4_T5_T6_T7_T9_mT8_P12ihipStream_tbDpT10_ENKUlT_T0_E_clISt17integral_constantIbLb1EES18_EEDaS13_S14_EUlS13_E_NS1_11comp_targetILNS1_3genE8ELNS1_11target_archE1030ELNS1_3gpuE2ELNS1_3repE0EEENS1_30default_config_static_selectorELNS0_4arch9wavefront6targetE0EEEvT1_.num_vgpr, 0
	.set _ZN7rocprim17ROCPRIM_400000_NS6detail17trampoline_kernelINS0_14default_configENS1_25partition_config_selectorILNS1_17partition_subalgoE6EfNS0_10empty_typeEbEEZZNS1_14partition_implILS5_6ELb0ES3_mN6thrust23THRUST_200600_302600_NS6detail15normal_iteratorINSA_10device_ptrIfEEEEPS6_SG_NS0_5tupleIJSF_S6_EEENSH_IJSG_SG_EEES6_PlJNSB_9not_fun_tI7is_trueIfEEEEEE10hipError_tPvRmT3_T4_T5_T6_T7_T9_mT8_P12ihipStream_tbDpT10_ENKUlT_T0_E_clISt17integral_constantIbLb1EES18_EEDaS13_S14_EUlS13_E_NS1_11comp_targetILNS1_3genE8ELNS1_11target_archE1030ELNS1_3gpuE2ELNS1_3repE0EEENS1_30default_config_static_selectorELNS0_4arch9wavefront6targetE0EEEvT1_.num_agpr, 0
	.set _ZN7rocprim17ROCPRIM_400000_NS6detail17trampoline_kernelINS0_14default_configENS1_25partition_config_selectorILNS1_17partition_subalgoE6EfNS0_10empty_typeEbEEZZNS1_14partition_implILS5_6ELb0ES3_mN6thrust23THRUST_200600_302600_NS6detail15normal_iteratorINSA_10device_ptrIfEEEEPS6_SG_NS0_5tupleIJSF_S6_EEENSH_IJSG_SG_EEES6_PlJNSB_9not_fun_tI7is_trueIfEEEEEE10hipError_tPvRmT3_T4_T5_T6_T7_T9_mT8_P12ihipStream_tbDpT10_ENKUlT_T0_E_clISt17integral_constantIbLb1EES18_EEDaS13_S14_EUlS13_E_NS1_11comp_targetILNS1_3genE8ELNS1_11target_archE1030ELNS1_3gpuE2ELNS1_3repE0EEENS1_30default_config_static_selectorELNS0_4arch9wavefront6targetE0EEEvT1_.numbered_sgpr, 0
	.set _ZN7rocprim17ROCPRIM_400000_NS6detail17trampoline_kernelINS0_14default_configENS1_25partition_config_selectorILNS1_17partition_subalgoE6EfNS0_10empty_typeEbEEZZNS1_14partition_implILS5_6ELb0ES3_mN6thrust23THRUST_200600_302600_NS6detail15normal_iteratorINSA_10device_ptrIfEEEEPS6_SG_NS0_5tupleIJSF_S6_EEENSH_IJSG_SG_EEES6_PlJNSB_9not_fun_tI7is_trueIfEEEEEE10hipError_tPvRmT3_T4_T5_T6_T7_T9_mT8_P12ihipStream_tbDpT10_ENKUlT_T0_E_clISt17integral_constantIbLb1EES18_EEDaS13_S14_EUlS13_E_NS1_11comp_targetILNS1_3genE8ELNS1_11target_archE1030ELNS1_3gpuE2ELNS1_3repE0EEENS1_30default_config_static_selectorELNS0_4arch9wavefront6targetE0EEEvT1_.num_named_barrier, 0
	.set _ZN7rocprim17ROCPRIM_400000_NS6detail17trampoline_kernelINS0_14default_configENS1_25partition_config_selectorILNS1_17partition_subalgoE6EfNS0_10empty_typeEbEEZZNS1_14partition_implILS5_6ELb0ES3_mN6thrust23THRUST_200600_302600_NS6detail15normal_iteratorINSA_10device_ptrIfEEEEPS6_SG_NS0_5tupleIJSF_S6_EEENSH_IJSG_SG_EEES6_PlJNSB_9not_fun_tI7is_trueIfEEEEEE10hipError_tPvRmT3_T4_T5_T6_T7_T9_mT8_P12ihipStream_tbDpT10_ENKUlT_T0_E_clISt17integral_constantIbLb1EES18_EEDaS13_S14_EUlS13_E_NS1_11comp_targetILNS1_3genE8ELNS1_11target_archE1030ELNS1_3gpuE2ELNS1_3repE0EEENS1_30default_config_static_selectorELNS0_4arch9wavefront6targetE0EEEvT1_.private_seg_size, 0
	.set _ZN7rocprim17ROCPRIM_400000_NS6detail17trampoline_kernelINS0_14default_configENS1_25partition_config_selectorILNS1_17partition_subalgoE6EfNS0_10empty_typeEbEEZZNS1_14partition_implILS5_6ELb0ES3_mN6thrust23THRUST_200600_302600_NS6detail15normal_iteratorINSA_10device_ptrIfEEEEPS6_SG_NS0_5tupleIJSF_S6_EEENSH_IJSG_SG_EEES6_PlJNSB_9not_fun_tI7is_trueIfEEEEEE10hipError_tPvRmT3_T4_T5_T6_T7_T9_mT8_P12ihipStream_tbDpT10_ENKUlT_T0_E_clISt17integral_constantIbLb1EES18_EEDaS13_S14_EUlS13_E_NS1_11comp_targetILNS1_3genE8ELNS1_11target_archE1030ELNS1_3gpuE2ELNS1_3repE0EEENS1_30default_config_static_selectorELNS0_4arch9wavefront6targetE0EEEvT1_.uses_vcc, 0
	.set _ZN7rocprim17ROCPRIM_400000_NS6detail17trampoline_kernelINS0_14default_configENS1_25partition_config_selectorILNS1_17partition_subalgoE6EfNS0_10empty_typeEbEEZZNS1_14partition_implILS5_6ELb0ES3_mN6thrust23THRUST_200600_302600_NS6detail15normal_iteratorINSA_10device_ptrIfEEEEPS6_SG_NS0_5tupleIJSF_S6_EEENSH_IJSG_SG_EEES6_PlJNSB_9not_fun_tI7is_trueIfEEEEEE10hipError_tPvRmT3_T4_T5_T6_T7_T9_mT8_P12ihipStream_tbDpT10_ENKUlT_T0_E_clISt17integral_constantIbLb1EES18_EEDaS13_S14_EUlS13_E_NS1_11comp_targetILNS1_3genE8ELNS1_11target_archE1030ELNS1_3gpuE2ELNS1_3repE0EEENS1_30default_config_static_selectorELNS0_4arch9wavefront6targetE0EEEvT1_.uses_flat_scratch, 0
	.set _ZN7rocprim17ROCPRIM_400000_NS6detail17trampoline_kernelINS0_14default_configENS1_25partition_config_selectorILNS1_17partition_subalgoE6EfNS0_10empty_typeEbEEZZNS1_14partition_implILS5_6ELb0ES3_mN6thrust23THRUST_200600_302600_NS6detail15normal_iteratorINSA_10device_ptrIfEEEEPS6_SG_NS0_5tupleIJSF_S6_EEENSH_IJSG_SG_EEES6_PlJNSB_9not_fun_tI7is_trueIfEEEEEE10hipError_tPvRmT3_T4_T5_T6_T7_T9_mT8_P12ihipStream_tbDpT10_ENKUlT_T0_E_clISt17integral_constantIbLb1EES18_EEDaS13_S14_EUlS13_E_NS1_11comp_targetILNS1_3genE8ELNS1_11target_archE1030ELNS1_3gpuE2ELNS1_3repE0EEENS1_30default_config_static_selectorELNS0_4arch9wavefront6targetE0EEEvT1_.has_dyn_sized_stack, 0
	.set _ZN7rocprim17ROCPRIM_400000_NS6detail17trampoline_kernelINS0_14default_configENS1_25partition_config_selectorILNS1_17partition_subalgoE6EfNS0_10empty_typeEbEEZZNS1_14partition_implILS5_6ELb0ES3_mN6thrust23THRUST_200600_302600_NS6detail15normal_iteratorINSA_10device_ptrIfEEEEPS6_SG_NS0_5tupleIJSF_S6_EEENSH_IJSG_SG_EEES6_PlJNSB_9not_fun_tI7is_trueIfEEEEEE10hipError_tPvRmT3_T4_T5_T6_T7_T9_mT8_P12ihipStream_tbDpT10_ENKUlT_T0_E_clISt17integral_constantIbLb1EES18_EEDaS13_S14_EUlS13_E_NS1_11comp_targetILNS1_3genE8ELNS1_11target_archE1030ELNS1_3gpuE2ELNS1_3repE0EEENS1_30default_config_static_selectorELNS0_4arch9wavefront6targetE0EEEvT1_.has_recursion, 0
	.set _ZN7rocprim17ROCPRIM_400000_NS6detail17trampoline_kernelINS0_14default_configENS1_25partition_config_selectorILNS1_17partition_subalgoE6EfNS0_10empty_typeEbEEZZNS1_14partition_implILS5_6ELb0ES3_mN6thrust23THRUST_200600_302600_NS6detail15normal_iteratorINSA_10device_ptrIfEEEEPS6_SG_NS0_5tupleIJSF_S6_EEENSH_IJSG_SG_EEES6_PlJNSB_9not_fun_tI7is_trueIfEEEEEE10hipError_tPvRmT3_T4_T5_T6_T7_T9_mT8_P12ihipStream_tbDpT10_ENKUlT_T0_E_clISt17integral_constantIbLb1EES18_EEDaS13_S14_EUlS13_E_NS1_11comp_targetILNS1_3genE8ELNS1_11target_archE1030ELNS1_3gpuE2ELNS1_3repE0EEENS1_30default_config_static_selectorELNS0_4arch9wavefront6targetE0EEEvT1_.has_indirect_call, 0
	.section	.AMDGPU.csdata,"",@progbits
; Kernel info:
; codeLenInByte = 0
; TotalNumSgprs: 0
; NumVgprs: 0
; ScratchSize: 0
; MemoryBound: 0
; FloatMode: 240
; IeeeMode: 1
; LDSByteSize: 0 bytes/workgroup (compile time only)
; SGPRBlocks: 0
; VGPRBlocks: 0
; NumSGPRsForWavesPerEU: 1
; NumVGPRsForWavesPerEU: 1
; Occupancy: 16
; WaveLimiterHint : 0
; COMPUTE_PGM_RSRC2:SCRATCH_EN: 0
; COMPUTE_PGM_RSRC2:USER_SGPR: 2
; COMPUTE_PGM_RSRC2:TRAP_HANDLER: 0
; COMPUTE_PGM_RSRC2:TGID_X_EN: 1
; COMPUTE_PGM_RSRC2:TGID_Y_EN: 0
; COMPUTE_PGM_RSRC2:TGID_Z_EN: 0
; COMPUTE_PGM_RSRC2:TIDIG_COMP_CNT: 0
	.section	.text._ZN7rocprim17ROCPRIM_400000_NS6detail17trampoline_kernelINS0_14default_configENS1_25partition_config_selectorILNS1_17partition_subalgoE6EfNS0_10empty_typeEbEEZZNS1_14partition_implILS5_6ELb0ES3_mN6thrust23THRUST_200600_302600_NS6detail15normal_iteratorINSA_10device_ptrIfEEEEPS6_SG_NS0_5tupleIJSF_S6_EEENSH_IJSG_SG_EEES6_PlJNSB_9not_fun_tI7is_trueIfEEEEEE10hipError_tPvRmT3_T4_T5_T6_T7_T9_mT8_P12ihipStream_tbDpT10_ENKUlT_T0_E_clISt17integral_constantIbLb1EES17_IbLb0EEEEDaS13_S14_EUlS13_E_NS1_11comp_targetILNS1_3genE0ELNS1_11target_archE4294967295ELNS1_3gpuE0ELNS1_3repE0EEENS1_30default_config_static_selectorELNS0_4arch9wavefront6targetE0EEEvT1_,"axG",@progbits,_ZN7rocprim17ROCPRIM_400000_NS6detail17trampoline_kernelINS0_14default_configENS1_25partition_config_selectorILNS1_17partition_subalgoE6EfNS0_10empty_typeEbEEZZNS1_14partition_implILS5_6ELb0ES3_mN6thrust23THRUST_200600_302600_NS6detail15normal_iteratorINSA_10device_ptrIfEEEEPS6_SG_NS0_5tupleIJSF_S6_EEENSH_IJSG_SG_EEES6_PlJNSB_9not_fun_tI7is_trueIfEEEEEE10hipError_tPvRmT3_T4_T5_T6_T7_T9_mT8_P12ihipStream_tbDpT10_ENKUlT_T0_E_clISt17integral_constantIbLb1EES17_IbLb0EEEEDaS13_S14_EUlS13_E_NS1_11comp_targetILNS1_3genE0ELNS1_11target_archE4294967295ELNS1_3gpuE0ELNS1_3repE0EEENS1_30default_config_static_selectorELNS0_4arch9wavefront6targetE0EEEvT1_,comdat
	.protected	_ZN7rocprim17ROCPRIM_400000_NS6detail17trampoline_kernelINS0_14default_configENS1_25partition_config_selectorILNS1_17partition_subalgoE6EfNS0_10empty_typeEbEEZZNS1_14partition_implILS5_6ELb0ES3_mN6thrust23THRUST_200600_302600_NS6detail15normal_iteratorINSA_10device_ptrIfEEEEPS6_SG_NS0_5tupleIJSF_S6_EEENSH_IJSG_SG_EEES6_PlJNSB_9not_fun_tI7is_trueIfEEEEEE10hipError_tPvRmT3_T4_T5_T6_T7_T9_mT8_P12ihipStream_tbDpT10_ENKUlT_T0_E_clISt17integral_constantIbLb1EES17_IbLb0EEEEDaS13_S14_EUlS13_E_NS1_11comp_targetILNS1_3genE0ELNS1_11target_archE4294967295ELNS1_3gpuE0ELNS1_3repE0EEENS1_30default_config_static_selectorELNS0_4arch9wavefront6targetE0EEEvT1_ ; -- Begin function _ZN7rocprim17ROCPRIM_400000_NS6detail17trampoline_kernelINS0_14default_configENS1_25partition_config_selectorILNS1_17partition_subalgoE6EfNS0_10empty_typeEbEEZZNS1_14partition_implILS5_6ELb0ES3_mN6thrust23THRUST_200600_302600_NS6detail15normal_iteratorINSA_10device_ptrIfEEEEPS6_SG_NS0_5tupleIJSF_S6_EEENSH_IJSG_SG_EEES6_PlJNSB_9not_fun_tI7is_trueIfEEEEEE10hipError_tPvRmT3_T4_T5_T6_T7_T9_mT8_P12ihipStream_tbDpT10_ENKUlT_T0_E_clISt17integral_constantIbLb1EES17_IbLb0EEEEDaS13_S14_EUlS13_E_NS1_11comp_targetILNS1_3genE0ELNS1_11target_archE4294967295ELNS1_3gpuE0ELNS1_3repE0EEENS1_30default_config_static_selectorELNS0_4arch9wavefront6targetE0EEEvT1_
	.globl	_ZN7rocprim17ROCPRIM_400000_NS6detail17trampoline_kernelINS0_14default_configENS1_25partition_config_selectorILNS1_17partition_subalgoE6EfNS0_10empty_typeEbEEZZNS1_14partition_implILS5_6ELb0ES3_mN6thrust23THRUST_200600_302600_NS6detail15normal_iteratorINSA_10device_ptrIfEEEEPS6_SG_NS0_5tupleIJSF_S6_EEENSH_IJSG_SG_EEES6_PlJNSB_9not_fun_tI7is_trueIfEEEEEE10hipError_tPvRmT3_T4_T5_T6_T7_T9_mT8_P12ihipStream_tbDpT10_ENKUlT_T0_E_clISt17integral_constantIbLb1EES17_IbLb0EEEEDaS13_S14_EUlS13_E_NS1_11comp_targetILNS1_3genE0ELNS1_11target_archE4294967295ELNS1_3gpuE0ELNS1_3repE0EEENS1_30default_config_static_selectorELNS0_4arch9wavefront6targetE0EEEvT1_
	.p2align	8
	.type	_ZN7rocprim17ROCPRIM_400000_NS6detail17trampoline_kernelINS0_14default_configENS1_25partition_config_selectorILNS1_17partition_subalgoE6EfNS0_10empty_typeEbEEZZNS1_14partition_implILS5_6ELb0ES3_mN6thrust23THRUST_200600_302600_NS6detail15normal_iteratorINSA_10device_ptrIfEEEEPS6_SG_NS0_5tupleIJSF_S6_EEENSH_IJSG_SG_EEES6_PlJNSB_9not_fun_tI7is_trueIfEEEEEE10hipError_tPvRmT3_T4_T5_T6_T7_T9_mT8_P12ihipStream_tbDpT10_ENKUlT_T0_E_clISt17integral_constantIbLb1EES17_IbLb0EEEEDaS13_S14_EUlS13_E_NS1_11comp_targetILNS1_3genE0ELNS1_11target_archE4294967295ELNS1_3gpuE0ELNS1_3repE0EEENS1_30default_config_static_selectorELNS0_4arch9wavefront6targetE0EEEvT1_,@function
_ZN7rocprim17ROCPRIM_400000_NS6detail17trampoline_kernelINS0_14default_configENS1_25partition_config_selectorILNS1_17partition_subalgoE6EfNS0_10empty_typeEbEEZZNS1_14partition_implILS5_6ELb0ES3_mN6thrust23THRUST_200600_302600_NS6detail15normal_iteratorINSA_10device_ptrIfEEEEPS6_SG_NS0_5tupleIJSF_S6_EEENSH_IJSG_SG_EEES6_PlJNSB_9not_fun_tI7is_trueIfEEEEEE10hipError_tPvRmT3_T4_T5_T6_T7_T9_mT8_P12ihipStream_tbDpT10_ENKUlT_T0_E_clISt17integral_constantIbLb1EES17_IbLb0EEEEDaS13_S14_EUlS13_E_NS1_11comp_targetILNS1_3genE0ELNS1_11target_archE4294967295ELNS1_3gpuE0ELNS1_3repE0EEENS1_30default_config_static_selectorELNS0_4arch9wavefront6targetE0EEEvT1_: ; @_ZN7rocprim17ROCPRIM_400000_NS6detail17trampoline_kernelINS0_14default_configENS1_25partition_config_selectorILNS1_17partition_subalgoE6EfNS0_10empty_typeEbEEZZNS1_14partition_implILS5_6ELb0ES3_mN6thrust23THRUST_200600_302600_NS6detail15normal_iteratorINSA_10device_ptrIfEEEEPS6_SG_NS0_5tupleIJSF_S6_EEENSH_IJSG_SG_EEES6_PlJNSB_9not_fun_tI7is_trueIfEEEEEE10hipError_tPvRmT3_T4_T5_T6_T7_T9_mT8_P12ihipStream_tbDpT10_ENKUlT_T0_E_clISt17integral_constantIbLb1EES17_IbLb0EEEEDaS13_S14_EUlS13_E_NS1_11comp_targetILNS1_3genE0ELNS1_11target_archE4294967295ELNS1_3gpuE0ELNS1_3repE0EEENS1_30default_config_static_selectorELNS0_4arch9wavefront6targetE0EEEvT1_
; %bb.0:
	.section	.rodata,"a",@progbits
	.p2align	6, 0x0
	.amdhsa_kernel _ZN7rocprim17ROCPRIM_400000_NS6detail17trampoline_kernelINS0_14default_configENS1_25partition_config_selectorILNS1_17partition_subalgoE6EfNS0_10empty_typeEbEEZZNS1_14partition_implILS5_6ELb0ES3_mN6thrust23THRUST_200600_302600_NS6detail15normal_iteratorINSA_10device_ptrIfEEEEPS6_SG_NS0_5tupleIJSF_S6_EEENSH_IJSG_SG_EEES6_PlJNSB_9not_fun_tI7is_trueIfEEEEEE10hipError_tPvRmT3_T4_T5_T6_T7_T9_mT8_P12ihipStream_tbDpT10_ENKUlT_T0_E_clISt17integral_constantIbLb1EES17_IbLb0EEEEDaS13_S14_EUlS13_E_NS1_11comp_targetILNS1_3genE0ELNS1_11target_archE4294967295ELNS1_3gpuE0ELNS1_3repE0EEENS1_30default_config_static_selectorELNS0_4arch9wavefront6targetE0EEEvT1_
		.amdhsa_group_segment_fixed_size 0
		.amdhsa_private_segment_fixed_size 0
		.amdhsa_kernarg_size 112
		.amdhsa_user_sgpr_count 2
		.amdhsa_user_sgpr_dispatch_ptr 0
		.amdhsa_user_sgpr_queue_ptr 0
		.amdhsa_user_sgpr_kernarg_segment_ptr 1
		.amdhsa_user_sgpr_dispatch_id 0
		.amdhsa_user_sgpr_private_segment_size 0
		.amdhsa_wavefront_size32 1
		.amdhsa_uses_dynamic_stack 0
		.amdhsa_enable_private_segment 0
		.amdhsa_system_sgpr_workgroup_id_x 1
		.amdhsa_system_sgpr_workgroup_id_y 0
		.amdhsa_system_sgpr_workgroup_id_z 0
		.amdhsa_system_sgpr_workgroup_info 0
		.amdhsa_system_vgpr_workitem_id 0
		.amdhsa_next_free_vgpr 1
		.amdhsa_next_free_sgpr 1
		.amdhsa_reserve_vcc 0
		.amdhsa_float_round_mode_32 0
		.amdhsa_float_round_mode_16_64 0
		.amdhsa_float_denorm_mode_32 3
		.amdhsa_float_denorm_mode_16_64 3
		.amdhsa_fp16_overflow 0
		.amdhsa_workgroup_processor_mode 1
		.amdhsa_memory_ordered 1
		.amdhsa_forward_progress 1
		.amdhsa_inst_pref_size 0
		.amdhsa_round_robin_scheduling 0
		.amdhsa_exception_fp_ieee_invalid_op 0
		.amdhsa_exception_fp_denorm_src 0
		.amdhsa_exception_fp_ieee_div_zero 0
		.amdhsa_exception_fp_ieee_overflow 0
		.amdhsa_exception_fp_ieee_underflow 0
		.amdhsa_exception_fp_ieee_inexact 0
		.amdhsa_exception_int_div_zero 0
	.end_amdhsa_kernel
	.section	.text._ZN7rocprim17ROCPRIM_400000_NS6detail17trampoline_kernelINS0_14default_configENS1_25partition_config_selectorILNS1_17partition_subalgoE6EfNS0_10empty_typeEbEEZZNS1_14partition_implILS5_6ELb0ES3_mN6thrust23THRUST_200600_302600_NS6detail15normal_iteratorINSA_10device_ptrIfEEEEPS6_SG_NS0_5tupleIJSF_S6_EEENSH_IJSG_SG_EEES6_PlJNSB_9not_fun_tI7is_trueIfEEEEEE10hipError_tPvRmT3_T4_T5_T6_T7_T9_mT8_P12ihipStream_tbDpT10_ENKUlT_T0_E_clISt17integral_constantIbLb1EES17_IbLb0EEEEDaS13_S14_EUlS13_E_NS1_11comp_targetILNS1_3genE0ELNS1_11target_archE4294967295ELNS1_3gpuE0ELNS1_3repE0EEENS1_30default_config_static_selectorELNS0_4arch9wavefront6targetE0EEEvT1_,"axG",@progbits,_ZN7rocprim17ROCPRIM_400000_NS6detail17trampoline_kernelINS0_14default_configENS1_25partition_config_selectorILNS1_17partition_subalgoE6EfNS0_10empty_typeEbEEZZNS1_14partition_implILS5_6ELb0ES3_mN6thrust23THRUST_200600_302600_NS6detail15normal_iteratorINSA_10device_ptrIfEEEEPS6_SG_NS0_5tupleIJSF_S6_EEENSH_IJSG_SG_EEES6_PlJNSB_9not_fun_tI7is_trueIfEEEEEE10hipError_tPvRmT3_T4_T5_T6_T7_T9_mT8_P12ihipStream_tbDpT10_ENKUlT_T0_E_clISt17integral_constantIbLb1EES17_IbLb0EEEEDaS13_S14_EUlS13_E_NS1_11comp_targetILNS1_3genE0ELNS1_11target_archE4294967295ELNS1_3gpuE0ELNS1_3repE0EEENS1_30default_config_static_selectorELNS0_4arch9wavefront6targetE0EEEvT1_,comdat
.Lfunc_end1093:
	.size	_ZN7rocprim17ROCPRIM_400000_NS6detail17trampoline_kernelINS0_14default_configENS1_25partition_config_selectorILNS1_17partition_subalgoE6EfNS0_10empty_typeEbEEZZNS1_14partition_implILS5_6ELb0ES3_mN6thrust23THRUST_200600_302600_NS6detail15normal_iteratorINSA_10device_ptrIfEEEEPS6_SG_NS0_5tupleIJSF_S6_EEENSH_IJSG_SG_EEES6_PlJNSB_9not_fun_tI7is_trueIfEEEEEE10hipError_tPvRmT3_T4_T5_T6_T7_T9_mT8_P12ihipStream_tbDpT10_ENKUlT_T0_E_clISt17integral_constantIbLb1EES17_IbLb0EEEEDaS13_S14_EUlS13_E_NS1_11comp_targetILNS1_3genE0ELNS1_11target_archE4294967295ELNS1_3gpuE0ELNS1_3repE0EEENS1_30default_config_static_selectorELNS0_4arch9wavefront6targetE0EEEvT1_, .Lfunc_end1093-_ZN7rocprim17ROCPRIM_400000_NS6detail17trampoline_kernelINS0_14default_configENS1_25partition_config_selectorILNS1_17partition_subalgoE6EfNS0_10empty_typeEbEEZZNS1_14partition_implILS5_6ELb0ES3_mN6thrust23THRUST_200600_302600_NS6detail15normal_iteratorINSA_10device_ptrIfEEEEPS6_SG_NS0_5tupleIJSF_S6_EEENSH_IJSG_SG_EEES6_PlJNSB_9not_fun_tI7is_trueIfEEEEEE10hipError_tPvRmT3_T4_T5_T6_T7_T9_mT8_P12ihipStream_tbDpT10_ENKUlT_T0_E_clISt17integral_constantIbLb1EES17_IbLb0EEEEDaS13_S14_EUlS13_E_NS1_11comp_targetILNS1_3genE0ELNS1_11target_archE4294967295ELNS1_3gpuE0ELNS1_3repE0EEENS1_30default_config_static_selectorELNS0_4arch9wavefront6targetE0EEEvT1_
                                        ; -- End function
	.set _ZN7rocprim17ROCPRIM_400000_NS6detail17trampoline_kernelINS0_14default_configENS1_25partition_config_selectorILNS1_17partition_subalgoE6EfNS0_10empty_typeEbEEZZNS1_14partition_implILS5_6ELb0ES3_mN6thrust23THRUST_200600_302600_NS6detail15normal_iteratorINSA_10device_ptrIfEEEEPS6_SG_NS0_5tupleIJSF_S6_EEENSH_IJSG_SG_EEES6_PlJNSB_9not_fun_tI7is_trueIfEEEEEE10hipError_tPvRmT3_T4_T5_T6_T7_T9_mT8_P12ihipStream_tbDpT10_ENKUlT_T0_E_clISt17integral_constantIbLb1EES17_IbLb0EEEEDaS13_S14_EUlS13_E_NS1_11comp_targetILNS1_3genE0ELNS1_11target_archE4294967295ELNS1_3gpuE0ELNS1_3repE0EEENS1_30default_config_static_selectorELNS0_4arch9wavefront6targetE0EEEvT1_.num_vgpr, 0
	.set _ZN7rocprim17ROCPRIM_400000_NS6detail17trampoline_kernelINS0_14default_configENS1_25partition_config_selectorILNS1_17partition_subalgoE6EfNS0_10empty_typeEbEEZZNS1_14partition_implILS5_6ELb0ES3_mN6thrust23THRUST_200600_302600_NS6detail15normal_iteratorINSA_10device_ptrIfEEEEPS6_SG_NS0_5tupleIJSF_S6_EEENSH_IJSG_SG_EEES6_PlJNSB_9not_fun_tI7is_trueIfEEEEEE10hipError_tPvRmT3_T4_T5_T6_T7_T9_mT8_P12ihipStream_tbDpT10_ENKUlT_T0_E_clISt17integral_constantIbLb1EES17_IbLb0EEEEDaS13_S14_EUlS13_E_NS1_11comp_targetILNS1_3genE0ELNS1_11target_archE4294967295ELNS1_3gpuE0ELNS1_3repE0EEENS1_30default_config_static_selectorELNS0_4arch9wavefront6targetE0EEEvT1_.num_agpr, 0
	.set _ZN7rocprim17ROCPRIM_400000_NS6detail17trampoline_kernelINS0_14default_configENS1_25partition_config_selectorILNS1_17partition_subalgoE6EfNS0_10empty_typeEbEEZZNS1_14partition_implILS5_6ELb0ES3_mN6thrust23THRUST_200600_302600_NS6detail15normal_iteratorINSA_10device_ptrIfEEEEPS6_SG_NS0_5tupleIJSF_S6_EEENSH_IJSG_SG_EEES6_PlJNSB_9not_fun_tI7is_trueIfEEEEEE10hipError_tPvRmT3_T4_T5_T6_T7_T9_mT8_P12ihipStream_tbDpT10_ENKUlT_T0_E_clISt17integral_constantIbLb1EES17_IbLb0EEEEDaS13_S14_EUlS13_E_NS1_11comp_targetILNS1_3genE0ELNS1_11target_archE4294967295ELNS1_3gpuE0ELNS1_3repE0EEENS1_30default_config_static_selectorELNS0_4arch9wavefront6targetE0EEEvT1_.numbered_sgpr, 0
	.set _ZN7rocprim17ROCPRIM_400000_NS6detail17trampoline_kernelINS0_14default_configENS1_25partition_config_selectorILNS1_17partition_subalgoE6EfNS0_10empty_typeEbEEZZNS1_14partition_implILS5_6ELb0ES3_mN6thrust23THRUST_200600_302600_NS6detail15normal_iteratorINSA_10device_ptrIfEEEEPS6_SG_NS0_5tupleIJSF_S6_EEENSH_IJSG_SG_EEES6_PlJNSB_9not_fun_tI7is_trueIfEEEEEE10hipError_tPvRmT3_T4_T5_T6_T7_T9_mT8_P12ihipStream_tbDpT10_ENKUlT_T0_E_clISt17integral_constantIbLb1EES17_IbLb0EEEEDaS13_S14_EUlS13_E_NS1_11comp_targetILNS1_3genE0ELNS1_11target_archE4294967295ELNS1_3gpuE0ELNS1_3repE0EEENS1_30default_config_static_selectorELNS0_4arch9wavefront6targetE0EEEvT1_.num_named_barrier, 0
	.set _ZN7rocprim17ROCPRIM_400000_NS6detail17trampoline_kernelINS0_14default_configENS1_25partition_config_selectorILNS1_17partition_subalgoE6EfNS0_10empty_typeEbEEZZNS1_14partition_implILS5_6ELb0ES3_mN6thrust23THRUST_200600_302600_NS6detail15normal_iteratorINSA_10device_ptrIfEEEEPS6_SG_NS0_5tupleIJSF_S6_EEENSH_IJSG_SG_EEES6_PlJNSB_9not_fun_tI7is_trueIfEEEEEE10hipError_tPvRmT3_T4_T5_T6_T7_T9_mT8_P12ihipStream_tbDpT10_ENKUlT_T0_E_clISt17integral_constantIbLb1EES17_IbLb0EEEEDaS13_S14_EUlS13_E_NS1_11comp_targetILNS1_3genE0ELNS1_11target_archE4294967295ELNS1_3gpuE0ELNS1_3repE0EEENS1_30default_config_static_selectorELNS0_4arch9wavefront6targetE0EEEvT1_.private_seg_size, 0
	.set _ZN7rocprim17ROCPRIM_400000_NS6detail17trampoline_kernelINS0_14default_configENS1_25partition_config_selectorILNS1_17partition_subalgoE6EfNS0_10empty_typeEbEEZZNS1_14partition_implILS5_6ELb0ES3_mN6thrust23THRUST_200600_302600_NS6detail15normal_iteratorINSA_10device_ptrIfEEEEPS6_SG_NS0_5tupleIJSF_S6_EEENSH_IJSG_SG_EEES6_PlJNSB_9not_fun_tI7is_trueIfEEEEEE10hipError_tPvRmT3_T4_T5_T6_T7_T9_mT8_P12ihipStream_tbDpT10_ENKUlT_T0_E_clISt17integral_constantIbLb1EES17_IbLb0EEEEDaS13_S14_EUlS13_E_NS1_11comp_targetILNS1_3genE0ELNS1_11target_archE4294967295ELNS1_3gpuE0ELNS1_3repE0EEENS1_30default_config_static_selectorELNS0_4arch9wavefront6targetE0EEEvT1_.uses_vcc, 0
	.set _ZN7rocprim17ROCPRIM_400000_NS6detail17trampoline_kernelINS0_14default_configENS1_25partition_config_selectorILNS1_17partition_subalgoE6EfNS0_10empty_typeEbEEZZNS1_14partition_implILS5_6ELb0ES3_mN6thrust23THRUST_200600_302600_NS6detail15normal_iteratorINSA_10device_ptrIfEEEEPS6_SG_NS0_5tupleIJSF_S6_EEENSH_IJSG_SG_EEES6_PlJNSB_9not_fun_tI7is_trueIfEEEEEE10hipError_tPvRmT3_T4_T5_T6_T7_T9_mT8_P12ihipStream_tbDpT10_ENKUlT_T0_E_clISt17integral_constantIbLb1EES17_IbLb0EEEEDaS13_S14_EUlS13_E_NS1_11comp_targetILNS1_3genE0ELNS1_11target_archE4294967295ELNS1_3gpuE0ELNS1_3repE0EEENS1_30default_config_static_selectorELNS0_4arch9wavefront6targetE0EEEvT1_.uses_flat_scratch, 0
	.set _ZN7rocprim17ROCPRIM_400000_NS6detail17trampoline_kernelINS0_14default_configENS1_25partition_config_selectorILNS1_17partition_subalgoE6EfNS0_10empty_typeEbEEZZNS1_14partition_implILS5_6ELb0ES3_mN6thrust23THRUST_200600_302600_NS6detail15normal_iteratorINSA_10device_ptrIfEEEEPS6_SG_NS0_5tupleIJSF_S6_EEENSH_IJSG_SG_EEES6_PlJNSB_9not_fun_tI7is_trueIfEEEEEE10hipError_tPvRmT3_T4_T5_T6_T7_T9_mT8_P12ihipStream_tbDpT10_ENKUlT_T0_E_clISt17integral_constantIbLb1EES17_IbLb0EEEEDaS13_S14_EUlS13_E_NS1_11comp_targetILNS1_3genE0ELNS1_11target_archE4294967295ELNS1_3gpuE0ELNS1_3repE0EEENS1_30default_config_static_selectorELNS0_4arch9wavefront6targetE0EEEvT1_.has_dyn_sized_stack, 0
	.set _ZN7rocprim17ROCPRIM_400000_NS6detail17trampoline_kernelINS0_14default_configENS1_25partition_config_selectorILNS1_17partition_subalgoE6EfNS0_10empty_typeEbEEZZNS1_14partition_implILS5_6ELb0ES3_mN6thrust23THRUST_200600_302600_NS6detail15normal_iteratorINSA_10device_ptrIfEEEEPS6_SG_NS0_5tupleIJSF_S6_EEENSH_IJSG_SG_EEES6_PlJNSB_9not_fun_tI7is_trueIfEEEEEE10hipError_tPvRmT3_T4_T5_T6_T7_T9_mT8_P12ihipStream_tbDpT10_ENKUlT_T0_E_clISt17integral_constantIbLb1EES17_IbLb0EEEEDaS13_S14_EUlS13_E_NS1_11comp_targetILNS1_3genE0ELNS1_11target_archE4294967295ELNS1_3gpuE0ELNS1_3repE0EEENS1_30default_config_static_selectorELNS0_4arch9wavefront6targetE0EEEvT1_.has_recursion, 0
	.set _ZN7rocprim17ROCPRIM_400000_NS6detail17trampoline_kernelINS0_14default_configENS1_25partition_config_selectorILNS1_17partition_subalgoE6EfNS0_10empty_typeEbEEZZNS1_14partition_implILS5_6ELb0ES3_mN6thrust23THRUST_200600_302600_NS6detail15normal_iteratorINSA_10device_ptrIfEEEEPS6_SG_NS0_5tupleIJSF_S6_EEENSH_IJSG_SG_EEES6_PlJNSB_9not_fun_tI7is_trueIfEEEEEE10hipError_tPvRmT3_T4_T5_T6_T7_T9_mT8_P12ihipStream_tbDpT10_ENKUlT_T0_E_clISt17integral_constantIbLb1EES17_IbLb0EEEEDaS13_S14_EUlS13_E_NS1_11comp_targetILNS1_3genE0ELNS1_11target_archE4294967295ELNS1_3gpuE0ELNS1_3repE0EEENS1_30default_config_static_selectorELNS0_4arch9wavefront6targetE0EEEvT1_.has_indirect_call, 0
	.section	.AMDGPU.csdata,"",@progbits
; Kernel info:
; codeLenInByte = 0
; TotalNumSgprs: 0
; NumVgprs: 0
; ScratchSize: 0
; MemoryBound: 0
; FloatMode: 240
; IeeeMode: 1
; LDSByteSize: 0 bytes/workgroup (compile time only)
; SGPRBlocks: 0
; VGPRBlocks: 0
; NumSGPRsForWavesPerEU: 1
; NumVGPRsForWavesPerEU: 1
; Occupancy: 16
; WaveLimiterHint : 0
; COMPUTE_PGM_RSRC2:SCRATCH_EN: 0
; COMPUTE_PGM_RSRC2:USER_SGPR: 2
; COMPUTE_PGM_RSRC2:TRAP_HANDLER: 0
; COMPUTE_PGM_RSRC2:TGID_X_EN: 1
; COMPUTE_PGM_RSRC2:TGID_Y_EN: 0
; COMPUTE_PGM_RSRC2:TGID_Z_EN: 0
; COMPUTE_PGM_RSRC2:TIDIG_COMP_CNT: 0
	.section	.text._ZN7rocprim17ROCPRIM_400000_NS6detail17trampoline_kernelINS0_14default_configENS1_25partition_config_selectorILNS1_17partition_subalgoE6EfNS0_10empty_typeEbEEZZNS1_14partition_implILS5_6ELb0ES3_mN6thrust23THRUST_200600_302600_NS6detail15normal_iteratorINSA_10device_ptrIfEEEEPS6_SG_NS0_5tupleIJSF_S6_EEENSH_IJSG_SG_EEES6_PlJNSB_9not_fun_tI7is_trueIfEEEEEE10hipError_tPvRmT3_T4_T5_T6_T7_T9_mT8_P12ihipStream_tbDpT10_ENKUlT_T0_E_clISt17integral_constantIbLb1EES17_IbLb0EEEEDaS13_S14_EUlS13_E_NS1_11comp_targetILNS1_3genE5ELNS1_11target_archE942ELNS1_3gpuE9ELNS1_3repE0EEENS1_30default_config_static_selectorELNS0_4arch9wavefront6targetE0EEEvT1_,"axG",@progbits,_ZN7rocprim17ROCPRIM_400000_NS6detail17trampoline_kernelINS0_14default_configENS1_25partition_config_selectorILNS1_17partition_subalgoE6EfNS0_10empty_typeEbEEZZNS1_14partition_implILS5_6ELb0ES3_mN6thrust23THRUST_200600_302600_NS6detail15normal_iteratorINSA_10device_ptrIfEEEEPS6_SG_NS0_5tupleIJSF_S6_EEENSH_IJSG_SG_EEES6_PlJNSB_9not_fun_tI7is_trueIfEEEEEE10hipError_tPvRmT3_T4_T5_T6_T7_T9_mT8_P12ihipStream_tbDpT10_ENKUlT_T0_E_clISt17integral_constantIbLb1EES17_IbLb0EEEEDaS13_S14_EUlS13_E_NS1_11comp_targetILNS1_3genE5ELNS1_11target_archE942ELNS1_3gpuE9ELNS1_3repE0EEENS1_30default_config_static_selectorELNS0_4arch9wavefront6targetE0EEEvT1_,comdat
	.protected	_ZN7rocprim17ROCPRIM_400000_NS6detail17trampoline_kernelINS0_14default_configENS1_25partition_config_selectorILNS1_17partition_subalgoE6EfNS0_10empty_typeEbEEZZNS1_14partition_implILS5_6ELb0ES3_mN6thrust23THRUST_200600_302600_NS6detail15normal_iteratorINSA_10device_ptrIfEEEEPS6_SG_NS0_5tupleIJSF_S6_EEENSH_IJSG_SG_EEES6_PlJNSB_9not_fun_tI7is_trueIfEEEEEE10hipError_tPvRmT3_T4_T5_T6_T7_T9_mT8_P12ihipStream_tbDpT10_ENKUlT_T0_E_clISt17integral_constantIbLb1EES17_IbLb0EEEEDaS13_S14_EUlS13_E_NS1_11comp_targetILNS1_3genE5ELNS1_11target_archE942ELNS1_3gpuE9ELNS1_3repE0EEENS1_30default_config_static_selectorELNS0_4arch9wavefront6targetE0EEEvT1_ ; -- Begin function _ZN7rocprim17ROCPRIM_400000_NS6detail17trampoline_kernelINS0_14default_configENS1_25partition_config_selectorILNS1_17partition_subalgoE6EfNS0_10empty_typeEbEEZZNS1_14partition_implILS5_6ELb0ES3_mN6thrust23THRUST_200600_302600_NS6detail15normal_iteratorINSA_10device_ptrIfEEEEPS6_SG_NS0_5tupleIJSF_S6_EEENSH_IJSG_SG_EEES6_PlJNSB_9not_fun_tI7is_trueIfEEEEEE10hipError_tPvRmT3_T4_T5_T6_T7_T9_mT8_P12ihipStream_tbDpT10_ENKUlT_T0_E_clISt17integral_constantIbLb1EES17_IbLb0EEEEDaS13_S14_EUlS13_E_NS1_11comp_targetILNS1_3genE5ELNS1_11target_archE942ELNS1_3gpuE9ELNS1_3repE0EEENS1_30default_config_static_selectorELNS0_4arch9wavefront6targetE0EEEvT1_
	.globl	_ZN7rocprim17ROCPRIM_400000_NS6detail17trampoline_kernelINS0_14default_configENS1_25partition_config_selectorILNS1_17partition_subalgoE6EfNS0_10empty_typeEbEEZZNS1_14partition_implILS5_6ELb0ES3_mN6thrust23THRUST_200600_302600_NS6detail15normal_iteratorINSA_10device_ptrIfEEEEPS6_SG_NS0_5tupleIJSF_S6_EEENSH_IJSG_SG_EEES6_PlJNSB_9not_fun_tI7is_trueIfEEEEEE10hipError_tPvRmT3_T4_T5_T6_T7_T9_mT8_P12ihipStream_tbDpT10_ENKUlT_T0_E_clISt17integral_constantIbLb1EES17_IbLb0EEEEDaS13_S14_EUlS13_E_NS1_11comp_targetILNS1_3genE5ELNS1_11target_archE942ELNS1_3gpuE9ELNS1_3repE0EEENS1_30default_config_static_selectorELNS0_4arch9wavefront6targetE0EEEvT1_
	.p2align	8
	.type	_ZN7rocprim17ROCPRIM_400000_NS6detail17trampoline_kernelINS0_14default_configENS1_25partition_config_selectorILNS1_17partition_subalgoE6EfNS0_10empty_typeEbEEZZNS1_14partition_implILS5_6ELb0ES3_mN6thrust23THRUST_200600_302600_NS6detail15normal_iteratorINSA_10device_ptrIfEEEEPS6_SG_NS0_5tupleIJSF_S6_EEENSH_IJSG_SG_EEES6_PlJNSB_9not_fun_tI7is_trueIfEEEEEE10hipError_tPvRmT3_T4_T5_T6_T7_T9_mT8_P12ihipStream_tbDpT10_ENKUlT_T0_E_clISt17integral_constantIbLb1EES17_IbLb0EEEEDaS13_S14_EUlS13_E_NS1_11comp_targetILNS1_3genE5ELNS1_11target_archE942ELNS1_3gpuE9ELNS1_3repE0EEENS1_30default_config_static_selectorELNS0_4arch9wavefront6targetE0EEEvT1_,@function
_ZN7rocprim17ROCPRIM_400000_NS6detail17trampoline_kernelINS0_14default_configENS1_25partition_config_selectorILNS1_17partition_subalgoE6EfNS0_10empty_typeEbEEZZNS1_14partition_implILS5_6ELb0ES3_mN6thrust23THRUST_200600_302600_NS6detail15normal_iteratorINSA_10device_ptrIfEEEEPS6_SG_NS0_5tupleIJSF_S6_EEENSH_IJSG_SG_EEES6_PlJNSB_9not_fun_tI7is_trueIfEEEEEE10hipError_tPvRmT3_T4_T5_T6_T7_T9_mT8_P12ihipStream_tbDpT10_ENKUlT_T0_E_clISt17integral_constantIbLb1EES17_IbLb0EEEEDaS13_S14_EUlS13_E_NS1_11comp_targetILNS1_3genE5ELNS1_11target_archE942ELNS1_3gpuE9ELNS1_3repE0EEENS1_30default_config_static_selectorELNS0_4arch9wavefront6targetE0EEEvT1_: ; @_ZN7rocprim17ROCPRIM_400000_NS6detail17trampoline_kernelINS0_14default_configENS1_25partition_config_selectorILNS1_17partition_subalgoE6EfNS0_10empty_typeEbEEZZNS1_14partition_implILS5_6ELb0ES3_mN6thrust23THRUST_200600_302600_NS6detail15normal_iteratorINSA_10device_ptrIfEEEEPS6_SG_NS0_5tupleIJSF_S6_EEENSH_IJSG_SG_EEES6_PlJNSB_9not_fun_tI7is_trueIfEEEEEE10hipError_tPvRmT3_T4_T5_T6_T7_T9_mT8_P12ihipStream_tbDpT10_ENKUlT_T0_E_clISt17integral_constantIbLb1EES17_IbLb0EEEEDaS13_S14_EUlS13_E_NS1_11comp_targetILNS1_3genE5ELNS1_11target_archE942ELNS1_3gpuE9ELNS1_3repE0EEENS1_30default_config_static_selectorELNS0_4arch9wavefront6targetE0EEEvT1_
; %bb.0:
	.section	.rodata,"a",@progbits
	.p2align	6, 0x0
	.amdhsa_kernel _ZN7rocprim17ROCPRIM_400000_NS6detail17trampoline_kernelINS0_14default_configENS1_25partition_config_selectorILNS1_17partition_subalgoE6EfNS0_10empty_typeEbEEZZNS1_14partition_implILS5_6ELb0ES3_mN6thrust23THRUST_200600_302600_NS6detail15normal_iteratorINSA_10device_ptrIfEEEEPS6_SG_NS0_5tupleIJSF_S6_EEENSH_IJSG_SG_EEES6_PlJNSB_9not_fun_tI7is_trueIfEEEEEE10hipError_tPvRmT3_T4_T5_T6_T7_T9_mT8_P12ihipStream_tbDpT10_ENKUlT_T0_E_clISt17integral_constantIbLb1EES17_IbLb0EEEEDaS13_S14_EUlS13_E_NS1_11comp_targetILNS1_3genE5ELNS1_11target_archE942ELNS1_3gpuE9ELNS1_3repE0EEENS1_30default_config_static_selectorELNS0_4arch9wavefront6targetE0EEEvT1_
		.amdhsa_group_segment_fixed_size 0
		.amdhsa_private_segment_fixed_size 0
		.amdhsa_kernarg_size 112
		.amdhsa_user_sgpr_count 2
		.amdhsa_user_sgpr_dispatch_ptr 0
		.amdhsa_user_sgpr_queue_ptr 0
		.amdhsa_user_sgpr_kernarg_segment_ptr 1
		.amdhsa_user_sgpr_dispatch_id 0
		.amdhsa_user_sgpr_private_segment_size 0
		.amdhsa_wavefront_size32 1
		.amdhsa_uses_dynamic_stack 0
		.amdhsa_enable_private_segment 0
		.amdhsa_system_sgpr_workgroup_id_x 1
		.amdhsa_system_sgpr_workgroup_id_y 0
		.amdhsa_system_sgpr_workgroup_id_z 0
		.amdhsa_system_sgpr_workgroup_info 0
		.amdhsa_system_vgpr_workitem_id 0
		.amdhsa_next_free_vgpr 1
		.amdhsa_next_free_sgpr 1
		.amdhsa_reserve_vcc 0
		.amdhsa_float_round_mode_32 0
		.amdhsa_float_round_mode_16_64 0
		.amdhsa_float_denorm_mode_32 3
		.amdhsa_float_denorm_mode_16_64 3
		.amdhsa_fp16_overflow 0
		.amdhsa_workgroup_processor_mode 1
		.amdhsa_memory_ordered 1
		.amdhsa_forward_progress 1
		.amdhsa_inst_pref_size 0
		.amdhsa_round_robin_scheduling 0
		.amdhsa_exception_fp_ieee_invalid_op 0
		.amdhsa_exception_fp_denorm_src 0
		.amdhsa_exception_fp_ieee_div_zero 0
		.amdhsa_exception_fp_ieee_overflow 0
		.amdhsa_exception_fp_ieee_underflow 0
		.amdhsa_exception_fp_ieee_inexact 0
		.amdhsa_exception_int_div_zero 0
	.end_amdhsa_kernel
	.section	.text._ZN7rocprim17ROCPRIM_400000_NS6detail17trampoline_kernelINS0_14default_configENS1_25partition_config_selectorILNS1_17partition_subalgoE6EfNS0_10empty_typeEbEEZZNS1_14partition_implILS5_6ELb0ES3_mN6thrust23THRUST_200600_302600_NS6detail15normal_iteratorINSA_10device_ptrIfEEEEPS6_SG_NS0_5tupleIJSF_S6_EEENSH_IJSG_SG_EEES6_PlJNSB_9not_fun_tI7is_trueIfEEEEEE10hipError_tPvRmT3_T4_T5_T6_T7_T9_mT8_P12ihipStream_tbDpT10_ENKUlT_T0_E_clISt17integral_constantIbLb1EES17_IbLb0EEEEDaS13_S14_EUlS13_E_NS1_11comp_targetILNS1_3genE5ELNS1_11target_archE942ELNS1_3gpuE9ELNS1_3repE0EEENS1_30default_config_static_selectorELNS0_4arch9wavefront6targetE0EEEvT1_,"axG",@progbits,_ZN7rocprim17ROCPRIM_400000_NS6detail17trampoline_kernelINS0_14default_configENS1_25partition_config_selectorILNS1_17partition_subalgoE6EfNS0_10empty_typeEbEEZZNS1_14partition_implILS5_6ELb0ES3_mN6thrust23THRUST_200600_302600_NS6detail15normal_iteratorINSA_10device_ptrIfEEEEPS6_SG_NS0_5tupleIJSF_S6_EEENSH_IJSG_SG_EEES6_PlJNSB_9not_fun_tI7is_trueIfEEEEEE10hipError_tPvRmT3_T4_T5_T6_T7_T9_mT8_P12ihipStream_tbDpT10_ENKUlT_T0_E_clISt17integral_constantIbLb1EES17_IbLb0EEEEDaS13_S14_EUlS13_E_NS1_11comp_targetILNS1_3genE5ELNS1_11target_archE942ELNS1_3gpuE9ELNS1_3repE0EEENS1_30default_config_static_selectorELNS0_4arch9wavefront6targetE0EEEvT1_,comdat
.Lfunc_end1094:
	.size	_ZN7rocprim17ROCPRIM_400000_NS6detail17trampoline_kernelINS0_14default_configENS1_25partition_config_selectorILNS1_17partition_subalgoE6EfNS0_10empty_typeEbEEZZNS1_14partition_implILS5_6ELb0ES3_mN6thrust23THRUST_200600_302600_NS6detail15normal_iteratorINSA_10device_ptrIfEEEEPS6_SG_NS0_5tupleIJSF_S6_EEENSH_IJSG_SG_EEES6_PlJNSB_9not_fun_tI7is_trueIfEEEEEE10hipError_tPvRmT3_T4_T5_T6_T7_T9_mT8_P12ihipStream_tbDpT10_ENKUlT_T0_E_clISt17integral_constantIbLb1EES17_IbLb0EEEEDaS13_S14_EUlS13_E_NS1_11comp_targetILNS1_3genE5ELNS1_11target_archE942ELNS1_3gpuE9ELNS1_3repE0EEENS1_30default_config_static_selectorELNS0_4arch9wavefront6targetE0EEEvT1_, .Lfunc_end1094-_ZN7rocprim17ROCPRIM_400000_NS6detail17trampoline_kernelINS0_14default_configENS1_25partition_config_selectorILNS1_17partition_subalgoE6EfNS0_10empty_typeEbEEZZNS1_14partition_implILS5_6ELb0ES3_mN6thrust23THRUST_200600_302600_NS6detail15normal_iteratorINSA_10device_ptrIfEEEEPS6_SG_NS0_5tupleIJSF_S6_EEENSH_IJSG_SG_EEES6_PlJNSB_9not_fun_tI7is_trueIfEEEEEE10hipError_tPvRmT3_T4_T5_T6_T7_T9_mT8_P12ihipStream_tbDpT10_ENKUlT_T0_E_clISt17integral_constantIbLb1EES17_IbLb0EEEEDaS13_S14_EUlS13_E_NS1_11comp_targetILNS1_3genE5ELNS1_11target_archE942ELNS1_3gpuE9ELNS1_3repE0EEENS1_30default_config_static_selectorELNS0_4arch9wavefront6targetE0EEEvT1_
                                        ; -- End function
	.set _ZN7rocprim17ROCPRIM_400000_NS6detail17trampoline_kernelINS0_14default_configENS1_25partition_config_selectorILNS1_17partition_subalgoE6EfNS0_10empty_typeEbEEZZNS1_14partition_implILS5_6ELb0ES3_mN6thrust23THRUST_200600_302600_NS6detail15normal_iteratorINSA_10device_ptrIfEEEEPS6_SG_NS0_5tupleIJSF_S6_EEENSH_IJSG_SG_EEES6_PlJNSB_9not_fun_tI7is_trueIfEEEEEE10hipError_tPvRmT3_T4_T5_T6_T7_T9_mT8_P12ihipStream_tbDpT10_ENKUlT_T0_E_clISt17integral_constantIbLb1EES17_IbLb0EEEEDaS13_S14_EUlS13_E_NS1_11comp_targetILNS1_3genE5ELNS1_11target_archE942ELNS1_3gpuE9ELNS1_3repE0EEENS1_30default_config_static_selectorELNS0_4arch9wavefront6targetE0EEEvT1_.num_vgpr, 0
	.set _ZN7rocprim17ROCPRIM_400000_NS6detail17trampoline_kernelINS0_14default_configENS1_25partition_config_selectorILNS1_17partition_subalgoE6EfNS0_10empty_typeEbEEZZNS1_14partition_implILS5_6ELb0ES3_mN6thrust23THRUST_200600_302600_NS6detail15normal_iteratorINSA_10device_ptrIfEEEEPS6_SG_NS0_5tupleIJSF_S6_EEENSH_IJSG_SG_EEES6_PlJNSB_9not_fun_tI7is_trueIfEEEEEE10hipError_tPvRmT3_T4_T5_T6_T7_T9_mT8_P12ihipStream_tbDpT10_ENKUlT_T0_E_clISt17integral_constantIbLb1EES17_IbLb0EEEEDaS13_S14_EUlS13_E_NS1_11comp_targetILNS1_3genE5ELNS1_11target_archE942ELNS1_3gpuE9ELNS1_3repE0EEENS1_30default_config_static_selectorELNS0_4arch9wavefront6targetE0EEEvT1_.num_agpr, 0
	.set _ZN7rocprim17ROCPRIM_400000_NS6detail17trampoline_kernelINS0_14default_configENS1_25partition_config_selectorILNS1_17partition_subalgoE6EfNS0_10empty_typeEbEEZZNS1_14partition_implILS5_6ELb0ES3_mN6thrust23THRUST_200600_302600_NS6detail15normal_iteratorINSA_10device_ptrIfEEEEPS6_SG_NS0_5tupleIJSF_S6_EEENSH_IJSG_SG_EEES6_PlJNSB_9not_fun_tI7is_trueIfEEEEEE10hipError_tPvRmT3_T4_T5_T6_T7_T9_mT8_P12ihipStream_tbDpT10_ENKUlT_T0_E_clISt17integral_constantIbLb1EES17_IbLb0EEEEDaS13_S14_EUlS13_E_NS1_11comp_targetILNS1_3genE5ELNS1_11target_archE942ELNS1_3gpuE9ELNS1_3repE0EEENS1_30default_config_static_selectorELNS0_4arch9wavefront6targetE0EEEvT1_.numbered_sgpr, 0
	.set _ZN7rocprim17ROCPRIM_400000_NS6detail17trampoline_kernelINS0_14default_configENS1_25partition_config_selectorILNS1_17partition_subalgoE6EfNS0_10empty_typeEbEEZZNS1_14partition_implILS5_6ELb0ES3_mN6thrust23THRUST_200600_302600_NS6detail15normal_iteratorINSA_10device_ptrIfEEEEPS6_SG_NS0_5tupleIJSF_S6_EEENSH_IJSG_SG_EEES6_PlJNSB_9not_fun_tI7is_trueIfEEEEEE10hipError_tPvRmT3_T4_T5_T6_T7_T9_mT8_P12ihipStream_tbDpT10_ENKUlT_T0_E_clISt17integral_constantIbLb1EES17_IbLb0EEEEDaS13_S14_EUlS13_E_NS1_11comp_targetILNS1_3genE5ELNS1_11target_archE942ELNS1_3gpuE9ELNS1_3repE0EEENS1_30default_config_static_selectorELNS0_4arch9wavefront6targetE0EEEvT1_.num_named_barrier, 0
	.set _ZN7rocprim17ROCPRIM_400000_NS6detail17trampoline_kernelINS0_14default_configENS1_25partition_config_selectorILNS1_17partition_subalgoE6EfNS0_10empty_typeEbEEZZNS1_14partition_implILS5_6ELb0ES3_mN6thrust23THRUST_200600_302600_NS6detail15normal_iteratorINSA_10device_ptrIfEEEEPS6_SG_NS0_5tupleIJSF_S6_EEENSH_IJSG_SG_EEES6_PlJNSB_9not_fun_tI7is_trueIfEEEEEE10hipError_tPvRmT3_T4_T5_T6_T7_T9_mT8_P12ihipStream_tbDpT10_ENKUlT_T0_E_clISt17integral_constantIbLb1EES17_IbLb0EEEEDaS13_S14_EUlS13_E_NS1_11comp_targetILNS1_3genE5ELNS1_11target_archE942ELNS1_3gpuE9ELNS1_3repE0EEENS1_30default_config_static_selectorELNS0_4arch9wavefront6targetE0EEEvT1_.private_seg_size, 0
	.set _ZN7rocprim17ROCPRIM_400000_NS6detail17trampoline_kernelINS0_14default_configENS1_25partition_config_selectorILNS1_17partition_subalgoE6EfNS0_10empty_typeEbEEZZNS1_14partition_implILS5_6ELb0ES3_mN6thrust23THRUST_200600_302600_NS6detail15normal_iteratorINSA_10device_ptrIfEEEEPS6_SG_NS0_5tupleIJSF_S6_EEENSH_IJSG_SG_EEES6_PlJNSB_9not_fun_tI7is_trueIfEEEEEE10hipError_tPvRmT3_T4_T5_T6_T7_T9_mT8_P12ihipStream_tbDpT10_ENKUlT_T0_E_clISt17integral_constantIbLb1EES17_IbLb0EEEEDaS13_S14_EUlS13_E_NS1_11comp_targetILNS1_3genE5ELNS1_11target_archE942ELNS1_3gpuE9ELNS1_3repE0EEENS1_30default_config_static_selectorELNS0_4arch9wavefront6targetE0EEEvT1_.uses_vcc, 0
	.set _ZN7rocprim17ROCPRIM_400000_NS6detail17trampoline_kernelINS0_14default_configENS1_25partition_config_selectorILNS1_17partition_subalgoE6EfNS0_10empty_typeEbEEZZNS1_14partition_implILS5_6ELb0ES3_mN6thrust23THRUST_200600_302600_NS6detail15normal_iteratorINSA_10device_ptrIfEEEEPS6_SG_NS0_5tupleIJSF_S6_EEENSH_IJSG_SG_EEES6_PlJNSB_9not_fun_tI7is_trueIfEEEEEE10hipError_tPvRmT3_T4_T5_T6_T7_T9_mT8_P12ihipStream_tbDpT10_ENKUlT_T0_E_clISt17integral_constantIbLb1EES17_IbLb0EEEEDaS13_S14_EUlS13_E_NS1_11comp_targetILNS1_3genE5ELNS1_11target_archE942ELNS1_3gpuE9ELNS1_3repE0EEENS1_30default_config_static_selectorELNS0_4arch9wavefront6targetE0EEEvT1_.uses_flat_scratch, 0
	.set _ZN7rocprim17ROCPRIM_400000_NS6detail17trampoline_kernelINS0_14default_configENS1_25partition_config_selectorILNS1_17partition_subalgoE6EfNS0_10empty_typeEbEEZZNS1_14partition_implILS5_6ELb0ES3_mN6thrust23THRUST_200600_302600_NS6detail15normal_iteratorINSA_10device_ptrIfEEEEPS6_SG_NS0_5tupleIJSF_S6_EEENSH_IJSG_SG_EEES6_PlJNSB_9not_fun_tI7is_trueIfEEEEEE10hipError_tPvRmT3_T4_T5_T6_T7_T9_mT8_P12ihipStream_tbDpT10_ENKUlT_T0_E_clISt17integral_constantIbLb1EES17_IbLb0EEEEDaS13_S14_EUlS13_E_NS1_11comp_targetILNS1_3genE5ELNS1_11target_archE942ELNS1_3gpuE9ELNS1_3repE0EEENS1_30default_config_static_selectorELNS0_4arch9wavefront6targetE0EEEvT1_.has_dyn_sized_stack, 0
	.set _ZN7rocprim17ROCPRIM_400000_NS6detail17trampoline_kernelINS0_14default_configENS1_25partition_config_selectorILNS1_17partition_subalgoE6EfNS0_10empty_typeEbEEZZNS1_14partition_implILS5_6ELb0ES3_mN6thrust23THRUST_200600_302600_NS6detail15normal_iteratorINSA_10device_ptrIfEEEEPS6_SG_NS0_5tupleIJSF_S6_EEENSH_IJSG_SG_EEES6_PlJNSB_9not_fun_tI7is_trueIfEEEEEE10hipError_tPvRmT3_T4_T5_T6_T7_T9_mT8_P12ihipStream_tbDpT10_ENKUlT_T0_E_clISt17integral_constantIbLb1EES17_IbLb0EEEEDaS13_S14_EUlS13_E_NS1_11comp_targetILNS1_3genE5ELNS1_11target_archE942ELNS1_3gpuE9ELNS1_3repE0EEENS1_30default_config_static_selectorELNS0_4arch9wavefront6targetE0EEEvT1_.has_recursion, 0
	.set _ZN7rocprim17ROCPRIM_400000_NS6detail17trampoline_kernelINS0_14default_configENS1_25partition_config_selectorILNS1_17partition_subalgoE6EfNS0_10empty_typeEbEEZZNS1_14partition_implILS5_6ELb0ES3_mN6thrust23THRUST_200600_302600_NS6detail15normal_iteratorINSA_10device_ptrIfEEEEPS6_SG_NS0_5tupleIJSF_S6_EEENSH_IJSG_SG_EEES6_PlJNSB_9not_fun_tI7is_trueIfEEEEEE10hipError_tPvRmT3_T4_T5_T6_T7_T9_mT8_P12ihipStream_tbDpT10_ENKUlT_T0_E_clISt17integral_constantIbLb1EES17_IbLb0EEEEDaS13_S14_EUlS13_E_NS1_11comp_targetILNS1_3genE5ELNS1_11target_archE942ELNS1_3gpuE9ELNS1_3repE0EEENS1_30default_config_static_selectorELNS0_4arch9wavefront6targetE0EEEvT1_.has_indirect_call, 0
	.section	.AMDGPU.csdata,"",@progbits
; Kernel info:
; codeLenInByte = 0
; TotalNumSgprs: 0
; NumVgprs: 0
; ScratchSize: 0
; MemoryBound: 0
; FloatMode: 240
; IeeeMode: 1
; LDSByteSize: 0 bytes/workgroup (compile time only)
; SGPRBlocks: 0
; VGPRBlocks: 0
; NumSGPRsForWavesPerEU: 1
; NumVGPRsForWavesPerEU: 1
; Occupancy: 16
; WaveLimiterHint : 0
; COMPUTE_PGM_RSRC2:SCRATCH_EN: 0
; COMPUTE_PGM_RSRC2:USER_SGPR: 2
; COMPUTE_PGM_RSRC2:TRAP_HANDLER: 0
; COMPUTE_PGM_RSRC2:TGID_X_EN: 1
; COMPUTE_PGM_RSRC2:TGID_Y_EN: 0
; COMPUTE_PGM_RSRC2:TGID_Z_EN: 0
; COMPUTE_PGM_RSRC2:TIDIG_COMP_CNT: 0
	.section	.text._ZN7rocprim17ROCPRIM_400000_NS6detail17trampoline_kernelINS0_14default_configENS1_25partition_config_selectorILNS1_17partition_subalgoE6EfNS0_10empty_typeEbEEZZNS1_14partition_implILS5_6ELb0ES3_mN6thrust23THRUST_200600_302600_NS6detail15normal_iteratorINSA_10device_ptrIfEEEEPS6_SG_NS0_5tupleIJSF_S6_EEENSH_IJSG_SG_EEES6_PlJNSB_9not_fun_tI7is_trueIfEEEEEE10hipError_tPvRmT3_T4_T5_T6_T7_T9_mT8_P12ihipStream_tbDpT10_ENKUlT_T0_E_clISt17integral_constantIbLb1EES17_IbLb0EEEEDaS13_S14_EUlS13_E_NS1_11comp_targetILNS1_3genE4ELNS1_11target_archE910ELNS1_3gpuE8ELNS1_3repE0EEENS1_30default_config_static_selectorELNS0_4arch9wavefront6targetE0EEEvT1_,"axG",@progbits,_ZN7rocprim17ROCPRIM_400000_NS6detail17trampoline_kernelINS0_14default_configENS1_25partition_config_selectorILNS1_17partition_subalgoE6EfNS0_10empty_typeEbEEZZNS1_14partition_implILS5_6ELb0ES3_mN6thrust23THRUST_200600_302600_NS6detail15normal_iteratorINSA_10device_ptrIfEEEEPS6_SG_NS0_5tupleIJSF_S6_EEENSH_IJSG_SG_EEES6_PlJNSB_9not_fun_tI7is_trueIfEEEEEE10hipError_tPvRmT3_T4_T5_T6_T7_T9_mT8_P12ihipStream_tbDpT10_ENKUlT_T0_E_clISt17integral_constantIbLb1EES17_IbLb0EEEEDaS13_S14_EUlS13_E_NS1_11comp_targetILNS1_3genE4ELNS1_11target_archE910ELNS1_3gpuE8ELNS1_3repE0EEENS1_30default_config_static_selectorELNS0_4arch9wavefront6targetE0EEEvT1_,comdat
	.protected	_ZN7rocprim17ROCPRIM_400000_NS6detail17trampoline_kernelINS0_14default_configENS1_25partition_config_selectorILNS1_17partition_subalgoE6EfNS0_10empty_typeEbEEZZNS1_14partition_implILS5_6ELb0ES3_mN6thrust23THRUST_200600_302600_NS6detail15normal_iteratorINSA_10device_ptrIfEEEEPS6_SG_NS0_5tupleIJSF_S6_EEENSH_IJSG_SG_EEES6_PlJNSB_9not_fun_tI7is_trueIfEEEEEE10hipError_tPvRmT3_T4_T5_T6_T7_T9_mT8_P12ihipStream_tbDpT10_ENKUlT_T0_E_clISt17integral_constantIbLb1EES17_IbLb0EEEEDaS13_S14_EUlS13_E_NS1_11comp_targetILNS1_3genE4ELNS1_11target_archE910ELNS1_3gpuE8ELNS1_3repE0EEENS1_30default_config_static_selectorELNS0_4arch9wavefront6targetE0EEEvT1_ ; -- Begin function _ZN7rocprim17ROCPRIM_400000_NS6detail17trampoline_kernelINS0_14default_configENS1_25partition_config_selectorILNS1_17partition_subalgoE6EfNS0_10empty_typeEbEEZZNS1_14partition_implILS5_6ELb0ES3_mN6thrust23THRUST_200600_302600_NS6detail15normal_iteratorINSA_10device_ptrIfEEEEPS6_SG_NS0_5tupleIJSF_S6_EEENSH_IJSG_SG_EEES6_PlJNSB_9not_fun_tI7is_trueIfEEEEEE10hipError_tPvRmT3_T4_T5_T6_T7_T9_mT8_P12ihipStream_tbDpT10_ENKUlT_T0_E_clISt17integral_constantIbLb1EES17_IbLb0EEEEDaS13_S14_EUlS13_E_NS1_11comp_targetILNS1_3genE4ELNS1_11target_archE910ELNS1_3gpuE8ELNS1_3repE0EEENS1_30default_config_static_selectorELNS0_4arch9wavefront6targetE0EEEvT1_
	.globl	_ZN7rocprim17ROCPRIM_400000_NS6detail17trampoline_kernelINS0_14default_configENS1_25partition_config_selectorILNS1_17partition_subalgoE6EfNS0_10empty_typeEbEEZZNS1_14partition_implILS5_6ELb0ES3_mN6thrust23THRUST_200600_302600_NS6detail15normal_iteratorINSA_10device_ptrIfEEEEPS6_SG_NS0_5tupleIJSF_S6_EEENSH_IJSG_SG_EEES6_PlJNSB_9not_fun_tI7is_trueIfEEEEEE10hipError_tPvRmT3_T4_T5_T6_T7_T9_mT8_P12ihipStream_tbDpT10_ENKUlT_T0_E_clISt17integral_constantIbLb1EES17_IbLb0EEEEDaS13_S14_EUlS13_E_NS1_11comp_targetILNS1_3genE4ELNS1_11target_archE910ELNS1_3gpuE8ELNS1_3repE0EEENS1_30default_config_static_selectorELNS0_4arch9wavefront6targetE0EEEvT1_
	.p2align	8
	.type	_ZN7rocprim17ROCPRIM_400000_NS6detail17trampoline_kernelINS0_14default_configENS1_25partition_config_selectorILNS1_17partition_subalgoE6EfNS0_10empty_typeEbEEZZNS1_14partition_implILS5_6ELb0ES3_mN6thrust23THRUST_200600_302600_NS6detail15normal_iteratorINSA_10device_ptrIfEEEEPS6_SG_NS0_5tupleIJSF_S6_EEENSH_IJSG_SG_EEES6_PlJNSB_9not_fun_tI7is_trueIfEEEEEE10hipError_tPvRmT3_T4_T5_T6_T7_T9_mT8_P12ihipStream_tbDpT10_ENKUlT_T0_E_clISt17integral_constantIbLb1EES17_IbLb0EEEEDaS13_S14_EUlS13_E_NS1_11comp_targetILNS1_3genE4ELNS1_11target_archE910ELNS1_3gpuE8ELNS1_3repE0EEENS1_30default_config_static_selectorELNS0_4arch9wavefront6targetE0EEEvT1_,@function
_ZN7rocprim17ROCPRIM_400000_NS6detail17trampoline_kernelINS0_14default_configENS1_25partition_config_selectorILNS1_17partition_subalgoE6EfNS0_10empty_typeEbEEZZNS1_14partition_implILS5_6ELb0ES3_mN6thrust23THRUST_200600_302600_NS6detail15normal_iteratorINSA_10device_ptrIfEEEEPS6_SG_NS0_5tupleIJSF_S6_EEENSH_IJSG_SG_EEES6_PlJNSB_9not_fun_tI7is_trueIfEEEEEE10hipError_tPvRmT3_T4_T5_T6_T7_T9_mT8_P12ihipStream_tbDpT10_ENKUlT_T0_E_clISt17integral_constantIbLb1EES17_IbLb0EEEEDaS13_S14_EUlS13_E_NS1_11comp_targetILNS1_3genE4ELNS1_11target_archE910ELNS1_3gpuE8ELNS1_3repE0EEENS1_30default_config_static_selectorELNS0_4arch9wavefront6targetE0EEEvT1_: ; @_ZN7rocprim17ROCPRIM_400000_NS6detail17trampoline_kernelINS0_14default_configENS1_25partition_config_selectorILNS1_17partition_subalgoE6EfNS0_10empty_typeEbEEZZNS1_14partition_implILS5_6ELb0ES3_mN6thrust23THRUST_200600_302600_NS6detail15normal_iteratorINSA_10device_ptrIfEEEEPS6_SG_NS0_5tupleIJSF_S6_EEENSH_IJSG_SG_EEES6_PlJNSB_9not_fun_tI7is_trueIfEEEEEE10hipError_tPvRmT3_T4_T5_T6_T7_T9_mT8_P12ihipStream_tbDpT10_ENKUlT_T0_E_clISt17integral_constantIbLb1EES17_IbLb0EEEEDaS13_S14_EUlS13_E_NS1_11comp_targetILNS1_3genE4ELNS1_11target_archE910ELNS1_3gpuE8ELNS1_3repE0EEENS1_30default_config_static_selectorELNS0_4arch9wavefront6targetE0EEEvT1_
; %bb.0:
	.section	.rodata,"a",@progbits
	.p2align	6, 0x0
	.amdhsa_kernel _ZN7rocprim17ROCPRIM_400000_NS6detail17trampoline_kernelINS0_14default_configENS1_25partition_config_selectorILNS1_17partition_subalgoE6EfNS0_10empty_typeEbEEZZNS1_14partition_implILS5_6ELb0ES3_mN6thrust23THRUST_200600_302600_NS6detail15normal_iteratorINSA_10device_ptrIfEEEEPS6_SG_NS0_5tupleIJSF_S6_EEENSH_IJSG_SG_EEES6_PlJNSB_9not_fun_tI7is_trueIfEEEEEE10hipError_tPvRmT3_T4_T5_T6_T7_T9_mT8_P12ihipStream_tbDpT10_ENKUlT_T0_E_clISt17integral_constantIbLb1EES17_IbLb0EEEEDaS13_S14_EUlS13_E_NS1_11comp_targetILNS1_3genE4ELNS1_11target_archE910ELNS1_3gpuE8ELNS1_3repE0EEENS1_30default_config_static_selectorELNS0_4arch9wavefront6targetE0EEEvT1_
		.amdhsa_group_segment_fixed_size 0
		.amdhsa_private_segment_fixed_size 0
		.amdhsa_kernarg_size 112
		.amdhsa_user_sgpr_count 2
		.amdhsa_user_sgpr_dispatch_ptr 0
		.amdhsa_user_sgpr_queue_ptr 0
		.amdhsa_user_sgpr_kernarg_segment_ptr 1
		.amdhsa_user_sgpr_dispatch_id 0
		.amdhsa_user_sgpr_private_segment_size 0
		.amdhsa_wavefront_size32 1
		.amdhsa_uses_dynamic_stack 0
		.amdhsa_enable_private_segment 0
		.amdhsa_system_sgpr_workgroup_id_x 1
		.amdhsa_system_sgpr_workgroup_id_y 0
		.amdhsa_system_sgpr_workgroup_id_z 0
		.amdhsa_system_sgpr_workgroup_info 0
		.amdhsa_system_vgpr_workitem_id 0
		.amdhsa_next_free_vgpr 1
		.amdhsa_next_free_sgpr 1
		.amdhsa_reserve_vcc 0
		.amdhsa_float_round_mode_32 0
		.amdhsa_float_round_mode_16_64 0
		.amdhsa_float_denorm_mode_32 3
		.amdhsa_float_denorm_mode_16_64 3
		.amdhsa_fp16_overflow 0
		.amdhsa_workgroup_processor_mode 1
		.amdhsa_memory_ordered 1
		.amdhsa_forward_progress 1
		.amdhsa_inst_pref_size 0
		.amdhsa_round_robin_scheduling 0
		.amdhsa_exception_fp_ieee_invalid_op 0
		.amdhsa_exception_fp_denorm_src 0
		.amdhsa_exception_fp_ieee_div_zero 0
		.amdhsa_exception_fp_ieee_overflow 0
		.amdhsa_exception_fp_ieee_underflow 0
		.amdhsa_exception_fp_ieee_inexact 0
		.amdhsa_exception_int_div_zero 0
	.end_amdhsa_kernel
	.section	.text._ZN7rocprim17ROCPRIM_400000_NS6detail17trampoline_kernelINS0_14default_configENS1_25partition_config_selectorILNS1_17partition_subalgoE6EfNS0_10empty_typeEbEEZZNS1_14partition_implILS5_6ELb0ES3_mN6thrust23THRUST_200600_302600_NS6detail15normal_iteratorINSA_10device_ptrIfEEEEPS6_SG_NS0_5tupleIJSF_S6_EEENSH_IJSG_SG_EEES6_PlJNSB_9not_fun_tI7is_trueIfEEEEEE10hipError_tPvRmT3_T4_T5_T6_T7_T9_mT8_P12ihipStream_tbDpT10_ENKUlT_T0_E_clISt17integral_constantIbLb1EES17_IbLb0EEEEDaS13_S14_EUlS13_E_NS1_11comp_targetILNS1_3genE4ELNS1_11target_archE910ELNS1_3gpuE8ELNS1_3repE0EEENS1_30default_config_static_selectorELNS0_4arch9wavefront6targetE0EEEvT1_,"axG",@progbits,_ZN7rocprim17ROCPRIM_400000_NS6detail17trampoline_kernelINS0_14default_configENS1_25partition_config_selectorILNS1_17partition_subalgoE6EfNS0_10empty_typeEbEEZZNS1_14partition_implILS5_6ELb0ES3_mN6thrust23THRUST_200600_302600_NS6detail15normal_iteratorINSA_10device_ptrIfEEEEPS6_SG_NS0_5tupleIJSF_S6_EEENSH_IJSG_SG_EEES6_PlJNSB_9not_fun_tI7is_trueIfEEEEEE10hipError_tPvRmT3_T4_T5_T6_T7_T9_mT8_P12ihipStream_tbDpT10_ENKUlT_T0_E_clISt17integral_constantIbLb1EES17_IbLb0EEEEDaS13_S14_EUlS13_E_NS1_11comp_targetILNS1_3genE4ELNS1_11target_archE910ELNS1_3gpuE8ELNS1_3repE0EEENS1_30default_config_static_selectorELNS0_4arch9wavefront6targetE0EEEvT1_,comdat
.Lfunc_end1095:
	.size	_ZN7rocprim17ROCPRIM_400000_NS6detail17trampoline_kernelINS0_14default_configENS1_25partition_config_selectorILNS1_17partition_subalgoE6EfNS0_10empty_typeEbEEZZNS1_14partition_implILS5_6ELb0ES3_mN6thrust23THRUST_200600_302600_NS6detail15normal_iteratorINSA_10device_ptrIfEEEEPS6_SG_NS0_5tupleIJSF_S6_EEENSH_IJSG_SG_EEES6_PlJNSB_9not_fun_tI7is_trueIfEEEEEE10hipError_tPvRmT3_T4_T5_T6_T7_T9_mT8_P12ihipStream_tbDpT10_ENKUlT_T0_E_clISt17integral_constantIbLb1EES17_IbLb0EEEEDaS13_S14_EUlS13_E_NS1_11comp_targetILNS1_3genE4ELNS1_11target_archE910ELNS1_3gpuE8ELNS1_3repE0EEENS1_30default_config_static_selectorELNS0_4arch9wavefront6targetE0EEEvT1_, .Lfunc_end1095-_ZN7rocprim17ROCPRIM_400000_NS6detail17trampoline_kernelINS0_14default_configENS1_25partition_config_selectorILNS1_17partition_subalgoE6EfNS0_10empty_typeEbEEZZNS1_14partition_implILS5_6ELb0ES3_mN6thrust23THRUST_200600_302600_NS6detail15normal_iteratorINSA_10device_ptrIfEEEEPS6_SG_NS0_5tupleIJSF_S6_EEENSH_IJSG_SG_EEES6_PlJNSB_9not_fun_tI7is_trueIfEEEEEE10hipError_tPvRmT3_T4_T5_T6_T7_T9_mT8_P12ihipStream_tbDpT10_ENKUlT_T0_E_clISt17integral_constantIbLb1EES17_IbLb0EEEEDaS13_S14_EUlS13_E_NS1_11comp_targetILNS1_3genE4ELNS1_11target_archE910ELNS1_3gpuE8ELNS1_3repE0EEENS1_30default_config_static_selectorELNS0_4arch9wavefront6targetE0EEEvT1_
                                        ; -- End function
	.set _ZN7rocprim17ROCPRIM_400000_NS6detail17trampoline_kernelINS0_14default_configENS1_25partition_config_selectorILNS1_17partition_subalgoE6EfNS0_10empty_typeEbEEZZNS1_14partition_implILS5_6ELb0ES3_mN6thrust23THRUST_200600_302600_NS6detail15normal_iteratorINSA_10device_ptrIfEEEEPS6_SG_NS0_5tupleIJSF_S6_EEENSH_IJSG_SG_EEES6_PlJNSB_9not_fun_tI7is_trueIfEEEEEE10hipError_tPvRmT3_T4_T5_T6_T7_T9_mT8_P12ihipStream_tbDpT10_ENKUlT_T0_E_clISt17integral_constantIbLb1EES17_IbLb0EEEEDaS13_S14_EUlS13_E_NS1_11comp_targetILNS1_3genE4ELNS1_11target_archE910ELNS1_3gpuE8ELNS1_3repE0EEENS1_30default_config_static_selectorELNS0_4arch9wavefront6targetE0EEEvT1_.num_vgpr, 0
	.set _ZN7rocprim17ROCPRIM_400000_NS6detail17trampoline_kernelINS0_14default_configENS1_25partition_config_selectorILNS1_17partition_subalgoE6EfNS0_10empty_typeEbEEZZNS1_14partition_implILS5_6ELb0ES3_mN6thrust23THRUST_200600_302600_NS6detail15normal_iteratorINSA_10device_ptrIfEEEEPS6_SG_NS0_5tupleIJSF_S6_EEENSH_IJSG_SG_EEES6_PlJNSB_9not_fun_tI7is_trueIfEEEEEE10hipError_tPvRmT3_T4_T5_T6_T7_T9_mT8_P12ihipStream_tbDpT10_ENKUlT_T0_E_clISt17integral_constantIbLb1EES17_IbLb0EEEEDaS13_S14_EUlS13_E_NS1_11comp_targetILNS1_3genE4ELNS1_11target_archE910ELNS1_3gpuE8ELNS1_3repE0EEENS1_30default_config_static_selectorELNS0_4arch9wavefront6targetE0EEEvT1_.num_agpr, 0
	.set _ZN7rocprim17ROCPRIM_400000_NS6detail17trampoline_kernelINS0_14default_configENS1_25partition_config_selectorILNS1_17partition_subalgoE6EfNS0_10empty_typeEbEEZZNS1_14partition_implILS5_6ELb0ES3_mN6thrust23THRUST_200600_302600_NS6detail15normal_iteratorINSA_10device_ptrIfEEEEPS6_SG_NS0_5tupleIJSF_S6_EEENSH_IJSG_SG_EEES6_PlJNSB_9not_fun_tI7is_trueIfEEEEEE10hipError_tPvRmT3_T4_T5_T6_T7_T9_mT8_P12ihipStream_tbDpT10_ENKUlT_T0_E_clISt17integral_constantIbLb1EES17_IbLb0EEEEDaS13_S14_EUlS13_E_NS1_11comp_targetILNS1_3genE4ELNS1_11target_archE910ELNS1_3gpuE8ELNS1_3repE0EEENS1_30default_config_static_selectorELNS0_4arch9wavefront6targetE0EEEvT1_.numbered_sgpr, 0
	.set _ZN7rocprim17ROCPRIM_400000_NS6detail17trampoline_kernelINS0_14default_configENS1_25partition_config_selectorILNS1_17partition_subalgoE6EfNS0_10empty_typeEbEEZZNS1_14partition_implILS5_6ELb0ES3_mN6thrust23THRUST_200600_302600_NS6detail15normal_iteratorINSA_10device_ptrIfEEEEPS6_SG_NS0_5tupleIJSF_S6_EEENSH_IJSG_SG_EEES6_PlJNSB_9not_fun_tI7is_trueIfEEEEEE10hipError_tPvRmT3_T4_T5_T6_T7_T9_mT8_P12ihipStream_tbDpT10_ENKUlT_T0_E_clISt17integral_constantIbLb1EES17_IbLb0EEEEDaS13_S14_EUlS13_E_NS1_11comp_targetILNS1_3genE4ELNS1_11target_archE910ELNS1_3gpuE8ELNS1_3repE0EEENS1_30default_config_static_selectorELNS0_4arch9wavefront6targetE0EEEvT1_.num_named_barrier, 0
	.set _ZN7rocprim17ROCPRIM_400000_NS6detail17trampoline_kernelINS0_14default_configENS1_25partition_config_selectorILNS1_17partition_subalgoE6EfNS0_10empty_typeEbEEZZNS1_14partition_implILS5_6ELb0ES3_mN6thrust23THRUST_200600_302600_NS6detail15normal_iteratorINSA_10device_ptrIfEEEEPS6_SG_NS0_5tupleIJSF_S6_EEENSH_IJSG_SG_EEES6_PlJNSB_9not_fun_tI7is_trueIfEEEEEE10hipError_tPvRmT3_T4_T5_T6_T7_T9_mT8_P12ihipStream_tbDpT10_ENKUlT_T0_E_clISt17integral_constantIbLb1EES17_IbLb0EEEEDaS13_S14_EUlS13_E_NS1_11comp_targetILNS1_3genE4ELNS1_11target_archE910ELNS1_3gpuE8ELNS1_3repE0EEENS1_30default_config_static_selectorELNS0_4arch9wavefront6targetE0EEEvT1_.private_seg_size, 0
	.set _ZN7rocprim17ROCPRIM_400000_NS6detail17trampoline_kernelINS0_14default_configENS1_25partition_config_selectorILNS1_17partition_subalgoE6EfNS0_10empty_typeEbEEZZNS1_14partition_implILS5_6ELb0ES3_mN6thrust23THRUST_200600_302600_NS6detail15normal_iteratorINSA_10device_ptrIfEEEEPS6_SG_NS0_5tupleIJSF_S6_EEENSH_IJSG_SG_EEES6_PlJNSB_9not_fun_tI7is_trueIfEEEEEE10hipError_tPvRmT3_T4_T5_T6_T7_T9_mT8_P12ihipStream_tbDpT10_ENKUlT_T0_E_clISt17integral_constantIbLb1EES17_IbLb0EEEEDaS13_S14_EUlS13_E_NS1_11comp_targetILNS1_3genE4ELNS1_11target_archE910ELNS1_3gpuE8ELNS1_3repE0EEENS1_30default_config_static_selectorELNS0_4arch9wavefront6targetE0EEEvT1_.uses_vcc, 0
	.set _ZN7rocprim17ROCPRIM_400000_NS6detail17trampoline_kernelINS0_14default_configENS1_25partition_config_selectorILNS1_17partition_subalgoE6EfNS0_10empty_typeEbEEZZNS1_14partition_implILS5_6ELb0ES3_mN6thrust23THRUST_200600_302600_NS6detail15normal_iteratorINSA_10device_ptrIfEEEEPS6_SG_NS0_5tupleIJSF_S6_EEENSH_IJSG_SG_EEES6_PlJNSB_9not_fun_tI7is_trueIfEEEEEE10hipError_tPvRmT3_T4_T5_T6_T7_T9_mT8_P12ihipStream_tbDpT10_ENKUlT_T0_E_clISt17integral_constantIbLb1EES17_IbLb0EEEEDaS13_S14_EUlS13_E_NS1_11comp_targetILNS1_3genE4ELNS1_11target_archE910ELNS1_3gpuE8ELNS1_3repE0EEENS1_30default_config_static_selectorELNS0_4arch9wavefront6targetE0EEEvT1_.uses_flat_scratch, 0
	.set _ZN7rocprim17ROCPRIM_400000_NS6detail17trampoline_kernelINS0_14default_configENS1_25partition_config_selectorILNS1_17partition_subalgoE6EfNS0_10empty_typeEbEEZZNS1_14partition_implILS5_6ELb0ES3_mN6thrust23THRUST_200600_302600_NS6detail15normal_iteratorINSA_10device_ptrIfEEEEPS6_SG_NS0_5tupleIJSF_S6_EEENSH_IJSG_SG_EEES6_PlJNSB_9not_fun_tI7is_trueIfEEEEEE10hipError_tPvRmT3_T4_T5_T6_T7_T9_mT8_P12ihipStream_tbDpT10_ENKUlT_T0_E_clISt17integral_constantIbLb1EES17_IbLb0EEEEDaS13_S14_EUlS13_E_NS1_11comp_targetILNS1_3genE4ELNS1_11target_archE910ELNS1_3gpuE8ELNS1_3repE0EEENS1_30default_config_static_selectorELNS0_4arch9wavefront6targetE0EEEvT1_.has_dyn_sized_stack, 0
	.set _ZN7rocprim17ROCPRIM_400000_NS6detail17trampoline_kernelINS0_14default_configENS1_25partition_config_selectorILNS1_17partition_subalgoE6EfNS0_10empty_typeEbEEZZNS1_14partition_implILS5_6ELb0ES3_mN6thrust23THRUST_200600_302600_NS6detail15normal_iteratorINSA_10device_ptrIfEEEEPS6_SG_NS0_5tupleIJSF_S6_EEENSH_IJSG_SG_EEES6_PlJNSB_9not_fun_tI7is_trueIfEEEEEE10hipError_tPvRmT3_T4_T5_T6_T7_T9_mT8_P12ihipStream_tbDpT10_ENKUlT_T0_E_clISt17integral_constantIbLb1EES17_IbLb0EEEEDaS13_S14_EUlS13_E_NS1_11comp_targetILNS1_3genE4ELNS1_11target_archE910ELNS1_3gpuE8ELNS1_3repE0EEENS1_30default_config_static_selectorELNS0_4arch9wavefront6targetE0EEEvT1_.has_recursion, 0
	.set _ZN7rocprim17ROCPRIM_400000_NS6detail17trampoline_kernelINS0_14default_configENS1_25partition_config_selectorILNS1_17partition_subalgoE6EfNS0_10empty_typeEbEEZZNS1_14partition_implILS5_6ELb0ES3_mN6thrust23THRUST_200600_302600_NS6detail15normal_iteratorINSA_10device_ptrIfEEEEPS6_SG_NS0_5tupleIJSF_S6_EEENSH_IJSG_SG_EEES6_PlJNSB_9not_fun_tI7is_trueIfEEEEEE10hipError_tPvRmT3_T4_T5_T6_T7_T9_mT8_P12ihipStream_tbDpT10_ENKUlT_T0_E_clISt17integral_constantIbLb1EES17_IbLb0EEEEDaS13_S14_EUlS13_E_NS1_11comp_targetILNS1_3genE4ELNS1_11target_archE910ELNS1_3gpuE8ELNS1_3repE0EEENS1_30default_config_static_selectorELNS0_4arch9wavefront6targetE0EEEvT1_.has_indirect_call, 0
	.section	.AMDGPU.csdata,"",@progbits
; Kernel info:
; codeLenInByte = 0
; TotalNumSgprs: 0
; NumVgprs: 0
; ScratchSize: 0
; MemoryBound: 0
; FloatMode: 240
; IeeeMode: 1
; LDSByteSize: 0 bytes/workgroup (compile time only)
; SGPRBlocks: 0
; VGPRBlocks: 0
; NumSGPRsForWavesPerEU: 1
; NumVGPRsForWavesPerEU: 1
; Occupancy: 16
; WaveLimiterHint : 0
; COMPUTE_PGM_RSRC2:SCRATCH_EN: 0
; COMPUTE_PGM_RSRC2:USER_SGPR: 2
; COMPUTE_PGM_RSRC2:TRAP_HANDLER: 0
; COMPUTE_PGM_RSRC2:TGID_X_EN: 1
; COMPUTE_PGM_RSRC2:TGID_Y_EN: 0
; COMPUTE_PGM_RSRC2:TGID_Z_EN: 0
; COMPUTE_PGM_RSRC2:TIDIG_COMP_CNT: 0
	.section	.text._ZN7rocprim17ROCPRIM_400000_NS6detail17trampoline_kernelINS0_14default_configENS1_25partition_config_selectorILNS1_17partition_subalgoE6EfNS0_10empty_typeEbEEZZNS1_14partition_implILS5_6ELb0ES3_mN6thrust23THRUST_200600_302600_NS6detail15normal_iteratorINSA_10device_ptrIfEEEEPS6_SG_NS0_5tupleIJSF_S6_EEENSH_IJSG_SG_EEES6_PlJNSB_9not_fun_tI7is_trueIfEEEEEE10hipError_tPvRmT3_T4_T5_T6_T7_T9_mT8_P12ihipStream_tbDpT10_ENKUlT_T0_E_clISt17integral_constantIbLb1EES17_IbLb0EEEEDaS13_S14_EUlS13_E_NS1_11comp_targetILNS1_3genE3ELNS1_11target_archE908ELNS1_3gpuE7ELNS1_3repE0EEENS1_30default_config_static_selectorELNS0_4arch9wavefront6targetE0EEEvT1_,"axG",@progbits,_ZN7rocprim17ROCPRIM_400000_NS6detail17trampoline_kernelINS0_14default_configENS1_25partition_config_selectorILNS1_17partition_subalgoE6EfNS0_10empty_typeEbEEZZNS1_14partition_implILS5_6ELb0ES3_mN6thrust23THRUST_200600_302600_NS6detail15normal_iteratorINSA_10device_ptrIfEEEEPS6_SG_NS0_5tupleIJSF_S6_EEENSH_IJSG_SG_EEES6_PlJNSB_9not_fun_tI7is_trueIfEEEEEE10hipError_tPvRmT3_T4_T5_T6_T7_T9_mT8_P12ihipStream_tbDpT10_ENKUlT_T0_E_clISt17integral_constantIbLb1EES17_IbLb0EEEEDaS13_S14_EUlS13_E_NS1_11comp_targetILNS1_3genE3ELNS1_11target_archE908ELNS1_3gpuE7ELNS1_3repE0EEENS1_30default_config_static_selectorELNS0_4arch9wavefront6targetE0EEEvT1_,comdat
	.protected	_ZN7rocprim17ROCPRIM_400000_NS6detail17trampoline_kernelINS0_14default_configENS1_25partition_config_selectorILNS1_17partition_subalgoE6EfNS0_10empty_typeEbEEZZNS1_14partition_implILS5_6ELb0ES3_mN6thrust23THRUST_200600_302600_NS6detail15normal_iteratorINSA_10device_ptrIfEEEEPS6_SG_NS0_5tupleIJSF_S6_EEENSH_IJSG_SG_EEES6_PlJNSB_9not_fun_tI7is_trueIfEEEEEE10hipError_tPvRmT3_T4_T5_T6_T7_T9_mT8_P12ihipStream_tbDpT10_ENKUlT_T0_E_clISt17integral_constantIbLb1EES17_IbLb0EEEEDaS13_S14_EUlS13_E_NS1_11comp_targetILNS1_3genE3ELNS1_11target_archE908ELNS1_3gpuE7ELNS1_3repE0EEENS1_30default_config_static_selectorELNS0_4arch9wavefront6targetE0EEEvT1_ ; -- Begin function _ZN7rocprim17ROCPRIM_400000_NS6detail17trampoline_kernelINS0_14default_configENS1_25partition_config_selectorILNS1_17partition_subalgoE6EfNS0_10empty_typeEbEEZZNS1_14partition_implILS5_6ELb0ES3_mN6thrust23THRUST_200600_302600_NS6detail15normal_iteratorINSA_10device_ptrIfEEEEPS6_SG_NS0_5tupleIJSF_S6_EEENSH_IJSG_SG_EEES6_PlJNSB_9not_fun_tI7is_trueIfEEEEEE10hipError_tPvRmT3_T4_T5_T6_T7_T9_mT8_P12ihipStream_tbDpT10_ENKUlT_T0_E_clISt17integral_constantIbLb1EES17_IbLb0EEEEDaS13_S14_EUlS13_E_NS1_11comp_targetILNS1_3genE3ELNS1_11target_archE908ELNS1_3gpuE7ELNS1_3repE0EEENS1_30default_config_static_selectorELNS0_4arch9wavefront6targetE0EEEvT1_
	.globl	_ZN7rocprim17ROCPRIM_400000_NS6detail17trampoline_kernelINS0_14default_configENS1_25partition_config_selectorILNS1_17partition_subalgoE6EfNS0_10empty_typeEbEEZZNS1_14partition_implILS5_6ELb0ES3_mN6thrust23THRUST_200600_302600_NS6detail15normal_iteratorINSA_10device_ptrIfEEEEPS6_SG_NS0_5tupleIJSF_S6_EEENSH_IJSG_SG_EEES6_PlJNSB_9not_fun_tI7is_trueIfEEEEEE10hipError_tPvRmT3_T4_T5_T6_T7_T9_mT8_P12ihipStream_tbDpT10_ENKUlT_T0_E_clISt17integral_constantIbLb1EES17_IbLb0EEEEDaS13_S14_EUlS13_E_NS1_11comp_targetILNS1_3genE3ELNS1_11target_archE908ELNS1_3gpuE7ELNS1_3repE0EEENS1_30default_config_static_selectorELNS0_4arch9wavefront6targetE0EEEvT1_
	.p2align	8
	.type	_ZN7rocprim17ROCPRIM_400000_NS6detail17trampoline_kernelINS0_14default_configENS1_25partition_config_selectorILNS1_17partition_subalgoE6EfNS0_10empty_typeEbEEZZNS1_14partition_implILS5_6ELb0ES3_mN6thrust23THRUST_200600_302600_NS6detail15normal_iteratorINSA_10device_ptrIfEEEEPS6_SG_NS0_5tupleIJSF_S6_EEENSH_IJSG_SG_EEES6_PlJNSB_9not_fun_tI7is_trueIfEEEEEE10hipError_tPvRmT3_T4_T5_T6_T7_T9_mT8_P12ihipStream_tbDpT10_ENKUlT_T0_E_clISt17integral_constantIbLb1EES17_IbLb0EEEEDaS13_S14_EUlS13_E_NS1_11comp_targetILNS1_3genE3ELNS1_11target_archE908ELNS1_3gpuE7ELNS1_3repE0EEENS1_30default_config_static_selectorELNS0_4arch9wavefront6targetE0EEEvT1_,@function
_ZN7rocprim17ROCPRIM_400000_NS6detail17trampoline_kernelINS0_14default_configENS1_25partition_config_selectorILNS1_17partition_subalgoE6EfNS0_10empty_typeEbEEZZNS1_14partition_implILS5_6ELb0ES3_mN6thrust23THRUST_200600_302600_NS6detail15normal_iteratorINSA_10device_ptrIfEEEEPS6_SG_NS0_5tupleIJSF_S6_EEENSH_IJSG_SG_EEES6_PlJNSB_9not_fun_tI7is_trueIfEEEEEE10hipError_tPvRmT3_T4_T5_T6_T7_T9_mT8_P12ihipStream_tbDpT10_ENKUlT_T0_E_clISt17integral_constantIbLb1EES17_IbLb0EEEEDaS13_S14_EUlS13_E_NS1_11comp_targetILNS1_3genE3ELNS1_11target_archE908ELNS1_3gpuE7ELNS1_3repE0EEENS1_30default_config_static_selectorELNS0_4arch9wavefront6targetE0EEEvT1_: ; @_ZN7rocprim17ROCPRIM_400000_NS6detail17trampoline_kernelINS0_14default_configENS1_25partition_config_selectorILNS1_17partition_subalgoE6EfNS0_10empty_typeEbEEZZNS1_14partition_implILS5_6ELb0ES3_mN6thrust23THRUST_200600_302600_NS6detail15normal_iteratorINSA_10device_ptrIfEEEEPS6_SG_NS0_5tupleIJSF_S6_EEENSH_IJSG_SG_EEES6_PlJNSB_9not_fun_tI7is_trueIfEEEEEE10hipError_tPvRmT3_T4_T5_T6_T7_T9_mT8_P12ihipStream_tbDpT10_ENKUlT_T0_E_clISt17integral_constantIbLb1EES17_IbLb0EEEEDaS13_S14_EUlS13_E_NS1_11comp_targetILNS1_3genE3ELNS1_11target_archE908ELNS1_3gpuE7ELNS1_3repE0EEENS1_30default_config_static_selectorELNS0_4arch9wavefront6targetE0EEEvT1_
; %bb.0:
	.section	.rodata,"a",@progbits
	.p2align	6, 0x0
	.amdhsa_kernel _ZN7rocprim17ROCPRIM_400000_NS6detail17trampoline_kernelINS0_14default_configENS1_25partition_config_selectorILNS1_17partition_subalgoE6EfNS0_10empty_typeEbEEZZNS1_14partition_implILS5_6ELb0ES3_mN6thrust23THRUST_200600_302600_NS6detail15normal_iteratorINSA_10device_ptrIfEEEEPS6_SG_NS0_5tupleIJSF_S6_EEENSH_IJSG_SG_EEES6_PlJNSB_9not_fun_tI7is_trueIfEEEEEE10hipError_tPvRmT3_T4_T5_T6_T7_T9_mT8_P12ihipStream_tbDpT10_ENKUlT_T0_E_clISt17integral_constantIbLb1EES17_IbLb0EEEEDaS13_S14_EUlS13_E_NS1_11comp_targetILNS1_3genE3ELNS1_11target_archE908ELNS1_3gpuE7ELNS1_3repE0EEENS1_30default_config_static_selectorELNS0_4arch9wavefront6targetE0EEEvT1_
		.amdhsa_group_segment_fixed_size 0
		.amdhsa_private_segment_fixed_size 0
		.amdhsa_kernarg_size 112
		.amdhsa_user_sgpr_count 2
		.amdhsa_user_sgpr_dispatch_ptr 0
		.amdhsa_user_sgpr_queue_ptr 0
		.amdhsa_user_sgpr_kernarg_segment_ptr 1
		.amdhsa_user_sgpr_dispatch_id 0
		.amdhsa_user_sgpr_private_segment_size 0
		.amdhsa_wavefront_size32 1
		.amdhsa_uses_dynamic_stack 0
		.amdhsa_enable_private_segment 0
		.amdhsa_system_sgpr_workgroup_id_x 1
		.amdhsa_system_sgpr_workgroup_id_y 0
		.amdhsa_system_sgpr_workgroup_id_z 0
		.amdhsa_system_sgpr_workgroup_info 0
		.amdhsa_system_vgpr_workitem_id 0
		.amdhsa_next_free_vgpr 1
		.amdhsa_next_free_sgpr 1
		.amdhsa_reserve_vcc 0
		.amdhsa_float_round_mode_32 0
		.amdhsa_float_round_mode_16_64 0
		.amdhsa_float_denorm_mode_32 3
		.amdhsa_float_denorm_mode_16_64 3
		.amdhsa_fp16_overflow 0
		.amdhsa_workgroup_processor_mode 1
		.amdhsa_memory_ordered 1
		.amdhsa_forward_progress 1
		.amdhsa_inst_pref_size 0
		.amdhsa_round_robin_scheduling 0
		.amdhsa_exception_fp_ieee_invalid_op 0
		.amdhsa_exception_fp_denorm_src 0
		.amdhsa_exception_fp_ieee_div_zero 0
		.amdhsa_exception_fp_ieee_overflow 0
		.amdhsa_exception_fp_ieee_underflow 0
		.amdhsa_exception_fp_ieee_inexact 0
		.amdhsa_exception_int_div_zero 0
	.end_amdhsa_kernel
	.section	.text._ZN7rocprim17ROCPRIM_400000_NS6detail17trampoline_kernelINS0_14default_configENS1_25partition_config_selectorILNS1_17partition_subalgoE6EfNS0_10empty_typeEbEEZZNS1_14partition_implILS5_6ELb0ES3_mN6thrust23THRUST_200600_302600_NS6detail15normal_iteratorINSA_10device_ptrIfEEEEPS6_SG_NS0_5tupleIJSF_S6_EEENSH_IJSG_SG_EEES6_PlJNSB_9not_fun_tI7is_trueIfEEEEEE10hipError_tPvRmT3_T4_T5_T6_T7_T9_mT8_P12ihipStream_tbDpT10_ENKUlT_T0_E_clISt17integral_constantIbLb1EES17_IbLb0EEEEDaS13_S14_EUlS13_E_NS1_11comp_targetILNS1_3genE3ELNS1_11target_archE908ELNS1_3gpuE7ELNS1_3repE0EEENS1_30default_config_static_selectorELNS0_4arch9wavefront6targetE0EEEvT1_,"axG",@progbits,_ZN7rocprim17ROCPRIM_400000_NS6detail17trampoline_kernelINS0_14default_configENS1_25partition_config_selectorILNS1_17partition_subalgoE6EfNS0_10empty_typeEbEEZZNS1_14partition_implILS5_6ELb0ES3_mN6thrust23THRUST_200600_302600_NS6detail15normal_iteratorINSA_10device_ptrIfEEEEPS6_SG_NS0_5tupleIJSF_S6_EEENSH_IJSG_SG_EEES6_PlJNSB_9not_fun_tI7is_trueIfEEEEEE10hipError_tPvRmT3_T4_T5_T6_T7_T9_mT8_P12ihipStream_tbDpT10_ENKUlT_T0_E_clISt17integral_constantIbLb1EES17_IbLb0EEEEDaS13_S14_EUlS13_E_NS1_11comp_targetILNS1_3genE3ELNS1_11target_archE908ELNS1_3gpuE7ELNS1_3repE0EEENS1_30default_config_static_selectorELNS0_4arch9wavefront6targetE0EEEvT1_,comdat
.Lfunc_end1096:
	.size	_ZN7rocprim17ROCPRIM_400000_NS6detail17trampoline_kernelINS0_14default_configENS1_25partition_config_selectorILNS1_17partition_subalgoE6EfNS0_10empty_typeEbEEZZNS1_14partition_implILS5_6ELb0ES3_mN6thrust23THRUST_200600_302600_NS6detail15normal_iteratorINSA_10device_ptrIfEEEEPS6_SG_NS0_5tupleIJSF_S6_EEENSH_IJSG_SG_EEES6_PlJNSB_9not_fun_tI7is_trueIfEEEEEE10hipError_tPvRmT3_T4_T5_T6_T7_T9_mT8_P12ihipStream_tbDpT10_ENKUlT_T0_E_clISt17integral_constantIbLb1EES17_IbLb0EEEEDaS13_S14_EUlS13_E_NS1_11comp_targetILNS1_3genE3ELNS1_11target_archE908ELNS1_3gpuE7ELNS1_3repE0EEENS1_30default_config_static_selectorELNS0_4arch9wavefront6targetE0EEEvT1_, .Lfunc_end1096-_ZN7rocprim17ROCPRIM_400000_NS6detail17trampoline_kernelINS0_14default_configENS1_25partition_config_selectorILNS1_17partition_subalgoE6EfNS0_10empty_typeEbEEZZNS1_14partition_implILS5_6ELb0ES3_mN6thrust23THRUST_200600_302600_NS6detail15normal_iteratorINSA_10device_ptrIfEEEEPS6_SG_NS0_5tupleIJSF_S6_EEENSH_IJSG_SG_EEES6_PlJNSB_9not_fun_tI7is_trueIfEEEEEE10hipError_tPvRmT3_T4_T5_T6_T7_T9_mT8_P12ihipStream_tbDpT10_ENKUlT_T0_E_clISt17integral_constantIbLb1EES17_IbLb0EEEEDaS13_S14_EUlS13_E_NS1_11comp_targetILNS1_3genE3ELNS1_11target_archE908ELNS1_3gpuE7ELNS1_3repE0EEENS1_30default_config_static_selectorELNS0_4arch9wavefront6targetE0EEEvT1_
                                        ; -- End function
	.set _ZN7rocprim17ROCPRIM_400000_NS6detail17trampoline_kernelINS0_14default_configENS1_25partition_config_selectorILNS1_17partition_subalgoE6EfNS0_10empty_typeEbEEZZNS1_14partition_implILS5_6ELb0ES3_mN6thrust23THRUST_200600_302600_NS6detail15normal_iteratorINSA_10device_ptrIfEEEEPS6_SG_NS0_5tupleIJSF_S6_EEENSH_IJSG_SG_EEES6_PlJNSB_9not_fun_tI7is_trueIfEEEEEE10hipError_tPvRmT3_T4_T5_T6_T7_T9_mT8_P12ihipStream_tbDpT10_ENKUlT_T0_E_clISt17integral_constantIbLb1EES17_IbLb0EEEEDaS13_S14_EUlS13_E_NS1_11comp_targetILNS1_3genE3ELNS1_11target_archE908ELNS1_3gpuE7ELNS1_3repE0EEENS1_30default_config_static_selectorELNS0_4arch9wavefront6targetE0EEEvT1_.num_vgpr, 0
	.set _ZN7rocprim17ROCPRIM_400000_NS6detail17trampoline_kernelINS0_14default_configENS1_25partition_config_selectorILNS1_17partition_subalgoE6EfNS0_10empty_typeEbEEZZNS1_14partition_implILS5_6ELb0ES3_mN6thrust23THRUST_200600_302600_NS6detail15normal_iteratorINSA_10device_ptrIfEEEEPS6_SG_NS0_5tupleIJSF_S6_EEENSH_IJSG_SG_EEES6_PlJNSB_9not_fun_tI7is_trueIfEEEEEE10hipError_tPvRmT3_T4_T5_T6_T7_T9_mT8_P12ihipStream_tbDpT10_ENKUlT_T0_E_clISt17integral_constantIbLb1EES17_IbLb0EEEEDaS13_S14_EUlS13_E_NS1_11comp_targetILNS1_3genE3ELNS1_11target_archE908ELNS1_3gpuE7ELNS1_3repE0EEENS1_30default_config_static_selectorELNS0_4arch9wavefront6targetE0EEEvT1_.num_agpr, 0
	.set _ZN7rocprim17ROCPRIM_400000_NS6detail17trampoline_kernelINS0_14default_configENS1_25partition_config_selectorILNS1_17partition_subalgoE6EfNS0_10empty_typeEbEEZZNS1_14partition_implILS5_6ELb0ES3_mN6thrust23THRUST_200600_302600_NS6detail15normal_iteratorINSA_10device_ptrIfEEEEPS6_SG_NS0_5tupleIJSF_S6_EEENSH_IJSG_SG_EEES6_PlJNSB_9not_fun_tI7is_trueIfEEEEEE10hipError_tPvRmT3_T4_T5_T6_T7_T9_mT8_P12ihipStream_tbDpT10_ENKUlT_T0_E_clISt17integral_constantIbLb1EES17_IbLb0EEEEDaS13_S14_EUlS13_E_NS1_11comp_targetILNS1_3genE3ELNS1_11target_archE908ELNS1_3gpuE7ELNS1_3repE0EEENS1_30default_config_static_selectorELNS0_4arch9wavefront6targetE0EEEvT1_.numbered_sgpr, 0
	.set _ZN7rocprim17ROCPRIM_400000_NS6detail17trampoline_kernelINS0_14default_configENS1_25partition_config_selectorILNS1_17partition_subalgoE6EfNS0_10empty_typeEbEEZZNS1_14partition_implILS5_6ELb0ES3_mN6thrust23THRUST_200600_302600_NS6detail15normal_iteratorINSA_10device_ptrIfEEEEPS6_SG_NS0_5tupleIJSF_S6_EEENSH_IJSG_SG_EEES6_PlJNSB_9not_fun_tI7is_trueIfEEEEEE10hipError_tPvRmT3_T4_T5_T6_T7_T9_mT8_P12ihipStream_tbDpT10_ENKUlT_T0_E_clISt17integral_constantIbLb1EES17_IbLb0EEEEDaS13_S14_EUlS13_E_NS1_11comp_targetILNS1_3genE3ELNS1_11target_archE908ELNS1_3gpuE7ELNS1_3repE0EEENS1_30default_config_static_selectorELNS0_4arch9wavefront6targetE0EEEvT1_.num_named_barrier, 0
	.set _ZN7rocprim17ROCPRIM_400000_NS6detail17trampoline_kernelINS0_14default_configENS1_25partition_config_selectorILNS1_17partition_subalgoE6EfNS0_10empty_typeEbEEZZNS1_14partition_implILS5_6ELb0ES3_mN6thrust23THRUST_200600_302600_NS6detail15normal_iteratorINSA_10device_ptrIfEEEEPS6_SG_NS0_5tupleIJSF_S6_EEENSH_IJSG_SG_EEES6_PlJNSB_9not_fun_tI7is_trueIfEEEEEE10hipError_tPvRmT3_T4_T5_T6_T7_T9_mT8_P12ihipStream_tbDpT10_ENKUlT_T0_E_clISt17integral_constantIbLb1EES17_IbLb0EEEEDaS13_S14_EUlS13_E_NS1_11comp_targetILNS1_3genE3ELNS1_11target_archE908ELNS1_3gpuE7ELNS1_3repE0EEENS1_30default_config_static_selectorELNS0_4arch9wavefront6targetE0EEEvT1_.private_seg_size, 0
	.set _ZN7rocprim17ROCPRIM_400000_NS6detail17trampoline_kernelINS0_14default_configENS1_25partition_config_selectorILNS1_17partition_subalgoE6EfNS0_10empty_typeEbEEZZNS1_14partition_implILS5_6ELb0ES3_mN6thrust23THRUST_200600_302600_NS6detail15normal_iteratorINSA_10device_ptrIfEEEEPS6_SG_NS0_5tupleIJSF_S6_EEENSH_IJSG_SG_EEES6_PlJNSB_9not_fun_tI7is_trueIfEEEEEE10hipError_tPvRmT3_T4_T5_T6_T7_T9_mT8_P12ihipStream_tbDpT10_ENKUlT_T0_E_clISt17integral_constantIbLb1EES17_IbLb0EEEEDaS13_S14_EUlS13_E_NS1_11comp_targetILNS1_3genE3ELNS1_11target_archE908ELNS1_3gpuE7ELNS1_3repE0EEENS1_30default_config_static_selectorELNS0_4arch9wavefront6targetE0EEEvT1_.uses_vcc, 0
	.set _ZN7rocprim17ROCPRIM_400000_NS6detail17trampoline_kernelINS0_14default_configENS1_25partition_config_selectorILNS1_17partition_subalgoE6EfNS0_10empty_typeEbEEZZNS1_14partition_implILS5_6ELb0ES3_mN6thrust23THRUST_200600_302600_NS6detail15normal_iteratorINSA_10device_ptrIfEEEEPS6_SG_NS0_5tupleIJSF_S6_EEENSH_IJSG_SG_EEES6_PlJNSB_9not_fun_tI7is_trueIfEEEEEE10hipError_tPvRmT3_T4_T5_T6_T7_T9_mT8_P12ihipStream_tbDpT10_ENKUlT_T0_E_clISt17integral_constantIbLb1EES17_IbLb0EEEEDaS13_S14_EUlS13_E_NS1_11comp_targetILNS1_3genE3ELNS1_11target_archE908ELNS1_3gpuE7ELNS1_3repE0EEENS1_30default_config_static_selectorELNS0_4arch9wavefront6targetE0EEEvT1_.uses_flat_scratch, 0
	.set _ZN7rocprim17ROCPRIM_400000_NS6detail17trampoline_kernelINS0_14default_configENS1_25partition_config_selectorILNS1_17partition_subalgoE6EfNS0_10empty_typeEbEEZZNS1_14partition_implILS5_6ELb0ES3_mN6thrust23THRUST_200600_302600_NS6detail15normal_iteratorINSA_10device_ptrIfEEEEPS6_SG_NS0_5tupleIJSF_S6_EEENSH_IJSG_SG_EEES6_PlJNSB_9not_fun_tI7is_trueIfEEEEEE10hipError_tPvRmT3_T4_T5_T6_T7_T9_mT8_P12ihipStream_tbDpT10_ENKUlT_T0_E_clISt17integral_constantIbLb1EES17_IbLb0EEEEDaS13_S14_EUlS13_E_NS1_11comp_targetILNS1_3genE3ELNS1_11target_archE908ELNS1_3gpuE7ELNS1_3repE0EEENS1_30default_config_static_selectorELNS0_4arch9wavefront6targetE0EEEvT1_.has_dyn_sized_stack, 0
	.set _ZN7rocprim17ROCPRIM_400000_NS6detail17trampoline_kernelINS0_14default_configENS1_25partition_config_selectorILNS1_17partition_subalgoE6EfNS0_10empty_typeEbEEZZNS1_14partition_implILS5_6ELb0ES3_mN6thrust23THRUST_200600_302600_NS6detail15normal_iteratorINSA_10device_ptrIfEEEEPS6_SG_NS0_5tupleIJSF_S6_EEENSH_IJSG_SG_EEES6_PlJNSB_9not_fun_tI7is_trueIfEEEEEE10hipError_tPvRmT3_T4_T5_T6_T7_T9_mT8_P12ihipStream_tbDpT10_ENKUlT_T0_E_clISt17integral_constantIbLb1EES17_IbLb0EEEEDaS13_S14_EUlS13_E_NS1_11comp_targetILNS1_3genE3ELNS1_11target_archE908ELNS1_3gpuE7ELNS1_3repE0EEENS1_30default_config_static_selectorELNS0_4arch9wavefront6targetE0EEEvT1_.has_recursion, 0
	.set _ZN7rocprim17ROCPRIM_400000_NS6detail17trampoline_kernelINS0_14default_configENS1_25partition_config_selectorILNS1_17partition_subalgoE6EfNS0_10empty_typeEbEEZZNS1_14partition_implILS5_6ELb0ES3_mN6thrust23THRUST_200600_302600_NS6detail15normal_iteratorINSA_10device_ptrIfEEEEPS6_SG_NS0_5tupleIJSF_S6_EEENSH_IJSG_SG_EEES6_PlJNSB_9not_fun_tI7is_trueIfEEEEEE10hipError_tPvRmT3_T4_T5_T6_T7_T9_mT8_P12ihipStream_tbDpT10_ENKUlT_T0_E_clISt17integral_constantIbLb1EES17_IbLb0EEEEDaS13_S14_EUlS13_E_NS1_11comp_targetILNS1_3genE3ELNS1_11target_archE908ELNS1_3gpuE7ELNS1_3repE0EEENS1_30default_config_static_selectorELNS0_4arch9wavefront6targetE0EEEvT1_.has_indirect_call, 0
	.section	.AMDGPU.csdata,"",@progbits
; Kernel info:
; codeLenInByte = 0
; TotalNumSgprs: 0
; NumVgprs: 0
; ScratchSize: 0
; MemoryBound: 0
; FloatMode: 240
; IeeeMode: 1
; LDSByteSize: 0 bytes/workgroup (compile time only)
; SGPRBlocks: 0
; VGPRBlocks: 0
; NumSGPRsForWavesPerEU: 1
; NumVGPRsForWavesPerEU: 1
; Occupancy: 16
; WaveLimiterHint : 0
; COMPUTE_PGM_RSRC2:SCRATCH_EN: 0
; COMPUTE_PGM_RSRC2:USER_SGPR: 2
; COMPUTE_PGM_RSRC2:TRAP_HANDLER: 0
; COMPUTE_PGM_RSRC2:TGID_X_EN: 1
; COMPUTE_PGM_RSRC2:TGID_Y_EN: 0
; COMPUTE_PGM_RSRC2:TGID_Z_EN: 0
; COMPUTE_PGM_RSRC2:TIDIG_COMP_CNT: 0
	.section	.text._ZN7rocprim17ROCPRIM_400000_NS6detail17trampoline_kernelINS0_14default_configENS1_25partition_config_selectorILNS1_17partition_subalgoE6EfNS0_10empty_typeEbEEZZNS1_14partition_implILS5_6ELb0ES3_mN6thrust23THRUST_200600_302600_NS6detail15normal_iteratorINSA_10device_ptrIfEEEEPS6_SG_NS0_5tupleIJSF_S6_EEENSH_IJSG_SG_EEES6_PlJNSB_9not_fun_tI7is_trueIfEEEEEE10hipError_tPvRmT3_T4_T5_T6_T7_T9_mT8_P12ihipStream_tbDpT10_ENKUlT_T0_E_clISt17integral_constantIbLb1EES17_IbLb0EEEEDaS13_S14_EUlS13_E_NS1_11comp_targetILNS1_3genE2ELNS1_11target_archE906ELNS1_3gpuE6ELNS1_3repE0EEENS1_30default_config_static_selectorELNS0_4arch9wavefront6targetE0EEEvT1_,"axG",@progbits,_ZN7rocprim17ROCPRIM_400000_NS6detail17trampoline_kernelINS0_14default_configENS1_25partition_config_selectorILNS1_17partition_subalgoE6EfNS0_10empty_typeEbEEZZNS1_14partition_implILS5_6ELb0ES3_mN6thrust23THRUST_200600_302600_NS6detail15normal_iteratorINSA_10device_ptrIfEEEEPS6_SG_NS0_5tupleIJSF_S6_EEENSH_IJSG_SG_EEES6_PlJNSB_9not_fun_tI7is_trueIfEEEEEE10hipError_tPvRmT3_T4_T5_T6_T7_T9_mT8_P12ihipStream_tbDpT10_ENKUlT_T0_E_clISt17integral_constantIbLb1EES17_IbLb0EEEEDaS13_S14_EUlS13_E_NS1_11comp_targetILNS1_3genE2ELNS1_11target_archE906ELNS1_3gpuE6ELNS1_3repE0EEENS1_30default_config_static_selectorELNS0_4arch9wavefront6targetE0EEEvT1_,comdat
	.protected	_ZN7rocprim17ROCPRIM_400000_NS6detail17trampoline_kernelINS0_14default_configENS1_25partition_config_selectorILNS1_17partition_subalgoE6EfNS0_10empty_typeEbEEZZNS1_14partition_implILS5_6ELb0ES3_mN6thrust23THRUST_200600_302600_NS6detail15normal_iteratorINSA_10device_ptrIfEEEEPS6_SG_NS0_5tupleIJSF_S6_EEENSH_IJSG_SG_EEES6_PlJNSB_9not_fun_tI7is_trueIfEEEEEE10hipError_tPvRmT3_T4_T5_T6_T7_T9_mT8_P12ihipStream_tbDpT10_ENKUlT_T0_E_clISt17integral_constantIbLb1EES17_IbLb0EEEEDaS13_S14_EUlS13_E_NS1_11comp_targetILNS1_3genE2ELNS1_11target_archE906ELNS1_3gpuE6ELNS1_3repE0EEENS1_30default_config_static_selectorELNS0_4arch9wavefront6targetE0EEEvT1_ ; -- Begin function _ZN7rocprim17ROCPRIM_400000_NS6detail17trampoline_kernelINS0_14default_configENS1_25partition_config_selectorILNS1_17partition_subalgoE6EfNS0_10empty_typeEbEEZZNS1_14partition_implILS5_6ELb0ES3_mN6thrust23THRUST_200600_302600_NS6detail15normal_iteratorINSA_10device_ptrIfEEEEPS6_SG_NS0_5tupleIJSF_S6_EEENSH_IJSG_SG_EEES6_PlJNSB_9not_fun_tI7is_trueIfEEEEEE10hipError_tPvRmT3_T4_T5_T6_T7_T9_mT8_P12ihipStream_tbDpT10_ENKUlT_T0_E_clISt17integral_constantIbLb1EES17_IbLb0EEEEDaS13_S14_EUlS13_E_NS1_11comp_targetILNS1_3genE2ELNS1_11target_archE906ELNS1_3gpuE6ELNS1_3repE0EEENS1_30default_config_static_selectorELNS0_4arch9wavefront6targetE0EEEvT1_
	.globl	_ZN7rocprim17ROCPRIM_400000_NS6detail17trampoline_kernelINS0_14default_configENS1_25partition_config_selectorILNS1_17partition_subalgoE6EfNS0_10empty_typeEbEEZZNS1_14partition_implILS5_6ELb0ES3_mN6thrust23THRUST_200600_302600_NS6detail15normal_iteratorINSA_10device_ptrIfEEEEPS6_SG_NS0_5tupleIJSF_S6_EEENSH_IJSG_SG_EEES6_PlJNSB_9not_fun_tI7is_trueIfEEEEEE10hipError_tPvRmT3_T4_T5_T6_T7_T9_mT8_P12ihipStream_tbDpT10_ENKUlT_T0_E_clISt17integral_constantIbLb1EES17_IbLb0EEEEDaS13_S14_EUlS13_E_NS1_11comp_targetILNS1_3genE2ELNS1_11target_archE906ELNS1_3gpuE6ELNS1_3repE0EEENS1_30default_config_static_selectorELNS0_4arch9wavefront6targetE0EEEvT1_
	.p2align	8
	.type	_ZN7rocprim17ROCPRIM_400000_NS6detail17trampoline_kernelINS0_14default_configENS1_25partition_config_selectorILNS1_17partition_subalgoE6EfNS0_10empty_typeEbEEZZNS1_14partition_implILS5_6ELb0ES3_mN6thrust23THRUST_200600_302600_NS6detail15normal_iteratorINSA_10device_ptrIfEEEEPS6_SG_NS0_5tupleIJSF_S6_EEENSH_IJSG_SG_EEES6_PlJNSB_9not_fun_tI7is_trueIfEEEEEE10hipError_tPvRmT3_T4_T5_T6_T7_T9_mT8_P12ihipStream_tbDpT10_ENKUlT_T0_E_clISt17integral_constantIbLb1EES17_IbLb0EEEEDaS13_S14_EUlS13_E_NS1_11comp_targetILNS1_3genE2ELNS1_11target_archE906ELNS1_3gpuE6ELNS1_3repE0EEENS1_30default_config_static_selectorELNS0_4arch9wavefront6targetE0EEEvT1_,@function
_ZN7rocprim17ROCPRIM_400000_NS6detail17trampoline_kernelINS0_14default_configENS1_25partition_config_selectorILNS1_17partition_subalgoE6EfNS0_10empty_typeEbEEZZNS1_14partition_implILS5_6ELb0ES3_mN6thrust23THRUST_200600_302600_NS6detail15normal_iteratorINSA_10device_ptrIfEEEEPS6_SG_NS0_5tupleIJSF_S6_EEENSH_IJSG_SG_EEES6_PlJNSB_9not_fun_tI7is_trueIfEEEEEE10hipError_tPvRmT3_T4_T5_T6_T7_T9_mT8_P12ihipStream_tbDpT10_ENKUlT_T0_E_clISt17integral_constantIbLb1EES17_IbLb0EEEEDaS13_S14_EUlS13_E_NS1_11comp_targetILNS1_3genE2ELNS1_11target_archE906ELNS1_3gpuE6ELNS1_3repE0EEENS1_30default_config_static_selectorELNS0_4arch9wavefront6targetE0EEEvT1_: ; @_ZN7rocprim17ROCPRIM_400000_NS6detail17trampoline_kernelINS0_14default_configENS1_25partition_config_selectorILNS1_17partition_subalgoE6EfNS0_10empty_typeEbEEZZNS1_14partition_implILS5_6ELb0ES3_mN6thrust23THRUST_200600_302600_NS6detail15normal_iteratorINSA_10device_ptrIfEEEEPS6_SG_NS0_5tupleIJSF_S6_EEENSH_IJSG_SG_EEES6_PlJNSB_9not_fun_tI7is_trueIfEEEEEE10hipError_tPvRmT3_T4_T5_T6_T7_T9_mT8_P12ihipStream_tbDpT10_ENKUlT_T0_E_clISt17integral_constantIbLb1EES17_IbLb0EEEEDaS13_S14_EUlS13_E_NS1_11comp_targetILNS1_3genE2ELNS1_11target_archE906ELNS1_3gpuE6ELNS1_3repE0EEENS1_30default_config_static_selectorELNS0_4arch9wavefront6targetE0EEEvT1_
; %bb.0:
	.section	.rodata,"a",@progbits
	.p2align	6, 0x0
	.amdhsa_kernel _ZN7rocprim17ROCPRIM_400000_NS6detail17trampoline_kernelINS0_14default_configENS1_25partition_config_selectorILNS1_17partition_subalgoE6EfNS0_10empty_typeEbEEZZNS1_14partition_implILS5_6ELb0ES3_mN6thrust23THRUST_200600_302600_NS6detail15normal_iteratorINSA_10device_ptrIfEEEEPS6_SG_NS0_5tupleIJSF_S6_EEENSH_IJSG_SG_EEES6_PlJNSB_9not_fun_tI7is_trueIfEEEEEE10hipError_tPvRmT3_T4_T5_T6_T7_T9_mT8_P12ihipStream_tbDpT10_ENKUlT_T0_E_clISt17integral_constantIbLb1EES17_IbLb0EEEEDaS13_S14_EUlS13_E_NS1_11comp_targetILNS1_3genE2ELNS1_11target_archE906ELNS1_3gpuE6ELNS1_3repE0EEENS1_30default_config_static_selectorELNS0_4arch9wavefront6targetE0EEEvT1_
		.amdhsa_group_segment_fixed_size 0
		.amdhsa_private_segment_fixed_size 0
		.amdhsa_kernarg_size 112
		.amdhsa_user_sgpr_count 2
		.amdhsa_user_sgpr_dispatch_ptr 0
		.amdhsa_user_sgpr_queue_ptr 0
		.amdhsa_user_sgpr_kernarg_segment_ptr 1
		.amdhsa_user_sgpr_dispatch_id 0
		.amdhsa_user_sgpr_private_segment_size 0
		.amdhsa_wavefront_size32 1
		.amdhsa_uses_dynamic_stack 0
		.amdhsa_enable_private_segment 0
		.amdhsa_system_sgpr_workgroup_id_x 1
		.amdhsa_system_sgpr_workgroup_id_y 0
		.amdhsa_system_sgpr_workgroup_id_z 0
		.amdhsa_system_sgpr_workgroup_info 0
		.amdhsa_system_vgpr_workitem_id 0
		.amdhsa_next_free_vgpr 1
		.amdhsa_next_free_sgpr 1
		.amdhsa_reserve_vcc 0
		.amdhsa_float_round_mode_32 0
		.amdhsa_float_round_mode_16_64 0
		.amdhsa_float_denorm_mode_32 3
		.amdhsa_float_denorm_mode_16_64 3
		.amdhsa_fp16_overflow 0
		.amdhsa_workgroup_processor_mode 1
		.amdhsa_memory_ordered 1
		.amdhsa_forward_progress 1
		.amdhsa_inst_pref_size 0
		.amdhsa_round_robin_scheduling 0
		.amdhsa_exception_fp_ieee_invalid_op 0
		.amdhsa_exception_fp_denorm_src 0
		.amdhsa_exception_fp_ieee_div_zero 0
		.amdhsa_exception_fp_ieee_overflow 0
		.amdhsa_exception_fp_ieee_underflow 0
		.amdhsa_exception_fp_ieee_inexact 0
		.amdhsa_exception_int_div_zero 0
	.end_amdhsa_kernel
	.section	.text._ZN7rocprim17ROCPRIM_400000_NS6detail17trampoline_kernelINS0_14default_configENS1_25partition_config_selectorILNS1_17partition_subalgoE6EfNS0_10empty_typeEbEEZZNS1_14partition_implILS5_6ELb0ES3_mN6thrust23THRUST_200600_302600_NS6detail15normal_iteratorINSA_10device_ptrIfEEEEPS6_SG_NS0_5tupleIJSF_S6_EEENSH_IJSG_SG_EEES6_PlJNSB_9not_fun_tI7is_trueIfEEEEEE10hipError_tPvRmT3_T4_T5_T6_T7_T9_mT8_P12ihipStream_tbDpT10_ENKUlT_T0_E_clISt17integral_constantIbLb1EES17_IbLb0EEEEDaS13_S14_EUlS13_E_NS1_11comp_targetILNS1_3genE2ELNS1_11target_archE906ELNS1_3gpuE6ELNS1_3repE0EEENS1_30default_config_static_selectorELNS0_4arch9wavefront6targetE0EEEvT1_,"axG",@progbits,_ZN7rocprim17ROCPRIM_400000_NS6detail17trampoline_kernelINS0_14default_configENS1_25partition_config_selectorILNS1_17partition_subalgoE6EfNS0_10empty_typeEbEEZZNS1_14partition_implILS5_6ELb0ES3_mN6thrust23THRUST_200600_302600_NS6detail15normal_iteratorINSA_10device_ptrIfEEEEPS6_SG_NS0_5tupleIJSF_S6_EEENSH_IJSG_SG_EEES6_PlJNSB_9not_fun_tI7is_trueIfEEEEEE10hipError_tPvRmT3_T4_T5_T6_T7_T9_mT8_P12ihipStream_tbDpT10_ENKUlT_T0_E_clISt17integral_constantIbLb1EES17_IbLb0EEEEDaS13_S14_EUlS13_E_NS1_11comp_targetILNS1_3genE2ELNS1_11target_archE906ELNS1_3gpuE6ELNS1_3repE0EEENS1_30default_config_static_selectorELNS0_4arch9wavefront6targetE0EEEvT1_,comdat
.Lfunc_end1097:
	.size	_ZN7rocprim17ROCPRIM_400000_NS6detail17trampoline_kernelINS0_14default_configENS1_25partition_config_selectorILNS1_17partition_subalgoE6EfNS0_10empty_typeEbEEZZNS1_14partition_implILS5_6ELb0ES3_mN6thrust23THRUST_200600_302600_NS6detail15normal_iteratorINSA_10device_ptrIfEEEEPS6_SG_NS0_5tupleIJSF_S6_EEENSH_IJSG_SG_EEES6_PlJNSB_9not_fun_tI7is_trueIfEEEEEE10hipError_tPvRmT3_T4_T5_T6_T7_T9_mT8_P12ihipStream_tbDpT10_ENKUlT_T0_E_clISt17integral_constantIbLb1EES17_IbLb0EEEEDaS13_S14_EUlS13_E_NS1_11comp_targetILNS1_3genE2ELNS1_11target_archE906ELNS1_3gpuE6ELNS1_3repE0EEENS1_30default_config_static_selectorELNS0_4arch9wavefront6targetE0EEEvT1_, .Lfunc_end1097-_ZN7rocprim17ROCPRIM_400000_NS6detail17trampoline_kernelINS0_14default_configENS1_25partition_config_selectorILNS1_17partition_subalgoE6EfNS0_10empty_typeEbEEZZNS1_14partition_implILS5_6ELb0ES3_mN6thrust23THRUST_200600_302600_NS6detail15normal_iteratorINSA_10device_ptrIfEEEEPS6_SG_NS0_5tupleIJSF_S6_EEENSH_IJSG_SG_EEES6_PlJNSB_9not_fun_tI7is_trueIfEEEEEE10hipError_tPvRmT3_T4_T5_T6_T7_T9_mT8_P12ihipStream_tbDpT10_ENKUlT_T0_E_clISt17integral_constantIbLb1EES17_IbLb0EEEEDaS13_S14_EUlS13_E_NS1_11comp_targetILNS1_3genE2ELNS1_11target_archE906ELNS1_3gpuE6ELNS1_3repE0EEENS1_30default_config_static_selectorELNS0_4arch9wavefront6targetE0EEEvT1_
                                        ; -- End function
	.set _ZN7rocprim17ROCPRIM_400000_NS6detail17trampoline_kernelINS0_14default_configENS1_25partition_config_selectorILNS1_17partition_subalgoE6EfNS0_10empty_typeEbEEZZNS1_14partition_implILS5_6ELb0ES3_mN6thrust23THRUST_200600_302600_NS6detail15normal_iteratorINSA_10device_ptrIfEEEEPS6_SG_NS0_5tupleIJSF_S6_EEENSH_IJSG_SG_EEES6_PlJNSB_9not_fun_tI7is_trueIfEEEEEE10hipError_tPvRmT3_T4_T5_T6_T7_T9_mT8_P12ihipStream_tbDpT10_ENKUlT_T0_E_clISt17integral_constantIbLb1EES17_IbLb0EEEEDaS13_S14_EUlS13_E_NS1_11comp_targetILNS1_3genE2ELNS1_11target_archE906ELNS1_3gpuE6ELNS1_3repE0EEENS1_30default_config_static_selectorELNS0_4arch9wavefront6targetE0EEEvT1_.num_vgpr, 0
	.set _ZN7rocprim17ROCPRIM_400000_NS6detail17trampoline_kernelINS0_14default_configENS1_25partition_config_selectorILNS1_17partition_subalgoE6EfNS0_10empty_typeEbEEZZNS1_14partition_implILS5_6ELb0ES3_mN6thrust23THRUST_200600_302600_NS6detail15normal_iteratorINSA_10device_ptrIfEEEEPS6_SG_NS0_5tupleIJSF_S6_EEENSH_IJSG_SG_EEES6_PlJNSB_9not_fun_tI7is_trueIfEEEEEE10hipError_tPvRmT3_T4_T5_T6_T7_T9_mT8_P12ihipStream_tbDpT10_ENKUlT_T0_E_clISt17integral_constantIbLb1EES17_IbLb0EEEEDaS13_S14_EUlS13_E_NS1_11comp_targetILNS1_3genE2ELNS1_11target_archE906ELNS1_3gpuE6ELNS1_3repE0EEENS1_30default_config_static_selectorELNS0_4arch9wavefront6targetE0EEEvT1_.num_agpr, 0
	.set _ZN7rocprim17ROCPRIM_400000_NS6detail17trampoline_kernelINS0_14default_configENS1_25partition_config_selectorILNS1_17partition_subalgoE6EfNS0_10empty_typeEbEEZZNS1_14partition_implILS5_6ELb0ES3_mN6thrust23THRUST_200600_302600_NS6detail15normal_iteratorINSA_10device_ptrIfEEEEPS6_SG_NS0_5tupleIJSF_S6_EEENSH_IJSG_SG_EEES6_PlJNSB_9not_fun_tI7is_trueIfEEEEEE10hipError_tPvRmT3_T4_T5_T6_T7_T9_mT8_P12ihipStream_tbDpT10_ENKUlT_T0_E_clISt17integral_constantIbLb1EES17_IbLb0EEEEDaS13_S14_EUlS13_E_NS1_11comp_targetILNS1_3genE2ELNS1_11target_archE906ELNS1_3gpuE6ELNS1_3repE0EEENS1_30default_config_static_selectorELNS0_4arch9wavefront6targetE0EEEvT1_.numbered_sgpr, 0
	.set _ZN7rocprim17ROCPRIM_400000_NS6detail17trampoline_kernelINS0_14default_configENS1_25partition_config_selectorILNS1_17partition_subalgoE6EfNS0_10empty_typeEbEEZZNS1_14partition_implILS5_6ELb0ES3_mN6thrust23THRUST_200600_302600_NS6detail15normal_iteratorINSA_10device_ptrIfEEEEPS6_SG_NS0_5tupleIJSF_S6_EEENSH_IJSG_SG_EEES6_PlJNSB_9not_fun_tI7is_trueIfEEEEEE10hipError_tPvRmT3_T4_T5_T6_T7_T9_mT8_P12ihipStream_tbDpT10_ENKUlT_T0_E_clISt17integral_constantIbLb1EES17_IbLb0EEEEDaS13_S14_EUlS13_E_NS1_11comp_targetILNS1_3genE2ELNS1_11target_archE906ELNS1_3gpuE6ELNS1_3repE0EEENS1_30default_config_static_selectorELNS0_4arch9wavefront6targetE0EEEvT1_.num_named_barrier, 0
	.set _ZN7rocprim17ROCPRIM_400000_NS6detail17trampoline_kernelINS0_14default_configENS1_25partition_config_selectorILNS1_17partition_subalgoE6EfNS0_10empty_typeEbEEZZNS1_14partition_implILS5_6ELb0ES3_mN6thrust23THRUST_200600_302600_NS6detail15normal_iteratorINSA_10device_ptrIfEEEEPS6_SG_NS0_5tupleIJSF_S6_EEENSH_IJSG_SG_EEES6_PlJNSB_9not_fun_tI7is_trueIfEEEEEE10hipError_tPvRmT3_T4_T5_T6_T7_T9_mT8_P12ihipStream_tbDpT10_ENKUlT_T0_E_clISt17integral_constantIbLb1EES17_IbLb0EEEEDaS13_S14_EUlS13_E_NS1_11comp_targetILNS1_3genE2ELNS1_11target_archE906ELNS1_3gpuE6ELNS1_3repE0EEENS1_30default_config_static_selectorELNS0_4arch9wavefront6targetE0EEEvT1_.private_seg_size, 0
	.set _ZN7rocprim17ROCPRIM_400000_NS6detail17trampoline_kernelINS0_14default_configENS1_25partition_config_selectorILNS1_17partition_subalgoE6EfNS0_10empty_typeEbEEZZNS1_14partition_implILS5_6ELb0ES3_mN6thrust23THRUST_200600_302600_NS6detail15normal_iteratorINSA_10device_ptrIfEEEEPS6_SG_NS0_5tupleIJSF_S6_EEENSH_IJSG_SG_EEES6_PlJNSB_9not_fun_tI7is_trueIfEEEEEE10hipError_tPvRmT3_T4_T5_T6_T7_T9_mT8_P12ihipStream_tbDpT10_ENKUlT_T0_E_clISt17integral_constantIbLb1EES17_IbLb0EEEEDaS13_S14_EUlS13_E_NS1_11comp_targetILNS1_3genE2ELNS1_11target_archE906ELNS1_3gpuE6ELNS1_3repE0EEENS1_30default_config_static_selectorELNS0_4arch9wavefront6targetE0EEEvT1_.uses_vcc, 0
	.set _ZN7rocprim17ROCPRIM_400000_NS6detail17trampoline_kernelINS0_14default_configENS1_25partition_config_selectorILNS1_17partition_subalgoE6EfNS0_10empty_typeEbEEZZNS1_14partition_implILS5_6ELb0ES3_mN6thrust23THRUST_200600_302600_NS6detail15normal_iteratorINSA_10device_ptrIfEEEEPS6_SG_NS0_5tupleIJSF_S6_EEENSH_IJSG_SG_EEES6_PlJNSB_9not_fun_tI7is_trueIfEEEEEE10hipError_tPvRmT3_T4_T5_T6_T7_T9_mT8_P12ihipStream_tbDpT10_ENKUlT_T0_E_clISt17integral_constantIbLb1EES17_IbLb0EEEEDaS13_S14_EUlS13_E_NS1_11comp_targetILNS1_3genE2ELNS1_11target_archE906ELNS1_3gpuE6ELNS1_3repE0EEENS1_30default_config_static_selectorELNS0_4arch9wavefront6targetE0EEEvT1_.uses_flat_scratch, 0
	.set _ZN7rocprim17ROCPRIM_400000_NS6detail17trampoline_kernelINS0_14default_configENS1_25partition_config_selectorILNS1_17partition_subalgoE6EfNS0_10empty_typeEbEEZZNS1_14partition_implILS5_6ELb0ES3_mN6thrust23THRUST_200600_302600_NS6detail15normal_iteratorINSA_10device_ptrIfEEEEPS6_SG_NS0_5tupleIJSF_S6_EEENSH_IJSG_SG_EEES6_PlJNSB_9not_fun_tI7is_trueIfEEEEEE10hipError_tPvRmT3_T4_T5_T6_T7_T9_mT8_P12ihipStream_tbDpT10_ENKUlT_T0_E_clISt17integral_constantIbLb1EES17_IbLb0EEEEDaS13_S14_EUlS13_E_NS1_11comp_targetILNS1_3genE2ELNS1_11target_archE906ELNS1_3gpuE6ELNS1_3repE0EEENS1_30default_config_static_selectorELNS0_4arch9wavefront6targetE0EEEvT1_.has_dyn_sized_stack, 0
	.set _ZN7rocprim17ROCPRIM_400000_NS6detail17trampoline_kernelINS0_14default_configENS1_25partition_config_selectorILNS1_17partition_subalgoE6EfNS0_10empty_typeEbEEZZNS1_14partition_implILS5_6ELb0ES3_mN6thrust23THRUST_200600_302600_NS6detail15normal_iteratorINSA_10device_ptrIfEEEEPS6_SG_NS0_5tupleIJSF_S6_EEENSH_IJSG_SG_EEES6_PlJNSB_9not_fun_tI7is_trueIfEEEEEE10hipError_tPvRmT3_T4_T5_T6_T7_T9_mT8_P12ihipStream_tbDpT10_ENKUlT_T0_E_clISt17integral_constantIbLb1EES17_IbLb0EEEEDaS13_S14_EUlS13_E_NS1_11comp_targetILNS1_3genE2ELNS1_11target_archE906ELNS1_3gpuE6ELNS1_3repE0EEENS1_30default_config_static_selectorELNS0_4arch9wavefront6targetE0EEEvT1_.has_recursion, 0
	.set _ZN7rocprim17ROCPRIM_400000_NS6detail17trampoline_kernelINS0_14default_configENS1_25partition_config_selectorILNS1_17partition_subalgoE6EfNS0_10empty_typeEbEEZZNS1_14partition_implILS5_6ELb0ES3_mN6thrust23THRUST_200600_302600_NS6detail15normal_iteratorINSA_10device_ptrIfEEEEPS6_SG_NS0_5tupleIJSF_S6_EEENSH_IJSG_SG_EEES6_PlJNSB_9not_fun_tI7is_trueIfEEEEEE10hipError_tPvRmT3_T4_T5_T6_T7_T9_mT8_P12ihipStream_tbDpT10_ENKUlT_T0_E_clISt17integral_constantIbLb1EES17_IbLb0EEEEDaS13_S14_EUlS13_E_NS1_11comp_targetILNS1_3genE2ELNS1_11target_archE906ELNS1_3gpuE6ELNS1_3repE0EEENS1_30default_config_static_selectorELNS0_4arch9wavefront6targetE0EEEvT1_.has_indirect_call, 0
	.section	.AMDGPU.csdata,"",@progbits
; Kernel info:
; codeLenInByte = 0
; TotalNumSgprs: 0
; NumVgprs: 0
; ScratchSize: 0
; MemoryBound: 0
; FloatMode: 240
; IeeeMode: 1
; LDSByteSize: 0 bytes/workgroup (compile time only)
; SGPRBlocks: 0
; VGPRBlocks: 0
; NumSGPRsForWavesPerEU: 1
; NumVGPRsForWavesPerEU: 1
; Occupancy: 16
; WaveLimiterHint : 0
; COMPUTE_PGM_RSRC2:SCRATCH_EN: 0
; COMPUTE_PGM_RSRC2:USER_SGPR: 2
; COMPUTE_PGM_RSRC2:TRAP_HANDLER: 0
; COMPUTE_PGM_RSRC2:TGID_X_EN: 1
; COMPUTE_PGM_RSRC2:TGID_Y_EN: 0
; COMPUTE_PGM_RSRC2:TGID_Z_EN: 0
; COMPUTE_PGM_RSRC2:TIDIG_COMP_CNT: 0
	.section	.text._ZN7rocprim17ROCPRIM_400000_NS6detail17trampoline_kernelINS0_14default_configENS1_25partition_config_selectorILNS1_17partition_subalgoE6EfNS0_10empty_typeEbEEZZNS1_14partition_implILS5_6ELb0ES3_mN6thrust23THRUST_200600_302600_NS6detail15normal_iteratorINSA_10device_ptrIfEEEEPS6_SG_NS0_5tupleIJSF_S6_EEENSH_IJSG_SG_EEES6_PlJNSB_9not_fun_tI7is_trueIfEEEEEE10hipError_tPvRmT3_T4_T5_T6_T7_T9_mT8_P12ihipStream_tbDpT10_ENKUlT_T0_E_clISt17integral_constantIbLb1EES17_IbLb0EEEEDaS13_S14_EUlS13_E_NS1_11comp_targetILNS1_3genE10ELNS1_11target_archE1200ELNS1_3gpuE4ELNS1_3repE0EEENS1_30default_config_static_selectorELNS0_4arch9wavefront6targetE0EEEvT1_,"axG",@progbits,_ZN7rocprim17ROCPRIM_400000_NS6detail17trampoline_kernelINS0_14default_configENS1_25partition_config_selectorILNS1_17partition_subalgoE6EfNS0_10empty_typeEbEEZZNS1_14partition_implILS5_6ELb0ES3_mN6thrust23THRUST_200600_302600_NS6detail15normal_iteratorINSA_10device_ptrIfEEEEPS6_SG_NS0_5tupleIJSF_S6_EEENSH_IJSG_SG_EEES6_PlJNSB_9not_fun_tI7is_trueIfEEEEEE10hipError_tPvRmT3_T4_T5_T6_T7_T9_mT8_P12ihipStream_tbDpT10_ENKUlT_T0_E_clISt17integral_constantIbLb1EES17_IbLb0EEEEDaS13_S14_EUlS13_E_NS1_11comp_targetILNS1_3genE10ELNS1_11target_archE1200ELNS1_3gpuE4ELNS1_3repE0EEENS1_30default_config_static_selectorELNS0_4arch9wavefront6targetE0EEEvT1_,comdat
	.protected	_ZN7rocprim17ROCPRIM_400000_NS6detail17trampoline_kernelINS0_14default_configENS1_25partition_config_selectorILNS1_17partition_subalgoE6EfNS0_10empty_typeEbEEZZNS1_14partition_implILS5_6ELb0ES3_mN6thrust23THRUST_200600_302600_NS6detail15normal_iteratorINSA_10device_ptrIfEEEEPS6_SG_NS0_5tupleIJSF_S6_EEENSH_IJSG_SG_EEES6_PlJNSB_9not_fun_tI7is_trueIfEEEEEE10hipError_tPvRmT3_T4_T5_T6_T7_T9_mT8_P12ihipStream_tbDpT10_ENKUlT_T0_E_clISt17integral_constantIbLb1EES17_IbLb0EEEEDaS13_S14_EUlS13_E_NS1_11comp_targetILNS1_3genE10ELNS1_11target_archE1200ELNS1_3gpuE4ELNS1_3repE0EEENS1_30default_config_static_selectorELNS0_4arch9wavefront6targetE0EEEvT1_ ; -- Begin function _ZN7rocprim17ROCPRIM_400000_NS6detail17trampoline_kernelINS0_14default_configENS1_25partition_config_selectorILNS1_17partition_subalgoE6EfNS0_10empty_typeEbEEZZNS1_14partition_implILS5_6ELb0ES3_mN6thrust23THRUST_200600_302600_NS6detail15normal_iteratorINSA_10device_ptrIfEEEEPS6_SG_NS0_5tupleIJSF_S6_EEENSH_IJSG_SG_EEES6_PlJNSB_9not_fun_tI7is_trueIfEEEEEE10hipError_tPvRmT3_T4_T5_T6_T7_T9_mT8_P12ihipStream_tbDpT10_ENKUlT_T0_E_clISt17integral_constantIbLb1EES17_IbLb0EEEEDaS13_S14_EUlS13_E_NS1_11comp_targetILNS1_3genE10ELNS1_11target_archE1200ELNS1_3gpuE4ELNS1_3repE0EEENS1_30default_config_static_selectorELNS0_4arch9wavefront6targetE0EEEvT1_
	.globl	_ZN7rocprim17ROCPRIM_400000_NS6detail17trampoline_kernelINS0_14default_configENS1_25partition_config_selectorILNS1_17partition_subalgoE6EfNS0_10empty_typeEbEEZZNS1_14partition_implILS5_6ELb0ES3_mN6thrust23THRUST_200600_302600_NS6detail15normal_iteratorINSA_10device_ptrIfEEEEPS6_SG_NS0_5tupleIJSF_S6_EEENSH_IJSG_SG_EEES6_PlJNSB_9not_fun_tI7is_trueIfEEEEEE10hipError_tPvRmT3_T4_T5_T6_T7_T9_mT8_P12ihipStream_tbDpT10_ENKUlT_T0_E_clISt17integral_constantIbLb1EES17_IbLb0EEEEDaS13_S14_EUlS13_E_NS1_11comp_targetILNS1_3genE10ELNS1_11target_archE1200ELNS1_3gpuE4ELNS1_3repE0EEENS1_30default_config_static_selectorELNS0_4arch9wavefront6targetE0EEEvT1_
	.p2align	8
	.type	_ZN7rocprim17ROCPRIM_400000_NS6detail17trampoline_kernelINS0_14default_configENS1_25partition_config_selectorILNS1_17partition_subalgoE6EfNS0_10empty_typeEbEEZZNS1_14partition_implILS5_6ELb0ES3_mN6thrust23THRUST_200600_302600_NS6detail15normal_iteratorINSA_10device_ptrIfEEEEPS6_SG_NS0_5tupleIJSF_S6_EEENSH_IJSG_SG_EEES6_PlJNSB_9not_fun_tI7is_trueIfEEEEEE10hipError_tPvRmT3_T4_T5_T6_T7_T9_mT8_P12ihipStream_tbDpT10_ENKUlT_T0_E_clISt17integral_constantIbLb1EES17_IbLb0EEEEDaS13_S14_EUlS13_E_NS1_11comp_targetILNS1_3genE10ELNS1_11target_archE1200ELNS1_3gpuE4ELNS1_3repE0EEENS1_30default_config_static_selectorELNS0_4arch9wavefront6targetE0EEEvT1_,@function
_ZN7rocprim17ROCPRIM_400000_NS6detail17trampoline_kernelINS0_14default_configENS1_25partition_config_selectorILNS1_17partition_subalgoE6EfNS0_10empty_typeEbEEZZNS1_14partition_implILS5_6ELb0ES3_mN6thrust23THRUST_200600_302600_NS6detail15normal_iteratorINSA_10device_ptrIfEEEEPS6_SG_NS0_5tupleIJSF_S6_EEENSH_IJSG_SG_EEES6_PlJNSB_9not_fun_tI7is_trueIfEEEEEE10hipError_tPvRmT3_T4_T5_T6_T7_T9_mT8_P12ihipStream_tbDpT10_ENKUlT_T0_E_clISt17integral_constantIbLb1EES17_IbLb0EEEEDaS13_S14_EUlS13_E_NS1_11comp_targetILNS1_3genE10ELNS1_11target_archE1200ELNS1_3gpuE4ELNS1_3repE0EEENS1_30default_config_static_selectorELNS0_4arch9wavefront6targetE0EEEvT1_: ; @_ZN7rocprim17ROCPRIM_400000_NS6detail17trampoline_kernelINS0_14default_configENS1_25partition_config_selectorILNS1_17partition_subalgoE6EfNS0_10empty_typeEbEEZZNS1_14partition_implILS5_6ELb0ES3_mN6thrust23THRUST_200600_302600_NS6detail15normal_iteratorINSA_10device_ptrIfEEEEPS6_SG_NS0_5tupleIJSF_S6_EEENSH_IJSG_SG_EEES6_PlJNSB_9not_fun_tI7is_trueIfEEEEEE10hipError_tPvRmT3_T4_T5_T6_T7_T9_mT8_P12ihipStream_tbDpT10_ENKUlT_T0_E_clISt17integral_constantIbLb1EES17_IbLb0EEEEDaS13_S14_EUlS13_E_NS1_11comp_targetILNS1_3genE10ELNS1_11target_archE1200ELNS1_3gpuE4ELNS1_3repE0EEENS1_30default_config_static_selectorELNS0_4arch9wavefront6targetE0EEEvT1_
; %bb.0:
	s_endpgm
	.section	.rodata,"a",@progbits
	.p2align	6, 0x0
	.amdhsa_kernel _ZN7rocprim17ROCPRIM_400000_NS6detail17trampoline_kernelINS0_14default_configENS1_25partition_config_selectorILNS1_17partition_subalgoE6EfNS0_10empty_typeEbEEZZNS1_14partition_implILS5_6ELb0ES3_mN6thrust23THRUST_200600_302600_NS6detail15normal_iteratorINSA_10device_ptrIfEEEEPS6_SG_NS0_5tupleIJSF_S6_EEENSH_IJSG_SG_EEES6_PlJNSB_9not_fun_tI7is_trueIfEEEEEE10hipError_tPvRmT3_T4_T5_T6_T7_T9_mT8_P12ihipStream_tbDpT10_ENKUlT_T0_E_clISt17integral_constantIbLb1EES17_IbLb0EEEEDaS13_S14_EUlS13_E_NS1_11comp_targetILNS1_3genE10ELNS1_11target_archE1200ELNS1_3gpuE4ELNS1_3repE0EEENS1_30default_config_static_selectorELNS0_4arch9wavefront6targetE0EEEvT1_
		.amdhsa_group_segment_fixed_size 0
		.amdhsa_private_segment_fixed_size 0
		.amdhsa_kernarg_size 112
		.amdhsa_user_sgpr_count 2
		.amdhsa_user_sgpr_dispatch_ptr 0
		.amdhsa_user_sgpr_queue_ptr 0
		.amdhsa_user_sgpr_kernarg_segment_ptr 1
		.amdhsa_user_sgpr_dispatch_id 0
		.amdhsa_user_sgpr_private_segment_size 0
		.amdhsa_wavefront_size32 1
		.amdhsa_uses_dynamic_stack 0
		.amdhsa_enable_private_segment 0
		.amdhsa_system_sgpr_workgroup_id_x 1
		.amdhsa_system_sgpr_workgroup_id_y 0
		.amdhsa_system_sgpr_workgroup_id_z 0
		.amdhsa_system_sgpr_workgroup_info 0
		.amdhsa_system_vgpr_workitem_id 0
		.amdhsa_next_free_vgpr 1
		.amdhsa_next_free_sgpr 1
		.amdhsa_reserve_vcc 0
		.amdhsa_float_round_mode_32 0
		.amdhsa_float_round_mode_16_64 0
		.amdhsa_float_denorm_mode_32 3
		.amdhsa_float_denorm_mode_16_64 3
		.amdhsa_fp16_overflow 0
		.amdhsa_workgroup_processor_mode 1
		.amdhsa_memory_ordered 1
		.amdhsa_forward_progress 1
		.amdhsa_inst_pref_size 1
		.amdhsa_round_robin_scheduling 0
		.amdhsa_exception_fp_ieee_invalid_op 0
		.amdhsa_exception_fp_denorm_src 0
		.amdhsa_exception_fp_ieee_div_zero 0
		.amdhsa_exception_fp_ieee_overflow 0
		.amdhsa_exception_fp_ieee_underflow 0
		.amdhsa_exception_fp_ieee_inexact 0
		.amdhsa_exception_int_div_zero 0
	.end_amdhsa_kernel
	.section	.text._ZN7rocprim17ROCPRIM_400000_NS6detail17trampoline_kernelINS0_14default_configENS1_25partition_config_selectorILNS1_17partition_subalgoE6EfNS0_10empty_typeEbEEZZNS1_14partition_implILS5_6ELb0ES3_mN6thrust23THRUST_200600_302600_NS6detail15normal_iteratorINSA_10device_ptrIfEEEEPS6_SG_NS0_5tupleIJSF_S6_EEENSH_IJSG_SG_EEES6_PlJNSB_9not_fun_tI7is_trueIfEEEEEE10hipError_tPvRmT3_T4_T5_T6_T7_T9_mT8_P12ihipStream_tbDpT10_ENKUlT_T0_E_clISt17integral_constantIbLb1EES17_IbLb0EEEEDaS13_S14_EUlS13_E_NS1_11comp_targetILNS1_3genE10ELNS1_11target_archE1200ELNS1_3gpuE4ELNS1_3repE0EEENS1_30default_config_static_selectorELNS0_4arch9wavefront6targetE0EEEvT1_,"axG",@progbits,_ZN7rocprim17ROCPRIM_400000_NS6detail17trampoline_kernelINS0_14default_configENS1_25partition_config_selectorILNS1_17partition_subalgoE6EfNS0_10empty_typeEbEEZZNS1_14partition_implILS5_6ELb0ES3_mN6thrust23THRUST_200600_302600_NS6detail15normal_iteratorINSA_10device_ptrIfEEEEPS6_SG_NS0_5tupleIJSF_S6_EEENSH_IJSG_SG_EEES6_PlJNSB_9not_fun_tI7is_trueIfEEEEEE10hipError_tPvRmT3_T4_T5_T6_T7_T9_mT8_P12ihipStream_tbDpT10_ENKUlT_T0_E_clISt17integral_constantIbLb1EES17_IbLb0EEEEDaS13_S14_EUlS13_E_NS1_11comp_targetILNS1_3genE10ELNS1_11target_archE1200ELNS1_3gpuE4ELNS1_3repE0EEENS1_30default_config_static_selectorELNS0_4arch9wavefront6targetE0EEEvT1_,comdat
.Lfunc_end1098:
	.size	_ZN7rocprim17ROCPRIM_400000_NS6detail17trampoline_kernelINS0_14default_configENS1_25partition_config_selectorILNS1_17partition_subalgoE6EfNS0_10empty_typeEbEEZZNS1_14partition_implILS5_6ELb0ES3_mN6thrust23THRUST_200600_302600_NS6detail15normal_iteratorINSA_10device_ptrIfEEEEPS6_SG_NS0_5tupleIJSF_S6_EEENSH_IJSG_SG_EEES6_PlJNSB_9not_fun_tI7is_trueIfEEEEEE10hipError_tPvRmT3_T4_T5_T6_T7_T9_mT8_P12ihipStream_tbDpT10_ENKUlT_T0_E_clISt17integral_constantIbLb1EES17_IbLb0EEEEDaS13_S14_EUlS13_E_NS1_11comp_targetILNS1_3genE10ELNS1_11target_archE1200ELNS1_3gpuE4ELNS1_3repE0EEENS1_30default_config_static_selectorELNS0_4arch9wavefront6targetE0EEEvT1_, .Lfunc_end1098-_ZN7rocprim17ROCPRIM_400000_NS6detail17trampoline_kernelINS0_14default_configENS1_25partition_config_selectorILNS1_17partition_subalgoE6EfNS0_10empty_typeEbEEZZNS1_14partition_implILS5_6ELb0ES3_mN6thrust23THRUST_200600_302600_NS6detail15normal_iteratorINSA_10device_ptrIfEEEEPS6_SG_NS0_5tupleIJSF_S6_EEENSH_IJSG_SG_EEES6_PlJNSB_9not_fun_tI7is_trueIfEEEEEE10hipError_tPvRmT3_T4_T5_T6_T7_T9_mT8_P12ihipStream_tbDpT10_ENKUlT_T0_E_clISt17integral_constantIbLb1EES17_IbLb0EEEEDaS13_S14_EUlS13_E_NS1_11comp_targetILNS1_3genE10ELNS1_11target_archE1200ELNS1_3gpuE4ELNS1_3repE0EEENS1_30default_config_static_selectorELNS0_4arch9wavefront6targetE0EEEvT1_
                                        ; -- End function
	.set _ZN7rocprim17ROCPRIM_400000_NS6detail17trampoline_kernelINS0_14default_configENS1_25partition_config_selectorILNS1_17partition_subalgoE6EfNS0_10empty_typeEbEEZZNS1_14partition_implILS5_6ELb0ES3_mN6thrust23THRUST_200600_302600_NS6detail15normal_iteratorINSA_10device_ptrIfEEEEPS6_SG_NS0_5tupleIJSF_S6_EEENSH_IJSG_SG_EEES6_PlJNSB_9not_fun_tI7is_trueIfEEEEEE10hipError_tPvRmT3_T4_T5_T6_T7_T9_mT8_P12ihipStream_tbDpT10_ENKUlT_T0_E_clISt17integral_constantIbLb1EES17_IbLb0EEEEDaS13_S14_EUlS13_E_NS1_11comp_targetILNS1_3genE10ELNS1_11target_archE1200ELNS1_3gpuE4ELNS1_3repE0EEENS1_30default_config_static_selectorELNS0_4arch9wavefront6targetE0EEEvT1_.num_vgpr, 0
	.set _ZN7rocprim17ROCPRIM_400000_NS6detail17trampoline_kernelINS0_14default_configENS1_25partition_config_selectorILNS1_17partition_subalgoE6EfNS0_10empty_typeEbEEZZNS1_14partition_implILS5_6ELb0ES3_mN6thrust23THRUST_200600_302600_NS6detail15normal_iteratorINSA_10device_ptrIfEEEEPS6_SG_NS0_5tupleIJSF_S6_EEENSH_IJSG_SG_EEES6_PlJNSB_9not_fun_tI7is_trueIfEEEEEE10hipError_tPvRmT3_T4_T5_T6_T7_T9_mT8_P12ihipStream_tbDpT10_ENKUlT_T0_E_clISt17integral_constantIbLb1EES17_IbLb0EEEEDaS13_S14_EUlS13_E_NS1_11comp_targetILNS1_3genE10ELNS1_11target_archE1200ELNS1_3gpuE4ELNS1_3repE0EEENS1_30default_config_static_selectorELNS0_4arch9wavefront6targetE0EEEvT1_.num_agpr, 0
	.set _ZN7rocprim17ROCPRIM_400000_NS6detail17trampoline_kernelINS0_14default_configENS1_25partition_config_selectorILNS1_17partition_subalgoE6EfNS0_10empty_typeEbEEZZNS1_14partition_implILS5_6ELb0ES3_mN6thrust23THRUST_200600_302600_NS6detail15normal_iteratorINSA_10device_ptrIfEEEEPS6_SG_NS0_5tupleIJSF_S6_EEENSH_IJSG_SG_EEES6_PlJNSB_9not_fun_tI7is_trueIfEEEEEE10hipError_tPvRmT3_T4_T5_T6_T7_T9_mT8_P12ihipStream_tbDpT10_ENKUlT_T0_E_clISt17integral_constantIbLb1EES17_IbLb0EEEEDaS13_S14_EUlS13_E_NS1_11comp_targetILNS1_3genE10ELNS1_11target_archE1200ELNS1_3gpuE4ELNS1_3repE0EEENS1_30default_config_static_selectorELNS0_4arch9wavefront6targetE0EEEvT1_.numbered_sgpr, 0
	.set _ZN7rocprim17ROCPRIM_400000_NS6detail17trampoline_kernelINS0_14default_configENS1_25partition_config_selectorILNS1_17partition_subalgoE6EfNS0_10empty_typeEbEEZZNS1_14partition_implILS5_6ELb0ES3_mN6thrust23THRUST_200600_302600_NS6detail15normal_iteratorINSA_10device_ptrIfEEEEPS6_SG_NS0_5tupleIJSF_S6_EEENSH_IJSG_SG_EEES6_PlJNSB_9not_fun_tI7is_trueIfEEEEEE10hipError_tPvRmT3_T4_T5_T6_T7_T9_mT8_P12ihipStream_tbDpT10_ENKUlT_T0_E_clISt17integral_constantIbLb1EES17_IbLb0EEEEDaS13_S14_EUlS13_E_NS1_11comp_targetILNS1_3genE10ELNS1_11target_archE1200ELNS1_3gpuE4ELNS1_3repE0EEENS1_30default_config_static_selectorELNS0_4arch9wavefront6targetE0EEEvT1_.num_named_barrier, 0
	.set _ZN7rocprim17ROCPRIM_400000_NS6detail17trampoline_kernelINS0_14default_configENS1_25partition_config_selectorILNS1_17partition_subalgoE6EfNS0_10empty_typeEbEEZZNS1_14partition_implILS5_6ELb0ES3_mN6thrust23THRUST_200600_302600_NS6detail15normal_iteratorINSA_10device_ptrIfEEEEPS6_SG_NS0_5tupleIJSF_S6_EEENSH_IJSG_SG_EEES6_PlJNSB_9not_fun_tI7is_trueIfEEEEEE10hipError_tPvRmT3_T4_T5_T6_T7_T9_mT8_P12ihipStream_tbDpT10_ENKUlT_T0_E_clISt17integral_constantIbLb1EES17_IbLb0EEEEDaS13_S14_EUlS13_E_NS1_11comp_targetILNS1_3genE10ELNS1_11target_archE1200ELNS1_3gpuE4ELNS1_3repE0EEENS1_30default_config_static_selectorELNS0_4arch9wavefront6targetE0EEEvT1_.private_seg_size, 0
	.set _ZN7rocprim17ROCPRIM_400000_NS6detail17trampoline_kernelINS0_14default_configENS1_25partition_config_selectorILNS1_17partition_subalgoE6EfNS0_10empty_typeEbEEZZNS1_14partition_implILS5_6ELb0ES3_mN6thrust23THRUST_200600_302600_NS6detail15normal_iteratorINSA_10device_ptrIfEEEEPS6_SG_NS0_5tupleIJSF_S6_EEENSH_IJSG_SG_EEES6_PlJNSB_9not_fun_tI7is_trueIfEEEEEE10hipError_tPvRmT3_T4_T5_T6_T7_T9_mT8_P12ihipStream_tbDpT10_ENKUlT_T0_E_clISt17integral_constantIbLb1EES17_IbLb0EEEEDaS13_S14_EUlS13_E_NS1_11comp_targetILNS1_3genE10ELNS1_11target_archE1200ELNS1_3gpuE4ELNS1_3repE0EEENS1_30default_config_static_selectorELNS0_4arch9wavefront6targetE0EEEvT1_.uses_vcc, 0
	.set _ZN7rocprim17ROCPRIM_400000_NS6detail17trampoline_kernelINS0_14default_configENS1_25partition_config_selectorILNS1_17partition_subalgoE6EfNS0_10empty_typeEbEEZZNS1_14partition_implILS5_6ELb0ES3_mN6thrust23THRUST_200600_302600_NS6detail15normal_iteratorINSA_10device_ptrIfEEEEPS6_SG_NS0_5tupleIJSF_S6_EEENSH_IJSG_SG_EEES6_PlJNSB_9not_fun_tI7is_trueIfEEEEEE10hipError_tPvRmT3_T4_T5_T6_T7_T9_mT8_P12ihipStream_tbDpT10_ENKUlT_T0_E_clISt17integral_constantIbLb1EES17_IbLb0EEEEDaS13_S14_EUlS13_E_NS1_11comp_targetILNS1_3genE10ELNS1_11target_archE1200ELNS1_3gpuE4ELNS1_3repE0EEENS1_30default_config_static_selectorELNS0_4arch9wavefront6targetE0EEEvT1_.uses_flat_scratch, 0
	.set _ZN7rocprim17ROCPRIM_400000_NS6detail17trampoline_kernelINS0_14default_configENS1_25partition_config_selectorILNS1_17partition_subalgoE6EfNS0_10empty_typeEbEEZZNS1_14partition_implILS5_6ELb0ES3_mN6thrust23THRUST_200600_302600_NS6detail15normal_iteratorINSA_10device_ptrIfEEEEPS6_SG_NS0_5tupleIJSF_S6_EEENSH_IJSG_SG_EEES6_PlJNSB_9not_fun_tI7is_trueIfEEEEEE10hipError_tPvRmT3_T4_T5_T6_T7_T9_mT8_P12ihipStream_tbDpT10_ENKUlT_T0_E_clISt17integral_constantIbLb1EES17_IbLb0EEEEDaS13_S14_EUlS13_E_NS1_11comp_targetILNS1_3genE10ELNS1_11target_archE1200ELNS1_3gpuE4ELNS1_3repE0EEENS1_30default_config_static_selectorELNS0_4arch9wavefront6targetE0EEEvT1_.has_dyn_sized_stack, 0
	.set _ZN7rocprim17ROCPRIM_400000_NS6detail17trampoline_kernelINS0_14default_configENS1_25partition_config_selectorILNS1_17partition_subalgoE6EfNS0_10empty_typeEbEEZZNS1_14partition_implILS5_6ELb0ES3_mN6thrust23THRUST_200600_302600_NS6detail15normal_iteratorINSA_10device_ptrIfEEEEPS6_SG_NS0_5tupleIJSF_S6_EEENSH_IJSG_SG_EEES6_PlJNSB_9not_fun_tI7is_trueIfEEEEEE10hipError_tPvRmT3_T4_T5_T6_T7_T9_mT8_P12ihipStream_tbDpT10_ENKUlT_T0_E_clISt17integral_constantIbLb1EES17_IbLb0EEEEDaS13_S14_EUlS13_E_NS1_11comp_targetILNS1_3genE10ELNS1_11target_archE1200ELNS1_3gpuE4ELNS1_3repE0EEENS1_30default_config_static_selectorELNS0_4arch9wavefront6targetE0EEEvT1_.has_recursion, 0
	.set _ZN7rocprim17ROCPRIM_400000_NS6detail17trampoline_kernelINS0_14default_configENS1_25partition_config_selectorILNS1_17partition_subalgoE6EfNS0_10empty_typeEbEEZZNS1_14partition_implILS5_6ELb0ES3_mN6thrust23THRUST_200600_302600_NS6detail15normal_iteratorINSA_10device_ptrIfEEEEPS6_SG_NS0_5tupleIJSF_S6_EEENSH_IJSG_SG_EEES6_PlJNSB_9not_fun_tI7is_trueIfEEEEEE10hipError_tPvRmT3_T4_T5_T6_T7_T9_mT8_P12ihipStream_tbDpT10_ENKUlT_T0_E_clISt17integral_constantIbLb1EES17_IbLb0EEEEDaS13_S14_EUlS13_E_NS1_11comp_targetILNS1_3genE10ELNS1_11target_archE1200ELNS1_3gpuE4ELNS1_3repE0EEENS1_30default_config_static_selectorELNS0_4arch9wavefront6targetE0EEEvT1_.has_indirect_call, 0
	.section	.AMDGPU.csdata,"",@progbits
; Kernel info:
; codeLenInByte = 4
; TotalNumSgprs: 0
; NumVgprs: 0
; ScratchSize: 0
; MemoryBound: 0
; FloatMode: 240
; IeeeMode: 1
; LDSByteSize: 0 bytes/workgroup (compile time only)
; SGPRBlocks: 0
; VGPRBlocks: 0
; NumSGPRsForWavesPerEU: 1
; NumVGPRsForWavesPerEU: 1
; Occupancy: 16
; WaveLimiterHint : 0
; COMPUTE_PGM_RSRC2:SCRATCH_EN: 0
; COMPUTE_PGM_RSRC2:USER_SGPR: 2
; COMPUTE_PGM_RSRC2:TRAP_HANDLER: 0
; COMPUTE_PGM_RSRC2:TGID_X_EN: 1
; COMPUTE_PGM_RSRC2:TGID_Y_EN: 0
; COMPUTE_PGM_RSRC2:TGID_Z_EN: 0
; COMPUTE_PGM_RSRC2:TIDIG_COMP_CNT: 0
	.section	.text._ZN7rocprim17ROCPRIM_400000_NS6detail17trampoline_kernelINS0_14default_configENS1_25partition_config_selectorILNS1_17partition_subalgoE6EfNS0_10empty_typeEbEEZZNS1_14partition_implILS5_6ELb0ES3_mN6thrust23THRUST_200600_302600_NS6detail15normal_iteratorINSA_10device_ptrIfEEEEPS6_SG_NS0_5tupleIJSF_S6_EEENSH_IJSG_SG_EEES6_PlJNSB_9not_fun_tI7is_trueIfEEEEEE10hipError_tPvRmT3_T4_T5_T6_T7_T9_mT8_P12ihipStream_tbDpT10_ENKUlT_T0_E_clISt17integral_constantIbLb1EES17_IbLb0EEEEDaS13_S14_EUlS13_E_NS1_11comp_targetILNS1_3genE9ELNS1_11target_archE1100ELNS1_3gpuE3ELNS1_3repE0EEENS1_30default_config_static_selectorELNS0_4arch9wavefront6targetE0EEEvT1_,"axG",@progbits,_ZN7rocprim17ROCPRIM_400000_NS6detail17trampoline_kernelINS0_14default_configENS1_25partition_config_selectorILNS1_17partition_subalgoE6EfNS0_10empty_typeEbEEZZNS1_14partition_implILS5_6ELb0ES3_mN6thrust23THRUST_200600_302600_NS6detail15normal_iteratorINSA_10device_ptrIfEEEEPS6_SG_NS0_5tupleIJSF_S6_EEENSH_IJSG_SG_EEES6_PlJNSB_9not_fun_tI7is_trueIfEEEEEE10hipError_tPvRmT3_T4_T5_T6_T7_T9_mT8_P12ihipStream_tbDpT10_ENKUlT_T0_E_clISt17integral_constantIbLb1EES17_IbLb0EEEEDaS13_S14_EUlS13_E_NS1_11comp_targetILNS1_3genE9ELNS1_11target_archE1100ELNS1_3gpuE3ELNS1_3repE0EEENS1_30default_config_static_selectorELNS0_4arch9wavefront6targetE0EEEvT1_,comdat
	.protected	_ZN7rocprim17ROCPRIM_400000_NS6detail17trampoline_kernelINS0_14default_configENS1_25partition_config_selectorILNS1_17partition_subalgoE6EfNS0_10empty_typeEbEEZZNS1_14partition_implILS5_6ELb0ES3_mN6thrust23THRUST_200600_302600_NS6detail15normal_iteratorINSA_10device_ptrIfEEEEPS6_SG_NS0_5tupleIJSF_S6_EEENSH_IJSG_SG_EEES6_PlJNSB_9not_fun_tI7is_trueIfEEEEEE10hipError_tPvRmT3_T4_T5_T6_T7_T9_mT8_P12ihipStream_tbDpT10_ENKUlT_T0_E_clISt17integral_constantIbLb1EES17_IbLb0EEEEDaS13_S14_EUlS13_E_NS1_11comp_targetILNS1_3genE9ELNS1_11target_archE1100ELNS1_3gpuE3ELNS1_3repE0EEENS1_30default_config_static_selectorELNS0_4arch9wavefront6targetE0EEEvT1_ ; -- Begin function _ZN7rocprim17ROCPRIM_400000_NS6detail17trampoline_kernelINS0_14default_configENS1_25partition_config_selectorILNS1_17partition_subalgoE6EfNS0_10empty_typeEbEEZZNS1_14partition_implILS5_6ELb0ES3_mN6thrust23THRUST_200600_302600_NS6detail15normal_iteratorINSA_10device_ptrIfEEEEPS6_SG_NS0_5tupleIJSF_S6_EEENSH_IJSG_SG_EEES6_PlJNSB_9not_fun_tI7is_trueIfEEEEEE10hipError_tPvRmT3_T4_T5_T6_T7_T9_mT8_P12ihipStream_tbDpT10_ENKUlT_T0_E_clISt17integral_constantIbLb1EES17_IbLb0EEEEDaS13_S14_EUlS13_E_NS1_11comp_targetILNS1_3genE9ELNS1_11target_archE1100ELNS1_3gpuE3ELNS1_3repE0EEENS1_30default_config_static_selectorELNS0_4arch9wavefront6targetE0EEEvT1_
	.globl	_ZN7rocprim17ROCPRIM_400000_NS6detail17trampoline_kernelINS0_14default_configENS1_25partition_config_selectorILNS1_17partition_subalgoE6EfNS0_10empty_typeEbEEZZNS1_14partition_implILS5_6ELb0ES3_mN6thrust23THRUST_200600_302600_NS6detail15normal_iteratorINSA_10device_ptrIfEEEEPS6_SG_NS0_5tupleIJSF_S6_EEENSH_IJSG_SG_EEES6_PlJNSB_9not_fun_tI7is_trueIfEEEEEE10hipError_tPvRmT3_T4_T5_T6_T7_T9_mT8_P12ihipStream_tbDpT10_ENKUlT_T0_E_clISt17integral_constantIbLb1EES17_IbLb0EEEEDaS13_S14_EUlS13_E_NS1_11comp_targetILNS1_3genE9ELNS1_11target_archE1100ELNS1_3gpuE3ELNS1_3repE0EEENS1_30default_config_static_selectorELNS0_4arch9wavefront6targetE0EEEvT1_
	.p2align	8
	.type	_ZN7rocprim17ROCPRIM_400000_NS6detail17trampoline_kernelINS0_14default_configENS1_25partition_config_selectorILNS1_17partition_subalgoE6EfNS0_10empty_typeEbEEZZNS1_14partition_implILS5_6ELb0ES3_mN6thrust23THRUST_200600_302600_NS6detail15normal_iteratorINSA_10device_ptrIfEEEEPS6_SG_NS0_5tupleIJSF_S6_EEENSH_IJSG_SG_EEES6_PlJNSB_9not_fun_tI7is_trueIfEEEEEE10hipError_tPvRmT3_T4_T5_T6_T7_T9_mT8_P12ihipStream_tbDpT10_ENKUlT_T0_E_clISt17integral_constantIbLb1EES17_IbLb0EEEEDaS13_S14_EUlS13_E_NS1_11comp_targetILNS1_3genE9ELNS1_11target_archE1100ELNS1_3gpuE3ELNS1_3repE0EEENS1_30default_config_static_selectorELNS0_4arch9wavefront6targetE0EEEvT1_,@function
_ZN7rocprim17ROCPRIM_400000_NS6detail17trampoline_kernelINS0_14default_configENS1_25partition_config_selectorILNS1_17partition_subalgoE6EfNS0_10empty_typeEbEEZZNS1_14partition_implILS5_6ELb0ES3_mN6thrust23THRUST_200600_302600_NS6detail15normal_iteratorINSA_10device_ptrIfEEEEPS6_SG_NS0_5tupleIJSF_S6_EEENSH_IJSG_SG_EEES6_PlJNSB_9not_fun_tI7is_trueIfEEEEEE10hipError_tPvRmT3_T4_T5_T6_T7_T9_mT8_P12ihipStream_tbDpT10_ENKUlT_T0_E_clISt17integral_constantIbLb1EES17_IbLb0EEEEDaS13_S14_EUlS13_E_NS1_11comp_targetILNS1_3genE9ELNS1_11target_archE1100ELNS1_3gpuE3ELNS1_3repE0EEENS1_30default_config_static_selectorELNS0_4arch9wavefront6targetE0EEEvT1_: ; @_ZN7rocprim17ROCPRIM_400000_NS6detail17trampoline_kernelINS0_14default_configENS1_25partition_config_selectorILNS1_17partition_subalgoE6EfNS0_10empty_typeEbEEZZNS1_14partition_implILS5_6ELb0ES3_mN6thrust23THRUST_200600_302600_NS6detail15normal_iteratorINSA_10device_ptrIfEEEEPS6_SG_NS0_5tupleIJSF_S6_EEENSH_IJSG_SG_EEES6_PlJNSB_9not_fun_tI7is_trueIfEEEEEE10hipError_tPvRmT3_T4_T5_T6_T7_T9_mT8_P12ihipStream_tbDpT10_ENKUlT_T0_E_clISt17integral_constantIbLb1EES17_IbLb0EEEEDaS13_S14_EUlS13_E_NS1_11comp_targetILNS1_3genE9ELNS1_11target_archE1100ELNS1_3gpuE3ELNS1_3repE0EEENS1_30default_config_static_selectorELNS0_4arch9wavefront6targetE0EEEvT1_
; %bb.0:
	.section	.rodata,"a",@progbits
	.p2align	6, 0x0
	.amdhsa_kernel _ZN7rocprim17ROCPRIM_400000_NS6detail17trampoline_kernelINS0_14default_configENS1_25partition_config_selectorILNS1_17partition_subalgoE6EfNS0_10empty_typeEbEEZZNS1_14partition_implILS5_6ELb0ES3_mN6thrust23THRUST_200600_302600_NS6detail15normal_iteratorINSA_10device_ptrIfEEEEPS6_SG_NS0_5tupleIJSF_S6_EEENSH_IJSG_SG_EEES6_PlJNSB_9not_fun_tI7is_trueIfEEEEEE10hipError_tPvRmT3_T4_T5_T6_T7_T9_mT8_P12ihipStream_tbDpT10_ENKUlT_T0_E_clISt17integral_constantIbLb1EES17_IbLb0EEEEDaS13_S14_EUlS13_E_NS1_11comp_targetILNS1_3genE9ELNS1_11target_archE1100ELNS1_3gpuE3ELNS1_3repE0EEENS1_30default_config_static_selectorELNS0_4arch9wavefront6targetE0EEEvT1_
		.amdhsa_group_segment_fixed_size 0
		.amdhsa_private_segment_fixed_size 0
		.amdhsa_kernarg_size 112
		.amdhsa_user_sgpr_count 2
		.amdhsa_user_sgpr_dispatch_ptr 0
		.amdhsa_user_sgpr_queue_ptr 0
		.amdhsa_user_sgpr_kernarg_segment_ptr 1
		.amdhsa_user_sgpr_dispatch_id 0
		.amdhsa_user_sgpr_private_segment_size 0
		.amdhsa_wavefront_size32 1
		.amdhsa_uses_dynamic_stack 0
		.amdhsa_enable_private_segment 0
		.amdhsa_system_sgpr_workgroup_id_x 1
		.amdhsa_system_sgpr_workgroup_id_y 0
		.amdhsa_system_sgpr_workgroup_id_z 0
		.amdhsa_system_sgpr_workgroup_info 0
		.amdhsa_system_vgpr_workitem_id 0
		.amdhsa_next_free_vgpr 1
		.amdhsa_next_free_sgpr 1
		.amdhsa_reserve_vcc 0
		.amdhsa_float_round_mode_32 0
		.amdhsa_float_round_mode_16_64 0
		.amdhsa_float_denorm_mode_32 3
		.amdhsa_float_denorm_mode_16_64 3
		.amdhsa_fp16_overflow 0
		.amdhsa_workgroup_processor_mode 1
		.amdhsa_memory_ordered 1
		.amdhsa_forward_progress 1
		.amdhsa_inst_pref_size 0
		.amdhsa_round_robin_scheduling 0
		.amdhsa_exception_fp_ieee_invalid_op 0
		.amdhsa_exception_fp_denorm_src 0
		.amdhsa_exception_fp_ieee_div_zero 0
		.amdhsa_exception_fp_ieee_overflow 0
		.amdhsa_exception_fp_ieee_underflow 0
		.amdhsa_exception_fp_ieee_inexact 0
		.amdhsa_exception_int_div_zero 0
	.end_amdhsa_kernel
	.section	.text._ZN7rocprim17ROCPRIM_400000_NS6detail17trampoline_kernelINS0_14default_configENS1_25partition_config_selectorILNS1_17partition_subalgoE6EfNS0_10empty_typeEbEEZZNS1_14partition_implILS5_6ELb0ES3_mN6thrust23THRUST_200600_302600_NS6detail15normal_iteratorINSA_10device_ptrIfEEEEPS6_SG_NS0_5tupleIJSF_S6_EEENSH_IJSG_SG_EEES6_PlJNSB_9not_fun_tI7is_trueIfEEEEEE10hipError_tPvRmT3_T4_T5_T6_T7_T9_mT8_P12ihipStream_tbDpT10_ENKUlT_T0_E_clISt17integral_constantIbLb1EES17_IbLb0EEEEDaS13_S14_EUlS13_E_NS1_11comp_targetILNS1_3genE9ELNS1_11target_archE1100ELNS1_3gpuE3ELNS1_3repE0EEENS1_30default_config_static_selectorELNS0_4arch9wavefront6targetE0EEEvT1_,"axG",@progbits,_ZN7rocprim17ROCPRIM_400000_NS6detail17trampoline_kernelINS0_14default_configENS1_25partition_config_selectorILNS1_17partition_subalgoE6EfNS0_10empty_typeEbEEZZNS1_14partition_implILS5_6ELb0ES3_mN6thrust23THRUST_200600_302600_NS6detail15normal_iteratorINSA_10device_ptrIfEEEEPS6_SG_NS0_5tupleIJSF_S6_EEENSH_IJSG_SG_EEES6_PlJNSB_9not_fun_tI7is_trueIfEEEEEE10hipError_tPvRmT3_T4_T5_T6_T7_T9_mT8_P12ihipStream_tbDpT10_ENKUlT_T0_E_clISt17integral_constantIbLb1EES17_IbLb0EEEEDaS13_S14_EUlS13_E_NS1_11comp_targetILNS1_3genE9ELNS1_11target_archE1100ELNS1_3gpuE3ELNS1_3repE0EEENS1_30default_config_static_selectorELNS0_4arch9wavefront6targetE0EEEvT1_,comdat
.Lfunc_end1099:
	.size	_ZN7rocprim17ROCPRIM_400000_NS6detail17trampoline_kernelINS0_14default_configENS1_25partition_config_selectorILNS1_17partition_subalgoE6EfNS0_10empty_typeEbEEZZNS1_14partition_implILS5_6ELb0ES3_mN6thrust23THRUST_200600_302600_NS6detail15normal_iteratorINSA_10device_ptrIfEEEEPS6_SG_NS0_5tupleIJSF_S6_EEENSH_IJSG_SG_EEES6_PlJNSB_9not_fun_tI7is_trueIfEEEEEE10hipError_tPvRmT3_T4_T5_T6_T7_T9_mT8_P12ihipStream_tbDpT10_ENKUlT_T0_E_clISt17integral_constantIbLb1EES17_IbLb0EEEEDaS13_S14_EUlS13_E_NS1_11comp_targetILNS1_3genE9ELNS1_11target_archE1100ELNS1_3gpuE3ELNS1_3repE0EEENS1_30default_config_static_selectorELNS0_4arch9wavefront6targetE0EEEvT1_, .Lfunc_end1099-_ZN7rocprim17ROCPRIM_400000_NS6detail17trampoline_kernelINS0_14default_configENS1_25partition_config_selectorILNS1_17partition_subalgoE6EfNS0_10empty_typeEbEEZZNS1_14partition_implILS5_6ELb0ES3_mN6thrust23THRUST_200600_302600_NS6detail15normal_iteratorINSA_10device_ptrIfEEEEPS6_SG_NS0_5tupleIJSF_S6_EEENSH_IJSG_SG_EEES6_PlJNSB_9not_fun_tI7is_trueIfEEEEEE10hipError_tPvRmT3_T4_T5_T6_T7_T9_mT8_P12ihipStream_tbDpT10_ENKUlT_T0_E_clISt17integral_constantIbLb1EES17_IbLb0EEEEDaS13_S14_EUlS13_E_NS1_11comp_targetILNS1_3genE9ELNS1_11target_archE1100ELNS1_3gpuE3ELNS1_3repE0EEENS1_30default_config_static_selectorELNS0_4arch9wavefront6targetE0EEEvT1_
                                        ; -- End function
	.set _ZN7rocprim17ROCPRIM_400000_NS6detail17trampoline_kernelINS0_14default_configENS1_25partition_config_selectorILNS1_17partition_subalgoE6EfNS0_10empty_typeEbEEZZNS1_14partition_implILS5_6ELb0ES3_mN6thrust23THRUST_200600_302600_NS6detail15normal_iteratorINSA_10device_ptrIfEEEEPS6_SG_NS0_5tupleIJSF_S6_EEENSH_IJSG_SG_EEES6_PlJNSB_9not_fun_tI7is_trueIfEEEEEE10hipError_tPvRmT3_T4_T5_T6_T7_T9_mT8_P12ihipStream_tbDpT10_ENKUlT_T0_E_clISt17integral_constantIbLb1EES17_IbLb0EEEEDaS13_S14_EUlS13_E_NS1_11comp_targetILNS1_3genE9ELNS1_11target_archE1100ELNS1_3gpuE3ELNS1_3repE0EEENS1_30default_config_static_selectorELNS0_4arch9wavefront6targetE0EEEvT1_.num_vgpr, 0
	.set _ZN7rocprim17ROCPRIM_400000_NS6detail17trampoline_kernelINS0_14default_configENS1_25partition_config_selectorILNS1_17partition_subalgoE6EfNS0_10empty_typeEbEEZZNS1_14partition_implILS5_6ELb0ES3_mN6thrust23THRUST_200600_302600_NS6detail15normal_iteratorINSA_10device_ptrIfEEEEPS6_SG_NS0_5tupleIJSF_S6_EEENSH_IJSG_SG_EEES6_PlJNSB_9not_fun_tI7is_trueIfEEEEEE10hipError_tPvRmT3_T4_T5_T6_T7_T9_mT8_P12ihipStream_tbDpT10_ENKUlT_T0_E_clISt17integral_constantIbLb1EES17_IbLb0EEEEDaS13_S14_EUlS13_E_NS1_11comp_targetILNS1_3genE9ELNS1_11target_archE1100ELNS1_3gpuE3ELNS1_3repE0EEENS1_30default_config_static_selectorELNS0_4arch9wavefront6targetE0EEEvT1_.num_agpr, 0
	.set _ZN7rocprim17ROCPRIM_400000_NS6detail17trampoline_kernelINS0_14default_configENS1_25partition_config_selectorILNS1_17partition_subalgoE6EfNS0_10empty_typeEbEEZZNS1_14partition_implILS5_6ELb0ES3_mN6thrust23THRUST_200600_302600_NS6detail15normal_iteratorINSA_10device_ptrIfEEEEPS6_SG_NS0_5tupleIJSF_S6_EEENSH_IJSG_SG_EEES6_PlJNSB_9not_fun_tI7is_trueIfEEEEEE10hipError_tPvRmT3_T4_T5_T6_T7_T9_mT8_P12ihipStream_tbDpT10_ENKUlT_T0_E_clISt17integral_constantIbLb1EES17_IbLb0EEEEDaS13_S14_EUlS13_E_NS1_11comp_targetILNS1_3genE9ELNS1_11target_archE1100ELNS1_3gpuE3ELNS1_3repE0EEENS1_30default_config_static_selectorELNS0_4arch9wavefront6targetE0EEEvT1_.numbered_sgpr, 0
	.set _ZN7rocprim17ROCPRIM_400000_NS6detail17trampoline_kernelINS0_14default_configENS1_25partition_config_selectorILNS1_17partition_subalgoE6EfNS0_10empty_typeEbEEZZNS1_14partition_implILS5_6ELb0ES3_mN6thrust23THRUST_200600_302600_NS6detail15normal_iteratorINSA_10device_ptrIfEEEEPS6_SG_NS0_5tupleIJSF_S6_EEENSH_IJSG_SG_EEES6_PlJNSB_9not_fun_tI7is_trueIfEEEEEE10hipError_tPvRmT3_T4_T5_T6_T7_T9_mT8_P12ihipStream_tbDpT10_ENKUlT_T0_E_clISt17integral_constantIbLb1EES17_IbLb0EEEEDaS13_S14_EUlS13_E_NS1_11comp_targetILNS1_3genE9ELNS1_11target_archE1100ELNS1_3gpuE3ELNS1_3repE0EEENS1_30default_config_static_selectorELNS0_4arch9wavefront6targetE0EEEvT1_.num_named_barrier, 0
	.set _ZN7rocprim17ROCPRIM_400000_NS6detail17trampoline_kernelINS0_14default_configENS1_25partition_config_selectorILNS1_17partition_subalgoE6EfNS0_10empty_typeEbEEZZNS1_14partition_implILS5_6ELb0ES3_mN6thrust23THRUST_200600_302600_NS6detail15normal_iteratorINSA_10device_ptrIfEEEEPS6_SG_NS0_5tupleIJSF_S6_EEENSH_IJSG_SG_EEES6_PlJNSB_9not_fun_tI7is_trueIfEEEEEE10hipError_tPvRmT3_T4_T5_T6_T7_T9_mT8_P12ihipStream_tbDpT10_ENKUlT_T0_E_clISt17integral_constantIbLb1EES17_IbLb0EEEEDaS13_S14_EUlS13_E_NS1_11comp_targetILNS1_3genE9ELNS1_11target_archE1100ELNS1_3gpuE3ELNS1_3repE0EEENS1_30default_config_static_selectorELNS0_4arch9wavefront6targetE0EEEvT1_.private_seg_size, 0
	.set _ZN7rocprim17ROCPRIM_400000_NS6detail17trampoline_kernelINS0_14default_configENS1_25partition_config_selectorILNS1_17partition_subalgoE6EfNS0_10empty_typeEbEEZZNS1_14partition_implILS5_6ELb0ES3_mN6thrust23THRUST_200600_302600_NS6detail15normal_iteratorINSA_10device_ptrIfEEEEPS6_SG_NS0_5tupleIJSF_S6_EEENSH_IJSG_SG_EEES6_PlJNSB_9not_fun_tI7is_trueIfEEEEEE10hipError_tPvRmT3_T4_T5_T6_T7_T9_mT8_P12ihipStream_tbDpT10_ENKUlT_T0_E_clISt17integral_constantIbLb1EES17_IbLb0EEEEDaS13_S14_EUlS13_E_NS1_11comp_targetILNS1_3genE9ELNS1_11target_archE1100ELNS1_3gpuE3ELNS1_3repE0EEENS1_30default_config_static_selectorELNS0_4arch9wavefront6targetE0EEEvT1_.uses_vcc, 0
	.set _ZN7rocprim17ROCPRIM_400000_NS6detail17trampoline_kernelINS0_14default_configENS1_25partition_config_selectorILNS1_17partition_subalgoE6EfNS0_10empty_typeEbEEZZNS1_14partition_implILS5_6ELb0ES3_mN6thrust23THRUST_200600_302600_NS6detail15normal_iteratorINSA_10device_ptrIfEEEEPS6_SG_NS0_5tupleIJSF_S6_EEENSH_IJSG_SG_EEES6_PlJNSB_9not_fun_tI7is_trueIfEEEEEE10hipError_tPvRmT3_T4_T5_T6_T7_T9_mT8_P12ihipStream_tbDpT10_ENKUlT_T0_E_clISt17integral_constantIbLb1EES17_IbLb0EEEEDaS13_S14_EUlS13_E_NS1_11comp_targetILNS1_3genE9ELNS1_11target_archE1100ELNS1_3gpuE3ELNS1_3repE0EEENS1_30default_config_static_selectorELNS0_4arch9wavefront6targetE0EEEvT1_.uses_flat_scratch, 0
	.set _ZN7rocprim17ROCPRIM_400000_NS6detail17trampoline_kernelINS0_14default_configENS1_25partition_config_selectorILNS1_17partition_subalgoE6EfNS0_10empty_typeEbEEZZNS1_14partition_implILS5_6ELb0ES3_mN6thrust23THRUST_200600_302600_NS6detail15normal_iteratorINSA_10device_ptrIfEEEEPS6_SG_NS0_5tupleIJSF_S6_EEENSH_IJSG_SG_EEES6_PlJNSB_9not_fun_tI7is_trueIfEEEEEE10hipError_tPvRmT3_T4_T5_T6_T7_T9_mT8_P12ihipStream_tbDpT10_ENKUlT_T0_E_clISt17integral_constantIbLb1EES17_IbLb0EEEEDaS13_S14_EUlS13_E_NS1_11comp_targetILNS1_3genE9ELNS1_11target_archE1100ELNS1_3gpuE3ELNS1_3repE0EEENS1_30default_config_static_selectorELNS0_4arch9wavefront6targetE0EEEvT1_.has_dyn_sized_stack, 0
	.set _ZN7rocprim17ROCPRIM_400000_NS6detail17trampoline_kernelINS0_14default_configENS1_25partition_config_selectorILNS1_17partition_subalgoE6EfNS0_10empty_typeEbEEZZNS1_14partition_implILS5_6ELb0ES3_mN6thrust23THRUST_200600_302600_NS6detail15normal_iteratorINSA_10device_ptrIfEEEEPS6_SG_NS0_5tupleIJSF_S6_EEENSH_IJSG_SG_EEES6_PlJNSB_9not_fun_tI7is_trueIfEEEEEE10hipError_tPvRmT3_T4_T5_T6_T7_T9_mT8_P12ihipStream_tbDpT10_ENKUlT_T0_E_clISt17integral_constantIbLb1EES17_IbLb0EEEEDaS13_S14_EUlS13_E_NS1_11comp_targetILNS1_3genE9ELNS1_11target_archE1100ELNS1_3gpuE3ELNS1_3repE0EEENS1_30default_config_static_selectorELNS0_4arch9wavefront6targetE0EEEvT1_.has_recursion, 0
	.set _ZN7rocprim17ROCPRIM_400000_NS6detail17trampoline_kernelINS0_14default_configENS1_25partition_config_selectorILNS1_17partition_subalgoE6EfNS0_10empty_typeEbEEZZNS1_14partition_implILS5_6ELb0ES3_mN6thrust23THRUST_200600_302600_NS6detail15normal_iteratorINSA_10device_ptrIfEEEEPS6_SG_NS0_5tupleIJSF_S6_EEENSH_IJSG_SG_EEES6_PlJNSB_9not_fun_tI7is_trueIfEEEEEE10hipError_tPvRmT3_T4_T5_T6_T7_T9_mT8_P12ihipStream_tbDpT10_ENKUlT_T0_E_clISt17integral_constantIbLb1EES17_IbLb0EEEEDaS13_S14_EUlS13_E_NS1_11comp_targetILNS1_3genE9ELNS1_11target_archE1100ELNS1_3gpuE3ELNS1_3repE0EEENS1_30default_config_static_selectorELNS0_4arch9wavefront6targetE0EEEvT1_.has_indirect_call, 0
	.section	.AMDGPU.csdata,"",@progbits
; Kernel info:
; codeLenInByte = 0
; TotalNumSgprs: 0
; NumVgprs: 0
; ScratchSize: 0
; MemoryBound: 0
; FloatMode: 240
; IeeeMode: 1
; LDSByteSize: 0 bytes/workgroup (compile time only)
; SGPRBlocks: 0
; VGPRBlocks: 0
; NumSGPRsForWavesPerEU: 1
; NumVGPRsForWavesPerEU: 1
; Occupancy: 16
; WaveLimiterHint : 0
; COMPUTE_PGM_RSRC2:SCRATCH_EN: 0
; COMPUTE_PGM_RSRC2:USER_SGPR: 2
; COMPUTE_PGM_RSRC2:TRAP_HANDLER: 0
; COMPUTE_PGM_RSRC2:TGID_X_EN: 1
; COMPUTE_PGM_RSRC2:TGID_Y_EN: 0
; COMPUTE_PGM_RSRC2:TGID_Z_EN: 0
; COMPUTE_PGM_RSRC2:TIDIG_COMP_CNT: 0
	.section	.text._ZN7rocprim17ROCPRIM_400000_NS6detail17trampoline_kernelINS0_14default_configENS1_25partition_config_selectorILNS1_17partition_subalgoE6EfNS0_10empty_typeEbEEZZNS1_14partition_implILS5_6ELb0ES3_mN6thrust23THRUST_200600_302600_NS6detail15normal_iteratorINSA_10device_ptrIfEEEEPS6_SG_NS0_5tupleIJSF_S6_EEENSH_IJSG_SG_EEES6_PlJNSB_9not_fun_tI7is_trueIfEEEEEE10hipError_tPvRmT3_T4_T5_T6_T7_T9_mT8_P12ihipStream_tbDpT10_ENKUlT_T0_E_clISt17integral_constantIbLb1EES17_IbLb0EEEEDaS13_S14_EUlS13_E_NS1_11comp_targetILNS1_3genE8ELNS1_11target_archE1030ELNS1_3gpuE2ELNS1_3repE0EEENS1_30default_config_static_selectorELNS0_4arch9wavefront6targetE0EEEvT1_,"axG",@progbits,_ZN7rocprim17ROCPRIM_400000_NS6detail17trampoline_kernelINS0_14default_configENS1_25partition_config_selectorILNS1_17partition_subalgoE6EfNS0_10empty_typeEbEEZZNS1_14partition_implILS5_6ELb0ES3_mN6thrust23THRUST_200600_302600_NS6detail15normal_iteratorINSA_10device_ptrIfEEEEPS6_SG_NS0_5tupleIJSF_S6_EEENSH_IJSG_SG_EEES6_PlJNSB_9not_fun_tI7is_trueIfEEEEEE10hipError_tPvRmT3_T4_T5_T6_T7_T9_mT8_P12ihipStream_tbDpT10_ENKUlT_T0_E_clISt17integral_constantIbLb1EES17_IbLb0EEEEDaS13_S14_EUlS13_E_NS1_11comp_targetILNS1_3genE8ELNS1_11target_archE1030ELNS1_3gpuE2ELNS1_3repE0EEENS1_30default_config_static_selectorELNS0_4arch9wavefront6targetE0EEEvT1_,comdat
	.protected	_ZN7rocprim17ROCPRIM_400000_NS6detail17trampoline_kernelINS0_14default_configENS1_25partition_config_selectorILNS1_17partition_subalgoE6EfNS0_10empty_typeEbEEZZNS1_14partition_implILS5_6ELb0ES3_mN6thrust23THRUST_200600_302600_NS6detail15normal_iteratorINSA_10device_ptrIfEEEEPS6_SG_NS0_5tupleIJSF_S6_EEENSH_IJSG_SG_EEES6_PlJNSB_9not_fun_tI7is_trueIfEEEEEE10hipError_tPvRmT3_T4_T5_T6_T7_T9_mT8_P12ihipStream_tbDpT10_ENKUlT_T0_E_clISt17integral_constantIbLb1EES17_IbLb0EEEEDaS13_S14_EUlS13_E_NS1_11comp_targetILNS1_3genE8ELNS1_11target_archE1030ELNS1_3gpuE2ELNS1_3repE0EEENS1_30default_config_static_selectorELNS0_4arch9wavefront6targetE0EEEvT1_ ; -- Begin function _ZN7rocprim17ROCPRIM_400000_NS6detail17trampoline_kernelINS0_14default_configENS1_25partition_config_selectorILNS1_17partition_subalgoE6EfNS0_10empty_typeEbEEZZNS1_14partition_implILS5_6ELb0ES3_mN6thrust23THRUST_200600_302600_NS6detail15normal_iteratorINSA_10device_ptrIfEEEEPS6_SG_NS0_5tupleIJSF_S6_EEENSH_IJSG_SG_EEES6_PlJNSB_9not_fun_tI7is_trueIfEEEEEE10hipError_tPvRmT3_T4_T5_T6_T7_T9_mT8_P12ihipStream_tbDpT10_ENKUlT_T0_E_clISt17integral_constantIbLb1EES17_IbLb0EEEEDaS13_S14_EUlS13_E_NS1_11comp_targetILNS1_3genE8ELNS1_11target_archE1030ELNS1_3gpuE2ELNS1_3repE0EEENS1_30default_config_static_selectorELNS0_4arch9wavefront6targetE0EEEvT1_
	.globl	_ZN7rocprim17ROCPRIM_400000_NS6detail17trampoline_kernelINS0_14default_configENS1_25partition_config_selectorILNS1_17partition_subalgoE6EfNS0_10empty_typeEbEEZZNS1_14partition_implILS5_6ELb0ES3_mN6thrust23THRUST_200600_302600_NS6detail15normal_iteratorINSA_10device_ptrIfEEEEPS6_SG_NS0_5tupleIJSF_S6_EEENSH_IJSG_SG_EEES6_PlJNSB_9not_fun_tI7is_trueIfEEEEEE10hipError_tPvRmT3_T4_T5_T6_T7_T9_mT8_P12ihipStream_tbDpT10_ENKUlT_T0_E_clISt17integral_constantIbLb1EES17_IbLb0EEEEDaS13_S14_EUlS13_E_NS1_11comp_targetILNS1_3genE8ELNS1_11target_archE1030ELNS1_3gpuE2ELNS1_3repE0EEENS1_30default_config_static_selectorELNS0_4arch9wavefront6targetE0EEEvT1_
	.p2align	8
	.type	_ZN7rocprim17ROCPRIM_400000_NS6detail17trampoline_kernelINS0_14default_configENS1_25partition_config_selectorILNS1_17partition_subalgoE6EfNS0_10empty_typeEbEEZZNS1_14partition_implILS5_6ELb0ES3_mN6thrust23THRUST_200600_302600_NS6detail15normal_iteratorINSA_10device_ptrIfEEEEPS6_SG_NS0_5tupleIJSF_S6_EEENSH_IJSG_SG_EEES6_PlJNSB_9not_fun_tI7is_trueIfEEEEEE10hipError_tPvRmT3_T4_T5_T6_T7_T9_mT8_P12ihipStream_tbDpT10_ENKUlT_T0_E_clISt17integral_constantIbLb1EES17_IbLb0EEEEDaS13_S14_EUlS13_E_NS1_11comp_targetILNS1_3genE8ELNS1_11target_archE1030ELNS1_3gpuE2ELNS1_3repE0EEENS1_30default_config_static_selectorELNS0_4arch9wavefront6targetE0EEEvT1_,@function
_ZN7rocprim17ROCPRIM_400000_NS6detail17trampoline_kernelINS0_14default_configENS1_25partition_config_selectorILNS1_17partition_subalgoE6EfNS0_10empty_typeEbEEZZNS1_14partition_implILS5_6ELb0ES3_mN6thrust23THRUST_200600_302600_NS6detail15normal_iteratorINSA_10device_ptrIfEEEEPS6_SG_NS0_5tupleIJSF_S6_EEENSH_IJSG_SG_EEES6_PlJNSB_9not_fun_tI7is_trueIfEEEEEE10hipError_tPvRmT3_T4_T5_T6_T7_T9_mT8_P12ihipStream_tbDpT10_ENKUlT_T0_E_clISt17integral_constantIbLb1EES17_IbLb0EEEEDaS13_S14_EUlS13_E_NS1_11comp_targetILNS1_3genE8ELNS1_11target_archE1030ELNS1_3gpuE2ELNS1_3repE0EEENS1_30default_config_static_selectorELNS0_4arch9wavefront6targetE0EEEvT1_: ; @_ZN7rocprim17ROCPRIM_400000_NS6detail17trampoline_kernelINS0_14default_configENS1_25partition_config_selectorILNS1_17partition_subalgoE6EfNS0_10empty_typeEbEEZZNS1_14partition_implILS5_6ELb0ES3_mN6thrust23THRUST_200600_302600_NS6detail15normal_iteratorINSA_10device_ptrIfEEEEPS6_SG_NS0_5tupleIJSF_S6_EEENSH_IJSG_SG_EEES6_PlJNSB_9not_fun_tI7is_trueIfEEEEEE10hipError_tPvRmT3_T4_T5_T6_T7_T9_mT8_P12ihipStream_tbDpT10_ENKUlT_T0_E_clISt17integral_constantIbLb1EES17_IbLb0EEEEDaS13_S14_EUlS13_E_NS1_11comp_targetILNS1_3genE8ELNS1_11target_archE1030ELNS1_3gpuE2ELNS1_3repE0EEENS1_30default_config_static_selectorELNS0_4arch9wavefront6targetE0EEEvT1_
; %bb.0:
	.section	.rodata,"a",@progbits
	.p2align	6, 0x0
	.amdhsa_kernel _ZN7rocprim17ROCPRIM_400000_NS6detail17trampoline_kernelINS0_14default_configENS1_25partition_config_selectorILNS1_17partition_subalgoE6EfNS0_10empty_typeEbEEZZNS1_14partition_implILS5_6ELb0ES3_mN6thrust23THRUST_200600_302600_NS6detail15normal_iteratorINSA_10device_ptrIfEEEEPS6_SG_NS0_5tupleIJSF_S6_EEENSH_IJSG_SG_EEES6_PlJNSB_9not_fun_tI7is_trueIfEEEEEE10hipError_tPvRmT3_T4_T5_T6_T7_T9_mT8_P12ihipStream_tbDpT10_ENKUlT_T0_E_clISt17integral_constantIbLb1EES17_IbLb0EEEEDaS13_S14_EUlS13_E_NS1_11comp_targetILNS1_3genE8ELNS1_11target_archE1030ELNS1_3gpuE2ELNS1_3repE0EEENS1_30default_config_static_selectorELNS0_4arch9wavefront6targetE0EEEvT1_
		.amdhsa_group_segment_fixed_size 0
		.amdhsa_private_segment_fixed_size 0
		.amdhsa_kernarg_size 112
		.amdhsa_user_sgpr_count 2
		.amdhsa_user_sgpr_dispatch_ptr 0
		.amdhsa_user_sgpr_queue_ptr 0
		.amdhsa_user_sgpr_kernarg_segment_ptr 1
		.amdhsa_user_sgpr_dispatch_id 0
		.amdhsa_user_sgpr_private_segment_size 0
		.amdhsa_wavefront_size32 1
		.amdhsa_uses_dynamic_stack 0
		.amdhsa_enable_private_segment 0
		.amdhsa_system_sgpr_workgroup_id_x 1
		.amdhsa_system_sgpr_workgroup_id_y 0
		.amdhsa_system_sgpr_workgroup_id_z 0
		.amdhsa_system_sgpr_workgroup_info 0
		.amdhsa_system_vgpr_workitem_id 0
		.amdhsa_next_free_vgpr 1
		.amdhsa_next_free_sgpr 1
		.amdhsa_reserve_vcc 0
		.amdhsa_float_round_mode_32 0
		.amdhsa_float_round_mode_16_64 0
		.amdhsa_float_denorm_mode_32 3
		.amdhsa_float_denorm_mode_16_64 3
		.amdhsa_fp16_overflow 0
		.amdhsa_workgroup_processor_mode 1
		.amdhsa_memory_ordered 1
		.amdhsa_forward_progress 1
		.amdhsa_inst_pref_size 0
		.amdhsa_round_robin_scheduling 0
		.amdhsa_exception_fp_ieee_invalid_op 0
		.amdhsa_exception_fp_denorm_src 0
		.amdhsa_exception_fp_ieee_div_zero 0
		.amdhsa_exception_fp_ieee_overflow 0
		.amdhsa_exception_fp_ieee_underflow 0
		.amdhsa_exception_fp_ieee_inexact 0
		.amdhsa_exception_int_div_zero 0
	.end_amdhsa_kernel
	.section	.text._ZN7rocprim17ROCPRIM_400000_NS6detail17trampoline_kernelINS0_14default_configENS1_25partition_config_selectorILNS1_17partition_subalgoE6EfNS0_10empty_typeEbEEZZNS1_14partition_implILS5_6ELb0ES3_mN6thrust23THRUST_200600_302600_NS6detail15normal_iteratorINSA_10device_ptrIfEEEEPS6_SG_NS0_5tupleIJSF_S6_EEENSH_IJSG_SG_EEES6_PlJNSB_9not_fun_tI7is_trueIfEEEEEE10hipError_tPvRmT3_T4_T5_T6_T7_T9_mT8_P12ihipStream_tbDpT10_ENKUlT_T0_E_clISt17integral_constantIbLb1EES17_IbLb0EEEEDaS13_S14_EUlS13_E_NS1_11comp_targetILNS1_3genE8ELNS1_11target_archE1030ELNS1_3gpuE2ELNS1_3repE0EEENS1_30default_config_static_selectorELNS0_4arch9wavefront6targetE0EEEvT1_,"axG",@progbits,_ZN7rocprim17ROCPRIM_400000_NS6detail17trampoline_kernelINS0_14default_configENS1_25partition_config_selectorILNS1_17partition_subalgoE6EfNS0_10empty_typeEbEEZZNS1_14partition_implILS5_6ELb0ES3_mN6thrust23THRUST_200600_302600_NS6detail15normal_iteratorINSA_10device_ptrIfEEEEPS6_SG_NS0_5tupleIJSF_S6_EEENSH_IJSG_SG_EEES6_PlJNSB_9not_fun_tI7is_trueIfEEEEEE10hipError_tPvRmT3_T4_T5_T6_T7_T9_mT8_P12ihipStream_tbDpT10_ENKUlT_T0_E_clISt17integral_constantIbLb1EES17_IbLb0EEEEDaS13_S14_EUlS13_E_NS1_11comp_targetILNS1_3genE8ELNS1_11target_archE1030ELNS1_3gpuE2ELNS1_3repE0EEENS1_30default_config_static_selectorELNS0_4arch9wavefront6targetE0EEEvT1_,comdat
.Lfunc_end1100:
	.size	_ZN7rocprim17ROCPRIM_400000_NS6detail17trampoline_kernelINS0_14default_configENS1_25partition_config_selectorILNS1_17partition_subalgoE6EfNS0_10empty_typeEbEEZZNS1_14partition_implILS5_6ELb0ES3_mN6thrust23THRUST_200600_302600_NS6detail15normal_iteratorINSA_10device_ptrIfEEEEPS6_SG_NS0_5tupleIJSF_S6_EEENSH_IJSG_SG_EEES6_PlJNSB_9not_fun_tI7is_trueIfEEEEEE10hipError_tPvRmT3_T4_T5_T6_T7_T9_mT8_P12ihipStream_tbDpT10_ENKUlT_T0_E_clISt17integral_constantIbLb1EES17_IbLb0EEEEDaS13_S14_EUlS13_E_NS1_11comp_targetILNS1_3genE8ELNS1_11target_archE1030ELNS1_3gpuE2ELNS1_3repE0EEENS1_30default_config_static_selectorELNS0_4arch9wavefront6targetE0EEEvT1_, .Lfunc_end1100-_ZN7rocprim17ROCPRIM_400000_NS6detail17trampoline_kernelINS0_14default_configENS1_25partition_config_selectorILNS1_17partition_subalgoE6EfNS0_10empty_typeEbEEZZNS1_14partition_implILS5_6ELb0ES3_mN6thrust23THRUST_200600_302600_NS6detail15normal_iteratorINSA_10device_ptrIfEEEEPS6_SG_NS0_5tupleIJSF_S6_EEENSH_IJSG_SG_EEES6_PlJNSB_9not_fun_tI7is_trueIfEEEEEE10hipError_tPvRmT3_T4_T5_T6_T7_T9_mT8_P12ihipStream_tbDpT10_ENKUlT_T0_E_clISt17integral_constantIbLb1EES17_IbLb0EEEEDaS13_S14_EUlS13_E_NS1_11comp_targetILNS1_3genE8ELNS1_11target_archE1030ELNS1_3gpuE2ELNS1_3repE0EEENS1_30default_config_static_selectorELNS0_4arch9wavefront6targetE0EEEvT1_
                                        ; -- End function
	.set _ZN7rocprim17ROCPRIM_400000_NS6detail17trampoline_kernelINS0_14default_configENS1_25partition_config_selectorILNS1_17partition_subalgoE6EfNS0_10empty_typeEbEEZZNS1_14partition_implILS5_6ELb0ES3_mN6thrust23THRUST_200600_302600_NS6detail15normal_iteratorINSA_10device_ptrIfEEEEPS6_SG_NS0_5tupleIJSF_S6_EEENSH_IJSG_SG_EEES6_PlJNSB_9not_fun_tI7is_trueIfEEEEEE10hipError_tPvRmT3_T4_T5_T6_T7_T9_mT8_P12ihipStream_tbDpT10_ENKUlT_T0_E_clISt17integral_constantIbLb1EES17_IbLb0EEEEDaS13_S14_EUlS13_E_NS1_11comp_targetILNS1_3genE8ELNS1_11target_archE1030ELNS1_3gpuE2ELNS1_3repE0EEENS1_30default_config_static_selectorELNS0_4arch9wavefront6targetE0EEEvT1_.num_vgpr, 0
	.set _ZN7rocprim17ROCPRIM_400000_NS6detail17trampoline_kernelINS0_14default_configENS1_25partition_config_selectorILNS1_17partition_subalgoE6EfNS0_10empty_typeEbEEZZNS1_14partition_implILS5_6ELb0ES3_mN6thrust23THRUST_200600_302600_NS6detail15normal_iteratorINSA_10device_ptrIfEEEEPS6_SG_NS0_5tupleIJSF_S6_EEENSH_IJSG_SG_EEES6_PlJNSB_9not_fun_tI7is_trueIfEEEEEE10hipError_tPvRmT3_T4_T5_T6_T7_T9_mT8_P12ihipStream_tbDpT10_ENKUlT_T0_E_clISt17integral_constantIbLb1EES17_IbLb0EEEEDaS13_S14_EUlS13_E_NS1_11comp_targetILNS1_3genE8ELNS1_11target_archE1030ELNS1_3gpuE2ELNS1_3repE0EEENS1_30default_config_static_selectorELNS0_4arch9wavefront6targetE0EEEvT1_.num_agpr, 0
	.set _ZN7rocprim17ROCPRIM_400000_NS6detail17trampoline_kernelINS0_14default_configENS1_25partition_config_selectorILNS1_17partition_subalgoE6EfNS0_10empty_typeEbEEZZNS1_14partition_implILS5_6ELb0ES3_mN6thrust23THRUST_200600_302600_NS6detail15normal_iteratorINSA_10device_ptrIfEEEEPS6_SG_NS0_5tupleIJSF_S6_EEENSH_IJSG_SG_EEES6_PlJNSB_9not_fun_tI7is_trueIfEEEEEE10hipError_tPvRmT3_T4_T5_T6_T7_T9_mT8_P12ihipStream_tbDpT10_ENKUlT_T0_E_clISt17integral_constantIbLb1EES17_IbLb0EEEEDaS13_S14_EUlS13_E_NS1_11comp_targetILNS1_3genE8ELNS1_11target_archE1030ELNS1_3gpuE2ELNS1_3repE0EEENS1_30default_config_static_selectorELNS0_4arch9wavefront6targetE0EEEvT1_.numbered_sgpr, 0
	.set _ZN7rocprim17ROCPRIM_400000_NS6detail17trampoline_kernelINS0_14default_configENS1_25partition_config_selectorILNS1_17partition_subalgoE6EfNS0_10empty_typeEbEEZZNS1_14partition_implILS5_6ELb0ES3_mN6thrust23THRUST_200600_302600_NS6detail15normal_iteratorINSA_10device_ptrIfEEEEPS6_SG_NS0_5tupleIJSF_S6_EEENSH_IJSG_SG_EEES6_PlJNSB_9not_fun_tI7is_trueIfEEEEEE10hipError_tPvRmT3_T4_T5_T6_T7_T9_mT8_P12ihipStream_tbDpT10_ENKUlT_T0_E_clISt17integral_constantIbLb1EES17_IbLb0EEEEDaS13_S14_EUlS13_E_NS1_11comp_targetILNS1_3genE8ELNS1_11target_archE1030ELNS1_3gpuE2ELNS1_3repE0EEENS1_30default_config_static_selectorELNS0_4arch9wavefront6targetE0EEEvT1_.num_named_barrier, 0
	.set _ZN7rocprim17ROCPRIM_400000_NS6detail17trampoline_kernelINS0_14default_configENS1_25partition_config_selectorILNS1_17partition_subalgoE6EfNS0_10empty_typeEbEEZZNS1_14partition_implILS5_6ELb0ES3_mN6thrust23THRUST_200600_302600_NS6detail15normal_iteratorINSA_10device_ptrIfEEEEPS6_SG_NS0_5tupleIJSF_S6_EEENSH_IJSG_SG_EEES6_PlJNSB_9not_fun_tI7is_trueIfEEEEEE10hipError_tPvRmT3_T4_T5_T6_T7_T9_mT8_P12ihipStream_tbDpT10_ENKUlT_T0_E_clISt17integral_constantIbLb1EES17_IbLb0EEEEDaS13_S14_EUlS13_E_NS1_11comp_targetILNS1_3genE8ELNS1_11target_archE1030ELNS1_3gpuE2ELNS1_3repE0EEENS1_30default_config_static_selectorELNS0_4arch9wavefront6targetE0EEEvT1_.private_seg_size, 0
	.set _ZN7rocprim17ROCPRIM_400000_NS6detail17trampoline_kernelINS0_14default_configENS1_25partition_config_selectorILNS1_17partition_subalgoE6EfNS0_10empty_typeEbEEZZNS1_14partition_implILS5_6ELb0ES3_mN6thrust23THRUST_200600_302600_NS6detail15normal_iteratorINSA_10device_ptrIfEEEEPS6_SG_NS0_5tupleIJSF_S6_EEENSH_IJSG_SG_EEES6_PlJNSB_9not_fun_tI7is_trueIfEEEEEE10hipError_tPvRmT3_T4_T5_T6_T7_T9_mT8_P12ihipStream_tbDpT10_ENKUlT_T0_E_clISt17integral_constantIbLb1EES17_IbLb0EEEEDaS13_S14_EUlS13_E_NS1_11comp_targetILNS1_3genE8ELNS1_11target_archE1030ELNS1_3gpuE2ELNS1_3repE0EEENS1_30default_config_static_selectorELNS0_4arch9wavefront6targetE0EEEvT1_.uses_vcc, 0
	.set _ZN7rocprim17ROCPRIM_400000_NS6detail17trampoline_kernelINS0_14default_configENS1_25partition_config_selectorILNS1_17partition_subalgoE6EfNS0_10empty_typeEbEEZZNS1_14partition_implILS5_6ELb0ES3_mN6thrust23THRUST_200600_302600_NS6detail15normal_iteratorINSA_10device_ptrIfEEEEPS6_SG_NS0_5tupleIJSF_S6_EEENSH_IJSG_SG_EEES6_PlJNSB_9not_fun_tI7is_trueIfEEEEEE10hipError_tPvRmT3_T4_T5_T6_T7_T9_mT8_P12ihipStream_tbDpT10_ENKUlT_T0_E_clISt17integral_constantIbLb1EES17_IbLb0EEEEDaS13_S14_EUlS13_E_NS1_11comp_targetILNS1_3genE8ELNS1_11target_archE1030ELNS1_3gpuE2ELNS1_3repE0EEENS1_30default_config_static_selectorELNS0_4arch9wavefront6targetE0EEEvT1_.uses_flat_scratch, 0
	.set _ZN7rocprim17ROCPRIM_400000_NS6detail17trampoline_kernelINS0_14default_configENS1_25partition_config_selectorILNS1_17partition_subalgoE6EfNS0_10empty_typeEbEEZZNS1_14partition_implILS5_6ELb0ES3_mN6thrust23THRUST_200600_302600_NS6detail15normal_iteratorINSA_10device_ptrIfEEEEPS6_SG_NS0_5tupleIJSF_S6_EEENSH_IJSG_SG_EEES6_PlJNSB_9not_fun_tI7is_trueIfEEEEEE10hipError_tPvRmT3_T4_T5_T6_T7_T9_mT8_P12ihipStream_tbDpT10_ENKUlT_T0_E_clISt17integral_constantIbLb1EES17_IbLb0EEEEDaS13_S14_EUlS13_E_NS1_11comp_targetILNS1_3genE8ELNS1_11target_archE1030ELNS1_3gpuE2ELNS1_3repE0EEENS1_30default_config_static_selectorELNS0_4arch9wavefront6targetE0EEEvT1_.has_dyn_sized_stack, 0
	.set _ZN7rocprim17ROCPRIM_400000_NS6detail17trampoline_kernelINS0_14default_configENS1_25partition_config_selectorILNS1_17partition_subalgoE6EfNS0_10empty_typeEbEEZZNS1_14partition_implILS5_6ELb0ES3_mN6thrust23THRUST_200600_302600_NS6detail15normal_iteratorINSA_10device_ptrIfEEEEPS6_SG_NS0_5tupleIJSF_S6_EEENSH_IJSG_SG_EEES6_PlJNSB_9not_fun_tI7is_trueIfEEEEEE10hipError_tPvRmT3_T4_T5_T6_T7_T9_mT8_P12ihipStream_tbDpT10_ENKUlT_T0_E_clISt17integral_constantIbLb1EES17_IbLb0EEEEDaS13_S14_EUlS13_E_NS1_11comp_targetILNS1_3genE8ELNS1_11target_archE1030ELNS1_3gpuE2ELNS1_3repE0EEENS1_30default_config_static_selectorELNS0_4arch9wavefront6targetE0EEEvT1_.has_recursion, 0
	.set _ZN7rocprim17ROCPRIM_400000_NS6detail17trampoline_kernelINS0_14default_configENS1_25partition_config_selectorILNS1_17partition_subalgoE6EfNS0_10empty_typeEbEEZZNS1_14partition_implILS5_6ELb0ES3_mN6thrust23THRUST_200600_302600_NS6detail15normal_iteratorINSA_10device_ptrIfEEEEPS6_SG_NS0_5tupleIJSF_S6_EEENSH_IJSG_SG_EEES6_PlJNSB_9not_fun_tI7is_trueIfEEEEEE10hipError_tPvRmT3_T4_T5_T6_T7_T9_mT8_P12ihipStream_tbDpT10_ENKUlT_T0_E_clISt17integral_constantIbLb1EES17_IbLb0EEEEDaS13_S14_EUlS13_E_NS1_11comp_targetILNS1_3genE8ELNS1_11target_archE1030ELNS1_3gpuE2ELNS1_3repE0EEENS1_30default_config_static_selectorELNS0_4arch9wavefront6targetE0EEEvT1_.has_indirect_call, 0
	.section	.AMDGPU.csdata,"",@progbits
; Kernel info:
; codeLenInByte = 0
; TotalNumSgprs: 0
; NumVgprs: 0
; ScratchSize: 0
; MemoryBound: 0
; FloatMode: 240
; IeeeMode: 1
; LDSByteSize: 0 bytes/workgroup (compile time only)
; SGPRBlocks: 0
; VGPRBlocks: 0
; NumSGPRsForWavesPerEU: 1
; NumVGPRsForWavesPerEU: 1
; Occupancy: 16
; WaveLimiterHint : 0
; COMPUTE_PGM_RSRC2:SCRATCH_EN: 0
; COMPUTE_PGM_RSRC2:USER_SGPR: 2
; COMPUTE_PGM_RSRC2:TRAP_HANDLER: 0
; COMPUTE_PGM_RSRC2:TGID_X_EN: 1
; COMPUTE_PGM_RSRC2:TGID_Y_EN: 0
; COMPUTE_PGM_RSRC2:TGID_Z_EN: 0
; COMPUTE_PGM_RSRC2:TIDIG_COMP_CNT: 0
	.section	.text._ZN7rocprim17ROCPRIM_400000_NS6detail17trampoline_kernelINS0_14default_configENS1_25partition_config_selectorILNS1_17partition_subalgoE6EfNS0_10empty_typeEbEEZZNS1_14partition_implILS5_6ELb0ES3_mN6thrust23THRUST_200600_302600_NS6detail15normal_iteratorINSA_10device_ptrIfEEEEPS6_SG_NS0_5tupleIJSF_S6_EEENSH_IJSG_SG_EEES6_PlJNSB_9not_fun_tI7is_trueIfEEEEEE10hipError_tPvRmT3_T4_T5_T6_T7_T9_mT8_P12ihipStream_tbDpT10_ENKUlT_T0_E_clISt17integral_constantIbLb0EES17_IbLb1EEEEDaS13_S14_EUlS13_E_NS1_11comp_targetILNS1_3genE0ELNS1_11target_archE4294967295ELNS1_3gpuE0ELNS1_3repE0EEENS1_30default_config_static_selectorELNS0_4arch9wavefront6targetE0EEEvT1_,"axG",@progbits,_ZN7rocprim17ROCPRIM_400000_NS6detail17trampoline_kernelINS0_14default_configENS1_25partition_config_selectorILNS1_17partition_subalgoE6EfNS0_10empty_typeEbEEZZNS1_14partition_implILS5_6ELb0ES3_mN6thrust23THRUST_200600_302600_NS6detail15normal_iteratorINSA_10device_ptrIfEEEEPS6_SG_NS0_5tupleIJSF_S6_EEENSH_IJSG_SG_EEES6_PlJNSB_9not_fun_tI7is_trueIfEEEEEE10hipError_tPvRmT3_T4_T5_T6_T7_T9_mT8_P12ihipStream_tbDpT10_ENKUlT_T0_E_clISt17integral_constantIbLb0EES17_IbLb1EEEEDaS13_S14_EUlS13_E_NS1_11comp_targetILNS1_3genE0ELNS1_11target_archE4294967295ELNS1_3gpuE0ELNS1_3repE0EEENS1_30default_config_static_selectorELNS0_4arch9wavefront6targetE0EEEvT1_,comdat
	.protected	_ZN7rocprim17ROCPRIM_400000_NS6detail17trampoline_kernelINS0_14default_configENS1_25partition_config_selectorILNS1_17partition_subalgoE6EfNS0_10empty_typeEbEEZZNS1_14partition_implILS5_6ELb0ES3_mN6thrust23THRUST_200600_302600_NS6detail15normal_iteratorINSA_10device_ptrIfEEEEPS6_SG_NS0_5tupleIJSF_S6_EEENSH_IJSG_SG_EEES6_PlJNSB_9not_fun_tI7is_trueIfEEEEEE10hipError_tPvRmT3_T4_T5_T6_T7_T9_mT8_P12ihipStream_tbDpT10_ENKUlT_T0_E_clISt17integral_constantIbLb0EES17_IbLb1EEEEDaS13_S14_EUlS13_E_NS1_11comp_targetILNS1_3genE0ELNS1_11target_archE4294967295ELNS1_3gpuE0ELNS1_3repE0EEENS1_30default_config_static_selectorELNS0_4arch9wavefront6targetE0EEEvT1_ ; -- Begin function _ZN7rocprim17ROCPRIM_400000_NS6detail17trampoline_kernelINS0_14default_configENS1_25partition_config_selectorILNS1_17partition_subalgoE6EfNS0_10empty_typeEbEEZZNS1_14partition_implILS5_6ELb0ES3_mN6thrust23THRUST_200600_302600_NS6detail15normal_iteratorINSA_10device_ptrIfEEEEPS6_SG_NS0_5tupleIJSF_S6_EEENSH_IJSG_SG_EEES6_PlJNSB_9not_fun_tI7is_trueIfEEEEEE10hipError_tPvRmT3_T4_T5_T6_T7_T9_mT8_P12ihipStream_tbDpT10_ENKUlT_T0_E_clISt17integral_constantIbLb0EES17_IbLb1EEEEDaS13_S14_EUlS13_E_NS1_11comp_targetILNS1_3genE0ELNS1_11target_archE4294967295ELNS1_3gpuE0ELNS1_3repE0EEENS1_30default_config_static_selectorELNS0_4arch9wavefront6targetE0EEEvT1_
	.globl	_ZN7rocprim17ROCPRIM_400000_NS6detail17trampoline_kernelINS0_14default_configENS1_25partition_config_selectorILNS1_17partition_subalgoE6EfNS0_10empty_typeEbEEZZNS1_14partition_implILS5_6ELb0ES3_mN6thrust23THRUST_200600_302600_NS6detail15normal_iteratorINSA_10device_ptrIfEEEEPS6_SG_NS0_5tupleIJSF_S6_EEENSH_IJSG_SG_EEES6_PlJNSB_9not_fun_tI7is_trueIfEEEEEE10hipError_tPvRmT3_T4_T5_T6_T7_T9_mT8_P12ihipStream_tbDpT10_ENKUlT_T0_E_clISt17integral_constantIbLb0EES17_IbLb1EEEEDaS13_S14_EUlS13_E_NS1_11comp_targetILNS1_3genE0ELNS1_11target_archE4294967295ELNS1_3gpuE0ELNS1_3repE0EEENS1_30default_config_static_selectorELNS0_4arch9wavefront6targetE0EEEvT1_
	.p2align	8
	.type	_ZN7rocprim17ROCPRIM_400000_NS6detail17trampoline_kernelINS0_14default_configENS1_25partition_config_selectorILNS1_17partition_subalgoE6EfNS0_10empty_typeEbEEZZNS1_14partition_implILS5_6ELb0ES3_mN6thrust23THRUST_200600_302600_NS6detail15normal_iteratorINSA_10device_ptrIfEEEEPS6_SG_NS0_5tupleIJSF_S6_EEENSH_IJSG_SG_EEES6_PlJNSB_9not_fun_tI7is_trueIfEEEEEE10hipError_tPvRmT3_T4_T5_T6_T7_T9_mT8_P12ihipStream_tbDpT10_ENKUlT_T0_E_clISt17integral_constantIbLb0EES17_IbLb1EEEEDaS13_S14_EUlS13_E_NS1_11comp_targetILNS1_3genE0ELNS1_11target_archE4294967295ELNS1_3gpuE0ELNS1_3repE0EEENS1_30default_config_static_selectorELNS0_4arch9wavefront6targetE0EEEvT1_,@function
_ZN7rocprim17ROCPRIM_400000_NS6detail17trampoline_kernelINS0_14default_configENS1_25partition_config_selectorILNS1_17partition_subalgoE6EfNS0_10empty_typeEbEEZZNS1_14partition_implILS5_6ELb0ES3_mN6thrust23THRUST_200600_302600_NS6detail15normal_iteratorINSA_10device_ptrIfEEEEPS6_SG_NS0_5tupleIJSF_S6_EEENSH_IJSG_SG_EEES6_PlJNSB_9not_fun_tI7is_trueIfEEEEEE10hipError_tPvRmT3_T4_T5_T6_T7_T9_mT8_P12ihipStream_tbDpT10_ENKUlT_T0_E_clISt17integral_constantIbLb0EES17_IbLb1EEEEDaS13_S14_EUlS13_E_NS1_11comp_targetILNS1_3genE0ELNS1_11target_archE4294967295ELNS1_3gpuE0ELNS1_3repE0EEENS1_30default_config_static_selectorELNS0_4arch9wavefront6targetE0EEEvT1_: ; @_ZN7rocprim17ROCPRIM_400000_NS6detail17trampoline_kernelINS0_14default_configENS1_25partition_config_selectorILNS1_17partition_subalgoE6EfNS0_10empty_typeEbEEZZNS1_14partition_implILS5_6ELb0ES3_mN6thrust23THRUST_200600_302600_NS6detail15normal_iteratorINSA_10device_ptrIfEEEEPS6_SG_NS0_5tupleIJSF_S6_EEENSH_IJSG_SG_EEES6_PlJNSB_9not_fun_tI7is_trueIfEEEEEE10hipError_tPvRmT3_T4_T5_T6_T7_T9_mT8_P12ihipStream_tbDpT10_ENKUlT_T0_E_clISt17integral_constantIbLb0EES17_IbLb1EEEEDaS13_S14_EUlS13_E_NS1_11comp_targetILNS1_3genE0ELNS1_11target_archE4294967295ELNS1_3gpuE0ELNS1_3repE0EEENS1_30default_config_static_selectorELNS0_4arch9wavefront6targetE0EEEvT1_
; %bb.0:
	.section	.rodata,"a",@progbits
	.p2align	6, 0x0
	.amdhsa_kernel _ZN7rocprim17ROCPRIM_400000_NS6detail17trampoline_kernelINS0_14default_configENS1_25partition_config_selectorILNS1_17partition_subalgoE6EfNS0_10empty_typeEbEEZZNS1_14partition_implILS5_6ELb0ES3_mN6thrust23THRUST_200600_302600_NS6detail15normal_iteratorINSA_10device_ptrIfEEEEPS6_SG_NS0_5tupleIJSF_S6_EEENSH_IJSG_SG_EEES6_PlJNSB_9not_fun_tI7is_trueIfEEEEEE10hipError_tPvRmT3_T4_T5_T6_T7_T9_mT8_P12ihipStream_tbDpT10_ENKUlT_T0_E_clISt17integral_constantIbLb0EES17_IbLb1EEEEDaS13_S14_EUlS13_E_NS1_11comp_targetILNS1_3genE0ELNS1_11target_archE4294967295ELNS1_3gpuE0ELNS1_3repE0EEENS1_30default_config_static_selectorELNS0_4arch9wavefront6targetE0EEEvT1_
		.amdhsa_group_segment_fixed_size 0
		.amdhsa_private_segment_fixed_size 0
		.amdhsa_kernarg_size 128
		.amdhsa_user_sgpr_count 2
		.amdhsa_user_sgpr_dispatch_ptr 0
		.amdhsa_user_sgpr_queue_ptr 0
		.amdhsa_user_sgpr_kernarg_segment_ptr 1
		.amdhsa_user_sgpr_dispatch_id 0
		.amdhsa_user_sgpr_private_segment_size 0
		.amdhsa_wavefront_size32 1
		.amdhsa_uses_dynamic_stack 0
		.amdhsa_enable_private_segment 0
		.amdhsa_system_sgpr_workgroup_id_x 1
		.amdhsa_system_sgpr_workgroup_id_y 0
		.amdhsa_system_sgpr_workgroup_id_z 0
		.amdhsa_system_sgpr_workgroup_info 0
		.amdhsa_system_vgpr_workitem_id 0
		.amdhsa_next_free_vgpr 1
		.amdhsa_next_free_sgpr 1
		.amdhsa_reserve_vcc 0
		.amdhsa_float_round_mode_32 0
		.amdhsa_float_round_mode_16_64 0
		.amdhsa_float_denorm_mode_32 3
		.amdhsa_float_denorm_mode_16_64 3
		.amdhsa_fp16_overflow 0
		.amdhsa_workgroup_processor_mode 1
		.amdhsa_memory_ordered 1
		.amdhsa_forward_progress 1
		.amdhsa_inst_pref_size 0
		.amdhsa_round_robin_scheduling 0
		.amdhsa_exception_fp_ieee_invalid_op 0
		.amdhsa_exception_fp_denorm_src 0
		.amdhsa_exception_fp_ieee_div_zero 0
		.amdhsa_exception_fp_ieee_overflow 0
		.amdhsa_exception_fp_ieee_underflow 0
		.amdhsa_exception_fp_ieee_inexact 0
		.amdhsa_exception_int_div_zero 0
	.end_amdhsa_kernel
	.section	.text._ZN7rocprim17ROCPRIM_400000_NS6detail17trampoline_kernelINS0_14default_configENS1_25partition_config_selectorILNS1_17partition_subalgoE6EfNS0_10empty_typeEbEEZZNS1_14partition_implILS5_6ELb0ES3_mN6thrust23THRUST_200600_302600_NS6detail15normal_iteratorINSA_10device_ptrIfEEEEPS6_SG_NS0_5tupleIJSF_S6_EEENSH_IJSG_SG_EEES6_PlJNSB_9not_fun_tI7is_trueIfEEEEEE10hipError_tPvRmT3_T4_T5_T6_T7_T9_mT8_P12ihipStream_tbDpT10_ENKUlT_T0_E_clISt17integral_constantIbLb0EES17_IbLb1EEEEDaS13_S14_EUlS13_E_NS1_11comp_targetILNS1_3genE0ELNS1_11target_archE4294967295ELNS1_3gpuE0ELNS1_3repE0EEENS1_30default_config_static_selectorELNS0_4arch9wavefront6targetE0EEEvT1_,"axG",@progbits,_ZN7rocprim17ROCPRIM_400000_NS6detail17trampoline_kernelINS0_14default_configENS1_25partition_config_selectorILNS1_17partition_subalgoE6EfNS0_10empty_typeEbEEZZNS1_14partition_implILS5_6ELb0ES3_mN6thrust23THRUST_200600_302600_NS6detail15normal_iteratorINSA_10device_ptrIfEEEEPS6_SG_NS0_5tupleIJSF_S6_EEENSH_IJSG_SG_EEES6_PlJNSB_9not_fun_tI7is_trueIfEEEEEE10hipError_tPvRmT3_T4_T5_T6_T7_T9_mT8_P12ihipStream_tbDpT10_ENKUlT_T0_E_clISt17integral_constantIbLb0EES17_IbLb1EEEEDaS13_S14_EUlS13_E_NS1_11comp_targetILNS1_3genE0ELNS1_11target_archE4294967295ELNS1_3gpuE0ELNS1_3repE0EEENS1_30default_config_static_selectorELNS0_4arch9wavefront6targetE0EEEvT1_,comdat
.Lfunc_end1101:
	.size	_ZN7rocprim17ROCPRIM_400000_NS6detail17trampoline_kernelINS0_14default_configENS1_25partition_config_selectorILNS1_17partition_subalgoE6EfNS0_10empty_typeEbEEZZNS1_14partition_implILS5_6ELb0ES3_mN6thrust23THRUST_200600_302600_NS6detail15normal_iteratorINSA_10device_ptrIfEEEEPS6_SG_NS0_5tupleIJSF_S6_EEENSH_IJSG_SG_EEES6_PlJNSB_9not_fun_tI7is_trueIfEEEEEE10hipError_tPvRmT3_T4_T5_T6_T7_T9_mT8_P12ihipStream_tbDpT10_ENKUlT_T0_E_clISt17integral_constantIbLb0EES17_IbLb1EEEEDaS13_S14_EUlS13_E_NS1_11comp_targetILNS1_3genE0ELNS1_11target_archE4294967295ELNS1_3gpuE0ELNS1_3repE0EEENS1_30default_config_static_selectorELNS0_4arch9wavefront6targetE0EEEvT1_, .Lfunc_end1101-_ZN7rocprim17ROCPRIM_400000_NS6detail17trampoline_kernelINS0_14default_configENS1_25partition_config_selectorILNS1_17partition_subalgoE6EfNS0_10empty_typeEbEEZZNS1_14partition_implILS5_6ELb0ES3_mN6thrust23THRUST_200600_302600_NS6detail15normal_iteratorINSA_10device_ptrIfEEEEPS6_SG_NS0_5tupleIJSF_S6_EEENSH_IJSG_SG_EEES6_PlJNSB_9not_fun_tI7is_trueIfEEEEEE10hipError_tPvRmT3_T4_T5_T6_T7_T9_mT8_P12ihipStream_tbDpT10_ENKUlT_T0_E_clISt17integral_constantIbLb0EES17_IbLb1EEEEDaS13_S14_EUlS13_E_NS1_11comp_targetILNS1_3genE0ELNS1_11target_archE4294967295ELNS1_3gpuE0ELNS1_3repE0EEENS1_30default_config_static_selectorELNS0_4arch9wavefront6targetE0EEEvT1_
                                        ; -- End function
	.set _ZN7rocprim17ROCPRIM_400000_NS6detail17trampoline_kernelINS0_14default_configENS1_25partition_config_selectorILNS1_17partition_subalgoE6EfNS0_10empty_typeEbEEZZNS1_14partition_implILS5_6ELb0ES3_mN6thrust23THRUST_200600_302600_NS6detail15normal_iteratorINSA_10device_ptrIfEEEEPS6_SG_NS0_5tupleIJSF_S6_EEENSH_IJSG_SG_EEES6_PlJNSB_9not_fun_tI7is_trueIfEEEEEE10hipError_tPvRmT3_T4_T5_T6_T7_T9_mT8_P12ihipStream_tbDpT10_ENKUlT_T0_E_clISt17integral_constantIbLb0EES17_IbLb1EEEEDaS13_S14_EUlS13_E_NS1_11comp_targetILNS1_3genE0ELNS1_11target_archE4294967295ELNS1_3gpuE0ELNS1_3repE0EEENS1_30default_config_static_selectorELNS0_4arch9wavefront6targetE0EEEvT1_.num_vgpr, 0
	.set _ZN7rocprim17ROCPRIM_400000_NS6detail17trampoline_kernelINS0_14default_configENS1_25partition_config_selectorILNS1_17partition_subalgoE6EfNS0_10empty_typeEbEEZZNS1_14partition_implILS5_6ELb0ES3_mN6thrust23THRUST_200600_302600_NS6detail15normal_iteratorINSA_10device_ptrIfEEEEPS6_SG_NS0_5tupleIJSF_S6_EEENSH_IJSG_SG_EEES6_PlJNSB_9not_fun_tI7is_trueIfEEEEEE10hipError_tPvRmT3_T4_T5_T6_T7_T9_mT8_P12ihipStream_tbDpT10_ENKUlT_T0_E_clISt17integral_constantIbLb0EES17_IbLb1EEEEDaS13_S14_EUlS13_E_NS1_11comp_targetILNS1_3genE0ELNS1_11target_archE4294967295ELNS1_3gpuE0ELNS1_3repE0EEENS1_30default_config_static_selectorELNS0_4arch9wavefront6targetE0EEEvT1_.num_agpr, 0
	.set _ZN7rocprim17ROCPRIM_400000_NS6detail17trampoline_kernelINS0_14default_configENS1_25partition_config_selectorILNS1_17partition_subalgoE6EfNS0_10empty_typeEbEEZZNS1_14partition_implILS5_6ELb0ES3_mN6thrust23THRUST_200600_302600_NS6detail15normal_iteratorINSA_10device_ptrIfEEEEPS6_SG_NS0_5tupleIJSF_S6_EEENSH_IJSG_SG_EEES6_PlJNSB_9not_fun_tI7is_trueIfEEEEEE10hipError_tPvRmT3_T4_T5_T6_T7_T9_mT8_P12ihipStream_tbDpT10_ENKUlT_T0_E_clISt17integral_constantIbLb0EES17_IbLb1EEEEDaS13_S14_EUlS13_E_NS1_11comp_targetILNS1_3genE0ELNS1_11target_archE4294967295ELNS1_3gpuE0ELNS1_3repE0EEENS1_30default_config_static_selectorELNS0_4arch9wavefront6targetE0EEEvT1_.numbered_sgpr, 0
	.set _ZN7rocprim17ROCPRIM_400000_NS6detail17trampoline_kernelINS0_14default_configENS1_25partition_config_selectorILNS1_17partition_subalgoE6EfNS0_10empty_typeEbEEZZNS1_14partition_implILS5_6ELb0ES3_mN6thrust23THRUST_200600_302600_NS6detail15normal_iteratorINSA_10device_ptrIfEEEEPS6_SG_NS0_5tupleIJSF_S6_EEENSH_IJSG_SG_EEES6_PlJNSB_9not_fun_tI7is_trueIfEEEEEE10hipError_tPvRmT3_T4_T5_T6_T7_T9_mT8_P12ihipStream_tbDpT10_ENKUlT_T0_E_clISt17integral_constantIbLb0EES17_IbLb1EEEEDaS13_S14_EUlS13_E_NS1_11comp_targetILNS1_3genE0ELNS1_11target_archE4294967295ELNS1_3gpuE0ELNS1_3repE0EEENS1_30default_config_static_selectorELNS0_4arch9wavefront6targetE0EEEvT1_.num_named_barrier, 0
	.set _ZN7rocprim17ROCPRIM_400000_NS6detail17trampoline_kernelINS0_14default_configENS1_25partition_config_selectorILNS1_17partition_subalgoE6EfNS0_10empty_typeEbEEZZNS1_14partition_implILS5_6ELb0ES3_mN6thrust23THRUST_200600_302600_NS6detail15normal_iteratorINSA_10device_ptrIfEEEEPS6_SG_NS0_5tupleIJSF_S6_EEENSH_IJSG_SG_EEES6_PlJNSB_9not_fun_tI7is_trueIfEEEEEE10hipError_tPvRmT3_T4_T5_T6_T7_T9_mT8_P12ihipStream_tbDpT10_ENKUlT_T0_E_clISt17integral_constantIbLb0EES17_IbLb1EEEEDaS13_S14_EUlS13_E_NS1_11comp_targetILNS1_3genE0ELNS1_11target_archE4294967295ELNS1_3gpuE0ELNS1_3repE0EEENS1_30default_config_static_selectorELNS0_4arch9wavefront6targetE0EEEvT1_.private_seg_size, 0
	.set _ZN7rocprim17ROCPRIM_400000_NS6detail17trampoline_kernelINS0_14default_configENS1_25partition_config_selectorILNS1_17partition_subalgoE6EfNS0_10empty_typeEbEEZZNS1_14partition_implILS5_6ELb0ES3_mN6thrust23THRUST_200600_302600_NS6detail15normal_iteratorINSA_10device_ptrIfEEEEPS6_SG_NS0_5tupleIJSF_S6_EEENSH_IJSG_SG_EEES6_PlJNSB_9not_fun_tI7is_trueIfEEEEEE10hipError_tPvRmT3_T4_T5_T6_T7_T9_mT8_P12ihipStream_tbDpT10_ENKUlT_T0_E_clISt17integral_constantIbLb0EES17_IbLb1EEEEDaS13_S14_EUlS13_E_NS1_11comp_targetILNS1_3genE0ELNS1_11target_archE4294967295ELNS1_3gpuE0ELNS1_3repE0EEENS1_30default_config_static_selectorELNS0_4arch9wavefront6targetE0EEEvT1_.uses_vcc, 0
	.set _ZN7rocprim17ROCPRIM_400000_NS6detail17trampoline_kernelINS0_14default_configENS1_25partition_config_selectorILNS1_17partition_subalgoE6EfNS0_10empty_typeEbEEZZNS1_14partition_implILS5_6ELb0ES3_mN6thrust23THRUST_200600_302600_NS6detail15normal_iteratorINSA_10device_ptrIfEEEEPS6_SG_NS0_5tupleIJSF_S6_EEENSH_IJSG_SG_EEES6_PlJNSB_9not_fun_tI7is_trueIfEEEEEE10hipError_tPvRmT3_T4_T5_T6_T7_T9_mT8_P12ihipStream_tbDpT10_ENKUlT_T0_E_clISt17integral_constantIbLb0EES17_IbLb1EEEEDaS13_S14_EUlS13_E_NS1_11comp_targetILNS1_3genE0ELNS1_11target_archE4294967295ELNS1_3gpuE0ELNS1_3repE0EEENS1_30default_config_static_selectorELNS0_4arch9wavefront6targetE0EEEvT1_.uses_flat_scratch, 0
	.set _ZN7rocprim17ROCPRIM_400000_NS6detail17trampoline_kernelINS0_14default_configENS1_25partition_config_selectorILNS1_17partition_subalgoE6EfNS0_10empty_typeEbEEZZNS1_14partition_implILS5_6ELb0ES3_mN6thrust23THRUST_200600_302600_NS6detail15normal_iteratorINSA_10device_ptrIfEEEEPS6_SG_NS0_5tupleIJSF_S6_EEENSH_IJSG_SG_EEES6_PlJNSB_9not_fun_tI7is_trueIfEEEEEE10hipError_tPvRmT3_T4_T5_T6_T7_T9_mT8_P12ihipStream_tbDpT10_ENKUlT_T0_E_clISt17integral_constantIbLb0EES17_IbLb1EEEEDaS13_S14_EUlS13_E_NS1_11comp_targetILNS1_3genE0ELNS1_11target_archE4294967295ELNS1_3gpuE0ELNS1_3repE0EEENS1_30default_config_static_selectorELNS0_4arch9wavefront6targetE0EEEvT1_.has_dyn_sized_stack, 0
	.set _ZN7rocprim17ROCPRIM_400000_NS6detail17trampoline_kernelINS0_14default_configENS1_25partition_config_selectorILNS1_17partition_subalgoE6EfNS0_10empty_typeEbEEZZNS1_14partition_implILS5_6ELb0ES3_mN6thrust23THRUST_200600_302600_NS6detail15normal_iteratorINSA_10device_ptrIfEEEEPS6_SG_NS0_5tupleIJSF_S6_EEENSH_IJSG_SG_EEES6_PlJNSB_9not_fun_tI7is_trueIfEEEEEE10hipError_tPvRmT3_T4_T5_T6_T7_T9_mT8_P12ihipStream_tbDpT10_ENKUlT_T0_E_clISt17integral_constantIbLb0EES17_IbLb1EEEEDaS13_S14_EUlS13_E_NS1_11comp_targetILNS1_3genE0ELNS1_11target_archE4294967295ELNS1_3gpuE0ELNS1_3repE0EEENS1_30default_config_static_selectorELNS0_4arch9wavefront6targetE0EEEvT1_.has_recursion, 0
	.set _ZN7rocprim17ROCPRIM_400000_NS6detail17trampoline_kernelINS0_14default_configENS1_25partition_config_selectorILNS1_17partition_subalgoE6EfNS0_10empty_typeEbEEZZNS1_14partition_implILS5_6ELb0ES3_mN6thrust23THRUST_200600_302600_NS6detail15normal_iteratorINSA_10device_ptrIfEEEEPS6_SG_NS0_5tupleIJSF_S6_EEENSH_IJSG_SG_EEES6_PlJNSB_9not_fun_tI7is_trueIfEEEEEE10hipError_tPvRmT3_T4_T5_T6_T7_T9_mT8_P12ihipStream_tbDpT10_ENKUlT_T0_E_clISt17integral_constantIbLb0EES17_IbLb1EEEEDaS13_S14_EUlS13_E_NS1_11comp_targetILNS1_3genE0ELNS1_11target_archE4294967295ELNS1_3gpuE0ELNS1_3repE0EEENS1_30default_config_static_selectorELNS0_4arch9wavefront6targetE0EEEvT1_.has_indirect_call, 0
	.section	.AMDGPU.csdata,"",@progbits
; Kernel info:
; codeLenInByte = 0
; TotalNumSgprs: 0
; NumVgprs: 0
; ScratchSize: 0
; MemoryBound: 0
; FloatMode: 240
; IeeeMode: 1
; LDSByteSize: 0 bytes/workgroup (compile time only)
; SGPRBlocks: 0
; VGPRBlocks: 0
; NumSGPRsForWavesPerEU: 1
; NumVGPRsForWavesPerEU: 1
; Occupancy: 16
; WaveLimiterHint : 0
; COMPUTE_PGM_RSRC2:SCRATCH_EN: 0
; COMPUTE_PGM_RSRC2:USER_SGPR: 2
; COMPUTE_PGM_RSRC2:TRAP_HANDLER: 0
; COMPUTE_PGM_RSRC2:TGID_X_EN: 1
; COMPUTE_PGM_RSRC2:TGID_Y_EN: 0
; COMPUTE_PGM_RSRC2:TGID_Z_EN: 0
; COMPUTE_PGM_RSRC2:TIDIG_COMP_CNT: 0
	.section	.text._ZN7rocprim17ROCPRIM_400000_NS6detail17trampoline_kernelINS0_14default_configENS1_25partition_config_selectorILNS1_17partition_subalgoE6EfNS0_10empty_typeEbEEZZNS1_14partition_implILS5_6ELb0ES3_mN6thrust23THRUST_200600_302600_NS6detail15normal_iteratorINSA_10device_ptrIfEEEEPS6_SG_NS0_5tupleIJSF_S6_EEENSH_IJSG_SG_EEES6_PlJNSB_9not_fun_tI7is_trueIfEEEEEE10hipError_tPvRmT3_T4_T5_T6_T7_T9_mT8_P12ihipStream_tbDpT10_ENKUlT_T0_E_clISt17integral_constantIbLb0EES17_IbLb1EEEEDaS13_S14_EUlS13_E_NS1_11comp_targetILNS1_3genE5ELNS1_11target_archE942ELNS1_3gpuE9ELNS1_3repE0EEENS1_30default_config_static_selectorELNS0_4arch9wavefront6targetE0EEEvT1_,"axG",@progbits,_ZN7rocprim17ROCPRIM_400000_NS6detail17trampoline_kernelINS0_14default_configENS1_25partition_config_selectorILNS1_17partition_subalgoE6EfNS0_10empty_typeEbEEZZNS1_14partition_implILS5_6ELb0ES3_mN6thrust23THRUST_200600_302600_NS6detail15normal_iteratorINSA_10device_ptrIfEEEEPS6_SG_NS0_5tupleIJSF_S6_EEENSH_IJSG_SG_EEES6_PlJNSB_9not_fun_tI7is_trueIfEEEEEE10hipError_tPvRmT3_T4_T5_T6_T7_T9_mT8_P12ihipStream_tbDpT10_ENKUlT_T0_E_clISt17integral_constantIbLb0EES17_IbLb1EEEEDaS13_S14_EUlS13_E_NS1_11comp_targetILNS1_3genE5ELNS1_11target_archE942ELNS1_3gpuE9ELNS1_3repE0EEENS1_30default_config_static_selectorELNS0_4arch9wavefront6targetE0EEEvT1_,comdat
	.protected	_ZN7rocprim17ROCPRIM_400000_NS6detail17trampoline_kernelINS0_14default_configENS1_25partition_config_selectorILNS1_17partition_subalgoE6EfNS0_10empty_typeEbEEZZNS1_14partition_implILS5_6ELb0ES3_mN6thrust23THRUST_200600_302600_NS6detail15normal_iteratorINSA_10device_ptrIfEEEEPS6_SG_NS0_5tupleIJSF_S6_EEENSH_IJSG_SG_EEES6_PlJNSB_9not_fun_tI7is_trueIfEEEEEE10hipError_tPvRmT3_T4_T5_T6_T7_T9_mT8_P12ihipStream_tbDpT10_ENKUlT_T0_E_clISt17integral_constantIbLb0EES17_IbLb1EEEEDaS13_S14_EUlS13_E_NS1_11comp_targetILNS1_3genE5ELNS1_11target_archE942ELNS1_3gpuE9ELNS1_3repE0EEENS1_30default_config_static_selectorELNS0_4arch9wavefront6targetE0EEEvT1_ ; -- Begin function _ZN7rocprim17ROCPRIM_400000_NS6detail17trampoline_kernelINS0_14default_configENS1_25partition_config_selectorILNS1_17partition_subalgoE6EfNS0_10empty_typeEbEEZZNS1_14partition_implILS5_6ELb0ES3_mN6thrust23THRUST_200600_302600_NS6detail15normal_iteratorINSA_10device_ptrIfEEEEPS6_SG_NS0_5tupleIJSF_S6_EEENSH_IJSG_SG_EEES6_PlJNSB_9not_fun_tI7is_trueIfEEEEEE10hipError_tPvRmT3_T4_T5_T6_T7_T9_mT8_P12ihipStream_tbDpT10_ENKUlT_T0_E_clISt17integral_constantIbLb0EES17_IbLb1EEEEDaS13_S14_EUlS13_E_NS1_11comp_targetILNS1_3genE5ELNS1_11target_archE942ELNS1_3gpuE9ELNS1_3repE0EEENS1_30default_config_static_selectorELNS0_4arch9wavefront6targetE0EEEvT1_
	.globl	_ZN7rocprim17ROCPRIM_400000_NS6detail17trampoline_kernelINS0_14default_configENS1_25partition_config_selectorILNS1_17partition_subalgoE6EfNS0_10empty_typeEbEEZZNS1_14partition_implILS5_6ELb0ES3_mN6thrust23THRUST_200600_302600_NS6detail15normal_iteratorINSA_10device_ptrIfEEEEPS6_SG_NS0_5tupleIJSF_S6_EEENSH_IJSG_SG_EEES6_PlJNSB_9not_fun_tI7is_trueIfEEEEEE10hipError_tPvRmT3_T4_T5_T6_T7_T9_mT8_P12ihipStream_tbDpT10_ENKUlT_T0_E_clISt17integral_constantIbLb0EES17_IbLb1EEEEDaS13_S14_EUlS13_E_NS1_11comp_targetILNS1_3genE5ELNS1_11target_archE942ELNS1_3gpuE9ELNS1_3repE0EEENS1_30default_config_static_selectorELNS0_4arch9wavefront6targetE0EEEvT1_
	.p2align	8
	.type	_ZN7rocprim17ROCPRIM_400000_NS6detail17trampoline_kernelINS0_14default_configENS1_25partition_config_selectorILNS1_17partition_subalgoE6EfNS0_10empty_typeEbEEZZNS1_14partition_implILS5_6ELb0ES3_mN6thrust23THRUST_200600_302600_NS6detail15normal_iteratorINSA_10device_ptrIfEEEEPS6_SG_NS0_5tupleIJSF_S6_EEENSH_IJSG_SG_EEES6_PlJNSB_9not_fun_tI7is_trueIfEEEEEE10hipError_tPvRmT3_T4_T5_T6_T7_T9_mT8_P12ihipStream_tbDpT10_ENKUlT_T0_E_clISt17integral_constantIbLb0EES17_IbLb1EEEEDaS13_S14_EUlS13_E_NS1_11comp_targetILNS1_3genE5ELNS1_11target_archE942ELNS1_3gpuE9ELNS1_3repE0EEENS1_30default_config_static_selectorELNS0_4arch9wavefront6targetE0EEEvT1_,@function
_ZN7rocprim17ROCPRIM_400000_NS6detail17trampoline_kernelINS0_14default_configENS1_25partition_config_selectorILNS1_17partition_subalgoE6EfNS0_10empty_typeEbEEZZNS1_14partition_implILS5_6ELb0ES3_mN6thrust23THRUST_200600_302600_NS6detail15normal_iteratorINSA_10device_ptrIfEEEEPS6_SG_NS0_5tupleIJSF_S6_EEENSH_IJSG_SG_EEES6_PlJNSB_9not_fun_tI7is_trueIfEEEEEE10hipError_tPvRmT3_T4_T5_T6_T7_T9_mT8_P12ihipStream_tbDpT10_ENKUlT_T0_E_clISt17integral_constantIbLb0EES17_IbLb1EEEEDaS13_S14_EUlS13_E_NS1_11comp_targetILNS1_3genE5ELNS1_11target_archE942ELNS1_3gpuE9ELNS1_3repE0EEENS1_30default_config_static_selectorELNS0_4arch9wavefront6targetE0EEEvT1_: ; @_ZN7rocprim17ROCPRIM_400000_NS6detail17trampoline_kernelINS0_14default_configENS1_25partition_config_selectorILNS1_17partition_subalgoE6EfNS0_10empty_typeEbEEZZNS1_14partition_implILS5_6ELb0ES3_mN6thrust23THRUST_200600_302600_NS6detail15normal_iteratorINSA_10device_ptrIfEEEEPS6_SG_NS0_5tupleIJSF_S6_EEENSH_IJSG_SG_EEES6_PlJNSB_9not_fun_tI7is_trueIfEEEEEE10hipError_tPvRmT3_T4_T5_T6_T7_T9_mT8_P12ihipStream_tbDpT10_ENKUlT_T0_E_clISt17integral_constantIbLb0EES17_IbLb1EEEEDaS13_S14_EUlS13_E_NS1_11comp_targetILNS1_3genE5ELNS1_11target_archE942ELNS1_3gpuE9ELNS1_3repE0EEENS1_30default_config_static_selectorELNS0_4arch9wavefront6targetE0EEEvT1_
; %bb.0:
	.section	.rodata,"a",@progbits
	.p2align	6, 0x0
	.amdhsa_kernel _ZN7rocprim17ROCPRIM_400000_NS6detail17trampoline_kernelINS0_14default_configENS1_25partition_config_selectorILNS1_17partition_subalgoE6EfNS0_10empty_typeEbEEZZNS1_14partition_implILS5_6ELb0ES3_mN6thrust23THRUST_200600_302600_NS6detail15normal_iteratorINSA_10device_ptrIfEEEEPS6_SG_NS0_5tupleIJSF_S6_EEENSH_IJSG_SG_EEES6_PlJNSB_9not_fun_tI7is_trueIfEEEEEE10hipError_tPvRmT3_T4_T5_T6_T7_T9_mT8_P12ihipStream_tbDpT10_ENKUlT_T0_E_clISt17integral_constantIbLb0EES17_IbLb1EEEEDaS13_S14_EUlS13_E_NS1_11comp_targetILNS1_3genE5ELNS1_11target_archE942ELNS1_3gpuE9ELNS1_3repE0EEENS1_30default_config_static_selectorELNS0_4arch9wavefront6targetE0EEEvT1_
		.amdhsa_group_segment_fixed_size 0
		.amdhsa_private_segment_fixed_size 0
		.amdhsa_kernarg_size 128
		.amdhsa_user_sgpr_count 2
		.amdhsa_user_sgpr_dispatch_ptr 0
		.amdhsa_user_sgpr_queue_ptr 0
		.amdhsa_user_sgpr_kernarg_segment_ptr 1
		.amdhsa_user_sgpr_dispatch_id 0
		.amdhsa_user_sgpr_private_segment_size 0
		.amdhsa_wavefront_size32 1
		.amdhsa_uses_dynamic_stack 0
		.amdhsa_enable_private_segment 0
		.amdhsa_system_sgpr_workgroup_id_x 1
		.amdhsa_system_sgpr_workgroup_id_y 0
		.amdhsa_system_sgpr_workgroup_id_z 0
		.amdhsa_system_sgpr_workgroup_info 0
		.amdhsa_system_vgpr_workitem_id 0
		.amdhsa_next_free_vgpr 1
		.amdhsa_next_free_sgpr 1
		.amdhsa_reserve_vcc 0
		.amdhsa_float_round_mode_32 0
		.amdhsa_float_round_mode_16_64 0
		.amdhsa_float_denorm_mode_32 3
		.amdhsa_float_denorm_mode_16_64 3
		.amdhsa_fp16_overflow 0
		.amdhsa_workgroup_processor_mode 1
		.amdhsa_memory_ordered 1
		.amdhsa_forward_progress 1
		.amdhsa_inst_pref_size 0
		.amdhsa_round_robin_scheduling 0
		.amdhsa_exception_fp_ieee_invalid_op 0
		.amdhsa_exception_fp_denorm_src 0
		.amdhsa_exception_fp_ieee_div_zero 0
		.amdhsa_exception_fp_ieee_overflow 0
		.amdhsa_exception_fp_ieee_underflow 0
		.amdhsa_exception_fp_ieee_inexact 0
		.amdhsa_exception_int_div_zero 0
	.end_amdhsa_kernel
	.section	.text._ZN7rocprim17ROCPRIM_400000_NS6detail17trampoline_kernelINS0_14default_configENS1_25partition_config_selectorILNS1_17partition_subalgoE6EfNS0_10empty_typeEbEEZZNS1_14partition_implILS5_6ELb0ES3_mN6thrust23THRUST_200600_302600_NS6detail15normal_iteratorINSA_10device_ptrIfEEEEPS6_SG_NS0_5tupleIJSF_S6_EEENSH_IJSG_SG_EEES6_PlJNSB_9not_fun_tI7is_trueIfEEEEEE10hipError_tPvRmT3_T4_T5_T6_T7_T9_mT8_P12ihipStream_tbDpT10_ENKUlT_T0_E_clISt17integral_constantIbLb0EES17_IbLb1EEEEDaS13_S14_EUlS13_E_NS1_11comp_targetILNS1_3genE5ELNS1_11target_archE942ELNS1_3gpuE9ELNS1_3repE0EEENS1_30default_config_static_selectorELNS0_4arch9wavefront6targetE0EEEvT1_,"axG",@progbits,_ZN7rocprim17ROCPRIM_400000_NS6detail17trampoline_kernelINS0_14default_configENS1_25partition_config_selectorILNS1_17partition_subalgoE6EfNS0_10empty_typeEbEEZZNS1_14partition_implILS5_6ELb0ES3_mN6thrust23THRUST_200600_302600_NS6detail15normal_iteratorINSA_10device_ptrIfEEEEPS6_SG_NS0_5tupleIJSF_S6_EEENSH_IJSG_SG_EEES6_PlJNSB_9not_fun_tI7is_trueIfEEEEEE10hipError_tPvRmT3_T4_T5_T6_T7_T9_mT8_P12ihipStream_tbDpT10_ENKUlT_T0_E_clISt17integral_constantIbLb0EES17_IbLb1EEEEDaS13_S14_EUlS13_E_NS1_11comp_targetILNS1_3genE5ELNS1_11target_archE942ELNS1_3gpuE9ELNS1_3repE0EEENS1_30default_config_static_selectorELNS0_4arch9wavefront6targetE0EEEvT1_,comdat
.Lfunc_end1102:
	.size	_ZN7rocprim17ROCPRIM_400000_NS6detail17trampoline_kernelINS0_14default_configENS1_25partition_config_selectorILNS1_17partition_subalgoE6EfNS0_10empty_typeEbEEZZNS1_14partition_implILS5_6ELb0ES3_mN6thrust23THRUST_200600_302600_NS6detail15normal_iteratorINSA_10device_ptrIfEEEEPS6_SG_NS0_5tupleIJSF_S6_EEENSH_IJSG_SG_EEES6_PlJNSB_9not_fun_tI7is_trueIfEEEEEE10hipError_tPvRmT3_T4_T5_T6_T7_T9_mT8_P12ihipStream_tbDpT10_ENKUlT_T0_E_clISt17integral_constantIbLb0EES17_IbLb1EEEEDaS13_S14_EUlS13_E_NS1_11comp_targetILNS1_3genE5ELNS1_11target_archE942ELNS1_3gpuE9ELNS1_3repE0EEENS1_30default_config_static_selectorELNS0_4arch9wavefront6targetE0EEEvT1_, .Lfunc_end1102-_ZN7rocprim17ROCPRIM_400000_NS6detail17trampoline_kernelINS0_14default_configENS1_25partition_config_selectorILNS1_17partition_subalgoE6EfNS0_10empty_typeEbEEZZNS1_14partition_implILS5_6ELb0ES3_mN6thrust23THRUST_200600_302600_NS6detail15normal_iteratorINSA_10device_ptrIfEEEEPS6_SG_NS0_5tupleIJSF_S6_EEENSH_IJSG_SG_EEES6_PlJNSB_9not_fun_tI7is_trueIfEEEEEE10hipError_tPvRmT3_T4_T5_T6_T7_T9_mT8_P12ihipStream_tbDpT10_ENKUlT_T0_E_clISt17integral_constantIbLb0EES17_IbLb1EEEEDaS13_S14_EUlS13_E_NS1_11comp_targetILNS1_3genE5ELNS1_11target_archE942ELNS1_3gpuE9ELNS1_3repE0EEENS1_30default_config_static_selectorELNS0_4arch9wavefront6targetE0EEEvT1_
                                        ; -- End function
	.set _ZN7rocprim17ROCPRIM_400000_NS6detail17trampoline_kernelINS0_14default_configENS1_25partition_config_selectorILNS1_17partition_subalgoE6EfNS0_10empty_typeEbEEZZNS1_14partition_implILS5_6ELb0ES3_mN6thrust23THRUST_200600_302600_NS6detail15normal_iteratorINSA_10device_ptrIfEEEEPS6_SG_NS0_5tupleIJSF_S6_EEENSH_IJSG_SG_EEES6_PlJNSB_9not_fun_tI7is_trueIfEEEEEE10hipError_tPvRmT3_T4_T5_T6_T7_T9_mT8_P12ihipStream_tbDpT10_ENKUlT_T0_E_clISt17integral_constantIbLb0EES17_IbLb1EEEEDaS13_S14_EUlS13_E_NS1_11comp_targetILNS1_3genE5ELNS1_11target_archE942ELNS1_3gpuE9ELNS1_3repE0EEENS1_30default_config_static_selectorELNS0_4arch9wavefront6targetE0EEEvT1_.num_vgpr, 0
	.set _ZN7rocprim17ROCPRIM_400000_NS6detail17trampoline_kernelINS0_14default_configENS1_25partition_config_selectorILNS1_17partition_subalgoE6EfNS0_10empty_typeEbEEZZNS1_14partition_implILS5_6ELb0ES3_mN6thrust23THRUST_200600_302600_NS6detail15normal_iteratorINSA_10device_ptrIfEEEEPS6_SG_NS0_5tupleIJSF_S6_EEENSH_IJSG_SG_EEES6_PlJNSB_9not_fun_tI7is_trueIfEEEEEE10hipError_tPvRmT3_T4_T5_T6_T7_T9_mT8_P12ihipStream_tbDpT10_ENKUlT_T0_E_clISt17integral_constantIbLb0EES17_IbLb1EEEEDaS13_S14_EUlS13_E_NS1_11comp_targetILNS1_3genE5ELNS1_11target_archE942ELNS1_3gpuE9ELNS1_3repE0EEENS1_30default_config_static_selectorELNS0_4arch9wavefront6targetE0EEEvT1_.num_agpr, 0
	.set _ZN7rocprim17ROCPRIM_400000_NS6detail17trampoline_kernelINS0_14default_configENS1_25partition_config_selectorILNS1_17partition_subalgoE6EfNS0_10empty_typeEbEEZZNS1_14partition_implILS5_6ELb0ES3_mN6thrust23THRUST_200600_302600_NS6detail15normal_iteratorINSA_10device_ptrIfEEEEPS6_SG_NS0_5tupleIJSF_S6_EEENSH_IJSG_SG_EEES6_PlJNSB_9not_fun_tI7is_trueIfEEEEEE10hipError_tPvRmT3_T4_T5_T6_T7_T9_mT8_P12ihipStream_tbDpT10_ENKUlT_T0_E_clISt17integral_constantIbLb0EES17_IbLb1EEEEDaS13_S14_EUlS13_E_NS1_11comp_targetILNS1_3genE5ELNS1_11target_archE942ELNS1_3gpuE9ELNS1_3repE0EEENS1_30default_config_static_selectorELNS0_4arch9wavefront6targetE0EEEvT1_.numbered_sgpr, 0
	.set _ZN7rocprim17ROCPRIM_400000_NS6detail17trampoline_kernelINS0_14default_configENS1_25partition_config_selectorILNS1_17partition_subalgoE6EfNS0_10empty_typeEbEEZZNS1_14partition_implILS5_6ELb0ES3_mN6thrust23THRUST_200600_302600_NS6detail15normal_iteratorINSA_10device_ptrIfEEEEPS6_SG_NS0_5tupleIJSF_S6_EEENSH_IJSG_SG_EEES6_PlJNSB_9not_fun_tI7is_trueIfEEEEEE10hipError_tPvRmT3_T4_T5_T6_T7_T9_mT8_P12ihipStream_tbDpT10_ENKUlT_T0_E_clISt17integral_constantIbLb0EES17_IbLb1EEEEDaS13_S14_EUlS13_E_NS1_11comp_targetILNS1_3genE5ELNS1_11target_archE942ELNS1_3gpuE9ELNS1_3repE0EEENS1_30default_config_static_selectorELNS0_4arch9wavefront6targetE0EEEvT1_.num_named_barrier, 0
	.set _ZN7rocprim17ROCPRIM_400000_NS6detail17trampoline_kernelINS0_14default_configENS1_25partition_config_selectorILNS1_17partition_subalgoE6EfNS0_10empty_typeEbEEZZNS1_14partition_implILS5_6ELb0ES3_mN6thrust23THRUST_200600_302600_NS6detail15normal_iteratorINSA_10device_ptrIfEEEEPS6_SG_NS0_5tupleIJSF_S6_EEENSH_IJSG_SG_EEES6_PlJNSB_9not_fun_tI7is_trueIfEEEEEE10hipError_tPvRmT3_T4_T5_T6_T7_T9_mT8_P12ihipStream_tbDpT10_ENKUlT_T0_E_clISt17integral_constantIbLb0EES17_IbLb1EEEEDaS13_S14_EUlS13_E_NS1_11comp_targetILNS1_3genE5ELNS1_11target_archE942ELNS1_3gpuE9ELNS1_3repE0EEENS1_30default_config_static_selectorELNS0_4arch9wavefront6targetE0EEEvT1_.private_seg_size, 0
	.set _ZN7rocprim17ROCPRIM_400000_NS6detail17trampoline_kernelINS0_14default_configENS1_25partition_config_selectorILNS1_17partition_subalgoE6EfNS0_10empty_typeEbEEZZNS1_14partition_implILS5_6ELb0ES3_mN6thrust23THRUST_200600_302600_NS6detail15normal_iteratorINSA_10device_ptrIfEEEEPS6_SG_NS0_5tupleIJSF_S6_EEENSH_IJSG_SG_EEES6_PlJNSB_9not_fun_tI7is_trueIfEEEEEE10hipError_tPvRmT3_T4_T5_T6_T7_T9_mT8_P12ihipStream_tbDpT10_ENKUlT_T0_E_clISt17integral_constantIbLb0EES17_IbLb1EEEEDaS13_S14_EUlS13_E_NS1_11comp_targetILNS1_3genE5ELNS1_11target_archE942ELNS1_3gpuE9ELNS1_3repE0EEENS1_30default_config_static_selectorELNS0_4arch9wavefront6targetE0EEEvT1_.uses_vcc, 0
	.set _ZN7rocprim17ROCPRIM_400000_NS6detail17trampoline_kernelINS0_14default_configENS1_25partition_config_selectorILNS1_17partition_subalgoE6EfNS0_10empty_typeEbEEZZNS1_14partition_implILS5_6ELb0ES3_mN6thrust23THRUST_200600_302600_NS6detail15normal_iteratorINSA_10device_ptrIfEEEEPS6_SG_NS0_5tupleIJSF_S6_EEENSH_IJSG_SG_EEES6_PlJNSB_9not_fun_tI7is_trueIfEEEEEE10hipError_tPvRmT3_T4_T5_T6_T7_T9_mT8_P12ihipStream_tbDpT10_ENKUlT_T0_E_clISt17integral_constantIbLb0EES17_IbLb1EEEEDaS13_S14_EUlS13_E_NS1_11comp_targetILNS1_3genE5ELNS1_11target_archE942ELNS1_3gpuE9ELNS1_3repE0EEENS1_30default_config_static_selectorELNS0_4arch9wavefront6targetE0EEEvT1_.uses_flat_scratch, 0
	.set _ZN7rocprim17ROCPRIM_400000_NS6detail17trampoline_kernelINS0_14default_configENS1_25partition_config_selectorILNS1_17partition_subalgoE6EfNS0_10empty_typeEbEEZZNS1_14partition_implILS5_6ELb0ES3_mN6thrust23THRUST_200600_302600_NS6detail15normal_iteratorINSA_10device_ptrIfEEEEPS6_SG_NS0_5tupleIJSF_S6_EEENSH_IJSG_SG_EEES6_PlJNSB_9not_fun_tI7is_trueIfEEEEEE10hipError_tPvRmT3_T4_T5_T6_T7_T9_mT8_P12ihipStream_tbDpT10_ENKUlT_T0_E_clISt17integral_constantIbLb0EES17_IbLb1EEEEDaS13_S14_EUlS13_E_NS1_11comp_targetILNS1_3genE5ELNS1_11target_archE942ELNS1_3gpuE9ELNS1_3repE0EEENS1_30default_config_static_selectorELNS0_4arch9wavefront6targetE0EEEvT1_.has_dyn_sized_stack, 0
	.set _ZN7rocprim17ROCPRIM_400000_NS6detail17trampoline_kernelINS0_14default_configENS1_25partition_config_selectorILNS1_17partition_subalgoE6EfNS0_10empty_typeEbEEZZNS1_14partition_implILS5_6ELb0ES3_mN6thrust23THRUST_200600_302600_NS6detail15normal_iteratorINSA_10device_ptrIfEEEEPS6_SG_NS0_5tupleIJSF_S6_EEENSH_IJSG_SG_EEES6_PlJNSB_9not_fun_tI7is_trueIfEEEEEE10hipError_tPvRmT3_T4_T5_T6_T7_T9_mT8_P12ihipStream_tbDpT10_ENKUlT_T0_E_clISt17integral_constantIbLb0EES17_IbLb1EEEEDaS13_S14_EUlS13_E_NS1_11comp_targetILNS1_3genE5ELNS1_11target_archE942ELNS1_3gpuE9ELNS1_3repE0EEENS1_30default_config_static_selectorELNS0_4arch9wavefront6targetE0EEEvT1_.has_recursion, 0
	.set _ZN7rocprim17ROCPRIM_400000_NS6detail17trampoline_kernelINS0_14default_configENS1_25partition_config_selectorILNS1_17partition_subalgoE6EfNS0_10empty_typeEbEEZZNS1_14partition_implILS5_6ELb0ES3_mN6thrust23THRUST_200600_302600_NS6detail15normal_iteratorINSA_10device_ptrIfEEEEPS6_SG_NS0_5tupleIJSF_S6_EEENSH_IJSG_SG_EEES6_PlJNSB_9not_fun_tI7is_trueIfEEEEEE10hipError_tPvRmT3_T4_T5_T6_T7_T9_mT8_P12ihipStream_tbDpT10_ENKUlT_T0_E_clISt17integral_constantIbLb0EES17_IbLb1EEEEDaS13_S14_EUlS13_E_NS1_11comp_targetILNS1_3genE5ELNS1_11target_archE942ELNS1_3gpuE9ELNS1_3repE0EEENS1_30default_config_static_selectorELNS0_4arch9wavefront6targetE0EEEvT1_.has_indirect_call, 0
	.section	.AMDGPU.csdata,"",@progbits
; Kernel info:
; codeLenInByte = 0
; TotalNumSgprs: 0
; NumVgprs: 0
; ScratchSize: 0
; MemoryBound: 0
; FloatMode: 240
; IeeeMode: 1
; LDSByteSize: 0 bytes/workgroup (compile time only)
; SGPRBlocks: 0
; VGPRBlocks: 0
; NumSGPRsForWavesPerEU: 1
; NumVGPRsForWavesPerEU: 1
; Occupancy: 16
; WaveLimiterHint : 0
; COMPUTE_PGM_RSRC2:SCRATCH_EN: 0
; COMPUTE_PGM_RSRC2:USER_SGPR: 2
; COMPUTE_PGM_RSRC2:TRAP_HANDLER: 0
; COMPUTE_PGM_RSRC2:TGID_X_EN: 1
; COMPUTE_PGM_RSRC2:TGID_Y_EN: 0
; COMPUTE_PGM_RSRC2:TGID_Z_EN: 0
; COMPUTE_PGM_RSRC2:TIDIG_COMP_CNT: 0
	.section	.text._ZN7rocprim17ROCPRIM_400000_NS6detail17trampoline_kernelINS0_14default_configENS1_25partition_config_selectorILNS1_17partition_subalgoE6EfNS0_10empty_typeEbEEZZNS1_14partition_implILS5_6ELb0ES3_mN6thrust23THRUST_200600_302600_NS6detail15normal_iteratorINSA_10device_ptrIfEEEEPS6_SG_NS0_5tupleIJSF_S6_EEENSH_IJSG_SG_EEES6_PlJNSB_9not_fun_tI7is_trueIfEEEEEE10hipError_tPvRmT3_T4_T5_T6_T7_T9_mT8_P12ihipStream_tbDpT10_ENKUlT_T0_E_clISt17integral_constantIbLb0EES17_IbLb1EEEEDaS13_S14_EUlS13_E_NS1_11comp_targetILNS1_3genE4ELNS1_11target_archE910ELNS1_3gpuE8ELNS1_3repE0EEENS1_30default_config_static_selectorELNS0_4arch9wavefront6targetE0EEEvT1_,"axG",@progbits,_ZN7rocprim17ROCPRIM_400000_NS6detail17trampoline_kernelINS0_14default_configENS1_25partition_config_selectorILNS1_17partition_subalgoE6EfNS0_10empty_typeEbEEZZNS1_14partition_implILS5_6ELb0ES3_mN6thrust23THRUST_200600_302600_NS6detail15normal_iteratorINSA_10device_ptrIfEEEEPS6_SG_NS0_5tupleIJSF_S6_EEENSH_IJSG_SG_EEES6_PlJNSB_9not_fun_tI7is_trueIfEEEEEE10hipError_tPvRmT3_T4_T5_T6_T7_T9_mT8_P12ihipStream_tbDpT10_ENKUlT_T0_E_clISt17integral_constantIbLb0EES17_IbLb1EEEEDaS13_S14_EUlS13_E_NS1_11comp_targetILNS1_3genE4ELNS1_11target_archE910ELNS1_3gpuE8ELNS1_3repE0EEENS1_30default_config_static_selectorELNS0_4arch9wavefront6targetE0EEEvT1_,comdat
	.protected	_ZN7rocprim17ROCPRIM_400000_NS6detail17trampoline_kernelINS0_14default_configENS1_25partition_config_selectorILNS1_17partition_subalgoE6EfNS0_10empty_typeEbEEZZNS1_14partition_implILS5_6ELb0ES3_mN6thrust23THRUST_200600_302600_NS6detail15normal_iteratorINSA_10device_ptrIfEEEEPS6_SG_NS0_5tupleIJSF_S6_EEENSH_IJSG_SG_EEES6_PlJNSB_9not_fun_tI7is_trueIfEEEEEE10hipError_tPvRmT3_T4_T5_T6_T7_T9_mT8_P12ihipStream_tbDpT10_ENKUlT_T0_E_clISt17integral_constantIbLb0EES17_IbLb1EEEEDaS13_S14_EUlS13_E_NS1_11comp_targetILNS1_3genE4ELNS1_11target_archE910ELNS1_3gpuE8ELNS1_3repE0EEENS1_30default_config_static_selectorELNS0_4arch9wavefront6targetE0EEEvT1_ ; -- Begin function _ZN7rocprim17ROCPRIM_400000_NS6detail17trampoline_kernelINS0_14default_configENS1_25partition_config_selectorILNS1_17partition_subalgoE6EfNS0_10empty_typeEbEEZZNS1_14partition_implILS5_6ELb0ES3_mN6thrust23THRUST_200600_302600_NS6detail15normal_iteratorINSA_10device_ptrIfEEEEPS6_SG_NS0_5tupleIJSF_S6_EEENSH_IJSG_SG_EEES6_PlJNSB_9not_fun_tI7is_trueIfEEEEEE10hipError_tPvRmT3_T4_T5_T6_T7_T9_mT8_P12ihipStream_tbDpT10_ENKUlT_T0_E_clISt17integral_constantIbLb0EES17_IbLb1EEEEDaS13_S14_EUlS13_E_NS1_11comp_targetILNS1_3genE4ELNS1_11target_archE910ELNS1_3gpuE8ELNS1_3repE0EEENS1_30default_config_static_selectorELNS0_4arch9wavefront6targetE0EEEvT1_
	.globl	_ZN7rocprim17ROCPRIM_400000_NS6detail17trampoline_kernelINS0_14default_configENS1_25partition_config_selectorILNS1_17partition_subalgoE6EfNS0_10empty_typeEbEEZZNS1_14partition_implILS5_6ELb0ES3_mN6thrust23THRUST_200600_302600_NS6detail15normal_iteratorINSA_10device_ptrIfEEEEPS6_SG_NS0_5tupleIJSF_S6_EEENSH_IJSG_SG_EEES6_PlJNSB_9not_fun_tI7is_trueIfEEEEEE10hipError_tPvRmT3_T4_T5_T6_T7_T9_mT8_P12ihipStream_tbDpT10_ENKUlT_T0_E_clISt17integral_constantIbLb0EES17_IbLb1EEEEDaS13_S14_EUlS13_E_NS1_11comp_targetILNS1_3genE4ELNS1_11target_archE910ELNS1_3gpuE8ELNS1_3repE0EEENS1_30default_config_static_selectorELNS0_4arch9wavefront6targetE0EEEvT1_
	.p2align	8
	.type	_ZN7rocprim17ROCPRIM_400000_NS6detail17trampoline_kernelINS0_14default_configENS1_25partition_config_selectorILNS1_17partition_subalgoE6EfNS0_10empty_typeEbEEZZNS1_14partition_implILS5_6ELb0ES3_mN6thrust23THRUST_200600_302600_NS6detail15normal_iteratorINSA_10device_ptrIfEEEEPS6_SG_NS0_5tupleIJSF_S6_EEENSH_IJSG_SG_EEES6_PlJNSB_9not_fun_tI7is_trueIfEEEEEE10hipError_tPvRmT3_T4_T5_T6_T7_T9_mT8_P12ihipStream_tbDpT10_ENKUlT_T0_E_clISt17integral_constantIbLb0EES17_IbLb1EEEEDaS13_S14_EUlS13_E_NS1_11comp_targetILNS1_3genE4ELNS1_11target_archE910ELNS1_3gpuE8ELNS1_3repE0EEENS1_30default_config_static_selectorELNS0_4arch9wavefront6targetE0EEEvT1_,@function
_ZN7rocprim17ROCPRIM_400000_NS6detail17trampoline_kernelINS0_14default_configENS1_25partition_config_selectorILNS1_17partition_subalgoE6EfNS0_10empty_typeEbEEZZNS1_14partition_implILS5_6ELb0ES3_mN6thrust23THRUST_200600_302600_NS6detail15normal_iteratorINSA_10device_ptrIfEEEEPS6_SG_NS0_5tupleIJSF_S6_EEENSH_IJSG_SG_EEES6_PlJNSB_9not_fun_tI7is_trueIfEEEEEE10hipError_tPvRmT3_T4_T5_T6_T7_T9_mT8_P12ihipStream_tbDpT10_ENKUlT_T0_E_clISt17integral_constantIbLb0EES17_IbLb1EEEEDaS13_S14_EUlS13_E_NS1_11comp_targetILNS1_3genE4ELNS1_11target_archE910ELNS1_3gpuE8ELNS1_3repE0EEENS1_30default_config_static_selectorELNS0_4arch9wavefront6targetE0EEEvT1_: ; @_ZN7rocprim17ROCPRIM_400000_NS6detail17trampoline_kernelINS0_14default_configENS1_25partition_config_selectorILNS1_17partition_subalgoE6EfNS0_10empty_typeEbEEZZNS1_14partition_implILS5_6ELb0ES3_mN6thrust23THRUST_200600_302600_NS6detail15normal_iteratorINSA_10device_ptrIfEEEEPS6_SG_NS0_5tupleIJSF_S6_EEENSH_IJSG_SG_EEES6_PlJNSB_9not_fun_tI7is_trueIfEEEEEE10hipError_tPvRmT3_T4_T5_T6_T7_T9_mT8_P12ihipStream_tbDpT10_ENKUlT_T0_E_clISt17integral_constantIbLb0EES17_IbLb1EEEEDaS13_S14_EUlS13_E_NS1_11comp_targetILNS1_3genE4ELNS1_11target_archE910ELNS1_3gpuE8ELNS1_3repE0EEENS1_30default_config_static_selectorELNS0_4arch9wavefront6targetE0EEEvT1_
; %bb.0:
	.section	.rodata,"a",@progbits
	.p2align	6, 0x0
	.amdhsa_kernel _ZN7rocprim17ROCPRIM_400000_NS6detail17trampoline_kernelINS0_14default_configENS1_25partition_config_selectorILNS1_17partition_subalgoE6EfNS0_10empty_typeEbEEZZNS1_14partition_implILS5_6ELb0ES3_mN6thrust23THRUST_200600_302600_NS6detail15normal_iteratorINSA_10device_ptrIfEEEEPS6_SG_NS0_5tupleIJSF_S6_EEENSH_IJSG_SG_EEES6_PlJNSB_9not_fun_tI7is_trueIfEEEEEE10hipError_tPvRmT3_T4_T5_T6_T7_T9_mT8_P12ihipStream_tbDpT10_ENKUlT_T0_E_clISt17integral_constantIbLb0EES17_IbLb1EEEEDaS13_S14_EUlS13_E_NS1_11comp_targetILNS1_3genE4ELNS1_11target_archE910ELNS1_3gpuE8ELNS1_3repE0EEENS1_30default_config_static_selectorELNS0_4arch9wavefront6targetE0EEEvT1_
		.amdhsa_group_segment_fixed_size 0
		.amdhsa_private_segment_fixed_size 0
		.amdhsa_kernarg_size 128
		.amdhsa_user_sgpr_count 2
		.amdhsa_user_sgpr_dispatch_ptr 0
		.amdhsa_user_sgpr_queue_ptr 0
		.amdhsa_user_sgpr_kernarg_segment_ptr 1
		.amdhsa_user_sgpr_dispatch_id 0
		.amdhsa_user_sgpr_private_segment_size 0
		.amdhsa_wavefront_size32 1
		.amdhsa_uses_dynamic_stack 0
		.amdhsa_enable_private_segment 0
		.amdhsa_system_sgpr_workgroup_id_x 1
		.amdhsa_system_sgpr_workgroup_id_y 0
		.amdhsa_system_sgpr_workgroup_id_z 0
		.amdhsa_system_sgpr_workgroup_info 0
		.amdhsa_system_vgpr_workitem_id 0
		.amdhsa_next_free_vgpr 1
		.amdhsa_next_free_sgpr 1
		.amdhsa_reserve_vcc 0
		.amdhsa_float_round_mode_32 0
		.amdhsa_float_round_mode_16_64 0
		.amdhsa_float_denorm_mode_32 3
		.amdhsa_float_denorm_mode_16_64 3
		.amdhsa_fp16_overflow 0
		.amdhsa_workgroup_processor_mode 1
		.amdhsa_memory_ordered 1
		.amdhsa_forward_progress 1
		.amdhsa_inst_pref_size 0
		.amdhsa_round_robin_scheduling 0
		.amdhsa_exception_fp_ieee_invalid_op 0
		.amdhsa_exception_fp_denorm_src 0
		.amdhsa_exception_fp_ieee_div_zero 0
		.amdhsa_exception_fp_ieee_overflow 0
		.amdhsa_exception_fp_ieee_underflow 0
		.amdhsa_exception_fp_ieee_inexact 0
		.amdhsa_exception_int_div_zero 0
	.end_amdhsa_kernel
	.section	.text._ZN7rocprim17ROCPRIM_400000_NS6detail17trampoline_kernelINS0_14default_configENS1_25partition_config_selectorILNS1_17partition_subalgoE6EfNS0_10empty_typeEbEEZZNS1_14partition_implILS5_6ELb0ES3_mN6thrust23THRUST_200600_302600_NS6detail15normal_iteratorINSA_10device_ptrIfEEEEPS6_SG_NS0_5tupleIJSF_S6_EEENSH_IJSG_SG_EEES6_PlJNSB_9not_fun_tI7is_trueIfEEEEEE10hipError_tPvRmT3_T4_T5_T6_T7_T9_mT8_P12ihipStream_tbDpT10_ENKUlT_T0_E_clISt17integral_constantIbLb0EES17_IbLb1EEEEDaS13_S14_EUlS13_E_NS1_11comp_targetILNS1_3genE4ELNS1_11target_archE910ELNS1_3gpuE8ELNS1_3repE0EEENS1_30default_config_static_selectorELNS0_4arch9wavefront6targetE0EEEvT1_,"axG",@progbits,_ZN7rocprim17ROCPRIM_400000_NS6detail17trampoline_kernelINS0_14default_configENS1_25partition_config_selectorILNS1_17partition_subalgoE6EfNS0_10empty_typeEbEEZZNS1_14partition_implILS5_6ELb0ES3_mN6thrust23THRUST_200600_302600_NS6detail15normal_iteratorINSA_10device_ptrIfEEEEPS6_SG_NS0_5tupleIJSF_S6_EEENSH_IJSG_SG_EEES6_PlJNSB_9not_fun_tI7is_trueIfEEEEEE10hipError_tPvRmT3_T4_T5_T6_T7_T9_mT8_P12ihipStream_tbDpT10_ENKUlT_T0_E_clISt17integral_constantIbLb0EES17_IbLb1EEEEDaS13_S14_EUlS13_E_NS1_11comp_targetILNS1_3genE4ELNS1_11target_archE910ELNS1_3gpuE8ELNS1_3repE0EEENS1_30default_config_static_selectorELNS0_4arch9wavefront6targetE0EEEvT1_,comdat
.Lfunc_end1103:
	.size	_ZN7rocprim17ROCPRIM_400000_NS6detail17trampoline_kernelINS0_14default_configENS1_25partition_config_selectorILNS1_17partition_subalgoE6EfNS0_10empty_typeEbEEZZNS1_14partition_implILS5_6ELb0ES3_mN6thrust23THRUST_200600_302600_NS6detail15normal_iteratorINSA_10device_ptrIfEEEEPS6_SG_NS0_5tupleIJSF_S6_EEENSH_IJSG_SG_EEES6_PlJNSB_9not_fun_tI7is_trueIfEEEEEE10hipError_tPvRmT3_T4_T5_T6_T7_T9_mT8_P12ihipStream_tbDpT10_ENKUlT_T0_E_clISt17integral_constantIbLb0EES17_IbLb1EEEEDaS13_S14_EUlS13_E_NS1_11comp_targetILNS1_3genE4ELNS1_11target_archE910ELNS1_3gpuE8ELNS1_3repE0EEENS1_30default_config_static_selectorELNS0_4arch9wavefront6targetE0EEEvT1_, .Lfunc_end1103-_ZN7rocprim17ROCPRIM_400000_NS6detail17trampoline_kernelINS0_14default_configENS1_25partition_config_selectorILNS1_17partition_subalgoE6EfNS0_10empty_typeEbEEZZNS1_14partition_implILS5_6ELb0ES3_mN6thrust23THRUST_200600_302600_NS6detail15normal_iteratorINSA_10device_ptrIfEEEEPS6_SG_NS0_5tupleIJSF_S6_EEENSH_IJSG_SG_EEES6_PlJNSB_9not_fun_tI7is_trueIfEEEEEE10hipError_tPvRmT3_T4_T5_T6_T7_T9_mT8_P12ihipStream_tbDpT10_ENKUlT_T0_E_clISt17integral_constantIbLb0EES17_IbLb1EEEEDaS13_S14_EUlS13_E_NS1_11comp_targetILNS1_3genE4ELNS1_11target_archE910ELNS1_3gpuE8ELNS1_3repE0EEENS1_30default_config_static_selectorELNS0_4arch9wavefront6targetE0EEEvT1_
                                        ; -- End function
	.set _ZN7rocprim17ROCPRIM_400000_NS6detail17trampoline_kernelINS0_14default_configENS1_25partition_config_selectorILNS1_17partition_subalgoE6EfNS0_10empty_typeEbEEZZNS1_14partition_implILS5_6ELb0ES3_mN6thrust23THRUST_200600_302600_NS6detail15normal_iteratorINSA_10device_ptrIfEEEEPS6_SG_NS0_5tupleIJSF_S6_EEENSH_IJSG_SG_EEES6_PlJNSB_9not_fun_tI7is_trueIfEEEEEE10hipError_tPvRmT3_T4_T5_T6_T7_T9_mT8_P12ihipStream_tbDpT10_ENKUlT_T0_E_clISt17integral_constantIbLb0EES17_IbLb1EEEEDaS13_S14_EUlS13_E_NS1_11comp_targetILNS1_3genE4ELNS1_11target_archE910ELNS1_3gpuE8ELNS1_3repE0EEENS1_30default_config_static_selectorELNS0_4arch9wavefront6targetE0EEEvT1_.num_vgpr, 0
	.set _ZN7rocprim17ROCPRIM_400000_NS6detail17trampoline_kernelINS0_14default_configENS1_25partition_config_selectorILNS1_17partition_subalgoE6EfNS0_10empty_typeEbEEZZNS1_14partition_implILS5_6ELb0ES3_mN6thrust23THRUST_200600_302600_NS6detail15normal_iteratorINSA_10device_ptrIfEEEEPS6_SG_NS0_5tupleIJSF_S6_EEENSH_IJSG_SG_EEES6_PlJNSB_9not_fun_tI7is_trueIfEEEEEE10hipError_tPvRmT3_T4_T5_T6_T7_T9_mT8_P12ihipStream_tbDpT10_ENKUlT_T0_E_clISt17integral_constantIbLb0EES17_IbLb1EEEEDaS13_S14_EUlS13_E_NS1_11comp_targetILNS1_3genE4ELNS1_11target_archE910ELNS1_3gpuE8ELNS1_3repE0EEENS1_30default_config_static_selectorELNS0_4arch9wavefront6targetE0EEEvT1_.num_agpr, 0
	.set _ZN7rocprim17ROCPRIM_400000_NS6detail17trampoline_kernelINS0_14default_configENS1_25partition_config_selectorILNS1_17partition_subalgoE6EfNS0_10empty_typeEbEEZZNS1_14partition_implILS5_6ELb0ES3_mN6thrust23THRUST_200600_302600_NS6detail15normal_iteratorINSA_10device_ptrIfEEEEPS6_SG_NS0_5tupleIJSF_S6_EEENSH_IJSG_SG_EEES6_PlJNSB_9not_fun_tI7is_trueIfEEEEEE10hipError_tPvRmT3_T4_T5_T6_T7_T9_mT8_P12ihipStream_tbDpT10_ENKUlT_T0_E_clISt17integral_constantIbLb0EES17_IbLb1EEEEDaS13_S14_EUlS13_E_NS1_11comp_targetILNS1_3genE4ELNS1_11target_archE910ELNS1_3gpuE8ELNS1_3repE0EEENS1_30default_config_static_selectorELNS0_4arch9wavefront6targetE0EEEvT1_.numbered_sgpr, 0
	.set _ZN7rocprim17ROCPRIM_400000_NS6detail17trampoline_kernelINS0_14default_configENS1_25partition_config_selectorILNS1_17partition_subalgoE6EfNS0_10empty_typeEbEEZZNS1_14partition_implILS5_6ELb0ES3_mN6thrust23THRUST_200600_302600_NS6detail15normal_iteratorINSA_10device_ptrIfEEEEPS6_SG_NS0_5tupleIJSF_S6_EEENSH_IJSG_SG_EEES6_PlJNSB_9not_fun_tI7is_trueIfEEEEEE10hipError_tPvRmT3_T4_T5_T6_T7_T9_mT8_P12ihipStream_tbDpT10_ENKUlT_T0_E_clISt17integral_constantIbLb0EES17_IbLb1EEEEDaS13_S14_EUlS13_E_NS1_11comp_targetILNS1_3genE4ELNS1_11target_archE910ELNS1_3gpuE8ELNS1_3repE0EEENS1_30default_config_static_selectorELNS0_4arch9wavefront6targetE0EEEvT1_.num_named_barrier, 0
	.set _ZN7rocprim17ROCPRIM_400000_NS6detail17trampoline_kernelINS0_14default_configENS1_25partition_config_selectorILNS1_17partition_subalgoE6EfNS0_10empty_typeEbEEZZNS1_14partition_implILS5_6ELb0ES3_mN6thrust23THRUST_200600_302600_NS6detail15normal_iteratorINSA_10device_ptrIfEEEEPS6_SG_NS0_5tupleIJSF_S6_EEENSH_IJSG_SG_EEES6_PlJNSB_9not_fun_tI7is_trueIfEEEEEE10hipError_tPvRmT3_T4_T5_T6_T7_T9_mT8_P12ihipStream_tbDpT10_ENKUlT_T0_E_clISt17integral_constantIbLb0EES17_IbLb1EEEEDaS13_S14_EUlS13_E_NS1_11comp_targetILNS1_3genE4ELNS1_11target_archE910ELNS1_3gpuE8ELNS1_3repE0EEENS1_30default_config_static_selectorELNS0_4arch9wavefront6targetE0EEEvT1_.private_seg_size, 0
	.set _ZN7rocprim17ROCPRIM_400000_NS6detail17trampoline_kernelINS0_14default_configENS1_25partition_config_selectorILNS1_17partition_subalgoE6EfNS0_10empty_typeEbEEZZNS1_14partition_implILS5_6ELb0ES3_mN6thrust23THRUST_200600_302600_NS6detail15normal_iteratorINSA_10device_ptrIfEEEEPS6_SG_NS0_5tupleIJSF_S6_EEENSH_IJSG_SG_EEES6_PlJNSB_9not_fun_tI7is_trueIfEEEEEE10hipError_tPvRmT3_T4_T5_T6_T7_T9_mT8_P12ihipStream_tbDpT10_ENKUlT_T0_E_clISt17integral_constantIbLb0EES17_IbLb1EEEEDaS13_S14_EUlS13_E_NS1_11comp_targetILNS1_3genE4ELNS1_11target_archE910ELNS1_3gpuE8ELNS1_3repE0EEENS1_30default_config_static_selectorELNS0_4arch9wavefront6targetE0EEEvT1_.uses_vcc, 0
	.set _ZN7rocprim17ROCPRIM_400000_NS6detail17trampoline_kernelINS0_14default_configENS1_25partition_config_selectorILNS1_17partition_subalgoE6EfNS0_10empty_typeEbEEZZNS1_14partition_implILS5_6ELb0ES3_mN6thrust23THRUST_200600_302600_NS6detail15normal_iteratorINSA_10device_ptrIfEEEEPS6_SG_NS0_5tupleIJSF_S6_EEENSH_IJSG_SG_EEES6_PlJNSB_9not_fun_tI7is_trueIfEEEEEE10hipError_tPvRmT3_T4_T5_T6_T7_T9_mT8_P12ihipStream_tbDpT10_ENKUlT_T0_E_clISt17integral_constantIbLb0EES17_IbLb1EEEEDaS13_S14_EUlS13_E_NS1_11comp_targetILNS1_3genE4ELNS1_11target_archE910ELNS1_3gpuE8ELNS1_3repE0EEENS1_30default_config_static_selectorELNS0_4arch9wavefront6targetE0EEEvT1_.uses_flat_scratch, 0
	.set _ZN7rocprim17ROCPRIM_400000_NS6detail17trampoline_kernelINS0_14default_configENS1_25partition_config_selectorILNS1_17partition_subalgoE6EfNS0_10empty_typeEbEEZZNS1_14partition_implILS5_6ELb0ES3_mN6thrust23THRUST_200600_302600_NS6detail15normal_iteratorINSA_10device_ptrIfEEEEPS6_SG_NS0_5tupleIJSF_S6_EEENSH_IJSG_SG_EEES6_PlJNSB_9not_fun_tI7is_trueIfEEEEEE10hipError_tPvRmT3_T4_T5_T6_T7_T9_mT8_P12ihipStream_tbDpT10_ENKUlT_T0_E_clISt17integral_constantIbLb0EES17_IbLb1EEEEDaS13_S14_EUlS13_E_NS1_11comp_targetILNS1_3genE4ELNS1_11target_archE910ELNS1_3gpuE8ELNS1_3repE0EEENS1_30default_config_static_selectorELNS0_4arch9wavefront6targetE0EEEvT1_.has_dyn_sized_stack, 0
	.set _ZN7rocprim17ROCPRIM_400000_NS6detail17trampoline_kernelINS0_14default_configENS1_25partition_config_selectorILNS1_17partition_subalgoE6EfNS0_10empty_typeEbEEZZNS1_14partition_implILS5_6ELb0ES3_mN6thrust23THRUST_200600_302600_NS6detail15normal_iteratorINSA_10device_ptrIfEEEEPS6_SG_NS0_5tupleIJSF_S6_EEENSH_IJSG_SG_EEES6_PlJNSB_9not_fun_tI7is_trueIfEEEEEE10hipError_tPvRmT3_T4_T5_T6_T7_T9_mT8_P12ihipStream_tbDpT10_ENKUlT_T0_E_clISt17integral_constantIbLb0EES17_IbLb1EEEEDaS13_S14_EUlS13_E_NS1_11comp_targetILNS1_3genE4ELNS1_11target_archE910ELNS1_3gpuE8ELNS1_3repE0EEENS1_30default_config_static_selectorELNS0_4arch9wavefront6targetE0EEEvT1_.has_recursion, 0
	.set _ZN7rocprim17ROCPRIM_400000_NS6detail17trampoline_kernelINS0_14default_configENS1_25partition_config_selectorILNS1_17partition_subalgoE6EfNS0_10empty_typeEbEEZZNS1_14partition_implILS5_6ELb0ES3_mN6thrust23THRUST_200600_302600_NS6detail15normal_iteratorINSA_10device_ptrIfEEEEPS6_SG_NS0_5tupleIJSF_S6_EEENSH_IJSG_SG_EEES6_PlJNSB_9not_fun_tI7is_trueIfEEEEEE10hipError_tPvRmT3_T4_T5_T6_T7_T9_mT8_P12ihipStream_tbDpT10_ENKUlT_T0_E_clISt17integral_constantIbLb0EES17_IbLb1EEEEDaS13_S14_EUlS13_E_NS1_11comp_targetILNS1_3genE4ELNS1_11target_archE910ELNS1_3gpuE8ELNS1_3repE0EEENS1_30default_config_static_selectorELNS0_4arch9wavefront6targetE0EEEvT1_.has_indirect_call, 0
	.section	.AMDGPU.csdata,"",@progbits
; Kernel info:
; codeLenInByte = 0
; TotalNumSgprs: 0
; NumVgprs: 0
; ScratchSize: 0
; MemoryBound: 0
; FloatMode: 240
; IeeeMode: 1
; LDSByteSize: 0 bytes/workgroup (compile time only)
; SGPRBlocks: 0
; VGPRBlocks: 0
; NumSGPRsForWavesPerEU: 1
; NumVGPRsForWavesPerEU: 1
; Occupancy: 16
; WaveLimiterHint : 0
; COMPUTE_PGM_RSRC2:SCRATCH_EN: 0
; COMPUTE_PGM_RSRC2:USER_SGPR: 2
; COMPUTE_PGM_RSRC2:TRAP_HANDLER: 0
; COMPUTE_PGM_RSRC2:TGID_X_EN: 1
; COMPUTE_PGM_RSRC2:TGID_Y_EN: 0
; COMPUTE_PGM_RSRC2:TGID_Z_EN: 0
; COMPUTE_PGM_RSRC2:TIDIG_COMP_CNT: 0
	.section	.text._ZN7rocprim17ROCPRIM_400000_NS6detail17trampoline_kernelINS0_14default_configENS1_25partition_config_selectorILNS1_17partition_subalgoE6EfNS0_10empty_typeEbEEZZNS1_14partition_implILS5_6ELb0ES3_mN6thrust23THRUST_200600_302600_NS6detail15normal_iteratorINSA_10device_ptrIfEEEEPS6_SG_NS0_5tupleIJSF_S6_EEENSH_IJSG_SG_EEES6_PlJNSB_9not_fun_tI7is_trueIfEEEEEE10hipError_tPvRmT3_T4_T5_T6_T7_T9_mT8_P12ihipStream_tbDpT10_ENKUlT_T0_E_clISt17integral_constantIbLb0EES17_IbLb1EEEEDaS13_S14_EUlS13_E_NS1_11comp_targetILNS1_3genE3ELNS1_11target_archE908ELNS1_3gpuE7ELNS1_3repE0EEENS1_30default_config_static_selectorELNS0_4arch9wavefront6targetE0EEEvT1_,"axG",@progbits,_ZN7rocprim17ROCPRIM_400000_NS6detail17trampoline_kernelINS0_14default_configENS1_25partition_config_selectorILNS1_17partition_subalgoE6EfNS0_10empty_typeEbEEZZNS1_14partition_implILS5_6ELb0ES3_mN6thrust23THRUST_200600_302600_NS6detail15normal_iteratorINSA_10device_ptrIfEEEEPS6_SG_NS0_5tupleIJSF_S6_EEENSH_IJSG_SG_EEES6_PlJNSB_9not_fun_tI7is_trueIfEEEEEE10hipError_tPvRmT3_T4_T5_T6_T7_T9_mT8_P12ihipStream_tbDpT10_ENKUlT_T0_E_clISt17integral_constantIbLb0EES17_IbLb1EEEEDaS13_S14_EUlS13_E_NS1_11comp_targetILNS1_3genE3ELNS1_11target_archE908ELNS1_3gpuE7ELNS1_3repE0EEENS1_30default_config_static_selectorELNS0_4arch9wavefront6targetE0EEEvT1_,comdat
	.protected	_ZN7rocprim17ROCPRIM_400000_NS6detail17trampoline_kernelINS0_14default_configENS1_25partition_config_selectorILNS1_17partition_subalgoE6EfNS0_10empty_typeEbEEZZNS1_14partition_implILS5_6ELb0ES3_mN6thrust23THRUST_200600_302600_NS6detail15normal_iteratorINSA_10device_ptrIfEEEEPS6_SG_NS0_5tupleIJSF_S6_EEENSH_IJSG_SG_EEES6_PlJNSB_9not_fun_tI7is_trueIfEEEEEE10hipError_tPvRmT3_T4_T5_T6_T7_T9_mT8_P12ihipStream_tbDpT10_ENKUlT_T0_E_clISt17integral_constantIbLb0EES17_IbLb1EEEEDaS13_S14_EUlS13_E_NS1_11comp_targetILNS1_3genE3ELNS1_11target_archE908ELNS1_3gpuE7ELNS1_3repE0EEENS1_30default_config_static_selectorELNS0_4arch9wavefront6targetE0EEEvT1_ ; -- Begin function _ZN7rocprim17ROCPRIM_400000_NS6detail17trampoline_kernelINS0_14default_configENS1_25partition_config_selectorILNS1_17partition_subalgoE6EfNS0_10empty_typeEbEEZZNS1_14partition_implILS5_6ELb0ES3_mN6thrust23THRUST_200600_302600_NS6detail15normal_iteratorINSA_10device_ptrIfEEEEPS6_SG_NS0_5tupleIJSF_S6_EEENSH_IJSG_SG_EEES6_PlJNSB_9not_fun_tI7is_trueIfEEEEEE10hipError_tPvRmT3_T4_T5_T6_T7_T9_mT8_P12ihipStream_tbDpT10_ENKUlT_T0_E_clISt17integral_constantIbLb0EES17_IbLb1EEEEDaS13_S14_EUlS13_E_NS1_11comp_targetILNS1_3genE3ELNS1_11target_archE908ELNS1_3gpuE7ELNS1_3repE0EEENS1_30default_config_static_selectorELNS0_4arch9wavefront6targetE0EEEvT1_
	.globl	_ZN7rocprim17ROCPRIM_400000_NS6detail17trampoline_kernelINS0_14default_configENS1_25partition_config_selectorILNS1_17partition_subalgoE6EfNS0_10empty_typeEbEEZZNS1_14partition_implILS5_6ELb0ES3_mN6thrust23THRUST_200600_302600_NS6detail15normal_iteratorINSA_10device_ptrIfEEEEPS6_SG_NS0_5tupleIJSF_S6_EEENSH_IJSG_SG_EEES6_PlJNSB_9not_fun_tI7is_trueIfEEEEEE10hipError_tPvRmT3_T4_T5_T6_T7_T9_mT8_P12ihipStream_tbDpT10_ENKUlT_T0_E_clISt17integral_constantIbLb0EES17_IbLb1EEEEDaS13_S14_EUlS13_E_NS1_11comp_targetILNS1_3genE3ELNS1_11target_archE908ELNS1_3gpuE7ELNS1_3repE0EEENS1_30default_config_static_selectorELNS0_4arch9wavefront6targetE0EEEvT1_
	.p2align	8
	.type	_ZN7rocprim17ROCPRIM_400000_NS6detail17trampoline_kernelINS0_14default_configENS1_25partition_config_selectorILNS1_17partition_subalgoE6EfNS0_10empty_typeEbEEZZNS1_14partition_implILS5_6ELb0ES3_mN6thrust23THRUST_200600_302600_NS6detail15normal_iteratorINSA_10device_ptrIfEEEEPS6_SG_NS0_5tupleIJSF_S6_EEENSH_IJSG_SG_EEES6_PlJNSB_9not_fun_tI7is_trueIfEEEEEE10hipError_tPvRmT3_T4_T5_T6_T7_T9_mT8_P12ihipStream_tbDpT10_ENKUlT_T0_E_clISt17integral_constantIbLb0EES17_IbLb1EEEEDaS13_S14_EUlS13_E_NS1_11comp_targetILNS1_3genE3ELNS1_11target_archE908ELNS1_3gpuE7ELNS1_3repE0EEENS1_30default_config_static_selectorELNS0_4arch9wavefront6targetE0EEEvT1_,@function
_ZN7rocprim17ROCPRIM_400000_NS6detail17trampoline_kernelINS0_14default_configENS1_25partition_config_selectorILNS1_17partition_subalgoE6EfNS0_10empty_typeEbEEZZNS1_14partition_implILS5_6ELb0ES3_mN6thrust23THRUST_200600_302600_NS6detail15normal_iteratorINSA_10device_ptrIfEEEEPS6_SG_NS0_5tupleIJSF_S6_EEENSH_IJSG_SG_EEES6_PlJNSB_9not_fun_tI7is_trueIfEEEEEE10hipError_tPvRmT3_T4_T5_T6_T7_T9_mT8_P12ihipStream_tbDpT10_ENKUlT_T0_E_clISt17integral_constantIbLb0EES17_IbLb1EEEEDaS13_S14_EUlS13_E_NS1_11comp_targetILNS1_3genE3ELNS1_11target_archE908ELNS1_3gpuE7ELNS1_3repE0EEENS1_30default_config_static_selectorELNS0_4arch9wavefront6targetE0EEEvT1_: ; @_ZN7rocprim17ROCPRIM_400000_NS6detail17trampoline_kernelINS0_14default_configENS1_25partition_config_selectorILNS1_17partition_subalgoE6EfNS0_10empty_typeEbEEZZNS1_14partition_implILS5_6ELb0ES3_mN6thrust23THRUST_200600_302600_NS6detail15normal_iteratorINSA_10device_ptrIfEEEEPS6_SG_NS0_5tupleIJSF_S6_EEENSH_IJSG_SG_EEES6_PlJNSB_9not_fun_tI7is_trueIfEEEEEE10hipError_tPvRmT3_T4_T5_T6_T7_T9_mT8_P12ihipStream_tbDpT10_ENKUlT_T0_E_clISt17integral_constantIbLb0EES17_IbLb1EEEEDaS13_S14_EUlS13_E_NS1_11comp_targetILNS1_3genE3ELNS1_11target_archE908ELNS1_3gpuE7ELNS1_3repE0EEENS1_30default_config_static_selectorELNS0_4arch9wavefront6targetE0EEEvT1_
; %bb.0:
	.section	.rodata,"a",@progbits
	.p2align	6, 0x0
	.amdhsa_kernel _ZN7rocprim17ROCPRIM_400000_NS6detail17trampoline_kernelINS0_14default_configENS1_25partition_config_selectorILNS1_17partition_subalgoE6EfNS0_10empty_typeEbEEZZNS1_14partition_implILS5_6ELb0ES3_mN6thrust23THRUST_200600_302600_NS6detail15normal_iteratorINSA_10device_ptrIfEEEEPS6_SG_NS0_5tupleIJSF_S6_EEENSH_IJSG_SG_EEES6_PlJNSB_9not_fun_tI7is_trueIfEEEEEE10hipError_tPvRmT3_T4_T5_T6_T7_T9_mT8_P12ihipStream_tbDpT10_ENKUlT_T0_E_clISt17integral_constantIbLb0EES17_IbLb1EEEEDaS13_S14_EUlS13_E_NS1_11comp_targetILNS1_3genE3ELNS1_11target_archE908ELNS1_3gpuE7ELNS1_3repE0EEENS1_30default_config_static_selectorELNS0_4arch9wavefront6targetE0EEEvT1_
		.amdhsa_group_segment_fixed_size 0
		.amdhsa_private_segment_fixed_size 0
		.amdhsa_kernarg_size 128
		.amdhsa_user_sgpr_count 2
		.amdhsa_user_sgpr_dispatch_ptr 0
		.amdhsa_user_sgpr_queue_ptr 0
		.amdhsa_user_sgpr_kernarg_segment_ptr 1
		.amdhsa_user_sgpr_dispatch_id 0
		.amdhsa_user_sgpr_private_segment_size 0
		.amdhsa_wavefront_size32 1
		.amdhsa_uses_dynamic_stack 0
		.amdhsa_enable_private_segment 0
		.amdhsa_system_sgpr_workgroup_id_x 1
		.amdhsa_system_sgpr_workgroup_id_y 0
		.amdhsa_system_sgpr_workgroup_id_z 0
		.amdhsa_system_sgpr_workgroup_info 0
		.amdhsa_system_vgpr_workitem_id 0
		.amdhsa_next_free_vgpr 1
		.amdhsa_next_free_sgpr 1
		.amdhsa_reserve_vcc 0
		.amdhsa_float_round_mode_32 0
		.amdhsa_float_round_mode_16_64 0
		.amdhsa_float_denorm_mode_32 3
		.amdhsa_float_denorm_mode_16_64 3
		.amdhsa_fp16_overflow 0
		.amdhsa_workgroup_processor_mode 1
		.amdhsa_memory_ordered 1
		.amdhsa_forward_progress 1
		.amdhsa_inst_pref_size 0
		.amdhsa_round_robin_scheduling 0
		.amdhsa_exception_fp_ieee_invalid_op 0
		.amdhsa_exception_fp_denorm_src 0
		.amdhsa_exception_fp_ieee_div_zero 0
		.amdhsa_exception_fp_ieee_overflow 0
		.amdhsa_exception_fp_ieee_underflow 0
		.amdhsa_exception_fp_ieee_inexact 0
		.amdhsa_exception_int_div_zero 0
	.end_amdhsa_kernel
	.section	.text._ZN7rocprim17ROCPRIM_400000_NS6detail17trampoline_kernelINS0_14default_configENS1_25partition_config_selectorILNS1_17partition_subalgoE6EfNS0_10empty_typeEbEEZZNS1_14partition_implILS5_6ELb0ES3_mN6thrust23THRUST_200600_302600_NS6detail15normal_iteratorINSA_10device_ptrIfEEEEPS6_SG_NS0_5tupleIJSF_S6_EEENSH_IJSG_SG_EEES6_PlJNSB_9not_fun_tI7is_trueIfEEEEEE10hipError_tPvRmT3_T4_T5_T6_T7_T9_mT8_P12ihipStream_tbDpT10_ENKUlT_T0_E_clISt17integral_constantIbLb0EES17_IbLb1EEEEDaS13_S14_EUlS13_E_NS1_11comp_targetILNS1_3genE3ELNS1_11target_archE908ELNS1_3gpuE7ELNS1_3repE0EEENS1_30default_config_static_selectorELNS0_4arch9wavefront6targetE0EEEvT1_,"axG",@progbits,_ZN7rocprim17ROCPRIM_400000_NS6detail17trampoline_kernelINS0_14default_configENS1_25partition_config_selectorILNS1_17partition_subalgoE6EfNS0_10empty_typeEbEEZZNS1_14partition_implILS5_6ELb0ES3_mN6thrust23THRUST_200600_302600_NS6detail15normal_iteratorINSA_10device_ptrIfEEEEPS6_SG_NS0_5tupleIJSF_S6_EEENSH_IJSG_SG_EEES6_PlJNSB_9not_fun_tI7is_trueIfEEEEEE10hipError_tPvRmT3_T4_T5_T6_T7_T9_mT8_P12ihipStream_tbDpT10_ENKUlT_T0_E_clISt17integral_constantIbLb0EES17_IbLb1EEEEDaS13_S14_EUlS13_E_NS1_11comp_targetILNS1_3genE3ELNS1_11target_archE908ELNS1_3gpuE7ELNS1_3repE0EEENS1_30default_config_static_selectorELNS0_4arch9wavefront6targetE0EEEvT1_,comdat
.Lfunc_end1104:
	.size	_ZN7rocprim17ROCPRIM_400000_NS6detail17trampoline_kernelINS0_14default_configENS1_25partition_config_selectorILNS1_17partition_subalgoE6EfNS0_10empty_typeEbEEZZNS1_14partition_implILS5_6ELb0ES3_mN6thrust23THRUST_200600_302600_NS6detail15normal_iteratorINSA_10device_ptrIfEEEEPS6_SG_NS0_5tupleIJSF_S6_EEENSH_IJSG_SG_EEES6_PlJNSB_9not_fun_tI7is_trueIfEEEEEE10hipError_tPvRmT3_T4_T5_T6_T7_T9_mT8_P12ihipStream_tbDpT10_ENKUlT_T0_E_clISt17integral_constantIbLb0EES17_IbLb1EEEEDaS13_S14_EUlS13_E_NS1_11comp_targetILNS1_3genE3ELNS1_11target_archE908ELNS1_3gpuE7ELNS1_3repE0EEENS1_30default_config_static_selectorELNS0_4arch9wavefront6targetE0EEEvT1_, .Lfunc_end1104-_ZN7rocprim17ROCPRIM_400000_NS6detail17trampoline_kernelINS0_14default_configENS1_25partition_config_selectorILNS1_17partition_subalgoE6EfNS0_10empty_typeEbEEZZNS1_14partition_implILS5_6ELb0ES3_mN6thrust23THRUST_200600_302600_NS6detail15normal_iteratorINSA_10device_ptrIfEEEEPS6_SG_NS0_5tupleIJSF_S6_EEENSH_IJSG_SG_EEES6_PlJNSB_9not_fun_tI7is_trueIfEEEEEE10hipError_tPvRmT3_T4_T5_T6_T7_T9_mT8_P12ihipStream_tbDpT10_ENKUlT_T0_E_clISt17integral_constantIbLb0EES17_IbLb1EEEEDaS13_S14_EUlS13_E_NS1_11comp_targetILNS1_3genE3ELNS1_11target_archE908ELNS1_3gpuE7ELNS1_3repE0EEENS1_30default_config_static_selectorELNS0_4arch9wavefront6targetE0EEEvT1_
                                        ; -- End function
	.set _ZN7rocprim17ROCPRIM_400000_NS6detail17trampoline_kernelINS0_14default_configENS1_25partition_config_selectorILNS1_17partition_subalgoE6EfNS0_10empty_typeEbEEZZNS1_14partition_implILS5_6ELb0ES3_mN6thrust23THRUST_200600_302600_NS6detail15normal_iteratorINSA_10device_ptrIfEEEEPS6_SG_NS0_5tupleIJSF_S6_EEENSH_IJSG_SG_EEES6_PlJNSB_9not_fun_tI7is_trueIfEEEEEE10hipError_tPvRmT3_T4_T5_T6_T7_T9_mT8_P12ihipStream_tbDpT10_ENKUlT_T0_E_clISt17integral_constantIbLb0EES17_IbLb1EEEEDaS13_S14_EUlS13_E_NS1_11comp_targetILNS1_3genE3ELNS1_11target_archE908ELNS1_3gpuE7ELNS1_3repE0EEENS1_30default_config_static_selectorELNS0_4arch9wavefront6targetE0EEEvT1_.num_vgpr, 0
	.set _ZN7rocprim17ROCPRIM_400000_NS6detail17trampoline_kernelINS0_14default_configENS1_25partition_config_selectorILNS1_17partition_subalgoE6EfNS0_10empty_typeEbEEZZNS1_14partition_implILS5_6ELb0ES3_mN6thrust23THRUST_200600_302600_NS6detail15normal_iteratorINSA_10device_ptrIfEEEEPS6_SG_NS0_5tupleIJSF_S6_EEENSH_IJSG_SG_EEES6_PlJNSB_9not_fun_tI7is_trueIfEEEEEE10hipError_tPvRmT3_T4_T5_T6_T7_T9_mT8_P12ihipStream_tbDpT10_ENKUlT_T0_E_clISt17integral_constantIbLb0EES17_IbLb1EEEEDaS13_S14_EUlS13_E_NS1_11comp_targetILNS1_3genE3ELNS1_11target_archE908ELNS1_3gpuE7ELNS1_3repE0EEENS1_30default_config_static_selectorELNS0_4arch9wavefront6targetE0EEEvT1_.num_agpr, 0
	.set _ZN7rocprim17ROCPRIM_400000_NS6detail17trampoline_kernelINS0_14default_configENS1_25partition_config_selectorILNS1_17partition_subalgoE6EfNS0_10empty_typeEbEEZZNS1_14partition_implILS5_6ELb0ES3_mN6thrust23THRUST_200600_302600_NS6detail15normal_iteratorINSA_10device_ptrIfEEEEPS6_SG_NS0_5tupleIJSF_S6_EEENSH_IJSG_SG_EEES6_PlJNSB_9not_fun_tI7is_trueIfEEEEEE10hipError_tPvRmT3_T4_T5_T6_T7_T9_mT8_P12ihipStream_tbDpT10_ENKUlT_T0_E_clISt17integral_constantIbLb0EES17_IbLb1EEEEDaS13_S14_EUlS13_E_NS1_11comp_targetILNS1_3genE3ELNS1_11target_archE908ELNS1_3gpuE7ELNS1_3repE0EEENS1_30default_config_static_selectorELNS0_4arch9wavefront6targetE0EEEvT1_.numbered_sgpr, 0
	.set _ZN7rocprim17ROCPRIM_400000_NS6detail17trampoline_kernelINS0_14default_configENS1_25partition_config_selectorILNS1_17partition_subalgoE6EfNS0_10empty_typeEbEEZZNS1_14partition_implILS5_6ELb0ES3_mN6thrust23THRUST_200600_302600_NS6detail15normal_iteratorINSA_10device_ptrIfEEEEPS6_SG_NS0_5tupleIJSF_S6_EEENSH_IJSG_SG_EEES6_PlJNSB_9not_fun_tI7is_trueIfEEEEEE10hipError_tPvRmT3_T4_T5_T6_T7_T9_mT8_P12ihipStream_tbDpT10_ENKUlT_T0_E_clISt17integral_constantIbLb0EES17_IbLb1EEEEDaS13_S14_EUlS13_E_NS1_11comp_targetILNS1_3genE3ELNS1_11target_archE908ELNS1_3gpuE7ELNS1_3repE0EEENS1_30default_config_static_selectorELNS0_4arch9wavefront6targetE0EEEvT1_.num_named_barrier, 0
	.set _ZN7rocprim17ROCPRIM_400000_NS6detail17trampoline_kernelINS0_14default_configENS1_25partition_config_selectorILNS1_17partition_subalgoE6EfNS0_10empty_typeEbEEZZNS1_14partition_implILS5_6ELb0ES3_mN6thrust23THRUST_200600_302600_NS6detail15normal_iteratorINSA_10device_ptrIfEEEEPS6_SG_NS0_5tupleIJSF_S6_EEENSH_IJSG_SG_EEES6_PlJNSB_9not_fun_tI7is_trueIfEEEEEE10hipError_tPvRmT3_T4_T5_T6_T7_T9_mT8_P12ihipStream_tbDpT10_ENKUlT_T0_E_clISt17integral_constantIbLb0EES17_IbLb1EEEEDaS13_S14_EUlS13_E_NS1_11comp_targetILNS1_3genE3ELNS1_11target_archE908ELNS1_3gpuE7ELNS1_3repE0EEENS1_30default_config_static_selectorELNS0_4arch9wavefront6targetE0EEEvT1_.private_seg_size, 0
	.set _ZN7rocprim17ROCPRIM_400000_NS6detail17trampoline_kernelINS0_14default_configENS1_25partition_config_selectorILNS1_17partition_subalgoE6EfNS0_10empty_typeEbEEZZNS1_14partition_implILS5_6ELb0ES3_mN6thrust23THRUST_200600_302600_NS6detail15normal_iteratorINSA_10device_ptrIfEEEEPS6_SG_NS0_5tupleIJSF_S6_EEENSH_IJSG_SG_EEES6_PlJNSB_9not_fun_tI7is_trueIfEEEEEE10hipError_tPvRmT3_T4_T5_T6_T7_T9_mT8_P12ihipStream_tbDpT10_ENKUlT_T0_E_clISt17integral_constantIbLb0EES17_IbLb1EEEEDaS13_S14_EUlS13_E_NS1_11comp_targetILNS1_3genE3ELNS1_11target_archE908ELNS1_3gpuE7ELNS1_3repE0EEENS1_30default_config_static_selectorELNS0_4arch9wavefront6targetE0EEEvT1_.uses_vcc, 0
	.set _ZN7rocprim17ROCPRIM_400000_NS6detail17trampoline_kernelINS0_14default_configENS1_25partition_config_selectorILNS1_17partition_subalgoE6EfNS0_10empty_typeEbEEZZNS1_14partition_implILS5_6ELb0ES3_mN6thrust23THRUST_200600_302600_NS6detail15normal_iteratorINSA_10device_ptrIfEEEEPS6_SG_NS0_5tupleIJSF_S6_EEENSH_IJSG_SG_EEES6_PlJNSB_9not_fun_tI7is_trueIfEEEEEE10hipError_tPvRmT3_T4_T5_T6_T7_T9_mT8_P12ihipStream_tbDpT10_ENKUlT_T0_E_clISt17integral_constantIbLb0EES17_IbLb1EEEEDaS13_S14_EUlS13_E_NS1_11comp_targetILNS1_3genE3ELNS1_11target_archE908ELNS1_3gpuE7ELNS1_3repE0EEENS1_30default_config_static_selectorELNS0_4arch9wavefront6targetE0EEEvT1_.uses_flat_scratch, 0
	.set _ZN7rocprim17ROCPRIM_400000_NS6detail17trampoline_kernelINS0_14default_configENS1_25partition_config_selectorILNS1_17partition_subalgoE6EfNS0_10empty_typeEbEEZZNS1_14partition_implILS5_6ELb0ES3_mN6thrust23THRUST_200600_302600_NS6detail15normal_iteratorINSA_10device_ptrIfEEEEPS6_SG_NS0_5tupleIJSF_S6_EEENSH_IJSG_SG_EEES6_PlJNSB_9not_fun_tI7is_trueIfEEEEEE10hipError_tPvRmT3_T4_T5_T6_T7_T9_mT8_P12ihipStream_tbDpT10_ENKUlT_T0_E_clISt17integral_constantIbLb0EES17_IbLb1EEEEDaS13_S14_EUlS13_E_NS1_11comp_targetILNS1_3genE3ELNS1_11target_archE908ELNS1_3gpuE7ELNS1_3repE0EEENS1_30default_config_static_selectorELNS0_4arch9wavefront6targetE0EEEvT1_.has_dyn_sized_stack, 0
	.set _ZN7rocprim17ROCPRIM_400000_NS6detail17trampoline_kernelINS0_14default_configENS1_25partition_config_selectorILNS1_17partition_subalgoE6EfNS0_10empty_typeEbEEZZNS1_14partition_implILS5_6ELb0ES3_mN6thrust23THRUST_200600_302600_NS6detail15normal_iteratorINSA_10device_ptrIfEEEEPS6_SG_NS0_5tupleIJSF_S6_EEENSH_IJSG_SG_EEES6_PlJNSB_9not_fun_tI7is_trueIfEEEEEE10hipError_tPvRmT3_T4_T5_T6_T7_T9_mT8_P12ihipStream_tbDpT10_ENKUlT_T0_E_clISt17integral_constantIbLb0EES17_IbLb1EEEEDaS13_S14_EUlS13_E_NS1_11comp_targetILNS1_3genE3ELNS1_11target_archE908ELNS1_3gpuE7ELNS1_3repE0EEENS1_30default_config_static_selectorELNS0_4arch9wavefront6targetE0EEEvT1_.has_recursion, 0
	.set _ZN7rocprim17ROCPRIM_400000_NS6detail17trampoline_kernelINS0_14default_configENS1_25partition_config_selectorILNS1_17partition_subalgoE6EfNS0_10empty_typeEbEEZZNS1_14partition_implILS5_6ELb0ES3_mN6thrust23THRUST_200600_302600_NS6detail15normal_iteratorINSA_10device_ptrIfEEEEPS6_SG_NS0_5tupleIJSF_S6_EEENSH_IJSG_SG_EEES6_PlJNSB_9not_fun_tI7is_trueIfEEEEEE10hipError_tPvRmT3_T4_T5_T6_T7_T9_mT8_P12ihipStream_tbDpT10_ENKUlT_T0_E_clISt17integral_constantIbLb0EES17_IbLb1EEEEDaS13_S14_EUlS13_E_NS1_11comp_targetILNS1_3genE3ELNS1_11target_archE908ELNS1_3gpuE7ELNS1_3repE0EEENS1_30default_config_static_selectorELNS0_4arch9wavefront6targetE0EEEvT1_.has_indirect_call, 0
	.section	.AMDGPU.csdata,"",@progbits
; Kernel info:
; codeLenInByte = 0
; TotalNumSgprs: 0
; NumVgprs: 0
; ScratchSize: 0
; MemoryBound: 0
; FloatMode: 240
; IeeeMode: 1
; LDSByteSize: 0 bytes/workgroup (compile time only)
; SGPRBlocks: 0
; VGPRBlocks: 0
; NumSGPRsForWavesPerEU: 1
; NumVGPRsForWavesPerEU: 1
; Occupancy: 16
; WaveLimiterHint : 0
; COMPUTE_PGM_RSRC2:SCRATCH_EN: 0
; COMPUTE_PGM_RSRC2:USER_SGPR: 2
; COMPUTE_PGM_RSRC2:TRAP_HANDLER: 0
; COMPUTE_PGM_RSRC2:TGID_X_EN: 1
; COMPUTE_PGM_RSRC2:TGID_Y_EN: 0
; COMPUTE_PGM_RSRC2:TGID_Z_EN: 0
; COMPUTE_PGM_RSRC2:TIDIG_COMP_CNT: 0
	.section	.text._ZN7rocprim17ROCPRIM_400000_NS6detail17trampoline_kernelINS0_14default_configENS1_25partition_config_selectorILNS1_17partition_subalgoE6EfNS0_10empty_typeEbEEZZNS1_14partition_implILS5_6ELb0ES3_mN6thrust23THRUST_200600_302600_NS6detail15normal_iteratorINSA_10device_ptrIfEEEEPS6_SG_NS0_5tupleIJSF_S6_EEENSH_IJSG_SG_EEES6_PlJNSB_9not_fun_tI7is_trueIfEEEEEE10hipError_tPvRmT3_T4_T5_T6_T7_T9_mT8_P12ihipStream_tbDpT10_ENKUlT_T0_E_clISt17integral_constantIbLb0EES17_IbLb1EEEEDaS13_S14_EUlS13_E_NS1_11comp_targetILNS1_3genE2ELNS1_11target_archE906ELNS1_3gpuE6ELNS1_3repE0EEENS1_30default_config_static_selectorELNS0_4arch9wavefront6targetE0EEEvT1_,"axG",@progbits,_ZN7rocprim17ROCPRIM_400000_NS6detail17trampoline_kernelINS0_14default_configENS1_25partition_config_selectorILNS1_17partition_subalgoE6EfNS0_10empty_typeEbEEZZNS1_14partition_implILS5_6ELb0ES3_mN6thrust23THRUST_200600_302600_NS6detail15normal_iteratorINSA_10device_ptrIfEEEEPS6_SG_NS0_5tupleIJSF_S6_EEENSH_IJSG_SG_EEES6_PlJNSB_9not_fun_tI7is_trueIfEEEEEE10hipError_tPvRmT3_T4_T5_T6_T7_T9_mT8_P12ihipStream_tbDpT10_ENKUlT_T0_E_clISt17integral_constantIbLb0EES17_IbLb1EEEEDaS13_S14_EUlS13_E_NS1_11comp_targetILNS1_3genE2ELNS1_11target_archE906ELNS1_3gpuE6ELNS1_3repE0EEENS1_30default_config_static_selectorELNS0_4arch9wavefront6targetE0EEEvT1_,comdat
	.protected	_ZN7rocprim17ROCPRIM_400000_NS6detail17trampoline_kernelINS0_14default_configENS1_25partition_config_selectorILNS1_17partition_subalgoE6EfNS0_10empty_typeEbEEZZNS1_14partition_implILS5_6ELb0ES3_mN6thrust23THRUST_200600_302600_NS6detail15normal_iteratorINSA_10device_ptrIfEEEEPS6_SG_NS0_5tupleIJSF_S6_EEENSH_IJSG_SG_EEES6_PlJNSB_9not_fun_tI7is_trueIfEEEEEE10hipError_tPvRmT3_T4_T5_T6_T7_T9_mT8_P12ihipStream_tbDpT10_ENKUlT_T0_E_clISt17integral_constantIbLb0EES17_IbLb1EEEEDaS13_S14_EUlS13_E_NS1_11comp_targetILNS1_3genE2ELNS1_11target_archE906ELNS1_3gpuE6ELNS1_3repE0EEENS1_30default_config_static_selectorELNS0_4arch9wavefront6targetE0EEEvT1_ ; -- Begin function _ZN7rocprim17ROCPRIM_400000_NS6detail17trampoline_kernelINS0_14default_configENS1_25partition_config_selectorILNS1_17partition_subalgoE6EfNS0_10empty_typeEbEEZZNS1_14partition_implILS5_6ELb0ES3_mN6thrust23THRUST_200600_302600_NS6detail15normal_iteratorINSA_10device_ptrIfEEEEPS6_SG_NS0_5tupleIJSF_S6_EEENSH_IJSG_SG_EEES6_PlJNSB_9not_fun_tI7is_trueIfEEEEEE10hipError_tPvRmT3_T4_T5_T6_T7_T9_mT8_P12ihipStream_tbDpT10_ENKUlT_T0_E_clISt17integral_constantIbLb0EES17_IbLb1EEEEDaS13_S14_EUlS13_E_NS1_11comp_targetILNS1_3genE2ELNS1_11target_archE906ELNS1_3gpuE6ELNS1_3repE0EEENS1_30default_config_static_selectorELNS0_4arch9wavefront6targetE0EEEvT1_
	.globl	_ZN7rocprim17ROCPRIM_400000_NS6detail17trampoline_kernelINS0_14default_configENS1_25partition_config_selectorILNS1_17partition_subalgoE6EfNS0_10empty_typeEbEEZZNS1_14partition_implILS5_6ELb0ES3_mN6thrust23THRUST_200600_302600_NS6detail15normal_iteratorINSA_10device_ptrIfEEEEPS6_SG_NS0_5tupleIJSF_S6_EEENSH_IJSG_SG_EEES6_PlJNSB_9not_fun_tI7is_trueIfEEEEEE10hipError_tPvRmT3_T4_T5_T6_T7_T9_mT8_P12ihipStream_tbDpT10_ENKUlT_T0_E_clISt17integral_constantIbLb0EES17_IbLb1EEEEDaS13_S14_EUlS13_E_NS1_11comp_targetILNS1_3genE2ELNS1_11target_archE906ELNS1_3gpuE6ELNS1_3repE0EEENS1_30default_config_static_selectorELNS0_4arch9wavefront6targetE0EEEvT1_
	.p2align	8
	.type	_ZN7rocprim17ROCPRIM_400000_NS6detail17trampoline_kernelINS0_14default_configENS1_25partition_config_selectorILNS1_17partition_subalgoE6EfNS0_10empty_typeEbEEZZNS1_14partition_implILS5_6ELb0ES3_mN6thrust23THRUST_200600_302600_NS6detail15normal_iteratorINSA_10device_ptrIfEEEEPS6_SG_NS0_5tupleIJSF_S6_EEENSH_IJSG_SG_EEES6_PlJNSB_9not_fun_tI7is_trueIfEEEEEE10hipError_tPvRmT3_T4_T5_T6_T7_T9_mT8_P12ihipStream_tbDpT10_ENKUlT_T0_E_clISt17integral_constantIbLb0EES17_IbLb1EEEEDaS13_S14_EUlS13_E_NS1_11comp_targetILNS1_3genE2ELNS1_11target_archE906ELNS1_3gpuE6ELNS1_3repE0EEENS1_30default_config_static_selectorELNS0_4arch9wavefront6targetE0EEEvT1_,@function
_ZN7rocprim17ROCPRIM_400000_NS6detail17trampoline_kernelINS0_14default_configENS1_25partition_config_selectorILNS1_17partition_subalgoE6EfNS0_10empty_typeEbEEZZNS1_14partition_implILS5_6ELb0ES3_mN6thrust23THRUST_200600_302600_NS6detail15normal_iteratorINSA_10device_ptrIfEEEEPS6_SG_NS0_5tupleIJSF_S6_EEENSH_IJSG_SG_EEES6_PlJNSB_9not_fun_tI7is_trueIfEEEEEE10hipError_tPvRmT3_T4_T5_T6_T7_T9_mT8_P12ihipStream_tbDpT10_ENKUlT_T0_E_clISt17integral_constantIbLb0EES17_IbLb1EEEEDaS13_S14_EUlS13_E_NS1_11comp_targetILNS1_3genE2ELNS1_11target_archE906ELNS1_3gpuE6ELNS1_3repE0EEENS1_30default_config_static_selectorELNS0_4arch9wavefront6targetE0EEEvT1_: ; @_ZN7rocprim17ROCPRIM_400000_NS6detail17trampoline_kernelINS0_14default_configENS1_25partition_config_selectorILNS1_17partition_subalgoE6EfNS0_10empty_typeEbEEZZNS1_14partition_implILS5_6ELb0ES3_mN6thrust23THRUST_200600_302600_NS6detail15normal_iteratorINSA_10device_ptrIfEEEEPS6_SG_NS0_5tupleIJSF_S6_EEENSH_IJSG_SG_EEES6_PlJNSB_9not_fun_tI7is_trueIfEEEEEE10hipError_tPvRmT3_T4_T5_T6_T7_T9_mT8_P12ihipStream_tbDpT10_ENKUlT_T0_E_clISt17integral_constantIbLb0EES17_IbLb1EEEEDaS13_S14_EUlS13_E_NS1_11comp_targetILNS1_3genE2ELNS1_11target_archE906ELNS1_3gpuE6ELNS1_3repE0EEENS1_30default_config_static_selectorELNS0_4arch9wavefront6targetE0EEEvT1_
; %bb.0:
	.section	.rodata,"a",@progbits
	.p2align	6, 0x0
	.amdhsa_kernel _ZN7rocprim17ROCPRIM_400000_NS6detail17trampoline_kernelINS0_14default_configENS1_25partition_config_selectorILNS1_17partition_subalgoE6EfNS0_10empty_typeEbEEZZNS1_14partition_implILS5_6ELb0ES3_mN6thrust23THRUST_200600_302600_NS6detail15normal_iteratorINSA_10device_ptrIfEEEEPS6_SG_NS0_5tupleIJSF_S6_EEENSH_IJSG_SG_EEES6_PlJNSB_9not_fun_tI7is_trueIfEEEEEE10hipError_tPvRmT3_T4_T5_T6_T7_T9_mT8_P12ihipStream_tbDpT10_ENKUlT_T0_E_clISt17integral_constantIbLb0EES17_IbLb1EEEEDaS13_S14_EUlS13_E_NS1_11comp_targetILNS1_3genE2ELNS1_11target_archE906ELNS1_3gpuE6ELNS1_3repE0EEENS1_30default_config_static_selectorELNS0_4arch9wavefront6targetE0EEEvT1_
		.amdhsa_group_segment_fixed_size 0
		.amdhsa_private_segment_fixed_size 0
		.amdhsa_kernarg_size 128
		.amdhsa_user_sgpr_count 2
		.amdhsa_user_sgpr_dispatch_ptr 0
		.amdhsa_user_sgpr_queue_ptr 0
		.amdhsa_user_sgpr_kernarg_segment_ptr 1
		.amdhsa_user_sgpr_dispatch_id 0
		.amdhsa_user_sgpr_private_segment_size 0
		.amdhsa_wavefront_size32 1
		.amdhsa_uses_dynamic_stack 0
		.amdhsa_enable_private_segment 0
		.amdhsa_system_sgpr_workgroup_id_x 1
		.amdhsa_system_sgpr_workgroup_id_y 0
		.amdhsa_system_sgpr_workgroup_id_z 0
		.amdhsa_system_sgpr_workgroup_info 0
		.amdhsa_system_vgpr_workitem_id 0
		.amdhsa_next_free_vgpr 1
		.amdhsa_next_free_sgpr 1
		.amdhsa_reserve_vcc 0
		.amdhsa_float_round_mode_32 0
		.amdhsa_float_round_mode_16_64 0
		.amdhsa_float_denorm_mode_32 3
		.amdhsa_float_denorm_mode_16_64 3
		.amdhsa_fp16_overflow 0
		.amdhsa_workgroup_processor_mode 1
		.amdhsa_memory_ordered 1
		.amdhsa_forward_progress 1
		.amdhsa_inst_pref_size 0
		.amdhsa_round_robin_scheduling 0
		.amdhsa_exception_fp_ieee_invalid_op 0
		.amdhsa_exception_fp_denorm_src 0
		.amdhsa_exception_fp_ieee_div_zero 0
		.amdhsa_exception_fp_ieee_overflow 0
		.amdhsa_exception_fp_ieee_underflow 0
		.amdhsa_exception_fp_ieee_inexact 0
		.amdhsa_exception_int_div_zero 0
	.end_amdhsa_kernel
	.section	.text._ZN7rocprim17ROCPRIM_400000_NS6detail17trampoline_kernelINS0_14default_configENS1_25partition_config_selectorILNS1_17partition_subalgoE6EfNS0_10empty_typeEbEEZZNS1_14partition_implILS5_6ELb0ES3_mN6thrust23THRUST_200600_302600_NS6detail15normal_iteratorINSA_10device_ptrIfEEEEPS6_SG_NS0_5tupleIJSF_S6_EEENSH_IJSG_SG_EEES6_PlJNSB_9not_fun_tI7is_trueIfEEEEEE10hipError_tPvRmT3_T4_T5_T6_T7_T9_mT8_P12ihipStream_tbDpT10_ENKUlT_T0_E_clISt17integral_constantIbLb0EES17_IbLb1EEEEDaS13_S14_EUlS13_E_NS1_11comp_targetILNS1_3genE2ELNS1_11target_archE906ELNS1_3gpuE6ELNS1_3repE0EEENS1_30default_config_static_selectorELNS0_4arch9wavefront6targetE0EEEvT1_,"axG",@progbits,_ZN7rocprim17ROCPRIM_400000_NS6detail17trampoline_kernelINS0_14default_configENS1_25partition_config_selectorILNS1_17partition_subalgoE6EfNS0_10empty_typeEbEEZZNS1_14partition_implILS5_6ELb0ES3_mN6thrust23THRUST_200600_302600_NS6detail15normal_iteratorINSA_10device_ptrIfEEEEPS6_SG_NS0_5tupleIJSF_S6_EEENSH_IJSG_SG_EEES6_PlJNSB_9not_fun_tI7is_trueIfEEEEEE10hipError_tPvRmT3_T4_T5_T6_T7_T9_mT8_P12ihipStream_tbDpT10_ENKUlT_T0_E_clISt17integral_constantIbLb0EES17_IbLb1EEEEDaS13_S14_EUlS13_E_NS1_11comp_targetILNS1_3genE2ELNS1_11target_archE906ELNS1_3gpuE6ELNS1_3repE0EEENS1_30default_config_static_selectorELNS0_4arch9wavefront6targetE0EEEvT1_,comdat
.Lfunc_end1105:
	.size	_ZN7rocprim17ROCPRIM_400000_NS6detail17trampoline_kernelINS0_14default_configENS1_25partition_config_selectorILNS1_17partition_subalgoE6EfNS0_10empty_typeEbEEZZNS1_14partition_implILS5_6ELb0ES3_mN6thrust23THRUST_200600_302600_NS6detail15normal_iteratorINSA_10device_ptrIfEEEEPS6_SG_NS0_5tupleIJSF_S6_EEENSH_IJSG_SG_EEES6_PlJNSB_9not_fun_tI7is_trueIfEEEEEE10hipError_tPvRmT3_T4_T5_T6_T7_T9_mT8_P12ihipStream_tbDpT10_ENKUlT_T0_E_clISt17integral_constantIbLb0EES17_IbLb1EEEEDaS13_S14_EUlS13_E_NS1_11comp_targetILNS1_3genE2ELNS1_11target_archE906ELNS1_3gpuE6ELNS1_3repE0EEENS1_30default_config_static_selectorELNS0_4arch9wavefront6targetE0EEEvT1_, .Lfunc_end1105-_ZN7rocprim17ROCPRIM_400000_NS6detail17trampoline_kernelINS0_14default_configENS1_25partition_config_selectorILNS1_17partition_subalgoE6EfNS0_10empty_typeEbEEZZNS1_14partition_implILS5_6ELb0ES3_mN6thrust23THRUST_200600_302600_NS6detail15normal_iteratorINSA_10device_ptrIfEEEEPS6_SG_NS0_5tupleIJSF_S6_EEENSH_IJSG_SG_EEES6_PlJNSB_9not_fun_tI7is_trueIfEEEEEE10hipError_tPvRmT3_T4_T5_T6_T7_T9_mT8_P12ihipStream_tbDpT10_ENKUlT_T0_E_clISt17integral_constantIbLb0EES17_IbLb1EEEEDaS13_S14_EUlS13_E_NS1_11comp_targetILNS1_3genE2ELNS1_11target_archE906ELNS1_3gpuE6ELNS1_3repE0EEENS1_30default_config_static_selectorELNS0_4arch9wavefront6targetE0EEEvT1_
                                        ; -- End function
	.set _ZN7rocprim17ROCPRIM_400000_NS6detail17trampoline_kernelINS0_14default_configENS1_25partition_config_selectorILNS1_17partition_subalgoE6EfNS0_10empty_typeEbEEZZNS1_14partition_implILS5_6ELb0ES3_mN6thrust23THRUST_200600_302600_NS6detail15normal_iteratorINSA_10device_ptrIfEEEEPS6_SG_NS0_5tupleIJSF_S6_EEENSH_IJSG_SG_EEES6_PlJNSB_9not_fun_tI7is_trueIfEEEEEE10hipError_tPvRmT3_T4_T5_T6_T7_T9_mT8_P12ihipStream_tbDpT10_ENKUlT_T0_E_clISt17integral_constantIbLb0EES17_IbLb1EEEEDaS13_S14_EUlS13_E_NS1_11comp_targetILNS1_3genE2ELNS1_11target_archE906ELNS1_3gpuE6ELNS1_3repE0EEENS1_30default_config_static_selectorELNS0_4arch9wavefront6targetE0EEEvT1_.num_vgpr, 0
	.set _ZN7rocprim17ROCPRIM_400000_NS6detail17trampoline_kernelINS0_14default_configENS1_25partition_config_selectorILNS1_17partition_subalgoE6EfNS0_10empty_typeEbEEZZNS1_14partition_implILS5_6ELb0ES3_mN6thrust23THRUST_200600_302600_NS6detail15normal_iteratorINSA_10device_ptrIfEEEEPS6_SG_NS0_5tupleIJSF_S6_EEENSH_IJSG_SG_EEES6_PlJNSB_9not_fun_tI7is_trueIfEEEEEE10hipError_tPvRmT3_T4_T5_T6_T7_T9_mT8_P12ihipStream_tbDpT10_ENKUlT_T0_E_clISt17integral_constantIbLb0EES17_IbLb1EEEEDaS13_S14_EUlS13_E_NS1_11comp_targetILNS1_3genE2ELNS1_11target_archE906ELNS1_3gpuE6ELNS1_3repE0EEENS1_30default_config_static_selectorELNS0_4arch9wavefront6targetE0EEEvT1_.num_agpr, 0
	.set _ZN7rocprim17ROCPRIM_400000_NS6detail17trampoline_kernelINS0_14default_configENS1_25partition_config_selectorILNS1_17partition_subalgoE6EfNS0_10empty_typeEbEEZZNS1_14partition_implILS5_6ELb0ES3_mN6thrust23THRUST_200600_302600_NS6detail15normal_iteratorINSA_10device_ptrIfEEEEPS6_SG_NS0_5tupleIJSF_S6_EEENSH_IJSG_SG_EEES6_PlJNSB_9not_fun_tI7is_trueIfEEEEEE10hipError_tPvRmT3_T4_T5_T6_T7_T9_mT8_P12ihipStream_tbDpT10_ENKUlT_T0_E_clISt17integral_constantIbLb0EES17_IbLb1EEEEDaS13_S14_EUlS13_E_NS1_11comp_targetILNS1_3genE2ELNS1_11target_archE906ELNS1_3gpuE6ELNS1_3repE0EEENS1_30default_config_static_selectorELNS0_4arch9wavefront6targetE0EEEvT1_.numbered_sgpr, 0
	.set _ZN7rocprim17ROCPRIM_400000_NS6detail17trampoline_kernelINS0_14default_configENS1_25partition_config_selectorILNS1_17partition_subalgoE6EfNS0_10empty_typeEbEEZZNS1_14partition_implILS5_6ELb0ES3_mN6thrust23THRUST_200600_302600_NS6detail15normal_iteratorINSA_10device_ptrIfEEEEPS6_SG_NS0_5tupleIJSF_S6_EEENSH_IJSG_SG_EEES6_PlJNSB_9not_fun_tI7is_trueIfEEEEEE10hipError_tPvRmT3_T4_T5_T6_T7_T9_mT8_P12ihipStream_tbDpT10_ENKUlT_T0_E_clISt17integral_constantIbLb0EES17_IbLb1EEEEDaS13_S14_EUlS13_E_NS1_11comp_targetILNS1_3genE2ELNS1_11target_archE906ELNS1_3gpuE6ELNS1_3repE0EEENS1_30default_config_static_selectorELNS0_4arch9wavefront6targetE0EEEvT1_.num_named_barrier, 0
	.set _ZN7rocprim17ROCPRIM_400000_NS6detail17trampoline_kernelINS0_14default_configENS1_25partition_config_selectorILNS1_17partition_subalgoE6EfNS0_10empty_typeEbEEZZNS1_14partition_implILS5_6ELb0ES3_mN6thrust23THRUST_200600_302600_NS6detail15normal_iteratorINSA_10device_ptrIfEEEEPS6_SG_NS0_5tupleIJSF_S6_EEENSH_IJSG_SG_EEES6_PlJNSB_9not_fun_tI7is_trueIfEEEEEE10hipError_tPvRmT3_T4_T5_T6_T7_T9_mT8_P12ihipStream_tbDpT10_ENKUlT_T0_E_clISt17integral_constantIbLb0EES17_IbLb1EEEEDaS13_S14_EUlS13_E_NS1_11comp_targetILNS1_3genE2ELNS1_11target_archE906ELNS1_3gpuE6ELNS1_3repE0EEENS1_30default_config_static_selectorELNS0_4arch9wavefront6targetE0EEEvT1_.private_seg_size, 0
	.set _ZN7rocprim17ROCPRIM_400000_NS6detail17trampoline_kernelINS0_14default_configENS1_25partition_config_selectorILNS1_17partition_subalgoE6EfNS0_10empty_typeEbEEZZNS1_14partition_implILS5_6ELb0ES3_mN6thrust23THRUST_200600_302600_NS6detail15normal_iteratorINSA_10device_ptrIfEEEEPS6_SG_NS0_5tupleIJSF_S6_EEENSH_IJSG_SG_EEES6_PlJNSB_9not_fun_tI7is_trueIfEEEEEE10hipError_tPvRmT3_T4_T5_T6_T7_T9_mT8_P12ihipStream_tbDpT10_ENKUlT_T0_E_clISt17integral_constantIbLb0EES17_IbLb1EEEEDaS13_S14_EUlS13_E_NS1_11comp_targetILNS1_3genE2ELNS1_11target_archE906ELNS1_3gpuE6ELNS1_3repE0EEENS1_30default_config_static_selectorELNS0_4arch9wavefront6targetE0EEEvT1_.uses_vcc, 0
	.set _ZN7rocprim17ROCPRIM_400000_NS6detail17trampoline_kernelINS0_14default_configENS1_25partition_config_selectorILNS1_17partition_subalgoE6EfNS0_10empty_typeEbEEZZNS1_14partition_implILS5_6ELb0ES3_mN6thrust23THRUST_200600_302600_NS6detail15normal_iteratorINSA_10device_ptrIfEEEEPS6_SG_NS0_5tupleIJSF_S6_EEENSH_IJSG_SG_EEES6_PlJNSB_9not_fun_tI7is_trueIfEEEEEE10hipError_tPvRmT3_T4_T5_T6_T7_T9_mT8_P12ihipStream_tbDpT10_ENKUlT_T0_E_clISt17integral_constantIbLb0EES17_IbLb1EEEEDaS13_S14_EUlS13_E_NS1_11comp_targetILNS1_3genE2ELNS1_11target_archE906ELNS1_3gpuE6ELNS1_3repE0EEENS1_30default_config_static_selectorELNS0_4arch9wavefront6targetE0EEEvT1_.uses_flat_scratch, 0
	.set _ZN7rocprim17ROCPRIM_400000_NS6detail17trampoline_kernelINS0_14default_configENS1_25partition_config_selectorILNS1_17partition_subalgoE6EfNS0_10empty_typeEbEEZZNS1_14partition_implILS5_6ELb0ES3_mN6thrust23THRUST_200600_302600_NS6detail15normal_iteratorINSA_10device_ptrIfEEEEPS6_SG_NS0_5tupleIJSF_S6_EEENSH_IJSG_SG_EEES6_PlJNSB_9not_fun_tI7is_trueIfEEEEEE10hipError_tPvRmT3_T4_T5_T6_T7_T9_mT8_P12ihipStream_tbDpT10_ENKUlT_T0_E_clISt17integral_constantIbLb0EES17_IbLb1EEEEDaS13_S14_EUlS13_E_NS1_11comp_targetILNS1_3genE2ELNS1_11target_archE906ELNS1_3gpuE6ELNS1_3repE0EEENS1_30default_config_static_selectorELNS0_4arch9wavefront6targetE0EEEvT1_.has_dyn_sized_stack, 0
	.set _ZN7rocprim17ROCPRIM_400000_NS6detail17trampoline_kernelINS0_14default_configENS1_25partition_config_selectorILNS1_17partition_subalgoE6EfNS0_10empty_typeEbEEZZNS1_14partition_implILS5_6ELb0ES3_mN6thrust23THRUST_200600_302600_NS6detail15normal_iteratorINSA_10device_ptrIfEEEEPS6_SG_NS0_5tupleIJSF_S6_EEENSH_IJSG_SG_EEES6_PlJNSB_9not_fun_tI7is_trueIfEEEEEE10hipError_tPvRmT3_T4_T5_T6_T7_T9_mT8_P12ihipStream_tbDpT10_ENKUlT_T0_E_clISt17integral_constantIbLb0EES17_IbLb1EEEEDaS13_S14_EUlS13_E_NS1_11comp_targetILNS1_3genE2ELNS1_11target_archE906ELNS1_3gpuE6ELNS1_3repE0EEENS1_30default_config_static_selectorELNS0_4arch9wavefront6targetE0EEEvT1_.has_recursion, 0
	.set _ZN7rocprim17ROCPRIM_400000_NS6detail17trampoline_kernelINS0_14default_configENS1_25partition_config_selectorILNS1_17partition_subalgoE6EfNS0_10empty_typeEbEEZZNS1_14partition_implILS5_6ELb0ES3_mN6thrust23THRUST_200600_302600_NS6detail15normal_iteratorINSA_10device_ptrIfEEEEPS6_SG_NS0_5tupleIJSF_S6_EEENSH_IJSG_SG_EEES6_PlJNSB_9not_fun_tI7is_trueIfEEEEEE10hipError_tPvRmT3_T4_T5_T6_T7_T9_mT8_P12ihipStream_tbDpT10_ENKUlT_T0_E_clISt17integral_constantIbLb0EES17_IbLb1EEEEDaS13_S14_EUlS13_E_NS1_11comp_targetILNS1_3genE2ELNS1_11target_archE906ELNS1_3gpuE6ELNS1_3repE0EEENS1_30default_config_static_selectorELNS0_4arch9wavefront6targetE0EEEvT1_.has_indirect_call, 0
	.section	.AMDGPU.csdata,"",@progbits
; Kernel info:
; codeLenInByte = 0
; TotalNumSgprs: 0
; NumVgprs: 0
; ScratchSize: 0
; MemoryBound: 0
; FloatMode: 240
; IeeeMode: 1
; LDSByteSize: 0 bytes/workgroup (compile time only)
; SGPRBlocks: 0
; VGPRBlocks: 0
; NumSGPRsForWavesPerEU: 1
; NumVGPRsForWavesPerEU: 1
; Occupancy: 16
; WaveLimiterHint : 0
; COMPUTE_PGM_RSRC2:SCRATCH_EN: 0
; COMPUTE_PGM_RSRC2:USER_SGPR: 2
; COMPUTE_PGM_RSRC2:TRAP_HANDLER: 0
; COMPUTE_PGM_RSRC2:TGID_X_EN: 1
; COMPUTE_PGM_RSRC2:TGID_Y_EN: 0
; COMPUTE_PGM_RSRC2:TGID_Z_EN: 0
; COMPUTE_PGM_RSRC2:TIDIG_COMP_CNT: 0
	.section	.text._ZN7rocprim17ROCPRIM_400000_NS6detail17trampoline_kernelINS0_14default_configENS1_25partition_config_selectorILNS1_17partition_subalgoE6EfNS0_10empty_typeEbEEZZNS1_14partition_implILS5_6ELb0ES3_mN6thrust23THRUST_200600_302600_NS6detail15normal_iteratorINSA_10device_ptrIfEEEEPS6_SG_NS0_5tupleIJSF_S6_EEENSH_IJSG_SG_EEES6_PlJNSB_9not_fun_tI7is_trueIfEEEEEE10hipError_tPvRmT3_T4_T5_T6_T7_T9_mT8_P12ihipStream_tbDpT10_ENKUlT_T0_E_clISt17integral_constantIbLb0EES17_IbLb1EEEEDaS13_S14_EUlS13_E_NS1_11comp_targetILNS1_3genE10ELNS1_11target_archE1200ELNS1_3gpuE4ELNS1_3repE0EEENS1_30default_config_static_selectorELNS0_4arch9wavefront6targetE0EEEvT1_,"axG",@progbits,_ZN7rocprim17ROCPRIM_400000_NS6detail17trampoline_kernelINS0_14default_configENS1_25partition_config_selectorILNS1_17partition_subalgoE6EfNS0_10empty_typeEbEEZZNS1_14partition_implILS5_6ELb0ES3_mN6thrust23THRUST_200600_302600_NS6detail15normal_iteratorINSA_10device_ptrIfEEEEPS6_SG_NS0_5tupleIJSF_S6_EEENSH_IJSG_SG_EEES6_PlJNSB_9not_fun_tI7is_trueIfEEEEEE10hipError_tPvRmT3_T4_T5_T6_T7_T9_mT8_P12ihipStream_tbDpT10_ENKUlT_T0_E_clISt17integral_constantIbLb0EES17_IbLb1EEEEDaS13_S14_EUlS13_E_NS1_11comp_targetILNS1_3genE10ELNS1_11target_archE1200ELNS1_3gpuE4ELNS1_3repE0EEENS1_30default_config_static_selectorELNS0_4arch9wavefront6targetE0EEEvT1_,comdat
	.protected	_ZN7rocprim17ROCPRIM_400000_NS6detail17trampoline_kernelINS0_14default_configENS1_25partition_config_selectorILNS1_17partition_subalgoE6EfNS0_10empty_typeEbEEZZNS1_14partition_implILS5_6ELb0ES3_mN6thrust23THRUST_200600_302600_NS6detail15normal_iteratorINSA_10device_ptrIfEEEEPS6_SG_NS0_5tupleIJSF_S6_EEENSH_IJSG_SG_EEES6_PlJNSB_9not_fun_tI7is_trueIfEEEEEE10hipError_tPvRmT3_T4_T5_T6_T7_T9_mT8_P12ihipStream_tbDpT10_ENKUlT_T0_E_clISt17integral_constantIbLb0EES17_IbLb1EEEEDaS13_S14_EUlS13_E_NS1_11comp_targetILNS1_3genE10ELNS1_11target_archE1200ELNS1_3gpuE4ELNS1_3repE0EEENS1_30default_config_static_selectorELNS0_4arch9wavefront6targetE0EEEvT1_ ; -- Begin function _ZN7rocprim17ROCPRIM_400000_NS6detail17trampoline_kernelINS0_14default_configENS1_25partition_config_selectorILNS1_17partition_subalgoE6EfNS0_10empty_typeEbEEZZNS1_14partition_implILS5_6ELb0ES3_mN6thrust23THRUST_200600_302600_NS6detail15normal_iteratorINSA_10device_ptrIfEEEEPS6_SG_NS0_5tupleIJSF_S6_EEENSH_IJSG_SG_EEES6_PlJNSB_9not_fun_tI7is_trueIfEEEEEE10hipError_tPvRmT3_T4_T5_T6_T7_T9_mT8_P12ihipStream_tbDpT10_ENKUlT_T0_E_clISt17integral_constantIbLb0EES17_IbLb1EEEEDaS13_S14_EUlS13_E_NS1_11comp_targetILNS1_3genE10ELNS1_11target_archE1200ELNS1_3gpuE4ELNS1_3repE0EEENS1_30default_config_static_selectorELNS0_4arch9wavefront6targetE0EEEvT1_
	.globl	_ZN7rocprim17ROCPRIM_400000_NS6detail17trampoline_kernelINS0_14default_configENS1_25partition_config_selectorILNS1_17partition_subalgoE6EfNS0_10empty_typeEbEEZZNS1_14partition_implILS5_6ELb0ES3_mN6thrust23THRUST_200600_302600_NS6detail15normal_iteratorINSA_10device_ptrIfEEEEPS6_SG_NS0_5tupleIJSF_S6_EEENSH_IJSG_SG_EEES6_PlJNSB_9not_fun_tI7is_trueIfEEEEEE10hipError_tPvRmT3_T4_T5_T6_T7_T9_mT8_P12ihipStream_tbDpT10_ENKUlT_T0_E_clISt17integral_constantIbLb0EES17_IbLb1EEEEDaS13_S14_EUlS13_E_NS1_11comp_targetILNS1_3genE10ELNS1_11target_archE1200ELNS1_3gpuE4ELNS1_3repE0EEENS1_30default_config_static_selectorELNS0_4arch9wavefront6targetE0EEEvT1_
	.p2align	8
	.type	_ZN7rocprim17ROCPRIM_400000_NS6detail17trampoline_kernelINS0_14default_configENS1_25partition_config_selectorILNS1_17partition_subalgoE6EfNS0_10empty_typeEbEEZZNS1_14partition_implILS5_6ELb0ES3_mN6thrust23THRUST_200600_302600_NS6detail15normal_iteratorINSA_10device_ptrIfEEEEPS6_SG_NS0_5tupleIJSF_S6_EEENSH_IJSG_SG_EEES6_PlJNSB_9not_fun_tI7is_trueIfEEEEEE10hipError_tPvRmT3_T4_T5_T6_T7_T9_mT8_P12ihipStream_tbDpT10_ENKUlT_T0_E_clISt17integral_constantIbLb0EES17_IbLb1EEEEDaS13_S14_EUlS13_E_NS1_11comp_targetILNS1_3genE10ELNS1_11target_archE1200ELNS1_3gpuE4ELNS1_3repE0EEENS1_30default_config_static_selectorELNS0_4arch9wavefront6targetE0EEEvT1_,@function
_ZN7rocprim17ROCPRIM_400000_NS6detail17trampoline_kernelINS0_14default_configENS1_25partition_config_selectorILNS1_17partition_subalgoE6EfNS0_10empty_typeEbEEZZNS1_14partition_implILS5_6ELb0ES3_mN6thrust23THRUST_200600_302600_NS6detail15normal_iteratorINSA_10device_ptrIfEEEEPS6_SG_NS0_5tupleIJSF_S6_EEENSH_IJSG_SG_EEES6_PlJNSB_9not_fun_tI7is_trueIfEEEEEE10hipError_tPvRmT3_T4_T5_T6_T7_T9_mT8_P12ihipStream_tbDpT10_ENKUlT_T0_E_clISt17integral_constantIbLb0EES17_IbLb1EEEEDaS13_S14_EUlS13_E_NS1_11comp_targetILNS1_3genE10ELNS1_11target_archE1200ELNS1_3gpuE4ELNS1_3repE0EEENS1_30default_config_static_selectorELNS0_4arch9wavefront6targetE0EEEvT1_: ; @_ZN7rocprim17ROCPRIM_400000_NS6detail17trampoline_kernelINS0_14default_configENS1_25partition_config_selectorILNS1_17partition_subalgoE6EfNS0_10empty_typeEbEEZZNS1_14partition_implILS5_6ELb0ES3_mN6thrust23THRUST_200600_302600_NS6detail15normal_iteratorINSA_10device_ptrIfEEEEPS6_SG_NS0_5tupleIJSF_S6_EEENSH_IJSG_SG_EEES6_PlJNSB_9not_fun_tI7is_trueIfEEEEEE10hipError_tPvRmT3_T4_T5_T6_T7_T9_mT8_P12ihipStream_tbDpT10_ENKUlT_T0_E_clISt17integral_constantIbLb0EES17_IbLb1EEEEDaS13_S14_EUlS13_E_NS1_11comp_targetILNS1_3genE10ELNS1_11target_archE1200ELNS1_3gpuE4ELNS1_3repE0EEENS1_30default_config_static_selectorELNS0_4arch9wavefront6targetE0EEEvT1_
; %bb.0:
	s_clause 0x3
	s_load_b64 s[12:13], s[0:1], 0x28
	s_load_b128 s[8:11], s[0:1], 0x40
	s_load_b64 s[16:17], s[0:1], 0x50
	s_load_b64 s[14:15], s[0:1], 0x60
	v_cmp_eq_u32_e64 s2, 0, v0
	s_and_saveexec_b32 s3, s2
	s_cbranch_execz .LBB1106_4
; %bb.1:
	s_mov_b32 s5, exec_lo
	s_mov_b32 s4, exec_lo
	v_mbcnt_lo_u32_b32 v1, s5, 0
                                        ; implicit-def: $vgpr2
	s_delay_alu instid0(VALU_DEP_1)
	v_cmpx_eq_u32_e32 0, v1
	s_cbranch_execz .LBB1106_3
; %bb.2:
	s_load_b64 s[6:7], s[0:1], 0x70
	s_bcnt1_i32_b32 s5, s5
	s_wait_alu 0xfffe
	v_dual_mov_b32 v2, 0 :: v_dual_mov_b32 v3, s5
	s_wait_kmcnt 0x0
	global_atomic_add_u32 v2, v2, v3, s[6:7] th:TH_ATOMIC_RETURN scope:SCOPE_DEV
.LBB1106_3:
	s_or_b32 exec_lo, exec_lo, s4
	s_wait_loadcnt 0x0
	v_readfirstlane_b32 s4, v2
	s_wait_alu 0xf1ff
	s_delay_alu instid0(VALU_DEP_1)
	v_dual_mov_b32 v2, 0 :: v_dual_add_nc_u32 v1, s4, v1
	ds_store_b32 v2, v1
.LBB1106_4:
	s_or_b32 exec_lo, exec_lo, s3
	v_mov_b32_e32 v2, 0
	s_clause 0x1
	s_load_b128 s[4:7], s[0:1], 0x8
	s_load_b32 s0, s[0:1], 0x68
	s_wait_dscnt 0x0
	s_barrier_signal -1
	s_barrier_wait -1
	global_inv scope:SCOPE_SE
	ds_load_b32 v1, v2
	s_wait_loadcnt_dscnt 0x0
	s_barrier_signal -1
	s_barrier_wait -1
	global_inv scope:SCOPE_SE
	s_wait_kmcnt 0x0
	global_load_b64 v[9:10], v2, s[10:11]
	s_mov_b32 s1, 0
	v_lshlrev_b32_e32 v8, 2, v0
	s_lshl_b64 s[10:11], s[6:7], 2
	s_add_co_i32 s3, s0, -1
	s_mulk_i32 s0, 0xa80
	s_add_nc_u64 s[4:5], s[4:5], s[10:11]
	s_add_co_i32 s19, s0, s6
	s_add_nc_u64 s[6:7], s[6:7], s[0:1]
	v_readfirstlane_b32 s18, v1
	v_mul_lo_u32 v1, 0xa80, v1
	v_cmp_le_u64_e64 s1, s[16:17], s[6:7]
	s_sub_co_i32 s0, s16, s19
	s_cmp_eq_u32 s18, s3
	s_cselect_b32 s7, -1, 0
	v_lshlrev_b64_e32 v[1:2], 2, v[1:2]
	s_wait_alu 0xfffe
	s_and_b32 s1, s1, s7
	s_delay_alu instid0(SALU_CYCLE_1) | instskip(SKIP_1) | instid1(VALU_DEP_1)
	s_xor_b32 s10, s1, -1
	s_mov_b32 s1, -1
	v_add_co_u32 v11, vcc_lo, s4, v1
	s_delay_alu instid0(VALU_DEP_1)
	v_add_co_ci_u32_e64 v12, null, s5, v2, vcc_lo
	s_and_b32 vcc_lo, exec_lo, s10
	s_wait_alu 0xfffe
	s_cbranch_vccz .LBB1106_6
; %bb.5:
	v_add_co_u32 v1, vcc_lo, v11, v8
	s_wait_alu 0xfffd
	v_add_co_ci_u32_e64 v2, null, 0, v12, vcc_lo
	s_mov_b32 s1, 0
	s_clause 0x6
	flat_load_b32 v3, v[1:2]
	flat_load_b32 v4, v[1:2] offset:1536
	flat_load_b32 v5, v[1:2] offset:3072
	flat_load_b32 v6, v[1:2] offset:4608
	flat_load_b32 v7, v[1:2] offset:6144
	flat_load_b32 v13, v[1:2] offset:7680
	flat_load_b32 v1, v[1:2] offset:9216
	s_wait_loadcnt_dscnt 0x505
	ds_store_2addr_stride64_b32 v8, v3, v4 offset1:6
	s_wait_loadcnt_dscnt 0x304
	ds_store_2addr_stride64_b32 v8, v5, v6 offset0:12 offset1:18
	s_wait_loadcnt_dscnt 0x103
	ds_store_2addr_stride64_b32 v8, v7, v13 offset0:24 offset1:30
	s_wait_loadcnt_dscnt 0x3
	ds_store_b32 v8, v1 offset:9216
	s_wait_dscnt 0x0
	s_barrier_signal -1
	s_barrier_wait -1
.LBB1106_6:
	s_and_not1_b32 vcc_lo, exec_lo, s1
	s_add_co_i32 s16, s0, 0xa80
	s_wait_alu 0xfffe
	s_cbranch_vccnz .LBB1106_22
; %bb.7:
	v_mov_b32_e32 v1, 0
	s_mov_b32 s0, exec_lo
	s_delay_alu instid0(VALU_DEP_1)
	v_dual_mov_b32 v2, v1 :: v_dual_mov_b32 v3, v1
	v_dual_mov_b32 v4, v1 :: v_dual_mov_b32 v5, v1
	;; [unrolled: 1-line block ×3, first 2 shown]
	v_cmpx_gt_u32_e64 s16, v0
	s_cbranch_execz .LBB1106_9
; %bb.8:
	v_add_co_u32 v2, vcc_lo, v11, v8
	s_wait_alu 0xfffd
	v_add_co_ci_u32_e64 v3, null, 0, v12, vcc_lo
	v_dual_mov_b32 v14, v1 :: v_dual_mov_b32 v15, v1
	v_dual_mov_b32 v16, v1 :: v_dual_mov_b32 v17, v1
	flat_load_b32 v13, v[2:3]
	v_dual_mov_b32 v18, v1 :: v_dual_mov_b32 v19, v1
	s_wait_loadcnt_dscnt 0x0
	v_dual_mov_b32 v1, v13 :: v_dual_mov_b32 v2, v14
	v_dual_mov_b32 v3, v15 :: v_dual_mov_b32 v4, v16
	s_delay_alu instid0(VALU_DEP_3)
	v_dual_mov_b32 v5, v17 :: v_dual_mov_b32 v6, v18
	v_mov_b32_e32 v7, v19
.LBB1106_9:
	s_or_b32 exec_lo, exec_lo, s0
	v_add_nc_u32_e32 v13, 0x180, v0
	s_mov_b32 s0, exec_lo
	s_delay_alu instid0(VALU_DEP_1)
	v_cmpx_gt_u32_e64 s16, v13
	s_cbranch_execz .LBB1106_11
; %bb.10:
	v_add_co_u32 v13, vcc_lo, v11, v8
	s_wait_alu 0xfffd
	v_add_co_ci_u32_e64 v14, null, 0, v12, vcc_lo
	flat_load_b32 v2, v[13:14] offset:1536
.LBB1106_11:
	s_or_b32 exec_lo, exec_lo, s0
	v_add_nc_u32_e32 v13, 0x300, v0
	s_mov_b32 s0, exec_lo
	s_delay_alu instid0(VALU_DEP_1)
	v_cmpx_gt_u32_e64 s16, v13
	s_cbranch_execz .LBB1106_13
; %bb.12:
	v_add_co_u32 v13, vcc_lo, v11, v8
	s_wait_alu 0xfffd
	v_add_co_ci_u32_e64 v14, null, 0, v12, vcc_lo
	flat_load_b32 v3, v[13:14] offset:3072
.LBB1106_13:
	;; [unrolled: 12-line block ×3, first 2 shown]
	s_or_b32 exec_lo, exec_lo, s0
	v_or_b32_e32 v13, 0x600, v0
	s_mov_b32 s0, exec_lo
	s_delay_alu instid0(VALU_DEP_1)
	v_cmpx_gt_u32_e64 s16, v13
	s_cbranch_execz .LBB1106_17
; %bb.16:
	v_add_co_u32 v13, vcc_lo, v11, v8
	s_wait_alu 0xfffd
	v_add_co_ci_u32_e64 v14, null, 0, v12, vcc_lo
	flat_load_b32 v5, v[13:14] offset:6144
.LBB1106_17:
	s_or_b32 exec_lo, exec_lo, s0
	v_add_nc_u32_e32 v13, 0x780, v0
	s_mov_b32 s0, exec_lo
	s_delay_alu instid0(VALU_DEP_1)
	v_cmpx_gt_u32_e64 s16, v13
	s_cbranch_execz .LBB1106_19
; %bb.18:
	v_add_co_u32 v13, vcc_lo, v11, v8
	s_wait_alu 0xfffd
	v_add_co_ci_u32_e64 v14, null, 0, v12, vcc_lo
	flat_load_b32 v6, v[13:14] offset:7680
.LBB1106_19:
	s_or_b32 exec_lo, exec_lo, s0
	v_add_nc_u32_e32 v13, 0x900, v0
	s_mov_b32 s0, exec_lo
	s_delay_alu instid0(VALU_DEP_1)
	v_cmpx_gt_u32_e64 s16, v13
	s_cbranch_execz .LBB1106_21
; %bb.20:
	v_add_co_u32 v11, vcc_lo, v11, v8
	s_wait_alu 0xfffd
	v_add_co_ci_u32_e64 v12, null, 0, v12, vcc_lo
	flat_load_b32 v7, v[11:12] offset:9216
.LBB1106_21:
	s_or_b32 exec_lo, exec_lo, s0
	s_wait_loadcnt_dscnt 0x0
	ds_store_2addr_stride64_b32 v8, v1, v2 offset1:6
	ds_store_2addr_stride64_b32 v8, v3, v4 offset0:12 offset1:18
	ds_store_2addr_stride64_b32 v8, v5, v6 offset0:24 offset1:30
	ds_store_b32 v8, v7 offset:9216
	s_wait_dscnt 0x0
	s_barrier_signal -1
	s_barrier_wait -1
.LBB1106_22:
	v_mul_u32_u24_e32 v1, 7, v0
	s_wait_loadcnt 0x0
	global_inv scope:SCOPE_SE
	s_and_not1_b32 vcc_lo, exec_lo, s10
	v_lshlrev_b32_e32 v32, 2, v1
	ds_load_2addr_b32 v[11:12], v32 offset0:4 offset1:5
	ds_load_b32 v33, v32 offset:24
	ds_load_2addr_b32 v[15:16], v32 offset1:1
	ds_load_2addr_b32 v[13:14], v32 offset0:2 offset1:3
	s_wait_loadcnt_dscnt 0x0
	s_barrier_signal -1
	s_barrier_wait -1
	global_inv scope:SCOPE_SE
	v_cmp_eq_f32_e64 s0, 0, v11
	v_cmp_eq_f32_e64 s1, 0, v12
	;; [unrolled: 1-line block ×7, first 2 shown]
	s_wait_alu 0xfffe
	s_cbranch_vccnz .LBB1106_24
; %bb.23:
	s_wait_alu 0xf1ff
	v_cndmask_b32_e64 v2, 0, 1, s5
	v_cndmask_b32_e64 v3, 0, 1, s6
	;; [unrolled: 1-line block ×5, first 2 shown]
	v_lshlrev_b16 v2, 8, v2
	v_lshlrev_b16 v3, 8, v3
	v_cndmask_b32_e64 v34, 0, 1, s1
	s_delay_alu instid0(VALU_DEP_3) | instskip(NEXT) | instid1(VALU_DEP_3)
	v_or_b32_e32 v2, v4, v2
	v_or_b32_e32 v3, v5, v3
	s_delay_alu instid0(VALU_DEP_2) | instskip(NEXT) | instid1(VALU_DEP_2)
	v_and_b32_e32 v2, 0xffff, v2
	v_lshlrev_b32_e32 v3, 16, v3
	s_delay_alu instid0(VALU_DEP_1)
	v_or_b32_e32 v31, v2, v3
	s_cbranch_execz .LBB1106_25
	s_branch .LBB1106_26
.LBB1106_24:
                                        ; implicit-def: $sgpr11
                                        ; implicit-def: $vgpr34
                                        ; implicit-def: $vgpr35
                                        ; implicit-def: $vgpr31
.LBB1106_25:
	v_add_nc_u32_e32 v2, 1, v1
	v_cmp_eq_f32_e32 vcc_lo, 0, v16
	v_add_nc_u32_e32 v3, 3, v1
	v_cmp_eq_f32_e64 s0, 0, v15
	v_cmp_eq_f32_e64 s3, 0, v14
	v_cmp_gt_u32_e64 s1, s16, v2
	v_add_nc_u32_e32 v2, 2, v1
	v_cmp_gt_u32_e64 s5, s16, v3
	v_cmp_eq_f32_e64 s4, 0, v13
	v_add_nc_u32_e32 v5, 5, v1
	s_and_b32 s1, s1, vcc_lo
	v_cmp_gt_u32_e32 vcc_lo, s16, v1
	s_wait_alu 0xfffe
	v_cndmask_b32_e64 v3, 0, 1, s1
	v_cmp_gt_u32_e64 s1, s16, v2
	s_and_b32 s3, s5, s3
	s_and_b32 s0, vcc_lo, s0
	v_lshlrev_b16 v3, 8, v3
	s_wait_alu 0xfffe
	v_cndmask_b32_e64 v4, 0, 1, s0
	v_cndmask_b32_e64 v2, 0, 1, s3
	s_and_b32 s0, s1, s4
	v_cmp_eq_f32_e32 vcc_lo, 0, v12
	s_wait_alu 0xfffe
	v_cndmask_b32_e64 v6, 0, 1, s0
	v_cmp_gt_u32_e64 s0, s16, v5
	v_or_b32_e32 v3, v4, v3
	v_add_nc_u32_e32 v4, 4, v1
	v_lshlrev_b16 v2, 8, v2
	v_cmp_eq_f32_e64 s1, 0, v11
	s_and_b32 s0, s0, vcc_lo
	v_add_nc_u32_e32 v1, 6, v1
	v_cmp_gt_u32_e32 vcc_lo, s16, v4
	v_or_b32_e32 v2, v6, v2
	s_wait_alu 0xfffe
	v_cndmask_b32_e64 v34, 0, 1, s0
	v_and_b32_e32 v3, 0xffff, v3
	s_and_b32 s0, vcc_lo, s1
	v_cmp_gt_u32_e32 vcc_lo, s16, v1
	s_wait_alu 0xfffe
	v_cndmask_b32_e64 v5, 0, 1, s0
	v_cmp_eq_f32_e64 s0, 0, v33
	v_lshlrev_b32_e32 v2, 16, v2
	v_lshlrev_b16 v4, 8, v34
	s_and_not1_b32 s1, s11, exec_lo
	s_and_b32 s0, vcc_lo, s0
	s_delay_alu instid0(VALU_DEP_2) | instskip(NEXT) | instid1(VALU_DEP_2)
	v_or_b32_e32 v31, v3, v2
	v_or_b32_e32 v35, v5, v4
	s_wait_alu 0xfffe
	s_and_b32 s0, s0, exec_lo
	s_wait_alu 0xfffe
	s_or_b32 s11, s1, s0
.LBB1106_26:
	s_delay_alu instid0(VALU_DEP_1)
	v_dual_mov_b32 v2, 0 :: v_dual_and_b32 v39, 0xff, v31
	v_bfe_u32 v38, v31, 8, 8
	v_cndmask_b32_e64 v1, 0, 1, s11
	v_bfe_u32 v41, v31, 16, 8
	v_lshrrev_b32_e32 v36, 24, v31
	v_and_b32_e32 v40, 0xff, v35
	v_mbcnt_lo_u32_b32 v42, -1, 0
	v_add3_u32 v1, v39, v1, v38
	v_and_b32_e32 v37, 0xff, v34
	s_cmp_lg_u32 s18, 0
	s_mov_b32 s1, -1
	v_and_b32_e32 v43, 15, v42
	v_add_co_u32 v1, s0, v1, v41
	s_wait_alu 0xf1ff
	v_add_co_ci_u32_e64 v3, null, 0, 0, s0
	s_delay_alu instid0(VALU_DEP_3) | instskip(NEXT) | instid1(VALU_DEP_3)
	v_cmp_ne_u32_e64 s0, 0, v43
	v_add_co_u32 v1, vcc_lo, v1, v36
	s_wait_alu 0xfffd
	s_delay_alu instid0(VALU_DEP_3) | instskip(NEXT) | instid1(VALU_DEP_2)
	v_add_co_ci_u32_e64 v3, null, 0, v3, vcc_lo
	v_add_co_u32 v1, vcc_lo, v1, v40
	s_wait_alu 0xfffd
	s_delay_alu instid0(VALU_DEP_2) | instskip(NEXT) | instid1(VALU_DEP_2)
	v_add_co_ci_u32_e64 v3, null, 0, v3, vcc_lo
	v_add_co_u32 v17, vcc_lo, v1, v37
	s_wait_alu 0xfffd
	s_delay_alu instid0(VALU_DEP_2)
	v_add_co_ci_u32_e64 v18, null, 0, v3, vcc_lo
	s_cbranch_scc0 .LBB1106_85
; %bb.27:
	v_mov_b32_e32 v3, v17
	v_mov_b32_dpp v1, v17 row_shr:1 row_mask:0xf bank_mask:0xf
	v_mov_b32_dpp v6, v2 row_shr:1 row_mask:0xf bank_mask:0xf
	v_dual_mov_b32 v5, v17 :: v_dual_mov_b32 v4, v18
	s_and_saveexec_b32 s1, s0
; %bb.28:
	s_delay_alu instid0(VALU_DEP_3) | instskip(SKIP_2) | instid1(VALU_DEP_2)
	v_add_co_u32 v5, vcc_lo, v17, v1
	s_wait_alu 0xfffd
	v_add_co_ci_u32_e64 v2, null, 0, v18, vcc_lo
	v_add_co_u32 v1, vcc_lo, 0, v5
	s_wait_alu 0xfffd
	s_delay_alu instid0(VALU_DEP_2) | instskip(NEXT) | instid1(VALU_DEP_1)
	v_add_co_ci_u32_e64 v2, null, v6, v2, vcc_lo
	v_dual_mov_b32 v4, v2 :: v_dual_mov_b32 v3, v1
; %bb.29:
	s_wait_alu 0xfffe
	s_or_b32 exec_lo, exec_lo, s1
	v_mov_b32_dpp v1, v5 row_shr:2 row_mask:0xf bank_mask:0xf
	v_mov_b32_dpp v6, v2 row_shr:2 row_mask:0xf bank_mask:0xf
	v_cmp_lt_u32_e32 vcc_lo, 1, v43
	s_and_saveexec_b32 s3, vcc_lo
; %bb.30:
	s_delay_alu instid0(VALU_DEP_3) | instskip(SKIP_2) | instid1(VALU_DEP_2)
	v_add_co_u32 v5, s1, v3, v1
	s_wait_alu 0xf1ff
	v_add_co_ci_u32_e64 v2, null, 0, v4, s1
	v_add_co_u32 v1, s1, 0, v5
	s_wait_alu 0xf1ff
	s_delay_alu instid0(VALU_DEP_2) | instskip(NEXT) | instid1(VALU_DEP_1)
	v_add_co_ci_u32_e64 v2, null, v6, v2, s1
	v_dual_mov_b32 v4, v2 :: v_dual_mov_b32 v3, v1
; %bb.31:
	s_wait_alu 0xfffe
	s_or_b32 exec_lo, exec_lo, s3
	v_mov_b32_dpp v1, v5 row_shr:4 row_mask:0xf bank_mask:0xf
	v_mov_b32_dpp v6, v2 row_shr:4 row_mask:0xf bank_mask:0xf
	v_cmp_lt_u32_e64 s1, 3, v43
	s_and_saveexec_b32 s4, s1
; %bb.32:
	v_add_co_u32 v5, s3, v3, v1
	s_wait_alu 0xf1ff
	v_add_co_ci_u32_e64 v2, null, 0, v4, s3
	s_delay_alu instid0(VALU_DEP_2) | instskip(SKIP_1) | instid1(VALU_DEP_2)
	v_add_co_u32 v1, s3, 0, v5
	s_wait_alu 0xf1ff
	v_add_co_ci_u32_e64 v2, null, v6, v2, s3
	s_delay_alu instid0(VALU_DEP_1)
	v_dual_mov_b32 v4, v2 :: v_dual_mov_b32 v3, v1
; %bb.33:
	s_wait_alu 0xfffe
	s_or_b32 exec_lo, exec_lo, s4
	v_mov_b32_dpp v6, v5 row_shr:8 row_mask:0xf bank_mask:0xf
	v_mov_b32_dpp v1, v2 row_shr:8 row_mask:0xf bank_mask:0xf
	v_cmp_lt_u32_e64 s3, 7, v43
	s_and_saveexec_b32 s5, s3
; %bb.34:
	v_add_co_u32 v5, s4, v3, v6
	s_wait_alu 0xf1ff
	v_add_co_ci_u32_e64 v2, null, 0, v4, s4
	s_delay_alu instid0(VALU_DEP_2) | instskip(SKIP_1) | instid1(VALU_DEP_2)
	v_add_co_u32 v3, s4, 0, v5
	s_wait_alu 0xf1ff
	v_add_co_ci_u32_e64 v4, null, v1, v2, s4
	s_delay_alu instid0(VALU_DEP_1)
	v_mov_b32_e32 v2, v4
; %bb.35:
	s_wait_alu 0xfffe
	s_or_b32 exec_lo, exec_lo, s5
	ds_swizzle_b32 v1, v5 offset:swizzle(BROADCAST,32,15)
	ds_swizzle_b32 v6, v2 offset:swizzle(BROADCAST,32,15)
	v_and_b32_e32 v7, 16, v42
	s_mov_b32 s5, exec_lo
	s_delay_alu instid0(VALU_DEP_1)
	v_cmpx_ne_u32_e32 0, v7
	s_cbranch_execz .LBB1106_37
; %bb.36:
	s_wait_dscnt 0x1
	v_add_co_u32 v5, s4, v3, v1
	s_wait_alu 0xf1ff
	v_add_co_ci_u32_e64 v2, null, 0, v4, s4
	s_delay_alu instid0(VALU_DEP_2) | instskip(SKIP_2) | instid1(VALU_DEP_2)
	v_add_co_u32 v1, s4, 0, v5
	s_wait_dscnt 0x0
	s_wait_alu 0xf1ff
	v_add_co_ci_u32_e64 v2, null, v6, v2, s4
	s_delay_alu instid0(VALU_DEP_1)
	v_dual_mov_b32 v4, v2 :: v_dual_mov_b32 v3, v1
.LBB1106_37:
	s_wait_alu 0xfffe
	s_or_b32 exec_lo, exec_lo, s5
	s_wait_dscnt 0x1
	v_and_b32_e32 v1, 0x1e0, v0
	s_mov_b32 s5, exec_lo
	s_delay_alu instid0(VALU_DEP_1) | instskip(SKIP_1) | instid1(VALU_DEP_1)
	v_min_u32_e32 v1, 0x160, v1
	s_wait_dscnt 0x0
	v_or_b32_e32 v6, 31, v1
	v_lshrrev_b32_e32 v1, 5, v0
	s_delay_alu instid0(VALU_DEP_2)
	v_cmpx_eq_u32_e64 v0, v6
; %bb.38:
	s_delay_alu instid0(VALU_DEP_2)
	v_lshlrev_b32_e32 v6, 3, v1
	ds_store_b64 v6, v[3:4]
; %bb.39:
	s_wait_alu 0xfffe
	s_or_b32 exec_lo, exec_lo, s5
	s_delay_alu instid0(SALU_CYCLE_1)
	s_mov_b32 s5, exec_lo
	s_wait_loadcnt_dscnt 0x0
	s_barrier_signal -1
	s_barrier_wait -1
	global_inv scope:SCOPE_SE
	v_cmpx_gt_u32_e32 12, v0
	s_cbranch_execz .LBB1106_49
; %bb.40:
	v_lshlrev_b32_e32 v6, 3, v0
	ds_load_b64 v[3:4], v6
	s_wait_dscnt 0x0
	v_mov_b32_dpp v19, v3 row_shr:1 row_mask:0xf bank_mask:0xf
	v_mov_b32_dpp v8, v4 row_shr:1 row_mask:0xf bank_mask:0xf
	v_mov_b32_e32 v7, v3
	s_and_saveexec_b32 s6, s0
; %bb.41:
	s_delay_alu instid0(VALU_DEP_3) | instskip(SKIP_2) | instid1(VALU_DEP_2)
	v_add_co_u32 v7, s4, v3, v19
	s_wait_alu 0xf1ff
	v_add_co_ci_u32_e64 v4, null, 0, v4, s4
	v_add_co_u32 v3, s4, 0, v7
	s_wait_alu 0xf1ff
	s_delay_alu instid0(VALU_DEP_2)
	v_add_co_ci_u32_e64 v4, null, v8, v4, s4
; %bb.42:
	s_wait_alu 0xfffe
	s_or_b32 exec_lo, exec_lo, s6
	v_mov_b32_dpp v19, v7 row_shr:2 row_mask:0xf bank_mask:0xf
	s_delay_alu instid0(VALU_DEP_2)
	v_mov_b32_dpp v8, v4 row_shr:2 row_mask:0xf bank_mask:0xf
	s_and_saveexec_b32 s4, vcc_lo
; %bb.43:
	s_delay_alu instid0(VALU_DEP_2) | instskip(SKIP_2) | instid1(VALU_DEP_2)
	v_add_co_u32 v7, vcc_lo, v3, v19
	s_wait_alu 0xfffd
	v_add_co_ci_u32_e64 v4, null, 0, v4, vcc_lo
	v_add_co_u32 v3, vcc_lo, 0, v7
	s_wait_alu 0xfffd
	s_delay_alu instid0(VALU_DEP_2)
	v_add_co_ci_u32_e64 v4, null, v8, v4, vcc_lo
; %bb.44:
	s_wait_alu 0xfffe
	s_or_b32 exec_lo, exec_lo, s4
	v_mov_b32_dpp v19, v7 row_shr:4 row_mask:0xf bank_mask:0xf
	s_delay_alu instid0(VALU_DEP_2)
	v_mov_b32_dpp v8, v4 row_shr:4 row_mask:0xf bank_mask:0xf
	s_and_saveexec_b32 s4, s1
; %bb.45:
	s_delay_alu instid0(VALU_DEP_2) | instskip(SKIP_2) | instid1(VALU_DEP_2)
	v_add_co_u32 v7, vcc_lo, v3, v19
	s_wait_alu 0xfffd
	v_add_co_ci_u32_e64 v4, null, 0, v4, vcc_lo
	v_add_co_u32 v3, vcc_lo, 0, v7
	s_wait_alu 0xfffd
	s_delay_alu instid0(VALU_DEP_2)
	v_add_co_ci_u32_e64 v4, null, v8, v4, vcc_lo
; %bb.46:
	s_wait_alu 0xfffe
	s_or_b32 exec_lo, exec_lo, s4
	v_mov_b32_dpp v8, v7 row_shr:8 row_mask:0xf bank_mask:0xf
	s_delay_alu instid0(VALU_DEP_2)
	v_mov_b32_dpp v7, v4 row_shr:8 row_mask:0xf bank_mask:0xf
	s_and_saveexec_b32 s1, s3
; %bb.47:
	s_delay_alu instid0(VALU_DEP_2) | instskip(SKIP_2) | instid1(VALU_DEP_2)
	v_add_co_u32 v3, vcc_lo, v3, v8
	s_wait_alu 0xfffd
	v_add_co_ci_u32_e64 v4, null, 0, v4, vcc_lo
	v_add_co_u32 v3, vcc_lo, v3, 0
	s_wait_alu 0xfffd
	s_delay_alu instid0(VALU_DEP_2)
	v_add_co_ci_u32_e64 v4, null, v4, v7, vcc_lo
; %bb.48:
	s_wait_alu 0xfffe
	s_or_b32 exec_lo, exec_lo, s1
	ds_store_b64 v6, v[3:4]
.LBB1106_49:
	s_wait_alu 0xfffe
	s_or_b32 exec_lo, exec_lo, s5
	s_delay_alu instid0(SALU_CYCLE_1)
	s_mov_b32 s3, exec_lo
	v_cmp_gt_u32_e32 vcc_lo, 32, v0
	s_wait_loadcnt_dscnt 0x0
	s_barrier_signal -1
	s_barrier_wait -1
	global_inv scope:SCOPE_SE
                                        ; implicit-def: $vgpr19_vgpr20
	v_cmpx_lt_u32_e32 31, v0
	s_cbranch_execz .LBB1106_51
; %bb.50:
	v_lshl_add_u32 v1, v1, 3, -8
	ds_load_b64 v[19:20], v1
	s_wait_dscnt 0x0
	v_add_co_u32 v5, s1, v5, v19
	s_wait_alu 0xf1ff
	v_add_co_ci_u32_e64 v2, null, v2, v20, s1
.LBB1106_51:
	s_wait_alu 0xfffe
	s_or_b32 exec_lo, exec_lo, s3
	v_sub_co_u32 v1, s1, v42, 1
	s_delay_alu instid0(VALU_DEP_1) | instskip(SKIP_1) | instid1(VALU_DEP_1)
	v_cmp_gt_i32_e64 s3, 0, v1
	s_wait_alu 0xf1ff
	v_cndmask_b32_e64 v1, v1, v42, s3
	s_delay_alu instid0(VALU_DEP_1)
	v_lshlrev_b32_e32 v1, 2, v1
	ds_bpermute_b32 v25, v1, v5
	ds_bpermute_b32 v26, v1, v2
	s_and_saveexec_b32 s3, vcc_lo
	s_cbranch_execz .LBB1106_90
; %bb.52:
	v_mov_b32_e32 v4, 0
	ds_load_b64 v[1:2], v4 offset:88
	s_and_saveexec_b32 s4, s1
	s_cbranch_execz .LBB1106_54
; %bb.53:
	s_add_co_i32 s16, s18, 32
	s_mov_b32 s17, 0
	s_wait_alu 0xfffe
	s_lshl_b64 s[16:17], s[16:17], 4
	s_wait_alu 0xfffe
	s_add_nc_u64 s[16:17], s[14:15], s[16:17]
	v_mov_b32_e32 v3, 1
	s_wait_alu 0xfffe
	v_dual_mov_b32 v5, s16 :: v_dual_mov_b32 v6, s17
	s_wait_dscnt 0x0
	;;#ASMSTART
	global_store_b128 v[5:6], v[1:4] off scope:SCOPE_DEV	
s_wait_storecnt 0x0
	;;#ASMEND
.LBB1106_54:
	s_wait_alu 0xfffe
	s_or_b32 exec_lo, exec_lo, s4
	v_xad_u32 v21, v42, -1, s18
	s_mov_b32 s5, 0
	s_mov_b32 s4, exec_lo
	s_delay_alu instid0(VALU_DEP_1) | instskip(NEXT) | instid1(VALU_DEP_1)
	v_add_nc_u32_e32 v3, 32, v21
	v_lshlrev_b64_e32 v[3:4], 4, v[3:4]
	s_delay_alu instid0(VALU_DEP_1) | instskip(SKIP_1) | instid1(VALU_DEP_2)
	v_add_co_u32 v3, vcc_lo, s14, v3
	s_wait_alu 0xfffd
	v_add_co_ci_u32_e64 v4, null, s15, v4, vcc_lo
	;;#ASMSTART
	global_load_b128 v[5:8], v[3:4] off scope:SCOPE_DEV	
s_wait_loadcnt 0x0
	;;#ASMEND
	v_and_b32_e32 v8, 0xff, v7
	s_delay_alu instid0(VALU_DEP_1)
	v_cmpx_eq_u16_e32 0, v8
	s_cbranch_execz .LBB1106_57
.LBB1106_55:                            ; =>This Inner Loop Header: Depth=1
	;;#ASMSTART
	global_load_b128 v[5:8], v[3:4] off scope:SCOPE_DEV	
s_wait_loadcnt 0x0
	;;#ASMEND
	v_and_b32_e32 v8, 0xff, v7
	s_delay_alu instid0(VALU_DEP_1)
	v_cmp_ne_u16_e32 vcc_lo, 0, v8
	s_wait_alu 0xfffe
	s_or_b32 s5, vcc_lo, s5
	s_wait_alu 0xfffe
	s_and_not1_b32 exec_lo, exec_lo, s5
	s_cbranch_execnz .LBB1106_55
; %bb.56:
	s_or_b32 exec_lo, exec_lo, s5
.LBB1106_57:
	s_wait_alu 0xfffe
	s_or_b32 exec_lo, exec_lo, s4
	v_cmp_ne_u32_e32 vcc_lo, 31, v42
	v_and_b32_e32 v4, 0xff, v7
	v_lshlrev_b32_e64 v28, v42, -1
	s_mov_b32 s4, exec_lo
	s_wait_alu 0xfffd
	v_add_co_ci_u32_e64 v3, null, 0, v42, vcc_lo
	v_cmp_eq_u16_e32 vcc_lo, 2, v4
	s_delay_alu instid0(VALU_DEP_2)
	v_dual_mov_b32 v4, v5 :: v_dual_lshlrev_b32 v27, 2, v3
	s_wait_alu 0xfffd
	v_and_or_b32 v3, vcc_lo, v28, 0x80000000
	ds_bpermute_b32 v22, v27, v5
	ds_bpermute_b32 v8, v27, v6
	v_ctz_i32_b32_e32 v3, v3
	s_delay_alu instid0(VALU_DEP_1)
	v_cmpx_lt_u32_e64 v42, v3
	s_cbranch_execz .LBB1106_59
; %bb.58:
	s_wait_dscnt 0x1
	v_add_co_u32 v4, vcc_lo, v5, v22
	s_wait_alu 0xfffd
	v_add_co_ci_u32_e64 v6, null, 0, v6, vcc_lo
	s_delay_alu instid0(VALU_DEP_2) | instskip(SKIP_2) | instid1(VALU_DEP_2)
	v_add_co_u32 v5, vcc_lo, 0, v4
	s_wait_dscnt 0x0
	s_wait_alu 0xfffd
	v_add_co_ci_u32_e64 v6, null, v8, v6, vcc_lo
.LBB1106_59:
	s_wait_alu 0xfffe
	s_or_b32 exec_lo, exec_lo, s4
	v_cmp_gt_u32_e32 vcc_lo, 30, v42
	v_add_nc_u32_e32 v30, 2, v42
	s_mov_b32 s4, exec_lo
	s_wait_dscnt 0x0
	s_wait_alu 0xfffd
	v_cndmask_b32_e64 v8, 0, 2, vcc_lo
	s_delay_alu instid0(VALU_DEP_1)
	v_add_lshl_u32 v29, v8, v42, 2
	ds_bpermute_b32 v22, v29, v4
	ds_bpermute_b32 v8, v29, v6
	v_cmpx_le_u32_e64 v30, v3
	s_cbranch_execz .LBB1106_61
; %bb.60:
	s_wait_dscnt 0x1
	v_add_co_u32 v4, vcc_lo, v5, v22
	s_wait_alu 0xfffd
	v_add_co_ci_u32_e64 v6, null, 0, v6, vcc_lo
	s_delay_alu instid0(VALU_DEP_2) | instskip(SKIP_2) | instid1(VALU_DEP_2)
	v_add_co_u32 v5, vcc_lo, 0, v4
	s_wait_dscnt 0x0
	s_wait_alu 0xfffd
	v_add_co_ci_u32_e64 v6, null, v8, v6, vcc_lo
.LBB1106_61:
	s_wait_alu 0xfffe
	s_or_b32 exec_lo, exec_lo, s4
	v_cmp_gt_u32_e32 vcc_lo, 28, v42
	v_add_nc_u32_e32 v45, 4, v42
	s_mov_b32 s4, exec_lo
	s_wait_dscnt 0x0
	s_wait_alu 0xfffd
	v_cndmask_b32_e64 v8, 0, 4, vcc_lo
	s_delay_alu instid0(VALU_DEP_1)
	v_add_lshl_u32 v44, v8, v42, 2
	ds_bpermute_b32 v22, v44, v4
	ds_bpermute_b32 v8, v44, v6
	v_cmpx_le_u32_e64 v45, v3
	;; [unrolled: 25-line block ×3, first 2 shown]
	s_cbranch_execz .LBB1106_65
; %bb.64:
	s_wait_dscnt 0x1
	v_add_co_u32 v4, vcc_lo, v5, v22
	s_wait_alu 0xfffd
	v_add_co_ci_u32_e64 v6, null, 0, v6, vcc_lo
	s_delay_alu instid0(VALU_DEP_2) | instskip(SKIP_2) | instid1(VALU_DEP_2)
	v_add_co_u32 v5, vcc_lo, 0, v4
	s_wait_dscnt 0x0
	s_wait_alu 0xfffd
	v_add_co_ci_u32_e64 v6, null, v8, v6, vcc_lo
.LBB1106_65:
	s_wait_alu 0xfffe
	s_or_b32 exec_lo, exec_lo, s4
	v_lshl_or_b32 v48, v42, 2, 64
	v_add_nc_u32_e32 v49, 16, v42
	s_mov_b32 s4, exec_lo
	s_wait_dscnt 0x0
	ds_bpermute_b32 v8, v48, v4
	ds_bpermute_b32 v4, v48, v6
	v_cmpx_le_u32_e64 v49, v3
	s_cbranch_execz .LBB1106_67
; %bb.66:
	s_wait_dscnt 0x1
	v_add_co_u32 v3, vcc_lo, v5, v8
	s_wait_alu 0xfffd
	v_add_co_ci_u32_e64 v6, null, 0, v6, vcc_lo
	s_delay_alu instid0(VALU_DEP_2) | instskip(SKIP_2) | instid1(VALU_DEP_2)
	v_add_co_u32 v5, vcc_lo, v3, 0
	s_wait_dscnt 0x0
	s_wait_alu 0xfffd
	v_add_co_ci_u32_e64 v6, null, v6, v4, vcc_lo
.LBB1106_67:
	s_wait_alu 0xfffe
	s_or_b32 exec_lo, exec_lo, s4
	v_mov_b32_e32 v22, 0
	s_branch .LBB1106_70
.LBB1106_68:                            ;   in Loop: Header=BB1106_70 Depth=1
	s_wait_alu 0xfffe
	s_or_b32 exec_lo, exec_lo, s4
	v_add_co_u32 v5, vcc_lo, v5, v3
	v_subrev_nc_u32_e32 v21, 32, v21
	s_wait_alu 0xfffd
	v_add_co_ci_u32_e64 v6, null, v6, v4, vcc_lo
	s_mov_b32 s4, 0
.LBB1106_69:                            ;   in Loop: Header=BB1106_70 Depth=1
	s_wait_alu 0xfffe
	s_and_b32 vcc_lo, exec_lo, s4
	s_wait_alu 0xfffe
	s_cbranch_vccnz .LBB1106_86
.LBB1106_70:                            ; =>This Loop Header: Depth=1
                                        ;     Child Loop BB1106_73 Depth 2
	v_and_b32_e32 v3, 0xff, v7
	s_mov_b32 s4, -1
	s_delay_alu instid0(VALU_DEP_1)
	v_cmp_ne_u16_e32 vcc_lo, 2, v3
	s_wait_dscnt 0x0
	v_dual_mov_b32 v3, v5 :: v_dual_mov_b32 v4, v6
                                        ; implicit-def: $vgpr5_vgpr6
	s_cmp_lg_u32 vcc_lo, exec_lo
	s_cbranch_scc1 .LBB1106_69
; %bb.71:                               ;   in Loop: Header=BB1106_70 Depth=1
	v_lshlrev_b64_e32 v[5:6], 4, v[21:22]
	s_mov_b32 s4, exec_lo
	s_delay_alu instid0(VALU_DEP_1) | instskip(SKIP_1) | instid1(VALU_DEP_2)
	v_add_co_u32 v23, vcc_lo, s14, v5
	s_wait_alu 0xfffd
	v_add_co_ci_u32_e64 v24, null, s15, v6, vcc_lo
	;;#ASMSTART
	global_load_b128 v[5:8], v[23:24] off scope:SCOPE_DEV	
s_wait_loadcnt 0x0
	;;#ASMEND
	v_and_b32_e32 v8, 0xff, v7
	s_delay_alu instid0(VALU_DEP_1)
	v_cmpx_eq_u16_e32 0, v8
	s_cbranch_execz .LBB1106_75
; %bb.72:                               ;   in Loop: Header=BB1106_70 Depth=1
	s_mov_b32 s5, 0
.LBB1106_73:                            ;   Parent Loop BB1106_70 Depth=1
                                        ; =>  This Inner Loop Header: Depth=2
	;;#ASMSTART
	global_load_b128 v[5:8], v[23:24] off scope:SCOPE_DEV	
s_wait_loadcnt 0x0
	;;#ASMEND
	v_and_b32_e32 v8, 0xff, v7
	s_delay_alu instid0(VALU_DEP_1)
	v_cmp_ne_u16_e32 vcc_lo, 0, v8
	s_wait_alu 0xfffe
	s_or_b32 s5, vcc_lo, s5
	s_wait_alu 0xfffe
	s_and_not1_b32 exec_lo, exec_lo, s5
	s_cbranch_execnz .LBB1106_73
; %bb.74:                               ;   in Loop: Header=BB1106_70 Depth=1
	s_or_b32 exec_lo, exec_lo, s5
.LBB1106_75:                            ;   in Loop: Header=BB1106_70 Depth=1
	s_wait_alu 0xfffe
	s_or_b32 exec_lo, exec_lo, s4
	v_dual_mov_b32 v23, v5 :: v_dual_and_b32 v8, 0xff, v7
	ds_bpermute_b32 v50, v27, v5
	ds_bpermute_b32 v24, v27, v6
	s_mov_b32 s4, exec_lo
	v_cmp_eq_u16_e32 vcc_lo, 2, v8
	s_wait_alu 0xfffd
	v_and_or_b32 v8, vcc_lo, v28, 0x80000000
	s_delay_alu instid0(VALU_DEP_1) | instskip(NEXT) | instid1(VALU_DEP_1)
	v_ctz_i32_b32_e32 v8, v8
	v_cmpx_lt_u32_e64 v42, v8
	s_cbranch_execz .LBB1106_77
; %bb.76:                               ;   in Loop: Header=BB1106_70 Depth=1
	s_wait_dscnt 0x1
	v_add_co_u32 v23, vcc_lo, v5, v50
	s_wait_alu 0xfffd
	v_add_co_ci_u32_e64 v6, null, 0, v6, vcc_lo
	s_delay_alu instid0(VALU_DEP_2) | instskip(SKIP_2) | instid1(VALU_DEP_2)
	v_add_co_u32 v5, vcc_lo, 0, v23
	s_wait_dscnt 0x0
	s_wait_alu 0xfffd
	v_add_co_ci_u32_e64 v6, null, v24, v6, vcc_lo
.LBB1106_77:                            ;   in Loop: Header=BB1106_70 Depth=1
	s_wait_alu 0xfffe
	s_or_b32 exec_lo, exec_lo, s4
	s_wait_dscnt 0x1
	ds_bpermute_b32 v50, v29, v23
	s_wait_dscnt 0x1
	ds_bpermute_b32 v24, v29, v6
	s_mov_b32 s4, exec_lo
	v_cmpx_le_u32_e64 v30, v8
	s_cbranch_execz .LBB1106_79
; %bb.78:                               ;   in Loop: Header=BB1106_70 Depth=1
	s_wait_dscnt 0x1
	v_add_co_u32 v23, vcc_lo, v5, v50
	s_wait_alu 0xfffd
	v_add_co_ci_u32_e64 v6, null, 0, v6, vcc_lo
	s_delay_alu instid0(VALU_DEP_2) | instskip(SKIP_2) | instid1(VALU_DEP_2)
	v_add_co_u32 v5, vcc_lo, 0, v23
	s_wait_dscnt 0x0
	s_wait_alu 0xfffd
	v_add_co_ci_u32_e64 v6, null, v24, v6, vcc_lo
.LBB1106_79:                            ;   in Loop: Header=BB1106_70 Depth=1
	s_wait_alu 0xfffe
	s_or_b32 exec_lo, exec_lo, s4
	s_wait_dscnt 0x1
	ds_bpermute_b32 v50, v44, v23
	s_wait_dscnt 0x1
	ds_bpermute_b32 v24, v44, v6
	s_mov_b32 s4, exec_lo
	v_cmpx_le_u32_e64 v45, v8
	;; [unrolled: 20-line block ×3, first 2 shown]
	s_cbranch_execz .LBB1106_83
; %bb.82:                               ;   in Loop: Header=BB1106_70 Depth=1
	s_wait_dscnt 0x1
	v_add_co_u32 v23, vcc_lo, v5, v50
	s_wait_alu 0xfffd
	v_add_co_ci_u32_e64 v6, null, 0, v6, vcc_lo
	s_delay_alu instid0(VALU_DEP_2) | instskip(SKIP_2) | instid1(VALU_DEP_2)
	v_add_co_u32 v5, vcc_lo, 0, v23
	s_wait_dscnt 0x0
	s_wait_alu 0xfffd
	v_add_co_ci_u32_e64 v6, null, v24, v6, vcc_lo
.LBB1106_83:                            ;   in Loop: Header=BB1106_70 Depth=1
	s_wait_alu 0xfffe
	s_or_b32 exec_lo, exec_lo, s4
	s_wait_dscnt 0x0
	ds_bpermute_b32 v24, v48, v23
	ds_bpermute_b32 v23, v48, v6
	s_mov_b32 s4, exec_lo
	v_cmpx_le_u32_e64 v49, v8
	s_cbranch_execz .LBB1106_68
; %bb.84:                               ;   in Loop: Header=BB1106_70 Depth=1
	s_wait_dscnt 0x1
	v_add_co_u32 v5, vcc_lo, v5, v24
	s_wait_alu 0xfffd
	v_add_co_ci_u32_e64 v6, null, 0, v6, vcc_lo
	s_delay_alu instid0(VALU_DEP_2) | instskip(SKIP_2) | instid1(VALU_DEP_2)
	v_add_co_u32 v5, vcc_lo, v5, 0
	s_wait_dscnt 0x0
	s_wait_alu 0xfffd
	v_add_co_ci_u32_e64 v6, null, v6, v23, vcc_lo
	s_branch .LBB1106_68
.LBB1106_85:
                                        ; implicit-def: $vgpr19_vgpr20
                                        ; implicit-def: $vgpr6_vgpr7
                                        ; implicit-def: $vgpr21_vgpr22
                                        ; implicit-def: $vgpr23_vgpr24
                                        ; implicit-def: $vgpr25_vgpr26
                                        ; implicit-def: $vgpr27_vgpr28
                                        ; implicit-def: $vgpr29_vgpr30
                                        ; implicit-def: $vgpr4_vgpr5
	s_wait_alu 0xfffe
	s_and_b32 vcc_lo, exec_lo, s1
	s_wait_alu 0xfffe
	s_cbranch_vccnz .LBB1106_91
	s_branch .LBB1106_118
.LBB1106_86:
	s_and_saveexec_b32 s4, s1
	s_cbranch_execz .LBB1106_88
; %bb.87:
	s_add_co_i32 s16, s18, 32
	s_mov_b32 s17, 0
	v_add_co_u32 v5, vcc_lo, v3, v1
	s_wait_alu 0xfffe
	s_lshl_b64 s[16:17], s[16:17], 4
	v_dual_mov_b32 v7, 2 :: v_dual_mov_b32 v8, 0
	s_wait_alu 0xfffe
	s_add_nc_u64 s[16:17], s[14:15], s[16:17]
	s_wait_alu 0xfffd
	v_add_co_ci_u32_e64 v6, null, v4, v2, vcc_lo
	s_wait_alu 0xfffe
	v_dual_mov_b32 v22, s17 :: v_dual_mov_b32 v21, s16
	;;#ASMSTART
	global_store_b128 v[21:22], v[5:8] off scope:SCOPE_DEV	
s_wait_storecnt 0x0
	;;#ASMEND
	ds_store_b128 v8, v[1:4] offset:10752
.LBB1106_88:
	s_wait_alu 0xfffe
	s_or_b32 exec_lo, exec_lo, s4
	s_delay_alu instid0(SALU_CYCLE_1)
	s_and_b32 exec_lo, exec_lo, s2
; %bb.89:
	v_mov_b32_e32 v1, 0
	ds_store_b64 v1, v[3:4] offset:88
.LBB1106_90:
	s_wait_alu 0xfffe
	s_or_b32 exec_lo, exec_lo, s3
	v_mov_b32_e32 v3, 0
	s_wait_loadcnt_dscnt 0x0
	s_barrier_signal -1
	s_barrier_wait -1
	global_inv scope:SCOPE_SE
	ds_load_b64 v[1:2], v3 offset:88
	v_cndmask_b32_e64 v4, v25, v19, s1
	v_cndmask_b32_e64 v5, v26, v20, s1
	s_wait_loadcnt_dscnt 0x0
	s_barrier_signal -1
	s_barrier_wait -1
	v_cndmask_b32_e64 v4, v4, 0, s2
	v_cndmask_b32_e64 v5, v5, 0, s2
	global_inv scope:SCOPE_SE
	v_add_co_u32 v29, vcc_lo, v1, v4
	s_wait_alu 0xfffd
	v_add_co_ci_u32_e64 v30, null, v2, v5, vcc_lo
	ds_load_b128 v[2:5], v3 offset:10752
	v_add_co_u32 v27, vcc_lo, v29, v39
	s_wait_alu 0xfffd
	v_add_co_ci_u32_e64 v28, null, 0, v30, vcc_lo
	s_delay_alu instid0(VALU_DEP_2) | instskip(SKIP_1) | instid1(VALU_DEP_2)
	v_add_co_u32 v25, vcc_lo, v27, v38
	s_wait_alu 0xfffd
	v_add_co_ci_u32_e64 v26, null, 0, v28, vcc_lo
	s_delay_alu instid0(VALU_DEP_2) | instskip(SKIP_1) | instid1(VALU_DEP_2)
	;; [unrolled: 4-line block ×5, first 2 shown]
	v_add_co_u32 v19, vcc_lo, v6, v37
	s_wait_alu 0xfffd
	v_add_co_ci_u32_e64 v20, null, 0, v7, vcc_lo
	s_branch .LBB1106_118
.LBB1106_91:
	s_wait_dscnt 0x0
	v_dual_mov_b32 v2, 0 :: v_dual_mov_b32 v3, v17
	v_mov_b32_dpp v4, v17 row_shr:1 row_mask:0xf bank_mask:0xf
	s_delay_alu instid0(VALU_DEP_2)
	v_mov_b32_dpp v1, v2 row_shr:1 row_mask:0xf bank_mask:0xf
	s_and_saveexec_b32 s1, s0
; %bb.92:
	s_delay_alu instid0(VALU_DEP_2) | instskip(SKIP_2) | instid1(VALU_DEP_2)
	v_add_co_u32 v3, vcc_lo, v17, v4
	s_wait_alu 0xfffd
	v_add_co_ci_u32_e64 v2, null, 0, v18, vcc_lo
	v_add_co_u32 v17, vcc_lo, 0, v3
	s_wait_alu 0xfffd
	s_delay_alu instid0(VALU_DEP_2) | instskip(NEXT) | instid1(VALU_DEP_1)
	v_add_co_ci_u32_e64 v18, null, v1, v2, vcc_lo
	v_mov_b32_e32 v2, v18
; %bb.93:
	s_wait_alu 0xfffe
	s_or_b32 exec_lo, exec_lo, s1
	v_mov_b32_dpp v1, v3 row_shr:2 row_mask:0xf bank_mask:0xf
	s_delay_alu instid0(VALU_DEP_2)
	v_mov_b32_dpp v4, v2 row_shr:2 row_mask:0xf bank_mask:0xf
	v_cmp_lt_u32_e32 vcc_lo, 1, v43
	s_and_saveexec_b32 s3, vcc_lo
; %bb.94:
	s_delay_alu instid0(VALU_DEP_3) | instskip(SKIP_2) | instid1(VALU_DEP_2)
	v_add_co_u32 v3, s1, v17, v1
	s_wait_alu 0xf1ff
	v_add_co_ci_u32_e64 v2, null, 0, v18, s1
	v_add_co_u32 v1, s1, 0, v3
	s_wait_alu 0xf1ff
	s_delay_alu instid0(VALU_DEP_2) | instskip(NEXT) | instid1(VALU_DEP_1)
	v_add_co_ci_u32_e64 v2, null, v4, v2, s1
	v_dual_mov_b32 v18, v2 :: v_dual_mov_b32 v17, v1
; %bb.95:
	s_wait_alu 0xfffe
	s_or_b32 exec_lo, exec_lo, s3
	v_mov_b32_dpp v1, v3 row_shr:4 row_mask:0xf bank_mask:0xf
	v_mov_b32_dpp v4, v2 row_shr:4 row_mask:0xf bank_mask:0xf
	v_cmp_lt_u32_e64 s1, 3, v43
	s_and_saveexec_b32 s4, s1
; %bb.96:
	v_add_co_u32 v3, s3, v17, v1
	s_wait_alu 0xf1ff
	v_add_co_ci_u32_e64 v2, null, 0, v18, s3
	s_delay_alu instid0(VALU_DEP_2) | instskip(SKIP_1) | instid1(VALU_DEP_2)
	v_add_co_u32 v1, s3, 0, v3
	s_wait_alu 0xf1ff
	v_add_co_ci_u32_e64 v2, null, v4, v2, s3
	s_delay_alu instid0(VALU_DEP_1)
	v_dual_mov_b32 v18, v2 :: v_dual_mov_b32 v17, v1
; %bb.97:
	s_wait_alu 0xfffe
	s_or_b32 exec_lo, exec_lo, s4
	v_mov_b32_dpp v4, v3 row_shr:8 row_mask:0xf bank_mask:0xf
	v_mov_b32_dpp v1, v2 row_shr:8 row_mask:0xf bank_mask:0xf
	v_cmp_lt_u32_e64 s3, 7, v43
	s_and_saveexec_b32 s5, s3
; %bb.98:
	v_add_co_u32 v3, s4, v17, v4
	s_wait_alu 0xf1ff
	v_add_co_ci_u32_e64 v2, null, 0, v18, s4
	s_delay_alu instid0(VALU_DEP_2) | instskip(SKIP_1) | instid1(VALU_DEP_2)
	v_add_co_u32 v17, s4, 0, v3
	s_wait_alu 0xf1ff
	v_add_co_ci_u32_e64 v18, null, v1, v2, s4
	s_delay_alu instid0(VALU_DEP_1)
	v_mov_b32_e32 v2, v18
; %bb.99:
	s_wait_alu 0xfffe
	s_or_b32 exec_lo, exec_lo, s5
	ds_swizzle_b32 v3, v3 offset:swizzle(BROADCAST,32,15)
	ds_swizzle_b32 v1, v2 offset:swizzle(BROADCAST,32,15)
	v_and_b32_e32 v2, 16, v42
	s_mov_b32 s5, exec_lo
	s_delay_alu instid0(VALU_DEP_1)
	v_cmpx_ne_u32_e32 0, v2
	s_cbranch_execz .LBB1106_101
; %bb.100:
	s_wait_dscnt 0x1
	v_add_co_u32 v2, s4, v17, v3
	s_wait_alu 0xf1ff
	v_add_co_ci_u32_e64 v3, null, 0, v18, s4
	s_delay_alu instid0(VALU_DEP_2) | instskip(SKIP_2) | instid1(VALU_DEP_2)
	v_add_co_u32 v17, s4, v2, 0
	s_wait_dscnt 0x0
	s_wait_alu 0xf1ff
	v_add_co_ci_u32_e64 v18, null, v3, v1, s4
.LBB1106_101:
	s_wait_alu 0xfffe
	s_or_b32 exec_lo, exec_lo, s5
	s_wait_dscnt 0x0
	v_and_b32_e32 v1, 0x1e0, v0
	v_lshrrev_b32_e32 v3, 5, v0
	s_mov_b32 s5, exec_lo
	s_delay_alu instid0(VALU_DEP_2) | instskip(NEXT) | instid1(VALU_DEP_1)
	v_min_u32_e32 v1, 0x160, v1
	v_or_b32_e32 v1, 31, v1
	s_delay_alu instid0(VALU_DEP_1)
	v_cmpx_eq_u32_e64 v0, v1
; %bb.102:
	v_lshlrev_b32_e32 v1, 3, v3
	ds_store_b64 v1, v[17:18]
; %bb.103:
	s_wait_alu 0xfffe
	s_or_b32 exec_lo, exec_lo, s5
	s_delay_alu instid0(SALU_CYCLE_1)
	s_mov_b32 s5, exec_lo
	s_wait_loadcnt_dscnt 0x0
	s_barrier_signal -1
	s_barrier_wait -1
	global_inv scope:SCOPE_SE
	v_cmpx_gt_u32_e32 12, v0
	s_cbranch_execz .LBB1106_113
; %bb.104:
	v_mad_i32_i24 v1, 0xffffffec, v0, v32
	ds_load_b64 v[1:2], v1
	s_wait_dscnt 0x0
	v_mov_b32_dpp v6, v1 row_shr:1 row_mask:0xf bank_mask:0xf
	v_mov_b32_dpp v5, v2 row_shr:1 row_mask:0xf bank_mask:0xf
	v_mov_b32_e32 v4, v1
	s_and_saveexec_b32 s4, s0
; %bb.105:
	s_delay_alu instid0(VALU_DEP_3) | instskip(SKIP_2) | instid1(VALU_DEP_2)
	v_add_co_u32 v4, s0, v1, v6
	s_wait_alu 0xf1ff
	v_add_co_ci_u32_e64 v2, null, 0, v2, s0
	v_add_co_u32 v1, s0, 0, v4
	s_wait_alu 0xf1ff
	s_delay_alu instid0(VALU_DEP_2)
	v_add_co_ci_u32_e64 v2, null, v5, v2, s0
; %bb.106:
	s_wait_alu 0xfffe
	s_or_b32 exec_lo, exec_lo, s4
	v_mov_b32_dpp v6, v4 row_shr:2 row_mask:0xf bank_mask:0xf
	s_delay_alu instid0(VALU_DEP_2)
	v_mov_b32_dpp v5, v2 row_shr:2 row_mask:0xf bank_mask:0xf
	s_and_saveexec_b32 s0, vcc_lo
; %bb.107:
	s_delay_alu instid0(VALU_DEP_2) | instskip(SKIP_2) | instid1(VALU_DEP_2)
	v_add_co_u32 v4, vcc_lo, v1, v6
	s_wait_alu 0xfffd
	v_add_co_ci_u32_e64 v2, null, 0, v2, vcc_lo
	v_add_co_u32 v1, vcc_lo, 0, v4
	s_wait_alu 0xfffd
	s_delay_alu instid0(VALU_DEP_2)
	v_add_co_ci_u32_e64 v2, null, v5, v2, vcc_lo
; %bb.108:
	s_wait_alu 0xfffe
	s_or_b32 exec_lo, exec_lo, s0
	v_mov_b32_dpp v6, v4 row_shr:4 row_mask:0xf bank_mask:0xf
	s_delay_alu instid0(VALU_DEP_2)
	v_mov_b32_dpp v5, v2 row_shr:4 row_mask:0xf bank_mask:0xf
	s_and_saveexec_b32 s0, s1
; %bb.109:
	s_delay_alu instid0(VALU_DEP_2) | instskip(SKIP_2) | instid1(VALU_DEP_2)
	v_add_co_u32 v4, vcc_lo, v1, v6
	s_wait_alu 0xfffd
	v_add_co_ci_u32_e64 v2, null, 0, v2, vcc_lo
	v_add_co_u32 v1, vcc_lo, 0, v4
	s_wait_alu 0xfffd
	s_delay_alu instid0(VALU_DEP_2)
	v_add_co_ci_u32_e64 v2, null, v5, v2, vcc_lo
; %bb.110:
	s_wait_alu 0xfffe
	s_or_b32 exec_lo, exec_lo, s0
	v_mul_i32_i24_e32 v5, 0xffffffec, v0
	v_mov_b32_dpp v6, v4 row_shr:8 row_mask:0xf bank_mask:0xf
	v_mov_b32_dpp v4, v2 row_shr:8 row_mask:0xf bank_mask:0xf
	s_and_saveexec_b32 s0, s3
; %bb.111:
	s_delay_alu instid0(VALU_DEP_2) | instskip(SKIP_2) | instid1(VALU_DEP_2)
	v_add_co_u32 v1, vcc_lo, v1, v6
	s_wait_alu 0xfffd
	v_add_co_ci_u32_e64 v2, null, 0, v2, vcc_lo
	v_add_co_u32 v1, vcc_lo, v1, 0
	s_wait_alu 0xfffd
	s_delay_alu instid0(VALU_DEP_2)
	v_add_co_ci_u32_e64 v2, null, v2, v4, vcc_lo
; %bb.112:
	s_wait_alu 0xfffe
	s_or_b32 exec_lo, exec_lo, s0
	v_add_nc_u32_e32 v4, v32, v5
	ds_store_b64 v4, v[1:2]
.LBB1106_113:
	s_wait_alu 0xfffe
	s_or_b32 exec_lo, exec_lo, s5
	v_mov_b32_e32 v6, 0
	v_mov_b32_e32 v7, 0
	s_mov_b32 s0, exec_lo
	s_wait_loadcnt_dscnt 0x0
	s_barrier_signal -1
	s_barrier_wait -1
	global_inv scope:SCOPE_SE
	v_cmpx_lt_u32_e32 31, v0
; %bb.114:
	v_lshl_add_u32 v1, v3, 3, -8
	ds_load_b64 v[6:7], v1
; %bb.115:
	s_wait_alu 0xfffe
	s_or_b32 exec_lo, exec_lo, s0
	v_sub_co_u32 v1, vcc_lo, v42, 1
	v_mov_b32_e32 v5, 0
	s_delay_alu instid0(VALU_DEP_2) | instskip(SKIP_1) | instid1(VALU_DEP_1)
	v_cmp_gt_i32_e64 s0, 0, v1
	s_wait_alu 0xf1ff
	v_cndmask_b32_e64 v1, v1, v42, s0
	s_delay_alu instid0(VALU_DEP_1)
	v_lshlrev_b32_e32 v2, 2, v1
	s_wait_dscnt 0x0
	v_add_co_u32 v1, s0, v6, v17
	s_wait_alu 0xf1ff
	v_add_co_ci_u32_e64 v3, null, v7, v18, s0
	ds_bpermute_b32 v1, v2, v1
	ds_bpermute_b32 v8, v2, v3
	ds_load_b64 v[2:3], v5 offset:88
	s_and_saveexec_b32 s0, s2
	s_cbranch_execz .LBB1106_117
; %bb.116:
	s_add_nc_u64 s[4:5], s[14:15], 0x200
	v_mov_b32_e32 v4, 2
	s_wait_alu 0xfffe
	v_dual_mov_b32 v18, s5 :: v_dual_mov_b32 v17, s4
	s_wait_dscnt 0x0
	;;#ASMSTART
	global_store_b128 v[17:18], v[2:5] off scope:SCOPE_DEV	
s_wait_storecnt 0x0
	;;#ASMEND
.LBB1106_117:
	s_wait_alu 0xfffe
	s_or_b32 exec_lo, exec_lo, s0
	s_wait_dscnt 0x1
	s_wait_alu 0xfffd
	v_dual_cndmask_b32 v1, v1, v6 :: v_dual_cndmask_b32 v4, v8, v7
	s_wait_loadcnt_dscnt 0x0
	s_barrier_signal -1
	s_barrier_wait -1
	s_delay_alu instid0(VALU_DEP_1)
	v_cndmask_b32_e64 v29, v1, 0, s2
	v_cndmask_b32_e64 v30, v4, 0, s2
	v_mov_b32_e32 v4, 0
	v_mov_b32_e32 v5, 0
	global_inv scope:SCOPE_SE
	v_add_co_u32 v27, vcc_lo, v29, v39
	s_wait_alu 0xfffd
	v_add_co_ci_u32_e64 v28, null, 0, v30, vcc_lo
	s_delay_alu instid0(VALU_DEP_2) | instskip(SKIP_1) | instid1(VALU_DEP_2)
	v_add_co_u32 v25, vcc_lo, v27, v38
	s_wait_alu 0xfffd
	v_add_co_ci_u32_e64 v26, null, 0, v28, vcc_lo
	s_delay_alu instid0(VALU_DEP_2) | instskip(SKIP_1) | instid1(VALU_DEP_2)
	;; [unrolled: 4-line block ×5, first 2 shown]
	v_add_co_u32 v19, vcc_lo, v6, v37
	s_wait_alu 0xfffd
	v_add_co_ci_u32_e64 v20, null, 0, v7, vcc_lo
.LBB1106_118:
	v_and_b32_e32 v37, 1, v31
	s_wait_dscnt 0x0
	v_cmp_gt_u64_e32 vcc_lo, 0x181, v[2:3]
	v_lshlrev_b64_e32 v[17:18], 2, v[9:10]
	v_lshrrev_b32_e32 v8, 8, v31
	v_lshrrev_b32_e32 v1, 16, v31
	v_cmp_eq_u32_e64 s0, 1, v37
	s_mov_b32 s1, -1
	s_cbranch_vccnz .LBB1106_122
; %bb.119:
	s_wait_alu 0xfffe
	s_and_b32 vcc_lo, exec_lo, s1
	s_wait_alu 0xfffe
	s_cbranch_vccnz .LBB1106_137
.LBB1106_120:
	s_and_b32 s0, s2, s7
	s_wait_alu 0xfffe
	s_and_saveexec_b32 s1, s0
	s_cbranch_execnz .LBB1106_154
.LBB1106_121:
	s_endpgm
.LBB1106_122:
	v_add_co_u32 v31, vcc_lo, v4, v2
	s_wait_alu 0xfffd
	v_add_co_ci_u32_e64 v32, null, v5, v3, vcc_lo
	v_add_co_u32 v38, s1, s12, v17
	s_wait_alu 0xf1fe
	v_add_co_ci_u32_e64 v39, null, s13, v18, s1
	s_delay_alu instid0(VALU_DEP_3)
	v_cmp_lt_u64_e32 vcc_lo, v[29:30], v[31:32]
	s_or_b32 s1, s10, vcc_lo
	s_wait_alu 0xfffe
	s_and_b32 s1, s1, s0
	s_wait_alu 0xfffe
	s_and_saveexec_b32 s0, s1
	s_cbranch_execz .LBB1106_124
; %bb.123:
	v_lshlrev_b64_e32 v[40:41], 2, v[29:30]
	s_delay_alu instid0(VALU_DEP_1) | instskip(SKIP_1) | instid1(VALU_DEP_2)
	v_add_co_u32 v40, vcc_lo, v38, v40
	s_wait_alu 0xfffd
	v_add_co_ci_u32_e64 v41, null, v39, v41, vcc_lo
	global_store_b32 v[40:41], v15, off
.LBB1106_124:
	s_wait_alu 0xfffe
	s_or_b32 exec_lo, exec_lo, s0
	v_and_b32_e32 v30, 1, v8
	v_cmp_lt_u64_e32 vcc_lo, v[27:28], v[31:32]
	s_delay_alu instid0(VALU_DEP_2)
	v_cmp_eq_u32_e64 s0, 1, v30
	s_or_b32 s1, s10, vcc_lo
	s_wait_alu 0xfffe
	s_and_b32 s1, s1, s0
	s_wait_alu 0xfffe
	s_and_saveexec_b32 s0, s1
	s_cbranch_execz .LBB1106_126
; %bb.125:
	v_lshlrev_b64_e32 v[40:41], 2, v[27:28]
	s_delay_alu instid0(VALU_DEP_1) | instskip(SKIP_1) | instid1(VALU_DEP_2)
	v_add_co_u32 v40, vcc_lo, v38, v40
	s_wait_alu 0xfffd
	v_add_co_ci_u32_e64 v41, null, v39, v41, vcc_lo
	global_store_b32 v[40:41], v16, off
.LBB1106_126:
	s_wait_alu 0xfffe
	s_or_b32 exec_lo, exec_lo, s0
	v_and_b32_e32 v28, 1, v1
	v_cmp_lt_u64_e32 vcc_lo, v[25:26], v[31:32]
	s_delay_alu instid0(VALU_DEP_2)
	v_cmp_eq_u32_e64 s0, 1, v28
	;; [unrolled: 20-line block ×5, first 2 shown]
	s_or_b32 s1, s10, vcc_lo
	s_wait_alu 0xfffe
	s_and_b32 s1, s1, s0
	s_wait_alu 0xfffe
	s_and_saveexec_b32 s0, s1
	s_cbranch_execz .LBB1106_134
; %bb.133:
	v_lshlrev_b64_e32 v[40:41], 2, v[6:7]
	s_delay_alu instid0(VALU_DEP_1) | instskip(SKIP_1) | instid1(VALU_DEP_2)
	v_add_co_u32 v40, vcc_lo, v38, v40
	s_wait_alu 0xfffd
	v_add_co_ci_u32_e64 v41, null, v39, v41, vcc_lo
	global_store_b32 v[40:41], v12, off
.LBB1106_134:
	s_wait_alu 0xfffe
	s_or_b32 exec_lo, exec_lo, s0
	v_cmp_lt_u64_e32 vcc_lo, v[19:20], v[31:32]
	s_or_b32 s0, s10, vcc_lo
	s_wait_alu 0xfffe
	s_and_b32 s1, s0, s11
	s_wait_alu 0xfffe
	s_and_saveexec_b32 s0, s1
	s_cbranch_execz .LBB1106_136
; %bb.135:
	v_lshlrev_b64_e32 v[30:31], 2, v[19:20]
	s_delay_alu instid0(VALU_DEP_1) | instskip(SKIP_1) | instid1(VALU_DEP_2)
	v_add_co_u32 v30, vcc_lo, v38, v30
	s_wait_alu 0xfffd
	v_add_co_ci_u32_e64 v31, null, v39, v31, vcc_lo
	global_store_b32 v[30:31], v33, off
.LBB1106_136:
	s_wait_alu 0xfffe
	s_or_b32 exec_lo, exec_lo, s0
	s_branch .LBB1106_120
.LBB1106_137:
	s_mov_b32 s0, exec_lo
	v_cmpx_eq_u32_e32 1, v37
; %bb.138:
	v_sub_nc_u32_e32 v7, v29, v4
	s_delay_alu instid0(VALU_DEP_1)
	v_lshlrev_b32_e32 v7, 2, v7
	ds_store_b32 v7, v15
; %bb.139:
	s_wait_alu 0xfffe
	s_or_b32 exec_lo, exec_lo, s0
	v_and_b32_e32 v7, 1, v8
	s_mov_b32 s0, exec_lo
	s_delay_alu instid0(VALU_DEP_1)
	v_cmpx_eq_u32_e32 1, v7
; %bb.140:
	v_sub_nc_u32_e32 v7, v27, v4
	s_delay_alu instid0(VALU_DEP_1)
	v_lshlrev_b32_e32 v7, 2, v7
	ds_store_b32 v7, v16
; %bb.141:
	s_wait_alu 0xfffe
	s_or_b32 exec_lo, exec_lo, s0
	v_and_b32_e32 v1, 1, v1
	s_mov_b32 s0, exec_lo
	s_delay_alu instid0(VALU_DEP_1)
	v_cmpx_eq_u32_e32 1, v1
; %bb.142:
	v_sub_nc_u32_e32 v1, v25, v4
	s_delay_alu instid0(VALU_DEP_1)
	v_lshlrev_b32_e32 v1, 2, v1
	ds_store_b32 v1, v13
; %bb.143:
	s_wait_alu 0xfffe
	s_or_b32 exec_lo, exec_lo, s0
	v_and_b32_e32 v1, 1, v36
	s_mov_b32 s0, exec_lo
	s_delay_alu instid0(VALU_DEP_1)
	v_cmpx_eq_u32_e32 1, v1
; %bb.144:
	v_sub_nc_u32_e32 v1, v23, v4
	s_delay_alu instid0(VALU_DEP_1)
	v_lshlrev_b32_e32 v1, 2, v1
	ds_store_b32 v1, v14
; %bb.145:
	s_wait_alu 0xfffe
	s_or_b32 exec_lo, exec_lo, s0
	v_and_b32_e32 v1, 1, v35
	s_mov_b32 s0, exec_lo
	s_delay_alu instid0(VALU_DEP_1)
	v_cmpx_eq_u32_e32 1, v1
; %bb.146:
	v_sub_nc_u32_e32 v1, v21, v4
	s_delay_alu instid0(VALU_DEP_1)
	v_lshlrev_b32_e32 v1, 2, v1
	ds_store_b32 v1, v11
; %bb.147:
	s_wait_alu 0xfffe
	s_or_b32 exec_lo, exec_lo, s0
	v_and_b32_e32 v1, 1, v34
	s_mov_b32 s0, exec_lo
	s_delay_alu instid0(VALU_DEP_1)
	v_cmpx_eq_u32_e32 1, v1
; %bb.148:
	v_sub_nc_u32_e32 v1, v6, v4
	s_delay_alu instid0(VALU_DEP_1)
	v_lshlrev_b32_e32 v1, 2, v1
	ds_store_b32 v1, v12
; %bb.149:
	s_wait_alu 0xfffe
	s_or_b32 exec_lo, exec_lo, s0
	s_and_saveexec_b32 s0, s11
; %bb.150:
	v_sub_nc_u32_e32 v1, v19, v4
	s_delay_alu instid0(VALU_DEP_1)
	v_lshlrev_b32_e32 v1, 2, v1
	ds_store_b32 v1, v33
; %bb.151:
	s_wait_alu 0xfffe
	s_or_b32 exec_lo, exec_lo, s0
	v_lshlrev_b64_e32 v[6:7], 2, v[4:5]
	v_mov_b32_e32 v1, 0
	s_mov_b32 s1, 0
	s_wait_storecnt 0x0
	s_wait_loadcnt_dscnt 0x0
	s_barrier_signal -1
	s_barrier_wait -1
	v_add_co_u32 v8, vcc_lo, s12, v6
	s_wait_alu 0xfffd
	v_add_co_ci_u32_e64 v11, null, s13, v7, vcc_lo
	v_dual_mov_b32 v7, v1 :: v_dual_mov_b32 v6, v0
	s_delay_alu instid0(VALU_DEP_3) | instskip(SKIP_1) | instid1(VALU_DEP_3)
	v_add_co_u32 v8, vcc_lo, v8, v17
	s_wait_alu 0xfffd
	v_add_co_ci_u32_e64 v11, null, v11, v18, vcc_lo
	v_add_nc_u32_e32 v0, 0x180, v0
	global_inv scope:SCOPE_SE
.LBB1106_152:                           ; =>This Inner Loop Header: Depth=1
	v_lshlrev_b32_e32 v12, 2, v6
	v_cmp_le_u64_e32 vcc_lo, v[2:3], v[0:1]
	ds_load_b32 v14, v12
	v_lshlrev_b64_e32 v[12:13], 2, v[6:7]
	v_dual_mov_b32 v7, v1 :: v_dual_mov_b32 v6, v0
	v_add_nc_u32_e32 v0, 0x180, v0
	s_wait_alu 0xfffe
	s_or_b32 s1, vcc_lo, s1
	s_delay_alu instid0(VALU_DEP_3)
	v_add_co_u32 v12, s0, v8, v12
	s_wait_alu 0xf1ff
	v_add_co_ci_u32_e64 v13, null, v11, v13, s0
	s_wait_dscnt 0x0
	global_store_b32 v[12:13], v14, off
	s_wait_alu 0xfffe
	s_and_not1_b32 exec_lo, exec_lo, s1
	s_cbranch_execnz .LBB1106_152
; %bb.153:
	s_or_b32 exec_lo, exec_lo, s1
	s_and_b32 s0, s2, s7
	s_wait_alu 0xfffe
	s_and_saveexec_b32 s1, s0
	s_cbranch_execz .LBB1106_121
.LBB1106_154:
	v_add_co_u32 v0, vcc_lo, v4, v2
	s_wait_alu 0xfffd
	v_add_co_ci_u32_e64 v1, null, v5, v3, vcc_lo
	v_mov_b32_e32 v2, 0
	s_delay_alu instid0(VALU_DEP_3) | instskip(SKIP_1) | instid1(VALU_DEP_3)
	v_add_co_u32 v0, vcc_lo, v0, v9
	s_wait_alu 0xfffd
	v_add_co_ci_u32_e64 v1, null, v1, v10, vcc_lo
	global_store_b64 v2, v[0:1], s[8:9]
	s_endpgm
	.section	.rodata,"a",@progbits
	.p2align	6, 0x0
	.amdhsa_kernel _ZN7rocprim17ROCPRIM_400000_NS6detail17trampoline_kernelINS0_14default_configENS1_25partition_config_selectorILNS1_17partition_subalgoE6EfNS0_10empty_typeEbEEZZNS1_14partition_implILS5_6ELb0ES3_mN6thrust23THRUST_200600_302600_NS6detail15normal_iteratorINSA_10device_ptrIfEEEEPS6_SG_NS0_5tupleIJSF_S6_EEENSH_IJSG_SG_EEES6_PlJNSB_9not_fun_tI7is_trueIfEEEEEE10hipError_tPvRmT3_T4_T5_T6_T7_T9_mT8_P12ihipStream_tbDpT10_ENKUlT_T0_E_clISt17integral_constantIbLb0EES17_IbLb1EEEEDaS13_S14_EUlS13_E_NS1_11comp_targetILNS1_3genE10ELNS1_11target_archE1200ELNS1_3gpuE4ELNS1_3repE0EEENS1_30default_config_static_selectorELNS0_4arch9wavefront6targetE0EEEvT1_
		.amdhsa_group_segment_fixed_size 10768
		.amdhsa_private_segment_fixed_size 0
		.amdhsa_kernarg_size 128
		.amdhsa_user_sgpr_count 2
		.amdhsa_user_sgpr_dispatch_ptr 0
		.amdhsa_user_sgpr_queue_ptr 0
		.amdhsa_user_sgpr_kernarg_segment_ptr 1
		.amdhsa_user_sgpr_dispatch_id 0
		.amdhsa_user_sgpr_private_segment_size 0
		.amdhsa_wavefront_size32 1
		.amdhsa_uses_dynamic_stack 0
		.amdhsa_enable_private_segment 0
		.amdhsa_system_sgpr_workgroup_id_x 1
		.amdhsa_system_sgpr_workgroup_id_y 0
		.amdhsa_system_sgpr_workgroup_id_z 0
		.amdhsa_system_sgpr_workgroup_info 0
		.amdhsa_system_vgpr_workitem_id 0
		.amdhsa_next_free_vgpr 51
		.amdhsa_next_free_sgpr 20
		.amdhsa_reserve_vcc 1
		.amdhsa_float_round_mode_32 0
		.amdhsa_float_round_mode_16_64 0
		.amdhsa_float_denorm_mode_32 3
		.amdhsa_float_denorm_mode_16_64 3
		.amdhsa_fp16_overflow 0
		.amdhsa_workgroup_processor_mode 1
		.amdhsa_memory_ordered 1
		.amdhsa_forward_progress 1
		.amdhsa_inst_pref_size 60
		.amdhsa_round_robin_scheduling 0
		.amdhsa_exception_fp_ieee_invalid_op 0
		.amdhsa_exception_fp_denorm_src 0
		.amdhsa_exception_fp_ieee_div_zero 0
		.amdhsa_exception_fp_ieee_overflow 0
		.amdhsa_exception_fp_ieee_underflow 0
		.amdhsa_exception_fp_ieee_inexact 0
		.amdhsa_exception_int_div_zero 0
	.end_amdhsa_kernel
	.section	.text._ZN7rocprim17ROCPRIM_400000_NS6detail17trampoline_kernelINS0_14default_configENS1_25partition_config_selectorILNS1_17partition_subalgoE6EfNS0_10empty_typeEbEEZZNS1_14partition_implILS5_6ELb0ES3_mN6thrust23THRUST_200600_302600_NS6detail15normal_iteratorINSA_10device_ptrIfEEEEPS6_SG_NS0_5tupleIJSF_S6_EEENSH_IJSG_SG_EEES6_PlJNSB_9not_fun_tI7is_trueIfEEEEEE10hipError_tPvRmT3_T4_T5_T6_T7_T9_mT8_P12ihipStream_tbDpT10_ENKUlT_T0_E_clISt17integral_constantIbLb0EES17_IbLb1EEEEDaS13_S14_EUlS13_E_NS1_11comp_targetILNS1_3genE10ELNS1_11target_archE1200ELNS1_3gpuE4ELNS1_3repE0EEENS1_30default_config_static_selectorELNS0_4arch9wavefront6targetE0EEEvT1_,"axG",@progbits,_ZN7rocprim17ROCPRIM_400000_NS6detail17trampoline_kernelINS0_14default_configENS1_25partition_config_selectorILNS1_17partition_subalgoE6EfNS0_10empty_typeEbEEZZNS1_14partition_implILS5_6ELb0ES3_mN6thrust23THRUST_200600_302600_NS6detail15normal_iteratorINSA_10device_ptrIfEEEEPS6_SG_NS0_5tupleIJSF_S6_EEENSH_IJSG_SG_EEES6_PlJNSB_9not_fun_tI7is_trueIfEEEEEE10hipError_tPvRmT3_T4_T5_T6_T7_T9_mT8_P12ihipStream_tbDpT10_ENKUlT_T0_E_clISt17integral_constantIbLb0EES17_IbLb1EEEEDaS13_S14_EUlS13_E_NS1_11comp_targetILNS1_3genE10ELNS1_11target_archE1200ELNS1_3gpuE4ELNS1_3repE0EEENS1_30default_config_static_selectorELNS0_4arch9wavefront6targetE0EEEvT1_,comdat
.Lfunc_end1106:
	.size	_ZN7rocprim17ROCPRIM_400000_NS6detail17trampoline_kernelINS0_14default_configENS1_25partition_config_selectorILNS1_17partition_subalgoE6EfNS0_10empty_typeEbEEZZNS1_14partition_implILS5_6ELb0ES3_mN6thrust23THRUST_200600_302600_NS6detail15normal_iteratorINSA_10device_ptrIfEEEEPS6_SG_NS0_5tupleIJSF_S6_EEENSH_IJSG_SG_EEES6_PlJNSB_9not_fun_tI7is_trueIfEEEEEE10hipError_tPvRmT3_T4_T5_T6_T7_T9_mT8_P12ihipStream_tbDpT10_ENKUlT_T0_E_clISt17integral_constantIbLb0EES17_IbLb1EEEEDaS13_S14_EUlS13_E_NS1_11comp_targetILNS1_3genE10ELNS1_11target_archE1200ELNS1_3gpuE4ELNS1_3repE0EEENS1_30default_config_static_selectorELNS0_4arch9wavefront6targetE0EEEvT1_, .Lfunc_end1106-_ZN7rocprim17ROCPRIM_400000_NS6detail17trampoline_kernelINS0_14default_configENS1_25partition_config_selectorILNS1_17partition_subalgoE6EfNS0_10empty_typeEbEEZZNS1_14partition_implILS5_6ELb0ES3_mN6thrust23THRUST_200600_302600_NS6detail15normal_iteratorINSA_10device_ptrIfEEEEPS6_SG_NS0_5tupleIJSF_S6_EEENSH_IJSG_SG_EEES6_PlJNSB_9not_fun_tI7is_trueIfEEEEEE10hipError_tPvRmT3_T4_T5_T6_T7_T9_mT8_P12ihipStream_tbDpT10_ENKUlT_T0_E_clISt17integral_constantIbLb0EES17_IbLb1EEEEDaS13_S14_EUlS13_E_NS1_11comp_targetILNS1_3genE10ELNS1_11target_archE1200ELNS1_3gpuE4ELNS1_3repE0EEENS1_30default_config_static_selectorELNS0_4arch9wavefront6targetE0EEEvT1_
                                        ; -- End function
	.set _ZN7rocprim17ROCPRIM_400000_NS6detail17trampoline_kernelINS0_14default_configENS1_25partition_config_selectorILNS1_17partition_subalgoE6EfNS0_10empty_typeEbEEZZNS1_14partition_implILS5_6ELb0ES3_mN6thrust23THRUST_200600_302600_NS6detail15normal_iteratorINSA_10device_ptrIfEEEEPS6_SG_NS0_5tupleIJSF_S6_EEENSH_IJSG_SG_EEES6_PlJNSB_9not_fun_tI7is_trueIfEEEEEE10hipError_tPvRmT3_T4_T5_T6_T7_T9_mT8_P12ihipStream_tbDpT10_ENKUlT_T0_E_clISt17integral_constantIbLb0EES17_IbLb1EEEEDaS13_S14_EUlS13_E_NS1_11comp_targetILNS1_3genE10ELNS1_11target_archE1200ELNS1_3gpuE4ELNS1_3repE0EEENS1_30default_config_static_selectorELNS0_4arch9wavefront6targetE0EEEvT1_.num_vgpr, 51
	.set _ZN7rocprim17ROCPRIM_400000_NS6detail17trampoline_kernelINS0_14default_configENS1_25partition_config_selectorILNS1_17partition_subalgoE6EfNS0_10empty_typeEbEEZZNS1_14partition_implILS5_6ELb0ES3_mN6thrust23THRUST_200600_302600_NS6detail15normal_iteratorINSA_10device_ptrIfEEEEPS6_SG_NS0_5tupleIJSF_S6_EEENSH_IJSG_SG_EEES6_PlJNSB_9not_fun_tI7is_trueIfEEEEEE10hipError_tPvRmT3_T4_T5_T6_T7_T9_mT8_P12ihipStream_tbDpT10_ENKUlT_T0_E_clISt17integral_constantIbLb0EES17_IbLb1EEEEDaS13_S14_EUlS13_E_NS1_11comp_targetILNS1_3genE10ELNS1_11target_archE1200ELNS1_3gpuE4ELNS1_3repE0EEENS1_30default_config_static_selectorELNS0_4arch9wavefront6targetE0EEEvT1_.num_agpr, 0
	.set _ZN7rocprim17ROCPRIM_400000_NS6detail17trampoline_kernelINS0_14default_configENS1_25partition_config_selectorILNS1_17partition_subalgoE6EfNS0_10empty_typeEbEEZZNS1_14partition_implILS5_6ELb0ES3_mN6thrust23THRUST_200600_302600_NS6detail15normal_iteratorINSA_10device_ptrIfEEEEPS6_SG_NS0_5tupleIJSF_S6_EEENSH_IJSG_SG_EEES6_PlJNSB_9not_fun_tI7is_trueIfEEEEEE10hipError_tPvRmT3_T4_T5_T6_T7_T9_mT8_P12ihipStream_tbDpT10_ENKUlT_T0_E_clISt17integral_constantIbLb0EES17_IbLb1EEEEDaS13_S14_EUlS13_E_NS1_11comp_targetILNS1_3genE10ELNS1_11target_archE1200ELNS1_3gpuE4ELNS1_3repE0EEENS1_30default_config_static_selectorELNS0_4arch9wavefront6targetE0EEEvT1_.numbered_sgpr, 20
	.set _ZN7rocprim17ROCPRIM_400000_NS6detail17trampoline_kernelINS0_14default_configENS1_25partition_config_selectorILNS1_17partition_subalgoE6EfNS0_10empty_typeEbEEZZNS1_14partition_implILS5_6ELb0ES3_mN6thrust23THRUST_200600_302600_NS6detail15normal_iteratorINSA_10device_ptrIfEEEEPS6_SG_NS0_5tupleIJSF_S6_EEENSH_IJSG_SG_EEES6_PlJNSB_9not_fun_tI7is_trueIfEEEEEE10hipError_tPvRmT3_T4_T5_T6_T7_T9_mT8_P12ihipStream_tbDpT10_ENKUlT_T0_E_clISt17integral_constantIbLb0EES17_IbLb1EEEEDaS13_S14_EUlS13_E_NS1_11comp_targetILNS1_3genE10ELNS1_11target_archE1200ELNS1_3gpuE4ELNS1_3repE0EEENS1_30default_config_static_selectorELNS0_4arch9wavefront6targetE0EEEvT1_.num_named_barrier, 0
	.set _ZN7rocprim17ROCPRIM_400000_NS6detail17trampoline_kernelINS0_14default_configENS1_25partition_config_selectorILNS1_17partition_subalgoE6EfNS0_10empty_typeEbEEZZNS1_14partition_implILS5_6ELb0ES3_mN6thrust23THRUST_200600_302600_NS6detail15normal_iteratorINSA_10device_ptrIfEEEEPS6_SG_NS0_5tupleIJSF_S6_EEENSH_IJSG_SG_EEES6_PlJNSB_9not_fun_tI7is_trueIfEEEEEE10hipError_tPvRmT3_T4_T5_T6_T7_T9_mT8_P12ihipStream_tbDpT10_ENKUlT_T0_E_clISt17integral_constantIbLb0EES17_IbLb1EEEEDaS13_S14_EUlS13_E_NS1_11comp_targetILNS1_3genE10ELNS1_11target_archE1200ELNS1_3gpuE4ELNS1_3repE0EEENS1_30default_config_static_selectorELNS0_4arch9wavefront6targetE0EEEvT1_.private_seg_size, 0
	.set _ZN7rocprim17ROCPRIM_400000_NS6detail17trampoline_kernelINS0_14default_configENS1_25partition_config_selectorILNS1_17partition_subalgoE6EfNS0_10empty_typeEbEEZZNS1_14partition_implILS5_6ELb0ES3_mN6thrust23THRUST_200600_302600_NS6detail15normal_iteratorINSA_10device_ptrIfEEEEPS6_SG_NS0_5tupleIJSF_S6_EEENSH_IJSG_SG_EEES6_PlJNSB_9not_fun_tI7is_trueIfEEEEEE10hipError_tPvRmT3_T4_T5_T6_T7_T9_mT8_P12ihipStream_tbDpT10_ENKUlT_T0_E_clISt17integral_constantIbLb0EES17_IbLb1EEEEDaS13_S14_EUlS13_E_NS1_11comp_targetILNS1_3genE10ELNS1_11target_archE1200ELNS1_3gpuE4ELNS1_3repE0EEENS1_30default_config_static_selectorELNS0_4arch9wavefront6targetE0EEEvT1_.uses_vcc, 1
	.set _ZN7rocprim17ROCPRIM_400000_NS6detail17trampoline_kernelINS0_14default_configENS1_25partition_config_selectorILNS1_17partition_subalgoE6EfNS0_10empty_typeEbEEZZNS1_14partition_implILS5_6ELb0ES3_mN6thrust23THRUST_200600_302600_NS6detail15normal_iteratorINSA_10device_ptrIfEEEEPS6_SG_NS0_5tupleIJSF_S6_EEENSH_IJSG_SG_EEES6_PlJNSB_9not_fun_tI7is_trueIfEEEEEE10hipError_tPvRmT3_T4_T5_T6_T7_T9_mT8_P12ihipStream_tbDpT10_ENKUlT_T0_E_clISt17integral_constantIbLb0EES17_IbLb1EEEEDaS13_S14_EUlS13_E_NS1_11comp_targetILNS1_3genE10ELNS1_11target_archE1200ELNS1_3gpuE4ELNS1_3repE0EEENS1_30default_config_static_selectorELNS0_4arch9wavefront6targetE0EEEvT1_.uses_flat_scratch, 1
	.set _ZN7rocprim17ROCPRIM_400000_NS6detail17trampoline_kernelINS0_14default_configENS1_25partition_config_selectorILNS1_17partition_subalgoE6EfNS0_10empty_typeEbEEZZNS1_14partition_implILS5_6ELb0ES3_mN6thrust23THRUST_200600_302600_NS6detail15normal_iteratorINSA_10device_ptrIfEEEEPS6_SG_NS0_5tupleIJSF_S6_EEENSH_IJSG_SG_EEES6_PlJNSB_9not_fun_tI7is_trueIfEEEEEE10hipError_tPvRmT3_T4_T5_T6_T7_T9_mT8_P12ihipStream_tbDpT10_ENKUlT_T0_E_clISt17integral_constantIbLb0EES17_IbLb1EEEEDaS13_S14_EUlS13_E_NS1_11comp_targetILNS1_3genE10ELNS1_11target_archE1200ELNS1_3gpuE4ELNS1_3repE0EEENS1_30default_config_static_selectorELNS0_4arch9wavefront6targetE0EEEvT1_.has_dyn_sized_stack, 0
	.set _ZN7rocprim17ROCPRIM_400000_NS6detail17trampoline_kernelINS0_14default_configENS1_25partition_config_selectorILNS1_17partition_subalgoE6EfNS0_10empty_typeEbEEZZNS1_14partition_implILS5_6ELb0ES3_mN6thrust23THRUST_200600_302600_NS6detail15normal_iteratorINSA_10device_ptrIfEEEEPS6_SG_NS0_5tupleIJSF_S6_EEENSH_IJSG_SG_EEES6_PlJNSB_9not_fun_tI7is_trueIfEEEEEE10hipError_tPvRmT3_T4_T5_T6_T7_T9_mT8_P12ihipStream_tbDpT10_ENKUlT_T0_E_clISt17integral_constantIbLb0EES17_IbLb1EEEEDaS13_S14_EUlS13_E_NS1_11comp_targetILNS1_3genE10ELNS1_11target_archE1200ELNS1_3gpuE4ELNS1_3repE0EEENS1_30default_config_static_selectorELNS0_4arch9wavefront6targetE0EEEvT1_.has_recursion, 0
	.set _ZN7rocprim17ROCPRIM_400000_NS6detail17trampoline_kernelINS0_14default_configENS1_25partition_config_selectorILNS1_17partition_subalgoE6EfNS0_10empty_typeEbEEZZNS1_14partition_implILS5_6ELb0ES3_mN6thrust23THRUST_200600_302600_NS6detail15normal_iteratorINSA_10device_ptrIfEEEEPS6_SG_NS0_5tupleIJSF_S6_EEENSH_IJSG_SG_EEES6_PlJNSB_9not_fun_tI7is_trueIfEEEEEE10hipError_tPvRmT3_T4_T5_T6_T7_T9_mT8_P12ihipStream_tbDpT10_ENKUlT_T0_E_clISt17integral_constantIbLb0EES17_IbLb1EEEEDaS13_S14_EUlS13_E_NS1_11comp_targetILNS1_3genE10ELNS1_11target_archE1200ELNS1_3gpuE4ELNS1_3repE0EEENS1_30default_config_static_selectorELNS0_4arch9wavefront6targetE0EEEvT1_.has_indirect_call, 0
	.section	.AMDGPU.csdata,"",@progbits
; Kernel info:
; codeLenInByte = 7620
; TotalNumSgprs: 22
; NumVgprs: 51
; ScratchSize: 0
; MemoryBound: 0
; FloatMode: 240
; IeeeMode: 1
; LDSByteSize: 10768 bytes/workgroup (compile time only)
; SGPRBlocks: 0
; VGPRBlocks: 6
; NumSGPRsForWavesPerEU: 22
; NumVGPRsForWavesPerEU: 51
; Occupancy: 15
; WaveLimiterHint : 1
; COMPUTE_PGM_RSRC2:SCRATCH_EN: 0
; COMPUTE_PGM_RSRC2:USER_SGPR: 2
; COMPUTE_PGM_RSRC2:TRAP_HANDLER: 0
; COMPUTE_PGM_RSRC2:TGID_X_EN: 1
; COMPUTE_PGM_RSRC2:TGID_Y_EN: 0
; COMPUTE_PGM_RSRC2:TGID_Z_EN: 0
; COMPUTE_PGM_RSRC2:TIDIG_COMP_CNT: 0
	.section	.text._ZN7rocprim17ROCPRIM_400000_NS6detail17trampoline_kernelINS0_14default_configENS1_25partition_config_selectorILNS1_17partition_subalgoE6EfNS0_10empty_typeEbEEZZNS1_14partition_implILS5_6ELb0ES3_mN6thrust23THRUST_200600_302600_NS6detail15normal_iteratorINSA_10device_ptrIfEEEEPS6_SG_NS0_5tupleIJSF_S6_EEENSH_IJSG_SG_EEES6_PlJNSB_9not_fun_tI7is_trueIfEEEEEE10hipError_tPvRmT3_T4_T5_T6_T7_T9_mT8_P12ihipStream_tbDpT10_ENKUlT_T0_E_clISt17integral_constantIbLb0EES17_IbLb1EEEEDaS13_S14_EUlS13_E_NS1_11comp_targetILNS1_3genE9ELNS1_11target_archE1100ELNS1_3gpuE3ELNS1_3repE0EEENS1_30default_config_static_selectorELNS0_4arch9wavefront6targetE0EEEvT1_,"axG",@progbits,_ZN7rocprim17ROCPRIM_400000_NS6detail17trampoline_kernelINS0_14default_configENS1_25partition_config_selectorILNS1_17partition_subalgoE6EfNS0_10empty_typeEbEEZZNS1_14partition_implILS5_6ELb0ES3_mN6thrust23THRUST_200600_302600_NS6detail15normal_iteratorINSA_10device_ptrIfEEEEPS6_SG_NS0_5tupleIJSF_S6_EEENSH_IJSG_SG_EEES6_PlJNSB_9not_fun_tI7is_trueIfEEEEEE10hipError_tPvRmT3_T4_T5_T6_T7_T9_mT8_P12ihipStream_tbDpT10_ENKUlT_T0_E_clISt17integral_constantIbLb0EES17_IbLb1EEEEDaS13_S14_EUlS13_E_NS1_11comp_targetILNS1_3genE9ELNS1_11target_archE1100ELNS1_3gpuE3ELNS1_3repE0EEENS1_30default_config_static_selectorELNS0_4arch9wavefront6targetE0EEEvT1_,comdat
	.protected	_ZN7rocprim17ROCPRIM_400000_NS6detail17trampoline_kernelINS0_14default_configENS1_25partition_config_selectorILNS1_17partition_subalgoE6EfNS0_10empty_typeEbEEZZNS1_14partition_implILS5_6ELb0ES3_mN6thrust23THRUST_200600_302600_NS6detail15normal_iteratorINSA_10device_ptrIfEEEEPS6_SG_NS0_5tupleIJSF_S6_EEENSH_IJSG_SG_EEES6_PlJNSB_9not_fun_tI7is_trueIfEEEEEE10hipError_tPvRmT3_T4_T5_T6_T7_T9_mT8_P12ihipStream_tbDpT10_ENKUlT_T0_E_clISt17integral_constantIbLb0EES17_IbLb1EEEEDaS13_S14_EUlS13_E_NS1_11comp_targetILNS1_3genE9ELNS1_11target_archE1100ELNS1_3gpuE3ELNS1_3repE0EEENS1_30default_config_static_selectorELNS0_4arch9wavefront6targetE0EEEvT1_ ; -- Begin function _ZN7rocprim17ROCPRIM_400000_NS6detail17trampoline_kernelINS0_14default_configENS1_25partition_config_selectorILNS1_17partition_subalgoE6EfNS0_10empty_typeEbEEZZNS1_14partition_implILS5_6ELb0ES3_mN6thrust23THRUST_200600_302600_NS6detail15normal_iteratorINSA_10device_ptrIfEEEEPS6_SG_NS0_5tupleIJSF_S6_EEENSH_IJSG_SG_EEES6_PlJNSB_9not_fun_tI7is_trueIfEEEEEE10hipError_tPvRmT3_T4_T5_T6_T7_T9_mT8_P12ihipStream_tbDpT10_ENKUlT_T0_E_clISt17integral_constantIbLb0EES17_IbLb1EEEEDaS13_S14_EUlS13_E_NS1_11comp_targetILNS1_3genE9ELNS1_11target_archE1100ELNS1_3gpuE3ELNS1_3repE0EEENS1_30default_config_static_selectorELNS0_4arch9wavefront6targetE0EEEvT1_
	.globl	_ZN7rocprim17ROCPRIM_400000_NS6detail17trampoline_kernelINS0_14default_configENS1_25partition_config_selectorILNS1_17partition_subalgoE6EfNS0_10empty_typeEbEEZZNS1_14partition_implILS5_6ELb0ES3_mN6thrust23THRUST_200600_302600_NS6detail15normal_iteratorINSA_10device_ptrIfEEEEPS6_SG_NS0_5tupleIJSF_S6_EEENSH_IJSG_SG_EEES6_PlJNSB_9not_fun_tI7is_trueIfEEEEEE10hipError_tPvRmT3_T4_T5_T6_T7_T9_mT8_P12ihipStream_tbDpT10_ENKUlT_T0_E_clISt17integral_constantIbLb0EES17_IbLb1EEEEDaS13_S14_EUlS13_E_NS1_11comp_targetILNS1_3genE9ELNS1_11target_archE1100ELNS1_3gpuE3ELNS1_3repE0EEENS1_30default_config_static_selectorELNS0_4arch9wavefront6targetE0EEEvT1_
	.p2align	8
	.type	_ZN7rocprim17ROCPRIM_400000_NS6detail17trampoline_kernelINS0_14default_configENS1_25partition_config_selectorILNS1_17partition_subalgoE6EfNS0_10empty_typeEbEEZZNS1_14partition_implILS5_6ELb0ES3_mN6thrust23THRUST_200600_302600_NS6detail15normal_iteratorINSA_10device_ptrIfEEEEPS6_SG_NS0_5tupleIJSF_S6_EEENSH_IJSG_SG_EEES6_PlJNSB_9not_fun_tI7is_trueIfEEEEEE10hipError_tPvRmT3_T4_T5_T6_T7_T9_mT8_P12ihipStream_tbDpT10_ENKUlT_T0_E_clISt17integral_constantIbLb0EES17_IbLb1EEEEDaS13_S14_EUlS13_E_NS1_11comp_targetILNS1_3genE9ELNS1_11target_archE1100ELNS1_3gpuE3ELNS1_3repE0EEENS1_30default_config_static_selectorELNS0_4arch9wavefront6targetE0EEEvT1_,@function
_ZN7rocprim17ROCPRIM_400000_NS6detail17trampoline_kernelINS0_14default_configENS1_25partition_config_selectorILNS1_17partition_subalgoE6EfNS0_10empty_typeEbEEZZNS1_14partition_implILS5_6ELb0ES3_mN6thrust23THRUST_200600_302600_NS6detail15normal_iteratorINSA_10device_ptrIfEEEEPS6_SG_NS0_5tupleIJSF_S6_EEENSH_IJSG_SG_EEES6_PlJNSB_9not_fun_tI7is_trueIfEEEEEE10hipError_tPvRmT3_T4_T5_T6_T7_T9_mT8_P12ihipStream_tbDpT10_ENKUlT_T0_E_clISt17integral_constantIbLb0EES17_IbLb1EEEEDaS13_S14_EUlS13_E_NS1_11comp_targetILNS1_3genE9ELNS1_11target_archE1100ELNS1_3gpuE3ELNS1_3repE0EEENS1_30default_config_static_selectorELNS0_4arch9wavefront6targetE0EEEvT1_: ; @_ZN7rocprim17ROCPRIM_400000_NS6detail17trampoline_kernelINS0_14default_configENS1_25partition_config_selectorILNS1_17partition_subalgoE6EfNS0_10empty_typeEbEEZZNS1_14partition_implILS5_6ELb0ES3_mN6thrust23THRUST_200600_302600_NS6detail15normal_iteratorINSA_10device_ptrIfEEEEPS6_SG_NS0_5tupleIJSF_S6_EEENSH_IJSG_SG_EEES6_PlJNSB_9not_fun_tI7is_trueIfEEEEEE10hipError_tPvRmT3_T4_T5_T6_T7_T9_mT8_P12ihipStream_tbDpT10_ENKUlT_T0_E_clISt17integral_constantIbLb0EES17_IbLb1EEEEDaS13_S14_EUlS13_E_NS1_11comp_targetILNS1_3genE9ELNS1_11target_archE1100ELNS1_3gpuE3ELNS1_3repE0EEENS1_30default_config_static_selectorELNS0_4arch9wavefront6targetE0EEEvT1_
; %bb.0:
	.section	.rodata,"a",@progbits
	.p2align	6, 0x0
	.amdhsa_kernel _ZN7rocprim17ROCPRIM_400000_NS6detail17trampoline_kernelINS0_14default_configENS1_25partition_config_selectorILNS1_17partition_subalgoE6EfNS0_10empty_typeEbEEZZNS1_14partition_implILS5_6ELb0ES3_mN6thrust23THRUST_200600_302600_NS6detail15normal_iteratorINSA_10device_ptrIfEEEEPS6_SG_NS0_5tupleIJSF_S6_EEENSH_IJSG_SG_EEES6_PlJNSB_9not_fun_tI7is_trueIfEEEEEE10hipError_tPvRmT3_T4_T5_T6_T7_T9_mT8_P12ihipStream_tbDpT10_ENKUlT_T0_E_clISt17integral_constantIbLb0EES17_IbLb1EEEEDaS13_S14_EUlS13_E_NS1_11comp_targetILNS1_3genE9ELNS1_11target_archE1100ELNS1_3gpuE3ELNS1_3repE0EEENS1_30default_config_static_selectorELNS0_4arch9wavefront6targetE0EEEvT1_
		.amdhsa_group_segment_fixed_size 0
		.amdhsa_private_segment_fixed_size 0
		.amdhsa_kernarg_size 128
		.amdhsa_user_sgpr_count 2
		.amdhsa_user_sgpr_dispatch_ptr 0
		.amdhsa_user_sgpr_queue_ptr 0
		.amdhsa_user_sgpr_kernarg_segment_ptr 1
		.amdhsa_user_sgpr_dispatch_id 0
		.amdhsa_user_sgpr_private_segment_size 0
		.amdhsa_wavefront_size32 1
		.amdhsa_uses_dynamic_stack 0
		.amdhsa_enable_private_segment 0
		.amdhsa_system_sgpr_workgroup_id_x 1
		.amdhsa_system_sgpr_workgroup_id_y 0
		.amdhsa_system_sgpr_workgroup_id_z 0
		.amdhsa_system_sgpr_workgroup_info 0
		.amdhsa_system_vgpr_workitem_id 0
		.amdhsa_next_free_vgpr 1
		.amdhsa_next_free_sgpr 1
		.amdhsa_reserve_vcc 0
		.amdhsa_float_round_mode_32 0
		.amdhsa_float_round_mode_16_64 0
		.amdhsa_float_denorm_mode_32 3
		.amdhsa_float_denorm_mode_16_64 3
		.amdhsa_fp16_overflow 0
		.amdhsa_workgroup_processor_mode 1
		.amdhsa_memory_ordered 1
		.amdhsa_forward_progress 1
		.amdhsa_inst_pref_size 0
		.amdhsa_round_robin_scheduling 0
		.amdhsa_exception_fp_ieee_invalid_op 0
		.amdhsa_exception_fp_denorm_src 0
		.amdhsa_exception_fp_ieee_div_zero 0
		.amdhsa_exception_fp_ieee_overflow 0
		.amdhsa_exception_fp_ieee_underflow 0
		.amdhsa_exception_fp_ieee_inexact 0
		.amdhsa_exception_int_div_zero 0
	.end_amdhsa_kernel
	.section	.text._ZN7rocprim17ROCPRIM_400000_NS6detail17trampoline_kernelINS0_14default_configENS1_25partition_config_selectorILNS1_17partition_subalgoE6EfNS0_10empty_typeEbEEZZNS1_14partition_implILS5_6ELb0ES3_mN6thrust23THRUST_200600_302600_NS6detail15normal_iteratorINSA_10device_ptrIfEEEEPS6_SG_NS0_5tupleIJSF_S6_EEENSH_IJSG_SG_EEES6_PlJNSB_9not_fun_tI7is_trueIfEEEEEE10hipError_tPvRmT3_T4_T5_T6_T7_T9_mT8_P12ihipStream_tbDpT10_ENKUlT_T0_E_clISt17integral_constantIbLb0EES17_IbLb1EEEEDaS13_S14_EUlS13_E_NS1_11comp_targetILNS1_3genE9ELNS1_11target_archE1100ELNS1_3gpuE3ELNS1_3repE0EEENS1_30default_config_static_selectorELNS0_4arch9wavefront6targetE0EEEvT1_,"axG",@progbits,_ZN7rocprim17ROCPRIM_400000_NS6detail17trampoline_kernelINS0_14default_configENS1_25partition_config_selectorILNS1_17partition_subalgoE6EfNS0_10empty_typeEbEEZZNS1_14partition_implILS5_6ELb0ES3_mN6thrust23THRUST_200600_302600_NS6detail15normal_iteratorINSA_10device_ptrIfEEEEPS6_SG_NS0_5tupleIJSF_S6_EEENSH_IJSG_SG_EEES6_PlJNSB_9not_fun_tI7is_trueIfEEEEEE10hipError_tPvRmT3_T4_T5_T6_T7_T9_mT8_P12ihipStream_tbDpT10_ENKUlT_T0_E_clISt17integral_constantIbLb0EES17_IbLb1EEEEDaS13_S14_EUlS13_E_NS1_11comp_targetILNS1_3genE9ELNS1_11target_archE1100ELNS1_3gpuE3ELNS1_3repE0EEENS1_30default_config_static_selectorELNS0_4arch9wavefront6targetE0EEEvT1_,comdat
.Lfunc_end1107:
	.size	_ZN7rocprim17ROCPRIM_400000_NS6detail17trampoline_kernelINS0_14default_configENS1_25partition_config_selectorILNS1_17partition_subalgoE6EfNS0_10empty_typeEbEEZZNS1_14partition_implILS5_6ELb0ES3_mN6thrust23THRUST_200600_302600_NS6detail15normal_iteratorINSA_10device_ptrIfEEEEPS6_SG_NS0_5tupleIJSF_S6_EEENSH_IJSG_SG_EEES6_PlJNSB_9not_fun_tI7is_trueIfEEEEEE10hipError_tPvRmT3_T4_T5_T6_T7_T9_mT8_P12ihipStream_tbDpT10_ENKUlT_T0_E_clISt17integral_constantIbLb0EES17_IbLb1EEEEDaS13_S14_EUlS13_E_NS1_11comp_targetILNS1_3genE9ELNS1_11target_archE1100ELNS1_3gpuE3ELNS1_3repE0EEENS1_30default_config_static_selectorELNS0_4arch9wavefront6targetE0EEEvT1_, .Lfunc_end1107-_ZN7rocprim17ROCPRIM_400000_NS6detail17trampoline_kernelINS0_14default_configENS1_25partition_config_selectorILNS1_17partition_subalgoE6EfNS0_10empty_typeEbEEZZNS1_14partition_implILS5_6ELb0ES3_mN6thrust23THRUST_200600_302600_NS6detail15normal_iteratorINSA_10device_ptrIfEEEEPS6_SG_NS0_5tupleIJSF_S6_EEENSH_IJSG_SG_EEES6_PlJNSB_9not_fun_tI7is_trueIfEEEEEE10hipError_tPvRmT3_T4_T5_T6_T7_T9_mT8_P12ihipStream_tbDpT10_ENKUlT_T0_E_clISt17integral_constantIbLb0EES17_IbLb1EEEEDaS13_S14_EUlS13_E_NS1_11comp_targetILNS1_3genE9ELNS1_11target_archE1100ELNS1_3gpuE3ELNS1_3repE0EEENS1_30default_config_static_selectorELNS0_4arch9wavefront6targetE0EEEvT1_
                                        ; -- End function
	.set _ZN7rocprim17ROCPRIM_400000_NS6detail17trampoline_kernelINS0_14default_configENS1_25partition_config_selectorILNS1_17partition_subalgoE6EfNS0_10empty_typeEbEEZZNS1_14partition_implILS5_6ELb0ES3_mN6thrust23THRUST_200600_302600_NS6detail15normal_iteratorINSA_10device_ptrIfEEEEPS6_SG_NS0_5tupleIJSF_S6_EEENSH_IJSG_SG_EEES6_PlJNSB_9not_fun_tI7is_trueIfEEEEEE10hipError_tPvRmT3_T4_T5_T6_T7_T9_mT8_P12ihipStream_tbDpT10_ENKUlT_T0_E_clISt17integral_constantIbLb0EES17_IbLb1EEEEDaS13_S14_EUlS13_E_NS1_11comp_targetILNS1_3genE9ELNS1_11target_archE1100ELNS1_3gpuE3ELNS1_3repE0EEENS1_30default_config_static_selectorELNS0_4arch9wavefront6targetE0EEEvT1_.num_vgpr, 0
	.set _ZN7rocprim17ROCPRIM_400000_NS6detail17trampoline_kernelINS0_14default_configENS1_25partition_config_selectorILNS1_17partition_subalgoE6EfNS0_10empty_typeEbEEZZNS1_14partition_implILS5_6ELb0ES3_mN6thrust23THRUST_200600_302600_NS6detail15normal_iteratorINSA_10device_ptrIfEEEEPS6_SG_NS0_5tupleIJSF_S6_EEENSH_IJSG_SG_EEES6_PlJNSB_9not_fun_tI7is_trueIfEEEEEE10hipError_tPvRmT3_T4_T5_T6_T7_T9_mT8_P12ihipStream_tbDpT10_ENKUlT_T0_E_clISt17integral_constantIbLb0EES17_IbLb1EEEEDaS13_S14_EUlS13_E_NS1_11comp_targetILNS1_3genE9ELNS1_11target_archE1100ELNS1_3gpuE3ELNS1_3repE0EEENS1_30default_config_static_selectorELNS0_4arch9wavefront6targetE0EEEvT1_.num_agpr, 0
	.set _ZN7rocprim17ROCPRIM_400000_NS6detail17trampoline_kernelINS0_14default_configENS1_25partition_config_selectorILNS1_17partition_subalgoE6EfNS0_10empty_typeEbEEZZNS1_14partition_implILS5_6ELb0ES3_mN6thrust23THRUST_200600_302600_NS6detail15normal_iteratorINSA_10device_ptrIfEEEEPS6_SG_NS0_5tupleIJSF_S6_EEENSH_IJSG_SG_EEES6_PlJNSB_9not_fun_tI7is_trueIfEEEEEE10hipError_tPvRmT3_T4_T5_T6_T7_T9_mT8_P12ihipStream_tbDpT10_ENKUlT_T0_E_clISt17integral_constantIbLb0EES17_IbLb1EEEEDaS13_S14_EUlS13_E_NS1_11comp_targetILNS1_3genE9ELNS1_11target_archE1100ELNS1_3gpuE3ELNS1_3repE0EEENS1_30default_config_static_selectorELNS0_4arch9wavefront6targetE0EEEvT1_.numbered_sgpr, 0
	.set _ZN7rocprim17ROCPRIM_400000_NS6detail17trampoline_kernelINS0_14default_configENS1_25partition_config_selectorILNS1_17partition_subalgoE6EfNS0_10empty_typeEbEEZZNS1_14partition_implILS5_6ELb0ES3_mN6thrust23THRUST_200600_302600_NS6detail15normal_iteratorINSA_10device_ptrIfEEEEPS6_SG_NS0_5tupleIJSF_S6_EEENSH_IJSG_SG_EEES6_PlJNSB_9not_fun_tI7is_trueIfEEEEEE10hipError_tPvRmT3_T4_T5_T6_T7_T9_mT8_P12ihipStream_tbDpT10_ENKUlT_T0_E_clISt17integral_constantIbLb0EES17_IbLb1EEEEDaS13_S14_EUlS13_E_NS1_11comp_targetILNS1_3genE9ELNS1_11target_archE1100ELNS1_3gpuE3ELNS1_3repE0EEENS1_30default_config_static_selectorELNS0_4arch9wavefront6targetE0EEEvT1_.num_named_barrier, 0
	.set _ZN7rocprim17ROCPRIM_400000_NS6detail17trampoline_kernelINS0_14default_configENS1_25partition_config_selectorILNS1_17partition_subalgoE6EfNS0_10empty_typeEbEEZZNS1_14partition_implILS5_6ELb0ES3_mN6thrust23THRUST_200600_302600_NS6detail15normal_iteratorINSA_10device_ptrIfEEEEPS6_SG_NS0_5tupleIJSF_S6_EEENSH_IJSG_SG_EEES6_PlJNSB_9not_fun_tI7is_trueIfEEEEEE10hipError_tPvRmT3_T4_T5_T6_T7_T9_mT8_P12ihipStream_tbDpT10_ENKUlT_T0_E_clISt17integral_constantIbLb0EES17_IbLb1EEEEDaS13_S14_EUlS13_E_NS1_11comp_targetILNS1_3genE9ELNS1_11target_archE1100ELNS1_3gpuE3ELNS1_3repE0EEENS1_30default_config_static_selectorELNS0_4arch9wavefront6targetE0EEEvT1_.private_seg_size, 0
	.set _ZN7rocprim17ROCPRIM_400000_NS6detail17trampoline_kernelINS0_14default_configENS1_25partition_config_selectorILNS1_17partition_subalgoE6EfNS0_10empty_typeEbEEZZNS1_14partition_implILS5_6ELb0ES3_mN6thrust23THRUST_200600_302600_NS6detail15normal_iteratorINSA_10device_ptrIfEEEEPS6_SG_NS0_5tupleIJSF_S6_EEENSH_IJSG_SG_EEES6_PlJNSB_9not_fun_tI7is_trueIfEEEEEE10hipError_tPvRmT3_T4_T5_T6_T7_T9_mT8_P12ihipStream_tbDpT10_ENKUlT_T0_E_clISt17integral_constantIbLb0EES17_IbLb1EEEEDaS13_S14_EUlS13_E_NS1_11comp_targetILNS1_3genE9ELNS1_11target_archE1100ELNS1_3gpuE3ELNS1_3repE0EEENS1_30default_config_static_selectorELNS0_4arch9wavefront6targetE0EEEvT1_.uses_vcc, 0
	.set _ZN7rocprim17ROCPRIM_400000_NS6detail17trampoline_kernelINS0_14default_configENS1_25partition_config_selectorILNS1_17partition_subalgoE6EfNS0_10empty_typeEbEEZZNS1_14partition_implILS5_6ELb0ES3_mN6thrust23THRUST_200600_302600_NS6detail15normal_iteratorINSA_10device_ptrIfEEEEPS6_SG_NS0_5tupleIJSF_S6_EEENSH_IJSG_SG_EEES6_PlJNSB_9not_fun_tI7is_trueIfEEEEEE10hipError_tPvRmT3_T4_T5_T6_T7_T9_mT8_P12ihipStream_tbDpT10_ENKUlT_T0_E_clISt17integral_constantIbLb0EES17_IbLb1EEEEDaS13_S14_EUlS13_E_NS1_11comp_targetILNS1_3genE9ELNS1_11target_archE1100ELNS1_3gpuE3ELNS1_3repE0EEENS1_30default_config_static_selectorELNS0_4arch9wavefront6targetE0EEEvT1_.uses_flat_scratch, 0
	.set _ZN7rocprim17ROCPRIM_400000_NS6detail17trampoline_kernelINS0_14default_configENS1_25partition_config_selectorILNS1_17partition_subalgoE6EfNS0_10empty_typeEbEEZZNS1_14partition_implILS5_6ELb0ES3_mN6thrust23THRUST_200600_302600_NS6detail15normal_iteratorINSA_10device_ptrIfEEEEPS6_SG_NS0_5tupleIJSF_S6_EEENSH_IJSG_SG_EEES6_PlJNSB_9not_fun_tI7is_trueIfEEEEEE10hipError_tPvRmT3_T4_T5_T6_T7_T9_mT8_P12ihipStream_tbDpT10_ENKUlT_T0_E_clISt17integral_constantIbLb0EES17_IbLb1EEEEDaS13_S14_EUlS13_E_NS1_11comp_targetILNS1_3genE9ELNS1_11target_archE1100ELNS1_3gpuE3ELNS1_3repE0EEENS1_30default_config_static_selectorELNS0_4arch9wavefront6targetE0EEEvT1_.has_dyn_sized_stack, 0
	.set _ZN7rocprim17ROCPRIM_400000_NS6detail17trampoline_kernelINS0_14default_configENS1_25partition_config_selectorILNS1_17partition_subalgoE6EfNS0_10empty_typeEbEEZZNS1_14partition_implILS5_6ELb0ES3_mN6thrust23THRUST_200600_302600_NS6detail15normal_iteratorINSA_10device_ptrIfEEEEPS6_SG_NS0_5tupleIJSF_S6_EEENSH_IJSG_SG_EEES6_PlJNSB_9not_fun_tI7is_trueIfEEEEEE10hipError_tPvRmT3_T4_T5_T6_T7_T9_mT8_P12ihipStream_tbDpT10_ENKUlT_T0_E_clISt17integral_constantIbLb0EES17_IbLb1EEEEDaS13_S14_EUlS13_E_NS1_11comp_targetILNS1_3genE9ELNS1_11target_archE1100ELNS1_3gpuE3ELNS1_3repE0EEENS1_30default_config_static_selectorELNS0_4arch9wavefront6targetE0EEEvT1_.has_recursion, 0
	.set _ZN7rocprim17ROCPRIM_400000_NS6detail17trampoline_kernelINS0_14default_configENS1_25partition_config_selectorILNS1_17partition_subalgoE6EfNS0_10empty_typeEbEEZZNS1_14partition_implILS5_6ELb0ES3_mN6thrust23THRUST_200600_302600_NS6detail15normal_iteratorINSA_10device_ptrIfEEEEPS6_SG_NS0_5tupleIJSF_S6_EEENSH_IJSG_SG_EEES6_PlJNSB_9not_fun_tI7is_trueIfEEEEEE10hipError_tPvRmT3_T4_T5_T6_T7_T9_mT8_P12ihipStream_tbDpT10_ENKUlT_T0_E_clISt17integral_constantIbLb0EES17_IbLb1EEEEDaS13_S14_EUlS13_E_NS1_11comp_targetILNS1_3genE9ELNS1_11target_archE1100ELNS1_3gpuE3ELNS1_3repE0EEENS1_30default_config_static_selectorELNS0_4arch9wavefront6targetE0EEEvT1_.has_indirect_call, 0
	.section	.AMDGPU.csdata,"",@progbits
; Kernel info:
; codeLenInByte = 0
; TotalNumSgprs: 0
; NumVgprs: 0
; ScratchSize: 0
; MemoryBound: 0
; FloatMode: 240
; IeeeMode: 1
; LDSByteSize: 0 bytes/workgroup (compile time only)
; SGPRBlocks: 0
; VGPRBlocks: 0
; NumSGPRsForWavesPerEU: 1
; NumVGPRsForWavesPerEU: 1
; Occupancy: 16
; WaveLimiterHint : 0
; COMPUTE_PGM_RSRC2:SCRATCH_EN: 0
; COMPUTE_PGM_RSRC2:USER_SGPR: 2
; COMPUTE_PGM_RSRC2:TRAP_HANDLER: 0
; COMPUTE_PGM_RSRC2:TGID_X_EN: 1
; COMPUTE_PGM_RSRC2:TGID_Y_EN: 0
; COMPUTE_PGM_RSRC2:TGID_Z_EN: 0
; COMPUTE_PGM_RSRC2:TIDIG_COMP_CNT: 0
	.section	.text._ZN7rocprim17ROCPRIM_400000_NS6detail17trampoline_kernelINS0_14default_configENS1_25partition_config_selectorILNS1_17partition_subalgoE6EfNS0_10empty_typeEbEEZZNS1_14partition_implILS5_6ELb0ES3_mN6thrust23THRUST_200600_302600_NS6detail15normal_iteratorINSA_10device_ptrIfEEEEPS6_SG_NS0_5tupleIJSF_S6_EEENSH_IJSG_SG_EEES6_PlJNSB_9not_fun_tI7is_trueIfEEEEEE10hipError_tPvRmT3_T4_T5_T6_T7_T9_mT8_P12ihipStream_tbDpT10_ENKUlT_T0_E_clISt17integral_constantIbLb0EES17_IbLb1EEEEDaS13_S14_EUlS13_E_NS1_11comp_targetILNS1_3genE8ELNS1_11target_archE1030ELNS1_3gpuE2ELNS1_3repE0EEENS1_30default_config_static_selectorELNS0_4arch9wavefront6targetE0EEEvT1_,"axG",@progbits,_ZN7rocprim17ROCPRIM_400000_NS6detail17trampoline_kernelINS0_14default_configENS1_25partition_config_selectorILNS1_17partition_subalgoE6EfNS0_10empty_typeEbEEZZNS1_14partition_implILS5_6ELb0ES3_mN6thrust23THRUST_200600_302600_NS6detail15normal_iteratorINSA_10device_ptrIfEEEEPS6_SG_NS0_5tupleIJSF_S6_EEENSH_IJSG_SG_EEES6_PlJNSB_9not_fun_tI7is_trueIfEEEEEE10hipError_tPvRmT3_T4_T5_T6_T7_T9_mT8_P12ihipStream_tbDpT10_ENKUlT_T0_E_clISt17integral_constantIbLb0EES17_IbLb1EEEEDaS13_S14_EUlS13_E_NS1_11comp_targetILNS1_3genE8ELNS1_11target_archE1030ELNS1_3gpuE2ELNS1_3repE0EEENS1_30default_config_static_selectorELNS0_4arch9wavefront6targetE0EEEvT1_,comdat
	.protected	_ZN7rocprim17ROCPRIM_400000_NS6detail17trampoline_kernelINS0_14default_configENS1_25partition_config_selectorILNS1_17partition_subalgoE6EfNS0_10empty_typeEbEEZZNS1_14partition_implILS5_6ELb0ES3_mN6thrust23THRUST_200600_302600_NS6detail15normal_iteratorINSA_10device_ptrIfEEEEPS6_SG_NS0_5tupleIJSF_S6_EEENSH_IJSG_SG_EEES6_PlJNSB_9not_fun_tI7is_trueIfEEEEEE10hipError_tPvRmT3_T4_T5_T6_T7_T9_mT8_P12ihipStream_tbDpT10_ENKUlT_T0_E_clISt17integral_constantIbLb0EES17_IbLb1EEEEDaS13_S14_EUlS13_E_NS1_11comp_targetILNS1_3genE8ELNS1_11target_archE1030ELNS1_3gpuE2ELNS1_3repE0EEENS1_30default_config_static_selectorELNS0_4arch9wavefront6targetE0EEEvT1_ ; -- Begin function _ZN7rocprim17ROCPRIM_400000_NS6detail17trampoline_kernelINS0_14default_configENS1_25partition_config_selectorILNS1_17partition_subalgoE6EfNS0_10empty_typeEbEEZZNS1_14partition_implILS5_6ELb0ES3_mN6thrust23THRUST_200600_302600_NS6detail15normal_iteratorINSA_10device_ptrIfEEEEPS6_SG_NS0_5tupleIJSF_S6_EEENSH_IJSG_SG_EEES6_PlJNSB_9not_fun_tI7is_trueIfEEEEEE10hipError_tPvRmT3_T4_T5_T6_T7_T9_mT8_P12ihipStream_tbDpT10_ENKUlT_T0_E_clISt17integral_constantIbLb0EES17_IbLb1EEEEDaS13_S14_EUlS13_E_NS1_11comp_targetILNS1_3genE8ELNS1_11target_archE1030ELNS1_3gpuE2ELNS1_3repE0EEENS1_30default_config_static_selectorELNS0_4arch9wavefront6targetE0EEEvT1_
	.globl	_ZN7rocprim17ROCPRIM_400000_NS6detail17trampoline_kernelINS0_14default_configENS1_25partition_config_selectorILNS1_17partition_subalgoE6EfNS0_10empty_typeEbEEZZNS1_14partition_implILS5_6ELb0ES3_mN6thrust23THRUST_200600_302600_NS6detail15normal_iteratorINSA_10device_ptrIfEEEEPS6_SG_NS0_5tupleIJSF_S6_EEENSH_IJSG_SG_EEES6_PlJNSB_9not_fun_tI7is_trueIfEEEEEE10hipError_tPvRmT3_T4_T5_T6_T7_T9_mT8_P12ihipStream_tbDpT10_ENKUlT_T0_E_clISt17integral_constantIbLb0EES17_IbLb1EEEEDaS13_S14_EUlS13_E_NS1_11comp_targetILNS1_3genE8ELNS1_11target_archE1030ELNS1_3gpuE2ELNS1_3repE0EEENS1_30default_config_static_selectorELNS0_4arch9wavefront6targetE0EEEvT1_
	.p2align	8
	.type	_ZN7rocprim17ROCPRIM_400000_NS6detail17trampoline_kernelINS0_14default_configENS1_25partition_config_selectorILNS1_17partition_subalgoE6EfNS0_10empty_typeEbEEZZNS1_14partition_implILS5_6ELb0ES3_mN6thrust23THRUST_200600_302600_NS6detail15normal_iteratorINSA_10device_ptrIfEEEEPS6_SG_NS0_5tupleIJSF_S6_EEENSH_IJSG_SG_EEES6_PlJNSB_9not_fun_tI7is_trueIfEEEEEE10hipError_tPvRmT3_T4_T5_T6_T7_T9_mT8_P12ihipStream_tbDpT10_ENKUlT_T0_E_clISt17integral_constantIbLb0EES17_IbLb1EEEEDaS13_S14_EUlS13_E_NS1_11comp_targetILNS1_3genE8ELNS1_11target_archE1030ELNS1_3gpuE2ELNS1_3repE0EEENS1_30default_config_static_selectorELNS0_4arch9wavefront6targetE0EEEvT1_,@function
_ZN7rocprim17ROCPRIM_400000_NS6detail17trampoline_kernelINS0_14default_configENS1_25partition_config_selectorILNS1_17partition_subalgoE6EfNS0_10empty_typeEbEEZZNS1_14partition_implILS5_6ELb0ES3_mN6thrust23THRUST_200600_302600_NS6detail15normal_iteratorINSA_10device_ptrIfEEEEPS6_SG_NS0_5tupleIJSF_S6_EEENSH_IJSG_SG_EEES6_PlJNSB_9not_fun_tI7is_trueIfEEEEEE10hipError_tPvRmT3_T4_T5_T6_T7_T9_mT8_P12ihipStream_tbDpT10_ENKUlT_T0_E_clISt17integral_constantIbLb0EES17_IbLb1EEEEDaS13_S14_EUlS13_E_NS1_11comp_targetILNS1_3genE8ELNS1_11target_archE1030ELNS1_3gpuE2ELNS1_3repE0EEENS1_30default_config_static_selectorELNS0_4arch9wavefront6targetE0EEEvT1_: ; @_ZN7rocprim17ROCPRIM_400000_NS6detail17trampoline_kernelINS0_14default_configENS1_25partition_config_selectorILNS1_17partition_subalgoE6EfNS0_10empty_typeEbEEZZNS1_14partition_implILS5_6ELb0ES3_mN6thrust23THRUST_200600_302600_NS6detail15normal_iteratorINSA_10device_ptrIfEEEEPS6_SG_NS0_5tupleIJSF_S6_EEENSH_IJSG_SG_EEES6_PlJNSB_9not_fun_tI7is_trueIfEEEEEE10hipError_tPvRmT3_T4_T5_T6_T7_T9_mT8_P12ihipStream_tbDpT10_ENKUlT_T0_E_clISt17integral_constantIbLb0EES17_IbLb1EEEEDaS13_S14_EUlS13_E_NS1_11comp_targetILNS1_3genE8ELNS1_11target_archE1030ELNS1_3gpuE2ELNS1_3repE0EEENS1_30default_config_static_selectorELNS0_4arch9wavefront6targetE0EEEvT1_
; %bb.0:
	.section	.rodata,"a",@progbits
	.p2align	6, 0x0
	.amdhsa_kernel _ZN7rocprim17ROCPRIM_400000_NS6detail17trampoline_kernelINS0_14default_configENS1_25partition_config_selectorILNS1_17partition_subalgoE6EfNS0_10empty_typeEbEEZZNS1_14partition_implILS5_6ELb0ES3_mN6thrust23THRUST_200600_302600_NS6detail15normal_iteratorINSA_10device_ptrIfEEEEPS6_SG_NS0_5tupleIJSF_S6_EEENSH_IJSG_SG_EEES6_PlJNSB_9not_fun_tI7is_trueIfEEEEEE10hipError_tPvRmT3_T4_T5_T6_T7_T9_mT8_P12ihipStream_tbDpT10_ENKUlT_T0_E_clISt17integral_constantIbLb0EES17_IbLb1EEEEDaS13_S14_EUlS13_E_NS1_11comp_targetILNS1_3genE8ELNS1_11target_archE1030ELNS1_3gpuE2ELNS1_3repE0EEENS1_30default_config_static_selectorELNS0_4arch9wavefront6targetE0EEEvT1_
		.amdhsa_group_segment_fixed_size 0
		.amdhsa_private_segment_fixed_size 0
		.amdhsa_kernarg_size 128
		.amdhsa_user_sgpr_count 2
		.amdhsa_user_sgpr_dispatch_ptr 0
		.amdhsa_user_sgpr_queue_ptr 0
		.amdhsa_user_sgpr_kernarg_segment_ptr 1
		.amdhsa_user_sgpr_dispatch_id 0
		.amdhsa_user_sgpr_private_segment_size 0
		.amdhsa_wavefront_size32 1
		.amdhsa_uses_dynamic_stack 0
		.amdhsa_enable_private_segment 0
		.amdhsa_system_sgpr_workgroup_id_x 1
		.amdhsa_system_sgpr_workgroup_id_y 0
		.amdhsa_system_sgpr_workgroup_id_z 0
		.amdhsa_system_sgpr_workgroup_info 0
		.amdhsa_system_vgpr_workitem_id 0
		.amdhsa_next_free_vgpr 1
		.amdhsa_next_free_sgpr 1
		.amdhsa_reserve_vcc 0
		.amdhsa_float_round_mode_32 0
		.amdhsa_float_round_mode_16_64 0
		.amdhsa_float_denorm_mode_32 3
		.amdhsa_float_denorm_mode_16_64 3
		.amdhsa_fp16_overflow 0
		.amdhsa_workgroup_processor_mode 1
		.amdhsa_memory_ordered 1
		.amdhsa_forward_progress 1
		.amdhsa_inst_pref_size 0
		.amdhsa_round_robin_scheduling 0
		.amdhsa_exception_fp_ieee_invalid_op 0
		.amdhsa_exception_fp_denorm_src 0
		.amdhsa_exception_fp_ieee_div_zero 0
		.amdhsa_exception_fp_ieee_overflow 0
		.amdhsa_exception_fp_ieee_underflow 0
		.amdhsa_exception_fp_ieee_inexact 0
		.amdhsa_exception_int_div_zero 0
	.end_amdhsa_kernel
	.section	.text._ZN7rocprim17ROCPRIM_400000_NS6detail17trampoline_kernelINS0_14default_configENS1_25partition_config_selectorILNS1_17partition_subalgoE6EfNS0_10empty_typeEbEEZZNS1_14partition_implILS5_6ELb0ES3_mN6thrust23THRUST_200600_302600_NS6detail15normal_iteratorINSA_10device_ptrIfEEEEPS6_SG_NS0_5tupleIJSF_S6_EEENSH_IJSG_SG_EEES6_PlJNSB_9not_fun_tI7is_trueIfEEEEEE10hipError_tPvRmT3_T4_T5_T6_T7_T9_mT8_P12ihipStream_tbDpT10_ENKUlT_T0_E_clISt17integral_constantIbLb0EES17_IbLb1EEEEDaS13_S14_EUlS13_E_NS1_11comp_targetILNS1_3genE8ELNS1_11target_archE1030ELNS1_3gpuE2ELNS1_3repE0EEENS1_30default_config_static_selectorELNS0_4arch9wavefront6targetE0EEEvT1_,"axG",@progbits,_ZN7rocprim17ROCPRIM_400000_NS6detail17trampoline_kernelINS0_14default_configENS1_25partition_config_selectorILNS1_17partition_subalgoE6EfNS0_10empty_typeEbEEZZNS1_14partition_implILS5_6ELb0ES3_mN6thrust23THRUST_200600_302600_NS6detail15normal_iteratorINSA_10device_ptrIfEEEEPS6_SG_NS0_5tupleIJSF_S6_EEENSH_IJSG_SG_EEES6_PlJNSB_9not_fun_tI7is_trueIfEEEEEE10hipError_tPvRmT3_T4_T5_T6_T7_T9_mT8_P12ihipStream_tbDpT10_ENKUlT_T0_E_clISt17integral_constantIbLb0EES17_IbLb1EEEEDaS13_S14_EUlS13_E_NS1_11comp_targetILNS1_3genE8ELNS1_11target_archE1030ELNS1_3gpuE2ELNS1_3repE0EEENS1_30default_config_static_selectorELNS0_4arch9wavefront6targetE0EEEvT1_,comdat
.Lfunc_end1108:
	.size	_ZN7rocprim17ROCPRIM_400000_NS6detail17trampoline_kernelINS0_14default_configENS1_25partition_config_selectorILNS1_17partition_subalgoE6EfNS0_10empty_typeEbEEZZNS1_14partition_implILS5_6ELb0ES3_mN6thrust23THRUST_200600_302600_NS6detail15normal_iteratorINSA_10device_ptrIfEEEEPS6_SG_NS0_5tupleIJSF_S6_EEENSH_IJSG_SG_EEES6_PlJNSB_9not_fun_tI7is_trueIfEEEEEE10hipError_tPvRmT3_T4_T5_T6_T7_T9_mT8_P12ihipStream_tbDpT10_ENKUlT_T0_E_clISt17integral_constantIbLb0EES17_IbLb1EEEEDaS13_S14_EUlS13_E_NS1_11comp_targetILNS1_3genE8ELNS1_11target_archE1030ELNS1_3gpuE2ELNS1_3repE0EEENS1_30default_config_static_selectorELNS0_4arch9wavefront6targetE0EEEvT1_, .Lfunc_end1108-_ZN7rocprim17ROCPRIM_400000_NS6detail17trampoline_kernelINS0_14default_configENS1_25partition_config_selectorILNS1_17partition_subalgoE6EfNS0_10empty_typeEbEEZZNS1_14partition_implILS5_6ELb0ES3_mN6thrust23THRUST_200600_302600_NS6detail15normal_iteratorINSA_10device_ptrIfEEEEPS6_SG_NS0_5tupleIJSF_S6_EEENSH_IJSG_SG_EEES6_PlJNSB_9not_fun_tI7is_trueIfEEEEEE10hipError_tPvRmT3_T4_T5_T6_T7_T9_mT8_P12ihipStream_tbDpT10_ENKUlT_T0_E_clISt17integral_constantIbLb0EES17_IbLb1EEEEDaS13_S14_EUlS13_E_NS1_11comp_targetILNS1_3genE8ELNS1_11target_archE1030ELNS1_3gpuE2ELNS1_3repE0EEENS1_30default_config_static_selectorELNS0_4arch9wavefront6targetE0EEEvT1_
                                        ; -- End function
	.set _ZN7rocprim17ROCPRIM_400000_NS6detail17trampoline_kernelINS0_14default_configENS1_25partition_config_selectorILNS1_17partition_subalgoE6EfNS0_10empty_typeEbEEZZNS1_14partition_implILS5_6ELb0ES3_mN6thrust23THRUST_200600_302600_NS6detail15normal_iteratorINSA_10device_ptrIfEEEEPS6_SG_NS0_5tupleIJSF_S6_EEENSH_IJSG_SG_EEES6_PlJNSB_9not_fun_tI7is_trueIfEEEEEE10hipError_tPvRmT3_T4_T5_T6_T7_T9_mT8_P12ihipStream_tbDpT10_ENKUlT_T0_E_clISt17integral_constantIbLb0EES17_IbLb1EEEEDaS13_S14_EUlS13_E_NS1_11comp_targetILNS1_3genE8ELNS1_11target_archE1030ELNS1_3gpuE2ELNS1_3repE0EEENS1_30default_config_static_selectorELNS0_4arch9wavefront6targetE0EEEvT1_.num_vgpr, 0
	.set _ZN7rocprim17ROCPRIM_400000_NS6detail17trampoline_kernelINS0_14default_configENS1_25partition_config_selectorILNS1_17partition_subalgoE6EfNS0_10empty_typeEbEEZZNS1_14partition_implILS5_6ELb0ES3_mN6thrust23THRUST_200600_302600_NS6detail15normal_iteratorINSA_10device_ptrIfEEEEPS6_SG_NS0_5tupleIJSF_S6_EEENSH_IJSG_SG_EEES6_PlJNSB_9not_fun_tI7is_trueIfEEEEEE10hipError_tPvRmT3_T4_T5_T6_T7_T9_mT8_P12ihipStream_tbDpT10_ENKUlT_T0_E_clISt17integral_constantIbLb0EES17_IbLb1EEEEDaS13_S14_EUlS13_E_NS1_11comp_targetILNS1_3genE8ELNS1_11target_archE1030ELNS1_3gpuE2ELNS1_3repE0EEENS1_30default_config_static_selectorELNS0_4arch9wavefront6targetE0EEEvT1_.num_agpr, 0
	.set _ZN7rocprim17ROCPRIM_400000_NS6detail17trampoline_kernelINS0_14default_configENS1_25partition_config_selectorILNS1_17partition_subalgoE6EfNS0_10empty_typeEbEEZZNS1_14partition_implILS5_6ELb0ES3_mN6thrust23THRUST_200600_302600_NS6detail15normal_iteratorINSA_10device_ptrIfEEEEPS6_SG_NS0_5tupleIJSF_S6_EEENSH_IJSG_SG_EEES6_PlJNSB_9not_fun_tI7is_trueIfEEEEEE10hipError_tPvRmT3_T4_T5_T6_T7_T9_mT8_P12ihipStream_tbDpT10_ENKUlT_T0_E_clISt17integral_constantIbLb0EES17_IbLb1EEEEDaS13_S14_EUlS13_E_NS1_11comp_targetILNS1_3genE8ELNS1_11target_archE1030ELNS1_3gpuE2ELNS1_3repE0EEENS1_30default_config_static_selectorELNS0_4arch9wavefront6targetE0EEEvT1_.numbered_sgpr, 0
	.set _ZN7rocprim17ROCPRIM_400000_NS6detail17trampoline_kernelINS0_14default_configENS1_25partition_config_selectorILNS1_17partition_subalgoE6EfNS0_10empty_typeEbEEZZNS1_14partition_implILS5_6ELb0ES3_mN6thrust23THRUST_200600_302600_NS6detail15normal_iteratorINSA_10device_ptrIfEEEEPS6_SG_NS0_5tupleIJSF_S6_EEENSH_IJSG_SG_EEES6_PlJNSB_9not_fun_tI7is_trueIfEEEEEE10hipError_tPvRmT3_T4_T5_T6_T7_T9_mT8_P12ihipStream_tbDpT10_ENKUlT_T0_E_clISt17integral_constantIbLb0EES17_IbLb1EEEEDaS13_S14_EUlS13_E_NS1_11comp_targetILNS1_3genE8ELNS1_11target_archE1030ELNS1_3gpuE2ELNS1_3repE0EEENS1_30default_config_static_selectorELNS0_4arch9wavefront6targetE0EEEvT1_.num_named_barrier, 0
	.set _ZN7rocprim17ROCPRIM_400000_NS6detail17trampoline_kernelINS0_14default_configENS1_25partition_config_selectorILNS1_17partition_subalgoE6EfNS0_10empty_typeEbEEZZNS1_14partition_implILS5_6ELb0ES3_mN6thrust23THRUST_200600_302600_NS6detail15normal_iteratorINSA_10device_ptrIfEEEEPS6_SG_NS0_5tupleIJSF_S6_EEENSH_IJSG_SG_EEES6_PlJNSB_9not_fun_tI7is_trueIfEEEEEE10hipError_tPvRmT3_T4_T5_T6_T7_T9_mT8_P12ihipStream_tbDpT10_ENKUlT_T0_E_clISt17integral_constantIbLb0EES17_IbLb1EEEEDaS13_S14_EUlS13_E_NS1_11comp_targetILNS1_3genE8ELNS1_11target_archE1030ELNS1_3gpuE2ELNS1_3repE0EEENS1_30default_config_static_selectorELNS0_4arch9wavefront6targetE0EEEvT1_.private_seg_size, 0
	.set _ZN7rocprim17ROCPRIM_400000_NS6detail17trampoline_kernelINS0_14default_configENS1_25partition_config_selectorILNS1_17partition_subalgoE6EfNS0_10empty_typeEbEEZZNS1_14partition_implILS5_6ELb0ES3_mN6thrust23THRUST_200600_302600_NS6detail15normal_iteratorINSA_10device_ptrIfEEEEPS6_SG_NS0_5tupleIJSF_S6_EEENSH_IJSG_SG_EEES6_PlJNSB_9not_fun_tI7is_trueIfEEEEEE10hipError_tPvRmT3_T4_T5_T6_T7_T9_mT8_P12ihipStream_tbDpT10_ENKUlT_T0_E_clISt17integral_constantIbLb0EES17_IbLb1EEEEDaS13_S14_EUlS13_E_NS1_11comp_targetILNS1_3genE8ELNS1_11target_archE1030ELNS1_3gpuE2ELNS1_3repE0EEENS1_30default_config_static_selectorELNS0_4arch9wavefront6targetE0EEEvT1_.uses_vcc, 0
	.set _ZN7rocprim17ROCPRIM_400000_NS6detail17trampoline_kernelINS0_14default_configENS1_25partition_config_selectorILNS1_17partition_subalgoE6EfNS0_10empty_typeEbEEZZNS1_14partition_implILS5_6ELb0ES3_mN6thrust23THRUST_200600_302600_NS6detail15normal_iteratorINSA_10device_ptrIfEEEEPS6_SG_NS0_5tupleIJSF_S6_EEENSH_IJSG_SG_EEES6_PlJNSB_9not_fun_tI7is_trueIfEEEEEE10hipError_tPvRmT3_T4_T5_T6_T7_T9_mT8_P12ihipStream_tbDpT10_ENKUlT_T0_E_clISt17integral_constantIbLb0EES17_IbLb1EEEEDaS13_S14_EUlS13_E_NS1_11comp_targetILNS1_3genE8ELNS1_11target_archE1030ELNS1_3gpuE2ELNS1_3repE0EEENS1_30default_config_static_selectorELNS0_4arch9wavefront6targetE0EEEvT1_.uses_flat_scratch, 0
	.set _ZN7rocprim17ROCPRIM_400000_NS6detail17trampoline_kernelINS0_14default_configENS1_25partition_config_selectorILNS1_17partition_subalgoE6EfNS0_10empty_typeEbEEZZNS1_14partition_implILS5_6ELb0ES3_mN6thrust23THRUST_200600_302600_NS6detail15normal_iteratorINSA_10device_ptrIfEEEEPS6_SG_NS0_5tupleIJSF_S6_EEENSH_IJSG_SG_EEES6_PlJNSB_9not_fun_tI7is_trueIfEEEEEE10hipError_tPvRmT3_T4_T5_T6_T7_T9_mT8_P12ihipStream_tbDpT10_ENKUlT_T0_E_clISt17integral_constantIbLb0EES17_IbLb1EEEEDaS13_S14_EUlS13_E_NS1_11comp_targetILNS1_3genE8ELNS1_11target_archE1030ELNS1_3gpuE2ELNS1_3repE0EEENS1_30default_config_static_selectorELNS0_4arch9wavefront6targetE0EEEvT1_.has_dyn_sized_stack, 0
	.set _ZN7rocprim17ROCPRIM_400000_NS6detail17trampoline_kernelINS0_14default_configENS1_25partition_config_selectorILNS1_17partition_subalgoE6EfNS0_10empty_typeEbEEZZNS1_14partition_implILS5_6ELb0ES3_mN6thrust23THRUST_200600_302600_NS6detail15normal_iteratorINSA_10device_ptrIfEEEEPS6_SG_NS0_5tupleIJSF_S6_EEENSH_IJSG_SG_EEES6_PlJNSB_9not_fun_tI7is_trueIfEEEEEE10hipError_tPvRmT3_T4_T5_T6_T7_T9_mT8_P12ihipStream_tbDpT10_ENKUlT_T0_E_clISt17integral_constantIbLb0EES17_IbLb1EEEEDaS13_S14_EUlS13_E_NS1_11comp_targetILNS1_3genE8ELNS1_11target_archE1030ELNS1_3gpuE2ELNS1_3repE0EEENS1_30default_config_static_selectorELNS0_4arch9wavefront6targetE0EEEvT1_.has_recursion, 0
	.set _ZN7rocprim17ROCPRIM_400000_NS6detail17trampoline_kernelINS0_14default_configENS1_25partition_config_selectorILNS1_17partition_subalgoE6EfNS0_10empty_typeEbEEZZNS1_14partition_implILS5_6ELb0ES3_mN6thrust23THRUST_200600_302600_NS6detail15normal_iteratorINSA_10device_ptrIfEEEEPS6_SG_NS0_5tupleIJSF_S6_EEENSH_IJSG_SG_EEES6_PlJNSB_9not_fun_tI7is_trueIfEEEEEE10hipError_tPvRmT3_T4_T5_T6_T7_T9_mT8_P12ihipStream_tbDpT10_ENKUlT_T0_E_clISt17integral_constantIbLb0EES17_IbLb1EEEEDaS13_S14_EUlS13_E_NS1_11comp_targetILNS1_3genE8ELNS1_11target_archE1030ELNS1_3gpuE2ELNS1_3repE0EEENS1_30default_config_static_selectorELNS0_4arch9wavefront6targetE0EEEvT1_.has_indirect_call, 0
	.section	.AMDGPU.csdata,"",@progbits
; Kernel info:
; codeLenInByte = 0
; TotalNumSgprs: 0
; NumVgprs: 0
; ScratchSize: 0
; MemoryBound: 0
; FloatMode: 240
; IeeeMode: 1
; LDSByteSize: 0 bytes/workgroup (compile time only)
; SGPRBlocks: 0
; VGPRBlocks: 0
; NumSGPRsForWavesPerEU: 1
; NumVGPRsForWavesPerEU: 1
; Occupancy: 16
; WaveLimiterHint : 0
; COMPUTE_PGM_RSRC2:SCRATCH_EN: 0
; COMPUTE_PGM_RSRC2:USER_SGPR: 2
; COMPUTE_PGM_RSRC2:TRAP_HANDLER: 0
; COMPUTE_PGM_RSRC2:TGID_X_EN: 1
; COMPUTE_PGM_RSRC2:TGID_Y_EN: 0
; COMPUTE_PGM_RSRC2:TGID_Z_EN: 0
; COMPUTE_PGM_RSRC2:TIDIG_COMP_CNT: 0
	.section	.text._ZN7rocprim17ROCPRIM_400000_NS6detail17trampoline_kernelINS0_14default_configENS1_25partition_config_selectorILNS1_17partition_subalgoE6EyNS0_10empty_typeEbEEZZNS1_14partition_implILS5_6ELb0ES3_mN6thrust23THRUST_200600_302600_NS6detail15normal_iteratorINSA_10device_ptrIyEEEEPS6_SG_NS0_5tupleIJSF_S6_EEENSH_IJSG_SG_EEES6_PlJNSB_9not_fun_tI7is_trueIyEEEEEE10hipError_tPvRmT3_T4_T5_T6_T7_T9_mT8_P12ihipStream_tbDpT10_ENKUlT_T0_E_clISt17integral_constantIbLb0EES18_EEDaS13_S14_EUlS13_E_NS1_11comp_targetILNS1_3genE0ELNS1_11target_archE4294967295ELNS1_3gpuE0ELNS1_3repE0EEENS1_30default_config_static_selectorELNS0_4arch9wavefront6targetE0EEEvT1_,"axG",@progbits,_ZN7rocprim17ROCPRIM_400000_NS6detail17trampoline_kernelINS0_14default_configENS1_25partition_config_selectorILNS1_17partition_subalgoE6EyNS0_10empty_typeEbEEZZNS1_14partition_implILS5_6ELb0ES3_mN6thrust23THRUST_200600_302600_NS6detail15normal_iteratorINSA_10device_ptrIyEEEEPS6_SG_NS0_5tupleIJSF_S6_EEENSH_IJSG_SG_EEES6_PlJNSB_9not_fun_tI7is_trueIyEEEEEE10hipError_tPvRmT3_T4_T5_T6_T7_T9_mT8_P12ihipStream_tbDpT10_ENKUlT_T0_E_clISt17integral_constantIbLb0EES18_EEDaS13_S14_EUlS13_E_NS1_11comp_targetILNS1_3genE0ELNS1_11target_archE4294967295ELNS1_3gpuE0ELNS1_3repE0EEENS1_30default_config_static_selectorELNS0_4arch9wavefront6targetE0EEEvT1_,comdat
	.protected	_ZN7rocprim17ROCPRIM_400000_NS6detail17trampoline_kernelINS0_14default_configENS1_25partition_config_selectorILNS1_17partition_subalgoE6EyNS0_10empty_typeEbEEZZNS1_14partition_implILS5_6ELb0ES3_mN6thrust23THRUST_200600_302600_NS6detail15normal_iteratorINSA_10device_ptrIyEEEEPS6_SG_NS0_5tupleIJSF_S6_EEENSH_IJSG_SG_EEES6_PlJNSB_9not_fun_tI7is_trueIyEEEEEE10hipError_tPvRmT3_T4_T5_T6_T7_T9_mT8_P12ihipStream_tbDpT10_ENKUlT_T0_E_clISt17integral_constantIbLb0EES18_EEDaS13_S14_EUlS13_E_NS1_11comp_targetILNS1_3genE0ELNS1_11target_archE4294967295ELNS1_3gpuE0ELNS1_3repE0EEENS1_30default_config_static_selectorELNS0_4arch9wavefront6targetE0EEEvT1_ ; -- Begin function _ZN7rocprim17ROCPRIM_400000_NS6detail17trampoline_kernelINS0_14default_configENS1_25partition_config_selectorILNS1_17partition_subalgoE6EyNS0_10empty_typeEbEEZZNS1_14partition_implILS5_6ELb0ES3_mN6thrust23THRUST_200600_302600_NS6detail15normal_iteratorINSA_10device_ptrIyEEEEPS6_SG_NS0_5tupleIJSF_S6_EEENSH_IJSG_SG_EEES6_PlJNSB_9not_fun_tI7is_trueIyEEEEEE10hipError_tPvRmT3_T4_T5_T6_T7_T9_mT8_P12ihipStream_tbDpT10_ENKUlT_T0_E_clISt17integral_constantIbLb0EES18_EEDaS13_S14_EUlS13_E_NS1_11comp_targetILNS1_3genE0ELNS1_11target_archE4294967295ELNS1_3gpuE0ELNS1_3repE0EEENS1_30default_config_static_selectorELNS0_4arch9wavefront6targetE0EEEvT1_
	.globl	_ZN7rocprim17ROCPRIM_400000_NS6detail17trampoline_kernelINS0_14default_configENS1_25partition_config_selectorILNS1_17partition_subalgoE6EyNS0_10empty_typeEbEEZZNS1_14partition_implILS5_6ELb0ES3_mN6thrust23THRUST_200600_302600_NS6detail15normal_iteratorINSA_10device_ptrIyEEEEPS6_SG_NS0_5tupleIJSF_S6_EEENSH_IJSG_SG_EEES6_PlJNSB_9not_fun_tI7is_trueIyEEEEEE10hipError_tPvRmT3_T4_T5_T6_T7_T9_mT8_P12ihipStream_tbDpT10_ENKUlT_T0_E_clISt17integral_constantIbLb0EES18_EEDaS13_S14_EUlS13_E_NS1_11comp_targetILNS1_3genE0ELNS1_11target_archE4294967295ELNS1_3gpuE0ELNS1_3repE0EEENS1_30default_config_static_selectorELNS0_4arch9wavefront6targetE0EEEvT1_
	.p2align	8
	.type	_ZN7rocprim17ROCPRIM_400000_NS6detail17trampoline_kernelINS0_14default_configENS1_25partition_config_selectorILNS1_17partition_subalgoE6EyNS0_10empty_typeEbEEZZNS1_14partition_implILS5_6ELb0ES3_mN6thrust23THRUST_200600_302600_NS6detail15normal_iteratorINSA_10device_ptrIyEEEEPS6_SG_NS0_5tupleIJSF_S6_EEENSH_IJSG_SG_EEES6_PlJNSB_9not_fun_tI7is_trueIyEEEEEE10hipError_tPvRmT3_T4_T5_T6_T7_T9_mT8_P12ihipStream_tbDpT10_ENKUlT_T0_E_clISt17integral_constantIbLb0EES18_EEDaS13_S14_EUlS13_E_NS1_11comp_targetILNS1_3genE0ELNS1_11target_archE4294967295ELNS1_3gpuE0ELNS1_3repE0EEENS1_30default_config_static_selectorELNS0_4arch9wavefront6targetE0EEEvT1_,@function
_ZN7rocprim17ROCPRIM_400000_NS6detail17trampoline_kernelINS0_14default_configENS1_25partition_config_selectorILNS1_17partition_subalgoE6EyNS0_10empty_typeEbEEZZNS1_14partition_implILS5_6ELb0ES3_mN6thrust23THRUST_200600_302600_NS6detail15normal_iteratorINSA_10device_ptrIyEEEEPS6_SG_NS0_5tupleIJSF_S6_EEENSH_IJSG_SG_EEES6_PlJNSB_9not_fun_tI7is_trueIyEEEEEE10hipError_tPvRmT3_T4_T5_T6_T7_T9_mT8_P12ihipStream_tbDpT10_ENKUlT_T0_E_clISt17integral_constantIbLb0EES18_EEDaS13_S14_EUlS13_E_NS1_11comp_targetILNS1_3genE0ELNS1_11target_archE4294967295ELNS1_3gpuE0ELNS1_3repE0EEENS1_30default_config_static_selectorELNS0_4arch9wavefront6targetE0EEEvT1_: ; @_ZN7rocprim17ROCPRIM_400000_NS6detail17trampoline_kernelINS0_14default_configENS1_25partition_config_selectorILNS1_17partition_subalgoE6EyNS0_10empty_typeEbEEZZNS1_14partition_implILS5_6ELb0ES3_mN6thrust23THRUST_200600_302600_NS6detail15normal_iteratorINSA_10device_ptrIyEEEEPS6_SG_NS0_5tupleIJSF_S6_EEENSH_IJSG_SG_EEES6_PlJNSB_9not_fun_tI7is_trueIyEEEEEE10hipError_tPvRmT3_T4_T5_T6_T7_T9_mT8_P12ihipStream_tbDpT10_ENKUlT_T0_E_clISt17integral_constantIbLb0EES18_EEDaS13_S14_EUlS13_E_NS1_11comp_targetILNS1_3genE0ELNS1_11target_archE4294967295ELNS1_3gpuE0ELNS1_3repE0EEENS1_30default_config_static_selectorELNS0_4arch9wavefront6targetE0EEEvT1_
; %bb.0:
	.section	.rodata,"a",@progbits
	.p2align	6, 0x0
	.amdhsa_kernel _ZN7rocprim17ROCPRIM_400000_NS6detail17trampoline_kernelINS0_14default_configENS1_25partition_config_selectorILNS1_17partition_subalgoE6EyNS0_10empty_typeEbEEZZNS1_14partition_implILS5_6ELb0ES3_mN6thrust23THRUST_200600_302600_NS6detail15normal_iteratorINSA_10device_ptrIyEEEEPS6_SG_NS0_5tupleIJSF_S6_EEENSH_IJSG_SG_EEES6_PlJNSB_9not_fun_tI7is_trueIyEEEEEE10hipError_tPvRmT3_T4_T5_T6_T7_T9_mT8_P12ihipStream_tbDpT10_ENKUlT_T0_E_clISt17integral_constantIbLb0EES18_EEDaS13_S14_EUlS13_E_NS1_11comp_targetILNS1_3genE0ELNS1_11target_archE4294967295ELNS1_3gpuE0ELNS1_3repE0EEENS1_30default_config_static_selectorELNS0_4arch9wavefront6targetE0EEEvT1_
		.amdhsa_group_segment_fixed_size 0
		.amdhsa_private_segment_fixed_size 0
		.amdhsa_kernarg_size 112
		.amdhsa_user_sgpr_count 2
		.amdhsa_user_sgpr_dispatch_ptr 0
		.amdhsa_user_sgpr_queue_ptr 0
		.amdhsa_user_sgpr_kernarg_segment_ptr 1
		.amdhsa_user_sgpr_dispatch_id 0
		.amdhsa_user_sgpr_private_segment_size 0
		.amdhsa_wavefront_size32 1
		.amdhsa_uses_dynamic_stack 0
		.amdhsa_enable_private_segment 0
		.amdhsa_system_sgpr_workgroup_id_x 1
		.amdhsa_system_sgpr_workgroup_id_y 0
		.amdhsa_system_sgpr_workgroup_id_z 0
		.amdhsa_system_sgpr_workgroup_info 0
		.amdhsa_system_vgpr_workitem_id 0
		.amdhsa_next_free_vgpr 1
		.amdhsa_next_free_sgpr 1
		.amdhsa_reserve_vcc 0
		.amdhsa_float_round_mode_32 0
		.amdhsa_float_round_mode_16_64 0
		.amdhsa_float_denorm_mode_32 3
		.amdhsa_float_denorm_mode_16_64 3
		.amdhsa_fp16_overflow 0
		.amdhsa_workgroup_processor_mode 1
		.amdhsa_memory_ordered 1
		.amdhsa_forward_progress 1
		.amdhsa_inst_pref_size 0
		.amdhsa_round_robin_scheduling 0
		.amdhsa_exception_fp_ieee_invalid_op 0
		.amdhsa_exception_fp_denorm_src 0
		.amdhsa_exception_fp_ieee_div_zero 0
		.amdhsa_exception_fp_ieee_overflow 0
		.amdhsa_exception_fp_ieee_underflow 0
		.amdhsa_exception_fp_ieee_inexact 0
		.amdhsa_exception_int_div_zero 0
	.end_amdhsa_kernel
	.section	.text._ZN7rocprim17ROCPRIM_400000_NS6detail17trampoline_kernelINS0_14default_configENS1_25partition_config_selectorILNS1_17partition_subalgoE6EyNS0_10empty_typeEbEEZZNS1_14partition_implILS5_6ELb0ES3_mN6thrust23THRUST_200600_302600_NS6detail15normal_iteratorINSA_10device_ptrIyEEEEPS6_SG_NS0_5tupleIJSF_S6_EEENSH_IJSG_SG_EEES6_PlJNSB_9not_fun_tI7is_trueIyEEEEEE10hipError_tPvRmT3_T4_T5_T6_T7_T9_mT8_P12ihipStream_tbDpT10_ENKUlT_T0_E_clISt17integral_constantIbLb0EES18_EEDaS13_S14_EUlS13_E_NS1_11comp_targetILNS1_3genE0ELNS1_11target_archE4294967295ELNS1_3gpuE0ELNS1_3repE0EEENS1_30default_config_static_selectorELNS0_4arch9wavefront6targetE0EEEvT1_,"axG",@progbits,_ZN7rocprim17ROCPRIM_400000_NS6detail17trampoline_kernelINS0_14default_configENS1_25partition_config_selectorILNS1_17partition_subalgoE6EyNS0_10empty_typeEbEEZZNS1_14partition_implILS5_6ELb0ES3_mN6thrust23THRUST_200600_302600_NS6detail15normal_iteratorINSA_10device_ptrIyEEEEPS6_SG_NS0_5tupleIJSF_S6_EEENSH_IJSG_SG_EEES6_PlJNSB_9not_fun_tI7is_trueIyEEEEEE10hipError_tPvRmT3_T4_T5_T6_T7_T9_mT8_P12ihipStream_tbDpT10_ENKUlT_T0_E_clISt17integral_constantIbLb0EES18_EEDaS13_S14_EUlS13_E_NS1_11comp_targetILNS1_3genE0ELNS1_11target_archE4294967295ELNS1_3gpuE0ELNS1_3repE0EEENS1_30default_config_static_selectorELNS0_4arch9wavefront6targetE0EEEvT1_,comdat
.Lfunc_end1109:
	.size	_ZN7rocprim17ROCPRIM_400000_NS6detail17trampoline_kernelINS0_14default_configENS1_25partition_config_selectorILNS1_17partition_subalgoE6EyNS0_10empty_typeEbEEZZNS1_14partition_implILS5_6ELb0ES3_mN6thrust23THRUST_200600_302600_NS6detail15normal_iteratorINSA_10device_ptrIyEEEEPS6_SG_NS0_5tupleIJSF_S6_EEENSH_IJSG_SG_EEES6_PlJNSB_9not_fun_tI7is_trueIyEEEEEE10hipError_tPvRmT3_T4_T5_T6_T7_T9_mT8_P12ihipStream_tbDpT10_ENKUlT_T0_E_clISt17integral_constantIbLb0EES18_EEDaS13_S14_EUlS13_E_NS1_11comp_targetILNS1_3genE0ELNS1_11target_archE4294967295ELNS1_3gpuE0ELNS1_3repE0EEENS1_30default_config_static_selectorELNS0_4arch9wavefront6targetE0EEEvT1_, .Lfunc_end1109-_ZN7rocprim17ROCPRIM_400000_NS6detail17trampoline_kernelINS0_14default_configENS1_25partition_config_selectorILNS1_17partition_subalgoE6EyNS0_10empty_typeEbEEZZNS1_14partition_implILS5_6ELb0ES3_mN6thrust23THRUST_200600_302600_NS6detail15normal_iteratorINSA_10device_ptrIyEEEEPS6_SG_NS0_5tupleIJSF_S6_EEENSH_IJSG_SG_EEES6_PlJNSB_9not_fun_tI7is_trueIyEEEEEE10hipError_tPvRmT3_T4_T5_T6_T7_T9_mT8_P12ihipStream_tbDpT10_ENKUlT_T0_E_clISt17integral_constantIbLb0EES18_EEDaS13_S14_EUlS13_E_NS1_11comp_targetILNS1_3genE0ELNS1_11target_archE4294967295ELNS1_3gpuE0ELNS1_3repE0EEENS1_30default_config_static_selectorELNS0_4arch9wavefront6targetE0EEEvT1_
                                        ; -- End function
	.set _ZN7rocprim17ROCPRIM_400000_NS6detail17trampoline_kernelINS0_14default_configENS1_25partition_config_selectorILNS1_17partition_subalgoE6EyNS0_10empty_typeEbEEZZNS1_14partition_implILS5_6ELb0ES3_mN6thrust23THRUST_200600_302600_NS6detail15normal_iteratorINSA_10device_ptrIyEEEEPS6_SG_NS0_5tupleIJSF_S6_EEENSH_IJSG_SG_EEES6_PlJNSB_9not_fun_tI7is_trueIyEEEEEE10hipError_tPvRmT3_T4_T5_T6_T7_T9_mT8_P12ihipStream_tbDpT10_ENKUlT_T0_E_clISt17integral_constantIbLb0EES18_EEDaS13_S14_EUlS13_E_NS1_11comp_targetILNS1_3genE0ELNS1_11target_archE4294967295ELNS1_3gpuE0ELNS1_3repE0EEENS1_30default_config_static_selectorELNS0_4arch9wavefront6targetE0EEEvT1_.num_vgpr, 0
	.set _ZN7rocprim17ROCPRIM_400000_NS6detail17trampoline_kernelINS0_14default_configENS1_25partition_config_selectorILNS1_17partition_subalgoE6EyNS0_10empty_typeEbEEZZNS1_14partition_implILS5_6ELb0ES3_mN6thrust23THRUST_200600_302600_NS6detail15normal_iteratorINSA_10device_ptrIyEEEEPS6_SG_NS0_5tupleIJSF_S6_EEENSH_IJSG_SG_EEES6_PlJNSB_9not_fun_tI7is_trueIyEEEEEE10hipError_tPvRmT3_T4_T5_T6_T7_T9_mT8_P12ihipStream_tbDpT10_ENKUlT_T0_E_clISt17integral_constantIbLb0EES18_EEDaS13_S14_EUlS13_E_NS1_11comp_targetILNS1_3genE0ELNS1_11target_archE4294967295ELNS1_3gpuE0ELNS1_3repE0EEENS1_30default_config_static_selectorELNS0_4arch9wavefront6targetE0EEEvT1_.num_agpr, 0
	.set _ZN7rocprim17ROCPRIM_400000_NS6detail17trampoline_kernelINS0_14default_configENS1_25partition_config_selectorILNS1_17partition_subalgoE6EyNS0_10empty_typeEbEEZZNS1_14partition_implILS5_6ELb0ES3_mN6thrust23THRUST_200600_302600_NS6detail15normal_iteratorINSA_10device_ptrIyEEEEPS6_SG_NS0_5tupleIJSF_S6_EEENSH_IJSG_SG_EEES6_PlJNSB_9not_fun_tI7is_trueIyEEEEEE10hipError_tPvRmT3_T4_T5_T6_T7_T9_mT8_P12ihipStream_tbDpT10_ENKUlT_T0_E_clISt17integral_constantIbLb0EES18_EEDaS13_S14_EUlS13_E_NS1_11comp_targetILNS1_3genE0ELNS1_11target_archE4294967295ELNS1_3gpuE0ELNS1_3repE0EEENS1_30default_config_static_selectorELNS0_4arch9wavefront6targetE0EEEvT1_.numbered_sgpr, 0
	.set _ZN7rocprim17ROCPRIM_400000_NS6detail17trampoline_kernelINS0_14default_configENS1_25partition_config_selectorILNS1_17partition_subalgoE6EyNS0_10empty_typeEbEEZZNS1_14partition_implILS5_6ELb0ES3_mN6thrust23THRUST_200600_302600_NS6detail15normal_iteratorINSA_10device_ptrIyEEEEPS6_SG_NS0_5tupleIJSF_S6_EEENSH_IJSG_SG_EEES6_PlJNSB_9not_fun_tI7is_trueIyEEEEEE10hipError_tPvRmT3_T4_T5_T6_T7_T9_mT8_P12ihipStream_tbDpT10_ENKUlT_T0_E_clISt17integral_constantIbLb0EES18_EEDaS13_S14_EUlS13_E_NS1_11comp_targetILNS1_3genE0ELNS1_11target_archE4294967295ELNS1_3gpuE0ELNS1_3repE0EEENS1_30default_config_static_selectorELNS0_4arch9wavefront6targetE0EEEvT1_.num_named_barrier, 0
	.set _ZN7rocprim17ROCPRIM_400000_NS6detail17trampoline_kernelINS0_14default_configENS1_25partition_config_selectorILNS1_17partition_subalgoE6EyNS0_10empty_typeEbEEZZNS1_14partition_implILS5_6ELb0ES3_mN6thrust23THRUST_200600_302600_NS6detail15normal_iteratorINSA_10device_ptrIyEEEEPS6_SG_NS0_5tupleIJSF_S6_EEENSH_IJSG_SG_EEES6_PlJNSB_9not_fun_tI7is_trueIyEEEEEE10hipError_tPvRmT3_T4_T5_T6_T7_T9_mT8_P12ihipStream_tbDpT10_ENKUlT_T0_E_clISt17integral_constantIbLb0EES18_EEDaS13_S14_EUlS13_E_NS1_11comp_targetILNS1_3genE0ELNS1_11target_archE4294967295ELNS1_3gpuE0ELNS1_3repE0EEENS1_30default_config_static_selectorELNS0_4arch9wavefront6targetE0EEEvT1_.private_seg_size, 0
	.set _ZN7rocprim17ROCPRIM_400000_NS6detail17trampoline_kernelINS0_14default_configENS1_25partition_config_selectorILNS1_17partition_subalgoE6EyNS0_10empty_typeEbEEZZNS1_14partition_implILS5_6ELb0ES3_mN6thrust23THRUST_200600_302600_NS6detail15normal_iteratorINSA_10device_ptrIyEEEEPS6_SG_NS0_5tupleIJSF_S6_EEENSH_IJSG_SG_EEES6_PlJNSB_9not_fun_tI7is_trueIyEEEEEE10hipError_tPvRmT3_T4_T5_T6_T7_T9_mT8_P12ihipStream_tbDpT10_ENKUlT_T0_E_clISt17integral_constantIbLb0EES18_EEDaS13_S14_EUlS13_E_NS1_11comp_targetILNS1_3genE0ELNS1_11target_archE4294967295ELNS1_3gpuE0ELNS1_3repE0EEENS1_30default_config_static_selectorELNS0_4arch9wavefront6targetE0EEEvT1_.uses_vcc, 0
	.set _ZN7rocprim17ROCPRIM_400000_NS6detail17trampoline_kernelINS0_14default_configENS1_25partition_config_selectorILNS1_17partition_subalgoE6EyNS0_10empty_typeEbEEZZNS1_14partition_implILS5_6ELb0ES3_mN6thrust23THRUST_200600_302600_NS6detail15normal_iteratorINSA_10device_ptrIyEEEEPS6_SG_NS0_5tupleIJSF_S6_EEENSH_IJSG_SG_EEES6_PlJNSB_9not_fun_tI7is_trueIyEEEEEE10hipError_tPvRmT3_T4_T5_T6_T7_T9_mT8_P12ihipStream_tbDpT10_ENKUlT_T0_E_clISt17integral_constantIbLb0EES18_EEDaS13_S14_EUlS13_E_NS1_11comp_targetILNS1_3genE0ELNS1_11target_archE4294967295ELNS1_3gpuE0ELNS1_3repE0EEENS1_30default_config_static_selectorELNS0_4arch9wavefront6targetE0EEEvT1_.uses_flat_scratch, 0
	.set _ZN7rocprim17ROCPRIM_400000_NS6detail17trampoline_kernelINS0_14default_configENS1_25partition_config_selectorILNS1_17partition_subalgoE6EyNS0_10empty_typeEbEEZZNS1_14partition_implILS5_6ELb0ES3_mN6thrust23THRUST_200600_302600_NS6detail15normal_iteratorINSA_10device_ptrIyEEEEPS6_SG_NS0_5tupleIJSF_S6_EEENSH_IJSG_SG_EEES6_PlJNSB_9not_fun_tI7is_trueIyEEEEEE10hipError_tPvRmT3_T4_T5_T6_T7_T9_mT8_P12ihipStream_tbDpT10_ENKUlT_T0_E_clISt17integral_constantIbLb0EES18_EEDaS13_S14_EUlS13_E_NS1_11comp_targetILNS1_3genE0ELNS1_11target_archE4294967295ELNS1_3gpuE0ELNS1_3repE0EEENS1_30default_config_static_selectorELNS0_4arch9wavefront6targetE0EEEvT1_.has_dyn_sized_stack, 0
	.set _ZN7rocprim17ROCPRIM_400000_NS6detail17trampoline_kernelINS0_14default_configENS1_25partition_config_selectorILNS1_17partition_subalgoE6EyNS0_10empty_typeEbEEZZNS1_14partition_implILS5_6ELb0ES3_mN6thrust23THRUST_200600_302600_NS6detail15normal_iteratorINSA_10device_ptrIyEEEEPS6_SG_NS0_5tupleIJSF_S6_EEENSH_IJSG_SG_EEES6_PlJNSB_9not_fun_tI7is_trueIyEEEEEE10hipError_tPvRmT3_T4_T5_T6_T7_T9_mT8_P12ihipStream_tbDpT10_ENKUlT_T0_E_clISt17integral_constantIbLb0EES18_EEDaS13_S14_EUlS13_E_NS1_11comp_targetILNS1_3genE0ELNS1_11target_archE4294967295ELNS1_3gpuE0ELNS1_3repE0EEENS1_30default_config_static_selectorELNS0_4arch9wavefront6targetE0EEEvT1_.has_recursion, 0
	.set _ZN7rocprim17ROCPRIM_400000_NS6detail17trampoline_kernelINS0_14default_configENS1_25partition_config_selectorILNS1_17partition_subalgoE6EyNS0_10empty_typeEbEEZZNS1_14partition_implILS5_6ELb0ES3_mN6thrust23THRUST_200600_302600_NS6detail15normal_iteratorINSA_10device_ptrIyEEEEPS6_SG_NS0_5tupleIJSF_S6_EEENSH_IJSG_SG_EEES6_PlJNSB_9not_fun_tI7is_trueIyEEEEEE10hipError_tPvRmT3_T4_T5_T6_T7_T9_mT8_P12ihipStream_tbDpT10_ENKUlT_T0_E_clISt17integral_constantIbLb0EES18_EEDaS13_S14_EUlS13_E_NS1_11comp_targetILNS1_3genE0ELNS1_11target_archE4294967295ELNS1_3gpuE0ELNS1_3repE0EEENS1_30default_config_static_selectorELNS0_4arch9wavefront6targetE0EEEvT1_.has_indirect_call, 0
	.section	.AMDGPU.csdata,"",@progbits
; Kernel info:
; codeLenInByte = 0
; TotalNumSgprs: 0
; NumVgprs: 0
; ScratchSize: 0
; MemoryBound: 0
; FloatMode: 240
; IeeeMode: 1
; LDSByteSize: 0 bytes/workgroup (compile time only)
; SGPRBlocks: 0
; VGPRBlocks: 0
; NumSGPRsForWavesPerEU: 1
; NumVGPRsForWavesPerEU: 1
; Occupancy: 16
; WaveLimiterHint : 0
; COMPUTE_PGM_RSRC2:SCRATCH_EN: 0
; COMPUTE_PGM_RSRC2:USER_SGPR: 2
; COMPUTE_PGM_RSRC2:TRAP_HANDLER: 0
; COMPUTE_PGM_RSRC2:TGID_X_EN: 1
; COMPUTE_PGM_RSRC2:TGID_Y_EN: 0
; COMPUTE_PGM_RSRC2:TGID_Z_EN: 0
; COMPUTE_PGM_RSRC2:TIDIG_COMP_CNT: 0
	.section	.text._ZN7rocprim17ROCPRIM_400000_NS6detail17trampoline_kernelINS0_14default_configENS1_25partition_config_selectorILNS1_17partition_subalgoE6EyNS0_10empty_typeEbEEZZNS1_14partition_implILS5_6ELb0ES3_mN6thrust23THRUST_200600_302600_NS6detail15normal_iteratorINSA_10device_ptrIyEEEEPS6_SG_NS0_5tupleIJSF_S6_EEENSH_IJSG_SG_EEES6_PlJNSB_9not_fun_tI7is_trueIyEEEEEE10hipError_tPvRmT3_T4_T5_T6_T7_T9_mT8_P12ihipStream_tbDpT10_ENKUlT_T0_E_clISt17integral_constantIbLb0EES18_EEDaS13_S14_EUlS13_E_NS1_11comp_targetILNS1_3genE5ELNS1_11target_archE942ELNS1_3gpuE9ELNS1_3repE0EEENS1_30default_config_static_selectorELNS0_4arch9wavefront6targetE0EEEvT1_,"axG",@progbits,_ZN7rocprim17ROCPRIM_400000_NS6detail17trampoline_kernelINS0_14default_configENS1_25partition_config_selectorILNS1_17partition_subalgoE6EyNS0_10empty_typeEbEEZZNS1_14partition_implILS5_6ELb0ES3_mN6thrust23THRUST_200600_302600_NS6detail15normal_iteratorINSA_10device_ptrIyEEEEPS6_SG_NS0_5tupleIJSF_S6_EEENSH_IJSG_SG_EEES6_PlJNSB_9not_fun_tI7is_trueIyEEEEEE10hipError_tPvRmT3_T4_T5_T6_T7_T9_mT8_P12ihipStream_tbDpT10_ENKUlT_T0_E_clISt17integral_constantIbLb0EES18_EEDaS13_S14_EUlS13_E_NS1_11comp_targetILNS1_3genE5ELNS1_11target_archE942ELNS1_3gpuE9ELNS1_3repE0EEENS1_30default_config_static_selectorELNS0_4arch9wavefront6targetE0EEEvT1_,comdat
	.protected	_ZN7rocprim17ROCPRIM_400000_NS6detail17trampoline_kernelINS0_14default_configENS1_25partition_config_selectorILNS1_17partition_subalgoE6EyNS0_10empty_typeEbEEZZNS1_14partition_implILS5_6ELb0ES3_mN6thrust23THRUST_200600_302600_NS6detail15normal_iteratorINSA_10device_ptrIyEEEEPS6_SG_NS0_5tupleIJSF_S6_EEENSH_IJSG_SG_EEES6_PlJNSB_9not_fun_tI7is_trueIyEEEEEE10hipError_tPvRmT3_T4_T5_T6_T7_T9_mT8_P12ihipStream_tbDpT10_ENKUlT_T0_E_clISt17integral_constantIbLb0EES18_EEDaS13_S14_EUlS13_E_NS1_11comp_targetILNS1_3genE5ELNS1_11target_archE942ELNS1_3gpuE9ELNS1_3repE0EEENS1_30default_config_static_selectorELNS0_4arch9wavefront6targetE0EEEvT1_ ; -- Begin function _ZN7rocprim17ROCPRIM_400000_NS6detail17trampoline_kernelINS0_14default_configENS1_25partition_config_selectorILNS1_17partition_subalgoE6EyNS0_10empty_typeEbEEZZNS1_14partition_implILS5_6ELb0ES3_mN6thrust23THRUST_200600_302600_NS6detail15normal_iteratorINSA_10device_ptrIyEEEEPS6_SG_NS0_5tupleIJSF_S6_EEENSH_IJSG_SG_EEES6_PlJNSB_9not_fun_tI7is_trueIyEEEEEE10hipError_tPvRmT3_T4_T5_T6_T7_T9_mT8_P12ihipStream_tbDpT10_ENKUlT_T0_E_clISt17integral_constantIbLb0EES18_EEDaS13_S14_EUlS13_E_NS1_11comp_targetILNS1_3genE5ELNS1_11target_archE942ELNS1_3gpuE9ELNS1_3repE0EEENS1_30default_config_static_selectorELNS0_4arch9wavefront6targetE0EEEvT1_
	.globl	_ZN7rocprim17ROCPRIM_400000_NS6detail17trampoline_kernelINS0_14default_configENS1_25partition_config_selectorILNS1_17partition_subalgoE6EyNS0_10empty_typeEbEEZZNS1_14partition_implILS5_6ELb0ES3_mN6thrust23THRUST_200600_302600_NS6detail15normal_iteratorINSA_10device_ptrIyEEEEPS6_SG_NS0_5tupleIJSF_S6_EEENSH_IJSG_SG_EEES6_PlJNSB_9not_fun_tI7is_trueIyEEEEEE10hipError_tPvRmT3_T4_T5_T6_T7_T9_mT8_P12ihipStream_tbDpT10_ENKUlT_T0_E_clISt17integral_constantIbLb0EES18_EEDaS13_S14_EUlS13_E_NS1_11comp_targetILNS1_3genE5ELNS1_11target_archE942ELNS1_3gpuE9ELNS1_3repE0EEENS1_30default_config_static_selectorELNS0_4arch9wavefront6targetE0EEEvT1_
	.p2align	8
	.type	_ZN7rocprim17ROCPRIM_400000_NS6detail17trampoline_kernelINS0_14default_configENS1_25partition_config_selectorILNS1_17partition_subalgoE6EyNS0_10empty_typeEbEEZZNS1_14partition_implILS5_6ELb0ES3_mN6thrust23THRUST_200600_302600_NS6detail15normal_iteratorINSA_10device_ptrIyEEEEPS6_SG_NS0_5tupleIJSF_S6_EEENSH_IJSG_SG_EEES6_PlJNSB_9not_fun_tI7is_trueIyEEEEEE10hipError_tPvRmT3_T4_T5_T6_T7_T9_mT8_P12ihipStream_tbDpT10_ENKUlT_T0_E_clISt17integral_constantIbLb0EES18_EEDaS13_S14_EUlS13_E_NS1_11comp_targetILNS1_3genE5ELNS1_11target_archE942ELNS1_3gpuE9ELNS1_3repE0EEENS1_30default_config_static_selectorELNS0_4arch9wavefront6targetE0EEEvT1_,@function
_ZN7rocprim17ROCPRIM_400000_NS6detail17trampoline_kernelINS0_14default_configENS1_25partition_config_selectorILNS1_17partition_subalgoE6EyNS0_10empty_typeEbEEZZNS1_14partition_implILS5_6ELb0ES3_mN6thrust23THRUST_200600_302600_NS6detail15normal_iteratorINSA_10device_ptrIyEEEEPS6_SG_NS0_5tupleIJSF_S6_EEENSH_IJSG_SG_EEES6_PlJNSB_9not_fun_tI7is_trueIyEEEEEE10hipError_tPvRmT3_T4_T5_T6_T7_T9_mT8_P12ihipStream_tbDpT10_ENKUlT_T0_E_clISt17integral_constantIbLb0EES18_EEDaS13_S14_EUlS13_E_NS1_11comp_targetILNS1_3genE5ELNS1_11target_archE942ELNS1_3gpuE9ELNS1_3repE0EEENS1_30default_config_static_selectorELNS0_4arch9wavefront6targetE0EEEvT1_: ; @_ZN7rocprim17ROCPRIM_400000_NS6detail17trampoline_kernelINS0_14default_configENS1_25partition_config_selectorILNS1_17partition_subalgoE6EyNS0_10empty_typeEbEEZZNS1_14partition_implILS5_6ELb0ES3_mN6thrust23THRUST_200600_302600_NS6detail15normal_iteratorINSA_10device_ptrIyEEEEPS6_SG_NS0_5tupleIJSF_S6_EEENSH_IJSG_SG_EEES6_PlJNSB_9not_fun_tI7is_trueIyEEEEEE10hipError_tPvRmT3_T4_T5_T6_T7_T9_mT8_P12ihipStream_tbDpT10_ENKUlT_T0_E_clISt17integral_constantIbLb0EES18_EEDaS13_S14_EUlS13_E_NS1_11comp_targetILNS1_3genE5ELNS1_11target_archE942ELNS1_3gpuE9ELNS1_3repE0EEENS1_30default_config_static_selectorELNS0_4arch9wavefront6targetE0EEEvT1_
; %bb.0:
	.section	.rodata,"a",@progbits
	.p2align	6, 0x0
	.amdhsa_kernel _ZN7rocprim17ROCPRIM_400000_NS6detail17trampoline_kernelINS0_14default_configENS1_25partition_config_selectorILNS1_17partition_subalgoE6EyNS0_10empty_typeEbEEZZNS1_14partition_implILS5_6ELb0ES3_mN6thrust23THRUST_200600_302600_NS6detail15normal_iteratorINSA_10device_ptrIyEEEEPS6_SG_NS0_5tupleIJSF_S6_EEENSH_IJSG_SG_EEES6_PlJNSB_9not_fun_tI7is_trueIyEEEEEE10hipError_tPvRmT3_T4_T5_T6_T7_T9_mT8_P12ihipStream_tbDpT10_ENKUlT_T0_E_clISt17integral_constantIbLb0EES18_EEDaS13_S14_EUlS13_E_NS1_11comp_targetILNS1_3genE5ELNS1_11target_archE942ELNS1_3gpuE9ELNS1_3repE0EEENS1_30default_config_static_selectorELNS0_4arch9wavefront6targetE0EEEvT1_
		.amdhsa_group_segment_fixed_size 0
		.amdhsa_private_segment_fixed_size 0
		.amdhsa_kernarg_size 112
		.amdhsa_user_sgpr_count 2
		.amdhsa_user_sgpr_dispatch_ptr 0
		.amdhsa_user_sgpr_queue_ptr 0
		.amdhsa_user_sgpr_kernarg_segment_ptr 1
		.amdhsa_user_sgpr_dispatch_id 0
		.amdhsa_user_sgpr_private_segment_size 0
		.amdhsa_wavefront_size32 1
		.amdhsa_uses_dynamic_stack 0
		.amdhsa_enable_private_segment 0
		.amdhsa_system_sgpr_workgroup_id_x 1
		.amdhsa_system_sgpr_workgroup_id_y 0
		.amdhsa_system_sgpr_workgroup_id_z 0
		.amdhsa_system_sgpr_workgroup_info 0
		.amdhsa_system_vgpr_workitem_id 0
		.amdhsa_next_free_vgpr 1
		.amdhsa_next_free_sgpr 1
		.amdhsa_reserve_vcc 0
		.amdhsa_float_round_mode_32 0
		.amdhsa_float_round_mode_16_64 0
		.amdhsa_float_denorm_mode_32 3
		.amdhsa_float_denorm_mode_16_64 3
		.amdhsa_fp16_overflow 0
		.amdhsa_workgroup_processor_mode 1
		.amdhsa_memory_ordered 1
		.amdhsa_forward_progress 1
		.amdhsa_inst_pref_size 0
		.amdhsa_round_robin_scheduling 0
		.amdhsa_exception_fp_ieee_invalid_op 0
		.amdhsa_exception_fp_denorm_src 0
		.amdhsa_exception_fp_ieee_div_zero 0
		.amdhsa_exception_fp_ieee_overflow 0
		.amdhsa_exception_fp_ieee_underflow 0
		.amdhsa_exception_fp_ieee_inexact 0
		.amdhsa_exception_int_div_zero 0
	.end_amdhsa_kernel
	.section	.text._ZN7rocprim17ROCPRIM_400000_NS6detail17trampoline_kernelINS0_14default_configENS1_25partition_config_selectorILNS1_17partition_subalgoE6EyNS0_10empty_typeEbEEZZNS1_14partition_implILS5_6ELb0ES3_mN6thrust23THRUST_200600_302600_NS6detail15normal_iteratorINSA_10device_ptrIyEEEEPS6_SG_NS0_5tupleIJSF_S6_EEENSH_IJSG_SG_EEES6_PlJNSB_9not_fun_tI7is_trueIyEEEEEE10hipError_tPvRmT3_T4_T5_T6_T7_T9_mT8_P12ihipStream_tbDpT10_ENKUlT_T0_E_clISt17integral_constantIbLb0EES18_EEDaS13_S14_EUlS13_E_NS1_11comp_targetILNS1_3genE5ELNS1_11target_archE942ELNS1_3gpuE9ELNS1_3repE0EEENS1_30default_config_static_selectorELNS0_4arch9wavefront6targetE0EEEvT1_,"axG",@progbits,_ZN7rocprim17ROCPRIM_400000_NS6detail17trampoline_kernelINS0_14default_configENS1_25partition_config_selectorILNS1_17partition_subalgoE6EyNS0_10empty_typeEbEEZZNS1_14partition_implILS5_6ELb0ES3_mN6thrust23THRUST_200600_302600_NS6detail15normal_iteratorINSA_10device_ptrIyEEEEPS6_SG_NS0_5tupleIJSF_S6_EEENSH_IJSG_SG_EEES6_PlJNSB_9not_fun_tI7is_trueIyEEEEEE10hipError_tPvRmT3_T4_T5_T6_T7_T9_mT8_P12ihipStream_tbDpT10_ENKUlT_T0_E_clISt17integral_constantIbLb0EES18_EEDaS13_S14_EUlS13_E_NS1_11comp_targetILNS1_3genE5ELNS1_11target_archE942ELNS1_3gpuE9ELNS1_3repE0EEENS1_30default_config_static_selectorELNS0_4arch9wavefront6targetE0EEEvT1_,comdat
.Lfunc_end1110:
	.size	_ZN7rocprim17ROCPRIM_400000_NS6detail17trampoline_kernelINS0_14default_configENS1_25partition_config_selectorILNS1_17partition_subalgoE6EyNS0_10empty_typeEbEEZZNS1_14partition_implILS5_6ELb0ES3_mN6thrust23THRUST_200600_302600_NS6detail15normal_iteratorINSA_10device_ptrIyEEEEPS6_SG_NS0_5tupleIJSF_S6_EEENSH_IJSG_SG_EEES6_PlJNSB_9not_fun_tI7is_trueIyEEEEEE10hipError_tPvRmT3_T4_T5_T6_T7_T9_mT8_P12ihipStream_tbDpT10_ENKUlT_T0_E_clISt17integral_constantIbLb0EES18_EEDaS13_S14_EUlS13_E_NS1_11comp_targetILNS1_3genE5ELNS1_11target_archE942ELNS1_3gpuE9ELNS1_3repE0EEENS1_30default_config_static_selectorELNS0_4arch9wavefront6targetE0EEEvT1_, .Lfunc_end1110-_ZN7rocprim17ROCPRIM_400000_NS6detail17trampoline_kernelINS0_14default_configENS1_25partition_config_selectorILNS1_17partition_subalgoE6EyNS0_10empty_typeEbEEZZNS1_14partition_implILS5_6ELb0ES3_mN6thrust23THRUST_200600_302600_NS6detail15normal_iteratorINSA_10device_ptrIyEEEEPS6_SG_NS0_5tupleIJSF_S6_EEENSH_IJSG_SG_EEES6_PlJNSB_9not_fun_tI7is_trueIyEEEEEE10hipError_tPvRmT3_T4_T5_T6_T7_T9_mT8_P12ihipStream_tbDpT10_ENKUlT_T0_E_clISt17integral_constantIbLb0EES18_EEDaS13_S14_EUlS13_E_NS1_11comp_targetILNS1_3genE5ELNS1_11target_archE942ELNS1_3gpuE9ELNS1_3repE0EEENS1_30default_config_static_selectorELNS0_4arch9wavefront6targetE0EEEvT1_
                                        ; -- End function
	.set _ZN7rocprim17ROCPRIM_400000_NS6detail17trampoline_kernelINS0_14default_configENS1_25partition_config_selectorILNS1_17partition_subalgoE6EyNS0_10empty_typeEbEEZZNS1_14partition_implILS5_6ELb0ES3_mN6thrust23THRUST_200600_302600_NS6detail15normal_iteratorINSA_10device_ptrIyEEEEPS6_SG_NS0_5tupleIJSF_S6_EEENSH_IJSG_SG_EEES6_PlJNSB_9not_fun_tI7is_trueIyEEEEEE10hipError_tPvRmT3_T4_T5_T6_T7_T9_mT8_P12ihipStream_tbDpT10_ENKUlT_T0_E_clISt17integral_constantIbLb0EES18_EEDaS13_S14_EUlS13_E_NS1_11comp_targetILNS1_3genE5ELNS1_11target_archE942ELNS1_3gpuE9ELNS1_3repE0EEENS1_30default_config_static_selectorELNS0_4arch9wavefront6targetE0EEEvT1_.num_vgpr, 0
	.set _ZN7rocprim17ROCPRIM_400000_NS6detail17trampoline_kernelINS0_14default_configENS1_25partition_config_selectorILNS1_17partition_subalgoE6EyNS0_10empty_typeEbEEZZNS1_14partition_implILS5_6ELb0ES3_mN6thrust23THRUST_200600_302600_NS6detail15normal_iteratorINSA_10device_ptrIyEEEEPS6_SG_NS0_5tupleIJSF_S6_EEENSH_IJSG_SG_EEES6_PlJNSB_9not_fun_tI7is_trueIyEEEEEE10hipError_tPvRmT3_T4_T5_T6_T7_T9_mT8_P12ihipStream_tbDpT10_ENKUlT_T0_E_clISt17integral_constantIbLb0EES18_EEDaS13_S14_EUlS13_E_NS1_11comp_targetILNS1_3genE5ELNS1_11target_archE942ELNS1_3gpuE9ELNS1_3repE0EEENS1_30default_config_static_selectorELNS0_4arch9wavefront6targetE0EEEvT1_.num_agpr, 0
	.set _ZN7rocprim17ROCPRIM_400000_NS6detail17trampoline_kernelINS0_14default_configENS1_25partition_config_selectorILNS1_17partition_subalgoE6EyNS0_10empty_typeEbEEZZNS1_14partition_implILS5_6ELb0ES3_mN6thrust23THRUST_200600_302600_NS6detail15normal_iteratorINSA_10device_ptrIyEEEEPS6_SG_NS0_5tupleIJSF_S6_EEENSH_IJSG_SG_EEES6_PlJNSB_9not_fun_tI7is_trueIyEEEEEE10hipError_tPvRmT3_T4_T5_T6_T7_T9_mT8_P12ihipStream_tbDpT10_ENKUlT_T0_E_clISt17integral_constantIbLb0EES18_EEDaS13_S14_EUlS13_E_NS1_11comp_targetILNS1_3genE5ELNS1_11target_archE942ELNS1_3gpuE9ELNS1_3repE0EEENS1_30default_config_static_selectorELNS0_4arch9wavefront6targetE0EEEvT1_.numbered_sgpr, 0
	.set _ZN7rocprim17ROCPRIM_400000_NS6detail17trampoline_kernelINS0_14default_configENS1_25partition_config_selectorILNS1_17partition_subalgoE6EyNS0_10empty_typeEbEEZZNS1_14partition_implILS5_6ELb0ES3_mN6thrust23THRUST_200600_302600_NS6detail15normal_iteratorINSA_10device_ptrIyEEEEPS6_SG_NS0_5tupleIJSF_S6_EEENSH_IJSG_SG_EEES6_PlJNSB_9not_fun_tI7is_trueIyEEEEEE10hipError_tPvRmT3_T4_T5_T6_T7_T9_mT8_P12ihipStream_tbDpT10_ENKUlT_T0_E_clISt17integral_constantIbLb0EES18_EEDaS13_S14_EUlS13_E_NS1_11comp_targetILNS1_3genE5ELNS1_11target_archE942ELNS1_3gpuE9ELNS1_3repE0EEENS1_30default_config_static_selectorELNS0_4arch9wavefront6targetE0EEEvT1_.num_named_barrier, 0
	.set _ZN7rocprim17ROCPRIM_400000_NS6detail17trampoline_kernelINS0_14default_configENS1_25partition_config_selectorILNS1_17partition_subalgoE6EyNS0_10empty_typeEbEEZZNS1_14partition_implILS5_6ELb0ES3_mN6thrust23THRUST_200600_302600_NS6detail15normal_iteratorINSA_10device_ptrIyEEEEPS6_SG_NS0_5tupleIJSF_S6_EEENSH_IJSG_SG_EEES6_PlJNSB_9not_fun_tI7is_trueIyEEEEEE10hipError_tPvRmT3_T4_T5_T6_T7_T9_mT8_P12ihipStream_tbDpT10_ENKUlT_T0_E_clISt17integral_constantIbLb0EES18_EEDaS13_S14_EUlS13_E_NS1_11comp_targetILNS1_3genE5ELNS1_11target_archE942ELNS1_3gpuE9ELNS1_3repE0EEENS1_30default_config_static_selectorELNS0_4arch9wavefront6targetE0EEEvT1_.private_seg_size, 0
	.set _ZN7rocprim17ROCPRIM_400000_NS6detail17trampoline_kernelINS0_14default_configENS1_25partition_config_selectorILNS1_17partition_subalgoE6EyNS0_10empty_typeEbEEZZNS1_14partition_implILS5_6ELb0ES3_mN6thrust23THRUST_200600_302600_NS6detail15normal_iteratorINSA_10device_ptrIyEEEEPS6_SG_NS0_5tupleIJSF_S6_EEENSH_IJSG_SG_EEES6_PlJNSB_9not_fun_tI7is_trueIyEEEEEE10hipError_tPvRmT3_T4_T5_T6_T7_T9_mT8_P12ihipStream_tbDpT10_ENKUlT_T0_E_clISt17integral_constantIbLb0EES18_EEDaS13_S14_EUlS13_E_NS1_11comp_targetILNS1_3genE5ELNS1_11target_archE942ELNS1_3gpuE9ELNS1_3repE0EEENS1_30default_config_static_selectorELNS0_4arch9wavefront6targetE0EEEvT1_.uses_vcc, 0
	.set _ZN7rocprim17ROCPRIM_400000_NS6detail17trampoline_kernelINS0_14default_configENS1_25partition_config_selectorILNS1_17partition_subalgoE6EyNS0_10empty_typeEbEEZZNS1_14partition_implILS5_6ELb0ES3_mN6thrust23THRUST_200600_302600_NS6detail15normal_iteratorINSA_10device_ptrIyEEEEPS6_SG_NS0_5tupleIJSF_S6_EEENSH_IJSG_SG_EEES6_PlJNSB_9not_fun_tI7is_trueIyEEEEEE10hipError_tPvRmT3_T4_T5_T6_T7_T9_mT8_P12ihipStream_tbDpT10_ENKUlT_T0_E_clISt17integral_constantIbLb0EES18_EEDaS13_S14_EUlS13_E_NS1_11comp_targetILNS1_3genE5ELNS1_11target_archE942ELNS1_3gpuE9ELNS1_3repE0EEENS1_30default_config_static_selectorELNS0_4arch9wavefront6targetE0EEEvT1_.uses_flat_scratch, 0
	.set _ZN7rocprim17ROCPRIM_400000_NS6detail17trampoline_kernelINS0_14default_configENS1_25partition_config_selectorILNS1_17partition_subalgoE6EyNS0_10empty_typeEbEEZZNS1_14partition_implILS5_6ELb0ES3_mN6thrust23THRUST_200600_302600_NS6detail15normal_iteratorINSA_10device_ptrIyEEEEPS6_SG_NS0_5tupleIJSF_S6_EEENSH_IJSG_SG_EEES6_PlJNSB_9not_fun_tI7is_trueIyEEEEEE10hipError_tPvRmT3_T4_T5_T6_T7_T9_mT8_P12ihipStream_tbDpT10_ENKUlT_T0_E_clISt17integral_constantIbLb0EES18_EEDaS13_S14_EUlS13_E_NS1_11comp_targetILNS1_3genE5ELNS1_11target_archE942ELNS1_3gpuE9ELNS1_3repE0EEENS1_30default_config_static_selectorELNS0_4arch9wavefront6targetE0EEEvT1_.has_dyn_sized_stack, 0
	.set _ZN7rocprim17ROCPRIM_400000_NS6detail17trampoline_kernelINS0_14default_configENS1_25partition_config_selectorILNS1_17partition_subalgoE6EyNS0_10empty_typeEbEEZZNS1_14partition_implILS5_6ELb0ES3_mN6thrust23THRUST_200600_302600_NS6detail15normal_iteratorINSA_10device_ptrIyEEEEPS6_SG_NS0_5tupleIJSF_S6_EEENSH_IJSG_SG_EEES6_PlJNSB_9not_fun_tI7is_trueIyEEEEEE10hipError_tPvRmT3_T4_T5_T6_T7_T9_mT8_P12ihipStream_tbDpT10_ENKUlT_T0_E_clISt17integral_constantIbLb0EES18_EEDaS13_S14_EUlS13_E_NS1_11comp_targetILNS1_3genE5ELNS1_11target_archE942ELNS1_3gpuE9ELNS1_3repE0EEENS1_30default_config_static_selectorELNS0_4arch9wavefront6targetE0EEEvT1_.has_recursion, 0
	.set _ZN7rocprim17ROCPRIM_400000_NS6detail17trampoline_kernelINS0_14default_configENS1_25partition_config_selectorILNS1_17partition_subalgoE6EyNS0_10empty_typeEbEEZZNS1_14partition_implILS5_6ELb0ES3_mN6thrust23THRUST_200600_302600_NS6detail15normal_iteratorINSA_10device_ptrIyEEEEPS6_SG_NS0_5tupleIJSF_S6_EEENSH_IJSG_SG_EEES6_PlJNSB_9not_fun_tI7is_trueIyEEEEEE10hipError_tPvRmT3_T4_T5_T6_T7_T9_mT8_P12ihipStream_tbDpT10_ENKUlT_T0_E_clISt17integral_constantIbLb0EES18_EEDaS13_S14_EUlS13_E_NS1_11comp_targetILNS1_3genE5ELNS1_11target_archE942ELNS1_3gpuE9ELNS1_3repE0EEENS1_30default_config_static_selectorELNS0_4arch9wavefront6targetE0EEEvT1_.has_indirect_call, 0
	.section	.AMDGPU.csdata,"",@progbits
; Kernel info:
; codeLenInByte = 0
; TotalNumSgprs: 0
; NumVgprs: 0
; ScratchSize: 0
; MemoryBound: 0
; FloatMode: 240
; IeeeMode: 1
; LDSByteSize: 0 bytes/workgroup (compile time only)
; SGPRBlocks: 0
; VGPRBlocks: 0
; NumSGPRsForWavesPerEU: 1
; NumVGPRsForWavesPerEU: 1
; Occupancy: 16
; WaveLimiterHint : 0
; COMPUTE_PGM_RSRC2:SCRATCH_EN: 0
; COMPUTE_PGM_RSRC2:USER_SGPR: 2
; COMPUTE_PGM_RSRC2:TRAP_HANDLER: 0
; COMPUTE_PGM_RSRC2:TGID_X_EN: 1
; COMPUTE_PGM_RSRC2:TGID_Y_EN: 0
; COMPUTE_PGM_RSRC2:TGID_Z_EN: 0
; COMPUTE_PGM_RSRC2:TIDIG_COMP_CNT: 0
	.section	.text._ZN7rocprim17ROCPRIM_400000_NS6detail17trampoline_kernelINS0_14default_configENS1_25partition_config_selectorILNS1_17partition_subalgoE6EyNS0_10empty_typeEbEEZZNS1_14partition_implILS5_6ELb0ES3_mN6thrust23THRUST_200600_302600_NS6detail15normal_iteratorINSA_10device_ptrIyEEEEPS6_SG_NS0_5tupleIJSF_S6_EEENSH_IJSG_SG_EEES6_PlJNSB_9not_fun_tI7is_trueIyEEEEEE10hipError_tPvRmT3_T4_T5_T6_T7_T9_mT8_P12ihipStream_tbDpT10_ENKUlT_T0_E_clISt17integral_constantIbLb0EES18_EEDaS13_S14_EUlS13_E_NS1_11comp_targetILNS1_3genE4ELNS1_11target_archE910ELNS1_3gpuE8ELNS1_3repE0EEENS1_30default_config_static_selectorELNS0_4arch9wavefront6targetE0EEEvT1_,"axG",@progbits,_ZN7rocprim17ROCPRIM_400000_NS6detail17trampoline_kernelINS0_14default_configENS1_25partition_config_selectorILNS1_17partition_subalgoE6EyNS0_10empty_typeEbEEZZNS1_14partition_implILS5_6ELb0ES3_mN6thrust23THRUST_200600_302600_NS6detail15normal_iteratorINSA_10device_ptrIyEEEEPS6_SG_NS0_5tupleIJSF_S6_EEENSH_IJSG_SG_EEES6_PlJNSB_9not_fun_tI7is_trueIyEEEEEE10hipError_tPvRmT3_T4_T5_T6_T7_T9_mT8_P12ihipStream_tbDpT10_ENKUlT_T0_E_clISt17integral_constantIbLb0EES18_EEDaS13_S14_EUlS13_E_NS1_11comp_targetILNS1_3genE4ELNS1_11target_archE910ELNS1_3gpuE8ELNS1_3repE0EEENS1_30default_config_static_selectorELNS0_4arch9wavefront6targetE0EEEvT1_,comdat
	.protected	_ZN7rocprim17ROCPRIM_400000_NS6detail17trampoline_kernelINS0_14default_configENS1_25partition_config_selectorILNS1_17partition_subalgoE6EyNS0_10empty_typeEbEEZZNS1_14partition_implILS5_6ELb0ES3_mN6thrust23THRUST_200600_302600_NS6detail15normal_iteratorINSA_10device_ptrIyEEEEPS6_SG_NS0_5tupleIJSF_S6_EEENSH_IJSG_SG_EEES6_PlJNSB_9not_fun_tI7is_trueIyEEEEEE10hipError_tPvRmT3_T4_T5_T6_T7_T9_mT8_P12ihipStream_tbDpT10_ENKUlT_T0_E_clISt17integral_constantIbLb0EES18_EEDaS13_S14_EUlS13_E_NS1_11comp_targetILNS1_3genE4ELNS1_11target_archE910ELNS1_3gpuE8ELNS1_3repE0EEENS1_30default_config_static_selectorELNS0_4arch9wavefront6targetE0EEEvT1_ ; -- Begin function _ZN7rocprim17ROCPRIM_400000_NS6detail17trampoline_kernelINS0_14default_configENS1_25partition_config_selectorILNS1_17partition_subalgoE6EyNS0_10empty_typeEbEEZZNS1_14partition_implILS5_6ELb0ES3_mN6thrust23THRUST_200600_302600_NS6detail15normal_iteratorINSA_10device_ptrIyEEEEPS6_SG_NS0_5tupleIJSF_S6_EEENSH_IJSG_SG_EEES6_PlJNSB_9not_fun_tI7is_trueIyEEEEEE10hipError_tPvRmT3_T4_T5_T6_T7_T9_mT8_P12ihipStream_tbDpT10_ENKUlT_T0_E_clISt17integral_constantIbLb0EES18_EEDaS13_S14_EUlS13_E_NS1_11comp_targetILNS1_3genE4ELNS1_11target_archE910ELNS1_3gpuE8ELNS1_3repE0EEENS1_30default_config_static_selectorELNS0_4arch9wavefront6targetE0EEEvT1_
	.globl	_ZN7rocprim17ROCPRIM_400000_NS6detail17trampoline_kernelINS0_14default_configENS1_25partition_config_selectorILNS1_17partition_subalgoE6EyNS0_10empty_typeEbEEZZNS1_14partition_implILS5_6ELb0ES3_mN6thrust23THRUST_200600_302600_NS6detail15normal_iteratorINSA_10device_ptrIyEEEEPS6_SG_NS0_5tupleIJSF_S6_EEENSH_IJSG_SG_EEES6_PlJNSB_9not_fun_tI7is_trueIyEEEEEE10hipError_tPvRmT3_T4_T5_T6_T7_T9_mT8_P12ihipStream_tbDpT10_ENKUlT_T0_E_clISt17integral_constantIbLb0EES18_EEDaS13_S14_EUlS13_E_NS1_11comp_targetILNS1_3genE4ELNS1_11target_archE910ELNS1_3gpuE8ELNS1_3repE0EEENS1_30default_config_static_selectorELNS0_4arch9wavefront6targetE0EEEvT1_
	.p2align	8
	.type	_ZN7rocprim17ROCPRIM_400000_NS6detail17trampoline_kernelINS0_14default_configENS1_25partition_config_selectorILNS1_17partition_subalgoE6EyNS0_10empty_typeEbEEZZNS1_14partition_implILS5_6ELb0ES3_mN6thrust23THRUST_200600_302600_NS6detail15normal_iteratorINSA_10device_ptrIyEEEEPS6_SG_NS0_5tupleIJSF_S6_EEENSH_IJSG_SG_EEES6_PlJNSB_9not_fun_tI7is_trueIyEEEEEE10hipError_tPvRmT3_T4_T5_T6_T7_T9_mT8_P12ihipStream_tbDpT10_ENKUlT_T0_E_clISt17integral_constantIbLb0EES18_EEDaS13_S14_EUlS13_E_NS1_11comp_targetILNS1_3genE4ELNS1_11target_archE910ELNS1_3gpuE8ELNS1_3repE0EEENS1_30default_config_static_selectorELNS0_4arch9wavefront6targetE0EEEvT1_,@function
_ZN7rocprim17ROCPRIM_400000_NS6detail17trampoline_kernelINS0_14default_configENS1_25partition_config_selectorILNS1_17partition_subalgoE6EyNS0_10empty_typeEbEEZZNS1_14partition_implILS5_6ELb0ES3_mN6thrust23THRUST_200600_302600_NS6detail15normal_iteratorINSA_10device_ptrIyEEEEPS6_SG_NS0_5tupleIJSF_S6_EEENSH_IJSG_SG_EEES6_PlJNSB_9not_fun_tI7is_trueIyEEEEEE10hipError_tPvRmT3_T4_T5_T6_T7_T9_mT8_P12ihipStream_tbDpT10_ENKUlT_T0_E_clISt17integral_constantIbLb0EES18_EEDaS13_S14_EUlS13_E_NS1_11comp_targetILNS1_3genE4ELNS1_11target_archE910ELNS1_3gpuE8ELNS1_3repE0EEENS1_30default_config_static_selectorELNS0_4arch9wavefront6targetE0EEEvT1_: ; @_ZN7rocprim17ROCPRIM_400000_NS6detail17trampoline_kernelINS0_14default_configENS1_25partition_config_selectorILNS1_17partition_subalgoE6EyNS0_10empty_typeEbEEZZNS1_14partition_implILS5_6ELb0ES3_mN6thrust23THRUST_200600_302600_NS6detail15normal_iteratorINSA_10device_ptrIyEEEEPS6_SG_NS0_5tupleIJSF_S6_EEENSH_IJSG_SG_EEES6_PlJNSB_9not_fun_tI7is_trueIyEEEEEE10hipError_tPvRmT3_T4_T5_T6_T7_T9_mT8_P12ihipStream_tbDpT10_ENKUlT_T0_E_clISt17integral_constantIbLb0EES18_EEDaS13_S14_EUlS13_E_NS1_11comp_targetILNS1_3genE4ELNS1_11target_archE910ELNS1_3gpuE8ELNS1_3repE0EEENS1_30default_config_static_selectorELNS0_4arch9wavefront6targetE0EEEvT1_
; %bb.0:
	.section	.rodata,"a",@progbits
	.p2align	6, 0x0
	.amdhsa_kernel _ZN7rocprim17ROCPRIM_400000_NS6detail17trampoline_kernelINS0_14default_configENS1_25partition_config_selectorILNS1_17partition_subalgoE6EyNS0_10empty_typeEbEEZZNS1_14partition_implILS5_6ELb0ES3_mN6thrust23THRUST_200600_302600_NS6detail15normal_iteratorINSA_10device_ptrIyEEEEPS6_SG_NS0_5tupleIJSF_S6_EEENSH_IJSG_SG_EEES6_PlJNSB_9not_fun_tI7is_trueIyEEEEEE10hipError_tPvRmT3_T4_T5_T6_T7_T9_mT8_P12ihipStream_tbDpT10_ENKUlT_T0_E_clISt17integral_constantIbLb0EES18_EEDaS13_S14_EUlS13_E_NS1_11comp_targetILNS1_3genE4ELNS1_11target_archE910ELNS1_3gpuE8ELNS1_3repE0EEENS1_30default_config_static_selectorELNS0_4arch9wavefront6targetE0EEEvT1_
		.amdhsa_group_segment_fixed_size 0
		.amdhsa_private_segment_fixed_size 0
		.amdhsa_kernarg_size 112
		.amdhsa_user_sgpr_count 2
		.amdhsa_user_sgpr_dispatch_ptr 0
		.amdhsa_user_sgpr_queue_ptr 0
		.amdhsa_user_sgpr_kernarg_segment_ptr 1
		.amdhsa_user_sgpr_dispatch_id 0
		.amdhsa_user_sgpr_private_segment_size 0
		.amdhsa_wavefront_size32 1
		.amdhsa_uses_dynamic_stack 0
		.amdhsa_enable_private_segment 0
		.amdhsa_system_sgpr_workgroup_id_x 1
		.amdhsa_system_sgpr_workgroup_id_y 0
		.amdhsa_system_sgpr_workgroup_id_z 0
		.amdhsa_system_sgpr_workgroup_info 0
		.amdhsa_system_vgpr_workitem_id 0
		.amdhsa_next_free_vgpr 1
		.amdhsa_next_free_sgpr 1
		.amdhsa_reserve_vcc 0
		.amdhsa_float_round_mode_32 0
		.amdhsa_float_round_mode_16_64 0
		.amdhsa_float_denorm_mode_32 3
		.amdhsa_float_denorm_mode_16_64 3
		.amdhsa_fp16_overflow 0
		.amdhsa_workgroup_processor_mode 1
		.amdhsa_memory_ordered 1
		.amdhsa_forward_progress 1
		.amdhsa_inst_pref_size 0
		.amdhsa_round_robin_scheduling 0
		.amdhsa_exception_fp_ieee_invalid_op 0
		.amdhsa_exception_fp_denorm_src 0
		.amdhsa_exception_fp_ieee_div_zero 0
		.amdhsa_exception_fp_ieee_overflow 0
		.amdhsa_exception_fp_ieee_underflow 0
		.amdhsa_exception_fp_ieee_inexact 0
		.amdhsa_exception_int_div_zero 0
	.end_amdhsa_kernel
	.section	.text._ZN7rocprim17ROCPRIM_400000_NS6detail17trampoline_kernelINS0_14default_configENS1_25partition_config_selectorILNS1_17partition_subalgoE6EyNS0_10empty_typeEbEEZZNS1_14partition_implILS5_6ELb0ES3_mN6thrust23THRUST_200600_302600_NS6detail15normal_iteratorINSA_10device_ptrIyEEEEPS6_SG_NS0_5tupleIJSF_S6_EEENSH_IJSG_SG_EEES6_PlJNSB_9not_fun_tI7is_trueIyEEEEEE10hipError_tPvRmT3_T4_T5_T6_T7_T9_mT8_P12ihipStream_tbDpT10_ENKUlT_T0_E_clISt17integral_constantIbLb0EES18_EEDaS13_S14_EUlS13_E_NS1_11comp_targetILNS1_3genE4ELNS1_11target_archE910ELNS1_3gpuE8ELNS1_3repE0EEENS1_30default_config_static_selectorELNS0_4arch9wavefront6targetE0EEEvT1_,"axG",@progbits,_ZN7rocprim17ROCPRIM_400000_NS6detail17trampoline_kernelINS0_14default_configENS1_25partition_config_selectorILNS1_17partition_subalgoE6EyNS0_10empty_typeEbEEZZNS1_14partition_implILS5_6ELb0ES3_mN6thrust23THRUST_200600_302600_NS6detail15normal_iteratorINSA_10device_ptrIyEEEEPS6_SG_NS0_5tupleIJSF_S6_EEENSH_IJSG_SG_EEES6_PlJNSB_9not_fun_tI7is_trueIyEEEEEE10hipError_tPvRmT3_T4_T5_T6_T7_T9_mT8_P12ihipStream_tbDpT10_ENKUlT_T0_E_clISt17integral_constantIbLb0EES18_EEDaS13_S14_EUlS13_E_NS1_11comp_targetILNS1_3genE4ELNS1_11target_archE910ELNS1_3gpuE8ELNS1_3repE0EEENS1_30default_config_static_selectorELNS0_4arch9wavefront6targetE0EEEvT1_,comdat
.Lfunc_end1111:
	.size	_ZN7rocprim17ROCPRIM_400000_NS6detail17trampoline_kernelINS0_14default_configENS1_25partition_config_selectorILNS1_17partition_subalgoE6EyNS0_10empty_typeEbEEZZNS1_14partition_implILS5_6ELb0ES3_mN6thrust23THRUST_200600_302600_NS6detail15normal_iteratorINSA_10device_ptrIyEEEEPS6_SG_NS0_5tupleIJSF_S6_EEENSH_IJSG_SG_EEES6_PlJNSB_9not_fun_tI7is_trueIyEEEEEE10hipError_tPvRmT3_T4_T5_T6_T7_T9_mT8_P12ihipStream_tbDpT10_ENKUlT_T0_E_clISt17integral_constantIbLb0EES18_EEDaS13_S14_EUlS13_E_NS1_11comp_targetILNS1_3genE4ELNS1_11target_archE910ELNS1_3gpuE8ELNS1_3repE0EEENS1_30default_config_static_selectorELNS0_4arch9wavefront6targetE0EEEvT1_, .Lfunc_end1111-_ZN7rocprim17ROCPRIM_400000_NS6detail17trampoline_kernelINS0_14default_configENS1_25partition_config_selectorILNS1_17partition_subalgoE6EyNS0_10empty_typeEbEEZZNS1_14partition_implILS5_6ELb0ES3_mN6thrust23THRUST_200600_302600_NS6detail15normal_iteratorINSA_10device_ptrIyEEEEPS6_SG_NS0_5tupleIJSF_S6_EEENSH_IJSG_SG_EEES6_PlJNSB_9not_fun_tI7is_trueIyEEEEEE10hipError_tPvRmT3_T4_T5_T6_T7_T9_mT8_P12ihipStream_tbDpT10_ENKUlT_T0_E_clISt17integral_constantIbLb0EES18_EEDaS13_S14_EUlS13_E_NS1_11comp_targetILNS1_3genE4ELNS1_11target_archE910ELNS1_3gpuE8ELNS1_3repE0EEENS1_30default_config_static_selectorELNS0_4arch9wavefront6targetE0EEEvT1_
                                        ; -- End function
	.set _ZN7rocprim17ROCPRIM_400000_NS6detail17trampoline_kernelINS0_14default_configENS1_25partition_config_selectorILNS1_17partition_subalgoE6EyNS0_10empty_typeEbEEZZNS1_14partition_implILS5_6ELb0ES3_mN6thrust23THRUST_200600_302600_NS6detail15normal_iteratorINSA_10device_ptrIyEEEEPS6_SG_NS0_5tupleIJSF_S6_EEENSH_IJSG_SG_EEES6_PlJNSB_9not_fun_tI7is_trueIyEEEEEE10hipError_tPvRmT3_T4_T5_T6_T7_T9_mT8_P12ihipStream_tbDpT10_ENKUlT_T0_E_clISt17integral_constantIbLb0EES18_EEDaS13_S14_EUlS13_E_NS1_11comp_targetILNS1_3genE4ELNS1_11target_archE910ELNS1_3gpuE8ELNS1_3repE0EEENS1_30default_config_static_selectorELNS0_4arch9wavefront6targetE0EEEvT1_.num_vgpr, 0
	.set _ZN7rocprim17ROCPRIM_400000_NS6detail17trampoline_kernelINS0_14default_configENS1_25partition_config_selectorILNS1_17partition_subalgoE6EyNS0_10empty_typeEbEEZZNS1_14partition_implILS5_6ELb0ES3_mN6thrust23THRUST_200600_302600_NS6detail15normal_iteratorINSA_10device_ptrIyEEEEPS6_SG_NS0_5tupleIJSF_S6_EEENSH_IJSG_SG_EEES6_PlJNSB_9not_fun_tI7is_trueIyEEEEEE10hipError_tPvRmT3_T4_T5_T6_T7_T9_mT8_P12ihipStream_tbDpT10_ENKUlT_T0_E_clISt17integral_constantIbLb0EES18_EEDaS13_S14_EUlS13_E_NS1_11comp_targetILNS1_3genE4ELNS1_11target_archE910ELNS1_3gpuE8ELNS1_3repE0EEENS1_30default_config_static_selectorELNS0_4arch9wavefront6targetE0EEEvT1_.num_agpr, 0
	.set _ZN7rocprim17ROCPRIM_400000_NS6detail17trampoline_kernelINS0_14default_configENS1_25partition_config_selectorILNS1_17partition_subalgoE6EyNS0_10empty_typeEbEEZZNS1_14partition_implILS5_6ELb0ES3_mN6thrust23THRUST_200600_302600_NS6detail15normal_iteratorINSA_10device_ptrIyEEEEPS6_SG_NS0_5tupleIJSF_S6_EEENSH_IJSG_SG_EEES6_PlJNSB_9not_fun_tI7is_trueIyEEEEEE10hipError_tPvRmT3_T4_T5_T6_T7_T9_mT8_P12ihipStream_tbDpT10_ENKUlT_T0_E_clISt17integral_constantIbLb0EES18_EEDaS13_S14_EUlS13_E_NS1_11comp_targetILNS1_3genE4ELNS1_11target_archE910ELNS1_3gpuE8ELNS1_3repE0EEENS1_30default_config_static_selectorELNS0_4arch9wavefront6targetE0EEEvT1_.numbered_sgpr, 0
	.set _ZN7rocprim17ROCPRIM_400000_NS6detail17trampoline_kernelINS0_14default_configENS1_25partition_config_selectorILNS1_17partition_subalgoE6EyNS0_10empty_typeEbEEZZNS1_14partition_implILS5_6ELb0ES3_mN6thrust23THRUST_200600_302600_NS6detail15normal_iteratorINSA_10device_ptrIyEEEEPS6_SG_NS0_5tupleIJSF_S6_EEENSH_IJSG_SG_EEES6_PlJNSB_9not_fun_tI7is_trueIyEEEEEE10hipError_tPvRmT3_T4_T5_T6_T7_T9_mT8_P12ihipStream_tbDpT10_ENKUlT_T0_E_clISt17integral_constantIbLb0EES18_EEDaS13_S14_EUlS13_E_NS1_11comp_targetILNS1_3genE4ELNS1_11target_archE910ELNS1_3gpuE8ELNS1_3repE0EEENS1_30default_config_static_selectorELNS0_4arch9wavefront6targetE0EEEvT1_.num_named_barrier, 0
	.set _ZN7rocprim17ROCPRIM_400000_NS6detail17trampoline_kernelINS0_14default_configENS1_25partition_config_selectorILNS1_17partition_subalgoE6EyNS0_10empty_typeEbEEZZNS1_14partition_implILS5_6ELb0ES3_mN6thrust23THRUST_200600_302600_NS6detail15normal_iteratorINSA_10device_ptrIyEEEEPS6_SG_NS0_5tupleIJSF_S6_EEENSH_IJSG_SG_EEES6_PlJNSB_9not_fun_tI7is_trueIyEEEEEE10hipError_tPvRmT3_T4_T5_T6_T7_T9_mT8_P12ihipStream_tbDpT10_ENKUlT_T0_E_clISt17integral_constantIbLb0EES18_EEDaS13_S14_EUlS13_E_NS1_11comp_targetILNS1_3genE4ELNS1_11target_archE910ELNS1_3gpuE8ELNS1_3repE0EEENS1_30default_config_static_selectorELNS0_4arch9wavefront6targetE0EEEvT1_.private_seg_size, 0
	.set _ZN7rocprim17ROCPRIM_400000_NS6detail17trampoline_kernelINS0_14default_configENS1_25partition_config_selectorILNS1_17partition_subalgoE6EyNS0_10empty_typeEbEEZZNS1_14partition_implILS5_6ELb0ES3_mN6thrust23THRUST_200600_302600_NS6detail15normal_iteratorINSA_10device_ptrIyEEEEPS6_SG_NS0_5tupleIJSF_S6_EEENSH_IJSG_SG_EEES6_PlJNSB_9not_fun_tI7is_trueIyEEEEEE10hipError_tPvRmT3_T4_T5_T6_T7_T9_mT8_P12ihipStream_tbDpT10_ENKUlT_T0_E_clISt17integral_constantIbLb0EES18_EEDaS13_S14_EUlS13_E_NS1_11comp_targetILNS1_3genE4ELNS1_11target_archE910ELNS1_3gpuE8ELNS1_3repE0EEENS1_30default_config_static_selectorELNS0_4arch9wavefront6targetE0EEEvT1_.uses_vcc, 0
	.set _ZN7rocprim17ROCPRIM_400000_NS6detail17trampoline_kernelINS0_14default_configENS1_25partition_config_selectorILNS1_17partition_subalgoE6EyNS0_10empty_typeEbEEZZNS1_14partition_implILS5_6ELb0ES3_mN6thrust23THRUST_200600_302600_NS6detail15normal_iteratorINSA_10device_ptrIyEEEEPS6_SG_NS0_5tupleIJSF_S6_EEENSH_IJSG_SG_EEES6_PlJNSB_9not_fun_tI7is_trueIyEEEEEE10hipError_tPvRmT3_T4_T5_T6_T7_T9_mT8_P12ihipStream_tbDpT10_ENKUlT_T0_E_clISt17integral_constantIbLb0EES18_EEDaS13_S14_EUlS13_E_NS1_11comp_targetILNS1_3genE4ELNS1_11target_archE910ELNS1_3gpuE8ELNS1_3repE0EEENS1_30default_config_static_selectorELNS0_4arch9wavefront6targetE0EEEvT1_.uses_flat_scratch, 0
	.set _ZN7rocprim17ROCPRIM_400000_NS6detail17trampoline_kernelINS0_14default_configENS1_25partition_config_selectorILNS1_17partition_subalgoE6EyNS0_10empty_typeEbEEZZNS1_14partition_implILS5_6ELb0ES3_mN6thrust23THRUST_200600_302600_NS6detail15normal_iteratorINSA_10device_ptrIyEEEEPS6_SG_NS0_5tupleIJSF_S6_EEENSH_IJSG_SG_EEES6_PlJNSB_9not_fun_tI7is_trueIyEEEEEE10hipError_tPvRmT3_T4_T5_T6_T7_T9_mT8_P12ihipStream_tbDpT10_ENKUlT_T0_E_clISt17integral_constantIbLb0EES18_EEDaS13_S14_EUlS13_E_NS1_11comp_targetILNS1_3genE4ELNS1_11target_archE910ELNS1_3gpuE8ELNS1_3repE0EEENS1_30default_config_static_selectorELNS0_4arch9wavefront6targetE0EEEvT1_.has_dyn_sized_stack, 0
	.set _ZN7rocprim17ROCPRIM_400000_NS6detail17trampoline_kernelINS0_14default_configENS1_25partition_config_selectorILNS1_17partition_subalgoE6EyNS0_10empty_typeEbEEZZNS1_14partition_implILS5_6ELb0ES3_mN6thrust23THRUST_200600_302600_NS6detail15normal_iteratorINSA_10device_ptrIyEEEEPS6_SG_NS0_5tupleIJSF_S6_EEENSH_IJSG_SG_EEES6_PlJNSB_9not_fun_tI7is_trueIyEEEEEE10hipError_tPvRmT3_T4_T5_T6_T7_T9_mT8_P12ihipStream_tbDpT10_ENKUlT_T0_E_clISt17integral_constantIbLb0EES18_EEDaS13_S14_EUlS13_E_NS1_11comp_targetILNS1_3genE4ELNS1_11target_archE910ELNS1_3gpuE8ELNS1_3repE0EEENS1_30default_config_static_selectorELNS0_4arch9wavefront6targetE0EEEvT1_.has_recursion, 0
	.set _ZN7rocprim17ROCPRIM_400000_NS6detail17trampoline_kernelINS0_14default_configENS1_25partition_config_selectorILNS1_17partition_subalgoE6EyNS0_10empty_typeEbEEZZNS1_14partition_implILS5_6ELb0ES3_mN6thrust23THRUST_200600_302600_NS6detail15normal_iteratorINSA_10device_ptrIyEEEEPS6_SG_NS0_5tupleIJSF_S6_EEENSH_IJSG_SG_EEES6_PlJNSB_9not_fun_tI7is_trueIyEEEEEE10hipError_tPvRmT3_T4_T5_T6_T7_T9_mT8_P12ihipStream_tbDpT10_ENKUlT_T0_E_clISt17integral_constantIbLb0EES18_EEDaS13_S14_EUlS13_E_NS1_11comp_targetILNS1_3genE4ELNS1_11target_archE910ELNS1_3gpuE8ELNS1_3repE0EEENS1_30default_config_static_selectorELNS0_4arch9wavefront6targetE0EEEvT1_.has_indirect_call, 0
	.section	.AMDGPU.csdata,"",@progbits
; Kernel info:
; codeLenInByte = 0
; TotalNumSgprs: 0
; NumVgprs: 0
; ScratchSize: 0
; MemoryBound: 0
; FloatMode: 240
; IeeeMode: 1
; LDSByteSize: 0 bytes/workgroup (compile time only)
; SGPRBlocks: 0
; VGPRBlocks: 0
; NumSGPRsForWavesPerEU: 1
; NumVGPRsForWavesPerEU: 1
; Occupancy: 16
; WaveLimiterHint : 0
; COMPUTE_PGM_RSRC2:SCRATCH_EN: 0
; COMPUTE_PGM_RSRC2:USER_SGPR: 2
; COMPUTE_PGM_RSRC2:TRAP_HANDLER: 0
; COMPUTE_PGM_RSRC2:TGID_X_EN: 1
; COMPUTE_PGM_RSRC2:TGID_Y_EN: 0
; COMPUTE_PGM_RSRC2:TGID_Z_EN: 0
; COMPUTE_PGM_RSRC2:TIDIG_COMP_CNT: 0
	.section	.text._ZN7rocprim17ROCPRIM_400000_NS6detail17trampoline_kernelINS0_14default_configENS1_25partition_config_selectorILNS1_17partition_subalgoE6EyNS0_10empty_typeEbEEZZNS1_14partition_implILS5_6ELb0ES3_mN6thrust23THRUST_200600_302600_NS6detail15normal_iteratorINSA_10device_ptrIyEEEEPS6_SG_NS0_5tupleIJSF_S6_EEENSH_IJSG_SG_EEES6_PlJNSB_9not_fun_tI7is_trueIyEEEEEE10hipError_tPvRmT3_T4_T5_T6_T7_T9_mT8_P12ihipStream_tbDpT10_ENKUlT_T0_E_clISt17integral_constantIbLb0EES18_EEDaS13_S14_EUlS13_E_NS1_11comp_targetILNS1_3genE3ELNS1_11target_archE908ELNS1_3gpuE7ELNS1_3repE0EEENS1_30default_config_static_selectorELNS0_4arch9wavefront6targetE0EEEvT1_,"axG",@progbits,_ZN7rocprim17ROCPRIM_400000_NS6detail17trampoline_kernelINS0_14default_configENS1_25partition_config_selectorILNS1_17partition_subalgoE6EyNS0_10empty_typeEbEEZZNS1_14partition_implILS5_6ELb0ES3_mN6thrust23THRUST_200600_302600_NS6detail15normal_iteratorINSA_10device_ptrIyEEEEPS6_SG_NS0_5tupleIJSF_S6_EEENSH_IJSG_SG_EEES6_PlJNSB_9not_fun_tI7is_trueIyEEEEEE10hipError_tPvRmT3_T4_T5_T6_T7_T9_mT8_P12ihipStream_tbDpT10_ENKUlT_T0_E_clISt17integral_constantIbLb0EES18_EEDaS13_S14_EUlS13_E_NS1_11comp_targetILNS1_3genE3ELNS1_11target_archE908ELNS1_3gpuE7ELNS1_3repE0EEENS1_30default_config_static_selectorELNS0_4arch9wavefront6targetE0EEEvT1_,comdat
	.protected	_ZN7rocprim17ROCPRIM_400000_NS6detail17trampoline_kernelINS0_14default_configENS1_25partition_config_selectorILNS1_17partition_subalgoE6EyNS0_10empty_typeEbEEZZNS1_14partition_implILS5_6ELb0ES3_mN6thrust23THRUST_200600_302600_NS6detail15normal_iteratorINSA_10device_ptrIyEEEEPS6_SG_NS0_5tupleIJSF_S6_EEENSH_IJSG_SG_EEES6_PlJNSB_9not_fun_tI7is_trueIyEEEEEE10hipError_tPvRmT3_T4_T5_T6_T7_T9_mT8_P12ihipStream_tbDpT10_ENKUlT_T0_E_clISt17integral_constantIbLb0EES18_EEDaS13_S14_EUlS13_E_NS1_11comp_targetILNS1_3genE3ELNS1_11target_archE908ELNS1_3gpuE7ELNS1_3repE0EEENS1_30default_config_static_selectorELNS0_4arch9wavefront6targetE0EEEvT1_ ; -- Begin function _ZN7rocprim17ROCPRIM_400000_NS6detail17trampoline_kernelINS0_14default_configENS1_25partition_config_selectorILNS1_17partition_subalgoE6EyNS0_10empty_typeEbEEZZNS1_14partition_implILS5_6ELb0ES3_mN6thrust23THRUST_200600_302600_NS6detail15normal_iteratorINSA_10device_ptrIyEEEEPS6_SG_NS0_5tupleIJSF_S6_EEENSH_IJSG_SG_EEES6_PlJNSB_9not_fun_tI7is_trueIyEEEEEE10hipError_tPvRmT3_T4_T5_T6_T7_T9_mT8_P12ihipStream_tbDpT10_ENKUlT_T0_E_clISt17integral_constantIbLb0EES18_EEDaS13_S14_EUlS13_E_NS1_11comp_targetILNS1_3genE3ELNS1_11target_archE908ELNS1_3gpuE7ELNS1_3repE0EEENS1_30default_config_static_selectorELNS0_4arch9wavefront6targetE0EEEvT1_
	.globl	_ZN7rocprim17ROCPRIM_400000_NS6detail17trampoline_kernelINS0_14default_configENS1_25partition_config_selectorILNS1_17partition_subalgoE6EyNS0_10empty_typeEbEEZZNS1_14partition_implILS5_6ELb0ES3_mN6thrust23THRUST_200600_302600_NS6detail15normal_iteratorINSA_10device_ptrIyEEEEPS6_SG_NS0_5tupleIJSF_S6_EEENSH_IJSG_SG_EEES6_PlJNSB_9not_fun_tI7is_trueIyEEEEEE10hipError_tPvRmT3_T4_T5_T6_T7_T9_mT8_P12ihipStream_tbDpT10_ENKUlT_T0_E_clISt17integral_constantIbLb0EES18_EEDaS13_S14_EUlS13_E_NS1_11comp_targetILNS1_3genE3ELNS1_11target_archE908ELNS1_3gpuE7ELNS1_3repE0EEENS1_30default_config_static_selectorELNS0_4arch9wavefront6targetE0EEEvT1_
	.p2align	8
	.type	_ZN7rocprim17ROCPRIM_400000_NS6detail17trampoline_kernelINS0_14default_configENS1_25partition_config_selectorILNS1_17partition_subalgoE6EyNS0_10empty_typeEbEEZZNS1_14partition_implILS5_6ELb0ES3_mN6thrust23THRUST_200600_302600_NS6detail15normal_iteratorINSA_10device_ptrIyEEEEPS6_SG_NS0_5tupleIJSF_S6_EEENSH_IJSG_SG_EEES6_PlJNSB_9not_fun_tI7is_trueIyEEEEEE10hipError_tPvRmT3_T4_T5_T6_T7_T9_mT8_P12ihipStream_tbDpT10_ENKUlT_T0_E_clISt17integral_constantIbLb0EES18_EEDaS13_S14_EUlS13_E_NS1_11comp_targetILNS1_3genE3ELNS1_11target_archE908ELNS1_3gpuE7ELNS1_3repE0EEENS1_30default_config_static_selectorELNS0_4arch9wavefront6targetE0EEEvT1_,@function
_ZN7rocprim17ROCPRIM_400000_NS6detail17trampoline_kernelINS0_14default_configENS1_25partition_config_selectorILNS1_17partition_subalgoE6EyNS0_10empty_typeEbEEZZNS1_14partition_implILS5_6ELb0ES3_mN6thrust23THRUST_200600_302600_NS6detail15normal_iteratorINSA_10device_ptrIyEEEEPS6_SG_NS0_5tupleIJSF_S6_EEENSH_IJSG_SG_EEES6_PlJNSB_9not_fun_tI7is_trueIyEEEEEE10hipError_tPvRmT3_T4_T5_T6_T7_T9_mT8_P12ihipStream_tbDpT10_ENKUlT_T0_E_clISt17integral_constantIbLb0EES18_EEDaS13_S14_EUlS13_E_NS1_11comp_targetILNS1_3genE3ELNS1_11target_archE908ELNS1_3gpuE7ELNS1_3repE0EEENS1_30default_config_static_selectorELNS0_4arch9wavefront6targetE0EEEvT1_: ; @_ZN7rocprim17ROCPRIM_400000_NS6detail17trampoline_kernelINS0_14default_configENS1_25partition_config_selectorILNS1_17partition_subalgoE6EyNS0_10empty_typeEbEEZZNS1_14partition_implILS5_6ELb0ES3_mN6thrust23THRUST_200600_302600_NS6detail15normal_iteratorINSA_10device_ptrIyEEEEPS6_SG_NS0_5tupleIJSF_S6_EEENSH_IJSG_SG_EEES6_PlJNSB_9not_fun_tI7is_trueIyEEEEEE10hipError_tPvRmT3_T4_T5_T6_T7_T9_mT8_P12ihipStream_tbDpT10_ENKUlT_T0_E_clISt17integral_constantIbLb0EES18_EEDaS13_S14_EUlS13_E_NS1_11comp_targetILNS1_3genE3ELNS1_11target_archE908ELNS1_3gpuE7ELNS1_3repE0EEENS1_30default_config_static_selectorELNS0_4arch9wavefront6targetE0EEEvT1_
; %bb.0:
	.section	.rodata,"a",@progbits
	.p2align	6, 0x0
	.amdhsa_kernel _ZN7rocprim17ROCPRIM_400000_NS6detail17trampoline_kernelINS0_14default_configENS1_25partition_config_selectorILNS1_17partition_subalgoE6EyNS0_10empty_typeEbEEZZNS1_14partition_implILS5_6ELb0ES3_mN6thrust23THRUST_200600_302600_NS6detail15normal_iteratorINSA_10device_ptrIyEEEEPS6_SG_NS0_5tupleIJSF_S6_EEENSH_IJSG_SG_EEES6_PlJNSB_9not_fun_tI7is_trueIyEEEEEE10hipError_tPvRmT3_T4_T5_T6_T7_T9_mT8_P12ihipStream_tbDpT10_ENKUlT_T0_E_clISt17integral_constantIbLb0EES18_EEDaS13_S14_EUlS13_E_NS1_11comp_targetILNS1_3genE3ELNS1_11target_archE908ELNS1_3gpuE7ELNS1_3repE0EEENS1_30default_config_static_selectorELNS0_4arch9wavefront6targetE0EEEvT1_
		.amdhsa_group_segment_fixed_size 0
		.amdhsa_private_segment_fixed_size 0
		.amdhsa_kernarg_size 112
		.amdhsa_user_sgpr_count 2
		.amdhsa_user_sgpr_dispatch_ptr 0
		.amdhsa_user_sgpr_queue_ptr 0
		.amdhsa_user_sgpr_kernarg_segment_ptr 1
		.amdhsa_user_sgpr_dispatch_id 0
		.amdhsa_user_sgpr_private_segment_size 0
		.amdhsa_wavefront_size32 1
		.amdhsa_uses_dynamic_stack 0
		.amdhsa_enable_private_segment 0
		.amdhsa_system_sgpr_workgroup_id_x 1
		.amdhsa_system_sgpr_workgroup_id_y 0
		.amdhsa_system_sgpr_workgroup_id_z 0
		.amdhsa_system_sgpr_workgroup_info 0
		.amdhsa_system_vgpr_workitem_id 0
		.amdhsa_next_free_vgpr 1
		.amdhsa_next_free_sgpr 1
		.amdhsa_reserve_vcc 0
		.amdhsa_float_round_mode_32 0
		.amdhsa_float_round_mode_16_64 0
		.amdhsa_float_denorm_mode_32 3
		.amdhsa_float_denorm_mode_16_64 3
		.amdhsa_fp16_overflow 0
		.amdhsa_workgroup_processor_mode 1
		.amdhsa_memory_ordered 1
		.amdhsa_forward_progress 1
		.amdhsa_inst_pref_size 0
		.amdhsa_round_robin_scheduling 0
		.amdhsa_exception_fp_ieee_invalid_op 0
		.amdhsa_exception_fp_denorm_src 0
		.amdhsa_exception_fp_ieee_div_zero 0
		.amdhsa_exception_fp_ieee_overflow 0
		.amdhsa_exception_fp_ieee_underflow 0
		.amdhsa_exception_fp_ieee_inexact 0
		.amdhsa_exception_int_div_zero 0
	.end_amdhsa_kernel
	.section	.text._ZN7rocprim17ROCPRIM_400000_NS6detail17trampoline_kernelINS0_14default_configENS1_25partition_config_selectorILNS1_17partition_subalgoE6EyNS0_10empty_typeEbEEZZNS1_14partition_implILS5_6ELb0ES3_mN6thrust23THRUST_200600_302600_NS6detail15normal_iteratorINSA_10device_ptrIyEEEEPS6_SG_NS0_5tupleIJSF_S6_EEENSH_IJSG_SG_EEES6_PlJNSB_9not_fun_tI7is_trueIyEEEEEE10hipError_tPvRmT3_T4_T5_T6_T7_T9_mT8_P12ihipStream_tbDpT10_ENKUlT_T0_E_clISt17integral_constantIbLb0EES18_EEDaS13_S14_EUlS13_E_NS1_11comp_targetILNS1_3genE3ELNS1_11target_archE908ELNS1_3gpuE7ELNS1_3repE0EEENS1_30default_config_static_selectorELNS0_4arch9wavefront6targetE0EEEvT1_,"axG",@progbits,_ZN7rocprim17ROCPRIM_400000_NS6detail17trampoline_kernelINS0_14default_configENS1_25partition_config_selectorILNS1_17partition_subalgoE6EyNS0_10empty_typeEbEEZZNS1_14partition_implILS5_6ELb0ES3_mN6thrust23THRUST_200600_302600_NS6detail15normal_iteratorINSA_10device_ptrIyEEEEPS6_SG_NS0_5tupleIJSF_S6_EEENSH_IJSG_SG_EEES6_PlJNSB_9not_fun_tI7is_trueIyEEEEEE10hipError_tPvRmT3_T4_T5_T6_T7_T9_mT8_P12ihipStream_tbDpT10_ENKUlT_T0_E_clISt17integral_constantIbLb0EES18_EEDaS13_S14_EUlS13_E_NS1_11comp_targetILNS1_3genE3ELNS1_11target_archE908ELNS1_3gpuE7ELNS1_3repE0EEENS1_30default_config_static_selectorELNS0_4arch9wavefront6targetE0EEEvT1_,comdat
.Lfunc_end1112:
	.size	_ZN7rocprim17ROCPRIM_400000_NS6detail17trampoline_kernelINS0_14default_configENS1_25partition_config_selectorILNS1_17partition_subalgoE6EyNS0_10empty_typeEbEEZZNS1_14partition_implILS5_6ELb0ES3_mN6thrust23THRUST_200600_302600_NS6detail15normal_iteratorINSA_10device_ptrIyEEEEPS6_SG_NS0_5tupleIJSF_S6_EEENSH_IJSG_SG_EEES6_PlJNSB_9not_fun_tI7is_trueIyEEEEEE10hipError_tPvRmT3_T4_T5_T6_T7_T9_mT8_P12ihipStream_tbDpT10_ENKUlT_T0_E_clISt17integral_constantIbLb0EES18_EEDaS13_S14_EUlS13_E_NS1_11comp_targetILNS1_3genE3ELNS1_11target_archE908ELNS1_3gpuE7ELNS1_3repE0EEENS1_30default_config_static_selectorELNS0_4arch9wavefront6targetE0EEEvT1_, .Lfunc_end1112-_ZN7rocprim17ROCPRIM_400000_NS6detail17trampoline_kernelINS0_14default_configENS1_25partition_config_selectorILNS1_17partition_subalgoE6EyNS0_10empty_typeEbEEZZNS1_14partition_implILS5_6ELb0ES3_mN6thrust23THRUST_200600_302600_NS6detail15normal_iteratorINSA_10device_ptrIyEEEEPS6_SG_NS0_5tupleIJSF_S6_EEENSH_IJSG_SG_EEES6_PlJNSB_9not_fun_tI7is_trueIyEEEEEE10hipError_tPvRmT3_T4_T5_T6_T7_T9_mT8_P12ihipStream_tbDpT10_ENKUlT_T0_E_clISt17integral_constantIbLb0EES18_EEDaS13_S14_EUlS13_E_NS1_11comp_targetILNS1_3genE3ELNS1_11target_archE908ELNS1_3gpuE7ELNS1_3repE0EEENS1_30default_config_static_selectorELNS0_4arch9wavefront6targetE0EEEvT1_
                                        ; -- End function
	.set _ZN7rocprim17ROCPRIM_400000_NS6detail17trampoline_kernelINS0_14default_configENS1_25partition_config_selectorILNS1_17partition_subalgoE6EyNS0_10empty_typeEbEEZZNS1_14partition_implILS5_6ELb0ES3_mN6thrust23THRUST_200600_302600_NS6detail15normal_iteratorINSA_10device_ptrIyEEEEPS6_SG_NS0_5tupleIJSF_S6_EEENSH_IJSG_SG_EEES6_PlJNSB_9not_fun_tI7is_trueIyEEEEEE10hipError_tPvRmT3_T4_T5_T6_T7_T9_mT8_P12ihipStream_tbDpT10_ENKUlT_T0_E_clISt17integral_constantIbLb0EES18_EEDaS13_S14_EUlS13_E_NS1_11comp_targetILNS1_3genE3ELNS1_11target_archE908ELNS1_3gpuE7ELNS1_3repE0EEENS1_30default_config_static_selectorELNS0_4arch9wavefront6targetE0EEEvT1_.num_vgpr, 0
	.set _ZN7rocprim17ROCPRIM_400000_NS6detail17trampoline_kernelINS0_14default_configENS1_25partition_config_selectorILNS1_17partition_subalgoE6EyNS0_10empty_typeEbEEZZNS1_14partition_implILS5_6ELb0ES3_mN6thrust23THRUST_200600_302600_NS6detail15normal_iteratorINSA_10device_ptrIyEEEEPS6_SG_NS0_5tupleIJSF_S6_EEENSH_IJSG_SG_EEES6_PlJNSB_9not_fun_tI7is_trueIyEEEEEE10hipError_tPvRmT3_T4_T5_T6_T7_T9_mT8_P12ihipStream_tbDpT10_ENKUlT_T0_E_clISt17integral_constantIbLb0EES18_EEDaS13_S14_EUlS13_E_NS1_11comp_targetILNS1_3genE3ELNS1_11target_archE908ELNS1_3gpuE7ELNS1_3repE0EEENS1_30default_config_static_selectorELNS0_4arch9wavefront6targetE0EEEvT1_.num_agpr, 0
	.set _ZN7rocprim17ROCPRIM_400000_NS6detail17trampoline_kernelINS0_14default_configENS1_25partition_config_selectorILNS1_17partition_subalgoE6EyNS0_10empty_typeEbEEZZNS1_14partition_implILS5_6ELb0ES3_mN6thrust23THRUST_200600_302600_NS6detail15normal_iteratorINSA_10device_ptrIyEEEEPS6_SG_NS0_5tupleIJSF_S6_EEENSH_IJSG_SG_EEES6_PlJNSB_9not_fun_tI7is_trueIyEEEEEE10hipError_tPvRmT3_T4_T5_T6_T7_T9_mT8_P12ihipStream_tbDpT10_ENKUlT_T0_E_clISt17integral_constantIbLb0EES18_EEDaS13_S14_EUlS13_E_NS1_11comp_targetILNS1_3genE3ELNS1_11target_archE908ELNS1_3gpuE7ELNS1_3repE0EEENS1_30default_config_static_selectorELNS0_4arch9wavefront6targetE0EEEvT1_.numbered_sgpr, 0
	.set _ZN7rocprim17ROCPRIM_400000_NS6detail17trampoline_kernelINS0_14default_configENS1_25partition_config_selectorILNS1_17partition_subalgoE6EyNS0_10empty_typeEbEEZZNS1_14partition_implILS5_6ELb0ES3_mN6thrust23THRUST_200600_302600_NS6detail15normal_iteratorINSA_10device_ptrIyEEEEPS6_SG_NS0_5tupleIJSF_S6_EEENSH_IJSG_SG_EEES6_PlJNSB_9not_fun_tI7is_trueIyEEEEEE10hipError_tPvRmT3_T4_T5_T6_T7_T9_mT8_P12ihipStream_tbDpT10_ENKUlT_T0_E_clISt17integral_constantIbLb0EES18_EEDaS13_S14_EUlS13_E_NS1_11comp_targetILNS1_3genE3ELNS1_11target_archE908ELNS1_3gpuE7ELNS1_3repE0EEENS1_30default_config_static_selectorELNS0_4arch9wavefront6targetE0EEEvT1_.num_named_barrier, 0
	.set _ZN7rocprim17ROCPRIM_400000_NS6detail17trampoline_kernelINS0_14default_configENS1_25partition_config_selectorILNS1_17partition_subalgoE6EyNS0_10empty_typeEbEEZZNS1_14partition_implILS5_6ELb0ES3_mN6thrust23THRUST_200600_302600_NS6detail15normal_iteratorINSA_10device_ptrIyEEEEPS6_SG_NS0_5tupleIJSF_S6_EEENSH_IJSG_SG_EEES6_PlJNSB_9not_fun_tI7is_trueIyEEEEEE10hipError_tPvRmT3_T4_T5_T6_T7_T9_mT8_P12ihipStream_tbDpT10_ENKUlT_T0_E_clISt17integral_constantIbLb0EES18_EEDaS13_S14_EUlS13_E_NS1_11comp_targetILNS1_3genE3ELNS1_11target_archE908ELNS1_3gpuE7ELNS1_3repE0EEENS1_30default_config_static_selectorELNS0_4arch9wavefront6targetE0EEEvT1_.private_seg_size, 0
	.set _ZN7rocprim17ROCPRIM_400000_NS6detail17trampoline_kernelINS0_14default_configENS1_25partition_config_selectorILNS1_17partition_subalgoE6EyNS0_10empty_typeEbEEZZNS1_14partition_implILS5_6ELb0ES3_mN6thrust23THRUST_200600_302600_NS6detail15normal_iteratorINSA_10device_ptrIyEEEEPS6_SG_NS0_5tupleIJSF_S6_EEENSH_IJSG_SG_EEES6_PlJNSB_9not_fun_tI7is_trueIyEEEEEE10hipError_tPvRmT3_T4_T5_T6_T7_T9_mT8_P12ihipStream_tbDpT10_ENKUlT_T0_E_clISt17integral_constantIbLb0EES18_EEDaS13_S14_EUlS13_E_NS1_11comp_targetILNS1_3genE3ELNS1_11target_archE908ELNS1_3gpuE7ELNS1_3repE0EEENS1_30default_config_static_selectorELNS0_4arch9wavefront6targetE0EEEvT1_.uses_vcc, 0
	.set _ZN7rocprim17ROCPRIM_400000_NS6detail17trampoline_kernelINS0_14default_configENS1_25partition_config_selectorILNS1_17partition_subalgoE6EyNS0_10empty_typeEbEEZZNS1_14partition_implILS5_6ELb0ES3_mN6thrust23THRUST_200600_302600_NS6detail15normal_iteratorINSA_10device_ptrIyEEEEPS6_SG_NS0_5tupleIJSF_S6_EEENSH_IJSG_SG_EEES6_PlJNSB_9not_fun_tI7is_trueIyEEEEEE10hipError_tPvRmT3_T4_T5_T6_T7_T9_mT8_P12ihipStream_tbDpT10_ENKUlT_T0_E_clISt17integral_constantIbLb0EES18_EEDaS13_S14_EUlS13_E_NS1_11comp_targetILNS1_3genE3ELNS1_11target_archE908ELNS1_3gpuE7ELNS1_3repE0EEENS1_30default_config_static_selectorELNS0_4arch9wavefront6targetE0EEEvT1_.uses_flat_scratch, 0
	.set _ZN7rocprim17ROCPRIM_400000_NS6detail17trampoline_kernelINS0_14default_configENS1_25partition_config_selectorILNS1_17partition_subalgoE6EyNS0_10empty_typeEbEEZZNS1_14partition_implILS5_6ELb0ES3_mN6thrust23THRUST_200600_302600_NS6detail15normal_iteratorINSA_10device_ptrIyEEEEPS6_SG_NS0_5tupleIJSF_S6_EEENSH_IJSG_SG_EEES6_PlJNSB_9not_fun_tI7is_trueIyEEEEEE10hipError_tPvRmT3_T4_T5_T6_T7_T9_mT8_P12ihipStream_tbDpT10_ENKUlT_T0_E_clISt17integral_constantIbLb0EES18_EEDaS13_S14_EUlS13_E_NS1_11comp_targetILNS1_3genE3ELNS1_11target_archE908ELNS1_3gpuE7ELNS1_3repE0EEENS1_30default_config_static_selectorELNS0_4arch9wavefront6targetE0EEEvT1_.has_dyn_sized_stack, 0
	.set _ZN7rocprim17ROCPRIM_400000_NS6detail17trampoline_kernelINS0_14default_configENS1_25partition_config_selectorILNS1_17partition_subalgoE6EyNS0_10empty_typeEbEEZZNS1_14partition_implILS5_6ELb0ES3_mN6thrust23THRUST_200600_302600_NS6detail15normal_iteratorINSA_10device_ptrIyEEEEPS6_SG_NS0_5tupleIJSF_S6_EEENSH_IJSG_SG_EEES6_PlJNSB_9not_fun_tI7is_trueIyEEEEEE10hipError_tPvRmT3_T4_T5_T6_T7_T9_mT8_P12ihipStream_tbDpT10_ENKUlT_T0_E_clISt17integral_constantIbLb0EES18_EEDaS13_S14_EUlS13_E_NS1_11comp_targetILNS1_3genE3ELNS1_11target_archE908ELNS1_3gpuE7ELNS1_3repE0EEENS1_30default_config_static_selectorELNS0_4arch9wavefront6targetE0EEEvT1_.has_recursion, 0
	.set _ZN7rocprim17ROCPRIM_400000_NS6detail17trampoline_kernelINS0_14default_configENS1_25partition_config_selectorILNS1_17partition_subalgoE6EyNS0_10empty_typeEbEEZZNS1_14partition_implILS5_6ELb0ES3_mN6thrust23THRUST_200600_302600_NS6detail15normal_iteratorINSA_10device_ptrIyEEEEPS6_SG_NS0_5tupleIJSF_S6_EEENSH_IJSG_SG_EEES6_PlJNSB_9not_fun_tI7is_trueIyEEEEEE10hipError_tPvRmT3_T4_T5_T6_T7_T9_mT8_P12ihipStream_tbDpT10_ENKUlT_T0_E_clISt17integral_constantIbLb0EES18_EEDaS13_S14_EUlS13_E_NS1_11comp_targetILNS1_3genE3ELNS1_11target_archE908ELNS1_3gpuE7ELNS1_3repE0EEENS1_30default_config_static_selectorELNS0_4arch9wavefront6targetE0EEEvT1_.has_indirect_call, 0
	.section	.AMDGPU.csdata,"",@progbits
; Kernel info:
; codeLenInByte = 0
; TotalNumSgprs: 0
; NumVgprs: 0
; ScratchSize: 0
; MemoryBound: 0
; FloatMode: 240
; IeeeMode: 1
; LDSByteSize: 0 bytes/workgroup (compile time only)
; SGPRBlocks: 0
; VGPRBlocks: 0
; NumSGPRsForWavesPerEU: 1
; NumVGPRsForWavesPerEU: 1
; Occupancy: 16
; WaveLimiterHint : 0
; COMPUTE_PGM_RSRC2:SCRATCH_EN: 0
; COMPUTE_PGM_RSRC2:USER_SGPR: 2
; COMPUTE_PGM_RSRC2:TRAP_HANDLER: 0
; COMPUTE_PGM_RSRC2:TGID_X_EN: 1
; COMPUTE_PGM_RSRC2:TGID_Y_EN: 0
; COMPUTE_PGM_RSRC2:TGID_Z_EN: 0
; COMPUTE_PGM_RSRC2:TIDIG_COMP_CNT: 0
	.section	.text._ZN7rocprim17ROCPRIM_400000_NS6detail17trampoline_kernelINS0_14default_configENS1_25partition_config_selectorILNS1_17partition_subalgoE6EyNS0_10empty_typeEbEEZZNS1_14partition_implILS5_6ELb0ES3_mN6thrust23THRUST_200600_302600_NS6detail15normal_iteratorINSA_10device_ptrIyEEEEPS6_SG_NS0_5tupleIJSF_S6_EEENSH_IJSG_SG_EEES6_PlJNSB_9not_fun_tI7is_trueIyEEEEEE10hipError_tPvRmT3_T4_T5_T6_T7_T9_mT8_P12ihipStream_tbDpT10_ENKUlT_T0_E_clISt17integral_constantIbLb0EES18_EEDaS13_S14_EUlS13_E_NS1_11comp_targetILNS1_3genE2ELNS1_11target_archE906ELNS1_3gpuE6ELNS1_3repE0EEENS1_30default_config_static_selectorELNS0_4arch9wavefront6targetE0EEEvT1_,"axG",@progbits,_ZN7rocprim17ROCPRIM_400000_NS6detail17trampoline_kernelINS0_14default_configENS1_25partition_config_selectorILNS1_17partition_subalgoE6EyNS0_10empty_typeEbEEZZNS1_14partition_implILS5_6ELb0ES3_mN6thrust23THRUST_200600_302600_NS6detail15normal_iteratorINSA_10device_ptrIyEEEEPS6_SG_NS0_5tupleIJSF_S6_EEENSH_IJSG_SG_EEES6_PlJNSB_9not_fun_tI7is_trueIyEEEEEE10hipError_tPvRmT3_T4_T5_T6_T7_T9_mT8_P12ihipStream_tbDpT10_ENKUlT_T0_E_clISt17integral_constantIbLb0EES18_EEDaS13_S14_EUlS13_E_NS1_11comp_targetILNS1_3genE2ELNS1_11target_archE906ELNS1_3gpuE6ELNS1_3repE0EEENS1_30default_config_static_selectorELNS0_4arch9wavefront6targetE0EEEvT1_,comdat
	.protected	_ZN7rocprim17ROCPRIM_400000_NS6detail17trampoline_kernelINS0_14default_configENS1_25partition_config_selectorILNS1_17partition_subalgoE6EyNS0_10empty_typeEbEEZZNS1_14partition_implILS5_6ELb0ES3_mN6thrust23THRUST_200600_302600_NS6detail15normal_iteratorINSA_10device_ptrIyEEEEPS6_SG_NS0_5tupleIJSF_S6_EEENSH_IJSG_SG_EEES6_PlJNSB_9not_fun_tI7is_trueIyEEEEEE10hipError_tPvRmT3_T4_T5_T6_T7_T9_mT8_P12ihipStream_tbDpT10_ENKUlT_T0_E_clISt17integral_constantIbLb0EES18_EEDaS13_S14_EUlS13_E_NS1_11comp_targetILNS1_3genE2ELNS1_11target_archE906ELNS1_3gpuE6ELNS1_3repE0EEENS1_30default_config_static_selectorELNS0_4arch9wavefront6targetE0EEEvT1_ ; -- Begin function _ZN7rocprim17ROCPRIM_400000_NS6detail17trampoline_kernelINS0_14default_configENS1_25partition_config_selectorILNS1_17partition_subalgoE6EyNS0_10empty_typeEbEEZZNS1_14partition_implILS5_6ELb0ES3_mN6thrust23THRUST_200600_302600_NS6detail15normal_iteratorINSA_10device_ptrIyEEEEPS6_SG_NS0_5tupleIJSF_S6_EEENSH_IJSG_SG_EEES6_PlJNSB_9not_fun_tI7is_trueIyEEEEEE10hipError_tPvRmT3_T4_T5_T6_T7_T9_mT8_P12ihipStream_tbDpT10_ENKUlT_T0_E_clISt17integral_constantIbLb0EES18_EEDaS13_S14_EUlS13_E_NS1_11comp_targetILNS1_3genE2ELNS1_11target_archE906ELNS1_3gpuE6ELNS1_3repE0EEENS1_30default_config_static_selectorELNS0_4arch9wavefront6targetE0EEEvT1_
	.globl	_ZN7rocprim17ROCPRIM_400000_NS6detail17trampoline_kernelINS0_14default_configENS1_25partition_config_selectorILNS1_17partition_subalgoE6EyNS0_10empty_typeEbEEZZNS1_14partition_implILS5_6ELb0ES3_mN6thrust23THRUST_200600_302600_NS6detail15normal_iteratorINSA_10device_ptrIyEEEEPS6_SG_NS0_5tupleIJSF_S6_EEENSH_IJSG_SG_EEES6_PlJNSB_9not_fun_tI7is_trueIyEEEEEE10hipError_tPvRmT3_T4_T5_T6_T7_T9_mT8_P12ihipStream_tbDpT10_ENKUlT_T0_E_clISt17integral_constantIbLb0EES18_EEDaS13_S14_EUlS13_E_NS1_11comp_targetILNS1_3genE2ELNS1_11target_archE906ELNS1_3gpuE6ELNS1_3repE0EEENS1_30default_config_static_selectorELNS0_4arch9wavefront6targetE0EEEvT1_
	.p2align	8
	.type	_ZN7rocprim17ROCPRIM_400000_NS6detail17trampoline_kernelINS0_14default_configENS1_25partition_config_selectorILNS1_17partition_subalgoE6EyNS0_10empty_typeEbEEZZNS1_14partition_implILS5_6ELb0ES3_mN6thrust23THRUST_200600_302600_NS6detail15normal_iteratorINSA_10device_ptrIyEEEEPS6_SG_NS0_5tupleIJSF_S6_EEENSH_IJSG_SG_EEES6_PlJNSB_9not_fun_tI7is_trueIyEEEEEE10hipError_tPvRmT3_T4_T5_T6_T7_T9_mT8_P12ihipStream_tbDpT10_ENKUlT_T0_E_clISt17integral_constantIbLb0EES18_EEDaS13_S14_EUlS13_E_NS1_11comp_targetILNS1_3genE2ELNS1_11target_archE906ELNS1_3gpuE6ELNS1_3repE0EEENS1_30default_config_static_selectorELNS0_4arch9wavefront6targetE0EEEvT1_,@function
_ZN7rocprim17ROCPRIM_400000_NS6detail17trampoline_kernelINS0_14default_configENS1_25partition_config_selectorILNS1_17partition_subalgoE6EyNS0_10empty_typeEbEEZZNS1_14partition_implILS5_6ELb0ES3_mN6thrust23THRUST_200600_302600_NS6detail15normal_iteratorINSA_10device_ptrIyEEEEPS6_SG_NS0_5tupleIJSF_S6_EEENSH_IJSG_SG_EEES6_PlJNSB_9not_fun_tI7is_trueIyEEEEEE10hipError_tPvRmT3_T4_T5_T6_T7_T9_mT8_P12ihipStream_tbDpT10_ENKUlT_T0_E_clISt17integral_constantIbLb0EES18_EEDaS13_S14_EUlS13_E_NS1_11comp_targetILNS1_3genE2ELNS1_11target_archE906ELNS1_3gpuE6ELNS1_3repE0EEENS1_30default_config_static_selectorELNS0_4arch9wavefront6targetE0EEEvT1_: ; @_ZN7rocprim17ROCPRIM_400000_NS6detail17trampoline_kernelINS0_14default_configENS1_25partition_config_selectorILNS1_17partition_subalgoE6EyNS0_10empty_typeEbEEZZNS1_14partition_implILS5_6ELb0ES3_mN6thrust23THRUST_200600_302600_NS6detail15normal_iteratorINSA_10device_ptrIyEEEEPS6_SG_NS0_5tupleIJSF_S6_EEENSH_IJSG_SG_EEES6_PlJNSB_9not_fun_tI7is_trueIyEEEEEE10hipError_tPvRmT3_T4_T5_T6_T7_T9_mT8_P12ihipStream_tbDpT10_ENKUlT_T0_E_clISt17integral_constantIbLb0EES18_EEDaS13_S14_EUlS13_E_NS1_11comp_targetILNS1_3genE2ELNS1_11target_archE906ELNS1_3gpuE6ELNS1_3repE0EEENS1_30default_config_static_selectorELNS0_4arch9wavefront6targetE0EEEvT1_
; %bb.0:
	.section	.rodata,"a",@progbits
	.p2align	6, 0x0
	.amdhsa_kernel _ZN7rocprim17ROCPRIM_400000_NS6detail17trampoline_kernelINS0_14default_configENS1_25partition_config_selectorILNS1_17partition_subalgoE6EyNS0_10empty_typeEbEEZZNS1_14partition_implILS5_6ELb0ES3_mN6thrust23THRUST_200600_302600_NS6detail15normal_iteratorINSA_10device_ptrIyEEEEPS6_SG_NS0_5tupleIJSF_S6_EEENSH_IJSG_SG_EEES6_PlJNSB_9not_fun_tI7is_trueIyEEEEEE10hipError_tPvRmT3_T4_T5_T6_T7_T9_mT8_P12ihipStream_tbDpT10_ENKUlT_T0_E_clISt17integral_constantIbLb0EES18_EEDaS13_S14_EUlS13_E_NS1_11comp_targetILNS1_3genE2ELNS1_11target_archE906ELNS1_3gpuE6ELNS1_3repE0EEENS1_30default_config_static_selectorELNS0_4arch9wavefront6targetE0EEEvT1_
		.amdhsa_group_segment_fixed_size 0
		.amdhsa_private_segment_fixed_size 0
		.amdhsa_kernarg_size 112
		.amdhsa_user_sgpr_count 2
		.amdhsa_user_sgpr_dispatch_ptr 0
		.amdhsa_user_sgpr_queue_ptr 0
		.amdhsa_user_sgpr_kernarg_segment_ptr 1
		.amdhsa_user_sgpr_dispatch_id 0
		.amdhsa_user_sgpr_private_segment_size 0
		.amdhsa_wavefront_size32 1
		.amdhsa_uses_dynamic_stack 0
		.amdhsa_enable_private_segment 0
		.amdhsa_system_sgpr_workgroup_id_x 1
		.amdhsa_system_sgpr_workgroup_id_y 0
		.amdhsa_system_sgpr_workgroup_id_z 0
		.amdhsa_system_sgpr_workgroup_info 0
		.amdhsa_system_vgpr_workitem_id 0
		.amdhsa_next_free_vgpr 1
		.amdhsa_next_free_sgpr 1
		.amdhsa_reserve_vcc 0
		.amdhsa_float_round_mode_32 0
		.amdhsa_float_round_mode_16_64 0
		.amdhsa_float_denorm_mode_32 3
		.amdhsa_float_denorm_mode_16_64 3
		.amdhsa_fp16_overflow 0
		.amdhsa_workgroup_processor_mode 1
		.amdhsa_memory_ordered 1
		.amdhsa_forward_progress 1
		.amdhsa_inst_pref_size 0
		.amdhsa_round_robin_scheduling 0
		.amdhsa_exception_fp_ieee_invalid_op 0
		.amdhsa_exception_fp_denorm_src 0
		.amdhsa_exception_fp_ieee_div_zero 0
		.amdhsa_exception_fp_ieee_overflow 0
		.amdhsa_exception_fp_ieee_underflow 0
		.amdhsa_exception_fp_ieee_inexact 0
		.amdhsa_exception_int_div_zero 0
	.end_amdhsa_kernel
	.section	.text._ZN7rocprim17ROCPRIM_400000_NS6detail17trampoline_kernelINS0_14default_configENS1_25partition_config_selectorILNS1_17partition_subalgoE6EyNS0_10empty_typeEbEEZZNS1_14partition_implILS5_6ELb0ES3_mN6thrust23THRUST_200600_302600_NS6detail15normal_iteratorINSA_10device_ptrIyEEEEPS6_SG_NS0_5tupleIJSF_S6_EEENSH_IJSG_SG_EEES6_PlJNSB_9not_fun_tI7is_trueIyEEEEEE10hipError_tPvRmT3_T4_T5_T6_T7_T9_mT8_P12ihipStream_tbDpT10_ENKUlT_T0_E_clISt17integral_constantIbLb0EES18_EEDaS13_S14_EUlS13_E_NS1_11comp_targetILNS1_3genE2ELNS1_11target_archE906ELNS1_3gpuE6ELNS1_3repE0EEENS1_30default_config_static_selectorELNS0_4arch9wavefront6targetE0EEEvT1_,"axG",@progbits,_ZN7rocprim17ROCPRIM_400000_NS6detail17trampoline_kernelINS0_14default_configENS1_25partition_config_selectorILNS1_17partition_subalgoE6EyNS0_10empty_typeEbEEZZNS1_14partition_implILS5_6ELb0ES3_mN6thrust23THRUST_200600_302600_NS6detail15normal_iteratorINSA_10device_ptrIyEEEEPS6_SG_NS0_5tupleIJSF_S6_EEENSH_IJSG_SG_EEES6_PlJNSB_9not_fun_tI7is_trueIyEEEEEE10hipError_tPvRmT3_T4_T5_T6_T7_T9_mT8_P12ihipStream_tbDpT10_ENKUlT_T0_E_clISt17integral_constantIbLb0EES18_EEDaS13_S14_EUlS13_E_NS1_11comp_targetILNS1_3genE2ELNS1_11target_archE906ELNS1_3gpuE6ELNS1_3repE0EEENS1_30default_config_static_selectorELNS0_4arch9wavefront6targetE0EEEvT1_,comdat
.Lfunc_end1113:
	.size	_ZN7rocprim17ROCPRIM_400000_NS6detail17trampoline_kernelINS0_14default_configENS1_25partition_config_selectorILNS1_17partition_subalgoE6EyNS0_10empty_typeEbEEZZNS1_14partition_implILS5_6ELb0ES3_mN6thrust23THRUST_200600_302600_NS6detail15normal_iteratorINSA_10device_ptrIyEEEEPS6_SG_NS0_5tupleIJSF_S6_EEENSH_IJSG_SG_EEES6_PlJNSB_9not_fun_tI7is_trueIyEEEEEE10hipError_tPvRmT3_T4_T5_T6_T7_T9_mT8_P12ihipStream_tbDpT10_ENKUlT_T0_E_clISt17integral_constantIbLb0EES18_EEDaS13_S14_EUlS13_E_NS1_11comp_targetILNS1_3genE2ELNS1_11target_archE906ELNS1_3gpuE6ELNS1_3repE0EEENS1_30default_config_static_selectorELNS0_4arch9wavefront6targetE0EEEvT1_, .Lfunc_end1113-_ZN7rocprim17ROCPRIM_400000_NS6detail17trampoline_kernelINS0_14default_configENS1_25partition_config_selectorILNS1_17partition_subalgoE6EyNS0_10empty_typeEbEEZZNS1_14partition_implILS5_6ELb0ES3_mN6thrust23THRUST_200600_302600_NS6detail15normal_iteratorINSA_10device_ptrIyEEEEPS6_SG_NS0_5tupleIJSF_S6_EEENSH_IJSG_SG_EEES6_PlJNSB_9not_fun_tI7is_trueIyEEEEEE10hipError_tPvRmT3_T4_T5_T6_T7_T9_mT8_P12ihipStream_tbDpT10_ENKUlT_T0_E_clISt17integral_constantIbLb0EES18_EEDaS13_S14_EUlS13_E_NS1_11comp_targetILNS1_3genE2ELNS1_11target_archE906ELNS1_3gpuE6ELNS1_3repE0EEENS1_30default_config_static_selectorELNS0_4arch9wavefront6targetE0EEEvT1_
                                        ; -- End function
	.set _ZN7rocprim17ROCPRIM_400000_NS6detail17trampoline_kernelINS0_14default_configENS1_25partition_config_selectorILNS1_17partition_subalgoE6EyNS0_10empty_typeEbEEZZNS1_14partition_implILS5_6ELb0ES3_mN6thrust23THRUST_200600_302600_NS6detail15normal_iteratorINSA_10device_ptrIyEEEEPS6_SG_NS0_5tupleIJSF_S6_EEENSH_IJSG_SG_EEES6_PlJNSB_9not_fun_tI7is_trueIyEEEEEE10hipError_tPvRmT3_T4_T5_T6_T7_T9_mT8_P12ihipStream_tbDpT10_ENKUlT_T0_E_clISt17integral_constantIbLb0EES18_EEDaS13_S14_EUlS13_E_NS1_11comp_targetILNS1_3genE2ELNS1_11target_archE906ELNS1_3gpuE6ELNS1_3repE0EEENS1_30default_config_static_selectorELNS0_4arch9wavefront6targetE0EEEvT1_.num_vgpr, 0
	.set _ZN7rocprim17ROCPRIM_400000_NS6detail17trampoline_kernelINS0_14default_configENS1_25partition_config_selectorILNS1_17partition_subalgoE6EyNS0_10empty_typeEbEEZZNS1_14partition_implILS5_6ELb0ES3_mN6thrust23THRUST_200600_302600_NS6detail15normal_iteratorINSA_10device_ptrIyEEEEPS6_SG_NS0_5tupleIJSF_S6_EEENSH_IJSG_SG_EEES6_PlJNSB_9not_fun_tI7is_trueIyEEEEEE10hipError_tPvRmT3_T4_T5_T6_T7_T9_mT8_P12ihipStream_tbDpT10_ENKUlT_T0_E_clISt17integral_constantIbLb0EES18_EEDaS13_S14_EUlS13_E_NS1_11comp_targetILNS1_3genE2ELNS1_11target_archE906ELNS1_3gpuE6ELNS1_3repE0EEENS1_30default_config_static_selectorELNS0_4arch9wavefront6targetE0EEEvT1_.num_agpr, 0
	.set _ZN7rocprim17ROCPRIM_400000_NS6detail17trampoline_kernelINS0_14default_configENS1_25partition_config_selectorILNS1_17partition_subalgoE6EyNS0_10empty_typeEbEEZZNS1_14partition_implILS5_6ELb0ES3_mN6thrust23THRUST_200600_302600_NS6detail15normal_iteratorINSA_10device_ptrIyEEEEPS6_SG_NS0_5tupleIJSF_S6_EEENSH_IJSG_SG_EEES6_PlJNSB_9not_fun_tI7is_trueIyEEEEEE10hipError_tPvRmT3_T4_T5_T6_T7_T9_mT8_P12ihipStream_tbDpT10_ENKUlT_T0_E_clISt17integral_constantIbLb0EES18_EEDaS13_S14_EUlS13_E_NS1_11comp_targetILNS1_3genE2ELNS1_11target_archE906ELNS1_3gpuE6ELNS1_3repE0EEENS1_30default_config_static_selectorELNS0_4arch9wavefront6targetE0EEEvT1_.numbered_sgpr, 0
	.set _ZN7rocprim17ROCPRIM_400000_NS6detail17trampoline_kernelINS0_14default_configENS1_25partition_config_selectorILNS1_17partition_subalgoE6EyNS0_10empty_typeEbEEZZNS1_14partition_implILS5_6ELb0ES3_mN6thrust23THRUST_200600_302600_NS6detail15normal_iteratorINSA_10device_ptrIyEEEEPS6_SG_NS0_5tupleIJSF_S6_EEENSH_IJSG_SG_EEES6_PlJNSB_9not_fun_tI7is_trueIyEEEEEE10hipError_tPvRmT3_T4_T5_T6_T7_T9_mT8_P12ihipStream_tbDpT10_ENKUlT_T0_E_clISt17integral_constantIbLb0EES18_EEDaS13_S14_EUlS13_E_NS1_11comp_targetILNS1_3genE2ELNS1_11target_archE906ELNS1_3gpuE6ELNS1_3repE0EEENS1_30default_config_static_selectorELNS0_4arch9wavefront6targetE0EEEvT1_.num_named_barrier, 0
	.set _ZN7rocprim17ROCPRIM_400000_NS6detail17trampoline_kernelINS0_14default_configENS1_25partition_config_selectorILNS1_17partition_subalgoE6EyNS0_10empty_typeEbEEZZNS1_14partition_implILS5_6ELb0ES3_mN6thrust23THRUST_200600_302600_NS6detail15normal_iteratorINSA_10device_ptrIyEEEEPS6_SG_NS0_5tupleIJSF_S6_EEENSH_IJSG_SG_EEES6_PlJNSB_9not_fun_tI7is_trueIyEEEEEE10hipError_tPvRmT3_T4_T5_T6_T7_T9_mT8_P12ihipStream_tbDpT10_ENKUlT_T0_E_clISt17integral_constantIbLb0EES18_EEDaS13_S14_EUlS13_E_NS1_11comp_targetILNS1_3genE2ELNS1_11target_archE906ELNS1_3gpuE6ELNS1_3repE0EEENS1_30default_config_static_selectorELNS0_4arch9wavefront6targetE0EEEvT1_.private_seg_size, 0
	.set _ZN7rocprim17ROCPRIM_400000_NS6detail17trampoline_kernelINS0_14default_configENS1_25partition_config_selectorILNS1_17partition_subalgoE6EyNS0_10empty_typeEbEEZZNS1_14partition_implILS5_6ELb0ES3_mN6thrust23THRUST_200600_302600_NS6detail15normal_iteratorINSA_10device_ptrIyEEEEPS6_SG_NS0_5tupleIJSF_S6_EEENSH_IJSG_SG_EEES6_PlJNSB_9not_fun_tI7is_trueIyEEEEEE10hipError_tPvRmT3_T4_T5_T6_T7_T9_mT8_P12ihipStream_tbDpT10_ENKUlT_T0_E_clISt17integral_constantIbLb0EES18_EEDaS13_S14_EUlS13_E_NS1_11comp_targetILNS1_3genE2ELNS1_11target_archE906ELNS1_3gpuE6ELNS1_3repE0EEENS1_30default_config_static_selectorELNS0_4arch9wavefront6targetE0EEEvT1_.uses_vcc, 0
	.set _ZN7rocprim17ROCPRIM_400000_NS6detail17trampoline_kernelINS0_14default_configENS1_25partition_config_selectorILNS1_17partition_subalgoE6EyNS0_10empty_typeEbEEZZNS1_14partition_implILS5_6ELb0ES3_mN6thrust23THRUST_200600_302600_NS6detail15normal_iteratorINSA_10device_ptrIyEEEEPS6_SG_NS0_5tupleIJSF_S6_EEENSH_IJSG_SG_EEES6_PlJNSB_9not_fun_tI7is_trueIyEEEEEE10hipError_tPvRmT3_T4_T5_T6_T7_T9_mT8_P12ihipStream_tbDpT10_ENKUlT_T0_E_clISt17integral_constantIbLb0EES18_EEDaS13_S14_EUlS13_E_NS1_11comp_targetILNS1_3genE2ELNS1_11target_archE906ELNS1_3gpuE6ELNS1_3repE0EEENS1_30default_config_static_selectorELNS0_4arch9wavefront6targetE0EEEvT1_.uses_flat_scratch, 0
	.set _ZN7rocprim17ROCPRIM_400000_NS6detail17trampoline_kernelINS0_14default_configENS1_25partition_config_selectorILNS1_17partition_subalgoE6EyNS0_10empty_typeEbEEZZNS1_14partition_implILS5_6ELb0ES3_mN6thrust23THRUST_200600_302600_NS6detail15normal_iteratorINSA_10device_ptrIyEEEEPS6_SG_NS0_5tupleIJSF_S6_EEENSH_IJSG_SG_EEES6_PlJNSB_9not_fun_tI7is_trueIyEEEEEE10hipError_tPvRmT3_T4_T5_T6_T7_T9_mT8_P12ihipStream_tbDpT10_ENKUlT_T0_E_clISt17integral_constantIbLb0EES18_EEDaS13_S14_EUlS13_E_NS1_11comp_targetILNS1_3genE2ELNS1_11target_archE906ELNS1_3gpuE6ELNS1_3repE0EEENS1_30default_config_static_selectorELNS0_4arch9wavefront6targetE0EEEvT1_.has_dyn_sized_stack, 0
	.set _ZN7rocprim17ROCPRIM_400000_NS6detail17trampoline_kernelINS0_14default_configENS1_25partition_config_selectorILNS1_17partition_subalgoE6EyNS0_10empty_typeEbEEZZNS1_14partition_implILS5_6ELb0ES3_mN6thrust23THRUST_200600_302600_NS6detail15normal_iteratorINSA_10device_ptrIyEEEEPS6_SG_NS0_5tupleIJSF_S6_EEENSH_IJSG_SG_EEES6_PlJNSB_9not_fun_tI7is_trueIyEEEEEE10hipError_tPvRmT3_T4_T5_T6_T7_T9_mT8_P12ihipStream_tbDpT10_ENKUlT_T0_E_clISt17integral_constantIbLb0EES18_EEDaS13_S14_EUlS13_E_NS1_11comp_targetILNS1_3genE2ELNS1_11target_archE906ELNS1_3gpuE6ELNS1_3repE0EEENS1_30default_config_static_selectorELNS0_4arch9wavefront6targetE0EEEvT1_.has_recursion, 0
	.set _ZN7rocprim17ROCPRIM_400000_NS6detail17trampoline_kernelINS0_14default_configENS1_25partition_config_selectorILNS1_17partition_subalgoE6EyNS0_10empty_typeEbEEZZNS1_14partition_implILS5_6ELb0ES3_mN6thrust23THRUST_200600_302600_NS6detail15normal_iteratorINSA_10device_ptrIyEEEEPS6_SG_NS0_5tupleIJSF_S6_EEENSH_IJSG_SG_EEES6_PlJNSB_9not_fun_tI7is_trueIyEEEEEE10hipError_tPvRmT3_T4_T5_T6_T7_T9_mT8_P12ihipStream_tbDpT10_ENKUlT_T0_E_clISt17integral_constantIbLb0EES18_EEDaS13_S14_EUlS13_E_NS1_11comp_targetILNS1_3genE2ELNS1_11target_archE906ELNS1_3gpuE6ELNS1_3repE0EEENS1_30default_config_static_selectorELNS0_4arch9wavefront6targetE0EEEvT1_.has_indirect_call, 0
	.section	.AMDGPU.csdata,"",@progbits
; Kernel info:
; codeLenInByte = 0
; TotalNumSgprs: 0
; NumVgprs: 0
; ScratchSize: 0
; MemoryBound: 0
; FloatMode: 240
; IeeeMode: 1
; LDSByteSize: 0 bytes/workgroup (compile time only)
; SGPRBlocks: 0
; VGPRBlocks: 0
; NumSGPRsForWavesPerEU: 1
; NumVGPRsForWavesPerEU: 1
; Occupancy: 16
; WaveLimiterHint : 0
; COMPUTE_PGM_RSRC2:SCRATCH_EN: 0
; COMPUTE_PGM_RSRC2:USER_SGPR: 2
; COMPUTE_PGM_RSRC2:TRAP_HANDLER: 0
; COMPUTE_PGM_RSRC2:TGID_X_EN: 1
; COMPUTE_PGM_RSRC2:TGID_Y_EN: 0
; COMPUTE_PGM_RSRC2:TGID_Z_EN: 0
; COMPUTE_PGM_RSRC2:TIDIG_COMP_CNT: 0
	.section	.text._ZN7rocprim17ROCPRIM_400000_NS6detail17trampoline_kernelINS0_14default_configENS1_25partition_config_selectorILNS1_17partition_subalgoE6EyNS0_10empty_typeEbEEZZNS1_14partition_implILS5_6ELb0ES3_mN6thrust23THRUST_200600_302600_NS6detail15normal_iteratorINSA_10device_ptrIyEEEEPS6_SG_NS0_5tupleIJSF_S6_EEENSH_IJSG_SG_EEES6_PlJNSB_9not_fun_tI7is_trueIyEEEEEE10hipError_tPvRmT3_T4_T5_T6_T7_T9_mT8_P12ihipStream_tbDpT10_ENKUlT_T0_E_clISt17integral_constantIbLb0EES18_EEDaS13_S14_EUlS13_E_NS1_11comp_targetILNS1_3genE10ELNS1_11target_archE1200ELNS1_3gpuE4ELNS1_3repE0EEENS1_30default_config_static_selectorELNS0_4arch9wavefront6targetE0EEEvT1_,"axG",@progbits,_ZN7rocprim17ROCPRIM_400000_NS6detail17trampoline_kernelINS0_14default_configENS1_25partition_config_selectorILNS1_17partition_subalgoE6EyNS0_10empty_typeEbEEZZNS1_14partition_implILS5_6ELb0ES3_mN6thrust23THRUST_200600_302600_NS6detail15normal_iteratorINSA_10device_ptrIyEEEEPS6_SG_NS0_5tupleIJSF_S6_EEENSH_IJSG_SG_EEES6_PlJNSB_9not_fun_tI7is_trueIyEEEEEE10hipError_tPvRmT3_T4_T5_T6_T7_T9_mT8_P12ihipStream_tbDpT10_ENKUlT_T0_E_clISt17integral_constantIbLb0EES18_EEDaS13_S14_EUlS13_E_NS1_11comp_targetILNS1_3genE10ELNS1_11target_archE1200ELNS1_3gpuE4ELNS1_3repE0EEENS1_30default_config_static_selectorELNS0_4arch9wavefront6targetE0EEEvT1_,comdat
	.protected	_ZN7rocprim17ROCPRIM_400000_NS6detail17trampoline_kernelINS0_14default_configENS1_25partition_config_selectorILNS1_17partition_subalgoE6EyNS0_10empty_typeEbEEZZNS1_14partition_implILS5_6ELb0ES3_mN6thrust23THRUST_200600_302600_NS6detail15normal_iteratorINSA_10device_ptrIyEEEEPS6_SG_NS0_5tupleIJSF_S6_EEENSH_IJSG_SG_EEES6_PlJNSB_9not_fun_tI7is_trueIyEEEEEE10hipError_tPvRmT3_T4_T5_T6_T7_T9_mT8_P12ihipStream_tbDpT10_ENKUlT_T0_E_clISt17integral_constantIbLb0EES18_EEDaS13_S14_EUlS13_E_NS1_11comp_targetILNS1_3genE10ELNS1_11target_archE1200ELNS1_3gpuE4ELNS1_3repE0EEENS1_30default_config_static_selectorELNS0_4arch9wavefront6targetE0EEEvT1_ ; -- Begin function _ZN7rocprim17ROCPRIM_400000_NS6detail17trampoline_kernelINS0_14default_configENS1_25partition_config_selectorILNS1_17partition_subalgoE6EyNS0_10empty_typeEbEEZZNS1_14partition_implILS5_6ELb0ES3_mN6thrust23THRUST_200600_302600_NS6detail15normal_iteratorINSA_10device_ptrIyEEEEPS6_SG_NS0_5tupleIJSF_S6_EEENSH_IJSG_SG_EEES6_PlJNSB_9not_fun_tI7is_trueIyEEEEEE10hipError_tPvRmT3_T4_T5_T6_T7_T9_mT8_P12ihipStream_tbDpT10_ENKUlT_T0_E_clISt17integral_constantIbLb0EES18_EEDaS13_S14_EUlS13_E_NS1_11comp_targetILNS1_3genE10ELNS1_11target_archE1200ELNS1_3gpuE4ELNS1_3repE0EEENS1_30default_config_static_selectorELNS0_4arch9wavefront6targetE0EEEvT1_
	.globl	_ZN7rocprim17ROCPRIM_400000_NS6detail17trampoline_kernelINS0_14default_configENS1_25partition_config_selectorILNS1_17partition_subalgoE6EyNS0_10empty_typeEbEEZZNS1_14partition_implILS5_6ELb0ES3_mN6thrust23THRUST_200600_302600_NS6detail15normal_iteratorINSA_10device_ptrIyEEEEPS6_SG_NS0_5tupleIJSF_S6_EEENSH_IJSG_SG_EEES6_PlJNSB_9not_fun_tI7is_trueIyEEEEEE10hipError_tPvRmT3_T4_T5_T6_T7_T9_mT8_P12ihipStream_tbDpT10_ENKUlT_T0_E_clISt17integral_constantIbLb0EES18_EEDaS13_S14_EUlS13_E_NS1_11comp_targetILNS1_3genE10ELNS1_11target_archE1200ELNS1_3gpuE4ELNS1_3repE0EEENS1_30default_config_static_selectorELNS0_4arch9wavefront6targetE0EEEvT1_
	.p2align	8
	.type	_ZN7rocprim17ROCPRIM_400000_NS6detail17trampoline_kernelINS0_14default_configENS1_25partition_config_selectorILNS1_17partition_subalgoE6EyNS0_10empty_typeEbEEZZNS1_14partition_implILS5_6ELb0ES3_mN6thrust23THRUST_200600_302600_NS6detail15normal_iteratorINSA_10device_ptrIyEEEEPS6_SG_NS0_5tupleIJSF_S6_EEENSH_IJSG_SG_EEES6_PlJNSB_9not_fun_tI7is_trueIyEEEEEE10hipError_tPvRmT3_T4_T5_T6_T7_T9_mT8_P12ihipStream_tbDpT10_ENKUlT_T0_E_clISt17integral_constantIbLb0EES18_EEDaS13_S14_EUlS13_E_NS1_11comp_targetILNS1_3genE10ELNS1_11target_archE1200ELNS1_3gpuE4ELNS1_3repE0EEENS1_30default_config_static_selectorELNS0_4arch9wavefront6targetE0EEEvT1_,@function
_ZN7rocprim17ROCPRIM_400000_NS6detail17trampoline_kernelINS0_14default_configENS1_25partition_config_selectorILNS1_17partition_subalgoE6EyNS0_10empty_typeEbEEZZNS1_14partition_implILS5_6ELb0ES3_mN6thrust23THRUST_200600_302600_NS6detail15normal_iteratorINSA_10device_ptrIyEEEEPS6_SG_NS0_5tupleIJSF_S6_EEENSH_IJSG_SG_EEES6_PlJNSB_9not_fun_tI7is_trueIyEEEEEE10hipError_tPvRmT3_T4_T5_T6_T7_T9_mT8_P12ihipStream_tbDpT10_ENKUlT_T0_E_clISt17integral_constantIbLb0EES18_EEDaS13_S14_EUlS13_E_NS1_11comp_targetILNS1_3genE10ELNS1_11target_archE1200ELNS1_3gpuE4ELNS1_3repE0EEENS1_30default_config_static_selectorELNS0_4arch9wavefront6targetE0EEEvT1_: ; @_ZN7rocprim17ROCPRIM_400000_NS6detail17trampoline_kernelINS0_14default_configENS1_25partition_config_selectorILNS1_17partition_subalgoE6EyNS0_10empty_typeEbEEZZNS1_14partition_implILS5_6ELb0ES3_mN6thrust23THRUST_200600_302600_NS6detail15normal_iteratorINSA_10device_ptrIyEEEEPS6_SG_NS0_5tupleIJSF_S6_EEENSH_IJSG_SG_EEES6_PlJNSB_9not_fun_tI7is_trueIyEEEEEE10hipError_tPvRmT3_T4_T5_T6_T7_T9_mT8_P12ihipStream_tbDpT10_ENKUlT_T0_E_clISt17integral_constantIbLb0EES18_EEDaS13_S14_EUlS13_E_NS1_11comp_targetILNS1_3genE10ELNS1_11target_archE1200ELNS1_3gpuE4ELNS1_3repE0EEENS1_30default_config_static_selectorELNS0_4arch9wavefront6targetE0EEEvT1_
; %bb.0:
	s_clause 0x3
	s_load_b128 s[16:19], s[0:1], 0x8
	s_load_b128 s[8:11], s[0:1], 0x40
	s_load_b32 s3, s[0:1], 0x68
	s_load_b64 s[4:5], s[0:1], 0x50
	s_mov_b32 s13, 0
	s_lshl_b32 s2, ttmp9, 10
	v_lshrrev_b32_e32 v9, 2, v0
	v_or_b32_e32 v11, 0x200, v0
	v_or_b32_e32 v10, 0x300, v0
	s_mov_b32 s6, -1
	s_wait_kmcnt 0x0
	s_lshl_b64 s[14:15], s[18:19], 3
	s_load_b64 s[10:11], s[10:11], 0x0
	s_lshl_b32 s12, s3, 10
	s_add_co_i32 s3, s3, -1
	s_add_nc_u64 s[20:21], s[18:19], s[12:13]
	s_lshl_b32 s7, s3, 10
	v_cmp_le_u64_e64 s19, s[4:5], s[20:21]
	s_add_co_i32 s5, s18, s7
	s_cmp_eq_u32 ttmp9, s3
	s_mov_b32 s3, s13
	s_cselect_b32 s12, -1, 0
	s_add_nc_u64 s[14:15], s[16:17], s[14:15]
	s_and_b32 s7, s12, s19
	s_lshl_b64 s[2:3], s[2:3], 3
	s_xor_b32 s13, s7, -1
	s_add_nc_u64 s[2:3], s[14:15], s[2:3]
	s_and_b32 vcc_lo, exec_lo, s13
	s_cbranch_vccz .LBB1114_2
; %bb.1:
	v_lshlrev_b32_e32 v12, 3, v0
	v_or_b32_e32 v13, 0x100, v0
	v_lshrrev_b32_e32 v14, 2, v11
	v_lshrrev_b32_e32 v15, 2, v10
	v_and_b32_e32 v16, 56, v9
	v_add_co_u32 v1, s6, s2, v12
	s_delay_alu instid0(VALU_DEP_1)
	v_add_co_ci_u32_e64 v2, null, s3, 0, s6
	v_lshrrev_b32_e32 v13, 2, v13
	v_and_b32_e32 v14, 0xb8, v14
	v_and_b32_e32 v15, 0xf8, v15
	s_clause 0x3
	flat_load_b64 v[3:4], v[1:2]
	flat_load_b64 v[5:6], v[1:2] offset:2048
	flat_load_b64 v[7:8], v[1:2] offset:4096
	;; [unrolled: 1-line block ×3, first 2 shown]
	v_add_nc_u32_e32 v16, v16, v12
	v_and_b32_e32 v13, 0x78, v13
	v_add_nc_u32_e32 v14, v14, v12
	s_mov_b32 s6, 0
	s_delay_alu instid0(VALU_DEP_2)
	v_add_nc_u32_e32 v13, v13, v12
	v_add_nc_u32_e32 v12, v15, v12
	s_wait_loadcnt_dscnt 0x303
	ds_store_b64 v16, v[3:4]
	s_wait_loadcnt_dscnt 0x203
	ds_store_b64 v13, v[5:6] offset:2048
	s_wait_loadcnt_dscnt 0x103
	ds_store_b64 v14, v[7:8] offset:4096
	;; [unrolled: 2-line block ×3, first 2 shown]
	s_wait_dscnt 0x0
	s_barrier_signal -1
	s_barrier_wait -1
.LBB1114_2:
	s_wait_alu 0xfffe
	s_and_not1_b32 vcc_lo, exec_lo, s6
	s_sub_co_i32 s7, s4, s5
	s_cbranch_vccnz .LBB1114_10
; %bb.3:
	v_mov_b32_e32 v1, 0
	s_mov_b32 s4, exec_lo
	s_delay_alu instid0(VALU_DEP_1)
	v_dual_mov_b32 v2, v1 :: v_dual_mov_b32 v3, v1
	v_dual_mov_b32 v4, v1 :: v_dual_mov_b32 v5, v1
	;; [unrolled: 1-line block ×3, first 2 shown]
	v_mov_b32_e32 v8, v1
	s_wait_alu 0xfffe
	v_cmpx_gt_u32_e64 s7, v0
	s_cbranch_execz .LBB1114_5
; %bb.4:
	v_dual_mov_b32 v15, v1 :: v_dual_lshlrev_b32 v2, 3, v0
	v_dual_mov_b32 v14, v1 :: v_dual_mov_b32 v17, v1
	v_dual_mov_b32 v16, v1 :: v_dual_mov_b32 v19, v1
	s_delay_alu instid0(VALU_DEP_3)
	v_add_co_u32 v2, s5, s2, v2
	s_wait_alu 0xf1ff
	v_add_co_ci_u32_e64 v3, null, s3, 0, s5
	v_mov_b32_e32 v18, v1
	flat_load_b64 v[12:13], v[2:3]
	s_wait_loadcnt_dscnt 0x0
	v_dual_mov_b32 v1, v12 :: v_dual_mov_b32 v2, v13
	v_dual_mov_b32 v3, v14 :: v_dual_mov_b32 v4, v15
	;; [unrolled: 1-line block ×4, first 2 shown]
.LBB1114_5:
	s_or_b32 exec_lo, exec_lo, s4
	v_or_b32_e32 v12, 0x100, v0
	s_mov_b32 s4, exec_lo
	s_delay_alu instid0(VALU_DEP_1)
	v_cmpx_gt_u32_e64 s7, v12
	s_cbranch_execnz .LBB1114_128
; %bb.6:
	s_wait_alu 0xfffe
	s_or_b32 exec_lo, exec_lo, s4
	s_delay_alu instid0(SALU_CYCLE_1)
	s_mov_b32 s4, exec_lo
	v_cmpx_gt_u32_e64 s7, v11
	s_cbranch_execnz .LBB1114_129
.LBB1114_7:
	s_wait_alu 0xfffe
	s_or_b32 exec_lo, exec_lo, s4
	s_delay_alu instid0(SALU_CYCLE_1)
	s_mov_b32 s4, exec_lo
	v_cmpx_gt_u32_e64 s7, v10
	s_cbranch_execz .LBB1114_9
.LBB1114_8:
	v_lshlrev_b32_e32 v7, 3, v0
	s_delay_alu instid0(VALU_DEP_1)
	v_add_co_u32 v7, s2, s2, v7
	s_wait_alu 0xf1ff
	v_add_co_ci_u32_e64 v8, null, s3, 0, s2
	flat_load_b64 v[7:8], v[7:8] offset:6144
.LBB1114_9:
	s_wait_alu 0xfffe
	s_or_b32 exec_lo, exec_lo, s4
	v_lshrrev_b32_e32 v12, 2, v12
	v_lshrrev_b32_e32 v11, 2, v11
	;; [unrolled: 1-line block ×3, first 2 shown]
	v_and_b32_e32 v9, 56, v9
	v_lshlrev_b32_e32 v13, 3, v0
	v_and_b32_e32 v12, 0x78, v12
	v_and_b32_e32 v11, 0xf8, v11
	v_and_b32_e32 v10, 0xf8, v10
	s_delay_alu instid0(VALU_DEP_4) | instskip(NEXT) | instid1(VALU_DEP_4)
	v_add_nc_u32_e32 v9, v9, v13
	v_add_nc_u32_e32 v12, v12, v13
	s_delay_alu instid0(VALU_DEP_4) | instskip(NEXT) | instid1(VALU_DEP_4)
	v_add_nc_u32_e32 v11, v11, v13
	v_add_nc_u32_e32 v10, v10, v13
	ds_store_b64 v9, v[1:2]
	s_wait_loadcnt_dscnt 0x1
	ds_store_b64 v12, v[3:4] offset:2048
	ds_store_b64 v11, v[5:6] offset:4096
	;; [unrolled: 1-line block ×3, first 2 shown]
	s_wait_dscnt 0x0
	s_barrier_signal -1
	s_barrier_wait -1
.LBB1114_10:
	v_and_b32_e32 v1, 0xf8, v0
	global_inv scope:SCOPE_SE
	s_and_not1_b32 vcc_lo, exec_lo, s13
	v_lshl_add_u32 v5, v0, 5, v1
	ds_load_2addr_b64 v[1:4], v5 offset1:3
	ds_load_2addr_b64 v[5:8], v5 offset0:1 offset1:2
	s_wait_loadcnt_dscnt 0x0
	s_barrier_signal -1
	s_barrier_wait -1
	global_inv scope:SCOPE_SE
	v_cmp_eq_u64_e64 s2, 0, v[1:2]
	v_cmp_eq_u64_e64 s14, 0, v[3:4]
	s_cbranch_vccnz .LBB1114_12
; %bb.11:
	v_cmp_eq_u64_e32 vcc_lo, 0, v[7:8]
	s_wait_alu 0xf1ff
	v_cndmask_b32_e64 v27, 0, 1, s2
	v_cndmask_b32_e64 v25, 0, 1, vcc_lo
	v_cmp_eq_u64_e32 vcc_lo, 0, v[5:6]
	s_delay_alu instid0(VALU_DEP_2) | instskip(SKIP_2) | instid1(VALU_DEP_1)
	v_lshlrev_b16 v10, 8, v25
	s_wait_alu 0xfffd
	v_cndmask_b32_e64 v9, 0, 1, vcc_lo
	v_or_b32_e32 v26, v9, v10
	s_cbranch_execz .LBB1114_13
	s_branch .LBB1114_14
.LBB1114_12:
                                        ; implicit-def: $sgpr14
                                        ; implicit-def: $vgpr27
                                        ; implicit-def: $vgpr26
                                        ; implicit-def: $vgpr25
.LBB1114_13:
	v_lshlrev_b32_e32 v9, 2, v0
	v_cmp_eq_u64_e64 s2, 0, v[7:8]
	v_cmp_eq_u64_e64 s4, 0, v[5:6]
	v_cmp_eq_u64_e32 vcc_lo, 0, v[1:2]
	v_cmp_eq_u64_e64 s5, 0, v[3:4]
	v_or_b32_e32 v10, 2, v9
	v_or_b32_e32 v11, 1, v9
	s_wait_alu 0xfffe
	s_delay_alu instid0(VALU_DEP_2) | instskip(NEXT) | instid1(VALU_DEP_2)
	v_cmp_gt_u32_e64 s3, s7, v10
	v_cmp_gt_u32_e64 s6, s7, v11
	v_or_b32_e32 v10, 3, v9
	s_and_b32 s2, s3, s2
	s_and_b32 s4, s6, s4
	s_wait_alu 0xfffe
	v_cndmask_b32_e64 v25, 0, 1, s2
	v_cmp_gt_u32_e64 s2, s7, v9
	v_cmp_gt_u32_e64 s3, s7, v10
	v_cndmask_b32_e64 v9, 0, 1, s4
	s_delay_alu instid0(VALU_DEP_4)
	v_lshlrev_b16 v10, 8, v25
	s_and_b32 s2, s2, vcc_lo
	s_wait_alu 0xfffe
	v_cndmask_b32_e64 v27, 0, 1, s2
	s_and_b32 s2, s3, s5
	v_or_b32_e32 v26, v9, v10
	s_and_not1_b32 s3, s14, exec_lo
	s_wait_alu 0xfffe
	s_and_b32 s2, s2, exec_lo
	s_wait_alu 0xfffe
	s_or_b32 s14, s3, s2
.LBB1114_14:
	s_load_b64 s[6:7], s[0:1], 0x60
	v_and_b32_e32 v30, 0xff, v27
	v_dual_mov_b32 v10, 0 :: v_dual_and_b32 v29, 0xff, v26
	v_cndmask_b32_e64 v9, 0, 1, s14
	v_mbcnt_lo_u32_b32 v31, -1, 0
	v_and_b32_e32 v28, 0xff, v25
	s_cmp_lg_u32 ttmp9, 0
	s_mov_b32 s3, -1
	v_add3_u32 v9, v30, v9, v29
	v_and_b32_e32 v32, 15, v31
	s_delay_alu instid0(VALU_DEP_2) | instskip(SKIP_2) | instid1(VALU_DEP_3)
	v_add_co_u32 v17, s2, v9, v28
	s_wait_alu 0xf1ff
	v_add_co_ci_u32_e64 v18, null, 0, 0, s2
	v_cmp_ne_u32_e64 s2, 0, v32
	s_cbranch_scc0 .LBB1114_71
; %bb.15:
	v_mov_b32_e32 v11, v17
	v_mov_b32_dpp v9, v17 row_shr:1 row_mask:0xf bank_mask:0xf
	v_mov_b32_dpp v14, v10 row_shr:1 row_mask:0xf bank_mask:0xf
	v_dual_mov_b32 v13, v17 :: v_dual_mov_b32 v12, v18
	s_and_saveexec_b32 s3, s2
; %bb.16:
	s_delay_alu instid0(VALU_DEP_3) | instskip(SKIP_2) | instid1(VALU_DEP_2)
	v_add_co_u32 v13, vcc_lo, v17, v9
	s_wait_alu 0xfffd
	v_add_co_ci_u32_e64 v10, null, 0, v18, vcc_lo
	v_add_co_u32 v9, vcc_lo, 0, v13
	s_wait_alu 0xfffd
	s_delay_alu instid0(VALU_DEP_2) | instskip(NEXT) | instid1(VALU_DEP_1)
	v_add_co_ci_u32_e64 v10, null, v14, v10, vcc_lo
	v_dual_mov_b32 v12, v10 :: v_dual_mov_b32 v11, v9
; %bb.17:
	s_wait_alu 0xfffe
	s_or_b32 exec_lo, exec_lo, s3
	v_mov_b32_dpp v9, v13 row_shr:2 row_mask:0xf bank_mask:0xf
	v_mov_b32_dpp v14, v10 row_shr:2 row_mask:0xf bank_mask:0xf
	s_mov_b32 s3, exec_lo
	v_cmpx_lt_u32_e32 1, v32
; %bb.18:
	s_delay_alu instid0(VALU_DEP_3) | instskip(SKIP_2) | instid1(VALU_DEP_2)
	v_add_co_u32 v13, vcc_lo, v11, v9
	s_wait_alu 0xfffd
	v_add_co_ci_u32_e64 v10, null, 0, v12, vcc_lo
	v_add_co_u32 v9, vcc_lo, 0, v13
	s_wait_alu 0xfffd
	s_delay_alu instid0(VALU_DEP_2) | instskip(NEXT) | instid1(VALU_DEP_1)
	v_add_co_ci_u32_e64 v10, null, v14, v10, vcc_lo
	v_dual_mov_b32 v12, v10 :: v_dual_mov_b32 v11, v9
; %bb.19:
	s_wait_alu 0xfffe
	s_or_b32 exec_lo, exec_lo, s3
	v_mov_b32_dpp v9, v13 row_shr:4 row_mask:0xf bank_mask:0xf
	v_mov_b32_dpp v14, v10 row_shr:4 row_mask:0xf bank_mask:0xf
	s_mov_b32 s3, exec_lo
	v_cmpx_lt_u32_e32 3, v32
	;; [unrolled: 17-line block ×3, first 2 shown]
; %bb.22:
	s_delay_alu instid0(VALU_DEP_3) | instskip(SKIP_2) | instid1(VALU_DEP_2)
	v_add_co_u32 v13, vcc_lo, v11, v14
	s_wait_alu 0xfffd
	v_add_co_ci_u32_e64 v10, null, 0, v12, vcc_lo
	v_add_co_u32 v11, vcc_lo, 0, v13
	s_wait_alu 0xfffd
	s_delay_alu instid0(VALU_DEP_2) | instskip(NEXT) | instid1(VALU_DEP_1)
	v_add_co_ci_u32_e64 v12, null, v9, v10, vcc_lo
	v_mov_b32_e32 v10, v12
; %bb.23:
	s_wait_alu 0xfffe
	s_or_b32 exec_lo, exec_lo, s3
	ds_swizzle_b32 v9, v13 offset:swizzle(BROADCAST,32,15)
	ds_swizzle_b32 v14, v10 offset:swizzle(BROADCAST,32,15)
	v_and_b32_e32 v15, 16, v31
	s_mov_b32 s3, exec_lo
	s_delay_alu instid0(VALU_DEP_1)
	v_cmpx_ne_u32_e32 0, v15
	s_cbranch_execz .LBB1114_25
; %bb.24:
	s_wait_dscnt 0x1
	v_add_co_u32 v13, vcc_lo, v11, v9
	s_wait_alu 0xfffd
	v_add_co_ci_u32_e64 v10, null, 0, v12, vcc_lo
	s_delay_alu instid0(VALU_DEP_2) | instskip(SKIP_2) | instid1(VALU_DEP_2)
	v_add_co_u32 v9, vcc_lo, 0, v13
	s_wait_dscnt 0x0
	s_wait_alu 0xfffd
	v_add_co_ci_u32_e64 v10, null, v14, v10, vcc_lo
	s_delay_alu instid0(VALU_DEP_1)
	v_dual_mov_b32 v12, v10 :: v_dual_mov_b32 v11, v9
.LBB1114_25:
	s_wait_alu 0xfffe
	s_or_b32 exec_lo, exec_lo, s3
	s_wait_dscnt 0x0
	v_or_b32_e32 v14, 31, v0
	v_lshrrev_b32_e32 v9, 5, v0
	s_mov_b32 s3, exec_lo
	s_delay_alu instid0(VALU_DEP_2)
	v_cmpx_eq_u32_e64 v0, v14
; %bb.26:
	s_delay_alu instid0(VALU_DEP_2)
	v_lshlrev_b32_e32 v14, 3, v9
	ds_store_b64 v14, v[11:12]
; %bb.27:
	s_wait_alu 0xfffe
	s_or_b32 exec_lo, exec_lo, s3
	s_delay_alu instid0(SALU_CYCLE_1)
	s_mov_b32 s3, exec_lo
	s_wait_loadcnt_dscnt 0x0
	s_barrier_signal -1
	s_barrier_wait -1
	global_inv scope:SCOPE_SE
	v_cmpx_gt_u32_e32 8, v0
	s_cbranch_execz .LBB1114_35
; %bb.28:
	v_lshlrev_b32_e32 v14, 3, v0
	s_mov_b32 s4, exec_lo
	ds_load_b64 v[11:12], v14
	s_wait_dscnt 0x0
	v_dual_mov_b32 v16, v11 :: v_dual_and_b32 v15, 7, v31
	v_mov_b32_dpp v20, v11 row_shr:1 row_mask:0xf bank_mask:0xf
	v_mov_b32_dpp v19, v12 row_shr:1 row_mask:0xf bank_mask:0xf
	s_delay_alu instid0(VALU_DEP_3)
	v_cmpx_ne_u32_e32 0, v15
; %bb.29:
	s_delay_alu instid0(VALU_DEP_3) | instskip(SKIP_2) | instid1(VALU_DEP_2)
	v_add_co_u32 v16, vcc_lo, v11, v20
	s_wait_alu 0xfffd
	v_add_co_ci_u32_e64 v12, null, 0, v12, vcc_lo
	v_add_co_u32 v11, vcc_lo, 0, v16
	s_wait_alu 0xfffd
	s_delay_alu instid0(VALU_DEP_2)
	v_add_co_ci_u32_e64 v12, null, v19, v12, vcc_lo
; %bb.30:
	s_wait_alu 0xfffe
	s_or_b32 exec_lo, exec_lo, s4
	v_mov_b32_dpp v20, v16 row_shr:2 row_mask:0xf bank_mask:0xf
	s_delay_alu instid0(VALU_DEP_2)
	v_mov_b32_dpp v19, v12 row_shr:2 row_mask:0xf bank_mask:0xf
	s_mov_b32 s4, exec_lo
	v_cmpx_lt_u32_e32 1, v15
; %bb.31:
	s_delay_alu instid0(VALU_DEP_3) | instskip(SKIP_2) | instid1(VALU_DEP_2)
	v_add_co_u32 v16, vcc_lo, v11, v20
	s_wait_alu 0xfffd
	v_add_co_ci_u32_e64 v12, null, 0, v12, vcc_lo
	v_add_co_u32 v11, vcc_lo, 0, v16
	s_wait_alu 0xfffd
	s_delay_alu instid0(VALU_DEP_2)
	v_add_co_ci_u32_e64 v12, null, v19, v12, vcc_lo
; %bb.32:
	s_wait_alu 0xfffe
	s_or_b32 exec_lo, exec_lo, s4
	v_mov_b32_dpp v19, v16 row_shr:4 row_mask:0xf bank_mask:0xf
	s_delay_alu instid0(VALU_DEP_2)
	v_mov_b32_dpp v16, v12 row_shr:4 row_mask:0xf bank_mask:0xf
	s_mov_b32 s4, exec_lo
	v_cmpx_lt_u32_e32 3, v15
; %bb.33:
	s_delay_alu instid0(VALU_DEP_3) | instskip(SKIP_2) | instid1(VALU_DEP_2)
	v_add_co_u32 v11, vcc_lo, v11, v19
	s_wait_alu 0xfffd
	v_add_co_ci_u32_e64 v12, null, 0, v12, vcc_lo
	v_add_co_u32 v11, vcc_lo, v11, 0
	s_wait_alu 0xfffd
	s_delay_alu instid0(VALU_DEP_2)
	v_add_co_ci_u32_e64 v12, null, v12, v16, vcc_lo
; %bb.34:
	s_wait_alu 0xfffe
	s_or_b32 exec_lo, exec_lo, s4
	ds_store_b64 v14, v[11:12]
.LBB1114_35:
	s_wait_alu 0xfffe
	s_or_b32 exec_lo, exec_lo, s3
	s_delay_alu instid0(SALU_CYCLE_1)
	s_mov_b32 s4, exec_lo
	v_cmp_gt_u32_e32 vcc_lo, 32, v0
	s_wait_loadcnt_dscnt 0x0
	s_barrier_signal -1
	s_barrier_wait -1
	global_inv scope:SCOPE_SE
                                        ; implicit-def: $vgpr19_vgpr20
	v_cmpx_lt_u32_e32 31, v0
	s_cbranch_execz .LBB1114_37
; %bb.36:
	v_lshl_add_u32 v9, v9, 3, -8
	ds_load_b64 v[19:20], v9
	s_wait_dscnt 0x0
	v_add_co_u32 v13, s3, v13, v19
	s_wait_alu 0xf1ff
	v_add_co_ci_u32_e64 v10, null, v10, v20, s3
.LBB1114_37:
	s_wait_alu 0xfffe
	s_or_b32 exec_lo, exec_lo, s4
	v_sub_co_u32 v9, s3, v31, 1
	s_delay_alu instid0(VALU_DEP_1) | instskip(SKIP_1) | instid1(VALU_DEP_1)
	v_cmp_gt_i32_e64 s4, 0, v9
	s_wait_alu 0xf1ff
	v_cndmask_b32_e64 v9, v9, v31, s4
	s_delay_alu instid0(VALU_DEP_1)
	v_lshlrev_b32_e32 v9, 2, v9
	ds_bpermute_b32 v33, v9, v13
	ds_bpermute_b32 v34, v9, v10
	s_and_saveexec_b32 s4, vcc_lo
	s_cbranch_execz .LBB1114_76
; %bb.38:
	v_mov_b32_e32 v12, 0
	ds_load_b64 v[9:10], v12 offset:56
	s_and_saveexec_b32 s5, s3
	s_cbranch_execz .LBB1114_40
; %bb.39:
	s_add_co_i32 s16, ttmp9, 32
	s_mov_b32 s17, 0
	s_delay_alu instid0(SALU_CYCLE_1)
	s_lshl_b64 s[16:17], s[16:17], 4
	s_wait_kmcnt 0x0
	s_add_nc_u64 s[16:17], s[6:7], s[16:17]
	v_mov_b32_e32 v11, 1
	v_dual_mov_b32 v13, s16 :: v_dual_mov_b32 v14, s17
	s_wait_dscnt 0x0
	;;#ASMSTART
	global_store_b128 v[13:14], v[9:12] off scope:SCOPE_DEV	
s_wait_storecnt 0x0
	;;#ASMEND
.LBB1114_40:
	s_wait_alu 0xfffe
	s_or_b32 exec_lo, exec_lo, s5
	v_xad_u32 v21, v31, -1, ttmp9
	s_mov_b32 s15, 0
	s_mov_b32 s5, exec_lo
	s_delay_alu instid0(VALU_DEP_1) | instskip(NEXT) | instid1(VALU_DEP_1)
	v_add_nc_u32_e32 v11, 32, v21
	v_lshlrev_b64_e32 v[11:12], 4, v[11:12]
	s_wait_kmcnt 0x0
	s_delay_alu instid0(VALU_DEP_1) | instskip(SKIP_1) | instid1(VALU_DEP_2)
	v_add_co_u32 v11, vcc_lo, s6, v11
	s_wait_alu 0xfffd
	v_add_co_ci_u32_e64 v12, null, s7, v12, vcc_lo
	;;#ASMSTART
	global_load_b128 v[13:16], v[11:12] off scope:SCOPE_DEV	
s_wait_loadcnt 0x0
	;;#ASMEND
	v_and_b32_e32 v16, 0xff, v15
	s_delay_alu instid0(VALU_DEP_1)
	v_cmpx_eq_u16_e32 0, v16
	s_cbranch_execz .LBB1114_43
.LBB1114_41:                            ; =>This Inner Loop Header: Depth=1
	;;#ASMSTART
	global_load_b128 v[13:16], v[11:12] off scope:SCOPE_DEV	
s_wait_loadcnt 0x0
	;;#ASMEND
	v_and_b32_e32 v16, 0xff, v15
	s_delay_alu instid0(VALU_DEP_1)
	v_cmp_ne_u16_e32 vcc_lo, 0, v16
	s_wait_alu 0xfffe
	s_or_b32 s15, vcc_lo, s15
	s_wait_alu 0xfffe
	s_and_not1_b32 exec_lo, exec_lo, s15
	s_cbranch_execnz .LBB1114_41
; %bb.42:
	s_or_b32 exec_lo, exec_lo, s15
.LBB1114_43:
	s_wait_alu 0xfffe
	s_or_b32 exec_lo, exec_lo, s5
	v_cmp_ne_u32_e32 vcc_lo, 31, v31
	v_and_b32_e32 v12, 0xff, v15
	v_lshlrev_b32_e64 v36, v31, -1
	s_mov_b32 s5, exec_lo
	s_wait_alu 0xfffd
	v_add_co_ci_u32_e64 v11, null, 0, v31, vcc_lo
	v_cmp_eq_u16_e32 vcc_lo, 2, v12
	s_delay_alu instid0(VALU_DEP_2)
	v_dual_mov_b32 v12, v13 :: v_dual_lshlrev_b32 v35, 2, v11
	s_wait_alu 0xfffd
	v_and_or_b32 v11, vcc_lo, v36, 0x80000000
	ds_bpermute_b32 v22, v35, v13
	ds_bpermute_b32 v16, v35, v14
	v_ctz_i32_b32_e32 v11, v11
	s_delay_alu instid0(VALU_DEP_1)
	v_cmpx_lt_u32_e64 v31, v11
	s_cbranch_execz .LBB1114_45
; %bb.44:
	s_wait_dscnt 0x1
	v_add_co_u32 v12, vcc_lo, v13, v22
	s_wait_alu 0xfffd
	v_add_co_ci_u32_e64 v14, null, 0, v14, vcc_lo
	s_delay_alu instid0(VALU_DEP_2) | instskip(SKIP_2) | instid1(VALU_DEP_2)
	v_add_co_u32 v13, vcc_lo, 0, v12
	s_wait_dscnt 0x0
	s_wait_alu 0xfffd
	v_add_co_ci_u32_e64 v14, null, v16, v14, vcc_lo
.LBB1114_45:
	s_wait_alu 0xfffe
	s_or_b32 exec_lo, exec_lo, s5
	v_cmp_gt_u32_e32 vcc_lo, 30, v31
	v_add_nc_u32_e32 v38, 2, v31
	s_mov_b32 s5, exec_lo
	s_wait_dscnt 0x0
	s_wait_alu 0xfffd
	v_cndmask_b32_e64 v16, 0, 2, vcc_lo
	s_delay_alu instid0(VALU_DEP_1)
	v_add_lshl_u32 v37, v16, v31, 2
	ds_bpermute_b32 v22, v37, v12
	ds_bpermute_b32 v16, v37, v14
	v_cmpx_le_u32_e64 v38, v11
	s_cbranch_execz .LBB1114_47
; %bb.46:
	s_wait_dscnt 0x1
	v_add_co_u32 v12, vcc_lo, v13, v22
	s_wait_alu 0xfffd
	v_add_co_ci_u32_e64 v14, null, 0, v14, vcc_lo
	s_delay_alu instid0(VALU_DEP_2) | instskip(SKIP_2) | instid1(VALU_DEP_2)
	v_add_co_u32 v13, vcc_lo, 0, v12
	s_wait_dscnt 0x0
	s_wait_alu 0xfffd
	v_add_co_ci_u32_e64 v14, null, v16, v14, vcc_lo
.LBB1114_47:
	s_wait_alu 0xfffe
	s_or_b32 exec_lo, exec_lo, s5
	v_cmp_gt_u32_e32 vcc_lo, 28, v31
	v_add_nc_u32_e32 v40, 4, v31
	s_mov_b32 s5, exec_lo
	s_wait_dscnt 0x0
	s_wait_alu 0xfffd
	v_cndmask_b32_e64 v16, 0, 4, vcc_lo
	s_delay_alu instid0(VALU_DEP_1)
	v_add_lshl_u32 v39, v16, v31, 2
	ds_bpermute_b32 v22, v39, v12
	ds_bpermute_b32 v16, v39, v14
	v_cmpx_le_u32_e64 v40, v11
	s_cbranch_execz .LBB1114_49
; %bb.48:
	s_wait_dscnt 0x1
	v_add_co_u32 v12, vcc_lo, v13, v22
	s_wait_alu 0xfffd
	v_add_co_ci_u32_e64 v14, null, 0, v14, vcc_lo
	s_delay_alu instid0(VALU_DEP_2) | instskip(SKIP_2) | instid1(VALU_DEP_2)
	v_add_co_u32 v13, vcc_lo, 0, v12
	s_wait_dscnt 0x0
	s_wait_alu 0xfffd
	v_add_co_ci_u32_e64 v14, null, v16, v14, vcc_lo
.LBB1114_49:
	s_wait_alu 0xfffe
	s_or_b32 exec_lo, exec_lo, s5
	v_cmp_gt_u32_e32 vcc_lo, 24, v31
	v_add_nc_u32_e32 v42, 8, v31
	s_mov_b32 s5, exec_lo
	s_wait_dscnt 0x0
	s_wait_alu 0xfffd
	v_cndmask_b32_e64 v16, 0, 8, vcc_lo
	s_delay_alu instid0(VALU_DEP_1)
	v_add_lshl_u32 v41, v16, v31, 2
	ds_bpermute_b32 v22, v41, v12
	ds_bpermute_b32 v16, v41, v14
	v_cmpx_le_u32_e64 v42, v11
	s_cbranch_execz .LBB1114_51
; %bb.50:
	s_wait_dscnt 0x1
	v_add_co_u32 v12, vcc_lo, v13, v22
	s_wait_alu 0xfffd
	v_add_co_ci_u32_e64 v14, null, 0, v14, vcc_lo
	s_delay_alu instid0(VALU_DEP_2) | instskip(SKIP_2) | instid1(VALU_DEP_2)
	v_add_co_u32 v13, vcc_lo, 0, v12
	s_wait_dscnt 0x0
	s_wait_alu 0xfffd
	v_add_co_ci_u32_e64 v14, null, v16, v14, vcc_lo
.LBB1114_51:
	s_wait_alu 0xfffe
	s_or_b32 exec_lo, exec_lo, s5
	v_lshl_or_b32 v43, v31, 2, 64
	v_add_nc_u32_e32 v44, 16, v31
	s_mov_b32 s5, exec_lo
	s_wait_dscnt 0x0
	ds_bpermute_b32 v16, v43, v12
	ds_bpermute_b32 v12, v43, v14
	v_cmpx_le_u32_e64 v44, v11
	s_cbranch_execz .LBB1114_53
; %bb.52:
	s_wait_dscnt 0x1
	v_add_co_u32 v11, vcc_lo, v13, v16
	s_wait_alu 0xfffd
	v_add_co_ci_u32_e64 v14, null, 0, v14, vcc_lo
	s_delay_alu instid0(VALU_DEP_2) | instskip(SKIP_2) | instid1(VALU_DEP_2)
	v_add_co_u32 v13, vcc_lo, v11, 0
	s_wait_dscnt 0x0
	s_wait_alu 0xfffd
	v_add_co_ci_u32_e64 v14, null, v14, v12, vcc_lo
.LBB1114_53:
	s_wait_alu 0xfffe
	s_or_b32 exec_lo, exec_lo, s5
	v_mov_b32_e32 v22, 0
	s_branch .LBB1114_56
.LBB1114_54:                            ;   in Loop: Header=BB1114_56 Depth=1
	s_wait_alu 0xfffe
	s_or_b32 exec_lo, exec_lo, s5
	v_add_co_u32 v13, vcc_lo, v13, v11
	v_subrev_nc_u32_e32 v21, 32, v21
	s_wait_alu 0xfffd
	v_add_co_ci_u32_e64 v14, null, v14, v12, vcc_lo
	s_mov_b32 s5, 0
.LBB1114_55:                            ;   in Loop: Header=BB1114_56 Depth=1
	s_wait_alu 0xfffe
	s_and_b32 vcc_lo, exec_lo, s5
	s_wait_alu 0xfffe
	s_cbranch_vccnz .LBB1114_72
.LBB1114_56:                            ; =>This Loop Header: Depth=1
                                        ;     Child Loop BB1114_59 Depth 2
	v_and_b32_e32 v11, 0xff, v15
	s_mov_b32 s5, -1
	s_delay_alu instid0(VALU_DEP_1)
	v_cmp_ne_u16_e32 vcc_lo, 2, v11
	s_wait_dscnt 0x0
	v_dual_mov_b32 v11, v13 :: v_dual_mov_b32 v12, v14
                                        ; implicit-def: $vgpr13_vgpr14
	s_cmp_lg_u32 vcc_lo, exec_lo
	s_cbranch_scc1 .LBB1114_55
; %bb.57:                               ;   in Loop: Header=BB1114_56 Depth=1
	v_lshlrev_b64_e32 v[13:14], 4, v[21:22]
	s_mov_b32 s5, exec_lo
	s_delay_alu instid0(VALU_DEP_1) | instskip(SKIP_1) | instid1(VALU_DEP_2)
	v_add_co_u32 v23, vcc_lo, s6, v13
	s_wait_alu 0xfffd
	v_add_co_ci_u32_e64 v24, null, s7, v14, vcc_lo
	;;#ASMSTART
	global_load_b128 v[13:16], v[23:24] off scope:SCOPE_DEV	
s_wait_loadcnt 0x0
	;;#ASMEND
	v_and_b32_e32 v16, 0xff, v15
	s_delay_alu instid0(VALU_DEP_1)
	v_cmpx_eq_u16_e32 0, v16
	s_cbranch_execz .LBB1114_61
; %bb.58:                               ;   in Loop: Header=BB1114_56 Depth=1
	s_mov_b32 s15, 0
.LBB1114_59:                            ;   Parent Loop BB1114_56 Depth=1
                                        ; =>  This Inner Loop Header: Depth=2
	;;#ASMSTART
	global_load_b128 v[13:16], v[23:24] off scope:SCOPE_DEV	
s_wait_loadcnt 0x0
	;;#ASMEND
	v_and_b32_e32 v16, 0xff, v15
	s_delay_alu instid0(VALU_DEP_1)
	v_cmp_ne_u16_e32 vcc_lo, 0, v16
	s_wait_alu 0xfffe
	s_or_b32 s15, vcc_lo, s15
	s_wait_alu 0xfffe
	s_and_not1_b32 exec_lo, exec_lo, s15
	s_cbranch_execnz .LBB1114_59
; %bb.60:                               ;   in Loop: Header=BB1114_56 Depth=1
	s_or_b32 exec_lo, exec_lo, s15
.LBB1114_61:                            ;   in Loop: Header=BB1114_56 Depth=1
	s_wait_alu 0xfffe
	s_or_b32 exec_lo, exec_lo, s5
	v_dual_mov_b32 v23, v13 :: v_dual_and_b32 v16, 0xff, v15
	ds_bpermute_b32 v45, v35, v13
	ds_bpermute_b32 v24, v35, v14
	s_mov_b32 s5, exec_lo
	v_cmp_eq_u16_e32 vcc_lo, 2, v16
	s_wait_alu 0xfffd
	v_and_or_b32 v16, vcc_lo, v36, 0x80000000
	s_delay_alu instid0(VALU_DEP_1) | instskip(NEXT) | instid1(VALU_DEP_1)
	v_ctz_i32_b32_e32 v16, v16
	v_cmpx_lt_u32_e64 v31, v16
	s_cbranch_execz .LBB1114_63
; %bb.62:                               ;   in Loop: Header=BB1114_56 Depth=1
	s_wait_dscnt 0x1
	v_add_co_u32 v23, vcc_lo, v13, v45
	s_wait_alu 0xfffd
	v_add_co_ci_u32_e64 v14, null, 0, v14, vcc_lo
	s_delay_alu instid0(VALU_DEP_2) | instskip(SKIP_2) | instid1(VALU_DEP_2)
	v_add_co_u32 v13, vcc_lo, 0, v23
	s_wait_dscnt 0x0
	s_wait_alu 0xfffd
	v_add_co_ci_u32_e64 v14, null, v24, v14, vcc_lo
.LBB1114_63:                            ;   in Loop: Header=BB1114_56 Depth=1
	s_wait_alu 0xfffe
	s_or_b32 exec_lo, exec_lo, s5
	s_wait_dscnt 0x1
	ds_bpermute_b32 v45, v37, v23
	s_wait_dscnt 0x1
	ds_bpermute_b32 v24, v37, v14
	s_mov_b32 s5, exec_lo
	v_cmpx_le_u32_e64 v38, v16
	s_cbranch_execz .LBB1114_65
; %bb.64:                               ;   in Loop: Header=BB1114_56 Depth=1
	s_wait_dscnt 0x1
	v_add_co_u32 v23, vcc_lo, v13, v45
	s_wait_alu 0xfffd
	v_add_co_ci_u32_e64 v14, null, 0, v14, vcc_lo
	s_delay_alu instid0(VALU_DEP_2) | instskip(SKIP_2) | instid1(VALU_DEP_2)
	v_add_co_u32 v13, vcc_lo, 0, v23
	s_wait_dscnt 0x0
	s_wait_alu 0xfffd
	v_add_co_ci_u32_e64 v14, null, v24, v14, vcc_lo
.LBB1114_65:                            ;   in Loop: Header=BB1114_56 Depth=1
	s_wait_alu 0xfffe
	s_or_b32 exec_lo, exec_lo, s5
	s_wait_dscnt 0x1
	ds_bpermute_b32 v45, v39, v23
	s_wait_dscnt 0x1
	ds_bpermute_b32 v24, v39, v14
	s_mov_b32 s5, exec_lo
	v_cmpx_le_u32_e64 v40, v16
	;; [unrolled: 20-line block ×3, first 2 shown]
	s_cbranch_execz .LBB1114_69
; %bb.68:                               ;   in Loop: Header=BB1114_56 Depth=1
	s_wait_dscnt 0x1
	v_add_co_u32 v23, vcc_lo, v13, v45
	s_wait_alu 0xfffd
	v_add_co_ci_u32_e64 v14, null, 0, v14, vcc_lo
	s_delay_alu instid0(VALU_DEP_2) | instskip(SKIP_2) | instid1(VALU_DEP_2)
	v_add_co_u32 v13, vcc_lo, 0, v23
	s_wait_dscnt 0x0
	s_wait_alu 0xfffd
	v_add_co_ci_u32_e64 v14, null, v24, v14, vcc_lo
.LBB1114_69:                            ;   in Loop: Header=BB1114_56 Depth=1
	s_wait_alu 0xfffe
	s_or_b32 exec_lo, exec_lo, s5
	s_wait_dscnt 0x0
	ds_bpermute_b32 v24, v43, v23
	ds_bpermute_b32 v23, v43, v14
	s_mov_b32 s5, exec_lo
	v_cmpx_le_u32_e64 v44, v16
	s_cbranch_execz .LBB1114_54
; %bb.70:                               ;   in Loop: Header=BB1114_56 Depth=1
	s_wait_dscnt 0x1
	v_add_co_u32 v13, vcc_lo, v13, v24
	s_wait_alu 0xfffd
	v_add_co_ci_u32_e64 v14, null, 0, v14, vcc_lo
	s_delay_alu instid0(VALU_DEP_2) | instskip(SKIP_2) | instid1(VALU_DEP_2)
	v_add_co_u32 v13, vcc_lo, v13, 0
	s_wait_dscnt 0x0
	s_wait_alu 0xfffd
	v_add_co_ci_u32_e64 v14, null, v14, v23, vcc_lo
	s_branch .LBB1114_54
.LBB1114_71:
                                        ; implicit-def: $vgpr15_vgpr16
                                        ; implicit-def: $vgpr13_vgpr14
                                        ; implicit-def: $vgpr19_vgpr20
                                        ; implicit-def: $vgpr21_vgpr22
                                        ; implicit-def: $vgpr11_vgpr12
	s_wait_alu 0xfffe
	s_and_b32 vcc_lo, exec_lo, s3
	s_wait_alu 0xfffe
	s_cbranch_vccnz .LBB1114_77
	s_branch .LBB1114_102
.LBB1114_72:
	s_and_saveexec_b32 s5, s3
	s_cbranch_execz .LBB1114_74
; %bb.73:
	s_add_co_i32 s16, ttmp9, 32
	s_mov_b32 s17, 0
	v_add_co_u32 v13, vcc_lo, v11, v9
	s_wait_alu 0xfffe
	s_lshl_b64 s[16:17], s[16:17], 4
	v_dual_mov_b32 v15, 2 :: v_dual_mov_b32 v16, 0
	s_wait_alu 0xfffe
	s_add_nc_u64 s[16:17], s[6:7], s[16:17]
	s_wait_alu 0xfffd
	v_add_co_ci_u32_e64 v14, null, v12, v10, vcc_lo
	s_wait_alu 0xfffe
	v_dual_mov_b32 v22, s17 :: v_dual_mov_b32 v21, s16
	;;#ASMSTART
	global_store_b128 v[21:22], v[13:16] off scope:SCOPE_DEV	
s_wait_storecnt 0x0
	;;#ASMEND
	ds_store_b128 v16, v[9:12] offset:8448
.LBB1114_74:
	s_wait_alu 0xfffe
	s_or_b32 exec_lo, exec_lo, s5
	v_cmp_eq_u32_e32 vcc_lo, 0, v0
	s_and_b32 exec_lo, exec_lo, vcc_lo
; %bb.75:
	v_mov_b32_e32 v9, 0
	ds_store_b64 v9, v[11:12] offset:56
.LBB1114_76:
	s_wait_alu 0xfffe
	s_or_b32 exec_lo, exec_lo, s4
	s_wait_dscnt 0x1
	v_cndmask_b32_e64 v10, v33, v19, s3
	v_cmp_ne_u32_e32 vcc_lo, 0, v0
	v_mov_b32_e32 v9, 0
	s_wait_loadcnt_dscnt 0x0
	s_barrier_signal -1
	s_barrier_wait -1
	global_inv scope:SCOPE_SE
	s_wait_alu 0xfffd
	v_cndmask_b32_e32 v16, 0, v10, vcc_lo
	ds_load_b64 v[13:14], v9 offset:56
	v_cndmask_b32_e64 v11, v34, v20, s3
	s_wait_loadcnt_dscnt 0x0
	s_barrier_signal -1
	s_barrier_wait -1
	global_inv scope:SCOPE_SE
	v_cndmask_b32_e32 v15, 0, v11, vcc_lo
	ds_load_b128 v[9:12], v9 offset:8448
	v_add_co_u32 v21, vcc_lo, v13, v16
	s_wait_alu 0xfffd
	v_add_co_ci_u32_e64 v22, null, v14, v15, vcc_lo
	s_delay_alu instid0(VALU_DEP_2) | instskip(SKIP_1) | instid1(VALU_DEP_2)
	v_add_co_u32 v19, vcc_lo, v21, v30
	s_wait_alu 0xfffd
	v_add_co_ci_u32_e64 v20, null, 0, v22, vcc_lo
	s_delay_alu instid0(VALU_DEP_2) | instskip(SKIP_1) | instid1(VALU_DEP_2)
	;; [unrolled: 4-line block ×3, first 2 shown]
	v_add_co_u32 v15, vcc_lo, v13, v28
	s_wait_alu 0xfffd
	v_add_co_ci_u32_e64 v16, null, 0, v14, vcc_lo
	s_branch .LBB1114_102
.LBB1114_77:
	s_wait_dscnt 0x0
	v_dual_mov_b32 v10, 0 :: v_dual_mov_b32 v11, v17
	v_mov_b32_dpp v12, v17 row_shr:1 row_mask:0xf bank_mask:0xf
	s_delay_alu instid0(VALU_DEP_2)
	v_mov_b32_dpp v9, v10 row_shr:1 row_mask:0xf bank_mask:0xf
	s_and_saveexec_b32 s3, s2
; %bb.78:
	s_delay_alu instid0(VALU_DEP_2) | instskip(SKIP_2) | instid1(VALU_DEP_2)
	v_add_co_u32 v11, vcc_lo, v17, v12
	s_wait_alu 0xfffd
	v_add_co_ci_u32_e64 v10, null, 0, v18, vcc_lo
	v_add_co_u32 v17, vcc_lo, 0, v11
	s_wait_alu 0xfffd
	s_delay_alu instid0(VALU_DEP_2) | instskip(NEXT) | instid1(VALU_DEP_1)
	v_add_co_ci_u32_e64 v18, null, v9, v10, vcc_lo
	v_mov_b32_e32 v10, v18
; %bb.79:
	s_wait_alu 0xfffe
	s_or_b32 exec_lo, exec_lo, s3
	v_mov_b32_dpp v9, v11 row_shr:2 row_mask:0xf bank_mask:0xf
	s_delay_alu instid0(VALU_DEP_2)
	v_mov_b32_dpp v12, v10 row_shr:2 row_mask:0xf bank_mask:0xf
	s_mov_b32 s2, exec_lo
	v_cmpx_lt_u32_e32 1, v32
; %bb.80:
	s_delay_alu instid0(VALU_DEP_3) | instskip(SKIP_2) | instid1(VALU_DEP_2)
	v_add_co_u32 v11, vcc_lo, v17, v9
	s_wait_alu 0xfffd
	v_add_co_ci_u32_e64 v10, null, 0, v18, vcc_lo
	v_add_co_u32 v9, vcc_lo, 0, v11
	s_wait_alu 0xfffd
	s_delay_alu instid0(VALU_DEP_2) | instskip(NEXT) | instid1(VALU_DEP_1)
	v_add_co_ci_u32_e64 v10, null, v12, v10, vcc_lo
	v_dual_mov_b32 v18, v10 :: v_dual_mov_b32 v17, v9
; %bb.81:
	s_wait_alu 0xfffe
	s_or_b32 exec_lo, exec_lo, s2
	v_mov_b32_dpp v9, v11 row_shr:4 row_mask:0xf bank_mask:0xf
	v_mov_b32_dpp v12, v10 row_shr:4 row_mask:0xf bank_mask:0xf
	s_mov_b32 s2, exec_lo
	v_cmpx_lt_u32_e32 3, v32
; %bb.82:
	s_delay_alu instid0(VALU_DEP_3) | instskip(SKIP_2) | instid1(VALU_DEP_2)
	v_add_co_u32 v11, vcc_lo, v17, v9
	s_wait_alu 0xfffd
	v_add_co_ci_u32_e64 v10, null, 0, v18, vcc_lo
	v_add_co_u32 v9, vcc_lo, 0, v11
	s_wait_alu 0xfffd
	s_delay_alu instid0(VALU_DEP_2) | instskip(NEXT) | instid1(VALU_DEP_1)
	v_add_co_ci_u32_e64 v10, null, v12, v10, vcc_lo
	v_dual_mov_b32 v18, v10 :: v_dual_mov_b32 v17, v9
; %bb.83:
	s_wait_alu 0xfffe
	s_or_b32 exec_lo, exec_lo, s2
	v_mov_b32_dpp v12, v11 row_shr:8 row_mask:0xf bank_mask:0xf
	v_mov_b32_dpp v9, v10 row_shr:8 row_mask:0xf bank_mask:0xf
	s_mov_b32 s2, exec_lo
	v_cmpx_lt_u32_e32 7, v32
; %bb.84:
	s_delay_alu instid0(VALU_DEP_3) | instskip(SKIP_2) | instid1(VALU_DEP_2)
	v_add_co_u32 v11, vcc_lo, v17, v12
	s_wait_alu 0xfffd
	v_add_co_ci_u32_e64 v10, null, 0, v18, vcc_lo
	v_add_co_u32 v17, vcc_lo, 0, v11
	s_wait_alu 0xfffd
	s_delay_alu instid0(VALU_DEP_2) | instskip(NEXT) | instid1(VALU_DEP_1)
	v_add_co_ci_u32_e64 v18, null, v9, v10, vcc_lo
	v_mov_b32_e32 v10, v18
; %bb.85:
	s_wait_alu 0xfffe
	s_or_b32 exec_lo, exec_lo, s2
	ds_swizzle_b32 v11, v11 offset:swizzle(BROADCAST,32,15)
	ds_swizzle_b32 v9, v10 offset:swizzle(BROADCAST,32,15)
	v_and_b32_e32 v10, 16, v31
	s_mov_b32 s2, exec_lo
	s_delay_alu instid0(VALU_DEP_1)
	v_cmpx_ne_u32_e32 0, v10
	s_cbranch_execz .LBB1114_87
; %bb.86:
	s_wait_dscnt 0x1
	v_add_co_u32 v10, vcc_lo, v17, v11
	s_wait_alu 0xfffd
	v_add_co_ci_u32_e64 v11, null, 0, v18, vcc_lo
	s_delay_alu instid0(VALU_DEP_2) | instskip(SKIP_2) | instid1(VALU_DEP_2)
	v_add_co_u32 v17, vcc_lo, v10, 0
	s_wait_dscnt 0x0
	s_wait_alu 0xfffd
	v_add_co_ci_u32_e64 v18, null, v11, v9, vcc_lo
.LBB1114_87:
	s_wait_alu 0xfffe
	s_or_b32 exec_lo, exec_lo, s2
	s_wait_dscnt 0x0
	v_or_b32_e32 v9, 31, v0
	v_lshrrev_b32_e32 v11, 5, v0
	s_mov_b32 s2, exec_lo
	s_delay_alu instid0(VALU_DEP_2)
	v_cmpx_eq_u32_e64 v0, v9
; %bb.88:
	s_delay_alu instid0(VALU_DEP_2)
	v_lshlrev_b32_e32 v9, 3, v11
	ds_store_b64 v9, v[17:18]
; %bb.89:
	s_wait_alu 0xfffe
	s_or_b32 exec_lo, exec_lo, s2
	s_delay_alu instid0(SALU_CYCLE_1)
	s_mov_b32 s2, exec_lo
	s_wait_loadcnt_dscnt 0x0
	s_barrier_signal -1
	s_barrier_wait -1
	global_inv scope:SCOPE_SE
	v_cmpx_gt_u32_e32 8, v0
	s_cbranch_execz .LBB1114_97
; %bb.90:
	v_lshlrev_b32_e32 v12, 3, v0
	s_mov_b32 s3, exec_lo
	ds_load_b64 v[9:10], v12
	s_wait_dscnt 0x0
	v_dual_mov_b32 v14, v9 :: v_dual_and_b32 v13, 7, v31
	v_mov_b32_dpp v16, v9 row_shr:1 row_mask:0xf bank_mask:0xf
	v_mov_b32_dpp v15, v10 row_shr:1 row_mask:0xf bank_mask:0xf
	s_delay_alu instid0(VALU_DEP_3)
	v_cmpx_ne_u32_e32 0, v13
; %bb.91:
	s_delay_alu instid0(VALU_DEP_3) | instskip(SKIP_2) | instid1(VALU_DEP_2)
	v_add_co_u32 v14, vcc_lo, v9, v16
	s_wait_alu 0xfffd
	v_add_co_ci_u32_e64 v10, null, 0, v10, vcc_lo
	v_add_co_u32 v9, vcc_lo, 0, v14
	s_wait_alu 0xfffd
	s_delay_alu instid0(VALU_DEP_2)
	v_add_co_ci_u32_e64 v10, null, v15, v10, vcc_lo
; %bb.92:
	s_wait_alu 0xfffe
	s_or_b32 exec_lo, exec_lo, s3
	v_mov_b32_dpp v16, v14 row_shr:2 row_mask:0xf bank_mask:0xf
	s_delay_alu instid0(VALU_DEP_2)
	v_mov_b32_dpp v15, v10 row_shr:2 row_mask:0xf bank_mask:0xf
	s_mov_b32 s3, exec_lo
	v_cmpx_lt_u32_e32 1, v13
; %bb.93:
	s_delay_alu instid0(VALU_DEP_3) | instskip(SKIP_2) | instid1(VALU_DEP_2)
	v_add_co_u32 v14, vcc_lo, v9, v16
	s_wait_alu 0xfffd
	v_add_co_ci_u32_e64 v10, null, 0, v10, vcc_lo
	v_add_co_u32 v9, vcc_lo, 0, v14
	s_wait_alu 0xfffd
	s_delay_alu instid0(VALU_DEP_2)
	v_add_co_ci_u32_e64 v10, null, v15, v10, vcc_lo
; %bb.94:
	s_wait_alu 0xfffe
	s_or_b32 exec_lo, exec_lo, s3
	v_mov_b32_dpp v15, v14 row_shr:4 row_mask:0xf bank_mask:0xf
	s_delay_alu instid0(VALU_DEP_2)
	v_mov_b32_dpp v14, v10 row_shr:4 row_mask:0xf bank_mask:0xf
	s_mov_b32 s3, exec_lo
	v_cmpx_lt_u32_e32 3, v13
; %bb.95:
	s_delay_alu instid0(VALU_DEP_3) | instskip(SKIP_2) | instid1(VALU_DEP_2)
	v_add_co_u32 v9, vcc_lo, v9, v15
	s_wait_alu 0xfffd
	v_add_co_ci_u32_e64 v10, null, 0, v10, vcc_lo
	v_add_co_u32 v9, vcc_lo, v9, 0
	s_wait_alu 0xfffd
	s_delay_alu instid0(VALU_DEP_2)
	v_add_co_ci_u32_e64 v10, null, v10, v14, vcc_lo
; %bb.96:
	s_wait_alu 0xfffe
	s_or_b32 exec_lo, exec_lo, s3
	ds_store_b64 v12, v[9:10]
.LBB1114_97:
	s_wait_alu 0xfffe
	s_or_b32 exec_lo, exec_lo, s2
	v_mov_b32_e32 v13, 0
	v_mov_b32_e32 v14, 0
	s_mov_b32 s2, exec_lo
	s_wait_loadcnt_dscnt 0x0
	s_barrier_signal -1
	s_barrier_wait -1
	global_inv scope:SCOPE_SE
	v_cmpx_lt_u32_e32 31, v0
; %bb.98:
	v_lshl_add_u32 v9, v11, 3, -8
	ds_load_b64 v[13:14], v9
; %bb.99:
	s_wait_alu 0xfffe
	s_or_b32 exec_lo, exec_lo, s2
	v_sub_co_u32 v9, vcc_lo, v31, 1
	v_mov_b32_e32 v12, 0
	s_delay_alu instid0(VALU_DEP_2) | instskip(SKIP_1) | instid1(VALU_DEP_1)
	v_cmp_gt_i32_e64 s2, 0, v9
	s_wait_alu 0xf1ff
	v_cndmask_b32_e64 v9, v9, v31, s2
	s_wait_dscnt 0x0
	v_add_co_u32 v10, s2, v13, v17
	s_wait_alu 0xf1ff
	v_add_co_ci_u32_e64 v11, null, v14, v18, s2
	v_lshlrev_b32_e32 v9, 2, v9
	v_cmp_eq_u32_e64 s2, 0, v0
	ds_bpermute_b32 v15, v9, v10
	ds_bpermute_b32 v16, v9, v11
	ds_load_b64 v[9:10], v12 offset:56
	s_and_saveexec_b32 s3, s2
	s_cbranch_execz .LBB1114_101
; %bb.100:
	s_wait_kmcnt 0x0
	s_add_nc_u64 s[4:5], s[6:7], 0x200
	s_wait_alu 0xfffe
	v_dual_mov_b32 v11, 2 :: v_dual_mov_b32 v18, s5
	v_mov_b32_e32 v17, s4
	s_wait_dscnt 0x0
	;;#ASMSTART
	global_store_b128 v[17:18], v[9:12] off scope:SCOPE_DEV	
s_wait_storecnt 0x0
	;;#ASMEND
.LBB1114_101:
	s_wait_alu 0xfffe
	s_or_b32 exec_lo, exec_lo, s3
	s_wait_dscnt 0x1
	s_wait_alu 0xfffd
	v_dual_cndmask_b32 v11, v15, v13 :: v_dual_cndmask_b32 v12, v16, v14
	s_wait_loadcnt_dscnt 0x0
	s_barrier_signal -1
	s_barrier_wait -1
	s_delay_alu instid0(VALU_DEP_1)
	v_cndmask_b32_e64 v21, v11, 0, s2
	v_cndmask_b32_e64 v22, v12, 0, s2
	v_mov_b32_e32 v11, 0
	v_mov_b32_e32 v12, 0
	global_inv scope:SCOPE_SE
	v_add_co_u32 v19, vcc_lo, v21, v30
	s_wait_alu 0xfffd
	v_add_co_ci_u32_e64 v20, null, 0, v22, vcc_lo
	s_delay_alu instid0(VALU_DEP_2) | instskip(SKIP_1) | instid1(VALU_DEP_2)
	v_add_co_u32 v13, vcc_lo, v19, v29
	s_wait_alu 0xfffd
	v_add_co_ci_u32_e64 v14, null, 0, v20, vcc_lo
	s_delay_alu instid0(VALU_DEP_2) | instskip(SKIP_1) | instid1(VALU_DEP_2)
	v_add_co_u32 v15, vcc_lo, v13, v28
	s_wait_alu 0xfffd
	v_add_co_ci_u32_e64 v16, null, 0, v14, vcc_lo
.LBB1114_102:
	s_load_b64 s[2:3], s[0:1], 0x28
	v_and_b32_e32 v23, 1, v27
	s_wait_dscnt 0x0
	v_cmp_gt_u64_e32 vcc_lo, 0x101, v[9:10]
	s_mov_b32 s1, -1
	s_delay_alu instid0(VALU_DEP_2)
	v_cmp_eq_u32_e64 s0, 1, v23
	s_cbranch_vccnz .LBB1114_106
; %bb.103:
	s_wait_alu 0xfffe
	s_and_b32 vcc_lo, exec_lo, s1
	s_wait_alu 0xfffe
	s_cbranch_vccnz .LBB1114_115
.LBB1114_104:
	v_cmp_eq_u32_e32 vcc_lo, 0, v0
	s_and_b32 s0, vcc_lo, s12
	s_wait_alu 0xfffe
	s_and_saveexec_b32 s1, s0
	s_cbranch_execnz .LBB1114_127
.LBB1114_105:
	s_endpgm
.LBB1114_106:
	v_add_co_u32 v17, vcc_lo, v11, v9
	s_wait_alu 0xfffd
	v_add_co_ci_u32_e64 v18, null, v12, v10, vcc_lo
	s_wait_kmcnt 0x0
	s_lshl_b64 s[4:5], s[10:11], 3
	s_wait_alu 0xfffe
	s_add_nc_u64 s[4:5], s[2:3], s[4:5]
	v_cmp_lt_u64_e32 vcc_lo, v[21:22], v[17:18]
	s_or_b32 s1, s13, vcc_lo
	s_wait_alu 0xfffe
	s_and_b32 s1, s1, s0
	s_wait_alu 0xfffe
	s_and_saveexec_b32 s0, s1
	s_cbranch_execz .LBB1114_108
; %bb.107:
	v_lshlrev_b64_e32 v[27:28], 3, v[21:22]
	s_delay_alu instid0(VALU_DEP_1) | instskip(SKIP_1) | instid1(VALU_DEP_2)
	v_add_co_u32 v27, vcc_lo, s4, v27
	s_wait_alu 0xfffd
	v_add_co_ci_u32_e64 v28, null, s5, v28, vcc_lo
	global_store_b64 v[27:28], v[1:2], off
.LBB1114_108:
	s_wait_alu 0xfffe
	s_or_b32 exec_lo, exec_lo, s0
	v_and_b32_e32 v22, 1, v26
	v_cmp_lt_u64_e32 vcc_lo, v[19:20], v[17:18]
	s_delay_alu instid0(VALU_DEP_2)
	v_cmp_eq_u32_e64 s0, 1, v22
	s_or_b32 s1, s13, vcc_lo
	s_wait_alu 0xfffe
	s_and_b32 s1, s1, s0
	s_wait_alu 0xfffe
	s_and_saveexec_b32 s0, s1
	s_cbranch_execz .LBB1114_110
; %bb.109:
	v_lshlrev_b64_e32 v[27:28], 3, v[19:20]
	s_delay_alu instid0(VALU_DEP_1) | instskip(SKIP_1) | instid1(VALU_DEP_2)
	v_add_co_u32 v27, vcc_lo, s4, v27
	s_wait_alu 0xfffd
	v_add_co_ci_u32_e64 v28, null, s5, v28, vcc_lo
	global_store_b64 v[27:28], v[5:6], off
.LBB1114_110:
	s_wait_alu 0xfffe
	s_or_b32 exec_lo, exec_lo, s0
	v_and_b32_e32 v20, 1, v25
	v_cmp_lt_u64_e32 vcc_lo, v[13:14], v[17:18]
	s_delay_alu instid0(VALU_DEP_2)
	v_cmp_eq_u32_e64 s0, 1, v20
	s_or_b32 s1, s13, vcc_lo
	s_wait_alu 0xfffe
	s_and_b32 s1, s1, s0
	s_wait_alu 0xfffe
	s_and_saveexec_b32 s0, s1
	s_cbranch_execz .LBB1114_112
; %bb.111:
	v_lshlrev_b64_e32 v[27:28], 3, v[13:14]
	s_delay_alu instid0(VALU_DEP_1) | instskip(SKIP_1) | instid1(VALU_DEP_2)
	v_add_co_u32 v27, vcc_lo, s4, v27
	s_wait_alu 0xfffd
	v_add_co_ci_u32_e64 v28, null, s5, v28, vcc_lo
	global_store_b64 v[27:28], v[7:8], off
.LBB1114_112:
	s_wait_alu 0xfffe
	s_or_b32 exec_lo, exec_lo, s0
	v_cmp_lt_u64_e32 vcc_lo, v[15:16], v[17:18]
	s_or_b32 s0, s13, vcc_lo
	s_wait_alu 0xfffe
	s_and_b32 s1, s0, s14
	s_wait_alu 0xfffe
	s_and_saveexec_b32 s0, s1
	s_cbranch_execz .LBB1114_114
; %bb.113:
	v_lshlrev_b64_e32 v[16:17], 3, v[15:16]
	s_delay_alu instid0(VALU_DEP_1) | instskip(SKIP_1) | instid1(VALU_DEP_2)
	v_add_co_u32 v16, vcc_lo, s4, v16
	s_wait_alu 0xfffd
	v_add_co_ci_u32_e64 v17, null, s5, v17, vcc_lo
	global_store_b64 v[16:17], v[3:4], off
.LBB1114_114:
	s_wait_alu 0xfffe
	s_or_b32 exec_lo, exec_lo, s0
	s_branch .LBB1114_104
.LBB1114_115:
	s_mov_b32 s0, exec_lo
	v_cmpx_eq_u32_e32 1, v23
; %bb.116:
	v_sub_nc_u32_e32 v14, v21, v11
	s_delay_alu instid0(VALU_DEP_1)
	v_lshlrev_b32_e32 v14, 3, v14
	ds_store_b64 v14, v[1:2]
; %bb.117:
	s_wait_alu 0xfffe
	s_or_b32 exec_lo, exec_lo, s0
	v_and_b32_e32 v1, 1, v26
	s_mov_b32 s0, exec_lo
	s_delay_alu instid0(VALU_DEP_1)
	v_cmpx_eq_u32_e32 1, v1
; %bb.118:
	v_sub_nc_u32_e32 v1, v19, v11
	s_delay_alu instid0(VALU_DEP_1)
	v_lshlrev_b32_e32 v1, 3, v1
	ds_store_b64 v1, v[5:6]
; %bb.119:
	s_wait_alu 0xfffe
	s_or_b32 exec_lo, exec_lo, s0
	v_and_b32_e32 v1, 1, v25
	s_mov_b32 s0, exec_lo
	s_delay_alu instid0(VALU_DEP_1)
	v_cmpx_eq_u32_e32 1, v1
; %bb.120:
	v_sub_nc_u32_e32 v1, v13, v11
	s_delay_alu instid0(VALU_DEP_1)
	v_lshlrev_b32_e32 v1, 3, v1
	ds_store_b64 v1, v[7:8]
; %bb.121:
	s_wait_alu 0xfffe
	s_or_b32 exec_lo, exec_lo, s0
	s_and_saveexec_b32 s0, s14
; %bb.122:
	v_sub_nc_u32_e32 v1, v15, v11
	s_delay_alu instid0(VALU_DEP_1)
	v_lshlrev_b32_e32 v1, 3, v1
	ds_store_b64 v1, v[3:4]
; %bb.123:
	s_wait_alu 0xfffe
	s_or_b32 exec_lo, exec_lo, s0
	v_mov_b32_e32 v3, 0
	s_mov_b32 s1, exec_lo
	s_wait_storecnt 0x0
	s_wait_loadcnt_dscnt 0x0
	s_barrier_signal -1
	s_barrier_wait -1
	v_mov_b32_e32 v1, v3
	global_inv scope:SCOPE_SE
	v_cmpx_gt_u64_e64 v[9:10], v[0:1]
	s_cbranch_execz .LBB1114_126
; %bb.124:
	v_lshlrev_b64_e32 v[4:5], 3, v[11:12]
	s_wait_kmcnt 0x0
	s_lshl_b64 s[4:5], s[10:11], 3
	v_or_b32_e32 v2, 0x100, v0
	s_wait_alu 0xfffe
	s_add_nc_u64 s[2:3], s[2:3], s[4:5]
	s_wait_alu 0xfffe
	v_add_co_u32 v6, vcc_lo, s2, v4
	s_wait_alu 0xfffd
	v_add_co_ci_u32_e64 v7, null, s3, v5, vcc_lo
	v_dual_mov_b32 v5, v1 :: v_dual_mov_b32 v4, v0
	s_mov_b32 s2, 0
.LBB1114_125:                           ; =>This Inner Loop Header: Depth=1
	s_delay_alu instid0(VALU_DEP_1) | instskip(NEXT) | instid1(VALU_DEP_2)
	v_lshlrev_b32_e32 v1, 3, v4
	v_lshlrev_b64_e32 v[15:16], 3, v[4:5]
	v_dual_mov_b32 v5, v3 :: v_dual_mov_b32 v4, v2
	v_cmp_le_u64_e32 vcc_lo, v[9:10], v[2:3]
	ds_load_b64 v[13:14], v1
	v_add_nc_u32_e32 v2, 0x100, v2
	v_add_co_u32 v15, s0, v6, v15
	s_wait_alu 0xf1ff
	v_add_co_ci_u32_e64 v16, null, v7, v16, s0
	s_wait_alu 0xfffe
	s_or_b32 s2, vcc_lo, s2
	s_wait_dscnt 0x0
	global_store_b64 v[15:16], v[13:14], off
	s_wait_alu 0xfffe
	s_and_not1_b32 exec_lo, exec_lo, s2
	s_cbranch_execnz .LBB1114_125
.LBB1114_126:
	s_wait_alu 0xfffe
	s_or_b32 exec_lo, exec_lo, s1
	v_cmp_eq_u32_e32 vcc_lo, 0, v0
	s_and_b32 s0, vcc_lo, s12
	s_wait_alu 0xfffe
	s_and_saveexec_b32 s1, s0
	s_cbranch_execz .LBB1114_105
.LBB1114_127:
	v_add_co_u32 v0, vcc_lo, v11, v9
	s_wait_alu 0xfffd
	v_add_co_ci_u32_e64 v1, null, v12, v10, vcc_lo
	v_mov_b32_e32 v2, 0
	s_wait_kmcnt 0x0
	v_add_co_u32 v0, vcc_lo, v0, s10
	s_wait_alu 0xfffd
	v_add_co_ci_u32_e64 v1, null, s11, v1, vcc_lo
	global_store_b64 v2, v[0:1], s[8:9]
	s_endpgm
.LBB1114_128:
	v_lshlrev_b32_e32 v3, 3, v0
	s_delay_alu instid0(VALU_DEP_1)
	v_add_co_u32 v3, s5, s2, v3
	s_wait_alu 0xf1ff
	v_add_co_ci_u32_e64 v4, null, s3, 0, s5
	flat_load_b64 v[3:4], v[3:4] offset:2048
	s_wait_alu 0xfffe
	s_or_b32 exec_lo, exec_lo, s4
	s_delay_alu instid0(SALU_CYCLE_1)
	s_mov_b32 s4, exec_lo
	v_cmpx_gt_u32_e64 s7, v11
	s_cbranch_execz .LBB1114_7
.LBB1114_129:
	v_lshlrev_b32_e32 v5, 3, v0
	s_delay_alu instid0(VALU_DEP_1)
	v_add_co_u32 v5, s5, s2, v5
	s_wait_alu 0xf1ff
	v_add_co_ci_u32_e64 v6, null, s3, 0, s5
	flat_load_b64 v[5:6], v[5:6] offset:4096
	s_wait_alu 0xfffe
	s_or_b32 exec_lo, exec_lo, s4
	s_delay_alu instid0(SALU_CYCLE_1)
	s_mov_b32 s4, exec_lo
	v_cmpx_gt_u32_e64 s7, v10
	s_cbranch_execnz .LBB1114_8
	s_branch .LBB1114_9
	.section	.rodata,"a",@progbits
	.p2align	6, 0x0
	.amdhsa_kernel _ZN7rocprim17ROCPRIM_400000_NS6detail17trampoline_kernelINS0_14default_configENS1_25partition_config_selectorILNS1_17partition_subalgoE6EyNS0_10empty_typeEbEEZZNS1_14partition_implILS5_6ELb0ES3_mN6thrust23THRUST_200600_302600_NS6detail15normal_iteratorINSA_10device_ptrIyEEEEPS6_SG_NS0_5tupleIJSF_S6_EEENSH_IJSG_SG_EEES6_PlJNSB_9not_fun_tI7is_trueIyEEEEEE10hipError_tPvRmT3_T4_T5_T6_T7_T9_mT8_P12ihipStream_tbDpT10_ENKUlT_T0_E_clISt17integral_constantIbLb0EES18_EEDaS13_S14_EUlS13_E_NS1_11comp_targetILNS1_3genE10ELNS1_11target_archE1200ELNS1_3gpuE4ELNS1_3repE0EEENS1_30default_config_static_selectorELNS0_4arch9wavefront6targetE0EEEvT1_
		.amdhsa_group_segment_fixed_size 8464
		.amdhsa_private_segment_fixed_size 0
		.amdhsa_kernarg_size 112
		.amdhsa_user_sgpr_count 2
		.amdhsa_user_sgpr_dispatch_ptr 0
		.amdhsa_user_sgpr_queue_ptr 0
		.amdhsa_user_sgpr_kernarg_segment_ptr 1
		.amdhsa_user_sgpr_dispatch_id 0
		.amdhsa_user_sgpr_private_segment_size 0
		.amdhsa_wavefront_size32 1
		.amdhsa_uses_dynamic_stack 0
		.amdhsa_enable_private_segment 0
		.amdhsa_system_sgpr_workgroup_id_x 1
		.amdhsa_system_sgpr_workgroup_id_y 0
		.amdhsa_system_sgpr_workgroup_id_z 0
		.amdhsa_system_sgpr_workgroup_info 0
		.amdhsa_system_vgpr_workitem_id 0
		.amdhsa_next_free_vgpr 46
		.amdhsa_next_free_sgpr 22
		.amdhsa_reserve_vcc 1
		.amdhsa_float_round_mode_32 0
		.amdhsa_float_round_mode_16_64 0
		.amdhsa_float_denorm_mode_32 3
		.amdhsa_float_denorm_mode_16_64 3
		.amdhsa_fp16_overflow 0
		.amdhsa_workgroup_processor_mode 1
		.amdhsa_memory_ordered 1
		.amdhsa_forward_progress 1
		.amdhsa_inst_pref_size 50
		.amdhsa_round_robin_scheduling 0
		.amdhsa_exception_fp_ieee_invalid_op 0
		.amdhsa_exception_fp_denorm_src 0
		.amdhsa_exception_fp_ieee_div_zero 0
		.amdhsa_exception_fp_ieee_overflow 0
		.amdhsa_exception_fp_ieee_underflow 0
		.amdhsa_exception_fp_ieee_inexact 0
		.amdhsa_exception_int_div_zero 0
	.end_amdhsa_kernel
	.section	.text._ZN7rocprim17ROCPRIM_400000_NS6detail17trampoline_kernelINS0_14default_configENS1_25partition_config_selectorILNS1_17partition_subalgoE6EyNS0_10empty_typeEbEEZZNS1_14partition_implILS5_6ELb0ES3_mN6thrust23THRUST_200600_302600_NS6detail15normal_iteratorINSA_10device_ptrIyEEEEPS6_SG_NS0_5tupleIJSF_S6_EEENSH_IJSG_SG_EEES6_PlJNSB_9not_fun_tI7is_trueIyEEEEEE10hipError_tPvRmT3_T4_T5_T6_T7_T9_mT8_P12ihipStream_tbDpT10_ENKUlT_T0_E_clISt17integral_constantIbLb0EES18_EEDaS13_S14_EUlS13_E_NS1_11comp_targetILNS1_3genE10ELNS1_11target_archE1200ELNS1_3gpuE4ELNS1_3repE0EEENS1_30default_config_static_selectorELNS0_4arch9wavefront6targetE0EEEvT1_,"axG",@progbits,_ZN7rocprim17ROCPRIM_400000_NS6detail17trampoline_kernelINS0_14default_configENS1_25partition_config_selectorILNS1_17partition_subalgoE6EyNS0_10empty_typeEbEEZZNS1_14partition_implILS5_6ELb0ES3_mN6thrust23THRUST_200600_302600_NS6detail15normal_iteratorINSA_10device_ptrIyEEEEPS6_SG_NS0_5tupleIJSF_S6_EEENSH_IJSG_SG_EEES6_PlJNSB_9not_fun_tI7is_trueIyEEEEEE10hipError_tPvRmT3_T4_T5_T6_T7_T9_mT8_P12ihipStream_tbDpT10_ENKUlT_T0_E_clISt17integral_constantIbLb0EES18_EEDaS13_S14_EUlS13_E_NS1_11comp_targetILNS1_3genE10ELNS1_11target_archE1200ELNS1_3gpuE4ELNS1_3repE0EEENS1_30default_config_static_selectorELNS0_4arch9wavefront6targetE0EEEvT1_,comdat
.Lfunc_end1114:
	.size	_ZN7rocprim17ROCPRIM_400000_NS6detail17trampoline_kernelINS0_14default_configENS1_25partition_config_selectorILNS1_17partition_subalgoE6EyNS0_10empty_typeEbEEZZNS1_14partition_implILS5_6ELb0ES3_mN6thrust23THRUST_200600_302600_NS6detail15normal_iteratorINSA_10device_ptrIyEEEEPS6_SG_NS0_5tupleIJSF_S6_EEENSH_IJSG_SG_EEES6_PlJNSB_9not_fun_tI7is_trueIyEEEEEE10hipError_tPvRmT3_T4_T5_T6_T7_T9_mT8_P12ihipStream_tbDpT10_ENKUlT_T0_E_clISt17integral_constantIbLb0EES18_EEDaS13_S14_EUlS13_E_NS1_11comp_targetILNS1_3genE10ELNS1_11target_archE1200ELNS1_3gpuE4ELNS1_3repE0EEENS1_30default_config_static_selectorELNS0_4arch9wavefront6targetE0EEEvT1_, .Lfunc_end1114-_ZN7rocprim17ROCPRIM_400000_NS6detail17trampoline_kernelINS0_14default_configENS1_25partition_config_selectorILNS1_17partition_subalgoE6EyNS0_10empty_typeEbEEZZNS1_14partition_implILS5_6ELb0ES3_mN6thrust23THRUST_200600_302600_NS6detail15normal_iteratorINSA_10device_ptrIyEEEEPS6_SG_NS0_5tupleIJSF_S6_EEENSH_IJSG_SG_EEES6_PlJNSB_9not_fun_tI7is_trueIyEEEEEE10hipError_tPvRmT3_T4_T5_T6_T7_T9_mT8_P12ihipStream_tbDpT10_ENKUlT_T0_E_clISt17integral_constantIbLb0EES18_EEDaS13_S14_EUlS13_E_NS1_11comp_targetILNS1_3genE10ELNS1_11target_archE1200ELNS1_3gpuE4ELNS1_3repE0EEENS1_30default_config_static_selectorELNS0_4arch9wavefront6targetE0EEEvT1_
                                        ; -- End function
	.set _ZN7rocprim17ROCPRIM_400000_NS6detail17trampoline_kernelINS0_14default_configENS1_25partition_config_selectorILNS1_17partition_subalgoE6EyNS0_10empty_typeEbEEZZNS1_14partition_implILS5_6ELb0ES3_mN6thrust23THRUST_200600_302600_NS6detail15normal_iteratorINSA_10device_ptrIyEEEEPS6_SG_NS0_5tupleIJSF_S6_EEENSH_IJSG_SG_EEES6_PlJNSB_9not_fun_tI7is_trueIyEEEEEE10hipError_tPvRmT3_T4_T5_T6_T7_T9_mT8_P12ihipStream_tbDpT10_ENKUlT_T0_E_clISt17integral_constantIbLb0EES18_EEDaS13_S14_EUlS13_E_NS1_11comp_targetILNS1_3genE10ELNS1_11target_archE1200ELNS1_3gpuE4ELNS1_3repE0EEENS1_30default_config_static_selectorELNS0_4arch9wavefront6targetE0EEEvT1_.num_vgpr, 46
	.set _ZN7rocprim17ROCPRIM_400000_NS6detail17trampoline_kernelINS0_14default_configENS1_25partition_config_selectorILNS1_17partition_subalgoE6EyNS0_10empty_typeEbEEZZNS1_14partition_implILS5_6ELb0ES3_mN6thrust23THRUST_200600_302600_NS6detail15normal_iteratorINSA_10device_ptrIyEEEEPS6_SG_NS0_5tupleIJSF_S6_EEENSH_IJSG_SG_EEES6_PlJNSB_9not_fun_tI7is_trueIyEEEEEE10hipError_tPvRmT3_T4_T5_T6_T7_T9_mT8_P12ihipStream_tbDpT10_ENKUlT_T0_E_clISt17integral_constantIbLb0EES18_EEDaS13_S14_EUlS13_E_NS1_11comp_targetILNS1_3genE10ELNS1_11target_archE1200ELNS1_3gpuE4ELNS1_3repE0EEENS1_30default_config_static_selectorELNS0_4arch9wavefront6targetE0EEEvT1_.num_agpr, 0
	.set _ZN7rocprim17ROCPRIM_400000_NS6detail17trampoline_kernelINS0_14default_configENS1_25partition_config_selectorILNS1_17partition_subalgoE6EyNS0_10empty_typeEbEEZZNS1_14partition_implILS5_6ELb0ES3_mN6thrust23THRUST_200600_302600_NS6detail15normal_iteratorINSA_10device_ptrIyEEEEPS6_SG_NS0_5tupleIJSF_S6_EEENSH_IJSG_SG_EEES6_PlJNSB_9not_fun_tI7is_trueIyEEEEEE10hipError_tPvRmT3_T4_T5_T6_T7_T9_mT8_P12ihipStream_tbDpT10_ENKUlT_T0_E_clISt17integral_constantIbLb0EES18_EEDaS13_S14_EUlS13_E_NS1_11comp_targetILNS1_3genE10ELNS1_11target_archE1200ELNS1_3gpuE4ELNS1_3repE0EEENS1_30default_config_static_selectorELNS0_4arch9wavefront6targetE0EEEvT1_.numbered_sgpr, 22
	.set _ZN7rocprim17ROCPRIM_400000_NS6detail17trampoline_kernelINS0_14default_configENS1_25partition_config_selectorILNS1_17partition_subalgoE6EyNS0_10empty_typeEbEEZZNS1_14partition_implILS5_6ELb0ES3_mN6thrust23THRUST_200600_302600_NS6detail15normal_iteratorINSA_10device_ptrIyEEEEPS6_SG_NS0_5tupleIJSF_S6_EEENSH_IJSG_SG_EEES6_PlJNSB_9not_fun_tI7is_trueIyEEEEEE10hipError_tPvRmT3_T4_T5_T6_T7_T9_mT8_P12ihipStream_tbDpT10_ENKUlT_T0_E_clISt17integral_constantIbLb0EES18_EEDaS13_S14_EUlS13_E_NS1_11comp_targetILNS1_3genE10ELNS1_11target_archE1200ELNS1_3gpuE4ELNS1_3repE0EEENS1_30default_config_static_selectorELNS0_4arch9wavefront6targetE0EEEvT1_.num_named_barrier, 0
	.set _ZN7rocprim17ROCPRIM_400000_NS6detail17trampoline_kernelINS0_14default_configENS1_25partition_config_selectorILNS1_17partition_subalgoE6EyNS0_10empty_typeEbEEZZNS1_14partition_implILS5_6ELb0ES3_mN6thrust23THRUST_200600_302600_NS6detail15normal_iteratorINSA_10device_ptrIyEEEEPS6_SG_NS0_5tupleIJSF_S6_EEENSH_IJSG_SG_EEES6_PlJNSB_9not_fun_tI7is_trueIyEEEEEE10hipError_tPvRmT3_T4_T5_T6_T7_T9_mT8_P12ihipStream_tbDpT10_ENKUlT_T0_E_clISt17integral_constantIbLb0EES18_EEDaS13_S14_EUlS13_E_NS1_11comp_targetILNS1_3genE10ELNS1_11target_archE1200ELNS1_3gpuE4ELNS1_3repE0EEENS1_30default_config_static_selectorELNS0_4arch9wavefront6targetE0EEEvT1_.private_seg_size, 0
	.set _ZN7rocprim17ROCPRIM_400000_NS6detail17trampoline_kernelINS0_14default_configENS1_25partition_config_selectorILNS1_17partition_subalgoE6EyNS0_10empty_typeEbEEZZNS1_14partition_implILS5_6ELb0ES3_mN6thrust23THRUST_200600_302600_NS6detail15normal_iteratorINSA_10device_ptrIyEEEEPS6_SG_NS0_5tupleIJSF_S6_EEENSH_IJSG_SG_EEES6_PlJNSB_9not_fun_tI7is_trueIyEEEEEE10hipError_tPvRmT3_T4_T5_T6_T7_T9_mT8_P12ihipStream_tbDpT10_ENKUlT_T0_E_clISt17integral_constantIbLb0EES18_EEDaS13_S14_EUlS13_E_NS1_11comp_targetILNS1_3genE10ELNS1_11target_archE1200ELNS1_3gpuE4ELNS1_3repE0EEENS1_30default_config_static_selectorELNS0_4arch9wavefront6targetE0EEEvT1_.uses_vcc, 1
	.set _ZN7rocprim17ROCPRIM_400000_NS6detail17trampoline_kernelINS0_14default_configENS1_25partition_config_selectorILNS1_17partition_subalgoE6EyNS0_10empty_typeEbEEZZNS1_14partition_implILS5_6ELb0ES3_mN6thrust23THRUST_200600_302600_NS6detail15normal_iteratorINSA_10device_ptrIyEEEEPS6_SG_NS0_5tupleIJSF_S6_EEENSH_IJSG_SG_EEES6_PlJNSB_9not_fun_tI7is_trueIyEEEEEE10hipError_tPvRmT3_T4_T5_T6_T7_T9_mT8_P12ihipStream_tbDpT10_ENKUlT_T0_E_clISt17integral_constantIbLb0EES18_EEDaS13_S14_EUlS13_E_NS1_11comp_targetILNS1_3genE10ELNS1_11target_archE1200ELNS1_3gpuE4ELNS1_3repE0EEENS1_30default_config_static_selectorELNS0_4arch9wavefront6targetE0EEEvT1_.uses_flat_scratch, 1
	.set _ZN7rocprim17ROCPRIM_400000_NS6detail17trampoline_kernelINS0_14default_configENS1_25partition_config_selectorILNS1_17partition_subalgoE6EyNS0_10empty_typeEbEEZZNS1_14partition_implILS5_6ELb0ES3_mN6thrust23THRUST_200600_302600_NS6detail15normal_iteratorINSA_10device_ptrIyEEEEPS6_SG_NS0_5tupleIJSF_S6_EEENSH_IJSG_SG_EEES6_PlJNSB_9not_fun_tI7is_trueIyEEEEEE10hipError_tPvRmT3_T4_T5_T6_T7_T9_mT8_P12ihipStream_tbDpT10_ENKUlT_T0_E_clISt17integral_constantIbLb0EES18_EEDaS13_S14_EUlS13_E_NS1_11comp_targetILNS1_3genE10ELNS1_11target_archE1200ELNS1_3gpuE4ELNS1_3repE0EEENS1_30default_config_static_selectorELNS0_4arch9wavefront6targetE0EEEvT1_.has_dyn_sized_stack, 0
	.set _ZN7rocprim17ROCPRIM_400000_NS6detail17trampoline_kernelINS0_14default_configENS1_25partition_config_selectorILNS1_17partition_subalgoE6EyNS0_10empty_typeEbEEZZNS1_14partition_implILS5_6ELb0ES3_mN6thrust23THRUST_200600_302600_NS6detail15normal_iteratorINSA_10device_ptrIyEEEEPS6_SG_NS0_5tupleIJSF_S6_EEENSH_IJSG_SG_EEES6_PlJNSB_9not_fun_tI7is_trueIyEEEEEE10hipError_tPvRmT3_T4_T5_T6_T7_T9_mT8_P12ihipStream_tbDpT10_ENKUlT_T0_E_clISt17integral_constantIbLb0EES18_EEDaS13_S14_EUlS13_E_NS1_11comp_targetILNS1_3genE10ELNS1_11target_archE1200ELNS1_3gpuE4ELNS1_3repE0EEENS1_30default_config_static_selectorELNS0_4arch9wavefront6targetE0EEEvT1_.has_recursion, 0
	.set _ZN7rocprim17ROCPRIM_400000_NS6detail17trampoline_kernelINS0_14default_configENS1_25partition_config_selectorILNS1_17partition_subalgoE6EyNS0_10empty_typeEbEEZZNS1_14partition_implILS5_6ELb0ES3_mN6thrust23THRUST_200600_302600_NS6detail15normal_iteratorINSA_10device_ptrIyEEEEPS6_SG_NS0_5tupleIJSF_S6_EEENSH_IJSG_SG_EEES6_PlJNSB_9not_fun_tI7is_trueIyEEEEEE10hipError_tPvRmT3_T4_T5_T6_T7_T9_mT8_P12ihipStream_tbDpT10_ENKUlT_T0_E_clISt17integral_constantIbLb0EES18_EEDaS13_S14_EUlS13_E_NS1_11comp_targetILNS1_3genE10ELNS1_11target_archE1200ELNS1_3gpuE4ELNS1_3repE0EEENS1_30default_config_static_selectorELNS0_4arch9wavefront6targetE0EEEvT1_.has_indirect_call, 0
	.section	.AMDGPU.csdata,"",@progbits
; Kernel info:
; codeLenInByte = 6376
; TotalNumSgprs: 24
; NumVgprs: 46
; ScratchSize: 0
; MemoryBound: 0
; FloatMode: 240
; IeeeMode: 1
; LDSByteSize: 8464 bytes/workgroup (compile time only)
; SGPRBlocks: 0
; VGPRBlocks: 5
; NumSGPRsForWavesPerEU: 24
; NumVGPRsForWavesPerEU: 46
; Occupancy: 16
; WaveLimiterHint : 1
; COMPUTE_PGM_RSRC2:SCRATCH_EN: 0
; COMPUTE_PGM_RSRC2:USER_SGPR: 2
; COMPUTE_PGM_RSRC2:TRAP_HANDLER: 0
; COMPUTE_PGM_RSRC2:TGID_X_EN: 1
; COMPUTE_PGM_RSRC2:TGID_Y_EN: 0
; COMPUTE_PGM_RSRC2:TGID_Z_EN: 0
; COMPUTE_PGM_RSRC2:TIDIG_COMP_CNT: 0
	.section	.text._ZN7rocprim17ROCPRIM_400000_NS6detail17trampoline_kernelINS0_14default_configENS1_25partition_config_selectorILNS1_17partition_subalgoE6EyNS0_10empty_typeEbEEZZNS1_14partition_implILS5_6ELb0ES3_mN6thrust23THRUST_200600_302600_NS6detail15normal_iteratorINSA_10device_ptrIyEEEEPS6_SG_NS0_5tupleIJSF_S6_EEENSH_IJSG_SG_EEES6_PlJNSB_9not_fun_tI7is_trueIyEEEEEE10hipError_tPvRmT3_T4_T5_T6_T7_T9_mT8_P12ihipStream_tbDpT10_ENKUlT_T0_E_clISt17integral_constantIbLb0EES18_EEDaS13_S14_EUlS13_E_NS1_11comp_targetILNS1_3genE9ELNS1_11target_archE1100ELNS1_3gpuE3ELNS1_3repE0EEENS1_30default_config_static_selectorELNS0_4arch9wavefront6targetE0EEEvT1_,"axG",@progbits,_ZN7rocprim17ROCPRIM_400000_NS6detail17trampoline_kernelINS0_14default_configENS1_25partition_config_selectorILNS1_17partition_subalgoE6EyNS0_10empty_typeEbEEZZNS1_14partition_implILS5_6ELb0ES3_mN6thrust23THRUST_200600_302600_NS6detail15normal_iteratorINSA_10device_ptrIyEEEEPS6_SG_NS0_5tupleIJSF_S6_EEENSH_IJSG_SG_EEES6_PlJNSB_9not_fun_tI7is_trueIyEEEEEE10hipError_tPvRmT3_T4_T5_T6_T7_T9_mT8_P12ihipStream_tbDpT10_ENKUlT_T0_E_clISt17integral_constantIbLb0EES18_EEDaS13_S14_EUlS13_E_NS1_11comp_targetILNS1_3genE9ELNS1_11target_archE1100ELNS1_3gpuE3ELNS1_3repE0EEENS1_30default_config_static_selectorELNS0_4arch9wavefront6targetE0EEEvT1_,comdat
	.protected	_ZN7rocprim17ROCPRIM_400000_NS6detail17trampoline_kernelINS0_14default_configENS1_25partition_config_selectorILNS1_17partition_subalgoE6EyNS0_10empty_typeEbEEZZNS1_14partition_implILS5_6ELb0ES3_mN6thrust23THRUST_200600_302600_NS6detail15normal_iteratorINSA_10device_ptrIyEEEEPS6_SG_NS0_5tupleIJSF_S6_EEENSH_IJSG_SG_EEES6_PlJNSB_9not_fun_tI7is_trueIyEEEEEE10hipError_tPvRmT3_T4_T5_T6_T7_T9_mT8_P12ihipStream_tbDpT10_ENKUlT_T0_E_clISt17integral_constantIbLb0EES18_EEDaS13_S14_EUlS13_E_NS1_11comp_targetILNS1_3genE9ELNS1_11target_archE1100ELNS1_3gpuE3ELNS1_3repE0EEENS1_30default_config_static_selectorELNS0_4arch9wavefront6targetE0EEEvT1_ ; -- Begin function _ZN7rocprim17ROCPRIM_400000_NS6detail17trampoline_kernelINS0_14default_configENS1_25partition_config_selectorILNS1_17partition_subalgoE6EyNS0_10empty_typeEbEEZZNS1_14partition_implILS5_6ELb0ES3_mN6thrust23THRUST_200600_302600_NS6detail15normal_iteratorINSA_10device_ptrIyEEEEPS6_SG_NS0_5tupleIJSF_S6_EEENSH_IJSG_SG_EEES6_PlJNSB_9not_fun_tI7is_trueIyEEEEEE10hipError_tPvRmT3_T4_T5_T6_T7_T9_mT8_P12ihipStream_tbDpT10_ENKUlT_T0_E_clISt17integral_constantIbLb0EES18_EEDaS13_S14_EUlS13_E_NS1_11comp_targetILNS1_3genE9ELNS1_11target_archE1100ELNS1_3gpuE3ELNS1_3repE0EEENS1_30default_config_static_selectorELNS0_4arch9wavefront6targetE0EEEvT1_
	.globl	_ZN7rocprim17ROCPRIM_400000_NS6detail17trampoline_kernelINS0_14default_configENS1_25partition_config_selectorILNS1_17partition_subalgoE6EyNS0_10empty_typeEbEEZZNS1_14partition_implILS5_6ELb0ES3_mN6thrust23THRUST_200600_302600_NS6detail15normal_iteratorINSA_10device_ptrIyEEEEPS6_SG_NS0_5tupleIJSF_S6_EEENSH_IJSG_SG_EEES6_PlJNSB_9not_fun_tI7is_trueIyEEEEEE10hipError_tPvRmT3_T4_T5_T6_T7_T9_mT8_P12ihipStream_tbDpT10_ENKUlT_T0_E_clISt17integral_constantIbLb0EES18_EEDaS13_S14_EUlS13_E_NS1_11comp_targetILNS1_3genE9ELNS1_11target_archE1100ELNS1_3gpuE3ELNS1_3repE0EEENS1_30default_config_static_selectorELNS0_4arch9wavefront6targetE0EEEvT1_
	.p2align	8
	.type	_ZN7rocprim17ROCPRIM_400000_NS6detail17trampoline_kernelINS0_14default_configENS1_25partition_config_selectorILNS1_17partition_subalgoE6EyNS0_10empty_typeEbEEZZNS1_14partition_implILS5_6ELb0ES3_mN6thrust23THRUST_200600_302600_NS6detail15normal_iteratorINSA_10device_ptrIyEEEEPS6_SG_NS0_5tupleIJSF_S6_EEENSH_IJSG_SG_EEES6_PlJNSB_9not_fun_tI7is_trueIyEEEEEE10hipError_tPvRmT3_T4_T5_T6_T7_T9_mT8_P12ihipStream_tbDpT10_ENKUlT_T0_E_clISt17integral_constantIbLb0EES18_EEDaS13_S14_EUlS13_E_NS1_11comp_targetILNS1_3genE9ELNS1_11target_archE1100ELNS1_3gpuE3ELNS1_3repE0EEENS1_30default_config_static_selectorELNS0_4arch9wavefront6targetE0EEEvT1_,@function
_ZN7rocprim17ROCPRIM_400000_NS6detail17trampoline_kernelINS0_14default_configENS1_25partition_config_selectorILNS1_17partition_subalgoE6EyNS0_10empty_typeEbEEZZNS1_14partition_implILS5_6ELb0ES3_mN6thrust23THRUST_200600_302600_NS6detail15normal_iteratorINSA_10device_ptrIyEEEEPS6_SG_NS0_5tupleIJSF_S6_EEENSH_IJSG_SG_EEES6_PlJNSB_9not_fun_tI7is_trueIyEEEEEE10hipError_tPvRmT3_T4_T5_T6_T7_T9_mT8_P12ihipStream_tbDpT10_ENKUlT_T0_E_clISt17integral_constantIbLb0EES18_EEDaS13_S14_EUlS13_E_NS1_11comp_targetILNS1_3genE9ELNS1_11target_archE1100ELNS1_3gpuE3ELNS1_3repE0EEENS1_30default_config_static_selectorELNS0_4arch9wavefront6targetE0EEEvT1_: ; @_ZN7rocprim17ROCPRIM_400000_NS6detail17trampoline_kernelINS0_14default_configENS1_25partition_config_selectorILNS1_17partition_subalgoE6EyNS0_10empty_typeEbEEZZNS1_14partition_implILS5_6ELb0ES3_mN6thrust23THRUST_200600_302600_NS6detail15normal_iteratorINSA_10device_ptrIyEEEEPS6_SG_NS0_5tupleIJSF_S6_EEENSH_IJSG_SG_EEES6_PlJNSB_9not_fun_tI7is_trueIyEEEEEE10hipError_tPvRmT3_T4_T5_T6_T7_T9_mT8_P12ihipStream_tbDpT10_ENKUlT_T0_E_clISt17integral_constantIbLb0EES18_EEDaS13_S14_EUlS13_E_NS1_11comp_targetILNS1_3genE9ELNS1_11target_archE1100ELNS1_3gpuE3ELNS1_3repE0EEENS1_30default_config_static_selectorELNS0_4arch9wavefront6targetE0EEEvT1_
; %bb.0:
	.section	.rodata,"a",@progbits
	.p2align	6, 0x0
	.amdhsa_kernel _ZN7rocprim17ROCPRIM_400000_NS6detail17trampoline_kernelINS0_14default_configENS1_25partition_config_selectorILNS1_17partition_subalgoE6EyNS0_10empty_typeEbEEZZNS1_14partition_implILS5_6ELb0ES3_mN6thrust23THRUST_200600_302600_NS6detail15normal_iteratorINSA_10device_ptrIyEEEEPS6_SG_NS0_5tupleIJSF_S6_EEENSH_IJSG_SG_EEES6_PlJNSB_9not_fun_tI7is_trueIyEEEEEE10hipError_tPvRmT3_T4_T5_T6_T7_T9_mT8_P12ihipStream_tbDpT10_ENKUlT_T0_E_clISt17integral_constantIbLb0EES18_EEDaS13_S14_EUlS13_E_NS1_11comp_targetILNS1_3genE9ELNS1_11target_archE1100ELNS1_3gpuE3ELNS1_3repE0EEENS1_30default_config_static_selectorELNS0_4arch9wavefront6targetE0EEEvT1_
		.amdhsa_group_segment_fixed_size 0
		.amdhsa_private_segment_fixed_size 0
		.amdhsa_kernarg_size 112
		.amdhsa_user_sgpr_count 2
		.amdhsa_user_sgpr_dispatch_ptr 0
		.amdhsa_user_sgpr_queue_ptr 0
		.amdhsa_user_sgpr_kernarg_segment_ptr 1
		.amdhsa_user_sgpr_dispatch_id 0
		.amdhsa_user_sgpr_private_segment_size 0
		.amdhsa_wavefront_size32 1
		.amdhsa_uses_dynamic_stack 0
		.amdhsa_enable_private_segment 0
		.amdhsa_system_sgpr_workgroup_id_x 1
		.amdhsa_system_sgpr_workgroup_id_y 0
		.amdhsa_system_sgpr_workgroup_id_z 0
		.amdhsa_system_sgpr_workgroup_info 0
		.amdhsa_system_vgpr_workitem_id 0
		.amdhsa_next_free_vgpr 1
		.amdhsa_next_free_sgpr 1
		.amdhsa_reserve_vcc 0
		.amdhsa_float_round_mode_32 0
		.amdhsa_float_round_mode_16_64 0
		.amdhsa_float_denorm_mode_32 3
		.amdhsa_float_denorm_mode_16_64 3
		.amdhsa_fp16_overflow 0
		.amdhsa_workgroup_processor_mode 1
		.amdhsa_memory_ordered 1
		.amdhsa_forward_progress 1
		.amdhsa_inst_pref_size 0
		.amdhsa_round_robin_scheduling 0
		.amdhsa_exception_fp_ieee_invalid_op 0
		.amdhsa_exception_fp_denorm_src 0
		.amdhsa_exception_fp_ieee_div_zero 0
		.amdhsa_exception_fp_ieee_overflow 0
		.amdhsa_exception_fp_ieee_underflow 0
		.amdhsa_exception_fp_ieee_inexact 0
		.amdhsa_exception_int_div_zero 0
	.end_amdhsa_kernel
	.section	.text._ZN7rocprim17ROCPRIM_400000_NS6detail17trampoline_kernelINS0_14default_configENS1_25partition_config_selectorILNS1_17partition_subalgoE6EyNS0_10empty_typeEbEEZZNS1_14partition_implILS5_6ELb0ES3_mN6thrust23THRUST_200600_302600_NS6detail15normal_iteratorINSA_10device_ptrIyEEEEPS6_SG_NS0_5tupleIJSF_S6_EEENSH_IJSG_SG_EEES6_PlJNSB_9not_fun_tI7is_trueIyEEEEEE10hipError_tPvRmT3_T4_T5_T6_T7_T9_mT8_P12ihipStream_tbDpT10_ENKUlT_T0_E_clISt17integral_constantIbLb0EES18_EEDaS13_S14_EUlS13_E_NS1_11comp_targetILNS1_3genE9ELNS1_11target_archE1100ELNS1_3gpuE3ELNS1_3repE0EEENS1_30default_config_static_selectorELNS0_4arch9wavefront6targetE0EEEvT1_,"axG",@progbits,_ZN7rocprim17ROCPRIM_400000_NS6detail17trampoline_kernelINS0_14default_configENS1_25partition_config_selectorILNS1_17partition_subalgoE6EyNS0_10empty_typeEbEEZZNS1_14partition_implILS5_6ELb0ES3_mN6thrust23THRUST_200600_302600_NS6detail15normal_iteratorINSA_10device_ptrIyEEEEPS6_SG_NS0_5tupleIJSF_S6_EEENSH_IJSG_SG_EEES6_PlJNSB_9not_fun_tI7is_trueIyEEEEEE10hipError_tPvRmT3_T4_T5_T6_T7_T9_mT8_P12ihipStream_tbDpT10_ENKUlT_T0_E_clISt17integral_constantIbLb0EES18_EEDaS13_S14_EUlS13_E_NS1_11comp_targetILNS1_3genE9ELNS1_11target_archE1100ELNS1_3gpuE3ELNS1_3repE0EEENS1_30default_config_static_selectorELNS0_4arch9wavefront6targetE0EEEvT1_,comdat
.Lfunc_end1115:
	.size	_ZN7rocprim17ROCPRIM_400000_NS6detail17trampoline_kernelINS0_14default_configENS1_25partition_config_selectorILNS1_17partition_subalgoE6EyNS0_10empty_typeEbEEZZNS1_14partition_implILS5_6ELb0ES3_mN6thrust23THRUST_200600_302600_NS6detail15normal_iteratorINSA_10device_ptrIyEEEEPS6_SG_NS0_5tupleIJSF_S6_EEENSH_IJSG_SG_EEES6_PlJNSB_9not_fun_tI7is_trueIyEEEEEE10hipError_tPvRmT3_T4_T5_T6_T7_T9_mT8_P12ihipStream_tbDpT10_ENKUlT_T0_E_clISt17integral_constantIbLb0EES18_EEDaS13_S14_EUlS13_E_NS1_11comp_targetILNS1_3genE9ELNS1_11target_archE1100ELNS1_3gpuE3ELNS1_3repE0EEENS1_30default_config_static_selectorELNS0_4arch9wavefront6targetE0EEEvT1_, .Lfunc_end1115-_ZN7rocprim17ROCPRIM_400000_NS6detail17trampoline_kernelINS0_14default_configENS1_25partition_config_selectorILNS1_17partition_subalgoE6EyNS0_10empty_typeEbEEZZNS1_14partition_implILS5_6ELb0ES3_mN6thrust23THRUST_200600_302600_NS6detail15normal_iteratorINSA_10device_ptrIyEEEEPS6_SG_NS0_5tupleIJSF_S6_EEENSH_IJSG_SG_EEES6_PlJNSB_9not_fun_tI7is_trueIyEEEEEE10hipError_tPvRmT3_T4_T5_T6_T7_T9_mT8_P12ihipStream_tbDpT10_ENKUlT_T0_E_clISt17integral_constantIbLb0EES18_EEDaS13_S14_EUlS13_E_NS1_11comp_targetILNS1_3genE9ELNS1_11target_archE1100ELNS1_3gpuE3ELNS1_3repE0EEENS1_30default_config_static_selectorELNS0_4arch9wavefront6targetE0EEEvT1_
                                        ; -- End function
	.set _ZN7rocprim17ROCPRIM_400000_NS6detail17trampoline_kernelINS0_14default_configENS1_25partition_config_selectorILNS1_17partition_subalgoE6EyNS0_10empty_typeEbEEZZNS1_14partition_implILS5_6ELb0ES3_mN6thrust23THRUST_200600_302600_NS6detail15normal_iteratorINSA_10device_ptrIyEEEEPS6_SG_NS0_5tupleIJSF_S6_EEENSH_IJSG_SG_EEES6_PlJNSB_9not_fun_tI7is_trueIyEEEEEE10hipError_tPvRmT3_T4_T5_T6_T7_T9_mT8_P12ihipStream_tbDpT10_ENKUlT_T0_E_clISt17integral_constantIbLb0EES18_EEDaS13_S14_EUlS13_E_NS1_11comp_targetILNS1_3genE9ELNS1_11target_archE1100ELNS1_3gpuE3ELNS1_3repE0EEENS1_30default_config_static_selectorELNS0_4arch9wavefront6targetE0EEEvT1_.num_vgpr, 0
	.set _ZN7rocprim17ROCPRIM_400000_NS6detail17trampoline_kernelINS0_14default_configENS1_25partition_config_selectorILNS1_17partition_subalgoE6EyNS0_10empty_typeEbEEZZNS1_14partition_implILS5_6ELb0ES3_mN6thrust23THRUST_200600_302600_NS6detail15normal_iteratorINSA_10device_ptrIyEEEEPS6_SG_NS0_5tupleIJSF_S6_EEENSH_IJSG_SG_EEES6_PlJNSB_9not_fun_tI7is_trueIyEEEEEE10hipError_tPvRmT3_T4_T5_T6_T7_T9_mT8_P12ihipStream_tbDpT10_ENKUlT_T0_E_clISt17integral_constantIbLb0EES18_EEDaS13_S14_EUlS13_E_NS1_11comp_targetILNS1_3genE9ELNS1_11target_archE1100ELNS1_3gpuE3ELNS1_3repE0EEENS1_30default_config_static_selectorELNS0_4arch9wavefront6targetE0EEEvT1_.num_agpr, 0
	.set _ZN7rocprim17ROCPRIM_400000_NS6detail17trampoline_kernelINS0_14default_configENS1_25partition_config_selectorILNS1_17partition_subalgoE6EyNS0_10empty_typeEbEEZZNS1_14partition_implILS5_6ELb0ES3_mN6thrust23THRUST_200600_302600_NS6detail15normal_iteratorINSA_10device_ptrIyEEEEPS6_SG_NS0_5tupleIJSF_S6_EEENSH_IJSG_SG_EEES6_PlJNSB_9not_fun_tI7is_trueIyEEEEEE10hipError_tPvRmT3_T4_T5_T6_T7_T9_mT8_P12ihipStream_tbDpT10_ENKUlT_T0_E_clISt17integral_constantIbLb0EES18_EEDaS13_S14_EUlS13_E_NS1_11comp_targetILNS1_3genE9ELNS1_11target_archE1100ELNS1_3gpuE3ELNS1_3repE0EEENS1_30default_config_static_selectorELNS0_4arch9wavefront6targetE0EEEvT1_.numbered_sgpr, 0
	.set _ZN7rocprim17ROCPRIM_400000_NS6detail17trampoline_kernelINS0_14default_configENS1_25partition_config_selectorILNS1_17partition_subalgoE6EyNS0_10empty_typeEbEEZZNS1_14partition_implILS5_6ELb0ES3_mN6thrust23THRUST_200600_302600_NS6detail15normal_iteratorINSA_10device_ptrIyEEEEPS6_SG_NS0_5tupleIJSF_S6_EEENSH_IJSG_SG_EEES6_PlJNSB_9not_fun_tI7is_trueIyEEEEEE10hipError_tPvRmT3_T4_T5_T6_T7_T9_mT8_P12ihipStream_tbDpT10_ENKUlT_T0_E_clISt17integral_constantIbLb0EES18_EEDaS13_S14_EUlS13_E_NS1_11comp_targetILNS1_3genE9ELNS1_11target_archE1100ELNS1_3gpuE3ELNS1_3repE0EEENS1_30default_config_static_selectorELNS0_4arch9wavefront6targetE0EEEvT1_.num_named_barrier, 0
	.set _ZN7rocprim17ROCPRIM_400000_NS6detail17trampoline_kernelINS0_14default_configENS1_25partition_config_selectorILNS1_17partition_subalgoE6EyNS0_10empty_typeEbEEZZNS1_14partition_implILS5_6ELb0ES3_mN6thrust23THRUST_200600_302600_NS6detail15normal_iteratorINSA_10device_ptrIyEEEEPS6_SG_NS0_5tupleIJSF_S6_EEENSH_IJSG_SG_EEES6_PlJNSB_9not_fun_tI7is_trueIyEEEEEE10hipError_tPvRmT3_T4_T5_T6_T7_T9_mT8_P12ihipStream_tbDpT10_ENKUlT_T0_E_clISt17integral_constantIbLb0EES18_EEDaS13_S14_EUlS13_E_NS1_11comp_targetILNS1_3genE9ELNS1_11target_archE1100ELNS1_3gpuE3ELNS1_3repE0EEENS1_30default_config_static_selectorELNS0_4arch9wavefront6targetE0EEEvT1_.private_seg_size, 0
	.set _ZN7rocprim17ROCPRIM_400000_NS6detail17trampoline_kernelINS0_14default_configENS1_25partition_config_selectorILNS1_17partition_subalgoE6EyNS0_10empty_typeEbEEZZNS1_14partition_implILS5_6ELb0ES3_mN6thrust23THRUST_200600_302600_NS6detail15normal_iteratorINSA_10device_ptrIyEEEEPS6_SG_NS0_5tupleIJSF_S6_EEENSH_IJSG_SG_EEES6_PlJNSB_9not_fun_tI7is_trueIyEEEEEE10hipError_tPvRmT3_T4_T5_T6_T7_T9_mT8_P12ihipStream_tbDpT10_ENKUlT_T0_E_clISt17integral_constantIbLb0EES18_EEDaS13_S14_EUlS13_E_NS1_11comp_targetILNS1_3genE9ELNS1_11target_archE1100ELNS1_3gpuE3ELNS1_3repE0EEENS1_30default_config_static_selectorELNS0_4arch9wavefront6targetE0EEEvT1_.uses_vcc, 0
	.set _ZN7rocprim17ROCPRIM_400000_NS6detail17trampoline_kernelINS0_14default_configENS1_25partition_config_selectorILNS1_17partition_subalgoE6EyNS0_10empty_typeEbEEZZNS1_14partition_implILS5_6ELb0ES3_mN6thrust23THRUST_200600_302600_NS6detail15normal_iteratorINSA_10device_ptrIyEEEEPS6_SG_NS0_5tupleIJSF_S6_EEENSH_IJSG_SG_EEES6_PlJNSB_9not_fun_tI7is_trueIyEEEEEE10hipError_tPvRmT3_T4_T5_T6_T7_T9_mT8_P12ihipStream_tbDpT10_ENKUlT_T0_E_clISt17integral_constantIbLb0EES18_EEDaS13_S14_EUlS13_E_NS1_11comp_targetILNS1_3genE9ELNS1_11target_archE1100ELNS1_3gpuE3ELNS1_3repE0EEENS1_30default_config_static_selectorELNS0_4arch9wavefront6targetE0EEEvT1_.uses_flat_scratch, 0
	.set _ZN7rocprim17ROCPRIM_400000_NS6detail17trampoline_kernelINS0_14default_configENS1_25partition_config_selectorILNS1_17partition_subalgoE6EyNS0_10empty_typeEbEEZZNS1_14partition_implILS5_6ELb0ES3_mN6thrust23THRUST_200600_302600_NS6detail15normal_iteratorINSA_10device_ptrIyEEEEPS6_SG_NS0_5tupleIJSF_S6_EEENSH_IJSG_SG_EEES6_PlJNSB_9not_fun_tI7is_trueIyEEEEEE10hipError_tPvRmT3_T4_T5_T6_T7_T9_mT8_P12ihipStream_tbDpT10_ENKUlT_T0_E_clISt17integral_constantIbLb0EES18_EEDaS13_S14_EUlS13_E_NS1_11comp_targetILNS1_3genE9ELNS1_11target_archE1100ELNS1_3gpuE3ELNS1_3repE0EEENS1_30default_config_static_selectorELNS0_4arch9wavefront6targetE0EEEvT1_.has_dyn_sized_stack, 0
	.set _ZN7rocprim17ROCPRIM_400000_NS6detail17trampoline_kernelINS0_14default_configENS1_25partition_config_selectorILNS1_17partition_subalgoE6EyNS0_10empty_typeEbEEZZNS1_14partition_implILS5_6ELb0ES3_mN6thrust23THRUST_200600_302600_NS6detail15normal_iteratorINSA_10device_ptrIyEEEEPS6_SG_NS0_5tupleIJSF_S6_EEENSH_IJSG_SG_EEES6_PlJNSB_9not_fun_tI7is_trueIyEEEEEE10hipError_tPvRmT3_T4_T5_T6_T7_T9_mT8_P12ihipStream_tbDpT10_ENKUlT_T0_E_clISt17integral_constantIbLb0EES18_EEDaS13_S14_EUlS13_E_NS1_11comp_targetILNS1_3genE9ELNS1_11target_archE1100ELNS1_3gpuE3ELNS1_3repE0EEENS1_30default_config_static_selectorELNS0_4arch9wavefront6targetE0EEEvT1_.has_recursion, 0
	.set _ZN7rocprim17ROCPRIM_400000_NS6detail17trampoline_kernelINS0_14default_configENS1_25partition_config_selectorILNS1_17partition_subalgoE6EyNS0_10empty_typeEbEEZZNS1_14partition_implILS5_6ELb0ES3_mN6thrust23THRUST_200600_302600_NS6detail15normal_iteratorINSA_10device_ptrIyEEEEPS6_SG_NS0_5tupleIJSF_S6_EEENSH_IJSG_SG_EEES6_PlJNSB_9not_fun_tI7is_trueIyEEEEEE10hipError_tPvRmT3_T4_T5_T6_T7_T9_mT8_P12ihipStream_tbDpT10_ENKUlT_T0_E_clISt17integral_constantIbLb0EES18_EEDaS13_S14_EUlS13_E_NS1_11comp_targetILNS1_3genE9ELNS1_11target_archE1100ELNS1_3gpuE3ELNS1_3repE0EEENS1_30default_config_static_selectorELNS0_4arch9wavefront6targetE0EEEvT1_.has_indirect_call, 0
	.section	.AMDGPU.csdata,"",@progbits
; Kernel info:
; codeLenInByte = 0
; TotalNumSgprs: 0
; NumVgprs: 0
; ScratchSize: 0
; MemoryBound: 0
; FloatMode: 240
; IeeeMode: 1
; LDSByteSize: 0 bytes/workgroup (compile time only)
; SGPRBlocks: 0
; VGPRBlocks: 0
; NumSGPRsForWavesPerEU: 1
; NumVGPRsForWavesPerEU: 1
; Occupancy: 16
; WaveLimiterHint : 0
; COMPUTE_PGM_RSRC2:SCRATCH_EN: 0
; COMPUTE_PGM_RSRC2:USER_SGPR: 2
; COMPUTE_PGM_RSRC2:TRAP_HANDLER: 0
; COMPUTE_PGM_RSRC2:TGID_X_EN: 1
; COMPUTE_PGM_RSRC2:TGID_Y_EN: 0
; COMPUTE_PGM_RSRC2:TGID_Z_EN: 0
; COMPUTE_PGM_RSRC2:TIDIG_COMP_CNT: 0
	.section	.text._ZN7rocprim17ROCPRIM_400000_NS6detail17trampoline_kernelINS0_14default_configENS1_25partition_config_selectorILNS1_17partition_subalgoE6EyNS0_10empty_typeEbEEZZNS1_14partition_implILS5_6ELb0ES3_mN6thrust23THRUST_200600_302600_NS6detail15normal_iteratorINSA_10device_ptrIyEEEEPS6_SG_NS0_5tupleIJSF_S6_EEENSH_IJSG_SG_EEES6_PlJNSB_9not_fun_tI7is_trueIyEEEEEE10hipError_tPvRmT3_T4_T5_T6_T7_T9_mT8_P12ihipStream_tbDpT10_ENKUlT_T0_E_clISt17integral_constantIbLb0EES18_EEDaS13_S14_EUlS13_E_NS1_11comp_targetILNS1_3genE8ELNS1_11target_archE1030ELNS1_3gpuE2ELNS1_3repE0EEENS1_30default_config_static_selectorELNS0_4arch9wavefront6targetE0EEEvT1_,"axG",@progbits,_ZN7rocprim17ROCPRIM_400000_NS6detail17trampoline_kernelINS0_14default_configENS1_25partition_config_selectorILNS1_17partition_subalgoE6EyNS0_10empty_typeEbEEZZNS1_14partition_implILS5_6ELb0ES3_mN6thrust23THRUST_200600_302600_NS6detail15normal_iteratorINSA_10device_ptrIyEEEEPS6_SG_NS0_5tupleIJSF_S6_EEENSH_IJSG_SG_EEES6_PlJNSB_9not_fun_tI7is_trueIyEEEEEE10hipError_tPvRmT3_T4_T5_T6_T7_T9_mT8_P12ihipStream_tbDpT10_ENKUlT_T0_E_clISt17integral_constantIbLb0EES18_EEDaS13_S14_EUlS13_E_NS1_11comp_targetILNS1_3genE8ELNS1_11target_archE1030ELNS1_3gpuE2ELNS1_3repE0EEENS1_30default_config_static_selectorELNS0_4arch9wavefront6targetE0EEEvT1_,comdat
	.protected	_ZN7rocprim17ROCPRIM_400000_NS6detail17trampoline_kernelINS0_14default_configENS1_25partition_config_selectorILNS1_17partition_subalgoE6EyNS0_10empty_typeEbEEZZNS1_14partition_implILS5_6ELb0ES3_mN6thrust23THRUST_200600_302600_NS6detail15normal_iteratorINSA_10device_ptrIyEEEEPS6_SG_NS0_5tupleIJSF_S6_EEENSH_IJSG_SG_EEES6_PlJNSB_9not_fun_tI7is_trueIyEEEEEE10hipError_tPvRmT3_T4_T5_T6_T7_T9_mT8_P12ihipStream_tbDpT10_ENKUlT_T0_E_clISt17integral_constantIbLb0EES18_EEDaS13_S14_EUlS13_E_NS1_11comp_targetILNS1_3genE8ELNS1_11target_archE1030ELNS1_3gpuE2ELNS1_3repE0EEENS1_30default_config_static_selectorELNS0_4arch9wavefront6targetE0EEEvT1_ ; -- Begin function _ZN7rocprim17ROCPRIM_400000_NS6detail17trampoline_kernelINS0_14default_configENS1_25partition_config_selectorILNS1_17partition_subalgoE6EyNS0_10empty_typeEbEEZZNS1_14partition_implILS5_6ELb0ES3_mN6thrust23THRUST_200600_302600_NS6detail15normal_iteratorINSA_10device_ptrIyEEEEPS6_SG_NS0_5tupleIJSF_S6_EEENSH_IJSG_SG_EEES6_PlJNSB_9not_fun_tI7is_trueIyEEEEEE10hipError_tPvRmT3_T4_T5_T6_T7_T9_mT8_P12ihipStream_tbDpT10_ENKUlT_T0_E_clISt17integral_constantIbLb0EES18_EEDaS13_S14_EUlS13_E_NS1_11comp_targetILNS1_3genE8ELNS1_11target_archE1030ELNS1_3gpuE2ELNS1_3repE0EEENS1_30default_config_static_selectorELNS0_4arch9wavefront6targetE0EEEvT1_
	.globl	_ZN7rocprim17ROCPRIM_400000_NS6detail17trampoline_kernelINS0_14default_configENS1_25partition_config_selectorILNS1_17partition_subalgoE6EyNS0_10empty_typeEbEEZZNS1_14partition_implILS5_6ELb0ES3_mN6thrust23THRUST_200600_302600_NS6detail15normal_iteratorINSA_10device_ptrIyEEEEPS6_SG_NS0_5tupleIJSF_S6_EEENSH_IJSG_SG_EEES6_PlJNSB_9not_fun_tI7is_trueIyEEEEEE10hipError_tPvRmT3_T4_T5_T6_T7_T9_mT8_P12ihipStream_tbDpT10_ENKUlT_T0_E_clISt17integral_constantIbLb0EES18_EEDaS13_S14_EUlS13_E_NS1_11comp_targetILNS1_3genE8ELNS1_11target_archE1030ELNS1_3gpuE2ELNS1_3repE0EEENS1_30default_config_static_selectorELNS0_4arch9wavefront6targetE0EEEvT1_
	.p2align	8
	.type	_ZN7rocprim17ROCPRIM_400000_NS6detail17trampoline_kernelINS0_14default_configENS1_25partition_config_selectorILNS1_17partition_subalgoE6EyNS0_10empty_typeEbEEZZNS1_14partition_implILS5_6ELb0ES3_mN6thrust23THRUST_200600_302600_NS6detail15normal_iteratorINSA_10device_ptrIyEEEEPS6_SG_NS0_5tupleIJSF_S6_EEENSH_IJSG_SG_EEES6_PlJNSB_9not_fun_tI7is_trueIyEEEEEE10hipError_tPvRmT3_T4_T5_T6_T7_T9_mT8_P12ihipStream_tbDpT10_ENKUlT_T0_E_clISt17integral_constantIbLb0EES18_EEDaS13_S14_EUlS13_E_NS1_11comp_targetILNS1_3genE8ELNS1_11target_archE1030ELNS1_3gpuE2ELNS1_3repE0EEENS1_30default_config_static_selectorELNS0_4arch9wavefront6targetE0EEEvT1_,@function
_ZN7rocprim17ROCPRIM_400000_NS6detail17trampoline_kernelINS0_14default_configENS1_25partition_config_selectorILNS1_17partition_subalgoE6EyNS0_10empty_typeEbEEZZNS1_14partition_implILS5_6ELb0ES3_mN6thrust23THRUST_200600_302600_NS6detail15normal_iteratorINSA_10device_ptrIyEEEEPS6_SG_NS0_5tupleIJSF_S6_EEENSH_IJSG_SG_EEES6_PlJNSB_9not_fun_tI7is_trueIyEEEEEE10hipError_tPvRmT3_T4_T5_T6_T7_T9_mT8_P12ihipStream_tbDpT10_ENKUlT_T0_E_clISt17integral_constantIbLb0EES18_EEDaS13_S14_EUlS13_E_NS1_11comp_targetILNS1_3genE8ELNS1_11target_archE1030ELNS1_3gpuE2ELNS1_3repE0EEENS1_30default_config_static_selectorELNS0_4arch9wavefront6targetE0EEEvT1_: ; @_ZN7rocprim17ROCPRIM_400000_NS6detail17trampoline_kernelINS0_14default_configENS1_25partition_config_selectorILNS1_17partition_subalgoE6EyNS0_10empty_typeEbEEZZNS1_14partition_implILS5_6ELb0ES3_mN6thrust23THRUST_200600_302600_NS6detail15normal_iteratorINSA_10device_ptrIyEEEEPS6_SG_NS0_5tupleIJSF_S6_EEENSH_IJSG_SG_EEES6_PlJNSB_9not_fun_tI7is_trueIyEEEEEE10hipError_tPvRmT3_T4_T5_T6_T7_T9_mT8_P12ihipStream_tbDpT10_ENKUlT_T0_E_clISt17integral_constantIbLb0EES18_EEDaS13_S14_EUlS13_E_NS1_11comp_targetILNS1_3genE8ELNS1_11target_archE1030ELNS1_3gpuE2ELNS1_3repE0EEENS1_30default_config_static_selectorELNS0_4arch9wavefront6targetE0EEEvT1_
; %bb.0:
	.section	.rodata,"a",@progbits
	.p2align	6, 0x0
	.amdhsa_kernel _ZN7rocprim17ROCPRIM_400000_NS6detail17trampoline_kernelINS0_14default_configENS1_25partition_config_selectorILNS1_17partition_subalgoE6EyNS0_10empty_typeEbEEZZNS1_14partition_implILS5_6ELb0ES3_mN6thrust23THRUST_200600_302600_NS6detail15normal_iteratorINSA_10device_ptrIyEEEEPS6_SG_NS0_5tupleIJSF_S6_EEENSH_IJSG_SG_EEES6_PlJNSB_9not_fun_tI7is_trueIyEEEEEE10hipError_tPvRmT3_T4_T5_T6_T7_T9_mT8_P12ihipStream_tbDpT10_ENKUlT_T0_E_clISt17integral_constantIbLb0EES18_EEDaS13_S14_EUlS13_E_NS1_11comp_targetILNS1_3genE8ELNS1_11target_archE1030ELNS1_3gpuE2ELNS1_3repE0EEENS1_30default_config_static_selectorELNS0_4arch9wavefront6targetE0EEEvT1_
		.amdhsa_group_segment_fixed_size 0
		.amdhsa_private_segment_fixed_size 0
		.amdhsa_kernarg_size 112
		.amdhsa_user_sgpr_count 2
		.amdhsa_user_sgpr_dispatch_ptr 0
		.amdhsa_user_sgpr_queue_ptr 0
		.amdhsa_user_sgpr_kernarg_segment_ptr 1
		.amdhsa_user_sgpr_dispatch_id 0
		.amdhsa_user_sgpr_private_segment_size 0
		.amdhsa_wavefront_size32 1
		.amdhsa_uses_dynamic_stack 0
		.amdhsa_enable_private_segment 0
		.amdhsa_system_sgpr_workgroup_id_x 1
		.amdhsa_system_sgpr_workgroup_id_y 0
		.amdhsa_system_sgpr_workgroup_id_z 0
		.amdhsa_system_sgpr_workgroup_info 0
		.amdhsa_system_vgpr_workitem_id 0
		.amdhsa_next_free_vgpr 1
		.amdhsa_next_free_sgpr 1
		.amdhsa_reserve_vcc 0
		.amdhsa_float_round_mode_32 0
		.amdhsa_float_round_mode_16_64 0
		.amdhsa_float_denorm_mode_32 3
		.amdhsa_float_denorm_mode_16_64 3
		.amdhsa_fp16_overflow 0
		.amdhsa_workgroup_processor_mode 1
		.amdhsa_memory_ordered 1
		.amdhsa_forward_progress 1
		.amdhsa_inst_pref_size 0
		.amdhsa_round_robin_scheduling 0
		.amdhsa_exception_fp_ieee_invalid_op 0
		.amdhsa_exception_fp_denorm_src 0
		.amdhsa_exception_fp_ieee_div_zero 0
		.amdhsa_exception_fp_ieee_overflow 0
		.amdhsa_exception_fp_ieee_underflow 0
		.amdhsa_exception_fp_ieee_inexact 0
		.amdhsa_exception_int_div_zero 0
	.end_amdhsa_kernel
	.section	.text._ZN7rocprim17ROCPRIM_400000_NS6detail17trampoline_kernelINS0_14default_configENS1_25partition_config_selectorILNS1_17partition_subalgoE6EyNS0_10empty_typeEbEEZZNS1_14partition_implILS5_6ELb0ES3_mN6thrust23THRUST_200600_302600_NS6detail15normal_iteratorINSA_10device_ptrIyEEEEPS6_SG_NS0_5tupleIJSF_S6_EEENSH_IJSG_SG_EEES6_PlJNSB_9not_fun_tI7is_trueIyEEEEEE10hipError_tPvRmT3_T4_T5_T6_T7_T9_mT8_P12ihipStream_tbDpT10_ENKUlT_T0_E_clISt17integral_constantIbLb0EES18_EEDaS13_S14_EUlS13_E_NS1_11comp_targetILNS1_3genE8ELNS1_11target_archE1030ELNS1_3gpuE2ELNS1_3repE0EEENS1_30default_config_static_selectorELNS0_4arch9wavefront6targetE0EEEvT1_,"axG",@progbits,_ZN7rocprim17ROCPRIM_400000_NS6detail17trampoline_kernelINS0_14default_configENS1_25partition_config_selectorILNS1_17partition_subalgoE6EyNS0_10empty_typeEbEEZZNS1_14partition_implILS5_6ELb0ES3_mN6thrust23THRUST_200600_302600_NS6detail15normal_iteratorINSA_10device_ptrIyEEEEPS6_SG_NS0_5tupleIJSF_S6_EEENSH_IJSG_SG_EEES6_PlJNSB_9not_fun_tI7is_trueIyEEEEEE10hipError_tPvRmT3_T4_T5_T6_T7_T9_mT8_P12ihipStream_tbDpT10_ENKUlT_T0_E_clISt17integral_constantIbLb0EES18_EEDaS13_S14_EUlS13_E_NS1_11comp_targetILNS1_3genE8ELNS1_11target_archE1030ELNS1_3gpuE2ELNS1_3repE0EEENS1_30default_config_static_selectorELNS0_4arch9wavefront6targetE0EEEvT1_,comdat
.Lfunc_end1116:
	.size	_ZN7rocprim17ROCPRIM_400000_NS6detail17trampoline_kernelINS0_14default_configENS1_25partition_config_selectorILNS1_17partition_subalgoE6EyNS0_10empty_typeEbEEZZNS1_14partition_implILS5_6ELb0ES3_mN6thrust23THRUST_200600_302600_NS6detail15normal_iteratorINSA_10device_ptrIyEEEEPS6_SG_NS0_5tupleIJSF_S6_EEENSH_IJSG_SG_EEES6_PlJNSB_9not_fun_tI7is_trueIyEEEEEE10hipError_tPvRmT3_T4_T5_T6_T7_T9_mT8_P12ihipStream_tbDpT10_ENKUlT_T0_E_clISt17integral_constantIbLb0EES18_EEDaS13_S14_EUlS13_E_NS1_11comp_targetILNS1_3genE8ELNS1_11target_archE1030ELNS1_3gpuE2ELNS1_3repE0EEENS1_30default_config_static_selectorELNS0_4arch9wavefront6targetE0EEEvT1_, .Lfunc_end1116-_ZN7rocprim17ROCPRIM_400000_NS6detail17trampoline_kernelINS0_14default_configENS1_25partition_config_selectorILNS1_17partition_subalgoE6EyNS0_10empty_typeEbEEZZNS1_14partition_implILS5_6ELb0ES3_mN6thrust23THRUST_200600_302600_NS6detail15normal_iteratorINSA_10device_ptrIyEEEEPS6_SG_NS0_5tupleIJSF_S6_EEENSH_IJSG_SG_EEES6_PlJNSB_9not_fun_tI7is_trueIyEEEEEE10hipError_tPvRmT3_T4_T5_T6_T7_T9_mT8_P12ihipStream_tbDpT10_ENKUlT_T0_E_clISt17integral_constantIbLb0EES18_EEDaS13_S14_EUlS13_E_NS1_11comp_targetILNS1_3genE8ELNS1_11target_archE1030ELNS1_3gpuE2ELNS1_3repE0EEENS1_30default_config_static_selectorELNS0_4arch9wavefront6targetE0EEEvT1_
                                        ; -- End function
	.set _ZN7rocprim17ROCPRIM_400000_NS6detail17trampoline_kernelINS0_14default_configENS1_25partition_config_selectorILNS1_17partition_subalgoE6EyNS0_10empty_typeEbEEZZNS1_14partition_implILS5_6ELb0ES3_mN6thrust23THRUST_200600_302600_NS6detail15normal_iteratorINSA_10device_ptrIyEEEEPS6_SG_NS0_5tupleIJSF_S6_EEENSH_IJSG_SG_EEES6_PlJNSB_9not_fun_tI7is_trueIyEEEEEE10hipError_tPvRmT3_T4_T5_T6_T7_T9_mT8_P12ihipStream_tbDpT10_ENKUlT_T0_E_clISt17integral_constantIbLb0EES18_EEDaS13_S14_EUlS13_E_NS1_11comp_targetILNS1_3genE8ELNS1_11target_archE1030ELNS1_3gpuE2ELNS1_3repE0EEENS1_30default_config_static_selectorELNS0_4arch9wavefront6targetE0EEEvT1_.num_vgpr, 0
	.set _ZN7rocprim17ROCPRIM_400000_NS6detail17trampoline_kernelINS0_14default_configENS1_25partition_config_selectorILNS1_17partition_subalgoE6EyNS0_10empty_typeEbEEZZNS1_14partition_implILS5_6ELb0ES3_mN6thrust23THRUST_200600_302600_NS6detail15normal_iteratorINSA_10device_ptrIyEEEEPS6_SG_NS0_5tupleIJSF_S6_EEENSH_IJSG_SG_EEES6_PlJNSB_9not_fun_tI7is_trueIyEEEEEE10hipError_tPvRmT3_T4_T5_T6_T7_T9_mT8_P12ihipStream_tbDpT10_ENKUlT_T0_E_clISt17integral_constantIbLb0EES18_EEDaS13_S14_EUlS13_E_NS1_11comp_targetILNS1_3genE8ELNS1_11target_archE1030ELNS1_3gpuE2ELNS1_3repE0EEENS1_30default_config_static_selectorELNS0_4arch9wavefront6targetE0EEEvT1_.num_agpr, 0
	.set _ZN7rocprim17ROCPRIM_400000_NS6detail17trampoline_kernelINS0_14default_configENS1_25partition_config_selectorILNS1_17partition_subalgoE6EyNS0_10empty_typeEbEEZZNS1_14partition_implILS5_6ELb0ES3_mN6thrust23THRUST_200600_302600_NS6detail15normal_iteratorINSA_10device_ptrIyEEEEPS6_SG_NS0_5tupleIJSF_S6_EEENSH_IJSG_SG_EEES6_PlJNSB_9not_fun_tI7is_trueIyEEEEEE10hipError_tPvRmT3_T4_T5_T6_T7_T9_mT8_P12ihipStream_tbDpT10_ENKUlT_T0_E_clISt17integral_constantIbLb0EES18_EEDaS13_S14_EUlS13_E_NS1_11comp_targetILNS1_3genE8ELNS1_11target_archE1030ELNS1_3gpuE2ELNS1_3repE0EEENS1_30default_config_static_selectorELNS0_4arch9wavefront6targetE0EEEvT1_.numbered_sgpr, 0
	.set _ZN7rocprim17ROCPRIM_400000_NS6detail17trampoline_kernelINS0_14default_configENS1_25partition_config_selectorILNS1_17partition_subalgoE6EyNS0_10empty_typeEbEEZZNS1_14partition_implILS5_6ELb0ES3_mN6thrust23THRUST_200600_302600_NS6detail15normal_iteratorINSA_10device_ptrIyEEEEPS6_SG_NS0_5tupleIJSF_S6_EEENSH_IJSG_SG_EEES6_PlJNSB_9not_fun_tI7is_trueIyEEEEEE10hipError_tPvRmT3_T4_T5_T6_T7_T9_mT8_P12ihipStream_tbDpT10_ENKUlT_T0_E_clISt17integral_constantIbLb0EES18_EEDaS13_S14_EUlS13_E_NS1_11comp_targetILNS1_3genE8ELNS1_11target_archE1030ELNS1_3gpuE2ELNS1_3repE0EEENS1_30default_config_static_selectorELNS0_4arch9wavefront6targetE0EEEvT1_.num_named_barrier, 0
	.set _ZN7rocprim17ROCPRIM_400000_NS6detail17trampoline_kernelINS0_14default_configENS1_25partition_config_selectorILNS1_17partition_subalgoE6EyNS0_10empty_typeEbEEZZNS1_14partition_implILS5_6ELb0ES3_mN6thrust23THRUST_200600_302600_NS6detail15normal_iteratorINSA_10device_ptrIyEEEEPS6_SG_NS0_5tupleIJSF_S6_EEENSH_IJSG_SG_EEES6_PlJNSB_9not_fun_tI7is_trueIyEEEEEE10hipError_tPvRmT3_T4_T5_T6_T7_T9_mT8_P12ihipStream_tbDpT10_ENKUlT_T0_E_clISt17integral_constantIbLb0EES18_EEDaS13_S14_EUlS13_E_NS1_11comp_targetILNS1_3genE8ELNS1_11target_archE1030ELNS1_3gpuE2ELNS1_3repE0EEENS1_30default_config_static_selectorELNS0_4arch9wavefront6targetE0EEEvT1_.private_seg_size, 0
	.set _ZN7rocprim17ROCPRIM_400000_NS6detail17trampoline_kernelINS0_14default_configENS1_25partition_config_selectorILNS1_17partition_subalgoE6EyNS0_10empty_typeEbEEZZNS1_14partition_implILS5_6ELb0ES3_mN6thrust23THRUST_200600_302600_NS6detail15normal_iteratorINSA_10device_ptrIyEEEEPS6_SG_NS0_5tupleIJSF_S6_EEENSH_IJSG_SG_EEES6_PlJNSB_9not_fun_tI7is_trueIyEEEEEE10hipError_tPvRmT3_T4_T5_T6_T7_T9_mT8_P12ihipStream_tbDpT10_ENKUlT_T0_E_clISt17integral_constantIbLb0EES18_EEDaS13_S14_EUlS13_E_NS1_11comp_targetILNS1_3genE8ELNS1_11target_archE1030ELNS1_3gpuE2ELNS1_3repE0EEENS1_30default_config_static_selectorELNS0_4arch9wavefront6targetE0EEEvT1_.uses_vcc, 0
	.set _ZN7rocprim17ROCPRIM_400000_NS6detail17trampoline_kernelINS0_14default_configENS1_25partition_config_selectorILNS1_17partition_subalgoE6EyNS0_10empty_typeEbEEZZNS1_14partition_implILS5_6ELb0ES3_mN6thrust23THRUST_200600_302600_NS6detail15normal_iteratorINSA_10device_ptrIyEEEEPS6_SG_NS0_5tupleIJSF_S6_EEENSH_IJSG_SG_EEES6_PlJNSB_9not_fun_tI7is_trueIyEEEEEE10hipError_tPvRmT3_T4_T5_T6_T7_T9_mT8_P12ihipStream_tbDpT10_ENKUlT_T0_E_clISt17integral_constantIbLb0EES18_EEDaS13_S14_EUlS13_E_NS1_11comp_targetILNS1_3genE8ELNS1_11target_archE1030ELNS1_3gpuE2ELNS1_3repE0EEENS1_30default_config_static_selectorELNS0_4arch9wavefront6targetE0EEEvT1_.uses_flat_scratch, 0
	.set _ZN7rocprim17ROCPRIM_400000_NS6detail17trampoline_kernelINS0_14default_configENS1_25partition_config_selectorILNS1_17partition_subalgoE6EyNS0_10empty_typeEbEEZZNS1_14partition_implILS5_6ELb0ES3_mN6thrust23THRUST_200600_302600_NS6detail15normal_iteratorINSA_10device_ptrIyEEEEPS6_SG_NS0_5tupleIJSF_S6_EEENSH_IJSG_SG_EEES6_PlJNSB_9not_fun_tI7is_trueIyEEEEEE10hipError_tPvRmT3_T4_T5_T6_T7_T9_mT8_P12ihipStream_tbDpT10_ENKUlT_T0_E_clISt17integral_constantIbLb0EES18_EEDaS13_S14_EUlS13_E_NS1_11comp_targetILNS1_3genE8ELNS1_11target_archE1030ELNS1_3gpuE2ELNS1_3repE0EEENS1_30default_config_static_selectorELNS0_4arch9wavefront6targetE0EEEvT1_.has_dyn_sized_stack, 0
	.set _ZN7rocprim17ROCPRIM_400000_NS6detail17trampoline_kernelINS0_14default_configENS1_25partition_config_selectorILNS1_17partition_subalgoE6EyNS0_10empty_typeEbEEZZNS1_14partition_implILS5_6ELb0ES3_mN6thrust23THRUST_200600_302600_NS6detail15normal_iteratorINSA_10device_ptrIyEEEEPS6_SG_NS0_5tupleIJSF_S6_EEENSH_IJSG_SG_EEES6_PlJNSB_9not_fun_tI7is_trueIyEEEEEE10hipError_tPvRmT3_T4_T5_T6_T7_T9_mT8_P12ihipStream_tbDpT10_ENKUlT_T0_E_clISt17integral_constantIbLb0EES18_EEDaS13_S14_EUlS13_E_NS1_11comp_targetILNS1_3genE8ELNS1_11target_archE1030ELNS1_3gpuE2ELNS1_3repE0EEENS1_30default_config_static_selectorELNS0_4arch9wavefront6targetE0EEEvT1_.has_recursion, 0
	.set _ZN7rocprim17ROCPRIM_400000_NS6detail17trampoline_kernelINS0_14default_configENS1_25partition_config_selectorILNS1_17partition_subalgoE6EyNS0_10empty_typeEbEEZZNS1_14partition_implILS5_6ELb0ES3_mN6thrust23THRUST_200600_302600_NS6detail15normal_iteratorINSA_10device_ptrIyEEEEPS6_SG_NS0_5tupleIJSF_S6_EEENSH_IJSG_SG_EEES6_PlJNSB_9not_fun_tI7is_trueIyEEEEEE10hipError_tPvRmT3_T4_T5_T6_T7_T9_mT8_P12ihipStream_tbDpT10_ENKUlT_T0_E_clISt17integral_constantIbLb0EES18_EEDaS13_S14_EUlS13_E_NS1_11comp_targetILNS1_3genE8ELNS1_11target_archE1030ELNS1_3gpuE2ELNS1_3repE0EEENS1_30default_config_static_selectorELNS0_4arch9wavefront6targetE0EEEvT1_.has_indirect_call, 0
	.section	.AMDGPU.csdata,"",@progbits
; Kernel info:
; codeLenInByte = 0
; TotalNumSgprs: 0
; NumVgprs: 0
; ScratchSize: 0
; MemoryBound: 0
; FloatMode: 240
; IeeeMode: 1
; LDSByteSize: 0 bytes/workgroup (compile time only)
; SGPRBlocks: 0
; VGPRBlocks: 0
; NumSGPRsForWavesPerEU: 1
; NumVGPRsForWavesPerEU: 1
; Occupancy: 16
; WaveLimiterHint : 0
; COMPUTE_PGM_RSRC2:SCRATCH_EN: 0
; COMPUTE_PGM_RSRC2:USER_SGPR: 2
; COMPUTE_PGM_RSRC2:TRAP_HANDLER: 0
; COMPUTE_PGM_RSRC2:TGID_X_EN: 1
; COMPUTE_PGM_RSRC2:TGID_Y_EN: 0
; COMPUTE_PGM_RSRC2:TGID_Z_EN: 0
; COMPUTE_PGM_RSRC2:TIDIG_COMP_CNT: 0
	.section	.text._ZN7rocprim17ROCPRIM_400000_NS6detail17trampoline_kernelINS0_14default_configENS1_25partition_config_selectorILNS1_17partition_subalgoE6EyNS0_10empty_typeEbEEZZNS1_14partition_implILS5_6ELb0ES3_mN6thrust23THRUST_200600_302600_NS6detail15normal_iteratorINSA_10device_ptrIyEEEEPS6_SG_NS0_5tupleIJSF_S6_EEENSH_IJSG_SG_EEES6_PlJNSB_9not_fun_tI7is_trueIyEEEEEE10hipError_tPvRmT3_T4_T5_T6_T7_T9_mT8_P12ihipStream_tbDpT10_ENKUlT_T0_E_clISt17integral_constantIbLb1EES18_EEDaS13_S14_EUlS13_E_NS1_11comp_targetILNS1_3genE0ELNS1_11target_archE4294967295ELNS1_3gpuE0ELNS1_3repE0EEENS1_30default_config_static_selectorELNS0_4arch9wavefront6targetE0EEEvT1_,"axG",@progbits,_ZN7rocprim17ROCPRIM_400000_NS6detail17trampoline_kernelINS0_14default_configENS1_25partition_config_selectorILNS1_17partition_subalgoE6EyNS0_10empty_typeEbEEZZNS1_14partition_implILS5_6ELb0ES3_mN6thrust23THRUST_200600_302600_NS6detail15normal_iteratorINSA_10device_ptrIyEEEEPS6_SG_NS0_5tupleIJSF_S6_EEENSH_IJSG_SG_EEES6_PlJNSB_9not_fun_tI7is_trueIyEEEEEE10hipError_tPvRmT3_T4_T5_T6_T7_T9_mT8_P12ihipStream_tbDpT10_ENKUlT_T0_E_clISt17integral_constantIbLb1EES18_EEDaS13_S14_EUlS13_E_NS1_11comp_targetILNS1_3genE0ELNS1_11target_archE4294967295ELNS1_3gpuE0ELNS1_3repE0EEENS1_30default_config_static_selectorELNS0_4arch9wavefront6targetE0EEEvT1_,comdat
	.protected	_ZN7rocprim17ROCPRIM_400000_NS6detail17trampoline_kernelINS0_14default_configENS1_25partition_config_selectorILNS1_17partition_subalgoE6EyNS0_10empty_typeEbEEZZNS1_14partition_implILS5_6ELb0ES3_mN6thrust23THRUST_200600_302600_NS6detail15normal_iteratorINSA_10device_ptrIyEEEEPS6_SG_NS0_5tupleIJSF_S6_EEENSH_IJSG_SG_EEES6_PlJNSB_9not_fun_tI7is_trueIyEEEEEE10hipError_tPvRmT3_T4_T5_T6_T7_T9_mT8_P12ihipStream_tbDpT10_ENKUlT_T0_E_clISt17integral_constantIbLb1EES18_EEDaS13_S14_EUlS13_E_NS1_11comp_targetILNS1_3genE0ELNS1_11target_archE4294967295ELNS1_3gpuE0ELNS1_3repE0EEENS1_30default_config_static_selectorELNS0_4arch9wavefront6targetE0EEEvT1_ ; -- Begin function _ZN7rocprim17ROCPRIM_400000_NS6detail17trampoline_kernelINS0_14default_configENS1_25partition_config_selectorILNS1_17partition_subalgoE6EyNS0_10empty_typeEbEEZZNS1_14partition_implILS5_6ELb0ES3_mN6thrust23THRUST_200600_302600_NS6detail15normal_iteratorINSA_10device_ptrIyEEEEPS6_SG_NS0_5tupleIJSF_S6_EEENSH_IJSG_SG_EEES6_PlJNSB_9not_fun_tI7is_trueIyEEEEEE10hipError_tPvRmT3_T4_T5_T6_T7_T9_mT8_P12ihipStream_tbDpT10_ENKUlT_T0_E_clISt17integral_constantIbLb1EES18_EEDaS13_S14_EUlS13_E_NS1_11comp_targetILNS1_3genE0ELNS1_11target_archE4294967295ELNS1_3gpuE0ELNS1_3repE0EEENS1_30default_config_static_selectorELNS0_4arch9wavefront6targetE0EEEvT1_
	.globl	_ZN7rocprim17ROCPRIM_400000_NS6detail17trampoline_kernelINS0_14default_configENS1_25partition_config_selectorILNS1_17partition_subalgoE6EyNS0_10empty_typeEbEEZZNS1_14partition_implILS5_6ELb0ES3_mN6thrust23THRUST_200600_302600_NS6detail15normal_iteratorINSA_10device_ptrIyEEEEPS6_SG_NS0_5tupleIJSF_S6_EEENSH_IJSG_SG_EEES6_PlJNSB_9not_fun_tI7is_trueIyEEEEEE10hipError_tPvRmT3_T4_T5_T6_T7_T9_mT8_P12ihipStream_tbDpT10_ENKUlT_T0_E_clISt17integral_constantIbLb1EES18_EEDaS13_S14_EUlS13_E_NS1_11comp_targetILNS1_3genE0ELNS1_11target_archE4294967295ELNS1_3gpuE0ELNS1_3repE0EEENS1_30default_config_static_selectorELNS0_4arch9wavefront6targetE0EEEvT1_
	.p2align	8
	.type	_ZN7rocprim17ROCPRIM_400000_NS6detail17trampoline_kernelINS0_14default_configENS1_25partition_config_selectorILNS1_17partition_subalgoE6EyNS0_10empty_typeEbEEZZNS1_14partition_implILS5_6ELb0ES3_mN6thrust23THRUST_200600_302600_NS6detail15normal_iteratorINSA_10device_ptrIyEEEEPS6_SG_NS0_5tupleIJSF_S6_EEENSH_IJSG_SG_EEES6_PlJNSB_9not_fun_tI7is_trueIyEEEEEE10hipError_tPvRmT3_T4_T5_T6_T7_T9_mT8_P12ihipStream_tbDpT10_ENKUlT_T0_E_clISt17integral_constantIbLb1EES18_EEDaS13_S14_EUlS13_E_NS1_11comp_targetILNS1_3genE0ELNS1_11target_archE4294967295ELNS1_3gpuE0ELNS1_3repE0EEENS1_30default_config_static_selectorELNS0_4arch9wavefront6targetE0EEEvT1_,@function
_ZN7rocprim17ROCPRIM_400000_NS6detail17trampoline_kernelINS0_14default_configENS1_25partition_config_selectorILNS1_17partition_subalgoE6EyNS0_10empty_typeEbEEZZNS1_14partition_implILS5_6ELb0ES3_mN6thrust23THRUST_200600_302600_NS6detail15normal_iteratorINSA_10device_ptrIyEEEEPS6_SG_NS0_5tupleIJSF_S6_EEENSH_IJSG_SG_EEES6_PlJNSB_9not_fun_tI7is_trueIyEEEEEE10hipError_tPvRmT3_T4_T5_T6_T7_T9_mT8_P12ihipStream_tbDpT10_ENKUlT_T0_E_clISt17integral_constantIbLb1EES18_EEDaS13_S14_EUlS13_E_NS1_11comp_targetILNS1_3genE0ELNS1_11target_archE4294967295ELNS1_3gpuE0ELNS1_3repE0EEENS1_30default_config_static_selectorELNS0_4arch9wavefront6targetE0EEEvT1_: ; @_ZN7rocprim17ROCPRIM_400000_NS6detail17trampoline_kernelINS0_14default_configENS1_25partition_config_selectorILNS1_17partition_subalgoE6EyNS0_10empty_typeEbEEZZNS1_14partition_implILS5_6ELb0ES3_mN6thrust23THRUST_200600_302600_NS6detail15normal_iteratorINSA_10device_ptrIyEEEEPS6_SG_NS0_5tupleIJSF_S6_EEENSH_IJSG_SG_EEES6_PlJNSB_9not_fun_tI7is_trueIyEEEEEE10hipError_tPvRmT3_T4_T5_T6_T7_T9_mT8_P12ihipStream_tbDpT10_ENKUlT_T0_E_clISt17integral_constantIbLb1EES18_EEDaS13_S14_EUlS13_E_NS1_11comp_targetILNS1_3genE0ELNS1_11target_archE4294967295ELNS1_3gpuE0ELNS1_3repE0EEENS1_30default_config_static_selectorELNS0_4arch9wavefront6targetE0EEEvT1_
; %bb.0:
	.section	.rodata,"a",@progbits
	.p2align	6, 0x0
	.amdhsa_kernel _ZN7rocprim17ROCPRIM_400000_NS6detail17trampoline_kernelINS0_14default_configENS1_25partition_config_selectorILNS1_17partition_subalgoE6EyNS0_10empty_typeEbEEZZNS1_14partition_implILS5_6ELb0ES3_mN6thrust23THRUST_200600_302600_NS6detail15normal_iteratorINSA_10device_ptrIyEEEEPS6_SG_NS0_5tupleIJSF_S6_EEENSH_IJSG_SG_EEES6_PlJNSB_9not_fun_tI7is_trueIyEEEEEE10hipError_tPvRmT3_T4_T5_T6_T7_T9_mT8_P12ihipStream_tbDpT10_ENKUlT_T0_E_clISt17integral_constantIbLb1EES18_EEDaS13_S14_EUlS13_E_NS1_11comp_targetILNS1_3genE0ELNS1_11target_archE4294967295ELNS1_3gpuE0ELNS1_3repE0EEENS1_30default_config_static_selectorELNS0_4arch9wavefront6targetE0EEEvT1_
		.amdhsa_group_segment_fixed_size 0
		.amdhsa_private_segment_fixed_size 0
		.amdhsa_kernarg_size 128
		.amdhsa_user_sgpr_count 2
		.amdhsa_user_sgpr_dispatch_ptr 0
		.amdhsa_user_sgpr_queue_ptr 0
		.amdhsa_user_sgpr_kernarg_segment_ptr 1
		.amdhsa_user_sgpr_dispatch_id 0
		.amdhsa_user_sgpr_private_segment_size 0
		.amdhsa_wavefront_size32 1
		.amdhsa_uses_dynamic_stack 0
		.amdhsa_enable_private_segment 0
		.amdhsa_system_sgpr_workgroup_id_x 1
		.amdhsa_system_sgpr_workgroup_id_y 0
		.amdhsa_system_sgpr_workgroup_id_z 0
		.amdhsa_system_sgpr_workgroup_info 0
		.amdhsa_system_vgpr_workitem_id 0
		.amdhsa_next_free_vgpr 1
		.amdhsa_next_free_sgpr 1
		.amdhsa_reserve_vcc 0
		.amdhsa_float_round_mode_32 0
		.amdhsa_float_round_mode_16_64 0
		.amdhsa_float_denorm_mode_32 3
		.amdhsa_float_denorm_mode_16_64 3
		.amdhsa_fp16_overflow 0
		.amdhsa_workgroup_processor_mode 1
		.amdhsa_memory_ordered 1
		.amdhsa_forward_progress 1
		.amdhsa_inst_pref_size 0
		.amdhsa_round_robin_scheduling 0
		.amdhsa_exception_fp_ieee_invalid_op 0
		.amdhsa_exception_fp_denorm_src 0
		.amdhsa_exception_fp_ieee_div_zero 0
		.amdhsa_exception_fp_ieee_overflow 0
		.amdhsa_exception_fp_ieee_underflow 0
		.amdhsa_exception_fp_ieee_inexact 0
		.amdhsa_exception_int_div_zero 0
	.end_amdhsa_kernel
	.section	.text._ZN7rocprim17ROCPRIM_400000_NS6detail17trampoline_kernelINS0_14default_configENS1_25partition_config_selectorILNS1_17partition_subalgoE6EyNS0_10empty_typeEbEEZZNS1_14partition_implILS5_6ELb0ES3_mN6thrust23THRUST_200600_302600_NS6detail15normal_iteratorINSA_10device_ptrIyEEEEPS6_SG_NS0_5tupleIJSF_S6_EEENSH_IJSG_SG_EEES6_PlJNSB_9not_fun_tI7is_trueIyEEEEEE10hipError_tPvRmT3_T4_T5_T6_T7_T9_mT8_P12ihipStream_tbDpT10_ENKUlT_T0_E_clISt17integral_constantIbLb1EES18_EEDaS13_S14_EUlS13_E_NS1_11comp_targetILNS1_3genE0ELNS1_11target_archE4294967295ELNS1_3gpuE0ELNS1_3repE0EEENS1_30default_config_static_selectorELNS0_4arch9wavefront6targetE0EEEvT1_,"axG",@progbits,_ZN7rocprim17ROCPRIM_400000_NS6detail17trampoline_kernelINS0_14default_configENS1_25partition_config_selectorILNS1_17partition_subalgoE6EyNS0_10empty_typeEbEEZZNS1_14partition_implILS5_6ELb0ES3_mN6thrust23THRUST_200600_302600_NS6detail15normal_iteratorINSA_10device_ptrIyEEEEPS6_SG_NS0_5tupleIJSF_S6_EEENSH_IJSG_SG_EEES6_PlJNSB_9not_fun_tI7is_trueIyEEEEEE10hipError_tPvRmT3_T4_T5_T6_T7_T9_mT8_P12ihipStream_tbDpT10_ENKUlT_T0_E_clISt17integral_constantIbLb1EES18_EEDaS13_S14_EUlS13_E_NS1_11comp_targetILNS1_3genE0ELNS1_11target_archE4294967295ELNS1_3gpuE0ELNS1_3repE0EEENS1_30default_config_static_selectorELNS0_4arch9wavefront6targetE0EEEvT1_,comdat
.Lfunc_end1117:
	.size	_ZN7rocprim17ROCPRIM_400000_NS6detail17trampoline_kernelINS0_14default_configENS1_25partition_config_selectorILNS1_17partition_subalgoE6EyNS0_10empty_typeEbEEZZNS1_14partition_implILS5_6ELb0ES3_mN6thrust23THRUST_200600_302600_NS6detail15normal_iteratorINSA_10device_ptrIyEEEEPS6_SG_NS0_5tupleIJSF_S6_EEENSH_IJSG_SG_EEES6_PlJNSB_9not_fun_tI7is_trueIyEEEEEE10hipError_tPvRmT3_T4_T5_T6_T7_T9_mT8_P12ihipStream_tbDpT10_ENKUlT_T0_E_clISt17integral_constantIbLb1EES18_EEDaS13_S14_EUlS13_E_NS1_11comp_targetILNS1_3genE0ELNS1_11target_archE4294967295ELNS1_3gpuE0ELNS1_3repE0EEENS1_30default_config_static_selectorELNS0_4arch9wavefront6targetE0EEEvT1_, .Lfunc_end1117-_ZN7rocprim17ROCPRIM_400000_NS6detail17trampoline_kernelINS0_14default_configENS1_25partition_config_selectorILNS1_17partition_subalgoE6EyNS0_10empty_typeEbEEZZNS1_14partition_implILS5_6ELb0ES3_mN6thrust23THRUST_200600_302600_NS6detail15normal_iteratorINSA_10device_ptrIyEEEEPS6_SG_NS0_5tupleIJSF_S6_EEENSH_IJSG_SG_EEES6_PlJNSB_9not_fun_tI7is_trueIyEEEEEE10hipError_tPvRmT3_T4_T5_T6_T7_T9_mT8_P12ihipStream_tbDpT10_ENKUlT_T0_E_clISt17integral_constantIbLb1EES18_EEDaS13_S14_EUlS13_E_NS1_11comp_targetILNS1_3genE0ELNS1_11target_archE4294967295ELNS1_3gpuE0ELNS1_3repE0EEENS1_30default_config_static_selectorELNS0_4arch9wavefront6targetE0EEEvT1_
                                        ; -- End function
	.set _ZN7rocprim17ROCPRIM_400000_NS6detail17trampoline_kernelINS0_14default_configENS1_25partition_config_selectorILNS1_17partition_subalgoE6EyNS0_10empty_typeEbEEZZNS1_14partition_implILS5_6ELb0ES3_mN6thrust23THRUST_200600_302600_NS6detail15normal_iteratorINSA_10device_ptrIyEEEEPS6_SG_NS0_5tupleIJSF_S6_EEENSH_IJSG_SG_EEES6_PlJNSB_9not_fun_tI7is_trueIyEEEEEE10hipError_tPvRmT3_T4_T5_T6_T7_T9_mT8_P12ihipStream_tbDpT10_ENKUlT_T0_E_clISt17integral_constantIbLb1EES18_EEDaS13_S14_EUlS13_E_NS1_11comp_targetILNS1_3genE0ELNS1_11target_archE4294967295ELNS1_3gpuE0ELNS1_3repE0EEENS1_30default_config_static_selectorELNS0_4arch9wavefront6targetE0EEEvT1_.num_vgpr, 0
	.set _ZN7rocprim17ROCPRIM_400000_NS6detail17trampoline_kernelINS0_14default_configENS1_25partition_config_selectorILNS1_17partition_subalgoE6EyNS0_10empty_typeEbEEZZNS1_14partition_implILS5_6ELb0ES3_mN6thrust23THRUST_200600_302600_NS6detail15normal_iteratorINSA_10device_ptrIyEEEEPS6_SG_NS0_5tupleIJSF_S6_EEENSH_IJSG_SG_EEES6_PlJNSB_9not_fun_tI7is_trueIyEEEEEE10hipError_tPvRmT3_T4_T5_T6_T7_T9_mT8_P12ihipStream_tbDpT10_ENKUlT_T0_E_clISt17integral_constantIbLb1EES18_EEDaS13_S14_EUlS13_E_NS1_11comp_targetILNS1_3genE0ELNS1_11target_archE4294967295ELNS1_3gpuE0ELNS1_3repE0EEENS1_30default_config_static_selectorELNS0_4arch9wavefront6targetE0EEEvT1_.num_agpr, 0
	.set _ZN7rocprim17ROCPRIM_400000_NS6detail17trampoline_kernelINS0_14default_configENS1_25partition_config_selectorILNS1_17partition_subalgoE6EyNS0_10empty_typeEbEEZZNS1_14partition_implILS5_6ELb0ES3_mN6thrust23THRUST_200600_302600_NS6detail15normal_iteratorINSA_10device_ptrIyEEEEPS6_SG_NS0_5tupleIJSF_S6_EEENSH_IJSG_SG_EEES6_PlJNSB_9not_fun_tI7is_trueIyEEEEEE10hipError_tPvRmT3_T4_T5_T6_T7_T9_mT8_P12ihipStream_tbDpT10_ENKUlT_T0_E_clISt17integral_constantIbLb1EES18_EEDaS13_S14_EUlS13_E_NS1_11comp_targetILNS1_3genE0ELNS1_11target_archE4294967295ELNS1_3gpuE0ELNS1_3repE0EEENS1_30default_config_static_selectorELNS0_4arch9wavefront6targetE0EEEvT1_.numbered_sgpr, 0
	.set _ZN7rocprim17ROCPRIM_400000_NS6detail17trampoline_kernelINS0_14default_configENS1_25partition_config_selectorILNS1_17partition_subalgoE6EyNS0_10empty_typeEbEEZZNS1_14partition_implILS5_6ELb0ES3_mN6thrust23THRUST_200600_302600_NS6detail15normal_iteratorINSA_10device_ptrIyEEEEPS6_SG_NS0_5tupleIJSF_S6_EEENSH_IJSG_SG_EEES6_PlJNSB_9not_fun_tI7is_trueIyEEEEEE10hipError_tPvRmT3_T4_T5_T6_T7_T9_mT8_P12ihipStream_tbDpT10_ENKUlT_T0_E_clISt17integral_constantIbLb1EES18_EEDaS13_S14_EUlS13_E_NS1_11comp_targetILNS1_3genE0ELNS1_11target_archE4294967295ELNS1_3gpuE0ELNS1_3repE0EEENS1_30default_config_static_selectorELNS0_4arch9wavefront6targetE0EEEvT1_.num_named_barrier, 0
	.set _ZN7rocprim17ROCPRIM_400000_NS6detail17trampoline_kernelINS0_14default_configENS1_25partition_config_selectorILNS1_17partition_subalgoE6EyNS0_10empty_typeEbEEZZNS1_14partition_implILS5_6ELb0ES3_mN6thrust23THRUST_200600_302600_NS6detail15normal_iteratorINSA_10device_ptrIyEEEEPS6_SG_NS0_5tupleIJSF_S6_EEENSH_IJSG_SG_EEES6_PlJNSB_9not_fun_tI7is_trueIyEEEEEE10hipError_tPvRmT3_T4_T5_T6_T7_T9_mT8_P12ihipStream_tbDpT10_ENKUlT_T0_E_clISt17integral_constantIbLb1EES18_EEDaS13_S14_EUlS13_E_NS1_11comp_targetILNS1_3genE0ELNS1_11target_archE4294967295ELNS1_3gpuE0ELNS1_3repE0EEENS1_30default_config_static_selectorELNS0_4arch9wavefront6targetE0EEEvT1_.private_seg_size, 0
	.set _ZN7rocprim17ROCPRIM_400000_NS6detail17trampoline_kernelINS0_14default_configENS1_25partition_config_selectorILNS1_17partition_subalgoE6EyNS0_10empty_typeEbEEZZNS1_14partition_implILS5_6ELb0ES3_mN6thrust23THRUST_200600_302600_NS6detail15normal_iteratorINSA_10device_ptrIyEEEEPS6_SG_NS0_5tupleIJSF_S6_EEENSH_IJSG_SG_EEES6_PlJNSB_9not_fun_tI7is_trueIyEEEEEE10hipError_tPvRmT3_T4_T5_T6_T7_T9_mT8_P12ihipStream_tbDpT10_ENKUlT_T0_E_clISt17integral_constantIbLb1EES18_EEDaS13_S14_EUlS13_E_NS1_11comp_targetILNS1_3genE0ELNS1_11target_archE4294967295ELNS1_3gpuE0ELNS1_3repE0EEENS1_30default_config_static_selectorELNS0_4arch9wavefront6targetE0EEEvT1_.uses_vcc, 0
	.set _ZN7rocprim17ROCPRIM_400000_NS6detail17trampoline_kernelINS0_14default_configENS1_25partition_config_selectorILNS1_17partition_subalgoE6EyNS0_10empty_typeEbEEZZNS1_14partition_implILS5_6ELb0ES3_mN6thrust23THRUST_200600_302600_NS6detail15normal_iteratorINSA_10device_ptrIyEEEEPS6_SG_NS0_5tupleIJSF_S6_EEENSH_IJSG_SG_EEES6_PlJNSB_9not_fun_tI7is_trueIyEEEEEE10hipError_tPvRmT3_T4_T5_T6_T7_T9_mT8_P12ihipStream_tbDpT10_ENKUlT_T0_E_clISt17integral_constantIbLb1EES18_EEDaS13_S14_EUlS13_E_NS1_11comp_targetILNS1_3genE0ELNS1_11target_archE4294967295ELNS1_3gpuE0ELNS1_3repE0EEENS1_30default_config_static_selectorELNS0_4arch9wavefront6targetE0EEEvT1_.uses_flat_scratch, 0
	.set _ZN7rocprim17ROCPRIM_400000_NS6detail17trampoline_kernelINS0_14default_configENS1_25partition_config_selectorILNS1_17partition_subalgoE6EyNS0_10empty_typeEbEEZZNS1_14partition_implILS5_6ELb0ES3_mN6thrust23THRUST_200600_302600_NS6detail15normal_iteratorINSA_10device_ptrIyEEEEPS6_SG_NS0_5tupleIJSF_S6_EEENSH_IJSG_SG_EEES6_PlJNSB_9not_fun_tI7is_trueIyEEEEEE10hipError_tPvRmT3_T4_T5_T6_T7_T9_mT8_P12ihipStream_tbDpT10_ENKUlT_T0_E_clISt17integral_constantIbLb1EES18_EEDaS13_S14_EUlS13_E_NS1_11comp_targetILNS1_3genE0ELNS1_11target_archE4294967295ELNS1_3gpuE0ELNS1_3repE0EEENS1_30default_config_static_selectorELNS0_4arch9wavefront6targetE0EEEvT1_.has_dyn_sized_stack, 0
	.set _ZN7rocprim17ROCPRIM_400000_NS6detail17trampoline_kernelINS0_14default_configENS1_25partition_config_selectorILNS1_17partition_subalgoE6EyNS0_10empty_typeEbEEZZNS1_14partition_implILS5_6ELb0ES3_mN6thrust23THRUST_200600_302600_NS6detail15normal_iteratorINSA_10device_ptrIyEEEEPS6_SG_NS0_5tupleIJSF_S6_EEENSH_IJSG_SG_EEES6_PlJNSB_9not_fun_tI7is_trueIyEEEEEE10hipError_tPvRmT3_T4_T5_T6_T7_T9_mT8_P12ihipStream_tbDpT10_ENKUlT_T0_E_clISt17integral_constantIbLb1EES18_EEDaS13_S14_EUlS13_E_NS1_11comp_targetILNS1_3genE0ELNS1_11target_archE4294967295ELNS1_3gpuE0ELNS1_3repE0EEENS1_30default_config_static_selectorELNS0_4arch9wavefront6targetE0EEEvT1_.has_recursion, 0
	.set _ZN7rocprim17ROCPRIM_400000_NS6detail17trampoline_kernelINS0_14default_configENS1_25partition_config_selectorILNS1_17partition_subalgoE6EyNS0_10empty_typeEbEEZZNS1_14partition_implILS5_6ELb0ES3_mN6thrust23THRUST_200600_302600_NS6detail15normal_iteratorINSA_10device_ptrIyEEEEPS6_SG_NS0_5tupleIJSF_S6_EEENSH_IJSG_SG_EEES6_PlJNSB_9not_fun_tI7is_trueIyEEEEEE10hipError_tPvRmT3_T4_T5_T6_T7_T9_mT8_P12ihipStream_tbDpT10_ENKUlT_T0_E_clISt17integral_constantIbLb1EES18_EEDaS13_S14_EUlS13_E_NS1_11comp_targetILNS1_3genE0ELNS1_11target_archE4294967295ELNS1_3gpuE0ELNS1_3repE0EEENS1_30default_config_static_selectorELNS0_4arch9wavefront6targetE0EEEvT1_.has_indirect_call, 0
	.section	.AMDGPU.csdata,"",@progbits
; Kernel info:
; codeLenInByte = 0
; TotalNumSgprs: 0
; NumVgprs: 0
; ScratchSize: 0
; MemoryBound: 0
; FloatMode: 240
; IeeeMode: 1
; LDSByteSize: 0 bytes/workgroup (compile time only)
; SGPRBlocks: 0
; VGPRBlocks: 0
; NumSGPRsForWavesPerEU: 1
; NumVGPRsForWavesPerEU: 1
; Occupancy: 16
; WaveLimiterHint : 0
; COMPUTE_PGM_RSRC2:SCRATCH_EN: 0
; COMPUTE_PGM_RSRC2:USER_SGPR: 2
; COMPUTE_PGM_RSRC2:TRAP_HANDLER: 0
; COMPUTE_PGM_RSRC2:TGID_X_EN: 1
; COMPUTE_PGM_RSRC2:TGID_Y_EN: 0
; COMPUTE_PGM_RSRC2:TGID_Z_EN: 0
; COMPUTE_PGM_RSRC2:TIDIG_COMP_CNT: 0
	.section	.text._ZN7rocprim17ROCPRIM_400000_NS6detail17trampoline_kernelINS0_14default_configENS1_25partition_config_selectorILNS1_17partition_subalgoE6EyNS0_10empty_typeEbEEZZNS1_14partition_implILS5_6ELb0ES3_mN6thrust23THRUST_200600_302600_NS6detail15normal_iteratorINSA_10device_ptrIyEEEEPS6_SG_NS0_5tupleIJSF_S6_EEENSH_IJSG_SG_EEES6_PlJNSB_9not_fun_tI7is_trueIyEEEEEE10hipError_tPvRmT3_T4_T5_T6_T7_T9_mT8_P12ihipStream_tbDpT10_ENKUlT_T0_E_clISt17integral_constantIbLb1EES18_EEDaS13_S14_EUlS13_E_NS1_11comp_targetILNS1_3genE5ELNS1_11target_archE942ELNS1_3gpuE9ELNS1_3repE0EEENS1_30default_config_static_selectorELNS0_4arch9wavefront6targetE0EEEvT1_,"axG",@progbits,_ZN7rocprim17ROCPRIM_400000_NS6detail17trampoline_kernelINS0_14default_configENS1_25partition_config_selectorILNS1_17partition_subalgoE6EyNS0_10empty_typeEbEEZZNS1_14partition_implILS5_6ELb0ES3_mN6thrust23THRUST_200600_302600_NS6detail15normal_iteratorINSA_10device_ptrIyEEEEPS6_SG_NS0_5tupleIJSF_S6_EEENSH_IJSG_SG_EEES6_PlJNSB_9not_fun_tI7is_trueIyEEEEEE10hipError_tPvRmT3_T4_T5_T6_T7_T9_mT8_P12ihipStream_tbDpT10_ENKUlT_T0_E_clISt17integral_constantIbLb1EES18_EEDaS13_S14_EUlS13_E_NS1_11comp_targetILNS1_3genE5ELNS1_11target_archE942ELNS1_3gpuE9ELNS1_3repE0EEENS1_30default_config_static_selectorELNS0_4arch9wavefront6targetE0EEEvT1_,comdat
	.protected	_ZN7rocprim17ROCPRIM_400000_NS6detail17trampoline_kernelINS0_14default_configENS1_25partition_config_selectorILNS1_17partition_subalgoE6EyNS0_10empty_typeEbEEZZNS1_14partition_implILS5_6ELb0ES3_mN6thrust23THRUST_200600_302600_NS6detail15normal_iteratorINSA_10device_ptrIyEEEEPS6_SG_NS0_5tupleIJSF_S6_EEENSH_IJSG_SG_EEES6_PlJNSB_9not_fun_tI7is_trueIyEEEEEE10hipError_tPvRmT3_T4_T5_T6_T7_T9_mT8_P12ihipStream_tbDpT10_ENKUlT_T0_E_clISt17integral_constantIbLb1EES18_EEDaS13_S14_EUlS13_E_NS1_11comp_targetILNS1_3genE5ELNS1_11target_archE942ELNS1_3gpuE9ELNS1_3repE0EEENS1_30default_config_static_selectorELNS0_4arch9wavefront6targetE0EEEvT1_ ; -- Begin function _ZN7rocprim17ROCPRIM_400000_NS6detail17trampoline_kernelINS0_14default_configENS1_25partition_config_selectorILNS1_17partition_subalgoE6EyNS0_10empty_typeEbEEZZNS1_14partition_implILS5_6ELb0ES3_mN6thrust23THRUST_200600_302600_NS6detail15normal_iteratorINSA_10device_ptrIyEEEEPS6_SG_NS0_5tupleIJSF_S6_EEENSH_IJSG_SG_EEES6_PlJNSB_9not_fun_tI7is_trueIyEEEEEE10hipError_tPvRmT3_T4_T5_T6_T7_T9_mT8_P12ihipStream_tbDpT10_ENKUlT_T0_E_clISt17integral_constantIbLb1EES18_EEDaS13_S14_EUlS13_E_NS1_11comp_targetILNS1_3genE5ELNS1_11target_archE942ELNS1_3gpuE9ELNS1_3repE0EEENS1_30default_config_static_selectorELNS0_4arch9wavefront6targetE0EEEvT1_
	.globl	_ZN7rocprim17ROCPRIM_400000_NS6detail17trampoline_kernelINS0_14default_configENS1_25partition_config_selectorILNS1_17partition_subalgoE6EyNS0_10empty_typeEbEEZZNS1_14partition_implILS5_6ELb0ES3_mN6thrust23THRUST_200600_302600_NS6detail15normal_iteratorINSA_10device_ptrIyEEEEPS6_SG_NS0_5tupleIJSF_S6_EEENSH_IJSG_SG_EEES6_PlJNSB_9not_fun_tI7is_trueIyEEEEEE10hipError_tPvRmT3_T4_T5_T6_T7_T9_mT8_P12ihipStream_tbDpT10_ENKUlT_T0_E_clISt17integral_constantIbLb1EES18_EEDaS13_S14_EUlS13_E_NS1_11comp_targetILNS1_3genE5ELNS1_11target_archE942ELNS1_3gpuE9ELNS1_3repE0EEENS1_30default_config_static_selectorELNS0_4arch9wavefront6targetE0EEEvT1_
	.p2align	8
	.type	_ZN7rocprim17ROCPRIM_400000_NS6detail17trampoline_kernelINS0_14default_configENS1_25partition_config_selectorILNS1_17partition_subalgoE6EyNS0_10empty_typeEbEEZZNS1_14partition_implILS5_6ELb0ES3_mN6thrust23THRUST_200600_302600_NS6detail15normal_iteratorINSA_10device_ptrIyEEEEPS6_SG_NS0_5tupleIJSF_S6_EEENSH_IJSG_SG_EEES6_PlJNSB_9not_fun_tI7is_trueIyEEEEEE10hipError_tPvRmT3_T4_T5_T6_T7_T9_mT8_P12ihipStream_tbDpT10_ENKUlT_T0_E_clISt17integral_constantIbLb1EES18_EEDaS13_S14_EUlS13_E_NS1_11comp_targetILNS1_3genE5ELNS1_11target_archE942ELNS1_3gpuE9ELNS1_3repE0EEENS1_30default_config_static_selectorELNS0_4arch9wavefront6targetE0EEEvT1_,@function
_ZN7rocprim17ROCPRIM_400000_NS6detail17trampoline_kernelINS0_14default_configENS1_25partition_config_selectorILNS1_17partition_subalgoE6EyNS0_10empty_typeEbEEZZNS1_14partition_implILS5_6ELb0ES3_mN6thrust23THRUST_200600_302600_NS6detail15normal_iteratorINSA_10device_ptrIyEEEEPS6_SG_NS0_5tupleIJSF_S6_EEENSH_IJSG_SG_EEES6_PlJNSB_9not_fun_tI7is_trueIyEEEEEE10hipError_tPvRmT3_T4_T5_T6_T7_T9_mT8_P12ihipStream_tbDpT10_ENKUlT_T0_E_clISt17integral_constantIbLb1EES18_EEDaS13_S14_EUlS13_E_NS1_11comp_targetILNS1_3genE5ELNS1_11target_archE942ELNS1_3gpuE9ELNS1_3repE0EEENS1_30default_config_static_selectorELNS0_4arch9wavefront6targetE0EEEvT1_: ; @_ZN7rocprim17ROCPRIM_400000_NS6detail17trampoline_kernelINS0_14default_configENS1_25partition_config_selectorILNS1_17partition_subalgoE6EyNS0_10empty_typeEbEEZZNS1_14partition_implILS5_6ELb0ES3_mN6thrust23THRUST_200600_302600_NS6detail15normal_iteratorINSA_10device_ptrIyEEEEPS6_SG_NS0_5tupleIJSF_S6_EEENSH_IJSG_SG_EEES6_PlJNSB_9not_fun_tI7is_trueIyEEEEEE10hipError_tPvRmT3_T4_T5_T6_T7_T9_mT8_P12ihipStream_tbDpT10_ENKUlT_T0_E_clISt17integral_constantIbLb1EES18_EEDaS13_S14_EUlS13_E_NS1_11comp_targetILNS1_3genE5ELNS1_11target_archE942ELNS1_3gpuE9ELNS1_3repE0EEENS1_30default_config_static_selectorELNS0_4arch9wavefront6targetE0EEEvT1_
; %bb.0:
	.section	.rodata,"a",@progbits
	.p2align	6, 0x0
	.amdhsa_kernel _ZN7rocprim17ROCPRIM_400000_NS6detail17trampoline_kernelINS0_14default_configENS1_25partition_config_selectorILNS1_17partition_subalgoE6EyNS0_10empty_typeEbEEZZNS1_14partition_implILS5_6ELb0ES3_mN6thrust23THRUST_200600_302600_NS6detail15normal_iteratorINSA_10device_ptrIyEEEEPS6_SG_NS0_5tupleIJSF_S6_EEENSH_IJSG_SG_EEES6_PlJNSB_9not_fun_tI7is_trueIyEEEEEE10hipError_tPvRmT3_T4_T5_T6_T7_T9_mT8_P12ihipStream_tbDpT10_ENKUlT_T0_E_clISt17integral_constantIbLb1EES18_EEDaS13_S14_EUlS13_E_NS1_11comp_targetILNS1_3genE5ELNS1_11target_archE942ELNS1_3gpuE9ELNS1_3repE0EEENS1_30default_config_static_selectorELNS0_4arch9wavefront6targetE0EEEvT1_
		.amdhsa_group_segment_fixed_size 0
		.amdhsa_private_segment_fixed_size 0
		.amdhsa_kernarg_size 128
		.amdhsa_user_sgpr_count 2
		.amdhsa_user_sgpr_dispatch_ptr 0
		.amdhsa_user_sgpr_queue_ptr 0
		.amdhsa_user_sgpr_kernarg_segment_ptr 1
		.amdhsa_user_sgpr_dispatch_id 0
		.amdhsa_user_sgpr_private_segment_size 0
		.amdhsa_wavefront_size32 1
		.amdhsa_uses_dynamic_stack 0
		.amdhsa_enable_private_segment 0
		.amdhsa_system_sgpr_workgroup_id_x 1
		.amdhsa_system_sgpr_workgroup_id_y 0
		.amdhsa_system_sgpr_workgroup_id_z 0
		.amdhsa_system_sgpr_workgroup_info 0
		.amdhsa_system_vgpr_workitem_id 0
		.amdhsa_next_free_vgpr 1
		.amdhsa_next_free_sgpr 1
		.amdhsa_reserve_vcc 0
		.amdhsa_float_round_mode_32 0
		.amdhsa_float_round_mode_16_64 0
		.amdhsa_float_denorm_mode_32 3
		.amdhsa_float_denorm_mode_16_64 3
		.amdhsa_fp16_overflow 0
		.amdhsa_workgroup_processor_mode 1
		.amdhsa_memory_ordered 1
		.amdhsa_forward_progress 1
		.amdhsa_inst_pref_size 0
		.amdhsa_round_robin_scheduling 0
		.amdhsa_exception_fp_ieee_invalid_op 0
		.amdhsa_exception_fp_denorm_src 0
		.amdhsa_exception_fp_ieee_div_zero 0
		.amdhsa_exception_fp_ieee_overflow 0
		.amdhsa_exception_fp_ieee_underflow 0
		.amdhsa_exception_fp_ieee_inexact 0
		.amdhsa_exception_int_div_zero 0
	.end_amdhsa_kernel
	.section	.text._ZN7rocprim17ROCPRIM_400000_NS6detail17trampoline_kernelINS0_14default_configENS1_25partition_config_selectorILNS1_17partition_subalgoE6EyNS0_10empty_typeEbEEZZNS1_14partition_implILS5_6ELb0ES3_mN6thrust23THRUST_200600_302600_NS6detail15normal_iteratorINSA_10device_ptrIyEEEEPS6_SG_NS0_5tupleIJSF_S6_EEENSH_IJSG_SG_EEES6_PlJNSB_9not_fun_tI7is_trueIyEEEEEE10hipError_tPvRmT3_T4_T5_T6_T7_T9_mT8_P12ihipStream_tbDpT10_ENKUlT_T0_E_clISt17integral_constantIbLb1EES18_EEDaS13_S14_EUlS13_E_NS1_11comp_targetILNS1_3genE5ELNS1_11target_archE942ELNS1_3gpuE9ELNS1_3repE0EEENS1_30default_config_static_selectorELNS0_4arch9wavefront6targetE0EEEvT1_,"axG",@progbits,_ZN7rocprim17ROCPRIM_400000_NS6detail17trampoline_kernelINS0_14default_configENS1_25partition_config_selectorILNS1_17partition_subalgoE6EyNS0_10empty_typeEbEEZZNS1_14partition_implILS5_6ELb0ES3_mN6thrust23THRUST_200600_302600_NS6detail15normal_iteratorINSA_10device_ptrIyEEEEPS6_SG_NS0_5tupleIJSF_S6_EEENSH_IJSG_SG_EEES6_PlJNSB_9not_fun_tI7is_trueIyEEEEEE10hipError_tPvRmT3_T4_T5_T6_T7_T9_mT8_P12ihipStream_tbDpT10_ENKUlT_T0_E_clISt17integral_constantIbLb1EES18_EEDaS13_S14_EUlS13_E_NS1_11comp_targetILNS1_3genE5ELNS1_11target_archE942ELNS1_3gpuE9ELNS1_3repE0EEENS1_30default_config_static_selectorELNS0_4arch9wavefront6targetE0EEEvT1_,comdat
.Lfunc_end1118:
	.size	_ZN7rocprim17ROCPRIM_400000_NS6detail17trampoline_kernelINS0_14default_configENS1_25partition_config_selectorILNS1_17partition_subalgoE6EyNS0_10empty_typeEbEEZZNS1_14partition_implILS5_6ELb0ES3_mN6thrust23THRUST_200600_302600_NS6detail15normal_iteratorINSA_10device_ptrIyEEEEPS6_SG_NS0_5tupleIJSF_S6_EEENSH_IJSG_SG_EEES6_PlJNSB_9not_fun_tI7is_trueIyEEEEEE10hipError_tPvRmT3_T4_T5_T6_T7_T9_mT8_P12ihipStream_tbDpT10_ENKUlT_T0_E_clISt17integral_constantIbLb1EES18_EEDaS13_S14_EUlS13_E_NS1_11comp_targetILNS1_3genE5ELNS1_11target_archE942ELNS1_3gpuE9ELNS1_3repE0EEENS1_30default_config_static_selectorELNS0_4arch9wavefront6targetE0EEEvT1_, .Lfunc_end1118-_ZN7rocprim17ROCPRIM_400000_NS6detail17trampoline_kernelINS0_14default_configENS1_25partition_config_selectorILNS1_17partition_subalgoE6EyNS0_10empty_typeEbEEZZNS1_14partition_implILS5_6ELb0ES3_mN6thrust23THRUST_200600_302600_NS6detail15normal_iteratorINSA_10device_ptrIyEEEEPS6_SG_NS0_5tupleIJSF_S6_EEENSH_IJSG_SG_EEES6_PlJNSB_9not_fun_tI7is_trueIyEEEEEE10hipError_tPvRmT3_T4_T5_T6_T7_T9_mT8_P12ihipStream_tbDpT10_ENKUlT_T0_E_clISt17integral_constantIbLb1EES18_EEDaS13_S14_EUlS13_E_NS1_11comp_targetILNS1_3genE5ELNS1_11target_archE942ELNS1_3gpuE9ELNS1_3repE0EEENS1_30default_config_static_selectorELNS0_4arch9wavefront6targetE0EEEvT1_
                                        ; -- End function
	.set _ZN7rocprim17ROCPRIM_400000_NS6detail17trampoline_kernelINS0_14default_configENS1_25partition_config_selectorILNS1_17partition_subalgoE6EyNS0_10empty_typeEbEEZZNS1_14partition_implILS5_6ELb0ES3_mN6thrust23THRUST_200600_302600_NS6detail15normal_iteratorINSA_10device_ptrIyEEEEPS6_SG_NS0_5tupleIJSF_S6_EEENSH_IJSG_SG_EEES6_PlJNSB_9not_fun_tI7is_trueIyEEEEEE10hipError_tPvRmT3_T4_T5_T6_T7_T9_mT8_P12ihipStream_tbDpT10_ENKUlT_T0_E_clISt17integral_constantIbLb1EES18_EEDaS13_S14_EUlS13_E_NS1_11comp_targetILNS1_3genE5ELNS1_11target_archE942ELNS1_3gpuE9ELNS1_3repE0EEENS1_30default_config_static_selectorELNS0_4arch9wavefront6targetE0EEEvT1_.num_vgpr, 0
	.set _ZN7rocprim17ROCPRIM_400000_NS6detail17trampoline_kernelINS0_14default_configENS1_25partition_config_selectorILNS1_17partition_subalgoE6EyNS0_10empty_typeEbEEZZNS1_14partition_implILS5_6ELb0ES3_mN6thrust23THRUST_200600_302600_NS6detail15normal_iteratorINSA_10device_ptrIyEEEEPS6_SG_NS0_5tupleIJSF_S6_EEENSH_IJSG_SG_EEES6_PlJNSB_9not_fun_tI7is_trueIyEEEEEE10hipError_tPvRmT3_T4_T5_T6_T7_T9_mT8_P12ihipStream_tbDpT10_ENKUlT_T0_E_clISt17integral_constantIbLb1EES18_EEDaS13_S14_EUlS13_E_NS1_11comp_targetILNS1_3genE5ELNS1_11target_archE942ELNS1_3gpuE9ELNS1_3repE0EEENS1_30default_config_static_selectorELNS0_4arch9wavefront6targetE0EEEvT1_.num_agpr, 0
	.set _ZN7rocprim17ROCPRIM_400000_NS6detail17trampoline_kernelINS0_14default_configENS1_25partition_config_selectorILNS1_17partition_subalgoE6EyNS0_10empty_typeEbEEZZNS1_14partition_implILS5_6ELb0ES3_mN6thrust23THRUST_200600_302600_NS6detail15normal_iteratorINSA_10device_ptrIyEEEEPS6_SG_NS0_5tupleIJSF_S6_EEENSH_IJSG_SG_EEES6_PlJNSB_9not_fun_tI7is_trueIyEEEEEE10hipError_tPvRmT3_T4_T5_T6_T7_T9_mT8_P12ihipStream_tbDpT10_ENKUlT_T0_E_clISt17integral_constantIbLb1EES18_EEDaS13_S14_EUlS13_E_NS1_11comp_targetILNS1_3genE5ELNS1_11target_archE942ELNS1_3gpuE9ELNS1_3repE0EEENS1_30default_config_static_selectorELNS0_4arch9wavefront6targetE0EEEvT1_.numbered_sgpr, 0
	.set _ZN7rocprim17ROCPRIM_400000_NS6detail17trampoline_kernelINS0_14default_configENS1_25partition_config_selectorILNS1_17partition_subalgoE6EyNS0_10empty_typeEbEEZZNS1_14partition_implILS5_6ELb0ES3_mN6thrust23THRUST_200600_302600_NS6detail15normal_iteratorINSA_10device_ptrIyEEEEPS6_SG_NS0_5tupleIJSF_S6_EEENSH_IJSG_SG_EEES6_PlJNSB_9not_fun_tI7is_trueIyEEEEEE10hipError_tPvRmT3_T4_T5_T6_T7_T9_mT8_P12ihipStream_tbDpT10_ENKUlT_T0_E_clISt17integral_constantIbLb1EES18_EEDaS13_S14_EUlS13_E_NS1_11comp_targetILNS1_3genE5ELNS1_11target_archE942ELNS1_3gpuE9ELNS1_3repE0EEENS1_30default_config_static_selectorELNS0_4arch9wavefront6targetE0EEEvT1_.num_named_barrier, 0
	.set _ZN7rocprim17ROCPRIM_400000_NS6detail17trampoline_kernelINS0_14default_configENS1_25partition_config_selectorILNS1_17partition_subalgoE6EyNS0_10empty_typeEbEEZZNS1_14partition_implILS5_6ELb0ES3_mN6thrust23THRUST_200600_302600_NS6detail15normal_iteratorINSA_10device_ptrIyEEEEPS6_SG_NS0_5tupleIJSF_S6_EEENSH_IJSG_SG_EEES6_PlJNSB_9not_fun_tI7is_trueIyEEEEEE10hipError_tPvRmT3_T4_T5_T6_T7_T9_mT8_P12ihipStream_tbDpT10_ENKUlT_T0_E_clISt17integral_constantIbLb1EES18_EEDaS13_S14_EUlS13_E_NS1_11comp_targetILNS1_3genE5ELNS1_11target_archE942ELNS1_3gpuE9ELNS1_3repE0EEENS1_30default_config_static_selectorELNS0_4arch9wavefront6targetE0EEEvT1_.private_seg_size, 0
	.set _ZN7rocprim17ROCPRIM_400000_NS6detail17trampoline_kernelINS0_14default_configENS1_25partition_config_selectorILNS1_17partition_subalgoE6EyNS0_10empty_typeEbEEZZNS1_14partition_implILS5_6ELb0ES3_mN6thrust23THRUST_200600_302600_NS6detail15normal_iteratorINSA_10device_ptrIyEEEEPS6_SG_NS0_5tupleIJSF_S6_EEENSH_IJSG_SG_EEES6_PlJNSB_9not_fun_tI7is_trueIyEEEEEE10hipError_tPvRmT3_T4_T5_T6_T7_T9_mT8_P12ihipStream_tbDpT10_ENKUlT_T0_E_clISt17integral_constantIbLb1EES18_EEDaS13_S14_EUlS13_E_NS1_11comp_targetILNS1_3genE5ELNS1_11target_archE942ELNS1_3gpuE9ELNS1_3repE0EEENS1_30default_config_static_selectorELNS0_4arch9wavefront6targetE0EEEvT1_.uses_vcc, 0
	.set _ZN7rocprim17ROCPRIM_400000_NS6detail17trampoline_kernelINS0_14default_configENS1_25partition_config_selectorILNS1_17partition_subalgoE6EyNS0_10empty_typeEbEEZZNS1_14partition_implILS5_6ELb0ES3_mN6thrust23THRUST_200600_302600_NS6detail15normal_iteratorINSA_10device_ptrIyEEEEPS6_SG_NS0_5tupleIJSF_S6_EEENSH_IJSG_SG_EEES6_PlJNSB_9not_fun_tI7is_trueIyEEEEEE10hipError_tPvRmT3_T4_T5_T6_T7_T9_mT8_P12ihipStream_tbDpT10_ENKUlT_T0_E_clISt17integral_constantIbLb1EES18_EEDaS13_S14_EUlS13_E_NS1_11comp_targetILNS1_3genE5ELNS1_11target_archE942ELNS1_3gpuE9ELNS1_3repE0EEENS1_30default_config_static_selectorELNS0_4arch9wavefront6targetE0EEEvT1_.uses_flat_scratch, 0
	.set _ZN7rocprim17ROCPRIM_400000_NS6detail17trampoline_kernelINS0_14default_configENS1_25partition_config_selectorILNS1_17partition_subalgoE6EyNS0_10empty_typeEbEEZZNS1_14partition_implILS5_6ELb0ES3_mN6thrust23THRUST_200600_302600_NS6detail15normal_iteratorINSA_10device_ptrIyEEEEPS6_SG_NS0_5tupleIJSF_S6_EEENSH_IJSG_SG_EEES6_PlJNSB_9not_fun_tI7is_trueIyEEEEEE10hipError_tPvRmT3_T4_T5_T6_T7_T9_mT8_P12ihipStream_tbDpT10_ENKUlT_T0_E_clISt17integral_constantIbLb1EES18_EEDaS13_S14_EUlS13_E_NS1_11comp_targetILNS1_3genE5ELNS1_11target_archE942ELNS1_3gpuE9ELNS1_3repE0EEENS1_30default_config_static_selectorELNS0_4arch9wavefront6targetE0EEEvT1_.has_dyn_sized_stack, 0
	.set _ZN7rocprim17ROCPRIM_400000_NS6detail17trampoline_kernelINS0_14default_configENS1_25partition_config_selectorILNS1_17partition_subalgoE6EyNS0_10empty_typeEbEEZZNS1_14partition_implILS5_6ELb0ES3_mN6thrust23THRUST_200600_302600_NS6detail15normal_iteratorINSA_10device_ptrIyEEEEPS6_SG_NS0_5tupleIJSF_S6_EEENSH_IJSG_SG_EEES6_PlJNSB_9not_fun_tI7is_trueIyEEEEEE10hipError_tPvRmT3_T4_T5_T6_T7_T9_mT8_P12ihipStream_tbDpT10_ENKUlT_T0_E_clISt17integral_constantIbLb1EES18_EEDaS13_S14_EUlS13_E_NS1_11comp_targetILNS1_3genE5ELNS1_11target_archE942ELNS1_3gpuE9ELNS1_3repE0EEENS1_30default_config_static_selectorELNS0_4arch9wavefront6targetE0EEEvT1_.has_recursion, 0
	.set _ZN7rocprim17ROCPRIM_400000_NS6detail17trampoline_kernelINS0_14default_configENS1_25partition_config_selectorILNS1_17partition_subalgoE6EyNS0_10empty_typeEbEEZZNS1_14partition_implILS5_6ELb0ES3_mN6thrust23THRUST_200600_302600_NS6detail15normal_iteratorINSA_10device_ptrIyEEEEPS6_SG_NS0_5tupleIJSF_S6_EEENSH_IJSG_SG_EEES6_PlJNSB_9not_fun_tI7is_trueIyEEEEEE10hipError_tPvRmT3_T4_T5_T6_T7_T9_mT8_P12ihipStream_tbDpT10_ENKUlT_T0_E_clISt17integral_constantIbLb1EES18_EEDaS13_S14_EUlS13_E_NS1_11comp_targetILNS1_3genE5ELNS1_11target_archE942ELNS1_3gpuE9ELNS1_3repE0EEENS1_30default_config_static_selectorELNS0_4arch9wavefront6targetE0EEEvT1_.has_indirect_call, 0
	.section	.AMDGPU.csdata,"",@progbits
; Kernel info:
; codeLenInByte = 0
; TotalNumSgprs: 0
; NumVgprs: 0
; ScratchSize: 0
; MemoryBound: 0
; FloatMode: 240
; IeeeMode: 1
; LDSByteSize: 0 bytes/workgroup (compile time only)
; SGPRBlocks: 0
; VGPRBlocks: 0
; NumSGPRsForWavesPerEU: 1
; NumVGPRsForWavesPerEU: 1
; Occupancy: 16
; WaveLimiterHint : 0
; COMPUTE_PGM_RSRC2:SCRATCH_EN: 0
; COMPUTE_PGM_RSRC2:USER_SGPR: 2
; COMPUTE_PGM_RSRC2:TRAP_HANDLER: 0
; COMPUTE_PGM_RSRC2:TGID_X_EN: 1
; COMPUTE_PGM_RSRC2:TGID_Y_EN: 0
; COMPUTE_PGM_RSRC2:TGID_Z_EN: 0
; COMPUTE_PGM_RSRC2:TIDIG_COMP_CNT: 0
	.section	.text._ZN7rocprim17ROCPRIM_400000_NS6detail17trampoline_kernelINS0_14default_configENS1_25partition_config_selectorILNS1_17partition_subalgoE6EyNS0_10empty_typeEbEEZZNS1_14partition_implILS5_6ELb0ES3_mN6thrust23THRUST_200600_302600_NS6detail15normal_iteratorINSA_10device_ptrIyEEEEPS6_SG_NS0_5tupleIJSF_S6_EEENSH_IJSG_SG_EEES6_PlJNSB_9not_fun_tI7is_trueIyEEEEEE10hipError_tPvRmT3_T4_T5_T6_T7_T9_mT8_P12ihipStream_tbDpT10_ENKUlT_T0_E_clISt17integral_constantIbLb1EES18_EEDaS13_S14_EUlS13_E_NS1_11comp_targetILNS1_3genE4ELNS1_11target_archE910ELNS1_3gpuE8ELNS1_3repE0EEENS1_30default_config_static_selectorELNS0_4arch9wavefront6targetE0EEEvT1_,"axG",@progbits,_ZN7rocprim17ROCPRIM_400000_NS6detail17trampoline_kernelINS0_14default_configENS1_25partition_config_selectorILNS1_17partition_subalgoE6EyNS0_10empty_typeEbEEZZNS1_14partition_implILS5_6ELb0ES3_mN6thrust23THRUST_200600_302600_NS6detail15normal_iteratorINSA_10device_ptrIyEEEEPS6_SG_NS0_5tupleIJSF_S6_EEENSH_IJSG_SG_EEES6_PlJNSB_9not_fun_tI7is_trueIyEEEEEE10hipError_tPvRmT3_T4_T5_T6_T7_T9_mT8_P12ihipStream_tbDpT10_ENKUlT_T0_E_clISt17integral_constantIbLb1EES18_EEDaS13_S14_EUlS13_E_NS1_11comp_targetILNS1_3genE4ELNS1_11target_archE910ELNS1_3gpuE8ELNS1_3repE0EEENS1_30default_config_static_selectorELNS0_4arch9wavefront6targetE0EEEvT1_,comdat
	.protected	_ZN7rocprim17ROCPRIM_400000_NS6detail17trampoline_kernelINS0_14default_configENS1_25partition_config_selectorILNS1_17partition_subalgoE6EyNS0_10empty_typeEbEEZZNS1_14partition_implILS5_6ELb0ES3_mN6thrust23THRUST_200600_302600_NS6detail15normal_iteratorINSA_10device_ptrIyEEEEPS6_SG_NS0_5tupleIJSF_S6_EEENSH_IJSG_SG_EEES6_PlJNSB_9not_fun_tI7is_trueIyEEEEEE10hipError_tPvRmT3_T4_T5_T6_T7_T9_mT8_P12ihipStream_tbDpT10_ENKUlT_T0_E_clISt17integral_constantIbLb1EES18_EEDaS13_S14_EUlS13_E_NS1_11comp_targetILNS1_3genE4ELNS1_11target_archE910ELNS1_3gpuE8ELNS1_3repE0EEENS1_30default_config_static_selectorELNS0_4arch9wavefront6targetE0EEEvT1_ ; -- Begin function _ZN7rocprim17ROCPRIM_400000_NS6detail17trampoline_kernelINS0_14default_configENS1_25partition_config_selectorILNS1_17partition_subalgoE6EyNS0_10empty_typeEbEEZZNS1_14partition_implILS5_6ELb0ES3_mN6thrust23THRUST_200600_302600_NS6detail15normal_iteratorINSA_10device_ptrIyEEEEPS6_SG_NS0_5tupleIJSF_S6_EEENSH_IJSG_SG_EEES6_PlJNSB_9not_fun_tI7is_trueIyEEEEEE10hipError_tPvRmT3_T4_T5_T6_T7_T9_mT8_P12ihipStream_tbDpT10_ENKUlT_T0_E_clISt17integral_constantIbLb1EES18_EEDaS13_S14_EUlS13_E_NS1_11comp_targetILNS1_3genE4ELNS1_11target_archE910ELNS1_3gpuE8ELNS1_3repE0EEENS1_30default_config_static_selectorELNS0_4arch9wavefront6targetE0EEEvT1_
	.globl	_ZN7rocprim17ROCPRIM_400000_NS6detail17trampoline_kernelINS0_14default_configENS1_25partition_config_selectorILNS1_17partition_subalgoE6EyNS0_10empty_typeEbEEZZNS1_14partition_implILS5_6ELb0ES3_mN6thrust23THRUST_200600_302600_NS6detail15normal_iteratorINSA_10device_ptrIyEEEEPS6_SG_NS0_5tupleIJSF_S6_EEENSH_IJSG_SG_EEES6_PlJNSB_9not_fun_tI7is_trueIyEEEEEE10hipError_tPvRmT3_T4_T5_T6_T7_T9_mT8_P12ihipStream_tbDpT10_ENKUlT_T0_E_clISt17integral_constantIbLb1EES18_EEDaS13_S14_EUlS13_E_NS1_11comp_targetILNS1_3genE4ELNS1_11target_archE910ELNS1_3gpuE8ELNS1_3repE0EEENS1_30default_config_static_selectorELNS0_4arch9wavefront6targetE0EEEvT1_
	.p2align	8
	.type	_ZN7rocprim17ROCPRIM_400000_NS6detail17trampoline_kernelINS0_14default_configENS1_25partition_config_selectorILNS1_17partition_subalgoE6EyNS0_10empty_typeEbEEZZNS1_14partition_implILS5_6ELb0ES3_mN6thrust23THRUST_200600_302600_NS6detail15normal_iteratorINSA_10device_ptrIyEEEEPS6_SG_NS0_5tupleIJSF_S6_EEENSH_IJSG_SG_EEES6_PlJNSB_9not_fun_tI7is_trueIyEEEEEE10hipError_tPvRmT3_T4_T5_T6_T7_T9_mT8_P12ihipStream_tbDpT10_ENKUlT_T0_E_clISt17integral_constantIbLb1EES18_EEDaS13_S14_EUlS13_E_NS1_11comp_targetILNS1_3genE4ELNS1_11target_archE910ELNS1_3gpuE8ELNS1_3repE0EEENS1_30default_config_static_selectorELNS0_4arch9wavefront6targetE0EEEvT1_,@function
_ZN7rocprim17ROCPRIM_400000_NS6detail17trampoline_kernelINS0_14default_configENS1_25partition_config_selectorILNS1_17partition_subalgoE6EyNS0_10empty_typeEbEEZZNS1_14partition_implILS5_6ELb0ES3_mN6thrust23THRUST_200600_302600_NS6detail15normal_iteratorINSA_10device_ptrIyEEEEPS6_SG_NS0_5tupleIJSF_S6_EEENSH_IJSG_SG_EEES6_PlJNSB_9not_fun_tI7is_trueIyEEEEEE10hipError_tPvRmT3_T4_T5_T6_T7_T9_mT8_P12ihipStream_tbDpT10_ENKUlT_T0_E_clISt17integral_constantIbLb1EES18_EEDaS13_S14_EUlS13_E_NS1_11comp_targetILNS1_3genE4ELNS1_11target_archE910ELNS1_3gpuE8ELNS1_3repE0EEENS1_30default_config_static_selectorELNS0_4arch9wavefront6targetE0EEEvT1_: ; @_ZN7rocprim17ROCPRIM_400000_NS6detail17trampoline_kernelINS0_14default_configENS1_25partition_config_selectorILNS1_17partition_subalgoE6EyNS0_10empty_typeEbEEZZNS1_14partition_implILS5_6ELb0ES3_mN6thrust23THRUST_200600_302600_NS6detail15normal_iteratorINSA_10device_ptrIyEEEEPS6_SG_NS0_5tupleIJSF_S6_EEENSH_IJSG_SG_EEES6_PlJNSB_9not_fun_tI7is_trueIyEEEEEE10hipError_tPvRmT3_T4_T5_T6_T7_T9_mT8_P12ihipStream_tbDpT10_ENKUlT_T0_E_clISt17integral_constantIbLb1EES18_EEDaS13_S14_EUlS13_E_NS1_11comp_targetILNS1_3genE4ELNS1_11target_archE910ELNS1_3gpuE8ELNS1_3repE0EEENS1_30default_config_static_selectorELNS0_4arch9wavefront6targetE0EEEvT1_
; %bb.0:
	.section	.rodata,"a",@progbits
	.p2align	6, 0x0
	.amdhsa_kernel _ZN7rocprim17ROCPRIM_400000_NS6detail17trampoline_kernelINS0_14default_configENS1_25partition_config_selectorILNS1_17partition_subalgoE6EyNS0_10empty_typeEbEEZZNS1_14partition_implILS5_6ELb0ES3_mN6thrust23THRUST_200600_302600_NS6detail15normal_iteratorINSA_10device_ptrIyEEEEPS6_SG_NS0_5tupleIJSF_S6_EEENSH_IJSG_SG_EEES6_PlJNSB_9not_fun_tI7is_trueIyEEEEEE10hipError_tPvRmT3_T4_T5_T6_T7_T9_mT8_P12ihipStream_tbDpT10_ENKUlT_T0_E_clISt17integral_constantIbLb1EES18_EEDaS13_S14_EUlS13_E_NS1_11comp_targetILNS1_3genE4ELNS1_11target_archE910ELNS1_3gpuE8ELNS1_3repE0EEENS1_30default_config_static_selectorELNS0_4arch9wavefront6targetE0EEEvT1_
		.amdhsa_group_segment_fixed_size 0
		.amdhsa_private_segment_fixed_size 0
		.amdhsa_kernarg_size 128
		.amdhsa_user_sgpr_count 2
		.amdhsa_user_sgpr_dispatch_ptr 0
		.amdhsa_user_sgpr_queue_ptr 0
		.amdhsa_user_sgpr_kernarg_segment_ptr 1
		.amdhsa_user_sgpr_dispatch_id 0
		.amdhsa_user_sgpr_private_segment_size 0
		.amdhsa_wavefront_size32 1
		.amdhsa_uses_dynamic_stack 0
		.amdhsa_enable_private_segment 0
		.amdhsa_system_sgpr_workgroup_id_x 1
		.amdhsa_system_sgpr_workgroup_id_y 0
		.amdhsa_system_sgpr_workgroup_id_z 0
		.amdhsa_system_sgpr_workgroup_info 0
		.amdhsa_system_vgpr_workitem_id 0
		.amdhsa_next_free_vgpr 1
		.amdhsa_next_free_sgpr 1
		.amdhsa_reserve_vcc 0
		.amdhsa_float_round_mode_32 0
		.amdhsa_float_round_mode_16_64 0
		.amdhsa_float_denorm_mode_32 3
		.amdhsa_float_denorm_mode_16_64 3
		.amdhsa_fp16_overflow 0
		.amdhsa_workgroup_processor_mode 1
		.amdhsa_memory_ordered 1
		.amdhsa_forward_progress 1
		.amdhsa_inst_pref_size 0
		.amdhsa_round_robin_scheduling 0
		.amdhsa_exception_fp_ieee_invalid_op 0
		.amdhsa_exception_fp_denorm_src 0
		.amdhsa_exception_fp_ieee_div_zero 0
		.amdhsa_exception_fp_ieee_overflow 0
		.amdhsa_exception_fp_ieee_underflow 0
		.amdhsa_exception_fp_ieee_inexact 0
		.amdhsa_exception_int_div_zero 0
	.end_amdhsa_kernel
	.section	.text._ZN7rocprim17ROCPRIM_400000_NS6detail17trampoline_kernelINS0_14default_configENS1_25partition_config_selectorILNS1_17partition_subalgoE6EyNS0_10empty_typeEbEEZZNS1_14partition_implILS5_6ELb0ES3_mN6thrust23THRUST_200600_302600_NS6detail15normal_iteratorINSA_10device_ptrIyEEEEPS6_SG_NS0_5tupleIJSF_S6_EEENSH_IJSG_SG_EEES6_PlJNSB_9not_fun_tI7is_trueIyEEEEEE10hipError_tPvRmT3_T4_T5_T6_T7_T9_mT8_P12ihipStream_tbDpT10_ENKUlT_T0_E_clISt17integral_constantIbLb1EES18_EEDaS13_S14_EUlS13_E_NS1_11comp_targetILNS1_3genE4ELNS1_11target_archE910ELNS1_3gpuE8ELNS1_3repE0EEENS1_30default_config_static_selectorELNS0_4arch9wavefront6targetE0EEEvT1_,"axG",@progbits,_ZN7rocprim17ROCPRIM_400000_NS6detail17trampoline_kernelINS0_14default_configENS1_25partition_config_selectorILNS1_17partition_subalgoE6EyNS0_10empty_typeEbEEZZNS1_14partition_implILS5_6ELb0ES3_mN6thrust23THRUST_200600_302600_NS6detail15normal_iteratorINSA_10device_ptrIyEEEEPS6_SG_NS0_5tupleIJSF_S6_EEENSH_IJSG_SG_EEES6_PlJNSB_9not_fun_tI7is_trueIyEEEEEE10hipError_tPvRmT3_T4_T5_T6_T7_T9_mT8_P12ihipStream_tbDpT10_ENKUlT_T0_E_clISt17integral_constantIbLb1EES18_EEDaS13_S14_EUlS13_E_NS1_11comp_targetILNS1_3genE4ELNS1_11target_archE910ELNS1_3gpuE8ELNS1_3repE0EEENS1_30default_config_static_selectorELNS0_4arch9wavefront6targetE0EEEvT1_,comdat
.Lfunc_end1119:
	.size	_ZN7rocprim17ROCPRIM_400000_NS6detail17trampoline_kernelINS0_14default_configENS1_25partition_config_selectorILNS1_17partition_subalgoE6EyNS0_10empty_typeEbEEZZNS1_14partition_implILS5_6ELb0ES3_mN6thrust23THRUST_200600_302600_NS6detail15normal_iteratorINSA_10device_ptrIyEEEEPS6_SG_NS0_5tupleIJSF_S6_EEENSH_IJSG_SG_EEES6_PlJNSB_9not_fun_tI7is_trueIyEEEEEE10hipError_tPvRmT3_T4_T5_T6_T7_T9_mT8_P12ihipStream_tbDpT10_ENKUlT_T0_E_clISt17integral_constantIbLb1EES18_EEDaS13_S14_EUlS13_E_NS1_11comp_targetILNS1_3genE4ELNS1_11target_archE910ELNS1_3gpuE8ELNS1_3repE0EEENS1_30default_config_static_selectorELNS0_4arch9wavefront6targetE0EEEvT1_, .Lfunc_end1119-_ZN7rocprim17ROCPRIM_400000_NS6detail17trampoline_kernelINS0_14default_configENS1_25partition_config_selectorILNS1_17partition_subalgoE6EyNS0_10empty_typeEbEEZZNS1_14partition_implILS5_6ELb0ES3_mN6thrust23THRUST_200600_302600_NS6detail15normal_iteratorINSA_10device_ptrIyEEEEPS6_SG_NS0_5tupleIJSF_S6_EEENSH_IJSG_SG_EEES6_PlJNSB_9not_fun_tI7is_trueIyEEEEEE10hipError_tPvRmT3_T4_T5_T6_T7_T9_mT8_P12ihipStream_tbDpT10_ENKUlT_T0_E_clISt17integral_constantIbLb1EES18_EEDaS13_S14_EUlS13_E_NS1_11comp_targetILNS1_3genE4ELNS1_11target_archE910ELNS1_3gpuE8ELNS1_3repE0EEENS1_30default_config_static_selectorELNS0_4arch9wavefront6targetE0EEEvT1_
                                        ; -- End function
	.set _ZN7rocprim17ROCPRIM_400000_NS6detail17trampoline_kernelINS0_14default_configENS1_25partition_config_selectorILNS1_17partition_subalgoE6EyNS0_10empty_typeEbEEZZNS1_14partition_implILS5_6ELb0ES3_mN6thrust23THRUST_200600_302600_NS6detail15normal_iteratorINSA_10device_ptrIyEEEEPS6_SG_NS0_5tupleIJSF_S6_EEENSH_IJSG_SG_EEES6_PlJNSB_9not_fun_tI7is_trueIyEEEEEE10hipError_tPvRmT3_T4_T5_T6_T7_T9_mT8_P12ihipStream_tbDpT10_ENKUlT_T0_E_clISt17integral_constantIbLb1EES18_EEDaS13_S14_EUlS13_E_NS1_11comp_targetILNS1_3genE4ELNS1_11target_archE910ELNS1_3gpuE8ELNS1_3repE0EEENS1_30default_config_static_selectorELNS0_4arch9wavefront6targetE0EEEvT1_.num_vgpr, 0
	.set _ZN7rocprim17ROCPRIM_400000_NS6detail17trampoline_kernelINS0_14default_configENS1_25partition_config_selectorILNS1_17partition_subalgoE6EyNS0_10empty_typeEbEEZZNS1_14partition_implILS5_6ELb0ES3_mN6thrust23THRUST_200600_302600_NS6detail15normal_iteratorINSA_10device_ptrIyEEEEPS6_SG_NS0_5tupleIJSF_S6_EEENSH_IJSG_SG_EEES6_PlJNSB_9not_fun_tI7is_trueIyEEEEEE10hipError_tPvRmT3_T4_T5_T6_T7_T9_mT8_P12ihipStream_tbDpT10_ENKUlT_T0_E_clISt17integral_constantIbLb1EES18_EEDaS13_S14_EUlS13_E_NS1_11comp_targetILNS1_3genE4ELNS1_11target_archE910ELNS1_3gpuE8ELNS1_3repE0EEENS1_30default_config_static_selectorELNS0_4arch9wavefront6targetE0EEEvT1_.num_agpr, 0
	.set _ZN7rocprim17ROCPRIM_400000_NS6detail17trampoline_kernelINS0_14default_configENS1_25partition_config_selectorILNS1_17partition_subalgoE6EyNS0_10empty_typeEbEEZZNS1_14partition_implILS5_6ELb0ES3_mN6thrust23THRUST_200600_302600_NS6detail15normal_iteratorINSA_10device_ptrIyEEEEPS6_SG_NS0_5tupleIJSF_S6_EEENSH_IJSG_SG_EEES6_PlJNSB_9not_fun_tI7is_trueIyEEEEEE10hipError_tPvRmT3_T4_T5_T6_T7_T9_mT8_P12ihipStream_tbDpT10_ENKUlT_T0_E_clISt17integral_constantIbLb1EES18_EEDaS13_S14_EUlS13_E_NS1_11comp_targetILNS1_3genE4ELNS1_11target_archE910ELNS1_3gpuE8ELNS1_3repE0EEENS1_30default_config_static_selectorELNS0_4arch9wavefront6targetE0EEEvT1_.numbered_sgpr, 0
	.set _ZN7rocprim17ROCPRIM_400000_NS6detail17trampoline_kernelINS0_14default_configENS1_25partition_config_selectorILNS1_17partition_subalgoE6EyNS0_10empty_typeEbEEZZNS1_14partition_implILS5_6ELb0ES3_mN6thrust23THRUST_200600_302600_NS6detail15normal_iteratorINSA_10device_ptrIyEEEEPS6_SG_NS0_5tupleIJSF_S6_EEENSH_IJSG_SG_EEES6_PlJNSB_9not_fun_tI7is_trueIyEEEEEE10hipError_tPvRmT3_T4_T5_T6_T7_T9_mT8_P12ihipStream_tbDpT10_ENKUlT_T0_E_clISt17integral_constantIbLb1EES18_EEDaS13_S14_EUlS13_E_NS1_11comp_targetILNS1_3genE4ELNS1_11target_archE910ELNS1_3gpuE8ELNS1_3repE0EEENS1_30default_config_static_selectorELNS0_4arch9wavefront6targetE0EEEvT1_.num_named_barrier, 0
	.set _ZN7rocprim17ROCPRIM_400000_NS6detail17trampoline_kernelINS0_14default_configENS1_25partition_config_selectorILNS1_17partition_subalgoE6EyNS0_10empty_typeEbEEZZNS1_14partition_implILS5_6ELb0ES3_mN6thrust23THRUST_200600_302600_NS6detail15normal_iteratorINSA_10device_ptrIyEEEEPS6_SG_NS0_5tupleIJSF_S6_EEENSH_IJSG_SG_EEES6_PlJNSB_9not_fun_tI7is_trueIyEEEEEE10hipError_tPvRmT3_T4_T5_T6_T7_T9_mT8_P12ihipStream_tbDpT10_ENKUlT_T0_E_clISt17integral_constantIbLb1EES18_EEDaS13_S14_EUlS13_E_NS1_11comp_targetILNS1_3genE4ELNS1_11target_archE910ELNS1_3gpuE8ELNS1_3repE0EEENS1_30default_config_static_selectorELNS0_4arch9wavefront6targetE0EEEvT1_.private_seg_size, 0
	.set _ZN7rocprim17ROCPRIM_400000_NS6detail17trampoline_kernelINS0_14default_configENS1_25partition_config_selectorILNS1_17partition_subalgoE6EyNS0_10empty_typeEbEEZZNS1_14partition_implILS5_6ELb0ES3_mN6thrust23THRUST_200600_302600_NS6detail15normal_iteratorINSA_10device_ptrIyEEEEPS6_SG_NS0_5tupleIJSF_S6_EEENSH_IJSG_SG_EEES6_PlJNSB_9not_fun_tI7is_trueIyEEEEEE10hipError_tPvRmT3_T4_T5_T6_T7_T9_mT8_P12ihipStream_tbDpT10_ENKUlT_T0_E_clISt17integral_constantIbLb1EES18_EEDaS13_S14_EUlS13_E_NS1_11comp_targetILNS1_3genE4ELNS1_11target_archE910ELNS1_3gpuE8ELNS1_3repE0EEENS1_30default_config_static_selectorELNS0_4arch9wavefront6targetE0EEEvT1_.uses_vcc, 0
	.set _ZN7rocprim17ROCPRIM_400000_NS6detail17trampoline_kernelINS0_14default_configENS1_25partition_config_selectorILNS1_17partition_subalgoE6EyNS0_10empty_typeEbEEZZNS1_14partition_implILS5_6ELb0ES3_mN6thrust23THRUST_200600_302600_NS6detail15normal_iteratorINSA_10device_ptrIyEEEEPS6_SG_NS0_5tupleIJSF_S6_EEENSH_IJSG_SG_EEES6_PlJNSB_9not_fun_tI7is_trueIyEEEEEE10hipError_tPvRmT3_T4_T5_T6_T7_T9_mT8_P12ihipStream_tbDpT10_ENKUlT_T0_E_clISt17integral_constantIbLb1EES18_EEDaS13_S14_EUlS13_E_NS1_11comp_targetILNS1_3genE4ELNS1_11target_archE910ELNS1_3gpuE8ELNS1_3repE0EEENS1_30default_config_static_selectorELNS0_4arch9wavefront6targetE0EEEvT1_.uses_flat_scratch, 0
	.set _ZN7rocprim17ROCPRIM_400000_NS6detail17trampoline_kernelINS0_14default_configENS1_25partition_config_selectorILNS1_17partition_subalgoE6EyNS0_10empty_typeEbEEZZNS1_14partition_implILS5_6ELb0ES3_mN6thrust23THRUST_200600_302600_NS6detail15normal_iteratorINSA_10device_ptrIyEEEEPS6_SG_NS0_5tupleIJSF_S6_EEENSH_IJSG_SG_EEES6_PlJNSB_9not_fun_tI7is_trueIyEEEEEE10hipError_tPvRmT3_T4_T5_T6_T7_T9_mT8_P12ihipStream_tbDpT10_ENKUlT_T0_E_clISt17integral_constantIbLb1EES18_EEDaS13_S14_EUlS13_E_NS1_11comp_targetILNS1_3genE4ELNS1_11target_archE910ELNS1_3gpuE8ELNS1_3repE0EEENS1_30default_config_static_selectorELNS0_4arch9wavefront6targetE0EEEvT1_.has_dyn_sized_stack, 0
	.set _ZN7rocprim17ROCPRIM_400000_NS6detail17trampoline_kernelINS0_14default_configENS1_25partition_config_selectorILNS1_17partition_subalgoE6EyNS0_10empty_typeEbEEZZNS1_14partition_implILS5_6ELb0ES3_mN6thrust23THRUST_200600_302600_NS6detail15normal_iteratorINSA_10device_ptrIyEEEEPS6_SG_NS0_5tupleIJSF_S6_EEENSH_IJSG_SG_EEES6_PlJNSB_9not_fun_tI7is_trueIyEEEEEE10hipError_tPvRmT3_T4_T5_T6_T7_T9_mT8_P12ihipStream_tbDpT10_ENKUlT_T0_E_clISt17integral_constantIbLb1EES18_EEDaS13_S14_EUlS13_E_NS1_11comp_targetILNS1_3genE4ELNS1_11target_archE910ELNS1_3gpuE8ELNS1_3repE0EEENS1_30default_config_static_selectorELNS0_4arch9wavefront6targetE0EEEvT1_.has_recursion, 0
	.set _ZN7rocprim17ROCPRIM_400000_NS6detail17trampoline_kernelINS0_14default_configENS1_25partition_config_selectorILNS1_17partition_subalgoE6EyNS0_10empty_typeEbEEZZNS1_14partition_implILS5_6ELb0ES3_mN6thrust23THRUST_200600_302600_NS6detail15normal_iteratorINSA_10device_ptrIyEEEEPS6_SG_NS0_5tupleIJSF_S6_EEENSH_IJSG_SG_EEES6_PlJNSB_9not_fun_tI7is_trueIyEEEEEE10hipError_tPvRmT3_T4_T5_T6_T7_T9_mT8_P12ihipStream_tbDpT10_ENKUlT_T0_E_clISt17integral_constantIbLb1EES18_EEDaS13_S14_EUlS13_E_NS1_11comp_targetILNS1_3genE4ELNS1_11target_archE910ELNS1_3gpuE8ELNS1_3repE0EEENS1_30default_config_static_selectorELNS0_4arch9wavefront6targetE0EEEvT1_.has_indirect_call, 0
	.section	.AMDGPU.csdata,"",@progbits
; Kernel info:
; codeLenInByte = 0
; TotalNumSgprs: 0
; NumVgprs: 0
; ScratchSize: 0
; MemoryBound: 0
; FloatMode: 240
; IeeeMode: 1
; LDSByteSize: 0 bytes/workgroup (compile time only)
; SGPRBlocks: 0
; VGPRBlocks: 0
; NumSGPRsForWavesPerEU: 1
; NumVGPRsForWavesPerEU: 1
; Occupancy: 16
; WaveLimiterHint : 0
; COMPUTE_PGM_RSRC2:SCRATCH_EN: 0
; COMPUTE_PGM_RSRC2:USER_SGPR: 2
; COMPUTE_PGM_RSRC2:TRAP_HANDLER: 0
; COMPUTE_PGM_RSRC2:TGID_X_EN: 1
; COMPUTE_PGM_RSRC2:TGID_Y_EN: 0
; COMPUTE_PGM_RSRC2:TGID_Z_EN: 0
; COMPUTE_PGM_RSRC2:TIDIG_COMP_CNT: 0
	.section	.text._ZN7rocprim17ROCPRIM_400000_NS6detail17trampoline_kernelINS0_14default_configENS1_25partition_config_selectorILNS1_17partition_subalgoE6EyNS0_10empty_typeEbEEZZNS1_14partition_implILS5_6ELb0ES3_mN6thrust23THRUST_200600_302600_NS6detail15normal_iteratorINSA_10device_ptrIyEEEEPS6_SG_NS0_5tupleIJSF_S6_EEENSH_IJSG_SG_EEES6_PlJNSB_9not_fun_tI7is_trueIyEEEEEE10hipError_tPvRmT3_T4_T5_T6_T7_T9_mT8_P12ihipStream_tbDpT10_ENKUlT_T0_E_clISt17integral_constantIbLb1EES18_EEDaS13_S14_EUlS13_E_NS1_11comp_targetILNS1_3genE3ELNS1_11target_archE908ELNS1_3gpuE7ELNS1_3repE0EEENS1_30default_config_static_selectorELNS0_4arch9wavefront6targetE0EEEvT1_,"axG",@progbits,_ZN7rocprim17ROCPRIM_400000_NS6detail17trampoline_kernelINS0_14default_configENS1_25partition_config_selectorILNS1_17partition_subalgoE6EyNS0_10empty_typeEbEEZZNS1_14partition_implILS5_6ELb0ES3_mN6thrust23THRUST_200600_302600_NS6detail15normal_iteratorINSA_10device_ptrIyEEEEPS6_SG_NS0_5tupleIJSF_S6_EEENSH_IJSG_SG_EEES6_PlJNSB_9not_fun_tI7is_trueIyEEEEEE10hipError_tPvRmT3_T4_T5_T6_T7_T9_mT8_P12ihipStream_tbDpT10_ENKUlT_T0_E_clISt17integral_constantIbLb1EES18_EEDaS13_S14_EUlS13_E_NS1_11comp_targetILNS1_3genE3ELNS1_11target_archE908ELNS1_3gpuE7ELNS1_3repE0EEENS1_30default_config_static_selectorELNS0_4arch9wavefront6targetE0EEEvT1_,comdat
	.protected	_ZN7rocprim17ROCPRIM_400000_NS6detail17trampoline_kernelINS0_14default_configENS1_25partition_config_selectorILNS1_17partition_subalgoE6EyNS0_10empty_typeEbEEZZNS1_14partition_implILS5_6ELb0ES3_mN6thrust23THRUST_200600_302600_NS6detail15normal_iteratorINSA_10device_ptrIyEEEEPS6_SG_NS0_5tupleIJSF_S6_EEENSH_IJSG_SG_EEES6_PlJNSB_9not_fun_tI7is_trueIyEEEEEE10hipError_tPvRmT3_T4_T5_T6_T7_T9_mT8_P12ihipStream_tbDpT10_ENKUlT_T0_E_clISt17integral_constantIbLb1EES18_EEDaS13_S14_EUlS13_E_NS1_11comp_targetILNS1_3genE3ELNS1_11target_archE908ELNS1_3gpuE7ELNS1_3repE0EEENS1_30default_config_static_selectorELNS0_4arch9wavefront6targetE0EEEvT1_ ; -- Begin function _ZN7rocprim17ROCPRIM_400000_NS6detail17trampoline_kernelINS0_14default_configENS1_25partition_config_selectorILNS1_17partition_subalgoE6EyNS0_10empty_typeEbEEZZNS1_14partition_implILS5_6ELb0ES3_mN6thrust23THRUST_200600_302600_NS6detail15normal_iteratorINSA_10device_ptrIyEEEEPS6_SG_NS0_5tupleIJSF_S6_EEENSH_IJSG_SG_EEES6_PlJNSB_9not_fun_tI7is_trueIyEEEEEE10hipError_tPvRmT3_T4_T5_T6_T7_T9_mT8_P12ihipStream_tbDpT10_ENKUlT_T0_E_clISt17integral_constantIbLb1EES18_EEDaS13_S14_EUlS13_E_NS1_11comp_targetILNS1_3genE3ELNS1_11target_archE908ELNS1_3gpuE7ELNS1_3repE0EEENS1_30default_config_static_selectorELNS0_4arch9wavefront6targetE0EEEvT1_
	.globl	_ZN7rocprim17ROCPRIM_400000_NS6detail17trampoline_kernelINS0_14default_configENS1_25partition_config_selectorILNS1_17partition_subalgoE6EyNS0_10empty_typeEbEEZZNS1_14partition_implILS5_6ELb0ES3_mN6thrust23THRUST_200600_302600_NS6detail15normal_iteratorINSA_10device_ptrIyEEEEPS6_SG_NS0_5tupleIJSF_S6_EEENSH_IJSG_SG_EEES6_PlJNSB_9not_fun_tI7is_trueIyEEEEEE10hipError_tPvRmT3_T4_T5_T6_T7_T9_mT8_P12ihipStream_tbDpT10_ENKUlT_T0_E_clISt17integral_constantIbLb1EES18_EEDaS13_S14_EUlS13_E_NS1_11comp_targetILNS1_3genE3ELNS1_11target_archE908ELNS1_3gpuE7ELNS1_3repE0EEENS1_30default_config_static_selectorELNS0_4arch9wavefront6targetE0EEEvT1_
	.p2align	8
	.type	_ZN7rocprim17ROCPRIM_400000_NS6detail17trampoline_kernelINS0_14default_configENS1_25partition_config_selectorILNS1_17partition_subalgoE6EyNS0_10empty_typeEbEEZZNS1_14partition_implILS5_6ELb0ES3_mN6thrust23THRUST_200600_302600_NS6detail15normal_iteratorINSA_10device_ptrIyEEEEPS6_SG_NS0_5tupleIJSF_S6_EEENSH_IJSG_SG_EEES6_PlJNSB_9not_fun_tI7is_trueIyEEEEEE10hipError_tPvRmT3_T4_T5_T6_T7_T9_mT8_P12ihipStream_tbDpT10_ENKUlT_T0_E_clISt17integral_constantIbLb1EES18_EEDaS13_S14_EUlS13_E_NS1_11comp_targetILNS1_3genE3ELNS1_11target_archE908ELNS1_3gpuE7ELNS1_3repE0EEENS1_30default_config_static_selectorELNS0_4arch9wavefront6targetE0EEEvT1_,@function
_ZN7rocprim17ROCPRIM_400000_NS6detail17trampoline_kernelINS0_14default_configENS1_25partition_config_selectorILNS1_17partition_subalgoE6EyNS0_10empty_typeEbEEZZNS1_14partition_implILS5_6ELb0ES3_mN6thrust23THRUST_200600_302600_NS6detail15normal_iteratorINSA_10device_ptrIyEEEEPS6_SG_NS0_5tupleIJSF_S6_EEENSH_IJSG_SG_EEES6_PlJNSB_9not_fun_tI7is_trueIyEEEEEE10hipError_tPvRmT3_T4_T5_T6_T7_T9_mT8_P12ihipStream_tbDpT10_ENKUlT_T0_E_clISt17integral_constantIbLb1EES18_EEDaS13_S14_EUlS13_E_NS1_11comp_targetILNS1_3genE3ELNS1_11target_archE908ELNS1_3gpuE7ELNS1_3repE0EEENS1_30default_config_static_selectorELNS0_4arch9wavefront6targetE0EEEvT1_: ; @_ZN7rocprim17ROCPRIM_400000_NS6detail17trampoline_kernelINS0_14default_configENS1_25partition_config_selectorILNS1_17partition_subalgoE6EyNS0_10empty_typeEbEEZZNS1_14partition_implILS5_6ELb0ES3_mN6thrust23THRUST_200600_302600_NS6detail15normal_iteratorINSA_10device_ptrIyEEEEPS6_SG_NS0_5tupleIJSF_S6_EEENSH_IJSG_SG_EEES6_PlJNSB_9not_fun_tI7is_trueIyEEEEEE10hipError_tPvRmT3_T4_T5_T6_T7_T9_mT8_P12ihipStream_tbDpT10_ENKUlT_T0_E_clISt17integral_constantIbLb1EES18_EEDaS13_S14_EUlS13_E_NS1_11comp_targetILNS1_3genE3ELNS1_11target_archE908ELNS1_3gpuE7ELNS1_3repE0EEENS1_30default_config_static_selectorELNS0_4arch9wavefront6targetE0EEEvT1_
; %bb.0:
	.section	.rodata,"a",@progbits
	.p2align	6, 0x0
	.amdhsa_kernel _ZN7rocprim17ROCPRIM_400000_NS6detail17trampoline_kernelINS0_14default_configENS1_25partition_config_selectorILNS1_17partition_subalgoE6EyNS0_10empty_typeEbEEZZNS1_14partition_implILS5_6ELb0ES3_mN6thrust23THRUST_200600_302600_NS6detail15normal_iteratorINSA_10device_ptrIyEEEEPS6_SG_NS0_5tupleIJSF_S6_EEENSH_IJSG_SG_EEES6_PlJNSB_9not_fun_tI7is_trueIyEEEEEE10hipError_tPvRmT3_T4_T5_T6_T7_T9_mT8_P12ihipStream_tbDpT10_ENKUlT_T0_E_clISt17integral_constantIbLb1EES18_EEDaS13_S14_EUlS13_E_NS1_11comp_targetILNS1_3genE3ELNS1_11target_archE908ELNS1_3gpuE7ELNS1_3repE0EEENS1_30default_config_static_selectorELNS0_4arch9wavefront6targetE0EEEvT1_
		.amdhsa_group_segment_fixed_size 0
		.amdhsa_private_segment_fixed_size 0
		.amdhsa_kernarg_size 128
		.amdhsa_user_sgpr_count 2
		.amdhsa_user_sgpr_dispatch_ptr 0
		.amdhsa_user_sgpr_queue_ptr 0
		.amdhsa_user_sgpr_kernarg_segment_ptr 1
		.amdhsa_user_sgpr_dispatch_id 0
		.amdhsa_user_sgpr_private_segment_size 0
		.amdhsa_wavefront_size32 1
		.amdhsa_uses_dynamic_stack 0
		.amdhsa_enable_private_segment 0
		.amdhsa_system_sgpr_workgroup_id_x 1
		.amdhsa_system_sgpr_workgroup_id_y 0
		.amdhsa_system_sgpr_workgroup_id_z 0
		.amdhsa_system_sgpr_workgroup_info 0
		.amdhsa_system_vgpr_workitem_id 0
		.amdhsa_next_free_vgpr 1
		.amdhsa_next_free_sgpr 1
		.amdhsa_reserve_vcc 0
		.amdhsa_float_round_mode_32 0
		.amdhsa_float_round_mode_16_64 0
		.amdhsa_float_denorm_mode_32 3
		.amdhsa_float_denorm_mode_16_64 3
		.amdhsa_fp16_overflow 0
		.amdhsa_workgroup_processor_mode 1
		.amdhsa_memory_ordered 1
		.amdhsa_forward_progress 1
		.amdhsa_inst_pref_size 0
		.amdhsa_round_robin_scheduling 0
		.amdhsa_exception_fp_ieee_invalid_op 0
		.amdhsa_exception_fp_denorm_src 0
		.amdhsa_exception_fp_ieee_div_zero 0
		.amdhsa_exception_fp_ieee_overflow 0
		.amdhsa_exception_fp_ieee_underflow 0
		.amdhsa_exception_fp_ieee_inexact 0
		.amdhsa_exception_int_div_zero 0
	.end_amdhsa_kernel
	.section	.text._ZN7rocprim17ROCPRIM_400000_NS6detail17trampoline_kernelINS0_14default_configENS1_25partition_config_selectorILNS1_17partition_subalgoE6EyNS0_10empty_typeEbEEZZNS1_14partition_implILS5_6ELb0ES3_mN6thrust23THRUST_200600_302600_NS6detail15normal_iteratorINSA_10device_ptrIyEEEEPS6_SG_NS0_5tupleIJSF_S6_EEENSH_IJSG_SG_EEES6_PlJNSB_9not_fun_tI7is_trueIyEEEEEE10hipError_tPvRmT3_T4_T5_T6_T7_T9_mT8_P12ihipStream_tbDpT10_ENKUlT_T0_E_clISt17integral_constantIbLb1EES18_EEDaS13_S14_EUlS13_E_NS1_11comp_targetILNS1_3genE3ELNS1_11target_archE908ELNS1_3gpuE7ELNS1_3repE0EEENS1_30default_config_static_selectorELNS0_4arch9wavefront6targetE0EEEvT1_,"axG",@progbits,_ZN7rocprim17ROCPRIM_400000_NS6detail17trampoline_kernelINS0_14default_configENS1_25partition_config_selectorILNS1_17partition_subalgoE6EyNS0_10empty_typeEbEEZZNS1_14partition_implILS5_6ELb0ES3_mN6thrust23THRUST_200600_302600_NS6detail15normal_iteratorINSA_10device_ptrIyEEEEPS6_SG_NS0_5tupleIJSF_S6_EEENSH_IJSG_SG_EEES6_PlJNSB_9not_fun_tI7is_trueIyEEEEEE10hipError_tPvRmT3_T4_T5_T6_T7_T9_mT8_P12ihipStream_tbDpT10_ENKUlT_T0_E_clISt17integral_constantIbLb1EES18_EEDaS13_S14_EUlS13_E_NS1_11comp_targetILNS1_3genE3ELNS1_11target_archE908ELNS1_3gpuE7ELNS1_3repE0EEENS1_30default_config_static_selectorELNS0_4arch9wavefront6targetE0EEEvT1_,comdat
.Lfunc_end1120:
	.size	_ZN7rocprim17ROCPRIM_400000_NS6detail17trampoline_kernelINS0_14default_configENS1_25partition_config_selectorILNS1_17partition_subalgoE6EyNS0_10empty_typeEbEEZZNS1_14partition_implILS5_6ELb0ES3_mN6thrust23THRUST_200600_302600_NS6detail15normal_iteratorINSA_10device_ptrIyEEEEPS6_SG_NS0_5tupleIJSF_S6_EEENSH_IJSG_SG_EEES6_PlJNSB_9not_fun_tI7is_trueIyEEEEEE10hipError_tPvRmT3_T4_T5_T6_T7_T9_mT8_P12ihipStream_tbDpT10_ENKUlT_T0_E_clISt17integral_constantIbLb1EES18_EEDaS13_S14_EUlS13_E_NS1_11comp_targetILNS1_3genE3ELNS1_11target_archE908ELNS1_3gpuE7ELNS1_3repE0EEENS1_30default_config_static_selectorELNS0_4arch9wavefront6targetE0EEEvT1_, .Lfunc_end1120-_ZN7rocprim17ROCPRIM_400000_NS6detail17trampoline_kernelINS0_14default_configENS1_25partition_config_selectorILNS1_17partition_subalgoE6EyNS0_10empty_typeEbEEZZNS1_14partition_implILS5_6ELb0ES3_mN6thrust23THRUST_200600_302600_NS6detail15normal_iteratorINSA_10device_ptrIyEEEEPS6_SG_NS0_5tupleIJSF_S6_EEENSH_IJSG_SG_EEES6_PlJNSB_9not_fun_tI7is_trueIyEEEEEE10hipError_tPvRmT3_T4_T5_T6_T7_T9_mT8_P12ihipStream_tbDpT10_ENKUlT_T0_E_clISt17integral_constantIbLb1EES18_EEDaS13_S14_EUlS13_E_NS1_11comp_targetILNS1_3genE3ELNS1_11target_archE908ELNS1_3gpuE7ELNS1_3repE0EEENS1_30default_config_static_selectorELNS0_4arch9wavefront6targetE0EEEvT1_
                                        ; -- End function
	.set _ZN7rocprim17ROCPRIM_400000_NS6detail17trampoline_kernelINS0_14default_configENS1_25partition_config_selectorILNS1_17partition_subalgoE6EyNS0_10empty_typeEbEEZZNS1_14partition_implILS5_6ELb0ES3_mN6thrust23THRUST_200600_302600_NS6detail15normal_iteratorINSA_10device_ptrIyEEEEPS6_SG_NS0_5tupleIJSF_S6_EEENSH_IJSG_SG_EEES6_PlJNSB_9not_fun_tI7is_trueIyEEEEEE10hipError_tPvRmT3_T4_T5_T6_T7_T9_mT8_P12ihipStream_tbDpT10_ENKUlT_T0_E_clISt17integral_constantIbLb1EES18_EEDaS13_S14_EUlS13_E_NS1_11comp_targetILNS1_3genE3ELNS1_11target_archE908ELNS1_3gpuE7ELNS1_3repE0EEENS1_30default_config_static_selectorELNS0_4arch9wavefront6targetE0EEEvT1_.num_vgpr, 0
	.set _ZN7rocprim17ROCPRIM_400000_NS6detail17trampoline_kernelINS0_14default_configENS1_25partition_config_selectorILNS1_17partition_subalgoE6EyNS0_10empty_typeEbEEZZNS1_14partition_implILS5_6ELb0ES3_mN6thrust23THRUST_200600_302600_NS6detail15normal_iteratorINSA_10device_ptrIyEEEEPS6_SG_NS0_5tupleIJSF_S6_EEENSH_IJSG_SG_EEES6_PlJNSB_9not_fun_tI7is_trueIyEEEEEE10hipError_tPvRmT3_T4_T5_T6_T7_T9_mT8_P12ihipStream_tbDpT10_ENKUlT_T0_E_clISt17integral_constantIbLb1EES18_EEDaS13_S14_EUlS13_E_NS1_11comp_targetILNS1_3genE3ELNS1_11target_archE908ELNS1_3gpuE7ELNS1_3repE0EEENS1_30default_config_static_selectorELNS0_4arch9wavefront6targetE0EEEvT1_.num_agpr, 0
	.set _ZN7rocprim17ROCPRIM_400000_NS6detail17trampoline_kernelINS0_14default_configENS1_25partition_config_selectorILNS1_17partition_subalgoE6EyNS0_10empty_typeEbEEZZNS1_14partition_implILS5_6ELb0ES3_mN6thrust23THRUST_200600_302600_NS6detail15normal_iteratorINSA_10device_ptrIyEEEEPS6_SG_NS0_5tupleIJSF_S6_EEENSH_IJSG_SG_EEES6_PlJNSB_9not_fun_tI7is_trueIyEEEEEE10hipError_tPvRmT3_T4_T5_T6_T7_T9_mT8_P12ihipStream_tbDpT10_ENKUlT_T0_E_clISt17integral_constantIbLb1EES18_EEDaS13_S14_EUlS13_E_NS1_11comp_targetILNS1_3genE3ELNS1_11target_archE908ELNS1_3gpuE7ELNS1_3repE0EEENS1_30default_config_static_selectorELNS0_4arch9wavefront6targetE0EEEvT1_.numbered_sgpr, 0
	.set _ZN7rocprim17ROCPRIM_400000_NS6detail17trampoline_kernelINS0_14default_configENS1_25partition_config_selectorILNS1_17partition_subalgoE6EyNS0_10empty_typeEbEEZZNS1_14partition_implILS5_6ELb0ES3_mN6thrust23THRUST_200600_302600_NS6detail15normal_iteratorINSA_10device_ptrIyEEEEPS6_SG_NS0_5tupleIJSF_S6_EEENSH_IJSG_SG_EEES6_PlJNSB_9not_fun_tI7is_trueIyEEEEEE10hipError_tPvRmT3_T4_T5_T6_T7_T9_mT8_P12ihipStream_tbDpT10_ENKUlT_T0_E_clISt17integral_constantIbLb1EES18_EEDaS13_S14_EUlS13_E_NS1_11comp_targetILNS1_3genE3ELNS1_11target_archE908ELNS1_3gpuE7ELNS1_3repE0EEENS1_30default_config_static_selectorELNS0_4arch9wavefront6targetE0EEEvT1_.num_named_barrier, 0
	.set _ZN7rocprim17ROCPRIM_400000_NS6detail17trampoline_kernelINS0_14default_configENS1_25partition_config_selectorILNS1_17partition_subalgoE6EyNS0_10empty_typeEbEEZZNS1_14partition_implILS5_6ELb0ES3_mN6thrust23THRUST_200600_302600_NS6detail15normal_iteratorINSA_10device_ptrIyEEEEPS6_SG_NS0_5tupleIJSF_S6_EEENSH_IJSG_SG_EEES6_PlJNSB_9not_fun_tI7is_trueIyEEEEEE10hipError_tPvRmT3_T4_T5_T6_T7_T9_mT8_P12ihipStream_tbDpT10_ENKUlT_T0_E_clISt17integral_constantIbLb1EES18_EEDaS13_S14_EUlS13_E_NS1_11comp_targetILNS1_3genE3ELNS1_11target_archE908ELNS1_3gpuE7ELNS1_3repE0EEENS1_30default_config_static_selectorELNS0_4arch9wavefront6targetE0EEEvT1_.private_seg_size, 0
	.set _ZN7rocprim17ROCPRIM_400000_NS6detail17trampoline_kernelINS0_14default_configENS1_25partition_config_selectorILNS1_17partition_subalgoE6EyNS0_10empty_typeEbEEZZNS1_14partition_implILS5_6ELb0ES3_mN6thrust23THRUST_200600_302600_NS6detail15normal_iteratorINSA_10device_ptrIyEEEEPS6_SG_NS0_5tupleIJSF_S6_EEENSH_IJSG_SG_EEES6_PlJNSB_9not_fun_tI7is_trueIyEEEEEE10hipError_tPvRmT3_T4_T5_T6_T7_T9_mT8_P12ihipStream_tbDpT10_ENKUlT_T0_E_clISt17integral_constantIbLb1EES18_EEDaS13_S14_EUlS13_E_NS1_11comp_targetILNS1_3genE3ELNS1_11target_archE908ELNS1_3gpuE7ELNS1_3repE0EEENS1_30default_config_static_selectorELNS0_4arch9wavefront6targetE0EEEvT1_.uses_vcc, 0
	.set _ZN7rocprim17ROCPRIM_400000_NS6detail17trampoline_kernelINS0_14default_configENS1_25partition_config_selectorILNS1_17partition_subalgoE6EyNS0_10empty_typeEbEEZZNS1_14partition_implILS5_6ELb0ES3_mN6thrust23THRUST_200600_302600_NS6detail15normal_iteratorINSA_10device_ptrIyEEEEPS6_SG_NS0_5tupleIJSF_S6_EEENSH_IJSG_SG_EEES6_PlJNSB_9not_fun_tI7is_trueIyEEEEEE10hipError_tPvRmT3_T4_T5_T6_T7_T9_mT8_P12ihipStream_tbDpT10_ENKUlT_T0_E_clISt17integral_constantIbLb1EES18_EEDaS13_S14_EUlS13_E_NS1_11comp_targetILNS1_3genE3ELNS1_11target_archE908ELNS1_3gpuE7ELNS1_3repE0EEENS1_30default_config_static_selectorELNS0_4arch9wavefront6targetE0EEEvT1_.uses_flat_scratch, 0
	.set _ZN7rocprim17ROCPRIM_400000_NS6detail17trampoline_kernelINS0_14default_configENS1_25partition_config_selectorILNS1_17partition_subalgoE6EyNS0_10empty_typeEbEEZZNS1_14partition_implILS5_6ELb0ES3_mN6thrust23THRUST_200600_302600_NS6detail15normal_iteratorINSA_10device_ptrIyEEEEPS6_SG_NS0_5tupleIJSF_S6_EEENSH_IJSG_SG_EEES6_PlJNSB_9not_fun_tI7is_trueIyEEEEEE10hipError_tPvRmT3_T4_T5_T6_T7_T9_mT8_P12ihipStream_tbDpT10_ENKUlT_T0_E_clISt17integral_constantIbLb1EES18_EEDaS13_S14_EUlS13_E_NS1_11comp_targetILNS1_3genE3ELNS1_11target_archE908ELNS1_3gpuE7ELNS1_3repE0EEENS1_30default_config_static_selectorELNS0_4arch9wavefront6targetE0EEEvT1_.has_dyn_sized_stack, 0
	.set _ZN7rocprim17ROCPRIM_400000_NS6detail17trampoline_kernelINS0_14default_configENS1_25partition_config_selectorILNS1_17partition_subalgoE6EyNS0_10empty_typeEbEEZZNS1_14partition_implILS5_6ELb0ES3_mN6thrust23THRUST_200600_302600_NS6detail15normal_iteratorINSA_10device_ptrIyEEEEPS6_SG_NS0_5tupleIJSF_S6_EEENSH_IJSG_SG_EEES6_PlJNSB_9not_fun_tI7is_trueIyEEEEEE10hipError_tPvRmT3_T4_T5_T6_T7_T9_mT8_P12ihipStream_tbDpT10_ENKUlT_T0_E_clISt17integral_constantIbLb1EES18_EEDaS13_S14_EUlS13_E_NS1_11comp_targetILNS1_3genE3ELNS1_11target_archE908ELNS1_3gpuE7ELNS1_3repE0EEENS1_30default_config_static_selectorELNS0_4arch9wavefront6targetE0EEEvT1_.has_recursion, 0
	.set _ZN7rocprim17ROCPRIM_400000_NS6detail17trampoline_kernelINS0_14default_configENS1_25partition_config_selectorILNS1_17partition_subalgoE6EyNS0_10empty_typeEbEEZZNS1_14partition_implILS5_6ELb0ES3_mN6thrust23THRUST_200600_302600_NS6detail15normal_iteratorINSA_10device_ptrIyEEEEPS6_SG_NS0_5tupleIJSF_S6_EEENSH_IJSG_SG_EEES6_PlJNSB_9not_fun_tI7is_trueIyEEEEEE10hipError_tPvRmT3_T4_T5_T6_T7_T9_mT8_P12ihipStream_tbDpT10_ENKUlT_T0_E_clISt17integral_constantIbLb1EES18_EEDaS13_S14_EUlS13_E_NS1_11comp_targetILNS1_3genE3ELNS1_11target_archE908ELNS1_3gpuE7ELNS1_3repE0EEENS1_30default_config_static_selectorELNS0_4arch9wavefront6targetE0EEEvT1_.has_indirect_call, 0
	.section	.AMDGPU.csdata,"",@progbits
; Kernel info:
; codeLenInByte = 0
; TotalNumSgprs: 0
; NumVgprs: 0
; ScratchSize: 0
; MemoryBound: 0
; FloatMode: 240
; IeeeMode: 1
; LDSByteSize: 0 bytes/workgroup (compile time only)
; SGPRBlocks: 0
; VGPRBlocks: 0
; NumSGPRsForWavesPerEU: 1
; NumVGPRsForWavesPerEU: 1
; Occupancy: 16
; WaveLimiterHint : 0
; COMPUTE_PGM_RSRC2:SCRATCH_EN: 0
; COMPUTE_PGM_RSRC2:USER_SGPR: 2
; COMPUTE_PGM_RSRC2:TRAP_HANDLER: 0
; COMPUTE_PGM_RSRC2:TGID_X_EN: 1
; COMPUTE_PGM_RSRC2:TGID_Y_EN: 0
; COMPUTE_PGM_RSRC2:TGID_Z_EN: 0
; COMPUTE_PGM_RSRC2:TIDIG_COMP_CNT: 0
	.section	.text._ZN7rocprim17ROCPRIM_400000_NS6detail17trampoline_kernelINS0_14default_configENS1_25partition_config_selectorILNS1_17partition_subalgoE6EyNS0_10empty_typeEbEEZZNS1_14partition_implILS5_6ELb0ES3_mN6thrust23THRUST_200600_302600_NS6detail15normal_iteratorINSA_10device_ptrIyEEEEPS6_SG_NS0_5tupleIJSF_S6_EEENSH_IJSG_SG_EEES6_PlJNSB_9not_fun_tI7is_trueIyEEEEEE10hipError_tPvRmT3_T4_T5_T6_T7_T9_mT8_P12ihipStream_tbDpT10_ENKUlT_T0_E_clISt17integral_constantIbLb1EES18_EEDaS13_S14_EUlS13_E_NS1_11comp_targetILNS1_3genE2ELNS1_11target_archE906ELNS1_3gpuE6ELNS1_3repE0EEENS1_30default_config_static_selectorELNS0_4arch9wavefront6targetE0EEEvT1_,"axG",@progbits,_ZN7rocprim17ROCPRIM_400000_NS6detail17trampoline_kernelINS0_14default_configENS1_25partition_config_selectorILNS1_17partition_subalgoE6EyNS0_10empty_typeEbEEZZNS1_14partition_implILS5_6ELb0ES3_mN6thrust23THRUST_200600_302600_NS6detail15normal_iteratorINSA_10device_ptrIyEEEEPS6_SG_NS0_5tupleIJSF_S6_EEENSH_IJSG_SG_EEES6_PlJNSB_9not_fun_tI7is_trueIyEEEEEE10hipError_tPvRmT3_T4_T5_T6_T7_T9_mT8_P12ihipStream_tbDpT10_ENKUlT_T0_E_clISt17integral_constantIbLb1EES18_EEDaS13_S14_EUlS13_E_NS1_11comp_targetILNS1_3genE2ELNS1_11target_archE906ELNS1_3gpuE6ELNS1_3repE0EEENS1_30default_config_static_selectorELNS0_4arch9wavefront6targetE0EEEvT1_,comdat
	.protected	_ZN7rocprim17ROCPRIM_400000_NS6detail17trampoline_kernelINS0_14default_configENS1_25partition_config_selectorILNS1_17partition_subalgoE6EyNS0_10empty_typeEbEEZZNS1_14partition_implILS5_6ELb0ES3_mN6thrust23THRUST_200600_302600_NS6detail15normal_iteratorINSA_10device_ptrIyEEEEPS6_SG_NS0_5tupleIJSF_S6_EEENSH_IJSG_SG_EEES6_PlJNSB_9not_fun_tI7is_trueIyEEEEEE10hipError_tPvRmT3_T4_T5_T6_T7_T9_mT8_P12ihipStream_tbDpT10_ENKUlT_T0_E_clISt17integral_constantIbLb1EES18_EEDaS13_S14_EUlS13_E_NS1_11comp_targetILNS1_3genE2ELNS1_11target_archE906ELNS1_3gpuE6ELNS1_3repE0EEENS1_30default_config_static_selectorELNS0_4arch9wavefront6targetE0EEEvT1_ ; -- Begin function _ZN7rocprim17ROCPRIM_400000_NS6detail17trampoline_kernelINS0_14default_configENS1_25partition_config_selectorILNS1_17partition_subalgoE6EyNS0_10empty_typeEbEEZZNS1_14partition_implILS5_6ELb0ES3_mN6thrust23THRUST_200600_302600_NS6detail15normal_iteratorINSA_10device_ptrIyEEEEPS6_SG_NS0_5tupleIJSF_S6_EEENSH_IJSG_SG_EEES6_PlJNSB_9not_fun_tI7is_trueIyEEEEEE10hipError_tPvRmT3_T4_T5_T6_T7_T9_mT8_P12ihipStream_tbDpT10_ENKUlT_T0_E_clISt17integral_constantIbLb1EES18_EEDaS13_S14_EUlS13_E_NS1_11comp_targetILNS1_3genE2ELNS1_11target_archE906ELNS1_3gpuE6ELNS1_3repE0EEENS1_30default_config_static_selectorELNS0_4arch9wavefront6targetE0EEEvT1_
	.globl	_ZN7rocprim17ROCPRIM_400000_NS6detail17trampoline_kernelINS0_14default_configENS1_25partition_config_selectorILNS1_17partition_subalgoE6EyNS0_10empty_typeEbEEZZNS1_14partition_implILS5_6ELb0ES3_mN6thrust23THRUST_200600_302600_NS6detail15normal_iteratorINSA_10device_ptrIyEEEEPS6_SG_NS0_5tupleIJSF_S6_EEENSH_IJSG_SG_EEES6_PlJNSB_9not_fun_tI7is_trueIyEEEEEE10hipError_tPvRmT3_T4_T5_T6_T7_T9_mT8_P12ihipStream_tbDpT10_ENKUlT_T0_E_clISt17integral_constantIbLb1EES18_EEDaS13_S14_EUlS13_E_NS1_11comp_targetILNS1_3genE2ELNS1_11target_archE906ELNS1_3gpuE6ELNS1_3repE0EEENS1_30default_config_static_selectorELNS0_4arch9wavefront6targetE0EEEvT1_
	.p2align	8
	.type	_ZN7rocprim17ROCPRIM_400000_NS6detail17trampoline_kernelINS0_14default_configENS1_25partition_config_selectorILNS1_17partition_subalgoE6EyNS0_10empty_typeEbEEZZNS1_14partition_implILS5_6ELb0ES3_mN6thrust23THRUST_200600_302600_NS6detail15normal_iteratorINSA_10device_ptrIyEEEEPS6_SG_NS0_5tupleIJSF_S6_EEENSH_IJSG_SG_EEES6_PlJNSB_9not_fun_tI7is_trueIyEEEEEE10hipError_tPvRmT3_T4_T5_T6_T7_T9_mT8_P12ihipStream_tbDpT10_ENKUlT_T0_E_clISt17integral_constantIbLb1EES18_EEDaS13_S14_EUlS13_E_NS1_11comp_targetILNS1_3genE2ELNS1_11target_archE906ELNS1_3gpuE6ELNS1_3repE0EEENS1_30default_config_static_selectorELNS0_4arch9wavefront6targetE0EEEvT1_,@function
_ZN7rocprim17ROCPRIM_400000_NS6detail17trampoline_kernelINS0_14default_configENS1_25partition_config_selectorILNS1_17partition_subalgoE6EyNS0_10empty_typeEbEEZZNS1_14partition_implILS5_6ELb0ES3_mN6thrust23THRUST_200600_302600_NS6detail15normal_iteratorINSA_10device_ptrIyEEEEPS6_SG_NS0_5tupleIJSF_S6_EEENSH_IJSG_SG_EEES6_PlJNSB_9not_fun_tI7is_trueIyEEEEEE10hipError_tPvRmT3_T4_T5_T6_T7_T9_mT8_P12ihipStream_tbDpT10_ENKUlT_T0_E_clISt17integral_constantIbLb1EES18_EEDaS13_S14_EUlS13_E_NS1_11comp_targetILNS1_3genE2ELNS1_11target_archE906ELNS1_3gpuE6ELNS1_3repE0EEENS1_30default_config_static_selectorELNS0_4arch9wavefront6targetE0EEEvT1_: ; @_ZN7rocprim17ROCPRIM_400000_NS6detail17trampoline_kernelINS0_14default_configENS1_25partition_config_selectorILNS1_17partition_subalgoE6EyNS0_10empty_typeEbEEZZNS1_14partition_implILS5_6ELb0ES3_mN6thrust23THRUST_200600_302600_NS6detail15normal_iteratorINSA_10device_ptrIyEEEEPS6_SG_NS0_5tupleIJSF_S6_EEENSH_IJSG_SG_EEES6_PlJNSB_9not_fun_tI7is_trueIyEEEEEE10hipError_tPvRmT3_T4_T5_T6_T7_T9_mT8_P12ihipStream_tbDpT10_ENKUlT_T0_E_clISt17integral_constantIbLb1EES18_EEDaS13_S14_EUlS13_E_NS1_11comp_targetILNS1_3genE2ELNS1_11target_archE906ELNS1_3gpuE6ELNS1_3repE0EEENS1_30default_config_static_selectorELNS0_4arch9wavefront6targetE0EEEvT1_
; %bb.0:
	.section	.rodata,"a",@progbits
	.p2align	6, 0x0
	.amdhsa_kernel _ZN7rocprim17ROCPRIM_400000_NS6detail17trampoline_kernelINS0_14default_configENS1_25partition_config_selectorILNS1_17partition_subalgoE6EyNS0_10empty_typeEbEEZZNS1_14partition_implILS5_6ELb0ES3_mN6thrust23THRUST_200600_302600_NS6detail15normal_iteratorINSA_10device_ptrIyEEEEPS6_SG_NS0_5tupleIJSF_S6_EEENSH_IJSG_SG_EEES6_PlJNSB_9not_fun_tI7is_trueIyEEEEEE10hipError_tPvRmT3_T4_T5_T6_T7_T9_mT8_P12ihipStream_tbDpT10_ENKUlT_T0_E_clISt17integral_constantIbLb1EES18_EEDaS13_S14_EUlS13_E_NS1_11comp_targetILNS1_3genE2ELNS1_11target_archE906ELNS1_3gpuE6ELNS1_3repE0EEENS1_30default_config_static_selectorELNS0_4arch9wavefront6targetE0EEEvT1_
		.amdhsa_group_segment_fixed_size 0
		.amdhsa_private_segment_fixed_size 0
		.amdhsa_kernarg_size 128
		.amdhsa_user_sgpr_count 2
		.amdhsa_user_sgpr_dispatch_ptr 0
		.amdhsa_user_sgpr_queue_ptr 0
		.amdhsa_user_sgpr_kernarg_segment_ptr 1
		.amdhsa_user_sgpr_dispatch_id 0
		.amdhsa_user_sgpr_private_segment_size 0
		.amdhsa_wavefront_size32 1
		.amdhsa_uses_dynamic_stack 0
		.amdhsa_enable_private_segment 0
		.amdhsa_system_sgpr_workgroup_id_x 1
		.amdhsa_system_sgpr_workgroup_id_y 0
		.amdhsa_system_sgpr_workgroup_id_z 0
		.amdhsa_system_sgpr_workgroup_info 0
		.amdhsa_system_vgpr_workitem_id 0
		.amdhsa_next_free_vgpr 1
		.amdhsa_next_free_sgpr 1
		.amdhsa_reserve_vcc 0
		.amdhsa_float_round_mode_32 0
		.amdhsa_float_round_mode_16_64 0
		.amdhsa_float_denorm_mode_32 3
		.amdhsa_float_denorm_mode_16_64 3
		.amdhsa_fp16_overflow 0
		.amdhsa_workgroup_processor_mode 1
		.amdhsa_memory_ordered 1
		.amdhsa_forward_progress 1
		.amdhsa_inst_pref_size 0
		.amdhsa_round_robin_scheduling 0
		.amdhsa_exception_fp_ieee_invalid_op 0
		.amdhsa_exception_fp_denorm_src 0
		.amdhsa_exception_fp_ieee_div_zero 0
		.amdhsa_exception_fp_ieee_overflow 0
		.amdhsa_exception_fp_ieee_underflow 0
		.amdhsa_exception_fp_ieee_inexact 0
		.amdhsa_exception_int_div_zero 0
	.end_amdhsa_kernel
	.section	.text._ZN7rocprim17ROCPRIM_400000_NS6detail17trampoline_kernelINS0_14default_configENS1_25partition_config_selectorILNS1_17partition_subalgoE6EyNS0_10empty_typeEbEEZZNS1_14partition_implILS5_6ELb0ES3_mN6thrust23THRUST_200600_302600_NS6detail15normal_iteratorINSA_10device_ptrIyEEEEPS6_SG_NS0_5tupleIJSF_S6_EEENSH_IJSG_SG_EEES6_PlJNSB_9not_fun_tI7is_trueIyEEEEEE10hipError_tPvRmT3_T4_T5_T6_T7_T9_mT8_P12ihipStream_tbDpT10_ENKUlT_T0_E_clISt17integral_constantIbLb1EES18_EEDaS13_S14_EUlS13_E_NS1_11comp_targetILNS1_3genE2ELNS1_11target_archE906ELNS1_3gpuE6ELNS1_3repE0EEENS1_30default_config_static_selectorELNS0_4arch9wavefront6targetE0EEEvT1_,"axG",@progbits,_ZN7rocprim17ROCPRIM_400000_NS6detail17trampoline_kernelINS0_14default_configENS1_25partition_config_selectorILNS1_17partition_subalgoE6EyNS0_10empty_typeEbEEZZNS1_14partition_implILS5_6ELb0ES3_mN6thrust23THRUST_200600_302600_NS6detail15normal_iteratorINSA_10device_ptrIyEEEEPS6_SG_NS0_5tupleIJSF_S6_EEENSH_IJSG_SG_EEES6_PlJNSB_9not_fun_tI7is_trueIyEEEEEE10hipError_tPvRmT3_T4_T5_T6_T7_T9_mT8_P12ihipStream_tbDpT10_ENKUlT_T0_E_clISt17integral_constantIbLb1EES18_EEDaS13_S14_EUlS13_E_NS1_11comp_targetILNS1_3genE2ELNS1_11target_archE906ELNS1_3gpuE6ELNS1_3repE0EEENS1_30default_config_static_selectorELNS0_4arch9wavefront6targetE0EEEvT1_,comdat
.Lfunc_end1121:
	.size	_ZN7rocprim17ROCPRIM_400000_NS6detail17trampoline_kernelINS0_14default_configENS1_25partition_config_selectorILNS1_17partition_subalgoE6EyNS0_10empty_typeEbEEZZNS1_14partition_implILS5_6ELb0ES3_mN6thrust23THRUST_200600_302600_NS6detail15normal_iteratorINSA_10device_ptrIyEEEEPS6_SG_NS0_5tupleIJSF_S6_EEENSH_IJSG_SG_EEES6_PlJNSB_9not_fun_tI7is_trueIyEEEEEE10hipError_tPvRmT3_T4_T5_T6_T7_T9_mT8_P12ihipStream_tbDpT10_ENKUlT_T0_E_clISt17integral_constantIbLb1EES18_EEDaS13_S14_EUlS13_E_NS1_11comp_targetILNS1_3genE2ELNS1_11target_archE906ELNS1_3gpuE6ELNS1_3repE0EEENS1_30default_config_static_selectorELNS0_4arch9wavefront6targetE0EEEvT1_, .Lfunc_end1121-_ZN7rocprim17ROCPRIM_400000_NS6detail17trampoline_kernelINS0_14default_configENS1_25partition_config_selectorILNS1_17partition_subalgoE6EyNS0_10empty_typeEbEEZZNS1_14partition_implILS5_6ELb0ES3_mN6thrust23THRUST_200600_302600_NS6detail15normal_iteratorINSA_10device_ptrIyEEEEPS6_SG_NS0_5tupleIJSF_S6_EEENSH_IJSG_SG_EEES6_PlJNSB_9not_fun_tI7is_trueIyEEEEEE10hipError_tPvRmT3_T4_T5_T6_T7_T9_mT8_P12ihipStream_tbDpT10_ENKUlT_T0_E_clISt17integral_constantIbLb1EES18_EEDaS13_S14_EUlS13_E_NS1_11comp_targetILNS1_3genE2ELNS1_11target_archE906ELNS1_3gpuE6ELNS1_3repE0EEENS1_30default_config_static_selectorELNS0_4arch9wavefront6targetE0EEEvT1_
                                        ; -- End function
	.set _ZN7rocprim17ROCPRIM_400000_NS6detail17trampoline_kernelINS0_14default_configENS1_25partition_config_selectorILNS1_17partition_subalgoE6EyNS0_10empty_typeEbEEZZNS1_14partition_implILS5_6ELb0ES3_mN6thrust23THRUST_200600_302600_NS6detail15normal_iteratorINSA_10device_ptrIyEEEEPS6_SG_NS0_5tupleIJSF_S6_EEENSH_IJSG_SG_EEES6_PlJNSB_9not_fun_tI7is_trueIyEEEEEE10hipError_tPvRmT3_T4_T5_T6_T7_T9_mT8_P12ihipStream_tbDpT10_ENKUlT_T0_E_clISt17integral_constantIbLb1EES18_EEDaS13_S14_EUlS13_E_NS1_11comp_targetILNS1_3genE2ELNS1_11target_archE906ELNS1_3gpuE6ELNS1_3repE0EEENS1_30default_config_static_selectorELNS0_4arch9wavefront6targetE0EEEvT1_.num_vgpr, 0
	.set _ZN7rocprim17ROCPRIM_400000_NS6detail17trampoline_kernelINS0_14default_configENS1_25partition_config_selectorILNS1_17partition_subalgoE6EyNS0_10empty_typeEbEEZZNS1_14partition_implILS5_6ELb0ES3_mN6thrust23THRUST_200600_302600_NS6detail15normal_iteratorINSA_10device_ptrIyEEEEPS6_SG_NS0_5tupleIJSF_S6_EEENSH_IJSG_SG_EEES6_PlJNSB_9not_fun_tI7is_trueIyEEEEEE10hipError_tPvRmT3_T4_T5_T6_T7_T9_mT8_P12ihipStream_tbDpT10_ENKUlT_T0_E_clISt17integral_constantIbLb1EES18_EEDaS13_S14_EUlS13_E_NS1_11comp_targetILNS1_3genE2ELNS1_11target_archE906ELNS1_3gpuE6ELNS1_3repE0EEENS1_30default_config_static_selectorELNS0_4arch9wavefront6targetE0EEEvT1_.num_agpr, 0
	.set _ZN7rocprim17ROCPRIM_400000_NS6detail17trampoline_kernelINS0_14default_configENS1_25partition_config_selectorILNS1_17partition_subalgoE6EyNS0_10empty_typeEbEEZZNS1_14partition_implILS5_6ELb0ES3_mN6thrust23THRUST_200600_302600_NS6detail15normal_iteratorINSA_10device_ptrIyEEEEPS6_SG_NS0_5tupleIJSF_S6_EEENSH_IJSG_SG_EEES6_PlJNSB_9not_fun_tI7is_trueIyEEEEEE10hipError_tPvRmT3_T4_T5_T6_T7_T9_mT8_P12ihipStream_tbDpT10_ENKUlT_T0_E_clISt17integral_constantIbLb1EES18_EEDaS13_S14_EUlS13_E_NS1_11comp_targetILNS1_3genE2ELNS1_11target_archE906ELNS1_3gpuE6ELNS1_3repE0EEENS1_30default_config_static_selectorELNS0_4arch9wavefront6targetE0EEEvT1_.numbered_sgpr, 0
	.set _ZN7rocprim17ROCPRIM_400000_NS6detail17trampoline_kernelINS0_14default_configENS1_25partition_config_selectorILNS1_17partition_subalgoE6EyNS0_10empty_typeEbEEZZNS1_14partition_implILS5_6ELb0ES3_mN6thrust23THRUST_200600_302600_NS6detail15normal_iteratorINSA_10device_ptrIyEEEEPS6_SG_NS0_5tupleIJSF_S6_EEENSH_IJSG_SG_EEES6_PlJNSB_9not_fun_tI7is_trueIyEEEEEE10hipError_tPvRmT3_T4_T5_T6_T7_T9_mT8_P12ihipStream_tbDpT10_ENKUlT_T0_E_clISt17integral_constantIbLb1EES18_EEDaS13_S14_EUlS13_E_NS1_11comp_targetILNS1_3genE2ELNS1_11target_archE906ELNS1_3gpuE6ELNS1_3repE0EEENS1_30default_config_static_selectorELNS0_4arch9wavefront6targetE0EEEvT1_.num_named_barrier, 0
	.set _ZN7rocprim17ROCPRIM_400000_NS6detail17trampoline_kernelINS0_14default_configENS1_25partition_config_selectorILNS1_17partition_subalgoE6EyNS0_10empty_typeEbEEZZNS1_14partition_implILS5_6ELb0ES3_mN6thrust23THRUST_200600_302600_NS6detail15normal_iteratorINSA_10device_ptrIyEEEEPS6_SG_NS0_5tupleIJSF_S6_EEENSH_IJSG_SG_EEES6_PlJNSB_9not_fun_tI7is_trueIyEEEEEE10hipError_tPvRmT3_T4_T5_T6_T7_T9_mT8_P12ihipStream_tbDpT10_ENKUlT_T0_E_clISt17integral_constantIbLb1EES18_EEDaS13_S14_EUlS13_E_NS1_11comp_targetILNS1_3genE2ELNS1_11target_archE906ELNS1_3gpuE6ELNS1_3repE0EEENS1_30default_config_static_selectorELNS0_4arch9wavefront6targetE0EEEvT1_.private_seg_size, 0
	.set _ZN7rocprim17ROCPRIM_400000_NS6detail17trampoline_kernelINS0_14default_configENS1_25partition_config_selectorILNS1_17partition_subalgoE6EyNS0_10empty_typeEbEEZZNS1_14partition_implILS5_6ELb0ES3_mN6thrust23THRUST_200600_302600_NS6detail15normal_iteratorINSA_10device_ptrIyEEEEPS6_SG_NS0_5tupleIJSF_S6_EEENSH_IJSG_SG_EEES6_PlJNSB_9not_fun_tI7is_trueIyEEEEEE10hipError_tPvRmT3_T4_T5_T6_T7_T9_mT8_P12ihipStream_tbDpT10_ENKUlT_T0_E_clISt17integral_constantIbLb1EES18_EEDaS13_S14_EUlS13_E_NS1_11comp_targetILNS1_3genE2ELNS1_11target_archE906ELNS1_3gpuE6ELNS1_3repE0EEENS1_30default_config_static_selectorELNS0_4arch9wavefront6targetE0EEEvT1_.uses_vcc, 0
	.set _ZN7rocprim17ROCPRIM_400000_NS6detail17trampoline_kernelINS0_14default_configENS1_25partition_config_selectorILNS1_17partition_subalgoE6EyNS0_10empty_typeEbEEZZNS1_14partition_implILS5_6ELb0ES3_mN6thrust23THRUST_200600_302600_NS6detail15normal_iteratorINSA_10device_ptrIyEEEEPS6_SG_NS0_5tupleIJSF_S6_EEENSH_IJSG_SG_EEES6_PlJNSB_9not_fun_tI7is_trueIyEEEEEE10hipError_tPvRmT3_T4_T5_T6_T7_T9_mT8_P12ihipStream_tbDpT10_ENKUlT_T0_E_clISt17integral_constantIbLb1EES18_EEDaS13_S14_EUlS13_E_NS1_11comp_targetILNS1_3genE2ELNS1_11target_archE906ELNS1_3gpuE6ELNS1_3repE0EEENS1_30default_config_static_selectorELNS0_4arch9wavefront6targetE0EEEvT1_.uses_flat_scratch, 0
	.set _ZN7rocprim17ROCPRIM_400000_NS6detail17trampoline_kernelINS0_14default_configENS1_25partition_config_selectorILNS1_17partition_subalgoE6EyNS0_10empty_typeEbEEZZNS1_14partition_implILS5_6ELb0ES3_mN6thrust23THRUST_200600_302600_NS6detail15normal_iteratorINSA_10device_ptrIyEEEEPS6_SG_NS0_5tupleIJSF_S6_EEENSH_IJSG_SG_EEES6_PlJNSB_9not_fun_tI7is_trueIyEEEEEE10hipError_tPvRmT3_T4_T5_T6_T7_T9_mT8_P12ihipStream_tbDpT10_ENKUlT_T0_E_clISt17integral_constantIbLb1EES18_EEDaS13_S14_EUlS13_E_NS1_11comp_targetILNS1_3genE2ELNS1_11target_archE906ELNS1_3gpuE6ELNS1_3repE0EEENS1_30default_config_static_selectorELNS0_4arch9wavefront6targetE0EEEvT1_.has_dyn_sized_stack, 0
	.set _ZN7rocprim17ROCPRIM_400000_NS6detail17trampoline_kernelINS0_14default_configENS1_25partition_config_selectorILNS1_17partition_subalgoE6EyNS0_10empty_typeEbEEZZNS1_14partition_implILS5_6ELb0ES3_mN6thrust23THRUST_200600_302600_NS6detail15normal_iteratorINSA_10device_ptrIyEEEEPS6_SG_NS0_5tupleIJSF_S6_EEENSH_IJSG_SG_EEES6_PlJNSB_9not_fun_tI7is_trueIyEEEEEE10hipError_tPvRmT3_T4_T5_T6_T7_T9_mT8_P12ihipStream_tbDpT10_ENKUlT_T0_E_clISt17integral_constantIbLb1EES18_EEDaS13_S14_EUlS13_E_NS1_11comp_targetILNS1_3genE2ELNS1_11target_archE906ELNS1_3gpuE6ELNS1_3repE0EEENS1_30default_config_static_selectorELNS0_4arch9wavefront6targetE0EEEvT1_.has_recursion, 0
	.set _ZN7rocprim17ROCPRIM_400000_NS6detail17trampoline_kernelINS0_14default_configENS1_25partition_config_selectorILNS1_17partition_subalgoE6EyNS0_10empty_typeEbEEZZNS1_14partition_implILS5_6ELb0ES3_mN6thrust23THRUST_200600_302600_NS6detail15normal_iteratorINSA_10device_ptrIyEEEEPS6_SG_NS0_5tupleIJSF_S6_EEENSH_IJSG_SG_EEES6_PlJNSB_9not_fun_tI7is_trueIyEEEEEE10hipError_tPvRmT3_T4_T5_T6_T7_T9_mT8_P12ihipStream_tbDpT10_ENKUlT_T0_E_clISt17integral_constantIbLb1EES18_EEDaS13_S14_EUlS13_E_NS1_11comp_targetILNS1_3genE2ELNS1_11target_archE906ELNS1_3gpuE6ELNS1_3repE0EEENS1_30default_config_static_selectorELNS0_4arch9wavefront6targetE0EEEvT1_.has_indirect_call, 0
	.section	.AMDGPU.csdata,"",@progbits
; Kernel info:
; codeLenInByte = 0
; TotalNumSgprs: 0
; NumVgprs: 0
; ScratchSize: 0
; MemoryBound: 0
; FloatMode: 240
; IeeeMode: 1
; LDSByteSize: 0 bytes/workgroup (compile time only)
; SGPRBlocks: 0
; VGPRBlocks: 0
; NumSGPRsForWavesPerEU: 1
; NumVGPRsForWavesPerEU: 1
; Occupancy: 16
; WaveLimiterHint : 0
; COMPUTE_PGM_RSRC2:SCRATCH_EN: 0
; COMPUTE_PGM_RSRC2:USER_SGPR: 2
; COMPUTE_PGM_RSRC2:TRAP_HANDLER: 0
; COMPUTE_PGM_RSRC2:TGID_X_EN: 1
; COMPUTE_PGM_RSRC2:TGID_Y_EN: 0
; COMPUTE_PGM_RSRC2:TGID_Z_EN: 0
; COMPUTE_PGM_RSRC2:TIDIG_COMP_CNT: 0
	.section	.text._ZN7rocprim17ROCPRIM_400000_NS6detail17trampoline_kernelINS0_14default_configENS1_25partition_config_selectorILNS1_17partition_subalgoE6EyNS0_10empty_typeEbEEZZNS1_14partition_implILS5_6ELb0ES3_mN6thrust23THRUST_200600_302600_NS6detail15normal_iteratorINSA_10device_ptrIyEEEEPS6_SG_NS0_5tupleIJSF_S6_EEENSH_IJSG_SG_EEES6_PlJNSB_9not_fun_tI7is_trueIyEEEEEE10hipError_tPvRmT3_T4_T5_T6_T7_T9_mT8_P12ihipStream_tbDpT10_ENKUlT_T0_E_clISt17integral_constantIbLb1EES18_EEDaS13_S14_EUlS13_E_NS1_11comp_targetILNS1_3genE10ELNS1_11target_archE1200ELNS1_3gpuE4ELNS1_3repE0EEENS1_30default_config_static_selectorELNS0_4arch9wavefront6targetE0EEEvT1_,"axG",@progbits,_ZN7rocprim17ROCPRIM_400000_NS6detail17trampoline_kernelINS0_14default_configENS1_25partition_config_selectorILNS1_17partition_subalgoE6EyNS0_10empty_typeEbEEZZNS1_14partition_implILS5_6ELb0ES3_mN6thrust23THRUST_200600_302600_NS6detail15normal_iteratorINSA_10device_ptrIyEEEEPS6_SG_NS0_5tupleIJSF_S6_EEENSH_IJSG_SG_EEES6_PlJNSB_9not_fun_tI7is_trueIyEEEEEE10hipError_tPvRmT3_T4_T5_T6_T7_T9_mT8_P12ihipStream_tbDpT10_ENKUlT_T0_E_clISt17integral_constantIbLb1EES18_EEDaS13_S14_EUlS13_E_NS1_11comp_targetILNS1_3genE10ELNS1_11target_archE1200ELNS1_3gpuE4ELNS1_3repE0EEENS1_30default_config_static_selectorELNS0_4arch9wavefront6targetE0EEEvT1_,comdat
	.protected	_ZN7rocprim17ROCPRIM_400000_NS6detail17trampoline_kernelINS0_14default_configENS1_25partition_config_selectorILNS1_17partition_subalgoE6EyNS0_10empty_typeEbEEZZNS1_14partition_implILS5_6ELb0ES3_mN6thrust23THRUST_200600_302600_NS6detail15normal_iteratorINSA_10device_ptrIyEEEEPS6_SG_NS0_5tupleIJSF_S6_EEENSH_IJSG_SG_EEES6_PlJNSB_9not_fun_tI7is_trueIyEEEEEE10hipError_tPvRmT3_T4_T5_T6_T7_T9_mT8_P12ihipStream_tbDpT10_ENKUlT_T0_E_clISt17integral_constantIbLb1EES18_EEDaS13_S14_EUlS13_E_NS1_11comp_targetILNS1_3genE10ELNS1_11target_archE1200ELNS1_3gpuE4ELNS1_3repE0EEENS1_30default_config_static_selectorELNS0_4arch9wavefront6targetE0EEEvT1_ ; -- Begin function _ZN7rocprim17ROCPRIM_400000_NS6detail17trampoline_kernelINS0_14default_configENS1_25partition_config_selectorILNS1_17partition_subalgoE6EyNS0_10empty_typeEbEEZZNS1_14partition_implILS5_6ELb0ES3_mN6thrust23THRUST_200600_302600_NS6detail15normal_iteratorINSA_10device_ptrIyEEEEPS6_SG_NS0_5tupleIJSF_S6_EEENSH_IJSG_SG_EEES6_PlJNSB_9not_fun_tI7is_trueIyEEEEEE10hipError_tPvRmT3_T4_T5_T6_T7_T9_mT8_P12ihipStream_tbDpT10_ENKUlT_T0_E_clISt17integral_constantIbLb1EES18_EEDaS13_S14_EUlS13_E_NS1_11comp_targetILNS1_3genE10ELNS1_11target_archE1200ELNS1_3gpuE4ELNS1_3repE0EEENS1_30default_config_static_selectorELNS0_4arch9wavefront6targetE0EEEvT1_
	.globl	_ZN7rocprim17ROCPRIM_400000_NS6detail17trampoline_kernelINS0_14default_configENS1_25partition_config_selectorILNS1_17partition_subalgoE6EyNS0_10empty_typeEbEEZZNS1_14partition_implILS5_6ELb0ES3_mN6thrust23THRUST_200600_302600_NS6detail15normal_iteratorINSA_10device_ptrIyEEEEPS6_SG_NS0_5tupleIJSF_S6_EEENSH_IJSG_SG_EEES6_PlJNSB_9not_fun_tI7is_trueIyEEEEEE10hipError_tPvRmT3_T4_T5_T6_T7_T9_mT8_P12ihipStream_tbDpT10_ENKUlT_T0_E_clISt17integral_constantIbLb1EES18_EEDaS13_S14_EUlS13_E_NS1_11comp_targetILNS1_3genE10ELNS1_11target_archE1200ELNS1_3gpuE4ELNS1_3repE0EEENS1_30default_config_static_selectorELNS0_4arch9wavefront6targetE0EEEvT1_
	.p2align	8
	.type	_ZN7rocprim17ROCPRIM_400000_NS6detail17trampoline_kernelINS0_14default_configENS1_25partition_config_selectorILNS1_17partition_subalgoE6EyNS0_10empty_typeEbEEZZNS1_14partition_implILS5_6ELb0ES3_mN6thrust23THRUST_200600_302600_NS6detail15normal_iteratorINSA_10device_ptrIyEEEEPS6_SG_NS0_5tupleIJSF_S6_EEENSH_IJSG_SG_EEES6_PlJNSB_9not_fun_tI7is_trueIyEEEEEE10hipError_tPvRmT3_T4_T5_T6_T7_T9_mT8_P12ihipStream_tbDpT10_ENKUlT_T0_E_clISt17integral_constantIbLb1EES18_EEDaS13_S14_EUlS13_E_NS1_11comp_targetILNS1_3genE10ELNS1_11target_archE1200ELNS1_3gpuE4ELNS1_3repE0EEENS1_30default_config_static_selectorELNS0_4arch9wavefront6targetE0EEEvT1_,@function
_ZN7rocprim17ROCPRIM_400000_NS6detail17trampoline_kernelINS0_14default_configENS1_25partition_config_selectorILNS1_17partition_subalgoE6EyNS0_10empty_typeEbEEZZNS1_14partition_implILS5_6ELb0ES3_mN6thrust23THRUST_200600_302600_NS6detail15normal_iteratorINSA_10device_ptrIyEEEEPS6_SG_NS0_5tupleIJSF_S6_EEENSH_IJSG_SG_EEES6_PlJNSB_9not_fun_tI7is_trueIyEEEEEE10hipError_tPvRmT3_T4_T5_T6_T7_T9_mT8_P12ihipStream_tbDpT10_ENKUlT_T0_E_clISt17integral_constantIbLb1EES18_EEDaS13_S14_EUlS13_E_NS1_11comp_targetILNS1_3genE10ELNS1_11target_archE1200ELNS1_3gpuE4ELNS1_3repE0EEENS1_30default_config_static_selectorELNS0_4arch9wavefront6targetE0EEEvT1_: ; @_ZN7rocprim17ROCPRIM_400000_NS6detail17trampoline_kernelINS0_14default_configENS1_25partition_config_selectorILNS1_17partition_subalgoE6EyNS0_10empty_typeEbEEZZNS1_14partition_implILS5_6ELb0ES3_mN6thrust23THRUST_200600_302600_NS6detail15normal_iteratorINSA_10device_ptrIyEEEEPS6_SG_NS0_5tupleIJSF_S6_EEENSH_IJSG_SG_EEES6_PlJNSB_9not_fun_tI7is_trueIyEEEEEE10hipError_tPvRmT3_T4_T5_T6_T7_T9_mT8_P12ihipStream_tbDpT10_ENKUlT_T0_E_clISt17integral_constantIbLb1EES18_EEDaS13_S14_EUlS13_E_NS1_11comp_targetILNS1_3genE10ELNS1_11target_archE1200ELNS1_3gpuE4ELNS1_3repE0EEENS1_30default_config_static_selectorELNS0_4arch9wavefront6targetE0EEEvT1_
; %bb.0:
	s_endpgm
	.section	.rodata,"a",@progbits
	.p2align	6, 0x0
	.amdhsa_kernel _ZN7rocprim17ROCPRIM_400000_NS6detail17trampoline_kernelINS0_14default_configENS1_25partition_config_selectorILNS1_17partition_subalgoE6EyNS0_10empty_typeEbEEZZNS1_14partition_implILS5_6ELb0ES3_mN6thrust23THRUST_200600_302600_NS6detail15normal_iteratorINSA_10device_ptrIyEEEEPS6_SG_NS0_5tupleIJSF_S6_EEENSH_IJSG_SG_EEES6_PlJNSB_9not_fun_tI7is_trueIyEEEEEE10hipError_tPvRmT3_T4_T5_T6_T7_T9_mT8_P12ihipStream_tbDpT10_ENKUlT_T0_E_clISt17integral_constantIbLb1EES18_EEDaS13_S14_EUlS13_E_NS1_11comp_targetILNS1_3genE10ELNS1_11target_archE1200ELNS1_3gpuE4ELNS1_3repE0EEENS1_30default_config_static_selectorELNS0_4arch9wavefront6targetE0EEEvT1_
		.amdhsa_group_segment_fixed_size 0
		.amdhsa_private_segment_fixed_size 0
		.amdhsa_kernarg_size 128
		.amdhsa_user_sgpr_count 2
		.amdhsa_user_sgpr_dispatch_ptr 0
		.amdhsa_user_sgpr_queue_ptr 0
		.amdhsa_user_sgpr_kernarg_segment_ptr 1
		.amdhsa_user_sgpr_dispatch_id 0
		.amdhsa_user_sgpr_private_segment_size 0
		.amdhsa_wavefront_size32 1
		.amdhsa_uses_dynamic_stack 0
		.amdhsa_enable_private_segment 0
		.amdhsa_system_sgpr_workgroup_id_x 1
		.amdhsa_system_sgpr_workgroup_id_y 0
		.amdhsa_system_sgpr_workgroup_id_z 0
		.amdhsa_system_sgpr_workgroup_info 0
		.amdhsa_system_vgpr_workitem_id 0
		.amdhsa_next_free_vgpr 1
		.amdhsa_next_free_sgpr 1
		.amdhsa_reserve_vcc 0
		.amdhsa_float_round_mode_32 0
		.amdhsa_float_round_mode_16_64 0
		.amdhsa_float_denorm_mode_32 3
		.amdhsa_float_denorm_mode_16_64 3
		.amdhsa_fp16_overflow 0
		.amdhsa_workgroup_processor_mode 1
		.amdhsa_memory_ordered 1
		.amdhsa_forward_progress 1
		.amdhsa_inst_pref_size 1
		.amdhsa_round_robin_scheduling 0
		.amdhsa_exception_fp_ieee_invalid_op 0
		.amdhsa_exception_fp_denorm_src 0
		.amdhsa_exception_fp_ieee_div_zero 0
		.amdhsa_exception_fp_ieee_overflow 0
		.amdhsa_exception_fp_ieee_underflow 0
		.amdhsa_exception_fp_ieee_inexact 0
		.amdhsa_exception_int_div_zero 0
	.end_amdhsa_kernel
	.section	.text._ZN7rocprim17ROCPRIM_400000_NS6detail17trampoline_kernelINS0_14default_configENS1_25partition_config_selectorILNS1_17partition_subalgoE6EyNS0_10empty_typeEbEEZZNS1_14partition_implILS5_6ELb0ES3_mN6thrust23THRUST_200600_302600_NS6detail15normal_iteratorINSA_10device_ptrIyEEEEPS6_SG_NS0_5tupleIJSF_S6_EEENSH_IJSG_SG_EEES6_PlJNSB_9not_fun_tI7is_trueIyEEEEEE10hipError_tPvRmT3_T4_T5_T6_T7_T9_mT8_P12ihipStream_tbDpT10_ENKUlT_T0_E_clISt17integral_constantIbLb1EES18_EEDaS13_S14_EUlS13_E_NS1_11comp_targetILNS1_3genE10ELNS1_11target_archE1200ELNS1_3gpuE4ELNS1_3repE0EEENS1_30default_config_static_selectorELNS0_4arch9wavefront6targetE0EEEvT1_,"axG",@progbits,_ZN7rocprim17ROCPRIM_400000_NS6detail17trampoline_kernelINS0_14default_configENS1_25partition_config_selectorILNS1_17partition_subalgoE6EyNS0_10empty_typeEbEEZZNS1_14partition_implILS5_6ELb0ES3_mN6thrust23THRUST_200600_302600_NS6detail15normal_iteratorINSA_10device_ptrIyEEEEPS6_SG_NS0_5tupleIJSF_S6_EEENSH_IJSG_SG_EEES6_PlJNSB_9not_fun_tI7is_trueIyEEEEEE10hipError_tPvRmT3_T4_T5_T6_T7_T9_mT8_P12ihipStream_tbDpT10_ENKUlT_T0_E_clISt17integral_constantIbLb1EES18_EEDaS13_S14_EUlS13_E_NS1_11comp_targetILNS1_3genE10ELNS1_11target_archE1200ELNS1_3gpuE4ELNS1_3repE0EEENS1_30default_config_static_selectorELNS0_4arch9wavefront6targetE0EEEvT1_,comdat
.Lfunc_end1122:
	.size	_ZN7rocprim17ROCPRIM_400000_NS6detail17trampoline_kernelINS0_14default_configENS1_25partition_config_selectorILNS1_17partition_subalgoE6EyNS0_10empty_typeEbEEZZNS1_14partition_implILS5_6ELb0ES3_mN6thrust23THRUST_200600_302600_NS6detail15normal_iteratorINSA_10device_ptrIyEEEEPS6_SG_NS0_5tupleIJSF_S6_EEENSH_IJSG_SG_EEES6_PlJNSB_9not_fun_tI7is_trueIyEEEEEE10hipError_tPvRmT3_T4_T5_T6_T7_T9_mT8_P12ihipStream_tbDpT10_ENKUlT_T0_E_clISt17integral_constantIbLb1EES18_EEDaS13_S14_EUlS13_E_NS1_11comp_targetILNS1_3genE10ELNS1_11target_archE1200ELNS1_3gpuE4ELNS1_3repE0EEENS1_30default_config_static_selectorELNS0_4arch9wavefront6targetE0EEEvT1_, .Lfunc_end1122-_ZN7rocprim17ROCPRIM_400000_NS6detail17trampoline_kernelINS0_14default_configENS1_25partition_config_selectorILNS1_17partition_subalgoE6EyNS0_10empty_typeEbEEZZNS1_14partition_implILS5_6ELb0ES3_mN6thrust23THRUST_200600_302600_NS6detail15normal_iteratorINSA_10device_ptrIyEEEEPS6_SG_NS0_5tupleIJSF_S6_EEENSH_IJSG_SG_EEES6_PlJNSB_9not_fun_tI7is_trueIyEEEEEE10hipError_tPvRmT3_T4_T5_T6_T7_T9_mT8_P12ihipStream_tbDpT10_ENKUlT_T0_E_clISt17integral_constantIbLb1EES18_EEDaS13_S14_EUlS13_E_NS1_11comp_targetILNS1_3genE10ELNS1_11target_archE1200ELNS1_3gpuE4ELNS1_3repE0EEENS1_30default_config_static_selectorELNS0_4arch9wavefront6targetE0EEEvT1_
                                        ; -- End function
	.set _ZN7rocprim17ROCPRIM_400000_NS6detail17trampoline_kernelINS0_14default_configENS1_25partition_config_selectorILNS1_17partition_subalgoE6EyNS0_10empty_typeEbEEZZNS1_14partition_implILS5_6ELb0ES3_mN6thrust23THRUST_200600_302600_NS6detail15normal_iteratorINSA_10device_ptrIyEEEEPS6_SG_NS0_5tupleIJSF_S6_EEENSH_IJSG_SG_EEES6_PlJNSB_9not_fun_tI7is_trueIyEEEEEE10hipError_tPvRmT3_T4_T5_T6_T7_T9_mT8_P12ihipStream_tbDpT10_ENKUlT_T0_E_clISt17integral_constantIbLb1EES18_EEDaS13_S14_EUlS13_E_NS1_11comp_targetILNS1_3genE10ELNS1_11target_archE1200ELNS1_3gpuE4ELNS1_3repE0EEENS1_30default_config_static_selectorELNS0_4arch9wavefront6targetE0EEEvT1_.num_vgpr, 0
	.set _ZN7rocprim17ROCPRIM_400000_NS6detail17trampoline_kernelINS0_14default_configENS1_25partition_config_selectorILNS1_17partition_subalgoE6EyNS0_10empty_typeEbEEZZNS1_14partition_implILS5_6ELb0ES3_mN6thrust23THRUST_200600_302600_NS6detail15normal_iteratorINSA_10device_ptrIyEEEEPS6_SG_NS0_5tupleIJSF_S6_EEENSH_IJSG_SG_EEES6_PlJNSB_9not_fun_tI7is_trueIyEEEEEE10hipError_tPvRmT3_T4_T5_T6_T7_T9_mT8_P12ihipStream_tbDpT10_ENKUlT_T0_E_clISt17integral_constantIbLb1EES18_EEDaS13_S14_EUlS13_E_NS1_11comp_targetILNS1_3genE10ELNS1_11target_archE1200ELNS1_3gpuE4ELNS1_3repE0EEENS1_30default_config_static_selectorELNS0_4arch9wavefront6targetE0EEEvT1_.num_agpr, 0
	.set _ZN7rocprim17ROCPRIM_400000_NS6detail17trampoline_kernelINS0_14default_configENS1_25partition_config_selectorILNS1_17partition_subalgoE6EyNS0_10empty_typeEbEEZZNS1_14partition_implILS5_6ELb0ES3_mN6thrust23THRUST_200600_302600_NS6detail15normal_iteratorINSA_10device_ptrIyEEEEPS6_SG_NS0_5tupleIJSF_S6_EEENSH_IJSG_SG_EEES6_PlJNSB_9not_fun_tI7is_trueIyEEEEEE10hipError_tPvRmT3_T4_T5_T6_T7_T9_mT8_P12ihipStream_tbDpT10_ENKUlT_T0_E_clISt17integral_constantIbLb1EES18_EEDaS13_S14_EUlS13_E_NS1_11comp_targetILNS1_3genE10ELNS1_11target_archE1200ELNS1_3gpuE4ELNS1_3repE0EEENS1_30default_config_static_selectorELNS0_4arch9wavefront6targetE0EEEvT1_.numbered_sgpr, 0
	.set _ZN7rocprim17ROCPRIM_400000_NS6detail17trampoline_kernelINS0_14default_configENS1_25partition_config_selectorILNS1_17partition_subalgoE6EyNS0_10empty_typeEbEEZZNS1_14partition_implILS5_6ELb0ES3_mN6thrust23THRUST_200600_302600_NS6detail15normal_iteratorINSA_10device_ptrIyEEEEPS6_SG_NS0_5tupleIJSF_S6_EEENSH_IJSG_SG_EEES6_PlJNSB_9not_fun_tI7is_trueIyEEEEEE10hipError_tPvRmT3_T4_T5_T6_T7_T9_mT8_P12ihipStream_tbDpT10_ENKUlT_T0_E_clISt17integral_constantIbLb1EES18_EEDaS13_S14_EUlS13_E_NS1_11comp_targetILNS1_3genE10ELNS1_11target_archE1200ELNS1_3gpuE4ELNS1_3repE0EEENS1_30default_config_static_selectorELNS0_4arch9wavefront6targetE0EEEvT1_.num_named_barrier, 0
	.set _ZN7rocprim17ROCPRIM_400000_NS6detail17trampoline_kernelINS0_14default_configENS1_25partition_config_selectorILNS1_17partition_subalgoE6EyNS0_10empty_typeEbEEZZNS1_14partition_implILS5_6ELb0ES3_mN6thrust23THRUST_200600_302600_NS6detail15normal_iteratorINSA_10device_ptrIyEEEEPS6_SG_NS0_5tupleIJSF_S6_EEENSH_IJSG_SG_EEES6_PlJNSB_9not_fun_tI7is_trueIyEEEEEE10hipError_tPvRmT3_T4_T5_T6_T7_T9_mT8_P12ihipStream_tbDpT10_ENKUlT_T0_E_clISt17integral_constantIbLb1EES18_EEDaS13_S14_EUlS13_E_NS1_11comp_targetILNS1_3genE10ELNS1_11target_archE1200ELNS1_3gpuE4ELNS1_3repE0EEENS1_30default_config_static_selectorELNS0_4arch9wavefront6targetE0EEEvT1_.private_seg_size, 0
	.set _ZN7rocprim17ROCPRIM_400000_NS6detail17trampoline_kernelINS0_14default_configENS1_25partition_config_selectorILNS1_17partition_subalgoE6EyNS0_10empty_typeEbEEZZNS1_14partition_implILS5_6ELb0ES3_mN6thrust23THRUST_200600_302600_NS6detail15normal_iteratorINSA_10device_ptrIyEEEEPS6_SG_NS0_5tupleIJSF_S6_EEENSH_IJSG_SG_EEES6_PlJNSB_9not_fun_tI7is_trueIyEEEEEE10hipError_tPvRmT3_T4_T5_T6_T7_T9_mT8_P12ihipStream_tbDpT10_ENKUlT_T0_E_clISt17integral_constantIbLb1EES18_EEDaS13_S14_EUlS13_E_NS1_11comp_targetILNS1_3genE10ELNS1_11target_archE1200ELNS1_3gpuE4ELNS1_3repE0EEENS1_30default_config_static_selectorELNS0_4arch9wavefront6targetE0EEEvT1_.uses_vcc, 0
	.set _ZN7rocprim17ROCPRIM_400000_NS6detail17trampoline_kernelINS0_14default_configENS1_25partition_config_selectorILNS1_17partition_subalgoE6EyNS0_10empty_typeEbEEZZNS1_14partition_implILS5_6ELb0ES3_mN6thrust23THRUST_200600_302600_NS6detail15normal_iteratorINSA_10device_ptrIyEEEEPS6_SG_NS0_5tupleIJSF_S6_EEENSH_IJSG_SG_EEES6_PlJNSB_9not_fun_tI7is_trueIyEEEEEE10hipError_tPvRmT3_T4_T5_T6_T7_T9_mT8_P12ihipStream_tbDpT10_ENKUlT_T0_E_clISt17integral_constantIbLb1EES18_EEDaS13_S14_EUlS13_E_NS1_11comp_targetILNS1_3genE10ELNS1_11target_archE1200ELNS1_3gpuE4ELNS1_3repE0EEENS1_30default_config_static_selectorELNS0_4arch9wavefront6targetE0EEEvT1_.uses_flat_scratch, 0
	.set _ZN7rocprim17ROCPRIM_400000_NS6detail17trampoline_kernelINS0_14default_configENS1_25partition_config_selectorILNS1_17partition_subalgoE6EyNS0_10empty_typeEbEEZZNS1_14partition_implILS5_6ELb0ES3_mN6thrust23THRUST_200600_302600_NS6detail15normal_iteratorINSA_10device_ptrIyEEEEPS6_SG_NS0_5tupleIJSF_S6_EEENSH_IJSG_SG_EEES6_PlJNSB_9not_fun_tI7is_trueIyEEEEEE10hipError_tPvRmT3_T4_T5_T6_T7_T9_mT8_P12ihipStream_tbDpT10_ENKUlT_T0_E_clISt17integral_constantIbLb1EES18_EEDaS13_S14_EUlS13_E_NS1_11comp_targetILNS1_3genE10ELNS1_11target_archE1200ELNS1_3gpuE4ELNS1_3repE0EEENS1_30default_config_static_selectorELNS0_4arch9wavefront6targetE0EEEvT1_.has_dyn_sized_stack, 0
	.set _ZN7rocprim17ROCPRIM_400000_NS6detail17trampoline_kernelINS0_14default_configENS1_25partition_config_selectorILNS1_17partition_subalgoE6EyNS0_10empty_typeEbEEZZNS1_14partition_implILS5_6ELb0ES3_mN6thrust23THRUST_200600_302600_NS6detail15normal_iteratorINSA_10device_ptrIyEEEEPS6_SG_NS0_5tupleIJSF_S6_EEENSH_IJSG_SG_EEES6_PlJNSB_9not_fun_tI7is_trueIyEEEEEE10hipError_tPvRmT3_T4_T5_T6_T7_T9_mT8_P12ihipStream_tbDpT10_ENKUlT_T0_E_clISt17integral_constantIbLb1EES18_EEDaS13_S14_EUlS13_E_NS1_11comp_targetILNS1_3genE10ELNS1_11target_archE1200ELNS1_3gpuE4ELNS1_3repE0EEENS1_30default_config_static_selectorELNS0_4arch9wavefront6targetE0EEEvT1_.has_recursion, 0
	.set _ZN7rocprim17ROCPRIM_400000_NS6detail17trampoline_kernelINS0_14default_configENS1_25partition_config_selectorILNS1_17partition_subalgoE6EyNS0_10empty_typeEbEEZZNS1_14partition_implILS5_6ELb0ES3_mN6thrust23THRUST_200600_302600_NS6detail15normal_iteratorINSA_10device_ptrIyEEEEPS6_SG_NS0_5tupleIJSF_S6_EEENSH_IJSG_SG_EEES6_PlJNSB_9not_fun_tI7is_trueIyEEEEEE10hipError_tPvRmT3_T4_T5_T6_T7_T9_mT8_P12ihipStream_tbDpT10_ENKUlT_T0_E_clISt17integral_constantIbLb1EES18_EEDaS13_S14_EUlS13_E_NS1_11comp_targetILNS1_3genE10ELNS1_11target_archE1200ELNS1_3gpuE4ELNS1_3repE0EEENS1_30default_config_static_selectorELNS0_4arch9wavefront6targetE0EEEvT1_.has_indirect_call, 0
	.section	.AMDGPU.csdata,"",@progbits
; Kernel info:
; codeLenInByte = 4
; TotalNumSgprs: 0
; NumVgprs: 0
; ScratchSize: 0
; MemoryBound: 0
; FloatMode: 240
; IeeeMode: 1
; LDSByteSize: 0 bytes/workgroup (compile time only)
; SGPRBlocks: 0
; VGPRBlocks: 0
; NumSGPRsForWavesPerEU: 1
; NumVGPRsForWavesPerEU: 1
; Occupancy: 16
; WaveLimiterHint : 0
; COMPUTE_PGM_RSRC2:SCRATCH_EN: 0
; COMPUTE_PGM_RSRC2:USER_SGPR: 2
; COMPUTE_PGM_RSRC2:TRAP_HANDLER: 0
; COMPUTE_PGM_RSRC2:TGID_X_EN: 1
; COMPUTE_PGM_RSRC2:TGID_Y_EN: 0
; COMPUTE_PGM_RSRC2:TGID_Z_EN: 0
; COMPUTE_PGM_RSRC2:TIDIG_COMP_CNT: 0
	.section	.text._ZN7rocprim17ROCPRIM_400000_NS6detail17trampoline_kernelINS0_14default_configENS1_25partition_config_selectorILNS1_17partition_subalgoE6EyNS0_10empty_typeEbEEZZNS1_14partition_implILS5_6ELb0ES3_mN6thrust23THRUST_200600_302600_NS6detail15normal_iteratorINSA_10device_ptrIyEEEEPS6_SG_NS0_5tupleIJSF_S6_EEENSH_IJSG_SG_EEES6_PlJNSB_9not_fun_tI7is_trueIyEEEEEE10hipError_tPvRmT3_T4_T5_T6_T7_T9_mT8_P12ihipStream_tbDpT10_ENKUlT_T0_E_clISt17integral_constantIbLb1EES18_EEDaS13_S14_EUlS13_E_NS1_11comp_targetILNS1_3genE9ELNS1_11target_archE1100ELNS1_3gpuE3ELNS1_3repE0EEENS1_30default_config_static_selectorELNS0_4arch9wavefront6targetE0EEEvT1_,"axG",@progbits,_ZN7rocprim17ROCPRIM_400000_NS6detail17trampoline_kernelINS0_14default_configENS1_25partition_config_selectorILNS1_17partition_subalgoE6EyNS0_10empty_typeEbEEZZNS1_14partition_implILS5_6ELb0ES3_mN6thrust23THRUST_200600_302600_NS6detail15normal_iteratorINSA_10device_ptrIyEEEEPS6_SG_NS0_5tupleIJSF_S6_EEENSH_IJSG_SG_EEES6_PlJNSB_9not_fun_tI7is_trueIyEEEEEE10hipError_tPvRmT3_T4_T5_T6_T7_T9_mT8_P12ihipStream_tbDpT10_ENKUlT_T0_E_clISt17integral_constantIbLb1EES18_EEDaS13_S14_EUlS13_E_NS1_11comp_targetILNS1_3genE9ELNS1_11target_archE1100ELNS1_3gpuE3ELNS1_3repE0EEENS1_30default_config_static_selectorELNS0_4arch9wavefront6targetE0EEEvT1_,comdat
	.protected	_ZN7rocprim17ROCPRIM_400000_NS6detail17trampoline_kernelINS0_14default_configENS1_25partition_config_selectorILNS1_17partition_subalgoE6EyNS0_10empty_typeEbEEZZNS1_14partition_implILS5_6ELb0ES3_mN6thrust23THRUST_200600_302600_NS6detail15normal_iteratorINSA_10device_ptrIyEEEEPS6_SG_NS0_5tupleIJSF_S6_EEENSH_IJSG_SG_EEES6_PlJNSB_9not_fun_tI7is_trueIyEEEEEE10hipError_tPvRmT3_T4_T5_T6_T7_T9_mT8_P12ihipStream_tbDpT10_ENKUlT_T0_E_clISt17integral_constantIbLb1EES18_EEDaS13_S14_EUlS13_E_NS1_11comp_targetILNS1_3genE9ELNS1_11target_archE1100ELNS1_3gpuE3ELNS1_3repE0EEENS1_30default_config_static_selectorELNS0_4arch9wavefront6targetE0EEEvT1_ ; -- Begin function _ZN7rocprim17ROCPRIM_400000_NS6detail17trampoline_kernelINS0_14default_configENS1_25partition_config_selectorILNS1_17partition_subalgoE6EyNS0_10empty_typeEbEEZZNS1_14partition_implILS5_6ELb0ES3_mN6thrust23THRUST_200600_302600_NS6detail15normal_iteratorINSA_10device_ptrIyEEEEPS6_SG_NS0_5tupleIJSF_S6_EEENSH_IJSG_SG_EEES6_PlJNSB_9not_fun_tI7is_trueIyEEEEEE10hipError_tPvRmT3_T4_T5_T6_T7_T9_mT8_P12ihipStream_tbDpT10_ENKUlT_T0_E_clISt17integral_constantIbLb1EES18_EEDaS13_S14_EUlS13_E_NS1_11comp_targetILNS1_3genE9ELNS1_11target_archE1100ELNS1_3gpuE3ELNS1_3repE0EEENS1_30default_config_static_selectorELNS0_4arch9wavefront6targetE0EEEvT1_
	.globl	_ZN7rocprim17ROCPRIM_400000_NS6detail17trampoline_kernelINS0_14default_configENS1_25partition_config_selectorILNS1_17partition_subalgoE6EyNS0_10empty_typeEbEEZZNS1_14partition_implILS5_6ELb0ES3_mN6thrust23THRUST_200600_302600_NS6detail15normal_iteratorINSA_10device_ptrIyEEEEPS6_SG_NS0_5tupleIJSF_S6_EEENSH_IJSG_SG_EEES6_PlJNSB_9not_fun_tI7is_trueIyEEEEEE10hipError_tPvRmT3_T4_T5_T6_T7_T9_mT8_P12ihipStream_tbDpT10_ENKUlT_T0_E_clISt17integral_constantIbLb1EES18_EEDaS13_S14_EUlS13_E_NS1_11comp_targetILNS1_3genE9ELNS1_11target_archE1100ELNS1_3gpuE3ELNS1_3repE0EEENS1_30default_config_static_selectorELNS0_4arch9wavefront6targetE0EEEvT1_
	.p2align	8
	.type	_ZN7rocprim17ROCPRIM_400000_NS6detail17trampoline_kernelINS0_14default_configENS1_25partition_config_selectorILNS1_17partition_subalgoE6EyNS0_10empty_typeEbEEZZNS1_14partition_implILS5_6ELb0ES3_mN6thrust23THRUST_200600_302600_NS6detail15normal_iteratorINSA_10device_ptrIyEEEEPS6_SG_NS0_5tupleIJSF_S6_EEENSH_IJSG_SG_EEES6_PlJNSB_9not_fun_tI7is_trueIyEEEEEE10hipError_tPvRmT3_T4_T5_T6_T7_T9_mT8_P12ihipStream_tbDpT10_ENKUlT_T0_E_clISt17integral_constantIbLb1EES18_EEDaS13_S14_EUlS13_E_NS1_11comp_targetILNS1_3genE9ELNS1_11target_archE1100ELNS1_3gpuE3ELNS1_3repE0EEENS1_30default_config_static_selectorELNS0_4arch9wavefront6targetE0EEEvT1_,@function
_ZN7rocprim17ROCPRIM_400000_NS6detail17trampoline_kernelINS0_14default_configENS1_25partition_config_selectorILNS1_17partition_subalgoE6EyNS0_10empty_typeEbEEZZNS1_14partition_implILS5_6ELb0ES3_mN6thrust23THRUST_200600_302600_NS6detail15normal_iteratorINSA_10device_ptrIyEEEEPS6_SG_NS0_5tupleIJSF_S6_EEENSH_IJSG_SG_EEES6_PlJNSB_9not_fun_tI7is_trueIyEEEEEE10hipError_tPvRmT3_T4_T5_T6_T7_T9_mT8_P12ihipStream_tbDpT10_ENKUlT_T0_E_clISt17integral_constantIbLb1EES18_EEDaS13_S14_EUlS13_E_NS1_11comp_targetILNS1_3genE9ELNS1_11target_archE1100ELNS1_3gpuE3ELNS1_3repE0EEENS1_30default_config_static_selectorELNS0_4arch9wavefront6targetE0EEEvT1_: ; @_ZN7rocprim17ROCPRIM_400000_NS6detail17trampoline_kernelINS0_14default_configENS1_25partition_config_selectorILNS1_17partition_subalgoE6EyNS0_10empty_typeEbEEZZNS1_14partition_implILS5_6ELb0ES3_mN6thrust23THRUST_200600_302600_NS6detail15normal_iteratorINSA_10device_ptrIyEEEEPS6_SG_NS0_5tupleIJSF_S6_EEENSH_IJSG_SG_EEES6_PlJNSB_9not_fun_tI7is_trueIyEEEEEE10hipError_tPvRmT3_T4_T5_T6_T7_T9_mT8_P12ihipStream_tbDpT10_ENKUlT_T0_E_clISt17integral_constantIbLb1EES18_EEDaS13_S14_EUlS13_E_NS1_11comp_targetILNS1_3genE9ELNS1_11target_archE1100ELNS1_3gpuE3ELNS1_3repE0EEENS1_30default_config_static_selectorELNS0_4arch9wavefront6targetE0EEEvT1_
; %bb.0:
	.section	.rodata,"a",@progbits
	.p2align	6, 0x0
	.amdhsa_kernel _ZN7rocprim17ROCPRIM_400000_NS6detail17trampoline_kernelINS0_14default_configENS1_25partition_config_selectorILNS1_17partition_subalgoE6EyNS0_10empty_typeEbEEZZNS1_14partition_implILS5_6ELb0ES3_mN6thrust23THRUST_200600_302600_NS6detail15normal_iteratorINSA_10device_ptrIyEEEEPS6_SG_NS0_5tupleIJSF_S6_EEENSH_IJSG_SG_EEES6_PlJNSB_9not_fun_tI7is_trueIyEEEEEE10hipError_tPvRmT3_T4_T5_T6_T7_T9_mT8_P12ihipStream_tbDpT10_ENKUlT_T0_E_clISt17integral_constantIbLb1EES18_EEDaS13_S14_EUlS13_E_NS1_11comp_targetILNS1_3genE9ELNS1_11target_archE1100ELNS1_3gpuE3ELNS1_3repE0EEENS1_30default_config_static_selectorELNS0_4arch9wavefront6targetE0EEEvT1_
		.amdhsa_group_segment_fixed_size 0
		.amdhsa_private_segment_fixed_size 0
		.amdhsa_kernarg_size 128
		.amdhsa_user_sgpr_count 2
		.amdhsa_user_sgpr_dispatch_ptr 0
		.amdhsa_user_sgpr_queue_ptr 0
		.amdhsa_user_sgpr_kernarg_segment_ptr 1
		.amdhsa_user_sgpr_dispatch_id 0
		.amdhsa_user_sgpr_private_segment_size 0
		.amdhsa_wavefront_size32 1
		.amdhsa_uses_dynamic_stack 0
		.amdhsa_enable_private_segment 0
		.amdhsa_system_sgpr_workgroup_id_x 1
		.amdhsa_system_sgpr_workgroup_id_y 0
		.amdhsa_system_sgpr_workgroup_id_z 0
		.amdhsa_system_sgpr_workgroup_info 0
		.amdhsa_system_vgpr_workitem_id 0
		.amdhsa_next_free_vgpr 1
		.amdhsa_next_free_sgpr 1
		.amdhsa_reserve_vcc 0
		.amdhsa_float_round_mode_32 0
		.amdhsa_float_round_mode_16_64 0
		.amdhsa_float_denorm_mode_32 3
		.amdhsa_float_denorm_mode_16_64 3
		.amdhsa_fp16_overflow 0
		.amdhsa_workgroup_processor_mode 1
		.amdhsa_memory_ordered 1
		.amdhsa_forward_progress 1
		.amdhsa_inst_pref_size 0
		.amdhsa_round_robin_scheduling 0
		.amdhsa_exception_fp_ieee_invalid_op 0
		.amdhsa_exception_fp_denorm_src 0
		.amdhsa_exception_fp_ieee_div_zero 0
		.amdhsa_exception_fp_ieee_overflow 0
		.amdhsa_exception_fp_ieee_underflow 0
		.amdhsa_exception_fp_ieee_inexact 0
		.amdhsa_exception_int_div_zero 0
	.end_amdhsa_kernel
	.section	.text._ZN7rocprim17ROCPRIM_400000_NS6detail17trampoline_kernelINS0_14default_configENS1_25partition_config_selectorILNS1_17partition_subalgoE6EyNS0_10empty_typeEbEEZZNS1_14partition_implILS5_6ELb0ES3_mN6thrust23THRUST_200600_302600_NS6detail15normal_iteratorINSA_10device_ptrIyEEEEPS6_SG_NS0_5tupleIJSF_S6_EEENSH_IJSG_SG_EEES6_PlJNSB_9not_fun_tI7is_trueIyEEEEEE10hipError_tPvRmT3_T4_T5_T6_T7_T9_mT8_P12ihipStream_tbDpT10_ENKUlT_T0_E_clISt17integral_constantIbLb1EES18_EEDaS13_S14_EUlS13_E_NS1_11comp_targetILNS1_3genE9ELNS1_11target_archE1100ELNS1_3gpuE3ELNS1_3repE0EEENS1_30default_config_static_selectorELNS0_4arch9wavefront6targetE0EEEvT1_,"axG",@progbits,_ZN7rocprim17ROCPRIM_400000_NS6detail17trampoline_kernelINS0_14default_configENS1_25partition_config_selectorILNS1_17partition_subalgoE6EyNS0_10empty_typeEbEEZZNS1_14partition_implILS5_6ELb0ES3_mN6thrust23THRUST_200600_302600_NS6detail15normal_iteratorINSA_10device_ptrIyEEEEPS6_SG_NS0_5tupleIJSF_S6_EEENSH_IJSG_SG_EEES6_PlJNSB_9not_fun_tI7is_trueIyEEEEEE10hipError_tPvRmT3_T4_T5_T6_T7_T9_mT8_P12ihipStream_tbDpT10_ENKUlT_T0_E_clISt17integral_constantIbLb1EES18_EEDaS13_S14_EUlS13_E_NS1_11comp_targetILNS1_3genE9ELNS1_11target_archE1100ELNS1_3gpuE3ELNS1_3repE0EEENS1_30default_config_static_selectorELNS0_4arch9wavefront6targetE0EEEvT1_,comdat
.Lfunc_end1123:
	.size	_ZN7rocprim17ROCPRIM_400000_NS6detail17trampoline_kernelINS0_14default_configENS1_25partition_config_selectorILNS1_17partition_subalgoE6EyNS0_10empty_typeEbEEZZNS1_14partition_implILS5_6ELb0ES3_mN6thrust23THRUST_200600_302600_NS6detail15normal_iteratorINSA_10device_ptrIyEEEEPS6_SG_NS0_5tupleIJSF_S6_EEENSH_IJSG_SG_EEES6_PlJNSB_9not_fun_tI7is_trueIyEEEEEE10hipError_tPvRmT3_T4_T5_T6_T7_T9_mT8_P12ihipStream_tbDpT10_ENKUlT_T0_E_clISt17integral_constantIbLb1EES18_EEDaS13_S14_EUlS13_E_NS1_11comp_targetILNS1_3genE9ELNS1_11target_archE1100ELNS1_3gpuE3ELNS1_3repE0EEENS1_30default_config_static_selectorELNS0_4arch9wavefront6targetE0EEEvT1_, .Lfunc_end1123-_ZN7rocprim17ROCPRIM_400000_NS6detail17trampoline_kernelINS0_14default_configENS1_25partition_config_selectorILNS1_17partition_subalgoE6EyNS0_10empty_typeEbEEZZNS1_14partition_implILS5_6ELb0ES3_mN6thrust23THRUST_200600_302600_NS6detail15normal_iteratorINSA_10device_ptrIyEEEEPS6_SG_NS0_5tupleIJSF_S6_EEENSH_IJSG_SG_EEES6_PlJNSB_9not_fun_tI7is_trueIyEEEEEE10hipError_tPvRmT3_T4_T5_T6_T7_T9_mT8_P12ihipStream_tbDpT10_ENKUlT_T0_E_clISt17integral_constantIbLb1EES18_EEDaS13_S14_EUlS13_E_NS1_11comp_targetILNS1_3genE9ELNS1_11target_archE1100ELNS1_3gpuE3ELNS1_3repE0EEENS1_30default_config_static_selectorELNS0_4arch9wavefront6targetE0EEEvT1_
                                        ; -- End function
	.set _ZN7rocprim17ROCPRIM_400000_NS6detail17trampoline_kernelINS0_14default_configENS1_25partition_config_selectorILNS1_17partition_subalgoE6EyNS0_10empty_typeEbEEZZNS1_14partition_implILS5_6ELb0ES3_mN6thrust23THRUST_200600_302600_NS6detail15normal_iteratorINSA_10device_ptrIyEEEEPS6_SG_NS0_5tupleIJSF_S6_EEENSH_IJSG_SG_EEES6_PlJNSB_9not_fun_tI7is_trueIyEEEEEE10hipError_tPvRmT3_T4_T5_T6_T7_T9_mT8_P12ihipStream_tbDpT10_ENKUlT_T0_E_clISt17integral_constantIbLb1EES18_EEDaS13_S14_EUlS13_E_NS1_11comp_targetILNS1_3genE9ELNS1_11target_archE1100ELNS1_3gpuE3ELNS1_3repE0EEENS1_30default_config_static_selectorELNS0_4arch9wavefront6targetE0EEEvT1_.num_vgpr, 0
	.set _ZN7rocprim17ROCPRIM_400000_NS6detail17trampoline_kernelINS0_14default_configENS1_25partition_config_selectorILNS1_17partition_subalgoE6EyNS0_10empty_typeEbEEZZNS1_14partition_implILS5_6ELb0ES3_mN6thrust23THRUST_200600_302600_NS6detail15normal_iteratorINSA_10device_ptrIyEEEEPS6_SG_NS0_5tupleIJSF_S6_EEENSH_IJSG_SG_EEES6_PlJNSB_9not_fun_tI7is_trueIyEEEEEE10hipError_tPvRmT3_T4_T5_T6_T7_T9_mT8_P12ihipStream_tbDpT10_ENKUlT_T0_E_clISt17integral_constantIbLb1EES18_EEDaS13_S14_EUlS13_E_NS1_11comp_targetILNS1_3genE9ELNS1_11target_archE1100ELNS1_3gpuE3ELNS1_3repE0EEENS1_30default_config_static_selectorELNS0_4arch9wavefront6targetE0EEEvT1_.num_agpr, 0
	.set _ZN7rocprim17ROCPRIM_400000_NS6detail17trampoline_kernelINS0_14default_configENS1_25partition_config_selectorILNS1_17partition_subalgoE6EyNS0_10empty_typeEbEEZZNS1_14partition_implILS5_6ELb0ES3_mN6thrust23THRUST_200600_302600_NS6detail15normal_iteratorINSA_10device_ptrIyEEEEPS6_SG_NS0_5tupleIJSF_S6_EEENSH_IJSG_SG_EEES6_PlJNSB_9not_fun_tI7is_trueIyEEEEEE10hipError_tPvRmT3_T4_T5_T6_T7_T9_mT8_P12ihipStream_tbDpT10_ENKUlT_T0_E_clISt17integral_constantIbLb1EES18_EEDaS13_S14_EUlS13_E_NS1_11comp_targetILNS1_3genE9ELNS1_11target_archE1100ELNS1_3gpuE3ELNS1_3repE0EEENS1_30default_config_static_selectorELNS0_4arch9wavefront6targetE0EEEvT1_.numbered_sgpr, 0
	.set _ZN7rocprim17ROCPRIM_400000_NS6detail17trampoline_kernelINS0_14default_configENS1_25partition_config_selectorILNS1_17partition_subalgoE6EyNS0_10empty_typeEbEEZZNS1_14partition_implILS5_6ELb0ES3_mN6thrust23THRUST_200600_302600_NS6detail15normal_iteratorINSA_10device_ptrIyEEEEPS6_SG_NS0_5tupleIJSF_S6_EEENSH_IJSG_SG_EEES6_PlJNSB_9not_fun_tI7is_trueIyEEEEEE10hipError_tPvRmT3_T4_T5_T6_T7_T9_mT8_P12ihipStream_tbDpT10_ENKUlT_T0_E_clISt17integral_constantIbLb1EES18_EEDaS13_S14_EUlS13_E_NS1_11comp_targetILNS1_3genE9ELNS1_11target_archE1100ELNS1_3gpuE3ELNS1_3repE0EEENS1_30default_config_static_selectorELNS0_4arch9wavefront6targetE0EEEvT1_.num_named_barrier, 0
	.set _ZN7rocprim17ROCPRIM_400000_NS6detail17trampoline_kernelINS0_14default_configENS1_25partition_config_selectorILNS1_17partition_subalgoE6EyNS0_10empty_typeEbEEZZNS1_14partition_implILS5_6ELb0ES3_mN6thrust23THRUST_200600_302600_NS6detail15normal_iteratorINSA_10device_ptrIyEEEEPS6_SG_NS0_5tupleIJSF_S6_EEENSH_IJSG_SG_EEES6_PlJNSB_9not_fun_tI7is_trueIyEEEEEE10hipError_tPvRmT3_T4_T5_T6_T7_T9_mT8_P12ihipStream_tbDpT10_ENKUlT_T0_E_clISt17integral_constantIbLb1EES18_EEDaS13_S14_EUlS13_E_NS1_11comp_targetILNS1_3genE9ELNS1_11target_archE1100ELNS1_3gpuE3ELNS1_3repE0EEENS1_30default_config_static_selectorELNS0_4arch9wavefront6targetE0EEEvT1_.private_seg_size, 0
	.set _ZN7rocprim17ROCPRIM_400000_NS6detail17trampoline_kernelINS0_14default_configENS1_25partition_config_selectorILNS1_17partition_subalgoE6EyNS0_10empty_typeEbEEZZNS1_14partition_implILS5_6ELb0ES3_mN6thrust23THRUST_200600_302600_NS6detail15normal_iteratorINSA_10device_ptrIyEEEEPS6_SG_NS0_5tupleIJSF_S6_EEENSH_IJSG_SG_EEES6_PlJNSB_9not_fun_tI7is_trueIyEEEEEE10hipError_tPvRmT3_T4_T5_T6_T7_T9_mT8_P12ihipStream_tbDpT10_ENKUlT_T0_E_clISt17integral_constantIbLb1EES18_EEDaS13_S14_EUlS13_E_NS1_11comp_targetILNS1_3genE9ELNS1_11target_archE1100ELNS1_3gpuE3ELNS1_3repE0EEENS1_30default_config_static_selectorELNS0_4arch9wavefront6targetE0EEEvT1_.uses_vcc, 0
	.set _ZN7rocprim17ROCPRIM_400000_NS6detail17trampoline_kernelINS0_14default_configENS1_25partition_config_selectorILNS1_17partition_subalgoE6EyNS0_10empty_typeEbEEZZNS1_14partition_implILS5_6ELb0ES3_mN6thrust23THRUST_200600_302600_NS6detail15normal_iteratorINSA_10device_ptrIyEEEEPS6_SG_NS0_5tupleIJSF_S6_EEENSH_IJSG_SG_EEES6_PlJNSB_9not_fun_tI7is_trueIyEEEEEE10hipError_tPvRmT3_T4_T5_T6_T7_T9_mT8_P12ihipStream_tbDpT10_ENKUlT_T0_E_clISt17integral_constantIbLb1EES18_EEDaS13_S14_EUlS13_E_NS1_11comp_targetILNS1_3genE9ELNS1_11target_archE1100ELNS1_3gpuE3ELNS1_3repE0EEENS1_30default_config_static_selectorELNS0_4arch9wavefront6targetE0EEEvT1_.uses_flat_scratch, 0
	.set _ZN7rocprim17ROCPRIM_400000_NS6detail17trampoline_kernelINS0_14default_configENS1_25partition_config_selectorILNS1_17partition_subalgoE6EyNS0_10empty_typeEbEEZZNS1_14partition_implILS5_6ELb0ES3_mN6thrust23THRUST_200600_302600_NS6detail15normal_iteratorINSA_10device_ptrIyEEEEPS6_SG_NS0_5tupleIJSF_S6_EEENSH_IJSG_SG_EEES6_PlJNSB_9not_fun_tI7is_trueIyEEEEEE10hipError_tPvRmT3_T4_T5_T6_T7_T9_mT8_P12ihipStream_tbDpT10_ENKUlT_T0_E_clISt17integral_constantIbLb1EES18_EEDaS13_S14_EUlS13_E_NS1_11comp_targetILNS1_3genE9ELNS1_11target_archE1100ELNS1_3gpuE3ELNS1_3repE0EEENS1_30default_config_static_selectorELNS0_4arch9wavefront6targetE0EEEvT1_.has_dyn_sized_stack, 0
	.set _ZN7rocprim17ROCPRIM_400000_NS6detail17trampoline_kernelINS0_14default_configENS1_25partition_config_selectorILNS1_17partition_subalgoE6EyNS0_10empty_typeEbEEZZNS1_14partition_implILS5_6ELb0ES3_mN6thrust23THRUST_200600_302600_NS6detail15normal_iteratorINSA_10device_ptrIyEEEEPS6_SG_NS0_5tupleIJSF_S6_EEENSH_IJSG_SG_EEES6_PlJNSB_9not_fun_tI7is_trueIyEEEEEE10hipError_tPvRmT3_T4_T5_T6_T7_T9_mT8_P12ihipStream_tbDpT10_ENKUlT_T0_E_clISt17integral_constantIbLb1EES18_EEDaS13_S14_EUlS13_E_NS1_11comp_targetILNS1_3genE9ELNS1_11target_archE1100ELNS1_3gpuE3ELNS1_3repE0EEENS1_30default_config_static_selectorELNS0_4arch9wavefront6targetE0EEEvT1_.has_recursion, 0
	.set _ZN7rocprim17ROCPRIM_400000_NS6detail17trampoline_kernelINS0_14default_configENS1_25partition_config_selectorILNS1_17partition_subalgoE6EyNS0_10empty_typeEbEEZZNS1_14partition_implILS5_6ELb0ES3_mN6thrust23THRUST_200600_302600_NS6detail15normal_iteratorINSA_10device_ptrIyEEEEPS6_SG_NS0_5tupleIJSF_S6_EEENSH_IJSG_SG_EEES6_PlJNSB_9not_fun_tI7is_trueIyEEEEEE10hipError_tPvRmT3_T4_T5_T6_T7_T9_mT8_P12ihipStream_tbDpT10_ENKUlT_T0_E_clISt17integral_constantIbLb1EES18_EEDaS13_S14_EUlS13_E_NS1_11comp_targetILNS1_3genE9ELNS1_11target_archE1100ELNS1_3gpuE3ELNS1_3repE0EEENS1_30default_config_static_selectorELNS0_4arch9wavefront6targetE0EEEvT1_.has_indirect_call, 0
	.section	.AMDGPU.csdata,"",@progbits
; Kernel info:
; codeLenInByte = 0
; TotalNumSgprs: 0
; NumVgprs: 0
; ScratchSize: 0
; MemoryBound: 0
; FloatMode: 240
; IeeeMode: 1
; LDSByteSize: 0 bytes/workgroup (compile time only)
; SGPRBlocks: 0
; VGPRBlocks: 0
; NumSGPRsForWavesPerEU: 1
; NumVGPRsForWavesPerEU: 1
; Occupancy: 16
; WaveLimiterHint : 0
; COMPUTE_PGM_RSRC2:SCRATCH_EN: 0
; COMPUTE_PGM_RSRC2:USER_SGPR: 2
; COMPUTE_PGM_RSRC2:TRAP_HANDLER: 0
; COMPUTE_PGM_RSRC2:TGID_X_EN: 1
; COMPUTE_PGM_RSRC2:TGID_Y_EN: 0
; COMPUTE_PGM_RSRC2:TGID_Z_EN: 0
; COMPUTE_PGM_RSRC2:TIDIG_COMP_CNT: 0
	.section	.text._ZN7rocprim17ROCPRIM_400000_NS6detail17trampoline_kernelINS0_14default_configENS1_25partition_config_selectorILNS1_17partition_subalgoE6EyNS0_10empty_typeEbEEZZNS1_14partition_implILS5_6ELb0ES3_mN6thrust23THRUST_200600_302600_NS6detail15normal_iteratorINSA_10device_ptrIyEEEEPS6_SG_NS0_5tupleIJSF_S6_EEENSH_IJSG_SG_EEES6_PlJNSB_9not_fun_tI7is_trueIyEEEEEE10hipError_tPvRmT3_T4_T5_T6_T7_T9_mT8_P12ihipStream_tbDpT10_ENKUlT_T0_E_clISt17integral_constantIbLb1EES18_EEDaS13_S14_EUlS13_E_NS1_11comp_targetILNS1_3genE8ELNS1_11target_archE1030ELNS1_3gpuE2ELNS1_3repE0EEENS1_30default_config_static_selectorELNS0_4arch9wavefront6targetE0EEEvT1_,"axG",@progbits,_ZN7rocprim17ROCPRIM_400000_NS6detail17trampoline_kernelINS0_14default_configENS1_25partition_config_selectorILNS1_17partition_subalgoE6EyNS0_10empty_typeEbEEZZNS1_14partition_implILS5_6ELb0ES3_mN6thrust23THRUST_200600_302600_NS6detail15normal_iteratorINSA_10device_ptrIyEEEEPS6_SG_NS0_5tupleIJSF_S6_EEENSH_IJSG_SG_EEES6_PlJNSB_9not_fun_tI7is_trueIyEEEEEE10hipError_tPvRmT3_T4_T5_T6_T7_T9_mT8_P12ihipStream_tbDpT10_ENKUlT_T0_E_clISt17integral_constantIbLb1EES18_EEDaS13_S14_EUlS13_E_NS1_11comp_targetILNS1_3genE8ELNS1_11target_archE1030ELNS1_3gpuE2ELNS1_3repE0EEENS1_30default_config_static_selectorELNS0_4arch9wavefront6targetE0EEEvT1_,comdat
	.protected	_ZN7rocprim17ROCPRIM_400000_NS6detail17trampoline_kernelINS0_14default_configENS1_25partition_config_selectorILNS1_17partition_subalgoE6EyNS0_10empty_typeEbEEZZNS1_14partition_implILS5_6ELb0ES3_mN6thrust23THRUST_200600_302600_NS6detail15normal_iteratorINSA_10device_ptrIyEEEEPS6_SG_NS0_5tupleIJSF_S6_EEENSH_IJSG_SG_EEES6_PlJNSB_9not_fun_tI7is_trueIyEEEEEE10hipError_tPvRmT3_T4_T5_T6_T7_T9_mT8_P12ihipStream_tbDpT10_ENKUlT_T0_E_clISt17integral_constantIbLb1EES18_EEDaS13_S14_EUlS13_E_NS1_11comp_targetILNS1_3genE8ELNS1_11target_archE1030ELNS1_3gpuE2ELNS1_3repE0EEENS1_30default_config_static_selectorELNS0_4arch9wavefront6targetE0EEEvT1_ ; -- Begin function _ZN7rocprim17ROCPRIM_400000_NS6detail17trampoline_kernelINS0_14default_configENS1_25partition_config_selectorILNS1_17partition_subalgoE6EyNS0_10empty_typeEbEEZZNS1_14partition_implILS5_6ELb0ES3_mN6thrust23THRUST_200600_302600_NS6detail15normal_iteratorINSA_10device_ptrIyEEEEPS6_SG_NS0_5tupleIJSF_S6_EEENSH_IJSG_SG_EEES6_PlJNSB_9not_fun_tI7is_trueIyEEEEEE10hipError_tPvRmT3_T4_T5_T6_T7_T9_mT8_P12ihipStream_tbDpT10_ENKUlT_T0_E_clISt17integral_constantIbLb1EES18_EEDaS13_S14_EUlS13_E_NS1_11comp_targetILNS1_3genE8ELNS1_11target_archE1030ELNS1_3gpuE2ELNS1_3repE0EEENS1_30default_config_static_selectorELNS0_4arch9wavefront6targetE0EEEvT1_
	.globl	_ZN7rocprim17ROCPRIM_400000_NS6detail17trampoline_kernelINS0_14default_configENS1_25partition_config_selectorILNS1_17partition_subalgoE6EyNS0_10empty_typeEbEEZZNS1_14partition_implILS5_6ELb0ES3_mN6thrust23THRUST_200600_302600_NS6detail15normal_iteratorINSA_10device_ptrIyEEEEPS6_SG_NS0_5tupleIJSF_S6_EEENSH_IJSG_SG_EEES6_PlJNSB_9not_fun_tI7is_trueIyEEEEEE10hipError_tPvRmT3_T4_T5_T6_T7_T9_mT8_P12ihipStream_tbDpT10_ENKUlT_T0_E_clISt17integral_constantIbLb1EES18_EEDaS13_S14_EUlS13_E_NS1_11comp_targetILNS1_3genE8ELNS1_11target_archE1030ELNS1_3gpuE2ELNS1_3repE0EEENS1_30default_config_static_selectorELNS0_4arch9wavefront6targetE0EEEvT1_
	.p2align	8
	.type	_ZN7rocprim17ROCPRIM_400000_NS6detail17trampoline_kernelINS0_14default_configENS1_25partition_config_selectorILNS1_17partition_subalgoE6EyNS0_10empty_typeEbEEZZNS1_14partition_implILS5_6ELb0ES3_mN6thrust23THRUST_200600_302600_NS6detail15normal_iteratorINSA_10device_ptrIyEEEEPS6_SG_NS0_5tupleIJSF_S6_EEENSH_IJSG_SG_EEES6_PlJNSB_9not_fun_tI7is_trueIyEEEEEE10hipError_tPvRmT3_T4_T5_T6_T7_T9_mT8_P12ihipStream_tbDpT10_ENKUlT_T0_E_clISt17integral_constantIbLb1EES18_EEDaS13_S14_EUlS13_E_NS1_11comp_targetILNS1_3genE8ELNS1_11target_archE1030ELNS1_3gpuE2ELNS1_3repE0EEENS1_30default_config_static_selectorELNS0_4arch9wavefront6targetE0EEEvT1_,@function
_ZN7rocprim17ROCPRIM_400000_NS6detail17trampoline_kernelINS0_14default_configENS1_25partition_config_selectorILNS1_17partition_subalgoE6EyNS0_10empty_typeEbEEZZNS1_14partition_implILS5_6ELb0ES3_mN6thrust23THRUST_200600_302600_NS6detail15normal_iteratorINSA_10device_ptrIyEEEEPS6_SG_NS0_5tupleIJSF_S6_EEENSH_IJSG_SG_EEES6_PlJNSB_9not_fun_tI7is_trueIyEEEEEE10hipError_tPvRmT3_T4_T5_T6_T7_T9_mT8_P12ihipStream_tbDpT10_ENKUlT_T0_E_clISt17integral_constantIbLb1EES18_EEDaS13_S14_EUlS13_E_NS1_11comp_targetILNS1_3genE8ELNS1_11target_archE1030ELNS1_3gpuE2ELNS1_3repE0EEENS1_30default_config_static_selectorELNS0_4arch9wavefront6targetE0EEEvT1_: ; @_ZN7rocprim17ROCPRIM_400000_NS6detail17trampoline_kernelINS0_14default_configENS1_25partition_config_selectorILNS1_17partition_subalgoE6EyNS0_10empty_typeEbEEZZNS1_14partition_implILS5_6ELb0ES3_mN6thrust23THRUST_200600_302600_NS6detail15normal_iteratorINSA_10device_ptrIyEEEEPS6_SG_NS0_5tupleIJSF_S6_EEENSH_IJSG_SG_EEES6_PlJNSB_9not_fun_tI7is_trueIyEEEEEE10hipError_tPvRmT3_T4_T5_T6_T7_T9_mT8_P12ihipStream_tbDpT10_ENKUlT_T0_E_clISt17integral_constantIbLb1EES18_EEDaS13_S14_EUlS13_E_NS1_11comp_targetILNS1_3genE8ELNS1_11target_archE1030ELNS1_3gpuE2ELNS1_3repE0EEENS1_30default_config_static_selectorELNS0_4arch9wavefront6targetE0EEEvT1_
; %bb.0:
	.section	.rodata,"a",@progbits
	.p2align	6, 0x0
	.amdhsa_kernel _ZN7rocprim17ROCPRIM_400000_NS6detail17trampoline_kernelINS0_14default_configENS1_25partition_config_selectorILNS1_17partition_subalgoE6EyNS0_10empty_typeEbEEZZNS1_14partition_implILS5_6ELb0ES3_mN6thrust23THRUST_200600_302600_NS6detail15normal_iteratorINSA_10device_ptrIyEEEEPS6_SG_NS0_5tupleIJSF_S6_EEENSH_IJSG_SG_EEES6_PlJNSB_9not_fun_tI7is_trueIyEEEEEE10hipError_tPvRmT3_T4_T5_T6_T7_T9_mT8_P12ihipStream_tbDpT10_ENKUlT_T0_E_clISt17integral_constantIbLb1EES18_EEDaS13_S14_EUlS13_E_NS1_11comp_targetILNS1_3genE8ELNS1_11target_archE1030ELNS1_3gpuE2ELNS1_3repE0EEENS1_30default_config_static_selectorELNS0_4arch9wavefront6targetE0EEEvT1_
		.amdhsa_group_segment_fixed_size 0
		.amdhsa_private_segment_fixed_size 0
		.amdhsa_kernarg_size 128
		.amdhsa_user_sgpr_count 2
		.amdhsa_user_sgpr_dispatch_ptr 0
		.amdhsa_user_sgpr_queue_ptr 0
		.amdhsa_user_sgpr_kernarg_segment_ptr 1
		.amdhsa_user_sgpr_dispatch_id 0
		.amdhsa_user_sgpr_private_segment_size 0
		.amdhsa_wavefront_size32 1
		.amdhsa_uses_dynamic_stack 0
		.amdhsa_enable_private_segment 0
		.amdhsa_system_sgpr_workgroup_id_x 1
		.amdhsa_system_sgpr_workgroup_id_y 0
		.amdhsa_system_sgpr_workgroup_id_z 0
		.amdhsa_system_sgpr_workgroup_info 0
		.amdhsa_system_vgpr_workitem_id 0
		.amdhsa_next_free_vgpr 1
		.amdhsa_next_free_sgpr 1
		.amdhsa_reserve_vcc 0
		.amdhsa_float_round_mode_32 0
		.amdhsa_float_round_mode_16_64 0
		.amdhsa_float_denorm_mode_32 3
		.amdhsa_float_denorm_mode_16_64 3
		.amdhsa_fp16_overflow 0
		.amdhsa_workgroup_processor_mode 1
		.amdhsa_memory_ordered 1
		.amdhsa_forward_progress 1
		.amdhsa_inst_pref_size 0
		.amdhsa_round_robin_scheduling 0
		.amdhsa_exception_fp_ieee_invalid_op 0
		.amdhsa_exception_fp_denorm_src 0
		.amdhsa_exception_fp_ieee_div_zero 0
		.amdhsa_exception_fp_ieee_overflow 0
		.amdhsa_exception_fp_ieee_underflow 0
		.amdhsa_exception_fp_ieee_inexact 0
		.amdhsa_exception_int_div_zero 0
	.end_amdhsa_kernel
	.section	.text._ZN7rocprim17ROCPRIM_400000_NS6detail17trampoline_kernelINS0_14default_configENS1_25partition_config_selectorILNS1_17partition_subalgoE6EyNS0_10empty_typeEbEEZZNS1_14partition_implILS5_6ELb0ES3_mN6thrust23THRUST_200600_302600_NS6detail15normal_iteratorINSA_10device_ptrIyEEEEPS6_SG_NS0_5tupleIJSF_S6_EEENSH_IJSG_SG_EEES6_PlJNSB_9not_fun_tI7is_trueIyEEEEEE10hipError_tPvRmT3_T4_T5_T6_T7_T9_mT8_P12ihipStream_tbDpT10_ENKUlT_T0_E_clISt17integral_constantIbLb1EES18_EEDaS13_S14_EUlS13_E_NS1_11comp_targetILNS1_3genE8ELNS1_11target_archE1030ELNS1_3gpuE2ELNS1_3repE0EEENS1_30default_config_static_selectorELNS0_4arch9wavefront6targetE0EEEvT1_,"axG",@progbits,_ZN7rocprim17ROCPRIM_400000_NS6detail17trampoline_kernelINS0_14default_configENS1_25partition_config_selectorILNS1_17partition_subalgoE6EyNS0_10empty_typeEbEEZZNS1_14partition_implILS5_6ELb0ES3_mN6thrust23THRUST_200600_302600_NS6detail15normal_iteratorINSA_10device_ptrIyEEEEPS6_SG_NS0_5tupleIJSF_S6_EEENSH_IJSG_SG_EEES6_PlJNSB_9not_fun_tI7is_trueIyEEEEEE10hipError_tPvRmT3_T4_T5_T6_T7_T9_mT8_P12ihipStream_tbDpT10_ENKUlT_T0_E_clISt17integral_constantIbLb1EES18_EEDaS13_S14_EUlS13_E_NS1_11comp_targetILNS1_3genE8ELNS1_11target_archE1030ELNS1_3gpuE2ELNS1_3repE0EEENS1_30default_config_static_selectorELNS0_4arch9wavefront6targetE0EEEvT1_,comdat
.Lfunc_end1124:
	.size	_ZN7rocprim17ROCPRIM_400000_NS6detail17trampoline_kernelINS0_14default_configENS1_25partition_config_selectorILNS1_17partition_subalgoE6EyNS0_10empty_typeEbEEZZNS1_14partition_implILS5_6ELb0ES3_mN6thrust23THRUST_200600_302600_NS6detail15normal_iteratorINSA_10device_ptrIyEEEEPS6_SG_NS0_5tupleIJSF_S6_EEENSH_IJSG_SG_EEES6_PlJNSB_9not_fun_tI7is_trueIyEEEEEE10hipError_tPvRmT3_T4_T5_T6_T7_T9_mT8_P12ihipStream_tbDpT10_ENKUlT_T0_E_clISt17integral_constantIbLb1EES18_EEDaS13_S14_EUlS13_E_NS1_11comp_targetILNS1_3genE8ELNS1_11target_archE1030ELNS1_3gpuE2ELNS1_3repE0EEENS1_30default_config_static_selectorELNS0_4arch9wavefront6targetE0EEEvT1_, .Lfunc_end1124-_ZN7rocprim17ROCPRIM_400000_NS6detail17trampoline_kernelINS0_14default_configENS1_25partition_config_selectorILNS1_17partition_subalgoE6EyNS0_10empty_typeEbEEZZNS1_14partition_implILS5_6ELb0ES3_mN6thrust23THRUST_200600_302600_NS6detail15normal_iteratorINSA_10device_ptrIyEEEEPS6_SG_NS0_5tupleIJSF_S6_EEENSH_IJSG_SG_EEES6_PlJNSB_9not_fun_tI7is_trueIyEEEEEE10hipError_tPvRmT3_T4_T5_T6_T7_T9_mT8_P12ihipStream_tbDpT10_ENKUlT_T0_E_clISt17integral_constantIbLb1EES18_EEDaS13_S14_EUlS13_E_NS1_11comp_targetILNS1_3genE8ELNS1_11target_archE1030ELNS1_3gpuE2ELNS1_3repE0EEENS1_30default_config_static_selectorELNS0_4arch9wavefront6targetE0EEEvT1_
                                        ; -- End function
	.set _ZN7rocprim17ROCPRIM_400000_NS6detail17trampoline_kernelINS0_14default_configENS1_25partition_config_selectorILNS1_17partition_subalgoE6EyNS0_10empty_typeEbEEZZNS1_14partition_implILS5_6ELb0ES3_mN6thrust23THRUST_200600_302600_NS6detail15normal_iteratorINSA_10device_ptrIyEEEEPS6_SG_NS0_5tupleIJSF_S6_EEENSH_IJSG_SG_EEES6_PlJNSB_9not_fun_tI7is_trueIyEEEEEE10hipError_tPvRmT3_T4_T5_T6_T7_T9_mT8_P12ihipStream_tbDpT10_ENKUlT_T0_E_clISt17integral_constantIbLb1EES18_EEDaS13_S14_EUlS13_E_NS1_11comp_targetILNS1_3genE8ELNS1_11target_archE1030ELNS1_3gpuE2ELNS1_3repE0EEENS1_30default_config_static_selectorELNS0_4arch9wavefront6targetE0EEEvT1_.num_vgpr, 0
	.set _ZN7rocprim17ROCPRIM_400000_NS6detail17trampoline_kernelINS0_14default_configENS1_25partition_config_selectorILNS1_17partition_subalgoE6EyNS0_10empty_typeEbEEZZNS1_14partition_implILS5_6ELb0ES3_mN6thrust23THRUST_200600_302600_NS6detail15normal_iteratorINSA_10device_ptrIyEEEEPS6_SG_NS0_5tupleIJSF_S6_EEENSH_IJSG_SG_EEES6_PlJNSB_9not_fun_tI7is_trueIyEEEEEE10hipError_tPvRmT3_T4_T5_T6_T7_T9_mT8_P12ihipStream_tbDpT10_ENKUlT_T0_E_clISt17integral_constantIbLb1EES18_EEDaS13_S14_EUlS13_E_NS1_11comp_targetILNS1_3genE8ELNS1_11target_archE1030ELNS1_3gpuE2ELNS1_3repE0EEENS1_30default_config_static_selectorELNS0_4arch9wavefront6targetE0EEEvT1_.num_agpr, 0
	.set _ZN7rocprim17ROCPRIM_400000_NS6detail17trampoline_kernelINS0_14default_configENS1_25partition_config_selectorILNS1_17partition_subalgoE6EyNS0_10empty_typeEbEEZZNS1_14partition_implILS5_6ELb0ES3_mN6thrust23THRUST_200600_302600_NS6detail15normal_iteratorINSA_10device_ptrIyEEEEPS6_SG_NS0_5tupleIJSF_S6_EEENSH_IJSG_SG_EEES6_PlJNSB_9not_fun_tI7is_trueIyEEEEEE10hipError_tPvRmT3_T4_T5_T6_T7_T9_mT8_P12ihipStream_tbDpT10_ENKUlT_T0_E_clISt17integral_constantIbLb1EES18_EEDaS13_S14_EUlS13_E_NS1_11comp_targetILNS1_3genE8ELNS1_11target_archE1030ELNS1_3gpuE2ELNS1_3repE0EEENS1_30default_config_static_selectorELNS0_4arch9wavefront6targetE0EEEvT1_.numbered_sgpr, 0
	.set _ZN7rocprim17ROCPRIM_400000_NS6detail17trampoline_kernelINS0_14default_configENS1_25partition_config_selectorILNS1_17partition_subalgoE6EyNS0_10empty_typeEbEEZZNS1_14partition_implILS5_6ELb0ES3_mN6thrust23THRUST_200600_302600_NS6detail15normal_iteratorINSA_10device_ptrIyEEEEPS6_SG_NS0_5tupleIJSF_S6_EEENSH_IJSG_SG_EEES6_PlJNSB_9not_fun_tI7is_trueIyEEEEEE10hipError_tPvRmT3_T4_T5_T6_T7_T9_mT8_P12ihipStream_tbDpT10_ENKUlT_T0_E_clISt17integral_constantIbLb1EES18_EEDaS13_S14_EUlS13_E_NS1_11comp_targetILNS1_3genE8ELNS1_11target_archE1030ELNS1_3gpuE2ELNS1_3repE0EEENS1_30default_config_static_selectorELNS0_4arch9wavefront6targetE0EEEvT1_.num_named_barrier, 0
	.set _ZN7rocprim17ROCPRIM_400000_NS6detail17trampoline_kernelINS0_14default_configENS1_25partition_config_selectorILNS1_17partition_subalgoE6EyNS0_10empty_typeEbEEZZNS1_14partition_implILS5_6ELb0ES3_mN6thrust23THRUST_200600_302600_NS6detail15normal_iteratorINSA_10device_ptrIyEEEEPS6_SG_NS0_5tupleIJSF_S6_EEENSH_IJSG_SG_EEES6_PlJNSB_9not_fun_tI7is_trueIyEEEEEE10hipError_tPvRmT3_T4_T5_T6_T7_T9_mT8_P12ihipStream_tbDpT10_ENKUlT_T0_E_clISt17integral_constantIbLb1EES18_EEDaS13_S14_EUlS13_E_NS1_11comp_targetILNS1_3genE8ELNS1_11target_archE1030ELNS1_3gpuE2ELNS1_3repE0EEENS1_30default_config_static_selectorELNS0_4arch9wavefront6targetE0EEEvT1_.private_seg_size, 0
	.set _ZN7rocprim17ROCPRIM_400000_NS6detail17trampoline_kernelINS0_14default_configENS1_25partition_config_selectorILNS1_17partition_subalgoE6EyNS0_10empty_typeEbEEZZNS1_14partition_implILS5_6ELb0ES3_mN6thrust23THRUST_200600_302600_NS6detail15normal_iteratorINSA_10device_ptrIyEEEEPS6_SG_NS0_5tupleIJSF_S6_EEENSH_IJSG_SG_EEES6_PlJNSB_9not_fun_tI7is_trueIyEEEEEE10hipError_tPvRmT3_T4_T5_T6_T7_T9_mT8_P12ihipStream_tbDpT10_ENKUlT_T0_E_clISt17integral_constantIbLb1EES18_EEDaS13_S14_EUlS13_E_NS1_11comp_targetILNS1_3genE8ELNS1_11target_archE1030ELNS1_3gpuE2ELNS1_3repE0EEENS1_30default_config_static_selectorELNS0_4arch9wavefront6targetE0EEEvT1_.uses_vcc, 0
	.set _ZN7rocprim17ROCPRIM_400000_NS6detail17trampoline_kernelINS0_14default_configENS1_25partition_config_selectorILNS1_17partition_subalgoE6EyNS0_10empty_typeEbEEZZNS1_14partition_implILS5_6ELb0ES3_mN6thrust23THRUST_200600_302600_NS6detail15normal_iteratorINSA_10device_ptrIyEEEEPS6_SG_NS0_5tupleIJSF_S6_EEENSH_IJSG_SG_EEES6_PlJNSB_9not_fun_tI7is_trueIyEEEEEE10hipError_tPvRmT3_T4_T5_T6_T7_T9_mT8_P12ihipStream_tbDpT10_ENKUlT_T0_E_clISt17integral_constantIbLb1EES18_EEDaS13_S14_EUlS13_E_NS1_11comp_targetILNS1_3genE8ELNS1_11target_archE1030ELNS1_3gpuE2ELNS1_3repE0EEENS1_30default_config_static_selectorELNS0_4arch9wavefront6targetE0EEEvT1_.uses_flat_scratch, 0
	.set _ZN7rocprim17ROCPRIM_400000_NS6detail17trampoline_kernelINS0_14default_configENS1_25partition_config_selectorILNS1_17partition_subalgoE6EyNS0_10empty_typeEbEEZZNS1_14partition_implILS5_6ELb0ES3_mN6thrust23THRUST_200600_302600_NS6detail15normal_iteratorINSA_10device_ptrIyEEEEPS6_SG_NS0_5tupleIJSF_S6_EEENSH_IJSG_SG_EEES6_PlJNSB_9not_fun_tI7is_trueIyEEEEEE10hipError_tPvRmT3_T4_T5_T6_T7_T9_mT8_P12ihipStream_tbDpT10_ENKUlT_T0_E_clISt17integral_constantIbLb1EES18_EEDaS13_S14_EUlS13_E_NS1_11comp_targetILNS1_3genE8ELNS1_11target_archE1030ELNS1_3gpuE2ELNS1_3repE0EEENS1_30default_config_static_selectorELNS0_4arch9wavefront6targetE0EEEvT1_.has_dyn_sized_stack, 0
	.set _ZN7rocprim17ROCPRIM_400000_NS6detail17trampoline_kernelINS0_14default_configENS1_25partition_config_selectorILNS1_17partition_subalgoE6EyNS0_10empty_typeEbEEZZNS1_14partition_implILS5_6ELb0ES3_mN6thrust23THRUST_200600_302600_NS6detail15normal_iteratorINSA_10device_ptrIyEEEEPS6_SG_NS0_5tupleIJSF_S6_EEENSH_IJSG_SG_EEES6_PlJNSB_9not_fun_tI7is_trueIyEEEEEE10hipError_tPvRmT3_T4_T5_T6_T7_T9_mT8_P12ihipStream_tbDpT10_ENKUlT_T0_E_clISt17integral_constantIbLb1EES18_EEDaS13_S14_EUlS13_E_NS1_11comp_targetILNS1_3genE8ELNS1_11target_archE1030ELNS1_3gpuE2ELNS1_3repE0EEENS1_30default_config_static_selectorELNS0_4arch9wavefront6targetE0EEEvT1_.has_recursion, 0
	.set _ZN7rocprim17ROCPRIM_400000_NS6detail17trampoline_kernelINS0_14default_configENS1_25partition_config_selectorILNS1_17partition_subalgoE6EyNS0_10empty_typeEbEEZZNS1_14partition_implILS5_6ELb0ES3_mN6thrust23THRUST_200600_302600_NS6detail15normal_iteratorINSA_10device_ptrIyEEEEPS6_SG_NS0_5tupleIJSF_S6_EEENSH_IJSG_SG_EEES6_PlJNSB_9not_fun_tI7is_trueIyEEEEEE10hipError_tPvRmT3_T4_T5_T6_T7_T9_mT8_P12ihipStream_tbDpT10_ENKUlT_T0_E_clISt17integral_constantIbLb1EES18_EEDaS13_S14_EUlS13_E_NS1_11comp_targetILNS1_3genE8ELNS1_11target_archE1030ELNS1_3gpuE2ELNS1_3repE0EEENS1_30default_config_static_selectorELNS0_4arch9wavefront6targetE0EEEvT1_.has_indirect_call, 0
	.section	.AMDGPU.csdata,"",@progbits
; Kernel info:
; codeLenInByte = 0
; TotalNumSgprs: 0
; NumVgprs: 0
; ScratchSize: 0
; MemoryBound: 0
; FloatMode: 240
; IeeeMode: 1
; LDSByteSize: 0 bytes/workgroup (compile time only)
; SGPRBlocks: 0
; VGPRBlocks: 0
; NumSGPRsForWavesPerEU: 1
; NumVGPRsForWavesPerEU: 1
; Occupancy: 16
; WaveLimiterHint : 0
; COMPUTE_PGM_RSRC2:SCRATCH_EN: 0
; COMPUTE_PGM_RSRC2:USER_SGPR: 2
; COMPUTE_PGM_RSRC2:TRAP_HANDLER: 0
; COMPUTE_PGM_RSRC2:TGID_X_EN: 1
; COMPUTE_PGM_RSRC2:TGID_Y_EN: 0
; COMPUTE_PGM_RSRC2:TGID_Z_EN: 0
; COMPUTE_PGM_RSRC2:TIDIG_COMP_CNT: 0
	.section	.text._ZN7rocprim17ROCPRIM_400000_NS6detail17trampoline_kernelINS0_14default_configENS1_25partition_config_selectorILNS1_17partition_subalgoE6EyNS0_10empty_typeEbEEZZNS1_14partition_implILS5_6ELb0ES3_mN6thrust23THRUST_200600_302600_NS6detail15normal_iteratorINSA_10device_ptrIyEEEEPS6_SG_NS0_5tupleIJSF_S6_EEENSH_IJSG_SG_EEES6_PlJNSB_9not_fun_tI7is_trueIyEEEEEE10hipError_tPvRmT3_T4_T5_T6_T7_T9_mT8_P12ihipStream_tbDpT10_ENKUlT_T0_E_clISt17integral_constantIbLb1EES17_IbLb0EEEEDaS13_S14_EUlS13_E_NS1_11comp_targetILNS1_3genE0ELNS1_11target_archE4294967295ELNS1_3gpuE0ELNS1_3repE0EEENS1_30default_config_static_selectorELNS0_4arch9wavefront6targetE0EEEvT1_,"axG",@progbits,_ZN7rocprim17ROCPRIM_400000_NS6detail17trampoline_kernelINS0_14default_configENS1_25partition_config_selectorILNS1_17partition_subalgoE6EyNS0_10empty_typeEbEEZZNS1_14partition_implILS5_6ELb0ES3_mN6thrust23THRUST_200600_302600_NS6detail15normal_iteratorINSA_10device_ptrIyEEEEPS6_SG_NS0_5tupleIJSF_S6_EEENSH_IJSG_SG_EEES6_PlJNSB_9not_fun_tI7is_trueIyEEEEEE10hipError_tPvRmT3_T4_T5_T6_T7_T9_mT8_P12ihipStream_tbDpT10_ENKUlT_T0_E_clISt17integral_constantIbLb1EES17_IbLb0EEEEDaS13_S14_EUlS13_E_NS1_11comp_targetILNS1_3genE0ELNS1_11target_archE4294967295ELNS1_3gpuE0ELNS1_3repE0EEENS1_30default_config_static_selectorELNS0_4arch9wavefront6targetE0EEEvT1_,comdat
	.protected	_ZN7rocprim17ROCPRIM_400000_NS6detail17trampoline_kernelINS0_14default_configENS1_25partition_config_selectorILNS1_17partition_subalgoE6EyNS0_10empty_typeEbEEZZNS1_14partition_implILS5_6ELb0ES3_mN6thrust23THRUST_200600_302600_NS6detail15normal_iteratorINSA_10device_ptrIyEEEEPS6_SG_NS0_5tupleIJSF_S6_EEENSH_IJSG_SG_EEES6_PlJNSB_9not_fun_tI7is_trueIyEEEEEE10hipError_tPvRmT3_T4_T5_T6_T7_T9_mT8_P12ihipStream_tbDpT10_ENKUlT_T0_E_clISt17integral_constantIbLb1EES17_IbLb0EEEEDaS13_S14_EUlS13_E_NS1_11comp_targetILNS1_3genE0ELNS1_11target_archE4294967295ELNS1_3gpuE0ELNS1_3repE0EEENS1_30default_config_static_selectorELNS0_4arch9wavefront6targetE0EEEvT1_ ; -- Begin function _ZN7rocprim17ROCPRIM_400000_NS6detail17trampoline_kernelINS0_14default_configENS1_25partition_config_selectorILNS1_17partition_subalgoE6EyNS0_10empty_typeEbEEZZNS1_14partition_implILS5_6ELb0ES3_mN6thrust23THRUST_200600_302600_NS6detail15normal_iteratorINSA_10device_ptrIyEEEEPS6_SG_NS0_5tupleIJSF_S6_EEENSH_IJSG_SG_EEES6_PlJNSB_9not_fun_tI7is_trueIyEEEEEE10hipError_tPvRmT3_T4_T5_T6_T7_T9_mT8_P12ihipStream_tbDpT10_ENKUlT_T0_E_clISt17integral_constantIbLb1EES17_IbLb0EEEEDaS13_S14_EUlS13_E_NS1_11comp_targetILNS1_3genE0ELNS1_11target_archE4294967295ELNS1_3gpuE0ELNS1_3repE0EEENS1_30default_config_static_selectorELNS0_4arch9wavefront6targetE0EEEvT1_
	.globl	_ZN7rocprim17ROCPRIM_400000_NS6detail17trampoline_kernelINS0_14default_configENS1_25partition_config_selectorILNS1_17partition_subalgoE6EyNS0_10empty_typeEbEEZZNS1_14partition_implILS5_6ELb0ES3_mN6thrust23THRUST_200600_302600_NS6detail15normal_iteratorINSA_10device_ptrIyEEEEPS6_SG_NS0_5tupleIJSF_S6_EEENSH_IJSG_SG_EEES6_PlJNSB_9not_fun_tI7is_trueIyEEEEEE10hipError_tPvRmT3_T4_T5_T6_T7_T9_mT8_P12ihipStream_tbDpT10_ENKUlT_T0_E_clISt17integral_constantIbLb1EES17_IbLb0EEEEDaS13_S14_EUlS13_E_NS1_11comp_targetILNS1_3genE0ELNS1_11target_archE4294967295ELNS1_3gpuE0ELNS1_3repE0EEENS1_30default_config_static_selectorELNS0_4arch9wavefront6targetE0EEEvT1_
	.p2align	8
	.type	_ZN7rocprim17ROCPRIM_400000_NS6detail17trampoline_kernelINS0_14default_configENS1_25partition_config_selectorILNS1_17partition_subalgoE6EyNS0_10empty_typeEbEEZZNS1_14partition_implILS5_6ELb0ES3_mN6thrust23THRUST_200600_302600_NS6detail15normal_iteratorINSA_10device_ptrIyEEEEPS6_SG_NS0_5tupleIJSF_S6_EEENSH_IJSG_SG_EEES6_PlJNSB_9not_fun_tI7is_trueIyEEEEEE10hipError_tPvRmT3_T4_T5_T6_T7_T9_mT8_P12ihipStream_tbDpT10_ENKUlT_T0_E_clISt17integral_constantIbLb1EES17_IbLb0EEEEDaS13_S14_EUlS13_E_NS1_11comp_targetILNS1_3genE0ELNS1_11target_archE4294967295ELNS1_3gpuE0ELNS1_3repE0EEENS1_30default_config_static_selectorELNS0_4arch9wavefront6targetE0EEEvT1_,@function
_ZN7rocprim17ROCPRIM_400000_NS6detail17trampoline_kernelINS0_14default_configENS1_25partition_config_selectorILNS1_17partition_subalgoE6EyNS0_10empty_typeEbEEZZNS1_14partition_implILS5_6ELb0ES3_mN6thrust23THRUST_200600_302600_NS6detail15normal_iteratorINSA_10device_ptrIyEEEEPS6_SG_NS0_5tupleIJSF_S6_EEENSH_IJSG_SG_EEES6_PlJNSB_9not_fun_tI7is_trueIyEEEEEE10hipError_tPvRmT3_T4_T5_T6_T7_T9_mT8_P12ihipStream_tbDpT10_ENKUlT_T0_E_clISt17integral_constantIbLb1EES17_IbLb0EEEEDaS13_S14_EUlS13_E_NS1_11comp_targetILNS1_3genE0ELNS1_11target_archE4294967295ELNS1_3gpuE0ELNS1_3repE0EEENS1_30default_config_static_selectorELNS0_4arch9wavefront6targetE0EEEvT1_: ; @_ZN7rocprim17ROCPRIM_400000_NS6detail17trampoline_kernelINS0_14default_configENS1_25partition_config_selectorILNS1_17partition_subalgoE6EyNS0_10empty_typeEbEEZZNS1_14partition_implILS5_6ELb0ES3_mN6thrust23THRUST_200600_302600_NS6detail15normal_iteratorINSA_10device_ptrIyEEEEPS6_SG_NS0_5tupleIJSF_S6_EEENSH_IJSG_SG_EEES6_PlJNSB_9not_fun_tI7is_trueIyEEEEEE10hipError_tPvRmT3_T4_T5_T6_T7_T9_mT8_P12ihipStream_tbDpT10_ENKUlT_T0_E_clISt17integral_constantIbLb1EES17_IbLb0EEEEDaS13_S14_EUlS13_E_NS1_11comp_targetILNS1_3genE0ELNS1_11target_archE4294967295ELNS1_3gpuE0ELNS1_3repE0EEENS1_30default_config_static_selectorELNS0_4arch9wavefront6targetE0EEEvT1_
; %bb.0:
	.section	.rodata,"a",@progbits
	.p2align	6, 0x0
	.amdhsa_kernel _ZN7rocprim17ROCPRIM_400000_NS6detail17trampoline_kernelINS0_14default_configENS1_25partition_config_selectorILNS1_17partition_subalgoE6EyNS0_10empty_typeEbEEZZNS1_14partition_implILS5_6ELb0ES3_mN6thrust23THRUST_200600_302600_NS6detail15normal_iteratorINSA_10device_ptrIyEEEEPS6_SG_NS0_5tupleIJSF_S6_EEENSH_IJSG_SG_EEES6_PlJNSB_9not_fun_tI7is_trueIyEEEEEE10hipError_tPvRmT3_T4_T5_T6_T7_T9_mT8_P12ihipStream_tbDpT10_ENKUlT_T0_E_clISt17integral_constantIbLb1EES17_IbLb0EEEEDaS13_S14_EUlS13_E_NS1_11comp_targetILNS1_3genE0ELNS1_11target_archE4294967295ELNS1_3gpuE0ELNS1_3repE0EEENS1_30default_config_static_selectorELNS0_4arch9wavefront6targetE0EEEvT1_
		.amdhsa_group_segment_fixed_size 0
		.amdhsa_private_segment_fixed_size 0
		.amdhsa_kernarg_size 112
		.amdhsa_user_sgpr_count 2
		.amdhsa_user_sgpr_dispatch_ptr 0
		.amdhsa_user_sgpr_queue_ptr 0
		.amdhsa_user_sgpr_kernarg_segment_ptr 1
		.amdhsa_user_sgpr_dispatch_id 0
		.amdhsa_user_sgpr_private_segment_size 0
		.amdhsa_wavefront_size32 1
		.amdhsa_uses_dynamic_stack 0
		.amdhsa_enable_private_segment 0
		.amdhsa_system_sgpr_workgroup_id_x 1
		.amdhsa_system_sgpr_workgroup_id_y 0
		.amdhsa_system_sgpr_workgroup_id_z 0
		.amdhsa_system_sgpr_workgroup_info 0
		.amdhsa_system_vgpr_workitem_id 0
		.amdhsa_next_free_vgpr 1
		.amdhsa_next_free_sgpr 1
		.amdhsa_reserve_vcc 0
		.amdhsa_float_round_mode_32 0
		.amdhsa_float_round_mode_16_64 0
		.amdhsa_float_denorm_mode_32 3
		.amdhsa_float_denorm_mode_16_64 3
		.amdhsa_fp16_overflow 0
		.amdhsa_workgroup_processor_mode 1
		.amdhsa_memory_ordered 1
		.amdhsa_forward_progress 1
		.amdhsa_inst_pref_size 0
		.amdhsa_round_robin_scheduling 0
		.amdhsa_exception_fp_ieee_invalid_op 0
		.amdhsa_exception_fp_denorm_src 0
		.amdhsa_exception_fp_ieee_div_zero 0
		.amdhsa_exception_fp_ieee_overflow 0
		.amdhsa_exception_fp_ieee_underflow 0
		.amdhsa_exception_fp_ieee_inexact 0
		.amdhsa_exception_int_div_zero 0
	.end_amdhsa_kernel
	.section	.text._ZN7rocprim17ROCPRIM_400000_NS6detail17trampoline_kernelINS0_14default_configENS1_25partition_config_selectorILNS1_17partition_subalgoE6EyNS0_10empty_typeEbEEZZNS1_14partition_implILS5_6ELb0ES3_mN6thrust23THRUST_200600_302600_NS6detail15normal_iteratorINSA_10device_ptrIyEEEEPS6_SG_NS0_5tupleIJSF_S6_EEENSH_IJSG_SG_EEES6_PlJNSB_9not_fun_tI7is_trueIyEEEEEE10hipError_tPvRmT3_T4_T5_T6_T7_T9_mT8_P12ihipStream_tbDpT10_ENKUlT_T0_E_clISt17integral_constantIbLb1EES17_IbLb0EEEEDaS13_S14_EUlS13_E_NS1_11comp_targetILNS1_3genE0ELNS1_11target_archE4294967295ELNS1_3gpuE0ELNS1_3repE0EEENS1_30default_config_static_selectorELNS0_4arch9wavefront6targetE0EEEvT1_,"axG",@progbits,_ZN7rocprim17ROCPRIM_400000_NS6detail17trampoline_kernelINS0_14default_configENS1_25partition_config_selectorILNS1_17partition_subalgoE6EyNS0_10empty_typeEbEEZZNS1_14partition_implILS5_6ELb0ES3_mN6thrust23THRUST_200600_302600_NS6detail15normal_iteratorINSA_10device_ptrIyEEEEPS6_SG_NS0_5tupleIJSF_S6_EEENSH_IJSG_SG_EEES6_PlJNSB_9not_fun_tI7is_trueIyEEEEEE10hipError_tPvRmT3_T4_T5_T6_T7_T9_mT8_P12ihipStream_tbDpT10_ENKUlT_T0_E_clISt17integral_constantIbLb1EES17_IbLb0EEEEDaS13_S14_EUlS13_E_NS1_11comp_targetILNS1_3genE0ELNS1_11target_archE4294967295ELNS1_3gpuE0ELNS1_3repE0EEENS1_30default_config_static_selectorELNS0_4arch9wavefront6targetE0EEEvT1_,comdat
.Lfunc_end1125:
	.size	_ZN7rocprim17ROCPRIM_400000_NS6detail17trampoline_kernelINS0_14default_configENS1_25partition_config_selectorILNS1_17partition_subalgoE6EyNS0_10empty_typeEbEEZZNS1_14partition_implILS5_6ELb0ES3_mN6thrust23THRUST_200600_302600_NS6detail15normal_iteratorINSA_10device_ptrIyEEEEPS6_SG_NS0_5tupleIJSF_S6_EEENSH_IJSG_SG_EEES6_PlJNSB_9not_fun_tI7is_trueIyEEEEEE10hipError_tPvRmT3_T4_T5_T6_T7_T9_mT8_P12ihipStream_tbDpT10_ENKUlT_T0_E_clISt17integral_constantIbLb1EES17_IbLb0EEEEDaS13_S14_EUlS13_E_NS1_11comp_targetILNS1_3genE0ELNS1_11target_archE4294967295ELNS1_3gpuE0ELNS1_3repE0EEENS1_30default_config_static_selectorELNS0_4arch9wavefront6targetE0EEEvT1_, .Lfunc_end1125-_ZN7rocprim17ROCPRIM_400000_NS6detail17trampoline_kernelINS0_14default_configENS1_25partition_config_selectorILNS1_17partition_subalgoE6EyNS0_10empty_typeEbEEZZNS1_14partition_implILS5_6ELb0ES3_mN6thrust23THRUST_200600_302600_NS6detail15normal_iteratorINSA_10device_ptrIyEEEEPS6_SG_NS0_5tupleIJSF_S6_EEENSH_IJSG_SG_EEES6_PlJNSB_9not_fun_tI7is_trueIyEEEEEE10hipError_tPvRmT3_T4_T5_T6_T7_T9_mT8_P12ihipStream_tbDpT10_ENKUlT_T0_E_clISt17integral_constantIbLb1EES17_IbLb0EEEEDaS13_S14_EUlS13_E_NS1_11comp_targetILNS1_3genE0ELNS1_11target_archE4294967295ELNS1_3gpuE0ELNS1_3repE0EEENS1_30default_config_static_selectorELNS0_4arch9wavefront6targetE0EEEvT1_
                                        ; -- End function
	.set _ZN7rocprim17ROCPRIM_400000_NS6detail17trampoline_kernelINS0_14default_configENS1_25partition_config_selectorILNS1_17partition_subalgoE6EyNS0_10empty_typeEbEEZZNS1_14partition_implILS5_6ELb0ES3_mN6thrust23THRUST_200600_302600_NS6detail15normal_iteratorINSA_10device_ptrIyEEEEPS6_SG_NS0_5tupleIJSF_S6_EEENSH_IJSG_SG_EEES6_PlJNSB_9not_fun_tI7is_trueIyEEEEEE10hipError_tPvRmT3_T4_T5_T6_T7_T9_mT8_P12ihipStream_tbDpT10_ENKUlT_T0_E_clISt17integral_constantIbLb1EES17_IbLb0EEEEDaS13_S14_EUlS13_E_NS1_11comp_targetILNS1_3genE0ELNS1_11target_archE4294967295ELNS1_3gpuE0ELNS1_3repE0EEENS1_30default_config_static_selectorELNS0_4arch9wavefront6targetE0EEEvT1_.num_vgpr, 0
	.set _ZN7rocprim17ROCPRIM_400000_NS6detail17trampoline_kernelINS0_14default_configENS1_25partition_config_selectorILNS1_17partition_subalgoE6EyNS0_10empty_typeEbEEZZNS1_14partition_implILS5_6ELb0ES3_mN6thrust23THRUST_200600_302600_NS6detail15normal_iteratorINSA_10device_ptrIyEEEEPS6_SG_NS0_5tupleIJSF_S6_EEENSH_IJSG_SG_EEES6_PlJNSB_9not_fun_tI7is_trueIyEEEEEE10hipError_tPvRmT3_T4_T5_T6_T7_T9_mT8_P12ihipStream_tbDpT10_ENKUlT_T0_E_clISt17integral_constantIbLb1EES17_IbLb0EEEEDaS13_S14_EUlS13_E_NS1_11comp_targetILNS1_3genE0ELNS1_11target_archE4294967295ELNS1_3gpuE0ELNS1_3repE0EEENS1_30default_config_static_selectorELNS0_4arch9wavefront6targetE0EEEvT1_.num_agpr, 0
	.set _ZN7rocprim17ROCPRIM_400000_NS6detail17trampoline_kernelINS0_14default_configENS1_25partition_config_selectorILNS1_17partition_subalgoE6EyNS0_10empty_typeEbEEZZNS1_14partition_implILS5_6ELb0ES3_mN6thrust23THRUST_200600_302600_NS6detail15normal_iteratorINSA_10device_ptrIyEEEEPS6_SG_NS0_5tupleIJSF_S6_EEENSH_IJSG_SG_EEES6_PlJNSB_9not_fun_tI7is_trueIyEEEEEE10hipError_tPvRmT3_T4_T5_T6_T7_T9_mT8_P12ihipStream_tbDpT10_ENKUlT_T0_E_clISt17integral_constantIbLb1EES17_IbLb0EEEEDaS13_S14_EUlS13_E_NS1_11comp_targetILNS1_3genE0ELNS1_11target_archE4294967295ELNS1_3gpuE0ELNS1_3repE0EEENS1_30default_config_static_selectorELNS0_4arch9wavefront6targetE0EEEvT1_.numbered_sgpr, 0
	.set _ZN7rocprim17ROCPRIM_400000_NS6detail17trampoline_kernelINS0_14default_configENS1_25partition_config_selectorILNS1_17partition_subalgoE6EyNS0_10empty_typeEbEEZZNS1_14partition_implILS5_6ELb0ES3_mN6thrust23THRUST_200600_302600_NS6detail15normal_iteratorINSA_10device_ptrIyEEEEPS6_SG_NS0_5tupleIJSF_S6_EEENSH_IJSG_SG_EEES6_PlJNSB_9not_fun_tI7is_trueIyEEEEEE10hipError_tPvRmT3_T4_T5_T6_T7_T9_mT8_P12ihipStream_tbDpT10_ENKUlT_T0_E_clISt17integral_constantIbLb1EES17_IbLb0EEEEDaS13_S14_EUlS13_E_NS1_11comp_targetILNS1_3genE0ELNS1_11target_archE4294967295ELNS1_3gpuE0ELNS1_3repE0EEENS1_30default_config_static_selectorELNS0_4arch9wavefront6targetE0EEEvT1_.num_named_barrier, 0
	.set _ZN7rocprim17ROCPRIM_400000_NS6detail17trampoline_kernelINS0_14default_configENS1_25partition_config_selectorILNS1_17partition_subalgoE6EyNS0_10empty_typeEbEEZZNS1_14partition_implILS5_6ELb0ES3_mN6thrust23THRUST_200600_302600_NS6detail15normal_iteratorINSA_10device_ptrIyEEEEPS6_SG_NS0_5tupleIJSF_S6_EEENSH_IJSG_SG_EEES6_PlJNSB_9not_fun_tI7is_trueIyEEEEEE10hipError_tPvRmT3_T4_T5_T6_T7_T9_mT8_P12ihipStream_tbDpT10_ENKUlT_T0_E_clISt17integral_constantIbLb1EES17_IbLb0EEEEDaS13_S14_EUlS13_E_NS1_11comp_targetILNS1_3genE0ELNS1_11target_archE4294967295ELNS1_3gpuE0ELNS1_3repE0EEENS1_30default_config_static_selectorELNS0_4arch9wavefront6targetE0EEEvT1_.private_seg_size, 0
	.set _ZN7rocprim17ROCPRIM_400000_NS6detail17trampoline_kernelINS0_14default_configENS1_25partition_config_selectorILNS1_17partition_subalgoE6EyNS0_10empty_typeEbEEZZNS1_14partition_implILS5_6ELb0ES3_mN6thrust23THRUST_200600_302600_NS6detail15normal_iteratorINSA_10device_ptrIyEEEEPS6_SG_NS0_5tupleIJSF_S6_EEENSH_IJSG_SG_EEES6_PlJNSB_9not_fun_tI7is_trueIyEEEEEE10hipError_tPvRmT3_T4_T5_T6_T7_T9_mT8_P12ihipStream_tbDpT10_ENKUlT_T0_E_clISt17integral_constantIbLb1EES17_IbLb0EEEEDaS13_S14_EUlS13_E_NS1_11comp_targetILNS1_3genE0ELNS1_11target_archE4294967295ELNS1_3gpuE0ELNS1_3repE0EEENS1_30default_config_static_selectorELNS0_4arch9wavefront6targetE0EEEvT1_.uses_vcc, 0
	.set _ZN7rocprim17ROCPRIM_400000_NS6detail17trampoline_kernelINS0_14default_configENS1_25partition_config_selectorILNS1_17partition_subalgoE6EyNS0_10empty_typeEbEEZZNS1_14partition_implILS5_6ELb0ES3_mN6thrust23THRUST_200600_302600_NS6detail15normal_iteratorINSA_10device_ptrIyEEEEPS6_SG_NS0_5tupleIJSF_S6_EEENSH_IJSG_SG_EEES6_PlJNSB_9not_fun_tI7is_trueIyEEEEEE10hipError_tPvRmT3_T4_T5_T6_T7_T9_mT8_P12ihipStream_tbDpT10_ENKUlT_T0_E_clISt17integral_constantIbLb1EES17_IbLb0EEEEDaS13_S14_EUlS13_E_NS1_11comp_targetILNS1_3genE0ELNS1_11target_archE4294967295ELNS1_3gpuE0ELNS1_3repE0EEENS1_30default_config_static_selectorELNS0_4arch9wavefront6targetE0EEEvT1_.uses_flat_scratch, 0
	.set _ZN7rocprim17ROCPRIM_400000_NS6detail17trampoline_kernelINS0_14default_configENS1_25partition_config_selectorILNS1_17partition_subalgoE6EyNS0_10empty_typeEbEEZZNS1_14partition_implILS5_6ELb0ES3_mN6thrust23THRUST_200600_302600_NS6detail15normal_iteratorINSA_10device_ptrIyEEEEPS6_SG_NS0_5tupleIJSF_S6_EEENSH_IJSG_SG_EEES6_PlJNSB_9not_fun_tI7is_trueIyEEEEEE10hipError_tPvRmT3_T4_T5_T6_T7_T9_mT8_P12ihipStream_tbDpT10_ENKUlT_T0_E_clISt17integral_constantIbLb1EES17_IbLb0EEEEDaS13_S14_EUlS13_E_NS1_11comp_targetILNS1_3genE0ELNS1_11target_archE4294967295ELNS1_3gpuE0ELNS1_3repE0EEENS1_30default_config_static_selectorELNS0_4arch9wavefront6targetE0EEEvT1_.has_dyn_sized_stack, 0
	.set _ZN7rocprim17ROCPRIM_400000_NS6detail17trampoline_kernelINS0_14default_configENS1_25partition_config_selectorILNS1_17partition_subalgoE6EyNS0_10empty_typeEbEEZZNS1_14partition_implILS5_6ELb0ES3_mN6thrust23THRUST_200600_302600_NS6detail15normal_iteratorINSA_10device_ptrIyEEEEPS6_SG_NS0_5tupleIJSF_S6_EEENSH_IJSG_SG_EEES6_PlJNSB_9not_fun_tI7is_trueIyEEEEEE10hipError_tPvRmT3_T4_T5_T6_T7_T9_mT8_P12ihipStream_tbDpT10_ENKUlT_T0_E_clISt17integral_constantIbLb1EES17_IbLb0EEEEDaS13_S14_EUlS13_E_NS1_11comp_targetILNS1_3genE0ELNS1_11target_archE4294967295ELNS1_3gpuE0ELNS1_3repE0EEENS1_30default_config_static_selectorELNS0_4arch9wavefront6targetE0EEEvT1_.has_recursion, 0
	.set _ZN7rocprim17ROCPRIM_400000_NS6detail17trampoline_kernelINS0_14default_configENS1_25partition_config_selectorILNS1_17partition_subalgoE6EyNS0_10empty_typeEbEEZZNS1_14partition_implILS5_6ELb0ES3_mN6thrust23THRUST_200600_302600_NS6detail15normal_iteratorINSA_10device_ptrIyEEEEPS6_SG_NS0_5tupleIJSF_S6_EEENSH_IJSG_SG_EEES6_PlJNSB_9not_fun_tI7is_trueIyEEEEEE10hipError_tPvRmT3_T4_T5_T6_T7_T9_mT8_P12ihipStream_tbDpT10_ENKUlT_T0_E_clISt17integral_constantIbLb1EES17_IbLb0EEEEDaS13_S14_EUlS13_E_NS1_11comp_targetILNS1_3genE0ELNS1_11target_archE4294967295ELNS1_3gpuE0ELNS1_3repE0EEENS1_30default_config_static_selectorELNS0_4arch9wavefront6targetE0EEEvT1_.has_indirect_call, 0
	.section	.AMDGPU.csdata,"",@progbits
; Kernel info:
; codeLenInByte = 0
; TotalNumSgprs: 0
; NumVgprs: 0
; ScratchSize: 0
; MemoryBound: 0
; FloatMode: 240
; IeeeMode: 1
; LDSByteSize: 0 bytes/workgroup (compile time only)
; SGPRBlocks: 0
; VGPRBlocks: 0
; NumSGPRsForWavesPerEU: 1
; NumVGPRsForWavesPerEU: 1
; Occupancy: 16
; WaveLimiterHint : 0
; COMPUTE_PGM_RSRC2:SCRATCH_EN: 0
; COMPUTE_PGM_RSRC2:USER_SGPR: 2
; COMPUTE_PGM_RSRC2:TRAP_HANDLER: 0
; COMPUTE_PGM_RSRC2:TGID_X_EN: 1
; COMPUTE_PGM_RSRC2:TGID_Y_EN: 0
; COMPUTE_PGM_RSRC2:TGID_Z_EN: 0
; COMPUTE_PGM_RSRC2:TIDIG_COMP_CNT: 0
	.section	.text._ZN7rocprim17ROCPRIM_400000_NS6detail17trampoline_kernelINS0_14default_configENS1_25partition_config_selectorILNS1_17partition_subalgoE6EyNS0_10empty_typeEbEEZZNS1_14partition_implILS5_6ELb0ES3_mN6thrust23THRUST_200600_302600_NS6detail15normal_iteratorINSA_10device_ptrIyEEEEPS6_SG_NS0_5tupleIJSF_S6_EEENSH_IJSG_SG_EEES6_PlJNSB_9not_fun_tI7is_trueIyEEEEEE10hipError_tPvRmT3_T4_T5_T6_T7_T9_mT8_P12ihipStream_tbDpT10_ENKUlT_T0_E_clISt17integral_constantIbLb1EES17_IbLb0EEEEDaS13_S14_EUlS13_E_NS1_11comp_targetILNS1_3genE5ELNS1_11target_archE942ELNS1_3gpuE9ELNS1_3repE0EEENS1_30default_config_static_selectorELNS0_4arch9wavefront6targetE0EEEvT1_,"axG",@progbits,_ZN7rocprim17ROCPRIM_400000_NS6detail17trampoline_kernelINS0_14default_configENS1_25partition_config_selectorILNS1_17partition_subalgoE6EyNS0_10empty_typeEbEEZZNS1_14partition_implILS5_6ELb0ES3_mN6thrust23THRUST_200600_302600_NS6detail15normal_iteratorINSA_10device_ptrIyEEEEPS6_SG_NS0_5tupleIJSF_S6_EEENSH_IJSG_SG_EEES6_PlJNSB_9not_fun_tI7is_trueIyEEEEEE10hipError_tPvRmT3_T4_T5_T6_T7_T9_mT8_P12ihipStream_tbDpT10_ENKUlT_T0_E_clISt17integral_constantIbLb1EES17_IbLb0EEEEDaS13_S14_EUlS13_E_NS1_11comp_targetILNS1_3genE5ELNS1_11target_archE942ELNS1_3gpuE9ELNS1_3repE0EEENS1_30default_config_static_selectorELNS0_4arch9wavefront6targetE0EEEvT1_,comdat
	.protected	_ZN7rocprim17ROCPRIM_400000_NS6detail17trampoline_kernelINS0_14default_configENS1_25partition_config_selectorILNS1_17partition_subalgoE6EyNS0_10empty_typeEbEEZZNS1_14partition_implILS5_6ELb0ES3_mN6thrust23THRUST_200600_302600_NS6detail15normal_iteratorINSA_10device_ptrIyEEEEPS6_SG_NS0_5tupleIJSF_S6_EEENSH_IJSG_SG_EEES6_PlJNSB_9not_fun_tI7is_trueIyEEEEEE10hipError_tPvRmT3_T4_T5_T6_T7_T9_mT8_P12ihipStream_tbDpT10_ENKUlT_T0_E_clISt17integral_constantIbLb1EES17_IbLb0EEEEDaS13_S14_EUlS13_E_NS1_11comp_targetILNS1_3genE5ELNS1_11target_archE942ELNS1_3gpuE9ELNS1_3repE0EEENS1_30default_config_static_selectorELNS0_4arch9wavefront6targetE0EEEvT1_ ; -- Begin function _ZN7rocprim17ROCPRIM_400000_NS6detail17trampoline_kernelINS0_14default_configENS1_25partition_config_selectorILNS1_17partition_subalgoE6EyNS0_10empty_typeEbEEZZNS1_14partition_implILS5_6ELb0ES3_mN6thrust23THRUST_200600_302600_NS6detail15normal_iteratorINSA_10device_ptrIyEEEEPS6_SG_NS0_5tupleIJSF_S6_EEENSH_IJSG_SG_EEES6_PlJNSB_9not_fun_tI7is_trueIyEEEEEE10hipError_tPvRmT3_T4_T5_T6_T7_T9_mT8_P12ihipStream_tbDpT10_ENKUlT_T0_E_clISt17integral_constantIbLb1EES17_IbLb0EEEEDaS13_S14_EUlS13_E_NS1_11comp_targetILNS1_3genE5ELNS1_11target_archE942ELNS1_3gpuE9ELNS1_3repE0EEENS1_30default_config_static_selectorELNS0_4arch9wavefront6targetE0EEEvT1_
	.globl	_ZN7rocprim17ROCPRIM_400000_NS6detail17trampoline_kernelINS0_14default_configENS1_25partition_config_selectorILNS1_17partition_subalgoE6EyNS0_10empty_typeEbEEZZNS1_14partition_implILS5_6ELb0ES3_mN6thrust23THRUST_200600_302600_NS6detail15normal_iteratorINSA_10device_ptrIyEEEEPS6_SG_NS0_5tupleIJSF_S6_EEENSH_IJSG_SG_EEES6_PlJNSB_9not_fun_tI7is_trueIyEEEEEE10hipError_tPvRmT3_T4_T5_T6_T7_T9_mT8_P12ihipStream_tbDpT10_ENKUlT_T0_E_clISt17integral_constantIbLb1EES17_IbLb0EEEEDaS13_S14_EUlS13_E_NS1_11comp_targetILNS1_3genE5ELNS1_11target_archE942ELNS1_3gpuE9ELNS1_3repE0EEENS1_30default_config_static_selectorELNS0_4arch9wavefront6targetE0EEEvT1_
	.p2align	8
	.type	_ZN7rocprim17ROCPRIM_400000_NS6detail17trampoline_kernelINS0_14default_configENS1_25partition_config_selectorILNS1_17partition_subalgoE6EyNS0_10empty_typeEbEEZZNS1_14partition_implILS5_6ELb0ES3_mN6thrust23THRUST_200600_302600_NS6detail15normal_iteratorINSA_10device_ptrIyEEEEPS6_SG_NS0_5tupleIJSF_S6_EEENSH_IJSG_SG_EEES6_PlJNSB_9not_fun_tI7is_trueIyEEEEEE10hipError_tPvRmT3_T4_T5_T6_T7_T9_mT8_P12ihipStream_tbDpT10_ENKUlT_T0_E_clISt17integral_constantIbLb1EES17_IbLb0EEEEDaS13_S14_EUlS13_E_NS1_11comp_targetILNS1_3genE5ELNS1_11target_archE942ELNS1_3gpuE9ELNS1_3repE0EEENS1_30default_config_static_selectorELNS0_4arch9wavefront6targetE0EEEvT1_,@function
_ZN7rocprim17ROCPRIM_400000_NS6detail17trampoline_kernelINS0_14default_configENS1_25partition_config_selectorILNS1_17partition_subalgoE6EyNS0_10empty_typeEbEEZZNS1_14partition_implILS5_6ELb0ES3_mN6thrust23THRUST_200600_302600_NS6detail15normal_iteratorINSA_10device_ptrIyEEEEPS6_SG_NS0_5tupleIJSF_S6_EEENSH_IJSG_SG_EEES6_PlJNSB_9not_fun_tI7is_trueIyEEEEEE10hipError_tPvRmT3_T4_T5_T6_T7_T9_mT8_P12ihipStream_tbDpT10_ENKUlT_T0_E_clISt17integral_constantIbLb1EES17_IbLb0EEEEDaS13_S14_EUlS13_E_NS1_11comp_targetILNS1_3genE5ELNS1_11target_archE942ELNS1_3gpuE9ELNS1_3repE0EEENS1_30default_config_static_selectorELNS0_4arch9wavefront6targetE0EEEvT1_: ; @_ZN7rocprim17ROCPRIM_400000_NS6detail17trampoline_kernelINS0_14default_configENS1_25partition_config_selectorILNS1_17partition_subalgoE6EyNS0_10empty_typeEbEEZZNS1_14partition_implILS5_6ELb0ES3_mN6thrust23THRUST_200600_302600_NS6detail15normal_iteratorINSA_10device_ptrIyEEEEPS6_SG_NS0_5tupleIJSF_S6_EEENSH_IJSG_SG_EEES6_PlJNSB_9not_fun_tI7is_trueIyEEEEEE10hipError_tPvRmT3_T4_T5_T6_T7_T9_mT8_P12ihipStream_tbDpT10_ENKUlT_T0_E_clISt17integral_constantIbLb1EES17_IbLb0EEEEDaS13_S14_EUlS13_E_NS1_11comp_targetILNS1_3genE5ELNS1_11target_archE942ELNS1_3gpuE9ELNS1_3repE0EEENS1_30default_config_static_selectorELNS0_4arch9wavefront6targetE0EEEvT1_
; %bb.0:
	.section	.rodata,"a",@progbits
	.p2align	6, 0x0
	.amdhsa_kernel _ZN7rocprim17ROCPRIM_400000_NS6detail17trampoline_kernelINS0_14default_configENS1_25partition_config_selectorILNS1_17partition_subalgoE6EyNS0_10empty_typeEbEEZZNS1_14partition_implILS5_6ELb0ES3_mN6thrust23THRUST_200600_302600_NS6detail15normal_iteratorINSA_10device_ptrIyEEEEPS6_SG_NS0_5tupleIJSF_S6_EEENSH_IJSG_SG_EEES6_PlJNSB_9not_fun_tI7is_trueIyEEEEEE10hipError_tPvRmT3_T4_T5_T6_T7_T9_mT8_P12ihipStream_tbDpT10_ENKUlT_T0_E_clISt17integral_constantIbLb1EES17_IbLb0EEEEDaS13_S14_EUlS13_E_NS1_11comp_targetILNS1_3genE5ELNS1_11target_archE942ELNS1_3gpuE9ELNS1_3repE0EEENS1_30default_config_static_selectorELNS0_4arch9wavefront6targetE0EEEvT1_
		.amdhsa_group_segment_fixed_size 0
		.amdhsa_private_segment_fixed_size 0
		.amdhsa_kernarg_size 112
		.amdhsa_user_sgpr_count 2
		.amdhsa_user_sgpr_dispatch_ptr 0
		.amdhsa_user_sgpr_queue_ptr 0
		.amdhsa_user_sgpr_kernarg_segment_ptr 1
		.amdhsa_user_sgpr_dispatch_id 0
		.amdhsa_user_sgpr_private_segment_size 0
		.amdhsa_wavefront_size32 1
		.amdhsa_uses_dynamic_stack 0
		.amdhsa_enable_private_segment 0
		.amdhsa_system_sgpr_workgroup_id_x 1
		.amdhsa_system_sgpr_workgroup_id_y 0
		.amdhsa_system_sgpr_workgroup_id_z 0
		.amdhsa_system_sgpr_workgroup_info 0
		.amdhsa_system_vgpr_workitem_id 0
		.amdhsa_next_free_vgpr 1
		.amdhsa_next_free_sgpr 1
		.amdhsa_reserve_vcc 0
		.amdhsa_float_round_mode_32 0
		.amdhsa_float_round_mode_16_64 0
		.amdhsa_float_denorm_mode_32 3
		.amdhsa_float_denorm_mode_16_64 3
		.amdhsa_fp16_overflow 0
		.amdhsa_workgroup_processor_mode 1
		.amdhsa_memory_ordered 1
		.amdhsa_forward_progress 1
		.amdhsa_inst_pref_size 0
		.amdhsa_round_robin_scheduling 0
		.amdhsa_exception_fp_ieee_invalid_op 0
		.amdhsa_exception_fp_denorm_src 0
		.amdhsa_exception_fp_ieee_div_zero 0
		.amdhsa_exception_fp_ieee_overflow 0
		.amdhsa_exception_fp_ieee_underflow 0
		.amdhsa_exception_fp_ieee_inexact 0
		.amdhsa_exception_int_div_zero 0
	.end_amdhsa_kernel
	.section	.text._ZN7rocprim17ROCPRIM_400000_NS6detail17trampoline_kernelINS0_14default_configENS1_25partition_config_selectorILNS1_17partition_subalgoE6EyNS0_10empty_typeEbEEZZNS1_14partition_implILS5_6ELb0ES3_mN6thrust23THRUST_200600_302600_NS6detail15normal_iteratorINSA_10device_ptrIyEEEEPS6_SG_NS0_5tupleIJSF_S6_EEENSH_IJSG_SG_EEES6_PlJNSB_9not_fun_tI7is_trueIyEEEEEE10hipError_tPvRmT3_T4_T5_T6_T7_T9_mT8_P12ihipStream_tbDpT10_ENKUlT_T0_E_clISt17integral_constantIbLb1EES17_IbLb0EEEEDaS13_S14_EUlS13_E_NS1_11comp_targetILNS1_3genE5ELNS1_11target_archE942ELNS1_3gpuE9ELNS1_3repE0EEENS1_30default_config_static_selectorELNS0_4arch9wavefront6targetE0EEEvT1_,"axG",@progbits,_ZN7rocprim17ROCPRIM_400000_NS6detail17trampoline_kernelINS0_14default_configENS1_25partition_config_selectorILNS1_17partition_subalgoE6EyNS0_10empty_typeEbEEZZNS1_14partition_implILS5_6ELb0ES3_mN6thrust23THRUST_200600_302600_NS6detail15normal_iteratorINSA_10device_ptrIyEEEEPS6_SG_NS0_5tupleIJSF_S6_EEENSH_IJSG_SG_EEES6_PlJNSB_9not_fun_tI7is_trueIyEEEEEE10hipError_tPvRmT3_T4_T5_T6_T7_T9_mT8_P12ihipStream_tbDpT10_ENKUlT_T0_E_clISt17integral_constantIbLb1EES17_IbLb0EEEEDaS13_S14_EUlS13_E_NS1_11comp_targetILNS1_3genE5ELNS1_11target_archE942ELNS1_3gpuE9ELNS1_3repE0EEENS1_30default_config_static_selectorELNS0_4arch9wavefront6targetE0EEEvT1_,comdat
.Lfunc_end1126:
	.size	_ZN7rocprim17ROCPRIM_400000_NS6detail17trampoline_kernelINS0_14default_configENS1_25partition_config_selectorILNS1_17partition_subalgoE6EyNS0_10empty_typeEbEEZZNS1_14partition_implILS5_6ELb0ES3_mN6thrust23THRUST_200600_302600_NS6detail15normal_iteratorINSA_10device_ptrIyEEEEPS6_SG_NS0_5tupleIJSF_S6_EEENSH_IJSG_SG_EEES6_PlJNSB_9not_fun_tI7is_trueIyEEEEEE10hipError_tPvRmT3_T4_T5_T6_T7_T9_mT8_P12ihipStream_tbDpT10_ENKUlT_T0_E_clISt17integral_constantIbLb1EES17_IbLb0EEEEDaS13_S14_EUlS13_E_NS1_11comp_targetILNS1_3genE5ELNS1_11target_archE942ELNS1_3gpuE9ELNS1_3repE0EEENS1_30default_config_static_selectorELNS0_4arch9wavefront6targetE0EEEvT1_, .Lfunc_end1126-_ZN7rocprim17ROCPRIM_400000_NS6detail17trampoline_kernelINS0_14default_configENS1_25partition_config_selectorILNS1_17partition_subalgoE6EyNS0_10empty_typeEbEEZZNS1_14partition_implILS5_6ELb0ES3_mN6thrust23THRUST_200600_302600_NS6detail15normal_iteratorINSA_10device_ptrIyEEEEPS6_SG_NS0_5tupleIJSF_S6_EEENSH_IJSG_SG_EEES6_PlJNSB_9not_fun_tI7is_trueIyEEEEEE10hipError_tPvRmT3_T4_T5_T6_T7_T9_mT8_P12ihipStream_tbDpT10_ENKUlT_T0_E_clISt17integral_constantIbLb1EES17_IbLb0EEEEDaS13_S14_EUlS13_E_NS1_11comp_targetILNS1_3genE5ELNS1_11target_archE942ELNS1_3gpuE9ELNS1_3repE0EEENS1_30default_config_static_selectorELNS0_4arch9wavefront6targetE0EEEvT1_
                                        ; -- End function
	.set _ZN7rocprim17ROCPRIM_400000_NS6detail17trampoline_kernelINS0_14default_configENS1_25partition_config_selectorILNS1_17partition_subalgoE6EyNS0_10empty_typeEbEEZZNS1_14partition_implILS5_6ELb0ES3_mN6thrust23THRUST_200600_302600_NS6detail15normal_iteratorINSA_10device_ptrIyEEEEPS6_SG_NS0_5tupleIJSF_S6_EEENSH_IJSG_SG_EEES6_PlJNSB_9not_fun_tI7is_trueIyEEEEEE10hipError_tPvRmT3_T4_T5_T6_T7_T9_mT8_P12ihipStream_tbDpT10_ENKUlT_T0_E_clISt17integral_constantIbLb1EES17_IbLb0EEEEDaS13_S14_EUlS13_E_NS1_11comp_targetILNS1_3genE5ELNS1_11target_archE942ELNS1_3gpuE9ELNS1_3repE0EEENS1_30default_config_static_selectorELNS0_4arch9wavefront6targetE0EEEvT1_.num_vgpr, 0
	.set _ZN7rocprim17ROCPRIM_400000_NS6detail17trampoline_kernelINS0_14default_configENS1_25partition_config_selectorILNS1_17partition_subalgoE6EyNS0_10empty_typeEbEEZZNS1_14partition_implILS5_6ELb0ES3_mN6thrust23THRUST_200600_302600_NS6detail15normal_iteratorINSA_10device_ptrIyEEEEPS6_SG_NS0_5tupleIJSF_S6_EEENSH_IJSG_SG_EEES6_PlJNSB_9not_fun_tI7is_trueIyEEEEEE10hipError_tPvRmT3_T4_T5_T6_T7_T9_mT8_P12ihipStream_tbDpT10_ENKUlT_T0_E_clISt17integral_constantIbLb1EES17_IbLb0EEEEDaS13_S14_EUlS13_E_NS1_11comp_targetILNS1_3genE5ELNS1_11target_archE942ELNS1_3gpuE9ELNS1_3repE0EEENS1_30default_config_static_selectorELNS0_4arch9wavefront6targetE0EEEvT1_.num_agpr, 0
	.set _ZN7rocprim17ROCPRIM_400000_NS6detail17trampoline_kernelINS0_14default_configENS1_25partition_config_selectorILNS1_17partition_subalgoE6EyNS0_10empty_typeEbEEZZNS1_14partition_implILS5_6ELb0ES3_mN6thrust23THRUST_200600_302600_NS6detail15normal_iteratorINSA_10device_ptrIyEEEEPS6_SG_NS0_5tupleIJSF_S6_EEENSH_IJSG_SG_EEES6_PlJNSB_9not_fun_tI7is_trueIyEEEEEE10hipError_tPvRmT3_T4_T5_T6_T7_T9_mT8_P12ihipStream_tbDpT10_ENKUlT_T0_E_clISt17integral_constantIbLb1EES17_IbLb0EEEEDaS13_S14_EUlS13_E_NS1_11comp_targetILNS1_3genE5ELNS1_11target_archE942ELNS1_3gpuE9ELNS1_3repE0EEENS1_30default_config_static_selectorELNS0_4arch9wavefront6targetE0EEEvT1_.numbered_sgpr, 0
	.set _ZN7rocprim17ROCPRIM_400000_NS6detail17trampoline_kernelINS0_14default_configENS1_25partition_config_selectorILNS1_17partition_subalgoE6EyNS0_10empty_typeEbEEZZNS1_14partition_implILS5_6ELb0ES3_mN6thrust23THRUST_200600_302600_NS6detail15normal_iteratorINSA_10device_ptrIyEEEEPS6_SG_NS0_5tupleIJSF_S6_EEENSH_IJSG_SG_EEES6_PlJNSB_9not_fun_tI7is_trueIyEEEEEE10hipError_tPvRmT3_T4_T5_T6_T7_T9_mT8_P12ihipStream_tbDpT10_ENKUlT_T0_E_clISt17integral_constantIbLb1EES17_IbLb0EEEEDaS13_S14_EUlS13_E_NS1_11comp_targetILNS1_3genE5ELNS1_11target_archE942ELNS1_3gpuE9ELNS1_3repE0EEENS1_30default_config_static_selectorELNS0_4arch9wavefront6targetE0EEEvT1_.num_named_barrier, 0
	.set _ZN7rocprim17ROCPRIM_400000_NS6detail17trampoline_kernelINS0_14default_configENS1_25partition_config_selectorILNS1_17partition_subalgoE6EyNS0_10empty_typeEbEEZZNS1_14partition_implILS5_6ELb0ES3_mN6thrust23THRUST_200600_302600_NS6detail15normal_iteratorINSA_10device_ptrIyEEEEPS6_SG_NS0_5tupleIJSF_S6_EEENSH_IJSG_SG_EEES6_PlJNSB_9not_fun_tI7is_trueIyEEEEEE10hipError_tPvRmT3_T4_T5_T6_T7_T9_mT8_P12ihipStream_tbDpT10_ENKUlT_T0_E_clISt17integral_constantIbLb1EES17_IbLb0EEEEDaS13_S14_EUlS13_E_NS1_11comp_targetILNS1_3genE5ELNS1_11target_archE942ELNS1_3gpuE9ELNS1_3repE0EEENS1_30default_config_static_selectorELNS0_4arch9wavefront6targetE0EEEvT1_.private_seg_size, 0
	.set _ZN7rocprim17ROCPRIM_400000_NS6detail17trampoline_kernelINS0_14default_configENS1_25partition_config_selectorILNS1_17partition_subalgoE6EyNS0_10empty_typeEbEEZZNS1_14partition_implILS5_6ELb0ES3_mN6thrust23THRUST_200600_302600_NS6detail15normal_iteratorINSA_10device_ptrIyEEEEPS6_SG_NS0_5tupleIJSF_S6_EEENSH_IJSG_SG_EEES6_PlJNSB_9not_fun_tI7is_trueIyEEEEEE10hipError_tPvRmT3_T4_T5_T6_T7_T9_mT8_P12ihipStream_tbDpT10_ENKUlT_T0_E_clISt17integral_constantIbLb1EES17_IbLb0EEEEDaS13_S14_EUlS13_E_NS1_11comp_targetILNS1_3genE5ELNS1_11target_archE942ELNS1_3gpuE9ELNS1_3repE0EEENS1_30default_config_static_selectorELNS0_4arch9wavefront6targetE0EEEvT1_.uses_vcc, 0
	.set _ZN7rocprim17ROCPRIM_400000_NS6detail17trampoline_kernelINS0_14default_configENS1_25partition_config_selectorILNS1_17partition_subalgoE6EyNS0_10empty_typeEbEEZZNS1_14partition_implILS5_6ELb0ES3_mN6thrust23THRUST_200600_302600_NS6detail15normal_iteratorINSA_10device_ptrIyEEEEPS6_SG_NS0_5tupleIJSF_S6_EEENSH_IJSG_SG_EEES6_PlJNSB_9not_fun_tI7is_trueIyEEEEEE10hipError_tPvRmT3_T4_T5_T6_T7_T9_mT8_P12ihipStream_tbDpT10_ENKUlT_T0_E_clISt17integral_constantIbLb1EES17_IbLb0EEEEDaS13_S14_EUlS13_E_NS1_11comp_targetILNS1_3genE5ELNS1_11target_archE942ELNS1_3gpuE9ELNS1_3repE0EEENS1_30default_config_static_selectorELNS0_4arch9wavefront6targetE0EEEvT1_.uses_flat_scratch, 0
	.set _ZN7rocprim17ROCPRIM_400000_NS6detail17trampoline_kernelINS0_14default_configENS1_25partition_config_selectorILNS1_17partition_subalgoE6EyNS0_10empty_typeEbEEZZNS1_14partition_implILS5_6ELb0ES3_mN6thrust23THRUST_200600_302600_NS6detail15normal_iteratorINSA_10device_ptrIyEEEEPS6_SG_NS0_5tupleIJSF_S6_EEENSH_IJSG_SG_EEES6_PlJNSB_9not_fun_tI7is_trueIyEEEEEE10hipError_tPvRmT3_T4_T5_T6_T7_T9_mT8_P12ihipStream_tbDpT10_ENKUlT_T0_E_clISt17integral_constantIbLb1EES17_IbLb0EEEEDaS13_S14_EUlS13_E_NS1_11comp_targetILNS1_3genE5ELNS1_11target_archE942ELNS1_3gpuE9ELNS1_3repE0EEENS1_30default_config_static_selectorELNS0_4arch9wavefront6targetE0EEEvT1_.has_dyn_sized_stack, 0
	.set _ZN7rocprim17ROCPRIM_400000_NS6detail17trampoline_kernelINS0_14default_configENS1_25partition_config_selectorILNS1_17partition_subalgoE6EyNS0_10empty_typeEbEEZZNS1_14partition_implILS5_6ELb0ES3_mN6thrust23THRUST_200600_302600_NS6detail15normal_iteratorINSA_10device_ptrIyEEEEPS6_SG_NS0_5tupleIJSF_S6_EEENSH_IJSG_SG_EEES6_PlJNSB_9not_fun_tI7is_trueIyEEEEEE10hipError_tPvRmT3_T4_T5_T6_T7_T9_mT8_P12ihipStream_tbDpT10_ENKUlT_T0_E_clISt17integral_constantIbLb1EES17_IbLb0EEEEDaS13_S14_EUlS13_E_NS1_11comp_targetILNS1_3genE5ELNS1_11target_archE942ELNS1_3gpuE9ELNS1_3repE0EEENS1_30default_config_static_selectorELNS0_4arch9wavefront6targetE0EEEvT1_.has_recursion, 0
	.set _ZN7rocprim17ROCPRIM_400000_NS6detail17trampoline_kernelINS0_14default_configENS1_25partition_config_selectorILNS1_17partition_subalgoE6EyNS0_10empty_typeEbEEZZNS1_14partition_implILS5_6ELb0ES3_mN6thrust23THRUST_200600_302600_NS6detail15normal_iteratorINSA_10device_ptrIyEEEEPS6_SG_NS0_5tupleIJSF_S6_EEENSH_IJSG_SG_EEES6_PlJNSB_9not_fun_tI7is_trueIyEEEEEE10hipError_tPvRmT3_T4_T5_T6_T7_T9_mT8_P12ihipStream_tbDpT10_ENKUlT_T0_E_clISt17integral_constantIbLb1EES17_IbLb0EEEEDaS13_S14_EUlS13_E_NS1_11comp_targetILNS1_3genE5ELNS1_11target_archE942ELNS1_3gpuE9ELNS1_3repE0EEENS1_30default_config_static_selectorELNS0_4arch9wavefront6targetE0EEEvT1_.has_indirect_call, 0
	.section	.AMDGPU.csdata,"",@progbits
; Kernel info:
; codeLenInByte = 0
; TotalNumSgprs: 0
; NumVgprs: 0
; ScratchSize: 0
; MemoryBound: 0
; FloatMode: 240
; IeeeMode: 1
; LDSByteSize: 0 bytes/workgroup (compile time only)
; SGPRBlocks: 0
; VGPRBlocks: 0
; NumSGPRsForWavesPerEU: 1
; NumVGPRsForWavesPerEU: 1
; Occupancy: 16
; WaveLimiterHint : 0
; COMPUTE_PGM_RSRC2:SCRATCH_EN: 0
; COMPUTE_PGM_RSRC2:USER_SGPR: 2
; COMPUTE_PGM_RSRC2:TRAP_HANDLER: 0
; COMPUTE_PGM_RSRC2:TGID_X_EN: 1
; COMPUTE_PGM_RSRC2:TGID_Y_EN: 0
; COMPUTE_PGM_RSRC2:TGID_Z_EN: 0
; COMPUTE_PGM_RSRC2:TIDIG_COMP_CNT: 0
	.section	.text._ZN7rocprim17ROCPRIM_400000_NS6detail17trampoline_kernelINS0_14default_configENS1_25partition_config_selectorILNS1_17partition_subalgoE6EyNS0_10empty_typeEbEEZZNS1_14partition_implILS5_6ELb0ES3_mN6thrust23THRUST_200600_302600_NS6detail15normal_iteratorINSA_10device_ptrIyEEEEPS6_SG_NS0_5tupleIJSF_S6_EEENSH_IJSG_SG_EEES6_PlJNSB_9not_fun_tI7is_trueIyEEEEEE10hipError_tPvRmT3_T4_T5_T6_T7_T9_mT8_P12ihipStream_tbDpT10_ENKUlT_T0_E_clISt17integral_constantIbLb1EES17_IbLb0EEEEDaS13_S14_EUlS13_E_NS1_11comp_targetILNS1_3genE4ELNS1_11target_archE910ELNS1_3gpuE8ELNS1_3repE0EEENS1_30default_config_static_selectorELNS0_4arch9wavefront6targetE0EEEvT1_,"axG",@progbits,_ZN7rocprim17ROCPRIM_400000_NS6detail17trampoline_kernelINS0_14default_configENS1_25partition_config_selectorILNS1_17partition_subalgoE6EyNS0_10empty_typeEbEEZZNS1_14partition_implILS5_6ELb0ES3_mN6thrust23THRUST_200600_302600_NS6detail15normal_iteratorINSA_10device_ptrIyEEEEPS6_SG_NS0_5tupleIJSF_S6_EEENSH_IJSG_SG_EEES6_PlJNSB_9not_fun_tI7is_trueIyEEEEEE10hipError_tPvRmT3_T4_T5_T6_T7_T9_mT8_P12ihipStream_tbDpT10_ENKUlT_T0_E_clISt17integral_constantIbLb1EES17_IbLb0EEEEDaS13_S14_EUlS13_E_NS1_11comp_targetILNS1_3genE4ELNS1_11target_archE910ELNS1_3gpuE8ELNS1_3repE0EEENS1_30default_config_static_selectorELNS0_4arch9wavefront6targetE0EEEvT1_,comdat
	.protected	_ZN7rocprim17ROCPRIM_400000_NS6detail17trampoline_kernelINS0_14default_configENS1_25partition_config_selectorILNS1_17partition_subalgoE6EyNS0_10empty_typeEbEEZZNS1_14partition_implILS5_6ELb0ES3_mN6thrust23THRUST_200600_302600_NS6detail15normal_iteratorINSA_10device_ptrIyEEEEPS6_SG_NS0_5tupleIJSF_S6_EEENSH_IJSG_SG_EEES6_PlJNSB_9not_fun_tI7is_trueIyEEEEEE10hipError_tPvRmT3_T4_T5_T6_T7_T9_mT8_P12ihipStream_tbDpT10_ENKUlT_T0_E_clISt17integral_constantIbLb1EES17_IbLb0EEEEDaS13_S14_EUlS13_E_NS1_11comp_targetILNS1_3genE4ELNS1_11target_archE910ELNS1_3gpuE8ELNS1_3repE0EEENS1_30default_config_static_selectorELNS0_4arch9wavefront6targetE0EEEvT1_ ; -- Begin function _ZN7rocprim17ROCPRIM_400000_NS6detail17trampoline_kernelINS0_14default_configENS1_25partition_config_selectorILNS1_17partition_subalgoE6EyNS0_10empty_typeEbEEZZNS1_14partition_implILS5_6ELb0ES3_mN6thrust23THRUST_200600_302600_NS6detail15normal_iteratorINSA_10device_ptrIyEEEEPS6_SG_NS0_5tupleIJSF_S6_EEENSH_IJSG_SG_EEES6_PlJNSB_9not_fun_tI7is_trueIyEEEEEE10hipError_tPvRmT3_T4_T5_T6_T7_T9_mT8_P12ihipStream_tbDpT10_ENKUlT_T0_E_clISt17integral_constantIbLb1EES17_IbLb0EEEEDaS13_S14_EUlS13_E_NS1_11comp_targetILNS1_3genE4ELNS1_11target_archE910ELNS1_3gpuE8ELNS1_3repE0EEENS1_30default_config_static_selectorELNS0_4arch9wavefront6targetE0EEEvT1_
	.globl	_ZN7rocprim17ROCPRIM_400000_NS6detail17trampoline_kernelINS0_14default_configENS1_25partition_config_selectorILNS1_17partition_subalgoE6EyNS0_10empty_typeEbEEZZNS1_14partition_implILS5_6ELb0ES3_mN6thrust23THRUST_200600_302600_NS6detail15normal_iteratorINSA_10device_ptrIyEEEEPS6_SG_NS0_5tupleIJSF_S6_EEENSH_IJSG_SG_EEES6_PlJNSB_9not_fun_tI7is_trueIyEEEEEE10hipError_tPvRmT3_T4_T5_T6_T7_T9_mT8_P12ihipStream_tbDpT10_ENKUlT_T0_E_clISt17integral_constantIbLb1EES17_IbLb0EEEEDaS13_S14_EUlS13_E_NS1_11comp_targetILNS1_3genE4ELNS1_11target_archE910ELNS1_3gpuE8ELNS1_3repE0EEENS1_30default_config_static_selectorELNS0_4arch9wavefront6targetE0EEEvT1_
	.p2align	8
	.type	_ZN7rocprim17ROCPRIM_400000_NS6detail17trampoline_kernelINS0_14default_configENS1_25partition_config_selectorILNS1_17partition_subalgoE6EyNS0_10empty_typeEbEEZZNS1_14partition_implILS5_6ELb0ES3_mN6thrust23THRUST_200600_302600_NS6detail15normal_iteratorINSA_10device_ptrIyEEEEPS6_SG_NS0_5tupleIJSF_S6_EEENSH_IJSG_SG_EEES6_PlJNSB_9not_fun_tI7is_trueIyEEEEEE10hipError_tPvRmT3_T4_T5_T6_T7_T9_mT8_P12ihipStream_tbDpT10_ENKUlT_T0_E_clISt17integral_constantIbLb1EES17_IbLb0EEEEDaS13_S14_EUlS13_E_NS1_11comp_targetILNS1_3genE4ELNS1_11target_archE910ELNS1_3gpuE8ELNS1_3repE0EEENS1_30default_config_static_selectorELNS0_4arch9wavefront6targetE0EEEvT1_,@function
_ZN7rocprim17ROCPRIM_400000_NS6detail17trampoline_kernelINS0_14default_configENS1_25partition_config_selectorILNS1_17partition_subalgoE6EyNS0_10empty_typeEbEEZZNS1_14partition_implILS5_6ELb0ES3_mN6thrust23THRUST_200600_302600_NS6detail15normal_iteratorINSA_10device_ptrIyEEEEPS6_SG_NS0_5tupleIJSF_S6_EEENSH_IJSG_SG_EEES6_PlJNSB_9not_fun_tI7is_trueIyEEEEEE10hipError_tPvRmT3_T4_T5_T6_T7_T9_mT8_P12ihipStream_tbDpT10_ENKUlT_T0_E_clISt17integral_constantIbLb1EES17_IbLb0EEEEDaS13_S14_EUlS13_E_NS1_11comp_targetILNS1_3genE4ELNS1_11target_archE910ELNS1_3gpuE8ELNS1_3repE0EEENS1_30default_config_static_selectorELNS0_4arch9wavefront6targetE0EEEvT1_: ; @_ZN7rocprim17ROCPRIM_400000_NS6detail17trampoline_kernelINS0_14default_configENS1_25partition_config_selectorILNS1_17partition_subalgoE6EyNS0_10empty_typeEbEEZZNS1_14partition_implILS5_6ELb0ES3_mN6thrust23THRUST_200600_302600_NS6detail15normal_iteratorINSA_10device_ptrIyEEEEPS6_SG_NS0_5tupleIJSF_S6_EEENSH_IJSG_SG_EEES6_PlJNSB_9not_fun_tI7is_trueIyEEEEEE10hipError_tPvRmT3_T4_T5_T6_T7_T9_mT8_P12ihipStream_tbDpT10_ENKUlT_T0_E_clISt17integral_constantIbLb1EES17_IbLb0EEEEDaS13_S14_EUlS13_E_NS1_11comp_targetILNS1_3genE4ELNS1_11target_archE910ELNS1_3gpuE8ELNS1_3repE0EEENS1_30default_config_static_selectorELNS0_4arch9wavefront6targetE0EEEvT1_
; %bb.0:
	.section	.rodata,"a",@progbits
	.p2align	6, 0x0
	.amdhsa_kernel _ZN7rocprim17ROCPRIM_400000_NS6detail17trampoline_kernelINS0_14default_configENS1_25partition_config_selectorILNS1_17partition_subalgoE6EyNS0_10empty_typeEbEEZZNS1_14partition_implILS5_6ELb0ES3_mN6thrust23THRUST_200600_302600_NS6detail15normal_iteratorINSA_10device_ptrIyEEEEPS6_SG_NS0_5tupleIJSF_S6_EEENSH_IJSG_SG_EEES6_PlJNSB_9not_fun_tI7is_trueIyEEEEEE10hipError_tPvRmT3_T4_T5_T6_T7_T9_mT8_P12ihipStream_tbDpT10_ENKUlT_T0_E_clISt17integral_constantIbLb1EES17_IbLb0EEEEDaS13_S14_EUlS13_E_NS1_11comp_targetILNS1_3genE4ELNS1_11target_archE910ELNS1_3gpuE8ELNS1_3repE0EEENS1_30default_config_static_selectorELNS0_4arch9wavefront6targetE0EEEvT1_
		.amdhsa_group_segment_fixed_size 0
		.amdhsa_private_segment_fixed_size 0
		.amdhsa_kernarg_size 112
		.amdhsa_user_sgpr_count 2
		.amdhsa_user_sgpr_dispatch_ptr 0
		.amdhsa_user_sgpr_queue_ptr 0
		.amdhsa_user_sgpr_kernarg_segment_ptr 1
		.amdhsa_user_sgpr_dispatch_id 0
		.amdhsa_user_sgpr_private_segment_size 0
		.amdhsa_wavefront_size32 1
		.amdhsa_uses_dynamic_stack 0
		.amdhsa_enable_private_segment 0
		.amdhsa_system_sgpr_workgroup_id_x 1
		.amdhsa_system_sgpr_workgroup_id_y 0
		.amdhsa_system_sgpr_workgroup_id_z 0
		.amdhsa_system_sgpr_workgroup_info 0
		.amdhsa_system_vgpr_workitem_id 0
		.amdhsa_next_free_vgpr 1
		.amdhsa_next_free_sgpr 1
		.amdhsa_reserve_vcc 0
		.amdhsa_float_round_mode_32 0
		.amdhsa_float_round_mode_16_64 0
		.amdhsa_float_denorm_mode_32 3
		.amdhsa_float_denorm_mode_16_64 3
		.amdhsa_fp16_overflow 0
		.amdhsa_workgroup_processor_mode 1
		.amdhsa_memory_ordered 1
		.amdhsa_forward_progress 1
		.amdhsa_inst_pref_size 0
		.amdhsa_round_robin_scheduling 0
		.amdhsa_exception_fp_ieee_invalid_op 0
		.amdhsa_exception_fp_denorm_src 0
		.amdhsa_exception_fp_ieee_div_zero 0
		.amdhsa_exception_fp_ieee_overflow 0
		.amdhsa_exception_fp_ieee_underflow 0
		.amdhsa_exception_fp_ieee_inexact 0
		.amdhsa_exception_int_div_zero 0
	.end_amdhsa_kernel
	.section	.text._ZN7rocprim17ROCPRIM_400000_NS6detail17trampoline_kernelINS0_14default_configENS1_25partition_config_selectorILNS1_17partition_subalgoE6EyNS0_10empty_typeEbEEZZNS1_14partition_implILS5_6ELb0ES3_mN6thrust23THRUST_200600_302600_NS6detail15normal_iteratorINSA_10device_ptrIyEEEEPS6_SG_NS0_5tupleIJSF_S6_EEENSH_IJSG_SG_EEES6_PlJNSB_9not_fun_tI7is_trueIyEEEEEE10hipError_tPvRmT3_T4_T5_T6_T7_T9_mT8_P12ihipStream_tbDpT10_ENKUlT_T0_E_clISt17integral_constantIbLb1EES17_IbLb0EEEEDaS13_S14_EUlS13_E_NS1_11comp_targetILNS1_3genE4ELNS1_11target_archE910ELNS1_3gpuE8ELNS1_3repE0EEENS1_30default_config_static_selectorELNS0_4arch9wavefront6targetE0EEEvT1_,"axG",@progbits,_ZN7rocprim17ROCPRIM_400000_NS6detail17trampoline_kernelINS0_14default_configENS1_25partition_config_selectorILNS1_17partition_subalgoE6EyNS0_10empty_typeEbEEZZNS1_14partition_implILS5_6ELb0ES3_mN6thrust23THRUST_200600_302600_NS6detail15normal_iteratorINSA_10device_ptrIyEEEEPS6_SG_NS0_5tupleIJSF_S6_EEENSH_IJSG_SG_EEES6_PlJNSB_9not_fun_tI7is_trueIyEEEEEE10hipError_tPvRmT3_T4_T5_T6_T7_T9_mT8_P12ihipStream_tbDpT10_ENKUlT_T0_E_clISt17integral_constantIbLb1EES17_IbLb0EEEEDaS13_S14_EUlS13_E_NS1_11comp_targetILNS1_3genE4ELNS1_11target_archE910ELNS1_3gpuE8ELNS1_3repE0EEENS1_30default_config_static_selectorELNS0_4arch9wavefront6targetE0EEEvT1_,comdat
.Lfunc_end1127:
	.size	_ZN7rocprim17ROCPRIM_400000_NS6detail17trampoline_kernelINS0_14default_configENS1_25partition_config_selectorILNS1_17partition_subalgoE6EyNS0_10empty_typeEbEEZZNS1_14partition_implILS5_6ELb0ES3_mN6thrust23THRUST_200600_302600_NS6detail15normal_iteratorINSA_10device_ptrIyEEEEPS6_SG_NS0_5tupleIJSF_S6_EEENSH_IJSG_SG_EEES6_PlJNSB_9not_fun_tI7is_trueIyEEEEEE10hipError_tPvRmT3_T4_T5_T6_T7_T9_mT8_P12ihipStream_tbDpT10_ENKUlT_T0_E_clISt17integral_constantIbLb1EES17_IbLb0EEEEDaS13_S14_EUlS13_E_NS1_11comp_targetILNS1_3genE4ELNS1_11target_archE910ELNS1_3gpuE8ELNS1_3repE0EEENS1_30default_config_static_selectorELNS0_4arch9wavefront6targetE0EEEvT1_, .Lfunc_end1127-_ZN7rocprim17ROCPRIM_400000_NS6detail17trampoline_kernelINS0_14default_configENS1_25partition_config_selectorILNS1_17partition_subalgoE6EyNS0_10empty_typeEbEEZZNS1_14partition_implILS5_6ELb0ES3_mN6thrust23THRUST_200600_302600_NS6detail15normal_iteratorINSA_10device_ptrIyEEEEPS6_SG_NS0_5tupleIJSF_S6_EEENSH_IJSG_SG_EEES6_PlJNSB_9not_fun_tI7is_trueIyEEEEEE10hipError_tPvRmT3_T4_T5_T6_T7_T9_mT8_P12ihipStream_tbDpT10_ENKUlT_T0_E_clISt17integral_constantIbLb1EES17_IbLb0EEEEDaS13_S14_EUlS13_E_NS1_11comp_targetILNS1_3genE4ELNS1_11target_archE910ELNS1_3gpuE8ELNS1_3repE0EEENS1_30default_config_static_selectorELNS0_4arch9wavefront6targetE0EEEvT1_
                                        ; -- End function
	.set _ZN7rocprim17ROCPRIM_400000_NS6detail17trampoline_kernelINS0_14default_configENS1_25partition_config_selectorILNS1_17partition_subalgoE6EyNS0_10empty_typeEbEEZZNS1_14partition_implILS5_6ELb0ES3_mN6thrust23THRUST_200600_302600_NS6detail15normal_iteratorINSA_10device_ptrIyEEEEPS6_SG_NS0_5tupleIJSF_S6_EEENSH_IJSG_SG_EEES6_PlJNSB_9not_fun_tI7is_trueIyEEEEEE10hipError_tPvRmT3_T4_T5_T6_T7_T9_mT8_P12ihipStream_tbDpT10_ENKUlT_T0_E_clISt17integral_constantIbLb1EES17_IbLb0EEEEDaS13_S14_EUlS13_E_NS1_11comp_targetILNS1_3genE4ELNS1_11target_archE910ELNS1_3gpuE8ELNS1_3repE0EEENS1_30default_config_static_selectorELNS0_4arch9wavefront6targetE0EEEvT1_.num_vgpr, 0
	.set _ZN7rocprim17ROCPRIM_400000_NS6detail17trampoline_kernelINS0_14default_configENS1_25partition_config_selectorILNS1_17partition_subalgoE6EyNS0_10empty_typeEbEEZZNS1_14partition_implILS5_6ELb0ES3_mN6thrust23THRUST_200600_302600_NS6detail15normal_iteratorINSA_10device_ptrIyEEEEPS6_SG_NS0_5tupleIJSF_S6_EEENSH_IJSG_SG_EEES6_PlJNSB_9not_fun_tI7is_trueIyEEEEEE10hipError_tPvRmT3_T4_T5_T6_T7_T9_mT8_P12ihipStream_tbDpT10_ENKUlT_T0_E_clISt17integral_constantIbLb1EES17_IbLb0EEEEDaS13_S14_EUlS13_E_NS1_11comp_targetILNS1_3genE4ELNS1_11target_archE910ELNS1_3gpuE8ELNS1_3repE0EEENS1_30default_config_static_selectorELNS0_4arch9wavefront6targetE0EEEvT1_.num_agpr, 0
	.set _ZN7rocprim17ROCPRIM_400000_NS6detail17trampoline_kernelINS0_14default_configENS1_25partition_config_selectorILNS1_17partition_subalgoE6EyNS0_10empty_typeEbEEZZNS1_14partition_implILS5_6ELb0ES3_mN6thrust23THRUST_200600_302600_NS6detail15normal_iteratorINSA_10device_ptrIyEEEEPS6_SG_NS0_5tupleIJSF_S6_EEENSH_IJSG_SG_EEES6_PlJNSB_9not_fun_tI7is_trueIyEEEEEE10hipError_tPvRmT3_T4_T5_T6_T7_T9_mT8_P12ihipStream_tbDpT10_ENKUlT_T0_E_clISt17integral_constantIbLb1EES17_IbLb0EEEEDaS13_S14_EUlS13_E_NS1_11comp_targetILNS1_3genE4ELNS1_11target_archE910ELNS1_3gpuE8ELNS1_3repE0EEENS1_30default_config_static_selectorELNS0_4arch9wavefront6targetE0EEEvT1_.numbered_sgpr, 0
	.set _ZN7rocprim17ROCPRIM_400000_NS6detail17trampoline_kernelINS0_14default_configENS1_25partition_config_selectorILNS1_17partition_subalgoE6EyNS0_10empty_typeEbEEZZNS1_14partition_implILS5_6ELb0ES3_mN6thrust23THRUST_200600_302600_NS6detail15normal_iteratorINSA_10device_ptrIyEEEEPS6_SG_NS0_5tupleIJSF_S6_EEENSH_IJSG_SG_EEES6_PlJNSB_9not_fun_tI7is_trueIyEEEEEE10hipError_tPvRmT3_T4_T5_T6_T7_T9_mT8_P12ihipStream_tbDpT10_ENKUlT_T0_E_clISt17integral_constantIbLb1EES17_IbLb0EEEEDaS13_S14_EUlS13_E_NS1_11comp_targetILNS1_3genE4ELNS1_11target_archE910ELNS1_3gpuE8ELNS1_3repE0EEENS1_30default_config_static_selectorELNS0_4arch9wavefront6targetE0EEEvT1_.num_named_barrier, 0
	.set _ZN7rocprim17ROCPRIM_400000_NS6detail17trampoline_kernelINS0_14default_configENS1_25partition_config_selectorILNS1_17partition_subalgoE6EyNS0_10empty_typeEbEEZZNS1_14partition_implILS5_6ELb0ES3_mN6thrust23THRUST_200600_302600_NS6detail15normal_iteratorINSA_10device_ptrIyEEEEPS6_SG_NS0_5tupleIJSF_S6_EEENSH_IJSG_SG_EEES6_PlJNSB_9not_fun_tI7is_trueIyEEEEEE10hipError_tPvRmT3_T4_T5_T6_T7_T9_mT8_P12ihipStream_tbDpT10_ENKUlT_T0_E_clISt17integral_constantIbLb1EES17_IbLb0EEEEDaS13_S14_EUlS13_E_NS1_11comp_targetILNS1_3genE4ELNS1_11target_archE910ELNS1_3gpuE8ELNS1_3repE0EEENS1_30default_config_static_selectorELNS0_4arch9wavefront6targetE0EEEvT1_.private_seg_size, 0
	.set _ZN7rocprim17ROCPRIM_400000_NS6detail17trampoline_kernelINS0_14default_configENS1_25partition_config_selectorILNS1_17partition_subalgoE6EyNS0_10empty_typeEbEEZZNS1_14partition_implILS5_6ELb0ES3_mN6thrust23THRUST_200600_302600_NS6detail15normal_iteratorINSA_10device_ptrIyEEEEPS6_SG_NS0_5tupleIJSF_S6_EEENSH_IJSG_SG_EEES6_PlJNSB_9not_fun_tI7is_trueIyEEEEEE10hipError_tPvRmT3_T4_T5_T6_T7_T9_mT8_P12ihipStream_tbDpT10_ENKUlT_T0_E_clISt17integral_constantIbLb1EES17_IbLb0EEEEDaS13_S14_EUlS13_E_NS1_11comp_targetILNS1_3genE4ELNS1_11target_archE910ELNS1_3gpuE8ELNS1_3repE0EEENS1_30default_config_static_selectorELNS0_4arch9wavefront6targetE0EEEvT1_.uses_vcc, 0
	.set _ZN7rocprim17ROCPRIM_400000_NS6detail17trampoline_kernelINS0_14default_configENS1_25partition_config_selectorILNS1_17partition_subalgoE6EyNS0_10empty_typeEbEEZZNS1_14partition_implILS5_6ELb0ES3_mN6thrust23THRUST_200600_302600_NS6detail15normal_iteratorINSA_10device_ptrIyEEEEPS6_SG_NS0_5tupleIJSF_S6_EEENSH_IJSG_SG_EEES6_PlJNSB_9not_fun_tI7is_trueIyEEEEEE10hipError_tPvRmT3_T4_T5_T6_T7_T9_mT8_P12ihipStream_tbDpT10_ENKUlT_T0_E_clISt17integral_constantIbLb1EES17_IbLb0EEEEDaS13_S14_EUlS13_E_NS1_11comp_targetILNS1_3genE4ELNS1_11target_archE910ELNS1_3gpuE8ELNS1_3repE0EEENS1_30default_config_static_selectorELNS0_4arch9wavefront6targetE0EEEvT1_.uses_flat_scratch, 0
	.set _ZN7rocprim17ROCPRIM_400000_NS6detail17trampoline_kernelINS0_14default_configENS1_25partition_config_selectorILNS1_17partition_subalgoE6EyNS0_10empty_typeEbEEZZNS1_14partition_implILS5_6ELb0ES3_mN6thrust23THRUST_200600_302600_NS6detail15normal_iteratorINSA_10device_ptrIyEEEEPS6_SG_NS0_5tupleIJSF_S6_EEENSH_IJSG_SG_EEES6_PlJNSB_9not_fun_tI7is_trueIyEEEEEE10hipError_tPvRmT3_T4_T5_T6_T7_T9_mT8_P12ihipStream_tbDpT10_ENKUlT_T0_E_clISt17integral_constantIbLb1EES17_IbLb0EEEEDaS13_S14_EUlS13_E_NS1_11comp_targetILNS1_3genE4ELNS1_11target_archE910ELNS1_3gpuE8ELNS1_3repE0EEENS1_30default_config_static_selectorELNS0_4arch9wavefront6targetE0EEEvT1_.has_dyn_sized_stack, 0
	.set _ZN7rocprim17ROCPRIM_400000_NS6detail17trampoline_kernelINS0_14default_configENS1_25partition_config_selectorILNS1_17partition_subalgoE6EyNS0_10empty_typeEbEEZZNS1_14partition_implILS5_6ELb0ES3_mN6thrust23THRUST_200600_302600_NS6detail15normal_iteratorINSA_10device_ptrIyEEEEPS6_SG_NS0_5tupleIJSF_S6_EEENSH_IJSG_SG_EEES6_PlJNSB_9not_fun_tI7is_trueIyEEEEEE10hipError_tPvRmT3_T4_T5_T6_T7_T9_mT8_P12ihipStream_tbDpT10_ENKUlT_T0_E_clISt17integral_constantIbLb1EES17_IbLb0EEEEDaS13_S14_EUlS13_E_NS1_11comp_targetILNS1_3genE4ELNS1_11target_archE910ELNS1_3gpuE8ELNS1_3repE0EEENS1_30default_config_static_selectorELNS0_4arch9wavefront6targetE0EEEvT1_.has_recursion, 0
	.set _ZN7rocprim17ROCPRIM_400000_NS6detail17trampoline_kernelINS0_14default_configENS1_25partition_config_selectorILNS1_17partition_subalgoE6EyNS0_10empty_typeEbEEZZNS1_14partition_implILS5_6ELb0ES3_mN6thrust23THRUST_200600_302600_NS6detail15normal_iteratorINSA_10device_ptrIyEEEEPS6_SG_NS0_5tupleIJSF_S6_EEENSH_IJSG_SG_EEES6_PlJNSB_9not_fun_tI7is_trueIyEEEEEE10hipError_tPvRmT3_T4_T5_T6_T7_T9_mT8_P12ihipStream_tbDpT10_ENKUlT_T0_E_clISt17integral_constantIbLb1EES17_IbLb0EEEEDaS13_S14_EUlS13_E_NS1_11comp_targetILNS1_3genE4ELNS1_11target_archE910ELNS1_3gpuE8ELNS1_3repE0EEENS1_30default_config_static_selectorELNS0_4arch9wavefront6targetE0EEEvT1_.has_indirect_call, 0
	.section	.AMDGPU.csdata,"",@progbits
; Kernel info:
; codeLenInByte = 0
; TotalNumSgprs: 0
; NumVgprs: 0
; ScratchSize: 0
; MemoryBound: 0
; FloatMode: 240
; IeeeMode: 1
; LDSByteSize: 0 bytes/workgroup (compile time only)
; SGPRBlocks: 0
; VGPRBlocks: 0
; NumSGPRsForWavesPerEU: 1
; NumVGPRsForWavesPerEU: 1
; Occupancy: 16
; WaveLimiterHint : 0
; COMPUTE_PGM_RSRC2:SCRATCH_EN: 0
; COMPUTE_PGM_RSRC2:USER_SGPR: 2
; COMPUTE_PGM_RSRC2:TRAP_HANDLER: 0
; COMPUTE_PGM_RSRC2:TGID_X_EN: 1
; COMPUTE_PGM_RSRC2:TGID_Y_EN: 0
; COMPUTE_PGM_RSRC2:TGID_Z_EN: 0
; COMPUTE_PGM_RSRC2:TIDIG_COMP_CNT: 0
	.section	.text._ZN7rocprim17ROCPRIM_400000_NS6detail17trampoline_kernelINS0_14default_configENS1_25partition_config_selectorILNS1_17partition_subalgoE6EyNS0_10empty_typeEbEEZZNS1_14partition_implILS5_6ELb0ES3_mN6thrust23THRUST_200600_302600_NS6detail15normal_iteratorINSA_10device_ptrIyEEEEPS6_SG_NS0_5tupleIJSF_S6_EEENSH_IJSG_SG_EEES6_PlJNSB_9not_fun_tI7is_trueIyEEEEEE10hipError_tPvRmT3_T4_T5_T6_T7_T9_mT8_P12ihipStream_tbDpT10_ENKUlT_T0_E_clISt17integral_constantIbLb1EES17_IbLb0EEEEDaS13_S14_EUlS13_E_NS1_11comp_targetILNS1_3genE3ELNS1_11target_archE908ELNS1_3gpuE7ELNS1_3repE0EEENS1_30default_config_static_selectorELNS0_4arch9wavefront6targetE0EEEvT1_,"axG",@progbits,_ZN7rocprim17ROCPRIM_400000_NS6detail17trampoline_kernelINS0_14default_configENS1_25partition_config_selectorILNS1_17partition_subalgoE6EyNS0_10empty_typeEbEEZZNS1_14partition_implILS5_6ELb0ES3_mN6thrust23THRUST_200600_302600_NS6detail15normal_iteratorINSA_10device_ptrIyEEEEPS6_SG_NS0_5tupleIJSF_S6_EEENSH_IJSG_SG_EEES6_PlJNSB_9not_fun_tI7is_trueIyEEEEEE10hipError_tPvRmT3_T4_T5_T6_T7_T9_mT8_P12ihipStream_tbDpT10_ENKUlT_T0_E_clISt17integral_constantIbLb1EES17_IbLb0EEEEDaS13_S14_EUlS13_E_NS1_11comp_targetILNS1_3genE3ELNS1_11target_archE908ELNS1_3gpuE7ELNS1_3repE0EEENS1_30default_config_static_selectorELNS0_4arch9wavefront6targetE0EEEvT1_,comdat
	.protected	_ZN7rocprim17ROCPRIM_400000_NS6detail17trampoline_kernelINS0_14default_configENS1_25partition_config_selectorILNS1_17partition_subalgoE6EyNS0_10empty_typeEbEEZZNS1_14partition_implILS5_6ELb0ES3_mN6thrust23THRUST_200600_302600_NS6detail15normal_iteratorINSA_10device_ptrIyEEEEPS6_SG_NS0_5tupleIJSF_S6_EEENSH_IJSG_SG_EEES6_PlJNSB_9not_fun_tI7is_trueIyEEEEEE10hipError_tPvRmT3_T4_T5_T6_T7_T9_mT8_P12ihipStream_tbDpT10_ENKUlT_T0_E_clISt17integral_constantIbLb1EES17_IbLb0EEEEDaS13_S14_EUlS13_E_NS1_11comp_targetILNS1_3genE3ELNS1_11target_archE908ELNS1_3gpuE7ELNS1_3repE0EEENS1_30default_config_static_selectorELNS0_4arch9wavefront6targetE0EEEvT1_ ; -- Begin function _ZN7rocprim17ROCPRIM_400000_NS6detail17trampoline_kernelINS0_14default_configENS1_25partition_config_selectorILNS1_17partition_subalgoE6EyNS0_10empty_typeEbEEZZNS1_14partition_implILS5_6ELb0ES3_mN6thrust23THRUST_200600_302600_NS6detail15normal_iteratorINSA_10device_ptrIyEEEEPS6_SG_NS0_5tupleIJSF_S6_EEENSH_IJSG_SG_EEES6_PlJNSB_9not_fun_tI7is_trueIyEEEEEE10hipError_tPvRmT3_T4_T5_T6_T7_T9_mT8_P12ihipStream_tbDpT10_ENKUlT_T0_E_clISt17integral_constantIbLb1EES17_IbLb0EEEEDaS13_S14_EUlS13_E_NS1_11comp_targetILNS1_3genE3ELNS1_11target_archE908ELNS1_3gpuE7ELNS1_3repE0EEENS1_30default_config_static_selectorELNS0_4arch9wavefront6targetE0EEEvT1_
	.globl	_ZN7rocprim17ROCPRIM_400000_NS6detail17trampoline_kernelINS0_14default_configENS1_25partition_config_selectorILNS1_17partition_subalgoE6EyNS0_10empty_typeEbEEZZNS1_14partition_implILS5_6ELb0ES3_mN6thrust23THRUST_200600_302600_NS6detail15normal_iteratorINSA_10device_ptrIyEEEEPS6_SG_NS0_5tupleIJSF_S6_EEENSH_IJSG_SG_EEES6_PlJNSB_9not_fun_tI7is_trueIyEEEEEE10hipError_tPvRmT3_T4_T5_T6_T7_T9_mT8_P12ihipStream_tbDpT10_ENKUlT_T0_E_clISt17integral_constantIbLb1EES17_IbLb0EEEEDaS13_S14_EUlS13_E_NS1_11comp_targetILNS1_3genE3ELNS1_11target_archE908ELNS1_3gpuE7ELNS1_3repE0EEENS1_30default_config_static_selectorELNS0_4arch9wavefront6targetE0EEEvT1_
	.p2align	8
	.type	_ZN7rocprim17ROCPRIM_400000_NS6detail17trampoline_kernelINS0_14default_configENS1_25partition_config_selectorILNS1_17partition_subalgoE6EyNS0_10empty_typeEbEEZZNS1_14partition_implILS5_6ELb0ES3_mN6thrust23THRUST_200600_302600_NS6detail15normal_iteratorINSA_10device_ptrIyEEEEPS6_SG_NS0_5tupleIJSF_S6_EEENSH_IJSG_SG_EEES6_PlJNSB_9not_fun_tI7is_trueIyEEEEEE10hipError_tPvRmT3_T4_T5_T6_T7_T9_mT8_P12ihipStream_tbDpT10_ENKUlT_T0_E_clISt17integral_constantIbLb1EES17_IbLb0EEEEDaS13_S14_EUlS13_E_NS1_11comp_targetILNS1_3genE3ELNS1_11target_archE908ELNS1_3gpuE7ELNS1_3repE0EEENS1_30default_config_static_selectorELNS0_4arch9wavefront6targetE0EEEvT1_,@function
_ZN7rocprim17ROCPRIM_400000_NS6detail17trampoline_kernelINS0_14default_configENS1_25partition_config_selectorILNS1_17partition_subalgoE6EyNS0_10empty_typeEbEEZZNS1_14partition_implILS5_6ELb0ES3_mN6thrust23THRUST_200600_302600_NS6detail15normal_iteratorINSA_10device_ptrIyEEEEPS6_SG_NS0_5tupleIJSF_S6_EEENSH_IJSG_SG_EEES6_PlJNSB_9not_fun_tI7is_trueIyEEEEEE10hipError_tPvRmT3_T4_T5_T6_T7_T9_mT8_P12ihipStream_tbDpT10_ENKUlT_T0_E_clISt17integral_constantIbLb1EES17_IbLb0EEEEDaS13_S14_EUlS13_E_NS1_11comp_targetILNS1_3genE3ELNS1_11target_archE908ELNS1_3gpuE7ELNS1_3repE0EEENS1_30default_config_static_selectorELNS0_4arch9wavefront6targetE0EEEvT1_: ; @_ZN7rocprim17ROCPRIM_400000_NS6detail17trampoline_kernelINS0_14default_configENS1_25partition_config_selectorILNS1_17partition_subalgoE6EyNS0_10empty_typeEbEEZZNS1_14partition_implILS5_6ELb0ES3_mN6thrust23THRUST_200600_302600_NS6detail15normal_iteratorINSA_10device_ptrIyEEEEPS6_SG_NS0_5tupleIJSF_S6_EEENSH_IJSG_SG_EEES6_PlJNSB_9not_fun_tI7is_trueIyEEEEEE10hipError_tPvRmT3_T4_T5_T6_T7_T9_mT8_P12ihipStream_tbDpT10_ENKUlT_T0_E_clISt17integral_constantIbLb1EES17_IbLb0EEEEDaS13_S14_EUlS13_E_NS1_11comp_targetILNS1_3genE3ELNS1_11target_archE908ELNS1_3gpuE7ELNS1_3repE0EEENS1_30default_config_static_selectorELNS0_4arch9wavefront6targetE0EEEvT1_
; %bb.0:
	.section	.rodata,"a",@progbits
	.p2align	6, 0x0
	.amdhsa_kernel _ZN7rocprim17ROCPRIM_400000_NS6detail17trampoline_kernelINS0_14default_configENS1_25partition_config_selectorILNS1_17partition_subalgoE6EyNS0_10empty_typeEbEEZZNS1_14partition_implILS5_6ELb0ES3_mN6thrust23THRUST_200600_302600_NS6detail15normal_iteratorINSA_10device_ptrIyEEEEPS6_SG_NS0_5tupleIJSF_S6_EEENSH_IJSG_SG_EEES6_PlJNSB_9not_fun_tI7is_trueIyEEEEEE10hipError_tPvRmT3_T4_T5_T6_T7_T9_mT8_P12ihipStream_tbDpT10_ENKUlT_T0_E_clISt17integral_constantIbLb1EES17_IbLb0EEEEDaS13_S14_EUlS13_E_NS1_11comp_targetILNS1_3genE3ELNS1_11target_archE908ELNS1_3gpuE7ELNS1_3repE0EEENS1_30default_config_static_selectorELNS0_4arch9wavefront6targetE0EEEvT1_
		.amdhsa_group_segment_fixed_size 0
		.amdhsa_private_segment_fixed_size 0
		.amdhsa_kernarg_size 112
		.amdhsa_user_sgpr_count 2
		.amdhsa_user_sgpr_dispatch_ptr 0
		.amdhsa_user_sgpr_queue_ptr 0
		.amdhsa_user_sgpr_kernarg_segment_ptr 1
		.amdhsa_user_sgpr_dispatch_id 0
		.amdhsa_user_sgpr_private_segment_size 0
		.amdhsa_wavefront_size32 1
		.amdhsa_uses_dynamic_stack 0
		.amdhsa_enable_private_segment 0
		.amdhsa_system_sgpr_workgroup_id_x 1
		.amdhsa_system_sgpr_workgroup_id_y 0
		.amdhsa_system_sgpr_workgroup_id_z 0
		.amdhsa_system_sgpr_workgroup_info 0
		.amdhsa_system_vgpr_workitem_id 0
		.amdhsa_next_free_vgpr 1
		.amdhsa_next_free_sgpr 1
		.amdhsa_reserve_vcc 0
		.amdhsa_float_round_mode_32 0
		.amdhsa_float_round_mode_16_64 0
		.amdhsa_float_denorm_mode_32 3
		.amdhsa_float_denorm_mode_16_64 3
		.amdhsa_fp16_overflow 0
		.amdhsa_workgroup_processor_mode 1
		.amdhsa_memory_ordered 1
		.amdhsa_forward_progress 1
		.amdhsa_inst_pref_size 0
		.amdhsa_round_robin_scheduling 0
		.amdhsa_exception_fp_ieee_invalid_op 0
		.amdhsa_exception_fp_denorm_src 0
		.amdhsa_exception_fp_ieee_div_zero 0
		.amdhsa_exception_fp_ieee_overflow 0
		.amdhsa_exception_fp_ieee_underflow 0
		.amdhsa_exception_fp_ieee_inexact 0
		.amdhsa_exception_int_div_zero 0
	.end_amdhsa_kernel
	.section	.text._ZN7rocprim17ROCPRIM_400000_NS6detail17trampoline_kernelINS0_14default_configENS1_25partition_config_selectorILNS1_17partition_subalgoE6EyNS0_10empty_typeEbEEZZNS1_14partition_implILS5_6ELb0ES3_mN6thrust23THRUST_200600_302600_NS6detail15normal_iteratorINSA_10device_ptrIyEEEEPS6_SG_NS0_5tupleIJSF_S6_EEENSH_IJSG_SG_EEES6_PlJNSB_9not_fun_tI7is_trueIyEEEEEE10hipError_tPvRmT3_T4_T5_T6_T7_T9_mT8_P12ihipStream_tbDpT10_ENKUlT_T0_E_clISt17integral_constantIbLb1EES17_IbLb0EEEEDaS13_S14_EUlS13_E_NS1_11comp_targetILNS1_3genE3ELNS1_11target_archE908ELNS1_3gpuE7ELNS1_3repE0EEENS1_30default_config_static_selectorELNS0_4arch9wavefront6targetE0EEEvT1_,"axG",@progbits,_ZN7rocprim17ROCPRIM_400000_NS6detail17trampoline_kernelINS0_14default_configENS1_25partition_config_selectorILNS1_17partition_subalgoE6EyNS0_10empty_typeEbEEZZNS1_14partition_implILS5_6ELb0ES3_mN6thrust23THRUST_200600_302600_NS6detail15normal_iteratorINSA_10device_ptrIyEEEEPS6_SG_NS0_5tupleIJSF_S6_EEENSH_IJSG_SG_EEES6_PlJNSB_9not_fun_tI7is_trueIyEEEEEE10hipError_tPvRmT3_T4_T5_T6_T7_T9_mT8_P12ihipStream_tbDpT10_ENKUlT_T0_E_clISt17integral_constantIbLb1EES17_IbLb0EEEEDaS13_S14_EUlS13_E_NS1_11comp_targetILNS1_3genE3ELNS1_11target_archE908ELNS1_3gpuE7ELNS1_3repE0EEENS1_30default_config_static_selectorELNS0_4arch9wavefront6targetE0EEEvT1_,comdat
.Lfunc_end1128:
	.size	_ZN7rocprim17ROCPRIM_400000_NS6detail17trampoline_kernelINS0_14default_configENS1_25partition_config_selectorILNS1_17partition_subalgoE6EyNS0_10empty_typeEbEEZZNS1_14partition_implILS5_6ELb0ES3_mN6thrust23THRUST_200600_302600_NS6detail15normal_iteratorINSA_10device_ptrIyEEEEPS6_SG_NS0_5tupleIJSF_S6_EEENSH_IJSG_SG_EEES6_PlJNSB_9not_fun_tI7is_trueIyEEEEEE10hipError_tPvRmT3_T4_T5_T6_T7_T9_mT8_P12ihipStream_tbDpT10_ENKUlT_T0_E_clISt17integral_constantIbLb1EES17_IbLb0EEEEDaS13_S14_EUlS13_E_NS1_11comp_targetILNS1_3genE3ELNS1_11target_archE908ELNS1_3gpuE7ELNS1_3repE0EEENS1_30default_config_static_selectorELNS0_4arch9wavefront6targetE0EEEvT1_, .Lfunc_end1128-_ZN7rocprim17ROCPRIM_400000_NS6detail17trampoline_kernelINS0_14default_configENS1_25partition_config_selectorILNS1_17partition_subalgoE6EyNS0_10empty_typeEbEEZZNS1_14partition_implILS5_6ELb0ES3_mN6thrust23THRUST_200600_302600_NS6detail15normal_iteratorINSA_10device_ptrIyEEEEPS6_SG_NS0_5tupleIJSF_S6_EEENSH_IJSG_SG_EEES6_PlJNSB_9not_fun_tI7is_trueIyEEEEEE10hipError_tPvRmT3_T4_T5_T6_T7_T9_mT8_P12ihipStream_tbDpT10_ENKUlT_T0_E_clISt17integral_constantIbLb1EES17_IbLb0EEEEDaS13_S14_EUlS13_E_NS1_11comp_targetILNS1_3genE3ELNS1_11target_archE908ELNS1_3gpuE7ELNS1_3repE0EEENS1_30default_config_static_selectorELNS0_4arch9wavefront6targetE0EEEvT1_
                                        ; -- End function
	.set _ZN7rocprim17ROCPRIM_400000_NS6detail17trampoline_kernelINS0_14default_configENS1_25partition_config_selectorILNS1_17partition_subalgoE6EyNS0_10empty_typeEbEEZZNS1_14partition_implILS5_6ELb0ES3_mN6thrust23THRUST_200600_302600_NS6detail15normal_iteratorINSA_10device_ptrIyEEEEPS6_SG_NS0_5tupleIJSF_S6_EEENSH_IJSG_SG_EEES6_PlJNSB_9not_fun_tI7is_trueIyEEEEEE10hipError_tPvRmT3_T4_T5_T6_T7_T9_mT8_P12ihipStream_tbDpT10_ENKUlT_T0_E_clISt17integral_constantIbLb1EES17_IbLb0EEEEDaS13_S14_EUlS13_E_NS1_11comp_targetILNS1_3genE3ELNS1_11target_archE908ELNS1_3gpuE7ELNS1_3repE0EEENS1_30default_config_static_selectorELNS0_4arch9wavefront6targetE0EEEvT1_.num_vgpr, 0
	.set _ZN7rocprim17ROCPRIM_400000_NS6detail17trampoline_kernelINS0_14default_configENS1_25partition_config_selectorILNS1_17partition_subalgoE6EyNS0_10empty_typeEbEEZZNS1_14partition_implILS5_6ELb0ES3_mN6thrust23THRUST_200600_302600_NS6detail15normal_iteratorINSA_10device_ptrIyEEEEPS6_SG_NS0_5tupleIJSF_S6_EEENSH_IJSG_SG_EEES6_PlJNSB_9not_fun_tI7is_trueIyEEEEEE10hipError_tPvRmT3_T4_T5_T6_T7_T9_mT8_P12ihipStream_tbDpT10_ENKUlT_T0_E_clISt17integral_constantIbLb1EES17_IbLb0EEEEDaS13_S14_EUlS13_E_NS1_11comp_targetILNS1_3genE3ELNS1_11target_archE908ELNS1_3gpuE7ELNS1_3repE0EEENS1_30default_config_static_selectorELNS0_4arch9wavefront6targetE0EEEvT1_.num_agpr, 0
	.set _ZN7rocprim17ROCPRIM_400000_NS6detail17trampoline_kernelINS0_14default_configENS1_25partition_config_selectorILNS1_17partition_subalgoE6EyNS0_10empty_typeEbEEZZNS1_14partition_implILS5_6ELb0ES3_mN6thrust23THRUST_200600_302600_NS6detail15normal_iteratorINSA_10device_ptrIyEEEEPS6_SG_NS0_5tupleIJSF_S6_EEENSH_IJSG_SG_EEES6_PlJNSB_9not_fun_tI7is_trueIyEEEEEE10hipError_tPvRmT3_T4_T5_T6_T7_T9_mT8_P12ihipStream_tbDpT10_ENKUlT_T0_E_clISt17integral_constantIbLb1EES17_IbLb0EEEEDaS13_S14_EUlS13_E_NS1_11comp_targetILNS1_3genE3ELNS1_11target_archE908ELNS1_3gpuE7ELNS1_3repE0EEENS1_30default_config_static_selectorELNS0_4arch9wavefront6targetE0EEEvT1_.numbered_sgpr, 0
	.set _ZN7rocprim17ROCPRIM_400000_NS6detail17trampoline_kernelINS0_14default_configENS1_25partition_config_selectorILNS1_17partition_subalgoE6EyNS0_10empty_typeEbEEZZNS1_14partition_implILS5_6ELb0ES3_mN6thrust23THRUST_200600_302600_NS6detail15normal_iteratorINSA_10device_ptrIyEEEEPS6_SG_NS0_5tupleIJSF_S6_EEENSH_IJSG_SG_EEES6_PlJNSB_9not_fun_tI7is_trueIyEEEEEE10hipError_tPvRmT3_T4_T5_T6_T7_T9_mT8_P12ihipStream_tbDpT10_ENKUlT_T0_E_clISt17integral_constantIbLb1EES17_IbLb0EEEEDaS13_S14_EUlS13_E_NS1_11comp_targetILNS1_3genE3ELNS1_11target_archE908ELNS1_3gpuE7ELNS1_3repE0EEENS1_30default_config_static_selectorELNS0_4arch9wavefront6targetE0EEEvT1_.num_named_barrier, 0
	.set _ZN7rocprim17ROCPRIM_400000_NS6detail17trampoline_kernelINS0_14default_configENS1_25partition_config_selectorILNS1_17partition_subalgoE6EyNS0_10empty_typeEbEEZZNS1_14partition_implILS5_6ELb0ES3_mN6thrust23THRUST_200600_302600_NS6detail15normal_iteratorINSA_10device_ptrIyEEEEPS6_SG_NS0_5tupleIJSF_S6_EEENSH_IJSG_SG_EEES6_PlJNSB_9not_fun_tI7is_trueIyEEEEEE10hipError_tPvRmT3_T4_T5_T6_T7_T9_mT8_P12ihipStream_tbDpT10_ENKUlT_T0_E_clISt17integral_constantIbLb1EES17_IbLb0EEEEDaS13_S14_EUlS13_E_NS1_11comp_targetILNS1_3genE3ELNS1_11target_archE908ELNS1_3gpuE7ELNS1_3repE0EEENS1_30default_config_static_selectorELNS0_4arch9wavefront6targetE0EEEvT1_.private_seg_size, 0
	.set _ZN7rocprim17ROCPRIM_400000_NS6detail17trampoline_kernelINS0_14default_configENS1_25partition_config_selectorILNS1_17partition_subalgoE6EyNS0_10empty_typeEbEEZZNS1_14partition_implILS5_6ELb0ES3_mN6thrust23THRUST_200600_302600_NS6detail15normal_iteratorINSA_10device_ptrIyEEEEPS6_SG_NS0_5tupleIJSF_S6_EEENSH_IJSG_SG_EEES6_PlJNSB_9not_fun_tI7is_trueIyEEEEEE10hipError_tPvRmT3_T4_T5_T6_T7_T9_mT8_P12ihipStream_tbDpT10_ENKUlT_T0_E_clISt17integral_constantIbLb1EES17_IbLb0EEEEDaS13_S14_EUlS13_E_NS1_11comp_targetILNS1_3genE3ELNS1_11target_archE908ELNS1_3gpuE7ELNS1_3repE0EEENS1_30default_config_static_selectorELNS0_4arch9wavefront6targetE0EEEvT1_.uses_vcc, 0
	.set _ZN7rocprim17ROCPRIM_400000_NS6detail17trampoline_kernelINS0_14default_configENS1_25partition_config_selectorILNS1_17partition_subalgoE6EyNS0_10empty_typeEbEEZZNS1_14partition_implILS5_6ELb0ES3_mN6thrust23THRUST_200600_302600_NS6detail15normal_iteratorINSA_10device_ptrIyEEEEPS6_SG_NS0_5tupleIJSF_S6_EEENSH_IJSG_SG_EEES6_PlJNSB_9not_fun_tI7is_trueIyEEEEEE10hipError_tPvRmT3_T4_T5_T6_T7_T9_mT8_P12ihipStream_tbDpT10_ENKUlT_T0_E_clISt17integral_constantIbLb1EES17_IbLb0EEEEDaS13_S14_EUlS13_E_NS1_11comp_targetILNS1_3genE3ELNS1_11target_archE908ELNS1_3gpuE7ELNS1_3repE0EEENS1_30default_config_static_selectorELNS0_4arch9wavefront6targetE0EEEvT1_.uses_flat_scratch, 0
	.set _ZN7rocprim17ROCPRIM_400000_NS6detail17trampoline_kernelINS0_14default_configENS1_25partition_config_selectorILNS1_17partition_subalgoE6EyNS0_10empty_typeEbEEZZNS1_14partition_implILS5_6ELb0ES3_mN6thrust23THRUST_200600_302600_NS6detail15normal_iteratorINSA_10device_ptrIyEEEEPS6_SG_NS0_5tupleIJSF_S6_EEENSH_IJSG_SG_EEES6_PlJNSB_9not_fun_tI7is_trueIyEEEEEE10hipError_tPvRmT3_T4_T5_T6_T7_T9_mT8_P12ihipStream_tbDpT10_ENKUlT_T0_E_clISt17integral_constantIbLb1EES17_IbLb0EEEEDaS13_S14_EUlS13_E_NS1_11comp_targetILNS1_3genE3ELNS1_11target_archE908ELNS1_3gpuE7ELNS1_3repE0EEENS1_30default_config_static_selectorELNS0_4arch9wavefront6targetE0EEEvT1_.has_dyn_sized_stack, 0
	.set _ZN7rocprim17ROCPRIM_400000_NS6detail17trampoline_kernelINS0_14default_configENS1_25partition_config_selectorILNS1_17partition_subalgoE6EyNS0_10empty_typeEbEEZZNS1_14partition_implILS5_6ELb0ES3_mN6thrust23THRUST_200600_302600_NS6detail15normal_iteratorINSA_10device_ptrIyEEEEPS6_SG_NS0_5tupleIJSF_S6_EEENSH_IJSG_SG_EEES6_PlJNSB_9not_fun_tI7is_trueIyEEEEEE10hipError_tPvRmT3_T4_T5_T6_T7_T9_mT8_P12ihipStream_tbDpT10_ENKUlT_T0_E_clISt17integral_constantIbLb1EES17_IbLb0EEEEDaS13_S14_EUlS13_E_NS1_11comp_targetILNS1_3genE3ELNS1_11target_archE908ELNS1_3gpuE7ELNS1_3repE0EEENS1_30default_config_static_selectorELNS0_4arch9wavefront6targetE0EEEvT1_.has_recursion, 0
	.set _ZN7rocprim17ROCPRIM_400000_NS6detail17trampoline_kernelINS0_14default_configENS1_25partition_config_selectorILNS1_17partition_subalgoE6EyNS0_10empty_typeEbEEZZNS1_14partition_implILS5_6ELb0ES3_mN6thrust23THRUST_200600_302600_NS6detail15normal_iteratorINSA_10device_ptrIyEEEEPS6_SG_NS0_5tupleIJSF_S6_EEENSH_IJSG_SG_EEES6_PlJNSB_9not_fun_tI7is_trueIyEEEEEE10hipError_tPvRmT3_T4_T5_T6_T7_T9_mT8_P12ihipStream_tbDpT10_ENKUlT_T0_E_clISt17integral_constantIbLb1EES17_IbLb0EEEEDaS13_S14_EUlS13_E_NS1_11comp_targetILNS1_3genE3ELNS1_11target_archE908ELNS1_3gpuE7ELNS1_3repE0EEENS1_30default_config_static_selectorELNS0_4arch9wavefront6targetE0EEEvT1_.has_indirect_call, 0
	.section	.AMDGPU.csdata,"",@progbits
; Kernel info:
; codeLenInByte = 0
; TotalNumSgprs: 0
; NumVgprs: 0
; ScratchSize: 0
; MemoryBound: 0
; FloatMode: 240
; IeeeMode: 1
; LDSByteSize: 0 bytes/workgroup (compile time only)
; SGPRBlocks: 0
; VGPRBlocks: 0
; NumSGPRsForWavesPerEU: 1
; NumVGPRsForWavesPerEU: 1
; Occupancy: 16
; WaveLimiterHint : 0
; COMPUTE_PGM_RSRC2:SCRATCH_EN: 0
; COMPUTE_PGM_RSRC2:USER_SGPR: 2
; COMPUTE_PGM_RSRC2:TRAP_HANDLER: 0
; COMPUTE_PGM_RSRC2:TGID_X_EN: 1
; COMPUTE_PGM_RSRC2:TGID_Y_EN: 0
; COMPUTE_PGM_RSRC2:TGID_Z_EN: 0
; COMPUTE_PGM_RSRC2:TIDIG_COMP_CNT: 0
	.section	.text._ZN7rocprim17ROCPRIM_400000_NS6detail17trampoline_kernelINS0_14default_configENS1_25partition_config_selectorILNS1_17partition_subalgoE6EyNS0_10empty_typeEbEEZZNS1_14partition_implILS5_6ELb0ES3_mN6thrust23THRUST_200600_302600_NS6detail15normal_iteratorINSA_10device_ptrIyEEEEPS6_SG_NS0_5tupleIJSF_S6_EEENSH_IJSG_SG_EEES6_PlJNSB_9not_fun_tI7is_trueIyEEEEEE10hipError_tPvRmT3_T4_T5_T6_T7_T9_mT8_P12ihipStream_tbDpT10_ENKUlT_T0_E_clISt17integral_constantIbLb1EES17_IbLb0EEEEDaS13_S14_EUlS13_E_NS1_11comp_targetILNS1_3genE2ELNS1_11target_archE906ELNS1_3gpuE6ELNS1_3repE0EEENS1_30default_config_static_selectorELNS0_4arch9wavefront6targetE0EEEvT1_,"axG",@progbits,_ZN7rocprim17ROCPRIM_400000_NS6detail17trampoline_kernelINS0_14default_configENS1_25partition_config_selectorILNS1_17partition_subalgoE6EyNS0_10empty_typeEbEEZZNS1_14partition_implILS5_6ELb0ES3_mN6thrust23THRUST_200600_302600_NS6detail15normal_iteratorINSA_10device_ptrIyEEEEPS6_SG_NS0_5tupleIJSF_S6_EEENSH_IJSG_SG_EEES6_PlJNSB_9not_fun_tI7is_trueIyEEEEEE10hipError_tPvRmT3_T4_T5_T6_T7_T9_mT8_P12ihipStream_tbDpT10_ENKUlT_T0_E_clISt17integral_constantIbLb1EES17_IbLb0EEEEDaS13_S14_EUlS13_E_NS1_11comp_targetILNS1_3genE2ELNS1_11target_archE906ELNS1_3gpuE6ELNS1_3repE0EEENS1_30default_config_static_selectorELNS0_4arch9wavefront6targetE0EEEvT1_,comdat
	.protected	_ZN7rocprim17ROCPRIM_400000_NS6detail17trampoline_kernelINS0_14default_configENS1_25partition_config_selectorILNS1_17partition_subalgoE6EyNS0_10empty_typeEbEEZZNS1_14partition_implILS5_6ELb0ES3_mN6thrust23THRUST_200600_302600_NS6detail15normal_iteratorINSA_10device_ptrIyEEEEPS6_SG_NS0_5tupleIJSF_S6_EEENSH_IJSG_SG_EEES6_PlJNSB_9not_fun_tI7is_trueIyEEEEEE10hipError_tPvRmT3_T4_T5_T6_T7_T9_mT8_P12ihipStream_tbDpT10_ENKUlT_T0_E_clISt17integral_constantIbLb1EES17_IbLb0EEEEDaS13_S14_EUlS13_E_NS1_11comp_targetILNS1_3genE2ELNS1_11target_archE906ELNS1_3gpuE6ELNS1_3repE0EEENS1_30default_config_static_selectorELNS0_4arch9wavefront6targetE0EEEvT1_ ; -- Begin function _ZN7rocprim17ROCPRIM_400000_NS6detail17trampoline_kernelINS0_14default_configENS1_25partition_config_selectorILNS1_17partition_subalgoE6EyNS0_10empty_typeEbEEZZNS1_14partition_implILS5_6ELb0ES3_mN6thrust23THRUST_200600_302600_NS6detail15normal_iteratorINSA_10device_ptrIyEEEEPS6_SG_NS0_5tupleIJSF_S6_EEENSH_IJSG_SG_EEES6_PlJNSB_9not_fun_tI7is_trueIyEEEEEE10hipError_tPvRmT3_T4_T5_T6_T7_T9_mT8_P12ihipStream_tbDpT10_ENKUlT_T0_E_clISt17integral_constantIbLb1EES17_IbLb0EEEEDaS13_S14_EUlS13_E_NS1_11comp_targetILNS1_3genE2ELNS1_11target_archE906ELNS1_3gpuE6ELNS1_3repE0EEENS1_30default_config_static_selectorELNS0_4arch9wavefront6targetE0EEEvT1_
	.globl	_ZN7rocprim17ROCPRIM_400000_NS6detail17trampoline_kernelINS0_14default_configENS1_25partition_config_selectorILNS1_17partition_subalgoE6EyNS0_10empty_typeEbEEZZNS1_14partition_implILS5_6ELb0ES3_mN6thrust23THRUST_200600_302600_NS6detail15normal_iteratorINSA_10device_ptrIyEEEEPS6_SG_NS0_5tupleIJSF_S6_EEENSH_IJSG_SG_EEES6_PlJNSB_9not_fun_tI7is_trueIyEEEEEE10hipError_tPvRmT3_T4_T5_T6_T7_T9_mT8_P12ihipStream_tbDpT10_ENKUlT_T0_E_clISt17integral_constantIbLb1EES17_IbLb0EEEEDaS13_S14_EUlS13_E_NS1_11comp_targetILNS1_3genE2ELNS1_11target_archE906ELNS1_3gpuE6ELNS1_3repE0EEENS1_30default_config_static_selectorELNS0_4arch9wavefront6targetE0EEEvT1_
	.p2align	8
	.type	_ZN7rocprim17ROCPRIM_400000_NS6detail17trampoline_kernelINS0_14default_configENS1_25partition_config_selectorILNS1_17partition_subalgoE6EyNS0_10empty_typeEbEEZZNS1_14partition_implILS5_6ELb0ES3_mN6thrust23THRUST_200600_302600_NS6detail15normal_iteratorINSA_10device_ptrIyEEEEPS6_SG_NS0_5tupleIJSF_S6_EEENSH_IJSG_SG_EEES6_PlJNSB_9not_fun_tI7is_trueIyEEEEEE10hipError_tPvRmT3_T4_T5_T6_T7_T9_mT8_P12ihipStream_tbDpT10_ENKUlT_T0_E_clISt17integral_constantIbLb1EES17_IbLb0EEEEDaS13_S14_EUlS13_E_NS1_11comp_targetILNS1_3genE2ELNS1_11target_archE906ELNS1_3gpuE6ELNS1_3repE0EEENS1_30default_config_static_selectorELNS0_4arch9wavefront6targetE0EEEvT1_,@function
_ZN7rocprim17ROCPRIM_400000_NS6detail17trampoline_kernelINS0_14default_configENS1_25partition_config_selectorILNS1_17partition_subalgoE6EyNS0_10empty_typeEbEEZZNS1_14partition_implILS5_6ELb0ES3_mN6thrust23THRUST_200600_302600_NS6detail15normal_iteratorINSA_10device_ptrIyEEEEPS6_SG_NS0_5tupleIJSF_S6_EEENSH_IJSG_SG_EEES6_PlJNSB_9not_fun_tI7is_trueIyEEEEEE10hipError_tPvRmT3_T4_T5_T6_T7_T9_mT8_P12ihipStream_tbDpT10_ENKUlT_T0_E_clISt17integral_constantIbLb1EES17_IbLb0EEEEDaS13_S14_EUlS13_E_NS1_11comp_targetILNS1_3genE2ELNS1_11target_archE906ELNS1_3gpuE6ELNS1_3repE0EEENS1_30default_config_static_selectorELNS0_4arch9wavefront6targetE0EEEvT1_: ; @_ZN7rocprim17ROCPRIM_400000_NS6detail17trampoline_kernelINS0_14default_configENS1_25partition_config_selectorILNS1_17partition_subalgoE6EyNS0_10empty_typeEbEEZZNS1_14partition_implILS5_6ELb0ES3_mN6thrust23THRUST_200600_302600_NS6detail15normal_iteratorINSA_10device_ptrIyEEEEPS6_SG_NS0_5tupleIJSF_S6_EEENSH_IJSG_SG_EEES6_PlJNSB_9not_fun_tI7is_trueIyEEEEEE10hipError_tPvRmT3_T4_T5_T6_T7_T9_mT8_P12ihipStream_tbDpT10_ENKUlT_T0_E_clISt17integral_constantIbLb1EES17_IbLb0EEEEDaS13_S14_EUlS13_E_NS1_11comp_targetILNS1_3genE2ELNS1_11target_archE906ELNS1_3gpuE6ELNS1_3repE0EEENS1_30default_config_static_selectorELNS0_4arch9wavefront6targetE0EEEvT1_
; %bb.0:
	.section	.rodata,"a",@progbits
	.p2align	6, 0x0
	.amdhsa_kernel _ZN7rocprim17ROCPRIM_400000_NS6detail17trampoline_kernelINS0_14default_configENS1_25partition_config_selectorILNS1_17partition_subalgoE6EyNS0_10empty_typeEbEEZZNS1_14partition_implILS5_6ELb0ES3_mN6thrust23THRUST_200600_302600_NS6detail15normal_iteratorINSA_10device_ptrIyEEEEPS6_SG_NS0_5tupleIJSF_S6_EEENSH_IJSG_SG_EEES6_PlJNSB_9not_fun_tI7is_trueIyEEEEEE10hipError_tPvRmT3_T4_T5_T6_T7_T9_mT8_P12ihipStream_tbDpT10_ENKUlT_T0_E_clISt17integral_constantIbLb1EES17_IbLb0EEEEDaS13_S14_EUlS13_E_NS1_11comp_targetILNS1_3genE2ELNS1_11target_archE906ELNS1_3gpuE6ELNS1_3repE0EEENS1_30default_config_static_selectorELNS0_4arch9wavefront6targetE0EEEvT1_
		.amdhsa_group_segment_fixed_size 0
		.amdhsa_private_segment_fixed_size 0
		.amdhsa_kernarg_size 112
		.amdhsa_user_sgpr_count 2
		.amdhsa_user_sgpr_dispatch_ptr 0
		.amdhsa_user_sgpr_queue_ptr 0
		.amdhsa_user_sgpr_kernarg_segment_ptr 1
		.amdhsa_user_sgpr_dispatch_id 0
		.amdhsa_user_sgpr_private_segment_size 0
		.amdhsa_wavefront_size32 1
		.amdhsa_uses_dynamic_stack 0
		.amdhsa_enable_private_segment 0
		.amdhsa_system_sgpr_workgroup_id_x 1
		.amdhsa_system_sgpr_workgroup_id_y 0
		.amdhsa_system_sgpr_workgroup_id_z 0
		.amdhsa_system_sgpr_workgroup_info 0
		.amdhsa_system_vgpr_workitem_id 0
		.amdhsa_next_free_vgpr 1
		.amdhsa_next_free_sgpr 1
		.amdhsa_reserve_vcc 0
		.amdhsa_float_round_mode_32 0
		.amdhsa_float_round_mode_16_64 0
		.amdhsa_float_denorm_mode_32 3
		.amdhsa_float_denorm_mode_16_64 3
		.amdhsa_fp16_overflow 0
		.amdhsa_workgroup_processor_mode 1
		.amdhsa_memory_ordered 1
		.amdhsa_forward_progress 1
		.amdhsa_inst_pref_size 0
		.amdhsa_round_robin_scheduling 0
		.amdhsa_exception_fp_ieee_invalid_op 0
		.amdhsa_exception_fp_denorm_src 0
		.amdhsa_exception_fp_ieee_div_zero 0
		.amdhsa_exception_fp_ieee_overflow 0
		.amdhsa_exception_fp_ieee_underflow 0
		.amdhsa_exception_fp_ieee_inexact 0
		.amdhsa_exception_int_div_zero 0
	.end_amdhsa_kernel
	.section	.text._ZN7rocprim17ROCPRIM_400000_NS6detail17trampoline_kernelINS0_14default_configENS1_25partition_config_selectorILNS1_17partition_subalgoE6EyNS0_10empty_typeEbEEZZNS1_14partition_implILS5_6ELb0ES3_mN6thrust23THRUST_200600_302600_NS6detail15normal_iteratorINSA_10device_ptrIyEEEEPS6_SG_NS0_5tupleIJSF_S6_EEENSH_IJSG_SG_EEES6_PlJNSB_9not_fun_tI7is_trueIyEEEEEE10hipError_tPvRmT3_T4_T5_T6_T7_T9_mT8_P12ihipStream_tbDpT10_ENKUlT_T0_E_clISt17integral_constantIbLb1EES17_IbLb0EEEEDaS13_S14_EUlS13_E_NS1_11comp_targetILNS1_3genE2ELNS1_11target_archE906ELNS1_3gpuE6ELNS1_3repE0EEENS1_30default_config_static_selectorELNS0_4arch9wavefront6targetE0EEEvT1_,"axG",@progbits,_ZN7rocprim17ROCPRIM_400000_NS6detail17trampoline_kernelINS0_14default_configENS1_25partition_config_selectorILNS1_17partition_subalgoE6EyNS0_10empty_typeEbEEZZNS1_14partition_implILS5_6ELb0ES3_mN6thrust23THRUST_200600_302600_NS6detail15normal_iteratorINSA_10device_ptrIyEEEEPS6_SG_NS0_5tupleIJSF_S6_EEENSH_IJSG_SG_EEES6_PlJNSB_9not_fun_tI7is_trueIyEEEEEE10hipError_tPvRmT3_T4_T5_T6_T7_T9_mT8_P12ihipStream_tbDpT10_ENKUlT_T0_E_clISt17integral_constantIbLb1EES17_IbLb0EEEEDaS13_S14_EUlS13_E_NS1_11comp_targetILNS1_3genE2ELNS1_11target_archE906ELNS1_3gpuE6ELNS1_3repE0EEENS1_30default_config_static_selectorELNS0_4arch9wavefront6targetE0EEEvT1_,comdat
.Lfunc_end1129:
	.size	_ZN7rocprim17ROCPRIM_400000_NS6detail17trampoline_kernelINS0_14default_configENS1_25partition_config_selectorILNS1_17partition_subalgoE6EyNS0_10empty_typeEbEEZZNS1_14partition_implILS5_6ELb0ES3_mN6thrust23THRUST_200600_302600_NS6detail15normal_iteratorINSA_10device_ptrIyEEEEPS6_SG_NS0_5tupleIJSF_S6_EEENSH_IJSG_SG_EEES6_PlJNSB_9not_fun_tI7is_trueIyEEEEEE10hipError_tPvRmT3_T4_T5_T6_T7_T9_mT8_P12ihipStream_tbDpT10_ENKUlT_T0_E_clISt17integral_constantIbLb1EES17_IbLb0EEEEDaS13_S14_EUlS13_E_NS1_11comp_targetILNS1_3genE2ELNS1_11target_archE906ELNS1_3gpuE6ELNS1_3repE0EEENS1_30default_config_static_selectorELNS0_4arch9wavefront6targetE0EEEvT1_, .Lfunc_end1129-_ZN7rocprim17ROCPRIM_400000_NS6detail17trampoline_kernelINS0_14default_configENS1_25partition_config_selectorILNS1_17partition_subalgoE6EyNS0_10empty_typeEbEEZZNS1_14partition_implILS5_6ELb0ES3_mN6thrust23THRUST_200600_302600_NS6detail15normal_iteratorINSA_10device_ptrIyEEEEPS6_SG_NS0_5tupleIJSF_S6_EEENSH_IJSG_SG_EEES6_PlJNSB_9not_fun_tI7is_trueIyEEEEEE10hipError_tPvRmT3_T4_T5_T6_T7_T9_mT8_P12ihipStream_tbDpT10_ENKUlT_T0_E_clISt17integral_constantIbLb1EES17_IbLb0EEEEDaS13_S14_EUlS13_E_NS1_11comp_targetILNS1_3genE2ELNS1_11target_archE906ELNS1_3gpuE6ELNS1_3repE0EEENS1_30default_config_static_selectorELNS0_4arch9wavefront6targetE0EEEvT1_
                                        ; -- End function
	.set _ZN7rocprim17ROCPRIM_400000_NS6detail17trampoline_kernelINS0_14default_configENS1_25partition_config_selectorILNS1_17partition_subalgoE6EyNS0_10empty_typeEbEEZZNS1_14partition_implILS5_6ELb0ES3_mN6thrust23THRUST_200600_302600_NS6detail15normal_iteratorINSA_10device_ptrIyEEEEPS6_SG_NS0_5tupleIJSF_S6_EEENSH_IJSG_SG_EEES6_PlJNSB_9not_fun_tI7is_trueIyEEEEEE10hipError_tPvRmT3_T4_T5_T6_T7_T9_mT8_P12ihipStream_tbDpT10_ENKUlT_T0_E_clISt17integral_constantIbLb1EES17_IbLb0EEEEDaS13_S14_EUlS13_E_NS1_11comp_targetILNS1_3genE2ELNS1_11target_archE906ELNS1_3gpuE6ELNS1_3repE0EEENS1_30default_config_static_selectorELNS0_4arch9wavefront6targetE0EEEvT1_.num_vgpr, 0
	.set _ZN7rocprim17ROCPRIM_400000_NS6detail17trampoline_kernelINS0_14default_configENS1_25partition_config_selectorILNS1_17partition_subalgoE6EyNS0_10empty_typeEbEEZZNS1_14partition_implILS5_6ELb0ES3_mN6thrust23THRUST_200600_302600_NS6detail15normal_iteratorINSA_10device_ptrIyEEEEPS6_SG_NS0_5tupleIJSF_S6_EEENSH_IJSG_SG_EEES6_PlJNSB_9not_fun_tI7is_trueIyEEEEEE10hipError_tPvRmT3_T4_T5_T6_T7_T9_mT8_P12ihipStream_tbDpT10_ENKUlT_T0_E_clISt17integral_constantIbLb1EES17_IbLb0EEEEDaS13_S14_EUlS13_E_NS1_11comp_targetILNS1_3genE2ELNS1_11target_archE906ELNS1_3gpuE6ELNS1_3repE0EEENS1_30default_config_static_selectorELNS0_4arch9wavefront6targetE0EEEvT1_.num_agpr, 0
	.set _ZN7rocprim17ROCPRIM_400000_NS6detail17trampoline_kernelINS0_14default_configENS1_25partition_config_selectorILNS1_17partition_subalgoE6EyNS0_10empty_typeEbEEZZNS1_14partition_implILS5_6ELb0ES3_mN6thrust23THRUST_200600_302600_NS6detail15normal_iteratorINSA_10device_ptrIyEEEEPS6_SG_NS0_5tupleIJSF_S6_EEENSH_IJSG_SG_EEES6_PlJNSB_9not_fun_tI7is_trueIyEEEEEE10hipError_tPvRmT3_T4_T5_T6_T7_T9_mT8_P12ihipStream_tbDpT10_ENKUlT_T0_E_clISt17integral_constantIbLb1EES17_IbLb0EEEEDaS13_S14_EUlS13_E_NS1_11comp_targetILNS1_3genE2ELNS1_11target_archE906ELNS1_3gpuE6ELNS1_3repE0EEENS1_30default_config_static_selectorELNS0_4arch9wavefront6targetE0EEEvT1_.numbered_sgpr, 0
	.set _ZN7rocprim17ROCPRIM_400000_NS6detail17trampoline_kernelINS0_14default_configENS1_25partition_config_selectorILNS1_17partition_subalgoE6EyNS0_10empty_typeEbEEZZNS1_14partition_implILS5_6ELb0ES3_mN6thrust23THRUST_200600_302600_NS6detail15normal_iteratorINSA_10device_ptrIyEEEEPS6_SG_NS0_5tupleIJSF_S6_EEENSH_IJSG_SG_EEES6_PlJNSB_9not_fun_tI7is_trueIyEEEEEE10hipError_tPvRmT3_T4_T5_T6_T7_T9_mT8_P12ihipStream_tbDpT10_ENKUlT_T0_E_clISt17integral_constantIbLb1EES17_IbLb0EEEEDaS13_S14_EUlS13_E_NS1_11comp_targetILNS1_3genE2ELNS1_11target_archE906ELNS1_3gpuE6ELNS1_3repE0EEENS1_30default_config_static_selectorELNS0_4arch9wavefront6targetE0EEEvT1_.num_named_barrier, 0
	.set _ZN7rocprim17ROCPRIM_400000_NS6detail17trampoline_kernelINS0_14default_configENS1_25partition_config_selectorILNS1_17partition_subalgoE6EyNS0_10empty_typeEbEEZZNS1_14partition_implILS5_6ELb0ES3_mN6thrust23THRUST_200600_302600_NS6detail15normal_iteratorINSA_10device_ptrIyEEEEPS6_SG_NS0_5tupleIJSF_S6_EEENSH_IJSG_SG_EEES6_PlJNSB_9not_fun_tI7is_trueIyEEEEEE10hipError_tPvRmT3_T4_T5_T6_T7_T9_mT8_P12ihipStream_tbDpT10_ENKUlT_T0_E_clISt17integral_constantIbLb1EES17_IbLb0EEEEDaS13_S14_EUlS13_E_NS1_11comp_targetILNS1_3genE2ELNS1_11target_archE906ELNS1_3gpuE6ELNS1_3repE0EEENS1_30default_config_static_selectorELNS0_4arch9wavefront6targetE0EEEvT1_.private_seg_size, 0
	.set _ZN7rocprim17ROCPRIM_400000_NS6detail17trampoline_kernelINS0_14default_configENS1_25partition_config_selectorILNS1_17partition_subalgoE6EyNS0_10empty_typeEbEEZZNS1_14partition_implILS5_6ELb0ES3_mN6thrust23THRUST_200600_302600_NS6detail15normal_iteratorINSA_10device_ptrIyEEEEPS6_SG_NS0_5tupleIJSF_S6_EEENSH_IJSG_SG_EEES6_PlJNSB_9not_fun_tI7is_trueIyEEEEEE10hipError_tPvRmT3_T4_T5_T6_T7_T9_mT8_P12ihipStream_tbDpT10_ENKUlT_T0_E_clISt17integral_constantIbLb1EES17_IbLb0EEEEDaS13_S14_EUlS13_E_NS1_11comp_targetILNS1_3genE2ELNS1_11target_archE906ELNS1_3gpuE6ELNS1_3repE0EEENS1_30default_config_static_selectorELNS0_4arch9wavefront6targetE0EEEvT1_.uses_vcc, 0
	.set _ZN7rocprim17ROCPRIM_400000_NS6detail17trampoline_kernelINS0_14default_configENS1_25partition_config_selectorILNS1_17partition_subalgoE6EyNS0_10empty_typeEbEEZZNS1_14partition_implILS5_6ELb0ES3_mN6thrust23THRUST_200600_302600_NS6detail15normal_iteratorINSA_10device_ptrIyEEEEPS6_SG_NS0_5tupleIJSF_S6_EEENSH_IJSG_SG_EEES6_PlJNSB_9not_fun_tI7is_trueIyEEEEEE10hipError_tPvRmT3_T4_T5_T6_T7_T9_mT8_P12ihipStream_tbDpT10_ENKUlT_T0_E_clISt17integral_constantIbLb1EES17_IbLb0EEEEDaS13_S14_EUlS13_E_NS1_11comp_targetILNS1_3genE2ELNS1_11target_archE906ELNS1_3gpuE6ELNS1_3repE0EEENS1_30default_config_static_selectorELNS0_4arch9wavefront6targetE0EEEvT1_.uses_flat_scratch, 0
	.set _ZN7rocprim17ROCPRIM_400000_NS6detail17trampoline_kernelINS0_14default_configENS1_25partition_config_selectorILNS1_17partition_subalgoE6EyNS0_10empty_typeEbEEZZNS1_14partition_implILS5_6ELb0ES3_mN6thrust23THRUST_200600_302600_NS6detail15normal_iteratorINSA_10device_ptrIyEEEEPS6_SG_NS0_5tupleIJSF_S6_EEENSH_IJSG_SG_EEES6_PlJNSB_9not_fun_tI7is_trueIyEEEEEE10hipError_tPvRmT3_T4_T5_T6_T7_T9_mT8_P12ihipStream_tbDpT10_ENKUlT_T0_E_clISt17integral_constantIbLb1EES17_IbLb0EEEEDaS13_S14_EUlS13_E_NS1_11comp_targetILNS1_3genE2ELNS1_11target_archE906ELNS1_3gpuE6ELNS1_3repE0EEENS1_30default_config_static_selectorELNS0_4arch9wavefront6targetE0EEEvT1_.has_dyn_sized_stack, 0
	.set _ZN7rocprim17ROCPRIM_400000_NS6detail17trampoline_kernelINS0_14default_configENS1_25partition_config_selectorILNS1_17partition_subalgoE6EyNS0_10empty_typeEbEEZZNS1_14partition_implILS5_6ELb0ES3_mN6thrust23THRUST_200600_302600_NS6detail15normal_iteratorINSA_10device_ptrIyEEEEPS6_SG_NS0_5tupleIJSF_S6_EEENSH_IJSG_SG_EEES6_PlJNSB_9not_fun_tI7is_trueIyEEEEEE10hipError_tPvRmT3_T4_T5_T6_T7_T9_mT8_P12ihipStream_tbDpT10_ENKUlT_T0_E_clISt17integral_constantIbLb1EES17_IbLb0EEEEDaS13_S14_EUlS13_E_NS1_11comp_targetILNS1_3genE2ELNS1_11target_archE906ELNS1_3gpuE6ELNS1_3repE0EEENS1_30default_config_static_selectorELNS0_4arch9wavefront6targetE0EEEvT1_.has_recursion, 0
	.set _ZN7rocprim17ROCPRIM_400000_NS6detail17trampoline_kernelINS0_14default_configENS1_25partition_config_selectorILNS1_17partition_subalgoE6EyNS0_10empty_typeEbEEZZNS1_14partition_implILS5_6ELb0ES3_mN6thrust23THRUST_200600_302600_NS6detail15normal_iteratorINSA_10device_ptrIyEEEEPS6_SG_NS0_5tupleIJSF_S6_EEENSH_IJSG_SG_EEES6_PlJNSB_9not_fun_tI7is_trueIyEEEEEE10hipError_tPvRmT3_T4_T5_T6_T7_T9_mT8_P12ihipStream_tbDpT10_ENKUlT_T0_E_clISt17integral_constantIbLb1EES17_IbLb0EEEEDaS13_S14_EUlS13_E_NS1_11comp_targetILNS1_3genE2ELNS1_11target_archE906ELNS1_3gpuE6ELNS1_3repE0EEENS1_30default_config_static_selectorELNS0_4arch9wavefront6targetE0EEEvT1_.has_indirect_call, 0
	.section	.AMDGPU.csdata,"",@progbits
; Kernel info:
; codeLenInByte = 0
; TotalNumSgprs: 0
; NumVgprs: 0
; ScratchSize: 0
; MemoryBound: 0
; FloatMode: 240
; IeeeMode: 1
; LDSByteSize: 0 bytes/workgroup (compile time only)
; SGPRBlocks: 0
; VGPRBlocks: 0
; NumSGPRsForWavesPerEU: 1
; NumVGPRsForWavesPerEU: 1
; Occupancy: 16
; WaveLimiterHint : 0
; COMPUTE_PGM_RSRC2:SCRATCH_EN: 0
; COMPUTE_PGM_RSRC2:USER_SGPR: 2
; COMPUTE_PGM_RSRC2:TRAP_HANDLER: 0
; COMPUTE_PGM_RSRC2:TGID_X_EN: 1
; COMPUTE_PGM_RSRC2:TGID_Y_EN: 0
; COMPUTE_PGM_RSRC2:TGID_Z_EN: 0
; COMPUTE_PGM_RSRC2:TIDIG_COMP_CNT: 0
	.section	.text._ZN7rocprim17ROCPRIM_400000_NS6detail17trampoline_kernelINS0_14default_configENS1_25partition_config_selectorILNS1_17partition_subalgoE6EyNS0_10empty_typeEbEEZZNS1_14partition_implILS5_6ELb0ES3_mN6thrust23THRUST_200600_302600_NS6detail15normal_iteratorINSA_10device_ptrIyEEEEPS6_SG_NS0_5tupleIJSF_S6_EEENSH_IJSG_SG_EEES6_PlJNSB_9not_fun_tI7is_trueIyEEEEEE10hipError_tPvRmT3_T4_T5_T6_T7_T9_mT8_P12ihipStream_tbDpT10_ENKUlT_T0_E_clISt17integral_constantIbLb1EES17_IbLb0EEEEDaS13_S14_EUlS13_E_NS1_11comp_targetILNS1_3genE10ELNS1_11target_archE1200ELNS1_3gpuE4ELNS1_3repE0EEENS1_30default_config_static_selectorELNS0_4arch9wavefront6targetE0EEEvT1_,"axG",@progbits,_ZN7rocprim17ROCPRIM_400000_NS6detail17trampoline_kernelINS0_14default_configENS1_25partition_config_selectorILNS1_17partition_subalgoE6EyNS0_10empty_typeEbEEZZNS1_14partition_implILS5_6ELb0ES3_mN6thrust23THRUST_200600_302600_NS6detail15normal_iteratorINSA_10device_ptrIyEEEEPS6_SG_NS0_5tupleIJSF_S6_EEENSH_IJSG_SG_EEES6_PlJNSB_9not_fun_tI7is_trueIyEEEEEE10hipError_tPvRmT3_T4_T5_T6_T7_T9_mT8_P12ihipStream_tbDpT10_ENKUlT_T0_E_clISt17integral_constantIbLb1EES17_IbLb0EEEEDaS13_S14_EUlS13_E_NS1_11comp_targetILNS1_3genE10ELNS1_11target_archE1200ELNS1_3gpuE4ELNS1_3repE0EEENS1_30default_config_static_selectorELNS0_4arch9wavefront6targetE0EEEvT1_,comdat
	.protected	_ZN7rocprim17ROCPRIM_400000_NS6detail17trampoline_kernelINS0_14default_configENS1_25partition_config_selectorILNS1_17partition_subalgoE6EyNS0_10empty_typeEbEEZZNS1_14partition_implILS5_6ELb0ES3_mN6thrust23THRUST_200600_302600_NS6detail15normal_iteratorINSA_10device_ptrIyEEEEPS6_SG_NS0_5tupleIJSF_S6_EEENSH_IJSG_SG_EEES6_PlJNSB_9not_fun_tI7is_trueIyEEEEEE10hipError_tPvRmT3_T4_T5_T6_T7_T9_mT8_P12ihipStream_tbDpT10_ENKUlT_T0_E_clISt17integral_constantIbLb1EES17_IbLb0EEEEDaS13_S14_EUlS13_E_NS1_11comp_targetILNS1_3genE10ELNS1_11target_archE1200ELNS1_3gpuE4ELNS1_3repE0EEENS1_30default_config_static_selectorELNS0_4arch9wavefront6targetE0EEEvT1_ ; -- Begin function _ZN7rocprim17ROCPRIM_400000_NS6detail17trampoline_kernelINS0_14default_configENS1_25partition_config_selectorILNS1_17partition_subalgoE6EyNS0_10empty_typeEbEEZZNS1_14partition_implILS5_6ELb0ES3_mN6thrust23THRUST_200600_302600_NS6detail15normal_iteratorINSA_10device_ptrIyEEEEPS6_SG_NS0_5tupleIJSF_S6_EEENSH_IJSG_SG_EEES6_PlJNSB_9not_fun_tI7is_trueIyEEEEEE10hipError_tPvRmT3_T4_T5_T6_T7_T9_mT8_P12ihipStream_tbDpT10_ENKUlT_T0_E_clISt17integral_constantIbLb1EES17_IbLb0EEEEDaS13_S14_EUlS13_E_NS1_11comp_targetILNS1_3genE10ELNS1_11target_archE1200ELNS1_3gpuE4ELNS1_3repE0EEENS1_30default_config_static_selectorELNS0_4arch9wavefront6targetE0EEEvT1_
	.globl	_ZN7rocprim17ROCPRIM_400000_NS6detail17trampoline_kernelINS0_14default_configENS1_25partition_config_selectorILNS1_17partition_subalgoE6EyNS0_10empty_typeEbEEZZNS1_14partition_implILS5_6ELb0ES3_mN6thrust23THRUST_200600_302600_NS6detail15normal_iteratorINSA_10device_ptrIyEEEEPS6_SG_NS0_5tupleIJSF_S6_EEENSH_IJSG_SG_EEES6_PlJNSB_9not_fun_tI7is_trueIyEEEEEE10hipError_tPvRmT3_T4_T5_T6_T7_T9_mT8_P12ihipStream_tbDpT10_ENKUlT_T0_E_clISt17integral_constantIbLb1EES17_IbLb0EEEEDaS13_S14_EUlS13_E_NS1_11comp_targetILNS1_3genE10ELNS1_11target_archE1200ELNS1_3gpuE4ELNS1_3repE0EEENS1_30default_config_static_selectorELNS0_4arch9wavefront6targetE0EEEvT1_
	.p2align	8
	.type	_ZN7rocprim17ROCPRIM_400000_NS6detail17trampoline_kernelINS0_14default_configENS1_25partition_config_selectorILNS1_17partition_subalgoE6EyNS0_10empty_typeEbEEZZNS1_14partition_implILS5_6ELb0ES3_mN6thrust23THRUST_200600_302600_NS6detail15normal_iteratorINSA_10device_ptrIyEEEEPS6_SG_NS0_5tupleIJSF_S6_EEENSH_IJSG_SG_EEES6_PlJNSB_9not_fun_tI7is_trueIyEEEEEE10hipError_tPvRmT3_T4_T5_T6_T7_T9_mT8_P12ihipStream_tbDpT10_ENKUlT_T0_E_clISt17integral_constantIbLb1EES17_IbLb0EEEEDaS13_S14_EUlS13_E_NS1_11comp_targetILNS1_3genE10ELNS1_11target_archE1200ELNS1_3gpuE4ELNS1_3repE0EEENS1_30default_config_static_selectorELNS0_4arch9wavefront6targetE0EEEvT1_,@function
_ZN7rocprim17ROCPRIM_400000_NS6detail17trampoline_kernelINS0_14default_configENS1_25partition_config_selectorILNS1_17partition_subalgoE6EyNS0_10empty_typeEbEEZZNS1_14partition_implILS5_6ELb0ES3_mN6thrust23THRUST_200600_302600_NS6detail15normal_iteratorINSA_10device_ptrIyEEEEPS6_SG_NS0_5tupleIJSF_S6_EEENSH_IJSG_SG_EEES6_PlJNSB_9not_fun_tI7is_trueIyEEEEEE10hipError_tPvRmT3_T4_T5_T6_T7_T9_mT8_P12ihipStream_tbDpT10_ENKUlT_T0_E_clISt17integral_constantIbLb1EES17_IbLb0EEEEDaS13_S14_EUlS13_E_NS1_11comp_targetILNS1_3genE10ELNS1_11target_archE1200ELNS1_3gpuE4ELNS1_3repE0EEENS1_30default_config_static_selectorELNS0_4arch9wavefront6targetE0EEEvT1_: ; @_ZN7rocprim17ROCPRIM_400000_NS6detail17trampoline_kernelINS0_14default_configENS1_25partition_config_selectorILNS1_17partition_subalgoE6EyNS0_10empty_typeEbEEZZNS1_14partition_implILS5_6ELb0ES3_mN6thrust23THRUST_200600_302600_NS6detail15normal_iteratorINSA_10device_ptrIyEEEEPS6_SG_NS0_5tupleIJSF_S6_EEENSH_IJSG_SG_EEES6_PlJNSB_9not_fun_tI7is_trueIyEEEEEE10hipError_tPvRmT3_T4_T5_T6_T7_T9_mT8_P12ihipStream_tbDpT10_ENKUlT_T0_E_clISt17integral_constantIbLb1EES17_IbLb0EEEEDaS13_S14_EUlS13_E_NS1_11comp_targetILNS1_3genE10ELNS1_11target_archE1200ELNS1_3gpuE4ELNS1_3repE0EEENS1_30default_config_static_selectorELNS0_4arch9wavefront6targetE0EEEvT1_
; %bb.0:
	s_endpgm
	.section	.rodata,"a",@progbits
	.p2align	6, 0x0
	.amdhsa_kernel _ZN7rocprim17ROCPRIM_400000_NS6detail17trampoline_kernelINS0_14default_configENS1_25partition_config_selectorILNS1_17partition_subalgoE6EyNS0_10empty_typeEbEEZZNS1_14partition_implILS5_6ELb0ES3_mN6thrust23THRUST_200600_302600_NS6detail15normal_iteratorINSA_10device_ptrIyEEEEPS6_SG_NS0_5tupleIJSF_S6_EEENSH_IJSG_SG_EEES6_PlJNSB_9not_fun_tI7is_trueIyEEEEEE10hipError_tPvRmT3_T4_T5_T6_T7_T9_mT8_P12ihipStream_tbDpT10_ENKUlT_T0_E_clISt17integral_constantIbLb1EES17_IbLb0EEEEDaS13_S14_EUlS13_E_NS1_11comp_targetILNS1_3genE10ELNS1_11target_archE1200ELNS1_3gpuE4ELNS1_3repE0EEENS1_30default_config_static_selectorELNS0_4arch9wavefront6targetE0EEEvT1_
		.amdhsa_group_segment_fixed_size 0
		.amdhsa_private_segment_fixed_size 0
		.amdhsa_kernarg_size 112
		.amdhsa_user_sgpr_count 2
		.amdhsa_user_sgpr_dispatch_ptr 0
		.amdhsa_user_sgpr_queue_ptr 0
		.amdhsa_user_sgpr_kernarg_segment_ptr 1
		.amdhsa_user_sgpr_dispatch_id 0
		.amdhsa_user_sgpr_private_segment_size 0
		.amdhsa_wavefront_size32 1
		.amdhsa_uses_dynamic_stack 0
		.amdhsa_enable_private_segment 0
		.amdhsa_system_sgpr_workgroup_id_x 1
		.amdhsa_system_sgpr_workgroup_id_y 0
		.amdhsa_system_sgpr_workgroup_id_z 0
		.amdhsa_system_sgpr_workgroup_info 0
		.amdhsa_system_vgpr_workitem_id 0
		.amdhsa_next_free_vgpr 1
		.amdhsa_next_free_sgpr 1
		.amdhsa_reserve_vcc 0
		.amdhsa_float_round_mode_32 0
		.amdhsa_float_round_mode_16_64 0
		.amdhsa_float_denorm_mode_32 3
		.amdhsa_float_denorm_mode_16_64 3
		.amdhsa_fp16_overflow 0
		.amdhsa_workgroup_processor_mode 1
		.amdhsa_memory_ordered 1
		.amdhsa_forward_progress 1
		.amdhsa_inst_pref_size 1
		.amdhsa_round_robin_scheduling 0
		.amdhsa_exception_fp_ieee_invalid_op 0
		.amdhsa_exception_fp_denorm_src 0
		.amdhsa_exception_fp_ieee_div_zero 0
		.amdhsa_exception_fp_ieee_overflow 0
		.amdhsa_exception_fp_ieee_underflow 0
		.amdhsa_exception_fp_ieee_inexact 0
		.amdhsa_exception_int_div_zero 0
	.end_amdhsa_kernel
	.section	.text._ZN7rocprim17ROCPRIM_400000_NS6detail17trampoline_kernelINS0_14default_configENS1_25partition_config_selectorILNS1_17partition_subalgoE6EyNS0_10empty_typeEbEEZZNS1_14partition_implILS5_6ELb0ES3_mN6thrust23THRUST_200600_302600_NS6detail15normal_iteratorINSA_10device_ptrIyEEEEPS6_SG_NS0_5tupleIJSF_S6_EEENSH_IJSG_SG_EEES6_PlJNSB_9not_fun_tI7is_trueIyEEEEEE10hipError_tPvRmT3_T4_T5_T6_T7_T9_mT8_P12ihipStream_tbDpT10_ENKUlT_T0_E_clISt17integral_constantIbLb1EES17_IbLb0EEEEDaS13_S14_EUlS13_E_NS1_11comp_targetILNS1_3genE10ELNS1_11target_archE1200ELNS1_3gpuE4ELNS1_3repE0EEENS1_30default_config_static_selectorELNS0_4arch9wavefront6targetE0EEEvT1_,"axG",@progbits,_ZN7rocprim17ROCPRIM_400000_NS6detail17trampoline_kernelINS0_14default_configENS1_25partition_config_selectorILNS1_17partition_subalgoE6EyNS0_10empty_typeEbEEZZNS1_14partition_implILS5_6ELb0ES3_mN6thrust23THRUST_200600_302600_NS6detail15normal_iteratorINSA_10device_ptrIyEEEEPS6_SG_NS0_5tupleIJSF_S6_EEENSH_IJSG_SG_EEES6_PlJNSB_9not_fun_tI7is_trueIyEEEEEE10hipError_tPvRmT3_T4_T5_T6_T7_T9_mT8_P12ihipStream_tbDpT10_ENKUlT_T0_E_clISt17integral_constantIbLb1EES17_IbLb0EEEEDaS13_S14_EUlS13_E_NS1_11comp_targetILNS1_3genE10ELNS1_11target_archE1200ELNS1_3gpuE4ELNS1_3repE0EEENS1_30default_config_static_selectorELNS0_4arch9wavefront6targetE0EEEvT1_,comdat
.Lfunc_end1130:
	.size	_ZN7rocprim17ROCPRIM_400000_NS6detail17trampoline_kernelINS0_14default_configENS1_25partition_config_selectorILNS1_17partition_subalgoE6EyNS0_10empty_typeEbEEZZNS1_14partition_implILS5_6ELb0ES3_mN6thrust23THRUST_200600_302600_NS6detail15normal_iteratorINSA_10device_ptrIyEEEEPS6_SG_NS0_5tupleIJSF_S6_EEENSH_IJSG_SG_EEES6_PlJNSB_9not_fun_tI7is_trueIyEEEEEE10hipError_tPvRmT3_T4_T5_T6_T7_T9_mT8_P12ihipStream_tbDpT10_ENKUlT_T0_E_clISt17integral_constantIbLb1EES17_IbLb0EEEEDaS13_S14_EUlS13_E_NS1_11comp_targetILNS1_3genE10ELNS1_11target_archE1200ELNS1_3gpuE4ELNS1_3repE0EEENS1_30default_config_static_selectorELNS0_4arch9wavefront6targetE0EEEvT1_, .Lfunc_end1130-_ZN7rocprim17ROCPRIM_400000_NS6detail17trampoline_kernelINS0_14default_configENS1_25partition_config_selectorILNS1_17partition_subalgoE6EyNS0_10empty_typeEbEEZZNS1_14partition_implILS5_6ELb0ES3_mN6thrust23THRUST_200600_302600_NS6detail15normal_iteratorINSA_10device_ptrIyEEEEPS6_SG_NS0_5tupleIJSF_S6_EEENSH_IJSG_SG_EEES6_PlJNSB_9not_fun_tI7is_trueIyEEEEEE10hipError_tPvRmT3_T4_T5_T6_T7_T9_mT8_P12ihipStream_tbDpT10_ENKUlT_T0_E_clISt17integral_constantIbLb1EES17_IbLb0EEEEDaS13_S14_EUlS13_E_NS1_11comp_targetILNS1_3genE10ELNS1_11target_archE1200ELNS1_3gpuE4ELNS1_3repE0EEENS1_30default_config_static_selectorELNS0_4arch9wavefront6targetE0EEEvT1_
                                        ; -- End function
	.set _ZN7rocprim17ROCPRIM_400000_NS6detail17trampoline_kernelINS0_14default_configENS1_25partition_config_selectorILNS1_17partition_subalgoE6EyNS0_10empty_typeEbEEZZNS1_14partition_implILS5_6ELb0ES3_mN6thrust23THRUST_200600_302600_NS6detail15normal_iteratorINSA_10device_ptrIyEEEEPS6_SG_NS0_5tupleIJSF_S6_EEENSH_IJSG_SG_EEES6_PlJNSB_9not_fun_tI7is_trueIyEEEEEE10hipError_tPvRmT3_T4_T5_T6_T7_T9_mT8_P12ihipStream_tbDpT10_ENKUlT_T0_E_clISt17integral_constantIbLb1EES17_IbLb0EEEEDaS13_S14_EUlS13_E_NS1_11comp_targetILNS1_3genE10ELNS1_11target_archE1200ELNS1_3gpuE4ELNS1_3repE0EEENS1_30default_config_static_selectorELNS0_4arch9wavefront6targetE0EEEvT1_.num_vgpr, 0
	.set _ZN7rocprim17ROCPRIM_400000_NS6detail17trampoline_kernelINS0_14default_configENS1_25partition_config_selectorILNS1_17partition_subalgoE6EyNS0_10empty_typeEbEEZZNS1_14partition_implILS5_6ELb0ES3_mN6thrust23THRUST_200600_302600_NS6detail15normal_iteratorINSA_10device_ptrIyEEEEPS6_SG_NS0_5tupleIJSF_S6_EEENSH_IJSG_SG_EEES6_PlJNSB_9not_fun_tI7is_trueIyEEEEEE10hipError_tPvRmT3_T4_T5_T6_T7_T9_mT8_P12ihipStream_tbDpT10_ENKUlT_T0_E_clISt17integral_constantIbLb1EES17_IbLb0EEEEDaS13_S14_EUlS13_E_NS1_11comp_targetILNS1_3genE10ELNS1_11target_archE1200ELNS1_3gpuE4ELNS1_3repE0EEENS1_30default_config_static_selectorELNS0_4arch9wavefront6targetE0EEEvT1_.num_agpr, 0
	.set _ZN7rocprim17ROCPRIM_400000_NS6detail17trampoline_kernelINS0_14default_configENS1_25partition_config_selectorILNS1_17partition_subalgoE6EyNS0_10empty_typeEbEEZZNS1_14partition_implILS5_6ELb0ES3_mN6thrust23THRUST_200600_302600_NS6detail15normal_iteratorINSA_10device_ptrIyEEEEPS6_SG_NS0_5tupleIJSF_S6_EEENSH_IJSG_SG_EEES6_PlJNSB_9not_fun_tI7is_trueIyEEEEEE10hipError_tPvRmT3_T4_T5_T6_T7_T9_mT8_P12ihipStream_tbDpT10_ENKUlT_T0_E_clISt17integral_constantIbLb1EES17_IbLb0EEEEDaS13_S14_EUlS13_E_NS1_11comp_targetILNS1_3genE10ELNS1_11target_archE1200ELNS1_3gpuE4ELNS1_3repE0EEENS1_30default_config_static_selectorELNS0_4arch9wavefront6targetE0EEEvT1_.numbered_sgpr, 0
	.set _ZN7rocprim17ROCPRIM_400000_NS6detail17trampoline_kernelINS0_14default_configENS1_25partition_config_selectorILNS1_17partition_subalgoE6EyNS0_10empty_typeEbEEZZNS1_14partition_implILS5_6ELb0ES3_mN6thrust23THRUST_200600_302600_NS6detail15normal_iteratorINSA_10device_ptrIyEEEEPS6_SG_NS0_5tupleIJSF_S6_EEENSH_IJSG_SG_EEES6_PlJNSB_9not_fun_tI7is_trueIyEEEEEE10hipError_tPvRmT3_T4_T5_T6_T7_T9_mT8_P12ihipStream_tbDpT10_ENKUlT_T0_E_clISt17integral_constantIbLb1EES17_IbLb0EEEEDaS13_S14_EUlS13_E_NS1_11comp_targetILNS1_3genE10ELNS1_11target_archE1200ELNS1_3gpuE4ELNS1_3repE0EEENS1_30default_config_static_selectorELNS0_4arch9wavefront6targetE0EEEvT1_.num_named_barrier, 0
	.set _ZN7rocprim17ROCPRIM_400000_NS6detail17trampoline_kernelINS0_14default_configENS1_25partition_config_selectorILNS1_17partition_subalgoE6EyNS0_10empty_typeEbEEZZNS1_14partition_implILS5_6ELb0ES3_mN6thrust23THRUST_200600_302600_NS6detail15normal_iteratorINSA_10device_ptrIyEEEEPS6_SG_NS0_5tupleIJSF_S6_EEENSH_IJSG_SG_EEES6_PlJNSB_9not_fun_tI7is_trueIyEEEEEE10hipError_tPvRmT3_T4_T5_T6_T7_T9_mT8_P12ihipStream_tbDpT10_ENKUlT_T0_E_clISt17integral_constantIbLb1EES17_IbLb0EEEEDaS13_S14_EUlS13_E_NS1_11comp_targetILNS1_3genE10ELNS1_11target_archE1200ELNS1_3gpuE4ELNS1_3repE0EEENS1_30default_config_static_selectorELNS0_4arch9wavefront6targetE0EEEvT1_.private_seg_size, 0
	.set _ZN7rocprim17ROCPRIM_400000_NS6detail17trampoline_kernelINS0_14default_configENS1_25partition_config_selectorILNS1_17partition_subalgoE6EyNS0_10empty_typeEbEEZZNS1_14partition_implILS5_6ELb0ES3_mN6thrust23THRUST_200600_302600_NS6detail15normal_iteratorINSA_10device_ptrIyEEEEPS6_SG_NS0_5tupleIJSF_S6_EEENSH_IJSG_SG_EEES6_PlJNSB_9not_fun_tI7is_trueIyEEEEEE10hipError_tPvRmT3_T4_T5_T6_T7_T9_mT8_P12ihipStream_tbDpT10_ENKUlT_T0_E_clISt17integral_constantIbLb1EES17_IbLb0EEEEDaS13_S14_EUlS13_E_NS1_11comp_targetILNS1_3genE10ELNS1_11target_archE1200ELNS1_3gpuE4ELNS1_3repE0EEENS1_30default_config_static_selectorELNS0_4arch9wavefront6targetE0EEEvT1_.uses_vcc, 0
	.set _ZN7rocprim17ROCPRIM_400000_NS6detail17trampoline_kernelINS0_14default_configENS1_25partition_config_selectorILNS1_17partition_subalgoE6EyNS0_10empty_typeEbEEZZNS1_14partition_implILS5_6ELb0ES3_mN6thrust23THRUST_200600_302600_NS6detail15normal_iteratorINSA_10device_ptrIyEEEEPS6_SG_NS0_5tupleIJSF_S6_EEENSH_IJSG_SG_EEES6_PlJNSB_9not_fun_tI7is_trueIyEEEEEE10hipError_tPvRmT3_T4_T5_T6_T7_T9_mT8_P12ihipStream_tbDpT10_ENKUlT_T0_E_clISt17integral_constantIbLb1EES17_IbLb0EEEEDaS13_S14_EUlS13_E_NS1_11comp_targetILNS1_3genE10ELNS1_11target_archE1200ELNS1_3gpuE4ELNS1_3repE0EEENS1_30default_config_static_selectorELNS0_4arch9wavefront6targetE0EEEvT1_.uses_flat_scratch, 0
	.set _ZN7rocprim17ROCPRIM_400000_NS6detail17trampoline_kernelINS0_14default_configENS1_25partition_config_selectorILNS1_17partition_subalgoE6EyNS0_10empty_typeEbEEZZNS1_14partition_implILS5_6ELb0ES3_mN6thrust23THRUST_200600_302600_NS6detail15normal_iteratorINSA_10device_ptrIyEEEEPS6_SG_NS0_5tupleIJSF_S6_EEENSH_IJSG_SG_EEES6_PlJNSB_9not_fun_tI7is_trueIyEEEEEE10hipError_tPvRmT3_T4_T5_T6_T7_T9_mT8_P12ihipStream_tbDpT10_ENKUlT_T0_E_clISt17integral_constantIbLb1EES17_IbLb0EEEEDaS13_S14_EUlS13_E_NS1_11comp_targetILNS1_3genE10ELNS1_11target_archE1200ELNS1_3gpuE4ELNS1_3repE0EEENS1_30default_config_static_selectorELNS0_4arch9wavefront6targetE0EEEvT1_.has_dyn_sized_stack, 0
	.set _ZN7rocprim17ROCPRIM_400000_NS6detail17trampoline_kernelINS0_14default_configENS1_25partition_config_selectorILNS1_17partition_subalgoE6EyNS0_10empty_typeEbEEZZNS1_14partition_implILS5_6ELb0ES3_mN6thrust23THRUST_200600_302600_NS6detail15normal_iteratorINSA_10device_ptrIyEEEEPS6_SG_NS0_5tupleIJSF_S6_EEENSH_IJSG_SG_EEES6_PlJNSB_9not_fun_tI7is_trueIyEEEEEE10hipError_tPvRmT3_T4_T5_T6_T7_T9_mT8_P12ihipStream_tbDpT10_ENKUlT_T0_E_clISt17integral_constantIbLb1EES17_IbLb0EEEEDaS13_S14_EUlS13_E_NS1_11comp_targetILNS1_3genE10ELNS1_11target_archE1200ELNS1_3gpuE4ELNS1_3repE0EEENS1_30default_config_static_selectorELNS0_4arch9wavefront6targetE0EEEvT1_.has_recursion, 0
	.set _ZN7rocprim17ROCPRIM_400000_NS6detail17trampoline_kernelINS0_14default_configENS1_25partition_config_selectorILNS1_17partition_subalgoE6EyNS0_10empty_typeEbEEZZNS1_14partition_implILS5_6ELb0ES3_mN6thrust23THRUST_200600_302600_NS6detail15normal_iteratorINSA_10device_ptrIyEEEEPS6_SG_NS0_5tupleIJSF_S6_EEENSH_IJSG_SG_EEES6_PlJNSB_9not_fun_tI7is_trueIyEEEEEE10hipError_tPvRmT3_T4_T5_T6_T7_T9_mT8_P12ihipStream_tbDpT10_ENKUlT_T0_E_clISt17integral_constantIbLb1EES17_IbLb0EEEEDaS13_S14_EUlS13_E_NS1_11comp_targetILNS1_3genE10ELNS1_11target_archE1200ELNS1_3gpuE4ELNS1_3repE0EEENS1_30default_config_static_selectorELNS0_4arch9wavefront6targetE0EEEvT1_.has_indirect_call, 0
	.section	.AMDGPU.csdata,"",@progbits
; Kernel info:
; codeLenInByte = 4
; TotalNumSgprs: 0
; NumVgprs: 0
; ScratchSize: 0
; MemoryBound: 0
; FloatMode: 240
; IeeeMode: 1
; LDSByteSize: 0 bytes/workgroup (compile time only)
; SGPRBlocks: 0
; VGPRBlocks: 0
; NumSGPRsForWavesPerEU: 1
; NumVGPRsForWavesPerEU: 1
; Occupancy: 16
; WaveLimiterHint : 0
; COMPUTE_PGM_RSRC2:SCRATCH_EN: 0
; COMPUTE_PGM_RSRC2:USER_SGPR: 2
; COMPUTE_PGM_RSRC2:TRAP_HANDLER: 0
; COMPUTE_PGM_RSRC2:TGID_X_EN: 1
; COMPUTE_PGM_RSRC2:TGID_Y_EN: 0
; COMPUTE_PGM_RSRC2:TGID_Z_EN: 0
; COMPUTE_PGM_RSRC2:TIDIG_COMP_CNT: 0
	.section	.text._ZN7rocprim17ROCPRIM_400000_NS6detail17trampoline_kernelINS0_14default_configENS1_25partition_config_selectorILNS1_17partition_subalgoE6EyNS0_10empty_typeEbEEZZNS1_14partition_implILS5_6ELb0ES3_mN6thrust23THRUST_200600_302600_NS6detail15normal_iteratorINSA_10device_ptrIyEEEEPS6_SG_NS0_5tupleIJSF_S6_EEENSH_IJSG_SG_EEES6_PlJNSB_9not_fun_tI7is_trueIyEEEEEE10hipError_tPvRmT3_T4_T5_T6_T7_T9_mT8_P12ihipStream_tbDpT10_ENKUlT_T0_E_clISt17integral_constantIbLb1EES17_IbLb0EEEEDaS13_S14_EUlS13_E_NS1_11comp_targetILNS1_3genE9ELNS1_11target_archE1100ELNS1_3gpuE3ELNS1_3repE0EEENS1_30default_config_static_selectorELNS0_4arch9wavefront6targetE0EEEvT1_,"axG",@progbits,_ZN7rocprim17ROCPRIM_400000_NS6detail17trampoline_kernelINS0_14default_configENS1_25partition_config_selectorILNS1_17partition_subalgoE6EyNS0_10empty_typeEbEEZZNS1_14partition_implILS5_6ELb0ES3_mN6thrust23THRUST_200600_302600_NS6detail15normal_iteratorINSA_10device_ptrIyEEEEPS6_SG_NS0_5tupleIJSF_S6_EEENSH_IJSG_SG_EEES6_PlJNSB_9not_fun_tI7is_trueIyEEEEEE10hipError_tPvRmT3_T4_T5_T6_T7_T9_mT8_P12ihipStream_tbDpT10_ENKUlT_T0_E_clISt17integral_constantIbLb1EES17_IbLb0EEEEDaS13_S14_EUlS13_E_NS1_11comp_targetILNS1_3genE9ELNS1_11target_archE1100ELNS1_3gpuE3ELNS1_3repE0EEENS1_30default_config_static_selectorELNS0_4arch9wavefront6targetE0EEEvT1_,comdat
	.protected	_ZN7rocprim17ROCPRIM_400000_NS6detail17trampoline_kernelINS0_14default_configENS1_25partition_config_selectorILNS1_17partition_subalgoE6EyNS0_10empty_typeEbEEZZNS1_14partition_implILS5_6ELb0ES3_mN6thrust23THRUST_200600_302600_NS6detail15normal_iteratorINSA_10device_ptrIyEEEEPS6_SG_NS0_5tupleIJSF_S6_EEENSH_IJSG_SG_EEES6_PlJNSB_9not_fun_tI7is_trueIyEEEEEE10hipError_tPvRmT3_T4_T5_T6_T7_T9_mT8_P12ihipStream_tbDpT10_ENKUlT_T0_E_clISt17integral_constantIbLb1EES17_IbLb0EEEEDaS13_S14_EUlS13_E_NS1_11comp_targetILNS1_3genE9ELNS1_11target_archE1100ELNS1_3gpuE3ELNS1_3repE0EEENS1_30default_config_static_selectorELNS0_4arch9wavefront6targetE0EEEvT1_ ; -- Begin function _ZN7rocprim17ROCPRIM_400000_NS6detail17trampoline_kernelINS0_14default_configENS1_25partition_config_selectorILNS1_17partition_subalgoE6EyNS0_10empty_typeEbEEZZNS1_14partition_implILS5_6ELb0ES3_mN6thrust23THRUST_200600_302600_NS6detail15normal_iteratorINSA_10device_ptrIyEEEEPS6_SG_NS0_5tupleIJSF_S6_EEENSH_IJSG_SG_EEES6_PlJNSB_9not_fun_tI7is_trueIyEEEEEE10hipError_tPvRmT3_T4_T5_T6_T7_T9_mT8_P12ihipStream_tbDpT10_ENKUlT_T0_E_clISt17integral_constantIbLb1EES17_IbLb0EEEEDaS13_S14_EUlS13_E_NS1_11comp_targetILNS1_3genE9ELNS1_11target_archE1100ELNS1_3gpuE3ELNS1_3repE0EEENS1_30default_config_static_selectorELNS0_4arch9wavefront6targetE0EEEvT1_
	.globl	_ZN7rocprim17ROCPRIM_400000_NS6detail17trampoline_kernelINS0_14default_configENS1_25partition_config_selectorILNS1_17partition_subalgoE6EyNS0_10empty_typeEbEEZZNS1_14partition_implILS5_6ELb0ES3_mN6thrust23THRUST_200600_302600_NS6detail15normal_iteratorINSA_10device_ptrIyEEEEPS6_SG_NS0_5tupleIJSF_S6_EEENSH_IJSG_SG_EEES6_PlJNSB_9not_fun_tI7is_trueIyEEEEEE10hipError_tPvRmT3_T4_T5_T6_T7_T9_mT8_P12ihipStream_tbDpT10_ENKUlT_T0_E_clISt17integral_constantIbLb1EES17_IbLb0EEEEDaS13_S14_EUlS13_E_NS1_11comp_targetILNS1_3genE9ELNS1_11target_archE1100ELNS1_3gpuE3ELNS1_3repE0EEENS1_30default_config_static_selectorELNS0_4arch9wavefront6targetE0EEEvT1_
	.p2align	8
	.type	_ZN7rocprim17ROCPRIM_400000_NS6detail17trampoline_kernelINS0_14default_configENS1_25partition_config_selectorILNS1_17partition_subalgoE6EyNS0_10empty_typeEbEEZZNS1_14partition_implILS5_6ELb0ES3_mN6thrust23THRUST_200600_302600_NS6detail15normal_iteratorINSA_10device_ptrIyEEEEPS6_SG_NS0_5tupleIJSF_S6_EEENSH_IJSG_SG_EEES6_PlJNSB_9not_fun_tI7is_trueIyEEEEEE10hipError_tPvRmT3_T4_T5_T6_T7_T9_mT8_P12ihipStream_tbDpT10_ENKUlT_T0_E_clISt17integral_constantIbLb1EES17_IbLb0EEEEDaS13_S14_EUlS13_E_NS1_11comp_targetILNS1_3genE9ELNS1_11target_archE1100ELNS1_3gpuE3ELNS1_3repE0EEENS1_30default_config_static_selectorELNS0_4arch9wavefront6targetE0EEEvT1_,@function
_ZN7rocprim17ROCPRIM_400000_NS6detail17trampoline_kernelINS0_14default_configENS1_25partition_config_selectorILNS1_17partition_subalgoE6EyNS0_10empty_typeEbEEZZNS1_14partition_implILS5_6ELb0ES3_mN6thrust23THRUST_200600_302600_NS6detail15normal_iteratorINSA_10device_ptrIyEEEEPS6_SG_NS0_5tupleIJSF_S6_EEENSH_IJSG_SG_EEES6_PlJNSB_9not_fun_tI7is_trueIyEEEEEE10hipError_tPvRmT3_T4_T5_T6_T7_T9_mT8_P12ihipStream_tbDpT10_ENKUlT_T0_E_clISt17integral_constantIbLb1EES17_IbLb0EEEEDaS13_S14_EUlS13_E_NS1_11comp_targetILNS1_3genE9ELNS1_11target_archE1100ELNS1_3gpuE3ELNS1_3repE0EEENS1_30default_config_static_selectorELNS0_4arch9wavefront6targetE0EEEvT1_: ; @_ZN7rocprim17ROCPRIM_400000_NS6detail17trampoline_kernelINS0_14default_configENS1_25partition_config_selectorILNS1_17partition_subalgoE6EyNS0_10empty_typeEbEEZZNS1_14partition_implILS5_6ELb0ES3_mN6thrust23THRUST_200600_302600_NS6detail15normal_iteratorINSA_10device_ptrIyEEEEPS6_SG_NS0_5tupleIJSF_S6_EEENSH_IJSG_SG_EEES6_PlJNSB_9not_fun_tI7is_trueIyEEEEEE10hipError_tPvRmT3_T4_T5_T6_T7_T9_mT8_P12ihipStream_tbDpT10_ENKUlT_T0_E_clISt17integral_constantIbLb1EES17_IbLb0EEEEDaS13_S14_EUlS13_E_NS1_11comp_targetILNS1_3genE9ELNS1_11target_archE1100ELNS1_3gpuE3ELNS1_3repE0EEENS1_30default_config_static_selectorELNS0_4arch9wavefront6targetE0EEEvT1_
; %bb.0:
	.section	.rodata,"a",@progbits
	.p2align	6, 0x0
	.amdhsa_kernel _ZN7rocprim17ROCPRIM_400000_NS6detail17trampoline_kernelINS0_14default_configENS1_25partition_config_selectorILNS1_17partition_subalgoE6EyNS0_10empty_typeEbEEZZNS1_14partition_implILS5_6ELb0ES3_mN6thrust23THRUST_200600_302600_NS6detail15normal_iteratorINSA_10device_ptrIyEEEEPS6_SG_NS0_5tupleIJSF_S6_EEENSH_IJSG_SG_EEES6_PlJNSB_9not_fun_tI7is_trueIyEEEEEE10hipError_tPvRmT3_T4_T5_T6_T7_T9_mT8_P12ihipStream_tbDpT10_ENKUlT_T0_E_clISt17integral_constantIbLb1EES17_IbLb0EEEEDaS13_S14_EUlS13_E_NS1_11comp_targetILNS1_3genE9ELNS1_11target_archE1100ELNS1_3gpuE3ELNS1_3repE0EEENS1_30default_config_static_selectorELNS0_4arch9wavefront6targetE0EEEvT1_
		.amdhsa_group_segment_fixed_size 0
		.amdhsa_private_segment_fixed_size 0
		.amdhsa_kernarg_size 112
		.amdhsa_user_sgpr_count 2
		.amdhsa_user_sgpr_dispatch_ptr 0
		.amdhsa_user_sgpr_queue_ptr 0
		.amdhsa_user_sgpr_kernarg_segment_ptr 1
		.amdhsa_user_sgpr_dispatch_id 0
		.amdhsa_user_sgpr_private_segment_size 0
		.amdhsa_wavefront_size32 1
		.amdhsa_uses_dynamic_stack 0
		.amdhsa_enable_private_segment 0
		.amdhsa_system_sgpr_workgroup_id_x 1
		.amdhsa_system_sgpr_workgroup_id_y 0
		.amdhsa_system_sgpr_workgroup_id_z 0
		.amdhsa_system_sgpr_workgroup_info 0
		.amdhsa_system_vgpr_workitem_id 0
		.amdhsa_next_free_vgpr 1
		.amdhsa_next_free_sgpr 1
		.amdhsa_reserve_vcc 0
		.amdhsa_float_round_mode_32 0
		.amdhsa_float_round_mode_16_64 0
		.amdhsa_float_denorm_mode_32 3
		.amdhsa_float_denorm_mode_16_64 3
		.amdhsa_fp16_overflow 0
		.amdhsa_workgroup_processor_mode 1
		.amdhsa_memory_ordered 1
		.amdhsa_forward_progress 1
		.amdhsa_inst_pref_size 0
		.amdhsa_round_robin_scheduling 0
		.amdhsa_exception_fp_ieee_invalid_op 0
		.amdhsa_exception_fp_denorm_src 0
		.amdhsa_exception_fp_ieee_div_zero 0
		.amdhsa_exception_fp_ieee_overflow 0
		.amdhsa_exception_fp_ieee_underflow 0
		.amdhsa_exception_fp_ieee_inexact 0
		.amdhsa_exception_int_div_zero 0
	.end_amdhsa_kernel
	.section	.text._ZN7rocprim17ROCPRIM_400000_NS6detail17trampoline_kernelINS0_14default_configENS1_25partition_config_selectorILNS1_17partition_subalgoE6EyNS0_10empty_typeEbEEZZNS1_14partition_implILS5_6ELb0ES3_mN6thrust23THRUST_200600_302600_NS6detail15normal_iteratorINSA_10device_ptrIyEEEEPS6_SG_NS0_5tupleIJSF_S6_EEENSH_IJSG_SG_EEES6_PlJNSB_9not_fun_tI7is_trueIyEEEEEE10hipError_tPvRmT3_T4_T5_T6_T7_T9_mT8_P12ihipStream_tbDpT10_ENKUlT_T0_E_clISt17integral_constantIbLb1EES17_IbLb0EEEEDaS13_S14_EUlS13_E_NS1_11comp_targetILNS1_3genE9ELNS1_11target_archE1100ELNS1_3gpuE3ELNS1_3repE0EEENS1_30default_config_static_selectorELNS0_4arch9wavefront6targetE0EEEvT1_,"axG",@progbits,_ZN7rocprim17ROCPRIM_400000_NS6detail17trampoline_kernelINS0_14default_configENS1_25partition_config_selectorILNS1_17partition_subalgoE6EyNS0_10empty_typeEbEEZZNS1_14partition_implILS5_6ELb0ES3_mN6thrust23THRUST_200600_302600_NS6detail15normal_iteratorINSA_10device_ptrIyEEEEPS6_SG_NS0_5tupleIJSF_S6_EEENSH_IJSG_SG_EEES6_PlJNSB_9not_fun_tI7is_trueIyEEEEEE10hipError_tPvRmT3_T4_T5_T6_T7_T9_mT8_P12ihipStream_tbDpT10_ENKUlT_T0_E_clISt17integral_constantIbLb1EES17_IbLb0EEEEDaS13_S14_EUlS13_E_NS1_11comp_targetILNS1_3genE9ELNS1_11target_archE1100ELNS1_3gpuE3ELNS1_3repE0EEENS1_30default_config_static_selectorELNS0_4arch9wavefront6targetE0EEEvT1_,comdat
.Lfunc_end1131:
	.size	_ZN7rocprim17ROCPRIM_400000_NS6detail17trampoline_kernelINS0_14default_configENS1_25partition_config_selectorILNS1_17partition_subalgoE6EyNS0_10empty_typeEbEEZZNS1_14partition_implILS5_6ELb0ES3_mN6thrust23THRUST_200600_302600_NS6detail15normal_iteratorINSA_10device_ptrIyEEEEPS6_SG_NS0_5tupleIJSF_S6_EEENSH_IJSG_SG_EEES6_PlJNSB_9not_fun_tI7is_trueIyEEEEEE10hipError_tPvRmT3_T4_T5_T6_T7_T9_mT8_P12ihipStream_tbDpT10_ENKUlT_T0_E_clISt17integral_constantIbLb1EES17_IbLb0EEEEDaS13_S14_EUlS13_E_NS1_11comp_targetILNS1_3genE9ELNS1_11target_archE1100ELNS1_3gpuE3ELNS1_3repE0EEENS1_30default_config_static_selectorELNS0_4arch9wavefront6targetE0EEEvT1_, .Lfunc_end1131-_ZN7rocprim17ROCPRIM_400000_NS6detail17trampoline_kernelINS0_14default_configENS1_25partition_config_selectorILNS1_17partition_subalgoE6EyNS0_10empty_typeEbEEZZNS1_14partition_implILS5_6ELb0ES3_mN6thrust23THRUST_200600_302600_NS6detail15normal_iteratorINSA_10device_ptrIyEEEEPS6_SG_NS0_5tupleIJSF_S6_EEENSH_IJSG_SG_EEES6_PlJNSB_9not_fun_tI7is_trueIyEEEEEE10hipError_tPvRmT3_T4_T5_T6_T7_T9_mT8_P12ihipStream_tbDpT10_ENKUlT_T0_E_clISt17integral_constantIbLb1EES17_IbLb0EEEEDaS13_S14_EUlS13_E_NS1_11comp_targetILNS1_3genE9ELNS1_11target_archE1100ELNS1_3gpuE3ELNS1_3repE0EEENS1_30default_config_static_selectorELNS0_4arch9wavefront6targetE0EEEvT1_
                                        ; -- End function
	.set _ZN7rocprim17ROCPRIM_400000_NS6detail17trampoline_kernelINS0_14default_configENS1_25partition_config_selectorILNS1_17partition_subalgoE6EyNS0_10empty_typeEbEEZZNS1_14partition_implILS5_6ELb0ES3_mN6thrust23THRUST_200600_302600_NS6detail15normal_iteratorINSA_10device_ptrIyEEEEPS6_SG_NS0_5tupleIJSF_S6_EEENSH_IJSG_SG_EEES6_PlJNSB_9not_fun_tI7is_trueIyEEEEEE10hipError_tPvRmT3_T4_T5_T6_T7_T9_mT8_P12ihipStream_tbDpT10_ENKUlT_T0_E_clISt17integral_constantIbLb1EES17_IbLb0EEEEDaS13_S14_EUlS13_E_NS1_11comp_targetILNS1_3genE9ELNS1_11target_archE1100ELNS1_3gpuE3ELNS1_3repE0EEENS1_30default_config_static_selectorELNS0_4arch9wavefront6targetE0EEEvT1_.num_vgpr, 0
	.set _ZN7rocprim17ROCPRIM_400000_NS6detail17trampoline_kernelINS0_14default_configENS1_25partition_config_selectorILNS1_17partition_subalgoE6EyNS0_10empty_typeEbEEZZNS1_14partition_implILS5_6ELb0ES3_mN6thrust23THRUST_200600_302600_NS6detail15normal_iteratorINSA_10device_ptrIyEEEEPS6_SG_NS0_5tupleIJSF_S6_EEENSH_IJSG_SG_EEES6_PlJNSB_9not_fun_tI7is_trueIyEEEEEE10hipError_tPvRmT3_T4_T5_T6_T7_T9_mT8_P12ihipStream_tbDpT10_ENKUlT_T0_E_clISt17integral_constantIbLb1EES17_IbLb0EEEEDaS13_S14_EUlS13_E_NS1_11comp_targetILNS1_3genE9ELNS1_11target_archE1100ELNS1_3gpuE3ELNS1_3repE0EEENS1_30default_config_static_selectorELNS0_4arch9wavefront6targetE0EEEvT1_.num_agpr, 0
	.set _ZN7rocprim17ROCPRIM_400000_NS6detail17trampoline_kernelINS0_14default_configENS1_25partition_config_selectorILNS1_17partition_subalgoE6EyNS0_10empty_typeEbEEZZNS1_14partition_implILS5_6ELb0ES3_mN6thrust23THRUST_200600_302600_NS6detail15normal_iteratorINSA_10device_ptrIyEEEEPS6_SG_NS0_5tupleIJSF_S6_EEENSH_IJSG_SG_EEES6_PlJNSB_9not_fun_tI7is_trueIyEEEEEE10hipError_tPvRmT3_T4_T5_T6_T7_T9_mT8_P12ihipStream_tbDpT10_ENKUlT_T0_E_clISt17integral_constantIbLb1EES17_IbLb0EEEEDaS13_S14_EUlS13_E_NS1_11comp_targetILNS1_3genE9ELNS1_11target_archE1100ELNS1_3gpuE3ELNS1_3repE0EEENS1_30default_config_static_selectorELNS0_4arch9wavefront6targetE0EEEvT1_.numbered_sgpr, 0
	.set _ZN7rocprim17ROCPRIM_400000_NS6detail17trampoline_kernelINS0_14default_configENS1_25partition_config_selectorILNS1_17partition_subalgoE6EyNS0_10empty_typeEbEEZZNS1_14partition_implILS5_6ELb0ES3_mN6thrust23THRUST_200600_302600_NS6detail15normal_iteratorINSA_10device_ptrIyEEEEPS6_SG_NS0_5tupleIJSF_S6_EEENSH_IJSG_SG_EEES6_PlJNSB_9not_fun_tI7is_trueIyEEEEEE10hipError_tPvRmT3_T4_T5_T6_T7_T9_mT8_P12ihipStream_tbDpT10_ENKUlT_T0_E_clISt17integral_constantIbLb1EES17_IbLb0EEEEDaS13_S14_EUlS13_E_NS1_11comp_targetILNS1_3genE9ELNS1_11target_archE1100ELNS1_3gpuE3ELNS1_3repE0EEENS1_30default_config_static_selectorELNS0_4arch9wavefront6targetE0EEEvT1_.num_named_barrier, 0
	.set _ZN7rocprim17ROCPRIM_400000_NS6detail17trampoline_kernelINS0_14default_configENS1_25partition_config_selectorILNS1_17partition_subalgoE6EyNS0_10empty_typeEbEEZZNS1_14partition_implILS5_6ELb0ES3_mN6thrust23THRUST_200600_302600_NS6detail15normal_iteratorINSA_10device_ptrIyEEEEPS6_SG_NS0_5tupleIJSF_S6_EEENSH_IJSG_SG_EEES6_PlJNSB_9not_fun_tI7is_trueIyEEEEEE10hipError_tPvRmT3_T4_T5_T6_T7_T9_mT8_P12ihipStream_tbDpT10_ENKUlT_T0_E_clISt17integral_constantIbLb1EES17_IbLb0EEEEDaS13_S14_EUlS13_E_NS1_11comp_targetILNS1_3genE9ELNS1_11target_archE1100ELNS1_3gpuE3ELNS1_3repE0EEENS1_30default_config_static_selectorELNS0_4arch9wavefront6targetE0EEEvT1_.private_seg_size, 0
	.set _ZN7rocprim17ROCPRIM_400000_NS6detail17trampoline_kernelINS0_14default_configENS1_25partition_config_selectorILNS1_17partition_subalgoE6EyNS0_10empty_typeEbEEZZNS1_14partition_implILS5_6ELb0ES3_mN6thrust23THRUST_200600_302600_NS6detail15normal_iteratorINSA_10device_ptrIyEEEEPS6_SG_NS0_5tupleIJSF_S6_EEENSH_IJSG_SG_EEES6_PlJNSB_9not_fun_tI7is_trueIyEEEEEE10hipError_tPvRmT3_T4_T5_T6_T7_T9_mT8_P12ihipStream_tbDpT10_ENKUlT_T0_E_clISt17integral_constantIbLb1EES17_IbLb0EEEEDaS13_S14_EUlS13_E_NS1_11comp_targetILNS1_3genE9ELNS1_11target_archE1100ELNS1_3gpuE3ELNS1_3repE0EEENS1_30default_config_static_selectorELNS0_4arch9wavefront6targetE0EEEvT1_.uses_vcc, 0
	.set _ZN7rocprim17ROCPRIM_400000_NS6detail17trampoline_kernelINS0_14default_configENS1_25partition_config_selectorILNS1_17partition_subalgoE6EyNS0_10empty_typeEbEEZZNS1_14partition_implILS5_6ELb0ES3_mN6thrust23THRUST_200600_302600_NS6detail15normal_iteratorINSA_10device_ptrIyEEEEPS6_SG_NS0_5tupleIJSF_S6_EEENSH_IJSG_SG_EEES6_PlJNSB_9not_fun_tI7is_trueIyEEEEEE10hipError_tPvRmT3_T4_T5_T6_T7_T9_mT8_P12ihipStream_tbDpT10_ENKUlT_T0_E_clISt17integral_constantIbLb1EES17_IbLb0EEEEDaS13_S14_EUlS13_E_NS1_11comp_targetILNS1_3genE9ELNS1_11target_archE1100ELNS1_3gpuE3ELNS1_3repE0EEENS1_30default_config_static_selectorELNS0_4arch9wavefront6targetE0EEEvT1_.uses_flat_scratch, 0
	.set _ZN7rocprim17ROCPRIM_400000_NS6detail17trampoline_kernelINS0_14default_configENS1_25partition_config_selectorILNS1_17partition_subalgoE6EyNS0_10empty_typeEbEEZZNS1_14partition_implILS5_6ELb0ES3_mN6thrust23THRUST_200600_302600_NS6detail15normal_iteratorINSA_10device_ptrIyEEEEPS6_SG_NS0_5tupleIJSF_S6_EEENSH_IJSG_SG_EEES6_PlJNSB_9not_fun_tI7is_trueIyEEEEEE10hipError_tPvRmT3_T4_T5_T6_T7_T9_mT8_P12ihipStream_tbDpT10_ENKUlT_T0_E_clISt17integral_constantIbLb1EES17_IbLb0EEEEDaS13_S14_EUlS13_E_NS1_11comp_targetILNS1_3genE9ELNS1_11target_archE1100ELNS1_3gpuE3ELNS1_3repE0EEENS1_30default_config_static_selectorELNS0_4arch9wavefront6targetE0EEEvT1_.has_dyn_sized_stack, 0
	.set _ZN7rocprim17ROCPRIM_400000_NS6detail17trampoline_kernelINS0_14default_configENS1_25partition_config_selectorILNS1_17partition_subalgoE6EyNS0_10empty_typeEbEEZZNS1_14partition_implILS5_6ELb0ES3_mN6thrust23THRUST_200600_302600_NS6detail15normal_iteratorINSA_10device_ptrIyEEEEPS6_SG_NS0_5tupleIJSF_S6_EEENSH_IJSG_SG_EEES6_PlJNSB_9not_fun_tI7is_trueIyEEEEEE10hipError_tPvRmT3_T4_T5_T6_T7_T9_mT8_P12ihipStream_tbDpT10_ENKUlT_T0_E_clISt17integral_constantIbLb1EES17_IbLb0EEEEDaS13_S14_EUlS13_E_NS1_11comp_targetILNS1_3genE9ELNS1_11target_archE1100ELNS1_3gpuE3ELNS1_3repE0EEENS1_30default_config_static_selectorELNS0_4arch9wavefront6targetE0EEEvT1_.has_recursion, 0
	.set _ZN7rocprim17ROCPRIM_400000_NS6detail17trampoline_kernelINS0_14default_configENS1_25partition_config_selectorILNS1_17partition_subalgoE6EyNS0_10empty_typeEbEEZZNS1_14partition_implILS5_6ELb0ES3_mN6thrust23THRUST_200600_302600_NS6detail15normal_iteratorINSA_10device_ptrIyEEEEPS6_SG_NS0_5tupleIJSF_S6_EEENSH_IJSG_SG_EEES6_PlJNSB_9not_fun_tI7is_trueIyEEEEEE10hipError_tPvRmT3_T4_T5_T6_T7_T9_mT8_P12ihipStream_tbDpT10_ENKUlT_T0_E_clISt17integral_constantIbLb1EES17_IbLb0EEEEDaS13_S14_EUlS13_E_NS1_11comp_targetILNS1_3genE9ELNS1_11target_archE1100ELNS1_3gpuE3ELNS1_3repE0EEENS1_30default_config_static_selectorELNS0_4arch9wavefront6targetE0EEEvT1_.has_indirect_call, 0
	.section	.AMDGPU.csdata,"",@progbits
; Kernel info:
; codeLenInByte = 0
; TotalNumSgprs: 0
; NumVgprs: 0
; ScratchSize: 0
; MemoryBound: 0
; FloatMode: 240
; IeeeMode: 1
; LDSByteSize: 0 bytes/workgroup (compile time only)
; SGPRBlocks: 0
; VGPRBlocks: 0
; NumSGPRsForWavesPerEU: 1
; NumVGPRsForWavesPerEU: 1
; Occupancy: 16
; WaveLimiterHint : 0
; COMPUTE_PGM_RSRC2:SCRATCH_EN: 0
; COMPUTE_PGM_RSRC2:USER_SGPR: 2
; COMPUTE_PGM_RSRC2:TRAP_HANDLER: 0
; COMPUTE_PGM_RSRC2:TGID_X_EN: 1
; COMPUTE_PGM_RSRC2:TGID_Y_EN: 0
; COMPUTE_PGM_RSRC2:TGID_Z_EN: 0
; COMPUTE_PGM_RSRC2:TIDIG_COMP_CNT: 0
	.section	.text._ZN7rocprim17ROCPRIM_400000_NS6detail17trampoline_kernelINS0_14default_configENS1_25partition_config_selectorILNS1_17partition_subalgoE6EyNS0_10empty_typeEbEEZZNS1_14partition_implILS5_6ELb0ES3_mN6thrust23THRUST_200600_302600_NS6detail15normal_iteratorINSA_10device_ptrIyEEEEPS6_SG_NS0_5tupleIJSF_S6_EEENSH_IJSG_SG_EEES6_PlJNSB_9not_fun_tI7is_trueIyEEEEEE10hipError_tPvRmT3_T4_T5_T6_T7_T9_mT8_P12ihipStream_tbDpT10_ENKUlT_T0_E_clISt17integral_constantIbLb1EES17_IbLb0EEEEDaS13_S14_EUlS13_E_NS1_11comp_targetILNS1_3genE8ELNS1_11target_archE1030ELNS1_3gpuE2ELNS1_3repE0EEENS1_30default_config_static_selectorELNS0_4arch9wavefront6targetE0EEEvT1_,"axG",@progbits,_ZN7rocprim17ROCPRIM_400000_NS6detail17trampoline_kernelINS0_14default_configENS1_25partition_config_selectorILNS1_17partition_subalgoE6EyNS0_10empty_typeEbEEZZNS1_14partition_implILS5_6ELb0ES3_mN6thrust23THRUST_200600_302600_NS6detail15normal_iteratorINSA_10device_ptrIyEEEEPS6_SG_NS0_5tupleIJSF_S6_EEENSH_IJSG_SG_EEES6_PlJNSB_9not_fun_tI7is_trueIyEEEEEE10hipError_tPvRmT3_T4_T5_T6_T7_T9_mT8_P12ihipStream_tbDpT10_ENKUlT_T0_E_clISt17integral_constantIbLb1EES17_IbLb0EEEEDaS13_S14_EUlS13_E_NS1_11comp_targetILNS1_3genE8ELNS1_11target_archE1030ELNS1_3gpuE2ELNS1_3repE0EEENS1_30default_config_static_selectorELNS0_4arch9wavefront6targetE0EEEvT1_,comdat
	.protected	_ZN7rocprim17ROCPRIM_400000_NS6detail17trampoline_kernelINS0_14default_configENS1_25partition_config_selectorILNS1_17partition_subalgoE6EyNS0_10empty_typeEbEEZZNS1_14partition_implILS5_6ELb0ES3_mN6thrust23THRUST_200600_302600_NS6detail15normal_iteratorINSA_10device_ptrIyEEEEPS6_SG_NS0_5tupleIJSF_S6_EEENSH_IJSG_SG_EEES6_PlJNSB_9not_fun_tI7is_trueIyEEEEEE10hipError_tPvRmT3_T4_T5_T6_T7_T9_mT8_P12ihipStream_tbDpT10_ENKUlT_T0_E_clISt17integral_constantIbLb1EES17_IbLb0EEEEDaS13_S14_EUlS13_E_NS1_11comp_targetILNS1_3genE8ELNS1_11target_archE1030ELNS1_3gpuE2ELNS1_3repE0EEENS1_30default_config_static_selectorELNS0_4arch9wavefront6targetE0EEEvT1_ ; -- Begin function _ZN7rocprim17ROCPRIM_400000_NS6detail17trampoline_kernelINS0_14default_configENS1_25partition_config_selectorILNS1_17partition_subalgoE6EyNS0_10empty_typeEbEEZZNS1_14partition_implILS5_6ELb0ES3_mN6thrust23THRUST_200600_302600_NS6detail15normal_iteratorINSA_10device_ptrIyEEEEPS6_SG_NS0_5tupleIJSF_S6_EEENSH_IJSG_SG_EEES6_PlJNSB_9not_fun_tI7is_trueIyEEEEEE10hipError_tPvRmT3_T4_T5_T6_T7_T9_mT8_P12ihipStream_tbDpT10_ENKUlT_T0_E_clISt17integral_constantIbLb1EES17_IbLb0EEEEDaS13_S14_EUlS13_E_NS1_11comp_targetILNS1_3genE8ELNS1_11target_archE1030ELNS1_3gpuE2ELNS1_3repE0EEENS1_30default_config_static_selectorELNS0_4arch9wavefront6targetE0EEEvT1_
	.globl	_ZN7rocprim17ROCPRIM_400000_NS6detail17trampoline_kernelINS0_14default_configENS1_25partition_config_selectorILNS1_17partition_subalgoE6EyNS0_10empty_typeEbEEZZNS1_14partition_implILS5_6ELb0ES3_mN6thrust23THRUST_200600_302600_NS6detail15normal_iteratorINSA_10device_ptrIyEEEEPS6_SG_NS0_5tupleIJSF_S6_EEENSH_IJSG_SG_EEES6_PlJNSB_9not_fun_tI7is_trueIyEEEEEE10hipError_tPvRmT3_T4_T5_T6_T7_T9_mT8_P12ihipStream_tbDpT10_ENKUlT_T0_E_clISt17integral_constantIbLb1EES17_IbLb0EEEEDaS13_S14_EUlS13_E_NS1_11comp_targetILNS1_3genE8ELNS1_11target_archE1030ELNS1_3gpuE2ELNS1_3repE0EEENS1_30default_config_static_selectorELNS0_4arch9wavefront6targetE0EEEvT1_
	.p2align	8
	.type	_ZN7rocprim17ROCPRIM_400000_NS6detail17trampoline_kernelINS0_14default_configENS1_25partition_config_selectorILNS1_17partition_subalgoE6EyNS0_10empty_typeEbEEZZNS1_14partition_implILS5_6ELb0ES3_mN6thrust23THRUST_200600_302600_NS6detail15normal_iteratorINSA_10device_ptrIyEEEEPS6_SG_NS0_5tupleIJSF_S6_EEENSH_IJSG_SG_EEES6_PlJNSB_9not_fun_tI7is_trueIyEEEEEE10hipError_tPvRmT3_T4_T5_T6_T7_T9_mT8_P12ihipStream_tbDpT10_ENKUlT_T0_E_clISt17integral_constantIbLb1EES17_IbLb0EEEEDaS13_S14_EUlS13_E_NS1_11comp_targetILNS1_3genE8ELNS1_11target_archE1030ELNS1_3gpuE2ELNS1_3repE0EEENS1_30default_config_static_selectorELNS0_4arch9wavefront6targetE0EEEvT1_,@function
_ZN7rocprim17ROCPRIM_400000_NS6detail17trampoline_kernelINS0_14default_configENS1_25partition_config_selectorILNS1_17partition_subalgoE6EyNS0_10empty_typeEbEEZZNS1_14partition_implILS5_6ELb0ES3_mN6thrust23THRUST_200600_302600_NS6detail15normal_iteratorINSA_10device_ptrIyEEEEPS6_SG_NS0_5tupleIJSF_S6_EEENSH_IJSG_SG_EEES6_PlJNSB_9not_fun_tI7is_trueIyEEEEEE10hipError_tPvRmT3_T4_T5_T6_T7_T9_mT8_P12ihipStream_tbDpT10_ENKUlT_T0_E_clISt17integral_constantIbLb1EES17_IbLb0EEEEDaS13_S14_EUlS13_E_NS1_11comp_targetILNS1_3genE8ELNS1_11target_archE1030ELNS1_3gpuE2ELNS1_3repE0EEENS1_30default_config_static_selectorELNS0_4arch9wavefront6targetE0EEEvT1_: ; @_ZN7rocprim17ROCPRIM_400000_NS6detail17trampoline_kernelINS0_14default_configENS1_25partition_config_selectorILNS1_17partition_subalgoE6EyNS0_10empty_typeEbEEZZNS1_14partition_implILS5_6ELb0ES3_mN6thrust23THRUST_200600_302600_NS6detail15normal_iteratorINSA_10device_ptrIyEEEEPS6_SG_NS0_5tupleIJSF_S6_EEENSH_IJSG_SG_EEES6_PlJNSB_9not_fun_tI7is_trueIyEEEEEE10hipError_tPvRmT3_T4_T5_T6_T7_T9_mT8_P12ihipStream_tbDpT10_ENKUlT_T0_E_clISt17integral_constantIbLb1EES17_IbLb0EEEEDaS13_S14_EUlS13_E_NS1_11comp_targetILNS1_3genE8ELNS1_11target_archE1030ELNS1_3gpuE2ELNS1_3repE0EEENS1_30default_config_static_selectorELNS0_4arch9wavefront6targetE0EEEvT1_
; %bb.0:
	.section	.rodata,"a",@progbits
	.p2align	6, 0x0
	.amdhsa_kernel _ZN7rocprim17ROCPRIM_400000_NS6detail17trampoline_kernelINS0_14default_configENS1_25partition_config_selectorILNS1_17partition_subalgoE6EyNS0_10empty_typeEbEEZZNS1_14partition_implILS5_6ELb0ES3_mN6thrust23THRUST_200600_302600_NS6detail15normal_iteratorINSA_10device_ptrIyEEEEPS6_SG_NS0_5tupleIJSF_S6_EEENSH_IJSG_SG_EEES6_PlJNSB_9not_fun_tI7is_trueIyEEEEEE10hipError_tPvRmT3_T4_T5_T6_T7_T9_mT8_P12ihipStream_tbDpT10_ENKUlT_T0_E_clISt17integral_constantIbLb1EES17_IbLb0EEEEDaS13_S14_EUlS13_E_NS1_11comp_targetILNS1_3genE8ELNS1_11target_archE1030ELNS1_3gpuE2ELNS1_3repE0EEENS1_30default_config_static_selectorELNS0_4arch9wavefront6targetE0EEEvT1_
		.amdhsa_group_segment_fixed_size 0
		.amdhsa_private_segment_fixed_size 0
		.amdhsa_kernarg_size 112
		.amdhsa_user_sgpr_count 2
		.amdhsa_user_sgpr_dispatch_ptr 0
		.amdhsa_user_sgpr_queue_ptr 0
		.amdhsa_user_sgpr_kernarg_segment_ptr 1
		.amdhsa_user_sgpr_dispatch_id 0
		.amdhsa_user_sgpr_private_segment_size 0
		.amdhsa_wavefront_size32 1
		.amdhsa_uses_dynamic_stack 0
		.amdhsa_enable_private_segment 0
		.amdhsa_system_sgpr_workgroup_id_x 1
		.amdhsa_system_sgpr_workgroup_id_y 0
		.amdhsa_system_sgpr_workgroup_id_z 0
		.amdhsa_system_sgpr_workgroup_info 0
		.amdhsa_system_vgpr_workitem_id 0
		.amdhsa_next_free_vgpr 1
		.amdhsa_next_free_sgpr 1
		.amdhsa_reserve_vcc 0
		.amdhsa_float_round_mode_32 0
		.amdhsa_float_round_mode_16_64 0
		.amdhsa_float_denorm_mode_32 3
		.amdhsa_float_denorm_mode_16_64 3
		.amdhsa_fp16_overflow 0
		.amdhsa_workgroup_processor_mode 1
		.amdhsa_memory_ordered 1
		.amdhsa_forward_progress 1
		.amdhsa_inst_pref_size 0
		.amdhsa_round_robin_scheduling 0
		.amdhsa_exception_fp_ieee_invalid_op 0
		.amdhsa_exception_fp_denorm_src 0
		.amdhsa_exception_fp_ieee_div_zero 0
		.amdhsa_exception_fp_ieee_overflow 0
		.amdhsa_exception_fp_ieee_underflow 0
		.amdhsa_exception_fp_ieee_inexact 0
		.amdhsa_exception_int_div_zero 0
	.end_amdhsa_kernel
	.section	.text._ZN7rocprim17ROCPRIM_400000_NS6detail17trampoline_kernelINS0_14default_configENS1_25partition_config_selectorILNS1_17partition_subalgoE6EyNS0_10empty_typeEbEEZZNS1_14partition_implILS5_6ELb0ES3_mN6thrust23THRUST_200600_302600_NS6detail15normal_iteratorINSA_10device_ptrIyEEEEPS6_SG_NS0_5tupleIJSF_S6_EEENSH_IJSG_SG_EEES6_PlJNSB_9not_fun_tI7is_trueIyEEEEEE10hipError_tPvRmT3_T4_T5_T6_T7_T9_mT8_P12ihipStream_tbDpT10_ENKUlT_T0_E_clISt17integral_constantIbLb1EES17_IbLb0EEEEDaS13_S14_EUlS13_E_NS1_11comp_targetILNS1_3genE8ELNS1_11target_archE1030ELNS1_3gpuE2ELNS1_3repE0EEENS1_30default_config_static_selectorELNS0_4arch9wavefront6targetE0EEEvT1_,"axG",@progbits,_ZN7rocprim17ROCPRIM_400000_NS6detail17trampoline_kernelINS0_14default_configENS1_25partition_config_selectorILNS1_17partition_subalgoE6EyNS0_10empty_typeEbEEZZNS1_14partition_implILS5_6ELb0ES3_mN6thrust23THRUST_200600_302600_NS6detail15normal_iteratorINSA_10device_ptrIyEEEEPS6_SG_NS0_5tupleIJSF_S6_EEENSH_IJSG_SG_EEES6_PlJNSB_9not_fun_tI7is_trueIyEEEEEE10hipError_tPvRmT3_T4_T5_T6_T7_T9_mT8_P12ihipStream_tbDpT10_ENKUlT_T0_E_clISt17integral_constantIbLb1EES17_IbLb0EEEEDaS13_S14_EUlS13_E_NS1_11comp_targetILNS1_3genE8ELNS1_11target_archE1030ELNS1_3gpuE2ELNS1_3repE0EEENS1_30default_config_static_selectorELNS0_4arch9wavefront6targetE0EEEvT1_,comdat
.Lfunc_end1132:
	.size	_ZN7rocprim17ROCPRIM_400000_NS6detail17trampoline_kernelINS0_14default_configENS1_25partition_config_selectorILNS1_17partition_subalgoE6EyNS0_10empty_typeEbEEZZNS1_14partition_implILS5_6ELb0ES3_mN6thrust23THRUST_200600_302600_NS6detail15normal_iteratorINSA_10device_ptrIyEEEEPS6_SG_NS0_5tupleIJSF_S6_EEENSH_IJSG_SG_EEES6_PlJNSB_9not_fun_tI7is_trueIyEEEEEE10hipError_tPvRmT3_T4_T5_T6_T7_T9_mT8_P12ihipStream_tbDpT10_ENKUlT_T0_E_clISt17integral_constantIbLb1EES17_IbLb0EEEEDaS13_S14_EUlS13_E_NS1_11comp_targetILNS1_3genE8ELNS1_11target_archE1030ELNS1_3gpuE2ELNS1_3repE0EEENS1_30default_config_static_selectorELNS0_4arch9wavefront6targetE0EEEvT1_, .Lfunc_end1132-_ZN7rocprim17ROCPRIM_400000_NS6detail17trampoline_kernelINS0_14default_configENS1_25partition_config_selectorILNS1_17partition_subalgoE6EyNS0_10empty_typeEbEEZZNS1_14partition_implILS5_6ELb0ES3_mN6thrust23THRUST_200600_302600_NS6detail15normal_iteratorINSA_10device_ptrIyEEEEPS6_SG_NS0_5tupleIJSF_S6_EEENSH_IJSG_SG_EEES6_PlJNSB_9not_fun_tI7is_trueIyEEEEEE10hipError_tPvRmT3_T4_T5_T6_T7_T9_mT8_P12ihipStream_tbDpT10_ENKUlT_T0_E_clISt17integral_constantIbLb1EES17_IbLb0EEEEDaS13_S14_EUlS13_E_NS1_11comp_targetILNS1_3genE8ELNS1_11target_archE1030ELNS1_3gpuE2ELNS1_3repE0EEENS1_30default_config_static_selectorELNS0_4arch9wavefront6targetE0EEEvT1_
                                        ; -- End function
	.set _ZN7rocprim17ROCPRIM_400000_NS6detail17trampoline_kernelINS0_14default_configENS1_25partition_config_selectorILNS1_17partition_subalgoE6EyNS0_10empty_typeEbEEZZNS1_14partition_implILS5_6ELb0ES3_mN6thrust23THRUST_200600_302600_NS6detail15normal_iteratorINSA_10device_ptrIyEEEEPS6_SG_NS0_5tupleIJSF_S6_EEENSH_IJSG_SG_EEES6_PlJNSB_9not_fun_tI7is_trueIyEEEEEE10hipError_tPvRmT3_T4_T5_T6_T7_T9_mT8_P12ihipStream_tbDpT10_ENKUlT_T0_E_clISt17integral_constantIbLb1EES17_IbLb0EEEEDaS13_S14_EUlS13_E_NS1_11comp_targetILNS1_3genE8ELNS1_11target_archE1030ELNS1_3gpuE2ELNS1_3repE0EEENS1_30default_config_static_selectorELNS0_4arch9wavefront6targetE0EEEvT1_.num_vgpr, 0
	.set _ZN7rocprim17ROCPRIM_400000_NS6detail17trampoline_kernelINS0_14default_configENS1_25partition_config_selectorILNS1_17partition_subalgoE6EyNS0_10empty_typeEbEEZZNS1_14partition_implILS5_6ELb0ES3_mN6thrust23THRUST_200600_302600_NS6detail15normal_iteratorINSA_10device_ptrIyEEEEPS6_SG_NS0_5tupleIJSF_S6_EEENSH_IJSG_SG_EEES6_PlJNSB_9not_fun_tI7is_trueIyEEEEEE10hipError_tPvRmT3_T4_T5_T6_T7_T9_mT8_P12ihipStream_tbDpT10_ENKUlT_T0_E_clISt17integral_constantIbLb1EES17_IbLb0EEEEDaS13_S14_EUlS13_E_NS1_11comp_targetILNS1_3genE8ELNS1_11target_archE1030ELNS1_3gpuE2ELNS1_3repE0EEENS1_30default_config_static_selectorELNS0_4arch9wavefront6targetE0EEEvT1_.num_agpr, 0
	.set _ZN7rocprim17ROCPRIM_400000_NS6detail17trampoline_kernelINS0_14default_configENS1_25partition_config_selectorILNS1_17partition_subalgoE6EyNS0_10empty_typeEbEEZZNS1_14partition_implILS5_6ELb0ES3_mN6thrust23THRUST_200600_302600_NS6detail15normal_iteratorINSA_10device_ptrIyEEEEPS6_SG_NS0_5tupleIJSF_S6_EEENSH_IJSG_SG_EEES6_PlJNSB_9not_fun_tI7is_trueIyEEEEEE10hipError_tPvRmT3_T4_T5_T6_T7_T9_mT8_P12ihipStream_tbDpT10_ENKUlT_T0_E_clISt17integral_constantIbLb1EES17_IbLb0EEEEDaS13_S14_EUlS13_E_NS1_11comp_targetILNS1_3genE8ELNS1_11target_archE1030ELNS1_3gpuE2ELNS1_3repE0EEENS1_30default_config_static_selectorELNS0_4arch9wavefront6targetE0EEEvT1_.numbered_sgpr, 0
	.set _ZN7rocprim17ROCPRIM_400000_NS6detail17trampoline_kernelINS0_14default_configENS1_25partition_config_selectorILNS1_17partition_subalgoE6EyNS0_10empty_typeEbEEZZNS1_14partition_implILS5_6ELb0ES3_mN6thrust23THRUST_200600_302600_NS6detail15normal_iteratorINSA_10device_ptrIyEEEEPS6_SG_NS0_5tupleIJSF_S6_EEENSH_IJSG_SG_EEES6_PlJNSB_9not_fun_tI7is_trueIyEEEEEE10hipError_tPvRmT3_T4_T5_T6_T7_T9_mT8_P12ihipStream_tbDpT10_ENKUlT_T0_E_clISt17integral_constantIbLb1EES17_IbLb0EEEEDaS13_S14_EUlS13_E_NS1_11comp_targetILNS1_3genE8ELNS1_11target_archE1030ELNS1_3gpuE2ELNS1_3repE0EEENS1_30default_config_static_selectorELNS0_4arch9wavefront6targetE0EEEvT1_.num_named_barrier, 0
	.set _ZN7rocprim17ROCPRIM_400000_NS6detail17trampoline_kernelINS0_14default_configENS1_25partition_config_selectorILNS1_17partition_subalgoE6EyNS0_10empty_typeEbEEZZNS1_14partition_implILS5_6ELb0ES3_mN6thrust23THRUST_200600_302600_NS6detail15normal_iteratorINSA_10device_ptrIyEEEEPS6_SG_NS0_5tupleIJSF_S6_EEENSH_IJSG_SG_EEES6_PlJNSB_9not_fun_tI7is_trueIyEEEEEE10hipError_tPvRmT3_T4_T5_T6_T7_T9_mT8_P12ihipStream_tbDpT10_ENKUlT_T0_E_clISt17integral_constantIbLb1EES17_IbLb0EEEEDaS13_S14_EUlS13_E_NS1_11comp_targetILNS1_3genE8ELNS1_11target_archE1030ELNS1_3gpuE2ELNS1_3repE0EEENS1_30default_config_static_selectorELNS0_4arch9wavefront6targetE0EEEvT1_.private_seg_size, 0
	.set _ZN7rocprim17ROCPRIM_400000_NS6detail17trampoline_kernelINS0_14default_configENS1_25partition_config_selectorILNS1_17partition_subalgoE6EyNS0_10empty_typeEbEEZZNS1_14partition_implILS5_6ELb0ES3_mN6thrust23THRUST_200600_302600_NS6detail15normal_iteratorINSA_10device_ptrIyEEEEPS6_SG_NS0_5tupleIJSF_S6_EEENSH_IJSG_SG_EEES6_PlJNSB_9not_fun_tI7is_trueIyEEEEEE10hipError_tPvRmT3_T4_T5_T6_T7_T9_mT8_P12ihipStream_tbDpT10_ENKUlT_T0_E_clISt17integral_constantIbLb1EES17_IbLb0EEEEDaS13_S14_EUlS13_E_NS1_11comp_targetILNS1_3genE8ELNS1_11target_archE1030ELNS1_3gpuE2ELNS1_3repE0EEENS1_30default_config_static_selectorELNS0_4arch9wavefront6targetE0EEEvT1_.uses_vcc, 0
	.set _ZN7rocprim17ROCPRIM_400000_NS6detail17trampoline_kernelINS0_14default_configENS1_25partition_config_selectorILNS1_17partition_subalgoE6EyNS0_10empty_typeEbEEZZNS1_14partition_implILS5_6ELb0ES3_mN6thrust23THRUST_200600_302600_NS6detail15normal_iteratorINSA_10device_ptrIyEEEEPS6_SG_NS0_5tupleIJSF_S6_EEENSH_IJSG_SG_EEES6_PlJNSB_9not_fun_tI7is_trueIyEEEEEE10hipError_tPvRmT3_T4_T5_T6_T7_T9_mT8_P12ihipStream_tbDpT10_ENKUlT_T0_E_clISt17integral_constantIbLb1EES17_IbLb0EEEEDaS13_S14_EUlS13_E_NS1_11comp_targetILNS1_3genE8ELNS1_11target_archE1030ELNS1_3gpuE2ELNS1_3repE0EEENS1_30default_config_static_selectorELNS0_4arch9wavefront6targetE0EEEvT1_.uses_flat_scratch, 0
	.set _ZN7rocprim17ROCPRIM_400000_NS6detail17trampoline_kernelINS0_14default_configENS1_25partition_config_selectorILNS1_17partition_subalgoE6EyNS0_10empty_typeEbEEZZNS1_14partition_implILS5_6ELb0ES3_mN6thrust23THRUST_200600_302600_NS6detail15normal_iteratorINSA_10device_ptrIyEEEEPS6_SG_NS0_5tupleIJSF_S6_EEENSH_IJSG_SG_EEES6_PlJNSB_9not_fun_tI7is_trueIyEEEEEE10hipError_tPvRmT3_T4_T5_T6_T7_T9_mT8_P12ihipStream_tbDpT10_ENKUlT_T0_E_clISt17integral_constantIbLb1EES17_IbLb0EEEEDaS13_S14_EUlS13_E_NS1_11comp_targetILNS1_3genE8ELNS1_11target_archE1030ELNS1_3gpuE2ELNS1_3repE0EEENS1_30default_config_static_selectorELNS0_4arch9wavefront6targetE0EEEvT1_.has_dyn_sized_stack, 0
	.set _ZN7rocprim17ROCPRIM_400000_NS6detail17trampoline_kernelINS0_14default_configENS1_25partition_config_selectorILNS1_17partition_subalgoE6EyNS0_10empty_typeEbEEZZNS1_14partition_implILS5_6ELb0ES3_mN6thrust23THRUST_200600_302600_NS6detail15normal_iteratorINSA_10device_ptrIyEEEEPS6_SG_NS0_5tupleIJSF_S6_EEENSH_IJSG_SG_EEES6_PlJNSB_9not_fun_tI7is_trueIyEEEEEE10hipError_tPvRmT3_T4_T5_T6_T7_T9_mT8_P12ihipStream_tbDpT10_ENKUlT_T0_E_clISt17integral_constantIbLb1EES17_IbLb0EEEEDaS13_S14_EUlS13_E_NS1_11comp_targetILNS1_3genE8ELNS1_11target_archE1030ELNS1_3gpuE2ELNS1_3repE0EEENS1_30default_config_static_selectorELNS0_4arch9wavefront6targetE0EEEvT1_.has_recursion, 0
	.set _ZN7rocprim17ROCPRIM_400000_NS6detail17trampoline_kernelINS0_14default_configENS1_25partition_config_selectorILNS1_17partition_subalgoE6EyNS0_10empty_typeEbEEZZNS1_14partition_implILS5_6ELb0ES3_mN6thrust23THRUST_200600_302600_NS6detail15normal_iteratorINSA_10device_ptrIyEEEEPS6_SG_NS0_5tupleIJSF_S6_EEENSH_IJSG_SG_EEES6_PlJNSB_9not_fun_tI7is_trueIyEEEEEE10hipError_tPvRmT3_T4_T5_T6_T7_T9_mT8_P12ihipStream_tbDpT10_ENKUlT_T0_E_clISt17integral_constantIbLb1EES17_IbLb0EEEEDaS13_S14_EUlS13_E_NS1_11comp_targetILNS1_3genE8ELNS1_11target_archE1030ELNS1_3gpuE2ELNS1_3repE0EEENS1_30default_config_static_selectorELNS0_4arch9wavefront6targetE0EEEvT1_.has_indirect_call, 0
	.section	.AMDGPU.csdata,"",@progbits
; Kernel info:
; codeLenInByte = 0
; TotalNumSgprs: 0
; NumVgprs: 0
; ScratchSize: 0
; MemoryBound: 0
; FloatMode: 240
; IeeeMode: 1
; LDSByteSize: 0 bytes/workgroup (compile time only)
; SGPRBlocks: 0
; VGPRBlocks: 0
; NumSGPRsForWavesPerEU: 1
; NumVGPRsForWavesPerEU: 1
; Occupancy: 16
; WaveLimiterHint : 0
; COMPUTE_PGM_RSRC2:SCRATCH_EN: 0
; COMPUTE_PGM_RSRC2:USER_SGPR: 2
; COMPUTE_PGM_RSRC2:TRAP_HANDLER: 0
; COMPUTE_PGM_RSRC2:TGID_X_EN: 1
; COMPUTE_PGM_RSRC2:TGID_Y_EN: 0
; COMPUTE_PGM_RSRC2:TGID_Z_EN: 0
; COMPUTE_PGM_RSRC2:TIDIG_COMP_CNT: 0
	.section	.text._ZN7rocprim17ROCPRIM_400000_NS6detail17trampoline_kernelINS0_14default_configENS1_25partition_config_selectorILNS1_17partition_subalgoE6EyNS0_10empty_typeEbEEZZNS1_14partition_implILS5_6ELb0ES3_mN6thrust23THRUST_200600_302600_NS6detail15normal_iteratorINSA_10device_ptrIyEEEEPS6_SG_NS0_5tupleIJSF_S6_EEENSH_IJSG_SG_EEES6_PlJNSB_9not_fun_tI7is_trueIyEEEEEE10hipError_tPvRmT3_T4_T5_T6_T7_T9_mT8_P12ihipStream_tbDpT10_ENKUlT_T0_E_clISt17integral_constantIbLb0EES17_IbLb1EEEEDaS13_S14_EUlS13_E_NS1_11comp_targetILNS1_3genE0ELNS1_11target_archE4294967295ELNS1_3gpuE0ELNS1_3repE0EEENS1_30default_config_static_selectorELNS0_4arch9wavefront6targetE0EEEvT1_,"axG",@progbits,_ZN7rocprim17ROCPRIM_400000_NS6detail17trampoline_kernelINS0_14default_configENS1_25partition_config_selectorILNS1_17partition_subalgoE6EyNS0_10empty_typeEbEEZZNS1_14partition_implILS5_6ELb0ES3_mN6thrust23THRUST_200600_302600_NS6detail15normal_iteratorINSA_10device_ptrIyEEEEPS6_SG_NS0_5tupleIJSF_S6_EEENSH_IJSG_SG_EEES6_PlJNSB_9not_fun_tI7is_trueIyEEEEEE10hipError_tPvRmT3_T4_T5_T6_T7_T9_mT8_P12ihipStream_tbDpT10_ENKUlT_T0_E_clISt17integral_constantIbLb0EES17_IbLb1EEEEDaS13_S14_EUlS13_E_NS1_11comp_targetILNS1_3genE0ELNS1_11target_archE4294967295ELNS1_3gpuE0ELNS1_3repE0EEENS1_30default_config_static_selectorELNS0_4arch9wavefront6targetE0EEEvT1_,comdat
	.protected	_ZN7rocprim17ROCPRIM_400000_NS6detail17trampoline_kernelINS0_14default_configENS1_25partition_config_selectorILNS1_17partition_subalgoE6EyNS0_10empty_typeEbEEZZNS1_14partition_implILS5_6ELb0ES3_mN6thrust23THRUST_200600_302600_NS6detail15normal_iteratorINSA_10device_ptrIyEEEEPS6_SG_NS0_5tupleIJSF_S6_EEENSH_IJSG_SG_EEES6_PlJNSB_9not_fun_tI7is_trueIyEEEEEE10hipError_tPvRmT3_T4_T5_T6_T7_T9_mT8_P12ihipStream_tbDpT10_ENKUlT_T0_E_clISt17integral_constantIbLb0EES17_IbLb1EEEEDaS13_S14_EUlS13_E_NS1_11comp_targetILNS1_3genE0ELNS1_11target_archE4294967295ELNS1_3gpuE0ELNS1_3repE0EEENS1_30default_config_static_selectorELNS0_4arch9wavefront6targetE0EEEvT1_ ; -- Begin function _ZN7rocprim17ROCPRIM_400000_NS6detail17trampoline_kernelINS0_14default_configENS1_25partition_config_selectorILNS1_17partition_subalgoE6EyNS0_10empty_typeEbEEZZNS1_14partition_implILS5_6ELb0ES3_mN6thrust23THRUST_200600_302600_NS6detail15normal_iteratorINSA_10device_ptrIyEEEEPS6_SG_NS0_5tupleIJSF_S6_EEENSH_IJSG_SG_EEES6_PlJNSB_9not_fun_tI7is_trueIyEEEEEE10hipError_tPvRmT3_T4_T5_T6_T7_T9_mT8_P12ihipStream_tbDpT10_ENKUlT_T0_E_clISt17integral_constantIbLb0EES17_IbLb1EEEEDaS13_S14_EUlS13_E_NS1_11comp_targetILNS1_3genE0ELNS1_11target_archE4294967295ELNS1_3gpuE0ELNS1_3repE0EEENS1_30default_config_static_selectorELNS0_4arch9wavefront6targetE0EEEvT1_
	.globl	_ZN7rocprim17ROCPRIM_400000_NS6detail17trampoline_kernelINS0_14default_configENS1_25partition_config_selectorILNS1_17partition_subalgoE6EyNS0_10empty_typeEbEEZZNS1_14partition_implILS5_6ELb0ES3_mN6thrust23THRUST_200600_302600_NS6detail15normal_iteratorINSA_10device_ptrIyEEEEPS6_SG_NS0_5tupleIJSF_S6_EEENSH_IJSG_SG_EEES6_PlJNSB_9not_fun_tI7is_trueIyEEEEEE10hipError_tPvRmT3_T4_T5_T6_T7_T9_mT8_P12ihipStream_tbDpT10_ENKUlT_T0_E_clISt17integral_constantIbLb0EES17_IbLb1EEEEDaS13_S14_EUlS13_E_NS1_11comp_targetILNS1_3genE0ELNS1_11target_archE4294967295ELNS1_3gpuE0ELNS1_3repE0EEENS1_30default_config_static_selectorELNS0_4arch9wavefront6targetE0EEEvT1_
	.p2align	8
	.type	_ZN7rocprim17ROCPRIM_400000_NS6detail17trampoline_kernelINS0_14default_configENS1_25partition_config_selectorILNS1_17partition_subalgoE6EyNS0_10empty_typeEbEEZZNS1_14partition_implILS5_6ELb0ES3_mN6thrust23THRUST_200600_302600_NS6detail15normal_iteratorINSA_10device_ptrIyEEEEPS6_SG_NS0_5tupleIJSF_S6_EEENSH_IJSG_SG_EEES6_PlJNSB_9not_fun_tI7is_trueIyEEEEEE10hipError_tPvRmT3_T4_T5_T6_T7_T9_mT8_P12ihipStream_tbDpT10_ENKUlT_T0_E_clISt17integral_constantIbLb0EES17_IbLb1EEEEDaS13_S14_EUlS13_E_NS1_11comp_targetILNS1_3genE0ELNS1_11target_archE4294967295ELNS1_3gpuE0ELNS1_3repE0EEENS1_30default_config_static_selectorELNS0_4arch9wavefront6targetE0EEEvT1_,@function
_ZN7rocprim17ROCPRIM_400000_NS6detail17trampoline_kernelINS0_14default_configENS1_25partition_config_selectorILNS1_17partition_subalgoE6EyNS0_10empty_typeEbEEZZNS1_14partition_implILS5_6ELb0ES3_mN6thrust23THRUST_200600_302600_NS6detail15normal_iteratorINSA_10device_ptrIyEEEEPS6_SG_NS0_5tupleIJSF_S6_EEENSH_IJSG_SG_EEES6_PlJNSB_9not_fun_tI7is_trueIyEEEEEE10hipError_tPvRmT3_T4_T5_T6_T7_T9_mT8_P12ihipStream_tbDpT10_ENKUlT_T0_E_clISt17integral_constantIbLb0EES17_IbLb1EEEEDaS13_S14_EUlS13_E_NS1_11comp_targetILNS1_3genE0ELNS1_11target_archE4294967295ELNS1_3gpuE0ELNS1_3repE0EEENS1_30default_config_static_selectorELNS0_4arch9wavefront6targetE0EEEvT1_: ; @_ZN7rocprim17ROCPRIM_400000_NS6detail17trampoline_kernelINS0_14default_configENS1_25partition_config_selectorILNS1_17partition_subalgoE6EyNS0_10empty_typeEbEEZZNS1_14partition_implILS5_6ELb0ES3_mN6thrust23THRUST_200600_302600_NS6detail15normal_iteratorINSA_10device_ptrIyEEEEPS6_SG_NS0_5tupleIJSF_S6_EEENSH_IJSG_SG_EEES6_PlJNSB_9not_fun_tI7is_trueIyEEEEEE10hipError_tPvRmT3_T4_T5_T6_T7_T9_mT8_P12ihipStream_tbDpT10_ENKUlT_T0_E_clISt17integral_constantIbLb0EES17_IbLb1EEEEDaS13_S14_EUlS13_E_NS1_11comp_targetILNS1_3genE0ELNS1_11target_archE4294967295ELNS1_3gpuE0ELNS1_3repE0EEENS1_30default_config_static_selectorELNS0_4arch9wavefront6targetE0EEEvT1_
; %bb.0:
	.section	.rodata,"a",@progbits
	.p2align	6, 0x0
	.amdhsa_kernel _ZN7rocprim17ROCPRIM_400000_NS6detail17trampoline_kernelINS0_14default_configENS1_25partition_config_selectorILNS1_17partition_subalgoE6EyNS0_10empty_typeEbEEZZNS1_14partition_implILS5_6ELb0ES3_mN6thrust23THRUST_200600_302600_NS6detail15normal_iteratorINSA_10device_ptrIyEEEEPS6_SG_NS0_5tupleIJSF_S6_EEENSH_IJSG_SG_EEES6_PlJNSB_9not_fun_tI7is_trueIyEEEEEE10hipError_tPvRmT3_T4_T5_T6_T7_T9_mT8_P12ihipStream_tbDpT10_ENKUlT_T0_E_clISt17integral_constantIbLb0EES17_IbLb1EEEEDaS13_S14_EUlS13_E_NS1_11comp_targetILNS1_3genE0ELNS1_11target_archE4294967295ELNS1_3gpuE0ELNS1_3repE0EEENS1_30default_config_static_selectorELNS0_4arch9wavefront6targetE0EEEvT1_
		.amdhsa_group_segment_fixed_size 0
		.amdhsa_private_segment_fixed_size 0
		.amdhsa_kernarg_size 128
		.amdhsa_user_sgpr_count 2
		.amdhsa_user_sgpr_dispatch_ptr 0
		.amdhsa_user_sgpr_queue_ptr 0
		.amdhsa_user_sgpr_kernarg_segment_ptr 1
		.amdhsa_user_sgpr_dispatch_id 0
		.amdhsa_user_sgpr_private_segment_size 0
		.amdhsa_wavefront_size32 1
		.amdhsa_uses_dynamic_stack 0
		.amdhsa_enable_private_segment 0
		.amdhsa_system_sgpr_workgroup_id_x 1
		.amdhsa_system_sgpr_workgroup_id_y 0
		.amdhsa_system_sgpr_workgroup_id_z 0
		.amdhsa_system_sgpr_workgroup_info 0
		.amdhsa_system_vgpr_workitem_id 0
		.amdhsa_next_free_vgpr 1
		.amdhsa_next_free_sgpr 1
		.amdhsa_reserve_vcc 0
		.amdhsa_float_round_mode_32 0
		.amdhsa_float_round_mode_16_64 0
		.amdhsa_float_denorm_mode_32 3
		.amdhsa_float_denorm_mode_16_64 3
		.amdhsa_fp16_overflow 0
		.amdhsa_workgroup_processor_mode 1
		.amdhsa_memory_ordered 1
		.amdhsa_forward_progress 1
		.amdhsa_inst_pref_size 0
		.amdhsa_round_robin_scheduling 0
		.amdhsa_exception_fp_ieee_invalid_op 0
		.amdhsa_exception_fp_denorm_src 0
		.amdhsa_exception_fp_ieee_div_zero 0
		.amdhsa_exception_fp_ieee_overflow 0
		.amdhsa_exception_fp_ieee_underflow 0
		.amdhsa_exception_fp_ieee_inexact 0
		.amdhsa_exception_int_div_zero 0
	.end_amdhsa_kernel
	.section	.text._ZN7rocprim17ROCPRIM_400000_NS6detail17trampoline_kernelINS0_14default_configENS1_25partition_config_selectorILNS1_17partition_subalgoE6EyNS0_10empty_typeEbEEZZNS1_14partition_implILS5_6ELb0ES3_mN6thrust23THRUST_200600_302600_NS6detail15normal_iteratorINSA_10device_ptrIyEEEEPS6_SG_NS0_5tupleIJSF_S6_EEENSH_IJSG_SG_EEES6_PlJNSB_9not_fun_tI7is_trueIyEEEEEE10hipError_tPvRmT3_T4_T5_T6_T7_T9_mT8_P12ihipStream_tbDpT10_ENKUlT_T0_E_clISt17integral_constantIbLb0EES17_IbLb1EEEEDaS13_S14_EUlS13_E_NS1_11comp_targetILNS1_3genE0ELNS1_11target_archE4294967295ELNS1_3gpuE0ELNS1_3repE0EEENS1_30default_config_static_selectorELNS0_4arch9wavefront6targetE0EEEvT1_,"axG",@progbits,_ZN7rocprim17ROCPRIM_400000_NS6detail17trampoline_kernelINS0_14default_configENS1_25partition_config_selectorILNS1_17partition_subalgoE6EyNS0_10empty_typeEbEEZZNS1_14partition_implILS5_6ELb0ES3_mN6thrust23THRUST_200600_302600_NS6detail15normal_iteratorINSA_10device_ptrIyEEEEPS6_SG_NS0_5tupleIJSF_S6_EEENSH_IJSG_SG_EEES6_PlJNSB_9not_fun_tI7is_trueIyEEEEEE10hipError_tPvRmT3_T4_T5_T6_T7_T9_mT8_P12ihipStream_tbDpT10_ENKUlT_T0_E_clISt17integral_constantIbLb0EES17_IbLb1EEEEDaS13_S14_EUlS13_E_NS1_11comp_targetILNS1_3genE0ELNS1_11target_archE4294967295ELNS1_3gpuE0ELNS1_3repE0EEENS1_30default_config_static_selectorELNS0_4arch9wavefront6targetE0EEEvT1_,comdat
.Lfunc_end1133:
	.size	_ZN7rocprim17ROCPRIM_400000_NS6detail17trampoline_kernelINS0_14default_configENS1_25partition_config_selectorILNS1_17partition_subalgoE6EyNS0_10empty_typeEbEEZZNS1_14partition_implILS5_6ELb0ES3_mN6thrust23THRUST_200600_302600_NS6detail15normal_iteratorINSA_10device_ptrIyEEEEPS6_SG_NS0_5tupleIJSF_S6_EEENSH_IJSG_SG_EEES6_PlJNSB_9not_fun_tI7is_trueIyEEEEEE10hipError_tPvRmT3_T4_T5_T6_T7_T9_mT8_P12ihipStream_tbDpT10_ENKUlT_T0_E_clISt17integral_constantIbLb0EES17_IbLb1EEEEDaS13_S14_EUlS13_E_NS1_11comp_targetILNS1_3genE0ELNS1_11target_archE4294967295ELNS1_3gpuE0ELNS1_3repE0EEENS1_30default_config_static_selectorELNS0_4arch9wavefront6targetE0EEEvT1_, .Lfunc_end1133-_ZN7rocprim17ROCPRIM_400000_NS6detail17trampoline_kernelINS0_14default_configENS1_25partition_config_selectorILNS1_17partition_subalgoE6EyNS0_10empty_typeEbEEZZNS1_14partition_implILS5_6ELb0ES3_mN6thrust23THRUST_200600_302600_NS6detail15normal_iteratorINSA_10device_ptrIyEEEEPS6_SG_NS0_5tupleIJSF_S6_EEENSH_IJSG_SG_EEES6_PlJNSB_9not_fun_tI7is_trueIyEEEEEE10hipError_tPvRmT3_T4_T5_T6_T7_T9_mT8_P12ihipStream_tbDpT10_ENKUlT_T0_E_clISt17integral_constantIbLb0EES17_IbLb1EEEEDaS13_S14_EUlS13_E_NS1_11comp_targetILNS1_3genE0ELNS1_11target_archE4294967295ELNS1_3gpuE0ELNS1_3repE0EEENS1_30default_config_static_selectorELNS0_4arch9wavefront6targetE0EEEvT1_
                                        ; -- End function
	.set _ZN7rocprim17ROCPRIM_400000_NS6detail17trampoline_kernelINS0_14default_configENS1_25partition_config_selectorILNS1_17partition_subalgoE6EyNS0_10empty_typeEbEEZZNS1_14partition_implILS5_6ELb0ES3_mN6thrust23THRUST_200600_302600_NS6detail15normal_iteratorINSA_10device_ptrIyEEEEPS6_SG_NS0_5tupleIJSF_S6_EEENSH_IJSG_SG_EEES6_PlJNSB_9not_fun_tI7is_trueIyEEEEEE10hipError_tPvRmT3_T4_T5_T6_T7_T9_mT8_P12ihipStream_tbDpT10_ENKUlT_T0_E_clISt17integral_constantIbLb0EES17_IbLb1EEEEDaS13_S14_EUlS13_E_NS1_11comp_targetILNS1_3genE0ELNS1_11target_archE4294967295ELNS1_3gpuE0ELNS1_3repE0EEENS1_30default_config_static_selectorELNS0_4arch9wavefront6targetE0EEEvT1_.num_vgpr, 0
	.set _ZN7rocprim17ROCPRIM_400000_NS6detail17trampoline_kernelINS0_14default_configENS1_25partition_config_selectorILNS1_17partition_subalgoE6EyNS0_10empty_typeEbEEZZNS1_14partition_implILS5_6ELb0ES3_mN6thrust23THRUST_200600_302600_NS6detail15normal_iteratorINSA_10device_ptrIyEEEEPS6_SG_NS0_5tupleIJSF_S6_EEENSH_IJSG_SG_EEES6_PlJNSB_9not_fun_tI7is_trueIyEEEEEE10hipError_tPvRmT3_T4_T5_T6_T7_T9_mT8_P12ihipStream_tbDpT10_ENKUlT_T0_E_clISt17integral_constantIbLb0EES17_IbLb1EEEEDaS13_S14_EUlS13_E_NS1_11comp_targetILNS1_3genE0ELNS1_11target_archE4294967295ELNS1_3gpuE0ELNS1_3repE0EEENS1_30default_config_static_selectorELNS0_4arch9wavefront6targetE0EEEvT1_.num_agpr, 0
	.set _ZN7rocprim17ROCPRIM_400000_NS6detail17trampoline_kernelINS0_14default_configENS1_25partition_config_selectorILNS1_17partition_subalgoE6EyNS0_10empty_typeEbEEZZNS1_14partition_implILS5_6ELb0ES3_mN6thrust23THRUST_200600_302600_NS6detail15normal_iteratorINSA_10device_ptrIyEEEEPS6_SG_NS0_5tupleIJSF_S6_EEENSH_IJSG_SG_EEES6_PlJNSB_9not_fun_tI7is_trueIyEEEEEE10hipError_tPvRmT3_T4_T5_T6_T7_T9_mT8_P12ihipStream_tbDpT10_ENKUlT_T0_E_clISt17integral_constantIbLb0EES17_IbLb1EEEEDaS13_S14_EUlS13_E_NS1_11comp_targetILNS1_3genE0ELNS1_11target_archE4294967295ELNS1_3gpuE0ELNS1_3repE0EEENS1_30default_config_static_selectorELNS0_4arch9wavefront6targetE0EEEvT1_.numbered_sgpr, 0
	.set _ZN7rocprim17ROCPRIM_400000_NS6detail17trampoline_kernelINS0_14default_configENS1_25partition_config_selectorILNS1_17partition_subalgoE6EyNS0_10empty_typeEbEEZZNS1_14partition_implILS5_6ELb0ES3_mN6thrust23THRUST_200600_302600_NS6detail15normal_iteratorINSA_10device_ptrIyEEEEPS6_SG_NS0_5tupleIJSF_S6_EEENSH_IJSG_SG_EEES6_PlJNSB_9not_fun_tI7is_trueIyEEEEEE10hipError_tPvRmT3_T4_T5_T6_T7_T9_mT8_P12ihipStream_tbDpT10_ENKUlT_T0_E_clISt17integral_constantIbLb0EES17_IbLb1EEEEDaS13_S14_EUlS13_E_NS1_11comp_targetILNS1_3genE0ELNS1_11target_archE4294967295ELNS1_3gpuE0ELNS1_3repE0EEENS1_30default_config_static_selectorELNS0_4arch9wavefront6targetE0EEEvT1_.num_named_barrier, 0
	.set _ZN7rocprim17ROCPRIM_400000_NS6detail17trampoline_kernelINS0_14default_configENS1_25partition_config_selectorILNS1_17partition_subalgoE6EyNS0_10empty_typeEbEEZZNS1_14partition_implILS5_6ELb0ES3_mN6thrust23THRUST_200600_302600_NS6detail15normal_iteratorINSA_10device_ptrIyEEEEPS6_SG_NS0_5tupleIJSF_S6_EEENSH_IJSG_SG_EEES6_PlJNSB_9not_fun_tI7is_trueIyEEEEEE10hipError_tPvRmT3_T4_T5_T6_T7_T9_mT8_P12ihipStream_tbDpT10_ENKUlT_T0_E_clISt17integral_constantIbLb0EES17_IbLb1EEEEDaS13_S14_EUlS13_E_NS1_11comp_targetILNS1_3genE0ELNS1_11target_archE4294967295ELNS1_3gpuE0ELNS1_3repE0EEENS1_30default_config_static_selectorELNS0_4arch9wavefront6targetE0EEEvT1_.private_seg_size, 0
	.set _ZN7rocprim17ROCPRIM_400000_NS6detail17trampoline_kernelINS0_14default_configENS1_25partition_config_selectorILNS1_17partition_subalgoE6EyNS0_10empty_typeEbEEZZNS1_14partition_implILS5_6ELb0ES3_mN6thrust23THRUST_200600_302600_NS6detail15normal_iteratorINSA_10device_ptrIyEEEEPS6_SG_NS0_5tupleIJSF_S6_EEENSH_IJSG_SG_EEES6_PlJNSB_9not_fun_tI7is_trueIyEEEEEE10hipError_tPvRmT3_T4_T5_T6_T7_T9_mT8_P12ihipStream_tbDpT10_ENKUlT_T0_E_clISt17integral_constantIbLb0EES17_IbLb1EEEEDaS13_S14_EUlS13_E_NS1_11comp_targetILNS1_3genE0ELNS1_11target_archE4294967295ELNS1_3gpuE0ELNS1_3repE0EEENS1_30default_config_static_selectorELNS0_4arch9wavefront6targetE0EEEvT1_.uses_vcc, 0
	.set _ZN7rocprim17ROCPRIM_400000_NS6detail17trampoline_kernelINS0_14default_configENS1_25partition_config_selectorILNS1_17partition_subalgoE6EyNS0_10empty_typeEbEEZZNS1_14partition_implILS5_6ELb0ES3_mN6thrust23THRUST_200600_302600_NS6detail15normal_iteratorINSA_10device_ptrIyEEEEPS6_SG_NS0_5tupleIJSF_S6_EEENSH_IJSG_SG_EEES6_PlJNSB_9not_fun_tI7is_trueIyEEEEEE10hipError_tPvRmT3_T4_T5_T6_T7_T9_mT8_P12ihipStream_tbDpT10_ENKUlT_T0_E_clISt17integral_constantIbLb0EES17_IbLb1EEEEDaS13_S14_EUlS13_E_NS1_11comp_targetILNS1_3genE0ELNS1_11target_archE4294967295ELNS1_3gpuE0ELNS1_3repE0EEENS1_30default_config_static_selectorELNS0_4arch9wavefront6targetE0EEEvT1_.uses_flat_scratch, 0
	.set _ZN7rocprim17ROCPRIM_400000_NS6detail17trampoline_kernelINS0_14default_configENS1_25partition_config_selectorILNS1_17partition_subalgoE6EyNS0_10empty_typeEbEEZZNS1_14partition_implILS5_6ELb0ES3_mN6thrust23THRUST_200600_302600_NS6detail15normal_iteratorINSA_10device_ptrIyEEEEPS6_SG_NS0_5tupleIJSF_S6_EEENSH_IJSG_SG_EEES6_PlJNSB_9not_fun_tI7is_trueIyEEEEEE10hipError_tPvRmT3_T4_T5_T6_T7_T9_mT8_P12ihipStream_tbDpT10_ENKUlT_T0_E_clISt17integral_constantIbLb0EES17_IbLb1EEEEDaS13_S14_EUlS13_E_NS1_11comp_targetILNS1_3genE0ELNS1_11target_archE4294967295ELNS1_3gpuE0ELNS1_3repE0EEENS1_30default_config_static_selectorELNS0_4arch9wavefront6targetE0EEEvT1_.has_dyn_sized_stack, 0
	.set _ZN7rocprim17ROCPRIM_400000_NS6detail17trampoline_kernelINS0_14default_configENS1_25partition_config_selectorILNS1_17partition_subalgoE6EyNS0_10empty_typeEbEEZZNS1_14partition_implILS5_6ELb0ES3_mN6thrust23THRUST_200600_302600_NS6detail15normal_iteratorINSA_10device_ptrIyEEEEPS6_SG_NS0_5tupleIJSF_S6_EEENSH_IJSG_SG_EEES6_PlJNSB_9not_fun_tI7is_trueIyEEEEEE10hipError_tPvRmT3_T4_T5_T6_T7_T9_mT8_P12ihipStream_tbDpT10_ENKUlT_T0_E_clISt17integral_constantIbLb0EES17_IbLb1EEEEDaS13_S14_EUlS13_E_NS1_11comp_targetILNS1_3genE0ELNS1_11target_archE4294967295ELNS1_3gpuE0ELNS1_3repE0EEENS1_30default_config_static_selectorELNS0_4arch9wavefront6targetE0EEEvT1_.has_recursion, 0
	.set _ZN7rocprim17ROCPRIM_400000_NS6detail17trampoline_kernelINS0_14default_configENS1_25partition_config_selectorILNS1_17partition_subalgoE6EyNS0_10empty_typeEbEEZZNS1_14partition_implILS5_6ELb0ES3_mN6thrust23THRUST_200600_302600_NS6detail15normal_iteratorINSA_10device_ptrIyEEEEPS6_SG_NS0_5tupleIJSF_S6_EEENSH_IJSG_SG_EEES6_PlJNSB_9not_fun_tI7is_trueIyEEEEEE10hipError_tPvRmT3_T4_T5_T6_T7_T9_mT8_P12ihipStream_tbDpT10_ENKUlT_T0_E_clISt17integral_constantIbLb0EES17_IbLb1EEEEDaS13_S14_EUlS13_E_NS1_11comp_targetILNS1_3genE0ELNS1_11target_archE4294967295ELNS1_3gpuE0ELNS1_3repE0EEENS1_30default_config_static_selectorELNS0_4arch9wavefront6targetE0EEEvT1_.has_indirect_call, 0
	.section	.AMDGPU.csdata,"",@progbits
; Kernel info:
; codeLenInByte = 0
; TotalNumSgprs: 0
; NumVgprs: 0
; ScratchSize: 0
; MemoryBound: 0
; FloatMode: 240
; IeeeMode: 1
; LDSByteSize: 0 bytes/workgroup (compile time only)
; SGPRBlocks: 0
; VGPRBlocks: 0
; NumSGPRsForWavesPerEU: 1
; NumVGPRsForWavesPerEU: 1
; Occupancy: 16
; WaveLimiterHint : 0
; COMPUTE_PGM_RSRC2:SCRATCH_EN: 0
; COMPUTE_PGM_RSRC2:USER_SGPR: 2
; COMPUTE_PGM_RSRC2:TRAP_HANDLER: 0
; COMPUTE_PGM_RSRC2:TGID_X_EN: 1
; COMPUTE_PGM_RSRC2:TGID_Y_EN: 0
; COMPUTE_PGM_RSRC2:TGID_Z_EN: 0
; COMPUTE_PGM_RSRC2:TIDIG_COMP_CNT: 0
	.section	.text._ZN7rocprim17ROCPRIM_400000_NS6detail17trampoline_kernelINS0_14default_configENS1_25partition_config_selectorILNS1_17partition_subalgoE6EyNS0_10empty_typeEbEEZZNS1_14partition_implILS5_6ELb0ES3_mN6thrust23THRUST_200600_302600_NS6detail15normal_iteratorINSA_10device_ptrIyEEEEPS6_SG_NS0_5tupleIJSF_S6_EEENSH_IJSG_SG_EEES6_PlJNSB_9not_fun_tI7is_trueIyEEEEEE10hipError_tPvRmT3_T4_T5_T6_T7_T9_mT8_P12ihipStream_tbDpT10_ENKUlT_T0_E_clISt17integral_constantIbLb0EES17_IbLb1EEEEDaS13_S14_EUlS13_E_NS1_11comp_targetILNS1_3genE5ELNS1_11target_archE942ELNS1_3gpuE9ELNS1_3repE0EEENS1_30default_config_static_selectorELNS0_4arch9wavefront6targetE0EEEvT1_,"axG",@progbits,_ZN7rocprim17ROCPRIM_400000_NS6detail17trampoline_kernelINS0_14default_configENS1_25partition_config_selectorILNS1_17partition_subalgoE6EyNS0_10empty_typeEbEEZZNS1_14partition_implILS5_6ELb0ES3_mN6thrust23THRUST_200600_302600_NS6detail15normal_iteratorINSA_10device_ptrIyEEEEPS6_SG_NS0_5tupleIJSF_S6_EEENSH_IJSG_SG_EEES6_PlJNSB_9not_fun_tI7is_trueIyEEEEEE10hipError_tPvRmT3_T4_T5_T6_T7_T9_mT8_P12ihipStream_tbDpT10_ENKUlT_T0_E_clISt17integral_constantIbLb0EES17_IbLb1EEEEDaS13_S14_EUlS13_E_NS1_11comp_targetILNS1_3genE5ELNS1_11target_archE942ELNS1_3gpuE9ELNS1_3repE0EEENS1_30default_config_static_selectorELNS0_4arch9wavefront6targetE0EEEvT1_,comdat
	.protected	_ZN7rocprim17ROCPRIM_400000_NS6detail17trampoline_kernelINS0_14default_configENS1_25partition_config_selectorILNS1_17partition_subalgoE6EyNS0_10empty_typeEbEEZZNS1_14partition_implILS5_6ELb0ES3_mN6thrust23THRUST_200600_302600_NS6detail15normal_iteratorINSA_10device_ptrIyEEEEPS6_SG_NS0_5tupleIJSF_S6_EEENSH_IJSG_SG_EEES6_PlJNSB_9not_fun_tI7is_trueIyEEEEEE10hipError_tPvRmT3_T4_T5_T6_T7_T9_mT8_P12ihipStream_tbDpT10_ENKUlT_T0_E_clISt17integral_constantIbLb0EES17_IbLb1EEEEDaS13_S14_EUlS13_E_NS1_11comp_targetILNS1_3genE5ELNS1_11target_archE942ELNS1_3gpuE9ELNS1_3repE0EEENS1_30default_config_static_selectorELNS0_4arch9wavefront6targetE0EEEvT1_ ; -- Begin function _ZN7rocprim17ROCPRIM_400000_NS6detail17trampoline_kernelINS0_14default_configENS1_25partition_config_selectorILNS1_17partition_subalgoE6EyNS0_10empty_typeEbEEZZNS1_14partition_implILS5_6ELb0ES3_mN6thrust23THRUST_200600_302600_NS6detail15normal_iteratorINSA_10device_ptrIyEEEEPS6_SG_NS0_5tupleIJSF_S6_EEENSH_IJSG_SG_EEES6_PlJNSB_9not_fun_tI7is_trueIyEEEEEE10hipError_tPvRmT3_T4_T5_T6_T7_T9_mT8_P12ihipStream_tbDpT10_ENKUlT_T0_E_clISt17integral_constantIbLb0EES17_IbLb1EEEEDaS13_S14_EUlS13_E_NS1_11comp_targetILNS1_3genE5ELNS1_11target_archE942ELNS1_3gpuE9ELNS1_3repE0EEENS1_30default_config_static_selectorELNS0_4arch9wavefront6targetE0EEEvT1_
	.globl	_ZN7rocprim17ROCPRIM_400000_NS6detail17trampoline_kernelINS0_14default_configENS1_25partition_config_selectorILNS1_17partition_subalgoE6EyNS0_10empty_typeEbEEZZNS1_14partition_implILS5_6ELb0ES3_mN6thrust23THRUST_200600_302600_NS6detail15normal_iteratorINSA_10device_ptrIyEEEEPS6_SG_NS0_5tupleIJSF_S6_EEENSH_IJSG_SG_EEES6_PlJNSB_9not_fun_tI7is_trueIyEEEEEE10hipError_tPvRmT3_T4_T5_T6_T7_T9_mT8_P12ihipStream_tbDpT10_ENKUlT_T0_E_clISt17integral_constantIbLb0EES17_IbLb1EEEEDaS13_S14_EUlS13_E_NS1_11comp_targetILNS1_3genE5ELNS1_11target_archE942ELNS1_3gpuE9ELNS1_3repE0EEENS1_30default_config_static_selectorELNS0_4arch9wavefront6targetE0EEEvT1_
	.p2align	8
	.type	_ZN7rocprim17ROCPRIM_400000_NS6detail17trampoline_kernelINS0_14default_configENS1_25partition_config_selectorILNS1_17partition_subalgoE6EyNS0_10empty_typeEbEEZZNS1_14partition_implILS5_6ELb0ES3_mN6thrust23THRUST_200600_302600_NS6detail15normal_iteratorINSA_10device_ptrIyEEEEPS6_SG_NS0_5tupleIJSF_S6_EEENSH_IJSG_SG_EEES6_PlJNSB_9not_fun_tI7is_trueIyEEEEEE10hipError_tPvRmT3_T4_T5_T6_T7_T9_mT8_P12ihipStream_tbDpT10_ENKUlT_T0_E_clISt17integral_constantIbLb0EES17_IbLb1EEEEDaS13_S14_EUlS13_E_NS1_11comp_targetILNS1_3genE5ELNS1_11target_archE942ELNS1_3gpuE9ELNS1_3repE0EEENS1_30default_config_static_selectorELNS0_4arch9wavefront6targetE0EEEvT1_,@function
_ZN7rocprim17ROCPRIM_400000_NS6detail17trampoline_kernelINS0_14default_configENS1_25partition_config_selectorILNS1_17partition_subalgoE6EyNS0_10empty_typeEbEEZZNS1_14partition_implILS5_6ELb0ES3_mN6thrust23THRUST_200600_302600_NS6detail15normal_iteratorINSA_10device_ptrIyEEEEPS6_SG_NS0_5tupleIJSF_S6_EEENSH_IJSG_SG_EEES6_PlJNSB_9not_fun_tI7is_trueIyEEEEEE10hipError_tPvRmT3_T4_T5_T6_T7_T9_mT8_P12ihipStream_tbDpT10_ENKUlT_T0_E_clISt17integral_constantIbLb0EES17_IbLb1EEEEDaS13_S14_EUlS13_E_NS1_11comp_targetILNS1_3genE5ELNS1_11target_archE942ELNS1_3gpuE9ELNS1_3repE0EEENS1_30default_config_static_selectorELNS0_4arch9wavefront6targetE0EEEvT1_: ; @_ZN7rocprim17ROCPRIM_400000_NS6detail17trampoline_kernelINS0_14default_configENS1_25partition_config_selectorILNS1_17partition_subalgoE6EyNS0_10empty_typeEbEEZZNS1_14partition_implILS5_6ELb0ES3_mN6thrust23THRUST_200600_302600_NS6detail15normal_iteratorINSA_10device_ptrIyEEEEPS6_SG_NS0_5tupleIJSF_S6_EEENSH_IJSG_SG_EEES6_PlJNSB_9not_fun_tI7is_trueIyEEEEEE10hipError_tPvRmT3_T4_T5_T6_T7_T9_mT8_P12ihipStream_tbDpT10_ENKUlT_T0_E_clISt17integral_constantIbLb0EES17_IbLb1EEEEDaS13_S14_EUlS13_E_NS1_11comp_targetILNS1_3genE5ELNS1_11target_archE942ELNS1_3gpuE9ELNS1_3repE0EEENS1_30default_config_static_selectorELNS0_4arch9wavefront6targetE0EEEvT1_
; %bb.0:
	.section	.rodata,"a",@progbits
	.p2align	6, 0x0
	.amdhsa_kernel _ZN7rocprim17ROCPRIM_400000_NS6detail17trampoline_kernelINS0_14default_configENS1_25partition_config_selectorILNS1_17partition_subalgoE6EyNS0_10empty_typeEbEEZZNS1_14partition_implILS5_6ELb0ES3_mN6thrust23THRUST_200600_302600_NS6detail15normal_iteratorINSA_10device_ptrIyEEEEPS6_SG_NS0_5tupleIJSF_S6_EEENSH_IJSG_SG_EEES6_PlJNSB_9not_fun_tI7is_trueIyEEEEEE10hipError_tPvRmT3_T4_T5_T6_T7_T9_mT8_P12ihipStream_tbDpT10_ENKUlT_T0_E_clISt17integral_constantIbLb0EES17_IbLb1EEEEDaS13_S14_EUlS13_E_NS1_11comp_targetILNS1_3genE5ELNS1_11target_archE942ELNS1_3gpuE9ELNS1_3repE0EEENS1_30default_config_static_selectorELNS0_4arch9wavefront6targetE0EEEvT1_
		.amdhsa_group_segment_fixed_size 0
		.amdhsa_private_segment_fixed_size 0
		.amdhsa_kernarg_size 128
		.amdhsa_user_sgpr_count 2
		.amdhsa_user_sgpr_dispatch_ptr 0
		.amdhsa_user_sgpr_queue_ptr 0
		.amdhsa_user_sgpr_kernarg_segment_ptr 1
		.amdhsa_user_sgpr_dispatch_id 0
		.amdhsa_user_sgpr_private_segment_size 0
		.amdhsa_wavefront_size32 1
		.amdhsa_uses_dynamic_stack 0
		.amdhsa_enable_private_segment 0
		.amdhsa_system_sgpr_workgroup_id_x 1
		.amdhsa_system_sgpr_workgroup_id_y 0
		.amdhsa_system_sgpr_workgroup_id_z 0
		.amdhsa_system_sgpr_workgroup_info 0
		.amdhsa_system_vgpr_workitem_id 0
		.amdhsa_next_free_vgpr 1
		.amdhsa_next_free_sgpr 1
		.amdhsa_reserve_vcc 0
		.amdhsa_float_round_mode_32 0
		.amdhsa_float_round_mode_16_64 0
		.amdhsa_float_denorm_mode_32 3
		.amdhsa_float_denorm_mode_16_64 3
		.amdhsa_fp16_overflow 0
		.amdhsa_workgroup_processor_mode 1
		.amdhsa_memory_ordered 1
		.amdhsa_forward_progress 1
		.amdhsa_inst_pref_size 0
		.amdhsa_round_robin_scheduling 0
		.amdhsa_exception_fp_ieee_invalid_op 0
		.amdhsa_exception_fp_denorm_src 0
		.amdhsa_exception_fp_ieee_div_zero 0
		.amdhsa_exception_fp_ieee_overflow 0
		.amdhsa_exception_fp_ieee_underflow 0
		.amdhsa_exception_fp_ieee_inexact 0
		.amdhsa_exception_int_div_zero 0
	.end_amdhsa_kernel
	.section	.text._ZN7rocprim17ROCPRIM_400000_NS6detail17trampoline_kernelINS0_14default_configENS1_25partition_config_selectorILNS1_17partition_subalgoE6EyNS0_10empty_typeEbEEZZNS1_14partition_implILS5_6ELb0ES3_mN6thrust23THRUST_200600_302600_NS6detail15normal_iteratorINSA_10device_ptrIyEEEEPS6_SG_NS0_5tupleIJSF_S6_EEENSH_IJSG_SG_EEES6_PlJNSB_9not_fun_tI7is_trueIyEEEEEE10hipError_tPvRmT3_T4_T5_T6_T7_T9_mT8_P12ihipStream_tbDpT10_ENKUlT_T0_E_clISt17integral_constantIbLb0EES17_IbLb1EEEEDaS13_S14_EUlS13_E_NS1_11comp_targetILNS1_3genE5ELNS1_11target_archE942ELNS1_3gpuE9ELNS1_3repE0EEENS1_30default_config_static_selectorELNS0_4arch9wavefront6targetE0EEEvT1_,"axG",@progbits,_ZN7rocprim17ROCPRIM_400000_NS6detail17trampoline_kernelINS0_14default_configENS1_25partition_config_selectorILNS1_17partition_subalgoE6EyNS0_10empty_typeEbEEZZNS1_14partition_implILS5_6ELb0ES3_mN6thrust23THRUST_200600_302600_NS6detail15normal_iteratorINSA_10device_ptrIyEEEEPS6_SG_NS0_5tupleIJSF_S6_EEENSH_IJSG_SG_EEES6_PlJNSB_9not_fun_tI7is_trueIyEEEEEE10hipError_tPvRmT3_T4_T5_T6_T7_T9_mT8_P12ihipStream_tbDpT10_ENKUlT_T0_E_clISt17integral_constantIbLb0EES17_IbLb1EEEEDaS13_S14_EUlS13_E_NS1_11comp_targetILNS1_3genE5ELNS1_11target_archE942ELNS1_3gpuE9ELNS1_3repE0EEENS1_30default_config_static_selectorELNS0_4arch9wavefront6targetE0EEEvT1_,comdat
.Lfunc_end1134:
	.size	_ZN7rocprim17ROCPRIM_400000_NS6detail17trampoline_kernelINS0_14default_configENS1_25partition_config_selectorILNS1_17partition_subalgoE6EyNS0_10empty_typeEbEEZZNS1_14partition_implILS5_6ELb0ES3_mN6thrust23THRUST_200600_302600_NS6detail15normal_iteratorINSA_10device_ptrIyEEEEPS6_SG_NS0_5tupleIJSF_S6_EEENSH_IJSG_SG_EEES6_PlJNSB_9not_fun_tI7is_trueIyEEEEEE10hipError_tPvRmT3_T4_T5_T6_T7_T9_mT8_P12ihipStream_tbDpT10_ENKUlT_T0_E_clISt17integral_constantIbLb0EES17_IbLb1EEEEDaS13_S14_EUlS13_E_NS1_11comp_targetILNS1_3genE5ELNS1_11target_archE942ELNS1_3gpuE9ELNS1_3repE0EEENS1_30default_config_static_selectorELNS0_4arch9wavefront6targetE0EEEvT1_, .Lfunc_end1134-_ZN7rocprim17ROCPRIM_400000_NS6detail17trampoline_kernelINS0_14default_configENS1_25partition_config_selectorILNS1_17partition_subalgoE6EyNS0_10empty_typeEbEEZZNS1_14partition_implILS5_6ELb0ES3_mN6thrust23THRUST_200600_302600_NS6detail15normal_iteratorINSA_10device_ptrIyEEEEPS6_SG_NS0_5tupleIJSF_S6_EEENSH_IJSG_SG_EEES6_PlJNSB_9not_fun_tI7is_trueIyEEEEEE10hipError_tPvRmT3_T4_T5_T6_T7_T9_mT8_P12ihipStream_tbDpT10_ENKUlT_T0_E_clISt17integral_constantIbLb0EES17_IbLb1EEEEDaS13_S14_EUlS13_E_NS1_11comp_targetILNS1_3genE5ELNS1_11target_archE942ELNS1_3gpuE9ELNS1_3repE0EEENS1_30default_config_static_selectorELNS0_4arch9wavefront6targetE0EEEvT1_
                                        ; -- End function
	.set _ZN7rocprim17ROCPRIM_400000_NS6detail17trampoline_kernelINS0_14default_configENS1_25partition_config_selectorILNS1_17partition_subalgoE6EyNS0_10empty_typeEbEEZZNS1_14partition_implILS5_6ELb0ES3_mN6thrust23THRUST_200600_302600_NS6detail15normal_iteratorINSA_10device_ptrIyEEEEPS6_SG_NS0_5tupleIJSF_S6_EEENSH_IJSG_SG_EEES6_PlJNSB_9not_fun_tI7is_trueIyEEEEEE10hipError_tPvRmT3_T4_T5_T6_T7_T9_mT8_P12ihipStream_tbDpT10_ENKUlT_T0_E_clISt17integral_constantIbLb0EES17_IbLb1EEEEDaS13_S14_EUlS13_E_NS1_11comp_targetILNS1_3genE5ELNS1_11target_archE942ELNS1_3gpuE9ELNS1_3repE0EEENS1_30default_config_static_selectorELNS0_4arch9wavefront6targetE0EEEvT1_.num_vgpr, 0
	.set _ZN7rocprim17ROCPRIM_400000_NS6detail17trampoline_kernelINS0_14default_configENS1_25partition_config_selectorILNS1_17partition_subalgoE6EyNS0_10empty_typeEbEEZZNS1_14partition_implILS5_6ELb0ES3_mN6thrust23THRUST_200600_302600_NS6detail15normal_iteratorINSA_10device_ptrIyEEEEPS6_SG_NS0_5tupleIJSF_S6_EEENSH_IJSG_SG_EEES6_PlJNSB_9not_fun_tI7is_trueIyEEEEEE10hipError_tPvRmT3_T4_T5_T6_T7_T9_mT8_P12ihipStream_tbDpT10_ENKUlT_T0_E_clISt17integral_constantIbLb0EES17_IbLb1EEEEDaS13_S14_EUlS13_E_NS1_11comp_targetILNS1_3genE5ELNS1_11target_archE942ELNS1_3gpuE9ELNS1_3repE0EEENS1_30default_config_static_selectorELNS0_4arch9wavefront6targetE0EEEvT1_.num_agpr, 0
	.set _ZN7rocprim17ROCPRIM_400000_NS6detail17trampoline_kernelINS0_14default_configENS1_25partition_config_selectorILNS1_17partition_subalgoE6EyNS0_10empty_typeEbEEZZNS1_14partition_implILS5_6ELb0ES3_mN6thrust23THRUST_200600_302600_NS6detail15normal_iteratorINSA_10device_ptrIyEEEEPS6_SG_NS0_5tupleIJSF_S6_EEENSH_IJSG_SG_EEES6_PlJNSB_9not_fun_tI7is_trueIyEEEEEE10hipError_tPvRmT3_T4_T5_T6_T7_T9_mT8_P12ihipStream_tbDpT10_ENKUlT_T0_E_clISt17integral_constantIbLb0EES17_IbLb1EEEEDaS13_S14_EUlS13_E_NS1_11comp_targetILNS1_3genE5ELNS1_11target_archE942ELNS1_3gpuE9ELNS1_3repE0EEENS1_30default_config_static_selectorELNS0_4arch9wavefront6targetE0EEEvT1_.numbered_sgpr, 0
	.set _ZN7rocprim17ROCPRIM_400000_NS6detail17trampoline_kernelINS0_14default_configENS1_25partition_config_selectorILNS1_17partition_subalgoE6EyNS0_10empty_typeEbEEZZNS1_14partition_implILS5_6ELb0ES3_mN6thrust23THRUST_200600_302600_NS6detail15normal_iteratorINSA_10device_ptrIyEEEEPS6_SG_NS0_5tupleIJSF_S6_EEENSH_IJSG_SG_EEES6_PlJNSB_9not_fun_tI7is_trueIyEEEEEE10hipError_tPvRmT3_T4_T5_T6_T7_T9_mT8_P12ihipStream_tbDpT10_ENKUlT_T0_E_clISt17integral_constantIbLb0EES17_IbLb1EEEEDaS13_S14_EUlS13_E_NS1_11comp_targetILNS1_3genE5ELNS1_11target_archE942ELNS1_3gpuE9ELNS1_3repE0EEENS1_30default_config_static_selectorELNS0_4arch9wavefront6targetE0EEEvT1_.num_named_barrier, 0
	.set _ZN7rocprim17ROCPRIM_400000_NS6detail17trampoline_kernelINS0_14default_configENS1_25partition_config_selectorILNS1_17partition_subalgoE6EyNS0_10empty_typeEbEEZZNS1_14partition_implILS5_6ELb0ES3_mN6thrust23THRUST_200600_302600_NS6detail15normal_iteratorINSA_10device_ptrIyEEEEPS6_SG_NS0_5tupleIJSF_S6_EEENSH_IJSG_SG_EEES6_PlJNSB_9not_fun_tI7is_trueIyEEEEEE10hipError_tPvRmT3_T4_T5_T6_T7_T9_mT8_P12ihipStream_tbDpT10_ENKUlT_T0_E_clISt17integral_constantIbLb0EES17_IbLb1EEEEDaS13_S14_EUlS13_E_NS1_11comp_targetILNS1_3genE5ELNS1_11target_archE942ELNS1_3gpuE9ELNS1_3repE0EEENS1_30default_config_static_selectorELNS0_4arch9wavefront6targetE0EEEvT1_.private_seg_size, 0
	.set _ZN7rocprim17ROCPRIM_400000_NS6detail17trampoline_kernelINS0_14default_configENS1_25partition_config_selectorILNS1_17partition_subalgoE6EyNS0_10empty_typeEbEEZZNS1_14partition_implILS5_6ELb0ES3_mN6thrust23THRUST_200600_302600_NS6detail15normal_iteratorINSA_10device_ptrIyEEEEPS6_SG_NS0_5tupleIJSF_S6_EEENSH_IJSG_SG_EEES6_PlJNSB_9not_fun_tI7is_trueIyEEEEEE10hipError_tPvRmT3_T4_T5_T6_T7_T9_mT8_P12ihipStream_tbDpT10_ENKUlT_T0_E_clISt17integral_constantIbLb0EES17_IbLb1EEEEDaS13_S14_EUlS13_E_NS1_11comp_targetILNS1_3genE5ELNS1_11target_archE942ELNS1_3gpuE9ELNS1_3repE0EEENS1_30default_config_static_selectorELNS0_4arch9wavefront6targetE0EEEvT1_.uses_vcc, 0
	.set _ZN7rocprim17ROCPRIM_400000_NS6detail17trampoline_kernelINS0_14default_configENS1_25partition_config_selectorILNS1_17partition_subalgoE6EyNS0_10empty_typeEbEEZZNS1_14partition_implILS5_6ELb0ES3_mN6thrust23THRUST_200600_302600_NS6detail15normal_iteratorINSA_10device_ptrIyEEEEPS6_SG_NS0_5tupleIJSF_S6_EEENSH_IJSG_SG_EEES6_PlJNSB_9not_fun_tI7is_trueIyEEEEEE10hipError_tPvRmT3_T4_T5_T6_T7_T9_mT8_P12ihipStream_tbDpT10_ENKUlT_T0_E_clISt17integral_constantIbLb0EES17_IbLb1EEEEDaS13_S14_EUlS13_E_NS1_11comp_targetILNS1_3genE5ELNS1_11target_archE942ELNS1_3gpuE9ELNS1_3repE0EEENS1_30default_config_static_selectorELNS0_4arch9wavefront6targetE0EEEvT1_.uses_flat_scratch, 0
	.set _ZN7rocprim17ROCPRIM_400000_NS6detail17trampoline_kernelINS0_14default_configENS1_25partition_config_selectorILNS1_17partition_subalgoE6EyNS0_10empty_typeEbEEZZNS1_14partition_implILS5_6ELb0ES3_mN6thrust23THRUST_200600_302600_NS6detail15normal_iteratorINSA_10device_ptrIyEEEEPS6_SG_NS0_5tupleIJSF_S6_EEENSH_IJSG_SG_EEES6_PlJNSB_9not_fun_tI7is_trueIyEEEEEE10hipError_tPvRmT3_T4_T5_T6_T7_T9_mT8_P12ihipStream_tbDpT10_ENKUlT_T0_E_clISt17integral_constantIbLb0EES17_IbLb1EEEEDaS13_S14_EUlS13_E_NS1_11comp_targetILNS1_3genE5ELNS1_11target_archE942ELNS1_3gpuE9ELNS1_3repE0EEENS1_30default_config_static_selectorELNS0_4arch9wavefront6targetE0EEEvT1_.has_dyn_sized_stack, 0
	.set _ZN7rocprim17ROCPRIM_400000_NS6detail17trampoline_kernelINS0_14default_configENS1_25partition_config_selectorILNS1_17partition_subalgoE6EyNS0_10empty_typeEbEEZZNS1_14partition_implILS5_6ELb0ES3_mN6thrust23THRUST_200600_302600_NS6detail15normal_iteratorINSA_10device_ptrIyEEEEPS6_SG_NS0_5tupleIJSF_S6_EEENSH_IJSG_SG_EEES6_PlJNSB_9not_fun_tI7is_trueIyEEEEEE10hipError_tPvRmT3_T4_T5_T6_T7_T9_mT8_P12ihipStream_tbDpT10_ENKUlT_T0_E_clISt17integral_constantIbLb0EES17_IbLb1EEEEDaS13_S14_EUlS13_E_NS1_11comp_targetILNS1_3genE5ELNS1_11target_archE942ELNS1_3gpuE9ELNS1_3repE0EEENS1_30default_config_static_selectorELNS0_4arch9wavefront6targetE0EEEvT1_.has_recursion, 0
	.set _ZN7rocprim17ROCPRIM_400000_NS6detail17trampoline_kernelINS0_14default_configENS1_25partition_config_selectorILNS1_17partition_subalgoE6EyNS0_10empty_typeEbEEZZNS1_14partition_implILS5_6ELb0ES3_mN6thrust23THRUST_200600_302600_NS6detail15normal_iteratorINSA_10device_ptrIyEEEEPS6_SG_NS0_5tupleIJSF_S6_EEENSH_IJSG_SG_EEES6_PlJNSB_9not_fun_tI7is_trueIyEEEEEE10hipError_tPvRmT3_T4_T5_T6_T7_T9_mT8_P12ihipStream_tbDpT10_ENKUlT_T0_E_clISt17integral_constantIbLb0EES17_IbLb1EEEEDaS13_S14_EUlS13_E_NS1_11comp_targetILNS1_3genE5ELNS1_11target_archE942ELNS1_3gpuE9ELNS1_3repE0EEENS1_30default_config_static_selectorELNS0_4arch9wavefront6targetE0EEEvT1_.has_indirect_call, 0
	.section	.AMDGPU.csdata,"",@progbits
; Kernel info:
; codeLenInByte = 0
; TotalNumSgprs: 0
; NumVgprs: 0
; ScratchSize: 0
; MemoryBound: 0
; FloatMode: 240
; IeeeMode: 1
; LDSByteSize: 0 bytes/workgroup (compile time only)
; SGPRBlocks: 0
; VGPRBlocks: 0
; NumSGPRsForWavesPerEU: 1
; NumVGPRsForWavesPerEU: 1
; Occupancy: 16
; WaveLimiterHint : 0
; COMPUTE_PGM_RSRC2:SCRATCH_EN: 0
; COMPUTE_PGM_RSRC2:USER_SGPR: 2
; COMPUTE_PGM_RSRC2:TRAP_HANDLER: 0
; COMPUTE_PGM_RSRC2:TGID_X_EN: 1
; COMPUTE_PGM_RSRC2:TGID_Y_EN: 0
; COMPUTE_PGM_RSRC2:TGID_Z_EN: 0
; COMPUTE_PGM_RSRC2:TIDIG_COMP_CNT: 0
	.section	.text._ZN7rocprim17ROCPRIM_400000_NS6detail17trampoline_kernelINS0_14default_configENS1_25partition_config_selectorILNS1_17partition_subalgoE6EyNS0_10empty_typeEbEEZZNS1_14partition_implILS5_6ELb0ES3_mN6thrust23THRUST_200600_302600_NS6detail15normal_iteratorINSA_10device_ptrIyEEEEPS6_SG_NS0_5tupleIJSF_S6_EEENSH_IJSG_SG_EEES6_PlJNSB_9not_fun_tI7is_trueIyEEEEEE10hipError_tPvRmT3_T4_T5_T6_T7_T9_mT8_P12ihipStream_tbDpT10_ENKUlT_T0_E_clISt17integral_constantIbLb0EES17_IbLb1EEEEDaS13_S14_EUlS13_E_NS1_11comp_targetILNS1_3genE4ELNS1_11target_archE910ELNS1_3gpuE8ELNS1_3repE0EEENS1_30default_config_static_selectorELNS0_4arch9wavefront6targetE0EEEvT1_,"axG",@progbits,_ZN7rocprim17ROCPRIM_400000_NS6detail17trampoline_kernelINS0_14default_configENS1_25partition_config_selectorILNS1_17partition_subalgoE6EyNS0_10empty_typeEbEEZZNS1_14partition_implILS5_6ELb0ES3_mN6thrust23THRUST_200600_302600_NS6detail15normal_iteratorINSA_10device_ptrIyEEEEPS6_SG_NS0_5tupleIJSF_S6_EEENSH_IJSG_SG_EEES6_PlJNSB_9not_fun_tI7is_trueIyEEEEEE10hipError_tPvRmT3_T4_T5_T6_T7_T9_mT8_P12ihipStream_tbDpT10_ENKUlT_T0_E_clISt17integral_constantIbLb0EES17_IbLb1EEEEDaS13_S14_EUlS13_E_NS1_11comp_targetILNS1_3genE4ELNS1_11target_archE910ELNS1_3gpuE8ELNS1_3repE0EEENS1_30default_config_static_selectorELNS0_4arch9wavefront6targetE0EEEvT1_,comdat
	.protected	_ZN7rocprim17ROCPRIM_400000_NS6detail17trampoline_kernelINS0_14default_configENS1_25partition_config_selectorILNS1_17partition_subalgoE6EyNS0_10empty_typeEbEEZZNS1_14partition_implILS5_6ELb0ES3_mN6thrust23THRUST_200600_302600_NS6detail15normal_iteratorINSA_10device_ptrIyEEEEPS6_SG_NS0_5tupleIJSF_S6_EEENSH_IJSG_SG_EEES6_PlJNSB_9not_fun_tI7is_trueIyEEEEEE10hipError_tPvRmT3_T4_T5_T6_T7_T9_mT8_P12ihipStream_tbDpT10_ENKUlT_T0_E_clISt17integral_constantIbLb0EES17_IbLb1EEEEDaS13_S14_EUlS13_E_NS1_11comp_targetILNS1_3genE4ELNS1_11target_archE910ELNS1_3gpuE8ELNS1_3repE0EEENS1_30default_config_static_selectorELNS0_4arch9wavefront6targetE0EEEvT1_ ; -- Begin function _ZN7rocprim17ROCPRIM_400000_NS6detail17trampoline_kernelINS0_14default_configENS1_25partition_config_selectorILNS1_17partition_subalgoE6EyNS0_10empty_typeEbEEZZNS1_14partition_implILS5_6ELb0ES3_mN6thrust23THRUST_200600_302600_NS6detail15normal_iteratorINSA_10device_ptrIyEEEEPS6_SG_NS0_5tupleIJSF_S6_EEENSH_IJSG_SG_EEES6_PlJNSB_9not_fun_tI7is_trueIyEEEEEE10hipError_tPvRmT3_T4_T5_T6_T7_T9_mT8_P12ihipStream_tbDpT10_ENKUlT_T0_E_clISt17integral_constantIbLb0EES17_IbLb1EEEEDaS13_S14_EUlS13_E_NS1_11comp_targetILNS1_3genE4ELNS1_11target_archE910ELNS1_3gpuE8ELNS1_3repE0EEENS1_30default_config_static_selectorELNS0_4arch9wavefront6targetE0EEEvT1_
	.globl	_ZN7rocprim17ROCPRIM_400000_NS6detail17trampoline_kernelINS0_14default_configENS1_25partition_config_selectorILNS1_17partition_subalgoE6EyNS0_10empty_typeEbEEZZNS1_14partition_implILS5_6ELb0ES3_mN6thrust23THRUST_200600_302600_NS6detail15normal_iteratorINSA_10device_ptrIyEEEEPS6_SG_NS0_5tupleIJSF_S6_EEENSH_IJSG_SG_EEES6_PlJNSB_9not_fun_tI7is_trueIyEEEEEE10hipError_tPvRmT3_T4_T5_T6_T7_T9_mT8_P12ihipStream_tbDpT10_ENKUlT_T0_E_clISt17integral_constantIbLb0EES17_IbLb1EEEEDaS13_S14_EUlS13_E_NS1_11comp_targetILNS1_3genE4ELNS1_11target_archE910ELNS1_3gpuE8ELNS1_3repE0EEENS1_30default_config_static_selectorELNS0_4arch9wavefront6targetE0EEEvT1_
	.p2align	8
	.type	_ZN7rocprim17ROCPRIM_400000_NS6detail17trampoline_kernelINS0_14default_configENS1_25partition_config_selectorILNS1_17partition_subalgoE6EyNS0_10empty_typeEbEEZZNS1_14partition_implILS5_6ELb0ES3_mN6thrust23THRUST_200600_302600_NS6detail15normal_iteratorINSA_10device_ptrIyEEEEPS6_SG_NS0_5tupleIJSF_S6_EEENSH_IJSG_SG_EEES6_PlJNSB_9not_fun_tI7is_trueIyEEEEEE10hipError_tPvRmT3_T4_T5_T6_T7_T9_mT8_P12ihipStream_tbDpT10_ENKUlT_T0_E_clISt17integral_constantIbLb0EES17_IbLb1EEEEDaS13_S14_EUlS13_E_NS1_11comp_targetILNS1_3genE4ELNS1_11target_archE910ELNS1_3gpuE8ELNS1_3repE0EEENS1_30default_config_static_selectorELNS0_4arch9wavefront6targetE0EEEvT1_,@function
_ZN7rocprim17ROCPRIM_400000_NS6detail17trampoline_kernelINS0_14default_configENS1_25partition_config_selectorILNS1_17partition_subalgoE6EyNS0_10empty_typeEbEEZZNS1_14partition_implILS5_6ELb0ES3_mN6thrust23THRUST_200600_302600_NS6detail15normal_iteratorINSA_10device_ptrIyEEEEPS6_SG_NS0_5tupleIJSF_S6_EEENSH_IJSG_SG_EEES6_PlJNSB_9not_fun_tI7is_trueIyEEEEEE10hipError_tPvRmT3_T4_T5_T6_T7_T9_mT8_P12ihipStream_tbDpT10_ENKUlT_T0_E_clISt17integral_constantIbLb0EES17_IbLb1EEEEDaS13_S14_EUlS13_E_NS1_11comp_targetILNS1_3genE4ELNS1_11target_archE910ELNS1_3gpuE8ELNS1_3repE0EEENS1_30default_config_static_selectorELNS0_4arch9wavefront6targetE0EEEvT1_: ; @_ZN7rocprim17ROCPRIM_400000_NS6detail17trampoline_kernelINS0_14default_configENS1_25partition_config_selectorILNS1_17partition_subalgoE6EyNS0_10empty_typeEbEEZZNS1_14partition_implILS5_6ELb0ES3_mN6thrust23THRUST_200600_302600_NS6detail15normal_iteratorINSA_10device_ptrIyEEEEPS6_SG_NS0_5tupleIJSF_S6_EEENSH_IJSG_SG_EEES6_PlJNSB_9not_fun_tI7is_trueIyEEEEEE10hipError_tPvRmT3_T4_T5_T6_T7_T9_mT8_P12ihipStream_tbDpT10_ENKUlT_T0_E_clISt17integral_constantIbLb0EES17_IbLb1EEEEDaS13_S14_EUlS13_E_NS1_11comp_targetILNS1_3genE4ELNS1_11target_archE910ELNS1_3gpuE8ELNS1_3repE0EEENS1_30default_config_static_selectorELNS0_4arch9wavefront6targetE0EEEvT1_
; %bb.0:
	.section	.rodata,"a",@progbits
	.p2align	6, 0x0
	.amdhsa_kernel _ZN7rocprim17ROCPRIM_400000_NS6detail17trampoline_kernelINS0_14default_configENS1_25partition_config_selectorILNS1_17partition_subalgoE6EyNS0_10empty_typeEbEEZZNS1_14partition_implILS5_6ELb0ES3_mN6thrust23THRUST_200600_302600_NS6detail15normal_iteratorINSA_10device_ptrIyEEEEPS6_SG_NS0_5tupleIJSF_S6_EEENSH_IJSG_SG_EEES6_PlJNSB_9not_fun_tI7is_trueIyEEEEEE10hipError_tPvRmT3_T4_T5_T6_T7_T9_mT8_P12ihipStream_tbDpT10_ENKUlT_T0_E_clISt17integral_constantIbLb0EES17_IbLb1EEEEDaS13_S14_EUlS13_E_NS1_11comp_targetILNS1_3genE4ELNS1_11target_archE910ELNS1_3gpuE8ELNS1_3repE0EEENS1_30default_config_static_selectorELNS0_4arch9wavefront6targetE0EEEvT1_
		.amdhsa_group_segment_fixed_size 0
		.amdhsa_private_segment_fixed_size 0
		.amdhsa_kernarg_size 128
		.amdhsa_user_sgpr_count 2
		.amdhsa_user_sgpr_dispatch_ptr 0
		.amdhsa_user_sgpr_queue_ptr 0
		.amdhsa_user_sgpr_kernarg_segment_ptr 1
		.amdhsa_user_sgpr_dispatch_id 0
		.amdhsa_user_sgpr_private_segment_size 0
		.amdhsa_wavefront_size32 1
		.amdhsa_uses_dynamic_stack 0
		.amdhsa_enable_private_segment 0
		.amdhsa_system_sgpr_workgroup_id_x 1
		.amdhsa_system_sgpr_workgroup_id_y 0
		.amdhsa_system_sgpr_workgroup_id_z 0
		.amdhsa_system_sgpr_workgroup_info 0
		.amdhsa_system_vgpr_workitem_id 0
		.amdhsa_next_free_vgpr 1
		.amdhsa_next_free_sgpr 1
		.amdhsa_reserve_vcc 0
		.amdhsa_float_round_mode_32 0
		.amdhsa_float_round_mode_16_64 0
		.amdhsa_float_denorm_mode_32 3
		.amdhsa_float_denorm_mode_16_64 3
		.amdhsa_fp16_overflow 0
		.amdhsa_workgroup_processor_mode 1
		.amdhsa_memory_ordered 1
		.amdhsa_forward_progress 1
		.amdhsa_inst_pref_size 0
		.amdhsa_round_robin_scheduling 0
		.amdhsa_exception_fp_ieee_invalid_op 0
		.amdhsa_exception_fp_denorm_src 0
		.amdhsa_exception_fp_ieee_div_zero 0
		.amdhsa_exception_fp_ieee_overflow 0
		.amdhsa_exception_fp_ieee_underflow 0
		.amdhsa_exception_fp_ieee_inexact 0
		.amdhsa_exception_int_div_zero 0
	.end_amdhsa_kernel
	.section	.text._ZN7rocprim17ROCPRIM_400000_NS6detail17trampoline_kernelINS0_14default_configENS1_25partition_config_selectorILNS1_17partition_subalgoE6EyNS0_10empty_typeEbEEZZNS1_14partition_implILS5_6ELb0ES3_mN6thrust23THRUST_200600_302600_NS6detail15normal_iteratorINSA_10device_ptrIyEEEEPS6_SG_NS0_5tupleIJSF_S6_EEENSH_IJSG_SG_EEES6_PlJNSB_9not_fun_tI7is_trueIyEEEEEE10hipError_tPvRmT3_T4_T5_T6_T7_T9_mT8_P12ihipStream_tbDpT10_ENKUlT_T0_E_clISt17integral_constantIbLb0EES17_IbLb1EEEEDaS13_S14_EUlS13_E_NS1_11comp_targetILNS1_3genE4ELNS1_11target_archE910ELNS1_3gpuE8ELNS1_3repE0EEENS1_30default_config_static_selectorELNS0_4arch9wavefront6targetE0EEEvT1_,"axG",@progbits,_ZN7rocprim17ROCPRIM_400000_NS6detail17trampoline_kernelINS0_14default_configENS1_25partition_config_selectorILNS1_17partition_subalgoE6EyNS0_10empty_typeEbEEZZNS1_14partition_implILS5_6ELb0ES3_mN6thrust23THRUST_200600_302600_NS6detail15normal_iteratorINSA_10device_ptrIyEEEEPS6_SG_NS0_5tupleIJSF_S6_EEENSH_IJSG_SG_EEES6_PlJNSB_9not_fun_tI7is_trueIyEEEEEE10hipError_tPvRmT3_T4_T5_T6_T7_T9_mT8_P12ihipStream_tbDpT10_ENKUlT_T0_E_clISt17integral_constantIbLb0EES17_IbLb1EEEEDaS13_S14_EUlS13_E_NS1_11comp_targetILNS1_3genE4ELNS1_11target_archE910ELNS1_3gpuE8ELNS1_3repE0EEENS1_30default_config_static_selectorELNS0_4arch9wavefront6targetE0EEEvT1_,comdat
.Lfunc_end1135:
	.size	_ZN7rocprim17ROCPRIM_400000_NS6detail17trampoline_kernelINS0_14default_configENS1_25partition_config_selectorILNS1_17partition_subalgoE6EyNS0_10empty_typeEbEEZZNS1_14partition_implILS5_6ELb0ES3_mN6thrust23THRUST_200600_302600_NS6detail15normal_iteratorINSA_10device_ptrIyEEEEPS6_SG_NS0_5tupleIJSF_S6_EEENSH_IJSG_SG_EEES6_PlJNSB_9not_fun_tI7is_trueIyEEEEEE10hipError_tPvRmT3_T4_T5_T6_T7_T9_mT8_P12ihipStream_tbDpT10_ENKUlT_T0_E_clISt17integral_constantIbLb0EES17_IbLb1EEEEDaS13_S14_EUlS13_E_NS1_11comp_targetILNS1_3genE4ELNS1_11target_archE910ELNS1_3gpuE8ELNS1_3repE0EEENS1_30default_config_static_selectorELNS0_4arch9wavefront6targetE0EEEvT1_, .Lfunc_end1135-_ZN7rocprim17ROCPRIM_400000_NS6detail17trampoline_kernelINS0_14default_configENS1_25partition_config_selectorILNS1_17partition_subalgoE6EyNS0_10empty_typeEbEEZZNS1_14partition_implILS5_6ELb0ES3_mN6thrust23THRUST_200600_302600_NS6detail15normal_iteratorINSA_10device_ptrIyEEEEPS6_SG_NS0_5tupleIJSF_S6_EEENSH_IJSG_SG_EEES6_PlJNSB_9not_fun_tI7is_trueIyEEEEEE10hipError_tPvRmT3_T4_T5_T6_T7_T9_mT8_P12ihipStream_tbDpT10_ENKUlT_T0_E_clISt17integral_constantIbLb0EES17_IbLb1EEEEDaS13_S14_EUlS13_E_NS1_11comp_targetILNS1_3genE4ELNS1_11target_archE910ELNS1_3gpuE8ELNS1_3repE0EEENS1_30default_config_static_selectorELNS0_4arch9wavefront6targetE0EEEvT1_
                                        ; -- End function
	.set _ZN7rocprim17ROCPRIM_400000_NS6detail17trampoline_kernelINS0_14default_configENS1_25partition_config_selectorILNS1_17partition_subalgoE6EyNS0_10empty_typeEbEEZZNS1_14partition_implILS5_6ELb0ES3_mN6thrust23THRUST_200600_302600_NS6detail15normal_iteratorINSA_10device_ptrIyEEEEPS6_SG_NS0_5tupleIJSF_S6_EEENSH_IJSG_SG_EEES6_PlJNSB_9not_fun_tI7is_trueIyEEEEEE10hipError_tPvRmT3_T4_T5_T6_T7_T9_mT8_P12ihipStream_tbDpT10_ENKUlT_T0_E_clISt17integral_constantIbLb0EES17_IbLb1EEEEDaS13_S14_EUlS13_E_NS1_11comp_targetILNS1_3genE4ELNS1_11target_archE910ELNS1_3gpuE8ELNS1_3repE0EEENS1_30default_config_static_selectorELNS0_4arch9wavefront6targetE0EEEvT1_.num_vgpr, 0
	.set _ZN7rocprim17ROCPRIM_400000_NS6detail17trampoline_kernelINS0_14default_configENS1_25partition_config_selectorILNS1_17partition_subalgoE6EyNS0_10empty_typeEbEEZZNS1_14partition_implILS5_6ELb0ES3_mN6thrust23THRUST_200600_302600_NS6detail15normal_iteratorINSA_10device_ptrIyEEEEPS6_SG_NS0_5tupleIJSF_S6_EEENSH_IJSG_SG_EEES6_PlJNSB_9not_fun_tI7is_trueIyEEEEEE10hipError_tPvRmT3_T4_T5_T6_T7_T9_mT8_P12ihipStream_tbDpT10_ENKUlT_T0_E_clISt17integral_constantIbLb0EES17_IbLb1EEEEDaS13_S14_EUlS13_E_NS1_11comp_targetILNS1_3genE4ELNS1_11target_archE910ELNS1_3gpuE8ELNS1_3repE0EEENS1_30default_config_static_selectorELNS0_4arch9wavefront6targetE0EEEvT1_.num_agpr, 0
	.set _ZN7rocprim17ROCPRIM_400000_NS6detail17trampoline_kernelINS0_14default_configENS1_25partition_config_selectorILNS1_17partition_subalgoE6EyNS0_10empty_typeEbEEZZNS1_14partition_implILS5_6ELb0ES3_mN6thrust23THRUST_200600_302600_NS6detail15normal_iteratorINSA_10device_ptrIyEEEEPS6_SG_NS0_5tupleIJSF_S6_EEENSH_IJSG_SG_EEES6_PlJNSB_9not_fun_tI7is_trueIyEEEEEE10hipError_tPvRmT3_T4_T5_T6_T7_T9_mT8_P12ihipStream_tbDpT10_ENKUlT_T0_E_clISt17integral_constantIbLb0EES17_IbLb1EEEEDaS13_S14_EUlS13_E_NS1_11comp_targetILNS1_3genE4ELNS1_11target_archE910ELNS1_3gpuE8ELNS1_3repE0EEENS1_30default_config_static_selectorELNS0_4arch9wavefront6targetE0EEEvT1_.numbered_sgpr, 0
	.set _ZN7rocprim17ROCPRIM_400000_NS6detail17trampoline_kernelINS0_14default_configENS1_25partition_config_selectorILNS1_17partition_subalgoE6EyNS0_10empty_typeEbEEZZNS1_14partition_implILS5_6ELb0ES3_mN6thrust23THRUST_200600_302600_NS6detail15normal_iteratorINSA_10device_ptrIyEEEEPS6_SG_NS0_5tupleIJSF_S6_EEENSH_IJSG_SG_EEES6_PlJNSB_9not_fun_tI7is_trueIyEEEEEE10hipError_tPvRmT3_T4_T5_T6_T7_T9_mT8_P12ihipStream_tbDpT10_ENKUlT_T0_E_clISt17integral_constantIbLb0EES17_IbLb1EEEEDaS13_S14_EUlS13_E_NS1_11comp_targetILNS1_3genE4ELNS1_11target_archE910ELNS1_3gpuE8ELNS1_3repE0EEENS1_30default_config_static_selectorELNS0_4arch9wavefront6targetE0EEEvT1_.num_named_barrier, 0
	.set _ZN7rocprim17ROCPRIM_400000_NS6detail17trampoline_kernelINS0_14default_configENS1_25partition_config_selectorILNS1_17partition_subalgoE6EyNS0_10empty_typeEbEEZZNS1_14partition_implILS5_6ELb0ES3_mN6thrust23THRUST_200600_302600_NS6detail15normal_iteratorINSA_10device_ptrIyEEEEPS6_SG_NS0_5tupleIJSF_S6_EEENSH_IJSG_SG_EEES6_PlJNSB_9not_fun_tI7is_trueIyEEEEEE10hipError_tPvRmT3_T4_T5_T6_T7_T9_mT8_P12ihipStream_tbDpT10_ENKUlT_T0_E_clISt17integral_constantIbLb0EES17_IbLb1EEEEDaS13_S14_EUlS13_E_NS1_11comp_targetILNS1_3genE4ELNS1_11target_archE910ELNS1_3gpuE8ELNS1_3repE0EEENS1_30default_config_static_selectorELNS0_4arch9wavefront6targetE0EEEvT1_.private_seg_size, 0
	.set _ZN7rocprim17ROCPRIM_400000_NS6detail17trampoline_kernelINS0_14default_configENS1_25partition_config_selectorILNS1_17partition_subalgoE6EyNS0_10empty_typeEbEEZZNS1_14partition_implILS5_6ELb0ES3_mN6thrust23THRUST_200600_302600_NS6detail15normal_iteratorINSA_10device_ptrIyEEEEPS6_SG_NS0_5tupleIJSF_S6_EEENSH_IJSG_SG_EEES6_PlJNSB_9not_fun_tI7is_trueIyEEEEEE10hipError_tPvRmT3_T4_T5_T6_T7_T9_mT8_P12ihipStream_tbDpT10_ENKUlT_T0_E_clISt17integral_constantIbLb0EES17_IbLb1EEEEDaS13_S14_EUlS13_E_NS1_11comp_targetILNS1_3genE4ELNS1_11target_archE910ELNS1_3gpuE8ELNS1_3repE0EEENS1_30default_config_static_selectorELNS0_4arch9wavefront6targetE0EEEvT1_.uses_vcc, 0
	.set _ZN7rocprim17ROCPRIM_400000_NS6detail17trampoline_kernelINS0_14default_configENS1_25partition_config_selectorILNS1_17partition_subalgoE6EyNS0_10empty_typeEbEEZZNS1_14partition_implILS5_6ELb0ES3_mN6thrust23THRUST_200600_302600_NS6detail15normal_iteratorINSA_10device_ptrIyEEEEPS6_SG_NS0_5tupleIJSF_S6_EEENSH_IJSG_SG_EEES6_PlJNSB_9not_fun_tI7is_trueIyEEEEEE10hipError_tPvRmT3_T4_T5_T6_T7_T9_mT8_P12ihipStream_tbDpT10_ENKUlT_T0_E_clISt17integral_constantIbLb0EES17_IbLb1EEEEDaS13_S14_EUlS13_E_NS1_11comp_targetILNS1_3genE4ELNS1_11target_archE910ELNS1_3gpuE8ELNS1_3repE0EEENS1_30default_config_static_selectorELNS0_4arch9wavefront6targetE0EEEvT1_.uses_flat_scratch, 0
	.set _ZN7rocprim17ROCPRIM_400000_NS6detail17trampoline_kernelINS0_14default_configENS1_25partition_config_selectorILNS1_17partition_subalgoE6EyNS0_10empty_typeEbEEZZNS1_14partition_implILS5_6ELb0ES3_mN6thrust23THRUST_200600_302600_NS6detail15normal_iteratorINSA_10device_ptrIyEEEEPS6_SG_NS0_5tupleIJSF_S6_EEENSH_IJSG_SG_EEES6_PlJNSB_9not_fun_tI7is_trueIyEEEEEE10hipError_tPvRmT3_T4_T5_T6_T7_T9_mT8_P12ihipStream_tbDpT10_ENKUlT_T0_E_clISt17integral_constantIbLb0EES17_IbLb1EEEEDaS13_S14_EUlS13_E_NS1_11comp_targetILNS1_3genE4ELNS1_11target_archE910ELNS1_3gpuE8ELNS1_3repE0EEENS1_30default_config_static_selectorELNS0_4arch9wavefront6targetE0EEEvT1_.has_dyn_sized_stack, 0
	.set _ZN7rocprim17ROCPRIM_400000_NS6detail17trampoline_kernelINS0_14default_configENS1_25partition_config_selectorILNS1_17partition_subalgoE6EyNS0_10empty_typeEbEEZZNS1_14partition_implILS5_6ELb0ES3_mN6thrust23THRUST_200600_302600_NS6detail15normal_iteratorINSA_10device_ptrIyEEEEPS6_SG_NS0_5tupleIJSF_S6_EEENSH_IJSG_SG_EEES6_PlJNSB_9not_fun_tI7is_trueIyEEEEEE10hipError_tPvRmT3_T4_T5_T6_T7_T9_mT8_P12ihipStream_tbDpT10_ENKUlT_T0_E_clISt17integral_constantIbLb0EES17_IbLb1EEEEDaS13_S14_EUlS13_E_NS1_11comp_targetILNS1_3genE4ELNS1_11target_archE910ELNS1_3gpuE8ELNS1_3repE0EEENS1_30default_config_static_selectorELNS0_4arch9wavefront6targetE0EEEvT1_.has_recursion, 0
	.set _ZN7rocprim17ROCPRIM_400000_NS6detail17trampoline_kernelINS0_14default_configENS1_25partition_config_selectorILNS1_17partition_subalgoE6EyNS0_10empty_typeEbEEZZNS1_14partition_implILS5_6ELb0ES3_mN6thrust23THRUST_200600_302600_NS6detail15normal_iteratorINSA_10device_ptrIyEEEEPS6_SG_NS0_5tupleIJSF_S6_EEENSH_IJSG_SG_EEES6_PlJNSB_9not_fun_tI7is_trueIyEEEEEE10hipError_tPvRmT3_T4_T5_T6_T7_T9_mT8_P12ihipStream_tbDpT10_ENKUlT_T0_E_clISt17integral_constantIbLb0EES17_IbLb1EEEEDaS13_S14_EUlS13_E_NS1_11comp_targetILNS1_3genE4ELNS1_11target_archE910ELNS1_3gpuE8ELNS1_3repE0EEENS1_30default_config_static_selectorELNS0_4arch9wavefront6targetE0EEEvT1_.has_indirect_call, 0
	.section	.AMDGPU.csdata,"",@progbits
; Kernel info:
; codeLenInByte = 0
; TotalNumSgprs: 0
; NumVgprs: 0
; ScratchSize: 0
; MemoryBound: 0
; FloatMode: 240
; IeeeMode: 1
; LDSByteSize: 0 bytes/workgroup (compile time only)
; SGPRBlocks: 0
; VGPRBlocks: 0
; NumSGPRsForWavesPerEU: 1
; NumVGPRsForWavesPerEU: 1
; Occupancy: 16
; WaveLimiterHint : 0
; COMPUTE_PGM_RSRC2:SCRATCH_EN: 0
; COMPUTE_PGM_RSRC2:USER_SGPR: 2
; COMPUTE_PGM_RSRC2:TRAP_HANDLER: 0
; COMPUTE_PGM_RSRC2:TGID_X_EN: 1
; COMPUTE_PGM_RSRC2:TGID_Y_EN: 0
; COMPUTE_PGM_RSRC2:TGID_Z_EN: 0
; COMPUTE_PGM_RSRC2:TIDIG_COMP_CNT: 0
	.section	.text._ZN7rocprim17ROCPRIM_400000_NS6detail17trampoline_kernelINS0_14default_configENS1_25partition_config_selectorILNS1_17partition_subalgoE6EyNS0_10empty_typeEbEEZZNS1_14partition_implILS5_6ELb0ES3_mN6thrust23THRUST_200600_302600_NS6detail15normal_iteratorINSA_10device_ptrIyEEEEPS6_SG_NS0_5tupleIJSF_S6_EEENSH_IJSG_SG_EEES6_PlJNSB_9not_fun_tI7is_trueIyEEEEEE10hipError_tPvRmT3_T4_T5_T6_T7_T9_mT8_P12ihipStream_tbDpT10_ENKUlT_T0_E_clISt17integral_constantIbLb0EES17_IbLb1EEEEDaS13_S14_EUlS13_E_NS1_11comp_targetILNS1_3genE3ELNS1_11target_archE908ELNS1_3gpuE7ELNS1_3repE0EEENS1_30default_config_static_selectorELNS0_4arch9wavefront6targetE0EEEvT1_,"axG",@progbits,_ZN7rocprim17ROCPRIM_400000_NS6detail17trampoline_kernelINS0_14default_configENS1_25partition_config_selectorILNS1_17partition_subalgoE6EyNS0_10empty_typeEbEEZZNS1_14partition_implILS5_6ELb0ES3_mN6thrust23THRUST_200600_302600_NS6detail15normal_iteratorINSA_10device_ptrIyEEEEPS6_SG_NS0_5tupleIJSF_S6_EEENSH_IJSG_SG_EEES6_PlJNSB_9not_fun_tI7is_trueIyEEEEEE10hipError_tPvRmT3_T4_T5_T6_T7_T9_mT8_P12ihipStream_tbDpT10_ENKUlT_T0_E_clISt17integral_constantIbLb0EES17_IbLb1EEEEDaS13_S14_EUlS13_E_NS1_11comp_targetILNS1_3genE3ELNS1_11target_archE908ELNS1_3gpuE7ELNS1_3repE0EEENS1_30default_config_static_selectorELNS0_4arch9wavefront6targetE0EEEvT1_,comdat
	.protected	_ZN7rocprim17ROCPRIM_400000_NS6detail17trampoline_kernelINS0_14default_configENS1_25partition_config_selectorILNS1_17partition_subalgoE6EyNS0_10empty_typeEbEEZZNS1_14partition_implILS5_6ELb0ES3_mN6thrust23THRUST_200600_302600_NS6detail15normal_iteratorINSA_10device_ptrIyEEEEPS6_SG_NS0_5tupleIJSF_S6_EEENSH_IJSG_SG_EEES6_PlJNSB_9not_fun_tI7is_trueIyEEEEEE10hipError_tPvRmT3_T4_T5_T6_T7_T9_mT8_P12ihipStream_tbDpT10_ENKUlT_T0_E_clISt17integral_constantIbLb0EES17_IbLb1EEEEDaS13_S14_EUlS13_E_NS1_11comp_targetILNS1_3genE3ELNS1_11target_archE908ELNS1_3gpuE7ELNS1_3repE0EEENS1_30default_config_static_selectorELNS0_4arch9wavefront6targetE0EEEvT1_ ; -- Begin function _ZN7rocprim17ROCPRIM_400000_NS6detail17trampoline_kernelINS0_14default_configENS1_25partition_config_selectorILNS1_17partition_subalgoE6EyNS0_10empty_typeEbEEZZNS1_14partition_implILS5_6ELb0ES3_mN6thrust23THRUST_200600_302600_NS6detail15normal_iteratorINSA_10device_ptrIyEEEEPS6_SG_NS0_5tupleIJSF_S6_EEENSH_IJSG_SG_EEES6_PlJNSB_9not_fun_tI7is_trueIyEEEEEE10hipError_tPvRmT3_T4_T5_T6_T7_T9_mT8_P12ihipStream_tbDpT10_ENKUlT_T0_E_clISt17integral_constantIbLb0EES17_IbLb1EEEEDaS13_S14_EUlS13_E_NS1_11comp_targetILNS1_3genE3ELNS1_11target_archE908ELNS1_3gpuE7ELNS1_3repE0EEENS1_30default_config_static_selectorELNS0_4arch9wavefront6targetE0EEEvT1_
	.globl	_ZN7rocprim17ROCPRIM_400000_NS6detail17trampoline_kernelINS0_14default_configENS1_25partition_config_selectorILNS1_17partition_subalgoE6EyNS0_10empty_typeEbEEZZNS1_14partition_implILS5_6ELb0ES3_mN6thrust23THRUST_200600_302600_NS6detail15normal_iteratorINSA_10device_ptrIyEEEEPS6_SG_NS0_5tupleIJSF_S6_EEENSH_IJSG_SG_EEES6_PlJNSB_9not_fun_tI7is_trueIyEEEEEE10hipError_tPvRmT3_T4_T5_T6_T7_T9_mT8_P12ihipStream_tbDpT10_ENKUlT_T0_E_clISt17integral_constantIbLb0EES17_IbLb1EEEEDaS13_S14_EUlS13_E_NS1_11comp_targetILNS1_3genE3ELNS1_11target_archE908ELNS1_3gpuE7ELNS1_3repE0EEENS1_30default_config_static_selectorELNS0_4arch9wavefront6targetE0EEEvT1_
	.p2align	8
	.type	_ZN7rocprim17ROCPRIM_400000_NS6detail17trampoline_kernelINS0_14default_configENS1_25partition_config_selectorILNS1_17partition_subalgoE6EyNS0_10empty_typeEbEEZZNS1_14partition_implILS5_6ELb0ES3_mN6thrust23THRUST_200600_302600_NS6detail15normal_iteratorINSA_10device_ptrIyEEEEPS6_SG_NS0_5tupleIJSF_S6_EEENSH_IJSG_SG_EEES6_PlJNSB_9not_fun_tI7is_trueIyEEEEEE10hipError_tPvRmT3_T4_T5_T6_T7_T9_mT8_P12ihipStream_tbDpT10_ENKUlT_T0_E_clISt17integral_constantIbLb0EES17_IbLb1EEEEDaS13_S14_EUlS13_E_NS1_11comp_targetILNS1_3genE3ELNS1_11target_archE908ELNS1_3gpuE7ELNS1_3repE0EEENS1_30default_config_static_selectorELNS0_4arch9wavefront6targetE0EEEvT1_,@function
_ZN7rocprim17ROCPRIM_400000_NS6detail17trampoline_kernelINS0_14default_configENS1_25partition_config_selectorILNS1_17partition_subalgoE6EyNS0_10empty_typeEbEEZZNS1_14partition_implILS5_6ELb0ES3_mN6thrust23THRUST_200600_302600_NS6detail15normal_iteratorINSA_10device_ptrIyEEEEPS6_SG_NS0_5tupleIJSF_S6_EEENSH_IJSG_SG_EEES6_PlJNSB_9not_fun_tI7is_trueIyEEEEEE10hipError_tPvRmT3_T4_T5_T6_T7_T9_mT8_P12ihipStream_tbDpT10_ENKUlT_T0_E_clISt17integral_constantIbLb0EES17_IbLb1EEEEDaS13_S14_EUlS13_E_NS1_11comp_targetILNS1_3genE3ELNS1_11target_archE908ELNS1_3gpuE7ELNS1_3repE0EEENS1_30default_config_static_selectorELNS0_4arch9wavefront6targetE0EEEvT1_: ; @_ZN7rocprim17ROCPRIM_400000_NS6detail17trampoline_kernelINS0_14default_configENS1_25partition_config_selectorILNS1_17partition_subalgoE6EyNS0_10empty_typeEbEEZZNS1_14partition_implILS5_6ELb0ES3_mN6thrust23THRUST_200600_302600_NS6detail15normal_iteratorINSA_10device_ptrIyEEEEPS6_SG_NS0_5tupleIJSF_S6_EEENSH_IJSG_SG_EEES6_PlJNSB_9not_fun_tI7is_trueIyEEEEEE10hipError_tPvRmT3_T4_T5_T6_T7_T9_mT8_P12ihipStream_tbDpT10_ENKUlT_T0_E_clISt17integral_constantIbLb0EES17_IbLb1EEEEDaS13_S14_EUlS13_E_NS1_11comp_targetILNS1_3genE3ELNS1_11target_archE908ELNS1_3gpuE7ELNS1_3repE0EEENS1_30default_config_static_selectorELNS0_4arch9wavefront6targetE0EEEvT1_
; %bb.0:
	.section	.rodata,"a",@progbits
	.p2align	6, 0x0
	.amdhsa_kernel _ZN7rocprim17ROCPRIM_400000_NS6detail17trampoline_kernelINS0_14default_configENS1_25partition_config_selectorILNS1_17partition_subalgoE6EyNS0_10empty_typeEbEEZZNS1_14partition_implILS5_6ELb0ES3_mN6thrust23THRUST_200600_302600_NS6detail15normal_iteratorINSA_10device_ptrIyEEEEPS6_SG_NS0_5tupleIJSF_S6_EEENSH_IJSG_SG_EEES6_PlJNSB_9not_fun_tI7is_trueIyEEEEEE10hipError_tPvRmT3_T4_T5_T6_T7_T9_mT8_P12ihipStream_tbDpT10_ENKUlT_T0_E_clISt17integral_constantIbLb0EES17_IbLb1EEEEDaS13_S14_EUlS13_E_NS1_11comp_targetILNS1_3genE3ELNS1_11target_archE908ELNS1_3gpuE7ELNS1_3repE0EEENS1_30default_config_static_selectorELNS0_4arch9wavefront6targetE0EEEvT1_
		.amdhsa_group_segment_fixed_size 0
		.amdhsa_private_segment_fixed_size 0
		.amdhsa_kernarg_size 128
		.amdhsa_user_sgpr_count 2
		.amdhsa_user_sgpr_dispatch_ptr 0
		.amdhsa_user_sgpr_queue_ptr 0
		.amdhsa_user_sgpr_kernarg_segment_ptr 1
		.amdhsa_user_sgpr_dispatch_id 0
		.amdhsa_user_sgpr_private_segment_size 0
		.amdhsa_wavefront_size32 1
		.amdhsa_uses_dynamic_stack 0
		.amdhsa_enable_private_segment 0
		.amdhsa_system_sgpr_workgroup_id_x 1
		.amdhsa_system_sgpr_workgroup_id_y 0
		.amdhsa_system_sgpr_workgroup_id_z 0
		.amdhsa_system_sgpr_workgroup_info 0
		.amdhsa_system_vgpr_workitem_id 0
		.amdhsa_next_free_vgpr 1
		.amdhsa_next_free_sgpr 1
		.amdhsa_reserve_vcc 0
		.amdhsa_float_round_mode_32 0
		.amdhsa_float_round_mode_16_64 0
		.amdhsa_float_denorm_mode_32 3
		.amdhsa_float_denorm_mode_16_64 3
		.amdhsa_fp16_overflow 0
		.amdhsa_workgroup_processor_mode 1
		.amdhsa_memory_ordered 1
		.amdhsa_forward_progress 1
		.amdhsa_inst_pref_size 0
		.amdhsa_round_robin_scheduling 0
		.amdhsa_exception_fp_ieee_invalid_op 0
		.amdhsa_exception_fp_denorm_src 0
		.amdhsa_exception_fp_ieee_div_zero 0
		.amdhsa_exception_fp_ieee_overflow 0
		.amdhsa_exception_fp_ieee_underflow 0
		.amdhsa_exception_fp_ieee_inexact 0
		.amdhsa_exception_int_div_zero 0
	.end_amdhsa_kernel
	.section	.text._ZN7rocprim17ROCPRIM_400000_NS6detail17trampoline_kernelINS0_14default_configENS1_25partition_config_selectorILNS1_17partition_subalgoE6EyNS0_10empty_typeEbEEZZNS1_14partition_implILS5_6ELb0ES3_mN6thrust23THRUST_200600_302600_NS6detail15normal_iteratorINSA_10device_ptrIyEEEEPS6_SG_NS0_5tupleIJSF_S6_EEENSH_IJSG_SG_EEES6_PlJNSB_9not_fun_tI7is_trueIyEEEEEE10hipError_tPvRmT3_T4_T5_T6_T7_T9_mT8_P12ihipStream_tbDpT10_ENKUlT_T0_E_clISt17integral_constantIbLb0EES17_IbLb1EEEEDaS13_S14_EUlS13_E_NS1_11comp_targetILNS1_3genE3ELNS1_11target_archE908ELNS1_3gpuE7ELNS1_3repE0EEENS1_30default_config_static_selectorELNS0_4arch9wavefront6targetE0EEEvT1_,"axG",@progbits,_ZN7rocprim17ROCPRIM_400000_NS6detail17trampoline_kernelINS0_14default_configENS1_25partition_config_selectorILNS1_17partition_subalgoE6EyNS0_10empty_typeEbEEZZNS1_14partition_implILS5_6ELb0ES3_mN6thrust23THRUST_200600_302600_NS6detail15normal_iteratorINSA_10device_ptrIyEEEEPS6_SG_NS0_5tupleIJSF_S6_EEENSH_IJSG_SG_EEES6_PlJNSB_9not_fun_tI7is_trueIyEEEEEE10hipError_tPvRmT3_T4_T5_T6_T7_T9_mT8_P12ihipStream_tbDpT10_ENKUlT_T0_E_clISt17integral_constantIbLb0EES17_IbLb1EEEEDaS13_S14_EUlS13_E_NS1_11comp_targetILNS1_3genE3ELNS1_11target_archE908ELNS1_3gpuE7ELNS1_3repE0EEENS1_30default_config_static_selectorELNS0_4arch9wavefront6targetE0EEEvT1_,comdat
.Lfunc_end1136:
	.size	_ZN7rocprim17ROCPRIM_400000_NS6detail17trampoline_kernelINS0_14default_configENS1_25partition_config_selectorILNS1_17partition_subalgoE6EyNS0_10empty_typeEbEEZZNS1_14partition_implILS5_6ELb0ES3_mN6thrust23THRUST_200600_302600_NS6detail15normal_iteratorINSA_10device_ptrIyEEEEPS6_SG_NS0_5tupleIJSF_S6_EEENSH_IJSG_SG_EEES6_PlJNSB_9not_fun_tI7is_trueIyEEEEEE10hipError_tPvRmT3_T4_T5_T6_T7_T9_mT8_P12ihipStream_tbDpT10_ENKUlT_T0_E_clISt17integral_constantIbLb0EES17_IbLb1EEEEDaS13_S14_EUlS13_E_NS1_11comp_targetILNS1_3genE3ELNS1_11target_archE908ELNS1_3gpuE7ELNS1_3repE0EEENS1_30default_config_static_selectorELNS0_4arch9wavefront6targetE0EEEvT1_, .Lfunc_end1136-_ZN7rocprim17ROCPRIM_400000_NS6detail17trampoline_kernelINS0_14default_configENS1_25partition_config_selectorILNS1_17partition_subalgoE6EyNS0_10empty_typeEbEEZZNS1_14partition_implILS5_6ELb0ES3_mN6thrust23THRUST_200600_302600_NS6detail15normal_iteratorINSA_10device_ptrIyEEEEPS6_SG_NS0_5tupleIJSF_S6_EEENSH_IJSG_SG_EEES6_PlJNSB_9not_fun_tI7is_trueIyEEEEEE10hipError_tPvRmT3_T4_T5_T6_T7_T9_mT8_P12ihipStream_tbDpT10_ENKUlT_T0_E_clISt17integral_constantIbLb0EES17_IbLb1EEEEDaS13_S14_EUlS13_E_NS1_11comp_targetILNS1_3genE3ELNS1_11target_archE908ELNS1_3gpuE7ELNS1_3repE0EEENS1_30default_config_static_selectorELNS0_4arch9wavefront6targetE0EEEvT1_
                                        ; -- End function
	.set _ZN7rocprim17ROCPRIM_400000_NS6detail17trampoline_kernelINS0_14default_configENS1_25partition_config_selectorILNS1_17partition_subalgoE6EyNS0_10empty_typeEbEEZZNS1_14partition_implILS5_6ELb0ES3_mN6thrust23THRUST_200600_302600_NS6detail15normal_iteratorINSA_10device_ptrIyEEEEPS6_SG_NS0_5tupleIJSF_S6_EEENSH_IJSG_SG_EEES6_PlJNSB_9not_fun_tI7is_trueIyEEEEEE10hipError_tPvRmT3_T4_T5_T6_T7_T9_mT8_P12ihipStream_tbDpT10_ENKUlT_T0_E_clISt17integral_constantIbLb0EES17_IbLb1EEEEDaS13_S14_EUlS13_E_NS1_11comp_targetILNS1_3genE3ELNS1_11target_archE908ELNS1_3gpuE7ELNS1_3repE0EEENS1_30default_config_static_selectorELNS0_4arch9wavefront6targetE0EEEvT1_.num_vgpr, 0
	.set _ZN7rocprim17ROCPRIM_400000_NS6detail17trampoline_kernelINS0_14default_configENS1_25partition_config_selectorILNS1_17partition_subalgoE6EyNS0_10empty_typeEbEEZZNS1_14partition_implILS5_6ELb0ES3_mN6thrust23THRUST_200600_302600_NS6detail15normal_iteratorINSA_10device_ptrIyEEEEPS6_SG_NS0_5tupleIJSF_S6_EEENSH_IJSG_SG_EEES6_PlJNSB_9not_fun_tI7is_trueIyEEEEEE10hipError_tPvRmT3_T4_T5_T6_T7_T9_mT8_P12ihipStream_tbDpT10_ENKUlT_T0_E_clISt17integral_constantIbLb0EES17_IbLb1EEEEDaS13_S14_EUlS13_E_NS1_11comp_targetILNS1_3genE3ELNS1_11target_archE908ELNS1_3gpuE7ELNS1_3repE0EEENS1_30default_config_static_selectorELNS0_4arch9wavefront6targetE0EEEvT1_.num_agpr, 0
	.set _ZN7rocprim17ROCPRIM_400000_NS6detail17trampoline_kernelINS0_14default_configENS1_25partition_config_selectorILNS1_17partition_subalgoE6EyNS0_10empty_typeEbEEZZNS1_14partition_implILS5_6ELb0ES3_mN6thrust23THRUST_200600_302600_NS6detail15normal_iteratorINSA_10device_ptrIyEEEEPS6_SG_NS0_5tupleIJSF_S6_EEENSH_IJSG_SG_EEES6_PlJNSB_9not_fun_tI7is_trueIyEEEEEE10hipError_tPvRmT3_T4_T5_T6_T7_T9_mT8_P12ihipStream_tbDpT10_ENKUlT_T0_E_clISt17integral_constantIbLb0EES17_IbLb1EEEEDaS13_S14_EUlS13_E_NS1_11comp_targetILNS1_3genE3ELNS1_11target_archE908ELNS1_3gpuE7ELNS1_3repE0EEENS1_30default_config_static_selectorELNS0_4arch9wavefront6targetE0EEEvT1_.numbered_sgpr, 0
	.set _ZN7rocprim17ROCPRIM_400000_NS6detail17trampoline_kernelINS0_14default_configENS1_25partition_config_selectorILNS1_17partition_subalgoE6EyNS0_10empty_typeEbEEZZNS1_14partition_implILS5_6ELb0ES3_mN6thrust23THRUST_200600_302600_NS6detail15normal_iteratorINSA_10device_ptrIyEEEEPS6_SG_NS0_5tupleIJSF_S6_EEENSH_IJSG_SG_EEES6_PlJNSB_9not_fun_tI7is_trueIyEEEEEE10hipError_tPvRmT3_T4_T5_T6_T7_T9_mT8_P12ihipStream_tbDpT10_ENKUlT_T0_E_clISt17integral_constantIbLb0EES17_IbLb1EEEEDaS13_S14_EUlS13_E_NS1_11comp_targetILNS1_3genE3ELNS1_11target_archE908ELNS1_3gpuE7ELNS1_3repE0EEENS1_30default_config_static_selectorELNS0_4arch9wavefront6targetE0EEEvT1_.num_named_barrier, 0
	.set _ZN7rocprim17ROCPRIM_400000_NS6detail17trampoline_kernelINS0_14default_configENS1_25partition_config_selectorILNS1_17partition_subalgoE6EyNS0_10empty_typeEbEEZZNS1_14partition_implILS5_6ELb0ES3_mN6thrust23THRUST_200600_302600_NS6detail15normal_iteratorINSA_10device_ptrIyEEEEPS6_SG_NS0_5tupleIJSF_S6_EEENSH_IJSG_SG_EEES6_PlJNSB_9not_fun_tI7is_trueIyEEEEEE10hipError_tPvRmT3_T4_T5_T6_T7_T9_mT8_P12ihipStream_tbDpT10_ENKUlT_T0_E_clISt17integral_constantIbLb0EES17_IbLb1EEEEDaS13_S14_EUlS13_E_NS1_11comp_targetILNS1_3genE3ELNS1_11target_archE908ELNS1_3gpuE7ELNS1_3repE0EEENS1_30default_config_static_selectorELNS0_4arch9wavefront6targetE0EEEvT1_.private_seg_size, 0
	.set _ZN7rocprim17ROCPRIM_400000_NS6detail17trampoline_kernelINS0_14default_configENS1_25partition_config_selectorILNS1_17partition_subalgoE6EyNS0_10empty_typeEbEEZZNS1_14partition_implILS5_6ELb0ES3_mN6thrust23THRUST_200600_302600_NS6detail15normal_iteratorINSA_10device_ptrIyEEEEPS6_SG_NS0_5tupleIJSF_S6_EEENSH_IJSG_SG_EEES6_PlJNSB_9not_fun_tI7is_trueIyEEEEEE10hipError_tPvRmT3_T4_T5_T6_T7_T9_mT8_P12ihipStream_tbDpT10_ENKUlT_T0_E_clISt17integral_constantIbLb0EES17_IbLb1EEEEDaS13_S14_EUlS13_E_NS1_11comp_targetILNS1_3genE3ELNS1_11target_archE908ELNS1_3gpuE7ELNS1_3repE0EEENS1_30default_config_static_selectorELNS0_4arch9wavefront6targetE0EEEvT1_.uses_vcc, 0
	.set _ZN7rocprim17ROCPRIM_400000_NS6detail17trampoline_kernelINS0_14default_configENS1_25partition_config_selectorILNS1_17partition_subalgoE6EyNS0_10empty_typeEbEEZZNS1_14partition_implILS5_6ELb0ES3_mN6thrust23THRUST_200600_302600_NS6detail15normal_iteratorINSA_10device_ptrIyEEEEPS6_SG_NS0_5tupleIJSF_S6_EEENSH_IJSG_SG_EEES6_PlJNSB_9not_fun_tI7is_trueIyEEEEEE10hipError_tPvRmT3_T4_T5_T6_T7_T9_mT8_P12ihipStream_tbDpT10_ENKUlT_T0_E_clISt17integral_constantIbLb0EES17_IbLb1EEEEDaS13_S14_EUlS13_E_NS1_11comp_targetILNS1_3genE3ELNS1_11target_archE908ELNS1_3gpuE7ELNS1_3repE0EEENS1_30default_config_static_selectorELNS0_4arch9wavefront6targetE0EEEvT1_.uses_flat_scratch, 0
	.set _ZN7rocprim17ROCPRIM_400000_NS6detail17trampoline_kernelINS0_14default_configENS1_25partition_config_selectorILNS1_17partition_subalgoE6EyNS0_10empty_typeEbEEZZNS1_14partition_implILS5_6ELb0ES3_mN6thrust23THRUST_200600_302600_NS6detail15normal_iteratorINSA_10device_ptrIyEEEEPS6_SG_NS0_5tupleIJSF_S6_EEENSH_IJSG_SG_EEES6_PlJNSB_9not_fun_tI7is_trueIyEEEEEE10hipError_tPvRmT3_T4_T5_T6_T7_T9_mT8_P12ihipStream_tbDpT10_ENKUlT_T0_E_clISt17integral_constantIbLb0EES17_IbLb1EEEEDaS13_S14_EUlS13_E_NS1_11comp_targetILNS1_3genE3ELNS1_11target_archE908ELNS1_3gpuE7ELNS1_3repE0EEENS1_30default_config_static_selectorELNS0_4arch9wavefront6targetE0EEEvT1_.has_dyn_sized_stack, 0
	.set _ZN7rocprim17ROCPRIM_400000_NS6detail17trampoline_kernelINS0_14default_configENS1_25partition_config_selectorILNS1_17partition_subalgoE6EyNS0_10empty_typeEbEEZZNS1_14partition_implILS5_6ELb0ES3_mN6thrust23THRUST_200600_302600_NS6detail15normal_iteratorINSA_10device_ptrIyEEEEPS6_SG_NS0_5tupleIJSF_S6_EEENSH_IJSG_SG_EEES6_PlJNSB_9not_fun_tI7is_trueIyEEEEEE10hipError_tPvRmT3_T4_T5_T6_T7_T9_mT8_P12ihipStream_tbDpT10_ENKUlT_T0_E_clISt17integral_constantIbLb0EES17_IbLb1EEEEDaS13_S14_EUlS13_E_NS1_11comp_targetILNS1_3genE3ELNS1_11target_archE908ELNS1_3gpuE7ELNS1_3repE0EEENS1_30default_config_static_selectorELNS0_4arch9wavefront6targetE0EEEvT1_.has_recursion, 0
	.set _ZN7rocprim17ROCPRIM_400000_NS6detail17trampoline_kernelINS0_14default_configENS1_25partition_config_selectorILNS1_17partition_subalgoE6EyNS0_10empty_typeEbEEZZNS1_14partition_implILS5_6ELb0ES3_mN6thrust23THRUST_200600_302600_NS6detail15normal_iteratorINSA_10device_ptrIyEEEEPS6_SG_NS0_5tupleIJSF_S6_EEENSH_IJSG_SG_EEES6_PlJNSB_9not_fun_tI7is_trueIyEEEEEE10hipError_tPvRmT3_T4_T5_T6_T7_T9_mT8_P12ihipStream_tbDpT10_ENKUlT_T0_E_clISt17integral_constantIbLb0EES17_IbLb1EEEEDaS13_S14_EUlS13_E_NS1_11comp_targetILNS1_3genE3ELNS1_11target_archE908ELNS1_3gpuE7ELNS1_3repE0EEENS1_30default_config_static_selectorELNS0_4arch9wavefront6targetE0EEEvT1_.has_indirect_call, 0
	.section	.AMDGPU.csdata,"",@progbits
; Kernel info:
; codeLenInByte = 0
; TotalNumSgprs: 0
; NumVgprs: 0
; ScratchSize: 0
; MemoryBound: 0
; FloatMode: 240
; IeeeMode: 1
; LDSByteSize: 0 bytes/workgroup (compile time only)
; SGPRBlocks: 0
; VGPRBlocks: 0
; NumSGPRsForWavesPerEU: 1
; NumVGPRsForWavesPerEU: 1
; Occupancy: 16
; WaveLimiterHint : 0
; COMPUTE_PGM_RSRC2:SCRATCH_EN: 0
; COMPUTE_PGM_RSRC2:USER_SGPR: 2
; COMPUTE_PGM_RSRC2:TRAP_HANDLER: 0
; COMPUTE_PGM_RSRC2:TGID_X_EN: 1
; COMPUTE_PGM_RSRC2:TGID_Y_EN: 0
; COMPUTE_PGM_RSRC2:TGID_Z_EN: 0
; COMPUTE_PGM_RSRC2:TIDIG_COMP_CNT: 0
	.section	.text._ZN7rocprim17ROCPRIM_400000_NS6detail17trampoline_kernelINS0_14default_configENS1_25partition_config_selectorILNS1_17partition_subalgoE6EyNS0_10empty_typeEbEEZZNS1_14partition_implILS5_6ELb0ES3_mN6thrust23THRUST_200600_302600_NS6detail15normal_iteratorINSA_10device_ptrIyEEEEPS6_SG_NS0_5tupleIJSF_S6_EEENSH_IJSG_SG_EEES6_PlJNSB_9not_fun_tI7is_trueIyEEEEEE10hipError_tPvRmT3_T4_T5_T6_T7_T9_mT8_P12ihipStream_tbDpT10_ENKUlT_T0_E_clISt17integral_constantIbLb0EES17_IbLb1EEEEDaS13_S14_EUlS13_E_NS1_11comp_targetILNS1_3genE2ELNS1_11target_archE906ELNS1_3gpuE6ELNS1_3repE0EEENS1_30default_config_static_selectorELNS0_4arch9wavefront6targetE0EEEvT1_,"axG",@progbits,_ZN7rocprim17ROCPRIM_400000_NS6detail17trampoline_kernelINS0_14default_configENS1_25partition_config_selectorILNS1_17partition_subalgoE6EyNS0_10empty_typeEbEEZZNS1_14partition_implILS5_6ELb0ES3_mN6thrust23THRUST_200600_302600_NS6detail15normal_iteratorINSA_10device_ptrIyEEEEPS6_SG_NS0_5tupleIJSF_S6_EEENSH_IJSG_SG_EEES6_PlJNSB_9not_fun_tI7is_trueIyEEEEEE10hipError_tPvRmT3_T4_T5_T6_T7_T9_mT8_P12ihipStream_tbDpT10_ENKUlT_T0_E_clISt17integral_constantIbLb0EES17_IbLb1EEEEDaS13_S14_EUlS13_E_NS1_11comp_targetILNS1_3genE2ELNS1_11target_archE906ELNS1_3gpuE6ELNS1_3repE0EEENS1_30default_config_static_selectorELNS0_4arch9wavefront6targetE0EEEvT1_,comdat
	.protected	_ZN7rocprim17ROCPRIM_400000_NS6detail17trampoline_kernelINS0_14default_configENS1_25partition_config_selectorILNS1_17partition_subalgoE6EyNS0_10empty_typeEbEEZZNS1_14partition_implILS5_6ELb0ES3_mN6thrust23THRUST_200600_302600_NS6detail15normal_iteratorINSA_10device_ptrIyEEEEPS6_SG_NS0_5tupleIJSF_S6_EEENSH_IJSG_SG_EEES6_PlJNSB_9not_fun_tI7is_trueIyEEEEEE10hipError_tPvRmT3_T4_T5_T6_T7_T9_mT8_P12ihipStream_tbDpT10_ENKUlT_T0_E_clISt17integral_constantIbLb0EES17_IbLb1EEEEDaS13_S14_EUlS13_E_NS1_11comp_targetILNS1_3genE2ELNS1_11target_archE906ELNS1_3gpuE6ELNS1_3repE0EEENS1_30default_config_static_selectorELNS0_4arch9wavefront6targetE0EEEvT1_ ; -- Begin function _ZN7rocprim17ROCPRIM_400000_NS6detail17trampoline_kernelINS0_14default_configENS1_25partition_config_selectorILNS1_17partition_subalgoE6EyNS0_10empty_typeEbEEZZNS1_14partition_implILS5_6ELb0ES3_mN6thrust23THRUST_200600_302600_NS6detail15normal_iteratorINSA_10device_ptrIyEEEEPS6_SG_NS0_5tupleIJSF_S6_EEENSH_IJSG_SG_EEES6_PlJNSB_9not_fun_tI7is_trueIyEEEEEE10hipError_tPvRmT3_T4_T5_T6_T7_T9_mT8_P12ihipStream_tbDpT10_ENKUlT_T0_E_clISt17integral_constantIbLb0EES17_IbLb1EEEEDaS13_S14_EUlS13_E_NS1_11comp_targetILNS1_3genE2ELNS1_11target_archE906ELNS1_3gpuE6ELNS1_3repE0EEENS1_30default_config_static_selectorELNS0_4arch9wavefront6targetE0EEEvT1_
	.globl	_ZN7rocprim17ROCPRIM_400000_NS6detail17trampoline_kernelINS0_14default_configENS1_25partition_config_selectorILNS1_17partition_subalgoE6EyNS0_10empty_typeEbEEZZNS1_14partition_implILS5_6ELb0ES3_mN6thrust23THRUST_200600_302600_NS6detail15normal_iteratorINSA_10device_ptrIyEEEEPS6_SG_NS0_5tupleIJSF_S6_EEENSH_IJSG_SG_EEES6_PlJNSB_9not_fun_tI7is_trueIyEEEEEE10hipError_tPvRmT3_T4_T5_T6_T7_T9_mT8_P12ihipStream_tbDpT10_ENKUlT_T0_E_clISt17integral_constantIbLb0EES17_IbLb1EEEEDaS13_S14_EUlS13_E_NS1_11comp_targetILNS1_3genE2ELNS1_11target_archE906ELNS1_3gpuE6ELNS1_3repE0EEENS1_30default_config_static_selectorELNS0_4arch9wavefront6targetE0EEEvT1_
	.p2align	8
	.type	_ZN7rocprim17ROCPRIM_400000_NS6detail17trampoline_kernelINS0_14default_configENS1_25partition_config_selectorILNS1_17partition_subalgoE6EyNS0_10empty_typeEbEEZZNS1_14partition_implILS5_6ELb0ES3_mN6thrust23THRUST_200600_302600_NS6detail15normal_iteratorINSA_10device_ptrIyEEEEPS6_SG_NS0_5tupleIJSF_S6_EEENSH_IJSG_SG_EEES6_PlJNSB_9not_fun_tI7is_trueIyEEEEEE10hipError_tPvRmT3_T4_T5_T6_T7_T9_mT8_P12ihipStream_tbDpT10_ENKUlT_T0_E_clISt17integral_constantIbLb0EES17_IbLb1EEEEDaS13_S14_EUlS13_E_NS1_11comp_targetILNS1_3genE2ELNS1_11target_archE906ELNS1_3gpuE6ELNS1_3repE0EEENS1_30default_config_static_selectorELNS0_4arch9wavefront6targetE0EEEvT1_,@function
_ZN7rocprim17ROCPRIM_400000_NS6detail17trampoline_kernelINS0_14default_configENS1_25partition_config_selectorILNS1_17partition_subalgoE6EyNS0_10empty_typeEbEEZZNS1_14partition_implILS5_6ELb0ES3_mN6thrust23THRUST_200600_302600_NS6detail15normal_iteratorINSA_10device_ptrIyEEEEPS6_SG_NS0_5tupleIJSF_S6_EEENSH_IJSG_SG_EEES6_PlJNSB_9not_fun_tI7is_trueIyEEEEEE10hipError_tPvRmT3_T4_T5_T6_T7_T9_mT8_P12ihipStream_tbDpT10_ENKUlT_T0_E_clISt17integral_constantIbLb0EES17_IbLb1EEEEDaS13_S14_EUlS13_E_NS1_11comp_targetILNS1_3genE2ELNS1_11target_archE906ELNS1_3gpuE6ELNS1_3repE0EEENS1_30default_config_static_selectorELNS0_4arch9wavefront6targetE0EEEvT1_: ; @_ZN7rocprim17ROCPRIM_400000_NS6detail17trampoline_kernelINS0_14default_configENS1_25partition_config_selectorILNS1_17partition_subalgoE6EyNS0_10empty_typeEbEEZZNS1_14partition_implILS5_6ELb0ES3_mN6thrust23THRUST_200600_302600_NS6detail15normal_iteratorINSA_10device_ptrIyEEEEPS6_SG_NS0_5tupleIJSF_S6_EEENSH_IJSG_SG_EEES6_PlJNSB_9not_fun_tI7is_trueIyEEEEEE10hipError_tPvRmT3_T4_T5_T6_T7_T9_mT8_P12ihipStream_tbDpT10_ENKUlT_T0_E_clISt17integral_constantIbLb0EES17_IbLb1EEEEDaS13_S14_EUlS13_E_NS1_11comp_targetILNS1_3genE2ELNS1_11target_archE906ELNS1_3gpuE6ELNS1_3repE0EEENS1_30default_config_static_selectorELNS0_4arch9wavefront6targetE0EEEvT1_
; %bb.0:
	.section	.rodata,"a",@progbits
	.p2align	6, 0x0
	.amdhsa_kernel _ZN7rocprim17ROCPRIM_400000_NS6detail17trampoline_kernelINS0_14default_configENS1_25partition_config_selectorILNS1_17partition_subalgoE6EyNS0_10empty_typeEbEEZZNS1_14partition_implILS5_6ELb0ES3_mN6thrust23THRUST_200600_302600_NS6detail15normal_iteratorINSA_10device_ptrIyEEEEPS6_SG_NS0_5tupleIJSF_S6_EEENSH_IJSG_SG_EEES6_PlJNSB_9not_fun_tI7is_trueIyEEEEEE10hipError_tPvRmT3_T4_T5_T6_T7_T9_mT8_P12ihipStream_tbDpT10_ENKUlT_T0_E_clISt17integral_constantIbLb0EES17_IbLb1EEEEDaS13_S14_EUlS13_E_NS1_11comp_targetILNS1_3genE2ELNS1_11target_archE906ELNS1_3gpuE6ELNS1_3repE0EEENS1_30default_config_static_selectorELNS0_4arch9wavefront6targetE0EEEvT1_
		.amdhsa_group_segment_fixed_size 0
		.amdhsa_private_segment_fixed_size 0
		.amdhsa_kernarg_size 128
		.amdhsa_user_sgpr_count 2
		.amdhsa_user_sgpr_dispatch_ptr 0
		.amdhsa_user_sgpr_queue_ptr 0
		.amdhsa_user_sgpr_kernarg_segment_ptr 1
		.amdhsa_user_sgpr_dispatch_id 0
		.amdhsa_user_sgpr_private_segment_size 0
		.amdhsa_wavefront_size32 1
		.amdhsa_uses_dynamic_stack 0
		.amdhsa_enable_private_segment 0
		.amdhsa_system_sgpr_workgroup_id_x 1
		.amdhsa_system_sgpr_workgroup_id_y 0
		.amdhsa_system_sgpr_workgroup_id_z 0
		.amdhsa_system_sgpr_workgroup_info 0
		.amdhsa_system_vgpr_workitem_id 0
		.amdhsa_next_free_vgpr 1
		.amdhsa_next_free_sgpr 1
		.amdhsa_reserve_vcc 0
		.amdhsa_float_round_mode_32 0
		.amdhsa_float_round_mode_16_64 0
		.amdhsa_float_denorm_mode_32 3
		.amdhsa_float_denorm_mode_16_64 3
		.amdhsa_fp16_overflow 0
		.amdhsa_workgroup_processor_mode 1
		.amdhsa_memory_ordered 1
		.amdhsa_forward_progress 1
		.amdhsa_inst_pref_size 0
		.amdhsa_round_robin_scheduling 0
		.amdhsa_exception_fp_ieee_invalid_op 0
		.amdhsa_exception_fp_denorm_src 0
		.amdhsa_exception_fp_ieee_div_zero 0
		.amdhsa_exception_fp_ieee_overflow 0
		.amdhsa_exception_fp_ieee_underflow 0
		.amdhsa_exception_fp_ieee_inexact 0
		.amdhsa_exception_int_div_zero 0
	.end_amdhsa_kernel
	.section	.text._ZN7rocprim17ROCPRIM_400000_NS6detail17trampoline_kernelINS0_14default_configENS1_25partition_config_selectorILNS1_17partition_subalgoE6EyNS0_10empty_typeEbEEZZNS1_14partition_implILS5_6ELb0ES3_mN6thrust23THRUST_200600_302600_NS6detail15normal_iteratorINSA_10device_ptrIyEEEEPS6_SG_NS0_5tupleIJSF_S6_EEENSH_IJSG_SG_EEES6_PlJNSB_9not_fun_tI7is_trueIyEEEEEE10hipError_tPvRmT3_T4_T5_T6_T7_T9_mT8_P12ihipStream_tbDpT10_ENKUlT_T0_E_clISt17integral_constantIbLb0EES17_IbLb1EEEEDaS13_S14_EUlS13_E_NS1_11comp_targetILNS1_3genE2ELNS1_11target_archE906ELNS1_3gpuE6ELNS1_3repE0EEENS1_30default_config_static_selectorELNS0_4arch9wavefront6targetE0EEEvT1_,"axG",@progbits,_ZN7rocprim17ROCPRIM_400000_NS6detail17trampoline_kernelINS0_14default_configENS1_25partition_config_selectorILNS1_17partition_subalgoE6EyNS0_10empty_typeEbEEZZNS1_14partition_implILS5_6ELb0ES3_mN6thrust23THRUST_200600_302600_NS6detail15normal_iteratorINSA_10device_ptrIyEEEEPS6_SG_NS0_5tupleIJSF_S6_EEENSH_IJSG_SG_EEES6_PlJNSB_9not_fun_tI7is_trueIyEEEEEE10hipError_tPvRmT3_T4_T5_T6_T7_T9_mT8_P12ihipStream_tbDpT10_ENKUlT_T0_E_clISt17integral_constantIbLb0EES17_IbLb1EEEEDaS13_S14_EUlS13_E_NS1_11comp_targetILNS1_3genE2ELNS1_11target_archE906ELNS1_3gpuE6ELNS1_3repE0EEENS1_30default_config_static_selectorELNS0_4arch9wavefront6targetE0EEEvT1_,comdat
.Lfunc_end1137:
	.size	_ZN7rocprim17ROCPRIM_400000_NS6detail17trampoline_kernelINS0_14default_configENS1_25partition_config_selectorILNS1_17partition_subalgoE6EyNS0_10empty_typeEbEEZZNS1_14partition_implILS5_6ELb0ES3_mN6thrust23THRUST_200600_302600_NS6detail15normal_iteratorINSA_10device_ptrIyEEEEPS6_SG_NS0_5tupleIJSF_S6_EEENSH_IJSG_SG_EEES6_PlJNSB_9not_fun_tI7is_trueIyEEEEEE10hipError_tPvRmT3_T4_T5_T6_T7_T9_mT8_P12ihipStream_tbDpT10_ENKUlT_T0_E_clISt17integral_constantIbLb0EES17_IbLb1EEEEDaS13_S14_EUlS13_E_NS1_11comp_targetILNS1_3genE2ELNS1_11target_archE906ELNS1_3gpuE6ELNS1_3repE0EEENS1_30default_config_static_selectorELNS0_4arch9wavefront6targetE0EEEvT1_, .Lfunc_end1137-_ZN7rocprim17ROCPRIM_400000_NS6detail17trampoline_kernelINS0_14default_configENS1_25partition_config_selectorILNS1_17partition_subalgoE6EyNS0_10empty_typeEbEEZZNS1_14partition_implILS5_6ELb0ES3_mN6thrust23THRUST_200600_302600_NS6detail15normal_iteratorINSA_10device_ptrIyEEEEPS6_SG_NS0_5tupleIJSF_S6_EEENSH_IJSG_SG_EEES6_PlJNSB_9not_fun_tI7is_trueIyEEEEEE10hipError_tPvRmT3_T4_T5_T6_T7_T9_mT8_P12ihipStream_tbDpT10_ENKUlT_T0_E_clISt17integral_constantIbLb0EES17_IbLb1EEEEDaS13_S14_EUlS13_E_NS1_11comp_targetILNS1_3genE2ELNS1_11target_archE906ELNS1_3gpuE6ELNS1_3repE0EEENS1_30default_config_static_selectorELNS0_4arch9wavefront6targetE0EEEvT1_
                                        ; -- End function
	.set _ZN7rocprim17ROCPRIM_400000_NS6detail17trampoline_kernelINS0_14default_configENS1_25partition_config_selectorILNS1_17partition_subalgoE6EyNS0_10empty_typeEbEEZZNS1_14partition_implILS5_6ELb0ES3_mN6thrust23THRUST_200600_302600_NS6detail15normal_iteratorINSA_10device_ptrIyEEEEPS6_SG_NS0_5tupleIJSF_S6_EEENSH_IJSG_SG_EEES6_PlJNSB_9not_fun_tI7is_trueIyEEEEEE10hipError_tPvRmT3_T4_T5_T6_T7_T9_mT8_P12ihipStream_tbDpT10_ENKUlT_T0_E_clISt17integral_constantIbLb0EES17_IbLb1EEEEDaS13_S14_EUlS13_E_NS1_11comp_targetILNS1_3genE2ELNS1_11target_archE906ELNS1_3gpuE6ELNS1_3repE0EEENS1_30default_config_static_selectorELNS0_4arch9wavefront6targetE0EEEvT1_.num_vgpr, 0
	.set _ZN7rocprim17ROCPRIM_400000_NS6detail17trampoline_kernelINS0_14default_configENS1_25partition_config_selectorILNS1_17partition_subalgoE6EyNS0_10empty_typeEbEEZZNS1_14partition_implILS5_6ELb0ES3_mN6thrust23THRUST_200600_302600_NS6detail15normal_iteratorINSA_10device_ptrIyEEEEPS6_SG_NS0_5tupleIJSF_S6_EEENSH_IJSG_SG_EEES6_PlJNSB_9not_fun_tI7is_trueIyEEEEEE10hipError_tPvRmT3_T4_T5_T6_T7_T9_mT8_P12ihipStream_tbDpT10_ENKUlT_T0_E_clISt17integral_constantIbLb0EES17_IbLb1EEEEDaS13_S14_EUlS13_E_NS1_11comp_targetILNS1_3genE2ELNS1_11target_archE906ELNS1_3gpuE6ELNS1_3repE0EEENS1_30default_config_static_selectorELNS0_4arch9wavefront6targetE0EEEvT1_.num_agpr, 0
	.set _ZN7rocprim17ROCPRIM_400000_NS6detail17trampoline_kernelINS0_14default_configENS1_25partition_config_selectorILNS1_17partition_subalgoE6EyNS0_10empty_typeEbEEZZNS1_14partition_implILS5_6ELb0ES3_mN6thrust23THRUST_200600_302600_NS6detail15normal_iteratorINSA_10device_ptrIyEEEEPS6_SG_NS0_5tupleIJSF_S6_EEENSH_IJSG_SG_EEES6_PlJNSB_9not_fun_tI7is_trueIyEEEEEE10hipError_tPvRmT3_T4_T5_T6_T7_T9_mT8_P12ihipStream_tbDpT10_ENKUlT_T0_E_clISt17integral_constantIbLb0EES17_IbLb1EEEEDaS13_S14_EUlS13_E_NS1_11comp_targetILNS1_3genE2ELNS1_11target_archE906ELNS1_3gpuE6ELNS1_3repE0EEENS1_30default_config_static_selectorELNS0_4arch9wavefront6targetE0EEEvT1_.numbered_sgpr, 0
	.set _ZN7rocprim17ROCPRIM_400000_NS6detail17trampoline_kernelINS0_14default_configENS1_25partition_config_selectorILNS1_17partition_subalgoE6EyNS0_10empty_typeEbEEZZNS1_14partition_implILS5_6ELb0ES3_mN6thrust23THRUST_200600_302600_NS6detail15normal_iteratorINSA_10device_ptrIyEEEEPS6_SG_NS0_5tupleIJSF_S6_EEENSH_IJSG_SG_EEES6_PlJNSB_9not_fun_tI7is_trueIyEEEEEE10hipError_tPvRmT3_T4_T5_T6_T7_T9_mT8_P12ihipStream_tbDpT10_ENKUlT_T0_E_clISt17integral_constantIbLb0EES17_IbLb1EEEEDaS13_S14_EUlS13_E_NS1_11comp_targetILNS1_3genE2ELNS1_11target_archE906ELNS1_3gpuE6ELNS1_3repE0EEENS1_30default_config_static_selectorELNS0_4arch9wavefront6targetE0EEEvT1_.num_named_barrier, 0
	.set _ZN7rocprim17ROCPRIM_400000_NS6detail17trampoline_kernelINS0_14default_configENS1_25partition_config_selectorILNS1_17partition_subalgoE6EyNS0_10empty_typeEbEEZZNS1_14partition_implILS5_6ELb0ES3_mN6thrust23THRUST_200600_302600_NS6detail15normal_iteratorINSA_10device_ptrIyEEEEPS6_SG_NS0_5tupleIJSF_S6_EEENSH_IJSG_SG_EEES6_PlJNSB_9not_fun_tI7is_trueIyEEEEEE10hipError_tPvRmT3_T4_T5_T6_T7_T9_mT8_P12ihipStream_tbDpT10_ENKUlT_T0_E_clISt17integral_constantIbLb0EES17_IbLb1EEEEDaS13_S14_EUlS13_E_NS1_11comp_targetILNS1_3genE2ELNS1_11target_archE906ELNS1_3gpuE6ELNS1_3repE0EEENS1_30default_config_static_selectorELNS0_4arch9wavefront6targetE0EEEvT1_.private_seg_size, 0
	.set _ZN7rocprim17ROCPRIM_400000_NS6detail17trampoline_kernelINS0_14default_configENS1_25partition_config_selectorILNS1_17partition_subalgoE6EyNS0_10empty_typeEbEEZZNS1_14partition_implILS5_6ELb0ES3_mN6thrust23THRUST_200600_302600_NS6detail15normal_iteratorINSA_10device_ptrIyEEEEPS6_SG_NS0_5tupleIJSF_S6_EEENSH_IJSG_SG_EEES6_PlJNSB_9not_fun_tI7is_trueIyEEEEEE10hipError_tPvRmT3_T4_T5_T6_T7_T9_mT8_P12ihipStream_tbDpT10_ENKUlT_T0_E_clISt17integral_constantIbLb0EES17_IbLb1EEEEDaS13_S14_EUlS13_E_NS1_11comp_targetILNS1_3genE2ELNS1_11target_archE906ELNS1_3gpuE6ELNS1_3repE0EEENS1_30default_config_static_selectorELNS0_4arch9wavefront6targetE0EEEvT1_.uses_vcc, 0
	.set _ZN7rocprim17ROCPRIM_400000_NS6detail17trampoline_kernelINS0_14default_configENS1_25partition_config_selectorILNS1_17partition_subalgoE6EyNS0_10empty_typeEbEEZZNS1_14partition_implILS5_6ELb0ES3_mN6thrust23THRUST_200600_302600_NS6detail15normal_iteratorINSA_10device_ptrIyEEEEPS6_SG_NS0_5tupleIJSF_S6_EEENSH_IJSG_SG_EEES6_PlJNSB_9not_fun_tI7is_trueIyEEEEEE10hipError_tPvRmT3_T4_T5_T6_T7_T9_mT8_P12ihipStream_tbDpT10_ENKUlT_T0_E_clISt17integral_constantIbLb0EES17_IbLb1EEEEDaS13_S14_EUlS13_E_NS1_11comp_targetILNS1_3genE2ELNS1_11target_archE906ELNS1_3gpuE6ELNS1_3repE0EEENS1_30default_config_static_selectorELNS0_4arch9wavefront6targetE0EEEvT1_.uses_flat_scratch, 0
	.set _ZN7rocprim17ROCPRIM_400000_NS6detail17trampoline_kernelINS0_14default_configENS1_25partition_config_selectorILNS1_17partition_subalgoE6EyNS0_10empty_typeEbEEZZNS1_14partition_implILS5_6ELb0ES3_mN6thrust23THRUST_200600_302600_NS6detail15normal_iteratorINSA_10device_ptrIyEEEEPS6_SG_NS0_5tupleIJSF_S6_EEENSH_IJSG_SG_EEES6_PlJNSB_9not_fun_tI7is_trueIyEEEEEE10hipError_tPvRmT3_T4_T5_T6_T7_T9_mT8_P12ihipStream_tbDpT10_ENKUlT_T0_E_clISt17integral_constantIbLb0EES17_IbLb1EEEEDaS13_S14_EUlS13_E_NS1_11comp_targetILNS1_3genE2ELNS1_11target_archE906ELNS1_3gpuE6ELNS1_3repE0EEENS1_30default_config_static_selectorELNS0_4arch9wavefront6targetE0EEEvT1_.has_dyn_sized_stack, 0
	.set _ZN7rocprim17ROCPRIM_400000_NS6detail17trampoline_kernelINS0_14default_configENS1_25partition_config_selectorILNS1_17partition_subalgoE6EyNS0_10empty_typeEbEEZZNS1_14partition_implILS5_6ELb0ES3_mN6thrust23THRUST_200600_302600_NS6detail15normal_iteratorINSA_10device_ptrIyEEEEPS6_SG_NS0_5tupleIJSF_S6_EEENSH_IJSG_SG_EEES6_PlJNSB_9not_fun_tI7is_trueIyEEEEEE10hipError_tPvRmT3_T4_T5_T6_T7_T9_mT8_P12ihipStream_tbDpT10_ENKUlT_T0_E_clISt17integral_constantIbLb0EES17_IbLb1EEEEDaS13_S14_EUlS13_E_NS1_11comp_targetILNS1_3genE2ELNS1_11target_archE906ELNS1_3gpuE6ELNS1_3repE0EEENS1_30default_config_static_selectorELNS0_4arch9wavefront6targetE0EEEvT1_.has_recursion, 0
	.set _ZN7rocprim17ROCPRIM_400000_NS6detail17trampoline_kernelINS0_14default_configENS1_25partition_config_selectorILNS1_17partition_subalgoE6EyNS0_10empty_typeEbEEZZNS1_14partition_implILS5_6ELb0ES3_mN6thrust23THRUST_200600_302600_NS6detail15normal_iteratorINSA_10device_ptrIyEEEEPS6_SG_NS0_5tupleIJSF_S6_EEENSH_IJSG_SG_EEES6_PlJNSB_9not_fun_tI7is_trueIyEEEEEE10hipError_tPvRmT3_T4_T5_T6_T7_T9_mT8_P12ihipStream_tbDpT10_ENKUlT_T0_E_clISt17integral_constantIbLb0EES17_IbLb1EEEEDaS13_S14_EUlS13_E_NS1_11comp_targetILNS1_3genE2ELNS1_11target_archE906ELNS1_3gpuE6ELNS1_3repE0EEENS1_30default_config_static_selectorELNS0_4arch9wavefront6targetE0EEEvT1_.has_indirect_call, 0
	.section	.AMDGPU.csdata,"",@progbits
; Kernel info:
; codeLenInByte = 0
; TotalNumSgprs: 0
; NumVgprs: 0
; ScratchSize: 0
; MemoryBound: 0
; FloatMode: 240
; IeeeMode: 1
; LDSByteSize: 0 bytes/workgroup (compile time only)
; SGPRBlocks: 0
; VGPRBlocks: 0
; NumSGPRsForWavesPerEU: 1
; NumVGPRsForWavesPerEU: 1
; Occupancy: 16
; WaveLimiterHint : 0
; COMPUTE_PGM_RSRC2:SCRATCH_EN: 0
; COMPUTE_PGM_RSRC2:USER_SGPR: 2
; COMPUTE_PGM_RSRC2:TRAP_HANDLER: 0
; COMPUTE_PGM_RSRC2:TGID_X_EN: 1
; COMPUTE_PGM_RSRC2:TGID_Y_EN: 0
; COMPUTE_PGM_RSRC2:TGID_Z_EN: 0
; COMPUTE_PGM_RSRC2:TIDIG_COMP_CNT: 0
	.section	.text._ZN7rocprim17ROCPRIM_400000_NS6detail17trampoline_kernelINS0_14default_configENS1_25partition_config_selectorILNS1_17partition_subalgoE6EyNS0_10empty_typeEbEEZZNS1_14partition_implILS5_6ELb0ES3_mN6thrust23THRUST_200600_302600_NS6detail15normal_iteratorINSA_10device_ptrIyEEEEPS6_SG_NS0_5tupleIJSF_S6_EEENSH_IJSG_SG_EEES6_PlJNSB_9not_fun_tI7is_trueIyEEEEEE10hipError_tPvRmT3_T4_T5_T6_T7_T9_mT8_P12ihipStream_tbDpT10_ENKUlT_T0_E_clISt17integral_constantIbLb0EES17_IbLb1EEEEDaS13_S14_EUlS13_E_NS1_11comp_targetILNS1_3genE10ELNS1_11target_archE1200ELNS1_3gpuE4ELNS1_3repE0EEENS1_30default_config_static_selectorELNS0_4arch9wavefront6targetE0EEEvT1_,"axG",@progbits,_ZN7rocprim17ROCPRIM_400000_NS6detail17trampoline_kernelINS0_14default_configENS1_25partition_config_selectorILNS1_17partition_subalgoE6EyNS0_10empty_typeEbEEZZNS1_14partition_implILS5_6ELb0ES3_mN6thrust23THRUST_200600_302600_NS6detail15normal_iteratorINSA_10device_ptrIyEEEEPS6_SG_NS0_5tupleIJSF_S6_EEENSH_IJSG_SG_EEES6_PlJNSB_9not_fun_tI7is_trueIyEEEEEE10hipError_tPvRmT3_T4_T5_T6_T7_T9_mT8_P12ihipStream_tbDpT10_ENKUlT_T0_E_clISt17integral_constantIbLb0EES17_IbLb1EEEEDaS13_S14_EUlS13_E_NS1_11comp_targetILNS1_3genE10ELNS1_11target_archE1200ELNS1_3gpuE4ELNS1_3repE0EEENS1_30default_config_static_selectorELNS0_4arch9wavefront6targetE0EEEvT1_,comdat
	.protected	_ZN7rocprim17ROCPRIM_400000_NS6detail17trampoline_kernelINS0_14default_configENS1_25partition_config_selectorILNS1_17partition_subalgoE6EyNS0_10empty_typeEbEEZZNS1_14partition_implILS5_6ELb0ES3_mN6thrust23THRUST_200600_302600_NS6detail15normal_iteratorINSA_10device_ptrIyEEEEPS6_SG_NS0_5tupleIJSF_S6_EEENSH_IJSG_SG_EEES6_PlJNSB_9not_fun_tI7is_trueIyEEEEEE10hipError_tPvRmT3_T4_T5_T6_T7_T9_mT8_P12ihipStream_tbDpT10_ENKUlT_T0_E_clISt17integral_constantIbLb0EES17_IbLb1EEEEDaS13_S14_EUlS13_E_NS1_11comp_targetILNS1_3genE10ELNS1_11target_archE1200ELNS1_3gpuE4ELNS1_3repE0EEENS1_30default_config_static_selectorELNS0_4arch9wavefront6targetE0EEEvT1_ ; -- Begin function _ZN7rocprim17ROCPRIM_400000_NS6detail17trampoline_kernelINS0_14default_configENS1_25partition_config_selectorILNS1_17partition_subalgoE6EyNS0_10empty_typeEbEEZZNS1_14partition_implILS5_6ELb0ES3_mN6thrust23THRUST_200600_302600_NS6detail15normal_iteratorINSA_10device_ptrIyEEEEPS6_SG_NS0_5tupleIJSF_S6_EEENSH_IJSG_SG_EEES6_PlJNSB_9not_fun_tI7is_trueIyEEEEEE10hipError_tPvRmT3_T4_T5_T6_T7_T9_mT8_P12ihipStream_tbDpT10_ENKUlT_T0_E_clISt17integral_constantIbLb0EES17_IbLb1EEEEDaS13_S14_EUlS13_E_NS1_11comp_targetILNS1_3genE10ELNS1_11target_archE1200ELNS1_3gpuE4ELNS1_3repE0EEENS1_30default_config_static_selectorELNS0_4arch9wavefront6targetE0EEEvT1_
	.globl	_ZN7rocprim17ROCPRIM_400000_NS6detail17trampoline_kernelINS0_14default_configENS1_25partition_config_selectorILNS1_17partition_subalgoE6EyNS0_10empty_typeEbEEZZNS1_14partition_implILS5_6ELb0ES3_mN6thrust23THRUST_200600_302600_NS6detail15normal_iteratorINSA_10device_ptrIyEEEEPS6_SG_NS0_5tupleIJSF_S6_EEENSH_IJSG_SG_EEES6_PlJNSB_9not_fun_tI7is_trueIyEEEEEE10hipError_tPvRmT3_T4_T5_T6_T7_T9_mT8_P12ihipStream_tbDpT10_ENKUlT_T0_E_clISt17integral_constantIbLb0EES17_IbLb1EEEEDaS13_S14_EUlS13_E_NS1_11comp_targetILNS1_3genE10ELNS1_11target_archE1200ELNS1_3gpuE4ELNS1_3repE0EEENS1_30default_config_static_selectorELNS0_4arch9wavefront6targetE0EEEvT1_
	.p2align	8
	.type	_ZN7rocprim17ROCPRIM_400000_NS6detail17trampoline_kernelINS0_14default_configENS1_25partition_config_selectorILNS1_17partition_subalgoE6EyNS0_10empty_typeEbEEZZNS1_14partition_implILS5_6ELb0ES3_mN6thrust23THRUST_200600_302600_NS6detail15normal_iteratorINSA_10device_ptrIyEEEEPS6_SG_NS0_5tupleIJSF_S6_EEENSH_IJSG_SG_EEES6_PlJNSB_9not_fun_tI7is_trueIyEEEEEE10hipError_tPvRmT3_T4_T5_T6_T7_T9_mT8_P12ihipStream_tbDpT10_ENKUlT_T0_E_clISt17integral_constantIbLb0EES17_IbLb1EEEEDaS13_S14_EUlS13_E_NS1_11comp_targetILNS1_3genE10ELNS1_11target_archE1200ELNS1_3gpuE4ELNS1_3repE0EEENS1_30default_config_static_selectorELNS0_4arch9wavefront6targetE0EEEvT1_,@function
_ZN7rocprim17ROCPRIM_400000_NS6detail17trampoline_kernelINS0_14default_configENS1_25partition_config_selectorILNS1_17partition_subalgoE6EyNS0_10empty_typeEbEEZZNS1_14partition_implILS5_6ELb0ES3_mN6thrust23THRUST_200600_302600_NS6detail15normal_iteratorINSA_10device_ptrIyEEEEPS6_SG_NS0_5tupleIJSF_S6_EEENSH_IJSG_SG_EEES6_PlJNSB_9not_fun_tI7is_trueIyEEEEEE10hipError_tPvRmT3_T4_T5_T6_T7_T9_mT8_P12ihipStream_tbDpT10_ENKUlT_T0_E_clISt17integral_constantIbLb0EES17_IbLb1EEEEDaS13_S14_EUlS13_E_NS1_11comp_targetILNS1_3genE10ELNS1_11target_archE1200ELNS1_3gpuE4ELNS1_3repE0EEENS1_30default_config_static_selectorELNS0_4arch9wavefront6targetE0EEEvT1_: ; @_ZN7rocprim17ROCPRIM_400000_NS6detail17trampoline_kernelINS0_14default_configENS1_25partition_config_selectorILNS1_17partition_subalgoE6EyNS0_10empty_typeEbEEZZNS1_14partition_implILS5_6ELb0ES3_mN6thrust23THRUST_200600_302600_NS6detail15normal_iteratorINSA_10device_ptrIyEEEEPS6_SG_NS0_5tupleIJSF_S6_EEENSH_IJSG_SG_EEES6_PlJNSB_9not_fun_tI7is_trueIyEEEEEE10hipError_tPvRmT3_T4_T5_T6_T7_T9_mT8_P12ihipStream_tbDpT10_ENKUlT_T0_E_clISt17integral_constantIbLb0EES17_IbLb1EEEEDaS13_S14_EUlS13_E_NS1_11comp_targetILNS1_3genE10ELNS1_11target_archE1200ELNS1_3gpuE4ELNS1_3repE0EEENS1_30default_config_static_selectorELNS0_4arch9wavefront6targetE0EEEvT1_
; %bb.0:
	s_clause 0x3
	s_load_b64 s[12:13], s[0:1], 0x28
	s_load_b128 s[8:11], s[0:1], 0x40
	s_load_b64 s[16:17], s[0:1], 0x50
	s_load_b64 s[14:15], s[0:1], 0x60
	v_cmp_eq_u32_e64 s2, 0, v0
	s_and_saveexec_b32 s3, s2
	s_cbranch_execz .LBB1138_4
; %bb.1:
	s_mov_b32 s5, exec_lo
	s_mov_b32 s4, exec_lo
	v_mbcnt_lo_u32_b32 v1, s5, 0
                                        ; implicit-def: $vgpr2
	s_delay_alu instid0(VALU_DEP_1)
	v_cmpx_eq_u32_e32 0, v1
	s_cbranch_execz .LBB1138_3
; %bb.2:
	s_load_b64 s[6:7], s[0:1], 0x70
	s_bcnt1_i32_b32 s5, s5
	s_wait_alu 0xfffe
	v_dual_mov_b32 v2, 0 :: v_dual_mov_b32 v3, s5
	s_wait_kmcnt 0x0
	global_atomic_add_u32 v2, v2, v3, s[6:7] th:TH_ATOMIC_RETURN scope:SCOPE_DEV
.LBB1138_3:
	s_or_b32 exec_lo, exec_lo, s4
	s_wait_loadcnt 0x0
	v_readfirstlane_b32 s4, v2
	s_wait_alu 0xf1ff
	s_delay_alu instid0(VALU_DEP_1)
	v_dual_mov_b32 v2, 0 :: v_dual_add_nc_u32 v1, s4, v1
	ds_store_b32 v2, v1
.LBB1138_4:
	s_or_b32 exec_lo, exec_lo, s3
	v_mov_b32_e32 v2, 0
	s_clause 0x1
	s_load_b128 s[4:7], s[0:1], 0x8
	s_load_b32 s0, s[0:1], 0x68
	s_wait_dscnt 0x0
	s_barrier_signal -1
	s_barrier_wait -1
	global_inv scope:SCOPE_SE
	ds_load_b32 v1, v2
	s_wait_loadcnt_dscnt 0x0
	s_barrier_signal -1
	s_barrier_wait -1
	global_inv scope:SCOPE_SE
	s_wait_kmcnt 0x0
	global_load_b64 v[17:18], v2, s[10:11]
	s_mov_b32 s1, 0
	v_lshrrev_b32_e32 v9, 2, v0
	v_or_b32_e32 v11, 0x200, v0
	v_or_b32_e32 v10, 0x300, v0
	s_lshl_b64 s[18:19], s[6:7], 3
	s_add_co_i32 s3, s0, -1
	s_lshl_b32 s0, s0, 10
	s_lshl_b32 s10, s3, 10
	s_add_nc_u64 s[20:21], s[6:7], s[0:1]
	s_add_co_i32 s0, s6, s10
	v_readfirstlane_b32 s11, v1
	v_lshlrev_b32_e32 v1, 10, v1
	v_cmp_le_u64_e64 s1, s[16:17], s[20:21]
	s_add_nc_u64 s[4:5], s[4:5], s[18:19]
	s_cmp_eq_u32 s11, s3
	v_lshlrev_b64_e32 v[1:2], 3, v[1:2]
	s_cselect_b32 s6, -1, 0
	s_delay_alu instid0(SALU_CYCLE_1) | instskip(NEXT) | instid1(SALU_CYCLE_1)
	s_and_b32 s1, s1, s6
	s_xor_b32 s7, s1, -1
	s_wait_alu 0xfffe
	s_delay_alu instid0(VALU_DEP_1) | instskip(NEXT) | instid1(VALU_DEP_1)
	v_add_co_u32 v12, vcc_lo, s4, v1
	v_add_co_ci_u32_e64 v13, null, s5, v2, vcc_lo
	s_and_b32 vcc_lo, exec_lo, s7
	s_mov_b32 s1, -1
	s_wait_alu 0xfffe
	s_cbranch_vccz .LBB1138_6
; %bb.5:
	v_lshlrev_b32_e32 v14, 3, v0
	v_or_b32_e32 v15, 0x100, v0
	v_lshrrev_b32_e32 v16, 2, v11
	v_lshrrev_b32_e32 v19, 2, v10
	v_and_b32_e32 v20, 56, v9
	v_add_co_u32 v1, vcc_lo, v12, v14
	s_wait_alu 0xfffd
	v_add_co_ci_u32_e64 v2, null, 0, v13, vcc_lo
	v_lshrrev_b32_e32 v15, 2, v15
	v_and_b32_e32 v16, 0xb8, v16
	v_and_b32_e32 v19, 0xf8, v19
	s_clause 0x3
	flat_load_b64 v[3:4], v[1:2]
	flat_load_b64 v[5:6], v[1:2] offset:2048
	flat_load_b64 v[7:8], v[1:2] offset:4096
	;; [unrolled: 1-line block ×3, first 2 shown]
	v_add_nc_u32_e32 v20, v20, v14
	v_and_b32_e32 v15, 0x78, v15
	v_add_nc_u32_e32 v16, v16, v14
	s_mov_b32 s1, 0
	s_delay_alu instid0(VALU_DEP_2)
	v_add_nc_u32_e32 v15, v15, v14
	v_add_nc_u32_e32 v14, v19, v14
	s_wait_loadcnt_dscnt 0x303
	ds_store_b64 v20, v[3:4]
	s_wait_loadcnt_dscnt 0x203
	ds_store_b64 v15, v[5:6] offset:2048
	s_wait_loadcnt_dscnt 0x103
	ds_store_b64 v16, v[7:8] offset:4096
	;; [unrolled: 2-line block ×3, first 2 shown]
	s_wait_dscnt 0x0
	s_barrier_signal -1
	s_barrier_wait -1
.LBB1138_6:
	s_and_not1_b32 vcc_lo, exec_lo, s1
	s_sub_co_i32 s16, s16, s0
	s_wait_alu 0xfffe
	s_cbranch_vccnz .LBB1138_14
; %bb.7:
	v_mov_b32_e32 v1, 0
	s_mov_b32 s0, exec_lo
	s_delay_alu instid0(VALU_DEP_1)
	v_dual_mov_b32 v2, v1 :: v_dual_mov_b32 v3, v1
	v_dual_mov_b32 v4, v1 :: v_dual_mov_b32 v5, v1
	;; [unrolled: 1-line block ×3, first 2 shown]
	v_mov_b32_e32 v8, v1
	v_cmpx_gt_u32_e64 s16, v0
	s_cbranch_execz .LBB1138_9
; %bb.8:
	v_dual_mov_b32 v21, v1 :: v_dual_lshlrev_b32 v2, 3, v0
	v_dual_mov_b32 v22, v1 :: v_dual_mov_b32 v23, v1
	v_dual_mov_b32 v24, v1 :: v_dual_mov_b32 v25, v1
	s_delay_alu instid0(VALU_DEP_3)
	v_add_co_u32 v2, vcc_lo, v12, v2
	s_wait_alu 0xfffd
	v_add_co_ci_u32_e64 v3, null, 0, v13, vcc_lo
	v_mov_b32_e32 v26, v1
	flat_load_b64 v[19:20], v[2:3]
	s_wait_loadcnt_dscnt 0x0
	v_dual_mov_b32 v1, v19 :: v_dual_mov_b32 v2, v20
	v_dual_mov_b32 v3, v21 :: v_dual_mov_b32 v4, v22
	;; [unrolled: 1-line block ×4, first 2 shown]
.LBB1138_9:
	s_or_b32 exec_lo, exec_lo, s0
	v_or_b32_e32 v14, 0x100, v0
	s_mov_b32 s0, exec_lo
	s_delay_alu instid0(VALU_DEP_1)
	v_cmpx_gt_u32_e64 s16, v14
	s_cbranch_execnz .LBB1138_132
; %bb.10:
	s_or_b32 exec_lo, exec_lo, s0
	s_delay_alu instid0(SALU_CYCLE_1)
	s_mov_b32 s0, exec_lo
	v_cmpx_gt_u32_e64 s16, v11
	s_cbranch_execnz .LBB1138_133
.LBB1138_11:
	s_or_b32 exec_lo, exec_lo, s0
	s_delay_alu instid0(SALU_CYCLE_1)
	s_mov_b32 s0, exec_lo
	v_cmpx_gt_u32_e64 s16, v10
	s_cbranch_execz .LBB1138_13
.LBB1138_12:
	v_lshlrev_b32_e32 v7, 3, v0
	s_delay_alu instid0(VALU_DEP_1)
	v_add_co_u32 v7, vcc_lo, v12, v7
	s_wait_alu 0xfffd
	v_add_co_ci_u32_e64 v8, null, 0, v13, vcc_lo
	flat_load_b64 v[7:8], v[7:8] offset:6144
.LBB1138_13:
	s_or_b32 exec_lo, exec_lo, s0
	v_lshrrev_b32_e32 v12, 2, v14
	v_lshrrev_b32_e32 v11, 2, v11
	;; [unrolled: 1-line block ×3, first 2 shown]
	v_and_b32_e32 v9, 56, v9
	v_lshlrev_b32_e32 v13, 3, v0
	v_and_b32_e32 v12, 0x78, v12
	v_and_b32_e32 v11, 0xf8, v11
	;; [unrolled: 1-line block ×3, first 2 shown]
	s_delay_alu instid0(VALU_DEP_4) | instskip(NEXT) | instid1(VALU_DEP_4)
	v_add_nc_u32_e32 v9, v9, v13
	v_add_nc_u32_e32 v12, v12, v13
	s_delay_alu instid0(VALU_DEP_4) | instskip(NEXT) | instid1(VALU_DEP_4)
	v_add_nc_u32_e32 v11, v11, v13
	v_add_nc_u32_e32 v10, v10, v13
	ds_store_b64 v9, v[1:2]
	s_wait_loadcnt_dscnt 0x1
	ds_store_b64 v12, v[3:4] offset:2048
	ds_store_b64 v11, v[5:6] offset:4096
	;; [unrolled: 1-line block ×3, first 2 shown]
	s_wait_dscnt 0x0
	s_barrier_signal -1
	s_barrier_wait -1
.LBB1138_14:
	v_and_b32_e32 v1, 0xf8, v0
	s_wait_loadcnt 0x0
	global_inv scope:SCOPE_SE
	s_and_not1_b32 vcc_lo, exec_lo, s7
	v_lshl_add_u32 v5, v0, 5, v1
	ds_load_2addr_b64 v[1:4], v5 offset1:3
	ds_load_2addr_b64 v[5:8], v5 offset0:1 offset1:2
	s_wait_loadcnt_dscnt 0x0
	s_barrier_signal -1
	s_barrier_wait -1
	global_inv scope:SCOPE_SE
	v_cmp_eq_u64_e64 s0, 0, v[1:2]
	v_cmp_eq_u64_e64 s10, 0, v[3:4]
	s_wait_alu 0xfffe
	s_cbranch_vccnz .LBB1138_16
; %bb.15:
	v_cmp_eq_u64_e32 vcc_lo, 0, v[7:8]
	v_cndmask_b32_e64 v29, 0, 1, s0
	s_wait_alu 0xfffd
	v_cndmask_b32_e64 v27, 0, 1, vcc_lo
	v_cmp_eq_u64_e32 vcc_lo, 0, v[5:6]
	s_delay_alu instid0(VALU_DEP_2) | instskip(SKIP_2) | instid1(VALU_DEP_1)
	v_lshlrev_b16 v10, 8, v27
	s_wait_alu 0xfffd
	v_cndmask_b32_e64 v9, 0, 1, vcc_lo
	v_or_b32_e32 v28, v9, v10
	s_cbranch_execz .LBB1138_17
	s_branch .LBB1138_18
.LBB1138_16:
                                        ; implicit-def: $sgpr10
                                        ; implicit-def: $vgpr29
                                        ; implicit-def: $vgpr28
                                        ; implicit-def: $vgpr27
.LBB1138_17:
	v_lshlrev_b32_e32 v9, 2, v0
	v_cmp_eq_u64_e64 s0, 0, v[7:8]
	v_cmp_eq_u64_e64 s3, 0, v[5:6]
	v_cmp_eq_u64_e32 vcc_lo, 0, v[1:2]
	v_cmp_eq_u64_e64 s4, 0, v[3:4]
	v_or_b32_e32 v10, 2, v9
	v_or_b32_e32 v11, 1, v9
	s_delay_alu instid0(VALU_DEP_2) | instskip(NEXT) | instid1(VALU_DEP_2)
	v_cmp_gt_u32_e64 s1, s16, v10
	v_cmp_gt_u32_e64 s5, s16, v11
	v_or_b32_e32 v10, 3, v9
	s_and_b32 s0, s1, s0
	s_and_b32 s3, s5, s3
	s_wait_alu 0xfffe
	v_cndmask_b32_e64 v27, 0, 1, s0
	v_cmp_gt_u32_e64 s0, s16, v9
	v_cmp_gt_u32_e64 s1, s16, v10
	v_cndmask_b32_e64 v9, 0, 1, s3
	s_delay_alu instid0(VALU_DEP_4)
	v_lshlrev_b16 v10, 8, v27
	s_and_b32 s0, s0, vcc_lo
	s_wait_alu 0xfffe
	v_cndmask_b32_e64 v29, 0, 1, s0
	s_and_b32 s0, s1, s4
	v_or_b32_e32 v28, v9, v10
	s_and_not1_b32 s1, s10, exec_lo
	s_wait_alu 0xfffe
	s_and_b32 s0, s0, exec_lo
	s_wait_alu 0xfffe
	s_or_b32 s10, s1, s0
.LBB1138_18:
	v_and_b32_e32 v32, 0xff, v29
	s_delay_alu instid0(VALU_DEP_2)
	v_dual_mov_b32 v10, 0 :: v_dual_and_b32 v31, 0xff, v28
	v_cndmask_b32_e64 v9, 0, 1, s10
	v_mbcnt_lo_u32_b32 v33, -1, 0
	v_and_b32_e32 v30, 0xff, v27
	s_cmp_lg_u32 s11, 0
	s_mov_b32 s1, -1
	v_add3_u32 v9, v32, v9, v31
	v_and_b32_e32 v34, 15, v33
	s_delay_alu instid0(VALU_DEP_2) | instskip(SKIP_2) | instid1(VALU_DEP_3)
	v_add_co_u32 v19, s0, v9, v30
	s_wait_alu 0xf1ff
	v_add_co_ci_u32_e64 v20, null, 0, 0, s0
	v_cmp_ne_u32_e64 s0, 0, v34
	s_cbranch_scc0 .LBB1138_75
; %bb.19:
	v_mov_b32_e32 v11, v19
	v_mov_b32_dpp v9, v19 row_shr:1 row_mask:0xf bank_mask:0xf
	v_mov_b32_dpp v14, v10 row_shr:1 row_mask:0xf bank_mask:0xf
	v_dual_mov_b32 v13, v19 :: v_dual_mov_b32 v12, v20
	s_and_saveexec_b32 s1, s0
; %bb.20:
	s_delay_alu instid0(VALU_DEP_3) | instskip(SKIP_2) | instid1(VALU_DEP_2)
	v_add_co_u32 v13, vcc_lo, v19, v9
	s_wait_alu 0xfffd
	v_add_co_ci_u32_e64 v10, null, 0, v20, vcc_lo
	v_add_co_u32 v9, vcc_lo, 0, v13
	s_wait_alu 0xfffd
	s_delay_alu instid0(VALU_DEP_2) | instskip(NEXT) | instid1(VALU_DEP_1)
	v_add_co_ci_u32_e64 v10, null, v14, v10, vcc_lo
	v_dual_mov_b32 v12, v10 :: v_dual_mov_b32 v11, v9
; %bb.21:
	s_wait_alu 0xfffe
	s_or_b32 exec_lo, exec_lo, s1
	v_mov_b32_dpp v9, v13 row_shr:2 row_mask:0xf bank_mask:0xf
	v_mov_b32_dpp v14, v10 row_shr:2 row_mask:0xf bank_mask:0xf
	s_mov_b32 s1, exec_lo
	v_cmpx_lt_u32_e32 1, v34
; %bb.22:
	s_delay_alu instid0(VALU_DEP_3) | instskip(SKIP_2) | instid1(VALU_DEP_2)
	v_add_co_u32 v13, vcc_lo, v11, v9
	s_wait_alu 0xfffd
	v_add_co_ci_u32_e64 v10, null, 0, v12, vcc_lo
	v_add_co_u32 v9, vcc_lo, 0, v13
	s_wait_alu 0xfffd
	s_delay_alu instid0(VALU_DEP_2) | instskip(NEXT) | instid1(VALU_DEP_1)
	v_add_co_ci_u32_e64 v10, null, v14, v10, vcc_lo
	v_dual_mov_b32 v12, v10 :: v_dual_mov_b32 v11, v9
; %bb.23:
	s_wait_alu 0xfffe
	s_or_b32 exec_lo, exec_lo, s1
	v_mov_b32_dpp v9, v13 row_shr:4 row_mask:0xf bank_mask:0xf
	v_mov_b32_dpp v14, v10 row_shr:4 row_mask:0xf bank_mask:0xf
	s_mov_b32 s1, exec_lo
	v_cmpx_lt_u32_e32 3, v34
	;; [unrolled: 17-line block ×3, first 2 shown]
; %bb.26:
	s_delay_alu instid0(VALU_DEP_3) | instskip(SKIP_2) | instid1(VALU_DEP_2)
	v_add_co_u32 v13, vcc_lo, v11, v14
	s_wait_alu 0xfffd
	v_add_co_ci_u32_e64 v10, null, 0, v12, vcc_lo
	v_add_co_u32 v11, vcc_lo, 0, v13
	s_wait_alu 0xfffd
	s_delay_alu instid0(VALU_DEP_2) | instskip(NEXT) | instid1(VALU_DEP_1)
	v_add_co_ci_u32_e64 v12, null, v9, v10, vcc_lo
	v_mov_b32_e32 v10, v12
; %bb.27:
	s_wait_alu 0xfffe
	s_or_b32 exec_lo, exec_lo, s1
	ds_swizzle_b32 v9, v13 offset:swizzle(BROADCAST,32,15)
	ds_swizzle_b32 v14, v10 offset:swizzle(BROADCAST,32,15)
	v_and_b32_e32 v15, 16, v33
	s_mov_b32 s1, exec_lo
	s_delay_alu instid0(VALU_DEP_1)
	v_cmpx_ne_u32_e32 0, v15
	s_cbranch_execz .LBB1138_29
; %bb.28:
	s_wait_dscnt 0x1
	v_add_co_u32 v13, vcc_lo, v11, v9
	s_wait_alu 0xfffd
	v_add_co_ci_u32_e64 v10, null, 0, v12, vcc_lo
	s_delay_alu instid0(VALU_DEP_2) | instskip(SKIP_2) | instid1(VALU_DEP_2)
	v_add_co_u32 v9, vcc_lo, 0, v13
	s_wait_dscnt 0x0
	s_wait_alu 0xfffd
	v_add_co_ci_u32_e64 v10, null, v14, v10, vcc_lo
	s_delay_alu instid0(VALU_DEP_1)
	v_dual_mov_b32 v12, v10 :: v_dual_mov_b32 v11, v9
.LBB1138_29:
	s_wait_alu 0xfffe
	s_or_b32 exec_lo, exec_lo, s1
	s_wait_dscnt 0x0
	v_or_b32_e32 v14, 31, v0
	v_lshrrev_b32_e32 v9, 5, v0
	s_mov_b32 s1, exec_lo
	s_delay_alu instid0(VALU_DEP_2)
	v_cmpx_eq_u32_e64 v0, v14
; %bb.30:
	s_delay_alu instid0(VALU_DEP_2)
	v_lshlrev_b32_e32 v14, 3, v9
	ds_store_b64 v14, v[11:12]
; %bb.31:
	s_wait_alu 0xfffe
	s_or_b32 exec_lo, exec_lo, s1
	s_delay_alu instid0(SALU_CYCLE_1)
	s_mov_b32 s1, exec_lo
	s_wait_loadcnt_dscnt 0x0
	s_barrier_signal -1
	s_barrier_wait -1
	global_inv scope:SCOPE_SE
	v_cmpx_gt_u32_e32 8, v0
	s_cbranch_execz .LBB1138_39
; %bb.32:
	v_lshlrev_b32_e32 v14, 3, v0
	s_mov_b32 s3, exec_lo
	ds_load_b64 v[11:12], v14
	s_wait_dscnt 0x0
	v_dual_mov_b32 v16, v11 :: v_dual_and_b32 v15, 7, v33
	v_mov_b32_dpp v22, v11 row_shr:1 row_mask:0xf bank_mask:0xf
	v_mov_b32_dpp v21, v12 row_shr:1 row_mask:0xf bank_mask:0xf
	s_delay_alu instid0(VALU_DEP_3)
	v_cmpx_ne_u32_e32 0, v15
; %bb.33:
	s_delay_alu instid0(VALU_DEP_3) | instskip(SKIP_2) | instid1(VALU_DEP_2)
	v_add_co_u32 v16, vcc_lo, v11, v22
	s_wait_alu 0xfffd
	v_add_co_ci_u32_e64 v12, null, 0, v12, vcc_lo
	v_add_co_u32 v11, vcc_lo, 0, v16
	s_wait_alu 0xfffd
	s_delay_alu instid0(VALU_DEP_2)
	v_add_co_ci_u32_e64 v12, null, v21, v12, vcc_lo
; %bb.34:
	s_wait_alu 0xfffe
	s_or_b32 exec_lo, exec_lo, s3
	v_mov_b32_dpp v22, v16 row_shr:2 row_mask:0xf bank_mask:0xf
	s_delay_alu instid0(VALU_DEP_2)
	v_mov_b32_dpp v21, v12 row_shr:2 row_mask:0xf bank_mask:0xf
	s_mov_b32 s3, exec_lo
	v_cmpx_lt_u32_e32 1, v15
; %bb.35:
	s_delay_alu instid0(VALU_DEP_3) | instskip(SKIP_2) | instid1(VALU_DEP_2)
	v_add_co_u32 v16, vcc_lo, v11, v22
	s_wait_alu 0xfffd
	v_add_co_ci_u32_e64 v12, null, 0, v12, vcc_lo
	v_add_co_u32 v11, vcc_lo, 0, v16
	s_wait_alu 0xfffd
	s_delay_alu instid0(VALU_DEP_2)
	v_add_co_ci_u32_e64 v12, null, v21, v12, vcc_lo
; %bb.36:
	s_wait_alu 0xfffe
	s_or_b32 exec_lo, exec_lo, s3
	v_mov_b32_dpp v21, v16 row_shr:4 row_mask:0xf bank_mask:0xf
	s_delay_alu instid0(VALU_DEP_2)
	v_mov_b32_dpp v16, v12 row_shr:4 row_mask:0xf bank_mask:0xf
	s_mov_b32 s3, exec_lo
	v_cmpx_lt_u32_e32 3, v15
; %bb.37:
	s_delay_alu instid0(VALU_DEP_3) | instskip(SKIP_2) | instid1(VALU_DEP_2)
	v_add_co_u32 v11, vcc_lo, v11, v21
	s_wait_alu 0xfffd
	v_add_co_ci_u32_e64 v12, null, 0, v12, vcc_lo
	v_add_co_u32 v11, vcc_lo, v11, 0
	s_wait_alu 0xfffd
	s_delay_alu instid0(VALU_DEP_2)
	v_add_co_ci_u32_e64 v12, null, v12, v16, vcc_lo
; %bb.38:
	s_wait_alu 0xfffe
	s_or_b32 exec_lo, exec_lo, s3
	ds_store_b64 v14, v[11:12]
.LBB1138_39:
	s_wait_alu 0xfffe
	s_or_b32 exec_lo, exec_lo, s1
	s_delay_alu instid0(SALU_CYCLE_1)
	s_mov_b32 s3, exec_lo
	v_cmp_gt_u32_e32 vcc_lo, 32, v0
	s_wait_loadcnt_dscnt 0x0
	s_barrier_signal -1
	s_barrier_wait -1
	global_inv scope:SCOPE_SE
                                        ; implicit-def: $vgpr21_vgpr22
	v_cmpx_lt_u32_e32 31, v0
	s_cbranch_execz .LBB1138_41
; %bb.40:
	v_lshl_add_u32 v9, v9, 3, -8
	ds_load_b64 v[21:22], v9
	s_wait_dscnt 0x0
	v_add_co_u32 v13, s1, v13, v21
	s_wait_alu 0xf1ff
	v_add_co_ci_u32_e64 v10, null, v10, v22, s1
.LBB1138_41:
	s_wait_alu 0xfffe
	s_or_b32 exec_lo, exec_lo, s3
	v_sub_co_u32 v9, s1, v33, 1
	s_delay_alu instid0(VALU_DEP_1) | instskip(SKIP_1) | instid1(VALU_DEP_1)
	v_cmp_gt_i32_e64 s3, 0, v9
	s_wait_alu 0xf1ff
	v_cndmask_b32_e64 v9, v9, v33, s3
	s_delay_alu instid0(VALU_DEP_1)
	v_lshlrev_b32_e32 v9, 2, v9
	ds_bpermute_b32 v35, v9, v13
	ds_bpermute_b32 v36, v9, v10
	s_and_saveexec_b32 s3, vcc_lo
	s_cbranch_execz .LBB1138_80
; %bb.42:
	v_mov_b32_e32 v12, 0
	ds_load_b64 v[9:10], v12 offset:56
	s_and_saveexec_b32 s4, s1
	s_cbranch_execz .LBB1138_44
; %bb.43:
	s_add_co_i32 s16, s11, 32
	s_mov_b32 s17, 0
	s_wait_alu 0xfffe
	s_lshl_b64 s[16:17], s[16:17], 4
	s_wait_alu 0xfffe
	s_add_nc_u64 s[16:17], s[14:15], s[16:17]
	v_mov_b32_e32 v11, 1
	s_wait_alu 0xfffe
	v_dual_mov_b32 v13, s16 :: v_dual_mov_b32 v14, s17
	s_wait_dscnt 0x0
	;;#ASMSTART
	global_store_b128 v[13:14], v[9:12] off scope:SCOPE_DEV	
s_wait_storecnt 0x0
	;;#ASMEND
.LBB1138_44:
	s_wait_alu 0xfffe
	s_or_b32 exec_lo, exec_lo, s4
	v_xad_u32 v23, v33, -1, s11
	s_mov_b32 s5, 0
	s_mov_b32 s4, exec_lo
	s_delay_alu instid0(VALU_DEP_1) | instskip(NEXT) | instid1(VALU_DEP_1)
	v_add_nc_u32_e32 v11, 32, v23
	v_lshlrev_b64_e32 v[11:12], 4, v[11:12]
	s_delay_alu instid0(VALU_DEP_1) | instskip(SKIP_1) | instid1(VALU_DEP_2)
	v_add_co_u32 v11, vcc_lo, s14, v11
	s_wait_alu 0xfffd
	v_add_co_ci_u32_e64 v12, null, s15, v12, vcc_lo
	;;#ASMSTART
	global_load_b128 v[13:16], v[11:12] off scope:SCOPE_DEV	
s_wait_loadcnt 0x0
	;;#ASMEND
	v_and_b32_e32 v16, 0xff, v15
	s_delay_alu instid0(VALU_DEP_1)
	v_cmpx_eq_u16_e32 0, v16
	s_cbranch_execz .LBB1138_47
.LBB1138_45:                            ; =>This Inner Loop Header: Depth=1
	;;#ASMSTART
	global_load_b128 v[13:16], v[11:12] off scope:SCOPE_DEV	
s_wait_loadcnt 0x0
	;;#ASMEND
	v_and_b32_e32 v16, 0xff, v15
	s_delay_alu instid0(VALU_DEP_1)
	v_cmp_ne_u16_e32 vcc_lo, 0, v16
	s_wait_alu 0xfffe
	s_or_b32 s5, vcc_lo, s5
	s_wait_alu 0xfffe
	s_and_not1_b32 exec_lo, exec_lo, s5
	s_cbranch_execnz .LBB1138_45
; %bb.46:
	s_or_b32 exec_lo, exec_lo, s5
.LBB1138_47:
	s_wait_alu 0xfffe
	s_or_b32 exec_lo, exec_lo, s4
	v_cmp_ne_u32_e32 vcc_lo, 31, v33
	v_and_b32_e32 v12, 0xff, v15
	v_lshlrev_b32_e64 v38, v33, -1
	s_mov_b32 s4, exec_lo
	s_wait_alu 0xfffd
	v_add_co_ci_u32_e64 v11, null, 0, v33, vcc_lo
	v_cmp_eq_u16_e32 vcc_lo, 2, v12
	s_delay_alu instid0(VALU_DEP_2)
	v_dual_mov_b32 v12, v13 :: v_dual_lshlrev_b32 v37, 2, v11
	s_wait_alu 0xfffd
	v_and_or_b32 v11, vcc_lo, v38, 0x80000000
	ds_bpermute_b32 v24, v37, v13
	ds_bpermute_b32 v16, v37, v14
	v_ctz_i32_b32_e32 v11, v11
	s_delay_alu instid0(VALU_DEP_1)
	v_cmpx_lt_u32_e64 v33, v11
	s_cbranch_execz .LBB1138_49
; %bb.48:
	s_wait_dscnt 0x1
	v_add_co_u32 v12, vcc_lo, v13, v24
	s_wait_alu 0xfffd
	v_add_co_ci_u32_e64 v14, null, 0, v14, vcc_lo
	s_delay_alu instid0(VALU_DEP_2) | instskip(SKIP_2) | instid1(VALU_DEP_2)
	v_add_co_u32 v13, vcc_lo, 0, v12
	s_wait_dscnt 0x0
	s_wait_alu 0xfffd
	v_add_co_ci_u32_e64 v14, null, v16, v14, vcc_lo
.LBB1138_49:
	s_wait_alu 0xfffe
	s_or_b32 exec_lo, exec_lo, s4
	v_cmp_gt_u32_e32 vcc_lo, 30, v33
	v_add_nc_u32_e32 v40, 2, v33
	s_mov_b32 s4, exec_lo
	s_wait_dscnt 0x0
	s_wait_alu 0xfffd
	v_cndmask_b32_e64 v16, 0, 2, vcc_lo
	s_delay_alu instid0(VALU_DEP_1)
	v_add_lshl_u32 v39, v16, v33, 2
	ds_bpermute_b32 v24, v39, v12
	ds_bpermute_b32 v16, v39, v14
	v_cmpx_le_u32_e64 v40, v11
	s_cbranch_execz .LBB1138_51
; %bb.50:
	s_wait_dscnt 0x1
	v_add_co_u32 v12, vcc_lo, v13, v24
	s_wait_alu 0xfffd
	v_add_co_ci_u32_e64 v14, null, 0, v14, vcc_lo
	s_delay_alu instid0(VALU_DEP_2) | instskip(SKIP_2) | instid1(VALU_DEP_2)
	v_add_co_u32 v13, vcc_lo, 0, v12
	s_wait_dscnt 0x0
	s_wait_alu 0xfffd
	v_add_co_ci_u32_e64 v14, null, v16, v14, vcc_lo
.LBB1138_51:
	s_wait_alu 0xfffe
	s_or_b32 exec_lo, exec_lo, s4
	v_cmp_gt_u32_e32 vcc_lo, 28, v33
	v_add_nc_u32_e32 v42, 4, v33
	s_mov_b32 s4, exec_lo
	s_wait_dscnt 0x0
	s_wait_alu 0xfffd
	v_cndmask_b32_e64 v16, 0, 4, vcc_lo
	s_delay_alu instid0(VALU_DEP_1)
	v_add_lshl_u32 v41, v16, v33, 2
	ds_bpermute_b32 v24, v41, v12
	ds_bpermute_b32 v16, v41, v14
	v_cmpx_le_u32_e64 v42, v11
	;; [unrolled: 25-line block ×3, first 2 shown]
	s_cbranch_execz .LBB1138_55
; %bb.54:
	s_wait_dscnt 0x1
	v_add_co_u32 v12, vcc_lo, v13, v24
	s_wait_alu 0xfffd
	v_add_co_ci_u32_e64 v14, null, 0, v14, vcc_lo
	s_delay_alu instid0(VALU_DEP_2) | instskip(SKIP_2) | instid1(VALU_DEP_2)
	v_add_co_u32 v13, vcc_lo, 0, v12
	s_wait_dscnt 0x0
	s_wait_alu 0xfffd
	v_add_co_ci_u32_e64 v14, null, v16, v14, vcc_lo
.LBB1138_55:
	s_wait_alu 0xfffe
	s_or_b32 exec_lo, exec_lo, s4
	v_lshl_or_b32 v45, v33, 2, 64
	v_add_nc_u32_e32 v46, 16, v33
	s_mov_b32 s4, exec_lo
	s_wait_dscnt 0x0
	ds_bpermute_b32 v16, v45, v12
	ds_bpermute_b32 v12, v45, v14
	v_cmpx_le_u32_e64 v46, v11
	s_cbranch_execz .LBB1138_57
; %bb.56:
	s_wait_dscnt 0x1
	v_add_co_u32 v11, vcc_lo, v13, v16
	s_wait_alu 0xfffd
	v_add_co_ci_u32_e64 v14, null, 0, v14, vcc_lo
	s_delay_alu instid0(VALU_DEP_2) | instskip(SKIP_2) | instid1(VALU_DEP_2)
	v_add_co_u32 v13, vcc_lo, v11, 0
	s_wait_dscnt 0x0
	s_wait_alu 0xfffd
	v_add_co_ci_u32_e64 v14, null, v14, v12, vcc_lo
.LBB1138_57:
	s_wait_alu 0xfffe
	s_or_b32 exec_lo, exec_lo, s4
	v_mov_b32_e32 v24, 0
	s_branch .LBB1138_60
.LBB1138_58:                            ;   in Loop: Header=BB1138_60 Depth=1
	s_wait_alu 0xfffe
	s_or_b32 exec_lo, exec_lo, s4
	v_add_co_u32 v13, vcc_lo, v13, v11
	v_subrev_nc_u32_e32 v23, 32, v23
	s_wait_alu 0xfffd
	v_add_co_ci_u32_e64 v14, null, v14, v12, vcc_lo
	s_mov_b32 s4, 0
.LBB1138_59:                            ;   in Loop: Header=BB1138_60 Depth=1
	s_wait_alu 0xfffe
	s_and_b32 vcc_lo, exec_lo, s4
	s_wait_alu 0xfffe
	s_cbranch_vccnz .LBB1138_76
.LBB1138_60:                            ; =>This Loop Header: Depth=1
                                        ;     Child Loop BB1138_63 Depth 2
	v_and_b32_e32 v11, 0xff, v15
	s_mov_b32 s4, -1
	s_delay_alu instid0(VALU_DEP_1)
	v_cmp_ne_u16_e32 vcc_lo, 2, v11
	s_wait_dscnt 0x0
	v_dual_mov_b32 v11, v13 :: v_dual_mov_b32 v12, v14
                                        ; implicit-def: $vgpr13_vgpr14
	s_cmp_lg_u32 vcc_lo, exec_lo
	s_cbranch_scc1 .LBB1138_59
; %bb.61:                               ;   in Loop: Header=BB1138_60 Depth=1
	v_lshlrev_b64_e32 v[13:14], 4, v[23:24]
	s_mov_b32 s4, exec_lo
	s_delay_alu instid0(VALU_DEP_1) | instskip(SKIP_1) | instid1(VALU_DEP_2)
	v_add_co_u32 v25, vcc_lo, s14, v13
	s_wait_alu 0xfffd
	v_add_co_ci_u32_e64 v26, null, s15, v14, vcc_lo
	;;#ASMSTART
	global_load_b128 v[13:16], v[25:26] off scope:SCOPE_DEV	
s_wait_loadcnt 0x0
	;;#ASMEND
	v_and_b32_e32 v16, 0xff, v15
	s_delay_alu instid0(VALU_DEP_1)
	v_cmpx_eq_u16_e32 0, v16
	s_cbranch_execz .LBB1138_65
; %bb.62:                               ;   in Loop: Header=BB1138_60 Depth=1
	s_mov_b32 s5, 0
.LBB1138_63:                            ;   Parent Loop BB1138_60 Depth=1
                                        ; =>  This Inner Loop Header: Depth=2
	;;#ASMSTART
	global_load_b128 v[13:16], v[25:26] off scope:SCOPE_DEV	
s_wait_loadcnt 0x0
	;;#ASMEND
	v_and_b32_e32 v16, 0xff, v15
	s_delay_alu instid0(VALU_DEP_1)
	v_cmp_ne_u16_e32 vcc_lo, 0, v16
	s_wait_alu 0xfffe
	s_or_b32 s5, vcc_lo, s5
	s_wait_alu 0xfffe
	s_and_not1_b32 exec_lo, exec_lo, s5
	s_cbranch_execnz .LBB1138_63
; %bb.64:                               ;   in Loop: Header=BB1138_60 Depth=1
	s_or_b32 exec_lo, exec_lo, s5
.LBB1138_65:                            ;   in Loop: Header=BB1138_60 Depth=1
	s_wait_alu 0xfffe
	s_or_b32 exec_lo, exec_lo, s4
	v_dual_mov_b32 v25, v13 :: v_dual_and_b32 v16, 0xff, v15
	ds_bpermute_b32 v47, v37, v13
	ds_bpermute_b32 v26, v37, v14
	s_mov_b32 s4, exec_lo
	v_cmp_eq_u16_e32 vcc_lo, 2, v16
	s_wait_alu 0xfffd
	v_and_or_b32 v16, vcc_lo, v38, 0x80000000
	s_delay_alu instid0(VALU_DEP_1) | instskip(NEXT) | instid1(VALU_DEP_1)
	v_ctz_i32_b32_e32 v16, v16
	v_cmpx_lt_u32_e64 v33, v16
	s_cbranch_execz .LBB1138_67
; %bb.66:                               ;   in Loop: Header=BB1138_60 Depth=1
	s_wait_dscnt 0x1
	v_add_co_u32 v25, vcc_lo, v13, v47
	s_wait_alu 0xfffd
	v_add_co_ci_u32_e64 v14, null, 0, v14, vcc_lo
	s_delay_alu instid0(VALU_DEP_2) | instskip(SKIP_2) | instid1(VALU_DEP_2)
	v_add_co_u32 v13, vcc_lo, 0, v25
	s_wait_dscnt 0x0
	s_wait_alu 0xfffd
	v_add_co_ci_u32_e64 v14, null, v26, v14, vcc_lo
.LBB1138_67:                            ;   in Loop: Header=BB1138_60 Depth=1
	s_wait_alu 0xfffe
	s_or_b32 exec_lo, exec_lo, s4
	s_wait_dscnt 0x1
	ds_bpermute_b32 v47, v39, v25
	s_wait_dscnt 0x1
	ds_bpermute_b32 v26, v39, v14
	s_mov_b32 s4, exec_lo
	v_cmpx_le_u32_e64 v40, v16
	s_cbranch_execz .LBB1138_69
; %bb.68:                               ;   in Loop: Header=BB1138_60 Depth=1
	s_wait_dscnt 0x1
	v_add_co_u32 v25, vcc_lo, v13, v47
	s_wait_alu 0xfffd
	v_add_co_ci_u32_e64 v14, null, 0, v14, vcc_lo
	s_delay_alu instid0(VALU_DEP_2) | instskip(SKIP_2) | instid1(VALU_DEP_2)
	v_add_co_u32 v13, vcc_lo, 0, v25
	s_wait_dscnt 0x0
	s_wait_alu 0xfffd
	v_add_co_ci_u32_e64 v14, null, v26, v14, vcc_lo
.LBB1138_69:                            ;   in Loop: Header=BB1138_60 Depth=1
	s_wait_alu 0xfffe
	s_or_b32 exec_lo, exec_lo, s4
	s_wait_dscnt 0x1
	ds_bpermute_b32 v47, v41, v25
	s_wait_dscnt 0x1
	ds_bpermute_b32 v26, v41, v14
	s_mov_b32 s4, exec_lo
	v_cmpx_le_u32_e64 v42, v16
	;; [unrolled: 20-line block ×3, first 2 shown]
	s_cbranch_execz .LBB1138_73
; %bb.72:                               ;   in Loop: Header=BB1138_60 Depth=1
	s_wait_dscnt 0x1
	v_add_co_u32 v25, vcc_lo, v13, v47
	s_wait_alu 0xfffd
	v_add_co_ci_u32_e64 v14, null, 0, v14, vcc_lo
	s_delay_alu instid0(VALU_DEP_2) | instskip(SKIP_2) | instid1(VALU_DEP_2)
	v_add_co_u32 v13, vcc_lo, 0, v25
	s_wait_dscnt 0x0
	s_wait_alu 0xfffd
	v_add_co_ci_u32_e64 v14, null, v26, v14, vcc_lo
.LBB1138_73:                            ;   in Loop: Header=BB1138_60 Depth=1
	s_wait_alu 0xfffe
	s_or_b32 exec_lo, exec_lo, s4
	s_wait_dscnt 0x0
	ds_bpermute_b32 v26, v45, v25
	ds_bpermute_b32 v25, v45, v14
	s_mov_b32 s4, exec_lo
	v_cmpx_le_u32_e64 v46, v16
	s_cbranch_execz .LBB1138_58
; %bb.74:                               ;   in Loop: Header=BB1138_60 Depth=1
	s_wait_dscnt 0x1
	v_add_co_u32 v13, vcc_lo, v13, v26
	s_wait_alu 0xfffd
	v_add_co_ci_u32_e64 v14, null, 0, v14, vcc_lo
	s_delay_alu instid0(VALU_DEP_2) | instskip(SKIP_2) | instid1(VALU_DEP_2)
	v_add_co_u32 v13, vcc_lo, v13, 0
	s_wait_dscnt 0x0
	s_wait_alu 0xfffd
	v_add_co_ci_u32_e64 v14, null, v14, v25, vcc_lo
	s_branch .LBB1138_58
.LBB1138_75:
                                        ; implicit-def: $vgpr15_vgpr16
                                        ; implicit-def: $vgpr13_vgpr14
                                        ; implicit-def: $vgpr21_vgpr22
                                        ; implicit-def: $vgpr23_vgpr24
                                        ; implicit-def: $vgpr11_vgpr12
	s_wait_alu 0xfffe
	s_and_b32 vcc_lo, exec_lo, s1
	s_wait_alu 0xfffe
	s_cbranch_vccnz .LBB1138_81
	s_branch .LBB1138_106
.LBB1138_76:
	s_and_saveexec_b32 s4, s1
	s_cbranch_execz .LBB1138_78
; %bb.77:
	s_add_co_i32 s16, s11, 32
	s_mov_b32 s17, 0
	v_add_co_u32 v13, vcc_lo, v11, v9
	s_wait_alu 0xfffe
	s_lshl_b64 s[16:17], s[16:17], 4
	v_dual_mov_b32 v15, 2 :: v_dual_mov_b32 v16, 0
	s_wait_alu 0xfffe
	s_add_nc_u64 s[16:17], s[14:15], s[16:17]
	s_wait_alu 0xfffd
	v_add_co_ci_u32_e64 v14, null, v12, v10, vcc_lo
	s_wait_alu 0xfffe
	v_dual_mov_b32 v24, s17 :: v_dual_mov_b32 v23, s16
	;;#ASMSTART
	global_store_b128 v[23:24], v[13:16] off scope:SCOPE_DEV	
s_wait_storecnt 0x0
	;;#ASMEND
	ds_store_b128 v16, v[9:12] offset:8448
.LBB1138_78:
	s_wait_alu 0xfffe
	s_or_b32 exec_lo, exec_lo, s4
	s_delay_alu instid0(SALU_CYCLE_1)
	s_and_b32 exec_lo, exec_lo, s2
; %bb.79:
	v_mov_b32_e32 v9, 0
	ds_store_b64 v9, v[11:12] offset:56
.LBB1138_80:
	s_wait_alu 0xfffe
	s_or_b32 exec_lo, exec_lo, s3
	v_mov_b32_e32 v9, 0
	s_wait_loadcnt_dscnt 0x0
	s_barrier_signal -1
	s_barrier_wait -1
	global_inv scope:SCOPE_SE
	ds_load_b64 v[13:14], v9 offset:56
	v_cndmask_b32_e64 v11, v35, v21, s1
	v_cndmask_b32_e64 v10, v36, v22, s1
	s_wait_loadcnt_dscnt 0x0
	s_barrier_signal -1
	s_barrier_wait -1
	v_cndmask_b32_e64 v16, v11, 0, s2
	v_cndmask_b32_e64 v15, v10, 0, s2
	global_inv scope:SCOPE_SE
	ds_load_b128 v[9:12], v9 offset:8448
	v_add_co_u32 v23, vcc_lo, v13, v16
	s_wait_alu 0xfffd
	v_add_co_ci_u32_e64 v24, null, v14, v15, vcc_lo
	s_delay_alu instid0(VALU_DEP_2) | instskip(SKIP_1) | instid1(VALU_DEP_2)
	v_add_co_u32 v21, vcc_lo, v23, v32
	s_wait_alu 0xfffd
	v_add_co_ci_u32_e64 v22, null, 0, v24, vcc_lo
	s_delay_alu instid0(VALU_DEP_2) | instskip(SKIP_1) | instid1(VALU_DEP_2)
	;; [unrolled: 4-line block ×3, first 2 shown]
	v_add_co_u32 v15, vcc_lo, v13, v30
	s_wait_alu 0xfffd
	v_add_co_ci_u32_e64 v16, null, 0, v14, vcc_lo
	s_branch .LBB1138_106
.LBB1138_81:
	s_wait_dscnt 0x0
	v_dual_mov_b32 v10, 0 :: v_dual_mov_b32 v11, v19
	v_mov_b32_dpp v12, v19 row_shr:1 row_mask:0xf bank_mask:0xf
	s_delay_alu instid0(VALU_DEP_2)
	v_mov_b32_dpp v9, v10 row_shr:1 row_mask:0xf bank_mask:0xf
	s_and_saveexec_b32 s1, s0
; %bb.82:
	s_delay_alu instid0(VALU_DEP_2) | instskip(SKIP_2) | instid1(VALU_DEP_2)
	v_add_co_u32 v11, vcc_lo, v19, v12
	s_wait_alu 0xfffd
	v_add_co_ci_u32_e64 v10, null, 0, v20, vcc_lo
	v_add_co_u32 v19, vcc_lo, 0, v11
	s_wait_alu 0xfffd
	s_delay_alu instid0(VALU_DEP_2) | instskip(NEXT) | instid1(VALU_DEP_1)
	v_add_co_ci_u32_e64 v20, null, v9, v10, vcc_lo
	v_mov_b32_e32 v10, v20
; %bb.83:
	s_wait_alu 0xfffe
	s_or_b32 exec_lo, exec_lo, s1
	v_mov_b32_dpp v9, v11 row_shr:2 row_mask:0xf bank_mask:0xf
	s_delay_alu instid0(VALU_DEP_2)
	v_mov_b32_dpp v12, v10 row_shr:2 row_mask:0xf bank_mask:0xf
	s_mov_b32 s0, exec_lo
	v_cmpx_lt_u32_e32 1, v34
; %bb.84:
	s_delay_alu instid0(VALU_DEP_3) | instskip(SKIP_2) | instid1(VALU_DEP_2)
	v_add_co_u32 v11, vcc_lo, v19, v9
	s_wait_alu 0xfffd
	v_add_co_ci_u32_e64 v10, null, 0, v20, vcc_lo
	v_add_co_u32 v9, vcc_lo, 0, v11
	s_wait_alu 0xfffd
	s_delay_alu instid0(VALU_DEP_2) | instskip(NEXT) | instid1(VALU_DEP_1)
	v_add_co_ci_u32_e64 v10, null, v12, v10, vcc_lo
	v_dual_mov_b32 v20, v10 :: v_dual_mov_b32 v19, v9
; %bb.85:
	s_wait_alu 0xfffe
	s_or_b32 exec_lo, exec_lo, s0
	v_mov_b32_dpp v9, v11 row_shr:4 row_mask:0xf bank_mask:0xf
	v_mov_b32_dpp v12, v10 row_shr:4 row_mask:0xf bank_mask:0xf
	s_mov_b32 s0, exec_lo
	v_cmpx_lt_u32_e32 3, v34
; %bb.86:
	s_delay_alu instid0(VALU_DEP_3) | instskip(SKIP_2) | instid1(VALU_DEP_2)
	v_add_co_u32 v11, vcc_lo, v19, v9
	s_wait_alu 0xfffd
	v_add_co_ci_u32_e64 v10, null, 0, v20, vcc_lo
	v_add_co_u32 v9, vcc_lo, 0, v11
	s_wait_alu 0xfffd
	s_delay_alu instid0(VALU_DEP_2) | instskip(NEXT) | instid1(VALU_DEP_1)
	v_add_co_ci_u32_e64 v10, null, v12, v10, vcc_lo
	v_dual_mov_b32 v20, v10 :: v_dual_mov_b32 v19, v9
; %bb.87:
	s_wait_alu 0xfffe
	s_or_b32 exec_lo, exec_lo, s0
	v_mov_b32_dpp v12, v11 row_shr:8 row_mask:0xf bank_mask:0xf
	v_mov_b32_dpp v9, v10 row_shr:8 row_mask:0xf bank_mask:0xf
	s_mov_b32 s0, exec_lo
	v_cmpx_lt_u32_e32 7, v34
; %bb.88:
	s_delay_alu instid0(VALU_DEP_3) | instskip(SKIP_2) | instid1(VALU_DEP_2)
	v_add_co_u32 v11, vcc_lo, v19, v12
	s_wait_alu 0xfffd
	v_add_co_ci_u32_e64 v10, null, 0, v20, vcc_lo
	v_add_co_u32 v19, vcc_lo, 0, v11
	s_wait_alu 0xfffd
	s_delay_alu instid0(VALU_DEP_2) | instskip(NEXT) | instid1(VALU_DEP_1)
	v_add_co_ci_u32_e64 v20, null, v9, v10, vcc_lo
	v_mov_b32_e32 v10, v20
; %bb.89:
	s_wait_alu 0xfffe
	s_or_b32 exec_lo, exec_lo, s0
	ds_swizzle_b32 v11, v11 offset:swizzle(BROADCAST,32,15)
	ds_swizzle_b32 v9, v10 offset:swizzle(BROADCAST,32,15)
	v_and_b32_e32 v10, 16, v33
	s_mov_b32 s0, exec_lo
	s_delay_alu instid0(VALU_DEP_1)
	v_cmpx_ne_u32_e32 0, v10
	s_cbranch_execz .LBB1138_91
; %bb.90:
	s_wait_dscnt 0x1
	v_add_co_u32 v10, vcc_lo, v19, v11
	s_wait_alu 0xfffd
	v_add_co_ci_u32_e64 v11, null, 0, v20, vcc_lo
	s_delay_alu instid0(VALU_DEP_2) | instskip(SKIP_2) | instid1(VALU_DEP_2)
	v_add_co_u32 v19, vcc_lo, v10, 0
	s_wait_dscnt 0x0
	s_wait_alu 0xfffd
	v_add_co_ci_u32_e64 v20, null, v11, v9, vcc_lo
.LBB1138_91:
	s_wait_alu 0xfffe
	s_or_b32 exec_lo, exec_lo, s0
	s_wait_dscnt 0x0
	v_or_b32_e32 v9, 31, v0
	v_lshrrev_b32_e32 v11, 5, v0
	s_mov_b32 s0, exec_lo
	s_delay_alu instid0(VALU_DEP_2)
	v_cmpx_eq_u32_e64 v0, v9
; %bb.92:
	s_delay_alu instid0(VALU_DEP_2)
	v_lshlrev_b32_e32 v9, 3, v11
	ds_store_b64 v9, v[19:20]
; %bb.93:
	s_wait_alu 0xfffe
	s_or_b32 exec_lo, exec_lo, s0
	s_delay_alu instid0(SALU_CYCLE_1)
	s_mov_b32 s0, exec_lo
	s_wait_loadcnt_dscnt 0x0
	s_barrier_signal -1
	s_barrier_wait -1
	global_inv scope:SCOPE_SE
	v_cmpx_gt_u32_e32 8, v0
	s_cbranch_execz .LBB1138_101
; %bb.94:
	v_lshlrev_b32_e32 v12, 3, v0
	s_mov_b32 s1, exec_lo
	ds_load_b64 v[9:10], v12
	s_wait_dscnt 0x0
	v_dual_mov_b32 v14, v9 :: v_dual_and_b32 v13, 7, v33
	v_mov_b32_dpp v16, v9 row_shr:1 row_mask:0xf bank_mask:0xf
	v_mov_b32_dpp v15, v10 row_shr:1 row_mask:0xf bank_mask:0xf
	s_delay_alu instid0(VALU_DEP_3)
	v_cmpx_ne_u32_e32 0, v13
; %bb.95:
	s_delay_alu instid0(VALU_DEP_3) | instskip(SKIP_2) | instid1(VALU_DEP_2)
	v_add_co_u32 v14, vcc_lo, v9, v16
	s_wait_alu 0xfffd
	v_add_co_ci_u32_e64 v10, null, 0, v10, vcc_lo
	v_add_co_u32 v9, vcc_lo, 0, v14
	s_wait_alu 0xfffd
	s_delay_alu instid0(VALU_DEP_2)
	v_add_co_ci_u32_e64 v10, null, v15, v10, vcc_lo
; %bb.96:
	s_wait_alu 0xfffe
	s_or_b32 exec_lo, exec_lo, s1
	v_mov_b32_dpp v16, v14 row_shr:2 row_mask:0xf bank_mask:0xf
	s_delay_alu instid0(VALU_DEP_2)
	v_mov_b32_dpp v15, v10 row_shr:2 row_mask:0xf bank_mask:0xf
	s_mov_b32 s1, exec_lo
	v_cmpx_lt_u32_e32 1, v13
; %bb.97:
	s_delay_alu instid0(VALU_DEP_3) | instskip(SKIP_2) | instid1(VALU_DEP_2)
	v_add_co_u32 v14, vcc_lo, v9, v16
	s_wait_alu 0xfffd
	v_add_co_ci_u32_e64 v10, null, 0, v10, vcc_lo
	v_add_co_u32 v9, vcc_lo, 0, v14
	s_wait_alu 0xfffd
	s_delay_alu instid0(VALU_DEP_2)
	v_add_co_ci_u32_e64 v10, null, v15, v10, vcc_lo
; %bb.98:
	s_wait_alu 0xfffe
	s_or_b32 exec_lo, exec_lo, s1
	v_mov_b32_dpp v15, v14 row_shr:4 row_mask:0xf bank_mask:0xf
	s_delay_alu instid0(VALU_DEP_2)
	v_mov_b32_dpp v14, v10 row_shr:4 row_mask:0xf bank_mask:0xf
	s_mov_b32 s1, exec_lo
	v_cmpx_lt_u32_e32 3, v13
; %bb.99:
	s_delay_alu instid0(VALU_DEP_3) | instskip(SKIP_2) | instid1(VALU_DEP_2)
	v_add_co_u32 v9, vcc_lo, v9, v15
	s_wait_alu 0xfffd
	v_add_co_ci_u32_e64 v10, null, 0, v10, vcc_lo
	v_add_co_u32 v9, vcc_lo, v9, 0
	s_wait_alu 0xfffd
	s_delay_alu instid0(VALU_DEP_2)
	v_add_co_ci_u32_e64 v10, null, v10, v14, vcc_lo
; %bb.100:
	s_wait_alu 0xfffe
	s_or_b32 exec_lo, exec_lo, s1
	ds_store_b64 v12, v[9:10]
.LBB1138_101:
	s_wait_alu 0xfffe
	s_or_b32 exec_lo, exec_lo, s0
	v_mov_b32_e32 v13, 0
	v_mov_b32_e32 v14, 0
	s_mov_b32 s0, exec_lo
	s_wait_loadcnt_dscnt 0x0
	s_barrier_signal -1
	s_barrier_wait -1
	global_inv scope:SCOPE_SE
	v_cmpx_lt_u32_e32 31, v0
; %bb.102:
	v_lshl_add_u32 v9, v11, 3, -8
	ds_load_b64 v[13:14], v9
; %bb.103:
	s_wait_alu 0xfffe
	s_or_b32 exec_lo, exec_lo, s0
	v_sub_co_u32 v9, vcc_lo, v33, 1
	v_mov_b32_e32 v12, 0
	s_delay_alu instid0(VALU_DEP_2) | instskip(SKIP_1) | instid1(VALU_DEP_1)
	v_cmp_gt_i32_e64 s0, 0, v9
	s_wait_alu 0xf1ff
	v_cndmask_b32_e64 v9, v9, v33, s0
	s_wait_dscnt 0x0
	v_add_co_u32 v10, s0, v13, v19
	s_wait_alu 0xf1ff
	v_add_co_ci_u32_e64 v11, null, v14, v20, s0
	v_lshlrev_b32_e32 v9, 2, v9
	ds_bpermute_b32 v15, v9, v10
	ds_bpermute_b32 v16, v9, v11
	ds_load_b64 v[9:10], v12 offset:56
	s_and_saveexec_b32 s0, s2
	s_cbranch_execz .LBB1138_105
; %bb.104:
	s_add_nc_u64 s[4:5], s[14:15], 0x200
	s_wait_alu 0xfffe
	v_dual_mov_b32 v11, 2 :: v_dual_mov_b32 v20, s5
	v_mov_b32_e32 v19, s4
	s_wait_dscnt 0x0
	;;#ASMSTART
	global_store_b128 v[19:20], v[9:12] off scope:SCOPE_DEV	
s_wait_storecnt 0x0
	;;#ASMEND
.LBB1138_105:
	s_wait_alu 0xfffe
	s_or_b32 exec_lo, exec_lo, s0
	s_wait_dscnt 0x1
	s_wait_alu 0xfffd
	v_dual_cndmask_b32 v11, v15, v13 :: v_dual_cndmask_b32 v12, v16, v14
	s_wait_loadcnt_dscnt 0x0
	s_barrier_signal -1
	s_barrier_wait -1
	s_delay_alu instid0(VALU_DEP_1)
	v_cndmask_b32_e64 v23, v11, 0, s2
	v_cndmask_b32_e64 v24, v12, 0, s2
	v_mov_b32_e32 v11, 0
	v_mov_b32_e32 v12, 0
	global_inv scope:SCOPE_SE
	v_add_co_u32 v21, vcc_lo, v23, v32
	s_wait_alu 0xfffd
	v_add_co_ci_u32_e64 v22, null, 0, v24, vcc_lo
	s_delay_alu instid0(VALU_DEP_2) | instskip(SKIP_1) | instid1(VALU_DEP_2)
	v_add_co_u32 v13, vcc_lo, v21, v31
	s_wait_alu 0xfffd
	v_add_co_ci_u32_e64 v14, null, 0, v22, vcc_lo
	s_delay_alu instid0(VALU_DEP_2) | instskip(SKIP_1) | instid1(VALU_DEP_2)
	v_add_co_u32 v15, vcc_lo, v13, v30
	s_wait_alu 0xfffd
	v_add_co_ci_u32_e64 v16, null, 0, v14, vcc_lo
.LBB1138_106:
	v_and_b32_e32 v25, 1, v29
	s_wait_dscnt 0x0
	v_cmp_gt_u64_e32 vcc_lo, 0x101, v[9:10]
	s_mov_b32 s1, -1
	s_delay_alu instid0(VALU_DEP_2)
	v_cmp_eq_u32_e64 s0, 1, v25
	s_cbranch_vccnz .LBB1138_110
; %bb.107:
	s_wait_alu 0xfffe
	s_and_b32 vcc_lo, exec_lo, s1
	s_wait_alu 0xfffe
	s_cbranch_vccnz .LBB1138_119
.LBB1138_108:
	s_and_b32 s0, s2, s6
	s_wait_alu 0xfffe
	s_and_saveexec_b32 s1, s0
	s_cbranch_execnz .LBB1138_131
.LBB1138_109:
	s_endpgm
.LBB1138_110:
	v_add_co_u32 v19, vcc_lo, v11, v9
	s_wait_alu 0xfffd
	v_add_co_ci_u32_e64 v20, null, v12, v10, vcc_lo
	v_lshlrev_b64_e32 v[29:30], 3, v[17:18]
	s_delay_alu instid0(VALU_DEP_2) | instskip(NEXT) | instid1(VALU_DEP_2)
	v_cmp_lt_u64_e32 vcc_lo, v[23:24], v[19:20]
	v_add_co_u32 v26, s1, s12, v29
	s_wait_alu 0xf1fe
	s_delay_alu instid0(VALU_DEP_3)
	v_add_co_ci_u32_e64 v29, null, s13, v30, s1
	s_or_b32 s1, s7, vcc_lo
	s_wait_alu 0xfffe
	s_and_b32 s1, s1, s0
	s_wait_alu 0xfffe
	s_and_saveexec_b32 s0, s1
	s_cbranch_execz .LBB1138_112
; %bb.111:
	v_lshlrev_b64_e32 v[30:31], 3, v[23:24]
	s_delay_alu instid0(VALU_DEP_1) | instskip(SKIP_1) | instid1(VALU_DEP_2)
	v_add_co_u32 v30, vcc_lo, v26, v30
	s_wait_alu 0xfffd
	v_add_co_ci_u32_e64 v31, null, v29, v31, vcc_lo
	global_store_b64 v[30:31], v[1:2], off
.LBB1138_112:
	s_wait_alu 0xfffe
	s_or_b32 exec_lo, exec_lo, s0
	v_and_b32_e32 v24, 1, v28
	v_cmp_lt_u64_e32 vcc_lo, v[21:22], v[19:20]
	s_delay_alu instid0(VALU_DEP_2)
	v_cmp_eq_u32_e64 s0, 1, v24
	s_or_b32 s1, s7, vcc_lo
	s_wait_alu 0xfffe
	s_and_b32 s1, s1, s0
	s_wait_alu 0xfffe
	s_and_saveexec_b32 s0, s1
	s_cbranch_execz .LBB1138_114
; %bb.113:
	v_lshlrev_b64_e32 v[30:31], 3, v[21:22]
	s_delay_alu instid0(VALU_DEP_1) | instskip(SKIP_1) | instid1(VALU_DEP_2)
	v_add_co_u32 v30, vcc_lo, v26, v30
	s_wait_alu 0xfffd
	v_add_co_ci_u32_e64 v31, null, v29, v31, vcc_lo
	global_store_b64 v[30:31], v[5:6], off
.LBB1138_114:
	s_wait_alu 0xfffe
	s_or_b32 exec_lo, exec_lo, s0
	v_and_b32_e32 v22, 1, v27
	v_cmp_lt_u64_e32 vcc_lo, v[13:14], v[19:20]
	s_delay_alu instid0(VALU_DEP_2)
	v_cmp_eq_u32_e64 s0, 1, v22
	s_or_b32 s1, s7, vcc_lo
	s_wait_alu 0xfffe
	s_and_b32 s1, s1, s0
	s_wait_alu 0xfffe
	s_and_saveexec_b32 s0, s1
	s_cbranch_execz .LBB1138_116
; %bb.115:
	v_lshlrev_b64_e32 v[30:31], 3, v[13:14]
	s_delay_alu instid0(VALU_DEP_1) | instskip(SKIP_1) | instid1(VALU_DEP_2)
	v_add_co_u32 v30, vcc_lo, v26, v30
	s_wait_alu 0xfffd
	v_add_co_ci_u32_e64 v31, null, v29, v31, vcc_lo
	global_store_b64 v[30:31], v[7:8], off
.LBB1138_116:
	s_wait_alu 0xfffe
	s_or_b32 exec_lo, exec_lo, s0
	v_cmp_lt_u64_e32 vcc_lo, v[15:16], v[19:20]
	s_or_b32 s0, s7, vcc_lo
	s_wait_alu 0xfffe
	s_and_b32 s1, s0, s10
	s_wait_alu 0xfffe
	s_and_saveexec_b32 s0, s1
	s_cbranch_execz .LBB1138_118
; %bb.117:
	v_lshlrev_b64_e32 v[19:20], 3, v[15:16]
	s_delay_alu instid0(VALU_DEP_1) | instskip(SKIP_1) | instid1(VALU_DEP_2)
	v_add_co_u32 v19, vcc_lo, v26, v19
	s_wait_alu 0xfffd
	v_add_co_ci_u32_e64 v20, null, v29, v20, vcc_lo
	global_store_b64 v[19:20], v[3:4], off
.LBB1138_118:
	s_wait_alu 0xfffe
	s_or_b32 exec_lo, exec_lo, s0
	s_branch .LBB1138_108
.LBB1138_119:
	s_mov_b32 s0, exec_lo
	v_cmpx_eq_u32_e32 1, v25
; %bb.120:
	v_sub_nc_u32_e32 v14, v23, v11
	s_delay_alu instid0(VALU_DEP_1)
	v_lshlrev_b32_e32 v14, 3, v14
	ds_store_b64 v14, v[1:2]
; %bb.121:
	s_wait_alu 0xfffe
	s_or_b32 exec_lo, exec_lo, s0
	v_and_b32_e32 v1, 1, v28
	s_mov_b32 s0, exec_lo
	s_delay_alu instid0(VALU_DEP_1)
	v_cmpx_eq_u32_e32 1, v1
; %bb.122:
	v_sub_nc_u32_e32 v1, v21, v11
	s_delay_alu instid0(VALU_DEP_1)
	v_lshlrev_b32_e32 v1, 3, v1
	ds_store_b64 v1, v[5:6]
; %bb.123:
	s_wait_alu 0xfffe
	s_or_b32 exec_lo, exec_lo, s0
	v_and_b32_e32 v1, 1, v27
	s_mov_b32 s0, exec_lo
	s_delay_alu instid0(VALU_DEP_1)
	v_cmpx_eq_u32_e32 1, v1
; %bb.124:
	v_sub_nc_u32_e32 v1, v13, v11
	s_delay_alu instid0(VALU_DEP_1)
	v_lshlrev_b32_e32 v1, 3, v1
	ds_store_b64 v1, v[7:8]
; %bb.125:
	s_wait_alu 0xfffe
	s_or_b32 exec_lo, exec_lo, s0
	s_and_saveexec_b32 s0, s10
; %bb.126:
	v_sub_nc_u32_e32 v1, v15, v11
	s_delay_alu instid0(VALU_DEP_1)
	v_lshlrev_b32_e32 v1, 3, v1
	ds_store_b64 v1, v[3:4]
; %bb.127:
	s_wait_alu 0xfffe
	s_or_b32 exec_lo, exec_lo, s0
	v_mov_b32_e32 v1, 0
	s_mov_b32 s1, exec_lo
	s_wait_storecnt 0x0
	s_wait_loadcnt_dscnt 0x0
	s_barrier_signal -1
	s_barrier_wait -1
	global_inv scope:SCOPE_SE
	v_cmpx_gt_u64_e64 v[9:10], v[0:1]
	s_cbranch_execz .LBB1138_130
; %bb.128:
	v_lshlrev_b64_e32 v[2:3], 3, v[17:18]
	v_lshlrev_b64_e32 v[4:5], 3, v[11:12]
	s_mov_b32 s3, 0
	s_delay_alu instid0(VALU_DEP_2) | instskip(SKIP_1) | instid1(VALU_DEP_3)
	v_add_co_u32 v6, vcc_lo, s12, v2
	s_wait_alu 0xfffd
	v_add_co_ci_u32_e64 v7, null, s13, v3, vcc_lo
	v_dual_mov_b32 v3, v1 :: v_dual_mov_b32 v2, v0
	s_delay_alu instid0(VALU_DEP_3) | instskip(SKIP_1) | instid1(VALU_DEP_3)
	v_add_co_u32 v4, vcc_lo, v6, v4
	s_wait_alu 0xfffd
	v_add_co_ci_u32_e64 v5, null, v7, v5, vcc_lo
	v_or_b32_e32 v0, 0x100, v0
.LBB1138_129:                           ; =>This Inner Loop Header: Depth=1
	v_lshlrev_b32_e32 v6, 3, v2
	v_lshlrev_b64_e32 v[13:14], 3, v[2:3]
	v_mov_b32_e32 v3, v1
	s_delay_alu instid0(VALU_DEP_4)
	v_cmp_le_u64_e32 vcc_lo, v[9:10], v[0:1]
	v_mov_b32_e32 v2, v0
	ds_load_b64 v[6:7], v6
	v_add_nc_u32_e32 v0, 0x100, v0
	v_add_co_u32 v13, s0, v4, v13
	s_wait_alu 0xf1ff
	v_add_co_ci_u32_e64 v14, null, v5, v14, s0
	s_wait_alu 0xfffe
	s_or_b32 s3, vcc_lo, s3
	s_wait_dscnt 0x0
	global_store_b64 v[13:14], v[6:7], off
	s_wait_alu 0xfffe
	s_and_not1_b32 exec_lo, exec_lo, s3
	s_cbranch_execnz .LBB1138_129
.LBB1138_130:
	s_wait_alu 0xfffe
	s_or_b32 exec_lo, exec_lo, s1
	s_and_b32 s0, s2, s6
	s_wait_alu 0xfffe
	s_and_saveexec_b32 s1, s0
	s_cbranch_execz .LBB1138_109
.LBB1138_131:
	v_add_co_u32 v0, vcc_lo, v11, v9
	s_wait_alu 0xfffd
	v_add_co_ci_u32_e64 v1, null, v12, v10, vcc_lo
	v_mov_b32_e32 v2, 0
	s_delay_alu instid0(VALU_DEP_3) | instskip(SKIP_1) | instid1(VALU_DEP_3)
	v_add_co_u32 v0, vcc_lo, v0, v17
	s_wait_alu 0xfffd
	v_add_co_ci_u32_e64 v1, null, v1, v18, vcc_lo
	global_store_b64 v2, v[0:1], s[8:9]
	s_endpgm
.LBB1138_132:
	v_lshlrev_b32_e32 v3, 3, v0
	s_delay_alu instid0(VALU_DEP_1) | instskip(SKIP_4) | instid1(SALU_CYCLE_1)
	v_add_co_u32 v3, vcc_lo, v12, v3
	s_wait_alu 0xfffd
	v_add_co_ci_u32_e64 v4, null, 0, v13, vcc_lo
	flat_load_b64 v[3:4], v[3:4] offset:2048
	s_or_b32 exec_lo, exec_lo, s0
	s_mov_b32 s0, exec_lo
	v_cmpx_gt_u32_e64 s16, v11
	s_cbranch_execz .LBB1138_11
.LBB1138_133:
	v_lshlrev_b32_e32 v5, 3, v0
	s_delay_alu instid0(VALU_DEP_1) | instskip(SKIP_4) | instid1(SALU_CYCLE_1)
	v_add_co_u32 v5, vcc_lo, v12, v5
	s_wait_alu 0xfffd
	v_add_co_ci_u32_e64 v6, null, 0, v13, vcc_lo
	flat_load_b64 v[5:6], v[5:6] offset:4096
	s_or_b32 exec_lo, exec_lo, s0
	s_mov_b32 s0, exec_lo
	v_cmpx_gt_u32_e64 s16, v10
	s_cbranch_execnz .LBB1138_12
	s_branch .LBB1138_13
	.section	.rodata,"a",@progbits
	.p2align	6, 0x0
	.amdhsa_kernel _ZN7rocprim17ROCPRIM_400000_NS6detail17trampoline_kernelINS0_14default_configENS1_25partition_config_selectorILNS1_17partition_subalgoE6EyNS0_10empty_typeEbEEZZNS1_14partition_implILS5_6ELb0ES3_mN6thrust23THRUST_200600_302600_NS6detail15normal_iteratorINSA_10device_ptrIyEEEEPS6_SG_NS0_5tupleIJSF_S6_EEENSH_IJSG_SG_EEES6_PlJNSB_9not_fun_tI7is_trueIyEEEEEE10hipError_tPvRmT3_T4_T5_T6_T7_T9_mT8_P12ihipStream_tbDpT10_ENKUlT_T0_E_clISt17integral_constantIbLb0EES17_IbLb1EEEEDaS13_S14_EUlS13_E_NS1_11comp_targetILNS1_3genE10ELNS1_11target_archE1200ELNS1_3gpuE4ELNS1_3repE0EEENS1_30default_config_static_selectorELNS0_4arch9wavefront6targetE0EEEvT1_
		.amdhsa_group_segment_fixed_size 8464
		.amdhsa_private_segment_fixed_size 0
		.amdhsa_kernarg_size 128
		.amdhsa_user_sgpr_count 2
		.amdhsa_user_sgpr_dispatch_ptr 0
		.amdhsa_user_sgpr_queue_ptr 0
		.amdhsa_user_sgpr_kernarg_segment_ptr 1
		.amdhsa_user_sgpr_dispatch_id 0
		.amdhsa_user_sgpr_private_segment_size 0
		.amdhsa_wavefront_size32 1
		.amdhsa_uses_dynamic_stack 0
		.amdhsa_enable_private_segment 0
		.amdhsa_system_sgpr_workgroup_id_x 1
		.amdhsa_system_sgpr_workgroup_id_y 0
		.amdhsa_system_sgpr_workgroup_id_z 0
		.amdhsa_system_sgpr_workgroup_info 0
		.amdhsa_system_vgpr_workitem_id 0
		.amdhsa_next_free_vgpr 48
		.amdhsa_next_free_sgpr 22
		.amdhsa_reserve_vcc 1
		.amdhsa_float_round_mode_32 0
		.amdhsa_float_round_mode_16_64 0
		.amdhsa_float_denorm_mode_32 3
		.amdhsa_float_denorm_mode_16_64 3
		.amdhsa_fp16_overflow 0
		.amdhsa_workgroup_processor_mode 1
		.amdhsa_memory_ordered 1
		.amdhsa_forward_progress 1
		.amdhsa_inst_pref_size 52
		.amdhsa_round_robin_scheduling 0
		.amdhsa_exception_fp_ieee_invalid_op 0
		.amdhsa_exception_fp_denorm_src 0
		.amdhsa_exception_fp_ieee_div_zero 0
		.amdhsa_exception_fp_ieee_overflow 0
		.amdhsa_exception_fp_ieee_underflow 0
		.amdhsa_exception_fp_ieee_inexact 0
		.amdhsa_exception_int_div_zero 0
	.end_amdhsa_kernel
	.section	.text._ZN7rocprim17ROCPRIM_400000_NS6detail17trampoline_kernelINS0_14default_configENS1_25partition_config_selectorILNS1_17partition_subalgoE6EyNS0_10empty_typeEbEEZZNS1_14partition_implILS5_6ELb0ES3_mN6thrust23THRUST_200600_302600_NS6detail15normal_iteratorINSA_10device_ptrIyEEEEPS6_SG_NS0_5tupleIJSF_S6_EEENSH_IJSG_SG_EEES6_PlJNSB_9not_fun_tI7is_trueIyEEEEEE10hipError_tPvRmT3_T4_T5_T6_T7_T9_mT8_P12ihipStream_tbDpT10_ENKUlT_T0_E_clISt17integral_constantIbLb0EES17_IbLb1EEEEDaS13_S14_EUlS13_E_NS1_11comp_targetILNS1_3genE10ELNS1_11target_archE1200ELNS1_3gpuE4ELNS1_3repE0EEENS1_30default_config_static_selectorELNS0_4arch9wavefront6targetE0EEEvT1_,"axG",@progbits,_ZN7rocprim17ROCPRIM_400000_NS6detail17trampoline_kernelINS0_14default_configENS1_25partition_config_selectorILNS1_17partition_subalgoE6EyNS0_10empty_typeEbEEZZNS1_14partition_implILS5_6ELb0ES3_mN6thrust23THRUST_200600_302600_NS6detail15normal_iteratorINSA_10device_ptrIyEEEEPS6_SG_NS0_5tupleIJSF_S6_EEENSH_IJSG_SG_EEES6_PlJNSB_9not_fun_tI7is_trueIyEEEEEE10hipError_tPvRmT3_T4_T5_T6_T7_T9_mT8_P12ihipStream_tbDpT10_ENKUlT_T0_E_clISt17integral_constantIbLb0EES17_IbLb1EEEEDaS13_S14_EUlS13_E_NS1_11comp_targetILNS1_3genE10ELNS1_11target_archE1200ELNS1_3gpuE4ELNS1_3repE0EEENS1_30default_config_static_selectorELNS0_4arch9wavefront6targetE0EEEvT1_,comdat
.Lfunc_end1138:
	.size	_ZN7rocprim17ROCPRIM_400000_NS6detail17trampoline_kernelINS0_14default_configENS1_25partition_config_selectorILNS1_17partition_subalgoE6EyNS0_10empty_typeEbEEZZNS1_14partition_implILS5_6ELb0ES3_mN6thrust23THRUST_200600_302600_NS6detail15normal_iteratorINSA_10device_ptrIyEEEEPS6_SG_NS0_5tupleIJSF_S6_EEENSH_IJSG_SG_EEES6_PlJNSB_9not_fun_tI7is_trueIyEEEEEE10hipError_tPvRmT3_T4_T5_T6_T7_T9_mT8_P12ihipStream_tbDpT10_ENKUlT_T0_E_clISt17integral_constantIbLb0EES17_IbLb1EEEEDaS13_S14_EUlS13_E_NS1_11comp_targetILNS1_3genE10ELNS1_11target_archE1200ELNS1_3gpuE4ELNS1_3repE0EEENS1_30default_config_static_selectorELNS0_4arch9wavefront6targetE0EEEvT1_, .Lfunc_end1138-_ZN7rocprim17ROCPRIM_400000_NS6detail17trampoline_kernelINS0_14default_configENS1_25partition_config_selectorILNS1_17partition_subalgoE6EyNS0_10empty_typeEbEEZZNS1_14partition_implILS5_6ELb0ES3_mN6thrust23THRUST_200600_302600_NS6detail15normal_iteratorINSA_10device_ptrIyEEEEPS6_SG_NS0_5tupleIJSF_S6_EEENSH_IJSG_SG_EEES6_PlJNSB_9not_fun_tI7is_trueIyEEEEEE10hipError_tPvRmT3_T4_T5_T6_T7_T9_mT8_P12ihipStream_tbDpT10_ENKUlT_T0_E_clISt17integral_constantIbLb0EES17_IbLb1EEEEDaS13_S14_EUlS13_E_NS1_11comp_targetILNS1_3genE10ELNS1_11target_archE1200ELNS1_3gpuE4ELNS1_3repE0EEENS1_30default_config_static_selectorELNS0_4arch9wavefront6targetE0EEEvT1_
                                        ; -- End function
	.set _ZN7rocprim17ROCPRIM_400000_NS6detail17trampoline_kernelINS0_14default_configENS1_25partition_config_selectorILNS1_17partition_subalgoE6EyNS0_10empty_typeEbEEZZNS1_14partition_implILS5_6ELb0ES3_mN6thrust23THRUST_200600_302600_NS6detail15normal_iteratorINSA_10device_ptrIyEEEEPS6_SG_NS0_5tupleIJSF_S6_EEENSH_IJSG_SG_EEES6_PlJNSB_9not_fun_tI7is_trueIyEEEEEE10hipError_tPvRmT3_T4_T5_T6_T7_T9_mT8_P12ihipStream_tbDpT10_ENKUlT_T0_E_clISt17integral_constantIbLb0EES17_IbLb1EEEEDaS13_S14_EUlS13_E_NS1_11comp_targetILNS1_3genE10ELNS1_11target_archE1200ELNS1_3gpuE4ELNS1_3repE0EEENS1_30default_config_static_selectorELNS0_4arch9wavefront6targetE0EEEvT1_.num_vgpr, 48
	.set _ZN7rocprim17ROCPRIM_400000_NS6detail17trampoline_kernelINS0_14default_configENS1_25partition_config_selectorILNS1_17partition_subalgoE6EyNS0_10empty_typeEbEEZZNS1_14partition_implILS5_6ELb0ES3_mN6thrust23THRUST_200600_302600_NS6detail15normal_iteratorINSA_10device_ptrIyEEEEPS6_SG_NS0_5tupleIJSF_S6_EEENSH_IJSG_SG_EEES6_PlJNSB_9not_fun_tI7is_trueIyEEEEEE10hipError_tPvRmT3_T4_T5_T6_T7_T9_mT8_P12ihipStream_tbDpT10_ENKUlT_T0_E_clISt17integral_constantIbLb0EES17_IbLb1EEEEDaS13_S14_EUlS13_E_NS1_11comp_targetILNS1_3genE10ELNS1_11target_archE1200ELNS1_3gpuE4ELNS1_3repE0EEENS1_30default_config_static_selectorELNS0_4arch9wavefront6targetE0EEEvT1_.num_agpr, 0
	.set _ZN7rocprim17ROCPRIM_400000_NS6detail17trampoline_kernelINS0_14default_configENS1_25partition_config_selectorILNS1_17partition_subalgoE6EyNS0_10empty_typeEbEEZZNS1_14partition_implILS5_6ELb0ES3_mN6thrust23THRUST_200600_302600_NS6detail15normal_iteratorINSA_10device_ptrIyEEEEPS6_SG_NS0_5tupleIJSF_S6_EEENSH_IJSG_SG_EEES6_PlJNSB_9not_fun_tI7is_trueIyEEEEEE10hipError_tPvRmT3_T4_T5_T6_T7_T9_mT8_P12ihipStream_tbDpT10_ENKUlT_T0_E_clISt17integral_constantIbLb0EES17_IbLb1EEEEDaS13_S14_EUlS13_E_NS1_11comp_targetILNS1_3genE10ELNS1_11target_archE1200ELNS1_3gpuE4ELNS1_3repE0EEENS1_30default_config_static_selectorELNS0_4arch9wavefront6targetE0EEEvT1_.numbered_sgpr, 22
	.set _ZN7rocprim17ROCPRIM_400000_NS6detail17trampoline_kernelINS0_14default_configENS1_25partition_config_selectorILNS1_17partition_subalgoE6EyNS0_10empty_typeEbEEZZNS1_14partition_implILS5_6ELb0ES3_mN6thrust23THRUST_200600_302600_NS6detail15normal_iteratorINSA_10device_ptrIyEEEEPS6_SG_NS0_5tupleIJSF_S6_EEENSH_IJSG_SG_EEES6_PlJNSB_9not_fun_tI7is_trueIyEEEEEE10hipError_tPvRmT3_T4_T5_T6_T7_T9_mT8_P12ihipStream_tbDpT10_ENKUlT_T0_E_clISt17integral_constantIbLb0EES17_IbLb1EEEEDaS13_S14_EUlS13_E_NS1_11comp_targetILNS1_3genE10ELNS1_11target_archE1200ELNS1_3gpuE4ELNS1_3repE0EEENS1_30default_config_static_selectorELNS0_4arch9wavefront6targetE0EEEvT1_.num_named_barrier, 0
	.set _ZN7rocprim17ROCPRIM_400000_NS6detail17trampoline_kernelINS0_14default_configENS1_25partition_config_selectorILNS1_17partition_subalgoE6EyNS0_10empty_typeEbEEZZNS1_14partition_implILS5_6ELb0ES3_mN6thrust23THRUST_200600_302600_NS6detail15normal_iteratorINSA_10device_ptrIyEEEEPS6_SG_NS0_5tupleIJSF_S6_EEENSH_IJSG_SG_EEES6_PlJNSB_9not_fun_tI7is_trueIyEEEEEE10hipError_tPvRmT3_T4_T5_T6_T7_T9_mT8_P12ihipStream_tbDpT10_ENKUlT_T0_E_clISt17integral_constantIbLb0EES17_IbLb1EEEEDaS13_S14_EUlS13_E_NS1_11comp_targetILNS1_3genE10ELNS1_11target_archE1200ELNS1_3gpuE4ELNS1_3repE0EEENS1_30default_config_static_selectorELNS0_4arch9wavefront6targetE0EEEvT1_.private_seg_size, 0
	.set _ZN7rocprim17ROCPRIM_400000_NS6detail17trampoline_kernelINS0_14default_configENS1_25partition_config_selectorILNS1_17partition_subalgoE6EyNS0_10empty_typeEbEEZZNS1_14partition_implILS5_6ELb0ES3_mN6thrust23THRUST_200600_302600_NS6detail15normal_iteratorINSA_10device_ptrIyEEEEPS6_SG_NS0_5tupleIJSF_S6_EEENSH_IJSG_SG_EEES6_PlJNSB_9not_fun_tI7is_trueIyEEEEEE10hipError_tPvRmT3_T4_T5_T6_T7_T9_mT8_P12ihipStream_tbDpT10_ENKUlT_T0_E_clISt17integral_constantIbLb0EES17_IbLb1EEEEDaS13_S14_EUlS13_E_NS1_11comp_targetILNS1_3genE10ELNS1_11target_archE1200ELNS1_3gpuE4ELNS1_3repE0EEENS1_30default_config_static_selectorELNS0_4arch9wavefront6targetE0EEEvT1_.uses_vcc, 1
	.set _ZN7rocprim17ROCPRIM_400000_NS6detail17trampoline_kernelINS0_14default_configENS1_25partition_config_selectorILNS1_17partition_subalgoE6EyNS0_10empty_typeEbEEZZNS1_14partition_implILS5_6ELb0ES3_mN6thrust23THRUST_200600_302600_NS6detail15normal_iteratorINSA_10device_ptrIyEEEEPS6_SG_NS0_5tupleIJSF_S6_EEENSH_IJSG_SG_EEES6_PlJNSB_9not_fun_tI7is_trueIyEEEEEE10hipError_tPvRmT3_T4_T5_T6_T7_T9_mT8_P12ihipStream_tbDpT10_ENKUlT_T0_E_clISt17integral_constantIbLb0EES17_IbLb1EEEEDaS13_S14_EUlS13_E_NS1_11comp_targetILNS1_3genE10ELNS1_11target_archE1200ELNS1_3gpuE4ELNS1_3repE0EEENS1_30default_config_static_selectorELNS0_4arch9wavefront6targetE0EEEvT1_.uses_flat_scratch, 1
	.set _ZN7rocprim17ROCPRIM_400000_NS6detail17trampoline_kernelINS0_14default_configENS1_25partition_config_selectorILNS1_17partition_subalgoE6EyNS0_10empty_typeEbEEZZNS1_14partition_implILS5_6ELb0ES3_mN6thrust23THRUST_200600_302600_NS6detail15normal_iteratorINSA_10device_ptrIyEEEEPS6_SG_NS0_5tupleIJSF_S6_EEENSH_IJSG_SG_EEES6_PlJNSB_9not_fun_tI7is_trueIyEEEEEE10hipError_tPvRmT3_T4_T5_T6_T7_T9_mT8_P12ihipStream_tbDpT10_ENKUlT_T0_E_clISt17integral_constantIbLb0EES17_IbLb1EEEEDaS13_S14_EUlS13_E_NS1_11comp_targetILNS1_3genE10ELNS1_11target_archE1200ELNS1_3gpuE4ELNS1_3repE0EEENS1_30default_config_static_selectorELNS0_4arch9wavefront6targetE0EEEvT1_.has_dyn_sized_stack, 0
	.set _ZN7rocprim17ROCPRIM_400000_NS6detail17trampoline_kernelINS0_14default_configENS1_25partition_config_selectorILNS1_17partition_subalgoE6EyNS0_10empty_typeEbEEZZNS1_14partition_implILS5_6ELb0ES3_mN6thrust23THRUST_200600_302600_NS6detail15normal_iteratorINSA_10device_ptrIyEEEEPS6_SG_NS0_5tupleIJSF_S6_EEENSH_IJSG_SG_EEES6_PlJNSB_9not_fun_tI7is_trueIyEEEEEE10hipError_tPvRmT3_T4_T5_T6_T7_T9_mT8_P12ihipStream_tbDpT10_ENKUlT_T0_E_clISt17integral_constantIbLb0EES17_IbLb1EEEEDaS13_S14_EUlS13_E_NS1_11comp_targetILNS1_3genE10ELNS1_11target_archE1200ELNS1_3gpuE4ELNS1_3repE0EEENS1_30default_config_static_selectorELNS0_4arch9wavefront6targetE0EEEvT1_.has_recursion, 0
	.set _ZN7rocprim17ROCPRIM_400000_NS6detail17trampoline_kernelINS0_14default_configENS1_25partition_config_selectorILNS1_17partition_subalgoE6EyNS0_10empty_typeEbEEZZNS1_14partition_implILS5_6ELb0ES3_mN6thrust23THRUST_200600_302600_NS6detail15normal_iteratorINSA_10device_ptrIyEEEEPS6_SG_NS0_5tupleIJSF_S6_EEENSH_IJSG_SG_EEES6_PlJNSB_9not_fun_tI7is_trueIyEEEEEE10hipError_tPvRmT3_T4_T5_T6_T7_T9_mT8_P12ihipStream_tbDpT10_ENKUlT_T0_E_clISt17integral_constantIbLb0EES17_IbLb1EEEEDaS13_S14_EUlS13_E_NS1_11comp_targetILNS1_3genE10ELNS1_11target_archE1200ELNS1_3gpuE4ELNS1_3repE0EEENS1_30default_config_static_selectorELNS0_4arch9wavefront6targetE0EEEvT1_.has_indirect_call, 0
	.section	.AMDGPU.csdata,"",@progbits
; Kernel info:
; codeLenInByte = 6572
; TotalNumSgprs: 24
; NumVgprs: 48
; ScratchSize: 0
; MemoryBound: 0
; FloatMode: 240
; IeeeMode: 1
; LDSByteSize: 8464 bytes/workgroup (compile time only)
; SGPRBlocks: 0
; VGPRBlocks: 5
; NumSGPRsForWavesPerEU: 24
; NumVGPRsForWavesPerEU: 48
; Occupancy: 16
; WaveLimiterHint : 1
; COMPUTE_PGM_RSRC2:SCRATCH_EN: 0
; COMPUTE_PGM_RSRC2:USER_SGPR: 2
; COMPUTE_PGM_RSRC2:TRAP_HANDLER: 0
; COMPUTE_PGM_RSRC2:TGID_X_EN: 1
; COMPUTE_PGM_RSRC2:TGID_Y_EN: 0
; COMPUTE_PGM_RSRC2:TGID_Z_EN: 0
; COMPUTE_PGM_RSRC2:TIDIG_COMP_CNT: 0
	.section	.text._ZN7rocprim17ROCPRIM_400000_NS6detail17trampoline_kernelINS0_14default_configENS1_25partition_config_selectorILNS1_17partition_subalgoE6EyNS0_10empty_typeEbEEZZNS1_14partition_implILS5_6ELb0ES3_mN6thrust23THRUST_200600_302600_NS6detail15normal_iteratorINSA_10device_ptrIyEEEEPS6_SG_NS0_5tupleIJSF_S6_EEENSH_IJSG_SG_EEES6_PlJNSB_9not_fun_tI7is_trueIyEEEEEE10hipError_tPvRmT3_T4_T5_T6_T7_T9_mT8_P12ihipStream_tbDpT10_ENKUlT_T0_E_clISt17integral_constantIbLb0EES17_IbLb1EEEEDaS13_S14_EUlS13_E_NS1_11comp_targetILNS1_3genE9ELNS1_11target_archE1100ELNS1_3gpuE3ELNS1_3repE0EEENS1_30default_config_static_selectorELNS0_4arch9wavefront6targetE0EEEvT1_,"axG",@progbits,_ZN7rocprim17ROCPRIM_400000_NS6detail17trampoline_kernelINS0_14default_configENS1_25partition_config_selectorILNS1_17partition_subalgoE6EyNS0_10empty_typeEbEEZZNS1_14partition_implILS5_6ELb0ES3_mN6thrust23THRUST_200600_302600_NS6detail15normal_iteratorINSA_10device_ptrIyEEEEPS6_SG_NS0_5tupleIJSF_S6_EEENSH_IJSG_SG_EEES6_PlJNSB_9not_fun_tI7is_trueIyEEEEEE10hipError_tPvRmT3_T4_T5_T6_T7_T9_mT8_P12ihipStream_tbDpT10_ENKUlT_T0_E_clISt17integral_constantIbLb0EES17_IbLb1EEEEDaS13_S14_EUlS13_E_NS1_11comp_targetILNS1_3genE9ELNS1_11target_archE1100ELNS1_3gpuE3ELNS1_3repE0EEENS1_30default_config_static_selectorELNS0_4arch9wavefront6targetE0EEEvT1_,comdat
	.protected	_ZN7rocprim17ROCPRIM_400000_NS6detail17trampoline_kernelINS0_14default_configENS1_25partition_config_selectorILNS1_17partition_subalgoE6EyNS0_10empty_typeEbEEZZNS1_14partition_implILS5_6ELb0ES3_mN6thrust23THRUST_200600_302600_NS6detail15normal_iteratorINSA_10device_ptrIyEEEEPS6_SG_NS0_5tupleIJSF_S6_EEENSH_IJSG_SG_EEES6_PlJNSB_9not_fun_tI7is_trueIyEEEEEE10hipError_tPvRmT3_T4_T5_T6_T7_T9_mT8_P12ihipStream_tbDpT10_ENKUlT_T0_E_clISt17integral_constantIbLb0EES17_IbLb1EEEEDaS13_S14_EUlS13_E_NS1_11comp_targetILNS1_3genE9ELNS1_11target_archE1100ELNS1_3gpuE3ELNS1_3repE0EEENS1_30default_config_static_selectorELNS0_4arch9wavefront6targetE0EEEvT1_ ; -- Begin function _ZN7rocprim17ROCPRIM_400000_NS6detail17trampoline_kernelINS0_14default_configENS1_25partition_config_selectorILNS1_17partition_subalgoE6EyNS0_10empty_typeEbEEZZNS1_14partition_implILS5_6ELb0ES3_mN6thrust23THRUST_200600_302600_NS6detail15normal_iteratorINSA_10device_ptrIyEEEEPS6_SG_NS0_5tupleIJSF_S6_EEENSH_IJSG_SG_EEES6_PlJNSB_9not_fun_tI7is_trueIyEEEEEE10hipError_tPvRmT3_T4_T5_T6_T7_T9_mT8_P12ihipStream_tbDpT10_ENKUlT_T0_E_clISt17integral_constantIbLb0EES17_IbLb1EEEEDaS13_S14_EUlS13_E_NS1_11comp_targetILNS1_3genE9ELNS1_11target_archE1100ELNS1_3gpuE3ELNS1_3repE0EEENS1_30default_config_static_selectorELNS0_4arch9wavefront6targetE0EEEvT1_
	.globl	_ZN7rocprim17ROCPRIM_400000_NS6detail17trampoline_kernelINS0_14default_configENS1_25partition_config_selectorILNS1_17partition_subalgoE6EyNS0_10empty_typeEbEEZZNS1_14partition_implILS5_6ELb0ES3_mN6thrust23THRUST_200600_302600_NS6detail15normal_iteratorINSA_10device_ptrIyEEEEPS6_SG_NS0_5tupleIJSF_S6_EEENSH_IJSG_SG_EEES6_PlJNSB_9not_fun_tI7is_trueIyEEEEEE10hipError_tPvRmT3_T4_T5_T6_T7_T9_mT8_P12ihipStream_tbDpT10_ENKUlT_T0_E_clISt17integral_constantIbLb0EES17_IbLb1EEEEDaS13_S14_EUlS13_E_NS1_11comp_targetILNS1_3genE9ELNS1_11target_archE1100ELNS1_3gpuE3ELNS1_3repE0EEENS1_30default_config_static_selectorELNS0_4arch9wavefront6targetE0EEEvT1_
	.p2align	8
	.type	_ZN7rocprim17ROCPRIM_400000_NS6detail17trampoline_kernelINS0_14default_configENS1_25partition_config_selectorILNS1_17partition_subalgoE6EyNS0_10empty_typeEbEEZZNS1_14partition_implILS5_6ELb0ES3_mN6thrust23THRUST_200600_302600_NS6detail15normal_iteratorINSA_10device_ptrIyEEEEPS6_SG_NS0_5tupleIJSF_S6_EEENSH_IJSG_SG_EEES6_PlJNSB_9not_fun_tI7is_trueIyEEEEEE10hipError_tPvRmT3_T4_T5_T6_T7_T9_mT8_P12ihipStream_tbDpT10_ENKUlT_T0_E_clISt17integral_constantIbLb0EES17_IbLb1EEEEDaS13_S14_EUlS13_E_NS1_11comp_targetILNS1_3genE9ELNS1_11target_archE1100ELNS1_3gpuE3ELNS1_3repE0EEENS1_30default_config_static_selectorELNS0_4arch9wavefront6targetE0EEEvT1_,@function
_ZN7rocprim17ROCPRIM_400000_NS6detail17trampoline_kernelINS0_14default_configENS1_25partition_config_selectorILNS1_17partition_subalgoE6EyNS0_10empty_typeEbEEZZNS1_14partition_implILS5_6ELb0ES3_mN6thrust23THRUST_200600_302600_NS6detail15normal_iteratorINSA_10device_ptrIyEEEEPS6_SG_NS0_5tupleIJSF_S6_EEENSH_IJSG_SG_EEES6_PlJNSB_9not_fun_tI7is_trueIyEEEEEE10hipError_tPvRmT3_T4_T5_T6_T7_T9_mT8_P12ihipStream_tbDpT10_ENKUlT_T0_E_clISt17integral_constantIbLb0EES17_IbLb1EEEEDaS13_S14_EUlS13_E_NS1_11comp_targetILNS1_3genE9ELNS1_11target_archE1100ELNS1_3gpuE3ELNS1_3repE0EEENS1_30default_config_static_selectorELNS0_4arch9wavefront6targetE0EEEvT1_: ; @_ZN7rocprim17ROCPRIM_400000_NS6detail17trampoline_kernelINS0_14default_configENS1_25partition_config_selectorILNS1_17partition_subalgoE6EyNS0_10empty_typeEbEEZZNS1_14partition_implILS5_6ELb0ES3_mN6thrust23THRUST_200600_302600_NS6detail15normal_iteratorINSA_10device_ptrIyEEEEPS6_SG_NS0_5tupleIJSF_S6_EEENSH_IJSG_SG_EEES6_PlJNSB_9not_fun_tI7is_trueIyEEEEEE10hipError_tPvRmT3_T4_T5_T6_T7_T9_mT8_P12ihipStream_tbDpT10_ENKUlT_T0_E_clISt17integral_constantIbLb0EES17_IbLb1EEEEDaS13_S14_EUlS13_E_NS1_11comp_targetILNS1_3genE9ELNS1_11target_archE1100ELNS1_3gpuE3ELNS1_3repE0EEENS1_30default_config_static_selectorELNS0_4arch9wavefront6targetE0EEEvT1_
; %bb.0:
	.section	.rodata,"a",@progbits
	.p2align	6, 0x0
	.amdhsa_kernel _ZN7rocprim17ROCPRIM_400000_NS6detail17trampoline_kernelINS0_14default_configENS1_25partition_config_selectorILNS1_17partition_subalgoE6EyNS0_10empty_typeEbEEZZNS1_14partition_implILS5_6ELb0ES3_mN6thrust23THRUST_200600_302600_NS6detail15normal_iteratorINSA_10device_ptrIyEEEEPS6_SG_NS0_5tupleIJSF_S6_EEENSH_IJSG_SG_EEES6_PlJNSB_9not_fun_tI7is_trueIyEEEEEE10hipError_tPvRmT3_T4_T5_T6_T7_T9_mT8_P12ihipStream_tbDpT10_ENKUlT_T0_E_clISt17integral_constantIbLb0EES17_IbLb1EEEEDaS13_S14_EUlS13_E_NS1_11comp_targetILNS1_3genE9ELNS1_11target_archE1100ELNS1_3gpuE3ELNS1_3repE0EEENS1_30default_config_static_selectorELNS0_4arch9wavefront6targetE0EEEvT1_
		.amdhsa_group_segment_fixed_size 0
		.amdhsa_private_segment_fixed_size 0
		.amdhsa_kernarg_size 128
		.amdhsa_user_sgpr_count 2
		.amdhsa_user_sgpr_dispatch_ptr 0
		.amdhsa_user_sgpr_queue_ptr 0
		.amdhsa_user_sgpr_kernarg_segment_ptr 1
		.amdhsa_user_sgpr_dispatch_id 0
		.amdhsa_user_sgpr_private_segment_size 0
		.amdhsa_wavefront_size32 1
		.amdhsa_uses_dynamic_stack 0
		.amdhsa_enable_private_segment 0
		.amdhsa_system_sgpr_workgroup_id_x 1
		.amdhsa_system_sgpr_workgroup_id_y 0
		.amdhsa_system_sgpr_workgroup_id_z 0
		.amdhsa_system_sgpr_workgroup_info 0
		.amdhsa_system_vgpr_workitem_id 0
		.amdhsa_next_free_vgpr 1
		.amdhsa_next_free_sgpr 1
		.amdhsa_reserve_vcc 0
		.amdhsa_float_round_mode_32 0
		.amdhsa_float_round_mode_16_64 0
		.amdhsa_float_denorm_mode_32 3
		.amdhsa_float_denorm_mode_16_64 3
		.amdhsa_fp16_overflow 0
		.amdhsa_workgroup_processor_mode 1
		.amdhsa_memory_ordered 1
		.amdhsa_forward_progress 1
		.amdhsa_inst_pref_size 0
		.amdhsa_round_robin_scheduling 0
		.amdhsa_exception_fp_ieee_invalid_op 0
		.amdhsa_exception_fp_denorm_src 0
		.amdhsa_exception_fp_ieee_div_zero 0
		.amdhsa_exception_fp_ieee_overflow 0
		.amdhsa_exception_fp_ieee_underflow 0
		.amdhsa_exception_fp_ieee_inexact 0
		.amdhsa_exception_int_div_zero 0
	.end_amdhsa_kernel
	.section	.text._ZN7rocprim17ROCPRIM_400000_NS6detail17trampoline_kernelINS0_14default_configENS1_25partition_config_selectorILNS1_17partition_subalgoE6EyNS0_10empty_typeEbEEZZNS1_14partition_implILS5_6ELb0ES3_mN6thrust23THRUST_200600_302600_NS6detail15normal_iteratorINSA_10device_ptrIyEEEEPS6_SG_NS0_5tupleIJSF_S6_EEENSH_IJSG_SG_EEES6_PlJNSB_9not_fun_tI7is_trueIyEEEEEE10hipError_tPvRmT3_T4_T5_T6_T7_T9_mT8_P12ihipStream_tbDpT10_ENKUlT_T0_E_clISt17integral_constantIbLb0EES17_IbLb1EEEEDaS13_S14_EUlS13_E_NS1_11comp_targetILNS1_3genE9ELNS1_11target_archE1100ELNS1_3gpuE3ELNS1_3repE0EEENS1_30default_config_static_selectorELNS0_4arch9wavefront6targetE0EEEvT1_,"axG",@progbits,_ZN7rocprim17ROCPRIM_400000_NS6detail17trampoline_kernelINS0_14default_configENS1_25partition_config_selectorILNS1_17partition_subalgoE6EyNS0_10empty_typeEbEEZZNS1_14partition_implILS5_6ELb0ES3_mN6thrust23THRUST_200600_302600_NS6detail15normal_iteratorINSA_10device_ptrIyEEEEPS6_SG_NS0_5tupleIJSF_S6_EEENSH_IJSG_SG_EEES6_PlJNSB_9not_fun_tI7is_trueIyEEEEEE10hipError_tPvRmT3_T4_T5_T6_T7_T9_mT8_P12ihipStream_tbDpT10_ENKUlT_T0_E_clISt17integral_constantIbLb0EES17_IbLb1EEEEDaS13_S14_EUlS13_E_NS1_11comp_targetILNS1_3genE9ELNS1_11target_archE1100ELNS1_3gpuE3ELNS1_3repE0EEENS1_30default_config_static_selectorELNS0_4arch9wavefront6targetE0EEEvT1_,comdat
.Lfunc_end1139:
	.size	_ZN7rocprim17ROCPRIM_400000_NS6detail17trampoline_kernelINS0_14default_configENS1_25partition_config_selectorILNS1_17partition_subalgoE6EyNS0_10empty_typeEbEEZZNS1_14partition_implILS5_6ELb0ES3_mN6thrust23THRUST_200600_302600_NS6detail15normal_iteratorINSA_10device_ptrIyEEEEPS6_SG_NS0_5tupleIJSF_S6_EEENSH_IJSG_SG_EEES6_PlJNSB_9not_fun_tI7is_trueIyEEEEEE10hipError_tPvRmT3_T4_T5_T6_T7_T9_mT8_P12ihipStream_tbDpT10_ENKUlT_T0_E_clISt17integral_constantIbLb0EES17_IbLb1EEEEDaS13_S14_EUlS13_E_NS1_11comp_targetILNS1_3genE9ELNS1_11target_archE1100ELNS1_3gpuE3ELNS1_3repE0EEENS1_30default_config_static_selectorELNS0_4arch9wavefront6targetE0EEEvT1_, .Lfunc_end1139-_ZN7rocprim17ROCPRIM_400000_NS6detail17trampoline_kernelINS0_14default_configENS1_25partition_config_selectorILNS1_17partition_subalgoE6EyNS0_10empty_typeEbEEZZNS1_14partition_implILS5_6ELb0ES3_mN6thrust23THRUST_200600_302600_NS6detail15normal_iteratorINSA_10device_ptrIyEEEEPS6_SG_NS0_5tupleIJSF_S6_EEENSH_IJSG_SG_EEES6_PlJNSB_9not_fun_tI7is_trueIyEEEEEE10hipError_tPvRmT3_T4_T5_T6_T7_T9_mT8_P12ihipStream_tbDpT10_ENKUlT_T0_E_clISt17integral_constantIbLb0EES17_IbLb1EEEEDaS13_S14_EUlS13_E_NS1_11comp_targetILNS1_3genE9ELNS1_11target_archE1100ELNS1_3gpuE3ELNS1_3repE0EEENS1_30default_config_static_selectorELNS0_4arch9wavefront6targetE0EEEvT1_
                                        ; -- End function
	.set _ZN7rocprim17ROCPRIM_400000_NS6detail17trampoline_kernelINS0_14default_configENS1_25partition_config_selectorILNS1_17partition_subalgoE6EyNS0_10empty_typeEbEEZZNS1_14partition_implILS5_6ELb0ES3_mN6thrust23THRUST_200600_302600_NS6detail15normal_iteratorINSA_10device_ptrIyEEEEPS6_SG_NS0_5tupleIJSF_S6_EEENSH_IJSG_SG_EEES6_PlJNSB_9not_fun_tI7is_trueIyEEEEEE10hipError_tPvRmT3_T4_T5_T6_T7_T9_mT8_P12ihipStream_tbDpT10_ENKUlT_T0_E_clISt17integral_constantIbLb0EES17_IbLb1EEEEDaS13_S14_EUlS13_E_NS1_11comp_targetILNS1_3genE9ELNS1_11target_archE1100ELNS1_3gpuE3ELNS1_3repE0EEENS1_30default_config_static_selectorELNS0_4arch9wavefront6targetE0EEEvT1_.num_vgpr, 0
	.set _ZN7rocprim17ROCPRIM_400000_NS6detail17trampoline_kernelINS0_14default_configENS1_25partition_config_selectorILNS1_17partition_subalgoE6EyNS0_10empty_typeEbEEZZNS1_14partition_implILS5_6ELb0ES3_mN6thrust23THRUST_200600_302600_NS6detail15normal_iteratorINSA_10device_ptrIyEEEEPS6_SG_NS0_5tupleIJSF_S6_EEENSH_IJSG_SG_EEES6_PlJNSB_9not_fun_tI7is_trueIyEEEEEE10hipError_tPvRmT3_T4_T5_T6_T7_T9_mT8_P12ihipStream_tbDpT10_ENKUlT_T0_E_clISt17integral_constantIbLb0EES17_IbLb1EEEEDaS13_S14_EUlS13_E_NS1_11comp_targetILNS1_3genE9ELNS1_11target_archE1100ELNS1_3gpuE3ELNS1_3repE0EEENS1_30default_config_static_selectorELNS0_4arch9wavefront6targetE0EEEvT1_.num_agpr, 0
	.set _ZN7rocprim17ROCPRIM_400000_NS6detail17trampoline_kernelINS0_14default_configENS1_25partition_config_selectorILNS1_17partition_subalgoE6EyNS0_10empty_typeEbEEZZNS1_14partition_implILS5_6ELb0ES3_mN6thrust23THRUST_200600_302600_NS6detail15normal_iteratorINSA_10device_ptrIyEEEEPS6_SG_NS0_5tupleIJSF_S6_EEENSH_IJSG_SG_EEES6_PlJNSB_9not_fun_tI7is_trueIyEEEEEE10hipError_tPvRmT3_T4_T5_T6_T7_T9_mT8_P12ihipStream_tbDpT10_ENKUlT_T0_E_clISt17integral_constantIbLb0EES17_IbLb1EEEEDaS13_S14_EUlS13_E_NS1_11comp_targetILNS1_3genE9ELNS1_11target_archE1100ELNS1_3gpuE3ELNS1_3repE0EEENS1_30default_config_static_selectorELNS0_4arch9wavefront6targetE0EEEvT1_.numbered_sgpr, 0
	.set _ZN7rocprim17ROCPRIM_400000_NS6detail17trampoline_kernelINS0_14default_configENS1_25partition_config_selectorILNS1_17partition_subalgoE6EyNS0_10empty_typeEbEEZZNS1_14partition_implILS5_6ELb0ES3_mN6thrust23THRUST_200600_302600_NS6detail15normal_iteratorINSA_10device_ptrIyEEEEPS6_SG_NS0_5tupleIJSF_S6_EEENSH_IJSG_SG_EEES6_PlJNSB_9not_fun_tI7is_trueIyEEEEEE10hipError_tPvRmT3_T4_T5_T6_T7_T9_mT8_P12ihipStream_tbDpT10_ENKUlT_T0_E_clISt17integral_constantIbLb0EES17_IbLb1EEEEDaS13_S14_EUlS13_E_NS1_11comp_targetILNS1_3genE9ELNS1_11target_archE1100ELNS1_3gpuE3ELNS1_3repE0EEENS1_30default_config_static_selectorELNS0_4arch9wavefront6targetE0EEEvT1_.num_named_barrier, 0
	.set _ZN7rocprim17ROCPRIM_400000_NS6detail17trampoline_kernelINS0_14default_configENS1_25partition_config_selectorILNS1_17partition_subalgoE6EyNS0_10empty_typeEbEEZZNS1_14partition_implILS5_6ELb0ES3_mN6thrust23THRUST_200600_302600_NS6detail15normal_iteratorINSA_10device_ptrIyEEEEPS6_SG_NS0_5tupleIJSF_S6_EEENSH_IJSG_SG_EEES6_PlJNSB_9not_fun_tI7is_trueIyEEEEEE10hipError_tPvRmT3_T4_T5_T6_T7_T9_mT8_P12ihipStream_tbDpT10_ENKUlT_T0_E_clISt17integral_constantIbLb0EES17_IbLb1EEEEDaS13_S14_EUlS13_E_NS1_11comp_targetILNS1_3genE9ELNS1_11target_archE1100ELNS1_3gpuE3ELNS1_3repE0EEENS1_30default_config_static_selectorELNS0_4arch9wavefront6targetE0EEEvT1_.private_seg_size, 0
	.set _ZN7rocprim17ROCPRIM_400000_NS6detail17trampoline_kernelINS0_14default_configENS1_25partition_config_selectorILNS1_17partition_subalgoE6EyNS0_10empty_typeEbEEZZNS1_14partition_implILS5_6ELb0ES3_mN6thrust23THRUST_200600_302600_NS6detail15normal_iteratorINSA_10device_ptrIyEEEEPS6_SG_NS0_5tupleIJSF_S6_EEENSH_IJSG_SG_EEES6_PlJNSB_9not_fun_tI7is_trueIyEEEEEE10hipError_tPvRmT3_T4_T5_T6_T7_T9_mT8_P12ihipStream_tbDpT10_ENKUlT_T0_E_clISt17integral_constantIbLb0EES17_IbLb1EEEEDaS13_S14_EUlS13_E_NS1_11comp_targetILNS1_3genE9ELNS1_11target_archE1100ELNS1_3gpuE3ELNS1_3repE0EEENS1_30default_config_static_selectorELNS0_4arch9wavefront6targetE0EEEvT1_.uses_vcc, 0
	.set _ZN7rocprim17ROCPRIM_400000_NS6detail17trampoline_kernelINS0_14default_configENS1_25partition_config_selectorILNS1_17partition_subalgoE6EyNS0_10empty_typeEbEEZZNS1_14partition_implILS5_6ELb0ES3_mN6thrust23THRUST_200600_302600_NS6detail15normal_iteratorINSA_10device_ptrIyEEEEPS6_SG_NS0_5tupleIJSF_S6_EEENSH_IJSG_SG_EEES6_PlJNSB_9not_fun_tI7is_trueIyEEEEEE10hipError_tPvRmT3_T4_T5_T6_T7_T9_mT8_P12ihipStream_tbDpT10_ENKUlT_T0_E_clISt17integral_constantIbLb0EES17_IbLb1EEEEDaS13_S14_EUlS13_E_NS1_11comp_targetILNS1_3genE9ELNS1_11target_archE1100ELNS1_3gpuE3ELNS1_3repE0EEENS1_30default_config_static_selectorELNS0_4arch9wavefront6targetE0EEEvT1_.uses_flat_scratch, 0
	.set _ZN7rocprim17ROCPRIM_400000_NS6detail17trampoline_kernelINS0_14default_configENS1_25partition_config_selectorILNS1_17partition_subalgoE6EyNS0_10empty_typeEbEEZZNS1_14partition_implILS5_6ELb0ES3_mN6thrust23THRUST_200600_302600_NS6detail15normal_iteratorINSA_10device_ptrIyEEEEPS6_SG_NS0_5tupleIJSF_S6_EEENSH_IJSG_SG_EEES6_PlJNSB_9not_fun_tI7is_trueIyEEEEEE10hipError_tPvRmT3_T4_T5_T6_T7_T9_mT8_P12ihipStream_tbDpT10_ENKUlT_T0_E_clISt17integral_constantIbLb0EES17_IbLb1EEEEDaS13_S14_EUlS13_E_NS1_11comp_targetILNS1_3genE9ELNS1_11target_archE1100ELNS1_3gpuE3ELNS1_3repE0EEENS1_30default_config_static_selectorELNS0_4arch9wavefront6targetE0EEEvT1_.has_dyn_sized_stack, 0
	.set _ZN7rocprim17ROCPRIM_400000_NS6detail17trampoline_kernelINS0_14default_configENS1_25partition_config_selectorILNS1_17partition_subalgoE6EyNS0_10empty_typeEbEEZZNS1_14partition_implILS5_6ELb0ES3_mN6thrust23THRUST_200600_302600_NS6detail15normal_iteratorINSA_10device_ptrIyEEEEPS6_SG_NS0_5tupleIJSF_S6_EEENSH_IJSG_SG_EEES6_PlJNSB_9not_fun_tI7is_trueIyEEEEEE10hipError_tPvRmT3_T4_T5_T6_T7_T9_mT8_P12ihipStream_tbDpT10_ENKUlT_T0_E_clISt17integral_constantIbLb0EES17_IbLb1EEEEDaS13_S14_EUlS13_E_NS1_11comp_targetILNS1_3genE9ELNS1_11target_archE1100ELNS1_3gpuE3ELNS1_3repE0EEENS1_30default_config_static_selectorELNS0_4arch9wavefront6targetE0EEEvT1_.has_recursion, 0
	.set _ZN7rocprim17ROCPRIM_400000_NS6detail17trampoline_kernelINS0_14default_configENS1_25partition_config_selectorILNS1_17partition_subalgoE6EyNS0_10empty_typeEbEEZZNS1_14partition_implILS5_6ELb0ES3_mN6thrust23THRUST_200600_302600_NS6detail15normal_iteratorINSA_10device_ptrIyEEEEPS6_SG_NS0_5tupleIJSF_S6_EEENSH_IJSG_SG_EEES6_PlJNSB_9not_fun_tI7is_trueIyEEEEEE10hipError_tPvRmT3_T4_T5_T6_T7_T9_mT8_P12ihipStream_tbDpT10_ENKUlT_T0_E_clISt17integral_constantIbLb0EES17_IbLb1EEEEDaS13_S14_EUlS13_E_NS1_11comp_targetILNS1_3genE9ELNS1_11target_archE1100ELNS1_3gpuE3ELNS1_3repE0EEENS1_30default_config_static_selectorELNS0_4arch9wavefront6targetE0EEEvT1_.has_indirect_call, 0
	.section	.AMDGPU.csdata,"",@progbits
; Kernel info:
; codeLenInByte = 0
; TotalNumSgprs: 0
; NumVgprs: 0
; ScratchSize: 0
; MemoryBound: 0
; FloatMode: 240
; IeeeMode: 1
; LDSByteSize: 0 bytes/workgroup (compile time only)
; SGPRBlocks: 0
; VGPRBlocks: 0
; NumSGPRsForWavesPerEU: 1
; NumVGPRsForWavesPerEU: 1
; Occupancy: 16
; WaveLimiterHint : 0
; COMPUTE_PGM_RSRC2:SCRATCH_EN: 0
; COMPUTE_PGM_RSRC2:USER_SGPR: 2
; COMPUTE_PGM_RSRC2:TRAP_HANDLER: 0
; COMPUTE_PGM_RSRC2:TGID_X_EN: 1
; COMPUTE_PGM_RSRC2:TGID_Y_EN: 0
; COMPUTE_PGM_RSRC2:TGID_Z_EN: 0
; COMPUTE_PGM_RSRC2:TIDIG_COMP_CNT: 0
	.section	.text._ZN7rocprim17ROCPRIM_400000_NS6detail17trampoline_kernelINS0_14default_configENS1_25partition_config_selectorILNS1_17partition_subalgoE6EyNS0_10empty_typeEbEEZZNS1_14partition_implILS5_6ELb0ES3_mN6thrust23THRUST_200600_302600_NS6detail15normal_iteratorINSA_10device_ptrIyEEEEPS6_SG_NS0_5tupleIJSF_S6_EEENSH_IJSG_SG_EEES6_PlJNSB_9not_fun_tI7is_trueIyEEEEEE10hipError_tPvRmT3_T4_T5_T6_T7_T9_mT8_P12ihipStream_tbDpT10_ENKUlT_T0_E_clISt17integral_constantIbLb0EES17_IbLb1EEEEDaS13_S14_EUlS13_E_NS1_11comp_targetILNS1_3genE8ELNS1_11target_archE1030ELNS1_3gpuE2ELNS1_3repE0EEENS1_30default_config_static_selectorELNS0_4arch9wavefront6targetE0EEEvT1_,"axG",@progbits,_ZN7rocprim17ROCPRIM_400000_NS6detail17trampoline_kernelINS0_14default_configENS1_25partition_config_selectorILNS1_17partition_subalgoE6EyNS0_10empty_typeEbEEZZNS1_14partition_implILS5_6ELb0ES3_mN6thrust23THRUST_200600_302600_NS6detail15normal_iteratorINSA_10device_ptrIyEEEEPS6_SG_NS0_5tupleIJSF_S6_EEENSH_IJSG_SG_EEES6_PlJNSB_9not_fun_tI7is_trueIyEEEEEE10hipError_tPvRmT3_T4_T5_T6_T7_T9_mT8_P12ihipStream_tbDpT10_ENKUlT_T0_E_clISt17integral_constantIbLb0EES17_IbLb1EEEEDaS13_S14_EUlS13_E_NS1_11comp_targetILNS1_3genE8ELNS1_11target_archE1030ELNS1_3gpuE2ELNS1_3repE0EEENS1_30default_config_static_selectorELNS0_4arch9wavefront6targetE0EEEvT1_,comdat
	.protected	_ZN7rocprim17ROCPRIM_400000_NS6detail17trampoline_kernelINS0_14default_configENS1_25partition_config_selectorILNS1_17partition_subalgoE6EyNS0_10empty_typeEbEEZZNS1_14partition_implILS5_6ELb0ES3_mN6thrust23THRUST_200600_302600_NS6detail15normal_iteratorINSA_10device_ptrIyEEEEPS6_SG_NS0_5tupleIJSF_S6_EEENSH_IJSG_SG_EEES6_PlJNSB_9not_fun_tI7is_trueIyEEEEEE10hipError_tPvRmT3_T4_T5_T6_T7_T9_mT8_P12ihipStream_tbDpT10_ENKUlT_T0_E_clISt17integral_constantIbLb0EES17_IbLb1EEEEDaS13_S14_EUlS13_E_NS1_11comp_targetILNS1_3genE8ELNS1_11target_archE1030ELNS1_3gpuE2ELNS1_3repE0EEENS1_30default_config_static_selectorELNS0_4arch9wavefront6targetE0EEEvT1_ ; -- Begin function _ZN7rocprim17ROCPRIM_400000_NS6detail17trampoline_kernelINS0_14default_configENS1_25partition_config_selectorILNS1_17partition_subalgoE6EyNS0_10empty_typeEbEEZZNS1_14partition_implILS5_6ELb0ES3_mN6thrust23THRUST_200600_302600_NS6detail15normal_iteratorINSA_10device_ptrIyEEEEPS6_SG_NS0_5tupleIJSF_S6_EEENSH_IJSG_SG_EEES6_PlJNSB_9not_fun_tI7is_trueIyEEEEEE10hipError_tPvRmT3_T4_T5_T6_T7_T9_mT8_P12ihipStream_tbDpT10_ENKUlT_T0_E_clISt17integral_constantIbLb0EES17_IbLb1EEEEDaS13_S14_EUlS13_E_NS1_11comp_targetILNS1_3genE8ELNS1_11target_archE1030ELNS1_3gpuE2ELNS1_3repE0EEENS1_30default_config_static_selectorELNS0_4arch9wavefront6targetE0EEEvT1_
	.globl	_ZN7rocprim17ROCPRIM_400000_NS6detail17trampoline_kernelINS0_14default_configENS1_25partition_config_selectorILNS1_17partition_subalgoE6EyNS0_10empty_typeEbEEZZNS1_14partition_implILS5_6ELb0ES3_mN6thrust23THRUST_200600_302600_NS6detail15normal_iteratorINSA_10device_ptrIyEEEEPS6_SG_NS0_5tupleIJSF_S6_EEENSH_IJSG_SG_EEES6_PlJNSB_9not_fun_tI7is_trueIyEEEEEE10hipError_tPvRmT3_T4_T5_T6_T7_T9_mT8_P12ihipStream_tbDpT10_ENKUlT_T0_E_clISt17integral_constantIbLb0EES17_IbLb1EEEEDaS13_S14_EUlS13_E_NS1_11comp_targetILNS1_3genE8ELNS1_11target_archE1030ELNS1_3gpuE2ELNS1_3repE0EEENS1_30default_config_static_selectorELNS0_4arch9wavefront6targetE0EEEvT1_
	.p2align	8
	.type	_ZN7rocprim17ROCPRIM_400000_NS6detail17trampoline_kernelINS0_14default_configENS1_25partition_config_selectorILNS1_17partition_subalgoE6EyNS0_10empty_typeEbEEZZNS1_14partition_implILS5_6ELb0ES3_mN6thrust23THRUST_200600_302600_NS6detail15normal_iteratorINSA_10device_ptrIyEEEEPS6_SG_NS0_5tupleIJSF_S6_EEENSH_IJSG_SG_EEES6_PlJNSB_9not_fun_tI7is_trueIyEEEEEE10hipError_tPvRmT3_T4_T5_T6_T7_T9_mT8_P12ihipStream_tbDpT10_ENKUlT_T0_E_clISt17integral_constantIbLb0EES17_IbLb1EEEEDaS13_S14_EUlS13_E_NS1_11comp_targetILNS1_3genE8ELNS1_11target_archE1030ELNS1_3gpuE2ELNS1_3repE0EEENS1_30default_config_static_selectorELNS0_4arch9wavefront6targetE0EEEvT1_,@function
_ZN7rocprim17ROCPRIM_400000_NS6detail17trampoline_kernelINS0_14default_configENS1_25partition_config_selectorILNS1_17partition_subalgoE6EyNS0_10empty_typeEbEEZZNS1_14partition_implILS5_6ELb0ES3_mN6thrust23THRUST_200600_302600_NS6detail15normal_iteratorINSA_10device_ptrIyEEEEPS6_SG_NS0_5tupleIJSF_S6_EEENSH_IJSG_SG_EEES6_PlJNSB_9not_fun_tI7is_trueIyEEEEEE10hipError_tPvRmT3_T4_T5_T6_T7_T9_mT8_P12ihipStream_tbDpT10_ENKUlT_T0_E_clISt17integral_constantIbLb0EES17_IbLb1EEEEDaS13_S14_EUlS13_E_NS1_11comp_targetILNS1_3genE8ELNS1_11target_archE1030ELNS1_3gpuE2ELNS1_3repE0EEENS1_30default_config_static_selectorELNS0_4arch9wavefront6targetE0EEEvT1_: ; @_ZN7rocprim17ROCPRIM_400000_NS6detail17trampoline_kernelINS0_14default_configENS1_25partition_config_selectorILNS1_17partition_subalgoE6EyNS0_10empty_typeEbEEZZNS1_14partition_implILS5_6ELb0ES3_mN6thrust23THRUST_200600_302600_NS6detail15normal_iteratorINSA_10device_ptrIyEEEEPS6_SG_NS0_5tupleIJSF_S6_EEENSH_IJSG_SG_EEES6_PlJNSB_9not_fun_tI7is_trueIyEEEEEE10hipError_tPvRmT3_T4_T5_T6_T7_T9_mT8_P12ihipStream_tbDpT10_ENKUlT_T0_E_clISt17integral_constantIbLb0EES17_IbLb1EEEEDaS13_S14_EUlS13_E_NS1_11comp_targetILNS1_3genE8ELNS1_11target_archE1030ELNS1_3gpuE2ELNS1_3repE0EEENS1_30default_config_static_selectorELNS0_4arch9wavefront6targetE0EEEvT1_
; %bb.0:
	.section	.rodata,"a",@progbits
	.p2align	6, 0x0
	.amdhsa_kernel _ZN7rocprim17ROCPRIM_400000_NS6detail17trampoline_kernelINS0_14default_configENS1_25partition_config_selectorILNS1_17partition_subalgoE6EyNS0_10empty_typeEbEEZZNS1_14partition_implILS5_6ELb0ES3_mN6thrust23THRUST_200600_302600_NS6detail15normal_iteratorINSA_10device_ptrIyEEEEPS6_SG_NS0_5tupleIJSF_S6_EEENSH_IJSG_SG_EEES6_PlJNSB_9not_fun_tI7is_trueIyEEEEEE10hipError_tPvRmT3_T4_T5_T6_T7_T9_mT8_P12ihipStream_tbDpT10_ENKUlT_T0_E_clISt17integral_constantIbLb0EES17_IbLb1EEEEDaS13_S14_EUlS13_E_NS1_11comp_targetILNS1_3genE8ELNS1_11target_archE1030ELNS1_3gpuE2ELNS1_3repE0EEENS1_30default_config_static_selectorELNS0_4arch9wavefront6targetE0EEEvT1_
		.amdhsa_group_segment_fixed_size 0
		.amdhsa_private_segment_fixed_size 0
		.amdhsa_kernarg_size 128
		.amdhsa_user_sgpr_count 2
		.amdhsa_user_sgpr_dispatch_ptr 0
		.amdhsa_user_sgpr_queue_ptr 0
		.amdhsa_user_sgpr_kernarg_segment_ptr 1
		.amdhsa_user_sgpr_dispatch_id 0
		.amdhsa_user_sgpr_private_segment_size 0
		.amdhsa_wavefront_size32 1
		.amdhsa_uses_dynamic_stack 0
		.amdhsa_enable_private_segment 0
		.amdhsa_system_sgpr_workgroup_id_x 1
		.amdhsa_system_sgpr_workgroup_id_y 0
		.amdhsa_system_sgpr_workgroup_id_z 0
		.amdhsa_system_sgpr_workgroup_info 0
		.amdhsa_system_vgpr_workitem_id 0
		.amdhsa_next_free_vgpr 1
		.amdhsa_next_free_sgpr 1
		.amdhsa_reserve_vcc 0
		.amdhsa_float_round_mode_32 0
		.amdhsa_float_round_mode_16_64 0
		.amdhsa_float_denorm_mode_32 3
		.amdhsa_float_denorm_mode_16_64 3
		.amdhsa_fp16_overflow 0
		.amdhsa_workgroup_processor_mode 1
		.amdhsa_memory_ordered 1
		.amdhsa_forward_progress 1
		.amdhsa_inst_pref_size 0
		.amdhsa_round_robin_scheduling 0
		.amdhsa_exception_fp_ieee_invalid_op 0
		.amdhsa_exception_fp_denorm_src 0
		.amdhsa_exception_fp_ieee_div_zero 0
		.amdhsa_exception_fp_ieee_overflow 0
		.amdhsa_exception_fp_ieee_underflow 0
		.amdhsa_exception_fp_ieee_inexact 0
		.amdhsa_exception_int_div_zero 0
	.end_amdhsa_kernel
	.section	.text._ZN7rocprim17ROCPRIM_400000_NS6detail17trampoline_kernelINS0_14default_configENS1_25partition_config_selectorILNS1_17partition_subalgoE6EyNS0_10empty_typeEbEEZZNS1_14partition_implILS5_6ELb0ES3_mN6thrust23THRUST_200600_302600_NS6detail15normal_iteratorINSA_10device_ptrIyEEEEPS6_SG_NS0_5tupleIJSF_S6_EEENSH_IJSG_SG_EEES6_PlJNSB_9not_fun_tI7is_trueIyEEEEEE10hipError_tPvRmT3_T4_T5_T6_T7_T9_mT8_P12ihipStream_tbDpT10_ENKUlT_T0_E_clISt17integral_constantIbLb0EES17_IbLb1EEEEDaS13_S14_EUlS13_E_NS1_11comp_targetILNS1_3genE8ELNS1_11target_archE1030ELNS1_3gpuE2ELNS1_3repE0EEENS1_30default_config_static_selectorELNS0_4arch9wavefront6targetE0EEEvT1_,"axG",@progbits,_ZN7rocprim17ROCPRIM_400000_NS6detail17trampoline_kernelINS0_14default_configENS1_25partition_config_selectorILNS1_17partition_subalgoE6EyNS0_10empty_typeEbEEZZNS1_14partition_implILS5_6ELb0ES3_mN6thrust23THRUST_200600_302600_NS6detail15normal_iteratorINSA_10device_ptrIyEEEEPS6_SG_NS0_5tupleIJSF_S6_EEENSH_IJSG_SG_EEES6_PlJNSB_9not_fun_tI7is_trueIyEEEEEE10hipError_tPvRmT3_T4_T5_T6_T7_T9_mT8_P12ihipStream_tbDpT10_ENKUlT_T0_E_clISt17integral_constantIbLb0EES17_IbLb1EEEEDaS13_S14_EUlS13_E_NS1_11comp_targetILNS1_3genE8ELNS1_11target_archE1030ELNS1_3gpuE2ELNS1_3repE0EEENS1_30default_config_static_selectorELNS0_4arch9wavefront6targetE0EEEvT1_,comdat
.Lfunc_end1140:
	.size	_ZN7rocprim17ROCPRIM_400000_NS6detail17trampoline_kernelINS0_14default_configENS1_25partition_config_selectorILNS1_17partition_subalgoE6EyNS0_10empty_typeEbEEZZNS1_14partition_implILS5_6ELb0ES3_mN6thrust23THRUST_200600_302600_NS6detail15normal_iteratorINSA_10device_ptrIyEEEEPS6_SG_NS0_5tupleIJSF_S6_EEENSH_IJSG_SG_EEES6_PlJNSB_9not_fun_tI7is_trueIyEEEEEE10hipError_tPvRmT3_T4_T5_T6_T7_T9_mT8_P12ihipStream_tbDpT10_ENKUlT_T0_E_clISt17integral_constantIbLb0EES17_IbLb1EEEEDaS13_S14_EUlS13_E_NS1_11comp_targetILNS1_3genE8ELNS1_11target_archE1030ELNS1_3gpuE2ELNS1_3repE0EEENS1_30default_config_static_selectorELNS0_4arch9wavefront6targetE0EEEvT1_, .Lfunc_end1140-_ZN7rocprim17ROCPRIM_400000_NS6detail17trampoline_kernelINS0_14default_configENS1_25partition_config_selectorILNS1_17partition_subalgoE6EyNS0_10empty_typeEbEEZZNS1_14partition_implILS5_6ELb0ES3_mN6thrust23THRUST_200600_302600_NS6detail15normal_iteratorINSA_10device_ptrIyEEEEPS6_SG_NS0_5tupleIJSF_S6_EEENSH_IJSG_SG_EEES6_PlJNSB_9not_fun_tI7is_trueIyEEEEEE10hipError_tPvRmT3_T4_T5_T6_T7_T9_mT8_P12ihipStream_tbDpT10_ENKUlT_T0_E_clISt17integral_constantIbLb0EES17_IbLb1EEEEDaS13_S14_EUlS13_E_NS1_11comp_targetILNS1_3genE8ELNS1_11target_archE1030ELNS1_3gpuE2ELNS1_3repE0EEENS1_30default_config_static_selectorELNS0_4arch9wavefront6targetE0EEEvT1_
                                        ; -- End function
	.set _ZN7rocprim17ROCPRIM_400000_NS6detail17trampoline_kernelINS0_14default_configENS1_25partition_config_selectorILNS1_17partition_subalgoE6EyNS0_10empty_typeEbEEZZNS1_14partition_implILS5_6ELb0ES3_mN6thrust23THRUST_200600_302600_NS6detail15normal_iteratorINSA_10device_ptrIyEEEEPS6_SG_NS0_5tupleIJSF_S6_EEENSH_IJSG_SG_EEES6_PlJNSB_9not_fun_tI7is_trueIyEEEEEE10hipError_tPvRmT3_T4_T5_T6_T7_T9_mT8_P12ihipStream_tbDpT10_ENKUlT_T0_E_clISt17integral_constantIbLb0EES17_IbLb1EEEEDaS13_S14_EUlS13_E_NS1_11comp_targetILNS1_3genE8ELNS1_11target_archE1030ELNS1_3gpuE2ELNS1_3repE0EEENS1_30default_config_static_selectorELNS0_4arch9wavefront6targetE0EEEvT1_.num_vgpr, 0
	.set _ZN7rocprim17ROCPRIM_400000_NS6detail17trampoline_kernelINS0_14default_configENS1_25partition_config_selectorILNS1_17partition_subalgoE6EyNS0_10empty_typeEbEEZZNS1_14partition_implILS5_6ELb0ES3_mN6thrust23THRUST_200600_302600_NS6detail15normal_iteratorINSA_10device_ptrIyEEEEPS6_SG_NS0_5tupleIJSF_S6_EEENSH_IJSG_SG_EEES6_PlJNSB_9not_fun_tI7is_trueIyEEEEEE10hipError_tPvRmT3_T4_T5_T6_T7_T9_mT8_P12ihipStream_tbDpT10_ENKUlT_T0_E_clISt17integral_constantIbLb0EES17_IbLb1EEEEDaS13_S14_EUlS13_E_NS1_11comp_targetILNS1_3genE8ELNS1_11target_archE1030ELNS1_3gpuE2ELNS1_3repE0EEENS1_30default_config_static_selectorELNS0_4arch9wavefront6targetE0EEEvT1_.num_agpr, 0
	.set _ZN7rocprim17ROCPRIM_400000_NS6detail17trampoline_kernelINS0_14default_configENS1_25partition_config_selectorILNS1_17partition_subalgoE6EyNS0_10empty_typeEbEEZZNS1_14partition_implILS5_6ELb0ES3_mN6thrust23THRUST_200600_302600_NS6detail15normal_iteratorINSA_10device_ptrIyEEEEPS6_SG_NS0_5tupleIJSF_S6_EEENSH_IJSG_SG_EEES6_PlJNSB_9not_fun_tI7is_trueIyEEEEEE10hipError_tPvRmT3_T4_T5_T6_T7_T9_mT8_P12ihipStream_tbDpT10_ENKUlT_T0_E_clISt17integral_constantIbLb0EES17_IbLb1EEEEDaS13_S14_EUlS13_E_NS1_11comp_targetILNS1_3genE8ELNS1_11target_archE1030ELNS1_3gpuE2ELNS1_3repE0EEENS1_30default_config_static_selectorELNS0_4arch9wavefront6targetE0EEEvT1_.numbered_sgpr, 0
	.set _ZN7rocprim17ROCPRIM_400000_NS6detail17trampoline_kernelINS0_14default_configENS1_25partition_config_selectorILNS1_17partition_subalgoE6EyNS0_10empty_typeEbEEZZNS1_14partition_implILS5_6ELb0ES3_mN6thrust23THRUST_200600_302600_NS6detail15normal_iteratorINSA_10device_ptrIyEEEEPS6_SG_NS0_5tupleIJSF_S6_EEENSH_IJSG_SG_EEES6_PlJNSB_9not_fun_tI7is_trueIyEEEEEE10hipError_tPvRmT3_T4_T5_T6_T7_T9_mT8_P12ihipStream_tbDpT10_ENKUlT_T0_E_clISt17integral_constantIbLb0EES17_IbLb1EEEEDaS13_S14_EUlS13_E_NS1_11comp_targetILNS1_3genE8ELNS1_11target_archE1030ELNS1_3gpuE2ELNS1_3repE0EEENS1_30default_config_static_selectorELNS0_4arch9wavefront6targetE0EEEvT1_.num_named_barrier, 0
	.set _ZN7rocprim17ROCPRIM_400000_NS6detail17trampoline_kernelINS0_14default_configENS1_25partition_config_selectorILNS1_17partition_subalgoE6EyNS0_10empty_typeEbEEZZNS1_14partition_implILS5_6ELb0ES3_mN6thrust23THRUST_200600_302600_NS6detail15normal_iteratorINSA_10device_ptrIyEEEEPS6_SG_NS0_5tupleIJSF_S6_EEENSH_IJSG_SG_EEES6_PlJNSB_9not_fun_tI7is_trueIyEEEEEE10hipError_tPvRmT3_T4_T5_T6_T7_T9_mT8_P12ihipStream_tbDpT10_ENKUlT_T0_E_clISt17integral_constantIbLb0EES17_IbLb1EEEEDaS13_S14_EUlS13_E_NS1_11comp_targetILNS1_3genE8ELNS1_11target_archE1030ELNS1_3gpuE2ELNS1_3repE0EEENS1_30default_config_static_selectorELNS0_4arch9wavefront6targetE0EEEvT1_.private_seg_size, 0
	.set _ZN7rocprim17ROCPRIM_400000_NS6detail17trampoline_kernelINS0_14default_configENS1_25partition_config_selectorILNS1_17partition_subalgoE6EyNS0_10empty_typeEbEEZZNS1_14partition_implILS5_6ELb0ES3_mN6thrust23THRUST_200600_302600_NS6detail15normal_iteratorINSA_10device_ptrIyEEEEPS6_SG_NS0_5tupleIJSF_S6_EEENSH_IJSG_SG_EEES6_PlJNSB_9not_fun_tI7is_trueIyEEEEEE10hipError_tPvRmT3_T4_T5_T6_T7_T9_mT8_P12ihipStream_tbDpT10_ENKUlT_T0_E_clISt17integral_constantIbLb0EES17_IbLb1EEEEDaS13_S14_EUlS13_E_NS1_11comp_targetILNS1_3genE8ELNS1_11target_archE1030ELNS1_3gpuE2ELNS1_3repE0EEENS1_30default_config_static_selectorELNS0_4arch9wavefront6targetE0EEEvT1_.uses_vcc, 0
	.set _ZN7rocprim17ROCPRIM_400000_NS6detail17trampoline_kernelINS0_14default_configENS1_25partition_config_selectorILNS1_17partition_subalgoE6EyNS0_10empty_typeEbEEZZNS1_14partition_implILS5_6ELb0ES3_mN6thrust23THRUST_200600_302600_NS6detail15normal_iteratorINSA_10device_ptrIyEEEEPS6_SG_NS0_5tupleIJSF_S6_EEENSH_IJSG_SG_EEES6_PlJNSB_9not_fun_tI7is_trueIyEEEEEE10hipError_tPvRmT3_T4_T5_T6_T7_T9_mT8_P12ihipStream_tbDpT10_ENKUlT_T0_E_clISt17integral_constantIbLb0EES17_IbLb1EEEEDaS13_S14_EUlS13_E_NS1_11comp_targetILNS1_3genE8ELNS1_11target_archE1030ELNS1_3gpuE2ELNS1_3repE0EEENS1_30default_config_static_selectorELNS0_4arch9wavefront6targetE0EEEvT1_.uses_flat_scratch, 0
	.set _ZN7rocprim17ROCPRIM_400000_NS6detail17trampoline_kernelINS0_14default_configENS1_25partition_config_selectorILNS1_17partition_subalgoE6EyNS0_10empty_typeEbEEZZNS1_14partition_implILS5_6ELb0ES3_mN6thrust23THRUST_200600_302600_NS6detail15normal_iteratorINSA_10device_ptrIyEEEEPS6_SG_NS0_5tupleIJSF_S6_EEENSH_IJSG_SG_EEES6_PlJNSB_9not_fun_tI7is_trueIyEEEEEE10hipError_tPvRmT3_T4_T5_T6_T7_T9_mT8_P12ihipStream_tbDpT10_ENKUlT_T0_E_clISt17integral_constantIbLb0EES17_IbLb1EEEEDaS13_S14_EUlS13_E_NS1_11comp_targetILNS1_3genE8ELNS1_11target_archE1030ELNS1_3gpuE2ELNS1_3repE0EEENS1_30default_config_static_selectorELNS0_4arch9wavefront6targetE0EEEvT1_.has_dyn_sized_stack, 0
	.set _ZN7rocprim17ROCPRIM_400000_NS6detail17trampoline_kernelINS0_14default_configENS1_25partition_config_selectorILNS1_17partition_subalgoE6EyNS0_10empty_typeEbEEZZNS1_14partition_implILS5_6ELb0ES3_mN6thrust23THRUST_200600_302600_NS6detail15normal_iteratorINSA_10device_ptrIyEEEEPS6_SG_NS0_5tupleIJSF_S6_EEENSH_IJSG_SG_EEES6_PlJNSB_9not_fun_tI7is_trueIyEEEEEE10hipError_tPvRmT3_T4_T5_T6_T7_T9_mT8_P12ihipStream_tbDpT10_ENKUlT_T0_E_clISt17integral_constantIbLb0EES17_IbLb1EEEEDaS13_S14_EUlS13_E_NS1_11comp_targetILNS1_3genE8ELNS1_11target_archE1030ELNS1_3gpuE2ELNS1_3repE0EEENS1_30default_config_static_selectorELNS0_4arch9wavefront6targetE0EEEvT1_.has_recursion, 0
	.set _ZN7rocprim17ROCPRIM_400000_NS6detail17trampoline_kernelINS0_14default_configENS1_25partition_config_selectorILNS1_17partition_subalgoE6EyNS0_10empty_typeEbEEZZNS1_14partition_implILS5_6ELb0ES3_mN6thrust23THRUST_200600_302600_NS6detail15normal_iteratorINSA_10device_ptrIyEEEEPS6_SG_NS0_5tupleIJSF_S6_EEENSH_IJSG_SG_EEES6_PlJNSB_9not_fun_tI7is_trueIyEEEEEE10hipError_tPvRmT3_T4_T5_T6_T7_T9_mT8_P12ihipStream_tbDpT10_ENKUlT_T0_E_clISt17integral_constantIbLb0EES17_IbLb1EEEEDaS13_S14_EUlS13_E_NS1_11comp_targetILNS1_3genE8ELNS1_11target_archE1030ELNS1_3gpuE2ELNS1_3repE0EEENS1_30default_config_static_selectorELNS0_4arch9wavefront6targetE0EEEvT1_.has_indirect_call, 0
	.section	.AMDGPU.csdata,"",@progbits
; Kernel info:
; codeLenInByte = 0
; TotalNumSgprs: 0
; NumVgprs: 0
; ScratchSize: 0
; MemoryBound: 0
; FloatMode: 240
; IeeeMode: 1
; LDSByteSize: 0 bytes/workgroup (compile time only)
; SGPRBlocks: 0
; VGPRBlocks: 0
; NumSGPRsForWavesPerEU: 1
; NumVGPRsForWavesPerEU: 1
; Occupancy: 16
; WaveLimiterHint : 0
; COMPUTE_PGM_RSRC2:SCRATCH_EN: 0
; COMPUTE_PGM_RSRC2:USER_SGPR: 2
; COMPUTE_PGM_RSRC2:TRAP_HANDLER: 0
; COMPUTE_PGM_RSRC2:TGID_X_EN: 1
; COMPUTE_PGM_RSRC2:TGID_Y_EN: 0
; COMPUTE_PGM_RSRC2:TGID_Z_EN: 0
; COMPUTE_PGM_RSRC2:TIDIG_COMP_CNT: 0
	.section	.text._ZN7rocprim17ROCPRIM_400000_NS6detail17trampoline_kernelINS0_14default_configENS1_25partition_config_selectorILNS1_17partition_subalgoE6EjNS0_10empty_typeEbEEZZNS1_14partition_implILS5_6ELb0ES3_mN6thrust23THRUST_200600_302600_NS6detail15normal_iteratorINSA_10device_ptrIjEEEEPS6_SG_NS0_5tupleIJSF_S6_EEENSH_IJSG_SG_EEES6_PlJNSB_9not_fun_tI7is_trueIjEEEEEE10hipError_tPvRmT3_T4_T5_T6_T7_T9_mT8_P12ihipStream_tbDpT10_ENKUlT_T0_E_clISt17integral_constantIbLb0EES18_EEDaS13_S14_EUlS13_E_NS1_11comp_targetILNS1_3genE0ELNS1_11target_archE4294967295ELNS1_3gpuE0ELNS1_3repE0EEENS1_30default_config_static_selectorELNS0_4arch9wavefront6targetE0EEEvT1_,"axG",@progbits,_ZN7rocprim17ROCPRIM_400000_NS6detail17trampoline_kernelINS0_14default_configENS1_25partition_config_selectorILNS1_17partition_subalgoE6EjNS0_10empty_typeEbEEZZNS1_14partition_implILS5_6ELb0ES3_mN6thrust23THRUST_200600_302600_NS6detail15normal_iteratorINSA_10device_ptrIjEEEEPS6_SG_NS0_5tupleIJSF_S6_EEENSH_IJSG_SG_EEES6_PlJNSB_9not_fun_tI7is_trueIjEEEEEE10hipError_tPvRmT3_T4_T5_T6_T7_T9_mT8_P12ihipStream_tbDpT10_ENKUlT_T0_E_clISt17integral_constantIbLb0EES18_EEDaS13_S14_EUlS13_E_NS1_11comp_targetILNS1_3genE0ELNS1_11target_archE4294967295ELNS1_3gpuE0ELNS1_3repE0EEENS1_30default_config_static_selectorELNS0_4arch9wavefront6targetE0EEEvT1_,comdat
	.protected	_ZN7rocprim17ROCPRIM_400000_NS6detail17trampoline_kernelINS0_14default_configENS1_25partition_config_selectorILNS1_17partition_subalgoE6EjNS0_10empty_typeEbEEZZNS1_14partition_implILS5_6ELb0ES3_mN6thrust23THRUST_200600_302600_NS6detail15normal_iteratorINSA_10device_ptrIjEEEEPS6_SG_NS0_5tupleIJSF_S6_EEENSH_IJSG_SG_EEES6_PlJNSB_9not_fun_tI7is_trueIjEEEEEE10hipError_tPvRmT3_T4_T5_T6_T7_T9_mT8_P12ihipStream_tbDpT10_ENKUlT_T0_E_clISt17integral_constantIbLb0EES18_EEDaS13_S14_EUlS13_E_NS1_11comp_targetILNS1_3genE0ELNS1_11target_archE4294967295ELNS1_3gpuE0ELNS1_3repE0EEENS1_30default_config_static_selectorELNS0_4arch9wavefront6targetE0EEEvT1_ ; -- Begin function _ZN7rocprim17ROCPRIM_400000_NS6detail17trampoline_kernelINS0_14default_configENS1_25partition_config_selectorILNS1_17partition_subalgoE6EjNS0_10empty_typeEbEEZZNS1_14partition_implILS5_6ELb0ES3_mN6thrust23THRUST_200600_302600_NS6detail15normal_iteratorINSA_10device_ptrIjEEEEPS6_SG_NS0_5tupleIJSF_S6_EEENSH_IJSG_SG_EEES6_PlJNSB_9not_fun_tI7is_trueIjEEEEEE10hipError_tPvRmT3_T4_T5_T6_T7_T9_mT8_P12ihipStream_tbDpT10_ENKUlT_T0_E_clISt17integral_constantIbLb0EES18_EEDaS13_S14_EUlS13_E_NS1_11comp_targetILNS1_3genE0ELNS1_11target_archE4294967295ELNS1_3gpuE0ELNS1_3repE0EEENS1_30default_config_static_selectorELNS0_4arch9wavefront6targetE0EEEvT1_
	.globl	_ZN7rocprim17ROCPRIM_400000_NS6detail17trampoline_kernelINS0_14default_configENS1_25partition_config_selectorILNS1_17partition_subalgoE6EjNS0_10empty_typeEbEEZZNS1_14partition_implILS5_6ELb0ES3_mN6thrust23THRUST_200600_302600_NS6detail15normal_iteratorINSA_10device_ptrIjEEEEPS6_SG_NS0_5tupleIJSF_S6_EEENSH_IJSG_SG_EEES6_PlJNSB_9not_fun_tI7is_trueIjEEEEEE10hipError_tPvRmT3_T4_T5_T6_T7_T9_mT8_P12ihipStream_tbDpT10_ENKUlT_T0_E_clISt17integral_constantIbLb0EES18_EEDaS13_S14_EUlS13_E_NS1_11comp_targetILNS1_3genE0ELNS1_11target_archE4294967295ELNS1_3gpuE0ELNS1_3repE0EEENS1_30default_config_static_selectorELNS0_4arch9wavefront6targetE0EEEvT1_
	.p2align	8
	.type	_ZN7rocprim17ROCPRIM_400000_NS6detail17trampoline_kernelINS0_14default_configENS1_25partition_config_selectorILNS1_17partition_subalgoE6EjNS0_10empty_typeEbEEZZNS1_14partition_implILS5_6ELb0ES3_mN6thrust23THRUST_200600_302600_NS6detail15normal_iteratorINSA_10device_ptrIjEEEEPS6_SG_NS0_5tupleIJSF_S6_EEENSH_IJSG_SG_EEES6_PlJNSB_9not_fun_tI7is_trueIjEEEEEE10hipError_tPvRmT3_T4_T5_T6_T7_T9_mT8_P12ihipStream_tbDpT10_ENKUlT_T0_E_clISt17integral_constantIbLb0EES18_EEDaS13_S14_EUlS13_E_NS1_11comp_targetILNS1_3genE0ELNS1_11target_archE4294967295ELNS1_3gpuE0ELNS1_3repE0EEENS1_30default_config_static_selectorELNS0_4arch9wavefront6targetE0EEEvT1_,@function
_ZN7rocprim17ROCPRIM_400000_NS6detail17trampoline_kernelINS0_14default_configENS1_25partition_config_selectorILNS1_17partition_subalgoE6EjNS0_10empty_typeEbEEZZNS1_14partition_implILS5_6ELb0ES3_mN6thrust23THRUST_200600_302600_NS6detail15normal_iteratorINSA_10device_ptrIjEEEEPS6_SG_NS0_5tupleIJSF_S6_EEENSH_IJSG_SG_EEES6_PlJNSB_9not_fun_tI7is_trueIjEEEEEE10hipError_tPvRmT3_T4_T5_T6_T7_T9_mT8_P12ihipStream_tbDpT10_ENKUlT_T0_E_clISt17integral_constantIbLb0EES18_EEDaS13_S14_EUlS13_E_NS1_11comp_targetILNS1_3genE0ELNS1_11target_archE4294967295ELNS1_3gpuE0ELNS1_3repE0EEENS1_30default_config_static_selectorELNS0_4arch9wavefront6targetE0EEEvT1_: ; @_ZN7rocprim17ROCPRIM_400000_NS6detail17trampoline_kernelINS0_14default_configENS1_25partition_config_selectorILNS1_17partition_subalgoE6EjNS0_10empty_typeEbEEZZNS1_14partition_implILS5_6ELb0ES3_mN6thrust23THRUST_200600_302600_NS6detail15normal_iteratorINSA_10device_ptrIjEEEEPS6_SG_NS0_5tupleIJSF_S6_EEENSH_IJSG_SG_EEES6_PlJNSB_9not_fun_tI7is_trueIjEEEEEE10hipError_tPvRmT3_T4_T5_T6_T7_T9_mT8_P12ihipStream_tbDpT10_ENKUlT_T0_E_clISt17integral_constantIbLb0EES18_EEDaS13_S14_EUlS13_E_NS1_11comp_targetILNS1_3genE0ELNS1_11target_archE4294967295ELNS1_3gpuE0ELNS1_3repE0EEENS1_30default_config_static_selectorELNS0_4arch9wavefront6targetE0EEEvT1_
; %bb.0:
	.section	.rodata,"a",@progbits
	.p2align	6, 0x0
	.amdhsa_kernel _ZN7rocprim17ROCPRIM_400000_NS6detail17trampoline_kernelINS0_14default_configENS1_25partition_config_selectorILNS1_17partition_subalgoE6EjNS0_10empty_typeEbEEZZNS1_14partition_implILS5_6ELb0ES3_mN6thrust23THRUST_200600_302600_NS6detail15normal_iteratorINSA_10device_ptrIjEEEEPS6_SG_NS0_5tupleIJSF_S6_EEENSH_IJSG_SG_EEES6_PlJNSB_9not_fun_tI7is_trueIjEEEEEE10hipError_tPvRmT3_T4_T5_T6_T7_T9_mT8_P12ihipStream_tbDpT10_ENKUlT_T0_E_clISt17integral_constantIbLb0EES18_EEDaS13_S14_EUlS13_E_NS1_11comp_targetILNS1_3genE0ELNS1_11target_archE4294967295ELNS1_3gpuE0ELNS1_3repE0EEENS1_30default_config_static_selectorELNS0_4arch9wavefront6targetE0EEEvT1_
		.amdhsa_group_segment_fixed_size 0
		.amdhsa_private_segment_fixed_size 0
		.amdhsa_kernarg_size 112
		.amdhsa_user_sgpr_count 2
		.amdhsa_user_sgpr_dispatch_ptr 0
		.amdhsa_user_sgpr_queue_ptr 0
		.amdhsa_user_sgpr_kernarg_segment_ptr 1
		.amdhsa_user_sgpr_dispatch_id 0
		.amdhsa_user_sgpr_private_segment_size 0
		.amdhsa_wavefront_size32 1
		.amdhsa_uses_dynamic_stack 0
		.amdhsa_enable_private_segment 0
		.amdhsa_system_sgpr_workgroup_id_x 1
		.amdhsa_system_sgpr_workgroup_id_y 0
		.amdhsa_system_sgpr_workgroup_id_z 0
		.amdhsa_system_sgpr_workgroup_info 0
		.amdhsa_system_vgpr_workitem_id 0
		.amdhsa_next_free_vgpr 1
		.amdhsa_next_free_sgpr 1
		.amdhsa_reserve_vcc 0
		.amdhsa_float_round_mode_32 0
		.amdhsa_float_round_mode_16_64 0
		.amdhsa_float_denorm_mode_32 3
		.amdhsa_float_denorm_mode_16_64 3
		.amdhsa_fp16_overflow 0
		.amdhsa_workgroup_processor_mode 1
		.amdhsa_memory_ordered 1
		.amdhsa_forward_progress 1
		.amdhsa_inst_pref_size 0
		.amdhsa_round_robin_scheduling 0
		.amdhsa_exception_fp_ieee_invalid_op 0
		.amdhsa_exception_fp_denorm_src 0
		.amdhsa_exception_fp_ieee_div_zero 0
		.amdhsa_exception_fp_ieee_overflow 0
		.amdhsa_exception_fp_ieee_underflow 0
		.amdhsa_exception_fp_ieee_inexact 0
		.amdhsa_exception_int_div_zero 0
	.end_amdhsa_kernel
	.section	.text._ZN7rocprim17ROCPRIM_400000_NS6detail17trampoline_kernelINS0_14default_configENS1_25partition_config_selectorILNS1_17partition_subalgoE6EjNS0_10empty_typeEbEEZZNS1_14partition_implILS5_6ELb0ES3_mN6thrust23THRUST_200600_302600_NS6detail15normal_iteratorINSA_10device_ptrIjEEEEPS6_SG_NS0_5tupleIJSF_S6_EEENSH_IJSG_SG_EEES6_PlJNSB_9not_fun_tI7is_trueIjEEEEEE10hipError_tPvRmT3_T4_T5_T6_T7_T9_mT8_P12ihipStream_tbDpT10_ENKUlT_T0_E_clISt17integral_constantIbLb0EES18_EEDaS13_S14_EUlS13_E_NS1_11comp_targetILNS1_3genE0ELNS1_11target_archE4294967295ELNS1_3gpuE0ELNS1_3repE0EEENS1_30default_config_static_selectorELNS0_4arch9wavefront6targetE0EEEvT1_,"axG",@progbits,_ZN7rocprim17ROCPRIM_400000_NS6detail17trampoline_kernelINS0_14default_configENS1_25partition_config_selectorILNS1_17partition_subalgoE6EjNS0_10empty_typeEbEEZZNS1_14partition_implILS5_6ELb0ES3_mN6thrust23THRUST_200600_302600_NS6detail15normal_iteratorINSA_10device_ptrIjEEEEPS6_SG_NS0_5tupleIJSF_S6_EEENSH_IJSG_SG_EEES6_PlJNSB_9not_fun_tI7is_trueIjEEEEEE10hipError_tPvRmT3_T4_T5_T6_T7_T9_mT8_P12ihipStream_tbDpT10_ENKUlT_T0_E_clISt17integral_constantIbLb0EES18_EEDaS13_S14_EUlS13_E_NS1_11comp_targetILNS1_3genE0ELNS1_11target_archE4294967295ELNS1_3gpuE0ELNS1_3repE0EEENS1_30default_config_static_selectorELNS0_4arch9wavefront6targetE0EEEvT1_,comdat
.Lfunc_end1141:
	.size	_ZN7rocprim17ROCPRIM_400000_NS6detail17trampoline_kernelINS0_14default_configENS1_25partition_config_selectorILNS1_17partition_subalgoE6EjNS0_10empty_typeEbEEZZNS1_14partition_implILS5_6ELb0ES3_mN6thrust23THRUST_200600_302600_NS6detail15normal_iteratorINSA_10device_ptrIjEEEEPS6_SG_NS0_5tupleIJSF_S6_EEENSH_IJSG_SG_EEES6_PlJNSB_9not_fun_tI7is_trueIjEEEEEE10hipError_tPvRmT3_T4_T5_T6_T7_T9_mT8_P12ihipStream_tbDpT10_ENKUlT_T0_E_clISt17integral_constantIbLb0EES18_EEDaS13_S14_EUlS13_E_NS1_11comp_targetILNS1_3genE0ELNS1_11target_archE4294967295ELNS1_3gpuE0ELNS1_3repE0EEENS1_30default_config_static_selectorELNS0_4arch9wavefront6targetE0EEEvT1_, .Lfunc_end1141-_ZN7rocprim17ROCPRIM_400000_NS6detail17trampoline_kernelINS0_14default_configENS1_25partition_config_selectorILNS1_17partition_subalgoE6EjNS0_10empty_typeEbEEZZNS1_14partition_implILS5_6ELb0ES3_mN6thrust23THRUST_200600_302600_NS6detail15normal_iteratorINSA_10device_ptrIjEEEEPS6_SG_NS0_5tupleIJSF_S6_EEENSH_IJSG_SG_EEES6_PlJNSB_9not_fun_tI7is_trueIjEEEEEE10hipError_tPvRmT3_T4_T5_T6_T7_T9_mT8_P12ihipStream_tbDpT10_ENKUlT_T0_E_clISt17integral_constantIbLb0EES18_EEDaS13_S14_EUlS13_E_NS1_11comp_targetILNS1_3genE0ELNS1_11target_archE4294967295ELNS1_3gpuE0ELNS1_3repE0EEENS1_30default_config_static_selectorELNS0_4arch9wavefront6targetE0EEEvT1_
                                        ; -- End function
	.set _ZN7rocprim17ROCPRIM_400000_NS6detail17trampoline_kernelINS0_14default_configENS1_25partition_config_selectorILNS1_17partition_subalgoE6EjNS0_10empty_typeEbEEZZNS1_14partition_implILS5_6ELb0ES3_mN6thrust23THRUST_200600_302600_NS6detail15normal_iteratorINSA_10device_ptrIjEEEEPS6_SG_NS0_5tupleIJSF_S6_EEENSH_IJSG_SG_EEES6_PlJNSB_9not_fun_tI7is_trueIjEEEEEE10hipError_tPvRmT3_T4_T5_T6_T7_T9_mT8_P12ihipStream_tbDpT10_ENKUlT_T0_E_clISt17integral_constantIbLb0EES18_EEDaS13_S14_EUlS13_E_NS1_11comp_targetILNS1_3genE0ELNS1_11target_archE4294967295ELNS1_3gpuE0ELNS1_3repE0EEENS1_30default_config_static_selectorELNS0_4arch9wavefront6targetE0EEEvT1_.num_vgpr, 0
	.set _ZN7rocprim17ROCPRIM_400000_NS6detail17trampoline_kernelINS0_14default_configENS1_25partition_config_selectorILNS1_17partition_subalgoE6EjNS0_10empty_typeEbEEZZNS1_14partition_implILS5_6ELb0ES3_mN6thrust23THRUST_200600_302600_NS6detail15normal_iteratorINSA_10device_ptrIjEEEEPS6_SG_NS0_5tupleIJSF_S6_EEENSH_IJSG_SG_EEES6_PlJNSB_9not_fun_tI7is_trueIjEEEEEE10hipError_tPvRmT3_T4_T5_T6_T7_T9_mT8_P12ihipStream_tbDpT10_ENKUlT_T0_E_clISt17integral_constantIbLb0EES18_EEDaS13_S14_EUlS13_E_NS1_11comp_targetILNS1_3genE0ELNS1_11target_archE4294967295ELNS1_3gpuE0ELNS1_3repE0EEENS1_30default_config_static_selectorELNS0_4arch9wavefront6targetE0EEEvT1_.num_agpr, 0
	.set _ZN7rocprim17ROCPRIM_400000_NS6detail17trampoline_kernelINS0_14default_configENS1_25partition_config_selectorILNS1_17partition_subalgoE6EjNS0_10empty_typeEbEEZZNS1_14partition_implILS5_6ELb0ES3_mN6thrust23THRUST_200600_302600_NS6detail15normal_iteratorINSA_10device_ptrIjEEEEPS6_SG_NS0_5tupleIJSF_S6_EEENSH_IJSG_SG_EEES6_PlJNSB_9not_fun_tI7is_trueIjEEEEEE10hipError_tPvRmT3_T4_T5_T6_T7_T9_mT8_P12ihipStream_tbDpT10_ENKUlT_T0_E_clISt17integral_constantIbLb0EES18_EEDaS13_S14_EUlS13_E_NS1_11comp_targetILNS1_3genE0ELNS1_11target_archE4294967295ELNS1_3gpuE0ELNS1_3repE0EEENS1_30default_config_static_selectorELNS0_4arch9wavefront6targetE0EEEvT1_.numbered_sgpr, 0
	.set _ZN7rocprim17ROCPRIM_400000_NS6detail17trampoline_kernelINS0_14default_configENS1_25partition_config_selectorILNS1_17partition_subalgoE6EjNS0_10empty_typeEbEEZZNS1_14partition_implILS5_6ELb0ES3_mN6thrust23THRUST_200600_302600_NS6detail15normal_iteratorINSA_10device_ptrIjEEEEPS6_SG_NS0_5tupleIJSF_S6_EEENSH_IJSG_SG_EEES6_PlJNSB_9not_fun_tI7is_trueIjEEEEEE10hipError_tPvRmT3_T4_T5_T6_T7_T9_mT8_P12ihipStream_tbDpT10_ENKUlT_T0_E_clISt17integral_constantIbLb0EES18_EEDaS13_S14_EUlS13_E_NS1_11comp_targetILNS1_3genE0ELNS1_11target_archE4294967295ELNS1_3gpuE0ELNS1_3repE0EEENS1_30default_config_static_selectorELNS0_4arch9wavefront6targetE0EEEvT1_.num_named_barrier, 0
	.set _ZN7rocprim17ROCPRIM_400000_NS6detail17trampoline_kernelINS0_14default_configENS1_25partition_config_selectorILNS1_17partition_subalgoE6EjNS0_10empty_typeEbEEZZNS1_14partition_implILS5_6ELb0ES3_mN6thrust23THRUST_200600_302600_NS6detail15normal_iteratorINSA_10device_ptrIjEEEEPS6_SG_NS0_5tupleIJSF_S6_EEENSH_IJSG_SG_EEES6_PlJNSB_9not_fun_tI7is_trueIjEEEEEE10hipError_tPvRmT3_T4_T5_T6_T7_T9_mT8_P12ihipStream_tbDpT10_ENKUlT_T0_E_clISt17integral_constantIbLb0EES18_EEDaS13_S14_EUlS13_E_NS1_11comp_targetILNS1_3genE0ELNS1_11target_archE4294967295ELNS1_3gpuE0ELNS1_3repE0EEENS1_30default_config_static_selectorELNS0_4arch9wavefront6targetE0EEEvT1_.private_seg_size, 0
	.set _ZN7rocprim17ROCPRIM_400000_NS6detail17trampoline_kernelINS0_14default_configENS1_25partition_config_selectorILNS1_17partition_subalgoE6EjNS0_10empty_typeEbEEZZNS1_14partition_implILS5_6ELb0ES3_mN6thrust23THRUST_200600_302600_NS6detail15normal_iteratorINSA_10device_ptrIjEEEEPS6_SG_NS0_5tupleIJSF_S6_EEENSH_IJSG_SG_EEES6_PlJNSB_9not_fun_tI7is_trueIjEEEEEE10hipError_tPvRmT3_T4_T5_T6_T7_T9_mT8_P12ihipStream_tbDpT10_ENKUlT_T0_E_clISt17integral_constantIbLb0EES18_EEDaS13_S14_EUlS13_E_NS1_11comp_targetILNS1_3genE0ELNS1_11target_archE4294967295ELNS1_3gpuE0ELNS1_3repE0EEENS1_30default_config_static_selectorELNS0_4arch9wavefront6targetE0EEEvT1_.uses_vcc, 0
	.set _ZN7rocprim17ROCPRIM_400000_NS6detail17trampoline_kernelINS0_14default_configENS1_25partition_config_selectorILNS1_17partition_subalgoE6EjNS0_10empty_typeEbEEZZNS1_14partition_implILS5_6ELb0ES3_mN6thrust23THRUST_200600_302600_NS6detail15normal_iteratorINSA_10device_ptrIjEEEEPS6_SG_NS0_5tupleIJSF_S6_EEENSH_IJSG_SG_EEES6_PlJNSB_9not_fun_tI7is_trueIjEEEEEE10hipError_tPvRmT3_T4_T5_T6_T7_T9_mT8_P12ihipStream_tbDpT10_ENKUlT_T0_E_clISt17integral_constantIbLb0EES18_EEDaS13_S14_EUlS13_E_NS1_11comp_targetILNS1_3genE0ELNS1_11target_archE4294967295ELNS1_3gpuE0ELNS1_3repE0EEENS1_30default_config_static_selectorELNS0_4arch9wavefront6targetE0EEEvT1_.uses_flat_scratch, 0
	.set _ZN7rocprim17ROCPRIM_400000_NS6detail17trampoline_kernelINS0_14default_configENS1_25partition_config_selectorILNS1_17partition_subalgoE6EjNS0_10empty_typeEbEEZZNS1_14partition_implILS5_6ELb0ES3_mN6thrust23THRUST_200600_302600_NS6detail15normal_iteratorINSA_10device_ptrIjEEEEPS6_SG_NS0_5tupleIJSF_S6_EEENSH_IJSG_SG_EEES6_PlJNSB_9not_fun_tI7is_trueIjEEEEEE10hipError_tPvRmT3_T4_T5_T6_T7_T9_mT8_P12ihipStream_tbDpT10_ENKUlT_T0_E_clISt17integral_constantIbLb0EES18_EEDaS13_S14_EUlS13_E_NS1_11comp_targetILNS1_3genE0ELNS1_11target_archE4294967295ELNS1_3gpuE0ELNS1_3repE0EEENS1_30default_config_static_selectorELNS0_4arch9wavefront6targetE0EEEvT1_.has_dyn_sized_stack, 0
	.set _ZN7rocprim17ROCPRIM_400000_NS6detail17trampoline_kernelINS0_14default_configENS1_25partition_config_selectorILNS1_17partition_subalgoE6EjNS0_10empty_typeEbEEZZNS1_14partition_implILS5_6ELb0ES3_mN6thrust23THRUST_200600_302600_NS6detail15normal_iteratorINSA_10device_ptrIjEEEEPS6_SG_NS0_5tupleIJSF_S6_EEENSH_IJSG_SG_EEES6_PlJNSB_9not_fun_tI7is_trueIjEEEEEE10hipError_tPvRmT3_T4_T5_T6_T7_T9_mT8_P12ihipStream_tbDpT10_ENKUlT_T0_E_clISt17integral_constantIbLb0EES18_EEDaS13_S14_EUlS13_E_NS1_11comp_targetILNS1_3genE0ELNS1_11target_archE4294967295ELNS1_3gpuE0ELNS1_3repE0EEENS1_30default_config_static_selectorELNS0_4arch9wavefront6targetE0EEEvT1_.has_recursion, 0
	.set _ZN7rocprim17ROCPRIM_400000_NS6detail17trampoline_kernelINS0_14default_configENS1_25partition_config_selectorILNS1_17partition_subalgoE6EjNS0_10empty_typeEbEEZZNS1_14partition_implILS5_6ELb0ES3_mN6thrust23THRUST_200600_302600_NS6detail15normal_iteratorINSA_10device_ptrIjEEEEPS6_SG_NS0_5tupleIJSF_S6_EEENSH_IJSG_SG_EEES6_PlJNSB_9not_fun_tI7is_trueIjEEEEEE10hipError_tPvRmT3_T4_T5_T6_T7_T9_mT8_P12ihipStream_tbDpT10_ENKUlT_T0_E_clISt17integral_constantIbLb0EES18_EEDaS13_S14_EUlS13_E_NS1_11comp_targetILNS1_3genE0ELNS1_11target_archE4294967295ELNS1_3gpuE0ELNS1_3repE0EEENS1_30default_config_static_selectorELNS0_4arch9wavefront6targetE0EEEvT1_.has_indirect_call, 0
	.section	.AMDGPU.csdata,"",@progbits
; Kernel info:
; codeLenInByte = 0
; TotalNumSgprs: 0
; NumVgprs: 0
; ScratchSize: 0
; MemoryBound: 0
; FloatMode: 240
; IeeeMode: 1
; LDSByteSize: 0 bytes/workgroup (compile time only)
; SGPRBlocks: 0
; VGPRBlocks: 0
; NumSGPRsForWavesPerEU: 1
; NumVGPRsForWavesPerEU: 1
; Occupancy: 16
; WaveLimiterHint : 0
; COMPUTE_PGM_RSRC2:SCRATCH_EN: 0
; COMPUTE_PGM_RSRC2:USER_SGPR: 2
; COMPUTE_PGM_RSRC2:TRAP_HANDLER: 0
; COMPUTE_PGM_RSRC2:TGID_X_EN: 1
; COMPUTE_PGM_RSRC2:TGID_Y_EN: 0
; COMPUTE_PGM_RSRC2:TGID_Z_EN: 0
; COMPUTE_PGM_RSRC2:TIDIG_COMP_CNT: 0
	.section	.text._ZN7rocprim17ROCPRIM_400000_NS6detail17trampoline_kernelINS0_14default_configENS1_25partition_config_selectorILNS1_17partition_subalgoE6EjNS0_10empty_typeEbEEZZNS1_14partition_implILS5_6ELb0ES3_mN6thrust23THRUST_200600_302600_NS6detail15normal_iteratorINSA_10device_ptrIjEEEEPS6_SG_NS0_5tupleIJSF_S6_EEENSH_IJSG_SG_EEES6_PlJNSB_9not_fun_tI7is_trueIjEEEEEE10hipError_tPvRmT3_T4_T5_T6_T7_T9_mT8_P12ihipStream_tbDpT10_ENKUlT_T0_E_clISt17integral_constantIbLb0EES18_EEDaS13_S14_EUlS13_E_NS1_11comp_targetILNS1_3genE5ELNS1_11target_archE942ELNS1_3gpuE9ELNS1_3repE0EEENS1_30default_config_static_selectorELNS0_4arch9wavefront6targetE0EEEvT1_,"axG",@progbits,_ZN7rocprim17ROCPRIM_400000_NS6detail17trampoline_kernelINS0_14default_configENS1_25partition_config_selectorILNS1_17partition_subalgoE6EjNS0_10empty_typeEbEEZZNS1_14partition_implILS5_6ELb0ES3_mN6thrust23THRUST_200600_302600_NS6detail15normal_iteratorINSA_10device_ptrIjEEEEPS6_SG_NS0_5tupleIJSF_S6_EEENSH_IJSG_SG_EEES6_PlJNSB_9not_fun_tI7is_trueIjEEEEEE10hipError_tPvRmT3_T4_T5_T6_T7_T9_mT8_P12ihipStream_tbDpT10_ENKUlT_T0_E_clISt17integral_constantIbLb0EES18_EEDaS13_S14_EUlS13_E_NS1_11comp_targetILNS1_3genE5ELNS1_11target_archE942ELNS1_3gpuE9ELNS1_3repE0EEENS1_30default_config_static_selectorELNS0_4arch9wavefront6targetE0EEEvT1_,comdat
	.protected	_ZN7rocprim17ROCPRIM_400000_NS6detail17trampoline_kernelINS0_14default_configENS1_25partition_config_selectorILNS1_17partition_subalgoE6EjNS0_10empty_typeEbEEZZNS1_14partition_implILS5_6ELb0ES3_mN6thrust23THRUST_200600_302600_NS6detail15normal_iteratorINSA_10device_ptrIjEEEEPS6_SG_NS0_5tupleIJSF_S6_EEENSH_IJSG_SG_EEES6_PlJNSB_9not_fun_tI7is_trueIjEEEEEE10hipError_tPvRmT3_T4_T5_T6_T7_T9_mT8_P12ihipStream_tbDpT10_ENKUlT_T0_E_clISt17integral_constantIbLb0EES18_EEDaS13_S14_EUlS13_E_NS1_11comp_targetILNS1_3genE5ELNS1_11target_archE942ELNS1_3gpuE9ELNS1_3repE0EEENS1_30default_config_static_selectorELNS0_4arch9wavefront6targetE0EEEvT1_ ; -- Begin function _ZN7rocprim17ROCPRIM_400000_NS6detail17trampoline_kernelINS0_14default_configENS1_25partition_config_selectorILNS1_17partition_subalgoE6EjNS0_10empty_typeEbEEZZNS1_14partition_implILS5_6ELb0ES3_mN6thrust23THRUST_200600_302600_NS6detail15normal_iteratorINSA_10device_ptrIjEEEEPS6_SG_NS0_5tupleIJSF_S6_EEENSH_IJSG_SG_EEES6_PlJNSB_9not_fun_tI7is_trueIjEEEEEE10hipError_tPvRmT3_T4_T5_T6_T7_T9_mT8_P12ihipStream_tbDpT10_ENKUlT_T0_E_clISt17integral_constantIbLb0EES18_EEDaS13_S14_EUlS13_E_NS1_11comp_targetILNS1_3genE5ELNS1_11target_archE942ELNS1_3gpuE9ELNS1_3repE0EEENS1_30default_config_static_selectorELNS0_4arch9wavefront6targetE0EEEvT1_
	.globl	_ZN7rocprim17ROCPRIM_400000_NS6detail17trampoline_kernelINS0_14default_configENS1_25partition_config_selectorILNS1_17partition_subalgoE6EjNS0_10empty_typeEbEEZZNS1_14partition_implILS5_6ELb0ES3_mN6thrust23THRUST_200600_302600_NS6detail15normal_iteratorINSA_10device_ptrIjEEEEPS6_SG_NS0_5tupleIJSF_S6_EEENSH_IJSG_SG_EEES6_PlJNSB_9not_fun_tI7is_trueIjEEEEEE10hipError_tPvRmT3_T4_T5_T6_T7_T9_mT8_P12ihipStream_tbDpT10_ENKUlT_T0_E_clISt17integral_constantIbLb0EES18_EEDaS13_S14_EUlS13_E_NS1_11comp_targetILNS1_3genE5ELNS1_11target_archE942ELNS1_3gpuE9ELNS1_3repE0EEENS1_30default_config_static_selectorELNS0_4arch9wavefront6targetE0EEEvT1_
	.p2align	8
	.type	_ZN7rocprim17ROCPRIM_400000_NS6detail17trampoline_kernelINS0_14default_configENS1_25partition_config_selectorILNS1_17partition_subalgoE6EjNS0_10empty_typeEbEEZZNS1_14partition_implILS5_6ELb0ES3_mN6thrust23THRUST_200600_302600_NS6detail15normal_iteratorINSA_10device_ptrIjEEEEPS6_SG_NS0_5tupleIJSF_S6_EEENSH_IJSG_SG_EEES6_PlJNSB_9not_fun_tI7is_trueIjEEEEEE10hipError_tPvRmT3_T4_T5_T6_T7_T9_mT8_P12ihipStream_tbDpT10_ENKUlT_T0_E_clISt17integral_constantIbLb0EES18_EEDaS13_S14_EUlS13_E_NS1_11comp_targetILNS1_3genE5ELNS1_11target_archE942ELNS1_3gpuE9ELNS1_3repE0EEENS1_30default_config_static_selectorELNS0_4arch9wavefront6targetE0EEEvT1_,@function
_ZN7rocprim17ROCPRIM_400000_NS6detail17trampoline_kernelINS0_14default_configENS1_25partition_config_selectorILNS1_17partition_subalgoE6EjNS0_10empty_typeEbEEZZNS1_14partition_implILS5_6ELb0ES3_mN6thrust23THRUST_200600_302600_NS6detail15normal_iteratorINSA_10device_ptrIjEEEEPS6_SG_NS0_5tupleIJSF_S6_EEENSH_IJSG_SG_EEES6_PlJNSB_9not_fun_tI7is_trueIjEEEEEE10hipError_tPvRmT3_T4_T5_T6_T7_T9_mT8_P12ihipStream_tbDpT10_ENKUlT_T0_E_clISt17integral_constantIbLb0EES18_EEDaS13_S14_EUlS13_E_NS1_11comp_targetILNS1_3genE5ELNS1_11target_archE942ELNS1_3gpuE9ELNS1_3repE0EEENS1_30default_config_static_selectorELNS0_4arch9wavefront6targetE0EEEvT1_: ; @_ZN7rocprim17ROCPRIM_400000_NS6detail17trampoline_kernelINS0_14default_configENS1_25partition_config_selectorILNS1_17partition_subalgoE6EjNS0_10empty_typeEbEEZZNS1_14partition_implILS5_6ELb0ES3_mN6thrust23THRUST_200600_302600_NS6detail15normal_iteratorINSA_10device_ptrIjEEEEPS6_SG_NS0_5tupleIJSF_S6_EEENSH_IJSG_SG_EEES6_PlJNSB_9not_fun_tI7is_trueIjEEEEEE10hipError_tPvRmT3_T4_T5_T6_T7_T9_mT8_P12ihipStream_tbDpT10_ENKUlT_T0_E_clISt17integral_constantIbLb0EES18_EEDaS13_S14_EUlS13_E_NS1_11comp_targetILNS1_3genE5ELNS1_11target_archE942ELNS1_3gpuE9ELNS1_3repE0EEENS1_30default_config_static_selectorELNS0_4arch9wavefront6targetE0EEEvT1_
; %bb.0:
	.section	.rodata,"a",@progbits
	.p2align	6, 0x0
	.amdhsa_kernel _ZN7rocprim17ROCPRIM_400000_NS6detail17trampoline_kernelINS0_14default_configENS1_25partition_config_selectorILNS1_17partition_subalgoE6EjNS0_10empty_typeEbEEZZNS1_14partition_implILS5_6ELb0ES3_mN6thrust23THRUST_200600_302600_NS6detail15normal_iteratorINSA_10device_ptrIjEEEEPS6_SG_NS0_5tupleIJSF_S6_EEENSH_IJSG_SG_EEES6_PlJNSB_9not_fun_tI7is_trueIjEEEEEE10hipError_tPvRmT3_T4_T5_T6_T7_T9_mT8_P12ihipStream_tbDpT10_ENKUlT_T0_E_clISt17integral_constantIbLb0EES18_EEDaS13_S14_EUlS13_E_NS1_11comp_targetILNS1_3genE5ELNS1_11target_archE942ELNS1_3gpuE9ELNS1_3repE0EEENS1_30default_config_static_selectorELNS0_4arch9wavefront6targetE0EEEvT1_
		.amdhsa_group_segment_fixed_size 0
		.amdhsa_private_segment_fixed_size 0
		.amdhsa_kernarg_size 112
		.amdhsa_user_sgpr_count 2
		.amdhsa_user_sgpr_dispatch_ptr 0
		.amdhsa_user_sgpr_queue_ptr 0
		.amdhsa_user_sgpr_kernarg_segment_ptr 1
		.amdhsa_user_sgpr_dispatch_id 0
		.amdhsa_user_sgpr_private_segment_size 0
		.amdhsa_wavefront_size32 1
		.amdhsa_uses_dynamic_stack 0
		.amdhsa_enable_private_segment 0
		.amdhsa_system_sgpr_workgroup_id_x 1
		.amdhsa_system_sgpr_workgroup_id_y 0
		.amdhsa_system_sgpr_workgroup_id_z 0
		.amdhsa_system_sgpr_workgroup_info 0
		.amdhsa_system_vgpr_workitem_id 0
		.amdhsa_next_free_vgpr 1
		.amdhsa_next_free_sgpr 1
		.amdhsa_reserve_vcc 0
		.amdhsa_float_round_mode_32 0
		.amdhsa_float_round_mode_16_64 0
		.amdhsa_float_denorm_mode_32 3
		.amdhsa_float_denorm_mode_16_64 3
		.amdhsa_fp16_overflow 0
		.amdhsa_workgroup_processor_mode 1
		.amdhsa_memory_ordered 1
		.amdhsa_forward_progress 1
		.amdhsa_inst_pref_size 0
		.amdhsa_round_robin_scheduling 0
		.amdhsa_exception_fp_ieee_invalid_op 0
		.amdhsa_exception_fp_denorm_src 0
		.amdhsa_exception_fp_ieee_div_zero 0
		.amdhsa_exception_fp_ieee_overflow 0
		.amdhsa_exception_fp_ieee_underflow 0
		.amdhsa_exception_fp_ieee_inexact 0
		.amdhsa_exception_int_div_zero 0
	.end_amdhsa_kernel
	.section	.text._ZN7rocprim17ROCPRIM_400000_NS6detail17trampoline_kernelINS0_14default_configENS1_25partition_config_selectorILNS1_17partition_subalgoE6EjNS0_10empty_typeEbEEZZNS1_14partition_implILS5_6ELb0ES3_mN6thrust23THRUST_200600_302600_NS6detail15normal_iteratorINSA_10device_ptrIjEEEEPS6_SG_NS0_5tupleIJSF_S6_EEENSH_IJSG_SG_EEES6_PlJNSB_9not_fun_tI7is_trueIjEEEEEE10hipError_tPvRmT3_T4_T5_T6_T7_T9_mT8_P12ihipStream_tbDpT10_ENKUlT_T0_E_clISt17integral_constantIbLb0EES18_EEDaS13_S14_EUlS13_E_NS1_11comp_targetILNS1_3genE5ELNS1_11target_archE942ELNS1_3gpuE9ELNS1_3repE0EEENS1_30default_config_static_selectorELNS0_4arch9wavefront6targetE0EEEvT1_,"axG",@progbits,_ZN7rocprim17ROCPRIM_400000_NS6detail17trampoline_kernelINS0_14default_configENS1_25partition_config_selectorILNS1_17partition_subalgoE6EjNS0_10empty_typeEbEEZZNS1_14partition_implILS5_6ELb0ES3_mN6thrust23THRUST_200600_302600_NS6detail15normal_iteratorINSA_10device_ptrIjEEEEPS6_SG_NS0_5tupleIJSF_S6_EEENSH_IJSG_SG_EEES6_PlJNSB_9not_fun_tI7is_trueIjEEEEEE10hipError_tPvRmT3_T4_T5_T6_T7_T9_mT8_P12ihipStream_tbDpT10_ENKUlT_T0_E_clISt17integral_constantIbLb0EES18_EEDaS13_S14_EUlS13_E_NS1_11comp_targetILNS1_3genE5ELNS1_11target_archE942ELNS1_3gpuE9ELNS1_3repE0EEENS1_30default_config_static_selectorELNS0_4arch9wavefront6targetE0EEEvT1_,comdat
.Lfunc_end1142:
	.size	_ZN7rocprim17ROCPRIM_400000_NS6detail17trampoline_kernelINS0_14default_configENS1_25partition_config_selectorILNS1_17partition_subalgoE6EjNS0_10empty_typeEbEEZZNS1_14partition_implILS5_6ELb0ES3_mN6thrust23THRUST_200600_302600_NS6detail15normal_iteratorINSA_10device_ptrIjEEEEPS6_SG_NS0_5tupleIJSF_S6_EEENSH_IJSG_SG_EEES6_PlJNSB_9not_fun_tI7is_trueIjEEEEEE10hipError_tPvRmT3_T4_T5_T6_T7_T9_mT8_P12ihipStream_tbDpT10_ENKUlT_T0_E_clISt17integral_constantIbLb0EES18_EEDaS13_S14_EUlS13_E_NS1_11comp_targetILNS1_3genE5ELNS1_11target_archE942ELNS1_3gpuE9ELNS1_3repE0EEENS1_30default_config_static_selectorELNS0_4arch9wavefront6targetE0EEEvT1_, .Lfunc_end1142-_ZN7rocprim17ROCPRIM_400000_NS6detail17trampoline_kernelINS0_14default_configENS1_25partition_config_selectorILNS1_17partition_subalgoE6EjNS0_10empty_typeEbEEZZNS1_14partition_implILS5_6ELb0ES3_mN6thrust23THRUST_200600_302600_NS6detail15normal_iteratorINSA_10device_ptrIjEEEEPS6_SG_NS0_5tupleIJSF_S6_EEENSH_IJSG_SG_EEES6_PlJNSB_9not_fun_tI7is_trueIjEEEEEE10hipError_tPvRmT3_T4_T5_T6_T7_T9_mT8_P12ihipStream_tbDpT10_ENKUlT_T0_E_clISt17integral_constantIbLb0EES18_EEDaS13_S14_EUlS13_E_NS1_11comp_targetILNS1_3genE5ELNS1_11target_archE942ELNS1_3gpuE9ELNS1_3repE0EEENS1_30default_config_static_selectorELNS0_4arch9wavefront6targetE0EEEvT1_
                                        ; -- End function
	.set _ZN7rocprim17ROCPRIM_400000_NS6detail17trampoline_kernelINS0_14default_configENS1_25partition_config_selectorILNS1_17partition_subalgoE6EjNS0_10empty_typeEbEEZZNS1_14partition_implILS5_6ELb0ES3_mN6thrust23THRUST_200600_302600_NS6detail15normal_iteratorINSA_10device_ptrIjEEEEPS6_SG_NS0_5tupleIJSF_S6_EEENSH_IJSG_SG_EEES6_PlJNSB_9not_fun_tI7is_trueIjEEEEEE10hipError_tPvRmT3_T4_T5_T6_T7_T9_mT8_P12ihipStream_tbDpT10_ENKUlT_T0_E_clISt17integral_constantIbLb0EES18_EEDaS13_S14_EUlS13_E_NS1_11comp_targetILNS1_3genE5ELNS1_11target_archE942ELNS1_3gpuE9ELNS1_3repE0EEENS1_30default_config_static_selectorELNS0_4arch9wavefront6targetE0EEEvT1_.num_vgpr, 0
	.set _ZN7rocprim17ROCPRIM_400000_NS6detail17trampoline_kernelINS0_14default_configENS1_25partition_config_selectorILNS1_17partition_subalgoE6EjNS0_10empty_typeEbEEZZNS1_14partition_implILS5_6ELb0ES3_mN6thrust23THRUST_200600_302600_NS6detail15normal_iteratorINSA_10device_ptrIjEEEEPS6_SG_NS0_5tupleIJSF_S6_EEENSH_IJSG_SG_EEES6_PlJNSB_9not_fun_tI7is_trueIjEEEEEE10hipError_tPvRmT3_T4_T5_T6_T7_T9_mT8_P12ihipStream_tbDpT10_ENKUlT_T0_E_clISt17integral_constantIbLb0EES18_EEDaS13_S14_EUlS13_E_NS1_11comp_targetILNS1_3genE5ELNS1_11target_archE942ELNS1_3gpuE9ELNS1_3repE0EEENS1_30default_config_static_selectorELNS0_4arch9wavefront6targetE0EEEvT1_.num_agpr, 0
	.set _ZN7rocprim17ROCPRIM_400000_NS6detail17trampoline_kernelINS0_14default_configENS1_25partition_config_selectorILNS1_17partition_subalgoE6EjNS0_10empty_typeEbEEZZNS1_14partition_implILS5_6ELb0ES3_mN6thrust23THRUST_200600_302600_NS6detail15normal_iteratorINSA_10device_ptrIjEEEEPS6_SG_NS0_5tupleIJSF_S6_EEENSH_IJSG_SG_EEES6_PlJNSB_9not_fun_tI7is_trueIjEEEEEE10hipError_tPvRmT3_T4_T5_T6_T7_T9_mT8_P12ihipStream_tbDpT10_ENKUlT_T0_E_clISt17integral_constantIbLb0EES18_EEDaS13_S14_EUlS13_E_NS1_11comp_targetILNS1_3genE5ELNS1_11target_archE942ELNS1_3gpuE9ELNS1_3repE0EEENS1_30default_config_static_selectorELNS0_4arch9wavefront6targetE0EEEvT1_.numbered_sgpr, 0
	.set _ZN7rocprim17ROCPRIM_400000_NS6detail17trampoline_kernelINS0_14default_configENS1_25partition_config_selectorILNS1_17partition_subalgoE6EjNS0_10empty_typeEbEEZZNS1_14partition_implILS5_6ELb0ES3_mN6thrust23THRUST_200600_302600_NS6detail15normal_iteratorINSA_10device_ptrIjEEEEPS6_SG_NS0_5tupleIJSF_S6_EEENSH_IJSG_SG_EEES6_PlJNSB_9not_fun_tI7is_trueIjEEEEEE10hipError_tPvRmT3_T4_T5_T6_T7_T9_mT8_P12ihipStream_tbDpT10_ENKUlT_T0_E_clISt17integral_constantIbLb0EES18_EEDaS13_S14_EUlS13_E_NS1_11comp_targetILNS1_3genE5ELNS1_11target_archE942ELNS1_3gpuE9ELNS1_3repE0EEENS1_30default_config_static_selectorELNS0_4arch9wavefront6targetE0EEEvT1_.num_named_barrier, 0
	.set _ZN7rocprim17ROCPRIM_400000_NS6detail17trampoline_kernelINS0_14default_configENS1_25partition_config_selectorILNS1_17partition_subalgoE6EjNS0_10empty_typeEbEEZZNS1_14partition_implILS5_6ELb0ES3_mN6thrust23THRUST_200600_302600_NS6detail15normal_iteratorINSA_10device_ptrIjEEEEPS6_SG_NS0_5tupleIJSF_S6_EEENSH_IJSG_SG_EEES6_PlJNSB_9not_fun_tI7is_trueIjEEEEEE10hipError_tPvRmT3_T4_T5_T6_T7_T9_mT8_P12ihipStream_tbDpT10_ENKUlT_T0_E_clISt17integral_constantIbLb0EES18_EEDaS13_S14_EUlS13_E_NS1_11comp_targetILNS1_3genE5ELNS1_11target_archE942ELNS1_3gpuE9ELNS1_3repE0EEENS1_30default_config_static_selectorELNS0_4arch9wavefront6targetE0EEEvT1_.private_seg_size, 0
	.set _ZN7rocprim17ROCPRIM_400000_NS6detail17trampoline_kernelINS0_14default_configENS1_25partition_config_selectorILNS1_17partition_subalgoE6EjNS0_10empty_typeEbEEZZNS1_14partition_implILS5_6ELb0ES3_mN6thrust23THRUST_200600_302600_NS6detail15normal_iteratorINSA_10device_ptrIjEEEEPS6_SG_NS0_5tupleIJSF_S6_EEENSH_IJSG_SG_EEES6_PlJNSB_9not_fun_tI7is_trueIjEEEEEE10hipError_tPvRmT3_T4_T5_T6_T7_T9_mT8_P12ihipStream_tbDpT10_ENKUlT_T0_E_clISt17integral_constantIbLb0EES18_EEDaS13_S14_EUlS13_E_NS1_11comp_targetILNS1_3genE5ELNS1_11target_archE942ELNS1_3gpuE9ELNS1_3repE0EEENS1_30default_config_static_selectorELNS0_4arch9wavefront6targetE0EEEvT1_.uses_vcc, 0
	.set _ZN7rocprim17ROCPRIM_400000_NS6detail17trampoline_kernelINS0_14default_configENS1_25partition_config_selectorILNS1_17partition_subalgoE6EjNS0_10empty_typeEbEEZZNS1_14partition_implILS5_6ELb0ES3_mN6thrust23THRUST_200600_302600_NS6detail15normal_iteratorINSA_10device_ptrIjEEEEPS6_SG_NS0_5tupleIJSF_S6_EEENSH_IJSG_SG_EEES6_PlJNSB_9not_fun_tI7is_trueIjEEEEEE10hipError_tPvRmT3_T4_T5_T6_T7_T9_mT8_P12ihipStream_tbDpT10_ENKUlT_T0_E_clISt17integral_constantIbLb0EES18_EEDaS13_S14_EUlS13_E_NS1_11comp_targetILNS1_3genE5ELNS1_11target_archE942ELNS1_3gpuE9ELNS1_3repE0EEENS1_30default_config_static_selectorELNS0_4arch9wavefront6targetE0EEEvT1_.uses_flat_scratch, 0
	.set _ZN7rocprim17ROCPRIM_400000_NS6detail17trampoline_kernelINS0_14default_configENS1_25partition_config_selectorILNS1_17partition_subalgoE6EjNS0_10empty_typeEbEEZZNS1_14partition_implILS5_6ELb0ES3_mN6thrust23THRUST_200600_302600_NS6detail15normal_iteratorINSA_10device_ptrIjEEEEPS6_SG_NS0_5tupleIJSF_S6_EEENSH_IJSG_SG_EEES6_PlJNSB_9not_fun_tI7is_trueIjEEEEEE10hipError_tPvRmT3_T4_T5_T6_T7_T9_mT8_P12ihipStream_tbDpT10_ENKUlT_T0_E_clISt17integral_constantIbLb0EES18_EEDaS13_S14_EUlS13_E_NS1_11comp_targetILNS1_3genE5ELNS1_11target_archE942ELNS1_3gpuE9ELNS1_3repE0EEENS1_30default_config_static_selectorELNS0_4arch9wavefront6targetE0EEEvT1_.has_dyn_sized_stack, 0
	.set _ZN7rocprim17ROCPRIM_400000_NS6detail17trampoline_kernelINS0_14default_configENS1_25partition_config_selectorILNS1_17partition_subalgoE6EjNS0_10empty_typeEbEEZZNS1_14partition_implILS5_6ELb0ES3_mN6thrust23THRUST_200600_302600_NS6detail15normal_iteratorINSA_10device_ptrIjEEEEPS6_SG_NS0_5tupleIJSF_S6_EEENSH_IJSG_SG_EEES6_PlJNSB_9not_fun_tI7is_trueIjEEEEEE10hipError_tPvRmT3_T4_T5_T6_T7_T9_mT8_P12ihipStream_tbDpT10_ENKUlT_T0_E_clISt17integral_constantIbLb0EES18_EEDaS13_S14_EUlS13_E_NS1_11comp_targetILNS1_3genE5ELNS1_11target_archE942ELNS1_3gpuE9ELNS1_3repE0EEENS1_30default_config_static_selectorELNS0_4arch9wavefront6targetE0EEEvT1_.has_recursion, 0
	.set _ZN7rocprim17ROCPRIM_400000_NS6detail17trampoline_kernelINS0_14default_configENS1_25partition_config_selectorILNS1_17partition_subalgoE6EjNS0_10empty_typeEbEEZZNS1_14partition_implILS5_6ELb0ES3_mN6thrust23THRUST_200600_302600_NS6detail15normal_iteratorINSA_10device_ptrIjEEEEPS6_SG_NS0_5tupleIJSF_S6_EEENSH_IJSG_SG_EEES6_PlJNSB_9not_fun_tI7is_trueIjEEEEEE10hipError_tPvRmT3_T4_T5_T6_T7_T9_mT8_P12ihipStream_tbDpT10_ENKUlT_T0_E_clISt17integral_constantIbLb0EES18_EEDaS13_S14_EUlS13_E_NS1_11comp_targetILNS1_3genE5ELNS1_11target_archE942ELNS1_3gpuE9ELNS1_3repE0EEENS1_30default_config_static_selectorELNS0_4arch9wavefront6targetE0EEEvT1_.has_indirect_call, 0
	.section	.AMDGPU.csdata,"",@progbits
; Kernel info:
; codeLenInByte = 0
; TotalNumSgprs: 0
; NumVgprs: 0
; ScratchSize: 0
; MemoryBound: 0
; FloatMode: 240
; IeeeMode: 1
; LDSByteSize: 0 bytes/workgroup (compile time only)
; SGPRBlocks: 0
; VGPRBlocks: 0
; NumSGPRsForWavesPerEU: 1
; NumVGPRsForWavesPerEU: 1
; Occupancy: 16
; WaveLimiterHint : 0
; COMPUTE_PGM_RSRC2:SCRATCH_EN: 0
; COMPUTE_PGM_RSRC2:USER_SGPR: 2
; COMPUTE_PGM_RSRC2:TRAP_HANDLER: 0
; COMPUTE_PGM_RSRC2:TGID_X_EN: 1
; COMPUTE_PGM_RSRC2:TGID_Y_EN: 0
; COMPUTE_PGM_RSRC2:TGID_Z_EN: 0
; COMPUTE_PGM_RSRC2:TIDIG_COMP_CNT: 0
	.section	.text._ZN7rocprim17ROCPRIM_400000_NS6detail17trampoline_kernelINS0_14default_configENS1_25partition_config_selectorILNS1_17partition_subalgoE6EjNS0_10empty_typeEbEEZZNS1_14partition_implILS5_6ELb0ES3_mN6thrust23THRUST_200600_302600_NS6detail15normal_iteratorINSA_10device_ptrIjEEEEPS6_SG_NS0_5tupleIJSF_S6_EEENSH_IJSG_SG_EEES6_PlJNSB_9not_fun_tI7is_trueIjEEEEEE10hipError_tPvRmT3_T4_T5_T6_T7_T9_mT8_P12ihipStream_tbDpT10_ENKUlT_T0_E_clISt17integral_constantIbLb0EES18_EEDaS13_S14_EUlS13_E_NS1_11comp_targetILNS1_3genE4ELNS1_11target_archE910ELNS1_3gpuE8ELNS1_3repE0EEENS1_30default_config_static_selectorELNS0_4arch9wavefront6targetE0EEEvT1_,"axG",@progbits,_ZN7rocprim17ROCPRIM_400000_NS6detail17trampoline_kernelINS0_14default_configENS1_25partition_config_selectorILNS1_17partition_subalgoE6EjNS0_10empty_typeEbEEZZNS1_14partition_implILS5_6ELb0ES3_mN6thrust23THRUST_200600_302600_NS6detail15normal_iteratorINSA_10device_ptrIjEEEEPS6_SG_NS0_5tupleIJSF_S6_EEENSH_IJSG_SG_EEES6_PlJNSB_9not_fun_tI7is_trueIjEEEEEE10hipError_tPvRmT3_T4_T5_T6_T7_T9_mT8_P12ihipStream_tbDpT10_ENKUlT_T0_E_clISt17integral_constantIbLb0EES18_EEDaS13_S14_EUlS13_E_NS1_11comp_targetILNS1_3genE4ELNS1_11target_archE910ELNS1_3gpuE8ELNS1_3repE0EEENS1_30default_config_static_selectorELNS0_4arch9wavefront6targetE0EEEvT1_,comdat
	.protected	_ZN7rocprim17ROCPRIM_400000_NS6detail17trampoline_kernelINS0_14default_configENS1_25partition_config_selectorILNS1_17partition_subalgoE6EjNS0_10empty_typeEbEEZZNS1_14partition_implILS5_6ELb0ES3_mN6thrust23THRUST_200600_302600_NS6detail15normal_iteratorINSA_10device_ptrIjEEEEPS6_SG_NS0_5tupleIJSF_S6_EEENSH_IJSG_SG_EEES6_PlJNSB_9not_fun_tI7is_trueIjEEEEEE10hipError_tPvRmT3_T4_T5_T6_T7_T9_mT8_P12ihipStream_tbDpT10_ENKUlT_T0_E_clISt17integral_constantIbLb0EES18_EEDaS13_S14_EUlS13_E_NS1_11comp_targetILNS1_3genE4ELNS1_11target_archE910ELNS1_3gpuE8ELNS1_3repE0EEENS1_30default_config_static_selectorELNS0_4arch9wavefront6targetE0EEEvT1_ ; -- Begin function _ZN7rocprim17ROCPRIM_400000_NS6detail17trampoline_kernelINS0_14default_configENS1_25partition_config_selectorILNS1_17partition_subalgoE6EjNS0_10empty_typeEbEEZZNS1_14partition_implILS5_6ELb0ES3_mN6thrust23THRUST_200600_302600_NS6detail15normal_iteratorINSA_10device_ptrIjEEEEPS6_SG_NS0_5tupleIJSF_S6_EEENSH_IJSG_SG_EEES6_PlJNSB_9not_fun_tI7is_trueIjEEEEEE10hipError_tPvRmT3_T4_T5_T6_T7_T9_mT8_P12ihipStream_tbDpT10_ENKUlT_T0_E_clISt17integral_constantIbLb0EES18_EEDaS13_S14_EUlS13_E_NS1_11comp_targetILNS1_3genE4ELNS1_11target_archE910ELNS1_3gpuE8ELNS1_3repE0EEENS1_30default_config_static_selectorELNS0_4arch9wavefront6targetE0EEEvT1_
	.globl	_ZN7rocprim17ROCPRIM_400000_NS6detail17trampoline_kernelINS0_14default_configENS1_25partition_config_selectorILNS1_17partition_subalgoE6EjNS0_10empty_typeEbEEZZNS1_14partition_implILS5_6ELb0ES3_mN6thrust23THRUST_200600_302600_NS6detail15normal_iteratorINSA_10device_ptrIjEEEEPS6_SG_NS0_5tupleIJSF_S6_EEENSH_IJSG_SG_EEES6_PlJNSB_9not_fun_tI7is_trueIjEEEEEE10hipError_tPvRmT3_T4_T5_T6_T7_T9_mT8_P12ihipStream_tbDpT10_ENKUlT_T0_E_clISt17integral_constantIbLb0EES18_EEDaS13_S14_EUlS13_E_NS1_11comp_targetILNS1_3genE4ELNS1_11target_archE910ELNS1_3gpuE8ELNS1_3repE0EEENS1_30default_config_static_selectorELNS0_4arch9wavefront6targetE0EEEvT1_
	.p2align	8
	.type	_ZN7rocprim17ROCPRIM_400000_NS6detail17trampoline_kernelINS0_14default_configENS1_25partition_config_selectorILNS1_17partition_subalgoE6EjNS0_10empty_typeEbEEZZNS1_14partition_implILS5_6ELb0ES3_mN6thrust23THRUST_200600_302600_NS6detail15normal_iteratorINSA_10device_ptrIjEEEEPS6_SG_NS0_5tupleIJSF_S6_EEENSH_IJSG_SG_EEES6_PlJNSB_9not_fun_tI7is_trueIjEEEEEE10hipError_tPvRmT3_T4_T5_T6_T7_T9_mT8_P12ihipStream_tbDpT10_ENKUlT_T0_E_clISt17integral_constantIbLb0EES18_EEDaS13_S14_EUlS13_E_NS1_11comp_targetILNS1_3genE4ELNS1_11target_archE910ELNS1_3gpuE8ELNS1_3repE0EEENS1_30default_config_static_selectorELNS0_4arch9wavefront6targetE0EEEvT1_,@function
_ZN7rocprim17ROCPRIM_400000_NS6detail17trampoline_kernelINS0_14default_configENS1_25partition_config_selectorILNS1_17partition_subalgoE6EjNS0_10empty_typeEbEEZZNS1_14partition_implILS5_6ELb0ES3_mN6thrust23THRUST_200600_302600_NS6detail15normal_iteratorINSA_10device_ptrIjEEEEPS6_SG_NS0_5tupleIJSF_S6_EEENSH_IJSG_SG_EEES6_PlJNSB_9not_fun_tI7is_trueIjEEEEEE10hipError_tPvRmT3_T4_T5_T6_T7_T9_mT8_P12ihipStream_tbDpT10_ENKUlT_T0_E_clISt17integral_constantIbLb0EES18_EEDaS13_S14_EUlS13_E_NS1_11comp_targetILNS1_3genE4ELNS1_11target_archE910ELNS1_3gpuE8ELNS1_3repE0EEENS1_30default_config_static_selectorELNS0_4arch9wavefront6targetE0EEEvT1_: ; @_ZN7rocprim17ROCPRIM_400000_NS6detail17trampoline_kernelINS0_14default_configENS1_25partition_config_selectorILNS1_17partition_subalgoE6EjNS0_10empty_typeEbEEZZNS1_14partition_implILS5_6ELb0ES3_mN6thrust23THRUST_200600_302600_NS6detail15normal_iteratorINSA_10device_ptrIjEEEEPS6_SG_NS0_5tupleIJSF_S6_EEENSH_IJSG_SG_EEES6_PlJNSB_9not_fun_tI7is_trueIjEEEEEE10hipError_tPvRmT3_T4_T5_T6_T7_T9_mT8_P12ihipStream_tbDpT10_ENKUlT_T0_E_clISt17integral_constantIbLb0EES18_EEDaS13_S14_EUlS13_E_NS1_11comp_targetILNS1_3genE4ELNS1_11target_archE910ELNS1_3gpuE8ELNS1_3repE0EEENS1_30default_config_static_selectorELNS0_4arch9wavefront6targetE0EEEvT1_
; %bb.0:
	.section	.rodata,"a",@progbits
	.p2align	6, 0x0
	.amdhsa_kernel _ZN7rocprim17ROCPRIM_400000_NS6detail17trampoline_kernelINS0_14default_configENS1_25partition_config_selectorILNS1_17partition_subalgoE6EjNS0_10empty_typeEbEEZZNS1_14partition_implILS5_6ELb0ES3_mN6thrust23THRUST_200600_302600_NS6detail15normal_iteratorINSA_10device_ptrIjEEEEPS6_SG_NS0_5tupleIJSF_S6_EEENSH_IJSG_SG_EEES6_PlJNSB_9not_fun_tI7is_trueIjEEEEEE10hipError_tPvRmT3_T4_T5_T6_T7_T9_mT8_P12ihipStream_tbDpT10_ENKUlT_T0_E_clISt17integral_constantIbLb0EES18_EEDaS13_S14_EUlS13_E_NS1_11comp_targetILNS1_3genE4ELNS1_11target_archE910ELNS1_3gpuE8ELNS1_3repE0EEENS1_30default_config_static_selectorELNS0_4arch9wavefront6targetE0EEEvT1_
		.amdhsa_group_segment_fixed_size 0
		.amdhsa_private_segment_fixed_size 0
		.amdhsa_kernarg_size 112
		.amdhsa_user_sgpr_count 2
		.amdhsa_user_sgpr_dispatch_ptr 0
		.amdhsa_user_sgpr_queue_ptr 0
		.amdhsa_user_sgpr_kernarg_segment_ptr 1
		.amdhsa_user_sgpr_dispatch_id 0
		.amdhsa_user_sgpr_private_segment_size 0
		.amdhsa_wavefront_size32 1
		.amdhsa_uses_dynamic_stack 0
		.amdhsa_enable_private_segment 0
		.amdhsa_system_sgpr_workgroup_id_x 1
		.amdhsa_system_sgpr_workgroup_id_y 0
		.amdhsa_system_sgpr_workgroup_id_z 0
		.amdhsa_system_sgpr_workgroup_info 0
		.amdhsa_system_vgpr_workitem_id 0
		.amdhsa_next_free_vgpr 1
		.amdhsa_next_free_sgpr 1
		.amdhsa_reserve_vcc 0
		.amdhsa_float_round_mode_32 0
		.amdhsa_float_round_mode_16_64 0
		.amdhsa_float_denorm_mode_32 3
		.amdhsa_float_denorm_mode_16_64 3
		.amdhsa_fp16_overflow 0
		.amdhsa_workgroup_processor_mode 1
		.amdhsa_memory_ordered 1
		.amdhsa_forward_progress 1
		.amdhsa_inst_pref_size 0
		.amdhsa_round_robin_scheduling 0
		.amdhsa_exception_fp_ieee_invalid_op 0
		.amdhsa_exception_fp_denorm_src 0
		.amdhsa_exception_fp_ieee_div_zero 0
		.amdhsa_exception_fp_ieee_overflow 0
		.amdhsa_exception_fp_ieee_underflow 0
		.amdhsa_exception_fp_ieee_inexact 0
		.amdhsa_exception_int_div_zero 0
	.end_amdhsa_kernel
	.section	.text._ZN7rocprim17ROCPRIM_400000_NS6detail17trampoline_kernelINS0_14default_configENS1_25partition_config_selectorILNS1_17partition_subalgoE6EjNS0_10empty_typeEbEEZZNS1_14partition_implILS5_6ELb0ES3_mN6thrust23THRUST_200600_302600_NS6detail15normal_iteratorINSA_10device_ptrIjEEEEPS6_SG_NS0_5tupleIJSF_S6_EEENSH_IJSG_SG_EEES6_PlJNSB_9not_fun_tI7is_trueIjEEEEEE10hipError_tPvRmT3_T4_T5_T6_T7_T9_mT8_P12ihipStream_tbDpT10_ENKUlT_T0_E_clISt17integral_constantIbLb0EES18_EEDaS13_S14_EUlS13_E_NS1_11comp_targetILNS1_3genE4ELNS1_11target_archE910ELNS1_3gpuE8ELNS1_3repE0EEENS1_30default_config_static_selectorELNS0_4arch9wavefront6targetE0EEEvT1_,"axG",@progbits,_ZN7rocprim17ROCPRIM_400000_NS6detail17trampoline_kernelINS0_14default_configENS1_25partition_config_selectorILNS1_17partition_subalgoE6EjNS0_10empty_typeEbEEZZNS1_14partition_implILS5_6ELb0ES3_mN6thrust23THRUST_200600_302600_NS6detail15normal_iteratorINSA_10device_ptrIjEEEEPS6_SG_NS0_5tupleIJSF_S6_EEENSH_IJSG_SG_EEES6_PlJNSB_9not_fun_tI7is_trueIjEEEEEE10hipError_tPvRmT3_T4_T5_T6_T7_T9_mT8_P12ihipStream_tbDpT10_ENKUlT_T0_E_clISt17integral_constantIbLb0EES18_EEDaS13_S14_EUlS13_E_NS1_11comp_targetILNS1_3genE4ELNS1_11target_archE910ELNS1_3gpuE8ELNS1_3repE0EEENS1_30default_config_static_selectorELNS0_4arch9wavefront6targetE0EEEvT1_,comdat
.Lfunc_end1143:
	.size	_ZN7rocprim17ROCPRIM_400000_NS6detail17trampoline_kernelINS0_14default_configENS1_25partition_config_selectorILNS1_17partition_subalgoE6EjNS0_10empty_typeEbEEZZNS1_14partition_implILS5_6ELb0ES3_mN6thrust23THRUST_200600_302600_NS6detail15normal_iteratorINSA_10device_ptrIjEEEEPS6_SG_NS0_5tupleIJSF_S6_EEENSH_IJSG_SG_EEES6_PlJNSB_9not_fun_tI7is_trueIjEEEEEE10hipError_tPvRmT3_T4_T5_T6_T7_T9_mT8_P12ihipStream_tbDpT10_ENKUlT_T0_E_clISt17integral_constantIbLb0EES18_EEDaS13_S14_EUlS13_E_NS1_11comp_targetILNS1_3genE4ELNS1_11target_archE910ELNS1_3gpuE8ELNS1_3repE0EEENS1_30default_config_static_selectorELNS0_4arch9wavefront6targetE0EEEvT1_, .Lfunc_end1143-_ZN7rocprim17ROCPRIM_400000_NS6detail17trampoline_kernelINS0_14default_configENS1_25partition_config_selectorILNS1_17partition_subalgoE6EjNS0_10empty_typeEbEEZZNS1_14partition_implILS5_6ELb0ES3_mN6thrust23THRUST_200600_302600_NS6detail15normal_iteratorINSA_10device_ptrIjEEEEPS6_SG_NS0_5tupleIJSF_S6_EEENSH_IJSG_SG_EEES6_PlJNSB_9not_fun_tI7is_trueIjEEEEEE10hipError_tPvRmT3_T4_T5_T6_T7_T9_mT8_P12ihipStream_tbDpT10_ENKUlT_T0_E_clISt17integral_constantIbLb0EES18_EEDaS13_S14_EUlS13_E_NS1_11comp_targetILNS1_3genE4ELNS1_11target_archE910ELNS1_3gpuE8ELNS1_3repE0EEENS1_30default_config_static_selectorELNS0_4arch9wavefront6targetE0EEEvT1_
                                        ; -- End function
	.set _ZN7rocprim17ROCPRIM_400000_NS6detail17trampoline_kernelINS0_14default_configENS1_25partition_config_selectorILNS1_17partition_subalgoE6EjNS0_10empty_typeEbEEZZNS1_14partition_implILS5_6ELb0ES3_mN6thrust23THRUST_200600_302600_NS6detail15normal_iteratorINSA_10device_ptrIjEEEEPS6_SG_NS0_5tupleIJSF_S6_EEENSH_IJSG_SG_EEES6_PlJNSB_9not_fun_tI7is_trueIjEEEEEE10hipError_tPvRmT3_T4_T5_T6_T7_T9_mT8_P12ihipStream_tbDpT10_ENKUlT_T0_E_clISt17integral_constantIbLb0EES18_EEDaS13_S14_EUlS13_E_NS1_11comp_targetILNS1_3genE4ELNS1_11target_archE910ELNS1_3gpuE8ELNS1_3repE0EEENS1_30default_config_static_selectorELNS0_4arch9wavefront6targetE0EEEvT1_.num_vgpr, 0
	.set _ZN7rocprim17ROCPRIM_400000_NS6detail17trampoline_kernelINS0_14default_configENS1_25partition_config_selectorILNS1_17partition_subalgoE6EjNS0_10empty_typeEbEEZZNS1_14partition_implILS5_6ELb0ES3_mN6thrust23THRUST_200600_302600_NS6detail15normal_iteratorINSA_10device_ptrIjEEEEPS6_SG_NS0_5tupleIJSF_S6_EEENSH_IJSG_SG_EEES6_PlJNSB_9not_fun_tI7is_trueIjEEEEEE10hipError_tPvRmT3_T4_T5_T6_T7_T9_mT8_P12ihipStream_tbDpT10_ENKUlT_T0_E_clISt17integral_constantIbLb0EES18_EEDaS13_S14_EUlS13_E_NS1_11comp_targetILNS1_3genE4ELNS1_11target_archE910ELNS1_3gpuE8ELNS1_3repE0EEENS1_30default_config_static_selectorELNS0_4arch9wavefront6targetE0EEEvT1_.num_agpr, 0
	.set _ZN7rocprim17ROCPRIM_400000_NS6detail17trampoline_kernelINS0_14default_configENS1_25partition_config_selectorILNS1_17partition_subalgoE6EjNS0_10empty_typeEbEEZZNS1_14partition_implILS5_6ELb0ES3_mN6thrust23THRUST_200600_302600_NS6detail15normal_iteratorINSA_10device_ptrIjEEEEPS6_SG_NS0_5tupleIJSF_S6_EEENSH_IJSG_SG_EEES6_PlJNSB_9not_fun_tI7is_trueIjEEEEEE10hipError_tPvRmT3_T4_T5_T6_T7_T9_mT8_P12ihipStream_tbDpT10_ENKUlT_T0_E_clISt17integral_constantIbLb0EES18_EEDaS13_S14_EUlS13_E_NS1_11comp_targetILNS1_3genE4ELNS1_11target_archE910ELNS1_3gpuE8ELNS1_3repE0EEENS1_30default_config_static_selectorELNS0_4arch9wavefront6targetE0EEEvT1_.numbered_sgpr, 0
	.set _ZN7rocprim17ROCPRIM_400000_NS6detail17trampoline_kernelINS0_14default_configENS1_25partition_config_selectorILNS1_17partition_subalgoE6EjNS0_10empty_typeEbEEZZNS1_14partition_implILS5_6ELb0ES3_mN6thrust23THRUST_200600_302600_NS6detail15normal_iteratorINSA_10device_ptrIjEEEEPS6_SG_NS0_5tupleIJSF_S6_EEENSH_IJSG_SG_EEES6_PlJNSB_9not_fun_tI7is_trueIjEEEEEE10hipError_tPvRmT3_T4_T5_T6_T7_T9_mT8_P12ihipStream_tbDpT10_ENKUlT_T0_E_clISt17integral_constantIbLb0EES18_EEDaS13_S14_EUlS13_E_NS1_11comp_targetILNS1_3genE4ELNS1_11target_archE910ELNS1_3gpuE8ELNS1_3repE0EEENS1_30default_config_static_selectorELNS0_4arch9wavefront6targetE0EEEvT1_.num_named_barrier, 0
	.set _ZN7rocprim17ROCPRIM_400000_NS6detail17trampoline_kernelINS0_14default_configENS1_25partition_config_selectorILNS1_17partition_subalgoE6EjNS0_10empty_typeEbEEZZNS1_14partition_implILS5_6ELb0ES3_mN6thrust23THRUST_200600_302600_NS6detail15normal_iteratorINSA_10device_ptrIjEEEEPS6_SG_NS0_5tupleIJSF_S6_EEENSH_IJSG_SG_EEES6_PlJNSB_9not_fun_tI7is_trueIjEEEEEE10hipError_tPvRmT3_T4_T5_T6_T7_T9_mT8_P12ihipStream_tbDpT10_ENKUlT_T0_E_clISt17integral_constantIbLb0EES18_EEDaS13_S14_EUlS13_E_NS1_11comp_targetILNS1_3genE4ELNS1_11target_archE910ELNS1_3gpuE8ELNS1_3repE0EEENS1_30default_config_static_selectorELNS0_4arch9wavefront6targetE0EEEvT1_.private_seg_size, 0
	.set _ZN7rocprim17ROCPRIM_400000_NS6detail17trampoline_kernelINS0_14default_configENS1_25partition_config_selectorILNS1_17partition_subalgoE6EjNS0_10empty_typeEbEEZZNS1_14partition_implILS5_6ELb0ES3_mN6thrust23THRUST_200600_302600_NS6detail15normal_iteratorINSA_10device_ptrIjEEEEPS6_SG_NS0_5tupleIJSF_S6_EEENSH_IJSG_SG_EEES6_PlJNSB_9not_fun_tI7is_trueIjEEEEEE10hipError_tPvRmT3_T4_T5_T6_T7_T9_mT8_P12ihipStream_tbDpT10_ENKUlT_T0_E_clISt17integral_constantIbLb0EES18_EEDaS13_S14_EUlS13_E_NS1_11comp_targetILNS1_3genE4ELNS1_11target_archE910ELNS1_3gpuE8ELNS1_3repE0EEENS1_30default_config_static_selectorELNS0_4arch9wavefront6targetE0EEEvT1_.uses_vcc, 0
	.set _ZN7rocprim17ROCPRIM_400000_NS6detail17trampoline_kernelINS0_14default_configENS1_25partition_config_selectorILNS1_17partition_subalgoE6EjNS0_10empty_typeEbEEZZNS1_14partition_implILS5_6ELb0ES3_mN6thrust23THRUST_200600_302600_NS6detail15normal_iteratorINSA_10device_ptrIjEEEEPS6_SG_NS0_5tupleIJSF_S6_EEENSH_IJSG_SG_EEES6_PlJNSB_9not_fun_tI7is_trueIjEEEEEE10hipError_tPvRmT3_T4_T5_T6_T7_T9_mT8_P12ihipStream_tbDpT10_ENKUlT_T0_E_clISt17integral_constantIbLb0EES18_EEDaS13_S14_EUlS13_E_NS1_11comp_targetILNS1_3genE4ELNS1_11target_archE910ELNS1_3gpuE8ELNS1_3repE0EEENS1_30default_config_static_selectorELNS0_4arch9wavefront6targetE0EEEvT1_.uses_flat_scratch, 0
	.set _ZN7rocprim17ROCPRIM_400000_NS6detail17trampoline_kernelINS0_14default_configENS1_25partition_config_selectorILNS1_17partition_subalgoE6EjNS0_10empty_typeEbEEZZNS1_14partition_implILS5_6ELb0ES3_mN6thrust23THRUST_200600_302600_NS6detail15normal_iteratorINSA_10device_ptrIjEEEEPS6_SG_NS0_5tupleIJSF_S6_EEENSH_IJSG_SG_EEES6_PlJNSB_9not_fun_tI7is_trueIjEEEEEE10hipError_tPvRmT3_T4_T5_T6_T7_T9_mT8_P12ihipStream_tbDpT10_ENKUlT_T0_E_clISt17integral_constantIbLb0EES18_EEDaS13_S14_EUlS13_E_NS1_11comp_targetILNS1_3genE4ELNS1_11target_archE910ELNS1_3gpuE8ELNS1_3repE0EEENS1_30default_config_static_selectorELNS0_4arch9wavefront6targetE0EEEvT1_.has_dyn_sized_stack, 0
	.set _ZN7rocprim17ROCPRIM_400000_NS6detail17trampoline_kernelINS0_14default_configENS1_25partition_config_selectorILNS1_17partition_subalgoE6EjNS0_10empty_typeEbEEZZNS1_14partition_implILS5_6ELb0ES3_mN6thrust23THRUST_200600_302600_NS6detail15normal_iteratorINSA_10device_ptrIjEEEEPS6_SG_NS0_5tupleIJSF_S6_EEENSH_IJSG_SG_EEES6_PlJNSB_9not_fun_tI7is_trueIjEEEEEE10hipError_tPvRmT3_T4_T5_T6_T7_T9_mT8_P12ihipStream_tbDpT10_ENKUlT_T0_E_clISt17integral_constantIbLb0EES18_EEDaS13_S14_EUlS13_E_NS1_11comp_targetILNS1_3genE4ELNS1_11target_archE910ELNS1_3gpuE8ELNS1_3repE0EEENS1_30default_config_static_selectorELNS0_4arch9wavefront6targetE0EEEvT1_.has_recursion, 0
	.set _ZN7rocprim17ROCPRIM_400000_NS6detail17trampoline_kernelINS0_14default_configENS1_25partition_config_selectorILNS1_17partition_subalgoE6EjNS0_10empty_typeEbEEZZNS1_14partition_implILS5_6ELb0ES3_mN6thrust23THRUST_200600_302600_NS6detail15normal_iteratorINSA_10device_ptrIjEEEEPS6_SG_NS0_5tupleIJSF_S6_EEENSH_IJSG_SG_EEES6_PlJNSB_9not_fun_tI7is_trueIjEEEEEE10hipError_tPvRmT3_T4_T5_T6_T7_T9_mT8_P12ihipStream_tbDpT10_ENKUlT_T0_E_clISt17integral_constantIbLb0EES18_EEDaS13_S14_EUlS13_E_NS1_11comp_targetILNS1_3genE4ELNS1_11target_archE910ELNS1_3gpuE8ELNS1_3repE0EEENS1_30default_config_static_selectorELNS0_4arch9wavefront6targetE0EEEvT1_.has_indirect_call, 0
	.section	.AMDGPU.csdata,"",@progbits
; Kernel info:
; codeLenInByte = 0
; TotalNumSgprs: 0
; NumVgprs: 0
; ScratchSize: 0
; MemoryBound: 0
; FloatMode: 240
; IeeeMode: 1
; LDSByteSize: 0 bytes/workgroup (compile time only)
; SGPRBlocks: 0
; VGPRBlocks: 0
; NumSGPRsForWavesPerEU: 1
; NumVGPRsForWavesPerEU: 1
; Occupancy: 16
; WaveLimiterHint : 0
; COMPUTE_PGM_RSRC2:SCRATCH_EN: 0
; COMPUTE_PGM_RSRC2:USER_SGPR: 2
; COMPUTE_PGM_RSRC2:TRAP_HANDLER: 0
; COMPUTE_PGM_RSRC2:TGID_X_EN: 1
; COMPUTE_PGM_RSRC2:TGID_Y_EN: 0
; COMPUTE_PGM_RSRC2:TGID_Z_EN: 0
; COMPUTE_PGM_RSRC2:TIDIG_COMP_CNT: 0
	.section	.text._ZN7rocprim17ROCPRIM_400000_NS6detail17trampoline_kernelINS0_14default_configENS1_25partition_config_selectorILNS1_17partition_subalgoE6EjNS0_10empty_typeEbEEZZNS1_14partition_implILS5_6ELb0ES3_mN6thrust23THRUST_200600_302600_NS6detail15normal_iteratorINSA_10device_ptrIjEEEEPS6_SG_NS0_5tupleIJSF_S6_EEENSH_IJSG_SG_EEES6_PlJNSB_9not_fun_tI7is_trueIjEEEEEE10hipError_tPvRmT3_T4_T5_T6_T7_T9_mT8_P12ihipStream_tbDpT10_ENKUlT_T0_E_clISt17integral_constantIbLb0EES18_EEDaS13_S14_EUlS13_E_NS1_11comp_targetILNS1_3genE3ELNS1_11target_archE908ELNS1_3gpuE7ELNS1_3repE0EEENS1_30default_config_static_selectorELNS0_4arch9wavefront6targetE0EEEvT1_,"axG",@progbits,_ZN7rocprim17ROCPRIM_400000_NS6detail17trampoline_kernelINS0_14default_configENS1_25partition_config_selectorILNS1_17partition_subalgoE6EjNS0_10empty_typeEbEEZZNS1_14partition_implILS5_6ELb0ES3_mN6thrust23THRUST_200600_302600_NS6detail15normal_iteratorINSA_10device_ptrIjEEEEPS6_SG_NS0_5tupleIJSF_S6_EEENSH_IJSG_SG_EEES6_PlJNSB_9not_fun_tI7is_trueIjEEEEEE10hipError_tPvRmT3_T4_T5_T6_T7_T9_mT8_P12ihipStream_tbDpT10_ENKUlT_T0_E_clISt17integral_constantIbLb0EES18_EEDaS13_S14_EUlS13_E_NS1_11comp_targetILNS1_3genE3ELNS1_11target_archE908ELNS1_3gpuE7ELNS1_3repE0EEENS1_30default_config_static_selectorELNS0_4arch9wavefront6targetE0EEEvT1_,comdat
	.protected	_ZN7rocprim17ROCPRIM_400000_NS6detail17trampoline_kernelINS0_14default_configENS1_25partition_config_selectorILNS1_17partition_subalgoE6EjNS0_10empty_typeEbEEZZNS1_14partition_implILS5_6ELb0ES3_mN6thrust23THRUST_200600_302600_NS6detail15normal_iteratorINSA_10device_ptrIjEEEEPS6_SG_NS0_5tupleIJSF_S6_EEENSH_IJSG_SG_EEES6_PlJNSB_9not_fun_tI7is_trueIjEEEEEE10hipError_tPvRmT3_T4_T5_T6_T7_T9_mT8_P12ihipStream_tbDpT10_ENKUlT_T0_E_clISt17integral_constantIbLb0EES18_EEDaS13_S14_EUlS13_E_NS1_11comp_targetILNS1_3genE3ELNS1_11target_archE908ELNS1_3gpuE7ELNS1_3repE0EEENS1_30default_config_static_selectorELNS0_4arch9wavefront6targetE0EEEvT1_ ; -- Begin function _ZN7rocprim17ROCPRIM_400000_NS6detail17trampoline_kernelINS0_14default_configENS1_25partition_config_selectorILNS1_17partition_subalgoE6EjNS0_10empty_typeEbEEZZNS1_14partition_implILS5_6ELb0ES3_mN6thrust23THRUST_200600_302600_NS6detail15normal_iteratorINSA_10device_ptrIjEEEEPS6_SG_NS0_5tupleIJSF_S6_EEENSH_IJSG_SG_EEES6_PlJNSB_9not_fun_tI7is_trueIjEEEEEE10hipError_tPvRmT3_T4_T5_T6_T7_T9_mT8_P12ihipStream_tbDpT10_ENKUlT_T0_E_clISt17integral_constantIbLb0EES18_EEDaS13_S14_EUlS13_E_NS1_11comp_targetILNS1_3genE3ELNS1_11target_archE908ELNS1_3gpuE7ELNS1_3repE0EEENS1_30default_config_static_selectorELNS0_4arch9wavefront6targetE0EEEvT1_
	.globl	_ZN7rocprim17ROCPRIM_400000_NS6detail17trampoline_kernelINS0_14default_configENS1_25partition_config_selectorILNS1_17partition_subalgoE6EjNS0_10empty_typeEbEEZZNS1_14partition_implILS5_6ELb0ES3_mN6thrust23THRUST_200600_302600_NS6detail15normal_iteratorINSA_10device_ptrIjEEEEPS6_SG_NS0_5tupleIJSF_S6_EEENSH_IJSG_SG_EEES6_PlJNSB_9not_fun_tI7is_trueIjEEEEEE10hipError_tPvRmT3_T4_T5_T6_T7_T9_mT8_P12ihipStream_tbDpT10_ENKUlT_T0_E_clISt17integral_constantIbLb0EES18_EEDaS13_S14_EUlS13_E_NS1_11comp_targetILNS1_3genE3ELNS1_11target_archE908ELNS1_3gpuE7ELNS1_3repE0EEENS1_30default_config_static_selectorELNS0_4arch9wavefront6targetE0EEEvT1_
	.p2align	8
	.type	_ZN7rocprim17ROCPRIM_400000_NS6detail17trampoline_kernelINS0_14default_configENS1_25partition_config_selectorILNS1_17partition_subalgoE6EjNS0_10empty_typeEbEEZZNS1_14partition_implILS5_6ELb0ES3_mN6thrust23THRUST_200600_302600_NS6detail15normal_iteratorINSA_10device_ptrIjEEEEPS6_SG_NS0_5tupleIJSF_S6_EEENSH_IJSG_SG_EEES6_PlJNSB_9not_fun_tI7is_trueIjEEEEEE10hipError_tPvRmT3_T4_T5_T6_T7_T9_mT8_P12ihipStream_tbDpT10_ENKUlT_T0_E_clISt17integral_constantIbLb0EES18_EEDaS13_S14_EUlS13_E_NS1_11comp_targetILNS1_3genE3ELNS1_11target_archE908ELNS1_3gpuE7ELNS1_3repE0EEENS1_30default_config_static_selectorELNS0_4arch9wavefront6targetE0EEEvT1_,@function
_ZN7rocprim17ROCPRIM_400000_NS6detail17trampoline_kernelINS0_14default_configENS1_25partition_config_selectorILNS1_17partition_subalgoE6EjNS0_10empty_typeEbEEZZNS1_14partition_implILS5_6ELb0ES3_mN6thrust23THRUST_200600_302600_NS6detail15normal_iteratorINSA_10device_ptrIjEEEEPS6_SG_NS0_5tupleIJSF_S6_EEENSH_IJSG_SG_EEES6_PlJNSB_9not_fun_tI7is_trueIjEEEEEE10hipError_tPvRmT3_T4_T5_T6_T7_T9_mT8_P12ihipStream_tbDpT10_ENKUlT_T0_E_clISt17integral_constantIbLb0EES18_EEDaS13_S14_EUlS13_E_NS1_11comp_targetILNS1_3genE3ELNS1_11target_archE908ELNS1_3gpuE7ELNS1_3repE0EEENS1_30default_config_static_selectorELNS0_4arch9wavefront6targetE0EEEvT1_: ; @_ZN7rocprim17ROCPRIM_400000_NS6detail17trampoline_kernelINS0_14default_configENS1_25partition_config_selectorILNS1_17partition_subalgoE6EjNS0_10empty_typeEbEEZZNS1_14partition_implILS5_6ELb0ES3_mN6thrust23THRUST_200600_302600_NS6detail15normal_iteratorINSA_10device_ptrIjEEEEPS6_SG_NS0_5tupleIJSF_S6_EEENSH_IJSG_SG_EEES6_PlJNSB_9not_fun_tI7is_trueIjEEEEEE10hipError_tPvRmT3_T4_T5_T6_T7_T9_mT8_P12ihipStream_tbDpT10_ENKUlT_T0_E_clISt17integral_constantIbLb0EES18_EEDaS13_S14_EUlS13_E_NS1_11comp_targetILNS1_3genE3ELNS1_11target_archE908ELNS1_3gpuE7ELNS1_3repE0EEENS1_30default_config_static_selectorELNS0_4arch9wavefront6targetE0EEEvT1_
; %bb.0:
	.section	.rodata,"a",@progbits
	.p2align	6, 0x0
	.amdhsa_kernel _ZN7rocprim17ROCPRIM_400000_NS6detail17trampoline_kernelINS0_14default_configENS1_25partition_config_selectorILNS1_17partition_subalgoE6EjNS0_10empty_typeEbEEZZNS1_14partition_implILS5_6ELb0ES3_mN6thrust23THRUST_200600_302600_NS6detail15normal_iteratorINSA_10device_ptrIjEEEEPS6_SG_NS0_5tupleIJSF_S6_EEENSH_IJSG_SG_EEES6_PlJNSB_9not_fun_tI7is_trueIjEEEEEE10hipError_tPvRmT3_T4_T5_T6_T7_T9_mT8_P12ihipStream_tbDpT10_ENKUlT_T0_E_clISt17integral_constantIbLb0EES18_EEDaS13_S14_EUlS13_E_NS1_11comp_targetILNS1_3genE3ELNS1_11target_archE908ELNS1_3gpuE7ELNS1_3repE0EEENS1_30default_config_static_selectorELNS0_4arch9wavefront6targetE0EEEvT1_
		.amdhsa_group_segment_fixed_size 0
		.amdhsa_private_segment_fixed_size 0
		.amdhsa_kernarg_size 112
		.amdhsa_user_sgpr_count 2
		.amdhsa_user_sgpr_dispatch_ptr 0
		.amdhsa_user_sgpr_queue_ptr 0
		.amdhsa_user_sgpr_kernarg_segment_ptr 1
		.amdhsa_user_sgpr_dispatch_id 0
		.amdhsa_user_sgpr_private_segment_size 0
		.amdhsa_wavefront_size32 1
		.amdhsa_uses_dynamic_stack 0
		.amdhsa_enable_private_segment 0
		.amdhsa_system_sgpr_workgroup_id_x 1
		.amdhsa_system_sgpr_workgroup_id_y 0
		.amdhsa_system_sgpr_workgroup_id_z 0
		.amdhsa_system_sgpr_workgroup_info 0
		.amdhsa_system_vgpr_workitem_id 0
		.amdhsa_next_free_vgpr 1
		.amdhsa_next_free_sgpr 1
		.amdhsa_reserve_vcc 0
		.amdhsa_float_round_mode_32 0
		.amdhsa_float_round_mode_16_64 0
		.amdhsa_float_denorm_mode_32 3
		.amdhsa_float_denorm_mode_16_64 3
		.amdhsa_fp16_overflow 0
		.amdhsa_workgroup_processor_mode 1
		.amdhsa_memory_ordered 1
		.amdhsa_forward_progress 1
		.amdhsa_inst_pref_size 0
		.amdhsa_round_robin_scheduling 0
		.amdhsa_exception_fp_ieee_invalid_op 0
		.amdhsa_exception_fp_denorm_src 0
		.amdhsa_exception_fp_ieee_div_zero 0
		.amdhsa_exception_fp_ieee_overflow 0
		.amdhsa_exception_fp_ieee_underflow 0
		.amdhsa_exception_fp_ieee_inexact 0
		.amdhsa_exception_int_div_zero 0
	.end_amdhsa_kernel
	.section	.text._ZN7rocprim17ROCPRIM_400000_NS6detail17trampoline_kernelINS0_14default_configENS1_25partition_config_selectorILNS1_17partition_subalgoE6EjNS0_10empty_typeEbEEZZNS1_14partition_implILS5_6ELb0ES3_mN6thrust23THRUST_200600_302600_NS6detail15normal_iteratorINSA_10device_ptrIjEEEEPS6_SG_NS0_5tupleIJSF_S6_EEENSH_IJSG_SG_EEES6_PlJNSB_9not_fun_tI7is_trueIjEEEEEE10hipError_tPvRmT3_T4_T5_T6_T7_T9_mT8_P12ihipStream_tbDpT10_ENKUlT_T0_E_clISt17integral_constantIbLb0EES18_EEDaS13_S14_EUlS13_E_NS1_11comp_targetILNS1_3genE3ELNS1_11target_archE908ELNS1_3gpuE7ELNS1_3repE0EEENS1_30default_config_static_selectorELNS0_4arch9wavefront6targetE0EEEvT1_,"axG",@progbits,_ZN7rocprim17ROCPRIM_400000_NS6detail17trampoline_kernelINS0_14default_configENS1_25partition_config_selectorILNS1_17partition_subalgoE6EjNS0_10empty_typeEbEEZZNS1_14partition_implILS5_6ELb0ES3_mN6thrust23THRUST_200600_302600_NS6detail15normal_iteratorINSA_10device_ptrIjEEEEPS6_SG_NS0_5tupleIJSF_S6_EEENSH_IJSG_SG_EEES6_PlJNSB_9not_fun_tI7is_trueIjEEEEEE10hipError_tPvRmT3_T4_T5_T6_T7_T9_mT8_P12ihipStream_tbDpT10_ENKUlT_T0_E_clISt17integral_constantIbLb0EES18_EEDaS13_S14_EUlS13_E_NS1_11comp_targetILNS1_3genE3ELNS1_11target_archE908ELNS1_3gpuE7ELNS1_3repE0EEENS1_30default_config_static_selectorELNS0_4arch9wavefront6targetE0EEEvT1_,comdat
.Lfunc_end1144:
	.size	_ZN7rocprim17ROCPRIM_400000_NS6detail17trampoline_kernelINS0_14default_configENS1_25partition_config_selectorILNS1_17partition_subalgoE6EjNS0_10empty_typeEbEEZZNS1_14partition_implILS5_6ELb0ES3_mN6thrust23THRUST_200600_302600_NS6detail15normal_iteratorINSA_10device_ptrIjEEEEPS6_SG_NS0_5tupleIJSF_S6_EEENSH_IJSG_SG_EEES6_PlJNSB_9not_fun_tI7is_trueIjEEEEEE10hipError_tPvRmT3_T4_T5_T6_T7_T9_mT8_P12ihipStream_tbDpT10_ENKUlT_T0_E_clISt17integral_constantIbLb0EES18_EEDaS13_S14_EUlS13_E_NS1_11comp_targetILNS1_3genE3ELNS1_11target_archE908ELNS1_3gpuE7ELNS1_3repE0EEENS1_30default_config_static_selectorELNS0_4arch9wavefront6targetE0EEEvT1_, .Lfunc_end1144-_ZN7rocprim17ROCPRIM_400000_NS6detail17trampoline_kernelINS0_14default_configENS1_25partition_config_selectorILNS1_17partition_subalgoE6EjNS0_10empty_typeEbEEZZNS1_14partition_implILS5_6ELb0ES3_mN6thrust23THRUST_200600_302600_NS6detail15normal_iteratorINSA_10device_ptrIjEEEEPS6_SG_NS0_5tupleIJSF_S6_EEENSH_IJSG_SG_EEES6_PlJNSB_9not_fun_tI7is_trueIjEEEEEE10hipError_tPvRmT3_T4_T5_T6_T7_T9_mT8_P12ihipStream_tbDpT10_ENKUlT_T0_E_clISt17integral_constantIbLb0EES18_EEDaS13_S14_EUlS13_E_NS1_11comp_targetILNS1_3genE3ELNS1_11target_archE908ELNS1_3gpuE7ELNS1_3repE0EEENS1_30default_config_static_selectorELNS0_4arch9wavefront6targetE0EEEvT1_
                                        ; -- End function
	.set _ZN7rocprim17ROCPRIM_400000_NS6detail17trampoline_kernelINS0_14default_configENS1_25partition_config_selectorILNS1_17partition_subalgoE6EjNS0_10empty_typeEbEEZZNS1_14partition_implILS5_6ELb0ES3_mN6thrust23THRUST_200600_302600_NS6detail15normal_iteratorINSA_10device_ptrIjEEEEPS6_SG_NS0_5tupleIJSF_S6_EEENSH_IJSG_SG_EEES6_PlJNSB_9not_fun_tI7is_trueIjEEEEEE10hipError_tPvRmT3_T4_T5_T6_T7_T9_mT8_P12ihipStream_tbDpT10_ENKUlT_T0_E_clISt17integral_constantIbLb0EES18_EEDaS13_S14_EUlS13_E_NS1_11comp_targetILNS1_3genE3ELNS1_11target_archE908ELNS1_3gpuE7ELNS1_3repE0EEENS1_30default_config_static_selectorELNS0_4arch9wavefront6targetE0EEEvT1_.num_vgpr, 0
	.set _ZN7rocprim17ROCPRIM_400000_NS6detail17trampoline_kernelINS0_14default_configENS1_25partition_config_selectorILNS1_17partition_subalgoE6EjNS0_10empty_typeEbEEZZNS1_14partition_implILS5_6ELb0ES3_mN6thrust23THRUST_200600_302600_NS6detail15normal_iteratorINSA_10device_ptrIjEEEEPS6_SG_NS0_5tupleIJSF_S6_EEENSH_IJSG_SG_EEES6_PlJNSB_9not_fun_tI7is_trueIjEEEEEE10hipError_tPvRmT3_T4_T5_T6_T7_T9_mT8_P12ihipStream_tbDpT10_ENKUlT_T0_E_clISt17integral_constantIbLb0EES18_EEDaS13_S14_EUlS13_E_NS1_11comp_targetILNS1_3genE3ELNS1_11target_archE908ELNS1_3gpuE7ELNS1_3repE0EEENS1_30default_config_static_selectorELNS0_4arch9wavefront6targetE0EEEvT1_.num_agpr, 0
	.set _ZN7rocprim17ROCPRIM_400000_NS6detail17trampoline_kernelINS0_14default_configENS1_25partition_config_selectorILNS1_17partition_subalgoE6EjNS0_10empty_typeEbEEZZNS1_14partition_implILS5_6ELb0ES3_mN6thrust23THRUST_200600_302600_NS6detail15normal_iteratorINSA_10device_ptrIjEEEEPS6_SG_NS0_5tupleIJSF_S6_EEENSH_IJSG_SG_EEES6_PlJNSB_9not_fun_tI7is_trueIjEEEEEE10hipError_tPvRmT3_T4_T5_T6_T7_T9_mT8_P12ihipStream_tbDpT10_ENKUlT_T0_E_clISt17integral_constantIbLb0EES18_EEDaS13_S14_EUlS13_E_NS1_11comp_targetILNS1_3genE3ELNS1_11target_archE908ELNS1_3gpuE7ELNS1_3repE0EEENS1_30default_config_static_selectorELNS0_4arch9wavefront6targetE0EEEvT1_.numbered_sgpr, 0
	.set _ZN7rocprim17ROCPRIM_400000_NS6detail17trampoline_kernelINS0_14default_configENS1_25partition_config_selectorILNS1_17partition_subalgoE6EjNS0_10empty_typeEbEEZZNS1_14partition_implILS5_6ELb0ES3_mN6thrust23THRUST_200600_302600_NS6detail15normal_iteratorINSA_10device_ptrIjEEEEPS6_SG_NS0_5tupleIJSF_S6_EEENSH_IJSG_SG_EEES6_PlJNSB_9not_fun_tI7is_trueIjEEEEEE10hipError_tPvRmT3_T4_T5_T6_T7_T9_mT8_P12ihipStream_tbDpT10_ENKUlT_T0_E_clISt17integral_constantIbLb0EES18_EEDaS13_S14_EUlS13_E_NS1_11comp_targetILNS1_3genE3ELNS1_11target_archE908ELNS1_3gpuE7ELNS1_3repE0EEENS1_30default_config_static_selectorELNS0_4arch9wavefront6targetE0EEEvT1_.num_named_barrier, 0
	.set _ZN7rocprim17ROCPRIM_400000_NS6detail17trampoline_kernelINS0_14default_configENS1_25partition_config_selectorILNS1_17partition_subalgoE6EjNS0_10empty_typeEbEEZZNS1_14partition_implILS5_6ELb0ES3_mN6thrust23THRUST_200600_302600_NS6detail15normal_iteratorINSA_10device_ptrIjEEEEPS6_SG_NS0_5tupleIJSF_S6_EEENSH_IJSG_SG_EEES6_PlJNSB_9not_fun_tI7is_trueIjEEEEEE10hipError_tPvRmT3_T4_T5_T6_T7_T9_mT8_P12ihipStream_tbDpT10_ENKUlT_T0_E_clISt17integral_constantIbLb0EES18_EEDaS13_S14_EUlS13_E_NS1_11comp_targetILNS1_3genE3ELNS1_11target_archE908ELNS1_3gpuE7ELNS1_3repE0EEENS1_30default_config_static_selectorELNS0_4arch9wavefront6targetE0EEEvT1_.private_seg_size, 0
	.set _ZN7rocprim17ROCPRIM_400000_NS6detail17trampoline_kernelINS0_14default_configENS1_25partition_config_selectorILNS1_17partition_subalgoE6EjNS0_10empty_typeEbEEZZNS1_14partition_implILS5_6ELb0ES3_mN6thrust23THRUST_200600_302600_NS6detail15normal_iteratorINSA_10device_ptrIjEEEEPS6_SG_NS0_5tupleIJSF_S6_EEENSH_IJSG_SG_EEES6_PlJNSB_9not_fun_tI7is_trueIjEEEEEE10hipError_tPvRmT3_T4_T5_T6_T7_T9_mT8_P12ihipStream_tbDpT10_ENKUlT_T0_E_clISt17integral_constantIbLb0EES18_EEDaS13_S14_EUlS13_E_NS1_11comp_targetILNS1_3genE3ELNS1_11target_archE908ELNS1_3gpuE7ELNS1_3repE0EEENS1_30default_config_static_selectorELNS0_4arch9wavefront6targetE0EEEvT1_.uses_vcc, 0
	.set _ZN7rocprim17ROCPRIM_400000_NS6detail17trampoline_kernelINS0_14default_configENS1_25partition_config_selectorILNS1_17partition_subalgoE6EjNS0_10empty_typeEbEEZZNS1_14partition_implILS5_6ELb0ES3_mN6thrust23THRUST_200600_302600_NS6detail15normal_iteratorINSA_10device_ptrIjEEEEPS6_SG_NS0_5tupleIJSF_S6_EEENSH_IJSG_SG_EEES6_PlJNSB_9not_fun_tI7is_trueIjEEEEEE10hipError_tPvRmT3_T4_T5_T6_T7_T9_mT8_P12ihipStream_tbDpT10_ENKUlT_T0_E_clISt17integral_constantIbLb0EES18_EEDaS13_S14_EUlS13_E_NS1_11comp_targetILNS1_3genE3ELNS1_11target_archE908ELNS1_3gpuE7ELNS1_3repE0EEENS1_30default_config_static_selectorELNS0_4arch9wavefront6targetE0EEEvT1_.uses_flat_scratch, 0
	.set _ZN7rocprim17ROCPRIM_400000_NS6detail17trampoline_kernelINS0_14default_configENS1_25partition_config_selectorILNS1_17partition_subalgoE6EjNS0_10empty_typeEbEEZZNS1_14partition_implILS5_6ELb0ES3_mN6thrust23THRUST_200600_302600_NS6detail15normal_iteratorINSA_10device_ptrIjEEEEPS6_SG_NS0_5tupleIJSF_S6_EEENSH_IJSG_SG_EEES6_PlJNSB_9not_fun_tI7is_trueIjEEEEEE10hipError_tPvRmT3_T4_T5_T6_T7_T9_mT8_P12ihipStream_tbDpT10_ENKUlT_T0_E_clISt17integral_constantIbLb0EES18_EEDaS13_S14_EUlS13_E_NS1_11comp_targetILNS1_3genE3ELNS1_11target_archE908ELNS1_3gpuE7ELNS1_3repE0EEENS1_30default_config_static_selectorELNS0_4arch9wavefront6targetE0EEEvT1_.has_dyn_sized_stack, 0
	.set _ZN7rocprim17ROCPRIM_400000_NS6detail17trampoline_kernelINS0_14default_configENS1_25partition_config_selectorILNS1_17partition_subalgoE6EjNS0_10empty_typeEbEEZZNS1_14partition_implILS5_6ELb0ES3_mN6thrust23THRUST_200600_302600_NS6detail15normal_iteratorINSA_10device_ptrIjEEEEPS6_SG_NS0_5tupleIJSF_S6_EEENSH_IJSG_SG_EEES6_PlJNSB_9not_fun_tI7is_trueIjEEEEEE10hipError_tPvRmT3_T4_T5_T6_T7_T9_mT8_P12ihipStream_tbDpT10_ENKUlT_T0_E_clISt17integral_constantIbLb0EES18_EEDaS13_S14_EUlS13_E_NS1_11comp_targetILNS1_3genE3ELNS1_11target_archE908ELNS1_3gpuE7ELNS1_3repE0EEENS1_30default_config_static_selectorELNS0_4arch9wavefront6targetE0EEEvT1_.has_recursion, 0
	.set _ZN7rocprim17ROCPRIM_400000_NS6detail17trampoline_kernelINS0_14default_configENS1_25partition_config_selectorILNS1_17partition_subalgoE6EjNS0_10empty_typeEbEEZZNS1_14partition_implILS5_6ELb0ES3_mN6thrust23THRUST_200600_302600_NS6detail15normal_iteratorINSA_10device_ptrIjEEEEPS6_SG_NS0_5tupleIJSF_S6_EEENSH_IJSG_SG_EEES6_PlJNSB_9not_fun_tI7is_trueIjEEEEEE10hipError_tPvRmT3_T4_T5_T6_T7_T9_mT8_P12ihipStream_tbDpT10_ENKUlT_T0_E_clISt17integral_constantIbLb0EES18_EEDaS13_S14_EUlS13_E_NS1_11comp_targetILNS1_3genE3ELNS1_11target_archE908ELNS1_3gpuE7ELNS1_3repE0EEENS1_30default_config_static_selectorELNS0_4arch9wavefront6targetE0EEEvT1_.has_indirect_call, 0
	.section	.AMDGPU.csdata,"",@progbits
; Kernel info:
; codeLenInByte = 0
; TotalNumSgprs: 0
; NumVgprs: 0
; ScratchSize: 0
; MemoryBound: 0
; FloatMode: 240
; IeeeMode: 1
; LDSByteSize: 0 bytes/workgroup (compile time only)
; SGPRBlocks: 0
; VGPRBlocks: 0
; NumSGPRsForWavesPerEU: 1
; NumVGPRsForWavesPerEU: 1
; Occupancy: 16
; WaveLimiterHint : 0
; COMPUTE_PGM_RSRC2:SCRATCH_EN: 0
; COMPUTE_PGM_RSRC2:USER_SGPR: 2
; COMPUTE_PGM_RSRC2:TRAP_HANDLER: 0
; COMPUTE_PGM_RSRC2:TGID_X_EN: 1
; COMPUTE_PGM_RSRC2:TGID_Y_EN: 0
; COMPUTE_PGM_RSRC2:TGID_Z_EN: 0
; COMPUTE_PGM_RSRC2:TIDIG_COMP_CNT: 0
	.section	.text._ZN7rocprim17ROCPRIM_400000_NS6detail17trampoline_kernelINS0_14default_configENS1_25partition_config_selectorILNS1_17partition_subalgoE6EjNS0_10empty_typeEbEEZZNS1_14partition_implILS5_6ELb0ES3_mN6thrust23THRUST_200600_302600_NS6detail15normal_iteratorINSA_10device_ptrIjEEEEPS6_SG_NS0_5tupleIJSF_S6_EEENSH_IJSG_SG_EEES6_PlJNSB_9not_fun_tI7is_trueIjEEEEEE10hipError_tPvRmT3_T4_T5_T6_T7_T9_mT8_P12ihipStream_tbDpT10_ENKUlT_T0_E_clISt17integral_constantIbLb0EES18_EEDaS13_S14_EUlS13_E_NS1_11comp_targetILNS1_3genE2ELNS1_11target_archE906ELNS1_3gpuE6ELNS1_3repE0EEENS1_30default_config_static_selectorELNS0_4arch9wavefront6targetE0EEEvT1_,"axG",@progbits,_ZN7rocprim17ROCPRIM_400000_NS6detail17trampoline_kernelINS0_14default_configENS1_25partition_config_selectorILNS1_17partition_subalgoE6EjNS0_10empty_typeEbEEZZNS1_14partition_implILS5_6ELb0ES3_mN6thrust23THRUST_200600_302600_NS6detail15normal_iteratorINSA_10device_ptrIjEEEEPS6_SG_NS0_5tupleIJSF_S6_EEENSH_IJSG_SG_EEES6_PlJNSB_9not_fun_tI7is_trueIjEEEEEE10hipError_tPvRmT3_T4_T5_T6_T7_T9_mT8_P12ihipStream_tbDpT10_ENKUlT_T0_E_clISt17integral_constantIbLb0EES18_EEDaS13_S14_EUlS13_E_NS1_11comp_targetILNS1_3genE2ELNS1_11target_archE906ELNS1_3gpuE6ELNS1_3repE0EEENS1_30default_config_static_selectorELNS0_4arch9wavefront6targetE0EEEvT1_,comdat
	.protected	_ZN7rocprim17ROCPRIM_400000_NS6detail17trampoline_kernelINS0_14default_configENS1_25partition_config_selectorILNS1_17partition_subalgoE6EjNS0_10empty_typeEbEEZZNS1_14partition_implILS5_6ELb0ES3_mN6thrust23THRUST_200600_302600_NS6detail15normal_iteratorINSA_10device_ptrIjEEEEPS6_SG_NS0_5tupleIJSF_S6_EEENSH_IJSG_SG_EEES6_PlJNSB_9not_fun_tI7is_trueIjEEEEEE10hipError_tPvRmT3_T4_T5_T6_T7_T9_mT8_P12ihipStream_tbDpT10_ENKUlT_T0_E_clISt17integral_constantIbLb0EES18_EEDaS13_S14_EUlS13_E_NS1_11comp_targetILNS1_3genE2ELNS1_11target_archE906ELNS1_3gpuE6ELNS1_3repE0EEENS1_30default_config_static_selectorELNS0_4arch9wavefront6targetE0EEEvT1_ ; -- Begin function _ZN7rocprim17ROCPRIM_400000_NS6detail17trampoline_kernelINS0_14default_configENS1_25partition_config_selectorILNS1_17partition_subalgoE6EjNS0_10empty_typeEbEEZZNS1_14partition_implILS5_6ELb0ES3_mN6thrust23THRUST_200600_302600_NS6detail15normal_iteratorINSA_10device_ptrIjEEEEPS6_SG_NS0_5tupleIJSF_S6_EEENSH_IJSG_SG_EEES6_PlJNSB_9not_fun_tI7is_trueIjEEEEEE10hipError_tPvRmT3_T4_T5_T6_T7_T9_mT8_P12ihipStream_tbDpT10_ENKUlT_T0_E_clISt17integral_constantIbLb0EES18_EEDaS13_S14_EUlS13_E_NS1_11comp_targetILNS1_3genE2ELNS1_11target_archE906ELNS1_3gpuE6ELNS1_3repE0EEENS1_30default_config_static_selectorELNS0_4arch9wavefront6targetE0EEEvT1_
	.globl	_ZN7rocprim17ROCPRIM_400000_NS6detail17trampoline_kernelINS0_14default_configENS1_25partition_config_selectorILNS1_17partition_subalgoE6EjNS0_10empty_typeEbEEZZNS1_14partition_implILS5_6ELb0ES3_mN6thrust23THRUST_200600_302600_NS6detail15normal_iteratorINSA_10device_ptrIjEEEEPS6_SG_NS0_5tupleIJSF_S6_EEENSH_IJSG_SG_EEES6_PlJNSB_9not_fun_tI7is_trueIjEEEEEE10hipError_tPvRmT3_T4_T5_T6_T7_T9_mT8_P12ihipStream_tbDpT10_ENKUlT_T0_E_clISt17integral_constantIbLb0EES18_EEDaS13_S14_EUlS13_E_NS1_11comp_targetILNS1_3genE2ELNS1_11target_archE906ELNS1_3gpuE6ELNS1_3repE0EEENS1_30default_config_static_selectorELNS0_4arch9wavefront6targetE0EEEvT1_
	.p2align	8
	.type	_ZN7rocprim17ROCPRIM_400000_NS6detail17trampoline_kernelINS0_14default_configENS1_25partition_config_selectorILNS1_17partition_subalgoE6EjNS0_10empty_typeEbEEZZNS1_14partition_implILS5_6ELb0ES3_mN6thrust23THRUST_200600_302600_NS6detail15normal_iteratorINSA_10device_ptrIjEEEEPS6_SG_NS0_5tupleIJSF_S6_EEENSH_IJSG_SG_EEES6_PlJNSB_9not_fun_tI7is_trueIjEEEEEE10hipError_tPvRmT3_T4_T5_T6_T7_T9_mT8_P12ihipStream_tbDpT10_ENKUlT_T0_E_clISt17integral_constantIbLb0EES18_EEDaS13_S14_EUlS13_E_NS1_11comp_targetILNS1_3genE2ELNS1_11target_archE906ELNS1_3gpuE6ELNS1_3repE0EEENS1_30default_config_static_selectorELNS0_4arch9wavefront6targetE0EEEvT1_,@function
_ZN7rocprim17ROCPRIM_400000_NS6detail17trampoline_kernelINS0_14default_configENS1_25partition_config_selectorILNS1_17partition_subalgoE6EjNS0_10empty_typeEbEEZZNS1_14partition_implILS5_6ELb0ES3_mN6thrust23THRUST_200600_302600_NS6detail15normal_iteratorINSA_10device_ptrIjEEEEPS6_SG_NS0_5tupleIJSF_S6_EEENSH_IJSG_SG_EEES6_PlJNSB_9not_fun_tI7is_trueIjEEEEEE10hipError_tPvRmT3_T4_T5_T6_T7_T9_mT8_P12ihipStream_tbDpT10_ENKUlT_T0_E_clISt17integral_constantIbLb0EES18_EEDaS13_S14_EUlS13_E_NS1_11comp_targetILNS1_3genE2ELNS1_11target_archE906ELNS1_3gpuE6ELNS1_3repE0EEENS1_30default_config_static_selectorELNS0_4arch9wavefront6targetE0EEEvT1_: ; @_ZN7rocprim17ROCPRIM_400000_NS6detail17trampoline_kernelINS0_14default_configENS1_25partition_config_selectorILNS1_17partition_subalgoE6EjNS0_10empty_typeEbEEZZNS1_14partition_implILS5_6ELb0ES3_mN6thrust23THRUST_200600_302600_NS6detail15normal_iteratorINSA_10device_ptrIjEEEEPS6_SG_NS0_5tupleIJSF_S6_EEENSH_IJSG_SG_EEES6_PlJNSB_9not_fun_tI7is_trueIjEEEEEE10hipError_tPvRmT3_T4_T5_T6_T7_T9_mT8_P12ihipStream_tbDpT10_ENKUlT_T0_E_clISt17integral_constantIbLb0EES18_EEDaS13_S14_EUlS13_E_NS1_11comp_targetILNS1_3genE2ELNS1_11target_archE906ELNS1_3gpuE6ELNS1_3repE0EEENS1_30default_config_static_selectorELNS0_4arch9wavefront6targetE0EEEvT1_
; %bb.0:
	.section	.rodata,"a",@progbits
	.p2align	6, 0x0
	.amdhsa_kernel _ZN7rocprim17ROCPRIM_400000_NS6detail17trampoline_kernelINS0_14default_configENS1_25partition_config_selectorILNS1_17partition_subalgoE6EjNS0_10empty_typeEbEEZZNS1_14partition_implILS5_6ELb0ES3_mN6thrust23THRUST_200600_302600_NS6detail15normal_iteratorINSA_10device_ptrIjEEEEPS6_SG_NS0_5tupleIJSF_S6_EEENSH_IJSG_SG_EEES6_PlJNSB_9not_fun_tI7is_trueIjEEEEEE10hipError_tPvRmT3_T4_T5_T6_T7_T9_mT8_P12ihipStream_tbDpT10_ENKUlT_T0_E_clISt17integral_constantIbLb0EES18_EEDaS13_S14_EUlS13_E_NS1_11comp_targetILNS1_3genE2ELNS1_11target_archE906ELNS1_3gpuE6ELNS1_3repE0EEENS1_30default_config_static_selectorELNS0_4arch9wavefront6targetE0EEEvT1_
		.amdhsa_group_segment_fixed_size 0
		.amdhsa_private_segment_fixed_size 0
		.amdhsa_kernarg_size 112
		.amdhsa_user_sgpr_count 2
		.amdhsa_user_sgpr_dispatch_ptr 0
		.amdhsa_user_sgpr_queue_ptr 0
		.amdhsa_user_sgpr_kernarg_segment_ptr 1
		.amdhsa_user_sgpr_dispatch_id 0
		.amdhsa_user_sgpr_private_segment_size 0
		.amdhsa_wavefront_size32 1
		.amdhsa_uses_dynamic_stack 0
		.amdhsa_enable_private_segment 0
		.amdhsa_system_sgpr_workgroup_id_x 1
		.amdhsa_system_sgpr_workgroup_id_y 0
		.amdhsa_system_sgpr_workgroup_id_z 0
		.amdhsa_system_sgpr_workgroup_info 0
		.amdhsa_system_vgpr_workitem_id 0
		.amdhsa_next_free_vgpr 1
		.amdhsa_next_free_sgpr 1
		.amdhsa_reserve_vcc 0
		.amdhsa_float_round_mode_32 0
		.amdhsa_float_round_mode_16_64 0
		.amdhsa_float_denorm_mode_32 3
		.amdhsa_float_denorm_mode_16_64 3
		.amdhsa_fp16_overflow 0
		.amdhsa_workgroup_processor_mode 1
		.amdhsa_memory_ordered 1
		.amdhsa_forward_progress 1
		.amdhsa_inst_pref_size 0
		.amdhsa_round_robin_scheduling 0
		.amdhsa_exception_fp_ieee_invalid_op 0
		.amdhsa_exception_fp_denorm_src 0
		.amdhsa_exception_fp_ieee_div_zero 0
		.amdhsa_exception_fp_ieee_overflow 0
		.amdhsa_exception_fp_ieee_underflow 0
		.amdhsa_exception_fp_ieee_inexact 0
		.amdhsa_exception_int_div_zero 0
	.end_amdhsa_kernel
	.section	.text._ZN7rocprim17ROCPRIM_400000_NS6detail17trampoline_kernelINS0_14default_configENS1_25partition_config_selectorILNS1_17partition_subalgoE6EjNS0_10empty_typeEbEEZZNS1_14partition_implILS5_6ELb0ES3_mN6thrust23THRUST_200600_302600_NS6detail15normal_iteratorINSA_10device_ptrIjEEEEPS6_SG_NS0_5tupleIJSF_S6_EEENSH_IJSG_SG_EEES6_PlJNSB_9not_fun_tI7is_trueIjEEEEEE10hipError_tPvRmT3_T4_T5_T6_T7_T9_mT8_P12ihipStream_tbDpT10_ENKUlT_T0_E_clISt17integral_constantIbLb0EES18_EEDaS13_S14_EUlS13_E_NS1_11comp_targetILNS1_3genE2ELNS1_11target_archE906ELNS1_3gpuE6ELNS1_3repE0EEENS1_30default_config_static_selectorELNS0_4arch9wavefront6targetE0EEEvT1_,"axG",@progbits,_ZN7rocprim17ROCPRIM_400000_NS6detail17trampoline_kernelINS0_14default_configENS1_25partition_config_selectorILNS1_17partition_subalgoE6EjNS0_10empty_typeEbEEZZNS1_14partition_implILS5_6ELb0ES3_mN6thrust23THRUST_200600_302600_NS6detail15normal_iteratorINSA_10device_ptrIjEEEEPS6_SG_NS0_5tupleIJSF_S6_EEENSH_IJSG_SG_EEES6_PlJNSB_9not_fun_tI7is_trueIjEEEEEE10hipError_tPvRmT3_T4_T5_T6_T7_T9_mT8_P12ihipStream_tbDpT10_ENKUlT_T0_E_clISt17integral_constantIbLb0EES18_EEDaS13_S14_EUlS13_E_NS1_11comp_targetILNS1_3genE2ELNS1_11target_archE906ELNS1_3gpuE6ELNS1_3repE0EEENS1_30default_config_static_selectorELNS0_4arch9wavefront6targetE0EEEvT1_,comdat
.Lfunc_end1145:
	.size	_ZN7rocprim17ROCPRIM_400000_NS6detail17trampoline_kernelINS0_14default_configENS1_25partition_config_selectorILNS1_17partition_subalgoE6EjNS0_10empty_typeEbEEZZNS1_14partition_implILS5_6ELb0ES3_mN6thrust23THRUST_200600_302600_NS6detail15normal_iteratorINSA_10device_ptrIjEEEEPS6_SG_NS0_5tupleIJSF_S6_EEENSH_IJSG_SG_EEES6_PlJNSB_9not_fun_tI7is_trueIjEEEEEE10hipError_tPvRmT3_T4_T5_T6_T7_T9_mT8_P12ihipStream_tbDpT10_ENKUlT_T0_E_clISt17integral_constantIbLb0EES18_EEDaS13_S14_EUlS13_E_NS1_11comp_targetILNS1_3genE2ELNS1_11target_archE906ELNS1_3gpuE6ELNS1_3repE0EEENS1_30default_config_static_selectorELNS0_4arch9wavefront6targetE0EEEvT1_, .Lfunc_end1145-_ZN7rocprim17ROCPRIM_400000_NS6detail17trampoline_kernelINS0_14default_configENS1_25partition_config_selectorILNS1_17partition_subalgoE6EjNS0_10empty_typeEbEEZZNS1_14partition_implILS5_6ELb0ES3_mN6thrust23THRUST_200600_302600_NS6detail15normal_iteratorINSA_10device_ptrIjEEEEPS6_SG_NS0_5tupleIJSF_S6_EEENSH_IJSG_SG_EEES6_PlJNSB_9not_fun_tI7is_trueIjEEEEEE10hipError_tPvRmT3_T4_T5_T6_T7_T9_mT8_P12ihipStream_tbDpT10_ENKUlT_T0_E_clISt17integral_constantIbLb0EES18_EEDaS13_S14_EUlS13_E_NS1_11comp_targetILNS1_3genE2ELNS1_11target_archE906ELNS1_3gpuE6ELNS1_3repE0EEENS1_30default_config_static_selectorELNS0_4arch9wavefront6targetE0EEEvT1_
                                        ; -- End function
	.set _ZN7rocprim17ROCPRIM_400000_NS6detail17trampoline_kernelINS0_14default_configENS1_25partition_config_selectorILNS1_17partition_subalgoE6EjNS0_10empty_typeEbEEZZNS1_14partition_implILS5_6ELb0ES3_mN6thrust23THRUST_200600_302600_NS6detail15normal_iteratorINSA_10device_ptrIjEEEEPS6_SG_NS0_5tupleIJSF_S6_EEENSH_IJSG_SG_EEES6_PlJNSB_9not_fun_tI7is_trueIjEEEEEE10hipError_tPvRmT3_T4_T5_T6_T7_T9_mT8_P12ihipStream_tbDpT10_ENKUlT_T0_E_clISt17integral_constantIbLb0EES18_EEDaS13_S14_EUlS13_E_NS1_11comp_targetILNS1_3genE2ELNS1_11target_archE906ELNS1_3gpuE6ELNS1_3repE0EEENS1_30default_config_static_selectorELNS0_4arch9wavefront6targetE0EEEvT1_.num_vgpr, 0
	.set _ZN7rocprim17ROCPRIM_400000_NS6detail17trampoline_kernelINS0_14default_configENS1_25partition_config_selectorILNS1_17partition_subalgoE6EjNS0_10empty_typeEbEEZZNS1_14partition_implILS5_6ELb0ES3_mN6thrust23THRUST_200600_302600_NS6detail15normal_iteratorINSA_10device_ptrIjEEEEPS6_SG_NS0_5tupleIJSF_S6_EEENSH_IJSG_SG_EEES6_PlJNSB_9not_fun_tI7is_trueIjEEEEEE10hipError_tPvRmT3_T4_T5_T6_T7_T9_mT8_P12ihipStream_tbDpT10_ENKUlT_T0_E_clISt17integral_constantIbLb0EES18_EEDaS13_S14_EUlS13_E_NS1_11comp_targetILNS1_3genE2ELNS1_11target_archE906ELNS1_3gpuE6ELNS1_3repE0EEENS1_30default_config_static_selectorELNS0_4arch9wavefront6targetE0EEEvT1_.num_agpr, 0
	.set _ZN7rocprim17ROCPRIM_400000_NS6detail17trampoline_kernelINS0_14default_configENS1_25partition_config_selectorILNS1_17partition_subalgoE6EjNS0_10empty_typeEbEEZZNS1_14partition_implILS5_6ELb0ES3_mN6thrust23THRUST_200600_302600_NS6detail15normal_iteratorINSA_10device_ptrIjEEEEPS6_SG_NS0_5tupleIJSF_S6_EEENSH_IJSG_SG_EEES6_PlJNSB_9not_fun_tI7is_trueIjEEEEEE10hipError_tPvRmT3_T4_T5_T6_T7_T9_mT8_P12ihipStream_tbDpT10_ENKUlT_T0_E_clISt17integral_constantIbLb0EES18_EEDaS13_S14_EUlS13_E_NS1_11comp_targetILNS1_3genE2ELNS1_11target_archE906ELNS1_3gpuE6ELNS1_3repE0EEENS1_30default_config_static_selectorELNS0_4arch9wavefront6targetE0EEEvT1_.numbered_sgpr, 0
	.set _ZN7rocprim17ROCPRIM_400000_NS6detail17trampoline_kernelINS0_14default_configENS1_25partition_config_selectorILNS1_17partition_subalgoE6EjNS0_10empty_typeEbEEZZNS1_14partition_implILS5_6ELb0ES3_mN6thrust23THRUST_200600_302600_NS6detail15normal_iteratorINSA_10device_ptrIjEEEEPS6_SG_NS0_5tupleIJSF_S6_EEENSH_IJSG_SG_EEES6_PlJNSB_9not_fun_tI7is_trueIjEEEEEE10hipError_tPvRmT3_T4_T5_T6_T7_T9_mT8_P12ihipStream_tbDpT10_ENKUlT_T0_E_clISt17integral_constantIbLb0EES18_EEDaS13_S14_EUlS13_E_NS1_11comp_targetILNS1_3genE2ELNS1_11target_archE906ELNS1_3gpuE6ELNS1_3repE0EEENS1_30default_config_static_selectorELNS0_4arch9wavefront6targetE0EEEvT1_.num_named_barrier, 0
	.set _ZN7rocprim17ROCPRIM_400000_NS6detail17trampoline_kernelINS0_14default_configENS1_25partition_config_selectorILNS1_17partition_subalgoE6EjNS0_10empty_typeEbEEZZNS1_14partition_implILS5_6ELb0ES3_mN6thrust23THRUST_200600_302600_NS6detail15normal_iteratorINSA_10device_ptrIjEEEEPS6_SG_NS0_5tupleIJSF_S6_EEENSH_IJSG_SG_EEES6_PlJNSB_9not_fun_tI7is_trueIjEEEEEE10hipError_tPvRmT3_T4_T5_T6_T7_T9_mT8_P12ihipStream_tbDpT10_ENKUlT_T0_E_clISt17integral_constantIbLb0EES18_EEDaS13_S14_EUlS13_E_NS1_11comp_targetILNS1_3genE2ELNS1_11target_archE906ELNS1_3gpuE6ELNS1_3repE0EEENS1_30default_config_static_selectorELNS0_4arch9wavefront6targetE0EEEvT1_.private_seg_size, 0
	.set _ZN7rocprim17ROCPRIM_400000_NS6detail17trampoline_kernelINS0_14default_configENS1_25partition_config_selectorILNS1_17partition_subalgoE6EjNS0_10empty_typeEbEEZZNS1_14partition_implILS5_6ELb0ES3_mN6thrust23THRUST_200600_302600_NS6detail15normal_iteratorINSA_10device_ptrIjEEEEPS6_SG_NS0_5tupleIJSF_S6_EEENSH_IJSG_SG_EEES6_PlJNSB_9not_fun_tI7is_trueIjEEEEEE10hipError_tPvRmT3_T4_T5_T6_T7_T9_mT8_P12ihipStream_tbDpT10_ENKUlT_T0_E_clISt17integral_constantIbLb0EES18_EEDaS13_S14_EUlS13_E_NS1_11comp_targetILNS1_3genE2ELNS1_11target_archE906ELNS1_3gpuE6ELNS1_3repE0EEENS1_30default_config_static_selectorELNS0_4arch9wavefront6targetE0EEEvT1_.uses_vcc, 0
	.set _ZN7rocprim17ROCPRIM_400000_NS6detail17trampoline_kernelINS0_14default_configENS1_25partition_config_selectorILNS1_17partition_subalgoE6EjNS0_10empty_typeEbEEZZNS1_14partition_implILS5_6ELb0ES3_mN6thrust23THRUST_200600_302600_NS6detail15normal_iteratorINSA_10device_ptrIjEEEEPS6_SG_NS0_5tupleIJSF_S6_EEENSH_IJSG_SG_EEES6_PlJNSB_9not_fun_tI7is_trueIjEEEEEE10hipError_tPvRmT3_T4_T5_T6_T7_T9_mT8_P12ihipStream_tbDpT10_ENKUlT_T0_E_clISt17integral_constantIbLb0EES18_EEDaS13_S14_EUlS13_E_NS1_11comp_targetILNS1_3genE2ELNS1_11target_archE906ELNS1_3gpuE6ELNS1_3repE0EEENS1_30default_config_static_selectorELNS0_4arch9wavefront6targetE0EEEvT1_.uses_flat_scratch, 0
	.set _ZN7rocprim17ROCPRIM_400000_NS6detail17trampoline_kernelINS0_14default_configENS1_25partition_config_selectorILNS1_17partition_subalgoE6EjNS0_10empty_typeEbEEZZNS1_14partition_implILS5_6ELb0ES3_mN6thrust23THRUST_200600_302600_NS6detail15normal_iteratorINSA_10device_ptrIjEEEEPS6_SG_NS0_5tupleIJSF_S6_EEENSH_IJSG_SG_EEES6_PlJNSB_9not_fun_tI7is_trueIjEEEEEE10hipError_tPvRmT3_T4_T5_T6_T7_T9_mT8_P12ihipStream_tbDpT10_ENKUlT_T0_E_clISt17integral_constantIbLb0EES18_EEDaS13_S14_EUlS13_E_NS1_11comp_targetILNS1_3genE2ELNS1_11target_archE906ELNS1_3gpuE6ELNS1_3repE0EEENS1_30default_config_static_selectorELNS0_4arch9wavefront6targetE0EEEvT1_.has_dyn_sized_stack, 0
	.set _ZN7rocprim17ROCPRIM_400000_NS6detail17trampoline_kernelINS0_14default_configENS1_25partition_config_selectorILNS1_17partition_subalgoE6EjNS0_10empty_typeEbEEZZNS1_14partition_implILS5_6ELb0ES3_mN6thrust23THRUST_200600_302600_NS6detail15normal_iteratorINSA_10device_ptrIjEEEEPS6_SG_NS0_5tupleIJSF_S6_EEENSH_IJSG_SG_EEES6_PlJNSB_9not_fun_tI7is_trueIjEEEEEE10hipError_tPvRmT3_T4_T5_T6_T7_T9_mT8_P12ihipStream_tbDpT10_ENKUlT_T0_E_clISt17integral_constantIbLb0EES18_EEDaS13_S14_EUlS13_E_NS1_11comp_targetILNS1_3genE2ELNS1_11target_archE906ELNS1_3gpuE6ELNS1_3repE0EEENS1_30default_config_static_selectorELNS0_4arch9wavefront6targetE0EEEvT1_.has_recursion, 0
	.set _ZN7rocprim17ROCPRIM_400000_NS6detail17trampoline_kernelINS0_14default_configENS1_25partition_config_selectorILNS1_17partition_subalgoE6EjNS0_10empty_typeEbEEZZNS1_14partition_implILS5_6ELb0ES3_mN6thrust23THRUST_200600_302600_NS6detail15normal_iteratorINSA_10device_ptrIjEEEEPS6_SG_NS0_5tupleIJSF_S6_EEENSH_IJSG_SG_EEES6_PlJNSB_9not_fun_tI7is_trueIjEEEEEE10hipError_tPvRmT3_T4_T5_T6_T7_T9_mT8_P12ihipStream_tbDpT10_ENKUlT_T0_E_clISt17integral_constantIbLb0EES18_EEDaS13_S14_EUlS13_E_NS1_11comp_targetILNS1_3genE2ELNS1_11target_archE906ELNS1_3gpuE6ELNS1_3repE0EEENS1_30default_config_static_selectorELNS0_4arch9wavefront6targetE0EEEvT1_.has_indirect_call, 0
	.section	.AMDGPU.csdata,"",@progbits
; Kernel info:
; codeLenInByte = 0
; TotalNumSgprs: 0
; NumVgprs: 0
; ScratchSize: 0
; MemoryBound: 0
; FloatMode: 240
; IeeeMode: 1
; LDSByteSize: 0 bytes/workgroup (compile time only)
; SGPRBlocks: 0
; VGPRBlocks: 0
; NumSGPRsForWavesPerEU: 1
; NumVGPRsForWavesPerEU: 1
; Occupancy: 16
; WaveLimiterHint : 0
; COMPUTE_PGM_RSRC2:SCRATCH_EN: 0
; COMPUTE_PGM_RSRC2:USER_SGPR: 2
; COMPUTE_PGM_RSRC2:TRAP_HANDLER: 0
; COMPUTE_PGM_RSRC2:TGID_X_EN: 1
; COMPUTE_PGM_RSRC2:TGID_Y_EN: 0
; COMPUTE_PGM_RSRC2:TGID_Z_EN: 0
; COMPUTE_PGM_RSRC2:TIDIG_COMP_CNT: 0
	.section	.text._ZN7rocprim17ROCPRIM_400000_NS6detail17trampoline_kernelINS0_14default_configENS1_25partition_config_selectorILNS1_17partition_subalgoE6EjNS0_10empty_typeEbEEZZNS1_14partition_implILS5_6ELb0ES3_mN6thrust23THRUST_200600_302600_NS6detail15normal_iteratorINSA_10device_ptrIjEEEEPS6_SG_NS0_5tupleIJSF_S6_EEENSH_IJSG_SG_EEES6_PlJNSB_9not_fun_tI7is_trueIjEEEEEE10hipError_tPvRmT3_T4_T5_T6_T7_T9_mT8_P12ihipStream_tbDpT10_ENKUlT_T0_E_clISt17integral_constantIbLb0EES18_EEDaS13_S14_EUlS13_E_NS1_11comp_targetILNS1_3genE10ELNS1_11target_archE1200ELNS1_3gpuE4ELNS1_3repE0EEENS1_30default_config_static_selectorELNS0_4arch9wavefront6targetE0EEEvT1_,"axG",@progbits,_ZN7rocprim17ROCPRIM_400000_NS6detail17trampoline_kernelINS0_14default_configENS1_25partition_config_selectorILNS1_17partition_subalgoE6EjNS0_10empty_typeEbEEZZNS1_14partition_implILS5_6ELb0ES3_mN6thrust23THRUST_200600_302600_NS6detail15normal_iteratorINSA_10device_ptrIjEEEEPS6_SG_NS0_5tupleIJSF_S6_EEENSH_IJSG_SG_EEES6_PlJNSB_9not_fun_tI7is_trueIjEEEEEE10hipError_tPvRmT3_T4_T5_T6_T7_T9_mT8_P12ihipStream_tbDpT10_ENKUlT_T0_E_clISt17integral_constantIbLb0EES18_EEDaS13_S14_EUlS13_E_NS1_11comp_targetILNS1_3genE10ELNS1_11target_archE1200ELNS1_3gpuE4ELNS1_3repE0EEENS1_30default_config_static_selectorELNS0_4arch9wavefront6targetE0EEEvT1_,comdat
	.protected	_ZN7rocprim17ROCPRIM_400000_NS6detail17trampoline_kernelINS0_14default_configENS1_25partition_config_selectorILNS1_17partition_subalgoE6EjNS0_10empty_typeEbEEZZNS1_14partition_implILS5_6ELb0ES3_mN6thrust23THRUST_200600_302600_NS6detail15normal_iteratorINSA_10device_ptrIjEEEEPS6_SG_NS0_5tupleIJSF_S6_EEENSH_IJSG_SG_EEES6_PlJNSB_9not_fun_tI7is_trueIjEEEEEE10hipError_tPvRmT3_T4_T5_T6_T7_T9_mT8_P12ihipStream_tbDpT10_ENKUlT_T0_E_clISt17integral_constantIbLb0EES18_EEDaS13_S14_EUlS13_E_NS1_11comp_targetILNS1_3genE10ELNS1_11target_archE1200ELNS1_3gpuE4ELNS1_3repE0EEENS1_30default_config_static_selectorELNS0_4arch9wavefront6targetE0EEEvT1_ ; -- Begin function _ZN7rocprim17ROCPRIM_400000_NS6detail17trampoline_kernelINS0_14default_configENS1_25partition_config_selectorILNS1_17partition_subalgoE6EjNS0_10empty_typeEbEEZZNS1_14partition_implILS5_6ELb0ES3_mN6thrust23THRUST_200600_302600_NS6detail15normal_iteratorINSA_10device_ptrIjEEEEPS6_SG_NS0_5tupleIJSF_S6_EEENSH_IJSG_SG_EEES6_PlJNSB_9not_fun_tI7is_trueIjEEEEEE10hipError_tPvRmT3_T4_T5_T6_T7_T9_mT8_P12ihipStream_tbDpT10_ENKUlT_T0_E_clISt17integral_constantIbLb0EES18_EEDaS13_S14_EUlS13_E_NS1_11comp_targetILNS1_3genE10ELNS1_11target_archE1200ELNS1_3gpuE4ELNS1_3repE0EEENS1_30default_config_static_selectorELNS0_4arch9wavefront6targetE0EEEvT1_
	.globl	_ZN7rocprim17ROCPRIM_400000_NS6detail17trampoline_kernelINS0_14default_configENS1_25partition_config_selectorILNS1_17partition_subalgoE6EjNS0_10empty_typeEbEEZZNS1_14partition_implILS5_6ELb0ES3_mN6thrust23THRUST_200600_302600_NS6detail15normal_iteratorINSA_10device_ptrIjEEEEPS6_SG_NS0_5tupleIJSF_S6_EEENSH_IJSG_SG_EEES6_PlJNSB_9not_fun_tI7is_trueIjEEEEEE10hipError_tPvRmT3_T4_T5_T6_T7_T9_mT8_P12ihipStream_tbDpT10_ENKUlT_T0_E_clISt17integral_constantIbLb0EES18_EEDaS13_S14_EUlS13_E_NS1_11comp_targetILNS1_3genE10ELNS1_11target_archE1200ELNS1_3gpuE4ELNS1_3repE0EEENS1_30default_config_static_selectorELNS0_4arch9wavefront6targetE0EEEvT1_
	.p2align	8
	.type	_ZN7rocprim17ROCPRIM_400000_NS6detail17trampoline_kernelINS0_14default_configENS1_25partition_config_selectorILNS1_17partition_subalgoE6EjNS0_10empty_typeEbEEZZNS1_14partition_implILS5_6ELb0ES3_mN6thrust23THRUST_200600_302600_NS6detail15normal_iteratorINSA_10device_ptrIjEEEEPS6_SG_NS0_5tupleIJSF_S6_EEENSH_IJSG_SG_EEES6_PlJNSB_9not_fun_tI7is_trueIjEEEEEE10hipError_tPvRmT3_T4_T5_T6_T7_T9_mT8_P12ihipStream_tbDpT10_ENKUlT_T0_E_clISt17integral_constantIbLb0EES18_EEDaS13_S14_EUlS13_E_NS1_11comp_targetILNS1_3genE10ELNS1_11target_archE1200ELNS1_3gpuE4ELNS1_3repE0EEENS1_30default_config_static_selectorELNS0_4arch9wavefront6targetE0EEEvT1_,@function
_ZN7rocprim17ROCPRIM_400000_NS6detail17trampoline_kernelINS0_14default_configENS1_25partition_config_selectorILNS1_17partition_subalgoE6EjNS0_10empty_typeEbEEZZNS1_14partition_implILS5_6ELb0ES3_mN6thrust23THRUST_200600_302600_NS6detail15normal_iteratorINSA_10device_ptrIjEEEEPS6_SG_NS0_5tupleIJSF_S6_EEENSH_IJSG_SG_EEES6_PlJNSB_9not_fun_tI7is_trueIjEEEEEE10hipError_tPvRmT3_T4_T5_T6_T7_T9_mT8_P12ihipStream_tbDpT10_ENKUlT_T0_E_clISt17integral_constantIbLb0EES18_EEDaS13_S14_EUlS13_E_NS1_11comp_targetILNS1_3genE10ELNS1_11target_archE1200ELNS1_3gpuE4ELNS1_3repE0EEENS1_30default_config_static_selectorELNS0_4arch9wavefront6targetE0EEEvT1_: ; @_ZN7rocprim17ROCPRIM_400000_NS6detail17trampoline_kernelINS0_14default_configENS1_25partition_config_selectorILNS1_17partition_subalgoE6EjNS0_10empty_typeEbEEZZNS1_14partition_implILS5_6ELb0ES3_mN6thrust23THRUST_200600_302600_NS6detail15normal_iteratorINSA_10device_ptrIjEEEEPS6_SG_NS0_5tupleIJSF_S6_EEENSH_IJSG_SG_EEES6_PlJNSB_9not_fun_tI7is_trueIjEEEEEE10hipError_tPvRmT3_T4_T5_T6_T7_T9_mT8_P12ihipStream_tbDpT10_ENKUlT_T0_E_clISt17integral_constantIbLb0EES18_EEDaS13_S14_EUlS13_E_NS1_11comp_targetILNS1_3genE10ELNS1_11target_archE1200ELNS1_3gpuE4ELNS1_3repE0EEENS1_30default_config_static_selectorELNS0_4arch9wavefront6targetE0EEEvT1_
; %bb.0:
	s_clause 0x3
	s_load_b128 s[4:7], s[0:1], 0x8
	s_load_b128 s[8:11], s[0:1], 0x40
	s_load_b32 s12, s[0:1], 0x68
	s_load_b64 s[2:3], s[0:1], 0x50
	s_mov_b32 s13, 0
	v_lshlrev_b32_e32 v8, 2, v0
	s_wait_kmcnt 0x0
	s_lshl_b64 s[14:15], s[6:7], 2
	s_load_b64 s[10:11], s[10:11], 0x0
	s_add_co_i32 s18, s12, -1
	s_mulk_i32 s12, 0xa80
	s_add_nc_u64 s[16:17], s[4:5], s[14:15]
	s_add_nc_u64 s[4:5], s[6:7], s[12:13]
	s_add_co_i32 s6, s12, s6
	v_cmp_le_u64_e64 s3, s[2:3], s[4:5]
	s_sub_co_i32 s15, s2, s6
	s_cmp_eq_u32 ttmp9, s18
	s_mul_i32 s2, ttmp9, 0xa80
	s_cselect_b32 s12, -1, 0
	s_mov_b32 s4, -1
	s_and_b32 s5, s12, s3
	s_mov_b32 s3, s13
	s_wait_alu 0xfffe
	s_xor_b32 s13, s5, -1
	s_lshl_b64 s[2:3], s[2:3], 2
	s_and_b32 vcc_lo, exec_lo, s13
	s_wait_alu 0xfffe
	s_add_nc_u64 s[2:3], s[16:17], s[2:3]
	s_cbranch_vccz .LBB1146_2
; %bb.1:
	s_wait_alu 0xfffe
	v_add_co_u32 v1, s4, s2, v8
	s_wait_alu 0xf1ff
	v_add_co_ci_u32_e64 v2, null, s3, 0, s4
	s_mov_b32 s4, 0
	s_clause 0x6
	flat_load_b32 v3, v[1:2]
	flat_load_b32 v4, v[1:2] offset:1536
	flat_load_b32 v5, v[1:2] offset:3072
	;; [unrolled: 1-line block ×6, first 2 shown]
	s_wait_loadcnt_dscnt 0x505
	ds_store_2addr_stride64_b32 v8, v3, v4 offset1:6
	s_wait_loadcnt_dscnt 0x304
	ds_store_2addr_stride64_b32 v8, v5, v6 offset0:12 offset1:18
	s_wait_loadcnt_dscnt 0x103
	ds_store_2addr_stride64_b32 v8, v7, v9 offset0:24 offset1:30
	s_wait_loadcnt_dscnt 0x3
	ds_store_b32 v8, v1 offset:9216
	s_wait_dscnt 0x0
	s_barrier_signal -1
	s_barrier_wait -1
.LBB1146_2:
	s_wait_alu 0xfffe
	s_and_not1_b32 vcc_lo, exec_lo, s4
	s_addk_co_i32 s15, 0xa80
	s_cbranch_vccnz .LBB1146_18
; %bb.3:
	v_mov_b32_e32 v1, 0
	s_mov_b32 s4, exec_lo
	s_delay_alu instid0(VALU_DEP_1)
	v_dual_mov_b32 v2, v1 :: v_dual_mov_b32 v3, v1
	v_dual_mov_b32 v4, v1 :: v_dual_mov_b32 v5, v1
	;; [unrolled: 1-line block ×3, first 2 shown]
	v_cmpx_gt_u32_e64 s15, v0
	s_cbranch_execz .LBB1146_5
; %bb.4:
	v_add_co_u32 v2, s5, s2, v8
	s_wait_alu 0xf1ff
	v_add_co_ci_u32_e64 v3, null, s3, 0, s5
	v_dual_mov_b32 v10, v1 :: v_dual_mov_b32 v11, v1
	v_dual_mov_b32 v12, v1 :: v_dual_mov_b32 v13, v1
	flat_load_b32 v9, v[2:3]
	v_dual_mov_b32 v14, v1 :: v_dual_mov_b32 v15, v1
	s_wait_loadcnt_dscnt 0x0
	v_dual_mov_b32 v1, v9 :: v_dual_mov_b32 v2, v10
	v_dual_mov_b32 v3, v11 :: v_dual_mov_b32 v4, v12
	s_delay_alu instid0(VALU_DEP_3)
	v_dual_mov_b32 v5, v13 :: v_dual_mov_b32 v6, v14
	v_mov_b32_e32 v7, v15
.LBB1146_5:
	s_wait_alu 0xfffe
	s_or_b32 exec_lo, exec_lo, s4
	v_add_nc_u32_e32 v9, 0x180, v0
	s_mov_b32 s4, exec_lo
	s_delay_alu instid0(VALU_DEP_1)
	v_cmpx_gt_u32_e64 s15, v9
	s_cbranch_execz .LBB1146_7
; %bb.6:
	v_add_co_u32 v9, s5, s2, v8
	s_wait_alu 0xf1ff
	v_add_co_ci_u32_e64 v10, null, s3, 0, s5
	flat_load_b32 v2, v[9:10] offset:1536
.LBB1146_7:
	s_wait_alu 0xfffe
	s_or_b32 exec_lo, exec_lo, s4
	v_add_nc_u32_e32 v9, 0x300, v0
	s_mov_b32 s4, exec_lo
	s_delay_alu instid0(VALU_DEP_1)
	v_cmpx_gt_u32_e64 s15, v9
	s_cbranch_execz .LBB1146_9
; %bb.8:
	v_add_co_u32 v9, s5, s2, v8
	s_wait_alu 0xf1ff
	v_add_co_ci_u32_e64 v10, null, s3, 0, s5
	flat_load_b32 v3, v[9:10] offset:3072
.LBB1146_9:
	;; [unrolled: 13-line block ×3, first 2 shown]
	s_wait_alu 0xfffe
	s_or_b32 exec_lo, exec_lo, s4
	v_or_b32_e32 v9, 0x600, v0
	s_mov_b32 s4, exec_lo
	s_delay_alu instid0(VALU_DEP_1)
	v_cmpx_gt_u32_e64 s15, v9
	s_cbranch_execz .LBB1146_13
; %bb.12:
	v_add_co_u32 v9, s5, s2, v8
	s_wait_alu 0xf1ff
	v_add_co_ci_u32_e64 v10, null, s3, 0, s5
	flat_load_b32 v5, v[9:10] offset:6144
.LBB1146_13:
	s_wait_alu 0xfffe
	s_or_b32 exec_lo, exec_lo, s4
	v_add_nc_u32_e32 v9, 0x780, v0
	s_mov_b32 s4, exec_lo
	s_delay_alu instid0(VALU_DEP_1)
	v_cmpx_gt_u32_e64 s15, v9
	s_cbranch_execz .LBB1146_15
; %bb.14:
	v_add_co_u32 v9, s5, s2, v8
	s_wait_alu 0xf1ff
	v_add_co_ci_u32_e64 v10, null, s3, 0, s5
	flat_load_b32 v6, v[9:10] offset:7680
.LBB1146_15:
	s_wait_alu 0xfffe
	s_or_b32 exec_lo, exec_lo, s4
	v_add_nc_u32_e32 v9, 0x900, v0
	s_mov_b32 s4, exec_lo
	s_delay_alu instid0(VALU_DEP_1)
	v_cmpx_gt_u32_e64 s15, v9
	s_cbranch_execz .LBB1146_17
; %bb.16:
	v_add_co_u32 v9, s2, s2, v8
	s_wait_alu 0xf1ff
	v_add_co_ci_u32_e64 v10, null, s3, 0, s2
	flat_load_b32 v7, v[9:10] offset:9216
.LBB1146_17:
	s_wait_alu 0xfffe
	s_or_b32 exec_lo, exec_lo, s4
	s_wait_loadcnt_dscnt 0x0
	ds_store_2addr_stride64_b32 v8, v1, v2 offset1:6
	ds_store_2addr_stride64_b32 v8, v3, v4 offset0:12 offset1:18
	ds_store_2addr_stride64_b32 v8, v5, v6 offset0:24 offset1:30
	ds_store_b32 v8, v7 offset:9216
	s_wait_dscnt 0x0
	s_barrier_signal -1
	s_barrier_wait -1
.LBB1146_18:
	v_mul_u32_u24_e32 v1, 7, v0
	global_inv scope:SCOPE_SE
	s_and_not1_b32 vcc_lo, exec_lo, s13
	v_lshlrev_b32_e32 v34, 2, v1
	ds_load_2addr_b32 v[9:10], v34 offset0:4 offset1:5
	ds_load_b32 v29, v34 offset:24
	ds_load_2addr_b32 v[13:14], v34 offset1:1
	ds_load_2addr_b32 v[11:12], v34 offset0:2 offset1:3
	s_wait_loadcnt_dscnt 0x0
	s_barrier_signal -1
	s_barrier_wait -1
	global_inv scope:SCOPE_SE
	v_cmp_eq_u32_e64 s2, 0, v9
	v_cmp_eq_u32_e64 s3, 0, v10
	;; [unrolled: 1-line block ×7, first 2 shown]
	s_cbranch_vccnz .LBB1146_20
; %bb.19:
	v_cndmask_b32_e64 v2, 0, 1, s6
	v_cndmask_b32_e64 v3, 0, 1, s7
	s_wait_alu 0xf1ff
	v_cndmask_b32_e64 v4, 0, 1, s4
	v_cndmask_b32_e64 v5, 0, 1, s5
	;; [unrolled: 1-line block ×3, first 2 shown]
	v_lshlrev_b16 v2, 8, v2
	v_lshlrev_b16 v3, 8, v3
	v_cndmask_b32_e64 v30, 0, 1, s3
	s_delay_alu instid0(VALU_DEP_3) | instskip(NEXT) | instid1(VALU_DEP_3)
	v_or_b32_e32 v2, v4, v2
	v_or_b32_e32 v3, v5, v3
	s_delay_alu instid0(VALU_DEP_2) | instskip(NEXT) | instid1(VALU_DEP_2)
	v_and_b32_e32 v2, 0xffff, v2
	v_lshlrev_b32_e32 v3, 16, v3
	s_delay_alu instid0(VALU_DEP_1)
	v_or_b32_e32 v33, v2, v3
	s_cbranch_execz .LBB1146_21
	s_branch .LBB1146_22
.LBB1146_20:
                                        ; implicit-def: $sgpr14
                                        ; implicit-def: $vgpr30
                                        ; implicit-def: $vgpr31
                                        ; implicit-def: $vgpr33
.LBB1146_21:
	v_add_nc_u32_e32 v2, 1, v1
	v_cmp_eq_u32_e32 vcc_lo, 0, v14
	v_add_nc_u32_e32 v3, 3, v1
	v_cmp_eq_u32_e64 s2, 0, v13
	v_cmp_eq_u32_e64 s4, 0, v12
	v_cmp_gt_u32_e64 s3, s15, v2
	v_add_nc_u32_e32 v2, 2, v1
	v_cmp_gt_u32_e64 s6, s15, v3
	v_cmp_eq_u32_e64 s5, 0, v11
	v_add_nc_u32_e32 v5, 5, v1
	s_and_b32 s3, s3, vcc_lo
	v_cmp_gt_u32_e32 vcc_lo, s15, v1
	s_wait_alu 0xfffe
	v_cndmask_b32_e64 v3, 0, 1, s3
	v_cmp_gt_u32_e64 s3, s15, v2
	s_and_b32 s4, s6, s4
	s_and_b32 s2, vcc_lo, s2
	v_lshlrev_b16 v3, 8, v3
	s_wait_alu 0xfffe
	v_cndmask_b32_e64 v4, 0, 1, s2
	v_cndmask_b32_e64 v2, 0, 1, s4
	s_and_b32 s2, s3, s5
	v_cmp_eq_u32_e32 vcc_lo, 0, v10
	s_wait_alu 0xfffe
	v_cndmask_b32_e64 v6, 0, 1, s2
	v_cmp_gt_u32_e64 s2, s15, v5
	v_or_b32_e32 v3, v4, v3
	v_add_nc_u32_e32 v4, 4, v1
	v_lshlrev_b16 v2, 8, v2
	v_cmp_eq_u32_e64 s3, 0, v9
	s_and_b32 s2, s2, vcc_lo
	v_add_nc_u32_e32 v1, 6, v1
	v_cmp_gt_u32_e32 vcc_lo, s15, v4
	v_or_b32_e32 v2, v6, v2
	s_wait_alu 0xfffe
	v_cndmask_b32_e64 v30, 0, 1, s2
	v_and_b32_e32 v3, 0xffff, v3
	s_and_b32 s2, vcc_lo, s3
	v_cmp_gt_u32_e32 vcc_lo, s15, v1
	s_wait_alu 0xfffe
	v_cndmask_b32_e64 v5, 0, 1, s2
	v_cmp_eq_u32_e64 s2, 0, v29
	v_lshlrev_b32_e32 v2, 16, v2
	v_lshlrev_b16 v4, 8, v30
	s_and_not1_b32 s3, s14, exec_lo
	s_and_b32 s2, vcc_lo, s2
	s_delay_alu instid0(VALU_DEP_2) | instskip(NEXT) | instid1(VALU_DEP_2)
	v_or_b32_e32 v33, v3, v2
	v_or_b32_e32 v31, v5, v4
	s_wait_alu 0xfffe
	s_and_b32 s2, s2, exec_lo
	s_wait_alu 0xfffe
	s_or_b32 s14, s3, s2
.LBB1146_22:
	s_delay_alu instid0(VALU_DEP_1)
	v_dual_mov_b32 v2, 0 :: v_dual_and_b32 v37, 0xff, v33
	v_bfe_u32 v36, v33, 8, 8
	s_wait_alu 0xfffe
	v_cndmask_b32_e64 v1, 0, 1, s14
	v_bfe_u32 v39, v33, 16, 8
	v_lshrrev_b32_e32 v32, 24, v33
	s_load_b64 s[6:7], s[0:1], 0x60
	v_and_b32_e32 v38, 0xff, v31
	v_add3_u32 v1, v37, v1, v36
	v_mbcnt_lo_u32_b32 v40, -1, 0
	v_and_b32_e32 v35, 0xff, v30
	s_cmp_lg_u32 ttmp9, 0
	s_mov_b32 s3, -1
	v_add_co_u32 v1, s2, v1, v39
	s_wait_alu 0xf1ff
	v_add_co_ci_u32_e64 v3, null, 0, 0, s2
	v_and_b32_e32 v41, 15, v40
	s_delay_alu instid0(VALU_DEP_3) | instskip(NEXT) | instid1(VALU_DEP_1)
	v_add_co_u32 v1, vcc_lo, v1, v32
	v_add_co_ci_u32_e64 v3, null, 0, v3, vcc_lo
	s_delay_alu instid0(VALU_DEP_3) | instskip(NEXT) | instid1(VALU_DEP_3)
	v_cmp_ne_u32_e64 s2, 0, v41
	v_add_co_u32 v1, vcc_lo, v1, v38
	s_wait_alu 0xfffd
	s_delay_alu instid0(VALU_DEP_3) | instskip(NEXT) | instid1(VALU_DEP_2)
	v_add_co_ci_u32_e64 v3, null, 0, v3, vcc_lo
	v_add_co_u32 v15, vcc_lo, v1, v35
	s_wait_alu 0xfffd
	s_delay_alu instid0(VALU_DEP_2)
	v_add_co_ci_u32_e64 v16, null, 0, v3, vcc_lo
	s_cbranch_scc0 .LBB1146_81
; %bb.23:
	v_mov_b32_e32 v3, v15
	v_mov_b32_dpp v1, v15 row_shr:1 row_mask:0xf bank_mask:0xf
	v_mov_b32_dpp v6, v2 row_shr:1 row_mask:0xf bank_mask:0xf
	v_dual_mov_b32 v5, v15 :: v_dual_mov_b32 v4, v16
	s_and_saveexec_b32 s3, s2
; %bb.24:
	s_delay_alu instid0(VALU_DEP_3) | instskip(SKIP_2) | instid1(VALU_DEP_2)
	v_add_co_u32 v5, vcc_lo, v15, v1
	s_wait_alu 0xfffd
	v_add_co_ci_u32_e64 v2, null, 0, v16, vcc_lo
	v_add_co_u32 v1, vcc_lo, 0, v5
	s_wait_alu 0xfffd
	s_delay_alu instid0(VALU_DEP_2) | instskip(NEXT) | instid1(VALU_DEP_1)
	v_add_co_ci_u32_e64 v2, null, v6, v2, vcc_lo
	v_dual_mov_b32 v4, v2 :: v_dual_mov_b32 v3, v1
; %bb.25:
	s_wait_alu 0xfffe
	s_or_b32 exec_lo, exec_lo, s3
	v_mov_b32_dpp v1, v5 row_shr:2 row_mask:0xf bank_mask:0xf
	v_mov_b32_dpp v6, v2 row_shr:2 row_mask:0xf bank_mask:0xf
	v_cmp_lt_u32_e32 vcc_lo, 1, v41
	s_and_saveexec_b32 s4, vcc_lo
; %bb.26:
	s_delay_alu instid0(VALU_DEP_3) | instskip(SKIP_2) | instid1(VALU_DEP_2)
	v_add_co_u32 v5, s3, v3, v1
	s_wait_alu 0xf1ff
	v_add_co_ci_u32_e64 v2, null, 0, v4, s3
	v_add_co_u32 v1, s3, 0, v5
	s_wait_alu 0xf1ff
	s_delay_alu instid0(VALU_DEP_2) | instskip(NEXT) | instid1(VALU_DEP_1)
	v_add_co_ci_u32_e64 v2, null, v6, v2, s3
	v_dual_mov_b32 v4, v2 :: v_dual_mov_b32 v3, v1
; %bb.27:
	s_wait_alu 0xfffe
	s_or_b32 exec_lo, exec_lo, s4
	v_mov_b32_dpp v1, v5 row_shr:4 row_mask:0xf bank_mask:0xf
	v_mov_b32_dpp v6, v2 row_shr:4 row_mask:0xf bank_mask:0xf
	v_cmp_lt_u32_e64 s3, 3, v41
	s_and_saveexec_b32 s5, s3
; %bb.28:
	v_add_co_u32 v5, s4, v3, v1
	s_wait_alu 0xf1ff
	v_add_co_ci_u32_e64 v2, null, 0, v4, s4
	s_delay_alu instid0(VALU_DEP_2) | instskip(SKIP_1) | instid1(VALU_DEP_2)
	v_add_co_u32 v1, s4, 0, v5
	s_wait_alu 0xf1ff
	v_add_co_ci_u32_e64 v2, null, v6, v2, s4
	s_delay_alu instid0(VALU_DEP_1)
	v_dual_mov_b32 v4, v2 :: v_dual_mov_b32 v3, v1
; %bb.29:
	s_wait_alu 0xfffe
	s_or_b32 exec_lo, exec_lo, s5
	v_mov_b32_dpp v6, v5 row_shr:8 row_mask:0xf bank_mask:0xf
	v_mov_b32_dpp v1, v2 row_shr:8 row_mask:0xf bank_mask:0xf
	v_cmp_lt_u32_e64 s4, 7, v41
	s_and_saveexec_b32 s15, s4
; %bb.30:
	v_add_co_u32 v5, s5, v3, v6
	s_wait_alu 0xf1ff
	v_add_co_ci_u32_e64 v2, null, 0, v4, s5
	s_delay_alu instid0(VALU_DEP_2) | instskip(SKIP_1) | instid1(VALU_DEP_2)
	v_add_co_u32 v3, s5, 0, v5
	s_wait_alu 0xf1ff
	v_add_co_ci_u32_e64 v4, null, v1, v2, s5
	s_delay_alu instid0(VALU_DEP_1)
	v_mov_b32_e32 v2, v4
; %bb.31:
	s_wait_alu 0xfffe
	s_or_b32 exec_lo, exec_lo, s15
	ds_swizzle_b32 v1, v5 offset:swizzle(BROADCAST,32,15)
	ds_swizzle_b32 v6, v2 offset:swizzle(BROADCAST,32,15)
	v_and_b32_e32 v7, 16, v40
	s_mov_b32 s15, exec_lo
	s_delay_alu instid0(VALU_DEP_1)
	v_cmpx_ne_u32_e32 0, v7
	s_cbranch_execz .LBB1146_33
; %bb.32:
	s_wait_dscnt 0x1
	v_add_co_u32 v5, s5, v3, v1
	s_wait_alu 0xf1ff
	v_add_co_ci_u32_e64 v2, null, 0, v4, s5
	s_delay_alu instid0(VALU_DEP_2) | instskip(SKIP_2) | instid1(VALU_DEP_2)
	v_add_co_u32 v1, s5, 0, v5
	s_wait_dscnt 0x0
	s_wait_alu 0xf1ff
	v_add_co_ci_u32_e64 v2, null, v6, v2, s5
	s_delay_alu instid0(VALU_DEP_1)
	v_dual_mov_b32 v4, v2 :: v_dual_mov_b32 v3, v1
.LBB1146_33:
	s_wait_alu 0xfffe
	s_or_b32 exec_lo, exec_lo, s15
	s_wait_dscnt 0x1
	v_and_b32_e32 v1, 0x1e0, v0
	s_mov_b32 s15, exec_lo
	s_delay_alu instid0(VALU_DEP_1) | instskip(SKIP_1) | instid1(VALU_DEP_1)
	v_min_u32_e32 v1, 0x160, v1
	s_wait_dscnt 0x0
	v_or_b32_e32 v6, 31, v1
	v_lshrrev_b32_e32 v1, 5, v0
	s_delay_alu instid0(VALU_DEP_2)
	v_cmpx_eq_u32_e64 v0, v6
; %bb.34:
	s_delay_alu instid0(VALU_DEP_2)
	v_lshlrev_b32_e32 v6, 3, v1
	ds_store_b64 v6, v[3:4]
; %bb.35:
	s_wait_alu 0xfffe
	s_or_b32 exec_lo, exec_lo, s15
	s_delay_alu instid0(SALU_CYCLE_1)
	s_mov_b32 s15, exec_lo
	s_wait_loadcnt_dscnt 0x0
	s_barrier_signal -1
	s_barrier_wait -1
	global_inv scope:SCOPE_SE
	v_cmpx_gt_u32_e32 12, v0
	s_cbranch_execz .LBB1146_45
; %bb.36:
	v_lshlrev_b32_e32 v6, 3, v0
	ds_load_b64 v[3:4], v6
	s_wait_dscnt 0x0
	v_mov_b32_dpp v17, v3 row_shr:1 row_mask:0xf bank_mask:0xf
	v_mov_b32_dpp v8, v4 row_shr:1 row_mask:0xf bank_mask:0xf
	v_mov_b32_e32 v7, v3
	s_and_saveexec_b32 s16, s2
; %bb.37:
	s_delay_alu instid0(VALU_DEP_3) | instskip(SKIP_2) | instid1(VALU_DEP_2)
	v_add_co_u32 v7, s5, v3, v17
	s_wait_alu 0xf1ff
	v_add_co_ci_u32_e64 v4, null, 0, v4, s5
	v_add_co_u32 v3, s5, 0, v7
	s_wait_alu 0xf1ff
	s_delay_alu instid0(VALU_DEP_2)
	v_add_co_ci_u32_e64 v4, null, v8, v4, s5
; %bb.38:
	s_or_b32 exec_lo, exec_lo, s16
	v_mov_b32_dpp v17, v7 row_shr:2 row_mask:0xf bank_mask:0xf
	s_delay_alu instid0(VALU_DEP_2)
	v_mov_b32_dpp v8, v4 row_shr:2 row_mask:0xf bank_mask:0xf
	s_and_saveexec_b32 s5, vcc_lo
; %bb.39:
	s_delay_alu instid0(VALU_DEP_2) | instskip(SKIP_2) | instid1(VALU_DEP_2)
	v_add_co_u32 v7, vcc_lo, v3, v17
	s_wait_alu 0xfffd
	v_add_co_ci_u32_e64 v4, null, 0, v4, vcc_lo
	v_add_co_u32 v3, vcc_lo, 0, v7
	s_wait_alu 0xfffd
	s_delay_alu instid0(VALU_DEP_2)
	v_add_co_ci_u32_e64 v4, null, v8, v4, vcc_lo
; %bb.40:
	s_wait_alu 0xfffe
	s_or_b32 exec_lo, exec_lo, s5
	v_mov_b32_dpp v17, v7 row_shr:4 row_mask:0xf bank_mask:0xf
	s_delay_alu instid0(VALU_DEP_2)
	v_mov_b32_dpp v8, v4 row_shr:4 row_mask:0xf bank_mask:0xf
	s_and_saveexec_b32 s5, s3
; %bb.41:
	s_delay_alu instid0(VALU_DEP_2) | instskip(SKIP_2) | instid1(VALU_DEP_2)
	v_add_co_u32 v7, vcc_lo, v3, v17
	s_wait_alu 0xfffd
	v_add_co_ci_u32_e64 v4, null, 0, v4, vcc_lo
	v_add_co_u32 v3, vcc_lo, 0, v7
	s_wait_alu 0xfffd
	s_delay_alu instid0(VALU_DEP_2)
	v_add_co_ci_u32_e64 v4, null, v8, v4, vcc_lo
; %bb.42:
	s_wait_alu 0xfffe
	s_or_b32 exec_lo, exec_lo, s5
	v_mov_b32_dpp v8, v7 row_shr:8 row_mask:0xf bank_mask:0xf
	s_delay_alu instid0(VALU_DEP_2)
	v_mov_b32_dpp v7, v4 row_shr:8 row_mask:0xf bank_mask:0xf
	s_and_saveexec_b32 s3, s4
; %bb.43:
	s_delay_alu instid0(VALU_DEP_2) | instskip(SKIP_2) | instid1(VALU_DEP_2)
	v_add_co_u32 v3, vcc_lo, v3, v8
	s_wait_alu 0xfffd
	v_add_co_ci_u32_e64 v4, null, 0, v4, vcc_lo
	v_add_co_u32 v3, vcc_lo, v3, 0
	s_wait_alu 0xfffd
	s_delay_alu instid0(VALU_DEP_2)
	v_add_co_ci_u32_e64 v4, null, v4, v7, vcc_lo
; %bb.44:
	s_wait_alu 0xfffe
	s_or_b32 exec_lo, exec_lo, s3
	ds_store_b64 v6, v[3:4]
.LBB1146_45:
	s_wait_alu 0xfffe
	s_or_b32 exec_lo, exec_lo, s15
	s_delay_alu instid0(SALU_CYCLE_1)
	s_mov_b32 s4, exec_lo
	v_cmp_gt_u32_e32 vcc_lo, 32, v0
	s_wait_loadcnt_dscnt 0x0
	s_barrier_signal -1
	s_barrier_wait -1
	global_inv scope:SCOPE_SE
                                        ; implicit-def: $vgpr17_vgpr18
	v_cmpx_lt_u32_e32 31, v0
	s_cbranch_execz .LBB1146_47
; %bb.46:
	v_lshl_add_u32 v1, v1, 3, -8
	ds_load_b64 v[17:18], v1
	s_wait_dscnt 0x0
	v_add_co_u32 v5, s3, v5, v17
	s_wait_alu 0xf1ff
	v_add_co_ci_u32_e64 v2, null, v2, v18, s3
.LBB1146_47:
	s_wait_alu 0xfffe
	s_or_b32 exec_lo, exec_lo, s4
	v_sub_co_u32 v1, s3, v40, 1
	s_delay_alu instid0(VALU_DEP_1) | instskip(SKIP_1) | instid1(VALU_DEP_1)
	v_cmp_gt_i32_e64 s4, 0, v1
	s_wait_alu 0xf1ff
	v_cndmask_b32_e64 v1, v1, v40, s4
	s_delay_alu instid0(VALU_DEP_1)
	v_lshlrev_b32_e32 v1, 2, v1
	ds_bpermute_b32 v23, v1, v5
	ds_bpermute_b32 v24, v1, v2
	s_and_saveexec_b32 s4, vcc_lo
	s_cbranch_execz .LBB1146_86
; %bb.48:
	v_mov_b32_e32 v4, 0
	ds_load_b64 v[1:2], v4 offset:88
	s_and_saveexec_b32 s5, s3
	s_cbranch_execz .LBB1146_50
; %bb.49:
	s_add_co_i32 s16, ttmp9, 32
	s_mov_b32 s17, 0
	s_delay_alu instid0(SALU_CYCLE_1)
	s_lshl_b64 s[16:17], s[16:17], 4
	s_wait_kmcnt 0x0
	s_add_nc_u64 s[16:17], s[6:7], s[16:17]
	v_mov_b32_e32 v3, 1
	v_dual_mov_b32 v5, s16 :: v_dual_mov_b32 v6, s17
	s_wait_dscnt 0x0
	;;#ASMSTART
	global_store_b128 v[5:6], v[1:4] off scope:SCOPE_DEV	
s_wait_storecnt 0x0
	;;#ASMEND
.LBB1146_50:
	s_wait_alu 0xfffe
	s_or_b32 exec_lo, exec_lo, s5
	v_xad_u32 v19, v40, -1, ttmp9
	s_mov_b32 s15, 0
	s_mov_b32 s5, exec_lo
	s_delay_alu instid0(VALU_DEP_1) | instskip(NEXT) | instid1(VALU_DEP_1)
	v_add_nc_u32_e32 v3, 32, v19
	v_lshlrev_b64_e32 v[3:4], 4, v[3:4]
	s_wait_kmcnt 0x0
	s_delay_alu instid0(VALU_DEP_1) | instskip(SKIP_1) | instid1(VALU_DEP_2)
	v_add_co_u32 v3, vcc_lo, s6, v3
	s_wait_alu 0xfffd
	v_add_co_ci_u32_e64 v4, null, s7, v4, vcc_lo
	;;#ASMSTART
	global_load_b128 v[5:8], v[3:4] off scope:SCOPE_DEV	
s_wait_loadcnt 0x0
	;;#ASMEND
	v_and_b32_e32 v8, 0xff, v7
	s_delay_alu instid0(VALU_DEP_1)
	v_cmpx_eq_u16_e32 0, v8
	s_cbranch_execz .LBB1146_53
.LBB1146_51:                            ; =>This Inner Loop Header: Depth=1
	;;#ASMSTART
	global_load_b128 v[5:8], v[3:4] off scope:SCOPE_DEV	
s_wait_loadcnt 0x0
	;;#ASMEND
	v_and_b32_e32 v8, 0xff, v7
	s_delay_alu instid0(VALU_DEP_1)
	v_cmp_ne_u16_e32 vcc_lo, 0, v8
	s_wait_alu 0xfffe
	s_or_b32 s15, vcc_lo, s15
	s_wait_alu 0xfffe
	s_and_not1_b32 exec_lo, exec_lo, s15
	s_cbranch_execnz .LBB1146_51
; %bb.52:
	s_or_b32 exec_lo, exec_lo, s15
.LBB1146_53:
	s_wait_alu 0xfffe
	s_or_b32 exec_lo, exec_lo, s5
	v_cmp_ne_u32_e32 vcc_lo, 31, v40
	v_and_b32_e32 v4, 0xff, v7
	v_lshlrev_b32_e64 v26, v40, -1
	s_mov_b32 s5, exec_lo
	s_wait_alu 0xfffd
	v_add_co_ci_u32_e64 v3, null, 0, v40, vcc_lo
	v_cmp_eq_u16_e32 vcc_lo, 2, v4
	s_delay_alu instid0(VALU_DEP_2)
	v_dual_mov_b32 v4, v5 :: v_dual_lshlrev_b32 v25, 2, v3
	s_wait_alu 0xfffd
	v_and_or_b32 v3, vcc_lo, v26, 0x80000000
	ds_bpermute_b32 v20, v25, v5
	ds_bpermute_b32 v8, v25, v6
	v_ctz_i32_b32_e32 v3, v3
	s_delay_alu instid0(VALU_DEP_1)
	v_cmpx_lt_u32_e64 v40, v3
	s_cbranch_execz .LBB1146_55
; %bb.54:
	s_wait_dscnt 0x1
	v_add_co_u32 v4, vcc_lo, v5, v20
	s_wait_alu 0xfffd
	v_add_co_ci_u32_e64 v6, null, 0, v6, vcc_lo
	s_delay_alu instid0(VALU_DEP_2) | instskip(SKIP_2) | instid1(VALU_DEP_2)
	v_add_co_u32 v5, vcc_lo, 0, v4
	s_wait_dscnt 0x0
	s_wait_alu 0xfffd
	v_add_co_ci_u32_e64 v6, null, v8, v6, vcc_lo
.LBB1146_55:
	s_wait_alu 0xfffe
	s_or_b32 exec_lo, exec_lo, s5
	v_cmp_gt_u32_e32 vcc_lo, 30, v40
	v_add_nc_u32_e32 v28, 2, v40
	s_mov_b32 s5, exec_lo
	s_wait_dscnt 0x0
	s_wait_alu 0xfffd
	v_cndmask_b32_e64 v8, 0, 2, vcc_lo
	s_delay_alu instid0(VALU_DEP_1)
	v_add_lshl_u32 v27, v8, v40, 2
	ds_bpermute_b32 v20, v27, v4
	ds_bpermute_b32 v8, v27, v6
	v_cmpx_le_u32_e64 v28, v3
	s_cbranch_execz .LBB1146_57
; %bb.56:
	s_wait_dscnt 0x1
	v_add_co_u32 v4, vcc_lo, v5, v20
	s_wait_alu 0xfffd
	v_add_co_ci_u32_e64 v6, null, 0, v6, vcc_lo
	s_delay_alu instid0(VALU_DEP_2) | instskip(SKIP_2) | instid1(VALU_DEP_2)
	v_add_co_u32 v5, vcc_lo, 0, v4
	s_wait_dscnt 0x0
	s_wait_alu 0xfffd
	v_add_co_ci_u32_e64 v6, null, v8, v6, vcc_lo
.LBB1146_57:
	s_wait_alu 0xfffe
	s_or_b32 exec_lo, exec_lo, s5
	v_cmp_gt_u32_e32 vcc_lo, 28, v40
	v_add_nc_u32_e32 v43, 4, v40
	s_mov_b32 s5, exec_lo
	s_wait_dscnt 0x0
	s_wait_alu 0xfffd
	v_cndmask_b32_e64 v8, 0, 4, vcc_lo
	s_delay_alu instid0(VALU_DEP_1)
	v_add_lshl_u32 v42, v8, v40, 2
	ds_bpermute_b32 v20, v42, v4
	ds_bpermute_b32 v8, v42, v6
	v_cmpx_le_u32_e64 v43, v3
	;; [unrolled: 25-line block ×3, first 2 shown]
	s_cbranch_execz .LBB1146_61
; %bb.60:
	s_wait_dscnt 0x1
	v_add_co_u32 v4, vcc_lo, v5, v20
	s_wait_alu 0xfffd
	v_add_co_ci_u32_e64 v6, null, 0, v6, vcc_lo
	s_delay_alu instid0(VALU_DEP_2) | instskip(SKIP_2) | instid1(VALU_DEP_2)
	v_add_co_u32 v5, vcc_lo, 0, v4
	s_wait_dscnt 0x0
	s_wait_alu 0xfffd
	v_add_co_ci_u32_e64 v6, null, v8, v6, vcc_lo
.LBB1146_61:
	s_wait_alu 0xfffe
	s_or_b32 exec_lo, exec_lo, s5
	v_lshl_or_b32 v46, v40, 2, 64
	v_add_nc_u32_e32 v47, 16, v40
	s_mov_b32 s5, exec_lo
	s_wait_dscnt 0x0
	ds_bpermute_b32 v8, v46, v4
	ds_bpermute_b32 v4, v46, v6
	v_cmpx_le_u32_e64 v47, v3
	s_cbranch_execz .LBB1146_63
; %bb.62:
	s_wait_dscnt 0x1
	v_add_co_u32 v3, vcc_lo, v5, v8
	s_wait_alu 0xfffd
	v_add_co_ci_u32_e64 v6, null, 0, v6, vcc_lo
	s_delay_alu instid0(VALU_DEP_2) | instskip(SKIP_2) | instid1(VALU_DEP_2)
	v_add_co_u32 v5, vcc_lo, v3, 0
	s_wait_dscnt 0x0
	s_wait_alu 0xfffd
	v_add_co_ci_u32_e64 v6, null, v6, v4, vcc_lo
.LBB1146_63:
	s_wait_alu 0xfffe
	s_or_b32 exec_lo, exec_lo, s5
	v_mov_b32_e32 v20, 0
	s_branch .LBB1146_66
.LBB1146_64:                            ;   in Loop: Header=BB1146_66 Depth=1
	s_wait_alu 0xfffe
	s_or_b32 exec_lo, exec_lo, s5
	v_add_co_u32 v5, vcc_lo, v5, v3
	v_subrev_nc_u32_e32 v19, 32, v19
	s_wait_alu 0xfffd
	v_add_co_ci_u32_e64 v6, null, v6, v4, vcc_lo
	s_mov_b32 s5, 0
.LBB1146_65:                            ;   in Loop: Header=BB1146_66 Depth=1
	s_wait_alu 0xfffe
	s_and_b32 vcc_lo, exec_lo, s5
	s_wait_alu 0xfffe
	s_cbranch_vccnz .LBB1146_82
.LBB1146_66:                            ; =>This Loop Header: Depth=1
                                        ;     Child Loop BB1146_69 Depth 2
	v_and_b32_e32 v3, 0xff, v7
	s_mov_b32 s5, -1
	s_delay_alu instid0(VALU_DEP_1)
	v_cmp_ne_u16_e32 vcc_lo, 2, v3
	s_wait_dscnt 0x0
	v_dual_mov_b32 v3, v5 :: v_dual_mov_b32 v4, v6
                                        ; implicit-def: $vgpr5_vgpr6
	s_cmp_lg_u32 vcc_lo, exec_lo
	s_cbranch_scc1 .LBB1146_65
; %bb.67:                               ;   in Loop: Header=BB1146_66 Depth=1
	v_lshlrev_b64_e32 v[5:6], 4, v[19:20]
	s_mov_b32 s5, exec_lo
	s_delay_alu instid0(VALU_DEP_1) | instskip(SKIP_1) | instid1(VALU_DEP_2)
	v_add_co_u32 v21, vcc_lo, s6, v5
	s_wait_alu 0xfffd
	v_add_co_ci_u32_e64 v22, null, s7, v6, vcc_lo
	;;#ASMSTART
	global_load_b128 v[5:8], v[21:22] off scope:SCOPE_DEV	
s_wait_loadcnt 0x0
	;;#ASMEND
	v_and_b32_e32 v8, 0xff, v7
	s_delay_alu instid0(VALU_DEP_1)
	v_cmpx_eq_u16_e32 0, v8
	s_cbranch_execz .LBB1146_71
; %bb.68:                               ;   in Loop: Header=BB1146_66 Depth=1
	s_mov_b32 s15, 0
.LBB1146_69:                            ;   Parent Loop BB1146_66 Depth=1
                                        ; =>  This Inner Loop Header: Depth=2
	;;#ASMSTART
	global_load_b128 v[5:8], v[21:22] off scope:SCOPE_DEV	
s_wait_loadcnt 0x0
	;;#ASMEND
	v_and_b32_e32 v8, 0xff, v7
	s_delay_alu instid0(VALU_DEP_1)
	v_cmp_ne_u16_e32 vcc_lo, 0, v8
	s_wait_alu 0xfffe
	s_or_b32 s15, vcc_lo, s15
	s_wait_alu 0xfffe
	s_and_not1_b32 exec_lo, exec_lo, s15
	s_cbranch_execnz .LBB1146_69
; %bb.70:                               ;   in Loop: Header=BB1146_66 Depth=1
	s_or_b32 exec_lo, exec_lo, s15
.LBB1146_71:                            ;   in Loop: Header=BB1146_66 Depth=1
	s_wait_alu 0xfffe
	s_or_b32 exec_lo, exec_lo, s5
	v_dual_mov_b32 v21, v5 :: v_dual_and_b32 v8, 0xff, v7
	ds_bpermute_b32 v48, v25, v5
	ds_bpermute_b32 v22, v25, v6
	s_mov_b32 s5, exec_lo
	v_cmp_eq_u16_e32 vcc_lo, 2, v8
	s_wait_alu 0xfffd
	v_and_or_b32 v8, vcc_lo, v26, 0x80000000
	s_delay_alu instid0(VALU_DEP_1) | instskip(NEXT) | instid1(VALU_DEP_1)
	v_ctz_i32_b32_e32 v8, v8
	v_cmpx_lt_u32_e64 v40, v8
	s_cbranch_execz .LBB1146_73
; %bb.72:                               ;   in Loop: Header=BB1146_66 Depth=1
	s_wait_dscnt 0x1
	v_add_co_u32 v21, vcc_lo, v5, v48
	s_wait_alu 0xfffd
	v_add_co_ci_u32_e64 v6, null, 0, v6, vcc_lo
	s_delay_alu instid0(VALU_DEP_2) | instskip(SKIP_2) | instid1(VALU_DEP_2)
	v_add_co_u32 v5, vcc_lo, 0, v21
	s_wait_dscnt 0x0
	s_wait_alu 0xfffd
	v_add_co_ci_u32_e64 v6, null, v22, v6, vcc_lo
.LBB1146_73:                            ;   in Loop: Header=BB1146_66 Depth=1
	s_wait_alu 0xfffe
	s_or_b32 exec_lo, exec_lo, s5
	s_wait_dscnt 0x1
	ds_bpermute_b32 v48, v27, v21
	s_wait_dscnt 0x1
	ds_bpermute_b32 v22, v27, v6
	s_mov_b32 s5, exec_lo
	v_cmpx_le_u32_e64 v28, v8
	s_cbranch_execz .LBB1146_75
; %bb.74:                               ;   in Loop: Header=BB1146_66 Depth=1
	s_wait_dscnt 0x1
	v_add_co_u32 v21, vcc_lo, v5, v48
	s_wait_alu 0xfffd
	v_add_co_ci_u32_e64 v6, null, 0, v6, vcc_lo
	s_delay_alu instid0(VALU_DEP_2) | instskip(SKIP_2) | instid1(VALU_DEP_2)
	v_add_co_u32 v5, vcc_lo, 0, v21
	s_wait_dscnt 0x0
	s_wait_alu 0xfffd
	v_add_co_ci_u32_e64 v6, null, v22, v6, vcc_lo
.LBB1146_75:                            ;   in Loop: Header=BB1146_66 Depth=1
	s_wait_alu 0xfffe
	s_or_b32 exec_lo, exec_lo, s5
	s_wait_dscnt 0x1
	ds_bpermute_b32 v48, v42, v21
	s_wait_dscnt 0x1
	ds_bpermute_b32 v22, v42, v6
	s_mov_b32 s5, exec_lo
	v_cmpx_le_u32_e64 v43, v8
	;; [unrolled: 20-line block ×3, first 2 shown]
	s_cbranch_execz .LBB1146_79
; %bb.78:                               ;   in Loop: Header=BB1146_66 Depth=1
	s_wait_dscnt 0x1
	v_add_co_u32 v21, vcc_lo, v5, v48
	s_wait_alu 0xfffd
	v_add_co_ci_u32_e64 v6, null, 0, v6, vcc_lo
	s_delay_alu instid0(VALU_DEP_2) | instskip(SKIP_2) | instid1(VALU_DEP_2)
	v_add_co_u32 v5, vcc_lo, 0, v21
	s_wait_dscnt 0x0
	s_wait_alu 0xfffd
	v_add_co_ci_u32_e64 v6, null, v22, v6, vcc_lo
.LBB1146_79:                            ;   in Loop: Header=BB1146_66 Depth=1
	s_wait_alu 0xfffe
	s_or_b32 exec_lo, exec_lo, s5
	s_wait_dscnt 0x0
	ds_bpermute_b32 v22, v46, v21
	ds_bpermute_b32 v21, v46, v6
	s_mov_b32 s5, exec_lo
	v_cmpx_le_u32_e64 v47, v8
	s_cbranch_execz .LBB1146_64
; %bb.80:                               ;   in Loop: Header=BB1146_66 Depth=1
	s_wait_dscnt 0x1
	v_add_co_u32 v5, vcc_lo, v5, v22
	s_wait_alu 0xfffd
	v_add_co_ci_u32_e64 v6, null, 0, v6, vcc_lo
	s_delay_alu instid0(VALU_DEP_2) | instskip(SKIP_2) | instid1(VALU_DEP_2)
	v_add_co_u32 v5, vcc_lo, v5, 0
	s_wait_dscnt 0x0
	s_wait_alu 0xfffd
	v_add_co_ci_u32_e64 v6, null, v6, v21, vcc_lo
	s_branch .LBB1146_64
.LBB1146_81:
                                        ; implicit-def: $vgpr17_vgpr18
                                        ; implicit-def: $vgpr6_vgpr7
                                        ; implicit-def: $vgpr19_vgpr20
                                        ; implicit-def: $vgpr21_vgpr22
                                        ; implicit-def: $vgpr23_vgpr24
                                        ; implicit-def: $vgpr25_vgpr26
                                        ; implicit-def: $vgpr27_vgpr28
                                        ; implicit-def: $vgpr4_vgpr5
	s_wait_alu 0xfffe
	s_and_b32 vcc_lo, exec_lo, s3
	s_wait_alu 0xfffe
	s_cbranch_vccnz .LBB1146_87
	s_branch .LBB1146_114
.LBB1146_82:
	s_and_saveexec_b32 s5, s3
	s_cbranch_execz .LBB1146_84
; %bb.83:
	s_add_co_i32 s16, ttmp9, 32
	s_mov_b32 s17, 0
	v_add_co_u32 v5, vcc_lo, v3, v1
	s_wait_alu 0xfffe
	s_lshl_b64 s[16:17], s[16:17], 4
	v_dual_mov_b32 v7, 2 :: v_dual_mov_b32 v8, 0
	s_wait_alu 0xfffe
	s_add_nc_u64 s[16:17], s[6:7], s[16:17]
	s_wait_alu 0xfffd
	v_add_co_ci_u32_e64 v6, null, v4, v2, vcc_lo
	s_wait_alu 0xfffe
	v_dual_mov_b32 v20, s17 :: v_dual_mov_b32 v19, s16
	;;#ASMSTART
	global_store_b128 v[19:20], v[5:8] off scope:SCOPE_DEV	
s_wait_storecnt 0x0
	;;#ASMEND
	ds_store_b128 v8, v[1:4] offset:10752
.LBB1146_84:
	s_wait_alu 0xfffe
	s_or_b32 exec_lo, exec_lo, s5
	v_cmp_eq_u32_e32 vcc_lo, 0, v0
	s_and_b32 exec_lo, exec_lo, vcc_lo
; %bb.85:
	v_mov_b32_e32 v1, 0
	ds_store_b64 v1, v[3:4] offset:88
.LBB1146_86:
	s_wait_alu 0xfffe
	s_or_b32 exec_lo, exec_lo, s4
	s_wait_dscnt 0x1
	v_cndmask_b32_e64 v4, v23, v17, s3
	v_cmp_ne_u32_e32 vcc_lo, 0, v0
	v_mov_b32_e32 v3, 0
	s_wait_loadcnt_dscnt 0x0
	s_barrier_signal -1
	s_barrier_wait -1
	global_inv scope:SCOPE_SE
	s_wait_alu 0xfffd
	v_cndmask_b32_e32 v4, 0, v4, vcc_lo
	ds_load_b64 v[1:2], v3 offset:88
	v_cndmask_b32_e64 v5, v24, v18, s3
	s_wait_loadcnt_dscnt 0x0
	s_barrier_signal -1
	s_barrier_wait -1
	global_inv scope:SCOPE_SE
	v_cndmask_b32_e32 v5, 0, v5, vcc_lo
	v_add_co_u32 v27, vcc_lo, v1, v4
	s_wait_alu 0xfffd
	s_delay_alu instid0(VALU_DEP_2) | instskip(SKIP_4) | instid1(VALU_DEP_2)
	v_add_co_ci_u32_e64 v28, null, v2, v5, vcc_lo
	ds_load_b128 v[2:5], v3 offset:10752
	v_add_co_u32 v25, vcc_lo, v27, v37
	s_wait_alu 0xfffd
	v_add_co_ci_u32_e64 v26, null, 0, v28, vcc_lo
	v_add_co_u32 v23, vcc_lo, v25, v36
	s_wait_alu 0xfffd
	s_delay_alu instid0(VALU_DEP_2) | instskip(NEXT) | instid1(VALU_DEP_2)
	v_add_co_ci_u32_e64 v24, null, 0, v26, vcc_lo
	v_add_co_u32 v21, vcc_lo, v23, v39
	s_wait_alu 0xfffd
	s_delay_alu instid0(VALU_DEP_2) | instskip(NEXT) | instid1(VALU_DEP_2)
	;; [unrolled: 4-line block ×4, first 2 shown]
	v_add_co_ci_u32_e64 v7, null, 0, v20, vcc_lo
	v_add_co_u32 v17, vcc_lo, v6, v35
	s_wait_alu 0xfffd
	s_delay_alu instid0(VALU_DEP_2)
	v_add_co_ci_u32_e64 v18, null, 0, v7, vcc_lo
	s_branch .LBB1146_114
.LBB1146_87:
	s_wait_dscnt 0x0
	v_dual_mov_b32 v2, 0 :: v_dual_mov_b32 v3, v15
	v_mov_b32_dpp v4, v15 row_shr:1 row_mask:0xf bank_mask:0xf
	s_delay_alu instid0(VALU_DEP_2)
	v_mov_b32_dpp v1, v2 row_shr:1 row_mask:0xf bank_mask:0xf
	s_and_saveexec_b32 s3, s2
; %bb.88:
	s_delay_alu instid0(VALU_DEP_2) | instskip(SKIP_2) | instid1(VALU_DEP_2)
	v_add_co_u32 v3, vcc_lo, v15, v4
	s_wait_alu 0xfffd
	v_add_co_ci_u32_e64 v2, null, 0, v16, vcc_lo
	v_add_co_u32 v15, vcc_lo, 0, v3
	s_wait_alu 0xfffd
	s_delay_alu instid0(VALU_DEP_2) | instskip(NEXT) | instid1(VALU_DEP_1)
	v_add_co_ci_u32_e64 v16, null, v1, v2, vcc_lo
	v_mov_b32_e32 v2, v16
; %bb.89:
	s_wait_alu 0xfffe
	s_or_b32 exec_lo, exec_lo, s3
	v_mov_b32_dpp v1, v3 row_shr:2 row_mask:0xf bank_mask:0xf
	s_delay_alu instid0(VALU_DEP_2)
	v_mov_b32_dpp v4, v2 row_shr:2 row_mask:0xf bank_mask:0xf
	v_cmp_lt_u32_e32 vcc_lo, 1, v41
	s_and_saveexec_b32 s4, vcc_lo
; %bb.90:
	s_delay_alu instid0(VALU_DEP_3) | instskip(SKIP_2) | instid1(VALU_DEP_2)
	v_add_co_u32 v3, s3, v15, v1
	s_wait_alu 0xf1ff
	v_add_co_ci_u32_e64 v2, null, 0, v16, s3
	v_add_co_u32 v1, s3, 0, v3
	s_wait_alu 0xf1ff
	s_delay_alu instid0(VALU_DEP_2) | instskip(NEXT) | instid1(VALU_DEP_1)
	v_add_co_ci_u32_e64 v2, null, v4, v2, s3
	v_dual_mov_b32 v16, v2 :: v_dual_mov_b32 v15, v1
; %bb.91:
	s_wait_alu 0xfffe
	s_or_b32 exec_lo, exec_lo, s4
	v_mov_b32_dpp v1, v3 row_shr:4 row_mask:0xf bank_mask:0xf
	v_mov_b32_dpp v4, v2 row_shr:4 row_mask:0xf bank_mask:0xf
	v_cmp_lt_u32_e64 s3, 3, v41
	s_and_saveexec_b32 s5, s3
; %bb.92:
	v_add_co_u32 v3, s4, v15, v1
	s_wait_alu 0xf1ff
	v_add_co_ci_u32_e64 v2, null, 0, v16, s4
	s_delay_alu instid0(VALU_DEP_2) | instskip(SKIP_1) | instid1(VALU_DEP_2)
	v_add_co_u32 v1, s4, 0, v3
	s_wait_alu 0xf1ff
	v_add_co_ci_u32_e64 v2, null, v4, v2, s4
	s_delay_alu instid0(VALU_DEP_1)
	v_dual_mov_b32 v16, v2 :: v_dual_mov_b32 v15, v1
; %bb.93:
	s_wait_alu 0xfffe
	s_or_b32 exec_lo, exec_lo, s5
	v_mov_b32_dpp v4, v3 row_shr:8 row_mask:0xf bank_mask:0xf
	v_mov_b32_dpp v1, v2 row_shr:8 row_mask:0xf bank_mask:0xf
	v_cmp_lt_u32_e64 s4, 7, v41
	s_and_saveexec_b32 s15, s4
; %bb.94:
	v_add_co_u32 v3, s5, v15, v4
	s_wait_alu 0xf1ff
	v_add_co_ci_u32_e64 v2, null, 0, v16, s5
	s_delay_alu instid0(VALU_DEP_2) | instskip(SKIP_1) | instid1(VALU_DEP_2)
	v_add_co_u32 v15, s5, 0, v3
	s_wait_alu 0xf1ff
	v_add_co_ci_u32_e64 v16, null, v1, v2, s5
	s_delay_alu instid0(VALU_DEP_1)
	v_mov_b32_e32 v2, v16
; %bb.95:
	s_wait_alu 0xfffe
	s_or_b32 exec_lo, exec_lo, s15
	ds_swizzle_b32 v3, v3 offset:swizzle(BROADCAST,32,15)
	ds_swizzle_b32 v1, v2 offset:swizzle(BROADCAST,32,15)
	v_and_b32_e32 v2, 16, v40
	s_mov_b32 s15, exec_lo
	s_delay_alu instid0(VALU_DEP_1)
	v_cmpx_ne_u32_e32 0, v2
	s_cbranch_execz .LBB1146_97
; %bb.96:
	s_wait_dscnt 0x1
	v_add_co_u32 v2, s5, v15, v3
	s_wait_alu 0xf1ff
	v_add_co_ci_u32_e64 v3, null, 0, v16, s5
	s_delay_alu instid0(VALU_DEP_2) | instskip(SKIP_2) | instid1(VALU_DEP_2)
	v_add_co_u32 v15, s5, v2, 0
	s_wait_dscnt 0x0
	s_wait_alu 0xf1ff
	v_add_co_ci_u32_e64 v16, null, v3, v1, s5
.LBB1146_97:
	s_wait_alu 0xfffe
	s_or_b32 exec_lo, exec_lo, s15
	s_wait_dscnt 0x0
	v_and_b32_e32 v1, 0x1e0, v0
	v_lshrrev_b32_e32 v3, 5, v0
	s_mov_b32 s15, exec_lo
	s_delay_alu instid0(VALU_DEP_2) | instskip(NEXT) | instid1(VALU_DEP_1)
	v_min_u32_e32 v1, 0x160, v1
	v_or_b32_e32 v1, 31, v1
	s_delay_alu instid0(VALU_DEP_1)
	v_cmpx_eq_u32_e64 v0, v1
; %bb.98:
	v_lshlrev_b32_e32 v1, 3, v3
	ds_store_b64 v1, v[15:16]
; %bb.99:
	s_wait_alu 0xfffe
	s_or_b32 exec_lo, exec_lo, s15
	s_delay_alu instid0(SALU_CYCLE_1)
	s_mov_b32 s15, exec_lo
	s_wait_loadcnt_dscnt 0x0
	s_barrier_signal -1
	s_barrier_wait -1
	global_inv scope:SCOPE_SE
	v_cmpx_gt_u32_e32 12, v0
	s_cbranch_execz .LBB1146_109
; %bb.100:
	v_mad_i32_i24 v1, 0xffffffec, v0, v34
	ds_load_b64 v[1:2], v1
	s_wait_dscnt 0x0
	v_mov_b32_dpp v6, v1 row_shr:1 row_mask:0xf bank_mask:0xf
	v_mov_b32_dpp v5, v2 row_shr:1 row_mask:0xf bank_mask:0xf
	v_mov_b32_e32 v4, v1
	s_and_saveexec_b32 s5, s2
; %bb.101:
	s_delay_alu instid0(VALU_DEP_3) | instskip(SKIP_2) | instid1(VALU_DEP_2)
	v_add_co_u32 v4, s2, v1, v6
	s_wait_alu 0xf1ff
	v_add_co_ci_u32_e64 v2, null, 0, v2, s2
	v_add_co_u32 v1, s2, 0, v4
	s_wait_alu 0xf1ff
	s_delay_alu instid0(VALU_DEP_2)
	v_add_co_ci_u32_e64 v2, null, v5, v2, s2
; %bb.102:
	s_wait_alu 0xfffe
	s_or_b32 exec_lo, exec_lo, s5
	v_mov_b32_dpp v6, v4 row_shr:2 row_mask:0xf bank_mask:0xf
	s_delay_alu instid0(VALU_DEP_2)
	v_mov_b32_dpp v5, v2 row_shr:2 row_mask:0xf bank_mask:0xf
	s_and_saveexec_b32 s2, vcc_lo
; %bb.103:
	s_delay_alu instid0(VALU_DEP_2) | instskip(SKIP_2) | instid1(VALU_DEP_2)
	v_add_co_u32 v4, vcc_lo, v1, v6
	s_wait_alu 0xfffd
	v_add_co_ci_u32_e64 v2, null, 0, v2, vcc_lo
	v_add_co_u32 v1, vcc_lo, 0, v4
	s_wait_alu 0xfffd
	s_delay_alu instid0(VALU_DEP_2)
	v_add_co_ci_u32_e64 v2, null, v5, v2, vcc_lo
; %bb.104:
	s_wait_alu 0xfffe
	s_or_b32 exec_lo, exec_lo, s2
	v_mov_b32_dpp v6, v4 row_shr:4 row_mask:0xf bank_mask:0xf
	s_delay_alu instid0(VALU_DEP_2)
	v_mov_b32_dpp v5, v2 row_shr:4 row_mask:0xf bank_mask:0xf
	s_and_saveexec_b32 s2, s3
; %bb.105:
	s_delay_alu instid0(VALU_DEP_2) | instskip(SKIP_2) | instid1(VALU_DEP_2)
	v_add_co_u32 v4, vcc_lo, v1, v6
	s_wait_alu 0xfffd
	v_add_co_ci_u32_e64 v2, null, 0, v2, vcc_lo
	v_add_co_u32 v1, vcc_lo, 0, v4
	s_wait_alu 0xfffd
	s_delay_alu instid0(VALU_DEP_2)
	v_add_co_ci_u32_e64 v2, null, v5, v2, vcc_lo
; %bb.106:
	s_wait_alu 0xfffe
	s_or_b32 exec_lo, exec_lo, s2
	v_mul_i32_i24_e32 v5, 0xffffffec, v0
	v_mov_b32_dpp v6, v4 row_shr:8 row_mask:0xf bank_mask:0xf
	v_mov_b32_dpp v4, v2 row_shr:8 row_mask:0xf bank_mask:0xf
	s_and_saveexec_b32 s2, s4
; %bb.107:
	s_delay_alu instid0(VALU_DEP_2) | instskip(SKIP_2) | instid1(VALU_DEP_2)
	v_add_co_u32 v1, vcc_lo, v1, v6
	s_wait_alu 0xfffd
	v_add_co_ci_u32_e64 v2, null, 0, v2, vcc_lo
	v_add_co_u32 v1, vcc_lo, v1, 0
	s_wait_alu 0xfffd
	s_delay_alu instid0(VALU_DEP_2)
	v_add_co_ci_u32_e64 v2, null, v2, v4, vcc_lo
; %bb.108:
	s_wait_alu 0xfffe
	s_or_b32 exec_lo, exec_lo, s2
	v_add_nc_u32_e32 v4, v34, v5
	ds_store_b64 v4, v[1:2]
.LBB1146_109:
	s_wait_alu 0xfffe
	s_or_b32 exec_lo, exec_lo, s15
	v_mov_b32_e32 v6, 0
	v_mov_b32_e32 v7, 0
	s_mov_b32 s2, exec_lo
	s_wait_loadcnt_dscnt 0x0
	s_barrier_signal -1
	s_barrier_wait -1
	global_inv scope:SCOPE_SE
	v_cmpx_lt_u32_e32 31, v0
; %bb.110:
	v_lshl_add_u32 v1, v3, 3, -8
	ds_load_b64 v[6:7], v1
; %bb.111:
	s_wait_alu 0xfffe
	s_or_b32 exec_lo, exec_lo, s2
	v_sub_co_u32 v1, vcc_lo, v40, 1
	v_mov_b32_e32 v5, 0
	s_delay_alu instid0(VALU_DEP_2) | instskip(SKIP_1) | instid1(VALU_DEP_1)
	v_cmp_gt_i32_e64 s2, 0, v1
	s_wait_alu 0xf1ff
	v_cndmask_b32_e64 v1, v1, v40, s2
	s_delay_alu instid0(VALU_DEP_1)
	v_lshlrev_b32_e32 v2, 2, v1
	s_wait_dscnt 0x0
	v_add_co_u32 v1, s2, v6, v15
	s_wait_alu 0xf1ff
	v_add_co_ci_u32_e64 v3, null, v7, v16, s2
	v_cmp_eq_u32_e64 s2, 0, v0
	ds_bpermute_b32 v1, v2, v1
	ds_bpermute_b32 v8, v2, v3
	ds_load_b64 v[2:3], v5 offset:88
	s_and_saveexec_b32 s3, s2
	s_cbranch_execz .LBB1146_113
; %bb.112:
	s_wait_kmcnt 0x0
	s_add_nc_u64 s[4:5], s[6:7], 0x200
	v_mov_b32_e32 v4, 2
	s_wait_alu 0xfffe
	v_dual_mov_b32 v16, s5 :: v_dual_mov_b32 v15, s4
	s_wait_dscnt 0x0
	;;#ASMSTART
	global_store_b128 v[15:16], v[2:5] off scope:SCOPE_DEV	
s_wait_storecnt 0x0
	;;#ASMEND
.LBB1146_113:
	s_wait_alu 0xfffe
	s_or_b32 exec_lo, exec_lo, s3
	s_wait_dscnt 0x1
	s_wait_alu 0xfffd
	v_dual_cndmask_b32 v1, v1, v6 :: v_dual_cndmask_b32 v4, v8, v7
	s_wait_loadcnt_dscnt 0x0
	s_barrier_signal -1
	s_barrier_wait -1
	s_delay_alu instid0(VALU_DEP_1)
	v_cndmask_b32_e64 v27, v1, 0, s2
	v_cndmask_b32_e64 v28, v4, 0, s2
	v_mov_b32_e32 v4, 0
	v_mov_b32_e32 v5, 0
	global_inv scope:SCOPE_SE
	v_add_co_u32 v25, vcc_lo, v27, v37
	s_wait_alu 0xfffd
	v_add_co_ci_u32_e64 v26, null, 0, v28, vcc_lo
	s_delay_alu instid0(VALU_DEP_2) | instskip(SKIP_1) | instid1(VALU_DEP_2)
	v_add_co_u32 v23, vcc_lo, v25, v36
	s_wait_alu 0xfffd
	v_add_co_ci_u32_e64 v24, null, 0, v26, vcc_lo
	s_delay_alu instid0(VALU_DEP_2) | instskip(SKIP_1) | instid1(VALU_DEP_2)
	;; [unrolled: 4-line block ×5, first 2 shown]
	v_add_co_u32 v17, vcc_lo, v6, v35
	s_wait_alu 0xfffd
	v_add_co_ci_u32_e64 v18, null, 0, v7, vcc_lo
.LBB1146_114:
	s_load_b64 s[2:3], s[0:1], 0x28
	v_lshrrev_b32_e32 v8, 8, v33
	v_lshrrev_b32_e32 v1, 16, v33
	v_and_b32_e32 v33, 1, v33
	s_wait_dscnt 0x0
	v_cmp_gt_u64_e32 vcc_lo, 0x181, v[2:3]
	s_mov_b32 s1, -1
	s_delay_alu instid0(VALU_DEP_2)
	v_cmp_eq_u32_e64 s0, 1, v33
	s_cbranch_vccnz .LBB1146_118
; %bb.115:
	s_wait_alu 0xfffe
	s_and_b32 vcc_lo, exec_lo, s1
	s_wait_alu 0xfffe
	s_cbranch_vccnz .LBB1146_133
.LBB1146_116:
	v_cmp_eq_u32_e32 vcc_lo, 0, v0
	s_and_b32 s0, vcc_lo, s12
	s_wait_alu 0xfffe
	s_and_saveexec_b32 s1, s0
	s_cbranch_execnz .LBB1146_150
.LBB1146_117:
	s_endpgm
.LBB1146_118:
	v_add_co_u32 v15, vcc_lo, v4, v2
	s_wait_alu 0xfffd
	v_add_co_ci_u32_e64 v16, null, v5, v3, vcc_lo
	s_wait_kmcnt 0x0
	s_lshl_b64 s[4:5], s[10:11], 2
	s_wait_alu 0xfffe
	s_add_nc_u64 s[4:5], s[2:3], s[4:5]
	v_cmp_lt_u64_e32 vcc_lo, v[27:28], v[15:16]
	s_or_b32 s1, s13, vcc_lo
	s_wait_alu 0xfffe
	s_and_b32 s1, s1, s0
	s_wait_alu 0xfffe
	s_and_saveexec_b32 s0, s1
	s_cbranch_execz .LBB1146_120
; %bb.119:
	v_lshlrev_b64_e32 v[34:35], 2, v[27:28]
	s_delay_alu instid0(VALU_DEP_1) | instskip(SKIP_1) | instid1(VALU_DEP_2)
	v_add_co_u32 v34, vcc_lo, s4, v34
	s_wait_alu 0xfffd
	v_add_co_ci_u32_e64 v35, null, s5, v35, vcc_lo
	global_store_b32 v[34:35], v13, off
.LBB1146_120:
	s_wait_alu 0xfffe
	s_or_b32 exec_lo, exec_lo, s0
	v_and_b32_e32 v28, 1, v8
	v_cmp_lt_u64_e32 vcc_lo, v[25:26], v[15:16]
	s_delay_alu instid0(VALU_DEP_2)
	v_cmp_eq_u32_e64 s0, 1, v28
	s_or_b32 s1, s13, vcc_lo
	s_wait_alu 0xfffe
	s_and_b32 s1, s1, s0
	s_wait_alu 0xfffe
	s_and_saveexec_b32 s0, s1
	s_cbranch_execz .LBB1146_122
; %bb.121:
	v_lshlrev_b64_e32 v[34:35], 2, v[25:26]
	s_delay_alu instid0(VALU_DEP_1) | instskip(SKIP_1) | instid1(VALU_DEP_2)
	v_add_co_u32 v34, vcc_lo, s4, v34
	s_wait_alu 0xfffd
	v_add_co_ci_u32_e64 v35, null, s5, v35, vcc_lo
	global_store_b32 v[34:35], v14, off
.LBB1146_122:
	s_wait_alu 0xfffe
	s_or_b32 exec_lo, exec_lo, s0
	v_and_b32_e32 v26, 1, v1
	v_cmp_lt_u64_e32 vcc_lo, v[23:24], v[15:16]
	s_delay_alu instid0(VALU_DEP_2)
	v_cmp_eq_u32_e64 s0, 1, v26
	;; [unrolled: 20-line block ×5, first 2 shown]
	s_or_b32 s1, s13, vcc_lo
	s_wait_alu 0xfffe
	s_and_b32 s1, s1, s0
	s_wait_alu 0xfffe
	s_and_saveexec_b32 s0, s1
	s_cbranch_execz .LBB1146_130
; %bb.129:
	v_lshlrev_b64_e32 v[34:35], 2, v[6:7]
	s_delay_alu instid0(VALU_DEP_1) | instskip(SKIP_1) | instid1(VALU_DEP_2)
	v_add_co_u32 v34, vcc_lo, s4, v34
	s_wait_alu 0xfffd
	v_add_co_ci_u32_e64 v35, null, s5, v35, vcc_lo
	global_store_b32 v[34:35], v10, off
.LBB1146_130:
	s_wait_alu 0xfffe
	s_or_b32 exec_lo, exec_lo, s0
	v_cmp_lt_u64_e32 vcc_lo, v[17:18], v[15:16]
	s_or_b32 s0, s13, vcc_lo
	s_wait_alu 0xfffe
	s_and_b32 s1, s0, s14
	s_wait_alu 0xfffe
	s_and_saveexec_b32 s0, s1
	s_cbranch_execz .LBB1146_132
; %bb.131:
	v_lshlrev_b64_e32 v[15:16], 2, v[17:18]
	s_delay_alu instid0(VALU_DEP_1) | instskip(SKIP_1) | instid1(VALU_DEP_2)
	v_add_co_u32 v15, vcc_lo, s4, v15
	s_wait_alu 0xfffd
	v_add_co_ci_u32_e64 v16, null, s5, v16, vcc_lo
	global_store_b32 v[15:16], v29, off
.LBB1146_132:
	s_wait_alu 0xfffe
	s_or_b32 exec_lo, exec_lo, s0
	s_branch .LBB1146_116
.LBB1146_133:
	s_mov_b32 s0, exec_lo
	v_cmpx_eq_u32_e32 1, v33
; %bb.134:
	v_sub_nc_u32_e32 v7, v27, v4
	s_delay_alu instid0(VALU_DEP_1)
	v_lshlrev_b32_e32 v7, 2, v7
	ds_store_b32 v7, v13
; %bb.135:
	s_wait_alu 0xfffe
	s_or_b32 exec_lo, exec_lo, s0
	v_and_b32_e32 v7, 1, v8
	s_mov_b32 s0, exec_lo
	s_delay_alu instid0(VALU_DEP_1)
	v_cmpx_eq_u32_e32 1, v7
; %bb.136:
	v_sub_nc_u32_e32 v7, v25, v4
	s_delay_alu instid0(VALU_DEP_1)
	v_lshlrev_b32_e32 v7, 2, v7
	ds_store_b32 v7, v14
; %bb.137:
	s_wait_alu 0xfffe
	s_or_b32 exec_lo, exec_lo, s0
	v_and_b32_e32 v1, 1, v1
	s_mov_b32 s0, exec_lo
	s_delay_alu instid0(VALU_DEP_1)
	;; [unrolled: 12-line block ×5, first 2 shown]
	v_cmpx_eq_u32_e32 1, v1
; %bb.144:
	v_sub_nc_u32_e32 v1, v6, v4
	s_delay_alu instid0(VALU_DEP_1)
	v_lshlrev_b32_e32 v1, 2, v1
	ds_store_b32 v1, v10
; %bb.145:
	s_wait_alu 0xfffe
	s_or_b32 exec_lo, exec_lo, s0
	s_and_saveexec_b32 s0, s14
; %bb.146:
	v_sub_nc_u32_e32 v1, v17, v4
	s_delay_alu instid0(VALU_DEP_1)
	v_lshlrev_b32_e32 v1, 2, v1
	ds_store_b32 v1, v29
; %bb.147:
	s_wait_alu 0xfffe
	s_or_b32 exec_lo, exec_lo, s0
	v_dual_mov_b32 v7, 0 :: v_dual_add_nc_u32 v6, 0x180, v0
	v_lshlrev_b64_e32 v[8:9], 2, v[4:5]
	s_wait_kmcnt 0x0
	s_lshl_b64 s[0:1], s[10:11], 2
	s_wait_storecnt 0x0
	s_wait_loadcnt_dscnt 0x0
	v_mov_b32_e32 v1, v7
	s_wait_alu 0xfffe
	s_add_nc_u64 s[0:1], s[2:3], s[0:1]
	s_barrier_signal -1
	s_wait_alu 0xfffe
	v_add_co_u32 v10, vcc_lo, s0, v8
	s_wait_alu 0xfffd
	v_add_co_ci_u32_e64 v11, null, s1, v9, vcc_lo
	v_dual_mov_b32 v9, v1 :: v_dual_mov_b32 v8, v0
	s_mov_b32 s1, 0
	s_barrier_wait -1
	global_inv scope:SCOPE_SE
.LBB1146_148:                           ; =>This Inner Loop Header: Depth=1
	v_lshlrev_b32_e32 v1, 2, v8
	v_lshlrev_b64_e32 v[12:13], 2, v[8:9]
	v_dual_mov_b32 v9, v7 :: v_dual_mov_b32 v8, v6
	v_cmp_le_u64_e32 vcc_lo, v[2:3], v[6:7]
	ds_load_b32 v1, v1
	v_add_nc_u32_e32 v6, 0x180, v6
	v_add_co_u32 v12, s0, v10, v12
	s_wait_alu 0xf1ff
	v_add_co_ci_u32_e64 v13, null, v11, v13, s0
	s_wait_alu 0xfffe
	s_or_b32 s1, vcc_lo, s1
	s_wait_dscnt 0x0
	global_store_b32 v[12:13], v1, off
	s_wait_alu 0xfffe
	s_and_not1_b32 exec_lo, exec_lo, s1
	s_cbranch_execnz .LBB1146_148
; %bb.149:
	s_or_b32 exec_lo, exec_lo, s1
	v_cmp_eq_u32_e32 vcc_lo, 0, v0
	s_and_b32 s0, vcc_lo, s12
	s_wait_alu 0xfffe
	s_and_saveexec_b32 s1, s0
	s_cbranch_execz .LBB1146_117
.LBB1146_150:
	v_add_co_u32 v0, vcc_lo, v4, v2
	s_wait_alu 0xfffd
	v_add_co_ci_u32_e64 v1, null, v5, v3, vcc_lo
	v_mov_b32_e32 v2, 0
	s_wait_kmcnt 0x0
	v_add_co_u32 v0, vcc_lo, v0, s10
	s_wait_alu 0xfffd
	v_add_co_ci_u32_e64 v1, null, s11, v1, vcc_lo
	global_store_b64 v2, v[0:1], s[8:9]
	s_endpgm
	.section	.rodata,"a",@progbits
	.p2align	6, 0x0
	.amdhsa_kernel _ZN7rocprim17ROCPRIM_400000_NS6detail17trampoline_kernelINS0_14default_configENS1_25partition_config_selectorILNS1_17partition_subalgoE6EjNS0_10empty_typeEbEEZZNS1_14partition_implILS5_6ELb0ES3_mN6thrust23THRUST_200600_302600_NS6detail15normal_iteratorINSA_10device_ptrIjEEEEPS6_SG_NS0_5tupleIJSF_S6_EEENSH_IJSG_SG_EEES6_PlJNSB_9not_fun_tI7is_trueIjEEEEEE10hipError_tPvRmT3_T4_T5_T6_T7_T9_mT8_P12ihipStream_tbDpT10_ENKUlT_T0_E_clISt17integral_constantIbLb0EES18_EEDaS13_S14_EUlS13_E_NS1_11comp_targetILNS1_3genE10ELNS1_11target_archE1200ELNS1_3gpuE4ELNS1_3repE0EEENS1_30default_config_static_selectorELNS0_4arch9wavefront6targetE0EEEvT1_
		.amdhsa_group_segment_fixed_size 10768
		.amdhsa_private_segment_fixed_size 0
		.amdhsa_kernarg_size 112
		.amdhsa_user_sgpr_count 2
		.amdhsa_user_sgpr_dispatch_ptr 0
		.amdhsa_user_sgpr_queue_ptr 0
		.amdhsa_user_sgpr_kernarg_segment_ptr 1
		.amdhsa_user_sgpr_dispatch_id 0
		.amdhsa_user_sgpr_private_segment_size 0
		.amdhsa_wavefront_size32 1
		.amdhsa_uses_dynamic_stack 0
		.amdhsa_enable_private_segment 0
		.amdhsa_system_sgpr_workgroup_id_x 1
		.amdhsa_system_sgpr_workgroup_id_y 0
		.amdhsa_system_sgpr_workgroup_id_z 0
		.amdhsa_system_sgpr_workgroup_info 0
		.amdhsa_system_vgpr_workitem_id 0
		.amdhsa_next_free_vgpr 49
		.amdhsa_next_free_sgpr 19
		.amdhsa_reserve_vcc 1
		.amdhsa_float_round_mode_32 0
		.amdhsa_float_round_mode_16_64 0
		.amdhsa_float_denorm_mode_32 3
		.amdhsa_float_denorm_mode_16_64 3
		.amdhsa_fp16_overflow 0
		.amdhsa_workgroup_processor_mode 1
		.amdhsa_memory_ordered 1
		.amdhsa_forward_progress 1
		.amdhsa_inst_pref_size 59
		.amdhsa_round_robin_scheduling 0
		.amdhsa_exception_fp_ieee_invalid_op 0
		.amdhsa_exception_fp_denorm_src 0
		.amdhsa_exception_fp_ieee_div_zero 0
		.amdhsa_exception_fp_ieee_overflow 0
		.amdhsa_exception_fp_ieee_underflow 0
		.amdhsa_exception_fp_ieee_inexact 0
		.amdhsa_exception_int_div_zero 0
	.end_amdhsa_kernel
	.section	.text._ZN7rocprim17ROCPRIM_400000_NS6detail17trampoline_kernelINS0_14default_configENS1_25partition_config_selectorILNS1_17partition_subalgoE6EjNS0_10empty_typeEbEEZZNS1_14partition_implILS5_6ELb0ES3_mN6thrust23THRUST_200600_302600_NS6detail15normal_iteratorINSA_10device_ptrIjEEEEPS6_SG_NS0_5tupleIJSF_S6_EEENSH_IJSG_SG_EEES6_PlJNSB_9not_fun_tI7is_trueIjEEEEEE10hipError_tPvRmT3_T4_T5_T6_T7_T9_mT8_P12ihipStream_tbDpT10_ENKUlT_T0_E_clISt17integral_constantIbLb0EES18_EEDaS13_S14_EUlS13_E_NS1_11comp_targetILNS1_3genE10ELNS1_11target_archE1200ELNS1_3gpuE4ELNS1_3repE0EEENS1_30default_config_static_selectorELNS0_4arch9wavefront6targetE0EEEvT1_,"axG",@progbits,_ZN7rocprim17ROCPRIM_400000_NS6detail17trampoline_kernelINS0_14default_configENS1_25partition_config_selectorILNS1_17partition_subalgoE6EjNS0_10empty_typeEbEEZZNS1_14partition_implILS5_6ELb0ES3_mN6thrust23THRUST_200600_302600_NS6detail15normal_iteratorINSA_10device_ptrIjEEEEPS6_SG_NS0_5tupleIJSF_S6_EEENSH_IJSG_SG_EEES6_PlJNSB_9not_fun_tI7is_trueIjEEEEEE10hipError_tPvRmT3_T4_T5_T6_T7_T9_mT8_P12ihipStream_tbDpT10_ENKUlT_T0_E_clISt17integral_constantIbLb0EES18_EEDaS13_S14_EUlS13_E_NS1_11comp_targetILNS1_3genE10ELNS1_11target_archE1200ELNS1_3gpuE4ELNS1_3repE0EEENS1_30default_config_static_selectorELNS0_4arch9wavefront6targetE0EEEvT1_,comdat
.Lfunc_end1146:
	.size	_ZN7rocprim17ROCPRIM_400000_NS6detail17trampoline_kernelINS0_14default_configENS1_25partition_config_selectorILNS1_17partition_subalgoE6EjNS0_10empty_typeEbEEZZNS1_14partition_implILS5_6ELb0ES3_mN6thrust23THRUST_200600_302600_NS6detail15normal_iteratorINSA_10device_ptrIjEEEEPS6_SG_NS0_5tupleIJSF_S6_EEENSH_IJSG_SG_EEES6_PlJNSB_9not_fun_tI7is_trueIjEEEEEE10hipError_tPvRmT3_T4_T5_T6_T7_T9_mT8_P12ihipStream_tbDpT10_ENKUlT_T0_E_clISt17integral_constantIbLb0EES18_EEDaS13_S14_EUlS13_E_NS1_11comp_targetILNS1_3genE10ELNS1_11target_archE1200ELNS1_3gpuE4ELNS1_3repE0EEENS1_30default_config_static_selectorELNS0_4arch9wavefront6targetE0EEEvT1_, .Lfunc_end1146-_ZN7rocprim17ROCPRIM_400000_NS6detail17trampoline_kernelINS0_14default_configENS1_25partition_config_selectorILNS1_17partition_subalgoE6EjNS0_10empty_typeEbEEZZNS1_14partition_implILS5_6ELb0ES3_mN6thrust23THRUST_200600_302600_NS6detail15normal_iteratorINSA_10device_ptrIjEEEEPS6_SG_NS0_5tupleIJSF_S6_EEENSH_IJSG_SG_EEES6_PlJNSB_9not_fun_tI7is_trueIjEEEEEE10hipError_tPvRmT3_T4_T5_T6_T7_T9_mT8_P12ihipStream_tbDpT10_ENKUlT_T0_E_clISt17integral_constantIbLb0EES18_EEDaS13_S14_EUlS13_E_NS1_11comp_targetILNS1_3genE10ELNS1_11target_archE1200ELNS1_3gpuE4ELNS1_3repE0EEENS1_30default_config_static_selectorELNS0_4arch9wavefront6targetE0EEEvT1_
                                        ; -- End function
	.set _ZN7rocprim17ROCPRIM_400000_NS6detail17trampoline_kernelINS0_14default_configENS1_25partition_config_selectorILNS1_17partition_subalgoE6EjNS0_10empty_typeEbEEZZNS1_14partition_implILS5_6ELb0ES3_mN6thrust23THRUST_200600_302600_NS6detail15normal_iteratorINSA_10device_ptrIjEEEEPS6_SG_NS0_5tupleIJSF_S6_EEENSH_IJSG_SG_EEES6_PlJNSB_9not_fun_tI7is_trueIjEEEEEE10hipError_tPvRmT3_T4_T5_T6_T7_T9_mT8_P12ihipStream_tbDpT10_ENKUlT_T0_E_clISt17integral_constantIbLb0EES18_EEDaS13_S14_EUlS13_E_NS1_11comp_targetILNS1_3genE10ELNS1_11target_archE1200ELNS1_3gpuE4ELNS1_3repE0EEENS1_30default_config_static_selectorELNS0_4arch9wavefront6targetE0EEEvT1_.num_vgpr, 49
	.set _ZN7rocprim17ROCPRIM_400000_NS6detail17trampoline_kernelINS0_14default_configENS1_25partition_config_selectorILNS1_17partition_subalgoE6EjNS0_10empty_typeEbEEZZNS1_14partition_implILS5_6ELb0ES3_mN6thrust23THRUST_200600_302600_NS6detail15normal_iteratorINSA_10device_ptrIjEEEEPS6_SG_NS0_5tupleIJSF_S6_EEENSH_IJSG_SG_EEES6_PlJNSB_9not_fun_tI7is_trueIjEEEEEE10hipError_tPvRmT3_T4_T5_T6_T7_T9_mT8_P12ihipStream_tbDpT10_ENKUlT_T0_E_clISt17integral_constantIbLb0EES18_EEDaS13_S14_EUlS13_E_NS1_11comp_targetILNS1_3genE10ELNS1_11target_archE1200ELNS1_3gpuE4ELNS1_3repE0EEENS1_30default_config_static_selectorELNS0_4arch9wavefront6targetE0EEEvT1_.num_agpr, 0
	.set _ZN7rocprim17ROCPRIM_400000_NS6detail17trampoline_kernelINS0_14default_configENS1_25partition_config_selectorILNS1_17partition_subalgoE6EjNS0_10empty_typeEbEEZZNS1_14partition_implILS5_6ELb0ES3_mN6thrust23THRUST_200600_302600_NS6detail15normal_iteratorINSA_10device_ptrIjEEEEPS6_SG_NS0_5tupleIJSF_S6_EEENSH_IJSG_SG_EEES6_PlJNSB_9not_fun_tI7is_trueIjEEEEEE10hipError_tPvRmT3_T4_T5_T6_T7_T9_mT8_P12ihipStream_tbDpT10_ENKUlT_T0_E_clISt17integral_constantIbLb0EES18_EEDaS13_S14_EUlS13_E_NS1_11comp_targetILNS1_3genE10ELNS1_11target_archE1200ELNS1_3gpuE4ELNS1_3repE0EEENS1_30default_config_static_selectorELNS0_4arch9wavefront6targetE0EEEvT1_.numbered_sgpr, 19
	.set _ZN7rocprim17ROCPRIM_400000_NS6detail17trampoline_kernelINS0_14default_configENS1_25partition_config_selectorILNS1_17partition_subalgoE6EjNS0_10empty_typeEbEEZZNS1_14partition_implILS5_6ELb0ES3_mN6thrust23THRUST_200600_302600_NS6detail15normal_iteratorINSA_10device_ptrIjEEEEPS6_SG_NS0_5tupleIJSF_S6_EEENSH_IJSG_SG_EEES6_PlJNSB_9not_fun_tI7is_trueIjEEEEEE10hipError_tPvRmT3_T4_T5_T6_T7_T9_mT8_P12ihipStream_tbDpT10_ENKUlT_T0_E_clISt17integral_constantIbLb0EES18_EEDaS13_S14_EUlS13_E_NS1_11comp_targetILNS1_3genE10ELNS1_11target_archE1200ELNS1_3gpuE4ELNS1_3repE0EEENS1_30default_config_static_selectorELNS0_4arch9wavefront6targetE0EEEvT1_.num_named_barrier, 0
	.set _ZN7rocprim17ROCPRIM_400000_NS6detail17trampoline_kernelINS0_14default_configENS1_25partition_config_selectorILNS1_17partition_subalgoE6EjNS0_10empty_typeEbEEZZNS1_14partition_implILS5_6ELb0ES3_mN6thrust23THRUST_200600_302600_NS6detail15normal_iteratorINSA_10device_ptrIjEEEEPS6_SG_NS0_5tupleIJSF_S6_EEENSH_IJSG_SG_EEES6_PlJNSB_9not_fun_tI7is_trueIjEEEEEE10hipError_tPvRmT3_T4_T5_T6_T7_T9_mT8_P12ihipStream_tbDpT10_ENKUlT_T0_E_clISt17integral_constantIbLb0EES18_EEDaS13_S14_EUlS13_E_NS1_11comp_targetILNS1_3genE10ELNS1_11target_archE1200ELNS1_3gpuE4ELNS1_3repE0EEENS1_30default_config_static_selectorELNS0_4arch9wavefront6targetE0EEEvT1_.private_seg_size, 0
	.set _ZN7rocprim17ROCPRIM_400000_NS6detail17trampoline_kernelINS0_14default_configENS1_25partition_config_selectorILNS1_17partition_subalgoE6EjNS0_10empty_typeEbEEZZNS1_14partition_implILS5_6ELb0ES3_mN6thrust23THRUST_200600_302600_NS6detail15normal_iteratorINSA_10device_ptrIjEEEEPS6_SG_NS0_5tupleIJSF_S6_EEENSH_IJSG_SG_EEES6_PlJNSB_9not_fun_tI7is_trueIjEEEEEE10hipError_tPvRmT3_T4_T5_T6_T7_T9_mT8_P12ihipStream_tbDpT10_ENKUlT_T0_E_clISt17integral_constantIbLb0EES18_EEDaS13_S14_EUlS13_E_NS1_11comp_targetILNS1_3genE10ELNS1_11target_archE1200ELNS1_3gpuE4ELNS1_3repE0EEENS1_30default_config_static_selectorELNS0_4arch9wavefront6targetE0EEEvT1_.uses_vcc, 1
	.set _ZN7rocprim17ROCPRIM_400000_NS6detail17trampoline_kernelINS0_14default_configENS1_25partition_config_selectorILNS1_17partition_subalgoE6EjNS0_10empty_typeEbEEZZNS1_14partition_implILS5_6ELb0ES3_mN6thrust23THRUST_200600_302600_NS6detail15normal_iteratorINSA_10device_ptrIjEEEEPS6_SG_NS0_5tupleIJSF_S6_EEENSH_IJSG_SG_EEES6_PlJNSB_9not_fun_tI7is_trueIjEEEEEE10hipError_tPvRmT3_T4_T5_T6_T7_T9_mT8_P12ihipStream_tbDpT10_ENKUlT_T0_E_clISt17integral_constantIbLb0EES18_EEDaS13_S14_EUlS13_E_NS1_11comp_targetILNS1_3genE10ELNS1_11target_archE1200ELNS1_3gpuE4ELNS1_3repE0EEENS1_30default_config_static_selectorELNS0_4arch9wavefront6targetE0EEEvT1_.uses_flat_scratch, 1
	.set _ZN7rocprim17ROCPRIM_400000_NS6detail17trampoline_kernelINS0_14default_configENS1_25partition_config_selectorILNS1_17partition_subalgoE6EjNS0_10empty_typeEbEEZZNS1_14partition_implILS5_6ELb0ES3_mN6thrust23THRUST_200600_302600_NS6detail15normal_iteratorINSA_10device_ptrIjEEEEPS6_SG_NS0_5tupleIJSF_S6_EEENSH_IJSG_SG_EEES6_PlJNSB_9not_fun_tI7is_trueIjEEEEEE10hipError_tPvRmT3_T4_T5_T6_T7_T9_mT8_P12ihipStream_tbDpT10_ENKUlT_T0_E_clISt17integral_constantIbLb0EES18_EEDaS13_S14_EUlS13_E_NS1_11comp_targetILNS1_3genE10ELNS1_11target_archE1200ELNS1_3gpuE4ELNS1_3repE0EEENS1_30default_config_static_selectorELNS0_4arch9wavefront6targetE0EEEvT1_.has_dyn_sized_stack, 0
	.set _ZN7rocprim17ROCPRIM_400000_NS6detail17trampoline_kernelINS0_14default_configENS1_25partition_config_selectorILNS1_17partition_subalgoE6EjNS0_10empty_typeEbEEZZNS1_14partition_implILS5_6ELb0ES3_mN6thrust23THRUST_200600_302600_NS6detail15normal_iteratorINSA_10device_ptrIjEEEEPS6_SG_NS0_5tupleIJSF_S6_EEENSH_IJSG_SG_EEES6_PlJNSB_9not_fun_tI7is_trueIjEEEEEE10hipError_tPvRmT3_T4_T5_T6_T7_T9_mT8_P12ihipStream_tbDpT10_ENKUlT_T0_E_clISt17integral_constantIbLb0EES18_EEDaS13_S14_EUlS13_E_NS1_11comp_targetILNS1_3genE10ELNS1_11target_archE1200ELNS1_3gpuE4ELNS1_3repE0EEENS1_30default_config_static_selectorELNS0_4arch9wavefront6targetE0EEEvT1_.has_recursion, 0
	.set _ZN7rocprim17ROCPRIM_400000_NS6detail17trampoline_kernelINS0_14default_configENS1_25partition_config_selectorILNS1_17partition_subalgoE6EjNS0_10empty_typeEbEEZZNS1_14partition_implILS5_6ELb0ES3_mN6thrust23THRUST_200600_302600_NS6detail15normal_iteratorINSA_10device_ptrIjEEEEPS6_SG_NS0_5tupleIJSF_S6_EEENSH_IJSG_SG_EEES6_PlJNSB_9not_fun_tI7is_trueIjEEEEEE10hipError_tPvRmT3_T4_T5_T6_T7_T9_mT8_P12ihipStream_tbDpT10_ENKUlT_T0_E_clISt17integral_constantIbLb0EES18_EEDaS13_S14_EUlS13_E_NS1_11comp_targetILNS1_3genE10ELNS1_11target_archE1200ELNS1_3gpuE4ELNS1_3repE0EEENS1_30default_config_static_selectorELNS0_4arch9wavefront6targetE0EEEvT1_.has_indirect_call, 0
	.section	.AMDGPU.csdata,"",@progbits
; Kernel info:
; codeLenInByte = 7436
; TotalNumSgprs: 21
; NumVgprs: 49
; ScratchSize: 0
; MemoryBound: 0
; FloatMode: 240
; IeeeMode: 1
; LDSByteSize: 10768 bytes/workgroup (compile time only)
; SGPRBlocks: 0
; VGPRBlocks: 6
; NumSGPRsForWavesPerEU: 21
; NumVGPRsForWavesPerEU: 49
; Occupancy: 15
; WaveLimiterHint : 1
; COMPUTE_PGM_RSRC2:SCRATCH_EN: 0
; COMPUTE_PGM_RSRC2:USER_SGPR: 2
; COMPUTE_PGM_RSRC2:TRAP_HANDLER: 0
; COMPUTE_PGM_RSRC2:TGID_X_EN: 1
; COMPUTE_PGM_RSRC2:TGID_Y_EN: 0
; COMPUTE_PGM_RSRC2:TGID_Z_EN: 0
; COMPUTE_PGM_RSRC2:TIDIG_COMP_CNT: 0
	.section	.text._ZN7rocprim17ROCPRIM_400000_NS6detail17trampoline_kernelINS0_14default_configENS1_25partition_config_selectorILNS1_17partition_subalgoE6EjNS0_10empty_typeEbEEZZNS1_14partition_implILS5_6ELb0ES3_mN6thrust23THRUST_200600_302600_NS6detail15normal_iteratorINSA_10device_ptrIjEEEEPS6_SG_NS0_5tupleIJSF_S6_EEENSH_IJSG_SG_EEES6_PlJNSB_9not_fun_tI7is_trueIjEEEEEE10hipError_tPvRmT3_T4_T5_T6_T7_T9_mT8_P12ihipStream_tbDpT10_ENKUlT_T0_E_clISt17integral_constantIbLb0EES18_EEDaS13_S14_EUlS13_E_NS1_11comp_targetILNS1_3genE9ELNS1_11target_archE1100ELNS1_3gpuE3ELNS1_3repE0EEENS1_30default_config_static_selectorELNS0_4arch9wavefront6targetE0EEEvT1_,"axG",@progbits,_ZN7rocprim17ROCPRIM_400000_NS6detail17trampoline_kernelINS0_14default_configENS1_25partition_config_selectorILNS1_17partition_subalgoE6EjNS0_10empty_typeEbEEZZNS1_14partition_implILS5_6ELb0ES3_mN6thrust23THRUST_200600_302600_NS6detail15normal_iteratorINSA_10device_ptrIjEEEEPS6_SG_NS0_5tupleIJSF_S6_EEENSH_IJSG_SG_EEES6_PlJNSB_9not_fun_tI7is_trueIjEEEEEE10hipError_tPvRmT3_T4_T5_T6_T7_T9_mT8_P12ihipStream_tbDpT10_ENKUlT_T0_E_clISt17integral_constantIbLb0EES18_EEDaS13_S14_EUlS13_E_NS1_11comp_targetILNS1_3genE9ELNS1_11target_archE1100ELNS1_3gpuE3ELNS1_3repE0EEENS1_30default_config_static_selectorELNS0_4arch9wavefront6targetE0EEEvT1_,comdat
	.protected	_ZN7rocprim17ROCPRIM_400000_NS6detail17trampoline_kernelINS0_14default_configENS1_25partition_config_selectorILNS1_17partition_subalgoE6EjNS0_10empty_typeEbEEZZNS1_14partition_implILS5_6ELb0ES3_mN6thrust23THRUST_200600_302600_NS6detail15normal_iteratorINSA_10device_ptrIjEEEEPS6_SG_NS0_5tupleIJSF_S6_EEENSH_IJSG_SG_EEES6_PlJNSB_9not_fun_tI7is_trueIjEEEEEE10hipError_tPvRmT3_T4_T5_T6_T7_T9_mT8_P12ihipStream_tbDpT10_ENKUlT_T0_E_clISt17integral_constantIbLb0EES18_EEDaS13_S14_EUlS13_E_NS1_11comp_targetILNS1_3genE9ELNS1_11target_archE1100ELNS1_3gpuE3ELNS1_3repE0EEENS1_30default_config_static_selectorELNS0_4arch9wavefront6targetE0EEEvT1_ ; -- Begin function _ZN7rocprim17ROCPRIM_400000_NS6detail17trampoline_kernelINS0_14default_configENS1_25partition_config_selectorILNS1_17partition_subalgoE6EjNS0_10empty_typeEbEEZZNS1_14partition_implILS5_6ELb0ES3_mN6thrust23THRUST_200600_302600_NS6detail15normal_iteratorINSA_10device_ptrIjEEEEPS6_SG_NS0_5tupleIJSF_S6_EEENSH_IJSG_SG_EEES6_PlJNSB_9not_fun_tI7is_trueIjEEEEEE10hipError_tPvRmT3_T4_T5_T6_T7_T9_mT8_P12ihipStream_tbDpT10_ENKUlT_T0_E_clISt17integral_constantIbLb0EES18_EEDaS13_S14_EUlS13_E_NS1_11comp_targetILNS1_3genE9ELNS1_11target_archE1100ELNS1_3gpuE3ELNS1_3repE0EEENS1_30default_config_static_selectorELNS0_4arch9wavefront6targetE0EEEvT1_
	.globl	_ZN7rocprim17ROCPRIM_400000_NS6detail17trampoline_kernelINS0_14default_configENS1_25partition_config_selectorILNS1_17partition_subalgoE6EjNS0_10empty_typeEbEEZZNS1_14partition_implILS5_6ELb0ES3_mN6thrust23THRUST_200600_302600_NS6detail15normal_iteratorINSA_10device_ptrIjEEEEPS6_SG_NS0_5tupleIJSF_S6_EEENSH_IJSG_SG_EEES6_PlJNSB_9not_fun_tI7is_trueIjEEEEEE10hipError_tPvRmT3_T4_T5_T6_T7_T9_mT8_P12ihipStream_tbDpT10_ENKUlT_T0_E_clISt17integral_constantIbLb0EES18_EEDaS13_S14_EUlS13_E_NS1_11comp_targetILNS1_3genE9ELNS1_11target_archE1100ELNS1_3gpuE3ELNS1_3repE0EEENS1_30default_config_static_selectorELNS0_4arch9wavefront6targetE0EEEvT1_
	.p2align	8
	.type	_ZN7rocprim17ROCPRIM_400000_NS6detail17trampoline_kernelINS0_14default_configENS1_25partition_config_selectorILNS1_17partition_subalgoE6EjNS0_10empty_typeEbEEZZNS1_14partition_implILS5_6ELb0ES3_mN6thrust23THRUST_200600_302600_NS6detail15normal_iteratorINSA_10device_ptrIjEEEEPS6_SG_NS0_5tupleIJSF_S6_EEENSH_IJSG_SG_EEES6_PlJNSB_9not_fun_tI7is_trueIjEEEEEE10hipError_tPvRmT3_T4_T5_T6_T7_T9_mT8_P12ihipStream_tbDpT10_ENKUlT_T0_E_clISt17integral_constantIbLb0EES18_EEDaS13_S14_EUlS13_E_NS1_11comp_targetILNS1_3genE9ELNS1_11target_archE1100ELNS1_3gpuE3ELNS1_3repE0EEENS1_30default_config_static_selectorELNS0_4arch9wavefront6targetE0EEEvT1_,@function
_ZN7rocprim17ROCPRIM_400000_NS6detail17trampoline_kernelINS0_14default_configENS1_25partition_config_selectorILNS1_17partition_subalgoE6EjNS0_10empty_typeEbEEZZNS1_14partition_implILS5_6ELb0ES3_mN6thrust23THRUST_200600_302600_NS6detail15normal_iteratorINSA_10device_ptrIjEEEEPS6_SG_NS0_5tupleIJSF_S6_EEENSH_IJSG_SG_EEES6_PlJNSB_9not_fun_tI7is_trueIjEEEEEE10hipError_tPvRmT3_T4_T5_T6_T7_T9_mT8_P12ihipStream_tbDpT10_ENKUlT_T0_E_clISt17integral_constantIbLb0EES18_EEDaS13_S14_EUlS13_E_NS1_11comp_targetILNS1_3genE9ELNS1_11target_archE1100ELNS1_3gpuE3ELNS1_3repE0EEENS1_30default_config_static_selectorELNS0_4arch9wavefront6targetE0EEEvT1_: ; @_ZN7rocprim17ROCPRIM_400000_NS6detail17trampoline_kernelINS0_14default_configENS1_25partition_config_selectorILNS1_17partition_subalgoE6EjNS0_10empty_typeEbEEZZNS1_14partition_implILS5_6ELb0ES3_mN6thrust23THRUST_200600_302600_NS6detail15normal_iteratorINSA_10device_ptrIjEEEEPS6_SG_NS0_5tupleIJSF_S6_EEENSH_IJSG_SG_EEES6_PlJNSB_9not_fun_tI7is_trueIjEEEEEE10hipError_tPvRmT3_T4_T5_T6_T7_T9_mT8_P12ihipStream_tbDpT10_ENKUlT_T0_E_clISt17integral_constantIbLb0EES18_EEDaS13_S14_EUlS13_E_NS1_11comp_targetILNS1_3genE9ELNS1_11target_archE1100ELNS1_3gpuE3ELNS1_3repE0EEENS1_30default_config_static_selectorELNS0_4arch9wavefront6targetE0EEEvT1_
; %bb.0:
	.section	.rodata,"a",@progbits
	.p2align	6, 0x0
	.amdhsa_kernel _ZN7rocprim17ROCPRIM_400000_NS6detail17trampoline_kernelINS0_14default_configENS1_25partition_config_selectorILNS1_17partition_subalgoE6EjNS0_10empty_typeEbEEZZNS1_14partition_implILS5_6ELb0ES3_mN6thrust23THRUST_200600_302600_NS6detail15normal_iteratorINSA_10device_ptrIjEEEEPS6_SG_NS0_5tupleIJSF_S6_EEENSH_IJSG_SG_EEES6_PlJNSB_9not_fun_tI7is_trueIjEEEEEE10hipError_tPvRmT3_T4_T5_T6_T7_T9_mT8_P12ihipStream_tbDpT10_ENKUlT_T0_E_clISt17integral_constantIbLb0EES18_EEDaS13_S14_EUlS13_E_NS1_11comp_targetILNS1_3genE9ELNS1_11target_archE1100ELNS1_3gpuE3ELNS1_3repE0EEENS1_30default_config_static_selectorELNS0_4arch9wavefront6targetE0EEEvT1_
		.amdhsa_group_segment_fixed_size 0
		.amdhsa_private_segment_fixed_size 0
		.amdhsa_kernarg_size 112
		.amdhsa_user_sgpr_count 2
		.amdhsa_user_sgpr_dispatch_ptr 0
		.amdhsa_user_sgpr_queue_ptr 0
		.amdhsa_user_sgpr_kernarg_segment_ptr 1
		.amdhsa_user_sgpr_dispatch_id 0
		.amdhsa_user_sgpr_private_segment_size 0
		.amdhsa_wavefront_size32 1
		.amdhsa_uses_dynamic_stack 0
		.amdhsa_enable_private_segment 0
		.amdhsa_system_sgpr_workgroup_id_x 1
		.amdhsa_system_sgpr_workgroup_id_y 0
		.amdhsa_system_sgpr_workgroup_id_z 0
		.amdhsa_system_sgpr_workgroup_info 0
		.amdhsa_system_vgpr_workitem_id 0
		.amdhsa_next_free_vgpr 1
		.amdhsa_next_free_sgpr 1
		.amdhsa_reserve_vcc 0
		.amdhsa_float_round_mode_32 0
		.amdhsa_float_round_mode_16_64 0
		.amdhsa_float_denorm_mode_32 3
		.amdhsa_float_denorm_mode_16_64 3
		.amdhsa_fp16_overflow 0
		.amdhsa_workgroup_processor_mode 1
		.amdhsa_memory_ordered 1
		.amdhsa_forward_progress 1
		.amdhsa_inst_pref_size 0
		.amdhsa_round_robin_scheduling 0
		.amdhsa_exception_fp_ieee_invalid_op 0
		.amdhsa_exception_fp_denorm_src 0
		.amdhsa_exception_fp_ieee_div_zero 0
		.amdhsa_exception_fp_ieee_overflow 0
		.amdhsa_exception_fp_ieee_underflow 0
		.amdhsa_exception_fp_ieee_inexact 0
		.amdhsa_exception_int_div_zero 0
	.end_amdhsa_kernel
	.section	.text._ZN7rocprim17ROCPRIM_400000_NS6detail17trampoline_kernelINS0_14default_configENS1_25partition_config_selectorILNS1_17partition_subalgoE6EjNS0_10empty_typeEbEEZZNS1_14partition_implILS5_6ELb0ES3_mN6thrust23THRUST_200600_302600_NS6detail15normal_iteratorINSA_10device_ptrIjEEEEPS6_SG_NS0_5tupleIJSF_S6_EEENSH_IJSG_SG_EEES6_PlJNSB_9not_fun_tI7is_trueIjEEEEEE10hipError_tPvRmT3_T4_T5_T6_T7_T9_mT8_P12ihipStream_tbDpT10_ENKUlT_T0_E_clISt17integral_constantIbLb0EES18_EEDaS13_S14_EUlS13_E_NS1_11comp_targetILNS1_3genE9ELNS1_11target_archE1100ELNS1_3gpuE3ELNS1_3repE0EEENS1_30default_config_static_selectorELNS0_4arch9wavefront6targetE0EEEvT1_,"axG",@progbits,_ZN7rocprim17ROCPRIM_400000_NS6detail17trampoline_kernelINS0_14default_configENS1_25partition_config_selectorILNS1_17partition_subalgoE6EjNS0_10empty_typeEbEEZZNS1_14partition_implILS5_6ELb0ES3_mN6thrust23THRUST_200600_302600_NS6detail15normal_iteratorINSA_10device_ptrIjEEEEPS6_SG_NS0_5tupleIJSF_S6_EEENSH_IJSG_SG_EEES6_PlJNSB_9not_fun_tI7is_trueIjEEEEEE10hipError_tPvRmT3_T4_T5_T6_T7_T9_mT8_P12ihipStream_tbDpT10_ENKUlT_T0_E_clISt17integral_constantIbLb0EES18_EEDaS13_S14_EUlS13_E_NS1_11comp_targetILNS1_3genE9ELNS1_11target_archE1100ELNS1_3gpuE3ELNS1_3repE0EEENS1_30default_config_static_selectorELNS0_4arch9wavefront6targetE0EEEvT1_,comdat
.Lfunc_end1147:
	.size	_ZN7rocprim17ROCPRIM_400000_NS6detail17trampoline_kernelINS0_14default_configENS1_25partition_config_selectorILNS1_17partition_subalgoE6EjNS0_10empty_typeEbEEZZNS1_14partition_implILS5_6ELb0ES3_mN6thrust23THRUST_200600_302600_NS6detail15normal_iteratorINSA_10device_ptrIjEEEEPS6_SG_NS0_5tupleIJSF_S6_EEENSH_IJSG_SG_EEES6_PlJNSB_9not_fun_tI7is_trueIjEEEEEE10hipError_tPvRmT3_T4_T5_T6_T7_T9_mT8_P12ihipStream_tbDpT10_ENKUlT_T0_E_clISt17integral_constantIbLb0EES18_EEDaS13_S14_EUlS13_E_NS1_11comp_targetILNS1_3genE9ELNS1_11target_archE1100ELNS1_3gpuE3ELNS1_3repE0EEENS1_30default_config_static_selectorELNS0_4arch9wavefront6targetE0EEEvT1_, .Lfunc_end1147-_ZN7rocprim17ROCPRIM_400000_NS6detail17trampoline_kernelINS0_14default_configENS1_25partition_config_selectorILNS1_17partition_subalgoE6EjNS0_10empty_typeEbEEZZNS1_14partition_implILS5_6ELb0ES3_mN6thrust23THRUST_200600_302600_NS6detail15normal_iteratorINSA_10device_ptrIjEEEEPS6_SG_NS0_5tupleIJSF_S6_EEENSH_IJSG_SG_EEES6_PlJNSB_9not_fun_tI7is_trueIjEEEEEE10hipError_tPvRmT3_T4_T5_T6_T7_T9_mT8_P12ihipStream_tbDpT10_ENKUlT_T0_E_clISt17integral_constantIbLb0EES18_EEDaS13_S14_EUlS13_E_NS1_11comp_targetILNS1_3genE9ELNS1_11target_archE1100ELNS1_3gpuE3ELNS1_3repE0EEENS1_30default_config_static_selectorELNS0_4arch9wavefront6targetE0EEEvT1_
                                        ; -- End function
	.set _ZN7rocprim17ROCPRIM_400000_NS6detail17trampoline_kernelINS0_14default_configENS1_25partition_config_selectorILNS1_17partition_subalgoE6EjNS0_10empty_typeEbEEZZNS1_14partition_implILS5_6ELb0ES3_mN6thrust23THRUST_200600_302600_NS6detail15normal_iteratorINSA_10device_ptrIjEEEEPS6_SG_NS0_5tupleIJSF_S6_EEENSH_IJSG_SG_EEES6_PlJNSB_9not_fun_tI7is_trueIjEEEEEE10hipError_tPvRmT3_T4_T5_T6_T7_T9_mT8_P12ihipStream_tbDpT10_ENKUlT_T0_E_clISt17integral_constantIbLb0EES18_EEDaS13_S14_EUlS13_E_NS1_11comp_targetILNS1_3genE9ELNS1_11target_archE1100ELNS1_3gpuE3ELNS1_3repE0EEENS1_30default_config_static_selectorELNS0_4arch9wavefront6targetE0EEEvT1_.num_vgpr, 0
	.set _ZN7rocprim17ROCPRIM_400000_NS6detail17trampoline_kernelINS0_14default_configENS1_25partition_config_selectorILNS1_17partition_subalgoE6EjNS0_10empty_typeEbEEZZNS1_14partition_implILS5_6ELb0ES3_mN6thrust23THRUST_200600_302600_NS6detail15normal_iteratorINSA_10device_ptrIjEEEEPS6_SG_NS0_5tupleIJSF_S6_EEENSH_IJSG_SG_EEES6_PlJNSB_9not_fun_tI7is_trueIjEEEEEE10hipError_tPvRmT3_T4_T5_T6_T7_T9_mT8_P12ihipStream_tbDpT10_ENKUlT_T0_E_clISt17integral_constantIbLb0EES18_EEDaS13_S14_EUlS13_E_NS1_11comp_targetILNS1_3genE9ELNS1_11target_archE1100ELNS1_3gpuE3ELNS1_3repE0EEENS1_30default_config_static_selectorELNS0_4arch9wavefront6targetE0EEEvT1_.num_agpr, 0
	.set _ZN7rocprim17ROCPRIM_400000_NS6detail17trampoline_kernelINS0_14default_configENS1_25partition_config_selectorILNS1_17partition_subalgoE6EjNS0_10empty_typeEbEEZZNS1_14partition_implILS5_6ELb0ES3_mN6thrust23THRUST_200600_302600_NS6detail15normal_iteratorINSA_10device_ptrIjEEEEPS6_SG_NS0_5tupleIJSF_S6_EEENSH_IJSG_SG_EEES6_PlJNSB_9not_fun_tI7is_trueIjEEEEEE10hipError_tPvRmT3_T4_T5_T6_T7_T9_mT8_P12ihipStream_tbDpT10_ENKUlT_T0_E_clISt17integral_constantIbLb0EES18_EEDaS13_S14_EUlS13_E_NS1_11comp_targetILNS1_3genE9ELNS1_11target_archE1100ELNS1_3gpuE3ELNS1_3repE0EEENS1_30default_config_static_selectorELNS0_4arch9wavefront6targetE0EEEvT1_.numbered_sgpr, 0
	.set _ZN7rocprim17ROCPRIM_400000_NS6detail17trampoline_kernelINS0_14default_configENS1_25partition_config_selectorILNS1_17partition_subalgoE6EjNS0_10empty_typeEbEEZZNS1_14partition_implILS5_6ELb0ES3_mN6thrust23THRUST_200600_302600_NS6detail15normal_iteratorINSA_10device_ptrIjEEEEPS6_SG_NS0_5tupleIJSF_S6_EEENSH_IJSG_SG_EEES6_PlJNSB_9not_fun_tI7is_trueIjEEEEEE10hipError_tPvRmT3_T4_T5_T6_T7_T9_mT8_P12ihipStream_tbDpT10_ENKUlT_T0_E_clISt17integral_constantIbLb0EES18_EEDaS13_S14_EUlS13_E_NS1_11comp_targetILNS1_3genE9ELNS1_11target_archE1100ELNS1_3gpuE3ELNS1_3repE0EEENS1_30default_config_static_selectorELNS0_4arch9wavefront6targetE0EEEvT1_.num_named_barrier, 0
	.set _ZN7rocprim17ROCPRIM_400000_NS6detail17trampoline_kernelINS0_14default_configENS1_25partition_config_selectorILNS1_17partition_subalgoE6EjNS0_10empty_typeEbEEZZNS1_14partition_implILS5_6ELb0ES3_mN6thrust23THRUST_200600_302600_NS6detail15normal_iteratorINSA_10device_ptrIjEEEEPS6_SG_NS0_5tupleIJSF_S6_EEENSH_IJSG_SG_EEES6_PlJNSB_9not_fun_tI7is_trueIjEEEEEE10hipError_tPvRmT3_T4_T5_T6_T7_T9_mT8_P12ihipStream_tbDpT10_ENKUlT_T0_E_clISt17integral_constantIbLb0EES18_EEDaS13_S14_EUlS13_E_NS1_11comp_targetILNS1_3genE9ELNS1_11target_archE1100ELNS1_3gpuE3ELNS1_3repE0EEENS1_30default_config_static_selectorELNS0_4arch9wavefront6targetE0EEEvT1_.private_seg_size, 0
	.set _ZN7rocprim17ROCPRIM_400000_NS6detail17trampoline_kernelINS0_14default_configENS1_25partition_config_selectorILNS1_17partition_subalgoE6EjNS0_10empty_typeEbEEZZNS1_14partition_implILS5_6ELb0ES3_mN6thrust23THRUST_200600_302600_NS6detail15normal_iteratorINSA_10device_ptrIjEEEEPS6_SG_NS0_5tupleIJSF_S6_EEENSH_IJSG_SG_EEES6_PlJNSB_9not_fun_tI7is_trueIjEEEEEE10hipError_tPvRmT3_T4_T5_T6_T7_T9_mT8_P12ihipStream_tbDpT10_ENKUlT_T0_E_clISt17integral_constantIbLb0EES18_EEDaS13_S14_EUlS13_E_NS1_11comp_targetILNS1_3genE9ELNS1_11target_archE1100ELNS1_3gpuE3ELNS1_3repE0EEENS1_30default_config_static_selectorELNS0_4arch9wavefront6targetE0EEEvT1_.uses_vcc, 0
	.set _ZN7rocprim17ROCPRIM_400000_NS6detail17trampoline_kernelINS0_14default_configENS1_25partition_config_selectorILNS1_17partition_subalgoE6EjNS0_10empty_typeEbEEZZNS1_14partition_implILS5_6ELb0ES3_mN6thrust23THRUST_200600_302600_NS6detail15normal_iteratorINSA_10device_ptrIjEEEEPS6_SG_NS0_5tupleIJSF_S6_EEENSH_IJSG_SG_EEES6_PlJNSB_9not_fun_tI7is_trueIjEEEEEE10hipError_tPvRmT3_T4_T5_T6_T7_T9_mT8_P12ihipStream_tbDpT10_ENKUlT_T0_E_clISt17integral_constantIbLb0EES18_EEDaS13_S14_EUlS13_E_NS1_11comp_targetILNS1_3genE9ELNS1_11target_archE1100ELNS1_3gpuE3ELNS1_3repE0EEENS1_30default_config_static_selectorELNS0_4arch9wavefront6targetE0EEEvT1_.uses_flat_scratch, 0
	.set _ZN7rocprim17ROCPRIM_400000_NS6detail17trampoline_kernelINS0_14default_configENS1_25partition_config_selectorILNS1_17partition_subalgoE6EjNS0_10empty_typeEbEEZZNS1_14partition_implILS5_6ELb0ES3_mN6thrust23THRUST_200600_302600_NS6detail15normal_iteratorINSA_10device_ptrIjEEEEPS6_SG_NS0_5tupleIJSF_S6_EEENSH_IJSG_SG_EEES6_PlJNSB_9not_fun_tI7is_trueIjEEEEEE10hipError_tPvRmT3_T4_T5_T6_T7_T9_mT8_P12ihipStream_tbDpT10_ENKUlT_T0_E_clISt17integral_constantIbLb0EES18_EEDaS13_S14_EUlS13_E_NS1_11comp_targetILNS1_3genE9ELNS1_11target_archE1100ELNS1_3gpuE3ELNS1_3repE0EEENS1_30default_config_static_selectorELNS0_4arch9wavefront6targetE0EEEvT1_.has_dyn_sized_stack, 0
	.set _ZN7rocprim17ROCPRIM_400000_NS6detail17trampoline_kernelINS0_14default_configENS1_25partition_config_selectorILNS1_17partition_subalgoE6EjNS0_10empty_typeEbEEZZNS1_14partition_implILS5_6ELb0ES3_mN6thrust23THRUST_200600_302600_NS6detail15normal_iteratorINSA_10device_ptrIjEEEEPS6_SG_NS0_5tupleIJSF_S6_EEENSH_IJSG_SG_EEES6_PlJNSB_9not_fun_tI7is_trueIjEEEEEE10hipError_tPvRmT3_T4_T5_T6_T7_T9_mT8_P12ihipStream_tbDpT10_ENKUlT_T0_E_clISt17integral_constantIbLb0EES18_EEDaS13_S14_EUlS13_E_NS1_11comp_targetILNS1_3genE9ELNS1_11target_archE1100ELNS1_3gpuE3ELNS1_3repE0EEENS1_30default_config_static_selectorELNS0_4arch9wavefront6targetE0EEEvT1_.has_recursion, 0
	.set _ZN7rocprim17ROCPRIM_400000_NS6detail17trampoline_kernelINS0_14default_configENS1_25partition_config_selectorILNS1_17partition_subalgoE6EjNS0_10empty_typeEbEEZZNS1_14partition_implILS5_6ELb0ES3_mN6thrust23THRUST_200600_302600_NS6detail15normal_iteratorINSA_10device_ptrIjEEEEPS6_SG_NS0_5tupleIJSF_S6_EEENSH_IJSG_SG_EEES6_PlJNSB_9not_fun_tI7is_trueIjEEEEEE10hipError_tPvRmT3_T4_T5_T6_T7_T9_mT8_P12ihipStream_tbDpT10_ENKUlT_T0_E_clISt17integral_constantIbLb0EES18_EEDaS13_S14_EUlS13_E_NS1_11comp_targetILNS1_3genE9ELNS1_11target_archE1100ELNS1_3gpuE3ELNS1_3repE0EEENS1_30default_config_static_selectorELNS0_4arch9wavefront6targetE0EEEvT1_.has_indirect_call, 0
	.section	.AMDGPU.csdata,"",@progbits
; Kernel info:
; codeLenInByte = 0
; TotalNumSgprs: 0
; NumVgprs: 0
; ScratchSize: 0
; MemoryBound: 0
; FloatMode: 240
; IeeeMode: 1
; LDSByteSize: 0 bytes/workgroup (compile time only)
; SGPRBlocks: 0
; VGPRBlocks: 0
; NumSGPRsForWavesPerEU: 1
; NumVGPRsForWavesPerEU: 1
; Occupancy: 16
; WaveLimiterHint : 0
; COMPUTE_PGM_RSRC2:SCRATCH_EN: 0
; COMPUTE_PGM_RSRC2:USER_SGPR: 2
; COMPUTE_PGM_RSRC2:TRAP_HANDLER: 0
; COMPUTE_PGM_RSRC2:TGID_X_EN: 1
; COMPUTE_PGM_RSRC2:TGID_Y_EN: 0
; COMPUTE_PGM_RSRC2:TGID_Z_EN: 0
; COMPUTE_PGM_RSRC2:TIDIG_COMP_CNT: 0
	.section	.text._ZN7rocprim17ROCPRIM_400000_NS6detail17trampoline_kernelINS0_14default_configENS1_25partition_config_selectorILNS1_17partition_subalgoE6EjNS0_10empty_typeEbEEZZNS1_14partition_implILS5_6ELb0ES3_mN6thrust23THRUST_200600_302600_NS6detail15normal_iteratorINSA_10device_ptrIjEEEEPS6_SG_NS0_5tupleIJSF_S6_EEENSH_IJSG_SG_EEES6_PlJNSB_9not_fun_tI7is_trueIjEEEEEE10hipError_tPvRmT3_T4_T5_T6_T7_T9_mT8_P12ihipStream_tbDpT10_ENKUlT_T0_E_clISt17integral_constantIbLb0EES18_EEDaS13_S14_EUlS13_E_NS1_11comp_targetILNS1_3genE8ELNS1_11target_archE1030ELNS1_3gpuE2ELNS1_3repE0EEENS1_30default_config_static_selectorELNS0_4arch9wavefront6targetE0EEEvT1_,"axG",@progbits,_ZN7rocprim17ROCPRIM_400000_NS6detail17trampoline_kernelINS0_14default_configENS1_25partition_config_selectorILNS1_17partition_subalgoE6EjNS0_10empty_typeEbEEZZNS1_14partition_implILS5_6ELb0ES3_mN6thrust23THRUST_200600_302600_NS6detail15normal_iteratorINSA_10device_ptrIjEEEEPS6_SG_NS0_5tupleIJSF_S6_EEENSH_IJSG_SG_EEES6_PlJNSB_9not_fun_tI7is_trueIjEEEEEE10hipError_tPvRmT3_T4_T5_T6_T7_T9_mT8_P12ihipStream_tbDpT10_ENKUlT_T0_E_clISt17integral_constantIbLb0EES18_EEDaS13_S14_EUlS13_E_NS1_11comp_targetILNS1_3genE8ELNS1_11target_archE1030ELNS1_3gpuE2ELNS1_3repE0EEENS1_30default_config_static_selectorELNS0_4arch9wavefront6targetE0EEEvT1_,comdat
	.protected	_ZN7rocprim17ROCPRIM_400000_NS6detail17trampoline_kernelINS0_14default_configENS1_25partition_config_selectorILNS1_17partition_subalgoE6EjNS0_10empty_typeEbEEZZNS1_14partition_implILS5_6ELb0ES3_mN6thrust23THRUST_200600_302600_NS6detail15normal_iteratorINSA_10device_ptrIjEEEEPS6_SG_NS0_5tupleIJSF_S6_EEENSH_IJSG_SG_EEES6_PlJNSB_9not_fun_tI7is_trueIjEEEEEE10hipError_tPvRmT3_T4_T5_T6_T7_T9_mT8_P12ihipStream_tbDpT10_ENKUlT_T0_E_clISt17integral_constantIbLb0EES18_EEDaS13_S14_EUlS13_E_NS1_11comp_targetILNS1_3genE8ELNS1_11target_archE1030ELNS1_3gpuE2ELNS1_3repE0EEENS1_30default_config_static_selectorELNS0_4arch9wavefront6targetE0EEEvT1_ ; -- Begin function _ZN7rocprim17ROCPRIM_400000_NS6detail17trampoline_kernelINS0_14default_configENS1_25partition_config_selectorILNS1_17partition_subalgoE6EjNS0_10empty_typeEbEEZZNS1_14partition_implILS5_6ELb0ES3_mN6thrust23THRUST_200600_302600_NS6detail15normal_iteratorINSA_10device_ptrIjEEEEPS6_SG_NS0_5tupleIJSF_S6_EEENSH_IJSG_SG_EEES6_PlJNSB_9not_fun_tI7is_trueIjEEEEEE10hipError_tPvRmT3_T4_T5_T6_T7_T9_mT8_P12ihipStream_tbDpT10_ENKUlT_T0_E_clISt17integral_constantIbLb0EES18_EEDaS13_S14_EUlS13_E_NS1_11comp_targetILNS1_3genE8ELNS1_11target_archE1030ELNS1_3gpuE2ELNS1_3repE0EEENS1_30default_config_static_selectorELNS0_4arch9wavefront6targetE0EEEvT1_
	.globl	_ZN7rocprim17ROCPRIM_400000_NS6detail17trampoline_kernelINS0_14default_configENS1_25partition_config_selectorILNS1_17partition_subalgoE6EjNS0_10empty_typeEbEEZZNS1_14partition_implILS5_6ELb0ES3_mN6thrust23THRUST_200600_302600_NS6detail15normal_iteratorINSA_10device_ptrIjEEEEPS6_SG_NS0_5tupleIJSF_S6_EEENSH_IJSG_SG_EEES6_PlJNSB_9not_fun_tI7is_trueIjEEEEEE10hipError_tPvRmT3_T4_T5_T6_T7_T9_mT8_P12ihipStream_tbDpT10_ENKUlT_T0_E_clISt17integral_constantIbLb0EES18_EEDaS13_S14_EUlS13_E_NS1_11comp_targetILNS1_3genE8ELNS1_11target_archE1030ELNS1_3gpuE2ELNS1_3repE0EEENS1_30default_config_static_selectorELNS0_4arch9wavefront6targetE0EEEvT1_
	.p2align	8
	.type	_ZN7rocprim17ROCPRIM_400000_NS6detail17trampoline_kernelINS0_14default_configENS1_25partition_config_selectorILNS1_17partition_subalgoE6EjNS0_10empty_typeEbEEZZNS1_14partition_implILS5_6ELb0ES3_mN6thrust23THRUST_200600_302600_NS6detail15normal_iteratorINSA_10device_ptrIjEEEEPS6_SG_NS0_5tupleIJSF_S6_EEENSH_IJSG_SG_EEES6_PlJNSB_9not_fun_tI7is_trueIjEEEEEE10hipError_tPvRmT3_T4_T5_T6_T7_T9_mT8_P12ihipStream_tbDpT10_ENKUlT_T0_E_clISt17integral_constantIbLb0EES18_EEDaS13_S14_EUlS13_E_NS1_11comp_targetILNS1_3genE8ELNS1_11target_archE1030ELNS1_3gpuE2ELNS1_3repE0EEENS1_30default_config_static_selectorELNS0_4arch9wavefront6targetE0EEEvT1_,@function
_ZN7rocprim17ROCPRIM_400000_NS6detail17trampoline_kernelINS0_14default_configENS1_25partition_config_selectorILNS1_17partition_subalgoE6EjNS0_10empty_typeEbEEZZNS1_14partition_implILS5_6ELb0ES3_mN6thrust23THRUST_200600_302600_NS6detail15normal_iteratorINSA_10device_ptrIjEEEEPS6_SG_NS0_5tupleIJSF_S6_EEENSH_IJSG_SG_EEES6_PlJNSB_9not_fun_tI7is_trueIjEEEEEE10hipError_tPvRmT3_T4_T5_T6_T7_T9_mT8_P12ihipStream_tbDpT10_ENKUlT_T0_E_clISt17integral_constantIbLb0EES18_EEDaS13_S14_EUlS13_E_NS1_11comp_targetILNS1_3genE8ELNS1_11target_archE1030ELNS1_3gpuE2ELNS1_3repE0EEENS1_30default_config_static_selectorELNS0_4arch9wavefront6targetE0EEEvT1_: ; @_ZN7rocprim17ROCPRIM_400000_NS6detail17trampoline_kernelINS0_14default_configENS1_25partition_config_selectorILNS1_17partition_subalgoE6EjNS0_10empty_typeEbEEZZNS1_14partition_implILS5_6ELb0ES3_mN6thrust23THRUST_200600_302600_NS6detail15normal_iteratorINSA_10device_ptrIjEEEEPS6_SG_NS0_5tupleIJSF_S6_EEENSH_IJSG_SG_EEES6_PlJNSB_9not_fun_tI7is_trueIjEEEEEE10hipError_tPvRmT3_T4_T5_T6_T7_T9_mT8_P12ihipStream_tbDpT10_ENKUlT_T0_E_clISt17integral_constantIbLb0EES18_EEDaS13_S14_EUlS13_E_NS1_11comp_targetILNS1_3genE8ELNS1_11target_archE1030ELNS1_3gpuE2ELNS1_3repE0EEENS1_30default_config_static_selectorELNS0_4arch9wavefront6targetE0EEEvT1_
; %bb.0:
	.section	.rodata,"a",@progbits
	.p2align	6, 0x0
	.amdhsa_kernel _ZN7rocprim17ROCPRIM_400000_NS6detail17trampoline_kernelINS0_14default_configENS1_25partition_config_selectorILNS1_17partition_subalgoE6EjNS0_10empty_typeEbEEZZNS1_14partition_implILS5_6ELb0ES3_mN6thrust23THRUST_200600_302600_NS6detail15normal_iteratorINSA_10device_ptrIjEEEEPS6_SG_NS0_5tupleIJSF_S6_EEENSH_IJSG_SG_EEES6_PlJNSB_9not_fun_tI7is_trueIjEEEEEE10hipError_tPvRmT3_T4_T5_T6_T7_T9_mT8_P12ihipStream_tbDpT10_ENKUlT_T0_E_clISt17integral_constantIbLb0EES18_EEDaS13_S14_EUlS13_E_NS1_11comp_targetILNS1_3genE8ELNS1_11target_archE1030ELNS1_3gpuE2ELNS1_3repE0EEENS1_30default_config_static_selectorELNS0_4arch9wavefront6targetE0EEEvT1_
		.amdhsa_group_segment_fixed_size 0
		.amdhsa_private_segment_fixed_size 0
		.amdhsa_kernarg_size 112
		.amdhsa_user_sgpr_count 2
		.amdhsa_user_sgpr_dispatch_ptr 0
		.amdhsa_user_sgpr_queue_ptr 0
		.amdhsa_user_sgpr_kernarg_segment_ptr 1
		.amdhsa_user_sgpr_dispatch_id 0
		.amdhsa_user_sgpr_private_segment_size 0
		.amdhsa_wavefront_size32 1
		.amdhsa_uses_dynamic_stack 0
		.amdhsa_enable_private_segment 0
		.amdhsa_system_sgpr_workgroup_id_x 1
		.amdhsa_system_sgpr_workgroup_id_y 0
		.amdhsa_system_sgpr_workgroup_id_z 0
		.amdhsa_system_sgpr_workgroup_info 0
		.amdhsa_system_vgpr_workitem_id 0
		.amdhsa_next_free_vgpr 1
		.amdhsa_next_free_sgpr 1
		.amdhsa_reserve_vcc 0
		.amdhsa_float_round_mode_32 0
		.amdhsa_float_round_mode_16_64 0
		.amdhsa_float_denorm_mode_32 3
		.amdhsa_float_denorm_mode_16_64 3
		.amdhsa_fp16_overflow 0
		.amdhsa_workgroup_processor_mode 1
		.amdhsa_memory_ordered 1
		.amdhsa_forward_progress 1
		.amdhsa_inst_pref_size 0
		.amdhsa_round_robin_scheduling 0
		.amdhsa_exception_fp_ieee_invalid_op 0
		.amdhsa_exception_fp_denorm_src 0
		.amdhsa_exception_fp_ieee_div_zero 0
		.amdhsa_exception_fp_ieee_overflow 0
		.amdhsa_exception_fp_ieee_underflow 0
		.amdhsa_exception_fp_ieee_inexact 0
		.amdhsa_exception_int_div_zero 0
	.end_amdhsa_kernel
	.section	.text._ZN7rocprim17ROCPRIM_400000_NS6detail17trampoline_kernelINS0_14default_configENS1_25partition_config_selectorILNS1_17partition_subalgoE6EjNS0_10empty_typeEbEEZZNS1_14partition_implILS5_6ELb0ES3_mN6thrust23THRUST_200600_302600_NS6detail15normal_iteratorINSA_10device_ptrIjEEEEPS6_SG_NS0_5tupleIJSF_S6_EEENSH_IJSG_SG_EEES6_PlJNSB_9not_fun_tI7is_trueIjEEEEEE10hipError_tPvRmT3_T4_T5_T6_T7_T9_mT8_P12ihipStream_tbDpT10_ENKUlT_T0_E_clISt17integral_constantIbLb0EES18_EEDaS13_S14_EUlS13_E_NS1_11comp_targetILNS1_3genE8ELNS1_11target_archE1030ELNS1_3gpuE2ELNS1_3repE0EEENS1_30default_config_static_selectorELNS0_4arch9wavefront6targetE0EEEvT1_,"axG",@progbits,_ZN7rocprim17ROCPRIM_400000_NS6detail17trampoline_kernelINS0_14default_configENS1_25partition_config_selectorILNS1_17partition_subalgoE6EjNS0_10empty_typeEbEEZZNS1_14partition_implILS5_6ELb0ES3_mN6thrust23THRUST_200600_302600_NS6detail15normal_iteratorINSA_10device_ptrIjEEEEPS6_SG_NS0_5tupleIJSF_S6_EEENSH_IJSG_SG_EEES6_PlJNSB_9not_fun_tI7is_trueIjEEEEEE10hipError_tPvRmT3_T4_T5_T6_T7_T9_mT8_P12ihipStream_tbDpT10_ENKUlT_T0_E_clISt17integral_constantIbLb0EES18_EEDaS13_S14_EUlS13_E_NS1_11comp_targetILNS1_3genE8ELNS1_11target_archE1030ELNS1_3gpuE2ELNS1_3repE0EEENS1_30default_config_static_selectorELNS0_4arch9wavefront6targetE0EEEvT1_,comdat
.Lfunc_end1148:
	.size	_ZN7rocprim17ROCPRIM_400000_NS6detail17trampoline_kernelINS0_14default_configENS1_25partition_config_selectorILNS1_17partition_subalgoE6EjNS0_10empty_typeEbEEZZNS1_14partition_implILS5_6ELb0ES3_mN6thrust23THRUST_200600_302600_NS6detail15normal_iteratorINSA_10device_ptrIjEEEEPS6_SG_NS0_5tupleIJSF_S6_EEENSH_IJSG_SG_EEES6_PlJNSB_9not_fun_tI7is_trueIjEEEEEE10hipError_tPvRmT3_T4_T5_T6_T7_T9_mT8_P12ihipStream_tbDpT10_ENKUlT_T0_E_clISt17integral_constantIbLb0EES18_EEDaS13_S14_EUlS13_E_NS1_11comp_targetILNS1_3genE8ELNS1_11target_archE1030ELNS1_3gpuE2ELNS1_3repE0EEENS1_30default_config_static_selectorELNS0_4arch9wavefront6targetE0EEEvT1_, .Lfunc_end1148-_ZN7rocprim17ROCPRIM_400000_NS6detail17trampoline_kernelINS0_14default_configENS1_25partition_config_selectorILNS1_17partition_subalgoE6EjNS0_10empty_typeEbEEZZNS1_14partition_implILS5_6ELb0ES3_mN6thrust23THRUST_200600_302600_NS6detail15normal_iteratorINSA_10device_ptrIjEEEEPS6_SG_NS0_5tupleIJSF_S6_EEENSH_IJSG_SG_EEES6_PlJNSB_9not_fun_tI7is_trueIjEEEEEE10hipError_tPvRmT3_T4_T5_T6_T7_T9_mT8_P12ihipStream_tbDpT10_ENKUlT_T0_E_clISt17integral_constantIbLb0EES18_EEDaS13_S14_EUlS13_E_NS1_11comp_targetILNS1_3genE8ELNS1_11target_archE1030ELNS1_3gpuE2ELNS1_3repE0EEENS1_30default_config_static_selectorELNS0_4arch9wavefront6targetE0EEEvT1_
                                        ; -- End function
	.set _ZN7rocprim17ROCPRIM_400000_NS6detail17trampoline_kernelINS0_14default_configENS1_25partition_config_selectorILNS1_17partition_subalgoE6EjNS0_10empty_typeEbEEZZNS1_14partition_implILS5_6ELb0ES3_mN6thrust23THRUST_200600_302600_NS6detail15normal_iteratorINSA_10device_ptrIjEEEEPS6_SG_NS0_5tupleIJSF_S6_EEENSH_IJSG_SG_EEES6_PlJNSB_9not_fun_tI7is_trueIjEEEEEE10hipError_tPvRmT3_T4_T5_T6_T7_T9_mT8_P12ihipStream_tbDpT10_ENKUlT_T0_E_clISt17integral_constantIbLb0EES18_EEDaS13_S14_EUlS13_E_NS1_11comp_targetILNS1_3genE8ELNS1_11target_archE1030ELNS1_3gpuE2ELNS1_3repE0EEENS1_30default_config_static_selectorELNS0_4arch9wavefront6targetE0EEEvT1_.num_vgpr, 0
	.set _ZN7rocprim17ROCPRIM_400000_NS6detail17trampoline_kernelINS0_14default_configENS1_25partition_config_selectorILNS1_17partition_subalgoE6EjNS0_10empty_typeEbEEZZNS1_14partition_implILS5_6ELb0ES3_mN6thrust23THRUST_200600_302600_NS6detail15normal_iteratorINSA_10device_ptrIjEEEEPS6_SG_NS0_5tupleIJSF_S6_EEENSH_IJSG_SG_EEES6_PlJNSB_9not_fun_tI7is_trueIjEEEEEE10hipError_tPvRmT3_T4_T5_T6_T7_T9_mT8_P12ihipStream_tbDpT10_ENKUlT_T0_E_clISt17integral_constantIbLb0EES18_EEDaS13_S14_EUlS13_E_NS1_11comp_targetILNS1_3genE8ELNS1_11target_archE1030ELNS1_3gpuE2ELNS1_3repE0EEENS1_30default_config_static_selectorELNS0_4arch9wavefront6targetE0EEEvT1_.num_agpr, 0
	.set _ZN7rocprim17ROCPRIM_400000_NS6detail17trampoline_kernelINS0_14default_configENS1_25partition_config_selectorILNS1_17partition_subalgoE6EjNS0_10empty_typeEbEEZZNS1_14partition_implILS5_6ELb0ES3_mN6thrust23THRUST_200600_302600_NS6detail15normal_iteratorINSA_10device_ptrIjEEEEPS6_SG_NS0_5tupleIJSF_S6_EEENSH_IJSG_SG_EEES6_PlJNSB_9not_fun_tI7is_trueIjEEEEEE10hipError_tPvRmT3_T4_T5_T6_T7_T9_mT8_P12ihipStream_tbDpT10_ENKUlT_T0_E_clISt17integral_constantIbLb0EES18_EEDaS13_S14_EUlS13_E_NS1_11comp_targetILNS1_3genE8ELNS1_11target_archE1030ELNS1_3gpuE2ELNS1_3repE0EEENS1_30default_config_static_selectorELNS0_4arch9wavefront6targetE0EEEvT1_.numbered_sgpr, 0
	.set _ZN7rocprim17ROCPRIM_400000_NS6detail17trampoline_kernelINS0_14default_configENS1_25partition_config_selectorILNS1_17partition_subalgoE6EjNS0_10empty_typeEbEEZZNS1_14partition_implILS5_6ELb0ES3_mN6thrust23THRUST_200600_302600_NS6detail15normal_iteratorINSA_10device_ptrIjEEEEPS6_SG_NS0_5tupleIJSF_S6_EEENSH_IJSG_SG_EEES6_PlJNSB_9not_fun_tI7is_trueIjEEEEEE10hipError_tPvRmT3_T4_T5_T6_T7_T9_mT8_P12ihipStream_tbDpT10_ENKUlT_T0_E_clISt17integral_constantIbLb0EES18_EEDaS13_S14_EUlS13_E_NS1_11comp_targetILNS1_3genE8ELNS1_11target_archE1030ELNS1_3gpuE2ELNS1_3repE0EEENS1_30default_config_static_selectorELNS0_4arch9wavefront6targetE0EEEvT1_.num_named_barrier, 0
	.set _ZN7rocprim17ROCPRIM_400000_NS6detail17trampoline_kernelINS0_14default_configENS1_25partition_config_selectorILNS1_17partition_subalgoE6EjNS0_10empty_typeEbEEZZNS1_14partition_implILS5_6ELb0ES3_mN6thrust23THRUST_200600_302600_NS6detail15normal_iteratorINSA_10device_ptrIjEEEEPS6_SG_NS0_5tupleIJSF_S6_EEENSH_IJSG_SG_EEES6_PlJNSB_9not_fun_tI7is_trueIjEEEEEE10hipError_tPvRmT3_T4_T5_T6_T7_T9_mT8_P12ihipStream_tbDpT10_ENKUlT_T0_E_clISt17integral_constantIbLb0EES18_EEDaS13_S14_EUlS13_E_NS1_11comp_targetILNS1_3genE8ELNS1_11target_archE1030ELNS1_3gpuE2ELNS1_3repE0EEENS1_30default_config_static_selectorELNS0_4arch9wavefront6targetE0EEEvT1_.private_seg_size, 0
	.set _ZN7rocprim17ROCPRIM_400000_NS6detail17trampoline_kernelINS0_14default_configENS1_25partition_config_selectorILNS1_17partition_subalgoE6EjNS0_10empty_typeEbEEZZNS1_14partition_implILS5_6ELb0ES3_mN6thrust23THRUST_200600_302600_NS6detail15normal_iteratorINSA_10device_ptrIjEEEEPS6_SG_NS0_5tupleIJSF_S6_EEENSH_IJSG_SG_EEES6_PlJNSB_9not_fun_tI7is_trueIjEEEEEE10hipError_tPvRmT3_T4_T5_T6_T7_T9_mT8_P12ihipStream_tbDpT10_ENKUlT_T0_E_clISt17integral_constantIbLb0EES18_EEDaS13_S14_EUlS13_E_NS1_11comp_targetILNS1_3genE8ELNS1_11target_archE1030ELNS1_3gpuE2ELNS1_3repE0EEENS1_30default_config_static_selectorELNS0_4arch9wavefront6targetE0EEEvT1_.uses_vcc, 0
	.set _ZN7rocprim17ROCPRIM_400000_NS6detail17trampoline_kernelINS0_14default_configENS1_25partition_config_selectorILNS1_17partition_subalgoE6EjNS0_10empty_typeEbEEZZNS1_14partition_implILS5_6ELb0ES3_mN6thrust23THRUST_200600_302600_NS6detail15normal_iteratorINSA_10device_ptrIjEEEEPS6_SG_NS0_5tupleIJSF_S6_EEENSH_IJSG_SG_EEES6_PlJNSB_9not_fun_tI7is_trueIjEEEEEE10hipError_tPvRmT3_T4_T5_T6_T7_T9_mT8_P12ihipStream_tbDpT10_ENKUlT_T0_E_clISt17integral_constantIbLb0EES18_EEDaS13_S14_EUlS13_E_NS1_11comp_targetILNS1_3genE8ELNS1_11target_archE1030ELNS1_3gpuE2ELNS1_3repE0EEENS1_30default_config_static_selectorELNS0_4arch9wavefront6targetE0EEEvT1_.uses_flat_scratch, 0
	.set _ZN7rocprim17ROCPRIM_400000_NS6detail17trampoline_kernelINS0_14default_configENS1_25partition_config_selectorILNS1_17partition_subalgoE6EjNS0_10empty_typeEbEEZZNS1_14partition_implILS5_6ELb0ES3_mN6thrust23THRUST_200600_302600_NS6detail15normal_iteratorINSA_10device_ptrIjEEEEPS6_SG_NS0_5tupleIJSF_S6_EEENSH_IJSG_SG_EEES6_PlJNSB_9not_fun_tI7is_trueIjEEEEEE10hipError_tPvRmT3_T4_T5_T6_T7_T9_mT8_P12ihipStream_tbDpT10_ENKUlT_T0_E_clISt17integral_constantIbLb0EES18_EEDaS13_S14_EUlS13_E_NS1_11comp_targetILNS1_3genE8ELNS1_11target_archE1030ELNS1_3gpuE2ELNS1_3repE0EEENS1_30default_config_static_selectorELNS0_4arch9wavefront6targetE0EEEvT1_.has_dyn_sized_stack, 0
	.set _ZN7rocprim17ROCPRIM_400000_NS6detail17trampoline_kernelINS0_14default_configENS1_25partition_config_selectorILNS1_17partition_subalgoE6EjNS0_10empty_typeEbEEZZNS1_14partition_implILS5_6ELb0ES3_mN6thrust23THRUST_200600_302600_NS6detail15normal_iteratorINSA_10device_ptrIjEEEEPS6_SG_NS0_5tupleIJSF_S6_EEENSH_IJSG_SG_EEES6_PlJNSB_9not_fun_tI7is_trueIjEEEEEE10hipError_tPvRmT3_T4_T5_T6_T7_T9_mT8_P12ihipStream_tbDpT10_ENKUlT_T0_E_clISt17integral_constantIbLb0EES18_EEDaS13_S14_EUlS13_E_NS1_11comp_targetILNS1_3genE8ELNS1_11target_archE1030ELNS1_3gpuE2ELNS1_3repE0EEENS1_30default_config_static_selectorELNS0_4arch9wavefront6targetE0EEEvT1_.has_recursion, 0
	.set _ZN7rocprim17ROCPRIM_400000_NS6detail17trampoline_kernelINS0_14default_configENS1_25partition_config_selectorILNS1_17partition_subalgoE6EjNS0_10empty_typeEbEEZZNS1_14partition_implILS5_6ELb0ES3_mN6thrust23THRUST_200600_302600_NS6detail15normal_iteratorINSA_10device_ptrIjEEEEPS6_SG_NS0_5tupleIJSF_S6_EEENSH_IJSG_SG_EEES6_PlJNSB_9not_fun_tI7is_trueIjEEEEEE10hipError_tPvRmT3_T4_T5_T6_T7_T9_mT8_P12ihipStream_tbDpT10_ENKUlT_T0_E_clISt17integral_constantIbLb0EES18_EEDaS13_S14_EUlS13_E_NS1_11comp_targetILNS1_3genE8ELNS1_11target_archE1030ELNS1_3gpuE2ELNS1_3repE0EEENS1_30default_config_static_selectorELNS0_4arch9wavefront6targetE0EEEvT1_.has_indirect_call, 0
	.section	.AMDGPU.csdata,"",@progbits
; Kernel info:
; codeLenInByte = 0
; TotalNumSgprs: 0
; NumVgprs: 0
; ScratchSize: 0
; MemoryBound: 0
; FloatMode: 240
; IeeeMode: 1
; LDSByteSize: 0 bytes/workgroup (compile time only)
; SGPRBlocks: 0
; VGPRBlocks: 0
; NumSGPRsForWavesPerEU: 1
; NumVGPRsForWavesPerEU: 1
; Occupancy: 16
; WaveLimiterHint : 0
; COMPUTE_PGM_RSRC2:SCRATCH_EN: 0
; COMPUTE_PGM_RSRC2:USER_SGPR: 2
; COMPUTE_PGM_RSRC2:TRAP_HANDLER: 0
; COMPUTE_PGM_RSRC2:TGID_X_EN: 1
; COMPUTE_PGM_RSRC2:TGID_Y_EN: 0
; COMPUTE_PGM_RSRC2:TGID_Z_EN: 0
; COMPUTE_PGM_RSRC2:TIDIG_COMP_CNT: 0
	.section	.text._ZN7rocprim17ROCPRIM_400000_NS6detail17trampoline_kernelINS0_14default_configENS1_25partition_config_selectorILNS1_17partition_subalgoE6EjNS0_10empty_typeEbEEZZNS1_14partition_implILS5_6ELb0ES3_mN6thrust23THRUST_200600_302600_NS6detail15normal_iteratorINSA_10device_ptrIjEEEEPS6_SG_NS0_5tupleIJSF_S6_EEENSH_IJSG_SG_EEES6_PlJNSB_9not_fun_tI7is_trueIjEEEEEE10hipError_tPvRmT3_T4_T5_T6_T7_T9_mT8_P12ihipStream_tbDpT10_ENKUlT_T0_E_clISt17integral_constantIbLb1EES18_EEDaS13_S14_EUlS13_E_NS1_11comp_targetILNS1_3genE0ELNS1_11target_archE4294967295ELNS1_3gpuE0ELNS1_3repE0EEENS1_30default_config_static_selectorELNS0_4arch9wavefront6targetE0EEEvT1_,"axG",@progbits,_ZN7rocprim17ROCPRIM_400000_NS6detail17trampoline_kernelINS0_14default_configENS1_25partition_config_selectorILNS1_17partition_subalgoE6EjNS0_10empty_typeEbEEZZNS1_14partition_implILS5_6ELb0ES3_mN6thrust23THRUST_200600_302600_NS6detail15normal_iteratorINSA_10device_ptrIjEEEEPS6_SG_NS0_5tupleIJSF_S6_EEENSH_IJSG_SG_EEES6_PlJNSB_9not_fun_tI7is_trueIjEEEEEE10hipError_tPvRmT3_T4_T5_T6_T7_T9_mT8_P12ihipStream_tbDpT10_ENKUlT_T0_E_clISt17integral_constantIbLb1EES18_EEDaS13_S14_EUlS13_E_NS1_11comp_targetILNS1_3genE0ELNS1_11target_archE4294967295ELNS1_3gpuE0ELNS1_3repE0EEENS1_30default_config_static_selectorELNS0_4arch9wavefront6targetE0EEEvT1_,comdat
	.protected	_ZN7rocprim17ROCPRIM_400000_NS6detail17trampoline_kernelINS0_14default_configENS1_25partition_config_selectorILNS1_17partition_subalgoE6EjNS0_10empty_typeEbEEZZNS1_14partition_implILS5_6ELb0ES3_mN6thrust23THRUST_200600_302600_NS6detail15normal_iteratorINSA_10device_ptrIjEEEEPS6_SG_NS0_5tupleIJSF_S6_EEENSH_IJSG_SG_EEES6_PlJNSB_9not_fun_tI7is_trueIjEEEEEE10hipError_tPvRmT3_T4_T5_T6_T7_T9_mT8_P12ihipStream_tbDpT10_ENKUlT_T0_E_clISt17integral_constantIbLb1EES18_EEDaS13_S14_EUlS13_E_NS1_11comp_targetILNS1_3genE0ELNS1_11target_archE4294967295ELNS1_3gpuE0ELNS1_3repE0EEENS1_30default_config_static_selectorELNS0_4arch9wavefront6targetE0EEEvT1_ ; -- Begin function _ZN7rocprim17ROCPRIM_400000_NS6detail17trampoline_kernelINS0_14default_configENS1_25partition_config_selectorILNS1_17partition_subalgoE6EjNS0_10empty_typeEbEEZZNS1_14partition_implILS5_6ELb0ES3_mN6thrust23THRUST_200600_302600_NS6detail15normal_iteratorINSA_10device_ptrIjEEEEPS6_SG_NS0_5tupleIJSF_S6_EEENSH_IJSG_SG_EEES6_PlJNSB_9not_fun_tI7is_trueIjEEEEEE10hipError_tPvRmT3_T4_T5_T6_T7_T9_mT8_P12ihipStream_tbDpT10_ENKUlT_T0_E_clISt17integral_constantIbLb1EES18_EEDaS13_S14_EUlS13_E_NS1_11comp_targetILNS1_3genE0ELNS1_11target_archE4294967295ELNS1_3gpuE0ELNS1_3repE0EEENS1_30default_config_static_selectorELNS0_4arch9wavefront6targetE0EEEvT1_
	.globl	_ZN7rocprim17ROCPRIM_400000_NS6detail17trampoline_kernelINS0_14default_configENS1_25partition_config_selectorILNS1_17partition_subalgoE6EjNS0_10empty_typeEbEEZZNS1_14partition_implILS5_6ELb0ES3_mN6thrust23THRUST_200600_302600_NS6detail15normal_iteratorINSA_10device_ptrIjEEEEPS6_SG_NS0_5tupleIJSF_S6_EEENSH_IJSG_SG_EEES6_PlJNSB_9not_fun_tI7is_trueIjEEEEEE10hipError_tPvRmT3_T4_T5_T6_T7_T9_mT8_P12ihipStream_tbDpT10_ENKUlT_T0_E_clISt17integral_constantIbLb1EES18_EEDaS13_S14_EUlS13_E_NS1_11comp_targetILNS1_3genE0ELNS1_11target_archE4294967295ELNS1_3gpuE0ELNS1_3repE0EEENS1_30default_config_static_selectorELNS0_4arch9wavefront6targetE0EEEvT1_
	.p2align	8
	.type	_ZN7rocprim17ROCPRIM_400000_NS6detail17trampoline_kernelINS0_14default_configENS1_25partition_config_selectorILNS1_17partition_subalgoE6EjNS0_10empty_typeEbEEZZNS1_14partition_implILS5_6ELb0ES3_mN6thrust23THRUST_200600_302600_NS6detail15normal_iteratorINSA_10device_ptrIjEEEEPS6_SG_NS0_5tupleIJSF_S6_EEENSH_IJSG_SG_EEES6_PlJNSB_9not_fun_tI7is_trueIjEEEEEE10hipError_tPvRmT3_T4_T5_T6_T7_T9_mT8_P12ihipStream_tbDpT10_ENKUlT_T0_E_clISt17integral_constantIbLb1EES18_EEDaS13_S14_EUlS13_E_NS1_11comp_targetILNS1_3genE0ELNS1_11target_archE4294967295ELNS1_3gpuE0ELNS1_3repE0EEENS1_30default_config_static_selectorELNS0_4arch9wavefront6targetE0EEEvT1_,@function
_ZN7rocprim17ROCPRIM_400000_NS6detail17trampoline_kernelINS0_14default_configENS1_25partition_config_selectorILNS1_17partition_subalgoE6EjNS0_10empty_typeEbEEZZNS1_14partition_implILS5_6ELb0ES3_mN6thrust23THRUST_200600_302600_NS6detail15normal_iteratorINSA_10device_ptrIjEEEEPS6_SG_NS0_5tupleIJSF_S6_EEENSH_IJSG_SG_EEES6_PlJNSB_9not_fun_tI7is_trueIjEEEEEE10hipError_tPvRmT3_T4_T5_T6_T7_T9_mT8_P12ihipStream_tbDpT10_ENKUlT_T0_E_clISt17integral_constantIbLb1EES18_EEDaS13_S14_EUlS13_E_NS1_11comp_targetILNS1_3genE0ELNS1_11target_archE4294967295ELNS1_3gpuE0ELNS1_3repE0EEENS1_30default_config_static_selectorELNS0_4arch9wavefront6targetE0EEEvT1_: ; @_ZN7rocprim17ROCPRIM_400000_NS6detail17trampoline_kernelINS0_14default_configENS1_25partition_config_selectorILNS1_17partition_subalgoE6EjNS0_10empty_typeEbEEZZNS1_14partition_implILS5_6ELb0ES3_mN6thrust23THRUST_200600_302600_NS6detail15normal_iteratorINSA_10device_ptrIjEEEEPS6_SG_NS0_5tupleIJSF_S6_EEENSH_IJSG_SG_EEES6_PlJNSB_9not_fun_tI7is_trueIjEEEEEE10hipError_tPvRmT3_T4_T5_T6_T7_T9_mT8_P12ihipStream_tbDpT10_ENKUlT_T0_E_clISt17integral_constantIbLb1EES18_EEDaS13_S14_EUlS13_E_NS1_11comp_targetILNS1_3genE0ELNS1_11target_archE4294967295ELNS1_3gpuE0ELNS1_3repE0EEENS1_30default_config_static_selectorELNS0_4arch9wavefront6targetE0EEEvT1_
; %bb.0:
	.section	.rodata,"a",@progbits
	.p2align	6, 0x0
	.amdhsa_kernel _ZN7rocprim17ROCPRIM_400000_NS6detail17trampoline_kernelINS0_14default_configENS1_25partition_config_selectorILNS1_17partition_subalgoE6EjNS0_10empty_typeEbEEZZNS1_14partition_implILS5_6ELb0ES3_mN6thrust23THRUST_200600_302600_NS6detail15normal_iteratorINSA_10device_ptrIjEEEEPS6_SG_NS0_5tupleIJSF_S6_EEENSH_IJSG_SG_EEES6_PlJNSB_9not_fun_tI7is_trueIjEEEEEE10hipError_tPvRmT3_T4_T5_T6_T7_T9_mT8_P12ihipStream_tbDpT10_ENKUlT_T0_E_clISt17integral_constantIbLb1EES18_EEDaS13_S14_EUlS13_E_NS1_11comp_targetILNS1_3genE0ELNS1_11target_archE4294967295ELNS1_3gpuE0ELNS1_3repE0EEENS1_30default_config_static_selectorELNS0_4arch9wavefront6targetE0EEEvT1_
		.amdhsa_group_segment_fixed_size 0
		.amdhsa_private_segment_fixed_size 0
		.amdhsa_kernarg_size 128
		.amdhsa_user_sgpr_count 2
		.amdhsa_user_sgpr_dispatch_ptr 0
		.amdhsa_user_sgpr_queue_ptr 0
		.amdhsa_user_sgpr_kernarg_segment_ptr 1
		.amdhsa_user_sgpr_dispatch_id 0
		.amdhsa_user_sgpr_private_segment_size 0
		.amdhsa_wavefront_size32 1
		.amdhsa_uses_dynamic_stack 0
		.amdhsa_enable_private_segment 0
		.amdhsa_system_sgpr_workgroup_id_x 1
		.amdhsa_system_sgpr_workgroup_id_y 0
		.amdhsa_system_sgpr_workgroup_id_z 0
		.amdhsa_system_sgpr_workgroup_info 0
		.amdhsa_system_vgpr_workitem_id 0
		.amdhsa_next_free_vgpr 1
		.amdhsa_next_free_sgpr 1
		.amdhsa_reserve_vcc 0
		.amdhsa_float_round_mode_32 0
		.amdhsa_float_round_mode_16_64 0
		.amdhsa_float_denorm_mode_32 3
		.amdhsa_float_denorm_mode_16_64 3
		.amdhsa_fp16_overflow 0
		.amdhsa_workgroup_processor_mode 1
		.amdhsa_memory_ordered 1
		.amdhsa_forward_progress 1
		.amdhsa_inst_pref_size 0
		.amdhsa_round_robin_scheduling 0
		.amdhsa_exception_fp_ieee_invalid_op 0
		.amdhsa_exception_fp_denorm_src 0
		.amdhsa_exception_fp_ieee_div_zero 0
		.amdhsa_exception_fp_ieee_overflow 0
		.amdhsa_exception_fp_ieee_underflow 0
		.amdhsa_exception_fp_ieee_inexact 0
		.amdhsa_exception_int_div_zero 0
	.end_amdhsa_kernel
	.section	.text._ZN7rocprim17ROCPRIM_400000_NS6detail17trampoline_kernelINS0_14default_configENS1_25partition_config_selectorILNS1_17partition_subalgoE6EjNS0_10empty_typeEbEEZZNS1_14partition_implILS5_6ELb0ES3_mN6thrust23THRUST_200600_302600_NS6detail15normal_iteratorINSA_10device_ptrIjEEEEPS6_SG_NS0_5tupleIJSF_S6_EEENSH_IJSG_SG_EEES6_PlJNSB_9not_fun_tI7is_trueIjEEEEEE10hipError_tPvRmT3_T4_T5_T6_T7_T9_mT8_P12ihipStream_tbDpT10_ENKUlT_T0_E_clISt17integral_constantIbLb1EES18_EEDaS13_S14_EUlS13_E_NS1_11comp_targetILNS1_3genE0ELNS1_11target_archE4294967295ELNS1_3gpuE0ELNS1_3repE0EEENS1_30default_config_static_selectorELNS0_4arch9wavefront6targetE0EEEvT1_,"axG",@progbits,_ZN7rocprim17ROCPRIM_400000_NS6detail17trampoline_kernelINS0_14default_configENS1_25partition_config_selectorILNS1_17partition_subalgoE6EjNS0_10empty_typeEbEEZZNS1_14partition_implILS5_6ELb0ES3_mN6thrust23THRUST_200600_302600_NS6detail15normal_iteratorINSA_10device_ptrIjEEEEPS6_SG_NS0_5tupleIJSF_S6_EEENSH_IJSG_SG_EEES6_PlJNSB_9not_fun_tI7is_trueIjEEEEEE10hipError_tPvRmT3_T4_T5_T6_T7_T9_mT8_P12ihipStream_tbDpT10_ENKUlT_T0_E_clISt17integral_constantIbLb1EES18_EEDaS13_S14_EUlS13_E_NS1_11comp_targetILNS1_3genE0ELNS1_11target_archE4294967295ELNS1_3gpuE0ELNS1_3repE0EEENS1_30default_config_static_selectorELNS0_4arch9wavefront6targetE0EEEvT1_,comdat
.Lfunc_end1149:
	.size	_ZN7rocprim17ROCPRIM_400000_NS6detail17trampoline_kernelINS0_14default_configENS1_25partition_config_selectorILNS1_17partition_subalgoE6EjNS0_10empty_typeEbEEZZNS1_14partition_implILS5_6ELb0ES3_mN6thrust23THRUST_200600_302600_NS6detail15normal_iteratorINSA_10device_ptrIjEEEEPS6_SG_NS0_5tupleIJSF_S6_EEENSH_IJSG_SG_EEES6_PlJNSB_9not_fun_tI7is_trueIjEEEEEE10hipError_tPvRmT3_T4_T5_T6_T7_T9_mT8_P12ihipStream_tbDpT10_ENKUlT_T0_E_clISt17integral_constantIbLb1EES18_EEDaS13_S14_EUlS13_E_NS1_11comp_targetILNS1_3genE0ELNS1_11target_archE4294967295ELNS1_3gpuE0ELNS1_3repE0EEENS1_30default_config_static_selectorELNS0_4arch9wavefront6targetE0EEEvT1_, .Lfunc_end1149-_ZN7rocprim17ROCPRIM_400000_NS6detail17trampoline_kernelINS0_14default_configENS1_25partition_config_selectorILNS1_17partition_subalgoE6EjNS0_10empty_typeEbEEZZNS1_14partition_implILS5_6ELb0ES3_mN6thrust23THRUST_200600_302600_NS6detail15normal_iteratorINSA_10device_ptrIjEEEEPS6_SG_NS0_5tupleIJSF_S6_EEENSH_IJSG_SG_EEES6_PlJNSB_9not_fun_tI7is_trueIjEEEEEE10hipError_tPvRmT3_T4_T5_T6_T7_T9_mT8_P12ihipStream_tbDpT10_ENKUlT_T0_E_clISt17integral_constantIbLb1EES18_EEDaS13_S14_EUlS13_E_NS1_11comp_targetILNS1_3genE0ELNS1_11target_archE4294967295ELNS1_3gpuE0ELNS1_3repE0EEENS1_30default_config_static_selectorELNS0_4arch9wavefront6targetE0EEEvT1_
                                        ; -- End function
	.set _ZN7rocprim17ROCPRIM_400000_NS6detail17trampoline_kernelINS0_14default_configENS1_25partition_config_selectorILNS1_17partition_subalgoE6EjNS0_10empty_typeEbEEZZNS1_14partition_implILS5_6ELb0ES3_mN6thrust23THRUST_200600_302600_NS6detail15normal_iteratorINSA_10device_ptrIjEEEEPS6_SG_NS0_5tupleIJSF_S6_EEENSH_IJSG_SG_EEES6_PlJNSB_9not_fun_tI7is_trueIjEEEEEE10hipError_tPvRmT3_T4_T5_T6_T7_T9_mT8_P12ihipStream_tbDpT10_ENKUlT_T0_E_clISt17integral_constantIbLb1EES18_EEDaS13_S14_EUlS13_E_NS1_11comp_targetILNS1_3genE0ELNS1_11target_archE4294967295ELNS1_3gpuE0ELNS1_3repE0EEENS1_30default_config_static_selectorELNS0_4arch9wavefront6targetE0EEEvT1_.num_vgpr, 0
	.set _ZN7rocprim17ROCPRIM_400000_NS6detail17trampoline_kernelINS0_14default_configENS1_25partition_config_selectorILNS1_17partition_subalgoE6EjNS0_10empty_typeEbEEZZNS1_14partition_implILS5_6ELb0ES3_mN6thrust23THRUST_200600_302600_NS6detail15normal_iteratorINSA_10device_ptrIjEEEEPS6_SG_NS0_5tupleIJSF_S6_EEENSH_IJSG_SG_EEES6_PlJNSB_9not_fun_tI7is_trueIjEEEEEE10hipError_tPvRmT3_T4_T5_T6_T7_T9_mT8_P12ihipStream_tbDpT10_ENKUlT_T0_E_clISt17integral_constantIbLb1EES18_EEDaS13_S14_EUlS13_E_NS1_11comp_targetILNS1_3genE0ELNS1_11target_archE4294967295ELNS1_3gpuE0ELNS1_3repE0EEENS1_30default_config_static_selectorELNS0_4arch9wavefront6targetE0EEEvT1_.num_agpr, 0
	.set _ZN7rocprim17ROCPRIM_400000_NS6detail17trampoline_kernelINS0_14default_configENS1_25partition_config_selectorILNS1_17partition_subalgoE6EjNS0_10empty_typeEbEEZZNS1_14partition_implILS5_6ELb0ES3_mN6thrust23THRUST_200600_302600_NS6detail15normal_iteratorINSA_10device_ptrIjEEEEPS6_SG_NS0_5tupleIJSF_S6_EEENSH_IJSG_SG_EEES6_PlJNSB_9not_fun_tI7is_trueIjEEEEEE10hipError_tPvRmT3_T4_T5_T6_T7_T9_mT8_P12ihipStream_tbDpT10_ENKUlT_T0_E_clISt17integral_constantIbLb1EES18_EEDaS13_S14_EUlS13_E_NS1_11comp_targetILNS1_3genE0ELNS1_11target_archE4294967295ELNS1_3gpuE0ELNS1_3repE0EEENS1_30default_config_static_selectorELNS0_4arch9wavefront6targetE0EEEvT1_.numbered_sgpr, 0
	.set _ZN7rocprim17ROCPRIM_400000_NS6detail17trampoline_kernelINS0_14default_configENS1_25partition_config_selectorILNS1_17partition_subalgoE6EjNS0_10empty_typeEbEEZZNS1_14partition_implILS5_6ELb0ES3_mN6thrust23THRUST_200600_302600_NS6detail15normal_iteratorINSA_10device_ptrIjEEEEPS6_SG_NS0_5tupleIJSF_S6_EEENSH_IJSG_SG_EEES6_PlJNSB_9not_fun_tI7is_trueIjEEEEEE10hipError_tPvRmT3_T4_T5_T6_T7_T9_mT8_P12ihipStream_tbDpT10_ENKUlT_T0_E_clISt17integral_constantIbLb1EES18_EEDaS13_S14_EUlS13_E_NS1_11comp_targetILNS1_3genE0ELNS1_11target_archE4294967295ELNS1_3gpuE0ELNS1_3repE0EEENS1_30default_config_static_selectorELNS0_4arch9wavefront6targetE0EEEvT1_.num_named_barrier, 0
	.set _ZN7rocprim17ROCPRIM_400000_NS6detail17trampoline_kernelINS0_14default_configENS1_25partition_config_selectorILNS1_17partition_subalgoE6EjNS0_10empty_typeEbEEZZNS1_14partition_implILS5_6ELb0ES3_mN6thrust23THRUST_200600_302600_NS6detail15normal_iteratorINSA_10device_ptrIjEEEEPS6_SG_NS0_5tupleIJSF_S6_EEENSH_IJSG_SG_EEES6_PlJNSB_9not_fun_tI7is_trueIjEEEEEE10hipError_tPvRmT3_T4_T5_T6_T7_T9_mT8_P12ihipStream_tbDpT10_ENKUlT_T0_E_clISt17integral_constantIbLb1EES18_EEDaS13_S14_EUlS13_E_NS1_11comp_targetILNS1_3genE0ELNS1_11target_archE4294967295ELNS1_3gpuE0ELNS1_3repE0EEENS1_30default_config_static_selectorELNS0_4arch9wavefront6targetE0EEEvT1_.private_seg_size, 0
	.set _ZN7rocprim17ROCPRIM_400000_NS6detail17trampoline_kernelINS0_14default_configENS1_25partition_config_selectorILNS1_17partition_subalgoE6EjNS0_10empty_typeEbEEZZNS1_14partition_implILS5_6ELb0ES3_mN6thrust23THRUST_200600_302600_NS6detail15normal_iteratorINSA_10device_ptrIjEEEEPS6_SG_NS0_5tupleIJSF_S6_EEENSH_IJSG_SG_EEES6_PlJNSB_9not_fun_tI7is_trueIjEEEEEE10hipError_tPvRmT3_T4_T5_T6_T7_T9_mT8_P12ihipStream_tbDpT10_ENKUlT_T0_E_clISt17integral_constantIbLb1EES18_EEDaS13_S14_EUlS13_E_NS1_11comp_targetILNS1_3genE0ELNS1_11target_archE4294967295ELNS1_3gpuE0ELNS1_3repE0EEENS1_30default_config_static_selectorELNS0_4arch9wavefront6targetE0EEEvT1_.uses_vcc, 0
	.set _ZN7rocprim17ROCPRIM_400000_NS6detail17trampoline_kernelINS0_14default_configENS1_25partition_config_selectorILNS1_17partition_subalgoE6EjNS0_10empty_typeEbEEZZNS1_14partition_implILS5_6ELb0ES3_mN6thrust23THRUST_200600_302600_NS6detail15normal_iteratorINSA_10device_ptrIjEEEEPS6_SG_NS0_5tupleIJSF_S6_EEENSH_IJSG_SG_EEES6_PlJNSB_9not_fun_tI7is_trueIjEEEEEE10hipError_tPvRmT3_T4_T5_T6_T7_T9_mT8_P12ihipStream_tbDpT10_ENKUlT_T0_E_clISt17integral_constantIbLb1EES18_EEDaS13_S14_EUlS13_E_NS1_11comp_targetILNS1_3genE0ELNS1_11target_archE4294967295ELNS1_3gpuE0ELNS1_3repE0EEENS1_30default_config_static_selectorELNS0_4arch9wavefront6targetE0EEEvT1_.uses_flat_scratch, 0
	.set _ZN7rocprim17ROCPRIM_400000_NS6detail17trampoline_kernelINS0_14default_configENS1_25partition_config_selectorILNS1_17partition_subalgoE6EjNS0_10empty_typeEbEEZZNS1_14partition_implILS5_6ELb0ES3_mN6thrust23THRUST_200600_302600_NS6detail15normal_iteratorINSA_10device_ptrIjEEEEPS6_SG_NS0_5tupleIJSF_S6_EEENSH_IJSG_SG_EEES6_PlJNSB_9not_fun_tI7is_trueIjEEEEEE10hipError_tPvRmT3_T4_T5_T6_T7_T9_mT8_P12ihipStream_tbDpT10_ENKUlT_T0_E_clISt17integral_constantIbLb1EES18_EEDaS13_S14_EUlS13_E_NS1_11comp_targetILNS1_3genE0ELNS1_11target_archE4294967295ELNS1_3gpuE0ELNS1_3repE0EEENS1_30default_config_static_selectorELNS0_4arch9wavefront6targetE0EEEvT1_.has_dyn_sized_stack, 0
	.set _ZN7rocprim17ROCPRIM_400000_NS6detail17trampoline_kernelINS0_14default_configENS1_25partition_config_selectorILNS1_17partition_subalgoE6EjNS0_10empty_typeEbEEZZNS1_14partition_implILS5_6ELb0ES3_mN6thrust23THRUST_200600_302600_NS6detail15normal_iteratorINSA_10device_ptrIjEEEEPS6_SG_NS0_5tupleIJSF_S6_EEENSH_IJSG_SG_EEES6_PlJNSB_9not_fun_tI7is_trueIjEEEEEE10hipError_tPvRmT3_T4_T5_T6_T7_T9_mT8_P12ihipStream_tbDpT10_ENKUlT_T0_E_clISt17integral_constantIbLb1EES18_EEDaS13_S14_EUlS13_E_NS1_11comp_targetILNS1_3genE0ELNS1_11target_archE4294967295ELNS1_3gpuE0ELNS1_3repE0EEENS1_30default_config_static_selectorELNS0_4arch9wavefront6targetE0EEEvT1_.has_recursion, 0
	.set _ZN7rocprim17ROCPRIM_400000_NS6detail17trampoline_kernelINS0_14default_configENS1_25partition_config_selectorILNS1_17partition_subalgoE6EjNS0_10empty_typeEbEEZZNS1_14partition_implILS5_6ELb0ES3_mN6thrust23THRUST_200600_302600_NS6detail15normal_iteratorINSA_10device_ptrIjEEEEPS6_SG_NS0_5tupleIJSF_S6_EEENSH_IJSG_SG_EEES6_PlJNSB_9not_fun_tI7is_trueIjEEEEEE10hipError_tPvRmT3_T4_T5_T6_T7_T9_mT8_P12ihipStream_tbDpT10_ENKUlT_T0_E_clISt17integral_constantIbLb1EES18_EEDaS13_S14_EUlS13_E_NS1_11comp_targetILNS1_3genE0ELNS1_11target_archE4294967295ELNS1_3gpuE0ELNS1_3repE0EEENS1_30default_config_static_selectorELNS0_4arch9wavefront6targetE0EEEvT1_.has_indirect_call, 0
	.section	.AMDGPU.csdata,"",@progbits
; Kernel info:
; codeLenInByte = 0
; TotalNumSgprs: 0
; NumVgprs: 0
; ScratchSize: 0
; MemoryBound: 0
; FloatMode: 240
; IeeeMode: 1
; LDSByteSize: 0 bytes/workgroup (compile time only)
; SGPRBlocks: 0
; VGPRBlocks: 0
; NumSGPRsForWavesPerEU: 1
; NumVGPRsForWavesPerEU: 1
; Occupancy: 16
; WaveLimiterHint : 0
; COMPUTE_PGM_RSRC2:SCRATCH_EN: 0
; COMPUTE_PGM_RSRC2:USER_SGPR: 2
; COMPUTE_PGM_RSRC2:TRAP_HANDLER: 0
; COMPUTE_PGM_RSRC2:TGID_X_EN: 1
; COMPUTE_PGM_RSRC2:TGID_Y_EN: 0
; COMPUTE_PGM_RSRC2:TGID_Z_EN: 0
; COMPUTE_PGM_RSRC2:TIDIG_COMP_CNT: 0
	.section	.text._ZN7rocprim17ROCPRIM_400000_NS6detail17trampoline_kernelINS0_14default_configENS1_25partition_config_selectorILNS1_17partition_subalgoE6EjNS0_10empty_typeEbEEZZNS1_14partition_implILS5_6ELb0ES3_mN6thrust23THRUST_200600_302600_NS6detail15normal_iteratorINSA_10device_ptrIjEEEEPS6_SG_NS0_5tupleIJSF_S6_EEENSH_IJSG_SG_EEES6_PlJNSB_9not_fun_tI7is_trueIjEEEEEE10hipError_tPvRmT3_T4_T5_T6_T7_T9_mT8_P12ihipStream_tbDpT10_ENKUlT_T0_E_clISt17integral_constantIbLb1EES18_EEDaS13_S14_EUlS13_E_NS1_11comp_targetILNS1_3genE5ELNS1_11target_archE942ELNS1_3gpuE9ELNS1_3repE0EEENS1_30default_config_static_selectorELNS0_4arch9wavefront6targetE0EEEvT1_,"axG",@progbits,_ZN7rocprim17ROCPRIM_400000_NS6detail17trampoline_kernelINS0_14default_configENS1_25partition_config_selectorILNS1_17partition_subalgoE6EjNS0_10empty_typeEbEEZZNS1_14partition_implILS5_6ELb0ES3_mN6thrust23THRUST_200600_302600_NS6detail15normal_iteratorINSA_10device_ptrIjEEEEPS6_SG_NS0_5tupleIJSF_S6_EEENSH_IJSG_SG_EEES6_PlJNSB_9not_fun_tI7is_trueIjEEEEEE10hipError_tPvRmT3_T4_T5_T6_T7_T9_mT8_P12ihipStream_tbDpT10_ENKUlT_T0_E_clISt17integral_constantIbLb1EES18_EEDaS13_S14_EUlS13_E_NS1_11comp_targetILNS1_3genE5ELNS1_11target_archE942ELNS1_3gpuE9ELNS1_3repE0EEENS1_30default_config_static_selectorELNS0_4arch9wavefront6targetE0EEEvT1_,comdat
	.protected	_ZN7rocprim17ROCPRIM_400000_NS6detail17trampoline_kernelINS0_14default_configENS1_25partition_config_selectorILNS1_17partition_subalgoE6EjNS0_10empty_typeEbEEZZNS1_14partition_implILS5_6ELb0ES3_mN6thrust23THRUST_200600_302600_NS6detail15normal_iteratorINSA_10device_ptrIjEEEEPS6_SG_NS0_5tupleIJSF_S6_EEENSH_IJSG_SG_EEES6_PlJNSB_9not_fun_tI7is_trueIjEEEEEE10hipError_tPvRmT3_T4_T5_T6_T7_T9_mT8_P12ihipStream_tbDpT10_ENKUlT_T0_E_clISt17integral_constantIbLb1EES18_EEDaS13_S14_EUlS13_E_NS1_11comp_targetILNS1_3genE5ELNS1_11target_archE942ELNS1_3gpuE9ELNS1_3repE0EEENS1_30default_config_static_selectorELNS0_4arch9wavefront6targetE0EEEvT1_ ; -- Begin function _ZN7rocprim17ROCPRIM_400000_NS6detail17trampoline_kernelINS0_14default_configENS1_25partition_config_selectorILNS1_17partition_subalgoE6EjNS0_10empty_typeEbEEZZNS1_14partition_implILS5_6ELb0ES3_mN6thrust23THRUST_200600_302600_NS6detail15normal_iteratorINSA_10device_ptrIjEEEEPS6_SG_NS0_5tupleIJSF_S6_EEENSH_IJSG_SG_EEES6_PlJNSB_9not_fun_tI7is_trueIjEEEEEE10hipError_tPvRmT3_T4_T5_T6_T7_T9_mT8_P12ihipStream_tbDpT10_ENKUlT_T0_E_clISt17integral_constantIbLb1EES18_EEDaS13_S14_EUlS13_E_NS1_11comp_targetILNS1_3genE5ELNS1_11target_archE942ELNS1_3gpuE9ELNS1_3repE0EEENS1_30default_config_static_selectorELNS0_4arch9wavefront6targetE0EEEvT1_
	.globl	_ZN7rocprim17ROCPRIM_400000_NS6detail17trampoline_kernelINS0_14default_configENS1_25partition_config_selectorILNS1_17partition_subalgoE6EjNS0_10empty_typeEbEEZZNS1_14partition_implILS5_6ELb0ES3_mN6thrust23THRUST_200600_302600_NS6detail15normal_iteratorINSA_10device_ptrIjEEEEPS6_SG_NS0_5tupleIJSF_S6_EEENSH_IJSG_SG_EEES6_PlJNSB_9not_fun_tI7is_trueIjEEEEEE10hipError_tPvRmT3_T4_T5_T6_T7_T9_mT8_P12ihipStream_tbDpT10_ENKUlT_T0_E_clISt17integral_constantIbLb1EES18_EEDaS13_S14_EUlS13_E_NS1_11comp_targetILNS1_3genE5ELNS1_11target_archE942ELNS1_3gpuE9ELNS1_3repE0EEENS1_30default_config_static_selectorELNS0_4arch9wavefront6targetE0EEEvT1_
	.p2align	8
	.type	_ZN7rocprim17ROCPRIM_400000_NS6detail17trampoline_kernelINS0_14default_configENS1_25partition_config_selectorILNS1_17partition_subalgoE6EjNS0_10empty_typeEbEEZZNS1_14partition_implILS5_6ELb0ES3_mN6thrust23THRUST_200600_302600_NS6detail15normal_iteratorINSA_10device_ptrIjEEEEPS6_SG_NS0_5tupleIJSF_S6_EEENSH_IJSG_SG_EEES6_PlJNSB_9not_fun_tI7is_trueIjEEEEEE10hipError_tPvRmT3_T4_T5_T6_T7_T9_mT8_P12ihipStream_tbDpT10_ENKUlT_T0_E_clISt17integral_constantIbLb1EES18_EEDaS13_S14_EUlS13_E_NS1_11comp_targetILNS1_3genE5ELNS1_11target_archE942ELNS1_3gpuE9ELNS1_3repE0EEENS1_30default_config_static_selectorELNS0_4arch9wavefront6targetE0EEEvT1_,@function
_ZN7rocprim17ROCPRIM_400000_NS6detail17trampoline_kernelINS0_14default_configENS1_25partition_config_selectorILNS1_17partition_subalgoE6EjNS0_10empty_typeEbEEZZNS1_14partition_implILS5_6ELb0ES3_mN6thrust23THRUST_200600_302600_NS6detail15normal_iteratorINSA_10device_ptrIjEEEEPS6_SG_NS0_5tupleIJSF_S6_EEENSH_IJSG_SG_EEES6_PlJNSB_9not_fun_tI7is_trueIjEEEEEE10hipError_tPvRmT3_T4_T5_T6_T7_T9_mT8_P12ihipStream_tbDpT10_ENKUlT_T0_E_clISt17integral_constantIbLb1EES18_EEDaS13_S14_EUlS13_E_NS1_11comp_targetILNS1_3genE5ELNS1_11target_archE942ELNS1_3gpuE9ELNS1_3repE0EEENS1_30default_config_static_selectorELNS0_4arch9wavefront6targetE0EEEvT1_: ; @_ZN7rocprim17ROCPRIM_400000_NS6detail17trampoline_kernelINS0_14default_configENS1_25partition_config_selectorILNS1_17partition_subalgoE6EjNS0_10empty_typeEbEEZZNS1_14partition_implILS5_6ELb0ES3_mN6thrust23THRUST_200600_302600_NS6detail15normal_iteratorINSA_10device_ptrIjEEEEPS6_SG_NS0_5tupleIJSF_S6_EEENSH_IJSG_SG_EEES6_PlJNSB_9not_fun_tI7is_trueIjEEEEEE10hipError_tPvRmT3_T4_T5_T6_T7_T9_mT8_P12ihipStream_tbDpT10_ENKUlT_T0_E_clISt17integral_constantIbLb1EES18_EEDaS13_S14_EUlS13_E_NS1_11comp_targetILNS1_3genE5ELNS1_11target_archE942ELNS1_3gpuE9ELNS1_3repE0EEENS1_30default_config_static_selectorELNS0_4arch9wavefront6targetE0EEEvT1_
; %bb.0:
	.section	.rodata,"a",@progbits
	.p2align	6, 0x0
	.amdhsa_kernel _ZN7rocprim17ROCPRIM_400000_NS6detail17trampoline_kernelINS0_14default_configENS1_25partition_config_selectorILNS1_17partition_subalgoE6EjNS0_10empty_typeEbEEZZNS1_14partition_implILS5_6ELb0ES3_mN6thrust23THRUST_200600_302600_NS6detail15normal_iteratorINSA_10device_ptrIjEEEEPS6_SG_NS0_5tupleIJSF_S6_EEENSH_IJSG_SG_EEES6_PlJNSB_9not_fun_tI7is_trueIjEEEEEE10hipError_tPvRmT3_T4_T5_T6_T7_T9_mT8_P12ihipStream_tbDpT10_ENKUlT_T0_E_clISt17integral_constantIbLb1EES18_EEDaS13_S14_EUlS13_E_NS1_11comp_targetILNS1_3genE5ELNS1_11target_archE942ELNS1_3gpuE9ELNS1_3repE0EEENS1_30default_config_static_selectorELNS0_4arch9wavefront6targetE0EEEvT1_
		.amdhsa_group_segment_fixed_size 0
		.amdhsa_private_segment_fixed_size 0
		.amdhsa_kernarg_size 128
		.amdhsa_user_sgpr_count 2
		.amdhsa_user_sgpr_dispatch_ptr 0
		.amdhsa_user_sgpr_queue_ptr 0
		.amdhsa_user_sgpr_kernarg_segment_ptr 1
		.amdhsa_user_sgpr_dispatch_id 0
		.amdhsa_user_sgpr_private_segment_size 0
		.amdhsa_wavefront_size32 1
		.amdhsa_uses_dynamic_stack 0
		.amdhsa_enable_private_segment 0
		.amdhsa_system_sgpr_workgroup_id_x 1
		.amdhsa_system_sgpr_workgroup_id_y 0
		.amdhsa_system_sgpr_workgroup_id_z 0
		.amdhsa_system_sgpr_workgroup_info 0
		.amdhsa_system_vgpr_workitem_id 0
		.amdhsa_next_free_vgpr 1
		.amdhsa_next_free_sgpr 1
		.amdhsa_reserve_vcc 0
		.amdhsa_float_round_mode_32 0
		.amdhsa_float_round_mode_16_64 0
		.amdhsa_float_denorm_mode_32 3
		.amdhsa_float_denorm_mode_16_64 3
		.amdhsa_fp16_overflow 0
		.amdhsa_workgroup_processor_mode 1
		.amdhsa_memory_ordered 1
		.amdhsa_forward_progress 1
		.amdhsa_inst_pref_size 0
		.amdhsa_round_robin_scheduling 0
		.amdhsa_exception_fp_ieee_invalid_op 0
		.amdhsa_exception_fp_denorm_src 0
		.amdhsa_exception_fp_ieee_div_zero 0
		.amdhsa_exception_fp_ieee_overflow 0
		.amdhsa_exception_fp_ieee_underflow 0
		.amdhsa_exception_fp_ieee_inexact 0
		.amdhsa_exception_int_div_zero 0
	.end_amdhsa_kernel
	.section	.text._ZN7rocprim17ROCPRIM_400000_NS6detail17trampoline_kernelINS0_14default_configENS1_25partition_config_selectorILNS1_17partition_subalgoE6EjNS0_10empty_typeEbEEZZNS1_14partition_implILS5_6ELb0ES3_mN6thrust23THRUST_200600_302600_NS6detail15normal_iteratorINSA_10device_ptrIjEEEEPS6_SG_NS0_5tupleIJSF_S6_EEENSH_IJSG_SG_EEES6_PlJNSB_9not_fun_tI7is_trueIjEEEEEE10hipError_tPvRmT3_T4_T5_T6_T7_T9_mT8_P12ihipStream_tbDpT10_ENKUlT_T0_E_clISt17integral_constantIbLb1EES18_EEDaS13_S14_EUlS13_E_NS1_11comp_targetILNS1_3genE5ELNS1_11target_archE942ELNS1_3gpuE9ELNS1_3repE0EEENS1_30default_config_static_selectorELNS0_4arch9wavefront6targetE0EEEvT1_,"axG",@progbits,_ZN7rocprim17ROCPRIM_400000_NS6detail17trampoline_kernelINS0_14default_configENS1_25partition_config_selectorILNS1_17partition_subalgoE6EjNS0_10empty_typeEbEEZZNS1_14partition_implILS5_6ELb0ES3_mN6thrust23THRUST_200600_302600_NS6detail15normal_iteratorINSA_10device_ptrIjEEEEPS6_SG_NS0_5tupleIJSF_S6_EEENSH_IJSG_SG_EEES6_PlJNSB_9not_fun_tI7is_trueIjEEEEEE10hipError_tPvRmT3_T4_T5_T6_T7_T9_mT8_P12ihipStream_tbDpT10_ENKUlT_T0_E_clISt17integral_constantIbLb1EES18_EEDaS13_S14_EUlS13_E_NS1_11comp_targetILNS1_3genE5ELNS1_11target_archE942ELNS1_3gpuE9ELNS1_3repE0EEENS1_30default_config_static_selectorELNS0_4arch9wavefront6targetE0EEEvT1_,comdat
.Lfunc_end1150:
	.size	_ZN7rocprim17ROCPRIM_400000_NS6detail17trampoline_kernelINS0_14default_configENS1_25partition_config_selectorILNS1_17partition_subalgoE6EjNS0_10empty_typeEbEEZZNS1_14partition_implILS5_6ELb0ES3_mN6thrust23THRUST_200600_302600_NS6detail15normal_iteratorINSA_10device_ptrIjEEEEPS6_SG_NS0_5tupleIJSF_S6_EEENSH_IJSG_SG_EEES6_PlJNSB_9not_fun_tI7is_trueIjEEEEEE10hipError_tPvRmT3_T4_T5_T6_T7_T9_mT8_P12ihipStream_tbDpT10_ENKUlT_T0_E_clISt17integral_constantIbLb1EES18_EEDaS13_S14_EUlS13_E_NS1_11comp_targetILNS1_3genE5ELNS1_11target_archE942ELNS1_3gpuE9ELNS1_3repE0EEENS1_30default_config_static_selectorELNS0_4arch9wavefront6targetE0EEEvT1_, .Lfunc_end1150-_ZN7rocprim17ROCPRIM_400000_NS6detail17trampoline_kernelINS0_14default_configENS1_25partition_config_selectorILNS1_17partition_subalgoE6EjNS0_10empty_typeEbEEZZNS1_14partition_implILS5_6ELb0ES3_mN6thrust23THRUST_200600_302600_NS6detail15normal_iteratorINSA_10device_ptrIjEEEEPS6_SG_NS0_5tupleIJSF_S6_EEENSH_IJSG_SG_EEES6_PlJNSB_9not_fun_tI7is_trueIjEEEEEE10hipError_tPvRmT3_T4_T5_T6_T7_T9_mT8_P12ihipStream_tbDpT10_ENKUlT_T0_E_clISt17integral_constantIbLb1EES18_EEDaS13_S14_EUlS13_E_NS1_11comp_targetILNS1_3genE5ELNS1_11target_archE942ELNS1_3gpuE9ELNS1_3repE0EEENS1_30default_config_static_selectorELNS0_4arch9wavefront6targetE0EEEvT1_
                                        ; -- End function
	.set _ZN7rocprim17ROCPRIM_400000_NS6detail17trampoline_kernelINS0_14default_configENS1_25partition_config_selectorILNS1_17partition_subalgoE6EjNS0_10empty_typeEbEEZZNS1_14partition_implILS5_6ELb0ES3_mN6thrust23THRUST_200600_302600_NS6detail15normal_iteratorINSA_10device_ptrIjEEEEPS6_SG_NS0_5tupleIJSF_S6_EEENSH_IJSG_SG_EEES6_PlJNSB_9not_fun_tI7is_trueIjEEEEEE10hipError_tPvRmT3_T4_T5_T6_T7_T9_mT8_P12ihipStream_tbDpT10_ENKUlT_T0_E_clISt17integral_constantIbLb1EES18_EEDaS13_S14_EUlS13_E_NS1_11comp_targetILNS1_3genE5ELNS1_11target_archE942ELNS1_3gpuE9ELNS1_3repE0EEENS1_30default_config_static_selectorELNS0_4arch9wavefront6targetE0EEEvT1_.num_vgpr, 0
	.set _ZN7rocprim17ROCPRIM_400000_NS6detail17trampoline_kernelINS0_14default_configENS1_25partition_config_selectorILNS1_17partition_subalgoE6EjNS0_10empty_typeEbEEZZNS1_14partition_implILS5_6ELb0ES3_mN6thrust23THRUST_200600_302600_NS6detail15normal_iteratorINSA_10device_ptrIjEEEEPS6_SG_NS0_5tupleIJSF_S6_EEENSH_IJSG_SG_EEES6_PlJNSB_9not_fun_tI7is_trueIjEEEEEE10hipError_tPvRmT3_T4_T5_T6_T7_T9_mT8_P12ihipStream_tbDpT10_ENKUlT_T0_E_clISt17integral_constantIbLb1EES18_EEDaS13_S14_EUlS13_E_NS1_11comp_targetILNS1_3genE5ELNS1_11target_archE942ELNS1_3gpuE9ELNS1_3repE0EEENS1_30default_config_static_selectorELNS0_4arch9wavefront6targetE0EEEvT1_.num_agpr, 0
	.set _ZN7rocprim17ROCPRIM_400000_NS6detail17trampoline_kernelINS0_14default_configENS1_25partition_config_selectorILNS1_17partition_subalgoE6EjNS0_10empty_typeEbEEZZNS1_14partition_implILS5_6ELb0ES3_mN6thrust23THRUST_200600_302600_NS6detail15normal_iteratorINSA_10device_ptrIjEEEEPS6_SG_NS0_5tupleIJSF_S6_EEENSH_IJSG_SG_EEES6_PlJNSB_9not_fun_tI7is_trueIjEEEEEE10hipError_tPvRmT3_T4_T5_T6_T7_T9_mT8_P12ihipStream_tbDpT10_ENKUlT_T0_E_clISt17integral_constantIbLb1EES18_EEDaS13_S14_EUlS13_E_NS1_11comp_targetILNS1_3genE5ELNS1_11target_archE942ELNS1_3gpuE9ELNS1_3repE0EEENS1_30default_config_static_selectorELNS0_4arch9wavefront6targetE0EEEvT1_.numbered_sgpr, 0
	.set _ZN7rocprim17ROCPRIM_400000_NS6detail17trampoline_kernelINS0_14default_configENS1_25partition_config_selectorILNS1_17partition_subalgoE6EjNS0_10empty_typeEbEEZZNS1_14partition_implILS5_6ELb0ES3_mN6thrust23THRUST_200600_302600_NS6detail15normal_iteratorINSA_10device_ptrIjEEEEPS6_SG_NS0_5tupleIJSF_S6_EEENSH_IJSG_SG_EEES6_PlJNSB_9not_fun_tI7is_trueIjEEEEEE10hipError_tPvRmT3_T4_T5_T6_T7_T9_mT8_P12ihipStream_tbDpT10_ENKUlT_T0_E_clISt17integral_constantIbLb1EES18_EEDaS13_S14_EUlS13_E_NS1_11comp_targetILNS1_3genE5ELNS1_11target_archE942ELNS1_3gpuE9ELNS1_3repE0EEENS1_30default_config_static_selectorELNS0_4arch9wavefront6targetE0EEEvT1_.num_named_barrier, 0
	.set _ZN7rocprim17ROCPRIM_400000_NS6detail17trampoline_kernelINS0_14default_configENS1_25partition_config_selectorILNS1_17partition_subalgoE6EjNS0_10empty_typeEbEEZZNS1_14partition_implILS5_6ELb0ES3_mN6thrust23THRUST_200600_302600_NS6detail15normal_iteratorINSA_10device_ptrIjEEEEPS6_SG_NS0_5tupleIJSF_S6_EEENSH_IJSG_SG_EEES6_PlJNSB_9not_fun_tI7is_trueIjEEEEEE10hipError_tPvRmT3_T4_T5_T6_T7_T9_mT8_P12ihipStream_tbDpT10_ENKUlT_T0_E_clISt17integral_constantIbLb1EES18_EEDaS13_S14_EUlS13_E_NS1_11comp_targetILNS1_3genE5ELNS1_11target_archE942ELNS1_3gpuE9ELNS1_3repE0EEENS1_30default_config_static_selectorELNS0_4arch9wavefront6targetE0EEEvT1_.private_seg_size, 0
	.set _ZN7rocprim17ROCPRIM_400000_NS6detail17trampoline_kernelINS0_14default_configENS1_25partition_config_selectorILNS1_17partition_subalgoE6EjNS0_10empty_typeEbEEZZNS1_14partition_implILS5_6ELb0ES3_mN6thrust23THRUST_200600_302600_NS6detail15normal_iteratorINSA_10device_ptrIjEEEEPS6_SG_NS0_5tupleIJSF_S6_EEENSH_IJSG_SG_EEES6_PlJNSB_9not_fun_tI7is_trueIjEEEEEE10hipError_tPvRmT3_T4_T5_T6_T7_T9_mT8_P12ihipStream_tbDpT10_ENKUlT_T0_E_clISt17integral_constantIbLb1EES18_EEDaS13_S14_EUlS13_E_NS1_11comp_targetILNS1_3genE5ELNS1_11target_archE942ELNS1_3gpuE9ELNS1_3repE0EEENS1_30default_config_static_selectorELNS0_4arch9wavefront6targetE0EEEvT1_.uses_vcc, 0
	.set _ZN7rocprim17ROCPRIM_400000_NS6detail17trampoline_kernelINS0_14default_configENS1_25partition_config_selectorILNS1_17partition_subalgoE6EjNS0_10empty_typeEbEEZZNS1_14partition_implILS5_6ELb0ES3_mN6thrust23THRUST_200600_302600_NS6detail15normal_iteratorINSA_10device_ptrIjEEEEPS6_SG_NS0_5tupleIJSF_S6_EEENSH_IJSG_SG_EEES6_PlJNSB_9not_fun_tI7is_trueIjEEEEEE10hipError_tPvRmT3_T4_T5_T6_T7_T9_mT8_P12ihipStream_tbDpT10_ENKUlT_T0_E_clISt17integral_constantIbLb1EES18_EEDaS13_S14_EUlS13_E_NS1_11comp_targetILNS1_3genE5ELNS1_11target_archE942ELNS1_3gpuE9ELNS1_3repE0EEENS1_30default_config_static_selectorELNS0_4arch9wavefront6targetE0EEEvT1_.uses_flat_scratch, 0
	.set _ZN7rocprim17ROCPRIM_400000_NS6detail17trampoline_kernelINS0_14default_configENS1_25partition_config_selectorILNS1_17partition_subalgoE6EjNS0_10empty_typeEbEEZZNS1_14partition_implILS5_6ELb0ES3_mN6thrust23THRUST_200600_302600_NS6detail15normal_iteratorINSA_10device_ptrIjEEEEPS6_SG_NS0_5tupleIJSF_S6_EEENSH_IJSG_SG_EEES6_PlJNSB_9not_fun_tI7is_trueIjEEEEEE10hipError_tPvRmT3_T4_T5_T6_T7_T9_mT8_P12ihipStream_tbDpT10_ENKUlT_T0_E_clISt17integral_constantIbLb1EES18_EEDaS13_S14_EUlS13_E_NS1_11comp_targetILNS1_3genE5ELNS1_11target_archE942ELNS1_3gpuE9ELNS1_3repE0EEENS1_30default_config_static_selectorELNS0_4arch9wavefront6targetE0EEEvT1_.has_dyn_sized_stack, 0
	.set _ZN7rocprim17ROCPRIM_400000_NS6detail17trampoline_kernelINS0_14default_configENS1_25partition_config_selectorILNS1_17partition_subalgoE6EjNS0_10empty_typeEbEEZZNS1_14partition_implILS5_6ELb0ES3_mN6thrust23THRUST_200600_302600_NS6detail15normal_iteratorINSA_10device_ptrIjEEEEPS6_SG_NS0_5tupleIJSF_S6_EEENSH_IJSG_SG_EEES6_PlJNSB_9not_fun_tI7is_trueIjEEEEEE10hipError_tPvRmT3_T4_T5_T6_T7_T9_mT8_P12ihipStream_tbDpT10_ENKUlT_T0_E_clISt17integral_constantIbLb1EES18_EEDaS13_S14_EUlS13_E_NS1_11comp_targetILNS1_3genE5ELNS1_11target_archE942ELNS1_3gpuE9ELNS1_3repE0EEENS1_30default_config_static_selectorELNS0_4arch9wavefront6targetE0EEEvT1_.has_recursion, 0
	.set _ZN7rocprim17ROCPRIM_400000_NS6detail17trampoline_kernelINS0_14default_configENS1_25partition_config_selectorILNS1_17partition_subalgoE6EjNS0_10empty_typeEbEEZZNS1_14partition_implILS5_6ELb0ES3_mN6thrust23THRUST_200600_302600_NS6detail15normal_iteratorINSA_10device_ptrIjEEEEPS6_SG_NS0_5tupleIJSF_S6_EEENSH_IJSG_SG_EEES6_PlJNSB_9not_fun_tI7is_trueIjEEEEEE10hipError_tPvRmT3_T4_T5_T6_T7_T9_mT8_P12ihipStream_tbDpT10_ENKUlT_T0_E_clISt17integral_constantIbLb1EES18_EEDaS13_S14_EUlS13_E_NS1_11comp_targetILNS1_3genE5ELNS1_11target_archE942ELNS1_3gpuE9ELNS1_3repE0EEENS1_30default_config_static_selectorELNS0_4arch9wavefront6targetE0EEEvT1_.has_indirect_call, 0
	.section	.AMDGPU.csdata,"",@progbits
; Kernel info:
; codeLenInByte = 0
; TotalNumSgprs: 0
; NumVgprs: 0
; ScratchSize: 0
; MemoryBound: 0
; FloatMode: 240
; IeeeMode: 1
; LDSByteSize: 0 bytes/workgroup (compile time only)
; SGPRBlocks: 0
; VGPRBlocks: 0
; NumSGPRsForWavesPerEU: 1
; NumVGPRsForWavesPerEU: 1
; Occupancy: 16
; WaveLimiterHint : 0
; COMPUTE_PGM_RSRC2:SCRATCH_EN: 0
; COMPUTE_PGM_RSRC2:USER_SGPR: 2
; COMPUTE_PGM_RSRC2:TRAP_HANDLER: 0
; COMPUTE_PGM_RSRC2:TGID_X_EN: 1
; COMPUTE_PGM_RSRC2:TGID_Y_EN: 0
; COMPUTE_PGM_RSRC2:TGID_Z_EN: 0
; COMPUTE_PGM_RSRC2:TIDIG_COMP_CNT: 0
	.section	.text._ZN7rocprim17ROCPRIM_400000_NS6detail17trampoline_kernelINS0_14default_configENS1_25partition_config_selectorILNS1_17partition_subalgoE6EjNS0_10empty_typeEbEEZZNS1_14partition_implILS5_6ELb0ES3_mN6thrust23THRUST_200600_302600_NS6detail15normal_iteratorINSA_10device_ptrIjEEEEPS6_SG_NS0_5tupleIJSF_S6_EEENSH_IJSG_SG_EEES6_PlJNSB_9not_fun_tI7is_trueIjEEEEEE10hipError_tPvRmT3_T4_T5_T6_T7_T9_mT8_P12ihipStream_tbDpT10_ENKUlT_T0_E_clISt17integral_constantIbLb1EES18_EEDaS13_S14_EUlS13_E_NS1_11comp_targetILNS1_3genE4ELNS1_11target_archE910ELNS1_3gpuE8ELNS1_3repE0EEENS1_30default_config_static_selectorELNS0_4arch9wavefront6targetE0EEEvT1_,"axG",@progbits,_ZN7rocprim17ROCPRIM_400000_NS6detail17trampoline_kernelINS0_14default_configENS1_25partition_config_selectorILNS1_17partition_subalgoE6EjNS0_10empty_typeEbEEZZNS1_14partition_implILS5_6ELb0ES3_mN6thrust23THRUST_200600_302600_NS6detail15normal_iteratorINSA_10device_ptrIjEEEEPS6_SG_NS0_5tupleIJSF_S6_EEENSH_IJSG_SG_EEES6_PlJNSB_9not_fun_tI7is_trueIjEEEEEE10hipError_tPvRmT3_T4_T5_T6_T7_T9_mT8_P12ihipStream_tbDpT10_ENKUlT_T0_E_clISt17integral_constantIbLb1EES18_EEDaS13_S14_EUlS13_E_NS1_11comp_targetILNS1_3genE4ELNS1_11target_archE910ELNS1_3gpuE8ELNS1_3repE0EEENS1_30default_config_static_selectorELNS0_4arch9wavefront6targetE0EEEvT1_,comdat
	.protected	_ZN7rocprim17ROCPRIM_400000_NS6detail17trampoline_kernelINS0_14default_configENS1_25partition_config_selectorILNS1_17partition_subalgoE6EjNS0_10empty_typeEbEEZZNS1_14partition_implILS5_6ELb0ES3_mN6thrust23THRUST_200600_302600_NS6detail15normal_iteratorINSA_10device_ptrIjEEEEPS6_SG_NS0_5tupleIJSF_S6_EEENSH_IJSG_SG_EEES6_PlJNSB_9not_fun_tI7is_trueIjEEEEEE10hipError_tPvRmT3_T4_T5_T6_T7_T9_mT8_P12ihipStream_tbDpT10_ENKUlT_T0_E_clISt17integral_constantIbLb1EES18_EEDaS13_S14_EUlS13_E_NS1_11comp_targetILNS1_3genE4ELNS1_11target_archE910ELNS1_3gpuE8ELNS1_3repE0EEENS1_30default_config_static_selectorELNS0_4arch9wavefront6targetE0EEEvT1_ ; -- Begin function _ZN7rocprim17ROCPRIM_400000_NS6detail17trampoline_kernelINS0_14default_configENS1_25partition_config_selectorILNS1_17partition_subalgoE6EjNS0_10empty_typeEbEEZZNS1_14partition_implILS5_6ELb0ES3_mN6thrust23THRUST_200600_302600_NS6detail15normal_iteratorINSA_10device_ptrIjEEEEPS6_SG_NS0_5tupleIJSF_S6_EEENSH_IJSG_SG_EEES6_PlJNSB_9not_fun_tI7is_trueIjEEEEEE10hipError_tPvRmT3_T4_T5_T6_T7_T9_mT8_P12ihipStream_tbDpT10_ENKUlT_T0_E_clISt17integral_constantIbLb1EES18_EEDaS13_S14_EUlS13_E_NS1_11comp_targetILNS1_3genE4ELNS1_11target_archE910ELNS1_3gpuE8ELNS1_3repE0EEENS1_30default_config_static_selectorELNS0_4arch9wavefront6targetE0EEEvT1_
	.globl	_ZN7rocprim17ROCPRIM_400000_NS6detail17trampoline_kernelINS0_14default_configENS1_25partition_config_selectorILNS1_17partition_subalgoE6EjNS0_10empty_typeEbEEZZNS1_14partition_implILS5_6ELb0ES3_mN6thrust23THRUST_200600_302600_NS6detail15normal_iteratorINSA_10device_ptrIjEEEEPS6_SG_NS0_5tupleIJSF_S6_EEENSH_IJSG_SG_EEES6_PlJNSB_9not_fun_tI7is_trueIjEEEEEE10hipError_tPvRmT3_T4_T5_T6_T7_T9_mT8_P12ihipStream_tbDpT10_ENKUlT_T0_E_clISt17integral_constantIbLb1EES18_EEDaS13_S14_EUlS13_E_NS1_11comp_targetILNS1_3genE4ELNS1_11target_archE910ELNS1_3gpuE8ELNS1_3repE0EEENS1_30default_config_static_selectorELNS0_4arch9wavefront6targetE0EEEvT1_
	.p2align	8
	.type	_ZN7rocprim17ROCPRIM_400000_NS6detail17trampoline_kernelINS0_14default_configENS1_25partition_config_selectorILNS1_17partition_subalgoE6EjNS0_10empty_typeEbEEZZNS1_14partition_implILS5_6ELb0ES3_mN6thrust23THRUST_200600_302600_NS6detail15normal_iteratorINSA_10device_ptrIjEEEEPS6_SG_NS0_5tupleIJSF_S6_EEENSH_IJSG_SG_EEES6_PlJNSB_9not_fun_tI7is_trueIjEEEEEE10hipError_tPvRmT3_T4_T5_T6_T7_T9_mT8_P12ihipStream_tbDpT10_ENKUlT_T0_E_clISt17integral_constantIbLb1EES18_EEDaS13_S14_EUlS13_E_NS1_11comp_targetILNS1_3genE4ELNS1_11target_archE910ELNS1_3gpuE8ELNS1_3repE0EEENS1_30default_config_static_selectorELNS0_4arch9wavefront6targetE0EEEvT1_,@function
_ZN7rocprim17ROCPRIM_400000_NS6detail17trampoline_kernelINS0_14default_configENS1_25partition_config_selectorILNS1_17partition_subalgoE6EjNS0_10empty_typeEbEEZZNS1_14partition_implILS5_6ELb0ES3_mN6thrust23THRUST_200600_302600_NS6detail15normal_iteratorINSA_10device_ptrIjEEEEPS6_SG_NS0_5tupleIJSF_S6_EEENSH_IJSG_SG_EEES6_PlJNSB_9not_fun_tI7is_trueIjEEEEEE10hipError_tPvRmT3_T4_T5_T6_T7_T9_mT8_P12ihipStream_tbDpT10_ENKUlT_T0_E_clISt17integral_constantIbLb1EES18_EEDaS13_S14_EUlS13_E_NS1_11comp_targetILNS1_3genE4ELNS1_11target_archE910ELNS1_3gpuE8ELNS1_3repE0EEENS1_30default_config_static_selectorELNS0_4arch9wavefront6targetE0EEEvT1_: ; @_ZN7rocprim17ROCPRIM_400000_NS6detail17trampoline_kernelINS0_14default_configENS1_25partition_config_selectorILNS1_17partition_subalgoE6EjNS0_10empty_typeEbEEZZNS1_14partition_implILS5_6ELb0ES3_mN6thrust23THRUST_200600_302600_NS6detail15normal_iteratorINSA_10device_ptrIjEEEEPS6_SG_NS0_5tupleIJSF_S6_EEENSH_IJSG_SG_EEES6_PlJNSB_9not_fun_tI7is_trueIjEEEEEE10hipError_tPvRmT3_T4_T5_T6_T7_T9_mT8_P12ihipStream_tbDpT10_ENKUlT_T0_E_clISt17integral_constantIbLb1EES18_EEDaS13_S14_EUlS13_E_NS1_11comp_targetILNS1_3genE4ELNS1_11target_archE910ELNS1_3gpuE8ELNS1_3repE0EEENS1_30default_config_static_selectorELNS0_4arch9wavefront6targetE0EEEvT1_
; %bb.0:
	.section	.rodata,"a",@progbits
	.p2align	6, 0x0
	.amdhsa_kernel _ZN7rocprim17ROCPRIM_400000_NS6detail17trampoline_kernelINS0_14default_configENS1_25partition_config_selectorILNS1_17partition_subalgoE6EjNS0_10empty_typeEbEEZZNS1_14partition_implILS5_6ELb0ES3_mN6thrust23THRUST_200600_302600_NS6detail15normal_iteratorINSA_10device_ptrIjEEEEPS6_SG_NS0_5tupleIJSF_S6_EEENSH_IJSG_SG_EEES6_PlJNSB_9not_fun_tI7is_trueIjEEEEEE10hipError_tPvRmT3_T4_T5_T6_T7_T9_mT8_P12ihipStream_tbDpT10_ENKUlT_T0_E_clISt17integral_constantIbLb1EES18_EEDaS13_S14_EUlS13_E_NS1_11comp_targetILNS1_3genE4ELNS1_11target_archE910ELNS1_3gpuE8ELNS1_3repE0EEENS1_30default_config_static_selectorELNS0_4arch9wavefront6targetE0EEEvT1_
		.amdhsa_group_segment_fixed_size 0
		.amdhsa_private_segment_fixed_size 0
		.amdhsa_kernarg_size 128
		.amdhsa_user_sgpr_count 2
		.amdhsa_user_sgpr_dispatch_ptr 0
		.amdhsa_user_sgpr_queue_ptr 0
		.amdhsa_user_sgpr_kernarg_segment_ptr 1
		.amdhsa_user_sgpr_dispatch_id 0
		.amdhsa_user_sgpr_private_segment_size 0
		.amdhsa_wavefront_size32 1
		.amdhsa_uses_dynamic_stack 0
		.amdhsa_enable_private_segment 0
		.amdhsa_system_sgpr_workgroup_id_x 1
		.amdhsa_system_sgpr_workgroup_id_y 0
		.amdhsa_system_sgpr_workgroup_id_z 0
		.amdhsa_system_sgpr_workgroup_info 0
		.amdhsa_system_vgpr_workitem_id 0
		.amdhsa_next_free_vgpr 1
		.amdhsa_next_free_sgpr 1
		.amdhsa_reserve_vcc 0
		.amdhsa_float_round_mode_32 0
		.amdhsa_float_round_mode_16_64 0
		.amdhsa_float_denorm_mode_32 3
		.amdhsa_float_denorm_mode_16_64 3
		.amdhsa_fp16_overflow 0
		.amdhsa_workgroup_processor_mode 1
		.amdhsa_memory_ordered 1
		.amdhsa_forward_progress 1
		.amdhsa_inst_pref_size 0
		.amdhsa_round_robin_scheduling 0
		.amdhsa_exception_fp_ieee_invalid_op 0
		.amdhsa_exception_fp_denorm_src 0
		.amdhsa_exception_fp_ieee_div_zero 0
		.amdhsa_exception_fp_ieee_overflow 0
		.amdhsa_exception_fp_ieee_underflow 0
		.amdhsa_exception_fp_ieee_inexact 0
		.amdhsa_exception_int_div_zero 0
	.end_amdhsa_kernel
	.section	.text._ZN7rocprim17ROCPRIM_400000_NS6detail17trampoline_kernelINS0_14default_configENS1_25partition_config_selectorILNS1_17partition_subalgoE6EjNS0_10empty_typeEbEEZZNS1_14partition_implILS5_6ELb0ES3_mN6thrust23THRUST_200600_302600_NS6detail15normal_iteratorINSA_10device_ptrIjEEEEPS6_SG_NS0_5tupleIJSF_S6_EEENSH_IJSG_SG_EEES6_PlJNSB_9not_fun_tI7is_trueIjEEEEEE10hipError_tPvRmT3_T4_T5_T6_T7_T9_mT8_P12ihipStream_tbDpT10_ENKUlT_T0_E_clISt17integral_constantIbLb1EES18_EEDaS13_S14_EUlS13_E_NS1_11comp_targetILNS1_3genE4ELNS1_11target_archE910ELNS1_3gpuE8ELNS1_3repE0EEENS1_30default_config_static_selectorELNS0_4arch9wavefront6targetE0EEEvT1_,"axG",@progbits,_ZN7rocprim17ROCPRIM_400000_NS6detail17trampoline_kernelINS0_14default_configENS1_25partition_config_selectorILNS1_17partition_subalgoE6EjNS0_10empty_typeEbEEZZNS1_14partition_implILS5_6ELb0ES3_mN6thrust23THRUST_200600_302600_NS6detail15normal_iteratorINSA_10device_ptrIjEEEEPS6_SG_NS0_5tupleIJSF_S6_EEENSH_IJSG_SG_EEES6_PlJNSB_9not_fun_tI7is_trueIjEEEEEE10hipError_tPvRmT3_T4_T5_T6_T7_T9_mT8_P12ihipStream_tbDpT10_ENKUlT_T0_E_clISt17integral_constantIbLb1EES18_EEDaS13_S14_EUlS13_E_NS1_11comp_targetILNS1_3genE4ELNS1_11target_archE910ELNS1_3gpuE8ELNS1_3repE0EEENS1_30default_config_static_selectorELNS0_4arch9wavefront6targetE0EEEvT1_,comdat
.Lfunc_end1151:
	.size	_ZN7rocprim17ROCPRIM_400000_NS6detail17trampoline_kernelINS0_14default_configENS1_25partition_config_selectorILNS1_17partition_subalgoE6EjNS0_10empty_typeEbEEZZNS1_14partition_implILS5_6ELb0ES3_mN6thrust23THRUST_200600_302600_NS6detail15normal_iteratorINSA_10device_ptrIjEEEEPS6_SG_NS0_5tupleIJSF_S6_EEENSH_IJSG_SG_EEES6_PlJNSB_9not_fun_tI7is_trueIjEEEEEE10hipError_tPvRmT3_T4_T5_T6_T7_T9_mT8_P12ihipStream_tbDpT10_ENKUlT_T0_E_clISt17integral_constantIbLb1EES18_EEDaS13_S14_EUlS13_E_NS1_11comp_targetILNS1_3genE4ELNS1_11target_archE910ELNS1_3gpuE8ELNS1_3repE0EEENS1_30default_config_static_selectorELNS0_4arch9wavefront6targetE0EEEvT1_, .Lfunc_end1151-_ZN7rocprim17ROCPRIM_400000_NS6detail17trampoline_kernelINS0_14default_configENS1_25partition_config_selectorILNS1_17partition_subalgoE6EjNS0_10empty_typeEbEEZZNS1_14partition_implILS5_6ELb0ES3_mN6thrust23THRUST_200600_302600_NS6detail15normal_iteratorINSA_10device_ptrIjEEEEPS6_SG_NS0_5tupleIJSF_S6_EEENSH_IJSG_SG_EEES6_PlJNSB_9not_fun_tI7is_trueIjEEEEEE10hipError_tPvRmT3_T4_T5_T6_T7_T9_mT8_P12ihipStream_tbDpT10_ENKUlT_T0_E_clISt17integral_constantIbLb1EES18_EEDaS13_S14_EUlS13_E_NS1_11comp_targetILNS1_3genE4ELNS1_11target_archE910ELNS1_3gpuE8ELNS1_3repE0EEENS1_30default_config_static_selectorELNS0_4arch9wavefront6targetE0EEEvT1_
                                        ; -- End function
	.set _ZN7rocprim17ROCPRIM_400000_NS6detail17trampoline_kernelINS0_14default_configENS1_25partition_config_selectorILNS1_17partition_subalgoE6EjNS0_10empty_typeEbEEZZNS1_14partition_implILS5_6ELb0ES3_mN6thrust23THRUST_200600_302600_NS6detail15normal_iteratorINSA_10device_ptrIjEEEEPS6_SG_NS0_5tupleIJSF_S6_EEENSH_IJSG_SG_EEES6_PlJNSB_9not_fun_tI7is_trueIjEEEEEE10hipError_tPvRmT3_T4_T5_T6_T7_T9_mT8_P12ihipStream_tbDpT10_ENKUlT_T0_E_clISt17integral_constantIbLb1EES18_EEDaS13_S14_EUlS13_E_NS1_11comp_targetILNS1_3genE4ELNS1_11target_archE910ELNS1_3gpuE8ELNS1_3repE0EEENS1_30default_config_static_selectorELNS0_4arch9wavefront6targetE0EEEvT1_.num_vgpr, 0
	.set _ZN7rocprim17ROCPRIM_400000_NS6detail17trampoline_kernelINS0_14default_configENS1_25partition_config_selectorILNS1_17partition_subalgoE6EjNS0_10empty_typeEbEEZZNS1_14partition_implILS5_6ELb0ES3_mN6thrust23THRUST_200600_302600_NS6detail15normal_iteratorINSA_10device_ptrIjEEEEPS6_SG_NS0_5tupleIJSF_S6_EEENSH_IJSG_SG_EEES6_PlJNSB_9not_fun_tI7is_trueIjEEEEEE10hipError_tPvRmT3_T4_T5_T6_T7_T9_mT8_P12ihipStream_tbDpT10_ENKUlT_T0_E_clISt17integral_constantIbLb1EES18_EEDaS13_S14_EUlS13_E_NS1_11comp_targetILNS1_3genE4ELNS1_11target_archE910ELNS1_3gpuE8ELNS1_3repE0EEENS1_30default_config_static_selectorELNS0_4arch9wavefront6targetE0EEEvT1_.num_agpr, 0
	.set _ZN7rocprim17ROCPRIM_400000_NS6detail17trampoline_kernelINS0_14default_configENS1_25partition_config_selectorILNS1_17partition_subalgoE6EjNS0_10empty_typeEbEEZZNS1_14partition_implILS5_6ELb0ES3_mN6thrust23THRUST_200600_302600_NS6detail15normal_iteratorINSA_10device_ptrIjEEEEPS6_SG_NS0_5tupleIJSF_S6_EEENSH_IJSG_SG_EEES6_PlJNSB_9not_fun_tI7is_trueIjEEEEEE10hipError_tPvRmT3_T4_T5_T6_T7_T9_mT8_P12ihipStream_tbDpT10_ENKUlT_T0_E_clISt17integral_constantIbLb1EES18_EEDaS13_S14_EUlS13_E_NS1_11comp_targetILNS1_3genE4ELNS1_11target_archE910ELNS1_3gpuE8ELNS1_3repE0EEENS1_30default_config_static_selectorELNS0_4arch9wavefront6targetE0EEEvT1_.numbered_sgpr, 0
	.set _ZN7rocprim17ROCPRIM_400000_NS6detail17trampoline_kernelINS0_14default_configENS1_25partition_config_selectorILNS1_17partition_subalgoE6EjNS0_10empty_typeEbEEZZNS1_14partition_implILS5_6ELb0ES3_mN6thrust23THRUST_200600_302600_NS6detail15normal_iteratorINSA_10device_ptrIjEEEEPS6_SG_NS0_5tupleIJSF_S6_EEENSH_IJSG_SG_EEES6_PlJNSB_9not_fun_tI7is_trueIjEEEEEE10hipError_tPvRmT3_T4_T5_T6_T7_T9_mT8_P12ihipStream_tbDpT10_ENKUlT_T0_E_clISt17integral_constantIbLb1EES18_EEDaS13_S14_EUlS13_E_NS1_11comp_targetILNS1_3genE4ELNS1_11target_archE910ELNS1_3gpuE8ELNS1_3repE0EEENS1_30default_config_static_selectorELNS0_4arch9wavefront6targetE0EEEvT1_.num_named_barrier, 0
	.set _ZN7rocprim17ROCPRIM_400000_NS6detail17trampoline_kernelINS0_14default_configENS1_25partition_config_selectorILNS1_17partition_subalgoE6EjNS0_10empty_typeEbEEZZNS1_14partition_implILS5_6ELb0ES3_mN6thrust23THRUST_200600_302600_NS6detail15normal_iteratorINSA_10device_ptrIjEEEEPS6_SG_NS0_5tupleIJSF_S6_EEENSH_IJSG_SG_EEES6_PlJNSB_9not_fun_tI7is_trueIjEEEEEE10hipError_tPvRmT3_T4_T5_T6_T7_T9_mT8_P12ihipStream_tbDpT10_ENKUlT_T0_E_clISt17integral_constantIbLb1EES18_EEDaS13_S14_EUlS13_E_NS1_11comp_targetILNS1_3genE4ELNS1_11target_archE910ELNS1_3gpuE8ELNS1_3repE0EEENS1_30default_config_static_selectorELNS0_4arch9wavefront6targetE0EEEvT1_.private_seg_size, 0
	.set _ZN7rocprim17ROCPRIM_400000_NS6detail17trampoline_kernelINS0_14default_configENS1_25partition_config_selectorILNS1_17partition_subalgoE6EjNS0_10empty_typeEbEEZZNS1_14partition_implILS5_6ELb0ES3_mN6thrust23THRUST_200600_302600_NS6detail15normal_iteratorINSA_10device_ptrIjEEEEPS6_SG_NS0_5tupleIJSF_S6_EEENSH_IJSG_SG_EEES6_PlJNSB_9not_fun_tI7is_trueIjEEEEEE10hipError_tPvRmT3_T4_T5_T6_T7_T9_mT8_P12ihipStream_tbDpT10_ENKUlT_T0_E_clISt17integral_constantIbLb1EES18_EEDaS13_S14_EUlS13_E_NS1_11comp_targetILNS1_3genE4ELNS1_11target_archE910ELNS1_3gpuE8ELNS1_3repE0EEENS1_30default_config_static_selectorELNS0_4arch9wavefront6targetE0EEEvT1_.uses_vcc, 0
	.set _ZN7rocprim17ROCPRIM_400000_NS6detail17trampoline_kernelINS0_14default_configENS1_25partition_config_selectorILNS1_17partition_subalgoE6EjNS0_10empty_typeEbEEZZNS1_14partition_implILS5_6ELb0ES3_mN6thrust23THRUST_200600_302600_NS6detail15normal_iteratorINSA_10device_ptrIjEEEEPS6_SG_NS0_5tupleIJSF_S6_EEENSH_IJSG_SG_EEES6_PlJNSB_9not_fun_tI7is_trueIjEEEEEE10hipError_tPvRmT3_T4_T5_T6_T7_T9_mT8_P12ihipStream_tbDpT10_ENKUlT_T0_E_clISt17integral_constantIbLb1EES18_EEDaS13_S14_EUlS13_E_NS1_11comp_targetILNS1_3genE4ELNS1_11target_archE910ELNS1_3gpuE8ELNS1_3repE0EEENS1_30default_config_static_selectorELNS0_4arch9wavefront6targetE0EEEvT1_.uses_flat_scratch, 0
	.set _ZN7rocprim17ROCPRIM_400000_NS6detail17trampoline_kernelINS0_14default_configENS1_25partition_config_selectorILNS1_17partition_subalgoE6EjNS0_10empty_typeEbEEZZNS1_14partition_implILS5_6ELb0ES3_mN6thrust23THRUST_200600_302600_NS6detail15normal_iteratorINSA_10device_ptrIjEEEEPS6_SG_NS0_5tupleIJSF_S6_EEENSH_IJSG_SG_EEES6_PlJNSB_9not_fun_tI7is_trueIjEEEEEE10hipError_tPvRmT3_T4_T5_T6_T7_T9_mT8_P12ihipStream_tbDpT10_ENKUlT_T0_E_clISt17integral_constantIbLb1EES18_EEDaS13_S14_EUlS13_E_NS1_11comp_targetILNS1_3genE4ELNS1_11target_archE910ELNS1_3gpuE8ELNS1_3repE0EEENS1_30default_config_static_selectorELNS0_4arch9wavefront6targetE0EEEvT1_.has_dyn_sized_stack, 0
	.set _ZN7rocprim17ROCPRIM_400000_NS6detail17trampoline_kernelINS0_14default_configENS1_25partition_config_selectorILNS1_17partition_subalgoE6EjNS0_10empty_typeEbEEZZNS1_14partition_implILS5_6ELb0ES3_mN6thrust23THRUST_200600_302600_NS6detail15normal_iteratorINSA_10device_ptrIjEEEEPS6_SG_NS0_5tupleIJSF_S6_EEENSH_IJSG_SG_EEES6_PlJNSB_9not_fun_tI7is_trueIjEEEEEE10hipError_tPvRmT3_T4_T5_T6_T7_T9_mT8_P12ihipStream_tbDpT10_ENKUlT_T0_E_clISt17integral_constantIbLb1EES18_EEDaS13_S14_EUlS13_E_NS1_11comp_targetILNS1_3genE4ELNS1_11target_archE910ELNS1_3gpuE8ELNS1_3repE0EEENS1_30default_config_static_selectorELNS0_4arch9wavefront6targetE0EEEvT1_.has_recursion, 0
	.set _ZN7rocprim17ROCPRIM_400000_NS6detail17trampoline_kernelINS0_14default_configENS1_25partition_config_selectorILNS1_17partition_subalgoE6EjNS0_10empty_typeEbEEZZNS1_14partition_implILS5_6ELb0ES3_mN6thrust23THRUST_200600_302600_NS6detail15normal_iteratorINSA_10device_ptrIjEEEEPS6_SG_NS0_5tupleIJSF_S6_EEENSH_IJSG_SG_EEES6_PlJNSB_9not_fun_tI7is_trueIjEEEEEE10hipError_tPvRmT3_T4_T5_T6_T7_T9_mT8_P12ihipStream_tbDpT10_ENKUlT_T0_E_clISt17integral_constantIbLb1EES18_EEDaS13_S14_EUlS13_E_NS1_11comp_targetILNS1_3genE4ELNS1_11target_archE910ELNS1_3gpuE8ELNS1_3repE0EEENS1_30default_config_static_selectorELNS0_4arch9wavefront6targetE0EEEvT1_.has_indirect_call, 0
	.section	.AMDGPU.csdata,"",@progbits
; Kernel info:
; codeLenInByte = 0
; TotalNumSgprs: 0
; NumVgprs: 0
; ScratchSize: 0
; MemoryBound: 0
; FloatMode: 240
; IeeeMode: 1
; LDSByteSize: 0 bytes/workgroup (compile time only)
; SGPRBlocks: 0
; VGPRBlocks: 0
; NumSGPRsForWavesPerEU: 1
; NumVGPRsForWavesPerEU: 1
; Occupancy: 16
; WaveLimiterHint : 0
; COMPUTE_PGM_RSRC2:SCRATCH_EN: 0
; COMPUTE_PGM_RSRC2:USER_SGPR: 2
; COMPUTE_PGM_RSRC2:TRAP_HANDLER: 0
; COMPUTE_PGM_RSRC2:TGID_X_EN: 1
; COMPUTE_PGM_RSRC2:TGID_Y_EN: 0
; COMPUTE_PGM_RSRC2:TGID_Z_EN: 0
; COMPUTE_PGM_RSRC2:TIDIG_COMP_CNT: 0
	.section	.text._ZN7rocprim17ROCPRIM_400000_NS6detail17trampoline_kernelINS0_14default_configENS1_25partition_config_selectorILNS1_17partition_subalgoE6EjNS0_10empty_typeEbEEZZNS1_14partition_implILS5_6ELb0ES3_mN6thrust23THRUST_200600_302600_NS6detail15normal_iteratorINSA_10device_ptrIjEEEEPS6_SG_NS0_5tupleIJSF_S6_EEENSH_IJSG_SG_EEES6_PlJNSB_9not_fun_tI7is_trueIjEEEEEE10hipError_tPvRmT3_T4_T5_T6_T7_T9_mT8_P12ihipStream_tbDpT10_ENKUlT_T0_E_clISt17integral_constantIbLb1EES18_EEDaS13_S14_EUlS13_E_NS1_11comp_targetILNS1_3genE3ELNS1_11target_archE908ELNS1_3gpuE7ELNS1_3repE0EEENS1_30default_config_static_selectorELNS0_4arch9wavefront6targetE0EEEvT1_,"axG",@progbits,_ZN7rocprim17ROCPRIM_400000_NS6detail17trampoline_kernelINS0_14default_configENS1_25partition_config_selectorILNS1_17partition_subalgoE6EjNS0_10empty_typeEbEEZZNS1_14partition_implILS5_6ELb0ES3_mN6thrust23THRUST_200600_302600_NS6detail15normal_iteratorINSA_10device_ptrIjEEEEPS6_SG_NS0_5tupleIJSF_S6_EEENSH_IJSG_SG_EEES6_PlJNSB_9not_fun_tI7is_trueIjEEEEEE10hipError_tPvRmT3_T4_T5_T6_T7_T9_mT8_P12ihipStream_tbDpT10_ENKUlT_T0_E_clISt17integral_constantIbLb1EES18_EEDaS13_S14_EUlS13_E_NS1_11comp_targetILNS1_3genE3ELNS1_11target_archE908ELNS1_3gpuE7ELNS1_3repE0EEENS1_30default_config_static_selectorELNS0_4arch9wavefront6targetE0EEEvT1_,comdat
	.protected	_ZN7rocprim17ROCPRIM_400000_NS6detail17trampoline_kernelINS0_14default_configENS1_25partition_config_selectorILNS1_17partition_subalgoE6EjNS0_10empty_typeEbEEZZNS1_14partition_implILS5_6ELb0ES3_mN6thrust23THRUST_200600_302600_NS6detail15normal_iteratorINSA_10device_ptrIjEEEEPS6_SG_NS0_5tupleIJSF_S6_EEENSH_IJSG_SG_EEES6_PlJNSB_9not_fun_tI7is_trueIjEEEEEE10hipError_tPvRmT3_T4_T5_T6_T7_T9_mT8_P12ihipStream_tbDpT10_ENKUlT_T0_E_clISt17integral_constantIbLb1EES18_EEDaS13_S14_EUlS13_E_NS1_11comp_targetILNS1_3genE3ELNS1_11target_archE908ELNS1_3gpuE7ELNS1_3repE0EEENS1_30default_config_static_selectorELNS0_4arch9wavefront6targetE0EEEvT1_ ; -- Begin function _ZN7rocprim17ROCPRIM_400000_NS6detail17trampoline_kernelINS0_14default_configENS1_25partition_config_selectorILNS1_17partition_subalgoE6EjNS0_10empty_typeEbEEZZNS1_14partition_implILS5_6ELb0ES3_mN6thrust23THRUST_200600_302600_NS6detail15normal_iteratorINSA_10device_ptrIjEEEEPS6_SG_NS0_5tupleIJSF_S6_EEENSH_IJSG_SG_EEES6_PlJNSB_9not_fun_tI7is_trueIjEEEEEE10hipError_tPvRmT3_T4_T5_T6_T7_T9_mT8_P12ihipStream_tbDpT10_ENKUlT_T0_E_clISt17integral_constantIbLb1EES18_EEDaS13_S14_EUlS13_E_NS1_11comp_targetILNS1_3genE3ELNS1_11target_archE908ELNS1_3gpuE7ELNS1_3repE0EEENS1_30default_config_static_selectorELNS0_4arch9wavefront6targetE0EEEvT1_
	.globl	_ZN7rocprim17ROCPRIM_400000_NS6detail17trampoline_kernelINS0_14default_configENS1_25partition_config_selectorILNS1_17partition_subalgoE6EjNS0_10empty_typeEbEEZZNS1_14partition_implILS5_6ELb0ES3_mN6thrust23THRUST_200600_302600_NS6detail15normal_iteratorINSA_10device_ptrIjEEEEPS6_SG_NS0_5tupleIJSF_S6_EEENSH_IJSG_SG_EEES6_PlJNSB_9not_fun_tI7is_trueIjEEEEEE10hipError_tPvRmT3_T4_T5_T6_T7_T9_mT8_P12ihipStream_tbDpT10_ENKUlT_T0_E_clISt17integral_constantIbLb1EES18_EEDaS13_S14_EUlS13_E_NS1_11comp_targetILNS1_3genE3ELNS1_11target_archE908ELNS1_3gpuE7ELNS1_3repE0EEENS1_30default_config_static_selectorELNS0_4arch9wavefront6targetE0EEEvT1_
	.p2align	8
	.type	_ZN7rocprim17ROCPRIM_400000_NS6detail17trampoline_kernelINS0_14default_configENS1_25partition_config_selectorILNS1_17partition_subalgoE6EjNS0_10empty_typeEbEEZZNS1_14partition_implILS5_6ELb0ES3_mN6thrust23THRUST_200600_302600_NS6detail15normal_iteratorINSA_10device_ptrIjEEEEPS6_SG_NS0_5tupleIJSF_S6_EEENSH_IJSG_SG_EEES6_PlJNSB_9not_fun_tI7is_trueIjEEEEEE10hipError_tPvRmT3_T4_T5_T6_T7_T9_mT8_P12ihipStream_tbDpT10_ENKUlT_T0_E_clISt17integral_constantIbLb1EES18_EEDaS13_S14_EUlS13_E_NS1_11comp_targetILNS1_3genE3ELNS1_11target_archE908ELNS1_3gpuE7ELNS1_3repE0EEENS1_30default_config_static_selectorELNS0_4arch9wavefront6targetE0EEEvT1_,@function
_ZN7rocprim17ROCPRIM_400000_NS6detail17trampoline_kernelINS0_14default_configENS1_25partition_config_selectorILNS1_17partition_subalgoE6EjNS0_10empty_typeEbEEZZNS1_14partition_implILS5_6ELb0ES3_mN6thrust23THRUST_200600_302600_NS6detail15normal_iteratorINSA_10device_ptrIjEEEEPS6_SG_NS0_5tupleIJSF_S6_EEENSH_IJSG_SG_EEES6_PlJNSB_9not_fun_tI7is_trueIjEEEEEE10hipError_tPvRmT3_T4_T5_T6_T7_T9_mT8_P12ihipStream_tbDpT10_ENKUlT_T0_E_clISt17integral_constantIbLb1EES18_EEDaS13_S14_EUlS13_E_NS1_11comp_targetILNS1_3genE3ELNS1_11target_archE908ELNS1_3gpuE7ELNS1_3repE0EEENS1_30default_config_static_selectorELNS0_4arch9wavefront6targetE0EEEvT1_: ; @_ZN7rocprim17ROCPRIM_400000_NS6detail17trampoline_kernelINS0_14default_configENS1_25partition_config_selectorILNS1_17partition_subalgoE6EjNS0_10empty_typeEbEEZZNS1_14partition_implILS5_6ELb0ES3_mN6thrust23THRUST_200600_302600_NS6detail15normal_iteratorINSA_10device_ptrIjEEEEPS6_SG_NS0_5tupleIJSF_S6_EEENSH_IJSG_SG_EEES6_PlJNSB_9not_fun_tI7is_trueIjEEEEEE10hipError_tPvRmT3_T4_T5_T6_T7_T9_mT8_P12ihipStream_tbDpT10_ENKUlT_T0_E_clISt17integral_constantIbLb1EES18_EEDaS13_S14_EUlS13_E_NS1_11comp_targetILNS1_3genE3ELNS1_11target_archE908ELNS1_3gpuE7ELNS1_3repE0EEENS1_30default_config_static_selectorELNS0_4arch9wavefront6targetE0EEEvT1_
; %bb.0:
	.section	.rodata,"a",@progbits
	.p2align	6, 0x0
	.amdhsa_kernel _ZN7rocprim17ROCPRIM_400000_NS6detail17trampoline_kernelINS0_14default_configENS1_25partition_config_selectorILNS1_17partition_subalgoE6EjNS0_10empty_typeEbEEZZNS1_14partition_implILS5_6ELb0ES3_mN6thrust23THRUST_200600_302600_NS6detail15normal_iteratorINSA_10device_ptrIjEEEEPS6_SG_NS0_5tupleIJSF_S6_EEENSH_IJSG_SG_EEES6_PlJNSB_9not_fun_tI7is_trueIjEEEEEE10hipError_tPvRmT3_T4_T5_T6_T7_T9_mT8_P12ihipStream_tbDpT10_ENKUlT_T0_E_clISt17integral_constantIbLb1EES18_EEDaS13_S14_EUlS13_E_NS1_11comp_targetILNS1_3genE3ELNS1_11target_archE908ELNS1_3gpuE7ELNS1_3repE0EEENS1_30default_config_static_selectorELNS0_4arch9wavefront6targetE0EEEvT1_
		.amdhsa_group_segment_fixed_size 0
		.amdhsa_private_segment_fixed_size 0
		.amdhsa_kernarg_size 128
		.amdhsa_user_sgpr_count 2
		.amdhsa_user_sgpr_dispatch_ptr 0
		.amdhsa_user_sgpr_queue_ptr 0
		.amdhsa_user_sgpr_kernarg_segment_ptr 1
		.amdhsa_user_sgpr_dispatch_id 0
		.amdhsa_user_sgpr_private_segment_size 0
		.amdhsa_wavefront_size32 1
		.amdhsa_uses_dynamic_stack 0
		.amdhsa_enable_private_segment 0
		.amdhsa_system_sgpr_workgroup_id_x 1
		.amdhsa_system_sgpr_workgroup_id_y 0
		.amdhsa_system_sgpr_workgroup_id_z 0
		.amdhsa_system_sgpr_workgroup_info 0
		.amdhsa_system_vgpr_workitem_id 0
		.amdhsa_next_free_vgpr 1
		.amdhsa_next_free_sgpr 1
		.amdhsa_reserve_vcc 0
		.amdhsa_float_round_mode_32 0
		.amdhsa_float_round_mode_16_64 0
		.amdhsa_float_denorm_mode_32 3
		.amdhsa_float_denorm_mode_16_64 3
		.amdhsa_fp16_overflow 0
		.amdhsa_workgroup_processor_mode 1
		.amdhsa_memory_ordered 1
		.amdhsa_forward_progress 1
		.amdhsa_inst_pref_size 0
		.amdhsa_round_robin_scheduling 0
		.amdhsa_exception_fp_ieee_invalid_op 0
		.amdhsa_exception_fp_denorm_src 0
		.amdhsa_exception_fp_ieee_div_zero 0
		.amdhsa_exception_fp_ieee_overflow 0
		.amdhsa_exception_fp_ieee_underflow 0
		.amdhsa_exception_fp_ieee_inexact 0
		.amdhsa_exception_int_div_zero 0
	.end_amdhsa_kernel
	.section	.text._ZN7rocprim17ROCPRIM_400000_NS6detail17trampoline_kernelINS0_14default_configENS1_25partition_config_selectorILNS1_17partition_subalgoE6EjNS0_10empty_typeEbEEZZNS1_14partition_implILS5_6ELb0ES3_mN6thrust23THRUST_200600_302600_NS6detail15normal_iteratorINSA_10device_ptrIjEEEEPS6_SG_NS0_5tupleIJSF_S6_EEENSH_IJSG_SG_EEES6_PlJNSB_9not_fun_tI7is_trueIjEEEEEE10hipError_tPvRmT3_T4_T5_T6_T7_T9_mT8_P12ihipStream_tbDpT10_ENKUlT_T0_E_clISt17integral_constantIbLb1EES18_EEDaS13_S14_EUlS13_E_NS1_11comp_targetILNS1_3genE3ELNS1_11target_archE908ELNS1_3gpuE7ELNS1_3repE0EEENS1_30default_config_static_selectorELNS0_4arch9wavefront6targetE0EEEvT1_,"axG",@progbits,_ZN7rocprim17ROCPRIM_400000_NS6detail17trampoline_kernelINS0_14default_configENS1_25partition_config_selectorILNS1_17partition_subalgoE6EjNS0_10empty_typeEbEEZZNS1_14partition_implILS5_6ELb0ES3_mN6thrust23THRUST_200600_302600_NS6detail15normal_iteratorINSA_10device_ptrIjEEEEPS6_SG_NS0_5tupleIJSF_S6_EEENSH_IJSG_SG_EEES6_PlJNSB_9not_fun_tI7is_trueIjEEEEEE10hipError_tPvRmT3_T4_T5_T6_T7_T9_mT8_P12ihipStream_tbDpT10_ENKUlT_T0_E_clISt17integral_constantIbLb1EES18_EEDaS13_S14_EUlS13_E_NS1_11comp_targetILNS1_3genE3ELNS1_11target_archE908ELNS1_3gpuE7ELNS1_3repE0EEENS1_30default_config_static_selectorELNS0_4arch9wavefront6targetE0EEEvT1_,comdat
.Lfunc_end1152:
	.size	_ZN7rocprim17ROCPRIM_400000_NS6detail17trampoline_kernelINS0_14default_configENS1_25partition_config_selectorILNS1_17partition_subalgoE6EjNS0_10empty_typeEbEEZZNS1_14partition_implILS5_6ELb0ES3_mN6thrust23THRUST_200600_302600_NS6detail15normal_iteratorINSA_10device_ptrIjEEEEPS6_SG_NS0_5tupleIJSF_S6_EEENSH_IJSG_SG_EEES6_PlJNSB_9not_fun_tI7is_trueIjEEEEEE10hipError_tPvRmT3_T4_T5_T6_T7_T9_mT8_P12ihipStream_tbDpT10_ENKUlT_T0_E_clISt17integral_constantIbLb1EES18_EEDaS13_S14_EUlS13_E_NS1_11comp_targetILNS1_3genE3ELNS1_11target_archE908ELNS1_3gpuE7ELNS1_3repE0EEENS1_30default_config_static_selectorELNS0_4arch9wavefront6targetE0EEEvT1_, .Lfunc_end1152-_ZN7rocprim17ROCPRIM_400000_NS6detail17trampoline_kernelINS0_14default_configENS1_25partition_config_selectorILNS1_17partition_subalgoE6EjNS0_10empty_typeEbEEZZNS1_14partition_implILS5_6ELb0ES3_mN6thrust23THRUST_200600_302600_NS6detail15normal_iteratorINSA_10device_ptrIjEEEEPS6_SG_NS0_5tupleIJSF_S6_EEENSH_IJSG_SG_EEES6_PlJNSB_9not_fun_tI7is_trueIjEEEEEE10hipError_tPvRmT3_T4_T5_T6_T7_T9_mT8_P12ihipStream_tbDpT10_ENKUlT_T0_E_clISt17integral_constantIbLb1EES18_EEDaS13_S14_EUlS13_E_NS1_11comp_targetILNS1_3genE3ELNS1_11target_archE908ELNS1_3gpuE7ELNS1_3repE0EEENS1_30default_config_static_selectorELNS0_4arch9wavefront6targetE0EEEvT1_
                                        ; -- End function
	.set _ZN7rocprim17ROCPRIM_400000_NS6detail17trampoline_kernelINS0_14default_configENS1_25partition_config_selectorILNS1_17partition_subalgoE6EjNS0_10empty_typeEbEEZZNS1_14partition_implILS5_6ELb0ES3_mN6thrust23THRUST_200600_302600_NS6detail15normal_iteratorINSA_10device_ptrIjEEEEPS6_SG_NS0_5tupleIJSF_S6_EEENSH_IJSG_SG_EEES6_PlJNSB_9not_fun_tI7is_trueIjEEEEEE10hipError_tPvRmT3_T4_T5_T6_T7_T9_mT8_P12ihipStream_tbDpT10_ENKUlT_T0_E_clISt17integral_constantIbLb1EES18_EEDaS13_S14_EUlS13_E_NS1_11comp_targetILNS1_3genE3ELNS1_11target_archE908ELNS1_3gpuE7ELNS1_3repE0EEENS1_30default_config_static_selectorELNS0_4arch9wavefront6targetE0EEEvT1_.num_vgpr, 0
	.set _ZN7rocprim17ROCPRIM_400000_NS6detail17trampoline_kernelINS0_14default_configENS1_25partition_config_selectorILNS1_17partition_subalgoE6EjNS0_10empty_typeEbEEZZNS1_14partition_implILS5_6ELb0ES3_mN6thrust23THRUST_200600_302600_NS6detail15normal_iteratorINSA_10device_ptrIjEEEEPS6_SG_NS0_5tupleIJSF_S6_EEENSH_IJSG_SG_EEES6_PlJNSB_9not_fun_tI7is_trueIjEEEEEE10hipError_tPvRmT3_T4_T5_T6_T7_T9_mT8_P12ihipStream_tbDpT10_ENKUlT_T0_E_clISt17integral_constantIbLb1EES18_EEDaS13_S14_EUlS13_E_NS1_11comp_targetILNS1_3genE3ELNS1_11target_archE908ELNS1_3gpuE7ELNS1_3repE0EEENS1_30default_config_static_selectorELNS0_4arch9wavefront6targetE0EEEvT1_.num_agpr, 0
	.set _ZN7rocprim17ROCPRIM_400000_NS6detail17trampoline_kernelINS0_14default_configENS1_25partition_config_selectorILNS1_17partition_subalgoE6EjNS0_10empty_typeEbEEZZNS1_14partition_implILS5_6ELb0ES3_mN6thrust23THRUST_200600_302600_NS6detail15normal_iteratorINSA_10device_ptrIjEEEEPS6_SG_NS0_5tupleIJSF_S6_EEENSH_IJSG_SG_EEES6_PlJNSB_9not_fun_tI7is_trueIjEEEEEE10hipError_tPvRmT3_T4_T5_T6_T7_T9_mT8_P12ihipStream_tbDpT10_ENKUlT_T0_E_clISt17integral_constantIbLb1EES18_EEDaS13_S14_EUlS13_E_NS1_11comp_targetILNS1_3genE3ELNS1_11target_archE908ELNS1_3gpuE7ELNS1_3repE0EEENS1_30default_config_static_selectorELNS0_4arch9wavefront6targetE0EEEvT1_.numbered_sgpr, 0
	.set _ZN7rocprim17ROCPRIM_400000_NS6detail17trampoline_kernelINS0_14default_configENS1_25partition_config_selectorILNS1_17partition_subalgoE6EjNS0_10empty_typeEbEEZZNS1_14partition_implILS5_6ELb0ES3_mN6thrust23THRUST_200600_302600_NS6detail15normal_iteratorINSA_10device_ptrIjEEEEPS6_SG_NS0_5tupleIJSF_S6_EEENSH_IJSG_SG_EEES6_PlJNSB_9not_fun_tI7is_trueIjEEEEEE10hipError_tPvRmT3_T4_T5_T6_T7_T9_mT8_P12ihipStream_tbDpT10_ENKUlT_T0_E_clISt17integral_constantIbLb1EES18_EEDaS13_S14_EUlS13_E_NS1_11comp_targetILNS1_3genE3ELNS1_11target_archE908ELNS1_3gpuE7ELNS1_3repE0EEENS1_30default_config_static_selectorELNS0_4arch9wavefront6targetE0EEEvT1_.num_named_barrier, 0
	.set _ZN7rocprim17ROCPRIM_400000_NS6detail17trampoline_kernelINS0_14default_configENS1_25partition_config_selectorILNS1_17partition_subalgoE6EjNS0_10empty_typeEbEEZZNS1_14partition_implILS5_6ELb0ES3_mN6thrust23THRUST_200600_302600_NS6detail15normal_iteratorINSA_10device_ptrIjEEEEPS6_SG_NS0_5tupleIJSF_S6_EEENSH_IJSG_SG_EEES6_PlJNSB_9not_fun_tI7is_trueIjEEEEEE10hipError_tPvRmT3_T4_T5_T6_T7_T9_mT8_P12ihipStream_tbDpT10_ENKUlT_T0_E_clISt17integral_constantIbLb1EES18_EEDaS13_S14_EUlS13_E_NS1_11comp_targetILNS1_3genE3ELNS1_11target_archE908ELNS1_3gpuE7ELNS1_3repE0EEENS1_30default_config_static_selectorELNS0_4arch9wavefront6targetE0EEEvT1_.private_seg_size, 0
	.set _ZN7rocprim17ROCPRIM_400000_NS6detail17trampoline_kernelINS0_14default_configENS1_25partition_config_selectorILNS1_17partition_subalgoE6EjNS0_10empty_typeEbEEZZNS1_14partition_implILS5_6ELb0ES3_mN6thrust23THRUST_200600_302600_NS6detail15normal_iteratorINSA_10device_ptrIjEEEEPS6_SG_NS0_5tupleIJSF_S6_EEENSH_IJSG_SG_EEES6_PlJNSB_9not_fun_tI7is_trueIjEEEEEE10hipError_tPvRmT3_T4_T5_T6_T7_T9_mT8_P12ihipStream_tbDpT10_ENKUlT_T0_E_clISt17integral_constantIbLb1EES18_EEDaS13_S14_EUlS13_E_NS1_11comp_targetILNS1_3genE3ELNS1_11target_archE908ELNS1_3gpuE7ELNS1_3repE0EEENS1_30default_config_static_selectorELNS0_4arch9wavefront6targetE0EEEvT1_.uses_vcc, 0
	.set _ZN7rocprim17ROCPRIM_400000_NS6detail17trampoline_kernelINS0_14default_configENS1_25partition_config_selectorILNS1_17partition_subalgoE6EjNS0_10empty_typeEbEEZZNS1_14partition_implILS5_6ELb0ES3_mN6thrust23THRUST_200600_302600_NS6detail15normal_iteratorINSA_10device_ptrIjEEEEPS6_SG_NS0_5tupleIJSF_S6_EEENSH_IJSG_SG_EEES6_PlJNSB_9not_fun_tI7is_trueIjEEEEEE10hipError_tPvRmT3_T4_T5_T6_T7_T9_mT8_P12ihipStream_tbDpT10_ENKUlT_T0_E_clISt17integral_constantIbLb1EES18_EEDaS13_S14_EUlS13_E_NS1_11comp_targetILNS1_3genE3ELNS1_11target_archE908ELNS1_3gpuE7ELNS1_3repE0EEENS1_30default_config_static_selectorELNS0_4arch9wavefront6targetE0EEEvT1_.uses_flat_scratch, 0
	.set _ZN7rocprim17ROCPRIM_400000_NS6detail17trampoline_kernelINS0_14default_configENS1_25partition_config_selectorILNS1_17partition_subalgoE6EjNS0_10empty_typeEbEEZZNS1_14partition_implILS5_6ELb0ES3_mN6thrust23THRUST_200600_302600_NS6detail15normal_iteratorINSA_10device_ptrIjEEEEPS6_SG_NS0_5tupleIJSF_S6_EEENSH_IJSG_SG_EEES6_PlJNSB_9not_fun_tI7is_trueIjEEEEEE10hipError_tPvRmT3_T4_T5_T6_T7_T9_mT8_P12ihipStream_tbDpT10_ENKUlT_T0_E_clISt17integral_constantIbLb1EES18_EEDaS13_S14_EUlS13_E_NS1_11comp_targetILNS1_3genE3ELNS1_11target_archE908ELNS1_3gpuE7ELNS1_3repE0EEENS1_30default_config_static_selectorELNS0_4arch9wavefront6targetE0EEEvT1_.has_dyn_sized_stack, 0
	.set _ZN7rocprim17ROCPRIM_400000_NS6detail17trampoline_kernelINS0_14default_configENS1_25partition_config_selectorILNS1_17partition_subalgoE6EjNS0_10empty_typeEbEEZZNS1_14partition_implILS5_6ELb0ES3_mN6thrust23THRUST_200600_302600_NS6detail15normal_iteratorINSA_10device_ptrIjEEEEPS6_SG_NS0_5tupleIJSF_S6_EEENSH_IJSG_SG_EEES6_PlJNSB_9not_fun_tI7is_trueIjEEEEEE10hipError_tPvRmT3_T4_T5_T6_T7_T9_mT8_P12ihipStream_tbDpT10_ENKUlT_T0_E_clISt17integral_constantIbLb1EES18_EEDaS13_S14_EUlS13_E_NS1_11comp_targetILNS1_3genE3ELNS1_11target_archE908ELNS1_3gpuE7ELNS1_3repE0EEENS1_30default_config_static_selectorELNS0_4arch9wavefront6targetE0EEEvT1_.has_recursion, 0
	.set _ZN7rocprim17ROCPRIM_400000_NS6detail17trampoline_kernelINS0_14default_configENS1_25partition_config_selectorILNS1_17partition_subalgoE6EjNS0_10empty_typeEbEEZZNS1_14partition_implILS5_6ELb0ES3_mN6thrust23THRUST_200600_302600_NS6detail15normal_iteratorINSA_10device_ptrIjEEEEPS6_SG_NS0_5tupleIJSF_S6_EEENSH_IJSG_SG_EEES6_PlJNSB_9not_fun_tI7is_trueIjEEEEEE10hipError_tPvRmT3_T4_T5_T6_T7_T9_mT8_P12ihipStream_tbDpT10_ENKUlT_T0_E_clISt17integral_constantIbLb1EES18_EEDaS13_S14_EUlS13_E_NS1_11comp_targetILNS1_3genE3ELNS1_11target_archE908ELNS1_3gpuE7ELNS1_3repE0EEENS1_30default_config_static_selectorELNS0_4arch9wavefront6targetE0EEEvT1_.has_indirect_call, 0
	.section	.AMDGPU.csdata,"",@progbits
; Kernel info:
; codeLenInByte = 0
; TotalNumSgprs: 0
; NumVgprs: 0
; ScratchSize: 0
; MemoryBound: 0
; FloatMode: 240
; IeeeMode: 1
; LDSByteSize: 0 bytes/workgroup (compile time only)
; SGPRBlocks: 0
; VGPRBlocks: 0
; NumSGPRsForWavesPerEU: 1
; NumVGPRsForWavesPerEU: 1
; Occupancy: 16
; WaveLimiterHint : 0
; COMPUTE_PGM_RSRC2:SCRATCH_EN: 0
; COMPUTE_PGM_RSRC2:USER_SGPR: 2
; COMPUTE_PGM_RSRC2:TRAP_HANDLER: 0
; COMPUTE_PGM_RSRC2:TGID_X_EN: 1
; COMPUTE_PGM_RSRC2:TGID_Y_EN: 0
; COMPUTE_PGM_RSRC2:TGID_Z_EN: 0
; COMPUTE_PGM_RSRC2:TIDIG_COMP_CNT: 0
	.section	.text._ZN7rocprim17ROCPRIM_400000_NS6detail17trampoline_kernelINS0_14default_configENS1_25partition_config_selectorILNS1_17partition_subalgoE6EjNS0_10empty_typeEbEEZZNS1_14partition_implILS5_6ELb0ES3_mN6thrust23THRUST_200600_302600_NS6detail15normal_iteratorINSA_10device_ptrIjEEEEPS6_SG_NS0_5tupleIJSF_S6_EEENSH_IJSG_SG_EEES6_PlJNSB_9not_fun_tI7is_trueIjEEEEEE10hipError_tPvRmT3_T4_T5_T6_T7_T9_mT8_P12ihipStream_tbDpT10_ENKUlT_T0_E_clISt17integral_constantIbLb1EES18_EEDaS13_S14_EUlS13_E_NS1_11comp_targetILNS1_3genE2ELNS1_11target_archE906ELNS1_3gpuE6ELNS1_3repE0EEENS1_30default_config_static_selectorELNS0_4arch9wavefront6targetE0EEEvT1_,"axG",@progbits,_ZN7rocprim17ROCPRIM_400000_NS6detail17trampoline_kernelINS0_14default_configENS1_25partition_config_selectorILNS1_17partition_subalgoE6EjNS0_10empty_typeEbEEZZNS1_14partition_implILS5_6ELb0ES3_mN6thrust23THRUST_200600_302600_NS6detail15normal_iteratorINSA_10device_ptrIjEEEEPS6_SG_NS0_5tupleIJSF_S6_EEENSH_IJSG_SG_EEES6_PlJNSB_9not_fun_tI7is_trueIjEEEEEE10hipError_tPvRmT3_T4_T5_T6_T7_T9_mT8_P12ihipStream_tbDpT10_ENKUlT_T0_E_clISt17integral_constantIbLb1EES18_EEDaS13_S14_EUlS13_E_NS1_11comp_targetILNS1_3genE2ELNS1_11target_archE906ELNS1_3gpuE6ELNS1_3repE0EEENS1_30default_config_static_selectorELNS0_4arch9wavefront6targetE0EEEvT1_,comdat
	.protected	_ZN7rocprim17ROCPRIM_400000_NS6detail17trampoline_kernelINS0_14default_configENS1_25partition_config_selectorILNS1_17partition_subalgoE6EjNS0_10empty_typeEbEEZZNS1_14partition_implILS5_6ELb0ES3_mN6thrust23THRUST_200600_302600_NS6detail15normal_iteratorINSA_10device_ptrIjEEEEPS6_SG_NS0_5tupleIJSF_S6_EEENSH_IJSG_SG_EEES6_PlJNSB_9not_fun_tI7is_trueIjEEEEEE10hipError_tPvRmT3_T4_T5_T6_T7_T9_mT8_P12ihipStream_tbDpT10_ENKUlT_T0_E_clISt17integral_constantIbLb1EES18_EEDaS13_S14_EUlS13_E_NS1_11comp_targetILNS1_3genE2ELNS1_11target_archE906ELNS1_3gpuE6ELNS1_3repE0EEENS1_30default_config_static_selectorELNS0_4arch9wavefront6targetE0EEEvT1_ ; -- Begin function _ZN7rocprim17ROCPRIM_400000_NS6detail17trampoline_kernelINS0_14default_configENS1_25partition_config_selectorILNS1_17partition_subalgoE6EjNS0_10empty_typeEbEEZZNS1_14partition_implILS5_6ELb0ES3_mN6thrust23THRUST_200600_302600_NS6detail15normal_iteratorINSA_10device_ptrIjEEEEPS6_SG_NS0_5tupleIJSF_S6_EEENSH_IJSG_SG_EEES6_PlJNSB_9not_fun_tI7is_trueIjEEEEEE10hipError_tPvRmT3_T4_T5_T6_T7_T9_mT8_P12ihipStream_tbDpT10_ENKUlT_T0_E_clISt17integral_constantIbLb1EES18_EEDaS13_S14_EUlS13_E_NS1_11comp_targetILNS1_3genE2ELNS1_11target_archE906ELNS1_3gpuE6ELNS1_3repE0EEENS1_30default_config_static_selectorELNS0_4arch9wavefront6targetE0EEEvT1_
	.globl	_ZN7rocprim17ROCPRIM_400000_NS6detail17trampoline_kernelINS0_14default_configENS1_25partition_config_selectorILNS1_17partition_subalgoE6EjNS0_10empty_typeEbEEZZNS1_14partition_implILS5_6ELb0ES3_mN6thrust23THRUST_200600_302600_NS6detail15normal_iteratorINSA_10device_ptrIjEEEEPS6_SG_NS0_5tupleIJSF_S6_EEENSH_IJSG_SG_EEES6_PlJNSB_9not_fun_tI7is_trueIjEEEEEE10hipError_tPvRmT3_T4_T5_T6_T7_T9_mT8_P12ihipStream_tbDpT10_ENKUlT_T0_E_clISt17integral_constantIbLb1EES18_EEDaS13_S14_EUlS13_E_NS1_11comp_targetILNS1_3genE2ELNS1_11target_archE906ELNS1_3gpuE6ELNS1_3repE0EEENS1_30default_config_static_selectorELNS0_4arch9wavefront6targetE0EEEvT1_
	.p2align	8
	.type	_ZN7rocprim17ROCPRIM_400000_NS6detail17trampoline_kernelINS0_14default_configENS1_25partition_config_selectorILNS1_17partition_subalgoE6EjNS0_10empty_typeEbEEZZNS1_14partition_implILS5_6ELb0ES3_mN6thrust23THRUST_200600_302600_NS6detail15normal_iteratorINSA_10device_ptrIjEEEEPS6_SG_NS0_5tupleIJSF_S6_EEENSH_IJSG_SG_EEES6_PlJNSB_9not_fun_tI7is_trueIjEEEEEE10hipError_tPvRmT3_T4_T5_T6_T7_T9_mT8_P12ihipStream_tbDpT10_ENKUlT_T0_E_clISt17integral_constantIbLb1EES18_EEDaS13_S14_EUlS13_E_NS1_11comp_targetILNS1_3genE2ELNS1_11target_archE906ELNS1_3gpuE6ELNS1_3repE0EEENS1_30default_config_static_selectorELNS0_4arch9wavefront6targetE0EEEvT1_,@function
_ZN7rocprim17ROCPRIM_400000_NS6detail17trampoline_kernelINS0_14default_configENS1_25partition_config_selectorILNS1_17partition_subalgoE6EjNS0_10empty_typeEbEEZZNS1_14partition_implILS5_6ELb0ES3_mN6thrust23THRUST_200600_302600_NS6detail15normal_iteratorINSA_10device_ptrIjEEEEPS6_SG_NS0_5tupleIJSF_S6_EEENSH_IJSG_SG_EEES6_PlJNSB_9not_fun_tI7is_trueIjEEEEEE10hipError_tPvRmT3_T4_T5_T6_T7_T9_mT8_P12ihipStream_tbDpT10_ENKUlT_T0_E_clISt17integral_constantIbLb1EES18_EEDaS13_S14_EUlS13_E_NS1_11comp_targetILNS1_3genE2ELNS1_11target_archE906ELNS1_3gpuE6ELNS1_3repE0EEENS1_30default_config_static_selectorELNS0_4arch9wavefront6targetE0EEEvT1_: ; @_ZN7rocprim17ROCPRIM_400000_NS6detail17trampoline_kernelINS0_14default_configENS1_25partition_config_selectorILNS1_17partition_subalgoE6EjNS0_10empty_typeEbEEZZNS1_14partition_implILS5_6ELb0ES3_mN6thrust23THRUST_200600_302600_NS6detail15normal_iteratorINSA_10device_ptrIjEEEEPS6_SG_NS0_5tupleIJSF_S6_EEENSH_IJSG_SG_EEES6_PlJNSB_9not_fun_tI7is_trueIjEEEEEE10hipError_tPvRmT3_T4_T5_T6_T7_T9_mT8_P12ihipStream_tbDpT10_ENKUlT_T0_E_clISt17integral_constantIbLb1EES18_EEDaS13_S14_EUlS13_E_NS1_11comp_targetILNS1_3genE2ELNS1_11target_archE906ELNS1_3gpuE6ELNS1_3repE0EEENS1_30default_config_static_selectorELNS0_4arch9wavefront6targetE0EEEvT1_
; %bb.0:
	.section	.rodata,"a",@progbits
	.p2align	6, 0x0
	.amdhsa_kernel _ZN7rocprim17ROCPRIM_400000_NS6detail17trampoline_kernelINS0_14default_configENS1_25partition_config_selectorILNS1_17partition_subalgoE6EjNS0_10empty_typeEbEEZZNS1_14partition_implILS5_6ELb0ES3_mN6thrust23THRUST_200600_302600_NS6detail15normal_iteratorINSA_10device_ptrIjEEEEPS6_SG_NS0_5tupleIJSF_S6_EEENSH_IJSG_SG_EEES6_PlJNSB_9not_fun_tI7is_trueIjEEEEEE10hipError_tPvRmT3_T4_T5_T6_T7_T9_mT8_P12ihipStream_tbDpT10_ENKUlT_T0_E_clISt17integral_constantIbLb1EES18_EEDaS13_S14_EUlS13_E_NS1_11comp_targetILNS1_3genE2ELNS1_11target_archE906ELNS1_3gpuE6ELNS1_3repE0EEENS1_30default_config_static_selectorELNS0_4arch9wavefront6targetE0EEEvT1_
		.amdhsa_group_segment_fixed_size 0
		.amdhsa_private_segment_fixed_size 0
		.amdhsa_kernarg_size 128
		.amdhsa_user_sgpr_count 2
		.amdhsa_user_sgpr_dispatch_ptr 0
		.amdhsa_user_sgpr_queue_ptr 0
		.amdhsa_user_sgpr_kernarg_segment_ptr 1
		.amdhsa_user_sgpr_dispatch_id 0
		.amdhsa_user_sgpr_private_segment_size 0
		.amdhsa_wavefront_size32 1
		.amdhsa_uses_dynamic_stack 0
		.amdhsa_enable_private_segment 0
		.amdhsa_system_sgpr_workgroup_id_x 1
		.amdhsa_system_sgpr_workgroup_id_y 0
		.amdhsa_system_sgpr_workgroup_id_z 0
		.amdhsa_system_sgpr_workgroup_info 0
		.amdhsa_system_vgpr_workitem_id 0
		.amdhsa_next_free_vgpr 1
		.amdhsa_next_free_sgpr 1
		.amdhsa_reserve_vcc 0
		.amdhsa_float_round_mode_32 0
		.amdhsa_float_round_mode_16_64 0
		.amdhsa_float_denorm_mode_32 3
		.amdhsa_float_denorm_mode_16_64 3
		.amdhsa_fp16_overflow 0
		.amdhsa_workgroup_processor_mode 1
		.amdhsa_memory_ordered 1
		.amdhsa_forward_progress 1
		.amdhsa_inst_pref_size 0
		.amdhsa_round_robin_scheduling 0
		.amdhsa_exception_fp_ieee_invalid_op 0
		.amdhsa_exception_fp_denorm_src 0
		.amdhsa_exception_fp_ieee_div_zero 0
		.amdhsa_exception_fp_ieee_overflow 0
		.amdhsa_exception_fp_ieee_underflow 0
		.amdhsa_exception_fp_ieee_inexact 0
		.amdhsa_exception_int_div_zero 0
	.end_amdhsa_kernel
	.section	.text._ZN7rocprim17ROCPRIM_400000_NS6detail17trampoline_kernelINS0_14default_configENS1_25partition_config_selectorILNS1_17partition_subalgoE6EjNS0_10empty_typeEbEEZZNS1_14partition_implILS5_6ELb0ES3_mN6thrust23THRUST_200600_302600_NS6detail15normal_iteratorINSA_10device_ptrIjEEEEPS6_SG_NS0_5tupleIJSF_S6_EEENSH_IJSG_SG_EEES6_PlJNSB_9not_fun_tI7is_trueIjEEEEEE10hipError_tPvRmT3_T4_T5_T6_T7_T9_mT8_P12ihipStream_tbDpT10_ENKUlT_T0_E_clISt17integral_constantIbLb1EES18_EEDaS13_S14_EUlS13_E_NS1_11comp_targetILNS1_3genE2ELNS1_11target_archE906ELNS1_3gpuE6ELNS1_3repE0EEENS1_30default_config_static_selectorELNS0_4arch9wavefront6targetE0EEEvT1_,"axG",@progbits,_ZN7rocprim17ROCPRIM_400000_NS6detail17trampoline_kernelINS0_14default_configENS1_25partition_config_selectorILNS1_17partition_subalgoE6EjNS0_10empty_typeEbEEZZNS1_14partition_implILS5_6ELb0ES3_mN6thrust23THRUST_200600_302600_NS6detail15normal_iteratorINSA_10device_ptrIjEEEEPS6_SG_NS0_5tupleIJSF_S6_EEENSH_IJSG_SG_EEES6_PlJNSB_9not_fun_tI7is_trueIjEEEEEE10hipError_tPvRmT3_T4_T5_T6_T7_T9_mT8_P12ihipStream_tbDpT10_ENKUlT_T0_E_clISt17integral_constantIbLb1EES18_EEDaS13_S14_EUlS13_E_NS1_11comp_targetILNS1_3genE2ELNS1_11target_archE906ELNS1_3gpuE6ELNS1_3repE0EEENS1_30default_config_static_selectorELNS0_4arch9wavefront6targetE0EEEvT1_,comdat
.Lfunc_end1153:
	.size	_ZN7rocprim17ROCPRIM_400000_NS6detail17trampoline_kernelINS0_14default_configENS1_25partition_config_selectorILNS1_17partition_subalgoE6EjNS0_10empty_typeEbEEZZNS1_14partition_implILS5_6ELb0ES3_mN6thrust23THRUST_200600_302600_NS6detail15normal_iteratorINSA_10device_ptrIjEEEEPS6_SG_NS0_5tupleIJSF_S6_EEENSH_IJSG_SG_EEES6_PlJNSB_9not_fun_tI7is_trueIjEEEEEE10hipError_tPvRmT3_T4_T5_T6_T7_T9_mT8_P12ihipStream_tbDpT10_ENKUlT_T0_E_clISt17integral_constantIbLb1EES18_EEDaS13_S14_EUlS13_E_NS1_11comp_targetILNS1_3genE2ELNS1_11target_archE906ELNS1_3gpuE6ELNS1_3repE0EEENS1_30default_config_static_selectorELNS0_4arch9wavefront6targetE0EEEvT1_, .Lfunc_end1153-_ZN7rocprim17ROCPRIM_400000_NS6detail17trampoline_kernelINS0_14default_configENS1_25partition_config_selectorILNS1_17partition_subalgoE6EjNS0_10empty_typeEbEEZZNS1_14partition_implILS5_6ELb0ES3_mN6thrust23THRUST_200600_302600_NS6detail15normal_iteratorINSA_10device_ptrIjEEEEPS6_SG_NS0_5tupleIJSF_S6_EEENSH_IJSG_SG_EEES6_PlJNSB_9not_fun_tI7is_trueIjEEEEEE10hipError_tPvRmT3_T4_T5_T6_T7_T9_mT8_P12ihipStream_tbDpT10_ENKUlT_T0_E_clISt17integral_constantIbLb1EES18_EEDaS13_S14_EUlS13_E_NS1_11comp_targetILNS1_3genE2ELNS1_11target_archE906ELNS1_3gpuE6ELNS1_3repE0EEENS1_30default_config_static_selectorELNS0_4arch9wavefront6targetE0EEEvT1_
                                        ; -- End function
	.set _ZN7rocprim17ROCPRIM_400000_NS6detail17trampoline_kernelINS0_14default_configENS1_25partition_config_selectorILNS1_17partition_subalgoE6EjNS0_10empty_typeEbEEZZNS1_14partition_implILS5_6ELb0ES3_mN6thrust23THRUST_200600_302600_NS6detail15normal_iteratorINSA_10device_ptrIjEEEEPS6_SG_NS0_5tupleIJSF_S6_EEENSH_IJSG_SG_EEES6_PlJNSB_9not_fun_tI7is_trueIjEEEEEE10hipError_tPvRmT3_T4_T5_T6_T7_T9_mT8_P12ihipStream_tbDpT10_ENKUlT_T0_E_clISt17integral_constantIbLb1EES18_EEDaS13_S14_EUlS13_E_NS1_11comp_targetILNS1_3genE2ELNS1_11target_archE906ELNS1_3gpuE6ELNS1_3repE0EEENS1_30default_config_static_selectorELNS0_4arch9wavefront6targetE0EEEvT1_.num_vgpr, 0
	.set _ZN7rocprim17ROCPRIM_400000_NS6detail17trampoline_kernelINS0_14default_configENS1_25partition_config_selectorILNS1_17partition_subalgoE6EjNS0_10empty_typeEbEEZZNS1_14partition_implILS5_6ELb0ES3_mN6thrust23THRUST_200600_302600_NS6detail15normal_iteratorINSA_10device_ptrIjEEEEPS6_SG_NS0_5tupleIJSF_S6_EEENSH_IJSG_SG_EEES6_PlJNSB_9not_fun_tI7is_trueIjEEEEEE10hipError_tPvRmT3_T4_T5_T6_T7_T9_mT8_P12ihipStream_tbDpT10_ENKUlT_T0_E_clISt17integral_constantIbLb1EES18_EEDaS13_S14_EUlS13_E_NS1_11comp_targetILNS1_3genE2ELNS1_11target_archE906ELNS1_3gpuE6ELNS1_3repE0EEENS1_30default_config_static_selectorELNS0_4arch9wavefront6targetE0EEEvT1_.num_agpr, 0
	.set _ZN7rocprim17ROCPRIM_400000_NS6detail17trampoline_kernelINS0_14default_configENS1_25partition_config_selectorILNS1_17partition_subalgoE6EjNS0_10empty_typeEbEEZZNS1_14partition_implILS5_6ELb0ES3_mN6thrust23THRUST_200600_302600_NS6detail15normal_iteratorINSA_10device_ptrIjEEEEPS6_SG_NS0_5tupleIJSF_S6_EEENSH_IJSG_SG_EEES6_PlJNSB_9not_fun_tI7is_trueIjEEEEEE10hipError_tPvRmT3_T4_T5_T6_T7_T9_mT8_P12ihipStream_tbDpT10_ENKUlT_T0_E_clISt17integral_constantIbLb1EES18_EEDaS13_S14_EUlS13_E_NS1_11comp_targetILNS1_3genE2ELNS1_11target_archE906ELNS1_3gpuE6ELNS1_3repE0EEENS1_30default_config_static_selectorELNS0_4arch9wavefront6targetE0EEEvT1_.numbered_sgpr, 0
	.set _ZN7rocprim17ROCPRIM_400000_NS6detail17trampoline_kernelINS0_14default_configENS1_25partition_config_selectorILNS1_17partition_subalgoE6EjNS0_10empty_typeEbEEZZNS1_14partition_implILS5_6ELb0ES3_mN6thrust23THRUST_200600_302600_NS6detail15normal_iteratorINSA_10device_ptrIjEEEEPS6_SG_NS0_5tupleIJSF_S6_EEENSH_IJSG_SG_EEES6_PlJNSB_9not_fun_tI7is_trueIjEEEEEE10hipError_tPvRmT3_T4_T5_T6_T7_T9_mT8_P12ihipStream_tbDpT10_ENKUlT_T0_E_clISt17integral_constantIbLb1EES18_EEDaS13_S14_EUlS13_E_NS1_11comp_targetILNS1_3genE2ELNS1_11target_archE906ELNS1_3gpuE6ELNS1_3repE0EEENS1_30default_config_static_selectorELNS0_4arch9wavefront6targetE0EEEvT1_.num_named_barrier, 0
	.set _ZN7rocprim17ROCPRIM_400000_NS6detail17trampoline_kernelINS0_14default_configENS1_25partition_config_selectorILNS1_17partition_subalgoE6EjNS0_10empty_typeEbEEZZNS1_14partition_implILS5_6ELb0ES3_mN6thrust23THRUST_200600_302600_NS6detail15normal_iteratorINSA_10device_ptrIjEEEEPS6_SG_NS0_5tupleIJSF_S6_EEENSH_IJSG_SG_EEES6_PlJNSB_9not_fun_tI7is_trueIjEEEEEE10hipError_tPvRmT3_T4_T5_T6_T7_T9_mT8_P12ihipStream_tbDpT10_ENKUlT_T0_E_clISt17integral_constantIbLb1EES18_EEDaS13_S14_EUlS13_E_NS1_11comp_targetILNS1_3genE2ELNS1_11target_archE906ELNS1_3gpuE6ELNS1_3repE0EEENS1_30default_config_static_selectorELNS0_4arch9wavefront6targetE0EEEvT1_.private_seg_size, 0
	.set _ZN7rocprim17ROCPRIM_400000_NS6detail17trampoline_kernelINS0_14default_configENS1_25partition_config_selectorILNS1_17partition_subalgoE6EjNS0_10empty_typeEbEEZZNS1_14partition_implILS5_6ELb0ES3_mN6thrust23THRUST_200600_302600_NS6detail15normal_iteratorINSA_10device_ptrIjEEEEPS6_SG_NS0_5tupleIJSF_S6_EEENSH_IJSG_SG_EEES6_PlJNSB_9not_fun_tI7is_trueIjEEEEEE10hipError_tPvRmT3_T4_T5_T6_T7_T9_mT8_P12ihipStream_tbDpT10_ENKUlT_T0_E_clISt17integral_constantIbLb1EES18_EEDaS13_S14_EUlS13_E_NS1_11comp_targetILNS1_3genE2ELNS1_11target_archE906ELNS1_3gpuE6ELNS1_3repE0EEENS1_30default_config_static_selectorELNS0_4arch9wavefront6targetE0EEEvT1_.uses_vcc, 0
	.set _ZN7rocprim17ROCPRIM_400000_NS6detail17trampoline_kernelINS0_14default_configENS1_25partition_config_selectorILNS1_17partition_subalgoE6EjNS0_10empty_typeEbEEZZNS1_14partition_implILS5_6ELb0ES3_mN6thrust23THRUST_200600_302600_NS6detail15normal_iteratorINSA_10device_ptrIjEEEEPS6_SG_NS0_5tupleIJSF_S6_EEENSH_IJSG_SG_EEES6_PlJNSB_9not_fun_tI7is_trueIjEEEEEE10hipError_tPvRmT3_T4_T5_T6_T7_T9_mT8_P12ihipStream_tbDpT10_ENKUlT_T0_E_clISt17integral_constantIbLb1EES18_EEDaS13_S14_EUlS13_E_NS1_11comp_targetILNS1_3genE2ELNS1_11target_archE906ELNS1_3gpuE6ELNS1_3repE0EEENS1_30default_config_static_selectorELNS0_4arch9wavefront6targetE0EEEvT1_.uses_flat_scratch, 0
	.set _ZN7rocprim17ROCPRIM_400000_NS6detail17trampoline_kernelINS0_14default_configENS1_25partition_config_selectorILNS1_17partition_subalgoE6EjNS0_10empty_typeEbEEZZNS1_14partition_implILS5_6ELb0ES3_mN6thrust23THRUST_200600_302600_NS6detail15normal_iteratorINSA_10device_ptrIjEEEEPS6_SG_NS0_5tupleIJSF_S6_EEENSH_IJSG_SG_EEES6_PlJNSB_9not_fun_tI7is_trueIjEEEEEE10hipError_tPvRmT3_T4_T5_T6_T7_T9_mT8_P12ihipStream_tbDpT10_ENKUlT_T0_E_clISt17integral_constantIbLb1EES18_EEDaS13_S14_EUlS13_E_NS1_11comp_targetILNS1_3genE2ELNS1_11target_archE906ELNS1_3gpuE6ELNS1_3repE0EEENS1_30default_config_static_selectorELNS0_4arch9wavefront6targetE0EEEvT1_.has_dyn_sized_stack, 0
	.set _ZN7rocprim17ROCPRIM_400000_NS6detail17trampoline_kernelINS0_14default_configENS1_25partition_config_selectorILNS1_17partition_subalgoE6EjNS0_10empty_typeEbEEZZNS1_14partition_implILS5_6ELb0ES3_mN6thrust23THRUST_200600_302600_NS6detail15normal_iteratorINSA_10device_ptrIjEEEEPS6_SG_NS0_5tupleIJSF_S6_EEENSH_IJSG_SG_EEES6_PlJNSB_9not_fun_tI7is_trueIjEEEEEE10hipError_tPvRmT3_T4_T5_T6_T7_T9_mT8_P12ihipStream_tbDpT10_ENKUlT_T0_E_clISt17integral_constantIbLb1EES18_EEDaS13_S14_EUlS13_E_NS1_11comp_targetILNS1_3genE2ELNS1_11target_archE906ELNS1_3gpuE6ELNS1_3repE0EEENS1_30default_config_static_selectorELNS0_4arch9wavefront6targetE0EEEvT1_.has_recursion, 0
	.set _ZN7rocprim17ROCPRIM_400000_NS6detail17trampoline_kernelINS0_14default_configENS1_25partition_config_selectorILNS1_17partition_subalgoE6EjNS0_10empty_typeEbEEZZNS1_14partition_implILS5_6ELb0ES3_mN6thrust23THRUST_200600_302600_NS6detail15normal_iteratorINSA_10device_ptrIjEEEEPS6_SG_NS0_5tupleIJSF_S6_EEENSH_IJSG_SG_EEES6_PlJNSB_9not_fun_tI7is_trueIjEEEEEE10hipError_tPvRmT3_T4_T5_T6_T7_T9_mT8_P12ihipStream_tbDpT10_ENKUlT_T0_E_clISt17integral_constantIbLb1EES18_EEDaS13_S14_EUlS13_E_NS1_11comp_targetILNS1_3genE2ELNS1_11target_archE906ELNS1_3gpuE6ELNS1_3repE0EEENS1_30default_config_static_selectorELNS0_4arch9wavefront6targetE0EEEvT1_.has_indirect_call, 0
	.section	.AMDGPU.csdata,"",@progbits
; Kernel info:
; codeLenInByte = 0
; TotalNumSgprs: 0
; NumVgprs: 0
; ScratchSize: 0
; MemoryBound: 0
; FloatMode: 240
; IeeeMode: 1
; LDSByteSize: 0 bytes/workgroup (compile time only)
; SGPRBlocks: 0
; VGPRBlocks: 0
; NumSGPRsForWavesPerEU: 1
; NumVGPRsForWavesPerEU: 1
; Occupancy: 16
; WaveLimiterHint : 0
; COMPUTE_PGM_RSRC2:SCRATCH_EN: 0
; COMPUTE_PGM_RSRC2:USER_SGPR: 2
; COMPUTE_PGM_RSRC2:TRAP_HANDLER: 0
; COMPUTE_PGM_RSRC2:TGID_X_EN: 1
; COMPUTE_PGM_RSRC2:TGID_Y_EN: 0
; COMPUTE_PGM_RSRC2:TGID_Z_EN: 0
; COMPUTE_PGM_RSRC2:TIDIG_COMP_CNT: 0
	.section	.text._ZN7rocprim17ROCPRIM_400000_NS6detail17trampoline_kernelINS0_14default_configENS1_25partition_config_selectorILNS1_17partition_subalgoE6EjNS0_10empty_typeEbEEZZNS1_14partition_implILS5_6ELb0ES3_mN6thrust23THRUST_200600_302600_NS6detail15normal_iteratorINSA_10device_ptrIjEEEEPS6_SG_NS0_5tupleIJSF_S6_EEENSH_IJSG_SG_EEES6_PlJNSB_9not_fun_tI7is_trueIjEEEEEE10hipError_tPvRmT3_T4_T5_T6_T7_T9_mT8_P12ihipStream_tbDpT10_ENKUlT_T0_E_clISt17integral_constantIbLb1EES18_EEDaS13_S14_EUlS13_E_NS1_11comp_targetILNS1_3genE10ELNS1_11target_archE1200ELNS1_3gpuE4ELNS1_3repE0EEENS1_30default_config_static_selectorELNS0_4arch9wavefront6targetE0EEEvT1_,"axG",@progbits,_ZN7rocprim17ROCPRIM_400000_NS6detail17trampoline_kernelINS0_14default_configENS1_25partition_config_selectorILNS1_17partition_subalgoE6EjNS0_10empty_typeEbEEZZNS1_14partition_implILS5_6ELb0ES3_mN6thrust23THRUST_200600_302600_NS6detail15normal_iteratorINSA_10device_ptrIjEEEEPS6_SG_NS0_5tupleIJSF_S6_EEENSH_IJSG_SG_EEES6_PlJNSB_9not_fun_tI7is_trueIjEEEEEE10hipError_tPvRmT3_T4_T5_T6_T7_T9_mT8_P12ihipStream_tbDpT10_ENKUlT_T0_E_clISt17integral_constantIbLb1EES18_EEDaS13_S14_EUlS13_E_NS1_11comp_targetILNS1_3genE10ELNS1_11target_archE1200ELNS1_3gpuE4ELNS1_3repE0EEENS1_30default_config_static_selectorELNS0_4arch9wavefront6targetE0EEEvT1_,comdat
	.protected	_ZN7rocprim17ROCPRIM_400000_NS6detail17trampoline_kernelINS0_14default_configENS1_25partition_config_selectorILNS1_17partition_subalgoE6EjNS0_10empty_typeEbEEZZNS1_14partition_implILS5_6ELb0ES3_mN6thrust23THRUST_200600_302600_NS6detail15normal_iteratorINSA_10device_ptrIjEEEEPS6_SG_NS0_5tupleIJSF_S6_EEENSH_IJSG_SG_EEES6_PlJNSB_9not_fun_tI7is_trueIjEEEEEE10hipError_tPvRmT3_T4_T5_T6_T7_T9_mT8_P12ihipStream_tbDpT10_ENKUlT_T0_E_clISt17integral_constantIbLb1EES18_EEDaS13_S14_EUlS13_E_NS1_11comp_targetILNS1_3genE10ELNS1_11target_archE1200ELNS1_3gpuE4ELNS1_3repE0EEENS1_30default_config_static_selectorELNS0_4arch9wavefront6targetE0EEEvT1_ ; -- Begin function _ZN7rocprim17ROCPRIM_400000_NS6detail17trampoline_kernelINS0_14default_configENS1_25partition_config_selectorILNS1_17partition_subalgoE6EjNS0_10empty_typeEbEEZZNS1_14partition_implILS5_6ELb0ES3_mN6thrust23THRUST_200600_302600_NS6detail15normal_iteratorINSA_10device_ptrIjEEEEPS6_SG_NS0_5tupleIJSF_S6_EEENSH_IJSG_SG_EEES6_PlJNSB_9not_fun_tI7is_trueIjEEEEEE10hipError_tPvRmT3_T4_T5_T6_T7_T9_mT8_P12ihipStream_tbDpT10_ENKUlT_T0_E_clISt17integral_constantIbLb1EES18_EEDaS13_S14_EUlS13_E_NS1_11comp_targetILNS1_3genE10ELNS1_11target_archE1200ELNS1_3gpuE4ELNS1_3repE0EEENS1_30default_config_static_selectorELNS0_4arch9wavefront6targetE0EEEvT1_
	.globl	_ZN7rocprim17ROCPRIM_400000_NS6detail17trampoline_kernelINS0_14default_configENS1_25partition_config_selectorILNS1_17partition_subalgoE6EjNS0_10empty_typeEbEEZZNS1_14partition_implILS5_6ELb0ES3_mN6thrust23THRUST_200600_302600_NS6detail15normal_iteratorINSA_10device_ptrIjEEEEPS6_SG_NS0_5tupleIJSF_S6_EEENSH_IJSG_SG_EEES6_PlJNSB_9not_fun_tI7is_trueIjEEEEEE10hipError_tPvRmT3_T4_T5_T6_T7_T9_mT8_P12ihipStream_tbDpT10_ENKUlT_T0_E_clISt17integral_constantIbLb1EES18_EEDaS13_S14_EUlS13_E_NS1_11comp_targetILNS1_3genE10ELNS1_11target_archE1200ELNS1_3gpuE4ELNS1_3repE0EEENS1_30default_config_static_selectorELNS0_4arch9wavefront6targetE0EEEvT1_
	.p2align	8
	.type	_ZN7rocprim17ROCPRIM_400000_NS6detail17trampoline_kernelINS0_14default_configENS1_25partition_config_selectorILNS1_17partition_subalgoE6EjNS0_10empty_typeEbEEZZNS1_14partition_implILS5_6ELb0ES3_mN6thrust23THRUST_200600_302600_NS6detail15normal_iteratorINSA_10device_ptrIjEEEEPS6_SG_NS0_5tupleIJSF_S6_EEENSH_IJSG_SG_EEES6_PlJNSB_9not_fun_tI7is_trueIjEEEEEE10hipError_tPvRmT3_T4_T5_T6_T7_T9_mT8_P12ihipStream_tbDpT10_ENKUlT_T0_E_clISt17integral_constantIbLb1EES18_EEDaS13_S14_EUlS13_E_NS1_11comp_targetILNS1_3genE10ELNS1_11target_archE1200ELNS1_3gpuE4ELNS1_3repE0EEENS1_30default_config_static_selectorELNS0_4arch9wavefront6targetE0EEEvT1_,@function
_ZN7rocprim17ROCPRIM_400000_NS6detail17trampoline_kernelINS0_14default_configENS1_25partition_config_selectorILNS1_17partition_subalgoE6EjNS0_10empty_typeEbEEZZNS1_14partition_implILS5_6ELb0ES3_mN6thrust23THRUST_200600_302600_NS6detail15normal_iteratorINSA_10device_ptrIjEEEEPS6_SG_NS0_5tupleIJSF_S6_EEENSH_IJSG_SG_EEES6_PlJNSB_9not_fun_tI7is_trueIjEEEEEE10hipError_tPvRmT3_T4_T5_T6_T7_T9_mT8_P12ihipStream_tbDpT10_ENKUlT_T0_E_clISt17integral_constantIbLb1EES18_EEDaS13_S14_EUlS13_E_NS1_11comp_targetILNS1_3genE10ELNS1_11target_archE1200ELNS1_3gpuE4ELNS1_3repE0EEENS1_30default_config_static_selectorELNS0_4arch9wavefront6targetE0EEEvT1_: ; @_ZN7rocprim17ROCPRIM_400000_NS6detail17trampoline_kernelINS0_14default_configENS1_25partition_config_selectorILNS1_17partition_subalgoE6EjNS0_10empty_typeEbEEZZNS1_14partition_implILS5_6ELb0ES3_mN6thrust23THRUST_200600_302600_NS6detail15normal_iteratorINSA_10device_ptrIjEEEEPS6_SG_NS0_5tupleIJSF_S6_EEENSH_IJSG_SG_EEES6_PlJNSB_9not_fun_tI7is_trueIjEEEEEE10hipError_tPvRmT3_T4_T5_T6_T7_T9_mT8_P12ihipStream_tbDpT10_ENKUlT_T0_E_clISt17integral_constantIbLb1EES18_EEDaS13_S14_EUlS13_E_NS1_11comp_targetILNS1_3genE10ELNS1_11target_archE1200ELNS1_3gpuE4ELNS1_3repE0EEENS1_30default_config_static_selectorELNS0_4arch9wavefront6targetE0EEEvT1_
; %bb.0:
	s_endpgm
	.section	.rodata,"a",@progbits
	.p2align	6, 0x0
	.amdhsa_kernel _ZN7rocprim17ROCPRIM_400000_NS6detail17trampoline_kernelINS0_14default_configENS1_25partition_config_selectorILNS1_17partition_subalgoE6EjNS0_10empty_typeEbEEZZNS1_14partition_implILS5_6ELb0ES3_mN6thrust23THRUST_200600_302600_NS6detail15normal_iteratorINSA_10device_ptrIjEEEEPS6_SG_NS0_5tupleIJSF_S6_EEENSH_IJSG_SG_EEES6_PlJNSB_9not_fun_tI7is_trueIjEEEEEE10hipError_tPvRmT3_T4_T5_T6_T7_T9_mT8_P12ihipStream_tbDpT10_ENKUlT_T0_E_clISt17integral_constantIbLb1EES18_EEDaS13_S14_EUlS13_E_NS1_11comp_targetILNS1_3genE10ELNS1_11target_archE1200ELNS1_3gpuE4ELNS1_3repE0EEENS1_30default_config_static_selectorELNS0_4arch9wavefront6targetE0EEEvT1_
		.amdhsa_group_segment_fixed_size 0
		.amdhsa_private_segment_fixed_size 0
		.amdhsa_kernarg_size 128
		.amdhsa_user_sgpr_count 2
		.amdhsa_user_sgpr_dispatch_ptr 0
		.amdhsa_user_sgpr_queue_ptr 0
		.amdhsa_user_sgpr_kernarg_segment_ptr 1
		.amdhsa_user_sgpr_dispatch_id 0
		.amdhsa_user_sgpr_private_segment_size 0
		.amdhsa_wavefront_size32 1
		.amdhsa_uses_dynamic_stack 0
		.amdhsa_enable_private_segment 0
		.amdhsa_system_sgpr_workgroup_id_x 1
		.amdhsa_system_sgpr_workgroup_id_y 0
		.amdhsa_system_sgpr_workgroup_id_z 0
		.amdhsa_system_sgpr_workgroup_info 0
		.amdhsa_system_vgpr_workitem_id 0
		.amdhsa_next_free_vgpr 1
		.amdhsa_next_free_sgpr 1
		.amdhsa_reserve_vcc 0
		.amdhsa_float_round_mode_32 0
		.amdhsa_float_round_mode_16_64 0
		.amdhsa_float_denorm_mode_32 3
		.amdhsa_float_denorm_mode_16_64 3
		.amdhsa_fp16_overflow 0
		.amdhsa_workgroup_processor_mode 1
		.amdhsa_memory_ordered 1
		.amdhsa_forward_progress 1
		.amdhsa_inst_pref_size 1
		.amdhsa_round_robin_scheduling 0
		.amdhsa_exception_fp_ieee_invalid_op 0
		.amdhsa_exception_fp_denorm_src 0
		.amdhsa_exception_fp_ieee_div_zero 0
		.amdhsa_exception_fp_ieee_overflow 0
		.amdhsa_exception_fp_ieee_underflow 0
		.amdhsa_exception_fp_ieee_inexact 0
		.amdhsa_exception_int_div_zero 0
	.end_amdhsa_kernel
	.section	.text._ZN7rocprim17ROCPRIM_400000_NS6detail17trampoline_kernelINS0_14default_configENS1_25partition_config_selectorILNS1_17partition_subalgoE6EjNS0_10empty_typeEbEEZZNS1_14partition_implILS5_6ELb0ES3_mN6thrust23THRUST_200600_302600_NS6detail15normal_iteratorINSA_10device_ptrIjEEEEPS6_SG_NS0_5tupleIJSF_S6_EEENSH_IJSG_SG_EEES6_PlJNSB_9not_fun_tI7is_trueIjEEEEEE10hipError_tPvRmT3_T4_T5_T6_T7_T9_mT8_P12ihipStream_tbDpT10_ENKUlT_T0_E_clISt17integral_constantIbLb1EES18_EEDaS13_S14_EUlS13_E_NS1_11comp_targetILNS1_3genE10ELNS1_11target_archE1200ELNS1_3gpuE4ELNS1_3repE0EEENS1_30default_config_static_selectorELNS0_4arch9wavefront6targetE0EEEvT1_,"axG",@progbits,_ZN7rocprim17ROCPRIM_400000_NS6detail17trampoline_kernelINS0_14default_configENS1_25partition_config_selectorILNS1_17partition_subalgoE6EjNS0_10empty_typeEbEEZZNS1_14partition_implILS5_6ELb0ES3_mN6thrust23THRUST_200600_302600_NS6detail15normal_iteratorINSA_10device_ptrIjEEEEPS6_SG_NS0_5tupleIJSF_S6_EEENSH_IJSG_SG_EEES6_PlJNSB_9not_fun_tI7is_trueIjEEEEEE10hipError_tPvRmT3_T4_T5_T6_T7_T9_mT8_P12ihipStream_tbDpT10_ENKUlT_T0_E_clISt17integral_constantIbLb1EES18_EEDaS13_S14_EUlS13_E_NS1_11comp_targetILNS1_3genE10ELNS1_11target_archE1200ELNS1_3gpuE4ELNS1_3repE0EEENS1_30default_config_static_selectorELNS0_4arch9wavefront6targetE0EEEvT1_,comdat
.Lfunc_end1154:
	.size	_ZN7rocprim17ROCPRIM_400000_NS6detail17trampoline_kernelINS0_14default_configENS1_25partition_config_selectorILNS1_17partition_subalgoE6EjNS0_10empty_typeEbEEZZNS1_14partition_implILS5_6ELb0ES3_mN6thrust23THRUST_200600_302600_NS6detail15normal_iteratorINSA_10device_ptrIjEEEEPS6_SG_NS0_5tupleIJSF_S6_EEENSH_IJSG_SG_EEES6_PlJNSB_9not_fun_tI7is_trueIjEEEEEE10hipError_tPvRmT3_T4_T5_T6_T7_T9_mT8_P12ihipStream_tbDpT10_ENKUlT_T0_E_clISt17integral_constantIbLb1EES18_EEDaS13_S14_EUlS13_E_NS1_11comp_targetILNS1_3genE10ELNS1_11target_archE1200ELNS1_3gpuE4ELNS1_3repE0EEENS1_30default_config_static_selectorELNS0_4arch9wavefront6targetE0EEEvT1_, .Lfunc_end1154-_ZN7rocprim17ROCPRIM_400000_NS6detail17trampoline_kernelINS0_14default_configENS1_25partition_config_selectorILNS1_17partition_subalgoE6EjNS0_10empty_typeEbEEZZNS1_14partition_implILS5_6ELb0ES3_mN6thrust23THRUST_200600_302600_NS6detail15normal_iteratorINSA_10device_ptrIjEEEEPS6_SG_NS0_5tupleIJSF_S6_EEENSH_IJSG_SG_EEES6_PlJNSB_9not_fun_tI7is_trueIjEEEEEE10hipError_tPvRmT3_T4_T5_T6_T7_T9_mT8_P12ihipStream_tbDpT10_ENKUlT_T0_E_clISt17integral_constantIbLb1EES18_EEDaS13_S14_EUlS13_E_NS1_11comp_targetILNS1_3genE10ELNS1_11target_archE1200ELNS1_3gpuE4ELNS1_3repE0EEENS1_30default_config_static_selectorELNS0_4arch9wavefront6targetE0EEEvT1_
                                        ; -- End function
	.set _ZN7rocprim17ROCPRIM_400000_NS6detail17trampoline_kernelINS0_14default_configENS1_25partition_config_selectorILNS1_17partition_subalgoE6EjNS0_10empty_typeEbEEZZNS1_14partition_implILS5_6ELb0ES3_mN6thrust23THRUST_200600_302600_NS6detail15normal_iteratorINSA_10device_ptrIjEEEEPS6_SG_NS0_5tupleIJSF_S6_EEENSH_IJSG_SG_EEES6_PlJNSB_9not_fun_tI7is_trueIjEEEEEE10hipError_tPvRmT3_T4_T5_T6_T7_T9_mT8_P12ihipStream_tbDpT10_ENKUlT_T0_E_clISt17integral_constantIbLb1EES18_EEDaS13_S14_EUlS13_E_NS1_11comp_targetILNS1_3genE10ELNS1_11target_archE1200ELNS1_3gpuE4ELNS1_3repE0EEENS1_30default_config_static_selectorELNS0_4arch9wavefront6targetE0EEEvT1_.num_vgpr, 0
	.set _ZN7rocprim17ROCPRIM_400000_NS6detail17trampoline_kernelINS0_14default_configENS1_25partition_config_selectorILNS1_17partition_subalgoE6EjNS0_10empty_typeEbEEZZNS1_14partition_implILS5_6ELb0ES3_mN6thrust23THRUST_200600_302600_NS6detail15normal_iteratorINSA_10device_ptrIjEEEEPS6_SG_NS0_5tupleIJSF_S6_EEENSH_IJSG_SG_EEES6_PlJNSB_9not_fun_tI7is_trueIjEEEEEE10hipError_tPvRmT3_T4_T5_T6_T7_T9_mT8_P12ihipStream_tbDpT10_ENKUlT_T0_E_clISt17integral_constantIbLb1EES18_EEDaS13_S14_EUlS13_E_NS1_11comp_targetILNS1_3genE10ELNS1_11target_archE1200ELNS1_3gpuE4ELNS1_3repE0EEENS1_30default_config_static_selectorELNS0_4arch9wavefront6targetE0EEEvT1_.num_agpr, 0
	.set _ZN7rocprim17ROCPRIM_400000_NS6detail17trampoline_kernelINS0_14default_configENS1_25partition_config_selectorILNS1_17partition_subalgoE6EjNS0_10empty_typeEbEEZZNS1_14partition_implILS5_6ELb0ES3_mN6thrust23THRUST_200600_302600_NS6detail15normal_iteratorINSA_10device_ptrIjEEEEPS6_SG_NS0_5tupleIJSF_S6_EEENSH_IJSG_SG_EEES6_PlJNSB_9not_fun_tI7is_trueIjEEEEEE10hipError_tPvRmT3_T4_T5_T6_T7_T9_mT8_P12ihipStream_tbDpT10_ENKUlT_T0_E_clISt17integral_constantIbLb1EES18_EEDaS13_S14_EUlS13_E_NS1_11comp_targetILNS1_3genE10ELNS1_11target_archE1200ELNS1_3gpuE4ELNS1_3repE0EEENS1_30default_config_static_selectorELNS0_4arch9wavefront6targetE0EEEvT1_.numbered_sgpr, 0
	.set _ZN7rocprim17ROCPRIM_400000_NS6detail17trampoline_kernelINS0_14default_configENS1_25partition_config_selectorILNS1_17partition_subalgoE6EjNS0_10empty_typeEbEEZZNS1_14partition_implILS5_6ELb0ES3_mN6thrust23THRUST_200600_302600_NS6detail15normal_iteratorINSA_10device_ptrIjEEEEPS6_SG_NS0_5tupleIJSF_S6_EEENSH_IJSG_SG_EEES6_PlJNSB_9not_fun_tI7is_trueIjEEEEEE10hipError_tPvRmT3_T4_T5_T6_T7_T9_mT8_P12ihipStream_tbDpT10_ENKUlT_T0_E_clISt17integral_constantIbLb1EES18_EEDaS13_S14_EUlS13_E_NS1_11comp_targetILNS1_3genE10ELNS1_11target_archE1200ELNS1_3gpuE4ELNS1_3repE0EEENS1_30default_config_static_selectorELNS0_4arch9wavefront6targetE0EEEvT1_.num_named_barrier, 0
	.set _ZN7rocprim17ROCPRIM_400000_NS6detail17trampoline_kernelINS0_14default_configENS1_25partition_config_selectorILNS1_17partition_subalgoE6EjNS0_10empty_typeEbEEZZNS1_14partition_implILS5_6ELb0ES3_mN6thrust23THRUST_200600_302600_NS6detail15normal_iteratorINSA_10device_ptrIjEEEEPS6_SG_NS0_5tupleIJSF_S6_EEENSH_IJSG_SG_EEES6_PlJNSB_9not_fun_tI7is_trueIjEEEEEE10hipError_tPvRmT3_T4_T5_T6_T7_T9_mT8_P12ihipStream_tbDpT10_ENKUlT_T0_E_clISt17integral_constantIbLb1EES18_EEDaS13_S14_EUlS13_E_NS1_11comp_targetILNS1_3genE10ELNS1_11target_archE1200ELNS1_3gpuE4ELNS1_3repE0EEENS1_30default_config_static_selectorELNS0_4arch9wavefront6targetE0EEEvT1_.private_seg_size, 0
	.set _ZN7rocprim17ROCPRIM_400000_NS6detail17trampoline_kernelINS0_14default_configENS1_25partition_config_selectorILNS1_17partition_subalgoE6EjNS0_10empty_typeEbEEZZNS1_14partition_implILS5_6ELb0ES3_mN6thrust23THRUST_200600_302600_NS6detail15normal_iteratorINSA_10device_ptrIjEEEEPS6_SG_NS0_5tupleIJSF_S6_EEENSH_IJSG_SG_EEES6_PlJNSB_9not_fun_tI7is_trueIjEEEEEE10hipError_tPvRmT3_T4_T5_T6_T7_T9_mT8_P12ihipStream_tbDpT10_ENKUlT_T0_E_clISt17integral_constantIbLb1EES18_EEDaS13_S14_EUlS13_E_NS1_11comp_targetILNS1_3genE10ELNS1_11target_archE1200ELNS1_3gpuE4ELNS1_3repE0EEENS1_30default_config_static_selectorELNS0_4arch9wavefront6targetE0EEEvT1_.uses_vcc, 0
	.set _ZN7rocprim17ROCPRIM_400000_NS6detail17trampoline_kernelINS0_14default_configENS1_25partition_config_selectorILNS1_17partition_subalgoE6EjNS0_10empty_typeEbEEZZNS1_14partition_implILS5_6ELb0ES3_mN6thrust23THRUST_200600_302600_NS6detail15normal_iteratorINSA_10device_ptrIjEEEEPS6_SG_NS0_5tupleIJSF_S6_EEENSH_IJSG_SG_EEES6_PlJNSB_9not_fun_tI7is_trueIjEEEEEE10hipError_tPvRmT3_T4_T5_T6_T7_T9_mT8_P12ihipStream_tbDpT10_ENKUlT_T0_E_clISt17integral_constantIbLb1EES18_EEDaS13_S14_EUlS13_E_NS1_11comp_targetILNS1_3genE10ELNS1_11target_archE1200ELNS1_3gpuE4ELNS1_3repE0EEENS1_30default_config_static_selectorELNS0_4arch9wavefront6targetE0EEEvT1_.uses_flat_scratch, 0
	.set _ZN7rocprim17ROCPRIM_400000_NS6detail17trampoline_kernelINS0_14default_configENS1_25partition_config_selectorILNS1_17partition_subalgoE6EjNS0_10empty_typeEbEEZZNS1_14partition_implILS5_6ELb0ES3_mN6thrust23THRUST_200600_302600_NS6detail15normal_iteratorINSA_10device_ptrIjEEEEPS6_SG_NS0_5tupleIJSF_S6_EEENSH_IJSG_SG_EEES6_PlJNSB_9not_fun_tI7is_trueIjEEEEEE10hipError_tPvRmT3_T4_T5_T6_T7_T9_mT8_P12ihipStream_tbDpT10_ENKUlT_T0_E_clISt17integral_constantIbLb1EES18_EEDaS13_S14_EUlS13_E_NS1_11comp_targetILNS1_3genE10ELNS1_11target_archE1200ELNS1_3gpuE4ELNS1_3repE0EEENS1_30default_config_static_selectorELNS0_4arch9wavefront6targetE0EEEvT1_.has_dyn_sized_stack, 0
	.set _ZN7rocprim17ROCPRIM_400000_NS6detail17trampoline_kernelINS0_14default_configENS1_25partition_config_selectorILNS1_17partition_subalgoE6EjNS0_10empty_typeEbEEZZNS1_14partition_implILS5_6ELb0ES3_mN6thrust23THRUST_200600_302600_NS6detail15normal_iteratorINSA_10device_ptrIjEEEEPS6_SG_NS0_5tupleIJSF_S6_EEENSH_IJSG_SG_EEES6_PlJNSB_9not_fun_tI7is_trueIjEEEEEE10hipError_tPvRmT3_T4_T5_T6_T7_T9_mT8_P12ihipStream_tbDpT10_ENKUlT_T0_E_clISt17integral_constantIbLb1EES18_EEDaS13_S14_EUlS13_E_NS1_11comp_targetILNS1_3genE10ELNS1_11target_archE1200ELNS1_3gpuE4ELNS1_3repE0EEENS1_30default_config_static_selectorELNS0_4arch9wavefront6targetE0EEEvT1_.has_recursion, 0
	.set _ZN7rocprim17ROCPRIM_400000_NS6detail17trampoline_kernelINS0_14default_configENS1_25partition_config_selectorILNS1_17partition_subalgoE6EjNS0_10empty_typeEbEEZZNS1_14partition_implILS5_6ELb0ES3_mN6thrust23THRUST_200600_302600_NS6detail15normal_iteratorINSA_10device_ptrIjEEEEPS6_SG_NS0_5tupleIJSF_S6_EEENSH_IJSG_SG_EEES6_PlJNSB_9not_fun_tI7is_trueIjEEEEEE10hipError_tPvRmT3_T4_T5_T6_T7_T9_mT8_P12ihipStream_tbDpT10_ENKUlT_T0_E_clISt17integral_constantIbLb1EES18_EEDaS13_S14_EUlS13_E_NS1_11comp_targetILNS1_3genE10ELNS1_11target_archE1200ELNS1_3gpuE4ELNS1_3repE0EEENS1_30default_config_static_selectorELNS0_4arch9wavefront6targetE0EEEvT1_.has_indirect_call, 0
	.section	.AMDGPU.csdata,"",@progbits
; Kernel info:
; codeLenInByte = 4
; TotalNumSgprs: 0
; NumVgprs: 0
; ScratchSize: 0
; MemoryBound: 0
; FloatMode: 240
; IeeeMode: 1
; LDSByteSize: 0 bytes/workgroup (compile time only)
; SGPRBlocks: 0
; VGPRBlocks: 0
; NumSGPRsForWavesPerEU: 1
; NumVGPRsForWavesPerEU: 1
; Occupancy: 16
; WaveLimiterHint : 0
; COMPUTE_PGM_RSRC2:SCRATCH_EN: 0
; COMPUTE_PGM_RSRC2:USER_SGPR: 2
; COMPUTE_PGM_RSRC2:TRAP_HANDLER: 0
; COMPUTE_PGM_RSRC2:TGID_X_EN: 1
; COMPUTE_PGM_RSRC2:TGID_Y_EN: 0
; COMPUTE_PGM_RSRC2:TGID_Z_EN: 0
; COMPUTE_PGM_RSRC2:TIDIG_COMP_CNT: 0
	.section	.text._ZN7rocprim17ROCPRIM_400000_NS6detail17trampoline_kernelINS0_14default_configENS1_25partition_config_selectorILNS1_17partition_subalgoE6EjNS0_10empty_typeEbEEZZNS1_14partition_implILS5_6ELb0ES3_mN6thrust23THRUST_200600_302600_NS6detail15normal_iteratorINSA_10device_ptrIjEEEEPS6_SG_NS0_5tupleIJSF_S6_EEENSH_IJSG_SG_EEES6_PlJNSB_9not_fun_tI7is_trueIjEEEEEE10hipError_tPvRmT3_T4_T5_T6_T7_T9_mT8_P12ihipStream_tbDpT10_ENKUlT_T0_E_clISt17integral_constantIbLb1EES18_EEDaS13_S14_EUlS13_E_NS1_11comp_targetILNS1_3genE9ELNS1_11target_archE1100ELNS1_3gpuE3ELNS1_3repE0EEENS1_30default_config_static_selectorELNS0_4arch9wavefront6targetE0EEEvT1_,"axG",@progbits,_ZN7rocprim17ROCPRIM_400000_NS6detail17trampoline_kernelINS0_14default_configENS1_25partition_config_selectorILNS1_17partition_subalgoE6EjNS0_10empty_typeEbEEZZNS1_14partition_implILS5_6ELb0ES3_mN6thrust23THRUST_200600_302600_NS6detail15normal_iteratorINSA_10device_ptrIjEEEEPS6_SG_NS0_5tupleIJSF_S6_EEENSH_IJSG_SG_EEES6_PlJNSB_9not_fun_tI7is_trueIjEEEEEE10hipError_tPvRmT3_T4_T5_T6_T7_T9_mT8_P12ihipStream_tbDpT10_ENKUlT_T0_E_clISt17integral_constantIbLb1EES18_EEDaS13_S14_EUlS13_E_NS1_11comp_targetILNS1_3genE9ELNS1_11target_archE1100ELNS1_3gpuE3ELNS1_3repE0EEENS1_30default_config_static_selectorELNS0_4arch9wavefront6targetE0EEEvT1_,comdat
	.protected	_ZN7rocprim17ROCPRIM_400000_NS6detail17trampoline_kernelINS0_14default_configENS1_25partition_config_selectorILNS1_17partition_subalgoE6EjNS0_10empty_typeEbEEZZNS1_14partition_implILS5_6ELb0ES3_mN6thrust23THRUST_200600_302600_NS6detail15normal_iteratorINSA_10device_ptrIjEEEEPS6_SG_NS0_5tupleIJSF_S6_EEENSH_IJSG_SG_EEES6_PlJNSB_9not_fun_tI7is_trueIjEEEEEE10hipError_tPvRmT3_T4_T5_T6_T7_T9_mT8_P12ihipStream_tbDpT10_ENKUlT_T0_E_clISt17integral_constantIbLb1EES18_EEDaS13_S14_EUlS13_E_NS1_11comp_targetILNS1_3genE9ELNS1_11target_archE1100ELNS1_3gpuE3ELNS1_3repE0EEENS1_30default_config_static_selectorELNS0_4arch9wavefront6targetE0EEEvT1_ ; -- Begin function _ZN7rocprim17ROCPRIM_400000_NS6detail17trampoline_kernelINS0_14default_configENS1_25partition_config_selectorILNS1_17partition_subalgoE6EjNS0_10empty_typeEbEEZZNS1_14partition_implILS5_6ELb0ES3_mN6thrust23THRUST_200600_302600_NS6detail15normal_iteratorINSA_10device_ptrIjEEEEPS6_SG_NS0_5tupleIJSF_S6_EEENSH_IJSG_SG_EEES6_PlJNSB_9not_fun_tI7is_trueIjEEEEEE10hipError_tPvRmT3_T4_T5_T6_T7_T9_mT8_P12ihipStream_tbDpT10_ENKUlT_T0_E_clISt17integral_constantIbLb1EES18_EEDaS13_S14_EUlS13_E_NS1_11comp_targetILNS1_3genE9ELNS1_11target_archE1100ELNS1_3gpuE3ELNS1_3repE0EEENS1_30default_config_static_selectorELNS0_4arch9wavefront6targetE0EEEvT1_
	.globl	_ZN7rocprim17ROCPRIM_400000_NS6detail17trampoline_kernelINS0_14default_configENS1_25partition_config_selectorILNS1_17partition_subalgoE6EjNS0_10empty_typeEbEEZZNS1_14partition_implILS5_6ELb0ES3_mN6thrust23THRUST_200600_302600_NS6detail15normal_iteratorINSA_10device_ptrIjEEEEPS6_SG_NS0_5tupleIJSF_S6_EEENSH_IJSG_SG_EEES6_PlJNSB_9not_fun_tI7is_trueIjEEEEEE10hipError_tPvRmT3_T4_T5_T6_T7_T9_mT8_P12ihipStream_tbDpT10_ENKUlT_T0_E_clISt17integral_constantIbLb1EES18_EEDaS13_S14_EUlS13_E_NS1_11comp_targetILNS1_3genE9ELNS1_11target_archE1100ELNS1_3gpuE3ELNS1_3repE0EEENS1_30default_config_static_selectorELNS0_4arch9wavefront6targetE0EEEvT1_
	.p2align	8
	.type	_ZN7rocprim17ROCPRIM_400000_NS6detail17trampoline_kernelINS0_14default_configENS1_25partition_config_selectorILNS1_17partition_subalgoE6EjNS0_10empty_typeEbEEZZNS1_14partition_implILS5_6ELb0ES3_mN6thrust23THRUST_200600_302600_NS6detail15normal_iteratorINSA_10device_ptrIjEEEEPS6_SG_NS0_5tupleIJSF_S6_EEENSH_IJSG_SG_EEES6_PlJNSB_9not_fun_tI7is_trueIjEEEEEE10hipError_tPvRmT3_T4_T5_T6_T7_T9_mT8_P12ihipStream_tbDpT10_ENKUlT_T0_E_clISt17integral_constantIbLb1EES18_EEDaS13_S14_EUlS13_E_NS1_11comp_targetILNS1_3genE9ELNS1_11target_archE1100ELNS1_3gpuE3ELNS1_3repE0EEENS1_30default_config_static_selectorELNS0_4arch9wavefront6targetE0EEEvT1_,@function
_ZN7rocprim17ROCPRIM_400000_NS6detail17trampoline_kernelINS0_14default_configENS1_25partition_config_selectorILNS1_17partition_subalgoE6EjNS0_10empty_typeEbEEZZNS1_14partition_implILS5_6ELb0ES3_mN6thrust23THRUST_200600_302600_NS6detail15normal_iteratorINSA_10device_ptrIjEEEEPS6_SG_NS0_5tupleIJSF_S6_EEENSH_IJSG_SG_EEES6_PlJNSB_9not_fun_tI7is_trueIjEEEEEE10hipError_tPvRmT3_T4_T5_T6_T7_T9_mT8_P12ihipStream_tbDpT10_ENKUlT_T0_E_clISt17integral_constantIbLb1EES18_EEDaS13_S14_EUlS13_E_NS1_11comp_targetILNS1_3genE9ELNS1_11target_archE1100ELNS1_3gpuE3ELNS1_3repE0EEENS1_30default_config_static_selectorELNS0_4arch9wavefront6targetE0EEEvT1_: ; @_ZN7rocprim17ROCPRIM_400000_NS6detail17trampoline_kernelINS0_14default_configENS1_25partition_config_selectorILNS1_17partition_subalgoE6EjNS0_10empty_typeEbEEZZNS1_14partition_implILS5_6ELb0ES3_mN6thrust23THRUST_200600_302600_NS6detail15normal_iteratorINSA_10device_ptrIjEEEEPS6_SG_NS0_5tupleIJSF_S6_EEENSH_IJSG_SG_EEES6_PlJNSB_9not_fun_tI7is_trueIjEEEEEE10hipError_tPvRmT3_T4_T5_T6_T7_T9_mT8_P12ihipStream_tbDpT10_ENKUlT_T0_E_clISt17integral_constantIbLb1EES18_EEDaS13_S14_EUlS13_E_NS1_11comp_targetILNS1_3genE9ELNS1_11target_archE1100ELNS1_3gpuE3ELNS1_3repE0EEENS1_30default_config_static_selectorELNS0_4arch9wavefront6targetE0EEEvT1_
; %bb.0:
	.section	.rodata,"a",@progbits
	.p2align	6, 0x0
	.amdhsa_kernel _ZN7rocprim17ROCPRIM_400000_NS6detail17trampoline_kernelINS0_14default_configENS1_25partition_config_selectorILNS1_17partition_subalgoE6EjNS0_10empty_typeEbEEZZNS1_14partition_implILS5_6ELb0ES3_mN6thrust23THRUST_200600_302600_NS6detail15normal_iteratorINSA_10device_ptrIjEEEEPS6_SG_NS0_5tupleIJSF_S6_EEENSH_IJSG_SG_EEES6_PlJNSB_9not_fun_tI7is_trueIjEEEEEE10hipError_tPvRmT3_T4_T5_T6_T7_T9_mT8_P12ihipStream_tbDpT10_ENKUlT_T0_E_clISt17integral_constantIbLb1EES18_EEDaS13_S14_EUlS13_E_NS1_11comp_targetILNS1_3genE9ELNS1_11target_archE1100ELNS1_3gpuE3ELNS1_3repE0EEENS1_30default_config_static_selectorELNS0_4arch9wavefront6targetE0EEEvT1_
		.amdhsa_group_segment_fixed_size 0
		.amdhsa_private_segment_fixed_size 0
		.amdhsa_kernarg_size 128
		.amdhsa_user_sgpr_count 2
		.amdhsa_user_sgpr_dispatch_ptr 0
		.amdhsa_user_sgpr_queue_ptr 0
		.amdhsa_user_sgpr_kernarg_segment_ptr 1
		.amdhsa_user_sgpr_dispatch_id 0
		.amdhsa_user_sgpr_private_segment_size 0
		.amdhsa_wavefront_size32 1
		.amdhsa_uses_dynamic_stack 0
		.amdhsa_enable_private_segment 0
		.amdhsa_system_sgpr_workgroup_id_x 1
		.amdhsa_system_sgpr_workgroup_id_y 0
		.amdhsa_system_sgpr_workgroup_id_z 0
		.amdhsa_system_sgpr_workgroup_info 0
		.amdhsa_system_vgpr_workitem_id 0
		.amdhsa_next_free_vgpr 1
		.amdhsa_next_free_sgpr 1
		.amdhsa_reserve_vcc 0
		.amdhsa_float_round_mode_32 0
		.amdhsa_float_round_mode_16_64 0
		.amdhsa_float_denorm_mode_32 3
		.amdhsa_float_denorm_mode_16_64 3
		.amdhsa_fp16_overflow 0
		.amdhsa_workgroup_processor_mode 1
		.amdhsa_memory_ordered 1
		.amdhsa_forward_progress 1
		.amdhsa_inst_pref_size 0
		.amdhsa_round_robin_scheduling 0
		.amdhsa_exception_fp_ieee_invalid_op 0
		.amdhsa_exception_fp_denorm_src 0
		.amdhsa_exception_fp_ieee_div_zero 0
		.amdhsa_exception_fp_ieee_overflow 0
		.amdhsa_exception_fp_ieee_underflow 0
		.amdhsa_exception_fp_ieee_inexact 0
		.amdhsa_exception_int_div_zero 0
	.end_amdhsa_kernel
	.section	.text._ZN7rocprim17ROCPRIM_400000_NS6detail17trampoline_kernelINS0_14default_configENS1_25partition_config_selectorILNS1_17partition_subalgoE6EjNS0_10empty_typeEbEEZZNS1_14partition_implILS5_6ELb0ES3_mN6thrust23THRUST_200600_302600_NS6detail15normal_iteratorINSA_10device_ptrIjEEEEPS6_SG_NS0_5tupleIJSF_S6_EEENSH_IJSG_SG_EEES6_PlJNSB_9not_fun_tI7is_trueIjEEEEEE10hipError_tPvRmT3_T4_T5_T6_T7_T9_mT8_P12ihipStream_tbDpT10_ENKUlT_T0_E_clISt17integral_constantIbLb1EES18_EEDaS13_S14_EUlS13_E_NS1_11comp_targetILNS1_3genE9ELNS1_11target_archE1100ELNS1_3gpuE3ELNS1_3repE0EEENS1_30default_config_static_selectorELNS0_4arch9wavefront6targetE0EEEvT1_,"axG",@progbits,_ZN7rocprim17ROCPRIM_400000_NS6detail17trampoline_kernelINS0_14default_configENS1_25partition_config_selectorILNS1_17partition_subalgoE6EjNS0_10empty_typeEbEEZZNS1_14partition_implILS5_6ELb0ES3_mN6thrust23THRUST_200600_302600_NS6detail15normal_iteratorINSA_10device_ptrIjEEEEPS6_SG_NS0_5tupleIJSF_S6_EEENSH_IJSG_SG_EEES6_PlJNSB_9not_fun_tI7is_trueIjEEEEEE10hipError_tPvRmT3_T4_T5_T6_T7_T9_mT8_P12ihipStream_tbDpT10_ENKUlT_T0_E_clISt17integral_constantIbLb1EES18_EEDaS13_S14_EUlS13_E_NS1_11comp_targetILNS1_3genE9ELNS1_11target_archE1100ELNS1_3gpuE3ELNS1_3repE0EEENS1_30default_config_static_selectorELNS0_4arch9wavefront6targetE0EEEvT1_,comdat
.Lfunc_end1155:
	.size	_ZN7rocprim17ROCPRIM_400000_NS6detail17trampoline_kernelINS0_14default_configENS1_25partition_config_selectorILNS1_17partition_subalgoE6EjNS0_10empty_typeEbEEZZNS1_14partition_implILS5_6ELb0ES3_mN6thrust23THRUST_200600_302600_NS6detail15normal_iteratorINSA_10device_ptrIjEEEEPS6_SG_NS0_5tupleIJSF_S6_EEENSH_IJSG_SG_EEES6_PlJNSB_9not_fun_tI7is_trueIjEEEEEE10hipError_tPvRmT3_T4_T5_T6_T7_T9_mT8_P12ihipStream_tbDpT10_ENKUlT_T0_E_clISt17integral_constantIbLb1EES18_EEDaS13_S14_EUlS13_E_NS1_11comp_targetILNS1_3genE9ELNS1_11target_archE1100ELNS1_3gpuE3ELNS1_3repE0EEENS1_30default_config_static_selectorELNS0_4arch9wavefront6targetE0EEEvT1_, .Lfunc_end1155-_ZN7rocprim17ROCPRIM_400000_NS6detail17trampoline_kernelINS0_14default_configENS1_25partition_config_selectorILNS1_17partition_subalgoE6EjNS0_10empty_typeEbEEZZNS1_14partition_implILS5_6ELb0ES3_mN6thrust23THRUST_200600_302600_NS6detail15normal_iteratorINSA_10device_ptrIjEEEEPS6_SG_NS0_5tupleIJSF_S6_EEENSH_IJSG_SG_EEES6_PlJNSB_9not_fun_tI7is_trueIjEEEEEE10hipError_tPvRmT3_T4_T5_T6_T7_T9_mT8_P12ihipStream_tbDpT10_ENKUlT_T0_E_clISt17integral_constantIbLb1EES18_EEDaS13_S14_EUlS13_E_NS1_11comp_targetILNS1_3genE9ELNS1_11target_archE1100ELNS1_3gpuE3ELNS1_3repE0EEENS1_30default_config_static_selectorELNS0_4arch9wavefront6targetE0EEEvT1_
                                        ; -- End function
	.set _ZN7rocprim17ROCPRIM_400000_NS6detail17trampoline_kernelINS0_14default_configENS1_25partition_config_selectorILNS1_17partition_subalgoE6EjNS0_10empty_typeEbEEZZNS1_14partition_implILS5_6ELb0ES3_mN6thrust23THRUST_200600_302600_NS6detail15normal_iteratorINSA_10device_ptrIjEEEEPS6_SG_NS0_5tupleIJSF_S6_EEENSH_IJSG_SG_EEES6_PlJNSB_9not_fun_tI7is_trueIjEEEEEE10hipError_tPvRmT3_T4_T5_T6_T7_T9_mT8_P12ihipStream_tbDpT10_ENKUlT_T0_E_clISt17integral_constantIbLb1EES18_EEDaS13_S14_EUlS13_E_NS1_11comp_targetILNS1_3genE9ELNS1_11target_archE1100ELNS1_3gpuE3ELNS1_3repE0EEENS1_30default_config_static_selectorELNS0_4arch9wavefront6targetE0EEEvT1_.num_vgpr, 0
	.set _ZN7rocprim17ROCPRIM_400000_NS6detail17trampoline_kernelINS0_14default_configENS1_25partition_config_selectorILNS1_17partition_subalgoE6EjNS0_10empty_typeEbEEZZNS1_14partition_implILS5_6ELb0ES3_mN6thrust23THRUST_200600_302600_NS6detail15normal_iteratorINSA_10device_ptrIjEEEEPS6_SG_NS0_5tupleIJSF_S6_EEENSH_IJSG_SG_EEES6_PlJNSB_9not_fun_tI7is_trueIjEEEEEE10hipError_tPvRmT3_T4_T5_T6_T7_T9_mT8_P12ihipStream_tbDpT10_ENKUlT_T0_E_clISt17integral_constantIbLb1EES18_EEDaS13_S14_EUlS13_E_NS1_11comp_targetILNS1_3genE9ELNS1_11target_archE1100ELNS1_3gpuE3ELNS1_3repE0EEENS1_30default_config_static_selectorELNS0_4arch9wavefront6targetE0EEEvT1_.num_agpr, 0
	.set _ZN7rocprim17ROCPRIM_400000_NS6detail17trampoline_kernelINS0_14default_configENS1_25partition_config_selectorILNS1_17partition_subalgoE6EjNS0_10empty_typeEbEEZZNS1_14partition_implILS5_6ELb0ES3_mN6thrust23THRUST_200600_302600_NS6detail15normal_iteratorINSA_10device_ptrIjEEEEPS6_SG_NS0_5tupleIJSF_S6_EEENSH_IJSG_SG_EEES6_PlJNSB_9not_fun_tI7is_trueIjEEEEEE10hipError_tPvRmT3_T4_T5_T6_T7_T9_mT8_P12ihipStream_tbDpT10_ENKUlT_T0_E_clISt17integral_constantIbLb1EES18_EEDaS13_S14_EUlS13_E_NS1_11comp_targetILNS1_3genE9ELNS1_11target_archE1100ELNS1_3gpuE3ELNS1_3repE0EEENS1_30default_config_static_selectorELNS0_4arch9wavefront6targetE0EEEvT1_.numbered_sgpr, 0
	.set _ZN7rocprim17ROCPRIM_400000_NS6detail17trampoline_kernelINS0_14default_configENS1_25partition_config_selectorILNS1_17partition_subalgoE6EjNS0_10empty_typeEbEEZZNS1_14partition_implILS5_6ELb0ES3_mN6thrust23THRUST_200600_302600_NS6detail15normal_iteratorINSA_10device_ptrIjEEEEPS6_SG_NS0_5tupleIJSF_S6_EEENSH_IJSG_SG_EEES6_PlJNSB_9not_fun_tI7is_trueIjEEEEEE10hipError_tPvRmT3_T4_T5_T6_T7_T9_mT8_P12ihipStream_tbDpT10_ENKUlT_T0_E_clISt17integral_constantIbLb1EES18_EEDaS13_S14_EUlS13_E_NS1_11comp_targetILNS1_3genE9ELNS1_11target_archE1100ELNS1_3gpuE3ELNS1_3repE0EEENS1_30default_config_static_selectorELNS0_4arch9wavefront6targetE0EEEvT1_.num_named_barrier, 0
	.set _ZN7rocprim17ROCPRIM_400000_NS6detail17trampoline_kernelINS0_14default_configENS1_25partition_config_selectorILNS1_17partition_subalgoE6EjNS0_10empty_typeEbEEZZNS1_14partition_implILS5_6ELb0ES3_mN6thrust23THRUST_200600_302600_NS6detail15normal_iteratorINSA_10device_ptrIjEEEEPS6_SG_NS0_5tupleIJSF_S6_EEENSH_IJSG_SG_EEES6_PlJNSB_9not_fun_tI7is_trueIjEEEEEE10hipError_tPvRmT3_T4_T5_T6_T7_T9_mT8_P12ihipStream_tbDpT10_ENKUlT_T0_E_clISt17integral_constantIbLb1EES18_EEDaS13_S14_EUlS13_E_NS1_11comp_targetILNS1_3genE9ELNS1_11target_archE1100ELNS1_3gpuE3ELNS1_3repE0EEENS1_30default_config_static_selectorELNS0_4arch9wavefront6targetE0EEEvT1_.private_seg_size, 0
	.set _ZN7rocprim17ROCPRIM_400000_NS6detail17trampoline_kernelINS0_14default_configENS1_25partition_config_selectorILNS1_17partition_subalgoE6EjNS0_10empty_typeEbEEZZNS1_14partition_implILS5_6ELb0ES3_mN6thrust23THRUST_200600_302600_NS6detail15normal_iteratorINSA_10device_ptrIjEEEEPS6_SG_NS0_5tupleIJSF_S6_EEENSH_IJSG_SG_EEES6_PlJNSB_9not_fun_tI7is_trueIjEEEEEE10hipError_tPvRmT3_T4_T5_T6_T7_T9_mT8_P12ihipStream_tbDpT10_ENKUlT_T0_E_clISt17integral_constantIbLb1EES18_EEDaS13_S14_EUlS13_E_NS1_11comp_targetILNS1_3genE9ELNS1_11target_archE1100ELNS1_3gpuE3ELNS1_3repE0EEENS1_30default_config_static_selectorELNS0_4arch9wavefront6targetE0EEEvT1_.uses_vcc, 0
	.set _ZN7rocprim17ROCPRIM_400000_NS6detail17trampoline_kernelINS0_14default_configENS1_25partition_config_selectorILNS1_17partition_subalgoE6EjNS0_10empty_typeEbEEZZNS1_14partition_implILS5_6ELb0ES3_mN6thrust23THRUST_200600_302600_NS6detail15normal_iteratorINSA_10device_ptrIjEEEEPS6_SG_NS0_5tupleIJSF_S6_EEENSH_IJSG_SG_EEES6_PlJNSB_9not_fun_tI7is_trueIjEEEEEE10hipError_tPvRmT3_T4_T5_T6_T7_T9_mT8_P12ihipStream_tbDpT10_ENKUlT_T0_E_clISt17integral_constantIbLb1EES18_EEDaS13_S14_EUlS13_E_NS1_11comp_targetILNS1_3genE9ELNS1_11target_archE1100ELNS1_3gpuE3ELNS1_3repE0EEENS1_30default_config_static_selectorELNS0_4arch9wavefront6targetE0EEEvT1_.uses_flat_scratch, 0
	.set _ZN7rocprim17ROCPRIM_400000_NS6detail17trampoline_kernelINS0_14default_configENS1_25partition_config_selectorILNS1_17partition_subalgoE6EjNS0_10empty_typeEbEEZZNS1_14partition_implILS5_6ELb0ES3_mN6thrust23THRUST_200600_302600_NS6detail15normal_iteratorINSA_10device_ptrIjEEEEPS6_SG_NS0_5tupleIJSF_S6_EEENSH_IJSG_SG_EEES6_PlJNSB_9not_fun_tI7is_trueIjEEEEEE10hipError_tPvRmT3_T4_T5_T6_T7_T9_mT8_P12ihipStream_tbDpT10_ENKUlT_T0_E_clISt17integral_constantIbLb1EES18_EEDaS13_S14_EUlS13_E_NS1_11comp_targetILNS1_3genE9ELNS1_11target_archE1100ELNS1_3gpuE3ELNS1_3repE0EEENS1_30default_config_static_selectorELNS0_4arch9wavefront6targetE0EEEvT1_.has_dyn_sized_stack, 0
	.set _ZN7rocprim17ROCPRIM_400000_NS6detail17trampoline_kernelINS0_14default_configENS1_25partition_config_selectorILNS1_17partition_subalgoE6EjNS0_10empty_typeEbEEZZNS1_14partition_implILS5_6ELb0ES3_mN6thrust23THRUST_200600_302600_NS6detail15normal_iteratorINSA_10device_ptrIjEEEEPS6_SG_NS0_5tupleIJSF_S6_EEENSH_IJSG_SG_EEES6_PlJNSB_9not_fun_tI7is_trueIjEEEEEE10hipError_tPvRmT3_T4_T5_T6_T7_T9_mT8_P12ihipStream_tbDpT10_ENKUlT_T0_E_clISt17integral_constantIbLb1EES18_EEDaS13_S14_EUlS13_E_NS1_11comp_targetILNS1_3genE9ELNS1_11target_archE1100ELNS1_3gpuE3ELNS1_3repE0EEENS1_30default_config_static_selectorELNS0_4arch9wavefront6targetE0EEEvT1_.has_recursion, 0
	.set _ZN7rocprim17ROCPRIM_400000_NS6detail17trampoline_kernelINS0_14default_configENS1_25partition_config_selectorILNS1_17partition_subalgoE6EjNS0_10empty_typeEbEEZZNS1_14partition_implILS5_6ELb0ES3_mN6thrust23THRUST_200600_302600_NS6detail15normal_iteratorINSA_10device_ptrIjEEEEPS6_SG_NS0_5tupleIJSF_S6_EEENSH_IJSG_SG_EEES6_PlJNSB_9not_fun_tI7is_trueIjEEEEEE10hipError_tPvRmT3_T4_T5_T6_T7_T9_mT8_P12ihipStream_tbDpT10_ENKUlT_T0_E_clISt17integral_constantIbLb1EES18_EEDaS13_S14_EUlS13_E_NS1_11comp_targetILNS1_3genE9ELNS1_11target_archE1100ELNS1_3gpuE3ELNS1_3repE0EEENS1_30default_config_static_selectorELNS0_4arch9wavefront6targetE0EEEvT1_.has_indirect_call, 0
	.section	.AMDGPU.csdata,"",@progbits
; Kernel info:
; codeLenInByte = 0
; TotalNumSgprs: 0
; NumVgprs: 0
; ScratchSize: 0
; MemoryBound: 0
; FloatMode: 240
; IeeeMode: 1
; LDSByteSize: 0 bytes/workgroup (compile time only)
; SGPRBlocks: 0
; VGPRBlocks: 0
; NumSGPRsForWavesPerEU: 1
; NumVGPRsForWavesPerEU: 1
; Occupancy: 16
; WaveLimiterHint : 0
; COMPUTE_PGM_RSRC2:SCRATCH_EN: 0
; COMPUTE_PGM_RSRC2:USER_SGPR: 2
; COMPUTE_PGM_RSRC2:TRAP_HANDLER: 0
; COMPUTE_PGM_RSRC2:TGID_X_EN: 1
; COMPUTE_PGM_RSRC2:TGID_Y_EN: 0
; COMPUTE_PGM_RSRC2:TGID_Z_EN: 0
; COMPUTE_PGM_RSRC2:TIDIG_COMP_CNT: 0
	.section	.text._ZN7rocprim17ROCPRIM_400000_NS6detail17trampoline_kernelINS0_14default_configENS1_25partition_config_selectorILNS1_17partition_subalgoE6EjNS0_10empty_typeEbEEZZNS1_14partition_implILS5_6ELb0ES3_mN6thrust23THRUST_200600_302600_NS6detail15normal_iteratorINSA_10device_ptrIjEEEEPS6_SG_NS0_5tupleIJSF_S6_EEENSH_IJSG_SG_EEES6_PlJNSB_9not_fun_tI7is_trueIjEEEEEE10hipError_tPvRmT3_T4_T5_T6_T7_T9_mT8_P12ihipStream_tbDpT10_ENKUlT_T0_E_clISt17integral_constantIbLb1EES18_EEDaS13_S14_EUlS13_E_NS1_11comp_targetILNS1_3genE8ELNS1_11target_archE1030ELNS1_3gpuE2ELNS1_3repE0EEENS1_30default_config_static_selectorELNS0_4arch9wavefront6targetE0EEEvT1_,"axG",@progbits,_ZN7rocprim17ROCPRIM_400000_NS6detail17trampoline_kernelINS0_14default_configENS1_25partition_config_selectorILNS1_17partition_subalgoE6EjNS0_10empty_typeEbEEZZNS1_14partition_implILS5_6ELb0ES3_mN6thrust23THRUST_200600_302600_NS6detail15normal_iteratorINSA_10device_ptrIjEEEEPS6_SG_NS0_5tupleIJSF_S6_EEENSH_IJSG_SG_EEES6_PlJNSB_9not_fun_tI7is_trueIjEEEEEE10hipError_tPvRmT3_T4_T5_T6_T7_T9_mT8_P12ihipStream_tbDpT10_ENKUlT_T0_E_clISt17integral_constantIbLb1EES18_EEDaS13_S14_EUlS13_E_NS1_11comp_targetILNS1_3genE8ELNS1_11target_archE1030ELNS1_3gpuE2ELNS1_3repE0EEENS1_30default_config_static_selectorELNS0_4arch9wavefront6targetE0EEEvT1_,comdat
	.protected	_ZN7rocprim17ROCPRIM_400000_NS6detail17trampoline_kernelINS0_14default_configENS1_25partition_config_selectorILNS1_17partition_subalgoE6EjNS0_10empty_typeEbEEZZNS1_14partition_implILS5_6ELb0ES3_mN6thrust23THRUST_200600_302600_NS6detail15normal_iteratorINSA_10device_ptrIjEEEEPS6_SG_NS0_5tupleIJSF_S6_EEENSH_IJSG_SG_EEES6_PlJNSB_9not_fun_tI7is_trueIjEEEEEE10hipError_tPvRmT3_T4_T5_T6_T7_T9_mT8_P12ihipStream_tbDpT10_ENKUlT_T0_E_clISt17integral_constantIbLb1EES18_EEDaS13_S14_EUlS13_E_NS1_11comp_targetILNS1_3genE8ELNS1_11target_archE1030ELNS1_3gpuE2ELNS1_3repE0EEENS1_30default_config_static_selectorELNS0_4arch9wavefront6targetE0EEEvT1_ ; -- Begin function _ZN7rocprim17ROCPRIM_400000_NS6detail17trampoline_kernelINS0_14default_configENS1_25partition_config_selectorILNS1_17partition_subalgoE6EjNS0_10empty_typeEbEEZZNS1_14partition_implILS5_6ELb0ES3_mN6thrust23THRUST_200600_302600_NS6detail15normal_iteratorINSA_10device_ptrIjEEEEPS6_SG_NS0_5tupleIJSF_S6_EEENSH_IJSG_SG_EEES6_PlJNSB_9not_fun_tI7is_trueIjEEEEEE10hipError_tPvRmT3_T4_T5_T6_T7_T9_mT8_P12ihipStream_tbDpT10_ENKUlT_T0_E_clISt17integral_constantIbLb1EES18_EEDaS13_S14_EUlS13_E_NS1_11comp_targetILNS1_3genE8ELNS1_11target_archE1030ELNS1_3gpuE2ELNS1_3repE0EEENS1_30default_config_static_selectorELNS0_4arch9wavefront6targetE0EEEvT1_
	.globl	_ZN7rocprim17ROCPRIM_400000_NS6detail17trampoline_kernelINS0_14default_configENS1_25partition_config_selectorILNS1_17partition_subalgoE6EjNS0_10empty_typeEbEEZZNS1_14partition_implILS5_6ELb0ES3_mN6thrust23THRUST_200600_302600_NS6detail15normal_iteratorINSA_10device_ptrIjEEEEPS6_SG_NS0_5tupleIJSF_S6_EEENSH_IJSG_SG_EEES6_PlJNSB_9not_fun_tI7is_trueIjEEEEEE10hipError_tPvRmT3_T4_T5_T6_T7_T9_mT8_P12ihipStream_tbDpT10_ENKUlT_T0_E_clISt17integral_constantIbLb1EES18_EEDaS13_S14_EUlS13_E_NS1_11comp_targetILNS1_3genE8ELNS1_11target_archE1030ELNS1_3gpuE2ELNS1_3repE0EEENS1_30default_config_static_selectorELNS0_4arch9wavefront6targetE0EEEvT1_
	.p2align	8
	.type	_ZN7rocprim17ROCPRIM_400000_NS6detail17trampoline_kernelINS0_14default_configENS1_25partition_config_selectorILNS1_17partition_subalgoE6EjNS0_10empty_typeEbEEZZNS1_14partition_implILS5_6ELb0ES3_mN6thrust23THRUST_200600_302600_NS6detail15normal_iteratorINSA_10device_ptrIjEEEEPS6_SG_NS0_5tupleIJSF_S6_EEENSH_IJSG_SG_EEES6_PlJNSB_9not_fun_tI7is_trueIjEEEEEE10hipError_tPvRmT3_T4_T5_T6_T7_T9_mT8_P12ihipStream_tbDpT10_ENKUlT_T0_E_clISt17integral_constantIbLb1EES18_EEDaS13_S14_EUlS13_E_NS1_11comp_targetILNS1_3genE8ELNS1_11target_archE1030ELNS1_3gpuE2ELNS1_3repE0EEENS1_30default_config_static_selectorELNS0_4arch9wavefront6targetE0EEEvT1_,@function
_ZN7rocprim17ROCPRIM_400000_NS6detail17trampoline_kernelINS0_14default_configENS1_25partition_config_selectorILNS1_17partition_subalgoE6EjNS0_10empty_typeEbEEZZNS1_14partition_implILS5_6ELb0ES3_mN6thrust23THRUST_200600_302600_NS6detail15normal_iteratorINSA_10device_ptrIjEEEEPS6_SG_NS0_5tupleIJSF_S6_EEENSH_IJSG_SG_EEES6_PlJNSB_9not_fun_tI7is_trueIjEEEEEE10hipError_tPvRmT3_T4_T5_T6_T7_T9_mT8_P12ihipStream_tbDpT10_ENKUlT_T0_E_clISt17integral_constantIbLb1EES18_EEDaS13_S14_EUlS13_E_NS1_11comp_targetILNS1_3genE8ELNS1_11target_archE1030ELNS1_3gpuE2ELNS1_3repE0EEENS1_30default_config_static_selectorELNS0_4arch9wavefront6targetE0EEEvT1_: ; @_ZN7rocprim17ROCPRIM_400000_NS6detail17trampoline_kernelINS0_14default_configENS1_25partition_config_selectorILNS1_17partition_subalgoE6EjNS0_10empty_typeEbEEZZNS1_14partition_implILS5_6ELb0ES3_mN6thrust23THRUST_200600_302600_NS6detail15normal_iteratorINSA_10device_ptrIjEEEEPS6_SG_NS0_5tupleIJSF_S6_EEENSH_IJSG_SG_EEES6_PlJNSB_9not_fun_tI7is_trueIjEEEEEE10hipError_tPvRmT3_T4_T5_T6_T7_T9_mT8_P12ihipStream_tbDpT10_ENKUlT_T0_E_clISt17integral_constantIbLb1EES18_EEDaS13_S14_EUlS13_E_NS1_11comp_targetILNS1_3genE8ELNS1_11target_archE1030ELNS1_3gpuE2ELNS1_3repE0EEENS1_30default_config_static_selectorELNS0_4arch9wavefront6targetE0EEEvT1_
; %bb.0:
	.section	.rodata,"a",@progbits
	.p2align	6, 0x0
	.amdhsa_kernel _ZN7rocprim17ROCPRIM_400000_NS6detail17trampoline_kernelINS0_14default_configENS1_25partition_config_selectorILNS1_17partition_subalgoE6EjNS0_10empty_typeEbEEZZNS1_14partition_implILS5_6ELb0ES3_mN6thrust23THRUST_200600_302600_NS6detail15normal_iteratorINSA_10device_ptrIjEEEEPS6_SG_NS0_5tupleIJSF_S6_EEENSH_IJSG_SG_EEES6_PlJNSB_9not_fun_tI7is_trueIjEEEEEE10hipError_tPvRmT3_T4_T5_T6_T7_T9_mT8_P12ihipStream_tbDpT10_ENKUlT_T0_E_clISt17integral_constantIbLb1EES18_EEDaS13_S14_EUlS13_E_NS1_11comp_targetILNS1_3genE8ELNS1_11target_archE1030ELNS1_3gpuE2ELNS1_3repE0EEENS1_30default_config_static_selectorELNS0_4arch9wavefront6targetE0EEEvT1_
		.amdhsa_group_segment_fixed_size 0
		.amdhsa_private_segment_fixed_size 0
		.amdhsa_kernarg_size 128
		.amdhsa_user_sgpr_count 2
		.amdhsa_user_sgpr_dispatch_ptr 0
		.amdhsa_user_sgpr_queue_ptr 0
		.amdhsa_user_sgpr_kernarg_segment_ptr 1
		.amdhsa_user_sgpr_dispatch_id 0
		.amdhsa_user_sgpr_private_segment_size 0
		.amdhsa_wavefront_size32 1
		.amdhsa_uses_dynamic_stack 0
		.amdhsa_enable_private_segment 0
		.amdhsa_system_sgpr_workgroup_id_x 1
		.amdhsa_system_sgpr_workgroup_id_y 0
		.amdhsa_system_sgpr_workgroup_id_z 0
		.amdhsa_system_sgpr_workgroup_info 0
		.amdhsa_system_vgpr_workitem_id 0
		.amdhsa_next_free_vgpr 1
		.amdhsa_next_free_sgpr 1
		.amdhsa_reserve_vcc 0
		.amdhsa_float_round_mode_32 0
		.amdhsa_float_round_mode_16_64 0
		.amdhsa_float_denorm_mode_32 3
		.amdhsa_float_denorm_mode_16_64 3
		.amdhsa_fp16_overflow 0
		.amdhsa_workgroup_processor_mode 1
		.amdhsa_memory_ordered 1
		.amdhsa_forward_progress 1
		.amdhsa_inst_pref_size 0
		.amdhsa_round_robin_scheduling 0
		.amdhsa_exception_fp_ieee_invalid_op 0
		.amdhsa_exception_fp_denorm_src 0
		.amdhsa_exception_fp_ieee_div_zero 0
		.amdhsa_exception_fp_ieee_overflow 0
		.amdhsa_exception_fp_ieee_underflow 0
		.amdhsa_exception_fp_ieee_inexact 0
		.amdhsa_exception_int_div_zero 0
	.end_amdhsa_kernel
	.section	.text._ZN7rocprim17ROCPRIM_400000_NS6detail17trampoline_kernelINS0_14default_configENS1_25partition_config_selectorILNS1_17partition_subalgoE6EjNS0_10empty_typeEbEEZZNS1_14partition_implILS5_6ELb0ES3_mN6thrust23THRUST_200600_302600_NS6detail15normal_iteratorINSA_10device_ptrIjEEEEPS6_SG_NS0_5tupleIJSF_S6_EEENSH_IJSG_SG_EEES6_PlJNSB_9not_fun_tI7is_trueIjEEEEEE10hipError_tPvRmT3_T4_T5_T6_T7_T9_mT8_P12ihipStream_tbDpT10_ENKUlT_T0_E_clISt17integral_constantIbLb1EES18_EEDaS13_S14_EUlS13_E_NS1_11comp_targetILNS1_3genE8ELNS1_11target_archE1030ELNS1_3gpuE2ELNS1_3repE0EEENS1_30default_config_static_selectorELNS0_4arch9wavefront6targetE0EEEvT1_,"axG",@progbits,_ZN7rocprim17ROCPRIM_400000_NS6detail17trampoline_kernelINS0_14default_configENS1_25partition_config_selectorILNS1_17partition_subalgoE6EjNS0_10empty_typeEbEEZZNS1_14partition_implILS5_6ELb0ES3_mN6thrust23THRUST_200600_302600_NS6detail15normal_iteratorINSA_10device_ptrIjEEEEPS6_SG_NS0_5tupleIJSF_S6_EEENSH_IJSG_SG_EEES6_PlJNSB_9not_fun_tI7is_trueIjEEEEEE10hipError_tPvRmT3_T4_T5_T6_T7_T9_mT8_P12ihipStream_tbDpT10_ENKUlT_T0_E_clISt17integral_constantIbLb1EES18_EEDaS13_S14_EUlS13_E_NS1_11comp_targetILNS1_3genE8ELNS1_11target_archE1030ELNS1_3gpuE2ELNS1_3repE0EEENS1_30default_config_static_selectorELNS0_4arch9wavefront6targetE0EEEvT1_,comdat
.Lfunc_end1156:
	.size	_ZN7rocprim17ROCPRIM_400000_NS6detail17trampoline_kernelINS0_14default_configENS1_25partition_config_selectorILNS1_17partition_subalgoE6EjNS0_10empty_typeEbEEZZNS1_14partition_implILS5_6ELb0ES3_mN6thrust23THRUST_200600_302600_NS6detail15normal_iteratorINSA_10device_ptrIjEEEEPS6_SG_NS0_5tupleIJSF_S6_EEENSH_IJSG_SG_EEES6_PlJNSB_9not_fun_tI7is_trueIjEEEEEE10hipError_tPvRmT3_T4_T5_T6_T7_T9_mT8_P12ihipStream_tbDpT10_ENKUlT_T0_E_clISt17integral_constantIbLb1EES18_EEDaS13_S14_EUlS13_E_NS1_11comp_targetILNS1_3genE8ELNS1_11target_archE1030ELNS1_3gpuE2ELNS1_3repE0EEENS1_30default_config_static_selectorELNS0_4arch9wavefront6targetE0EEEvT1_, .Lfunc_end1156-_ZN7rocprim17ROCPRIM_400000_NS6detail17trampoline_kernelINS0_14default_configENS1_25partition_config_selectorILNS1_17partition_subalgoE6EjNS0_10empty_typeEbEEZZNS1_14partition_implILS5_6ELb0ES3_mN6thrust23THRUST_200600_302600_NS6detail15normal_iteratorINSA_10device_ptrIjEEEEPS6_SG_NS0_5tupleIJSF_S6_EEENSH_IJSG_SG_EEES6_PlJNSB_9not_fun_tI7is_trueIjEEEEEE10hipError_tPvRmT3_T4_T5_T6_T7_T9_mT8_P12ihipStream_tbDpT10_ENKUlT_T0_E_clISt17integral_constantIbLb1EES18_EEDaS13_S14_EUlS13_E_NS1_11comp_targetILNS1_3genE8ELNS1_11target_archE1030ELNS1_3gpuE2ELNS1_3repE0EEENS1_30default_config_static_selectorELNS0_4arch9wavefront6targetE0EEEvT1_
                                        ; -- End function
	.set _ZN7rocprim17ROCPRIM_400000_NS6detail17trampoline_kernelINS0_14default_configENS1_25partition_config_selectorILNS1_17partition_subalgoE6EjNS0_10empty_typeEbEEZZNS1_14partition_implILS5_6ELb0ES3_mN6thrust23THRUST_200600_302600_NS6detail15normal_iteratorINSA_10device_ptrIjEEEEPS6_SG_NS0_5tupleIJSF_S6_EEENSH_IJSG_SG_EEES6_PlJNSB_9not_fun_tI7is_trueIjEEEEEE10hipError_tPvRmT3_T4_T5_T6_T7_T9_mT8_P12ihipStream_tbDpT10_ENKUlT_T0_E_clISt17integral_constantIbLb1EES18_EEDaS13_S14_EUlS13_E_NS1_11comp_targetILNS1_3genE8ELNS1_11target_archE1030ELNS1_3gpuE2ELNS1_3repE0EEENS1_30default_config_static_selectorELNS0_4arch9wavefront6targetE0EEEvT1_.num_vgpr, 0
	.set _ZN7rocprim17ROCPRIM_400000_NS6detail17trampoline_kernelINS0_14default_configENS1_25partition_config_selectorILNS1_17partition_subalgoE6EjNS0_10empty_typeEbEEZZNS1_14partition_implILS5_6ELb0ES3_mN6thrust23THRUST_200600_302600_NS6detail15normal_iteratorINSA_10device_ptrIjEEEEPS6_SG_NS0_5tupleIJSF_S6_EEENSH_IJSG_SG_EEES6_PlJNSB_9not_fun_tI7is_trueIjEEEEEE10hipError_tPvRmT3_T4_T5_T6_T7_T9_mT8_P12ihipStream_tbDpT10_ENKUlT_T0_E_clISt17integral_constantIbLb1EES18_EEDaS13_S14_EUlS13_E_NS1_11comp_targetILNS1_3genE8ELNS1_11target_archE1030ELNS1_3gpuE2ELNS1_3repE0EEENS1_30default_config_static_selectorELNS0_4arch9wavefront6targetE0EEEvT1_.num_agpr, 0
	.set _ZN7rocprim17ROCPRIM_400000_NS6detail17trampoline_kernelINS0_14default_configENS1_25partition_config_selectorILNS1_17partition_subalgoE6EjNS0_10empty_typeEbEEZZNS1_14partition_implILS5_6ELb0ES3_mN6thrust23THRUST_200600_302600_NS6detail15normal_iteratorINSA_10device_ptrIjEEEEPS6_SG_NS0_5tupleIJSF_S6_EEENSH_IJSG_SG_EEES6_PlJNSB_9not_fun_tI7is_trueIjEEEEEE10hipError_tPvRmT3_T4_T5_T6_T7_T9_mT8_P12ihipStream_tbDpT10_ENKUlT_T0_E_clISt17integral_constantIbLb1EES18_EEDaS13_S14_EUlS13_E_NS1_11comp_targetILNS1_3genE8ELNS1_11target_archE1030ELNS1_3gpuE2ELNS1_3repE0EEENS1_30default_config_static_selectorELNS0_4arch9wavefront6targetE0EEEvT1_.numbered_sgpr, 0
	.set _ZN7rocprim17ROCPRIM_400000_NS6detail17trampoline_kernelINS0_14default_configENS1_25partition_config_selectorILNS1_17partition_subalgoE6EjNS0_10empty_typeEbEEZZNS1_14partition_implILS5_6ELb0ES3_mN6thrust23THRUST_200600_302600_NS6detail15normal_iteratorINSA_10device_ptrIjEEEEPS6_SG_NS0_5tupleIJSF_S6_EEENSH_IJSG_SG_EEES6_PlJNSB_9not_fun_tI7is_trueIjEEEEEE10hipError_tPvRmT3_T4_T5_T6_T7_T9_mT8_P12ihipStream_tbDpT10_ENKUlT_T0_E_clISt17integral_constantIbLb1EES18_EEDaS13_S14_EUlS13_E_NS1_11comp_targetILNS1_3genE8ELNS1_11target_archE1030ELNS1_3gpuE2ELNS1_3repE0EEENS1_30default_config_static_selectorELNS0_4arch9wavefront6targetE0EEEvT1_.num_named_barrier, 0
	.set _ZN7rocprim17ROCPRIM_400000_NS6detail17trampoline_kernelINS0_14default_configENS1_25partition_config_selectorILNS1_17partition_subalgoE6EjNS0_10empty_typeEbEEZZNS1_14partition_implILS5_6ELb0ES3_mN6thrust23THRUST_200600_302600_NS6detail15normal_iteratorINSA_10device_ptrIjEEEEPS6_SG_NS0_5tupleIJSF_S6_EEENSH_IJSG_SG_EEES6_PlJNSB_9not_fun_tI7is_trueIjEEEEEE10hipError_tPvRmT3_T4_T5_T6_T7_T9_mT8_P12ihipStream_tbDpT10_ENKUlT_T0_E_clISt17integral_constantIbLb1EES18_EEDaS13_S14_EUlS13_E_NS1_11comp_targetILNS1_3genE8ELNS1_11target_archE1030ELNS1_3gpuE2ELNS1_3repE0EEENS1_30default_config_static_selectorELNS0_4arch9wavefront6targetE0EEEvT1_.private_seg_size, 0
	.set _ZN7rocprim17ROCPRIM_400000_NS6detail17trampoline_kernelINS0_14default_configENS1_25partition_config_selectorILNS1_17partition_subalgoE6EjNS0_10empty_typeEbEEZZNS1_14partition_implILS5_6ELb0ES3_mN6thrust23THRUST_200600_302600_NS6detail15normal_iteratorINSA_10device_ptrIjEEEEPS6_SG_NS0_5tupleIJSF_S6_EEENSH_IJSG_SG_EEES6_PlJNSB_9not_fun_tI7is_trueIjEEEEEE10hipError_tPvRmT3_T4_T5_T6_T7_T9_mT8_P12ihipStream_tbDpT10_ENKUlT_T0_E_clISt17integral_constantIbLb1EES18_EEDaS13_S14_EUlS13_E_NS1_11comp_targetILNS1_3genE8ELNS1_11target_archE1030ELNS1_3gpuE2ELNS1_3repE0EEENS1_30default_config_static_selectorELNS0_4arch9wavefront6targetE0EEEvT1_.uses_vcc, 0
	.set _ZN7rocprim17ROCPRIM_400000_NS6detail17trampoline_kernelINS0_14default_configENS1_25partition_config_selectorILNS1_17partition_subalgoE6EjNS0_10empty_typeEbEEZZNS1_14partition_implILS5_6ELb0ES3_mN6thrust23THRUST_200600_302600_NS6detail15normal_iteratorINSA_10device_ptrIjEEEEPS6_SG_NS0_5tupleIJSF_S6_EEENSH_IJSG_SG_EEES6_PlJNSB_9not_fun_tI7is_trueIjEEEEEE10hipError_tPvRmT3_T4_T5_T6_T7_T9_mT8_P12ihipStream_tbDpT10_ENKUlT_T0_E_clISt17integral_constantIbLb1EES18_EEDaS13_S14_EUlS13_E_NS1_11comp_targetILNS1_3genE8ELNS1_11target_archE1030ELNS1_3gpuE2ELNS1_3repE0EEENS1_30default_config_static_selectorELNS0_4arch9wavefront6targetE0EEEvT1_.uses_flat_scratch, 0
	.set _ZN7rocprim17ROCPRIM_400000_NS6detail17trampoline_kernelINS0_14default_configENS1_25partition_config_selectorILNS1_17partition_subalgoE6EjNS0_10empty_typeEbEEZZNS1_14partition_implILS5_6ELb0ES3_mN6thrust23THRUST_200600_302600_NS6detail15normal_iteratorINSA_10device_ptrIjEEEEPS6_SG_NS0_5tupleIJSF_S6_EEENSH_IJSG_SG_EEES6_PlJNSB_9not_fun_tI7is_trueIjEEEEEE10hipError_tPvRmT3_T4_T5_T6_T7_T9_mT8_P12ihipStream_tbDpT10_ENKUlT_T0_E_clISt17integral_constantIbLb1EES18_EEDaS13_S14_EUlS13_E_NS1_11comp_targetILNS1_3genE8ELNS1_11target_archE1030ELNS1_3gpuE2ELNS1_3repE0EEENS1_30default_config_static_selectorELNS0_4arch9wavefront6targetE0EEEvT1_.has_dyn_sized_stack, 0
	.set _ZN7rocprim17ROCPRIM_400000_NS6detail17trampoline_kernelINS0_14default_configENS1_25partition_config_selectorILNS1_17partition_subalgoE6EjNS0_10empty_typeEbEEZZNS1_14partition_implILS5_6ELb0ES3_mN6thrust23THRUST_200600_302600_NS6detail15normal_iteratorINSA_10device_ptrIjEEEEPS6_SG_NS0_5tupleIJSF_S6_EEENSH_IJSG_SG_EEES6_PlJNSB_9not_fun_tI7is_trueIjEEEEEE10hipError_tPvRmT3_T4_T5_T6_T7_T9_mT8_P12ihipStream_tbDpT10_ENKUlT_T0_E_clISt17integral_constantIbLb1EES18_EEDaS13_S14_EUlS13_E_NS1_11comp_targetILNS1_3genE8ELNS1_11target_archE1030ELNS1_3gpuE2ELNS1_3repE0EEENS1_30default_config_static_selectorELNS0_4arch9wavefront6targetE0EEEvT1_.has_recursion, 0
	.set _ZN7rocprim17ROCPRIM_400000_NS6detail17trampoline_kernelINS0_14default_configENS1_25partition_config_selectorILNS1_17partition_subalgoE6EjNS0_10empty_typeEbEEZZNS1_14partition_implILS5_6ELb0ES3_mN6thrust23THRUST_200600_302600_NS6detail15normal_iteratorINSA_10device_ptrIjEEEEPS6_SG_NS0_5tupleIJSF_S6_EEENSH_IJSG_SG_EEES6_PlJNSB_9not_fun_tI7is_trueIjEEEEEE10hipError_tPvRmT3_T4_T5_T6_T7_T9_mT8_P12ihipStream_tbDpT10_ENKUlT_T0_E_clISt17integral_constantIbLb1EES18_EEDaS13_S14_EUlS13_E_NS1_11comp_targetILNS1_3genE8ELNS1_11target_archE1030ELNS1_3gpuE2ELNS1_3repE0EEENS1_30default_config_static_selectorELNS0_4arch9wavefront6targetE0EEEvT1_.has_indirect_call, 0
	.section	.AMDGPU.csdata,"",@progbits
; Kernel info:
; codeLenInByte = 0
; TotalNumSgprs: 0
; NumVgprs: 0
; ScratchSize: 0
; MemoryBound: 0
; FloatMode: 240
; IeeeMode: 1
; LDSByteSize: 0 bytes/workgroup (compile time only)
; SGPRBlocks: 0
; VGPRBlocks: 0
; NumSGPRsForWavesPerEU: 1
; NumVGPRsForWavesPerEU: 1
; Occupancy: 16
; WaveLimiterHint : 0
; COMPUTE_PGM_RSRC2:SCRATCH_EN: 0
; COMPUTE_PGM_RSRC2:USER_SGPR: 2
; COMPUTE_PGM_RSRC2:TRAP_HANDLER: 0
; COMPUTE_PGM_RSRC2:TGID_X_EN: 1
; COMPUTE_PGM_RSRC2:TGID_Y_EN: 0
; COMPUTE_PGM_RSRC2:TGID_Z_EN: 0
; COMPUTE_PGM_RSRC2:TIDIG_COMP_CNT: 0
	.section	.text._ZN7rocprim17ROCPRIM_400000_NS6detail17trampoline_kernelINS0_14default_configENS1_25partition_config_selectorILNS1_17partition_subalgoE6EjNS0_10empty_typeEbEEZZNS1_14partition_implILS5_6ELb0ES3_mN6thrust23THRUST_200600_302600_NS6detail15normal_iteratorINSA_10device_ptrIjEEEEPS6_SG_NS0_5tupleIJSF_S6_EEENSH_IJSG_SG_EEES6_PlJNSB_9not_fun_tI7is_trueIjEEEEEE10hipError_tPvRmT3_T4_T5_T6_T7_T9_mT8_P12ihipStream_tbDpT10_ENKUlT_T0_E_clISt17integral_constantIbLb1EES17_IbLb0EEEEDaS13_S14_EUlS13_E_NS1_11comp_targetILNS1_3genE0ELNS1_11target_archE4294967295ELNS1_3gpuE0ELNS1_3repE0EEENS1_30default_config_static_selectorELNS0_4arch9wavefront6targetE0EEEvT1_,"axG",@progbits,_ZN7rocprim17ROCPRIM_400000_NS6detail17trampoline_kernelINS0_14default_configENS1_25partition_config_selectorILNS1_17partition_subalgoE6EjNS0_10empty_typeEbEEZZNS1_14partition_implILS5_6ELb0ES3_mN6thrust23THRUST_200600_302600_NS6detail15normal_iteratorINSA_10device_ptrIjEEEEPS6_SG_NS0_5tupleIJSF_S6_EEENSH_IJSG_SG_EEES6_PlJNSB_9not_fun_tI7is_trueIjEEEEEE10hipError_tPvRmT3_T4_T5_T6_T7_T9_mT8_P12ihipStream_tbDpT10_ENKUlT_T0_E_clISt17integral_constantIbLb1EES17_IbLb0EEEEDaS13_S14_EUlS13_E_NS1_11comp_targetILNS1_3genE0ELNS1_11target_archE4294967295ELNS1_3gpuE0ELNS1_3repE0EEENS1_30default_config_static_selectorELNS0_4arch9wavefront6targetE0EEEvT1_,comdat
	.protected	_ZN7rocprim17ROCPRIM_400000_NS6detail17trampoline_kernelINS0_14default_configENS1_25partition_config_selectorILNS1_17partition_subalgoE6EjNS0_10empty_typeEbEEZZNS1_14partition_implILS5_6ELb0ES3_mN6thrust23THRUST_200600_302600_NS6detail15normal_iteratorINSA_10device_ptrIjEEEEPS6_SG_NS0_5tupleIJSF_S6_EEENSH_IJSG_SG_EEES6_PlJNSB_9not_fun_tI7is_trueIjEEEEEE10hipError_tPvRmT3_T4_T5_T6_T7_T9_mT8_P12ihipStream_tbDpT10_ENKUlT_T0_E_clISt17integral_constantIbLb1EES17_IbLb0EEEEDaS13_S14_EUlS13_E_NS1_11comp_targetILNS1_3genE0ELNS1_11target_archE4294967295ELNS1_3gpuE0ELNS1_3repE0EEENS1_30default_config_static_selectorELNS0_4arch9wavefront6targetE0EEEvT1_ ; -- Begin function _ZN7rocprim17ROCPRIM_400000_NS6detail17trampoline_kernelINS0_14default_configENS1_25partition_config_selectorILNS1_17partition_subalgoE6EjNS0_10empty_typeEbEEZZNS1_14partition_implILS5_6ELb0ES3_mN6thrust23THRUST_200600_302600_NS6detail15normal_iteratorINSA_10device_ptrIjEEEEPS6_SG_NS0_5tupleIJSF_S6_EEENSH_IJSG_SG_EEES6_PlJNSB_9not_fun_tI7is_trueIjEEEEEE10hipError_tPvRmT3_T4_T5_T6_T7_T9_mT8_P12ihipStream_tbDpT10_ENKUlT_T0_E_clISt17integral_constantIbLb1EES17_IbLb0EEEEDaS13_S14_EUlS13_E_NS1_11comp_targetILNS1_3genE0ELNS1_11target_archE4294967295ELNS1_3gpuE0ELNS1_3repE0EEENS1_30default_config_static_selectorELNS0_4arch9wavefront6targetE0EEEvT1_
	.globl	_ZN7rocprim17ROCPRIM_400000_NS6detail17trampoline_kernelINS0_14default_configENS1_25partition_config_selectorILNS1_17partition_subalgoE6EjNS0_10empty_typeEbEEZZNS1_14partition_implILS5_6ELb0ES3_mN6thrust23THRUST_200600_302600_NS6detail15normal_iteratorINSA_10device_ptrIjEEEEPS6_SG_NS0_5tupleIJSF_S6_EEENSH_IJSG_SG_EEES6_PlJNSB_9not_fun_tI7is_trueIjEEEEEE10hipError_tPvRmT3_T4_T5_T6_T7_T9_mT8_P12ihipStream_tbDpT10_ENKUlT_T0_E_clISt17integral_constantIbLb1EES17_IbLb0EEEEDaS13_S14_EUlS13_E_NS1_11comp_targetILNS1_3genE0ELNS1_11target_archE4294967295ELNS1_3gpuE0ELNS1_3repE0EEENS1_30default_config_static_selectorELNS0_4arch9wavefront6targetE0EEEvT1_
	.p2align	8
	.type	_ZN7rocprim17ROCPRIM_400000_NS6detail17trampoline_kernelINS0_14default_configENS1_25partition_config_selectorILNS1_17partition_subalgoE6EjNS0_10empty_typeEbEEZZNS1_14partition_implILS5_6ELb0ES3_mN6thrust23THRUST_200600_302600_NS6detail15normal_iteratorINSA_10device_ptrIjEEEEPS6_SG_NS0_5tupleIJSF_S6_EEENSH_IJSG_SG_EEES6_PlJNSB_9not_fun_tI7is_trueIjEEEEEE10hipError_tPvRmT3_T4_T5_T6_T7_T9_mT8_P12ihipStream_tbDpT10_ENKUlT_T0_E_clISt17integral_constantIbLb1EES17_IbLb0EEEEDaS13_S14_EUlS13_E_NS1_11comp_targetILNS1_3genE0ELNS1_11target_archE4294967295ELNS1_3gpuE0ELNS1_3repE0EEENS1_30default_config_static_selectorELNS0_4arch9wavefront6targetE0EEEvT1_,@function
_ZN7rocprim17ROCPRIM_400000_NS6detail17trampoline_kernelINS0_14default_configENS1_25partition_config_selectorILNS1_17partition_subalgoE6EjNS0_10empty_typeEbEEZZNS1_14partition_implILS5_6ELb0ES3_mN6thrust23THRUST_200600_302600_NS6detail15normal_iteratorINSA_10device_ptrIjEEEEPS6_SG_NS0_5tupleIJSF_S6_EEENSH_IJSG_SG_EEES6_PlJNSB_9not_fun_tI7is_trueIjEEEEEE10hipError_tPvRmT3_T4_T5_T6_T7_T9_mT8_P12ihipStream_tbDpT10_ENKUlT_T0_E_clISt17integral_constantIbLb1EES17_IbLb0EEEEDaS13_S14_EUlS13_E_NS1_11comp_targetILNS1_3genE0ELNS1_11target_archE4294967295ELNS1_3gpuE0ELNS1_3repE0EEENS1_30default_config_static_selectorELNS0_4arch9wavefront6targetE0EEEvT1_: ; @_ZN7rocprim17ROCPRIM_400000_NS6detail17trampoline_kernelINS0_14default_configENS1_25partition_config_selectorILNS1_17partition_subalgoE6EjNS0_10empty_typeEbEEZZNS1_14partition_implILS5_6ELb0ES3_mN6thrust23THRUST_200600_302600_NS6detail15normal_iteratorINSA_10device_ptrIjEEEEPS6_SG_NS0_5tupleIJSF_S6_EEENSH_IJSG_SG_EEES6_PlJNSB_9not_fun_tI7is_trueIjEEEEEE10hipError_tPvRmT3_T4_T5_T6_T7_T9_mT8_P12ihipStream_tbDpT10_ENKUlT_T0_E_clISt17integral_constantIbLb1EES17_IbLb0EEEEDaS13_S14_EUlS13_E_NS1_11comp_targetILNS1_3genE0ELNS1_11target_archE4294967295ELNS1_3gpuE0ELNS1_3repE0EEENS1_30default_config_static_selectorELNS0_4arch9wavefront6targetE0EEEvT1_
; %bb.0:
	.section	.rodata,"a",@progbits
	.p2align	6, 0x0
	.amdhsa_kernel _ZN7rocprim17ROCPRIM_400000_NS6detail17trampoline_kernelINS0_14default_configENS1_25partition_config_selectorILNS1_17partition_subalgoE6EjNS0_10empty_typeEbEEZZNS1_14partition_implILS5_6ELb0ES3_mN6thrust23THRUST_200600_302600_NS6detail15normal_iteratorINSA_10device_ptrIjEEEEPS6_SG_NS0_5tupleIJSF_S6_EEENSH_IJSG_SG_EEES6_PlJNSB_9not_fun_tI7is_trueIjEEEEEE10hipError_tPvRmT3_T4_T5_T6_T7_T9_mT8_P12ihipStream_tbDpT10_ENKUlT_T0_E_clISt17integral_constantIbLb1EES17_IbLb0EEEEDaS13_S14_EUlS13_E_NS1_11comp_targetILNS1_3genE0ELNS1_11target_archE4294967295ELNS1_3gpuE0ELNS1_3repE0EEENS1_30default_config_static_selectorELNS0_4arch9wavefront6targetE0EEEvT1_
		.amdhsa_group_segment_fixed_size 0
		.amdhsa_private_segment_fixed_size 0
		.amdhsa_kernarg_size 112
		.amdhsa_user_sgpr_count 2
		.amdhsa_user_sgpr_dispatch_ptr 0
		.amdhsa_user_sgpr_queue_ptr 0
		.amdhsa_user_sgpr_kernarg_segment_ptr 1
		.amdhsa_user_sgpr_dispatch_id 0
		.amdhsa_user_sgpr_private_segment_size 0
		.amdhsa_wavefront_size32 1
		.amdhsa_uses_dynamic_stack 0
		.amdhsa_enable_private_segment 0
		.amdhsa_system_sgpr_workgroup_id_x 1
		.amdhsa_system_sgpr_workgroup_id_y 0
		.amdhsa_system_sgpr_workgroup_id_z 0
		.amdhsa_system_sgpr_workgroup_info 0
		.amdhsa_system_vgpr_workitem_id 0
		.amdhsa_next_free_vgpr 1
		.amdhsa_next_free_sgpr 1
		.amdhsa_reserve_vcc 0
		.amdhsa_float_round_mode_32 0
		.amdhsa_float_round_mode_16_64 0
		.amdhsa_float_denorm_mode_32 3
		.amdhsa_float_denorm_mode_16_64 3
		.amdhsa_fp16_overflow 0
		.amdhsa_workgroup_processor_mode 1
		.amdhsa_memory_ordered 1
		.amdhsa_forward_progress 1
		.amdhsa_inst_pref_size 0
		.amdhsa_round_robin_scheduling 0
		.amdhsa_exception_fp_ieee_invalid_op 0
		.amdhsa_exception_fp_denorm_src 0
		.amdhsa_exception_fp_ieee_div_zero 0
		.amdhsa_exception_fp_ieee_overflow 0
		.amdhsa_exception_fp_ieee_underflow 0
		.amdhsa_exception_fp_ieee_inexact 0
		.amdhsa_exception_int_div_zero 0
	.end_amdhsa_kernel
	.section	.text._ZN7rocprim17ROCPRIM_400000_NS6detail17trampoline_kernelINS0_14default_configENS1_25partition_config_selectorILNS1_17partition_subalgoE6EjNS0_10empty_typeEbEEZZNS1_14partition_implILS5_6ELb0ES3_mN6thrust23THRUST_200600_302600_NS6detail15normal_iteratorINSA_10device_ptrIjEEEEPS6_SG_NS0_5tupleIJSF_S6_EEENSH_IJSG_SG_EEES6_PlJNSB_9not_fun_tI7is_trueIjEEEEEE10hipError_tPvRmT3_T4_T5_T6_T7_T9_mT8_P12ihipStream_tbDpT10_ENKUlT_T0_E_clISt17integral_constantIbLb1EES17_IbLb0EEEEDaS13_S14_EUlS13_E_NS1_11comp_targetILNS1_3genE0ELNS1_11target_archE4294967295ELNS1_3gpuE0ELNS1_3repE0EEENS1_30default_config_static_selectorELNS0_4arch9wavefront6targetE0EEEvT1_,"axG",@progbits,_ZN7rocprim17ROCPRIM_400000_NS6detail17trampoline_kernelINS0_14default_configENS1_25partition_config_selectorILNS1_17partition_subalgoE6EjNS0_10empty_typeEbEEZZNS1_14partition_implILS5_6ELb0ES3_mN6thrust23THRUST_200600_302600_NS6detail15normal_iteratorINSA_10device_ptrIjEEEEPS6_SG_NS0_5tupleIJSF_S6_EEENSH_IJSG_SG_EEES6_PlJNSB_9not_fun_tI7is_trueIjEEEEEE10hipError_tPvRmT3_T4_T5_T6_T7_T9_mT8_P12ihipStream_tbDpT10_ENKUlT_T0_E_clISt17integral_constantIbLb1EES17_IbLb0EEEEDaS13_S14_EUlS13_E_NS1_11comp_targetILNS1_3genE0ELNS1_11target_archE4294967295ELNS1_3gpuE0ELNS1_3repE0EEENS1_30default_config_static_selectorELNS0_4arch9wavefront6targetE0EEEvT1_,comdat
.Lfunc_end1157:
	.size	_ZN7rocprim17ROCPRIM_400000_NS6detail17trampoline_kernelINS0_14default_configENS1_25partition_config_selectorILNS1_17partition_subalgoE6EjNS0_10empty_typeEbEEZZNS1_14partition_implILS5_6ELb0ES3_mN6thrust23THRUST_200600_302600_NS6detail15normal_iteratorINSA_10device_ptrIjEEEEPS6_SG_NS0_5tupleIJSF_S6_EEENSH_IJSG_SG_EEES6_PlJNSB_9not_fun_tI7is_trueIjEEEEEE10hipError_tPvRmT3_T4_T5_T6_T7_T9_mT8_P12ihipStream_tbDpT10_ENKUlT_T0_E_clISt17integral_constantIbLb1EES17_IbLb0EEEEDaS13_S14_EUlS13_E_NS1_11comp_targetILNS1_3genE0ELNS1_11target_archE4294967295ELNS1_3gpuE0ELNS1_3repE0EEENS1_30default_config_static_selectorELNS0_4arch9wavefront6targetE0EEEvT1_, .Lfunc_end1157-_ZN7rocprim17ROCPRIM_400000_NS6detail17trampoline_kernelINS0_14default_configENS1_25partition_config_selectorILNS1_17partition_subalgoE6EjNS0_10empty_typeEbEEZZNS1_14partition_implILS5_6ELb0ES3_mN6thrust23THRUST_200600_302600_NS6detail15normal_iteratorINSA_10device_ptrIjEEEEPS6_SG_NS0_5tupleIJSF_S6_EEENSH_IJSG_SG_EEES6_PlJNSB_9not_fun_tI7is_trueIjEEEEEE10hipError_tPvRmT3_T4_T5_T6_T7_T9_mT8_P12ihipStream_tbDpT10_ENKUlT_T0_E_clISt17integral_constantIbLb1EES17_IbLb0EEEEDaS13_S14_EUlS13_E_NS1_11comp_targetILNS1_3genE0ELNS1_11target_archE4294967295ELNS1_3gpuE0ELNS1_3repE0EEENS1_30default_config_static_selectorELNS0_4arch9wavefront6targetE0EEEvT1_
                                        ; -- End function
	.set _ZN7rocprim17ROCPRIM_400000_NS6detail17trampoline_kernelINS0_14default_configENS1_25partition_config_selectorILNS1_17partition_subalgoE6EjNS0_10empty_typeEbEEZZNS1_14partition_implILS5_6ELb0ES3_mN6thrust23THRUST_200600_302600_NS6detail15normal_iteratorINSA_10device_ptrIjEEEEPS6_SG_NS0_5tupleIJSF_S6_EEENSH_IJSG_SG_EEES6_PlJNSB_9not_fun_tI7is_trueIjEEEEEE10hipError_tPvRmT3_T4_T5_T6_T7_T9_mT8_P12ihipStream_tbDpT10_ENKUlT_T0_E_clISt17integral_constantIbLb1EES17_IbLb0EEEEDaS13_S14_EUlS13_E_NS1_11comp_targetILNS1_3genE0ELNS1_11target_archE4294967295ELNS1_3gpuE0ELNS1_3repE0EEENS1_30default_config_static_selectorELNS0_4arch9wavefront6targetE0EEEvT1_.num_vgpr, 0
	.set _ZN7rocprim17ROCPRIM_400000_NS6detail17trampoline_kernelINS0_14default_configENS1_25partition_config_selectorILNS1_17partition_subalgoE6EjNS0_10empty_typeEbEEZZNS1_14partition_implILS5_6ELb0ES3_mN6thrust23THRUST_200600_302600_NS6detail15normal_iteratorINSA_10device_ptrIjEEEEPS6_SG_NS0_5tupleIJSF_S6_EEENSH_IJSG_SG_EEES6_PlJNSB_9not_fun_tI7is_trueIjEEEEEE10hipError_tPvRmT3_T4_T5_T6_T7_T9_mT8_P12ihipStream_tbDpT10_ENKUlT_T0_E_clISt17integral_constantIbLb1EES17_IbLb0EEEEDaS13_S14_EUlS13_E_NS1_11comp_targetILNS1_3genE0ELNS1_11target_archE4294967295ELNS1_3gpuE0ELNS1_3repE0EEENS1_30default_config_static_selectorELNS0_4arch9wavefront6targetE0EEEvT1_.num_agpr, 0
	.set _ZN7rocprim17ROCPRIM_400000_NS6detail17trampoline_kernelINS0_14default_configENS1_25partition_config_selectorILNS1_17partition_subalgoE6EjNS0_10empty_typeEbEEZZNS1_14partition_implILS5_6ELb0ES3_mN6thrust23THRUST_200600_302600_NS6detail15normal_iteratorINSA_10device_ptrIjEEEEPS6_SG_NS0_5tupleIJSF_S6_EEENSH_IJSG_SG_EEES6_PlJNSB_9not_fun_tI7is_trueIjEEEEEE10hipError_tPvRmT3_T4_T5_T6_T7_T9_mT8_P12ihipStream_tbDpT10_ENKUlT_T0_E_clISt17integral_constantIbLb1EES17_IbLb0EEEEDaS13_S14_EUlS13_E_NS1_11comp_targetILNS1_3genE0ELNS1_11target_archE4294967295ELNS1_3gpuE0ELNS1_3repE0EEENS1_30default_config_static_selectorELNS0_4arch9wavefront6targetE0EEEvT1_.numbered_sgpr, 0
	.set _ZN7rocprim17ROCPRIM_400000_NS6detail17trampoline_kernelINS0_14default_configENS1_25partition_config_selectorILNS1_17partition_subalgoE6EjNS0_10empty_typeEbEEZZNS1_14partition_implILS5_6ELb0ES3_mN6thrust23THRUST_200600_302600_NS6detail15normal_iteratorINSA_10device_ptrIjEEEEPS6_SG_NS0_5tupleIJSF_S6_EEENSH_IJSG_SG_EEES6_PlJNSB_9not_fun_tI7is_trueIjEEEEEE10hipError_tPvRmT3_T4_T5_T6_T7_T9_mT8_P12ihipStream_tbDpT10_ENKUlT_T0_E_clISt17integral_constantIbLb1EES17_IbLb0EEEEDaS13_S14_EUlS13_E_NS1_11comp_targetILNS1_3genE0ELNS1_11target_archE4294967295ELNS1_3gpuE0ELNS1_3repE0EEENS1_30default_config_static_selectorELNS0_4arch9wavefront6targetE0EEEvT1_.num_named_barrier, 0
	.set _ZN7rocprim17ROCPRIM_400000_NS6detail17trampoline_kernelINS0_14default_configENS1_25partition_config_selectorILNS1_17partition_subalgoE6EjNS0_10empty_typeEbEEZZNS1_14partition_implILS5_6ELb0ES3_mN6thrust23THRUST_200600_302600_NS6detail15normal_iteratorINSA_10device_ptrIjEEEEPS6_SG_NS0_5tupleIJSF_S6_EEENSH_IJSG_SG_EEES6_PlJNSB_9not_fun_tI7is_trueIjEEEEEE10hipError_tPvRmT3_T4_T5_T6_T7_T9_mT8_P12ihipStream_tbDpT10_ENKUlT_T0_E_clISt17integral_constantIbLb1EES17_IbLb0EEEEDaS13_S14_EUlS13_E_NS1_11comp_targetILNS1_3genE0ELNS1_11target_archE4294967295ELNS1_3gpuE0ELNS1_3repE0EEENS1_30default_config_static_selectorELNS0_4arch9wavefront6targetE0EEEvT1_.private_seg_size, 0
	.set _ZN7rocprim17ROCPRIM_400000_NS6detail17trampoline_kernelINS0_14default_configENS1_25partition_config_selectorILNS1_17partition_subalgoE6EjNS0_10empty_typeEbEEZZNS1_14partition_implILS5_6ELb0ES3_mN6thrust23THRUST_200600_302600_NS6detail15normal_iteratorINSA_10device_ptrIjEEEEPS6_SG_NS0_5tupleIJSF_S6_EEENSH_IJSG_SG_EEES6_PlJNSB_9not_fun_tI7is_trueIjEEEEEE10hipError_tPvRmT3_T4_T5_T6_T7_T9_mT8_P12ihipStream_tbDpT10_ENKUlT_T0_E_clISt17integral_constantIbLb1EES17_IbLb0EEEEDaS13_S14_EUlS13_E_NS1_11comp_targetILNS1_3genE0ELNS1_11target_archE4294967295ELNS1_3gpuE0ELNS1_3repE0EEENS1_30default_config_static_selectorELNS0_4arch9wavefront6targetE0EEEvT1_.uses_vcc, 0
	.set _ZN7rocprim17ROCPRIM_400000_NS6detail17trampoline_kernelINS0_14default_configENS1_25partition_config_selectorILNS1_17partition_subalgoE6EjNS0_10empty_typeEbEEZZNS1_14partition_implILS5_6ELb0ES3_mN6thrust23THRUST_200600_302600_NS6detail15normal_iteratorINSA_10device_ptrIjEEEEPS6_SG_NS0_5tupleIJSF_S6_EEENSH_IJSG_SG_EEES6_PlJNSB_9not_fun_tI7is_trueIjEEEEEE10hipError_tPvRmT3_T4_T5_T6_T7_T9_mT8_P12ihipStream_tbDpT10_ENKUlT_T0_E_clISt17integral_constantIbLb1EES17_IbLb0EEEEDaS13_S14_EUlS13_E_NS1_11comp_targetILNS1_3genE0ELNS1_11target_archE4294967295ELNS1_3gpuE0ELNS1_3repE0EEENS1_30default_config_static_selectorELNS0_4arch9wavefront6targetE0EEEvT1_.uses_flat_scratch, 0
	.set _ZN7rocprim17ROCPRIM_400000_NS6detail17trampoline_kernelINS0_14default_configENS1_25partition_config_selectorILNS1_17partition_subalgoE6EjNS0_10empty_typeEbEEZZNS1_14partition_implILS5_6ELb0ES3_mN6thrust23THRUST_200600_302600_NS6detail15normal_iteratorINSA_10device_ptrIjEEEEPS6_SG_NS0_5tupleIJSF_S6_EEENSH_IJSG_SG_EEES6_PlJNSB_9not_fun_tI7is_trueIjEEEEEE10hipError_tPvRmT3_T4_T5_T6_T7_T9_mT8_P12ihipStream_tbDpT10_ENKUlT_T0_E_clISt17integral_constantIbLb1EES17_IbLb0EEEEDaS13_S14_EUlS13_E_NS1_11comp_targetILNS1_3genE0ELNS1_11target_archE4294967295ELNS1_3gpuE0ELNS1_3repE0EEENS1_30default_config_static_selectorELNS0_4arch9wavefront6targetE0EEEvT1_.has_dyn_sized_stack, 0
	.set _ZN7rocprim17ROCPRIM_400000_NS6detail17trampoline_kernelINS0_14default_configENS1_25partition_config_selectorILNS1_17partition_subalgoE6EjNS0_10empty_typeEbEEZZNS1_14partition_implILS5_6ELb0ES3_mN6thrust23THRUST_200600_302600_NS6detail15normal_iteratorINSA_10device_ptrIjEEEEPS6_SG_NS0_5tupleIJSF_S6_EEENSH_IJSG_SG_EEES6_PlJNSB_9not_fun_tI7is_trueIjEEEEEE10hipError_tPvRmT3_T4_T5_T6_T7_T9_mT8_P12ihipStream_tbDpT10_ENKUlT_T0_E_clISt17integral_constantIbLb1EES17_IbLb0EEEEDaS13_S14_EUlS13_E_NS1_11comp_targetILNS1_3genE0ELNS1_11target_archE4294967295ELNS1_3gpuE0ELNS1_3repE0EEENS1_30default_config_static_selectorELNS0_4arch9wavefront6targetE0EEEvT1_.has_recursion, 0
	.set _ZN7rocprim17ROCPRIM_400000_NS6detail17trampoline_kernelINS0_14default_configENS1_25partition_config_selectorILNS1_17partition_subalgoE6EjNS0_10empty_typeEbEEZZNS1_14partition_implILS5_6ELb0ES3_mN6thrust23THRUST_200600_302600_NS6detail15normal_iteratorINSA_10device_ptrIjEEEEPS6_SG_NS0_5tupleIJSF_S6_EEENSH_IJSG_SG_EEES6_PlJNSB_9not_fun_tI7is_trueIjEEEEEE10hipError_tPvRmT3_T4_T5_T6_T7_T9_mT8_P12ihipStream_tbDpT10_ENKUlT_T0_E_clISt17integral_constantIbLb1EES17_IbLb0EEEEDaS13_S14_EUlS13_E_NS1_11comp_targetILNS1_3genE0ELNS1_11target_archE4294967295ELNS1_3gpuE0ELNS1_3repE0EEENS1_30default_config_static_selectorELNS0_4arch9wavefront6targetE0EEEvT1_.has_indirect_call, 0
	.section	.AMDGPU.csdata,"",@progbits
; Kernel info:
; codeLenInByte = 0
; TotalNumSgprs: 0
; NumVgprs: 0
; ScratchSize: 0
; MemoryBound: 0
; FloatMode: 240
; IeeeMode: 1
; LDSByteSize: 0 bytes/workgroup (compile time only)
; SGPRBlocks: 0
; VGPRBlocks: 0
; NumSGPRsForWavesPerEU: 1
; NumVGPRsForWavesPerEU: 1
; Occupancy: 16
; WaveLimiterHint : 0
; COMPUTE_PGM_RSRC2:SCRATCH_EN: 0
; COMPUTE_PGM_RSRC2:USER_SGPR: 2
; COMPUTE_PGM_RSRC2:TRAP_HANDLER: 0
; COMPUTE_PGM_RSRC2:TGID_X_EN: 1
; COMPUTE_PGM_RSRC2:TGID_Y_EN: 0
; COMPUTE_PGM_RSRC2:TGID_Z_EN: 0
; COMPUTE_PGM_RSRC2:TIDIG_COMP_CNT: 0
	.section	.text._ZN7rocprim17ROCPRIM_400000_NS6detail17trampoline_kernelINS0_14default_configENS1_25partition_config_selectorILNS1_17partition_subalgoE6EjNS0_10empty_typeEbEEZZNS1_14partition_implILS5_6ELb0ES3_mN6thrust23THRUST_200600_302600_NS6detail15normal_iteratorINSA_10device_ptrIjEEEEPS6_SG_NS0_5tupleIJSF_S6_EEENSH_IJSG_SG_EEES6_PlJNSB_9not_fun_tI7is_trueIjEEEEEE10hipError_tPvRmT3_T4_T5_T6_T7_T9_mT8_P12ihipStream_tbDpT10_ENKUlT_T0_E_clISt17integral_constantIbLb1EES17_IbLb0EEEEDaS13_S14_EUlS13_E_NS1_11comp_targetILNS1_3genE5ELNS1_11target_archE942ELNS1_3gpuE9ELNS1_3repE0EEENS1_30default_config_static_selectorELNS0_4arch9wavefront6targetE0EEEvT1_,"axG",@progbits,_ZN7rocprim17ROCPRIM_400000_NS6detail17trampoline_kernelINS0_14default_configENS1_25partition_config_selectorILNS1_17partition_subalgoE6EjNS0_10empty_typeEbEEZZNS1_14partition_implILS5_6ELb0ES3_mN6thrust23THRUST_200600_302600_NS6detail15normal_iteratorINSA_10device_ptrIjEEEEPS6_SG_NS0_5tupleIJSF_S6_EEENSH_IJSG_SG_EEES6_PlJNSB_9not_fun_tI7is_trueIjEEEEEE10hipError_tPvRmT3_T4_T5_T6_T7_T9_mT8_P12ihipStream_tbDpT10_ENKUlT_T0_E_clISt17integral_constantIbLb1EES17_IbLb0EEEEDaS13_S14_EUlS13_E_NS1_11comp_targetILNS1_3genE5ELNS1_11target_archE942ELNS1_3gpuE9ELNS1_3repE0EEENS1_30default_config_static_selectorELNS0_4arch9wavefront6targetE0EEEvT1_,comdat
	.protected	_ZN7rocprim17ROCPRIM_400000_NS6detail17trampoline_kernelINS0_14default_configENS1_25partition_config_selectorILNS1_17partition_subalgoE6EjNS0_10empty_typeEbEEZZNS1_14partition_implILS5_6ELb0ES3_mN6thrust23THRUST_200600_302600_NS6detail15normal_iteratorINSA_10device_ptrIjEEEEPS6_SG_NS0_5tupleIJSF_S6_EEENSH_IJSG_SG_EEES6_PlJNSB_9not_fun_tI7is_trueIjEEEEEE10hipError_tPvRmT3_T4_T5_T6_T7_T9_mT8_P12ihipStream_tbDpT10_ENKUlT_T0_E_clISt17integral_constantIbLb1EES17_IbLb0EEEEDaS13_S14_EUlS13_E_NS1_11comp_targetILNS1_3genE5ELNS1_11target_archE942ELNS1_3gpuE9ELNS1_3repE0EEENS1_30default_config_static_selectorELNS0_4arch9wavefront6targetE0EEEvT1_ ; -- Begin function _ZN7rocprim17ROCPRIM_400000_NS6detail17trampoline_kernelINS0_14default_configENS1_25partition_config_selectorILNS1_17partition_subalgoE6EjNS0_10empty_typeEbEEZZNS1_14partition_implILS5_6ELb0ES3_mN6thrust23THRUST_200600_302600_NS6detail15normal_iteratorINSA_10device_ptrIjEEEEPS6_SG_NS0_5tupleIJSF_S6_EEENSH_IJSG_SG_EEES6_PlJNSB_9not_fun_tI7is_trueIjEEEEEE10hipError_tPvRmT3_T4_T5_T6_T7_T9_mT8_P12ihipStream_tbDpT10_ENKUlT_T0_E_clISt17integral_constantIbLb1EES17_IbLb0EEEEDaS13_S14_EUlS13_E_NS1_11comp_targetILNS1_3genE5ELNS1_11target_archE942ELNS1_3gpuE9ELNS1_3repE0EEENS1_30default_config_static_selectorELNS0_4arch9wavefront6targetE0EEEvT1_
	.globl	_ZN7rocprim17ROCPRIM_400000_NS6detail17trampoline_kernelINS0_14default_configENS1_25partition_config_selectorILNS1_17partition_subalgoE6EjNS0_10empty_typeEbEEZZNS1_14partition_implILS5_6ELb0ES3_mN6thrust23THRUST_200600_302600_NS6detail15normal_iteratorINSA_10device_ptrIjEEEEPS6_SG_NS0_5tupleIJSF_S6_EEENSH_IJSG_SG_EEES6_PlJNSB_9not_fun_tI7is_trueIjEEEEEE10hipError_tPvRmT3_T4_T5_T6_T7_T9_mT8_P12ihipStream_tbDpT10_ENKUlT_T0_E_clISt17integral_constantIbLb1EES17_IbLb0EEEEDaS13_S14_EUlS13_E_NS1_11comp_targetILNS1_3genE5ELNS1_11target_archE942ELNS1_3gpuE9ELNS1_3repE0EEENS1_30default_config_static_selectorELNS0_4arch9wavefront6targetE0EEEvT1_
	.p2align	8
	.type	_ZN7rocprim17ROCPRIM_400000_NS6detail17trampoline_kernelINS0_14default_configENS1_25partition_config_selectorILNS1_17partition_subalgoE6EjNS0_10empty_typeEbEEZZNS1_14partition_implILS5_6ELb0ES3_mN6thrust23THRUST_200600_302600_NS6detail15normal_iteratorINSA_10device_ptrIjEEEEPS6_SG_NS0_5tupleIJSF_S6_EEENSH_IJSG_SG_EEES6_PlJNSB_9not_fun_tI7is_trueIjEEEEEE10hipError_tPvRmT3_T4_T5_T6_T7_T9_mT8_P12ihipStream_tbDpT10_ENKUlT_T0_E_clISt17integral_constantIbLb1EES17_IbLb0EEEEDaS13_S14_EUlS13_E_NS1_11comp_targetILNS1_3genE5ELNS1_11target_archE942ELNS1_3gpuE9ELNS1_3repE0EEENS1_30default_config_static_selectorELNS0_4arch9wavefront6targetE0EEEvT1_,@function
_ZN7rocprim17ROCPRIM_400000_NS6detail17trampoline_kernelINS0_14default_configENS1_25partition_config_selectorILNS1_17partition_subalgoE6EjNS0_10empty_typeEbEEZZNS1_14partition_implILS5_6ELb0ES3_mN6thrust23THRUST_200600_302600_NS6detail15normal_iteratorINSA_10device_ptrIjEEEEPS6_SG_NS0_5tupleIJSF_S6_EEENSH_IJSG_SG_EEES6_PlJNSB_9not_fun_tI7is_trueIjEEEEEE10hipError_tPvRmT3_T4_T5_T6_T7_T9_mT8_P12ihipStream_tbDpT10_ENKUlT_T0_E_clISt17integral_constantIbLb1EES17_IbLb0EEEEDaS13_S14_EUlS13_E_NS1_11comp_targetILNS1_3genE5ELNS1_11target_archE942ELNS1_3gpuE9ELNS1_3repE0EEENS1_30default_config_static_selectorELNS0_4arch9wavefront6targetE0EEEvT1_: ; @_ZN7rocprim17ROCPRIM_400000_NS6detail17trampoline_kernelINS0_14default_configENS1_25partition_config_selectorILNS1_17partition_subalgoE6EjNS0_10empty_typeEbEEZZNS1_14partition_implILS5_6ELb0ES3_mN6thrust23THRUST_200600_302600_NS6detail15normal_iteratorINSA_10device_ptrIjEEEEPS6_SG_NS0_5tupleIJSF_S6_EEENSH_IJSG_SG_EEES6_PlJNSB_9not_fun_tI7is_trueIjEEEEEE10hipError_tPvRmT3_T4_T5_T6_T7_T9_mT8_P12ihipStream_tbDpT10_ENKUlT_T0_E_clISt17integral_constantIbLb1EES17_IbLb0EEEEDaS13_S14_EUlS13_E_NS1_11comp_targetILNS1_3genE5ELNS1_11target_archE942ELNS1_3gpuE9ELNS1_3repE0EEENS1_30default_config_static_selectorELNS0_4arch9wavefront6targetE0EEEvT1_
; %bb.0:
	.section	.rodata,"a",@progbits
	.p2align	6, 0x0
	.amdhsa_kernel _ZN7rocprim17ROCPRIM_400000_NS6detail17trampoline_kernelINS0_14default_configENS1_25partition_config_selectorILNS1_17partition_subalgoE6EjNS0_10empty_typeEbEEZZNS1_14partition_implILS5_6ELb0ES3_mN6thrust23THRUST_200600_302600_NS6detail15normal_iteratorINSA_10device_ptrIjEEEEPS6_SG_NS0_5tupleIJSF_S6_EEENSH_IJSG_SG_EEES6_PlJNSB_9not_fun_tI7is_trueIjEEEEEE10hipError_tPvRmT3_T4_T5_T6_T7_T9_mT8_P12ihipStream_tbDpT10_ENKUlT_T0_E_clISt17integral_constantIbLb1EES17_IbLb0EEEEDaS13_S14_EUlS13_E_NS1_11comp_targetILNS1_3genE5ELNS1_11target_archE942ELNS1_3gpuE9ELNS1_3repE0EEENS1_30default_config_static_selectorELNS0_4arch9wavefront6targetE0EEEvT1_
		.amdhsa_group_segment_fixed_size 0
		.amdhsa_private_segment_fixed_size 0
		.amdhsa_kernarg_size 112
		.amdhsa_user_sgpr_count 2
		.amdhsa_user_sgpr_dispatch_ptr 0
		.amdhsa_user_sgpr_queue_ptr 0
		.amdhsa_user_sgpr_kernarg_segment_ptr 1
		.amdhsa_user_sgpr_dispatch_id 0
		.amdhsa_user_sgpr_private_segment_size 0
		.amdhsa_wavefront_size32 1
		.amdhsa_uses_dynamic_stack 0
		.amdhsa_enable_private_segment 0
		.amdhsa_system_sgpr_workgroup_id_x 1
		.amdhsa_system_sgpr_workgroup_id_y 0
		.amdhsa_system_sgpr_workgroup_id_z 0
		.amdhsa_system_sgpr_workgroup_info 0
		.amdhsa_system_vgpr_workitem_id 0
		.amdhsa_next_free_vgpr 1
		.amdhsa_next_free_sgpr 1
		.amdhsa_reserve_vcc 0
		.amdhsa_float_round_mode_32 0
		.amdhsa_float_round_mode_16_64 0
		.amdhsa_float_denorm_mode_32 3
		.amdhsa_float_denorm_mode_16_64 3
		.amdhsa_fp16_overflow 0
		.amdhsa_workgroup_processor_mode 1
		.amdhsa_memory_ordered 1
		.amdhsa_forward_progress 1
		.amdhsa_inst_pref_size 0
		.amdhsa_round_robin_scheduling 0
		.amdhsa_exception_fp_ieee_invalid_op 0
		.amdhsa_exception_fp_denorm_src 0
		.amdhsa_exception_fp_ieee_div_zero 0
		.amdhsa_exception_fp_ieee_overflow 0
		.amdhsa_exception_fp_ieee_underflow 0
		.amdhsa_exception_fp_ieee_inexact 0
		.amdhsa_exception_int_div_zero 0
	.end_amdhsa_kernel
	.section	.text._ZN7rocprim17ROCPRIM_400000_NS6detail17trampoline_kernelINS0_14default_configENS1_25partition_config_selectorILNS1_17partition_subalgoE6EjNS0_10empty_typeEbEEZZNS1_14partition_implILS5_6ELb0ES3_mN6thrust23THRUST_200600_302600_NS6detail15normal_iteratorINSA_10device_ptrIjEEEEPS6_SG_NS0_5tupleIJSF_S6_EEENSH_IJSG_SG_EEES6_PlJNSB_9not_fun_tI7is_trueIjEEEEEE10hipError_tPvRmT3_T4_T5_T6_T7_T9_mT8_P12ihipStream_tbDpT10_ENKUlT_T0_E_clISt17integral_constantIbLb1EES17_IbLb0EEEEDaS13_S14_EUlS13_E_NS1_11comp_targetILNS1_3genE5ELNS1_11target_archE942ELNS1_3gpuE9ELNS1_3repE0EEENS1_30default_config_static_selectorELNS0_4arch9wavefront6targetE0EEEvT1_,"axG",@progbits,_ZN7rocprim17ROCPRIM_400000_NS6detail17trampoline_kernelINS0_14default_configENS1_25partition_config_selectorILNS1_17partition_subalgoE6EjNS0_10empty_typeEbEEZZNS1_14partition_implILS5_6ELb0ES3_mN6thrust23THRUST_200600_302600_NS6detail15normal_iteratorINSA_10device_ptrIjEEEEPS6_SG_NS0_5tupleIJSF_S6_EEENSH_IJSG_SG_EEES6_PlJNSB_9not_fun_tI7is_trueIjEEEEEE10hipError_tPvRmT3_T4_T5_T6_T7_T9_mT8_P12ihipStream_tbDpT10_ENKUlT_T0_E_clISt17integral_constantIbLb1EES17_IbLb0EEEEDaS13_S14_EUlS13_E_NS1_11comp_targetILNS1_3genE5ELNS1_11target_archE942ELNS1_3gpuE9ELNS1_3repE0EEENS1_30default_config_static_selectorELNS0_4arch9wavefront6targetE0EEEvT1_,comdat
.Lfunc_end1158:
	.size	_ZN7rocprim17ROCPRIM_400000_NS6detail17trampoline_kernelINS0_14default_configENS1_25partition_config_selectorILNS1_17partition_subalgoE6EjNS0_10empty_typeEbEEZZNS1_14partition_implILS5_6ELb0ES3_mN6thrust23THRUST_200600_302600_NS6detail15normal_iteratorINSA_10device_ptrIjEEEEPS6_SG_NS0_5tupleIJSF_S6_EEENSH_IJSG_SG_EEES6_PlJNSB_9not_fun_tI7is_trueIjEEEEEE10hipError_tPvRmT3_T4_T5_T6_T7_T9_mT8_P12ihipStream_tbDpT10_ENKUlT_T0_E_clISt17integral_constantIbLb1EES17_IbLb0EEEEDaS13_S14_EUlS13_E_NS1_11comp_targetILNS1_3genE5ELNS1_11target_archE942ELNS1_3gpuE9ELNS1_3repE0EEENS1_30default_config_static_selectorELNS0_4arch9wavefront6targetE0EEEvT1_, .Lfunc_end1158-_ZN7rocprim17ROCPRIM_400000_NS6detail17trampoline_kernelINS0_14default_configENS1_25partition_config_selectorILNS1_17partition_subalgoE6EjNS0_10empty_typeEbEEZZNS1_14partition_implILS5_6ELb0ES3_mN6thrust23THRUST_200600_302600_NS6detail15normal_iteratorINSA_10device_ptrIjEEEEPS6_SG_NS0_5tupleIJSF_S6_EEENSH_IJSG_SG_EEES6_PlJNSB_9not_fun_tI7is_trueIjEEEEEE10hipError_tPvRmT3_T4_T5_T6_T7_T9_mT8_P12ihipStream_tbDpT10_ENKUlT_T0_E_clISt17integral_constantIbLb1EES17_IbLb0EEEEDaS13_S14_EUlS13_E_NS1_11comp_targetILNS1_3genE5ELNS1_11target_archE942ELNS1_3gpuE9ELNS1_3repE0EEENS1_30default_config_static_selectorELNS0_4arch9wavefront6targetE0EEEvT1_
                                        ; -- End function
	.set _ZN7rocprim17ROCPRIM_400000_NS6detail17trampoline_kernelINS0_14default_configENS1_25partition_config_selectorILNS1_17partition_subalgoE6EjNS0_10empty_typeEbEEZZNS1_14partition_implILS5_6ELb0ES3_mN6thrust23THRUST_200600_302600_NS6detail15normal_iteratorINSA_10device_ptrIjEEEEPS6_SG_NS0_5tupleIJSF_S6_EEENSH_IJSG_SG_EEES6_PlJNSB_9not_fun_tI7is_trueIjEEEEEE10hipError_tPvRmT3_T4_T5_T6_T7_T9_mT8_P12ihipStream_tbDpT10_ENKUlT_T0_E_clISt17integral_constantIbLb1EES17_IbLb0EEEEDaS13_S14_EUlS13_E_NS1_11comp_targetILNS1_3genE5ELNS1_11target_archE942ELNS1_3gpuE9ELNS1_3repE0EEENS1_30default_config_static_selectorELNS0_4arch9wavefront6targetE0EEEvT1_.num_vgpr, 0
	.set _ZN7rocprim17ROCPRIM_400000_NS6detail17trampoline_kernelINS0_14default_configENS1_25partition_config_selectorILNS1_17partition_subalgoE6EjNS0_10empty_typeEbEEZZNS1_14partition_implILS5_6ELb0ES3_mN6thrust23THRUST_200600_302600_NS6detail15normal_iteratorINSA_10device_ptrIjEEEEPS6_SG_NS0_5tupleIJSF_S6_EEENSH_IJSG_SG_EEES6_PlJNSB_9not_fun_tI7is_trueIjEEEEEE10hipError_tPvRmT3_T4_T5_T6_T7_T9_mT8_P12ihipStream_tbDpT10_ENKUlT_T0_E_clISt17integral_constantIbLb1EES17_IbLb0EEEEDaS13_S14_EUlS13_E_NS1_11comp_targetILNS1_3genE5ELNS1_11target_archE942ELNS1_3gpuE9ELNS1_3repE0EEENS1_30default_config_static_selectorELNS0_4arch9wavefront6targetE0EEEvT1_.num_agpr, 0
	.set _ZN7rocprim17ROCPRIM_400000_NS6detail17trampoline_kernelINS0_14default_configENS1_25partition_config_selectorILNS1_17partition_subalgoE6EjNS0_10empty_typeEbEEZZNS1_14partition_implILS5_6ELb0ES3_mN6thrust23THRUST_200600_302600_NS6detail15normal_iteratorINSA_10device_ptrIjEEEEPS6_SG_NS0_5tupleIJSF_S6_EEENSH_IJSG_SG_EEES6_PlJNSB_9not_fun_tI7is_trueIjEEEEEE10hipError_tPvRmT3_T4_T5_T6_T7_T9_mT8_P12ihipStream_tbDpT10_ENKUlT_T0_E_clISt17integral_constantIbLb1EES17_IbLb0EEEEDaS13_S14_EUlS13_E_NS1_11comp_targetILNS1_3genE5ELNS1_11target_archE942ELNS1_3gpuE9ELNS1_3repE0EEENS1_30default_config_static_selectorELNS0_4arch9wavefront6targetE0EEEvT1_.numbered_sgpr, 0
	.set _ZN7rocprim17ROCPRIM_400000_NS6detail17trampoline_kernelINS0_14default_configENS1_25partition_config_selectorILNS1_17partition_subalgoE6EjNS0_10empty_typeEbEEZZNS1_14partition_implILS5_6ELb0ES3_mN6thrust23THRUST_200600_302600_NS6detail15normal_iteratorINSA_10device_ptrIjEEEEPS6_SG_NS0_5tupleIJSF_S6_EEENSH_IJSG_SG_EEES6_PlJNSB_9not_fun_tI7is_trueIjEEEEEE10hipError_tPvRmT3_T4_T5_T6_T7_T9_mT8_P12ihipStream_tbDpT10_ENKUlT_T0_E_clISt17integral_constantIbLb1EES17_IbLb0EEEEDaS13_S14_EUlS13_E_NS1_11comp_targetILNS1_3genE5ELNS1_11target_archE942ELNS1_3gpuE9ELNS1_3repE0EEENS1_30default_config_static_selectorELNS0_4arch9wavefront6targetE0EEEvT1_.num_named_barrier, 0
	.set _ZN7rocprim17ROCPRIM_400000_NS6detail17trampoline_kernelINS0_14default_configENS1_25partition_config_selectorILNS1_17partition_subalgoE6EjNS0_10empty_typeEbEEZZNS1_14partition_implILS5_6ELb0ES3_mN6thrust23THRUST_200600_302600_NS6detail15normal_iteratorINSA_10device_ptrIjEEEEPS6_SG_NS0_5tupleIJSF_S6_EEENSH_IJSG_SG_EEES6_PlJNSB_9not_fun_tI7is_trueIjEEEEEE10hipError_tPvRmT3_T4_T5_T6_T7_T9_mT8_P12ihipStream_tbDpT10_ENKUlT_T0_E_clISt17integral_constantIbLb1EES17_IbLb0EEEEDaS13_S14_EUlS13_E_NS1_11comp_targetILNS1_3genE5ELNS1_11target_archE942ELNS1_3gpuE9ELNS1_3repE0EEENS1_30default_config_static_selectorELNS0_4arch9wavefront6targetE0EEEvT1_.private_seg_size, 0
	.set _ZN7rocprim17ROCPRIM_400000_NS6detail17trampoline_kernelINS0_14default_configENS1_25partition_config_selectorILNS1_17partition_subalgoE6EjNS0_10empty_typeEbEEZZNS1_14partition_implILS5_6ELb0ES3_mN6thrust23THRUST_200600_302600_NS6detail15normal_iteratorINSA_10device_ptrIjEEEEPS6_SG_NS0_5tupleIJSF_S6_EEENSH_IJSG_SG_EEES6_PlJNSB_9not_fun_tI7is_trueIjEEEEEE10hipError_tPvRmT3_T4_T5_T6_T7_T9_mT8_P12ihipStream_tbDpT10_ENKUlT_T0_E_clISt17integral_constantIbLb1EES17_IbLb0EEEEDaS13_S14_EUlS13_E_NS1_11comp_targetILNS1_3genE5ELNS1_11target_archE942ELNS1_3gpuE9ELNS1_3repE0EEENS1_30default_config_static_selectorELNS0_4arch9wavefront6targetE0EEEvT1_.uses_vcc, 0
	.set _ZN7rocprim17ROCPRIM_400000_NS6detail17trampoline_kernelINS0_14default_configENS1_25partition_config_selectorILNS1_17partition_subalgoE6EjNS0_10empty_typeEbEEZZNS1_14partition_implILS5_6ELb0ES3_mN6thrust23THRUST_200600_302600_NS6detail15normal_iteratorINSA_10device_ptrIjEEEEPS6_SG_NS0_5tupleIJSF_S6_EEENSH_IJSG_SG_EEES6_PlJNSB_9not_fun_tI7is_trueIjEEEEEE10hipError_tPvRmT3_T4_T5_T6_T7_T9_mT8_P12ihipStream_tbDpT10_ENKUlT_T0_E_clISt17integral_constantIbLb1EES17_IbLb0EEEEDaS13_S14_EUlS13_E_NS1_11comp_targetILNS1_3genE5ELNS1_11target_archE942ELNS1_3gpuE9ELNS1_3repE0EEENS1_30default_config_static_selectorELNS0_4arch9wavefront6targetE0EEEvT1_.uses_flat_scratch, 0
	.set _ZN7rocprim17ROCPRIM_400000_NS6detail17trampoline_kernelINS0_14default_configENS1_25partition_config_selectorILNS1_17partition_subalgoE6EjNS0_10empty_typeEbEEZZNS1_14partition_implILS5_6ELb0ES3_mN6thrust23THRUST_200600_302600_NS6detail15normal_iteratorINSA_10device_ptrIjEEEEPS6_SG_NS0_5tupleIJSF_S6_EEENSH_IJSG_SG_EEES6_PlJNSB_9not_fun_tI7is_trueIjEEEEEE10hipError_tPvRmT3_T4_T5_T6_T7_T9_mT8_P12ihipStream_tbDpT10_ENKUlT_T0_E_clISt17integral_constantIbLb1EES17_IbLb0EEEEDaS13_S14_EUlS13_E_NS1_11comp_targetILNS1_3genE5ELNS1_11target_archE942ELNS1_3gpuE9ELNS1_3repE0EEENS1_30default_config_static_selectorELNS0_4arch9wavefront6targetE0EEEvT1_.has_dyn_sized_stack, 0
	.set _ZN7rocprim17ROCPRIM_400000_NS6detail17trampoline_kernelINS0_14default_configENS1_25partition_config_selectorILNS1_17partition_subalgoE6EjNS0_10empty_typeEbEEZZNS1_14partition_implILS5_6ELb0ES3_mN6thrust23THRUST_200600_302600_NS6detail15normal_iteratorINSA_10device_ptrIjEEEEPS6_SG_NS0_5tupleIJSF_S6_EEENSH_IJSG_SG_EEES6_PlJNSB_9not_fun_tI7is_trueIjEEEEEE10hipError_tPvRmT3_T4_T5_T6_T7_T9_mT8_P12ihipStream_tbDpT10_ENKUlT_T0_E_clISt17integral_constantIbLb1EES17_IbLb0EEEEDaS13_S14_EUlS13_E_NS1_11comp_targetILNS1_3genE5ELNS1_11target_archE942ELNS1_3gpuE9ELNS1_3repE0EEENS1_30default_config_static_selectorELNS0_4arch9wavefront6targetE0EEEvT1_.has_recursion, 0
	.set _ZN7rocprim17ROCPRIM_400000_NS6detail17trampoline_kernelINS0_14default_configENS1_25partition_config_selectorILNS1_17partition_subalgoE6EjNS0_10empty_typeEbEEZZNS1_14partition_implILS5_6ELb0ES3_mN6thrust23THRUST_200600_302600_NS6detail15normal_iteratorINSA_10device_ptrIjEEEEPS6_SG_NS0_5tupleIJSF_S6_EEENSH_IJSG_SG_EEES6_PlJNSB_9not_fun_tI7is_trueIjEEEEEE10hipError_tPvRmT3_T4_T5_T6_T7_T9_mT8_P12ihipStream_tbDpT10_ENKUlT_T0_E_clISt17integral_constantIbLb1EES17_IbLb0EEEEDaS13_S14_EUlS13_E_NS1_11comp_targetILNS1_3genE5ELNS1_11target_archE942ELNS1_3gpuE9ELNS1_3repE0EEENS1_30default_config_static_selectorELNS0_4arch9wavefront6targetE0EEEvT1_.has_indirect_call, 0
	.section	.AMDGPU.csdata,"",@progbits
; Kernel info:
; codeLenInByte = 0
; TotalNumSgprs: 0
; NumVgprs: 0
; ScratchSize: 0
; MemoryBound: 0
; FloatMode: 240
; IeeeMode: 1
; LDSByteSize: 0 bytes/workgroup (compile time only)
; SGPRBlocks: 0
; VGPRBlocks: 0
; NumSGPRsForWavesPerEU: 1
; NumVGPRsForWavesPerEU: 1
; Occupancy: 16
; WaveLimiterHint : 0
; COMPUTE_PGM_RSRC2:SCRATCH_EN: 0
; COMPUTE_PGM_RSRC2:USER_SGPR: 2
; COMPUTE_PGM_RSRC2:TRAP_HANDLER: 0
; COMPUTE_PGM_RSRC2:TGID_X_EN: 1
; COMPUTE_PGM_RSRC2:TGID_Y_EN: 0
; COMPUTE_PGM_RSRC2:TGID_Z_EN: 0
; COMPUTE_PGM_RSRC2:TIDIG_COMP_CNT: 0
	.section	.text._ZN7rocprim17ROCPRIM_400000_NS6detail17trampoline_kernelINS0_14default_configENS1_25partition_config_selectorILNS1_17partition_subalgoE6EjNS0_10empty_typeEbEEZZNS1_14partition_implILS5_6ELb0ES3_mN6thrust23THRUST_200600_302600_NS6detail15normal_iteratorINSA_10device_ptrIjEEEEPS6_SG_NS0_5tupleIJSF_S6_EEENSH_IJSG_SG_EEES6_PlJNSB_9not_fun_tI7is_trueIjEEEEEE10hipError_tPvRmT3_T4_T5_T6_T7_T9_mT8_P12ihipStream_tbDpT10_ENKUlT_T0_E_clISt17integral_constantIbLb1EES17_IbLb0EEEEDaS13_S14_EUlS13_E_NS1_11comp_targetILNS1_3genE4ELNS1_11target_archE910ELNS1_3gpuE8ELNS1_3repE0EEENS1_30default_config_static_selectorELNS0_4arch9wavefront6targetE0EEEvT1_,"axG",@progbits,_ZN7rocprim17ROCPRIM_400000_NS6detail17trampoline_kernelINS0_14default_configENS1_25partition_config_selectorILNS1_17partition_subalgoE6EjNS0_10empty_typeEbEEZZNS1_14partition_implILS5_6ELb0ES3_mN6thrust23THRUST_200600_302600_NS6detail15normal_iteratorINSA_10device_ptrIjEEEEPS6_SG_NS0_5tupleIJSF_S6_EEENSH_IJSG_SG_EEES6_PlJNSB_9not_fun_tI7is_trueIjEEEEEE10hipError_tPvRmT3_T4_T5_T6_T7_T9_mT8_P12ihipStream_tbDpT10_ENKUlT_T0_E_clISt17integral_constantIbLb1EES17_IbLb0EEEEDaS13_S14_EUlS13_E_NS1_11comp_targetILNS1_3genE4ELNS1_11target_archE910ELNS1_3gpuE8ELNS1_3repE0EEENS1_30default_config_static_selectorELNS0_4arch9wavefront6targetE0EEEvT1_,comdat
	.protected	_ZN7rocprim17ROCPRIM_400000_NS6detail17trampoline_kernelINS0_14default_configENS1_25partition_config_selectorILNS1_17partition_subalgoE6EjNS0_10empty_typeEbEEZZNS1_14partition_implILS5_6ELb0ES3_mN6thrust23THRUST_200600_302600_NS6detail15normal_iteratorINSA_10device_ptrIjEEEEPS6_SG_NS0_5tupleIJSF_S6_EEENSH_IJSG_SG_EEES6_PlJNSB_9not_fun_tI7is_trueIjEEEEEE10hipError_tPvRmT3_T4_T5_T6_T7_T9_mT8_P12ihipStream_tbDpT10_ENKUlT_T0_E_clISt17integral_constantIbLb1EES17_IbLb0EEEEDaS13_S14_EUlS13_E_NS1_11comp_targetILNS1_3genE4ELNS1_11target_archE910ELNS1_3gpuE8ELNS1_3repE0EEENS1_30default_config_static_selectorELNS0_4arch9wavefront6targetE0EEEvT1_ ; -- Begin function _ZN7rocprim17ROCPRIM_400000_NS6detail17trampoline_kernelINS0_14default_configENS1_25partition_config_selectorILNS1_17partition_subalgoE6EjNS0_10empty_typeEbEEZZNS1_14partition_implILS5_6ELb0ES3_mN6thrust23THRUST_200600_302600_NS6detail15normal_iteratorINSA_10device_ptrIjEEEEPS6_SG_NS0_5tupleIJSF_S6_EEENSH_IJSG_SG_EEES6_PlJNSB_9not_fun_tI7is_trueIjEEEEEE10hipError_tPvRmT3_T4_T5_T6_T7_T9_mT8_P12ihipStream_tbDpT10_ENKUlT_T0_E_clISt17integral_constantIbLb1EES17_IbLb0EEEEDaS13_S14_EUlS13_E_NS1_11comp_targetILNS1_3genE4ELNS1_11target_archE910ELNS1_3gpuE8ELNS1_3repE0EEENS1_30default_config_static_selectorELNS0_4arch9wavefront6targetE0EEEvT1_
	.globl	_ZN7rocprim17ROCPRIM_400000_NS6detail17trampoline_kernelINS0_14default_configENS1_25partition_config_selectorILNS1_17partition_subalgoE6EjNS0_10empty_typeEbEEZZNS1_14partition_implILS5_6ELb0ES3_mN6thrust23THRUST_200600_302600_NS6detail15normal_iteratorINSA_10device_ptrIjEEEEPS6_SG_NS0_5tupleIJSF_S6_EEENSH_IJSG_SG_EEES6_PlJNSB_9not_fun_tI7is_trueIjEEEEEE10hipError_tPvRmT3_T4_T5_T6_T7_T9_mT8_P12ihipStream_tbDpT10_ENKUlT_T0_E_clISt17integral_constantIbLb1EES17_IbLb0EEEEDaS13_S14_EUlS13_E_NS1_11comp_targetILNS1_3genE4ELNS1_11target_archE910ELNS1_3gpuE8ELNS1_3repE0EEENS1_30default_config_static_selectorELNS0_4arch9wavefront6targetE0EEEvT1_
	.p2align	8
	.type	_ZN7rocprim17ROCPRIM_400000_NS6detail17trampoline_kernelINS0_14default_configENS1_25partition_config_selectorILNS1_17partition_subalgoE6EjNS0_10empty_typeEbEEZZNS1_14partition_implILS5_6ELb0ES3_mN6thrust23THRUST_200600_302600_NS6detail15normal_iteratorINSA_10device_ptrIjEEEEPS6_SG_NS0_5tupleIJSF_S6_EEENSH_IJSG_SG_EEES6_PlJNSB_9not_fun_tI7is_trueIjEEEEEE10hipError_tPvRmT3_T4_T5_T6_T7_T9_mT8_P12ihipStream_tbDpT10_ENKUlT_T0_E_clISt17integral_constantIbLb1EES17_IbLb0EEEEDaS13_S14_EUlS13_E_NS1_11comp_targetILNS1_3genE4ELNS1_11target_archE910ELNS1_3gpuE8ELNS1_3repE0EEENS1_30default_config_static_selectorELNS0_4arch9wavefront6targetE0EEEvT1_,@function
_ZN7rocprim17ROCPRIM_400000_NS6detail17trampoline_kernelINS0_14default_configENS1_25partition_config_selectorILNS1_17partition_subalgoE6EjNS0_10empty_typeEbEEZZNS1_14partition_implILS5_6ELb0ES3_mN6thrust23THRUST_200600_302600_NS6detail15normal_iteratorINSA_10device_ptrIjEEEEPS6_SG_NS0_5tupleIJSF_S6_EEENSH_IJSG_SG_EEES6_PlJNSB_9not_fun_tI7is_trueIjEEEEEE10hipError_tPvRmT3_T4_T5_T6_T7_T9_mT8_P12ihipStream_tbDpT10_ENKUlT_T0_E_clISt17integral_constantIbLb1EES17_IbLb0EEEEDaS13_S14_EUlS13_E_NS1_11comp_targetILNS1_3genE4ELNS1_11target_archE910ELNS1_3gpuE8ELNS1_3repE0EEENS1_30default_config_static_selectorELNS0_4arch9wavefront6targetE0EEEvT1_: ; @_ZN7rocprim17ROCPRIM_400000_NS6detail17trampoline_kernelINS0_14default_configENS1_25partition_config_selectorILNS1_17partition_subalgoE6EjNS0_10empty_typeEbEEZZNS1_14partition_implILS5_6ELb0ES3_mN6thrust23THRUST_200600_302600_NS6detail15normal_iteratorINSA_10device_ptrIjEEEEPS6_SG_NS0_5tupleIJSF_S6_EEENSH_IJSG_SG_EEES6_PlJNSB_9not_fun_tI7is_trueIjEEEEEE10hipError_tPvRmT3_T4_T5_T6_T7_T9_mT8_P12ihipStream_tbDpT10_ENKUlT_T0_E_clISt17integral_constantIbLb1EES17_IbLb0EEEEDaS13_S14_EUlS13_E_NS1_11comp_targetILNS1_3genE4ELNS1_11target_archE910ELNS1_3gpuE8ELNS1_3repE0EEENS1_30default_config_static_selectorELNS0_4arch9wavefront6targetE0EEEvT1_
; %bb.0:
	.section	.rodata,"a",@progbits
	.p2align	6, 0x0
	.amdhsa_kernel _ZN7rocprim17ROCPRIM_400000_NS6detail17trampoline_kernelINS0_14default_configENS1_25partition_config_selectorILNS1_17partition_subalgoE6EjNS0_10empty_typeEbEEZZNS1_14partition_implILS5_6ELb0ES3_mN6thrust23THRUST_200600_302600_NS6detail15normal_iteratorINSA_10device_ptrIjEEEEPS6_SG_NS0_5tupleIJSF_S6_EEENSH_IJSG_SG_EEES6_PlJNSB_9not_fun_tI7is_trueIjEEEEEE10hipError_tPvRmT3_T4_T5_T6_T7_T9_mT8_P12ihipStream_tbDpT10_ENKUlT_T0_E_clISt17integral_constantIbLb1EES17_IbLb0EEEEDaS13_S14_EUlS13_E_NS1_11comp_targetILNS1_3genE4ELNS1_11target_archE910ELNS1_3gpuE8ELNS1_3repE0EEENS1_30default_config_static_selectorELNS0_4arch9wavefront6targetE0EEEvT1_
		.amdhsa_group_segment_fixed_size 0
		.amdhsa_private_segment_fixed_size 0
		.amdhsa_kernarg_size 112
		.amdhsa_user_sgpr_count 2
		.amdhsa_user_sgpr_dispatch_ptr 0
		.amdhsa_user_sgpr_queue_ptr 0
		.amdhsa_user_sgpr_kernarg_segment_ptr 1
		.amdhsa_user_sgpr_dispatch_id 0
		.amdhsa_user_sgpr_private_segment_size 0
		.amdhsa_wavefront_size32 1
		.amdhsa_uses_dynamic_stack 0
		.amdhsa_enable_private_segment 0
		.amdhsa_system_sgpr_workgroup_id_x 1
		.amdhsa_system_sgpr_workgroup_id_y 0
		.amdhsa_system_sgpr_workgroup_id_z 0
		.amdhsa_system_sgpr_workgroup_info 0
		.amdhsa_system_vgpr_workitem_id 0
		.amdhsa_next_free_vgpr 1
		.amdhsa_next_free_sgpr 1
		.amdhsa_reserve_vcc 0
		.amdhsa_float_round_mode_32 0
		.amdhsa_float_round_mode_16_64 0
		.amdhsa_float_denorm_mode_32 3
		.amdhsa_float_denorm_mode_16_64 3
		.amdhsa_fp16_overflow 0
		.amdhsa_workgroup_processor_mode 1
		.amdhsa_memory_ordered 1
		.amdhsa_forward_progress 1
		.amdhsa_inst_pref_size 0
		.amdhsa_round_robin_scheduling 0
		.amdhsa_exception_fp_ieee_invalid_op 0
		.amdhsa_exception_fp_denorm_src 0
		.amdhsa_exception_fp_ieee_div_zero 0
		.amdhsa_exception_fp_ieee_overflow 0
		.amdhsa_exception_fp_ieee_underflow 0
		.amdhsa_exception_fp_ieee_inexact 0
		.amdhsa_exception_int_div_zero 0
	.end_amdhsa_kernel
	.section	.text._ZN7rocprim17ROCPRIM_400000_NS6detail17trampoline_kernelINS0_14default_configENS1_25partition_config_selectorILNS1_17partition_subalgoE6EjNS0_10empty_typeEbEEZZNS1_14partition_implILS5_6ELb0ES3_mN6thrust23THRUST_200600_302600_NS6detail15normal_iteratorINSA_10device_ptrIjEEEEPS6_SG_NS0_5tupleIJSF_S6_EEENSH_IJSG_SG_EEES6_PlJNSB_9not_fun_tI7is_trueIjEEEEEE10hipError_tPvRmT3_T4_T5_T6_T7_T9_mT8_P12ihipStream_tbDpT10_ENKUlT_T0_E_clISt17integral_constantIbLb1EES17_IbLb0EEEEDaS13_S14_EUlS13_E_NS1_11comp_targetILNS1_3genE4ELNS1_11target_archE910ELNS1_3gpuE8ELNS1_3repE0EEENS1_30default_config_static_selectorELNS0_4arch9wavefront6targetE0EEEvT1_,"axG",@progbits,_ZN7rocprim17ROCPRIM_400000_NS6detail17trampoline_kernelINS0_14default_configENS1_25partition_config_selectorILNS1_17partition_subalgoE6EjNS0_10empty_typeEbEEZZNS1_14partition_implILS5_6ELb0ES3_mN6thrust23THRUST_200600_302600_NS6detail15normal_iteratorINSA_10device_ptrIjEEEEPS6_SG_NS0_5tupleIJSF_S6_EEENSH_IJSG_SG_EEES6_PlJNSB_9not_fun_tI7is_trueIjEEEEEE10hipError_tPvRmT3_T4_T5_T6_T7_T9_mT8_P12ihipStream_tbDpT10_ENKUlT_T0_E_clISt17integral_constantIbLb1EES17_IbLb0EEEEDaS13_S14_EUlS13_E_NS1_11comp_targetILNS1_3genE4ELNS1_11target_archE910ELNS1_3gpuE8ELNS1_3repE0EEENS1_30default_config_static_selectorELNS0_4arch9wavefront6targetE0EEEvT1_,comdat
.Lfunc_end1159:
	.size	_ZN7rocprim17ROCPRIM_400000_NS6detail17trampoline_kernelINS0_14default_configENS1_25partition_config_selectorILNS1_17partition_subalgoE6EjNS0_10empty_typeEbEEZZNS1_14partition_implILS5_6ELb0ES3_mN6thrust23THRUST_200600_302600_NS6detail15normal_iteratorINSA_10device_ptrIjEEEEPS6_SG_NS0_5tupleIJSF_S6_EEENSH_IJSG_SG_EEES6_PlJNSB_9not_fun_tI7is_trueIjEEEEEE10hipError_tPvRmT3_T4_T5_T6_T7_T9_mT8_P12ihipStream_tbDpT10_ENKUlT_T0_E_clISt17integral_constantIbLb1EES17_IbLb0EEEEDaS13_S14_EUlS13_E_NS1_11comp_targetILNS1_3genE4ELNS1_11target_archE910ELNS1_3gpuE8ELNS1_3repE0EEENS1_30default_config_static_selectorELNS0_4arch9wavefront6targetE0EEEvT1_, .Lfunc_end1159-_ZN7rocprim17ROCPRIM_400000_NS6detail17trampoline_kernelINS0_14default_configENS1_25partition_config_selectorILNS1_17partition_subalgoE6EjNS0_10empty_typeEbEEZZNS1_14partition_implILS5_6ELb0ES3_mN6thrust23THRUST_200600_302600_NS6detail15normal_iteratorINSA_10device_ptrIjEEEEPS6_SG_NS0_5tupleIJSF_S6_EEENSH_IJSG_SG_EEES6_PlJNSB_9not_fun_tI7is_trueIjEEEEEE10hipError_tPvRmT3_T4_T5_T6_T7_T9_mT8_P12ihipStream_tbDpT10_ENKUlT_T0_E_clISt17integral_constantIbLb1EES17_IbLb0EEEEDaS13_S14_EUlS13_E_NS1_11comp_targetILNS1_3genE4ELNS1_11target_archE910ELNS1_3gpuE8ELNS1_3repE0EEENS1_30default_config_static_selectorELNS0_4arch9wavefront6targetE0EEEvT1_
                                        ; -- End function
	.set _ZN7rocprim17ROCPRIM_400000_NS6detail17trampoline_kernelINS0_14default_configENS1_25partition_config_selectorILNS1_17partition_subalgoE6EjNS0_10empty_typeEbEEZZNS1_14partition_implILS5_6ELb0ES3_mN6thrust23THRUST_200600_302600_NS6detail15normal_iteratorINSA_10device_ptrIjEEEEPS6_SG_NS0_5tupleIJSF_S6_EEENSH_IJSG_SG_EEES6_PlJNSB_9not_fun_tI7is_trueIjEEEEEE10hipError_tPvRmT3_T4_T5_T6_T7_T9_mT8_P12ihipStream_tbDpT10_ENKUlT_T0_E_clISt17integral_constantIbLb1EES17_IbLb0EEEEDaS13_S14_EUlS13_E_NS1_11comp_targetILNS1_3genE4ELNS1_11target_archE910ELNS1_3gpuE8ELNS1_3repE0EEENS1_30default_config_static_selectorELNS0_4arch9wavefront6targetE0EEEvT1_.num_vgpr, 0
	.set _ZN7rocprim17ROCPRIM_400000_NS6detail17trampoline_kernelINS0_14default_configENS1_25partition_config_selectorILNS1_17partition_subalgoE6EjNS0_10empty_typeEbEEZZNS1_14partition_implILS5_6ELb0ES3_mN6thrust23THRUST_200600_302600_NS6detail15normal_iteratorINSA_10device_ptrIjEEEEPS6_SG_NS0_5tupleIJSF_S6_EEENSH_IJSG_SG_EEES6_PlJNSB_9not_fun_tI7is_trueIjEEEEEE10hipError_tPvRmT3_T4_T5_T6_T7_T9_mT8_P12ihipStream_tbDpT10_ENKUlT_T0_E_clISt17integral_constantIbLb1EES17_IbLb0EEEEDaS13_S14_EUlS13_E_NS1_11comp_targetILNS1_3genE4ELNS1_11target_archE910ELNS1_3gpuE8ELNS1_3repE0EEENS1_30default_config_static_selectorELNS0_4arch9wavefront6targetE0EEEvT1_.num_agpr, 0
	.set _ZN7rocprim17ROCPRIM_400000_NS6detail17trampoline_kernelINS0_14default_configENS1_25partition_config_selectorILNS1_17partition_subalgoE6EjNS0_10empty_typeEbEEZZNS1_14partition_implILS5_6ELb0ES3_mN6thrust23THRUST_200600_302600_NS6detail15normal_iteratorINSA_10device_ptrIjEEEEPS6_SG_NS0_5tupleIJSF_S6_EEENSH_IJSG_SG_EEES6_PlJNSB_9not_fun_tI7is_trueIjEEEEEE10hipError_tPvRmT3_T4_T5_T6_T7_T9_mT8_P12ihipStream_tbDpT10_ENKUlT_T0_E_clISt17integral_constantIbLb1EES17_IbLb0EEEEDaS13_S14_EUlS13_E_NS1_11comp_targetILNS1_3genE4ELNS1_11target_archE910ELNS1_3gpuE8ELNS1_3repE0EEENS1_30default_config_static_selectorELNS0_4arch9wavefront6targetE0EEEvT1_.numbered_sgpr, 0
	.set _ZN7rocprim17ROCPRIM_400000_NS6detail17trampoline_kernelINS0_14default_configENS1_25partition_config_selectorILNS1_17partition_subalgoE6EjNS0_10empty_typeEbEEZZNS1_14partition_implILS5_6ELb0ES3_mN6thrust23THRUST_200600_302600_NS6detail15normal_iteratorINSA_10device_ptrIjEEEEPS6_SG_NS0_5tupleIJSF_S6_EEENSH_IJSG_SG_EEES6_PlJNSB_9not_fun_tI7is_trueIjEEEEEE10hipError_tPvRmT3_T4_T5_T6_T7_T9_mT8_P12ihipStream_tbDpT10_ENKUlT_T0_E_clISt17integral_constantIbLb1EES17_IbLb0EEEEDaS13_S14_EUlS13_E_NS1_11comp_targetILNS1_3genE4ELNS1_11target_archE910ELNS1_3gpuE8ELNS1_3repE0EEENS1_30default_config_static_selectorELNS0_4arch9wavefront6targetE0EEEvT1_.num_named_barrier, 0
	.set _ZN7rocprim17ROCPRIM_400000_NS6detail17trampoline_kernelINS0_14default_configENS1_25partition_config_selectorILNS1_17partition_subalgoE6EjNS0_10empty_typeEbEEZZNS1_14partition_implILS5_6ELb0ES3_mN6thrust23THRUST_200600_302600_NS6detail15normal_iteratorINSA_10device_ptrIjEEEEPS6_SG_NS0_5tupleIJSF_S6_EEENSH_IJSG_SG_EEES6_PlJNSB_9not_fun_tI7is_trueIjEEEEEE10hipError_tPvRmT3_T4_T5_T6_T7_T9_mT8_P12ihipStream_tbDpT10_ENKUlT_T0_E_clISt17integral_constantIbLb1EES17_IbLb0EEEEDaS13_S14_EUlS13_E_NS1_11comp_targetILNS1_3genE4ELNS1_11target_archE910ELNS1_3gpuE8ELNS1_3repE0EEENS1_30default_config_static_selectorELNS0_4arch9wavefront6targetE0EEEvT1_.private_seg_size, 0
	.set _ZN7rocprim17ROCPRIM_400000_NS6detail17trampoline_kernelINS0_14default_configENS1_25partition_config_selectorILNS1_17partition_subalgoE6EjNS0_10empty_typeEbEEZZNS1_14partition_implILS5_6ELb0ES3_mN6thrust23THRUST_200600_302600_NS6detail15normal_iteratorINSA_10device_ptrIjEEEEPS6_SG_NS0_5tupleIJSF_S6_EEENSH_IJSG_SG_EEES6_PlJNSB_9not_fun_tI7is_trueIjEEEEEE10hipError_tPvRmT3_T4_T5_T6_T7_T9_mT8_P12ihipStream_tbDpT10_ENKUlT_T0_E_clISt17integral_constantIbLb1EES17_IbLb0EEEEDaS13_S14_EUlS13_E_NS1_11comp_targetILNS1_3genE4ELNS1_11target_archE910ELNS1_3gpuE8ELNS1_3repE0EEENS1_30default_config_static_selectorELNS0_4arch9wavefront6targetE0EEEvT1_.uses_vcc, 0
	.set _ZN7rocprim17ROCPRIM_400000_NS6detail17trampoline_kernelINS0_14default_configENS1_25partition_config_selectorILNS1_17partition_subalgoE6EjNS0_10empty_typeEbEEZZNS1_14partition_implILS5_6ELb0ES3_mN6thrust23THRUST_200600_302600_NS6detail15normal_iteratorINSA_10device_ptrIjEEEEPS6_SG_NS0_5tupleIJSF_S6_EEENSH_IJSG_SG_EEES6_PlJNSB_9not_fun_tI7is_trueIjEEEEEE10hipError_tPvRmT3_T4_T5_T6_T7_T9_mT8_P12ihipStream_tbDpT10_ENKUlT_T0_E_clISt17integral_constantIbLb1EES17_IbLb0EEEEDaS13_S14_EUlS13_E_NS1_11comp_targetILNS1_3genE4ELNS1_11target_archE910ELNS1_3gpuE8ELNS1_3repE0EEENS1_30default_config_static_selectorELNS0_4arch9wavefront6targetE0EEEvT1_.uses_flat_scratch, 0
	.set _ZN7rocprim17ROCPRIM_400000_NS6detail17trampoline_kernelINS0_14default_configENS1_25partition_config_selectorILNS1_17partition_subalgoE6EjNS0_10empty_typeEbEEZZNS1_14partition_implILS5_6ELb0ES3_mN6thrust23THRUST_200600_302600_NS6detail15normal_iteratorINSA_10device_ptrIjEEEEPS6_SG_NS0_5tupleIJSF_S6_EEENSH_IJSG_SG_EEES6_PlJNSB_9not_fun_tI7is_trueIjEEEEEE10hipError_tPvRmT3_T4_T5_T6_T7_T9_mT8_P12ihipStream_tbDpT10_ENKUlT_T0_E_clISt17integral_constantIbLb1EES17_IbLb0EEEEDaS13_S14_EUlS13_E_NS1_11comp_targetILNS1_3genE4ELNS1_11target_archE910ELNS1_3gpuE8ELNS1_3repE0EEENS1_30default_config_static_selectorELNS0_4arch9wavefront6targetE0EEEvT1_.has_dyn_sized_stack, 0
	.set _ZN7rocprim17ROCPRIM_400000_NS6detail17trampoline_kernelINS0_14default_configENS1_25partition_config_selectorILNS1_17partition_subalgoE6EjNS0_10empty_typeEbEEZZNS1_14partition_implILS5_6ELb0ES3_mN6thrust23THRUST_200600_302600_NS6detail15normal_iteratorINSA_10device_ptrIjEEEEPS6_SG_NS0_5tupleIJSF_S6_EEENSH_IJSG_SG_EEES6_PlJNSB_9not_fun_tI7is_trueIjEEEEEE10hipError_tPvRmT3_T4_T5_T6_T7_T9_mT8_P12ihipStream_tbDpT10_ENKUlT_T0_E_clISt17integral_constantIbLb1EES17_IbLb0EEEEDaS13_S14_EUlS13_E_NS1_11comp_targetILNS1_3genE4ELNS1_11target_archE910ELNS1_3gpuE8ELNS1_3repE0EEENS1_30default_config_static_selectorELNS0_4arch9wavefront6targetE0EEEvT1_.has_recursion, 0
	.set _ZN7rocprim17ROCPRIM_400000_NS6detail17trampoline_kernelINS0_14default_configENS1_25partition_config_selectorILNS1_17partition_subalgoE6EjNS0_10empty_typeEbEEZZNS1_14partition_implILS5_6ELb0ES3_mN6thrust23THRUST_200600_302600_NS6detail15normal_iteratorINSA_10device_ptrIjEEEEPS6_SG_NS0_5tupleIJSF_S6_EEENSH_IJSG_SG_EEES6_PlJNSB_9not_fun_tI7is_trueIjEEEEEE10hipError_tPvRmT3_T4_T5_T6_T7_T9_mT8_P12ihipStream_tbDpT10_ENKUlT_T0_E_clISt17integral_constantIbLb1EES17_IbLb0EEEEDaS13_S14_EUlS13_E_NS1_11comp_targetILNS1_3genE4ELNS1_11target_archE910ELNS1_3gpuE8ELNS1_3repE0EEENS1_30default_config_static_selectorELNS0_4arch9wavefront6targetE0EEEvT1_.has_indirect_call, 0
	.section	.AMDGPU.csdata,"",@progbits
; Kernel info:
; codeLenInByte = 0
; TotalNumSgprs: 0
; NumVgprs: 0
; ScratchSize: 0
; MemoryBound: 0
; FloatMode: 240
; IeeeMode: 1
; LDSByteSize: 0 bytes/workgroup (compile time only)
; SGPRBlocks: 0
; VGPRBlocks: 0
; NumSGPRsForWavesPerEU: 1
; NumVGPRsForWavesPerEU: 1
; Occupancy: 16
; WaveLimiterHint : 0
; COMPUTE_PGM_RSRC2:SCRATCH_EN: 0
; COMPUTE_PGM_RSRC2:USER_SGPR: 2
; COMPUTE_PGM_RSRC2:TRAP_HANDLER: 0
; COMPUTE_PGM_RSRC2:TGID_X_EN: 1
; COMPUTE_PGM_RSRC2:TGID_Y_EN: 0
; COMPUTE_PGM_RSRC2:TGID_Z_EN: 0
; COMPUTE_PGM_RSRC2:TIDIG_COMP_CNT: 0
	.section	.text._ZN7rocprim17ROCPRIM_400000_NS6detail17trampoline_kernelINS0_14default_configENS1_25partition_config_selectorILNS1_17partition_subalgoE6EjNS0_10empty_typeEbEEZZNS1_14partition_implILS5_6ELb0ES3_mN6thrust23THRUST_200600_302600_NS6detail15normal_iteratorINSA_10device_ptrIjEEEEPS6_SG_NS0_5tupleIJSF_S6_EEENSH_IJSG_SG_EEES6_PlJNSB_9not_fun_tI7is_trueIjEEEEEE10hipError_tPvRmT3_T4_T5_T6_T7_T9_mT8_P12ihipStream_tbDpT10_ENKUlT_T0_E_clISt17integral_constantIbLb1EES17_IbLb0EEEEDaS13_S14_EUlS13_E_NS1_11comp_targetILNS1_3genE3ELNS1_11target_archE908ELNS1_3gpuE7ELNS1_3repE0EEENS1_30default_config_static_selectorELNS0_4arch9wavefront6targetE0EEEvT1_,"axG",@progbits,_ZN7rocprim17ROCPRIM_400000_NS6detail17trampoline_kernelINS0_14default_configENS1_25partition_config_selectorILNS1_17partition_subalgoE6EjNS0_10empty_typeEbEEZZNS1_14partition_implILS5_6ELb0ES3_mN6thrust23THRUST_200600_302600_NS6detail15normal_iteratorINSA_10device_ptrIjEEEEPS6_SG_NS0_5tupleIJSF_S6_EEENSH_IJSG_SG_EEES6_PlJNSB_9not_fun_tI7is_trueIjEEEEEE10hipError_tPvRmT3_T4_T5_T6_T7_T9_mT8_P12ihipStream_tbDpT10_ENKUlT_T0_E_clISt17integral_constantIbLb1EES17_IbLb0EEEEDaS13_S14_EUlS13_E_NS1_11comp_targetILNS1_3genE3ELNS1_11target_archE908ELNS1_3gpuE7ELNS1_3repE0EEENS1_30default_config_static_selectorELNS0_4arch9wavefront6targetE0EEEvT1_,comdat
	.protected	_ZN7rocprim17ROCPRIM_400000_NS6detail17trampoline_kernelINS0_14default_configENS1_25partition_config_selectorILNS1_17partition_subalgoE6EjNS0_10empty_typeEbEEZZNS1_14partition_implILS5_6ELb0ES3_mN6thrust23THRUST_200600_302600_NS6detail15normal_iteratorINSA_10device_ptrIjEEEEPS6_SG_NS0_5tupleIJSF_S6_EEENSH_IJSG_SG_EEES6_PlJNSB_9not_fun_tI7is_trueIjEEEEEE10hipError_tPvRmT3_T4_T5_T6_T7_T9_mT8_P12ihipStream_tbDpT10_ENKUlT_T0_E_clISt17integral_constantIbLb1EES17_IbLb0EEEEDaS13_S14_EUlS13_E_NS1_11comp_targetILNS1_3genE3ELNS1_11target_archE908ELNS1_3gpuE7ELNS1_3repE0EEENS1_30default_config_static_selectorELNS0_4arch9wavefront6targetE0EEEvT1_ ; -- Begin function _ZN7rocprim17ROCPRIM_400000_NS6detail17trampoline_kernelINS0_14default_configENS1_25partition_config_selectorILNS1_17partition_subalgoE6EjNS0_10empty_typeEbEEZZNS1_14partition_implILS5_6ELb0ES3_mN6thrust23THRUST_200600_302600_NS6detail15normal_iteratorINSA_10device_ptrIjEEEEPS6_SG_NS0_5tupleIJSF_S6_EEENSH_IJSG_SG_EEES6_PlJNSB_9not_fun_tI7is_trueIjEEEEEE10hipError_tPvRmT3_T4_T5_T6_T7_T9_mT8_P12ihipStream_tbDpT10_ENKUlT_T0_E_clISt17integral_constantIbLb1EES17_IbLb0EEEEDaS13_S14_EUlS13_E_NS1_11comp_targetILNS1_3genE3ELNS1_11target_archE908ELNS1_3gpuE7ELNS1_3repE0EEENS1_30default_config_static_selectorELNS0_4arch9wavefront6targetE0EEEvT1_
	.globl	_ZN7rocprim17ROCPRIM_400000_NS6detail17trampoline_kernelINS0_14default_configENS1_25partition_config_selectorILNS1_17partition_subalgoE6EjNS0_10empty_typeEbEEZZNS1_14partition_implILS5_6ELb0ES3_mN6thrust23THRUST_200600_302600_NS6detail15normal_iteratorINSA_10device_ptrIjEEEEPS6_SG_NS0_5tupleIJSF_S6_EEENSH_IJSG_SG_EEES6_PlJNSB_9not_fun_tI7is_trueIjEEEEEE10hipError_tPvRmT3_T4_T5_T6_T7_T9_mT8_P12ihipStream_tbDpT10_ENKUlT_T0_E_clISt17integral_constantIbLb1EES17_IbLb0EEEEDaS13_S14_EUlS13_E_NS1_11comp_targetILNS1_3genE3ELNS1_11target_archE908ELNS1_3gpuE7ELNS1_3repE0EEENS1_30default_config_static_selectorELNS0_4arch9wavefront6targetE0EEEvT1_
	.p2align	8
	.type	_ZN7rocprim17ROCPRIM_400000_NS6detail17trampoline_kernelINS0_14default_configENS1_25partition_config_selectorILNS1_17partition_subalgoE6EjNS0_10empty_typeEbEEZZNS1_14partition_implILS5_6ELb0ES3_mN6thrust23THRUST_200600_302600_NS6detail15normal_iteratorINSA_10device_ptrIjEEEEPS6_SG_NS0_5tupleIJSF_S6_EEENSH_IJSG_SG_EEES6_PlJNSB_9not_fun_tI7is_trueIjEEEEEE10hipError_tPvRmT3_T4_T5_T6_T7_T9_mT8_P12ihipStream_tbDpT10_ENKUlT_T0_E_clISt17integral_constantIbLb1EES17_IbLb0EEEEDaS13_S14_EUlS13_E_NS1_11comp_targetILNS1_3genE3ELNS1_11target_archE908ELNS1_3gpuE7ELNS1_3repE0EEENS1_30default_config_static_selectorELNS0_4arch9wavefront6targetE0EEEvT1_,@function
_ZN7rocprim17ROCPRIM_400000_NS6detail17trampoline_kernelINS0_14default_configENS1_25partition_config_selectorILNS1_17partition_subalgoE6EjNS0_10empty_typeEbEEZZNS1_14partition_implILS5_6ELb0ES3_mN6thrust23THRUST_200600_302600_NS6detail15normal_iteratorINSA_10device_ptrIjEEEEPS6_SG_NS0_5tupleIJSF_S6_EEENSH_IJSG_SG_EEES6_PlJNSB_9not_fun_tI7is_trueIjEEEEEE10hipError_tPvRmT3_T4_T5_T6_T7_T9_mT8_P12ihipStream_tbDpT10_ENKUlT_T0_E_clISt17integral_constantIbLb1EES17_IbLb0EEEEDaS13_S14_EUlS13_E_NS1_11comp_targetILNS1_3genE3ELNS1_11target_archE908ELNS1_3gpuE7ELNS1_3repE0EEENS1_30default_config_static_selectorELNS0_4arch9wavefront6targetE0EEEvT1_: ; @_ZN7rocprim17ROCPRIM_400000_NS6detail17trampoline_kernelINS0_14default_configENS1_25partition_config_selectorILNS1_17partition_subalgoE6EjNS0_10empty_typeEbEEZZNS1_14partition_implILS5_6ELb0ES3_mN6thrust23THRUST_200600_302600_NS6detail15normal_iteratorINSA_10device_ptrIjEEEEPS6_SG_NS0_5tupleIJSF_S6_EEENSH_IJSG_SG_EEES6_PlJNSB_9not_fun_tI7is_trueIjEEEEEE10hipError_tPvRmT3_T4_T5_T6_T7_T9_mT8_P12ihipStream_tbDpT10_ENKUlT_T0_E_clISt17integral_constantIbLb1EES17_IbLb0EEEEDaS13_S14_EUlS13_E_NS1_11comp_targetILNS1_3genE3ELNS1_11target_archE908ELNS1_3gpuE7ELNS1_3repE0EEENS1_30default_config_static_selectorELNS0_4arch9wavefront6targetE0EEEvT1_
; %bb.0:
	.section	.rodata,"a",@progbits
	.p2align	6, 0x0
	.amdhsa_kernel _ZN7rocprim17ROCPRIM_400000_NS6detail17trampoline_kernelINS0_14default_configENS1_25partition_config_selectorILNS1_17partition_subalgoE6EjNS0_10empty_typeEbEEZZNS1_14partition_implILS5_6ELb0ES3_mN6thrust23THRUST_200600_302600_NS6detail15normal_iteratorINSA_10device_ptrIjEEEEPS6_SG_NS0_5tupleIJSF_S6_EEENSH_IJSG_SG_EEES6_PlJNSB_9not_fun_tI7is_trueIjEEEEEE10hipError_tPvRmT3_T4_T5_T6_T7_T9_mT8_P12ihipStream_tbDpT10_ENKUlT_T0_E_clISt17integral_constantIbLb1EES17_IbLb0EEEEDaS13_S14_EUlS13_E_NS1_11comp_targetILNS1_3genE3ELNS1_11target_archE908ELNS1_3gpuE7ELNS1_3repE0EEENS1_30default_config_static_selectorELNS0_4arch9wavefront6targetE0EEEvT1_
		.amdhsa_group_segment_fixed_size 0
		.amdhsa_private_segment_fixed_size 0
		.amdhsa_kernarg_size 112
		.amdhsa_user_sgpr_count 2
		.amdhsa_user_sgpr_dispatch_ptr 0
		.amdhsa_user_sgpr_queue_ptr 0
		.amdhsa_user_sgpr_kernarg_segment_ptr 1
		.amdhsa_user_sgpr_dispatch_id 0
		.amdhsa_user_sgpr_private_segment_size 0
		.amdhsa_wavefront_size32 1
		.amdhsa_uses_dynamic_stack 0
		.amdhsa_enable_private_segment 0
		.amdhsa_system_sgpr_workgroup_id_x 1
		.amdhsa_system_sgpr_workgroup_id_y 0
		.amdhsa_system_sgpr_workgroup_id_z 0
		.amdhsa_system_sgpr_workgroup_info 0
		.amdhsa_system_vgpr_workitem_id 0
		.amdhsa_next_free_vgpr 1
		.amdhsa_next_free_sgpr 1
		.amdhsa_reserve_vcc 0
		.amdhsa_float_round_mode_32 0
		.amdhsa_float_round_mode_16_64 0
		.amdhsa_float_denorm_mode_32 3
		.amdhsa_float_denorm_mode_16_64 3
		.amdhsa_fp16_overflow 0
		.amdhsa_workgroup_processor_mode 1
		.amdhsa_memory_ordered 1
		.amdhsa_forward_progress 1
		.amdhsa_inst_pref_size 0
		.amdhsa_round_robin_scheduling 0
		.amdhsa_exception_fp_ieee_invalid_op 0
		.amdhsa_exception_fp_denorm_src 0
		.amdhsa_exception_fp_ieee_div_zero 0
		.amdhsa_exception_fp_ieee_overflow 0
		.amdhsa_exception_fp_ieee_underflow 0
		.amdhsa_exception_fp_ieee_inexact 0
		.amdhsa_exception_int_div_zero 0
	.end_amdhsa_kernel
	.section	.text._ZN7rocprim17ROCPRIM_400000_NS6detail17trampoline_kernelINS0_14default_configENS1_25partition_config_selectorILNS1_17partition_subalgoE6EjNS0_10empty_typeEbEEZZNS1_14partition_implILS5_6ELb0ES3_mN6thrust23THRUST_200600_302600_NS6detail15normal_iteratorINSA_10device_ptrIjEEEEPS6_SG_NS0_5tupleIJSF_S6_EEENSH_IJSG_SG_EEES6_PlJNSB_9not_fun_tI7is_trueIjEEEEEE10hipError_tPvRmT3_T4_T5_T6_T7_T9_mT8_P12ihipStream_tbDpT10_ENKUlT_T0_E_clISt17integral_constantIbLb1EES17_IbLb0EEEEDaS13_S14_EUlS13_E_NS1_11comp_targetILNS1_3genE3ELNS1_11target_archE908ELNS1_3gpuE7ELNS1_3repE0EEENS1_30default_config_static_selectorELNS0_4arch9wavefront6targetE0EEEvT1_,"axG",@progbits,_ZN7rocprim17ROCPRIM_400000_NS6detail17trampoline_kernelINS0_14default_configENS1_25partition_config_selectorILNS1_17partition_subalgoE6EjNS0_10empty_typeEbEEZZNS1_14partition_implILS5_6ELb0ES3_mN6thrust23THRUST_200600_302600_NS6detail15normal_iteratorINSA_10device_ptrIjEEEEPS6_SG_NS0_5tupleIJSF_S6_EEENSH_IJSG_SG_EEES6_PlJNSB_9not_fun_tI7is_trueIjEEEEEE10hipError_tPvRmT3_T4_T5_T6_T7_T9_mT8_P12ihipStream_tbDpT10_ENKUlT_T0_E_clISt17integral_constantIbLb1EES17_IbLb0EEEEDaS13_S14_EUlS13_E_NS1_11comp_targetILNS1_3genE3ELNS1_11target_archE908ELNS1_3gpuE7ELNS1_3repE0EEENS1_30default_config_static_selectorELNS0_4arch9wavefront6targetE0EEEvT1_,comdat
.Lfunc_end1160:
	.size	_ZN7rocprim17ROCPRIM_400000_NS6detail17trampoline_kernelINS0_14default_configENS1_25partition_config_selectorILNS1_17partition_subalgoE6EjNS0_10empty_typeEbEEZZNS1_14partition_implILS5_6ELb0ES3_mN6thrust23THRUST_200600_302600_NS6detail15normal_iteratorINSA_10device_ptrIjEEEEPS6_SG_NS0_5tupleIJSF_S6_EEENSH_IJSG_SG_EEES6_PlJNSB_9not_fun_tI7is_trueIjEEEEEE10hipError_tPvRmT3_T4_T5_T6_T7_T9_mT8_P12ihipStream_tbDpT10_ENKUlT_T0_E_clISt17integral_constantIbLb1EES17_IbLb0EEEEDaS13_S14_EUlS13_E_NS1_11comp_targetILNS1_3genE3ELNS1_11target_archE908ELNS1_3gpuE7ELNS1_3repE0EEENS1_30default_config_static_selectorELNS0_4arch9wavefront6targetE0EEEvT1_, .Lfunc_end1160-_ZN7rocprim17ROCPRIM_400000_NS6detail17trampoline_kernelINS0_14default_configENS1_25partition_config_selectorILNS1_17partition_subalgoE6EjNS0_10empty_typeEbEEZZNS1_14partition_implILS5_6ELb0ES3_mN6thrust23THRUST_200600_302600_NS6detail15normal_iteratorINSA_10device_ptrIjEEEEPS6_SG_NS0_5tupleIJSF_S6_EEENSH_IJSG_SG_EEES6_PlJNSB_9not_fun_tI7is_trueIjEEEEEE10hipError_tPvRmT3_T4_T5_T6_T7_T9_mT8_P12ihipStream_tbDpT10_ENKUlT_T0_E_clISt17integral_constantIbLb1EES17_IbLb0EEEEDaS13_S14_EUlS13_E_NS1_11comp_targetILNS1_3genE3ELNS1_11target_archE908ELNS1_3gpuE7ELNS1_3repE0EEENS1_30default_config_static_selectorELNS0_4arch9wavefront6targetE0EEEvT1_
                                        ; -- End function
	.set _ZN7rocprim17ROCPRIM_400000_NS6detail17trampoline_kernelINS0_14default_configENS1_25partition_config_selectorILNS1_17partition_subalgoE6EjNS0_10empty_typeEbEEZZNS1_14partition_implILS5_6ELb0ES3_mN6thrust23THRUST_200600_302600_NS6detail15normal_iteratorINSA_10device_ptrIjEEEEPS6_SG_NS0_5tupleIJSF_S6_EEENSH_IJSG_SG_EEES6_PlJNSB_9not_fun_tI7is_trueIjEEEEEE10hipError_tPvRmT3_T4_T5_T6_T7_T9_mT8_P12ihipStream_tbDpT10_ENKUlT_T0_E_clISt17integral_constantIbLb1EES17_IbLb0EEEEDaS13_S14_EUlS13_E_NS1_11comp_targetILNS1_3genE3ELNS1_11target_archE908ELNS1_3gpuE7ELNS1_3repE0EEENS1_30default_config_static_selectorELNS0_4arch9wavefront6targetE0EEEvT1_.num_vgpr, 0
	.set _ZN7rocprim17ROCPRIM_400000_NS6detail17trampoline_kernelINS0_14default_configENS1_25partition_config_selectorILNS1_17partition_subalgoE6EjNS0_10empty_typeEbEEZZNS1_14partition_implILS5_6ELb0ES3_mN6thrust23THRUST_200600_302600_NS6detail15normal_iteratorINSA_10device_ptrIjEEEEPS6_SG_NS0_5tupleIJSF_S6_EEENSH_IJSG_SG_EEES6_PlJNSB_9not_fun_tI7is_trueIjEEEEEE10hipError_tPvRmT3_T4_T5_T6_T7_T9_mT8_P12ihipStream_tbDpT10_ENKUlT_T0_E_clISt17integral_constantIbLb1EES17_IbLb0EEEEDaS13_S14_EUlS13_E_NS1_11comp_targetILNS1_3genE3ELNS1_11target_archE908ELNS1_3gpuE7ELNS1_3repE0EEENS1_30default_config_static_selectorELNS0_4arch9wavefront6targetE0EEEvT1_.num_agpr, 0
	.set _ZN7rocprim17ROCPRIM_400000_NS6detail17trampoline_kernelINS0_14default_configENS1_25partition_config_selectorILNS1_17partition_subalgoE6EjNS0_10empty_typeEbEEZZNS1_14partition_implILS5_6ELb0ES3_mN6thrust23THRUST_200600_302600_NS6detail15normal_iteratorINSA_10device_ptrIjEEEEPS6_SG_NS0_5tupleIJSF_S6_EEENSH_IJSG_SG_EEES6_PlJNSB_9not_fun_tI7is_trueIjEEEEEE10hipError_tPvRmT3_T4_T5_T6_T7_T9_mT8_P12ihipStream_tbDpT10_ENKUlT_T0_E_clISt17integral_constantIbLb1EES17_IbLb0EEEEDaS13_S14_EUlS13_E_NS1_11comp_targetILNS1_3genE3ELNS1_11target_archE908ELNS1_3gpuE7ELNS1_3repE0EEENS1_30default_config_static_selectorELNS0_4arch9wavefront6targetE0EEEvT1_.numbered_sgpr, 0
	.set _ZN7rocprim17ROCPRIM_400000_NS6detail17trampoline_kernelINS0_14default_configENS1_25partition_config_selectorILNS1_17partition_subalgoE6EjNS0_10empty_typeEbEEZZNS1_14partition_implILS5_6ELb0ES3_mN6thrust23THRUST_200600_302600_NS6detail15normal_iteratorINSA_10device_ptrIjEEEEPS6_SG_NS0_5tupleIJSF_S6_EEENSH_IJSG_SG_EEES6_PlJNSB_9not_fun_tI7is_trueIjEEEEEE10hipError_tPvRmT3_T4_T5_T6_T7_T9_mT8_P12ihipStream_tbDpT10_ENKUlT_T0_E_clISt17integral_constantIbLb1EES17_IbLb0EEEEDaS13_S14_EUlS13_E_NS1_11comp_targetILNS1_3genE3ELNS1_11target_archE908ELNS1_3gpuE7ELNS1_3repE0EEENS1_30default_config_static_selectorELNS0_4arch9wavefront6targetE0EEEvT1_.num_named_barrier, 0
	.set _ZN7rocprim17ROCPRIM_400000_NS6detail17trampoline_kernelINS0_14default_configENS1_25partition_config_selectorILNS1_17partition_subalgoE6EjNS0_10empty_typeEbEEZZNS1_14partition_implILS5_6ELb0ES3_mN6thrust23THRUST_200600_302600_NS6detail15normal_iteratorINSA_10device_ptrIjEEEEPS6_SG_NS0_5tupleIJSF_S6_EEENSH_IJSG_SG_EEES6_PlJNSB_9not_fun_tI7is_trueIjEEEEEE10hipError_tPvRmT3_T4_T5_T6_T7_T9_mT8_P12ihipStream_tbDpT10_ENKUlT_T0_E_clISt17integral_constantIbLb1EES17_IbLb0EEEEDaS13_S14_EUlS13_E_NS1_11comp_targetILNS1_3genE3ELNS1_11target_archE908ELNS1_3gpuE7ELNS1_3repE0EEENS1_30default_config_static_selectorELNS0_4arch9wavefront6targetE0EEEvT1_.private_seg_size, 0
	.set _ZN7rocprim17ROCPRIM_400000_NS6detail17trampoline_kernelINS0_14default_configENS1_25partition_config_selectorILNS1_17partition_subalgoE6EjNS0_10empty_typeEbEEZZNS1_14partition_implILS5_6ELb0ES3_mN6thrust23THRUST_200600_302600_NS6detail15normal_iteratorINSA_10device_ptrIjEEEEPS6_SG_NS0_5tupleIJSF_S6_EEENSH_IJSG_SG_EEES6_PlJNSB_9not_fun_tI7is_trueIjEEEEEE10hipError_tPvRmT3_T4_T5_T6_T7_T9_mT8_P12ihipStream_tbDpT10_ENKUlT_T0_E_clISt17integral_constantIbLb1EES17_IbLb0EEEEDaS13_S14_EUlS13_E_NS1_11comp_targetILNS1_3genE3ELNS1_11target_archE908ELNS1_3gpuE7ELNS1_3repE0EEENS1_30default_config_static_selectorELNS0_4arch9wavefront6targetE0EEEvT1_.uses_vcc, 0
	.set _ZN7rocprim17ROCPRIM_400000_NS6detail17trampoline_kernelINS0_14default_configENS1_25partition_config_selectorILNS1_17partition_subalgoE6EjNS0_10empty_typeEbEEZZNS1_14partition_implILS5_6ELb0ES3_mN6thrust23THRUST_200600_302600_NS6detail15normal_iteratorINSA_10device_ptrIjEEEEPS6_SG_NS0_5tupleIJSF_S6_EEENSH_IJSG_SG_EEES6_PlJNSB_9not_fun_tI7is_trueIjEEEEEE10hipError_tPvRmT3_T4_T5_T6_T7_T9_mT8_P12ihipStream_tbDpT10_ENKUlT_T0_E_clISt17integral_constantIbLb1EES17_IbLb0EEEEDaS13_S14_EUlS13_E_NS1_11comp_targetILNS1_3genE3ELNS1_11target_archE908ELNS1_3gpuE7ELNS1_3repE0EEENS1_30default_config_static_selectorELNS0_4arch9wavefront6targetE0EEEvT1_.uses_flat_scratch, 0
	.set _ZN7rocprim17ROCPRIM_400000_NS6detail17trampoline_kernelINS0_14default_configENS1_25partition_config_selectorILNS1_17partition_subalgoE6EjNS0_10empty_typeEbEEZZNS1_14partition_implILS5_6ELb0ES3_mN6thrust23THRUST_200600_302600_NS6detail15normal_iteratorINSA_10device_ptrIjEEEEPS6_SG_NS0_5tupleIJSF_S6_EEENSH_IJSG_SG_EEES6_PlJNSB_9not_fun_tI7is_trueIjEEEEEE10hipError_tPvRmT3_T4_T5_T6_T7_T9_mT8_P12ihipStream_tbDpT10_ENKUlT_T0_E_clISt17integral_constantIbLb1EES17_IbLb0EEEEDaS13_S14_EUlS13_E_NS1_11comp_targetILNS1_3genE3ELNS1_11target_archE908ELNS1_3gpuE7ELNS1_3repE0EEENS1_30default_config_static_selectorELNS0_4arch9wavefront6targetE0EEEvT1_.has_dyn_sized_stack, 0
	.set _ZN7rocprim17ROCPRIM_400000_NS6detail17trampoline_kernelINS0_14default_configENS1_25partition_config_selectorILNS1_17partition_subalgoE6EjNS0_10empty_typeEbEEZZNS1_14partition_implILS5_6ELb0ES3_mN6thrust23THRUST_200600_302600_NS6detail15normal_iteratorINSA_10device_ptrIjEEEEPS6_SG_NS0_5tupleIJSF_S6_EEENSH_IJSG_SG_EEES6_PlJNSB_9not_fun_tI7is_trueIjEEEEEE10hipError_tPvRmT3_T4_T5_T6_T7_T9_mT8_P12ihipStream_tbDpT10_ENKUlT_T0_E_clISt17integral_constantIbLb1EES17_IbLb0EEEEDaS13_S14_EUlS13_E_NS1_11comp_targetILNS1_3genE3ELNS1_11target_archE908ELNS1_3gpuE7ELNS1_3repE0EEENS1_30default_config_static_selectorELNS0_4arch9wavefront6targetE0EEEvT1_.has_recursion, 0
	.set _ZN7rocprim17ROCPRIM_400000_NS6detail17trampoline_kernelINS0_14default_configENS1_25partition_config_selectorILNS1_17partition_subalgoE6EjNS0_10empty_typeEbEEZZNS1_14partition_implILS5_6ELb0ES3_mN6thrust23THRUST_200600_302600_NS6detail15normal_iteratorINSA_10device_ptrIjEEEEPS6_SG_NS0_5tupleIJSF_S6_EEENSH_IJSG_SG_EEES6_PlJNSB_9not_fun_tI7is_trueIjEEEEEE10hipError_tPvRmT3_T4_T5_T6_T7_T9_mT8_P12ihipStream_tbDpT10_ENKUlT_T0_E_clISt17integral_constantIbLb1EES17_IbLb0EEEEDaS13_S14_EUlS13_E_NS1_11comp_targetILNS1_3genE3ELNS1_11target_archE908ELNS1_3gpuE7ELNS1_3repE0EEENS1_30default_config_static_selectorELNS0_4arch9wavefront6targetE0EEEvT1_.has_indirect_call, 0
	.section	.AMDGPU.csdata,"",@progbits
; Kernel info:
; codeLenInByte = 0
; TotalNumSgprs: 0
; NumVgprs: 0
; ScratchSize: 0
; MemoryBound: 0
; FloatMode: 240
; IeeeMode: 1
; LDSByteSize: 0 bytes/workgroup (compile time only)
; SGPRBlocks: 0
; VGPRBlocks: 0
; NumSGPRsForWavesPerEU: 1
; NumVGPRsForWavesPerEU: 1
; Occupancy: 16
; WaveLimiterHint : 0
; COMPUTE_PGM_RSRC2:SCRATCH_EN: 0
; COMPUTE_PGM_RSRC2:USER_SGPR: 2
; COMPUTE_PGM_RSRC2:TRAP_HANDLER: 0
; COMPUTE_PGM_RSRC2:TGID_X_EN: 1
; COMPUTE_PGM_RSRC2:TGID_Y_EN: 0
; COMPUTE_PGM_RSRC2:TGID_Z_EN: 0
; COMPUTE_PGM_RSRC2:TIDIG_COMP_CNT: 0
	.section	.text._ZN7rocprim17ROCPRIM_400000_NS6detail17trampoline_kernelINS0_14default_configENS1_25partition_config_selectorILNS1_17partition_subalgoE6EjNS0_10empty_typeEbEEZZNS1_14partition_implILS5_6ELb0ES3_mN6thrust23THRUST_200600_302600_NS6detail15normal_iteratorINSA_10device_ptrIjEEEEPS6_SG_NS0_5tupleIJSF_S6_EEENSH_IJSG_SG_EEES6_PlJNSB_9not_fun_tI7is_trueIjEEEEEE10hipError_tPvRmT3_T4_T5_T6_T7_T9_mT8_P12ihipStream_tbDpT10_ENKUlT_T0_E_clISt17integral_constantIbLb1EES17_IbLb0EEEEDaS13_S14_EUlS13_E_NS1_11comp_targetILNS1_3genE2ELNS1_11target_archE906ELNS1_3gpuE6ELNS1_3repE0EEENS1_30default_config_static_selectorELNS0_4arch9wavefront6targetE0EEEvT1_,"axG",@progbits,_ZN7rocprim17ROCPRIM_400000_NS6detail17trampoline_kernelINS0_14default_configENS1_25partition_config_selectorILNS1_17partition_subalgoE6EjNS0_10empty_typeEbEEZZNS1_14partition_implILS5_6ELb0ES3_mN6thrust23THRUST_200600_302600_NS6detail15normal_iteratorINSA_10device_ptrIjEEEEPS6_SG_NS0_5tupleIJSF_S6_EEENSH_IJSG_SG_EEES6_PlJNSB_9not_fun_tI7is_trueIjEEEEEE10hipError_tPvRmT3_T4_T5_T6_T7_T9_mT8_P12ihipStream_tbDpT10_ENKUlT_T0_E_clISt17integral_constantIbLb1EES17_IbLb0EEEEDaS13_S14_EUlS13_E_NS1_11comp_targetILNS1_3genE2ELNS1_11target_archE906ELNS1_3gpuE6ELNS1_3repE0EEENS1_30default_config_static_selectorELNS0_4arch9wavefront6targetE0EEEvT1_,comdat
	.protected	_ZN7rocprim17ROCPRIM_400000_NS6detail17trampoline_kernelINS0_14default_configENS1_25partition_config_selectorILNS1_17partition_subalgoE6EjNS0_10empty_typeEbEEZZNS1_14partition_implILS5_6ELb0ES3_mN6thrust23THRUST_200600_302600_NS6detail15normal_iteratorINSA_10device_ptrIjEEEEPS6_SG_NS0_5tupleIJSF_S6_EEENSH_IJSG_SG_EEES6_PlJNSB_9not_fun_tI7is_trueIjEEEEEE10hipError_tPvRmT3_T4_T5_T6_T7_T9_mT8_P12ihipStream_tbDpT10_ENKUlT_T0_E_clISt17integral_constantIbLb1EES17_IbLb0EEEEDaS13_S14_EUlS13_E_NS1_11comp_targetILNS1_3genE2ELNS1_11target_archE906ELNS1_3gpuE6ELNS1_3repE0EEENS1_30default_config_static_selectorELNS0_4arch9wavefront6targetE0EEEvT1_ ; -- Begin function _ZN7rocprim17ROCPRIM_400000_NS6detail17trampoline_kernelINS0_14default_configENS1_25partition_config_selectorILNS1_17partition_subalgoE6EjNS0_10empty_typeEbEEZZNS1_14partition_implILS5_6ELb0ES3_mN6thrust23THRUST_200600_302600_NS6detail15normal_iteratorINSA_10device_ptrIjEEEEPS6_SG_NS0_5tupleIJSF_S6_EEENSH_IJSG_SG_EEES6_PlJNSB_9not_fun_tI7is_trueIjEEEEEE10hipError_tPvRmT3_T4_T5_T6_T7_T9_mT8_P12ihipStream_tbDpT10_ENKUlT_T0_E_clISt17integral_constantIbLb1EES17_IbLb0EEEEDaS13_S14_EUlS13_E_NS1_11comp_targetILNS1_3genE2ELNS1_11target_archE906ELNS1_3gpuE6ELNS1_3repE0EEENS1_30default_config_static_selectorELNS0_4arch9wavefront6targetE0EEEvT1_
	.globl	_ZN7rocprim17ROCPRIM_400000_NS6detail17trampoline_kernelINS0_14default_configENS1_25partition_config_selectorILNS1_17partition_subalgoE6EjNS0_10empty_typeEbEEZZNS1_14partition_implILS5_6ELb0ES3_mN6thrust23THRUST_200600_302600_NS6detail15normal_iteratorINSA_10device_ptrIjEEEEPS6_SG_NS0_5tupleIJSF_S6_EEENSH_IJSG_SG_EEES6_PlJNSB_9not_fun_tI7is_trueIjEEEEEE10hipError_tPvRmT3_T4_T5_T6_T7_T9_mT8_P12ihipStream_tbDpT10_ENKUlT_T0_E_clISt17integral_constantIbLb1EES17_IbLb0EEEEDaS13_S14_EUlS13_E_NS1_11comp_targetILNS1_3genE2ELNS1_11target_archE906ELNS1_3gpuE6ELNS1_3repE0EEENS1_30default_config_static_selectorELNS0_4arch9wavefront6targetE0EEEvT1_
	.p2align	8
	.type	_ZN7rocprim17ROCPRIM_400000_NS6detail17trampoline_kernelINS0_14default_configENS1_25partition_config_selectorILNS1_17partition_subalgoE6EjNS0_10empty_typeEbEEZZNS1_14partition_implILS5_6ELb0ES3_mN6thrust23THRUST_200600_302600_NS6detail15normal_iteratorINSA_10device_ptrIjEEEEPS6_SG_NS0_5tupleIJSF_S6_EEENSH_IJSG_SG_EEES6_PlJNSB_9not_fun_tI7is_trueIjEEEEEE10hipError_tPvRmT3_T4_T5_T6_T7_T9_mT8_P12ihipStream_tbDpT10_ENKUlT_T0_E_clISt17integral_constantIbLb1EES17_IbLb0EEEEDaS13_S14_EUlS13_E_NS1_11comp_targetILNS1_3genE2ELNS1_11target_archE906ELNS1_3gpuE6ELNS1_3repE0EEENS1_30default_config_static_selectorELNS0_4arch9wavefront6targetE0EEEvT1_,@function
_ZN7rocprim17ROCPRIM_400000_NS6detail17trampoline_kernelINS0_14default_configENS1_25partition_config_selectorILNS1_17partition_subalgoE6EjNS0_10empty_typeEbEEZZNS1_14partition_implILS5_6ELb0ES3_mN6thrust23THRUST_200600_302600_NS6detail15normal_iteratorINSA_10device_ptrIjEEEEPS6_SG_NS0_5tupleIJSF_S6_EEENSH_IJSG_SG_EEES6_PlJNSB_9not_fun_tI7is_trueIjEEEEEE10hipError_tPvRmT3_T4_T5_T6_T7_T9_mT8_P12ihipStream_tbDpT10_ENKUlT_T0_E_clISt17integral_constantIbLb1EES17_IbLb0EEEEDaS13_S14_EUlS13_E_NS1_11comp_targetILNS1_3genE2ELNS1_11target_archE906ELNS1_3gpuE6ELNS1_3repE0EEENS1_30default_config_static_selectorELNS0_4arch9wavefront6targetE0EEEvT1_: ; @_ZN7rocprim17ROCPRIM_400000_NS6detail17trampoline_kernelINS0_14default_configENS1_25partition_config_selectorILNS1_17partition_subalgoE6EjNS0_10empty_typeEbEEZZNS1_14partition_implILS5_6ELb0ES3_mN6thrust23THRUST_200600_302600_NS6detail15normal_iteratorINSA_10device_ptrIjEEEEPS6_SG_NS0_5tupleIJSF_S6_EEENSH_IJSG_SG_EEES6_PlJNSB_9not_fun_tI7is_trueIjEEEEEE10hipError_tPvRmT3_T4_T5_T6_T7_T9_mT8_P12ihipStream_tbDpT10_ENKUlT_T0_E_clISt17integral_constantIbLb1EES17_IbLb0EEEEDaS13_S14_EUlS13_E_NS1_11comp_targetILNS1_3genE2ELNS1_11target_archE906ELNS1_3gpuE6ELNS1_3repE0EEENS1_30default_config_static_selectorELNS0_4arch9wavefront6targetE0EEEvT1_
; %bb.0:
	.section	.rodata,"a",@progbits
	.p2align	6, 0x0
	.amdhsa_kernel _ZN7rocprim17ROCPRIM_400000_NS6detail17trampoline_kernelINS0_14default_configENS1_25partition_config_selectorILNS1_17partition_subalgoE6EjNS0_10empty_typeEbEEZZNS1_14partition_implILS5_6ELb0ES3_mN6thrust23THRUST_200600_302600_NS6detail15normal_iteratorINSA_10device_ptrIjEEEEPS6_SG_NS0_5tupleIJSF_S6_EEENSH_IJSG_SG_EEES6_PlJNSB_9not_fun_tI7is_trueIjEEEEEE10hipError_tPvRmT3_T4_T5_T6_T7_T9_mT8_P12ihipStream_tbDpT10_ENKUlT_T0_E_clISt17integral_constantIbLb1EES17_IbLb0EEEEDaS13_S14_EUlS13_E_NS1_11comp_targetILNS1_3genE2ELNS1_11target_archE906ELNS1_3gpuE6ELNS1_3repE0EEENS1_30default_config_static_selectorELNS0_4arch9wavefront6targetE0EEEvT1_
		.amdhsa_group_segment_fixed_size 0
		.amdhsa_private_segment_fixed_size 0
		.amdhsa_kernarg_size 112
		.amdhsa_user_sgpr_count 2
		.amdhsa_user_sgpr_dispatch_ptr 0
		.amdhsa_user_sgpr_queue_ptr 0
		.amdhsa_user_sgpr_kernarg_segment_ptr 1
		.amdhsa_user_sgpr_dispatch_id 0
		.amdhsa_user_sgpr_private_segment_size 0
		.amdhsa_wavefront_size32 1
		.amdhsa_uses_dynamic_stack 0
		.amdhsa_enable_private_segment 0
		.amdhsa_system_sgpr_workgroup_id_x 1
		.amdhsa_system_sgpr_workgroup_id_y 0
		.amdhsa_system_sgpr_workgroup_id_z 0
		.amdhsa_system_sgpr_workgroup_info 0
		.amdhsa_system_vgpr_workitem_id 0
		.amdhsa_next_free_vgpr 1
		.amdhsa_next_free_sgpr 1
		.amdhsa_reserve_vcc 0
		.amdhsa_float_round_mode_32 0
		.amdhsa_float_round_mode_16_64 0
		.amdhsa_float_denorm_mode_32 3
		.amdhsa_float_denorm_mode_16_64 3
		.amdhsa_fp16_overflow 0
		.amdhsa_workgroup_processor_mode 1
		.amdhsa_memory_ordered 1
		.amdhsa_forward_progress 1
		.amdhsa_inst_pref_size 0
		.amdhsa_round_robin_scheduling 0
		.amdhsa_exception_fp_ieee_invalid_op 0
		.amdhsa_exception_fp_denorm_src 0
		.amdhsa_exception_fp_ieee_div_zero 0
		.amdhsa_exception_fp_ieee_overflow 0
		.amdhsa_exception_fp_ieee_underflow 0
		.amdhsa_exception_fp_ieee_inexact 0
		.amdhsa_exception_int_div_zero 0
	.end_amdhsa_kernel
	.section	.text._ZN7rocprim17ROCPRIM_400000_NS6detail17trampoline_kernelINS0_14default_configENS1_25partition_config_selectorILNS1_17partition_subalgoE6EjNS0_10empty_typeEbEEZZNS1_14partition_implILS5_6ELb0ES3_mN6thrust23THRUST_200600_302600_NS6detail15normal_iteratorINSA_10device_ptrIjEEEEPS6_SG_NS0_5tupleIJSF_S6_EEENSH_IJSG_SG_EEES6_PlJNSB_9not_fun_tI7is_trueIjEEEEEE10hipError_tPvRmT3_T4_T5_T6_T7_T9_mT8_P12ihipStream_tbDpT10_ENKUlT_T0_E_clISt17integral_constantIbLb1EES17_IbLb0EEEEDaS13_S14_EUlS13_E_NS1_11comp_targetILNS1_3genE2ELNS1_11target_archE906ELNS1_3gpuE6ELNS1_3repE0EEENS1_30default_config_static_selectorELNS0_4arch9wavefront6targetE0EEEvT1_,"axG",@progbits,_ZN7rocprim17ROCPRIM_400000_NS6detail17trampoline_kernelINS0_14default_configENS1_25partition_config_selectorILNS1_17partition_subalgoE6EjNS0_10empty_typeEbEEZZNS1_14partition_implILS5_6ELb0ES3_mN6thrust23THRUST_200600_302600_NS6detail15normal_iteratorINSA_10device_ptrIjEEEEPS6_SG_NS0_5tupleIJSF_S6_EEENSH_IJSG_SG_EEES6_PlJNSB_9not_fun_tI7is_trueIjEEEEEE10hipError_tPvRmT3_T4_T5_T6_T7_T9_mT8_P12ihipStream_tbDpT10_ENKUlT_T0_E_clISt17integral_constantIbLb1EES17_IbLb0EEEEDaS13_S14_EUlS13_E_NS1_11comp_targetILNS1_3genE2ELNS1_11target_archE906ELNS1_3gpuE6ELNS1_3repE0EEENS1_30default_config_static_selectorELNS0_4arch9wavefront6targetE0EEEvT1_,comdat
.Lfunc_end1161:
	.size	_ZN7rocprim17ROCPRIM_400000_NS6detail17trampoline_kernelINS0_14default_configENS1_25partition_config_selectorILNS1_17partition_subalgoE6EjNS0_10empty_typeEbEEZZNS1_14partition_implILS5_6ELb0ES3_mN6thrust23THRUST_200600_302600_NS6detail15normal_iteratorINSA_10device_ptrIjEEEEPS6_SG_NS0_5tupleIJSF_S6_EEENSH_IJSG_SG_EEES6_PlJNSB_9not_fun_tI7is_trueIjEEEEEE10hipError_tPvRmT3_T4_T5_T6_T7_T9_mT8_P12ihipStream_tbDpT10_ENKUlT_T0_E_clISt17integral_constantIbLb1EES17_IbLb0EEEEDaS13_S14_EUlS13_E_NS1_11comp_targetILNS1_3genE2ELNS1_11target_archE906ELNS1_3gpuE6ELNS1_3repE0EEENS1_30default_config_static_selectorELNS0_4arch9wavefront6targetE0EEEvT1_, .Lfunc_end1161-_ZN7rocprim17ROCPRIM_400000_NS6detail17trampoline_kernelINS0_14default_configENS1_25partition_config_selectorILNS1_17partition_subalgoE6EjNS0_10empty_typeEbEEZZNS1_14partition_implILS5_6ELb0ES3_mN6thrust23THRUST_200600_302600_NS6detail15normal_iteratorINSA_10device_ptrIjEEEEPS6_SG_NS0_5tupleIJSF_S6_EEENSH_IJSG_SG_EEES6_PlJNSB_9not_fun_tI7is_trueIjEEEEEE10hipError_tPvRmT3_T4_T5_T6_T7_T9_mT8_P12ihipStream_tbDpT10_ENKUlT_T0_E_clISt17integral_constantIbLb1EES17_IbLb0EEEEDaS13_S14_EUlS13_E_NS1_11comp_targetILNS1_3genE2ELNS1_11target_archE906ELNS1_3gpuE6ELNS1_3repE0EEENS1_30default_config_static_selectorELNS0_4arch9wavefront6targetE0EEEvT1_
                                        ; -- End function
	.set _ZN7rocprim17ROCPRIM_400000_NS6detail17trampoline_kernelINS0_14default_configENS1_25partition_config_selectorILNS1_17partition_subalgoE6EjNS0_10empty_typeEbEEZZNS1_14partition_implILS5_6ELb0ES3_mN6thrust23THRUST_200600_302600_NS6detail15normal_iteratorINSA_10device_ptrIjEEEEPS6_SG_NS0_5tupleIJSF_S6_EEENSH_IJSG_SG_EEES6_PlJNSB_9not_fun_tI7is_trueIjEEEEEE10hipError_tPvRmT3_T4_T5_T6_T7_T9_mT8_P12ihipStream_tbDpT10_ENKUlT_T0_E_clISt17integral_constantIbLb1EES17_IbLb0EEEEDaS13_S14_EUlS13_E_NS1_11comp_targetILNS1_3genE2ELNS1_11target_archE906ELNS1_3gpuE6ELNS1_3repE0EEENS1_30default_config_static_selectorELNS0_4arch9wavefront6targetE0EEEvT1_.num_vgpr, 0
	.set _ZN7rocprim17ROCPRIM_400000_NS6detail17trampoline_kernelINS0_14default_configENS1_25partition_config_selectorILNS1_17partition_subalgoE6EjNS0_10empty_typeEbEEZZNS1_14partition_implILS5_6ELb0ES3_mN6thrust23THRUST_200600_302600_NS6detail15normal_iteratorINSA_10device_ptrIjEEEEPS6_SG_NS0_5tupleIJSF_S6_EEENSH_IJSG_SG_EEES6_PlJNSB_9not_fun_tI7is_trueIjEEEEEE10hipError_tPvRmT3_T4_T5_T6_T7_T9_mT8_P12ihipStream_tbDpT10_ENKUlT_T0_E_clISt17integral_constantIbLb1EES17_IbLb0EEEEDaS13_S14_EUlS13_E_NS1_11comp_targetILNS1_3genE2ELNS1_11target_archE906ELNS1_3gpuE6ELNS1_3repE0EEENS1_30default_config_static_selectorELNS0_4arch9wavefront6targetE0EEEvT1_.num_agpr, 0
	.set _ZN7rocprim17ROCPRIM_400000_NS6detail17trampoline_kernelINS0_14default_configENS1_25partition_config_selectorILNS1_17partition_subalgoE6EjNS0_10empty_typeEbEEZZNS1_14partition_implILS5_6ELb0ES3_mN6thrust23THRUST_200600_302600_NS6detail15normal_iteratorINSA_10device_ptrIjEEEEPS6_SG_NS0_5tupleIJSF_S6_EEENSH_IJSG_SG_EEES6_PlJNSB_9not_fun_tI7is_trueIjEEEEEE10hipError_tPvRmT3_T4_T5_T6_T7_T9_mT8_P12ihipStream_tbDpT10_ENKUlT_T0_E_clISt17integral_constantIbLb1EES17_IbLb0EEEEDaS13_S14_EUlS13_E_NS1_11comp_targetILNS1_3genE2ELNS1_11target_archE906ELNS1_3gpuE6ELNS1_3repE0EEENS1_30default_config_static_selectorELNS0_4arch9wavefront6targetE0EEEvT1_.numbered_sgpr, 0
	.set _ZN7rocprim17ROCPRIM_400000_NS6detail17trampoline_kernelINS0_14default_configENS1_25partition_config_selectorILNS1_17partition_subalgoE6EjNS0_10empty_typeEbEEZZNS1_14partition_implILS5_6ELb0ES3_mN6thrust23THRUST_200600_302600_NS6detail15normal_iteratorINSA_10device_ptrIjEEEEPS6_SG_NS0_5tupleIJSF_S6_EEENSH_IJSG_SG_EEES6_PlJNSB_9not_fun_tI7is_trueIjEEEEEE10hipError_tPvRmT3_T4_T5_T6_T7_T9_mT8_P12ihipStream_tbDpT10_ENKUlT_T0_E_clISt17integral_constantIbLb1EES17_IbLb0EEEEDaS13_S14_EUlS13_E_NS1_11comp_targetILNS1_3genE2ELNS1_11target_archE906ELNS1_3gpuE6ELNS1_3repE0EEENS1_30default_config_static_selectorELNS0_4arch9wavefront6targetE0EEEvT1_.num_named_barrier, 0
	.set _ZN7rocprim17ROCPRIM_400000_NS6detail17trampoline_kernelINS0_14default_configENS1_25partition_config_selectorILNS1_17partition_subalgoE6EjNS0_10empty_typeEbEEZZNS1_14partition_implILS5_6ELb0ES3_mN6thrust23THRUST_200600_302600_NS6detail15normal_iteratorINSA_10device_ptrIjEEEEPS6_SG_NS0_5tupleIJSF_S6_EEENSH_IJSG_SG_EEES6_PlJNSB_9not_fun_tI7is_trueIjEEEEEE10hipError_tPvRmT3_T4_T5_T6_T7_T9_mT8_P12ihipStream_tbDpT10_ENKUlT_T0_E_clISt17integral_constantIbLb1EES17_IbLb0EEEEDaS13_S14_EUlS13_E_NS1_11comp_targetILNS1_3genE2ELNS1_11target_archE906ELNS1_3gpuE6ELNS1_3repE0EEENS1_30default_config_static_selectorELNS0_4arch9wavefront6targetE0EEEvT1_.private_seg_size, 0
	.set _ZN7rocprim17ROCPRIM_400000_NS6detail17trampoline_kernelINS0_14default_configENS1_25partition_config_selectorILNS1_17partition_subalgoE6EjNS0_10empty_typeEbEEZZNS1_14partition_implILS5_6ELb0ES3_mN6thrust23THRUST_200600_302600_NS6detail15normal_iteratorINSA_10device_ptrIjEEEEPS6_SG_NS0_5tupleIJSF_S6_EEENSH_IJSG_SG_EEES6_PlJNSB_9not_fun_tI7is_trueIjEEEEEE10hipError_tPvRmT3_T4_T5_T6_T7_T9_mT8_P12ihipStream_tbDpT10_ENKUlT_T0_E_clISt17integral_constantIbLb1EES17_IbLb0EEEEDaS13_S14_EUlS13_E_NS1_11comp_targetILNS1_3genE2ELNS1_11target_archE906ELNS1_3gpuE6ELNS1_3repE0EEENS1_30default_config_static_selectorELNS0_4arch9wavefront6targetE0EEEvT1_.uses_vcc, 0
	.set _ZN7rocprim17ROCPRIM_400000_NS6detail17trampoline_kernelINS0_14default_configENS1_25partition_config_selectorILNS1_17partition_subalgoE6EjNS0_10empty_typeEbEEZZNS1_14partition_implILS5_6ELb0ES3_mN6thrust23THRUST_200600_302600_NS6detail15normal_iteratorINSA_10device_ptrIjEEEEPS6_SG_NS0_5tupleIJSF_S6_EEENSH_IJSG_SG_EEES6_PlJNSB_9not_fun_tI7is_trueIjEEEEEE10hipError_tPvRmT3_T4_T5_T6_T7_T9_mT8_P12ihipStream_tbDpT10_ENKUlT_T0_E_clISt17integral_constantIbLb1EES17_IbLb0EEEEDaS13_S14_EUlS13_E_NS1_11comp_targetILNS1_3genE2ELNS1_11target_archE906ELNS1_3gpuE6ELNS1_3repE0EEENS1_30default_config_static_selectorELNS0_4arch9wavefront6targetE0EEEvT1_.uses_flat_scratch, 0
	.set _ZN7rocprim17ROCPRIM_400000_NS6detail17trampoline_kernelINS0_14default_configENS1_25partition_config_selectorILNS1_17partition_subalgoE6EjNS0_10empty_typeEbEEZZNS1_14partition_implILS5_6ELb0ES3_mN6thrust23THRUST_200600_302600_NS6detail15normal_iteratorINSA_10device_ptrIjEEEEPS6_SG_NS0_5tupleIJSF_S6_EEENSH_IJSG_SG_EEES6_PlJNSB_9not_fun_tI7is_trueIjEEEEEE10hipError_tPvRmT3_T4_T5_T6_T7_T9_mT8_P12ihipStream_tbDpT10_ENKUlT_T0_E_clISt17integral_constantIbLb1EES17_IbLb0EEEEDaS13_S14_EUlS13_E_NS1_11comp_targetILNS1_3genE2ELNS1_11target_archE906ELNS1_3gpuE6ELNS1_3repE0EEENS1_30default_config_static_selectorELNS0_4arch9wavefront6targetE0EEEvT1_.has_dyn_sized_stack, 0
	.set _ZN7rocprim17ROCPRIM_400000_NS6detail17trampoline_kernelINS0_14default_configENS1_25partition_config_selectorILNS1_17partition_subalgoE6EjNS0_10empty_typeEbEEZZNS1_14partition_implILS5_6ELb0ES3_mN6thrust23THRUST_200600_302600_NS6detail15normal_iteratorINSA_10device_ptrIjEEEEPS6_SG_NS0_5tupleIJSF_S6_EEENSH_IJSG_SG_EEES6_PlJNSB_9not_fun_tI7is_trueIjEEEEEE10hipError_tPvRmT3_T4_T5_T6_T7_T9_mT8_P12ihipStream_tbDpT10_ENKUlT_T0_E_clISt17integral_constantIbLb1EES17_IbLb0EEEEDaS13_S14_EUlS13_E_NS1_11comp_targetILNS1_3genE2ELNS1_11target_archE906ELNS1_3gpuE6ELNS1_3repE0EEENS1_30default_config_static_selectorELNS0_4arch9wavefront6targetE0EEEvT1_.has_recursion, 0
	.set _ZN7rocprim17ROCPRIM_400000_NS6detail17trampoline_kernelINS0_14default_configENS1_25partition_config_selectorILNS1_17partition_subalgoE6EjNS0_10empty_typeEbEEZZNS1_14partition_implILS5_6ELb0ES3_mN6thrust23THRUST_200600_302600_NS6detail15normal_iteratorINSA_10device_ptrIjEEEEPS6_SG_NS0_5tupleIJSF_S6_EEENSH_IJSG_SG_EEES6_PlJNSB_9not_fun_tI7is_trueIjEEEEEE10hipError_tPvRmT3_T4_T5_T6_T7_T9_mT8_P12ihipStream_tbDpT10_ENKUlT_T0_E_clISt17integral_constantIbLb1EES17_IbLb0EEEEDaS13_S14_EUlS13_E_NS1_11comp_targetILNS1_3genE2ELNS1_11target_archE906ELNS1_3gpuE6ELNS1_3repE0EEENS1_30default_config_static_selectorELNS0_4arch9wavefront6targetE0EEEvT1_.has_indirect_call, 0
	.section	.AMDGPU.csdata,"",@progbits
; Kernel info:
; codeLenInByte = 0
; TotalNumSgprs: 0
; NumVgprs: 0
; ScratchSize: 0
; MemoryBound: 0
; FloatMode: 240
; IeeeMode: 1
; LDSByteSize: 0 bytes/workgroup (compile time only)
; SGPRBlocks: 0
; VGPRBlocks: 0
; NumSGPRsForWavesPerEU: 1
; NumVGPRsForWavesPerEU: 1
; Occupancy: 16
; WaveLimiterHint : 0
; COMPUTE_PGM_RSRC2:SCRATCH_EN: 0
; COMPUTE_PGM_RSRC2:USER_SGPR: 2
; COMPUTE_PGM_RSRC2:TRAP_HANDLER: 0
; COMPUTE_PGM_RSRC2:TGID_X_EN: 1
; COMPUTE_PGM_RSRC2:TGID_Y_EN: 0
; COMPUTE_PGM_RSRC2:TGID_Z_EN: 0
; COMPUTE_PGM_RSRC2:TIDIG_COMP_CNT: 0
	.section	.text._ZN7rocprim17ROCPRIM_400000_NS6detail17trampoline_kernelINS0_14default_configENS1_25partition_config_selectorILNS1_17partition_subalgoE6EjNS0_10empty_typeEbEEZZNS1_14partition_implILS5_6ELb0ES3_mN6thrust23THRUST_200600_302600_NS6detail15normal_iteratorINSA_10device_ptrIjEEEEPS6_SG_NS0_5tupleIJSF_S6_EEENSH_IJSG_SG_EEES6_PlJNSB_9not_fun_tI7is_trueIjEEEEEE10hipError_tPvRmT3_T4_T5_T6_T7_T9_mT8_P12ihipStream_tbDpT10_ENKUlT_T0_E_clISt17integral_constantIbLb1EES17_IbLb0EEEEDaS13_S14_EUlS13_E_NS1_11comp_targetILNS1_3genE10ELNS1_11target_archE1200ELNS1_3gpuE4ELNS1_3repE0EEENS1_30default_config_static_selectorELNS0_4arch9wavefront6targetE0EEEvT1_,"axG",@progbits,_ZN7rocprim17ROCPRIM_400000_NS6detail17trampoline_kernelINS0_14default_configENS1_25partition_config_selectorILNS1_17partition_subalgoE6EjNS0_10empty_typeEbEEZZNS1_14partition_implILS5_6ELb0ES3_mN6thrust23THRUST_200600_302600_NS6detail15normal_iteratorINSA_10device_ptrIjEEEEPS6_SG_NS0_5tupleIJSF_S6_EEENSH_IJSG_SG_EEES6_PlJNSB_9not_fun_tI7is_trueIjEEEEEE10hipError_tPvRmT3_T4_T5_T6_T7_T9_mT8_P12ihipStream_tbDpT10_ENKUlT_T0_E_clISt17integral_constantIbLb1EES17_IbLb0EEEEDaS13_S14_EUlS13_E_NS1_11comp_targetILNS1_3genE10ELNS1_11target_archE1200ELNS1_3gpuE4ELNS1_3repE0EEENS1_30default_config_static_selectorELNS0_4arch9wavefront6targetE0EEEvT1_,comdat
	.protected	_ZN7rocprim17ROCPRIM_400000_NS6detail17trampoline_kernelINS0_14default_configENS1_25partition_config_selectorILNS1_17partition_subalgoE6EjNS0_10empty_typeEbEEZZNS1_14partition_implILS5_6ELb0ES3_mN6thrust23THRUST_200600_302600_NS6detail15normal_iteratorINSA_10device_ptrIjEEEEPS6_SG_NS0_5tupleIJSF_S6_EEENSH_IJSG_SG_EEES6_PlJNSB_9not_fun_tI7is_trueIjEEEEEE10hipError_tPvRmT3_T4_T5_T6_T7_T9_mT8_P12ihipStream_tbDpT10_ENKUlT_T0_E_clISt17integral_constantIbLb1EES17_IbLb0EEEEDaS13_S14_EUlS13_E_NS1_11comp_targetILNS1_3genE10ELNS1_11target_archE1200ELNS1_3gpuE4ELNS1_3repE0EEENS1_30default_config_static_selectorELNS0_4arch9wavefront6targetE0EEEvT1_ ; -- Begin function _ZN7rocprim17ROCPRIM_400000_NS6detail17trampoline_kernelINS0_14default_configENS1_25partition_config_selectorILNS1_17partition_subalgoE6EjNS0_10empty_typeEbEEZZNS1_14partition_implILS5_6ELb0ES3_mN6thrust23THRUST_200600_302600_NS6detail15normal_iteratorINSA_10device_ptrIjEEEEPS6_SG_NS0_5tupleIJSF_S6_EEENSH_IJSG_SG_EEES6_PlJNSB_9not_fun_tI7is_trueIjEEEEEE10hipError_tPvRmT3_T4_T5_T6_T7_T9_mT8_P12ihipStream_tbDpT10_ENKUlT_T0_E_clISt17integral_constantIbLb1EES17_IbLb0EEEEDaS13_S14_EUlS13_E_NS1_11comp_targetILNS1_3genE10ELNS1_11target_archE1200ELNS1_3gpuE4ELNS1_3repE0EEENS1_30default_config_static_selectorELNS0_4arch9wavefront6targetE0EEEvT1_
	.globl	_ZN7rocprim17ROCPRIM_400000_NS6detail17trampoline_kernelINS0_14default_configENS1_25partition_config_selectorILNS1_17partition_subalgoE6EjNS0_10empty_typeEbEEZZNS1_14partition_implILS5_6ELb0ES3_mN6thrust23THRUST_200600_302600_NS6detail15normal_iteratorINSA_10device_ptrIjEEEEPS6_SG_NS0_5tupleIJSF_S6_EEENSH_IJSG_SG_EEES6_PlJNSB_9not_fun_tI7is_trueIjEEEEEE10hipError_tPvRmT3_T4_T5_T6_T7_T9_mT8_P12ihipStream_tbDpT10_ENKUlT_T0_E_clISt17integral_constantIbLb1EES17_IbLb0EEEEDaS13_S14_EUlS13_E_NS1_11comp_targetILNS1_3genE10ELNS1_11target_archE1200ELNS1_3gpuE4ELNS1_3repE0EEENS1_30default_config_static_selectorELNS0_4arch9wavefront6targetE0EEEvT1_
	.p2align	8
	.type	_ZN7rocprim17ROCPRIM_400000_NS6detail17trampoline_kernelINS0_14default_configENS1_25partition_config_selectorILNS1_17partition_subalgoE6EjNS0_10empty_typeEbEEZZNS1_14partition_implILS5_6ELb0ES3_mN6thrust23THRUST_200600_302600_NS6detail15normal_iteratorINSA_10device_ptrIjEEEEPS6_SG_NS0_5tupleIJSF_S6_EEENSH_IJSG_SG_EEES6_PlJNSB_9not_fun_tI7is_trueIjEEEEEE10hipError_tPvRmT3_T4_T5_T6_T7_T9_mT8_P12ihipStream_tbDpT10_ENKUlT_T0_E_clISt17integral_constantIbLb1EES17_IbLb0EEEEDaS13_S14_EUlS13_E_NS1_11comp_targetILNS1_3genE10ELNS1_11target_archE1200ELNS1_3gpuE4ELNS1_3repE0EEENS1_30default_config_static_selectorELNS0_4arch9wavefront6targetE0EEEvT1_,@function
_ZN7rocprim17ROCPRIM_400000_NS6detail17trampoline_kernelINS0_14default_configENS1_25partition_config_selectorILNS1_17partition_subalgoE6EjNS0_10empty_typeEbEEZZNS1_14partition_implILS5_6ELb0ES3_mN6thrust23THRUST_200600_302600_NS6detail15normal_iteratorINSA_10device_ptrIjEEEEPS6_SG_NS0_5tupleIJSF_S6_EEENSH_IJSG_SG_EEES6_PlJNSB_9not_fun_tI7is_trueIjEEEEEE10hipError_tPvRmT3_T4_T5_T6_T7_T9_mT8_P12ihipStream_tbDpT10_ENKUlT_T0_E_clISt17integral_constantIbLb1EES17_IbLb0EEEEDaS13_S14_EUlS13_E_NS1_11comp_targetILNS1_3genE10ELNS1_11target_archE1200ELNS1_3gpuE4ELNS1_3repE0EEENS1_30default_config_static_selectorELNS0_4arch9wavefront6targetE0EEEvT1_: ; @_ZN7rocprim17ROCPRIM_400000_NS6detail17trampoline_kernelINS0_14default_configENS1_25partition_config_selectorILNS1_17partition_subalgoE6EjNS0_10empty_typeEbEEZZNS1_14partition_implILS5_6ELb0ES3_mN6thrust23THRUST_200600_302600_NS6detail15normal_iteratorINSA_10device_ptrIjEEEEPS6_SG_NS0_5tupleIJSF_S6_EEENSH_IJSG_SG_EEES6_PlJNSB_9not_fun_tI7is_trueIjEEEEEE10hipError_tPvRmT3_T4_T5_T6_T7_T9_mT8_P12ihipStream_tbDpT10_ENKUlT_T0_E_clISt17integral_constantIbLb1EES17_IbLb0EEEEDaS13_S14_EUlS13_E_NS1_11comp_targetILNS1_3genE10ELNS1_11target_archE1200ELNS1_3gpuE4ELNS1_3repE0EEENS1_30default_config_static_selectorELNS0_4arch9wavefront6targetE0EEEvT1_
; %bb.0:
	s_endpgm
	.section	.rodata,"a",@progbits
	.p2align	6, 0x0
	.amdhsa_kernel _ZN7rocprim17ROCPRIM_400000_NS6detail17trampoline_kernelINS0_14default_configENS1_25partition_config_selectorILNS1_17partition_subalgoE6EjNS0_10empty_typeEbEEZZNS1_14partition_implILS5_6ELb0ES3_mN6thrust23THRUST_200600_302600_NS6detail15normal_iteratorINSA_10device_ptrIjEEEEPS6_SG_NS0_5tupleIJSF_S6_EEENSH_IJSG_SG_EEES6_PlJNSB_9not_fun_tI7is_trueIjEEEEEE10hipError_tPvRmT3_T4_T5_T6_T7_T9_mT8_P12ihipStream_tbDpT10_ENKUlT_T0_E_clISt17integral_constantIbLb1EES17_IbLb0EEEEDaS13_S14_EUlS13_E_NS1_11comp_targetILNS1_3genE10ELNS1_11target_archE1200ELNS1_3gpuE4ELNS1_3repE0EEENS1_30default_config_static_selectorELNS0_4arch9wavefront6targetE0EEEvT1_
		.amdhsa_group_segment_fixed_size 0
		.amdhsa_private_segment_fixed_size 0
		.amdhsa_kernarg_size 112
		.amdhsa_user_sgpr_count 2
		.amdhsa_user_sgpr_dispatch_ptr 0
		.amdhsa_user_sgpr_queue_ptr 0
		.amdhsa_user_sgpr_kernarg_segment_ptr 1
		.amdhsa_user_sgpr_dispatch_id 0
		.amdhsa_user_sgpr_private_segment_size 0
		.amdhsa_wavefront_size32 1
		.amdhsa_uses_dynamic_stack 0
		.amdhsa_enable_private_segment 0
		.amdhsa_system_sgpr_workgroup_id_x 1
		.amdhsa_system_sgpr_workgroup_id_y 0
		.amdhsa_system_sgpr_workgroup_id_z 0
		.amdhsa_system_sgpr_workgroup_info 0
		.amdhsa_system_vgpr_workitem_id 0
		.amdhsa_next_free_vgpr 1
		.amdhsa_next_free_sgpr 1
		.amdhsa_reserve_vcc 0
		.amdhsa_float_round_mode_32 0
		.amdhsa_float_round_mode_16_64 0
		.amdhsa_float_denorm_mode_32 3
		.amdhsa_float_denorm_mode_16_64 3
		.amdhsa_fp16_overflow 0
		.amdhsa_workgroup_processor_mode 1
		.amdhsa_memory_ordered 1
		.amdhsa_forward_progress 1
		.amdhsa_inst_pref_size 1
		.amdhsa_round_robin_scheduling 0
		.amdhsa_exception_fp_ieee_invalid_op 0
		.amdhsa_exception_fp_denorm_src 0
		.amdhsa_exception_fp_ieee_div_zero 0
		.amdhsa_exception_fp_ieee_overflow 0
		.amdhsa_exception_fp_ieee_underflow 0
		.amdhsa_exception_fp_ieee_inexact 0
		.amdhsa_exception_int_div_zero 0
	.end_amdhsa_kernel
	.section	.text._ZN7rocprim17ROCPRIM_400000_NS6detail17trampoline_kernelINS0_14default_configENS1_25partition_config_selectorILNS1_17partition_subalgoE6EjNS0_10empty_typeEbEEZZNS1_14partition_implILS5_6ELb0ES3_mN6thrust23THRUST_200600_302600_NS6detail15normal_iteratorINSA_10device_ptrIjEEEEPS6_SG_NS0_5tupleIJSF_S6_EEENSH_IJSG_SG_EEES6_PlJNSB_9not_fun_tI7is_trueIjEEEEEE10hipError_tPvRmT3_T4_T5_T6_T7_T9_mT8_P12ihipStream_tbDpT10_ENKUlT_T0_E_clISt17integral_constantIbLb1EES17_IbLb0EEEEDaS13_S14_EUlS13_E_NS1_11comp_targetILNS1_3genE10ELNS1_11target_archE1200ELNS1_3gpuE4ELNS1_3repE0EEENS1_30default_config_static_selectorELNS0_4arch9wavefront6targetE0EEEvT1_,"axG",@progbits,_ZN7rocprim17ROCPRIM_400000_NS6detail17trampoline_kernelINS0_14default_configENS1_25partition_config_selectorILNS1_17partition_subalgoE6EjNS0_10empty_typeEbEEZZNS1_14partition_implILS5_6ELb0ES3_mN6thrust23THRUST_200600_302600_NS6detail15normal_iteratorINSA_10device_ptrIjEEEEPS6_SG_NS0_5tupleIJSF_S6_EEENSH_IJSG_SG_EEES6_PlJNSB_9not_fun_tI7is_trueIjEEEEEE10hipError_tPvRmT3_T4_T5_T6_T7_T9_mT8_P12ihipStream_tbDpT10_ENKUlT_T0_E_clISt17integral_constantIbLb1EES17_IbLb0EEEEDaS13_S14_EUlS13_E_NS1_11comp_targetILNS1_3genE10ELNS1_11target_archE1200ELNS1_3gpuE4ELNS1_3repE0EEENS1_30default_config_static_selectorELNS0_4arch9wavefront6targetE0EEEvT1_,comdat
.Lfunc_end1162:
	.size	_ZN7rocprim17ROCPRIM_400000_NS6detail17trampoline_kernelINS0_14default_configENS1_25partition_config_selectorILNS1_17partition_subalgoE6EjNS0_10empty_typeEbEEZZNS1_14partition_implILS5_6ELb0ES3_mN6thrust23THRUST_200600_302600_NS6detail15normal_iteratorINSA_10device_ptrIjEEEEPS6_SG_NS0_5tupleIJSF_S6_EEENSH_IJSG_SG_EEES6_PlJNSB_9not_fun_tI7is_trueIjEEEEEE10hipError_tPvRmT3_T4_T5_T6_T7_T9_mT8_P12ihipStream_tbDpT10_ENKUlT_T0_E_clISt17integral_constantIbLb1EES17_IbLb0EEEEDaS13_S14_EUlS13_E_NS1_11comp_targetILNS1_3genE10ELNS1_11target_archE1200ELNS1_3gpuE4ELNS1_3repE0EEENS1_30default_config_static_selectorELNS0_4arch9wavefront6targetE0EEEvT1_, .Lfunc_end1162-_ZN7rocprim17ROCPRIM_400000_NS6detail17trampoline_kernelINS0_14default_configENS1_25partition_config_selectorILNS1_17partition_subalgoE6EjNS0_10empty_typeEbEEZZNS1_14partition_implILS5_6ELb0ES3_mN6thrust23THRUST_200600_302600_NS6detail15normal_iteratorINSA_10device_ptrIjEEEEPS6_SG_NS0_5tupleIJSF_S6_EEENSH_IJSG_SG_EEES6_PlJNSB_9not_fun_tI7is_trueIjEEEEEE10hipError_tPvRmT3_T4_T5_T6_T7_T9_mT8_P12ihipStream_tbDpT10_ENKUlT_T0_E_clISt17integral_constantIbLb1EES17_IbLb0EEEEDaS13_S14_EUlS13_E_NS1_11comp_targetILNS1_3genE10ELNS1_11target_archE1200ELNS1_3gpuE4ELNS1_3repE0EEENS1_30default_config_static_selectorELNS0_4arch9wavefront6targetE0EEEvT1_
                                        ; -- End function
	.set _ZN7rocprim17ROCPRIM_400000_NS6detail17trampoline_kernelINS0_14default_configENS1_25partition_config_selectorILNS1_17partition_subalgoE6EjNS0_10empty_typeEbEEZZNS1_14partition_implILS5_6ELb0ES3_mN6thrust23THRUST_200600_302600_NS6detail15normal_iteratorINSA_10device_ptrIjEEEEPS6_SG_NS0_5tupleIJSF_S6_EEENSH_IJSG_SG_EEES6_PlJNSB_9not_fun_tI7is_trueIjEEEEEE10hipError_tPvRmT3_T4_T5_T6_T7_T9_mT8_P12ihipStream_tbDpT10_ENKUlT_T0_E_clISt17integral_constantIbLb1EES17_IbLb0EEEEDaS13_S14_EUlS13_E_NS1_11comp_targetILNS1_3genE10ELNS1_11target_archE1200ELNS1_3gpuE4ELNS1_3repE0EEENS1_30default_config_static_selectorELNS0_4arch9wavefront6targetE0EEEvT1_.num_vgpr, 0
	.set _ZN7rocprim17ROCPRIM_400000_NS6detail17trampoline_kernelINS0_14default_configENS1_25partition_config_selectorILNS1_17partition_subalgoE6EjNS0_10empty_typeEbEEZZNS1_14partition_implILS5_6ELb0ES3_mN6thrust23THRUST_200600_302600_NS6detail15normal_iteratorINSA_10device_ptrIjEEEEPS6_SG_NS0_5tupleIJSF_S6_EEENSH_IJSG_SG_EEES6_PlJNSB_9not_fun_tI7is_trueIjEEEEEE10hipError_tPvRmT3_T4_T5_T6_T7_T9_mT8_P12ihipStream_tbDpT10_ENKUlT_T0_E_clISt17integral_constantIbLb1EES17_IbLb0EEEEDaS13_S14_EUlS13_E_NS1_11comp_targetILNS1_3genE10ELNS1_11target_archE1200ELNS1_3gpuE4ELNS1_3repE0EEENS1_30default_config_static_selectorELNS0_4arch9wavefront6targetE0EEEvT1_.num_agpr, 0
	.set _ZN7rocprim17ROCPRIM_400000_NS6detail17trampoline_kernelINS0_14default_configENS1_25partition_config_selectorILNS1_17partition_subalgoE6EjNS0_10empty_typeEbEEZZNS1_14partition_implILS5_6ELb0ES3_mN6thrust23THRUST_200600_302600_NS6detail15normal_iteratorINSA_10device_ptrIjEEEEPS6_SG_NS0_5tupleIJSF_S6_EEENSH_IJSG_SG_EEES6_PlJNSB_9not_fun_tI7is_trueIjEEEEEE10hipError_tPvRmT3_T4_T5_T6_T7_T9_mT8_P12ihipStream_tbDpT10_ENKUlT_T0_E_clISt17integral_constantIbLb1EES17_IbLb0EEEEDaS13_S14_EUlS13_E_NS1_11comp_targetILNS1_3genE10ELNS1_11target_archE1200ELNS1_3gpuE4ELNS1_3repE0EEENS1_30default_config_static_selectorELNS0_4arch9wavefront6targetE0EEEvT1_.numbered_sgpr, 0
	.set _ZN7rocprim17ROCPRIM_400000_NS6detail17trampoline_kernelINS0_14default_configENS1_25partition_config_selectorILNS1_17partition_subalgoE6EjNS0_10empty_typeEbEEZZNS1_14partition_implILS5_6ELb0ES3_mN6thrust23THRUST_200600_302600_NS6detail15normal_iteratorINSA_10device_ptrIjEEEEPS6_SG_NS0_5tupleIJSF_S6_EEENSH_IJSG_SG_EEES6_PlJNSB_9not_fun_tI7is_trueIjEEEEEE10hipError_tPvRmT3_T4_T5_T6_T7_T9_mT8_P12ihipStream_tbDpT10_ENKUlT_T0_E_clISt17integral_constantIbLb1EES17_IbLb0EEEEDaS13_S14_EUlS13_E_NS1_11comp_targetILNS1_3genE10ELNS1_11target_archE1200ELNS1_3gpuE4ELNS1_3repE0EEENS1_30default_config_static_selectorELNS0_4arch9wavefront6targetE0EEEvT1_.num_named_barrier, 0
	.set _ZN7rocprim17ROCPRIM_400000_NS6detail17trampoline_kernelINS0_14default_configENS1_25partition_config_selectorILNS1_17partition_subalgoE6EjNS0_10empty_typeEbEEZZNS1_14partition_implILS5_6ELb0ES3_mN6thrust23THRUST_200600_302600_NS6detail15normal_iteratorINSA_10device_ptrIjEEEEPS6_SG_NS0_5tupleIJSF_S6_EEENSH_IJSG_SG_EEES6_PlJNSB_9not_fun_tI7is_trueIjEEEEEE10hipError_tPvRmT3_T4_T5_T6_T7_T9_mT8_P12ihipStream_tbDpT10_ENKUlT_T0_E_clISt17integral_constantIbLb1EES17_IbLb0EEEEDaS13_S14_EUlS13_E_NS1_11comp_targetILNS1_3genE10ELNS1_11target_archE1200ELNS1_3gpuE4ELNS1_3repE0EEENS1_30default_config_static_selectorELNS0_4arch9wavefront6targetE0EEEvT1_.private_seg_size, 0
	.set _ZN7rocprim17ROCPRIM_400000_NS6detail17trampoline_kernelINS0_14default_configENS1_25partition_config_selectorILNS1_17partition_subalgoE6EjNS0_10empty_typeEbEEZZNS1_14partition_implILS5_6ELb0ES3_mN6thrust23THRUST_200600_302600_NS6detail15normal_iteratorINSA_10device_ptrIjEEEEPS6_SG_NS0_5tupleIJSF_S6_EEENSH_IJSG_SG_EEES6_PlJNSB_9not_fun_tI7is_trueIjEEEEEE10hipError_tPvRmT3_T4_T5_T6_T7_T9_mT8_P12ihipStream_tbDpT10_ENKUlT_T0_E_clISt17integral_constantIbLb1EES17_IbLb0EEEEDaS13_S14_EUlS13_E_NS1_11comp_targetILNS1_3genE10ELNS1_11target_archE1200ELNS1_3gpuE4ELNS1_3repE0EEENS1_30default_config_static_selectorELNS0_4arch9wavefront6targetE0EEEvT1_.uses_vcc, 0
	.set _ZN7rocprim17ROCPRIM_400000_NS6detail17trampoline_kernelINS0_14default_configENS1_25partition_config_selectorILNS1_17partition_subalgoE6EjNS0_10empty_typeEbEEZZNS1_14partition_implILS5_6ELb0ES3_mN6thrust23THRUST_200600_302600_NS6detail15normal_iteratorINSA_10device_ptrIjEEEEPS6_SG_NS0_5tupleIJSF_S6_EEENSH_IJSG_SG_EEES6_PlJNSB_9not_fun_tI7is_trueIjEEEEEE10hipError_tPvRmT3_T4_T5_T6_T7_T9_mT8_P12ihipStream_tbDpT10_ENKUlT_T0_E_clISt17integral_constantIbLb1EES17_IbLb0EEEEDaS13_S14_EUlS13_E_NS1_11comp_targetILNS1_3genE10ELNS1_11target_archE1200ELNS1_3gpuE4ELNS1_3repE0EEENS1_30default_config_static_selectorELNS0_4arch9wavefront6targetE0EEEvT1_.uses_flat_scratch, 0
	.set _ZN7rocprim17ROCPRIM_400000_NS6detail17trampoline_kernelINS0_14default_configENS1_25partition_config_selectorILNS1_17partition_subalgoE6EjNS0_10empty_typeEbEEZZNS1_14partition_implILS5_6ELb0ES3_mN6thrust23THRUST_200600_302600_NS6detail15normal_iteratorINSA_10device_ptrIjEEEEPS6_SG_NS0_5tupleIJSF_S6_EEENSH_IJSG_SG_EEES6_PlJNSB_9not_fun_tI7is_trueIjEEEEEE10hipError_tPvRmT3_T4_T5_T6_T7_T9_mT8_P12ihipStream_tbDpT10_ENKUlT_T0_E_clISt17integral_constantIbLb1EES17_IbLb0EEEEDaS13_S14_EUlS13_E_NS1_11comp_targetILNS1_3genE10ELNS1_11target_archE1200ELNS1_3gpuE4ELNS1_3repE0EEENS1_30default_config_static_selectorELNS0_4arch9wavefront6targetE0EEEvT1_.has_dyn_sized_stack, 0
	.set _ZN7rocprim17ROCPRIM_400000_NS6detail17trampoline_kernelINS0_14default_configENS1_25partition_config_selectorILNS1_17partition_subalgoE6EjNS0_10empty_typeEbEEZZNS1_14partition_implILS5_6ELb0ES3_mN6thrust23THRUST_200600_302600_NS6detail15normal_iteratorINSA_10device_ptrIjEEEEPS6_SG_NS0_5tupleIJSF_S6_EEENSH_IJSG_SG_EEES6_PlJNSB_9not_fun_tI7is_trueIjEEEEEE10hipError_tPvRmT3_T4_T5_T6_T7_T9_mT8_P12ihipStream_tbDpT10_ENKUlT_T0_E_clISt17integral_constantIbLb1EES17_IbLb0EEEEDaS13_S14_EUlS13_E_NS1_11comp_targetILNS1_3genE10ELNS1_11target_archE1200ELNS1_3gpuE4ELNS1_3repE0EEENS1_30default_config_static_selectorELNS0_4arch9wavefront6targetE0EEEvT1_.has_recursion, 0
	.set _ZN7rocprim17ROCPRIM_400000_NS6detail17trampoline_kernelINS0_14default_configENS1_25partition_config_selectorILNS1_17partition_subalgoE6EjNS0_10empty_typeEbEEZZNS1_14partition_implILS5_6ELb0ES3_mN6thrust23THRUST_200600_302600_NS6detail15normal_iteratorINSA_10device_ptrIjEEEEPS6_SG_NS0_5tupleIJSF_S6_EEENSH_IJSG_SG_EEES6_PlJNSB_9not_fun_tI7is_trueIjEEEEEE10hipError_tPvRmT3_T4_T5_T6_T7_T9_mT8_P12ihipStream_tbDpT10_ENKUlT_T0_E_clISt17integral_constantIbLb1EES17_IbLb0EEEEDaS13_S14_EUlS13_E_NS1_11comp_targetILNS1_3genE10ELNS1_11target_archE1200ELNS1_3gpuE4ELNS1_3repE0EEENS1_30default_config_static_selectorELNS0_4arch9wavefront6targetE0EEEvT1_.has_indirect_call, 0
	.section	.AMDGPU.csdata,"",@progbits
; Kernel info:
; codeLenInByte = 4
; TotalNumSgprs: 0
; NumVgprs: 0
; ScratchSize: 0
; MemoryBound: 0
; FloatMode: 240
; IeeeMode: 1
; LDSByteSize: 0 bytes/workgroup (compile time only)
; SGPRBlocks: 0
; VGPRBlocks: 0
; NumSGPRsForWavesPerEU: 1
; NumVGPRsForWavesPerEU: 1
; Occupancy: 16
; WaveLimiterHint : 0
; COMPUTE_PGM_RSRC2:SCRATCH_EN: 0
; COMPUTE_PGM_RSRC2:USER_SGPR: 2
; COMPUTE_PGM_RSRC2:TRAP_HANDLER: 0
; COMPUTE_PGM_RSRC2:TGID_X_EN: 1
; COMPUTE_PGM_RSRC2:TGID_Y_EN: 0
; COMPUTE_PGM_RSRC2:TGID_Z_EN: 0
; COMPUTE_PGM_RSRC2:TIDIG_COMP_CNT: 0
	.section	.text._ZN7rocprim17ROCPRIM_400000_NS6detail17trampoline_kernelINS0_14default_configENS1_25partition_config_selectorILNS1_17partition_subalgoE6EjNS0_10empty_typeEbEEZZNS1_14partition_implILS5_6ELb0ES3_mN6thrust23THRUST_200600_302600_NS6detail15normal_iteratorINSA_10device_ptrIjEEEEPS6_SG_NS0_5tupleIJSF_S6_EEENSH_IJSG_SG_EEES6_PlJNSB_9not_fun_tI7is_trueIjEEEEEE10hipError_tPvRmT3_T4_T5_T6_T7_T9_mT8_P12ihipStream_tbDpT10_ENKUlT_T0_E_clISt17integral_constantIbLb1EES17_IbLb0EEEEDaS13_S14_EUlS13_E_NS1_11comp_targetILNS1_3genE9ELNS1_11target_archE1100ELNS1_3gpuE3ELNS1_3repE0EEENS1_30default_config_static_selectorELNS0_4arch9wavefront6targetE0EEEvT1_,"axG",@progbits,_ZN7rocprim17ROCPRIM_400000_NS6detail17trampoline_kernelINS0_14default_configENS1_25partition_config_selectorILNS1_17partition_subalgoE6EjNS0_10empty_typeEbEEZZNS1_14partition_implILS5_6ELb0ES3_mN6thrust23THRUST_200600_302600_NS6detail15normal_iteratorINSA_10device_ptrIjEEEEPS6_SG_NS0_5tupleIJSF_S6_EEENSH_IJSG_SG_EEES6_PlJNSB_9not_fun_tI7is_trueIjEEEEEE10hipError_tPvRmT3_T4_T5_T6_T7_T9_mT8_P12ihipStream_tbDpT10_ENKUlT_T0_E_clISt17integral_constantIbLb1EES17_IbLb0EEEEDaS13_S14_EUlS13_E_NS1_11comp_targetILNS1_3genE9ELNS1_11target_archE1100ELNS1_3gpuE3ELNS1_3repE0EEENS1_30default_config_static_selectorELNS0_4arch9wavefront6targetE0EEEvT1_,comdat
	.protected	_ZN7rocprim17ROCPRIM_400000_NS6detail17trampoline_kernelINS0_14default_configENS1_25partition_config_selectorILNS1_17partition_subalgoE6EjNS0_10empty_typeEbEEZZNS1_14partition_implILS5_6ELb0ES3_mN6thrust23THRUST_200600_302600_NS6detail15normal_iteratorINSA_10device_ptrIjEEEEPS6_SG_NS0_5tupleIJSF_S6_EEENSH_IJSG_SG_EEES6_PlJNSB_9not_fun_tI7is_trueIjEEEEEE10hipError_tPvRmT3_T4_T5_T6_T7_T9_mT8_P12ihipStream_tbDpT10_ENKUlT_T0_E_clISt17integral_constantIbLb1EES17_IbLb0EEEEDaS13_S14_EUlS13_E_NS1_11comp_targetILNS1_3genE9ELNS1_11target_archE1100ELNS1_3gpuE3ELNS1_3repE0EEENS1_30default_config_static_selectorELNS0_4arch9wavefront6targetE0EEEvT1_ ; -- Begin function _ZN7rocprim17ROCPRIM_400000_NS6detail17trampoline_kernelINS0_14default_configENS1_25partition_config_selectorILNS1_17partition_subalgoE6EjNS0_10empty_typeEbEEZZNS1_14partition_implILS5_6ELb0ES3_mN6thrust23THRUST_200600_302600_NS6detail15normal_iteratorINSA_10device_ptrIjEEEEPS6_SG_NS0_5tupleIJSF_S6_EEENSH_IJSG_SG_EEES6_PlJNSB_9not_fun_tI7is_trueIjEEEEEE10hipError_tPvRmT3_T4_T5_T6_T7_T9_mT8_P12ihipStream_tbDpT10_ENKUlT_T0_E_clISt17integral_constantIbLb1EES17_IbLb0EEEEDaS13_S14_EUlS13_E_NS1_11comp_targetILNS1_3genE9ELNS1_11target_archE1100ELNS1_3gpuE3ELNS1_3repE0EEENS1_30default_config_static_selectorELNS0_4arch9wavefront6targetE0EEEvT1_
	.globl	_ZN7rocprim17ROCPRIM_400000_NS6detail17trampoline_kernelINS0_14default_configENS1_25partition_config_selectorILNS1_17partition_subalgoE6EjNS0_10empty_typeEbEEZZNS1_14partition_implILS5_6ELb0ES3_mN6thrust23THRUST_200600_302600_NS6detail15normal_iteratorINSA_10device_ptrIjEEEEPS6_SG_NS0_5tupleIJSF_S6_EEENSH_IJSG_SG_EEES6_PlJNSB_9not_fun_tI7is_trueIjEEEEEE10hipError_tPvRmT3_T4_T5_T6_T7_T9_mT8_P12ihipStream_tbDpT10_ENKUlT_T0_E_clISt17integral_constantIbLb1EES17_IbLb0EEEEDaS13_S14_EUlS13_E_NS1_11comp_targetILNS1_3genE9ELNS1_11target_archE1100ELNS1_3gpuE3ELNS1_3repE0EEENS1_30default_config_static_selectorELNS0_4arch9wavefront6targetE0EEEvT1_
	.p2align	8
	.type	_ZN7rocprim17ROCPRIM_400000_NS6detail17trampoline_kernelINS0_14default_configENS1_25partition_config_selectorILNS1_17partition_subalgoE6EjNS0_10empty_typeEbEEZZNS1_14partition_implILS5_6ELb0ES3_mN6thrust23THRUST_200600_302600_NS6detail15normal_iteratorINSA_10device_ptrIjEEEEPS6_SG_NS0_5tupleIJSF_S6_EEENSH_IJSG_SG_EEES6_PlJNSB_9not_fun_tI7is_trueIjEEEEEE10hipError_tPvRmT3_T4_T5_T6_T7_T9_mT8_P12ihipStream_tbDpT10_ENKUlT_T0_E_clISt17integral_constantIbLb1EES17_IbLb0EEEEDaS13_S14_EUlS13_E_NS1_11comp_targetILNS1_3genE9ELNS1_11target_archE1100ELNS1_3gpuE3ELNS1_3repE0EEENS1_30default_config_static_selectorELNS0_4arch9wavefront6targetE0EEEvT1_,@function
_ZN7rocprim17ROCPRIM_400000_NS6detail17trampoline_kernelINS0_14default_configENS1_25partition_config_selectorILNS1_17partition_subalgoE6EjNS0_10empty_typeEbEEZZNS1_14partition_implILS5_6ELb0ES3_mN6thrust23THRUST_200600_302600_NS6detail15normal_iteratorINSA_10device_ptrIjEEEEPS6_SG_NS0_5tupleIJSF_S6_EEENSH_IJSG_SG_EEES6_PlJNSB_9not_fun_tI7is_trueIjEEEEEE10hipError_tPvRmT3_T4_T5_T6_T7_T9_mT8_P12ihipStream_tbDpT10_ENKUlT_T0_E_clISt17integral_constantIbLb1EES17_IbLb0EEEEDaS13_S14_EUlS13_E_NS1_11comp_targetILNS1_3genE9ELNS1_11target_archE1100ELNS1_3gpuE3ELNS1_3repE0EEENS1_30default_config_static_selectorELNS0_4arch9wavefront6targetE0EEEvT1_: ; @_ZN7rocprim17ROCPRIM_400000_NS6detail17trampoline_kernelINS0_14default_configENS1_25partition_config_selectorILNS1_17partition_subalgoE6EjNS0_10empty_typeEbEEZZNS1_14partition_implILS5_6ELb0ES3_mN6thrust23THRUST_200600_302600_NS6detail15normal_iteratorINSA_10device_ptrIjEEEEPS6_SG_NS0_5tupleIJSF_S6_EEENSH_IJSG_SG_EEES6_PlJNSB_9not_fun_tI7is_trueIjEEEEEE10hipError_tPvRmT3_T4_T5_T6_T7_T9_mT8_P12ihipStream_tbDpT10_ENKUlT_T0_E_clISt17integral_constantIbLb1EES17_IbLb0EEEEDaS13_S14_EUlS13_E_NS1_11comp_targetILNS1_3genE9ELNS1_11target_archE1100ELNS1_3gpuE3ELNS1_3repE0EEENS1_30default_config_static_selectorELNS0_4arch9wavefront6targetE0EEEvT1_
; %bb.0:
	.section	.rodata,"a",@progbits
	.p2align	6, 0x0
	.amdhsa_kernel _ZN7rocprim17ROCPRIM_400000_NS6detail17trampoline_kernelINS0_14default_configENS1_25partition_config_selectorILNS1_17partition_subalgoE6EjNS0_10empty_typeEbEEZZNS1_14partition_implILS5_6ELb0ES3_mN6thrust23THRUST_200600_302600_NS6detail15normal_iteratorINSA_10device_ptrIjEEEEPS6_SG_NS0_5tupleIJSF_S6_EEENSH_IJSG_SG_EEES6_PlJNSB_9not_fun_tI7is_trueIjEEEEEE10hipError_tPvRmT3_T4_T5_T6_T7_T9_mT8_P12ihipStream_tbDpT10_ENKUlT_T0_E_clISt17integral_constantIbLb1EES17_IbLb0EEEEDaS13_S14_EUlS13_E_NS1_11comp_targetILNS1_3genE9ELNS1_11target_archE1100ELNS1_3gpuE3ELNS1_3repE0EEENS1_30default_config_static_selectorELNS0_4arch9wavefront6targetE0EEEvT1_
		.amdhsa_group_segment_fixed_size 0
		.amdhsa_private_segment_fixed_size 0
		.amdhsa_kernarg_size 112
		.amdhsa_user_sgpr_count 2
		.amdhsa_user_sgpr_dispatch_ptr 0
		.amdhsa_user_sgpr_queue_ptr 0
		.amdhsa_user_sgpr_kernarg_segment_ptr 1
		.amdhsa_user_sgpr_dispatch_id 0
		.amdhsa_user_sgpr_private_segment_size 0
		.amdhsa_wavefront_size32 1
		.amdhsa_uses_dynamic_stack 0
		.amdhsa_enable_private_segment 0
		.amdhsa_system_sgpr_workgroup_id_x 1
		.amdhsa_system_sgpr_workgroup_id_y 0
		.amdhsa_system_sgpr_workgroup_id_z 0
		.amdhsa_system_sgpr_workgroup_info 0
		.amdhsa_system_vgpr_workitem_id 0
		.amdhsa_next_free_vgpr 1
		.amdhsa_next_free_sgpr 1
		.amdhsa_reserve_vcc 0
		.amdhsa_float_round_mode_32 0
		.amdhsa_float_round_mode_16_64 0
		.amdhsa_float_denorm_mode_32 3
		.amdhsa_float_denorm_mode_16_64 3
		.amdhsa_fp16_overflow 0
		.amdhsa_workgroup_processor_mode 1
		.amdhsa_memory_ordered 1
		.amdhsa_forward_progress 1
		.amdhsa_inst_pref_size 0
		.amdhsa_round_robin_scheduling 0
		.amdhsa_exception_fp_ieee_invalid_op 0
		.amdhsa_exception_fp_denorm_src 0
		.amdhsa_exception_fp_ieee_div_zero 0
		.amdhsa_exception_fp_ieee_overflow 0
		.amdhsa_exception_fp_ieee_underflow 0
		.amdhsa_exception_fp_ieee_inexact 0
		.amdhsa_exception_int_div_zero 0
	.end_amdhsa_kernel
	.section	.text._ZN7rocprim17ROCPRIM_400000_NS6detail17trampoline_kernelINS0_14default_configENS1_25partition_config_selectorILNS1_17partition_subalgoE6EjNS0_10empty_typeEbEEZZNS1_14partition_implILS5_6ELb0ES3_mN6thrust23THRUST_200600_302600_NS6detail15normal_iteratorINSA_10device_ptrIjEEEEPS6_SG_NS0_5tupleIJSF_S6_EEENSH_IJSG_SG_EEES6_PlJNSB_9not_fun_tI7is_trueIjEEEEEE10hipError_tPvRmT3_T4_T5_T6_T7_T9_mT8_P12ihipStream_tbDpT10_ENKUlT_T0_E_clISt17integral_constantIbLb1EES17_IbLb0EEEEDaS13_S14_EUlS13_E_NS1_11comp_targetILNS1_3genE9ELNS1_11target_archE1100ELNS1_3gpuE3ELNS1_3repE0EEENS1_30default_config_static_selectorELNS0_4arch9wavefront6targetE0EEEvT1_,"axG",@progbits,_ZN7rocprim17ROCPRIM_400000_NS6detail17trampoline_kernelINS0_14default_configENS1_25partition_config_selectorILNS1_17partition_subalgoE6EjNS0_10empty_typeEbEEZZNS1_14partition_implILS5_6ELb0ES3_mN6thrust23THRUST_200600_302600_NS6detail15normal_iteratorINSA_10device_ptrIjEEEEPS6_SG_NS0_5tupleIJSF_S6_EEENSH_IJSG_SG_EEES6_PlJNSB_9not_fun_tI7is_trueIjEEEEEE10hipError_tPvRmT3_T4_T5_T6_T7_T9_mT8_P12ihipStream_tbDpT10_ENKUlT_T0_E_clISt17integral_constantIbLb1EES17_IbLb0EEEEDaS13_S14_EUlS13_E_NS1_11comp_targetILNS1_3genE9ELNS1_11target_archE1100ELNS1_3gpuE3ELNS1_3repE0EEENS1_30default_config_static_selectorELNS0_4arch9wavefront6targetE0EEEvT1_,comdat
.Lfunc_end1163:
	.size	_ZN7rocprim17ROCPRIM_400000_NS6detail17trampoline_kernelINS0_14default_configENS1_25partition_config_selectorILNS1_17partition_subalgoE6EjNS0_10empty_typeEbEEZZNS1_14partition_implILS5_6ELb0ES3_mN6thrust23THRUST_200600_302600_NS6detail15normal_iteratorINSA_10device_ptrIjEEEEPS6_SG_NS0_5tupleIJSF_S6_EEENSH_IJSG_SG_EEES6_PlJNSB_9not_fun_tI7is_trueIjEEEEEE10hipError_tPvRmT3_T4_T5_T6_T7_T9_mT8_P12ihipStream_tbDpT10_ENKUlT_T0_E_clISt17integral_constantIbLb1EES17_IbLb0EEEEDaS13_S14_EUlS13_E_NS1_11comp_targetILNS1_3genE9ELNS1_11target_archE1100ELNS1_3gpuE3ELNS1_3repE0EEENS1_30default_config_static_selectorELNS0_4arch9wavefront6targetE0EEEvT1_, .Lfunc_end1163-_ZN7rocprim17ROCPRIM_400000_NS6detail17trampoline_kernelINS0_14default_configENS1_25partition_config_selectorILNS1_17partition_subalgoE6EjNS0_10empty_typeEbEEZZNS1_14partition_implILS5_6ELb0ES3_mN6thrust23THRUST_200600_302600_NS6detail15normal_iteratorINSA_10device_ptrIjEEEEPS6_SG_NS0_5tupleIJSF_S6_EEENSH_IJSG_SG_EEES6_PlJNSB_9not_fun_tI7is_trueIjEEEEEE10hipError_tPvRmT3_T4_T5_T6_T7_T9_mT8_P12ihipStream_tbDpT10_ENKUlT_T0_E_clISt17integral_constantIbLb1EES17_IbLb0EEEEDaS13_S14_EUlS13_E_NS1_11comp_targetILNS1_3genE9ELNS1_11target_archE1100ELNS1_3gpuE3ELNS1_3repE0EEENS1_30default_config_static_selectorELNS0_4arch9wavefront6targetE0EEEvT1_
                                        ; -- End function
	.set _ZN7rocprim17ROCPRIM_400000_NS6detail17trampoline_kernelINS0_14default_configENS1_25partition_config_selectorILNS1_17partition_subalgoE6EjNS0_10empty_typeEbEEZZNS1_14partition_implILS5_6ELb0ES3_mN6thrust23THRUST_200600_302600_NS6detail15normal_iteratorINSA_10device_ptrIjEEEEPS6_SG_NS0_5tupleIJSF_S6_EEENSH_IJSG_SG_EEES6_PlJNSB_9not_fun_tI7is_trueIjEEEEEE10hipError_tPvRmT3_T4_T5_T6_T7_T9_mT8_P12ihipStream_tbDpT10_ENKUlT_T0_E_clISt17integral_constantIbLb1EES17_IbLb0EEEEDaS13_S14_EUlS13_E_NS1_11comp_targetILNS1_3genE9ELNS1_11target_archE1100ELNS1_3gpuE3ELNS1_3repE0EEENS1_30default_config_static_selectorELNS0_4arch9wavefront6targetE0EEEvT1_.num_vgpr, 0
	.set _ZN7rocprim17ROCPRIM_400000_NS6detail17trampoline_kernelINS0_14default_configENS1_25partition_config_selectorILNS1_17partition_subalgoE6EjNS0_10empty_typeEbEEZZNS1_14partition_implILS5_6ELb0ES3_mN6thrust23THRUST_200600_302600_NS6detail15normal_iteratorINSA_10device_ptrIjEEEEPS6_SG_NS0_5tupleIJSF_S6_EEENSH_IJSG_SG_EEES6_PlJNSB_9not_fun_tI7is_trueIjEEEEEE10hipError_tPvRmT3_T4_T5_T6_T7_T9_mT8_P12ihipStream_tbDpT10_ENKUlT_T0_E_clISt17integral_constantIbLb1EES17_IbLb0EEEEDaS13_S14_EUlS13_E_NS1_11comp_targetILNS1_3genE9ELNS1_11target_archE1100ELNS1_3gpuE3ELNS1_3repE0EEENS1_30default_config_static_selectorELNS0_4arch9wavefront6targetE0EEEvT1_.num_agpr, 0
	.set _ZN7rocprim17ROCPRIM_400000_NS6detail17trampoline_kernelINS0_14default_configENS1_25partition_config_selectorILNS1_17partition_subalgoE6EjNS0_10empty_typeEbEEZZNS1_14partition_implILS5_6ELb0ES3_mN6thrust23THRUST_200600_302600_NS6detail15normal_iteratorINSA_10device_ptrIjEEEEPS6_SG_NS0_5tupleIJSF_S6_EEENSH_IJSG_SG_EEES6_PlJNSB_9not_fun_tI7is_trueIjEEEEEE10hipError_tPvRmT3_T4_T5_T6_T7_T9_mT8_P12ihipStream_tbDpT10_ENKUlT_T0_E_clISt17integral_constantIbLb1EES17_IbLb0EEEEDaS13_S14_EUlS13_E_NS1_11comp_targetILNS1_3genE9ELNS1_11target_archE1100ELNS1_3gpuE3ELNS1_3repE0EEENS1_30default_config_static_selectorELNS0_4arch9wavefront6targetE0EEEvT1_.numbered_sgpr, 0
	.set _ZN7rocprim17ROCPRIM_400000_NS6detail17trampoline_kernelINS0_14default_configENS1_25partition_config_selectorILNS1_17partition_subalgoE6EjNS0_10empty_typeEbEEZZNS1_14partition_implILS5_6ELb0ES3_mN6thrust23THRUST_200600_302600_NS6detail15normal_iteratorINSA_10device_ptrIjEEEEPS6_SG_NS0_5tupleIJSF_S6_EEENSH_IJSG_SG_EEES6_PlJNSB_9not_fun_tI7is_trueIjEEEEEE10hipError_tPvRmT3_T4_T5_T6_T7_T9_mT8_P12ihipStream_tbDpT10_ENKUlT_T0_E_clISt17integral_constantIbLb1EES17_IbLb0EEEEDaS13_S14_EUlS13_E_NS1_11comp_targetILNS1_3genE9ELNS1_11target_archE1100ELNS1_3gpuE3ELNS1_3repE0EEENS1_30default_config_static_selectorELNS0_4arch9wavefront6targetE0EEEvT1_.num_named_barrier, 0
	.set _ZN7rocprim17ROCPRIM_400000_NS6detail17trampoline_kernelINS0_14default_configENS1_25partition_config_selectorILNS1_17partition_subalgoE6EjNS0_10empty_typeEbEEZZNS1_14partition_implILS5_6ELb0ES3_mN6thrust23THRUST_200600_302600_NS6detail15normal_iteratorINSA_10device_ptrIjEEEEPS6_SG_NS0_5tupleIJSF_S6_EEENSH_IJSG_SG_EEES6_PlJNSB_9not_fun_tI7is_trueIjEEEEEE10hipError_tPvRmT3_T4_T5_T6_T7_T9_mT8_P12ihipStream_tbDpT10_ENKUlT_T0_E_clISt17integral_constantIbLb1EES17_IbLb0EEEEDaS13_S14_EUlS13_E_NS1_11comp_targetILNS1_3genE9ELNS1_11target_archE1100ELNS1_3gpuE3ELNS1_3repE0EEENS1_30default_config_static_selectorELNS0_4arch9wavefront6targetE0EEEvT1_.private_seg_size, 0
	.set _ZN7rocprim17ROCPRIM_400000_NS6detail17trampoline_kernelINS0_14default_configENS1_25partition_config_selectorILNS1_17partition_subalgoE6EjNS0_10empty_typeEbEEZZNS1_14partition_implILS5_6ELb0ES3_mN6thrust23THRUST_200600_302600_NS6detail15normal_iteratorINSA_10device_ptrIjEEEEPS6_SG_NS0_5tupleIJSF_S6_EEENSH_IJSG_SG_EEES6_PlJNSB_9not_fun_tI7is_trueIjEEEEEE10hipError_tPvRmT3_T4_T5_T6_T7_T9_mT8_P12ihipStream_tbDpT10_ENKUlT_T0_E_clISt17integral_constantIbLb1EES17_IbLb0EEEEDaS13_S14_EUlS13_E_NS1_11comp_targetILNS1_3genE9ELNS1_11target_archE1100ELNS1_3gpuE3ELNS1_3repE0EEENS1_30default_config_static_selectorELNS0_4arch9wavefront6targetE0EEEvT1_.uses_vcc, 0
	.set _ZN7rocprim17ROCPRIM_400000_NS6detail17trampoline_kernelINS0_14default_configENS1_25partition_config_selectorILNS1_17partition_subalgoE6EjNS0_10empty_typeEbEEZZNS1_14partition_implILS5_6ELb0ES3_mN6thrust23THRUST_200600_302600_NS6detail15normal_iteratorINSA_10device_ptrIjEEEEPS6_SG_NS0_5tupleIJSF_S6_EEENSH_IJSG_SG_EEES6_PlJNSB_9not_fun_tI7is_trueIjEEEEEE10hipError_tPvRmT3_T4_T5_T6_T7_T9_mT8_P12ihipStream_tbDpT10_ENKUlT_T0_E_clISt17integral_constantIbLb1EES17_IbLb0EEEEDaS13_S14_EUlS13_E_NS1_11comp_targetILNS1_3genE9ELNS1_11target_archE1100ELNS1_3gpuE3ELNS1_3repE0EEENS1_30default_config_static_selectorELNS0_4arch9wavefront6targetE0EEEvT1_.uses_flat_scratch, 0
	.set _ZN7rocprim17ROCPRIM_400000_NS6detail17trampoline_kernelINS0_14default_configENS1_25partition_config_selectorILNS1_17partition_subalgoE6EjNS0_10empty_typeEbEEZZNS1_14partition_implILS5_6ELb0ES3_mN6thrust23THRUST_200600_302600_NS6detail15normal_iteratorINSA_10device_ptrIjEEEEPS6_SG_NS0_5tupleIJSF_S6_EEENSH_IJSG_SG_EEES6_PlJNSB_9not_fun_tI7is_trueIjEEEEEE10hipError_tPvRmT3_T4_T5_T6_T7_T9_mT8_P12ihipStream_tbDpT10_ENKUlT_T0_E_clISt17integral_constantIbLb1EES17_IbLb0EEEEDaS13_S14_EUlS13_E_NS1_11comp_targetILNS1_3genE9ELNS1_11target_archE1100ELNS1_3gpuE3ELNS1_3repE0EEENS1_30default_config_static_selectorELNS0_4arch9wavefront6targetE0EEEvT1_.has_dyn_sized_stack, 0
	.set _ZN7rocprim17ROCPRIM_400000_NS6detail17trampoline_kernelINS0_14default_configENS1_25partition_config_selectorILNS1_17partition_subalgoE6EjNS0_10empty_typeEbEEZZNS1_14partition_implILS5_6ELb0ES3_mN6thrust23THRUST_200600_302600_NS6detail15normal_iteratorINSA_10device_ptrIjEEEEPS6_SG_NS0_5tupleIJSF_S6_EEENSH_IJSG_SG_EEES6_PlJNSB_9not_fun_tI7is_trueIjEEEEEE10hipError_tPvRmT3_T4_T5_T6_T7_T9_mT8_P12ihipStream_tbDpT10_ENKUlT_T0_E_clISt17integral_constantIbLb1EES17_IbLb0EEEEDaS13_S14_EUlS13_E_NS1_11comp_targetILNS1_3genE9ELNS1_11target_archE1100ELNS1_3gpuE3ELNS1_3repE0EEENS1_30default_config_static_selectorELNS0_4arch9wavefront6targetE0EEEvT1_.has_recursion, 0
	.set _ZN7rocprim17ROCPRIM_400000_NS6detail17trampoline_kernelINS0_14default_configENS1_25partition_config_selectorILNS1_17partition_subalgoE6EjNS0_10empty_typeEbEEZZNS1_14partition_implILS5_6ELb0ES3_mN6thrust23THRUST_200600_302600_NS6detail15normal_iteratorINSA_10device_ptrIjEEEEPS6_SG_NS0_5tupleIJSF_S6_EEENSH_IJSG_SG_EEES6_PlJNSB_9not_fun_tI7is_trueIjEEEEEE10hipError_tPvRmT3_T4_T5_T6_T7_T9_mT8_P12ihipStream_tbDpT10_ENKUlT_T0_E_clISt17integral_constantIbLb1EES17_IbLb0EEEEDaS13_S14_EUlS13_E_NS1_11comp_targetILNS1_3genE9ELNS1_11target_archE1100ELNS1_3gpuE3ELNS1_3repE0EEENS1_30default_config_static_selectorELNS0_4arch9wavefront6targetE0EEEvT1_.has_indirect_call, 0
	.section	.AMDGPU.csdata,"",@progbits
; Kernel info:
; codeLenInByte = 0
; TotalNumSgprs: 0
; NumVgprs: 0
; ScratchSize: 0
; MemoryBound: 0
; FloatMode: 240
; IeeeMode: 1
; LDSByteSize: 0 bytes/workgroup (compile time only)
; SGPRBlocks: 0
; VGPRBlocks: 0
; NumSGPRsForWavesPerEU: 1
; NumVGPRsForWavesPerEU: 1
; Occupancy: 16
; WaveLimiterHint : 0
; COMPUTE_PGM_RSRC2:SCRATCH_EN: 0
; COMPUTE_PGM_RSRC2:USER_SGPR: 2
; COMPUTE_PGM_RSRC2:TRAP_HANDLER: 0
; COMPUTE_PGM_RSRC2:TGID_X_EN: 1
; COMPUTE_PGM_RSRC2:TGID_Y_EN: 0
; COMPUTE_PGM_RSRC2:TGID_Z_EN: 0
; COMPUTE_PGM_RSRC2:TIDIG_COMP_CNT: 0
	.section	.text._ZN7rocprim17ROCPRIM_400000_NS6detail17trampoline_kernelINS0_14default_configENS1_25partition_config_selectorILNS1_17partition_subalgoE6EjNS0_10empty_typeEbEEZZNS1_14partition_implILS5_6ELb0ES3_mN6thrust23THRUST_200600_302600_NS6detail15normal_iteratorINSA_10device_ptrIjEEEEPS6_SG_NS0_5tupleIJSF_S6_EEENSH_IJSG_SG_EEES6_PlJNSB_9not_fun_tI7is_trueIjEEEEEE10hipError_tPvRmT3_T4_T5_T6_T7_T9_mT8_P12ihipStream_tbDpT10_ENKUlT_T0_E_clISt17integral_constantIbLb1EES17_IbLb0EEEEDaS13_S14_EUlS13_E_NS1_11comp_targetILNS1_3genE8ELNS1_11target_archE1030ELNS1_3gpuE2ELNS1_3repE0EEENS1_30default_config_static_selectorELNS0_4arch9wavefront6targetE0EEEvT1_,"axG",@progbits,_ZN7rocprim17ROCPRIM_400000_NS6detail17trampoline_kernelINS0_14default_configENS1_25partition_config_selectorILNS1_17partition_subalgoE6EjNS0_10empty_typeEbEEZZNS1_14partition_implILS5_6ELb0ES3_mN6thrust23THRUST_200600_302600_NS6detail15normal_iteratorINSA_10device_ptrIjEEEEPS6_SG_NS0_5tupleIJSF_S6_EEENSH_IJSG_SG_EEES6_PlJNSB_9not_fun_tI7is_trueIjEEEEEE10hipError_tPvRmT3_T4_T5_T6_T7_T9_mT8_P12ihipStream_tbDpT10_ENKUlT_T0_E_clISt17integral_constantIbLb1EES17_IbLb0EEEEDaS13_S14_EUlS13_E_NS1_11comp_targetILNS1_3genE8ELNS1_11target_archE1030ELNS1_3gpuE2ELNS1_3repE0EEENS1_30default_config_static_selectorELNS0_4arch9wavefront6targetE0EEEvT1_,comdat
	.protected	_ZN7rocprim17ROCPRIM_400000_NS6detail17trampoline_kernelINS0_14default_configENS1_25partition_config_selectorILNS1_17partition_subalgoE6EjNS0_10empty_typeEbEEZZNS1_14partition_implILS5_6ELb0ES3_mN6thrust23THRUST_200600_302600_NS6detail15normal_iteratorINSA_10device_ptrIjEEEEPS6_SG_NS0_5tupleIJSF_S6_EEENSH_IJSG_SG_EEES6_PlJNSB_9not_fun_tI7is_trueIjEEEEEE10hipError_tPvRmT3_T4_T5_T6_T7_T9_mT8_P12ihipStream_tbDpT10_ENKUlT_T0_E_clISt17integral_constantIbLb1EES17_IbLb0EEEEDaS13_S14_EUlS13_E_NS1_11comp_targetILNS1_3genE8ELNS1_11target_archE1030ELNS1_3gpuE2ELNS1_3repE0EEENS1_30default_config_static_selectorELNS0_4arch9wavefront6targetE0EEEvT1_ ; -- Begin function _ZN7rocprim17ROCPRIM_400000_NS6detail17trampoline_kernelINS0_14default_configENS1_25partition_config_selectorILNS1_17partition_subalgoE6EjNS0_10empty_typeEbEEZZNS1_14partition_implILS5_6ELb0ES3_mN6thrust23THRUST_200600_302600_NS6detail15normal_iteratorINSA_10device_ptrIjEEEEPS6_SG_NS0_5tupleIJSF_S6_EEENSH_IJSG_SG_EEES6_PlJNSB_9not_fun_tI7is_trueIjEEEEEE10hipError_tPvRmT3_T4_T5_T6_T7_T9_mT8_P12ihipStream_tbDpT10_ENKUlT_T0_E_clISt17integral_constantIbLb1EES17_IbLb0EEEEDaS13_S14_EUlS13_E_NS1_11comp_targetILNS1_3genE8ELNS1_11target_archE1030ELNS1_3gpuE2ELNS1_3repE0EEENS1_30default_config_static_selectorELNS0_4arch9wavefront6targetE0EEEvT1_
	.globl	_ZN7rocprim17ROCPRIM_400000_NS6detail17trampoline_kernelINS0_14default_configENS1_25partition_config_selectorILNS1_17partition_subalgoE6EjNS0_10empty_typeEbEEZZNS1_14partition_implILS5_6ELb0ES3_mN6thrust23THRUST_200600_302600_NS6detail15normal_iteratorINSA_10device_ptrIjEEEEPS6_SG_NS0_5tupleIJSF_S6_EEENSH_IJSG_SG_EEES6_PlJNSB_9not_fun_tI7is_trueIjEEEEEE10hipError_tPvRmT3_T4_T5_T6_T7_T9_mT8_P12ihipStream_tbDpT10_ENKUlT_T0_E_clISt17integral_constantIbLb1EES17_IbLb0EEEEDaS13_S14_EUlS13_E_NS1_11comp_targetILNS1_3genE8ELNS1_11target_archE1030ELNS1_3gpuE2ELNS1_3repE0EEENS1_30default_config_static_selectorELNS0_4arch9wavefront6targetE0EEEvT1_
	.p2align	8
	.type	_ZN7rocprim17ROCPRIM_400000_NS6detail17trampoline_kernelINS0_14default_configENS1_25partition_config_selectorILNS1_17partition_subalgoE6EjNS0_10empty_typeEbEEZZNS1_14partition_implILS5_6ELb0ES3_mN6thrust23THRUST_200600_302600_NS6detail15normal_iteratorINSA_10device_ptrIjEEEEPS6_SG_NS0_5tupleIJSF_S6_EEENSH_IJSG_SG_EEES6_PlJNSB_9not_fun_tI7is_trueIjEEEEEE10hipError_tPvRmT3_T4_T5_T6_T7_T9_mT8_P12ihipStream_tbDpT10_ENKUlT_T0_E_clISt17integral_constantIbLb1EES17_IbLb0EEEEDaS13_S14_EUlS13_E_NS1_11comp_targetILNS1_3genE8ELNS1_11target_archE1030ELNS1_3gpuE2ELNS1_3repE0EEENS1_30default_config_static_selectorELNS0_4arch9wavefront6targetE0EEEvT1_,@function
_ZN7rocprim17ROCPRIM_400000_NS6detail17trampoline_kernelINS0_14default_configENS1_25partition_config_selectorILNS1_17partition_subalgoE6EjNS0_10empty_typeEbEEZZNS1_14partition_implILS5_6ELb0ES3_mN6thrust23THRUST_200600_302600_NS6detail15normal_iteratorINSA_10device_ptrIjEEEEPS6_SG_NS0_5tupleIJSF_S6_EEENSH_IJSG_SG_EEES6_PlJNSB_9not_fun_tI7is_trueIjEEEEEE10hipError_tPvRmT3_T4_T5_T6_T7_T9_mT8_P12ihipStream_tbDpT10_ENKUlT_T0_E_clISt17integral_constantIbLb1EES17_IbLb0EEEEDaS13_S14_EUlS13_E_NS1_11comp_targetILNS1_3genE8ELNS1_11target_archE1030ELNS1_3gpuE2ELNS1_3repE0EEENS1_30default_config_static_selectorELNS0_4arch9wavefront6targetE0EEEvT1_: ; @_ZN7rocprim17ROCPRIM_400000_NS6detail17trampoline_kernelINS0_14default_configENS1_25partition_config_selectorILNS1_17partition_subalgoE6EjNS0_10empty_typeEbEEZZNS1_14partition_implILS5_6ELb0ES3_mN6thrust23THRUST_200600_302600_NS6detail15normal_iteratorINSA_10device_ptrIjEEEEPS6_SG_NS0_5tupleIJSF_S6_EEENSH_IJSG_SG_EEES6_PlJNSB_9not_fun_tI7is_trueIjEEEEEE10hipError_tPvRmT3_T4_T5_T6_T7_T9_mT8_P12ihipStream_tbDpT10_ENKUlT_T0_E_clISt17integral_constantIbLb1EES17_IbLb0EEEEDaS13_S14_EUlS13_E_NS1_11comp_targetILNS1_3genE8ELNS1_11target_archE1030ELNS1_3gpuE2ELNS1_3repE0EEENS1_30default_config_static_selectorELNS0_4arch9wavefront6targetE0EEEvT1_
; %bb.0:
	.section	.rodata,"a",@progbits
	.p2align	6, 0x0
	.amdhsa_kernel _ZN7rocprim17ROCPRIM_400000_NS6detail17trampoline_kernelINS0_14default_configENS1_25partition_config_selectorILNS1_17partition_subalgoE6EjNS0_10empty_typeEbEEZZNS1_14partition_implILS5_6ELb0ES3_mN6thrust23THRUST_200600_302600_NS6detail15normal_iteratorINSA_10device_ptrIjEEEEPS6_SG_NS0_5tupleIJSF_S6_EEENSH_IJSG_SG_EEES6_PlJNSB_9not_fun_tI7is_trueIjEEEEEE10hipError_tPvRmT3_T4_T5_T6_T7_T9_mT8_P12ihipStream_tbDpT10_ENKUlT_T0_E_clISt17integral_constantIbLb1EES17_IbLb0EEEEDaS13_S14_EUlS13_E_NS1_11comp_targetILNS1_3genE8ELNS1_11target_archE1030ELNS1_3gpuE2ELNS1_3repE0EEENS1_30default_config_static_selectorELNS0_4arch9wavefront6targetE0EEEvT1_
		.amdhsa_group_segment_fixed_size 0
		.amdhsa_private_segment_fixed_size 0
		.amdhsa_kernarg_size 112
		.amdhsa_user_sgpr_count 2
		.amdhsa_user_sgpr_dispatch_ptr 0
		.amdhsa_user_sgpr_queue_ptr 0
		.amdhsa_user_sgpr_kernarg_segment_ptr 1
		.amdhsa_user_sgpr_dispatch_id 0
		.amdhsa_user_sgpr_private_segment_size 0
		.amdhsa_wavefront_size32 1
		.amdhsa_uses_dynamic_stack 0
		.amdhsa_enable_private_segment 0
		.amdhsa_system_sgpr_workgroup_id_x 1
		.amdhsa_system_sgpr_workgroup_id_y 0
		.amdhsa_system_sgpr_workgroup_id_z 0
		.amdhsa_system_sgpr_workgroup_info 0
		.amdhsa_system_vgpr_workitem_id 0
		.amdhsa_next_free_vgpr 1
		.amdhsa_next_free_sgpr 1
		.amdhsa_reserve_vcc 0
		.amdhsa_float_round_mode_32 0
		.amdhsa_float_round_mode_16_64 0
		.amdhsa_float_denorm_mode_32 3
		.amdhsa_float_denorm_mode_16_64 3
		.amdhsa_fp16_overflow 0
		.amdhsa_workgroup_processor_mode 1
		.amdhsa_memory_ordered 1
		.amdhsa_forward_progress 1
		.amdhsa_inst_pref_size 0
		.amdhsa_round_robin_scheduling 0
		.amdhsa_exception_fp_ieee_invalid_op 0
		.amdhsa_exception_fp_denorm_src 0
		.amdhsa_exception_fp_ieee_div_zero 0
		.amdhsa_exception_fp_ieee_overflow 0
		.amdhsa_exception_fp_ieee_underflow 0
		.amdhsa_exception_fp_ieee_inexact 0
		.amdhsa_exception_int_div_zero 0
	.end_amdhsa_kernel
	.section	.text._ZN7rocprim17ROCPRIM_400000_NS6detail17trampoline_kernelINS0_14default_configENS1_25partition_config_selectorILNS1_17partition_subalgoE6EjNS0_10empty_typeEbEEZZNS1_14partition_implILS5_6ELb0ES3_mN6thrust23THRUST_200600_302600_NS6detail15normal_iteratorINSA_10device_ptrIjEEEEPS6_SG_NS0_5tupleIJSF_S6_EEENSH_IJSG_SG_EEES6_PlJNSB_9not_fun_tI7is_trueIjEEEEEE10hipError_tPvRmT3_T4_T5_T6_T7_T9_mT8_P12ihipStream_tbDpT10_ENKUlT_T0_E_clISt17integral_constantIbLb1EES17_IbLb0EEEEDaS13_S14_EUlS13_E_NS1_11comp_targetILNS1_3genE8ELNS1_11target_archE1030ELNS1_3gpuE2ELNS1_3repE0EEENS1_30default_config_static_selectorELNS0_4arch9wavefront6targetE0EEEvT1_,"axG",@progbits,_ZN7rocprim17ROCPRIM_400000_NS6detail17trampoline_kernelINS0_14default_configENS1_25partition_config_selectorILNS1_17partition_subalgoE6EjNS0_10empty_typeEbEEZZNS1_14partition_implILS5_6ELb0ES3_mN6thrust23THRUST_200600_302600_NS6detail15normal_iteratorINSA_10device_ptrIjEEEEPS6_SG_NS0_5tupleIJSF_S6_EEENSH_IJSG_SG_EEES6_PlJNSB_9not_fun_tI7is_trueIjEEEEEE10hipError_tPvRmT3_T4_T5_T6_T7_T9_mT8_P12ihipStream_tbDpT10_ENKUlT_T0_E_clISt17integral_constantIbLb1EES17_IbLb0EEEEDaS13_S14_EUlS13_E_NS1_11comp_targetILNS1_3genE8ELNS1_11target_archE1030ELNS1_3gpuE2ELNS1_3repE0EEENS1_30default_config_static_selectorELNS0_4arch9wavefront6targetE0EEEvT1_,comdat
.Lfunc_end1164:
	.size	_ZN7rocprim17ROCPRIM_400000_NS6detail17trampoline_kernelINS0_14default_configENS1_25partition_config_selectorILNS1_17partition_subalgoE6EjNS0_10empty_typeEbEEZZNS1_14partition_implILS5_6ELb0ES3_mN6thrust23THRUST_200600_302600_NS6detail15normal_iteratorINSA_10device_ptrIjEEEEPS6_SG_NS0_5tupleIJSF_S6_EEENSH_IJSG_SG_EEES6_PlJNSB_9not_fun_tI7is_trueIjEEEEEE10hipError_tPvRmT3_T4_T5_T6_T7_T9_mT8_P12ihipStream_tbDpT10_ENKUlT_T0_E_clISt17integral_constantIbLb1EES17_IbLb0EEEEDaS13_S14_EUlS13_E_NS1_11comp_targetILNS1_3genE8ELNS1_11target_archE1030ELNS1_3gpuE2ELNS1_3repE0EEENS1_30default_config_static_selectorELNS0_4arch9wavefront6targetE0EEEvT1_, .Lfunc_end1164-_ZN7rocprim17ROCPRIM_400000_NS6detail17trampoline_kernelINS0_14default_configENS1_25partition_config_selectorILNS1_17partition_subalgoE6EjNS0_10empty_typeEbEEZZNS1_14partition_implILS5_6ELb0ES3_mN6thrust23THRUST_200600_302600_NS6detail15normal_iteratorINSA_10device_ptrIjEEEEPS6_SG_NS0_5tupleIJSF_S6_EEENSH_IJSG_SG_EEES6_PlJNSB_9not_fun_tI7is_trueIjEEEEEE10hipError_tPvRmT3_T4_T5_T6_T7_T9_mT8_P12ihipStream_tbDpT10_ENKUlT_T0_E_clISt17integral_constantIbLb1EES17_IbLb0EEEEDaS13_S14_EUlS13_E_NS1_11comp_targetILNS1_3genE8ELNS1_11target_archE1030ELNS1_3gpuE2ELNS1_3repE0EEENS1_30default_config_static_selectorELNS0_4arch9wavefront6targetE0EEEvT1_
                                        ; -- End function
	.set _ZN7rocprim17ROCPRIM_400000_NS6detail17trampoline_kernelINS0_14default_configENS1_25partition_config_selectorILNS1_17partition_subalgoE6EjNS0_10empty_typeEbEEZZNS1_14partition_implILS5_6ELb0ES3_mN6thrust23THRUST_200600_302600_NS6detail15normal_iteratorINSA_10device_ptrIjEEEEPS6_SG_NS0_5tupleIJSF_S6_EEENSH_IJSG_SG_EEES6_PlJNSB_9not_fun_tI7is_trueIjEEEEEE10hipError_tPvRmT3_T4_T5_T6_T7_T9_mT8_P12ihipStream_tbDpT10_ENKUlT_T0_E_clISt17integral_constantIbLb1EES17_IbLb0EEEEDaS13_S14_EUlS13_E_NS1_11comp_targetILNS1_3genE8ELNS1_11target_archE1030ELNS1_3gpuE2ELNS1_3repE0EEENS1_30default_config_static_selectorELNS0_4arch9wavefront6targetE0EEEvT1_.num_vgpr, 0
	.set _ZN7rocprim17ROCPRIM_400000_NS6detail17trampoline_kernelINS0_14default_configENS1_25partition_config_selectorILNS1_17partition_subalgoE6EjNS0_10empty_typeEbEEZZNS1_14partition_implILS5_6ELb0ES3_mN6thrust23THRUST_200600_302600_NS6detail15normal_iteratorINSA_10device_ptrIjEEEEPS6_SG_NS0_5tupleIJSF_S6_EEENSH_IJSG_SG_EEES6_PlJNSB_9not_fun_tI7is_trueIjEEEEEE10hipError_tPvRmT3_T4_T5_T6_T7_T9_mT8_P12ihipStream_tbDpT10_ENKUlT_T0_E_clISt17integral_constantIbLb1EES17_IbLb0EEEEDaS13_S14_EUlS13_E_NS1_11comp_targetILNS1_3genE8ELNS1_11target_archE1030ELNS1_3gpuE2ELNS1_3repE0EEENS1_30default_config_static_selectorELNS0_4arch9wavefront6targetE0EEEvT1_.num_agpr, 0
	.set _ZN7rocprim17ROCPRIM_400000_NS6detail17trampoline_kernelINS0_14default_configENS1_25partition_config_selectorILNS1_17partition_subalgoE6EjNS0_10empty_typeEbEEZZNS1_14partition_implILS5_6ELb0ES3_mN6thrust23THRUST_200600_302600_NS6detail15normal_iteratorINSA_10device_ptrIjEEEEPS6_SG_NS0_5tupleIJSF_S6_EEENSH_IJSG_SG_EEES6_PlJNSB_9not_fun_tI7is_trueIjEEEEEE10hipError_tPvRmT3_T4_T5_T6_T7_T9_mT8_P12ihipStream_tbDpT10_ENKUlT_T0_E_clISt17integral_constantIbLb1EES17_IbLb0EEEEDaS13_S14_EUlS13_E_NS1_11comp_targetILNS1_3genE8ELNS1_11target_archE1030ELNS1_3gpuE2ELNS1_3repE0EEENS1_30default_config_static_selectorELNS0_4arch9wavefront6targetE0EEEvT1_.numbered_sgpr, 0
	.set _ZN7rocprim17ROCPRIM_400000_NS6detail17trampoline_kernelINS0_14default_configENS1_25partition_config_selectorILNS1_17partition_subalgoE6EjNS0_10empty_typeEbEEZZNS1_14partition_implILS5_6ELb0ES3_mN6thrust23THRUST_200600_302600_NS6detail15normal_iteratorINSA_10device_ptrIjEEEEPS6_SG_NS0_5tupleIJSF_S6_EEENSH_IJSG_SG_EEES6_PlJNSB_9not_fun_tI7is_trueIjEEEEEE10hipError_tPvRmT3_T4_T5_T6_T7_T9_mT8_P12ihipStream_tbDpT10_ENKUlT_T0_E_clISt17integral_constantIbLb1EES17_IbLb0EEEEDaS13_S14_EUlS13_E_NS1_11comp_targetILNS1_3genE8ELNS1_11target_archE1030ELNS1_3gpuE2ELNS1_3repE0EEENS1_30default_config_static_selectorELNS0_4arch9wavefront6targetE0EEEvT1_.num_named_barrier, 0
	.set _ZN7rocprim17ROCPRIM_400000_NS6detail17trampoline_kernelINS0_14default_configENS1_25partition_config_selectorILNS1_17partition_subalgoE6EjNS0_10empty_typeEbEEZZNS1_14partition_implILS5_6ELb0ES3_mN6thrust23THRUST_200600_302600_NS6detail15normal_iteratorINSA_10device_ptrIjEEEEPS6_SG_NS0_5tupleIJSF_S6_EEENSH_IJSG_SG_EEES6_PlJNSB_9not_fun_tI7is_trueIjEEEEEE10hipError_tPvRmT3_T4_T5_T6_T7_T9_mT8_P12ihipStream_tbDpT10_ENKUlT_T0_E_clISt17integral_constantIbLb1EES17_IbLb0EEEEDaS13_S14_EUlS13_E_NS1_11comp_targetILNS1_3genE8ELNS1_11target_archE1030ELNS1_3gpuE2ELNS1_3repE0EEENS1_30default_config_static_selectorELNS0_4arch9wavefront6targetE0EEEvT1_.private_seg_size, 0
	.set _ZN7rocprim17ROCPRIM_400000_NS6detail17trampoline_kernelINS0_14default_configENS1_25partition_config_selectorILNS1_17partition_subalgoE6EjNS0_10empty_typeEbEEZZNS1_14partition_implILS5_6ELb0ES3_mN6thrust23THRUST_200600_302600_NS6detail15normal_iteratorINSA_10device_ptrIjEEEEPS6_SG_NS0_5tupleIJSF_S6_EEENSH_IJSG_SG_EEES6_PlJNSB_9not_fun_tI7is_trueIjEEEEEE10hipError_tPvRmT3_T4_T5_T6_T7_T9_mT8_P12ihipStream_tbDpT10_ENKUlT_T0_E_clISt17integral_constantIbLb1EES17_IbLb0EEEEDaS13_S14_EUlS13_E_NS1_11comp_targetILNS1_3genE8ELNS1_11target_archE1030ELNS1_3gpuE2ELNS1_3repE0EEENS1_30default_config_static_selectorELNS0_4arch9wavefront6targetE0EEEvT1_.uses_vcc, 0
	.set _ZN7rocprim17ROCPRIM_400000_NS6detail17trampoline_kernelINS0_14default_configENS1_25partition_config_selectorILNS1_17partition_subalgoE6EjNS0_10empty_typeEbEEZZNS1_14partition_implILS5_6ELb0ES3_mN6thrust23THRUST_200600_302600_NS6detail15normal_iteratorINSA_10device_ptrIjEEEEPS6_SG_NS0_5tupleIJSF_S6_EEENSH_IJSG_SG_EEES6_PlJNSB_9not_fun_tI7is_trueIjEEEEEE10hipError_tPvRmT3_T4_T5_T6_T7_T9_mT8_P12ihipStream_tbDpT10_ENKUlT_T0_E_clISt17integral_constantIbLb1EES17_IbLb0EEEEDaS13_S14_EUlS13_E_NS1_11comp_targetILNS1_3genE8ELNS1_11target_archE1030ELNS1_3gpuE2ELNS1_3repE0EEENS1_30default_config_static_selectorELNS0_4arch9wavefront6targetE0EEEvT1_.uses_flat_scratch, 0
	.set _ZN7rocprim17ROCPRIM_400000_NS6detail17trampoline_kernelINS0_14default_configENS1_25partition_config_selectorILNS1_17partition_subalgoE6EjNS0_10empty_typeEbEEZZNS1_14partition_implILS5_6ELb0ES3_mN6thrust23THRUST_200600_302600_NS6detail15normal_iteratorINSA_10device_ptrIjEEEEPS6_SG_NS0_5tupleIJSF_S6_EEENSH_IJSG_SG_EEES6_PlJNSB_9not_fun_tI7is_trueIjEEEEEE10hipError_tPvRmT3_T4_T5_T6_T7_T9_mT8_P12ihipStream_tbDpT10_ENKUlT_T0_E_clISt17integral_constantIbLb1EES17_IbLb0EEEEDaS13_S14_EUlS13_E_NS1_11comp_targetILNS1_3genE8ELNS1_11target_archE1030ELNS1_3gpuE2ELNS1_3repE0EEENS1_30default_config_static_selectorELNS0_4arch9wavefront6targetE0EEEvT1_.has_dyn_sized_stack, 0
	.set _ZN7rocprim17ROCPRIM_400000_NS6detail17trampoline_kernelINS0_14default_configENS1_25partition_config_selectorILNS1_17partition_subalgoE6EjNS0_10empty_typeEbEEZZNS1_14partition_implILS5_6ELb0ES3_mN6thrust23THRUST_200600_302600_NS6detail15normal_iteratorINSA_10device_ptrIjEEEEPS6_SG_NS0_5tupleIJSF_S6_EEENSH_IJSG_SG_EEES6_PlJNSB_9not_fun_tI7is_trueIjEEEEEE10hipError_tPvRmT3_T4_T5_T6_T7_T9_mT8_P12ihipStream_tbDpT10_ENKUlT_T0_E_clISt17integral_constantIbLb1EES17_IbLb0EEEEDaS13_S14_EUlS13_E_NS1_11comp_targetILNS1_3genE8ELNS1_11target_archE1030ELNS1_3gpuE2ELNS1_3repE0EEENS1_30default_config_static_selectorELNS0_4arch9wavefront6targetE0EEEvT1_.has_recursion, 0
	.set _ZN7rocprim17ROCPRIM_400000_NS6detail17trampoline_kernelINS0_14default_configENS1_25partition_config_selectorILNS1_17partition_subalgoE6EjNS0_10empty_typeEbEEZZNS1_14partition_implILS5_6ELb0ES3_mN6thrust23THRUST_200600_302600_NS6detail15normal_iteratorINSA_10device_ptrIjEEEEPS6_SG_NS0_5tupleIJSF_S6_EEENSH_IJSG_SG_EEES6_PlJNSB_9not_fun_tI7is_trueIjEEEEEE10hipError_tPvRmT3_T4_T5_T6_T7_T9_mT8_P12ihipStream_tbDpT10_ENKUlT_T0_E_clISt17integral_constantIbLb1EES17_IbLb0EEEEDaS13_S14_EUlS13_E_NS1_11comp_targetILNS1_3genE8ELNS1_11target_archE1030ELNS1_3gpuE2ELNS1_3repE0EEENS1_30default_config_static_selectorELNS0_4arch9wavefront6targetE0EEEvT1_.has_indirect_call, 0
	.section	.AMDGPU.csdata,"",@progbits
; Kernel info:
; codeLenInByte = 0
; TotalNumSgprs: 0
; NumVgprs: 0
; ScratchSize: 0
; MemoryBound: 0
; FloatMode: 240
; IeeeMode: 1
; LDSByteSize: 0 bytes/workgroup (compile time only)
; SGPRBlocks: 0
; VGPRBlocks: 0
; NumSGPRsForWavesPerEU: 1
; NumVGPRsForWavesPerEU: 1
; Occupancy: 16
; WaveLimiterHint : 0
; COMPUTE_PGM_RSRC2:SCRATCH_EN: 0
; COMPUTE_PGM_RSRC2:USER_SGPR: 2
; COMPUTE_PGM_RSRC2:TRAP_HANDLER: 0
; COMPUTE_PGM_RSRC2:TGID_X_EN: 1
; COMPUTE_PGM_RSRC2:TGID_Y_EN: 0
; COMPUTE_PGM_RSRC2:TGID_Z_EN: 0
; COMPUTE_PGM_RSRC2:TIDIG_COMP_CNT: 0
	.section	.text._ZN7rocprim17ROCPRIM_400000_NS6detail17trampoline_kernelINS0_14default_configENS1_25partition_config_selectorILNS1_17partition_subalgoE6EjNS0_10empty_typeEbEEZZNS1_14partition_implILS5_6ELb0ES3_mN6thrust23THRUST_200600_302600_NS6detail15normal_iteratorINSA_10device_ptrIjEEEEPS6_SG_NS0_5tupleIJSF_S6_EEENSH_IJSG_SG_EEES6_PlJNSB_9not_fun_tI7is_trueIjEEEEEE10hipError_tPvRmT3_T4_T5_T6_T7_T9_mT8_P12ihipStream_tbDpT10_ENKUlT_T0_E_clISt17integral_constantIbLb0EES17_IbLb1EEEEDaS13_S14_EUlS13_E_NS1_11comp_targetILNS1_3genE0ELNS1_11target_archE4294967295ELNS1_3gpuE0ELNS1_3repE0EEENS1_30default_config_static_selectorELNS0_4arch9wavefront6targetE0EEEvT1_,"axG",@progbits,_ZN7rocprim17ROCPRIM_400000_NS6detail17trampoline_kernelINS0_14default_configENS1_25partition_config_selectorILNS1_17partition_subalgoE6EjNS0_10empty_typeEbEEZZNS1_14partition_implILS5_6ELb0ES3_mN6thrust23THRUST_200600_302600_NS6detail15normal_iteratorINSA_10device_ptrIjEEEEPS6_SG_NS0_5tupleIJSF_S6_EEENSH_IJSG_SG_EEES6_PlJNSB_9not_fun_tI7is_trueIjEEEEEE10hipError_tPvRmT3_T4_T5_T6_T7_T9_mT8_P12ihipStream_tbDpT10_ENKUlT_T0_E_clISt17integral_constantIbLb0EES17_IbLb1EEEEDaS13_S14_EUlS13_E_NS1_11comp_targetILNS1_3genE0ELNS1_11target_archE4294967295ELNS1_3gpuE0ELNS1_3repE0EEENS1_30default_config_static_selectorELNS0_4arch9wavefront6targetE0EEEvT1_,comdat
	.protected	_ZN7rocprim17ROCPRIM_400000_NS6detail17trampoline_kernelINS0_14default_configENS1_25partition_config_selectorILNS1_17partition_subalgoE6EjNS0_10empty_typeEbEEZZNS1_14partition_implILS5_6ELb0ES3_mN6thrust23THRUST_200600_302600_NS6detail15normal_iteratorINSA_10device_ptrIjEEEEPS6_SG_NS0_5tupleIJSF_S6_EEENSH_IJSG_SG_EEES6_PlJNSB_9not_fun_tI7is_trueIjEEEEEE10hipError_tPvRmT3_T4_T5_T6_T7_T9_mT8_P12ihipStream_tbDpT10_ENKUlT_T0_E_clISt17integral_constantIbLb0EES17_IbLb1EEEEDaS13_S14_EUlS13_E_NS1_11comp_targetILNS1_3genE0ELNS1_11target_archE4294967295ELNS1_3gpuE0ELNS1_3repE0EEENS1_30default_config_static_selectorELNS0_4arch9wavefront6targetE0EEEvT1_ ; -- Begin function _ZN7rocprim17ROCPRIM_400000_NS6detail17trampoline_kernelINS0_14default_configENS1_25partition_config_selectorILNS1_17partition_subalgoE6EjNS0_10empty_typeEbEEZZNS1_14partition_implILS5_6ELb0ES3_mN6thrust23THRUST_200600_302600_NS6detail15normal_iteratorINSA_10device_ptrIjEEEEPS6_SG_NS0_5tupleIJSF_S6_EEENSH_IJSG_SG_EEES6_PlJNSB_9not_fun_tI7is_trueIjEEEEEE10hipError_tPvRmT3_T4_T5_T6_T7_T9_mT8_P12ihipStream_tbDpT10_ENKUlT_T0_E_clISt17integral_constantIbLb0EES17_IbLb1EEEEDaS13_S14_EUlS13_E_NS1_11comp_targetILNS1_3genE0ELNS1_11target_archE4294967295ELNS1_3gpuE0ELNS1_3repE0EEENS1_30default_config_static_selectorELNS0_4arch9wavefront6targetE0EEEvT1_
	.globl	_ZN7rocprim17ROCPRIM_400000_NS6detail17trampoline_kernelINS0_14default_configENS1_25partition_config_selectorILNS1_17partition_subalgoE6EjNS0_10empty_typeEbEEZZNS1_14partition_implILS5_6ELb0ES3_mN6thrust23THRUST_200600_302600_NS6detail15normal_iteratorINSA_10device_ptrIjEEEEPS6_SG_NS0_5tupleIJSF_S6_EEENSH_IJSG_SG_EEES6_PlJNSB_9not_fun_tI7is_trueIjEEEEEE10hipError_tPvRmT3_T4_T5_T6_T7_T9_mT8_P12ihipStream_tbDpT10_ENKUlT_T0_E_clISt17integral_constantIbLb0EES17_IbLb1EEEEDaS13_S14_EUlS13_E_NS1_11comp_targetILNS1_3genE0ELNS1_11target_archE4294967295ELNS1_3gpuE0ELNS1_3repE0EEENS1_30default_config_static_selectorELNS0_4arch9wavefront6targetE0EEEvT1_
	.p2align	8
	.type	_ZN7rocprim17ROCPRIM_400000_NS6detail17trampoline_kernelINS0_14default_configENS1_25partition_config_selectorILNS1_17partition_subalgoE6EjNS0_10empty_typeEbEEZZNS1_14partition_implILS5_6ELb0ES3_mN6thrust23THRUST_200600_302600_NS6detail15normal_iteratorINSA_10device_ptrIjEEEEPS6_SG_NS0_5tupleIJSF_S6_EEENSH_IJSG_SG_EEES6_PlJNSB_9not_fun_tI7is_trueIjEEEEEE10hipError_tPvRmT3_T4_T5_T6_T7_T9_mT8_P12ihipStream_tbDpT10_ENKUlT_T0_E_clISt17integral_constantIbLb0EES17_IbLb1EEEEDaS13_S14_EUlS13_E_NS1_11comp_targetILNS1_3genE0ELNS1_11target_archE4294967295ELNS1_3gpuE0ELNS1_3repE0EEENS1_30default_config_static_selectorELNS0_4arch9wavefront6targetE0EEEvT1_,@function
_ZN7rocprim17ROCPRIM_400000_NS6detail17trampoline_kernelINS0_14default_configENS1_25partition_config_selectorILNS1_17partition_subalgoE6EjNS0_10empty_typeEbEEZZNS1_14partition_implILS5_6ELb0ES3_mN6thrust23THRUST_200600_302600_NS6detail15normal_iteratorINSA_10device_ptrIjEEEEPS6_SG_NS0_5tupleIJSF_S6_EEENSH_IJSG_SG_EEES6_PlJNSB_9not_fun_tI7is_trueIjEEEEEE10hipError_tPvRmT3_T4_T5_T6_T7_T9_mT8_P12ihipStream_tbDpT10_ENKUlT_T0_E_clISt17integral_constantIbLb0EES17_IbLb1EEEEDaS13_S14_EUlS13_E_NS1_11comp_targetILNS1_3genE0ELNS1_11target_archE4294967295ELNS1_3gpuE0ELNS1_3repE0EEENS1_30default_config_static_selectorELNS0_4arch9wavefront6targetE0EEEvT1_: ; @_ZN7rocprim17ROCPRIM_400000_NS6detail17trampoline_kernelINS0_14default_configENS1_25partition_config_selectorILNS1_17partition_subalgoE6EjNS0_10empty_typeEbEEZZNS1_14partition_implILS5_6ELb0ES3_mN6thrust23THRUST_200600_302600_NS6detail15normal_iteratorINSA_10device_ptrIjEEEEPS6_SG_NS0_5tupleIJSF_S6_EEENSH_IJSG_SG_EEES6_PlJNSB_9not_fun_tI7is_trueIjEEEEEE10hipError_tPvRmT3_T4_T5_T6_T7_T9_mT8_P12ihipStream_tbDpT10_ENKUlT_T0_E_clISt17integral_constantIbLb0EES17_IbLb1EEEEDaS13_S14_EUlS13_E_NS1_11comp_targetILNS1_3genE0ELNS1_11target_archE4294967295ELNS1_3gpuE0ELNS1_3repE0EEENS1_30default_config_static_selectorELNS0_4arch9wavefront6targetE0EEEvT1_
; %bb.0:
	.section	.rodata,"a",@progbits
	.p2align	6, 0x0
	.amdhsa_kernel _ZN7rocprim17ROCPRIM_400000_NS6detail17trampoline_kernelINS0_14default_configENS1_25partition_config_selectorILNS1_17partition_subalgoE6EjNS0_10empty_typeEbEEZZNS1_14partition_implILS5_6ELb0ES3_mN6thrust23THRUST_200600_302600_NS6detail15normal_iteratorINSA_10device_ptrIjEEEEPS6_SG_NS0_5tupleIJSF_S6_EEENSH_IJSG_SG_EEES6_PlJNSB_9not_fun_tI7is_trueIjEEEEEE10hipError_tPvRmT3_T4_T5_T6_T7_T9_mT8_P12ihipStream_tbDpT10_ENKUlT_T0_E_clISt17integral_constantIbLb0EES17_IbLb1EEEEDaS13_S14_EUlS13_E_NS1_11comp_targetILNS1_3genE0ELNS1_11target_archE4294967295ELNS1_3gpuE0ELNS1_3repE0EEENS1_30default_config_static_selectorELNS0_4arch9wavefront6targetE0EEEvT1_
		.amdhsa_group_segment_fixed_size 0
		.amdhsa_private_segment_fixed_size 0
		.amdhsa_kernarg_size 128
		.amdhsa_user_sgpr_count 2
		.amdhsa_user_sgpr_dispatch_ptr 0
		.amdhsa_user_sgpr_queue_ptr 0
		.amdhsa_user_sgpr_kernarg_segment_ptr 1
		.amdhsa_user_sgpr_dispatch_id 0
		.amdhsa_user_sgpr_private_segment_size 0
		.amdhsa_wavefront_size32 1
		.amdhsa_uses_dynamic_stack 0
		.amdhsa_enable_private_segment 0
		.amdhsa_system_sgpr_workgroup_id_x 1
		.amdhsa_system_sgpr_workgroup_id_y 0
		.amdhsa_system_sgpr_workgroup_id_z 0
		.amdhsa_system_sgpr_workgroup_info 0
		.amdhsa_system_vgpr_workitem_id 0
		.amdhsa_next_free_vgpr 1
		.amdhsa_next_free_sgpr 1
		.amdhsa_reserve_vcc 0
		.amdhsa_float_round_mode_32 0
		.amdhsa_float_round_mode_16_64 0
		.amdhsa_float_denorm_mode_32 3
		.amdhsa_float_denorm_mode_16_64 3
		.amdhsa_fp16_overflow 0
		.amdhsa_workgroup_processor_mode 1
		.amdhsa_memory_ordered 1
		.amdhsa_forward_progress 1
		.amdhsa_inst_pref_size 0
		.amdhsa_round_robin_scheduling 0
		.amdhsa_exception_fp_ieee_invalid_op 0
		.amdhsa_exception_fp_denorm_src 0
		.amdhsa_exception_fp_ieee_div_zero 0
		.amdhsa_exception_fp_ieee_overflow 0
		.amdhsa_exception_fp_ieee_underflow 0
		.amdhsa_exception_fp_ieee_inexact 0
		.amdhsa_exception_int_div_zero 0
	.end_amdhsa_kernel
	.section	.text._ZN7rocprim17ROCPRIM_400000_NS6detail17trampoline_kernelINS0_14default_configENS1_25partition_config_selectorILNS1_17partition_subalgoE6EjNS0_10empty_typeEbEEZZNS1_14partition_implILS5_6ELb0ES3_mN6thrust23THRUST_200600_302600_NS6detail15normal_iteratorINSA_10device_ptrIjEEEEPS6_SG_NS0_5tupleIJSF_S6_EEENSH_IJSG_SG_EEES6_PlJNSB_9not_fun_tI7is_trueIjEEEEEE10hipError_tPvRmT3_T4_T5_T6_T7_T9_mT8_P12ihipStream_tbDpT10_ENKUlT_T0_E_clISt17integral_constantIbLb0EES17_IbLb1EEEEDaS13_S14_EUlS13_E_NS1_11comp_targetILNS1_3genE0ELNS1_11target_archE4294967295ELNS1_3gpuE0ELNS1_3repE0EEENS1_30default_config_static_selectorELNS0_4arch9wavefront6targetE0EEEvT1_,"axG",@progbits,_ZN7rocprim17ROCPRIM_400000_NS6detail17trampoline_kernelINS0_14default_configENS1_25partition_config_selectorILNS1_17partition_subalgoE6EjNS0_10empty_typeEbEEZZNS1_14partition_implILS5_6ELb0ES3_mN6thrust23THRUST_200600_302600_NS6detail15normal_iteratorINSA_10device_ptrIjEEEEPS6_SG_NS0_5tupleIJSF_S6_EEENSH_IJSG_SG_EEES6_PlJNSB_9not_fun_tI7is_trueIjEEEEEE10hipError_tPvRmT3_T4_T5_T6_T7_T9_mT8_P12ihipStream_tbDpT10_ENKUlT_T0_E_clISt17integral_constantIbLb0EES17_IbLb1EEEEDaS13_S14_EUlS13_E_NS1_11comp_targetILNS1_3genE0ELNS1_11target_archE4294967295ELNS1_3gpuE0ELNS1_3repE0EEENS1_30default_config_static_selectorELNS0_4arch9wavefront6targetE0EEEvT1_,comdat
.Lfunc_end1165:
	.size	_ZN7rocprim17ROCPRIM_400000_NS6detail17trampoline_kernelINS0_14default_configENS1_25partition_config_selectorILNS1_17partition_subalgoE6EjNS0_10empty_typeEbEEZZNS1_14partition_implILS5_6ELb0ES3_mN6thrust23THRUST_200600_302600_NS6detail15normal_iteratorINSA_10device_ptrIjEEEEPS6_SG_NS0_5tupleIJSF_S6_EEENSH_IJSG_SG_EEES6_PlJNSB_9not_fun_tI7is_trueIjEEEEEE10hipError_tPvRmT3_T4_T5_T6_T7_T9_mT8_P12ihipStream_tbDpT10_ENKUlT_T0_E_clISt17integral_constantIbLb0EES17_IbLb1EEEEDaS13_S14_EUlS13_E_NS1_11comp_targetILNS1_3genE0ELNS1_11target_archE4294967295ELNS1_3gpuE0ELNS1_3repE0EEENS1_30default_config_static_selectorELNS0_4arch9wavefront6targetE0EEEvT1_, .Lfunc_end1165-_ZN7rocprim17ROCPRIM_400000_NS6detail17trampoline_kernelINS0_14default_configENS1_25partition_config_selectorILNS1_17partition_subalgoE6EjNS0_10empty_typeEbEEZZNS1_14partition_implILS5_6ELb0ES3_mN6thrust23THRUST_200600_302600_NS6detail15normal_iteratorINSA_10device_ptrIjEEEEPS6_SG_NS0_5tupleIJSF_S6_EEENSH_IJSG_SG_EEES6_PlJNSB_9not_fun_tI7is_trueIjEEEEEE10hipError_tPvRmT3_T4_T5_T6_T7_T9_mT8_P12ihipStream_tbDpT10_ENKUlT_T0_E_clISt17integral_constantIbLb0EES17_IbLb1EEEEDaS13_S14_EUlS13_E_NS1_11comp_targetILNS1_3genE0ELNS1_11target_archE4294967295ELNS1_3gpuE0ELNS1_3repE0EEENS1_30default_config_static_selectorELNS0_4arch9wavefront6targetE0EEEvT1_
                                        ; -- End function
	.set _ZN7rocprim17ROCPRIM_400000_NS6detail17trampoline_kernelINS0_14default_configENS1_25partition_config_selectorILNS1_17partition_subalgoE6EjNS0_10empty_typeEbEEZZNS1_14partition_implILS5_6ELb0ES3_mN6thrust23THRUST_200600_302600_NS6detail15normal_iteratorINSA_10device_ptrIjEEEEPS6_SG_NS0_5tupleIJSF_S6_EEENSH_IJSG_SG_EEES6_PlJNSB_9not_fun_tI7is_trueIjEEEEEE10hipError_tPvRmT3_T4_T5_T6_T7_T9_mT8_P12ihipStream_tbDpT10_ENKUlT_T0_E_clISt17integral_constantIbLb0EES17_IbLb1EEEEDaS13_S14_EUlS13_E_NS1_11comp_targetILNS1_3genE0ELNS1_11target_archE4294967295ELNS1_3gpuE0ELNS1_3repE0EEENS1_30default_config_static_selectorELNS0_4arch9wavefront6targetE0EEEvT1_.num_vgpr, 0
	.set _ZN7rocprim17ROCPRIM_400000_NS6detail17trampoline_kernelINS0_14default_configENS1_25partition_config_selectorILNS1_17partition_subalgoE6EjNS0_10empty_typeEbEEZZNS1_14partition_implILS5_6ELb0ES3_mN6thrust23THRUST_200600_302600_NS6detail15normal_iteratorINSA_10device_ptrIjEEEEPS6_SG_NS0_5tupleIJSF_S6_EEENSH_IJSG_SG_EEES6_PlJNSB_9not_fun_tI7is_trueIjEEEEEE10hipError_tPvRmT3_T4_T5_T6_T7_T9_mT8_P12ihipStream_tbDpT10_ENKUlT_T0_E_clISt17integral_constantIbLb0EES17_IbLb1EEEEDaS13_S14_EUlS13_E_NS1_11comp_targetILNS1_3genE0ELNS1_11target_archE4294967295ELNS1_3gpuE0ELNS1_3repE0EEENS1_30default_config_static_selectorELNS0_4arch9wavefront6targetE0EEEvT1_.num_agpr, 0
	.set _ZN7rocprim17ROCPRIM_400000_NS6detail17trampoline_kernelINS0_14default_configENS1_25partition_config_selectorILNS1_17partition_subalgoE6EjNS0_10empty_typeEbEEZZNS1_14partition_implILS5_6ELb0ES3_mN6thrust23THRUST_200600_302600_NS6detail15normal_iteratorINSA_10device_ptrIjEEEEPS6_SG_NS0_5tupleIJSF_S6_EEENSH_IJSG_SG_EEES6_PlJNSB_9not_fun_tI7is_trueIjEEEEEE10hipError_tPvRmT3_T4_T5_T6_T7_T9_mT8_P12ihipStream_tbDpT10_ENKUlT_T0_E_clISt17integral_constantIbLb0EES17_IbLb1EEEEDaS13_S14_EUlS13_E_NS1_11comp_targetILNS1_3genE0ELNS1_11target_archE4294967295ELNS1_3gpuE0ELNS1_3repE0EEENS1_30default_config_static_selectorELNS0_4arch9wavefront6targetE0EEEvT1_.numbered_sgpr, 0
	.set _ZN7rocprim17ROCPRIM_400000_NS6detail17trampoline_kernelINS0_14default_configENS1_25partition_config_selectorILNS1_17partition_subalgoE6EjNS0_10empty_typeEbEEZZNS1_14partition_implILS5_6ELb0ES3_mN6thrust23THRUST_200600_302600_NS6detail15normal_iteratorINSA_10device_ptrIjEEEEPS6_SG_NS0_5tupleIJSF_S6_EEENSH_IJSG_SG_EEES6_PlJNSB_9not_fun_tI7is_trueIjEEEEEE10hipError_tPvRmT3_T4_T5_T6_T7_T9_mT8_P12ihipStream_tbDpT10_ENKUlT_T0_E_clISt17integral_constantIbLb0EES17_IbLb1EEEEDaS13_S14_EUlS13_E_NS1_11comp_targetILNS1_3genE0ELNS1_11target_archE4294967295ELNS1_3gpuE0ELNS1_3repE0EEENS1_30default_config_static_selectorELNS0_4arch9wavefront6targetE0EEEvT1_.num_named_barrier, 0
	.set _ZN7rocprim17ROCPRIM_400000_NS6detail17trampoline_kernelINS0_14default_configENS1_25partition_config_selectorILNS1_17partition_subalgoE6EjNS0_10empty_typeEbEEZZNS1_14partition_implILS5_6ELb0ES3_mN6thrust23THRUST_200600_302600_NS6detail15normal_iteratorINSA_10device_ptrIjEEEEPS6_SG_NS0_5tupleIJSF_S6_EEENSH_IJSG_SG_EEES6_PlJNSB_9not_fun_tI7is_trueIjEEEEEE10hipError_tPvRmT3_T4_T5_T6_T7_T9_mT8_P12ihipStream_tbDpT10_ENKUlT_T0_E_clISt17integral_constantIbLb0EES17_IbLb1EEEEDaS13_S14_EUlS13_E_NS1_11comp_targetILNS1_3genE0ELNS1_11target_archE4294967295ELNS1_3gpuE0ELNS1_3repE0EEENS1_30default_config_static_selectorELNS0_4arch9wavefront6targetE0EEEvT1_.private_seg_size, 0
	.set _ZN7rocprim17ROCPRIM_400000_NS6detail17trampoline_kernelINS0_14default_configENS1_25partition_config_selectorILNS1_17partition_subalgoE6EjNS0_10empty_typeEbEEZZNS1_14partition_implILS5_6ELb0ES3_mN6thrust23THRUST_200600_302600_NS6detail15normal_iteratorINSA_10device_ptrIjEEEEPS6_SG_NS0_5tupleIJSF_S6_EEENSH_IJSG_SG_EEES6_PlJNSB_9not_fun_tI7is_trueIjEEEEEE10hipError_tPvRmT3_T4_T5_T6_T7_T9_mT8_P12ihipStream_tbDpT10_ENKUlT_T0_E_clISt17integral_constantIbLb0EES17_IbLb1EEEEDaS13_S14_EUlS13_E_NS1_11comp_targetILNS1_3genE0ELNS1_11target_archE4294967295ELNS1_3gpuE0ELNS1_3repE0EEENS1_30default_config_static_selectorELNS0_4arch9wavefront6targetE0EEEvT1_.uses_vcc, 0
	.set _ZN7rocprim17ROCPRIM_400000_NS6detail17trampoline_kernelINS0_14default_configENS1_25partition_config_selectorILNS1_17partition_subalgoE6EjNS0_10empty_typeEbEEZZNS1_14partition_implILS5_6ELb0ES3_mN6thrust23THRUST_200600_302600_NS6detail15normal_iteratorINSA_10device_ptrIjEEEEPS6_SG_NS0_5tupleIJSF_S6_EEENSH_IJSG_SG_EEES6_PlJNSB_9not_fun_tI7is_trueIjEEEEEE10hipError_tPvRmT3_T4_T5_T6_T7_T9_mT8_P12ihipStream_tbDpT10_ENKUlT_T0_E_clISt17integral_constantIbLb0EES17_IbLb1EEEEDaS13_S14_EUlS13_E_NS1_11comp_targetILNS1_3genE0ELNS1_11target_archE4294967295ELNS1_3gpuE0ELNS1_3repE0EEENS1_30default_config_static_selectorELNS0_4arch9wavefront6targetE0EEEvT1_.uses_flat_scratch, 0
	.set _ZN7rocprim17ROCPRIM_400000_NS6detail17trampoline_kernelINS0_14default_configENS1_25partition_config_selectorILNS1_17partition_subalgoE6EjNS0_10empty_typeEbEEZZNS1_14partition_implILS5_6ELb0ES3_mN6thrust23THRUST_200600_302600_NS6detail15normal_iteratorINSA_10device_ptrIjEEEEPS6_SG_NS0_5tupleIJSF_S6_EEENSH_IJSG_SG_EEES6_PlJNSB_9not_fun_tI7is_trueIjEEEEEE10hipError_tPvRmT3_T4_T5_T6_T7_T9_mT8_P12ihipStream_tbDpT10_ENKUlT_T0_E_clISt17integral_constantIbLb0EES17_IbLb1EEEEDaS13_S14_EUlS13_E_NS1_11comp_targetILNS1_3genE0ELNS1_11target_archE4294967295ELNS1_3gpuE0ELNS1_3repE0EEENS1_30default_config_static_selectorELNS0_4arch9wavefront6targetE0EEEvT1_.has_dyn_sized_stack, 0
	.set _ZN7rocprim17ROCPRIM_400000_NS6detail17trampoline_kernelINS0_14default_configENS1_25partition_config_selectorILNS1_17partition_subalgoE6EjNS0_10empty_typeEbEEZZNS1_14partition_implILS5_6ELb0ES3_mN6thrust23THRUST_200600_302600_NS6detail15normal_iteratorINSA_10device_ptrIjEEEEPS6_SG_NS0_5tupleIJSF_S6_EEENSH_IJSG_SG_EEES6_PlJNSB_9not_fun_tI7is_trueIjEEEEEE10hipError_tPvRmT3_T4_T5_T6_T7_T9_mT8_P12ihipStream_tbDpT10_ENKUlT_T0_E_clISt17integral_constantIbLb0EES17_IbLb1EEEEDaS13_S14_EUlS13_E_NS1_11comp_targetILNS1_3genE0ELNS1_11target_archE4294967295ELNS1_3gpuE0ELNS1_3repE0EEENS1_30default_config_static_selectorELNS0_4arch9wavefront6targetE0EEEvT1_.has_recursion, 0
	.set _ZN7rocprim17ROCPRIM_400000_NS6detail17trampoline_kernelINS0_14default_configENS1_25partition_config_selectorILNS1_17partition_subalgoE6EjNS0_10empty_typeEbEEZZNS1_14partition_implILS5_6ELb0ES3_mN6thrust23THRUST_200600_302600_NS6detail15normal_iteratorINSA_10device_ptrIjEEEEPS6_SG_NS0_5tupleIJSF_S6_EEENSH_IJSG_SG_EEES6_PlJNSB_9not_fun_tI7is_trueIjEEEEEE10hipError_tPvRmT3_T4_T5_T6_T7_T9_mT8_P12ihipStream_tbDpT10_ENKUlT_T0_E_clISt17integral_constantIbLb0EES17_IbLb1EEEEDaS13_S14_EUlS13_E_NS1_11comp_targetILNS1_3genE0ELNS1_11target_archE4294967295ELNS1_3gpuE0ELNS1_3repE0EEENS1_30default_config_static_selectorELNS0_4arch9wavefront6targetE0EEEvT1_.has_indirect_call, 0
	.section	.AMDGPU.csdata,"",@progbits
; Kernel info:
; codeLenInByte = 0
; TotalNumSgprs: 0
; NumVgprs: 0
; ScratchSize: 0
; MemoryBound: 0
; FloatMode: 240
; IeeeMode: 1
; LDSByteSize: 0 bytes/workgroup (compile time only)
; SGPRBlocks: 0
; VGPRBlocks: 0
; NumSGPRsForWavesPerEU: 1
; NumVGPRsForWavesPerEU: 1
; Occupancy: 16
; WaveLimiterHint : 0
; COMPUTE_PGM_RSRC2:SCRATCH_EN: 0
; COMPUTE_PGM_RSRC2:USER_SGPR: 2
; COMPUTE_PGM_RSRC2:TRAP_HANDLER: 0
; COMPUTE_PGM_RSRC2:TGID_X_EN: 1
; COMPUTE_PGM_RSRC2:TGID_Y_EN: 0
; COMPUTE_PGM_RSRC2:TGID_Z_EN: 0
; COMPUTE_PGM_RSRC2:TIDIG_COMP_CNT: 0
	.section	.text._ZN7rocprim17ROCPRIM_400000_NS6detail17trampoline_kernelINS0_14default_configENS1_25partition_config_selectorILNS1_17partition_subalgoE6EjNS0_10empty_typeEbEEZZNS1_14partition_implILS5_6ELb0ES3_mN6thrust23THRUST_200600_302600_NS6detail15normal_iteratorINSA_10device_ptrIjEEEEPS6_SG_NS0_5tupleIJSF_S6_EEENSH_IJSG_SG_EEES6_PlJNSB_9not_fun_tI7is_trueIjEEEEEE10hipError_tPvRmT3_T4_T5_T6_T7_T9_mT8_P12ihipStream_tbDpT10_ENKUlT_T0_E_clISt17integral_constantIbLb0EES17_IbLb1EEEEDaS13_S14_EUlS13_E_NS1_11comp_targetILNS1_3genE5ELNS1_11target_archE942ELNS1_3gpuE9ELNS1_3repE0EEENS1_30default_config_static_selectorELNS0_4arch9wavefront6targetE0EEEvT1_,"axG",@progbits,_ZN7rocprim17ROCPRIM_400000_NS6detail17trampoline_kernelINS0_14default_configENS1_25partition_config_selectorILNS1_17partition_subalgoE6EjNS0_10empty_typeEbEEZZNS1_14partition_implILS5_6ELb0ES3_mN6thrust23THRUST_200600_302600_NS6detail15normal_iteratorINSA_10device_ptrIjEEEEPS6_SG_NS0_5tupleIJSF_S6_EEENSH_IJSG_SG_EEES6_PlJNSB_9not_fun_tI7is_trueIjEEEEEE10hipError_tPvRmT3_T4_T5_T6_T7_T9_mT8_P12ihipStream_tbDpT10_ENKUlT_T0_E_clISt17integral_constantIbLb0EES17_IbLb1EEEEDaS13_S14_EUlS13_E_NS1_11comp_targetILNS1_3genE5ELNS1_11target_archE942ELNS1_3gpuE9ELNS1_3repE0EEENS1_30default_config_static_selectorELNS0_4arch9wavefront6targetE0EEEvT1_,comdat
	.protected	_ZN7rocprim17ROCPRIM_400000_NS6detail17trampoline_kernelINS0_14default_configENS1_25partition_config_selectorILNS1_17partition_subalgoE6EjNS0_10empty_typeEbEEZZNS1_14partition_implILS5_6ELb0ES3_mN6thrust23THRUST_200600_302600_NS6detail15normal_iteratorINSA_10device_ptrIjEEEEPS6_SG_NS0_5tupleIJSF_S6_EEENSH_IJSG_SG_EEES6_PlJNSB_9not_fun_tI7is_trueIjEEEEEE10hipError_tPvRmT3_T4_T5_T6_T7_T9_mT8_P12ihipStream_tbDpT10_ENKUlT_T0_E_clISt17integral_constantIbLb0EES17_IbLb1EEEEDaS13_S14_EUlS13_E_NS1_11comp_targetILNS1_3genE5ELNS1_11target_archE942ELNS1_3gpuE9ELNS1_3repE0EEENS1_30default_config_static_selectorELNS0_4arch9wavefront6targetE0EEEvT1_ ; -- Begin function _ZN7rocprim17ROCPRIM_400000_NS6detail17trampoline_kernelINS0_14default_configENS1_25partition_config_selectorILNS1_17partition_subalgoE6EjNS0_10empty_typeEbEEZZNS1_14partition_implILS5_6ELb0ES3_mN6thrust23THRUST_200600_302600_NS6detail15normal_iteratorINSA_10device_ptrIjEEEEPS6_SG_NS0_5tupleIJSF_S6_EEENSH_IJSG_SG_EEES6_PlJNSB_9not_fun_tI7is_trueIjEEEEEE10hipError_tPvRmT3_T4_T5_T6_T7_T9_mT8_P12ihipStream_tbDpT10_ENKUlT_T0_E_clISt17integral_constantIbLb0EES17_IbLb1EEEEDaS13_S14_EUlS13_E_NS1_11comp_targetILNS1_3genE5ELNS1_11target_archE942ELNS1_3gpuE9ELNS1_3repE0EEENS1_30default_config_static_selectorELNS0_4arch9wavefront6targetE0EEEvT1_
	.globl	_ZN7rocprim17ROCPRIM_400000_NS6detail17trampoline_kernelINS0_14default_configENS1_25partition_config_selectorILNS1_17partition_subalgoE6EjNS0_10empty_typeEbEEZZNS1_14partition_implILS5_6ELb0ES3_mN6thrust23THRUST_200600_302600_NS6detail15normal_iteratorINSA_10device_ptrIjEEEEPS6_SG_NS0_5tupleIJSF_S6_EEENSH_IJSG_SG_EEES6_PlJNSB_9not_fun_tI7is_trueIjEEEEEE10hipError_tPvRmT3_T4_T5_T6_T7_T9_mT8_P12ihipStream_tbDpT10_ENKUlT_T0_E_clISt17integral_constantIbLb0EES17_IbLb1EEEEDaS13_S14_EUlS13_E_NS1_11comp_targetILNS1_3genE5ELNS1_11target_archE942ELNS1_3gpuE9ELNS1_3repE0EEENS1_30default_config_static_selectorELNS0_4arch9wavefront6targetE0EEEvT1_
	.p2align	8
	.type	_ZN7rocprim17ROCPRIM_400000_NS6detail17trampoline_kernelINS0_14default_configENS1_25partition_config_selectorILNS1_17partition_subalgoE6EjNS0_10empty_typeEbEEZZNS1_14partition_implILS5_6ELb0ES3_mN6thrust23THRUST_200600_302600_NS6detail15normal_iteratorINSA_10device_ptrIjEEEEPS6_SG_NS0_5tupleIJSF_S6_EEENSH_IJSG_SG_EEES6_PlJNSB_9not_fun_tI7is_trueIjEEEEEE10hipError_tPvRmT3_T4_T5_T6_T7_T9_mT8_P12ihipStream_tbDpT10_ENKUlT_T0_E_clISt17integral_constantIbLb0EES17_IbLb1EEEEDaS13_S14_EUlS13_E_NS1_11comp_targetILNS1_3genE5ELNS1_11target_archE942ELNS1_3gpuE9ELNS1_3repE0EEENS1_30default_config_static_selectorELNS0_4arch9wavefront6targetE0EEEvT1_,@function
_ZN7rocprim17ROCPRIM_400000_NS6detail17trampoline_kernelINS0_14default_configENS1_25partition_config_selectorILNS1_17partition_subalgoE6EjNS0_10empty_typeEbEEZZNS1_14partition_implILS5_6ELb0ES3_mN6thrust23THRUST_200600_302600_NS6detail15normal_iteratorINSA_10device_ptrIjEEEEPS6_SG_NS0_5tupleIJSF_S6_EEENSH_IJSG_SG_EEES6_PlJNSB_9not_fun_tI7is_trueIjEEEEEE10hipError_tPvRmT3_T4_T5_T6_T7_T9_mT8_P12ihipStream_tbDpT10_ENKUlT_T0_E_clISt17integral_constantIbLb0EES17_IbLb1EEEEDaS13_S14_EUlS13_E_NS1_11comp_targetILNS1_3genE5ELNS1_11target_archE942ELNS1_3gpuE9ELNS1_3repE0EEENS1_30default_config_static_selectorELNS0_4arch9wavefront6targetE0EEEvT1_: ; @_ZN7rocprim17ROCPRIM_400000_NS6detail17trampoline_kernelINS0_14default_configENS1_25partition_config_selectorILNS1_17partition_subalgoE6EjNS0_10empty_typeEbEEZZNS1_14partition_implILS5_6ELb0ES3_mN6thrust23THRUST_200600_302600_NS6detail15normal_iteratorINSA_10device_ptrIjEEEEPS6_SG_NS0_5tupleIJSF_S6_EEENSH_IJSG_SG_EEES6_PlJNSB_9not_fun_tI7is_trueIjEEEEEE10hipError_tPvRmT3_T4_T5_T6_T7_T9_mT8_P12ihipStream_tbDpT10_ENKUlT_T0_E_clISt17integral_constantIbLb0EES17_IbLb1EEEEDaS13_S14_EUlS13_E_NS1_11comp_targetILNS1_3genE5ELNS1_11target_archE942ELNS1_3gpuE9ELNS1_3repE0EEENS1_30default_config_static_selectorELNS0_4arch9wavefront6targetE0EEEvT1_
; %bb.0:
	.section	.rodata,"a",@progbits
	.p2align	6, 0x0
	.amdhsa_kernel _ZN7rocprim17ROCPRIM_400000_NS6detail17trampoline_kernelINS0_14default_configENS1_25partition_config_selectorILNS1_17partition_subalgoE6EjNS0_10empty_typeEbEEZZNS1_14partition_implILS5_6ELb0ES3_mN6thrust23THRUST_200600_302600_NS6detail15normal_iteratorINSA_10device_ptrIjEEEEPS6_SG_NS0_5tupleIJSF_S6_EEENSH_IJSG_SG_EEES6_PlJNSB_9not_fun_tI7is_trueIjEEEEEE10hipError_tPvRmT3_T4_T5_T6_T7_T9_mT8_P12ihipStream_tbDpT10_ENKUlT_T0_E_clISt17integral_constantIbLb0EES17_IbLb1EEEEDaS13_S14_EUlS13_E_NS1_11comp_targetILNS1_3genE5ELNS1_11target_archE942ELNS1_3gpuE9ELNS1_3repE0EEENS1_30default_config_static_selectorELNS0_4arch9wavefront6targetE0EEEvT1_
		.amdhsa_group_segment_fixed_size 0
		.amdhsa_private_segment_fixed_size 0
		.amdhsa_kernarg_size 128
		.amdhsa_user_sgpr_count 2
		.amdhsa_user_sgpr_dispatch_ptr 0
		.amdhsa_user_sgpr_queue_ptr 0
		.amdhsa_user_sgpr_kernarg_segment_ptr 1
		.amdhsa_user_sgpr_dispatch_id 0
		.amdhsa_user_sgpr_private_segment_size 0
		.amdhsa_wavefront_size32 1
		.amdhsa_uses_dynamic_stack 0
		.amdhsa_enable_private_segment 0
		.amdhsa_system_sgpr_workgroup_id_x 1
		.amdhsa_system_sgpr_workgroup_id_y 0
		.amdhsa_system_sgpr_workgroup_id_z 0
		.amdhsa_system_sgpr_workgroup_info 0
		.amdhsa_system_vgpr_workitem_id 0
		.amdhsa_next_free_vgpr 1
		.amdhsa_next_free_sgpr 1
		.amdhsa_reserve_vcc 0
		.amdhsa_float_round_mode_32 0
		.amdhsa_float_round_mode_16_64 0
		.amdhsa_float_denorm_mode_32 3
		.amdhsa_float_denorm_mode_16_64 3
		.amdhsa_fp16_overflow 0
		.amdhsa_workgroup_processor_mode 1
		.amdhsa_memory_ordered 1
		.amdhsa_forward_progress 1
		.amdhsa_inst_pref_size 0
		.amdhsa_round_robin_scheduling 0
		.amdhsa_exception_fp_ieee_invalid_op 0
		.amdhsa_exception_fp_denorm_src 0
		.amdhsa_exception_fp_ieee_div_zero 0
		.amdhsa_exception_fp_ieee_overflow 0
		.amdhsa_exception_fp_ieee_underflow 0
		.amdhsa_exception_fp_ieee_inexact 0
		.amdhsa_exception_int_div_zero 0
	.end_amdhsa_kernel
	.section	.text._ZN7rocprim17ROCPRIM_400000_NS6detail17trampoline_kernelINS0_14default_configENS1_25partition_config_selectorILNS1_17partition_subalgoE6EjNS0_10empty_typeEbEEZZNS1_14partition_implILS5_6ELb0ES3_mN6thrust23THRUST_200600_302600_NS6detail15normal_iteratorINSA_10device_ptrIjEEEEPS6_SG_NS0_5tupleIJSF_S6_EEENSH_IJSG_SG_EEES6_PlJNSB_9not_fun_tI7is_trueIjEEEEEE10hipError_tPvRmT3_T4_T5_T6_T7_T9_mT8_P12ihipStream_tbDpT10_ENKUlT_T0_E_clISt17integral_constantIbLb0EES17_IbLb1EEEEDaS13_S14_EUlS13_E_NS1_11comp_targetILNS1_3genE5ELNS1_11target_archE942ELNS1_3gpuE9ELNS1_3repE0EEENS1_30default_config_static_selectorELNS0_4arch9wavefront6targetE0EEEvT1_,"axG",@progbits,_ZN7rocprim17ROCPRIM_400000_NS6detail17trampoline_kernelINS0_14default_configENS1_25partition_config_selectorILNS1_17partition_subalgoE6EjNS0_10empty_typeEbEEZZNS1_14partition_implILS5_6ELb0ES3_mN6thrust23THRUST_200600_302600_NS6detail15normal_iteratorINSA_10device_ptrIjEEEEPS6_SG_NS0_5tupleIJSF_S6_EEENSH_IJSG_SG_EEES6_PlJNSB_9not_fun_tI7is_trueIjEEEEEE10hipError_tPvRmT3_T4_T5_T6_T7_T9_mT8_P12ihipStream_tbDpT10_ENKUlT_T0_E_clISt17integral_constantIbLb0EES17_IbLb1EEEEDaS13_S14_EUlS13_E_NS1_11comp_targetILNS1_3genE5ELNS1_11target_archE942ELNS1_3gpuE9ELNS1_3repE0EEENS1_30default_config_static_selectorELNS0_4arch9wavefront6targetE0EEEvT1_,comdat
.Lfunc_end1166:
	.size	_ZN7rocprim17ROCPRIM_400000_NS6detail17trampoline_kernelINS0_14default_configENS1_25partition_config_selectorILNS1_17partition_subalgoE6EjNS0_10empty_typeEbEEZZNS1_14partition_implILS5_6ELb0ES3_mN6thrust23THRUST_200600_302600_NS6detail15normal_iteratorINSA_10device_ptrIjEEEEPS6_SG_NS0_5tupleIJSF_S6_EEENSH_IJSG_SG_EEES6_PlJNSB_9not_fun_tI7is_trueIjEEEEEE10hipError_tPvRmT3_T4_T5_T6_T7_T9_mT8_P12ihipStream_tbDpT10_ENKUlT_T0_E_clISt17integral_constantIbLb0EES17_IbLb1EEEEDaS13_S14_EUlS13_E_NS1_11comp_targetILNS1_3genE5ELNS1_11target_archE942ELNS1_3gpuE9ELNS1_3repE0EEENS1_30default_config_static_selectorELNS0_4arch9wavefront6targetE0EEEvT1_, .Lfunc_end1166-_ZN7rocprim17ROCPRIM_400000_NS6detail17trampoline_kernelINS0_14default_configENS1_25partition_config_selectorILNS1_17partition_subalgoE6EjNS0_10empty_typeEbEEZZNS1_14partition_implILS5_6ELb0ES3_mN6thrust23THRUST_200600_302600_NS6detail15normal_iteratorINSA_10device_ptrIjEEEEPS6_SG_NS0_5tupleIJSF_S6_EEENSH_IJSG_SG_EEES6_PlJNSB_9not_fun_tI7is_trueIjEEEEEE10hipError_tPvRmT3_T4_T5_T6_T7_T9_mT8_P12ihipStream_tbDpT10_ENKUlT_T0_E_clISt17integral_constantIbLb0EES17_IbLb1EEEEDaS13_S14_EUlS13_E_NS1_11comp_targetILNS1_3genE5ELNS1_11target_archE942ELNS1_3gpuE9ELNS1_3repE0EEENS1_30default_config_static_selectorELNS0_4arch9wavefront6targetE0EEEvT1_
                                        ; -- End function
	.set _ZN7rocprim17ROCPRIM_400000_NS6detail17trampoline_kernelINS0_14default_configENS1_25partition_config_selectorILNS1_17partition_subalgoE6EjNS0_10empty_typeEbEEZZNS1_14partition_implILS5_6ELb0ES3_mN6thrust23THRUST_200600_302600_NS6detail15normal_iteratorINSA_10device_ptrIjEEEEPS6_SG_NS0_5tupleIJSF_S6_EEENSH_IJSG_SG_EEES6_PlJNSB_9not_fun_tI7is_trueIjEEEEEE10hipError_tPvRmT3_T4_T5_T6_T7_T9_mT8_P12ihipStream_tbDpT10_ENKUlT_T0_E_clISt17integral_constantIbLb0EES17_IbLb1EEEEDaS13_S14_EUlS13_E_NS1_11comp_targetILNS1_3genE5ELNS1_11target_archE942ELNS1_3gpuE9ELNS1_3repE0EEENS1_30default_config_static_selectorELNS0_4arch9wavefront6targetE0EEEvT1_.num_vgpr, 0
	.set _ZN7rocprim17ROCPRIM_400000_NS6detail17trampoline_kernelINS0_14default_configENS1_25partition_config_selectorILNS1_17partition_subalgoE6EjNS0_10empty_typeEbEEZZNS1_14partition_implILS5_6ELb0ES3_mN6thrust23THRUST_200600_302600_NS6detail15normal_iteratorINSA_10device_ptrIjEEEEPS6_SG_NS0_5tupleIJSF_S6_EEENSH_IJSG_SG_EEES6_PlJNSB_9not_fun_tI7is_trueIjEEEEEE10hipError_tPvRmT3_T4_T5_T6_T7_T9_mT8_P12ihipStream_tbDpT10_ENKUlT_T0_E_clISt17integral_constantIbLb0EES17_IbLb1EEEEDaS13_S14_EUlS13_E_NS1_11comp_targetILNS1_3genE5ELNS1_11target_archE942ELNS1_3gpuE9ELNS1_3repE0EEENS1_30default_config_static_selectorELNS0_4arch9wavefront6targetE0EEEvT1_.num_agpr, 0
	.set _ZN7rocprim17ROCPRIM_400000_NS6detail17trampoline_kernelINS0_14default_configENS1_25partition_config_selectorILNS1_17partition_subalgoE6EjNS0_10empty_typeEbEEZZNS1_14partition_implILS5_6ELb0ES3_mN6thrust23THRUST_200600_302600_NS6detail15normal_iteratorINSA_10device_ptrIjEEEEPS6_SG_NS0_5tupleIJSF_S6_EEENSH_IJSG_SG_EEES6_PlJNSB_9not_fun_tI7is_trueIjEEEEEE10hipError_tPvRmT3_T4_T5_T6_T7_T9_mT8_P12ihipStream_tbDpT10_ENKUlT_T0_E_clISt17integral_constantIbLb0EES17_IbLb1EEEEDaS13_S14_EUlS13_E_NS1_11comp_targetILNS1_3genE5ELNS1_11target_archE942ELNS1_3gpuE9ELNS1_3repE0EEENS1_30default_config_static_selectorELNS0_4arch9wavefront6targetE0EEEvT1_.numbered_sgpr, 0
	.set _ZN7rocprim17ROCPRIM_400000_NS6detail17trampoline_kernelINS0_14default_configENS1_25partition_config_selectorILNS1_17partition_subalgoE6EjNS0_10empty_typeEbEEZZNS1_14partition_implILS5_6ELb0ES3_mN6thrust23THRUST_200600_302600_NS6detail15normal_iteratorINSA_10device_ptrIjEEEEPS6_SG_NS0_5tupleIJSF_S6_EEENSH_IJSG_SG_EEES6_PlJNSB_9not_fun_tI7is_trueIjEEEEEE10hipError_tPvRmT3_T4_T5_T6_T7_T9_mT8_P12ihipStream_tbDpT10_ENKUlT_T0_E_clISt17integral_constantIbLb0EES17_IbLb1EEEEDaS13_S14_EUlS13_E_NS1_11comp_targetILNS1_3genE5ELNS1_11target_archE942ELNS1_3gpuE9ELNS1_3repE0EEENS1_30default_config_static_selectorELNS0_4arch9wavefront6targetE0EEEvT1_.num_named_barrier, 0
	.set _ZN7rocprim17ROCPRIM_400000_NS6detail17trampoline_kernelINS0_14default_configENS1_25partition_config_selectorILNS1_17partition_subalgoE6EjNS0_10empty_typeEbEEZZNS1_14partition_implILS5_6ELb0ES3_mN6thrust23THRUST_200600_302600_NS6detail15normal_iteratorINSA_10device_ptrIjEEEEPS6_SG_NS0_5tupleIJSF_S6_EEENSH_IJSG_SG_EEES6_PlJNSB_9not_fun_tI7is_trueIjEEEEEE10hipError_tPvRmT3_T4_T5_T6_T7_T9_mT8_P12ihipStream_tbDpT10_ENKUlT_T0_E_clISt17integral_constantIbLb0EES17_IbLb1EEEEDaS13_S14_EUlS13_E_NS1_11comp_targetILNS1_3genE5ELNS1_11target_archE942ELNS1_3gpuE9ELNS1_3repE0EEENS1_30default_config_static_selectorELNS0_4arch9wavefront6targetE0EEEvT1_.private_seg_size, 0
	.set _ZN7rocprim17ROCPRIM_400000_NS6detail17trampoline_kernelINS0_14default_configENS1_25partition_config_selectorILNS1_17partition_subalgoE6EjNS0_10empty_typeEbEEZZNS1_14partition_implILS5_6ELb0ES3_mN6thrust23THRUST_200600_302600_NS6detail15normal_iteratorINSA_10device_ptrIjEEEEPS6_SG_NS0_5tupleIJSF_S6_EEENSH_IJSG_SG_EEES6_PlJNSB_9not_fun_tI7is_trueIjEEEEEE10hipError_tPvRmT3_T4_T5_T6_T7_T9_mT8_P12ihipStream_tbDpT10_ENKUlT_T0_E_clISt17integral_constantIbLb0EES17_IbLb1EEEEDaS13_S14_EUlS13_E_NS1_11comp_targetILNS1_3genE5ELNS1_11target_archE942ELNS1_3gpuE9ELNS1_3repE0EEENS1_30default_config_static_selectorELNS0_4arch9wavefront6targetE0EEEvT1_.uses_vcc, 0
	.set _ZN7rocprim17ROCPRIM_400000_NS6detail17trampoline_kernelINS0_14default_configENS1_25partition_config_selectorILNS1_17partition_subalgoE6EjNS0_10empty_typeEbEEZZNS1_14partition_implILS5_6ELb0ES3_mN6thrust23THRUST_200600_302600_NS6detail15normal_iteratorINSA_10device_ptrIjEEEEPS6_SG_NS0_5tupleIJSF_S6_EEENSH_IJSG_SG_EEES6_PlJNSB_9not_fun_tI7is_trueIjEEEEEE10hipError_tPvRmT3_T4_T5_T6_T7_T9_mT8_P12ihipStream_tbDpT10_ENKUlT_T0_E_clISt17integral_constantIbLb0EES17_IbLb1EEEEDaS13_S14_EUlS13_E_NS1_11comp_targetILNS1_3genE5ELNS1_11target_archE942ELNS1_3gpuE9ELNS1_3repE0EEENS1_30default_config_static_selectorELNS0_4arch9wavefront6targetE0EEEvT1_.uses_flat_scratch, 0
	.set _ZN7rocprim17ROCPRIM_400000_NS6detail17trampoline_kernelINS0_14default_configENS1_25partition_config_selectorILNS1_17partition_subalgoE6EjNS0_10empty_typeEbEEZZNS1_14partition_implILS5_6ELb0ES3_mN6thrust23THRUST_200600_302600_NS6detail15normal_iteratorINSA_10device_ptrIjEEEEPS6_SG_NS0_5tupleIJSF_S6_EEENSH_IJSG_SG_EEES6_PlJNSB_9not_fun_tI7is_trueIjEEEEEE10hipError_tPvRmT3_T4_T5_T6_T7_T9_mT8_P12ihipStream_tbDpT10_ENKUlT_T0_E_clISt17integral_constantIbLb0EES17_IbLb1EEEEDaS13_S14_EUlS13_E_NS1_11comp_targetILNS1_3genE5ELNS1_11target_archE942ELNS1_3gpuE9ELNS1_3repE0EEENS1_30default_config_static_selectorELNS0_4arch9wavefront6targetE0EEEvT1_.has_dyn_sized_stack, 0
	.set _ZN7rocprim17ROCPRIM_400000_NS6detail17trampoline_kernelINS0_14default_configENS1_25partition_config_selectorILNS1_17partition_subalgoE6EjNS0_10empty_typeEbEEZZNS1_14partition_implILS5_6ELb0ES3_mN6thrust23THRUST_200600_302600_NS6detail15normal_iteratorINSA_10device_ptrIjEEEEPS6_SG_NS0_5tupleIJSF_S6_EEENSH_IJSG_SG_EEES6_PlJNSB_9not_fun_tI7is_trueIjEEEEEE10hipError_tPvRmT3_T4_T5_T6_T7_T9_mT8_P12ihipStream_tbDpT10_ENKUlT_T0_E_clISt17integral_constantIbLb0EES17_IbLb1EEEEDaS13_S14_EUlS13_E_NS1_11comp_targetILNS1_3genE5ELNS1_11target_archE942ELNS1_3gpuE9ELNS1_3repE0EEENS1_30default_config_static_selectorELNS0_4arch9wavefront6targetE0EEEvT1_.has_recursion, 0
	.set _ZN7rocprim17ROCPRIM_400000_NS6detail17trampoline_kernelINS0_14default_configENS1_25partition_config_selectorILNS1_17partition_subalgoE6EjNS0_10empty_typeEbEEZZNS1_14partition_implILS5_6ELb0ES3_mN6thrust23THRUST_200600_302600_NS6detail15normal_iteratorINSA_10device_ptrIjEEEEPS6_SG_NS0_5tupleIJSF_S6_EEENSH_IJSG_SG_EEES6_PlJNSB_9not_fun_tI7is_trueIjEEEEEE10hipError_tPvRmT3_T4_T5_T6_T7_T9_mT8_P12ihipStream_tbDpT10_ENKUlT_T0_E_clISt17integral_constantIbLb0EES17_IbLb1EEEEDaS13_S14_EUlS13_E_NS1_11comp_targetILNS1_3genE5ELNS1_11target_archE942ELNS1_3gpuE9ELNS1_3repE0EEENS1_30default_config_static_selectorELNS0_4arch9wavefront6targetE0EEEvT1_.has_indirect_call, 0
	.section	.AMDGPU.csdata,"",@progbits
; Kernel info:
; codeLenInByte = 0
; TotalNumSgprs: 0
; NumVgprs: 0
; ScratchSize: 0
; MemoryBound: 0
; FloatMode: 240
; IeeeMode: 1
; LDSByteSize: 0 bytes/workgroup (compile time only)
; SGPRBlocks: 0
; VGPRBlocks: 0
; NumSGPRsForWavesPerEU: 1
; NumVGPRsForWavesPerEU: 1
; Occupancy: 16
; WaveLimiterHint : 0
; COMPUTE_PGM_RSRC2:SCRATCH_EN: 0
; COMPUTE_PGM_RSRC2:USER_SGPR: 2
; COMPUTE_PGM_RSRC2:TRAP_HANDLER: 0
; COMPUTE_PGM_RSRC2:TGID_X_EN: 1
; COMPUTE_PGM_RSRC2:TGID_Y_EN: 0
; COMPUTE_PGM_RSRC2:TGID_Z_EN: 0
; COMPUTE_PGM_RSRC2:TIDIG_COMP_CNT: 0
	.section	.text._ZN7rocprim17ROCPRIM_400000_NS6detail17trampoline_kernelINS0_14default_configENS1_25partition_config_selectorILNS1_17partition_subalgoE6EjNS0_10empty_typeEbEEZZNS1_14partition_implILS5_6ELb0ES3_mN6thrust23THRUST_200600_302600_NS6detail15normal_iteratorINSA_10device_ptrIjEEEEPS6_SG_NS0_5tupleIJSF_S6_EEENSH_IJSG_SG_EEES6_PlJNSB_9not_fun_tI7is_trueIjEEEEEE10hipError_tPvRmT3_T4_T5_T6_T7_T9_mT8_P12ihipStream_tbDpT10_ENKUlT_T0_E_clISt17integral_constantIbLb0EES17_IbLb1EEEEDaS13_S14_EUlS13_E_NS1_11comp_targetILNS1_3genE4ELNS1_11target_archE910ELNS1_3gpuE8ELNS1_3repE0EEENS1_30default_config_static_selectorELNS0_4arch9wavefront6targetE0EEEvT1_,"axG",@progbits,_ZN7rocprim17ROCPRIM_400000_NS6detail17trampoline_kernelINS0_14default_configENS1_25partition_config_selectorILNS1_17partition_subalgoE6EjNS0_10empty_typeEbEEZZNS1_14partition_implILS5_6ELb0ES3_mN6thrust23THRUST_200600_302600_NS6detail15normal_iteratorINSA_10device_ptrIjEEEEPS6_SG_NS0_5tupleIJSF_S6_EEENSH_IJSG_SG_EEES6_PlJNSB_9not_fun_tI7is_trueIjEEEEEE10hipError_tPvRmT3_T4_T5_T6_T7_T9_mT8_P12ihipStream_tbDpT10_ENKUlT_T0_E_clISt17integral_constantIbLb0EES17_IbLb1EEEEDaS13_S14_EUlS13_E_NS1_11comp_targetILNS1_3genE4ELNS1_11target_archE910ELNS1_3gpuE8ELNS1_3repE0EEENS1_30default_config_static_selectorELNS0_4arch9wavefront6targetE0EEEvT1_,comdat
	.protected	_ZN7rocprim17ROCPRIM_400000_NS6detail17trampoline_kernelINS0_14default_configENS1_25partition_config_selectorILNS1_17partition_subalgoE6EjNS0_10empty_typeEbEEZZNS1_14partition_implILS5_6ELb0ES3_mN6thrust23THRUST_200600_302600_NS6detail15normal_iteratorINSA_10device_ptrIjEEEEPS6_SG_NS0_5tupleIJSF_S6_EEENSH_IJSG_SG_EEES6_PlJNSB_9not_fun_tI7is_trueIjEEEEEE10hipError_tPvRmT3_T4_T5_T6_T7_T9_mT8_P12ihipStream_tbDpT10_ENKUlT_T0_E_clISt17integral_constantIbLb0EES17_IbLb1EEEEDaS13_S14_EUlS13_E_NS1_11comp_targetILNS1_3genE4ELNS1_11target_archE910ELNS1_3gpuE8ELNS1_3repE0EEENS1_30default_config_static_selectorELNS0_4arch9wavefront6targetE0EEEvT1_ ; -- Begin function _ZN7rocprim17ROCPRIM_400000_NS6detail17trampoline_kernelINS0_14default_configENS1_25partition_config_selectorILNS1_17partition_subalgoE6EjNS0_10empty_typeEbEEZZNS1_14partition_implILS5_6ELb0ES3_mN6thrust23THRUST_200600_302600_NS6detail15normal_iteratorINSA_10device_ptrIjEEEEPS6_SG_NS0_5tupleIJSF_S6_EEENSH_IJSG_SG_EEES6_PlJNSB_9not_fun_tI7is_trueIjEEEEEE10hipError_tPvRmT3_T4_T5_T6_T7_T9_mT8_P12ihipStream_tbDpT10_ENKUlT_T0_E_clISt17integral_constantIbLb0EES17_IbLb1EEEEDaS13_S14_EUlS13_E_NS1_11comp_targetILNS1_3genE4ELNS1_11target_archE910ELNS1_3gpuE8ELNS1_3repE0EEENS1_30default_config_static_selectorELNS0_4arch9wavefront6targetE0EEEvT1_
	.globl	_ZN7rocprim17ROCPRIM_400000_NS6detail17trampoline_kernelINS0_14default_configENS1_25partition_config_selectorILNS1_17partition_subalgoE6EjNS0_10empty_typeEbEEZZNS1_14partition_implILS5_6ELb0ES3_mN6thrust23THRUST_200600_302600_NS6detail15normal_iteratorINSA_10device_ptrIjEEEEPS6_SG_NS0_5tupleIJSF_S6_EEENSH_IJSG_SG_EEES6_PlJNSB_9not_fun_tI7is_trueIjEEEEEE10hipError_tPvRmT3_T4_T5_T6_T7_T9_mT8_P12ihipStream_tbDpT10_ENKUlT_T0_E_clISt17integral_constantIbLb0EES17_IbLb1EEEEDaS13_S14_EUlS13_E_NS1_11comp_targetILNS1_3genE4ELNS1_11target_archE910ELNS1_3gpuE8ELNS1_3repE0EEENS1_30default_config_static_selectorELNS0_4arch9wavefront6targetE0EEEvT1_
	.p2align	8
	.type	_ZN7rocprim17ROCPRIM_400000_NS6detail17trampoline_kernelINS0_14default_configENS1_25partition_config_selectorILNS1_17partition_subalgoE6EjNS0_10empty_typeEbEEZZNS1_14partition_implILS5_6ELb0ES3_mN6thrust23THRUST_200600_302600_NS6detail15normal_iteratorINSA_10device_ptrIjEEEEPS6_SG_NS0_5tupleIJSF_S6_EEENSH_IJSG_SG_EEES6_PlJNSB_9not_fun_tI7is_trueIjEEEEEE10hipError_tPvRmT3_T4_T5_T6_T7_T9_mT8_P12ihipStream_tbDpT10_ENKUlT_T0_E_clISt17integral_constantIbLb0EES17_IbLb1EEEEDaS13_S14_EUlS13_E_NS1_11comp_targetILNS1_3genE4ELNS1_11target_archE910ELNS1_3gpuE8ELNS1_3repE0EEENS1_30default_config_static_selectorELNS0_4arch9wavefront6targetE0EEEvT1_,@function
_ZN7rocprim17ROCPRIM_400000_NS6detail17trampoline_kernelINS0_14default_configENS1_25partition_config_selectorILNS1_17partition_subalgoE6EjNS0_10empty_typeEbEEZZNS1_14partition_implILS5_6ELb0ES3_mN6thrust23THRUST_200600_302600_NS6detail15normal_iteratorINSA_10device_ptrIjEEEEPS6_SG_NS0_5tupleIJSF_S6_EEENSH_IJSG_SG_EEES6_PlJNSB_9not_fun_tI7is_trueIjEEEEEE10hipError_tPvRmT3_T4_T5_T6_T7_T9_mT8_P12ihipStream_tbDpT10_ENKUlT_T0_E_clISt17integral_constantIbLb0EES17_IbLb1EEEEDaS13_S14_EUlS13_E_NS1_11comp_targetILNS1_3genE4ELNS1_11target_archE910ELNS1_3gpuE8ELNS1_3repE0EEENS1_30default_config_static_selectorELNS0_4arch9wavefront6targetE0EEEvT1_: ; @_ZN7rocprim17ROCPRIM_400000_NS6detail17trampoline_kernelINS0_14default_configENS1_25partition_config_selectorILNS1_17partition_subalgoE6EjNS0_10empty_typeEbEEZZNS1_14partition_implILS5_6ELb0ES3_mN6thrust23THRUST_200600_302600_NS6detail15normal_iteratorINSA_10device_ptrIjEEEEPS6_SG_NS0_5tupleIJSF_S6_EEENSH_IJSG_SG_EEES6_PlJNSB_9not_fun_tI7is_trueIjEEEEEE10hipError_tPvRmT3_T4_T5_T6_T7_T9_mT8_P12ihipStream_tbDpT10_ENKUlT_T0_E_clISt17integral_constantIbLb0EES17_IbLb1EEEEDaS13_S14_EUlS13_E_NS1_11comp_targetILNS1_3genE4ELNS1_11target_archE910ELNS1_3gpuE8ELNS1_3repE0EEENS1_30default_config_static_selectorELNS0_4arch9wavefront6targetE0EEEvT1_
; %bb.0:
	.section	.rodata,"a",@progbits
	.p2align	6, 0x0
	.amdhsa_kernel _ZN7rocprim17ROCPRIM_400000_NS6detail17trampoline_kernelINS0_14default_configENS1_25partition_config_selectorILNS1_17partition_subalgoE6EjNS0_10empty_typeEbEEZZNS1_14partition_implILS5_6ELb0ES3_mN6thrust23THRUST_200600_302600_NS6detail15normal_iteratorINSA_10device_ptrIjEEEEPS6_SG_NS0_5tupleIJSF_S6_EEENSH_IJSG_SG_EEES6_PlJNSB_9not_fun_tI7is_trueIjEEEEEE10hipError_tPvRmT3_T4_T5_T6_T7_T9_mT8_P12ihipStream_tbDpT10_ENKUlT_T0_E_clISt17integral_constantIbLb0EES17_IbLb1EEEEDaS13_S14_EUlS13_E_NS1_11comp_targetILNS1_3genE4ELNS1_11target_archE910ELNS1_3gpuE8ELNS1_3repE0EEENS1_30default_config_static_selectorELNS0_4arch9wavefront6targetE0EEEvT1_
		.amdhsa_group_segment_fixed_size 0
		.amdhsa_private_segment_fixed_size 0
		.amdhsa_kernarg_size 128
		.amdhsa_user_sgpr_count 2
		.amdhsa_user_sgpr_dispatch_ptr 0
		.amdhsa_user_sgpr_queue_ptr 0
		.amdhsa_user_sgpr_kernarg_segment_ptr 1
		.amdhsa_user_sgpr_dispatch_id 0
		.amdhsa_user_sgpr_private_segment_size 0
		.amdhsa_wavefront_size32 1
		.amdhsa_uses_dynamic_stack 0
		.amdhsa_enable_private_segment 0
		.amdhsa_system_sgpr_workgroup_id_x 1
		.amdhsa_system_sgpr_workgroup_id_y 0
		.amdhsa_system_sgpr_workgroup_id_z 0
		.amdhsa_system_sgpr_workgroup_info 0
		.amdhsa_system_vgpr_workitem_id 0
		.amdhsa_next_free_vgpr 1
		.amdhsa_next_free_sgpr 1
		.amdhsa_reserve_vcc 0
		.amdhsa_float_round_mode_32 0
		.amdhsa_float_round_mode_16_64 0
		.amdhsa_float_denorm_mode_32 3
		.amdhsa_float_denorm_mode_16_64 3
		.amdhsa_fp16_overflow 0
		.amdhsa_workgroup_processor_mode 1
		.amdhsa_memory_ordered 1
		.amdhsa_forward_progress 1
		.amdhsa_inst_pref_size 0
		.amdhsa_round_robin_scheduling 0
		.amdhsa_exception_fp_ieee_invalid_op 0
		.amdhsa_exception_fp_denorm_src 0
		.amdhsa_exception_fp_ieee_div_zero 0
		.amdhsa_exception_fp_ieee_overflow 0
		.amdhsa_exception_fp_ieee_underflow 0
		.amdhsa_exception_fp_ieee_inexact 0
		.amdhsa_exception_int_div_zero 0
	.end_amdhsa_kernel
	.section	.text._ZN7rocprim17ROCPRIM_400000_NS6detail17trampoline_kernelINS0_14default_configENS1_25partition_config_selectorILNS1_17partition_subalgoE6EjNS0_10empty_typeEbEEZZNS1_14partition_implILS5_6ELb0ES3_mN6thrust23THRUST_200600_302600_NS6detail15normal_iteratorINSA_10device_ptrIjEEEEPS6_SG_NS0_5tupleIJSF_S6_EEENSH_IJSG_SG_EEES6_PlJNSB_9not_fun_tI7is_trueIjEEEEEE10hipError_tPvRmT3_T4_T5_T6_T7_T9_mT8_P12ihipStream_tbDpT10_ENKUlT_T0_E_clISt17integral_constantIbLb0EES17_IbLb1EEEEDaS13_S14_EUlS13_E_NS1_11comp_targetILNS1_3genE4ELNS1_11target_archE910ELNS1_3gpuE8ELNS1_3repE0EEENS1_30default_config_static_selectorELNS0_4arch9wavefront6targetE0EEEvT1_,"axG",@progbits,_ZN7rocprim17ROCPRIM_400000_NS6detail17trampoline_kernelINS0_14default_configENS1_25partition_config_selectorILNS1_17partition_subalgoE6EjNS0_10empty_typeEbEEZZNS1_14partition_implILS5_6ELb0ES3_mN6thrust23THRUST_200600_302600_NS6detail15normal_iteratorINSA_10device_ptrIjEEEEPS6_SG_NS0_5tupleIJSF_S6_EEENSH_IJSG_SG_EEES6_PlJNSB_9not_fun_tI7is_trueIjEEEEEE10hipError_tPvRmT3_T4_T5_T6_T7_T9_mT8_P12ihipStream_tbDpT10_ENKUlT_T0_E_clISt17integral_constantIbLb0EES17_IbLb1EEEEDaS13_S14_EUlS13_E_NS1_11comp_targetILNS1_3genE4ELNS1_11target_archE910ELNS1_3gpuE8ELNS1_3repE0EEENS1_30default_config_static_selectorELNS0_4arch9wavefront6targetE0EEEvT1_,comdat
.Lfunc_end1167:
	.size	_ZN7rocprim17ROCPRIM_400000_NS6detail17trampoline_kernelINS0_14default_configENS1_25partition_config_selectorILNS1_17partition_subalgoE6EjNS0_10empty_typeEbEEZZNS1_14partition_implILS5_6ELb0ES3_mN6thrust23THRUST_200600_302600_NS6detail15normal_iteratorINSA_10device_ptrIjEEEEPS6_SG_NS0_5tupleIJSF_S6_EEENSH_IJSG_SG_EEES6_PlJNSB_9not_fun_tI7is_trueIjEEEEEE10hipError_tPvRmT3_T4_T5_T6_T7_T9_mT8_P12ihipStream_tbDpT10_ENKUlT_T0_E_clISt17integral_constantIbLb0EES17_IbLb1EEEEDaS13_S14_EUlS13_E_NS1_11comp_targetILNS1_3genE4ELNS1_11target_archE910ELNS1_3gpuE8ELNS1_3repE0EEENS1_30default_config_static_selectorELNS0_4arch9wavefront6targetE0EEEvT1_, .Lfunc_end1167-_ZN7rocprim17ROCPRIM_400000_NS6detail17trampoline_kernelINS0_14default_configENS1_25partition_config_selectorILNS1_17partition_subalgoE6EjNS0_10empty_typeEbEEZZNS1_14partition_implILS5_6ELb0ES3_mN6thrust23THRUST_200600_302600_NS6detail15normal_iteratorINSA_10device_ptrIjEEEEPS6_SG_NS0_5tupleIJSF_S6_EEENSH_IJSG_SG_EEES6_PlJNSB_9not_fun_tI7is_trueIjEEEEEE10hipError_tPvRmT3_T4_T5_T6_T7_T9_mT8_P12ihipStream_tbDpT10_ENKUlT_T0_E_clISt17integral_constantIbLb0EES17_IbLb1EEEEDaS13_S14_EUlS13_E_NS1_11comp_targetILNS1_3genE4ELNS1_11target_archE910ELNS1_3gpuE8ELNS1_3repE0EEENS1_30default_config_static_selectorELNS0_4arch9wavefront6targetE0EEEvT1_
                                        ; -- End function
	.set _ZN7rocprim17ROCPRIM_400000_NS6detail17trampoline_kernelINS0_14default_configENS1_25partition_config_selectorILNS1_17partition_subalgoE6EjNS0_10empty_typeEbEEZZNS1_14partition_implILS5_6ELb0ES3_mN6thrust23THRUST_200600_302600_NS6detail15normal_iteratorINSA_10device_ptrIjEEEEPS6_SG_NS0_5tupleIJSF_S6_EEENSH_IJSG_SG_EEES6_PlJNSB_9not_fun_tI7is_trueIjEEEEEE10hipError_tPvRmT3_T4_T5_T6_T7_T9_mT8_P12ihipStream_tbDpT10_ENKUlT_T0_E_clISt17integral_constantIbLb0EES17_IbLb1EEEEDaS13_S14_EUlS13_E_NS1_11comp_targetILNS1_3genE4ELNS1_11target_archE910ELNS1_3gpuE8ELNS1_3repE0EEENS1_30default_config_static_selectorELNS0_4arch9wavefront6targetE0EEEvT1_.num_vgpr, 0
	.set _ZN7rocprim17ROCPRIM_400000_NS6detail17trampoline_kernelINS0_14default_configENS1_25partition_config_selectorILNS1_17partition_subalgoE6EjNS0_10empty_typeEbEEZZNS1_14partition_implILS5_6ELb0ES3_mN6thrust23THRUST_200600_302600_NS6detail15normal_iteratorINSA_10device_ptrIjEEEEPS6_SG_NS0_5tupleIJSF_S6_EEENSH_IJSG_SG_EEES6_PlJNSB_9not_fun_tI7is_trueIjEEEEEE10hipError_tPvRmT3_T4_T5_T6_T7_T9_mT8_P12ihipStream_tbDpT10_ENKUlT_T0_E_clISt17integral_constantIbLb0EES17_IbLb1EEEEDaS13_S14_EUlS13_E_NS1_11comp_targetILNS1_3genE4ELNS1_11target_archE910ELNS1_3gpuE8ELNS1_3repE0EEENS1_30default_config_static_selectorELNS0_4arch9wavefront6targetE0EEEvT1_.num_agpr, 0
	.set _ZN7rocprim17ROCPRIM_400000_NS6detail17trampoline_kernelINS0_14default_configENS1_25partition_config_selectorILNS1_17partition_subalgoE6EjNS0_10empty_typeEbEEZZNS1_14partition_implILS5_6ELb0ES3_mN6thrust23THRUST_200600_302600_NS6detail15normal_iteratorINSA_10device_ptrIjEEEEPS6_SG_NS0_5tupleIJSF_S6_EEENSH_IJSG_SG_EEES6_PlJNSB_9not_fun_tI7is_trueIjEEEEEE10hipError_tPvRmT3_T4_T5_T6_T7_T9_mT8_P12ihipStream_tbDpT10_ENKUlT_T0_E_clISt17integral_constantIbLb0EES17_IbLb1EEEEDaS13_S14_EUlS13_E_NS1_11comp_targetILNS1_3genE4ELNS1_11target_archE910ELNS1_3gpuE8ELNS1_3repE0EEENS1_30default_config_static_selectorELNS0_4arch9wavefront6targetE0EEEvT1_.numbered_sgpr, 0
	.set _ZN7rocprim17ROCPRIM_400000_NS6detail17trampoline_kernelINS0_14default_configENS1_25partition_config_selectorILNS1_17partition_subalgoE6EjNS0_10empty_typeEbEEZZNS1_14partition_implILS5_6ELb0ES3_mN6thrust23THRUST_200600_302600_NS6detail15normal_iteratorINSA_10device_ptrIjEEEEPS6_SG_NS0_5tupleIJSF_S6_EEENSH_IJSG_SG_EEES6_PlJNSB_9not_fun_tI7is_trueIjEEEEEE10hipError_tPvRmT3_T4_T5_T6_T7_T9_mT8_P12ihipStream_tbDpT10_ENKUlT_T0_E_clISt17integral_constantIbLb0EES17_IbLb1EEEEDaS13_S14_EUlS13_E_NS1_11comp_targetILNS1_3genE4ELNS1_11target_archE910ELNS1_3gpuE8ELNS1_3repE0EEENS1_30default_config_static_selectorELNS0_4arch9wavefront6targetE0EEEvT1_.num_named_barrier, 0
	.set _ZN7rocprim17ROCPRIM_400000_NS6detail17trampoline_kernelINS0_14default_configENS1_25partition_config_selectorILNS1_17partition_subalgoE6EjNS0_10empty_typeEbEEZZNS1_14partition_implILS5_6ELb0ES3_mN6thrust23THRUST_200600_302600_NS6detail15normal_iteratorINSA_10device_ptrIjEEEEPS6_SG_NS0_5tupleIJSF_S6_EEENSH_IJSG_SG_EEES6_PlJNSB_9not_fun_tI7is_trueIjEEEEEE10hipError_tPvRmT3_T4_T5_T6_T7_T9_mT8_P12ihipStream_tbDpT10_ENKUlT_T0_E_clISt17integral_constantIbLb0EES17_IbLb1EEEEDaS13_S14_EUlS13_E_NS1_11comp_targetILNS1_3genE4ELNS1_11target_archE910ELNS1_3gpuE8ELNS1_3repE0EEENS1_30default_config_static_selectorELNS0_4arch9wavefront6targetE0EEEvT1_.private_seg_size, 0
	.set _ZN7rocprim17ROCPRIM_400000_NS6detail17trampoline_kernelINS0_14default_configENS1_25partition_config_selectorILNS1_17partition_subalgoE6EjNS0_10empty_typeEbEEZZNS1_14partition_implILS5_6ELb0ES3_mN6thrust23THRUST_200600_302600_NS6detail15normal_iteratorINSA_10device_ptrIjEEEEPS6_SG_NS0_5tupleIJSF_S6_EEENSH_IJSG_SG_EEES6_PlJNSB_9not_fun_tI7is_trueIjEEEEEE10hipError_tPvRmT3_T4_T5_T6_T7_T9_mT8_P12ihipStream_tbDpT10_ENKUlT_T0_E_clISt17integral_constantIbLb0EES17_IbLb1EEEEDaS13_S14_EUlS13_E_NS1_11comp_targetILNS1_3genE4ELNS1_11target_archE910ELNS1_3gpuE8ELNS1_3repE0EEENS1_30default_config_static_selectorELNS0_4arch9wavefront6targetE0EEEvT1_.uses_vcc, 0
	.set _ZN7rocprim17ROCPRIM_400000_NS6detail17trampoline_kernelINS0_14default_configENS1_25partition_config_selectorILNS1_17partition_subalgoE6EjNS0_10empty_typeEbEEZZNS1_14partition_implILS5_6ELb0ES3_mN6thrust23THRUST_200600_302600_NS6detail15normal_iteratorINSA_10device_ptrIjEEEEPS6_SG_NS0_5tupleIJSF_S6_EEENSH_IJSG_SG_EEES6_PlJNSB_9not_fun_tI7is_trueIjEEEEEE10hipError_tPvRmT3_T4_T5_T6_T7_T9_mT8_P12ihipStream_tbDpT10_ENKUlT_T0_E_clISt17integral_constantIbLb0EES17_IbLb1EEEEDaS13_S14_EUlS13_E_NS1_11comp_targetILNS1_3genE4ELNS1_11target_archE910ELNS1_3gpuE8ELNS1_3repE0EEENS1_30default_config_static_selectorELNS0_4arch9wavefront6targetE0EEEvT1_.uses_flat_scratch, 0
	.set _ZN7rocprim17ROCPRIM_400000_NS6detail17trampoline_kernelINS0_14default_configENS1_25partition_config_selectorILNS1_17partition_subalgoE6EjNS0_10empty_typeEbEEZZNS1_14partition_implILS5_6ELb0ES3_mN6thrust23THRUST_200600_302600_NS6detail15normal_iteratorINSA_10device_ptrIjEEEEPS6_SG_NS0_5tupleIJSF_S6_EEENSH_IJSG_SG_EEES6_PlJNSB_9not_fun_tI7is_trueIjEEEEEE10hipError_tPvRmT3_T4_T5_T6_T7_T9_mT8_P12ihipStream_tbDpT10_ENKUlT_T0_E_clISt17integral_constantIbLb0EES17_IbLb1EEEEDaS13_S14_EUlS13_E_NS1_11comp_targetILNS1_3genE4ELNS1_11target_archE910ELNS1_3gpuE8ELNS1_3repE0EEENS1_30default_config_static_selectorELNS0_4arch9wavefront6targetE0EEEvT1_.has_dyn_sized_stack, 0
	.set _ZN7rocprim17ROCPRIM_400000_NS6detail17trampoline_kernelINS0_14default_configENS1_25partition_config_selectorILNS1_17partition_subalgoE6EjNS0_10empty_typeEbEEZZNS1_14partition_implILS5_6ELb0ES3_mN6thrust23THRUST_200600_302600_NS6detail15normal_iteratorINSA_10device_ptrIjEEEEPS6_SG_NS0_5tupleIJSF_S6_EEENSH_IJSG_SG_EEES6_PlJNSB_9not_fun_tI7is_trueIjEEEEEE10hipError_tPvRmT3_T4_T5_T6_T7_T9_mT8_P12ihipStream_tbDpT10_ENKUlT_T0_E_clISt17integral_constantIbLb0EES17_IbLb1EEEEDaS13_S14_EUlS13_E_NS1_11comp_targetILNS1_3genE4ELNS1_11target_archE910ELNS1_3gpuE8ELNS1_3repE0EEENS1_30default_config_static_selectorELNS0_4arch9wavefront6targetE0EEEvT1_.has_recursion, 0
	.set _ZN7rocprim17ROCPRIM_400000_NS6detail17trampoline_kernelINS0_14default_configENS1_25partition_config_selectorILNS1_17partition_subalgoE6EjNS0_10empty_typeEbEEZZNS1_14partition_implILS5_6ELb0ES3_mN6thrust23THRUST_200600_302600_NS6detail15normal_iteratorINSA_10device_ptrIjEEEEPS6_SG_NS0_5tupleIJSF_S6_EEENSH_IJSG_SG_EEES6_PlJNSB_9not_fun_tI7is_trueIjEEEEEE10hipError_tPvRmT3_T4_T5_T6_T7_T9_mT8_P12ihipStream_tbDpT10_ENKUlT_T0_E_clISt17integral_constantIbLb0EES17_IbLb1EEEEDaS13_S14_EUlS13_E_NS1_11comp_targetILNS1_3genE4ELNS1_11target_archE910ELNS1_3gpuE8ELNS1_3repE0EEENS1_30default_config_static_selectorELNS0_4arch9wavefront6targetE0EEEvT1_.has_indirect_call, 0
	.section	.AMDGPU.csdata,"",@progbits
; Kernel info:
; codeLenInByte = 0
; TotalNumSgprs: 0
; NumVgprs: 0
; ScratchSize: 0
; MemoryBound: 0
; FloatMode: 240
; IeeeMode: 1
; LDSByteSize: 0 bytes/workgroup (compile time only)
; SGPRBlocks: 0
; VGPRBlocks: 0
; NumSGPRsForWavesPerEU: 1
; NumVGPRsForWavesPerEU: 1
; Occupancy: 16
; WaveLimiterHint : 0
; COMPUTE_PGM_RSRC2:SCRATCH_EN: 0
; COMPUTE_PGM_RSRC2:USER_SGPR: 2
; COMPUTE_PGM_RSRC2:TRAP_HANDLER: 0
; COMPUTE_PGM_RSRC2:TGID_X_EN: 1
; COMPUTE_PGM_RSRC2:TGID_Y_EN: 0
; COMPUTE_PGM_RSRC2:TGID_Z_EN: 0
; COMPUTE_PGM_RSRC2:TIDIG_COMP_CNT: 0
	.section	.text._ZN7rocprim17ROCPRIM_400000_NS6detail17trampoline_kernelINS0_14default_configENS1_25partition_config_selectorILNS1_17partition_subalgoE6EjNS0_10empty_typeEbEEZZNS1_14partition_implILS5_6ELb0ES3_mN6thrust23THRUST_200600_302600_NS6detail15normal_iteratorINSA_10device_ptrIjEEEEPS6_SG_NS0_5tupleIJSF_S6_EEENSH_IJSG_SG_EEES6_PlJNSB_9not_fun_tI7is_trueIjEEEEEE10hipError_tPvRmT3_T4_T5_T6_T7_T9_mT8_P12ihipStream_tbDpT10_ENKUlT_T0_E_clISt17integral_constantIbLb0EES17_IbLb1EEEEDaS13_S14_EUlS13_E_NS1_11comp_targetILNS1_3genE3ELNS1_11target_archE908ELNS1_3gpuE7ELNS1_3repE0EEENS1_30default_config_static_selectorELNS0_4arch9wavefront6targetE0EEEvT1_,"axG",@progbits,_ZN7rocprim17ROCPRIM_400000_NS6detail17trampoline_kernelINS0_14default_configENS1_25partition_config_selectorILNS1_17partition_subalgoE6EjNS0_10empty_typeEbEEZZNS1_14partition_implILS5_6ELb0ES3_mN6thrust23THRUST_200600_302600_NS6detail15normal_iteratorINSA_10device_ptrIjEEEEPS6_SG_NS0_5tupleIJSF_S6_EEENSH_IJSG_SG_EEES6_PlJNSB_9not_fun_tI7is_trueIjEEEEEE10hipError_tPvRmT3_T4_T5_T6_T7_T9_mT8_P12ihipStream_tbDpT10_ENKUlT_T0_E_clISt17integral_constantIbLb0EES17_IbLb1EEEEDaS13_S14_EUlS13_E_NS1_11comp_targetILNS1_3genE3ELNS1_11target_archE908ELNS1_3gpuE7ELNS1_3repE0EEENS1_30default_config_static_selectorELNS0_4arch9wavefront6targetE0EEEvT1_,comdat
	.protected	_ZN7rocprim17ROCPRIM_400000_NS6detail17trampoline_kernelINS0_14default_configENS1_25partition_config_selectorILNS1_17partition_subalgoE6EjNS0_10empty_typeEbEEZZNS1_14partition_implILS5_6ELb0ES3_mN6thrust23THRUST_200600_302600_NS6detail15normal_iteratorINSA_10device_ptrIjEEEEPS6_SG_NS0_5tupleIJSF_S6_EEENSH_IJSG_SG_EEES6_PlJNSB_9not_fun_tI7is_trueIjEEEEEE10hipError_tPvRmT3_T4_T5_T6_T7_T9_mT8_P12ihipStream_tbDpT10_ENKUlT_T0_E_clISt17integral_constantIbLb0EES17_IbLb1EEEEDaS13_S14_EUlS13_E_NS1_11comp_targetILNS1_3genE3ELNS1_11target_archE908ELNS1_3gpuE7ELNS1_3repE0EEENS1_30default_config_static_selectorELNS0_4arch9wavefront6targetE0EEEvT1_ ; -- Begin function _ZN7rocprim17ROCPRIM_400000_NS6detail17trampoline_kernelINS0_14default_configENS1_25partition_config_selectorILNS1_17partition_subalgoE6EjNS0_10empty_typeEbEEZZNS1_14partition_implILS5_6ELb0ES3_mN6thrust23THRUST_200600_302600_NS6detail15normal_iteratorINSA_10device_ptrIjEEEEPS6_SG_NS0_5tupleIJSF_S6_EEENSH_IJSG_SG_EEES6_PlJNSB_9not_fun_tI7is_trueIjEEEEEE10hipError_tPvRmT3_T4_T5_T6_T7_T9_mT8_P12ihipStream_tbDpT10_ENKUlT_T0_E_clISt17integral_constantIbLb0EES17_IbLb1EEEEDaS13_S14_EUlS13_E_NS1_11comp_targetILNS1_3genE3ELNS1_11target_archE908ELNS1_3gpuE7ELNS1_3repE0EEENS1_30default_config_static_selectorELNS0_4arch9wavefront6targetE0EEEvT1_
	.globl	_ZN7rocprim17ROCPRIM_400000_NS6detail17trampoline_kernelINS0_14default_configENS1_25partition_config_selectorILNS1_17partition_subalgoE6EjNS0_10empty_typeEbEEZZNS1_14partition_implILS5_6ELb0ES3_mN6thrust23THRUST_200600_302600_NS6detail15normal_iteratorINSA_10device_ptrIjEEEEPS6_SG_NS0_5tupleIJSF_S6_EEENSH_IJSG_SG_EEES6_PlJNSB_9not_fun_tI7is_trueIjEEEEEE10hipError_tPvRmT3_T4_T5_T6_T7_T9_mT8_P12ihipStream_tbDpT10_ENKUlT_T0_E_clISt17integral_constantIbLb0EES17_IbLb1EEEEDaS13_S14_EUlS13_E_NS1_11comp_targetILNS1_3genE3ELNS1_11target_archE908ELNS1_3gpuE7ELNS1_3repE0EEENS1_30default_config_static_selectorELNS0_4arch9wavefront6targetE0EEEvT1_
	.p2align	8
	.type	_ZN7rocprim17ROCPRIM_400000_NS6detail17trampoline_kernelINS0_14default_configENS1_25partition_config_selectorILNS1_17partition_subalgoE6EjNS0_10empty_typeEbEEZZNS1_14partition_implILS5_6ELb0ES3_mN6thrust23THRUST_200600_302600_NS6detail15normal_iteratorINSA_10device_ptrIjEEEEPS6_SG_NS0_5tupleIJSF_S6_EEENSH_IJSG_SG_EEES6_PlJNSB_9not_fun_tI7is_trueIjEEEEEE10hipError_tPvRmT3_T4_T5_T6_T7_T9_mT8_P12ihipStream_tbDpT10_ENKUlT_T0_E_clISt17integral_constantIbLb0EES17_IbLb1EEEEDaS13_S14_EUlS13_E_NS1_11comp_targetILNS1_3genE3ELNS1_11target_archE908ELNS1_3gpuE7ELNS1_3repE0EEENS1_30default_config_static_selectorELNS0_4arch9wavefront6targetE0EEEvT1_,@function
_ZN7rocprim17ROCPRIM_400000_NS6detail17trampoline_kernelINS0_14default_configENS1_25partition_config_selectorILNS1_17partition_subalgoE6EjNS0_10empty_typeEbEEZZNS1_14partition_implILS5_6ELb0ES3_mN6thrust23THRUST_200600_302600_NS6detail15normal_iteratorINSA_10device_ptrIjEEEEPS6_SG_NS0_5tupleIJSF_S6_EEENSH_IJSG_SG_EEES6_PlJNSB_9not_fun_tI7is_trueIjEEEEEE10hipError_tPvRmT3_T4_T5_T6_T7_T9_mT8_P12ihipStream_tbDpT10_ENKUlT_T0_E_clISt17integral_constantIbLb0EES17_IbLb1EEEEDaS13_S14_EUlS13_E_NS1_11comp_targetILNS1_3genE3ELNS1_11target_archE908ELNS1_3gpuE7ELNS1_3repE0EEENS1_30default_config_static_selectorELNS0_4arch9wavefront6targetE0EEEvT1_: ; @_ZN7rocprim17ROCPRIM_400000_NS6detail17trampoline_kernelINS0_14default_configENS1_25partition_config_selectorILNS1_17partition_subalgoE6EjNS0_10empty_typeEbEEZZNS1_14partition_implILS5_6ELb0ES3_mN6thrust23THRUST_200600_302600_NS6detail15normal_iteratorINSA_10device_ptrIjEEEEPS6_SG_NS0_5tupleIJSF_S6_EEENSH_IJSG_SG_EEES6_PlJNSB_9not_fun_tI7is_trueIjEEEEEE10hipError_tPvRmT3_T4_T5_T6_T7_T9_mT8_P12ihipStream_tbDpT10_ENKUlT_T0_E_clISt17integral_constantIbLb0EES17_IbLb1EEEEDaS13_S14_EUlS13_E_NS1_11comp_targetILNS1_3genE3ELNS1_11target_archE908ELNS1_3gpuE7ELNS1_3repE0EEENS1_30default_config_static_selectorELNS0_4arch9wavefront6targetE0EEEvT1_
; %bb.0:
	.section	.rodata,"a",@progbits
	.p2align	6, 0x0
	.amdhsa_kernel _ZN7rocprim17ROCPRIM_400000_NS6detail17trampoline_kernelINS0_14default_configENS1_25partition_config_selectorILNS1_17partition_subalgoE6EjNS0_10empty_typeEbEEZZNS1_14partition_implILS5_6ELb0ES3_mN6thrust23THRUST_200600_302600_NS6detail15normal_iteratorINSA_10device_ptrIjEEEEPS6_SG_NS0_5tupleIJSF_S6_EEENSH_IJSG_SG_EEES6_PlJNSB_9not_fun_tI7is_trueIjEEEEEE10hipError_tPvRmT3_T4_T5_T6_T7_T9_mT8_P12ihipStream_tbDpT10_ENKUlT_T0_E_clISt17integral_constantIbLb0EES17_IbLb1EEEEDaS13_S14_EUlS13_E_NS1_11comp_targetILNS1_3genE3ELNS1_11target_archE908ELNS1_3gpuE7ELNS1_3repE0EEENS1_30default_config_static_selectorELNS0_4arch9wavefront6targetE0EEEvT1_
		.amdhsa_group_segment_fixed_size 0
		.amdhsa_private_segment_fixed_size 0
		.amdhsa_kernarg_size 128
		.amdhsa_user_sgpr_count 2
		.amdhsa_user_sgpr_dispatch_ptr 0
		.amdhsa_user_sgpr_queue_ptr 0
		.amdhsa_user_sgpr_kernarg_segment_ptr 1
		.amdhsa_user_sgpr_dispatch_id 0
		.amdhsa_user_sgpr_private_segment_size 0
		.amdhsa_wavefront_size32 1
		.amdhsa_uses_dynamic_stack 0
		.amdhsa_enable_private_segment 0
		.amdhsa_system_sgpr_workgroup_id_x 1
		.amdhsa_system_sgpr_workgroup_id_y 0
		.amdhsa_system_sgpr_workgroup_id_z 0
		.amdhsa_system_sgpr_workgroup_info 0
		.amdhsa_system_vgpr_workitem_id 0
		.amdhsa_next_free_vgpr 1
		.amdhsa_next_free_sgpr 1
		.amdhsa_reserve_vcc 0
		.amdhsa_float_round_mode_32 0
		.amdhsa_float_round_mode_16_64 0
		.amdhsa_float_denorm_mode_32 3
		.amdhsa_float_denorm_mode_16_64 3
		.amdhsa_fp16_overflow 0
		.amdhsa_workgroup_processor_mode 1
		.amdhsa_memory_ordered 1
		.amdhsa_forward_progress 1
		.amdhsa_inst_pref_size 0
		.amdhsa_round_robin_scheduling 0
		.amdhsa_exception_fp_ieee_invalid_op 0
		.amdhsa_exception_fp_denorm_src 0
		.amdhsa_exception_fp_ieee_div_zero 0
		.amdhsa_exception_fp_ieee_overflow 0
		.amdhsa_exception_fp_ieee_underflow 0
		.amdhsa_exception_fp_ieee_inexact 0
		.amdhsa_exception_int_div_zero 0
	.end_amdhsa_kernel
	.section	.text._ZN7rocprim17ROCPRIM_400000_NS6detail17trampoline_kernelINS0_14default_configENS1_25partition_config_selectorILNS1_17partition_subalgoE6EjNS0_10empty_typeEbEEZZNS1_14partition_implILS5_6ELb0ES3_mN6thrust23THRUST_200600_302600_NS6detail15normal_iteratorINSA_10device_ptrIjEEEEPS6_SG_NS0_5tupleIJSF_S6_EEENSH_IJSG_SG_EEES6_PlJNSB_9not_fun_tI7is_trueIjEEEEEE10hipError_tPvRmT3_T4_T5_T6_T7_T9_mT8_P12ihipStream_tbDpT10_ENKUlT_T0_E_clISt17integral_constantIbLb0EES17_IbLb1EEEEDaS13_S14_EUlS13_E_NS1_11comp_targetILNS1_3genE3ELNS1_11target_archE908ELNS1_3gpuE7ELNS1_3repE0EEENS1_30default_config_static_selectorELNS0_4arch9wavefront6targetE0EEEvT1_,"axG",@progbits,_ZN7rocprim17ROCPRIM_400000_NS6detail17trampoline_kernelINS0_14default_configENS1_25partition_config_selectorILNS1_17partition_subalgoE6EjNS0_10empty_typeEbEEZZNS1_14partition_implILS5_6ELb0ES3_mN6thrust23THRUST_200600_302600_NS6detail15normal_iteratorINSA_10device_ptrIjEEEEPS6_SG_NS0_5tupleIJSF_S6_EEENSH_IJSG_SG_EEES6_PlJNSB_9not_fun_tI7is_trueIjEEEEEE10hipError_tPvRmT3_T4_T5_T6_T7_T9_mT8_P12ihipStream_tbDpT10_ENKUlT_T0_E_clISt17integral_constantIbLb0EES17_IbLb1EEEEDaS13_S14_EUlS13_E_NS1_11comp_targetILNS1_3genE3ELNS1_11target_archE908ELNS1_3gpuE7ELNS1_3repE0EEENS1_30default_config_static_selectorELNS0_4arch9wavefront6targetE0EEEvT1_,comdat
.Lfunc_end1168:
	.size	_ZN7rocprim17ROCPRIM_400000_NS6detail17trampoline_kernelINS0_14default_configENS1_25partition_config_selectorILNS1_17partition_subalgoE6EjNS0_10empty_typeEbEEZZNS1_14partition_implILS5_6ELb0ES3_mN6thrust23THRUST_200600_302600_NS6detail15normal_iteratorINSA_10device_ptrIjEEEEPS6_SG_NS0_5tupleIJSF_S6_EEENSH_IJSG_SG_EEES6_PlJNSB_9not_fun_tI7is_trueIjEEEEEE10hipError_tPvRmT3_T4_T5_T6_T7_T9_mT8_P12ihipStream_tbDpT10_ENKUlT_T0_E_clISt17integral_constantIbLb0EES17_IbLb1EEEEDaS13_S14_EUlS13_E_NS1_11comp_targetILNS1_3genE3ELNS1_11target_archE908ELNS1_3gpuE7ELNS1_3repE0EEENS1_30default_config_static_selectorELNS0_4arch9wavefront6targetE0EEEvT1_, .Lfunc_end1168-_ZN7rocprim17ROCPRIM_400000_NS6detail17trampoline_kernelINS0_14default_configENS1_25partition_config_selectorILNS1_17partition_subalgoE6EjNS0_10empty_typeEbEEZZNS1_14partition_implILS5_6ELb0ES3_mN6thrust23THRUST_200600_302600_NS6detail15normal_iteratorINSA_10device_ptrIjEEEEPS6_SG_NS0_5tupleIJSF_S6_EEENSH_IJSG_SG_EEES6_PlJNSB_9not_fun_tI7is_trueIjEEEEEE10hipError_tPvRmT3_T4_T5_T6_T7_T9_mT8_P12ihipStream_tbDpT10_ENKUlT_T0_E_clISt17integral_constantIbLb0EES17_IbLb1EEEEDaS13_S14_EUlS13_E_NS1_11comp_targetILNS1_3genE3ELNS1_11target_archE908ELNS1_3gpuE7ELNS1_3repE0EEENS1_30default_config_static_selectorELNS0_4arch9wavefront6targetE0EEEvT1_
                                        ; -- End function
	.set _ZN7rocprim17ROCPRIM_400000_NS6detail17trampoline_kernelINS0_14default_configENS1_25partition_config_selectorILNS1_17partition_subalgoE6EjNS0_10empty_typeEbEEZZNS1_14partition_implILS5_6ELb0ES3_mN6thrust23THRUST_200600_302600_NS6detail15normal_iteratorINSA_10device_ptrIjEEEEPS6_SG_NS0_5tupleIJSF_S6_EEENSH_IJSG_SG_EEES6_PlJNSB_9not_fun_tI7is_trueIjEEEEEE10hipError_tPvRmT3_T4_T5_T6_T7_T9_mT8_P12ihipStream_tbDpT10_ENKUlT_T0_E_clISt17integral_constantIbLb0EES17_IbLb1EEEEDaS13_S14_EUlS13_E_NS1_11comp_targetILNS1_3genE3ELNS1_11target_archE908ELNS1_3gpuE7ELNS1_3repE0EEENS1_30default_config_static_selectorELNS0_4arch9wavefront6targetE0EEEvT1_.num_vgpr, 0
	.set _ZN7rocprim17ROCPRIM_400000_NS6detail17trampoline_kernelINS0_14default_configENS1_25partition_config_selectorILNS1_17partition_subalgoE6EjNS0_10empty_typeEbEEZZNS1_14partition_implILS5_6ELb0ES3_mN6thrust23THRUST_200600_302600_NS6detail15normal_iteratorINSA_10device_ptrIjEEEEPS6_SG_NS0_5tupleIJSF_S6_EEENSH_IJSG_SG_EEES6_PlJNSB_9not_fun_tI7is_trueIjEEEEEE10hipError_tPvRmT3_T4_T5_T6_T7_T9_mT8_P12ihipStream_tbDpT10_ENKUlT_T0_E_clISt17integral_constantIbLb0EES17_IbLb1EEEEDaS13_S14_EUlS13_E_NS1_11comp_targetILNS1_3genE3ELNS1_11target_archE908ELNS1_3gpuE7ELNS1_3repE0EEENS1_30default_config_static_selectorELNS0_4arch9wavefront6targetE0EEEvT1_.num_agpr, 0
	.set _ZN7rocprim17ROCPRIM_400000_NS6detail17trampoline_kernelINS0_14default_configENS1_25partition_config_selectorILNS1_17partition_subalgoE6EjNS0_10empty_typeEbEEZZNS1_14partition_implILS5_6ELb0ES3_mN6thrust23THRUST_200600_302600_NS6detail15normal_iteratorINSA_10device_ptrIjEEEEPS6_SG_NS0_5tupleIJSF_S6_EEENSH_IJSG_SG_EEES6_PlJNSB_9not_fun_tI7is_trueIjEEEEEE10hipError_tPvRmT3_T4_T5_T6_T7_T9_mT8_P12ihipStream_tbDpT10_ENKUlT_T0_E_clISt17integral_constantIbLb0EES17_IbLb1EEEEDaS13_S14_EUlS13_E_NS1_11comp_targetILNS1_3genE3ELNS1_11target_archE908ELNS1_3gpuE7ELNS1_3repE0EEENS1_30default_config_static_selectorELNS0_4arch9wavefront6targetE0EEEvT1_.numbered_sgpr, 0
	.set _ZN7rocprim17ROCPRIM_400000_NS6detail17trampoline_kernelINS0_14default_configENS1_25partition_config_selectorILNS1_17partition_subalgoE6EjNS0_10empty_typeEbEEZZNS1_14partition_implILS5_6ELb0ES3_mN6thrust23THRUST_200600_302600_NS6detail15normal_iteratorINSA_10device_ptrIjEEEEPS6_SG_NS0_5tupleIJSF_S6_EEENSH_IJSG_SG_EEES6_PlJNSB_9not_fun_tI7is_trueIjEEEEEE10hipError_tPvRmT3_T4_T5_T6_T7_T9_mT8_P12ihipStream_tbDpT10_ENKUlT_T0_E_clISt17integral_constantIbLb0EES17_IbLb1EEEEDaS13_S14_EUlS13_E_NS1_11comp_targetILNS1_3genE3ELNS1_11target_archE908ELNS1_3gpuE7ELNS1_3repE0EEENS1_30default_config_static_selectorELNS0_4arch9wavefront6targetE0EEEvT1_.num_named_barrier, 0
	.set _ZN7rocprim17ROCPRIM_400000_NS6detail17trampoline_kernelINS0_14default_configENS1_25partition_config_selectorILNS1_17partition_subalgoE6EjNS0_10empty_typeEbEEZZNS1_14partition_implILS5_6ELb0ES3_mN6thrust23THRUST_200600_302600_NS6detail15normal_iteratorINSA_10device_ptrIjEEEEPS6_SG_NS0_5tupleIJSF_S6_EEENSH_IJSG_SG_EEES6_PlJNSB_9not_fun_tI7is_trueIjEEEEEE10hipError_tPvRmT3_T4_T5_T6_T7_T9_mT8_P12ihipStream_tbDpT10_ENKUlT_T0_E_clISt17integral_constantIbLb0EES17_IbLb1EEEEDaS13_S14_EUlS13_E_NS1_11comp_targetILNS1_3genE3ELNS1_11target_archE908ELNS1_3gpuE7ELNS1_3repE0EEENS1_30default_config_static_selectorELNS0_4arch9wavefront6targetE0EEEvT1_.private_seg_size, 0
	.set _ZN7rocprim17ROCPRIM_400000_NS6detail17trampoline_kernelINS0_14default_configENS1_25partition_config_selectorILNS1_17partition_subalgoE6EjNS0_10empty_typeEbEEZZNS1_14partition_implILS5_6ELb0ES3_mN6thrust23THRUST_200600_302600_NS6detail15normal_iteratorINSA_10device_ptrIjEEEEPS6_SG_NS0_5tupleIJSF_S6_EEENSH_IJSG_SG_EEES6_PlJNSB_9not_fun_tI7is_trueIjEEEEEE10hipError_tPvRmT3_T4_T5_T6_T7_T9_mT8_P12ihipStream_tbDpT10_ENKUlT_T0_E_clISt17integral_constantIbLb0EES17_IbLb1EEEEDaS13_S14_EUlS13_E_NS1_11comp_targetILNS1_3genE3ELNS1_11target_archE908ELNS1_3gpuE7ELNS1_3repE0EEENS1_30default_config_static_selectorELNS0_4arch9wavefront6targetE0EEEvT1_.uses_vcc, 0
	.set _ZN7rocprim17ROCPRIM_400000_NS6detail17trampoline_kernelINS0_14default_configENS1_25partition_config_selectorILNS1_17partition_subalgoE6EjNS0_10empty_typeEbEEZZNS1_14partition_implILS5_6ELb0ES3_mN6thrust23THRUST_200600_302600_NS6detail15normal_iteratorINSA_10device_ptrIjEEEEPS6_SG_NS0_5tupleIJSF_S6_EEENSH_IJSG_SG_EEES6_PlJNSB_9not_fun_tI7is_trueIjEEEEEE10hipError_tPvRmT3_T4_T5_T6_T7_T9_mT8_P12ihipStream_tbDpT10_ENKUlT_T0_E_clISt17integral_constantIbLb0EES17_IbLb1EEEEDaS13_S14_EUlS13_E_NS1_11comp_targetILNS1_3genE3ELNS1_11target_archE908ELNS1_3gpuE7ELNS1_3repE0EEENS1_30default_config_static_selectorELNS0_4arch9wavefront6targetE0EEEvT1_.uses_flat_scratch, 0
	.set _ZN7rocprim17ROCPRIM_400000_NS6detail17trampoline_kernelINS0_14default_configENS1_25partition_config_selectorILNS1_17partition_subalgoE6EjNS0_10empty_typeEbEEZZNS1_14partition_implILS5_6ELb0ES3_mN6thrust23THRUST_200600_302600_NS6detail15normal_iteratorINSA_10device_ptrIjEEEEPS6_SG_NS0_5tupleIJSF_S6_EEENSH_IJSG_SG_EEES6_PlJNSB_9not_fun_tI7is_trueIjEEEEEE10hipError_tPvRmT3_T4_T5_T6_T7_T9_mT8_P12ihipStream_tbDpT10_ENKUlT_T0_E_clISt17integral_constantIbLb0EES17_IbLb1EEEEDaS13_S14_EUlS13_E_NS1_11comp_targetILNS1_3genE3ELNS1_11target_archE908ELNS1_3gpuE7ELNS1_3repE0EEENS1_30default_config_static_selectorELNS0_4arch9wavefront6targetE0EEEvT1_.has_dyn_sized_stack, 0
	.set _ZN7rocprim17ROCPRIM_400000_NS6detail17trampoline_kernelINS0_14default_configENS1_25partition_config_selectorILNS1_17partition_subalgoE6EjNS0_10empty_typeEbEEZZNS1_14partition_implILS5_6ELb0ES3_mN6thrust23THRUST_200600_302600_NS6detail15normal_iteratorINSA_10device_ptrIjEEEEPS6_SG_NS0_5tupleIJSF_S6_EEENSH_IJSG_SG_EEES6_PlJNSB_9not_fun_tI7is_trueIjEEEEEE10hipError_tPvRmT3_T4_T5_T6_T7_T9_mT8_P12ihipStream_tbDpT10_ENKUlT_T0_E_clISt17integral_constantIbLb0EES17_IbLb1EEEEDaS13_S14_EUlS13_E_NS1_11comp_targetILNS1_3genE3ELNS1_11target_archE908ELNS1_3gpuE7ELNS1_3repE0EEENS1_30default_config_static_selectorELNS0_4arch9wavefront6targetE0EEEvT1_.has_recursion, 0
	.set _ZN7rocprim17ROCPRIM_400000_NS6detail17trampoline_kernelINS0_14default_configENS1_25partition_config_selectorILNS1_17partition_subalgoE6EjNS0_10empty_typeEbEEZZNS1_14partition_implILS5_6ELb0ES3_mN6thrust23THRUST_200600_302600_NS6detail15normal_iteratorINSA_10device_ptrIjEEEEPS6_SG_NS0_5tupleIJSF_S6_EEENSH_IJSG_SG_EEES6_PlJNSB_9not_fun_tI7is_trueIjEEEEEE10hipError_tPvRmT3_T4_T5_T6_T7_T9_mT8_P12ihipStream_tbDpT10_ENKUlT_T0_E_clISt17integral_constantIbLb0EES17_IbLb1EEEEDaS13_S14_EUlS13_E_NS1_11comp_targetILNS1_3genE3ELNS1_11target_archE908ELNS1_3gpuE7ELNS1_3repE0EEENS1_30default_config_static_selectorELNS0_4arch9wavefront6targetE0EEEvT1_.has_indirect_call, 0
	.section	.AMDGPU.csdata,"",@progbits
; Kernel info:
; codeLenInByte = 0
; TotalNumSgprs: 0
; NumVgprs: 0
; ScratchSize: 0
; MemoryBound: 0
; FloatMode: 240
; IeeeMode: 1
; LDSByteSize: 0 bytes/workgroup (compile time only)
; SGPRBlocks: 0
; VGPRBlocks: 0
; NumSGPRsForWavesPerEU: 1
; NumVGPRsForWavesPerEU: 1
; Occupancy: 16
; WaveLimiterHint : 0
; COMPUTE_PGM_RSRC2:SCRATCH_EN: 0
; COMPUTE_PGM_RSRC2:USER_SGPR: 2
; COMPUTE_PGM_RSRC2:TRAP_HANDLER: 0
; COMPUTE_PGM_RSRC2:TGID_X_EN: 1
; COMPUTE_PGM_RSRC2:TGID_Y_EN: 0
; COMPUTE_PGM_RSRC2:TGID_Z_EN: 0
; COMPUTE_PGM_RSRC2:TIDIG_COMP_CNT: 0
	.section	.text._ZN7rocprim17ROCPRIM_400000_NS6detail17trampoline_kernelINS0_14default_configENS1_25partition_config_selectorILNS1_17partition_subalgoE6EjNS0_10empty_typeEbEEZZNS1_14partition_implILS5_6ELb0ES3_mN6thrust23THRUST_200600_302600_NS6detail15normal_iteratorINSA_10device_ptrIjEEEEPS6_SG_NS0_5tupleIJSF_S6_EEENSH_IJSG_SG_EEES6_PlJNSB_9not_fun_tI7is_trueIjEEEEEE10hipError_tPvRmT3_T4_T5_T6_T7_T9_mT8_P12ihipStream_tbDpT10_ENKUlT_T0_E_clISt17integral_constantIbLb0EES17_IbLb1EEEEDaS13_S14_EUlS13_E_NS1_11comp_targetILNS1_3genE2ELNS1_11target_archE906ELNS1_3gpuE6ELNS1_3repE0EEENS1_30default_config_static_selectorELNS0_4arch9wavefront6targetE0EEEvT1_,"axG",@progbits,_ZN7rocprim17ROCPRIM_400000_NS6detail17trampoline_kernelINS0_14default_configENS1_25partition_config_selectorILNS1_17partition_subalgoE6EjNS0_10empty_typeEbEEZZNS1_14partition_implILS5_6ELb0ES3_mN6thrust23THRUST_200600_302600_NS6detail15normal_iteratorINSA_10device_ptrIjEEEEPS6_SG_NS0_5tupleIJSF_S6_EEENSH_IJSG_SG_EEES6_PlJNSB_9not_fun_tI7is_trueIjEEEEEE10hipError_tPvRmT3_T4_T5_T6_T7_T9_mT8_P12ihipStream_tbDpT10_ENKUlT_T0_E_clISt17integral_constantIbLb0EES17_IbLb1EEEEDaS13_S14_EUlS13_E_NS1_11comp_targetILNS1_3genE2ELNS1_11target_archE906ELNS1_3gpuE6ELNS1_3repE0EEENS1_30default_config_static_selectorELNS0_4arch9wavefront6targetE0EEEvT1_,comdat
	.protected	_ZN7rocprim17ROCPRIM_400000_NS6detail17trampoline_kernelINS0_14default_configENS1_25partition_config_selectorILNS1_17partition_subalgoE6EjNS0_10empty_typeEbEEZZNS1_14partition_implILS5_6ELb0ES3_mN6thrust23THRUST_200600_302600_NS6detail15normal_iteratorINSA_10device_ptrIjEEEEPS6_SG_NS0_5tupleIJSF_S6_EEENSH_IJSG_SG_EEES6_PlJNSB_9not_fun_tI7is_trueIjEEEEEE10hipError_tPvRmT3_T4_T5_T6_T7_T9_mT8_P12ihipStream_tbDpT10_ENKUlT_T0_E_clISt17integral_constantIbLb0EES17_IbLb1EEEEDaS13_S14_EUlS13_E_NS1_11comp_targetILNS1_3genE2ELNS1_11target_archE906ELNS1_3gpuE6ELNS1_3repE0EEENS1_30default_config_static_selectorELNS0_4arch9wavefront6targetE0EEEvT1_ ; -- Begin function _ZN7rocprim17ROCPRIM_400000_NS6detail17trampoline_kernelINS0_14default_configENS1_25partition_config_selectorILNS1_17partition_subalgoE6EjNS0_10empty_typeEbEEZZNS1_14partition_implILS5_6ELb0ES3_mN6thrust23THRUST_200600_302600_NS6detail15normal_iteratorINSA_10device_ptrIjEEEEPS6_SG_NS0_5tupleIJSF_S6_EEENSH_IJSG_SG_EEES6_PlJNSB_9not_fun_tI7is_trueIjEEEEEE10hipError_tPvRmT3_T4_T5_T6_T7_T9_mT8_P12ihipStream_tbDpT10_ENKUlT_T0_E_clISt17integral_constantIbLb0EES17_IbLb1EEEEDaS13_S14_EUlS13_E_NS1_11comp_targetILNS1_3genE2ELNS1_11target_archE906ELNS1_3gpuE6ELNS1_3repE0EEENS1_30default_config_static_selectorELNS0_4arch9wavefront6targetE0EEEvT1_
	.globl	_ZN7rocprim17ROCPRIM_400000_NS6detail17trampoline_kernelINS0_14default_configENS1_25partition_config_selectorILNS1_17partition_subalgoE6EjNS0_10empty_typeEbEEZZNS1_14partition_implILS5_6ELb0ES3_mN6thrust23THRUST_200600_302600_NS6detail15normal_iteratorINSA_10device_ptrIjEEEEPS6_SG_NS0_5tupleIJSF_S6_EEENSH_IJSG_SG_EEES6_PlJNSB_9not_fun_tI7is_trueIjEEEEEE10hipError_tPvRmT3_T4_T5_T6_T7_T9_mT8_P12ihipStream_tbDpT10_ENKUlT_T0_E_clISt17integral_constantIbLb0EES17_IbLb1EEEEDaS13_S14_EUlS13_E_NS1_11comp_targetILNS1_3genE2ELNS1_11target_archE906ELNS1_3gpuE6ELNS1_3repE0EEENS1_30default_config_static_selectorELNS0_4arch9wavefront6targetE0EEEvT1_
	.p2align	8
	.type	_ZN7rocprim17ROCPRIM_400000_NS6detail17trampoline_kernelINS0_14default_configENS1_25partition_config_selectorILNS1_17partition_subalgoE6EjNS0_10empty_typeEbEEZZNS1_14partition_implILS5_6ELb0ES3_mN6thrust23THRUST_200600_302600_NS6detail15normal_iteratorINSA_10device_ptrIjEEEEPS6_SG_NS0_5tupleIJSF_S6_EEENSH_IJSG_SG_EEES6_PlJNSB_9not_fun_tI7is_trueIjEEEEEE10hipError_tPvRmT3_T4_T5_T6_T7_T9_mT8_P12ihipStream_tbDpT10_ENKUlT_T0_E_clISt17integral_constantIbLb0EES17_IbLb1EEEEDaS13_S14_EUlS13_E_NS1_11comp_targetILNS1_3genE2ELNS1_11target_archE906ELNS1_3gpuE6ELNS1_3repE0EEENS1_30default_config_static_selectorELNS0_4arch9wavefront6targetE0EEEvT1_,@function
_ZN7rocprim17ROCPRIM_400000_NS6detail17trampoline_kernelINS0_14default_configENS1_25partition_config_selectorILNS1_17partition_subalgoE6EjNS0_10empty_typeEbEEZZNS1_14partition_implILS5_6ELb0ES3_mN6thrust23THRUST_200600_302600_NS6detail15normal_iteratorINSA_10device_ptrIjEEEEPS6_SG_NS0_5tupleIJSF_S6_EEENSH_IJSG_SG_EEES6_PlJNSB_9not_fun_tI7is_trueIjEEEEEE10hipError_tPvRmT3_T4_T5_T6_T7_T9_mT8_P12ihipStream_tbDpT10_ENKUlT_T0_E_clISt17integral_constantIbLb0EES17_IbLb1EEEEDaS13_S14_EUlS13_E_NS1_11comp_targetILNS1_3genE2ELNS1_11target_archE906ELNS1_3gpuE6ELNS1_3repE0EEENS1_30default_config_static_selectorELNS0_4arch9wavefront6targetE0EEEvT1_: ; @_ZN7rocprim17ROCPRIM_400000_NS6detail17trampoline_kernelINS0_14default_configENS1_25partition_config_selectorILNS1_17partition_subalgoE6EjNS0_10empty_typeEbEEZZNS1_14partition_implILS5_6ELb0ES3_mN6thrust23THRUST_200600_302600_NS6detail15normal_iteratorINSA_10device_ptrIjEEEEPS6_SG_NS0_5tupleIJSF_S6_EEENSH_IJSG_SG_EEES6_PlJNSB_9not_fun_tI7is_trueIjEEEEEE10hipError_tPvRmT3_T4_T5_T6_T7_T9_mT8_P12ihipStream_tbDpT10_ENKUlT_T0_E_clISt17integral_constantIbLb0EES17_IbLb1EEEEDaS13_S14_EUlS13_E_NS1_11comp_targetILNS1_3genE2ELNS1_11target_archE906ELNS1_3gpuE6ELNS1_3repE0EEENS1_30default_config_static_selectorELNS0_4arch9wavefront6targetE0EEEvT1_
; %bb.0:
	.section	.rodata,"a",@progbits
	.p2align	6, 0x0
	.amdhsa_kernel _ZN7rocprim17ROCPRIM_400000_NS6detail17trampoline_kernelINS0_14default_configENS1_25partition_config_selectorILNS1_17partition_subalgoE6EjNS0_10empty_typeEbEEZZNS1_14partition_implILS5_6ELb0ES3_mN6thrust23THRUST_200600_302600_NS6detail15normal_iteratorINSA_10device_ptrIjEEEEPS6_SG_NS0_5tupleIJSF_S6_EEENSH_IJSG_SG_EEES6_PlJNSB_9not_fun_tI7is_trueIjEEEEEE10hipError_tPvRmT3_T4_T5_T6_T7_T9_mT8_P12ihipStream_tbDpT10_ENKUlT_T0_E_clISt17integral_constantIbLb0EES17_IbLb1EEEEDaS13_S14_EUlS13_E_NS1_11comp_targetILNS1_3genE2ELNS1_11target_archE906ELNS1_3gpuE6ELNS1_3repE0EEENS1_30default_config_static_selectorELNS0_4arch9wavefront6targetE0EEEvT1_
		.amdhsa_group_segment_fixed_size 0
		.amdhsa_private_segment_fixed_size 0
		.amdhsa_kernarg_size 128
		.amdhsa_user_sgpr_count 2
		.amdhsa_user_sgpr_dispatch_ptr 0
		.amdhsa_user_sgpr_queue_ptr 0
		.amdhsa_user_sgpr_kernarg_segment_ptr 1
		.amdhsa_user_sgpr_dispatch_id 0
		.amdhsa_user_sgpr_private_segment_size 0
		.amdhsa_wavefront_size32 1
		.amdhsa_uses_dynamic_stack 0
		.amdhsa_enable_private_segment 0
		.amdhsa_system_sgpr_workgroup_id_x 1
		.amdhsa_system_sgpr_workgroup_id_y 0
		.amdhsa_system_sgpr_workgroup_id_z 0
		.amdhsa_system_sgpr_workgroup_info 0
		.amdhsa_system_vgpr_workitem_id 0
		.amdhsa_next_free_vgpr 1
		.amdhsa_next_free_sgpr 1
		.amdhsa_reserve_vcc 0
		.amdhsa_float_round_mode_32 0
		.amdhsa_float_round_mode_16_64 0
		.amdhsa_float_denorm_mode_32 3
		.amdhsa_float_denorm_mode_16_64 3
		.amdhsa_fp16_overflow 0
		.amdhsa_workgroup_processor_mode 1
		.amdhsa_memory_ordered 1
		.amdhsa_forward_progress 1
		.amdhsa_inst_pref_size 0
		.amdhsa_round_robin_scheduling 0
		.amdhsa_exception_fp_ieee_invalid_op 0
		.amdhsa_exception_fp_denorm_src 0
		.amdhsa_exception_fp_ieee_div_zero 0
		.amdhsa_exception_fp_ieee_overflow 0
		.amdhsa_exception_fp_ieee_underflow 0
		.amdhsa_exception_fp_ieee_inexact 0
		.amdhsa_exception_int_div_zero 0
	.end_amdhsa_kernel
	.section	.text._ZN7rocprim17ROCPRIM_400000_NS6detail17trampoline_kernelINS0_14default_configENS1_25partition_config_selectorILNS1_17partition_subalgoE6EjNS0_10empty_typeEbEEZZNS1_14partition_implILS5_6ELb0ES3_mN6thrust23THRUST_200600_302600_NS6detail15normal_iteratorINSA_10device_ptrIjEEEEPS6_SG_NS0_5tupleIJSF_S6_EEENSH_IJSG_SG_EEES6_PlJNSB_9not_fun_tI7is_trueIjEEEEEE10hipError_tPvRmT3_T4_T5_T6_T7_T9_mT8_P12ihipStream_tbDpT10_ENKUlT_T0_E_clISt17integral_constantIbLb0EES17_IbLb1EEEEDaS13_S14_EUlS13_E_NS1_11comp_targetILNS1_3genE2ELNS1_11target_archE906ELNS1_3gpuE6ELNS1_3repE0EEENS1_30default_config_static_selectorELNS0_4arch9wavefront6targetE0EEEvT1_,"axG",@progbits,_ZN7rocprim17ROCPRIM_400000_NS6detail17trampoline_kernelINS0_14default_configENS1_25partition_config_selectorILNS1_17partition_subalgoE6EjNS0_10empty_typeEbEEZZNS1_14partition_implILS5_6ELb0ES3_mN6thrust23THRUST_200600_302600_NS6detail15normal_iteratorINSA_10device_ptrIjEEEEPS6_SG_NS0_5tupleIJSF_S6_EEENSH_IJSG_SG_EEES6_PlJNSB_9not_fun_tI7is_trueIjEEEEEE10hipError_tPvRmT3_T4_T5_T6_T7_T9_mT8_P12ihipStream_tbDpT10_ENKUlT_T0_E_clISt17integral_constantIbLb0EES17_IbLb1EEEEDaS13_S14_EUlS13_E_NS1_11comp_targetILNS1_3genE2ELNS1_11target_archE906ELNS1_3gpuE6ELNS1_3repE0EEENS1_30default_config_static_selectorELNS0_4arch9wavefront6targetE0EEEvT1_,comdat
.Lfunc_end1169:
	.size	_ZN7rocprim17ROCPRIM_400000_NS6detail17trampoline_kernelINS0_14default_configENS1_25partition_config_selectorILNS1_17partition_subalgoE6EjNS0_10empty_typeEbEEZZNS1_14partition_implILS5_6ELb0ES3_mN6thrust23THRUST_200600_302600_NS6detail15normal_iteratorINSA_10device_ptrIjEEEEPS6_SG_NS0_5tupleIJSF_S6_EEENSH_IJSG_SG_EEES6_PlJNSB_9not_fun_tI7is_trueIjEEEEEE10hipError_tPvRmT3_T4_T5_T6_T7_T9_mT8_P12ihipStream_tbDpT10_ENKUlT_T0_E_clISt17integral_constantIbLb0EES17_IbLb1EEEEDaS13_S14_EUlS13_E_NS1_11comp_targetILNS1_3genE2ELNS1_11target_archE906ELNS1_3gpuE6ELNS1_3repE0EEENS1_30default_config_static_selectorELNS0_4arch9wavefront6targetE0EEEvT1_, .Lfunc_end1169-_ZN7rocprim17ROCPRIM_400000_NS6detail17trampoline_kernelINS0_14default_configENS1_25partition_config_selectorILNS1_17partition_subalgoE6EjNS0_10empty_typeEbEEZZNS1_14partition_implILS5_6ELb0ES3_mN6thrust23THRUST_200600_302600_NS6detail15normal_iteratorINSA_10device_ptrIjEEEEPS6_SG_NS0_5tupleIJSF_S6_EEENSH_IJSG_SG_EEES6_PlJNSB_9not_fun_tI7is_trueIjEEEEEE10hipError_tPvRmT3_T4_T5_T6_T7_T9_mT8_P12ihipStream_tbDpT10_ENKUlT_T0_E_clISt17integral_constantIbLb0EES17_IbLb1EEEEDaS13_S14_EUlS13_E_NS1_11comp_targetILNS1_3genE2ELNS1_11target_archE906ELNS1_3gpuE6ELNS1_3repE0EEENS1_30default_config_static_selectorELNS0_4arch9wavefront6targetE0EEEvT1_
                                        ; -- End function
	.set _ZN7rocprim17ROCPRIM_400000_NS6detail17trampoline_kernelINS0_14default_configENS1_25partition_config_selectorILNS1_17partition_subalgoE6EjNS0_10empty_typeEbEEZZNS1_14partition_implILS5_6ELb0ES3_mN6thrust23THRUST_200600_302600_NS6detail15normal_iteratorINSA_10device_ptrIjEEEEPS6_SG_NS0_5tupleIJSF_S6_EEENSH_IJSG_SG_EEES6_PlJNSB_9not_fun_tI7is_trueIjEEEEEE10hipError_tPvRmT3_T4_T5_T6_T7_T9_mT8_P12ihipStream_tbDpT10_ENKUlT_T0_E_clISt17integral_constantIbLb0EES17_IbLb1EEEEDaS13_S14_EUlS13_E_NS1_11comp_targetILNS1_3genE2ELNS1_11target_archE906ELNS1_3gpuE6ELNS1_3repE0EEENS1_30default_config_static_selectorELNS0_4arch9wavefront6targetE0EEEvT1_.num_vgpr, 0
	.set _ZN7rocprim17ROCPRIM_400000_NS6detail17trampoline_kernelINS0_14default_configENS1_25partition_config_selectorILNS1_17partition_subalgoE6EjNS0_10empty_typeEbEEZZNS1_14partition_implILS5_6ELb0ES3_mN6thrust23THRUST_200600_302600_NS6detail15normal_iteratorINSA_10device_ptrIjEEEEPS6_SG_NS0_5tupleIJSF_S6_EEENSH_IJSG_SG_EEES6_PlJNSB_9not_fun_tI7is_trueIjEEEEEE10hipError_tPvRmT3_T4_T5_T6_T7_T9_mT8_P12ihipStream_tbDpT10_ENKUlT_T0_E_clISt17integral_constantIbLb0EES17_IbLb1EEEEDaS13_S14_EUlS13_E_NS1_11comp_targetILNS1_3genE2ELNS1_11target_archE906ELNS1_3gpuE6ELNS1_3repE0EEENS1_30default_config_static_selectorELNS0_4arch9wavefront6targetE0EEEvT1_.num_agpr, 0
	.set _ZN7rocprim17ROCPRIM_400000_NS6detail17trampoline_kernelINS0_14default_configENS1_25partition_config_selectorILNS1_17partition_subalgoE6EjNS0_10empty_typeEbEEZZNS1_14partition_implILS5_6ELb0ES3_mN6thrust23THRUST_200600_302600_NS6detail15normal_iteratorINSA_10device_ptrIjEEEEPS6_SG_NS0_5tupleIJSF_S6_EEENSH_IJSG_SG_EEES6_PlJNSB_9not_fun_tI7is_trueIjEEEEEE10hipError_tPvRmT3_T4_T5_T6_T7_T9_mT8_P12ihipStream_tbDpT10_ENKUlT_T0_E_clISt17integral_constantIbLb0EES17_IbLb1EEEEDaS13_S14_EUlS13_E_NS1_11comp_targetILNS1_3genE2ELNS1_11target_archE906ELNS1_3gpuE6ELNS1_3repE0EEENS1_30default_config_static_selectorELNS0_4arch9wavefront6targetE0EEEvT1_.numbered_sgpr, 0
	.set _ZN7rocprim17ROCPRIM_400000_NS6detail17trampoline_kernelINS0_14default_configENS1_25partition_config_selectorILNS1_17partition_subalgoE6EjNS0_10empty_typeEbEEZZNS1_14partition_implILS5_6ELb0ES3_mN6thrust23THRUST_200600_302600_NS6detail15normal_iteratorINSA_10device_ptrIjEEEEPS6_SG_NS0_5tupleIJSF_S6_EEENSH_IJSG_SG_EEES6_PlJNSB_9not_fun_tI7is_trueIjEEEEEE10hipError_tPvRmT3_T4_T5_T6_T7_T9_mT8_P12ihipStream_tbDpT10_ENKUlT_T0_E_clISt17integral_constantIbLb0EES17_IbLb1EEEEDaS13_S14_EUlS13_E_NS1_11comp_targetILNS1_3genE2ELNS1_11target_archE906ELNS1_3gpuE6ELNS1_3repE0EEENS1_30default_config_static_selectorELNS0_4arch9wavefront6targetE0EEEvT1_.num_named_barrier, 0
	.set _ZN7rocprim17ROCPRIM_400000_NS6detail17trampoline_kernelINS0_14default_configENS1_25partition_config_selectorILNS1_17partition_subalgoE6EjNS0_10empty_typeEbEEZZNS1_14partition_implILS5_6ELb0ES3_mN6thrust23THRUST_200600_302600_NS6detail15normal_iteratorINSA_10device_ptrIjEEEEPS6_SG_NS0_5tupleIJSF_S6_EEENSH_IJSG_SG_EEES6_PlJNSB_9not_fun_tI7is_trueIjEEEEEE10hipError_tPvRmT3_T4_T5_T6_T7_T9_mT8_P12ihipStream_tbDpT10_ENKUlT_T0_E_clISt17integral_constantIbLb0EES17_IbLb1EEEEDaS13_S14_EUlS13_E_NS1_11comp_targetILNS1_3genE2ELNS1_11target_archE906ELNS1_3gpuE6ELNS1_3repE0EEENS1_30default_config_static_selectorELNS0_4arch9wavefront6targetE0EEEvT1_.private_seg_size, 0
	.set _ZN7rocprim17ROCPRIM_400000_NS6detail17trampoline_kernelINS0_14default_configENS1_25partition_config_selectorILNS1_17partition_subalgoE6EjNS0_10empty_typeEbEEZZNS1_14partition_implILS5_6ELb0ES3_mN6thrust23THRUST_200600_302600_NS6detail15normal_iteratorINSA_10device_ptrIjEEEEPS6_SG_NS0_5tupleIJSF_S6_EEENSH_IJSG_SG_EEES6_PlJNSB_9not_fun_tI7is_trueIjEEEEEE10hipError_tPvRmT3_T4_T5_T6_T7_T9_mT8_P12ihipStream_tbDpT10_ENKUlT_T0_E_clISt17integral_constantIbLb0EES17_IbLb1EEEEDaS13_S14_EUlS13_E_NS1_11comp_targetILNS1_3genE2ELNS1_11target_archE906ELNS1_3gpuE6ELNS1_3repE0EEENS1_30default_config_static_selectorELNS0_4arch9wavefront6targetE0EEEvT1_.uses_vcc, 0
	.set _ZN7rocprim17ROCPRIM_400000_NS6detail17trampoline_kernelINS0_14default_configENS1_25partition_config_selectorILNS1_17partition_subalgoE6EjNS0_10empty_typeEbEEZZNS1_14partition_implILS5_6ELb0ES3_mN6thrust23THRUST_200600_302600_NS6detail15normal_iteratorINSA_10device_ptrIjEEEEPS6_SG_NS0_5tupleIJSF_S6_EEENSH_IJSG_SG_EEES6_PlJNSB_9not_fun_tI7is_trueIjEEEEEE10hipError_tPvRmT3_T4_T5_T6_T7_T9_mT8_P12ihipStream_tbDpT10_ENKUlT_T0_E_clISt17integral_constantIbLb0EES17_IbLb1EEEEDaS13_S14_EUlS13_E_NS1_11comp_targetILNS1_3genE2ELNS1_11target_archE906ELNS1_3gpuE6ELNS1_3repE0EEENS1_30default_config_static_selectorELNS0_4arch9wavefront6targetE0EEEvT1_.uses_flat_scratch, 0
	.set _ZN7rocprim17ROCPRIM_400000_NS6detail17trampoline_kernelINS0_14default_configENS1_25partition_config_selectorILNS1_17partition_subalgoE6EjNS0_10empty_typeEbEEZZNS1_14partition_implILS5_6ELb0ES3_mN6thrust23THRUST_200600_302600_NS6detail15normal_iteratorINSA_10device_ptrIjEEEEPS6_SG_NS0_5tupleIJSF_S6_EEENSH_IJSG_SG_EEES6_PlJNSB_9not_fun_tI7is_trueIjEEEEEE10hipError_tPvRmT3_T4_T5_T6_T7_T9_mT8_P12ihipStream_tbDpT10_ENKUlT_T0_E_clISt17integral_constantIbLb0EES17_IbLb1EEEEDaS13_S14_EUlS13_E_NS1_11comp_targetILNS1_3genE2ELNS1_11target_archE906ELNS1_3gpuE6ELNS1_3repE0EEENS1_30default_config_static_selectorELNS0_4arch9wavefront6targetE0EEEvT1_.has_dyn_sized_stack, 0
	.set _ZN7rocprim17ROCPRIM_400000_NS6detail17trampoline_kernelINS0_14default_configENS1_25partition_config_selectorILNS1_17partition_subalgoE6EjNS0_10empty_typeEbEEZZNS1_14partition_implILS5_6ELb0ES3_mN6thrust23THRUST_200600_302600_NS6detail15normal_iteratorINSA_10device_ptrIjEEEEPS6_SG_NS0_5tupleIJSF_S6_EEENSH_IJSG_SG_EEES6_PlJNSB_9not_fun_tI7is_trueIjEEEEEE10hipError_tPvRmT3_T4_T5_T6_T7_T9_mT8_P12ihipStream_tbDpT10_ENKUlT_T0_E_clISt17integral_constantIbLb0EES17_IbLb1EEEEDaS13_S14_EUlS13_E_NS1_11comp_targetILNS1_3genE2ELNS1_11target_archE906ELNS1_3gpuE6ELNS1_3repE0EEENS1_30default_config_static_selectorELNS0_4arch9wavefront6targetE0EEEvT1_.has_recursion, 0
	.set _ZN7rocprim17ROCPRIM_400000_NS6detail17trampoline_kernelINS0_14default_configENS1_25partition_config_selectorILNS1_17partition_subalgoE6EjNS0_10empty_typeEbEEZZNS1_14partition_implILS5_6ELb0ES3_mN6thrust23THRUST_200600_302600_NS6detail15normal_iteratorINSA_10device_ptrIjEEEEPS6_SG_NS0_5tupleIJSF_S6_EEENSH_IJSG_SG_EEES6_PlJNSB_9not_fun_tI7is_trueIjEEEEEE10hipError_tPvRmT3_T4_T5_T6_T7_T9_mT8_P12ihipStream_tbDpT10_ENKUlT_T0_E_clISt17integral_constantIbLb0EES17_IbLb1EEEEDaS13_S14_EUlS13_E_NS1_11comp_targetILNS1_3genE2ELNS1_11target_archE906ELNS1_3gpuE6ELNS1_3repE0EEENS1_30default_config_static_selectorELNS0_4arch9wavefront6targetE0EEEvT1_.has_indirect_call, 0
	.section	.AMDGPU.csdata,"",@progbits
; Kernel info:
; codeLenInByte = 0
; TotalNumSgprs: 0
; NumVgprs: 0
; ScratchSize: 0
; MemoryBound: 0
; FloatMode: 240
; IeeeMode: 1
; LDSByteSize: 0 bytes/workgroup (compile time only)
; SGPRBlocks: 0
; VGPRBlocks: 0
; NumSGPRsForWavesPerEU: 1
; NumVGPRsForWavesPerEU: 1
; Occupancy: 16
; WaveLimiterHint : 0
; COMPUTE_PGM_RSRC2:SCRATCH_EN: 0
; COMPUTE_PGM_RSRC2:USER_SGPR: 2
; COMPUTE_PGM_RSRC2:TRAP_HANDLER: 0
; COMPUTE_PGM_RSRC2:TGID_X_EN: 1
; COMPUTE_PGM_RSRC2:TGID_Y_EN: 0
; COMPUTE_PGM_RSRC2:TGID_Z_EN: 0
; COMPUTE_PGM_RSRC2:TIDIG_COMP_CNT: 0
	.section	.text._ZN7rocprim17ROCPRIM_400000_NS6detail17trampoline_kernelINS0_14default_configENS1_25partition_config_selectorILNS1_17partition_subalgoE6EjNS0_10empty_typeEbEEZZNS1_14partition_implILS5_6ELb0ES3_mN6thrust23THRUST_200600_302600_NS6detail15normal_iteratorINSA_10device_ptrIjEEEEPS6_SG_NS0_5tupleIJSF_S6_EEENSH_IJSG_SG_EEES6_PlJNSB_9not_fun_tI7is_trueIjEEEEEE10hipError_tPvRmT3_T4_T5_T6_T7_T9_mT8_P12ihipStream_tbDpT10_ENKUlT_T0_E_clISt17integral_constantIbLb0EES17_IbLb1EEEEDaS13_S14_EUlS13_E_NS1_11comp_targetILNS1_3genE10ELNS1_11target_archE1200ELNS1_3gpuE4ELNS1_3repE0EEENS1_30default_config_static_selectorELNS0_4arch9wavefront6targetE0EEEvT1_,"axG",@progbits,_ZN7rocprim17ROCPRIM_400000_NS6detail17trampoline_kernelINS0_14default_configENS1_25partition_config_selectorILNS1_17partition_subalgoE6EjNS0_10empty_typeEbEEZZNS1_14partition_implILS5_6ELb0ES3_mN6thrust23THRUST_200600_302600_NS6detail15normal_iteratorINSA_10device_ptrIjEEEEPS6_SG_NS0_5tupleIJSF_S6_EEENSH_IJSG_SG_EEES6_PlJNSB_9not_fun_tI7is_trueIjEEEEEE10hipError_tPvRmT3_T4_T5_T6_T7_T9_mT8_P12ihipStream_tbDpT10_ENKUlT_T0_E_clISt17integral_constantIbLb0EES17_IbLb1EEEEDaS13_S14_EUlS13_E_NS1_11comp_targetILNS1_3genE10ELNS1_11target_archE1200ELNS1_3gpuE4ELNS1_3repE0EEENS1_30default_config_static_selectorELNS0_4arch9wavefront6targetE0EEEvT1_,comdat
	.protected	_ZN7rocprim17ROCPRIM_400000_NS6detail17trampoline_kernelINS0_14default_configENS1_25partition_config_selectorILNS1_17partition_subalgoE6EjNS0_10empty_typeEbEEZZNS1_14partition_implILS5_6ELb0ES3_mN6thrust23THRUST_200600_302600_NS6detail15normal_iteratorINSA_10device_ptrIjEEEEPS6_SG_NS0_5tupleIJSF_S6_EEENSH_IJSG_SG_EEES6_PlJNSB_9not_fun_tI7is_trueIjEEEEEE10hipError_tPvRmT3_T4_T5_T6_T7_T9_mT8_P12ihipStream_tbDpT10_ENKUlT_T0_E_clISt17integral_constantIbLb0EES17_IbLb1EEEEDaS13_S14_EUlS13_E_NS1_11comp_targetILNS1_3genE10ELNS1_11target_archE1200ELNS1_3gpuE4ELNS1_3repE0EEENS1_30default_config_static_selectorELNS0_4arch9wavefront6targetE0EEEvT1_ ; -- Begin function _ZN7rocprim17ROCPRIM_400000_NS6detail17trampoline_kernelINS0_14default_configENS1_25partition_config_selectorILNS1_17partition_subalgoE6EjNS0_10empty_typeEbEEZZNS1_14partition_implILS5_6ELb0ES3_mN6thrust23THRUST_200600_302600_NS6detail15normal_iteratorINSA_10device_ptrIjEEEEPS6_SG_NS0_5tupleIJSF_S6_EEENSH_IJSG_SG_EEES6_PlJNSB_9not_fun_tI7is_trueIjEEEEEE10hipError_tPvRmT3_T4_T5_T6_T7_T9_mT8_P12ihipStream_tbDpT10_ENKUlT_T0_E_clISt17integral_constantIbLb0EES17_IbLb1EEEEDaS13_S14_EUlS13_E_NS1_11comp_targetILNS1_3genE10ELNS1_11target_archE1200ELNS1_3gpuE4ELNS1_3repE0EEENS1_30default_config_static_selectorELNS0_4arch9wavefront6targetE0EEEvT1_
	.globl	_ZN7rocprim17ROCPRIM_400000_NS6detail17trampoline_kernelINS0_14default_configENS1_25partition_config_selectorILNS1_17partition_subalgoE6EjNS0_10empty_typeEbEEZZNS1_14partition_implILS5_6ELb0ES3_mN6thrust23THRUST_200600_302600_NS6detail15normal_iteratorINSA_10device_ptrIjEEEEPS6_SG_NS0_5tupleIJSF_S6_EEENSH_IJSG_SG_EEES6_PlJNSB_9not_fun_tI7is_trueIjEEEEEE10hipError_tPvRmT3_T4_T5_T6_T7_T9_mT8_P12ihipStream_tbDpT10_ENKUlT_T0_E_clISt17integral_constantIbLb0EES17_IbLb1EEEEDaS13_S14_EUlS13_E_NS1_11comp_targetILNS1_3genE10ELNS1_11target_archE1200ELNS1_3gpuE4ELNS1_3repE0EEENS1_30default_config_static_selectorELNS0_4arch9wavefront6targetE0EEEvT1_
	.p2align	8
	.type	_ZN7rocprim17ROCPRIM_400000_NS6detail17trampoline_kernelINS0_14default_configENS1_25partition_config_selectorILNS1_17partition_subalgoE6EjNS0_10empty_typeEbEEZZNS1_14partition_implILS5_6ELb0ES3_mN6thrust23THRUST_200600_302600_NS6detail15normal_iteratorINSA_10device_ptrIjEEEEPS6_SG_NS0_5tupleIJSF_S6_EEENSH_IJSG_SG_EEES6_PlJNSB_9not_fun_tI7is_trueIjEEEEEE10hipError_tPvRmT3_T4_T5_T6_T7_T9_mT8_P12ihipStream_tbDpT10_ENKUlT_T0_E_clISt17integral_constantIbLb0EES17_IbLb1EEEEDaS13_S14_EUlS13_E_NS1_11comp_targetILNS1_3genE10ELNS1_11target_archE1200ELNS1_3gpuE4ELNS1_3repE0EEENS1_30default_config_static_selectorELNS0_4arch9wavefront6targetE0EEEvT1_,@function
_ZN7rocprim17ROCPRIM_400000_NS6detail17trampoline_kernelINS0_14default_configENS1_25partition_config_selectorILNS1_17partition_subalgoE6EjNS0_10empty_typeEbEEZZNS1_14partition_implILS5_6ELb0ES3_mN6thrust23THRUST_200600_302600_NS6detail15normal_iteratorINSA_10device_ptrIjEEEEPS6_SG_NS0_5tupleIJSF_S6_EEENSH_IJSG_SG_EEES6_PlJNSB_9not_fun_tI7is_trueIjEEEEEE10hipError_tPvRmT3_T4_T5_T6_T7_T9_mT8_P12ihipStream_tbDpT10_ENKUlT_T0_E_clISt17integral_constantIbLb0EES17_IbLb1EEEEDaS13_S14_EUlS13_E_NS1_11comp_targetILNS1_3genE10ELNS1_11target_archE1200ELNS1_3gpuE4ELNS1_3repE0EEENS1_30default_config_static_selectorELNS0_4arch9wavefront6targetE0EEEvT1_: ; @_ZN7rocprim17ROCPRIM_400000_NS6detail17trampoline_kernelINS0_14default_configENS1_25partition_config_selectorILNS1_17partition_subalgoE6EjNS0_10empty_typeEbEEZZNS1_14partition_implILS5_6ELb0ES3_mN6thrust23THRUST_200600_302600_NS6detail15normal_iteratorINSA_10device_ptrIjEEEEPS6_SG_NS0_5tupleIJSF_S6_EEENSH_IJSG_SG_EEES6_PlJNSB_9not_fun_tI7is_trueIjEEEEEE10hipError_tPvRmT3_T4_T5_T6_T7_T9_mT8_P12ihipStream_tbDpT10_ENKUlT_T0_E_clISt17integral_constantIbLb0EES17_IbLb1EEEEDaS13_S14_EUlS13_E_NS1_11comp_targetILNS1_3genE10ELNS1_11target_archE1200ELNS1_3gpuE4ELNS1_3repE0EEENS1_30default_config_static_selectorELNS0_4arch9wavefront6targetE0EEEvT1_
; %bb.0:
	s_clause 0x3
	s_load_b64 s[12:13], s[0:1], 0x28
	s_load_b128 s[8:11], s[0:1], 0x40
	s_load_b64 s[16:17], s[0:1], 0x50
	s_load_b64 s[14:15], s[0:1], 0x60
	v_cmp_eq_u32_e64 s2, 0, v0
	s_and_saveexec_b32 s3, s2
	s_cbranch_execz .LBB1170_4
; %bb.1:
	s_mov_b32 s5, exec_lo
	s_mov_b32 s4, exec_lo
	v_mbcnt_lo_u32_b32 v1, s5, 0
                                        ; implicit-def: $vgpr2
	s_delay_alu instid0(VALU_DEP_1)
	v_cmpx_eq_u32_e32 0, v1
	s_cbranch_execz .LBB1170_3
; %bb.2:
	s_load_b64 s[6:7], s[0:1], 0x70
	s_bcnt1_i32_b32 s5, s5
	s_wait_alu 0xfffe
	v_dual_mov_b32 v2, 0 :: v_dual_mov_b32 v3, s5
	s_wait_kmcnt 0x0
	global_atomic_add_u32 v2, v2, v3, s[6:7] th:TH_ATOMIC_RETURN scope:SCOPE_DEV
.LBB1170_3:
	s_or_b32 exec_lo, exec_lo, s4
	s_wait_loadcnt 0x0
	v_readfirstlane_b32 s4, v2
	s_wait_alu 0xf1ff
	s_delay_alu instid0(VALU_DEP_1)
	v_dual_mov_b32 v2, 0 :: v_dual_add_nc_u32 v1, s4, v1
	ds_store_b32 v2, v1
.LBB1170_4:
	s_or_b32 exec_lo, exec_lo, s3
	v_mov_b32_e32 v2, 0
	s_clause 0x1
	s_load_b128 s[4:7], s[0:1], 0x8
	s_load_b32 s0, s[0:1], 0x68
	s_wait_dscnt 0x0
	s_barrier_signal -1
	s_barrier_wait -1
	global_inv scope:SCOPE_SE
	ds_load_b32 v1, v2
	s_wait_loadcnt_dscnt 0x0
	s_barrier_signal -1
	s_barrier_wait -1
	global_inv scope:SCOPE_SE
	s_wait_kmcnt 0x0
	global_load_b64 v[9:10], v2, s[10:11]
	s_mov_b32 s1, 0
	v_lshlrev_b32_e32 v8, 2, v0
	s_lshl_b64 s[10:11], s[6:7], 2
	s_add_co_i32 s3, s0, -1
	s_mulk_i32 s0, 0xa80
	s_add_nc_u64 s[4:5], s[4:5], s[10:11]
	s_add_co_i32 s19, s0, s6
	s_add_nc_u64 s[6:7], s[6:7], s[0:1]
	v_readfirstlane_b32 s18, v1
	v_mul_lo_u32 v1, 0xa80, v1
	v_cmp_le_u64_e64 s1, s[16:17], s[6:7]
	s_sub_co_i32 s0, s16, s19
	s_cmp_eq_u32 s18, s3
	s_cselect_b32 s7, -1, 0
	v_lshlrev_b64_e32 v[1:2], 2, v[1:2]
	s_wait_alu 0xfffe
	s_and_b32 s1, s1, s7
	s_delay_alu instid0(SALU_CYCLE_1) | instskip(SKIP_1) | instid1(VALU_DEP_1)
	s_xor_b32 s10, s1, -1
	s_mov_b32 s1, -1
	v_add_co_u32 v11, vcc_lo, s4, v1
	s_delay_alu instid0(VALU_DEP_1)
	v_add_co_ci_u32_e64 v12, null, s5, v2, vcc_lo
	s_and_b32 vcc_lo, exec_lo, s10
	s_wait_alu 0xfffe
	s_cbranch_vccz .LBB1170_6
; %bb.5:
	v_add_co_u32 v1, vcc_lo, v11, v8
	s_wait_alu 0xfffd
	v_add_co_ci_u32_e64 v2, null, 0, v12, vcc_lo
	s_mov_b32 s1, 0
	s_clause 0x6
	flat_load_b32 v3, v[1:2]
	flat_load_b32 v4, v[1:2] offset:1536
	flat_load_b32 v5, v[1:2] offset:3072
	;; [unrolled: 1-line block ×6, first 2 shown]
	s_wait_loadcnt_dscnt 0x505
	ds_store_2addr_stride64_b32 v8, v3, v4 offset1:6
	s_wait_loadcnt_dscnt 0x304
	ds_store_2addr_stride64_b32 v8, v5, v6 offset0:12 offset1:18
	s_wait_loadcnt_dscnt 0x103
	ds_store_2addr_stride64_b32 v8, v7, v13 offset0:24 offset1:30
	s_wait_loadcnt_dscnt 0x3
	ds_store_b32 v8, v1 offset:9216
	s_wait_dscnt 0x0
	s_barrier_signal -1
	s_barrier_wait -1
.LBB1170_6:
	s_and_not1_b32 vcc_lo, exec_lo, s1
	s_add_co_i32 s16, s0, 0xa80
	s_wait_alu 0xfffe
	s_cbranch_vccnz .LBB1170_22
; %bb.7:
	v_mov_b32_e32 v1, 0
	s_mov_b32 s0, exec_lo
	s_delay_alu instid0(VALU_DEP_1)
	v_dual_mov_b32 v2, v1 :: v_dual_mov_b32 v3, v1
	v_dual_mov_b32 v4, v1 :: v_dual_mov_b32 v5, v1
	;; [unrolled: 1-line block ×3, first 2 shown]
	v_cmpx_gt_u32_e64 s16, v0
	s_cbranch_execz .LBB1170_9
; %bb.8:
	v_add_co_u32 v2, vcc_lo, v11, v8
	s_wait_alu 0xfffd
	v_add_co_ci_u32_e64 v3, null, 0, v12, vcc_lo
	v_dual_mov_b32 v14, v1 :: v_dual_mov_b32 v15, v1
	v_dual_mov_b32 v16, v1 :: v_dual_mov_b32 v17, v1
	flat_load_b32 v13, v[2:3]
	v_dual_mov_b32 v18, v1 :: v_dual_mov_b32 v19, v1
	s_wait_loadcnt_dscnt 0x0
	v_dual_mov_b32 v1, v13 :: v_dual_mov_b32 v2, v14
	v_dual_mov_b32 v3, v15 :: v_dual_mov_b32 v4, v16
	s_delay_alu instid0(VALU_DEP_3)
	v_dual_mov_b32 v5, v17 :: v_dual_mov_b32 v6, v18
	v_mov_b32_e32 v7, v19
.LBB1170_9:
	s_or_b32 exec_lo, exec_lo, s0
	v_add_nc_u32_e32 v13, 0x180, v0
	s_mov_b32 s0, exec_lo
	s_delay_alu instid0(VALU_DEP_1)
	v_cmpx_gt_u32_e64 s16, v13
	s_cbranch_execz .LBB1170_11
; %bb.10:
	v_add_co_u32 v13, vcc_lo, v11, v8
	s_wait_alu 0xfffd
	v_add_co_ci_u32_e64 v14, null, 0, v12, vcc_lo
	flat_load_b32 v2, v[13:14] offset:1536
.LBB1170_11:
	s_or_b32 exec_lo, exec_lo, s0
	v_add_nc_u32_e32 v13, 0x300, v0
	s_mov_b32 s0, exec_lo
	s_delay_alu instid0(VALU_DEP_1)
	v_cmpx_gt_u32_e64 s16, v13
	s_cbranch_execz .LBB1170_13
; %bb.12:
	v_add_co_u32 v13, vcc_lo, v11, v8
	s_wait_alu 0xfffd
	v_add_co_ci_u32_e64 v14, null, 0, v12, vcc_lo
	flat_load_b32 v3, v[13:14] offset:3072
.LBB1170_13:
	;; [unrolled: 12-line block ×3, first 2 shown]
	s_or_b32 exec_lo, exec_lo, s0
	v_or_b32_e32 v13, 0x600, v0
	s_mov_b32 s0, exec_lo
	s_delay_alu instid0(VALU_DEP_1)
	v_cmpx_gt_u32_e64 s16, v13
	s_cbranch_execz .LBB1170_17
; %bb.16:
	v_add_co_u32 v13, vcc_lo, v11, v8
	s_wait_alu 0xfffd
	v_add_co_ci_u32_e64 v14, null, 0, v12, vcc_lo
	flat_load_b32 v5, v[13:14] offset:6144
.LBB1170_17:
	s_or_b32 exec_lo, exec_lo, s0
	v_add_nc_u32_e32 v13, 0x780, v0
	s_mov_b32 s0, exec_lo
	s_delay_alu instid0(VALU_DEP_1)
	v_cmpx_gt_u32_e64 s16, v13
	s_cbranch_execz .LBB1170_19
; %bb.18:
	v_add_co_u32 v13, vcc_lo, v11, v8
	s_wait_alu 0xfffd
	v_add_co_ci_u32_e64 v14, null, 0, v12, vcc_lo
	flat_load_b32 v6, v[13:14] offset:7680
.LBB1170_19:
	s_or_b32 exec_lo, exec_lo, s0
	v_add_nc_u32_e32 v13, 0x900, v0
	s_mov_b32 s0, exec_lo
	s_delay_alu instid0(VALU_DEP_1)
	v_cmpx_gt_u32_e64 s16, v13
	s_cbranch_execz .LBB1170_21
; %bb.20:
	v_add_co_u32 v11, vcc_lo, v11, v8
	s_wait_alu 0xfffd
	v_add_co_ci_u32_e64 v12, null, 0, v12, vcc_lo
	flat_load_b32 v7, v[11:12] offset:9216
.LBB1170_21:
	s_or_b32 exec_lo, exec_lo, s0
	s_wait_loadcnt_dscnt 0x0
	ds_store_2addr_stride64_b32 v8, v1, v2 offset1:6
	ds_store_2addr_stride64_b32 v8, v3, v4 offset0:12 offset1:18
	ds_store_2addr_stride64_b32 v8, v5, v6 offset0:24 offset1:30
	ds_store_b32 v8, v7 offset:9216
	s_wait_dscnt 0x0
	s_barrier_signal -1
	s_barrier_wait -1
.LBB1170_22:
	v_mul_u32_u24_e32 v1, 7, v0
	s_wait_loadcnt 0x0
	global_inv scope:SCOPE_SE
	s_and_not1_b32 vcc_lo, exec_lo, s10
	v_lshlrev_b32_e32 v32, 2, v1
	ds_load_2addr_b32 v[11:12], v32 offset0:4 offset1:5
	ds_load_b32 v33, v32 offset:24
	ds_load_2addr_b32 v[15:16], v32 offset1:1
	ds_load_2addr_b32 v[13:14], v32 offset0:2 offset1:3
	s_wait_loadcnt_dscnt 0x0
	s_barrier_signal -1
	s_barrier_wait -1
	global_inv scope:SCOPE_SE
	v_cmp_eq_u32_e64 s0, 0, v11
	v_cmp_eq_u32_e64 s1, 0, v12
	;; [unrolled: 1-line block ×7, first 2 shown]
	s_wait_alu 0xfffe
	s_cbranch_vccnz .LBB1170_24
; %bb.23:
	s_wait_alu 0xf1ff
	v_cndmask_b32_e64 v2, 0, 1, s5
	v_cndmask_b32_e64 v3, 0, 1, s6
	;; [unrolled: 1-line block ×5, first 2 shown]
	v_lshlrev_b16 v2, 8, v2
	v_lshlrev_b16 v3, 8, v3
	v_cndmask_b32_e64 v34, 0, 1, s1
	s_delay_alu instid0(VALU_DEP_3) | instskip(NEXT) | instid1(VALU_DEP_3)
	v_or_b32_e32 v2, v4, v2
	v_or_b32_e32 v3, v5, v3
	s_delay_alu instid0(VALU_DEP_2) | instskip(NEXT) | instid1(VALU_DEP_2)
	v_and_b32_e32 v2, 0xffff, v2
	v_lshlrev_b32_e32 v3, 16, v3
	s_delay_alu instid0(VALU_DEP_1)
	v_or_b32_e32 v31, v2, v3
	s_cbranch_execz .LBB1170_25
	s_branch .LBB1170_26
.LBB1170_24:
                                        ; implicit-def: $sgpr11
                                        ; implicit-def: $vgpr34
                                        ; implicit-def: $vgpr35
                                        ; implicit-def: $vgpr31
.LBB1170_25:
	v_add_nc_u32_e32 v2, 1, v1
	v_cmp_eq_u32_e32 vcc_lo, 0, v16
	v_add_nc_u32_e32 v3, 3, v1
	v_cmp_eq_u32_e64 s0, 0, v15
	v_cmp_eq_u32_e64 s3, 0, v14
	v_cmp_gt_u32_e64 s1, s16, v2
	v_add_nc_u32_e32 v2, 2, v1
	v_cmp_gt_u32_e64 s5, s16, v3
	v_cmp_eq_u32_e64 s4, 0, v13
	v_add_nc_u32_e32 v5, 5, v1
	s_and_b32 s1, s1, vcc_lo
	v_cmp_gt_u32_e32 vcc_lo, s16, v1
	s_wait_alu 0xfffe
	v_cndmask_b32_e64 v3, 0, 1, s1
	v_cmp_gt_u32_e64 s1, s16, v2
	s_and_b32 s3, s5, s3
	s_and_b32 s0, vcc_lo, s0
	v_lshlrev_b16 v3, 8, v3
	s_wait_alu 0xfffe
	v_cndmask_b32_e64 v4, 0, 1, s0
	v_cndmask_b32_e64 v2, 0, 1, s3
	s_and_b32 s0, s1, s4
	v_cmp_eq_u32_e32 vcc_lo, 0, v12
	s_wait_alu 0xfffe
	v_cndmask_b32_e64 v6, 0, 1, s0
	v_cmp_gt_u32_e64 s0, s16, v5
	v_or_b32_e32 v3, v4, v3
	v_add_nc_u32_e32 v4, 4, v1
	v_lshlrev_b16 v2, 8, v2
	v_cmp_eq_u32_e64 s1, 0, v11
	s_and_b32 s0, s0, vcc_lo
	v_add_nc_u32_e32 v1, 6, v1
	v_cmp_gt_u32_e32 vcc_lo, s16, v4
	v_or_b32_e32 v2, v6, v2
	s_wait_alu 0xfffe
	v_cndmask_b32_e64 v34, 0, 1, s0
	v_and_b32_e32 v3, 0xffff, v3
	s_and_b32 s0, vcc_lo, s1
	v_cmp_gt_u32_e32 vcc_lo, s16, v1
	s_wait_alu 0xfffe
	v_cndmask_b32_e64 v5, 0, 1, s0
	v_cmp_eq_u32_e64 s0, 0, v33
	v_lshlrev_b32_e32 v2, 16, v2
	v_lshlrev_b16 v4, 8, v34
	s_and_not1_b32 s1, s11, exec_lo
	s_and_b32 s0, vcc_lo, s0
	s_delay_alu instid0(VALU_DEP_2) | instskip(NEXT) | instid1(VALU_DEP_2)
	v_or_b32_e32 v31, v3, v2
	v_or_b32_e32 v35, v5, v4
	s_wait_alu 0xfffe
	s_and_b32 s0, s0, exec_lo
	s_wait_alu 0xfffe
	s_or_b32 s11, s1, s0
.LBB1170_26:
	s_delay_alu instid0(VALU_DEP_1)
	v_dual_mov_b32 v2, 0 :: v_dual_and_b32 v39, 0xff, v31
	v_bfe_u32 v38, v31, 8, 8
	v_cndmask_b32_e64 v1, 0, 1, s11
	v_bfe_u32 v41, v31, 16, 8
	v_lshrrev_b32_e32 v36, 24, v31
	v_and_b32_e32 v40, 0xff, v35
	v_mbcnt_lo_u32_b32 v42, -1, 0
	v_add3_u32 v1, v39, v1, v38
	v_and_b32_e32 v37, 0xff, v34
	s_cmp_lg_u32 s18, 0
	s_mov_b32 s1, -1
	v_and_b32_e32 v43, 15, v42
	v_add_co_u32 v1, s0, v1, v41
	s_wait_alu 0xf1ff
	v_add_co_ci_u32_e64 v3, null, 0, 0, s0
	s_delay_alu instid0(VALU_DEP_3) | instskip(NEXT) | instid1(VALU_DEP_3)
	v_cmp_ne_u32_e64 s0, 0, v43
	v_add_co_u32 v1, vcc_lo, v1, v36
	s_wait_alu 0xfffd
	s_delay_alu instid0(VALU_DEP_3) | instskip(NEXT) | instid1(VALU_DEP_2)
	v_add_co_ci_u32_e64 v3, null, 0, v3, vcc_lo
	v_add_co_u32 v1, vcc_lo, v1, v40
	s_wait_alu 0xfffd
	s_delay_alu instid0(VALU_DEP_2) | instskip(NEXT) | instid1(VALU_DEP_2)
	v_add_co_ci_u32_e64 v3, null, 0, v3, vcc_lo
	v_add_co_u32 v17, vcc_lo, v1, v37
	s_wait_alu 0xfffd
	s_delay_alu instid0(VALU_DEP_2)
	v_add_co_ci_u32_e64 v18, null, 0, v3, vcc_lo
	s_cbranch_scc0 .LBB1170_85
; %bb.27:
	v_mov_b32_e32 v3, v17
	v_mov_b32_dpp v1, v17 row_shr:1 row_mask:0xf bank_mask:0xf
	v_mov_b32_dpp v6, v2 row_shr:1 row_mask:0xf bank_mask:0xf
	v_dual_mov_b32 v5, v17 :: v_dual_mov_b32 v4, v18
	s_and_saveexec_b32 s1, s0
; %bb.28:
	s_delay_alu instid0(VALU_DEP_3) | instskip(SKIP_2) | instid1(VALU_DEP_2)
	v_add_co_u32 v5, vcc_lo, v17, v1
	s_wait_alu 0xfffd
	v_add_co_ci_u32_e64 v2, null, 0, v18, vcc_lo
	v_add_co_u32 v1, vcc_lo, 0, v5
	s_wait_alu 0xfffd
	s_delay_alu instid0(VALU_DEP_2) | instskip(NEXT) | instid1(VALU_DEP_1)
	v_add_co_ci_u32_e64 v2, null, v6, v2, vcc_lo
	v_dual_mov_b32 v4, v2 :: v_dual_mov_b32 v3, v1
; %bb.29:
	s_wait_alu 0xfffe
	s_or_b32 exec_lo, exec_lo, s1
	v_mov_b32_dpp v1, v5 row_shr:2 row_mask:0xf bank_mask:0xf
	v_mov_b32_dpp v6, v2 row_shr:2 row_mask:0xf bank_mask:0xf
	v_cmp_lt_u32_e32 vcc_lo, 1, v43
	s_and_saveexec_b32 s3, vcc_lo
; %bb.30:
	s_delay_alu instid0(VALU_DEP_3) | instskip(SKIP_2) | instid1(VALU_DEP_2)
	v_add_co_u32 v5, s1, v3, v1
	s_wait_alu 0xf1ff
	v_add_co_ci_u32_e64 v2, null, 0, v4, s1
	v_add_co_u32 v1, s1, 0, v5
	s_wait_alu 0xf1ff
	s_delay_alu instid0(VALU_DEP_2) | instskip(NEXT) | instid1(VALU_DEP_1)
	v_add_co_ci_u32_e64 v2, null, v6, v2, s1
	v_dual_mov_b32 v4, v2 :: v_dual_mov_b32 v3, v1
; %bb.31:
	s_wait_alu 0xfffe
	s_or_b32 exec_lo, exec_lo, s3
	v_mov_b32_dpp v1, v5 row_shr:4 row_mask:0xf bank_mask:0xf
	v_mov_b32_dpp v6, v2 row_shr:4 row_mask:0xf bank_mask:0xf
	v_cmp_lt_u32_e64 s1, 3, v43
	s_and_saveexec_b32 s4, s1
; %bb.32:
	v_add_co_u32 v5, s3, v3, v1
	s_wait_alu 0xf1ff
	v_add_co_ci_u32_e64 v2, null, 0, v4, s3
	s_delay_alu instid0(VALU_DEP_2) | instskip(SKIP_1) | instid1(VALU_DEP_2)
	v_add_co_u32 v1, s3, 0, v5
	s_wait_alu 0xf1ff
	v_add_co_ci_u32_e64 v2, null, v6, v2, s3
	s_delay_alu instid0(VALU_DEP_1)
	v_dual_mov_b32 v4, v2 :: v_dual_mov_b32 v3, v1
; %bb.33:
	s_wait_alu 0xfffe
	s_or_b32 exec_lo, exec_lo, s4
	v_mov_b32_dpp v6, v5 row_shr:8 row_mask:0xf bank_mask:0xf
	v_mov_b32_dpp v1, v2 row_shr:8 row_mask:0xf bank_mask:0xf
	v_cmp_lt_u32_e64 s3, 7, v43
	s_and_saveexec_b32 s5, s3
; %bb.34:
	v_add_co_u32 v5, s4, v3, v6
	s_wait_alu 0xf1ff
	v_add_co_ci_u32_e64 v2, null, 0, v4, s4
	s_delay_alu instid0(VALU_DEP_2) | instskip(SKIP_1) | instid1(VALU_DEP_2)
	v_add_co_u32 v3, s4, 0, v5
	s_wait_alu 0xf1ff
	v_add_co_ci_u32_e64 v4, null, v1, v2, s4
	s_delay_alu instid0(VALU_DEP_1)
	v_mov_b32_e32 v2, v4
; %bb.35:
	s_wait_alu 0xfffe
	s_or_b32 exec_lo, exec_lo, s5
	ds_swizzle_b32 v1, v5 offset:swizzle(BROADCAST,32,15)
	ds_swizzle_b32 v6, v2 offset:swizzle(BROADCAST,32,15)
	v_and_b32_e32 v7, 16, v42
	s_mov_b32 s5, exec_lo
	s_delay_alu instid0(VALU_DEP_1)
	v_cmpx_ne_u32_e32 0, v7
	s_cbranch_execz .LBB1170_37
; %bb.36:
	s_wait_dscnt 0x1
	v_add_co_u32 v5, s4, v3, v1
	s_wait_alu 0xf1ff
	v_add_co_ci_u32_e64 v2, null, 0, v4, s4
	s_delay_alu instid0(VALU_DEP_2) | instskip(SKIP_2) | instid1(VALU_DEP_2)
	v_add_co_u32 v1, s4, 0, v5
	s_wait_dscnt 0x0
	s_wait_alu 0xf1ff
	v_add_co_ci_u32_e64 v2, null, v6, v2, s4
	s_delay_alu instid0(VALU_DEP_1)
	v_dual_mov_b32 v4, v2 :: v_dual_mov_b32 v3, v1
.LBB1170_37:
	s_wait_alu 0xfffe
	s_or_b32 exec_lo, exec_lo, s5
	s_wait_dscnt 0x1
	v_and_b32_e32 v1, 0x1e0, v0
	s_mov_b32 s5, exec_lo
	s_delay_alu instid0(VALU_DEP_1) | instskip(SKIP_1) | instid1(VALU_DEP_1)
	v_min_u32_e32 v1, 0x160, v1
	s_wait_dscnt 0x0
	v_or_b32_e32 v6, 31, v1
	v_lshrrev_b32_e32 v1, 5, v0
	s_delay_alu instid0(VALU_DEP_2)
	v_cmpx_eq_u32_e64 v0, v6
; %bb.38:
	s_delay_alu instid0(VALU_DEP_2)
	v_lshlrev_b32_e32 v6, 3, v1
	ds_store_b64 v6, v[3:4]
; %bb.39:
	s_wait_alu 0xfffe
	s_or_b32 exec_lo, exec_lo, s5
	s_delay_alu instid0(SALU_CYCLE_1)
	s_mov_b32 s5, exec_lo
	s_wait_loadcnt_dscnt 0x0
	s_barrier_signal -1
	s_barrier_wait -1
	global_inv scope:SCOPE_SE
	v_cmpx_gt_u32_e32 12, v0
	s_cbranch_execz .LBB1170_49
; %bb.40:
	v_lshlrev_b32_e32 v6, 3, v0
	ds_load_b64 v[3:4], v6
	s_wait_dscnt 0x0
	v_mov_b32_dpp v19, v3 row_shr:1 row_mask:0xf bank_mask:0xf
	v_mov_b32_dpp v8, v4 row_shr:1 row_mask:0xf bank_mask:0xf
	v_mov_b32_e32 v7, v3
	s_and_saveexec_b32 s6, s0
; %bb.41:
	s_delay_alu instid0(VALU_DEP_3) | instskip(SKIP_2) | instid1(VALU_DEP_2)
	v_add_co_u32 v7, s4, v3, v19
	s_wait_alu 0xf1ff
	v_add_co_ci_u32_e64 v4, null, 0, v4, s4
	v_add_co_u32 v3, s4, 0, v7
	s_wait_alu 0xf1ff
	s_delay_alu instid0(VALU_DEP_2)
	v_add_co_ci_u32_e64 v4, null, v8, v4, s4
; %bb.42:
	s_wait_alu 0xfffe
	s_or_b32 exec_lo, exec_lo, s6
	v_mov_b32_dpp v19, v7 row_shr:2 row_mask:0xf bank_mask:0xf
	s_delay_alu instid0(VALU_DEP_2)
	v_mov_b32_dpp v8, v4 row_shr:2 row_mask:0xf bank_mask:0xf
	s_and_saveexec_b32 s4, vcc_lo
; %bb.43:
	s_delay_alu instid0(VALU_DEP_2) | instskip(SKIP_2) | instid1(VALU_DEP_2)
	v_add_co_u32 v7, vcc_lo, v3, v19
	s_wait_alu 0xfffd
	v_add_co_ci_u32_e64 v4, null, 0, v4, vcc_lo
	v_add_co_u32 v3, vcc_lo, 0, v7
	s_wait_alu 0xfffd
	s_delay_alu instid0(VALU_DEP_2)
	v_add_co_ci_u32_e64 v4, null, v8, v4, vcc_lo
; %bb.44:
	s_wait_alu 0xfffe
	s_or_b32 exec_lo, exec_lo, s4
	v_mov_b32_dpp v19, v7 row_shr:4 row_mask:0xf bank_mask:0xf
	s_delay_alu instid0(VALU_DEP_2)
	v_mov_b32_dpp v8, v4 row_shr:4 row_mask:0xf bank_mask:0xf
	s_and_saveexec_b32 s4, s1
; %bb.45:
	s_delay_alu instid0(VALU_DEP_2) | instskip(SKIP_2) | instid1(VALU_DEP_2)
	v_add_co_u32 v7, vcc_lo, v3, v19
	s_wait_alu 0xfffd
	v_add_co_ci_u32_e64 v4, null, 0, v4, vcc_lo
	v_add_co_u32 v3, vcc_lo, 0, v7
	s_wait_alu 0xfffd
	s_delay_alu instid0(VALU_DEP_2)
	v_add_co_ci_u32_e64 v4, null, v8, v4, vcc_lo
; %bb.46:
	s_wait_alu 0xfffe
	s_or_b32 exec_lo, exec_lo, s4
	v_mov_b32_dpp v8, v7 row_shr:8 row_mask:0xf bank_mask:0xf
	s_delay_alu instid0(VALU_DEP_2)
	v_mov_b32_dpp v7, v4 row_shr:8 row_mask:0xf bank_mask:0xf
	s_and_saveexec_b32 s1, s3
; %bb.47:
	s_delay_alu instid0(VALU_DEP_2) | instskip(SKIP_2) | instid1(VALU_DEP_2)
	v_add_co_u32 v3, vcc_lo, v3, v8
	s_wait_alu 0xfffd
	v_add_co_ci_u32_e64 v4, null, 0, v4, vcc_lo
	v_add_co_u32 v3, vcc_lo, v3, 0
	s_wait_alu 0xfffd
	s_delay_alu instid0(VALU_DEP_2)
	v_add_co_ci_u32_e64 v4, null, v4, v7, vcc_lo
; %bb.48:
	s_wait_alu 0xfffe
	s_or_b32 exec_lo, exec_lo, s1
	ds_store_b64 v6, v[3:4]
.LBB1170_49:
	s_wait_alu 0xfffe
	s_or_b32 exec_lo, exec_lo, s5
	s_delay_alu instid0(SALU_CYCLE_1)
	s_mov_b32 s3, exec_lo
	v_cmp_gt_u32_e32 vcc_lo, 32, v0
	s_wait_loadcnt_dscnt 0x0
	s_barrier_signal -1
	s_barrier_wait -1
	global_inv scope:SCOPE_SE
                                        ; implicit-def: $vgpr19_vgpr20
	v_cmpx_lt_u32_e32 31, v0
	s_cbranch_execz .LBB1170_51
; %bb.50:
	v_lshl_add_u32 v1, v1, 3, -8
	ds_load_b64 v[19:20], v1
	s_wait_dscnt 0x0
	v_add_co_u32 v5, s1, v5, v19
	s_wait_alu 0xf1ff
	v_add_co_ci_u32_e64 v2, null, v2, v20, s1
.LBB1170_51:
	s_wait_alu 0xfffe
	s_or_b32 exec_lo, exec_lo, s3
	v_sub_co_u32 v1, s1, v42, 1
	s_delay_alu instid0(VALU_DEP_1) | instskip(SKIP_1) | instid1(VALU_DEP_1)
	v_cmp_gt_i32_e64 s3, 0, v1
	s_wait_alu 0xf1ff
	v_cndmask_b32_e64 v1, v1, v42, s3
	s_delay_alu instid0(VALU_DEP_1)
	v_lshlrev_b32_e32 v1, 2, v1
	ds_bpermute_b32 v25, v1, v5
	ds_bpermute_b32 v26, v1, v2
	s_and_saveexec_b32 s3, vcc_lo
	s_cbranch_execz .LBB1170_90
; %bb.52:
	v_mov_b32_e32 v4, 0
	ds_load_b64 v[1:2], v4 offset:88
	s_and_saveexec_b32 s4, s1
	s_cbranch_execz .LBB1170_54
; %bb.53:
	s_add_co_i32 s16, s18, 32
	s_mov_b32 s17, 0
	s_wait_alu 0xfffe
	s_lshl_b64 s[16:17], s[16:17], 4
	s_wait_alu 0xfffe
	s_add_nc_u64 s[16:17], s[14:15], s[16:17]
	v_mov_b32_e32 v3, 1
	s_wait_alu 0xfffe
	v_dual_mov_b32 v5, s16 :: v_dual_mov_b32 v6, s17
	s_wait_dscnt 0x0
	;;#ASMSTART
	global_store_b128 v[5:6], v[1:4] off scope:SCOPE_DEV	
s_wait_storecnt 0x0
	;;#ASMEND
.LBB1170_54:
	s_wait_alu 0xfffe
	s_or_b32 exec_lo, exec_lo, s4
	v_xad_u32 v21, v42, -1, s18
	s_mov_b32 s5, 0
	s_mov_b32 s4, exec_lo
	s_delay_alu instid0(VALU_DEP_1) | instskip(NEXT) | instid1(VALU_DEP_1)
	v_add_nc_u32_e32 v3, 32, v21
	v_lshlrev_b64_e32 v[3:4], 4, v[3:4]
	s_delay_alu instid0(VALU_DEP_1) | instskip(SKIP_1) | instid1(VALU_DEP_2)
	v_add_co_u32 v3, vcc_lo, s14, v3
	s_wait_alu 0xfffd
	v_add_co_ci_u32_e64 v4, null, s15, v4, vcc_lo
	;;#ASMSTART
	global_load_b128 v[5:8], v[3:4] off scope:SCOPE_DEV	
s_wait_loadcnt 0x0
	;;#ASMEND
	v_and_b32_e32 v8, 0xff, v7
	s_delay_alu instid0(VALU_DEP_1)
	v_cmpx_eq_u16_e32 0, v8
	s_cbranch_execz .LBB1170_57
.LBB1170_55:                            ; =>This Inner Loop Header: Depth=1
	;;#ASMSTART
	global_load_b128 v[5:8], v[3:4] off scope:SCOPE_DEV	
s_wait_loadcnt 0x0
	;;#ASMEND
	v_and_b32_e32 v8, 0xff, v7
	s_delay_alu instid0(VALU_DEP_1)
	v_cmp_ne_u16_e32 vcc_lo, 0, v8
	s_wait_alu 0xfffe
	s_or_b32 s5, vcc_lo, s5
	s_wait_alu 0xfffe
	s_and_not1_b32 exec_lo, exec_lo, s5
	s_cbranch_execnz .LBB1170_55
; %bb.56:
	s_or_b32 exec_lo, exec_lo, s5
.LBB1170_57:
	s_wait_alu 0xfffe
	s_or_b32 exec_lo, exec_lo, s4
	v_cmp_ne_u32_e32 vcc_lo, 31, v42
	v_and_b32_e32 v4, 0xff, v7
	v_lshlrev_b32_e64 v28, v42, -1
	s_mov_b32 s4, exec_lo
	s_wait_alu 0xfffd
	v_add_co_ci_u32_e64 v3, null, 0, v42, vcc_lo
	v_cmp_eq_u16_e32 vcc_lo, 2, v4
	s_delay_alu instid0(VALU_DEP_2)
	v_dual_mov_b32 v4, v5 :: v_dual_lshlrev_b32 v27, 2, v3
	s_wait_alu 0xfffd
	v_and_or_b32 v3, vcc_lo, v28, 0x80000000
	ds_bpermute_b32 v22, v27, v5
	ds_bpermute_b32 v8, v27, v6
	v_ctz_i32_b32_e32 v3, v3
	s_delay_alu instid0(VALU_DEP_1)
	v_cmpx_lt_u32_e64 v42, v3
	s_cbranch_execz .LBB1170_59
; %bb.58:
	s_wait_dscnt 0x1
	v_add_co_u32 v4, vcc_lo, v5, v22
	s_wait_alu 0xfffd
	v_add_co_ci_u32_e64 v6, null, 0, v6, vcc_lo
	s_delay_alu instid0(VALU_DEP_2) | instskip(SKIP_2) | instid1(VALU_DEP_2)
	v_add_co_u32 v5, vcc_lo, 0, v4
	s_wait_dscnt 0x0
	s_wait_alu 0xfffd
	v_add_co_ci_u32_e64 v6, null, v8, v6, vcc_lo
.LBB1170_59:
	s_wait_alu 0xfffe
	s_or_b32 exec_lo, exec_lo, s4
	v_cmp_gt_u32_e32 vcc_lo, 30, v42
	v_add_nc_u32_e32 v30, 2, v42
	s_mov_b32 s4, exec_lo
	s_wait_dscnt 0x0
	s_wait_alu 0xfffd
	v_cndmask_b32_e64 v8, 0, 2, vcc_lo
	s_delay_alu instid0(VALU_DEP_1)
	v_add_lshl_u32 v29, v8, v42, 2
	ds_bpermute_b32 v22, v29, v4
	ds_bpermute_b32 v8, v29, v6
	v_cmpx_le_u32_e64 v30, v3
	s_cbranch_execz .LBB1170_61
; %bb.60:
	s_wait_dscnt 0x1
	v_add_co_u32 v4, vcc_lo, v5, v22
	s_wait_alu 0xfffd
	v_add_co_ci_u32_e64 v6, null, 0, v6, vcc_lo
	s_delay_alu instid0(VALU_DEP_2) | instskip(SKIP_2) | instid1(VALU_DEP_2)
	v_add_co_u32 v5, vcc_lo, 0, v4
	s_wait_dscnt 0x0
	s_wait_alu 0xfffd
	v_add_co_ci_u32_e64 v6, null, v8, v6, vcc_lo
.LBB1170_61:
	s_wait_alu 0xfffe
	s_or_b32 exec_lo, exec_lo, s4
	v_cmp_gt_u32_e32 vcc_lo, 28, v42
	v_add_nc_u32_e32 v45, 4, v42
	s_mov_b32 s4, exec_lo
	s_wait_dscnt 0x0
	s_wait_alu 0xfffd
	v_cndmask_b32_e64 v8, 0, 4, vcc_lo
	s_delay_alu instid0(VALU_DEP_1)
	v_add_lshl_u32 v44, v8, v42, 2
	ds_bpermute_b32 v22, v44, v4
	ds_bpermute_b32 v8, v44, v6
	v_cmpx_le_u32_e64 v45, v3
	;; [unrolled: 25-line block ×3, first 2 shown]
	s_cbranch_execz .LBB1170_65
; %bb.64:
	s_wait_dscnt 0x1
	v_add_co_u32 v4, vcc_lo, v5, v22
	s_wait_alu 0xfffd
	v_add_co_ci_u32_e64 v6, null, 0, v6, vcc_lo
	s_delay_alu instid0(VALU_DEP_2) | instskip(SKIP_2) | instid1(VALU_DEP_2)
	v_add_co_u32 v5, vcc_lo, 0, v4
	s_wait_dscnt 0x0
	s_wait_alu 0xfffd
	v_add_co_ci_u32_e64 v6, null, v8, v6, vcc_lo
.LBB1170_65:
	s_wait_alu 0xfffe
	s_or_b32 exec_lo, exec_lo, s4
	v_lshl_or_b32 v48, v42, 2, 64
	v_add_nc_u32_e32 v49, 16, v42
	s_mov_b32 s4, exec_lo
	s_wait_dscnt 0x0
	ds_bpermute_b32 v8, v48, v4
	ds_bpermute_b32 v4, v48, v6
	v_cmpx_le_u32_e64 v49, v3
	s_cbranch_execz .LBB1170_67
; %bb.66:
	s_wait_dscnt 0x1
	v_add_co_u32 v3, vcc_lo, v5, v8
	s_wait_alu 0xfffd
	v_add_co_ci_u32_e64 v6, null, 0, v6, vcc_lo
	s_delay_alu instid0(VALU_DEP_2) | instskip(SKIP_2) | instid1(VALU_DEP_2)
	v_add_co_u32 v5, vcc_lo, v3, 0
	s_wait_dscnt 0x0
	s_wait_alu 0xfffd
	v_add_co_ci_u32_e64 v6, null, v6, v4, vcc_lo
.LBB1170_67:
	s_wait_alu 0xfffe
	s_or_b32 exec_lo, exec_lo, s4
	v_mov_b32_e32 v22, 0
	s_branch .LBB1170_70
.LBB1170_68:                            ;   in Loop: Header=BB1170_70 Depth=1
	s_wait_alu 0xfffe
	s_or_b32 exec_lo, exec_lo, s4
	v_add_co_u32 v5, vcc_lo, v5, v3
	v_subrev_nc_u32_e32 v21, 32, v21
	s_wait_alu 0xfffd
	v_add_co_ci_u32_e64 v6, null, v6, v4, vcc_lo
	s_mov_b32 s4, 0
.LBB1170_69:                            ;   in Loop: Header=BB1170_70 Depth=1
	s_wait_alu 0xfffe
	s_and_b32 vcc_lo, exec_lo, s4
	s_wait_alu 0xfffe
	s_cbranch_vccnz .LBB1170_86
.LBB1170_70:                            ; =>This Loop Header: Depth=1
                                        ;     Child Loop BB1170_73 Depth 2
	v_and_b32_e32 v3, 0xff, v7
	s_mov_b32 s4, -1
	s_delay_alu instid0(VALU_DEP_1)
	v_cmp_ne_u16_e32 vcc_lo, 2, v3
	s_wait_dscnt 0x0
	v_dual_mov_b32 v3, v5 :: v_dual_mov_b32 v4, v6
                                        ; implicit-def: $vgpr5_vgpr6
	s_cmp_lg_u32 vcc_lo, exec_lo
	s_cbranch_scc1 .LBB1170_69
; %bb.71:                               ;   in Loop: Header=BB1170_70 Depth=1
	v_lshlrev_b64_e32 v[5:6], 4, v[21:22]
	s_mov_b32 s4, exec_lo
	s_delay_alu instid0(VALU_DEP_1) | instskip(SKIP_1) | instid1(VALU_DEP_2)
	v_add_co_u32 v23, vcc_lo, s14, v5
	s_wait_alu 0xfffd
	v_add_co_ci_u32_e64 v24, null, s15, v6, vcc_lo
	;;#ASMSTART
	global_load_b128 v[5:8], v[23:24] off scope:SCOPE_DEV	
s_wait_loadcnt 0x0
	;;#ASMEND
	v_and_b32_e32 v8, 0xff, v7
	s_delay_alu instid0(VALU_DEP_1)
	v_cmpx_eq_u16_e32 0, v8
	s_cbranch_execz .LBB1170_75
; %bb.72:                               ;   in Loop: Header=BB1170_70 Depth=1
	s_mov_b32 s5, 0
.LBB1170_73:                            ;   Parent Loop BB1170_70 Depth=1
                                        ; =>  This Inner Loop Header: Depth=2
	;;#ASMSTART
	global_load_b128 v[5:8], v[23:24] off scope:SCOPE_DEV	
s_wait_loadcnt 0x0
	;;#ASMEND
	v_and_b32_e32 v8, 0xff, v7
	s_delay_alu instid0(VALU_DEP_1)
	v_cmp_ne_u16_e32 vcc_lo, 0, v8
	s_wait_alu 0xfffe
	s_or_b32 s5, vcc_lo, s5
	s_wait_alu 0xfffe
	s_and_not1_b32 exec_lo, exec_lo, s5
	s_cbranch_execnz .LBB1170_73
; %bb.74:                               ;   in Loop: Header=BB1170_70 Depth=1
	s_or_b32 exec_lo, exec_lo, s5
.LBB1170_75:                            ;   in Loop: Header=BB1170_70 Depth=1
	s_wait_alu 0xfffe
	s_or_b32 exec_lo, exec_lo, s4
	v_dual_mov_b32 v23, v5 :: v_dual_and_b32 v8, 0xff, v7
	ds_bpermute_b32 v50, v27, v5
	ds_bpermute_b32 v24, v27, v6
	s_mov_b32 s4, exec_lo
	v_cmp_eq_u16_e32 vcc_lo, 2, v8
	s_wait_alu 0xfffd
	v_and_or_b32 v8, vcc_lo, v28, 0x80000000
	s_delay_alu instid0(VALU_DEP_1) | instskip(NEXT) | instid1(VALU_DEP_1)
	v_ctz_i32_b32_e32 v8, v8
	v_cmpx_lt_u32_e64 v42, v8
	s_cbranch_execz .LBB1170_77
; %bb.76:                               ;   in Loop: Header=BB1170_70 Depth=1
	s_wait_dscnt 0x1
	v_add_co_u32 v23, vcc_lo, v5, v50
	s_wait_alu 0xfffd
	v_add_co_ci_u32_e64 v6, null, 0, v6, vcc_lo
	s_delay_alu instid0(VALU_DEP_2) | instskip(SKIP_2) | instid1(VALU_DEP_2)
	v_add_co_u32 v5, vcc_lo, 0, v23
	s_wait_dscnt 0x0
	s_wait_alu 0xfffd
	v_add_co_ci_u32_e64 v6, null, v24, v6, vcc_lo
.LBB1170_77:                            ;   in Loop: Header=BB1170_70 Depth=1
	s_wait_alu 0xfffe
	s_or_b32 exec_lo, exec_lo, s4
	s_wait_dscnt 0x1
	ds_bpermute_b32 v50, v29, v23
	s_wait_dscnt 0x1
	ds_bpermute_b32 v24, v29, v6
	s_mov_b32 s4, exec_lo
	v_cmpx_le_u32_e64 v30, v8
	s_cbranch_execz .LBB1170_79
; %bb.78:                               ;   in Loop: Header=BB1170_70 Depth=1
	s_wait_dscnt 0x1
	v_add_co_u32 v23, vcc_lo, v5, v50
	s_wait_alu 0xfffd
	v_add_co_ci_u32_e64 v6, null, 0, v6, vcc_lo
	s_delay_alu instid0(VALU_DEP_2) | instskip(SKIP_2) | instid1(VALU_DEP_2)
	v_add_co_u32 v5, vcc_lo, 0, v23
	s_wait_dscnt 0x0
	s_wait_alu 0xfffd
	v_add_co_ci_u32_e64 v6, null, v24, v6, vcc_lo
.LBB1170_79:                            ;   in Loop: Header=BB1170_70 Depth=1
	s_wait_alu 0xfffe
	s_or_b32 exec_lo, exec_lo, s4
	s_wait_dscnt 0x1
	ds_bpermute_b32 v50, v44, v23
	s_wait_dscnt 0x1
	ds_bpermute_b32 v24, v44, v6
	s_mov_b32 s4, exec_lo
	v_cmpx_le_u32_e64 v45, v8
	;; [unrolled: 20-line block ×3, first 2 shown]
	s_cbranch_execz .LBB1170_83
; %bb.82:                               ;   in Loop: Header=BB1170_70 Depth=1
	s_wait_dscnt 0x1
	v_add_co_u32 v23, vcc_lo, v5, v50
	s_wait_alu 0xfffd
	v_add_co_ci_u32_e64 v6, null, 0, v6, vcc_lo
	s_delay_alu instid0(VALU_DEP_2) | instskip(SKIP_2) | instid1(VALU_DEP_2)
	v_add_co_u32 v5, vcc_lo, 0, v23
	s_wait_dscnt 0x0
	s_wait_alu 0xfffd
	v_add_co_ci_u32_e64 v6, null, v24, v6, vcc_lo
.LBB1170_83:                            ;   in Loop: Header=BB1170_70 Depth=1
	s_wait_alu 0xfffe
	s_or_b32 exec_lo, exec_lo, s4
	s_wait_dscnt 0x0
	ds_bpermute_b32 v24, v48, v23
	ds_bpermute_b32 v23, v48, v6
	s_mov_b32 s4, exec_lo
	v_cmpx_le_u32_e64 v49, v8
	s_cbranch_execz .LBB1170_68
; %bb.84:                               ;   in Loop: Header=BB1170_70 Depth=1
	s_wait_dscnt 0x1
	v_add_co_u32 v5, vcc_lo, v5, v24
	s_wait_alu 0xfffd
	v_add_co_ci_u32_e64 v6, null, 0, v6, vcc_lo
	s_delay_alu instid0(VALU_DEP_2) | instskip(SKIP_2) | instid1(VALU_DEP_2)
	v_add_co_u32 v5, vcc_lo, v5, 0
	s_wait_dscnt 0x0
	s_wait_alu 0xfffd
	v_add_co_ci_u32_e64 v6, null, v6, v23, vcc_lo
	s_branch .LBB1170_68
.LBB1170_85:
                                        ; implicit-def: $vgpr19_vgpr20
                                        ; implicit-def: $vgpr6_vgpr7
                                        ; implicit-def: $vgpr21_vgpr22
                                        ; implicit-def: $vgpr23_vgpr24
                                        ; implicit-def: $vgpr25_vgpr26
                                        ; implicit-def: $vgpr27_vgpr28
                                        ; implicit-def: $vgpr29_vgpr30
                                        ; implicit-def: $vgpr4_vgpr5
	s_wait_alu 0xfffe
	s_and_b32 vcc_lo, exec_lo, s1
	s_wait_alu 0xfffe
	s_cbranch_vccnz .LBB1170_91
	s_branch .LBB1170_118
.LBB1170_86:
	s_and_saveexec_b32 s4, s1
	s_cbranch_execz .LBB1170_88
; %bb.87:
	s_add_co_i32 s16, s18, 32
	s_mov_b32 s17, 0
	v_add_co_u32 v5, vcc_lo, v3, v1
	s_wait_alu 0xfffe
	s_lshl_b64 s[16:17], s[16:17], 4
	v_dual_mov_b32 v7, 2 :: v_dual_mov_b32 v8, 0
	s_wait_alu 0xfffe
	s_add_nc_u64 s[16:17], s[14:15], s[16:17]
	s_wait_alu 0xfffd
	v_add_co_ci_u32_e64 v6, null, v4, v2, vcc_lo
	s_wait_alu 0xfffe
	v_dual_mov_b32 v22, s17 :: v_dual_mov_b32 v21, s16
	;;#ASMSTART
	global_store_b128 v[21:22], v[5:8] off scope:SCOPE_DEV	
s_wait_storecnt 0x0
	;;#ASMEND
	ds_store_b128 v8, v[1:4] offset:10752
.LBB1170_88:
	s_wait_alu 0xfffe
	s_or_b32 exec_lo, exec_lo, s4
	s_delay_alu instid0(SALU_CYCLE_1)
	s_and_b32 exec_lo, exec_lo, s2
; %bb.89:
	v_mov_b32_e32 v1, 0
	ds_store_b64 v1, v[3:4] offset:88
.LBB1170_90:
	s_wait_alu 0xfffe
	s_or_b32 exec_lo, exec_lo, s3
	v_mov_b32_e32 v3, 0
	s_wait_loadcnt_dscnt 0x0
	s_barrier_signal -1
	s_barrier_wait -1
	global_inv scope:SCOPE_SE
	ds_load_b64 v[1:2], v3 offset:88
	v_cndmask_b32_e64 v4, v25, v19, s1
	v_cndmask_b32_e64 v5, v26, v20, s1
	s_wait_loadcnt_dscnt 0x0
	s_barrier_signal -1
	s_barrier_wait -1
	v_cndmask_b32_e64 v4, v4, 0, s2
	v_cndmask_b32_e64 v5, v5, 0, s2
	global_inv scope:SCOPE_SE
	v_add_co_u32 v29, vcc_lo, v1, v4
	s_wait_alu 0xfffd
	v_add_co_ci_u32_e64 v30, null, v2, v5, vcc_lo
	ds_load_b128 v[2:5], v3 offset:10752
	v_add_co_u32 v27, vcc_lo, v29, v39
	s_wait_alu 0xfffd
	v_add_co_ci_u32_e64 v28, null, 0, v30, vcc_lo
	s_delay_alu instid0(VALU_DEP_2) | instskip(SKIP_1) | instid1(VALU_DEP_2)
	v_add_co_u32 v25, vcc_lo, v27, v38
	s_wait_alu 0xfffd
	v_add_co_ci_u32_e64 v26, null, 0, v28, vcc_lo
	s_delay_alu instid0(VALU_DEP_2) | instskip(SKIP_1) | instid1(VALU_DEP_2)
	;; [unrolled: 4-line block ×5, first 2 shown]
	v_add_co_u32 v19, vcc_lo, v6, v37
	s_wait_alu 0xfffd
	v_add_co_ci_u32_e64 v20, null, 0, v7, vcc_lo
	s_branch .LBB1170_118
.LBB1170_91:
	s_wait_dscnt 0x0
	v_dual_mov_b32 v2, 0 :: v_dual_mov_b32 v3, v17
	v_mov_b32_dpp v4, v17 row_shr:1 row_mask:0xf bank_mask:0xf
	s_delay_alu instid0(VALU_DEP_2)
	v_mov_b32_dpp v1, v2 row_shr:1 row_mask:0xf bank_mask:0xf
	s_and_saveexec_b32 s1, s0
; %bb.92:
	s_delay_alu instid0(VALU_DEP_2) | instskip(SKIP_2) | instid1(VALU_DEP_2)
	v_add_co_u32 v3, vcc_lo, v17, v4
	s_wait_alu 0xfffd
	v_add_co_ci_u32_e64 v2, null, 0, v18, vcc_lo
	v_add_co_u32 v17, vcc_lo, 0, v3
	s_wait_alu 0xfffd
	s_delay_alu instid0(VALU_DEP_2) | instskip(NEXT) | instid1(VALU_DEP_1)
	v_add_co_ci_u32_e64 v18, null, v1, v2, vcc_lo
	v_mov_b32_e32 v2, v18
; %bb.93:
	s_wait_alu 0xfffe
	s_or_b32 exec_lo, exec_lo, s1
	v_mov_b32_dpp v1, v3 row_shr:2 row_mask:0xf bank_mask:0xf
	s_delay_alu instid0(VALU_DEP_2)
	v_mov_b32_dpp v4, v2 row_shr:2 row_mask:0xf bank_mask:0xf
	v_cmp_lt_u32_e32 vcc_lo, 1, v43
	s_and_saveexec_b32 s3, vcc_lo
; %bb.94:
	s_delay_alu instid0(VALU_DEP_3) | instskip(SKIP_2) | instid1(VALU_DEP_2)
	v_add_co_u32 v3, s1, v17, v1
	s_wait_alu 0xf1ff
	v_add_co_ci_u32_e64 v2, null, 0, v18, s1
	v_add_co_u32 v1, s1, 0, v3
	s_wait_alu 0xf1ff
	s_delay_alu instid0(VALU_DEP_2) | instskip(NEXT) | instid1(VALU_DEP_1)
	v_add_co_ci_u32_e64 v2, null, v4, v2, s1
	v_dual_mov_b32 v18, v2 :: v_dual_mov_b32 v17, v1
; %bb.95:
	s_wait_alu 0xfffe
	s_or_b32 exec_lo, exec_lo, s3
	v_mov_b32_dpp v1, v3 row_shr:4 row_mask:0xf bank_mask:0xf
	v_mov_b32_dpp v4, v2 row_shr:4 row_mask:0xf bank_mask:0xf
	v_cmp_lt_u32_e64 s1, 3, v43
	s_and_saveexec_b32 s4, s1
; %bb.96:
	v_add_co_u32 v3, s3, v17, v1
	s_wait_alu 0xf1ff
	v_add_co_ci_u32_e64 v2, null, 0, v18, s3
	s_delay_alu instid0(VALU_DEP_2) | instskip(SKIP_1) | instid1(VALU_DEP_2)
	v_add_co_u32 v1, s3, 0, v3
	s_wait_alu 0xf1ff
	v_add_co_ci_u32_e64 v2, null, v4, v2, s3
	s_delay_alu instid0(VALU_DEP_1)
	v_dual_mov_b32 v18, v2 :: v_dual_mov_b32 v17, v1
; %bb.97:
	s_wait_alu 0xfffe
	s_or_b32 exec_lo, exec_lo, s4
	v_mov_b32_dpp v4, v3 row_shr:8 row_mask:0xf bank_mask:0xf
	v_mov_b32_dpp v1, v2 row_shr:8 row_mask:0xf bank_mask:0xf
	v_cmp_lt_u32_e64 s3, 7, v43
	s_and_saveexec_b32 s5, s3
; %bb.98:
	v_add_co_u32 v3, s4, v17, v4
	s_wait_alu 0xf1ff
	v_add_co_ci_u32_e64 v2, null, 0, v18, s4
	s_delay_alu instid0(VALU_DEP_2) | instskip(SKIP_1) | instid1(VALU_DEP_2)
	v_add_co_u32 v17, s4, 0, v3
	s_wait_alu 0xf1ff
	v_add_co_ci_u32_e64 v18, null, v1, v2, s4
	s_delay_alu instid0(VALU_DEP_1)
	v_mov_b32_e32 v2, v18
; %bb.99:
	s_wait_alu 0xfffe
	s_or_b32 exec_lo, exec_lo, s5
	ds_swizzle_b32 v3, v3 offset:swizzle(BROADCAST,32,15)
	ds_swizzle_b32 v1, v2 offset:swizzle(BROADCAST,32,15)
	v_and_b32_e32 v2, 16, v42
	s_mov_b32 s5, exec_lo
	s_delay_alu instid0(VALU_DEP_1)
	v_cmpx_ne_u32_e32 0, v2
	s_cbranch_execz .LBB1170_101
; %bb.100:
	s_wait_dscnt 0x1
	v_add_co_u32 v2, s4, v17, v3
	s_wait_alu 0xf1ff
	v_add_co_ci_u32_e64 v3, null, 0, v18, s4
	s_delay_alu instid0(VALU_DEP_2) | instskip(SKIP_2) | instid1(VALU_DEP_2)
	v_add_co_u32 v17, s4, v2, 0
	s_wait_dscnt 0x0
	s_wait_alu 0xf1ff
	v_add_co_ci_u32_e64 v18, null, v3, v1, s4
.LBB1170_101:
	s_wait_alu 0xfffe
	s_or_b32 exec_lo, exec_lo, s5
	s_wait_dscnt 0x0
	v_and_b32_e32 v1, 0x1e0, v0
	v_lshrrev_b32_e32 v3, 5, v0
	s_mov_b32 s5, exec_lo
	s_delay_alu instid0(VALU_DEP_2) | instskip(NEXT) | instid1(VALU_DEP_1)
	v_min_u32_e32 v1, 0x160, v1
	v_or_b32_e32 v1, 31, v1
	s_delay_alu instid0(VALU_DEP_1)
	v_cmpx_eq_u32_e64 v0, v1
; %bb.102:
	v_lshlrev_b32_e32 v1, 3, v3
	ds_store_b64 v1, v[17:18]
; %bb.103:
	s_wait_alu 0xfffe
	s_or_b32 exec_lo, exec_lo, s5
	s_delay_alu instid0(SALU_CYCLE_1)
	s_mov_b32 s5, exec_lo
	s_wait_loadcnt_dscnt 0x0
	s_barrier_signal -1
	s_barrier_wait -1
	global_inv scope:SCOPE_SE
	v_cmpx_gt_u32_e32 12, v0
	s_cbranch_execz .LBB1170_113
; %bb.104:
	v_mad_i32_i24 v1, 0xffffffec, v0, v32
	ds_load_b64 v[1:2], v1
	s_wait_dscnt 0x0
	v_mov_b32_dpp v6, v1 row_shr:1 row_mask:0xf bank_mask:0xf
	v_mov_b32_dpp v5, v2 row_shr:1 row_mask:0xf bank_mask:0xf
	v_mov_b32_e32 v4, v1
	s_and_saveexec_b32 s4, s0
; %bb.105:
	s_delay_alu instid0(VALU_DEP_3) | instskip(SKIP_2) | instid1(VALU_DEP_2)
	v_add_co_u32 v4, s0, v1, v6
	s_wait_alu 0xf1ff
	v_add_co_ci_u32_e64 v2, null, 0, v2, s0
	v_add_co_u32 v1, s0, 0, v4
	s_wait_alu 0xf1ff
	s_delay_alu instid0(VALU_DEP_2)
	v_add_co_ci_u32_e64 v2, null, v5, v2, s0
; %bb.106:
	s_wait_alu 0xfffe
	s_or_b32 exec_lo, exec_lo, s4
	v_mov_b32_dpp v6, v4 row_shr:2 row_mask:0xf bank_mask:0xf
	s_delay_alu instid0(VALU_DEP_2)
	v_mov_b32_dpp v5, v2 row_shr:2 row_mask:0xf bank_mask:0xf
	s_and_saveexec_b32 s0, vcc_lo
; %bb.107:
	s_delay_alu instid0(VALU_DEP_2) | instskip(SKIP_2) | instid1(VALU_DEP_2)
	v_add_co_u32 v4, vcc_lo, v1, v6
	s_wait_alu 0xfffd
	v_add_co_ci_u32_e64 v2, null, 0, v2, vcc_lo
	v_add_co_u32 v1, vcc_lo, 0, v4
	s_wait_alu 0xfffd
	s_delay_alu instid0(VALU_DEP_2)
	v_add_co_ci_u32_e64 v2, null, v5, v2, vcc_lo
; %bb.108:
	s_wait_alu 0xfffe
	s_or_b32 exec_lo, exec_lo, s0
	v_mov_b32_dpp v6, v4 row_shr:4 row_mask:0xf bank_mask:0xf
	s_delay_alu instid0(VALU_DEP_2)
	v_mov_b32_dpp v5, v2 row_shr:4 row_mask:0xf bank_mask:0xf
	s_and_saveexec_b32 s0, s1
; %bb.109:
	s_delay_alu instid0(VALU_DEP_2) | instskip(SKIP_2) | instid1(VALU_DEP_2)
	v_add_co_u32 v4, vcc_lo, v1, v6
	s_wait_alu 0xfffd
	v_add_co_ci_u32_e64 v2, null, 0, v2, vcc_lo
	v_add_co_u32 v1, vcc_lo, 0, v4
	s_wait_alu 0xfffd
	s_delay_alu instid0(VALU_DEP_2)
	v_add_co_ci_u32_e64 v2, null, v5, v2, vcc_lo
; %bb.110:
	s_wait_alu 0xfffe
	s_or_b32 exec_lo, exec_lo, s0
	v_mul_i32_i24_e32 v5, 0xffffffec, v0
	v_mov_b32_dpp v6, v4 row_shr:8 row_mask:0xf bank_mask:0xf
	v_mov_b32_dpp v4, v2 row_shr:8 row_mask:0xf bank_mask:0xf
	s_and_saveexec_b32 s0, s3
; %bb.111:
	s_delay_alu instid0(VALU_DEP_2) | instskip(SKIP_2) | instid1(VALU_DEP_2)
	v_add_co_u32 v1, vcc_lo, v1, v6
	s_wait_alu 0xfffd
	v_add_co_ci_u32_e64 v2, null, 0, v2, vcc_lo
	v_add_co_u32 v1, vcc_lo, v1, 0
	s_wait_alu 0xfffd
	s_delay_alu instid0(VALU_DEP_2)
	v_add_co_ci_u32_e64 v2, null, v2, v4, vcc_lo
; %bb.112:
	s_wait_alu 0xfffe
	s_or_b32 exec_lo, exec_lo, s0
	v_add_nc_u32_e32 v4, v32, v5
	ds_store_b64 v4, v[1:2]
.LBB1170_113:
	s_wait_alu 0xfffe
	s_or_b32 exec_lo, exec_lo, s5
	v_mov_b32_e32 v6, 0
	v_mov_b32_e32 v7, 0
	s_mov_b32 s0, exec_lo
	s_wait_loadcnt_dscnt 0x0
	s_barrier_signal -1
	s_barrier_wait -1
	global_inv scope:SCOPE_SE
	v_cmpx_lt_u32_e32 31, v0
; %bb.114:
	v_lshl_add_u32 v1, v3, 3, -8
	ds_load_b64 v[6:7], v1
; %bb.115:
	s_wait_alu 0xfffe
	s_or_b32 exec_lo, exec_lo, s0
	v_sub_co_u32 v1, vcc_lo, v42, 1
	v_mov_b32_e32 v5, 0
	s_delay_alu instid0(VALU_DEP_2) | instskip(SKIP_1) | instid1(VALU_DEP_1)
	v_cmp_gt_i32_e64 s0, 0, v1
	s_wait_alu 0xf1ff
	v_cndmask_b32_e64 v1, v1, v42, s0
	s_delay_alu instid0(VALU_DEP_1)
	v_lshlrev_b32_e32 v2, 2, v1
	s_wait_dscnt 0x0
	v_add_co_u32 v1, s0, v6, v17
	s_wait_alu 0xf1ff
	v_add_co_ci_u32_e64 v3, null, v7, v18, s0
	ds_bpermute_b32 v1, v2, v1
	ds_bpermute_b32 v8, v2, v3
	ds_load_b64 v[2:3], v5 offset:88
	s_and_saveexec_b32 s0, s2
	s_cbranch_execz .LBB1170_117
; %bb.116:
	s_add_nc_u64 s[4:5], s[14:15], 0x200
	v_mov_b32_e32 v4, 2
	s_wait_alu 0xfffe
	v_dual_mov_b32 v18, s5 :: v_dual_mov_b32 v17, s4
	s_wait_dscnt 0x0
	;;#ASMSTART
	global_store_b128 v[17:18], v[2:5] off scope:SCOPE_DEV	
s_wait_storecnt 0x0
	;;#ASMEND
.LBB1170_117:
	s_wait_alu 0xfffe
	s_or_b32 exec_lo, exec_lo, s0
	s_wait_dscnt 0x1
	s_wait_alu 0xfffd
	v_dual_cndmask_b32 v1, v1, v6 :: v_dual_cndmask_b32 v4, v8, v7
	s_wait_loadcnt_dscnt 0x0
	s_barrier_signal -1
	s_barrier_wait -1
	s_delay_alu instid0(VALU_DEP_1)
	v_cndmask_b32_e64 v29, v1, 0, s2
	v_cndmask_b32_e64 v30, v4, 0, s2
	v_mov_b32_e32 v4, 0
	v_mov_b32_e32 v5, 0
	global_inv scope:SCOPE_SE
	v_add_co_u32 v27, vcc_lo, v29, v39
	s_wait_alu 0xfffd
	v_add_co_ci_u32_e64 v28, null, 0, v30, vcc_lo
	s_delay_alu instid0(VALU_DEP_2) | instskip(SKIP_1) | instid1(VALU_DEP_2)
	v_add_co_u32 v25, vcc_lo, v27, v38
	s_wait_alu 0xfffd
	v_add_co_ci_u32_e64 v26, null, 0, v28, vcc_lo
	s_delay_alu instid0(VALU_DEP_2) | instskip(SKIP_1) | instid1(VALU_DEP_2)
	;; [unrolled: 4-line block ×5, first 2 shown]
	v_add_co_u32 v19, vcc_lo, v6, v37
	s_wait_alu 0xfffd
	v_add_co_ci_u32_e64 v20, null, 0, v7, vcc_lo
.LBB1170_118:
	v_and_b32_e32 v37, 1, v31
	s_wait_dscnt 0x0
	v_cmp_gt_u64_e32 vcc_lo, 0x181, v[2:3]
	v_lshlrev_b64_e32 v[17:18], 2, v[9:10]
	v_lshrrev_b32_e32 v8, 8, v31
	v_lshrrev_b32_e32 v1, 16, v31
	v_cmp_eq_u32_e64 s0, 1, v37
	s_mov_b32 s1, -1
	s_cbranch_vccnz .LBB1170_122
; %bb.119:
	s_wait_alu 0xfffe
	s_and_b32 vcc_lo, exec_lo, s1
	s_wait_alu 0xfffe
	s_cbranch_vccnz .LBB1170_137
.LBB1170_120:
	s_and_b32 s0, s2, s7
	s_wait_alu 0xfffe
	s_and_saveexec_b32 s1, s0
	s_cbranch_execnz .LBB1170_154
.LBB1170_121:
	s_endpgm
.LBB1170_122:
	v_add_co_u32 v31, vcc_lo, v4, v2
	s_wait_alu 0xfffd
	v_add_co_ci_u32_e64 v32, null, v5, v3, vcc_lo
	v_add_co_u32 v38, s1, s12, v17
	s_wait_alu 0xf1fe
	v_add_co_ci_u32_e64 v39, null, s13, v18, s1
	s_delay_alu instid0(VALU_DEP_3)
	v_cmp_lt_u64_e32 vcc_lo, v[29:30], v[31:32]
	s_or_b32 s1, s10, vcc_lo
	s_wait_alu 0xfffe
	s_and_b32 s1, s1, s0
	s_wait_alu 0xfffe
	s_and_saveexec_b32 s0, s1
	s_cbranch_execz .LBB1170_124
; %bb.123:
	v_lshlrev_b64_e32 v[40:41], 2, v[29:30]
	s_delay_alu instid0(VALU_DEP_1) | instskip(SKIP_1) | instid1(VALU_DEP_2)
	v_add_co_u32 v40, vcc_lo, v38, v40
	s_wait_alu 0xfffd
	v_add_co_ci_u32_e64 v41, null, v39, v41, vcc_lo
	global_store_b32 v[40:41], v15, off
.LBB1170_124:
	s_wait_alu 0xfffe
	s_or_b32 exec_lo, exec_lo, s0
	v_and_b32_e32 v30, 1, v8
	v_cmp_lt_u64_e32 vcc_lo, v[27:28], v[31:32]
	s_delay_alu instid0(VALU_DEP_2)
	v_cmp_eq_u32_e64 s0, 1, v30
	s_or_b32 s1, s10, vcc_lo
	s_wait_alu 0xfffe
	s_and_b32 s1, s1, s0
	s_wait_alu 0xfffe
	s_and_saveexec_b32 s0, s1
	s_cbranch_execz .LBB1170_126
; %bb.125:
	v_lshlrev_b64_e32 v[40:41], 2, v[27:28]
	s_delay_alu instid0(VALU_DEP_1) | instskip(SKIP_1) | instid1(VALU_DEP_2)
	v_add_co_u32 v40, vcc_lo, v38, v40
	s_wait_alu 0xfffd
	v_add_co_ci_u32_e64 v41, null, v39, v41, vcc_lo
	global_store_b32 v[40:41], v16, off
.LBB1170_126:
	s_wait_alu 0xfffe
	s_or_b32 exec_lo, exec_lo, s0
	v_and_b32_e32 v28, 1, v1
	v_cmp_lt_u64_e32 vcc_lo, v[25:26], v[31:32]
	s_delay_alu instid0(VALU_DEP_2)
	v_cmp_eq_u32_e64 s0, 1, v28
	;; [unrolled: 20-line block ×5, first 2 shown]
	s_or_b32 s1, s10, vcc_lo
	s_wait_alu 0xfffe
	s_and_b32 s1, s1, s0
	s_wait_alu 0xfffe
	s_and_saveexec_b32 s0, s1
	s_cbranch_execz .LBB1170_134
; %bb.133:
	v_lshlrev_b64_e32 v[40:41], 2, v[6:7]
	s_delay_alu instid0(VALU_DEP_1) | instskip(SKIP_1) | instid1(VALU_DEP_2)
	v_add_co_u32 v40, vcc_lo, v38, v40
	s_wait_alu 0xfffd
	v_add_co_ci_u32_e64 v41, null, v39, v41, vcc_lo
	global_store_b32 v[40:41], v12, off
.LBB1170_134:
	s_wait_alu 0xfffe
	s_or_b32 exec_lo, exec_lo, s0
	v_cmp_lt_u64_e32 vcc_lo, v[19:20], v[31:32]
	s_or_b32 s0, s10, vcc_lo
	s_wait_alu 0xfffe
	s_and_b32 s1, s0, s11
	s_wait_alu 0xfffe
	s_and_saveexec_b32 s0, s1
	s_cbranch_execz .LBB1170_136
; %bb.135:
	v_lshlrev_b64_e32 v[30:31], 2, v[19:20]
	s_delay_alu instid0(VALU_DEP_1) | instskip(SKIP_1) | instid1(VALU_DEP_2)
	v_add_co_u32 v30, vcc_lo, v38, v30
	s_wait_alu 0xfffd
	v_add_co_ci_u32_e64 v31, null, v39, v31, vcc_lo
	global_store_b32 v[30:31], v33, off
.LBB1170_136:
	s_wait_alu 0xfffe
	s_or_b32 exec_lo, exec_lo, s0
	s_branch .LBB1170_120
.LBB1170_137:
	s_mov_b32 s0, exec_lo
	v_cmpx_eq_u32_e32 1, v37
; %bb.138:
	v_sub_nc_u32_e32 v7, v29, v4
	s_delay_alu instid0(VALU_DEP_1)
	v_lshlrev_b32_e32 v7, 2, v7
	ds_store_b32 v7, v15
; %bb.139:
	s_wait_alu 0xfffe
	s_or_b32 exec_lo, exec_lo, s0
	v_and_b32_e32 v7, 1, v8
	s_mov_b32 s0, exec_lo
	s_delay_alu instid0(VALU_DEP_1)
	v_cmpx_eq_u32_e32 1, v7
; %bb.140:
	v_sub_nc_u32_e32 v7, v27, v4
	s_delay_alu instid0(VALU_DEP_1)
	v_lshlrev_b32_e32 v7, 2, v7
	ds_store_b32 v7, v16
; %bb.141:
	s_wait_alu 0xfffe
	s_or_b32 exec_lo, exec_lo, s0
	v_and_b32_e32 v1, 1, v1
	s_mov_b32 s0, exec_lo
	s_delay_alu instid0(VALU_DEP_1)
	;; [unrolled: 12-line block ×5, first 2 shown]
	v_cmpx_eq_u32_e32 1, v1
; %bb.148:
	v_sub_nc_u32_e32 v1, v6, v4
	s_delay_alu instid0(VALU_DEP_1)
	v_lshlrev_b32_e32 v1, 2, v1
	ds_store_b32 v1, v12
; %bb.149:
	s_wait_alu 0xfffe
	s_or_b32 exec_lo, exec_lo, s0
	s_and_saveexec_b32 s0, s11
; %bb.150:
	v_sub_nc_u32_e32 v1, v19, v4
	s_delay_alu instid0(VALU_DEP_1)
	v_lshlrev_b32_e32 v1, 2, v1
	ds_store_b32 v1, v33
; %bb.151:
	s_wait_alu 0xfffe
	s_or_b32 exec_lo, exec_lo, s0
	v_lshlrev_b64_e32 v[11:12], 2, v[4:5]
	v_add_co_u32 v8, vcc_lo, s12, v17
	v_mov_b32_e32 v1, 0
	s_wait_alu 0xfffd
	v_add_co_ci_u32_e64 v13, null, s13, v18, vcc_lo
	s_delay_alu instid0(VALU_DEP_3) | instskip(NEXT) | instid1(VALU_DEP_3)
	v_add_co_u32 v8, vcc_lo, v8, v11
	v_dual_mov_b32 v7, v1 :: v_dual_mov_b32 v6, v0
	s_wait_alu 0xfffd
	s_delay_alu instid0(VALU_DEP_3)
	v_add_co_ci_u32_e64 v11, null, v13, v12, vcc_lo
	v_add_nc_u32_e32 v0, 0x180, v0
	s_mov_b32 s1, 0
	s_wait_storecnt 0x0
	s_wait_loadcnt_dscnt 0x0
	s_barrier_signal -1
	s_barrier_wait -1
	global_inv scope:SCOPE_SE
.LBB1170_152:                           ; =>This Inner Loop Header: Depth=1
	v_lshlrev_b32_e32 v12, 2, v6
	v_cmp_le_u64_e32 vcc_lo, v[2:3], v[0:1]
	ds_load_b32 v14, v12
	v_lshlrev_b64_e32 v[12:13], 2, v[6:7]
	v_dual_mov_b32 v7, v1 :: v_dual_mov_b32 v6, v0
	v_add_nc_u32_e32 v0, 0x180, v0
	s_wait_alu 0xfffe
	s_or_b32 s1, vcc_lo, s1
	s_delay_alu instid0(VALU_DEP_3)
	v_add_co_u32 v12, s0, v8, v12
	s_wait_alu 0xf1ff
	v_add_co_ci_u32_e64 v13, null, v11, v13, s0
	s_wait_dscnt 0x0
	global_store_b32 v[12:13], v14, off
	s_wait_alu 0xfffe
	s_and_not1_b32 exec_lo, exec_lo, s1
	s_cbranch_execnz .LBB1170_152
; %bb.153:
	s_or_b32 exec_lo, exec_lo, s1
	s_and_b32 s0, s2, s7
	s_wait_alu 0xfffe
	s_and_saveexec_b32 s1, s0
	s_cbranch_execz .LBB1170_121
.LBB1170_154:
	v_add_co_u32 v0, vcc_lo, v4, v2
	s_wait_alu 0xfffd
	v_add_co_ci_u32_e64 v1, null, v5, v3, vcc_lo
	v_mov_b32_e32 v2, 0
	s_delay_alu instid0(VALU_DEP_3) | instskip(SKIP_1) | instid1(VALU_DEP_3)
	v_add_co_u32 v0, vcc_lo, v0, v9
	s_wait_alu 0xfffd
	v_add_co_ci_u32_e64 v1, null, v1, v10, vcc_lo
	global_store_b64 v2, v[0:1], s[8:9]
	s_endpgm
	.section	.rodata,"a",@progbits
	.p2align	6, 0x0
	.amdhsa_kernel _ZN7rocprim17ROCPRIM_400000_NS6detail17trampoline_kernelINS0_14default_configENS1_25partition_config_selectorILNS1_17partition_subalgoE6EjNS0_10empty_typeEbEEZZNS1_14partition_implILS5_6ELb0ES3_mN6thrust23THRUST_200600_302600_NS6detail15normal_iteratorINSA_10device_ptrIjEEEEPS6_SG_NS0_5tupleIJSF_S6_EEENSH_IJSG_SG_EEES6_PlJNSB_9not_fun_tI7is_trueIjEEEEEE10hipError_tPvRmT3_T4_T5_T6_T7_T9_mT8_P12ihipStream_tbDpT10_ENKUlT_T0_E_clISt17integral_constantIbLb0EES17_IbLb1EEEEDaS13_S14_EUlS13_E_NS1_11comp_targetILNS1_3genE10ELNS1_11target_archE1200ELNS1_3gpuE4ELNS1_3repE0EEENS1_30default_config_static_selectorELNS0_4arch9wavefront6targetE0EEEvT1_
		.amdhsa_group_segment_fixed_size 10768
		.amdhsa_private_segment_fixed_size 0
		.amdhsa_kernarg_size 128
		.amdhsa_user_sgpr_count 2
		.amdhsa_user_sgpr_dispatch_ptr 0
		.amdhsa_user_sgpr_queue_ptr 0
		.amdhsa_user_sgpr_kernarg_segment_ptr 1
		.amdhsa_user_sgpr_dispatch_id 0
		.amdhsa_user_sgpr_private_segment_size 0
		.amdhsa_wavefront_size32 1
		.amdhsa_uses_dynamic_stack 0
		.amdhsa_enable_private_segment 0
		.amdhsa_system_sgpr_workgroup_id_x 1
		.amdhsa_system_sgpr_workgroup_id_y 0
		.amdhsa_system_sgpr_workgroup_id_z 0
		.amdhsa_system_sgpr_workgroup_info 0
		.amdhsa_system_vgpr_workitem_id 0
		.amdhsa_next_free_vgpr 51
		.amdhsa_next_free_sgpr 20
		.amdhsa_reserve_vcc 1
		.amdhsa_float_round_mode_32 0
		.amdhsa_float_round_mode_16_64 0
		.amdhsa_float_denorm_mode_32 3
		.amdhsa_float_denorm_mode_16_64 3
		.amdhsa_fp16_overflow 0
		.amdhsa_workgroup_processor_mode 1
		.amdhsa_memory_ordered 1
		.amdhsa_forward_progress 1
		.amdhsa_inst_pref_size 60
		.amdhsa_round_robin_scheduling 0
		.amdhsa_exception_fp_ieee_invalid_op 0
		.amdhsa_exception_fp_denorm_src 0
		.amdhsa_exception_fp_ieee_div_zero 0
		.amdhsa_exception_fp_ieee_overflow 0
		.amdhsa_exception_fp_ieee_underflow 0
		.amdhsa_exception_fp_ieee_inexact 0
		.amdhsa_exception_int_div_zero 0
	.end_amdhsa_kernel
	.section	.text._ZN7rocprim17ROCPRIM_400000_NS6detail17trampoline_kernelINS0_14default_configENS1_25partition_config_selectorILNS1_17partition_subalgoE6EjNS0_10empty_typeEbEEZZNS1_14partition_implILS5_6ELb0ES3_mN6thrust23THRUST_200600_302600_NS6detail15normal_iteratorINSA_10device_ptrIjEEEEPS6_SG_NS0_5tupleIJSF_S6_EEENSH_IJSG_SG_EEES6_PlJNSB_9not_fun_tI7is_trueIjEEEEEE10hipError_tPvRmT3_T4_T5_T6_T7_T9_mT8_P12ihipStream_tbDpT10_ENKUlT_T0_E_clISt17integral_constantIbLb0EES17_IbLb1EEEEDaS13_S14_EUlS13_E_NS1_11comp_targetILNS1_3genE10ELNS1_11target_archE1200ELNS1_3gpuE4ELNS1_3repE0EEENS1_30default_config_static_selectorELNS0_4arch9wavefront6targetE0EEEvT1_,"axG",@progbits,_ZN7rocprim17ROCPRIM_400000_NS6detail17trampoline_kernelINS0_14default_configENS1_25partition_config_selectorILNS1_17partition_subalgoE6EjNS0_10empty_typeEbEEZZNS1_14partition_implILS5_6ELb0ES3_mN6thrust23THRUST_200600_302600_NS6detail15normal_iteratorINSA_10device_ptrIjEEEEPS6_SG_NS0_5tupleIJSF_S6_EEENSH_IJSG_SG_EEES6_PlJNSB_9not_fun_tI7is_trueIjEEEEEE10hipError_tPvRmT3_T4_T5_T6_T7_T9_mT8_P12ihipStream_tbDpT10_ENKUlT_T0_E_clISt17integral_constantIbLb0EES17_IbLb1EEEEDaS13_S14_EUlS13_E_NS1_11comp_targetILNS1_3genE10ELNS1_11target_archE1200ELNS1_3gpuE4ELNS1_3repE0EEENS1_30default_config_static_selectorELNS0_4arch9wavefront6targetE0EEEvT1_,comdat
.Lfunc_end1170:
	.size	_ZN7rocprim17ROCPRIM_400000_NS6detail17trampoline_kernelINS0_14default_configENS1_25partition_config_selectorILNS1_17partition_subalgoE6EjNS0_10empty_typeEbEEZZNS1_14partition_implILS5_6ELb0ES3_mN6thrust23THRUST_200600_302600_NS6detail15normal_iteratorINSA_10device_ptrIjEEEEPS6_SG_NS0_5tupleIJSF_S6_EEENSH_IJSG_SG_EEES6_PlJNSB_9not_fun_tI7is_trueIjEEEEEE10hipError_tPvRmT3_T4_T5_T6_T7_T9_mT8_P12ihipStream_tbDpT10_ENKUlT_T0_E_clISt17integral_constantIbLb0EES17_IbLb1EEEEDaS13_S14_EUlS13_E_NS1_11comp_targetILNS1_3genE10ELNS1_11target_archE1200ELNS1_3gpuE4ELNS1_3repE0EEENS1_30default_config_static_selectorELNS0_4arch9wavefront6targetE0EEEvT1_, .Lfunc_end1170-_ZN7rocprim17ROCPRIM_400000_NS6detail17trampoline_kernelINS0_14default_configENS1_25partition_config_selectorILNS1_17partition_subalgoE6EjNS0_10empty_typeEbEEZZNS1_14partition_implILS5_6ELb0ES3_mN6thrust23THRUST_200600_302600_NS6detail15normal_iteratorINSA_10device_ptrIjEEEEPS6_SG_NS0_5tupleIJSF_S6_EEENSH_IJSG_SG_EEES6_PlJNSB_9not_fun_tI7is_trueIjEEEEEE10hipError_tPvRmT3_T4_T5_T6_T7_T9_mT8_P12ihipStream_tbDpT10_ENKUlT_T0_E_clISt17integral_constantIbLb0EES17_IbLb1EEEEDaS13_S14_EUlS13_E_NS1_11comp_targetILNS1_3genE10ELNS1_11target_archE1200ELNS1_3gpuE4ELNS1_3repE0EEENS1_30default_config_static_selectorELNS0_4arch9wavefront6targetE0EEEvT1_
                                        ; -- End function
	.set _ZN7rocprim17ROCPRIM_400000_NS6detail17trampoline_kernelINS0_14default_configENS1_25partition_config_selectorILNS1_17partition_subalgoE6EjNS0_10empty_typeEbEEZZNS1_14partition_implILS5_6ELb0ES3_mN6thrust23THRUST_200600_302600_NS6detail15normal_iteratorINSA_10device_ptrIjEEEEPS6_SG_NS0_5tupleIJSF_S6_EEENSH_IJSG_SG_EEES6_PlJNSB_9not_fun_tI7is_trueIjEEEEEE10hipError_tPvRmT3_T4_T5_T6_T7_T9_mT8_P12ihipStream_tbDpT10_ENKUlT_T0_E_clISt17integral_constantIbLb0EES17_IbLb1EEEEDaS13_S14_EUlS13_E_NS1_11comp_targetILNS1_3genE10ELNS1_11target_archE1200ELNS1_3gpuE4ELNS1_3repE0EEENS1_30default_config_static_selectorELNS0_4arch9wavefront6targetE0EEEvT1_.num_vgpr, 51
	.set _ZN7rocprim17ROCPRIM_400000_NS6detail17trampoline_kernelINS0_14default_configENS1_25partition_config_selectorILNS1_17partition_subalgoE6EjNS0_10empty_typeEbEEZZNS1_14partition_implILS5_6ELb0ES3_mN6thrust23THRUST_200600_302600_NS6detail15normal_iteratorINSA_10device_ptrIjEEEEPS6_SG_NS0_5tupleIJSF_S6_EEENSH_IJSG_SG_EEES6_PlJNSB_9not_fun_tI7is_trueIjEEEEEE10hipError_tPvRmT3_T4_T5_T6_T7_T9_mT8_P12ihipStream_tbDpT10_ENKUlT_T0_E_clISt17integral_constantIbLb0EES17_IbLb1EEEEDaS13_S14_EUlS13_E_NS1_11comp_targetILNS1_3genE10ELNS1_11target_archE1200ELNS1_3gpuE4ELNS1_3repE0EEENS1_30default_config_static_selectorELNS0_4arch9wavefront6targetE0EEEvT1_.num_agpr, 0
	.set _ZN7rocprim17ROCPRIM_400000_NS6detail17trampoline_kernelINS0_14default_configENS1_25partition_config_selectorILNS1_17partition_subalgoE6EjNS0_10empty_typeEbEEZZNS1_14partition_implILS5_6ELb0ES3_mN6thrust23THRUST_200600_302600_NS6detail15normal_iteratorINSA_10device_ptrIjEEEEPS6_SG_NS0_5tupleIJSF_S6_EEENSH_IJSG_SG_EEES6_PlJNSB_9not_fun_tI7is_trueIjEEEEEE10hipError_tPvRmT3_T4_T5_T6_T7_T9_mT8_P12ihipStream_tbDpT10_ENKUlT_T0_E_clISt17integral_constantIbLb0EES17_IbLb1EEEEDaS13_S14_EUlS13_E_NS1_11comp_targetILNS1_3genE10ELNS1_11target_archE1200ELNS1_3gpuE4ELNS1_3repE0EEENS1_30default_config_static_selectorELNS0_4arch9wavefront6targetE0EEEvT1_.numbered_sgpr, 20
	.set _ZN7rocprim17ROCPRIM_400000_NS6detail17trampoline_kernelINS0_14default_configENS1_25partition_config_selectorILNS1_17partition_subalgoE6EjNS0_10empty_typeEbEEZZNS1_14partition_implILS5_6ELb0ES3_mN6thrust23THRUST_200600_302600_NS6detail15normal_iteratorINSA_10device_ptrIjEEEEPS6_SG_NS0_5tupleIJSF_S6_EEENSH_IJSG_SG_EEES6_PlJNSB_9not_fun_tI7is_trueIjEEEEEE10hipError_tPvRmT3_T4_T5_T6_T7_T9_mT8_P12ihipStream_tbDpT10_ENKUlT_T0_E_clISt17integral_constantIbLb0EES17_IbLb1EEEEDaS13_S14_EUlS13_E_NS1_11comp_targetILNS1_3genE10ELNS1_11target_archE1200ELNS1_3gpuE4ELNS1_3repE0EEENS1_30default_config_static_selectorELNS0_4arch9wavefront6targetE0EEEvT1_.num_named_barrier, 0
	.set _ZN7rocprim17ROCPRIM_400000_NS6detail17trampoline_kernelINS0_14default_configENS1_25partition_config_selectorILNS1_17partition_subalgoE6EjNS0_10empty_typeEbEEZZNS1_14partition_implILS5_6ELb0ES3_mN6thrust23THRUST_200600_302600_NS6detail15normal_iteratorINSA_10device_ptrIjEEEEPS6_SG_NS0_5tupleIJSF_S6_EEENSH_IJSG_SG_EEES6_PlJNSB_9not_fun_tI7is_trueIjEEEEEE10hipError_tPvRmT3_T4_T5_T6_T7_T9_mT8_P12ihipStream_tbDpT10_ENKUlT_T0_E_clISt17integral_constantIbLb0EES17_IbLb1EEEEDaS13_S14_EUlS13_E_NS1_11comp_targetILNS1_3genE10ELNS1_11target_archE1200ELNS1_3gpuE4ELNS1_3repE0EEENS1_30default_config_static_selectorELNS0_4arch9wavefront6targetE0EEEvT1_.private_seg_size, 0
	.set _ZN7rocprim17ROCPRIM_400000_NS6detail17trampoline_kernelINS0_14default_configENS1_25partition_config_selectorILNS1_17partition_subalgoE6EjNS0_10empty_typeEbEEZZNS1_14partition_implILS5_6ELb0ES3_mN6thrust23THRUST_200600_302600_NS6detail15normal_iteratorINSA_10device_ptrIjEEEEPS6_SG_NS0_5tupleIJSF_S6_EEENSH_IJSG_SG_EEES6_PlJNSB_9not_fun_tI7is_trueIjEEEEEE10hipError_tPvRmT3_T4_T5_T6_T7_T9_mT8_P12ihipStream_tbDpT10_ENKUlT_T0_E_clISt17integral_constantIbLb0EES17_IbLb1EEEEDaS13_S14_EUlS13_E_NS1_11comp_targetILNS1_3genE10ELNS1_11target_archE1200ELNS1_3gpuE4ELNS1_3repE0EEENS1_30default_config_static_selectorELNS0_4arch9wavefront6targetE0EEEvT1_.uses_vcc, 1
	.set _ZN7rocprim17ROCPRIM_400000_NS6detail17trampoline_kernelINS0_14default_configENS1_25partition_config_selectorILNS1_17partition_subalgoE6EjNS0_10empty_typeEbEEZZNS1_14partition_implILS5_6ELb0ES3_mN6thrust23THRUST_200600_302600_NS6detail15normal_iteratorINSA_10device_ptrIjEEEEPS6_SG_NS0_5tupleIJSF_S6_EEENSH_IJSG_SG_EEES6_PlJNSB_9not_fun_tI7is_trueIjEEEEEE10hipError_tPvRmT3_T4_T5_T6_T7_T9_mT8_P12ihipStream_tbDpT10_ENKUlT_T0_E_clISt17integral_constantIbLb0EES17_IbLb1EEEEDaS13_S14_EUlS13_E_NS1_11comp_targetILNS1_3genE10ELNS1_11target_archE1200ELNS1_3gpuE4ELNS1_3repE0EEENS1_30default_config_static_selectorELNS0_4arch9wavefront6targetE0EEEvT1_.uses_flat_scratch, 1
	.set _ZN7rocprim17ROCPRIM_400000_NS6detail17trampoline_kernelINS0_14default_configENS1_25partition_config_selectorILNS1_17partition_subalgoE6EjNS0_10empty_typeEbEEZZNS1_14partition_implILS5_6ELb0ES3_mN6thrust23THRUST_200600_302600_NS6detail15normal_iteratorINSA_10device_ptrIjEEEEPS6_SG_NS0_5tupleIJSF_S6_EEENSH_IJSG_SG_EEES6_PlJNSB_9not_fun_tI7is_trueIjEEEEEE10hipError_tPvRmT3_T4_T5_T6_T7_T9_mT8_P12ihipStream_tbDpT10_ENKUlT_T0_E_clISt17integral_constantIbLb0EES17_IbLb1EEEEDaS13_S14_EUlS13_E_NS1_11comp_targetILNS1_3genE10ELNS1_11target_archE1200ELNS1_3gpuE4ELNS1_3repE0EEENS1_30default_config_static_selectorELNS0_4arch9wavefront6targetE0EEEvT1_.has_dyn_sized_stack, 0
	.set _ZN7rocprim17ROCPRIM_400000_NS6detail17trampoline_kernelINS0_14default_configENS1_25partition_config_selectorILNS1_17partition_subalgoE6EjNS0_10empty_typeEbEEZZNS1_14partition_implILS5_6ELb0ES3_mN6thrust23THRUST_200600_302600_NS6detail15normal_iteratorINSA_10device_ptrIjEEEEPS6_SG_NS0_5tupleIJSF_S6_EEENSH_IJSG_SG_EEES6_PlJNSB_9not_fun_tI7is_trueIjEEEEEE10hipError_tPvRmT3_T4_T5_T6_T7_T9_mT8_P12ihipStream_tbDpT10_ENKUlT_T0_E_clISt17integral_constantIbLb0EES17_IbLb1EEEEDaS13_S14_EUlS13_E_NS1_11comp_targetILNS1_3genE10ELNS1_11target_archE1200ELNS1_3gpuE4ELNS1_3repE0EEENS1_30default_config_static_selectorELNS0_4arch9wavefront6targetE0EEEvT1_.has_recursion, 0
	.set _ZN7rocprim17ROCPRIM_400000_NS6detail17trampoline_kernelINS0_14default_configENS1_25partition_config_selectorILNS1_17partition_subalgoE6EjNS0_10empty_typeEbEEZZNS1_14partition_implILS5_6ELb0ES3_mN6thrust23THRUST_200600_302600_NS6detail15normal_iteratorINSA_10device_ptrIjEEEEPS6_SG_NS0_5tupleIJSF_S6_EEENSH_IJSG_SG_EEES6_PlJNSB_9not_fun_tI7is_trueIjEEEEEE10hipError_tPvRmT3_T4_T5_T6_T7_T9_mT8_P12ihipStream_tbDpT10_ENKUlT_T0_E_clISt17integral_constantIbLb0EES17_IbLb1EEEEDaS13_S14_EUlS13_E_NS1_11comp_targetILNS1_3genE10ELNS1_11target_archE1200ELNS1_3gpuE4ELNS1_3repE0EEENS1_30default_config_static_selectorELNS0_4arch9wavefront6targetE0EEEvT1_.has_indirect_call, 0
	.section	.AMDGPU.csdata,"",@progbits
; Kernel info:
; codeLenInByte = 7624
; TotalNumSgprs: 22
; NumVgprs: 51
; ScratchSize: 0
; MemoryBound: 0
; FloatMode: 240
; IeeeMode: 1
; LDSByteSize: 10768 bytes/workgroup (compile time only)
; SGPRBlocks: 0
; VGPRBlocks: 6
; NumSGPRsForWavesPerEU: 22
; NumVGPRsForWavesPerEU: 51
; Occupancy: 15
; WaveLimiterHint : 1
; COMPUTE_PGM_RSRC2:SCRATCH_EN: 0
; COMPUTE_PGM_RSRC2:USER_SGPR: 2
; COMPUTE_PGM_RSRC2:TRAP_HANDLER: 0
; COMPUTE_PGM_RSRC2:TGID_X_EN: 1
; COMPUTE_PGM_RSRC2:TGID_Y_EN: 0
; COMPUTE_PGM_RSRC2:TGID_Z_EN: 0
; COMPUTE_PGM_RSRC2:TIDIG_COMP_CNT: 0
	.section	.text._ZN7rocprim17ROCPRIM_400000_NS6detail17trampoline_kernelINS0_14default_configENS1_25partition_config_selectorILNS1_17partition_subalgoE6EjNS0_10empty_typeEbEEZZNS1_14partition_implILS5_6ELb0ES3_mN6thrust23THRUST_200600_302600_NS6detail15normal_iteratorINSA_10device_ptrIjEEEEPS6_SG_NS0_5tupleIJSF_S6_EEENSH_IJSG_SG_EEES6_PlJNSB_9not_fun_tI7is_trueIjEEEEEE10hipError_tPvRmT3_T4_T5_T6_T7_T9_mT8_P12ihipStream_tbDpT10_ENKUlT_T0_E_clISt17integral_constantIbLb0EES17_IbLb1EEEEDaS13_S14_EUlS13_E_NS1_11comp_targetILNS1_3genE9ELNS1_11target_archE1100ELNS1_3gpuE3ELNS1_3repE0EEENS1_30default_config_static_selectorELNS0_4arch9wavefront6targetE0EEEvT1_,"axG",@progbits,_ZN7rocprim17ROCPRIM_400000_NS6detail17trampoline_kernelINS0_14default_configENS1_25partition_config_selectorILNS1_17partition_subalgoE6EjNS0_10empty_typeEbEEZZNS1_14partition_implILS5_6ELb0ES3_mN6thrust23THRUST_200600_302600_NS6detail15normal_iteratorINSA_10device_ptrIjEEEEPS6_SG_NS0_5tupleIJSF_S6_EEENSH_IJSG_SG_EEES6_PlJNSB_9not_fun_tI7is_trueIjEEEEEE10hipError_tPvRmT3_T4_T5_T6_T7_T9_mT8_P12ihipStream_tbDpT10_ENKUlT_T0_E_clISt17integral_constantIbLb0EES17_IbLb1EEEEDaS13_S14_EUlS13_E_NS1_11comp_targetILNS1_3genE9ELNS1_11target_archE1100ELNS1_3gpuE3ELNS1_3repE0EEENS1_30default_config_static_selectorELNS0_4arch9wavefront6targetE0EEEvT1_,comdat
	.protected	_ZN7rocprim17ROCPRIM_400000_NS6detail17trampoline_kernelINS0_14default_configENS1_25partition_config_selectorILNS1_17partition_subalgoE6EjNS0_10empty_typeEbEEZZNS1_14partition_implILS5_6ELb0ES3_mN6thrust23THRUST_200600_302600_NS6detail15normal_iteratorINSA_10device_ptrIjEEEEPS6_SG_NS0_5tupleIJSF_S6_EEENSH_IJSG_SG_EEES6_PlJNSB_9not_fun_tI7is_trueIjEEEEEE10hipError_tPvRmT3_T4_T5_T6_T7_T9_mT8_P12ihipStream_tbDpT10_ENKUlT_T0_E_clISt17integral_constantIbLb0EES17_IbLb1EEEEDaS13_S14_EUlS13_E_NS1_11comp_targetILNS1_3genE9ELNS1_11target_archE1100ELNS1_3gpuE3ELNS1_3repE0EEENS1_30default_config_static_selectorELNS0_4arch9wavefront6targetE0EEEvT1_ ; -- Begin function _ZN7rocprim17ROCPRIM_400000_NS6detail17trampoline_kernelINS0_14default_configENS1_25partition_config_selectorILNS1_17partition_subalgoE6EjNS0_10empty_typeEbEEZZNS1_14partition_implILS5_6ELb0ES3_mN6thrust23THRUST_200600_302600_NS6detail15normal_iteratorINSA_10device_ptrIjEEEEPS6_SG_NS0_5tupleIJSF_S6_EEENSH_IJSG_SG_EEES6_PlJNSB_9not_fun_tI7is_trueIjEEEEEE10hipError_tPvRmT3_T4_T5_T6_T7_T9_mT8_P12ihipStream_tbDpT10_ENKUlT_T0_E_clISt17integral_constantIbLb0EES17_IbLb1EEEEDaS13_S14_EUlS13_E_NS1_11comp_targetILNS1_3genE9ELNS1_11target_archE1100ELNS1_3gpuE3ELNS1_3repE0EEENS1_30default_config_static_selectorELNS0_4arch9wavefront6targetE0EEEvT1_
	.globl	_ZN7rocprim17ROCPRIM_400000_NS6detail17trampoline_kernelINS0_14default_configENS1_25partition_config_selectorILNS1_17partition_subalgoE6EjNS0_10empty_typeEbEEZZNS1_14partition_implILS5_6ELb0ES3_mN6thrust23THRUST_200600_302600_NS6detail15normal_iteratorINSA_10device_ptrIjEEEEPS6_SG_NS0_5tupleIJSF_S6_EEENSH_IJSG_SG_EEES6_PlJNSB_9not_fun_tI7is_trueIjEEEEEE10hipError_tPvRmT3_T4_T5_T6_T7_T9_mT8_P12ihipStream_tbDpT10_ENKUlT_T0_E_clISt17integral_constantIbLb0EES17_IbLb1EEEEDaS13_S14_EUlS13_E_NS1_11comp_targetILNS1_3genE9ELNS1_11target_archE1100ELNS1_3gpuE3ELNS1_3repE0EEENS1_30default_config_static_selectorELNS0_4arch9wavefront6targetE0EEEvT1_
	.p2align	8
	.type	_ZN7rocprim17ROCPRIM_400000_NS6detail17trampoline_kernelINS0_14default_configENS1_25partition_config_selectorILNS1_17partition_subalgoE6EjNS0_10empty_typeEbEEZZNS1_14partition_implILS5_6ELb0ES3_mN6thrust23THRUST_200600_302600_NS6detail15normal_iteratorINSA_10device_ptrIjEEEEPS6_SG_NS0_5tupleIJSF_S6_EEENSH_IJSG_SG_EEES6_PlJNSB_9not_fun_tI7is_trueIjEEEEEE10hipError_tPvRmT3_T4_T5_T6_T7_T9_mT8_P12ihipStream_tbDpT10_ENKUlT_T0_E_clISt17integral_constantIbLb0EES17_IbLb1EEEEDaS13_S14_EUlS13_E_NS1_11comp_targetILNS1_3genE9ELNS1_11target_archE1100ELNS1_3gpuE3ELNS1_3repE0EEENS1_30default_config_static_selectorELNS0_4arch9wavefront6targetE0EEEvT1_,@function
_ZN7rocprim17ROCPRIM_400000_NS6detail17trampoline_kernelINS0_14default_configENS1_25partition_config_selectorILNS1_17partition_subalgoE6EjNS0_10empty_typeEbEEZZNS1_14partition_implILS5_6ELb0ES3_mN6thrust23THRUST_200600_302600_NS6detail15normal_iteratorINSA_10device_ptrIjEEEEPS6_SG_NS0_5tupleIJSF_S6_EEENSH_IJSG_SG_EEES6_PlJNSB_9not_fun_tI7is_trueIjEEEEEE10hipError_tPvRmT3_T4_T5_T6_T7_T9_mT8_P12ihipStream_tbDpT10_ENKUlT_T0_E_clISt17integral_constantIbLb0EES17_IbLb1EEEEDaS13_S14_EUlS13_E_NS1_11comp_targetILNS1_3genE9ELNS1_11target_archE1100ELNS1_3gpuE3ELNS1_3repE0EEENS1_30default_config_static_selectorELNS0_4arch9wavefront6targetE0EEEvT1_: ; @_ZN7rocprim17ROCPRIM_400000_NS6detail17trampoline_kernelINS0_14default_configENS1_25partition_config_selectorILNS1_17partition_subalgoE6EjNS0_10empty_typeEbEEZZNS1_14partition_implILS5_6ELb0ES3_mN6thrust23THRUST_200600_302600_NS6detail15normal_iteratorINSA_10device_ptrIjEEEEPS6_SG_NS0_5tupleIJSF_S6_EEENSH_IJSG_SG_EEES6_PlJNSB_9not_fun_tI7is_trueIjEEEEEE10hipError_tPvRmT3_T4_T5_T6_T7_T9_mT8_P12ihipStream_tbDpT10_ENKUlT_T0_E_clISt17integral_constantIbLb0EES17_IbLb1EEEEDaS13_S14_EUlS13_E_NS1_11comp_targetILNS1_3genE9ELNS1_11target_archE1100ELNS1_3gpuE3ELNS1_3repE0EEENS1_30default_config_static_selectorELNS0_4arch9wavefront6targetE0EEEvT1_
; %bb.0:
	.section	.rodata,"a",@progbits
	.p2align	6, 0x0
	.amdhsa_kernel _ZN7rocprim17ROCPRIM_400000_NS6detail17trampoline_kernelINS0_14default_configENS1_25partition_config_selectorILNS1_17partition_subalgoE6EjNS0_10empty_typeEbEEZZNS1_14partition_implILS5_6ELb0ES3_mN6thrust23THRUST_200600_302600_NS6detail15normal_iteratorINSA_10device_ptrIjEEEEPS6_SG_NS0_5tupleIJSF_S6_EEENSH_IJSG_SG_EEES6_PlJNSB_9not_fun_tI7is_trueIjEEEEEE10hipError_tPvRmT3_T4_T5_T6_T7_T9_mT8_P12ihipStream_tbDpT10_ENKUlT_T0_E_clISt17integral_constantIbLb0EES17_IbLb1EEEEDaS13_S14_EUlS13_E_NS1_11comp_targetILNS1_3genE9ELNS1_11target_archE1100ELNS1_3gpuE3ELNS1_3repE0EEENS1_30default_config_static_selectorELNS0_4arch9wavefront6targetE0EEEvT1_
		.amdhsa_group_segment_fixed_size 0
		.amdhsa_private_segment_fixed_size 0
		.amdhsa_kernarg_size 128
		.amdhsa_user_sgpr_count 2
		.amdhsa_user_sgpr_dispatch_ptr 0
		.amdhsa_user_sgpr_queue_ptr 0
		.amdhsa_user_sgpr_kernarg_segment_ptr 1
		.amdhsa_user_sgpr_dispatch_id 0
		.amdhsa_user_sgpr_private_segment_size 0
		.amdhsa_wavefront_size32 1
		.amdhsa_uses_dynamic_stack 0
		.amdhsa_enable_private_segment 0
		.amdhsa_system_sgpr_workgroup_id_x 1
		.amdhsa_system_sgpr_workgroup_id_y 0
		.amdhsa_system_sgpr_workgroup_id_z 0
		.amdhsa_system_sgpr_workgroup_info 0
		.amdhsa_system_vgpr_workitem_id 0
		.amdhsa_next_free_vgpr 1
		.amdhsa_next_free_sgpr 1
		.amdhsa_reserve_vcc 0
		.amdhsa_float_round_mode_32 0
		.amdhsa_float_round_mode_16_64 0
		.amdhsa_float_denorm_mode_32 3
		.amdhsa_float_denorm_mode_16_64 3
		.amdhsa_fp16_overflow 0
		.amdhsa_workgroup_processor_mode 1
		.amdhsa_memory_ordered 1
		.amdhsa_forward_progress 1
		.amdhsa_inst_pref_size 0
		.amdhsa_round_robin_scheduling 0
		.amdhsa_exception_fp_ieee_invalid_op 0
		.amdhsa_exception_fp_denorm_src 0
		.amdhsa_exception_fp_ieee_div_zero 0
		.amdhsa_exception_fp_ieee_overflow 0
		.amdhsa_exception_fp_ieee_underflow 0
		.amdhsa_exception_fp_ieee_inexact 0
		.amdhsa_exception_int_div_zero 0
	.end_amdhsa_kernel
	.section	.text._ZN7rocprim17ROCPRIM_400000_NS6detail17trampoline_kernelINS0_14default_configENS1_25partition_config_selectorILNS1_17partition_subalgoE6EjNS0_10empty_typeEbEEZZNS1_14partition_implILS5_6ELb0ES3_mN6thrust23THRUST_200600_302600_NS6detail15normal_iteratorINSA_10device_ptrIjEEEEPS6_SG_NS0_5tupleIJSF_S6_EEENSH_IJSG_SG_EEES6_PlJNSB_9not_fun_tI7is_trueIjEEEEEE10hipError_tPvRmT3_T4_T5_T6_T7_T9_mT8_P12ihipStream_tbDpT10_ENKUlT_T0_E_clISt17integral_constantIbLb0EES17_IbLb1EEEEDaS13_S14_EUlS13_E_NS1_11comp_targetILNS1_3genE9ELNS1_11target_archE1100ELNS1_3gpuE3ELNS1_3repE0EEENS1_30default_config_static_selectorELNS0_4arch9wavefront6targetE0EEEvT1_,"axG",@progbits,_ZN7rocprim17ROCPRIM_400000_NS6detail17trampoline_kernelINS0_14default_configENS1_25partition_config_selectorILNS1_17partition_subalgoE6EjNS0_10empty_typeEbEEZZNS1_14partition_implILS5_6ELb0ES3_mN6thrust23THRUST_200600_302600_NS6detail15normal_iteratorINSA_10device_ptrIjEEEEPS6_SG_NS0_5tupleIJSF_S6_EEENSH_IJSG_SG_EEES6_PlJNSB_9not_fun_tI7is_trueIjEEEEEE10hipError_tPvRmT3_T4_T5_T6_T7_T9_mT8_P12ihipStream_tbDpT10_ENKUlT_T0_E_clISt17integral_constantIbLb0EES17_IbLb1EEEEDaS13_S14_EUlS13_E_NS1_11comp_targetILNS1_3genE9ELNS1_11target_archE1100ELNS1_3gpuE3ELNS1_3repE0EEENS1_30default_config_static_selectorELNS0_4arch9wavefront6targetE0EEEvT1_,comdat
.Lfunc_end1171:
	.size	_ZN7rocprim17ROCPRIM_400000_NS6detail17trampoline_kernelINS0_14default_configENS1_25partition_config_selectorILNS1_17partition_subalgoE6EjNS0_10empty_typeEbEEZZNS1_14partition_implILS5_6ELb0ES3_mN6thrust23THRUST_200600_302600_NS6detail15normal_iteratorINSA_10device_ptrIjEEEEPS6_SG_NS0_5tupleIJSF_S6_EEENSH_IJSG_SG_EEES6_PlJNSB_9not_fun_tI7is_trueIjEEEEEE10hipError_tPvRmT3_T4_T5_T6_T7_T9_mT8_P12ihipStream_tbDpT10_ENKUlT_T0_E_clISt17integral_constantIbLb0EES17_IbLb1EEEEDaS13_S14_EUlS13_E_NS1_11comp_targetILNS1_3genE9ELNS1_11target_archE1100ELNS1_3gpuE3ELNS1_3repE0EEENS1_30default_config_static_selectorELNS0_4arch9wavefront6targetE0EEEvT1_, .Lfunc_end1171-_ZN7rocprim17ROCPRIM_400000_NS6detail17trampoline_kernelINS0_14default_configENS1_25partition_config_selectorILNS1_17partition_subalgoE6EjNS0_10empty_typeEbEEZZNS1_14partition_implILS5_6ELb0ES3_mN6thrust23THRUST_200600_302600_NS6detail15normal_iteratorINSA_10device_ptrIjEEEEPS6_SG_NS0_5tupleIJSF_S6_EEENSH_IJSG_SG_EEES6_PlJNSB_9not_fun_tI7is_trueIjEEEEEE10hipError_tPvRmT3_T4_T5_T6_T7_T9_mT8_P12ihipStream_tbDpT10_ENKUlT_T0_E_clISt17integral_constantIbLb0EES17_IbLb1EEEEDaS13_S14_EUlS13_E_NS1_11comp_targetILNS1_3genE9ELNS1_11target_archE1100ELNS1_3gpuE3ELNS1_3repE0EEENS1_30default_config_static_selectorELNS0_4arch9wavefront6targetE0EEEvT1_
                                        ; -- End function
	.set _ZN7rocprim17ROCPRIM_400000_NS6detail17trampoline_kernelINS0_14default_configENS1_25partition_config_selectorILNS1_17partition_subalgoE6EjNS0_10empty_typeEbEEZZNS1_14partition_implILS5_6ELb0ES3_mN6thrust23THRUST_200600_302600_NS6detail15normal_iteratorINSA_10device_ptrIjEEEEPS6_SG_NS0_5tupleIJSF_S6_EEENSH_IJSG_SG_EEES6_PlJNSB_9not_fun_tI7is_trueIjEEEEEE10hipError_tPvRmT3_T4_T5_T6_T7_T9_mT8_P12ihipStream_tbDpT10_ENKUlT_T0_E_clISt17integral_constantIbLb0EES17_IbLb1EEEEDaS13_S14_EUlS13_E_NS1_11comp_targetILNS1_3genE9ELNS1_11target_archE1100ELNS1_3gpuE3ELNS1_3repE0EEENS1_30default_config_static_selectorELNS0_4arch9wavefront6targetE0EEEvT1_.num_vgpr, 0
	.set _ZN7rocprim17ROCPRIM_400000_NS6detail17trampoline_kernelINS0_14default_configENS1_25partition_config_selectorILNS1_17partition_subalgoE6EjNS0_10empty_typeEbEEZZNS1_14partition_implILS5_6ELb0ES3_mN6thrust23THRUST_200600_302600_NS6detail15normal_iteratorINSA_10device_ptrIjEEEEPS6_SG_NS0_5tupleIJSF_S6_EEENSH_IJSG_SG_EEES6_PlJNSB_9not_fun_tI7is_trueIjEEEEEE10hipError_tPvRmT3_T4_T5_T6_T7_T9_mT8_P12ihipStream_tbDpT10_ENKUlT_T0_E_clISt17integral_constantIbLb0EES17_IbLb1EEEEDaS13_S14_EUlS13_E_NS1_11comp_targetILNS1_3genE9ELNS1_11target_archE1100ELNS1_3gpuE3ELNS1_3repE0EEENS1_30default_config_static_selectorELNS0_4arch9wavefront6targetE0EEEvT1_.num_agpr, 0
	.set _ZN7rocprim17ROCPRIM_400000_NS6detail17trampoline_kernelINS0_14default_configENS1_25partition_config_selectorILNS1_17partition_subalgoE6EjNS0_10empty_typeEbEEZZNS1_14partition_implILS5_6ELb0ES3_mN6thrust23THRUST_200600_302600_NS6detail15normal_iteratorINSA_10device_ptrIjEEEEPS6_SG_NS0_5tupleIJSF_S6_EEENSH_IJSG_SG_EEES6_PlJNSB_9not_fun_tI7is_trueIjEEEEEE10hipError_tPvRmT3_T4_T5_T6_T7_T9_mT8_P12ihipStream_tbDpT10_ENKUlT_T0_E_clISt17integral_constantIbLb0EES17_IbLb1EEEEDaS13_S14_EUlS13_E_NS1_11comp_targetILNS1_3genE9ELNS1_11target_archE1100ELNS1_3gpuE3ELNS1_3repE0EEENS1_30default_config_static_selectorELNS0_4arch9wavefront6targetE0EEEvT1_.numbered_sgpr, 0
	.set _ZN7rocprim17ROCPRIM_400000_NS6detail17trampoline_kernelINS0_14default_configENS1_25partition_config_selectorILNS1_17partition_subalgoE6EjNS0_10empty_typeEbEEZZNS1_14partition_implILS5_6ELb0ES3_mN6thrust23THRUST_200600_302600_NS6detail15normal_iteratorINSA_10device_ptrIjEEEEPS6_SG_NS0_5tupleIJSF_S6_EEENSH_IJSG_SG_EEES6_PlJNSB_9not_fun_tI7is_trueIjEEEEEE10hipError_tPvRmT3_T4_T5_T6_T7_T9_mT8_P12ihipStream_tbDpT10_ENKUlT_T0_E_clISt17integral_constantIbLb0EES17_IbLb1EEEEDaS13_S14_EUlS13_E_NS1_11comp_targetILNS1_3genE9ELNS1_11target_archE1100ELNS1_3gpuE3ELNS1_3repE0EEENS1_30default_config_static_selectorELNS0_4arch9wavefront6targetE0EEEvT1_.num_named_barrier, 0
	.set _ZN7rocprim17ROCPRIM_400000_NS6detail17trampoline_kernelINS0_14default_configENS1_25partition_config_selectorILNS1_17partition_subalgoE6EjNS0_10empty_typeEbEEZZNS1_14partition_implILS5_6ELb0ES3_mN6thrust23THRUST_200600_302600_NS6detail15normal_iteratorINSA_10device_ptrIjEEEEPS6_SG_NS0_5tupleIJSF_S6_EEENSH_IJSG_SG_EEES6_PlJNSB_9not_fun_tI7is_trueIjEEEEEE10hipError_tPvRmT3_T4_T5_T6_T7_T9_mT8_P12ihipStream_tbDpT10_ENKUlT_T0_E_clISt17integral_constantIbLb0EES17_IbLb1EEEEDaS13_S14_EUlS13_E_NS1_11comp_targetILNS1_3genE9ELNS1_11target_archE1100ELNS1_3gpuE3ELNS1_3repE0EEENS1_30default_config_static_selectorELNS0_4arch9wavefront6targetE0EEEvT1_.private_seg_size, 0
	.set _ZN7rocprim17ROCPRIM_400000_NS6detail17trampoline_kernelINS0_14default_configENS1_25partition_config_selectorILNS1_17partition_subalgoE6EjNS0_10empty_typeEbEEZZNS1_14partition_implILS5_6ELb0ES3_mN6thrust23THRUST_200600_302600_NS6detail15normal_iteratorINSA_10device_ptrIjEEEEPS6_SG_NS0_5tupleIJSF_S6_EEENSH_IJSG_SG_EEES6_PlJNSB_9not_fun_tI7is_trueIjEEEEEE10hipError_tPvRmT3_T4_T5_T6_T7_T9_mT8_P12ihipStream_tbDpT10_ENKUlT_T0_E_clISt17integral_constantIbLb0EES17_IbLb1EEEEDaS13_S14_EUlS13_E_NS1_11comp_targetILNS1_3genE9ELNS1_11target_archE1100ELNS1_3gpuE3ELNS1_3repE0EEENS1_30default_config_static_selectorELNS0_4arch9wavefront6targetE0EEEvT1_.uses_vcc, 0
	.set _ZN7rocprim17ROCPRIM_400000_NS6detail17trampoline_kernelINS0_14default_configENS1_25partition_config_selectorILNS1_17partition_subalgoE6EjNS0_10empty_typeEbEEZZNS1_14partition_implILS5_6ELb0ES3_mN6thrust23THRUST_200600_302600_NS6detail15normal_iteratorINSA_10device_ptrIjEEEEPS6_SG_NS0_5tupleIJSF_S6_EEENSH_IJSG_SG_EEES6_PlJNSB_9not_fun_tI7is_trueIjEEEEEE10hipError_tPvRmT3_T4_T5_T6_T7_T9_mT8_P12ihipStream_tbDpT10_ENKUlT_T0_E_clISt17integral_constantIbLb0EES17_IbLb1EEEEDaS13_S14_EUlS13_E_NS1_11comp_targetILNS1_3genE9ELNS1_11target_archE1100ELNS1_3gpuE3ELNS1_3repE0EEENS1_30default_config_static_selectorELNS0_4arch9wavefront6targetE0EEEvT1_.uses_flat_scratch, 0
	.set _ZN7rocprim17ROCPRIM_400000_NS6detail17trampoline_kernelINS0_14default_configENS1_25partition_config_selectorILNS1_17partition_subalgoE6EjNS0_10empty_typeEbEEZZNS1_14partition_implILS5_6ELb0ES3_mN6thrust23THRUST_200600_302600_NS6detail15normal_iteratorINSA_10device_ptrIjEEEEPS6_SG_NS0_5tupleIJSF_S6_EEENSH_IJSG_SG_EEES6_PlJNSB_9not_fun_tI7is_trueIjEEEEEE10hipError_tPvRmT3_T4_T5_T6_T7_T9_mT8_P12ihipStream_tbDpT10_ENKUlT_T0_E_clISt17integral_constantIbLb0EES17_IbLb1EEEEDaS13_S14_EUlS13_E_NS1_11comp_targetILNS1_3genE9ELNS1_11target_archE1100ELNS1_3gpuE3ELNS1_3repE0EEENS1_30default_config_static_selectorELNS0_4arch9wavefront6targetE0EEEvT1_.has_dyn_sized_stack, 0
	.set _ZN7rocprim17ROCPRIM_400000_NS6detail17trampoline_kernelINS0_14default_configENS1_25partition_config_selectorILNS1_17partition_subalgoE6EjNS0_10empty_typeEbEEZZNS1_14partition_implILS5_6ELb0ES3_mN6thrust23THRUST_200600_302600_NS6detail15normal_iteratorINSA_10device_ptrIjEEEEPS6_SG_NS0_5tupleIJSF_S6_EEENSH_IJSG_SG_EEES6_PlJNSB_9not_fun_tI7is_trueIjEEEEEE10hipError_tPvRmT3_T4_T5_T6_T7_T9_mT8_P12ihipStream_tbDpT10_ENKUlT_T0_E_clISt17integral_constantIbLb0EES17_IbLb1EEEEDaS13_S14_EUlS13_E_NS1_11comp_targetILNS1_3genE9ELNS1_11target_archE1100ELNS1_3gpuE3ELNS1_3repE0EEENS1_30default_config_static_selectorELNS0_4arch9wavefront6targetE0EEEvT1_.has_recursion, 0
	.set _ZN7rocprim17ROCPRIM_400000_NS6detail17trampoline_kernelINS0_14default_configENS1_25partition_config_selectorILNS1_17partition_subalgoE6EjNS0_10empty_typeEbEEZZNS1_14partition_implILS5_6ELb0ES3_mN6thrust23THRUST_200600_302600_NS6detail15normal_iteratorINSA_10device_ptrIjEEEEPS6_SG_NS0_5tupleIJSF_S6_EEENSH_IJSG_SG_EEES6_PlJNSB_9not_fun_tI7is_trueIjEEEEEE10hipError_tPvRmT3_T4_T5_T6_T7_T9_mT8_P12ihipStream_tbDpT10_ENKUlT_T0_E_clISt17integral_constantIbLb0EES17_IbLb1EEEEDaS13_S14_EUlS13_E_NS1_11comp_targetILNS1_3genE9ELNS1_11target_archE1100ELNS1_3gpuE3ELNS1_3repE0EEENS1_30default_config_static_selectorELNS0_4arch9wavefront6targetE0EEEvT1_.has_indirect_call, 0
	.section	.AMDGPU.csdata,"",@progbits
; Kernel info:
; codeLenInByte = 0
; TotalNumSgprs: 0
; NumVgprs: 0
; ScratchSize: 0
; MemoryBound: 0
; FloatMode: 240
; IeeeMode: 1
; LDSByteSize: 0 bytes/workgroup (compile time only)
; SGPRBlocks: 0
; VGPRBlocks: 0
; NumSGPRsForWavesPerEU: 1
; NumVGPRsForWavesPerEU: 1
; Occupancy: 16
; WaveLimiterHint : 0
; COMPUTE_PGM_RSRC2:SCRATCH_EN: 0
; COMPUTE_PGM_RSRC2:USER_SGPR: 2
; COMPUTE_PGM_RSRC2:TRAP_HANDLER: 0
; COMPUTE_PGM_RSRC2:TGID_X_EN: 1
; COMPUTE_PGM_RSRC2:TGID_Y_EN: 0
; COMPUTE_PGM_RSRC2:TGID_Z_EN: 0
; COMPUTE_PGM_RSRC2:TIDIG_COMP_CNT: 0
	.section	.text._ZN7rocprim17ROCPRIM_400000_NS6detail17trampoline_kernelINS0_14default_configENS1_25partition_config_selectorILNS1_17partition_subalgoE6EjNS0_10empty_typeEbEEZZNS1_14partition_implILS5_6ELb0ES3_mN6thrust23THRUST_200600_302600_NS6detail15normal_iteratorINSA_10device_ptrIjEEEEPS6_SG_NS0_5tupleIJSF_S6_EEENSH_IJSG_SG_EEES6_PlJNSB_9not_fun_tI7is_trueIjEEEEEE10hipError_tPvRmT3_T4_T5_T6_T7_T9_mT8_P12ihipStream_tbDpT10_ENKUlT_T0_E_clISt17integral_constantIbLb0EES17_IbLb1EEEEDaS13_S14_EUlS13_E_NS1_11comp_targetILNS1_3genE8ELNS1_11target_archE1030ELNS1_3gpuE2ELNS1_3repE0EEENS1_30default_config_static_selectorELNS0_4arch9wavefront6targetE0EEEvT1_,"axG",@progbits,_ZN7rocprim17ROCPRIM_400000_NS6detail17trampoline_kernelINS0_14default_configENS1_25partition_config_selectorILNS1_17partition_subalgoE6EjNS0_10empty_typeEbEEZZNS1_14partition_implILS5_6ELb0ES3_mN6thrust23THRUST_200600_302600_NS6detail15normal_iteratorINSA_10device_ptrIjEEEEPS6_SG_NS0_5tupleIJSF_S6_EEENSH_IJSG_SG_EEES6_PlJNSB_9not_fun_tI7is_trueIjEEEEEE10hipError_tPvRmT3_T4_T5_T6_T7_T9_mT8_P12ihipStream_tbDpT10_ENKUlT_T0_E_clISt17integral_constantIbLb0EES17_IbLb1EEEEDaS13_S14_EUlS13_E_NS1_11comp_targetILNS1_3genE8ELNS1_11target_archE1030ELNS1_3gpuE2ELNS1_3repE0EEENS1_30default_config_static_selectorELNS0_4arch9wavefront6targetE0EEEvT1_,comdat
	.protected	_ZN7rocprim17ROCPRIM_400000_NS6detail17trampoline_kernelINS0_14default_configENS1_25partition_config_selectorILNS1_17partition_subalgoE6EjNS0_10empty_typeEbEEZZNS1_14partition_implILS5_6ELb0ES3_mN6thrust23THRUST_200600_302600_NS6detail15normal_iteratorINSA_10device_ptrIjEEEEPS6_SG_NS0_5tupleIJSF_S6_EEENSH_IJSG_SG_EEES6_PlJNSB_9not_fun_tI7is_trueIjEEEEEE10hipError_tPvRmT3_T4_T5_T6_T7_T9_mT8_P12ihipStream_tbDpT10_ENKUlT_T0_E_clISt17integral_constantIbLb0EES17_IbLb1EEEEDaS13_S14_EUlS13_E_NS1_11comp_targetILNS1_3genE8ELNS1_11target_archE1030ELNS1_3gpuE2ELNS1_3repE0EEENS1_30default_config_static_selectorELNS0_4arch9wavefront6targetE0EEEvT1_ ; -- Begin function _ZN7rocprim17ROCPRIM_400000_NS6detail17trampoline_kernelINS0_14default_configENS1_25partition_config_selectorILNS1_17partition_subalgoE6EjNS0_10empty_typeEbEEZZNS1_14partition_implILS5_6ELb0ES3_mN6thrust23THRUST_200600_302600_NS6detail15normal_iteratorINSA_10device_ptrIjEEEEPS6_SG_NS0_5tupleIJSF_S6_EEENSH_IJSG_SG_EEES6_PlJNSB_9not_fun_tI7is_trueIjEEEEEE10hipError_tPvRmT3_T4_T5_T6_T7_T9_mT8_P12ihipStream_tbDpT10_ENKUlT_T0_E_clISt17integral_constantIbLb0EES17_IbLb1EEEEDaS13_S14_EUlS13_E_NS1_11comp_targetILNS1_3genE8ELNS1_11target_archE1030ELNS1_3gpuE2ELNS1_3repE0EEENS1_30default_config_static_selectorELNS0_4arch9wavefront6targetE0EEEvT1_
	.globl	_ZN7rocprim17ROCPRIM_400000_NS6detail17trampoline_kernelINS0_14default_configENS1_25partition_config_selectorILNS1_17partition_subalgoE6EjNS0_10empty_typeEbEEZZNS1_14partition_implILS5_6ELb0ES3_mN6thrust23THRUST_200600_302600_NS6detail15normal_iteratorINSA_10device_ptrIjEEEEPS6_SG_NS0_5tupleIJSF_S6_EEENSH_IJSG_SG_EEES6_PlJNSB_9not_fun_tI7is_trueIjEEEEEE10hipError_tPvRmT3_T4_T5_T6_T7_T9_mT8_P12ihipStream_tbDpT10_ENKUlT_T0_E_clISt17integral_constantIbLb0EES17_IbLb1EEEEDaS13_S14_EUlS13_E_NS1_11comp_targetILNS1_3genE8ELNS1_11target_archE1030ELNS1_3gpuE2ELNS1_3repE0EEENS1_30default_config_static_selectorELNS0_4arch9wavefront6targetE0EEEvT1_
	.p2align	8
	.type	_ZN7rocprim17ROCPRIM_400000_NS6detail17trampoline_kernelINS0_14default_configENS1_25partition_config_selectorILNS1_17partition_subalgoE6EjNS0_10empty_typeEbEEZZNS1_14partition_implILS5_6ELb0ES3_mN6thrust23THRUST_200600_302600_NS6detail15normal_iteratorINSA_10device_ptrIjEEEEPS6_SG_NS0_5tupleIJSF_S6_EEENSH_IJSG_SG_EEES6_PlJNSB_9not_fun_tI7is_trueIjEEEEEE10hipError_tPvRmT3_T4_T5_T6_T7_T9_mT8_P12ihipStream_tbDpT10_ENKUlT_T0_E_clISt17integral_constantIbLb0EES17_IbLb1EEEEDaS13_S14_EUlS13_E_NS1_11comp_targetILNS1_3genE8ELNS1_11target_archE1030ELNS1_3gpuE2ELNS1_3repE0EEENS1_30default_config_static_selectorELNS0_4arch9wavefront6targetE0EEEvT1_,@function
_ZN7rocprim17ROCPRIM_400000_NS6detail17trampoline_kernelINS0_14default_configENS1_25partition_config_selectorILNS1_17partition_subalgoE6EjNS0_10empty_typeEbEEZZNS1_14partition_implILS5_6ELb0ES3_mN6thrust23THRUST_200600_302600_NS6detail15normal_iteratorINSA_10device_ptrIjEEEEPS6_SG_NS0_5tupleIJSF_S6_EEENSH_IJSG_SG_EEES6_PlJNSB_9not_fun_tI7is_trueIjEEEEEE10hipError_tPvRmT3_T4_T5_T6_T7_T9_mT8_P12ihipStream_tbDpT10_ENKUlT_T0_E_clISt17integral_constantIbLb0EES17_IbLb1EEEEDaS13_S14_EUlS13_E_NS1_11comp_targetILNS1_3genE8ELNS1_11target_archE1030ELNS1_3gpuE2ELNS1_3repE0EEENS1_30default_config_static_selectorELNS0_4arch9wavefront6targetE0EEEvT1_: ; @_ZN7rocprim17ROCPRIM_400000_NS6detail17trampoline_kernelINS0_14default_configENS1_25partition_config_selectorILNS1_17partition_subalgoE6EjNS0_10empty_typeEbEEZZNS1_14partition_implILS5_6ELb0ES3_mN6thrust23THRUST_200600_302600_NS6detail15normal_iteratorINSA_10device_ptrIjEEEEPS6_SG_NS0_5tupleIJSF_S6_EEENSH_IJSG_SG_EEES6_PlJNSB_9not_fun_tI7is_trueIjEEEEEE10hipError_tPvRmT3_T4_T5_T6_T7_T9_mT8_P12ihipStream_tbDpT10_ENKUlT_T0_E_clISt17integral_constantIbLb0EES17_IbLb1EEEEDaS13_S14_EUlS13_E_NS1_11comp_targetILNS1_3genE8ELNS1_11target_archE1030ELNS1_3gpuE2ELNS1_3repE0EEENS1_30default_config_static_selectorELNS0_4arch9wavefront6targetE0EEEvT1_
; %bb.0:
	.section	.rodata,"a",@progbits
	.p2align	6, 0x0
	.amdhsa_kernel _ZN7rocprim17ROCPRIM_400000_NS6detail17trampoline_kernelINS0_14default_configENS1_25partition_config_selectorILNS1_17partition_subalgoE6EjNS0_10empty_typeEbEEZZNS1_14partition_implILS5_6ELb0ES3_mN6thrust23THRUST_200600_302600_NS6detail15normal_iteratorINSA_10device_ptrIjEEEEPS6_SG_NS0_5tupleIJSF_S6_EEENSH_IJSG_SG_EEES6_PlJNSB_9not_fun_tI7is_trueIjEEEEEE10hipError_tPvRmT3_T4_T5_T6_T7_T9_mT8_P12ihipStream_tbDpT10_ENKUlT_T0_E_clISt17integral_constantIbLb0EES17_IbLb1EEEEDaS13_S14_EUlS13_E_NS1_11comp_targetILNS1_3genE8ELNS1_11target_archE1030ELNS1_3gpuE2ELNS1_3repE0EEENS1_30default_config_static_selectorELNS0_4arch9wavefront6targetE0EEEvT1_
		.amdhsa_group_segment_fixed_size 0
		.amdhsa_private_segment_fixed_size 0
		.amdhsa_kernarg_size 128
		.amdhsa_user_sgpr_count 2
		.amdhsa_user_sgpr_dispatch_ptr 0
		.amdhsa_user_sgpr_queue_ptr 0
		.amdhsa_user_sgpr_kernarg_segment_ptr 1
		.amdhsa_user_sgpr_dispatch_id 0
		.amdhsa_user_sgpr_private_segment_size 0
		.amdhsa_wavefront_size32 1
		.amdhsa_uses_dynamic_stack 0
		.amdhsa_enable_private_segment 0
		.amdhsa_system_sgpr_workgroup_id_x 1
		.amdhsa_system_sgpr_workgroup_id_y 0
		.amdhsa_system_sgpr_workgroup_id_z 0
		.amdhsa_system_sgpr_workgroup_info 0
		.amdhsa_system_vgpr_workitem_id 0
		.amdhsa_next_free_vgpr 1
		.amdhsa_next_free_sgpr 1
		.amdhsa_reserve_vcc 0
		.amdhsa_float_round_mode_32 0
		.amdhsa_float_round_mode_16_64 0
		.amdhsa_float_denorm_mode_32 3
		.amdhsa_float_denorm_mode_16_64 3
		.amdhsa_fp16_overflow 0
		.amdhsa_workgroup_processor_mode 1
		.amdhsa_memory_ordered 1
		.amdhsa_forward_progress 1
		.amdhsa_inst_pref_size 0
		.amdhsa_round_robin_scheduling 0
		.amdhsa_exception_fp_ieee_invalid_op 0
		.amdhsa_exception_fp_denorm_src 0
		.amdhsa_exception_fp_ieee_div_zero 0
		.amdhsa_exception_fp_ieee_overflow 0
		.amdhsa_exception_fp_ieee_underflow 0
		.amdhsa_exception_fp_ieee_inexact 0
		.amdhsa_exception_int_div_zero 0
	.end_amdhsa_kernel
	.section	.text._ZN7rocprim17ROCPRIM_400000_NS6detail17trampoline_kernelINS0_14default_configENS1_25partition_config_selectorILNS1_17partition_subalgoE6EjNS0_10empty_typeEbEEZZNS1_14partition_implILS5_6ELb0ES3_mN6thrust23THRUST_200600_302600_NS6detail15normal_iteratorINSA_10device_ptrIjEEEEPS6_SG_NS0_5tupleIJSF_S6_EEENSH_IJSG_SG_EEES6_PlJNSB_9not_fun_tI7is_trueIjEEEEEE10hipError_tPvRmT3_T4_T5_T6_T7_T9_mT8_P12ihipStream_tbDpT10_ENKUlT_T0_E_clISt17integral_constantIbLb0EES17_IbLb1EEEEDaS13_S14_EUlS13_E_NS1_11comp_targetILNS1_3genE8ELNS1_11target_archE1030ELNS1_3gpuE2ELNS1_3repE0EEENS1_30default_config_static_selectorELNS0_4arch9wavefront6targetE0EEEvT1_,"axG",@progbits,_ZN7rocprim17ROCPRIM_400000_NS6detail17trampoline_kernelINS0_14default_configENS1_25partition_config_selectorILNS1_17partition_subalgoE6EjNS0_10empty_typeEbEEZZNS1_14partition_implILS5_6ELb0ES3_mN6thrust23THRUST_200600_302600_NS6detail15normal_iteratorINSA_10device_ptrIjEEEEPS6_SG_NS0_5tupleIJSF_S6_EEENSH_IJSG_SG_EEES6_PlJNSB_9not_fun_tI7is_trueIjEEEEEE10hipError_tPvRmT3_T4_T5_T6_T7_T9_mT8_P12ihipStream_tbDpT10_ENKUlT_T0_E_clISt17integral_constantIbLb0EES17_IbLb1EEEEDaS13_S14_EUlS13_E_NS1_11comp_targetILNS1_3genE8ELNS1_11target_archE1030ELNS1_3gpuE2ELNS1_3repE0EEENS1_30default_config_static_selectorELNS0_4arch9wavefront6targetE0EEEvT1_,comdat
.Lfunc_end1172:
	.size	_ZN7rocprim17ROCPRIM_400000_NS6detail17trampoline_kernelINS0_14default_configENS1_25partition_config_selectorILNS1_17partition_subalgoE6EjNS0_10empty_typeEbEEZZNS1_14partition_implILS5_6ELb0ES3_mN6thrust23THRUST_200600_302600_NS6detail15normal_iteratorINSA_10device_ptrIjEEEEPS6_SG_NS0_5tupleIJSF_S6_EEENSH_IJSG_SG_EEES6_PlJNSB_9not_fun_tI7is_trueIjEEEEEE10hipError_tPvRmT3_T4_T5_T6_T7_T9_mT8_P12ihipStream_tbDpT10_ENKUlT_T0_E_clISt17integral_constantIbLb0EES17_IbLb1EEEEDaS13_S14_EUlS13_E_NS1_11comp_targetILNS1_3genE8ELNS1_11target_archE1030ELNS1_3gpuE2ELNS1_3repE0EEENS1_30default_config_static_selectorELNS0_4arch9wavefront6targetE0EEEvT1_, .Lfunc_end1172-_ZN7rocprim17ROCPRIM_400000_NS6detail17trampoline_kernelINS0_14default_configENS1_25partition_config_selectorILNS1_17partition_subalgoE6EjNS0_10empty_typeEbEEZZNS1_14partition_implILS5_6ELb0ES3_mN6thrust23THRUST_200600_302600_NS6detail15normal_iteratorINSA_10device_ptrIjEEEEPS6_SG_NS0_5tupleIJSF_S6_EEENSH_IJSG_SG_EEES6_PlJNSB_9not_fun_tI7is_trueIjEEEEEE10hipError_tPvRmT3_T4_T5_T6_T7_T9_mT8_P12ihipStream_tbDpT10_ENKUlT_T0_E_clISt17integral_constantIbLb0EES17_IbLb1EEEEDaS13_S14_EUlS13_E_NS1_11comp_targetILNS1_3genE8ELNS1_11target_archE1030ELNS1_3gpuE2ELNS1_3repE0EEENS1_30default_config_static_selectorELNS0_4arch9wavefront6targetE0EEEvT1_
                                        ; -- End function
	.set _ZN7rocprim17ROCPRIM_400000_NS6detail17trampoline_kernelINS0_14default_configENS1_25partition_config_selectorILNS1_17partition_subalgoE6EjNS0_10empty_typeEbEEZZNS1_14partition_implILS5_6ELb0ES3_mN6thrust23THRUST_200600_302600_NS6detail15normal_iteratorINSA_10device_ptrIjEEEEPS6_SG_NS0_5tupleIJSF_S6_EEENSH_IJSG_SG_EEES6_PlJNSB_9not_fun_tI7is_trueIjEEEEEE10hipError_tPvRmT3_T4_T5_T6_T7_T9_mT8_P12ihipStream_tbDpT10_ENKUlT_T0_E_clISt17integral_constantIbLb0EES17_IbLb1EEEEDaS13_S14_EUlS13_E_NS1_11comp_targetILNS1_3genE8ELNS1_11target_archE1030ELNS1_3gpuE2ELNS1_3repE0EEENS1_30default_config_static_selectorELNS0_4arch9wavefront6targetE0EEEvT1_.num_vgpr, 0
	.set _ZN7rocprim17ROCPRIM_400000_NS6detail17trampoline_kernelINS0_14default_configENS1_25partition_config_selectorILNS1_17partition_subalgoE6EjNS0_10empty_typeEbEEZZNS1_14partition_implILS5_6ELb0ES3_mN6thrust23THRUST_200600_302600_NS6detail15normal_iteratorINSA_10device_ptrIjEEEEPS6_SG_NS0_5tupleIJSF_S6_EEENSH_IJSG_SG_EEES6_PlJNSB_9not_fun_tI7is_trueIjEEEEEE10hipError_tPvRmT3_T4_T5_T6_T7_T9_mT8_P12ihipStream_tbDpT10_ENKUlT_T0_E_clISt17integral_constantIbLb0EES17_IbLb1EEEEDaS13_S14_EUlS13_E_NS1_11comp_targetILNS1_3genE8ELNS1_11target_archE1030ELNS1_3gpuE2ELNS1_3repE0EEENS1_30default_config_static_selectorELNS0_4arch9wavefront6targetE0EEEvT1_.num_agpr, 0
	.set _ZN7rocprim17ROCPRIM_400000_NS6detail17trampoline_kernelINS0_14default_configENS1_25partition_config_selectorILNS1_17partition_subalgoE6EjNS0_10empty_typeEbEEZZNS1_14partition_implILS5_6ELb0ES3_mN6thrust23THRUST_200600_302600_NS6detail15normal_iteratorINSA_10device_ptrIjEEEEPS6_SG_NS0_5tupleIJSF_S6_EEENSH_IJSG_SG_EEES6_PlJNSB_9not_fun_tI7is_trueIjEEEEEE10hipError_tPvRmT3_T4_T5_T6_T7_T9_mT8_P12ihipStream_tbDpT10_ENKUlT_T0_E_clISt17integral_constantIbLb0EES17_IbLb1EEEEDaS13_S14_EUlS13_E_NS1_11comp_targetILNS1_3genE8ELNS1_11target_archE1030ELNS1_3gpuE2ELNS1_3repE0EEENS1_30default_config_static_selectorELNS0_4arch9wavefront6targetE0EEEvT1_.numbered_sgpr, 0
	.set _ZN7rocprim17ROCPRIM_400000_NS6detail17trampoline_kernelINS0_14default_configENS1_25partition_config_selectorILNS1_17partition_subalgoE6EjNS0_10empty_typeEbEEZZNS1_14partition_implILS5_6ELb0ES3_mN6thrust23THRUST_200600_302600_NS6detail15normal_iteratorINSA_10device_ptrIjEEEEPS6_SG_NS0_5tupleIJSF_S6_EEENSH_IJSG_SG_EEES6_PlJNSB_9not_fun_tI7is_trueIjEEEEEE10hipError_tPvRmT3_T4_T5_T6_T7_T9_mT8_P12ihipStream_tbDpT10_ENKUlT_T0_E_clISt17integral_constantIbLb0EES17_IbLb1EEEEDaS13_S14_EUlS13_E_NS1_11comp_targetILNS1_3genE8ELNS1_11target_archE1030ELNS1_3gpuE2ELNS1_3repE0EEENS1_30default_config_static_selectorELNS0_4arch9wavefront6targetE0EEEvT1_.num_named_barrier, 0
	.set _ZN7rocprim17ROCPRIM_400000_NS6detail17trampoline_kernelINS0_14default_configENS1_25partition_config_selectorILNS1_17partition_subalgoE6EjNS0_10empty_typeEbEEZZNS1_14partition_implILS5_6ELb0ES3_mN6thrust23THRUST_200600_302600_NS6detail15normal_iteratorINSA_10device_ptrIjEEEEPS6_SG_NS0_5tupleIJSF_S6_EEENSH_IJSG_SG_EEES6_PlJNSB_9not_fun_tI7is_trueIjEEEEEE10hipError_tPvRmT3_T4_T5_T6_T7_T9_mT8_P12ihipStream_tbDpT10_ENKUlT_T0_E_clISt17integral_constantIbLb0EES17_IbLb1EEEEDaS13_S14_EUlS13_E_NS1_11comp_targetILNS1_3genE8ELNS1_11target_archE1030ELNS1_3gpuE2ELNS1_3repE0EEENS1_30default_config_static_selectorELNS0_4arch9wavefront6targetE0EEEvT1_.private_seg_size, 0
	.set _ZN7rocprim17ROCPRIM_400000_NS6detail17trampoline_kernelINS0_14default_configENS1_25partition_config_selectorILNS1_17partition_subalgoE6EjNS0_10empty_typeEbEEZZNS1_14partition_implILS5_6ELb0ES3_mN6thrust23THRUST_200600_302600_NS6detail15normal_iteratorINSA_10device_ptrIjEEEEPS6_SG_NS0_5tupleIJSF_S6_EEENSH_IJSG_SG_EEES6_PlJNSB_9not_fun_tI7is_trueIjEEEEEE10hipError_tPvRmT3_T4_T5_T6_T7_T9_mT8_P12ihipStream_tbDpT10_ENKUlT_T0_E_clISt17integral_constantIbLb0EES17_IbLb1EEEEDaS13_S14_EUlS13_E_NS1_11comp_targetILNS1_3genE8ELNS1_11target_archE1030ELNS1_3gpuE2ELNS1_3repE0EEENS1_30default_config_static_selectorELNS0_4arch9wavefront6targetE0EEEvT1_.uses_vcc, 0
	.set _ZN7rocprim17ROCPRIM_400000_NS6detail17trampoline_kernelINS0_14default_configENS1_25partition_config_selectorILNS1_17partition_subalgoE6EjNS0_10empty_typeEbEEZZNS1_14partition_implILS5_6ELb0ES3_mN6thrust23THRUST_200600_302600_NS6detail15normal_iteratorINSA_10device_ptrIjEEEEPS6_SG_NS0_5tupleIJSF_S6_EEENSH_IJSG_SG_EEES6_PlJNSB_9not_fun_tI7is_trueIjEEEEEE10hipError_tPvRmT3_T4_T5_T6_T7_T9_mT8_P12ihipStream_tbDpT10_ENKUlT_T0_E_clISt17integral_constantIbLb0EES17_IbLb1EEEEDaS13_S14_EUlS13_E_NS1_11comp_targetILNS1_3genE8ELNS1_11target_archE1030ELNS1_3gpuE2ELNS1_3repE0EEENS1_30default_config_static_selectorELNS0_4arch9wavefront6targetE0EEEvT1_.uses_flat_scratch, 0
	.set _ZN7rocprim17ROCPRIM_400000_NS6detail17trampoline_kernelINS0_14default_configENS1_25partition_config_selectorILNS1_17partition_subalgoE6EjNS0_10empty_typeEbEEZZNS1_14partition_implILS5_6ELb0ES3_mN6thrust23THRUST_200600_302600_NS6detail15normal_iteratorINSA_10device_ptrIjEEEEPS6_SG_NS0_5tupleIJSF_S6_EEENSH_IJSG_SG_EEES6_PlJNSB_9not_fun_tI7is_trueIjEEEEEE10hipError_tPvRmT3_T4_T5_T6_T7_T9_mT8_P12ihipStream_tbDpT10_ENKUlT_T0_E_clISt17integral_constantIbLb0EES17_IbLb1EEEEDaS13_S14_EUlS13_E_NS1_11comp_targetILNS1_3genE8ELNS1_11target_archE1030ELNS1_3gpuE2ELNS1_3repE0EEENS1_30default_config_static_selectorELNS0_4arch9wavefront6targetE0EEEvT1_.has_dyn_sized_stack, 0
	.set _ZN7rocprim17ROCPRIM_400000_NS6detail17trampoline_kernelINS0_14default_configENS1_25partition_config_selectorILNS1_17partition_subalgoE6EjNS0_10empty_typeEbEEZZNS1_14partition_implILS5_6ELb0ES3_mN6thrust23THRUST_200600_302600_NS6detail15normal_iteratorINSA_10device_ptrIjEEEEPS6_SG_NS0_5tupleIJSF_S6_EEENSH_IJSG_SG_EEES6_PlJNSB_9not_fun_tI7is_trueIjEEEEEE10hipError_tPvRmT3_T4_T5_T6_T7_T9_mT8_P12ihipStream_tbDpT10_ENKUlT_T0_E_clISt17integral_constantIbLb0EES17_IbLb1EEEEDaS13_S14_EUlS13_E_NS1_11comp_targetILNS1_3genE8ELNS1_11target_archE1030ELNS1_3gpuE2ELNS1_3repE0EEENS1_30default_config_static_selectorELNS0_4arch9wavefront6targetE0EEEvT1_.has_recursion, 0
	.set _ZN7rocprim17ROCPRIM_400000_NS6detail17trampoline_kernelINS0_14default_configENS1_25partition_config_selectorILNS1_17partition_subalgoE6EjNS0_10empty_typeEbEEZZNS1_14partition_implILS5_6ELb0ES3_mN6thrust23THRUST_200600_302600_NS6detail15normal_iteratorINSA_10device_ptrIjEEEEPS6_SG_NS0_5tupleIJSF_S6_EEENSH_IJSG_SG_EEES6_PlJNSB_9not_fun_tI7is_trueIjEEEEEE10hipError_tPvRmT3_T4_T5_T6_T7_T9_mT8_P12ihipStream_tbDpT10_ENKUlT_T0_E_clISt17integral_constantIbLb0EES17_IbLb1EEEEDaS13_S14_EUlS13_E_NS1_11comp_targetILNS1_3genE8ELNS1_11target_archE1030ELNS1_3gpuE2ELNS1_3repE0EEENS1_30default_config_static_selectorELNS0_4arch9wavefront6targetE0EEEvT1_.has_indirect_call, 0
	.section	.AMDGPU.csdata,"",@progbits
; Kernel info:
; codeLenInByte = 0
; TotalNumSgprs: 0
; NumVgprs: 0
; ScratchSize: 0
; MemoryBound: 0
; FloatMode: 240
; IeeeMode: 1
; LDSByteSize: 0 bytes/workgroup (compile time only)
; SGPRBlocks: 0
; VGPRBlocks: 0
; NumSGPRsForWavesPerEU: 1
; NumVGPRsForWavesPerEU: 1
; Occupancy: 16
; WaveLimiterHint : 0
; COMPUTE_PGM_RSRC2:SCRATCH_EN: 0
; COMPUTE_PGM_RSRC2:USER_SGPR: 2
; COMPUTE_PGM_RSRC2:TRAP_HANDLER: 0
; COMPUTE_PGM_RSRC2:TGID_X_EN: 1
; COMPUTE_PGM_RSRC2:TGID_Y_EN: 0
; COMPUTE_PGM_RSRC2:TGID_Z_EN: 0
; COMPUTE_PGM_RSRC2:TIDIG_COMP_CNT: 0
	.section	.text._ZN7rocprim17ROCPRIM_400000_NS6detail17trampoline_kernelINS0_14default_configENS1_25partition_config_selectorILNS1_17partition_subalgoE6EtNS0_10empty_typeEbEEZZNS1_14partition_implILS5_6ELb0ES3_mN6thrust23THRUST_200600_302600_NS6detail15normal_iteratorINSA_10device_ptrItEEEEPS6_SG_NS0_5tupleIJSF_S6_EEENSH_IJSG_SG_EEES6_PlJNSB_9not_fun_tI7is_trueItEEEEEE10hipError_tPvRmT3_T4_T5_T6_T7_T9_mT8_P12ihipStream_tbDpT10_ENKUlT_T0_E_clISt17integral_constantIbLb0EES18_EEDaS13_S14_EUlS13_E_NS1_11comp_targetILNS1_3genE0ELNS1_11target_archE4294967295ELNS1_3gpuE0ELNS1_3repE0EEENS1_30default_config_static_selectorELNS0_4arch9wavefront6targetE0EEEvT1_,"axG",@progbits,_ZN7rocprim17ROCPRIM_400000_NS6detail17trampoline_kernelINS0_14default_configENS1_25partition_config_selectorILNS1_17partition_subalgoE6EtNS0_10empty_typeEbEEZZNS1_14partition_implILS5_6ELb0ES3_mN6thrust23THRUST_200600_302600_NS6detail15normal_iteratorINSA_10device_ptrItEEEEPS6_SG_NS0_5tupleIJSF_S6_EEENSH_IJSG_SG_EEES6_PlJNSB_9not_fun_tI7is_trueItEEEEEE10hipError_tPvRmT3_T4_T5_T6_T7_T9_mT8_P12ihipStream_tbDpT10_ENKUlT_T0_E_clISt17integral_constantIbLb0EES18_EEDaS13_S14_EUlS13_E_NS1_11comp_targetILNS1_3genE0ELNS1_11target_archE4294967295ELNS1_3gpuE0ELNS1_3repE0EEENS1_30default_config_static_selectorELNS0_4arch9wavefront6targetE0EEEvT1_,comdat
	.protected	_ZN7rocprim17ROCPRIM_400000_NS6detail17trampoline_kernelINS0_14default_configENS1_25partition_config_selectorILNS1_17partition_subalgoE6EtNS0_10empty_typeEbEEZZNS1_14partition_implILS5_6ELb0ES3_mN6thrust23THRUST_200600_302600_NS6detail15normal_iteratorINSA_10device_ptrItEEEEPS6_SG_NS0_5tupleIJSF_S6_EEENSH_IJSG_SG_EEES6_PlJNSB_9not_fun_tI7is_trueItEEEEEE10hipError_tPvRmT3_T4_T5_T6_T7_T9_mT8_P12ihipStream_tbDpT10_ENKUlT_T0_E_clISt17integral_constantIbLb0EES18_EEDaS13_S14_EUlS13_E_NS1_11comp_targetILNS1_3genE0ELNS1_11target_archE4294967295ELNS1_3gpuE0ELNS1_3repE0EEENS1_30default_config_static_selectorELNS0_4arch9wavefront6targetE0EEEvT1_ ; -- Begin function _ZN7rocprim17ROCPRIM_400000_NS6detail17trampoline_kernelINS0_14default_configENS1_25partition_config_selectorILNS1_17partition_subalgoE6EtNS0_10empty_typeEbEEZZNS1_14partition_implILS5_6ELb0ES3_mN6thrust23THRUST_200600_302600_NS6detail15normal_iteratorINSA_10device_ptrItEEEEPS6_SG_NS0_5tupleIJSF_S6_EEENSH_IJSG_SG_EEES6_PlJNSB_9not_fun_tI7is_trueItEEEEEE10hipError_tPvRmT3_T4_T5_T6_T7_T9_mT8_P12ihipStream_tbDpT10_ENKUlT_T0_E_clISt17integral_constantIbLb0EES18_EEDaS13_S14_EUlS13_E_NS1_11comp_targetILNS1_3genE0ELNS1_11target_archE4294967295ELNS1_3gpuE0ELNS1_3repE0EEENS1_30default_config_static_selectorELNS0_4arch9wavefront6targetE0EEEvT1_
	.globl	_ZN7rocprim17ROCPRIM_400000_NS6detail17trampoline_kernelINS0_14default_configENS1_25partition_config_selectorILNS1_17partition_subalgoE6EtNS0_10empty_typeEbEEZZNS1_14partition_implILS5_6ELb0ES3_mN6thrust23THRUST_200600_302600_NS6detail15normal_iteratorINSA_10device_ptrItEEEEPS6_SG_NS0_5tupleIJSF_S6_EEENSH_IJSG_SG_EEES6_PlJNSB_9not_fun_tI7is_trueItEEEEEE10hipError_tPvRmT3_T4_T5_T6_T7_T9_mT8_P12ihipStream_tbDpT10_ENKUlT_T0_E_clISt17integral_constantIbLb0EES18_EEDaS13_S14_EUlS13_E_NS1_11comp_targetILNS1_3genE0ELNS1_11target_archE4294967295ELNS1_3gpuE0ELNS1_3repE0EEENS1_30default_config_static_selectorELNS0_4arch9wavefront6targetE0EEEvT1_
	.p2align	8
	.type	_ZN7rocprim17ROCPRIM_400000_NS6detail17trampoline_kernelINS0_14default_configENS1_25partition_config_selectorILNS1_17partition_subalgoE6EtNS0_10empty_typeEbEEZZNS1_14partition_implILS5_6ELb0ES3_mN6thrust23THRUST_200600_302600_NS6detail15normal_iteratorINSA_10device_ptrItEEEEPS6_SG_NS0_5tupleIJSF_S6_EEENSH_IJSG_SG_EEES6_PlJNSB_9not_fun_tI7is_trueItEEEEEE10hipError_tPvRmT3_T4_T5_T6_T7_T9_mT8_P12ihipStream_tbDpT10_ENKUlT_T0_E_clISt17integral_constantIbLb0EES18_EEDaS13_S14_EUlS13_E_NS1_11comp_targetILNS1_3genE0ELNS1_11target_archE4294967295ELNS1_3gpuE0ELNS1_3repE0EEENS1_30default_config_static_selectorELNS0_4arch9wavefront6targetE0EEEvT1_,@function
_ZN7rocprim17ROCPRIM_400000_NS6detail17trampoline_kernelINS0_14default_configENS1_25partition_config_selectorILNS1_17partition_subalgoE6EtNS0_10empty_typeEbEEZZNS1_14partition_implILS5_6ELb0ES3_mN6thrust23THRUST_200600_302600_NS6detail15normal_iteratorINSA_10device_ptrItEEEEPS6_SG_NS0_5tupleIJSF_S6_EEENSH_IJSG_SG_EEES6_PlJNSB_9not_fun_tI7is_trueItEEEEEE10hipError_tPvRmT3_T4_T5_T6_T7_T9_mT8_P12ihipStream_tbDpT10_ENKUlT_T0_E_clISt17integral_constantIbLb0EES18_EEDaS13_S14_EUlS13_E_NS1_11comp_targetILNS1_3genE0ELNS1_11target_archE4294967295ELNS1_3gpuE0ELNS1_3repE0EEENS1_30default_config_static_selectorELNS0_4arch9wavefront6targetE0EEEvT1_: ; @_ZN7rocprim17ROCPRIM_400000_NS6detail17trampoline_kernelINS0_14default_configENS1_25partition_config_selectorILNS1_17partition_subalgoE6EtNS0_10empty_typeEbEEZZNS1_14partition_implILS5_6ELb0ES3_mN6thrust23THRUST_200600_302600_NS6detail15normal_iteratorINSA_10device_ptrItEEEEPS6_SG_NS0_5tupleIJSF_S6_EEENSH_IJSG_SG_EEES6_PlJNSB_9not_fun_tI7is_trueItEEEEEE10hipError_tPvRmT3_T4_T5_T6_T7_T9_mT8_P12ihipStream_tbDpT10_ENKUlT_T0_E_clISt17integral_constantIbLb0EES18_EEDaS13_S14_EUlS13_E_NS1_11comp_targetILNS1_3genE0ELNS1_11target_archE4294967295ELNS1_3gpuE0ELNS1_3repE0EEENS1_30default_config_static_selectorELNS0_4arch9wavefront6targetE0EEEvT1_
; %bb.0:
	.section	.rodata,"a",@progbits
	.p2align	6, 0x0
	.amdhsa_kernel _ZN7rocprim17ROCPRIM_400000_NS6detail17trampoline_kernelINS0_14default_configENS1_25partition_config_selectorILNS1_17partition_subalgoE6EtNS0_10empty_typeEbEEZZNS1_14partition_implILS5_6ELb0ES3_mN6thrust23THRUST_200600_302600_NS6detail15normal_iteratorINSA_10device_ptrItEEEEPS6_SG_NS0_5tupleIJSF_S6_EEENSH_IJSG_SG_EEES6_PlJNSB_9not_fun_tI7is_trueItEEEEEE10hipError_tPvRmT3_T4_T5_T6_T7_T9_mT8_P12ihipStream_tbDpT10_ENKUlT_T0_E_clISt17integral_constantIbLb0EES18_EEDaS13_S14_EUlS13_E_NS1_11comp_targetILNS1_3genE0ELNS1_11target_archE4294967295ELNS1_3gpuE0ELNS1_3repE0EEENS1_30default_config_static_selectorELNS0_4arch9wavefront6targetE0EEEvT1_
		.amdhsa_group_segment_fixed_size 0
		.amdhsa_private_segment_fixed_size 0
		.amdhsa_kernarg_size 112
		.amdhsa_user_sgpr_count 2
		.amdhsa_user_sgpr_dispatch_ptr 0
		.amdhsa_user_sgpr_queue_ptr 0
		.amdhsa_user_sgpr_kernarg_segment_ptr 1
		.amdhsa_user_sgpr_dispatch_id 0
		.amdhsa_user_sgpr_private_segment_size 0
		.amdhsa_wavefront_size32 1
		.amdhsa_uses_dynamic_stack 0
		.amdhsa_enable_private_segment 0
		.amdhsa_system_sgpr_workgroup_id_x 1
		.amdhsa_system_sgpr_workgroup_id_y 0
		.amdhsa_system_sgpr_workgroup_id_z 0
		.amdhsa_system_sgpr_workgroup_info 0
		.amdhsa_system_vgpr_workitem_id 0
		.amdhsa_next_free_vgpr 1
		.amdhsa_next_free_sgpr 1
		.amdhsa_reserve_vcc 0
		.amdhsa_float_round_mode_32 0
		.amdhsa_float_round_mode_16_64 0
		.amdhsa_float_denorm_mode_32 3
		.amdhsa_float_denorm_mode_16_64 3
		.amdhsa_fp16_overflow 0
		.amdhsa_workgroup_processor_mode 1
		.amdhsa_memory_ordered 1
		.amdhsa_forward_progress 1
		.amdhsa_inst_pref_size 0
		.amdhsa_round_robin_scheduling 0
		.amdhsa_exception_fp_ieee_invalid_op 0
		.amdhsa_exception_fp_denorm_src 0
		.amdhsa_exception_fp_ieee_div_zero 0
		.amdhsa_exception_fp_ieee_overflow 0
		.amdhsa_exception_fp_ieee_underflow 0
		.amdhsa_exception_fp_ieee_inexact 0
		.amdhsa_exception_int_div_zero 0
	.end_amdhsa_kernel
	.section	.text._ZN7rocprim17ROCPRIM_400000_NS6detail17trampoline_kernelINS0_14default_configENS1_25partition_config_selectorILNS1_17partition_subalgoE6EtNS0_10empty_typeEbEEZZNS1_14partition_implILS5_6ELb0ES3_mN6thrust23THRUST_200600_302600_NS6detail15normal_iteratorINSA_10device_ptrItEEEEPS6_SG_NS0_5tupleIJSF_S6_EEENSH_IJSG_SG_EEES6_PlJNSB_9not_fun_tI7is_trueItEEEEEE10hipError_tPvRmT3_T4_T5_T6_T7_T9_mT8_P12ihipStream_tbDpT10_ENKUlT_T0_E_clISt17integral_constantIbLb0EES18_EEDaS13_S14_EUlS13_E_NS1_11comp_targetILNS1_3genE0ELNS1_11target_archE4294967295ELNS1_3gpuE0ELNS1_3repE0EEENS1_30default_config_static_selectorELNS0_4arch9wavefront6targetE0EEEvT1_,"axG",@progbits,_ZN7rocprim17ROCPRIM_400000_NS6detail17trampoline_kernelINS0_14default_configENS1_25partition_config_selectorILNS1_17partition_subalgoE6EtNS0_10empty_typeEbEEZZNS1_14partition_implILS5_6ELb0ES3_mN6thrust23THRUST_200600_302600_NS6detail15normal_iteratorINSA_10device_ptrItEEEEPS6_SG_NS0_5tupleIJSF_S6_EEENSH_IJSG_SG_EEES6_PlJNSB_9not_fun_tI7is_trueItEEEEEE10hipError_tPvRmT3_T4_T5_T6_T7_T9_mT8_P12ihipStream_tbDpT10_ENKUlT_T0_E_clISt17integral_constantIbLb0EES18_EEDaS13_S14_EUlS13_E_NS1_11comp_targetILNS1_3genE0ELNS1_11target_archE4294967295ELNS1_3gpuE0ELNS1_3repE0EEENS1_30default_config_static_selectorELNS0_4arch9wavefront6targetE0EEEvT1_,comdat
.Lfunc_end1173:
	.size	_ZN7rocprim17ROCPRIM_400000_NS6detail17trampoline_kernelINS0_14default_configENS1_25partition_config_selectorILNS1_17partition_subalgoE6EtNS0_10empty_typeEbEEZZNS1_14partition_implILS5_6ELb0ES3_mN6thrust23THRUST_200600_302600_NS6detail15normal_iteratorINSA_10device_ptrItEEEEPS6_SG_NS0_5tupleIJSF_S6_EEENSH_IJSG_SG_EEES6_PlJNSB_9not_fun_tI7is_trueItEEEEEE10hipError_tPvRmT3_T4_T5_T6_T7_T9_mT8_P12ihipStream_tbDpT10_ENKUlT_T0_E_clISt17integral_constantIbLb0EES18_EEDaS13_S14_EUlS13_E_NS1_11comp_targetILNS1_3genE0ELNS1_11target_archE4294967295ELNS1_3gpuE0ELNS1_3repE0EEENS1_30default_config_static_selectorELNS0_4arch9wavefront6targetE0EEEvT1_, .Lfunc_end1173-_ZN7rocprim17ROCPRIM_400000_NS6detail17trampoline_kernelINS0_14default_configENS1_25partition_config_selectorILNS1_17partition_subalgoE6EtNS0_10empty_typeEbEEZZNS1_14partition_implILS5_6ELb0ES3_mN6thrust23THRUST_200600_302600_NS6detail15normal_iteratorINSA_10device_ptrItEEEEPS6_SG_NS0_5tupleIJSF_S6_EEENSH_IJSG_SG_EEES6_PlJNSB_9not_fun_tI7is_trueItEEEEEE10hipError_tPvRmT3_T4_T5_T6_T7_T9_mT8_P12ihipStream_tbDpT10_ENKUlT_T0_E_clISt17integral_constantIbLb0EES18_EEDaS13_S14_EUlS13_E_NS1_11comp_targetILNS1_3genE0ELNS1_11target_archE4294967295ELNS1_3gpuE0ELNS1_3repE0EEENS1_30default_config_static_selectorELNS0_4arch9wavefront6targetE0EEEvT1_
                                        ; -- End function
	.set _ZN7rocprim17ROCPRIM_400000_NS6detail17trampoline_kernelINS0_14default_configENS1_25partition_config_selectorILNS1_17partition_subalgoE6EtNS0_10empty_typeEbEEZZNS1_14partition_implILS5_6ELb0ES3_mN6thrust23THRUST_200600_302600_NS6detail15normal_iteratorINSA_10device_ptrItEEEEPS6_SG_NS0_5tupleIJSF_S6_EEENSH_IJSG_SG_EEES6_PlJNSB_9not_fun_tI7is_trueItEEEEEE10hipError_tPvRmT3_T4_T5_T6_T7_T9_mT8_P12ihipStream_tbDpT10_ENKUlT_T0_E_clISt17integral_constantIbLb0EES18_EEDaS13_S14_EUlS13_E_NS1_11comp_targetILNS1_3genE0ELNS1_11target_archE4294967295ELNS1_3gpuE0ELNS1_3repE0EEENS1_30default_config_static_selectorELNS0_4arch9wavefront6targetE0EEEvT1_.num_vgpr, 0
	.set _ZN7rocprim17ROCPRIM_400000_NS6detail17trampoline_kernelINS0_14default_configENS1_25partition_config_selectorILNS1_17partition_subalgoE6EtNS0_10empty_typeEbEEZZNS1_14partition_implILS5_6ELb0ES3_mN6thrust23THRUST_200600_302600_NS6detail15normal_iteratorINSA_10device_ptrItEEEEPS6_SG_NS0_5tupleIJSF_S6_EEENSH_IJSG_SG_EEES6_PlJNSB_9not_fun_tI7is_trueItEEEEEE10hipError_tPvRmT3_T4_T5_T6_T7_T9_mT8_P12ihipStream_tbDpT10_ENKUlT_T0_E_clISt17integral_constantIbLb0EES18_EEDaS13_S14_EUlS13_E_NS1_11comp_targetILNS1_3genE0ELNS1_11target_archE4294967295ELNS1_3gpuE0ELNS1_3repE0EEENS1_30default_config_static_selectorELNS0_4arch9wavefront6targetE0EEEvT1_.num_agpr, 0
	.set _ZN7rocprim17ROCPRIM_400000_NS6detail17trampoline_kernelINS0_14default_configENS1_25partition_config_selectorILNS1_17partition_subalgoE6EtNS0_10empty_typeEbEEZZNS1_14partition_implILS5_6ELb0ES3_mN6thrust23THRUST_200600_302600_NS6detail15normal_iteratorINSA_10device_ptrItEEEEPS6_SG_NS0_5tupleIJSF_S6_EEENSH_IJSG_SG_EEES6_PlJNSB_9not_fun_tI7is_trueItEEEEEE10hipError_tPvRmT3_T4_T5_T6_T7_T9_mT8_P12ihipStream_tbDpT10_ENKUlT_T0_E_clISt17integral_constantIbLb0EES18_EEDaS13_S14_EUlS13_E_NS1_11comp_targetILNS1_3genE0ELNS1_11target_archE4294967295ELNS1_3gpuE0ELNS1_3repE0EEENS1_30default_config_static_selectorELNS0_4arch9wavefront6targetE0EEEvT1_.numbered_sgpr, 0
	.set _ZN7rocprim17ROCPRIM_400000_NS6detail17trampoline_kernelINS0_14default_configENS1_25partition_config_selectorILNS1_17partition_subalgoE6EtNS0_10empty_typeEbEEZZNS1_14partition_implILS5_6ELb0ES3_mN6thrust23THRUST_200600_302600_NS6detail15normal_iteratorINSA_10device_ptrItEEEEPS6_SG_NS0_5tupleIJSF_S6_EEENSH_IJSG_SG_EEES6_PlJNSB_9not_fun_tI7is_trueItEEEEEE10hipError_tPvRmT3_T4_T5_T6_T7_T9_mT8_P12ihipStream_tbDpT10_ENKUlT_T0_E_clISt17integral_constantIbLb0EES18_EEDaS13_S14_EUlS13_E_NS1_11comp_targetILNS1_3genE0ELNS1_11target_archE4294967295ELNS1_3gpuE0ELNS1_3repE0EEENS1_30default_config_static_selectorELNS0_4arch9wavefront6targetE0EEEvT1_.num_named_barrier, 0
	.set _ZN7rocprim17ROCPRIM_400000_NS6detail17trampoline_kernelINS0_14default_configENS1_25partition_config_selectorILNS1_17partition_subalgoE6EtNS0_10empty_typeEbEEZZNS1_14partition_implILS5_6ELb0ES3_mN6thrust23THRUST_200600_302600_NS6detail15normal_iteratorINSA_10device_ptrItEEEEPS6_SG_NS0_5tupleIJSF_S6_EEENSH_IJSG_SG_EEES6_PlJNSB_9not_fun_tI7is_trueItEEEEEE10hipError_tPvRmT3_T4_T5_T6_T7_T9_mT8_P12ihipStream_tbDpT10_ENKUlT_T0_E_clISt17integral_constantIbLb0EES18_EEDaS13_S14_EUlS13_E_NS1_11comp_targetILNS1_3genE0ELNS1_11target_archE4294967295ELNS1_3gpuE0ELNS1_3repE0EEENS1_30default_config_static_selectorELNS0_4arch9wavefront6targetE0EEEvT1_.private_seg_size, 0
	.set _ZN7rocprim17ROCPRIM_400000_NS6detail17trampoline_kernelINS0_14default_configENS1_25partition_config_selectorILNS1_17partition_subalgoE6EtNS0_10empty_typeEbEEZZNS1_14partition_implILS5_6ELb0ES3_mN6thrust23THRUST_200600_302600_NS6detail15normal_iteratorINSA_10device_ptrItEEEEPS6_SG_NS0_5tupleIJSF_S6_EEENSH_IJSG_SG_EEES6_PlJNSB_9not_fun_tI7is_trueItEEEEEE10hipError_tPvRmT3_T4_T5_T6_T7_T9_mT8_P12ihipStream_tbDpT10_ENKUlT_T0_E_clISt17integral_constantIbLb0EES18_EEDaS13_S14_EUlS13_E_NS1_11comp_targetILNS1_3genE0ELNS1_11target_archE4294967295ELNS1_3gpuE0ELNS1_3repE0EEENS1_30default_config_static_selectorELNS0_4arch9wavefront6targetE0EEEvT1_.uses_vcc, 0
	.set _ZN7rocprim17ROCPRIM_400000_NS6detail17trampoline_kernelINS0_14default_configENS1_25partition_config_selectorILNS1_17partition_subalgoE6EtNS0_10empty_typeEbEEZZNS1_14partition_implILS5_6ELb0ES3_mN6thrust23THRUST_200600_302600_NS6detail15normal_iteratorINSA_10device_ptrItEEEEPS6_SG_NS0_5tupleIJSF_S6_EEENSH_IJSG_SG_EEES6_PlJNSB_9not_fun_tI7is_trueItEEEEEE10hipError_tPvRmT3_T4_T5_T6_T7_T9_mT8_P12ihipStream_tbDpT10_ENKUlT_T0_E_clISt17integral_constantIbLb0EES18_EEDaS13_S14_EUlS13_E_NS1_11comp_targetILNS1_3genE0ELNS1_11target_archE4294967295ELNS1_3gpuE0ELNS1_3repE0EEENS1_30default_config_static_selectorELNS0_4arch9wavefront6targetE0EEEvT1_.uses_flat_scratch, 0
	.set _ZN7rocprim17ROCPRIM_400000_NS6detail17trampoline_kernelINS0_14default_configENS1_25partition_config_selectorILNS1_17partition_subalgoE6EtNS0_10empty_typeEbEEZZNS1_14partition_implILS5_6ELb0ES3_mN6thrust23THRUST_200600_302600_NS6detail15normal_iteratorINSA_10device_ptrItEEEEPS6_SG_NS0_5tupleIJSF_S6_EEENSH_IJSG_SG_EEES6_PlJNSB_9not_fun_tI7is_trueItEEEEEE10hipError_tPvRmT3_T4_T5_T6_T7_T9_mT8_P12ihipStream_tbDpT10_ENKUlT_T0_E_clISt17integral_constantIbLb0EES18_EEDaS13_S14_EUlS13_E_NS1_11comp_targetILNS1_3genE0ELNS1_11target_archE4294967295ELNS1_3gpuE0ELNS1_3repE0EEENS1_30default_config_static_selectorELNS0_4arch9wavefront6targetE0EEEvT1_.has_dyn_sized_stack, 0
	.set _ZN7rocprim17ROCPRIM_400000_NS6detail17trampoline_kernelINS0_14default_configENS1_25partition_config_selectorILNS1_17partition_subalgoE6EtNS0_10empty_typeEbEEZZNS1_14partition_implILS5_6ELb0ES3_mN6thrust23THRUST_200600_302600_NS6detail15normal_iteratorINSA_10device_ptrItEEEEPS6_SG_NS0_5tupleIJSF_S6_EEENSH_IJSG_SG_EEES6_PlJNSB_9not_fun_tI7is_trueItEEEEEE10hipError_tPvRmT3_T4_T5_T6_T7_T9_mT8_P12ihipStream_tbDpT10_ENKUlT_T0_E_clISt17integral_constantIbLb0EES18_EEDaS13_S14_EUlS13_E_NS1_11comp_targetILNS1_3genE0ELNS1_11target_archE4294967295ELNS1_3gpuE0ELNS1_3repE0EEENS1_30default_config_static_selectorELNS0_4arch9wavefront6targetE0EEEvT1_.has_recursion, 0
	.set _ZN7rocprim17ROCPRIM_400000_NS6detail17trampoline_kernelINS0_14default_configENS1_25partition_config_selectorILNS1_17partition_subalgoE6EtNS0_10empty_typeEbEEZZNS1_14partition_implILS5_6ELb0ES3_mN6thrust23THRUST_200600_302600_NS6detail15normal_iteratorINSA_10device_ptrItEEEEPS6_SG_NS0_5tupleIJSF_S6_EEENSH_IJSG_SG_EEES6_PlJNSB_9not_fun_tI7is_trueItEEEEEE10hipError_tPvRmT3_T4_T5_T6_T7_T9_mT8_P12ihipStream_tbDpT10_ENKUlT_T0_E_clISt17integral_constantIbLb0EES18_EEDaS13_S14_EUlS13_E_NS1_11comp_targetILNS1_3genE0ELNS1_11target_archE4294967295ELNS1_3gpuE0ELNS1_3repE0EEENS1_30default_config_static_selectorELNS0_4arch9wavefront6targetE0EEEvT1_.has_indirect_call, 0
	.section	.AMDGPU.csdata,"",@progbits
; Kernel info:
; codeLenInByte = 0
; TotalNumSgprs: 0
; NumVgprs: 0
; ScratchSize: 0
; MemoryBound: 0
; FloatMode: 240
; IeeeMode: 1
; LDSByteSize: 0 bytes/workgroup (compile time only)
; SGPRBlocks: 0
; VGPRBlocks: 0
; NumSGPRsForWavesPerEU: 1
; NumVGPRsForWavesPerEU: 1
; Occupancy: 16
; WaveLimiterHint : 0
; COMPUTE_PGM_RSRC2:SCRATCH_EN: 0
; COMPUTE_PGM_RSRC2:USER_SGPR: 2
; COMPUTE_PGM_RSRC2:TRAP_HANDLER: 0
; COMPUTE_PGM_RSRC2:TGID_X_EN: 1
; COMPUTE_PGM_RSRC2:TGID_Y_EN: 0
; COMPUTE_PGM_RSRC2:TGID_Z_EN: 0
; COMPUTE_PGM_RSRC2:TIDIG_COMP_CNT: 0
	.section	.text._ZN7rocprim17ROCPRIM_400000_NS6detail17trampoline_kernelINS0_14default_configENS1_25partition_config_selectorILNS1_17partition_subalgoE6EtNS0_10empty_typeEbEEZZNS1_14partition_implILS5_6ELb0ES3_mN6thrust23THRUST_200600_302600_NS6detail15normal_iteratorINSA_10device_ptrItEEEEPS6_SG_NS0_5tupleIJSF_S6_EEENSH_IJSG_SG_EEES6_PlJNSB_9not_fun_tI7is_trueItEEEEEE10hipError_tPvRmT3_T4_T5_T6_T7_T9_mT8_P12ihipStream_tbDpT10_ENKUlT_T0_E_clISt17integral_constantIbLb0EES18_EEDaS13_S14_EUlS13_E_NS1_11comp_targetILNS1_3genE5ELNS1_11target_archE942ELNS1_3gpuE9ELNS1_3repE0EEENS1_30default_config_static_selectorELNS0_4arch9wavefront6targetE0EEEvT1_,"axG",@progbits,_ZN7rocprim17ROCPRIM_400000_NS6detail17trampoline_kernelINS0_14default_configENS1_25partition_config_selectorILNS1_17partition_subalgoE6EtNS0_10empty_typeEbEEZZNS1_14partition_implILS5_6ELb0ES3_mN6thrust23THRUST_200600_302600_NS6detail15normal_iteratorINSA_10device_ptrItEEEEPS6_SG_NS0_5tupleIJSF_S6_EEENSH_IJSG_SG_EEES6_PlJNSB_9not_fun_tI7is_trueItEEEEEE10hipError_tPvRmT3_T4_T5_T6_T7_T9_mT8_P12ihipStream_tbDpT10_ENKUlT_T0_E_clISt17integral_constantIbLb0EES18_EEDaS13_S14_EUlS13_E_NS1_11comp_targetILNS1_3genE5ELNS1_11target_archE942ELNS1_3gpuE9ELNS1_3repE0EEENS1_30default_config_static_selectorELNS0_4arch9wavefront6targetE0EEEvT1_,comdat
	.protected	_ZN7rocprim17ROCPRIM_400000_NS6detail17trampoline_kernelINS0_14default_configENS1_25partition_config_selectorILNS1_17partition_subalgoE6EtNS0_10empty_typeEbEEZZNS1_14partition_implILS5_6ELb0ES3_mN6thrust23THRUST_200600_302600_NS6detail15normal_iteratorINSA_10device_ptrItEEEEPS6_SG_NS0_5tupleIJSF_S6_EEENSH_IJSG_SG_EEES6_PlJNSB_9not_fun_tI7is_trueItEEEEEE10hipError_tPvRmT3_T4_T5_T6_T7_T9_mT8_P12ihipStream_tbDpT10_ENKUlT_T0_E_clISt17integral_constantIbLb0EES18_EEDaS13_S14_EUlS13_E_NS1_11comp_targetILNS1_3genE5ELNS1_11target_archE942ELNS1_3gpuE9ELNS1_3repE0EEENS1_30default_config_static_selectorELNS0_4arch9wavefront6targetE0EEEvT1_ ; -- Begin function _ZN7rocprim17ROCPRIM_400000_NS6detail17trampoline_kernelINS0_14default_configENS1_25partition_config_selectorILNS1_17partition_subalgoE6EtNS0_10empty_typeEbEEZZNS1_14partition_implILS5_6ELb0ES3_mN6thrust23THRUST_200600_302600_NS6detail15normal_iteratorINSA_10device_ptrItEEEEPS6_SG_NS0_5tupleIJSF_S6_EEENSH_IJSG_SG_EEES6_PlJNSB_9not_fun_tI7is_trueItEEEEEE10hipError_tPvRmT3_T4_T5_T6_T7_T9_mT8_P12ihipStream_tbDpT10_ENKUlT_T0_E_clISt17integral_constantIbLb0EES18_EEDaS13_S14_EUlS13_E_NS1_11comp_targetILNS1_3genE5ELNS1_11target_archE942ELNS1_3gpuE9ELNS1_3repE0EEENS1_30default_config_static_selectorELNS0_4arch9wavefront6targetE0EEEvT1_
	.globl	_ZN7rocprim17ROCPRIM_400000_NS6detail17trampoline_kernelINS0_14default_configENS1_25partition_config_selectorILNS1_17partition_subalgoE6EtNS0_10empty_typeEbEEZZNS1_14partition_implILS5_6ELb0ES3_mN6thrust23THRUST_200600_302600_NS6detail15normal_iteratorINSA_10device_ptrItEEEEPS6_SG_NS0_5tupleIJSF_S6_EEENSH_IJSG_SG_EEES6_PlJNSB_9not_fun_tI7is_trueItEEEEEE10hipError_tPvRmT3_T4_T5_T6_T7_T9_mT8_P12ihipStream_tbDpT10_ENKUlT_T0_E_clISt17integral_constantIbLb0EES18_EEDaS13_S14_EUlS13_E_NS1_11comp_targetILNS1_3genE5ELNS1_11target_archE942ELNS1_3gpuE9ELNS1_3repE0EEENS1_30default_config_static_selectorELNS0_4arch9wavefront6targetE0EEEvT1_
	.p2align	8
	.type	_ZN7rocprim17ROCPRIM_400000_NS6detail17trampoline_kernelINS0_14default_configENS1_25partition_config_selectorILNS1_17partition_subalgoE6EtNS0_10empty_typeEbEEZZNS1_14partition_implILS5_6ELb0ES3_mN6thrust23THRUST_200600_302600_NS6detail15normal_iteratorINSA_10device_ptrItEEEEPS6_SG_NS0_5tupleIJSF_S6_EEENSH_IJSG_SG_EEES6_PlJNSB_9not_fun_tI7is_trueItEEEEEE10hipError_tPvRmT3_T4_T5_T6_T7_T9_mT8_P12ihipStream_tbDpT10_ENKUlT_T0_E_clISt17integral_constantIbLb0EES18_EEDaS13_S14_EUlS13_E_NS1_11comp_targetILNS1_3genE5ELNS1_11target_archE942ELNS1_3gpuE9ELNS1_3repE0EEENS1_30default_config_static_selectorELNS0_4arch9wavefront6targetE0EEEvT1_,@function
_ZN7rocprim17ROCPRIM_400000_NS6detail17trampoline_kernelINS0_14default_configENS1_25partition_config_selectorILNS1_17partition_subalgoE6EtNS0_10empty_typeEbEEZZNS1_14partition_implILS5_6ELb0ES3_mN6thrust23THRUST_200600_302600_NS6detail15normal_iteratorINSA_10device_ptrItEEEEPS6_SG_NS0_5tupleIJSF_S6_EEENSH_IJSG_SG_EEES6_PlJNSB_9not_fun_tI7is_trueItEEEEEE10hipError_tPvRmT3_T4_T5_T6_T7_T9_mT8_P12ihipStream_tbDpT10_ENKUlT_T0_E_clISt17integral_constantIbLb0EES18_EEDaS13_S14_EUlS13_E_NS1_11comp_targetILNS1_3genE5ELNS1_11target_archE942ELNS1_3gpuE9ELNS1_3repE0EEENS1_30default_config_static_selectorELNS0_4arch9wavefront6targetE0EEEvT1_: ; @_ZN7rocprim17ROCPRIM_400000_NS6detail17trampoline_kernelINS0_14default_configENS1_25partition_config_selectorILNS1_17partition_subalgoE6EtNS0_10empty_typeEbEEZZNS1_14partition_implILS5_6ELb0ES3_mN6thrust23THRUST_200600_302600_NS6detail15normal_iteratorINSA_10device_ptrItEEEEPS6_SG_NS0_5tupleIJSF_S6_EEENSH_IJSG_SG_EEES6_PlJNSB_9not_fun_tI7is_trueItEEEEEE10hipError_tPvRmT3_T4_T5_T6_T7_T9_mT8_P12ihipStream_tbDpT10_ENKUlT_T0_E_clISt17integral_constantIbLb0EES18_EEDaS13_S14_EUlS13_E_NS1_11comp_targetILNS1_3genE5ELNS1_11target_archE942ELNS1_3gpuE9ELNS1_3repE0EEENS1_30default_config_static_selectorELNS0_4arch9wavefront6targetE0EEEvT1_
; %bb.0:
	.section	.rodata,"a",@progbits
	.p2align	6, 0x0
	.amdhsa_kernel _ZN7rocprim17ROCPRIM_400000_NS6detail17trampoline_kernelINS0_14default_configENS1_25partition_config_selectorILNS1_17partition_subalgoE6EtNS0_10empty_typeEbEEZZNS1_14partition_implILS5_6ELb0ES3_mN6thrust23THRUST_200600_302600_NS6detail15normal_iteratorINSA_10device_ptrItEEEEPS6_SG_NS0_5tupleIJSF_S6_EEENSH_IJSG_SG_EEES6_PlJNSB_9not_fun_tI7is_trueItEEEEEE10hipError_tPvRmT3_T4_T5_T6_T7_T9_mT8_P12ihipStream_tbDpT10_ENKUlT_T0_E_clISt17integral_constantIbLb0EES18_EEDaS13_S14_EUlS13_E_NS1_11comp_targetILNS1_3genE5ELNS1_11target_archE942ELNS1_3gpuE9ELNS1_3repE0EEENS1_30default_config_static_selectorELNS0_4arch9wavefront6targetE0EEEvT1_
		.amdhsa_group_segment_fixed_size 0
		.amdhsa_private_segment_fixed_size 0
		.amdhsa_kernarg_size 112
		.amdhsa_user_sgpr_count 2
		.amdhsa_user_sgpr_dispatch_ptr 0
		.amdhsa_user_sgpr_queue_ptr 0
		.amdhsa_user_sgpr_kernarg_segment_ptr 1
		.amdhsa_user_sgpr_dispatch_id 0
		.amdhsa_user_sgpr_private_segment_size 0
		.amdhsa_wavefront_size32 1
		.amdhsa_uses_dynamic_stack 0
		.amdhsa_enable_private_segment 0
		.amdhsa_system_sgpr_workgroup_id_x 1
		.amdhsa_system_sgpr_workgroup_id_y 0
		.amdhsa_system_sgpr_workgroup_id_z 0
		.amdhsa_system_sgpr_workgroup_info 0
		.amdhsa_system_vgpr_workitem_id 0
		.amdhsa_next_free_vgpr 1
		.amdhsa_next_free_sgpr 1
		.amdhsa_reserve_vcc 0
		.amdhsa_float_round_mode_32 0
		.amdhsa_float_round_mode_16_64 0
		.amdhsa_float_denorm_mode_32 3
		.amdhsa_float_denorm_mode_16_64 3
		.amdhsa_fp16_overflow 0
		.amdhsa_workgroup_processor_mode 1
		.amdhsa_memory_ordered 1
		.amdhsa_forward_progress 1
		.amdhsa_inst_pref_size 0
		.amdhsa_round_robin_scheduling 0
		.amdhsa_exception_fp_ieee_invalid_op 0
		.amdhsa_exception_fp_denorm_src 0
		.amdhsa_exception_fp_ieee_div_zero 0
		.amdhsa_exception_fp_ieee_overflow 0
		.amdhsa_exception_fp_ieee_underflow 0
		.amdhsa_exception_fp_ieee_inexact 0
		.amdhsa_exception_int_div_zero 0
	.end_amdhsa_kernel
	.section	.text._ZN7rocprim17ROCPRIM_400000_NS6detail17trampoline_kernelINS0_14default_configENS1_25partition_config_selectorILNS1_17partition_subalgoE6EtNS0_10empty_typeEbEEZZNS1_14partition_implILS5_6ELb0ES3_mN6thrust23THRUST_200600_302600_NS6detail15normal_iteratorINSA_10device_ptrItEEEEPS6_SG_NS0_5tupleIJSF_S6_EEENSH_IJSG_SG_EEES6_PlJNSB_9not_fun_tI7is_trueItEEEEEE10hipError_tPvRmT3_T4_T5_T6_T7_T9_mT8_P12ihipStream_tbDpT10_ENKUlT_T0_E_clISt17integral_constantIbLb0EES18_EEDaS13_S14_EUlS13_E_NS1_11comp_targetILNS1_3genE5ELNS1_11target_archE942ELNS1_3gpuE9ELNS1_3repE0EEENS1_30default_config_static_selectorELNS0_4arch9wavefront6targetE0EEEvT1_,"axG",@progbits,_ZN7rocprim17ROCPRIM_400000_NS6detail17trampoline_kernelINS0_14default_configENS1_25partition_config_selectorILNS1_17partition_subalgoE6EtNS0_10empty_typeEbEEZZNS1_14partition_implILS5_6ELb0ES3_mN6thrust23THRUST_200600_302600_NS6detail15normal_iteratorINSA_10device_ptrItEEEEPS6_SG_NS0_5tupleIJSF_S6_EEENSH_IJSG_SG_EEES6_PlJNSB_9not_fun_tI7is_trueItEEEEEE10hipError_tPvRmT3_T4_T5_T6_T7_T9_mT8_P12ihipStream_tbDpT10_ENKUlT_T0_E_clISt17integral_constantIbLb0EES18_EEDaS13_S14_EUlS13_E_NS1_11comp_targetILNS1_3genE5ELNS1_11target_archE942ELNS1_3gpuE9ELNS1_3repE0EEENS1_30default_config_static_selectorELNS0_4arch9wavefront6targetE0EEEvT1_,comdat
.Lfunc_end1174:
	.size	_ZN7rocprim17ROCPRIM_400000_NS6detail17trampoline_kernelINS0_14default_configENS1_25partition_config_selectorILNS1_17partition_subalgoE6EtNS0_10empty_typeEbEEZZNS1_14partition_implILS5_6ELb0ES3_mN6thrust23THRUST_200600_302600_NS6detail15normal_iteratorINSA_10device_ptrItEEEEPS6_SG_NS0_5tupleIJSF_S6_EEENSH_IJSG_SG_EEES6_PlJNSB_9not_fun_tI7is_trueItEEEEEE10hipError_tPvRmT3_T4_T5_T6_T7_T9_mT8_P12ihipStream_tbDpT10_ENKUlT_T0_E_clISt17integral_constantIbLb0EES18_EEDaS13_S14_EUlS13_E_NS1_11comp_targetILNS1_3genE5ELNS1_11target_archE942ELNS1_3gpuE9ELNS1_3repE0EEENS1_30default_config_static_selectorELNS0_4arch9wavefront6targetE0EEEvT1_, .Lfunc_end1174-_ZN7rocprim17ROCPRIM_400000_NS6detail17trampoline_kernelINS0_14default_configENS1_25partition_config_selectorILNS1_17partition_subalgoE6EtNS0_10empty_typeEbEEZZNS1_14partition_implILS5_6ELb0ES3_mN6thrust23THRUST_200600_302600_NS6detail15normal_iteratorINSA_10device_ptrItEEEEPS6_SG_NS0_5tupleIJSF_S6_EEENSH_IJSG_SG_EEES6_PlJNSB_9not_fun_tI7is_trueItEEEEEE10hipError_tPvRmT3_T4_T5_T6_T7_T9_mT8_P12ihipStream_tbDpT10_ENKUlT_T0_E_clISt17integral_constantIbLb0EES18_EEDaS13_S14_EUlS13_E_NS1_11comp_targetILNS1_3genE5ELNS1_11target_archE942ELNS1_3gpuE9ELNS1_3repE0EEENS1_30default_config_static_selectorELNS0_4arch9wavefront6targetE0EEEvT1_
                                        ; -- End function
	.set _ZN7rocprim17ROCPRIM_400000_NS6detail17trampoline_kernelINS0_14default_configENS1_25partition_config_selectorILNS1_17partition_subalgoE6EtNS0_10empty_typeEbEEZZNS1_14partition_implILS5_6ELb0ES3_mN6thrust23THRUST_200600_302600_NS6detail15normal_iteratorINSA_10device_ptrItEEEEPS6_SG_NS0_5tupleIJSF_S6_EEENSH_IJSG_SG_EEES6_PlJNSB_9not_fun_tI7is_trueItEEEEEE10hipError_tPvRmT3_T4_T5_T6_T7_T9_mT8_P12ihipStream_tbDpT10_ENKUlT_T0_E_clISt17integral_constantIbLb0EES18_EEDaS13_S14_EUlS13_E_NS1_11comp_targetILNS1_3genE5ELNS1_11target_archE942ELNS1_3gpuE9ELNS1_3repE0EEENS1_30default_config_static_selectorELNS0_4arch9wavefront6targetE0EEEvT1_.num_vgpr, 0
	.set _ZN7rocprim17ROCPRIM_400000_NS6detail17trampoline_kernelINS0_14default_configENS1_25partition_config_selectorILNS1_17partition_subalgoE6EtNS0_10empty_typeEbEEZZNS1_14partition_implILS5_6ELb0ES3_mN6thrust23THRUST_200600_302600_NS6detail15normal_iteratorINSA_10device_ptrItEEEEPS6_SG_NS0_5tupleIJSF_S6_EEENSH_IJSG_SG_EEES6_PlJNSB_9not_fun_tI7is_trueItEEEEEE10hipError_tPvRmT3_T4_T5_T6_T7_T9_mT8_P12ihipStream_tbDpT10_ENKUlT_T0_E_clISt17integral_constantIbLb0EES18_EEDaS13_S14_EUlS13_E_NS1_11comp_targetILNS1_3genE5ELNS1_11target_archE942ELNS1_3gpuE9ELNS1_3repE0EEENS1_30default_config_static_selectorELNS0_4arch9wavefront6targetE0EEEvT1_.num_agpr, 0
	.set _ZN7rocprim17ROCPRIM_400000_NS6detail17trampoline_kernelINS0_14default_configENS1_25partition_config_selectorILNS1_17partition_subalgoE6EtNS0_10empty_typeEbEEZZNS1_14partition_implILS5_6ELb0ES3_mN6thrust23THRUST_200600_302600_NS6detail15normal_iteratorINSA_10device_ptrItEEEEPS6_SG_NS0_5tupleIJSF_S6_EEENSH_IJSG_SG_EEES6_PlJNSB_9not_fun_tI7is_trueItEEEEEE10hipError_tPvRmT3_T4_T5_T6_T7_T9_mT8_P12ihipStream_tbDpT10_ENKUlT_T0_E_clISt17integral_constantIbLb0EES18_EEDaS13_S14_EUlS13_E_NS1_11comp_targetILNS1_3genE5ELNS1_11target_archE942ELNS1_3gpuE9ELNS1_3repE0EEENS1_30default_config_static_selectorELNS0_4arch9wavefront6targetE0EEEvT1_.numbered_sgpr, 0
	.set _ZN7rocprim17ROCPRIM_400000_NS6detail17trampoline_kernelINS0_14default_configENS1_25partition_config_selectorILNS1_17partition_subalgoE6EtNS0_10empty_typeEbEEZZNS1_14partition_implILS5_6ELb0ES3_mN6thrust23THRUST_200600_302600_NS6detail15normal_iteratorINSA_10device_ptrItEEEEPS6_SG_NS0_5tupleIJSF_S6_EEENSH_IJSG_SG_EEES6_PlJNSB_9not_fun_tI7is_trueItEEEEEE10hipError_tPvRmT3_T4_T5_T6_T7_T9_mT8_P12ihipStream_tbDpT10_ENKUlT_T0_E_clISt17integral_constantIbLb0EES18_EEDaS13_S14_EUlS13_E_NS1_11comp_targetILNS1_3genE5ELNS1_11target_archE942ELNS1_3gpuE9ELNS1_3repE0EEENS1_30default_config_static_selectorELNS0_4arch9wavefront6targetE0EEEvT1_.num_named_barrier, 0
	.set _ZN7rocprim17ROCPRIM_400000_NS6detail17trampoline_kernelINS0_14default_configENS1_25partition_config_selectorILNS1_17partition_subalgoE6EtNS0_10empty_typeEbEEZZNS1_14partition_implILS5_6ELb0ES3_mN6thrust23THRUST_200600_302600_NS6detail15normal_iteratorINSA_10device_ptrItEEEEPS6_SG_NS0_5tupleIJSF_S6_EEENSH_IJSG_SG_EEES6_PlJNSB_9not_fun_tI7is_trueItEEEEEE10hipError_tPvRmT3_T4_T5_T6_T7_T9_mT8_P12ihipStream_tbDpT10_ENKUlT_T0_E_clISt17integral_constantIbLb0EES18_EEDaS13_S14_EUlS13_E_NS1_11comp_targetILNS1_3genE5ELNS1_11target_archE942ELNS1_3gpuE9ELNS1_3repE0EEENS1_30default_config_static_selectorELNS0_4arch9wavefront6targetE0EEEvT1_.private_seg_size, 0
	.set _ZN7rocprim17ROCPRIM_400000_NS6detail17trampoline_kernelINS0_14default_configENS1_25partition_config_selectorILNS1_17partition_subalgoE6EtNS0_10empty_typeEbEEZZNS1_14partition_implILS5_6ELb0ES3_mN6thrust23THRUST_200600_302600_NS6detail15normal_iteratorINSA_10device_ptrItEEEEPS6_SG_NS0_5tupleIJSF_S6_EEENSH_IJSG_SG_EEES6_PlJNSB_9not_fun_tI7is_trueItEEEEEE10hipError_tPvRmT3_T4_T5_T6_T7_T9_mT8_P12ihipStream_tbDpT10_ENKUlT_T0_E_clISt17integral_constantIbLb0EES18_EEDaS13_S14_EUlS13_E_NS1_11comp_targetILNS1_3genE5ELNS1_11target_archE942ELNS1_3gpuE9ELNS1_3repE0EEENS1_30default_config_static_selectorELNS0_4arch9wavefront6targetE0EEEvT1_.uses_vcc, 0
	.set _ZN7rocprim17ROCPRIM_400000_NS6detail17trampoline_kernelINS0_14default_configENS1_25partition_config_selectorILNS1_17partition_subalgoE6EtNS0_10empty_typeEbEEZZNS1_14partition_implILS5_6ELb0ES3_mN6thrust23THRUST_200600_302600_NS6detail15normal_iteratorINSA_10device_ptrItEEEEPS6_SG_NS0_5tupleIJSF_S6_EEENSH_IJSG_SG_EEES6_PlJNSB_9not_fun_tI7is_trueItEEEEEE10hipError_tPvRmT3_T4_T5_T6_T7_T9_mT8_P12ihipStream_tbDpT10_ENKUlT_T0_E_clISt17integral_constantIbLb0EES18_EEDaS13_S14_EUlS13_E_NS1_11comp_targetILNS1_3genE5ELNS1_11target_archE942ELNS1_3gpuE9ELNS1_3repE0EEENS1_30default_config_static_selectorELNS0_4arch9wavefront6targetE0EEEvT1_.uses_flat_scratch, 0
	.set _ZN7rocprim17ROCPRIM_400000_NS6detail17trampoline_kernelINS0_14default_configENS1_25partition_config_selectorILNS1_17partition_subalgoE6EtNS0_10empty_typeEbEEZZNS1_14partition_implILS5_6ELb0ES3_mN6thrust23THRUST_200600_302600_NS6detail15normal_iteratorINSA_10device_ptrItEEEEPS6_SG_NS0_5tupleIJSF_S6_EEENSH_IJSG_SG_EEES6_PlJNSB_9not_fun_tI7is_trueItEEEEEE10hipError_tPvRmT3_T4_T5_T6_T7_T9_mT8_P12ihipStream_tbDpT10_ENKUlT_T0_E_clISt17integral_constantIbLb0EES18_EEDaS13_S14_EUlS13_E_NS1_11comp_targetILNS1_3genE5ELNS1_11target_archE942ELNS1_3gpuE9ELNS1_3repE0EEENS1_30default_config_static_selectorELNS0_4arch9wavefront6targetE0EEEvT1_.has_dyn_sized_stack, 0
	.set _ZN7rocprim17ROCPRIM_400000_NS6detail17trampoline_kernelINS0_14default_configENS1_25partition_config_selectorILNS1_17partition_subalgoE6EtNS0_10empty_typeEbEEZZNS1_14partition_implILS5_6ELb0ES3_mN6thrust23THRUST_200600_302600_NS6detail15normal_iteratorINSA_10device_ptrItEEEEPS6_SG_NS0_5tupleIJSF_S6_EEENSH_IJSG_SG_EEES6_PlJNSB_9not_fun_tI7is_trueItEEEEEE10hipError_tPvRmT3_T4_T5_T6_T7_T9_mT8_P12ihipStream_tbDpT10_ENKUlT_T0_E_clISt17integral_constantIbLb0EES18_EEDaS13_S14_EUlS13_E_NS1_11comp_targetILNS1_3genE5ELNS1_11target_archE942ELNS1_3gpuE9ELNS1_3repE0EEENS1_30default_config_static_selectorELNS0_4arch9wavefront6targetE0EEEvT1_.has_recursion, 0
	.set _ZN7rocprim17ROCPRIM_400000_NS6detail17trampoline_kernelINS0_14default_configENS1_25partition_config_selectorILNS1_17partition_subalgoE6EtNS0_10empty_typeEbEEZZNS1_14partition_implILS5_6ELb0ES3_mN6thrust23THRUST_200600_302600_NS6detail15normal_iteratorINSA_10device_ptrItEEEEPS6_SG_NS0_5tupleIJSF_S6_EEENSH_IJSG_SG_EEES6_PlJNSB_9not_fun_tI7is_trueItEEEEEE10hipError_tPvRmT3_T4_T5_T6_T7_T9_mT8_P12ihipStream_tbDpT10_ENKUlT_T0_E_clISt17integral_constantIbLb0EES18_EEDaS13_S14_EUlS13_E_NS1_11comp_targetILNS1_3genE5ELNS1_11target_archE942ELNS1_3gpuE9ELNS1_3repE0EEENS1_30default_config_static_selectorELNS0_4arch9wavefront6targetE0EEEvT1_.has_indirect_call, 0
	.section	.AMDGPU.csdata,"",@progbits
; Kernel info:
; codeLenInByte = 0
; TotalNumSgprs: 0
; NumVgprs: 0
; ScratchSize: 0
; MemoryBound: 0
; FloatMode: 240
; IeeeMode: 1
; LDSByteSize: 0 bytes/workgroup (compile time only)
; SGPRBlocks: 0
; VGPRBlocks: 0
; NumSGPRsForWavesPerEU: 1
; NumVGPRsForWavesPerEU: 1
; Occupancy: 16
; WaveLimiterHint : 0
; COMPUTE_PGM_RSRC2:SCRATCH_EN: 0
; COMPUTE_PGM_RSRC2:USER_SGPR: 2
; COMPUTE_PGM_RSRC2:TRAP_HANDLER: 0
; COMPUTE_PGM_RSRC2:TGID_X_EN: 1
; COMPUTE_PGM_RSRC2:TGID_Y_EN: 0
; COMPUTE_PGM_RSRC2:TGID_Z_EN: 0
; COMPUTE_PGM_RSRC2:TIDIG_COMP_CNT: 0
	.section	.text._ZN7rocprim17ROCPRIM_400000_NS6detail17trampoline_kernelINS0_14default_configENS1_25partition_config_selectorILNS1_17partition_subalgoE6EtNS0_10empty_typeEbEEZZNS1_14partition_implILS5_6ELb0ES3_mN6thrust23THRUST_200600_302600_NS6detail15normal_iteratorINSA_10device_ptrItEEEEPS6_SG_NS0_5tupleIJSF_S6_EEENSH_IJSG_SG_EEES6_PlJNSB_9not_fun_tI7is_trueItEEEEEE10hipError_tPvRmT3_T4_T5_T6_T7_T9_mT8_P12ihipStream_tbDpT10_ENKUlT_T0_E_clISt17integral_constantIbLb0EES18_EEDaS13_S14_EUlS13_E_NS1_11comp_targetILNS1_3genE4ELNS1_11target_archE910ELNS1_3gpuE8ELNS1_3repE0EEENS1_30default_config_static_selectorELNS0_4arch9wavefront6targetE0EEEvT1_,"axG",@progbits,_ZN7rocprim17ROCPRIM_400000_NS6detail17trampoline_kernelINS0_14default_configENS1_25partition_config_selectorILNS1_17partition_subalgoE6EtNS0_10empty_typeEbEEZZNS1_14partition_implILS5_6ELb0ES3_mN6thrust23THRUST_200600_302600_NS6detail15normal_iteratorINSA_10device_ptrItEEEEPS6_SG_NS0_5tupleIJSF_S6_EEENSH_IJSG_SG_EEES6_PlJNSB_9not_fun_tI7is_trueItEEEEEE10hipError_tPvRmT3_T4_T5_T6_T7_T9_mT8_P12ihipStream_tbDpT10_ENKUlT_T0_E_clISt17integral_constantIbLb0EES18_EEDaS13_S14_EUlS13_E_NS1_11comp_targetILNS1_3genE4ELNS1_11target_archE910ELNS1_3gpuE8ELNS1_3repE0EEENS1_30default_config_static_selectorELNS0_4arch9wavefront6targetE0EEEvT1_,comdat
	.protected	_ZN7rocprim17ROCPRIM_400000_NS6detail17trampoline_kernelINS0_14default_configENS1_25partition_config_selectorILNS1_17partition_subalgoE6EtNS0_10empty_typeEbEEZZNS1_14partition_implILS5_6ELb0ES3_mN6thrust23THRUST_200600_302600_NS6detail15normal_iteratorINSA_10device_ptrItEEEEPS6_SG_NS0_5tupleIJSF_S6_EEENSH_IJSG_SG_EEES6_PlJNSB_9not_fun_tI7is_trueItEEEEEE10hipError_tPvRmT3_T4_T5_T6_T7_T9_mT8_P12ihipStream_tbDpT10_ENKUlT_T0_E_clISt17integral_constantIbLb0EES18_EEDaS13_S14_EUlS13_E_NS1_11comp_targetILNS1_3genE4ELNS1_11target_archE910ELNS1_3gpuE8ELNS1_3repE0EEENS1_30default_config_static_selectorELNS0_4arch9wavefront6targetE0EEEvT1_ ; -- Begin function _ZN7rocprim17ROCPRIM_400000_NS6detail17trampoline_kernelINS0_14default_configENS1_25partition_config_selectorILNS1_17partition_subalgoE6EtNS0_10empty_typeEbEEZZNS1_14partition_implILS5_6ELb0ES3_mN6thrust23THRUST_200600_302600_NS6detail15normal_iteratorINSA_10device_ptrItEEEEPS6_SG_NS0_5tupleIJSF_S6_EEENSH_IJSG_SG_EEES6_PlJNSB_9not_fun_tI7is_trueItEEEEEE10hipError_tPvRmT3_T4_T5_T6_T7_T9_mT8_P12ihipStream_tbDpT10_ENKUlT_T0_E_clISt17integral_constantIbLb0EES18_EEDaS13_S14_EUlS13_E_NS1_11comp_targetILNS1_3genE4ELNS1_11target_archE910ELNS1_3gpuE8ELNS1_3repE0EEENS1_30default_config_static_selectorELNS0_4arch9wavefront6targetE0EEEvT1_
	.globl	_ZN7rocprim17ROCPRIM_400000_NS6detail17trampoline_kernelINS0_14default_configENS1_25partition_config_selectorILNS1_17partition_subalgoE6EtNS0_10empty_typeEbEEZZNS1_14partition_implILS5_6ELb0ES3_mN6thrust23THRUST_200600_302600_NS6detail15normal_iteratorINSA_10device_ptrItEEEEPS6_SG_NS0_5tupleIJSF_S6_EEENSH_IJSG_SG_EEES6_PlJNSB_9not_fun_tI7is_trueItEEEEEE10hipError_tPvRmT3_T4_T5_T6_T7_T9_mT8_P12ihipStream_tbDpT10_ENKUlT_T0_E_clISt17integral_constantIbLb0EES18_EEDaS13_S14_EUlS13_E_NS1_11comp_targetILNS1_3genE4ELNS1_11target_archE910ELNS1_3gpuE8ELNS1_3repE0EEENS1_30default_config_static_selectorELNS0_4arch9wavefront6targetE0EEEvT1_
	.p2align	8
	.type	_ZN7rocprim17ROCPRIM_400000_NS6detail17trampoline_kernelINS0_14default_configENS1_25partition_config_selectorILNS1_17partition_subalgoE6EtNS0_10empty_typeEbEEZZNS1_14partition_implILS5_6ELb0ES3_mN6thrust23THRUST_200600_302600_NS6detail15normal_iteratorINSA_10device_ptrItEEEEPS6_SG_NS0_5tupleIJSF_S6_EEENSH_IJSG_SG_EEES6_PlJNSB_9not_fun_tI7is_trueItEEEEEE10hipError_tPvRmT3_T4_T5_T6_T7_T9_mT8_P12ihipStream_tbDpT10_ENKUlT_T0_E_clISt17integral_constantIbLb0EES18_EEDaS13_S14_EUlS13_E_NS1_11comp_targetILNS1_3genE4ELNS1_11target_archE910ELNS1_3gpuE8ELNS1_3repE0EEENS1_30default_config_static_selectorELNS0_4arch9wavefront6targetE0EEEvT1_,@function
_ZN7rocprim17ROCPRIM_400000_NS6detail17trampoline_kernelINS0_14default_configENS1_25partition_config_selectorILNS1_17partition_subalgoE6EtNS0_10empty_typeEbEEZZNS1_14partition_implILS5_6ELb0ES3_mN6thrust23THRUST_200600_302600_NS6detail15normal_iteratorINSA_10device_ptrItEEEEPS6_SG_NS0_5tupleIJSF_S6_EEENSH_IJSG_SG_EEES6_PlJNSB_9not_fun_tI7is_trueItEEEEEE10hipError_tPvRmT3_T4_T5_T6_T7_T9_mT8_P12ihipStream_tbDpT10_ENKUlT_T0_E_clISt17integral_constantIbLb0EES18_EEDaS13_S14_EUlS13_E_NS1_11comp_targetILNS1_3genE4ELNS1_11target_archE910ELNS1_3gpuE8ELNS1_3repE0EEENS1_30default_config_static_selectorELNS0_4arch9wavefront6targetE0EEEvT1_: ; @_ZN7rocprim17ROCPRIM_400000_NS6detail17trampoline_kernelINS0_14default_configENS1_25partition_config_selectorILNS1_17partition_subalgoE6EtNS0_10empty_typeEbEEZZNS1_14partition_implILS5_6ELb0ES3_mN6thrust23THRUST_200600_302600_NS6detail15normal_iteratorINSA_10device_ptrItEEEEPS6_SG_NS0_5tupleIJSF_S6_EEENSH_IJSG_SG_EEES6_PlJNSB_9not_fun_tI7is_trueItEEEEEE10hipError_tPvRmT3_T4_T5_T6_T7_T9_mT8_P12ihipStream_tbDpT10_ENKUlT_T0_E_clISt17integral_constantIbLb0EES18_EEDaS13_S14_EUlS13_E_NS1_11comp_targetILNS1_3genE4ELNS1_11target_archE910ELNS1_3gpuE8ELNS1_3repE0EEENS1_30default_config_static_selectorELNS0_4arch9wavefront6targetE0EEEvT1_
; %bb.0:
	.section	.rodata,"a",@progbits
	.p2align	6, 0x0
	.amdhsa_kernel _ZN7rocprim17ROCPRIM_400000_NS6detail17trampoline_kernelINS0_14default_configENS1_25partition_config_selectorILNS1_17partition_subalgoE6EtNS0_10empty_typeEbEEZZNS1_14partition_implILS5_6ELb0ES3_mN6thrust23THRUST_200600_302600_NS6detail15normal_iteratorINSA_10device_ptrItEEEEPS6_SG_NS0_5tupleIJSF_S6_EEENSH_IJSG_SG_EEES6_PlJNSB_9not_fun_tI7is_trueItEEEEEE10hipError_tPvRmT3_T4_T5_T6_T7_T9_mT8_P12ihipStream_tbDpT10_ENKUlT_T0_E_clISt17integral_constantIbLb0EES18_EEDaS13_S14_EUlS13_E_NS1_11comp_targetILNS1_3genE4ELNS1_11target_archE910ELNS1_3gpuE8ELNS1_3repE0EEENS1_30default_config_static_selectorELNS0_4arch9wavefront6targetE0EEEvT1_
		.amdhsa_group_segment_fixed_size 0
		.amdhsa_private_segment_fixed_size 0
		.amdhsa_kernarg_size 112
		.amdhsa_user_sgpr_count 2
		.amdhsa_user_sgpr_dispatch_ptr 0
		.amdhsa_user_sgpr_queue_ptr 0
		.amdhsa_user_sgpr_kernarg_segment_ptr 1
		.amdhsa_user_sgpr_dispatch_id 0
		.amdhsa_user_sgpr_private_segment_size 0
		.amdhsa_wavefront_size32 1
		.amdhsa_uses_dynamic_stack 0
		.amdhsa_enable_private_segment 0
		.amdhsa_system_sgpr_workgroup_id_x 1
		.amdhsa_system_sgpr_workgroup_id_y 0
		.amdhsa_system_sgpr_workgroup_id_z 0
		.amdhsa_system_sgpr_workgroup_info 0
		.amdhsa_system_vgpr_workitem_id 0
		.amdhsa_next_free_vgpr 1
		.amdhsa_next_free_sgpr 1
		.amdhsa_reserve_vcc 0
		.amdhsa_float_round_mode_32 0
		.amdhsa_float_round_mode_16_64 0
		.amdhsa_float_denorm_mode_32 3
		.amdhsa_float_denorm_mode_16_64 3
		.amdhsa_fp16_overflow 0
		.amdhsa_workgroup_processor_mode 1
		.amdhsa_memory_ordered 1
		.amdhsa_forward_progress 1
		.amdhsa_inst_pref_size 0
		.amdhsa_round_robin_scheduling 0
		.amdhsa_exception_fp_ieee_invalid_op 0
		.amdhsa_exception_fp_denorm_src 0
		.amdhsa_exception_fp_ieee_div_zero 0
		.amdhsa_exception_fp_ieee_overflow 0
		.amdhsa_exception_fp_ieee_underflow 0
		.amdhsa_exception_fp_ieee_inexact 0
		.amdhsa_exception_int_div_zero 0
	.end_amdhsa_kernel
	.section	.text._ZN7rocprim17ROCPRIM_400000_NS6detail17trampoline_kernelINS0_14default_configENS1_25partition_config_selectorILNS1_17partition_subalgoE6EtNS0_10empty_typeEbEEZZNS1_14partition_implILS5_6ELb0ES3_mN6thrust23THRUST_200600_302600_NS6detail15normal_iteratorINSA_10device_ptrItEEEEPS6_SG_NS0_5tupleIJSF_S6_EEENSH_IJSG_SG_EEES6_PlJNSB_9not_fun_tI7is_trueItEEEEEE10hipError_tPvRmT3_T4_T5_T6_T7_T9_mT8_P12ihipStream_tbDpT10_ENKUlT_T0_E_clISt17integral_constantIbLb0EES18_EEDaS13_S14_EUlS13_E_NS1_11comp_targetILNS1_3genE4ELNS1_11target_archE910ELNS1_3gpuE8ELNS1_3repE0EEENS1_30default_config_static_selectorELNS0_4arch9wavefront6targetE0EEEvT1_,"axG",@progbits,_ZN7rocprim17ROCPRIM_400000_NS6detail17trampoline_kernelINS0_14default_configENS1_25partition_config_selectorILNS1_17partition_subalgoE6EtNS0_10empty_typeEbEEZZNS1_14partition_implILS5_6ELb0ES3_mN6thrust23THRUST_200600_302600_NS6detail15normal_iteratorINSA_10device_ptrItEEEEPS6_SG_NS0_5tupleIJSF_S6_EEENSH_IJSG_SG_EEES6_PlJNSB_9not_fun_tI7is_trueItEEEEEE10hipError_tPvRmT3_T4_T5_T6_T7_T9_mT8_P12ihipStream_tbDpT10_ENKUlT_T0_E_clISt17integral_constantIbLb0EES18_EEDaS13_S14_EUlS13_E_NS1_11comp_targetILNS1_3genE4ELNS1_11target_archE910ELNS1_3gpuE8ELNS1_3repE0EEENS1_30default_config_static_selectorELNS0_4arch9wavefront6targetE0EEEvT1_,comdat
.Lfunc_end1175:
	.size	_ZN7rocprim17ROCPRIM_400000_NS6detail17trampoline_kernelINS0_14default_configENS1_25partition_config_selectorILNS1_17partition_subalgoE6EtNS0_10empty_typeEbEEZZNS1_14partition_implILS5_6ELb0ES3_mN6thrust23THRUST_200600_302600_NS6detail15normal_iteratorINSA_10device_ptrItEEEEPS6_SG_NS0_5tupleIJSF_S6_EEENSH_IJSG_SG_EEES6_PlJNSB_9not_fun_tI7is_trueItEEEEEE10hipError_tPvRmT3_T4_T5_T6_T7_T9_mT8_P12ihipStream_tbDpT10_ENKUlT_T0_E_clISt17integral_constantIbLb0EES18_EEDaS13_S14_EUlS13_E_NS1_11comp_targetILNS1_3genE4ELNS1_11target_archE910ELNS1_3gpuE8ELNS1_3repE0EEENS1_30default_config_static_selectorELNS0_4arch9wavefront6targetE0EEEvT1_, .Lfunc_end1175-_ZN7rocprim17ROCPRIM_400000_NS6detail17trampoline_kernelINS0_14default_configENS1_25partition_config_selectorILNS1_17partition_subalgoE6EtNS0_10empty_typeEbEEZZNS1_14partition_implILS5_6ELb0ES3_mN6thrust23THRUST_200600_302600_NS6detail15normal_iteratorINSA_10device_ptrItEEEEPS6_SG_NS0_5tupleIJSF_S6_EEENSH_IJSG_SG_EEES6_PlJNSB_9not_fun_tI7is_trueItEEEEEE10hipError_tPvRmT3_T4_T5_T6_T7_T9_mT8_P12ihipStream_tbDpT10_ENKUlT_T0_E_clISt17integral_constantIbLb0EES18_EEDaS13_S14_EUlS13_E_NS1_11comp_targetILNS1_3genE4ELNS1_11target_archE910ELNS1_3gpuE8ELNS1_3repE0EEENS1_30default_config_static_selectorELNS0_4arch9wavefront6targetE0EEEvT1_
                                        ; -- End function
	.set _ZN7rocprim17ROCPRIM_400000_NS6detail17trampoline_kernelINS0_14default_configENS1_25partition_config_selectorILNS1_17partition_subalgoE6EtNS0_10empty_typeEbEEZZNS1_14partition_implILS5_6ELb0ES3_mN6thrust23THRUST_200600_302600_NS6detail15normal_iteratorINSA_10device_ptrItEEEEPS6_SG_NS0_5tupleIJSF_S6_EEENSH_IJSG_SG_EEES6_PlJNSB_9not_fun_tI7is_trueItEEEEEE10hipError_tPvRmT3_T4_T5_T6_T7_T9_mT8_P12ihipStream_tbDpT10_ENKUlT_T0_E_clISt17integral_constantIbLb0EES18_EEDaS13_S14_EUlS13_E_NS1_11comp_targetILNS1_3genE4ELNS1_11target_archE910ELNS1_3gpuE8ELNS1_3repE0EEENS1_30default_config_static_selectorELNS0_4arch9wavefront6targetE0EEEvT1_.num_vgpr, 0
	.set _ZN7rocprim17ROCPRIM_400000_NS6detail17trampoline_kernelINS0_14default_configENS1_25partition_config_selectorILNS1_17partition_subalgoE6EtNS0_10empty_typeEbEEZZNS1_14partition_implILS5_6ELb0ES3_mN6thrust23THRUST_200600_302600_NS6detail15normal_iteratorINSA_10device_ptrItEEEEPS6_SG_NS0_5tupleIJSF_S6_EEENSH_IJSG_SG_EEES6_PlJNSB_9not_fun_tI7is_trueItEEEEEE10hipError_tPvRmT3_T4_T5_T6_T7_T9_mT8_P12ihipStream_tbDpT10_ENKUlT_T0_E_clISt17integral_constantIbLb0EES18_EEDaS13_S14_EUlS13_E_NS1_11comp_targetILNS1_3genE4ELNS1_11target_archE910ELNS1_3gpuE8ELNS1_3repE0EEENS1_30default_config_static_selectorELNS0_4arch9wavefront6targetE0EEEvT1_.num_agpr, 0
	.set _ZN7rocprim17ROCPRIM_400000_NS6detail17trampoline_kernelINS0_14default_configENS1_25partition_config_selectorILNS1_17partition_subalgoE6EtNS0_10empty_typeEbEEZZNS1_14partition_implILS5_6ELb0ES3_mN6thrust23THRUST_200600_302600_NS6detail15normal_iteratorINSA_10device_ptrItEEEEPS6_SG_NS0_5tupleIJSF_S6_EEENSH_IJSG_SG_EEES6_PlJNSB_9not_fun_tI7is_trueItEEEEEE10hipError_tPvRmT3_T4_T5_T6_T7_T9_mT8_P12ihipStream_tbDpT10_ENKUlT_T0_E_clISt17integral_constantIbLb0EES18_EEDaS13_S14_EUlS13_E_NS1_11comp_targetILNS1_3genE4ELNS1_11target_archE910ELNS1_3gpuE8ELNS1_3repE0EEENS1_30default_config_static_selectorELNS0_4arch9wavefront6targetE0EEEvT1_.numbered_sgpr, 0
	.set _ZN7rocprim17ROCPRIM_400000_NS6detail17trampoline_kernelINS0_14default_configENS1_25partition_config_selectorILNS1_17partition_subalgoE6EtNS0_10empty_typeEbEEZZNS1_14partition_implILS5_6ELb0ES3_mN6thrust23THRUST_200600_302600_NS6detail15normal_iteratorINSA_10device_ptrItEEEEPS6_SG_NS0_5tupleIJSF_S6_EEENSH_IJSG_SG_EEES6_PlJNSB_9not_fun_tI7is_trueItEEEEEE10hipError_tPvRmT3_T4_T5_T6_T7_T9_mT8_P12ihipStream_tbDpT10_ENKUlT_T0_E_clISt17integral_constantIbLb0EES18_EEDaS13_S14_EUlS13_E_NS1_11comp_targetILNS1_3genE4ELNS1_11target_archE910ELNS1_3gpuE8ELNS1_3repE0EEENS1_30default_config_static_selectorELNS0_4arch9wavefront6targetE0EEEvT1_.num_named_barrier, 0
	.set _ZN7rocprim17ROCPRIM_400000_NS6detail17trampoline_kernelINS0_14default_configENS1_25partition_config_selectorILNS1_17partition_subalgoE6EtNS0_10empty_typeEbEEZZNS1_14partition_implILS5_6ELb0ES3_mN6thrust23THRUST_200600_302600_NS6detail15normal_iteratorINSA_10device_ptrItEEEEPS6_SG_NS0_5tupleIJSF_S6_EEENSH_IJSG_SG_EEES6_PlJNSB_9not_fun_tI7is_trueItEEEEEE10hipError_tPvRmT3_T4_T5_T6_T7_T9_mT8_P12ihipStream_tbDpT10_ENKUlT_T0_E_clISt17integral_constantIbLb0EES18_EEDaS13_S14_EUlS13_E_NS1_11comp_targetILNS1_3genE4ELNS1_11target_archE910ELNS1_3gpuE8ELNS1_3repE0EEENS1_30default_config_static_selectorELNS0_4arch9wavefront6targetE0EEEvT1_.private_seg_size, 0
	.set _ZN7rocprim17ROCPRIM_400000_NS6detail17trampoline_kernelINS0_14default_configENS1_25partition_config_selectorILNS1_17partition_subalgoE6EtNS0_10empty_typeEbEEZZNS1_14partition_implILS5_6ELb0ES3_mN6thrust23THRUST_200600_302600_NS6detail15normal_iteratorINSA_10device_ptrItEEEEPS6_SG_NS0_5tupleIJSF_S6_EEENSH_IJSG_SG_EEES6_PlJNSB_9not_fun_tI7is_trueItEEEEEE10hipError_tPvRmT3_T4_T5_T6_T7_T9_mT8_P12ihipStream_tbDpT10_ENKUlT_T0_E_clISt17integral_constantIbLb0EES18_EEDaS13_S14_EUlS13_E_NS1_11comp_targetILNS1_3genE4ELNS1_11target_archE910ELNS1_3gpuE8ELNS1_3repE0EEENS1_30default_config_static_selectorELNS0_4arch9wavefront6targetE0EEEvT1_.uses_vcc, 0
	.set _ZN7rocprim17ROCPRIM_400000_NS6detail17trampoline_kernelINS0_14default_configENS1_25partition_config_selectorILNS1_17partition_subalgoE6EtNS0_10empty_typeEbEEZZNS1_14partition_implILS5_6ELb0ES3_mN6thrust23THRUST_200600_302600_NS6detail15normal_iteratorINSA_10device_ptrItEEEEPS6_SG_NS0_5tupleIJSF_S6_EEENSH_IJSG_SG_EEES6_PlJNSB_9not_fun_tI7is_trueItEEEEEE10hipError_tPvRmT3_T4_T5_T6_T7_T9_mT8_P12ihipStream_tbDpT10_ENKUlT_T0_E_clISt17integral_constantIbLb0EES18_EEDaS13_S14_EUlS13_E_NS1_11comp_targetILNS1_3genE4ELNS1_11target_archE910ELNS1_3gpuE8ELNS1_3repE0EEENS1_30default_config_static_selectorELNS0_4arch9wavefront6targetE0EEEvT1_.uses_flat_scratch, 0
	.set _ZN7rocprim17ROCPRIM_400000_NS6detail17trampoline_kernelINS0_14default_configENS1_25partition_config_selectorILNS1_17partition_subalgoE6EtNS0_10empty_typeEbEEZZNS1_14partition_implILS5_6ELb0ES3_mN6thrust23THRUST_200600_302600_NS6detail15normal_iteratorINSA_10device_ptrItEEEEPS6_SG_NS0_5tupleIJSF_S6_EEENSH_IJSG_SG_EEES6_PlJNSB_9not_fun_tI7is_trueItEEEEEE10hipError_tPvRmT3_T4_T5_T6_T7_T9_mT8_P12ihipStream_tbDpT10_ENKUlT_T0_E_clISt17integral_constantIbLb0EES18_EEDaS13_S14_EUlS13_E_NS1_11comp_targetILNS1_3genE4ELNS1_11target_archE910ELNS1_3gpuE8ELNS1_3repE0EEENS1_30default_config_static_selectorELNS0_4arch9wavefront6targetE0EEEvT1_.has_dyn_sized_stack, 0
	.set _ZN7rocprim17ROCPRIM_400000_NS6detail17trampoline_kernelINS0_14default_configENS1_25partition_config_selectorILNS1_17partition_subalgoE6EtNS0_10empty_typeEbEEZZNS1_14partition_implILS5_6ELb0ES3_mN6thrust23THRUST_200600_302600_NS6detail15normal_iteratorINSA_10device_ptrItEEEEPS6_SG_NS0_5tupleIJSF_S6_EEENSH_IJSG_SG_EEES6_PlJNSB_9not_fun_tI7is_trueItEEEEEE10hipError_tPvRmT3_T4_T5_T6_T7_T9_mT8_P12ihipStream_tbDpT10_ENKUlT_T0_E_clISt17integral_constantIbLb0EES18_EEDaS13_S14_EUlS13_E_NS1_11comp_targetILNS1_3genE4ELNS1_11target_archE910ELNS1_3gpuE8ELNS1_3repE0EEENS1_30default_config_static_selectorELNS0_4arch9wavefront6targetE0EEEvT1_.has_recursion, 0
	.set _ZN7rocprim17ROCPRIM_400000_NS6detail17trampoline_kernelINS0_14default_configENS1_25partition_config_selectorILNS1_17partition_subalgoE6EtNS0_10empty_typeEbEEZZNS1_14partition_implILS5_6ELb0ES3_mN6thrust23THRUST_200600_302600_NS6detail15normal_iteratorINSA_10device_ptrItEEEEPS6_SG_NS0_5tupleIJSF_S6_EEENSH_IJSG_SG_EEES6_PlJNSB_9not_fun_tI7is_trueItEEEEEE10hipError_tPvRmT3_T4_T5_T6_T7_T9_mT8_P12ihipStream_tbDpT10_ENKUlT_T0_E_clISt17integral_constantIbLb0EES18_EEDaS13_S14_EUlS13_E_NS1_11comp_targetILNS1_3genE4ELNS1_11target_archE910ELNS1_3gpuE8ELNS1_3repE0EEENS1_30default_config_static_selectorELNS0_4arch9wavefront6targetE0EEEvT1_.has_indirect_call, 0
	.section	.AMDGPU.csdata,"",@progbits
; Kernel info:
; codeLenInByte = 0
; TotalNumSgprs: 0
; NumVgprs: 0
; ScratchSize: 0
; MemoryBound: 0
; FloatMode: 240
; IeeeMode: 1
; LDSByteSize: 0 bytes/workgroup (compile time only)
; SGPRBlocks: 0
; VGPRBlocks: 0
; NumSGPRsForWavesPerEU: 1
; NumVGPRsForWavesPerEU: 1
; Occupancy: 16
; WaveLimiterHint : 0
; COMPUTE_PGM_RSRC2:SCRATCH_EN: 0
; COMPUTE_PGM_RSRC2:USER_SGPR: 2
; COMPUTE_PGM_RSRC2:TRAP_HANDLER: 0
; COMPUTE_PGM_RSRC2:TGID_X_EN: 1
; COMPUTE_PGM_RSRC2:TGID_Y_EN: 0
; COMPUTE_PGM_RSRC2:TGID_Z_EN: 0
; COMPUTE_PGM_RSRC2:TIDIG_COMP_CNT: 0
	.section	.text._ZN7rocprim17ROCPRIM_400000_NS6detail17trampoline_kernelINS0_14default_configENS1_25partition_config_selectorILNS1_17partition_subalgoE6EtNS0_10empty_typeEbEEZZNS1_14partition_implILS5_6ELb0ES3_mN6thrust23THRUST_200600_302600_NS6detail15normal_iteratorINSA_10device_ptrItEEEEPS6_SG_NS0_5tupleIJSF_S6_EEENSH_IJSG_SG_EEES6_PlJNSB_9not_fun_tI7is_trueItEEEEEE10hipError_tPvRmT3_T4_T5_T6_T7_T9_mT8_P12ihipStream_tbDpT10_ENKUlT_T0_E_clISt17integral_constantIbLb0EES18_EEDaS13_S14_EUlS13_E_NS1_11comp_targetILNS1_3genE3ELNS1_11target_archE908ELNS1_3gpuE7ELNS1_3repE0EEENS1_30default_config_static_selectorELNS0_4arch9wavefront6targetE0EEEvT1_,"axG",@progbits,_ZN7rocprim17ROCPRIM_400000_NS6detail17trampoline_kernelINS0_14default_configENS1_25partition_config_selectorILNS1_17partition_subalgoE6EtNS0_10empty_typeEbEEZZNS1_14partition_implILS5_6ELb0ES3_mN6thrust23THRUST_200600_302600_NS6detail15normal_iteratorINSA_10device_ptrItEEEEPS6_SG_NS0_5tupleIJSF_S6_EEENSH_IJSG_SG_EEES6_PlJNSB_9not_fun_tI7is_trueItEEEEEE10hipError_tPvRmT3_T4_T5_T6_T7_T9_mT8_P12ihipStream_tbDpT10_ENKUlT_T0_E_clISt17integral_constantIbLb0EES18_EEDaS13_S14_EUlS13_E_NS1_11comp_targetILNS1_3genE3ELNS1_11target_archE908ELNS1_3gpuE7ELNS1_3repE0EEENS1_30default_config_static_selectorELNS0_4arch9wavefront6targetE0EEEvT1_,comdat
	.protected	_ZN7rocprim17ROCPRIM_400000_NS6detail17trampoline_kernelINS0_14default_configENS1_25partition_config_selectorILNS1_17partition_subalgoE6EtNS0_10empty_typeEbEEZZNS1_14partition_implILS5_6ELb0ES3_mN6thrust23THRUST_200600_302600_NS6detail15normal_iteratorINSA_10device_ptrItEEEEPS6_SG_NS0_5tupleIJSF_S6_EEENSH_IJSG_SG_EEES6_PlJNSB_9not_fun_tI7is_trueItEEEEEE10hipError_tPvRmT3_T4_T5_T6_T7_T9_mT8_P12ihipStream_tbDpT10_ENKUlT_T0_E_clISt17integral_constantIbLb0EES18_EEDaS13_S14_EUlS13_E_NS1_11comp_targetILNS1_3genE3ELNS1_11target_archE908ELNS1_3gpuE7ELNS1_3repE0EEENS1_30default_config_static_selectorELNS0_4arch9wavefront6targetE0EEEvT1_ ; -- Begin function _ZN7rocprim17ROCPRIM_400000_NS6detail17trampoline_kernelINS0_14default_configENS1_25partition_config_selectorILNS1_17partition_subalgoE6EtNS0_10empty_typeEbEEZZNS1_14partition_implILS5_6ELb0ES3_mN6thrust23THRUST_200600_302600_NS6detail15normal_iteratorINSA_10device_ptrItEEEEPS6_SG_NS0_5tupleIJSF_S6_EEENSH_IJSG_SG_EEES6_PlJNSB_9not_fun_tI7is_trueItEEEEEE10hipError_tPvRmT3_T4_T5_T6_T7_T9_mT8_P12ihipStream_tbDpT10_ENKUlT_T0_E_clISt17integral_constantIbLb0EES18_EEDaS13_S14_EUlS13_E_NS1_11comp_targetILNS1_3genE3ELNS1_11target_archE908ELNS1_3gpuE7ELNS1_3repE0EEENS1_30default_config_static_selectorELNS0_4arch9wavefront6targetE0EEEvT1_
	.globl	_ZN7rocprim17ROCPRIM_400000_NS6detail17trampoline_kernelINS0_14default_configENS1_25partition_config_selectorILNS1_17partition_subalgoE6EtNS0_10empty_typeEbEEZZNS1_14partition_implILS5_6ELb0ES3_mN6thrust23THRUST_200600_302600_NS6detail15normal_iteratorINSA_10device_ptrItEEEEPS6_SG_NS0_5tupleIJSF_S6_EEENSH_IJSG_SG_EEES6_PlJNSB_9not_fun_tI7is_trueItEEEEEE10hipError_tPvRmT3_T4_T5_T6_T7_T9_mT8_P12ihipStream_tbDpT10_ENKUlT_T0_E_clISt17integral_constantIbLb0EES18_EEDaS13_S14_EUlS13_E_NS1_11comp_targetILNS1_3genE3ELNS1_11target_archE908ELNS1_3gpuE7ELNS1_3repE0EEENS1_30default_config_static_selectorELNS0_4arch9wavefront6targetE0EEEvT1_
	.p2align	8
	.type	_ZN7rocprim17ROCPRIM_400000_NS6detail17trampoline_kernelINS0_14default_configENS1_25partition_config_selectorILNS1_17partition_subalgoE6EtNS0_10empty_typeEbEEZZNS1_14partition_implILS5_6ELb0ES3_mN6thrust23THRUST_200600_302600_NS6detail15normal_iteratorINSA_10device_ptrItEEEEPS6_SG_NS0_5tupleIJSF_S6_EEENSH_IJSG_SG_EEES6_PlJNSB_9not_fun_tI7is_trueItEEEEEE10hipError_tPvRmT3_T4_T5_T6_T7_T9_mT8_P12ihipStream_tbDpT10_ENKUlT_T0_E_clISt17integral_constantIbLb0EES18_EEDaS13_S14_EUlS13_E_NS1_11comp_targetILNS1_3genE3ELNS1_11target_archE908ELNS1_3gpuE7ELNS1_3repE0EEENS1_30default_config_static_selectorELNS0_4arch9wavefront6targetE0EEEvT1_,@function
_ZN7rocprim17ROCPRIM_400000_NS6detail17trampoline_kernelINS0_14default_configENS1_25partition_config_selectorILNS1_17partition_subalgoE6EtNS0_10empty_typeEbEEZZNS1_14partition_implILS5_6ELb0ES3_mN6thrust23THRUST_200600_302600_NS6detail15normal_iteratorINSA_10device_ptrItEEEEPS6_SG_NS0_5tupleIJSF_S6_EEENSH_IJSG_SG_EEES6_PlJNSB_9not_fun_tI7is_trueItEEEEEE10hipError_tPvRmT3_T4_T5_T6_T7_T9_mT8_P12ihipStream_tbDpT10_ENKUlT_T0_E_clISt17integral_constantIbLb0EES18_EEDaS13_S14_EUlS13_E_NS1_11comp_targetILNS1_3genE3ELNS1_11target_archE908ELNS1_3gpuE7ELNS1_3repE0EEENS1_30default_config_static_selectorELNS0_4arch9wavefront6targetE0EEEvT1_: ; @_ZN7rocprim17ROCPRIM_400000_NS6detail17trampoline_kernelINS0_14default_configENS1_25partition_config_selectorILNS1_17partition_subalgoE6EtNS0_10empty_typeEbEEZZNS1_14partition_implILS5_6ELb0ES3_mN6thrust23THRUST_200600_302600_NS6detail15normal_iteratorINSA_10device_ptrItEEEEPS6_SG_NS0_5tupleIJSF_S6_EEENSH_IJSG_SG_EEES6_PlJNSB_9not_fun_tI7is_trueItEEEEEE10hipError_tPvRmT3_T4_T5_T6_T7_T9_mT8_P12ihipStream_tbDpT10_ENKUlT_T0_E_clISt17integral_constantIbLb0EES18_EEDaS13_S14_EUlS13_E_NS1_11comp_targetILNS1_3genE3ELNS1_11target_archE908ELNS1_3gpuE7ELNS1_3repE0EEENS1_30default_config_static_selectorELNS0_4arch9wavefront6targetE0EEEvT1_
; %bb.0:
	.section	.rodata,"a",@progbits
	.p2align	6, 0x0
	.amdhsa_kernel _ZN7rocprim17ROCPRIM_400000_NS6detail17trampoline_kernelINS0_14default_configENS1_25partition_config_selectorILNS1_17partition_subalgoE6EtNS0_10empty_typeEbEEZZNS1_14partition_implILS5_6ELb0ES3_mN6thrust23THRUST_200600_302600_NS6detail15normal_iteratorINSA_10device_ptrItEEEEPS6_SG_NS0_5tupleIJSF_S6_EEENSH_IJSG_SG_EEES6_PlJNSB_9not_fun_tI7is_trueItEEEEEE10hipError_tPvRmT3_T4_T5_T6_T7_T9_mT8_P12ihipStream_tbDpT10_ENKUlT_T0_E_clISt17integral_constantIbLb0EES18_EEDaS13_S14_EUlS13_E_NS1_11comp_targetILNS1_3genE3ELNS1_11target_archE908ELNS1_3gpuE7ELNS1_3repE0EEENS1_30default_config_static_selectorELNS0_4arch9wavefront6targetE0EEEvT1_
		.amdhsa_group_segment_fixed_size 0
		.amdhsa_private_segment_fixed_size 0
		.amdhsa_kernarg_size 112
		.amdhsa_user_sgpr_count 2
		.amdhsa_user_sgpr_dispatch_ptr 0
		.amdhsa_user_sgpr_queue_ptr 0
		.amdhsa_user_sgpr_kernarg_segment_ptr 1
		.amdhsa_user_sgpr_dispatch_id 0
		.amdhsa_user_sgpr_private_segment_size 0
		.amdhsa_wavefront_size32 1
		.amdhsa_uses_dynamic_stack 0
		.amdhsa_enable_private_segment 0
		.amdhsa_system_sgpr_workgroup_id_x 1
		.amdhsa_system_sgpr_workgroup_id_y 0
		.amdhsa_system_sgpr_workgroup_id_z 0
		.amdhsa_system_sgpr_workgroup_info 0
		.amdhsa_system_vgpr_workitem_id 0
		.amdhsa_next_free_vgpr 1
		.amdhsa_next_free_sgpr 1
		.amdhsa_reserve_vcc 0
		.amdhsa_float_round_mode_32 0
		.amdhsa_float_round_mode_16_64 0
		.amdhsa_float_denorm_mode_32 3
		.amdhsa_float_denorm_mode_16_64 3
		.amdhsa_fp16_overflow 0
		.amdhsa_workgroup_processor_mode 1
		.amdhsa_memory_ordered 1
		.amdhsa_forward_progress 1
		.amdhsa_inst_pref_size 0
		.amdhsa_round_robin_scheduling 0
		.amdhsa_exception_fp_ieee_invalid_op 0
		.amdhsa_exception_fp_denorm_src 0
		.amdhsa_exception_fp_ieee_div_zero 0
		.amdhsa_exception_fp_ieee_overflow 0
		.amdhsa_exception_fp_ieee_underflow 0
		.amdhsa_exception_fp_ieee_inexact 0
		.amdhsa_exception_int_div_zero 0
	.end_amdhsa_kernel
	.section	.text._ZN7rocprim17ROCPRIM_400000_NS6detail17trampoline_kernelINS0_14default_configENS1_25partition_config_selectorILNS1_17partition_subalgoE6EtNS0_10empty_typeEbEEZZNS1_14partition_implILS5_6ELb0ES3_mN6thrust23THRUST_200600_302600_NS6detail15normal_iteratorINSA_10device_ptrItEEEEPS6_SG_NS0_5tupleIJSF_S6_EEENSH_IJSG_SG_EEES6_PlJNSB_9not_fun_tI7is_trueItEEEEEE10hipError_tPvRmT3_T4_T5_T6_T7_T9_mT8_P12ihipStream_tbDpT10_ENKUlT_T0_E_clISt17integral_constantIbLb0EES18_EEDaS13_S14_EUlS13_E_NS1_11comp_targetILNS1_3genE3ELNS1_11target_archE908ELNS1_3gpuE7ELNS1_3repE0EEENS1_30default_config_static_selectorELNS0_4arch9wavefront6targetE0EEEvT1_,"axG",@progbits,_ZN7rocprim17ROCPRIM_400000_NS6detail17trampoline_kernelINS0_14default_configENS1_25partition_config_selectorILNS1_17partition_subalgoE6EtNS0_10empty_typeEbEEZZNS1_14partition_implILS5_6ELb0ES3_mN6thrust23THRUST_200600_302600_NS6detail15normal_iteratorINSA_10device_ptrItEEEEPS6_SG_NS0_5tupleIJSF_S6_EEENSH_IJSG_SG_EEES6_PlJNSB_9not_fun_tI7is_trueItEEEEEE10hipError_tPvRmT3_T4_T5_T6_T7_T9_mT8_P12ihipStream_tbDpT10_ENKUlT_T0_E_clISt17integral_constantIbLb0EES18_EEDaS13_S14_EUlS13_E_NS1_11comp_targetILNS1_3genE3ELNS1_11target_archE908ELNS1_3gpuE7ELNS1_3repE0EEENS1_30default_config_static_selectorELNS0_4arch9wavefront6targetE0EEEvT1_,comdat
.Lfunc_end1176:
	.size	_ZN7rocprim17ROCPRIM_400000_NS6detail17trampoline_kernelINS0_14default_configENS1_25partition_config_selectorILNS1_17partition_subalgoE6EtNS0_10empty_typeEbEEZZNS1_14partition_implILS5_6ELb0ES3_mN6thrust23THRUST_200600_302600_NS6detail15normal_iteratorINSA_10device_ptrItEEEEPS6_SG_NS0_5tupleIJSF_S6_EEENSH_IJSG_SG_EEES6_PlJNSB_9not_fun_tI7is_trueItEEEEEE10hipError_tPvRmT3_T4_T5_T6_T7_T9_mT8_P12ihipStream_tbDpT10_ENKUlT_T0_E_clISt17integral_constantIbLb0EES18_EEDaS13_S14_EUlS13_E_NS1_11comp_targetILNS1_3genE3ELNS1_11target_archE908ELNS1_3gpuE7ELNS1_3repE0EEENS1_30default_config_static_selectorELNS0_4arch9wavefront6targetE0EEEvT1_, .Lfunc_end1176-_ZN7rocprim17ROCPRIM_400000_NS6detail17trampoline_kernelINS0_14default_configENS1_25partition_config_selectorILNS1_17partition_subalgoE6EtNS0_10empty_typeEbEEZZNS1_14partition_implILS5_6ELb0ES3_mN6thrust23THRUST_200600_302600_NS6detail15normal_iteratorINSA_10device_ptrItEEEEPS6_SG_NS0_5tupleIJSF_S6_EEENSH_IJSG_SG_EEES6_PlJNSB_9not_fun_tI7is_trueItEEEEEE10hipError_tPvRmT3_T4_T5_T6_T7_T9_mT8_P12ihipStream_tbDpT10_ENKUlT_T0_E_clISt17integral_constantIbLb0EES18_EEDaS13_S14_EUlS13_E_NS1_11comp_targetILNS1_3genE3ELNS1_11target_archE908ELNS1_3gpuE7ELNS1_3repE0EEENS1_30default_config_static_selectorELNS0_4arch9wavefront6targetE0EEEvT1_
                                        ; -- End function
	.set _ZN7rocprim17ROCPRIM_400000_NS6detail17trampoline_kernelINS0_14default_configENS1_25partition_config_selectorILNS1_17partition_subalgoE6EtNS0_10empty_typeEbEEZZNS1_14partition_implILS5_6ELb0ES3_mN6thrust23THRUST_200600_302600_NS6detail15normal_iteratorINSA_10device_ptrItEEEEPS6_SG_NS0_5tupleIJSF_S6_EEENSH_IJSG_SG_EEES6_PlJNSB_9not_fun_tI7is_trueItEEEEEE10hipError_tPvRmT3_T4_T5_T6_T7_T9_mT8_P12ihipStream_tbDpT10_ENKUlT_T0_E_clISt17integral_constantIbLb0EES18_EEDaS13_S14_EUlS13_E_NS1_11comp_targetILNS1_3genE3ELNS1_11target_archE908ELNS1_3gpuE7ELNS1_3repE0EEENS1_30default_config_static_selectorELNS0_4arch9wavefront6targetE0EEEvT1_.num_vgpr, 0
	.set _ZN7rocprim17ROCPRIM_400000_NS6detail17trampoline_kernelINS0_14default_configENS1_25partition_config_selectorILNS1_17partition_subalgoE6EtNS0_10empty_typeEbEEZZNS1_14partition_implILS5_6ELb0ES3_mN6thrust23THRUST_200600_302600_NS6detail15normal_iteratorINSA_10device_ptrItEEEEPS6_SG_NS0_5tupleIJSF_S6_EEENSH_IJSG_SG_EEES6_PlJNSB_9not_fun_tI7is_trueItEEEEEE10hipError_tPvRmT3_T4_T5_T6_T7_T9_mT8_P12ihipStream_tbDpT10_ENKUlT_T0_E_clISt17integral_constantIbLb0EES18_EEDaS13_S14_EUlS13_E_NS1_11comp_targetILNS1_3genE3ELNS1_11target_archE908ELNS1_3gpuE7ELNS1_3repE0EEENS1_30default_config_static_selectorELNS0_4arch9wavefront6targetE0EEEvT1_.num_agpr, 0
	.set _ZN7rocprim17ROCPRIM_400000_NS6detail17trampoline_kernelINS0_14default_configENS1_25partition_config_selectorILNS1_17partition_subalgoE6EtNS0_10empty_typeEbEEZZNS1_14partition_implILS5_6ELb0ES3_mN6thrust23THRUST_200600_302600_NS6detail15normal_iteratorINSA_10device_ptrItEEEEPS6_SG_NS0_5tupleIJSF_S6_EEENSH_IJSG_SG_EEES6_PlJNSB_9not_fun_tI7is_trueItEEEEEE10hipError_tPvRmT3_T4_T5_T6_T7_T9_mT8_P12ihipStream_tbDpT10_ENKUlT_T0_E_clISt17integral_constantIbLb0EES18_EEDaS13_S14_EUlS13_E_NS1_11comp_targetILNS1_3genE3ELNS1_11target_archE908ELNS1_3gpuE7ELNS1_3repE0EEENS1_30default_config_static_selectorELNS0_4arch9wavefront6targetE0EEEvT1_.numbered_sgpr, 0
	.set _ZN7rocprim17ROCPRIM_400000_NS6detail17trampoline_kernelINS0_14default_configENS1_25partition_config_selectorILNS1_17partition_subalgoE6EtNS0_10empty_typeEbEEZZNS1_14partition_implILS5_6ELb0ES3_mN6thrust23THRUST_200600_302600_NS6detail15normal_iteratorINSA_10device_ptrItEEEEPS6_SG_NS0_5tupleIJSF_S6_EEENSH_IJSG_SG_EEES6_PlJNSB_9not_fun_tI7is_trueItEEEEEE10hipError_tPvRmT3_T4_T5_T6_T7_T9_mT8_P12ihipStream_tbDpT10_ENKUlT_T0_E_clISt17integral_constantIbLb0EES18_EEDaS13_S14_EUlS13_E_NS1_11comp_targetILNS1_3genE3ELNS1_11target_archE908ELNS1_3gpuE7ELNS1_3repE0EEENS1_30default_config_static_selectorELNS0_4arch9wavefront6targetE0EEEvT1_.num_named_barrier, 0
	.set _ZN7rocprim17ROCPRIM_400000_NS6detail17trampoline_kernelINS0_14default_configENS1_25partition_config_selectorILNS1_17partition_subalgoE6EtNS0_10empty_typeEbEEZZNS1_14partition_implILS5_6ELb0ES3_mN6thrust23THRUST_200600_302600_NS6detail15normal_iteratorINSA_10device_ptrItEEEEPS6_SG_NS0_5tupleIJSF_S6_EEENSH_IJSG_SG_EEES6_PlJNSB_9not_fun_tI7is_trueItEEEEEE10hipError_tPvRmT3_T4_T5_T6_T7_T9_mT8_P12ihipStream_tbDpT10_ENKUlT_T0_E_clISt17integral_constantIbLb0EES18_EEDaS13_S14_EUlS13_E_NS1_11comp_targetILNS1_3genE3ELNS1_11target_archE908ELNS1_3gpuE7ELNS1_3repE0EEENS1_30default_config_static_selectorELNS0_4arch9wavefront6targetE0EEEvT1_.private_seg_size, 0
	.set _ZN7rocprim17ROCPRIM_400000_NS6detail17trampoline_kernelINS0_14default_configENS1_25partition_config_selectorILNS1_17partition_subalgoE6EtNS0_10empty_typeEbEEZZNS1_14partition_implILS5_6ELb0ES3_mN6thrust23THRUST_200600_302600_NS6detail15normal_iteratorINSA_10device_ptrItEEEEPS6_SG_NS0_5tupleIJSF_S6_EEENSH_IJSG_SG_EEES6_PlJNSB_9not_fun_tI7is_trueItEEEEEE10hipError_tPvRmT3_T4_T5_T6_T7_T9_mT8_P12ihipStream_tbDpT10_ENKUlT_T0_E_clISt17integral_constantIbLb0EES18_EEDaS13_S14_EUlS13_E_NS1_11comp_targetILNS1_3genE3ELNS1_11target_archE908ELNS1_3gpuE7ELNS1_3repE0EEENS1_30default_config_static_selectorELNS0_4arch9wavefront6targetE0EEEvT1_.uses_vcc, 0
	.set _ZN7rocprim17ROCPRIM_400000_NS6detail17trampoline_kernelINS0_14default_configENS1_25partition_config_selectorILNS1_17partition_subalgoE6EtNS0_10empty_typeEbEEZZNS1_14partition_implILS5_6ELb0ES3_mN6thrust23THRUST_200600_302600_NS6detail15normal_iteratorINSA_10device_ptrItEEEEPS6_SG_NS0_5tupleIJSF_S6_EEENSH_IJSG_SG_EEES6_PlJNSB_9not_fun_tI7is_trueItEEEEEE10hipError_tPvRmT3_T4_T5_T6_T7_T9_mT8_P12ihipStream_tbDpT10_ENKUlT_T0_E_clISt17integral_constantIbLb0EES18_EEDaS13_S14_EUlS13_E_NS1_11comp_targetILNS1_3genE3ELNS1_11target_archE908ELNS1_3gpuE7ELNS1_3repE0EEENS1_30default_config_static_selectorELNS0_4arch9wavefront6targetE0EEEvT1_.uses_flat_scratch, 0
	.set _ZN7rocprim17ROCPRIM_400000_NS6detail17trampoline_kernelINS0_14default_configENS1_25partition_config_selectorILNS1_17partition_subalgoE6EtNS0_10empty_typeEbEEZZNS1_14partition_implILS5_6ELb0ES3_mN6thrust23THRUST_200600_302600_NS6detail15normal_iteratorINSA_10device_ptrItEEEEPS6_SG_NS0_5tupleIJSF_S6_EEENSH_IJSG_SG_EEES6_PlJNSB_9not_fun_tI7is_trueItEEEEEE10hipError_tPvRmT3_T4_T5_T6_T7_T9_mT8_P12ihipStream_tbDpT10_ENKUlT_T0_E_clISt17integral_constantIbLb0EES18_EEDaS13_S14_EUlS13_E_NS1_11comp_targetILNS1_3genE3ELNS1_11target_archE908ELNS1_3gpuE7ELNS1_3repE0EEENS1_30default_config_static_selectorELNS0_4arch9wavefront6targetE0EEEvT1_.has_dyn_sized_stack, 0
	.set _ZN7rocprim17ROCPRIM_400000_NS6detail17trampoline_kernelINS0_14default_configENS1_25partition_config_selectorILNS1_17partition_subalgoE6EtNS0_10empty_typeEbEEZZNS1_14partition_implILS5_6ELb0ES3_mN6thrust23THRUST_200600_302600_NS6detail15normal_iteratorINSA_10device_ptrItEEEEPS6_SG_NS0_5tupleIJSF_S6_EEENSH_IJSG_SG_EEES6_PlJNSB_9not_fun_tI7is_trueItEEEEEE10hipError_tPvRmT3_T4_T5_T6_T7_T9_mT8_P12ihipStream_tbDpT10_ENKUlT_T0_E_clISt17integral_constantIbLb0EES18_EEDaS13_S14_EUlS13_E_NS1_11comp_targetILNS1_3genE3ELNS1_11target_archE908ELNS1_3gpuE7ELNS1_3repE0EEENS1_30default_config_static_selectorELNS0_4arch9wavefront6targetE0EEEvT1_.has_recursion, 0
	.set _ZN7rocprim17ROCPRIM_400000_NS6detail17trampoline_kernelINS0_14default_configENS1_25partition_config_selectorILNS1_17partition_subalgoE6EtNS0_10empty_typeEbEEZZNS1_14partition_implILS5_6ELb0ES3_mN6thrust23THRUST_200600_302600_NS6detail15normal_iteratorINSA_10device_ptrItEEEEPS6_SG_NS0_5tupleIJSF_S6_EEENSH_IJSG_SG_EEES6_PlJNSB_9not_fun_tI7is_trueItEEEEEE10hipError_tPvRmT3_T4_T5_T6_T7_T9_mT8_P12ihipStream_tbDpT10_ENKUlT_T0_E_clISt17integral_constantIbLb0EES18_EEDaS13_S14_EUlS13_E_NS1_11comp_targetILNS1_3genE3ELNS1_11target_archE908ELNS1_3gpuE7ELNS1_3repE0EEENS1_30default_config_static_selectorELNS0_4arch9wavefront6targetE0EEEvT1_.has_indirect_call, 0
	.section	.AMDGPU.csdata,"",@progbits
; Kernel info:
; codeLenInByte = 0
; TotalNumSgprs: 0
; NumVgprs: 0
; ScratchSize: 0
; MemoryBound: 0
; FloatMode: 240
; IeeeMode: 1
; LDSByteSize: 0 bytes/workgroup (compile time only)
; SGPRBlocks: 0
; VGPRBlocks: 0
; NumSGPRsForWavesPerEU: 1
; NumVGPRsForWavesPerEU: 1
; Occupancy: 16
; WaveLimiterHint : 0
; COMPUTE_PGM_RSRC2:SCRATCH_EN: 0
; COMPUTE_PGM_RSRC2:USER_SGPR: 2
; COMPUTE_PGM_RSRC2:TRAP_HANDLER: 0
; COMPUTE_PGM_RSRC2:TGID_X_EN: 1
; COMPUTE_PGM_RSRC2:TGID_Y_EN: 0
; COMPUTE_PGM_RSRC2:TGID_Z_EN: 0
; COMPUTE_PGM_RSRC2:TIDIG_COMP_CNT: 0
	.section	.text._ZN7rocprim17ROCPRIM_400000_NS6detail17trampoline_kernelINS0_14default_configENS1_25partition_config_selectorILNS1_17partition_subalgoE6EtNS0_10empty_typeEbEEZZNS1_14partition_implILS5_6ELb0ES3_mN6thrust23THRUST_200600_302600_NS6detail15normal_iteratorINSA_10device_ptrItEEEEPS6_SG_NS0_5tupleIJSF_S6_EEENSH_IJSG_SG_EEES6_PlJNSB_9not_fun_tI7is_trueItEEEEEE10hipError_tPvRmT3_T4_T5_T6_T7_T9_mT8_P12ihipStream_tbDpT10_ENKUlT_T0_E_clISt17integral_constantIbLb0EES18_EEDaS13_S14_EUlS13_E_NS1_11comp_targetILNS1_3genE2ELNS1_11target_archE906ELNS1_3gpuE6ELNS1_3repE0EEENS1_30default_config_static_selectorELNS0_4arch9wavefront6targetE0EEEvT1_,"axG",@progbits,_ZN7rocprim17ROCPRIM_400000_NS6detail17trampoline_kernelINS0_14default_configENS1_25partition_config_selectorILNS1_17partition_subalgoE6EtNS0_10empty_typeEbEEZZNS1_14partition_implILS5_6ELb0ES3_mN6thrust23THRUST_200600_302600_NS6detail15normal_iteratorINSA_10device_ptrItEEEEPS6_SG_NS0_5tupleIJSF_S6_EEENSH_IJSG_SG_EEES6_PlJNSB_9not_fun_tI7is_trueItEEEEEE10hipError_tPvRmT3_T4_T5_T6_T7_T9_mT8_P12ihipStream_tbDpT10_ENKUlT_T0_E_clISt17integral_constantIbLb0EES18_EEDaS13_S14_EUlS13_E_NS1_11comp_targetILNS1_3genE2ELNS1_11target_archE906ELNS1_3gpuE6ELNS1_3repE0EEENS1_30default_config_static_selectorELNS0_4arch9wavefront6targetE0EEEvT1_,comdat
	.protected	_ZN7rocprim17ROCPRIM_400000_NS6detail17trampoline_kernelINS0_14default_configENS1_25partition_config_selectorILNS1_17partition_subalgoE6EtNS0_10empty_typeEbEEZZNS1_14partition_implILS5_6ELb0ES3_mN6thrust23THRUST_200600_302600_NS6detail15normal_iteratorINSA_10device_ptrItEEEEPS6_SG_NS0_5tupleIJSF_S6_EEENSH_IJSG_SG_EEES6_PlJNSB_9not_fun_tI7is_trueItEEEEEE10hipError_tPvRmT3_T4_T5_T6_T7_T9_mT8_P12ihipStream_tbDpT10_ENKUlT_T0_E_clISt17integral_constantIbLb0EES18_EEDaS13_S14_EUlS13_E_NS1_11comp_targetILNS1_3genE2ELNS1_11target_archE906ELNS1_3gpuE6ELNS1_3repE0EEENS1_30default_config_static_selectorELNS0_4arch9wavefront6targetE0EEEvT1_ ; -- Begin function _ZN7rocprim17ROCPRIM_400000_NS6detail17trampoline_kernelINS0_14default_configENS1_25partition_config_selectorILNS1_17partition_subalgoE6EtNS0_10empty_typeEbEEZZNS1_14partition_implILS5_6ELb0ES3_mN6thrust23THRUST_200600_302600_NS6detail15normal_iteratorINSA_10device_ptrItEEEEPS6_SG_NS0_5tupleIJSF_S6_EEENSH_IJSG_SG_EEES6_PlJNSB_9not_fun_tI7is_trueItEEEEEE10hipError_tPvRmT3_T4_T5_T6_T7_T9_mT8_P12ihipStream_tbDpT10_ENKUlT_T0_E_clISt17integral_constantIbLb0EES18_EEDaS13_S14_EUlS13_E_NS1_11comp_targetILNS1_3genE2ELNS1_11target_archE906ELNS1_3gpuE6ELNS1_3repE0EEENS1_30default_config_static_selectorELNS0_4arch9wavefront6targetE0EEEvT1_
	.globl	_ZN7rocprim17ROCPRIM_400000_NS6detail17trampoline_kernelINS0_14default_configENS1_25partition_config_selectorILNS1_17partition_subalgoE6EtNS0_10empty_typeEbEEZZNS1_14partition_implILS5_6ELb0ES3_mN6thrust23THRUST_200600_302600_NS6detail15normal_iteratorINSA_10device_ptrItEEEEPS6_SG_NS0_5tupleIJSF_S6_EEENSH_IJSG_SG_EEES6_PlJNSB_9not_fun_tI7is_trueItEEEEEE10hipError_tPvRmT3_T4_T5_T6_T7_T9_mT8_P12ihipStream_tbDpT10_ENKUlT_T0_E_clISt17integral_constantIbLb0EES18_EEDaS13_S14_EUlS13_E_NS1_11comp_targetILNS1_3genE2ELNS1_11target_archE906ELNS1_3gpuE6ELNS1_3repE0EEENS1_30default_config_static_selectorELNS0_4arch9wavefront6targetE0EEEvT1_
	.p2align	8
	.type	_ZN7rocprim17ROCPRIM_400000_NS6detail17trampoline_kernelINS0_14default_configENS1_25partition_config_selectorILNS1_17partition_subalgoE6EtNS0_10empty_typeEbEEZZNS1_14partition_implILS5_6ELb0ES3_mN6thrust23THRUST_200600_302600_NS6detail15normal_iteratorINSA_10device_ptrItEEEEPS6_SG_NS0_5tupleIJSF_S6_EEENSH_IJSG_SG_EEES6_PlJNSB_9not_fun_tI7is_trueItEEEEEE10hipError_tPvRmT3_T4_T5_T6_T7_T9_mT8_P12ihipStream_tbDpT10_ENKUlT_T0_E_clISt17integral_constantIbLb0EES18_EEDaS13_S14_EUlS13_E_NS1_11comp_targetILNS1_3genE2ELNS1_11target_archE906ELNS1_3gpuE6ELNS1_3repE0EEENS1_30default_config_static_selectorELNS0_4arch9wavefront6targetE0EEEvT1_,@function
_ZN7rocprim17ROCPRIM_400000_NS6detail17trampoline_kernelINS0_14default_configENS1_25partition_config_selectorILNS1_17partition_subalgoE6EtNS0_10empty_typeEbEEZZNS1_14partition_implILS5_6ELb0ES3_mN6thrust23THRUST_200600_302600_NS6detail15normal_iteratorINSA_10device_ptrItEEEEPS6_SG_NS0_5tupleIJSF_S6_EEENSH_IJSG_SG_EEES6_PlJNSB_9not_fun_tI7is_trueItEEEEEE10hipError_tPvRmT3_T4_T5_T6_T7_T9_mT8_P12ihipStream_tbDpT10_ENKUlT_T0_E_clISt17integral_constantIbLb0EES18_EEDaS13_S14_EUlS13_E_NS1_11comp_targetILNS1_3genE2ELNS1_11target_archE906ELNS1_3gpuE6ELNS1_3repE0EEENS1_30default_config_static_selectorELNS0_4arch9wavefront6targetE0EEEvT1_: ; @_ZN7rocprim17ROCPRIM_400000_NS6detail17trampoline_kernelINS0_14default_configENS1_25partition_config_selectorILNS1_17partition_subalgoE6EtNS0_10empty_typeEbEEZZNS1_14partition_implILS5_6ELb0ES3_mN6thrust23THRUST_200600_302600_NS6detail15normal_iteratorINSA_10device_ptrItEEEEPS6_SG_NS0_5tupleIJSF_S6_EEENSH_IJSG_SG_EEES6_PlJNSB_9not_fun_tI7is_trueItEEEEEE10hipError_tPvRmT3_T4_T5_T6_T7_T9_mT8_P12ihipStream_tbDpT10_ENKUlT_T0_E_clISt17integral_constantIbLb0EES18_EEDaS13_S14_EUlS13_E_NS1_11comp_targetILNS1_3genE2ELNS1_11target_archE906ELNS1_3gpuE6ELNS1_3repE0EEENS1_30default_config_static_selectorELNS0_4arch9wavefront6targetE0EEEvT1_
; %bb.0:
	.section	.rodata,"a",@progbits
	.p2align	6, 0x0
	.amdhsa_kernel _ZN7rocprim17ROCPRIM_400000_NS6detail17trampoline_kernelINS0_14default_configENS1_25partition_config_selectorILNS1_17partition_subalgoE6EtNS0_10empty_typeEbEEZZNS1_14partition_implILS5_6ELb0ES3_mN6thrust23THRUST_200600_302600_NS6detail15normal_iteratorINSA_10device_ptrItEEEEPS6_SG_NS0_5tupleIJSF_S6_EEENSH_IJSG_SG_EEES6_PlJNSB_9not_fun_tI7is_trueItEEEEEE10hipError_tPvRmT3_T4_T5_T6_T7_T9_mT8_P12ihipStream_tbDpT10_ENKUlT_T0_E_clISt17integral_constantIbLb0EES18_EEDaS13_S14_EUlS13_E_NS1_11comp_targetILNS1_3genE2ELNS1_11target_archE906ELNS1_3gpuE6ELNS1_3repE0EEENS1_30default_config_static_selectorELNS0_4arch9wavefront6targetE0EEEvT1_
		.amdhsa_group_segment_fixed_size 0
		.amdhsa_private_segment_fixed_size 0
		.amdhsa_kernarg_size 112
		.amdhsa_user_sgpr_count 2
		.amdhsa_user_sgpr_dispatch_ptr 0
		.amdhsa_user_sgpr_queue_ptr 0
		.amdhsa_user_sgpr_kernarg_segment_ptr 1
		.amdhsa_user_sgpr_dispatch_id 0
		.amdhsa_user_sgpr_private_segment_size 0
		.amdhsa_wavefront_size32 1
		.amdhsa_uses_dynamic_stack 0
		.amdhsa_enable_private_segment 0
		.amdhsa_system_sgpr_workgroup_id_x 1
		.amdhsa_system_sgpr_workgroup_id_y 0
		.amdhsa_system_sgpr_workgroup_id_z 0
		.amdhsa_system_sgpr_workgroup_info 0
		.amdhsa_system_vgpr_workitem_id 0
		.amdhsa_next_free_vgpr 1
		.amdhsa_next_free_sgpr 1
		.amdhsa_reserve_vcc 0
		.amdhsa_float_round_mode_32 0
		.amdhsa_float_round_mode_16_64 0
		.amdhsa_float_denorm_mode_32 3
		.amdhsa_float_denorm_mode_16_64 3
		.amdhsa_fp16_overflow 0
		.amdhsa_workgroup_processor_mode 1
		.amdhsa_memory_ordered 1
		.amdhsa_forward_progress 1
		.amdhsa_inst_pref_size 0
		.amdhsa_round_robin_scheduling 0
		.amdhsa_exception_fp_ieee_invalid_op 0
		.amdhsa_exception_fp_denorm_src 0
		.amdhsa_exception_fp_ieee_div_zero 0
		.amdhsa_exception_fp_ieee_overflow 0
		.amdhsa_exception_fp_ieee_underflow 0
		.amdhsa_exception_fp_ieee_inexact 0
		.amdhsa_exception_int_div_zero 0
	.end_amdhsa_kernel
	.section	.text._ZN7rocprim17ROCPRIM_400000_NS6detail17trampoline_kernelINS0_14default_configENS1_25partition_config_selectorILNS1_17partition_subalgoE6EtNS0_10empty_typeEbEEZZNS1_14partition_implILS5_6ELb0ES3_mN6thrust23THRUST_200600_302600_NS6detail15normal_iteratorINSA_10device_ptrItEEEEPS6_SG_NS0_5tupleIJSF_S6_EEENSH_IJSG_SG_EEES6_PlJNSB_9not_fun_tI7is_trueItEEEEEE10hipError_tPvRmT3_T4_T5_T6_T7_T9_mT8_P12ihipStream_tbDpT10_ENKUlT_T0_E_clISt17integral_constantIbLb0EES18_EEDaS13_S14_EUlS13_E_NS1_11comp_targetILNS1_3genE2ELNS1_11target_archE906ELNS1_3gpuE6ELNS1_3repE0EEENS1_30default_config_static_selectorELNS0_4arch9wavefront6targetE0EEEvT1_,"axG",@progbits,_ZN7rocprim17ROCPRIM_400000_NS6detail17trampoline_kernelINS0_14default_configENS1_25partition_config_selectorILNS1_17partition_subalgoE6EtNS0_10empty_typeEbEEZZNS1_14partition_implILS5_6ELb0ES3_mN6thrust23THRUST_200600_302600_NS6detail15normal_iteratorINSA_10device_ptrItEEEEPS6_SG_NS0_5tupleIJSF_S6_EEENSH_IJSG_SG_EEES6_PlJNSB_9not_fun_tI7is_trueItEEEEEE10hipError_tPvRmT3_T4_T5_T6_T7_T9_mT8_P12ihipStream_tbDpT10_ENKUlT_T0_E_clISt17integral_constantIbLb0EES18_EEDaS13_S14_EUlS13_E_NS1_11comp_targetILNS1_3genE2ELNS1_11target_archE906ELNS1_3gpuE6ELNS1_3repE0EEENS1_30default_config_static_selectorELNS0_4arch9wavefront6targetE0EEEvT1_,comdat
.Lfunc_end1177:
	.size	_ZN7rocprim17ROCPRIM_400000_NS6detail17trampoline_kernelINS0_14default_configENS1_25partition_config_selectorILNS1_17partition_subalgoE6EtNS0_10empty_typeEbEEZZNS1_14partition_implILS5_6ELb0ES3_mN6thrust23THRUST_200600_302600_NS6detail15normal_iteratorINSA_10device_ptrItEEEEPS6_SG_NS0_5tupleIJSF_S6_EEENSH_IJSG_SG_EEES6_PlJNSB_9not_fun_tI7is_trueItEEEEEE10hipError_tPvRmT3_T4_T5_T6_T7_T9_mT8_P12ihipStream_tbDpT10_ENKUlT_T0_E_clISt17integral_constantIbLb0EES18_EEDaS13_S14_EUlS13_E_NS1_11comp_targetILNS1_3genE2ELNS1_11target_archE906ELNS1_3gpuE6ELNS1_3repE0EEENS1_30default_config_static_selectorELNS0_4arch9wavefront6targetE0EEEvT1_, .Lfunc_end1177-_ZN7rocprim17ROCPRIM_400000_NS6detail17trampoline_kernelINS0_14default_configENS1_25partition_config_selectorILNS1_17partition_subalgoE6EtNS0_10empty_typeEbEEZZNS1_14partition_implILS5_6ELb0ES3_mN6thrust23THRUST_200600_302600_NS6detail15normal_iteratorINSA_10device_ptrItEEEEPS6_SG_NS0_5tupleIJSF_S6_EEENSH_IJSG_SG_EEES6_PlJNSB_9not_fun_tI7is_trueItEEEEEE10hipError_tPvRmT3_T4_T5_T6_T7_T9_mT8_P12ihipStream_tbDpT10_ENKUlT_T0_E_clISt17integral_constantIbLb0EES18_EEDaS13_S14_EUlS13_E_NS1_11comp_targetILNS1_3genE2ELNS1_11target_archE906ELNS1_3gpuE6ELNS1_3repE0EEENS1_30default_config_static_selectorELNS0_4arch9wavefront6targetE0EEEvT1_
                                        ; -- End function
	.set _ZN7rocprim17ROCPRIM_400000_NS6detail17trampoline_kernelINS0_14default_configENS1_25partition_config_selectorILNS1_17partition_subalgoE6EtNS0_10empty_typeEbEEZZNS1_14partition_implILS5_6ELb0ES3_mN6thrust23THRUST_200600_302600_NS6detail15normal_iteratorINSA_10device_ptrItEEEEPS6_SG_NS0_5tupleIJSF_S6_EEENSH_IJSG_SG_EEES6_PlJNSB_9not_fun_tI7is_trueItEEEEEE10hipError_tPvRmT3_T4_T5_T6_T7_T9_mT8_P12ihipStream_tbDpT10_ENKUlT_T0_E_clISt17integral_constantIbLb0EES18_EEDaS13_S14_EUlS13_E_NS1_11comp_targetILNS1_3genE2ELNS1_11target_archE906ELNS1_3gpuE6ELNS1_3repE0EEENS1_30default_config_static_selectorELNS0_4arch9wavefront6targetE0EEEvT1_.num_vgpr, 0
	.set _ZN7rocprim17ROCPRIM_400000_NS6detail17trampoline_kernelINS0_14default_configENS1_25partition_config_selectorILNS1_17partition_subalgoE6EtNS0_10empty_typeEbEEZZNS1_14partition_implILS5_6ELb0ES3_mN6thrust23THRUST_200600_302600_NS6detail15normal_iteratorINSA_10device_ptrItEEEEPS6_SG_NS0_5tupleIJSF_S6_EEENSH_IJSG_SG_EEES6_PlJNSB_9not_fun_tI7is_trueItEEEEEE10hipError_tPvRmT3_T4_T5_T6_T7_T9_mT8_P12ihipStream_tbDpT10_ENKUlT_T0_E_clISt17integral_constantIbLb0EES18_EEDaS13_S14_EUlS13_E_NS1_11comp_targetILNS1_3genE2ELNS1_11target_archE906ELNS1_3gpuE6ELNS1_3repE0EEENS1_30default_config_static_selectorELNS0_4arch9wavefront6targetE0EEEvT1_.num_agpr, 0
	.set _ZN7rocprim17ROCPRIM_400000_NS6detail17trampoline_kernelINS0_14default_configENS1_25partition_config_selectorILNS1_17partition_subalgoE6EtNS0_10empty_typeEbEEZZNS1_14partition_implILS5_6ELb0ES3_mN6thrust23THRUST_200600_302600_NS6detail15normal_iteratorINSA_10device_ptrItEEEEPS6_SG_NS0_5tupleIJSF_S6_EEENSH_IJSG_SG_EEES6_PlJNSB_9not_fun_tI7is_trueItEEEEEE10hipError_tPvRmT3_T4_T5_T6_T7_T9_mT8_P12ihipStream_tbDpT10_ENKUlT_T0_E_clISt17integral_constantIbLb0EES18_EEDaS13_S14_EUlS13_E_NS1_11comp_targetILNS1_3genE2ELNS1_11target_archE906ELNS1_3gpuE6ELNS1_3repE0EEENS1_30default_config_static_selectorELNS0_4arch9wavefront6targetE0EEEvT1_.numbered_sgpr, 0
	.set _ZN7rocprim17ROCPRIM_400000_NS6detail17trampoline_kernelINS0_14default_configENS1_25partition_config_selectorILNS1_17partition_subalgoE6EtNS0_10empty_typeEbEEZZNS1_14partition_implILS5_6ELb0ES3_mN6thrust23THRUST_200600_302600_NS6detail15normal_iteratorINSA_10device_ptrItEEEEPS6_SG_NS0_5tupleIJSF_S6_EEENSH_IJSG_SG_EEES6_PlJNSB_9not_fun_tI7is_trueItEEEEEE10hipError_tPvRmT3_T4_T5_T6_T7_T9_mT8_P12ihipStream_tbDpT10_ENKUlT_T0_E_clISt17integral_constantIbLb0EES18_EEDaS13_S14_EUlS13_E_NS1_11comp_targetILNS1_3genE2ELNS1_11target_archE906ELNS1_3gpuE6ELNS1_3repE0EEENS1_30default_config_static_selectorELNS0_4arch9wavefront6targetE0EEEvT1_.num_named_barrier, 0
	.set _ZN7rocprim17ROCPRIM_400000_NS6detail17trampoline_kernelINS0_14default_configENS1_25partition_config_selectorILNS1_17partition_subalgoE6EtNS0_10empty_typeEbEEZZNS1_14partition_implILS5_6ELb0ES3_mN6thrust23THRUST_200600_302600_NS6detail15normal_iteratorINSA_10device_ptrItEEEEPS6_SG_NS0_5tupleIJSF_S6_EEENSH_IJSG_SG_EEES6_PlJNSB_9not_fun_tI7is_trueItEEEEEE10hipError_tPvRmT3_T4_T5_T6_T7_T9_mT8_P12ihipStream_tbDpT10_ENKUlT_T0_E_clISt17integral_constantIbLb0EES18_EEDaS13_S14_EUlS13_E_NS1_11comp_targetILNS1_3genE2ELNS1_11target_archE906ELNS1_3gpuE6ELNS1_3repE0EEENS1_30default_config_static_selectorELNS0_4arch9wavefront6targetE0EEEvT1_.private_seg_size, 0
	.set _ZN7rocprim17ROCPRIM_400000_NS6detail17trampoline_kernelINS0_14default_configENS1_25partition_config_selectorILNS1_17partition_subalgoE6EtNS0_10empty_typeEbEEZZNS1_14partition_implILS5_6ELb0ES3_mN6thrust23THRUST_200600_302600_NS6detail15normal_iteratorINSA_10device_ptrItEEEEPS6_SG_NS0_5tupleIJSF_S6_EEENSH_IJSG_SG_EEES6_PlJNSB_9not_fun_tI7is_trueItEEEEEE10hipError_tPvRmT3_T4_T5_T6_T7_T9_mT8_P12ihipStream_tbDpT10_ENKUlT_T0_E_clISt17integral_constantIbLb0EES18_EEDaS13_S14_EUlS13_E_NS1_11comp_targetILNS1_3genE2ELNS1_11target_archE906ELNS1_3gpuE6ELNS1_3repE0EEENS1_30default_config_static_selectorELNS0_4arch9wavefront6targetE0EEEvT1_.uses_vcc, 0
	.set _ZN7rocprim17ROCPRIM_400000_NS6detail17trampoline_kernelINS0_14default_configENS1_25partition_config_selectorILNS1_17partition_subalgoE6EtNS0_10empty_typeEbEEZZNS1_14partition_implILS5_6ELb0ES3_mN6thrust23THRUST_200600_302600_NS6detail15normal_iteratorINSA_10device_ptrItEEEEPS6_SG_NS0_5tupleIJSF_S6_EEENSH_IJSG_SG_EEES6_PlJNSB_9not_fun_tI7is_trueItEEEEEE10hipError_tPvRmT3_T4_T5_T6_T7_T9_mT8_P12ihipStream_tbDpT10_ENKUlT_T0_E_clISt17integral_constantIbLb0EES18_EEDaS13_S14_EUlS13_E_NS1_11comp_targetILNS1_3genE2ELNS1_11target_archE906ELNS1_3gpuE6ELNS1_3repE0EEENS1_30default_config_static_selectorELNS0_4arch9wavefront6targetE0EEEvT1_.uses_flat_scratch, 0
	.set _ZN7rocprim17ROCPRIM_400000_NS6detail17trampoline_kernelINS0_14default_configENS1_25partition_config_selectorILNS1_17partition_subalgoE6EtNS0_10empty_typeEbEEZZNS1_14partition_implILS5_6ELb0ES3_mN6thrust23THRUST_200600_302600_NS6detail15normal_iteratorINSA_10device_ptrItEEEEPS6_SG_NS0_5tupleIJSF_S6_EEENSH_IJSG_SG_EEES6_PlJNSB_9not_fun_tI7is_trueItEEEEEE10hipError_tPvRmT3_T4_T5_T6_T7_T9_mT8_P12ihipStream_tbDpT10_ENKUlT_T0_E_clISt17integral_constantIbLb0EES18_EEDaS13_S14_EUlS13_E_NS1_11comp_targetILNS1_3genE2ELNS1_11target_archE906ELNS1_3gpuE6ELNS1_3repE0EEENS1_30default_config_static_selectorELNS0_4arch9wavefront6targetE0EEEvT1_.has_dyn_sized_stack, 0
	.set _ZN7rocprim17ROCPRIM_400000_NS6detail17trampoline_kernelINS0_14default_configENS1_25partition_config_selectorILNS1_17partition_subalgoE6EtNS0_10empty_typeEbEEZZNS1_14partition_implILS5_6ELb0ES3_mN6thrust23THRUST_200600_302600_NS6detail15normal_iteratorINSA_10device_ptrItEEEEPS6_SG_NS0_5tupleIJSF_S6_EEENSH_IJSG_SG_EEES6_PlJNSB_9not_fun_tI7is_trueItEEEEEE10hipError_tPvRmT3_T4_T5_T6_T7_T9_mT8_P12ihipStream_tbDpT10_ENKUlT_T0_E_clISt17integral_constantIbLb0EES18_EEDaS13_S14_EUlS13_E_NS1_11comp_targetILNS1_3genE2ELNS1_11target_archE906ELNS1_3gpuE6ELNS1_3repE0EEENS1_30default_config_static_selectorELNS0_4arch9wavefront6targetE0EEEvT1_.has_recursion, 0
	.set _ZN7rocprim17ROCPRIM_400000_NS6detail17trampoline_kernelINS0_14default_configENS1_25partition_config_selectorILNS1_17partition_subalgoE6EtNS0_10empty_typeEbEEZZNS1_14partition_implILS5_6ELb0ES3_mN6thrust23THRUST_200600_302600_NS6detail15normal_iteratorINSA_10device_ptrItEEEEPS6_SG_NS0_5tupleIJSF_S6_EEENSH_IJSG_SG_EEES6_PlJNSB_9not_fun_tI7is_trueItEEEEEE10hipError_tPvRmT3_T4_T5_T6_T7_T9_mT8_P12ihipStream_tbDpT10_ENKUlT_T0_E_clISt17integral_constantIbLb0EES18_EEDaS13_S14_EUlS13_E_NS1_11comp_targetILNS1_3genE2ELNS1_11target_archE906ELNS1_3gpuE6ELNS1_3repE0EEENS1_30default_config_static_selectorELNS0_4arch9wavefront6targetE0EEEvT1_.has_indirect_call, 0
	.section	.AMDGPU.csdata,"",@progbits
; Kernel info:
; codeLenInByte = 0
; TotalNumSgprs: 0
; NumVgprs: 0
; ScratchSize: 0
; MemoryBound: 0
; FloatMode: 240
; IeeeMode: 1
; LDSByteSize: 0 bytes/workgroup (compile time only)
; SGPRBlocks: 0
; VGPRBlocks: 0
; NumSGPRsForWavesPerEU: 1
; NumVGPRsForWavesPerEU: 1
; Occupancy: 16
; WaveLimiterHint : 0
; COMPUTE_PGM_RSRC2:SCRATCH_EN: 0
; COMPUTE_PGM_RSRC2:USER_SGPR: 2
; COMPUTE_PGM_RSRC2:TRAP_HANDLER: 0
; COMPUTE_PGM_RSRC2:TGID_X_EN: 1
; COMPUTE_PGM_RSRC2:TGID_Y_EN: 0
; COMPUTE_PGM_RSRC2:TGID_Z_EN: 0
; COMPUTE_PGM_RSRC2:TIDIG_COMP_CNT: 0
	.section	.text._ZN7rocprim17ROCPRIM_400000_NS6detail17trampoline_kernelINS0_14default_configENS1_25partition_config_selectorILNS1_17partition_subalgoE6EtNS0_10empty_typeEbEEZZNS1_14partition_implILS5_6ELb0ES3_mN6thrust23THRUST_200600_302600_NS6detail15normal_iteratorINSA_10device_ptrItEEEEPS6_SG_NS0_5tupleIJSF_S6_EEENSH_IJSG_SG_EEES6_PlJNSB_9not_fun_tI7is_trueItEEEEEE10hipError_tPvRmT3_T4_T5_T6_T7_T9_mT8_P12ihipStream_tbDpT10_ENKUlT_T0_E_clISt17integral_constantIbLb0EES18_EEDaS13_S14_EUlS13_E_NS1_11comp_targetILNS1_3genE10ELNS1_11target_archE1200ELNS1_3gpuE4ELNS1_3repE0EEENS1_30default_config_static_selectorELNS0_4arch9wavefront6targetE0EEEvT1_,"axG",@progbits,_ZN7rocprim17ROCPRIM_400000_NS6detail17trampoline_kernelINS0_14default_configENS1_25partition_config_selectorILNS1_17partition_subalgoE6EtNS0_10empty_typeEbEEZZNS1_14partition_implILS5_6ELb0ES3_mN6thrust23THRUST_200600_302600_NS6detail15normal_iteratorINSA_10device_ptrItEEEEPS6_SG_NS0_5tupleIJSF_S6_EEENSH_IJSG_SG_EEES6_PlJNSB_9not_fun_tI7is_trueItEEEEEE10hipError_tPvRmT3_T4_T5_T6_T7_T9_mT8_P12ihipStream_tbDpT10_ENKUlT_T0_E_clISt17integral_constantIbLb0EES18_EEDaS13_S14_EUlS13_E_NS1_11comp_targetILNS1_3genE10ELNS1_11target_archE1200ELNS1_3gpuE4ELNS1_3repE0EEENS1_30default_config_static_selectorELNS0_4arch9wavefront6targetE0EEEvT1_,comdat
	.protected	_ZN7rocprim17ROCPRIM_400000_NS6detail17trampoline_kernelINS0_14default_configENS1_25partition_config_selectorILNS1_17partition_subalgoE6EtNS0_10empty_typeEbEEZZNS1_14partition_implILS5_6ELb0ES3_mN6thrust23THRUST_200600_302600_NS6detail15normal_iteratorINSA_10device_ptrItEEEEPS6_SG_NS0_5tupleIJSF_S6_EEENSH_IJSG_SG_EEES6_PlJNSB_9not_fun_tI7is_trueItEEEEEE10hipError_tPvRmT3_T4_T5_T6_T7_T9_mT8_P12ihipStream_tbDpT10_ENKUlT_T0_E_clISt17integral_constantIbLb0EES18_EEDaS13_S14_EUlS13_E_NS1_11comp_targetILNS1_3genE10ELNS1_11target_archE1200ELNS1_3gpuE4ELNS1_3repE0EEENS1_30default_config_static_selectorELNS0_4arch9wavefront6targetE0EEEvT1_ ; -- Begin function _ZN7rocprim17ROCPRIM_400000_NS6detail17trampoline_kernelINS0_14default_configENS1_25partition_config_selectorILNS1_17partition_subalgoE6EtNS0_10empty_typeEbEEZZNS1_14partition_implILS5_6ELb0ES3_mN6thrust23THRUST_200600_302600_NS6detail15normal_iteratorINSA_10device_ptrItEEEEPS6_SG_NS0_5tupleIJSF_S6_EEENSH_IJSG_SG_EEES6_PlJNSB_9not_fun_tI7is_trueItEEEEEE10hipError_tPvRmT3_T4_T5_T6_T7_T9_mT8_P12ihipStream_tbDpT10_ENKUlT_T0_E_clISt17integral_constantIbLb0EES18_EEDaS13_S14_EUlS13_E_NS1_11comp_targetILNS1_3genE10ELNS1_11target_archE1200ELNS1_3gpuE4ELNS1_3repE0EEENS1_30default_config_static_selectorELNS0_4arch9wavefront6targetE0EEEvT1_
	.globl	_ZN7rocprim17ROCPRIM_400000_NS6detail17trampoline_kernelINS0_14default_configENS1_25partition_config_selectorILNS1_17partition_subalgoE6EtNS0_10empty_typeEbEEZZNS1_14partition_implILS5_6ELb0ES3_mN6thrust23THRUST_200600_302600_NS6detail15normal_iteratorINSA_10device_ptrItEEEEPS6_SG_NS0_5tupleIJSF_S6_EEENSH_IJSG_SG_EEES6_PlJNSB_9not_fun_tI7is_trueItEEEEEE10hipError_tPvRmT3_T4_T5_T6_T7_T9_mT8_P12ihipStream_tbDpT10_ENKUlT_T0_E_clISt17integral_constantIbLb0EES18_EEDaS13_S14_EUlS13_E_NS1_11comp_targetILNS1_3genE10ELNS1_11target_archE1200ELNS1_3gpuE4ELNS1_3repE0EEENS1_30default_config_static_selectorELNS0_4arch9wavefront6targetE0EEEvT1_
	.p2align	8
	.type	_ZN7rocprim17ROCPRIM_400000_NS6detail17trampoline_kernelINS0_14default_configENS1_25partition_config_selectorILNS1_17partition_subalgoE6EtNS0_10empty_typeEbEEZZNS1_14partition_implILS5_6ELb0ES3_mN6thrust23THRUST_200600_302600_NS6detail15normal_iteratorINSA_10device_ptrItEEEEPS6_SG_NS0_5tupleIJSF_S6_EEENSH_IJSG_SG_EEES6_PlJNSB_9not_fun_tI7is_trueItEEEEEE10hipError_tPvRmT3_T4_T5_T6_T7_T9_mT8_P12ihipStream_tbDpT10_ENKUlT_T0_E_clISt17integral_constantIbLb0EES18_EEDaS13_S14_EUlS13_E_NS1_11comp_targetILNS1_3genE10ELNS1_11target_archE1200ELNS1_3gpuE4ELNS1_3repE0EEENS1_30default_config_static_selectorELNS0_4arch9wavefront6targetE0EEEvT1_,@function
_ZN7rocprim17ROCPRIM_400000_NS6detail17trampoline_kernelINS0_14default_configENS1_25partition_config_selectorILNS1_17partition_subalgoE6EtNS0_10empty_typeEbEEZZNS1_14partition_implILS5_6ELb0ES3_mN6thrust23THRUST_200600_302600_NS6detail15normal_iteratorINSA_10device_ptrItEEEEPS6_SG_NS0_5tupleIJSF_S6_EEENSH_IJSG_SG_EEES6_PlJNSB_9not_fun_tI7is_trueItEEEEEE10hipError_tPvRmT3_T4_T5_T6_T7_T9_mT8_P12ihipStream_tbDpT10_ENKUlT_T0_E_clISt17integral_constantIbLb0EES18_EEDaS13_S14_EUlS13_E_NS1_11comp_targetILNS1_3genE10ELNS1_11target_archE1200ELNS1_3gpuE4ELNS1_3repE0EEENS1_30default_config_static_selectorELNS0_4arch9wavefront6targetE0EEEvT1_: ; @_ZN7rocprim17ROCPRIM_400000_NS6detail17trampoline_kernelINS0_14default_configENS1_25partition_config_selectorILNS1_17partition_subalgoE6EtNS0_10empty_typeEbEEZZNS1_14partition_implILS5_6ELb0ES3_mN6thrust23THRUST_200600_302600_NS6detail15normal_iteratorINSA_10device_ptrItEEEEPS6_SG_NS0_5tupleIJSF_S6_EEENSH_IJSG_SG_EEES6_PlJNSB_9not_fun_tI7is_trueItEEEEEE10hipError_tPvRmT3_T4_T5_T6_T7_T9_mT8_P12ihipStream_tbDpT10_ENKUlT_T0_E_clISt17integral_constantIbLb0EES18_EEDaS13_S14_EUlS13_E_NS1_11comp_targetILNS1_3genE10ELNS1_11target_archE1200ELNS1_3gpuE4ELNS1_3repE0EEENS1_30default_config_static_selectorELNS0_4arch9wavefront6targetE0EEEvT1_
; %bb.0:
	s_clause 0x3
	s_load_b128 s[4:7], s[0:1], 0x8
	s_load_b128 s[20:23], s[0:1], 0x40
	s_load_b32 s8, s[0:1], 0x68
	s_load_b64 s[2:3], s[0:1], 0x50
	s_mov_b32 s9, 0
	v_lshlrev_b32_e32 v17, 1, v0
	s_wait_kmcnt 0x0
	s_lshl_b64 s[10:11], s[6:7], 1
	s_load_b64 s[22:23], s[22:23], 0x0
	s_add_co_i32 s12, s8, -1
	s_mulk_i32 s8, 0x1b00
	s_add_nc_u64 s[10:11], s[4:5], s[10:11]
	s_add_nc_u64 s[4:5], s[6:7], s[8:9]
	s_add_co_i32 s6, s8, s6
	v_cmp_le_u64_e64 s3, s[2:3], s[4:5]
	s_sub_co_i32 s26, s2, s6
	s_cmp_eq_u32 ttmp9, s12
	s_mul_i32 s8, ttmp9, 0x1b00
	s_cselect_b32 s19, -1, 0
	s_mov_b32 s4, -1
	s_and_b32 s2, s19, s3
	s_wait_alu 0xfffe
	s_xor_b32 s24, s2, -1
	s_lshl_b64 s[2:3], s[8:9], 1
	s_and_b32 vcc_lo, exec_lo, s24
	s_wait_alu 0xfffe
	s_add_nc_u64 s[2:3], s[10:11], s[2:3]
	s_cbranch_vccz .LBB1178_2
; %bb.1:
	s_wait_alu 0xfffe
	v_add_co_u32 v1, s4, s2, v17
	s_wait_alu 0xf1ff
	v_add_co_ci_u32_e64 v2, null, s3, 0, s4
	s_mov_b32 s4, 0
	s_clause 0x11
	flat_load_u16 v3, v[1:2]
	flat_load_u16 v4, v[1:2] offset:768
	flat_load_u16 v5, v[1:2] offset:1536
	;; [unrolled: 1-line block ×17, first 2 shown]
	s_wait_loadcnt_dscnt 0x1111
	ds_store_b16 v17, v3
	s_wait_loadcnt_dscnt 0x1011
	ds_store_b16 v17, v4 offset:768
	s_wait_loadcnt_dscnt 0xf11
	ds_store_b16 v17, v5 offset:1536
	;; [unrolled: 2-line block ×17, first 2 shown]
	s_wait_dscnt 0x0
	s_barrier_signal -1
	s_barrier_wait -1
.LBB1178_2:
	s_wait_alu 0xfffe
	s_and_not1_b32 vcc_lo, exec_lo, s4
	s_addk_co_i32 s26, 0x1b00
	s_cbranch_vccnz .LBB1178_40
; %bb.3:
	v_mov_b32_e32 v1, 0
	s_mov_b32 s4, exec_lo
	s_delay_alu instid0(VALU_DEP_1)
	v_dual_mov_b32 v2, v1 :: v_dual_mov_b32 v3, v1
	v_dual_mov_b32 v4, v1 :: v_dual_mov_b32 v5, v1
	;; [unrolled: 1-line block ×4, first 2 shown]
	v_cmpx_gt_u32_e64 s26, v0
	s_cbranch_execz .LBB1178_5
; %bb.4:
	v_add_co_u32 v3, s5, s2, v17
	s_wait_alu 0xf1ff
	v_add_co_ci_u32_e64 v4, null, s3, 0, s5
	v_mov_b32_e32 v2, v1
	v_dual_mov_b32 v6, v1 :: v_dual_mov_b32 v7, v1
	v_dual_mov_b32 v5, v1 :: v_dual_mov_b32 v8, v1
	v_mov_b32_e32 v9, v1
	flat_load_d16_b16 v2, v[3:4]
	v_dual_mov_b32 v3, v1 :: v_dual_mov_b32 v4, v1
	v_mov_b32_e32 v10, v1
	s_wait_loadcnt_dscnt 0x0
	v_mov_b32_e32 v1, v2
	s_delay_alu instid0(VALU_DEP_3)
	v_mov_b32_e32 v2, v3
	v_mov_b32_e32 v3, v4
	;; [unrolled: 1-line block ×15, first 2 shown]
.LBB1178_5:
	s_wait_alu 0xfffe
	s_or_b32 exec_lo, exec_lo, s4
	v_add_nc_u32_e32 v10, 0x180, v0
	s_mov_b32 s4, exec_lo
	s_delay_alu instid0(VALU_DEP_1)
	v_cmpx_gt_u32_e64 s26, v10
	s_cbranch_execz .LBB1178_7
; %bb.6:
	v_add_co_u32 v10, s5, s2, v17
	s_wait_alu 0xf1ff
	v_add_co_ci_u32_e64 v11, null, s3, 0, s5
	flat_load_d16_hi_b16 v1, v[10:11] offset:768
.LBB1178_7:
	s_wait_alu 0xfffe
	s_or_b32 exec_lo, exec_lo, s4
	v_add_nc_u32_e32 v10, 0x300, v0
	s_mov_b32 s4, exec_lo
	s_delay_alu instid0(VALU_DEP_1)
	v_cmpx_gt_u32_e64 s26, v10
	s_cbranch_execz .LBB1178_9
; %bb.8:
	v_add_co_u32 v10, s5, s2, v17
	s_wait_alu 0xf1ff
	v_add_co_ci_u32_e64 v11, null, s3, 0, s5
	flat_load_d16_b16 v2, v[10:11] offset:1536
.LBB1178_9:
	s_wait_alu 0xfffe
	s_or_b32 exec_lo, exec_lo, s4
	v_add_nc_u32_e32 v10, 0x480, v0
	s_mov_b32 s4, exec_lo
	s_delay_alu instid0(VALU_DEP_1)
	v_cmpx_gt_u32_e64 s26, v10
	s_cbranch_execz .LBB1178_11
; %bb.10:
	v_add_co_u32 v10, s5, s2, v17
	s_wait_alu 0xf1ff
	v_add_co_ci_u32_e64 v11, null, s3, 0, s5
	s_wait_loadcnt_dscnt 0x0
	flat_load_d16_hi_b16 v2, v[10:11] offset:2304
.LBB1178_11:
	s_wait_alu 0xfffe
	s_or_b32 exec_lo, exec_lo, s4
	v_or_b32_e32 v10, 0x600, v0
	s_mov_b32 s4, exec_lo
	s_delay_alu instid0(VALU_DEP_1)
	v_cmpx_gt_u32_e64 s26, v10
	s_cbranch_execz .LBB1178_13
; %bb.12:
	v_add_co_u32 v10, s5, s2, v17
	s_wait_alu 0xf1ff
	v_add_co_ci_u32_e64 v11, null, s3, 0, s5
	flat_load_d16_b16 v3, v[10:11] offset:3072
.LBB1178_13:
	s_wait_alu 0xfffe
	s_or_b32 exec_lo, exec_lo, s4
	v_add_nc_u32_e32 v10, 0x780, v0
	s_mov_b32 s4, exec_lo
	s_delay_alu instid0(VALU_DEP_1)
	v_cmpx_gt_u32_e64 s26, v10
	s_cbranch_execz .LBB1178_15
; %bb.14:
	v_add_co_u32 v10, s5, s2, v17
	s_wait_alu 0xf1ff
	v_add_co_ci_u32_e64 v11, null, s3, 0, s5
	s_wait_loadcnt_dscnt 0x0
	flat_load_d16_hi_b16 v3, v[10:11] offset:3840
.LBB1178_15:
	s_wait_alu 0xfffe
	s_or_b32 exec_lo, exec_lo, s4
	v_add_nc_u32_e32 v10, 0x900, v0
	s_mov_b32 s4, exec_lo
	s_delay_alu instid0(VALU_DEP_1)
	v_cmpx_gt_u32_e64 s26, v10
	s_cbranch_execz .LBB1178_17
; %bb.16:
	v_add_co_u32 v10, s5, s2, v17
	s_wait_alu 0xf1ff
	v_add_co_ci_u32_e64 v11, null, s3, 0, s5
	flat_load_d16_b16 v4, v[10:11] offset:4608
.LBB1178_17:
	s_wait_alu 0xfffe
	s_or_b32 exec_lo, exec_lo, s4
	v_add_nc_u32_e32 v10, 0xa80, v0
	s_mov_b32 s4, exec_lo
	s_delay_alu instid0(VALU_DEP_1)
	v_cmpx_gt_u32_e64 s26, v10
	s_cbranch_execz .LBB1178_19
; %bb.18:
	v_add_co_u32 v10, s5, s2, v17
	s_wait_alu 0xf1ff
	v_add_co_ci_u32_e64 v11, null, s3, 0, s5
	s_wait_loadcnt_dscnt 0x0
	flat_load_d16_hi_b16 v4, v[10:11] offset:5376
.LBB1178_19:
	s_wait_alu 0xfffe
	s_or_b32 exec_lo, exec_lo, s4
	v_or_b32_e32 v10, 0xc00, v0
	s_mov_b32 s4, exec_lo
	s_delay_alu instid0(VALU_DEP_1)
	v_cmpx_gt_u32_e64 s26, v10
	s_cbranch_execz .LBB1178_21
; %bb.20:
	v_add_co_u32 v10, s5, s2, v17
	s_wait_alu 0xf1ff
	v_add_co_ci_u32_e64 v11, null, s3, 0, s5
	flat_load_d16_b16 v5, v[10:11] offset:6144
.LBB1178_21:
	s_wait_alu 0xfffe
	s_or_b32 exec_lo, exec_lo, s4
	v_add_nc_u32_e32 v10, 0xd80, v0
	s_mov_b32 s4, exec_lo
	s_delay_alu instid0(VALU_DEP_1)
	v_cmpx_gt_u32_e64 s26, v10
	s_cbranch_execz .LBB1178_23
; %bb.22:
	v_add_co_u32 v10, s5, s2, v17
	s_wait_alu 0xf1ff
	v_add_co_ci_u32_e64 v11, null, s3, 0, s5
	s_wait_loadcnt_dscnt 0x0
	flat_load_d16_hi_b16 v5, v[10:11] offset:6912
.LBB1178_23:
	;; [unrolled: 54-line block ×4, first 2 shown]
	s_wait_alu 0xfffe
	s_or_b32 exec_lo, exec_lo, s4
	s_wait_loadcnt_dscnt 0x0
	ds_store_b16 v17, v1
	ds_store_b16_d16_hi v17, v1 offset:768
	ds_store_b16 v17, v2 offset:1536
	ds_store_b16_d16_hi v17, v2 offset:2304
	ds_store_b16 v17, v3 offset:3072
	;; [unrolled: 2-line block ×8, first 2 shown]
	ds_store_b16_d16_hi v17, v9 offset:13056
	s_wait_dscnt 0x0
	s_barrier_signal -1
	s_barrier_wait -1
.LBB1178_40:
	v_mul_u32_u24_e32 v1, 18, v0
	global_inv scope:SCOPE_SE
	s_and_not1_b32 vcc_lo, exec_lo, s24
	v_lshlrev_b32_e32 v2, 1, v1
	ds_load_2addr_b32 v[9:10], v2 offset0:7 offset1:8
	ds_load_b32 v54, v2
	ds_load_2addr_b32 v[15:16], v2 offset0:1 offset1:2
	ds_load_2addr_b32 v[13:14], v2 offset0:3 offset1:4
	;; [unrolled: 1-line block ×3, first 2 shown]
	s_wait_loadcnt_dscnt 0x0
	s_barrier_signal -1
	s_barrier_wait -1
	global_inv scope:SCOPE_SE
	v_alignbit_b32 v53, v10, v9, 16
	v_lshrrev_b32_e32 v10, 16, v10
	v_cmp_eq_u16_e64 s8, 0, v54
	v_lshrrev_b32_e32 v17, 16, v54
	v_cmp_eq_u16_e64 s9, 0, v15
	;; [unrolled: 2-line block ×8, first 2 shown]
	v_cmp_eq_u16_e64 s10, 0, v53
	v_lshrrev_b32_e32 v2, 16, v53
	v_cmp_eq_u16_e64 s25, 0, v10
	s_cbranch_vccnz .LBB1178_42
; %bb.41:
	v_cmp_eq_u16_e32 vcc_lo, 0, v17
	v_cndmask_b32_e64 v25, 0, 1, s10
	v_cndmask_b32_e64 v26, 0, 1, s8
	;; [unrolled: 1-line block ×4, first 2 shown]
	v_cndmask_b32_e64 v18, 0, 1, vcc_lo
	v_cmp_eq_u16_e32 vcc_lo, 0, v8
	v_lshlrev_b16 v25, 8, v25
	s_wait_alu 0xf1ff
	v_cndmask_b32_e64 v29, 0, 1, s3
	v_cndmask_b32_e64 v30, 0, 1, s2
	v_lshlrev_b16 v18, 8, v18
	s_wait_alu 0xfffd
	v_cndmask_b32_e64 v19, 0, 1, vcc_lo
	v_cmp_eq_u16_e32 vcc_lo, 0, v7
	v_or_b32_e32 v25, v30, v25
	v_lshrrev_b32_e32 v18, 8, v18
	s_delay_alu instid0(VALU_DEP_4)
	v_lshlrev_b16 v19, 8, v19
	s_wait_alu 0xfffd
	v_cndmask_b32_e64 v20, 0, 1, vcc_lo
	v_cmp_eq_u16_e32 vcc_lo, 0, v6
	v_lshlrev_b32_e32 v25, 16, v25
	v_lshlrev_b16 v18, 8, v18
	v_lshrrev_b32_e32 v19, 8, v19
	v_lshlrev_b16 v20, 8, v20
	s_wait_alu 0xfffd
	v_cndmask_b32_e64 v21, 0, 1, vcc_lo
	v_cmp_eq_u16_e32 vcc_lo, 0, v5
	v_or_b32_e32 v18, v26, v18
	v_lshlrev_b16 v19, 8, v19
	v_lshrrev_b32_e32 v20, 8, v20
	v_lshlrev_b16 v21, 8, v21
	s_wait_alu 0xfffd
	v_cndmask_b32_e64 v22, 0, 1, vcc_lo
	v_cmp_eq_u16_e32 vcc_lo, 0, v3
	v_or_b32_e32 v19, v28, v19
	v_lshlrev_b16 v20, 8, v20
	v_cndmask_b32_e64 v26, 0, 1, s4
	v_lshlrev_b16 v22, 8, v22
	s_wait_alu 0xfffd
	v_cndmask_b32_e64 v23, 0, 1, vcc_lo
	v_cmp_eq_u16_e32 vcc_lo, 0, v4
	v_or_b32_e32 v20, v27, v20
	v_cndmask_b32_e64 v27, 0, 1, s5
	v_lshrrev_b32_e32 v22, 8, v22
	v_lshlrev_b16 v23, 8, v23
	s_wait_alu 0xfffd
	v_cndmask_b32_e64 v24, 0, 1, vcc_lo
	v_cndmask_b32_e64 v28, 0, 1, s6
	v_or_b32_e32 v21, v26, v21
	v_lshlrev_b16 v22, 8, v22
	v_lshrrev_b32_e32 v23, 8, v23
	v_lshlrev_b16 v24, 8, v24
	v_and_b32_e32 v18, 0xffff, v18
	v_lshlrev_b32_e32 v20, 16, v20
	v_or_b32_e32 v22, v27, v22
	v_lshlrev_b16 v23, 8, v23
	v_lshrrev_b32_e32 v24, 8, v24
	v_and_b32_e32 v19, 0xffff, v19
	v_lshlrev_b32_e32 v21, 16, v21
	v_and_b32_e32 v22, 0xffff, v22
	v_or_b32_e32 v23, v28, v23
	v_lshlrev_b16 v24, 8, v24
	v_cmp_eq_u16_e32 vcc_lo, 0, v2
	v_or_b32_e32 v51, v18, v20
	v_or_b32_e32 v59, v19, v21
	v_lshlrev_b32_e32 v23, 16, v23
	v_or_b32_e32 v24, v29, v24
	s_wait_alu 0xfffd
	v_cndmask_b32_e64 v55, 0, 1, vcc_lo
	s_delay_alu instid0(VALU_DEP_3) | instskip(NEXT) | instid1(VALU_DEP_3)
	v_or_b32_e32 v57, v22, v23
	v_and_b32_e32 v24, 0xffff, v24
	s_delay_alu instid0(VALU_DEP_1)
	v_or_b32_e32 v56, v24, v25
	s_cbranch_execz .LBB1178_43
	s_branch .LBB1178_44
.LBB1178_42:
                                        ; implicit-def: $sgpr25
                                        ; implicit-def: $vgpr55
                                        ; implicit-def: $vgpr56
                                        ; implicit-def: $vgpr57
                                        ; implicit-def: $vgpr59
                                        ; implicit-def: $vgpr51
.LBB1178_43:
	v_or_b32_e32 v18, 1, v1
	v_cmp_eq_u16_e32 vcc_lo, 0, v17
	v_add_nc_u32_e32 v20, 3, v1
	v_add_nc_u32_e32 v19, 5, v1
	;; [unrolled: 1-line block ×3, first 2 shown]
	v_cmp_gt_u32_e64 s4, s26, v18
	v_add_nc_u32_e32 v18, 2, v1
	v_cmp_gt_u32_e64 s6, s26, v20
	v_cmp_gt_u32_e64 s8, s26, v19
	v_add_nc_u32_e32 v19, 9, v1
	s_and_b32 s4, s4, vcc_lo
	v_cmp_eq_u16_e32 vcc_lo, 0, v7
	s_wait_alu 0xfffe
	v_cndmask_b32_e64 v21, 0, 1, s4
	v_cmp_eq_u16_e64 s4, 0, v8
	v_cmp_gt_u32_e64 s9, s26, v18
	v_cmp_gt_u32_e64 s10, s26, v19
	s_and_b32 s6, s6, vcc_lo
	v_cmp_gt_u32_e32 vcc_lo, s26, v17
	v_add_nc_u32_e32 v17, 7, v1
	s_and_b32 s4, s8, s4
	s_wait_alu 0xfffe
	v_cndmask_b32_e64 v8, 0, 1, s6
	v_cndmask_b32_e64 v18, 0, 1, s4
	v_cmp_eq_u16_e64 s4, 0, v6
	v_cmp_gt_u32_e64 s6, s26, v17
	v_cmp_eq_u16_e64 s8, 0, v5
	v_add_nc_u32_e32 v17, 8, v1
	v_lshlrev_b16 v7, 8, v21
	v_add_nc_u32_e32 v21, 13, v1
	s_and_b32 s4, s6, s4
	s_and_b32 s6, s10, s8
	v_cmp_gt_u32_e64 s10, s26, v17
	s_wait_alu 0xfffe
	v_cndmask_b32_e64 v19, 0, 1, s6
	v_cmp_eq_u16_e64 s11, 0, v3
	v_lshlrev_b16 v6, 8, v18
	v_add_nc_u32_e32 v18, 6, v1
	v_cmp_eq_u16_e64 s12, 0, v4
	v_lshlrev_b16 v17, 8, v19
	v_add_nc_u32_e32 v19, 11, v1
	v_cmp_gt_u32_e64 s16, s26, v21
	v_cmp_gt_u32_e64 s8, s26, v18
	v_add_nc_u32_e32 v18, 12, v1
	v_add_nc_u32_e32 v4, 15, v1
	v_cmp_gt_u32_e64 s13, s26, v19
	v_lshlrev_b16 v8, 8, v8
	v_cmp_eq_u16_e64 s2, 0, v54
	v_cmp_gt_u32_e64 s3, s26, v1
	v_cmp_eq_u16_e64 s5, 0, v15
	s_and_b32 s11, s13, s11
	v_cmp_gt_u32_e64 s13, s26, v4
	s_wait_alu 0xfffe
	v_cndmask_b32_e64 v3, 0, 1, s11
	s_and_b32 s11, s16, s12
	v_cmp_eq_u16_e64 s12, 0, v53
	s_wait_alu 0xfffe
	v_cndmask_b32_e64 v19, 0, 1, s11
	v_cmp_gt_u32_e64 s11, s26, v18
	v_add_nc_u32_e32 v18, 16, v1
	v_lshrrev_b32_e32 v7, 8, v7
	v_lshrrev_b32_e32 v8, 8, v8
	v_lshlrev_b16 v4, 8, v19
	v_add_nc_u32_e32 v19, 14, v1
	s_and_b32 s2, s3, s2
	v_add_nc_u32_e32 v20, 10, v1
	s_and_b32 s12, s13, s12
	v_cmp_gt_u32_e64 s13, s26, v18
	s_wait_alu 0xfffe
	v_cndmask_b32_e64 v18, 0, 1, s2
	s_and_b32 s2, s9, s5
	v_cmp_gt_u32_e64 s16, s26, v19
	v_lshlrev_b16 v7, 8, v7
	v_lshlrev_b16 v8, 8, v8
	s_wait_alu 0xfffe
	v_cndmask_b32_e64 v19, 0, 1, s2
	v_cndmask_b32_e64 v5, 0, 1, s4
	v_cmp_eq_u16_e64 s4, 0, v13
	v_cmp_gt_u32_e64 s17, s26, v20
	v_cndmask_b32_e64 v20, 0, 1, s12
	v_cmp_eq_u16_e64 s7, 0, v16
	v_cmp_eq_u16_e64 s6, 0, v14
	v_add_nc_u32_e32 v1, 17, v1
	v_or_b32_e32 v7, v18, v7
	v_or_b32_e32 v8, v19, v8
	v_lshrrev_b32_e32 v6, 8, v6
	v_cmp_eq_u16_e64 s14, 0, v11
	v_lshlrev_b16 v5, 8, v5
	v_lshlrev_b16 v3, 8, v3
	v_cmp_eq_u16_e64 s12, 0, v2
	v_lshlrev_b16 v2, 8, v20
	s_and_b32 s3, s8, s4
	v_cmp_eq_u16_e64 s15, 0, v12
	s_and_b32 s2, vcc_lo, s7
	v_cmp_gt_u32_e32 vcc_lo, s26, v1
	v_and_b32_e32 v1, 0xffff, v7
	v_lshlrev_b32_e32 v7, 16, v8
	v_lshrrev_b32_e32 v8, 8, v17
	s_wait_alu 0xfffe
	v_cndmask_b32_e64 v17, 0, 1, s3
	s_and_b32 s3, s10, s6
	v_cmp_eq_u16_e64 s18, 0, v9
	v_lshlrev_b16 v6, 8, v6
	v_cndmask_b32_e64 v20, 0, 1, s2
	s_wait_alu 0xfffe
	v_cndmask_b32_e64 v18, 0, 1, s3
	s_and_b32 s3, s17, s14
	v_lshrrev_b32_e32 v5, 8, v5
	v_lshrrev_b32_e32 v2, 8, v2
	;; [unrolled: 1-line block ×4, first 2 shown]
	s_wait_alu 0xfffe
	v_cndmask_b32_e64 v19, 0, 1, s3
	s_and_b32 s3, s11, s15
	v_or_b32_e32 v6, v20, v6
	s_wait_alu 0xfffe
	v_cndmask_b32_e64 v20, 0, 1, s3
	s_and_b32 s3, s16, s18
	v_lshlrev_b16 v5, 8, v5
	v_lshlrev_b16 v8, 8, v8
	;; [unrolled: 1-line block ×5, first 2 shown]
	s_wait_alu 0xfffe
	v_cndmask_b32_e64 v21, 0, 1, s3
	v_or_b32_e32 v5, v17, v5
	v_or_b32_e32 v8, v18, v8
	;; [unrolled: 1-line block ×5, first 2 shown]
	v_cmp_eq_u16_e64 s2, 0, v10
	v_and_b32_e32 v6, 0xffff, v6
	v_lshlrev_b32_e32 v5, 16, v5
	v_and_b32_e32 v8, 0xffff, v8
	v_lshlrev_b32_e32 v3, 16, v3
	;; [unrolled: 2-line block ×3, first 2 shown]
	s_and_b32 s12, s13, s12
	s_and_b32 s2, vcc_lo, s2
	s_wait_alu 0xfffe
	v_cndmask_b32_e64 v55, 0, 1, s12
	v_or_b32_e32 v51, v1, v7
	v_or_b32_e32 v59, v6, v5
	;; [unrolled: 1-line block ×4, first 2 shown]
	s_and_not1_b32 s3, s25, exec_lo
	s_and_b32 s2, s2, exec_lo
	s_wait_alu 0xfffe
	s_or_b32 s25, s3, s2
.LBB1178_44:
	v_and_b32_e32 v26, 0xff, v51
	v_bfe_u32 v25, v51, 8, 8
	v_cndmask_b32_e64 v1, 0, 1, s25
	v_bfe_u32 v33, v51, 16, 8
	v_lshrrev_b32_e32 v62, 24, v51
	v_and_b32_e32 v32, 0xff, v59
	v_bfe_u32 v31, v59, 8, 8
	v_add3_u32 v1, v26, v1, v25
	v_bfe_u32 v30, v59, 16, 8
	v_lshrrev_b32_e32 v61, 24, v59
	v_dual_mov_b32 v2, 0 :: v_dual_and_b32 v29, 0xff, v57
	s_delay_alu instid0(VALU_DEP_4) | instskip(SKIP_3) | instid1(VALU_DEP_3)
	v_add_co_u32 v1, s2, v1, v33
	s_wait_alu 0xf1ff
	v_add_co_ci_u32_e64 v3, null, 0, 0, s2
	v_bfe_u32 v28, v57, 8, 8
	v_add_co_u32 v1, vcc_lo, v1, v62
	s_wait_alu 0xfffd
	s_delay_alu instid0(VALU_DEP_3) | instskip(SKIP_1) | instid1(VALU_DEP_3)
	v_add_co_ci_u32_e64 v3, null, 0, v3, vcc_lo
	v_bfe_u32 v27, v57, 16, 8
	v_add_co_u32 v1, vcc_lo, v1, v32
	s_wait_alu 0xfffd
	s_delay_alu instid0(VALU_DEP_3) | instskip(SKIP_1) | instid1(VALU_DEP_3)
	v_add_co_ci_u32_e64 v3, null, 0, v3, vcc_lo
	v_lshrrev_b32_e32 v60, 24, v57
	v_add_co_u32 v1, vcc_lo, v1, v31
	s_wait_alu 0xfffd
	s_delay_alu instid0(VALU_DEP_3) | instskip(SKIP_1) | instid1(VALU_DEP_3)
	v_add_co_ci_u32_e64 v3, null, 0, v3, vcc_lo
	v_and_b32_e32 v65, 0xff, v56
	v_add_co_u32 v1, vcc_lo, v1, v30
	s_wait_alu 0xfffd
	s_delay_alu instid0(VALU_DEP_3) | instskip(SKIP_1) | instid1(VALU_DEP_3)
	v_add_co_ci_u32_e64 v3, null, 0, v3, vcc_lo
	v_bfe_u32 v64, v56, 8, 8
	v_add_co_u32 v1, vcc_lo, v1, v61
	s_wait_alu 0xfffd
	s_delay_alu instid0(VALU_DEP_3) | instskip(SKIP_1) | instid1(VALU_DEP_3)
	v_add_co_ci_u32_e64 v3, null, 0, v3, vcc_lo
	v_bfe_u32 v63, v56, 16, 8
	v_add_co_u32 v1, vcc_lo, v1, v29
	s_wait_alu 0xfffd
	s_delay_alu instid0(VALU_DEP_3)
	v_add_co_ci_u32_e64 v3, null, 0, v3, vcc_lo
	s_load_b64 s[6:7], s[0:1], 0x60
	v_add_co_u32 v1, vcc_lo, v1, v28
	s_wait_alu 0xfffd
	v_add_co_ci_u32_e64 v3, null, 0, v3, vcc_lo
	v_lshrrev_b32_e32 v58, 24, v56
	s_delay_alu instid0(VALU_DEP_3) | instskip(SKIP_1) | instid1(VALU_DEP_3)
	v_add_co_u32 v1, vcc_lo, v1, v27
	s_wait_alu 0xfffd
	v_add_co_ci_u32_e64 v3, null, 0, v3, vcc_lo
	v_mbcnt_lo_u32_b32 v34, -1, 0
	s_delay_alu instid0(VALU_DEP_3) | instskip(SKIP_1) | instid1(VALU_DEP_3)
	v_add_co_u32 v1, vcc_lo, v1, v60
	s_wait_alu 0xfffd
	v_add_co_ci_u32_e64 v3, null, 0, v3, vcc_lo
	v_and_b32_e32 v52, 0xff, v55
	s_delay_alu instid0(VALU_DEP_3) | instskip(SKIP_1) | instid1(VALU_DEP_3)
	v_add_co_u32 v1, vcc_lo, v1, v65
	s_wait_alu 0xfffd
	v_add_co_ci_u32_e64 v3, null, 0, v3, vcc_lo
	v_and_b32_e32 v35, 15, v34
	s_delay_alu instid0(VALU_DEP_3) | instskip(SKIP_1) | instid1(VALU_DEP_3)
	v_add_co_u32 v1, vcc_lo, v1, v64
	s_wait_alu 0xfffd
	v_add_co_ci_u32_e64 v3, null, 0, v3, vcc_lo
	s_delay_alu instid0(VALU_DEP_3) | instskip(NEXT) | instid1(VALU_DEP_3)
	v_cmp_ne_u32_e64 s2, 0, v35
	v_add_co_u32 v1, vcc_lo, v1, v63
	s_wait_alu 0xfffd
	s_delay_alu instid0(VALU_DEP_3)
	v_add_co_ci_u32_e64 v3, null, 0, v3, vcc_lo
	s_cmp_lg_u32 ttmp9, 0
	v_add_co_u32 v1, vcc_lo, v1, v58
	s_wait_alu 0xfffd
	v_add_co_ci_u32_e64 v3, null, 0, v3, vcc_lo
	s_mov_b32 s3, -1
	v_add_co_u32 v17, vcc_lo, v1, v52
	s_wait_alu 0xfffd
	v_add_co_ci_u32_e64 v18, null, 0, v3, vcc_lo
	s_cbranch_scc0 .LBB1178_103
; %bb.45:
	v_mov_b32_e32 v3, v17
	v_mov_b32_dpp v1, v17 row_shr:1 row_mask:0xf bank_mask:0xf
	v_mov_b32_dpp v6, v2 row_shr:1 row_mask:0xf bank_mask:0xf
	v_dual_mov_b32 v5, v17 :: v_dual_mov_b32 v4, v18
	s_and_saveexec_b32 s3, s2
; %bb.46:
	s_delay_alu instid0(VALU_DEP_3) | instskip(SKIP_2) | instid1(VALU_DEP_2)
	v_add_co_u32 v5, vcc_lo, v17, v1
	s_wait_alu 0xfffd
	v_add_co_ci_u32_e64 v2, null, 0, v18, vcc_lo
	v_add_co_u32 v1, vcc_lo, 0, v5
	s_wait_alu 0xfffd
	s_delay_alu instid0(VALU_DEP_2) | instskip(NEXT) | instid1(VALU_DEP_1)
	v_add_co_ci_u32_e64 v2, null, v6, v2, vcc_lo
	v_dual_mov_b32 v4, v2 :: v_dual_mov_b32 v3, v1
; %bb.47:
	s_wait_alu 0xfffe
	s_or_b32 exec_lo, exec_lo, s3
	v_mov_b32_dpp v1, v5 row_shr:2 row_mask:0xf bank_mask:0xf
	v_mov_b32_dpp v6, v2 row_shr:2 row_mask:0xf bank_mask:0xf
	v_cmp_lt_u32_e32 vcc_lo, 1, v35
	s_and_saveexec_b32 s4, vcc_lo
; %bb.48:
	s_delay_alu instid0(VALU_DEP_3) | instskip(SKIP_2) | instid1(VALU_DEP_2)
	v_add_co_u32 v5, s3, v3, v1
	s_wait_alu 0xf1ff
	v_add_co_ci_u32_e64 v2, null, 0, v4, s3
	v_add_co_u32 v1, s3, 0, v5
	s_wait_alu 0xf1ff
	s_delay_alu instid0(VALU_DEP_2) | instskip(NEXT) | instid1(VALU_DEP_1)
	v_add_co_ci_u32_e64 v2, null, v6, v2, s3
	v_dual_mov_b32 v4, v2 :: v_dual_mov_b32 v3, v1
; %bb.49:
	s_wait_alu 0xfffe
	s_or_b32 exec_lo, exec_lo, s4
	v_mov_b32_dpp v1, v5 row_shr:4 row_mask:0xf bank_mask:0xf
	v_mov_b32_dpp v6, v2 row_shr:4 row_mask:0xf bank_mask:0xf
	v_cmp_lt_u32_e64 s3, 3, v35
	s_and_saveexec_b32 s5, s3
; %bb.50:
	v_add_co_u32 v5, s4, v3, v1
	s_wait_alu 0xf1ff
	v_add_co_ci_u32_e64 v2, null, 0, v4, s4
	s_delay_alu instid0(VALU_DEP_2) | instskip(SKIP_1) | instid1(VALU_DEP_2)
	v_add_co_u32 v1, s4, 0, v5
	s_wait_alu 0xf1ff
	v_add_co_ci_u32_e64 v2, null, v6, v2, s4
	s_delay_alu instid0(VALU_DEP_1)
	v_dual_mov_b32 v4, v2 :: v_dual_mov_b32 v3, v1
; %bb.51:
	s_wait_alu 0xfffe
	s_or_b32 exec_lo, exec_lo, s5
	v_mov_b32_dpp v6, v5 row_shr:8 row_mask:0xf bank_mask:0xf
	v_mov_b32_dpp v1, v2 row_shr:8 row_mask:0xf bank_mask:0xf
	v_cmp_lt_u32_e64 s4, 7, v35
	s_and_saveexec_b32 s8, s4
; %bb.52:
	v_add_co_u32 v5, s5, v3, v6
	s_wait_alu 0xf1ff
	v_add_co_ci_u32_e64 v2, null, 0, v4, s5
	s_delay_alu instid0(VALU_DEP_2) | instskip(SKIP_1) | instid1(VALU_DEP_2)
	v_add_co_u32 v3, s5, 0, v5
	s_wait_alu 0xf1ff
	v_add_co_ci_u32_e64 v4, null, v1, v2, s5
	s_delay_alu instid0(VALU_DEP_1)
	v_mov_b32_e32 v2, v4
; %bb.53:
	s_wait_alu 0xfffe
	s_or_b32 exec_lo, exec_lo, s8
	ds_swizzle_b32 v1, v5 offset:swizzle(BROADCAST,32,15)
	ds_swizzle_b32 v6, v2 offset:swizzle(BROADCAST,32,15)
	v_and_b32_e32 v7, 16, v34
	s_mov_b32 s8, exec_lo
	s_delay_alu instid0(VALU_DEP_1)
	v_cmpx_ne_u32_e32 0, v7
	s_cbranch_execz .LBB1178_55
; %bb.54:
	s_wait_dscnt 0x1
	v_add_co_u32 v5, s5, v3, v1
	s_wait_alu 0xf1ff
	v_add_co_ci_u32_e64 v2, null, 0, v4, s5
	s_delay_alu instid0(VALU_DEP_2) | instskip(SKIP_2) | instid1(VALU_DEP_2)
	v_add_co_u32 v1, s5, 0, v5
	s_wait_dscnt 0x0
	s_wait_alu 0xf1ff
	v_add_co_ci_u32_e64 v2, null, v6, v2, s5
	s_delay_alu instid0(VALU_DEP_1)
	v_dual_mov_b32 v4, v2 :: v_dual_mov_b32 v3, v1
.LBB1178_55:
	s_wait_alu 0xfffe
	s_or_b32 exec_lo, exec_lo, s8
	s_wait_dscnt 0x1
	v_and_b32_e32 v1, 0x1e0, v0
	s_mov_b32 s8, exec_lo
	s_delay_alu instid0(VALU_DEP_1) | instskip(SKIP_1) | instid1(VALU_DEP_1)
	v_min_u32_e32 v1, 0x160, v1
	s_wait_dscnt 0x0
	v_or_b32_e32 v6, 31, v1
	v_lshrrev_b32_e32 v1, 5, v0
	s_delay_alu instid0(VALU_DEP_2)
	v_cmpx_eq_u32_e64 v0, v6
; %bb.56:
	s_delay_alu instid0(VALU_DEP_2)
	v_lshlrev_b32_e32 v6, 3, v1
	ds_store_b64 v6, v[3:4]
; %bb.57:
	s_wait_alu 0xfffe
	s_or_b32 exec_lo, exec_lo, s8
	s_delay_alu instid0(SALU_CYCLE_1)
	s_mov_b32 s8, exec_lo
	s_wait_loadcnt_dscnt 0x0
	s_barrier_signal -1
	s_barrier_wait -1
	global_inv scope:SCOPE_SE
	v_cmpx_gt_u32_e32 12, v0
	s_cbranch_execz .LBB1178_67
; %bb.58:
	v_lshlrev_b32_e32 v6, 3, v0
	ds_load_b64 v[3:4], v6
	s_wait_dscnt 0x0
	v_mov_b32_dpp v19, v3 row_shr:1 row_mask:0xf bank_mask:0xf
	v_mov_b32_dpp v8, v4 row_shr:1 row_mask:0xf bank_mask:0xf
	v_mov_b32_e32 v7, v3
	s_and_saveexec_b32 s9, s2
; %bb.59:
	s_delay_alu instid0(VALU_DEP_3) | instskip(SKIP_2) | instid1(VALU_DEP_2)
	v_add_co_u32 v7, s5, v3, v19
	s_wait_alu 0xf1ff
	v_add_co_ci_u32_e64 v4, null, 0, v4, s5
	v_add_co_u32 v3, s5, 0, v7
	s_wait_alu 0xf1ff
	s_delay_alu instid0(VALU_DEP_2)
	v_add_co_ci_u32_e64 v4, null, v8, v4, s5
; %bb.60:
	s_wait_alu 0xfffe
	s_or_b32 exec_lo, exec_lo, s9
	v_mov_b32_dpp v19, v7 row_shr:2 row_mask:0xf bank_mask:0xf
	s_delay_alu instid0(VALU_DEP_2)
	v_mov_b32_dpp v8, v4 row_shr:2 row_mask:0xf bank_mask:0xf
	s_and_saveexec_b32 s5, vcc_lo
; %bb.61:
	s_delay_alu instid0(VALU_DEP_2) | instskip(SKIP_2) | instid1(VALU_DEP_2)
	v_add_co_u32 v7, vcc_lo, v3, v19
	s_wait_alu 0xfffd
	v_add_co_ci_u32_e64 v4, null, 0, v4, vcc_lo
	v_add_co_u32 v3, vcc_lo, 0, v7
	s_wait_alu 0xfffd
	s_delay_alu instid0(VALU_DEP_2)
	v_add_co_ci_u32_e64 v4, null, v8, v4, vcc_lo
; %bb.62:
	s_wait_alu 0xfffe
	s_or_b32 exec_lo, exec_lo, s5
	v_mov_b32_dpp v19, v7 row_shr:4 row_mask:0xf bank_mask:0xf
	s_delay_alu instid0(VALU_DEP_2)
	v_mov_b32_dpp v8, v4 row_shr:4 row_mask:0xf bank_mask:0xf
	s_and_saveexec_b32 s5, s3
; %bb.63:
	s_delay_alu instid0(VALU_DEP_2) | instskip(SKIP_2) | instid1(VALU_DEP_2)
	v_add_co_u32 v7, vcc_lo, v3, v19
	s_wait_alu 0xfffd
	v_add_co_ci_u32_e64 v4, null, 0, v4, vcc_lo
	v_add_co_u32 v3, vcc_lo, 0, v7
	s_wait_alu 0xfffd
	s_delay_alu instid0(VALU_DEP_2)
	v_add_co_ci_u32_e64 v4, null, v8, v4, vcc_lo
; %bb.64:
	s_wait_alu 0xfffe
	s_or_b32 exec_lo, exec_lo, s5
	v_mov_b32_dpp v8, v7 row_shr:8 row_mask:0xf bank_mask:0xf
	s_delay_alu instid0(VALU_DEP_2)
	v_mov_b32_dpp v7, v4 row_shr:8 row_mask:0xf bank_mask:0xf
	s_and_saveexec_b32 s3, s4
; %bb.65:
	s_delay_alu instid0(VALU_DEP_2) | instskip(SKIP_2) | instid1(VALU_DEP_2)
	v_add_co_u32 v3, vcc_lo, v3, v8
	s_wait_alu 0xfffd
	v_add_co_ci_u32_e64 v4, null, 0, v4, vcc_lo
	v_add_co_u32 v3, vcc_lo, v3, 0
	s_wait_alu 0xfffd
	s_delay_alu instid0(VALU_DEP_2)
	v_add_co_ci_u32_e64 v4, null, v4, v7, vcc_lo
; %bb.66:
	s_wait_alu 0xfffe
	s_or_b32 exec_lo, exec_lo, s3
	ds_store_b64 v6, v[3:4]
.LBB1178_67:
	s_wait_alu 0xfffe
	s_or_b32 exec_lo, exec_lo, s8
	s_delay_alu instid0(SALU_CYCLE_1)
	s_mov_b32 s4, exec_lo
	v_cmp_gt_u32_e32 vcc_lo, 32, v0
	s_wait_loadcnt_dscnt 0x0
	s_barrier_signal -1
	s_barrier_wait -1
	global_inv scope:SCOPE_SE
                                        ; implicit-def: $vgpr19_vgpr20
	v_cmpx_lt_u32_e32 31, v0
	s_cbranch_execz .LBB1178_69
; %bb.68:
	v_lshl_add_u32 v1, v1, 3, -8
	ds_load_b64 v[19:20], v1
	s_wait_dscnt 0x0
	v_add_co_u32 v5, s3, v5, v19
	s_wait_alu 0xf1ff
	v_add_co_ci_u32_e64 v2, null, v2, v20, s3
.LBB1178_69:
	s_wait_alu 0xfffe
	s_or_b32 exec_lo, exec_lo, s4
	v_sub_co_u32 v1, s3, v34, 1
	s_delay_alu instid0(VALU_DEP_1) | instskip(SKIP_1) | instid1(VALU_DEP_1)
	v_cmp_gt_i32_e64 s4, 0, v1
	s_wait_alu 0xf1ff
	v_cndmask_b32_e64 v1, v1, v34, s4
	s_delay_alu instid0(VALU_DEP_1)
	v_lshlrev_b32_e32 v1, 2, v1
	ds_bpermute_b32 v36, v1, v5
	ds_bpermute_b32 v37, v1, v2
	s_and_saveexec_b32 s4, vcc_lo
	s_cbranch_execz .LBB1178_108
; %bb.70:
	v_mov_b32_e32 v4, 0
	ds_load_b64 v[1:2], v4 offset:88
	s_and_saveexec_b32 s5, s3
	s_cbranch_execz .LBB1178_72
; %bb.71:
	s_add_co_i32 s8, ttmp9, 32
	s_mov_b32 s9, 0
	s_wait_alu 0xfffe
	s_lshl_b64 s[8:9], s[8:9], 4
	s_wait_kmcnt 0x0
	s_wait_alu 0xfffe
	s_add_nc_u64 s[8:9], s[6:7], s[8:9]
	v_mov_b32_e32 v3, 1
	s_wait_alu 0xfffe
	v_dual_mov_b32 v5, s8 :: v_dual_mov_b32 v6, s9
	s_wait_dscnt 0x0
	;;#ASMSTART
	global_store_b128 v[5:6], v[1:4] off scope:SCOPE_DEV	
s_wait_storecnt 0x0
	;;#ASMEND
.LBB1178_72:
	s_wait_alu 0xfffe
	s_or_b32 exec_lo, exec_lo, s5
	v_xad_u32 v21, v34, -1, ttmp9
	s_mov_b32 s8, 0
	s_mov_b32 s5, exec_lo
	s_delay_alu instid0(VALU_DEP_1) | instskip(NEXT) | instid1(VALU_DEP_1)
	v_add_nc_u32_e32 v3, 32, v21
	v_lshlrev_b64_e32 v[3:4], 4, v[3:4]
	s_wait_kmcnt 0x0
	s_delay_alu instid0(VALU_DEP_1) | instskip(SKIP_1) | instid1(VALU_DEP_2)
	v_add_co_u32 v3, vcc_lo, s6, v3
	s_wait_alu 0xfffd
	v_add_co_ci_u32_e64 v4, null, s7, v4, vcc_lo
	;;#ASMSTART
	global_load_b128 v[5:8], v[3:4] off scope:SCOPE_DEV	
s_wait_loadcnt 0x0
	;;#ASMEND
	v_and_b32_e32 v8, 0xff, v7
	s_delay_alu instid0(VALU_DEP_1)
	v_cmpx_eq_u16_e32 0, v8
	s_cbranch_execz .LBB1178_75
.LBB1178_73:                            ; =>This Inner Loop Header: Depth=1
	;;#ASMSTART
	global_load_b128 v[5:8], v[3:4] off scope:SCOPE_DEV	
s_wait_loadcnt 0x0
	;;#ASMEND
	v_and_b32_e32 v8, 0xff, v7
	s_delay_alu instid0(VALU_DEP_1)
	v_cmp_ne_u16_e32 vcc_lo, 0, v8
	s_wait_alu 0xfffe
	s_or_b32 s8, vcc_lo, s8
	s_wait_alu 0xfffe
	s_and_not1_b32 exec_lo, exec_lo, s8
	s_cbranch_execnz .LBB1178_73
; %bb.74:
	s_or_b32 exec_lo, exec_lo, s8
.LBB1178_75:
	s_wait_alu 0xfffe
	s_or_b32 exec_lo, exec_lo, s5
	v_cmp_ne_u32_e32 vcc_lo, 31, v34
	v_and_b32_e32 v4, 0xff, v7
	v_lshlrev_b32_e64 v39, v34, -1
	s_mov_b32 s5, exec_lo
	s_wait_alu 0xfffd
	v_add_co_ci_u32_e64 v3, null, 0, v34, vcc_lo
	v_cmp_eq_u16_e32 vcc_lo, 2, v4
	v_mov_b32_e32 v4, v5
	s_delay_alu instid0(VALU_DEP_3)
	v_lshlrev_b32_e32 v38, 2, v3
	s_wait_alu 0xfffd
	v_and_or_b32 v3, vcc_lo, v39, 0x80000000
	ds_bpermute_b32 v22, v38, v5
	ds_bpermute_b32 v8, v38, v6
	v_ctz_i32_b32_e32 v3, v3
	s_delay_alu instid0(VALU_DEP_1)
	v_cmpx_lt_u32_e64 v34, v3
	s_cbranch_execz .LBB1178_77
; %bb.76:
	s_wait_dscnt 0x1
	v_add_co_u32 v4, vcc_lo, v5, v22
	s_wait_alu 0xfffd
	v_add_co_ci_u32_e64 v6, null, 0, v6, vcc_lo
	s_delay_alu instid0(VALU_DEP_2) | instskip(SKIP_2) | instid1(VALU_DEP_2)
	v_add_co_u32 v5, vcc_lo, 0, v4
	s_wait_dscnt 0x0
	s_wait_alu 0xfffd
	v_add_co_ci_u32_e64 v6, null, v8, v6, vcc_lo
.LBB1178_77:
	s_wait_alu 0xfffe
	s_or_b32 exec_lo, exec_lo, s5
	v_cmp_gt_u32_e32 vcc_lo, 30, v34
	v_add_nc_u32_e32 v41, 2, v34
	s_mov_b32 s5, exec_lo
	s_wait_dscnt 0x0
	s_wait_alu 0xfffd
	v_cndmask_b32_e64 v8, 0, 2, vcc_lo
	s_delay_alu instid0(VALU_DEP_1)
	v_add_lshl_u32 v40, v8, v34, 2
	ds_bpermute_b32 v22, v40, v4
	ds_bpermute_b32 v8, v40, v6
	v_cmpx_le_u32_e64 v41, v3
	s_cbranch_execz .LBB1178_79
; %bb.78:
	s_wait_dscnt 0x1
	v_add_co_u32 v4, vcc_lo, v5, v22
	s_wait_alu 0xfffd
	v_add_co_ci_u32_e64 v6, null, 0, v6, vcc_lo
	s_delay_alu instid0(VALU_DEP_2) | instskip(SKIP_2) | instid1(VALU_DEP_2)
	v_add_co_u32 v5, vcc_lo, 0, v4
	s_wait_dscnt 0x0
	s_wait_alu 0xfffd
	v_add_co_ci_u32_e64 v6, null, v8, v6, vcc_lo
.LBB1178_79:
	s_wait_alu 0xfffe
	s_or_b32 exec_lo, exec_lo, s5
	v_cmp_gt_u32_e32 vcc_lo, 28, v34
	v_add_nc_u32_e32 v43, 4, v34
	s_mov_b32 s5, exec_lo
	s_wait_dscnt 0x0
	s_wait_alu 0xfffd
	v_cndmask_b32_e64 v8, 0, 4, vcc_lo
	s_delay_alu instid0(VALU_DEP_1)
	v_add_lshl_u32 v42, v8, v34, 2
	ds_bpermute_b32 v22, v42, v4
	ds_bpermute_b32 v8, v42, v6
	v_cmpx_le_u32_e64 v43, v3
	;; [unrolled: 25-line block ×3, first 2 shown]
	s_cbranch_execz .LBB1178_83
; %bb.82:
	s_wait_dscnt 0x1
	v_add_co_u32 v4, vcc_lo, v5, v22
	s_wait_alu 0xfffd
	v_add_co_ci_u32_e64 v6, null, 0, v6, vcc_lo
	s_delay_alu instid0(VALU_DEP_2) | instskip(SKIP_2) | instid1(VALU_DEP_2)
	v_add_co_u32 v5, vcc_lo, 0, v4
	s_wait_dscnt 0x0
	s_wait_alu 0xfffd
	v_add_co_ci_u32_e64 v6, null, v8, v6, vcc_lo
.LBB1178_83:
	s_wait_alu 0xfffe
	s_or_b32 exec_lo, exec_lo, s5
	v_lshl_or_b32 v46, v34, 2, 64
	v_add_nc_u32_e32 v47, 16, v34
	s_mov_b32 s5, exec_lo
	s_wait_dscnt 0x0
	ds_bpermute_b32 v8, v46, v4
	ds_bpermute_b32 v4, v46, v6
	v_cmpx_le_u32_e64 v47, v3
	s_cbranch_execz .LBB1178_85
; %bb.84:
	s_wait_dscnt 0x1
	v_add_co_u32 v3, vcc_lo, v5, v8
	s_wait_alu 0xfffd
	v_add_co_ci_u32_e64 v6, null, 0, v6, vcc_lo
	s_delay_alu instid0(VALU_DEP_2) | instskip(SKIP_2) | instid1(VALU_DEP_2)
	v_add_co_u32 v5, vcc_lo, v3, 0
	s_wait_dscnt 0x0
	s_wait_alu 0xfffd
	v_add_co_ci_u32_e64 v6, null, v6, v4, vcc_lo
.LBB1178_85:
	s_wait_alu 0xfffe
	s_or_b32 exec_lo, exec_lo, s5
	v_mov_b32_e32 v22, 0
	s_branch .LBB1178_88
.LBB1178_86:                            ;   in Loop: Header=BB1178_88 Depth=1
	s_wait_alu 0xfffe
	s_or_b32 exec_lo, exec_lo, s5
	v_add_co_u32 v5, vcc_lo, v5, v3
	v_subrev_nc_u32_e32 v21, 32, v21
	s_wait_alu 0xfffd
	v_add_co_ci_u32_e64 v6, null, v6, v4, vcc_lo
	s_mov_b32 s5, 0
.LBB1178_87:                            ;   in Loop: Header=BB1178_88 Depth=1
	s_wait_alu 0xfffe
	s_and_b32 vcc_lo, exec_lo, s5
	s_wait_alu 0xfffe
	s_cbranch_vccnz .LBB1178_104
.LBB1178_88:                            ; =>This Loop Header: Depth=1
                                        ;     Child Loop BB1178_91 Depth 2
	v_and_b32_e32 v3, 0xff, v7
	s_mov_b32 s5, -1
	s_delay_alu instid0(VALU_DEP_1)
	v_cmp_ne_u16_e32 vcc_lo, 2, v3
	s_wait_dscnt 0x0
	v_dual_mov_b32 v3, v5 :: v_dual_mov_b32 v4, v6
                                        ; implicit-def: $vgpr5_vgpr6
	s_cmp_lg_u32 vcc_lo, exec_lo
	s_cbranch_scc1 .LBB1178_87
; %bb.89:                               ;   in Loop: Header=BB1178_88 Depth=1
	v_lshlrev_b64_e32 v[5:6], 4, v[21:22]
	s_mov_b32 s5, exec_lo
	s_delay_alu instid0(VALU_DEP_1) | instskip(SKIP_1) | instid1(VALU_DEP_2)
	v_add_co_u32 v23, vcc_lo, s6, v5
	s_wait_alu 0xfffd
	v_add_co_ci_u32_e64 v24, null, s7, v6, vcc_lo
	;;#ASMSTART
	global_load_b128 v[5:8], v[23:24] off scope:SCOPE_DEV	
s_wait_loadcnt 0x0
	;;#ASMEND
	v_and_b32_e32 v8, 0xff, v7
	s_delay_alu instid0(VALU_DEP_1)
	v_cmpx_eq_u16_e32 0, v8
	s_cbranch_execz .LBB1178_93
; %bb.90:                               ;   in Loop: Header=BB1178_88 Depth=1
	s_mov_b32 s8, 0
.LBB1178_91:                            ;   Parent Loop BB1178_88 Depth=1
                                        ; =>  This Inner Loop Header: Depth=2
	;;#ASMSTART
	global_load_b128 v[5:8], v[23:24] off scope:SCOPE_DEV	
s_wait_loadcnt 0x0
	;;#ASMEND
	v_and_b32_e32 v8, 0xff, v7
	s_delay_alu instid0(VALU_DEP_1)
	v_cmp_ne_u16_e32 vcc_lo, 0, v8
	s_wait_alu 0xfffe
	s_or_b32 s8, vcc_lo, s8
	s_wait_alu 0xfffe
	s_and_not1_b32 exec_lo, exec_lo, s8
	s_cbranch_execnz .LBB1178_91
; %bb.92:                               ;   in Loop: Header=BB1178_88 Depth=1
	s_or_b32 exec_lo, exec_lo, s8
.LBB1178_93:                            ;   in Loop: Header=BB1178_88 Depth=1
	s_wait_alu 0xfffe
	s_or_b32 exec_lo, exec_lo, s5
	v_dual_mov_b32 v23, v5 :: v_dual_and_b32 v8, 0xff, v7
	ds_bpermute_b32 v48, v38, v5
	ds_bpermute_b32 v24, v38, v6
	s_mov_b32 s5, exec_lo
	v_cmp_eq_u16_e32 vcc_lo, 2, v8
	s_wait_alu 0xfffd
	v_and_or_b32 v8, vcc_lo, v39, 0x80000000
	s_delay_alu instid0(VALU_DEP_1) | instskip(NEXT) | instid1(VALU_DEP_1)
	v_ctz_i32_b32_e32 v8, v8
	v_cmpx_lt_u32_e64 v34, v8
	s_cbranch_execz .LBB1178_95
; %bb.94:                               ;   in Loop: Header=BB1178_88 Depth=1
	s_wait_dscnt 0x1
	v_add_co_u32 v23, vcc_lo, v5, v48
	s_wait_alu 0xfffd
	v_add_co_ci_u32_e64 v6, null, 0, v6, vcc_lo
	s_delay_alu instid0(VALU_DEP_2) | instskip(SKIP_2) | instid1(VALU_DEP_2)
	v_add_co_u32 v5, vcc_lo, 0, v23
	s_wait_dscnt 0x0
	s_wait_alu 0xfffd
	v_add_co_ci_u32_e64 v6, null, v24, v6, vcc_lo
.LBB1178_95:                            ;   in Loop: Header=BB1178_88 Depth=1
	s_wait_alu 0xfffe
	s_or_b32 exec_lo, exec_lo, s5
	s_wait_dscnt 0x1
	ds_bpermute_b32 v48, v40, v23
	s_wait_dscnt 0x1
	ds_bpermute_b32 v24, v40, v6
	s_mov_b32 s5, exec_lo
	v_cmpx_le_u32_e64 v41, v8
	s_cbranch_execz .LBB1178_97
; %bb.96:                               ;   in Loop: Header=BB1178_88 Depth=1
	s_wait_dscnt 0x1
	v_add_co_u32 v23, vcc_lo, v5, v48
	s_wait_alu 0xfffd
	v_add_co_ci_u32_e64 v6, null, 0, v6, vcc_lo
	s_delay_alu instid0(VALU_DEP_2) | instskip(SKIP_2) | instid1(VALU_DEP_2)
	v_add_co_u32 v5, vcc_lo, 0, v23
	s_wait_dscnt 0x0
	s_wait_alu 0xfffd
	v_add_co_ci_u32_e64 v6, null, v24, v6, vcc_lo
.LBB1178_97:                            ;   in Loop: Header=BB1178_88 Depth=1
	s_wait_alu 0xfffe
	s_or_b32 exec_lo, exec_lo, s5
	s_wait_dscnt 0x1
	ds_bpermute_b32 v48, v42, v23
	s_wait_dscnt 0x1
	ds_bpermute_b32 v24, v42, v6
	s_mov_b32 s5, exec_lo
	v_cmpx_le_u32_e64 v43, v8
	;; [unrolled: 20-line block ×3, first 2 shown]
	s_cbranch_execz .LBB1178_101
; %bb.100:                              ;   in Loop: Header=BB1178_88 Depth=1
	s_wait_dscnt 0x1
	v_add_co_u32 v23, vcc_lo, v5, v48
	s_wait_alu 0xfffd
	v_add_co_ci_u32_e64 v6, null, 0, v6, vcc_lo
	s_delay_alu instid0(VALU_DEP_2) | instskip(SKIP_2) | instid1(VALU_DEP_2)
	v_add_co_u32 v5, vcc_lo, 0, v23
	s_wait_dscnt 0x0
	s_wait_alu 0xfffd
	v_add_co_ci_u32_e64 v6, null, v24, v6, vcc_lo
.LBB1178_101:                           ;   in Loop: Header=BB1178_88 Depth=1
	s_wait_alu 0xfffe
	s_or_b32 exec_lo, exec_lo, s5
	s_wait_dscnt 0x0
	ds_bpermute_b32 v24, v46, v23
	ds_bpermute_b32 v23, v46, v6
	s_mov_b32 s5, exec_lo
	v_cmpx_le_u32_e64 v47, v8
	s_cbranch_execz .LBB1178_86
; %bb.102:                              ;   in Loop: Header=BB1178_88 Depth=1
	s_wait_dscnt 0x1
	v_add_co_u32 v5, vcc_lo, v5, v24
	s_wait_alu 0xfffd
	v_add_co_ci_u32_e64 v6, null, 0, v6, vcc_lo
	s_delay_alu instid0(VALU_DEP_2) | instskip(SKIP_2) | instid1(VALU_DEP_2)
	v_add_co_u32 v5, vcc_lo, v5, 0
	s_wait_dscnt 0x0
	s_wait_alu 0xfffd
	v_add_co_ci_u32_e64 v6, null, v6, v23, vcc_lo
	s_branch .LBB1178_86
.LBB1178_103:
                                        ; implicit-def: $vgpr4_vgpr5
                                        ; implicit-def: $vgpr39_vgpr40
	s_load_b64 s[4:5], s[0:1], 0x28
	s_and_b32 vcc_lo, exec_lo, s3
	s_wait_alu 0xfffe
	s_cbranch_vccnz .LBB1178_109
	s_branch .LBB1178_136
.LBB1178_104:
	s_and_saveexec_b32 s5, s3
	s_cbranch_execz .LBB1178_106
; %bb.105:
	s_add_co_i32 s8, ttmp9, 32
	s_mov_b32 s9, 0
	v_add_co_u32 v5, vcc_lo, v3, v1
	s_wait_alu 0xfffe
	s_lshl_b64 s[8:9], s[8:9], 4
	v_dual_mov_b32 v7, 2 :: v_dual_mov_b32 v8, 0
	s_wait_alu 0xfffe
	s_add_nc_u64 s[8:9], s[6:7], s[8:9]
	s_wait_alu 0xfffd
	v_add_co_ci_u32_e64 v6, null, v4, v2, vcc_lo
	s_wait_alu 0xfffe
	v_dual_mov_b32 v22, s9 :: v_dual_mov_b32 v21, s8
	;;#ASMSTART
	global_store_b128 v[21:22], v[5:8] off scope:SCOPE_DEV	
s_wait_storecnt 0x0
	;;#ASMEND
	ds_store_b128 v8, v[1:4] offset:13824
.LBB1178_106:
	s_wait_alu 0xfffe
	s_or_b32 exec_lo, exec_lo, s5
	v_cmp_eq_u32_e32 vcc_lo, 0, v0
	s_and_b32 exec_lo, exec_lo, vcc_lo
; %bb.107:
	v_mov_b32_e32 v1, 0
	ds_store_b64 v1, v[3:4] offset:88
.LBB1178_108:
	s_wait_alu 0xfffe
	s_or_b32 exec_lo, exec_lo, s4
	s_wait_dscnt 0x0
	v_cndmask_b32_e64 v8, v37, v20, s3
	v_cmp_ne_u32_e32 vcc_lo, 0, v0
	v_mov_b32_e32 v1, 0
	s_wait_loadcnt 0x0
	s_barrier_signal -1
	s_barrier_wait -1
	global_inv scope:SCOPE_SE
	s_wait_alu 0xfffd
	v_cndmask_b32_e32 v8, 0, v8, vcc_lo
	ds_load_b64 v[6:7], v1 offset:88
	s_wait_loadcnt_dscnt 0x0
	s_barrier_signal -1
	s_barrier_wait -1
	global_inv scope:SCOPE_SE
	ds_load_b128 v[2:5], v1 offset:13824
	v_cndmask_b32_e64 v1, v36, v19, s3
	s_delay_alu instid0(VALU_DEP_1) | instskip(NEXT) | instid1(VALU_DEP_1)
	v_cndmask_b32_e32 v1, 0, v1, vcc_lo
	v_add_co_u32 v39, vcc_lo, v6, v1
	s_wait_alu 0xfffd
	v_add_co_ci_u32_e64 v40, null, v7, v8, vcc_lo
	s_load_b64 s[4:5], s[0:1], 0x28
	s_branch .LBB1178_136
.LBB1178_109:
	s_wait_dscnt 0x0
	v_dual_mov_b32 v2, 0 :: v_dual_mov_b32 v3, v17
	v_mov_b32_dpp v4, v17 row_shr:1 row_mask:0xf bank_mask:0xf
	s_delay_alu instid0(VALU_DEP_2)
	v_mov_b32_dpp v1, v2 row_shr:1 row_mask:0xf bank_mask:0xf
	s_and_saveexec_b32 s0, s2
; %bb.110:
	s_delay_alu instid0(VALU_DEP_2) | instskip(SKIP_2) | instid1(VALU_DEP_2)
	v_add_co_u32 v3, vcc_lo, v17, v4
	s_wait_alu 0xfffd
	v_add_co_ci_u32_e64 v2, null, 0, v18, vcc_lo
	v_add_co_u32 v17, vcc_lo, 0, v3
	s_wait_alu 0xfffd
	s_delay_alu instid0(VALU_DEP_2) | instskip(NEXT) | instid1(VALU_DEP_1)
	v_add_co_ci_u32_e64 v18, null, v1, v2, vcc_lo
	v_mov_b32_e32 v2, v18
; %bb.111:
	s_or_b32 exec_lo, exec_lo, s0
	v_mov_b32_dpp v1, v3 row_shr:2 row_mask:0xf bank_mask:0xf
	s_delay_alu instid0(VALU_DEP_2)
	v_mov_b32_dpp v4, v2 row_shr:2 row_mask:0xf bank_mask:0xf
	v_cmp_lt_u32_e32 vcc_lo, 1, v35
	s_and_saveexec_b32 s1, vcc_lo
; %bb.112:
	s_delay_alu instid0(VALU_DEP_3) | instskip(NEXT) | instid1(VALU_DEP_1)
	v_add_co_u32 v3, s0, v17, v1
	v_add_co_ci_u32_e64 v2, null, 0, v18, s0
	s_delay_alu instid0(VALU_DEP_2) | instskip(SKIP_1) | instid1(VALU_DEP_2)
	v_add_co_u32 v1, s0, 0, v3
	s_wait_alu 0xf1ff
	v_add_co_ci_u32_e64 v2, null, v4, v2, s0
	s_delay_alu instid0(VALU_DEP_1)
	v_dual_mov_b32 v18, v2 :: v_dual_mov_b32 v17, v1
; %bb.113:
	s_or_b32 exec_lo, exec_lo, s1
	v_mov_b32_dpp v1, v3 row_shr:4 row_mask:0xf bank_mask:0xf
	v_mov_b32_dpp v4, v2 row_shr:4 row_mask:0xf bank_mask:0xf
	v_cmp_lt_u32_e64 s0, 3, v35
	s_and_saveexec_b32 s3, s0
; %bb.114:
	v_add_co_u32 v3, s1, v17, v1
	s_wait_alu 0xf1ff
	v_add_co_ci_u32_e64 v2, null, 0, v18, s1
	s_delay_alu instid0(VALU_DEP_2) | instskip(SKIP_1) | instid1(VALU_DEP_2)
	v_add_co_u32 v1, s1, 0, v3
	s_wait_alu 0xf1ff
	v_add_co_ci_u32_e64 v2, null, v4, v2, s1
	s_delay_alu instid0(VALU_DEP_1)
	v_dual_mov_b32 v18, v2 :: v_dual_mov_b32 v17, v1
; %bb.115:
	s_wait_alu 0xfffe
	s_or_b32 exec_lo, exec_lo, s3
	v_mov_b32_dpp v4, v3 row_shr:8 row_mask:0xf bank_mask:0xf
	v_mov_b32_dpp v1, v2 row_shr:8 row_mask:0xf bank_mask:0xf
	v_cmp_lt_u32_e64 s1, 7, v35
	s_and_saveexec_b32 s8, s1
; %bb.116:
	v_add_co_u32 v3, s3, v17, v4
	s_wait_alu 0xf1ff
	v_add_co_ci_u32_e64 v2, null, 0, v18, s3
	s_delay_alu instid0(VALU_DEP_2) | instskip(SKIP_1) | instid1(VALU_DEP_2)
	v_add_co_u32 v17, s3, 0, v3
	s_wait_alu 0xf1ff
	v_add_co_ci_u32_e64 v18, null, v1, v2, s3
	s_delay_alu instid0(VALU_DEP_1)
	v_mov_b32_e32 v2, v18
; %bb.117:
	s_wait_alu 0xfffe
	s_or_b32 exec_lo, exec_lo, s8
	ds_swizzle_b32 v3, v3 offset:swizzle(BROADCAST,32,15)
	ds_swizzle_b32 v1, v2 offset:swizzle(BROADCAST,32,15)
	v_and_b32_e32 v2, 16, v34
	s_mov_b32 s8, exec_lo
	s_delay_alu instid0(VALU_DEP_1)
	v_cmpx_ne_u32_e32 0, v2
	s_cbranch_execz .LBB1178_119
; %bb.118:
	s_wait_dscnt 0x1
	v_add_co_u32 v2, s3, v17, v3
	s_wait_alu 0xf1ff
	v_add_co_ci_u32_e64 v3, null, 0, v18, s3
	s_delay_alu instid0(VALU_DEP_2) | instskip(SKIP_2) | instid1(VALU_DEP_2)
	v_add_co_u32 v17, s3, v2, 0
	s_wait_dscnt 0x0
	s_wait_alu 0xf1ff
	v_add_co_ci_u32_e64 v18, null, v3, v1, s3
.LBB1178_119:
	s_wait_alu 0xfffe
	s_or_b32 exec_lo, exec_lo, s8
	s_wait_dscnt 0x0
	v_and_b32_e32 v1, 0x1e0, v0
	v_lshrrev_b32_e32 v3, 5, v0
	s_mov_b32 s8, exec_lo
	s_delay_alu instid0(VALU_DEP_2) | instskip(NEXT) | instid1(VALU_DEP_1)
	v_min_u32_e32 v1, 0x160, v1
	v_or_b32_e32 v1, 31, v1
	s_delay_alu instid0(VALU_DEP_1)
	v_cmpx_eq_u32_e64 v0, v1
; %bb.120:
	v_lshlrev_b32_e32 v1, 3, v3
	ds_store_b64 v1, v[17:18]
; %bb.121:
	s_wait_alu 0xfffe
	s_or_b32 exec_lo, exec_lo, s8
	s_delay_alu instid0(SALU_CYCLE_1)
	s_mov_b32 s8, exec_lo
	s_wait_loadcnt_dscnt 0x0
	s_barrier_signal -1
	s_barrier_wait -1
	global_inv scope:SCOPE_SE
	v_cmpx_gt_u32_e32 12, v0
	s_cbranch_execz .LBB1178_131
; %bb.122:
	v_lshlrev_b32_e32 v4, 3, v0
	ds_load_b64 v[1:2], v4
	s_wait_dscnt 0x0
	v_mov_b32_dpp v7, v1 row_shr:1 row_mask:0xf bank_mask:0xf
	v_mov_b32_dpp v6, v2 row_shr:1 row_mask:0xf bank_mask:0xf
	v_mov_b32_e32 v5, v1
	s_and_saveexec_b32 s3, s2
; %bb.123:
	s_delay_alu instid0(VALU_DEP_3) | instskip(SKIP_2) | instid1(VALU_DEP_2)
	v_add_co_u32 v5, s2, v1, v7
	s_wait_alu 0xf1ff
	v_add_co_ci_u32_e64 v2, null, 0, v2, s2
	v_add_co_u32 v1, s2, 0, v5
	s_wait_alu 0xf1ff
	s_delay_alu instid0(VALU_DEP_2)
	v_add_co_ci_u32_e64 v2, null, v6, v2, s2
; %bb.124:
	s_wait_alu 0xfffe
	s_or_b32 exec_lo, exec_lo, s3
	v_mov_b32_dpp v7, v5 row_shr:2 row_mask:0xf bank_mask:0xf
	s_delay_alu instid0(VALU_DEP_2)
	v_mov_b32_dpp v6, v2 row_shr:2 row_mask:0xf bank_mask:0xf
	s_and_saveexec_b32 s2, vcc_lo
; %bb.125:
	s_delay_alu instid0(VALU_DEP_2) | instskip(SKIP_2) | instid1(VALU_DEP_2)
	v_add_co_u32 v5, vcc_lo, v1, v7
	s_wait_alu 0xfffd
	v_add_co_ci_u32_e64 v2, null, 0, v2, vcc_lo
	v_add_co_u32 v1, vcc_lo, 0, v5
	s_wait_alu 0xfffd
	s_delay_alu instid0(VALU_DEP_2)
	v_add_co_ci_u32_e64 v2, null, v6, v2, vcc_lo
; %bb.126:
	s_wait_alu 0xfffe
	s_or_b32 exec_lo, exec_lo, s2
	v_mov_b32_dpp v7, v5 row_shr:4 row_mask:0xf bank_mask:0xf
	s_delay_alu instid0(VALU_DEP_2)
	v_mov_b32_dpp v6, v2 row_shr:4 row_mask:0xf bank_mask:0xf
	s_and_saveexec_b32 s2, s0
; %bb.127:
	s_delay_alu instid0(VALU_DEP_2) | instskip(SKIP_2) | instid1(VALU_DEP_2)
	v_add_co_u32 v5, vcc_lo, v1, v7
	s_wait_alu 0xfffd
	v_add_co_ci_u32_e64 v2, null, 0, v2, vcc_lo
	v_add_co_u32 v1, vcc_lo, 0, v5
	s_wait_alu 0xfffd
	s_delay_alu instid0(VALU_DEP_2)
	v_add_co_ci_u32_e64 v2, null, v6, v2, vcc_lo
; %bb.128:
	s_wait_alu 0xfffe
	s_or_b32 exec_lo, exec_lo, s2
	v_mov_b32_dpp v6, v5 row_shr:8 row_mask:0xf bank_mask:0xf
	s_delay_alu instid0(VALU_DEP_2)
	v_mov_b32_dpp v5, v2 row_shr:8 row_mask:0xf bank_mask:0xf
	s_and_saveexec_b32 s0, s1
; %bb.129:
	s_delay_alu instid0(VALU_DEP_2) | instskip(SKIP_2) | instid1(VALU_DEP_2)
	v_add_co_u32 v1, vcc_lo, v1, v6
	s_wait_alu 0xfffd
	v_add_co_ci_u32_e64 v2, null, 0, v2, vcc_lo
	v_add_co_u32 v1, vcc_lo, v1, 0
	s_wait_alu 0xfffd
	s_delay_alu instid0(VALU_DEP_2)
	v_add_co_ci_u32_e64 v2, null, v2, v5, vcc_lo
; %bb.130:
	s_wait_alu 0xfffe
	s_or_b32 exec_lo, exec_lo, s0
	ds_store_b64 v4, v[1:2]
.LBB1178_131:
	s_wait_alu 0xfffe
	s_or_b32 exec_lo, exec_lo, s8
	v_mov_b32_e32 v6, 0
	v_mov_b32_e32 v7, 0
	s_mov_b32 s0, exec_lo
	s_wait_loadcnt_dscnt 0x0
	s_barrier_signal -1
	s_barrier_wait -1
	global_inv scope:SCOPE_SE
	v_cmpx_lt_u32_e32 31, v0
; %bb.132:
	v_lshl_add_u32 v1, v3, 3, -8
	ds_load_b64 v[6:7], v1
; %bb.133:
	s_wait_alu 0xfffe
	s_or_b32 exec_lo, exec_lo, s0
	v_sub_co_u32 v1, vcc_lo, v34, 1
	v_mov_b32_e32 v5, 0
	s_delay_alu instid0(VALU_DEP_2) | instskip(SKIP_1) | instid1(VALU_DEP_1)
	v_cmp_gt_i32_e64 s0, 0, v1
	s_wait_alu 0xf1ff
	v_cndmask_b32_e64 v1, v1, v34, s0
	s_delay_alu instid0(VALU_DEP_1)
	v_lshlrev_b32_e32 v2, 2, v1
	s_wait_dscnt 0x0
	v_add_co_u32 v1, s0, v6, v17
	s_wait_alu 0xf1ff
	v_add_co_ci_u32_e64 v3, null, v7, v18, s0
	v_cmp_eq_u32_e64 s0, 0, v0
	ds_bpermute_b32 v1, v2, v1
	ds_bpermute_b32 v8, v2, v3
	ds_load_b64 v[2:3], v5 offset:88
	s_and_saveexec_b32 s1, s0
	s_cbranch_execz .LBB1178_135
; %bb.134:
	s_wait_kmcnt 0x0
	s_add_nc_u64 s[2:3], s[6:7], 0x200
	v_mov_b32_e32 v4, 2
	s_wait_alu 0xfffe
	v_dual_mov_b32 v18, s3 :: v_dual_mov_b32 v17, s2
	s_wait_dscnt 0x0
	;;#ASMSTART
	global_store_b128 v[17:18], v[2:5] off scope:SCOPE_DEV	
s_wait_storecnt 0x0
	;;#ASMEND
.LBB1178_135:
	s_wait_alu 0xfffe
	s_or_b32 exec_lo, exec_lo, s1
	s_wait_dscnt 0x1
	s_wait_alu 0xfffd
	v_dual_cndmask_b32 v7, v8, v7 :: v_dual_mov_b32 v4, 0
	v_cndmask_b32_e32 v1, v1, v6, vcc_lo
	v_mov_b32_e32 v5, 0
	s_wait_loadcnt_dscnt 0x0
	s_delay_alu instid0(VALU_DEP_3)
	v_cndmask_b32_e64 v40, v7, 0, s0
	s_barrier_signal -1
	v_cndmask_b32_e64 v39, v1, 0, s0
	s_barrier_wait -1
	global_inv scope:SCOPE_SE
.LBB1178_136:
	v_add_co_u32 v49, vcc_lo, v39, v26
	s_wait_alu 0xfffd
	v_add_co_ci_u32_e64 v50, null, 0, v40, vcc_lo
	v_lshrrev_b32_e32 v68, 16, v59
	s_delay_alu instid0(VALU_DEP_3) | instskip(SKIP_1) | instid1(VALU_DEP_3)
	v_add_co_u32 v47, vcc_lo, v49, v25
	s_wait_alu 0xfffd
	v_add_co_ci_u32_e64 v48, null, 0, v50, vcc_lo
	v_lshrrev_b32_e32 v69, 8, v59
	s_delay_alu instid0(VALU_DEP_3) | instskip(SKIP_1) | instid1(VALU_DEP_3)
	;; [unrolled: 5-line block ×8, first 2 shown]
	v_add_co_u32 v31, vcc_lo, v33, v29
	s_wait_alu 0xfffd
	v_add_co_ci_u32_e64 v32, null, 0, v34, vcc_lo
	s_mov_b32 s1, -1
	v_add_co_u32 v29, vcc_lo, v31, v28
	s_wait_alu 0xfffd
	v_add_co_ci_u32_e64 v30, null, 0, v32, vcc_lo
	s_delay_alu instid0(VALU_DEP_2) | instskip(SKIP_1) | instid1(VALU_DEP_2)
	v_add_co_u32 v27, vcc_lo, v29, v27
	s_wait_alu 0xfffd
	v_add_co_ci_u32_e64 v28, null, 0, v30, vcc_lo
	s_delay_alu instid0(VALU_DEP_2) | instskip(SKIP_1) | instid1(VALU_DEP_2)
	;; [unrolled: 4-line block ×4, first 2 shown]
	v_add_co_u32 v19, vcc_lo, v23, v64
	s_wait_alu 0xfffd
	v_add_co_ci_u32_e64 v20, null, 0, v24, vcc_lo
	s_wait_dscnt 0x0
	v_cmp_gt_u64_e32 vcc_lo, 0x181, v[2:3]
	v_add_co_u32 v21, s0, v19, v63
	s_wait_alu 0xf1ff
	v_add_co_ci_u32_e64 v22, null, 0, v20, s0
	v_and_b32_e32 v63, 1, v51
	s_delay_alu instid0(VALU_DEP_3) | instskip(SKIP_1) | instid1(VALU_DEP_3)
	v_add_co_u32 v17, s0, v21, v58
	s_wait_alu 0xf1ff
	v_add_co_ci_u32_e64 v18, null, 0, v22, s0
	s_delay_alu instid0(VALU_DEP_2) | instskip(SKIP_1) | instid1(VALU_DEP_2)
	v_add_co_u32 v6, s0, v17, v52
	s_wait_alu 0xf1ff
	v_add_co_ci_u32_e64 v7, null, 0, v18, s0
	v_cmp_eq_u32_e64 s0, 1, v63
	s_cbranch_vccnz .LBB1178_140
; %bb.137:
	s_wait_alu 0xfffe
	s_and_b32 vcc_lo, exec_lo, s1
	s_wait_alu 0xfffe
	s_cbranch_vccnz .LBB1178_177
.LBB1178_138:
	v_cmp_eq_u32_e32 vcc_lo, 0, v0
	s_and_b32 s0, vcc_lo, s19
	s_wait_alu 0xfffe
	s_and_saveexec_b32 s1, s0
	s_cbranch_execnz .LBB1178_216
.LBB1178_139:
	s_endpgm
.LBB1178_140:
	v_add_co_u32 v51, vcc_lo, v4, v2
	s_wait_alu 0xfffd
	v_add_co_ci_u32_e64 v52, null, v5, v3, vcc_lo
	s_wait_kmcnt 0x0
	s_lshl_b64 s[2:3], s[22:23], 1
	s_wait_alu 0xfffe
	s_add_nc_u64 s[2:3], s[4:5], s[2:3]
	v_cmp_lt_u64_e32 vcc_lo, v[39:40], v[51:52]
	s_or_b32 s1, s24, vcc_lo
	s_wait_alu 0xfffe
	s_and_b32 s1, s1, s0
	s_wait_alu 0xfffe
	s_and_saveexec_b32 s0, s1
	s_cbranch_execz .LBB1178_142
; %bb.141:
	v_lshlrev_b64_e32 v[64:65], 1, v[39:40]
	s_delay_alu instid0(VALU_DEP_1) | instskip(SKIP_1) | instid1(VALU_DEP_2)
	v_add_co_u32 v64, vcc_lo, s2, v64
	s_wait_alu 0xfffd
	v_add_co_ci_u32_e64 v65, null, s3, v65, vcc_lo
	global_store_b16 v[64:65], v54, off
.LBB1178_142:
	s_wait_alu 0xfffe
	s_or_b32 exec_lo, exec_lo, s0
	v_and_b32_e32 v40, 1, v71
	v_cmp_lt_u64_e32 vcc_lo, v[49:50], v[51:52]
	s_delay_alu instid0(VALU_DEP_2)
	v_cmp_eq_u32_e64 s0, 1, v40
	s_or_b32 s1, s24, vcc_lo
	s_wait_alu 0xfffe
	s_and_b32 s1, s1, s0
	s_wait_alu 0xfffe
	s_and_saveexec_b32 s0, s1
	s_cbranch_execz .LBB1178_144
; %bb.143:
	v_lshlrev_b64_e32 v[64:65], 1, v[49:50]
	s_delay_alu instid0(VALU_DEP_1) | instskip(SKIP_1) | instid1(VALU_DEP_2)
	v_add_co_u32 v64, vcc_lo, s2, v64
	s_wait_alu 0xfffd
	v_add_co_ci_u32_e64 v65, null, s3, v65, vcc_lo
	global_store_d16_hi_b16 v[64:65], v54, off
.LBB1178_144:
	s_wait_alu 0xfffe
	s_or_b32 exec_lo, exec_lo, s0
	v_and_b32_e32 v40, 1, v70
	v_cmp_lt_u64_e32 vcc_lo, v[47:48], v[51:52]
	s_delay_alu instid0(VALU_DEP_2)
	v_cmp_eq_u32_e64 s0, 1, v40
	s_or_b32 s1, s24, vcc_lo
	s_wait_alu 0xfffe
	s_and_b32 s1, s1, s0
	s_wait_alu 0xfffe
	s_and_saveexec_b32 s0, s1
	s_cbranch_execz .LBB1178_146
; %bb.145:
	v_lshlrev_b64_e32 v[64:65], 1, v[47:48]
	s_delay_alu instid0(VALU_DEP_1) | instskip(SKIP_1) | instid1(VALU_DEP_2)
	v_add_co_u32 v64, vcc_lo, s2, v64
	s_wait_alu 0xfffd
	v_add_co_ci_u32_e64 v65, null, s3, v65, vcc_lo
	global_store_b16 v[64:65], v15, off
.LBB1178_146:
	s_wait_alu 0xfffe
	s_or_b32 exec_lo, exec_lo, s0
	v_and_b32_e32 v40, 1, v62
	v_cmp_lt_u64_e32 vcc_lo, v[45:46], v[51:52]
	s_delay_alu instid0(VALU_DEP_2)
	v_cmp_eq_u32_e64 s0, 1, v40
	s_or_b32 s1, s24, vcc_lo
	s_wait_alu 0xfffe
	s_and_b32 s1, s1, s0
	s_wait_alu 0xfffe
	s_and_saveexec_b32 s0, s1
	s_cbranch_execz .LBB1178_148
; %bb.147:
	v_lshlrev_b64_e32 v[64:65], 1, v[45:46]
	s_delay_alu instid0(VALU_DEP_1) | instskip(SKIP_1) | instid1(VALU_DEP_2)
	v_add_co_u32 v64, vcc_lo, s2, v64
	s_wait_alu 0xfffd
	v_add_co_ci_u32_e64 v65, null, s3, v65, vcc_lo
	global_store_d16_hi_b16 v[64:65], v15, off
.LBB1178_148:
	s_wait_alu 0xfffe
	s_or_b32 exec_lo, exec_lo, s0
	v_and_b32_e32 v40, 1, v59
	v_cmp_lt_u64_e32 vcc_lo, v[43:44], v[51:52]
	s_delay_alu instid0(VALU_DEP_2)
	v_cmp_eq_u32_e64 s0, 1, v40
	;; [unrolled: 40-line block ×7, first 2 shown]
	s_or_b32 s1, s24, vcc_lo
	s_wait_alu 0xfffe
	s_and_b32 s1, s1, s0
	s_wait_alu 0xfffe
	s_and_saveexec_b32 s0, s1
	s_cbranch_execz .LBB1178_170
; %bb.169:
	v_lshlrev_b64_e32 v[64:65], 1, v[19:20]
	s_delay_alu instid0(VALU_DEP_1) | instskip(SKIP_1) | instid1(VALU_DEP_2)
	v_add_co_u32 v64, vcc_lo, s2, v64
	s_wait_alu 0xfffd
	v_add_co_ci_u32_e64 v65, null, s3, v65, vcc_lo
	global_store_b16 v[64:65], v9, off
.LBB1178_170:
	s_wait_alu 0xfffe
	s_or_b32 exec_lo, exec_lo, s0
	v_and_b32_e32 v20, 1, v58
	v_cmp_lt_u64_e32 vcc_lo, v[21:22], v[51:52]
	s_delay_alu instid0(VALU_DEP_2)
	v_cmp_eq_u32_e64 s0, 1, v20
	s_or_b32 s1, s24, vcc_lo
	s_wait_alu 0xfffe
	s_and_b32 s1, s1, s0
	s_wait_alu 0xfffe
	s_and_saveexec_b32 s0, s1
	s_cbranch_execz .LBB1178_172
; %bb.171:
	v_lshlrev_b64_e32 v[64:65], 1, v[21:22]
	s_delay_alu instid0(VALU_DEP_1) | instskip(SKIP_1) | instid1(VALU_DEP_2)
	v_add_co_u32 v64, vcc_lo, s2, v64
	s_wait_alu 0xfffd
	v_add_co_ci_u32_e64 v65, null, s3, v65, vcc_lo
	global_store_b16 v[64:65], v53, off
.LBB1178_172:
	s_wait_alu 0xfffe
	s_or_b32 exec_lo, exec_lo, s0
	v_and_b32_e32 v20, 1, v55
	v_cmp_lt_u64_e32 vcc_lo, v[17:18], v[51:52]
	s_delay_alu instid0(VALU_DEP_2)
	v_cmp_eq_u32_e64 s0, 1, v20
	s_or_b32 s1, s24, vcc_lo
	s_wait_alu 0xfffe
	s_and_b32 s1, s1, s0
	s_wait_alu 0xfffe
	s_and_saveexec_b32 s0, s1
	s_cbranch_execz .LBB1178_174
; %bb.173:
	v_lshlrev_b64_e32 v[64:65], 1, v[17:18]
	s_delay_alu instid0(VALU_DEP_1) | instskip(SKIP_1) | instid1(VALU_DEP_2)
	v_add_co_u32 v64, vcc_lo, s2, v64
	s_wait_alu 0xfffd
	v_add_co_ci_u32_e64 v65, null, s3, v65, vcc_lo
	global_store_d16_hi_b16 v[64:65], v53, off
.LBB1178_174:
	s_wait_alu 0xfffe
	s_or_b32 exec_lo, exec_lo, s0
	v_cmp_lt_u64_e32 vcc_lo, v[6:7], v[51:52]
	s_or_b32 s0, s24, vcc_lo
	s_wait_alu 0xfffe
	s_and_b32 s1, s0, s25
	s_wait_alu 0xfffe
	s_and_saveexec_b32 s0, s1
	s_cbranch_execz .LBB1178_176
; %bb.175:
	v_lshlrev_b64_e32 v[50:51], 1, v[6:7]
	s_delay_alu instid0(VALU_DEP_1) | instskip(SKIP_1) | instid1(VALU_DEP_2)
	v_add_co_u32 v50, vcc_lo, s2, v50
	s_wait_alu 0xfffd
	v_add_co_ci_u32_e64 v51, null, s3, v51, vcc_lo
	global_store_b16 v[50:51], v10, off
.LBB1178_176:
	s_wait_alu 0xfffe
	s_or_b32 exec_lo, exec_lo, s0
	s_branch .LBB1178_138
.LBB1178_177:
	s_mov_b32 s0, exec_lo
	v_cmpx_eq_u32_e32 1, v63
; %bb.178:
	v_sub_nc_u32_e32 v7, v39, v4
	s_delay_alu instid0(VALU_DEP_1)
	v_lshlrev_b32_e32 v7, 1, v7
	ds_store_b16 v7, v54
; %bb.179:
	s_wait_alu 0xfffe
	s_or_b32 exec_lo, exec_lo, s0
	v_and_b32_e32 v7, 1, v71
	s_mov_b32 s0, exec_lo
	s_delay_alu instid0(VALU_DEP_1)
	v_cmpx_eq_u32_e32 1, v7
; %bb.180:
	v_sub_nc_u32_e32 v7, v49, v4
	s_delay_alu instid0(VALU_DEP_1)
	v_lshlrev_b32_e32 v7, 1, v7
	ds_store_b16_d16_hi v7, v54
; %bb.181:
	s_wait_alu 0xfffe
	s_or_b32 exec_lo, exec_lo, s0
	v_and_b32_e32 v7, 1, v70
	s_mov_b32 s0, exec_lo
	s_delay_alu instid0(VALU_DEP_1)
	v_cmpx_eq_u32_e32 1, v7
; %bb.182:
	v_sub_nc_u32_e32 v7, v47, v4
	s_delay_alu instid0(VALU_DEP_1)
	v_lshlrev_b32_e32 v7, 1, v7
	ds_store_b16 v7, v15
; %bb.183:
	s_wait_alu 0xfffe
	s_or_b32 exec_lo, exec_lo, s0
	v_and_b32_e32 v7, 1, v62
	s_mov_b32 s0, exec_lo
	s_delay_alu instid0(VALU_DEP_1)
	v_cmpx_eq_u32_e32 1, v7
; %bb.184:
	v_sub_nc_u32_e32 v7, v45, v4
	s_delay_alu instid0(VALU_DEP_1)
	v_lshlrev_b32_e32 v7, 1, v7
	ds_store_b16_d16_hi v7, v15
; %bb.185:
	s_wait_alu 0xfffe
	s_or_b32 exec_lo, exec_lo, s0
	v_and_b32_e32 v7, 1, v59
	s_mov_b32 s0, exec_lo
	s_delay_alu instid0(VALU_DEP_1)
	;; [unrolled: 24-line block ×7, first 2 shown]
	v_cmpx_eq_u32_e32 1, v1
; %bb.206:
	v_sub_nc_u32_e32 v1, v19, v4
	s_delay_alu instid0(VALU_DEP_1)
	v_lshlrev_b32_e32 v1, 1, v1
	ds_store_b16 v1, v9
; %bb.207:
	s_wait_alu 0xfffe
	s_or_b32 exec_lo, exec_lo, s0
	v_and_b32_e32 v1, 1, v58
	s_mov_b32 s0, exec_lo
	s_delay_alu instid0(VALU_DEP_1)
	v_cmpx_eq_u32_e32 1, v1
; %bb.208:
	v_sub_nc_u32_e32 v1, v21, v4
	s_delay_alu instid0(VALU_DEP_1)
	v_lshlrev_b32_e32 v1, 1, v1
	ds_store_b16 v1, v53
; %bb.209:
	s_wait_alu 0xfffe
	s_or_b32 exec_lo, exec_lo, s0
	v_and_b32_e32 v1, 1, v55
	s_mov_b32 s0, exec_lo
	s_delay_alu instid0(VALU_DEP_1)
	v_cmpx_eq_u32_e32 1, v1
; %bb.210:
	v_sub_nc_u32_e32 v1, v17, v4
	s_delay_alu instid0(VALU_DEP_1)
	v_lshlrev_b32_e32 v1, 1, v1
	ds_store_b16_d16_hi v1, v53
; %bb.211:
	s_wait_alu 0xfffe
	s_or_b32 exec_lo, exec_lo, s0
	s_and_saveexec_b32 s0, s25
; %bb.212:
	v_sub_nc_u32_e32 v1, v6, v4
	s_delay_alu instid0(VALU_DEP_1)
	v_lshlrev_b32_e32 v1, 1, v1
	ds_store_b16 v1, v10
; %bb.213:
	s_wait_alu 0xfffe
	s_or_b32 exec_lo, exec_lo, s0
	v_lshlrev_b64_e32 v[8:9], 1, v[4:5]
	v_mov_b32_e32 v7, 0
	s_wait_kmcnt 0x0
	s_lshl_b64 s[0:1], s[22:23], 1
	s_wait_storecnt 0x0
	s_wait_loadcnt_dscnt 0x0
	s_barrier_signal -1
	s_barrier_wait -1
	v_add_co_u32 v6, vcc_lo, s4, v8
	s_wait_alu 0xfffd
	v_add_co_ci_u32_e64 v8, null, s5, v9, vcc_lo
	global_inv scope:SCOPE_SE
	s_wait_alu 0xfffe
	v_add_co_u32 v10, vcc_lo, v6, s0
	v_dual_mov_b32 v1, v7 :: v_dual_add_nc_u32 v6, 0x180, v0
	s_wait_alu 0xfffd
	v_add_co_ci_u32_e64 v11, null, s1, v8, vcc_lo
	s_mov_b32 s1, 0
	v_dual_mov_b32 v9, v1 :: v_dual_mov_b32 v8, v0
.LBB1178_214:                           ; =>This Inner Loop Header: Depth=1
	s_delay_alu instid0(VALU_DEP_1) | instskip(NEXT) | instid1(VALU_DEP_2)
	v_lshlrev_b32_e32 v1, 1, v8
	v_lshlrev_b64_e32 v[12:13], 1, v[8:9]
	v_dual_mov_b32 v9, v7 :: v_dual_mov_b32 v8, v6
	v_cmp_le_u64_e32 vcc_lo, v[2:3], v[6:7]
	ds_load_u16 v1, v1
	v_add_nc_u32_e32 v6, 0x180, v6
	v_add_co_u32 v12, s0, v10, v12
	s_wait_alu 0xf1ff
	v_add_co_ci_u32_e64 v13, null, v11, v13, s0
	s_wait_alu 0xfffe
	s_or_b32 s1, vcc_lo, s1
	s_wait_dscnt 0x0
	global_store_b16 v[12:13], v1, off
	s_wait_alu 0xfffe
	s_and_not1_b32 exec_lo, exec_lo, s1
	s_cbranch_execnz .LBB1178_214
; %bb.215:
	s_or_b32 exec_lo, exec_lo, s1
	v_cmp_eq_u32_e32 vcc_lo, 0, v0
	s_and_b32 s0, vcc_lo, s19
	s_wait_alu 0xfffe
	s_and_saveexec_b32 s1, s0
	s_cbranch_execz .LBB1178_139
.LBB1178_216:
	v_add_co_u32 v0, vcc_lo, v4, v2
	s_wait_alu 0xfffd
	v_add_co_ci_u32_e64 v1, null, v5, v3, vcc_lo
	v_mov_b32_e32 v2, 0
	s_wait_kmcnt 0x0
	v_add_co_u32 v0, vcc_lo, v0, s22
	s_wait_alu 0xfffd
	v_add_co_ci_u32_e64 v1, null, s23, v1, vcc_lo
	global_store_b64 v2, v[0:1], s[20:21]
	s_endpgm
	.section	.rodata,"a",@progbits
	.p2align	6, 0x0
	.amdhsa_kernel _ZN7rocprim17ROCPRIM_400000_NS6detail17trampoline_kernelINS0_14default_configENS1_25partition_config_selectorILNS1_17partition_subalgoE6EtNS0_10empty_typeEbEEZZNS1_14partition_implILS5_6ELb0ES3_mN6thrust23THRUST_200600_302600_NS6detail15normal_iteratorINSA_10device_ptrItEEEEPS6_SG_NS0_5tupleIJSF_S6_EEENSH_IJSG_SG_EEES6_PlJNSB_9not_fun_tI7is_trueItEEEEEE10hipError_tPvRmT3_T4_T5_T6_T7_T9_mT8_P12ihipStream_tbDpT10_ENKUlT_T0_E_clISt17integral_constantIbLb0EES18_EEDaS13_S14_EUlS13_E_NS1_11comp_targetILNS1_3genE10ELNS1_11target_archE1200ELNS1_3gpuE4ELNS1_3repE0EEENS1_30default_config_static_selectorELNS0_4arch9wavefront6targetE0EEEvT1_
		.amdhsa_group_segment_fixed_size 13840
		.amdhsa_private_segment_fixed_size 0
		.amdhsa_kernarg_size 112
		.amdhsa_user_sgpr_count 2
		.amdhsa_user_sgpr_dispatch_ptr 0
		.amdhsa_user_sgpr_queue_ptr 0
		.amdhsa_user_sgpr_kernarg_segment_ptr 1
		.amdhsa_user_sgpr_dispatch_id 0
		.amdhsa_user_sgpr_private_segment_size 0
		.amdhsa_wavefront_size32 1
		.amdhsa_uses_dynamic_stack 0
		.amdhsa_enable_private_segment 0
		.amdhsa_system_sgpr_workgroup_id_x 1
		.amdhsa_system_sgpr_workgroup_id_y 0
		.amdhsa_system_sgpr_workgroup_id_z 0
		.amdhsa_system_sgpr_workgroup_info 0
		.amdhsa_system_vgpr_workitem_id 0
		.amdhsa_next_free_vgpr 72
		.amdhsa_next_free_sgpr 27
		.amdhsa_reserve_vcc 1
		.amdhsa_float_round_mode_32 0
		.amdhsa_float_round_mode_16_64 0
		.amdhsa_float_denorm_mode_32 3
		.amdhsa_float_denorm_mode_16_64 3
		.amdhsa_fp16_overflow 0
		.amdhsa_workgroup_processor_mode 1
		.amdhsa_memory_ordered 1
		.amdhsa_forward_progress 1
		.amdhsa_inst_pref_size 91
		.amdhsa_round_robin_scheduling 0
		.amdhsa_exception_fp_ieee_invalid_op 0
		.amdhsa_exception_fp_denorm_src 0
		.amdhsa_exception_fp_ieee_div_zero 0
		.amdhsa_exception_fp_ieee_overflow 0
		.amdhsa_exception_fp_ieee_underflow 0
		.amdhsa_exception_fp_ieee_inexact 0
		.amdhsa_exception_int_div_zero 0
	.end_amdhsa_kernel
	.section	.text._ZN7rocprim17ROCPRIM_400000_NS6detail17trampoline_kernelINS0_14default_configENS1_25partition_config_selectorILNS1_17partition_subalgoE6EtNS0_10empty_typeEbEEZZNS1_14partition_implILS5_6ELb0ES3_mN6thrust23THRUST_200600_302600_NS6detail15normal_iteratorINSA_10device_ptrItEEEEPS6_SG_NS0_5tupleIJSF_S6_EEENSH_IJSG_SG_EEES6_PlJNSB_9not_fun_tI7is_trueItEEEEEE10hipError_tPvRmT3_T4_T5_T6_T7_T9_mT8_P12ihipStream_tbDpT10_ENKUlT_T0_E_clISt17integral_constantIbLb0EES18_EEDaS13_S14_EUlS13_E_NS1_11comp_targetILNS1_3genE10ELNS1_11target_archE1200ELNS1_3gpuE4ELNS1_3repE0EEENS1_30default_config_static_selectorELNS0_4arch9wavefront6targetE0EEEvT1_,"axG",@progbits,_ZN7rocprim17ROCPRIM_400000_NS6detail17trampoline_kernelINS0_14default_configENS1_25partition_config_selectorILNS1_17partition_subalgoE6EtNS0_10empty_typeEbEEZZNS1_14partition_implILS5_6ELb0ES3_mN6thrust23THRUST_200600_302600_NS6detail15normal_iteratorINSA_10device_ptrItEEEEPS6_SG_NS0_5tupleIJSF_S6_EEENSH_IJSG_SG_EEES6_PlJNSB_9not_fun_tI7is_trueItEEEEEE10hipError_tPvRmT3_T4_T5_T6_T7_T9_mT8_P12ihipStream_tbDpT10_ENKUlT_T0_E_clISt17integral_constantIbLb0EES18_EEDaS13_S14_EUlS13_E_NS1_11comp_targetILNS1_3genE10ELNS1_11target_archE1200ELNS1_3gpuE4ELNS1_3repE0EEENS1_30default_config_static_selectorELNS0_4arch9wavefront6targetE0EEEvT1_,comdat
.Lfunc_end1178:
	.size	_ZN7rocprim17ROCPRIM_400000_NS6detail17trampoline_kernelINS0_14default_configENS1_25partition_config_selectorILNS1_17partition_subalgoE6EtNS0_10empty_typeEbEEZZNS1_14partition_implILS5_6ELb0ES3_mN6thrust23THRUST_200600_302600_NS6detail15normal_iteratorINSA_10device_ptrItEEEEPS6_SG_NS0_5tupleIJSF_S6_EEENSH_IJSG_SG_EEES6_PlJNSB_9not_fun_tI7is_trueItEEEEEE10hipError_tPvRmT3_T4_T5_T6_T7_T9_mT8_P12ihipStream_tbDpT10_ENKUlT_T0_E_clISt17integral_constantIbLb0EES18_EEDaS13_S14_EUlS13_E_NS1_11comp_targetILNS1_3genE10ELNS1_11target_archE1200ELNS1_3gpuE4ELNS1_3repE0EEENS1_30default_config_static_selectorELNS0_4arch9wavefront6targetE0EEEvT1_, .Lfunc_end1178-_ZN7rocprim17ROCPRIM_400000_NS6detail17trampoline_kernelINS0_14default_configENS1_25partition_config_selectorILNS1_17partition_subalgoE6EtNS0_10empty_typeEbEEZZNS1_14partition_implILS5_6ELb0ES3_mN6thrust23THRUST_200600_302600_NS6detail15normal_iteratorINSA_10device_ptrItEEEEPS6_SG_NS0_5tupleIJSF_S6_EEENSH_IJSG_SG_EEES6_PlJNSB_9not_fun_tI7is_trueItEEEEEE10hipError_tPvRmT3_T4_T5_T6_T7_T9_mT8_P12ihipStream_tbDpT10_ENKUlT_T0_E_clISt17integral_constantIbLb0EES18_EEDaS13_S14_EUlS13_E_NS1_11comp_targetILNS1_3genE10ELNS1_11target_archE1200ELNS1_3gpuE4ELNS1_3repE0EEENS1_30default_config_static_selectorELNS0_4arch9wavefront6targetE0EEEvT1_
                                        ; -- End function
	.set _ZN7rocprim17ROCPRIM_400000_NS6detail17trampoline_kernelINS0_14default_configENS1_25partition_config_selectorILNS1_17partition_subalgoE6EtNS0_10empty_typeEbEEZZNS1_14partition_implILS5_6ELb0ES3_mN6thrust23THRUST_200600_302600_NS6detail15normal_iteratorINSA_10device_ptrItEEEEPS6_SG_NS0_5tupleIJSF_S6_EEENSH_IJSG_SG_EEES6_PlJNSB_9not_fun_tI7is_trueItEEEEEE10hipError_tPvRmT3_T4_T5_T6_T7_T9_mT8_P12ihipStream_tbDpT10_ENKUlT_T0_E_clISt17integral_constantIbLb0EES18_EEDaS13_S14_EUlS13_E_NS1_11comp_targetILNS1_3genE10ELNS1_11target_archE1200ELNS1_3gpuE4ELNS1_3repE0EEENS1_30default_config_static_selectorELNS0_4arch9wavefront6targetE0EEEvT1_.num_vgpr, 72
	.set _ZN7rocprim17ROCPRIM_400000_NS6detail17trampoline_kernelINS0_14default_configENS1_25partition_config_selectorILNS1_17partition_subalgoE6EtNS0_10empty_typeEbEEZZNS1_14partition_implILS5_6ELb0ES3_mN6thrust23THRUST_200600_302600_NS6detail15normal_iteratorINSA_10device_ptrItEEEEPS6_SG_NS0_5tupleIJSF_S6_EEENSH_IJSG_SG_EEES6_PlJNSB_9not_fun_tI7is_trueItEEEEEE10hipError_tPvRmT3_T4_T5_T6_T7_T9_mT8_P12ihipStream_tbDpT10_ENKUlT_T0_E_clISt17integral_constantIbLb0EES18_EEDaS13_S14_EUlS13_E_NS1_11comp_targetILNS1_3genE10ELNS1_11target_archE1200ELNS1_3gpuE4ELNS1_3repE0EEENS1_30default_config_static_selectorELNS0_4arch9wavefront6targetE0EEEvT1_.num_agpr, 0
	.set _ZN7rocprim17ROCPRIM_400000_NS6detail17trampoline_kernelINS0_14default_configENS1_25partition_config_selectorILNS1_17partition_subalgoE6EtNS0_10empty_typeEbEEZZNS1_14partition_implILS5_6ELb0ES3_mN6thrust23THRUST_200600_302600_NS6detail15normal_iteratorINSA_10device_ptrItEEEEPS6_SG_NS0_5tupleIJSF_S6_EEENSH_IJSG_SG_EEES6_PlJNSB_9not_fun_tI7is_trueItEEEEEE10hipError_tPvRmT3_T4_T5_T6_T7_T9_mT8_P12ihipStream_tbDpT10_ENKUlT_T0_E_clISt17integral_constantIbLb0EES18_EEDaS13_S14_EUlS13_E_NS1_11comp_targetILNS1_3genE10ELNS1_11target_archE1200ELNS1_3gpuE4ELNS1_3repE0EEENS1_30default_config_static_selectorELNS0_4arch9wavefront6targetE0EEEvT1_.numbered_sgpr, 27
	.set _ZN7rocprim17ROCPRIM_400000_NS6detail17trampoline_kernelINS0_14default_configENS1_25partition_config_selectorILNS1_17partition_subalgoE6EtNS0_10empty_typeEbEEZZNS1_14partition_implILS5_6ELb0ES3_mN6thrust23THRUST_200600_302600_NS6detail15normal_iteratorINSA_10device_ptrItEEEEPS6_SG_NS0_5tupleIJSF_S6_EEENSH_IJSG_SG_EEES6_PlJNSB_9not_fun_tI7is_trueItEEEEEE10hipError_tPvRmT3_T4_T5_T6_T7_T9_mT8_P12ihipStream_tbDpT10_ENKUlT_T0_E_clISt17integral_constantIbLb0EES18_EEDaS13_S14_EUlS13_E_NS1_11comp_targetILNS1_3genE10ELNS1_11target_archE1200ELNS1_3gpuE4ELNS1_3repE0EEENS1_30default_config_static_selectorELNS0_4arch9wavefront6targetE0EEEvT1_.num_named_barrier, 0
	.set _ZN7rocprim17ROCPRIM_400000_NS6detail17trampoline_kernelINS0_14default_configENS1_25partition_config_selectorILNS1_17partition_subalgoE6EtNS0_10empty_typeEbEEZZNS1_14partition_implILS5_6ELb0ES3_mN6thrust23THRUST_200600_302600_NS6detail15normal_iteratorINSA_10device_ptrItEEEEPS6_SG_NS0_5tupleIJSF_S6_EEENSH_IJSG_SG_EEES6_PlJNSB_9not_fun_tI7is_trueItEEEEEE10hipError_tPvRmT3_T4_T5_T6_T7_T9_mT8_P12ihipStream_tbDpT10_ENKUlT_T0_E_clISt17integral_constantIbLb0EES18_EEDaS13_S14_EUlS13_E_NS1_11comp_targetILNS1_3genE10ELNS1_11target_archE1200ELNS1_3gpuE4ELNS1_3repE0EEENS1_30default_config_static_selectorELNS0_4arch9wavefront6targetE0EEEvT1_.private_seg_size, 0
	.set _ZN7rocprim17ROCPRIM_400000_NS6detail17trampoline_kernelINS0_14default_configENS1_25partition_config_selectorILNS1_17partition_subalgoE6EtNS0_10empty_typeEbEEZZNS1_14partition_implILS5_6ELb0ES3_mN6thrust23THRUST_200600_302600_NS6detail15normal_iteratorINSA_10device_ptrItEEEEPS6_SG_NS0_5tupleIJSF_S6_EEENSH_IJSG_SG_EEES6_PlJNSB_9not_fun_tI7is_trueItEEEEEE10hipError_tPvRmT3_T4_T5_T6_T7_T9_mT8_P12ihipStream_tbDpT10_ENKUlT_T0_E_clISt17integral_constantIbLb0EES18_EEDaS13_S14_EUlS13_E_NS1_11comp_targetILNS1_3genE10ELNS1_11target_archE1200ELNS1_3gpuE4ELNS1_3repE0EEENS1_30default_config_static_selectorELNS0_4arch9wavefront6targetE0EEEvT1_.uses_vcc, 1
	.set _ZN7rocprim17ROCPRIM_400000_NS6detail17trampoline_kernelINS0_14default_configENS1_25partition_config_selectorILNS1_17partition_subalgoE6EtNS0_10empty_typeEbEEZZNS1_14partition_implILS5_6ELb0ES3_mN6thrust23THRUST_200600_302600_NS6detail15normal_iteratorINSA_10device_ptrItEEEEPS6_SG_NS0_5tupleIJSF_S6_EEENSH_IJSG_SG_EEES6_PlJNSB_9not_fun_tI7is_trueItEEEEEE10hipError_tPvRmT3_T4_T5_T6_T7_T9_mT8_P12ihipStream_tbDpT10_ENKUlT_T0_E_clISt17integral_constantIbLb0EES18_EEDaS13_S14_EUlS13_E_NS1_11comp_targetILNS1_3genE10ELNS1_11target_archE1200ELNS1_3gpuE4ELNS1_3repE0EEENS1_30default_config_static_selectorELNS0_4arch9wavefront6targetE0EEEvT1_.uses_flat_scratch, 1
	.set _ZN7rocprim17ROCPRIM_400000_NS6detail17trampoline_kernelINS0_14default_configENS1_25partition_config_selectorILNS1_17partition_subalgoE6EtNS0_10empty_typeEbEEZZNS1_14partition_implILS5_6ELb0ES3_mN6thrust23THRUST_200600_302600_NS6detail15normal_iteratorINSA_10device_ptrItEEEEPS6_SG_NS0_5tupleIJSF_S6_EEENSH_IJSG_SG_EEES6_PlJNSB_9not_fun_tI7is_trueItEEEEEE10hipError_tPvRmT3_T4_T5_T6_T7_T9_mT8_P12ihipStream_tbDpT10_ENKUlT_T0_E_clISt17integral_constantIbLb0EES18_EEDaS13_S14_EUlS13_E_NS1_11comp_targetILNS1_3genE10ELNS1_11target_archE1200ELNS1_3gpuE4ELNS1_3repE0EEENS1_30default_config_static_selectorELNS0_4arch9wavefront6targetE0EEEvT1_.has_dyn_sized_stack, 0
	.set _ZN7rocprim17ROCPRIM_400000_NS6detail17trampoline_kernelINS0_14default_configENS1_25partition_config_selectorILNS1_17partition_subalgoE6EtNS0_10empty_typeEbEEZZNS1_14partition_implILS5_6ELb0ES3_mN6thrust23THRUST_200600_302600_NS6detail15normal_iteratorINSA_10device_ptrItEEEEPS6_SG_NS0_5tupleIJSF_S6_EEENSH_IJSG_SG_EEES6_PlJNSB_9not_fun_tI7is_trueItEEEEEE10hipError_tPvRmT3_T4_T5_T6_T7_T9_mT8_P12ihipStream_tbDpT10_ENKUlT_T0_E_clISt17integral_constantIbLb0EES18_EEDaS13_S14_EUlS13_E_NS1_11comp_targetILNS1_3genE10ELNS1_11target_archE1200ELNS1_3gpuE4ELNS1_3repE0EEENS1_30default_config_static_selectorELNS0_4arch9wavefront6targetE0EEEvT1_.has_recursion, 0
	.set _ZN7rocprim17ROCPRIM_400000_NS6detail17trampoline_kernelINS0_14default_configENS1_25partition_config_selectorILNS1_17partition_subalgoE6EtNS0_10empty_typeEbEEZZNS1_14partition_implILS5_6ELb0ES3_mN6thrust23THRUST_200600_302600_NS6detail15normal_iteratorINSA_10device_ptrItEEEEPS6_SG_NS0_5tupleIJSF_S6_EEENSH_IJSG_SG_EEES6_PlJNSB_9not_fun_tI7is_trueItEEEEEE10hipError_tPvRmT3_T4_T5_T6_T7_T9_mT8_P12ihipStream_tbDpT10_ENKUlT_T0_E_clISt17integral_constantIbLb0EES18_EEDaS13_S14_EUlS13_E_NS1_11comp_targetILNS1_3genE10ELNS1_11target_archE1200ELNS1_3gpuE4ELNS1_3repE0EEENS1_30default_config_static_selectorELNS0_4arch9wavefront6targetE0EEEvT1_.has_indirect_call, 0
	.section	.AMDGPU.csdata,"",@progbits
; Kernel info:
; codeLenInByte = 11648
; TotalNumSgprs: 29
; NumVgprs: 72
; ScratchSize: 0
; MemoryBound: 0
; FloatMode: 240
; IeeeMode: 1
; LDSByteSize: 13840 bytes/workgroup (compile time only)
; SGPRBlocks: 0
; VGPRBlocks: 8
; NumSGPRsForWavesPerEU: 29
; NumVGPRsForWavesPerEU: 72
; Occupancy: 15
; WaveLimiterHint : 1
; COMPUTE_PGM_RSRC2:SCRATCH_EN: 0
; COMPUTE_PGM_RSRC2:USER_SGPR: 2
; COMPUTE_PGM_RSRC2:TRAP_HANDLER: 0
; COMPUTE_PGM_RSRC2:TGID_X_EN: 1
; COMPUTE_PGM_RSRC2:TGID_Y_EN: 0
; COMPUTE_PGM_RSRC2:TGID_Z_EN: 0
; COMPUTE_PGM_RSRC2:TIDIG_COMP_CNT: 0
	.section	.text._ZN7rocprim17ROCPRIM_400000_NS6detail17trampoline_kernelINS0_14default_configENS1_25partition_config_selectorILNS1_17partition_subalgoE6EtNS0_10empty_typeEbEEZZNS1_14partition_implILS5_6ELb0ES3_mN6thrust23THRUST_200600_302600_NS6detail15normal_iteratorINSA_10device_ptrItEEEEPS6_SG_NS0_5tupleIJSF_S6_EEENSH_IJSG_SG_EEES6_PlJNSB_9not_fun_tI7is_trueItEEEEEE10hipError_tPvRmT3_T4_T5_T6_T7_T9_mT8_P12ihipStream_tbDpT10_ENKUlT_T0_E_clISt17integral_constantIbLb0EES18_EEDaS13_S14_EUlS13_E_NS1_11comp_targetILNS1_3genE9ELNS1_11target_archE1100ELNS1_3gpuE3ELNS1_3repE0EEENS1_30default_config_static_selectorELNS0_4arch9wavefront6targetE0EEEvT1_,"axG",@progbits,_ZN7rocprim17ROCPRIM_400000_NS6detail17trampoline_kernelINS0_14default_configENS1_25partition_config_selectorILNS1_17partition_subalgoE6EtNS0_10empty_typeEbEEZZNS1_14partition_implILS5_6ELb0ES3_mN6thrust23THRUST_200600_302600_NS6detail15normal_iteratorINSA_10device_ptrItEEEEPS6_SG_NS0_5tupleIJSF_S6_EEENSH_IJSG_SG_EEES6_PlJNSB_9not_fun_tI7is_trueItEEEEEE10hipError_tPvRmT3_T4_T5_T6_T7_T9_mT8_P12ihipStream_tbDpT10_ENKUlT_T0_E_clISt17integral_constantIbLb0EES18_EEDaS13_S14_EUlS13_E_NS1_11comp_targetILNS1_3genE9ELNS1_11target_archE1100ELNS1_3gpuE3ELNS1_3repE0EEENS1_30default_config_static_selectorELNS0_4arch9wavefront6targetE0EEEvT1_,comdat
	.protected	_ZN7rocprim17ROCPRIM_400000_NS6detail17trampoline_kernelINS0_14default_configENS1_25partition_config_selectorILNS1_17partition_subalgoE6EtNS0_10empty_typeEbEEZZNS1_14partition_implILS5_6ELb0ES3_mN6thrust23THRUST_200600_302600_NS6detail15normal_iteratorINSA_10device_ptrItEEEEPS6_SG_NS0_5tupleIJSF_S6_EEENSH_IJSG_SG_EEES6_PlJNSB_9not_fun_tI7is_trueItEEEEEE10hipError_tPvRmT3_T4_T5_T6_T7_T9_mT8_P12ihipStream_tbDpT10_ENKUlT_T0_E_clISt17integral_constantIbLb0EES18_EEDaS13_S14_EUlS13_E_NS1_11comp_targetILNS1_3genE9ELNS1_11target_archE1100ELNS1_3gpuE3ELNS1_3repE0EEENS1_30default_config_static_selectorELNS0_4arch9wavefront6targetE0EEEvT1_ ; -- Begin function _ZN7rocprim17ROCPRIM_400000_NS6detail17trampoline_kernelINS0_14default_configENS1_25partition_config_selectorILNS1_17partition_subalgoE6EtNS0_10empty_typeEbEEZZNS1_14partition_implILS5_6ELb0ES3_mN6thrust23THRUST_200600_302600_NS6detail15normal_iteratorINSA_10device_ptrItEEEEPS6_SG_NS0_5tupleIJSF_S6_EEENSH_IJSG_SG_EEES6_PlJNSB_9not_fun_tI7is_trueItEEEEEE10hipError_tPvRmT3_T4_T5_T6_T7_T9_mT8_P12ihipStream_tbDpT10_ENKUlT_T0_E_clISt17integral_constantIbLb0EES18_EEDaS13_S14_EUlS13_E_NS1_11comp_targetILNS1_3genE9ELNS1_11target_archE1100ELNS1_3gpuE3ELNS1_3repE0EEENS1_30default_config_static_selectorELNS0_4arch9wavefront6targetE0EEEvT1_
	.globl	_ZN7rocprim17ROCPRIM_400000_NS6detail17trampoline_kernelINS0_14default_configENS1_25partition_config_selectorILNS1_17partition_subalgoE6EtNS0_10empty_typeEbEEZZNS1_14partition_implILS5_6ELb0ES3_mN6thrust23THRUST_200600_302600_NS6detail15normal_iteratorINSA_10device_ptrItEEEEPS6_SG_NS0_5tupleIJSF_S6_EEENSH_IJSG_SG_EEES6_PlJNSB_9not_fun_tI7is_trueItEEEEEE10hipError_tPvRmT3_T4_T5_T6_T7_T9_mT8_P12ihipStream_tbDpT10_ENKUlT_T0_E_clISt17integral_constantIbLb0EES18_EEDaS13_S14_EUlS13_E_NS1_11comp_targetILNS1_3genE9ELNS1_11target_archE1100ELNS1_3gpuE3ELNS1_3repE0EEENS1_30default_config_static_selectorELNS0_4arch9wavefront6targetE0EEEvT1_
	.p2align	8
	.type	_ZN7rocprim17ROCPRIM_400000_NS6detail17trampoline_kernelINS0_14default_configENS1_25partition_config_selectorILNS1_17partition_subalgoE6EtNS0_10empty_typeEbEEZZNS1_14partition_implILS5_6ELb0ES3_mN6thrust23THRUST_200600_302600_NS6detail15normal_iteratorINSA_10device_ptrItEEEEPS6_SG_NS0_5tupleIJSF_S6_EEENSH_IJSG_SG_EEES6_PlJNSB_9not_fun_tI7is_trueItEEEEEE10hipError_tPvRmT3_T4_T5_T6_T7_T9_mT8_P12ihipStream_tbDpT10_ENKUlT_T0_E_clISt17integral_constantIbLb0EES18_EEDaS13_S14_EUlS13_E_NS1_11comp_targetILNS1_3genE9ELNS1_11target_archE1100ELNS1_3gpuE3ELNS1_3repE0EEENS1_30default_config_static_selectorELNS0_4arch9wavefront6targetE0EEEvT1_,@function
_ZN7rocprim17ROCPRIM_400000_NS6detail17trampoline_kernelINS0_14default_configENS1_25partition_config_selectorILNS1_17partition_subalgoE6EtNS0_10empty_typeEbEEZZNS1_14partition_implILS5_6ELb0ES3_mN6thrust23THRUST_200600_302600_NS6detail15normal_iteratorINSA_10device_ptrItEEEEPS6_SG_NS0_5tupleIJSF_S6_EEENSH_IJSG_SG_EEES6_PlJNSB_9not_fun_tI7is_trueItEEEEEE10hipError_tPvRmT3_T4_T5_T6_T7_T9_mT8_P12ihipStream_tbDpT10_ENKUlT_T0_E_clISt17integral_constantIbLb0EES18_EEDaS13_S14_EUlS13_E_NS1_11comp_targetILNS1_3genE9ELNS1_11target_archE1100ELNS1_3gpuE3ELNS1_3repE0EEENS1_30default_config_static_selectorELNS0_4arch9wavefront6targetE0EEEvT1_: ; @_ZN7rocprim17ROCPRIM_400000_NS6detail17trampoline_kernelINS0_14default_configENS1_25partition_config_selectorILNS1_17partition_subalgoE6EtNS0_10empty_typeEbEEZZNS1_14partition_implILS5_6ELb0ES3_mN6thrust23THRUST_200600_302600_NS6detail15normal_iteratorINSA_10device_ptrItEEEEPS6_SG_NS0_5tupleIJSF_S6_EEENSH_IJSG_SG_EEES6_PlJNSB_9not_fun_tI7is_trueItEEEEEE10hipError_tPvRmT3_T4_T5_T6_T7_T9_mT8_P12ihipStream_tbDpT10_ENKUlT_T0_E_clISt17integral_constantIbLb0EES18_EEDaS13_S14_EUlS13_E_NS1_11comp_targetILNS1_3genE9ELNS1_11target_archE1100ELNS1_3gpuE3ELNS1_3repE0EEENS1_30default_config_static_selectorELNS0_4arch9wavefront6targetE0EEEvT1_
; %bb.0:
	.section	.rodata,"a",@progbits
	.p2align	6, 0x0
	.amdhsa_kernel _ZN7rocprim17ROCPRIM_400000_NS6detail17trampoline_kernelINS0_14default_configENS1_25partition_config_selectorILNS1_17partition_subalgoE6EtNS0_10empty_typeEbEEZZNS1_14partition_implILS5_6ELb0ES3_mN6thrust23THRUST_200600_302600_NS6detail15normal_iteratorINSA_10device_ptrItEEEEPS6_SG_NS0_5tupleIJSF_S6_EEENSH_IJSG_SG_EEES6_PlJNSB_9not_fun_tI7is_trueItEEEEEE10hipError_tPvRmT3_T4_T5_T6_T7_T9_mT8_P12ihipStream_tbDpT10_ENKUlT_T0_E_clISt17integral_constantIbLb0EES18_EEDaS13_S14_EUlS13_E_NS1_11comp_targetILNS1_3genE9ELNS1_11target_archE1100ELNS1_3gpuE3ELNS1_3repE0EEENS1_30default_config_static_selectorELNS0_4arch9wavefront6targetE0EEEvT1_
		.amdhsa_group_segment_fixed_size 0
		.amdhsa_private_segment_fixed_size 0
		.amdhsa_kernarg_size 112
		.amdhsa_user_sgpr_count 2
		.amdhsa_user_sgpr_dispatch_ptr 0
		.amdhsa_user_sgpr_queue_ptr 0
		.amdhsa_user_sgpr_kernarg_segment_ptr 1
		.amdhsa_user_sgpr_dispatch_id 0
		.amdhsa_user_sgpr_private_segment_size 0
		.amdhsa_wavefront_size32 1
		.amdhsa_uses_dynamic_stack 0
		.amdhsa_enable_private_segment 0
		.amdhsa_system_sgpr_workgroup_id_x 1
		.amdhsa_system_sgpr_workgroup_id_y 0
		.amdhsa_system_sgpr_workgroup_id_z 0
		.amdhsa_system_sgpr_workgroup_info 0
		.amdhsa_system_vgpr_workitem_id 0
		.amdhsa_next_free_vgpr 1
		.amdhsa_next_free_sgpr 1
		.amdhsa_reserve_vcc 0
		.amdhsa_float_round_mode_32 0
		.amdhsa_float_round_mode_16_64 0
		.amdhsa_float_denorm_mode_32 3
		.amdhsa_float_denorm_mode_16_64 3
		.amdhsa_fp16_overflow 0
		.amdhsa_workgroup_processor_mode 1
		.amdhsa_memory_ordered 1
		.amdhsa_forward_progress 1
		.amdhsa_inst_pref_size 0
		.amdhsa_round_robin_scheduling 0
		.amdhsa_exception_fp_ieee_invalid_op 0
		.amdhsa_exception_fp_denorm_src 0
		.amdhsa_exception_fp_ieee_div_zero 0
		.amdhsa_exception_fp_ieee_overflow 0
		.amdhsa_exception_fp_ieee_underflow 0
		.amdhsa_exception_fp_ieee_inexact 0
		.amdhsa_exception_int_div_zero 0
	.end_amdhsa_kernel
	.section	.text._ZN7rocprim17ROCPRIM_400000_NS6detail17trampoline_kernelINS0_14default_configENS1_25partition_config_selectorILNS1_17partition_subalgoE6EtNS0_10empty_typeEbEEZZNS1_14partition_implILS5_6ELb0ES3_mN6thrust23THRUST_200600_302600_NS6detail15normal_iteratorINSA_10device_ptrItEEEEPS6_SG_NS0_5tupleIJSF_S6_EEENSH_IJSG_SG_EEES6_PlJNSB_9not_fun_tI7is_trueItEEEEEE10hipError_tPvRmT3_T4_T5_T6_T7_T9_mT8_P12ihipStream_tbDpT10_ENKUlT_T0_E_clISt17integral_constantIbLb0EES18_EEDaS13_S14_EUlS13_E_NS1_11comp_targetILNS1_3genE9ELNS1_11target_archE1100ELNS1_3gpuE3ELNS1_3repE0EEENS1_30default_config_static_selectorELNS0_4arch9wavefront6targetE0EEEvT1_,"axG",@progbits,_ZN7rocprim17ROCPRIM_400000_NS6detail17trampoline_kernelINS0_14default_configENS1_25partition_config_selectorILNS1_17partition_subalgoE6EtNS0_10empty_typeEbEEZZNS1_14partition_implILS5_6ELb0ES3_mN6thrust23THRUST_200600_302600_NS6detail15normal_iteratorINSA_10device_ptrItEEEEPS6_SG_NS0_5tupleIJSF_S6_EEENSH_IJSG_SG_EEES6_PlJNSB_9not_fun_tI7is_trueItEEEEEE10hipError_tPvRmT3_T4_T5_T6_T7_T9_mT8_P12ihipStream_tbDpT10_ENKUlT_T0_E_clISt17integral_constantIbLb0EES18_EEDaS13_S14_EUlS13_E_NS1_11comp_targetILNS1_3genE9ELNS1_11target_archE1100ELNS1_3gpuE3ELNS1_3repE0EEENS1_30default_config_static_selectorELNS0_4arch9wavefront6targetE0EEEvT1_,comdat
.Lfunc_end1179:
	.size	_ZN7rocprim17ROCPRIM_400000_NS6detail17trampoline_kernelINS0_14default_configENS1_25partition_config_selectorILNS1_17partition_subalgoE6EtNS0_10empty_typeEbEEZZNS1_14partition_implILS5_6ELb0ES3_mN6thrust23THRUST_200600_302600_NS6detail15normal_iteratorINSA_10device_ptrItEEEEPS6_SG_NS0_5tupleIJSF_S6_EEENSH_IJSG_SG_EEES6_PlJNSB_9not_fun_tI7is_trueItEEEEEE10hipError_tPvRmT3_T4_T5_T6_T7_T9_mT8_P12ihipStream_tbDpT10_ENKUlT_T0_E_clISt17integral_constantIbLb0EES18_EEDaS13_S14_EUlS13_E_NS1_11comp_targetILNS1_3genE9ELNS1_11target_archE1100ELNS1_3gpuE3ELNS1_3repE0EEENS1_30default_config_static_selectorELNS0_4arch9wavefront6targetE0EEEvT1_, .Lfunc_end1179-_ZN7rocprim17ROCPRIM_400000_NS6detail17trampoline_kernelINS0_14default_configENS1_25partition_config_selectorILNS1_17partition_subalgoE6EtNS0_10empty_typeEbEEZZNS1_14partition_implILS5_6ELb0ES3_mN6thrust23THRUST_200600_302600_NS6detail15normal_iteratorINSA_10device_ptrItEEEEPS6_SG_NS0_5tupleIJSF_S6_EEENSH_IJSG_SG_EEES6_PlJNSB_9not_fun_tI7is_trueItEEEEEE10hipError_tPvRmT3_T4_T5_T6_T7_T9_mT8_P12ihipStream_tbDpT10_ENKUlT_T0_E_clISt17integral_constantIbLb0EES18_EEDaS13_S14_EUlS13_E_NS1_11comp_targetILNS1_3genE9ELNS1_11target_archE1100ELNS1_3gpuE3ELNS1_3repE0EEENS1_30default_config_static_selectorELNS0_4arch9wavefront6targetE0EEEvT1_
                                        ; -- End function
	.set _ZN7rocprim17ROCPRIM_400000_NS6detail17trampoline_kernelINS0_14default_configENS1_25partition_config_selectorILNS1_17partition_subalgoE6EtNS0_10empty_typeEbEEZZNS1_14partition_implILS5_6ELb0ES3_mN6thrust23THRUST_200600_302600_NS6detail15normal_iteratorINSA_10device_ptrItEEEEPS6_SG_NS0_5tupleIJSF_S6_EEENSH_IJSG_SG_EEES6_PlJNSB_9not_fun_tI7is_trueItEEEEEE10hipError_tPvRmT3_T4_T5_T6_T7_T9_mT8_P12ihipStream_tbDpT10_ENKUlT_T0_E_clISt17integral_constantIbLb0EES18_EEDaS13_S14_EUlS13_E_NS1_11comp_targetILNS1_3genE9ELNS1_11target_archE1100ELNS1_3gpuE3ELNS1_3repE0EEENS1_30default_config_static_selectorELNS0_4arch9wavefront6targetE0EEEvT1_.num_vgpr, 0
	.set _ZN7rocprim17ROCPRIM_400000_NS6detail17trampoline_kernelINS0_14default_configENS1_25partition_config_selectorILNS1_17partition_subalgoE6EtNS0_10empty_typeEbEEZZNS1_14partition_implILS5_6ELb0ES3_mN6thrust23THRUST_200600_302600_NS6detail15normal_iteratorINSA_10device_ptrItEEEEPS6_SG_NS0_5tupleIJSF_S6_EEENSH_IJSG_SG_EEES6_PlJNSB_9not_fun_tI7is_trueItEEEEEE10hipError_tPvRmT3_T4_T5_T6_T7_T9_mT8_P12ihipStream_tbDpT10_ENKUlT_T0_E_clISt17integral_constantIbLb0EES18_EEDaS13_S14_EUlS13_E_NS1_11comp_targetILNS1_3genE9ELNS1_11target_archE1100ELNS1_3gpuE3ELNS1_3repE0EEENS1_30default_config_static_selectorELNS0_4arch9wavefront6targetE0EEEvT1_.num_agpr, 0
	.set _ZN7rocprim17ROCPRIM_400000_NS6detail17trampoline_kernelINS0_14default_configENS1_25partition_config_selectorILNS1_17partition_subalgoE6EtNS0_10empty_typeEbEEZZNS1_14partition_implILS5_6ELb0ES3_mN6thrust23THRUST_200600_302600_NS6detail15normal_iteratorINSA_10device_ptrItEEEEPS6_SG_NS0_5tupleIJSF_S6_EEENSH_IJSG_SG_EEES6_PlJNSB_9not_fun_tI7is_trueItEEEEEE10hipError_tPvRmT3_T4_T5_T6_T7_T9_mT8_P12ihipStream_tbDpT10_ENKUlT_T0_E_clISt17integral_constantIbLb0EES18_EEDaS13_S14_EUlS13_E_NS1_11comp_targetILNS1_3genE9ELNS1_11target_archE1100ELNS1_3gpuE3ELNS1_3repE0EEENS1_30default_config_static_selectorELNS0_4arch9wavefront6targetE0EEEvT1_.numbered_sgpr, 0
	.set _ZN7rocprim17ROCPRIM_400000_NS6detail17trampoline_kernelINS0_14default_configENS1_25partition_config_selectorILNS1_17partition_subalgoE6EtNS0_10empty_typeEbEEZZNS1_14partition_implILS5_6ELb0ES3_mN6thrust23THRUST_200600_302600_NS6detail15normal_iteratorINSA_10device_ptrItEEEEPS6_SG_NS0_5tupleIJSF_S6_EEENSH_IJSG_SG_EEES6_PlJNSB_9not_fun_tI7is_trueItEEEEEE10hipError_tPvRmT3_T4_T5_T6_T7_T9_mT8_P12ihipStream_tbDpT10_ENKUlT_T0_E_clISt17integral_constantIbLb0EES18_EEDaS13_S14_EUlS13_E_NS1_11comp_targetILNS1_3genE9ELNS1_11target_archE1100ELNS1_3gpuE3ELNS1_3repE0EEENS1_30default_config_static_selectorELNS0_4arch9wavefront6targetE0EEEvT1_.num_named_barrier, 0
	.set _ZN7rocprim17ROCPRIM_400000_NS6detail17trampoline_kernelINS0_14default_configENS1_25partition_config_selectorILNS1_17partition_subalgoE6EtNS0_10empty_typeEbEEZZNS1_14partition_implILS5_6ELb0ES3_mN6thrust23THRUST_200600_302600_NS6detail15normal_iteratorINSA_10device_ptrItEEEEPS6_SG_NS0_5tupleIJSF_S6_EEENSH_IJSG_SG_EEES6_PlJNSB_9not_fun_tI7is_trueItEEEEEE10hipError_tPvRmT3_T4_T5_T6_T7_T9_mT8_P12ihipStream_tbDpT10_ENKUlT_T0_E_clISt17integral_constantIbLb0EES18_EEDaS13_S14_EUlS13_E_NS1_11comp_targetILNS1_3genE9ELNS1_11target_archE1100ELNS1_3gpuE3ELNS1_3repE0EEENS1_30default_config_static_selectorELNS0_4arch9wavefront6targetE0EEEvT1_.private_seg_size, 0
	.set _ZN7rocprim17ROCPRIM_400000_NS6detail17trampoline_kernelINS0_14default_configENS1_25partition_config_selectorILNS1_17partition_subalgoE6EtNS0_10empty_typeEbEEZZNS1_14partition_implILS5_6ELb0ES3_mN6thrust23THRUST_200600_302600_NS6detail15normal_iteratorINSA_10device_ptrItEEEEPS6_SG_NS0_5tupleIJSF_S6_EEENSH_IJSG_SG_EEES6_PlJNSB_9not_fun_tI7is_trueItEEEEEE10hipError_tPvRmT3_T4_T5_T6_T7_T9_mT8_P12ihipStream_tbDpT10_ENKUlT_T0_E_clISt17integral_constantIbLb0EES18_EEDaS13_S14_EUlS13_E_NS1_11comp_targetILNS1_3genE9ELNS1_11target_archE1100ELNS1_3gpuE3ELNS1_3repE0EEENS1_30default_config_static_selectorELNS0_4arch9wavefront6targetE0EEEvT1_.uses_vcc, 0
	.set _ZN7rocprim17ROCPRIM_400000_NS6detail17trampoline_kernelINS0_14default_configENS1_25partition_config_selectorILNS1_17partition_subalgoE6EtNS0_10empty_typeEbEEZZNS1_14partition_implILS5_6ELb0ES3_mN6thrust23THRUST_200600_302600_NS6detail15normal_iteratorINSA_10device_ptrItEEEEPS6_SG_NS0_5tupleIJSF_S6_EEENSH_IJSG_SG_EEES6_PlJNSB_9not_fun_tI7is_trueItEEEEEE10hipError_tPvRmT3_T4_T5_T6_T7_T9_mT8_P12ihipStream_tbDpT10_ENKUlT_T0_E_clISt17integral_constantIbLb0EES18_EEDaS13_S14_EUlS13_E_NS1_11comp_targetILNS1_3genE9ELNS1_11target_archE1100ELNS1_3gpuE3ELNS1_3repE0EEENS1_30default_config_static_selectorELNS0_4arch9wavefront6targetE0EEEvT1_.uses_flat_scratch, 0
	.set _ZN7rocprim17ROCPRIM_400000_NS6detail17trampoline_kernelINS0_14default_configENS1_25partition_config_selectorILNS1_17partition_subalgoE6EtNS0_10empty_typeEbEEZZNS1_14partition_implILS5_6ELb0ES3_mN6thrust23THRUST_200600_302600_NS6detail15normal_iteratorINSA_10device_ptrItEEEEPS6_SG_NS0_5tupleIJSF_S6_EEENSH_IJSG_SG_EEES6_PlJNSB_9not_fun_tI7is_trueItEEEEEE10hipError_tPvRmT3_T4_T5_T6_T7_T9_mT8_P12ihipStream_tbDpT10_ENKUlT_T0_E_clISt17integral_constantIbLb0EES18_EEDaS13_S14_EUlS13_E_NS1_11comp_targetILNS1_3genE9ELNS1_11target_archE1100ELNS1_3gpuE3ELNS1_3repE0EEENS1_30default_config_static_selectorELNS0_4arch9wavefront6targetE0EEEvT1_.has_dyn_sized_stack, 0
	.set _ZN7rocprim17ROCPRIM_400000_NS6detail17trampoline_kernelINS0_14default_configENS1_25partition_config_selectorILNS1_17partition_subalgoE6EtNS0_10empty_typeEbEEZZNS1_14partition_implILS5_6ELb0ES3_mN6thrust23THRUST_200600_302600_NS6detail15normal_iteratorINSA_10device_ptrItEEEEPS6_SG_NS0_5tupleIJSF_S6_EEENSH_IJSG_SG_EEES6_PlJNSB_9not_fun_tI7is_trueItEEEEEE10hipError_tPvRmT3_T4_T5_T6_T7_T9_mT8_P12ihipStream_tbDpT10_ENKUlT_T0_E_clISt17integral_constantIbLb0EES18_EEDaS13_S14_EUlS13_E_NS1_11comp_targetILNS1_3genE9ELNS1_11target_archE1100ELNS1_3gpuE3ELNS1_3repE0EEENS1_30default_config_static_selectorELNS0_4arch9wavefront6targetE0EEEvT1_.has_recursion, 0
	.set _ZN7rocprim17ROCPRIM_400000_NS6detail17trampoline_kernelINS0_14default_configENS1_25partition_config_selectorILNS1_17partition_subalgoE6EtNS0_10empty_typeEbEEZZNS1_14partition_implILS5_6ELb0ES3_mN6thrust23THRUST_200600_302600_NS6detail15normal_iteratorINSA_10device_ptrItEEEEPS6_SG_NS0_5tupleIJSF_S6_EEENSH_IJSG_SG_EEES6_PlJNSB_9not_fun_tI7is_trueItEEEEEE10hipError_tPvRmT3_T4_T5_T6_T7_T9_mT8_P12ihipStream_tbDpT10_ENKUlT_T0_E_clISt17integral_constantIbLb0EES18_EEDaS13_S14_EUlS13_E_NS1_11comp_targetILNS1_3genE9ELNS1_11target_archE1100ELNS1_3gpuE3ELNS1_3repE0EEENS1_30default_config_static_selectorELNS0_4arch9wavefront6targetE0EEEvT1_.has_indirect_call, 0
	.section	.AMDGPU.csdata,"",@progbits
; Kernel info:
; codeLenInByte = 0
; TotalNumSgprs: 0
; NumVgprs: 0
; ScratchSize: 0
; MemoryBound: 0
; FloatMode: 240
; IeeeMode: 1
; LDSByteSize: 0 bytes/workgroup (compile time only)
; SGPRBlocks: 0
; VGPRBlocks: 0
; NumSGPRsForWavesPerEU: 1
; NumVGPRsForWavesPerEU: 1
; Occupancy: 16
; WaveLimiterHint : 0
; COMPUTE_PGM_RSRC2:SCRATCH_EN: 0
; COMPUTE_PGM_RSRC2:USER_SGPR: 2
; COMPUTE_PGM_RSRC2:TRAP_HANDLER: 0
; COMPUTE_PGM_RSRC2:TGID_X_EN: 1
; COMPUTE_PGM_RSRC2:TGID_Y_EN: 0
; COMPUTE_PGM_RSRC2:TGID_Z_EN: 0
; COMPUTE_PGM_RSRC2:TIDIG_COMP_CNT: 0
	.section	.text._ZN7rocprim17ROCPRIM_400000_NS6detail17trampoline_kernelINS0_14default_configENS1_25partition_config_selectorILNS1_17partition_subalgoE6EtNS0_10empty_typeEbEEZZNS1_14partition_implILS5_6ELb0ES3_mN6thrust23THRUST_200600_302600_NS6detail15normal_iteratorINSA_10device_ptrItEEEEPS6_SG_NS0_5tupleIJSF_S6_EEENSH_IJSG_SG_EEES6_PlJNSB_9not_fun_tI7is_trueItEEEEEE10hipError_tPvRmT3_T4_T5_T6_T7_T9_mT8_P12ihipStream_tbDpT10_ENKUlT_T0_E_clISt17integral_constantIbLb0EES18_EEDaS13_S14_EUlS13_E_NS1_11comp_targetILNS1_3genE8ELNS1_11target_archE1030ELNS1_3gpuE2ELNS1_3repE0EEENS1_30default_config_static_selectorELNS0_4arch9wavefront6targetE0EEEvT1_,"axG",@progbits,_ZN7rocprim17ROCPRIM_400000_NS6detail17trampoline_kernelINS0_14default_configENS1_25partition_config_selectorILNS1_17partition_subalgoE6EtNS0_10empty_typeEbEEZZNS1_14partition_implILS5_6ELb0ES3_mN6thrust23THRUST_200600_302600_NS6detail15normal_iteratorINSA_10device_ptrItEEEEPS6_SG_NS0_5tupleIJSF_S6_EEENSH_IJSG_SG_EEES6_PlJNSB_9not_fun_tI7is_trueItEEEEEE10hipError_tPvRmT3_T4_T5_T6_T7_T9_mT8_P12ihipStream_tbDpT10_ENKUlT_T0_E_clISt17integral_constantIbLb0EES18_EEDaS13_S14_EUlS13_E_NS1_11comp_targetILNS1_3genE8ELNS1_11target_archE1030ELNS1_3gpuE2ELNS1_3repE0EEENS1_30default_config_static_selectorELNS0_4arch9wavefront6targetE0EEEvT1_,comdat
	.protected	_ZN7rocprim17ROCPRIM_400000_NS6detail17trampoline_kernelINS0_14default_configENS1_25partition_config_selectorILNS1_17partition_subalgoE6EtNS0_10empty_typeEbEEZZNS1_14partition_implILS5_6ELb0ES3_mN6thrust23THRUST_200600_302600_NS6detail15normal_iteratorINSA_10device_ptrItEEEEPS6_SG_NS0_5tupleIJSF_S6_EEENSH_IJSG_SG_EEES6_PlJNSB_9not_fun_tI7is_trueItEEEEEE10hipError_tPvRmT3_T4_T5_T6_T7_T9_mT8_P12ihipStream_tbDpT10_ENKUlT_T0_E_clISt17integral_constantIbLb0EES18_EEDaS13_S14_EUlS13_E_NS1_11comp_targetILNS1_3genE8ELNS1_11target_archE1030ELNS1_3gpuE2ELNS1_3repE0EEENS1_30default_config_static_selectorELNS0_4arch9wavefront6targetE0EEEvT1_ ; -- Begin function _ZN7rocprim17ROCPRIM_400000_NS6detail17trampoline_kernelINS0_14default_configENS1_25partition_config_selectorILNS1_17partition_subalgoE6EtNS0_10empty_typeEbEEZZNS1_14partition_implILS5_6ELb0ES3_mN6thrust23THRUST_200600_302600_NS6detail15normal_iteratorINSA_10device_ptrItEEEEPS6_SG_NS0_5tupleIJSF_S6_EEENSH_IJSG_SG_EEES6_PlJNSB_9not_fun_tI7is_trueItEEEEEE10hipError_tPvRmT3_T4_T5_T6_T7_T9_mT8_P12ihipStream_tbDpT10_ENKUlT_T0_E_clISt17integral_constantIbLb0EES18_EEDaS13_S14_EUlS13_E_NS1_11comp_targetILNS1_3genE8ELNS1_11target_archE1030ELNS1_3gpuE2ELNS1_3repE0EEENS1_30default_config_static_selectorELNS0_4arch9wavefront6targetE0EEEvT1_
	.globl	_ZN7rocprim17ROCPRIM_400000_NS6detail17trampoline_kernelINS0_14default_configENS1_25partition_config_selectorILNS1_17partition_subalgoE6EtNS0_10empty_typeEbEEZZNS1_14partition_implILS5_6ELb0ES3_mN6thrust23THRUST_200600_302600_NS6detail15normal_iteratorINSA_10device_ptrItEEEEPS6_SG_NS0_5tupleIJSF_S6_EEENSH_IJSG_SG_EEES6_PlJNSB_9not_fun_tI7is_trueItEEEEEE10hipError_tPvRmT3_T4_T5_T6_T7_T9_mT8_P12ihipStream_tbDpT10_ENKUlT_T0_E_clISt17integral_constantIbLb0EES18_EEDaS13_S14_EUlS13_E_NS1_11comp_targetILNS1_3genE8ELNS1_11target_archE1030ELNS1_3gpuE2ELNS1_3repE0EEENS1_30default_config_static_selectorELNS0_4arch9wavefront6targetE0EEEvT1_
	.p2align	8
	.type	_ZN7rocprim17ROCPRIM_400000_NS6detail17trampoline_kernelINS0_14default_configENS1_25partition_config_selectorILNS1_17partition_subalgoE6EtNS0_10empty_typeEbEEZZNS1_14partition_implILS5_6ELb0ES3_mN6thrust23THRUST_200600_302600_NS6detail15normal_iteratorINSA_10device_ptrItEEEEPS6_SG_NS0_5tupleIJSF_S6_EEENSH_IJSG_SG_EEES6_PlJNSB_9not_fun_tI7is_trueItEEEEEE10hipError_tPvRmT3_T4_T5_T6_T7_T9_mT8_P12ihipStream_tbDpT10_ENKUlT_T0_E_clISt17integral_constantIbLb0EES18_EEDaS13_S14_EUlS13_E_NS1_11comp_targetILNS1_3genE8ELNS1_11target_archE1030ELNS1_3gpuE2ELNS1_3repE0EEENS1_30default_config_static_selectorELNS0_4arch9wavefront6targetE0EEEvT1_,@function
_ZN7rocprim17ROCPRIM_400000_NS6detail17trampoline_kernelINS0_14default_configENS1_25partition_config_selectorILNS1_17partition_subalgoE6EtNS0_10empty_typeEbEEZZNS1_14partition_implILS5_6ELb0ES3_mN6thrust23THRUST_200600_302600_NS6detail15normal_iteratorINSA_10device_ptrItEEEEPS6_SG_NS0_5tupleIJSF_S6_EEENSH_IJSG_SG_EEES6_PlJNSB_9not_fun_tI7is_trueItEEEEEE10hipError_tPvRmT3_T4_T5_T6_T7_T9_mT8_P12ihipStream_tbDpT10_ENKUlT_T0_E_clISt17integral_constantIbLb0EES18_EEDaS13_S14_EUlS13_E_NS1_11comp_targetILNS1_3genE8ELNS1_11target_archE1030ELNS1_3gpuE2ELNS1_3repE0EEENS1_30default_config_static_selectorELNS0_4arch9wavefront6targetE0EEEvT1_: ; @_ZN7rocprim17ROCPRIM_400000_NS6detail17trampoline_kernelINS0_14default_configENS1_25partition_config_selectorILNS1_17partition_subalgoE6EtNS0_10empty_typeEbEEZZNS1_14partition_implILS5_6ELb0ES3_mN6thrust23THRUST_200600_302600_NS6detail15normal_iteratorINSA_10device_ptrItEEEEPS6_SG_NS0_5tupleIJSF_S6_EEENSH_IJSG_SG_EEES6_PlJNSB_9not_fun_tI7is_trueItEEEEEE10hipError_tPvRmT3_T4_T5_T6_T7_T9_mT8_P12ihipStream_tbDpT10_ENKUlT_T0_E_clISt17integral_constantIbLb0EES18_EEDaS13_S14_EUlS13_E_NS1_11comp_targetILNS1_3genE8ELNS1_11target_archE1030ELNS1_3gpuE2ELNS1_3repE0EEENS1_30default_config_static_selectorELNS0_4arch9wavefront6targetE0EEEvT1_
; %bb.0:
	.section	.rodata,"a",@progbits
	.p2align	6, 0x0
	.amdhsa_kernel _ZN7rocprim17ROCPRIM_400000_NS6detail17trampoline_kernelINS0_14default_configENS1_25partition_config_selectorILNS1_17partition_subalgoE6EtNS0_10empty_typeEbEEZZNS1_14partition_implILS5_6ELb0ES3_mN6thrust23THRUST_200600_302600_NS6detail15normal_iteratorINSA_10device_ptrItEEEEPS6_SG_NS0_5tupleIJSF_S6_EEENSH_IJSG_SG_EEES6_PlJNSB_9not_fun_tI7is_trueItEEEEEE10hipError_tPvRmT3_T4_T5_T6_T7_T9_mT8_P12ihipStream_tbDpT10_ENKUlT_T0_E_clISt17integral_constantIbLb0EES18_EEDaS13_S14_EUlS13_E_NS1_11comp_targetILNS1_3genE8ELNS1_11target_archE1030ELNS1_3gpuE2ELNS1_3repE0EEENS1_30default_config_static_selectorELNS0_4arch9wavefront6targetE0EEEvT1_
		.amdhsa_group_segment_fixed_size 0
		.amdhsa_private_segment_fixed_size 0
		.amdhsa_kernarg_size 112
		.amdhsa_user_sgpr_count 2
		.amdhsa_user_sgpr_dispatch_ptr 0
		.amdhsa_user_sgpr_queue_ptr 0
		.amdhsa_user_sgpr_kernarg_segment_ptr 1
		.amdhsa_user_sgpr_dispatch_id 0
		.amdhsa_user_sgpr_private_segment_size 0
		.amdhsa_wavefront_size32 1
		.amdhsa_uses_dynamic_stack 0
		.amdhsa_enable_private_segment 0
		.amdhsa_system_sgpr_workgroup_id_x 1
		.amdhsa_system_sgpr_workgroup_id_y 0
		.amdhsa_system_sgpr_workgroup_id_z 0
		.amdhsa_system_sgpr_workgroup_info 0
		.amdhsa_system_vgpr_workitem_id 0
		.amdhsa_next_free_vgpr 1
		.amdhsa_next_free_sgpr 1
		.amdhsa_reserve_vcc 0
		.amdhsa_float_round_mode_32 0
		.amdhsa_float_round_mode_16_64 0
		.amdhsa_float_denorm_mode_32 3
		.amdhsa_float_denorm_mode_16_64 3
		.amdhsa_fp16_overflow 0
		.amdhsa_workgroup_processor_mode 1
		.amdhsa_memory_ordered 1
		.amdhsa_forward_progress 1
		.amdhsa_inst_pref_size 0
		.amdhsa_round_robin_scheduling 0
		.amdhsa_exception_fp_ieee_invalid_op 0
		.amdhsa_exception_fp_denorm_src 0
		.amdhsa_exception_fp_ieee_div_zero 0
		.amdhsa_exception_fp_ieee_overflow 0
		.amdhsa_exception_fp_ieee_underflow 0
		.amdhsa_exception_fp_ieee_inexact 0
		.amdhsa_exception_int_div_zero 0
	.end_amdhsa_kernel
	.section	.text._ZN7rocprim17ROCPRIM_400000_NS6detail17trampoline_kernelINS0_14default_configENS1_25partition_config_selectorILNS1_17partition_subalgoE6EtNS0_10empty_typeEbEEZZNS1_14partition_implILS5_6ELb0ES3_mN6thrust23THRUST_200600_302600_NS6detail15normal_iteratorINSA_10device_ptrItEEEEPS6_SG_NS0_5tupleIJSF_S6_EEENSH_IJSG_SG_EEES6_PlJNSB_9not_fun_tI7is_trueItEEEEEE10hipError_tPvRmT3_T4_T5_T6_T7_T9_mT8_P12ihipStream_tbDpT10_ENKUlT_T0_E_clISt17integral_constantIbLb0EES18_EEDaS13_S14_EUlS13_E_NS1_11comp_targetILNS1_3genE8ELNS1_11target_archE1030ELNS1_3gpuE2ELNS1_3repE0EEENS1_30default_config_static_selectorELNS0_4arch9wavefront6targetE0EEEvT1_,"axG",@progbits,_ZN7rocprim17ROCPRIM_400000_NS6detail17trampoline_kernelINS0_14default_configENS1_25partition_config_selectorILNS1_17partition_subalgoE6EtNS0_10empty_typeEbEEZZNS1_14partition_implILS5_6ELb0ES3_mN6thrust23THRUST_200600_302600_NS6detail15normal_iteratorINSA_10device_ptrItEEEEPS6_SG_NS0_5tupleIJSF_S6_EEENSH_IJSG_SG_EEES6_PlJNSB_9not_fun_tI7is_trueItEEEEEE10hipError_tPvRmT3_T4_T5_T6_T7_T9_mT8_P12ihipStream_tbDpT10_ENKUlT_T0_E_clISt17integral_constantIbLb0EES18_EEDaS13_S14_EUlS13_E_NS1_11comp_targetILNS1_3genE8ELNS1_11target_archE1030ELNS1_3gpuE2ELNS1_3repE0EEENS1_30default_config_static_selectorELNS0_4arch9wavefront6targetE0EEEvT1_,comdat
.Lfunc_end1180:
	.size	_ZN7rocprim17ROCPRIM_400000_NS6detail17trampoline_kernelINS0_14default_configENS1_25partition_config_selectorILNS1_17partition_subalgoE6EtNS0_10empty_typeEbEEZZNS1_14partition_implILS5_6ELb0ES3_mN6thrust23THRUST_200600_302600_NS6detail15normal_iteratorINSA_10device_ptrItEEEEPS6_SG_NS0_5tupleIJSF_S6_EEENSH_IJSG_SG_EEES6_PlJNSB_9not_fun_tI7is_trueItEEEEEE10hipError_tPvRmT3_T4_T5_T6_T7_T9_mT8_P12ihipStream_tbDpT10_ENKUlT_T0_E_clISt17integral_constantIbLb0EES18_EEDaS13_S14_EUlS13_E_NS1_11comp_targetILNS1_3genE8ELNS1_11target_archE1030ELNS1_3gpuE2ELNS1_3repE0EEENS1_30default_config_static_selectorELNS0_4arch9wavefront6targetE0EEEvT1_, .Lfunc_end1180-_ZN7rocprim17ROCPRIM_400000_NS6detail17trampoline_kernelINS0_14default_configENS1_25partition_config_selectorILNS1_17partition_subalgoE6EtNS0_10empty_typeEbEEZZNS1_14partition_implILS5_6ELb0ES3_mN6thrust23THRUST_200600_302600_NS6detail15normal_iteratorINSA_10device_ptrItEEEEPS6_SG_NS0_5tupleIJSF_S6_EEENSH_IJSG_SG_EEES6_PlJNSB_9not_fun_tI7is_trueItEEEEEE10hipError_tPvRmT3_T4_T5_T6_T7_T9_mT8_P12ihipStream_tbDpT10_ENKUlT_T0_E_clISt17integral_constantIbLb0EES18_EEDaS13_S14_EUlS13_E_NS1_11comp_targetILNS1_3genE8ELNS1_11target_archE1030ELNS1_3gpuE2ELNS1_3repE0EEENS1_30default_config_static_selectorELNS0_4arch9wavefront6targetE0EEEvT1_
                                        ; -- End function
	.set _ZN7rocprim17ROCPRIM_400000_NS6detail17trampoline_kernelINS0_14default_configENS1_25partition_config_selectorILNS1_17partition_subalgoE6EtNS0_10empty_typeEbEEZZNS1_14partition_implILS5_6ELb0ES3_mN6thrust23THRUST_200600_302600_NS6detail15normal_iteratorINSA_10device_ptrItEEEEPS6_SG_NS0_5tupleIJSF_S6_EEENSH_IJSG_SG_EEES6_PlJNSB_9not_fun_tI7is_trueItEEEEEE10hipError_tPvRmT3_T4_T5_T6_T7_T9_mT8_P12ihipStream_tbDpT10_ENKUlT_T0_E_clISt17integral_constantIbLb0EES18_EEDaS13_S14_EUlS13_E_NS1_11comp_targetILNS1_3genE8ELNS1_11target_archE1030ELNS1_3gpuE2ELNS1_3repE0EEENS1_30default_config_static_selectorELNS0_4arch9wavefront6targetE0EEEvT1_.num_vgpr, 0
	.set _ZN7rocprim17ROCPRIM_400000_NS6detail17trampoline_kernelINS0_14default_configENS1_25partition_config_selectorILNS1_17partition_subalgoE6EtNS0_10empty_typeEbEEZZNS1_14partition_implILS5_6ELb0ES3_mN6thrust23THRUST_200600_302600_NS6detail15normal_iteratorINSA_10device_ptrItEEEEPS6_SG_NS0_5tupleIJSF_S6_EEENSH_IJSG_SG_EEES6_PlJNSB_9not_fun_tI7is_trueItEEEEEE10hipError_tPvRmT3_T4_T5_T6_T7_T9_mT8_P12ihipStream_tbDpT10_ENKUlT_T0_E_clISt17integral_constantIbLb0EES18_EEDaS13_S14_EUlS13_E_NS1_11comp_targetILNS1_3genE8ELNS1_11target_archE1030ELNS1_3gpuE2ELNS1_3repE0EEENS1_30default_config_static_selectorELNS0_4arch9wavefront6targetE0EEEvT1_.num_agpr, 0
	.set _ZN7rocprim17ROCPRIM_400000_NS6detail17trampoline_kernelINS0_14default_configENS1_25partition_config_selectorILNS1_17partition_subalgoE6EtNS0_10empty_typeEbEEZZNS1_14partition_implILS5_6ELb0ES3_mN6thrust23THRUST_200600_302600_NS6detail15normal_iteratorINSA_10device_ptrItEEEEPS6_SG_NS0_5tupleIJSF_S6_EEENSH_IJSG_SG_EEES6_PlJNSB_9not_fun_tI7is_trueItEEEEEE10hipError_tPvRmT3_T4_T5_T6_T7_T9_mT8_P12ihipStream_tbDpT10_ENKUlT_T0_E_clISt17integral_constantIbLb0EES18_EEDaS13_S14_EUlS13_E_NS1_11comp_targetILNS1_3genE8ELNS1_11target_archE1030ELNS1_3gpuE2ELNS1_3repE0EEENS1_30default_config_static_selectorELNS0_4arch9wavefront6targetE0EEEvT1_.numbered_sgpr, 0
	.set _ZN7rocprim17ROCPRIM_400000_NS6detail17trampoline_kernelINS0_14default_configENS1_25partition_config_selectorILNS1_17partition_subalgoE6EtNS0_10empty_typeEbEEZZNS1_14partition_implILS5_6ELb0ES3_mN6thrust23THRUST_200600_302600_NS6detail15normal_iteratorINSA_10device_ptrItEEEEPS6_SG_NS0_5tupleIJSF_S6_EEENSH_IJSG_SG_EEES6_PlJNSB_9not_fun_tI7is_trueItEEEEEE10hipError_tPvRmT3_T4_T5_T6_T7_T9_mT8_P12ihipStream_tbDpT10_ENKUlT_T0_E_clISt17integral_constantIbLb0EES18_EEDaS13_S14_EUlS13_E_NS1_11comp_targetILNS1_3genE8ELNS1_11target_archE1030ELNS1_3gpuE2ELNS1_3repE0EEENS1_30default_config_static_selectorELNS0_4arch9wavefront6targetE0EEEvT1_.num_named_barrier, 0
	.set _ZN7rocprim17ROCPRIM_400000_NS6detail17trampoline_kernelINS0_14default_configENS1_25partition_config_selectorILNS1_17partition_subalgoE6EtNS0_10empty_typeEbEEZZNS1_14partition_implILS5_6ELb0ES3_mN6thrust23THRUST_200600_302600_NS6detail15normal_iteratorINSA_10device_ptrItEEEEPS6_SG_NS0_5tupleIJSF_S6_EEENSH_IJSG_SG_EEES6_PlJNSB_9not_fun_tI7is_trueItEEEEEE10hipError_tPvRmT3_T4_T5_T6_T7_T9_mT8_P12ihipStream_tbDpT10_ENKUlT_T0_E_clISt17integral_constantIbLb0EES18_EEDaS13_S14_EUlS13_E_NS1_11comp_targetILNS1_3genE8ELNS1_11target_archE1030ELNS1_3gpuE2ELNS1_3repE0EEENS1_30default_config_static_selectorELNS0_4arch9wavefront6targetE0EEEvT1_.private_seg_size, 0
	.set _ZN7rocprim17ROCPRIM_400000_NS6detail17trampoline_kernelINS0_14default_configENS1_25partition_config_selectorILNS1_17partition_subalgoE6EtNS0_10empty_typeEbEEZZNS1_14partition_implILS5_6ELb0ES3_mN6thrust23THRUST_200600_302600_NS6detail15normal_iteratorINSA_10device_ptrItEEEEPS6_SG_NS0_5tupleIJSF_S6_EEENSH_IJSG_SG_EEES6_PlJNSB_9not_fun_tI7is_trueItEEEEEE10hipError_tPvRmT3_T4_T5_T6_T7_T9_mT8_P12ihipStream_tbDpT10_ENKUlT_T0_E_clISt17integral_constantIbLb0EES18_EEDaS13_S14_EUlS13_E_NS1_11comp_targetILNS1_3genE8ELNS1_11target_archE1030ELNS1_3gpuE2ELNS1_3repE0EEENS1_30default_config_static_selectorELNS0_4arch9wavefront6targetE0EEEvT1_.uses_vcc, 0
	.set _ZN7rocprim17ROCPRIM_400000_NS6detail17trampoline_kernelINS0_14default_configENS1_25partition_config_selectorILNS1_17partition_subalgoE6EtNS0_10empty_typeEbEEZZNS1_14partition_implILS5_6ELb0ES3_mN6thrust23THRUST_200600_302600_NS6detail15normal_iteratorINSA_10device_ptrItEEEEPS6_SG_NS0_5tupleIJSF_S6_EEENSH_IJSG_SG_EEES6_PlJNSB_9not_fun_tI7is_trueItEEEEEE10hipError_tPvRmT3_T4_T5_T6_T7_T9_mT8_P12ihipStream_tbDpT10_ENKUlT_T0_E_clISt17integral_constantIbLb0EES18_EEDaS13_S14_EUlS13_E_NS1_11comp_targetILNS1_3genE8ELNS1_11target_archE1030ELNS1_3gpuE2ELNS1_3repE0EEENS1_30default_config_static_selectorELNS0_4arch9wavefront6targetE0EEEvT1_.uses_flat_scratch, 0
	.set _ZN7rocprim17ROCPRIM_400000_NS6detail17trampoline_kernelINS0_14default_configENS1_25partition_config_selectorILNS1_17partition_subalgoE6EtNS0_10empty_typeEbEEZZNS1_14partition_implILS5_6ELb0ES3_mN6thrust23THRUST_200600_302600_NS6detail15normal_iteratorINSA_10device_ptrItEEEEPS6_SG_NS0_5tupleIJSF_S6_EEENSH_IJSG_SG_EEES6_PlJNSB_9not_fun_tI7is_trueItEEEEEE10hipError_tPvRmT3_T4_T5_T6_T7_T9_mT8_P12ihipStream_tbDpT10_ENKUlT_T0_E_clISt17integral_constantIbLb0EES18_EEDaS13_S14_EUlS13_E_NS1_11comp_targetILNS1_3genE8ELNS1_11target_archE1030ELNS1_3gpuE2ELNS1_3repE0EEENS1_30default_config_static_selectorELNS0_4arch9wavefront6targetE0EEEvT1_.has_dyn_sized_stack, 0
	.set _ZN7rocprim17ROCPRIM_400000_NS6detail17trampoline_kernelINS0_14default_configENS1_25partition_config_selectorILNS1_17partition_subalgoE6EtNS0_10empty_typeEbEEZZNS1_14partition_implILS5_6ELb0ES3_mN6thrust23THRUST_200600_302600_NS6detail15normal_iteratorINSA_10device_ptrItEEEEPS6_SG_NS0_5tupleIJSF_S6_EEENSH_IJSG_SG_EEES6_PlJNSB_9not_fun_tI7is_trueItEEEEEE10hipError_tPvRmT3_T4_T5_T6_T7_T9_mT8_P12ihipStream_tbDpT10_ENKUlT_T0_E_clISt17integral_constantIbLb0EES18_EEDaS13_S14_EUlS13_E_NS1_11comp_targetILNS1_3genE8ELNS1_11target_archE1030ELNS1_3gpuE2ELNS1_3repE0EEENS1_30default_config_static_selectorELNS0_4arch9wavefront6targetE0EEEvT1_.has_recursion, 0
	.set _ZN7rocprim17ROCPRIM_400000_NS6detail17trampoline_kernelINS0_14default_configENS1_25partition_config_selectorILNS1_17partition_subalgoE6EtNS0_10empty_typeEbEEZZNS1_14partition_implILS5_6ELb0ES3_mN6thrust23THRUST_200600_302600_NS6detail15normal_iteratorINSA_10device_ptrItEEEEPS6_SG_NS0_5tupleIJSF_S6_EEENSH_IJSG_SG_EEES6_PlJNSB_9not_fun_tI7is_trueItEEEEEE10hipError_tPvRmT3_T4_T5_T6_T7_T9_mT8_P12ihipStream_tbDpT10_ENKUlT_T0_E_clISt17integral_constantIbLb0EES18_EEDaS13_S14_EUlS13_E_NS1_11comp_targetILNS1_3genE8ELNS1_11target_archE1030ELNS1_3gpuE2ELNS1_3repE0EEENS1_30default_config_static_selectorELNS0_4arch9wavefront6targetE0EEEvT1_.has_indirect_call, 0
	.section	.AMDGPU.csdata,"",@progbits
; Kernel info:
; codeLenInByte = 0
; TotalNumSgprs: 0
; NumVgprs: 0
; ScratchSize: 0
; MemoryBound: 0
; FloatMode: 240
; IeeeMode: 1
; LDSByteSize: 0 bytes/workgroup (compile time only)
; SGPRBlocks: 0
; VGPRBlocks: 0
; NumSGPRsForWavesPerEU: 1
; NumVGPRsForWavesPerEU: 1
; Occupancy: 16
; WaveLimiterHint : 0
; COMPUTE_PGM_RSRC2:SCRATCH_EN: 0
; COMPUTE_PGM_RSRC2:USER_SGPR: 2
; COMPUTE_PGM_RSRC2:TRAP_HANDLER: 0
; COMPUTE_PGM_RSRC2:TGID_X_EN: 1
; COMPUTE_PGM_RSRC2:TGID_Y_EN: 0
; COMPUTE_PGM_RSRC2:TGID_Z_EN: 0
; COMPUTE_PGM_RSRC2:TIDIG_COMP_CNT: 0
	.section	.text._ZN7rocprim17ROCPRIM_400000_NS6detail17trampoline_kernelINS0_14default_configENS1_25partition_config_selectorILNS1_17partition_subalgoE6EtNS0_10empty_typeEbEEZZNS1_14partition_implILS5_6ELb0ES3_mN6thrust23THRUST_200600_302600_NS6detail15normal_iteratorINSA_10device_ptrItEEEEPS6_SG_NS0_5tupleIJSF_S6_EEENSH_IJSG_SG_EEES6_PlJNSB_9not_fun_tI7is_trueItEEEEEE10hipError_tPvRmT3_T4_T5_T6_T7_T9_mT8_P12ihipStream_tbDpT10_ENKUlT_T0_E_clISt17integral_constantIbLb1EES18_EEDaS13_S14_EUlS13_E_NS1_11comp_targetILNS1_3genE0ELNS1_11target_archE4294967295ELNS1_3gpuE0ELNS1_3repE0EEENS1_30default_config_static_selectorELNS0_4arch9wavefront6targetE0EEEvT1_,"axG",@progbits,_ZN7rocprim17ROCPRIM_400000_NS6detail17trampoline_kernelINS0_14default_configENS1_25partition_config_selectorILNS1_17partition_subalgoE6EtNS0_10empty_typeEbEEZZNS1_14partition_implILS5_6ELb0ES3_mN6thrust23THRUST_200600_302600_NS6detail15normal_iteratorINSA_10device_ptrItEEEEPS6_SG_NS0_5tupleIJSF_S6_EEENSH_IJSG_SG_EEES6_PlJNSB_9not_fun_tI7is_trueItEEEEEE10hipError_tPvRmT3_T4_T5_T6_T7_T9_mT8_P12ihipStream_tbDpT10_ENKUlT_T0_E_clISt17integral_constantIbLb1EES18_EEDaS13_S14_EUlS13_E_NS1_11comp_targetILNS1_3genE0ELNS1_11target_archE4294967295ELNS1_3gpuE0ELNS1_3repE0EEENS1_30default_config_static_selectorELNS0_4arch9wavefront6targetE0EEEvT1_,comdat
	.protected	_ZN7rocprim17ROCPRIM_400000_NS6detail17trampoline_kernelINS0_14default_configENS1_25partition_config_selectorILNS1_17partition_subalgoE6EtNS0_10empty_typeEbEEZZNS1_14partition_implILS5_6ELb0ES3_mN6thrust23THRUST_200600_302600_NS6detail15normal_iteratorINSA_10device_ptrItEEEEPS6_SG_NS0_5tupleIJSF_S6_EEENSH_IJSG_SG_EEES6_PlJNSB_9not_fun_tI7is_trueItEEEEEE10hipError_tPvRmT3_T4_T5_T6_T7_T9_mT8_P12ihipStream_tbDpT10_ENKUlT_T0_E_clISt17integral_constantIbLb1EES18_EEDaS13_S14_EUlS13_E_NS1_11comp_targetILNS1_3genE0ELNS1_11target_archE4294967295ELNS1_3gpuE0ELNS1_3repE0EEENS1_30default_config_static_selectorELNS0_4arch9wavefront6targetE0EEEvT1_ ; -- Begin function _ZN7rocprim17ROCPRIM_400000_NS6detail17trampoline_kernelINS0_14default_configENS1_25partition_config_selectorILNS1_17partition_subalgoE6EtNS0_10empty_typeEbEEZZNS1_14partition_implILS5_6ELb0ES3_mN6thrust23THRUST_200600_302600_NS6detail15normal_iteratorINSA_10device_ptrItEEEEPS6_SG_NS0_5tupleIJSF_S6_EEENSH_IJSG_SG_EEES6_PlJNSB_9not_fun_tI7is_trueItEEEEEE10hipError_tPvRmT3_T4_T5_T6_T7_T9_mT8_P12ihipStream_tbDpT10_ENKUlT_T0_E_clISt17integral_constantIbLb1EES18_EEDaS13_S14_EUlS13_E_NS1_11comp_targetILNS1_3genE0ELNS1_11target_archE4294967295ELNS1_3gpuE0ELNS1_3repE0EEENS1_30default_config_static_selectorELNS0_4arch9wavefront6targetE0EEEvT1_
	.globl	_ZN7rocprim17ROCPRIM_400000_NS6detail17trampoline_kernelINS0_14default_configENS1_25partition_config_selectorILNS1_17partition_subalgoE6EtNS0_10empty_typeEbEEZZNS1_14partition_implILS5_6ELb0ES3_mN6thrust23THRUST_200600_302600_NS6detail15normal_iteratorINSA_10device_ptrItEEEEPS6_SG_NS0_5tupleIJSF_S6_EEENSH_IJSG_SG_EEES6_PlJNSB_9not_fun_tI7is_trueItEEEEEE10hipError_tPvRmT3_T4_T5_T6_T7_T9_mT8_P12ihipStream_tbDpT10_ENKUlT_T0_E_clISt17integral_constantIbLb1EES18_EEDaS13_S14_EUlS13_E_NS1_11comp_targetILNS1_3genE0ELNS1_11target_archE4294967295ELNS1_3gpuE0ELNS1_3repE0EEENS1_30default_config_static_selectorELNS0_4arch9wavefront6targetE0EEEvT1_
	.p2align	8
	.type	_ZN7rocprim17ROCPRIM_400000_NS6detail17trampoline_kernelINS0_14default_configENS1_25partition_config_selectorILNS1_17partition_subalgoE6EtNS0_10empty_typeEbEEZZNS1_14partition_implILS5_6ELb0ES3_mN6thrust23THRUST_200600_302600_NS6detail15normal_iteratorINSA_10device_ptrItEEEEPS6_SG_NS0_5tupleIJSF_S6_EEENSH_IJSG_SG_EEES6_PlJNSB_9not_fun_tI7is_trueItEEEEEE10hipError_tPvRmT3_T4_T5_T6_T7_T9_mT8_P12ihipStream_tbDpT10_ENKUlT_T0_E_clISt17integral_constantIbLb1EES18_EEDaS13_S14_EUlS13_E_NS1_11comp_targetILNS1_3genE0ELNS1_11target_archE4294967295ELNS1_3gpuE0ELNS1_3repE0EEENS1_30default_config_static_selectorELNS0_4arch9wavefront6targetE0EEEvT1_,@function
_ZN7rocprim17ROCPRIM_400000_NS6detail17trampoline_kernelINS0_14default_configENS1_25partition_config_selectorILNS1_17partition_subalgoE6EtNS0_10empty_typeEbEEZZNS1_14partition_implILS5_6ELb0ES3_mN6thrust23THRUST_200600_302600_NS6detail15normal_iteratorINSA_10device_ptrItEEEEPS6_SG_NS0_5tupleIJSF_S6_EEENSH_IJSG_SG_EEES6_PlJNSB_9not_fun_tI7is_trueItEEEEEE10hipError_tPvRmT3_T4_T5_T6_T7_T9_mT8_P12ihipStream_tbDpT10_ENKUlT_T0_E_clISt17integral_constantIbLb1EES18_EEDaS13_S14_EUlS13_E_NS1_11comp_targetILNS1_3genE0ELNS1_11target_archE4294967295ELNS1_3gpuE0ELNS1_3repE0EEENS1_30default_config_static_selectorELNS0_4arch9wavefront6targetE0EEEvT1_: ; @_ZN7rocprim17ROCPRIM_400000_NS6detail17trampoline_kernelINS0_14default_configENS1_25partition_config_selectorILNS1_17partition_subalgoE6EtNS0_10empty_typeEbEEZZNS1_14partition_implILS5_6ELb0ES3_mN6thrust23THRUST_200600_302600_NS6detail15normal_iteratorINSA_10device_ptrItEEEEPS6_SG_NS0_5tupleIJSF_S6_EEENSH_IJSG_SG_EEES6_PlJNSB_9not_fun_tI7is_trueItEEEEEE10hipError_tPvRmT3_T4_T5_T6_T7_T9_mT8_P12ihipStream_tbDpT10_ENKUlT_T0_E_clISt17integral_constantIbLb1EES18_EEDaS13_S14_EUlS13_E_NS1_11comp_targetILNS1_3genE0ELNS1_11target_archE4294967295ELNS1_3gpuE0ELNS1_3repE0EEENS1_30default_config_static_selectorELNS0_4arch9wavefront6targetE0EEEvT1_
; %bb.0:
	.section	.rodata,"a",@progbits
	.p2align	6, 0x0
	.amdhsa_kernel _ZN7rocprim17ROCPRIM_400000_NS6detail17trampoline_kernelINS0_14default_configENS1_25partition_config_selectorILNS1_17partition_subalgoE6EtNS0_10empty_typeEbEEZZNS1_14partition_implILS5_6ELb0ES3_mN6thrust23THRUST_200600_302600_NS6detail15normal_iteratorINSA_10device_ptrItEEEEPS6_SG_NS0_5tupleIJSF_S6_EEENSH_IJSG_SG_EEES6_PlJNSB_9not_fun_tI7is_trueItEEEEEE10hipError_tPvRmT3_T4_T5_T6_T7_T9_mT8_P12ihipStream_tbDpT10_ENKUlT_T0_E_clISt17integral_constantIbLb1EES18_EEDaS13_S14_EUlS13_E_NS1_11comp_targetILNS1_3genE0ELNS1_11target_archE4294967295ELNS1_3gpuE0ELNS1_3repE0EEENS1_30default_config_static_selectorELNS0_4arch9wavefront6targetE0EEEvT1_
		.amdhsa_group_segment_fixed_size 0
		.amdhsa_private_segment_fixed_size 0
		.amdhsa_kernarg_size 128
		.amdhsa_user_sgpr_count 2
		.amdhsa_user_sgpr_dispatch_ptr 0
		.amdhsa_user_sgpr_queue_ptr 0
		.amdhsa_user_sgpr_kernarg_segment_ptr 1
		.amdhsa_user_sgpr_dispatch_id 0
		.amdhsa_user_sgpr_private_segment_size 0
		.amdhsa_wavefront_size32 1
		.amdhsa_uses_dynamic_stack 0
		.amdhsa_enable_private_segment 0
		.amdhsa_system_sgpr_workgroup_id_x 1
		.amdhsa_system_sgpr_workgroup_id_y 0
		.amdhsa_system_sgpr_workgroup_id_z 0
		.amdhsa_system_sgpr_workgroup_info 0
		.amdhsa_system_vgpr_workitem_id 0
		.amdhsa_next_free_vgpr 1
		.amdhsa_next_free_sgpr 1
		.amdhsa_reserve_vcc 0
		.amdhsa_float_round_mode_32 0
		.amdhsa_float_round_mode_16_64 0
		.amdhsa_float_denorm_mode_32 3
		.amdhsa_float_denorm_mode_16_64 3
		.amdhsa_fp16_overflow 0
		.amdhsa_workgroup_processor_mode 1
		.amdhsa_memory_ordered 1
		.amdhsa_forward_progress 1
		.amdhsa_inst_pref_size 0
		.amdhsa_round_robin_scheduling 0
		.amdhsa_exception_fp_ieee_invalid_op 0
		.amdhsa_exception_fp_denorm_src 0
		.amdhsa_exception_fp_ieee_div_zero 0
		.amdhsa_exception_fp_ieee_overflow 0
		.amdhsa_exception_fp_ieee_underflow 0
		.amdhsa_exception_fp_ieee_inexact 0
		.amdhsa_exception_int_div_zero 0
	.end_amdhsa_kernel
	.section	.text._ZN7rocprim17ROCPRIM_400000_NS6detail17trampoline_kernelINS0_14default_configENS1_25partition_config_selectorILNS1_17partition_subalgoE6EtNS0_10empty_typeEbEEZZNS1_14partition_implILS5_6ELb0ES3_mN6thrust23THRUST_200600_302600_NS6detail15normal_iteratorINSA_10device_ptrItEEEEPS6_SG_NS0_5tupleIJSF_S6_EEENSH_IJSG_SG_EEES6_PlJNSB_9not_fun_tI7is_trueItEEEEEE10hipError_tPvRmT3_T4_T5_T6_T7_T9_mT8_P12ihipStream_tbDpT10_ENKUlT_T0_E_clISt17integral_constantIbLb1EES18_EEDaS13_S14_EUlS13_E_NS1_11comp_targetILNS1_3genE0ELNS1_11target_archE4294967295ELNS1_3gpuE0ELNS1_3repE0EEENS1_30default_config_static_selectorELNS0_4arch9wavefront6targetE0EEEvT1_,"axG",@progbits,_ZN7rocprim17ROCPRIM_400000_NS6detail17trampoline_kernelINS0_14default_configENS1_25partition_config_selectorILNS1_17partition_subalgoE6EtNS0_10empty_typeEbEEZZNS1_14partition_implILS5_6ELb0ES3_mN6thrust23THRUST_200600_302600_NS6detail15normal_iteratorINSA_10device_ptrItEEEEPS6_SG_NS0_5tupleIJSF_S6_EEENSH_IJSG_SG_EEES6_PlJNSB_9not_fun_tI7is_trueItEEEEEE10hipError_tPvRmT3_T4_T5_T6_T7_T9_mT8_P12ihipStream_tbDpT10_ENKUlT_T0_E_clISt17integral_constantIbLb1EES18_EEDaS13_S14_EUlS13_E_NS1_11comp_targetILNS1_3genE0ELNS1_11target_archE4294967295ELNS1_3gpuE0ELNS1_3repE0EEENS1_30default_config_static_selectorELNS0_4arch9wavefront6targetE0EEEvT1_,comdat
.Lfunc_end1181:
	.size	_ZN7rocprim17ROCPRIM_400000_NS6detail17trampoline_kernelINS0_14default_configENS1_25partition_config_selectorILNS1_17partition_subalgoE6EtNS0_10empty_typeEbEEZZNS1_14partition_implILS5_6ELb0ES3_mN6thrust23THRUST_200600_302600_NS6detail15normal_iteratorINSA_10device_ptrItEEEEPS6_SG_NS0_5tupleIJSF_S6_EEENSH_IJSG_SG_EEES6_PlJNSB_9not_fun_tI7is_trueItEEEEEE10hipError_tPvRmT3_T4_T5_T6_T7_T9_mT8_P12ihipStream_tbDpT10_ENKUlT_T0_E_clISt17integral_constantIbLb1EES18_EEDaS13_S14_EUlS13_E_NS1_11comp_targetILNS1_3genE0ELNS1_11target_archE4294967295ELNS1_3gpuE0ELNS1_3repE0EEENS1_30default_config_static_selectorELNS0_4arch9wavefront6targetE0EEEvT1_, .Lfunc_end1181-_ZN7rocprim17ROCPRIM_400000_NS6detail17trampoline_kernelINS0_14default_configENS1_25partition_config_selectorILNS1_17partition_subalgoE6EtNS0_10empty_typeEbEEZZNS1_14partition_implILS5_6ELb0ES3_mN6thrust23THRUST_200600_302600_NS6detail15normal_iteratorINSA_10device_ptrItEEEEPS6_SG_NS0_5tupleIJSF_S6_EEENSH_IJSG_SG_EEES6_PlJNSB_9not_fun_tI7is_trueItEEEEEE10hipError_tPvRmT3_T4_T5_T6_T7_T9_mT8_P12ihipStream_tbDpT10_ENKUlT_T0_E_clISt17integral_constantIbLb1EES18_EEDaS13_S14_EUlS13_E_NS1_11comp_targetILNS1_3genE0ELNS1_11target_archE4294967295ELNS1_3gpuE0ELNS1_3repE0EEENS1_30default_config_static_selectorELNS0_4arch9wavefront6targetE0EEEvT1_
                                        ; -- End function
	.set _ZN7rocprim17ROCPRIM_400000_NS6detail17trampoline_kernelINS0_14default_configENS1_25partition_config_selectorILNS1_17partition_subalgoE6EtNS0_10empty_typeEbEEZZNS1_14partition_implILS5_6ELb0ES3_mN6thrust23THRUST_200600_302600_NS6detail15normal_iteratorINSA_10device_ptrItEEEEPS6_SG_NS0_5tupleIJSF_S6_EEENSH_IJSG_SG_EEES6_PlJNSB_9not_fun_tI7is_trueItEEEEEE10hipError_tPvRmT3_T4_T5_T6_T7_T9_mT8_P12ihipStream_tbDpT10_ENKUlT_T0_E_clISt17integral_constantIbLb1EES18_EEDaS13_S14_EUlS13_E_NS1_11comp_targetILNS1_3genE0ELNS1_11target_archE4294967295ELNS1_3gpuE0ELNS1_3repE0EEENS1_30default_config_static_selectorELNS0_4arch9wavefront6targetE0EEEvT1_.num_vgpr, 0
	.set _ZN7rocprim17ROCPRIM_400000_NS6detail17trampoline_kernelINS0_14default_configENS1_25partition_config_selectorILNS1_17partition_subalgoE6EtNS0_10empty_typeEbEEZZNS1_14partition_implILS5_6ELb0ES3_mN6thrust23THRUST_200600_302600_NS6detail15normal_iteratorINSA_10device_ptrItEEEEPS6_SG_NS0_5tupleIJSF_S6_EEENSH_IJSG_SG_EEES6_PlJNSB_9not_fun_tI7is_trueItEEEEEE10hipError_tPvRmT3_T4_T5_T6_T7_T9_mT8_P12ihipStream_tbDpT10_ENKUlT_T0_E_clISt17integral_constantIbLb1EES18_EEDaS13_S14_EUlS13_E_NS1_11comp_targetILNS1_3genE0ELNS1_11target_archE4294967295ELNS1_3gpuE0ELNS1_3repE0EEENS1_30default_config_static_selectorELNS0_4arch9wavefront6targetE0EEEvT1_.num_agpr, 0
	.set _ZN7rocprim17ROCPRIM_400000_NS6detail17trampoline_kernelINS0_14default_configENS1_25partition_config_selectorILNS1_17partition_subalgoE6EtNS0_10empty_typeEbEEZZNS1_14partition_implILS5_6ELb0ES3_mN6thrust23THRUST_200600_302600_NS6detail15normal_iteratorINSA_10device_ptrItEEEEPS6_SG_NS0_5tupleIJSF_S6_EEENSH_IJSG_SG_EEES6_PlJNSB_9not_fun_tI7is_trueItEEEEEE10hipError_tPvRmT3_T4_T5_T6_T7_T9_mT8_P12ihipStream_tbDpT10_ENKUlT_T0_E_clISt17integral_constantIbLb1EES18_EEDaS13_S14_EUlS13_E_NS1_11comp_targetILNS1_3genE0ELNS1_11target_archE4294967295ELNS1_3gpuE0ELNS1_3repE0EEENS1_30default_config_static_selectorELNS0_4arch9wavefront6targetE0EEEvT1_.numbered_sgpr, 0
	.set _ZN7rocprim17ROCPRIM_400000_NS6detail17trampoline_kernelINS0_14default_configENS1_25partition_config_selectorILNS1_17partition_subalgoE6EtNS0_10empty_typeEbEEZZNS1_14partition_implILS5_6ELb0ES3_mN6thrust23THRUST_200600_302600_NS6detail15normal_iteratorINSA_10device_ptrItEEEEPS6_SG_NS0_5tupleIJSF_S6_EEENSH_IJSG_SG_EEES6_PlJNSB_9not_fun_tI7is_trueItEEEEEE10hipError_tPvRmT3_T4_T5_T6_T7_T9_mT8_P12ihipStream_tbDpT10_ENKUlT_T0_E_clISt17integral_constantIbLb1EES18_EEDaS13_S14_EUlS13_E_NS1_11comp_targetILNS1_3genE0ELNS1_11target_archE4294967295ELNS1_3gpuE0ELNS1_3repE0EEENS1_30default_config_static_selectorELNS0_4arch9wavefront6targetE0EEEvT1_.num_named_barrier, 0
	.set _ZN7rocprim17ROCPRIM_400000_NS6detail17trampoline_kernelINS0_14default_configENS1_25partition_config_selectorILNS1_17partition_subalgoE6EtNS0_10empty_typeEbEEZZNS1_14partition_implILS5_6ELb0ES3_mN6thrust23THRUST_200600_302600_NS6detail15normal_iteratorINSA_10device_ptrItEEEEPS6_SG_NS0_5tupleIJSF_S6_EEENSH_IJSG_SG_EEES6_PlJNSB_9not_fun_tI7is_trueItEEEEEE10hipError_tPvRmT3_T4_T5_T6_T7_T9_mT8_P12ihipStream_tbDpT10_ENKUlT_T0_E_clISt17integral_constantIbLb1EES18_EEDaS13_S14_EUlS13_E_NS1_11comp_targetILNS1_3genE0ELNS1_11target_archE4294967295ELNS1_3gpuE0ELNS1_3repE0EEENS1_30default_config_static_selectorELNS0_4arch9wavefront6targetE0EEEvT1_.private_seg_size, 0
	.set _ZN7rocprim17ROCPRIM_400000_NS6detail17trampoline_kernelINS0_14default_configENS1_25partition_config_selectorILNS1_17partition_subalgoE6EtNS0_10empty_typeEbEEZZNS1_14partition_implILS5_6ELb0ES3_mN6thrust23THRUST_200600_302600_NS6detail15normal_iteratorINSA_10device_ptrItEEEEPS6_SG_NS0_5tupleIJSF_S6_EEENSH_IJSG_SG_EEES6_PlJNSB_9not_fun_tI7is_trueItEEEEEE10hipError_tPvRmT3_T4_T5_T6_T7_T9_mT8_P12ihipStream_tbDpT10_ENKUlT_T0_E_clISt17integral_constantIbLb1EES18_EEDaS13_S14_EUlS13_E_NS1_11comp_targetILNS1_3genE0ELNS1_11target_archE4294967295ELNS1_3gpuE0ELNS1_3repE0EEENS1_30default_config_static_selectorELNS0_4arch9wavefront6targetE0EEEvT1_.uses_vcc, 0
	.set _ZN7rocprim17ROCPRIM_400000_NS6detail17trampoline_kernelINS0_14default_configENS1_25partition_config_selectorILNS1_17partition_subalgoE6EtNS0_10empty_typeEbEEZZNS1_14partition_implILS5_6ELb0ES3_mN6thrust23THRUST_200600_302600_NS6detail15normal_iteratorINSA_10device_ptrItEEEEPS6_SG_NS0_5tupleIJSF_S6_EEENSH_IJSG_SG_EEES6_PlJNSB_9not_fun_tI7is_trueItEEEEEE10hipError_tPvRmT3_T4_T5_T6_T7_T9_mT8_P12ihipStream_tbDpT10_ENKUlT_T0_E_clISt17integral_constantIbLb1EES18_EEDaS13_S14_EUlS13_E_NS1_11comp_targetILNS1_3genE0ELNS1_11target_archE4294967295ELNS1_3gpuE0ELNS1_3repE0EEENS1_30default_config_static_selectorELNS0_4arch9wavefront6targetE0EEEvT1_.uses_flat_scratch, 0
	.set _ZN7rocprim17ROCPRIM_400000_NS6detail17trampoline_kernelINS0_14default_configENS1_25partition_config_selectorILNS1_17partition_subalgoE6EtNS0_10empty_typeEbEEZZNS1_14partition_implILS5_6ELb0ES3_mN6thrust23THRUST_200600_302600_NS6detail15normal_iteratorINSA_10device_ptrItEEEEPS6_SG_NS0_5tupleIJSF_S6_EEENSH_IJSG_SG_EEES6_PlJNSB_9not_fun_tI7is_trueItEEEEEE10hipError_tPvRmT3_T4_T5_T6_T7_T9_mT8_P12ihipStream_tbDpT10_ENKUlT_T0_E_clISt17integral_constantIbLb1EES18_EEDaS13_S14_EUlS13_E_NS1_11comp_targetILNS1_3genE0ELNS1_11target_archE4294967295ELNS1_3gpuE0ELNS1_3repE0EEENS1_30default_config_static_selectorELNS0_4arch9wavefront6targetE0EEEvT1_.has_dyn_sized_stack, 0
	.set _ZN7rocprim17ROCPRIM_400000_NS6detail17trampoline_kernelINS0_14default_configENS1_25partition_config_selectorILNS1_17partition_subalgoE6EtNS0_10empty_typeEbEEZZNS1_14partition_implILS5_6ELb0ES3_mN6thrust23THRUST_200600_302600_NS6detail15normal_iteratorINSA_10device_ptrItEEEEPS6_SG_NS0_5tupleIJSF_S6_EEENSH_IJSG_SG_EEES6_PlJNSB_9not_fun_tI7is_trueItEEEEEE10hipError_tPvRmT3_T4_T5_T6_T7_T9_mT8_P12ihipStream_tbDpT10_ENKUlT_T0_E_clISt17integral_constantIbLb1EES18_EEDaS13_S14_EUlS13_E_NS1_11comp_targetILNS1_3genE0ELNS1_11target_archE4294967295ELNS1_3gpuE0ELNS1_3repE0EEENS1_30default_config_static_selectorELNS0_4arch9wavefront6targetE0EEEvT1_.has_recursion, 0
	.set _ZN7rocprim17ROCPRIM_400000_NS6detail17trampoline_kernelINS0_14default_configENS1_25partition_config_selectorILNS1_17partition_subalgoE6EtNS0_10empty_typeEbEEZZNS1_14partition_implILS5_6ELb0ES3_mN6thrust23THRUST_200600_302600_NS6detail15normal_iteratorINSA_10device_ptrItEEEEPS6_SG_NS0_5tupleIJSF_S6_EEENSH_IJSG_SG_EEES6_PlJNSB_9not_fun_tI7is_trueItEEEEEE10hipError_tPvRmT3_T4_T5_T6_T7_T9_mT8_P12ihipStream_tbDpT10_ENKUlT_T0_E_clISt17integral_constantIbLb1EES18_EEDaS13_S14_EUlS13_E_NS1_11comp_targetILNS1_3genE0ELNS1_11target_archE4294967295ELNS1_3gpuE0ELNS1_3repE0EEENS1_30default_config_static_selectorELNS0_4arch9wavefront6targetE0EEEvT1_.has_indirect_call, 0
	.section	.AMDGPU.csdata,"",@progbits
; Kernel info:
; codeLenInByte = 0
; TotalNumSgprs: 0
; NumVgprs: 0
; ScratchSize: 0
; MemoryBound: 0
; FloatMode: 240
; IeeeMode: 1
; LDSByteSize: 0 bytes/workgroup (compile time only)
; SGPRBlocks: 0
; VGPRBlocks: 0
; NumSGPRsForWavesPerEU: 1
; NumVGPRsForWavesPerEU: 1
; Occupancy: 16
; WaveLimiterHint : 0
; COMPUTE_PGM_RSRC2:SCRATCH_EN: 0
; COMPUTE_PGM_RSRC2:USER_SGPR: 2
; COMPUTE_PGM_RSRC2:TRAP_HANDLER: 0
; COMPUTE_PGM_RSRC2:TGID_X_EN: 1
; COMPUTE_PGM_RSRC2:TGID_Y_EN: 0
; COMPUTE_PGM_RSRC2:TGID_Z_EN: 0
; COMPUTE_PGM_RSRC2:TIDIG_COMP_CNT: 0
	.section	.text._ZN7rocprim17ROCPRIM_400000_NS6detail17trampoline_kernelINS0_14default_configENS1_25partition_config_selectorILNS1_17partition_subalgoE6EtNS0_10empty_typeEbEEZZNS1_14partition_implILS5_6ELb0ES3_mN6thrust23THRUST_200600_302600_NS6detail15normal_iteratorINSA_10device_ptrItEEEEPS6_SG_NS0_5tupleIJSF_S6_EEENSH_IJSG_SG_EEES6_PlJNSB_9not_fun_tI7is_trueItEEEEEE10hipError_tPvRmT3_T4_T5_T6_T7_T9_mT8_P12ihipStream_tbDpT10_ENKUlT_T0_E_clISt17integral_constantIbLb1EES18_EEDaS13_S14_EUlS13_E_NS1_11comp_targetILNS1_3genE5ELNS1_11target_archE942ELNS1_3gpuE9ELNS1_3repE0EEENS1_30default_config_static_selectorELNS0_4arch9wavefront6targetE0EEEvT1_,"axG",@progbits,_ZN7rocprim17ROCPRIM_400000_NS6detail17trampoline_kernelINS0_14default_configENS1_25partition_config_selectorILNS1_17partition_subalgoE6EtNS0_10empty_typeEbEEZZNS1_14partition_implILS5_6ELb0ES3_mN6thrust23THRUST_200600_302600_NS6detail15normal_iteratorINSA_10device_ptrItEEEEPS6_SG_NS0_5tupleIJSF_S6_EEENSH_IJSG_SG_EEES6_PlJNSB_9not_fun_tI7is_trueItEEEEEE10hipError_tPvRmT3_T4_T5_T6_T7_T9_mT8_P12ihipStream_tbDpT10_ENKUlT_T0_E_clISt17integral_constantIbLb1EES18_EEDaS13_S14_EUlS13_E_NS1_11comp_targetILNS1_3genE5ELNS1_11target_archE942ELNS1_3gpuE9ELNS1_3repE0EEENS1_30default_config_static_selectorELNS0_4arch9wavefront6targetE0EEEvT1_,comdat
	.protected	_ZN7rocprim17ROCPRIM_400000_NS6detail17trampoline_kernelINS0_14default_configENS1_25partition_config_selectorILNS1_17partition_subalgoE6EtNS0_10empty_typeEbEEZZNS1_14partition_implILS5_6ELb0ES3_mN6thrust23THRUST_200600_302600_NS6detail15normal_iteratorINSA_10device_ptrItEEEEPS6_SG_NS0_5tupleIJSF_S6_EEENSH_IJSG_SG_EEES6_PlJNSB_9not_fun_tI7is_trueItEEEEEE10hipError_tPvRmT3_T4_T5_T6_T7_T9_mT8_P12ihipStream_tbDpT10_ENKUlT_T0_E_clISt17integral_constantIbLb1EES18_EEDaS13_S14_EUlS13_E_NS1_11comp_targetILNS1_3genE5ELNS1_11target_archE942ELNS1_3gpuE9ELNS1_3repE0EEENS1_30default_config_static_selectorELNS0_4arch9wavefront6targetE0EEEvT1_ ; -- Begin function _ZN7rocprim17ROCPRIM_400000_NS6detail17trampoline_kernelINS0_14default_configENS1_25partition_config_selectorILNS1_17partition_subalgoE6EtNS0_10empty_typeEbEEZZNS1_14partition_implILS5_6ELb0ES3_mN6thrust23THRUST_200600_302600_NS6detail15normal_iteratorINSA_10device_ptrItEEEEPS6_SG_NS0_5tupleIJSF_S6_EEENSH_IJSG_SG_EEES6_PlJNSB_9not_fun_tI7is_trueItEEEEEE10hipError_tPvRmT3_T4_T5_T6_T7_T9_mT8_P12ihipStream_tbDpT10_ENKUlT_T0_E_clISt17integral_constantIbLb1EES18_EEDaS13_S14_EUlS13_E_NS1_11comp_targetILNS1_3genE5ELNS1_11target_archE942ELNS1_3gpuE9ELNS1_3repE0EEENS1_30default_config_static_selectorELNS0_4arch9wavefront6targetE0EEEvT1_
	.globl	_ZN7rocprim17ROCPRIM_400000_NS6detail17trampoline_kernelINS0_14default_configENS1_25partition_config_selectorILNS1_17partition_subalgoE6EtNS0_10empty_typeEbEEZZNS1_14partition_implILS5_6ELb0ES3_mN6thrust23THRUST_200600_302600_NS6detail15normal_iteratorINSA_10device_ptrItEEEEPS6_SG_NS0_5tupleIJSF_S6_EEENSH_IJSG_SG_EEES6_PlJNSB_9not_fun_tI7is_trueItEEEEEE10hipError_tPvRmT3_T4_T5_T6_T7_T9_mT8_P12ihipStream_tbDpT10_ENKUlT_T0_E_clISt17integral_constantIbLb1EES18_EEDaS13_S14_EUlS13_E_NS1_11comp_targetILNS1_3genE5ELNS1_11target_archE942ELNS1_3gpuE9ELNS1_3repE0EEENS1_30default_config_static_selectorELNS0_4arch9wavefront6targetE0EEEvT1_
	.p2align	8
	.type	_ZN7rocprim17ROCPRIM_400000_NS6detail17trampoline_kernelINS0_14default_configENS1_25partition_config_selectorILNS1_17partition_subalgoE6EtNS0_10empty_typeEbEEZZNS1_14partition_implILS5_6ELb0ES3_mN6thrust23THRUST_200600_302600_NS6detail15normal_iteratorINSA_10device_ptrItEEEEPS6_SG_NS0_5tupleIJSF_S6_EEENSH_IJSG_SG_EEES6_PlJNSB_9not_fun_tI7is_trueItEEEEEE10hipError_tPvRmT3_T4_T5_T6_T7_T9_mT8_P12ihipStream_tbDpT10_ENKUlT_T0_E_clISt17integral_constantIbLb1EES18_EEDaS13_S14_EUlS13_E_NS1_11comp_targetILNS1_3genE5ELNS1_11target_archE942ELNS1_3gpuE9ELNS1_3repE0EEENS1_30default_config_static_selectorELNS0_4arch9wavefront6targetE0EEEvT1_,@function
_ZN7rocprim17ROCPRIM_400000_NS6detail17trampoline_kernelINS0_14default_configENS1_25partition_config_selectorILNS1_17partition_subalgoE6EtNS0_10empty_typeEbEEZZNS1_14partition_implILS5_6ELb0ES3_mN6thrust23THRUST_200600_302600_NS6detail15normal_iteratorINSA_10device_ptrItEEEEPS6_SG_NS0_5tupleIJSF_S6_EEENSH_IJSG_SG_EEES6_PlJNSB_9not_fun_tI7is_trueItEEEEEE10hipError_tPvRmT3_T4_T5_T6_T7_T9_mT8_P12ihipStream_tbDpT10_ENKUlT_T0_E_clISt17integral_constantIbLb1EES18_EEDaS13_S14_EUlS13_E_NS1_11comp_targetILNS1_3genE5ELNS1_11target_archE942ELNS1_3gpuE9ELNS1_3repE0EEENS1_30default_config_static_selectorELNS0_4arch9wavefront6targetE0EEEvT1_: ; @_ZN7rocprim17ROCPRIM_400000_NS6detail17trampoline_kernelINS0_14default_configENS1_25partition_config_selectorILNS1_17partition_subalgoE6EtNS0_10empty_typeEbEEZZNS1_14partition_implILS5_6ELb0ES3_mN6thrust23THRUST_200600_302600_NS6detail15normal_iteratorINSA_10device_ptrItEEEEPS6_SG_NS0_5tupleIJSF_S6_EEENSH_IJSG_SG_EEES6_PlJNSB_9not_fun_tI7is_trueItEEEEEE10hipError_tPvRmT3_T4_T5_T6_T7_T9_mT8_P12ihipStream_tbDpT10_ENKUlT_T0_E_clISt17integral_constantIbLb1EES18_EEDaS13_S14_EUlS13_E_NS1_11comp_targetILNS1_3genE5ELNS1_11target_archE942ELNS1_3gpuE9ELNS1_3repE0EEENS1_30default_config_static_selectorELNS0_4arch9wavefront6targetE0EEEvT1_
; %bb.0:
	.section	.rodata,"a",@progbits
	.p2align	6, 0x0
	.amdhsa_kernel _ZN7rocprim17ROCPRIM_400000_NS6detail17trampoline_kernelINS0_14default_configENS1_25partition_config_selectorILNS1_17partition_subalgoE6EtNS0_10empty_typeEbEEZZNS1_14partition_implILS5_6ELb0ES3_mN6thrust23THRUST_200600_302600_NS6detail15normal_iteratorINSA_10device_ptrItEEEEPS6_SG_NS0_5tupleIJSF_S6_EEENSH_IJSG_SG_EEES6_PlJNSB_9not_fun_tI7is_trueItEEEEEE10hipError_tPvRmT3_T4_T5_T6_T7_T9_mT8_P12ihipStream_tbDpT10_ENKUlT_T0_E_clISt17integral_constantIbLb1EES18_EEDaS13_S14_EUlS13_E_NS1_11comp_targetILNS1_3genE5ELNS1_11target_archE942ELNS1_3gpuE9ELNS1_3repE0EEENS1_30default_config_static_selectorELNS0_4arch9wavefront6targetE0EEEvT1_
		.amdhsa_group_segment_fixed_size 0
		.amdhsa_private_segment_fixed_size 0
		.amdhsa_kernarg_size 128
		.amdhsa_user_sgpr_count 2
		.amdhsa_user_sgpr_dispatch_ptr 0
		.amdhsa_user_sgpr_queue_ptr 0
		.amdhsa_user_sgpr_kernarg_segment_ptr 1
		.amdhsa_user_sgpr_dispatch_id 0
		.amdhsa_user_sgpr_private_segment_size 0
		.amdhsa_wavefront_size32 1
		.amdhsa_uses_dynamic_stack 0
		.amdhsa_enable_private_segment 0
		.amdhsa_system_sgpr_workgroup_id_x 1
		.amdhsa_system_sgpr_workgroup_id_y 0
		.amdhsa_system_sgpr_workgroup_id_z 0
		.amdhsa_system_sgpr_workgroup_info 0
		.amdhsa_system_vgpr_workitem_id 0
		.amdhsa_next_free_vgpr 1
		.amdhsa_next_free_sgpr 1
		.amdhsa_reserve_vcc 0
		.amdhsa_float_round_mode_32 0
		.amdhsa_float_round_mode_16_64 0
		.amdhsa_float_denorm_mode_32 3
		.amdhsa_float_denorm_mode_16_64 3
		.amdhsa_fp16_overflow 0
		.amdhsa_workgroup_processor_mode 1
		.amdhsa_memory_ordered 1
		.amdhsa_forward_progress 1
		.amdhsa_inst_pref_size 0
		.amdhsa_round_robin_scheduling 0
		.amdhsa_exception_fp_ieee_invalid_op 0
		.amdhsa_exception_fp_denorm_src 0
		.amdhsa_exception_fp_ieee_div_zero 0
		.amdhsa_exception_fp_ieee_overflow 0
		.amdhsa_exception_fp_ieee_underflow 0
		.amdhsa_exception_fp_ieee_inexact 0
		.amdhsa_exception_int_div_zero 0
	.end_amdhsa_kernel
	.section	.text._ZN7rocprim17ROCPRIM_400000_NS6detail17trampoline_kernelINS0_14default_configENS1_25partition_config_selectorILNS1_17partition_subalgoE6EtNS0_10empty_typeEbEEZZNS1_14partition_implILS5_6ELb0ES3_mN6thrust23THRUST_200600_302600_NS6detail15normal_iteratorINSA_10device_ptrItEEEEPS6_SG_NS0_5tupleIJSF_S6_EEENSH_IJSG_SG_EEES6_PlJNSB_9not_fun_tI7is_trueItEEEEEE10hipError_tPvRmT3_T4_T5_T6_T7_T9_mT8_P12ihipStream_tbDpT10_ENKUlT_T0_E_clISt17integral_constantIbLb1EES18_EEDaS13_S14_EUlS13_E_NS1_11comp_targetILNS1_3genE5ELNS1_11target_archE942ELNS1_3gpuE9ELNS1_3repE0EEENS1_30default_config_static_selectorELNS0_4arch9wavefront6targetE0EEEvT1_,"axG",@progbits,_ZN7rocprim17ROCPRIM_400000_NS6detail17trampoline_kernelINS0_14default_configENS1_25partition_config_selectorILNS1_17partition_subalgoE6EtNS0_10empty_typeEbEEZZNS1_14partition_implILS5_6ELb0ES3_mN6thrust23THRUST_200600_302600_NS6detail15normal_iteratorINSA_10device_ptrItEEEEPS6_SG_NS0_5tupleIJSF_S6_EEENSH_IJSG_SG_EEES6_PlJNSB_9not_fun_tI7is_trueItEEEEEE10hipError_tPvRmT3_T4_T5_T6_T7_T9_mT8_P12ihipStream_tbDpT10_ENKUlT_T0_E_clISt17integral_constantIbLb1EES18_EEDaS13_S14_EUlS13_E_NS1_11comp_targetILNS1_3genE5ELNS1_11target_archE942ELNS1_3gpuE9ELNS1_3repE0EEENS1_30default_config_static_selectorELNS0_4arch9wavefront6targetE0EEEvT1_,comdat
.Lfunc_end1182:
	.size	_ZN7rocprim17ROCPRIM_400000_NS6detail17trampoline_kernelINS0_14default_configENS1_25partition_config_selectorILNS1_17partition_subalgoE6EtNS0_10empty_typeEbEEZZNS1_14partition_implILS5_6ELb0ES3_mN6thrust23THRUST_200600_302600_NS6detail15normal_iteratorINSA_10device_ptrItEEEEPS6_SG_NS0_5tupleIJSF_S6_EEENSH_IJSG_SG_EEES6_PlJNSB_9not_fun_tI7is_trueItEEEEEE10hipError_tPvRmT3_T4_T5_T6_T7_T9_mT8_P12ihipStream_tbDpT10_ENKUlT_T0_E_clISt17integral_constantIbLb1EES18_EEDaS13_S14_EUlS13_E_NS1_11comp_targetILNS1_3genE5ELNS1_11target_archE942ELNS1_3gpuE9ELNS1_3repE0EEENS1_30default_config_static_selectorELNS0_4arch9wavefront6targetE0EEEvT1_, .Lfunc_end1182-_ZN7rocprim17ROCPRIM_400000_NS6detail17trampoline_kernelINS0_14default_configENS1_25partition_config_selectorILNS1_17partition_subalgoE6EtNS0_10empty_typeEbEEZZNS1_14partition_implILS5_6ELb0ES3_mN6thrust23THRUST_200600_302600_NS6detail15normal_iteratorINSA_10device_ptrItEEEEPS6_SG_NS0_5tupleIJSF_S6_EEENSH_IJSG_SG_EEES6_PlJNSB_9not_fun_tI7is_trueItEEEEEE10hipError_tPvRmT3_T4_T5_T6_T7_T9_mT8_P12ihipStream_tbDpT10_ENKUlT_T0_E_clISt17integral_constantIbLb1EES18_EEDaS13_S14_EUlS13_E_NS1_11comp_targetILNS1_3genE5ELNS1_11target_archE942ELNS1_3gpuE9ELNS1_3repE0EEENS1_30default_config_static_selectorELNS0_4arch9wavefront6targetE0EEEvT1_
                                        ; -- End function
	.set _ZN7rocprim17ROCPRIM_400000_NS6detail17trampoline_kernelINS0_14default_configENS1_25partition_config_selectorILNS1_17partition_subalgoE6EtNS0_10empty_typeEbEEZZNS1_14partition_implILS5_6ELb0ES3_mN6thrust23THRUST_200600_302600_NS6detail15normal_iteratorINSA_10device_ptrItEEEEPS6_SG_NS0_5tupleIJSF_S6_EEENSH_IJSG_SG_EEES6_PlJNSB_9not_fun_tI7is_trueItEEEEEE10hipError_tPvRmT3_T4_T5_T6_T7_T9_mT8_P12ihipStream_tbDpT10_ENKUlT_T0_E_clISt17integral_constantIbLb1EES18_EEDaS13_S14_EUlS13_E_NS1_11comp_targetILNS1_3genE5ELNS1_11target_archE942ELNS1_3gpuE9ELNS1_3repE0EEENS1_30default_config_static_selectorELNS0_4arch9wavefront6targetE0EEEvT1_.num_vgpr, 0
	.set _ZN7rocprim17ROCPRIM_400000_NS6detail17trampoline_kernelINS0_14default_configENS1_25partition_config_selectorILNS1_17partition_subalgoE6EtNS0_10empty_typeEbEEZZNS1_14partition_implILS5_6ELb0ES3_mN6thrust23THRUST_200600_302600_NS6detail15normal_iteratorINSA_10device_ptrItEEEEPS6_SG_NS0_5tupleIJSF_S6_EEENSH_IJSG_SG_EEES6_PlJNSB_9not_fun_tI7is_trueItEEEEEE10hipError_tPvRmT3_T4_T5_T6_T7_T9_mT8_P12ihipStream_tbDpT10_ENKUlT_T0_E_clISt17integral_constantIbLb1EES18_EEDaS13_S14_EUlS13_E_NS1_11comp_targetILNS1_3genE5ELNS1_11target_archE942ELNS1_3gpuE9ELNS1_3repE0EEENS1_30default_config_static_selectorELNS0_4arch9wavefront6targetE0EEEvT1_.num_agpr, 0
	.set _ZN7rocprim17ROCPRIM_400000_NS6detail17trampoline_kernelINS0_14default_configENS1_25partition_config_selectorILNS1_17partition_subalgoE6EtNS0_10empty_typeEbEEZZNS1_14partition_implILS5_6ELb0ES3_mN6thrust23THRUST_200600_302600_NS6detail15normal_iteratorINSA_10device_ptrItEEEEPS6_SG_NS0_5tupleIJSF_S6_EEENSH_IJSG_SG_EEES6_PlJNSB_9not_fun_tI7is_trueItEEEEEE10hipError_tPvRmT3_T4_T5_T6_T7_T9_mT8_P12ihipStream_tbDpT10_ENKUlT_T0_E_clISt17integral_constantIbLb1EES18_EEDaS13_S14_EUlS13_E_NS1_11comp_targetILNS1_3genE5ELNS1_11target_archE942ELNS1_3gpuE9ELNS1_3repE0EEENS1_30default_config_static_selectorELNS0_4arch9wavefront6targetE0EEEvT1_.numbered_sgpr, 0
	.set _ZN7rocprim17ROCPRIM_400000_NS6detail17trampoline_kernelINS0_14default_configENS1_25partition_config_selectorILNS1_17partition_subalgoE6EtNS0_10empty_typeEbEEZZNS1_14partition_implILS5_6ELb0ES3_mN6thrust23THRUST_200600_302600_NS6detail15normal_iteratorINSA_10device_ptrItEEEEPS6_SG_NS0_5tupleIJSF_S6_EEENSH_IJSG_SG_EEES6_PlJNSB_9not_fun_tI7is_trueItEEEEEE10hipError_tPvRmT3_T4_T5_T6_T7_T9_mT8_P12ihipStream_tbDpT10_ENKUlT_T0_E_clISt17integral_constantIbLb1EES18_EEDaS13_S14_EUlS13_E_NS1_11comp_targetILNS1_3genE5ELNS1_11target_archE942ELNS1_3gpuE9ELNS1_3repE0EEENS1_30default_config_static_selectorELNS0_4arch9wavefront6targetE0EEEvT1_.num_named_barrier, 0
	.set _ZN7rocprim17ROCPRIM_400000_NS6detail17trampoline_kernelINS0_14default_configENS1_25partition_config_selectorILNS1_17partition_subalgoE6EtNS0_10empty_typeEbEEZZNS1_14partition_implILS5_6ELb0ES3_mN6thrust23THRUST_200600_302600_NS6detail15normal_iteratorINSA_10device_ptrItEEEEPS6_SG_NS0_5tupleIJSF_S6_EEENSH_IJSG_SG_EEES6_PlJNSB_9not_fun_tI7is_trueItEEEEEE10hipError_tPvRmT3_T4_T5_T6_T7_T9_mT8_P12ihipStream_tbDpT10_ENKUlT_T0_E_clISt17integral_constantIbLb1EES18_EEDaS13_S14_EUlS13_E_NS1_11comp_targetILNS1_3genE5ELNS1_11target_archE942ELNS1_3gpuE9ELNS1_3repE0EEENS1_30default_config_static_selectorELNS0_4arch9wavefront6targetE0EEEvT1_.private_seg_size, 0
	.set _ZN7rocprim17ROCPRIM_400000_NS6detail17trampoline_kernelINS0_14default_configENS1_25partition_config_selectorILNS1_17partition_subalgoE6EtNS0_10empty_typeEbEEZZNS1_14partition_implILS5_6ELb0ES3_mN6thrust23THRUST_200600_302600_NS6detail15normal_iteratorINSA_10device_ptrItEEEEPS6_SG_NS0_5tupleIJSF_S6_EEENSH_IJSG_SG_EEES6_PlJNSB_9not_fun_tI7is_trueItEEEEEE10hipError_tPvRmT3_T4_T5_T6_T7_T9_mT8_P12ihipStream_tbDpT10_ENKUlT_T0_E_clISt17integral_constantIbLb1EES18_EEDaS13_S14_EUlS13_E_NS1_11comp_targetILNS1_3genE5ELNS1_11target_archE942ELNS1_3gpuE9ELNS1_3repE0EEENS1_30default_config_static_selectorELNS0_4arch9wavefront6targetE0EEEvT1_.uses_vcc, 0
	.set _ZN7rocprim17ROCPRIM_400000_NS6detail17trampoline_kernelINS0_14default_configENS1_25partition_config_selectorILNS1_17partition_subalgoE6EtNS0_10empty_typeEbEEZZNS1_14partition_implILS5_6ELb0ES3_mN6thrust23THRUST_200600_302600_NS6detail15normal_iteratorINSA_10device_ptrItEEEEPS6_SG_NS0_5tupleIJSF_S6_EEENSH_IJSG_SG_EEES6_PlJNSB_9not_fun_tI7is_trueItEEEEEE10hipError_tPvRmT3_T4_T5_T6_T7_T9_mT8_P12ihipStream_tbDpT10_ENKUlT_T0_E_clISt17integral_constantIbLb1EES18_EEDaS13_S14_EUlS13_E_NS1_11comp_targetILNS1_3genE5ELNS1_11target_archE942ELNS1_3gpuE9ELNS1_3repE0EEENS1_30default_config_static_selectorELNS0_4arch9wavefront6targetE0EEEvT1_.uses_flat_scratch, 0
	.set _ZN7rocprim17ROCPRIM_400000_NS6detail17trampoline_kernelINS0_14default_configENS1_25partition_config_selectorILNS1_17partition_subalgoE6EtNS0_10empty_typeEbEEZZNS1_14partition_implILS5_6ELb0ES3_mN6thrust23THRUST_200600_302600_NS6detail15normal_iteratorINSA_10device_ptrItEEEEPS6_SG_NS0_5tupleIJSF_S6_EEENSH_IJSG_SG_EEES6_PlJNSB_9not_fun_tI7is_trueItEEEEEE10hipError_tPvRmT3_T4_T5_T6_T7_T9_mT8_P12ihipStream_tbDpT10_ENKUlT_T0_E_clISt17integral_constantIbLb1EES18_EEDaS13_S14_EUlS13_E_NS1_11comp_targetILNS1_3genE5ELNS1_11target_archE942ELNS1_3gpuE9ELNS1_3repE0EEENS1_30default_config_static_selectorELNS0_4arch9wavefront6targetE0EEEvT1_.has_dyn_sized_stack, 0
	.set _ZN7rocprim17ROCPRIM_400000_NS6detail17trampoline_kernelINS0_14default_configENS1_25partition_config_selectorILNS1_17partition_subalgoE6EtNS0_10empty_typeEbEEZZNS1_14partition_implILS5_6ELb0ES3_mN6thrust23THRUST_200600_302600_NS6detail15normal_iteratorINSA_10device_ptrItEEEEPS6_SG_NS0_5tupleIJSF_S6_EEENSH_IJSG_SG_EEES6_PlJNSB_9not_fun_tI7is_trueItEEEEEE10hipError_tPvRmT3_T4_T5_T6_T7_T9_mT8_P12ihipStream_tbDpT10_ENKUlT_T0_E_clISt17integral_constantIbLb1EES18_EEDaS13_S14_EUlS13_E_NS1_11comp_targetILNS1_3genE5ELNS1_11target_archE942ELNS1_3gpuE9ELNS1_3repE0EEENS1_30default_config_static_selectorELNS0_4arch9wavefront6targetE0EEEvT1_.has_recursion, 0
	.set _ZN7rocprim17ROCPRIM_400000_NS6detail17trampoline_kernelINS0_14default_configENS1_25partition_config_selectorILNS1_17partition_subalgoE6EtNS0_10empty_typeEbEEZZNS1_14partition_implILS5_6ELb0ES3_mN6thrust23THRUST_200600_302600_NS6detail15normal_iteratorINSA_10device_ptrItEEEEPS6_SG_NS0_5tupleIJSF_S6_EEENSH_IJSG_SG_EEES6_PlJNSB_9not_fun_tI7is_trueItEEEEEE10hipError_tPvRmT3_T4_T5_T6_T7_T9_mT8_P12ihipStream_tbDpT10_ENKUlT_T0_E_clISt17integral_constantIbLb1EES18_EEDaS13_S14_EUlS13_E_NS1_11comp_targetILNS1_3genE5ELNS1_11target_archE942ELNS1_3gpuE9ELNS1_3repE0EEENS1_30default_config_static_selectorELNS0_4arch9wavefront6targetE0EEEvT1_.has_indirect_call, 0
	.section	.AMDGPU.csdata,"",@progbits
; Kernel info:
; codeLenInByte = 0
; TotalNumSgprs: 0
; NumVgprs: 0
; ScratchSize: 0
; MemoryBound: 0
; FloatMode: 240
; IeeeMode: 1
; LDSByteSize: 0 bytes/workgroup (compile time only)
; SGPRBlocks: 0
; VGPRBlocks: 0
; NumSGPRsForWavesPerEU: 1
; NumVGPRsForWavesPerEU: 1
; Occupancy: 16
; WaveLimiterHint : 0
; COMPUTE_PGM_RSRC2:SCRATCH_EN: 0
; COMPUTE_PGM_RSRC2:USER_SGPR: 2
; COMPUTE_PGM_RSRC2:TRAP_HANDLER: 0
; COMPUTE_PGM_RSRC2:TGID_X_EN: 1
; COMPUTE_PGM_RSRC2:TGID_Y_EN: 0
; COMPUTE_PGM_RSRC2:TGID_Z_EN: 0
; COMPUTE_PGM_RSRC2:TIDIG_COMP_CNT: 0
	.section	.text._ZN7rocprim17ROCPRIM_400000_NS6detail17trampoline_kernelINS0_14default_configENS1_25partition_config_selectorILNS1_17partition_subalgoE6EtNS0_10empty_typeEbEEZZNS1_14partition_implILS5_6ELb0ES3_mN6thrust23THRUST_200600_302600_NS6detail15normal_iteratorINSA_10device_ptrItEEEEPS6_SG_NS0_5tupleIJSF_S6_EEENSH_IJSG_SG_EEES6_PlJNSB_9not_fun_tI7is_trueItEEEEEE10hipError_tPvRmT3_T4_T5_T6_T7_T9_mT8_P12ihipStream_tbDpT10_ENKUlT_T0_E_clISt17integral_constantIbLb1EES18_EEDaS13_S14_EUlS13_E_NS1_11comp_targetILNS1_3genE4ELNS1_11target_archE910ELNS1_3gpuE8ELNS1_3repE0EEENS1_30default_config_static_selectorELNS0_4arch9wavefront6targetE0EEEvT1_,"axG",@progbits,_ZN7rocprim17ROCPRIM_400000_NS6detail17trampoline_kernelINS0_14default_configENS1_25partition_config_selectorILNS1_17partition_subalgoE6EtNS0_10empty_typeEbEEZZNS1_14partition_implILS5_6ELb0ES3_mN6thrust23THRUST_200600_302600_NS6detail15normal_iteratorINSA_10device_ptrItEEEEPS6_SG_NS0_5tupleIJSF_S6_EEENSH_IJSG_SG_EEES6_PlJNSB_9not_fun_tI7is_trueItEEEEEE10hipError_tPvRmT3_T4_T5_T6_T7_T9_mT8_P12ihipStream_tbDpT10_ENKUlT_T0_E_clISt17integral_constantIbLb1EES18_EEDaS13_S14_EUlS13_E_NS1_11comp_targetILNS1_3genE4ELNS1_11target_archE910ELNS1_3gpuE8ELNS1_3repE0EEENS1_30default_config_static_selectorELNS0_4arch9wavefront6targetE0EEEvT1_,comdat
	.protected	_ZN7rocprim17ROCPRIM_400000_NS6detail17trampoline_kernelINS0_14default_configENS1_25partition_config_selectorILNS1_17partition_subalgoE6EtNS0_10empty_typeEbEEZZNS1_14partition_implILS5_6ELb0ES3_mN6thrust23THRUST_200600_302600_NS6detail15normal_iteratorINSA_10device_ptrItEEEEPS6_SG_NS0_5tupleIJSF_S6_EEENSH_IJSG_SG_EEES6_PlJNSB_9not_fun_tI7is_trueItEEEEEE10hipError_tPvRmT3_T4_T5_T6_T7_T9_mT8_P12ihipStream_tbDpT10_ENKUlT_T0_E_clISt17integral_constantIbLb1EES18_EEDaS13_S14_EUlS13_E_NS1_11comp_targetILNS1_3genE4ELNS1_11target_archE910ELNS1_3gpuE8ELNS1_3repE0EEENS1_30default_config_static_selectorELNS0_4arch9wavefront6targetE0EEEvT1_ ; -- Begin function _ZN7rocprim17ROCPRIM_400000_NS6detail17trampoline_kernelINS0_14default_configENS1_25partition_config_selectorILNS1_17partition_subalgoE6EtNS0_10empty_typeEbEEZZNS1_14partition_implILS5_6ELb0ES3_mN6thrust23THRUST_200600_302600_NS6detail15normal_iteratorINSA_10device_ptrItEEEEPS6_SG_NS0_5tupleIJSF_S6_EEENSH_IJSG_SG_EEES6_PlJNSB_9not_fun_tI7is_trueItEEEEEE10hipError_tPvRmT3_T4_T5_T6_T7_T9_mT8_P12ihipStream_tbDpT10_ENKUlT_T0_E_clISt17integral_constantIbLb1EES18_EEDaS13_S14_EUlS13_E_NS1_11comp_targetILNS1_3genE4ELNS1_11target_archE910ELNS1_3gpuE8ELNS1_3repE0EEENS1_30default_config_static_selectorELNS0_4arch9wavefront6targetE0EEEvT1_
	.globl	_ZN7rocprim17ROCPRIM_400000_NS6detail17trampoline_kernelINS0_14default_configENS1_25partition_config_selectorILNS1_17partition_subalgoE6EtNS0_10empty_typeEbEEZZNS1_14partition_implILS5_6ELb0ES3_mN6thrust23THRUST_200600_302600_NS6detail15normal_iteratorINSA_10device_ptrItEEEEPS6_SG_NS0_5tupleIJSF_S6_EEENSH_IJSG_SG_EEES6_PlJNSB_9not_fun_tI7is_trueItEEEEEE10hipError_tPvRmT3_T4_T5_T6_T7_T9_mT8_P12ihipStream_tbDpT10_ENKUlT_T0_E_clISt17integral_constantIbLb1EES18_EEDaS13_S14_EUlS13_E_NS1_11comp_targetILNS1_3genE4ELNS1_11target_archE910ELNS1_3gpuE8ELNS1_3repE0EEENS1_30default_config_static_selectorELNS0_4arch9wavefront6targetE0EEEvT1_
	.p2align	8
	.type	_ZN7rocprim17ROCPRIM_400000_NS6detail17trampoline_kernelINS0_14default_configENS1_25partition_config_selectorILNS1_17partition_subalgoE6EtNS0_10empty_typeEbEEZZNS1_14partition_implILS5_6ELb0ES3_mN6thrust23THRUST_200600_302600_NS6detail15normal_iteratorINSA_10device_ptrItEEEEPS6_SG_NS0_5tupleIJSF_S6_EEENSH_IJSG_SG_EEES6_PlJNSB_9not_fun_tI7is_trueItEEEEEE10hipError_tPvRmT3_T4_T5_T6_T7_T9_mT8_P12ihipStream_tbDpT10_ENKUlT_T0_E_clISt17integral_constantIbLb1EES18_EEDaS13_S14_EUlS13_E_NS1_11comp_targetILNS1_3genE4ELNS1_11target_archE910ELNS1_3gpuE8ELNS1_3repE0EEENS1_30default_config_static_selectorELNS0_4arch9wavefront6targetE0EEEvT1_,@function
_ZN7rocprim17ROCPRIM_400000_NS6detail17trampoline_kernelINS0_14default_configENS1_25partition_config_selectorILNS1_17partition_subalgoE6EtNS0_10empty_typeEbEEZZNS1_14partition_implILS5_6ELb0ES3_mN6thrust23THRUST_200600_302600_NS6detail15normal_iteratorINSA_10device_ptrItEEEEPS6_SG_NS0_5tupleIJSF_S6_EEENSH_IJSG_SG_EEES6_PlJNSB_9not_fun_tI7is_trueItEEEEEE10hipError_tPvRmT3_T4_T5_T6_T7_T9_mT8_P12ihipStream_tbDpT10_ENKUlT_T0_E_clISt17integral_constantIbLb1EES18_EEDaS13_S14_EUlS13_E_NS1_11comp_targetILNS1_3genE4ELNS1_11target_archE910ELNS1_3gpuE8ELNS1_3repE0EEENS1_30default_config_static_selectorELNS0_4arch9wavefront6targetE0EEEvT1_: ; @_ZN7rocprim17ROCPRIM_400000_NS6detail17trampoline_kernelINS0_14default_configENS1_25partition_config_selectorILNS1_17partition_subalgoE6EtNS0_10empty_typeEbEEZZNS1_14partition_implILS5_6ELb0ES3_mN6thrust23THRUST_200600_302600_NS6detail15normal_iteratorINSA_10device_ptrItEEEEPS6_SG_NS0_5tupleIJSF_S6_EEENSH_IJSG_SG_EEES6_PlJNSB_9not_fun_tI7is_trueItEEEEEE10hipError_tPvRmT3_T4_T5_T6_T7_T9_mT8_P12ihipStream_tbDpT10_ENKUlT_T0_E_clISt17integral_constantIbLb1EES18_EEDaS13_S14_EUlS13_E_NS1_11comp_targetILNS1_3genE4ELNS1_11target_archE910ELNS1_3gpuE8ELNS1_3repE0EEENS1_30default_config_static_selectorELNS0_4arch9wavefront6targetE0EEEvT1_
; %bb.0:
	.section	.rodata,"a",@progbits
	.p2align	6, 0x0
	.amdhsa_kernel _ZN7rocprim17ROCPRIM_400000_NS6detail17trampoline_kernelINS0_14default_configENS1_25partition_config_selectorILNS1_17partition_subalgoE6EtNS0_10empty_typeEbEEZZNS1_14partition_implILS5_6ELb0ES3_mN6thrust23THRUST_200600_302600_NS6detail15normal_iteratorINSA_10device_ptrItEEEEPS6_SG_NS0_5tupleIJSF_S6_EEENSH_IJSG_SG_EEES6_PlJNSB_9not_fun_tI7is_trueItEEEEEE10hipError_tPvRmT3_T4_T5_T6_T7_T9_mT8_P12ihipStream_tbDpT10_ENKUlT_T0_E_clISt17integral_constantIbLb1EES18_EEDaS13_S14_EUlS13_E_NS1_11comp_targetILNS1_3genE4ELNS1_11target_archE910ELNS1_3gpuE8ELNS1_3repE0EEENS1_30default_config_static_selectorELNS0_4arch9wavefront6targetE0EEEvT1_
		.amdhsa_group_segment_fixed_size 0
		.amdhsa_private_segment_fixed_size 0
		.amdhsa_kernarg_size 128
		.amdhsa_user_sgpr_count 2
		.amdhsa_user_sgpr_dispatch_ptr 0
		.amdhsa_user_sgpr_queue_ptr 0
		.amdhsa_user_sgpr_kernarg_segment_ptr 1
		.amdhsa_user_sgpr_dispatch_id 0
		.amdhsa_user_sgpr_private_segment_size 0
		.amdhsa_wavefront_size32 1
		.amdhsa_uses_dynamic_stack 0
		.amdhsa_enable_private_segment 0
		.amdhsa_system_sgpr_workgroup_id_x 1
		.amdhsa_system_sgpr_workgroup_id_y 0
		.amdhsa_system_sgpr_workgroup_id_z 0
		.amdhsa_system_sgpr_workgroup_info 0
		.amdhsa_system_vgpr_workitem_id 0
		.amdhsa_next_free_vgpr 1
		.amdhsa_next_free_sgpr 1
		.amdhsa_reserve_vcc 0
		.amdhsa_float_round_mode_32 0
		.amdhsa_float_round_mode_16_64 0
		.amdhsa_float_denorm_mode_32 3
		.amdhsa_float_denorm_mode_16_64 3
		.amdhsa_fp16_overflow 0
		.amdhsa_workgroup_processor_mode 1
		.amdhsa_memory_ordered 1
		.amdhsa_forward_progress 1
		.amdhsa_inst_pref_size 0
		.amdhsa_round_robin_scheduling 0
		.amdhsa_exception_fp_ieee_invalid_op 0
		.amdhsa_exception_fp_denorm_src 0
		.amdhsa_exception_fp_ieee_div_zero 0
		.amdhsa_exception_fp_ieee_overflow 0
		.amdhsa_exception_fp_ieee_underflow 0
		.amdhsa_exception_fp_ieee_inexact 0
		.amdhsa_exception_int_div_zero 0
	.end_amdhsa_kernel
	.section	.text._ZN7rocprim17ROCPRIM_400000_NS6detail17trampoline_kernelINS0_14default_configENS1_25partition_config_selectorILNS1_17partition_subalgoE6EtNS0_10empty_typeEbEEZZNS1_14partition_implILS5_6ELb0ES3_mN6thrust23THRUST_200600_302600_NS6detail15normal_iteratorINSA_10device_ptrItEEEEPS6_SG_NS0_5tupleIJSF_S6_EEENSH_IJSG_SG_EEES6_PlJNSB_9not_fun_tI7is_trueItEEEEEE10hipError_tPvRmT3_T4_T5_T6_T7_T9_mT8_P12ihipStream_tbDpT10_ENKUlT_T0_E_clISt17integral_constantIbLb1EES18_EEDaS13_S14_EUlS13_E_NS1_11comp_targetILNS1_3genE4ELNS1_11target_archE910ELNS1_3gpuE8ELNS1_3repE0EEENS1_30default_config_static_selectorELNS0_4arch9wavefront6targetE0EEEvT1_,"axG",@progbits,_ZN7rocprim17ROCPRIM_400000_NS6detail17trampoline_kernelINS0_14default_configENS1_25partition_config_selectorILNS1_17partition_subalgoE6EtNS0_10empty_typeEbEEZZNS1_14partition_implILS5_6ELb0ES3_mN6thrust23THRUST_200600_302600_NS6detail15normal_iteratorINSA_10device_ptrItEEEEPS6_SG_NS0_5tupleIJSF_S6_EEENSH_IJSG_SG_EEES6_PlJNSB_9not_fun_tI7is_trueItEEEEEE10hipError_tPvRmT3_T4_T5_T6_T7_T9_mT8_P12ihipStream_tbDpT10_ENKUlT_T0_E_clISt17integral_constantIbLb1EES18_EEDaS13_S14_EUlS13_E_NS1_11comp_targetILNS1_3genE4ELNS1_11target_archE910ELNS1_3gpuE8ELNS1_3repE0EEENS1_30default_config_static_selectorELNS0_4arch9wavefront6targetE0EEEvT1_,comdat
.Lfunc_end1183:
	.size	_ZN7rocprim17ROCPRIM_400000_NS6detail17trampoline_kernelINS0_14default_configENS1_25partition_config_selectorILNS1_17partition_subalgoE6EtNS0_10empty_typeEbEEZZNS1_14partition_implILS5_6ELb0ES3_mN6thrust23THRUST_200600_302600_NS6detail15normal_iteratorINSA_10device_ptrItEEEEPS6_SG_NS0_5tupleIJSF_S6_EEENSH_IJSG_SG_EEES6_PlJNSB_9not_fun_tI7is_trueItEEEEEE10hipError_tPvRmT3_T4_T5_T6_T7_T9_mT8_P12ihipStream_tbDpT10_ENKUlT_T0_E_clISt17integral_constantIbLb1EES18_EEDaS13_S14_EUlS13_E_NS1_11comp_targetILNS1_3genE4ELNS1_11target_archE910ELNS1_3gpuE8ELNS1_3repE0EEENS1_30default_config_static_selectorELNS0_4arch9wavefront6targetE0EEEvT1_, .Lfunc_end1183-_ZN7rocprim17ROCPRIM_400000_NS6detail17trampoline_kernelINS0_14default_configENS1_25partition_config_selectorILNS1_17partition_subalgoE6EtNS0_10empty_typeEbEEZZNS1_14partition_implILS5_6ELb0ES3_mN6thrust23THRUST_200600_302600_NS6detail15normal_iteratorINSA_10device_ptrItEEEEPS6_SG_NS0_5tupleIJSF_S6_EEENSH_IJSG_SG_EEES6_PlJNSB_9not_fun_tI7is_trueItEEEEEE10hipError_tPvRmT3_T4_T5_T6_T7_T9_mT8_P12ihipStream_tbDpT10_ENKUlT_T0_E_clISt17integral_constantIbLb1EES18_EEDaS13_S14_EUlS13_E_NS1_11comp_targetILNS1_3genE4ELNS1_11target_archE910ELNS1_3gpuE8ELNS1_3repE0EEENS1_30default_config_static_selectorELNS0_4arch9wavefront6targetE0EEEvT1_
                                        ; -- End function
	.set _ZN7rocprim17ROCPRIM_400000_NS6detail17trampoline_kernelINS0_14default_configENS1_25partition_config_selectorILNS1_17partition_subalgoE6EtNS0_10empty_typeEbEEZZNS1_14partition_implILS5_6ELb0ES3_mN6thrust23THRUST_200600_302600_NS6detail15normal_iteratorINSA_10device_ptrItEEEEPS6_SG_NS0_5tupleIJSF_S6_EEENSH_IJSG_SG_EEES6_PlJNSB_9not_fun_tI7is_trueItEEEEEE10hipError_tPvRmT3_T4_T5_T6_T7_T9_mT8_P12ihipStream_tbDpT10_ENKUlT_T0_E_clISt17integral_constantIbLb1EES18_EEDaS13_S14_EUlS13_E_NS1_11comp_targetILNS1_3genE4ELNS1_11target_archE910ELNS1_3gpuE8ELNS1_3repE0EEENS1_30default_config_static_selectorELNS0_4arch9wavefront6targetE0EEEvT1_.num_vgpr, 0
	.set _ZN7rocprim17ROCPRIM_400000_NS6detail17trampoline_kernelINS0_14default_configENS1_25partition_config_selectorILNS1_17partition_subalgoE6EtNS0_10empty_typeEbEEZZNS1_14partition_implILS5_6ELb0ES3_mN6thrust23THRUST_200600_302600_NS6detail15normal_iteratorINSA_10device_ptrItEEEEPS6_SG_NS0_5tupleIJSF_S6_EEENSH_IJSG_SG_EEES6_PlJNSB_9not_fun_tI7is_trueItEEEEEE10hipError_tPvRmT3_T4_T5_T6_T7_T9_mT8_P12ihipStream_tbDpT10_ENKUlT_T0_E_clISt17integral_constantIbLb1EES18_EEDaS13_S14_EUlS13_E_NS1_11comp_targetILNS1_3genE4ELNS1_11target_archE910ELNS1_3gpuE8ELNS1_3repE0EEENS1_30default_config_static_selectorELNS0_4arch9wavefront6targetE0EEEvT1_.num_agpr, 0
	.set _ZN7rocprim17ROCPRIM_400000_NS6detail17trampoline_kernelINS0_14default_configENS1_25partition_config_selectorILNS1_17partition_subalgoE6EtNS0_10empty_typeEbEEZZNS1_14partition_implILS5_6ELb0ES3_mN6thrust23THRUST_200600_302600_NS6detail15normal_iteratorINSA_10device_ptrItEEEEPS6_SG_NS0_5tupleIJSF_S6_EEENSH_IJSG_SG_EEES6_PlJNSB_9not_fun_tI7is_trueItEEEEEE10hipError_tPvRmT3_T4_T5_T6_T7_T9_mT8_P12ihipStream_tbDpT10_ENKUlT_T0_E_clISt17integral_constantIbLb1EES18_EEDaS13_S14_EUlS13_E_NS1_11comp_targetILNS1_3genE4ELNS1_11target_archE910ELNS1_3gpuE8ELNS1_3repE0EEENS1_30default_config_static_selectorELNS0_4arch9wavefront6targetE0EEEvT1_.numbered_sgpr, 0
	.set _ZN7rocprim17ROCPRIM_400000_NS6detail17trampoline_kernelINS0_14default_configENS1_25partition_config_selectorILNS1_17partition_subalgoE6EtNS0_10empty_typeEbEEZZNS1_14partition_implILS5_6ELb0ES3_mN6thrust23THRUST_200600_302600_NS6detail15normal_iteratorINSA_10device_ptrItEEEEPS6_SG_NS0_5tupleIJSF_S6_EEENSH_IJSG_SG_EEES6_PlJNSB_9not_fun_tI7is_trueItEEEEEE10hipError_tPvRmT3_T4_T5_T6_T7_T9_mT8_P12ihipStream_tbDpT10_ENKUlT_T0_E_clISt17integral_constantIbLb1EES18_EEDaS13_S14_EUlS13_E_NS1_11comp_targetILNS1_3genE4ELNS1_11target_archE910ELNS1_3gpuE8ELNS1_3repE0EEENS1_30default_config_static_selectorELNS0_4arch9wavefront6targetE0EEEvT1_.num_named_barrier, 0
	.set _ZN7rocprim17ROCPRIM_400000_NS6detail17trampoline_kernelINS0_14default_configENS1_25partition_config_selectorILNS1_17partition_subalgoE6EtNS0_10empty_typeEbEEZZNS1_14partition_implILS5_6ELb0ES3_mN6thrust23THRUST_200600_302600_NS6detail15normal_iteratorINSA_10device_ptrItEEEEPS6_SG_NS0_5tupleIJSF_S6_EEENSH_IJSG_SG_EEES6_PlJNSB_9not_fun_tI7is_trueItEEEEEE10hipError_tPvRmT3_T4_T5_T6_T7_T9_mT8_P12ihipStream_tbDpT10_ENKUlT_T0_E_clISt17integral_constantIbLb1EES18_EEDaS13_S14_EUlS13_E_NS1_11comp_targetILNS1_3genE4ELNS1_11target_archE910ELNS1_3gpuE8ELNS1_3repE0EEENS1_30default_config_static_selectorELNS0_4arch9wavefront6targetE0EEEvT1_.private_seg_size, 0
	.set _ZN7rocprim17ROCPRIM_400000_NS6detail17trampoline_kernelINS0_14default_configENS1_25partition_config_selectorILNS1_17partition_subalgoE6EtNS0_10empty_typeEbEEZZNS1_14partition_implILS5_6ELb0ES3_mN6thrust23THRUST_200600_302600_NS6detail15normal_iteratorINSA_10device_ptrItEEEEPS6_SG_NS0_5tupleIJSF_S6_EEENSH_IJSG_SG_EEES6_PlJNSB_9not_fun_tI7is_trueItEEEEEE10hipError_tPvRmT3_T4_T5_T6_T7_T9_mT8_P12ihipStream_tbDpT10_ENKUlT_T0_E_clISt17integral_constantIbLb1EES18_EEDaS13_S14_EUlS13_E_NS1_11comp_targetILNS1_3genE4ELNS1_11target_archE910ELNS1_3gpuE8ELNS1_3repE0EEENS1_30default_config_static_selectorELNS0_4arch9wavefront6targetE0EEEvT1_.uses_vcc, 0
	.set _ZN7rocprim17ROCPRIM_400000_NS6detail17trampoline_kernelINS0_14default_configENS1_25partition_config_selectorILNS1_17partition_subalgoE6EtNS0_10empty_typeEbEEZZNS1_14partition_implILS5_6ELb0ES3_mN6thrust23THRUST_200600_302600_NS6detail15normal_iteratorINSA_10device_ptrItEEEEPS6_SG_NS0_5tupleIJSF_S6_EEENSH_IJSG_SG_EEES6_PlJNSB_9not_fun_tI7is_trueItEEEEEE10hipError_tPvRmT3_T4_T5_T6_T7_T9_mT8_P12ihipStream_tbDpT10_ENKUlT_T0_E_clISt17integral_constantIbLb1EES18_EEDaS13_S14_EUlS13_E_NS1_11comp_targetILNS1_3genE4ELNS1_11target_archE910ELNS1_3gpuE8ELNS1_3repE0EEENS1_30default_config_static_selectorELNS0_4arch9wavefront6targetE0EEEvT1_.uses_flat_scratch, 0
	.set _ZN7rocprim17ROCPRIM_400000_NS6detail17trampoline_kernelINS0_14default_configENS1_25partition_config_selectorILNS1_17partition_subalgoE6EtNS0_10empty_typeEbEEZZNS1_14partition_implILS5_6ELb0ES3_mN6thrust23THRUST_200600_302600_NS6detail15normal_iteratorINSA_10device_ptrItEEEEPS6_SG_NS0_5tupleIJSF_S6_EEENSH_IJSG_SG_EEES6_PlJNSB_9not_fun_tI7is_trueItEEEEEE10hipError_tPvRmT3_T4_T5_T6_T7_T9_mT8_P12ihipStream_tbDpT10_ENKUlT_T0_E_clISt17integral_constantIbLb1EES18_EEDaS13_S14_EUlS13_E_NS1_11comp_targetILNS1_3genE4ELNS1_11target_archE910ELNS1_3gpuE8ELNS1_3repE0EEENS1_30default_config_static_selectorELNS0_4arch9wavefront6targetE0EEEvT1_.has_dyn_sized_stack, 0
	.set _ZN7rocprim17ROCPRIM_400000_NS6detail17trampoline_kernelINS0_14default_configENS1_25partition_config_selectorILNS1_17partition_subalgoE6EtNS0_10empty_typeEbEEZZNS1_14partition_implILS5_6ELb0ES3_mN6thrust23THRUST_200600_302600_NS6detail15normal_iteratorINSA_10device_ptrItEEEEPS6_SG_NS0_5tupleIJSF_S6_EEENSH_IJSG_SG_EEES6_PlJNSB_9not_fun_tI7is_trueItEEEEEE10hipError_tPvRmT3_T4_T5_T6_T7_T9_mT8_P12ihipStream_tbDpT10_ENKUlT_T0_E_clISt17integral_constantIbLb1EES18_EEDaS13_S14_EUlS13_E_NS1_11comp_targetILNS1_3genE4ELNS1_11target_archE910ELNS1_3gpuE8ELNS1_3repE0EEENS1_30default_config_static_selectorELNS0_4arch9wavefront6targetE0EEEvT1_.has_recursion, 0
	.set _ZN7rocprim17ROCPRIM_400000_NS6detail17trampoline_kernelINS0_14default_configENS1_25partition_config_selectorILNS1_17partition_subalgoE6EtNS0_10empty_typeEbEEZZNS1_14partition_implILS5_6ELb0ES3_mN6thrust23THRUST_200600_302600_NS6detail15normal_iteratorINSA_10device_ptrItEEEEPS6_SG_NS0_5tupleIJSF_S6_EEENSH_IJSG_SG_EEES6_PlJNSB_9not_fun_tI7is_trueItEEEEEE10hipError_tPvRmT3_T4_T5_T6_T7_T9_mT8_P12ihipStream_tbDpT10_ENKUlT_T0_E_clISt17integral_constantIbLb1EES18_EEDaS13_S14_EUlS13_E_NS1_11comp_targetILNS1_3genE4ELNS1_11target_archE910ELNS1_3gpuE8ELNS1_3repE0EEENS1_30default_config_static_selectorELNS0_4arch9wavefront6targetE0EEEvT1_.has_indirect_call, 0
	.section	.AMDGPU.csdata,"",@progbits
; Kernel info:
; codeLenInByte = 0
; TotalNumSgprs: 0
; NumVgprs: 0
; ScratchSize: 0
; MemoryBound: 0
; FloatMode: 240
; IeeeMode: 1
; LDSByteSize: 0 bytes/workgroup (compile time only)
; SGPRBlocks: 0
; VGPRBlocks: 0
; NumSGPRsForWavesPerEU: 1
; NumVGPRsForWavesPerEU: 1
; Occupancy: 16
; WaveLimiterHint : 0
; COMPUTE_PGM_RSRC2:SCRATCH_EN: 0
; COMPUTE_PGM_RSRC2:USER_SGPR: 2
; COMPUTE_PGM_RSRC2:TRAP_HANDLER: 0
; COMPUTE_PGM_RSRC2:TGID_X_EN: 1
; COMPUTE_PGM_RSRC2:TGID_Y_EN: 0
; COMPUTE_PGM_RSRC2:TGID_Z_EN: 0
; COMPUTE_PGM_RSRC2:TIDIG_COMP_CNT: 0
	.section	.text._ZN7rocprim17ROCPRIM_400000_NS6detail17trampoline_kernelINS0_14default_configENS1_25partition_config_selectorILNS1_17partition_subalgoE6EtNS0_10empty_typeEbEEZZNS1_14partition_implILS5_6ELb0ES3_mN6thrust23THRUST_200600_302600_NS6detail15normal_iteratorINSA_10device_ptrItEEEEPS6_SG_NS0_5tupleIJSF_S6_EEENSH_IJSG_SG_EEES6_PlJNSB_9not_fun_tI7is_trueItEEEEEE10hipError_tPvRmT3_T4_T5_T6_T7_T9_mT8_P12ihipStream_tbDpT10_ENKUlT_T0_E_clISt17integral_constantIbLb1EES18_EEDaS13_S14_EUlS13_E_NS1_11comp_targetILNS1_3genE3ELNS1_11target_archE908ELNS1_3gpuE7ELNS1_3repE0EEENS1_30default_config_static_selectorELNS0_4arch9wavefront6targetE0EEEvT1_,"axG",@progbits,_ZN7rocprim17ROCPRIM_400000_NS6detail17trampoline_kernelINS0_14default_configENS1_25partition_config_selectorILNS1_17partition_subalgoE6EtNS0_10empty_typeEbEEZZNS1_14partition_implILS5_6ELb0ES3_mN6thrust23THRUST_200600_302600_NS6detail15normal_iteratorINSA_10device_ptrItEEEEPS6_SG_NS0_5tupleIJSF_S6_EEENSH_IJSG_SG_EEES6_PlJNSB_9not_fun_tI7is_trueItEEEEEE10hipError_tPvRmT3_T4_T5_T6_T7_T9_mT8_P12ihipStream_tbDpT10_ENKUlT_T0_E_clISt17integral_constantIbLb1EES18_EEDaS13_S14_EUlS13_E_NS1_11comp_targetILNS1_3genE3ELNS1_11target_archE908ELNS1_3gpuE7ELNS1_3repE0EEENS1_30default_config_static_selectorELNS0_4arch9wavefront6targetE0EEEvT1_,comdat
	.protected	_ZN7rocprim17ROCPRIM_400000_NS6detail17trampoline_kernelINS0_14default_configENS1_25partition_config_selectorILNS1_17partition_subalgoE6EtNS0_10empty_typeEbEEZZNS1_14partition_implILS5_6ELb0ES3_mN6thrust23THRUST_200600_302600_NS6detail15normal_iteratorINSA_10device_ptrItEEEEPS6_SG_NS0_5tupleIJSF_S6_EEENSH_IJSG_SG_EEES6_PlJNSB_9not_fun_tI7is_trueItEEEEEE10hipError_tPvRmT3_T4_T5_T6_T7_T9_mT8_P12ihipStream_tbDpT10_ENKUlT_T0_E_clISt17integral_constantIbLb1EES18_EEDaS13_S14_EUlS13_E_NS1_11comp_targetILNS1_3genE3ELNS1_11target_archE908ELNS1_3gpuE7ELNS1_3repE0EEENS1_30default_config_static_selectorELNS0_4arch9wavefront6targetE0EEEvT1_ ; -- Begin function _ZN7rocprim17ROCPRIM_400000_NS6detail17trampoline_kernelINS0_14default_configENS1_25partition_config_selectorILNS1_17partition_subalgoE6EtNS0_10empty_typeEbEEZZNS1_14partition_implILS5_6ELb0ES3_mN6thrust23THRUST_200600_302600_NS6detail15normal_iteratorINSA_10device_ptrItEEEEPS6_SG_NS0_5tupleIJSF_S6_EEENSH_IJSG_SG_EEES6_PlJNSB_9not_fun_tI7is_trueItEEEEEE10hipError_tPvRmT3_T4_T5_T6_T7_T9_mT8_P12ihipStream_tbDpT10_ENKUlT_T0_E_clISt17integral_constantIbLb1EES18_EEDaS13_S14_EUlS13_E_NS1_11comp_targetILNS1_3genE3ELNS1_11target_archE908ELNS1_3gpuE7ELNS1_3repE0EEENS1_30default_config_static_selectorELNS0_4arch9wavefront6targetE0EEEvT1_
	.globl	_ZN7rocprim17ROCPRIM_400000_NS6detail17trampoline_kernelINS0_14default_configENS1_25partition_config_selectorILNS1_17partition_subalgoE6EtNS0_10empty_typeEbEEZZNS1_14partition_implILS5_6ELb0ES3_mN6thrust23THRUST_200600_302600_NS6detail15normal_iteratorINSA_10device_ptrItEEEEPS6_SG_NS0_5tupleIJSF_S6_EEENSH_IJSG_SG_EEES6_PlJNSB_9not_fun_tI7is_trueItEEEEEE10hipError_tPvRmT3_T4_T5_T6_T7_T9_mT8_P12ihipStream_tbDpT10_ENKUlT_T0_E_clISt17integral_constantIbLb1EES18_EEDaS13_S14_EUlS13_E_NS1_11comp_targetILNS1_3genE3ELNS1_11target_archE908ELNS1_3gpuE7ELNS1_3repE0EEENS1_30default_config_static_selectorELNS0_4arch9wavefront6targetE0EEEvT1_
	.p2align	8
	.type	_ZN7rocprim17ROCPRIM_400000_NS6detail17trampoline_kernelINS0_14default_configENS1_25partition_config_selectorILNS1_17partition_subalgoE6EtNS0_10empty_typeEbEEZZNS1_14partition_implILS5_6ELb0ES3_mN6thrust23THRUST_200600_302600_NS6detail15normal_iteratorINSA_10device_ptrItEEEEPS6_SG_NS0_5tupleIJSF_S6_EEENSH_IJSG_SG_EEES6_PlJNSB_9not_fun_tI7is_trueItEEEEEE10hipError_tPvRmT3_T4_T5_T6_T7_T9_mT8_P12ihipStream_tbDpT10_ENKUlT_T0_E_clISt17integral_constantIbLb1EES18_EEDaS13_S14_EUlS13_E_NS1_11comp_targetILNS1_3genE3ELNS1_11target_archE908ELNS1_3gpuE7ELNS1_3repE0EEENS1_30default_config_static_selectorELNS0_4arch9wavefront6targetE0EEEvT1_,@function
_ZN7rocprim17ROCPRIM_400000_NS6detail17trampoline_kernelINS0_14default_configENS1_25partition_config_selectorILNS1_17partition_subalgoE6EtNS0_10empty_typeEbEEZZNS1_14partition_implILS5_6ELb0ES3_mN6thrust23THRUST_200600_302600_NS6detail15normal_iteratorINSA_10device_ptrItEEEEPS6_SG_NS0_5tupleIJSF_S6_EEENSH_IJSG_SG_EEES6_PlJNSB_9not_fun_tI7is_trueItEEEEEE10hipError_tPvRmT3_T4_T5_T6_T7_T9_mT8_P12ihipStream_tbDpT10_ENKUlT_T0_E_clISt17integral_constantIbLb1EES18_EEDaS13_S14_EUlS13_E_NS1_11comp_targetILNS1_3genE3ELNS1_11target_archE908ELNS1_3gpuE7ELNS1_3repE0EEENS1_30default_config_static_selectorELNS0_4arch9wavefront6targetE0EEEvT1_: ; @_ZN7rocprim17ROCPRIM_400000_NS6detail17trampoline_kernelINS0_14default_configENS1_25partition_config_selectorILNS1_17partition_subalgoE6EtNS0_10empty_typeEbEEZZNS1_14partition_implILS5_6ELb0ES3_mN6thrust23THRUST_200600_302600_NS6detail15normal_iteratorINSA_10device_ptrItEEEEPS6_SG_NS0_5tupleIJSF_S6_EEENSH_IJSG_SG_EEES6_PlJNSB_9not_fun_tI7is_trueItEEEEEE10hipError_tPvRmT3_T4_T5_T6_T7_T9_mT8_P12ihipStream_tbDpT10_ENKUlT_T0_E_clISt17integral_constantIbLb1EES18_EEDaS13_S14_EUlS13_E_NS1_11comp_targetILNS1_3genE3ELNS1_11target_archE908ELNS1_3gpuE7ELNS1_3repE0EEENS1_30default_config_static_selectorELNS0_4arch9wavefront6targetE0EEEvT1_
; %bb.0:
	.section	.rodata,"a",@progbits
	.p2align	6, 0x0
	.amdhsa_kernel _ZN7rocprim17ROCPRIM_400000_NS6detail17trampoline_kernelINS0_14default_configENS1_25partition_config_selectorILNS1_17partition_subalgoE6EtNS0_10empty_typeEbEEZZNS1_14partition_implILS5_6ELb0ES3_mN6thrust23THRUST_200600_302600_NS6detail15normal_iteratorINSA_10device_ptrItEEEEPS6_SG_NS0_5tupleIJSF_S6_EEENSH_IJSG_SG_EEES6_PlJNSB_9not_fun_tI7is_trueItEEEEEE10hipError_tPvRmT3_T4_T5_T6_T7_T9_mT8_P12ihipStream_tbDpT10_ENKUlT_T0_E_clISt17integral_constantIbLb1EES18_EEDaS13_S14_EUlS13_E_NS1_11comp_targetILNS1_3genE3ELNS1_11target_archE908ELNS1_3gpuE7ELNS1_3repE0EEENS1_30default_config_static_selectorELNS0_4arch9wavefront6targetE0EEEvT1_
		.amdhsa_group_segment_fixed_size 0
		.amdhsa_private_segment_fixed_size 0
		.amdhsa_kernarg_size 128
		.amdhsa_user_sgpr_count 2
		.amdhsa_user_sgpr_dispatch_ptr 0
		.amdhsa_user_sgpr_queue_ptr 0
		.amdhsa_user_sgpr_kernarg_segment_ptr 1
		.amdhsa_user_sgpr_dispatch_id 0
		.amdhsa_user_sgpr_private_segment_size 0
		.amdhsa_wavefront_size32 1
		.amdhsa_uses_dynamic_stack 0
		.amdhsa_enable_private_segment 0
		.amdhsa_system_sgpr_workgroup_id_x 1
		.amdhsa_system_sgpr_workgroup_id_y 0
		.amdhsa_system_sgpr_workgroup_id_z 0
		.amdhsa_system_sgpr_workgroup_info 0
		.amdhsa_system_vgpr_workitem_id 0
		.amdhsa_next_free_vgpr 1
		.amdhsa_next_free_sgpr 1
		.amdhsa_reserve_vcc 0
		.amdhsa_float_round_mode_32 0
		.amdhsa_float_round_mode_16_64 0
		.amdhsa_float_denorm_mode_32 3
		.amdhsa_float_denorm_mode_16_64 3
		.amdhsa_fp16_overflow 0
		.amdhsa_workgroup_processor_mode 1
		.amdhsa_memory_ordered 1
		.amdhsa_forward_progress 1
		.amdhsa_inst_pref_size 0
		.amdhsa_round_robin_scheduling 0
		.amdhsa_exception_fp_ieee_invalid_op 0
		.amdhsa_exception_fp_denorm_src 0
		.amdhsa_exception_fp_ieee_div_zero 0
		.amdhsa_exception_fp_ieee_overflow 0
		.amdhsa_exception_fp_ieee_underflow 0
		.amdhsa_exception_fp_ieee_inexact 0
		.amdhsa_exception_int_div_zero 0
	.end_amdhsa_kernel
	.section	.text._ZN7rocprim17ROCPRIM_400000_NS6detail17trampoline_kernelINS0_14default_configENS1_25partition_config_selectorILNS1_17partition_subalgoE6EtNS0_10empty_typeEbEEZZNS1_14partition_implILS5_6ELb0ES3_mN6thrust23THRUST_200600_302600_NS6detail15normal_iteratorINSA_10device_ptrItEEEEPS6_SG_NS0_5tupleIJSF_S6_EEENSH_IJSG_SG_EEES6_PlJNSB_9not_fun_tI7is_trueItEEEEEE10hipError_tPvRmT3_T4_T5_T6_T7_T9_mT8_P12ihipStream_tbDpT10_ENKUlT_T0_E_clISt17integral_constantIbLb1EES18_EEDaS13_S14_EUlS13_E_NS1_11comp_targetILNS1_3genE3ELNS1_11target_archE908ELNS1_3gpuE7ELNS1_3repE0EEENS1_30default_config_static_selectorELNS0_4arch9wavefront6targetE0EEEvT1_,"axG",@progbits,_ZN7rocprim17ROCPRIM_400000_NS6detail17trampoline_kernelINS0_14default_configENS1_25partition_config_selectorILNS1_17partition_subalgoE6EtNS0_10empty_typeEbEEZZNS1_14partition_implILS5_6ELb0ES3_mN6thrust23THRUST_200600_302600_NS6detail15normal_iteratorINSA_10device_ptrItEEEEPS6_SG_NS0_5tupleIJSF_S6_EEENSH_IJSG_SG_EEES6_PlJNSB_9not_fun_tI7is_trueItEEEEEE10hipError_tPvRmT3_T4_T5_T6_T7_T9_mT8_P12ihipStream_tbDpT10_ENKUlT_T0_E_clISt17integral_constantIbLb1EES18_EEDaS13_S14_EUlS13_E_NS1_11comp_targetILNS1_3genE3ELNS1_11target_archE908ELNS1_3gpuE7ELNS1_3repE0EEENS1_30default_config_static_selectorELNS0_4arch9wavefront6targetE0EEEvT1_,comdat
.Lfunc_end1184:
	.size	_ZN7rocprim17ROCPRIM_400000_NS6detail17trampoline_kernelINS0_14default_configENS1_25partition_config_selectorILNS1_17partition_subalgoE6EtNS0_10empty_typeEbEEZZNS1_14partition_implILS5_6ELb0ES3_mN6thrust23THRUST_200600_302600_NS6detail15normal_iteratorINSA_10device_ptrItEEEEPS6_SG_NS0_5tupleIJSF_S6_EEENSH_IJSG_SG_EEES6_PlJNSB_9not_fun_tI7is_trueItEEEEEE10hipError_tPvRmT3_T4_T5_T6_T7_T9_mT8_P12ihipStream_tbDpT10_ENKUlT_T0_E_clISt17integral_constantIbLb1EES18_EEDaS13_S14_EUlS13_E_NS1_11comp_targetILNS1_3genE3ELNS1_11target_archE908ELNS1_3gpuE7ELNS1_3repE0EEENS1_30default_config_static_selectorELNS0_4arch9wavefront6targetE0EEEvT1_, .Lfunc_end1184-_ZN7rocprim17ROCPRIM_400000_NS6detail17trampoline_kernelINS0_14default_configENS1_25partition_config_selectorILNS1_17partition_subalgoE6EtNS0_10empty_typeEbEEZZNS1_14partition_implILS5_6ELb0ES3_mN6thrust23THRUST_200600_302600_NS6detail15normal_iteratorINSA_10device_ptrItEEEEPS6_SG_NS0_5tupleIJSF_S6_EEENSH_IJSG_SG_EEES6_PlJNSB_9not_fun_tI7is_trueItEEEEEE10hipError_tPvRmT3_T4_T5_T6_T7_T9_mT8_P12ihipStream_tbDpT10_ENKUlT_T0_E_clISt17integral_constantIbLb1EES18_EEDaS13_S14_EUlS13_E_NS1_11comp_targetILNS1_3genE3ELNS1_11target_archE908ELNS1_3gpuE7ELNS1_3repE0EEENS1_30default_config_static_selectorELNS0_4arch9wavefront6targetE0EEEvT1_
                                        ; -- End function
	.set _ZN7rocprim17ROCPRIM_400000_NS6detail17trampoline_kernelINS0_14default_configENS1_25partition_config_selectorILNS1_17partition_subalgoE6EtNS0_10empty_typeEbEEZZNS1_14partition_implILS5_6ELb0ES3_mN6thrust23THRUST_200600_302600_NS6detail15normal_iteratorINSA_10device_ptrItEEEEPS6_SG_NS0_5tupleIJSF_S6_EEENSH_IJSG_SG_EEES6_PlJNSB_9not_fun_tI7is_trueItEEEEEE10hipError_tPvRmT3_T4_T5_T6_T7_T9_mT8_P12ihipStream_tbDpT10_ENKUlT_T0_E_clISt17integral_constantIbLb1EES18_EEDaS13_S14_EUlS13_E_NS1_11comp_targetILNS1_3genE3ELNS1_11target_archE908ELNS1_3gpuE7ELNS1_3repE0EEENS1_30default_config_static_selectorELNS0_4arch9wavefront6targetE0EEEvT1_.num_vgpr, 0
	.set _ZN7rocprim17ROCPRIM_400000_NS6detail17trampoline_kernelINS0_14default_configENS1_25partition_config_selectorILNS1_17partition_subalgoE6EtNS0_10empty_typeEbEEZZNS1_14partition_implILS5_6ELb0ES3_mN6thrust23THRUST_200600_302600_NS6detail15normal_iteratorINSA_10device_ptrItEEEEPS6_SG_NS0_5tupleIJSF_S6_EEENSH_IJSG_SG_EEES6_PlJNSB_9not_fun_tI7is_trueItEEEEEE10hipError_tPvRmT3_T4_T5_T6_T7_T9_mT8_P12ihipStream_tbDpT10_ENKUlT_T0_E_clISt17integral_constantIbLb1EES18_EEDaS13_S14_EUlS13_E_NS1_11comp_targetILNS1_3genE3ELNS1_11target_archE908ELNS1_3gpuE7ELNS1_3repE0EEENS1_30default_config_static_selectorELNS0_4arch9wavefront6targetE0EEEvT1_.num_agpr, 0
	.set _ZN7rocprim17ROCPRIM_400000_NS6detail17trampoline_kernelINS0_14default_configENS1_25partition_config_selectorILNS1_17partition_subalgoE6EtNS0_10empty_typeEbEEZZNS1_14partition_implILS5_6ELb0ES3_mN6thrust23THRUST_200600_302600_NS6detail15normal_iteratorINSA_10device_ptrItEEEEPS6_SG_NS0_5tupleIJSF_S6_EEENSH_IJSG_SG_EEES6_PlJNSB_9not_fun_tI7is_trueItEEEEEE10hipError_tPvRmT3_T4_T5_T6_T7_T9_mT8_P12ihipStream_tbDpT10_ENKUlT_T0_E_clISt17integral_constantIbLb1EES18_EEDaS13_S14_EUlS13_E_NS1_11comp_targetILNS1_3genE3ELNS1_11target_archE908ELNS1_3gpuE7ELNS1_3repE0EEENS1_30default_config_static_selectorELNS0_4arch9wavefront6targetE0EEEvT1_.numbered_sgpr, 0
	.set _ZN7rocprim17ROCPRIM_400000_NS6detail17trampoline_kernelINS0_14default_configENS1_25partition_config_selectorILNS1_17partition_subalgoE6EtNS0_10empty_typeEbEEZZNS1_14partition_implILS5_6ELb0ES3_mN6thrust23THRUST_200600_302600_NS6detail15normal_iteratorINSA_10device_ptrItEEEEPS6_SG_NS0_5tupleIJSF_S6_EEENSH_IJSG_SG_EEES6_PlJNSB_9not_fun_tI7is_trueItEEEEEE10hipError_tPvRmT3_T4_T5_T6_T7_T9_mT8_P12ihipStream_tbDpT10_ENKUlT_T0_E_clISt17integral_constantIbLb1EES18_EEDaS13_S14_EUlS13_E_NS1_11comp_targetILNS1_3genE3ELNS1_11target_archE908ELNS1_3gpuE7ELNS1_3repE0EEENS1_30default_config_static_selectorELNS0_4arch9wavefront6targetE0EEEvT1_.num_named_barrier, 0
	.set _ZN7rocprim17ROCPRIM_400000_NS6detail17trampoline_kernelINS0_14default_configENS1_25partition_config_selectorILNS1_17partition_subalgoE6EtNS0_10empty_typeEbEEZZNS1_14partition_implILS5_6ELb0ES3_mN6thrust23THRUST_200600_302600_NS6detail15normal_iteratorINSA_10device_ptrItEEEEPS6_SG_NS0_5tupleIJSF_S6_EEENSH_IJSG_SG_EEES6_PlJNSB_9not_fun_tI7is_trueItEEEEEE10hipError_tPvRmT3_T4_T5_T6_T7_T9_mT8_P12ihipStream_tbDpT10_ENKUlT_T0_E_clISt17integral_constantIbLb1EES18_EEDaS13_S14_EUlS13_E_NS1_11comp_targetILNS1_3genE3ELNS1_11target_archE908ELNS1_3gpuE7ELNS1_3repE0EEENS1_30default_config_static_selectorELNS0_4arch9wavefront6targetE0EEEvT1_.private_seg_size, 0
	.set _ZN7rocprim17ROCPRIM_400000_NS6detail17trampoline_kernelINS0_14default_configENS1_25partition_config_selectorILNS1_17partition_subalgoE6EtNS0_10empty_typeEbEEZZNS1_14partition_implILS5_6ELb0ES3_mN6thrust23THRUST_200600_302600_NS6detail15normal_iteratorINSA_10device_ptrItEEEEPS6_SG_NS0_5tupleIJSF_S6_EEENSH_IJSG_SG_EEES6_PlJNSB_9not_fun_tI7is_trueItEEEEEE10hipError_tPvRmT3_T4_T5_T6_T7_T9_mT8_P12ihipStream_tbDpT10_ENKUlT_T0_E_clISt17integral_constantIbLb1EES18_EEDaS13_S14_EUlS13_E_NS1_11comp_targetILNS1_3genE3ELNS1_11target_archE908ELNS1_3gpuE7ELNS1_3repE0EEENS1_30default_config_static_selectorELNS0_4arch9wavefront6targetE0EEEvT1_.uses_vcc, 0
	.set _ZN7rocprim17ROCPRIM_400000_NS6detail17trampoline_kernelINS0_14default_configENS1_25partition_config_selectorILNS1_17partition_subalgoE6EtNS0_10empty_typeEbEEZZNS1_14partition_implILS5_6ELb0ES3_mN6thrust23THRUST_200600_302600_NS6detail15normal_iteratorINSA_10device_ptrItEEEEPS6_SG_NS0_5tupleIJSF_S6_EEENSH_IJSG_SG_EEES6_PlJNSB_9not_fun_tI7is_trueItEEEEEE10hipError_tPvRmT3_T4_T5_T6_T7_T9_mT8_P12ihipStream_tbDpT10_ENKUlT_T0_E_clISt17integral_constantIbLb1EES18_EEDaS13_S14_EUlS13_E_NS1_11comp_targetILNS1_3genE3ELNS1_11target_archE908ELNS1_3gpuE7ELNS1_3repE0EEENS1_30default_config_static_selectorELNS0_4arch9wavefront6targetE0EEEvT1_.uses_flat_scratch, 0
	.set _ZN7rocprim17ROCPRIM_400000_NS6detail17trampoline_kernelINS0_14default_configENS1_25partition_config_selectorILNS1_17partition_subalgoE6EtNS0_10empty_typeEbEEZZNS1_14partition_implILS5_6ELb0ES3_mN6thrust23THRUST_200600_302600_NS6detail15normal_iteratorINSA_10device_ptrItEEEEPS6_SG_NS0_5tupleIJSF_S6_EEENSH_IJSG_SG_EEES6_PlJNSB_9not_fun_tI7is_trueItEEEEEE10hipError_tPvRmT3_T4_T5_T6_T7_T9_mT8_P12ihipStream_tbDpT10_ENKUlT_T0_E_clISt17integral_constantIbLb1EES18_EEDaS13_S14_EUlS13_E_NS1_11comp_targetILNS1_3genE3ELNS1_11target_archE908ELNS1_3gpuE7ELNS1_3repE0EEENS1_30default_config_static_selectorELNS0_4arch9wavefront6targetE0EEEvT1_.has_dyn_sized_stack, 0
	.set _ZN7rocprim17ROCPRIM_400000_NS6detail17trampoline_kernelINS0_14default_configENS1_25partition_config_selectorILNS1_17partition_subalgoE6EtNS0_10empty_typeEbEEZZNS1_14partition_implILS5_6ELb0ES3_mN6thrust23THRUST_200600_302600_NS6detail15normal_iteratorINSA_10device_ptrItEEEEPS6_SG_NS0_5tupleIJSF_S6_EEENSH_IJSG_SG_EEES6_PlJNSB_9not_fun_tI7is_trueItEEEEEE10hipError_tPvRmT3_T4_T5_T6_T7_T9_mT8_P12ihipStream_tbDpT10_ENKUlT_T0_E_clISt17integral_constantIbLb1EES18_EEDaS13_S14_EUlS13_E_NS1_11comp_targetILNS1_3genE3ELNS1_11target_archE908ELNS1_3gpuE7ELNS1_3repE0EEENS1_30default_config_static_selectorELNS0_4arch9wavefront6targetE0EEEvT1_.has_recursion, 0
	.set _ZN7rocprim17ROCPRIM_400000_NS6detail17trampoline_kernelINS0_14default_configENS1_25partition_config_selectorILNS1_17partition_subalgoE6EtNS0_10empty_typeEbEEZZNS1_14partition_implILS5_6ELb0ES3_mN6thrust23THRUST_200600_302600_NS6detail15normal_iteratorINSA_10device_ptrItEEEEPS6_SG_NS0_5tupleIJSF_S6_EEENSH_IJSG_SG_EEES6_PlJNSB_9not_fun_tI7is_trueItEEEEEE10hipError_tPvRmT3_T4_T5_T6_T7_T9_mT8_P12ihipStream_tbDpT10_ENKUlT_T0_E_clISt17integral_constantIbLb1EES18_EEDaS13_S14_EUlS13_E_NS1_11comp_targetILNS1_3genE3ELNS1_11target_archE908ELNS1_3gpuE7ELNS1_3repE0EEENS1_30default_config_static_selectorELNS0_4arch9wavefront6targetE0EEEvT1_.has_indirect_call, 0
	.section	.AMDGPU.csdata,"",@progbits
; Kernel info:
; codeLenInByte = 0
; TotalNumSgprs: 0
; NumVgprs: 0
; ScratchSize: 0
; MemoryBound: 0
; FloatMode: 240
; IeeeMode: 1
; LDSByteSize: 0 bytes/workgroup (compile time only)
; SGPRBlocks: 0
; VGPRBlocks: 0
; NumSGPRsForWavesPerEU: 1
; NumVGPRsForWavesPerEU: 1
; Occupancy: 16
; WaveLimiterHint : 0
; COMPUTE_PGM_RSRC2:SCRATCH_EN: 0
; COMPUTE_PGM_RSRC2:USER_SGPR: 2
; COMPUTE_PGM_RSRC2:TRAP_HANDLER: 0
; COMPUTE_PGM_RSRC2:TGID_X_EN: 1
; COMPUTE_PGM_RSRC2:TGID_Y_EN: 0
; COMPUTE_PGM_RSRC2:TGID_Z_EN: 0
; COMPUTE_PGM_RSRC2:TIDIG_COMP_CNT: 0
	.section	.text._ZN7rocprim17ROCPRIM_400000_NS6detail17trampoline_kernelINS0_14default_configENS1_25partition_config_selectorILNS1_17partition_subalgoE6EtNS0_10empty_typeEbEEZZNS1_14partition_implILS5_6ELb0ES3_mN6thrust23THRUST_200600_302600_NS6detail15normal_iteratorINSA_10device_ptrItEEEEPS6_SG_NS0_5tupleIJSF_S6_EEENSH_IJSG_SG_EEES6_PlJNSB_9not_fun_tI7is_trueItEEEEEE10hipError_tPvRmT3_T4_T5_T6_T7_T9_mT8_P12ihipStream_tbDpT10_ENKUlT_T0_E_clISt17integral_constantIbLb1EES18_EEDaS13_S14_EUlS13_E_NS1_11comp_targetILNS1_3genE2ELNS1_11target_archE906ELNS1_3gpuE6ELNS1_3repE0EEENS1_30default_config_static_selectorELNS0_4arch9wavefront6targetE0EEEvT1_,"axG",@progbits,_ZN7rocprim17ROCPRIM_400000_NS6detail17trampoline_kernelINS0_14default_configENS1_25partition_config_selectorILNS1_17partition_subalgoE6EtNS0_10empty_typeEbEEZZNS1_14partition_implILS5_6ELb0ES3_mN6thrust23THRUST_200600_302600_NS6detail15normal_iteratorINSA_10device_ptrItEEEEPS6_SG_NS0_5tupleIJSF_S6_EEENSH_IJSG_SG_EEES6_PlJNSB_9not_fun_tI7is_trueItEEEEEE10hipError_tPvRmT3_T4_T5_T6_T7_T9_mT8_P12ihipStream_tbDpT10_ENKUlT_T0_E_clISt17integral_constantIbLb1EES18_EEDaS13_S14_EUlS13_E_NS1_11comp_targetILNS1_3genE2ELNS1_11target_archE906ELNS1_3gpuE6ELNS1_3repE0EEENS1_30default_config_static_selectorELNS0_4arch9wavefront6targetE0EEEvT1_,comdat
	.protected	_ZN7rocprim17ROCPRIM_400000_NS6detail17trampoline_kernelINS0_14default_configENS1_25partition_config_selectorILNS1_17partition_subalgoE6EtNS0_10empty_typeEbEEZZNS1_14partition_implILS5_6ELb0ES3_mN6thrust23THRUST_200600_302600_NS6detail15normal_iteratorINSA_10device_ptrItEEEEPS6_SG_NS0_5tupleIJSF_S6_EEENSH_IJSG_SG_EEES6_PlJNSB_9not_fun_tI7is_trueItEEEEEE10hipError_tPvRmT3_T4_T5_T6_T7_T9_mT8_P12ihipStream_tbDpT10_ENKUlT_T0_E_clISt17integral_constantIbLb1EES18_EEDaS13_S14_EUlS13_E_NS1_11comp_targetILNS1_3genE2ELNS1_11target_archE906ELNS1_3gpuE6ELNS1_3repE0EEENS1_30default_config_static_selectorELNS0_4arch9wavefront6targetE0EEEvT1_ ; -- Begin function _ZN7rocprim17ROCPRIM_400000_NS6detail17trampoline_kernelINS0_14default_configENS1_25partition_config_selectorILNS1_17partition_subalgoE6EtNS0_10empty_typeEbEEZZNS1_14partition_implILS5_6ELb0ES3_mN6thrust23THRUST_200600_302600_NS6detail15normal_iteratorINSA_10device_ptrItEEEEPS6_SG_NS0_5tupleIJSF_S6_EEENSH_IJSG_SG_EEES6_PlJNSB_9not_fun_tI7is_trueItEEEEEE10hipError_tPvRmT3_T4_T5_T6_T7_T9_mT8_P12ihipStream_tbDpT10_ENKUlT_T0_E_clISt17integral_constantIbLb1EES18_EEDaS13_S14_EUlS13_E_NS1_11comp_targetILNS1_3genE2ELNS1_11target_archE906ELNS1_3gpuE6ELNS1_3repE0EEENS1_30default_config_static_selectorELNS0_4arch9wavefront6targetE0EEEvT1_
	.globl	_ZN7rocprim17ROCPRIM_400000_NS6detail17trampoline_kernelINS0_14default_configENS1_25partition_config_selectorILNS1_17partition_subalgoE6EtNS0_10empty_typeEbEEZZNS1_14partition_implILS5_6ELb0ES3_mN6thrust23THRUST_200600_302600_NS6detail15normal_iteratorINSA_10device_ptrItEEEEPS6_SG_NS0_5tupleIJSF_S6_EEENSH_IJSG_SG_EEES6_PlJNSB_9not_fun_tI7is_trueItEEEEEE10hipError_tPvRmT3_T4_T5_T6_T7_T9_mT8_P12ihipStream_tbDpT10_ENKUlT_T0_E_clISt17integral_constantIbLb1EES18_EEDaS13_S14_EUlS13_E_NS1_11comp_targetILNS1_3genE2ELNS1_11target_archE906ELNS1_3gpuE6ELNS1_3repE0EEENS1_30default_config_static_selectorELNS0_4arch9wavefront6targetE0EEEvT1_
	.p2align	8
	.type	_ZN7rocprim17ROCPRIM_400000_NS6detail17trampoline_kernelINS0_14default_configENS1_25partition_config_selectorILNS1_17partition_subalgoE6EtNS0_10empty_typeEbEEZZNS1_14partition_implILS5_6ELb0ES3_mN6thrust23THRUST_200600_302600_NS6detail15normal_iteratorINSA_10device_ptrItEEEEPS6_SG_NS0_5tupleIJSF_S6_EEENSH_IJSG_SG_EEES6_PlJNSB_9not_fun_tI7is_trueItEEEEEE10hipError_tPvRmT3_T4_T5_T6_T7_T9_mT8_P12ihipStream_tbDpT10_ENKUlT_T0_E_clISt17integral_constantIbLb1EES18_EEDaS13_S14_EUlS13_E_NS1_11comp_targetILNS1_3genE2ELNS1_11target_archE906ELNS1_3gpuE6ELNS1_3repE0EEENS1_30default_config_static_selectorELNS0_4arch9wavefront6targetE0EEEvT1_,@function
_ZN7rocprim17ROCPRIM_400000_NS6detail17trampoline_kernelINS0_14default_configENS1_25partition_config_selectorILNS1_17partition_subalgoE6EtNS0_10empty_typeEbEEZZNS1_14partition_implILS5_6ELb0ES3_mN6thrust23THRUST_200600_302600_NS6detail15normal_iteratorINSA_10device_ptrItEEEEPS6_SG_NS0_5tupleIJSF_S6_EEENSH_IJSG_SG_EEES6_PlJNSB_9not_fun_tI7is_trueItEEEEEE10hipError_tPvRmT3_T4_T5_T6_T7_T9_mT8_P12ihipStream_tbDpT10_ENKUlT_T0_E_clISt17integral_constantIbLb1EES18_EEDaS13_S14_EUlS13_E_NS1_11comp_targetILNS1_3genE2ELNS1_11target_archE906ELNS1_3gpuE6ELNS1_3repE0EEENS1_30default_config_static_selectorELNS0_4arch9wavefront6targetE0EEEvT1_: ; @_ZN7rocprim17ROCPRIM_400000_NS6detail17trampoline_kernelINS0_14default_configENS1_25partition_config_selectorILNS1_17partition_subalgoE6EtNS0_10empty_typeEbEEZZNS1_14partition_implILS5_6ELb0ES3_mN6thrust23THRUST_200600_302600_NS6detail15normal_iteratorINSA_10device_ptrItEEEEPS6_SG_NS0_5tupleIJSF_S6_EEENSH_IJSG_SG_EEES6_PlJNSB_9not_fun_tI7is_trueItEEEEEE10hipError_tPvRmT3_T4_T5_T6_T7_T9_mT8_P12ihipStream_tbDpT10_ENKUlT_T0_E_clISt17integral_constantIbLb1EES18_EEDaS13_S14_EUlS13_E_NS1_11comp_targetILNS1_3genE2ELNS1_11target_archE906ELNS1_3gpuE6ELNS1_3repE0EEENS1_30default_config_static_selectorELNS0_4arch9wavefront6targetE0EEEvT1_
; %bb.0:
	.section	.rodata,"a",@progbits
	.p2align	6, 0x0
	.amdhsa_kernel _ZN7rocprim17ROCPRIM_400000_NS6detail17trampoline_kernelINS0_14default_configENS1_25partition_config_selectorILNS1_17partition_subalgoE6EtNS0_10empty_typeEbEEZZNS1_14partition_implILS5_6ELb0ES3_mN6thrust23THRUST_200600_302600_NS6detail15normal_iteratorINSA_10device_ptrItEEEEPS6_SG_NS0_5tupleIJSF_S6_EEENSH_IJSG_SG_EEES6_PlJNSB_9not_fun_tI7is_trueItEEEEEE10hipError_tPvRmT3_T4_T5_T6_T7_T9_mT8_P12ihipStream_tbDpT10_ENKUlT_T0_E_clISt17integral_constantIbLb1EES18_EEDaS13_S14_EUlS13_E_NS1_11comp_targetILNS1_3genE2ELNS1_11target_archE906ELNS1_3gpuE6ELNS1_3repE0EEENS1_30default_config_static_selectorELNS0_4arch9wavefront6targetE0EEEvT1_
		.amdhsa_group_segment_fixed_size 0
		.amdhsa_private_segment_fixed_size 0
		.amdhsa_kernarg_size 128
		.amdhsa_user_sgpr_count 2
		.amdhsa_user_sgpr_dispatch_ptr 0
		.amdhsa_user_sgpr_queue_ptr 0
		.amdhsa_user_sgpr_kernarg_segment_ptr 1
		.amdhsa_user_sgpr_dispatch_id 0
		.amdhsa_user_sgpr_private_segment_size 0
		.amdhsa_wavefront_size32 1
		.amdhsa_uses_dynamic_stack 0
		.amdhsa_enable_private_segment 0
		.amdhsa_system_sgpr_workgroup_id_x 1
		.amdhsa_system_sgpr_workgroup_id_y 0
		.amdhsa_system_sgpr_workgroup_id_z 0
		.amdhsa_system_sgpr_workgroup_info 0
		.amdhsa_system_vgpr_workitem_id 0
		.amdhsa_next_free_vgpr 1
		.amdhsa_next_free_sgpr 1
		.amdhsa_reserve_vcc 0
		.amdhsa_float_round_mode_32 0
		.amdhsa_float_round_mode_16_64 0
		.amdhsa_float_denorm_mode_32 3
		.amdhsa_float_denorm_mode_16_64 3
		.amdhsa_fp16_overflow 0
		.amdhsa_workgroup_processor_mode 1
		.amdhsa_memory_ordered 1
		.amdhsa_forward_progress 1
		.amdhsa_inst_pref_size 0
		.amdhsa_round_robin_scheduling 0
		.amdhsa_exception_fp_ieee_invalid_op 0
		.amdhsa_exception_fp_denorm_src 0
		.amdhsa_exception_fp_ieee_div_zero 0
		.amdhsa_exception_fp_ieee_overflow 0
		.amdhsa_exception_fp_ieee_underflow 0
		.amdhsa_exception_fp_ieee_inexact 0
		.amdhsa_exception_int_div_zero 0
	.end_amdhsa_kernel
	.section	.text._ZN7rocprim17ROCPRIM_400000_NS6detail17trampoline_kernelINS0_14default_configENS1_25partition_config_selectorILNS1_17partition_subalgoE6EtNS0_10empty_typeEbEEZZNS1_14partition_implILS5_6ELb0ES3_mN6thrust23THRUST_200600_302600_NS6detail15normal_iteratorINSA_10device_ptrItEEEEPS6_SG_NS0_5tupleIJSF_S6_EEENSH_IJSG_SG_EEES6_PlJNSB_9not_fun_tI7is_trueItEEEEEE10hipError_tPvRmT3_T4_T5_T6_T7_T9_mT8_P12ihipStream_tbDpT10_ENKUlT_T0_E_clISt17integral_constantIbLb1EES18_EEDaS13_S14_EUlS13_E_NS1_11comp_targetILNS1_3genE2ELNS1_11target_archE906ELNS1_3gpuE6ELNS1_3repE0EEENS1_30default_config_static_selectorELNS0_4arch9wavefront6targetE0EEEvT1_,"axG",@progbits,_ZN7rocprim17ROCPRIM_400000_NS6detail17trampoline_kernelINS0_14default_configENS1_25partition_config_selectorILNS1_17partition_subalgoE6EtNS0_10empty_typeEbEEZZNS1_14partition_implILS5_6ELb0ES3_mN6thrust23THRUST_200600_302600_NS6detail15normal_iteratorINSA_10device_ptrItEEEEPS6_SG_NS0_5tupleIJSF_S6_EEENSH_IJSG_SG_EEES6_PlJNSB_9not_fun_tI7is_trueItEEEEEE10hipError_tPvRmT3_T4_T5_T6_T7_T9_mT8_P12ihipStream_tbDpT10_ENKUlT_T0_E_clISt17integral_constantIbLb1EES18_EEDaS13_S14_EUlS13_E_NS1_11comp_targetILNS1_3genE2ELNS1_11target_archE906ELNS1_3gpuE6ELNS1_3repE0EEENS1_30default_config_static_selectorELNS0_4arch9wavefront6targetE0EEEvT1_,comdat
.Lfunc_end1185:
	.size	_ZN7rocprim17ROCPRIM_400000_NS6detail17trampoline_kernelINS0_14default_configENS1_25partition_config_selectorILNS1_17partition_subalgoE6EtNS0_10empty_typeEbEEZZNS1_14partition_implILS5_6ELb0ES3_mN6thrust23THRUST_200600_302600_NS6detail15normal_iteratorINSA_10device_ptrItEEEEPS6_SG_NS0_5tupleIJSF_S6_EEENSH_IJSG_SG_EEES6_PlJNSB_9not_fun_tI7is_trueItEEEEEE10hipError_tPvRmT3_T4_T5_T6_T7_T9_mT8_P12ihipStream_tbDpT10_ENKUlT_T0_E_clISt17integral_constantIbLb1EES18_EEDaS13_S14_EUlS13_E_NS1_11comp_targetILNS1_3genE2ELNS1_11target_archE906ELNS1_3gpuE6ELNS1_3repE0EEENS1_30default_config_static_selectorELNS0_4arch9wavefront6targetE0EEEvT1_, .Lfunc_end1185-_ZN7rocprim17ROCPRIM_400000_NS6detail17trampoline_kernelINS0_14default_configENS1_25partition_config_selectorILNS1_17partition_subalgoE6EtNS0_10empty_typeEbEEZZNS1_14partition_implILS5_6ELb0ES3_mN6thrust23THRUST_200600_302600_NS6detail15normal_iteratorINSA_10device_ptrItEEEEPS6_SG_NS0_5tupleIJSF_S6_EEENSH_IJSG_SG_EEES6_PlJNSB_9not_fun_tI7is_trueItEEEEEE10hipError_tPvRmT3_T4_T5_T6_T7_T9_mT8_P12ihipStream_tbDpT10_ENKUlT_T0_E_clISt17integral_constantIbLb1EES18_EEDaS13_S14_EUlS13_E_NS1_11comp_targetILNS1_3genE2ELNS1_11target_archE906ELNS1_3gpuE6ELNS1_3repE0EEENS1_30default_config_static_selectorELNS0_4arch9wavefront6targetE0EEEvT1_
                                        ; -- End function
	.set _ZN7rocprim17ROCPRIM_400000_NS6detail17trampoline_kernelINS0_14default_configENS1_25partition_config_selectorILNS1_17partition_subalgoE6EtNS0_10empty_typeEbEEZZNS1_14partition_implILS5_6ELb0ES3_mN6thrust23THRUST_200600_302600_NS6detail15normal_iteratorINSA_10device_ptrItEEEEPS6_SG_NS0_5tupleIJSF_S6_EEENSH_IJSG_SG_EEES6_PlJNSB_9not_fun_tI7is_trueItEEEEEE10hipError_tPvRmT3_T4_T5_T6_T7_T9_mT8_P12ihipStream_tbDpT10_ENKUlT_T0_E_clISt17integral_constantIbLb1EES18_EEDaS13_S14_EUlS13_E_NS1_11comp_targetILNS1_3genE2ELNS1_11target_archE906ELNS1_3gpuE6ELNS1_3repE0EEENS1_30default_config_static_selectorELNS0_4arch9wavefront6targetE0EEEvT1_.num_vgpr, 0
	.set _ZN7rocprim17ROCPRIM_400000_NS6detail17trampoline_kernelINS0_14default_configENS1_25partition_config_selectorILNS1_17partition_subalgoE6EtNS0_10empty_typeEbEEZZNS1_14partition_implILS5_6ELb0ES3_mN6thrust23THRUST_200600_302600_NS6detail15normal_iteratorINSA_10device_ptrItEEEEPS6_SG_NS0_5tupleIJSF_S6_EEENSH_IJSG_SG_EEES6_PlJNSB_9not_fun_tI7is_trueItEEEEEE10hipError_tPvRmT3_T4_T5_T6_T7_T9_mT8_P12ihipStream_tbDpT10_ENKUlT_T0_E_clISt17integral_constantIbLb1EES18_EEDaS13_S14_EUlS13_E_NS1_11comp_targetILNS1_3genE2ELNS1_11target_archE906ELNS1_3gpuE6ELNS1_3repE0EEENS1_30default_config_static_selectorELNS0_4arch9wavefront6targetE0EEEvT1_.num_agpr, 0
	.set _ZN7rocprim17ROCPRIM_400000_NS6detail17trampoline_kernelINS0_14default_configENS1_25partition_config_selectorILNS1_17partition_subalgoE6EtNS0_10empty_typeEbEEZZNS1_14partition_implILS5_6ELb0ES3_mN6thrust23THRUST_200600_302600_NS6detail15normal_iteratorINSA_10device_ptrItEEEEPS6_SG_NS0_5tupleIJSF_S6_EEENSH_IJSG_SG_EEES6_PlJNSB_9not_fun_tI7is_trueItEEEEEE10hipError_tPvRmT3_T4_T5_T6_T7_T9_mT8_P12ihipStream_tbDpT10_ENKUlT_T0_E_clISt17integral_constantIbLb1EES18_EEDaS13_S14_EUlS13_E_NS1_11comp_targetILNS1_3genE2ELNS1_11target_archE906ELNS1_3gpuE6ELNS1_3repE0EEENS1_30default_config_static_selectorELNS0_4arch9wavefront6targetE0EEEvT1_.numbered_sgpr, 0
	.set _ZN7rocprim17ROCPRIM_400000_NS6detail17trampoline_kernelINS0_14default_configENS1_25partition_config_selectorILNS1_17partition_subalgoE6EtNS0_10empty_typeEbEEZZNS1_14partition_implILS5_6ELb0ES3_mN6thrust23THRUST_200600_302600_NS6detail15normal_iteratorINSA_10device_ptrItEEEEPS6_SG_NS0_5tupleIJSF_S6_EEENSH_IJSG_SG_EEES6_PlJNSB_9not_fun_tI7is_trueItEEEEEE10hipError_tPvRmT3_T4_T5_T6_T7_T9_mT8_P12ihipStream_tbDpT10_ENKUlT_T0_E_clISt17integral_constantIbLb1EES18_EEDaS13_S14_EUlS13_E_NS1_11comp_targetILNS1_3genE2ELNS1_11target_archE906ELNS1_3gpuE6ELNS1_3repE0EEENS1_30default_config_static_selectorELNS0_4arch9wavefront6targetE0EEEvT1_.num_named_barrier, 0
	.set _ZN7rocprim17ROCPRIM_400000_NS6detail17trampoline_kernelINS0_14default_configENS1_25partition_config_selectorILNS1_17partition_subalgoE6EtNS0_10empty_typeEbEEZZNS1_14partition_implILS5_6ELb0ES3_mN6thrust23THRUST_200600_302600_NS6detail15normal_iteratorINSA_10device_ptrItEEEEPS6_SG_NS0_5tupleIJSF_S6_EEENSH_IJSG_SG_EEES6_PlJNSB_9not_fun_tI7is_trueItEEEEEE10hipError_tPvRmT3_T4_T5_T6_T7_T9_mT8_P12ihipStream_tbDpT10_ENKUlT_T0_E_clISt17integral_constantIbLb1EES18_EEDaS13_S14_EUlS13_E_NS1_11comp_targetILNS1_3genE2ELNS1_11target_archE906ELNS1_3gpuE6ELNS1_3repE0EEENS1_30default_config_static_selectorELNS0_4arch9wavefront6targetE0EEEvT1_.private_seg_size, 0
	.set _ZN7rocprim17ROCPRIM_400000_NS6detail17trampoline_kernelINS0_14default_configENS1_25partition_config_selectorILNS1_17partition_subalgoE6EtNS0_10empty_typeEbEEZZNS1_14partition_implILS5_6ELb0ES3_mN6thrust23THRUST_200600_302600_NS6detail15normal_iteratorINSA_10device_ptrItEEEEPS6_SG_NS0_5tupleIJSF_S6_EEENSH_IJSG_SG_EEES6_PlJNSB_9not_fun_tI7is_trueItEEEEEE10hipError_tPvRmT3_T4_T5_T6_T7_T9_mT8_P12ihipStream_tbDpT10_ENKUlT_T0_E_clISt17integral_constantIbLb1EES18_EEDaS13_S14_EUlS13_E_NS1_11comp_targetILNS1_3genE2ELNS1_11target_archE906ELNS1_3gpuE6ELNS1_3repE0EEENS1_30default_config_static_selectorELNS0_4arch9wavefront6targetE0EEEvT1_.uses_vcc, 0
	.set _ZN7rocprim17ROCPRIM_400000_NS6detail17trampoline_kernelINS0_14default_configENS1_25partition_config_selectorILNS1_17partition_subalgoE6EtNS0_10empty_typeEbEEZZNS1_14partition_implILS5_6ELb0ES3_mN6thrust23THRUST_200600_302600_NS6detail15normal_iteratorINSA_10device_ptrItEEEEPS6_SG_NS0_5tupleIJSF_S6_EEENSH_IJSG_SG_EEES6_PlJNSB_9not_fun_tI7is_trueItEEEEEE10hipError_tPvRmT3_T4_T5_T6_T7_T9_mT8_P12ihipStream_tbDpT10_ENKUlT_T0_E_clISt17integral_constantIbLb1EES18_EEDaS13_S14_EUlS13_E_NS1_11comp_targetILNS1_3genE2ELNS1_11target_archE906ELNS1_3gpuE6ELNS1_3repE0EEENS1_30default_config_static_selectorELNS0_4arch9wavefront6targetE0EEEvT1_.uses_flat_scratch, 0
	.set _ZN7rocprim17ROCPRIM_400000_NS6detail17trampoline_kernelINS0_14default_configENS1_25partition_config_selectorILNS1_17partition_subalgoE6EtNS0_10empty_typeEbEEZZNS1_14partition_implILS5_6ELb0ES3_mN6thrust23THRUST_200600_302600_NS6detail15normal_iteratorINSA_10device_ptrItEEEEPS6_SG_NS0_5tupleIJSF_S6_EEENSH_IJSG_SG_EEES6_PlJNSB_9not_fun_tI7is_trueItEEEEEE10hipError_tPvRmT3_T4_T5_T6_T7_T9_mT8_P12ihipStream_tbDpT10_ENKUlT_T0_E_clISt17integral_constantIbLb1EES18_EEDaS13_S14_EUlS13_E_NS1_11comp_targetILNS1_3genE2ELNS1_11target_archE906ELNS1_3gpuE6ELNS1_3repE0EEENS1_30default_config_static_selectorELNS0_4arch9wavefront6targetE0EEEvT1_.has_dyn_sized_stack, 0
	.set _ZN7rocprim17ROCPRIM_400000_NS6detail17trampoline_kernelINS0_14default_configENS1_25partition_config_selectorILNS1_17partition_subalgoE6EtNS0_10empty_typeEbEEZZNS1_14partition_implILS5_6ELb0ES3_mN6thrust23THRUST_200600_302600_NS6detail15normal_iteratorINSA_10device_ptrItEEEEPS6_SG_NS0_5tupleIJSF_S6_EEENSH_IJSG_SG_EEES6_PlJNSB_9not_fun_tI7is_trueItEEEEEE10hipError_tPvRmT3_T4_T5_T6_T7_T9_mT8_P12ihipStream_tbDpT10_ENKUlT_T0_E_clISt17integral_constantIbLb1EES18_EEDaS13_S14_EUlS13_E_NS1_11comp_targetILNS1_3genE2ELNS1_11target_archE906ELNS1_3gpuE6ELNS1_3repE0EEENS1_30default_config_static_selectorELNS0_4arch9wavefront6targetE0EEEvT1_.has_recursion, 0
	.set _ZN7rocprim17ROCPRIM_400000_NS6detail17trampoline_kernelINS0_14default_configENS1_25partition_config_selectorILNS1_17partition_subalgoE6EtNS0_10empty_typeEbEEZZNS1_14partition_implILS5_6ELb0ES3_mN6thrust23THRUST_200600_302600_NS6detail15normal_iteratorINSA_10device_ptrItEEEEPS6_SG_NS0_5tupleIJSF_S6_EEENSH_IJSG_SG_EEES6_PlJNSB_9not_fun_tI7is_trueItEEEEEE10hipError_tPvRmT3_T4_T5_T6_T7_T9_mT8_P12ihipStream_tbDpT10_ENKUlT_T0_E_clISt17integral_constantIbLb1EES18_EEDaS13_S14_EUlS13_E_NS1_11comp_targetILNS1_3genE2ELNS1_11target_archE906ELNS1_3gpuE6ELNS1_3repE0EEENS1_30default_config_static_selectorELNS0_4arch9wavefront6targetE0EEEvT1_.has_indirect_call, 0
	.section	.AMDGPU.csdata,"",@progbits
; Kernel info:
; codeLenInByte = 0
; TotalNumSgprs: 0
; NumVgprs: 0
; ScratchSize: 0
; MemoryBound: 0
; FloatMode: 240
; IeeeMode: 1
; LDSByteSize: 0 bytes/workgroup (compile time only)
; SGPRBlocks: 0
; VGPRBlocks: 0
; NumSGPRsForWavesPerEU: 1
; NumVGPRsForWavesPerEU: 1
; Occupancy: 16
; WaveLimiterHint : 0
; COMPUTE_PGM_RSRC2:SCRATCH_EN: 0
; COMPUTE_PGM_RSRC2:USER_SGPR: 2
; COMPUTE_PGM_RSRC2:TRAP_HANDLER: 0
; COMPUTE_PGM_RSRC2:TGID_X_EN: 1
; COMPUTE_PGM_RSRC2:TGID_Y_EN: 0
; COMPUTE_PGM_RSRC2:TGID_Z_EN: 0
; COMPUTE_PGM_RSRC2:TIDIG_COMP_CNT: 0
	.section	.text._ZN7rocprim17ROCPRIM_400000_NS6detail17trampoline_kernelINS0_14default_configENS1_25partition_config_selectorILNS1_17partition_subalgoE6EtNS0_10empty_typeEbEEZZNS1_14partition_implILS5_6ELb0ES3_mN6thrust23THRUST_200600_302600_NS6detail15normal_iteratorINSA_10device_ptrItEEEEPS6_SG_NS0_5tupleIJSF_S6_EEENSH_IJSG_SG_EEES6_PlJNSB_9not_fun_tI7is_trueItEEEEEE10hipError_tPvRmT3_T4_T5_T6_T7_T9_mT8_P12ihipStream_tbDpT10_ENKUlT_T0_E_clISt17integral_constantIbLb1EES18_EEDaS13_S14_EUlS13_E_NS1_11comp_targetILNS1_3genE10ELNS1_11target_archE1200ELNS1_3gpuE4ELNS1_3repE0EEENS1_30default_config_static_selectorELNS0_4arch9wavefront6targetE0EEEvT1_,"axG",@progbits,_ZN7rocprim17ROCPRIM_400000_NS6detail17trampoline_kernelINS0_14default_configENS1_25partition_config_selectorILNS1_17partition_subalgoE6EtNS0_10empty_typeEbEEZZNS1_14partition_implILS5_6ELb0ES3_mN6thrust23THRUST_200600_302600_NS6detail15normal_iteratorINSA_10device_ptrItEEEEPS6_SG_NS0_5tupleIJSF_S6_EEENSH_IJSG_SG_EEES6_PlJNSB_9not_fun_tI7is_trueItEEEEEE10hipError_tPvRmT3_T4_T5_T6_T7_T9_mT8_P12ihipStream_tbDpT10_ENKUlT_T0_E_clISt17integral_constantIbLb1EES18_EEDaS13_S14_EUlS13_E_NS1_11comp_targetILNS1_3genE10ELNS1_11target_archE1200ELNS1_3gpuE4ELNS1_3repE0EEENS1_30default_config_static_selectorELNS0_4arch9wavefront6targetE0EEEvT1_,comdat
	.protected	_ZN7rocprim17ROCPRIM_400000_NS6detail17trampoline_kernelINS0_14default_configENS1_25partition_config_selectorILNS1_17partition_subalgoE6EtNS0_10empty_typeEbEEZZNS1_14partition_implILS5_6ELb0ES3_mN6thrust23THRUST_200600_302600_NS6detail15normal_iteratorINSA_10device_ptrItEEEEPS6_SG_NS0_5tupleIJSF_S6_EEENSH_IJSG_SG_EEES6_PlJNSB_9not_fun_tI7is_trueItEEEEEE10hipError_tPvRmT3_T4_T5_T6_T7_T9_mT8_P12ihipStream_tbDpT10_ENKUlT_T0_E_clISt17integral_constantIbLb1EES18_EEDaS13_S14_EUlS13_E_NS1_11comp_targetILNS1_3genE10ELNS1_11target_archE1200ELNS1_3gpuE4ELNS1_3repE0EEENS1_30default_config_static_selectorELNS0_4arch9wavefront6targetE0EEEvT1_ ; -- Begin function _ZN7rocprim17ROCPRIM_400000_NS6detail17trampoline_kernelINS0_14default_configENS1_25partition_config_selectorILNS1_17partition_subalgoE6EtNS0_10empty_typeEbEEZZNS1_14partition_implILS5_6ELb0ES3_mN6thrust23THRUST_200600_302600_NS6detail15normal_iteratorINSA_10device_ptrItEEEEPS6_SG_NS0_5tupleIJSF_S6_EEENSH_IJSG_SG_EEES6_PlJNSB_9not_fun_tI7is_trueItEEEEEE10hipError_tPvRmT3_T4_T5_T6_T7_T9_mT8_P12ihipStream_tbDpT10_ENKUlT_T0_E_clISt17integral_constantIbLb1EES18_EEDaS13_S14_EUlS13_E_NS1_11comp_targetILNS1_3genE10ELNS1_11target_archE1200ELNS1_3gpuE4ELNS1_3repE0EEENS1_30default_config_static_selectorELNS0_4arch9wavefront6targetE0EEEvT1_
	.globl	_ZN7rocprim17ROCPRIM_400000_NS6detail17trampoline_kernelINS0_14default_configENS1_25partition_config_selectorILNS1_17partition_subalgoE6EtNS0_10empty_typeEbEEZZNS1_14partition_implILS5_6ELb0ES3_mN6thrust23THRUST_200600_302600_NS6detail15normal_iteratorINSA_10device_ptrItEEEEPS6_SG_NS0_5tupleIJSF_S6_EEENSH_IJSG_SG_EEES6_PlJNSB_9not_fun_tI7is_trueItEEEEEE10hipError_tPvRmT3_T4_T5_T6_T7_T9_mT8_P12ihipStream_tbDpT10_ENKUlT_T0_E_clISt17integral_constantIbLb1EES18_EEDaS13_S14_EUlS13_E_NS1_11comp_targetILNS1_3genE10ELNS1_11target_archE1200ELNS1_3gpuE4ELNS1_3repE0EEENS1_30default_config_static_selectorELNS0_4arch9wavefront6targetE0EEEvT1_
	.p2align	8
	.type	_ZN7rocprim17ROCPRIM_400000_NS6detail17trampoline_kernelINS0_14default_configENS1_25partition_config_selectorILNS1_17partition_subalgoE6EtNS0_10empty_typeEbEEZZNS1_14partition_implILS5_6ELb0ES3_mN6thrust23THRUST_200600_302600_NS6detail15normal_iteratorINSA_10device_ptrItEEEEPS6_SG_NS0_5tupleIJSF_S6_EEENSH_IJSG_SG_EEES6_PlJNSB_9not_fun_tI7is_trueItEEEEEE10hipError_tPvRmT3_T4_T5_T6_T7_T9_mT8_P12ihipStream_tbDpT10_ENKUlT_T0_E_clISt17integral_constantIbLb1EES18_EEDaS13_S14_EUlS13_E_NS1_11comp_targetILNS1_3genE10ELNS1_11target_archE1200ELNS1_3gpuE4ELNS1_3repE0EEENS1_30default_config_static_selectorELNS0_4arch9wavefront6targetE0EEEvT1_,@function
_ZN7rocprim17ROCPRIM_400000_NS6detail17trampoline_kernelINS0_14default_configENS1_25partition_config_selectorILNS1_17partition_subalgoE6EtNS0_10empty_typeEbEEZZNS1_14partition_implILS5_6ELb0ES3_mN6thrust23THRUST_200600_302600_NS6detail15normal_iteratorINSA_10device_ptrItEEEEPS6_SG_NS0_5tupleIJSF_S6_EEENSH_IJSG_SG_EEES6_PlJNSB_9not_fun_tI7is_trueItEEEEEE10hipError_tPvRmT3_T4_T5_T6_T7_T9_mT8_P12ihipStream_tbDpT10_ENKUlT_T0_E_clISt17integral_constantIbLb1EES18_EEDaS13_S14_EUlS13_E_NS1_11comp_targetILNS1_3genE10ELNS1_11target_archE1200ELNS1_3gpuE4ELNS1_3repE0EEENS1_30default_config_static_selectorELNS0_4arch9wavefront6targetE0EEEvT1_: ; @_ZN7rocprim17ROCPRIM_400000_NS6detail17trampoline_kernelINS0_14default_configENS1_25partition_config_selectorILNS1_17partition_subalgoE6EtNS0_10empty_typeEbEEZZNS1_14partition_implILS5_6ELb0ES3_mN6thrust23THRUST_200600_302600_NS6detail15normal_iteratorINSA_10device_ptrItEEEEPS6_SG_NS0_5tupleIJSF_S6_EEENSH_IJSG_SG_EEES6_PlJNSB_9not_fun_tI7is_trueItEEEEEE10hipError_tPvRmT3_T4_T5_T6_T7_T9_mT8_P12ihipStream_tbDpT10_ENKUlT_T0_E_clISt17integral_constantIbLb1EES18_EEDaS13_S14_EUlS13_E_NS1_11comp_targetILNS1_3genE10ELNS1_11target_archE1200ELNS1_3gpuE4ELNS1_3repE0EEENS1_30default_config_static_selectorELNS0_4arch9wavefront6targetE0EEEvT1_
; %bb.0:
	s_endpgm
	.section	.rodata,"a",@progbits
	.p2align	6, 0x0
	.amdhsa_kernel _ZN7rocprim17ROCPRIM_400000_NS6detail17trampoline_kernelINS0_14default_configENS1_25partition_config_selectorILNS1_17partition_subalgoE6EtNS0_10empty_typeEbEEZZNS1_14partition_implILS5_6ELb0ES3_mN6thrust23THRUST_200600_302600_NS6detail15normal_iteratorINSA_10device_ptrItEEEEPS6_SG_NS0_5tupleIJSF_S6_EEENSH_IJSG_SG_EEES6_PlJNSB_9not_fun_tI7is_trueItEEEEEE10hipError_tPvRmT3_T4_T5_T6_T7_T9_mT8_P12ihipStream_tbDpT10_ENKUlT_T0_E_clISt17integral_constantIbLb1EES18_EEDaS13_S14_EUlS13_E_NS1_11comp_targetILNS1_3genE10ELNS1_11target_archE1200ELNS1_3gpuE4ELNS1_3repE0EEENS1_30default_config_static_selectorELNS0_4arch9wavefront6targetE0EEEvT1_
		.amdhsa_group_segment_fixed_size 0
		.amdhsa_private_segment_fixed_size 0
		.amdhsa_kernarg_size 128
		.amdhsa_user_sgpr_count 2
		.amdhsa_user_sgpr_dispatch_ptr 0
		.amdhsa_user_sgpr_queue_ptr 0
		.amdhsa_user_sgpr_kernarg_segment_ptr 1
		.amdhsa_user_sgpr_dispatch_id 0
		.amdhsa_user_sgpr_private_segment_size 0
		.amdhsa_wavefront_size32 1
		.amdhsa_uses_dynamic_stack 0
		.amdhsa_enable_private_segment 0
		.amdhsa_system_sgpr_workgroup_id_x 1
		.amdhsa_system_sgpr_workgroup_id_y 0
		.amdhsa_system_sgpr_workgroup_id_z 0
		.amdhsa_system_sgpr_workgroup_info 0
		.amdhsa_system_vgpr_workitem_id 0
		.amdhsa_next_free_vgpr 1
		.amdhsa_next_free_sgpr 1
		.amdhsa_reserve_vcc 0
		.amdhsa_float_round_mode_32 0
		.amdhsa_float_round_mode_16_64 0
		.amdhsa_float_denorm_mode_32 3
		.amdhsa_float_denorm_mode_16_64 3
		.amdhsa_fp16_overflow 0
		.amdhsa_workgroup_processor_mode 1
		.amdhsa_memory_ordered 1
		.amdhsa_forward_progress 1
		.amdhsa_inst_pref_size 1
		.amdhsa_round_robin_scheduling 0
		.amdhsa_exception_fp_ieee_invalid_op 0
		.amdhsa_exception_fp_denorm_src 0
		.amdhsa_exception_fp_ieee_div_zero 0
		.amdhsa_exception_fp_ieee_overflow 0
		.amdhsa_exception_fp_ieee_underflow 0
		.amdhsa_exception_fp_ieee_inexact 0
		.amdhsa_exception_int_div_zero 0
	.end_amdhsa_kernel
	.section	.text._ZN7rocprim17ROCPRIM_400000_NS6detail17trampoline_kernelINS0_14default_configENS1_25partition_config_selectorILNS1_17partition_subalgoE6EtNS0_10empty_typeEbEEZZNS1_14partition_implILS5_6ELb0ES3_mN6thrust23THRUST_200600_302600_NS6detail15normal_iteratorINSA_10device_ptrItEEEEPS6_SG_NS0_5tupleIJSF_S6_EEENSH_IJSG_SG_EEES6_PlJNSB_9not_fun_tI7is_trueItEEEEEE10hipError_tPvRmT3_T4_T5_T6_T7_T9_mT8_P12ihipStream_tbDpT10_ENKUlT_T0_E_clISt17integral_constantIbLb1EES18_EEDaS13_S14_EUlS13_E_NS1_11comp_targetILNS1_3genE10ELNS1_11target_archE1200ELNS1_3gpuE4ELNS1_3repE0EEENS1_30default_config_static_selectorELNS0_4arch9wavefront6targetE0EEEvT1_,"axG",@progbits,_ZN7rocprim17ROCPRIM_400000_NS6detail17trampoline_kernelINS0_14default_configENS1_25partition_config_selectorILNS1_17partition_subalgoE6EtNS0_10empty_typeEbEEZZNS1_14partition_implILS5_6ELb0ES3_mN6thrust23THRUST_200600_302600_NS6detail15normal_iteratorINSA_10device_ptrItEEEEPS6_SG_NS0_5tupleIJSF_S6_EEENSH_IJSG_SG_EEES6_PlJNSB_9not_fun_tI7is_trueItEEEEEE10hipError_tPvRmT3_T4_T5_T6_T7_T9_mT8_P12ihipStream_tbDpT10_ENKUlT_T0_E_clISt17integral_constantIbLb1EES18_EEDaS13_S14_EUlS13_E_NS1_11comp_targetILNS1_3genE10ELNS1_11target_archE1200ELNS1_3gpuE4ELNS1_3repE0EEENS1_30default_config_static_selectorELNS0_4arch9wavefront6targetE0EEEvT1_,comdat
.Lfunc_end1186:
	.size	_ZN7rocprim17ROCPRIM_400000_NS6detail17trampoline_kernelINS0_14default_configENS1_25partition_config_selectorILNS1_17partition_subalgoE6EtNS0_10empty_typeEbEEZZNS1_14partition_implILS5_6ELb0ES3_mN6thrust23THRUST_200600_302600_NS6detail15normal_iteratorINSA_10device_ptrItEEEEPS6_SG_NS0_5tupleIJSF_S6_EEENSH_IJSG_SG_EEES6_PlJNSB_9not_fun_tI7is_trueItEEEEEE10hipError_tPvRmT3_T4_T5_T6_T7_T9_mT8_P12ihipStream_tbDpT10_ENKUlT_T0_E_clISt17integral_constantIbLb1EES18_EEDaS13_S14_EUlS13_E_NS1_11comp_targetILNS1_3genE10ELNS1_11target_archE1200ELNS1_3gpuE4ELNS1_3repE0EEENS1_30default_config_static_selectorELNS0_4arch9wavefront6targetE0EEEvT1_, .Lfunc_end1186-_ZN7rocprim17ROCPRIM_400000_NS6detail17trampoline_kernelINS0_14default_configENS1_25partition_config_selectorILNS1_17partition_subalgoE6EtNS0_10empty_typeEbEEZZNS1_14partition_implILS5_6ELb0ES3_mN6thrust23THRUST_200600_302600_NS6detail15normal_iteratorINSA_10device_ptrItEEEEPS6_SG_NS0_5tupleIJSF_S6_EEENSH_IJSG_SG_EEES6_PlJNSB_9not_fun_tI7is_trueItEEEEEE10hipError_tPvRmT3_T4_T5_T6_T7_T9_mT8_P12ihipStream_tbDpT10_ENKUlT_T0_E_clISt17integral_constantIbLb1EES18_EEDaS13_S14_EUlS13_E_NS1_11comp_targetILNS1_3genE10ELNS1_11target_archE1200ELNS1_3gpuE4ELNS1_3repE0EEENS1_30default_config_static_selectorELNS0_4arch9wavefront6targetE0EEEvT1_
                                        ; -- End function
	.set _ZN7rocprim17ROCPRIM_400000_NS6detail17trampoline_kernelINS0_14default_configENS1_25partition_config_selectorILNS1_17partition_subalgoE6EtNS0_10empty_typeEbEEZZNS1_14partition_implILS5_6ELb0ES3_mN6thrust23THRUST_200600_302600_NS6detail15normal_iteratorINSA_10device_ptrItEEEEPS6_SG_NS0_5tupleIJSF_S6_EEENSH_IJSG_SG_EEES6_PlJNSB_9not_fun_tI7is_trueItEEEEEE10hipError_tPvRmT3_T4_T5_T6_T7_T9_mT8_P12ihipStream_tbDpT10_ENKUlT_T0_E_clISt17integral_constantIbLb1EES18_EEDaS13_S14_EUlS13_E_NS1_11comp_targetILNS1_3genE10ELNS1_11target_archE1200ELNS1_3gpuE4ELNS1_3repE0EEENS1_30default_config_static_selectorELNS0_4arch9wavefront6targetE0EEEvT1_.num_vgpr, 0
	.set _ZN7rocprim17ROCPRIM_400000_NS6detail17trampoline_kernelINS0_14default_configENS1_25partition_config_selectorILNS1_17partition_subalgoE6EtNS0_10empty_typeEbEEZZNS1_14partition_implILS5_6ELb0ES3_mN6thrust23THRUST_200600_302600_NS6detail15normal_iteratorINSA_10device_ptrItEEEEPS6_SG_NS0_5tupleIJSF_S6_EEENSH_IJSG_SG_EEES6_PlJNSB_9not_fun_tI7is_trueItEEEEEE10hipError_tPvRmT3_T4_T5_T6_T7_T9_mT8_P12ihipStream_tbDpT10_ENKUlT_T0_E_clISt17integral_constantIbLb1EES18_EEDaS13_S14_EUlS13_E_NS1_11comp_targetILNS1_3genE10ELNS1_11target_archE1200ELNS1_3gpuE4ELNS1_3repE0EEENS1_30default_config_static_selectorELNS0_4arch9wavefront6targetE0EEEvT1_.num_agpr, 0
	.set _ZN7rocprim17ROCPRIM_400000_NS6detail17trampoline_kernelINS0_14default_configENS1_25partition_config_selectorILNS1_17partition_subalgoE6EtNS0_10empty_typeEbEEZZNS1_14partition_implILS5_6ELb0ES3_mN6thrust23THRUST_200600_302600_NS6detail15normal_iteratorINSA_10device_ptrItEEEEPS6_SG_NS0_5tupleIJSF_S6_EEENSH_IJSG_SG_EEES6_PlJNSB_9not_fun_tI7is_trueItEEEEEE10hipError_tPvRmT3_T4_T5_T6_T7_T9_mT8_P12ihipStream_tbDpT10_ENKUlT_T0_E_clISt17integral_constantIbLb1EES18_EEDaS13_S14_EUlS13_E_NS1_11comp_targetILNS1_3genE10ELNS1_11target_archE1200ELNS1_3gpuE4ELNS1_3repE0EEENS1_30default_config_static_selectorELNS0_4arch9wavefront6targetE0EEEvT1_.numbered_sgpr, 0
	.set _ZN7rocprim17ROCPRIM_400000_NS6detail17trampoline_kernelINS0_14default_configENS1_25partition_config_selectorILNS1_17partition_subalgoE6EtNS0_10empty_typeEbEEZZNS1_14partition_implILS5_6ELb0ES3_mN6thrust23THRUST_200600_302600_NS6detail15normal_iteratorINSA_10device_ptrItEEEEPS6_SG_NS0_5tupleIJSF_S6_EEENSH_IJSG_SG_EEES6_PlJNSB_9not_fun_tI7is_trueItEEEEEE10hipError_tPvRmT3_T4_T5_T6_T7_T9_mT8_P12ihipStream_tbDpT10_ENKUlT_T0_E_clISt17integral_constantIbLb1EES18_EEDaS13_S14_EUlS13_E_NS1_11comp_targetILNS1_3genE10ELNS1_11target_archE1200ELNS1_3gpuE4ELNS1_3repE0EEENS1_30default_config_static_selectorELNS0_4arch9wavefront6targetE0EEEvT1_.num_named_barrier, 0
	.set _ZN7rocprim17ROCPRIM_400000_NS6detail17trampoline_kernelINS0_14default_configENS1_25partition_config_selectorILNS1_17partition_subalgoE6EtNS0_10empty_typeEbEEZZNS1_14partition_implILS5_6ELb0ES3_mN6thrust23THRUST_200600_302600_NS6detail15normal_iteratorINSA_10device_ptrItEEEEPS6_SG_NS0_5tupleIJSF_S6_EEENSH_IJSG_SG_EEES6_PlJNSB_9not_fun_tI7is_trueItEEEEEE10hipError_tPvRmT3_T4_T5_T6_T7_T9_mT8_P12ihipStream_tbDpT10_ENKUlT_T0_E_clISt17integral_constantIbLb1EES18_EEDaS13_S14_EUlS13_E_NS1_11comp_targetILNS1_3genE10ELNS1_11target_archE1200ELNS1_3gpuE4ELNS1_3repE0EEENS1_30default_config_static_selectorELNS0_4arch9wavefront6targetE0EEEvT1_.private_seg_size, 0
	.set _ZN7rocprim17ROCPRIM_400000_NS6detail17trampoline_kernelINS0_14default_configENS1_25partition_config_selectorILNS1_17partition_subalgoE6EtNS0_10empty_typeEbEEZZNS1_14partition_implILS5_6ELb0ES3_mN6thrust23THRUST_200600_302600_NS6detail15normal_iteratorINSA_10device_ptrItEEEEPS6_SG_NS0_5tupleIJSF_S6_EEENSH_IJSG_SG_EEES6_PlJNSB_9not_fun_tI7is_trueItEEEEEE10hipError_tPvRmT3_T4_T5_T6_T7_T9_mT8_P12ihipStream_tbDpT10_ENKUlT_T0_E_clISt17integral_constantIbLb1EES18_EEDaS13_S14_EUlS13_E_NS1_11comp_targetILNS1_3genE10ELNS1_11target_archE1200ELNS1_3gpuE4ELNS1_3repE0EEENS1_30default_config_static_selectorELNS0_4arch9wavefront6targetE0EEEvT1_.uses_vcc, 0
	.set _ZN7rocprim17ROCPRIM_400000_NS6detail17trampoline_kernelINS0_14default_configENS1_25partition_config_selectorILNS1_17partition_subalgoE6EtNS0_10empty_typeEbEEZZNS1_14partition_implILS5_6ELb0ES3_mN6thrust23THRUST_200600_302600_NS6detail15normal_iteratorINSA_10device_ptrItEEEEPS6_SG_NS0_5tupleIJSF_S6_EEENSH_IJSG_SG_EEES6_PlJNSB_9not_fun_tI7is_trueItEEEEEE10hipError_tPvRmT3_T4_T5_T6_T7_T9_mT8_P12ihipStream_tbDpT10_ENKUlT_T0_E_clISt17integral_constantIbLb1EES18_EEDaS13_S14_EUlS13_E_NS1_11comp_targetILNS1_3genE10ELNS1_11target_archE1200ELNS1_3gpuE4ELNS1_3repE0EEENS1_30default_config_static_selectorELNS0_4arch9wavefront6targetE0EEEvT1_.uses_flat_scratch, 0
	.set _ZN7rocprim17ROCPRIM_400000_NS6detail17trampoline_kernelINS0_14default_configENS1_25partition_config_selectorILNS1_17partition_subalgoE6EtNS0_10empty_typeEbEEZZNS1_14partition_implILS5_6ELb0ES3_mN6thrust23THRUST_200600_302600_NS6detail15normal_iteratorINSA_10device_ptrItEEEEPS6_SG_NS0_5tupleIJSF_S6_EEENSH_IJSG_SG_EEES6_PlJNSB_9not_fun_tI7is_trueItEEEEEE10hipError_tPvRmT3_T4_T5_T6_T7_T9_mT8_P12ihipStream_tbDpT10_ENKUlT_T0_E_clISt17integral_constantIbLb1EES18_EEDaS13_S14_EUlS13_E_NS1_11comp_targetILNS1_3genE10ELNS1_11target_archE1200ELNS1_3gpuE4ELNS1_3repE0EEENS1_30default_config_static_selectorELNS0_4arch9wavefront6targetE0EEEvT1_.has_dyn_sized_stack, 0
	.set _ZN7rocprim17ROCPRIM_400000_NS6detail17trampoline_kernelINS0_14default_configENS1_25partition_config_selectorILNS1_17partition_subalgoE6EtNS0_10empty_typeEbEEZZNS1_14partition_implILS5_6ELb0ES3_mN6thrust23THRUST_200600_302600_NS6detail15normal_iteratorINSA_10device_ptrItEEEEPS6_SG_NS0_5tupleIJSF_S6_EEENSH_IJSG_SG_EEES6_PlJNSB_9not_fun_tI7is_trueItEEEEEE10hipError_tPvRmT3_T4_T5_T6_T7_T9_mT8_P12ihipStream_tbDpT10_ENKUlT_T0_E_clISt17integral_constantIbLb1EES18_EEDaS13_S14_EUlS13_E_NS1_11comp_targetILNS1_3genE10ELNS1_11target_archE1200ELNS1_3gpuE4ELNS1_3repE0EEENS1_30default_config_static_selectorELNS0_4arch9wavefront6targetE0EEEvT1_.has_recursion, 0
	.set _ZN7rocprim17ROCPRIM_400000_NS6detail17trampoline_kernelINS0_14default_configENS1_25partition_config_selectorILNS1_17partition_subalgoE6EtNS0_10empty_typeEbEEZZNS1_14partition_implILS5_6ELb0ES3_mN6thrust23THRUST_200600_302600_NS6detail15normal_iteratorINSA_10device_ptrItEEEEPS6_SG_NS0_5tupleIJSF_S6_EEENSH_IJSG_SG_EEES6_PlJNSB_9not_fun_tI7is_trueItEEEEEE10hipError_tPvRmT3_T4_T5_T6_T7_T9_mT8_P12ihipStream_tbDpT10_ENKUlT_T0_E_clISt17integral_constantIbLb1EES18_EEDaS13_S14_EUlS13_E_NS1_11comp_targetILNS1_3genE10ELNS1_11target_archE1200ELNS1_3gpuE4ELNS1_3repE0EEENS1_30default_config_static_selectorELNS0_4arch9wavefront6targetE0EEEvT1_.has_indirect_call, 0
	.section	.AMDGPU.csdata,"",@progbits
; Kernel info:
; codeLenInByte = 4
; TotalNumSgprs: 0
; NumVgprs: 0
; ScratchSize: 0
; MemoryBound: 0
; FloatMode: 240
; IeeeMode: 1
; LDSByteSize: 0 bytes/workgroup (compile time only)
; SGPRBlocks: 0
; VGPRBlocks: 0
; NumSGPRsForWavesPerEU: 1
; NumVGPRsForWavesPerEU: 1
; Occupancy: 16
; WaveLimiterHint : 0
; COMPUTE_PGM_RSRC2:SCRATCH_EN: 0
; COMPUTE_PGM_RSRC2:USER_SGPR: 2
; COMPUTE_PGM_RSRC2:TRAP_HANDLER: 0
; COMPUTE_PGM_RSRC2:TGID_X_EN: 1
; COMPUTE_PGM_RSRC2:TGID_Y_EN: 0
; COMPUTE_PGM_RSRC2:TGID_Z_EN: 0
; COMPUTE_PGM_RSRC2:TIDIG_COMP_CNT: 0
	.section	.text._ZN7rocprim17ROCPRIM_400000_NS6detail17trampoline_kernelINS0_14default_configENS1_25partition_config_selectorILNS1_17partition_subalgoE6EtNS0_10empty_typeEbEEZZNS1_14partition_implILS5_6ELb0ES3_mN6thrust23THRUST_200600_302600_NS6detail15normal_iteratorINSA_10device_ptrItEEEEPS6_SG_NS0_5tupleIJSF_S6_EEENSH_IJSG_SG_EEES6_PlJNSB_9not_fun_tI7is_trueItEEEEEE10hipError_tPvRmT3_T4_T5_T6_T7_T9_mT8_P12ihipStream_tbDpT10_ENKUlT_T0_E_clISt17integral_constantIbLb1EES18_EEDaS13_S14_EUlS13_E_NS1_11comp_targetILNS1_3genE9ELNS1_11target_archE1100ELNS1_3gpuE3ELNS1_3repE0EEENS1_30default_config_static_selectorELNS0_4arch9wavefront6targetE0EEEvT1_,"axG",@progbits,_ZN7rocprim17ROCPRIM_400000_NS6detail17trampoline_kernelINS0_14default_configENS1_25partition_config_selectorILNS1_17partition_subalgoE6EtNS0_10empty_typeEbEEZZNS1_14partition_implILS5_6ELb0ES3_mN6thrust23THRUST_200600_302600_NS6detail15normal_iteratorINSA_10device_ptrItEEEEPS6_SG_NS0_5tupleIJSF_S6_EEENSH_IJSG_SG_EEES6_PlJNSB_9not_fun_tI7is_trueItEEEEEE10hipError_tPvRmT3_T4_T5_T6_T7_T9_mT8_P12ihipStream_tbDpT10_ENKUlT_T0_E_clISt17integral_constantIbLb1EES18_EEDaS13_S14_EUlS13_E_NS1_11comp_targetILNS1_3genE9ELNS1_11target_archE1100ELNS1_3gpuE3ELNS1_3repE0EEENS1_30default_config_static_selectorELNS0_4arch9wavefront6targetE0EEEvT1_,comdat
	.protected	_ZN7rocprim17ROCPRIM_400000_NS6detail17trampoline_kernelINS0_14default_configENS1_25partition_config_selectorILNS1_17partition_subalgoE6EtNS0_10empty_typeEbEEZZNS1_14partition_implILS5_6ELb0ES3_mN6thrust23THRUST_200600_302600_NS6detail15normal_iteratorINSA_10device_ptrItEEEEPS6_SG_NS0_5tupleIJSF_S6_EEENSH_IJSG_SG_EEES6_PlJNSB_9not_fun_tI7is_trueItEEEEEE10hipError_tPvRmT3_T4_T5_T6_T7_T9_mT8_P12ihipStream_tbDpT10_ENKUlT_T0_E_clISt17integral_constantIbLb1EES18_EEDaS13_S14_EUlS13_E_NS1_11comp_targetILNS1_3genE9ELNS1_11target_archE1100ELNS1_3gpuE3ELNS1_3repE0EEENS1_30default_config_static_selectorELNS0_4arch9wavefront6targetE0EEEvT1_ ; -- Begin function _ZN7rocprim17ROCPRIM_400000_NS6detail17trampoline_kernelINS0_14default_configENS1_25partition_config_selectorILNS1_17partition_subalgoE6EtNS0_10empty_typeEbEEZZNS1_14partition_implILS5_6ELb0ES3_mN6thrust23THRUST_200600_302600_NS6detail15normal_iteratorINSA_10device_ptrItEEEEPS6_SG_NS0_5tupleIJSF_S6_EEENSH_IJSG_SG_EEES6_PlJNSB_9not_fun_tI7is_trueItEEEEEE10hipError_tPvRmT3_T4_T5_T6_T7_T9_mT8_P12ihipStream_tbDpT10_ENKUlT_T0_E_clISt17integral_constantIbLb1EES18_EEDaS13_S14_EUlS13_E_NS1_11comp_targetILNS1_3genE9ELNS1_11target_archE1100ELNS1_3gpuE3ELNS1_3repE0EEENS1_30default_config_static_selectorELNS0_4arch9wavefront6targetE0EEEvT1_
	.globl	_ZN7rocprim17ROCPRIM_400000_NS6detail17trampoline_kernelINS0_14default_configENS1_25partition_config_selectorILNS1_17partition_subalgoE6EtNS0_10empty_typeEbEEZZNS1_14partition_implILS5_6ELb0ES3_mN6thrust23THRUST_200600_302600_NS6detail15normal_iteratorINSA_10device_ptrItEEEEPS6_SG_NS0_5tupleIJSF_S6_EEENSH_IJSG_SG_EEES6_PlJNSB_9not_fun_tI7is_trueItEEEEEE10hipError_tPvRmT3_T4_T5_T6_T7_T9_mT8_P12ihipStream_tbDpT10_ENKUlT_T0_E_clISt17integral_constantIbLb1EES18_EEDaS13_S14_EUlS13_E_NS1_11comp_targetILNS1_3genE9ELNS1_11target_archE1100ELNS1_3gpuE3ELNS1_3repE0EEENS1_30default_config_static_selectorELNS0_4arch9wavefront6targetE0EEEvT1_
	.p2align	8
	.type	_ZN7rocprim17ROCPRIM_400000_NS6detail17trampoline_kernelINS0_14default_configENS1_25partition_config_selectorILNS1_17partition_subalgoE6EtNS0_10empty_typeEbEEZZNS1_14partition_implILS5_6ELb0ES3_mN6thrust23THRUST_200600_302600_NS6detail15normal_iteratorINSA_10device_ptrItEEEEPS6_SG_NS0_5tupleIJSF_S6_EEENSH_IJSG_SG_EEES6_PlJNSB_9not_fun_tI7is_trueItEEEEEE10hipError_tPvRmT3_T4_T5_T6_T7_T9_mT8_P12ihipStream_tbDpT10_ENKUlT_T0_E_clISt17integral_constantIbLb1EES18_EEDaS13_S14_EUlS13_E_NS1_11comp_targetILNS1_3genE9ELNS1_11target_archE1100ELNS1_3gpuE3ELNS1_3repE0EEENS1_30default_config_static_selectorELNS0_4arch9wavefront6targetE0EEEvT1_,@function
_ZN7rocprim17ROCPRIM_400000_NS6detail17trampoline_kernelINS0_14default_configENS1_25partition_config_selectorILNS1_17partition_subalgoE6EtNS0_10empty_typeEbEEZZNS1_14partition_implILS5_6ELb0ES3_mN6thrust23THRUST_200600_302600_NS6detail15normal_iteratorINSA_10device_ptrItEEEEPS6_SG_NS0_5tupleIJSF_S6_EEENSH_IJSG_SG_EEES6_PlJNSB_9not_fun_tI7is_trueItEEEEEE10hipError_tPvRmT3_T4_T5_T6_T7_T9_mT8_P12ihipStream_tbDpT10_ENKUlT_T0_E_clISt17integral_constantIbLb1EES18_EEDaS13_S14_EUlS13_E_NS1_11comp_targetILNS1_3genE9ELNS1_11target_archE1100ELNS1_3gpuE3ELNS1_3repE0EEENS1_30default_config_static_selectorELNS0_4arch9wavefront6targetE0EEEvT1_: ; @_ZN7rocprim17ROCPRIM_400000_NS6detail17trampoline_kernelINS0_14default_configENS1_25partition_config_selectorILNS1_17partition_subalgoE6EtNS0_10empty_typeEbEEZZNS1_14partition_implILS5_6ELb0ES3_mN6thrust23THRUST_200600_302600_NS6detail15normal_iteratorINSA_10device_ptrItEEEEPS6_SG_NS0_5tupleIJSF_S6_EEENSH_IJSG_SG_EEES6_PlJNSB_9not_fun_tI7is_trueItEEEEEE10hipError_tPvRmT3_T4_T5_T6_T7_T9_mT8_P12ihipStream_tbDpT10_ENKUlT_T0_E_clISt17integral_constantIbLb1EES18_EEDaS13_S14_EUlS13_E_NS1_11comp_targetILNS1_3genE9ELNS1_11target_archE1100ELNS1_3gpuE3ELNS1_3repE0EEENS1_30default_config_static_selectorELNS0_4arch9wavefront6targetE0EEEvT1_
; %bb.0:
	.section	.rodata,"a",@progbits
	.p2align	6, 0x0
	.amdhsa_kernel _ZN7rocprim17ROCPRIM_400000_NS6detail17trampoline_kernelINS0_14default_configENS1_25partition_config_selectorILNS1_17partition_subalgoE6EtNS0_10empty_typeEbEEZZNS1_14partition_implILS5_6ELb0ES3_mN6thrust23THRUST_200600_302600_NS6detail15normal_iteratorINSA_10device_ptrItEEEEPS6_SG_NS0_5tupleIJSF_S6_EEENSH_IJSG_SG_EEES6_PlJNSB_9not_fun_tI7is_trueItEEEEEE10hipError_tPvRmT3_T4_T5_T6_T7_T9_mT8_P12ihipStream_tbDpT10_ENKUlT_T0_E_clISt17integral_constantIbLb1EES18_EEDaS13_S14_EUlS13_E_NS1_11comp_targetILNS1_3genE9ELNS1_11target_archE1100ELNS1_3gpuE3ELNS1_3repE0EEENS1_30default_config_static_selectorELNS0_4arch9wavefront6targetE0EEEvT1_
		.amdhsa_group_segment_fixed_size 0
		.amdhsa_private_segment_fixed_size 0
		.amdhsa_kernarg_size 128
		.amdhsa_user_sgpr_count 2
		.amdhsa_user_sgpr_dispatch_ptr 0
		.amdhsa_user_sgpr_queue_ptr 0
		.amdhsa_user_sgpr_kernarg_segment_ptr 1
		.amdhsa_user_sgpr_dispatch_id 0
		.amdhsa_user_sgpr_private_segment_size 0
		.amdhsa_wavefront_size32 1
		.amdhsa_uses_dynamic_stack 0
		.amdhsa_enable_private_segment 0
		.amdhsa_system_sgpr_workgroup_id_x 1
		.amdhsa_system_sgpr_workgroup_id_y 0
		.amdhsa_system_sgpr_workgroup_id_z 0
		.amdhsa_system_sgpr_workgroup_info 0
		.amdhsa_system_vgpr_workitem_id 0
		.amdhsa_next_free_vgpr 1
		.amdhsa_next_free_sgpr 1
		.amdhsa_reserve_vcc 0
		.amdhsa_float_round_mode_32 0
		.amdhsa_float_round_mode_16_64 0
		.amdhsa_float_denorm_mode_32 3
		.amdhsa_float_denorm_mode_16_64 3
		.amdhsa_fp16_overflow 0
		.amdhsa_workgroup_processor_mode 1
		.amdhsa_memory_ordered 1
		.amdhsa_forward_progress 1
		.amdhsa_inst_pref_size 0
		.amdhsa_round_robin_scheduling 0
		.amdhsa_exception_fp_ieee_invalid_op 0
		.amdhsa_exception_fp_denorm_src 0
		.amdhsa_exception_fp_ieee_div_zero 0
		.amdhsa_exception_fp_ieee_overflow 0
		.amdhsa_exception_fp_ieee_underflow 0
		.amdhsa_exception_fp_ieee_inexact 0
		.amdhsa_exception_int_div_zero 0
	.end_amdhsa_kernel
	.section	.text._ZN7rocprim17ROCPRIM_400000_NS6detail17trampoline_kernelINS0_14default_configENS1_25partition_config_selectorILNS1_17partition_subalgoE6EtNS0_10empty_typeEbEEZZNS1_14partition_implILS5_6ELb0ES3_mN6thrust23THRUST_200600_302600_NS6detail15normal_iteratorINSA_10device_ptrItEEEEPS6_SG_NS0_5tupleIJSF_S6_EEENSH_IJSG_SG_EEES6_PlJNSB_9not_fun_tI7is_trueItEEEEEE10hipError_tPvRmT3_T4_T5_T6_T7_T9_mT8_P12ihipStream_tbDpT10_ENKUlT_T0_E_clISt17integral_constantIbLb1EES18_EEDaS13_S14_EUlS13_E_NS1_11comp_targetILNS1_3genE9ELNS1_11target_archE1100ELNS1_3gpuE3ELNS1_3repE0EEENS1_30default_config_static_selectorELNS0_4arch9wavefront6targetE0EEEvT1_,"axG",@progbits,_ZN7rocprim17ROCPRIM_400000_NS6detail17trampoline_kernelINS0_14default_configENS1_25partition_config_selectorILNS1_17partition_subalgoE6EtNS0_10empty_typeEbEEZZNS1_14partition_implILS5_6ELb0ES3_mN6thrust23THRUST_200600_302600_NS6detail15normal_iteratorINSA_10device_ptrItEEEEPS6_SG_NS0_5tupleIJSF_S6_EEENSH_IJSG_SG_EEES6_PlJNSB_9not_fun_tI7is_trueItEEEEEE10hipError_tPvRmT3_T4_T5_T6_T7_T9_mT8_P12ihipStream_tbDpT10_ENKUlT_T0_E_clISt17integral_constantIbLb1EES18_EEDaS13_S14_EUlS13_E_NS1_11comp_targetILNS1_3genE9ELNS1_11target_archE1100ELNS1_3gpuE3ELNS1_3repE0EEENS1_30default_config_static_selectorELNS0_4arch9wavefront6targetE0EEEvT1_,comdat
.Lfunc_end1187:
	.size	_ZN7rocprim17ROCPRIM_400000_NS6detail17trampoline_kernelINS0_14default_configENS1_25partition_config_selectorILNS1_17partition_subalgoE6EtNS0_10empty_typeEbEEZZNS1_14partition_implILS5_6ELb0ES3_mN6thrust23THRUST_200600_302600_NS6detail15normal_iteratorINSA_10device_ptrItEEEEPS6_SG_NS0_5tupleIJSF_S6_EEENSH_IJSG_SG_EEES6_PlJNSB_9not_fun_tI7is_trueItEEEEEE10hipError_tPvRmT3_T4_T5_T6_T7_T9_mT8_P12ihipStream_tbDpT10_ENKUlT_T0_E_clISt17integral_constantIbLb1EES18_EEDaS13_S14_EUlS13_E_NS1_11comp_targetILNS1_3genE9ELNS1_11target_archE1100ELNS1_3gpuE3ELNS1_3repE0EEENS1_30default_config_static_selectorELNS0_4arch9wavefront6targetE0EEEvT1_, .Lfunc_end1187-_ZN7rocprim17ROCPRIM_400000_NS6detail17trampoline_kernelINS0_14default_configENS1_25partition_config_selectorILNS1_17partition_subalgoE6EtNS0_10empty_typeEbEEZZNS1_14partition_implILS5_6ELb0ES3_mN6thrust23THRUST_200600_302600_NS6detail15normal_iteratorINSA_10device_ptrItEEEEPS6_SG_NS0_5tupleIJSF_S6_EEENSH_IJSG_SG_EEES6_PlJNSB_9not_fun_tI7is_trueItEEEEEE10hipError_tPvRmT3_T4_T5_T6_T7_T9_mT8_P12ihipStream_tbDpT10_ENKUlT_T0_E_clISt17integral_constantIbLb1EES18_EEDaS13_S14_EUlS13_E_NS1_11comp_targetILNS1_3genE9ELNS1_11target_archE1100ELNS1_3gpuE3ELNS1_3repE0EEENS1_30default_config_static_selectorELNS0_4arch9wavefront6targetE0EEEvT1_
                                        ; -- End function
	.set _ZN7rocprim17ROCPRIM_400000_NS6detail17trampoline_kernelINS0_14default_configENS1_25partition_config_selectorILNS1_17partition_subalgoE6EtNS0_10empty_typeEbEEZZNS1_14partition_implILS5_6ELb0ES3_mN6thrust23THRUST_200600_302600_NS6detail15normal_iteratorINSA_10device_ptrItEEEEPS6_SG_NS0_5tupleIJSF_S6_EEENSH_IJSG_SG_EEES6_PlJNSB_9not_fun_tI7is_trueItEEEEEE10hipError_tPvRmT3_T4_T5_T6_T7_T9_mT8_P12ihipStream_tbDpT10_ENKUlT_T0_E_clISt17integral_constantIbLb1EES18_EEDaS13_S14_EUlS13_E_NS1_11comp_targetILNS1_3genE9ELNS1_11target_archE1100ELNS1_3gpuE3ELNS1_3repE0EEENS1_30default_config_static_selectorELNS0_4arch9wavefront6targetE0EEEvT1_.num_vgpr, 0
	.set _ZN7rocprim17ROCPRIM_400000_NS6detail17trampoline_kernelINS0_14default_configENS1_25partition_config_selectorILNS1_17partition_subalgoE6EtNS0_10empty_typeEbEEZZNS1_14partition_implILS5_6ELb0ES3_mN6thrust23THRUST_200600_302600_NS6detail15normal_iteratorINSA_10device_ptrItEEEEPS6_SG_NS0_5tupleIJSF_S6_EEENSH_IJSG_SG_EEES6_PlJNSB_9not_fun_tI7is_trueItEEEEEE10hipError_tPvRmT3_T4_T5_T6_T7_T9_mT8_P12ihipStream_tbDpT10_ENKUlT_T0_E_clISt17integral_constantIbLb1EES18_EEDaS13_S14_EUlS13_E_NS1_11comp_targetILNS1_3genE9ELNS1_11target_archE1100ELNS1_3gpuE3ELNS1_3repE0EEENS1_30default_config_static_selectorELNS0_4arch9wavefront6targetE0EEEvT1_.num_agpr, 0
	.set _ZN7rocprim17ROCPRIM_400000_NS6detail17trampoline_kernelINS0_14default_configENS1_25partition_config_selectorILNS1_17partition_subalgoE6EtNS0_10empty_typeEbEEZZNS1_14partition_implILS5_6ELb0ES3_mN6thrust23THRUST_200600_302600_NS6detail15normal_iteratorINSA_10device_ptrItEEEEPS6_SG_NS0_5tupleIJSF_S6_EEENSH_IJSG_SG_EEES6_PlJNSB_9not_fun_tI7is_trueItEEEEEE10hipError_tPvRmT3_T4_T5_T6_T7_T9_mT8_P12ihipStream_tbDpT10_ENKUlT_T0_E_clISt17integral_constantIbLb1EES18_EEDaS13_S14_EUlS13_E_NS1_11comp_targetILNS1_3genE9ELNS1_11target_archE1100ELNS1_3gpuE3ELNS1_3repE0EEENS1_30default_config_static_selectorELNS0_4arch9wavefront6targetE0EEEvT1_.numbered_sgpr, 0
	.set _ZN7rocprim17ROCPRIM_400000_NS6detail17trampoline_kernelINS0_14default_configENS1_25partition_config_selectorILNS1_17partition_subalgoE6EtNS0_10empty_typeEbEEZZNS1_14partition_implILS5_6ELb0ES3_mN6thrust23THRUST_200600_302600_NS6detail15normal_iteratorINSA_10device_ptrItEEEEPS6_SG_NS0_5tupleIJSF_S6_EEENSH_IJSG_SG_EEES6_PlJNSB_9not_fun_tI7is_trueItEEEEEE10hipError_tPvRmT3_T4_T5_T6_T7_T9_mT8_P12ihipStream_tbDpT10_ENKUlT_T0_E_clISt17integral_constantIbLb1EES18_EEDaS13_S14_EUlS13_E_NS1_11comp_targetILNS1_3genE9ELNS1_11target_archE1100ELNS1_3gpuE3ELNS1_3repE0EEENS1_30default_config_static_selectorELNS0_4arch9wavefront6targetE0EEEvT1_.num_named_barrier, 0
	.set _ZN7rocprim17ROCPRIM_400000_NS6detail17trampoline_kernelINS0_14default_configENS1_25partition_config_selectorILNS1_17partition_subalgoE6EtNS0_10empty_typeEbEEZZNS1_14partition_implILS5_6ELb0ES3_mN6thrust23THRUST_200600_302600_NS6detail15normal_iteratorINSA_10device_ptrItEEEEPS6_SG_NS0_5tupleIJSF_S6_EEENSH_IJSG_SG_EEES6_PlJNSB_9not_fun_tI7is_trueItEEEEEE10hipError_tPvRmT3_T4_T5_T6_T7_T9_mT8_P12ihipStream_tbDpT10_ENKUlT_T0_E_clISt17integral_constantIbLb1EES18_EEDaS13_S14_EUlS13_E_NS1_11comp_targetILNS1_3genE9ELNS1_11target_archE1100ELNS1_3gpuE3ELNS1_3repE0EEENS1_30default_config_static_selectorELNS0_4arch9wavefront6targetE0EEEvT1_.private_seg_size, 0
	.set _ZN7rocprim17ROCPRIM_400000_NS6detail17trampoline_kernelINS0_14default_configENS1_25partition_config_selectorILNS1_17partition_subalgoE6EtNS0_10empty_typeEbEEZZNS1_14partition_implILS5_6ELb0ES3_mN6thrust23THRUST_200600_302600_NS6detail15normal_iteratorINSA_10device_ptrItEEEEPS6_SG_NS0_5tupleIJSF_S6_EEENSH_IJSG_SG_EEES6_PlJNSB_9not_fun_tI7is_trueItEEEEEE10hipError_tPvRmT3_T4_T5_T6_T7_T9_mT8_P12ihipStream_tbDpT10_ENKUlT_T0_E_clISt17integral_constantIbLb1EES18_EEDaS13_S14_EUlS13_E_NS1_11comp_targetILNS1_3genE9ELNS1_11target_archE1100ELNS1_3gpuE3ELNS1_3repE0EEENS1_30default_config_static_selectorELNS0_4arch9wavefront6targetE0EEEvT1_.uses_vcc, 0
	.set _ZN7rocprim17ROCPRIM_400000_NS6detail17trampoline_kernelINS0_14default_configENS1_25partition_config_selectorILNS1_17partition_subalgoE6EtNS0_10empty_typeEbEEZZNS1_14partition_implILS5_6ELb0ES3_mN6thrust23THRUST_200600_302600_NS6detail15normal_iteratorINSA_10device_ptrItEEEEPS6_SG_NS0_5tupleIJSF_S6_EEENSH_IJSG_SG_EEES6_PlJNSB_9not_fun_tI7is_trueItEEEEEE10hipError_tPvRmT3_T4_T5_T6_T7_T9_mT8_P12ihipStream_tbDpT10_ENKUlT_T0_E_clISt17integral_constantIbLb1EES18_EEDaS13_S14_EUlS13_E_NS1_11comp_targetILNS1_3genE9ELNS1_11target_archE1100ELNS1_3gpuE3ELNS1_3repE0EEENS1_30default_config_static_selectorELNS0_4arch9wavefront6targetE0EEEvT1_.uses_flat_scratch, 0
	.set _ZN7rocprim17ROCPRIM_400000_NS6detail17trampoline_kernelINS0_14default_configENS1_25partition_config_selectorILNS1_17partition_subalgoE6EtNS0_10empty_typeEbEEZZNS1_14partition_implILS5_6ELb0ES3_mN6thrust23THRUST_200600_302600_NS6detail15normal_iteratorINSA_10device_ptrItEEEEPS6_SG_NS0_5tupleIJSF_S6_EEENSH_IJSG_SG_EEES6_PlJNSB_9not_fun_tI7is_trueItEEEEEE10hipError_tPvRmT3_T4_T5_T6_T7_T9_mT8_P12ihipStream_tbDpT10_ENKUlT_T0_E_clISt17integral_constantIbLb1EES18_EEDaS13_S14_EUlS13_E_NS1_11comp_targetILNS1_3genE9ELNS1_11target_archE1100ELNS1_3gpuE3ELNS1_3repE0EEENS1_30default_config_static_selectorELNS0_4arch9wavefront6targetE0EEEvT1_.has_dyn_sized_stack, 0
	.set _ZN7rocprim17ROCPRIM_400000_NS6detail17trampoline_kernelINS0_14default_configENS1_25partition_config_selectorILNS1_17partition_subalgoE6EtNS0_10empty_typeEbEEZZNS1_14partition_implILS5_6ELb0ES3_mN6thrust23THRUST_200600_302600_NS6detail15normal_iteratorINSA_10device_ptrItEEEEPS6_SG_NS0_5tupleIJSF_S6_EEENSH_IJSG_SG_EEES6_PlJNSB_9not_fun_tI7is_trueItEEEEEE10hipError_tPvRmT3_T4_T5_T6_T7_T9_mT8_P12ihipStream_tbDpT10_ENKUlT_T0_E_clISt17integral_constantIbLb1EES18_EEDaS13_S14_EUlS13_E_NS1_11comp_targetILNS1_3genE9ELNS1_11target_archE1100ELNS1_3gpuE3ELNS1_3repE0EEENS1_30default_config_static_selectorELNS0_4arch9wavefront6targetE0EEEvT1_.has_recursion, 0
	.set _ZN7rocprim17ROCPRIM_400000_NS6detail17trampoline_kernelINS0_14default_configENS1_25partition_config_selectorILNS1_17partition_subalgoE6EtNS0_10empty_typeEbEEZZNS1_14partition_implILS5_6ELb0ES3_mN6thrust23THRUST_200600_302600_NS6detail15normal_iteratorINSA_10device_ptrItEEEEPS6_SG_NS0_5tupleIJSF_S6_EEENSH_IJSG_SG_EEES6_PlJNSB_9not_fun_tI7is_trueItEEEEEE10hipError_tPvRmT3_T4_T5_T6_T7_T9_mT8_P12ihipStream_tbDpT10_ENKUlT_T0_E_clISt17integral_constantIbLb1EES18_EEDaS13_S14_EUlS13_E_NS1_11comp_targetILNS1_3genE9ELNS1_11target_archE1100ELNS1_3gpuE3ELNS1_3repE0EEENS1_30default_config_static_selectorELNS0_4arch9wavefront6targetE0EEEvT1_.has_indirect_call, 0
	.section	.AMDGPU.csdata,"",@progbits
; Kernel info:
; codeLenInByte = 0
; TotalNumSgprs: 0
; NumVgprs: 0
; ScratchSize: 0
; MemoryBound: 0
; FloatMode: 240
; IeeeMode: 1
; LDSByteSize: 0 bytes/workgroup (compile time only)
; SGPRBlocks: 0
; VGPRBlocks: 0
; NumSGPRsForWavesPerEU: 1
; NumVGPRsForWavesPerEU: 1
; Occupancy: 16
; WaveLimiterHint : 0
; COMPUTE_PGM_RSRC2:SCRATCH_EN: 0
; COMPUTE_PGM_RSRC2:USER_SGPR: 2
; COMPUTE_PGM_RSRC2:TRAP_HANDLER: 0
; COMPUTE_PGM_RSRC2:TGID_X_EN: 1
; COMPUTE_PGM_RSRC2:TGID_Y_EN: 0
; COMPUTE_PGM_RSRC2:TGID_Z_EN: 0
; COMPUTE_PGM_RSRC2:TIDIG_COMP_CNT: 0
	.section	.text._ZN7rocprim17ROCPRIM_400000_NS6detail17trampoline_kernelINS0_14default_configENS1_25partition_config_selectorILNS1_17partition_subalgoE6EtNS0_10empty_typeEbEEZZNS1_14partition_implILS5_6ELb0ES3_mN6thrust23THRUST_200600_302600_NS6detail15normal_iteratorINSA_10device_ptrItEEEEPS6_SG_NS0_5tupleIJSF_S6_EEENSH_IJSG_SG_EEES6_PlJNSB_9not_fun_tI7is_trueItEEEEEE10hipError_tPvRmT3_T4_T5_T6_T7_T9_mT8_P12ihipStream_tbDpT10_ENKUlT_T0_E_clISt17integral_constantIbLb1EES18_EEDaS13_S14_EUlS13_E_NS1_11comp_targetILNS1_3genE8ELNS1_11target_archE1030ELNS1_3gpuE2ELNS1_3repE0EEENS1_30default_config_static_selectorELNS0_4arch9wavefront6targetE0EEEvT1_,"axG",@progbits,_ZN7rocprim17ROCPRIM_400000_NS6detail17trampoline_kernelINS0_14default_configENS1_25partition_config_selectorILNS1_17partition_subalgoE6EtNS0_10empty_typeEbEEZZNS1_14partition_implILS5_6ELb0ES3_mN6thrust23THRUST_200600_302600_NS6detail15normal_iteratorINSA_10device_ptrItEEEEPS6_SG_NS0_5tupleIJSF_S6_EEENSH_IJSG_SG_EEES6_PlJNSB_9not_fun_tI7is_trueItEEEEEE10hipError_tPvRmT3_T4_T5_T6_T7_T9_mT8_P12ihipStream_tbDpT10_ENKUlT_T0_E_clISt17integral_constantIbLb1EES18_EEDaS13_S14_EUlS13_E_NS1_11comp_targetILNS1_3genE8ELNS1_11target_archE1030ELNS1_3gpuE2ELNS1_3repE0EEENS1_30default_config_static_selectorELNS0_4arch9wavefront6targetE0EEEvT1_,comdat
	.protected	_ZN7rocprim17ROCPRIM_400000_NS6detail17trampoline_kernelINS0_14default_configENS1_25partition_config_selectorILNS1_17partition_subalgoE6EtNS0_10empty_typeEbEEZZNS1_14partition_implILS5_6ELb0ES3_mN6thrust23THRUST_200600_302600_NS6detail15normal_iteratorINSA_10device_ptrItEEEEPS6_SG_NS0_5tupleIJSF_S6_EEENSH_IJSG_SG_EEES6_PlJNSB_9not_fun_tI7is_trueItEEEEEE10hipError_tPvRmT3_T4_T5_T6_T7_T9_mT8_P12ihipStream_tbDpT10_ENKUlT_T0_E_clISt17integral_constantIbLb1EES18_EEDaS13_S14_EUlS13_E_NS1_11comp_targetILNS1_3genE8ELNS1_11target_archE1030ELNS1_3gpuE2ELNS1_3repE0EEENS1_30default_config_static_selectorELNS0_4arch9wavefront6targetE0EEEvT1_ ; -- Begin function _ZN7rocprim17ROCPRIM_400000_NS6detail17trampoline_kernelINS0_14default_configENS1_25partition_config_selectorILNS1_17partition_subalgoE6EtNS0_10empty_typeEbEEZZNS1_14partition_implILS5_6ELb0ES3_mN6thrust23THRUST_200600_302600_NS6detail15normal_iteratorINSA_10device_ptrItEEEEPS6_SG_NS0_5tupleIJSF_S6_EEENSH_IJSG_SG_EEES6_PlJNSB_9not_fun_tI7is_trueItEEEEEE10hipError_tPvRmT3_T4_T5_T6_T7_T9_mT8_P12ihipStream_tbDpT10_ENKUlT_T0_E_clISt17integral_constantIbLb1EES18_EEDaS13_S14_EUlS13_E_NS1_11comp_targetILNS1_3genE8ELNS1_11target_archE1030ELNS1_3gpuE2ELNS1_3repE0EEENS1_30default_config_static_selectorELNS0_4arch9wavefront6targetE0EEEvT1_
	.globl	_ZN7rocprim17ROCPRIM_400000_NS6detail17trampoline_kernelINS0_14default_configENS1_25partition_config_selectorILNS1_17partition_subalgoE6EtNS0_10empty_typeEbEEZZNS1_14partition_implILS5_6ELb0ES3_mN6thrust23THRUST_200600_302600_NS6detail15normal_iteratorINSA_10device_ptrItEEEEPS6_SG_NS0_5tupleIJSF_S6_EEENSH_IJSG_SG_EEES6_PlJNSB_9not_fun_tI7is_trueItEEEEEE10hipError_tPvRmT3_T4_T5_T6_T7_T9_mT8_P12ihipStream_tbDpT10_ENKUlT_T0_E_clISt17integral_constantIbLb1EES18_EEDaS13_S14_EUlS13_E_NS1_11comp_targetILNS1_3genE8ELNS1_11target_archE1030ELNS1_3gpuE2ELNS1_3repE0EEENS1_30default_config_static_selectorELNS0_4arch9wavefront6targetE0EEEvT1_
	.p2align	8
	.type	_ZN7rocprim17ROCPRIM_400000_NS6detail17trampoline_kernelINS0_14default_configENS1_25partition_config_selectorILNS1_17partition_subalgoE6EtNS0_10empty_typeEbEEZZNS1_14partition_implILS5_6ELb0ES3_mN6thrust23THRUST_200600_302600_NS6detail15normal_iteratorINSA_10device_ptrItEEEEPS6_SG_NS0_5tupleIJSF_S6_EEENSH_IJSG_SG_EEES6_PlJNSB_9not_fun_tI7is_trueItEEEEEE10hipError_tPvRmT3_T4_T5_T6_T7_T9_mT8_P12ihipStream_tbDpT10_ENKUlT_T0_E_clISt17integral_constantIbLb1EES18_EEDaS13_S14_EUlS13_E_NS1_11comp_targetILNS1_3genE8ELNS1_11target_archE1030ELNS1_3gpuE2ELNS1_3repE0EEENS1_30default_config_static_selectorELNS0_4arch9wavefront6targetE0EEEvT1_,@function
_ZN7rocprim17ROCPRIM_400000_NS6detail17trampoline_kernelINS0_14default_configENS1_25partition_config_selectorILNS1_17partition_subalgoE6EtNS0_10empty_typeEbEEZZNS1_14partition_implILS5_6ELb0ES3_mN6thrust23THRUST_200600_302600_NS6detail15normal_iteratorINSA_10device_ptrItEEEEPS6_SG_NS0_5tupleIJSF_S6_EEENSH_IJSG_SG_EEES6_PlJNSB_9not_fun_tI7is_trueItEEEEEE10hipError_tPvRmT3_T4_T5_T6_T7_T9_mT8_P12ihipStream_tbDpT10_ENKUlT_T0_E_clISt17integral_constantIbLb1EES18_EEDaS13_S14_EUlS13_E_NS1_11comp_targetILNS1_3genE8ELNS1_11target_archE1030ELNS1_3gpuE2ELNS1_3repE0EEENS1_30default_config_static_selectorELNS0_4arch9wavefront6targetE0EEEvT1_: ; @_ZN7rocprim17ROCPRIM_400000_NS6detail17trampoline_kernelINS0_14default_configENS1_25partition_config_selectorILNS1_17partition_subalgoE6EtNS0_10empty_typeEbEEZZNS1_14partition_implILS5_6ELb0ES3_mN6thrust23THRUST_200600_302600_NS6detail15normal_iteratorINSA_10device_ptrItEEEEPS6_SG_NS0_5tupleIJSF_S6_EEENSH_IJSG_SG_EEES6_PlJNSB_9not_fun_tI7is_trueItEEEEEE10hipError_tPvRmT3_T4_T5_T6_T7_T9_mT8_P12ihipStream_tbDpT10_ENKUlT_T0_E_clISt17integral_constantIbLb1EES18_EEDaS13_S14_EUlS13_E_NS1_11comp_targetILNS1_3genE8ELNS1_11target_archE1030ELNS1_3gpuE2ELNS1_3repE0EEENS1_30default_config_static_selectorELNS0_4arch9wavefront6targetE0EEEvT1_
; %bb.0:
	.section	.rodata,"a",@progbits
	.p2align	6, 0x0
	.amdhsa_kernel _ZN7rocprim17ROCPRIM_400000_NS6detail17trampoline_kernelINS0_14default_configENS1_25partition_config_selectorILNS1_17partition_subalgoE6EtNS0_10empty_typeEbEEZZNS1_14partition_implILS5_6ELb0ES3_mN6thrust23THRUST_200600_302600_NS6detail15normal_iteratorINSA_10device_ptrItEEEEPS6_SG_NS0_5tupleIJSF_S6_EEENSH_IJSG_SG_EEES6_PlJNSB_9not_fun_tI7is_trueItEEEEEE10hipError_tPvRmT3_T4_T5_T6_T7_T9_mT8_P12ihipStream_tbDpT10_ENKUlT_T0_E_clISt17integral_constantIbLb1EES18_EEDaS13_S14_EUlS13_E_NS1_11comp_targetILNS1_3genE8ELNS1_11target_archE1030ELNS1_3gpuE2ELNS1_3repE0EEENS1_30default_config_static_selectorELNS0_4arch9wavefront6targetE0EEEvT1_
		.amdhsa_group_segment_fixed_size 0
		.amdhsa_private_segment_fixed_size 0
		.amdhsa_kernarg_size 128
		.amdhsa_user_sgpr_count 2
		.amdhsa_user_sgpr_dispatch_ptr 0
		.amdhsa_user_sgpr_queue_ptr 0
		.amdhsa_user_sgpr_kernarg_segment_ptr 1
		.amdhsa_user_sgpr_dispatch_id 0
		.amdhsa_user_sgpr_private_segment_size 0
		.amdhsa_wavefront_size32 1
		.amdhsa_uses_dynamic_stack 0
		.amdhsa_enable_private_segment 0
		.amdhsa_system_sgpr_workgroup_id_x 1
		.amdhsa_system_sgpr_workgroup_id_y 0
		.amdhsa_system_sgpr_workgroup_id_z 0
		.amdhsa_system_sgpr_workgroup_info 0
		.amdhsa_system_vgpr_workitem_id 0
		.amdhsa_next_free_vgpr 1
		.amdhsa_next_free_sgpr 1
		.amdhsa_reserve_vcc 0
		.amdhsa_float_round_mode_32 0
		.amdhsa_float_round_mode_16_64 0
		.amdhsa_float_denorm_mode_32 3
		.amdhsa_float_denorm_mode_16_64 3
		.amdhsa_fp16_overflow 0
		.amdhsa_workgroup_processor_mode 1
		.amdhsa_memory_ordered 1
		.amdhsa_forward_progress 1
		.amdhsa_inst_pref_size 0
		.amdhsa_round_robin_scheduling 0
		.amdhsa_exception_fp_ieee_invalid_op 0
		.amdhsa_exception_fp_denorm_src 0
		.amdhsa_exception_fp_ieee_div_zero 0
		.amdhsa_exception_fp_ieee_overflow 0
		.amdhsa_exception_fp_ieee_underflow 0
		.amdhsa_exception_fp_ieee_inexact 0
		.amdhsa_exception_int_div_zero 0
	.end_amdhsa_kernel
	.section	.text._ZN7rocprim17ROCPRIM_400000_NS6detail17trampoline_kernelINS0_14default_configENS1_25partition_config_selectorILNS1_17partition_subalgoE6EtNS0_10empty_typeEbEEZZNS1_14partition_implILS5_6ELb0ES3_mN6thrust23THRUST_200600_302600_NS6detail15normal_iteratorINSA_10device_ptrItEEEEPS6_SG_NS0_5tupleIJSF_S6_EEENSH_IJSG_SG_EEES6_PlJNSB_9not_fun_tI7is_trueItEEEEEE10hipError_tPvRmT3_T4_T5_T6_T7_T9_mT8_P12ihipStream_tbDpT10_ENKUlT_T0_E_clISt17integral_constantIbLb1EES18_EEDaS13_S14_EUlS13_E_NS1_11comp_targetILNS1_3genE8ELNS1_11target_archE1030ELNS1_3gpuE2ELNS1_3repE0EEENS1_30default_config_static_selectorELNS0_4arch9wavefront6targetE0EEEvT1_,"axG",@progbits,_ZN7rocprim17ROCPRIM_400000_NS6detail17trampoline_kernelINS0_14default_configENS1_25partition_config_selectorILNS1_17partition_subalgoE6EtNS0_10empty_typeEbEEZZNS1_14partition_implILS5_6ELb0ES3_mN6thrust23THRUST_200600_302600_NS6detail15normal_iteratorINSA_10device_ptrItEEEEPS6_SG_NS0_5tupleIJSF_S6_EEENSH_IJSG_SG_EEES6_PlJNSB_9not_fun_tI7is_trueItEEEEEE10hipError_tPvRmT3_T4_T5_T6_T7_T9_mT8_P12ihipStream_tbDpT10_ENKUlT_T0_E_clISt17integral_constantIbLb1EES18_EEDaS13_S14_EUlS13_E_NS1_11comp_targetILNS1_3genE8ELNS1_11target_archE1030ELNS1_3gpuE2ELNS1_3repE0EEENS1_30default_config_static_selectorELNS0_4arch9wavefront6targetE0EEEvT1_,comdat
.Lfunc_end1188:
	.size	_ZN7rocprim17ROCPRIM_400000_NS6detail17trampoline_kernelINS0_14default_configENS1_25partition_config_selectorILNS1_17partition_subalgoE6EtNS0_10empty_typeEbEEZZNS1_14partition_implILS5_6ELb0ES3_mN6thrust23THRUST_200600_302600_NS6detail15normal_iteratorINSA_10device_ptrItEEEEPS6_SG_NS0_5tupleIJSF_S6_EEENSH_IJSG_SG_EEES6_PlJNSB_9not_fun_tI7is_trueItEEEEEE10hipError_tPvRmT3_T4_T5_T6_T7_T9_mT8_P12ihipStream_tbDpT10_ENKUlT_T0_E_clISt17integral_constantIbLb1EES18_EEDaS13_S14_EUlS13_E_NS1_11comp_targetILNS1_3genE8ELNS1_11target_archE1030ELNS1_3gpuE2ELNS1_3repE0EEENS1_30default_config_static_selectorELNS0_4arch9wavefront6targetE0EEEvT1_, .Lfunc_end1188-_ZN7rocprim17ROCPRIM_400000_NS6detail17trampoline_kernelINS0_14default_configENS1_25partition_config_selectorILNS1_17partition_subalgoE6EtNS0_10empty_typeEbEEZZNS1_14partition_implILS5_6ELb0ES3_mN6thrust23THRUST_200600_302600_NS6detail15normal_iteratorINSA_10device_ptrItEEEEPS6_SG_NS0_5tupleIJSF_S6_EEENSH_IJSG_SG_EEES6_PlJNSB_9not_fun_tI7is_trueItEEEEEE10hipError_tPvRmT3_T4_T5_T6_T7_T9_mT8_P12ihipStream_tbDpT10_ENKUlT_T0_E_clISt17integral_constantIbLb1EES18_EEDaS13_S14_EUlS13_E_NS1_11comp_targetILNS1_3genE8ELNS1_11target_archE1030ELNS1_3gpuE2ELNS1_3repE0EEENS1_30default_config_static_selectorELNS0_4arch9wavefront6targetE0EEEvT1_
                                        ; -- End function
	.set _ZN7rocprim17ROCPRIM_400000_NS6detail17trampoline_kernelINS0_14default_configENS1_25partition_config_selectorILNS1_17partition_subalgoE6EtNS0_10empty_typeEbEEZZNS1_14partition_implILS5_6ELb0ES3_mN6thrust23THRUST_200600_302600_NS6detail15normal_iteratorINSA_10device_ptrItEEEEPS6_SG_NS0_5tupleIJSF_S6_EEENSH_IJSG_SG_EEES6_PlJNSB_9not_fun_tI7is_trueItEEEEEE10hipError_tPvRmT3_T4_T5_T6_T7_T9_mT8_P12ihipStream_tbDpT10_ENKUlT_T0_E_clISt17integral_constantIbLb1EES18_EEDaS13_S14_EUlS13_E_NS1_11comp_targetILNS1_3genE8ELNS1_11target_archE1030ELNS1_3gpuE2ELNS1_3repE0EEENS1_30default_config_static_selectorELNS0_4arch9wavefront6targetE0EEEvT1_.num_vgpr, 0
	.set _ZN7rocprim17ROCPRIM_400000_NS6detail17trampoline_kernelINS0_14default_configENS1_25partition_config_selectorILNS1_17partition_subalgoE6EtNS0_10empty_typeEbEEZZNS1_14partition_implILS5_6ELb0ES3_mN6thrust23THRUST_200600_302600_NS6detail15normal_iteratorINSA_10device_ptrItEEEEPS6_SG_NS0_5tupleIJSF_S6_EEENSH_IJSG_SG_EEES6_PlJNSB_9not_fun_tI7is_trueItEEEEEE10hipError_tPvRmT3_T4_T5_T6_T7_T9_mT8_P12ihipStream_tbDpT10_ENKUlT_T0_E_clISt17integral_constantIbLb1EES18_EEDaS13_S14_EUlS13_E_NS1_11comp_targetILNS1_3genE8ELNS1_11target_archE1030ELNS1_3gpuE2ELNS1_3repE0EEENS1_30default_config_static_selectorELNS0_4arch9wavefront6targetE0EEEvT1_.num_agpr, 0
	.set _ZN7rocprim17ROCPRIM_400000_NS6detail17trampoline_kernelINS0_14default_configENS1_25partition_config_selectorILNS1_17partition_subalgoE6EtNS0_10empty_typeEbEEZZNS1_14partition_implILS5_6ELb0ES3_mN6thrust23THRUST_200600_302600_NS6detail15normal_iteratorINSA_10device_ptrItEEEEPS6_SG_NS0_5tupleIJSF_S6_EEENSH_IJSG_SG_EEES6_PlJNSB_9not_fun_tI7is_trueItEEEEEE10hipError_tPvRmT3_T4_T5_T6_T7_T9_mT8_P12ihipStream_tbDpT10_ENKUlT_T0_E_clISt17integral_constantIbLb1EES18_EEDaS13_S14_EUlS13_E_NS1_11comp_targetILNS1_3genE8ELNS1_11target_archE1030ELNS1_3gpuE2ELNS1_3repE0EEENS1_30default_config_static_selectorELNS0_4arch9wavefront6targetE0EEEvT1_.numbered_sgpr, 0
	.set _ZN7rocprim17ROCPRIM_400000_NS6detail17trampoline_kernelINS0_14default_configENS1_25partition_config_selectorILNS1_17partition_subalgoE6EtNS0_10empty_typeEbEEZZNS1_14partition_implILS5_6ELb0ES3_mN6thrust23THRUST_200600_302600_NS6detail15normal_iteratorINSA_10device_ptrItEEEEPS6_SG_NS0_5tupleIJSF_S6_EEENSH_IJSG_SG_EEES6_PlJNSB_9not_fun_tI7is_trueItEEEEEE10hipError_tPvRmT3_T4_T5_T6_T7_T9_mT8_P12ihipStream_tbDpT10_ENKUlT_T0_E_clISt17integral_constantIbLb1EES18_EEDaS13_S14_EUlS13_E_NS1_11comp_targetILNS1_3genE8ELNS1_11target_archE1030ELNS1_3gpuE2ELNS1_3repE0EEENS1_30default_config_static_selectorELNS0_4arch9wavefront6targetE0EEEvT1_.num_named_barrier, 0
	.set _ZN7rocprim17ROCPRIM_400000_NS6detail17trampoline_kernelINS0_14default_configENS1_25partition_config_selectorILNS1_17partition_subalgoE6EtNS0_10empty_typeEbEEZZNS1_14partition_implILS5_6ELb0ES3_mN6thrust23THRUST_200600_302600_NS6detail15normal_iteratorINSA_10device_ptrItEEEEPS6_SG_NS0_5tupleIJSF_S6_EEENSH_IJSG_SG_EEES6_PlJNSB_9not_fun_tI7is_trueItEEEEEE10hipError_tPvRmT3_T4_T5_T6_T7_T9_mT8_P12ihipStream_tbDpT10_ENKUlT_T0_E_clISt17integral_constantIbLb1EES18_EEDaS13_S14_EUlS13_E_NS1_11comp_targetILNS1_3genE8ELNS1_11target_archE1030ELNS1_3gpuE2ELNS1_3repE0EEENS1_30default_config_static_selectorELNS0_4arch9wavefront6targetE0EEEvT1_.private_seg_size, 0
	.set _ZN7rocprim17ROCPRIM_400000_NS6detail17trampoline_kernelINS0_14default_configENS1_25partition_config_selectorILNS1_17partition_subalgoE6EtNS0_10empty_typeEbEEZZNS1_14partition_implILS5_6ELb0ES3_mN6thrust23THRUST_200600_302600_NS6detail15normal_iteratorINSA_10device_ptrItEEEEPS6_SG_NS0_5tupleIJSF_S6_EEENSH_IJSG_SG_EEES6_PlJNSB_9not_fun_tI7is_trueItEEEEEE10hipError_tPvRmT3_T4_T5_T6_T7_T9_mT8_P12ihipStream_tbDpT10_ENKUlT_T0_E_clISt17integral_constantIbLb1EES18_EEDaS13_S14_EUlS13_E_NS1_11comp_targetILNS1_3genE8ELNS1_11target_archE1030ELNS1_3gpuE2ELNS1_3repE0EEENS1_30default_config_static_selectorELNS0_4arch9wavefront6targetE0EEEvT1_.uses_vcc, 0
	.set _ZN7rocprim17ROCPRIM_400000_NS6detail17trampoline_kernelINS0_14default_configENS1_25partition_config_selectorILNS1_17partition_subalgoE6EtNS0_10empty_typeEbEEZZNS1_14partition_implILS5_6ELb0ES3_mN6thrust23THRUST_200600_302600_NS6detail15normal_iteratorINSA_10device_ptrItEEEEPS6_SG_NS0_5tupleIJSF_S6_EEENSH_IJSG_SG_EEES6_PlJNSB_9not_fun_tI7is_trueItEEEEEE10hipError_tPvRmT3_T4_T5_T6_T7_T9_mT8_P12ihipStream_tbDpT10_ENKUlT_T0_E_clISt17integral_constantIbLb1EES18_EEDaS13_S14_EUlS13_E_NS1_11comp_targetILNS1_3genE8ELNS1_11target_archE1030ELNS1_3gpuE2ELNS1_3repE0EEENS1_30default_config_static_selectorELNS0_4arch9wavefront6targetE0EEEvT1_.uses_flat_scratch, 0
	.set _ZN7rocprim17ROCPRIM_400000_NS6detail17trampoline_kernelINS0_14default_configENS1_25partition_config_selectorILNS1_17partition_subalgoE6EtNS0_10empty_typeEbEEZZNS1_14partition_implILS5_6ELb0ES3_mN6thrust23THRUST_200600_302600_NS6detail15normal_iteratorINSA_10device_ptrItEEEEPS6_SG_NS0_5tupleIJSF_S6_EEENSH_IJSG_SG_EEES6_PlJNSB_9not_fun_tI7is_trueItEEEEEE10hipError_tPvRmT3_T4_T5_T6_T7_T9_mT8_P12ihipStream_tbDpT10_ENKUlT_T0_E_clISt17integral_constantIbLb1EES18_EEDaS13_S14_EUlS13_E_NS1_11comp_targetILNS1_3genE8ELNS1_11target_archE1030ELNS1_3gpuE2ELNS1_3repE0EEENS1_30default_config_static_selectorELNS0_4arch9wavefront6targetE0EEEvT1_.has_dyn_sized_stack, 0
	.set _ZN7rocprim17ROCPRIM_400000_NS6detail17trampoline_kernelINS0_14default_configENS1_25partition_config_selectorILNS1_17partition_subalgoE6EtNS0_10empty_typeEbEEZZNS1_14partition_implILS5_6ELb0ES3_mN6thrust23THRUST_200600_302600_NS6detail15normal_iteratorINSA_10device_ptrItEEEEPS6_SG_NS0_5tupleIJSF_S6_EEENSH_IJSG_SG_EEES6_PlJNSB_9not_fun_tI7is_trueItEEEEEE10hipError_tPvRmT3_T4_T5_T6_T7_T9_mT8_P12ihipStream_tbDpT10_ENKUlT_T0_E_clISt17integral_constantIbLb1EES18_EEDaS13_S14_EUlS13_E_NS1_11comp_targetILNS1_3genE8ELNS1_11target_archE1030ELNS1_3gpuE2ELNS1_3repE0EEENS1_30default_config_static_selectorELNS0_4arch9wavefront6targetE0EEEvT1_.has_recursion, 0
	.set _ZN7rocprim17ROCPRIM_400000_NS6detail17trampoline_kernelINS0_14default_configENS1_25partition_config_selectorILNS1_17partition_subalgoE6EtNS0_10empty_typeEbEEZZNS1_14partition_implILS5_6ELb0ES3_mN6thrust23THRUST_200600_302600_NS6detail15normal_iteratorINSA_10device_ptrItEEEEPS6_SG_NS0_5tupleIJSF_S6_EEENSH_IJSG_SG_EEES6_PlJNSB_9not_fun_tI7is_trueItEEEEEE10hipError_tPvRmT3_T4_T5_T6_T7_T9_mT8_P12ihipStream_tbDpT10_ENKUlT_T0_E_clISt17integral_constantIbLb1EES18_EEDaS13_S14_EUlS13_E_NS1_11comp_targetILNS1_3genE8ELNS1_11target_archE1030ELNS1_3gpuE2ELNS1_3repE0EEENS1_30default_config_static_selectorELNS0_4arch9wavefront6targetE0EEEvT1_.has_indirect_call, 0
	.section	.AMDGPU.csdata,"",@progbits
; Kernel info:
; codeLenInByte = 0
; TotalNumSgprs: 0
; NumVgprs: 0
; ScratchSize: 0
; MemoryBound: 0
; FloatMode: 240
; IeeeMode: 1
; LDSByteSize: 0 bytes/workgroup (compile time only)
; SGPRBlocks: 0
; VGPRBlocks: 0
; NumSGPRsForWavesPerEU: 1
; NumVGPRsForWavesPerEU: 1
; Occupancy: 16
; WaveLimiterHint : 0
; COMPUTE_PGM_RSRC2:SCRATCH_EN: 0
; COMPUTE_PGM_RSRC2:USER_SGPR: 2
; COMPUTE_PGM_RSRC2:TRAP_HANDLER: 0
; COMPUTE_PGM_RSRC2:TGID_X_EN: 1
; COMPUTE_PGM_RSRC2:TGID_Y_EN: 0
; COMPUTE_PGM_RSRC2:TGID_Z_EN: 0
; COMPUTE_PGM_RSRC2:TIDIG_COMP_CNT: 0
	.section	.text._ZN7rocprim17ROCPRIM_400000_NS6detail17trampoline_kernelINS0_14default_configENS1_25partition_config_selectorILNS1_17partition_subalgoE6EtNS0_10empty_typeEbEEZZNS1_14partition_implILS5_6ELb0ES3_mN6thrust23THRUST_200600_302600_NS6detail15normal_iteratorINSA_10device_ptrItEEEEPS6_SG_NS0_5tupleIJSF_S6_EEENSH_IJSG_SG_EEES6_PlJNSB_9not_fun_tI7is_trueItEEEEEE10hipError_tPvRmT3_T4_T5_T6_T7_T9_mT8_P12ihipStream_tbDpT10_ENKUlT_T0_E_clISt17integral_constantIbLb1EES17_IbLb0EEEEDaS13_S14_EUlS13_E_NS1_11comp_targetILNS1_3genE0ELNS1_11target_archE4294967295ELNS1_3gpuE0ELNS1_3repE0EEENS1_30default_config_static_selectorELNS0_4arch9wavefront6targetE0EEEvT1_,"axG",@progbits,_ZN7rocprim17ROCPRIM_400000_NS6detail17trampoline_kernelINS0_14default_configENS1_25partition_config_selectorILNS1_17partition_subalgoE6EtNS0_10empty_typeEbEEZZNS1_14partition_implILS5_6ELb0ES3_mN6thrust23THRUST_200600_302600_NS6detail15normal_iteratorINSA_10device_ptrItEEEEPS6_SG_NS0_5tupleIJSF_S6_EEENSH_IJSG_SG_EEES6_PlJNSB_9not_fun_tI7is_trueItEEEEEE10hipError_tPvRmT3_T4_T5_T6_T7_T9_mT8_P12ihipStream_tbDpT10_ENKUlT_T0_E_clISt17integral_constantIbLb1EES17_IbLb0EEEEDaS13_S14_EUlS13_E_NS1_11comp_targetILNS1_3genE0ELNS1_11target_archE4294967295ELNS1_3gpuE0ELNS1_3repE0EEENS1_30default_config_static_selectorELNS0_4arch9wavefront6targetE0EEEvT1_,comdat
	.protected	_ZN7rocprim17ROCPRIM_400000_NS6detail17trampoline_kernelINS0_14default_configENS1_25partition_config_selectorILNS1_17partition_subalgoE6EtNS0_10empty_typeEbEEZZNS1_14partition_implILS5_6ELb0ES3_mN6thrust23THRUST_200600_302600_NS6detail15normal_iteratorINSA_10device_ptrItEEEEPS6_SG_NS0_5tupleIJSF_S6_EEENSH_IJSG_SG_EEES6_PlJNSB_9not_fun_tI7is_trueItEEEEEE10hipError_tPvRmT3_T4_T5_T6_T7_T9_mT8_P12ihipStream_tbDpT10_ENKUlT_T0_E_clISt17integral_constantIbLb1EES17_IbLb0EEEEDaS13_S14_EUlS13_E_NS1_11comp_targetILNS1_3genE0ELNS1_11target_archE4294967295ELNS1_3gpuE0ELNS1_3repE0EEENS1_30default_config_static_selectorELNS0_4arch9wavefront6targetE0EEEvT1_ ; -- Begin function _ZN7rocprim17ROCPRIM_400000_NS6detail17trampoline_kernelINS0_14default_configENS1_25partition_config_selectorILNS1_17partition_subalgoE6EtNS0_10empty_typeEbEEZZNS1_14partition_implILS5_6ELb0ES3_mN6thrust23THRUST_200600_302600_NS6detail15normal_iteratorINSA_10device_ptrItEEEEPS6_SG_NS0_5tupleIJSF_S6_EEENSH_IJSG_SG_EEES6_PlJNSB_9not_fun_tI7is_trueItEEEEEE10hipError_tPvRmT3_T4_T5_T6_T7_T9_mT8_P12ihipStream_tbDpT10_ENKUlT_T0_E_clISt17integral_constantIbLb1EES17_IbLb0EEEEDaS13_S14_EUlS13_E_NS1_11comp_targetILNS1_3genE0ELNS1_11target_archE4294967295ELNS1_3gpuE0ELNS1_3repE0EEENS1_30default_config_static_selectorELNS0_4arch9wavefront6targetE0EEEvT1_
	.globl	_ZN7rocprim17ROCPRIM_400000_NS6detail17trampoline_kernelINS0_14default_configENS1_25partition_config_selectorILNS1_17partition_subalgoE6EtNS0_10empty_typeEbEEZZNS1_14partition_implILS5_6ELb0ES3_mN6thrust23THRUST_200600_302600_NS6detail15normal_iteratorINSA_10device_ptrItEEEEPS6_SG_NS0_5tupleIJSF_S6_EEENSH_IJSG_SG_EEES6_PlJNSB_9not_fun_tI7is_trueItEEEEEE10hipError_tPvRmT3_T4_T5_T6_T7_T9_mT8_P12ihipStream_tbDpT10_ENKUlT_T0_E_clISt17integral_constantIbLb1EES17_IbLb0EEEEDaS13_S14_EUlS13_E_NS1_11comp_targetILNS1_3genE0ELNS1_11target_archE4294967295ELNS1_3gpuE0ELNS1_3repE0EEENS1_30default_config_static_selectorELNS0_4arch9wavefront6targetE0EEEvT1_
	.p2align	8
	.type	_ZN7rocprim17ROCPRIM_400000_NS6detail17trampoline_kernelINS0_14default_configENS1_25partition_config_selectorILNS1_17partition_subalgoE6EtNS0_10empty_typeEbEEZZNS1_14partition_implILS5_6ELb0ES3_mN6thrust23THRUST_200600_302600_NS6detail15normal_iteratorINSA_10device_ptrItEEEEPS6_SG_NS0_5tupleIJSF_S6_EEENSH_IJSG_SG_EEES6_PlJNSB_9not_fun_tI7is_trueItEEEEEE10hipError_tPvRmT3_T4_T5_T6_T7_T9_mT8_P12ihipStream_tbDpT10_ENKUlT_T0_E_clISt17integral_constantIbLb1EES17_IbLb0EEEEDaS13_S14_EUlS13_E_NS1_11comp_targetILNS1_3genE0ELNS1_11target_archE4294967295ELNS1_3gpuE0ELNS1_3repE0EEENS1_30default_config_static_selectorELNS0_4arch9wavefront6targetE0EEEvT1_,@function
_ZN7rocprim17ROCPRIM_400000_NS6detail17trampoline_kernelINS0_14default_configENS1_25partition_config_selectorILNS1_17partition_subalgoE6EtNS0_10empty_typeEbEEZZNS1_14partition_implILS5_6ELb0ES3_mN6thrust23THRUST_200600_302600_NS6detail15normal_iteratorINSA_10device_ptrItEEEEPS6_SG_NS0_5tupleIJSF_S6_EEENSH_IJSG_SG_EEES6_PlJNSB_9not_fun_tI7is_trueItEEEEEE10hipError_tPvRmT3_T4_T5_T6_T7_T9_mT8_P12ihipStream_tbDpT10_ENKUlT_T0_E_clISt17integral_constantIbLb1EES17_IbLb0EEEEDaS13_S14_EUlS13_E_NS1_11comp_targetILNS1_3genE0ELNS1_11target_archE4294967295ELNS1_3gpuE0ELNS1_3repE0EEENS1_30default_config_static_selectorELNS0_4arch9wavefront6targetE0EEEvT1_: ; @_ZN7rocprim17ROCPRIM_400000_NS6detail17trampoline_kernelINS0_14default_configENS1_25partition_config_selectorILNS1_17partition_subalgoE6EtNS0_10empty_typeEbEEZZNS1_14partition_implILS5_6ELb0ES3_mN6thrust23THRUST_200600_302600_NS6detail15normal_iteratorINSA_10device_ptrItEEEEPS6_SG_NS0_5tupleIJSF_S6_EEENSH_IJSG_SG_EEES6_PlJNSB_9not_fun_tI7is_trueItEEEEEE10hipError_tPvRmT3_T4_T5_T6_T7_T9_mT8_P12ihipStream_tbDpT10_ENKUlT_T0_E_clISt17integral_constantIbLb1EES17_IbLb0EEEEDaS13_S14_EUlS13_E_NS1_11comp_targetILNS1_3genE0ELNS1_11target_archE4294967295ELNS1_3gpuE0ELNS1_3repE0EEENS1_30default_config_static_selectorELNS0_4arch9wavefront6targetE0EEEvT1_
; %bb.0:
	.section	.rodata,"a",@progbits
	.p2align	6, 0x0
	.amdhsa_kernel _ZN7rocprim17ROCPRIM_400000_NS6detail17trampoline_kernelINS0_14default_configENS1_25partition_config_selectorILNS1_17partition_subalgoE6EtNS0_10empty_typeEbEEZZNS1_14partition_implILS5_6ELb0ES3_mN6thrust23THRUST_200600_302600_NS6detail15normal_iteratorINSA_10device_ptrItEEEEPS6_SG_NS0_5tupleIJSF_S6_EEENSH_IJSG_SG_EEES6_PlJNSB_9not_fun_tI7is_trueItEEEEEE10hipError_tPvRmT3_T4_T5_T6_T7_T9_mT8_P12ihipStream_tbDpT10_ENKUlT_T0_E_clISt17integral_constantIbLb1EES17_IbLb0EEEEDaS13_S14_EUlS13_E_NS1_11comp_targetILNS1_3genE0ELNS1_11target_archE4294967295ELNS1_3gpuE0ELNS1_3repE0EEENS1_30default_config_static_selectorELNS0_4arch9wavefront6targetE0EEEvT1_
		.amdhsa_group_segment_fixed_size 0
		.amdhsa_private_segment_fixed_size 0
		.amdhsa_kernarg_size 112
		.amdhsa_user_sgpr_count 2
		.amdhsa_user_sgpr_dispatch_ptr 0
		.amdhsa_user_sgpr_queue_ptr 0
		.amdhsa_user_sgpr_kernarg_segment_ptr 1
		.amdhsa_user_sgpr_dispatch_id 0
		.amdhsa_user_sgpr_private_segment_size 0
		.amdhsa_wavefront_size32 1
		.amdhsa_uses_dynamic_stack 0
		.amdhsa_enable_private_segment 0
		.amdhsa_system_sgpr_workgroup_id_x 1
		.amdhsa_system_sgpr_workgroup_id_y 0
		.amdhsa_system_sgpr_workgroup_id_z 0
		.amdhsa_system_sgpr_workgroup_info 0
		.amdhsa_system_vgpr_workitem_id 0
		.amdhsa_next_free_vgpr 1
		.amdhsa_next_free_sgpr 1
		.amdhsa_reserve_vcc 0
		.amdhsa_float_round_mode_32 0
		.amdhsa_float_round_mode_16_64 0
		.amdhsa_float_denorm_mode_32 3
		.amdhsa_float_denorm_mode_16_64 3
		.amdhsa_fp16_overflow 0
		.amdhsa_workgroup_processor_mode 1
		.amdhsa_memory_ordered 1
		.amdhsa_forward_progress 1
		.amdhsa_inst_pref_size 0
		.amdhsa_round_robin_scheduling 0
		.amdhsa_exception_fp_ieee_invalid_op 0
		.amdhsa_exception_fp_denorm_src 0
		.amdhsa_exception_fp_ieee_div_zero 0
		.amdhsa_exception_fp_ieee_overflow 0
		.amdhsa_exception_fp_ieee_underflow 0
		.amdhsa_exception_fp_ieee_inexact 0
		.amdhsa_exception_int_div_zero 0
	.end_amdhsa_kernel
	.section	.text._ZN7rocprim17ROCPRIM_400000_NS6detail17trampoline_kernelINS0_14default_configENS1_25partition_config_selectorILNS1_17partition_subalgoE6EtNS0_10empty_typeEbEEZZNS1_14partition_implILS5_6ELb0ES3_mN6thrust23THRUST_200600_302600_NS6detail15normal_iteratorINSA_10device_ptrItEEEEPS6_SG_NS0_5tupleIJSF_S6_EEENSH_IJSG_SG_EEES6_PlJNSB_9not_fun_tI7is_trueItEEEEEE10hipError_tPvRmT3_T4_T5_T6_T7_T9_mT8_P12ihipStream_tbDpT10_ENKUlT_T0_E_clISt17integral_constantIbLb1EES17_IbLb0EEEEDaS13_S14_EUlS13_E_NS1_11comp_targetILNS1_3genE0ELNS1_11target_archE4294967295ELNS1_3gpuE0ELNS1_3repE0EEENS1_30default_config_static_selectorELNS0_4arch9wavefront6targetE0EEEvT1_,"axG",@progbits,_ZN7rocprim17ROCPRIM_400000_NS6detail17trampoline_kernelINS0_14default_configENS1_25partition_config_selectorILNS1_17partition_subalgoE6EtNS0_10empty_typeEbEEZZNS1_14partition_implILS5_6ELb0ES3_mN6thrust23THRUST_200600_302600_NS6detail15normal_iteratorINSA_10device_ptrItEEEEPS6_SG_NS0_5tupleIJSF_S6_EEENSH_IJSG_SG_EEES6_PlJNSB_9not_fun_tI7is_trueItEEEEEE10hipError_tPvRmT3_T4_T5_T6_T7_T9_mT8_P12ihipStream_tbDpT10_ENKUlT_T0_E_clISt17integral_constantIbLb1EES17_IbLb0EEEEDaS13_S14_EUlS13_E_NS1_11comp_targetILNS1_3genE0ELNS1_11target_archE4294967295ELNS1_3gpuE0ELNS1_3repE0EEENS1_30default_config_static_selectorELNS0_4arch9wavefront6targetE0EEEvT1_,comdat
.Lfunc_end1189:
	.size	_ZN7rocprim17ROCPRIM_400000_NS6detail17trampoline_kernelINS0_14default_configENS1_25partition_config_selectorILNS1_17partition_subalgoE6EtNS0_10empty_typeEbEEZZNS1_14partition_implILS5_6ELb0ES3_mN6thrust23THRUST_200600_302600_NS6detail15normal_iteratorINSA_10device_ptrItEEEEPS6_SG_NS0_5tupleIJSF_S6_EEENSH_IJSG_SG_EEES6_PlJNSB_9not_fun_tI7is_trueItEEEEEE10hipError_tPvRmT3_T4_T5_T6_T7_T9_mT8_P12ihipStream_tbDpT10_ENKUlT_T0_E_clISt17integral_constantIbLb1EES17_IbLb0EEEEDaS13_S14_EUlS13_E_NS1_11comp_targetILNS1_3genE0ELNS1_11target_archE4294967295ELNS1_3gpuE0ELNS1_3repE0EEENS1_30default_config_static_selectorELNS0_4arch9wavefront6targetE0EEEvT1_, .Lfunc_end1189-_ZN7rocprim17ROCPRIM_400000_NS6detail17trampoline_kernelINS0_14default_configENS1_25partition_config_selectorILNS1_17partition_subalgoE6EtNS0_10empty_typeEbEEZZNS1_14partition_implILS5_6ELb0ES3_mN6thrust23THRUST_200600_302600_NS6detail15normal_iteratorINSA_10device_ptrItEEEEPS6_SG_NS0_5tupleIJSF_S6_EEENSH_IJSG_SG_EEES6_PlJNSB_9not_fun_tI7is_trueItEEEEEE10hipError_tPvRmT3_T4_T5_T6_T7_T9_mT8_P12ihipStream_tbDpT10_ENKUlT_T0_E_clISt17integral_constantIbLb1EES17_IbLb0EEEEDaS13_S14_EUlS13_E_NS1_11comp_targetILNS1_3genE0ELNS1_11target_archE4294967295ELNS1_3gpuE0ELNS1_3repE0EEENS1_30default_config_static_selectorELNS0_4arch9wavefront6targetE0EEEvT1_
                                        ; -- End function
	.set _ZN7rocprim17ROCPRIM_400000_NS6detail17trampoline_kernelINS0_14default_configENS1_25partition_config_selectorILNS1_17partition_subalgoE6EtNS0_10empty_typeEbEEZZNS1_14partition_implILS5_6ELb0ES3_mN6thrust23THRUST_200600_302600_NS6detail15normal_iteratorINSA_10device_ptrItEEEEPS6_SG_NS0_5tupleIJSF_S6_EEENSH_IJSG_SG_EEES6_PlJNSB_9not_fun_tI7is_trueItEEEEEE10hipError_tPvRmT3_T4_T5_T6_T7_T9_mT8_P12ihipStream_tbDpT10_ENKUlT_T0_E_clISt17integral_constantIbLb1EES17_IbLb0EEEEDaS13_S14_EUlS13_E_NS1_11comp_targetILNS1_3genE0ELNS1_11target_archE4294967295ELNS1_3gpuE0ELNS1_3repE0EEENS1_30default_config_static_selectorELNS0_4arch9wavefront6targetE0EEEvT1_.num_vgpr, 0
	.set _ZN7rocprim17ROCPRIM_400000_NS6detail17trampoline_kernelINS0_14default_configENS1_25partition_config_selectorILNS1_17partition_subalgoE6EtNS0_10empty_typeEbEEZZNS1_14partition_implILS5_6ELb0ES3_mN6thrust23THRUST_200600_302600_NS6detail15normal_iteratorINSA_10device_ptrItEEEEPS6_SG_NS0_5tupleIJSF_S6_EEENSH_IJSG_SG_EEES6_PlJNSB_9not_fun_tI7is_trueItEEEEEE10hipError_tPvRmT3_T4_T5_T6_T7_T9_mT8_P12ihipStream_tbDpT10_ENKUlT_T0_E_clISt17integral_constantIbLb1EES17_IbLb0EEEEDaS13_S14_EUlS13_E_NS1_11comp_targetILNS1_3genE0ELNS1_11target_archE4294967295ELNS1_3gpuE0ELNS1_3repE0EEENS1_30default_config_static_selectorELNS0_4arch9wavefront6targetE0EEEvT1_.num_agpr, 0
	.set _ZN7rocprim17ROCPRIM_400000_NS6detail17trampoline_kernelINS0_14default_configENS1_25partition_config_selectorILNS1_17partition_subalgoE6EtNS0_10empty_typeEbEEZZNS1_14partition_implILS5_6ELb0ES3_mN6thrust23THRUST_200600_302600_NS6detail15normal_iteratorINSA_10device_ptrItEEEEPS6_SG_NS0_5tupleIJSF_S6_EEENSH_IJSG_SG_EEES6_PlJNSB_9not_fun_tI7is_trueItEEEEEE10hipError_tPvRmT3_T4_T5_T6_T7_T9_mT8_P12ihipStream_tbDpT10_ENKUlT_T0_E_clISt17integral_constantIbLb1EES17_IbLb0EEEEDaS13_S14_EUlS13_E_NS1_11comp_targetILNS1_3genE0ELNS1_11target_archE4294967295ELNS1_3gpuE0ELNS1_3repE0EEENS1_30default_config_static_selectorELNS0_4arch9wavefront6targetE0EEEvT1_.numbered_sgpr, 0
	.set _ZN7rocprim17ROCPRIM_400000_NS6detail17trampoline_kernelINS0_14default_configENS1_25partition_config_selectorILNS1_17partition_subalgoE6EtNS0_10empty_typeEbEEZZNS1_14partition_implILS5_6ELb0ES3_mN6thrust23THRUST_200600_302600_NS6detail15normal_iteratorINSA_10device_ptrItEEEEPS6_SG_NS0_5tupleIJSF_S6_EEENSH_IJSG_SG_EEES6_PlJNSB_9not_fun_tI7is_trueItEEEEEE10hipError_tPvRmT3_T4_T5_T6_T7_T9_mT8_P12ihipStream_tbDpT10_ENKUlT_T0_E_clISt17integral_constantIbLb1EES17_IbLb0EEEEDaS13_S14_EUlS13_E_NS1_11comp_targetILNS1_3genE0ELNS1_11target_archE4294967295ELNS1_3gpuE0ELNS1_3repE0EEENS1_30default_config_static_selectorELNS0_4arch9wavefront6targetE0EEEvT1_.num_named_barrier, 0
	.set _ZN7rocprim17ROCPRIM_400000_NS6detail17trampoline_kernelINS0_14default_configENS1_25partition_config_selectorILNS1_17partition_subalgoE6EtNS0_10empty_typeEbEEZZNS1_14partition_implILS5_6ELb0ES3_mN6thrust23THRUST_200600_302600_NS6detail15normal_iteratorINSA_10device_ptrItEEEEPS6_SG_NS0_5tupleIJSF_S6_EEENSH_IJSG_SG_EEES6_PlJNSB_9not_fun_tI7is_trueItEEEEEE10hipError_tPvRmT3_T4_T5_T6_T7_T9_mT8_P12ihipStream_tbDpT10_ENKUlT_T0_E_clISt17integral_constantIbLb1EES17_IbLb0EEEEDaS13_S14_EUlS13_E_NS1_11comp_targetILNS1_3genE0ELNS1_11target_archE4294967295ELNS1_3gpuE0ELNS1_3repE0EEENS1_30default_config_static_selectorELNS0_4arch9wavefront6targetE0EEEvT1_.private_seg_size, 0
	.set _ZN7rocprim17ROCPRIM_400000_NS6detail17trampoline_kernelINS0_14default_configENS1_25partition_config_selectorILNS1_17partition_subalgoE6EtNS0_10empty_typeEbEEZZNS1_14partition_implILS5_6ELb0ES3_mN6thrust23THRUST_200600_302600_NS6detail15normal_iteratorINSA_10device_ptrItEEEEPS6_SG_NS0_5tupleIJSF_S6_EEENSH_IJSG_SG_EEES6_PlJNSB_9not_fun_tI7is_trueItEEEEEE10hipError_tPvRmT3_T4_T5_T6_T7_T9_mT8_P12ihipStream_tbDpT10_ENKUlT_T0_E_clISt17integral_constantIbLb1EES17_IbLb0EEEEDaS13_S14_EUlS13_E_NS1_11comp_targetILNS1_3genE0ELNS1_11target_archE4294967295ELNS1_3gpuE0ELNS1_3repE0EEENS1_30default_config_static_selectorELNS0_4arch9wavefront6targetE0EEEvT1_.uses_vcc, 0
	.set _ZN7rocprim17ROCPRIM_400000_NS6detail17trampoline_kernelINS0_14default_configENS1_25partition_config_selectorILNS1_17partition_subalgoE6EtNS0_10empty_typeEbEEZZNS1_14partition_implILS5_6ELb0ES3_mN6thrust23THRUST_200600_302600_NS6detail15normal_iteratorINSA_10device_ptrItEEEEPS6_SG_NS0_5tupleIJSF_S6_EEENSH_IJSG_SG_EEES6_PlJNSB_9not_fun_tI7is_trueItEEEEEE10hipError_tPvRmT3_T4_T5_T6_T7_T9_mT8_P12ihipStream_tbDpT10_ENKUlT_T0_E_clISt17integral_constantIbLb1EES17_IbLb0EEEEDaS13_S14_EUlS13_E_NS1_11comp_targetILNS1_3genE0ELNS1_11target_archE4294967295ELNS1_3gpuE0ELNS1_3repE0EEENS1_30default_config_static_selectorELNS0_4arch9wavefront6targetE0EEEvT1_.uses_flat_scratch, 0
	.set _ZN7rocprim17ROCPRIM_400000_NS6detail17trampoline_kernelINS0_14default_configENS1_25partition_config_selectorILNS1_17partition_subalgoE6EtNS0_10empty_typeEbEEZZNS1_14partition_implILS5_6ELb0ES3_mN6thrust23THRUST_200600_302600_NS6detail15normal_iteratorINSA_10device_ptrItEEEEPS6_SG_NS0_5tupleIJSF_S6_EEENSH_IJSG_SG_EEES6_PlJNSB_9not_fun_tI7is_trueItEEEEEE10hipError_tPvRmT3_T4_T5_T6_T7_T9_mT8_P12ihipStream_tbDpT10_ENKUlT_T0_E_clISt17integral_constantIbLb1EES17_IbLb0EEEEDaS13_S14_EUlS13_E_NS1_11comp_targetILNS1_3genE0ELNS1_11target_archE4294967295ELNS1_3gpuE0ELNS1_3repE0EEENS1_30default_config_static_selectorELNS0_4arch9wavefront6targetE0EEEvT1_.has_dyn_sized_stack, 0
	.set _ZN7rocprim17ROCPRIM_400000_NS6detail17trampoline_kernelINS0_14default_configENS1_25partition_config_selectorILNS1_17partition_subalgoE6EtNS0_10empty_typeEbEEZZNS1_14partition_implILS5_6ELb0ES3_mN6thrust23THRUST_200600_302600_NS6detail15normal_iteratorINSA_10device_ptrItEEEEPS6_SG_NS0_5tupleIJSF_S6_EEENSH_IJSG_SG_EEES6_PlJNSB_9not_fun_tI7is_trueItEEEEEE10hipError_tPvRmT3_T4_T5_T6_T7_T9_mT8_P12ihipStream_tbDpT10_ENKUlT_T0_E_clISt17integral_constantIbLb1EES17_IbLb0EEEEDaS13_S14_EUlS13_E_NS1_11comp_targetILNS1_3genE0ELNS1_11target_archE4294967295ELNS1_3gpuE0ELNS1_3repE0EEENS1_30default_config_static_selectorELNS0_4arch9wavefront6targetE0EEEvT1_.has_recursion, 0
	.set _ZN7rocprim17ROCPRIM_400000_NS6detail17trampoline_kernelINS0_14default_configENS1_25partition_config_selectorILNS1_17partition_subalgoE6EtNS0_10empty_typeEbEEZZNS1_14partition_implILS5_6ELb0ES3_mN6thrust23THRUST_200600_302600_NS6detail15normal_iteratorINSA_10device_ptrItEEEEPS6_SG_NS0_5tupleIJSF_S6_EEENSH_IJSG_SG_EEES6_PlJNSB_9not_fun_tI7is_trueItEEEEEE10hipError_tPvRmT3_T4_T5_T6_T7_T9_mT8_P12ihipStream_tbDpT10_ENKUlT_T0_E_clISt17integral_constantIbLb1EES17_IbLb0EEEEDaS13_S14_EUlS13_E_NS1_11comp_targetILNS1_3genE0ELNS1_11target_archE4294967295ELNS1_3gpuE0ELNS1_3repE0EEENS1_30default_config_static_selectorELNS0_4arch9wavefront6targetE0EEEvT1_.has_indirect_call, 0
	.section	.AMDGPU.csdata,"",@progbits
; Kernel info:
; codeLenInByte = 0
; TotalNumSgprs: 0
; NumVgprs: 0
; ScratchSize: 0
; MemoryBound: 0
; FloatMode: 240
; IeeeMode: 1
; LDSByteSize: 0 bytes/workgroup (compile time only)
; SGPRBlocks: 0
; VGPRBlocks: 0
; NumSGPRsForWavesPerEU: 1
; NumVGPRsForWavesPerEU: 1
; Occupancy: 16
; WaveLimiterHint : 0
; COMPUTE_PGM_RSRC2:SCRATCH_EN: 0
; COMPUTE_PGM_RSRC2:USER_SGPR: 2
; COMPUTE_PGM_RSRC2:TRAP_HANDLER: 0
; COMPUTE_PGM_RSRC2:TGID_X_EN: 1
; COMPUTE_PGM_RSRC2:TGID_Y_EN: 0
; COMPUTE_PGM_RSRC2:TGID_Z_EN: 0
; COMPUTE_PGM_RSRC2:TIDIG_COMP_CNT: 0
	.section	.text._ZN7rocprim17ROCPRIM_400000_NS6detail17trampoline_kernelINS0_14default_configENS1_25partition_config_selectorILNS1_17partition_subalgoE6EtNS0_10empty_typeEbEEZZNS1_14partition_implILS5_6ELb0ES3_mN6thrust23THRUST_200600_302600_NS6detail15normal_iteratorINSA_10device_ptrItEEEEPS6_SG_NS0_5tupleIJSF_S6_EEENSH_IJSG_SG_EEES6_PlJNSB_9not_fun_tI7is_trueItEEEEEE10hipError_tPvRmT3_T4_T5_T6_T7_T9_mT8_P12ihipStream_tbDpT10_ENKUlT_T0_E_clISt17integral_constantIbLb1EES17_IbLb0EEEEDaS13_S14_EUlS13_E_NS1_11comp_targetILNS1_3genE5ELNS1_11target_archE942ELNS1_3gpuE9ELNS1_3repE0EEENS1_30default_config_static_selectorELNS0_4arch9wavefront6targetE0EEEvT1_,"axG",@progbits,_ZN7rocprim17ROCPRIM_400000_NS6detail17trampoline_kernelINS0_14default_configENS1_25partition_config_selectorILNS1_17partition_subalgoE6EtNS0_10empty_typeEbEEZZNS1_14partition_implILS5_6ELb0ES3_mN6thrust23THRUST_200600_302600_NS6detail15normal_iteratorINSA_10device_ptrItEEEEPS6_SG_NS0_5tupleIJSF_S6_EEENSH_IJSG_SG_EEES6_PlJNSB_9not_fun_tI7is_trueItEEEEEE10hipError_tPvRmT3_T4_T5_T6_T7_T9_mT8_P12ihipStream_tbDpT10_ENKUlT_T0_E_clISt17integral_constantIbLb1EES17_IbLb0EEEEDaS13_S14_EUlS13_E_NS1_11comp_targetILNS1_3genE5ELNS1_11target_archE942ELNS1_3gpuE9ELNS1_3repE0EEENS1_30default_config_static_selectorELNS0_4arch9wavefront6targetE0EEEvT1_,comdat
	.protected	_ZN7rocprim17ROCPRIM_400000_NS6detail17trampoline_kernelINS0_14default_configENS1_25partition_config_selectorILNS1_17partition_subalgoE6EtNS0_10empty_typeEbEEZZNS1_14partition_implILS5_6ELb0ES3_mN6thrust23THRUST_200600_302600_NS6detail15normal_iteratorINSA_10device_ptrItEEEEPS6_SG_NS0_5tupleIJSF_S6_EEENSH_IJSG_SG_EEES6_PlJNSB_9not_fun_tI7is_trueItEEEEEE10hipError_tPvRmT3_T4_T5_T6_T7_T9_mT8_P12ihipStream_tbDpT10_ENKUlT_T0_E_clISt17integral_constantIbLb1EES17_IbLb0EEEEDaS13_S14_EUlS13_E_NS1_11comp_targetILNS1_3genE5ELNS1_11target_archE942ELNS1_3gpuE9ELNS1_3repE0EEENS1_30default_config_static_selectorELNS0_4arch9wavefront6targetE0EEEvT1_ ; -- Begin function _ZN7rocprim17ROCPRIM_400000_NS6detail17trampoline_kernelINS0_14default_configENS1_25partition_config_selectorILNS1_17partition_subalgoE6EtNS0_10empty_typeEbEEZZNS1_14partition_implILS5_6ELb0ES3_mN6thrust23THRUST_200600_302600_NS6detail15normal_iteratorINSA_10device_ptrItEEEEPS6_SG_NS0_5tupleIJSF_S6_EEENSH_IJSG_SG_EEES6_PlJNSB_9not_fun_tI7is_trueItEEEEEE10hipError_tPvRmT3_T4_T5_T6_T7_T9_mT8_P12ihipStream_tbDpT10_ENKUlT_T0_E_clISt17integral_constantIbLb1EES17_IbLb0EEEEDaS13_S14_EUlS13_E_NS1_11comp_targetILNS1_3genE5ELNS1_11target_archE942ELNS1_3gpuE9ELNS1_3repE0EEENS1_30default_config_static_selectorELNS0_4arch9wavefront6targetE0EEEvT1_
	.globl	_ZN7rocprim17ROCPRIM_400000_NS6detail17trampoline_kernelINS0_14default_configENS1_25partition_config_selectorILNS1_17partition_subalgoE6EtNS0_10empty_typeEbEEZZNS1_14partition_implILS5_6ELb0ES3_mN6thrust23THRUST_200600_302600_NS6detail15normal_iteratorINSA_10device_ptrItEEEEPS6_SG_NS0_5tupleIJSF_S6_EEENSH_IJSG_SG_EEES6_PlJNSB_9not_fun_tI7is_trueItEEEEEE10hipError_tPvRmT3_T4_T5_T6_T7_T9_mT8_P12ihipStream_tbDpT10_ENKUlT_T0_E_clISt17integral_constantIbLb1EES17_IbLb0EEEEDaS13_S14_EUlS13_E_NS1_11comp_targetILNS1_3genE5ELNS1_11target_archE942ELNS1_3gpuE9ELNS1_3repE0EEENS1_30default_config_static_selectorELNS0_4arch9wavefront6targetE0EEEvT1_
	.p2align	8
	.type	_ZN7rocprim17ROCPRIM_400000_NS6detail17trampoline_kernelINS0_14default_configENS1_25partition_config_selectorILNS1_17partition_subalgoE6EtNS0_10empty_typeEbEEZZNS1_14partition_implILS5_6ELb0ES3_mN6thrust23THRUST_200600_302600_NS6detail15normal_iteratorINSA_10device_ptrItEEEEPS6_SG_NS0_5tupleIJSF_S6_EEENSH_IJSG_SG_EEES6_PlJNSB_9not_fun_tI7is_trueItEEEEEE10hipError_tPvRmT3_T4_T5_T6_T7_T9_mT8_P12ihipStream_tbDpT10_ENKUlT_T0_E_clISt17integral_constantIbLb1EES17_IbLb0EEEEDaS13_S14_EUlS13_E_NS1_11comp_targetILNS1_3genE5ELNS1_11target_archE942ELNS1_3gpuE9ELNS1_3repE0EEENS1_30default_config_static_selectorELNS0_4arch9wavefront6targetE0EEEvT1_,@function
_ZN7rocprim17ROCPRIM_400000_NS6detail17trampoline_kernelINS0_14default_configENS1_25partition_config_selectorILNS1_17partition_subalgoE6EtNS0_10empty_typeEbEEZZNS1_14partition_implILS5_6ELb0ES3_mN6thrust23THRUST_200600_302600_NS6detail15normal_iteratorINSA_10device_ptrItEEEEPS6_SG_NS0_5tupleIJSF_S6_EEENSH_IJSG_SG_EEES6_PlJNSB_9not_fun_tI7is_trueItEEEEEE10hipError_tPvRmT3_T4_T5_T6_T7_T9_mT8_P12ihipStream_tbDpT10_ENKUlT_T0_E_clISt17integral_constantIbLb1EES17_IbLb0EEEEDaS13_S14_EUlS13_E_NS1_11comp_targetILNS1_3genE5ELNS1_11target_archE942ELNS1_3gpuE9ELNS1_3repE0EEENS1_30default_config_static_selectorELNS0_4arch9wavefront6targetE0EEEvT1_: ; @_ZN7rocprim17ROCPRIM_400000_NS6detail17trampoline_kernelINS0_14default_configENS1_25partition_config_selectorILNS1_17partition_subalgoE6EtNS0_10empty_typeEbEEZZNS1_14partition_implILS5_6ELb0ES3_mN6thrust23THRUST_200600_302600_NS6detail15normal_iteratorINSA_10device_ptrItEEEEPS6_SG_NS0_5tupleIJSF_S6_EEENSH_IJSG_SG_EEES6_PlJNSB_9not_fun_tI7is_trueItEEEEEE10hipError_tPvRmT3_T4_T5_T6_T7_T9_mT8_P12ihipStream_tbDpT10_ENKUlT_T0_E_clISt17integral_constantIbLb1EES17_IbLb0EEEEDaS13_S14_EUlS13_E_NS1_11comp_targetILNS1_3genE5ELNS1_11target_archE942ELNS1_3gpuE9ELNS1_3repE0EEENS1_30default_config_static_selectorELNS0_4arch9wavefront6targetE0EEEvT1_
; %bb.0:
	.section	.rodata,"a",@progbits
	.p2align	6, 0x0
	.amdhsa_kernel _ZN7rocprim17ROCPRIM_400000_NS6detail17trampoline_kernelINS0_14default_configENS1_25partition_config_selectorILNS1_17partition_subalgoE6EtNS0_10empty_typeEbEEZZNS1_14partition_implILS5_6ELb0ES3_mN6thrust23THRUST_200600_302600_NS6detail15normal_iteratorINSA_10device_ptrItEEEEPS6_SG_NS0_5tupleIJSF_S6_EEENSH_IJSG_SG_EEES6_PlJNSB_9not_fun_tI7is_trueItEEEEEE10hipError_tPvRmT3_T4_T5_T6_T7_T9_mT8_P12ihipStream_tbDpT10_ENKUlT_T0_E_clISt17integral_constantIbLb1EES17_IbLb0EEEEDaS13_S14_EUlS13_E_NS1_11comp_targetILNS1_3genE5ELNS1_11target_archE942ELNS1_3gpuE9ELNS1_3repE0EEENS1_30default_config_static_selectorELNS0_4arch9wavefront6targetE0EEEvT1_
		.amdhsa_group_segment_fixed_size 0
		.amdhsa_private_segment_fixed_size 0
		.amdhsa_kernarg_size 112
		.amdhsa_user_sgpr_count 2
		.amdhsa_user_sgpr_dispatch_ptr 0
		.amdhsa_user_sgpr_queue_ptr 0
		.amdhsa_user_sgpr_kernarg_segment_ptr 1
		.amdhsa_user_sgpr_dispatch_id 0
		.amdhsa_user_sgpr_private_segment_size 0
		.amdhsa_wavefront_size32 1
		.amdhsa_uses_dynamic_stack 0
		.amdhsa_enable_private_segment 0
		.amdhsa_system_sgpr_workgroup_id_x 1
		.amdhsa_system_sgpr_workgroup_id_y 0
		.amdhsa_system_sgpr_workgroup_id_z 0
		.amdhsa_system_sgpr_workgroup_info 0
		.amdhsa_system_vgpr_workitem_id 0
		.amdhsa_next_free_vgpr 1
		.amdhsa_next_free_sgpr 1
		.amdhsa_reserve_vcc 0
		.amdhsa_float_round_mode_32 0
		.amdhsa_float_round_mode_16_64 0
		.amdhsa_float_denorm_mode_32 3
		.amdhsa_float_denorm_mode_16_64 3
		.amdhsa_fp16_overflow 0
		.amdhsa_workgroup_processor_mode 1
		.amdhsa_memory_ordered 1
		.amdhsa_forward_progress 1
		.amdhsa_inst_pref_size 0
		.amdhsa_round_robin_scheduling 0
		.amdhsa_exception_fp_ieee_invalid_op 0
		.amdhsa_exception_fp_denorm_src 0
		.amdhsa_exception_fp_ieee_div_zero 0
		.amdhsa_exception_fp_ieee_overflow 0
		.amdhsa_exception_fp_ieee_underflow 0
		.amdhsa_exception_fp_ieee_inexact 0
		.amdhsa_exception_int_div_zero 0
	.end_amdhsa_kernel
	.section	.text._ZN7rocprim17ROCPRIM_400000_NS6detail17trampoline_kernelINS0_14default_configENS1_25partition_config_selectorILNS1_17partition_subalgoE6EtNS0_10empty_typeEbEEZZNS1_14partition_implILS5_6ELb0ES3_mN6thrust23THRUST_200600_302600_NS6detail15normal_iteratorINSA_10device_ptrItEEEEPS6_SG_NS0_5tupleIJSF_S6_EEENSH_IJSG_SG_EEES6_PlJNSB_9not_fun_tI7is_trueItEEEEEE10hipError_tPvRmT3_T4_T5_T6_T7_T9_mT8_P12ihipStream_tbDpT10_ENKUlT_T0_E_clISt17integral_constantIbLb1EES17_IbLb0EEEEDaS13_S14_EUlS13_E_NS1_11comp_targetILNS1_3genE5ELNS1_11target_archE942ELNS1_3gpuE9ELNS1_3repE0EEENS1_30default_config_static_selectorELNS0_4arch9wavefront6targetE0EEEvT1_,"axG",@progbits,_ZN7rocprim17ROCPRIM_400000_NS6detail17trampoline_kernelINS0_14default_configENS1_25partition_config_selectorILNS1_17partition_subalgoE6EtNS0_10empty_typeEbEEZZNS1_14partition_implILS5_6ELb0ES3_mN6thrust23THRUST_200600_302600_NS6detail15normal_iteratorINSA_10device_ptrItEEEEPS6_SG_NS0_5tupleIJSF_S6_EEENSH_IJSG_SG_EEES6_PlJNSB_9not_fun_tI7is_trueItEEEEEE10hipError_tPvRmT3_T4_T5_T6_T7_T9_mT8_P12ihipStream_tbDpT10_ENKUlT_T0_E_clISt17integral_constantIbLb1EES17_IbLb0EEEEDaS13_S14_EUlS13_E_NS1_11comp_targetILNS1_3genE5ELNS1_11target_archE942ELNS1_3gpuE9ELNS1_3repE0EEENS1_30default_config_static_selectorELNS0_4arch9wavefront6targetE0EEEvT1_,comdat
.Lfunc_end1190:
	.size	_ZN7rocprim17ROCPRIM_400000_NS6detail17trampoline_kernelINS0_14default_configENS1_25partition_config_selectorILNS1_17partition_subalgoE6EtNS0_10empty_typeEbEEZZNS1_14partition_implILS5_6ELb0ES3_mN6thrust23THRUST_200600_302600_NS6detail15normal_iteratorINSA_10device_ptrItEEEEPS6_SG_NS0_5tupleIJSF_S6_EEENSH_IJSG_SG_EEES6_PlJNSB_9not_fun_tI7is_trueItEEEEEE10hipError_tPvRmT3_T4_T5_T6_T7_T9_mT8_P12ihipStream_tbDpT10_ENKUlT_T0_E_clISt17integral_constantIbLb1EES17_IbLb0EEEEDaS13_S14_EUlS13_E_NS1_11comp_targetILNS1_3genE5ELNS1_11target_archE942ELNS1_3gpuE9ELNS1_3repE0EEENS1_30default_config_static_selectorELNS0_4arch9wavefront6targetE0EEEvT1_, .Lfunc_end1190-_ZN7rocprim17ROCPRIM_400000_NS6detail17trampoline_kernelINS0_14default_configENS1_25partition_config_selectorILNS1_17partition_subalgoE6EtNS0_10empty_typeEbEEZZNS1_14partition_implILS5_6ELb0ES3_mN6thrust23THRUST_200600_302600_NS6detail15normal_iteratorINSA_10device_ptrItEEEEPS6_SG_NS0_5tupleIJSF_S6_EEENSH_IJSG_SG_EEES6_PlJNSB_9not_fun_tI7is_trueItEEEEEE10hipError_tPvRmT3_T4_T5_T6_T7_T9_mT8_P12ihipStream_tbDpT10_ENKUlT_T0_E_clISt17integral_constantIbLb1EES17_IbLb0EEEEDaS13_S14_EUlS13_E_NS1_11comp_targetILNS1_3genE5ELNS1_11target_archE942ELNS1_3gpuE9ELNS1_3repE0EEENS1_30default_config_static_selectorELNS0_4arch9wavefront6targetE0EEEvT1_
                                        ; -- End function
	.set _ZN7rocprim17ROCPRIM_400000_NS6detail17trampoline_kernelINS0_14default_configENS1_25partition_config_selectorILNS1_17partition_subalgoE6EtNS0_10empty_typeEbEEZZNS1_14partition_implILS5_6ELb0ES3_mN6thrust23THRUST_200600_302600_NS6detail15normal_iteratorINSA_10device_ptrItEEEEPS6_SG_NS0_5tupleIJSF_S6_EEENSH_IJSG_SG_EEES6_PlJNSB_9not_fun_tI7is_trueItEEEEEE10hipError_tPvRmT3_T4_T5_T6_T7_T9_mT8_P12ihipStream_tbDpT10_ENKUlT_T0_E_clISt17integral_constantIbLb1EES17_IbLb0EEEEDaS13_S14_EUlS13_E_NS1_11comp_targetILNS1_3genE5ELNS1_11target_archE942ELNS1_3gpuE9ELNS1_3repE0EEENS1_30default_config_static_selectorELNS0_4arch9wavefront6targetE0EEEvT1_.num_vgpr, 0
	.set _ZN7rocprim17ROCPRIM_400000_NS6detail17trampoline_kernelINS0_14default_configENS1_25partition_config_selectorILNS1_17partition_subalgoE6EtNS0_10empty_typeEbEEZZNS1_14partition_implILS5_6ELb0ES3_mN6thrust23THRUST_200600_302600_NS6detail15normal_iteratorINSA_10device_ptrItEEEEPS6_SG_NS0_5tupleIJSF_S6_EEENSH_IJSG_SG_EEES6_PlJNSB_9not_fun_tI7is_trueItEEEEEE10hipError_tPvRmT3_T4_T5_T6_T7_T9_mT8_P12ihipStream_tbDpT10_ENKUlT_T0_E_clISt17integral_constantIbLb1EES17_IbLb0EEEEDaS13_S14_EUlS13_E_NS1_11comp_targetILNS1_3genE5ELNS1_11target_archE942ELNS1_3gpuE9ELNS1_3repE0EEENS1_30default_config_static_selectorELNS0_4arch9wavefront6targetE0EEEvT1_.num_agpr, 0
	.set _ZN7rocprim17ROCPRIM_400000_NS6detail17trampoline_kernelINS0_14default_configENS1_25partition_config_selectorILNS1_17partition_subalgoE6EtNS0_10empty_typeEbEEZZNS1_14partition_implILS5_6ELb0ES3_mN6thrust23THRUST_200600_302600_NS6detail15normal_iteratorINSA_10device_ptrItEEEEPS6_SG_NS0_5tupleIJSF_S6_EEENSH_IJSG_SG_EEES6_PlJNSB_9not_fun_tI7is_trueItEEEEEE10hipError_tPvRmT3_T4_T5_T6_T7_T9_mT8_P12ihipStream_tbDpT10_ENKUlT_T0_E_clISt17integral_constantIbLb1EES17_IbLb0EEEEDaS13_S14_EUlS13_E_NS1_11comp_targetILNS1_3genE5ELNS1_11target_archE942ELNS1_3gpuE9ELNS1_3repE0EEENS1_30default_config_static_selectorELNS0_4arch9wavefront6targetE0EEEvT1_.numbered_sgpr, 0
	.set _ZN7rocprim17ROCPRIM_400000_NS6detail17trampoline_kernelINS0_14default_configENS1_25partition_config_selectorILNS1_17partition_subalgoE6EtNS0_10empty_typeEbEEZZNS1_14partition_implILS5_6ELb0ES3_mN6thrust23THRUST_200600_302600_NS6detail15normal_iteratorINSA_10device_ptrItEEEEPS6_SG_NS0_5tupleIJSF_S6_EEENSH_IJSG_SG_EEES6_PlJNSB_9not_fun_tI7is_trueItEEEEEE10hipError_tPvRmT3_T4_T5_T6_T7_T9_mT8_P12ihipStream_tbDpT10_ENKUlT_T0_E_clISt17integral_constantIbLb1EES17_IbLb0EEEEDaS13_S14_EUlS13_E_NS1_11comp_targetILNS1_3genE5ELNS1_11target_archE942ELNS1_3gpuE9ELNS1_3repE0EEENS1_30default_config_static_selectorELNS0_4arch9wavefront6targetE0EEEvT1_.num_named_barrier, 0
	.set _ZN7rocprim17ROCPRIM_400000_NS6detail17trampoline_kernelINS0_14default_configENS1_25partition_config_selectorILNS1_17partition_subalgoE6EtNS0_10empty_typeEbEEZZNS1_14partition_implILS5_6ELb0ES3_mN6thrust23THRUST_200600_302600_NS6detail15normal_iteratorINSA_10device_ptrItEEEEPS6_SG_NS0_5tupleIJSF_S6_EEENSH_IJSG_SG_EEES6_PlJNSB_9not_fun_tI7is_trueItEEEEEE10hipError_tPvRmT3_T4_T5_T6_T7_T9_mT8_P12ihipStream_tbDpT10_ENKUlT_T0_E_clISt17integral_constantIbLb1EES17_IbLb0EEEEDaS13_S14_EUlS13_E_NS1_11comp_targetILNS1_3genE5ELNS1_11target_archE942ELNS1_3gpuE9ELNS1_3repE0EEENS1_30default_config_static_selectorELNS0_4arch9wavefront6targetE0EEEvT1_.private_seg_size, 0
	.set _ZN7rocprim17ROCPRIM_400000_NS6detail17trampoline_kernelINS0_14default_configENS1_25partition_config_selectorILNS1_17partition_subalgoE6EtNS0_10empty_typeEbEEZZNS1_14partition_implILS5_6ELb0ES3_mN6thrust23THRUST_200600_302600_NS6detail15normal_iteratorINSA_10device_ptrItEEEEPS6_SG_NS0_5tupleIJSF_S6_EEENSH_IJSG_SG_EEES6_PlJNSB_9not_fun_tI7is_trueItEEEEEE10hipError_tPvRmT3_T4_T5_T6_T7_T9_mT8_P12ihipStream_tbDpT10_ENKUlT_T0_E_clISt17integral_constantIbLb1EES17_IbLb0EEEEDaS13_S14_EUlS13_E_NS1_11comp_targetILNS1_3genE5ELNS1_11target_archE942ELNS1_3gpuE9ELNS1_3repE0EEENS1_30default_config_static_selectorELNS0_4arch9wavefront6targetE0EEEvT1_.uses_vcc, 0
	.set _ZN7rocprim17ROCPRIM_400000_NS6detail17trampoline_kernelINS0_14default_configENS1_25partition_config_selectorILNS1_17partition_subalgoE6EtNS0_10empty_typeEbEEZZNS1_14partition_implILS5_6ELb0ES3_mN6thrust23THRUST_200600_302600_NS6detail15normal_iteratorINSA_10device_ptrItEEEEPS6_SG_NS0_5tupleIJSF_S6_EEENSH_IJSG_SG_EEES6_PlJNSB_9not_fun_tI7is_trueItEEEEEE10hipError_tPvRmT3_T4_T5_T6_T7_T9_mT8_P12ihipStream_tbDpT10_ENKUlT_T0_E_clISt17integral_constantIbLb1EES17_IbLb0EEEEDaS13_S14_EUlS13_E_NS1_11comp_targetILNS1_3genE5ELNS1_11target_archE942ELNS1_3gpuE9ELNS1_3repE0EEENS1_30default_config_static_selectorELNS0_4arch9wavefront6targetE0EEEvT1_.uses_flat_scratch, 0
	.set _ZN7rocprim17ROCPRIM_400000_NS6detail17trampoline_kernelINS0_14default_configENS1_25partition_config_selectorILNS1_17partition_subalgoE6EtNS0_10empty_typeEbEEZZNS1_14partition_implILS5_6ELb0ES3_mN6thrust23THRUST_200600_302600_NS6detail15normal_iteratorINSA_10device_ptrItEEEEPS6_SG_NS0_5tupleIJSF_S6_EEENSH_IJSG_SG_EEES6_PlJNSB_9not_fun_tI7is_trueItEEEEEE10hipError_tPvRmT3_T4_T5_T6_T7_T9_mT8_P12ihipStream_tbDpT10_ENKUlT_T0_E_clISt17integral_constantIbLb1EES17_IbLb0EEEEDaS13_S14_EUlS13_E_NS1_11comp_targetILNS1_3genE5ELNS1_11target_archE942ELNS1_3gpuE9ELNS1_3repE0EEENS1_30default_config_static_selectorELNS0_4arch9wavefront6targetE0EEEvT1_.has_dyn_sized_stack, 0
	.set _ZN7rocprim17ROCPRIM_400000_NS6detail17trampoline_kernelINS0_14default_configENS1_25partition_config_selectorILNS1_17partition_subalgoE6EtNS0_10empty_typeEbEEZZNS1_14partition_implILS5_6ELb0ES3_mN6thrust23THRUST_200600_302600_NS6detail15normal_iteratorINSA_10device_ptrItEEEEPS6_SG_NS0_5tupleIJSF_S6_EEENSH_IJSG_SG_EEES6_PlJNSB_9not_fun_tI7is_trueItEEEEEE10hipError_tPvRmT3_T4_T5_T6_T7_T9_mT8_P12ihipStream_tbDpT10_ENKUlT_T0_E_clISt17integral_constantIbLb1EES17_IbLb0EEEEDaS13_S14_EUlS13_E_NS1_11comp_targetILNS1_3genE5ELNS1_11target_archE942ELNS1_3gpuE9ELNS1_3repE0EEENS1_30default_config_static_selectorELNS0_4arch9wavefront6targetE0EEEvT1_.has_recursion, 0
	.set _ZN7rocprim17ROCPRIM_400000_NS6detail17trampoline_kernelINS0_14default_configENS1_25partition_config_selectorILNS1_17partition_subalgoE6EtNS0_10empty_typeEbEEZZNS1_14partition_implILS5_6ELb0ES3_mN6thrust23THRUST_200600_302600_NS6detail15normal_iteratorINSA_10device_ptrItEEEEPS6_SG_NS0_5tupleIJSF_S6_EEENSH_IJSG_SG_EEES6_PlJNSB_9not_fun_tI7is_trueItEEEEEE10hipError_tPvRmT3_T4_T5_T6_T7_T9_mT8_P12ihipStream_tbDpT10_ENKUlT_T0_E_clISt17integral_constantIbLb1EES17_IbLb0EEEEDaS13_S14_EUlS13_E_NS1_11comp_targetILNS1_3genE5ELNS1_11target_archE942ELNS1_3gpuE9ELNS1_3repE0EEENS1_30default_config_static_selectorELNS0_4arch9wavefront6targetE0EEEvT1_.has_indirect_call, 0
	.section	.AMDGPU.csdata,"",@progbits
; Kernel info:
; codeLenInByte = 0
; TotalNumSgprs: 0
; NumVgprs: 0
; ScratchSize: 0
; MemoryBound: 0
; FloatMode: 240
; IeeeMode: 1
; LDSByteSize: 0 bytes/workgroup (compile time only)
; SGPRBlocks: 0
; VGPRBlocks: 0
; NumSGPRsForWavesPerEU: 1
; NumVGPRsForWavesPerEU: 1
; Occupancy: 16
; WaveLimiterHint : 0
; COMPUTE_PGM_RSRC2:SCRATCH_EN: 0
; COMPUTE_PGM_RSRC2:USER_SGPR: 2
; COMPUTE_PGM_RSRC2:TRAP_HANDLER: 0
; COMPUTE_PGM_RSRC2:TGID_X_EN: 1
; COMPUTE_PGM_RSRC2:TGID_Y_EN: 0
; COMPUTE_PGM_RSRC2:TGID_Z_EN: 0
; COMPUTE_PGM_RSRC2:TIDIG_COMP_CNT: 0
	.section	.text._ZN7rocprim17ROCPRIM_400000_NS6detail17trampoline_kernelINS0_14default_configENS1_25partition_config_selectorILNS1_17partition_subalgoE6EtNS0_10empty_typeEbEEZZNS1_14partition_implILS5_6ELb0ES3_mN6thrust23THRUST_200600_302600_NS6detail15normal_iteratorINSA_10device_ptrItEEEEPS6_SG_NS0_5tupleIJSF_S6_EEENSH_IJSG_SG_EEES6_PlJNSB_9not_fun_tI7is_trueItEEEEEE10hipError_tPvRmT3_T4_T5_T6_T7_T9_mT8_P12ihipStream_tbDpT10_ENKUlT_T0_E_clISt17integral_constantIbLb1EES17_IbLb0EEEEDaS13_S14_EUlS13_E_NS1_11comp_targetILNS1_3genE4ELNS1_11target_archE910ELNS1_3gpuE8ELNS1_3repE0EEENS1_30default_config_static_selectorELNS0_4arch9wavefront6targetE0EEEvT1_,"axG",@progbits,_ZN7rocprim17ROCPRIM_400000_NS6detail17trampoline_kernelINS0_14default_configENS1_25partition_config_selectorILNS1_17partition_subalgoE6EtNS0_10empty_typeEbEEZZNS1_14partition_implILS5_6ELb0ES3_mN6thrust23THRUST_200600_302600_NS6detail15normal_iteratorINSA_10device_ptrItEEEEPS6_SG_NS0_5tupleIJSF_S6_EEENSH_IJSG_SG_EEES6_PlJNSB_9not_fun_tI7is_trueItEEEEEE10hipError_tPvRmT3_T4_T5_T6_T7_T9_mT8_P12ihipStream_tbDpT10_ENKUlT_T0_E_clISt17integral_constantIbLb1EES17_IbLb0EEEEDaS13_S14_EUlS13_E_NS1_11comp_targetILNS1_3genE4ELNS1_11target_archE910ELNS1_3gpuE8ELNS1_3repE0EEENS1_30default_config_static_selectorELNS0_4arch9wavefront6targetE0EEEvT1_,comdat
	.protected	_ZN7rocprim17ROCPRIM_400000_NS6detail17trampoline_kernelINS0_14default_configENS1_25partition_config_selectorILNS1_17partition_subalgoE6EtNS0_10empty_typeEbEEZZNS1_14partition_implILS5_6ELb0ES3_mN6thrust23THRUST_200600_302600_NS6detail15normal_iteratorINSA_10device_ptrItEEEEPS6_SG_NS0_5tupleIJSF_S6_EEENSH_IJSG_SG_EEES6_PlJNSB_9not_fun_tI7is_trueItEEEEEE10hipError_tPvRmT3_T4_T5_T6_T7_T9_mT8_P12ihipStream_tbDpT10_ENKUlT_T0_E_clISt17integral_constantIbLb1EES17_IbLb0EEEEDaS13_S14_EUlS13_E_NS1_11comp_targetILNS1_3genE4ELNS1_11target_archE910ELNS1_3gpuE8ELNS1_3repE0EEENS1_30default_config_static_selectorELNS0_4arch9wavefront6targetE0EEEvT1_ ; -- Begin function _ZN7rocprim17ROCPRIM_400000_NS6detail17trampoline_kernelINS0_14default_configENS1_25partition_config_selectorILNS1_17partition_subalgoE6EtNS0_10empty_typeEbEEZZNS1_14partition_implILS5_6ELb0ES3_mN6thrust23THRUST_200600_302600_NS6detail15normal_iteratorINSA_10device_ptrItEEEEPS6_SG_NS0_5tupleIJSF_S6_EEENSH_IJSG_SG_EEES6_PlJNSB_9not_fun_tI7is_trueItEEEEEE10hipError_tPvRmT3_T4_T5_T6_T7_T9_mT8_P12ihipStream_tbDpT10_ENKUlT_T0_E_clISt17integral_constantIbLb1EES17_IbLb0EEEEDaS13_S14_EUlS13_E_NS1_11comp_targetILNS1_3genE4ELNS1_11target_archE910ELNS1_3gpuE8ELNS1_3repE0EEENS1_30default_config_static_selectorELNS0_4arch9wavefront6targetE0EEEvT1_
	.globl	_ZN7rocprim17ROCPRIM_400000_NS6detail17trampoline_kernelINS0_14default_configENS1_25partition_config_selectorILNS1_17partition_subalgoE6EtNS0_10empty_typeEbEEZZNS1_14partition_implILS5_6ELb0ES3_mN6thrust23THRUST_200600_302600_NS6detail15normal_iteratorINSA_10device_ptrItEEEEPS6_SG_NS0_5tupleIJSF_S6_EEENSH_IJSG_SG_EEES6_PlJNSB_9not_fun_tI7is_trueItEEEEEE10hipError_tPvRmT3_T4_T5_T6_T7_T9_mT8_P12ihipStream_tbDpT10_ENKUlT_T0_E_clISt17integral_constantIbLb1EES17_IbLb0EEEEDaS13_S14_EUlS13_E_NS1_11comp_targetILNS1_3genE4ELNS1_11target_archE910ELNS1_3gpuE8ELNS1_3repE0EEENS1_30default_config_static_selectorELNS0_4arch9wavefront6targetE0EEEvT1_
	.p2align	8
	.type	_ZN7rocprim17ROCPRIM_400000_NS6detail17trampoline_kernelINS0_14default_configENS1_25partition_config_selectorILNS1_17partition_subalgoE6EtNS0_10empty_typeEbEEZZNS1_14partition_implILS5_6ELb0ES3_mN6thrust23THRUST_200600_302600_NS6detail15normal_iteratorINSA_10device_ptrItEEEEPS6_SG_NS0_5tupleIJSF_S6_EEENSH_IJSG_SG_EEES6_PlJNSB_9not_fun_tI7is_trueItEEEEEE10hipError_tPvRmT3_T4_T5_T6_T7_T9_mT8_P12ihipStream_tbDpT10_ENKUlT_T0_E_clISt17integral_constantIbLb1EES17_IbLb0EEEEDaS13_S14_EUlS13_E_NS1_11comp_targetILNS1_3genE4ELNS1_11target_archE910ELNS1_3gpuE8ELNS1_3repE0EEENS1_30default_config_static_selectorELNS0_4arch9wavefront6targetE0EEEvT1_,@function
_ZN7rocprim17ROCPRIM_400000_NS6detail17trampoline_kernelINS0_14default_configENS1_25partition_config_selectorILNS1_17partition_subalgoE6EtNS0_10empty_typeEbEEZZNS1_14partition_implILS5_6ELb0ES3_mN6thrust23THRUST_200600_302600_NS6detail15normal_iteratorINSA_10device_ptrItEEEEPS6_SG_NS0_5tupleIJSF_S6_EEENSH_IJSG_SG_EEES6_PlJNSB_9not_fun_tI7is_trueItEEEEEE10hipError_tPvRmT3_T4_T5_T6_T7_T9_mT8_P12ihipStream_tbDpT10_ENKUlT_T0_E_clISt17integral_constantIbLb1EES17_IbLb0EEEEDaS13_S14_EUlS13_E_NS1_11comp_targetILNS1_3genE4ELNS1_11target_archE910ELNS1_3gpuE8ELNS1_3repE0EEENS1_30default_config_static_selectorELNS0_4arch9wavefront6targetE0EEEvT1_: ; @_ZN7rocprim17ROCPRIM_400000_NS6detail17trampoline_kernelINS0_14default_configENS1_25partition_config_selectorILNS1_17partition_subalgoE6EtNS0_10empty_typeEbEEZZNS1_14partition_implILS5_6ELb0ES3_mN6thrust23THRUST_200600_302600_NS6detail15normal_iteratorINSA_10device_ptrItEEEEPS6_SG_NS0_5tupleIJSF_S6_EEENSH_IJSG_SG_EEES6_PlJNSB_9not_fun_tI7is_trueItEEEEEE10hipError_tPvRmT3_T4_T5_T6_T7_T9_mT8_P12ihipStream_tbDpT10_ENKUlT_T0_E_clISt17integral_constantIbLb1EES17_IbLb0EEEEDaS13_S14_EUlS13_E_NS1_11comp_targetILNS1_3genE4ELNS1_11target_archE910ELNS1_3gpuE8ELNS1_3repE0EEENS1_30default_config_static_selectorELNS0_4arch9wavefront6targetE0EEEvT1_
; %bb.0:
	.section	.rodata,"a",@progbits
	.p2align	6, 0x0
	.amdhsa_kernel _ZN7rocprim17ROCPRIM_400000_NS6detail17trampoline_kernelINS0_14default_configENS1_25partition_config_selectorILNS1_17partition_subalgoE6EtNS0_10empty_typeEbEEZZNS1_14partition_implILS5_6ELb0ES3_mN6thrust23THRUST_200600_302600_NS6detail15normal_iteratorINSA_10device_ptrItEEEEPS6_SG_NS0_5tupleIJSF_S6_EEENSH_IJSG_SG_EEES6_PlJNSB_9not_fun_tI7is_trueItEEEEEE10hipError_tPvRmT3_T4_T5_T6_T7_T9_mT8_P12ihipStream_tbDpT10_ENKUlT_T0_E_clISt17integral_constantIbLb1EES17_IbLb0EEEEDaS13_S14_EUlS13_E_NS1_11comp_targetILNS1_3genE4ELNS1_11target_archE910ELNS1_3gpuE8ELNS1_3repE0EEENS1_30default_config_static_selectorELNS0_4arch9wavefront6targetE0EEEvT1_
		.amdhsa_group_segment_fixed_size 0
		.amdhsa_private_segment_fixed_size 0
		.amdhsa_kernarg_size 112
		.amdhsa_user_sgpr_count 2
		.amdhsa_user_sgpr_dispatch_ptr 0
		.amdhsa_user_sgpr_queue_ptr 0
		.amdhsa_user_sgpr_kernarg_segment_ptr 1
		.amdhsa_user_sgpr_dispatch_id 0
		.amdhsa_user_sgpr_private_segment_size 0
		.amdhsa_wavefront_size32 1
		.amdhsa_uses_dynamic_stack 0
		.amdhsa_enable_private_segment 0
		.amdhsa_system_sgpr_workgroup_id_x 1
		.amdhsa_system_sgpr_workgroup_id_y 0
		.amdhsa_system_sgpr_workgroup_id_z 0
		.amdhsa_system_sgpr_workgroup_info 0
		.amdhsa_system_vgpr_workitem_id 0
		.amdhsa_next_free_vgpr 1
		.amdhsa_next_free_sgpr 1
		.amdhsa_reserve_vcc 0
		.amdhsa_float_round_mode_32 0
		.amdhsa_float_round_mode_16_64 0
		.amdhsa_float_denorm_mode_32 3
		.amdhsa_float_denorm_mode_16_64 3
		.amdhsa_fp16_overflow 0
		.amdhsa_workgroup_processor_mode 1
		.amdhsa_memory_ordered 1
		.amdhsa_forward_progress 1
		.amdhsa_inst_pref_size 0
		.amdhsa_round_robin_scheduling 0
		.amdhsa_exception_fp_ieee_invalid_op 0
		.amdhsa_exception_fp_denorm_src 0
		.amdhsa_exception_fp_ieee_div_zero 0
		.amdhsa_exception_fp_ieee_overflow 0
		.amdhsa_exception_fp_ieee_underflow 0
		.amdhsa_exception_fp_ieee_inexact 0
		.amdhsa_exception_int_div_zero 0
	.end_amdhsa_kernel
	.section	.text._ZN7rocprim17ROCPRIM_400000_NS6detail17trampoline_kernelINS0_14default_configENS1_25partition_config_selectorILNS1_17partition_subalgoE6EtNS0_10empty_typeEbEEZZNS1_14partition_implILS5_6ELb0ES3_mN6thrust23THRUST_200600_302600_NS6detail15normal_iteratorINSA_10device_ptrItEEEEPS6_SG_NS0_5tupleIJSF_S6_EEENSH_IJSG_SG_EEES6_PlJNSB_9not_fun_tI7is_trueItEEEEEE10hipError_tPvRmT3_T4_T5_T6_T7_T9_mT8_P12ihipStream_tbDpT10_ENKUlT_T0_E_clISt17integral_constantIbLb1EES17_IbLb0EEEEDaS13_S14_EUlS13_E_NS1_11comp_targetILNS1_3genE4ELNS1_11target_archE910ELNS1_3gpuE8ELNS1_3repE0EEENS1_30default_config_static_selectorELNS0_4arch9wavefront6targetE0EEEvT1_,"axG",@progbits,_ZN7rocprim17ROCPRIM_400000_NS6detail17trampoline_kernelINS0_14default_configENS1_25partition_config_selectorILNS1_17partition_subalgoE6EtNS0_10empty_typeEbEEZZNS1_14partition_implILS5_6ELb0ES3_mN6thrust23THRUST_200600_302600_NS6detail15normal_iteratorINSA_10device_ptrItEEEEPS6_SG_NS0_5tupleIJSF_S6_EEENSH_IJSG_SG_EEES6_PlJNSB_9not_fun_tI7is_trueItEEEEEE10hipError_tPvRmT3_T4_T5_T6_T7_T9_mT8_P12ihipStream_tbDpT10_ENKUlT_T0_E_clISt17integral_constantIbLb1EES17_IbLb0EEEEDaS13_S14_EUlS13_E_NS1_11comp_targetILNS1_3genE4ELNS1_11target_archE910ELNS1_3gpuE8ELNS1_3repE0EEENS1_30default_config_static_selectorELNS0_4arch9wavefront6targetE0EEEvT1_,comdat
.Lfunc_end1191:
	.size	_ZN7rocprim17ROCPRIM_400000_NS6detail17trampoline_kernelINS0_14default_configENS1_25partition_config_selectorILNS1_17partition_subalgoE6EtNS0_10empty_typeEbEEZZNS1_14partition_implILS5_6ELb0ES3_mN6thrust23THRUST_200600_302600_NS6detail15normal_iteratorINSA_10device_ptrItEEEEPS6_SG_NS0_5tupleIJSF_S6_EEENSH_IJSG_SG_EEES6_PlJNSB_9not_fun_tI7is_trueItEEEEEE10hipError_tPvRmT3_T4_T5_T6_T7_T9_mT8_P12ihipStream_tbDpT10_ENKUlT_T0_E_clISt17integral_constantIbLb1EES17_IbLb0EEEEDaS13_S14_EUlS13_E_NS1_11comp_targetILNS1_3genE4ELNS1_11target_archE910ELNS1_3gpuE8ELNS1_3repE0EEENS1_30default_config_static_selectorELNS0_4arch9wavefront6targetE0EEEvT1_, .Lfunc_end1191-_ZN7rocprim17ROCPRIM_400000_NS6detail17trampoline_kernelINS0_14default_configENS1_25partition_config_selectorILNS1_17partition_subalgoE6EtNS0_10empty_typeEbEEZZNS1_14partition_implILS5_6ELb0ES3_mN6thrust23THRUST_200600_302600_NS6detail15normal_iteratorINSA_10device_ptrItEEEEPS6_SG_NS0_5tupleIJSF_S6_EEENSH_IJSG_SG_EEES6_PlJNSB_9not_fun_tI7is_trueItEEEEEE10hipError_tPvRmT3_T4_T5_T6_T7_T9_mT8_P12ihipStream_tbDpT10_ENKUlT_T0_E_clISt17integral_constantIbLb1EES17_IbLb0EEEEDaS13_S14_EUlS13_E_NS1_11comp_targetILNS1_3genE4ELNS1_11target_archE910ELNS1_3gpuE8ELNS1_3repE0EEENS1_30default_config_static_selectorELNS0_4arch9wavefront6targetE0EEEvT1_
                                        ; -- End function
	.set _ZN7rocprim17ROCPRIM_400000_NS6detail17trampoline_kernelINS0_14default_configENS1_25partition_config_selectorILNS1_17partition_subalgoE6EtNS0_10empty_typeEbEEZZNS1_14partition_implILS5_6ELb0ES3_mN6thrust23THRUST_200600_302600_NS6detail15normal_iteratorINSA_10device_ptrItEEEEPS6_SG_NS0_5tupleIJSF_S6_EEENSH_IJSG_SG_EEES6_PlJNSB_9not_fun_tI7is_trueItEEEEEE10hipError_tPvRmT3_T4_T5_T6_T7_T9_mT8_P12ihipStream_tbDpT10_ENKUlT_T0_E_clISt17integral_constantIbLb1EES17_IbLb0EEEEDaS13_S14_EUlS13_E_NS1_11comp_targetILNS1_3genE4ELNS1_11target_archE910ELNS1_3gpuE8ELNS1_3repE0EEENS1_30default_config_static_selectorELNS0_4arch9wavefront6targetE0EEEvT1_.num_vgpr, 0
	.set _ZN7rocprim17ROCPRIM_400000_NS6detail17trampoline_kernelINS0_14default_configENS1_25partition_config_selectorILNS1_17partition_subalgoE6EtNS0_10empty_typeEbEEZZNS1_14partition_implILS5_6ELb0ES3_mN6thrust23THRUST_200600_302600_NS6detail15normal_iteratorINSA_10device_ptrItEEEEPS6_SG_NS0_5tupleIJSF_S6_EEENSH_IJSG_SG_EEES6_PlJNSB_9not_fun_tI7is_trueItEEEEEE10hipError_tPvRmT3_T4_T5_T6_T7_T9_mT8_P12ihipStream_tbDpT10_ENKUlT_T0_E_clISt17integral_constantIbLb1EES17_IbLb0EEEEDaS13_S14_EUlS13_E_NS1_11comp_targetILNS1_3genE4ELNS1_11target_archE910ELNS1_3gpuE8ELNS1_3repE0EEENS1_30default_config_static_selectorELNS0_4arch9wavefront6targetE0EEEvT1_.num_agpr, 0
	.set _ZN7rocprim17ROCPRIM_400000_NS6detail17trampoline_kernelINS0_14default_configENS1_25partition_config_selectorILNS1_17partition_subalgoE6EtNS0_10empty_typeEbEEZZNS1_14partition_implILS5_6ELb0ES3_mN6thrust23THRUST_200600_302600_NS6detail15normal_iteratorINSA_10device_ptrItEEEEPS6_SG_NS0_5tupleIJSF_S6_EEENSH_IJSG_SG_EEES6_PlJNSB_9not_fun_tI7is_trueItEEEEEE10hipError_tPvRmT3_T4_T5_T6_T7_T9_mT8_P12ihipStream_tbDpT10_ENKUlT_T0_E_clISt17integral_constantIbLb1EES17_IbLb0EEEEDaS13_S14_EUlS13_E_NS1_11comp_targetILNS1_3genE4ELNS1_11target_archE910ELNS1_3gpuE8ELNS1_3repE0EEENS1_30default_config_static_selectorELNS0_4arch9wavefront6targetE0EEEvT1_.numbered_sgpr, 0
	.set _ZN7rocprim17ROCPRIM_400000_NS6detail17trampoline_kernelINS0_14default_configENS1_25partition_config_selectorILNS1_17partition_subalgoE6EtNS0_10empty_typeEbEEZZNS1_14partition_implILS5_6ELb0ES3_mN6thrust23THRUST_200600_302600_NS6detail15normal_iteratorINSA_10device_ptrItEEEEPS6_SG_NS0_5tupleIJSF_S6_EEENSH_IJSG_SG_EEES6_PlJNSB_9not_fun_tI7is_trueItEEEEEE10hipError_tPvRmT3_T4_T5_T6_T7_T9_mT8_P12ihipStream_tbDpT10_ENKUlT_T0_E_clISt17integral_constantIbLb1EES17_IbLb0EEEEDaS13_S14_EUlS13_E_NS1_11comp_targetILNS1_3genE4ELNS1_11target_archE910ELNS1_3gpuE8ELNS1_3repE0EEENS1_30default_config_static_selectorELNS0_4arch9wavefront6targetE0EEEvT1_.num_named_barrier, 0
	.set _ZN7rocprim17ROCPRIM_400000_NS6detail17trampoline_kernelINS0_14default_configENS1_25partition_config_selectorILNS1_17partition_subalgoE6EtNS0_10empty_typeEbEEZZNS1_14partition_implILS5_6ELb0ES3_mN6thrust23THRUST_200600_302600_NS6detail15normal_iteratorINSA_10device_ptrItEEEEPS6_SG_NS0_5tupleIJSF_S6_EEENSH_IJSG_SG_EEES6_PlJNSB_9not_fun_tI7is_trueItEEEEEE10hipError_tPvRmT3_T4_T5_T6_T7_T9_mT8_P12ihipStream_tbDpT10_ENKUlT_T0_E_clISt17integral_constantIbLb1EES17_IbLb0EEEEDaS13_S14_EUlS13_E_NS1_11comp_targetILNS1_3genE4ELNS1_11target_archE910ELNS1_3gpuE8ELNS1_3repE0EEENS1_30default_config_static_selectorELNS0_4arch9wavefront6targetE0EEEvT1_.private_seg_size, 0
	.set _ZN7rocprim17ROCPRIM_400000_NS6detail17trampoline_kernelINS0_14default_configENS1_25partition_config_selectorILNS1_17partition_subalgoE6EtNS0_10empty_typeEbEEZZNS1_14partition_implILS5_6ELb0ES3_mN6thrust23THRUST_200600_302600_NS6detail15normal_iteratorINSA_10device_ptrItEEEEPS6_SG_NS0_5tupleIJSF_S6_EEENSH_IJSG_SG_EEES6_PlJNSB_9not_fun_tI7is_trueItEEEEEE10hipError_tPvRmT3_T4_T5_T6_T7_T9_mT8_P12ihipStream_tbDpT10_ENKUlT_T0_E_clISt17integral_constantIbLb1EES17_IbLb0EEEEDaS13_S14_EUlS13_E_NS1_11comp_targetILNS1_3genE4ELNS1_11target_archE910ELNS1_3gpuE8ELNS1_3repE0EEENS1_30default_config_static_selectorELNS0_4arch9wavefront6targetE0EEEvT1_.uses_vcc, 0
	.set _ZN7rocprim17ROCPRIM_400000_NS6detail17trampoline_kernelINS0_14default_configENS1_25partition_config_selectorILNS1_17partition_subalgoE6EtNS0_10empty_typeEbEEZZNS1_14partition_implILS5_6ELb0ES3_mN6thrust23THRUST_200600_302600_NS6detail15normal_iteratorINSA_10device_ptrItEEEEPS6_SG_NS0_5tupleIJSF_S6_EEENSH_IJSG_SG_EEES6_PlJNSB_9not_fun_tI7is_trueItEEEEEE10hipError_tPvRmT3_T4_T5_T6_T7_T9_mT8_P12ihipStream_tbDpT10_ENKUlT_T0_E_clISt17integral_constantIbLb1EES17_IbLb0EEEEDaS13_S14_EUlS13_E_NS1_11comp_targetILNS1_3genE4ELNS1_11target_archE910ELNS1_3gpuE8ELNS1_3repE0EEENS1_30default_config_static_selectorELNS0_4arch9wavefront6targetE0EEEvT1_.uses_flat_scratch, 0
	.set _ZN7rocprim17ROCPRIM_400000_NS6detail17trampoline_kernelINS0_14default_configENS1_25partition_config_selectorILNS1_17partition_subalgoE6EtNS0_10empty_typeEbEEZZNS1_14partition_implILS5_6ELb0ES3_mN6thrust23THRUST_200600_302600_NS6detail15normal_iteratorINSA_10device_ptrItEEEEPS6_SG_NS0_5tupleIJSF_S6_EEENSH_IJSG_SG_EEES6_PlJNSB_9not_fun_tI7is_trueItEEEEEE10hipError_tPvRmT3_T4_T5_T6_T7_T9_mT8_P12ihipStream_tbDpT10_ENKUlT_T0_E_clISt17integral_constantIbLb1EES17_IbLb0EEEEDaS13_S14_EUlS13_E_NS1_11comp_targetILNS1_3genE4ELNS1_11target_archE910ELNS1_3gpuE8ELNS1_3repE0EEENS1_30default_config_static_selectorELNS0_4arch9wavefront6targetE0EEEvT1_.has_dyn_sized_stack, 0
	.set _ZN7rocprim17ROCPRIM_400000_NS6detail17trampoline_kernelINS0_14default_configENS1_25partition_config_selectorILNS1_17partition_subalgoE6EtNS0_10empty_typeEbEEZZNS1_14partition_implILS5_6ELb0ES3_mN6thrust23THRUST_200600_302600_NS6detail15normal_iteratorINSA_10device_ptrItEEEEPS6_SG_NS0_5tupleIJSF_S6_EEENSH_IJSG_SG_EEES6_PlJNSB_9not_fun_tI7is_trueItEEEEEE10hipError_tPvRmT3_T4_T5_T6_T7_T9_mT8_P12ihipStream_tbDpT10_ENKUlT_T0_E_clISt17integral_constantIbLb1EES17_IbLb0EEEEDaS13_S14_EUlS13_E_NS1_11comp_targetILNS1_3genE4ELNS1_11target_archE910ELNS1_3gpuE8ELNS1_3repE0EEENS1_30default_config_static_selectorELNS0_4arch9wavefront6targetE0EEEvT1_.has_recursion, 0
	.set _ZN7rocprim17ROCPRIM_400000_NS6detail17trampoline_kernelINS0_14default_configENS1_25partition_config_selectorILNS1_17partition_subalgoE6EtNS0_10empty_typeEbEEZZNS1_14partition_implILS5_6ELb0ES3_mN6thrust23THRUST_200600_302600_NS6detail15normal_iteratorINSA_10device_ptrItEEEEPS6_SG_NS0_5tupleIJSF_S6_EEENSH_IJSG_SG_EEES6_PlJNSB_9not_fun_tI7is_trueItEEEEEE10hipError_tPvRmT3_T4_T5_T6_T7_T9_mT8_P12ihipStream_tbDpT10_ENKUlT_T0_E_clISt17integral_constantIbLb1EES17_IbLb0EEEEDaS13_S14_EUlS13_E_NS1_11comp_targetILNS1_3genE4ELNS1_11target_archE910ELNS1_3gpuE8ELNS1_3repE0EEENS1_30default_config_static_selectorELNS0_4arch9wavefront6targetE0EEEvT1_.has_indirect_call, 0
	.section	.AMDGPU.csdata,"",@progbits
; Kernel info:
; codeLenInByte = 0
; TotalNumSgprs: 0
; NumVgprs: 0
; ScratchSize: 0
; MemoryBound: 0
; FloatMode: 240
; IeeeMode: 1
; LDSByteSize: 0 bytes/workgroup (compile time only)
; SGPRBlocks: 0
; VGPRBlocks: 0
; NumSGPRsForWavesPerEU: 1
; NumVGPRsForWavesPerEU: 1
; Occupancy: 16
; WaveLimiterHint : 0
; COMPUTE_PGM_RSRC2:SCRATCH_EN: 0
; COMPUTE_PGM_RSRC2:USER_SGPR: 2
; COMPUTE_PGM_RSRC2:TRAP_HANDLER: 0
; COMPUTE_PGM_RSRC2:TGID_X_EN: 1
; COMPUTE_PGM_RSRC2:TGID_Y_EN: 0
; COMPUTE_PGM_RSRC2:TGID_Z_EN: 0
; COMPUTE_PGM_RSRC2:TIDIG_COMP_CNT: 0
	.section	.text._ZN7rocprim17ROCPRIM_400000_NS6detail17trampoline_kernelINS0_14default_configENS1_25partition_config_selectorILNS1_17partition_subalgoE6EtNS0_10empty_typeEbEEZZNS1_14partition_implILS5_6ELb0ES3_mN6thrust23THRUST_200600_302600_NS6detail15normal_iteratorINSA_10device_ptrItEEEEPS6_SG_NS0_5tupleIJSF_S6_EEENSH_IJSG_SG_EEES6_PlJNSB_9not_fun_tI7is_trueItEEEEEE10hipError_tPvRmT3_T4_T5_T6_T7_T9_mT8_P12ihipStream_tbDpT10_ENKUlT_T0_E_clISt17integral_constantIbLb1EES17_IbLb0EEEEDaS13_S14_EUlS13_E_NS1_11comp_targetILNS1_3genE3ELNS1_11target_archE908ELNS1_3gpuE7ELNS1_3repE0EEENS1_30default_config_static_selectorELNS0_4arch9wavefront6targetE0EEEvT1_,"axG",@progbits,_ZN7rocprim17ROCPRIM_400000_NS6detail17trampoline_kernelINS0_14default_configENS1_25partition_config_selectorILNS1_17partition_subalgoE6EtNS0_10empty_typeEbEEZZNS1_14partition_implILS5_6ELb0ES3_mN6thrust23THRUST_200600_302600_NS6detail15normal_iteratorINSA_10device_ptrItEEEEPS6_SG_NS0_5tupleIJSF_S6_EEENSH_IJSG_SG_EEES6_PlJNSB_9not_fun_tI7is_trueItEEEEEE10hipError_tPvRmT3_T4_T5_T6_T7_T9_mT8_P12ihipStream_tbDpT10_ENKUlT_T0_E_clISt17integral_constantIbLb1EES17_IbLb0EEEEDaS13_S14_EUlS13_E_NS1_11comp_targetILNS1_3genE3ELNS1_11target_archE908ELNS1_3gpuE7ELNS1_3repE0EEENS1_30default_config_static_selectorELNS0_4arch9wavefront6targetE0EEEvT1_,comdat
	.protected	_ZN7rocprim17ROCPRIM_400000_NS6detail17trampoline_kernelINS0_14default_configENS1_25partition_config_selectorILNS1_17partition_subalgoE6EtNS0_10empty_typeEbEEZZNS1_14partition_implILS5_6ELb0ES3_mN6thrust23THRUST_200600_302600_NS6detail15normal_iteratorINSA_10device_ptrItEEEEPS6_SG_NS0_5tupleIJSF_S6_EEENSH_IJSG_SG_EEES6_PlJNSB_9not_fun_tI7is_trueItEEEEEE10hipError_tPvRmT3_T4_T5_T6_T7_T9_mT8_P12ihipStream_tbDpT10_ENKUlT_T0_E_clISt17integral_constantIbLb1EES17_IbLb0EEEEDaS13_S14_EUlS13_E_NS1_11comp_targetILNS1_3genE3ELNS1_11target_archE908ELNS1_3gpuE7ELNS1_3repE0EEENS1_30default_config_static_selectorELNS0_4arch9wavefront6targetE0EEEvT1_ ; -- Begin function _ZN7rocprim17ROCPRIM_400000_NS6detail17trampoline_kernelINS0_14default_configENS1_25partition_config_selectorILNS1_17partition_subalgoE6EtNS0_10empty_typeEbEEZZNS1_14partition_implILS5_6ELb0ES3_mN6thrust23THRUST_200600_302600_NS6detail15normal_iteratorINSA_10device_ptrItEEEEPS6_SG_NS0_5tupleIJSF_S6_EEENSH_IJSG_SG_EEES6_PlJNSB_9not_fun_tI7is_trueItEEEEEE10hipError_tPvRmT3_T4_T5_T6_T7_T9_mT8_P12ihipStream_tbDpT10_ENKUlT_T0_E_clISt17integral_constantIbLb1EES17_IbLb0EEEEDaS13_S14_EUlS13_E_NS1_11comp_targetILNS1_3genE3ELNS1_11target_archE908ELNS1_3gpuE7ELNS1_3repE0EEENS1_30default_config_static_selectorELNS0_4arch9wavefront6targetE0EEEvT1_
	.globl	_ZN7rocprim17ROCPRIM_400000_NS6detail17trampoline_kernelINS0_14default_configENS1_25partition_config_selectorILNS1_17partition_subalgoE6EtNS0_10empty_typeEbEEZZNS1_14partition_implILS5_6ELb0ES3_mN6thrust23THRUST_200600_302600_NS6detail15normal_iteratorINSA_10device_ptrItEEEEPS6_SG_NS0_5tupleIJSF_S6_EEENSH_IJSG_SG_EEES6_PlJNSB_9not_fun_tI7is_trueItEEEEEE10hipError_tPvRmT3_T4_T5_T6_T7_T9_mT8_P12ihipStream_tbDpT10_ENKUlT_T0_E_clISt17integral_constantIbLb1EES17_IbLb0EEEEDaS13_S14_EUlS13_E_NS1_11comp_targetILNS1_3genE3ELNS1_11target_archE908ELNS1_3gpuE7ELNS1_3repE0EEENS1_30default_config_static_selectorELNS0_4arch9wavefront6targetE0EEEvT1_
	.p2align	8
	.type	_ZN7rocprim17ROCPRIM_400000_NS6detail17trampoline_kernelINS0_14default_configENS1_25partition_config_selectorILNS1_17partition_subalgoE6EtNS0_10empty_typeEbEEZZNS1_14partition_implILS5_6ELb0ES3_mN6thrust23THRUST_200600_302600_NS6detail15normal_iteratorINSA_10device_ptrItEEEEPS6_SG_NS0_5tupleIJSF_S6_EEENSH_IJSG_SG_EEES6_PlJNSB_9not_fun_tI7is_trueItEEEEEE10hipError_tPvRmT3_T4_T5_T6_T7_T9_mT8_P12ihipStream_tbDpT10_ENKUlT_T0_E_clISt17integral_constantIbLb1EES17_IbLb0EEEEDaS13_S14_EUlS13_E_NS1_11comp_targetILNS1_3genE3ELNS1_11target_archE908ELNS1_3gpuE7ELNS1_3repE0EEENS1_30default_config_static_selectorELNS0_4arch9wavefront6targetE0EEEvT1_,@function
_ZN7rocprim17ROCPRIM_400000_NS6detail17trampoline_kernelINS0_14default_configENS1_25partition_config_selectorILNS1_17partition_subalgoE6EtNS0_10empty_typeEbEEZZNS1_14partition_implILS5_6ELb0ES3_mN6thrust23THRUST_200600_302600_NS6detail15normal_iteratorINSA_10device_ptrItEEEEPS6_SG_NS0_5tupleIJSF_S6_EEENSH_IJSG_SG_EEES6_PlJNSB_9not_fun_tI7is_trueItEEEEEE10hipError_tPvRmT3_T4_T5_T6_T7_T9_mT8_P12ihipStream_tbDpT10_ENKUlT_T0_E_clISt17integral_constantIbLb1EES17_IbLb0EEEEDaS13_S14_EUlS13_E_NS1_11comp_targetILNS1_3genE3ELNS1_11target_archE908ELNS1_3gpuE7ELNS1_3repE0EEENS1_30default_config_static_selectorELNS0_4arch9wavefront6targetE0EEEvT1_: ; @_ZN7rocprim17ROCPRIM_400000_NS6detail17trampoline_kernelINS0_14default_configENS1_25partition_config_selectorILNS1_17partition_subalgoE6EtNS0_10empty_typeEbEEZZNS1_14partition_implILS5_6ELb0ES3_mN6thrust23THRUST_200600_302600_NS6detail15normal_iteratorINSA_10device_ptrItEEEEPS6_SG_NS0_5tupleIJSF_S6_EEENSH_IJSG_SG_EEES6_PlJNSB_9not_fun_tI7is_trueItEEEEEE10hipError_tPvRmT3_T4_T5_T6_T7_T9_mT8_P12ihipStream_tbDpT10_ENKUlT_T0_E_clISt17integral_constantIbLb1EES17_IbLb0EEEEDaS13_S14_EUlS13_E_NS1_11comp_targetILNS1_3genE3ELNS1_11target_archE908ELNS1_3gpuE7ELNS1_3repE0EEENS1_30default_config_static_selectorELNS0_4arch9wavefront6targetE0EEEvT1_
; %bb.0:
	.section	.rodata,"a",@progbits
	.p2align	6, 0x0
	.amdhsa_kernel _ZN7rocprim17ROCPRIM_400000_NS6detail17trampoline_kernelINS0_14default_configENS1_25partition_config_selectorILNS1_17partition_subalgoE6EtNS0_10empty_typeEbEEZZNS1_14partition_implILS5_6ELb0ES3_mN6thrust23THRUST_200600_302600_NS6detail15normal_iteratorINSA_10device_ptrItEEEEPS6_SG_NS0_5tupleIJSF_S6_EEENSH_IJSG_SG_EEES6_PlJNSB_9not_fun_tI7is_trueItEEEEEE10hipError_tPvRmT3_T4_T5_T6_T7_T9_mT8_P12ihipStream_tbDpT10_ENKUlT_T0_E_clISt17integral_constantIbLb1EES17_IbLb0EEEEDaS13_S14_EUlS13_E_NS1_11comp_targetILNS1_3genE3ELNS1_11target_archE908ELNS1_3gpuE7ELNS1_3repE0EEENS1_30default_config_static_selectorELNS0_4arch9wavefront6targetE0EEEvT1_
		.amdhsa_group_segment_fixed_size 0
		.amdhsa_private_segment_fixed_size 0
		.amdhsa_kernarg_size 112
		.amdhsa_user_sgpr_count 2
		.amdhsa_user_sgpr_dispatch_ptr 0
		.amdhsa_user_sgpr_queue_ptr 0
		.amdhsa_user_sgpr_kernarg_segment_ptr 1
		.amdhsa_user_sgpr_dispatch_id 0
		.amdhsa_user_sgpr_private_segment_size 0
		.amdhsa_wavefront_size32 1
		.amdhsa_uses_dynamic_stack 0
		.amdhsa_enable_private_segment 0
		.amdhsa_system_sgpr_workgroup_id_x 1
		.amdhsa_system_sgpr_workgroup_id_y 0
		.amdhsa_system_sgpr_workgroup_id_z 0
		.amdhsa_system_sgpr_workgroup_info 0
		.amdhsa_system_vgpr_workitem_id 0
		.amdhsa_next_free_vgpr 1
		.amdhsa_next_free_sgpr 1
		.amdhsa_reserve_vcc 0
		.amdhsa_float_round_mode_32 0
		.amdhsa_float_round_mode_16_64 0
		.amdhsa_float_denorm_mode_32 3
		.amdhsa_float_denorm_mode_16_64 3
		.amdhsa_fp16_overflow 0
		.amdhsa_workgroup_processor_mode 1
		.amdhsa_memory_ordered 1
		.amdhsa_forward_progress 1
		.amdhsa_inst_pref_size 0
		.amdhsa_round_robin_scheduling 0
		.amdhsa_exception_fp_ieee_invalid_op 0
		.amdhsa_exception_fp_denorm_src 0
		.amdhsa_exception_fp_ieee_div_zero 0
		.amdhsa_exception_fp_ieee_overflow 0
		.amdhsa_exception_fp_ieee_underflow 0
		.amdhsa_exception_fp_ieee_inexact 0
		.amdhsa_exception_int_div_zero 0
	.end_amdhsa_kernel
	.section	.text._ZN7rocprim17ROCPRIM_400000_NS6detail17trampoline_kernelINS0_14default_configENS1_25partition_config_selectorILNS1_17partition_subalgoE6EtNS0_10empty_typeEbEEZZNS1_14partition_implILS5_6ELb0ES3_mN6thrust23THRUST_200600_302600_NS6detail15normal_iteratorINSA_10device_ptrItEEEEPS6_SG_NS0_5tupleIJSF_S6_EEENSH_IJSG_SG_EEES6_PlJNSB_9not_fun_tI7is_trueItEEEEEE10hipError_tPvRmT3_T4_T5_T6_T7_T9_mT8_P12ihipStream_tbDpT10_ENKUlT_T0_E_clISt17integral_constantIbLb1EES17_IbLb0EEEEDaS13_S14_EUlS13_E_NS1_11comp_targetILNS1_3genE3ELNS1_11target_archE908ELNS1_3gpuE7ELNS1_3repE0EEENS1_30default_config_static_selectorELNS0_4arch9wavefront6targetE0EEEvT1_,"axG",@progbits,_ZN7rocprim17ROCPRIM_400000_NS6detail17trampoline_kernelINS0_14default_configENS1_25partition_config_selectorILNS1_17partition_subalgoE6EtNS0_10empty_typeEbEEZZNS1_14partition_implILS5_6ELb0ES3_mN6thrust23THRUST_200600_302600_NS6detail15normal_iteratorINSA_10device_ptrItEEEEPS6_SG_NS0_5tupleIJSF_S6_EEENSH_IJSG_SG_EEES6_PlJNSB_9not_fun_tI7is_trueItEEEEEE10hipError_tPvRmT3_T4_T5_T6_T7_T9_mT8_P12ihipStream_tbDpT10_ENKUlT_T0_E_clISt17integral_constantIbLb1EES17_IbLb0EEEEDaS13_S14_EUlS13_E_NS1_11comp_targetILNS1_3genE3ELNS1_11target_archE908ELNS1_3gpuE7ELNS1_3repE0EEENS1_30default_config_static_selectorELNS0_4arch9wavefront6targetE0EEEvT1_,comdat
.Lfunc_end1192:
	.size	_ZN7rocprim17ROCPRIM_400000_NS6detail17trampoline_kernelINS0_14default_configENS1_25partition_config_selectorILNS1_17partition_subalgoE6EtNS0_10empty_typeEbEEZZNS1_14partition_implILS5_6ELb0ES3_mN6thrust23THRUST_200600_302600_NS6detail15normal_iteratorINSA_10device_ptrItEEEEPS6_SG_NS0_5tupleIJSF_S6_EEENSH_IJSG_SG_EEES6_PlJNSB_9not_fun_tI7is_trueItEEEEEE10hipError_tPvRmT3_T4_T5_T6_T7_T9_mT8_P12ihipStream_tbDpT10_ENKUlT_T0_E_clISt17integral_constantIbLb1EES17_IbLb0EEEEDaS13_S14_EUlS13_E_NS1_11comp_targetILNS1_3genE3ELNS1_11target_archE908ELNS1_3gpuE7ELNS1_3repE0EEENS1_30default_config_static_selectorELNS0_4arch9wavefront6targetE0EEEvT1_, .Lfunc_end1192-_ZN7rocprim17ROCPRIM_400000_NS6detail17trampoline_kernelINS0_14default_configENS1_25partition_config_selectorILNS1_17partition_subalgoE6EtNS0_10empty_typeEbEEZZNS1_14partition_implILS5_6ELb0ES3_mN6thrust23THRUST_200600_302600_NS6detail15normal_iteratorINSA_10device_ptrItEEEEPS6_SG_NS0_5tupleIJSF_S6_EEENSH_IJSG_SG_EEES6_PlJNSB_9not_fun_tI7is_trueItEEEEEE10hipError_tPvRmT3_T4_T5_T6_T7_T9_mT8_P12ihipStream_tbDpT10_ENKUlT_T0_E_clISt17integral_constantIbLb1EES17_IbLb0EEEEDaS13_S14_EUlS13_E_NS1_11comp_targetILNS1_3genE3ELNS1_11target_archE908ELNS1_3gpuE7ELNS1_3repE0EEENS1_30default_config_static_selectorELNS0_4arch9wavefront6targetE0EEEvT1_
                                        ; -- End function
	.set _ZN7rocprim17ROCPRIM_400000_NS6detail17trampoline_kernelINS0_14default_configENS1_25partition_config_selectorILNS1_17partition_subalgoE6EtNS0_10empty_typeEbEEZZNS1_14partition_implILS5_6ELb0ES3_mN6thrust23THRUST_200600_302600_NS6detail15normal_iteratorINSA_10device_ptrItEEEEPS6_SG_NS0_5tupleIJSF_S6_EEENSH_IJSG_SG_EEES6_PlJNSB_9not_fun_tI7is_trueItEEEEEE10hipError_tPvRmT3_T4_T5_T6_T7_T9_mT8_P12ihipStream_tbDpT10_ENKUlT_T0_E_clISt17integral_constantIbLb1EES17_IbLb0EEEEDaS13_S14_EUlS13_E_NS1_11comp_targetILNS1_3genE3ELNS1_11target_archE908ELNS1_3gpuE7ELNS1_3repE0EEENS1_30default_config_static_selectorELNS0_4arch9wavefront6targetE0EEEvT1_.num_vgpr, 0
	.set _ZN7rocprim17ROCPRIM_400000_NS6detail17trampoline_kernelINS0_14default_configENS1_25partition_config_selectorILNS1_17partition_subalgoE6EtNS0_10empty_typeEbEEZZNS1_14partition_implILS5_6ELb0ES3_mN6thrust23THRUST_200600_302600_NS6detail15normal_iteratorINSA_10device_ptrItEEEEPS6_SG_NS0_5tupleIJSF_S6_EEENSH_IJSG_SG_EEES6_PlJNSB_9not_fun_tI7is_trueItEEEEEE10hipError_tPvRmT3_T4_T5_T6_T7_T9_mT8_P12ihipStream_tbDpT10_ENKUlT_T0_E_clISt17integral_constantIbLb1EES17_IbLb0EEEEDaS13_S14_EUlS13_E_NS1_11comp_targetILNS1_3genE3ELNS1_11target_archE908ELNS1_3gpuE7ELNS1_3repE0EEENS1_30default_config_static_selectorELNS0_4arch9wavefront6targetE0EEEvT1_.num_agpr, 0
	.set _ZN7rocprim17ROCPRIM_400000_NS6detail17trampoline_kernelINS0_14default_configENS1_25partition_config_selectorILNS1_17partition_subalgoE6EtNS0_10empty_typeEbEEZZNS1_14partition_implILS5_6ELb0ES3_mN6thrust23THRUST_200600_302600_NS6detail15normal_iteratorINSA_10device_ptrItEEEEPS6_SG_NS0_5tupleIJSF_S6_EEENSH_IJSG_SG_EEES6_PlJNSB_9not_fun_tI7is_trueItEEEEEE10hipError_tPvRmT3_T4_T5_T6_T7_T9_mT8_P12ihipStream_tbDpT10_ENKUlT_T0_E_clISt17integral_constantIbLb1EES17_IbLb0EEEEDaS13_S14_EUlS13_E_NS1_11comp_targetILNS1_3genE3ELNS1_11target_archE908ELNS1_3gpuE7ELNS1_3repE0EEENS1_30default_config_static_selectorELNS0_4arch9wavefront6targetE0EEEvT1_.numbered_sgpr, 0
	.set _ZN7rocprim17ROCPRIM_400000_NS6detail17trampoline_kernelINS0_14default_configENS1_25partition_config_selectorILNS1_17partition_subalgoE6EtNS0_10empty_typeEbEEZZNS1_14partition_implILS5_6ELb0ES3_mN6thrust23THRUST_200600_302600_NS6detail15normal_iteratorINSA_10device_ptrItEEEEPS6_SG_NS0_5tupleIJSF_S6_EEENSH_IJSG_SG_EEES6_PlJNSB_9not_fun_tI7is_trueItEEEEEE10hipError_tPvRmT3_T4_T5_T6_T7_T9_mT8_P12ihipStream_tbDpT10_ENKUlT_T0_E_clISt17integral_constantIbLb1EES17_IbLb0EEEEDaS13_S14_EUlS13_E_NS1_11comp_targetILNS1_3genE3ELNS1_11target_archE908ELNS1_3gpuE7ELNS1_3repE0EEENS1_30default_config_static_selectorELNS0_4arch9wavefront6targetE0EEEvT1_.num_named_barrier, 0
	.set _ZN7rocprim17ROCPRIM_400000_NS6detail17trampoline_kernelINS0_14default_configENS1_25partition_config_selectorILNS1_17partition_subalgoE6EtNS0_10empty_typeEbEEZZNS1_14partition_implILS5_6ELb0ES3_mN6thrust23THRUST_200600_302600_NS6detail15normal_iteratorINSA_10device_ptrItEEEEPS6_SG_NS0_5tupleIJSF_S6_EEENSH_IJSG_SG_EEES6_PlJNSB_9not_fun_tI7is_trueItEEEEEE10hipError_tPvRmT3_T4_T5_T6_T7_T9_mT8_P12ihipStream_tbDpT10_ENKUlT_T0_E_clISt17integral_constantIbLb1EES17_IbLb0EEEEDaS13_S14_EUlS13_E_NS1_11comp_targetILNS1_3genE3ELNS1_11target_archE908ELNS1_3gpuE7ELNS1_3repE0EEENS1_30default_config_static_selectorELNS0_4arch9wavefront6targetE0EEEvT1_.private_seg_size, 0
	.set _ZN7rocprim17ROCPRIM_400000_NS6detail17trampoline_kernelINS0_14default_configENS1_25partition_config_selectorILNS1_17partition_subalgoE6EtNS0_10empty_typeEbEEZZNS1_14partition_implILS5_6ELb0ES3_mN6thrust23THRUST_200600_302600_NS6detail15normal_iteratorINSA_10device_ptrItEEEEPS6_SG_NS0_5tupleIJSF_S6_EEENSH_IJSG_SG_EEES6_PlJNSB_9not_fun_tI7is_trueItEEEEEE10hipError_tPvRmT3_T4_T5_T6_T7_T9_mT8_P12ihipStream_tbDpT10_ENKUlT_T0_E_clISt17integral_constantIbLb1EES17_IbLb0EEEEDaS13_S14_EUlS13_E_NS1_11comp_targetILNS1_3genE3ELNS1_11target_archE908ELNS1_3gpuE7ELNS1_3repE0EEENS1_30default_config_static_selectorELNS0_4arch9wavefront6targetE0EEEvT1_.uses_vcc, 0
	.set _ZN7rocprim17ROCPRIM_400000_NS6detail17trampoline_kernelINS0_14default_configENS1_25partition_config_selectorILNS1_17partition_subalgoE6EtNS0_10empty_typeEbEEZZNS1_14partition_implILS5_6ELb0ES3_mN6thrust23THRUST_200600_302600_NS6detail15normal_iteratorINSA_10device_ptrItEEEEPS6_SG_NS0_5tupleIJSF_S6_EEENSH_IJSG_SG_EEES6_PlJNSB_9not_fun_tI7is_trueItEEEEEE10hipError_tPvRmT3_T4_T5_T6_T7_T9_mT8_P12ihipStream_tbDpT10_ENKUlT_T0_E_clISt17integral_constantIbLb1EES17_IbLb0EEEEDaS13_S14_EUlS13_E_NS1_11comp_targetILNS1_3genE3ELNS1_11target_archE908ELNS1_3gpuE7ELNS1_3repE0EEENS1_30default_config_static_selectorELNS0_4arch9wavefront6targetE0EEEvT1_.uses_flat_scratch, 0
	.set _ZN7rocprim17ROCPRIM_400000_NS6detail17trampoline_kernelINS0_14default_configENS1_25partition_config_selectorILNS1_17partition_subalgoE6EtNS0_10empty_typeEbEEZZNS1_14partition_implILS5_6ELb0ES3_mN6thrust23THRUST_200600_302600_NS6detail15normal_iteratorINSA_10device_ptrItEEEEPS6_SG_NS0_5tupleIJSF_S6_EEENSH_IJSG_SG_EEES6_PlJNSB_9not_fun_tI7is_trueItEEEEEE10hipError_tPvRmT3_T4_T5_T6_T7_T9_mT8_P12ihipStream_tbDpT10_ENKUlT_T0_E_clISt17integral_constantIbLb1EES17_IbLb0EEEEDaS13_S14_EUlS13_E_NS1_11comp_targetILNS1_3genE3ELNS1_11target_archE908ELNS1_3gpuE7ELNS1_3repE0EEENS1_30default_config_static_selectorELNS0_4arch9wavefront6targetE0EEEvT1_.has_dyn_sized_stack, 0
	.set _ZN7rocprim17ROCPRIM_400000_NS6detail17trampoline_kernelINS0_14default_configENS1_25partition_config_selectorILNS1_17partition_subalgoE6EtNS0_10empty_typeEbEEZZNS1_14partition_implILS5_6ELb0ES3_mN6thrust23THRUST_200600_302600_NS6detail15normal_iteratorINSA_10device_ptrItEEEEPS6_SG_NS0_5tupleIJSF_S6_EEENSH_IJSG_SG_EEES6_PlJNSB_9not_fun_tI7is_trueItEEEEEE10hipError_tPvRmT3_T4_T5_T6_T7_T9_mT8_P12ihipStream_tbDpT10_ENKUlT_T0_E_clISt17integral_constantIbLb1EES17_IbLb0EEEEDaS13_S14_EUlS13_E_NS1_11comp_targetILNS1_3genE3ELNS1_11target_archE908ELNS1_3gpuE7ELNS1_3repE0EEENS1_30default_config_static_selectorELNS0_4arch9wavefront6targetE0EEEvT1_.has_recursion, 0
	.set _ZN7rocprim17ROCPRIM_400000_NS6detail17trampoline_kernelINS0_14default_configENS1_25partition_config_selectorILNS1_17partition_subalgoE6EtNS0_10empty_typeEbEEZZNS1_14partition_implILS5_6ELb0ES3_mN6thrust23THRUST_200600_302600_NS6detail15normal_iteratorINSA_10device_ptrItEEEEPS6_SG_NS0_5tupleIJSF_S6_EEENSH_IJSG_SG_EEES6_PlJNSB_9not_fun_tI7is_trueItEEEEEE10hipError_tPvRmT3_T4_T5_T6_T7_T9_mT8_P12ihipStream_tbDpT10_ENKUlT_T0_E_clISt17integral_constantIbLb1EES17_IbLb0EEEEDaS13_S14_EUlS13_E_NS1_11comp_targetILNS1_3genE3ELNS1_11target_archE908ELNS1_3gpuE7ELNS1_3repE0EEENS1_30default_config_static_selectorELNS0_4arch9wavefront6targetE0EEEvT1_.has_indirect_call, 0
	.section	.AMDGPU.csdata,"",@progbits
; Kernel info:
; codeLenInByte = 0
; TotalNumSgprs: 0
; NumVgprs: 0
; ScratchSize: 0
; MemoryBound: 0
; FloatMode: 240
; IeeeMode: 1
; LDSByteSize: 0 bytes/workgroup (compile time only)
; SGPRBlocks: 0
; VGPRBlocks: 0
; NumSGPRsForWavesPerEU: 1
; NumVGPRsForWavesPerEU: 1
; Occupancy: 16
; WaveLimiterHint : 0
; COMPUTE_PGM_RSRC2:SCRATCH_EN: 0
; COMPUTE_PGM_RSRC2:USER_SGPR: 2
; COMPUTE_PGM_RSRC2:TRAP_HANDLER: 0
; COMPUTE_PGM_RSRC2:TGID_X_EN: 1
; COMPUTE_PGM_RSRC2:TGID_Y_EN: 0
; COMPUTE_PGM_RSRC2:TGID_Z_EN: 0
; COMPUTE_PGM_RSRC2:TIDIG_COMP_CNT: 0
	.section	.text._ZN7rocprim17ROCPRIM_400000_NS6detail17trampoline_kernelINS0_14default_configENS1_25partition_config_selectorILNS1_17partition_subalgoE6EtNS0_10empty_typeEbEEZZNS1_14partition_implILS5_6ELb0ES3_mN6thrust23THRUST_200600_302600_NS6detail15normal_iteratorINSA_10device_ptrItEEEEPS6_SG_NS0_5tupleIJSF_S6_EEENSH_IJSG_SG_EEES6_PlJNSB_9not_fun_tI7is_trueItEEEEEE10hipError_tPvRmT3_T4_T5_T6_T7_T9_mT8_P12ihipStream_tbDpT10_ENKUlT_T0_E_clISt17integral_constantIbLb1EES17_IbLb0EEEEDaS13_S14_EUlS13_E_NS1_11comp_targetILNS1_3genE2ELNS1_11target_archE906ELNS1_3gpuE6ELNS1_3repE0EEENS1_30default_config_static_selectorELNS0_4arch9wavefront6targetE0EEEvT1_,"axG",@progbits,_ZN7rocprim17ROCPRIM_400000_NS6detail17trampoline_kernelINS0_14default_configENS1_25partition_config_selectorILNS1_17partition_subalgoE6EtNS0_10empty_typeEbEEZZNS1_14partition_implILS5_6ELb0ES3_mN6thrust23THRUST_200600_302600_NS6detail15normal_iteratorINSA_10device_ptrItEEEEPS6_SG_NS0_5tupleIJSF_S6_EEENSH_IJSG_SG_EEES6_PlJNSB_9not_fun_tI7is_trueItEEEEEE10hipError_tPvRmT3_T4_T5_T6_T7_T9_mT8_P12ihipStream_tbDpT10_ENKUlT_T0_E_clISt17integral_constantIbLb1EES17_IbLb0EEEEDaS13_S14_EUlS13_E_NS1_11comp_targetILNS1_3genE2ELNS1_11target_archE906ELNS1_3gpuE6ELNS1_3repE0EEENS1_30default_config_static_selectorELNS0_4arch9wavefront6targetE0EEEvT1_,comdat
	.protected	_ZN7rocprim17ROCPRIM_400000_NS6detail17trampoline_kernelINS0_14default_configENS1_25partition_config_selectorILNS1_17partition_subalgoE6EtNS0_10empty_typeEbEEZZNS1_14partition_implILS5_6ELb0ES3_mN6thrust23THRUST_200600_302600_NS6detail15normal_iteratorINSA_10device_ptrItEEEEPS6_SG_NS0_5tupleIJSF_S6_EEENSH_IJSG_SG_EEES6_PlJNSB_9not_fun_tI7is_trueItEEEEEE10hipError_tPvRmT3_T4_T5_T6_T7_T9_mT8_P12ihipStream_tbDpT10_ENKUlT_T0_E_clISt17integral_constantIbLb1EES17_IbLb0EEEEDaS13_S14_EUlS13_E_NS1_11comp_targetILNS1_3genE2ELNS1_11target_archE906ELNS1_3gpuE6ELNS1_3repE0EEENS1_30default_config_static_selectorELNS0_4arch9wavefront6targetE0EEEvT1_ ; -- Begin function _ZN7rocprim17ROCPRIM_400000_NS6detail17trampoline_kernelINS0_14default_configENS1_25partition_config_selectorILNS1_17partition_subalgoE6EtNS0_10empty_typeEbEEZZNS1_14partition_implILS5_6ELb0ES3_mN6thrust23THRUST_200600_302600_NS6detail15normal_iteratorINSA_10device_ptrItEEEEPS6_SG_NS0_5tupleIJSF_S6_EEENSH_IJSG_SG_EEES6_PlJNSB_9not_fun_tI7is_trueItEEEEEE10hipError_tPvRmT3_T4_T5_T6_T7_T9_mT8_P12ihipStream_tbDpT10_ENKUlT_T0_E_clISt17integral_constantIbLb1EES17_IbLb0EEEEDaS13_S14_EUlS13_E_NS1_11comp_targetILNS1_3genE2ELNS1_11target_archE906ELNS1_3gpuE6ELNS1_3repE0EEENS1_30default_config_static_selectorELNS0_4arch9wavefront6targetE0EEEvT1_
	.globl	_ZN7rocprim17ROCPRIM_400000_NS6detail17trampoline_kernelINS0_14default_configENS1_25partition_config_selectorILNS1_17partition_subalgoE6EtNS0_10empty_typeEbEEZZNS1_14partition_implILS5_6ELb0ES3_mN6thrust23THRUST_200600_302600_NS6detail15normal_iteratorINSA_10device_ptrItEEEEPS6_SG_NS0_5tupleIJSF_S6_EEENSH_IJSG_SG_EEES6_PlJNSB_9not_fun_tI7is_trueItEEEEEE10hipError_tPvRmT3_T4_T5_T6_T7_T9_mT8_P12ihipStream_tbDpT10_ENKUlT_T0_E_clISt17integral_constantIbLb1EES17_IbLb0EEEEDaS13_S14_EUlS13_E_NS1_11comp_targetILNS1_3genE2ELNS1_11target_archE906ELNS1_3gpuE6ELNS1_3repE0EEENS1_30default_config_static_selectorELNS0_4arch9wavefront6targetE0EEEvT1_
	.p2align	8
	.type	_ZN7rocprim17ROCPRIM_400000_NS6detail17trampoline_kernelINS0_14default_configENS1_25partition_config_selectorILNS1_17partition_subalgoE6EtNS0_10empty_typeEbEEZZNS1_14partition_implILS5_6ELb0ES3_mN6thrust23THRUST_200600_302600_NS6detail15normal_iteratorINSA_10device_ptrItEEEEPS6_SG_NS0_5tupleIJSF_S6_EEENSH_IJSG_SG_EEES6_PlJNSB_9not_fun_tI7is_trueItEEEEEE10hipError_tPvRmT3_T4_T5_T6_T7_T9_mT8_P12ihipStream_tbDpT10_ENKUlT_T0_E_clISt17integral_constantIbLb1EES17_IbLb0EEEEDaS13_S14_EUlS13_E_NS1_11comp_targetILNS1_3genE2ELNS1_11target_archE906ELNS1_3gpuE6ELNS1_3repE0EEENS1_30default_config_static_selectorELNS0_4arch9wavefront6targetE0EEEvT1_,@function
_ZN7rocprim17ROCPRIM_400000_NS6detail17trampoline_kernelINS0_14default_configENS1_25partition_config_selectorILNS1_17partition_subalgoE6EtNS0_10empty_typeEbEEZZNS1_14partition_implILS5_6ELb0ES3_mN6thrust23THRUST_200600_302600_NS6detail15normal_iteratorINSA_10device_ptrItEEEEPS6_SG_NS0_5tupleIJSF_S6_EEENSH_IJSG_SG_EEES6_PlJNSB_9not_fun_tI7is_trueItEEEEEE10hipError_tPvRmT3_T4_T5_T6_T7_T9_mT8_P12ihipStream_tbDpT10_ENKUlT_T0_E_clISt17integral_constantIbLb1EES17_IbLb0EEEEDaS13_S14_EUlS13_E_NS1_11comp_targetILNS1_3genE2ELNS1_11target_archE906ELNS1_3gpuE6ELNS1_3repE0EEENS1_30default_config_static_selectorELNS0_4arch9wavefront6targetE0EEEvT1_: ; @_ZN7rocprim17ROCPRIM_400000_NS6detail17trampoline_kernelINS0_14default_configENS1_25partition_config_selectorILNS1_17partition_subalgoE6EtNS0_10empty_typeEbEEZZNS1_14partition_implILS5_6ELb0ES3_mN6thrust23THRUST_200600_302600_NS6detail15normal_iteratorINSA_10device_ptrItEEEEPS6_SG_NS0_5tupleIJSF_S6_EEENSH_IJSG_SG_EEES6_PlJNSB_9not_fun_tI7is_trueItEEEEEE10hipError_tPvRmT3_T4_T5_T6_T7_T9_mT8_P12ihipStream_tbDpT10_ENKUlT_T0_E_clISt17integral_constantIbLb1EES17_IbLb0EEEEDaS13_S14_EUlS13_E_NS1_11comp_targetILNS1_3genE2ELNS1_11target_archE906ELNS1_3gpuE6ELNS1_3repE0EEENS1_30default_config_static_selectorELNS0_4arch9wavefront6targetE0EEEvT1_
; %bb.0:
	.section	.rodata,"a",@progbits
	.p2align	6, 0x0
	.amdhsa_kernel _ZN7rocprim17ROCPRIM_400000_NS6detail17trampoline_kernelINS0_14default_configENS1_25partition_config_selectorILNS1_17partition_subalgoE6EtNS0_10empty_typeEbEEZZNS1_14partition_implILS5_6ELb0ES3_mN6thrust23THRUST_200600_302600_NS6detail15normal_iteratorINSA_10device_ptrItEEEEPS6_SG_NS0_5tupleIJSF_S6_EEENSH_IJSG_SG_EEES6_PlJNSB_9not_fun_tI7is_trueItEEEEEE10hipError_tPvRmT3_T4_T5_T6_T7_T9_mT8_P12ihipStream_tbDpT10_ENKUlT_T0_E_clISt17integral_constantIbLb1EES17_IbLb0EEEEDaS13_S14_EUlS13_E_NS1_11comp_targetILNS1_3genE2ELNS1_11target_archE906ELNS1_3gpuE6ELNS1_3repE0EEENS1_30default_config_static_selectorELNS0_4arch9wavefront6targetE0EEEvT1_
		.amdhsa_group_segment_fixed_size 0
		.amdhsa_private_segment_fixed_size 0
		.amdhsa_kernarg_size 112
		.amdhsa_user_sgpr_count 2
		.amdhsa_user_sgpr_dispatch_ptr 0
		.amdhsa_user_sgpr_queue_ptr 0
		.amdhsa_user_sgpr_kernarg_segment_ptr 1
		.amdhsa_user_sgpr_dispatch_id 0
		.amdhsa_user_sgpr_private_segment_size 0
		.amdhsa_wavefront_size32 1
		.amdhsa_uses_dynamic_stack 0
		.amdhsa_enable_private_segment 0
		.amdhsa_system_sgpr_workgroup_id_x 1
		.amdhsa_system_sgpr_workgroup_id_y 0
		.amdhsa_system_sgpr_workgroup_id_z 0
		.amdhsa_system_sgpr_workgroup_info 0
		.amdhsa_system_vgpr_workitem_id 0
		.amdhsa_next_free_vgpr 1
		.amdhsa_next_free_sgpr 1
		.amdhsa_reserve_vcc 0
		.amdhsa_float_round_mode_32 0
		.amdhsa_float_round_mode_16_64 0
		.amdhsa_float_denorm_mode_32 3
		.amdhsa_float_denorm_mode_16_64 3
		.amdhsa_fp16_overflow 0
		.amdhsa_workgroup_processor_mode 1
		.amdhsa_memory_ordered 1
		.amdhsa_forward_progress 1
		.amdhsa_inst_pref_size 0
		.amdhsa_round_robin_scheduling 0
		.amdhsa_exception_fp_ieee_invalid_op 0
		.amdhsa_exception_fp_denorm_src 0
		.amdhsa_exception_fp_ieee_div_zero 0
		.amdhsa_exception_fp_ieee_overflow 0
		.amdhsa_exception_fp_ieee_underflow 0
		.amdhsa_exception_fp_ieee_inexact 0
		.amdhsa_exception_int_div_zero 0
	.end_amdhsa_kernel
	.section	.text._ZN7rocprim17ROCPRIM_400000_NS6detail17trampoline_kernelINS0_14default_configENS1_25partition_config_selectorILNS1_17partition_subalgoE6EtNS0_10empty_typeEbEEZZNS1_14partition_implILS5_6ELb0ES3_mN6thrust23THRUST_200600_302600_NS6detail15normal_iteratorINSA_10device_ptrItEEEEPS6_SG_NS0_5tupleIJSF_S6_EEENSH_IJSG_SG_EEES6_PlJNSB_9not_fun_tI7is_trueItEEEEEE10hipError_tPvRmT3_T4_T5_T6_T7_T9_mT8_P12ihipStream_tbDpT10_ENKUlT_T0_E_clISt17integral_constantIbLb1EES17_IbLb0EEEEDaS13_S14_EUlS13_E_NS1_11comp_targetILNS1_3genE2ELNS1_11target_archE906ELNS1_3gpuE6ELNS1_3repE0EEENS1_30default_config_static_selectorELNS0_4arch9wavefront6targetE0EEEvT1_,"axG",@progbits,_ZN7rocprim17ROCPRIM_400000_NS6detail17trampoline_kernelINS0_14default_configENS1_25partition_config_selectorILNS1_17partition_subalgoE6EtNS0_10empty_typeEbEEZZNS1_14partition_implILS5_6ELb0ES3_mN6thrust23THRUST_200600_302600_NS6detail15normal_iteratorINSA_10device_ptrItEEEEPS6_SG_NS0_5tupleIJSF_S6_EEENSH_IJSG_SG_EEES6_PlJNSB_9not_fun_tI7is_trueItEEEEEE10hipError_tPvRmT3_T4_T5_T6_T7_T9_mT8_P12ihipStream_tbDpT10_ENKUlT_T0_E_clISt17integral_constantIbLb1EES17_IbLb0EEEEDaS13_S14_EUlS13_E_NS1_11comp_targetILNS1_3genE2ELNS1_11target_archE906ELNS1_3gpuE6ELNS1_3repE0EEENS1_30default_config_static_selectorELNS0_4arch9wavefront6targetE0EEEvT1_,comdat
.Lfunc_end1193:
	.size	_ZN7rocprim17ROCPRIM_400000_NS6detail17trampoline_kernelINS0_14default_configENS1_25partition_config_selectorILNS1_17partition_subalgoE6EtNS0_10empty_typeEbEEZZNS1_14partition_implILS5_6ELb0ES3_mN6thrust23THRUST_200600_302600_NS6detail15normal_iteratorINSA_10device_ptrItEEEEPS6_SG_NS0_5tupleIJSF_S6_EEENSH_IJSG_SG_EEES6_PlJNSB_9not_fun_tI7is_trueItEEEEEE10hipError_tPvRmT3_T4_T5_T6_T7_T9_mT8_P12ihipStream_tbDpT10_ENKUlT_T0_E_clISt17integral_constantIbLb1EES17_IbLb0EEEEDaS13_S14_EUlS13_E_NS1_11comp_targetILNS1_3genE2ELNS1_11target_archE906ELNS1_3gpuE6ELNS1_3repE0EEENS1_30default_config_static_selectorELNS0_4arch9wavefront6targetE0EEEvT1_, .Lfunc_end1193-_ZN7rocprim17ROCPRIM_400000_NS6detail17trampoline_kernelINS0_14default_configENS1_25partition_config_selectorILNS1_17partition_subalgoE6EtNS0_10empty_typeEbEEZZNS1_14partition_implILS5_6ELb0ES3_mN6thrust23THRUST_200600_302600_NS6detail15normal_iteratorINSA_10device_ptrItEEEEPS6_SG_NS0_5tupleIJSF_S6_EEENSH_IJSG_SG_EEES6_PlJNSB_9not_fun_tI7is_trueItEEEEEE10hipError_tPvRmT3_T4_T5_T6_T7_T9_mT8_P12ihipStream_tbDpT10_ENKUlT_T0_E_clISt17integral_constantIbLb1EES17_IbLb0EEEEDaS13_S14_EUlS13_E_NS1_11comp_targetILNS1_3genE2ELNS1_11target_archE906ELNS1_3gpuE6ELNS1_3repE0EEENS1_30default_config_static_selectorELNS0_4arch9wavefront6targetE0EEEvT1_
                                        ; -- End function
	.set _ZN7rocprim17ROCPRIM_400000_NS6detail17trampoline_kernelINS0_14default_configENS1_25partition_config_selectorILNS1_17partition_subalgoE6EtNS0_10empty_typeEbEEZZNS1_14partition_implILS5_6ELb0ES3_mN6thrust23THRUST_200600_302600_NS6detail15normal_iteratorINSA_10device_ptrItEEEEPS6_SG_NS0_5tupleIJSF_S6_EEENSH_IJSG_SG_EEES6_PlJNSB_9not_fun_tI7is_trueItEEEEEE10hipError_tPvRmT3_T4_T5_T6_T7_T9_mT8_P12ihipStream_tbDpT10_ENKUlT_T0_E_clISt17integral_constantIbLb1EES17_IbLb0EEEEDaS13_S14_EUlS13_E_NS1_11comp_targetILNS1_3genE2ELNS1_11target_archE906ELNS1_3gpuE6ELNS1_3repE0EEENS1_30default_config_static_selectorELNS0_4arch9wavefront6targetE0EEEvT1_.num_vgpr, 0
	.set _ZN7rocprim17ROCPRIM_400000_NS6detail17trampoline_kernelINS0_14default_configENS1_25partition_config_selectorILNS1_17partition_subalgoE6EtNS0_10empty_typeEbEEZZNS1_14partition_implILS5_6ELb0ES3_mN6thrust23THRUST_200600_302600_NS6detail15normal_iteratorINSA_10device_ptrItEEEEPS6_SG_NS0_5tupleIJSF_S6_EEENSH_IJSG_SG_EEES6_PlJNSB_9not_fun_tI7is_trueItEEEEEE10hipError_tPvRmT3_T4_T5_T6_T7_T9_mT8_P12ihipStream_tbDpT10_ENKUlT_T0_E_clISt17integral_constantIbLb1EES17_IbLb0EEEEDaS13_S14_EUlS13_E_NS1_11comp_targetILNS1_3genE2ELNS1_11target_archE906ELNS1_3gpuE6ELNS1_3repE0EEENS1_30default_config_static_selectorELNS0_4arch9wavefront6targetE0EEEvT1_.num_agpr, 0
	.set _ZN7rocprim17ROCPRIM_400000_NS6detail17trampoline_kernelINS0_14default_configENS1_25partition_config_selectorILNS1_17partition_subalgoE6EtNS0_10empty_typeEbEEZZNS1_14partition_implILS5_6ELb0ES3_mN6thrust23THRUST_200600_302600_NS6detail15normal_iteratorINSA_10device_ptrItEEEEPS6_SG_NS0_5tupleIJSF_S6_EEENSH_IJSG_SG_EEES6_PlJNSB_9not_fun_tI7is_trueItEEEEEE10hipError_tPvRmT3_T4_T5_T6_T7_T9_mT8_P12ihipStream_tbDpT10_ENKUlT_T0_E_clISt17integral_constantIbLb1EES17_IbLb0EEEEDaS13_S14_EUlS13_E_NS1_11comp_targetILNS1_3genE2ELNS1_11target_archE906ELNS1_3gpuE6ELNS1_3repE0EEENS1_30default_config_static_selectorELNS0_4arch9wavefront6targetE0EEEvT1_.numbered_sgpr, 0
	.set _ZN7rocprim17ROCPRIM_400000_NS6detail17trampoline_kernelINS0_14default_configENS1_25partition_config_selectorILNS1_17partition_subalgoE6EtNS0_10empty_typeEbEEZZNS1_14partition_implILS5_6ELb0ES3_mN6thrust23THRUST_200600_302600_NS6detail15normal_iteratorINSA_10device_ptrItEEEEPS6_SG_NS0_5tupleIJSF_S6_EEENSH_IJSG_SG_EEES6_PlJNSB_9not_fun_tI7is_trueItEEEEEE10hipError_tPvRmT3_T4_T5_T6_T7_T9_mT8_P12ihipStream_tbDpT10_ENKUlT_T0_E_clISt17integral_constantIbLb1EES17_IbLb0EEEEDaS13_S14_EUlS13_E_NS1_11comp_targetILNS1_3genE2ELNS1_11target_archE906ELNS1_3gpuE6ELNS1_3repE0EEENS1_30default_config_static_selectorELNS0_4arch9wavefront6targetE0EEEvT1_.num_named_barrier, 0
	.set _ZN7rocprim17ROCPRIM_400000_NS6detail17trampoline_kernelINS0_14default_configENS1_25partition_config_selectorILNS1_17partition_subalgoE6EtNS0_10empty_typeEbEEZZNS1_14partition_implILS5_6ELb0ES3_mN6thrust23THRUST_200600_302600_NS6detail15normal_iteratorINSA_10device_ptrItEEEEPS6_SG_NS0_5tupleIJSF_S6_EEENSH_IJSG_SG_EEES6_PlJNSB_9not_fun_tI7is_trueItEEEEEE10hipError_tPvRmT3_T4_T5_T6_T7_T9_mT8_P12ihipStream_tbDpT10_ENKUlT_T0_E_clISt17integral_constantIbLb1EES17_IbLb0EEEEDaS13_S14_EUlS13_E_NS1_11comp_targetILNS1_3genE2ELNS1_11target_archE906ELNS1_3gpuE6ELNS1_3repE0EEENS1_30default_config_static_selectorELNS0_4arch9wavefront6targetE0EEEvT1_.private_seg_size, 0
	.set _ZN7rocprim17ROCPRIM_400000_NS6detail17trampoline_kernelINS0_14default_configENS1_25partition_config_selectorILNS1_17partition_subalgoE6EtNS0_10empty_typeEbEEZZNS1_14partition_implILS5_6ELb0ES3_mN6thrust23THRUST_200600_302600_NS6detail15normal_iteratorINSA_10device_ptrItEEEEPS6_SG_NS0_5tupleIJSF_S6_EEENSH_IJSG_SG_EEES6_PlJNSB_9not_fun_tI7is_trueItEEEEEE10hipError_tPvRmT3_T4_T5_T6_T7_T9_mT8_P12ihipStream_tbDpT10_ENKUlT_T0_E_clISt17integral_constantIbLb1EES17_IbLb0EEEEDaS13_S14_EUlS13_E_NS1_11comp_targetILNS1_3genE2ELNS1_11target_archE906ELNS1_3gpuE6ELNS1_3repE0EEENS1_30default_config_static_selectorELNS0_4arch9wavefront6targetE0EEEvT1_.uses_vcc, 0
	.set _ZN7rocprim17ROCPRIM_400000_NS6detail17trampoline_kernelINS0_14default_configENS1_25partition_config_selectorILNS1_17partition_subalgoE6EtNS0_10empty_typeEbEEZZNS1_14partition_implILS5_6ELb0ES3_mN6thrust23THRUST_200600_302600_NS6detail15normal_iteratorINSA_10device_ptrItEEEEPS6_SG_NS0_5tupleIJSF_S6_EEENSH_IJSG_SG_EEES6_PlJNSB_9not_fun_tI7is_trueItEEEEEE10hipError_tPvRmT3_T4_T5_T6_T7_T9_mT8_P12ihipStream_tbDpT10_ENKUlT_T0_E_clISt17integral_constantIbLb1EES17_IbLb0EEEEDaS13_S14_EUlS13_E_NS1_11comp_targetILNS1_3genE2ELNS1_11target_archE906ELNS1_3gpuE6ELNS1_3repE0EEENS1_30default_config_static_selectorELNS0_4arch9wavefront6targetE0EEEvT1_.uses_flat_scratch, 0
	.set _ZN7rocprim17ROCPRIM_400000_NS6detail17trampoline_kernelINS0_14default_configENS1_25partition_config_selectorILNS1_17partition_subalgoE6EtNS0_10empty_typeEbEEZZNS1_14partition_implILS5_6ELb0ES3_mN6thrust23THRUST_200600_302600_NS6detail15normal_iteratorINSA_10device_ptrItEEEEPS6_SG_NS0_5tupleIJSF_S6_EEENSH_IJSG_SG_EEES6_PlJNSB_9not_fun_tI7is_trueItEEEEEE10hipError_tPvRmT3_T4_T5_T6_T7_T9_mT8_P12ihipStream_tbDpT10_ENKUlT_T0_E_clISt17integral_constantIbLb1EES17_IbLb0EEEEDaS13_S14_EUlS13_E_NS1_11comp_targetILNS1_3genE2ELNS1_11target_archE906ELNS1_3gpuE6ELNS1_3repE0EEENS1_30default_config_static_selectorELNS0_4arch9wavefront6targetE0EEEvT1_.has_dyn_sized_stack, 0
	.set _ZN7rocprim17ROCPRIM_400000_NS6detail17trampoline_kernelINS0_14default_configENS1_25partition_config_selectorILNS1_17partition_subalgoE6EtNS0_10empty_typeEbEEZZNS1_14partition_implILS5_6ELb0ES3_mN6thrust23THRUST_200600_302600_NS6detail15normal_iteratorINSA_10device_ptrItEEEEPS6_SG_NS0_5tupleIJSF_S6_EEENSH_IJSG_SG_EEES6_PlJNSB_9not_fun_tI7is_trueItEEEEEE10hipError_tPvRmT3_T4_T5_T6_T7_T9_mT8_P12ihipStream_tbDpT10_ENKUlT_T0_E_clISt17integral_constantIbLb1EES17_IbLb0EEEEDaS13_S14_EUlS13_E_NS1_11comp_targetILNS1_3genE2ELNS1_11target_archE906ELNS1_3gpuE6ELNS1_3repE0EEENS1_30default_config_static_selectorELNS0_4arch9wavefront6targetE0EEEvT1_.has_recursion, 0
	.set _ZN7rocprim17ROCPRIM_400000_NS6detail17trampoline_kernelINS0_14default_configENS1_25partition_config_selectorILNS1_17partition_subalgoE6EtNS0_10empty_typeEbEEZZNS1_14partition_implILS5_6ELb0ES3_mN6thrust23THRUST_200600_302600_NS6detail15normal_iteratorINSA_10device_ptrItEEEEPS6_SG_NS0_5tupleIJSF_S6_EEENSH_IJSG_SG_EEES6_PlJNSB_9not_fun_tI7is_trueItEEEEEE10hipError_tPvRmT3_T4_T5_T6_T7_T9_mT8_P12ihipStream_tbDpT10_ENKUlT_T0_E_clISt17integral_constantIbLb1EES17_IbLb0EEEEDaS13_S14_EUlS13_E_NS1_11comp_targetILNS1_3genE2ELNS1_11target_archE906ELNS1_3gpuE6ELNS1_3repE0EEENS1_30default_config_static_selectorELNS0_4arch9wavefront6targetE0EEEvT1_.has_indirect_call, 0
	.section	.AMDGPU.csdata,"",@progbits
; Kernel info:
; codeLenInByte = 0
; TotalNumSgprs: 0
; NumVgprs: 0
; ScratchSize: 0
; MemoryBound: 0
; FloatMode: 240
; IeeeMode: 1
; LDSByteSize: 0 bytes/workgroup (compile time only)
; SGPRBlocks: 0
; VGPRBlocks: 0
; NumSGPRsForWavesPerEU: 1
; NumVGPRsForWavesPerEU: 1
; Occupancy: 16
; WaveLimiterHint : 0
; COMPUTE_PGM_RSRC2:SCRATCH_EN: 0
; COMPUTE_PGM_RSRC2:USER_SGPR: 2
; COMPUTE_PGM_RSRC2:TRAP_HANDLER: 0
; COMPUTE_PGM_RSRC2:TGID_X_EN: 1
; COMPUTE_PGM_RSRC2:TGID_Y_EN: 0
; COMPUTE_PGM_RSRC2:TGID_Z_EN: 0
; COMPUTE_PGM_RSRC2:TIDIG_COMP_CNT: 0
	.section	.text._ZN7rocprim17ROCPRIM_400000_NS6detail17trampoline_kernelINS0_14default_configENS1_25partition_config_selectorILNS1_17partition_subalgoE6EtNS0_10empty_typeEbEEZZNS1_14partition_implILS5_6ELb0ES3_mN6thrust23THRUST_200600_302600_NS6detail15normal_iteratorINSA_10device_ptrItEEEEPS6_SG_NS0_5tupleIJSF_S6_EEENSH_IJSG_SG_EEES6_PlJNSB_9not_fun_tI7is_trueItEEEEEE10hipError_tPvRmT3_T4_T5_T6_T7_T9_mT8_P12ihipStream_tbDpT10_ENKUlT_T0_E_clISt17integral_constantIbLb1EES17_IbLb0EEEEDaS13_S14_EUlS13_E_NS1_11comp_targetILNS1_3genE10ELNS1_11target_archE1200ELNS1_3gpuE4ELNS1_3repE0EEENS1_30default_config_static_selectorELNS0_4arch9wavefront6targetE0EEEvT1_,"axG",@progbits,_ZN7rocprim17ROCPRIM_400000_NS6detail17trampoline_kernelINS0_14default_configENS1_25partition_config_selectorILNS1_17partition_subalgoE6EtNS0_10empty_typeEbEEZZNS1_14partition_implILS5_6ELb0ES3_mN6thrust23THRUST_200600_302600_NS6detail15normal_iteratorINSA_10device_ptrItEEEEPS6_SG_NS0_5tupleIJSF_S6_EEENSH_IJSG_SG_EEES6_PlJNSB_9not_fun_tI7is_trueItEEEEEE10hipError_tPvRmT3_T4_T5_T6_T7_T9_mT8_P12ihipStream_tbDpT10_ENKUlT_T0_E_clISt17integral_constantIbLb1EES17_IbLb0EEEEDaS13_S14_EUlS13_E_NS1_11comp_targetILNS1_3genE10ELNS1_11target_archE1200ELNS1_3gpuE4ELNS1_3repE0EEENS1_30default_config_static_selectorELNS0_4arch9wavefront6targetE0EEEvT1_,comdat
	.protected	_ZN7rocprim17ROCPRIM_400000_NS6detail17trampoline_kernelINS0_14default_configENS1_25partition_config_selectorILNS1_17partition_subalgoE6EtNS0_10empty_typeEbEEZZNS1_14partition_implILS5_6ELb0ES3_mN6thrust23THRUST_200600_302600_NS6detail15normal_iteratorINSA_10device_ptrItEEEEPS6_SG_NS0_5tupleIJSF_S6_EEENSH_IJSG_SG_EEES6_PlJNSB_9not_fun_tI7is_trueItEEEEEE10hipError_tPvRmT3_T4_T5_T6_T7_T9_mT8_P12ihipStream_tbDpT10_ENKUlT_T0_E_clISt17integral_constantIbLb1EES17_IbLb0EEEEDaS13_S14_EUlS13_E_NS1_11comp_targetILNS1_3genE10ELNS1_11target_archE1200ELNS1_3gpuE4ELNS1_3repE0EEENS1_30default_config_static_selectorELNS0_4arch9wavefront6targetE0EEEvT1_ ; -- Begin function _ZN7rocprim17ROCPRIM_400000_NS6detail17trampoline_kernelINS0_14default_configENS1_25partition_config_selectorILNS1_17partition_subalgoE6EtNS0_10empty_typeEbEEZZNS1_14partition_implILS5_6ELb0ES3_mN6thrust23THRUST_200600_302600_NS6detail15normal_iteratorINSA_10device_ptrItEEEEPS6_SG_NS0_5tupleIJSF_S6_EEENSH_IJSG_SG_EEES6_PlJNSB_9not_fun_tI7is_trueItEEEEEE10hipError_tPvRmT3_T4_T5_T6_T7_T9_mT8_P12ihipStream_tbDpT10_ENKUlT_T0_E_clISt17integral_constantIbLb1EES17_IbLb0EEEEDaS13_S14_EUlS13_E_NS1_11comp_targetILNS1_3genE10ELNS1_11target_archE1200ELNS1_3gpuE4ELNS1_3repE0EEENS1_30default_config_static_selectorELNS0_4arch9wavefront6targetE0EEEvT1_
	.globl	_ZN7rocprim17ROCPRIM_400000_NS6detail17trampoline_kernelINS0_14default_configENS1_25partition_config_selectorILNS1_17partition_subalgoE6EtNS0_10empty_typeEbEEZZNS1_14partition_implILS5_6ELb0ES3_mN6thrust23THRUST_200600_302600_NS6detail15normal_iteratorINSA_10device_ptrItEEEEPS6_SG_NS0_5tupleIJSF_S6_EEENSH_IJSG_SG_EEES6_PlJNSB_9not_fun_tI7is_trueItEEEEEE10hipError_tPvRmT3_T4_T5_T6_T7_T9_mT8_P12ihipStream_tbDpT10_ENKUlT_T0_E_clISt17integral_constantIbLb1EES17_IbLb0EEEEDaS13_S14_EUlS13_E_NS1_11comp_targetILNS1_3genE10ELNS1_11target_archE1200ELNS1_3gpuE4ELNS1_3repE0EEENS1_30default_config_static_selectorELNS0_4arch9wavefront6targetE0EEEvT1_
	.p2align	8
	.type	_ZN7rocprim17ROCPRIM_400000_NS6detail17trampoline_kernelINS0_14default_configENS1_25partition_config_selectorILNS1_17partition_subalgoE6EtNS0_10empty_typeEbEEZZNS1_14partition_implILS5_6ELb0ES3_mN6thrust23THRUST_200600_302600_NS6detail15normal_iteratorINSA_10device_ptrItEEEEPS6_SG_NS0_5tupleIJSF_S6_EEENSH_IJSG_SG_EEES6_PlJNSB_9not_fun_tI7is_trueItEEEEEE10hipError_tPvRmT3_T4_T5_T6_T7_T9_mT8_P12ihipStream_tbDpT10_ENKUlT_T0_E_clISt17integral_constantIbLb1EES17_IbLb0EEEEDaS13_S14_EUlS13_E_NS1_11comp_targetILNS1_3genE10ELNS1_11target_archE1200ELNS1_3gpuE4ELNS1_3repE0EEENS1_30default_config_static_selectorELNS0_4arch9wavefront6targetE0EEEvT1_,@function
_ZN7rocprim17ROCPRIM_400000_NS6detail17trampoline_kernelINS0_14default_configENS1_25partition_config_selectorILNS1_17partition_subalgoE6EtNS0_10empty_typeEbEEZZNS1_14partition_implILS5_6ELb0ES3_mN6thrust23THRUST_200600_302600_NS6detail15normal_iteratorINSA_10device_ptrItEEEEPS6_SG_NS0_5tupleIJSF_S6_EEENSH_IJSG_SG_EEES6_PlJNSB_9not_fun_tI7is_trueItEEEEEE10hipError_tPvRmT3_T4_T5_T6_T7_T9_mT8_P12ihipStream_tbDpT10_ENKUlT_T0_E_clISt17integral_constantIbLb1EES17_IbLb0EEEEDaS13_S14_EUlS13_E_NS1_11comp_targetILNS1_3genE10ELNS1_11target_archE1200ELNS1_3gpuE4ELNS1_3repE0EEENS1_30default_config_static_selectorELNS0_4arch9wavefront6targetE0EEEvT1_: ; @_ZN7rocprim17ROCPRIM_400000_NS6detail17trampoline_kernelINS0_14default_configENS1_25partition_config_selectorILNS1_17partition_subalgoE6EtNS0_10empty_typeEbEEZZNS1_14partition_implILS5_6ELb0ES3_mN6thrust23THRUST_200600_302600_NS6detail15normal_iteratorINSA_10device_ptrItEEEEPS6_SG_NS0_5tupleIJSF_S6_EEENSH_IJSG_SG_EEES6_PlJNSB_9not_fun_tI7is_trueItEEEEEE10hipError_tPvRmT3_T4_T5_T6_T7_T9_mT8_P12ihipStream_tbDpT10_ENKUlT_T0_E_clISt17integral_constantIbLb1EES17_IbLb0EEEEDaS13_S14_EUlS13_E_NS1_11comp_targetILNS1_3genE10ELNS1_11target_archE1200ELNS1_3gpuE4ELNS1_3repE0EEENS1_30default_config_static_selectorELNS0_4arch9wavefront6targetE0EEEvT1_
; %bb.0:
	s_endpgm
	.section	.rodata,"a",@progbits
	.p2align	6, 0x0
	.amdhsa_kernel _ZN7rocprim17ROCPRIM_400000_NS6detail17trampoline_kernelINS0_14default_configENS1_25partition_config_selectorILNS1_17partition_subalgoE6EtNS0_10empty_typeEbEEZZNS1_14partition_implILS5_6ELb0ES3_mN6thrust23THRUST_200600_302600_NS6detail15normal_iteratorINSA_10device_ptrItEEEEPS6_SG_NS0_5tupleIJSF_S6_EEENSH_IJSG_SG_EEES6_PlJNSB_9not_fun_tI7is_trueItEEEEEE10hipError_tPvRmT3_T4_T5_T6_T7_T9_mT8_P12ihipStream_tbDpT10_ENKUlT_T0_E_clISt17integral_constantIbLb1EES17_IbLb0EEEEDaS13_S14_EUlS13_E_NS1_11comp_targetILNS1_3genE10ELNS1_11target_archE1200ELNS1_3gpuE4ELNS1_3repE0EEENS1_30default_config_static_selectorELNS0_4arch9wavefront6targetE0EEEvT1_
		.amdhsa_group_segment_fixed_size 0
		.amdhsa_private_segment_fixed_size 0
		.amdhsa_kernarg_size 112
		.amdhsa_user_sgpr_count 2
		.amdhsa_user_sgpr_dispatch_ptr 0
		.amdhsa_user_sgpr_queue_ptr 0
		.amdhsa_user_sgpr_kernarg_segment_ptr 1
		.amdhsa_user_sgpr_dispatch_id 0
		.amdhsa_user_sgpr_private_segment_size 0
		.amdhsa_wavefront_size32 1
		.amdhsa_uses_dynamic_stack 0
		.amdhsa_enable_private_segment 0
		.amdhsa_system_sgpr_workgroup_id_x 1
		.amdhsa_system_sgpr_workgroup_id_y 0
		.amdhsa_system_sgpr_workgroup_id_z 0
		.amdhsa_system_sgpr_workgroup_info 0
		.amdhsa_system_vgpr_workitem_id 0
		.amdhsa_next_free_vgpr 1
		.amdhsa_next_free_sgpr 1
		.amdhsa_reserve_vcc 0
		.amdhsa_float_round_mode_32 0
		.amdhsa_float_round_mode_16_64 0
		.amdhsa_float_denorm_mode_32 3
		.amdhsa_float_denorm_mode_16_64 3
		.amdhsa_fp16_overflow 0
		.amdhsa_workgroup_processor_mode 1
		.amdhsa_memory_ordered 1
		.amdhsa_forward_progress 1
		.amdhsa_inst_pref_size 1
		.amdhsa_round_robin_scheduling 0
		.amdhsa_exception_fp_ieee_invalid_op 0
		.amdhsa_exception_fp_denorm_src 0
		.amdhsa_exception_fp_ieee_div_zero 0
		.amdhsa_exception_fp_ieee_overflow 0
		.amdhsa_exception_fp_ieee_underflow 0
		.amdhsa_exception_fp_ieee_inexact 0
		.amdhsa_exception_int_div_zero 0
	.end_amdhsa_kernel
	.section	.text._ZN7rocprim17ROCPRIM_400000_NS6detail17trampoline_kernelINS0_14default_configENS1_25partition_config_selectorILNS1_17partition_subalgoE6EtNS0_10empty_typeEbEEZZNS1_14partition_implILS5_6ELb0ES3_mN6thrust23THRUST_200600_302600_NS6detail15normal_iteratorINSA_10device_ptrItEEEEPS6_SG_NS0_5tupleIJSF_S6_EEENSH_IJSG_SG_EEES6_PlJNSB_9not_fun_tI7is_trueItEEEEEE10hipError_tPvRmT3_T4_T5_T6_T7_T9_mT8_P12ihipStream_tbDpT10_ENKUlT_T0_E_clISt17integral_constantIbLb1EES17_IbLb0EEEEDaS13_S14_EUlS13_E_NS1_11comp_targetILNS1_3genE10ELNS1_11target_archE1200ELNS1_3gpuE4ELNS1_3repE0EEENS1_30default_config_static_selectorELNS0_4arch9wavefront6targetE0EEEvT1_,"axG",@progbits,_ZN7rocprim17ROCPRIM_400000_NS6detail17trampoline_kernelINS0_14default_configENS1_25partition_config_selectorILNS1_17partition_subalgoE6EtNS0_10empty_typeEbEEZZNS1_14partition_implILS5_6ELb0ES3_mN6thrust23THRUST_200600_302600_NS6detail15normal_iteratorINSA_10device_ptrItEEEEPS6_SG_NS0_5tupleIJSF_S6_EEENSH_IJSG_SG_EEES6_PlJNSB_9not_fun_tI7is_trueItEEEEEE10hipError_tPvRmT3_T4_T5_T6_T7_T9_mT8_P12ihipStream_tbDpT10_ENKUlT_T0_E_clISt17integral_constantIbLb1EES17_IbLb0EEEEDaS13_S14_EUlS13_E_NS1_11comp_targetILNS1_3genE10ELNS1_11target_archE1200ELNS1_3gpuE4ELNS1_3repE0EEENS1_30default_config_static_selectorELNS0_4arch9wavefront6targetE0EEEvT1_,comdat
.Lfunc_end1194:
	.size	_ZN7rocprim17ROCPRIM_400000_NS6detail17trampoline_kernelINS0_14default_configENS1_25partition_config_selectorILNS1_17partition_subalgoE6EtNS0_10empty_typeEbEEZZNS1_14partition_implILS5_6ELb0ES3_mN6thrust23THRUST_200600_302600_NS6detail15normal_iteratorINSA_10device_ptrItEEEEPS6_SG_NS0_5tupleIJSF_S6_EEENSH_IJSG_SG_EEES6_PlJNSB_9not_fun_tI7is_trueItEEEEEE10hipError_tPvRmT3_T4_T5_T6_T7_T9_mT8_P12ihipStream_tbDpT10_ENKUlT_T0_E_clISt17integral_constantIbLb1EES17_IbLb0EEEEDaS13_S14_EUlS13_E_NS1_11comp_targetILNS1_3genE10ELNS1_11target_archE1200ELNS1_3gpuE4ELNS1_3repE0EEENS1_30default_config_static_selectorELNS0_4arch9wavefront6targetE0EEEvT1_, .Lfunc_end1194-_ZN7rocprim17ROCPRIM_400000_NS6detail17trampoline_kernelINS0_14default_configENS1_25partition_config_selectorILNS1_17partition_subalgoE6EtNS0_10empty_typeEbEEZZNS1_14partition_implILS5_6ELb0ES3_mN6thrust23THRUST_200600_302600_NS6detail15normal_iteratorINSA_10device_ptrItEEEEPS6_SG_NS0_5tupleIJSF_S6_EEENSH_IJSG_SG_EEES6_PlJNSB_9not_fun_tI7is_trueItEEEEEE10hipError_tPvRmT3_T4_T5_T6_T7_T9_mT8_P12ihipStream_tbDpT10_ENKUlT_T0_E_clISt17integral_constantIbLb1EES17_IbLb0EEEEDaS13_S14_EUlS13_E_NS1_11comp_targetILNS1_3genE10ELNS1_11target_archE1200ELNS1_3gpuE4ELNS1_3repE0EEENS1_30default_config_static_selectorELNS0_4arch9wavefront6targetE0EEEvT1_
                                        ; -- End function
	.set _ZN7rocprim17ROCPRIM_400000_NS6detail17trampoline_kernelINS0_14default_configENS1_25partition_config_selectorILNS1_17partition_subalgoE6EtNS0_10empty_typeEbEEZZNS1_14partition_implILS5_6ELb0ES3_mN6thrust23THRUST_200600_302600_NS6detail15normal_iteratorINSA_10device_ptrItEEEEPS6_SG_NS0_5tupleIJSF_S6_EEENSH_IJSG_SG_EEES6_PlJNSB_9not_fun_tI7is_trueItEEEEEE10hipError_tPvRmT3_T4_T5_T6_T7_T9_mT8_P12ihipStream_tbDpT10_ENKUlT_T0_E_clISt17integral_constantIbLb1EES17_IbLb0EEEEDaS13_S14_EUlS13_E_NS1_11comp_targetILNS1_3genE10ELNS1_11target_archE1200ELNS1_3gpuE4ELNS1_3repE0EEENS1_30default_config_static_selectorELNS0_4arch9wavefront6targetE0EEEvT1_.num_vgpr, 0
	.set _ZN7rocprim17ROCPRIM_400000_NS6detail17trampoline_kernelINS0_14default_configENS1_25partition_config_selectorILNS1_17partition_subalgoE6EtNS0_10empty_typeEbEEZZNS1_14partition_implILS5_6ELb0ES3_mN6thrust23THRUST_200600_302600_NS6detail15normal_iteratorINSA_10device_ptrItEEEEPS6_SG_NS0_5tupleIJSF_S6_EEENSH_IJSG_SG_EEES6_PlJNSB_9not_fun_tI7is_trueItEEEEEE10hipError_tPvRmT3_T4_T5_T6_T7_T9_mT8_P12ihipStream_tbDpT10_ENKUlT_T0_E_clISt17integral_constantIbLb1EES17_IbLb0EEEEDaS13_S14_EUlS13_E_NS1_11comp_targetILNS1_3genE10ELNS1_11target_archE1200ELNS1_3gpuE4ELNS1_3repE0EEENS1_30default_config_static_selectorELNS0_4arch9wavefront6targetE0EEEvT1_.num_agpr, 0
	.set _ZN7rocprim17ROCPRIM_400000_NS6detail17trampoline_kernelINS0_14default_configENS1_25partition_config_selectorILNS1_17partition_subalgoE6EtNS0_10empty_typeEbEEZZNS1_14partition_implILS5_6ELb0ES3_mN6thrust23THRUST_200600_302600_NS6detail15normal_iteratorINSA_10device_ptrItEEEEPS6_SG_NS0_5tupleIJSF_S6_EEENSH_IJSG_SG_EEES6_PlJNSB_9not_fun_tI7is_trueItEEEEEE10hipError_tPvRmT3_T4_T5_T6_T7_T9_mT8_P12ihipStream_tbDpT10_ENKUlT_T0_E_clISt17integral_constantIbLb1EES17_IbLb0EEEEDaS13_S14_EUlS13_E_NS1_11comp_targetILNS1_3genE10ELNS1_11target_archE1200ELNS1_3gpuE4ELNS1_3repE0EEENS1_30default_config_static_selectorELNS0_4arch9wavefront6targetE0EEEvT1_.numbered_sgpr, 0
	.set _ZN7rocprim17ROCPRIM_400000_NS6detail17trampoline_kernelINS0_14default_configENS1_25partition_config_selectorILNS1_17partition_subalgoE6EtNS0_10empty_typeEbEEZZNS1_14partition_implILS5_6ELb0ES3_mN6thrust23THRUST_200600_302600_NS6detail15normal_iteratorINSA_10device_ptrItEEEEPS6_SG_NS0_5tupleIJSF_S6_EEENSH_IJSG_SG_EEES6_PlJNSB_9not_fun_tI7is_trueItEEEEEE10hipError_tPvRmT3_T4_T5_T6_T7_T9_mT8_P12ihipStream_tbDpT10_ENKUlT_T0_E_clISt17integral_constantIbLb1EES17_IbLb0EEEEDaS13_S14_EUlS13_E_NS1_11comp_targetILNS1_3genE10ELNS1_11target_archE1200ELNS1_3gpuE4ELNS1_3repE0EEENS1_30default_config_static_selectorELNS0_4arch9wavefront6targetE0EEEvT1_.num_named_barrier, 0
	.set _ZN7rocprim17ROCPRIM_400000_NS6detail17trampoline_kernelINS0_14default_configENS1_25partition_config_selectorILNS1_17partition_subalgoE6EtNS0_10empty_typeEbEEZZNS1_14partition_implILS5_6ELb0ES3_mN6thrust23THRUST_200600_302600_NS6detail15normal_iteratorINSA_10device_ptrItEEEEPS6_SG_NS0_5tupleIJSF_S6_EEENSH_IJSG_SG_EEES6_PlJNSB_9not_fun_tI7is_trueItEEEEEE10hipError_tPvRmT3_T4_T5_T6_T7_T9_mT8_P12ihipStream_tbDpT10_ENKUlT_T0_E_clISt17integral_constantIbLb1EES17_IbLb0EEEEDaS13_S14_EUlS13_E_NS1_11comp_targetILNS1_3genE10ELNS1_11target_archE1200ELNS1_3gpuE4ELNS1_3repE0EEENS1_30default_config_static_selectorELNS0_4arch9wavefront6targetE0EEEvT1_.private_seg_size, 0
	.set _ZN7rocprim17ROCPRIM_400000_NS6detail17trampoline_kernelINS0_14default_configENS1_25partition_config_selectorILNS1_17partition_subalgoE6EtNS0_10empty_typeEbEEZZNS1_14partition_implILS5_6ELb0ES3_mN6thrust23THRUST_200600_302600_NS6detail15normal_iteratorINSA_10device_ptrItEEEEPS6_SG_NS0_5tupleIJSF_S6_EEENSH_IJSG_SG_EEES6_PlJNSB_9not_fun_tI7is_trueItEEEEEE10hipError_tPvRmT3_T4_T5_T6_T7_T9_mT8_P12ihipStream_tbDpT10_ENKUlT_T0_E_clISt17integral_constantIbLb1EES17_IbLb0EEEEDaS13_S14_EUlS13_E_NS1_11comp_targetILNS1_3genE10ELNS1_11target_archE1200ELNS1_3gpuE4ELNS1_3repE0EEENS1_30default_config_static_selectorELNS0_4arch9wavefront6targetE0EEEvT1_.uses_vcc, 0
	.set _ZN7rocprim17ROCPRIM_400000_NS6detail17trampoline_kernelINS0_14default_configENS1_25partition_config_selectorILNS1_17partition_subalgoE6EtNS0_10empty_typeEbEEZZNS1_14partition_implILS5_6ELb0ES3_mN6thrust23THRUST_200600_302600_NS6detail15normal_iteratorINSA_10device_ptrItEEEEPS6_SG_NS0_5tupleIJSF_S6_EEENSH_IJSG_SG_EEES6_PlJNSB_9not_fun_tI7is_trueItEEEEEE10hipError_tPvRmT3_T4_T5_T6_T7_T9_mT8_P12ihipStream_tbDpT10_ENKUlT_T0_E_clISt17integral_constantIbLb1EES17_IbLb0EEEEDaS13_S14_EUlS13_E_NS1_11comp_targetILNS1_3genE10ELNS1_11target_archE1200ELNS1_3gpuE4ELNS1_3repE0EEENS1_30default_config_static_selectorELNS0_4arch9wavefront6targetE0EEEvT1_.uses_flat_scratch, 0
	.set _ZN7rocprim17ROCPRIM_400000_NS6detail17trampoline_kernelINS0_14default_configENS1_25partition_config_selectorILNS1_17partition_subalgoE6EtNS0_10empty_typeEbEEZZNS1_14partition_implILS5_6ELb0ES3_mN6thrust23THRUST_200600_302600_NS6detail15normal_iteratorINSA_10device_ptrItEEEEPS6_SG_NS0_5tupleIJSF_S6_EEENSH_IJSG_SG_EEES6_PlJNSB_9not_fun_tI7is_trueItEEEEEE10hipError_tPvRmT3_T4_T5_T6_T7_T9_mT8_P12ihipStream_tbDpT10_ENKUlT_T0_E_clISt17integral_constantIbLb1EES17_IbLb0EEEEDaS13_S14_EUlS13_E_NS1_11comp_targetILNS1_3genE10ELNS1_11target_archE1200ELNS1_3gpuE4ELNS1_3repE0EEENS1_30default_config_static_selectorELNS0_4arch9wavefront6targetE0EEEvT1_.has_dyn_sized_stack, 0
	.set _ZN7rocprim17ROCPRIM_400000_NS6detail17trampoline_kernelINS0_14default_configENS1_25partition_config_selectorILNS1_17partition_subalgoE6EtNS0_10empty_typeEbEEZZNS1_14partition_implILS5_6ELb0ES3_mN6thrust23THRUST_200600_302600_NS6detail15normal_iteratorINSA_10device_ptrItEEEEPS6_SG_NS0_5tupleIJSF_S6_EEENSH_IJSG_SG_EEES6_PlJNSB_9not_fun_tI7is_trueItEEEEEE10hipError_tPvRmT3_T4_T5_T6_T7_T9_mT8_P12ihipStream_tbDpT10_ENKUlT_T0_E_clISt17integral_constantIbLb1EES17_IbLb0EEEEDaS13_S14_EUlS13_E_NS1_11comp_targetILNS1_3genE10ELNS1_11target_archE1200ELNS1_3gpuE4ELNS1_3repE0EEENS1_30default_config_static_selectorELNS0_4arch9wavefront6targetE0EEEvT1_.has_recursion, 0
	.set _ZN7rocprim17ROCPRIM_400000_NS6detail17trampoline_kernelINS0_14default_configENS1_25partition_config_selectorILNS1_17partition_subalgoE6EtNS0_10empty_typeEbEEZZNS1_14partition_implILS5_6ELb0ES3_mN6thrust23THRUST_200600_302600_NS6detail15normal_iteratorINSA_10device_ptrItEEEEPS6_SG_NS0_5tupleIJSF_S6_EEENSH_IJSG_SG_EEES6_PlJNSB_9not_fun_tI7is_trueItEEEEEE10hipError_tPvRmT3_T4_T5_T6_T7_T9_mT8_P12ihipStream_tbDpT10_ENKUlT_T0_E_clISt17integral_constantIbLb1EES17_IbLb0EEEEDaS13_S14_EUlS13_E_NS1_11comp_targetILNS1_3genE10ELNS1_11target_archE1200ELNS1_3gpuE4ELNS1_3repE0EEENS1_30default_config_static_selectorELNS0_4arch9wavefront6targetE0EEEvT1_.has_indirect_call, 0
	.section	.AMDGPU.csdata,"",@progbits
; Kernel info:
; codeLenInByte = 4
; TotalNumSgprs: 0
; NumVgprs: 0
; ScratchSize: 0
; MemoryBound: 0
; FloatMode: 240
; IeeeMode: 1
; LDSByteSize: 0 bytes/workgroup (compile time only)
; SGPRBlocks: 0
; VGPRBlocks: 0
; NumSGPRsForWavesPerEU: 1
; NumVGPRsForWavesPerEU: 1
; Occupancy: 16
; WaveLimiterHint : 0
; COMPUTE_PGM_RSRC2:SCRATCH_EN: 0
; COMPUTE_PGM_RSRC2:USER_SGPR: 2
; COMPUTE_PGM_RSRC2:TRAP_HANDLER: 0
; COMPUTE_PGM_RSRC2:TGID_X_EN: 1
; COMPUTE_PGM_RSRC2:TGID_Y_EN: 0
; COMPUTE_PGM_RSRC2:TGID_Z_EN: 0
; COMPUTE_PGM_RSRC2:TIDIG_COMP_CNT: 0
	.section	.text._ZN7rocprim17ROCPRIM_400000_NS6detail17trampoline_kernelINS0_14default_configENS1_25partition_config_selectorILNS1_17partition_subalgoE6EtNS0_10empty_typeEbEEZZNS1_14partition_implILS5_6ELb0ES3_mN6thrust23THRUST_200600_302600_NS6detail15normal_iteratorINSA_10device_ptrItEEEEPS6_SG_NS0_5tupleIJSF_S6_EEENSH_IJSG_SG_EEES6_PlJNSB_9not_fun_tI7is_trueItEEEEEE10hipError_tPvRmT3_T4_T5_T6_T7_T9_mT8_P12ihipStream_tbDpT10_ENKUlT_T0_E_clISt17integral_constantIbLb1EES17_IbLb0EEEEDaS13_S14_EUlS13_E_NS1_11comp_targetILNS1_3genE9ELNS1_11target_archE1100ELNS1_3gpuE3ELNS1_3repE0EEENS1_30default_config_static_selectorELNS0_4arch9wavefront6targetE0EEEvT1_,"axG",@progbits,_ZN7rocprim17ROCPRIM_400000_NS6detail17trampoline_kernelINS0_14default_configENS1_25partition_config_selectorILNS1_17partition_subalgoE6EtNS0_10empty_typeEbEEZZNS1_14partition_implILS5_6ELb0ES3_mN6thrust23THRUST_200600_302600_NS6detail15normal_iteratorINSA_10device_ptrItEEEEPS6_SG_NS0_5tupleIJSF_S6_EEENSH_IJSG_SG_EEES6_PlJNSB_9not_fun_tI7is_trueItEEEEEE10hipError_tPvRmT3_T4_T5_T6_T7_T9_mT8_P12ihipStream_tbDpT10_ENKUlT_T0_E_clISt17integral_constantIbLb1EES17_IbLb0EEEEDaS13_S14_EUlS13_E_NS1_11comp_targetILNS1_3genE9ELNS1_11target_archE1100ELNS1_3gpuE3ELNS1_3repE0EEENS1_30default_config_static_selectorELNS0_4arch9wavefront6targetE0EEEvT1_,comdat
	.protected	_ZN7rocprim17ROCPRIM_400000_NS6detail17trampoline_kernelINS0_14default_configENS1_25partition_config_selectorILNS1_17partition_subalgoE6EtNS0_10empty_typeEbEEZZNS1_14partition_implILS5_6ELb0ES3_mN6thrust23THRUST_200600_302600_NS6detail15normal_iteratorINSA_10device_ptrItEEEEPS6_SG_NS0_5tupleIJSF_S6_EEENSH_IJSG_SG_EEES6_PlJNSB_9not_fun_tI7is_trueItEEEEEE10hipError_tPvRmT3_T4_T5_T6_T7_T9_mT8_P12ihipStream_tbDpT10_ENKUlT_T0_E_clISt17integral_constantIbLb1EES17_IbLb0EEEEDaS13_S14_EUlS13_E_NS1_11comp_targetILNS1_3genE9ELNS1_11target_archE1100ELNS1_3gpuE3ELNS1_3repE0EEENS1_30default_config_static_selectorELNS0_4arch9wavefront6targetE0EEEvT1_ ; -- Begin function _ZN7rocprim17ROCPRIM_400000_NS6detail17trampoline_kernelINS0_14default_configENS1_25partition_config_selectorILNS1_17partition_subalgoE6EtNS0_10empty_typeEbEEZZNS1_14partition_implILS5_6ELb0ES3_mN6thrust23THRUST_200600_302600_NS6detail15normal_iteratorINSA_10device_ptrItEEEEPS6_SG_NS0_5tupleIJSF_S6_EEENSH_IJSG_SG_EEES6_PlJNSB_9not_fun_tI7is_trueItEEEEEE10hipError_tPvRmT3_T4_T5_T6_T7_T9_mT8_P12ihipStream_tbDpT10_ENKUlT_T0_E_clISt17integral_constantIbLb1EES17_IbLb0EEEEDaS13_S14_EUlS13_E_NS1_11comp_targetILNS1_3genE9ELNS1_11target_archE1100ELNS1_3gpuE3ELNS1_3repE0EEENS1_30default_config_static_selectorELNS0_4arch9wavefront6targetE0EEEvT1_
	.globl	_ZN7rocprim17ROCPRIM_400000_NS6detail17trampoline_kernelINS0_14default_configENS1_25partition_config_selectorILNS1_17partition_subalgoE6EtNS0_10empty_typeEbEEZZNS1_14partition_implILS5_6ELb0ES3_mN6thrust23THRUST_200600_302600_NS6detail15normal_iteratorINSA_10device_ptrItEEEEPS6_SG_NS0_5tupleIJSF_S6_EEENSH_IJSG_SG_EEES6_PlJNSB_9not_fun_tI7is_trueItEEEEEE10hipError_tPvRmT3_T4_T5_T6_T7_T9_mT8_P12ihipStream_tbDpT10_ENKUlT_T0_E_clISt17integral_constantIbLb1EES17_IbLb0EEEEDaS13_S14_EUlS13_E_NS1_11comp_targetILNS1_3genE9ELNS1_11target_archE1100ELNS1_3gpuE3ELNS1_3repE0EEENS1_30default_config_static_selectorELNS0_4arch9wavefront6targetE0EEEvT1_
	.p2align	8
	.type	_ZN7rocprim17ROCPRIM_400000_NS6detail17trampoline_kernelINS0_14default_configENS1_25partition_config_selectorILNS1_17partition_subalgoE6EtNS0_10empty_typeEbEEZZNS1_14partition_implILS5_6ELb0ES3_mN6thrust23THRUST_200600_302600_NS6detail15normal_iteratorINSA_10device_ptrItEEEEPS6_SG_NS0_5tupleIJSF_S6_EEENSH_IJSG_SG_EEES6_PlJNSB_9not_fun_tI7is_trueItEEEEEE10hipError_tPvRmT3_T4_T5_T6_T7_T9_mT8_P12ihipStream_tbDpT10_ENKUlT_T0_E_clISt17integral_constantIbLb1EES17_IbLb0EEEEDaS13_S14_EUlS13_E_NS1_11comp_targetILNS1_3genE9ELNS1_11target_archE1100ELNS1_3gpuE3ELNS1_3repE0EEENS1_30default_config_static_selectorELNS0_4arch9wavefront6targetE0EEEvT1_,@function
_ZN7rocprim17ROCPRIM_400000_NS6detail17trampoline_kernelINS0_14default_configENS1_25partition_config_selectorILNS1_17partition_subalgoE6EtNS0_10empty_typeEbEEZZNS1_14partition_implILS5_6ELb0ES3_mN6thrust23THRUST_200600_302600_NS6detail15normal_iteratorINSA_10device_ptrItEEEEPS6_SG_NS0_5tupleIJSF_S6_EEENSH_IJSG_SG_EEES6_PlJNSB_9not_fun_tI7is_trueItEEEEEE10hipError_tPvRmT3_T4_T5_T6_T7_T9_mT8_P12ihipStream_tbDpT10_ENKUlT_T0_E_clISt17integral_constantIbLb1EES17_IbLb0EEEEDaS13_S14_EUlS13_E_NS1_11comp_targetILNS1_3genE9ELNS1_11target_archE1100ELNS1_3gpuE3ELNS1_3repE0EEENS1_30default_config_static_selectorELNS0_4arch9wavefront6targetE0EEEvT1_: ; @_ZN7rocprim17ROCPRIM_400000_NS6detail17trampoline_kernelINS0_14default_configENS1_25partition_config_selectorILNS1_17partition_subalgoE6EtNS0_10empty_typeEbEEZZNS1_14partition_implILS5_6ELb0ES3_mN6thrust23THRUST_200600_302600_NS6detail15normal_iteratorINSA_10device_ptrItEEEEPS6_SG_NS0_5tupleIJSF_S6_EEENSH_IJSG_SG_EEES6_PlJNSB_9not_fun_tI7is_trueItEEEEEE10hipError_tPvRmT3_T4_T5_T6_T7_T9_mT8_P12ihipStream_tbDpT10_ENKUlT_T0_E_clISt17integral_constantIbLb1EES17_IbLb0EEEEDaS13_S14_EUlS13_E_NS1_11comp_targetILNS1_3genE9ELNS1_11target_archE1100ELNS1_3gpuE3ELNS1_3repE0EEENS1_30default_config_static_selectorELNS0_4arch9wavefront6targetE0EEEvT1_
; %bb.0:
	.section	.rodata,"a",@progbits
	.p2align	6, 0x0
	.amdhsa_kernel _ZN7rocprim17ROCPRIM_400000_NS6detail17trampoline_kernelINS0_14default_configENS1_25partition_config_selectorILNS1_17partition_subalgoE6EtNS0_10empty_typeEbEEZZNS1_14partition_implILS5_6ELb0ES3_mN6thrust23THRUST_200600_302600_NS6detail15normal_iteratorINSA_10device_ptrItEEEEPS6_SG_NS0_5tupleIJSF_S6_EEENSH_IJSG_SG_EEES6_PlJNSB_9not_fun_tI7is_trueItEEEEEE10hipError_tPvRmT3_T4_T5_T6_T7_T9_mT8_P12ihipStream_tbDpT10_ENKUlT_T0_E_clISt17integral_constantIbLb1EES17_IbLb0EEEEDaS13_S14_EUlS13_E_NS1_11comp_targetILNS1_3genE9ELNS1_11target_archE1100ELNS1_3gpuE3ELNS1_3repE0EEENS1_30default_config_static_selectorELNS0_4arch9wavefront6targetE0EEEvT1_
		.amdhsa_group_segment_fixed_size 0
		.amdhsa_private_segment_fixed_size 0
		.amdhsa_kernarg_size 112
		.amdhsa_user_sgpr_count 2
		.amdhsa_user_sgpr_dispatch_ptr 0
		.amdhsa_user_sgpr_queue_ptr 0
		.amdhsa_user_sgpr_kernarg_segment_ptr 1
		.amdhsa_user_sgpr_dispatch_id 0
		.amdhsa_user_sgpr_private_segment_size 0
		.amdhsa_wavefront_size32 1
		.amdhsa_uses_dynamic_stack 0
		.amdhsa_enable_private_segment 0
		.amdhsa_system_sgpr_workgroup_id_x 1
		.amdhsa_system_sgpr_workgroup_id_y 0
		.amdhsa_system_sgpr_workgroup_id_z 0
		.amdhsa_system_sgpr_workgroup_info 0
		.amdhsa_system_vgpr_workitem_id 0
		.amdhsa_next_free_vgpr 1
		.amdhsa_next_free_sgpr 1
		.amdhsa_reserve_vcc 0
		.amdhsa_float_round_mode_32 0
		.amdhsa_float_round_mode_16_64 0
		.amdhsa_float_denorm_mode_32 3
		.amdhsa_float_denorm_mode_16_64 3
		.amdhsa_fp16_overflow 0
		.amdhsa_workgroup_processor_mode 1
		.amdhsa_memory_ordered 1
		.amdhsa_forward_progress 1
		.amdhsa_inst_pref_size 0
		.amdhsa_round_robin_scheduling 0
		.amdhsa_exception_fp_ieee_invalid_op 0
		.amdhsa_exception_fp_denorm_src 0
		.amdhsa_exception_fp_ieee_div_zero 0
		.amdhsa_exception_fp_ieee_overflow 0
		.amdhsa_exception_fp_ieee_underflow 0
		.amdhsa_exception_fp_ieee_inexact 0
		.amdhsa_exception_int_div_zero 0
	.end_amdhsa_kernel
	.section	.text._ZN7rocprim17ROCPRIM_400000_NS6detail17trampoline_kernelINS0_14default_configENS1_25partition_config_selectorILNS1_17partition_subalgoE6EtNS0_10empty_typeEbEEZZNS1_14partition_implILS5_6ELb0ES3_mN6thrust23THRUST_200600_302600_NS6detail15normal_iteratorINSA_10device_ptrItEEEEPS6_SG_NS0_5tupleIJSF_S6_EEENSH_IJSG_SG_EEES6_PlJNSB_9not_fun_tI7is_trueItEEEEEE10hipError_tPvRmT3_T4_T5_T6_T7_T9_mT8_P12ihipStream_tbDpT10_ENKUlT_T0_E_clISt17integral_constantIbLb1EES17_IbLb0EEEEDaS13_S14_EUlS13_E_NS1_11comp_targetILNS1_3genE9ELNS1_11target_archE1100ELNS1_3gpuE3ELNS1_3repE0EEENS1_30default_config_static_selectorELNS0_4arch9wavefront6targetE0EEEvT1_,"axG",@progbits,_ZN7rocprim17ROCPRIM_400000_NS6detail17trampoline_kernelINS0_14default_configENS1_25partition_config_selectorILNS1_17partition_subalgoE6EtNS0_10empty_typeEbEEZZNS1_14partition_implILS5_6ELb0ES3_mN6thrust23THRUST_200600_302600_NS6detail15normal_iteratorINSA_10device_ptrItEEEEPS6_SG_NS0_5tupleIJSF_S6_EEENSH_IJSG_SG_EEES6_PlJNSB_9not_fun_tI7is_trueItEEEEEE10hipError_tPvRmT3_T4_T5_T6_T7_T9_mT8_P12ihipStream_tbDpT10_ENKUlT_T0_E_clISt17integral_constantIbLb1EES17_IbLb0EEEEDaS13_S14_EUlS13_E_NS1_11comp_targetILNS1_3genE9ELNS1_11target_archE1100ELNS1_3gpuE3ELNS1_3repE0EEENS1_30default_config_static_selectorELNS0_4arch9wavefront6targetE0EEEvT1_,comdat
.Lfunc_end1195:
	.size	_ZN7rocprim17ROCPRIM_400000_NS6detail17trampoline_kernelINS0_14default_configENS1_25partition_config_selectorILNS1_17partition_subalgoE6EtNS0_10empty_typeEbEEZZNS1_14partition_implILS5_6ELb0ES3_mN6thrust23THRUST_200600_302600_NS6detail15normal_iteratorINSA_10device_ptrItEEEEPS6_SG_NS0_5tupleIJSF_S6_EEENSH_IJSG_SG_EEES6_PlJNSB_9not_fun_tI7is_trueItEEEEEE10hipError_tPvRmT3_T4_T5_T6_T7_T9_mT8_P12ihipStream_tbDpT10_ENKUlT_T0_E_clISt17integral_constantIbLb1EES17_IbLb0EEEEDaS13_S14_EUlS13_E_NS1_11comp_targetILNS1_3genE9ELNS1_11target_archE1100ELNS1_3gpuE3ELNS1_3repE0EEENS1_30default_config_static_selectorELNS0_4arch9wavefront6targetE0EEEvT1_, .Lfunc_end1195-_ZN7rocprim17ROCPRIM_400000_NS6detail17trampoline_kernelINS0_14default_configENS1_25partition_config_selectorILNS1_17partition_subalgoE6EtNS0_10empty_typeEbEEZZNS1_14partition_implILS5_6ELb0ES3_mN6thrust23THRUST_200600_302600_NS6detail15normal_iteratorINSA_10device_ptrItEEEEPS6_SG_NS0_5tupleIJSF_S6_EEENSH_IJSG_SG_EEES6_PlJNSB_9not_fun_tI7is_trueItEEEEEE10hipError_tPvRmT3_T4_T5_T6_T7_T9_mT8_P12ihipStream_tbDpT10_ENKUlT_T0_E_clISt17integral_constantIbLb1EES17_IbLb0EEEEDaS13_S14_EUlS13_E_NS1_11comp_targetILNS1_3genE9ELNS1_11target_archE1100ELNS1_3gpuE3ELNS1_3repE0EEENS1_30default_config_static_selectorELNS0_4arch9wavefront6targetE0EEEvT1_
                                        ; -- End function
	.set _ZN7rocprim17ROCPRIM_400000_NS6detail17trampoline_kernelINS0_14default_configENS1_25partition_config_selectorILNS1_17partition_subalgoE6EtNS0_10empty_typeEbEEZZNS1_14partition_implILS5_6ELb0ES3_mN6thrust23THRUST_200600_302600_NS6detail15normal_iteratorINSA_10device_ptrItEEEEPS6_SG_NS0_5tupleIJSF_S6_EEENSH_IJSG_SG_EEES6_PlJNSB_9not_fun_tI7is_trueItEEEEEE10hipError_tPvRmT3_T4_T5_T6_T7_T9_mT8_P12ihipStream_tbDpT10_ENKUlT_T0_E_clISt17integral_constantIbLb1EES17_IbLb0EEEEDaS13_S14_EUlS13_E_NS1_11comp_targetILNS1_3genE9ELNS1_11target_archE1100ELNS1_3gpuE3ELNS1_3repE0EEENS1_30default_config_static_selectorELNS0_4arch9wavefront6targetE0EEEvT1_.num_vgpr, 0
	.set _ZN7rocprim17ROCPRIM_400000_NS6detail17trampoline_kernelINS0_14default_configENS1_25partition_config_selectorILNS1_17partition_subalgoE6EtNS0_10empty_typeEbEEZZNS1_14partition_implILS5_6ELb0ES3_mN6thrust23THRUST_200600_302600_NS6detail15normal_iteratorINSA_10device_ptrItEEEEPS6_SG_NS0_5tupleIJSF_S6_EEENSH_IJSG_SG_EEES6_PlJNSB_9not_fun_tI7is_trueItEEEEEE10hipError_tPvRmT3_T4_T5_T6_T7_T9_mT8_P12ihipStream_tbDpT10_ENKUlT_T0_E_clISt17integral_constantIbLb1EES17_IbLb0EEEEDaS13_S14_EUlS13_E_NS1_11comp_targetILNS1_3genE9ELNS1_11target_archE1100ELNS1_3gpuE3ELNS1_3repE0EEENS1_30default_config_static_selectorELNS0_4arch9wavefront6targetE0EEEvT1_.num_agpr, 0
	.set _ZN7rocprim17ROCPRIM_400000_NS6detail17trampoline_kernelINS0_14default_configENS1_25partition_config_selectorILNS1_17partition_subalgoE6EtNS0_10empty_typeEbEEZZNS1_14partition_implILS5_6ELb0ES3_mN6thrust23THRUST_200600_302600_NS6detail15normal_iteratorINSA_10device_ptrItEEEEPS6_SG_NS0_5tupleIJSF_S6_EEENSH_IJSG_SG_EEES6_PlJNSB_9not_fun_tI7is_trueItEEEEEE10hipError_tPvRmT3_T4_T5_T6_T7_T9_mT8_P12ihipStream_tbDpT10_ENKUlT_T0_E_clISt17integral_constantIbLb1EES17_IbLb0EEEEDaS13_S14_EUlS13_E_NS1_11comp_targetILNS1_3genE9ELNS1_11target_archE1100ELNS1_3gpuE3ELNS1_3repE0EEENS1_30default_config_static_selectorELNS0_4arch9wavefront6targetE0EEEvT1_.numbered_sgpr, 0
	.set _ZN7rocprim17ROCPRIM_400000_NS6detail17trampoline_kernelINS0_14default_configENS1_25partition_config_selectorILNS1_17partition_subalgoE6EtNS0_10empty_typeEbEEZZNS1_14partition_implILS5_6ELb0ES3_mN6thrust23THRUST_200600_302600_NS6detail15normal_iteratorINSA_10device_ptrItEEEEPS6_SG_NS0_5tupleIJSF_S6_EEENSH_IJSG_SG_EEES6_PlJNSB_9not_fun_tI7is_trueItEEEEEE10hipError_tPvRmT3_T4_T5_T6_T7_T9_mT8_P12ihipStream_tbDpT10_ENKUlT_T0_E_clISt17integral_constantIbLb1EES17_IbLb0EEEEDaS13_S14_EUlS13_E_NS1_11comp_targetILNS1_3genE9ELNS1_11target_archE1100ELNS1_3gpuE3ELNS1_3repE0EEENS1_30default_config_static_selectorELNS0_4arch9wavefront6targetE0EEEvT1_.num_named_barrier, 0
	.set _ZN7rocprim17ROCPRIM_400000_NS6detail17trampoline_kernelINS0_14default_configENS1_25partition_config_selectorILNS1_17partition_subalgoE6EtNS0_10empty_typeEbEEZZNS1_14partition_implILS5_6ELb0ES3_mN6thrust23THRUST_200600_302600_NS6detail15normal_iteratorINSA_10device_ptrItEEEEPS6_SG_NS0_5tupleIJSF_S6_EEENSH_IJSG_SG_EEES6_PlJNSB_9not_fun_tI7is_trueItEEEEEE10hipError_tPvRmT3_T4_T5_T6_T7_T9_mT8_P12ihipStream_tbDpT10_ENKUlT_T0_E_clISt17integral_constantIbLb1EES17_IbLb0EEEEDaS13_S14_EUlS13_E_NS1_11comp_targetILNS1_3genE9ELNS1_11target_archE1100ELNS1_3gpuE3ELNS1_3repE0EEENS1_30default_config_static_selectorELNS0_4arch9wavefront6targetE0EEEvT1_.private_seg_size, 0
	.set _ZN7rocprim17ROCPRIM_400000_NS6detail17trampoline_kernelINS0_14default_configENS1_25partition_config_selectorILNS1_17partition_subalgoE6EtNS0_10empty_typeEbEEZZNS1_14partition_implILS5_6ELb0ES3_mN6thrust23THRUST_200600_302600_NS6detail15normal_iteratorINSA_10device_ptrItEEEEPS6_SG_NS0_5tupleIJSF_S6_EEENSH_IJSG_SG_EEES6_PlJNSB_9not_fun_tI7is_trueItEEEEEE10hipError_tPvRmT3_T4_T5_T6_T7_T9_mT8_P12ihipStream_tbDpT10_ENKUlT_T0_E_clISt17integral_constantIbLb1EES17_IbLb0EEEEDaS13_S14_EUlS13_E_NS1_11comp_targetILNS1_3genE9ELNS1_11target_archE1100ELNS1_3gpuE3ELNS1_3repE0EEENS1_30default_config_static_selectorELNS0_4arch9wavefront6targetE0EEEvT1_.uses_vcc, 0
	.set _ZN7rocprim17ROCPRIM_400000_NS6detail17trampoline_kernelINS0_14default_configENS1_25partition_config_selectorILNS1_17partition_subalgoE6EtNS0_10empty_typeEbEEZZNS1_14partition_implILS5_6ELb0ES3_mN6thrust23THRUST_200600_302600_NS6detail15normal_iteratorINSA_10device_ptrItEEEEPS6_SG_NS0_5tupleIJSF_S6_EEENSH_IJSG_SG_EEES6_PlJNSB_9not_fun_tI7is_trueItEEEEEE10hipError_tPvRmT3_T4_T5_T6_T7_T9_mT8_P12ihipStream_tbDpT10_ENKUlT_T0_E_clISt17integral_constantIbLb1EES17_IbLb0EEEEDaS13_S14_EUlS13_E_NS1_11comp_targetILNS1_3genE9ELNS1_11target_archE1100ELNS1_3gpuE3ELNS1_3repE0EEENS1_30default_config_static_selectorELNS0_4arch9wavefront6targetE0EEEvT1_.uses_flat_scratch, 0
	.set _ZN7rocprim17ROCPRIM_400000_NS6detail17trampoline_kernelINS0_14default_configENS1_25partition_config_selectorILNS1_17partition_subalgoE6EtNS0_10empty_typeEbEEZZNS1_14partition_implILS5_6ELb0ES3_mN6thrust23THRUST_200600_302600_NS6detail15normal_iteratorINSA_10device_ptrItEEEEPS6_SG_NS0_5tupleIJSF_S6_EEENSH_IJSG_SG_EEES6_PlJNSB_9not_fun_tI7is_trueItEEEEEE10hipError_tPvRmT3_T4_T5_T6_T7_T9_mT8_P12ihipStream_tbDpT10_ENKUlT_T0_E_clISt17integral_constantIbLb1EES17_IbLb0EEEEDaS13_S14_EUlS13_E_NS1_11comp_targetILNS1_3genE9ELNS1_11target_archE1100ELNS1_3gpuE3ELNS1_3repE0EEENS1_30default_config_static_selectorELNS0_4arch9wavefront6targetE0EEEvT1_.has_dyn_sized_stack, 0
	.set _ZN7rocprim17ROCPRIM_400000_NS6detail17trampoline_kernelINS0_14default_configENS1_25partition_config_selectorILNS1_17partition_subalgoE6EtNS0_10empty_typeEbEEZZNS1_14partition_implILS5_6ELb0ES3_mN6thrust23THRUST_200600_302600_NS6detail15normal_iteratorINSA_10device_ptrItEEEEPS6_SG_NS0_5tupleIJSF_S6_EEENSH_IJSG_SG_EEES6_PlJNSB_9not_fun_tI7is_trueItEEEEEE10hipError_tPvRmT3_T4_T5_T6_T7_T9_mT8_P12ihipStream_tbDpT10_ENKUlT_T0_E_clISt17integral_constantIbLb1EES17_IbLb0EEEEDaS13_S14_EUlS13_E_NS1_11comp_targetILNS1_3genE9ELNS1_11target_archE1100ELNS1_3gpuE3ELNS1_3repE0EEENS1_30default_config_static_selectorELNS0_4arch9wavefront6targetE0EEEvT1_.has_recursion, 0
	.set _ZN7rocprim17ROCPRIM_400000_NS6detail17trampoline_kernelINS0_14default_configENS1_25partition_config_selectorILNS1_17partition_subalgoE6EtNS0_10empty_typeEbEEZZNS1_14partition_implILS5_6ELb0ES3_mN6thrust23THRUST_200600_302600_NS6detail15normal_iteratorINSA_10device_ptrItEEEEPS6_SG_NS0_5tupleIJSF_S6_EEENSH_IJSG_SG_EEES6_PlJNSB_9not_fun_tI7is_trueItEEEEEE10hipError_tPvRmT3_T4_T5_T6_T7_T9_mT8_P12ihipStream_tbDpT10_ENKUlT_T0_E_clISt17integral_constantIbLb1EES17_IbLb0EEEEDaS13_S14_EUlS13_E_NS1_11comp_targetILNS1_3genE9ELNS1_11target_archE1100ELNS1_3gpuE3ELNS1_3repE0EEENS1_30default_config_static_selectorELNS0_4arch9wavefront6targetE0EEEvT1_.has_indirect_call, 0
	.section	.AMDGPU.csdata,"",@progbits
; Kernel info:
; codeLenInByte = 0
; TotalNumSgprs: 0
; NumVgprs: 0
; ScratchSize: 0
; MemoryBound: 0
; FloatMode: 240
; IeeeMode: 1
; LDSByteSize: 0 bytes/workgroup (compile time only)
; SGPRBlocks: 0
; VGPRBlocks: 0
; NumSGPRsForWavesPerEU: 1
; NumVGPRsForWavesPerEU: 1
; Occupancy: 16
; WaveLimiterHint : 0
; COMPUTE_PGM_RSRC2:SCRATCH_EN: 0
; COMPUTE_PGM_RSRC2:USER_SGPR: 2
; COMPUTE_PGM_RSRC2:TRAP_HANDLER: 0
; COMPUTE_PGM_RSRC2:TGID_X_EN: 1
; COMPUTE_PGM_RSRC2:TGID_Y_EN: 0
; COMPUTE_PGM_RSRC2:TGID_Z_EN: 0
; COMPUTE_PGM_RSRC2:TIDIG_COMP_CNT: 0
	.section	.text._ZN7rocprim17ROCPRIM_400000_NS6detail17trampoline_kernelINS0_14default_configENS1_25partition_config_selectorILNS1_17partition_subalgoE6EtNS0_10empty_typeEbEEZZNS1_14partition_implILS5_6ELb0ES3_mN6thrust23THRUST_200600_302600_NS6detail15normal_iteratorINSA_10device_ptrItEEEEPS6_SG_NS0_5tupleIJSF_S6_EEENSH_IJSG_SG_EEES6_PlJNSB_9not_fun_tI7is_trueItEEEEEE10hipError_tPvRmT3_T4_T5_T6_T7_T9_mT8_P12ihipStream_tbDpT10_ENKUlT_T0_E_clISt17integral_constantIbLb1EES17_IbLb0EEEEDaS13_S14_EUlS13_E_NS1_11comp_targetILNS1_3genE8ELNS1_11target_archE1030ELNS1_3gpuE2ELNS1_3repE0EEENS1_30default_config_static_selectorELNS0_4arch9wavefront6targetE0EEEvT1_,"axG",@progbits,_ZN7rocprim17ROCPRIM_400000_NS6detail17trampoline_kernelINS0_14default_configENS1_25partition_config_selectorILNS1_17partition_subalgoE6EtNS0_10empty_typeEbEEZZNS1_14partition_implILS5_6ELb0ES3_mN6thrust23THRUST_200600_302600_NS6detail15normal_iteratorINSA_10device_ptrItEEEEPS6_SG_NS0_5tupleIJSF_S6_EEENSH_IJSG_SG_EEES6_PlJNSB_9not_fun_tI7is_trueItEEEEEE10hipError_tPvRmT3_T4_T5_T6_T7_T9_mT8_P12ihipStream_tbDpT10_ENKUlT_T0_E_clISt17integral_constantIbLb1EES17_IbLb0EEEEDaS13_S14_EUlS13_E_NS1_11comp_targetILNS1_3genE8ELNS1_11target_archE1030ELNS1_3gpuE2ELNS1_3repE0EEENS1_30default_config_static_selectorELNS0_4arch9wavefront6targetE0EEEvT1_,comdat
	.protected	_ZN7rocprim17ROCPRIM_400000_NS6detail17trampoline_kernelINS0_14default_configENS1_25partition_config_selectorILNS1_17partition_subalgoE6EtNS0_10empty_typeEbEEZZNS1_14partition_implILS5_6ELb0ES3_mN6thrust23THRUST_200600_302600_NS6detail15normal_iteratorINSA_10device_ptrItEEEEPS6_SG_NS0_5tupleIJSF_S6_EEENSH_IJSG_SG_EEES6_PlJNSB_9not_fun_tI7is_trueItEEEEEE10hipError_tPvRmT3_T4_T5_T6_T7_T9_mT8_P12ihipStream_tbDpT10_ENKUlT_T0_E_clISt17integral_constantIbLb1EES17_IbLb0EEEEDaS13_S14_EUlS13_E_NS1_11comp_targetILNS1_3genE8ELNS1_11target_archE1030ELNS1_3gpuE2ELNS1_3repE0EEENS1_30default_config_static_selectorELNS0_4arch9wavefront6targetE0EEEvT1_ ; -- Begin function _ZN7rocprim17ROCPRIM_400000_NS6detail17trampoline_kernelINS0_14default_configENS1_25partition_config_selectorILNS1_17partition_subalgoE6EtNS0_10empty_typeEbEEZZNS1_14partition_implILS5_6ELb0ES3_mN6thrust23THRUST_200600_302600_NS6detail15normal_iteratorINSA_10device_ptrItEEEEPS6_SG_NS0_5tupleIJSF_S6_EEENSH_IJSG_SG_EEES6_PlJNSB_9not_fun_tI7is_trueItEEEEEE10hipError_tPvRmT3_T4_T5_T6_T7_T9_mT8_P12ihipStream_tbDpT10_ENKUlT_T0_E_clISt17integral_constantIbLb1EES17_IbLb0EEEEDaS13_S14_EUlS13_E_NS1_11comp_targetILNS1_3genE8ELNS1_11target_archE1030ELNS1_3gpuE2ELNS1_3repE0EEENS1_30default_config_static_selectorELNS0_4arch9wavefront6targetE0EEEvT1_
	.globl	_ZN7rocprim17ROCPRIM_400000_NS6detail17trampoline_kernelINS0_14default_configENS1_25partition_config_selectorILNS1_17partition_subalgoE6EtNS0_10empty_typeEbEEZZNS1_14partition_implILS5_6ELb0ES3_mN6thrust23THRUST_200600_302600_NS6detail15normal_iteratorINSA_10device_ptrItEEEEPS6_SG_NS0_5tupleIJSF_S6_EEENSH_IJSG_SG_EEES6_PlJNSB_9not_fun_tI7is_trueItEEEEEE10hipError_tPvRmT3_T4_T5_T6_T7_T9_mT8_P12ihipStream_tbDpT10_ENKUlT_T0_E_clISt17integral_constantIbLb1EES17_IbLb0EEEEDaS13_S14_EUlS13_E_NS1_11comp_targetILNS1_3genE8ELNS1_11target_archE1030ELNS1_3gpuE2ELNS1_3repE0EEENS1_30default_config_static_selectorELNS0_4arch9wavefront6targetE0EEEvT1_
	.p2align	8
	.type	_ZN7rocprim17ROCPRIM_400000_NS6detail17trampoline_kernelINS0_14default_configENS1_25partition_config_selectorILNS1_17partition_subalgoE6EtNS0_10empty_typeEbEEZZNS1_14partition_implILS5_6ELb0ES3_mN6thrust23THRUST_200600_302600_NS6detail15normal_iteratorINSA_10device_ptrItEEEEPS6_SG_NS0_5tupleIJSF_S6_EEENSH_IJSG_SG_EEES6_PlJNSB_9not_fun_tI7is_trueItEEEEEE10hipError_tPvRmT3_T4_T5_T6_T7_T9_mT8_P12ihipStream_tbDpT10_ENKUlT_T0_E_clISt17integral_constantIbLb1EES17_IbLb0EEEEDaS13_S14_EUlS13_E_NS1_11comp_targetILNS1_3genE8ELNS1_11target_archE1030ELNS1_3gpuE2ELNS1_3repE0EEENS1_30default_config_static_selectorELNS0_4arch9wavefront6targetE0EEEvT1_,@function
_ZN7rocprim17ROCPRIM_400000_NS6detail17trampoline_kernelINS0_14default_configENS1_25partition_config_selectorILNS1_17partition_subalgoE6EtNS0_10empty_typeEbEEZZNS1_14partition_implILS5_6ELb0ES3_mN6thrust23THRUST_200600_302600_NS6detail15normal_iteratorINSA_10device_ptrItEEEEPS6_SG_NS0_5tupleIJSF_S6_EEENSH_IJSG_SG_EEES6_PlJNSB_9not_fun_tI7is_trueItEEEEEE10hipError_tPvRmT3_T4_T5_T6_T7_T9_mT8_P12ihipStream_tbDpT10_ENKUlT_T0_E_clISt17integral_constantIbLb1EES17_IbLb0EEEEDaS13_S14_EUlS13_E_NS1_11comp_targetILNS1_3genE8ELNS1_11target_archE1030ELNS1_3gpuE2ELNS1_3repE0EEENS1_30default_config_static_selectorELNS0_4arch9wavefront6targetE0EEEvT1_: ; @_ZN7rocprim17ROCPRIM_400000_NS6detail17trampoline_kernelINS0_14default_configENS1_25partition_config_selectorILNS1_17partition_subalgoE6EtNS0_10empty_typeEbEEZZNS1_14partition_implILS5_6ELb0ES3_mN6thrust23THRUST_200600_302600_NS6detail15normal_iteratorINSA_10device_ptrItEEEEPS6_SG_NS0_5tupleIJSF_S6_EEENSH_IJSG_SG_EEES6_PlJNSB_9not_fun_tI7is_trueItEEEEEE10hipError_tPvRmT3_T4_T5_T6_T7_T9_mT8_P12ihipStream_tbDpT10_ENKUlT_T0_E_clISt17integral_constantIbLb1EES17_IbLb0EEEEDaS13_S14_EUlS13_E_NS1_11comp_targetILNS1_3genE8ELNS1_11target_archE1030ELNS1_3gpuE2ELNS1_3repE0EEENS1_30default_config_static_selectorELNS0_4arch9wavefront6targetE0EEEvT1_
; %bb.0:
	.section	.rodata,"a",@progbits
	.p2align	6, 0x0
	.amdhsa_kernel _ZN7rocprim17ROCPRIM_400000_NS6detail17trampoline_kernelINS0_14default_configENS1_25partition_config_selectorILNS1_17partition_subalgoE6EtNS0_10empty_typeEbEEZZNS1_14partition_implILS5_6ELb0ES3_mN6thrust23THRUST_200600_302600_NS6detail15normal_iteratorINSA_10device_ptrItEEEEPS6_SG_NS0_5tupleIJSF_S6_EEENSH_IJSG_SG_EEES6_PlJNSB_9not_fun_tI7is_trueItEEEEEE10hipError_tPvRmT3_T4_T5_T6_T7_T9_mT8_P12ihipStream_tbDpT10_ENKUlT_T0_E_clISt17integral_constantIbLb1EES17_IbLb0EEEEDaS13_S14_EUlS13_E_NS1_11comp_targetILNS1_3genE8ELNS1_11target_archE1030ELNS1_3gpuE2ELNS1_3repE0EEENS1_30default_config_static_selectorELNS0_4arch9wavefront6targetE0EEEvT1_
		.amdhsa_group_segment_fixed_size 0
		.amdhsa_private_segment_fixed_size 0
		.amdhsa_kernarg_size 112
		.amdhsa_user_sgpr_count 2
		.amdhsa_user_sgpr_dispatch_ptr 0
		.amdhsa_user_sgpr_queue_ptr 0
		.amdhsa_user_sgpr_kernarg_segment_ptr 1
		.amdhsa_user_sgpr_dispatch_id 0
		.amdhsa_user_sgpr_private_segment_size 0
		.amdhsa_wavefront_size32 1
		.amdhsa_uses_dynamic_stack 0
		.amdhsa_enable_private_segment 0
		.amdhsa_system_sgpr_workgroup_id_x 1
		.amdhsa_system_sgpr_workgroup_id_y 0
		.amdhsa_system_sgpr_workgroup_id_z 0
		.amdhsa_system_sgpr_workgroup_info 0
		.amdhsa_system_vgpr_workitem_id 0
		.amdhsa_next_free_vgpr 1
		.amdhsa_next_free_sgpr 1
		.amdhsa_reserve_vcc 0
		.amdhsa_float_round_mode_32 0
		.amdhsa_float_round_mode_16_64 0
		.amdhsa_float_denorm_mode_32 3
		.amdhsa_float_denorm_mode_16_64 3
		.amdhsa_fp16_overflow 0
		.amdhsa_workgroup_processor_mode 1
		.amdhsa_memory_ordered 1
		.amdhsa_forward_progress 1
		.amdhsa_inst_pref_size 0
		.amdhsa_round_robin_scheduling 0
		.amdhsa_exception_fp_ieee_invalid_op 0
		.amdhsa_exception_fp_denorm_src 0
		.amdhsa_exception_fp_ieee_div_zero 0
		.amdhsa_exception_fp_ieee_overflow 0
		.amdhsa_exception_fp_ieee_underflow 0
		.amdhsa_exception_fp_ieee_inexact 0
		.amdhsa_exception_int_div_zero 0
	.end_amdhsa_kernel
	.section	.text._ZN7rocprim17ROCPRIM_400000_NS6detail17trampoline_kernelINS0_14default_configENS1_25partition_config_selectorILNS1_17partition_subalgoE6EtNS0_10empty_typeEbEEZZNS1_14partition_implILS5_6ELb0ES3_mN6thrust23THRUST_200600_302600_NS6detail15normal_iteratorINSA_10device_ptrItEEEEPS6_SG_NS0_5tupleIJSF_S6_EEENSH_IJSG_SG_EEES6_PlJNSB_9not_fun_tI7is_trueItEEEEEE10hipError_tPvRmT3_T4_T5_T6_T7_T9_mT8_P12ihipStream_tbDpT10_ENKUlT_T0_E_clISt17integral_constantIbLb1EES17_IbLb0EEEEDaS13_S14_EUlS13_E_NS1_11comp_targetILNS1_3genE8ELNS1_11target_archE1030ELNS1_3gpuE2ELNS1_3repE0EEENS1_30default_config_static_selectorELNS0_4arch9wavefront6targetE0EEEvT1_,"axG",@progbits,_ZN7rocprim17ROCPRIM_400000_NS6detail17trampoline_kernelINS0_14default_configENS1_25partition_config_selectorILNS1_17partition_subalgoE6EtNS0_10empty_typeEbEEZZNS1_14partition_implILS5_6ELb0ES3_mN6thrust23THRUST_200600_302600_NS6detail15normal_iteratorINSA_10device_ptrItEEEEPS6_SG_NS0_5tupleIJSF_S6_EEENSH_IJSG_SG_EEES6_PlJNSB_9not_fun_tI7is_trueItEEEEEE10hipError_tPvRmT3_T4_T5_T6_T7_T9_mT8_P12ihipStream_tbDpT10_ENKUlT_T0_E_clISt17integral_constantIbLb1EES17_IbLb0EEEEDaS13_S14_EUlS13_E_NS1_11comp_targetILNS1_3genE8ELNS1_11target_archE1030ELNS1_3gpuE2ELNS1_3repE0EEENS1_30default_config_static_selectorELNS0_4arch9wavefront6targetE0EEEvT1_,comdat
.Lfunc_end1196:
	.size	_ZN7rocprim17ROCPRIM_400000_NS6detail17trampoline_kernelINS0_14default_configENS1_25partition_config_selectorILNS1_17partition_subalgoE6EtNS0_10empty_typeEbEEZZNS1_14partition_implILS5_6ELb0ES3_mN6thrust23THRUST_200600_302600_NS6detail15normal_iteratorINSA_10device_ptrItEEEEPS6_SG_NS0_5tupleIJSF_S6_EEENSH_IJSG_SG_EEES6_PlJNSB_9not_fun_tI7is_trueItEEEEEE10hipError_tPvRmT3_T4_T5_T6_T7_T9_mT8_P12ihipStream_tbDpT10_ENKUlT_T0_E_clISt17integral_constantIbLb1EES17_IbLb0EEEEDaS13_S14_EUlS13_E_NS1_11comp_targetILNS1_3genE8ELNS1_11target_archE1030ELNS1_3gpuE2ELNS1_3repE0EEENS1_30default_config_static_selectorELNS0_4arch9wavefront6targetE0EEEvT1_, .Lfunc_end1196-_ZN7rocprim17ROCPRIM_400000_NS6detail17trampoline_kernelINS0_14default_configENS1_25partition_config_selectorILNS1_17partition_subalgoE6EtNS0_10empty_typeEbEEZZNS1_14partition_implILS5_6ELb0ES3_mN6thrust23THRUST_200600_302600_NS6detail15normal_iteratorINSA_10device_ptrItEEEEPS6_SG_NS0_5tupleIJSF_S6_EEENSH_IJSG_SG_EEES6_PlJNSB_9not_fun_tI7is_trueItEEEEEE10hipError_tPvRmT3_T4_T5_T6_T7_T9_mT8_P12ihipStream_tbDpT10_ENKUlT_T0_E_clISt17integral_constantIbLb1EES17_IbLb0EEEEDaS13_S14_EUlS13_E_NS1_11comp_targetILNS1_3genE8ELNS1_11target_archE1030ELNS1_3gpuE2ELNS1_3repE0EEENS1_30default_config_static_selectorELNS0_4arch9wavefront6targetE0EEEvT1_
                                        ; -- End function
	.set _ZN7rocprim17ROCPRIM_400000_NS6detail17trampoline_kernelINS0_14default_configENS1_25partition_config_selectorILNS1_17partition_subalgoE6EtNS0_10empty_typeEbEEZZNS1_14partition_implILS5_6ELb0ES3_mN6thrust23THRUST_200600_302600_NS6detail15normal_iteratorINSA_10device_ptrItEEEEPS6_SG_NS0_5tupleIJSF_S6_EEENSH_IJSG_SG_EEES6_PlJNSB_9not_fun_tI7is_trueItEEEEEE10hipError_tPvRmT3_T4_T5_T6_T7_T9_mT8_P12ihipStream_tbDpT10_ENKUlT_T0_E_clISt17integral_constantIbLb1EES17_IbLb0EEEEDaS13_S14_EUlS13_E_NS1_11comp_targetILNS1_3genE8ELNS1_11target_archE1030ELNS1_3gpuE2ELNS1_3repE0EEENS1_30default_config_static_selectorELNS0_4arch9wavefront6targetE0EEEvT1_.num_vgpr, 0
	.set _ZN7rocprim17ROCPRIM_400000_NS6detail17trampoline_kernelINS0_14default_configENS1_25partition_config_selectorILNS1_17partition_subalgoE6EtNS0_10empty_typeEbEEZZNS1_14partition_implILS5_6ELb0ES3_mN6thrust23THRUST_200600_302600_NS6detail15normal_iteratorINSA_10device_ptrItEEEEPS6_SG_NS0_5tupleIJSF_S6_EEENSH_IJSG_SG_EEES6_PlJNSB_9not_fun_tI7is_trueItEEEEEE10hipError_tPvRmT3_T4_T5_T6_T7_T9_mT8_P12ihipStream_tbDpT10_ENKUlT_T0_E_clISt17integral_constantIbLb1EES17_IbLb0EEEEDaS13_S14_EUlS13_E_NS1_11comp_targetILNS1_3genE8ELNS1_11target_archE1030ELNS1_3gpuE2ELNS1_3repE0EEENS1_30default_config_static_selectorELNS0_4arch9wavefront6targetE0EEEvT1_.num_agpr, 0
	.set _ZN7rocprim17ROCPRIM_400000_NS6detail17trampoline_kernelINS0_14default_configENS1_25partition_config_selectorILNS1_17partition_subalgoE6EtNS0_10empty_typeEbEEZZNS1_14partition_implILS5_6ELb0ES3_mN6thrust23THRUST_200600_302600_NS6detail15normal_iteratorINSA_10device_ptrItEEEEPS6_SG_NS0_5tupleIJSF_S6_EEENSH_IJSG_SG_EEES6_PlJNSB_9not_fun_tI7is_trueItEEEEEE10hipError_tPvRmT3_T4_T5_T6_T7_T9_mT8_P12ihipStream_tbDpT10_ENKUlT_T0_E_clISt17integral_constantIbLb1EES17_IbLb0EEEEDaS13_S14_EUlS13_E_NS1_11comp_targetILNS1_3genE8ELNS1_11target_archE1030ELNS1_3gpuE2ELNS1_3repE0EEENS1_30default_config_static_selectorELNS0_4arch9wavefront6targetE0EEEvT1_.numbered_sgpr, 0
	.set _ZN7rocprim17ROCPRIM_400000_NS6detail17trampoline_kernelINS0_14default_configENS1_25partition_config_selectorILNS1_17partition_subalgoE6EtNS0_10empty_typeEbEEZZNS1_14partition_implILS5_6ELb0ES3_mN6thrust23THRUST_200600_302600_NS6detail15normal_iteratorINSA_10device_ptrItEEEEPS6_SG_NS0_5tupleIJSF_S6_EEENSH_IJSG_SG_EEES6_PlJNSB_9not_fun_tI7is_trueItEEEEEE10hipError_tPvRmT3_T4_T5_T6_T7_T9_mT8_P12ihipStream_tbDpT10_ENKUlT_T0_E_clISt17integral_constantIbLb1EES17_IbLb0EEEEDaS13_S14_EUlS13_E_NS1_11comp_targetILNS1_3genE8ELNS1_11target_archE1030ELNS1_3gpuE2ELNS1_3repE0EEENS1_30default_config_static_selectorELNS0_4arch9wavefront6targetE0EEEvT1_.num_named_barrier, 0
	.set _ZN7rocprim17ROCPRIM_400000_NS6detail17trampoline_kernelINS0_14default_configENS1_25partition_config_selectorILNS1_17partition_subalgoE6EtNS0_10empty_typeEbEEZZNS1_14partition_implILS5_6ELb0ES3_mN6thrust23THRUST_200600_302600_NS6detail15normal_iteratorINSA_10device_ptrItEEEEPS6_SG_NS0_5tupleIJSF_S6_EEENSH_IJSG_SG_EEES6_PlJNSB_9not_fun_tI7is_trueItEEEEEE10hipError_tPvRmT3_T4_T5_T6_T7_T9_mT8_P12ihipStream_tbDpT10_ENKUlT_T0_E_clISt17integral_constantIbLb1EES17_IbLb0EEEEDaS13_S14_EUlS13_E_NS1_11comp_targetILNS1_3genE8ELNS1_11target_archE1030ELNS1_3gpuE2ELNS1_3repE0EEENS1_30default_config_static_selectorELNS0_4arch9wavefront6targetE0EEEvT1_.private_seg_size, 0
	.set _ZN7rocprim17ROCPRIM_400000_NS6detail17trampoline_kernelINS0_14default_configENS1_25partition_config_selectorILNS1_17partition_subalgoE6EtNS0_10empty_typeEbEEZZNS1_14partition_implILS5_6ELb0ES3_mN6thrust23THRUST_200600_302600_NS6detail15normal_iteratorINSA_10device_ptrItEEEEPS6_SG_NS0_5tupleIJSF_S6_EEENSH_IJSG_SG_EEES6_PlJNSB_9not_fun_tI7is_trueItEEEEEE10hipError_tPvRmT3_T4_T5_T6_T7_T9_mT8_P12ihipStream_tbDpT10_ENKUlT_T0_E_clISt17integral_constantIbLb1EES17_IbLb0EEEEDaS13_S14_EUlS13_E_NS1_11comp_targetILNS1_3genE8ELNS1_11target_archE1030ELNS1_3gpuE2ELNS1_3repE0EEENS1_30default_config_static_selectorELNS0_4arch9wavefront6targetE0EEEvT1_.uses_vcc, 0
	.set _ZN7rocprim17ROCPRIM_400000_NS6detail17trampoline_kernelINS0_14default_configENS1_25partition_config_selectorILNS1_17partition_subalgoE6EtNS0_10empty_typeEbEEZZNS1_14partition_implILS5_6ELb0ES3_mN6thrust23THRUST_200600_302600_NS6detail15normal_iteratorINSA_10device_ptrItEEEEPS6_SG_NS0_5tupleIJSF_S6_EEENSH_IJSG_SG_EEES6_PlJNSB_9not_fun_tI7is_trueItEEEEEE10hipError_tPvRmT3_T4_T5_T6_T7_T9_mT8_P12ihipStream_tbDpT10_ENKUlT_T0_E_clISt17integral_constantIbLb1EES17_IbLb0EEEEDaS13_S14_EUlS13_E_NS1_11comp_targetILNS1_3genE8ELNS1_11target_archE1030ELNS1_3gpuE2ELNS1_3repE0EEENS1_30default_config_static_selectorELNS0_4arch9wavefront6targetE0EEEvT1_.uses_flat_scratch, 0
	.set _ZN7rocprim17ROCPRIM_400000_NS6detail17trampoline_kernelINS0_14default_configENS1_25partition_config_selectorILNS1_17partition_subalgoE6EtNS0_10empty_typeEbEEZZNS1_14partition_implILS5_6ELb0ES3_mN6thrust23THRUST_200600_302600_NS6detail15normal_iteratorINSA_10device_ptrItEEEEPS6_SG_NS0_5tupleIJSF_S6_EEENSH_IJSG_SG_EEES6_PlJNSB_9not_fun_tI7is_trueItEEEEEE10hipError_tPvRmT3_T4_T5_T6_T7_T9_mT8_P12ihipStream_tbDpT10_ENKUlT_T0_E_clISt17integral_constantIbLb1EES17_IbLb0EEEEDaS13_S14_EUlS13_E_NS1_11comp_targetILNS1_3genE8ELNS1_11target_archE1030ELNS1_3gpuE2ELNS1_3repE0EEENS1_30default_config_static_selectorELNS0_4arch9wavefront6targetE0EEEvT1_.has_dyn_sized_stack, 0
	.set _ZN7rocprim17ROCPRIM_400000_NS6detail17trampoline_kernelINS0_14default_configENS1_25partition_config_selectorILNS1_17partition_subalgoE6EtNS0_10empty_typeEbEEZZNS1_14partition_implILS5_6ELb0ES3_mN6thrust23THRUST_200600_302600_NS6detail15normal_iteratorINSA_10device_ptrItEEEEPS6_SG_NS0_5tupleIJSF_S6_EEENSH_IJSG_SG_EEES6_PlJNSB_9not_fun_tI7is_trueItEEEEEE10hipError_tPvRmT3_T4_T5_T6_T7_T9_mT8_P12ihipStream_tbDpT10_ENKUlT_T0_E_clISt17integral_constantIbLb1EES17_IbLb0EEEEDaS13_S14_EUlS13_E_NS1_11comp_targetILNS1_3genE8ELNS1_11target_archE1030ELNS1_3gpuE2ELNS1_3repE0EEENS1_30default_config_static_selectorELNS0_4arch9wavefront6targetE0EEEvT1_.has_recursion, 0
	.set _ZN7rocprim17ROCPRIM_400000_NS6detail17trampoline_kernelINS0_14default_configENS1_25partition_config_selectorILNS1_17partition_subalgoE6EtNS0_10empty_typeEbEEZZNS1_14partition_implILS5_6ELb0ES3_mN6thrust23THRUST_200600_302600_NS6detail15normal_iteratorINSA_10device_ptrItEEEEPS6_SG_NS0_5tupleIJSF_S6_EEENSH_IJSG_SG_EEES6_PlJNSB_9not_fun_tI7is_trueItEEEEEE10hipError_tPvRmT3_T4_T5_T6_T7_T9_mT8_P12ihipStream_tbDpT10_ENKUlT_T0_E_clISt17integral_constantIbLb1EES17_IbLb0EEEEDaS13_S14_EUlS13_E_NS1_11comp_targetILNS1_3genE8ELNS1_11target_archE1030ELNS1_3gpuE2ELNS1_3repE0EEENS1_30default_config_static_selectorELNS0_4arch9wavefront6targetE0EEEvT1_.has_indirect_call, 0
	.section	.AMDGPU.csdata,"",@progbits
; Kernel info:
; codeLenInByte = 0
; TotalNumSgprs: 0
; NumVgprs: 0
; ScratchSize: 0
; MemoryBound: 0
; FloatMode: 240
; IeeeMode: 1
; LDSByteSize: 0 bytes/workgroup (compile time only)
; SGPRBlocks: 0
; VGPRBlocks: 0
; NumSGPRsForWavesPerEU: 1
; NumVGPRsForWavesPerEU: 1
; Occupancy: 16
; WaveLimiterHint : 0
; COMPUTE_PGM_RSRC2:SCRATCH_EN: 0
; COMPUTE_PGM_RSRC2:USER_SGPR: 2
; COMPUTE_PGM_RSRC2:TRAP_HANDLER: 0
; COMPUTE_PGM_RSRC2:TGID_X_EN: 1
; COMPUTE_PGM_RSRC2:TGID_Y_EN: 0
; COMPUTE_PGM_RSRC2:TGID_Z_EN: 0
; COMPUTE_PGM_RSRC2:TIDIG_COMP_CNT: 0
	.section	.text._ZN7rocprim17ROCPRIM_400000_NS6detail17trampoline_kernelINS0_14default_configENS1_25partition_config_selectorILNS1_17partition_subalgoE6EtNS0_10empty_typeEbEEZZNS1_14partition_implILS5_6ELb0ES3_mN6thrust23THRUST_200600_302600_NS6detail15normal_iteratorINSA_10device_ptrItEEEEPS6_SG_NS0_5tupleIJSF_S6_EEENSH_IJSG_SG_EEES6_PlJNSB_9not_fun_tI7is_trueItEEEEEE10hipError_tPvRmT3_T4_T5_T6_T7_T9_mT8_P12ihipStream_tbDpT10_ENKUlT_T0_E_clISt17integral_constantIbLb0EES17_IbLb1EEEEDaS13_S14_EUlS13_E_NS1_11comp_targetILNS1_3genE0ELNS1_11target_archE4294967295ELNS1_3gpuE0ELNS1_3repE0EEENS1_30default_config_static_selectorELNS0_4arch9wavefront6targetE0EEEvT1_,"axG",@progbits,_ZN7rocprim17ROCPRIM_400000_NS6detail17trampoline_kernelINS0_14default_configENS1_25partition_config_selectorILNS1_17partition_subalgoE6EtNS0_10empty_typeEbEEZZNS1_14partition_implILS5_6ELb0ES3_mN6thrust23THRUST_200600_302600_NS6detail15normal_iteratorINSA_10device_ptrItEEEEPS6_SG_NS0_5tupleIJSF_S6_EEENSH_IJSG_SG_EEES6_PlJNSB_9not_fun_tI7is_trueItEEEEEE10hipError_tPvRmT3_T4_T5_T6_T7_T9_mT8_P12ihipStream_tbDpT10_ENKUlT_T0_E_clISt17integral_constantIbLb0EES17_IbLb1EEEEDaS13_S14_EUlS13_E_NS1_11comp_targetILNS1_3genE0ELNS1_11target_archE4294967295ELNS1_3gpuE0ELNS1_3repE0EEENS1_30default_config_static_selectorELNS0_4arch9wavefront6targetE0EEEvT1_,comdat
	.protected	_ZN7rocprim17ROCPRIM_400000_NS6detail17trampoline_kernelINS0_14default_configENS1_25partition_config_selectorILNS1_17partition_subalgoE6EtNS0_10empty_typeEbEEZZNS1_14partition_implILS5_6ELb0ES3_mN6thrust23THRUST_200600_302600_NS6detail15normal_iteratorINSA_10device_ptrItEEEEPS6_SG_NS0_5tupleIJSF_S6_EEENSH_IJSG_SG_EEES6_PlJNSB_9not_fun_tI7is_trueItEEEEEE10hipError_tPvRmT3_T4_T5_T6_T7_T9_mT8_P12ihipStream_tbDpT10_ENKUlT_T0_E_clISt17integral_constantIbLb0EES17_IbLb1EEEEDaS13_S14_EUlS13_E_NS1_11comp_targetILNS1_3genE0ELNS1_11target_archE4294967295ELNS1_3gpuE0ELNS1_3repE0EEENS1_30default_config_static_selectorELNS0_4arch9wavefront6targetE0EEEvT1_ ; -- Begin function _ZN7rocprim17ROCPRIM_400000_NS6detail17trampoline_kernelINS0_14default_configENS1_25partition_config_selectorILNS1_17partition_subalgoE6EtNS0_10empty_typeEbEEZZNS1_14partition_implILS5_6ELb0ES3_mN6thrust23THRUST_200600_302600_NS6detail15normal_iteratorINSA_10device_ptrItEEEEPS6_SG_NS0_5tupleIJSF_S6_EEENSH_IJSG_SG_EEES6_PlJNSB_9not_fun_tI7is_trueItEEEEEE10hipError_tPvRmT3_T4_T5_T6_T7_T9_mT8_P12ihipStream_tbDpT10_ENKUlT_T0_E_clISt17integral_constantIbLb0EES17_IbLb1EEEEDaS13_S14_EUlS13_E_NS1_11comp_targetILNS1_3genE0ELNS1_11target_archE4294967295ELNS1_3gpuE0ELNS1_3repE0EEENS1_30default_config_static_selectorELNS0_4arch9wavefront6targetE0EEEvT1_
	.globl	_ZN7rocprim17ROCPRIM_400000_NS6detail17trampoline_kernelINS0_14default_configENS1_25partition_config_selectorILNS1_17partition_subalgoE6EtNS0_10empty_typeEbEEZZNS1_14partition_implILS5_6ELb0ES3_mN6thrust23THRUST_200600_302600_NS6detail15normal_iteratorINSA_10device_ptrItEEEEPS6_SG_NS0_5tupleIJSF_S6_EEENSH_IJSG_SG_EEES6_PlJNSB_9not_fun_tI7is_trueItEEEEEE10hipError_tPvRmT3_T4_T5_T6_T7_T9_mT8_P12ihipStream_tbDpT10_ENKUlT_T0_E_clISt17integral_constantIbLb0EES17_IbLb1EEEEDaS13_S14_EUlS13_E_NS1_11comp_targetILNS1_3genE0ELNS1_11target_archE4294967295ELNS1_3gpuE0ELNS1_3repE0EEENS1_30default_config_static_selectorELNS0_4arch9wavefront6targetE0EEEvT1_
	.p2align	8
	.type	_ZN7rocprim17ROCPRIM_400000_NS6detail17trampoline_kernelINS0_14default_configENS1_25partition_config_selectorILNS1_17partition_subalgoE6EtNS0_10empty_typeEbEEZZNS1_14partition_implILS5_6ELb0ES3_mN6thrust23THRUST_200600_302600_NS6detail15normal_iteratorINSA_10device_ptrItEEEEPS6_SG_NS0_5tupleIJSF_S6_EEENSH_IJSG_SG_EEES6_PlJNSB_9not_fun_tI7is_trueItEEEEEE10hipError_tPvRmT3_T4_T5_T6_T7_T9_mT8_P12ihipStream_tbDpT10_ENKUlT_T0_E_clISt17integral_constantIbLb0EES17_IbLb1EEEEDaS13_S14_EUlS13_E_NS1_11comp_targetILNS1_3genE0ELNS1_11target_archE4294967295ELNS1_3gpuE0ELNS1_3repE0EEENS1_30default_config_static_selectorELNS0_4arch9wavefront6targetE0EEEvT1_,@function
_ZN7rocprim17ROCPRIM_400000_NS6detail17trampoline_kernelINS0_14default_configENS1_25partition_config_selectorILNS1_17partition_subalgoE6EtNS0_10empty_typeEbEEZZNS1_14partition_implILS5_6ELb0ES3_mN6thrust23THRUST_200600_302600_NS6detail15normal_iteratorINSA_10device_ptrItEEEEPS6_SG_NS0_5tupleIJSF_S6_EEENSH_IJSG_SG_EEES6_PlJNSB_9not_fun_tI7is_trueItEEEEEE10hipError_tPvRmT3_T4_T5_T6_T7_T9_mT8_P12ihipStream_tbDpT10_ENKUlT_T0_E_clISt17integral_constantIbLb0EES17_IbLb1EEEEDaS13_S14_EUlS13_E_NS1_11comp_targetILNS1_3genE0ELNS1_11target_archE4294967295ELNS1_3gpuE0ELNS1_3repE0EEENS1_30default_config_static_selectorELNS0_4arch9wavefront6targetE0EEEvT1_: ; @_ZN7rocprim17ROCPRIM_400000_NS6detail17trampoline_kernelINS0_14default_configENS1_25partition_config_selectorILNS1_17partition_subalgoE6EtNS0_10empty_typeEbEEZZNS1_14partition_implILS5_6ELb0ES3_mN6thrust23THRUST_200600_302600_NS6detail15normal_iteratorINSA_10device_ptrItEEEEPS6_SG_NS0_5tupleIJSF_S6_EEENSH_IJSG_SG_EEES6_PlJNSB_9not_fun_tI7is_trueItEEEEEE10hipError_tPvRmT3_T4_T5_T6_T7_T9_mT8_P12ihipStream_tbDpT10_ENKUlT_T0_E_clISt17integral_constantIbLb0EES17_IbLb1EEEEDaS13_S14_EUlS13_E_NS1_11comp_targetILNS1_3genE0ELNS1_11target_archE4294967295ELNS1_3gpuE0ELNS1_3repE0EEENS1_30default_config_static_selectorELNS0_4arch9wavefront6targetE0EEEvT1_
; %bb.0:
	.section	.rodata,"a",@progbits
	.p2align	6, 0x0
	.amdhsa_kernel _ZN7rocprim17ROCPRIM_400000_NS6detail17trampoline_kernelINS0_14default_configENS1_25partition_config_selectorILNS1_17partition_subalgoE6EtNS0_10empty_typeEbEEZZNS1_14partition_implILS5_6ELb0ES3_mN6thrust23THRUST_200600_302600_NS6detail15normal_iteratorINSA_10device_ptrItEEEEPS6_SG_NS0_5tupleIJSF_S6_EEENSH_IJSG_SG_EEES6_PlJNSB_9not_fun_tI7is_trueItEEEEEE10hipError_tPvRmT3_T4_T5_T6_T7_T9_mT8_P12ihipStream_tbDpT10_ENKUlT_T0_E_clISt17integral_constantIbLb0EES17_IbLb1EEEEDaS13_S14_EUlS13_E_NS1_11comp_targetILNS1_3genE0ELNS1_11target_archE4294967295ELNS1_3gpuE0ELNS1_3repE0EEENS1_30default_config_static_selectorELNS0_4arch9wavefront6targetE0EEEvT1_
		.amdhsa_group_segment_fixed_size 0
		.amdhsa_private_segment_fixed_size 0
		.amdhsa_kernarg_size 128
		.amdhsa_user_sgpr_count 2
		.amdhsa_user_sgpr_dispatch_ptr 0
		.amdhsa_user_sgpr_queue_ptr 0
		.amdhsa_user_sgpr_kernarg_segment_ptr 1
		.amdhsa_user_sgpr_dispatch_id 0
		.amdhsa_user_sgpr_private_segment_size 0
		.amdhsa_wavefront_size32 1
		.amdhsa_uses_dynamic_stack 0
		.amdhsa_enable_private_segment 0
		.amdhsa_system_sgpr_workgroup_id_x 1
		.amdhsa_system_sgpr_workgroup_id_y 0
		.amdhsa_system_sgpr_workgroup_id_z 0
		.amdhsa_system_sgpr_workgroup_info 0
		.amdhsa_system_vgpr_workitem_id 0
		.amdhsa_next_free_vgpr 1
		.amdhsa_next_free_sgpr 1
		.amdhsa_reserve_vcc 0
		.amdhsa_float_round_mode_32 0
		.amdhsa_float_round_mode_16_64 0
		.amdhsa_float_denorm_mode_32 3
		.amdhsa_float_denorm_mode_16_64 3
		.amdhsa_fp16_overflow 0
		.amdhsa_workgroup_processor_mode 1
		.amdhsa_memory_ordered 1
		.amdhsa_forward_progress 1
		.amdhsa_inst_pref_size 0
		.amdhsa_round_robin_scheduling 0
		.amdhsa_exception_fp_ieee_invalid_op 0
		.amdhsa_exception_fp_denorm_src 0
		.amdhsa_exception_fp_ieee_div_zero 0
		.amdhsa_exception_fp_ieee_overflow 0
		.amdhsa_exception_fp_ieee_underflow 0
		.amdhsa_exception_fp_ieee_inexact 0
		.amdhsa_exception_int_div_zero 0
	.end_amdhsa_kernel
	.section	.text._ZN7rocprim17ROCPRIM_400000_NS6detail17trampoline_kernelINS0_14default_configENS1_25partition_config_selectorILNS1_17partition_subalgoE6EtNS0_10empty_typeEbEEZZNS1_14partition_implILS5_6ELb0ES3_mN6thrust23THRUST_200600_302600_NS6detail15normal_iteratorINSA_10device_ptrItEEEEPS6_SG_NS0_5tupleIJSF_S6_EEENSH_IJSG_SG_EEES6_PlJNSB_9not_fun_tI7is_trueItEEEEEE10hipError_tPvRmT3_T4_T5_T6_T7_T9_mT8_P12ihipStream_tbDpT10_ENKUlT_T0_E_clISt17integral_constantIbLb0EES17_IbLb1EEEEDaS13_S14_EUlS13_E_NS1_11comp_targetILNS1_3genE0ELNS1_11target_archE4294967295ELNS1_3gpuE0ELNS1_3repE0EEENS1_30default_config_static_selectorELNS0_4arch9wavefront6targetE0EEEvT1_,"axG",@progbits,_ZN7rocprim17ROCPRIM_400000_NS6detail17trampoline_kernelINS0_14default_configENS1_25partition_config_selectorILNS1_17partition_subalgoE6EtNS0_10empty_typeEbEEZZNS1_14partition_implILS5_6ELb0ES3_mN6thrust23THRUST_200600_302600_NS6detail15normal_iteratorINSA_10device_ptrItEEEEPS6_SG_NS0_5tupleIJSF_S6_EEENSH_IJSG_SG_EEES6_PlJNSB_9not_fun_tI7is_trueItEEEEEE10hipError_tPvRmT3_T4_T5_T6_T7_T9_mT8_P12ihipStream_tbDpT10_ENKUlT_T0_E_clISt17integral_constantIbLb0EES17_IbLb1EEEEDaS13_S14_EUlS13_E_NS1_11comp_targetILNS1_3genE0ELNS1_11target_archE4294967295ELNS1_3gpuE0ELNS1_3repE0EEENS1_30default_config_static_selectorELNS0_4arch9wavefront6targetE0EEEvT1_,comdat
.Lfunc_end1197:
	.size	_ZN7rocprim17ROCPRIM_400000_NS6detail17trampoline_kernelINS0_14default_configENS1_25partition_config_selectorILNS1_17partition_subalgoE6EtNS0_10empty_typeEbEEZZNS1_14partition_implILS5_6ELb0ES3_mN6thrust23THRUST_200600_302600_NS6detail15normal_iteratorINSA_10device_ptrItEEEEPS6_SG_NS0_5tupleIJSF_S6_EEENSH_IJSG_SG_EEES6_PlJNSB_9not_fun_tI7is_trueItEEEEEE10hipError_tPvRmT3_T4_T5_T6_T7_T9_mT8_P12ihipStream_tbDpT10_ENKUlT_T0_E_clISt17integral_constantIbLb0EES17_IbLb1EEEEDaS13_S14_EUlS13_E_NS1_11comp_targetILNS1_3genE0ELNS1_11target_archE4294967295ELNS1_3gpuE0ELNS1_3repE0EEENS1_30default_config_static_selectorELNS0_4arch9wavefront6targetE0EEEvT1_, .Lfunc_end1197-_ZN7rocprim17ROCPRIM_400000_NS6detail17trampoline_kernelINS0_14default_configENS1_25partition_config_selectorILNS1_17partition_subalgoE6EtNS0_10empty_typeEbEEZZNS1_14partition_implILS5_6ELb0ES3_mN6thrust23THRUST_200600_302600_NS6detail15normal_iteratorINSA_10device_ptrItEEEEPS6_SG_NS0_5tupleIJSF_S6_EEENSH_IJSG_SG_EEES6_PlJNSB_9not_fun_tI7is_trueItEEEEEE10hipError_tPvRmT3_T4_T5_T6_T7_T9_mT8_P12ihipStream_tbDpT10_ENKUlT_T0_E_clISt17integral_constantIbLb0EES17_IbLb1EEEEDaS13_S14_EUlS13_E_NS1_11comp_targetILNS1_3genE0ELNS1_11target_archE4294967295ELNS1_3gpuE0ELNS1_3repE0EEENS1_30default_config_static_selectorELNS0_4arch9wavefront6targetE0EEEvT1_
                                        ; -- End function
	.set _ZN7rocprim17ROCPRIM_400000_NS6detail17trampoline_kernelINS0_14default_configENS1_25partition_config_selectorILNS1_17partition_subalgoE6EtNS0_10empty_typeEbEEZZNS1_14partition_implILS5_6ELb0ES3_mN6thrust23THRUST_200600_302600_NS6detail15normal_iteratorINSA_10device_ptrItEEEEPS6_SG_NS0_5tupleIJSF_S6_EEENSH_IJSG_SG_EEES6_PlJNSB_9not_fun_tI7is_trueItEEEEEE10hipError_tPvRmT3_T4_T5_T6_T7_T9_mT8_P12ihipStream_tbDpT10_ENKUlT_T0_E_clISt17integral_constantIbLb0EES17_IbLb1EEEEDaS13_S14_EUlS13_E_NS1_11comp_targetILNS1_3genE0ELNS1_11target_archE4294967295ELNS1_3gpuE0ELNS1_3repE0EEENS1_30default_config_static_selectorELNS0_4arch9wavefront6targetE0EEEvT1_.num_vgpr, 0
	.set _ZN7rocprim17ROCPRIM_400000_NS6detail17trampoline_kernelINS0_14default_configENS1_25partition_config_selectorILNS1_17partition_subalgoE6EtNS0_10empty_typeEbEEZZNS1_14partition_implILS5_6ELb0ES3_mN6thrust23THRUST_200600_302600_NS6detail15normal_iteratorINSA_10device_ptrItEEEEPS6_SG_NS0_5tupleIJSF_S6_EEENSH_IJSG_SG_EEES6_PlJNSB_9not_fun_tI7is_trueItEEEEEE10hipError_tPvRmT3_T4_T5_T6_T7_T9_mT8_P12ihipStream_tbDpT10_ENKUlT_T0_E_clISt17integral_constantIbLb0EES17_IbLb1EEEEDaS13_S14_EUlS13_E_NS1_11comp_targetILNS1_3genE0ELNS1_11target_archE4294967295ELNS1_3gpuE0ELNS1_3repE0EEENS1_30default_config_static_selectorELNS0_4arch9wavefront6targetE0EEEvT1_.num_agpr, 0
	.set _ZN7rocprim17ROCPRIM_400000_NS6detail17trampoline_kernelINS0_14default_configENS1_25partition_config_selectorILNS1_17partition_subalgoE6EtNS0_10empty_typeEbEEZZNS1_14partition_implILS5_6ELb0ES3_mN6thrust23THRUST_200600_302600_NS6detail15normal_iteratorINSA_10device_ptrItEEEEPS6_SG_NS0_5tupleIJSF_S6_EEENSH_IJSG_SG_EEES6_PlJNSB_9not_fun_tI7is_trueItEEEEEE10hipError_tPvRmT3_T4_T5_T6_T7_T9_mT8_P12ihipStream_tbDpT10_ENKUlT_T0_E_clISt17integral_constantIbLb0EES17_IbLb1EEEEDaS13_S14_EUlS13_E_NS1_11comp_targetILNS1_3genE0ELNS1_11target_archE4294967295ELNS1_3gpuE0ELNS1_3repE0EEENS1_30default_config_static_selectorELNS0_4arch9wavefront6targetE0EEEvT1_.numbered_sgpr, 0
	.set _ZN7rocprim17ROCPRIM_400000_NS6detail17trampoline_kernelINS0_14default_configENS1_25partition_config_selectorILNS1_17partition_subalgoE6EtNS0_10empty_typeEbEEZZNS1_14partition_implILS5_6ELb0ES3_mN6thrust23THRUST_200600_302600_NS6detail15normal_iteratorINSA_10device_ptrItEEEEPS6_SG_NS0_5tupleIJSF_S6_EEENSH_IJSG_SG_EEES6_PlJNSB_9not_fun_tI7is_trueItEEEEEE10hipError_tPvRmT3_T4_T5_T6_T7_T9_mT8_P12ihipStream_tbDpT10_ENKUlT_T0_E_clISt17integral_constantIbLb0EES17_IbLb1EEEEDaS13_S14_EUlS13_E_NS1_11comp_targetILNS1_3genE0ELNS1_11target_archE4294967295ELNS1_3gpuE0ELNS1_3repE0EEENS1_30default_config_static_selectorELNS0_4arch9wavefront6targetE0EEEvT1_.num_named_barrier, 0
	.set _ZN7rocprim17ROCPRIM_400000_NS6detail17trampoline_kernelINS0_14default_configENS1_25partition_config_selectorILNS1_17partition_subalgoE6EtNS0_10empty_typeEbEEZZNS1_14partition_implILS5_6ELb0ES3_mN6thrust23THRUST_200600_302600_NS6detail15normal_iteratorINSA_10device_ptrItEEEEPS6_SG_NS0_5tupleIJSF_S6_EEENSH_IJSG_SG_EEES6_PlJNSB_9not_fun_tI7is_trueItEEEEEE10hipError_tPvRmT3_T4_T5_T6_T7_T9_mT8_P12ihipStream_tbDpT10_ENKUlT_T0_E_clISt17integral_constantIbLb0EES17_IbLb1EEEEDaS13_S14_EUlS13_E_NS1_11comp_targetILNS1_3genE0ELNS1_11target_archE4294967295ELNS1_3gpuE0ELNS1_3repE0EEENS1_30default_config_static_selectorELNS0_4arch9wavefront6targetE0EEEvT1_.private_seg_size, 0
	.set _ZN7rocprim17ROCPRIM_400000_NS6detail17trampoline_kernelINS0_14default_configENS1_25partition_config_selectorILNS1_17partition_subalgoE6EtNS0_10empty_typeEbEEZZNS1_14partition_implILS5_6ELb0ES3_mN6thrust23THRUST_200600_302600_NS6detail15normal_iteratorINSA_10device_ptrItEEEEPS6_SG_NS0_5tupleIJSF_S6_EEENSH_IJSG_SG_EEES6_PlJNSB_9not_fun_tI7is_trueItEEEEEE10hipError_tPvRmT3_T4_T5_T6_T7_T9_mT8_P12ihipStream_tbDpT10_ENKUlT_T0_E_clISt17integral_constantIbLb0EES17_IbLb1EEEEDaS13_S14_EUlS13_E_NS1_11comp_targetILNS1_3genE0ELNS1_11target_archE4294967295ELNS1_3gpuE0ELNS1_3repE0EEENS1_30default_config_static_selectorELNS0_4arch9wavefront6targetE0EEEvT1_.uses_vcc, 0
	.set _ZN7rocprim17ROCPRIM_400000_NS6detail17trampoline_kernelINS0_14default_configENS1_25partition_config_selectorILNS1_17partition_subalgoE6EtNS0_10empty_typeEbEEZZNS1_14partition_implILS5_6ELb0ES3_mN6thrust23THRUST_200600_302600_NS6detail15normal_iteratorINSA_10device_ptrItEEEEPS6_SG_NS0_5tupleIJSF_S6_EEENSH_IJSG_SG_EEES6_PlJNSB_9not_fun_tI7is_trueItEEEEEE10hipError_tPvRmT3_T4_T5_T6_T7_T9_mT8_P12ihipStream_tbDpT10_ENKUlT_T0_E_clISt17integral_constantIbLb0EES17_IbLb1EEEEDaS13_S14_EUlS13_E_NS1_11comp_targetILNS1_3genE0ELNS1_11target_archE4294967295ELNS1_3gpuE0ELNS1_3repE0EEENS1_30default_config_static_selectorELNS0_4arch9wavefront6targetE0EEEvT1_.uses_flat_scratch, 0
	.set _ZN7rocprim17ROCPRIM_400000_NS6detail17trampoline_kernelINS0_14default_configENS1_25partition_config_selectorILNS1_17partition_subalgoE6EtNS0_10empty_typeEbEEZZNS1_14partition_implILS5_6ELb0ES3_mN6thrust23THRUST_200600_302600_NS6detail15normal_iteratorINSA_10device_ptrItEEEEPS6_SG_NS0_5tupleIJSF_S6_EEENSH_IJSG_SG_EEES6_PlJNSB_9not_fun_tI7is_trueItEEEEEE10hipError_tPvRmT3_T4_T5_T6_T7_T9_mT8_P12ihipStream_tbDpT10_ENKUlT_T0_E_clISt17integral_constantIbLb0EES17_IbLb1EEEEDaS13_S14_EUlS13_E_NS1_11comp_targetILNS1_3genE0ELNS1_11target_archE4294967295ELNS1_3gpuE0ELNS1_3repE0EEENS1_30default_config_static_selectorELNS0_4arch9wavefront6targetE0EEEvT1_.has_dyn_sized_stack, 0
	.set _ZN7rocprim17ROCPRIM_400000_NS6detail17trampoline_kernelINS0_14default_configENS1_25partition_config_selectorILNS1_17partition_subalgoE6EtNS0_10empty_typeEbEEZZNS1_14partition_implILS5_6ELb0ES3_mN6thrust23THRUST_200600_302600_NS6detail15normal_iteratorINSA_10device_ptrItEEEEPS6_SG_NS0_5tupleIJSF_S6_EEENSH_IJSG_SG_EEES6_PlJNSB_9not_fun_tI7is_trueItEEEEEE10hipError_tPvRmT3_T4_T5_T6_T7_T9_mT8_P12ihipStream_tbDpT10_ENKUlT_T0_E_clISt17integral_constantIbLb0EES17_IbLb1EEEEDaS13_S14_EUlS13_E_NS1_11comp_targetILNS1_3genE0ELNS1_11target_archE4294967295ELNS1_3gpuE0ELNS1_3repE0EEENS1_30default_config_static_selectorELNS0_4arch9wavefront6targetE0EEEvT1_.has_recursion, 0
	.set _ZN7rocprim17ROCPRIM_400000_NS6detail17trampoline_kernelINS0_14default_configENS1_25partition_config_selectorILNS1_17partition_subalgoE6EtNS0_10empty_typeEbEEZZNS1_14partition_implILS5_6ELb0ES3_mN6thrust23THRUST_200600_302600_NS6detail15normal_iteratorINSA_10device_ptrItEEEEPS6_SG_NS0_5tupleIJSF_S6_EEENSH_IJSG_SG_EEES6_PlJNSB_9not_fun_tI7is_trueItEEEEEE10hipError_tPvRmT3_T4_T5_T6_T7_T9_mT8_P12ihipStream_tbDpT10_ENKUlT_T0_E_clISt17integral_constantIbLb0EES17_IbLb1EEEEDaS13_S14_EUlS13_E_NS1_11comp_targetILNS1_3genE0ELNS1_11target_archE4294967295ELNS1_3gpuE0ELNS1_3repE0EEENS1_30default_config_static_selectorELNS0_4arch9wavefront6targetE0EEEvT1_.has_indirect_call, 0
	.section	.AMDGPU.csdata,"",@progbits
; Kernel info:
; codeLenInByte = 0
; TotalNumSgprs: 0
; NumVgprs: 0
; ScratchSize: 0
; MemoryBound: 0
; FloatMode: 240
; IeeeMode: 1
; LDSByteSize: 0 bytes/workgroup (compile time only)
; SGPRBlocks: 0
; VGPRBlocks: 0
; NumSGPRsForWavesPerEU: 1
; NumVGPRsForWavesPerEU: 1
; Occupancy: 16
; WaveLimiterHint : 0
; COMPUTE_PGM_RSRC2:SCRATCH_EN: 0
; COMPUTE_PGM_RSRC2:USER_SGPR: 2
; COMPUTE_PGM_RSRC2:TRAP_HANDLER: 0
; COMPUTE_PGM_RSRC2:TGID_X_EN: 1
; COMPUTE_PGM_RSRC2:TGID_Y_EN: 0
; COMPUTE_PGM_RSRC2:TGID_Z_EN: 0
; COMPUTE_PGM_RSRC2:TIDIG_COMP_CNT: 0
	.section	.text._ZN7rocprim17ROCPRIM_400000_NS6detail17trampoline_kernelINS0_14default_configENS1_25partition_config_selectorILNS1_17partition_subalgoE6EtNS0_10empty_typeEbEEZZNS1_14partition_implILS5_6ELb0ES3_mN6thrust23THRUST_200600_302600_NS6detail15normal_iteratorINSA_10device_ptrItEEEEPS6_SG_NS0_5tupleIJSF_S6_EEENSH_IJSG_SG_EEES6_PlJNSB_9not_fun_tI7is_trueItEEEEEE10hipError_tPvRmT3_T4_T5_T6_T7_T9_mT8_P12ihipStream_tbDpT10_ENKUlT_T0_E_clISt17integral_constantIbLb0EES17_IbLb1EEEEDaS13_S14_EUlS13_E_NS1_11comp_targetILNS1_3genE5ELNS1_11target_archE942ELNS1_3gpuE9ELNS1_3repE0EEENS1_30default_config_static_selectorELNS0_4arch9wavefront6targetE0EEEvT1_,"axG",@progbits,_ZN7rocprim17ROCPRIM_400000_NS6detail17trampoline_kernelINS0_14default_configENS1_25partition_config_selectorILNS1_17partition_subalgoE6EtNS0_10empty_typeEbEEZZNS1_14partition_implILS5_6ELb0ES3_mN6thrust23THRUST_200600_302600_NS6detail15normal_iteratorINSA_10device_ptrItEEEEPS6_SG_NS0_5tupleIJSF_S6_EEENSH_IJSG_SG_EEES6_PlJNSB_9not_fun_tI7is_trueItEEEEEE10hipError_tPvRmT3_T4_T5_T6_T7_T9_mT8_P12ihipStream_tbDpT10_ENKUlT_T0_E_clISt17integral_constantIbLb0EES17_IbLb1EEEEDaS13_S14_EUlS13_E_NS1_11comp_targetILNS1_3genE5ELNS1_11target_archE942ELNS1_3gpuE9ELNS1_3repE0EEENS1_30default_config_static_selectorELNS0_4arch9wavefront6targetE0EEEvT1_,comdat
	.protected	_ZN7rocprim17ROCPRIM_400000_NS6detail17trampoline_kernelINS0_14default_configENS1_25partition_config_selectorILNS1_17partition_subalgoE6EtNS0_10empty_typeEbEEZZNS1_14partition_implILS5_6ELb0ES3_mN6thrust23THRUST_200600_302600_NS6detail15normal_iteratorINSA_10device_ptrItEEEEPS6_SG_NS0_5tupleIJSF_S6_EEENSH_IJSG_SG_EEES6_PlJNSB_9not_fun_tI7is_trueItEEEEEE10hipError_tPvRmT3_T4_T5_T6_T7_T9_mT8_P12ihipStream_tbDpT10_ENKUlT_T0_E_clISt17integral_constantIbLb0EES17_IbLb1EEEEDaS13_S14_EUlS13_E_NS1_11comp_targetILNS1_3genE5ELNS1_11target_archE942ELNS1_3gpuE9ELNS1_3repE0EEENS1_30default_config_static_selectorELNS0_4arch9wavefront6targetE0EEEvT1_ ; -- Begin function _ZN7rocprim17ROCPRIM_400000_NS6detail17trampoline_kernelINS0_14default_configENS1_25partition_config_selectorILNS1_17partition_subalgoE6EtNS0_10empty_typeEbEEZZNS1_14partition_implILS5_6ELb0ES3_mN6thrust23THRUST_200600_302600_NS6detail15normal_iteratorINSA_10device_ptrItEEEEPS6_SG_NS0_5tupleIJSF_S6_EEENSH_IJSG_SG_EEES6_PlJNSB_9not_fun_tI7is_trueItEEEEEE10hipError_tPvRmT3_T4_T5_T6_T7_T9_mT8_P12ihipStream_tbDpT10_ENKUlT_T0_E_clISt17integral_constantIbLb0EES17_IbLb1EEEEDaS13_S14_EUlS13_E_NS1_11comp_targetILNS1_3genE5ELNS1_11target_archE942ELNS1_3gpuE9ELNS1_3repE0EEENS1_30default_config_static_selectorELNS0_4arch9wavefront6targetE0EEEvT1_
	.globl	_ZN7rocprim17ROCPRIM_400000_NS6detail17trampoline_kernelINS0_14default_configENS1_25partition_config_selectorILNS1_17partition_subalgoE6EtNS0_10empty_typeEbEEZZNS1_14partition_implILS5_6ELb0ES3_mN6thrust23THRUST_200600_302600_NS6detail15normal_iteratorINSA_10device_ptrItEEEEPS6_SG_NS0_5tupleIJSF_S6_EEENSH_IJSG_SG_EEES6_PlJNSB_9not_fun_tI7is_trueItEEEEEE10hipError_tPvRmT3_T4_T5_T6_T7_T9_mT8_P12ihipStream_tbDpT10_ENKUlT_T0_E_clISt17integral_constantIbLb0EES17_IbLb1EEEEDaS13_S14_EUlS13_E_NS1_11comp_targetILNS1_3genE5ELNS1_11target_archE942ELNS1_3gpuE9ELNS1_3repE0EEENS1_30default_config_static_selectorELNS0_4arch9wavefront6targetE0EEEvT1_
	.p2align	8
	.type	_ZN7rocprim17ROCPRIM_400000_NS6detail17trampoline_kernelINS0_14default_configENS1_25partition_config_selectorILNS1_17partition_subalgoE6EtNS0_10empty_typeEbEEZZNS1_14partition_implILS5_6ELb0ES3_mN6thrust23THRUST_200600_302600_NS6detail15normal_iteratorINSA_10device_ptrItEEEEPS6_SG_NS0_5tupleIJSF_S6_EEENSH_IJSG_SG_EEES6_PlJNSB_9not_fun_tI7is_trueItEEEEEE10hipError_tPvRmT3_T4_T5_T6_T7_T9_mT8_P12ihipStream_tbDpT10_ENKUlT_T0_E_clISt17integral_constantIbLb0EES17_IbLb1EEEEDaS13_S14_EUlS13_E_NS1_11comp_targetILNS1_3genE5ELNS1_11target_archE942ELNS1_3gpuE9ELNS1_3repE0EEENS1_30default_config_static_selectorELNS0_4arch9wavefront6targetE0EEEvT1_,@function
_ZN7rocprim17ROCPRIM_400000_NS6detail17trampoline_kernelINS0_14default_configENS1_25partition_config_selectorILNS1_17partition_subalgoE6EtNS0_10empty_typeEbEEZZNS1_14partition_implILS5_6ELb0ES3_mN6thrust23THRUST_200600_302600_NS6detail15normal_iteratorINSA_10device_ptrItEEEEPS6_SG_NS0_5tupleIJSF_S6_EEENSH_IJSG_SG_EEES6_PlJNSB_9not_fun_tI7is_trueItEEEEEE10hipError_tPvRmT3_T4_T5_T6_T7_T9_mT8_P12ihipStream_tbDpT10_ENKUlT_T0_E_clISt17integral_constantIbLb0EES17_IbLb1EEEEDaS13_S14_EUlS13_E_NS1_11comp_targetILNS1_3genE5ELNS1_11target_archE942ELNS1_3gpuE9ELNS1_3repE0EEENS1_30default_config_static_selectorELNS0_4arch9wavefront6targetE0EEEvT1_: ; @_ZN7rocprim17ROCPRIM_400000_NS6detail17trampoline_kernelINS0_14default_configENS1_25partition_config_selectorILNS1_17partition_subalgoE6EtNS0_10empty_typeEbEEZZNS1_14partition_implILS5_6ELb0ES3_mN6thrust23THRUST_200600_302600_NS6detail15normal_iteratorINSA_10device_ptrItEEEEPS6_SG_NS0_5tupleIJSF_S6_EEENSH_IJSG_SG_EEES6_PlJNSB_9not_fun_tI7is_trueItEEEEEE10hipError_tPvRmT3_T4_T5_T6_T7_T9_mT8_P12ihipStream_tbDpT10_ENKUlT_T0_E_clISt17integral_constantIbLb0EES17_IbLb1EEEEDaS13_S14_EUlS13_E_NS1_11comp_targetILNS1_3genE5ELNS1_11target_archE942ELNS1_3gpuE9ELNS1_3repE0EEENS1_30default_config_static_selectorELNS0_4arch9wavefront6targetE0EEEvT1_
; %bb.0:
	.section	.rodata,"a",@progbits
	.p2align	6, 0x0
	.amdhsa_kernel _ZN7rocprim17ROCPRIM_400000_NS6detail17trampoline_kernelINS0_14default_configENS1_25partition_config_selectorILNS1_17partition_subalgoE6EtNS0_10empty_typeEbEEZZNS1_14partition_implILS5_6ELb0ES3_mN6thrust23THRUST_200600_302600_NS6detail15normal_iteratorINSA_10device_ptrItEEEEPS6_SG_NS0_5tupleIJSF_S6_EEENSH_IJSG_SG_EEES6_PlJNSB_9not_fun_tI7is_trueItEEEEEE10hipError_tPvRmT3_T4_T5_T6_T7_T9_mT8_P12ihipStream_tbDpT10_ENKUlT_T0_E_clISt17integral_constantIbLb0EES17_IbLb1EEEEDaS13_S14_EUlS13_E_NS1_11comp_targetILNS1_3genE5ELNS1_11target_archE942ELNS1_3gpuE9ELNS1_3repE0EEENS1_30default_config_static_selectorELNS0_4arch9wavefront6targetE0EEEvT1_
		.amdhsa_group_segment_fixed_size 0
		.amdhsa_private_segment_fixed_size 0
		.amdhsa_kernarg_size 128
		.amdhsa_user_sgpr_count 2
		.amdhsa_user_sgpr_dispatch_ptr 0
		.amdhsa_user_sgpr_queue_ptr 0
		.amdhsa_user_sgpr_kernarg_segment_ptr 1
		.amdhsa_user_sgpr_dispatch_id 0
		.amdhsa_user_sgpr_private_segment_size 0
		.amdhsa_wavefront_size32 1
		.amdhsa_uses_dynamic_stack 0
		.amdhsa_enable_private_segment 0
		.amdhsa_system_sgpr_workgroup_id_x 1
		.amdhsa_system_sgpr_workgroup_id_y 0
		.amdhsa_system_sgpr_workgroup_id_z 0
		.amdhsa_system_sgpr_workgroup_info 0
		.amdhsa_system_vgpr_workitem_id 0
		.amdhsa_next_free_vgpr 1
		.amdhsa_next_free_sgpr 1
		.amdhsa_reserve_vcc 0
		.amdhsa_float_round_mode_32 0
		.amdhsa_float_round_mode_16_64 0
		.amdhsa_float_denorm_mode_32 3
		.amdhsa_float_denorm_mode_16_64 3
		.amdhsa_fp16_overflow 0
		.amdhsa_workgroup_processor_mode 1
		.amdhsa_memory_ordered 1
		.amdhsa_forward_progress 1
		.amdhsa_inst_pref_size 0
		.amdhsa_round_robin_scheduling 0
		.amdhsa_exception_fp_ieee_invalid_op 0
		.amdhsa_exception_fp_denorm_src 0
		.amdhsa_exception_fp_ieee_div_zero 0
		.amdhsa_exception_fp_ieee_overflow 0
		.amdhsa_exception_fp_ieee_underflow 0
		.amdhsa_exception_fp_ieee_inexact 0
		.amdhsa_exception_int_div_zero 0
	.end_amdhsa_kernel
	.section	.text._ZN7rocprim17ROCPRIM_400000_NS6detail17trampoline_kernelINS0_14default_configENS1_25partition_config_selectorILNS1_17partition_subalgoE6EtNS0_10empty_typeEbEEZZNS1_14partition_implILS5_6ELb0ES3_mN6thrust23THRUST_200600_302600_NS6detail15normal_iteratorINSA_10device_ptrItEEEEPS6_SG_NS0_5tupleIJSF_S6_EEENSH_IJSG_SG_EEES6_PlJNSB_9not_fun_tI7is_trueItEEEEEE10hipError_tPvRmT3_T4_T5_T6_T7_T9_mT8_P12ihipStream_tbDpT10_ENKUlT_T0_E_clISt17integral_constantIbLb0EES17_IbLb1EEEEDaS13_S14_EUlS13_E_NS1_11comp_targetILNS1_3genE5ELNS1_11target_archE942ELNS1_3gpuE9ELNS1_3repE0EEENS1_30default_config_static_selectorELNS0_4arch9wavefront6targetE0EEEvT1_,"axG",@progbits,_ZN7rocprim17ROCPRIM_400000_NS6detail17trampoline_kernelINS0_14default_configENS1_25partition_config_selectorILNS1_17partition_subalgoE6EtNS0_10empty_typeEbEEZZNS1_14partition_implILS5_6ELb0ES3_mN6thrust23THRUST_200600_302600_NS6detail15normal_iteratorINSA_10device_ptrItEEEEPS6_SG_NS0_5tupleIJSF_S6_EEENSH_IJSG_SG_EEES6_PlJNSB_9not_fun_tI7is_trueItEEEEEE10hipError_tPvRmT3_T4_T5_T6_T7_T9_mT8_P12ihipStream_tbDpT10_ENKUlT_T0_E_clISt17integral_constantIbLb0EES17_IbLb1EEEEDaS13_S14_EUlS13_E_NS1_11comp_targetILNS1_3genE5ELNS1_11target_archE942ELNS1_3gpuE9ELNS1_3repE0EEENS1_30default_config_static_selectorELNS0_4arch9wavefront6targetE0EEEvT1_,comdat
.Lfunc_end1198:
	.size	_ZN7rocprim17ROCPRIM_400000_NS6detail17trampoline_kernelINS0_14default_configENS1_25partition_config_selectorILNS1_17partition_subalgoE6EtNS0_10empty_typeEbEEZZNS1_14partition_implILS5_6ELb0ES3_mN6thrust23THRUST_200600_302600_NS6detail15normal_iteratorINSA_10device_ptrItEEEEPS6_SG_NS0_5tupleIJSF_S6_EEENSH_IJSG_SG_EEES6_PlJNSB_9not_fun_tI7is_trueItEEEEEE10hipError_tPvRmT3_T4_T5_T6_T7_T9_mT8_P12ihipStream_tbDpT10_ENKUlT_T0_E_clISt17integral_constantIbLb0EES17_IbLb1EEEEDaS13_S14_EUlS13_E_NS1_11comp_targetILNS1_3genE5ELNS1_11target_archE942ELNS1_3gpuE9ELNS1_3repE0EEENS1_30default_config_static_selectorELNS0_4arch9wavefront6targetE0EEEvT1_, .Lfunc_end1198-_ZN7rocprim17ROCPRIM_400000_NS6detail17trampoline_kernelINS0_14default_configENS1_25partition_config_selectorILNS1_17partition_subalgoE6EtNS0_10empty_typeEbEEZZNS1_14partition_implILS5_6ELb0ES3_mN6thrust23THRUST_200600_302600_NS6detail15normal_iteratorINSA_10device_ptrItEEEEPS6_SG_NS0_5tupleIJSF_S6_EEENSH_IJSG_SG_EEES6_PlJNSB_9not_fun_tI7is_trueItEEEEEE10hipError_tPvRmT3_T4_T5_T6_T7_T9_mT8_P12ihipStream_tbDpT10_ENKUlT_T0_E_clISt17integral_constantIbLb0EES17_IbLb1EEEEDaS13_S14_EUlS13_E_NS1_11comp_targetILNS1_3genE5ELNS1_11target_archE942ELNS1_3gpuE9ELNS1_3repE0EEENS1_30default_config_static_selectorELNS0_4arch9wavefront6targetE0EEEvT1_
                                        ; -- End function
	.set _ZN7rocprim17ROCPRIM_400000_NS6detail17trampoline_kernelINS0_14default_configENS1_25partition_config_selectorILNS1_17partition_subalgoE6EtNS0_10empty_typeEbEEZZNS1_14partition_implILS5_6ELb0ES3_mN6thrust23THRUST_200600_302600_NS6detail15normal_iteratorINSA_10device_ptrItEEEEPS6_SG_NS0_5tupleIJSF_S6_EEENSH_IJSG_SG_EEES6_PlJNSB_9not_fun_tI7is_trueItEEEEEE10hipError_tPvRmT3_T4_T5_T6_T7_T9_mT8_P12ihipStream_tbDpT10_ENKUlT_T0_E_clISt17integral_constantIbLb0EES17_IbLb1EEEEDaS13_S14_EUlS13_E_NS1_11comp_targetILNS1_3genE5ELNS1_11target_archE942ELNS1_3gpuE9ELNS1_3repE0EEENS1_30default_config_static_selectorELNS0_4arch9wavefront6targetE0EEEvT1_.num_vgpr, 0
	.set _ZN7rocprim17ROCPRIM_400000_NS6detail17trampoline_kernelINS0_14default_configENS1_25partition_config_selectorILNS1_17partition_subalgoE6EtNS0_10empty_typeEbEEZZNS1_14partition_implILS5_6ELb0ES3_mN6thrust23THRUST_200600_302600_NS6detail15normal_iteratorINSA_10device_ptrItEEEEPS6_SG_NS0_5tupleIJSF_S6_EEENSH_IJSG_SG_EEES6_PlJNSB_9not_fun_tI7is_trueItEEEEEE10hipError_tPvRmT3_T4_T5_T6_T7_T9_mT8_P12ihipStream_tbDpT10_ENKUlT_T0_E_clISt17integral_constantIbLb0EES17_IbLb1EEEEDaS13_S14_EUlS13_E_NS1_11comp_targetILNS1_3genE5ELNS1_11target_archE942ELNS1_3gpuE9ELNS1_3repE0EEENS1_30default_config_static_selectorELNS0_4arch9wavefront6targetE0EEEvT1_.num_agpr, 0
	.set _ZN7rocprim17ROCPRIM_400000_NS6detail17trampoline_kernelINS0_14default_configENS1_25partition_config_selectorILNS1_17partition_subalgoE6EtNS0_10empty_typeEbEEZZNS1_14partition_implILS5_6ELb0ES3_mN6thrust23THRUST_200600_302600_NS6detail15normal_iteratorINSA_10device_ptrItEEEEPS6_SG_NS0_5tupleIJSF_S6_EEENSH_IJSG_SG_EEES6_PlJNSB_9not_fun_tI7is_trueItEEEEEE10hipError_tPvRmT3_T4_T5_T6_T7_T9_mT8_P12ihipStream_tbDpT10_ENKUlT_T0_E_clISt17integral_constantIbLb0EES17_IbLb1EEEEDaS13_S14_EUlS13_E_NS1_11comp_targetILNS1_3genE5ELNS1_11target_archE942ELNS1_3gpuE9ELNS1_3repE0EEENS1_30default_config_static_selectorELNS0_4arch9wavefront6targetE0EEEvT1_.numbered_sgpr, 0
	.set _ZN7rocprim17ROCPRIM_400000_NS6detail17trampoline_kernelINS0_14default_configENS1_25partition_config_selectorILNS1_17partition_subalgoE6EtNS0_10empty_typeEbEEZZNS1_14partition_implILS5_6ELb0ES3_mN6thrust23THRUST_200600_302600_NS6detail15normal_iteratorINSA_10device_ptrItEEEEPS6_SG_NS0_5tupleIJSF_S6_EEENSH_IJSG_SG_EEES6_PlJNSB_9not_fun_tI7is_trueItEEEEEE10hipError_tPvRmT3_T4_T5_T6_T7_T9_mT8_P12ihipStream_tbDpT10_ENKUlT_T0_E_clISt17integral_constantIbLb0EES17_IbLb1EEEEDaS13_S14_EUlS13_E_NS1_11comp_targetILNS1_3genE5ELNS1_11target_archE942ELNS1_3gpuE9ELNS1_3repE0EEENS1_30default_config_static_selectorELNS0_4arch9wavefront6targetE0EEEvT1_.num_named_barrier, 0
	.set _ZN7rocprim17ROCPRIM_400000_NS6detail17trampoline_kernelINS0_14default_configENS1_25partition_config_selectorILNS1_17partition_subalgoE6EtNS0_10empty_typeEbEEZZNS1_14partition_implILS5_6ELb0ES3_mN6thrust23THRUST_200600_302600_NS6detail15normal_iteratorINSA_10device_ptrItEEEEPS6_SG_NS0_5tupleIJSF_S6_EEENSH_IJSG_SG_EEES6_PlJNSB_9not_fun_tI7is_trueItEEEEEE10hipError_tPvRmT3_T4_T5_T6_T7_T9_mT8_P12ihipStream_tbDpT10_ENKUlT_T0_E_clISt17integral_constantIbLb0EES17_IbLb1EEEEDaS13_S14_EUlS13_E_NS1_11comp_targetILNS1_3genE5ELNS1_11target_archE942ELNS1_3gpuE9ELNS1_3repE0EEENS1_30default_config_static_selectorELNS0_4arch9wavefront6targetE0EEEvT1_.private_seg_size, 0
	.set _ZN7rocprim17ROCPRIM_400000_NS6detail17trampoline_kernelINS0_14default_configENS1_25partition_config_selectorILNS1_17partition_subalgoE6EtNS0_10empty_typeEbEEZZNS1_14partition_implILS5_6ELb0ES3_mN6thrust23THRUST_200600_302600_NS6detail15normal_iteratorINSA_10device_ptrItEEEEPS6_SG_NS0_5tupleIJSF_S6_EEENSH_IJSG_SG_EEES6_PlJNSB_9not_fun_tI7is_trueItEEEEEE10hipError_tPvRmT3_T4_T5_T6_T7_T9_mT8_P12ihipStream_tbDpT10_ENKUlT_T0_E_clISt17integral_constantIbLb0EES17_IbLb1EEEEDaS13_S14_EUlS13_E_NS1_11comp_targetILNS1_3genE5ELNS1_11target_archE942ELNS1_3gpuE9ELNS1_3repE0EEENS1_30default_config_static_selectorELNS0_4arch9wavefront6targetE0EEEvT1_.uses_vcc, 0
	.set _ZN7rocprim17ROCPRIM_400000_NS6detail17trampoline_kernelINS0_14default_configENS1_25partition_config_selectorILNS1_17partition_subalgoE6EtNS0_10empty_typeEbEEZZNS1_14partition_implILS5_6ELb0ES3_mN6thrust23THRUST_200600_302600_NS6detail15normal_iteratorINSA_10device_ptrItEEEEPS6_SG_NS0_5tupleIJSF_S6_EEENSH_IJSG_SG_EEES6_PlJNSB_9not_fun_tI7is_trueItEEEEEE10hipError_tPvRmT3_T4_T5_T6_T7_T9_mT8_P12ihipStream_tbDpT10_ENKUlT_T0_E_clISt17integral_constantIbLb0EES17_IbLb1EEEEDaS13_S14_EUlS13_E_NS1_11comp_targetILNS1_3genE5ELNS1_11target_archE942ELNS1_3gpuE9ELNS1_3repE0EEENS1_30default_config_static_selectorELNS0_4arch9wavefront6targetE0EEEvT1_.uses_flat_scratch, 0
	.set _ZN7rocprim17ROCPRIM_400000_NS6detail17trampoline_kernelINS0_14default_configENS1_25partition_config_selectorILNS1_17partition_subalgoE6EtNS0_10empty_typeEbEEZZNS1_14partition_implILS5_6ELb0ES3_mN6thrust23THRUST_200600_302600_NS6detail15normal_iteratorINSA_10device_ptrItEEEEPS6_SG_NS0_5tupleIJSF_S6_EEENSH_IJSG_SG_EEES6_PlJNSB_9not_fun_tI7is_trueItEEEEEE10hipError_tPvRmT3_T4_T5_T6_T7_T9_mT8_P12ihipStream_tbDpT10_ENKUlT_T0_E_clISt17integral_constantIbLb0EES17_IbLb1EEEEDaS13_S14_EUlS13_E_NS1_11comp_targetILNS1_3genE5ELNS1_11target_archE942ELNS1_3gpuE9ELNS1_3repE0EEENS1_30default_config_static_selectorELNS0_4arch9wavefront6targetE0EEEvT1_.has_dyn_sized_stack, 0
	.set _ZN7rocprim17ROCPRIM_400000_NS6detail17trampoline_kernelINS0_14default_configENS1_25partition_config_selectorILNS1_17partition_subalgoE6EtNS0_10empty_typeEbEEZZNS1_14partition_implILS5_6ELb0ES3_mN6thrust23THRUST_200600_302600_NS6detail15normal_iteratorINSA_10device_ptrItEEEEPS6_SG_NS0_5tupleIJSF_S6_EEENSH_IJSG_SG_EEES6_PlJNSB_9not_fun_tI7is_trueItEEEEEE10hipError_tPvRmT3_T4_T5_T6_T7_T9_mT8_P12ihipStream_tbDpT10_ENKUlT_T0_E_clISt17integral_constantIbLb0EES17_IbLb1EEEEDaS13_S14_EUlS13_E_NS1_11comp_targetILNS1_3genE5ELNS1_11target_archE942ELNS1_3gpuE9ELNS1_3repE0EEENS1_30default_config_static_selectorELNS0_4arch9wavefront6targetE0EEEvT1_.has_recursion, 0
	.set _ZN7rocprim17ROCPRIM_400000_NS6detail17trampoline_kernelINS0_14default_configENS1_25partition_config_selectorILNS1_17partition_subalgoE6EtNS0_10empty_typeEbEEZZNS1_14partition_implILS5_6ELb0ES3_mN6thrust23THRUST_200600_302600_NS6detail15normal_iteratorINSA_10device_ptrItEEEEPS6_SG_NS0_5tupleIJSF_S6_EEENSH_IJSG_SG_EEES6_PlJNSB_9not_fun_tI7is_trueItEEEEEE10hipError_tPvRmT3_T4_T5_T6_T7_T9_mT8_P12ihipStream_tbDpT10_ENKUlT_T0_E_clISt17integral_constantIbLb0EES17_IbLb1EEEEDaS13_S14_EUlS13_E_NS1_11comp_targetILNS1_3genE5ELNS1_11target_archE942ELNS1_3gpuE9ELNS1_3repE0EEENS1_30default_config_static_selectorELNS0_4arch9wavefront6targetE0EEEvT1_.has_indirect_call, 0
	.section	.AMDGPU.csdata,"",@progbits
; Kernel info:
; codeLenInByte = 0
; TotalNumSgprs: 0
; NumVgprs: 0
; ScratchSize: 0
; MemoryBound: 0
; FloatMode: 240
; IeeeMode: 1
; LDSByteSize: 0 bytes/workgroup (compile time only)
; SGPRBlocks: 0
; VGPRBlocks: 0
; NumSGPRsForWavesPerEU: 1
; NumVGPRsForWavesPerEU: 1
; Occupancy: 16
; WaveLimiterHint : 0
; COMPUTE_PGM_RSRC2:SCRATCH_EN: 0
; COMPUTE_PGM_RSRC2:USER_SGPR: 2
; COMPUTE_PGM_RSRC2:TRAP_HANDLER: 0
; COMPUTE_PGM_RSRC2:TGID_X_EN: 1
; COMPUTE_PGM_RSRC2:TGID_Y_EN: 0
; COMPUTE_PGM_RSRC2:TGID_Z_EN: 0
; COMPUTE_PGM_RSRC2:TIDIG_COMP_CNT: 0
	.section	.text._ZN7rocprim17ROCPRIM_400000_NS6detail17trampoline_kernelINS0_14default_configENS1_25partition_config_selectorILNS1_17partition_subalgoE6EtNS0_10empty_typeEbEEZZNS1_14partition_implILS5_6ELb0ES3_mN6thrust23THRUST_200600_302600_NS6detail15normal_iteratorINSA_10device_ptrItEEEEPS6_SG_NS0_5tupleIJSF_S6_EEENSH_IJSG_SG_EEES6_PlJNSB_9not_fun_tI7is_trueItEEEEEE10hipError_tPvRmT3_T4_T5_T6_T7_T9_mT8_P12ihipStream_tbDpT10_ENKUlT_T0_E_clISt17integral_constantIbLb0EES17_IbLb1EEEEDaS13_S14_EUlS13_E_NS1_11comp_targetILNS1_3genE4ELNS1_11target_archE910ELNS1_3gpuE8ELNS1_3repE0EEENS1_30default_config_static_selectorELNS0_4arch9wavefront6targetE0EEEvT1_,"axG",@progbits,_ZN7rocprim17ROCPRIM_400000_NS6detail17trampoline_kernelINS0_14default_configENS1_25partition_config_selectorILNS1_17partition_subalgoE6EtNS0_10empty_typeEbEEZZNS1_14partition_implILS5_6ELb0ES3_mN6thrust23THRUST_200600_302600_NS6detail15normal_iteratorINSA_10device_ptrItEEEEPS6_SG_NS0_5tupleIJSF_S6_EEENSH_IJSG_SG_EEES6_PlJNSB_9not_fun_tI7is_trueItEEEEEE10hipError_tPvRmT3_T4_T5_T6_T7_T9_mT8_P12ihipStream_tbDpT10_ENKUlT_T0_E_clISt17integral_constantIbLb0EES17_IbLb1EEEEDaS13_S14_EUlS13_E_NS1_11comp_targetILNS1_3genE4ELNS1_11target_archE910ELNS1_3gpuE8ELNS1_3repE0EEENS1_30default_config_static_selectorELNS0_4arch9wavefront6targetE0EEEvT1_,comdat
	.protected	_ZN7rocprim17ROCPRIM_400000_NS6detail17trampoline_kernelINS0_14default_configENS1_25partition_config_selectorILNS1_17partition_subalgoE6EtNS0_10empty_typeEbEEZZNS1_14partition_implILS5_6ELb0ES3_mN6thrust23THRUST_200600_302600_NS6detail15normal_iteratorINSA_10device_ptrItEEEEPS6_SG_NS0_5tupleIJSF_S6_EEENSH_IJSG_SG_EEES6_PlJNSB_9not_fun_tI7is_trueItEEEEEE10hipError_tPvRmT3_T4_T5_T6_T7_T9_mT8_P12ihipStream_tbDpT10_ENKUlT_T0_E_clISt17integral_constantIbLb0EES17_IbLb1EEEEDaS13_S14_EUlS13_E_NS1_11comp_targetILNS1_3genE4ELNS1_11target_archE910ELNS1_3gpuE8ELNS1_3repE0EEENS1_30default_config_static_selectorELNS0_4arch9wavefront6targetE0EEEvT1_ ; -- Begin function _ZN7rocprim17ROCPRIM_400000_NS6detail17trampoline_kernelINS0_14default_configENS1_25partition_config_selectorILNS1_17partition_subalgoE6EtNS0_10empty_typeEbEEZZNS1_14partition_implILS5_6ELb0ES3_mN6thrust23THRUST_200600_302600_NS6detail15normal_iteratorINSA_10device_ptrItEEEEPS6_SG_NS0_5tupleIJSF_S6_EEENSH_IJSG_SG_EEES6_PlJNSB_9not_fun_tI7is_trueItEEEEEE10hipError_tPvRmT3_T4_T5_T6_T7_T9_mT8_P12ihipStream_tbDpT10_ENKUlT_T0_E_clISt17integral_constantIbLb0EES17_IbLb1EEEEDaS13_S14_EUlS13_E_NS1_11comp_targetILNS1_3genE4ELNS1_11target_archE910ELNS1_3gpuE8ELNS1_3repE0EEENS1_30default_config_static_selectorELNS0_4arch9wavefront6targetE0EEEvT1_
	.globl	_ZN7rocprim17ROCPRIM_400000_NS6detail17trampoline_kernelINS0_14default_configENS1_25partition_config_selectorILNS1_17partition_subalgoE6EtNS0_10empty_typeEbEEZZNS1_14partition_implILS5_6ELb0ES3_mN6thrust23THRUST_200600_302600_NS6detail15normal_iteratorINSA_10device_ptrItEEEEPS6_SG_NS0_5tupleIJSF_S6_EEENSH_IJSG_SG_EEES6_PlJNSB_9not_fun_tI7is_trueItEEEEEE10hipError_tPvRmT3_T4_T5_T6_T7_T9_mT8_P12ihipStream_tbDpT10_ENKUlT_T0_E_clISt17integral_constantIbLb0EES17_IbLb1EEEEDaS13_S14_EUlS13_E_NS1_11comp_targetILNS1_3genE4ELNS1_11target_archE910ELNS1_3gpuE8ELNS1_3repE0EEENS1_30default_config_static_selectorELNS0_4arch9wavefront6targetE0EEEvT1_
	.p2align	8
	.type	_ZN7rocprim17ROCPRIM_400000_NS6detail17trampoline_kernelINS0_14default_configENS1_25partition_config_selectorILNS1_17partition_subalgoE6EtNS0_10empty_typeEbEEZZNS1_14partition_implILS5_6ELb0ES3_mN6thrust23THRUST_200600_302600_NS6detail15normal_iteratorINSA_10device_ptrItEEEEPS6_SG_NS0_5tupleIJSF_S6_EEENSH_IJSG_SG_EEES6_PlJNSB_9not_fun_tI7is_trueItEEEEEE10hipError_tPvRmT3_T4_T5_T6_T7_T9_mT8_P12ihipStream_tbDpT10_ENKUlT_T0_E_clISt17integral_constantIbLb0EES17_IbLb1EEEEDaS13_S14_EUlS13_E_NS1_11comp_targetILNS1_3genE4ELNS1_11target_archE910ELNS1_3gpuE8ELNS1_3repE0EEENS1_30default_config_static_selectorELNS0_4arch9wavefront6targetE0EEEvT1_,@function
_ZN7rocprim17ROCPRIM_400000_NS6detail17trampoline_kernelINS0_14default_configENS1_25partition_config_selectorILNS1_17partition_subalgoE6EtNS0_10empty_typeEbEEZZNS1_14partition_implILS5_6ELb0ES3_mN6thrust23THRUST_200600_302600_NS6detail15normal_iteratorINSA_10device_ptrItEEEEPS6_SG_NS0_5tupleIJSF_S6_EEENSH_IJSG_SG_EEES6_PlJNSB_9not_fun_tI7is_trueItEEEEEE10hipError_tPvRmT3_T4_T5_T6_T7_T9_mT8_P12ihipStream_tbDpT10_ENKUlT_T0_E_clISt17integral_constantIbLb0EES17_IbLb1EEEEDaS13_S14_EUlS13_E_NS1_11comp_targetILNS1_3genE4ELNS1_11target_archE910ELNS1_3gpuE8ELNS1_3repE0EEENS1_30default_config_static_selectorELNS0_4arch9wavefront6targetE0EEEvT1_: ; @_ZN7rocprim17ROCPRIM_400000_NS6detail17trampoline_kernelINS0_14default_configENS1_25partition_config_selectorILNS1_17partition_subalgoE6EtNS0_10empty_typeEbEEZZNS1_14partition_implILS5_6ELb0ES3_mN6thrust23THRUST_200600_302600_NS6detail15normal_iteratorINSA_10device_ptrItEEEEPS6_SG_NS0_5tupleIJSF_S6_EEENSH_IJSG_SG_EEES6_PlJNSB_9not_fun_tI7is_trueItEEEEEE10hipError_tPvRmT3_T4_T5_T6_T7_T9_mT8_P12ihipStream_tbDpT10_ENKUlT_T0_E_clISt17integral_constantIbLb0EES17_IbLb1EEEEDaS13_S14_EUlS13_E_NS1_11comp_targetILNS1_3genE4ELNS1_11target_archE910ELNS1_3gpuE8ELNS1_3repE0EEENS1_30default_config_static_selectorELNS0_4arch9wavefront6targetE0EEEvT1_
; %bb.0:
	.section	.rodata,"a",@progbits
	.p2align	6, 0x0
	.amdhsa_kernel _ZN7rocprim17ROCPRIM_400000_NS6detail17trampoline_kernelINS0_14default_configENS1_25partition_config_selectorILNS1_17partition_subalgoE6EtNS0_10empty_typeEbEEZZNS1_14partition_implILS5_6ELb0ES3_mN6thrust23THRUST_200600_302600_NS6detail15normal_iteratorINSA_10device_ptrItEEEEPS6_SG_NS0_5tupleIJSF_S6_EEENSH_IJSG_SG_EEES6_PlJNSB_9not_fun_tI7is_trueItEEEEEE10hipError_tPvRmT3_T4_T5_T6_T7_T9_mT8_P12ihipStream_tbDpT10_ENKUlT_T0_E_clISt17integral_constantIbLb0EES17_IbLb1EEEEDaS13_S14_EUlS13_E_NS1_11comp_targetILNS1_3genE4ELNS1_11target_archE910ELNS1_3gpuE8ELNS1_3repE0EEENS1_30default_config_static_selectorELNS0_4arch9wavefront6targetE0EEEvT1_
		.amdhsa_group_segment_fixed_size 0
		.amdhsa_private_segment_fixed_size 0
		.amdhsa_kernarg_size 128
		.amdhsa_user_sgpr_count 2
		.amdhsa_user_sgpr_dispatch_ptr 0
		.amdhsa_user_sgpr_queue_ptr 0
		.amdhsa_user_sgpr_kernarg_segment_ptr 1
		.amdhsa_user_sgpr_dispatch_id 0
		.amdhsa_user_sgpr_private_segment_size 0
		.amdhsa_wavefront_size32 1
		.amdhsa_uses_dynamic_stack 0
		.amdhsa_enable_private_segment 0
		.amdhsa_system_sgpr_workgroup_id_x 1
		.amdhsa_system_sgpr_workgroup_id_y 0
		.amdhsa_system_sgpr_workgroup_id_z 0
		.amdhsa_system_sgpr_workgroup_info 0
		.amdhsa_system_vgpr_workitem_id 0
		.amdhsa_next_free_vgpr 1
		.amdhsa_next_free_sgpr 1
		.amdhsa_reserve_vcc 0
		.amdhsa_float_round_mode_32 0
		.amdhsa_float_round_mode_16_64 0
		.amdhsa_float_denorm_mode_32 3
		.amdhsa_float_denorm_mode_16_64 3
		.amdhsa_fp16_overflow 0
		.amdhsa_workgroup_processor_mode 1
		.amdhsa_memory_ordered 1
		.amdhsa_forward_progress 1
		.amdhsa_inst_pref_size 0
		.amdhsa_round_robin_scheduling 0
		.amdhsa_exception_fp_ieee_invalid_op 0
		.amdhsa_exception_fp_denorm_src 0
		.amdhsa_exception_fp_ieee_div_zero 0
		.amdhsa_exception_fp_ieee_overflow 0
		.amdhsa_exception_fp_ieee_underflow 0
		.amdhsa_exception_fp_ieee_inexact 0
		.amdhsa_exception_int_div_zero 0
	.end_amdhsa_kernel
	.section	.text._ZN7rocprim17ROCPRIM_400000_NS6detail17trampoline_kernelINS0_14default_configENS1_25partition_config_selectorILNS1_17partition_subalgoE6EtNS0_10empty_typeEbEEZZNS1_14partition_implILS5_6ELb0ES3_mN6thrust23THRUST_200600_302600_NS6detail15normal_iteratorINSA_10device_ptrItEEEEPS6_SG_NS0_5tupleIJSF_S6_EEENSH_IJSG_SG_EEES6_PlJNSB_9not_fun_tI7is_trueItEEEEEE10hipError_tPvRmT3_T4_T5_T6_T7_T9_mT8_P12ihipStream_tbDpT10_ENKUlT_T0_E_clISt17integral_constantIbLb0EES17_IbLb1EEEEDaS13_S14_EUlS13_E_NS1_11comp_targetILNS1_3genE4ELNS1_11target_archE910ELNS1_3gpuE8ELNS1_3repE0EEENS1_30default_config_static_selectorELNS0_4arch9wavefront6targetE0EEEvT1_,"axG",@progbits,_ZN7rocprim17ROCPRIM_400000_NS6detail17trampoline_kernelINS0_14default_configENS1_25partition_config_selectorILNS1_17partition_subalgoE6EtNS0_10empty_typeEbEEZZNS1_14partition_implILS5_6ELb0ES3_mN6thrust23THRUST_200600_302600_NS6detail15normal_iteratorINSA_10device_ptrItEEEEPS6_SG_NS0_5tupleIJSF_S6_EEENSH_IJSG_SG_EEES6_PlJNSB_9not_fun_tI7is_trueItEEEEEE10hipError_tPvRmT3_T4_T5_T6_T7_T9_mT8_P12ihipStream_tbDpT10_ENKUlT_T0_E_clISt17integral_constantIbLb0EES17_IbLb1EEEEDaS13_S14_EUlS13_E_NS1_11comp_targetILNS1_3genE4ELNS1_11target_archE910ELNS1_3gpuE8ELNS1_3repE0EEENS1_30default_config_static_selectorELNS0_4arch9wavefront6targetE0EEEvT1_,comdat
.Lfunc_end1199:
	.size	_ZN7rocprim17ROCPRIM_400000_NS6detail17trampoline_kernelINS0_14default_configENS1_25partition_config_selectorILNS1_17partition_subalgoE6EtNS0_10empty_typeEbEEZZNS1_14partition_implILS5_6ELb0ES3_mN6thrust23THRUST_200600_302600_NS6detail15normal_iteratorINSA_10device_ptrItEEEEPS6_SG_NS0_5tupleIJSF_S6_EEENSH_IJSG_SG_EEES6_PlJNSB_9not_fun_tI7is_trueItEEEEEE10hipError_tPvRmT3_T4_T5_T6_T7_T9_mT8_P12ihipStream_tbDpT10_ENKUlT_T0_E_clISt17integral_constantIbLb0EES17_IbLb1EEEEDaS13_S14_EUlS13_E_NS1_11comp_targetILNS1_3genE4ELNS1_11target_archE910ELNS1_3gpuE8ELNS1_3repE0EEENS1_30default_config_static_selectorELNS0_4arch9wavefront6targetE0EEEvT1_, .Lfunc_end1199-_ZN7rocprim17ROCPRIM_400000_NS6detail17trampoline_kernelINS0_14default_configENS1_25partition_config_selectorILNS1_17partition_subalgoE6EtNS0_10empty_typeEbEEZZNS1_14partition_implILS5_6ELb0ES3_mN6thrust23THRUST_200600_302600_NS6detail15normal_iteratorINSA_10device_ptrItEEEEPS6_SG_NS0_5tupleIJSF_S6_EEENSH_IJSG_SG_EEES6_PlJNSB_9not_fun_tI7is_trueItEEEEEE10hipError_tPvRmT3_T4_T5_T6_T7_T9_mT8_P12ihipStream_tbDpT10_ENKUlT_T0_E_clISt17integral_constantIbLb0EES17_IbLb1EEEEDaS13_S14_EUlS13_E_NS1_11comp_targetILNS1_3genE4ELNS1_11target_archE910ELNS1_3gpuE8ELNS1_3repE0EEENS1_30default_config_static_selectorELNS0_4arch9wavefront6targetE0EEEvT1_
                                        ; -- End function
	.set _ZN7rocprim17ROCPRIM_400000_NS6detail17trampoline_kernelINS0_14default_configENS1_25partition_config_selectorILNS1_17partition_subalgoE6EtNS0_10empty_typeEbEEZZNS1_14partition_implILS5_6ELb0ES3_mN6thrust23THRUST_200600_302600_NS6detail15normal_iteratorINSA_10device_ptrItEEEEPS6_SG_NS0_5tupleIJSF_S6_EEENSH_IJSG_SG_EEES6_PlJNSB_9not_fun_tI7is_trueItEEEEEE10hipError_tPvRmT3_T4_T5_T6_T7_T9_mT8_P12ihipStream_tbDpT10_ENKUlT_T0_E_clISt17integral_constantIbLb0EES17_IbLb1EEEEDaS13_S14_EUlS13_E_NS1_11comp_targetILNS1_3genE4ELNS1_11target_archE910ELNS1_3gpuE8ELNS1_3repE0EEENS1_30default_config_static_selectorELNS0_4arch9wavefront6targetE0EEEvT1_.num_vgpr, 0
	.set _ZN7rocprim17ROCPRIM_400000_NS6detail17trampoline_kernelINS0_14default_configENS1_25partition_config_selectorILNS1_17partition_subalgoE6EtNS0_10empty_typeEbEEZZNS1_14partition_implILS5_6ELb0ES3_mN6thrust23THRUST_200600_302600_NS6detail15normal_iteratorINSA_10device_ptrItEEEEPS6_SG_NS0_5tupleIJSF_S6_EEENSH_IJSG_SG_EEES6_PlJNSB_9not_fun_tI7is_trueItEEEEEE10hipError_tPvRmT3_T4_T5_T6_T7_T9_mT8_P12ihipStream_tbDpT10_ENKUlT_T0_E_clISt17integral_constantIbLb0EES17_IbLb1EEEEDaS13_S14_EUlS13_E_NS1_11comp_targetILNS1_3genE4ELNS1_11target_archE910ELNS1_3gpuE8ELNS1_3repE0EEENS1_30default_config_static_selectorELNS0_4arch9wavefront6targetE0EEEvT1_.num_agpr, 0
	.set _ZN7rocprim17ROCPRIM_400000_NS6detail17trampoline_kernelINS0_14default_configENS1_25partition_config_selectorILNS1_17partition_subalgoE6EtNS0_10empty_typeEbEEZZNS1_14partition_implILS5_6ELb0ES3_mN6thrust23THRUST_200600_302600_NS6detail15normal_iteratorINSA_10device_ptrItEEEEPS6_SG_NS0_5tupleIJSF_S6_EEENSH_IJSG_SG_EEES6_PlJNSB_9not_fun_tI7is_trueItEEEEEE10hipError_tPvRmT3_T4_T5_T6_T7_T9_mT8_P12ihipStream_tbDpT10_ENKUlT_T0_E_clISt17integral_constantIbLb0EES17_IbLb1EEEEDaS13_S14_EUlS13_E_NS1_11comp_targetILNS1_3genE4ELNS1_11target_archE910ELNS1_3gpuE8ELNS1_3repE0EEENS1_30default_config_static_selectorELNS0_4arch9wavefront6targetE0EEEvT1_.numbered_sgpr, 0
	.set _ZN7rocprim17ROCPRIM_400000_NS6detail17trampoline_kernelINS0_14default_configENS1_25partition_config_selectorILNS1_17partition_subalgoE6EtNS0_10empty_typeEbEEZZNS1_14partition_implILS5_6ELb0ES3_mN6thrust23THRUST_200600_302600_NS6detail15normal_iteratorINSA_10device_ptrItEEEEPS6_SG_NS0_5tupleIJSF_S6_EEENSH_IJSG_SG_EEES6_PlJNSB_9not_fun_tI7is_trueItEEEEEE10hipError_tPvRmT3_T4_T5_T6_T7_T9_mT8_P12ihipStream_tbDpT10_ENKUlT_T0_E_clISt17integral_constantIbLb0EES17_IbLb1EEEEDaS13_S14_EUlS13_E_NS1_11comp_targetILNS1_3genE4ELNS1_11target_archE910ELNS1_3gpuE8ELNS1_3repE0EEENS1_30default_config_static_selectorELNS0_4arch9wavefront6targetE0EEEvT1_.num_named_barrier, 0
	.set _ZN7rocprim17ROCPRIM_400000_NS6detail17trampoline_kernelINS0_14default_configENS1_25partition_config_selectorILNS1_17partition_subalgoE6EtNS0_10empty_typeEbEEZZNS1_14partition_implILS5_6ELb0ES3_mN6thrust23THRUST_200600_302600_NS6detail15normal_iteratorINSA_10device_ptrItEEEEPS6_SG_NS0_5tupleIJSF_S6_EEENSH_IJSG_SG_EEES6_PlJNSB_9not_fun_tI7is_trueItEEEEEE10hipError_tPvRmT3_T4_T5_T6_T7_T9_mT8_P12ihipStream_tbDpT10_ENKUlT_T0_E_clISt17integral_constantIbLb0EES17_IbLb1EEEEDaS13_S14_EUlS13_E_NS1_11comp_targetILNS1_3genE4ELNS1_11target_archE910ELNS1_3gpuE8ELNS1_3repE0EEENS1_30default_config_static_selectorELNS0_4arch9wavefront6targetE0EEEvT1_.private_seg_size, 0
	.set _ZN7rocprim17ROCPRIM_400000_NS6detail17trampoline_kernelINS0_14default_configENS1_25partition_config_selectorILNS1_17partition_subalgoE6EtNS0_10empty_typeEbEEZZNS1_14partition_implILS5_6ELb0ES3_mN6thrust23THRUST_200600_302600_NS6detail15normal_iteratorINSA_10device_ptrItEEEEPS6_SG_NS0_5tupleIJSF_S6_EEENSH_IJSG_SG_EEES6_PlJNSB_9not_fun_tI7is_trueItEEEEEE10hipError_tPvRmT3_T4_T5_T6_T7_T9_mT8_P12ihipStream_tbDpT10_ENKUlT_T0_E_clISt17integral_constantIbLb0EES17_IbLb1EEEEDaS13_S14_EUlS13_E_NS1_11comp_targetILNS1_3genE4ELNS1_11target_archE910ELNS1_3gpuE8ELNS1_3repE0EEENS1_30default_config_static_selectorELNS0_4arch9wavefront6targetE0EEEvT1_.uses_vcc, 0
	.set _ZN7rocprim17ROCPRIM_400000_NS6detail17trampoline_kernelINS0_14default_configENS1_25partition_config_selectorILNS1_17partition_subalgoE6EtNS0_10empty_typeEbEEZZNS1_14partition_implILS5_6ELb0ES3_mN6thrust23THRUST_200600_302600_NS6detail15normal_iteratorINSA_10device_ptrItEEEEPS6_SG_NS0_5tupleIJSF_S6_EEENSH_IJSG_SG_EEES6_PlJNSB_9not_fun_tI7is_trueItEEEEEE10hipError_tPvRmT3_T4_T5_T6_T7_T9_mT8_P12ihipStream_tbDpT10_ENKUlT_T0_E_clISt17integral_constantIbLb0EES17_IbLb1EEEEDaS13_S14_EUlS13_E_NS1_11comp_targetILNS1_3genE4ELNS1_11target_archE910ELNS1_3gpuE8ELNS1_3repE0EEENS1_30default_config_static_selectorELNS0_4arch9wavefront6targetE0EEEvT1_.uses_flat_scratch, 0
	.set _ZN7rocprim17ROCPRIM_400000_NS6detail17trampoline_kernelINS0_14default_configENS1_25partition_config_selectorILNS1_17partition_subalgoE6EtNS0_10empty_typeEbEEZZNS1_14partition_implILS5_6ELb0ES3_mN6thrust23THRUST_200600_302600_NS6detail15normal_iteratorINSA_10device_ptrItEEEEPS6_SG_NS0_5tupleIJSF_S6_EEENSH_IJSG_SG_EEES6_PlJNSB_9not_fun_tI7is_trueItEEEEEE10hipError_tPvRmT3_T4_T5_T6_T7_T9_mT8_P12ihipStream_tbDpT10_ENKUlT_T0_E_clISt17integral_constantIbLb0EES17_IbLb1EEEEDaS13_S14_EUlS13_E_NS1_11comp_targetILNS1_3genE4ELNS1_11target_archE910ELNS1_3gpuE8ELNS1_3repE0EEENS1_30default_config_static_selectorELNS0_4arch9wavefront6targetE0EEEvT1_.has_dyn_sized_stack, 0
	.set _ZN7rocprim17ROCPRIM_400000_NS6detail17trampoline_kernelINS0_14default_configENS1_25partition_config_selectorILNS1_17partition_subalgoE6EtNS0_10empty_typeEbEEZZNS1_14partition_implILS5_6ELb0ES3_mN6thrust23THRUST_200600_302600_NS6detail15normal_iteratorINSA_10device_ptrItEEEEPS6_SG_NS0_5tupleIJSF_S6_EEENSH_IJSG_SG_EEES6_PlJNSB_9not_fun_tI7is_trueItEEEEEE10hipError_tPvRmT3_T4_T5_T6_T7_T9_mT8_P12ihipStream_tbDpT10_ENKUlT_T0_E_clISt17integral_constantIbLb0EES17_IbLb1EEEEDaS13_S14_EUlS13_E_NS1_11comp_targetILNS1_3genE4ELNS1_11target_archE910ELNS1_3gpuE8ELNS1_3repE0EEENS1_30default_config_static_selectorELNS0_4arch9wavefront6targetE0EEEvT1_.has_recursion, 0
	.set _ZN7rocprim17ROCPRIM_400000_NS6detail17trampoline_kernelINS0_14default_configENS1_25partition_config_selectorILNS1_17partition_subalgoE6EtNS0_10empty_typeEbEEZZNS1_14partition_implILS5_6ELb0ES3_mN6thrust23THRUST_200600_302600_NS6detail15normal_iteratorINSA_10device_ptrItEEEEPS6_SG_NS0_5tupleIJSF_S6_EEENSH_IJSG_SG_EEES6_PlJNSB_9not_fun_tI7is_trueItEEEEEE10hipError_tPvRmT3_T4_T5_T6_T7_T9_mT8_P12ihipStream_tbDpT10_ENKUlT_T0_E_clISt17integral_constantIbLb0EES17_IbLb1EEEEDaS13_S14_EUlS13_E_NS1_11comp_targetILNS1_3genE4ELNS1_11target_archE910ELNS1_3gpuE8ELNS1_3repE0EEENS1_30default_config_static_selectorELNS0_4arch9wavefront6targetE0EEEvT1_.has_indirect_call, 0
	.section	.AMDGPU.csdata,"",@progbits
; Kernel info:
; codeLenInByte = 0
; TotalNumSgprs: 0
; NumVgprs: 0
; ScratchSize: 0
; MemoryBound: 0
; FloatMode: 240
; IeeeMode: 1
; LDSByteSize: 0 bytes/workgroup (compile time only)
; SGPRBlocks: 0
; VGPRBlocks: 0
; NumSGPRsForWavesPerEU: 1
; NumVGPRsForWavesPerEU: 1
; Occupancy: 16
; WaveLimiterHint : 0
; COMPUTE_PGM_RSRC2:SCRATCH_EN: 0
; COMPUTE_PGM_RSRC2:USER_SGPR: 2
; COMPUTE_PGM_RSRC2:TRAP_HANDLER: 0
; COMPUTE_PGM_RSRC2:TGID_X_EN: 1
; COMPUTE_PGM_RSRC2:TGID_Y_EN: 0
; COMPUTE_PGM_RSRC2:TGID_Z_EN: 0
; COMPUTE_PGM_RSRC2:TIDIG_COMP_CNT: 0
	.section	.text._ZN7rocprim17ROCPRIM_400000_NS6detail17trampoline_kernelINS0_14default_configENS1_25partition_config_selectorILNS1_17partition_subalgoE6EtNS0_10empty_typeEbEEZZNS1_14partition_implILS5_6ELb0ES3_mN6thrust23THRUST_200600_302600_NS6detail15normal_iteratorINSA_10device_ptrItEEEEPS6_SG_NS0_5tupleIJSF_S6_EEENSH_IJSG_SG_EEES6_PlJNSB_9not_fun_tI7is_trueItEEEEEE10hipError_tPvRmT3_T4_T5_T6_T7_T9_mT8_P12ihipStream_tbDpT10_ENKUlT_T0_E_clISt17integral_constantIbLb0EES17_IbLb1EEEEDaS13_S14_EUlS13_E_NS1_11comp_targetILNS1_3genE3ELNS1_11target_archE908ELNS1_3gpuE7ELNS1_3repE0EEENS1_30default_config_static_selectorELNS0_4arch9wavefront6targetE0EEEvT1_,"axG",@progbits,_ZN7rocprim17ROCPRIM_400000_NS6detail17trampoline_kernelINS0_14default_configENS1_25partition_config_selectorILNS1_17partition_subalgoE6EtNS0_10empty_typeEbEEZZNS1_14partition_implILS5_6ELb0ES3_mN6thrust23THRUST_200600_302600_NS6detail15normal_iteratorINSA_10device_ptrItEEEEPS6_SG_NS0_5tupleIJSF_S6_EEENSH_IJSG_SG_EEES6_PlJNSB_9not_fun_tI7is_trueItEEEEEE10hipError_tPvRmT3_T4_T5_T6_T7_T9_mT8_P12ihipStream_tbDpT10_ENKUlT_T0_E_clISt17integral_constantIbLb0EES17_IbLb1EEEEDaS13_S14_EUlS13_E_NS1_11comp_targetILNS1_3genE3ELNS1_11target_archE908ELNS1_3gpuE7ELNS1_3repE0EEENS1_30default_config_static_selectorELNS0_4arch9wavefront6targetE0EEEvT1_,comdat
	.protected	_ZN7rocprim17ROCPRIM_400000_NS6detail17trampoline_kernelINS0_14default_configENS1_25partition_config_selectorILNS1_17partition_subalgoE6EtNS0_10empty_typeEbEEZZNS1_14partition_implILS5_6ELb0ES3_mN6thrust23THRUST_200600_302600_NS6detail15normal_iteratorINSA_10device_ptrItEEEEPS6_SG_NS0_5tupleIJSF_S6_EEENSH_IJSG_SG_EEES6_PlJNSB_9not_fun_tI7is_trueItEEEEEE10hipError_tPvRmT3_T4_T5_T6_T7_T9_mT8_P12ihipStream_tbDpT10_ENKUlT_T0_E_clISt17integral_constantIbLb0EES17_IbLb1EEEEDaS13_S14_EUlS13_E_NS1_11comp_targetILNS1_3genE3ELNS1_11target_archE908ELNS1_3gpuE7ELNS1_3repE0EEENS1_30default_config_static_selectorELNS0_4arch9wavefront6targetE0EEEvT1_ ; -- Begin function _ZN7rocprim17ROCPRIM_400000_NS6detail17trampoline_kernelINS0_14default_configENS1_25partition_config_selectorILNS1_17partition_subalgoE6EtNS0_10empty_typeEbEEZZNS1_14partition_implILS5_6ELb0ES3_mN6thrust23THRUST_200600_302600_NS6detail15normal_iteratorINSA_10device_ptrItEEEEPS6_SG_NS0_5tupleIJSF_S6_EEENSH_IJSG_SG_EEES6_PlJNSB_9not_fun_tI7is_trueItEEEEEE10hipError_tPvRmT3_T4_T5_T6_T7_T9_mT8_P12ihipStream_tbDpT10_ENKUlT_T0_E_clISt17integral_constantIbLb0EES17_IbLb1EEEEDaS13_S14_EUlS13_E_NS1_11comp_targetILNS1_3genE3ELNS1_11target_archE908ELNS1_3gpuE7ELNS1_3repE0EEENS1_30default_config_static_selectorELNS0_4arch9wavefront6targetE0EEEvT1_
	.globl	_ZN7rocprim17ROCPRIM_400000_NS6detail17trampoline_kernelINS0_14default_configENS1_25partition_config_selectorILNS1_17partition_subalgoE6EtNS0_10empty_typeEbEEZZNS1_14partition_implILS5_6ELb0ES3_mN6thrust23THRUST_200600_302600_NS6detail15normal_iteratorINSA_10device_ptrItEEEEPS6_SG_NS0_5tupleIJSF_S6_EEENSH_IJSG_SG_EEES6_PlJNSB_9not_fun_tI7is_trueItEEEEEE10hipError_tPvRmT3_T4_T5_T6_T7_T9_mT8_P12ihipStream_tbDpT10_ENKUlT_T0_E_clISt17integral_constantIbLb0EES17_IbLb1EEEEDaS13_S14_EUlS13_E_NS1_11comp_targetILNS1_3genE3ELNS1_11target_archE908ELNS1_3gpuE7ELNS1_3repE0EEENS1_30default_config_static_selectorELNS0_4arch9wavefront6targetE0EEEvT1_
	.p2align	8
	.type	_ZN7rocprim17ROCPRIM_400000_NS6detail17trampoline_kernelINS0_14default_configENS1_25partition_config_selectorILNS1_17partition_subalgoE6EtNS0_10empty_typeEbEEZZNS1_14partition_implILS5_6ELb0ES3_mN6thrust23THRUST_200600_302600_NS6detail15normal_iteratorINSA_10device_ptrItEEEEPS6_SG_NS0_5tupleIJSF_S6_EEENSH_IJSG_SG_EEES6_PlJNSB_9not_fun_tI7is_trueItEEEEEE10hipError_tPvRmT3_T4_T5_T6_T7_T9_mT8_P12ihipStream_tbDpT10_ENKUlT_T0_E_clISt17integral_constantIbLb0EES17_IbLb1EEEEDaS13_S14_EUlS13_E_NS1_11comp_targetILNS1_3genE3ELNS1_11target_archE908ELNS1_3gpuE7ELNS1_3repE0EEENS1_30default_config_static_selectorELNS0_4arch9wavefront6targetE0EEEvT1_,@function
_ZN7rocprim17ROCPRIM_400000_NS6detail17trampoline_kernelINS0_14default_configENS1_25partition_config_selectorILNS1_17partition_subalgoE6EtNS0_10empty_typeEbEEZZNS1_14partition_implILS5_6ELb0ES3_mN6thrust23THRUST_200600_302600_NS6detail15normal_iteratorINSA_10device_ptrItEEEEPS6_SG_NS0_5tupleIJSF_S6_EEENSH_IJSG_SG_EEES6_PlJNSB_9not_fun_tI7is_trueItEEEEEE10hipError_tPvRmT3_T4_T5_T6_T7_T9_mT8_P12ihipStream_tbDpT10_ENKUlT_T0_E_clISt17integral_constantIbLb0EES17_IbLb1EEEEDaS13_S14_EUlS13_E_NS1_11comp_targetILNS1_3genE3ELNS1_11target_archE908ELNS1_3gpuE7ELNS1_3repE0EEENS1_30default_config_static_selectorELNS0_4arch9wavefront6targetE0EEEvT1_: ; @_ZN7rocprim17ROCPRIM_400000_NS6detail17trampoline_kernelINS0_14default_configENS1_25partition_config_selectorILNS1_17partition_subalgoE6EtNS0_10empty_typeEbEEZZNS1_14partition_implILS5_6ELb0ES3_mN6thrust23THRUST_200600_302600_NS6detail15normal_iteratorINSA_10device_ptrItEEEEPS6_SG_NS0_5tupleIJSF_S6_EEENSH_IJSG_SG_EEES6_PlJNSB_9not_fun_tI7is_trueItEEEEEE10hipError_tPvRmT3_T4_T5_T6_T7_T9_mT8_P12ihipStream_tbDpT10_ENKUlT_T0_E_clISt17integral_constantIbLb0EES17_IbLb1EEEEDaS13_S14_EUlS13_E_NS1_11comp_targetILNS1_3genE3ELNS1_11target_archE908ELNS1_3gpuE7ELNS1_3repE0EEENS1_30default_config_static_selectorELNS0_4arch9wavefront6targetE0EEEvT1_
; %bb.0:
	.section	.rodata,"a",@progbits
	.p2align	6, 0x0
	.amdhsa_kernel _ZN7rocprim17ROCPRIM_400000_NS6detail17trampoline_kernelINS0_14default_configENS1_25partition_config_selectorILNS1_17partition_subalgoE6EtNS0_10empty_typeEbEEZZNS1_14partition_implILS5_6ELb0ES3_mN6thrust23THRUST_200600_302600_NS6detail15normal_iteratorINSA_10device_ptrItEEEEPS6_SG_NS0_5tupleIJSF_S6_EEENSH_IJSG_SG_EEES6_PlJNSB_9not_fun_tI7is_trueItEEEEEE10hipError_tPvRmT3_T4_T5_T6_T7_T9_mT8_P12ihipStream_tbDpT10_ENKUlT_T0_E_clISt17integral_constantIbLb0EES17_IbLb1EEEEDaS13_S14_EUlS13_E_NS1_11comp_targetILNS1_3genE3ELNS1_11target_archE908ELNS1_3gpuE7ELNS1_3repE0EEENS1_30default_config_static_selectorELNS0_4arch9wavefront6targetE0EEEvT1_
		.amdhsa_group_segment_fixed_size 0
		.amdhsa_private_segment_fixed_size 0
		.amdhsa_kernarg_size 128
		.amdhsa_user_sgpr_count 2
		.amdhsa_user_sgpr_dispatch_ptr 0
		.amdhsa_user_sgpr_queue_ptr 0
		.amdhsa_user_sgpr_kernarg_segment_ptr 1
		.amdhsa_user_sgpr_dispatch_id 0
		.amdhsa_user_sgpr_private_segment_size 0
		.amdhsa_wavefront_size32 1
		.amdhsa_uses_dynamic_stack 0
		.amdhsa_enable_private_segment 0
		.amdhsa_system_sgpr_workgroup_id_x 1
		.amdhsa_system_sgpr_workgroup_id_y 0
		.amdhsa_system_sgpr_workgroup_id_z 0
		.amdhsa_system_sgpr_workgroup_info 0
		.amdhsa_system_vgpr_workitem_id 0
		.amdhsa_next_free_vgpr 1
		.amdhsa_next_free_sgpr 1
		.amdhsa_reserve_vcc 0
		.amdhsa_float_round_mode_32 0
		.amdhsa_float_round_mode_16_64 0
		.amdhsa_float_denorm_mode_32 3
		.amdhsa_float_denorm_mode_16_64 3
		.amdhsa_fp16_overflow 0
		.amdhsa_workgroup_processor_mode 1
		.amdhsa_memory_ordered 1
		.amdhsa_forward_progress 1
		.amdhsa_inst_pref_size 0
		.amdhsa_round_robin_scheduling 0
		.amdhsa_exception_fp_ieee_invalid_op 0
		.amdhsa_exception_fp_denorm_src 0
		.amdhsa_exception_fp_ieee_div_zero 0
		.amdhsa_exception_fp_ieee_overflow 0
		.amdhsa_exception_fp_ieee_underflow 0
		.amdhsa_exception_fp_ieee_inexact 0
		.amdhsa_exception_int_div_zero 0
	.end_amdhsa_kernel
	.section	.text._ZN7rocprim17ROCPRIM_400000_NS6detail17trampoline_kernelINS0_14default_configENS1_25partition_config_selectorILNS1_17partition_subalgoE6EtNS0_10empty_typeEbEEZZNS1_14partition_implILS5_6ELb0ES3_mN6thrust23THRUST_200600_302600_NS6detail15normal_iteratorINSA_10device_ptrItEEEEPS6_SG_NS0_5tupleIJSF_S6_EEENSH_IJSG_SG_EEES6_PlJNSB_9not_fun_tI7is_trueItEEEEEE10hipError_tPvRmT3_T4_T5_T6_T7_T9_mT8_P12ihipStream_tbDpT10_ENKUlT_T0_E_clISt17integral_constantIbLb0EES17_IbLb1EEEEDaS13_S14_EUlS13_E_NS1_11comp_targetILNS1_3genE3ELNS1_11target_archE908ELNS1_3gpuE7ELNS1_3repE0EEENS1_30default_config_static_selectorELNS0_4arch9wavefront6targetE0EEEvT1_,"axG",@progbits,_ZN7rocprim17ROCPRIM_400000_NS6detail17trampoline_kernelINS0_14default_configENS1_25partition_config_selectorILNS1_17partition_subalgoE6EtNS0_10empty_typeEbEEZZNS1_14partition_implILS5_6ELb0ES3_mN6thrust23THRUST_200600_302600_NS6detail15normal_iteratorINSA_10device_ptrItEEEEPS6_SG_NS0_5tupleIJSF_S6_EEENSH_IJSG_SG_EEES6_PlJNSB_9not_fun_tI7is_trueItEEEEEE10hipError_tPvRmT3_T4_T5_T6_T7_T9_mT8_P12ihipStream_tbDpT10_ENKUlT_T0_E_clISt17integral_constantIbLb0EES17_IbLb1EEEEDaS13_S14_EUlS13_E_NS1_11comp_targetILNS1_3genE3ELNS1_11target_archE908ELNS1_3gpuE7ELNS1_3repE0EEENS1_30default_config_static_selectorELNS0_4arch9wavefront6targetE0EEEvT1_,comdat
.Lfunc_end1200:
	.size	_ZN7rocprim17ROCPRIM_400000_NS6detail17trampoline_kernelINS0_14default_configENS1_25partition_config_selectorILNS1_17partition_subalgoE6EtNS0_10empty_typeEbEEZZNS1_14partition_implILS5_6ELb0ES3_mN6thrust23THRUST_200600_302600_NS6detail15normal_iteratorINSA_10device_ptrItEEEEPS6_SG_NS0_5tupleIJSF_S6_EEENSH_IJSG_SG_EEES6_PlJNSB_9not_fun_tI7is_trueItEEEEEE10hipError_tPvRmT3_T4_T5_T6_T7_T9_mT8_P12ihipStream_tbDpT10_ENKUlT_T0_E_clISt17integral_constantIbLb0EES17_IbLb1EEEEDaS13_S14_EUlS13_E_NS1_11comp_targetILNS1_3genE3ELNS1_11target_archE908ELNS1_3gpuE7ELNS1_3repE0EEENS1_30default_config_static_selectorELNS0_4arch9wavefront6targetE0EEEvT1_, .Lfunc_end1200-_ZN7rocprim17ROCPRIM_400000_NS6detail17trampoline_kernelINS0_14default_configENS1_25partition_config_selectorILNS1_17partition_subalgoE6EtNS0_10empty_typeEbEEZZNS1_14partition_implILS5_6ELb0ES3_mN6thrust23THRUST_200600_302600_NS6detail15normal_iteratorINSA_10device_ptrItEEEEPS6_SG_NS0_5tupleIJSF_S6_EEENSH_IJSG_SG_EEES6_PlJNSB_9not_fun_tI7is_trueItEEEEEE10hipError_tPvRmT3_T4_T5_T6_T7_T9_mT8_P12ihipStream_tbDpT10_ENKUlT_T0_E_clISt17integral_constantIbLb0EES17_IbLb1EEEEDaS13_S14_EUlS13_E_NS1_11comp_targetILNS1_3genE3ELNS1_11target_archE908ELNS1_3gpuE7ELNS1_3repE0EEENS1_30default_config_static_selectorELNS0_4arch9wavefront6targetE0EEEvT1_
                                        ; -- End function
	.set _ZN7rocprim17ROCPRIM_400000_NS6detail17trampoline_kernelINS0_14default_configENS1_25partition_config_selectorILNS1_17partition_subalgoE6EtNS0_10empty_typeEbEEZZNS1_14partition_implILS5_6ELb0ES3_mN6thrust23THRUST_200600_302600_NS6detail15normal_iteratorINSA_10device_ptrItEEEEPS6_SG_NS0_5tupleIJSF_S6_EEENSH_IJSG_SG_EEES6_PlJNSB_9not_fun_tI7is_trueItEEEEEE10hipError_tPvRmT3_T4_T5_T6_T7_T9_mT8_P12ihipStream_tbDpT10_ENKUlT_T0_E_clISt17integral_constantIbLb0EES17_IbLb1EEEEDaS13_S14_EUlS13_E_NS1_11comp_targetILNS1_3genE3ELNS1_11target_archE908ELNS1_3gpuE7ELNS1_3repE0EEENS1_30default_config_static_selectorELNS0_4arch9wavefront6targetE0EEEvT1_.num_vgpr, 0
	.set _ZN7rocprim17ROCPRIM_400000_NS6detail17trampoline_kernelINS0_14default_configENS1_25partition_config_selectorILNS1_17partition_subalgoE6EtNS0_10empty_typeEbEEZZNS1_14partition_implILS5_6ELb0ES3_mN6thrust23THRUST_200600_302600_NS6detail15normal_iteratorINSA_10device_ptrItEEEEPS6_SG_NS0_5tupleIJSF_S6_EEENSH_IJSG_SG_EEES6_PlJNSB_9not_fun_tI7is_trueItEEEEEE10hipError_tPvRmT3_T4_T5_T6_T7_T9_mT8_P12ihipStream_tbDpT10_ENKUlT_T0_E_clISt17integral_constantIbLb0EES17_IbLb1EEEEDaS13_S14_EUlS13_E_NS1_11comp_targetILNS1_3genE3ELNS1_11target_archE908ELNS1_3gpuE7ELNS1_3repE0EEENS1_30default_config_static_selectorELNS0_4arch9wavefront6targetE0EEEvT1_.num_agpr, 0
	.set _ZN7rocprim17ROCPRIM_400000_NS6detail17trampoline_kernelINS0_14default_configENS1_25partition_config_selectorILNS1_17partition_subalgoE6EtNS0_10empty_typeEbEEZZNS1_14partition_implILS5_6ELb0ES3_mN6thrust23THRUST_200600_302600_NS6detail15normal_iteratorINSA_10device_ptrItEEEEPS6_SG_NS0_5tupleIJSF_S6_EEENSH_IJSG_SG_EEES6_PlJNSB_9not_fun_tI7is_trueItEEEEEE10hipError_tPvRmT3_T4_T5_T6_T7_T9_mT8_P12ihipStream_tbDpT10_ENKUlT_T0_E_clISt17integral_constantIbLb0EES17_IbLb1EEEEDaS13_S14_EUlS13_E_NS1_11comp_targetILNS1_3genE3ELNS1_11target_archE908ELNS1_3gpuE7ELNS1_3repE0EEENS1_30default_config_static_selectorELNS0_4arch9wavefront6targetE0EEEvT1_.numbered_sgpr, 0
	.set _ZN7rocprim17ROCPRIM_400000_NS6detail17trampoline_kernelINS0_14default_configENS1_25partition_config_selectorILNS1_17partition_subalgoE6EtNS0_10empty_typeEbEEZZNS1_14partition_implILS5_6ELb0ES3_mN6thrust23THRUST_200600_302600_NS6detail15normal_iteratorINSA_10device_ptrItEEEEPS6_SG_NS0_5tupleIJSF_S6_EEENSH_IJSG_SG_EEES6_PlJNSB_9not_fun_tI7is_trueItEEEEEE10hipError_tPvRmT3_T4_T5_T6_T7_T9_mT8_P12ihipStream_tbDpT10_ENKUlT_T0_E_clISt17integral_constantIbLb0EES17_IbLb1EEEEDaS13_S14_EUlS13_E_NS1_11comp_targetILNS1_3genE3ELNS1_11target_archE908ELNS1_3gpuE7ELNS1_3repE0EEENS1_30default_config_static_selectorELNS0_4arch9wavefront6targetE0EEEvT1_.num_named_barrier, 0
	.set _ZN7rocprim17ROCPRIM_400000_NS6detail17trampoline_kernelINS0_14default_configENS1_25partition_config_selectorILNS1_17partition_subalgoE6EtNS0_10empty_typeEbEEZZNS1_14partition_implILS5_6ELb0ES3_mN6thrust23THRUST_200600_302600_NS6detail15normal_iteratorINSA_10device_ptrItEEEEPS6_SG_NS0_5tupleIJSF_S6_EEENSH_IJSG_SG_EEES6_PlJNSB_9not_fun_tI7is_trueItEEEEEE10hipError_tPvRmT3_T4_T5_T6_T7_T9_mT8_P12ihipStream_tbDpT10_ENKUlT_T0_E_clISt17integral_constantIbLb0EES17_IbLb1EEEEDaS13_S14_EUlS13_E_NS1_11comp_targetILNS1_3genE3ELNS1_11target_archE908ELNS1_3gpuE7ELNS1_3repE0EEENS1_30default_config_static_selectorELNS0_4arch9wavefront6targetE0EEEvT1_.private_seg_size, 0
	.set _ZN7rocprim17ROCPRIM_400000_NS6detail17trampoline_kernelINS0_14default_configENS1_25partition_config_selectorILNS1_17partition_subalgoE6EtNS0_10empty_typeEbEEZZNS1_14partition_implILS5_6ELb0ES3_mN6thrust23THRUST_200600_302600_NS6detail15normal_iteratorINSA_10device_ptrItEEEEPS6_SG_NS0_5tupleIJSF_S6_EEENSH_IJSG_SG_EEES6_PlJNSB_9not_fun_tI7is_trueItEEEEEE10hipError_tPvRmT3_T4_T5_T6_T7_T9_mT8_P12ihipStream_tbDpT10_ENKUlT_T0_E_clISt17integral_constantIbLb0EES17_IbLb1EEEEDaS13_S14_EUlS13_E_NS1_11comp_targetILNS1_3genE3ELNS1_11target_archE908ELNS1_3gpuE7ELNS1_3repE0EEENS1_30default_config_static_selectorELNS0_4arch9wavefront6targetE0EEEvT1_.uses_vcc, 0
	.set _ZN7rocprim17ROCPRIM_400000_NS6detail17trampoline_kernelINS0_14default_configENS1_25partition_config_selectorILNS1_17partition_subalgoE6EtNS0_10empty_typeEbEEZZNS1_14partition_implILS5_6ELb0ES3_mN6thrust23THRUST_200600_302600_NS6detail15normal_iteratorINSA_10device_ptrItEEEEPS6_SG_NS0_5tupleIJSF_S6_EEENSH_IJSG_SG_EEES6_PlJNSB_9not_fun_tI7is_trueItEEEEEE10hipError_tPvRmT3_T4_T5_T6_T7_T9_mT8_P12ihipStream_tbDpT10_ENKUlT_T0_E_clISt17integral_constantIbLb0EES17_IbLb1EEEEDaS13_S14_EUlS13_E_NS1_11comp_targetILNS1_3genE3ELNS1_11target_archE908ELNS1_3gpuE7ELNS1_3repE0EEENS1_30default_config_static_selectorELNS0_4arch9wavefront6targetE0EEEvT1_.uses_flat_scratch, 0
	.set _ZN7rocprim17ROCPRIM_400000_NS6detail17trampoline_kernelINS0_14default_configENS1_25partition_config_selectorILNS1_17partition_subalgoE6EtNS0_10empty_typeEbEEZZNS1_14partition_implILS5_6ELb0ES3_mN6thrust23THRUST_200600_302600_NS6detail15normal_iteratorINSA_10device_ptrItEEEEPS6_SG_NS0_5tupleIJSF_S6_EEENSH_IJSG_SG_EEES6_PlJNSB_9not_fun_tI7is_trueItEEEEEE10hipError_tPvRmT3_T4_T5_T6_T7_T9_mT8_P12ihipStream_tbDpT10_ENKUlT_T0_E_clISt17integral_constantIbLb0EES17_IbLb1EEEEDaS13_S14_EUlS13_E_NS1_11comp_targetILNS1_3genE3ELNS1_11target_archE908ELNS1_3gpuE7ELNS1_3repE0EEENS1_30default_config_static_selectorELNS0_4arch9wavefront6targetE0EEEvT1_.has_dyn_sized_stack, 0
	.set _ZN7rocprim17ROCPRIM_400000_NS6detail17trampoline_kernelINS0_14default_configENS1_25partition_config_selectorILNS1_17partition_subalgoE6EtNS0_10empty_typeEbEEZZNS1_14partition_implILS5_6ELb0ES3_mN6thrust23THRUST_200600_302600_NS6detail15normal_iteratorINSA_10device_ptrItEEEEPS6_SG_NS0_5tupleIJSF_S6_EEENSH_IJSG_SG_EEES6_PlJNSB_9not_fun_tI7is_trueItEEEEEE10hipError_tPvRmT3_T4_T5_T6_T7_T9_mT8_P12ihipStream_tbDpT10_ENKUlT_T0_E_clISt17integral_constantIbLb0EES17_IbLb1EEEEDaS13_S14_EUlS13_E_NS1_11comp_targetILNS1_3genE3ELNS1_11target_archE908ELNS1_3gpuE7ELNS1_3repE0EEENS1_30default_config_static_selectorELNS0_4arch9wavefront6targetE0EEEvT1_.has_recursion, 0
	.set _ZN7rocprim17ROCPRIM_400000_NS6detail17trampoline_kernelINS0_14default_configENS1_25partition_config_selectorILNS1_17partition_subalgoE6EtNS0_10empty_typeEbEEZZNS1_14partition_implILS5_6ELb0ES3_mN6thrust23THRUST_200600_302600_NS6detail15normal_iteratorINSA_10device_ptrItEEEEPS6_SG_NS0_5tupleIJSF_S6_EEENSH_IJSG_SG_EEES6_PlJNSB_9not_fun_tI7is_trueItEEEEEE10hipError_tPvRmT3_T4_T5_T6_T7_T9_mT8_P12ihipStream_tbDpT10_ENKUlT_T0_E_clISt17integral_constantIbLb0EES17_IbLb1EEEEDaS13_S14_EUlS13_E_NS1_11comp_targetILNS1_3genE3ELNS1_11target_archE908ELNS1_3gpuE7ELNS1_3repE0EEENS1_30default_config_static_selectorELNS0_4arch9wavefront6targetE0EEEvT1_.has_indirect_call, 0
	.section	.AMDGPU.csdata,"",@progbits
; Kernel info:
; codeLenInByte = 0
; TotalNumSgprs: 0
; NumVgprs: 0
; ScratchSize: 0
; MemoryBound: 0
; FloatMode: 240
; IeeeMode: 1
; LDSByteSize: 0 bytes/workgroup (compile time only)
; SGPRBlocks: 0
; VGPRBlocks: 0
; NumSGPRsForWavesPerEU: 1
; NumVGPRsForWavesPerEU: 1
; Occupancy: 16
; WaveLimiterHint : 0
; COMPUTE_PGM_RSRC2:SCRATCH_EN: 0
; COMPUTE_PGM_RSRC2:USER_SGPR: 2
; COMPUTE_PGM_RSRC2:TRAP_HANDLER: 0
; COMPUTE_PGM_RSRC2:TGID_X_EN: 1
; COMPUTE_PGM_RSRC2:TGID_Y_EN: 0
; COMPUTE_PGM_RSRC2:TGID_Z_EN: 0
; COMPUTE_PGM_RSRC2:TIDIG_COMP_CNT: 0
	.section	.text._ZN7rocprim17ROCPRIM_400000_NS6detail17trampoline_kernelINS0_14default_configENS1_25partition_config_selectorILNS1_17partition_subalgoE6EtNS0_10empty_typeEbEEZZNS1_14partition_implILS5_6ELb0ES3_mN6thrust23THRUST_200600_302600_NS6detail15normal_iteratorINSA_10device_ptrItEEEEPS6_SG_NS0_5tupleIJSF_S6_EEENSH_IJSG_SG_EEES6_PlJNSB_9not_fun_tI7is_trueItEEEEEE10hipError_tPvRmT3_T4_T5_T6_T7_T9_mT8_P12ihipStream_tbDpT10_ENKUlT_T0_E_clISt17integral_constantIbLb0EES17_IbLb1EEEEDaS13_S14_EUlS13_E_NS1_11comp_targetILNS1_3genE2ELNS1_11target_archE906ELNS1_3gpuE6ELNS1_3repE0EEENS1_30default_config_static_selectorELNS0_4arch9wavefront6targetE0EEEvT1_,"axG",@progbits,_ZN7rocprim17ROCPRIM_400000_NS6detail17trampoline_kernelINS0_14default_configENS1_25partition_config_selectorILNS1_17partition_subalgoE6EtNS0_10empty_typeEbEEZZNS1_14partition_implILS5_6ELb0ES3_mN6thrust23THRUST_200600_302600_NS6detail15normal_iteratorINSA_10device_ptrItEEEEPS6_SG_NS0_5tupleIJSF_S6_EEENSH_IJSG_SG_EEES6_PlJNSB_9not_fun_tI7is_trueItEEEEEE10hipError_tPvRmT3_T4_T5_T6_T7_T9_mT8_P12ihipStream_tbDpT10_ENKUlT_T0_E_clISt17integral_constantIbLb0EES17_IbLb1EEEEDaS13_S14_EUlS13_E_NS1_11comp_targetILNS1_3genE2ELNS1_11target_archE906ELNS1_3gpuE6ELNS1_3repE0EEENS1_30default_config_static_selectorELNS0_4arch9wavefront6targetE0EEEvT1_,comdat
	.protected	_ZN7rocprim17ROCPRIM_400000_NS6detail17trampoline_kernelINS0_14default_configENS1_25partition_config_selectorILNS1_17partition_subalgoE6EtNS0_10empty_typeEbEEZZNS1_14partition_implILS5_6ELb0ES3_mN6thrust23THRUST_200600_302600_NS6detail15normal_iteratorINSA_10device_ptrItEEEEPS6_SG_NS0_5tupleIJSF_S6_EEENSH_IJSG_SG_EEES6_PlJNSB_9not_fun_tI7is_trueItEEEEEE10hipError_tPvRmT3_T4_T5_T6_T7_T9_mT8_P12ihipStream_tbDpT10_ENKUlT_T0_E_clISt17integral_constantIbLb0EES17_IbLb1EEEEDaS13_S14_EUlS13_E_NS1_11comp_targetILNS1_3genE2ELNS1_11target_archE906ELNS1_3gpuE6ELNS1_3repE0EEENS1_30default_config_static_selectorELNS0_4arch9wavefront6targetE0EEEvT1_ ; -- Begin function _ZN7rocprim17ROCPRIM_400000_NS6detail17trampoline_kernelINS0_14default_configENS1_25partition_config_selectorILNS1_17partition_subalgoE6EtNS0_10empty_typeEbEEZZNS1_14partition_implILS5_6ELb0ES3_mN6thrust23THRUST_200600_302600_NS6detail15normal_iteratorINSA_10device_ptrItEEEEPS6_SG_NS0_5tupleIJSF_S6_EEENSH_IJSG_SG_EEES6_PlJNSB_9not_fun_tI7is_trueItEEEEEE10hipError_tPvRmT3_T4_T5_T6_T7_T9_mT8_P12ihipStream_tbDpT10_ENKUlT_T0_E_clISt17integral_constantIbLb0EES17_IbLb1EEEEDaS13_S14_EUlS13_E_NS1_11comp_targetILNS1_3genE2ELNS1_11target_archE906ELNS1_3gpuE6ELNS1_3repE0EEENS1_30default_config_static_selectorELNS0_4arch9wavefront6targetE0EEEvT1_
	.globl	_ZN7rocprim17ROCPRIM_400000_NS6detail17trampoline_kernelINS0_14default_configENS1_25partition_config_selectorILNS1_17partition_subalgoE6EtNS0_10empty_typeEbEEZZNS1_14partition_implILS5_6ELb0ES3_mN6thrust23THRUST_200600_302600_NS6detail15normal_iteratorINSA_10device_ptrItEEEEPS6_SG_NS0_5tupleIJSF_S6_EEENSH_IJSG_SG_EEES6_PlJNSB_9not_fun_tI7is_trueItEEEEEE10hipError_tPvRmT3_T4_T5_T6_T7_T9_mT8_P12ihipStream_tbDpT10_ENKUlT_T0_E_clISt17integral_constantIbLb0EES17_IbLb1EEEEDaS13_S14_EUlS13_E_NS1_11comp_targetILNS1_3genE2ELNS1_11target_archE906ELNS1_3gpuE6ELNS1_3repE0EEENS1_30default_config_static_selectorELNS0_4arch9wavefront6targetE0EEEvT1_
	.p2align	8
	.type	_ZN7rocprim17ROCPRIM_400000_NS6detail17trampoline_kernelINS0_14default_configENS1_25partition_config_selectorILNS1_17partition_subalgoE6EtNS0_10empty_typeEbEEZZNS1_14partition_implILS5_6ELb0ES3_mN6thrust23THRUST_200600_302600_NS6detail15normal_iteratorINSA_10device_ptrItEEEEPS6_SG_NS0_5tupleIJSF_S6_EEENSH_IJSG_SG_EEES6_PlJNSB_9not_fun_tI7is_trueItEEEEEE10hipError_tPvRmT3_T4_T5_T6_T7_T9_mT8_P12ihipStream_tbDpT10_ENKUlT_T0_E_clISt17integral_constantIbLb0EES17_IbLb1EEEEDaS13_S14_EUlS13_E_NS1_11comp_targetILNS1_3genE2ELNS1_11target_archE906ELNS1_3gpuE6ELNS1_3repE0EEENS1_30default_config_static_selectorELNS0_4arch9wavefront6targetE0EEEvT1_,@function
_ZN7rocprim17ROCPRIM_400000_NS6detail17trampoline_kernelINS0_14default_configENS1_25partition_config_selectorILNS1_17partition_subalgoE6EtNS0_10empty_typeEbEEZZNS1_14partition_implILS5_6ELb0ES3_mN6thrust23THRUST_200600_302600_NS6detail15normal_iteratorINSA_10device_ptrItEEEEPS6_SG_NS0_5tupleIJSF_S6_EEENSH_IJSG_SG_EEES6_PlJNSB_9not_fun_tI7is_trueItEEEEEE10hipError_tPvRmT3_T4_T5_T6_T7_T9_mT8_P12ihipStream_tbDpT10_ENKUlT_T0_E_clISt17integral_constantIbLb0EES17_IbLb1EEEEDaS13_S14_EUlS13_E_NS1_11comp_targetILNS1_3genE2ELNS1_11target_archE906ELNS1_3gpuE6ELNS1_3repE0EEENS1_30default_config_static_selectorELNS0_4arch9wavefront6targetE0EEEvT1_: ; @_ZN7rocprim17ROCPRIM_400000_NS6detail17trampoline_kernelINS0_14default_configENS1_25partition_config_selectorILNS1_17partition_subalgoE6EtNS0_10empty_typeEbEEZZNS1_14partition_implILS5_6ELb0ES3_mN6thrust23THRUST_200600_302600_NS6detail15normal_iteratorINSA_10device_ptrItEEEEPS6_SG_NS0_5tupleIJSF_S6_EEENSH_IJSG_SG_EEES6_PlJNSB_9not_fun_tI7is_trueItEEEEEE10hipError_tPvRmT3_T4_T5_T6_T7_T9_mT8_P12ihipStream_tbDpT10_ENKUlT_T0_E_clISt17integral_constantIbLb0EES17_IbLb1EEEEDaS13_S14_EUlS13_E_NS1_11comp_targetILNS1_3genE2ELNS1_11target_archE906ELNS1_3gpuE6ELNS1_3repE0EEENS1_30default_config_static_selectorELNS0_4arch9wavefront6targetE0EEEvT1_
; %bb.0:
	.section	.rodata,"a",@progbits
	.p2align	6, 0x0
	.amdhsa_kernel _ZN7rocprim17ROCPRIM_400000_NS6detail17trampoline_kernelINS0_14default_configENS1_25partition_config_selectorILNS1_17partition_subalgoE6EtNS0_10empty_typeEbEEZZNS1_14partition_implILS5_6ELb0ES3_mN6thrust23THRUST_200600_302600_NS6detail15normal_iteratorINSA_10device_ptrItEEEEPS6_SG_NS0_5tupleIJSF_S6_EEENSH_IJSG_SG_EEES6_PlJNSB_9not_fun_tI7is_trueItEEEEEE10hipError_tPvRmT3_T4_T5_T6_T7_T9_mT8_P12ihipStream_tbDpT10_ENKUlT_T0_E_clISt17integral_constantIbLb0EES17_IbLb1EEEEDaS13_S14_EUlS13_E_NS1_11comp_targetILNS1_3genE2ELNS1_11target_archE906ELNS1_3gpuE6ELNS1_3repE0EEENS1_30default_config_static_selectorELNS0_4arch9wavefront6targetE0EEEvT1_
		.amdhsa_group_segment_fixed_size 0
		.amdhsa_private_segment_fixed_size 0
		.amdhsa_kernarg_size 128
		.amdhsa_user_sgpr_count 2
		.amdhsa_user_sgpr_dispatch_ptr 0
		.amdhsa_user_sgpr_queue_ptr 0
		.amdhsa_user_sgpr_kernarg_segment_ptr 1
		.amdhsa_user_sgpr_dispatch_id 0
		.amdhsa_user_sgpr_private_segment_size 0
		.amdhsa_wavefront_size32 1
		.amdhsa_uses_dynamic_stack 0
		.amdhsa_enable_private_segment 0
		.amdhsa_system_sgpr_workgroup_id_x 1
		.amdhsa_system_sgpr_workgroup_id_y 0
		.amdhsa_system_sgpr_workgroup_id_z 0
		.amdhsa_system_sgpr_workgroup_info 0
		.amdhsa_system_vgpr_workitem_id 0
		.amdhsa_next_free_vgpr 1
		.amdhsa_next_free_sgpr 1
		.amdhsa_reserve_vcc 0
		.amdhsa_float_round_mode_32 0
		.amdhsa_float_round_mode_16_64 0
		.amdhsa_float_denorm_mode_32 3
		.amdhsa_float_denorm_mode_16_64 3
		.amdhsa_fp16_overflow 0
		.amdhsa_workgroup_processor_mode 1
		.amdhsa_memory_ordered 1
		.amdhsa_forward_progress 1
		.amdhsa_inst_pref_size 0
		.amdhsa_round_robin_scheduling 0
		.amdhsa_exception_fp_ieee_invalid_op 0
		.amdhsa_exception_fp_denorm_src 0
		.amdhsa_exception_fp_ieee_div_zero 0
		.amdhsa_exception_fp_ieee_overflow 0
		.amdhsa_exception_fp_ieee_underflow 0
		.amdhsa_exception_fp_ieee_inexact 0
		.amdhsa_exception_int_div_zero 0
	.end_amdhsa_kernel
	.section	.text._ZN7rocprim17ROCPRIM_400000_NS6detail17trampoline_kernelINS0_14default_configENS1_25partition_config_selectorILNS1_17partition_subalgoE6EtNS0_10empty_typeEbEEZZNS1_14partition_implILS5_6ELb0ES3_mN6thrust23THRUST_200600_302600_NS6detail15normal_iteratorINSA_10device_ptrItEEEEPS6_SG_NS0_5tupleIJSF_S6_EEENSH_IJSG_SG_EEES6_PlJNSB_9not_fun_tI7is_trueItEEEEEE10hipError_tPvRmT3_T4_T5_T6_T7_T9_mT8_P12ihipStream_tbDpT10_ENKUlT_T0_E_clISt17integral_constantIbLb0EES17_IbLb1EEEEDaS13_S14_EUlS13_E_NS1_11comp_targetILNS1_3genE2ELNS1_11target_archE906ELNS1_3gpuE6ELNS1_3repE0EEENS1_30default_config_static_selectorELNS0_4arch9wavefront6targetE0EEEvT1_,"axG",@progbits,_ZN7rocprim17ROCPRIM_400000_NS6detail17trampoline_kernelINS0_14default_configENS1_25partition_config_selectorILNS1_17partition_subalgoE6EtNS0_10empty_typeEbEEZZNS1_14partition_implILS5_6ELb0ES3_mN6thrust23THRUST_200600_302600_NS6detail15normal_iteratorINSA_10device_ptrItEEEEPS6_SG_NS0_5tupleIJSF_S6_EEENSH_IJSG_SG_EEES6_PlJNSB_9not_fun_tI7is_trueItEEEEEE10hipError_tPvRmT3_T4_T5_T6_T7_T9_mT8_P12ihipStream_tbDpT10_ENKUlT_T0_E_clISt17integral_constantIbLb0EES17_IbLb1EEEEDaS13_S14_EUlS13_E_NS1_11comp_targetILNS1_3genE2ELNS1_11target_archE906ELNS1_3gpuE6ELNS1_3repE0EEENS1_30default_config_static_selectorELNS0_4arch9wavefront6targetE0EEEvT1_,comdat
.Lfunc_end1201:
	.size	_ZN7rocprim17ROCPRIM_400000_NS6detail17trampoline_kernelINS0_14default_configENS1_25partition_config_selectorILNS1_17partition_subalgoE6EtNS0_10empty_typeEbEEZZNS1_14partition_implILS5_6ELb0ES3_mN6thrust23THRUST_200600_302600_NS6detail15normal_iteratorINSA_10device_ptrItEEEEPS6_SG_NS0_5tupleIJSF_S6_EEENSH_IJSG_SG_EEES6_PlJNSB_9not_fun_tI7is_trueItEEEEEE10hipError_tPvRmT3_T4_T5_T6_T7_T9_mT8_P12ihipStream_tbDpT10_ENKUlT_T0_E_clISt17integral_constantIbLb0EES17_IbLb1EEEEDaS13_S14_EUlS13_E_NS1_11comp_targetILNS1_3genE2ELNS1_11target_archE906ELNS1_3gpuE6ELNS1_3repE0EEENS1_30default_config_static_selectorELNS0_4arch9wavefront6targetE0EEEvT1_, .Lfunc_end1201-_ZN7rocprim17ROCPRIM_400000_NS6detail17trampoline_kernelINS0_14default_configENS1_25partition_config_selectorILNS1_17partition_subalgoE6EtNS0_10empty_typeEbEEZZNS1_14partition_implILS5_6ELb0ES3_mN6thrust23THRUST_200600_302600_NS6detail15normal_iteratorINSA_10device_ptrItEEEEPS6_SG_NS0_5tupleIJSF_S6_EEENSH_IJSG_SG_EEES6_PlJNSB_9not_fun_tI7is_trueItEEEEEE10hipError_tPvRmT3_T4_T5_T6_T7_T9_mT8_P12ihipStream_tbDpT10_ENKUlT_T0_E_clISt17integral_constantIbLb0EES17_IbLb1EEEEDaS13_S14_EUlS13_E_NS1_11comp_targetILNS1_3genE2ELNS1_11target_archE906ELNS1_3gpuE6ELNS1_3repE0EEENS1_30default_config_static_selectorELNS0_4arch9wavefront6targetE0EEEvT1_
                                        ; -- End function
	.set _ZN7rocprim17ROCPRIM_400000_NS6detail17trampoline_kernelINS0_14default_configENS1_25partition_config_selectorILNS1_17partition_subalgoE6EtNS0_10empty_typeEbEEZZNS1_14partition_implILS5_6ELb0ES3_mN6thrust23THRUST_200600_302600_NS6detail15normal_iteratorINSA_10device_ptrItEEEEPS6_SG_NS0_5tupleIJSF_S6_EEENSH_IJSG_SG_EEES6_PlJNSB_9not_fun_tI7is_trueItEEEEEE10hipError_tPvRmT3_T4_T5_T6_T7_T9_mT8_P12ihipStream_tbDpT10_ENKUlT_T0_E_clISt17integral_constantIbLb0EES17_IbLb1EEEEDaS13_S14_EUlS13_E_NS1_11comp_targetILNS1_3genE2ELNS1_11target_archE906ELNS1_3gpuE6ELNS1_3repE0EEENS1_30default_config_static_selectorELNS0_4arch9wavefront6targetE0EEEvT1_.num_vgpr, 0
	.set _ZN7rocprim17ROCPRIM_400000_NS6detail17trampoline_kernelINS0_14default_configENS1_25partition_config_selectorILNS1_17partition_subalgoE6EtNS0_10empty_typeEbEEZZNS1_14partition_implILS5_6ELb0ES3_mN6thrust23THRUST_200600_302600_NS6detail15normal_iteratorINSA_10device_ptrItEEEEPS6_SG_NS0_5tupleIJSF_S6_EEENSH_IJSG_SG_EEES6_PlJNSB_9not_fun_tI7is_trueItEEEEEE10hipError_tPvRmT3_T4_T5_T6_T7_T9_mT8_P12ihipStream_tbDpT10_ENKUlT_T0_E_clISt17integral_constantIbLb0EES17_IbLb1EEEEDaS13_S14_EUlS13_E_NS1_11comp_targetILNS1_3genE2ELNS1_11target_archE906ELNS1_3gpuE6ELNS1_3repE0EEENS1_30default_config_static_selectorELNS0_4arch9wavefront6targetE0EEEvT1_.num_agpr, 0
	.set _ZN7rocprim17ROCPRIM_400000_NS6detail17trampoline_kernelINS0_14default_configENS1_25partition_config_selectorILNS1_17partition_subalgoE6EtNS0_10empty_typeEbEEZZNS1_14partition_implILS5_6ELb0ES3_mN6thrust23THRUST_200600_302600_NS6detail15normal_iteratorINSA_10device_ptrItEEEEPS6_SG_NS0_5tupleIJSF_S6_EEENSH_IJSG_SG_EEES6_PlJNSB_9not_fun_tI7is_trueItEEEEEE10hipError_tPvRmT3_T4_T5_T6_T7_T9_mT8_P12ihipStream_tbDpT10_ENKUlT_T0_E_clISt17integral_constantIbLb0EES17_IbLb1EEEEDaS13_S14_EUlS13_E_NS1_11comp_targetILNS1_3genE2ELNS1_11target_archE906ELNS1_3gpuE6ELNS1_3repE0EEENS1_30default_config_static_selectorELNS0_4arch9wavefront6targetE0EEEvT1_.numbered_sgpr, 0
	.set _ZN7rocprim17ROCPRIM_400000_NS6detail17trampoline_kernelINS0_14default_configENS1_25partition_config_selectorILNS1_17partition_subalgoE6EtNS0_10empty_typeEbEEZZNS1_14partition_implILS5_6ELb0ES3_mN6thrust23THRUST_200600_302600_NS6detail15normal_iteratorINSA_10device_ptrItEEEEPS6_SG_NS0_5tupleIJSF_S6_EEENSH_IJSG_SG_EEES6_PlJNSB_9not_fun_tI7is_trueItEEEEEE10hipError_tPvRmT3_T4_T5_T6_T7_T9_mT8_P12ihipStream_tbDpT10_ENKUlT_T0_E_clISt17integral_constantIbLb0EES17_IbLb1EEEEDaS13_S14_EUlS13_E_NS1_11comp_targetILNS1_3genE2ELNS1_11target_archE906ELNS1_3gpuE6ELNS1_3repE0EEENS1_30default_config_static_selectorELNS0_4arch9wavefront6targetE0EEEvT1_.num_named_barrier, 0
	.set _ZN7rocprim17ROCPRIM_400000_NS6detail17trampoline_kernelINS0_14default_configENS1_25partition_config_selectorILNS1_17partition_subalgoE6EtNS0_10empty_typeEbEEZZNS1_14partition_implILS5_6ELb0ES3_mN6thrust23THRUST_200600_302600_NS6detail15normal_iteratorINSA_10device_ptrItEEEEPS6_SG_NS0_5tupleIJSF_S6_EEENSH_IJSG_SG_EEES6_PlJNSB_9not_fun_tI7is_trueItEEEEEE10hipError_tPvRmT3_T4_T5_T6_T7_T9_mT8_P12ihipStream_tbDpT10_ENKUlT_T0_E_clISt17integral_constantIbLb0EES17_IbLb1EEEEDaS13_S14_EUlS13_E_NS1_11comp_targetILNS1_3genE2ELNS1_11target_archE906ELNS1_3gpuE6ELNS1_3repE0EEENS1_30default_config_static_selectorELNS0_4arch9wavefront6targetE0EEEvT1_.private_seg_size, 0
	.set _ZN7rocprim17ROCPRIM_400000_NS6detail17trampoline_kernelINS0_14default_configENS1_25partition_config_selectorILNS1_17partition_subalgoE6EtNS0_10empty_typeEbEEZZNS1_14partition_implILS5_6ELb0ES3_mN6thrust23THRUST_200600_302600_NS6detail15normal_iteratorINSA_10device_ptrItEEEEPS6_SG_NS0_5tupleIJSF_S6_EEENSH_IJSG_SG_EEES6_PlJNSB_9not_fun_tI7is_trueItEEEEEE10hipError_tPvRmT3_T4_T5_T6_T7_T9_mT8_P12ihipStream_tbDpT10_ENKUlT_T0_E_clISt17integral_constantIbLb0EES17_IbLb1EEEEDaS13_S14_EUlS13_E_NS1_11comp_targetILNS1_3genE2ELNS1_11target_archE906ELNS1_3gpuE6ELNS1_3repE0EEENS1_30default_config_static_selectorELNS0_4arch9wavefront6targetE0EEEvT1_.uses_vcc, 0
	.set _ZN7rocprim17ROCPRIM_400000_NS6detail17trampoline_kernelINS0_14default_configENS1_25partition_config_selectorILNS1_17partition_subalgoE6EtNS0_10empty_typeEbEEZZNS1_14partition_implILS5_6ELb0ES3_mN6thrust23THRUST_200600_302600_NS6detail15normal_iteratorINSA_10device_ptrItEEEEPS6_SG_NS0_5tupleIJSF_S6_EEENSH_IJSG_SG_EEES6_PlJNSB_9not_fun_tI7is_trueItEEEEEE10hipError_tPvRmT3_T4_T5_T6_T7_T9_mT8_P12ihipStream_tbDpT10_ENKUlT_T0_E_clISt17integral_constantIbLb0EES17_IbLb1EEEEDaS13_S14_EUlS13_E_NS1_11comp_targetILNS1_3genE2ELNS1_11target_archE906ELNS1_3gpuE6ELNS1_3repE0EEENS1_30default_config_static_selectorELNS0_4arch9wavefront6targetE0EEEvT1_.uses_flat_scratch, 0
	.set _ZN7rocprim17ROCPRIM_400000_NS6detail17trampoline_kernelINS0_14default_configENS1_25partition_config_selectorILNS1_17partition_subalgoE6EtNS0_10empty_typeEbEEZZNS1_14partition_implILS5_6ELb0ES3_mN6thrust23THRUST_200600_302600_NS6detail15normal_iteratorINSA_10device_ptrItEEEEPS6_SG_NS0_5tupleIJSF_S6_EEENSH_IJSG_SG_EEES6_PlJNSB_9not_fun_tI7is_trueItEEEEEE10hipError_tPvRmT3_T4_T5_T6_T7_T9_mT8_P12ihipStream_tbDpT10_ENKUlT_T0_E_clISt17integral_constantIbLb0EES17_IbLb1EEEEDaS13_S14_EUlS13_E_NS1_11comp_targetILNS1_3genE2ELNS1_11target_archE906ELNS1_3gpuE6ELNS1_3repE0EEENS1_30default_config_static_selectorELNS0_4arch9wavefront6targetE0EEEvT1_.has_dyn_sized_stack, 0
	.set _ZN7rocprim17ROCPRIM_400000_NS6detail17trampoline_kernelINS0_14default_configENS1_25partition_config_selectorILNS1_17partition_subalgoE6EtNS0_10empty_typeEbEEZZNS1_14partition_implILS5_6ELb0ES3_mN6thrust23THRUST_200600_302600_NS6detail15normal_iteratorINSA_10device_ptrItEEEEPS6_SG_NS0_5tupleIJSF_S6_EEENSH_IJSG_SG_EEES6_PlJNSB_9not_fun_tI7is_trueItEEEEEE10hipError_tPvRmT3_T4_T5_T6_T7_T9_mT8_P12ihipStream_tbDpT10_ENKUlT_T0_E_clISt17integral_constantIbLb0EES17_IbLb1EEEEDaS13_S14_EUlS13_E_NS1_11comp_targetILNS1_3genE2ELNS1_11target_archE906ELNS1_3gpuE6ELNS1_3repE0EEENS1_30default_config_static_selectorELNS0_4arch9wavefront6targetE0EEEvT1_.has_recursion, 0
	.set _ZN7rocprim17ROCPRIM_400000_NS6detail17trampoline_kernelINS0_14default_configENS1_25partition_config_selectorILNS1_17partition_subalgoE6EtNS0_10empty_typeEbEEZZNS1_14partition_implILS5_6ELb0ES3_mN6thrust23THRUST_200600_302600_NS6detail15normal_iteratorINSA_10device_ptrItEEEEPS6_SG_NS0_5tupleIJSF_S6_EEENSH_IJSG_SG_EEES6_PlJNSB_9not_fun_tI7is_trueItEEEEEE10hipError_tPvRmT3_T4_T5_T6_T7_T9_mT8_P12ihipStream_tbDpT10_ENKUlT_T0_E_clISt17integral_constantIbLb0EES17_IbLb1EEEEDaS13_S14_EUlS13_E_NS1_11comp_targetILNS1_3genE2ELNS1_11target_archE906ELNS1_3gpuE6ELNS1_3repE0EEENS1_30default_config_static_selectorELNS0_4arch9wavefront6targetE0EEEvT1_.has_indirect_call, 0
	.section	.AMDGPU.csdata,"",@progbits
; Kernel info:
; codeLenInByte = 0
; TotalNumSgprs: 0
; NumVgprs: 0
; ScratchSize: 0
; MemoryBound: 0
; FloatMode: 240
; IeeeMode: 1
; LDSByteSize: 0 bytes/workgroup (compile time only)
; SGPRBlocks: 0
; VGPRBlocks: 0
; NumSGPRsForWavesPerEU: 1
; NumVGPRsForWavesPerEU: 1
; Occupancy: 16
; WaveLimiterHint : 0
; COMPUTE_PGM_RSRC2:SCRATCH_EN: 0
; COMPUTE_PGM_RSRC2:USER_SGPR: 2
; COMPUTE_PGM_RSRC2:TRAP_HANDLER: 0
; COMPUTE_PGM_RSRC2:TGID_X_EN: 1
; COMPUTE_PGM_RSRC2:TGID_Y_EN: 0
; COMPUTE_PGM_RSRC2:TGID_Z_EN: 0
; COMPUTE_PGM_RSRC2:TIDIG_COMP_CNT: 0
	.section	.text._ZN7rocprim17ROCPRIM_400000_NS6detail17trampoline_kernelINS0_14default_configENS1_25partition_config_selectorILNS1_17partition_subalgoE6EtNS0_10empty_typeEbEEZZNS1_14partition_implILS5_6ELb0ES3_mN6thrust23THRUST_200600_302600_NS6detail15normal_iteratorINSA_10device_ptrItEEEEPS6_SG_NS0_5tupleIJSF_S6_EEENSH_IJSG_SG_EEES6_PlJNSB_9not_fun_tI7is_trueItEEEEEE10hipError_tPvRmT3_T4_T5_T6_T7_T9_mT8_P12ihipStream_tbDpT10_ENKUlT_T0_E_clISt17integral_constantIbLb0EES17_IbLb1EEEEDaS13_S14_EUlS13_E_NS1_11comp_targetILNS1_3genE10ELNS1_11target_archE1200ELNS1_3gpuE4ELNS1_3repE0EEENS1_30default_config_static_selectorELNS0_4arch9wavefront6targetE0EEEvT1_,"axG",@progbits,_ZN7rocprim17ROCPRIM_400000_NS6detail17trampoline_kernelINS0_14default_configENS1_25partition_config_selectorILNS1_17partition_subalgoE6EtNS0_10empty_typeEbEEZZNS1_14partition_implILS5_6ELb0ES3_mN6thrust23THRUST_200600_302600_NS6detail15normal_iteratorINSA_10device_ptrItEEEEPS6_SG_NS0_5tupleIJSF_S6_EEENSH_IJSG_SG_EEES6_PlJNSB_9not_fun_tI7is_trueItEEEEEE10hipError_tPvRmT3_T4_T5_T6_T7_T9_mT8_P12ihipStream_tbDpT10_ENKUlT_T0_E_clISt17integral_constantIbLb0EES17_IbLb1EEEEDaS13_S14_EUlS13_E_NS1_11comp_targetILNS1_3genE10ELNS1_11target_archE1200ELNS1_3gpuE4ELNS1_3repE0EEENS1_30default_config_static_selectorELNS0_4arch9wavefront6targetE0EEEvT1_,comdat
	.protected	_ZN7rocprim17ROCPRIM_400000_NS6detail17trampoline_kernelINS0_14default_configENS1_25partition_config_selectorILNS1_17partition_subalgoE6EtNS0_10empty_typeEbEEZZNS1_14partition_implILS5_6ELb0ES3_mN6thrust23THRUST_200600_302600_NS6detail15normal_iteratorINSA_10device_ptrItEEEEPS6_SG_NS0_5tupleIJSF_S6_EEENSH_IJSG_SG_EEES6_PlJNSB_9not_fun_tI7is_trueItEEEEEE10hipError_tPvRmT3_T4_T5_T6_T7_T9_mT8_P12ihipStream_tbDpT10_ENKUlT_T0_E_clISt17integral_constantIbLb0EES17_IbLb1EEEEDaS13_S14_EUlS13_E_NS1_11comp_targetILNS1_3genE10ELNS1_11target_archE1200ELNS1_3gpuE4ELNS1_3repE0EEENS1_30default_config_static_selectorELNS0_4arch9wavefront6targetE0EEEvT1_ ; -- Begin function _ZN7rocprim17ROCPRIM_400000_NS6detail17trampoline_kernelINS0_14default_configENS1_25partition_config_selectorILNS1_17partition_subalgoE6EtNS0_10empty_typeEbEEZZNS1_14partition_implILS5_6ELb0ES3_mN6thrust23THRUST_200600_302600_NS6detail15normal_iteratorINSA_10device_ptrItEEEEPS6_SG_NS0_5tupleIJSF_S6_EEENSH_IJSG_SG_EEES6_PlJNSB_9not_fun_tI7is_trueItEEEEEE10hipError_tPvRmT3_T4_T5_T6_T7_T9_mT8_P12ihipStream_tbDpT10_ENKUlT_T0_E_clISt17integral_constantIbLb0EES17_IbLb1EEEEDaS13_S14_EUlS13_E_NS1_11comp_targetILNS1_3genE10ELNS1_11target_archE1200ELNS1_3gpuE4ELNS1_3repE0EEENS1_30default_config_static_selectorELNS0_4arch9wavefront6targetE0EEEvT1_
	.globl	_ZN7rocprim17ROCPRIM_400000_NS6detail17trampoline_kernelINS0_14default_configENS1_25partition_config_selectorILNS1_17partition_subalgoE6EtNS0_10empty_typeEbEEZZNS1_14partition_implILS5_6ELb0ES3_mN6thrust23THRUST_200600_302600_NS6detail15normal_iteratorINSA_10device_ptrItEEEEPS6_SG_NS0_5tupleIJSF_S6_EEENSH_IJSG_SG_EEES6_PlJNSB_9not_fun_tI7is_trueItEEEEEE10hipError_tPvRmT3_T4_T5_T6_T7_T9_mT8_P12ihipStream_tbDpT10_ENKUlT_T0_E_clISt17integral_constantIbLb0EES17_IbLb1EEEEDaS13_S14_EUlS13_E_NS1_11comp_targetILNS1_3genE10ELNS1_11target_archE1200ELNS1_3gpuE4ELNS1_3repE0EEENS1_30default_config_static_selectorELNS0_4arch9wavefront6targetE0EEEvT1_
	.p2align	8
	.type	_ZN7rocprim17ROCPRIM_400000_NS6detail17trampoline_kernelINS0_14default_configENS1_25partition_config_selectorILNS1_17partition_subalgoE6EtNS0_10empty_typeEbEEZZNS1_14partition_implILS5_6ELb0ES3_mN6thrust23THRUST_200600_302600_NS6detail15normal_iteratorINSA_10device_ptrItEEEEPS6_SG_NS0_5tupleIJSF_S6_EEENSH_IJSG_SG_EEES6_PlJNSB_9not_fun_tI7is_trueItEEEEEE10hipError_tPvRmT3_T4_T5_T6_T7_T9_mT8_P12ihipStream_tbDpT10_ENKUlT_T0_E_clISt17integral_constantIbLb0EES17_IbLb1EEEEDaS13_S14_EUlS13_E_NS1_11comp_targetILNS1_3genE10ELNS1_11target_archE1200ELNS1_3gpuE4ELNS1_3repE0EEENS1_30default_config_static_selectorELNS0_4arch9wavefront6targetE0EEEvT1_,@function
_ZN7rocprim17ROCPRIM_400000_NS6detail17trampoline_kernelINS0_14default_configENS1_25partition_config_selectorILNS1_17partition_subalgoE6EtNS0_10empty_typeEbEEZZNS1_14partition_implILS5_6ELb0ES3_mN6thrust23THRUST_200600_302600_NS6detail15normal_iteratorINSA_10device_ptrItEEEEPS6_SG_NS0_5tupleIJSF_S6_EEENSH_IJSG_SG_EEES6_PlJNSB_9not_fun_tI7is_trueItEEEEEE10hipError_tPvRmT3_T4_T5_T6_T7_T9_mT8_P12ihipStream_tbDpT10_ENKUlT_T0_E_clISt17integral_constantIbLb0EES17_IbLb1EEEEDaS13_S14_EUlS13_E_NS1_11comp_targetILNS1_3genE10ELNS1_11target_archE1200ELNS1_3gpuE4ELNS1_3repE0EEENS1_30default_config_static_selectorELNS0_4arch9wavefront6targetE0EEEvT1_: ; @_ZN7rocprim17ROCPRIM_400000_NS6detail17trampoline_kernelINS0_14default_configENS1_25partition_config_selectorILNS1_17partition_subalgoE6EtNS0_10empty_typeEbEEZZNS1_14partition_implILS5_6ELb0ES3_mN6thrust23THRUST_200600_302600_NS6detail15normal_iteratorINSA_10device_ptrItEEEEPS6_SG_NS0_5tupleIJSF_S6_EEENSH_IJSG_SG_EEES6_PlJNSB_9not_fun_tI7is_trueItEEEEEE10hipError_tPvRmT3_T4_T5_T6_T7_T9_mT8_P12ihipStream_tbDpT10_ENKUlT_T0_E_clISt17integral_constantIbLb0EES17_IbLb1EEEEDaS13_S14_EUlS13_E_NS1_11comp_targetILNS1_3genE10ELNS1_11target_archE1200ELNS1_3gpuE4ELNS1_3repE0EEENS1_30default_config_static_selectorELNS0_4arch9wavefront6targetE0EEEvT1_
; %bb.0:
	s_clause 0x3
	s_load_b64 s[18:19], s[0:1], 0x28
	s_load_b128 s[20:23], s[0:1], 0x40
	s_load_b64 s[8:9], s[0:1], 0x50
	s_load_b64 s[24:25], s[0:1], 0x60
	v_cmp_eq_u32_e64 s2, 0, v0
	s_and_saveexec_b32 s3, s2
	s_cbranch_execz .LBB1202_4
; %bb.1:
	s_mov_b32 s5, exec_lo
	s_mov_b32 s4, exec_lo
	v_mbcnt_lo_u32_b32 v1, s5, 0
                                        ; implicit-def: $vgpr2
	s_delay_alu instid0(VALU_DEP_1)
	v_cmpx_eq_u32_e32 0, v1
	s_cbranch_execz .LBB1202_3
; %bb.2:
	s_load_b64 s[6:7], s[0:1], 0x70
	s_bcnt1_i32_b32 s5, s5
	s_wait_alu 0xfffe
	v_dual_mov_b32 v2, 0 :: v_dual_mov_b32 v3, s5
	s_wait_kmcnt 0x0
	global_atomic_add_u32 v2, v2, v3, s[6:7] th:TH_ATOMIC_RETURN scope:SCOPE_DEV
.LBB1202_3:
	s_or_b32 exec_lo, exec_lo, s4
	s_wait_loadcnt 0x0
	v_readfirstlane_b32 s4, v2
	s_wait_alu 0xf1ff
	s_delay_alu instid0(VALU_DEP_1)
	v_dual_mov_b32 v2, 0 :: v_dual_add_nc_u32 v1, s4, v1
	ds_store_b32 v2, v1
.LBB1202_4:
	s_or_b32 exec_lo, exec_lo, s3
	v_dual_mov_b32 v2, 0 :: v_dual_lshlrev_b32 v19, 1, v0
	s_clause 0x1
	s_load_b128 s[4:7], s[0:1], 0x8
	s_load_b32 s0, s[0:1], 0x68
	s_wait_dscnt 0x0
	s_barrier_signal -1
	s_barrier_wait -1
	global_inv scope:SCOPE_SE
	ds_load_b32 v1, v2
	s_wait_loadcnt_dscnt 0x0
	s_barrier_signal -1
	s_barrier_wait -1
	global_inv scope:SCOPE_SE
	s_wait_kmcnt 0x0
	global_load_b64 v[17:18], v2, s[22:23]
	s_mov_b32 s1, 0
	s_lshl_b64 s[10:11], s[6:7], 1
	s_add_co_i32 s3, s0, -1
	s_mulk_i32 s0, 0x1b00
	s_delay_alu instid0(SALU_CYCLE_1)
	s_add_co_i32 s12, s0, s6
	s_add_nc_u64 s[0:1], s[6:7], s[0:1]
	v_readfirstlane_b32 s27, v1
	v_mul_lo_u32 v1, 0x1b00, v1
	v_cmp_le_u64_e64 s0, s[8:9], s[0:1]
	s_sub_co_i32 s28, s8, s12
	s_cmp_eq_u32 s27, s3
	s_cselect_b32 s22, -1, 0
	v_lshlrev_b64_e32 v[1:2], 1, v[1:2]
	s_and_b32 s3, s0, s22
	s_add_nc_u64 s[0:1], s[4:5], s[10:11]
	s_xor_b32 s23, s3, -1
	s_wait_alu 0xfffe
	s_delay_alu instid0(VALU_DEP_1) | instskip(NEXT) | instid1(VALU_DEP_1)
	v_add_co_u32 v20, vcc_lo, s0, v1
	v_add_co_ci_u32_e64 v21, null, s1, v2, vcc_lo
	s_and_b32 vcc_lo, exec_lo, s23
	s_mov_b32 s0, -1
	s_wait_alu 0xfffe
	s_cbranch_vccz .LBB1202_6
; %bb.5:
	v_add_co_u32 v1, vcc_lo, v20, v19
	s_wait_alu 0xfffd
	v_add_co_ci_u32_e64 v2, null, 0, v21, vcc_lo
	s_mov_b32 s0, 0
	s_clause 0x11
	flat_load_u16 v3, v[1:2]
	flat_load_u16 v4, v[1:2] offset:768
	flat_load_u16 v5, v[1:2] offset:1536
	;; [unrolled: 1-line block ×17, first 2 shown]
	s_wait_loadcnt_dscnt 0x1111
	ds_store_b16 v19, v3
	s_wait_loadcnt_dscnt 0x1011
	ds_store_b16 v19, v4 offset:768
	s_wait_loadcnt_dscnt 0xf11
	ds_store_b16 v19, v5 offset:1536
	;; [unrolled: 2-line block ×17, first 2 shown]
	s_wait_dscnt 0x0
	s_barrier_signal -1
	s_barrier_wait -1
.LBB1202_6:
	s_wait_alu 0xfffe
	s_and_not1_b32 vcc_lo, exec_lo, s0
	s_addk_co_i32 s28, 0x1b00
	s_wait_alu 0xfffe
	s_cbranch_vccnz .LBB1202_44
; %bb.7:
	v_mov_b32_e32 v1, 0
	s_mov_b32 s0, exec_lo
	s_delay_alu instid0(VALU_DEP_1)
	v_dual_mov_b32 v2, v1 :: v_dual_mov_b32 v3, v1
	v_dual_mov_b32 v4, v1 :: v_dual_mov_b32 v5, v1
	v_dual_mov_b32 v6, v1 :: v_dual_mov_b32 v7, v1
	v_dual_mov_b32 v8, v1 :: v_dual_mov_b32 v9, v1
	v_cmpx_gt_u32_e64 s28, v0
	s_cbranch_execz .LBB1202_9
; %bb.8:
	v_add_co_u32 v3, vcc_lo, v20, v19
	s_wait_alu 0xfffd
	v_add_co_ci_u32_e64 v4, null, 0, v21, vcc_lo
	v_mov_b32_e32 v2, v1
	v_dual_mov_b32 v6, v1 :: v_dual_mov_b32 v7, v1
	v_dual_mov_b32 v5, v1 :: v_dual_mov_b32 v8, v1
	v_mov_b32_e32 v9, v1
	flat_load_d16_b16 v2, v[3:4]
	v_dual_mov_b32 v3, v1 :: v_dual_mov_b32 v4, v1
	v_mov_b32_e32 v10, v1
	s_wait_loadcnt_dscnt 0x0
	v_mov_b32_e32 v1, v2
	s_delay_alu instid0(VALU_DEP_3)
	v_mov_b32_e32 v2, v3
	v_mov_b32_e32 v3, v4
	;; [unrolled: 1-line block ×15, first 2 shown]
.LBB1202_9:
	s_wait_alu 0xfffe
	s_or_b32 exec_lo, exec_lo, s0
	v_add_nc_u32_e32 v10, 0x180, v0
	s_mov_b32 s0, exec_lo
	s_delay_alu instid0(VALU_DEP_1)
	v_cmpx_gt_u32_e64 s28, v10
	s_cbranch_execz .LBB1202_11
; %bb.10:
	v_add_co_u32 v10, vcc_lo, v20, v19
	s_wait_alu 0xfffd
	v_add_co_ci_u32_e64 v11, null, 0, v21, vcc_lo
	flat_load_d16_hi_b16 v1, v[10:11] offset:768
.LBB1202_11:
	s_wait_alu 0xfffe
	s_or_b32 exec_lo, exec_lo, s0
	v_add_nc_u32_e32 v10, 0x300, v0
	s_mov_b32 s0, exec_lo
	s_delay_alu instid0(VALU_DEP_1)
	v_cmpx_gt_u32_e64 s28, v10
	s_cbranch_execz .LBB1202_13
; %bb.12:
	v_add_co_u32 v10, vcc_lo, v20, v19
	s_wait_alu 0xfffd
	v_add_co_ci_u32_e64 v11, null, 0, v21, vcc_lo
	flat_load_d16_b16 v2, v[10:11] offset:1536
.LBB1202_13:
	s_wait_alu 0xfffe
	s_or_b32 exec_lo, exec_lo, s0
	v_add_nc_u32_e32 v10, 0x480, v0
	s_mov_b32 s0, exec_lo
	s_delay_alu instid0(VALU_DEP_1)
	v_cmpx_gt_u32_e64 s28, v10
	s_cbranch_execz .LBB1202_15
; %bb.14:
	v_add_co_u32 v10, vcc_lo, v20, v19
	s_wait_alu 0xfffd
	v_add_co_ci_u32_e64 v11, null, 0, v21, vcc_lo
	s_wait_loadcnt_dscnt 0x0
	flat_load_d16_hi_b16 v2, v[10:11] offset:2304
.LBB1202_15:
	s_wait_alu 0xfffe
	s_or_b32 exec_lo, exec_lo, s0
	v_or_b32_e32 v10, 0x600, v0
	s_mov_b32 s0, exec_lo
	s_delay_alu instid0(VALU_DEP_1)
	v_cmpx_gt_u32_e64 s28, v10
	s_cbranch_execz .LBB1202_17
; %bb.16:
	v_add_co_u32 v10, vcc_lo, v20, v19
	s_wait_alu 0xfffd
	v_add_co_ci_u32_e64 v11, null, 0, v21, vcc_lo
	flat_load_d16_b16 v3, v[10:11] offset:3072
.LBB1202_17:
	s_wait_alu 0xfffe
	s_or_b32 exec_lo, exec_lo, s0
	v_add_nc_u32_e32 v10, 0x780, v0
	s_mov_b32 s0, exec_lo
	s_delay_alu instid0(VALU_DEP_1)
	v_cmpx_gt_u32_e64 s28, v10
	s_cbranch_execz .LBB1202_19
; %bb.18:
	v_add_co_u32 v10, vcc_lo, v20, v19
	s_wait_alu 0xfffd
	v_add_co_ci_u32_e64 v11, null, 0, v21, vcc_lo
	s_wait_loadcnt_dscnt 0x0
	flat_load_d16_hi_b16 v3, v[10:11] offset:3840
.LBB1202_19:
	s_wait_alu 0xfffe
	s_or_b32 exec_lo, exec_lo, s0
	v_add_nc_u32_e32 v10, 0x900, v0
	s_mov_b32 s0, exec_lo
	s_delay_alu instid0(VALU_DEP_1)
	v_cmpx_gt_u32_e64 s28, v10
	s_cbranch_execz .LBB1202_21
; %bb.20:
	v_add_co_u32 v10, vcc_lo, v20, v19
	s_wait_alu 0xfffd
	v_add_co_ci_u32_e64 v11, null, 0, v21, vcc_lo
	flat_load_d16_b16 v4, v[10:11] offset:4608
.LBB1202_21:
	s_wait_alu 0xfffe
	s_or_b32 exec_lo, exec_lo, s0
	v_add_nc_u32_e32 v10, 0xa80, v0
	s_mov_b32 s0, exec_lo
	s_delay_alu instid0(VALU_DEP_1)
	v_cmpx_gt_u32_e64 s28, v10
	s_cbranch_execz .LBB1202_23
; %bb.22:
	v_add_co_u32 v10, vcc_lo, v20, v19
	s_wait_alu 0xfffd
	v_add_co_ci_u32_e64 v11, null, 0, v21, vcc_lo
	s_wait_loadcnt_dscnt 0x0
	flat_load_d16_hi_b16 v4, v[10:11] offset:5376
.LBB1202_23:
	s_wait_alu 0xfffe
	s_or_b32 exec_lo, exec_lo, s0
	v_or_b32_e32 v10, 0xc00, v0
	s_mov_b32 s0, exec_lo
	s_delay_alu instid0(VALU_DEP_1)
	v_cmpx_gt_u32_e64 s28, v10
	s_cbranch_execz .LBB1202_25
; %bb.24:
	v_add_co_u32 v10, vcc_lo, v20, v19
	s_wait_alu 0xfffd
	v_add_co_ci_u32_e64 v11, null, 0, v21, vcc_lo
	flat_load_d16_b16 v5, v[10:11] offset:6144
.LBB1202_25:
	s_wait_alu 0xfffe
	s_or_b32 exec_lo, exec_lo, s0
	v_add_nc_u32_e32 v10, 0xd80, v0
	s_mov_b32 s0, exec_lo
	s_delay_alu instid0(VALU_DEP_1)
	v_cmpx_gt_u32_e64 s28, v10
	s_cbranch_execz .LBB1202_27
; %bb.26:
	v_add_co_u32 v10, vcc_lo, v20, v19
	s_wait_alu 0xfffd
	v_add_co_ci_u32_e64 v11, null, 0, v21, vcc_lo
	s_wait_loadcnt_dscnt 0x0
	flat_load_d16_hi_b16 v5, v[10:11] offset:6912
.LBB1202_27:
	;; [unrolled: 54-line block ×4, first 2 shown]
	s_wait_alu 0xfffe
	s_or_b32 exec_lo, exec_lo, s0
	s_wait_loadcnt_dscnt 0x0
	ds_store_b16 v19, v1
	ds_store_b16_d16_hi v19, v1 offset:768
	ds_store_b16 v19, v2 offset:1536
	ds_store_b16_d16_hi v19, v2 offset:2304
	ds_store_b16 v19, v3 offset:3072
	;; [unrolled: 2-line block ×8, first 2 shown]
	ds_store_b16_d16_hi v19, v9 offset:13056
	s_wait_dscnt 0x0
	s_barrier_signal -1
	s_barrier_wait -1
.LBB1202_44:
	v_mul_u32_u24_e32 v1, 18, v0
	s_wait_loadcnt 0x0
	global_inv scope:SCOPE_SE
	s_and_not1_b32 vcc_lo, exec_lo, s23
	v_lshlrev_b32_e32 v2, 1, v1
	ds_load_2addr_b32 v[9:10], v2 offset0:7 offset1:8
	ds_load_b32 v58, v2
	ds_load_2addr_b32 v[15:16], v2 offset0:1 offset1:2
	ds_load_2addr_b32 v[13:14], v2 offset0:3 offset1:4
	;; [unrolled: 1-line block ×3, first 2 shown]
	s_wait_loadcnt_dscnt 0x0
	s_barrier_signal -1
	s_barrier_wait -1
	global_inv scope:SCOPE_SE
	v_alignbit_b32 v57, v10, v9, 16
	v_lshrrev_b32_e32 v10, 16, v10
	v_cmp_eq_u16_e64 s7, 0, v58
	v_lshrrev_b32_e32 v19, 16, v58
	v_cmp_eq_u16_e64 s8, 0, v15
	;; [unrolled: 2-line block ×8, first 2 shown]
	v_cmp_eq_u16_e64 s9, 0, v57
	v_lshrrev_b32_e32 v2, 16, v57
	v_cmp_eq_u16_e64 s26, 0, v10
	s_wait_alu 0xfffe
	s_cbranch_vccnz .LBB1202_46
; %bb.45:
	v_cmp_eq_u16_e32 vcc_lo, 0, v19
	s_wait_alu 0xf1ff
	v_cndmask_b32_e64 v27, 0, 1, s9
	v_cndmask_b32_e64 v28, 0, 1, s7
	;; [unrolled: 1-line block ×4, first 2 shown]
	s_wait_alu 0xfffd
	v_cndmask_b32_e64 v20, 0, 1, vcc_lo
	v_cmp_eq_u16_e32 vcc_lo, 0, v8
	v_lshlrev_b16 v27, 8, v27
	v_cndmask_b32_e64 v31, 0, 1, s1
	v_cndmask_b32_e64 v32, 0, 1, s0
	v_lshlrev_b16 v20, 8, v20
	s_wait_alu 0xfffd
	v_cndmask_b32_e64 v21, 0, 1, vcc_lo
	v_cmp_eq_u16_e32 vcc_lo, 0, v7
	v_or_b32_e32 v27, v32, v27
	v_lshrrev_b32_e32 v20, 8, v20
	s_delay_alu instid0(VALU_DEP_4)
	v_lshlrev_b16 v21, 8, v21
	s_wait_alu 0xfffd
	v_cndmask_b32_e64 v22, 0, 1, vcc_lo
	v_cmp_eq_u16_e32 vcc_lo, 0, v6
	v_lshlrev_b32_e32 v27, 16, v27
	v_lshlrev_b16 v20, 8, v20
	v_lshrrev_b32_e32 v21, 8, v21
	v_lshlrev_b16 v22, 8, v22
	s_wait_alu 0xfffd
	v_cndmask_b32_e64 v23, 0, 1, vcc_lo
	v_cmp_eq_u16_e32 vcc_lo, 0, v5
	v_or_b32_e32 v20, v28, v20
	v_lshlrev_b16 v21, 8, v21
	v_lshrrev_b32_e32 v22, 8, v22
	v_lshlrev_b16 v23, 8, v23
	s_wait_alu 0xfffd
	v_cndmask_b32_e64 v24, 0, 1, vcc_lo
	v_cmp_eq_u16_e32 vcc_lo, 0, v3
	v_or_b32_e32 v21, v30, v21
	v_lshlrev_b16 v22, 8, v22
	v_cndmask_b32_e64 v28, 0, 1, s3
	v_lshlrev_b16 v24, 8, v24
	s_wait_alu 0xfffd
	v_cndmask_b32_e64 v25, 0, 1, vcc_lo
	v_cmp_eq_u16_e32 vcc_lo, 0, v4
	v_or_b32_e32 v22, v29, v22
	v_cndmask_b32_e64 v29, 0, 1, s4
	v_lshrrev_b32_e32 v24, 8, v24
	v_lshlrev_b16 v25, 8, v25
	s_wait_alu 0xfffd
	v_cndmask_b32_e64 v26, 0, 1, vcc_lo
	v_cndmask_b32_e64 v30, 0, 1, s5
	v_or_b32_e32 v23, v28, v23
	v_lshlrev_b16 v24, 8, v24
	v_lshrrev_b32_e32 v25, 8, v25
	v_lshlrev_b16 v26, 8, v26
	v_and_b32_e32 v20, 0xffff, v20
	v_lshlrev_b32_e32 v22, 16, v22
	v_or_b32_e32 v24, v29, v24
	v_lshlrev_b16 v25, 8, v25
	v_lshrrev_b32_e32 v26, 8, v26
	v_and_b32_e32 v21, 0xffff, v21
	v_lshlrev_b32_e32 v23, 16, v23
	v_and_b32_e32 v24, 0xffff, v24
	v_or_b32_e32 v25, v30, v25
	v_lshlrev_b16 v26, 8, v26
	v_cmp_eq_u16_e32 vcc_lo, 0, v2
	v_or_b32_e32 v55, v20, v22
	v_or_b32_e32 v63, v21, v23
	v_lshlrev_b32_e32 v25, 16, v25
	v_or_b32_e32 v26, v31, v26
	s_wait_alu 0xfffd
	v_cndmask_b32_e64 v59, 0, 1, vcc_lo
	s_delay_alu instid0(VALU_DEP_3) | instskip(NEXT) | instid1(VALU_DEP_3)
	v_or_b32_e32 v61, v24, v25
	v_and_b32_e32 v26, 0xffff, v26
	s_delay_alu instid0(VALU_DEP_1)
	v_or_b32_e32 v60, v26, v27
	s_cbranch_execz .LBB1202_47
	s_branch .LBB1202_48
.LBB1202_46:
                                        ; implicit-def: $sgpr26
                                        ; implicit-def: $vgpr59
                                        ; implicit-def: $vgpr60
                                        ; implicit-def: $vgpr61
                                        ; implicit-def: $vgpr63
                                        ; implicit-def: $vgpr55
.LBB1202_47:
	v_or_b32_e32 v20, 1, v1
	v_cmp_eq_u16_e32 vcc_lo, 0, v19
	v_add_nc_u32_e32 v22, 3, v1
	v_add_nc_u32_e32 v21, 5, v1
	;; [unrolled: 1-line block ×3, first 2 shown]
	v_cmp_gt_u32_e64 s3, s28, v20
	v_add_nc_u32_e32 v20, 2, v1
	v_cmp_gt_u32_e64 s5, s28, v22
	v_cmp_gt_u32_e64 s7, s28, v21
	v_add_nc_u32_e32 v21, 9, v1
	s_and_b32 s3, s3, vcc_lo
	v_cmp_eq_u16_e32 vcc_lo, 0, v7
	s_wait_alu 0xfffe
	v_cndmask_b32_e64 v23, 0, 1, s3
	v_cmp_eq_u16_e64 s3, 0, v8
	v_cmp_gt_u32_e64 s8, s28, v20
	v_cmp_gt_u32_e64 s9, s28, v21
	s_and_b32 s5, s5, vcc_lo
	v_cmp_gt_u32_e32 vcc_lo, s28, v19
	v_add_nc_u32_e32 v19, 7, v1
	s_and_b32 s3, s7, s3
	s_wait_alu 0xfffe
	v_cndmask_b32_e64 v8, 0, 1, s5
	v_cndmask_b32_e64 v20, 0, 1, s3
	v_cmp_eq_u16_e64 s3, 0, v6
	v_cmp_gt_u32_e64 s5, s28, v19
	v_cmp_eq_u16_e64 s7, 0, v5
	v_add_nc_u32_e32 v19, 8, v1
	v_lshlrev_b16 v7, 8, v23
	v_add_nc_u32_e32 v23, 13, v1
	s_and_b32 s3, s5, s3
	s_and_b32 s5, s9, s7
	v_cmp_gt_u32_e64 s9, s28, v19
	s_wait_alu 0xfffe
	v_cndmask_b32_e64 v21, 0, 1, s5
	v_cmp_eq_u16_e64 s10, 0, v3
	v_lshlrev_b16 v6, 8, v20
	v_add_nc_u32_e32 v20, 6, v1
	v_cmp_eq_u16_e64 s11, 0, v4
	v_lshlrev_b16 v19, 8, v21
	v_add_nc_u32_e32 v21, 11, v1
	v_cmp_gt_u32_e64 s15, s28, v23
	v_cmp_gt_u32_e64 s7, s28, v20
	v_add_nc_u32_e32 v20, 12, v1
	v_add_nc_u32_e32 v4, 15, v1
	v_cmp_gt_u32_e64 s12, s28, v21
	v_lshlrev_b16 v8, 8, v8
	v_cmp_eq_u16_e64 s0, 0, v58
	v_cmp_gt_u32_e64 s1, s28, v1
	v_cmp_eq_u16_e64 s4, 0, v15
	s_and_b32 s10, s12, s10
	v_cmp_gt_u32_e64 s12, s28, v4
	v_cndmask_b32_e64 v3, 0, 1, s10
	s_and_b32 s10, s15, s11
	v_cmp_eq_u16_e64 s11, 0, v57
	s_wait_alu 0xfffe
	v_cndmask_b32_e64 v21, 0, 1, s10
	v_cmp_gt_u32_e64 s10, s28, v20
	v_add_nc_u32_e32 v20, 16, v1
	v_lshrrev_b32_e32 v7, 8, v7
	v_lshrrev_b32_e32 v8, 8, v8
	v_lshlrev_b16 v4, 8, v21
	v_add_nc_u32_e32 v21, 14, v1
	s_and_b32 s0, s1, s0
	v_add_nc_u32_e32 v22, 10, v1
	s_and_b32 s11, s12, s11
	v_cmp_gt_u32_e64 s12, s28, v20
	s_wait_alu 0xfffe
	v_cndmask_b32_e64 v20, 0, 1, s0
	s_and_b32 s0, s8, s4
	v_cmp_gt_u32_e64 s15, s28, v21
	v_lshlrev_b16 v7, 8, v7
	v_lshlrev_b16 v8, 8, v8
	s_wait_alu 0xfffe
	v_cndmask_b32_e64 v21, 0, 1, s0
	v_cndmask_b32_e64 v5, 0, 1, s3
	v_cmp_eq_u16_e64 s3, 0, v13
	v_cmp_gt_u32_e64 s16, s28, v22
	v_cndmask_b32_e64 v22, 0, 1, s11
	v_cmp_eq_u16_e64 s6, 0, v16
	v_cmp_eq_u16_e64 s5, 0, v14
	v_add_nc_u32_e32 v1, 17, v1
	v_or_b32_e32 v7, v20, v7
	v_or_b32_e32 v8, v21, v8
	v_lshrrev_b32_e32 v6, 8, v6
	v_cmp_eq_u16_e64 s13, 0, v11
	v_lshlrev_b16 v5, 8, v5
	v_lshlrev_b16 v3, 8, v3
	v_cmp_eq_u16_e64 s11, 0, v2
	v_lshlrev_b16 v2, 8, v22
	s_and_b32 s1, s7, s3
	v_cmp_eq_u16_e64 s14, 0, v12
	s_and_b32 s0, vcc_lo, s6
	v_cmp_gt_u32_e32 vcc_lo, s28, v1
	v_and_b32_e32 v1, 0xffff, v7
	v_lshlrev_b32_e32 v7, 16, v8
	v_lshrrev_b32_e32 v8, 8, v19
	s_wait_alu 0xfffe
	v_cndmask_b32_e64 v19, 0, 1, s1
	s_and_b32 s1, s9, s5
	v_cmp_eq_u16_e64 s17, 0, v9
	v_lshlrev_b16 v6, 8, v6
	v_cndmask_b32_e64 v22, 0, 1, s0
	s_wait_alu 0xfffe
	v_cndmask_b32_e64 v20, 0, 1, s1
	s_and_b32 s1, s16, s13
	v_lshrrev_b32_e32 v5, 8, v5
	v_lshrrev_b32_e32 v2, 8, v2
	;; [unrolled: 1-line block ×4, first 2 shown]
	s_wait_alu 0xfffe
	v_cndmask_b32_e64 v21, 0, 1, s1
	s_and_b32 s1, s10, s14
	v_or_b32_e32 v6, v22, v6
	s_wait_alu 0xfffe
	v_cndmask_b32_e64 v22, 0, 1, s1
	s_and_b32 s1, s15, s17
	v_lshlrev_b16 v5, 8, v5
	v_lshlrev_b16 v8, 8, v8
	;; [unrolled: 1-line block ×5, first 2 shown]
	s_wait_alu 0xfffe
	v_cndmask_b32_e64 v23, 0, 1, s1
	v_or_b32_e32 v5, v19, v5
	v_or_b32_e32 v8, v20, v8
	v_or_b32_e32 v3, v21, v3
	v_or_b32_e32 v4, v22, v4
	v_or_b32_e32 v2, v23, v2
	v_cmp_eq_u16_e64 s0, 0, v10
	v_and_b32_e32 v6, 0xffff, v6
	v_lshlrev_b32_e32 v5, 16, v5
	v_and_b32_e32 v8, 0xffff, v8
	v_lshlrev_b32_e32 v3, 16, v3
	v_and_b32_e32 v4, 0xffff, v4
	v_lshlrev_b32_e32 v2, 16, v2
	s_and_b32 s11, s12, s11
	s_and_b32 s0, vcc_lo, s0
	s_wait_alu 0xfffe
	v_cndmask_b32_e64 v59, 0, 1, s11
	v_or_b32_e32 v55, v1, v7
	v_or_b32_e32 v63, v6, v5
	;; [unrolled: 1-line block ×4, first 2 shown]
	s_and_not1_b32 s1, s26, exec_lo
	s_and_b32 s0, s0, exec_lo
	s_wait_alu 0xfffe
	s_or_b32 s26, s1, s0
.LBB1202_48:
	v_dual_mov_b32 v2, 0 :: v_dual_and_b32 v29, 0xff, v55
	v_bfe_u32 v28, v55, 8, 8
	v_cndmask_b32_e64 v1, 0, 1, s26
	v_bfe_u32 v36, v55, 16, 8
	v_lshrrev_b32_e32 v66, 24, v55
	v_and_b32_e32 v35, 0xff, v63
	v_bfe_u32 v34, v63, 8, 8
	v_add3_u32 v1, v29, v1, v28
	v_bfe_u32 v33, v63, 16, 8
	v_lshrrev_b32_e32 v65, 24, v63
	v_and_b32_e32 v32, 0xff, v61
	v_bfe_u32 v31, v61, 8, 8
	v_add_co_u32 v1, s0, v1, v36
	s_wait_alu 0xf1ff
	v_add_co_ci_u32_e64 v3, null, 0, 0, s0
	v_bfe_u32 v30, v61, 16, 8
	s_delay_alu instid0(VALU_DEP_3) | instskip(SKIP_1) | instid1(VALU_DEP_3)
	v_add_co_u32 v1, vcc_lo, v1, v66
	s_wait_alu 0xfffd
	v_add_co_ci_u32_e64 v3, null, 0, v3, vcc_lo
	v_lshrrev_b32_e32 v64, 24, v61
	s_delay_alu instid0(VALU_DEP_3) | instskip(SKIP_1) | instid1(VALU_DEP_3)
	v_add_co_u32 v1, vcc_lo, v1, v35
	s_wait_alu 0xfffd
	v_add_co_ci_u32_e64 v3, null, 0, v3, vcc_lo
	v_and_b32_e32 v68, 0xff, v60
	s_delay_alu instid0(VALU_DEP_3) | instskip(SKIP_1) | instid1(VALU_DEP_3)
	v_add_co_u32 v1, vcc_lo, v1, v34
	s_wait_alu 0xfffd
	v_add_co_ci_u32_e64 v3, null, 0, v3, vcc_lo
	v_bfe_u32 v27, v60, 8, 8
	s_delay_alu instid0(VALU_DEP_3) | instskip(SKIP_1) | instid1(VALU_DEP_3)
	v_add_co_u32 v1, vcc_lo, v1, v33
	s_wait_alu 0xfffd
	v_add_co_ci_u32_e64 v3, null, 0, v3, vcc_lo
	v_bfe_u32 v67, v60, 16, 8
	s_delay_alu instid0(VALU_DEP_3) | instskip(SKIP_1) | instid1(VALU_DEP_3)
	v_add_co_u32 v1, vcc_lo, v1, v65
	s_wait_alu 0xfffd
	v_add_co_ci_u32_e64 v3, null, 0, v3, vcc_lo
	v_lshrrev_b32_e32 v62, 24, v60
	s_delay_alu instid0(VALU_DEP_3) | instskip(SKIP_1) | instid1(VALU_DEP_3)
	v_add_co_u32 v1, vcc_lo, v1, v32
	s_wait_alu 0xfffd
	v_add_co_ci_u32_e64 v3, null, 0, v3, vcc_lo
	v_mbcnt_lo_u32_b32 v37, -1, 0
	s_delay_alu instid0(VALU_DEP_3) | instskip(SKIP_1) | instid1(VALU_DEP_3)
	v_add_co_u32 v1, vcc_lo, v1, v31
	s_wait_alu 0xfffd
	v_add_co_ci_u32_e64 v3, null, 0, v3, vcc_lo
	v_and_b32_e32 v56, 0xff, v59
	s_delay_alu instid0(VALU_DEP_3) | instskip(SKIP_1) | instid1(VALU_DEP_3)
	v_add_co_u32 v1, vcc_lo, v1, v30
	s_wait_alu 0xfffd
	v_add_co_ci_u32_e64 v3, null, 0, v3, vcc_lo
	v_and_b32_e32 v38, 15, v37
	s_delay_alu instid0(VALU_DEP_3) | instskip(SKIP_1) | instid1(VALU_DEP_3)
	v_add_co_u32 v1, vcc_lo, v1, v64
	s_wait_alu 0xfffd
	v_add_co_ci_u32_e64 v3, null, 0, v3, vcc_lo
	s_delay_alu instid0(VALU_DEP_3) | instskip(NEXT) | instid1(VALU_DEP_3)
	v_cmp_ne_u32_e64 s0, 0, v38
	v_add_co_u32 v1, vcc_lo, v1, v68
	s_wait_alu 0xfffd
	s_delay_alu instid0(VALU_DEP_3)
	v_add_co_ci_u32_e64 v3, null, 0, v3, vcc_lo
	s_cmp_lg_u32 s27, 0
	v_add_co_u32 v1, vcc_lo, v1, v27
	s_wait_alu 0xfffd
	v_add_co_ci_u32_e64 v3, null, 0, v3, vcc_lo
	s_mov_b32 s1, -1
	v_add_co_u32 v1, vcc_lo, v1, v67
	s_wait_alu 0xfffd
	v_add_co_ci_u32_e64 v3, null, 0, v3, vcc_lo
	s_delay_alu instid0(VALU_DEP_2) | instskip(SKIP_1) | instid1(VALU_DEP_2)
	v_add_co_u32 v1, vcc_lo, v1, v62
	s_wait_alu 0xfffd
	v_add_co_ci_u32_e64 v3, null, 0, v3, vcc_lo
	s_delay_alu instid0(VALU_DEP_2) | instskip(SKIP_1) | instid1(VALU_DEP_2)
	v_add_co_u32 v19, vcc_lo, v1, v56
	s_wait_alu 0xfffd
	v_add_co_ci_u32_e64 v20, null, 0, v3, vcc_lo
	s_cbranch_scc0 .LBB1202_107
; %bb.49:
	v_mov_b32_e32 v3, v19
	v_mov_b32_dpp v1, v19 row_shr:1 row_mask:0xf bank_mask:0xf
	v_mov_b32_dpp v6, v2 row_shr:1 row_mask:0xf bank_mask:0xf
	v_dual_mov_b32 v5, v19 :: v_dual_mov_b32 v4, v20
	s_and_saveexec_b32 s1, s0
; %bb.50:
	s_delay_alu instid0(VALU_DEP_3) | instskip(SKIP_2) | instid1(VALU_DEP_2)
	v_add_co_u32 v5, vcc_lo, v19, v1
	s_wait_alu 0xfffd
	v_add_co_ci_u32_e64 v2, null, 0, v20, vcc_lo
	v_add_co_u32 v1, vcc_lo, 0, v5
	s_wait_alu 0xfffd
	s_delay_alu instid0(VALU_DEP_2) | instskip(NEXT) | instid1(VALU_DEP_1)
	v_add_co_ci_u32_e64 v2, null, v6, v2, vcc_lo
	v_dual_mov_b32 v4, v2 :: v_dual_mov_b32 v3, v1
; %bb.51:
	s_wait_alu 0xfffe
	s_or_b32 exec_lo, exec_lo, s1
	v_mov_b32_dpp v1, v5 row_shr:2 row_mask:0xf bank_mask:0xf
	v_mov_b32_dpp v6, v2 row_shr:2 row_mask:0xf bank_mask:0xf
	v_cmp_lt_u32_e32 vcc_lo, 1, v38
	s_and_saveexec_b32 s3, vcc_lo
; %bb.52:
	s_delay_alu instid0(VALU_DEP_3) | instskip(SKIP_2) | instid1(VALU_DEP_2)
	v_add_co_u32 v5, s1, v3, v1
	s_wait_alu 0xf1ff
	v_add_co_ci_u32_e64 v2, null, 0, v4, s1
	v_add_co_u32 v1, s1, 0, v5
	s_wait_alu 0xf1ff
	s_delay_alu instid0(VALU_DEP_2) | instskip(NEXT) | instid1(VALU_DEP_1)
	v_add_co_ci_u32_e64 v2, null, v6, v2, s1
	v_dual_mov_b32 v4, v2 :: v_dual_mov_b32 v3, v1
; %bb.53:
	s_wait_alu 0xfffe
	s_or_b32 exec_lo, exec_lo, s3
	v_mov_b32_dpp v1, v5 row_shr:4 row_mask:0xf bank_mask:0xf
	v_mov_b32_dpp v6, v2 row_shr:4 row_mask:0xf bank_mask:0xf
	v_cmp_lt_u32_e64 s1, 3, v38
	s_and_saveexec_b32 s4, s1
; %bb.54:
	v_add_co_u32 v5, s3, v3, v1
	s_wait_alu 0xf1ff
	v_add_co_ci_u32_e64 v2, null, 0, v4, s3
	s_delay_alu instid0(VALU_DEP_2) | instskip(SKIP_1) | instid1(VALU_DEP_2)
	v_add_co_u32 v1, s3, 0, v5
	s_wait_alu 0xf1ff
	v_add_co_ci_u32_e64 v2, null, v6, v2, s3
	s_delay_alu instid0(VALU_DEP_1)
	v_dual_mov_b32 v4, v2 :: v_dual_mov_b32 v3, v1
; %bb.55:
	s_wait_alu 0xfffe
	s_or_b32 exec_lo, exec_lo, s4
	v_mov_b32_dpp v6, v5 row_shr:8 row_mask:0xf bank_mask:0xf
	v_mov_b32_dpp v1, v2 row_shr:8 row_mask:0xf bank_mask:0xf
	v_cmp_lt_u32_e64 s3, 7, v38
	s_and_saveexec_b32 s5, s3
; %bb.56:
	v_add_co_u32 v5, s4, v3, v6
	s_wait_alu 0xf1ff
	v_add_co_ci_u32_e64 v2, null, 0, v4, s4
	s_delay_alu instid0(VALU_DEP_2) | instskip(SKIP_1) | instid1(VALU_DEP_2)
	v_add_co_u32 v3, s4, 0, v5
	s_wait_alu 0xf1ff
	v_add_co_ci_u32_e64 v4, null, v1, v2, s4
	s_delay_alu instid0(VALU_DEP_1)
	v_mov_b32_e32 v2, v4
; %bb.57:
	s_wait_alu 0xfffe
	s_or_b32 exec_lo, exec_lo, s5
	ds_swizzle_b32 v1, v5 offset:swizzle(BROADCAST,32,15)
	ds_swizzle_b32 v6, v2 offset:swizzle(BROADCAST,32,15)
	v_and_b32_e32 v7, 16, v37
	s_mov_b32 s5, exec_lo
	s_delay_alu instid0(VALU_DEP_1)
	v_cmpx_ne_u32_e32 0, v7
	s_cbranch_execz .LBB1202_59
; %bb.58:
	s_wait_dscnt 0x1
	v_add_co_u32 v5, s4, v3, v1
	s_wait_alu 0xf1ff
	v_add_co_ci_u32_e64 v2, null, 0, v4, s4
	s_delay_alu instid0(VALU_DEP_2) | instskip(SKIP_2) | instid1(VALU_DEP_2)
	v_add_co_u32 v1, s4, 0, v5
	s_wait_dscnt 0x0
	s_wait_alu 0xf1ff
	v_add_co_ci_u32_e64 v2, null, v6, v2, s4
	s_delay_alu instid0(VALU_DEP_1)
	v_dual_mov_b32 v4, v2 :: v_dual_mov_b32 v3, v1
.LBB1202_59:
	s_wait_alu 0xfffe
	s_or_b32 exec_lo, exec_lo, s5
	s_wait_dscnt 0x1
	v_and_b32_e32 v1, 0x1e0, v0
	s_mov_b32 s5, exec_lo
	s_delay_alu instid0(VALU_DEP_1) | instskip(SKIP_1) | instid1(VALU_DEP_1)
	v_min_u32_e32 v1, 0x160, v1
	s_wait_dscnt 0x0
	v_or_b32_e32 v6, 31, v1
	v_lshrrev_b32_e32 v1, 5, v0
	s_delay_alu instid0(VALU_DEP_2)
	v_cmpx_eq_u32_e64 v0, v6
; %bb.60:
	s_delay_alu instid0(VALU_DEP_2)
	v_lshlrev_b32_e32 v6, 3, v1
	ds_store_b64 v6, v[3:4]
; %bb.61:
	s_wait_alu 0xfffe
	s_or_b32 exec_lo, exec_lo, s5
	s_delay_alu instid0(SALU_CYCLE_1)
	s_mov_b32 s5, exec_lo
	s_wait_loadcnt_dscnt 0x0
	s_barrier_signal -1
	s_barrier_wait -1
	global_inv scope:SCOPE_SE
	v_cmpx_gt_u32_e32 12, v0
	s_cbranch_execz .LBB1202_71
; %bb.62:
	v_lshlrev_b32_e32 v6, 3, v0
	ds_load_b64 v[3:4], v6
	s_wait_dscnt 0x0
	v_mov_b32_dpp v21, v3 row_shr:1 row_mask:0xf bank_mask:0xf
	v_mov_b32_dpp v8, v4 row_shr:1 row_mask:0xf bank_mask:0xf
	v_mov_b32_e32 v7, v3
	s_and_saveexec_b32 s6, s0
; %bb.63:
	s_delay_alu instid0(VALU_DEP_3) | instskip(SKIP_2) | instid1(VALU_DEP_2)
	v_add_co_u32 v7, s4, v3, v21
	s_wait_alu 0xf1ff
	v_add_co_ci_u32_e64 v4, null, 0, v4, s4
	v_add_co_u32 v3, s4, 0, v7
	s_wait_alu 0xf1ff
	s_delay_alu instid0(VALU_DEP_2)
	v_add_co_ci_u32_e64 v4, null, v8, v4, s4
; %bb.64:
	s_wait_alu 0xfffe
	s_or_b32 exec_lo, exec_lo, s6
	v_mov_b32_dpp v21, v7 row_shr:2 row_mask:0xf bank_mask:0xf
	s_delay_alu instid0(VALU_DEP_2)
	v_mov_b32_dpp v8, v4 row_shr:2 row_mask:0xf bank_mask:0xf
	s_and_saveexec_b32 s4, vcc_lo
; %bb.65:
	s_delay_alu instid0(VALU_DEP_2) | instskip(SKIP_2) | instid1(VALU_DEP_2)
	v_add_co_u32 v7, vcc_lo, v3, v21
	s_wait_alu 0xfffd
	v_add_co_ci_u32_e64 v4, null, 0, v4, vcc_lo
	v_add_co_u32 v3, vcc_lo, 0, v7
	s_wait_alu 0xfffd
	s_delay_alu instid0(VALU_DEP_2)
	v_add_co_ci_u32_e64 v4, null, v8, v4, vcc_lo
; %bb.66:
	s_wait_alu 0xfffe
	s_or_b32 exec_lo, exec_lo, s4
	v_mov_b32_dpp v21, v7 row_shr:4 row_mask:0xf bank_mask:0xf
	s_delay_alu instid0(VALU_DEP_2)
	v_mov_b32_dpp v8, v4 row_shr:4 row_mask:0xf bank_mask:0xf
	s_and_saveexec_b32 s4, s1
; %bb.67:
	s_delay_alu instid0(VALU_DEP_2) | instskip(SKIP_2) | instid1(VALU_DEP_2)
	v_add_co_u32 v7, vcc_lo, v3, v21
	s_wait_alu 0xfffd
	v_add_co_ci_u32_e64 v4, null, 0, v4, vcc_lo
	v_add_co_u32 v3, vcc_lo, 0, v7
	s_wait_alu 0xfffd
	s_delay_alu instid0(VALU_DEP_2)
	v_add_co_ci_u32_e64 v4, null, v8, v4, vcc_lo
; %bb.68:
	s_wait_alu 0xfffe
	s_or_b32 exec_lo, exec_lo, s4
	v_mov_b32_dpp v8, v7 row_shr:8 row_mask:0xf bank_mask:0xf
	s_delay_alu instid0(VALU_DEP_2)
	v_mov_b32_dpp v7, v4 row_shr:8 row_mask:0xf bank_mask:0xf
	s_and_saveexec_b32 s1, s3
; %bb.69:
	s_delay_alu instid0(VALU_DEP_2) | instskip(SKIP_2) | instid1(VALU_DEP_2)
	v_add_co_u32 v3, vcc_lo, v3, v8
	s_wait_alu 0xfffd
	v_add_co_ci_u32_e64 v4, null, 0, v4, vcc_lo
	v_add_co_u32 v3, vcc_lo, v3, 0
	s_wait_alu 0xfffd
	s_delay_alu instid0(VALU_DEP_2)
	v_add_co_ci_u32_e64 v4, null, v4, v7, vcc_lo
; %bb.70:
	s_wait_alu 0xfffe
	s_or_b32 exec_lo, exec_lo, s1
	ds_store_b64 v6, v[3:4]
.LBB1202_71:
	s_wait_alu 0xfffe
	s_or_b32 exec_lo, exec_lo, s5
	s_delay_alu instid0(SALU_CYCLE_1)
	s_mov_b32 s3, exec_lo
	v_cmp_gt_u32_e32 vcc_lo, 32, v0
	s_wait_loadcnt_dscnt 0x0
	s_barrier_signal -1
	s_barrier_wait -1
	global_inv scope:SCOPE_SE
                                        ; implicit-def: $vgpr21_vgpr22
	v_cmpx_lt_u32_e32 31, v0
	s_cbranch_execz .LBB1202_73
; %bb.72:
	v_lshl_add_u32 v1, v1, 3, -8
	ds_load_b64 v[21:22], v1
	s_wait_dscnt 0x0
	v_add_co_u32 v5, s1, v5, v21
	s_wait_alu 0xf1ff
	v_add_co_ci_u32_e64 v2, null, v2, v22, s1
.LBB1202_73:
	s_wait_alu 0xfffe
	s_or_b32 exec_lo, exec_lo, s3
	v_sub_co_u32 v1, s1, v37, 1
	s_delay_alu instid0(VALU_DEP_1) | instskip(SKIP_1) | instid1(VALU_DEP_1)
	v_cmp_gt_i32_e64 s3, 0, v1
	s_wait_alu 0xf1ff
	v_cndmask_b32_e64 v1, v1, v37, s3
	s_delay_alu instid0(VALU_DEP_1)
	v_lshlrev_b32_e32 v1, 2, v1
	ds_bpermute_b32 v39, v1, v5
	ds_bpermute_b32 v40, v1, v2
	s_and_saveexec_b32 s3, vcc_lo
	s_cbranch_execz .LBB1202_112
; %bb.74:
	v_mov_b32_e32 v4, 0
	ds_load_b64 v[1:2], v4 offset:88
	s_and_saveexec_b32 s4, s1
	s_cbranch_execz .LBB1202_76
; %bb.75:
	s_add_co_i32 s6, s27, 32
	s_mov_b32 s7, 0
	s_wait_alu 0xfffe
	s_lshl_b64 s[6:7], s[6:7], 4
	s_wait_alu 0xfffe
	s_add_nc_u64 s[6:7], s[24:25], s[6:7]
	v_mov_b32_e32 v3, 1
	s_wait_alu 0xfffe
	v_dual_mov_b32 v5, s6 :: v_dual_mov_b32 v6, s7
	s_wait_dscnt 0x0
	;;#ASMSTART
	global_store_b128 v[5:6], v[1:4] off scope:SCOPE_DEV	
s_wait_storecnt 0x0
	;;#ASMEND
.LBB1202_76:
	s_wait_alu 0xfffe
	s_or_b32 exec_lo, exec_lo, s4
	v_xad_u32 v23, v37, -1, s27
	s_mov_b32 s5, 0
	s_mov_b32 s4, exec_lo
	s_delay_alu instid0(VALU_DEP_1) | instskip(NEXT) | instid1(VALU_DEP_1)
	v_add_nc_u32_e32 v3, 32, v23
	v_lshlrev_b64_e32 v[3:4], 4, v[3:4]
	s_delay_alu instid0(VALU_DEP_1) | instskip(SKIP_1) | instid1(VALU_DEP_2)
	v_add_co_u32 v3, vcc_lo, s24, v3
	s_wait_alu 0xfffd
	v_add_co_ci_u32_e64 v4, null, s25, v4, vcc_lo
	;;#ASMSTART
	global_load_b128 v[5:8], v[3:4] off scope:SCOPE_DEV	
s_wait_loadcnt 0x0
	;;#ASMEND
	v_and_b32_e32 v8, 0xff, v7
	s_delay_alu instid0(VALU_DEP_1)
	v_cmpx_eq_u16_e32 0, v8
	s_cbranch_execz .LBB1202_79
.LBB1202_77:                            ; =>This Inner Loop Header: Depth=1
	;;#ASMSTART
	global_load_b128 v[5:8], v[3:4] off scope:SCOPE_DEV	
s_wait_loadcnt 0x0
	;;#ASMEND
	v_and_b32_e32 v8, 0xff, v7
	s_delay_alu instid0(VALU_DEP_1)
	v_cmp_ne_u16_e32 vcc_lo, 0, v8
	s_wait_alu 0xfffe
	s_or_b32 s5, vcc_lo, s5
	s_wait_alu 0xfffe
	s_and_not1_b32 exec_lo, exec_lo, s5
	s_cbranch_execnz .LBB1202_77
; %bb.78:
	s_or_b32 exec_lo, exec_lo, s5
.LBB1202_79:
	s_wait_alu 0xfffe
	s_or_b32 exec_lo, exec_lo, s4
	v_cmp_ne_u32_e32 vcc_lo, 31, v37
	v_and_b32_e32 v4, 0xff, v7
	v_lshlrev_b32_e64 v42, v37, -1
	s_mov_b32 s4, exec_lo
	s_wait_alu 0xfffd
	v_add_co_ci_u32_e64 v3, null, 0, v37, vcc_lo
	v_cmp_eq_u16_e32 vcc_lo, 2, v4
	s_delay_alu instid0(VALU_DEP_2)
	v_dual_mov_b32 v4, v5 :: v_dual_lshlrev_b32 v41, 2, v3
	s_wait_alu 0xfffd
	v_and_or_b32 v3, vcc_lo, v42, 0x80000000
	ds_bpermute_b32 v24, v41, v5
	ds_bpermute_b32 v8, v41, v6
	v_ctz_i32_b32_e32 v3, v3
	s_delay_alu instid0(VALU_DEP_1)
	v_cmpx_lt_u32_e64 v37, v3
	s_cbranch_execz .LBB1202_81
; %bb.80:
	s_wait_dscnt 0x1
	v_add_co_u32 v4, vcc_lo, v5, v24
	s_wait_alu 0xfffd
	v_add_co_ci_u32_e64 v6, null, 0, v6, vcc_lo
	s_delay_alu instid0(VALU_DEP_2) | instskip(SKIP_2) | instid1(VALU_DEP_2)
	v_add_co_u32 v5, vcc_lo, 0, v4
	s_wait_dscnt 0x0
	s_wait_alu 0xfffd
	v_add_co_ci_u32_e64 v6, null, v8, v6, vcc_lo
.LBB1202_81:
	s_wait_alu 0xfffe
	s_or_b32 exec_lo, exec_lo, s4
	v_cmp_gt_u32_e32 vcc_lo, 30, v37
	v_add_nc_u32_e32 v44, 2, v37
	s_mov_b32 s4, exec_lo
	s_wait_dscnt 0x0
	s_wait_alu 0xfffd
	v_cndmask_b32_e64 v8, 0, 2, vcc_lo
	s_delay_alu instid0(VALU_DEP_1)
	v_add_lshl_u32 v43, v8, v37, 2
	ds_bpermute_b32 v24, v43, v4
	ds_bpermute_b32 v8, v43, v6
	v_cmpx_le_u32_e64 v44, v3
	s_cbranch_execz .LBB1202_83
; %bb.82:
	s_wait_dscnt 0x1
	v_add_co_u32 v4, vcc_lo, v5, v24
	s_wait_alu 0xfffd
	v_add_co_ci_u32_e64 v6, null, 0, v6, vcc_lo
	s_delay_alu instid0(VALU_DEP_2) | instskip(SKIP_2) | instid1(VALU_DEP_2)
	v_add_co_u32 v5, vcc_lo, 0, v4
	s_wait_dscnt 0x0
	s_wait_alu 0xfffd
	v_add_co_ci_u32_e64 v6, null, v8, v6, vcc_lo
.LBB1202_83:
	s_wait_alu 0xfffe
	s_or_b32 exec_lo, exec_lo, s4
	v_cmp_gt_u32_e32 vcc_lo, 28, v37
	v_add_nc_u32_e32 v46, 4, v37
	s_mov_b32 s4, exec_lo
	s_wait_dscnt 0x0
	s_wait_alu 0xfffd
	v_cndmask_b32_e64 v8, 0, 4, vcc_lo
	s_delay_alu instid0(VALU_DEP_1)
	v_add_lshl_u32 v45, v8, v37, 2
	ds_bpermute_b32 v24, v45, v4
	ds_bpermute_b32 v8, v45, v6
	v_cmpx_le_u32_e64 v46, v3
	;; [unrolled: 25-line block ×3, first 2 shown]
	s_cbranch_execz .LBB1202_87
; %bb.86:
	s_wait_dscnt 0x1
	v_add_co_u32 v4, vcc_lo, v5, v24
	s_wait_alu 0xfffd
	v_add_co_ci_u32_e64 v6, null, 0, v6, vcc_lo
	s_delay_alu instid0(VALU_DEP_2) | instskip(SKIP_2) | instid1(VALU_DEP_2)
	v_add_co_u32 v5, vcc_lo, 0, v4
	s_wait_dscnt 0x0
	s_wait_alu 0xfffd
	v_add_co_ci_u32_e64 v6, null, v8, v6, vcc_lo
.LBB1202_87:
	s_wait_alu 0xfffe
	s_or_b32 exec_lo, exec_lo, s4
	v_lshl_or_b32 v49, v37, 2, 64
	v_add_nc_u32_e32 v50, 16, v37
	s_mov_b32 s4, exec_lo
	s_wait_dscnt 0x0
	ds_bpermute_b32 v8, v49, v4
	ds_bpermute_b32 v4, v49, v6
	v_cmpx_le_u32_e64 v50, v3
	s_cbranch_execz .LBB1202_89
; %bb.88:
	s_wait_dscnt 0x1
	v_add_co_u32 v3, vcc_lo, v5, v8
	s_wait_alu 0xfffd
	v_add_co_ci_u32_e64 v6, null, 0, v6, vcc_lo
	s_delay_alu instid0(VALU_DEP_2) | instskip(SKIP_2) | instid1(VALU_DEP_2)
	v_add_co_u32 v5, vcc_lo, v3, 0
	s_wait_dscnt 0x0
	s_wait_alu 0xfffd
	v_add_co_ci_u32_e64 v6, null, v6, v4, vcc_lo
.LBB1202_89:
	s_wait_alu 0xfffe
	s_or_b32 exec_lo, exec_lo, s4
	v_mov_b32_e32 v24, 0
	s_branch .LBB1202_92
.LBB1202_90:                            ;   in Loop: Header=BB1202_92 Depth=1
	s_wait_alu 0xfffe
	s_or_b32 exec_lo, exec_lo, s4
	v_add_co_u32 v5, vcc_lo, v5, v3
	v_subrev_nc_u32_e32 v23, 32, v23
	s_wait_alu 0xfffd
	v_add_co_ci_u32_e64 v6, null, v6, v4, vcc_lo
	s_mov_b32 s4, 0
.LBB1202_91:                            ;   in Loop: Header=BB1202_92 Depth=1
	s_wait_alu 0xfffe
	s_and_b32 vcc_lo, exec_lo, s4
	s_wait_alu 0xfffe
	s_cbranch_vccnz .LBB1202_108
.LBB1202_92:                            ; =>This Loop Header: Depth=1
                                        ;     Child Loop BB1202_95 Depth 2
	v_and_b32_e32 v3, 0xff, v7
	s_mov_b32 s4, -1
	s_delay_alu instid0(VALU_DEP_1)
	v_cmp_ne_u16_e32 vcc_lo, 2, v3
	s_wait_dscnt 0x0
	v_dual_mov_b32 v3, v5 :: v_dual_mov_b32 v4, v6
                                        ; implicit-def: $vgpr5_vgpr6
	s_cmp_lg_u32 vcc_lo, exec_lo
	s_cbranch_scc1 .LBB1202_91
; %bb.93:                               ;   in Loop: Header=BB1202_92 Depth=1
	v_lshlrev_b64_e32 v[5:6], 4, v[23:24]
	s_mov_b32 s4, exec_lo
	s_delay_alu instid0(VALU_DEP_1) | instskip(SKIP_1) | instid1(VALU_DEP_2)
	v_add_co_u32 v25, vcc_lo, s24, v5
	s_wait_alu 0xfffd
	v_add_co_ci_u32_e64 v26, null, s25, v6, vcc_lo
	;;#ASMSTART
	global_load_b128 v[5:8], v[25:26] off scope:SCOPE_DEV	
s_wait_loadcnt 0x0
	;;#ASMEND
	v_and_b32_e32 v8, 0xff, v7
	s_delay_alu instid0(VALU_DEP_1)
	v_cmpx_eq_u16_e32 0, v8
	s_cbranch_execz .LBB1202_97
; %bb.94:                               ;   in Loop: Header=BB1202_92 Depth=1
	s_mov_b32 s5, 0
.LBB1202_95:                            ;   Parent Loop BB1202_92 Depth=1
                                        ; =>  This Inner Loop Header: Depth=2
	;;#ASMSTART
	global_load_b128 v[5:8], v[25:26] off scope:SCOPE_DEV	
s_wait_loadcnt 0x0
	;;#ASMEND
	v_and_b32_e32 v8, 0xff, v7
	s_delay_alu instid0(VALU_DEP_1)
	v_cmp_ne_u16_e32 vcc_lo, 0, v8
	s_wait_alu 0xfffe
	s_or_b32 s5, vcc_lo, s5
	s_wait_alu 0xfffe
	s_and_not1_b32 exec_lo, exec_lo, s5
	s_cbranch_execnz .LBB1202_95
; %bb.96:                               ;   in Loop: Header=BB1202_92 Depth=1
	s_or_b32 exec_lo, exec_lo, s5
.LBB1202_97:                            ;   in Loop: Header=BB1202_92 Depth=1
	s_wait_alu 0xfffe
	s_or_b32 exec_lo, exec_lo, s4
	v_dual_mov_b32 v25, v5 :: v_dual_and_b32 v8, 0xff, v7
	ds_bpermute_b32 v51, v41, v5
	ds_bpermute_b32 v26, v41, v6
	s_mov_b32 s4, exec_lo
	v_cmp_eq_u16_e32 vcc_lo, 2, v8
	s_wait_alu 0xfffd
	v_and_or_b32 v8, vcc_lo, v42, 0x80000000
	s_delay_alu instid0(VALU_DEP_1) | instskip(NEXT) | instid1(VALU_DEP_1)
	v_ctz_i32_b32_e32 v8, v8
	v_cmpx_lt_u32_e64 v37, v8
	s_cbranch_execz .LBB1202_99
; %bb.98:                               ;   in Loop: Header=BB1202_92 Depth=1
	s_wait_dscnt 0x1
	v_add_co_u32 v25, vcc_lo, v5, v51
	s_wait_alu 0xfffd
	v_add_co_ci_u32_e64 v6, null, 0, v6, vcc_lo
	s_delay_alu instid0(VALU_DEP_2) | instskip(SKIP_2) | instid1(VALU_DEP_2)
	v_add_co_u32 v5, vcc_lo, 0, v25
	s_wait_dscnt 0x0
	s_wait_alu 0xfffd
	v_add_co_ci_u32_e64 v6, null, v26, v6, vcc_lo
.LBB1202_99:                            ;   in Loop: Header=BB1202_92 Depth=1
	s_wait_alu 0xfffe
	s_or_b32 exec_lo, exec_lo, s4
	s_wait_dscnt 0x1
	ds_bpermute_b32 v51, v43, v25
	s_wait_dscnt 0x1
	ds_bpermute_b32 v26, v43, v6
	s_mov_b32 s4, exec_lo
	v_cmpx_le_u32_e64 v44, v8
	s_cbranch_execz .LBB1202_101
; %bb.100:                              ;   in Loop: Header=BB1202_92 Depth=1
	s_wait_dscnt 0x1
	v_add_co_u32 v25, vcc_lo, v5, v51
	s_wait_alu 0xfffd
	v_add_co_ci_u32_e64 v6, null, 0, v6, vcc_lo
	s_delay_alu instid0(VALU_DEP_2) | instskip(SKIP_2) | instid1(VALU_DEP_2)
	v_add_co_u32 v5, vcc_lo, 0, v25
	s_wait_dscnt 0x0
	s_wait_alu 0xfffd
	v_add_co_ci_u32_e64 v6, null, v26, v6, vcc_lo
.LBB1202_101:                           ;   in Loop: Header=BB1202_92 Depth=1
	s_wait_alu 0xfffe
	s_or_b32 exec_lo, exec_lo, s4
	s_wait_dscnt 0x1
	ds_bpermute_b32 v51, v45, v25
	s_wait_dscnt 0x1
	ds_bpermute_b32 v26, v45, v6
	s_mov_b32 s4, exec_lo
	v_cmpx_le_u32_e64 v46, v8
	s_cbranch_execz .LBB1202_103
; %bb.102:                              ;   in Loop: Header=BB1202_92 Depth=1
	s_wait_dscnt 0x1
	v_add_co_u32 v25, vcc_lo, v5, v51
	s_wait_alu 0xfffd
	v_add_co_ci_u32_e64 v6, null, 0, v6, vcc_lo
	s_delay_alu instid0(VALU_DEP_2) | instskip(SKIP_2) | instid1(VALU_DEP_2)
	v_add_co_u32 v5, vcc_lo, 0, v25
	s_wait_dscnt 0x0
	s_wait_alu 0xfffd
	v_add_co_ci_u32_e64 v6, null, v26, v6, vcc_lo
.LBB1202_103:                           ;   in Loop: Header=BB1202_92 Depth=1
	;; [unrolled: 20-line block ×3, first 2 shown]
	s_wait_alu 0xfffe
	s_or_b32 exec_lo, exec_lo, s4
	s_wait_dscnt 0x0
	ds_bpermute_b32 v26, v49, v25
	ds_bpermute_b32 v25, v49, v6
	s_mov_b32 s4, exec_lo
	v_cmpx_le_u32_e64 v50, v8
	s_cbranch_execz .LBB1202_90
; %bb.106:                              ;   in Loop: Header=BB1202_92 Depth=1
	s_wait_dscnt 0x1
	v_add_co_u32 v5, vcc_lo, v5, v26
	s_wait_alu 0xfffd
	v_add_co_ci_u32_e64 v6, null, 0, v6, vcc_lo
	s_delay_alu instid0(VALU_DEP_2) | instskip(SKIP_2) | instid1(VALU_DEP_2)
	v_add_co_u32 v5, vcc_lo, v5, 0
	s_wait_dscnt 0x0
	s_wait_alu 0xfffd
	v_add_co_ci_u32_e64 v6, null, v6, v25, vcc_lo
	s_branch .LBB1202_90
.LBB1202_107:
                                        ; implicit-def: $vgpr4_vgpr5
                                        ; implicit-def: $vgpr43_vgpr44
	s_wait_alu 0xfffe
	s_and_b32 vcc_lo, exec_lo, s1
	s_wait_alu 0xfffe
	s_cbranch_vccnz .LBB1202_113
	s_branch .LBB1202_140
.LBB1202_108:
	s_and_saveexec_b32 s4, s1
	s_cbranch_execz .LBB1202_110
; %bb.109:
	s_add_co_i32 s6, s27, 32
	s_mov_b32 s7, 0
	v_add_co_u32 v5, vcc_lo, v3, v1
	s_wait_alu 0xfffe
	s_lshl_b64 s[6:7], s[6:7], 4
	v_dual_mov_b32 v7, 2 :: v_dual_mov_b32 v8, 0
	s_wait_alu 0xfffe
	s_add_nc_u64 s[6:7], s[24:25], s[6:7]
	s_wait_alu 0xfffd
	v_add_co_ci_u32_e64 v6, null, v4, v2, vcc_lo
	s_wait_alu 0xfffe
	v_dual_mov_b32 v24, s7 :: v_dual_mov_b32 v23, s6
	;;#ASMSTART
	global_store_b128 v[23:24], v[5:8] off scope:SCOPE_DEV	
s_wait_storecnt 0x0
	;;#ASMEND
	ds_store_b128 v8, v[1:4] offset:13824
.LBB1202_110:
	s_wait_alu 0xfffe
	s_or_b32 exec_lo, exec_lo, s4
	s_delay_alu instid0(SALU_CYCLE_1)
	s_and_b32 exec_lo, exec_lo, s2
; %bb.111:
	v_mov_b32_e32 v1, 0
	ds_store_b64 v1, v[3:4] offset:88
.LBB1202_112:
	s_wait_alu 0xfffe
	s_or_b32 exec_lo, exec_lo, s3
	v_mov_b32_e32 v1, 0
	s_wait_loadcnt_dscnt 0x0
	s_barrier_signal -1
	s_barrier_wait -1
	global_inv scope:SCOPE_SE
	ds_load_b64 v[6:7], v1 offset:88
	s_wait_loadcnt_dscnt 0x0
	s_barrier_signal -1
	s_barrier_wait -1
	global_inv scope:SCOPE_SE
	ds_load_b128 v[2:5], v1 offset:13824
	v_cndmask_b32_e64 v1, v39, v21, s1
	v_cndmask_b32_e64 v8, v40, v22, s1
	s_delay_alu instid0(VALU_DEP_2) | instskip(NEXT) | instid1(VALU_DEP_2)
	v_cndmask_b32_e64 v1, v1, 0, s2
	v_cndmask_b32_e64 v8, v8, 0, s2
	s_delay_alu instid0(VALU_DEP_2) | instskip(SKIP_1) | instid1(VALU_DEP_2)
	v_add_co_u32 v43, vcc_lo, v6, v1
	s_wait_alu 0xfffd
	v_add_co_ci_u32_e64 v44, null, v7, v8, vcc_lo
	s_branch .LBB1202_140
.LBB1202_113:
	s_wait_dscnt 0x0
	v_dual_mov_b32 v2, 0 :: v_dual_mov_b32 v3, v19
	v_mov_b32_dpp v4, v19 row_shr:1 row_mask:0xf bank_mask:0xf
	s_delay_alu instid0(VALU_DEP_2)
	v_mov_b32_dpp v1, v2 row_shr:1 row_mask:0xf bank_mask:0xf
	s_and_saveexec_b32 s1, s0
; %bb.114:
	s_delay_alu instid0(VALU_DEP_2) | instskip(SKIP_2) | instid1(VALU_DEP_2)
	v_add_co_u32 v3, vcc_lo, v19, v4
	s_wait_alu 0xfffd
	v_add_co_ci_u32_e64 v2, null, 0, v20, vcc_lo
	v_add_co_u32 v19, vcc_lo, 0, v3
	s_wait_alu 0xfffd
	s_delay_alu instid0(VALU_DEP_2) | instskip(NEXT) | instid1(VALU_DEP_1)
	v_add_co_ci_u32_e64 v20, null, v1, v2, vcc_lo
	v_mov_b32_e32 v2, v20
; %bb.115:
	s_wait_alu 0xfffe
	s_or_b32 exec_lo, exec_lo, s1
	v_mov_b32_dpp v1, v3 row_shr:2 row_mask:0xf bank_mask:0xf
	s_delay_alu instid0(VALU_DEP_2)
	v_mov_b32_dpp v4, v2 row_shr:2 row_mask:0xf bank_mask:0xf
	v_cmp_lt_u32_e32 vcc_lo, 1, v38
	s_and_saveexec_b32 s3, vcc_lo
; %bb.116:
	s_delay_alu instid0(VALU_DEP_3) | instskip(SKIP_2) | instid1(VALU_DEP_2)
	v_add_co_u32 v3, s1, v19, v1
	s_wait_alu 0xf1ff
	v_add_co_ci_u32_e64 v2, null, 0, v20, s1
	v_add_co_u32 v1, s1, 0, v3
	s_wait_alu 0xf1ff
	s_delay_alu instid0(VALU_DEP_2) | instskip(NEXT) | instid1(VALU_DEP_1)
	v_add_co_ci_u32_e64 v2, null, v4, v2, s1
	v_dual_mov_b32 v20, v2 :: v_dual_mov_b32 v19, v1
; %bb.117:
	s_wait_alu 0xfffe
	s_or_b32 exec_lo, exec_lo, s3
	v_mov_b32_dpp v1, v3 row_shr:4 row_mask:0xf bank_mask:0xf
	v_mov_b32_dpp v4, v2 row_shr:4 row_mask:0xf bank_mask:0xf
	v_cmp_lt_u32_e64 s1, 3, v38
	s_and_saveexec_b32 s4, s1
; %bb.118:
	v_add_co_u32 v3, s3, v19, v1
	s_wait_alu 0xf1ff
	v_add_co_ci_u32_e64 v2, null, 0, v20, s3
	s_delay_alu instid0(VALU_DEP_2) | instskip(SKIP_1) | instid1(VALU_DEP_2)
	v_add_co_u32 v1, s3, 0, v3
	s_wait_alu 0xf1ff
	v_add_co_ci_u32_e64 v2, null, v4, v2, s3
	s_delay_alu instid0(VALU_DEP_1)
	v_dual_mov_b32 v20, v2 :: v_dual_mov_b32 v19, v1
; %bb.119:
	s_wait_alu 0xfffe
	s_or_b32 exec_lo, exec_lo, s4
	v_mov_b32_dpp v4, v3 row_shr:8 row_mask:0xf bank_mask:0xf
	v_mov_b32_dpp v1, v2 row_shr:8 row_mask:0xf bank_mask:0xf
	v_cmp_lt_u32_e64 s3, 7, v38
	s_and_saveexec_b32 s5, s3
; %bb.120:
	v_add_co_u32 v3, s4, v19, v4
	s_wait_alu 0xf1ff
	v_add_co_ci_u32_e64 v2, null, 0, v20, s4
	s_delay_alu instid0(VALU_DEP_2) | instskip(SKIP_1) | instid1(VALU_DEP_2)
	v_add_co_u32 v19, s4, 0, v3
	s_wait_alu 0xf1ff
	v_add_co_ci_u32_e64 v20, null, v1, v2, s4
	s_delay_alu instid0(VALU_DEP_1)
	v_mov_b32_e32 v2, v20
; %bb.121:
	s_wait_alu 0xfffe
	s_or_b32 exec_lo, exec_lo, s5
	ds_swizzle_b32 v3, v3 offset:swizzle(BROADCAST,32,15)
	ds_swizzle_b32 v1, v2 offset:swizzle(BROADCAST,32,15)
	v_and_b32_e32 v2, 16, v37
	s_mov_b32 s5, exec_lo
	s_delay_alu instid0(VALU_DEP_1)
	v_cmpx_ne_u32_e32 0, v2
	s_cbranch_execz .LBB1202_123
; %bb.122:
	s_wait_dscnt 0x1
	v_add_co_u32 v2, s4, v19, v3
	s_wait_alu 0xf1ff
	v_add_co_ci_u32_e64 v3, null, 0, v20, s4
	s_delay_alu instid0(VALU_DEP_2) | instskip(SKIP_2) | instid1(VALU_DEP_2)
	v_add_co_u32 v19, s4, v2, 0
	s_wait_dscnt 0x0
	s_wait_alu 0xf1ff
	v_add_co_ci_u32_e64 v20, null, v3, v1, s4
.LBB1202_123:
	s_wait_alu 0xfffe
	s_or_b32 exec_lo, exec_lo, s5
	s_wait_dscnt 0x0
	v_and_b32_e32 v1, 0x1e0, v0
	v_lshrrev_b32_e32 v3, 5, v0
	s_mov_b32 s5, exec_lo
	s_delay_alu instid0(VALU_DEP_2) | instskip(NEXT) | instid1(VALU_DEP_1)
	v_min_u32_e32 v1, 0x160, v1
	v_or_b32_e32 v1, 31, v1
	s_delay_alu instid0(VALU_DEP_1)
	v_cmpx_eq_u32_e64 v0, v1
; %bb.124:
	v_lshlrev_b32_e32 v1, 3, v3
	ds_store_b64 v1, v[19:20]
; %bb.125:
	s_wait_alu 0xfffe
	s_or_b32 exec_lo, exec_lo, s5
	s_delay_alu instid0(SALU_CYCLE_1)
	s_mov_b32 s5, exec_lo
	s_wait_loadcnt_dscnt 0x0
	s_barrier_signal -1
	s_barrier_wait -1
	global_inv scope:SCOPE_SE
	v_cmpx_gt_u32_e32 12, v0
	s_cbranch_execz .LBB1202_135
; %bb.126:
	v_lshlrev_b32_e32 v4, 3, v0
	ds_load_b64 v[1:2], v4
	s_wait_dscnt 0x0
	v_mov_b32_dpp v7, v1 row_shr:1 row_mask:0xf bank_mask:0xf
	v_mov_b32_dpp v6, v2 row_shr:1 row_mask:0xf bank_mask:0xf
	v_mov_b32_e32 v5, v1
	s_and_saveexec_b32 s4, s0
; %bb.127:
	s_delay_alu instid0(VALU_DEP_3) | instskip(SKIP_2) | instid1(VALU_DEP_2)
	v_add_co_u32 v5, s0, v1, v7
	s_wait_alu 0xf1ff
	v_add_co_ci_u32_e64 v2, null, 0, v2, s0
	v_add_co_u32 v1, s0, 0, v5
	s_wait_alu 0xf1ff
	s_delay_alu instid0(VALU_DEP_2)
	v_add_co_ci_u32_e64 v2, null, v6, v2, s0
; %bb.128:
	s_wait_alu 0xfffe
	s_or_b32 exec_lo, exec_lo, s4
	v_mov_b32_dpp v7, v5 row_shr:2 row_mask:0xf bank_mask:0xf
	s_delay_alu instid0(VALU_DEP_2)
	v_mov_b32_dpp v6, v2 row_shr:2 row_mask:0xf bank_mask:0xf
	s_and_saveexec_b32 s0, vcc_lo
; %bb.129:
	s_delay_alu instid0(VALU_DEP_2) | instskip(SKIP_2) | instid1(VALU_DEP_2)
	v_add_co_u32 v5, vcc_lo, v1, v7
	s_wait_alu 0xfffd
	v_add_co_ci_u32_e64 v2, null, 0, v2, vcc_lo
	v_add_co_u32 v1, vcc_lo, 0, v5
	s_wait_alu 0xfffd
	s_delay_alu instid0(VALU_DEP_2)
	v_add_co_ci_u32_e64 v2, null, v6, v2, vcc_lo
; %bb.130:
	s_wait_alu 0xfffe
	s_or_b32 exec_lo, exec_lo, s0
	v_mov_b32_dpp v7, v5 row_shr:4 row_mask:0xf bank_mask:0xf
	s_delay_alu instid0(VALU_DEP_2)
	v_mov_b32_dpp v6, v2 row_shr:4 row_mask:0xf bank_mask:0xf
	s_and_saveexec_b32 s0, s1
; %bb.131:
	s_delay_alu instid0(VALU_DEP_2) | instskip(SKIP_2) | instid1(VALU_DEP_2)
	v_add_co_u32 v5, vcc_lo, v1, v7
	s_wait_alu 0xfffd
	v_add_co_ci_u32_e64 v2, null, 0, v2, vcc_lo
	v_add_co_u32 v1, vcc_lo, 0, v5
	s_wait_alu 0xfffd
	s_delay_alu instid0(VALU_DEP_2)
	v_add_co_ci_u32_e64 v2, null, v6, v2, vcc_lo
; %bb.132:
	s_wait_alu 0xfffe
	s_or_b32 exec_lo, exec_lo, s0
	v_mov_b32_dpp v6, v5 row_shr:8 row_mask:0xf bank_mask:0xf
	s_delay_alu instid0(VALU_DEP_2)
	v_mov_b32_dpp v5, v2 row_shr:8 row_mask:0xf bank_mask:0xf
	s_and_saveexec_b32 s0, s3
; %bb.133:
	s_delay_alu instid0(VALU_DEP_2) | instskip(SKIP_2) | instid1(VALU_DEP_2)
	v_add_co_u32 v1, vcc_lo, v1, v6
	s_wait_alu 0xfffd
	v_add_co_ci_u32_e64 v2, null, 0, v2, vcc_lo
	v_add_co_u32 v1, vcc_lo, v1, 0
	s_wait_alu 0xfffd
	s_delay_alu instid0(VALU_DEP_2)
	v_add_co_ci_u32_e64 v2, null, v2, v5, vcc_lo
; %bb.134:
	s_wait_alu 0xfffe
	s_or_b32 exec_lo, exec_lo, s0
	ds_store_b64 v4, v[1:2]
.LBB1202_135:
	s_wait_alu 0xfffe
	s_or_b32 exec_lo, exec_lo, s5
	v_mov_b32_e32 v6, 0
	v_mov_b32_e32 v7, 0
	s_mov_b32 s0, exec_lo
	s_wait_loadcnt_dscnt 0x0
	s_barrier_signal -1
	s_barrier_wait -1
	global_inv scope:SCOPE_SE
	v_cmpx_lt_u32_e32 31, v0
; %bb.136:
	v_lshl_add_u32 v1, v3, 3, -8
	ds_load_b64 v[6:7], v1
; %bb.137:
	s_wait_alu 0xfffe
	s_or_b32 exec_lo, exec_lo, s0
	v_sub_co_u32 v1, vcc_lo, v37, 1
	v_mov_b32_e32 v5, 0
	s_delay_alu instid0(VALU_DEP_2) | instskip(SKIP_1) | instid1(VALU_DEP_1)
	v_cmp_gt_i32_e64 s0, 0, v1
	s_wait_alu 0xf1ff
	v_cndmask_b32_e64 v1, v1, v37, s0
	s_delay_alu instid0(VALU_DEP_1)
	v_lshlrev_b32_e32 v2, 2, v1
	s_wait_dscnt 0x0
	v_add_co_u32 v1, s0, v6, v19
	s_wait_alu 0xf1ff
	v_add_co_ci_u32_e64 v3, null, v7, v20, s0
	ds_bpermute_b32 v1, v2, v1
	ds_bpermute_b32 v8, v2, v3
	ds_load_b64 v[2:3], v5 offset:88
	s_and_saveexec_b32 s0, s2
	s_cbranch_execz .LBB1202_139
; %bb.138:
	s_add_nc_u64 s[4:5], s[24:25], 0x200
	v_mov_b32_e32 v4, 2
	s_wait_alu 0xfffe
	v_dual_mov_b32 v20, s5 :: v_dual_mov_b32 v19, s4
	s_wait_dscnt 0x0
	;;#ASMSTART
	global_store_b128 v[19:20], v[2:5] off scope:SCOPE_DEV	
s_wait_storecnt 0x0
	;;#ASMEND
.LBB1202_139:
	s_wait_alu 0xfffe
	s_or_b32 exec_lo, exec_lo, s0
	s_wait_dscnt 0x1
	s_wait_alu 0xfffd
	v_dual_cndmask_b32 v7, v8, v7 :: v_dual_mov_b32 v4, 0
	v_cndmask_b32_e32 v1, v1, v6, vcc_lo
	v_mov_b32_e32 v5, 0
	s_wait_loadcnt_dscnt 0x0
	s_delay_alu instid0(VALU_DEP_3)
	v_cndmask_b32_e64 v44, v7, 0, s2
	s_barrier_signal -1
	v_cndmask_b32_e64 v43, v1, 0, s2
	s_barrier_wait -1
	global_inv scope:SCOPE_SE
.LBB1202_140:
	s_delay_alu instid0(VALU_DEP_2) | instskip(SKIP_1) | instid1(VALU_DEP_2)
	v_add_co_u32 v53, vcc_lo, v43, v29
	s_wait_alu 0xfffd
	v_add_co_ci_u32_e64 v54, null, 0, v44, vcc_lo
	v_lshlrev_b64_e32 v[6:7], 1, v[17:18]
	s_delay_alu instid0(VALU_DEP_3) | instskip(SKIP_1) | instid1(VALU_DEP_3)
	v_add_co_u32 v51, vcc_lo, v53, v28
	s_wait_alu 0xfffd
	v_add_co_ci_u32_e64 v52, null, 0, v54, vcc_lo
	v_lshrrev_b32_e32 v71, 16, v63
	s_delay_alu instid0(VALU_DEP_3) | instskip(SKIP_1) | instid1(VALU_DEP_3)
	v_add_co_u32 v49, vcc_lo, v51, v36
	s_wait_alu 0xfffd
	v_add_co_ci_u32_e64 v50, null, 0, v52, vcc_lo
	v_lshrrev_b32_e32 v72, 8, v63
	;; [unrolled: 5-line block ×8, first 2 shown]
	s_delay_alu instid0(VALU_DEP_3) | instskip(SKIP_1) | instid1(VALU_DEP_3)
	v_add_co_u32 v33, vcc_lo, v35, v31
	s_wait_alu 0xfffd
	v_add_co_ci_u32_e64 v34, null, 0, v36, vcc_lo
	s_mov_b32 s1, -1
	v_add_co_u32 v31, vcc_lo, v33, v30
	s_wait_alu 0xfffd
	v_add_co_ci_u32_e64 v32, null, 0, v34, vcc_lo
	s_delay_alu instid0(VALU_DEP_2) | instskip(SKIP_1) | instid1(VALU_DEP_2)
	v_add_co_u32 v29, vcc_lo, v31, v64
	s_wait_alu 0xfffd
	v_add_co_ci_u32_e64 v30, null, 0, v32, vcc_lo
	s_delay_alu instid0(VALU_DEP_2) | instskip(SKIP_1) | instid1(VALU_DEP_2)
	v_add_co_u32 v23, vcc_lo, v29, v68
	s_wait_alu 0xfffd
	v_add_co_ci_u32_e64 v24, null, 0, v30, vcc_lo
	v_and_b32_e32 v68, 1, v55
	s_delay_alu instid0(VALU_DEP_3) | instskip(SKIP_1) | instid1(VALU_DEP_3)
	v_add_co_u32 v27, s0, v23, v27
	s_wait_alu 0xf1ff
	v_add_co_ci_u32_e64 v28, null, 0, v24, s0
	s_wait_dscnt 0x0
	v_cmp_gt_u64_e32 vcc_lo, 0x181, v[2:3]
	v_add_co_u32 v25, s0, v27, v67
	s_wait_alu 0xf1ff
	v_add_co_ci_u32_e64 v26, null, 0, v28, s0
	s_and_b32 vcc_lo, exec_lo, vcc_lo
	v_add_co_u32 v21, s0, v25, v62
	s_wait_alu 0xf1ff
	v_add_co_ci_u32_e64 v22, null, 0, v26, s0
	s_delay_alu instid0(VALU_DEP_2) | instskip(SKIP_1) | instid1(VALU_DEP_2)
	v_add_co_u32 v19, s0, v21, v56
	s_wait_alu 0xf1ff
	v_add_co_ci_u32_e64 v20, null, 0, v22, s0
	v_cmp_eq_u32_e64 s0, 1, v68
	s_wait_alu 0xfffe
	s_cbranch_vccnz .LBB1202_144
; %bb.141:
	s_and_b32 vcc_lo, exec_lo, s1
	s_wait_alu 0xfffe
	s_cbranch_vccnz .LBB1202_181
.LBB1202_142:
	s_and_b32 s0, s2, s22
	s_wait_alu 0xfffe
	s_and_saveexec_b32 s1, s0
	s_cbranch_execnz .LBB1202_220
.LBB1202_143:
	s_endpgm
.LBB1202_144:
	v_add_co_u32 v55, vcc_lo, v4, v2
	s_wait_alu 0xfffd
	v_add_co_ci_u32_e64 v56, null, v5, v3, vcc_lo
	v_add_co_u32 v67, s1, s18, v6
	s_wait_alu 0xf1ff
	v_add_co_ci_u32_e64 v75, null, s19, v7, s1
	s_delay_alu instid0(VALU_DEP_3)
	v_cmp_lt_u64_e32 vcc_lo, v[43:44], v[55:56]
	s_or_b32 s1, s23, vcc_lo
	s_wait_alu 0xfffe
	s_and_b32 s1, s1, s0
	s_wait_alu 0xfffe
	s_and_saveexec_b32 s0, s1
	s_cbranch_execz .LBB1202_146
; %bb.145:
	v_lshlrev_b64_e32 v[76:77], 1, v[43:44]
	s_delay_alu instid0(VALU_DEP_1) | instskip(SKIP_1) | instid1(VALU_DEP_2)
	v_add_co_u32 v76, vcc_lo, v67, v76
	s_wait_alu 0xfffd
	v_add_co_ci_u32_e64 v77, null, v75, v77, vcc_lo
	global_store_b16 v[76:77], v58, off
.LBB1202_146:
	s_wait_alu 0xfffe
	s_or_b32 exec_lo, exec_lo, s0
	v_and_b32_e32 v44, 1, v74
	v_cmp_lt_u64_e32 vcc_lo, v[53:54], v[55:56]
	s_delay_alu instid0(VALU_DEP_2)
	v_cmp_eq_u32_e64 s0, 1, v44
	s_or_b32 s1, s23, vcc_lo
	s_wait_alu 0xfffe
	s_and_b32 s1, s1, s0
	s_wait_alu 0xfffe
	s_and_saveexec_b32 s0, s1
	s_cbranch_execz .LBB1202_148
; %bb.147:
	v_lshlrev_b64_e32 v[76:77], 1, v[53:54]
	s_delay_alu instid0(VALU_DEP_1) | instskip(SKIP_1) | instid1(VALU_DEP_2)
	v_add_co_u32 v76, vcc_lo, v67, v76
	s_wait_alu 0xfffd
	v_add_co_ci_u32_e64 v77, null, v75, v77, vcc_lo
	global_store_d16_hi_b16 v[76:77], v58, off
.LBB1202_148:
	s_wait_alu 0xfffe
	s_or_b32 exec_lo, exec_lo, s0
	v_and_b32_e32 v44, 1, v73
	v_cmp_lt_u64_e32 vcc_lo, v[51:52], v[55:56]
	s_delay_alu instid0(VALU_DEP_2)
	v_cmp_eq_u32_e64 s0, 1, v44
	s_or_b32 s1, s23, vcc_lo
	s_wait_alu 0xfffe
	s_and_b32 s1, s1, s0
	s_wait_alu 0xfffe
	s_and_saveexec_b32 s0, s1
	s_cbranch_execz .LBB1202_150
; %bb.149:
	v_lshlrev_b64_e32 v[76:77], 1, v[51:52]
	s_delay_alu instid0(VALU_DEP_1) | instskip(SKIP_1) | instid1(VALU_DEP_2)
	v_add_co_u32 v76, vcc_lo, v67, v76
	s_wait_alu 0xfffd
	v_add_co_ci_u32_e64 v77, null, v75, v77, vcc_lo
	global_store_b16 v[76:77], v15, off
.LBB1202_150:
	s_wait_alu 0xfffe
	s_or_b32 exec_lo, exec_lo, s0
	v_and_b32_e32 v44, 1, v66
	v_cmp_lt_u64_e32 vcc_lo, v[49:50], v[55:56]
	s_delay_alu instid0(VALU_DEP_2)
	v_cmp_eq_u32_e64 s0, 1, v44
	s_or_b32 s1, s23, vcc_lo
	s_wait_alu 0xfffe
	s_and_b32 s1, s1, s0
	s_wait_alu 0xfffe
	s_and_saveexec_b32 s0, s1
	s_cbranch_execz .LBB1202_152
; %bb.151:
	v_lshlrev_b64_e32 v[76:77], 1, v[49:50]
	s_delay_alu instid0(VALU_DEP_1) | instskip(SKIP_1) | instid1(VALU_DEP_2)
	v_add_co_u32 v76, vcc_lo, v67, v76
	s_wait_alu 0xfffd
	v_add_co_ci_u32_e64 v77, null, v75, v77, vcc_lo
	global_store_d16_hi_b16 v[76:77], v15, off
.LBB1202_152:
	s_wait_alu 0xfffe
	s_or_b32 exec_lo, exec_lo, s0
	v_and_b32_e32 v44, 1, v63
	v_cmp_lt_u64_e32 vcc_lo, v[47:48], v[55:56]
	s_delay_alu instid0(VALU_DEP_2)
	v_cmp_eq_u32_e64 s0, 1, v44
	s_or_b32 s1, s23, vcc_lo
	s_wait_alu 0xfffe
	s_and_b32 s1, s1, s0
	s_wait_alu 0xfffe
	s_and_saveexec_b32 s0, s1
	s_cbranch_execz .LBB1202_154
; %bb.153:
	v_lshlrev_b64_e32 v[76:77], 1, v[47:48]
	s_delay_alu instid0(VALU_DEP_1) | instskip(SKIP_1) | instid1(VALU_DEP_2)
	v_add_co_u32 v76, vcc_lo, v67, v76
	s_wait_alu 0xfffd
	v_add_co_ci_u32_e64 v77, null, v75, v77, vcc_lo
	global_store_b16 v[76:77], v16, off
.LBB1202_154:
	s_wait_alu 0xfffe
	s_or_b32 exec_lo, exec_lo, s0
	v_and_b32_e32 v44, 1, v72
	v_cmp_lt_u64_e32 vcc_lo, v[45:46], v[55:56]
	s_delay_alu instid0(VALU_DEP_2)
	v_cmp_eq_u32_e64 s0, 1, v44
	s_or_b32 s1, s23, vcc_lo
	s_wait_alu 0xfffe
	s_and_b32 s1, s1, s0
	s_wait_alu 0xfffe
	s_and_saveexec_b32 s0, s1
	s_cbranch_execz .LBB1202_156
; %bb.155:
	v_lshlrev_b64_e32 v[76:77], 1, v[45:46]
	s_delay_alu instid0(VALU_DEP_1) | instskip(SKIP_1) | instid1(VALU_DEP_2)
	v_add_co_u32 v76, vcc_lo, v67, v76
	s_wait_alu 0xfffd
	v_add_co_ci_u32_e64 v77, null, v75, v77, vcc_lo
	global_store_d16_hi_b16 v[76:77], v16, off
.LBB1202_156:
	s_wait_alu 0xfffe
	s_or_b32 exec_lo, exec_lo, s0
	v_and_b32_e32 v44, 1, v71
	v_cmp_lt_u64_e32 vcc_lo, v[41:42], v[55:56]
	s_delay_alu instid0(VALU_DEP_2)
	v_cmp_eq_u32_e64 s0, 1, v44
	s_or_b32 s1, s23, vcc_lo
	s_wait_alu 0xfffe
	s_and_b32 s1, s1, s0
	s_wait_alu 0xfffe
	s_and_saveexec_b32 s0, s1
	s_cbranch_execz .LBB1202_158
; %bb.157:
	v_lshlrev_b64_e32 v[76:77], 1, v[41:42]
	s_delay_alu instid0(VALU_DEP_1) | instskip(SKIP_1) | instid1(VALU_DEP_2)
	v_add_co_u32 v76, vcc_lo, v67, v76
	s_wait_alu 0xfffd
	v_add_co_ci_u32_e64 v77, null, v75, v77, vcc_lo
	global_store_b16 v[76:77], v13, off
.LBB1202_158:
	s_wait_alu 0xfffe
	s_or_b32 exec_lo, exec_lo, s0
	v_and_b32_e32 v42, 1, v65
	v_cmp_lt_u64_e32 vcc_lo, v[39:40], v[55:56]
	s_delay_alu instid0(VALU_DEP_2)
	v_cmp_eq_u32_e64 s0, 1, v42
	s_or_b32 s1, s23, vcc_lo
	s_wait_alu 0xfffe
	s_and_b32 s1, s1, s0
	s_wait_alu 0xfffe
	s_and_saveexec_b32 s0, s1
	s_cbranch_execz .LBB1202_160
; %bb.159:
	v_lshlrev_b64_e32 v[76:77], 1, v[39:40]
	s_delay_alu instid0(VALU_DEP_1) | instskip(SKIP_1) | instid1(VALU_DEP_2)
	v_add_co_u32 v76, vcc_lo, v67, v76
	s_wait_alu 0xfffd
	v_add_co_ci_u32_e64 v77, null, v75, v77, vcc_lo
	global_store_d16_hi_b16 v[76:77], v13, off
.LBB1202_160:
	s_wait_alu 0xfffe
	s_or_b32 exec_lo, exec_lo, s0
	v_and_b32_e32 v40, 1, v61
	v_cmp_lt_u64_e32 vcc_lo, v[37:38], v[55:56]
	s_delay_alu instid0(VALU_DEP_2)
	v_cmp_eq_u32_e64 s0, 1, v40
	s_or_b32 s1, s23, vcc_lo
	s_wait_alu 0xfffe
	s_and_b32 s1, s1, s0
	s_wait_alu 0xfffe
	s_and_saveexec_b32 s0, s1
	s_cbranch_execz .LBB1202_162
; %bb.161:
	v_lshlrev_b64_e32 v[76:77], 1, v[37:38]
	s_delay_alu instid0(VALU_DEP_1) | instskip(SKIP_1) | instid1(VALU_DEP_2)
	v_add_co_u32 v76, vcc_lo, v67, v76
	s_wait_alu 0xfffd
	v_add_co_ci_u32_e64 v77, null, v75, v77, vcc_lo
	global_store_b16 v[76:77], v14, off
.LBB1202_162:
	s_wait_alu 0xfffe
	s_or_b32 exec_lo, exec_lo, s0
	v_and_b32_e32 v38, 1, v70
	v_cmp_lt_u64_e32 vcc_lo, v[35:36], v[55:56]
	s_delay_alu instid0(VALU_DEP_2)
	v_cmp_eq_u32_e64 s0, 1, v38
	s_or_b32 s1, s23, vcc_lo
	s_wait_alu 0xfffe
	s_and_b32 s1, s1, s0
	s_wait_alu 0xfffe
	s_and_saveexec_b32 s0, s1
	s_cbranch_execz .LBB1202_164
; %bb.163:
	v_lshlrev_b64_e32 v[76:77], 1, v[35:36]
	s_delay_alu instid0(VALU_DEP_1) | instskip(SKIP_1) | instid1(VALU_DEP_2)
	v_add_co_u32 v76, vcc_lo, v67, v76
	s_wait_alu 0xfffd
	v_add_co_ci_u32_e64 v77, null, v75, v77, vcc_lo
	global_store_d16_hi_b16 v[76:77], v14, off
.LBB1202_164:
	s_wait_alu 0xfffe
	s_or_b32 exec_lo, exec_lo, s0
	v_and_b32_e32 v36, 1, v69
	v_cmp_lt_u64_e32 vcc_lo, v[33:34], v[55:56]
	s_delay_alu instid0(VALU_DEP_2)
	v_cmp_eq_u32_e64 s0, 1, v36
	s_or_b32 s1, s23, vcc_lo
	s_wait_alu 0xfffe
	s_and_b32 s1, s1, s0
	s_wait_alu 0xfffe
	s_and_saveexec_b32 s0, s1
	s_cbranch_execz .LBB1202_166
; %bb.165:
	v_lshlrev_b64_e32 v[76:77], 1, v[33:34]
	s_delay_alu instid0(VALU_DEP_1) | instskip(SKIP_1) | instid1(VALU_DEP_2)
	v_add_co_u32 v76, vcc_lo, v67, v76
	s_wait_alu 0xfffd
	v_add_co_ci_u32_e64 v77, null, v75, v77, vcc_lo
	global_store_b16 v[76:77], v11, off
.LBB1202_166:
	s_wait_alu 0xfffe
	s_or_b32 exec_lo, exec_lo, s0
	v_and_b32_e32 v34, 1, v64
	v_cmp_lt_u64_e32 vcc_lo, v[31:32], v[55:56]
	s_delay_alu instid0(VALU_DEP_2)
	v_cmp_eq_u32_e64 s0, 1, v34
	s_or_b32 s1, s23, vcc_lo
	s_wait_alu 0xfffe
	s_and_b32 s1, s1, s0
	s_wait_alu 0xfffe
	s_and_saveexec_b32 s0, s1
	s_cbranch_execz .LBB1202_168
; %bb.167:
	v_lshlrev_b64_e32 v[76:77], 1, v[31:32]
	s_delay_alu instid0(VALU_DEP_1) | instskip(SKIP_1) | instid1(VALU_DEP_2)
	v_add_co_u32 v76, vcc_lo, v67, v76
	s_wait_alu 0xfffd
	v_add_co_ci_u32_e64 v77, null, v75, v77, vcc_lo
	global_store_d16_hi_b16 v[76:77], v11, off
.LBB1202_168:
	s_wait_alu 0xfffe
	s_or_b32 exec_lo, exec_lo, s0
	v_and_b32_e32 v32, 1, v60
	v_cmp_lt_u64_e32 vcc_lo, v[29:30], v[55:56]
	s_delay_alu instid0(VALU_DEP_2)
	v_cmp_eq_u32_e64 s0, 1, v32
	s_or_b32 s1, s23, vcc_lo
	s_wait_alu 0xfffe
	s_and_b32 s1, s1, s0
	s_wait_alu 0xfffe
	s_and_saveexec_b32 s0, s1
	s_cbranch_execz .LBB1202_170
; %bb.169:
	v_lshlrev_b64_e32 v[76:77], 1, v[29:30]
	s_delay_alu instid0(VALU_DEP_1) | instskip(SKIP_1) | instid1(VALU_DEP_2)
	v_add_co_u32 v76, vcc_lo, v67, v76
	s_wait_alu 0xfffd
	v_add_co_ci_u32_e64 v77, null, v75, v77, vcc_lo
	global_store_b16 v[76:77], v12, off
.LBB1202_170:
	s_wait_alu 0xfffe
	s_or_b32 exec_lo, exec_lo, s0
	v_and_b32_e32 v30, 1, v8
	v_cmp_lt_u64_e32 vcc_lo, v[23:24], v[55:56]
	s_delay_alu instid0(VALU_DEP_2)
	v_cmp_eq_u32_e64 s0, 1, v30
	s_or_b32 s1, s23, vcc_lo
	s_wait_alu 0xfffe
	s_and_b32 s1, s1, s0
	s_wait_alu 0xfffe
	s_and_saveexec_b32 s0, s1
	s_cbranch_execz .LBB1202_172
; %bb.171:
	v_lshlrev_b64_e32 v[76:77], 1, v[23:24]
	s_delay_alu instid0(VALU_DEP_1) | instskip(SKIP_1) | instid1(VALU_DEP_2)
	v_add_co_u32 v76, vcc_lo, v67, v76
	s_wait_alu 0xfffd
	v_add_co_ci_u32_e64 v77, null, v75, v77, vcc_lo
	global_store_d16_hi_b16 v[76:77], v12, off
.LBB1202_172:
	s_wait_alu 0xfffe
	s_or_b32 exec_lo, exec_lo, s0
	v_and_b32_e32 v24, 1, v1
	v_cmp_lt_u64_e32 vcc_lo, v[27:28], v[55:56]
	s_delay_alu instid0(VALU_DEP_2)
	v_cmp_eq_u32_e64 s0, 1, v24
	s_or_b32 s1, s23, vcc_lo
	s_wait_alu 0xfffe
	s_and_b32 s1, s1, s0
	s_wait_alu 0xfffe
	s_and_saveexec_b32 s0, s1
	s_cbranch_execz .LBB1202_174
; %bb.173:
	v_lshlrev_b64_e32 v[76:77], 1, v[27:28]
	s_delay_alu instid0(VALU_DEP_1) | instskip(SKIP_1) | instid1(VALU_DEP_2)
	v_add_co_u32 v76, vcc_lo, v67, v76
	s_wait_alu 0xfffd
	v_add_co_ci_u32_e64 v77, null, v75, v77, vcc_lo
	global_store_b16 v[76:77], v9, off
.LBB1202_174:
	s_wait_alu 0xfffe
	s_or_b32 exec_lo, exec_lo, s0
	v_and_b32_e32 v24, 1, v62
	v_cmp_lt_u64_e32 vcc_lo, v[25:26], v[55:56]
	s_delay_alu instid0(VALU_DEP_2)
	v_cmp_eq_u32_e64 s0, 1, v24
	s_or_b32 s1, s23, vcc_lo
	s_wait_alu 0xfffe
	s_and_b32 s1, s1, s0
	s_wait_alu 0xfffe
	s_and_saveexec_b32 s0, s1
	s_cbranch_execz .LBB1202_176
; %bb.175:
	v_lshlrev_b64_e32 v[76:77], 1, v[25:26]
	s_delay_alu instid0(VALU_DEP_1) | instskip(SKIP_1) | instid1(VALU_DEP_2)
	v_add_co_u32 v76, vcc_lo, v67, v76
	s_wait_alu 0xfffd
	v_add_co_ci_u32_e64 v77, null, v75, v77, vcc_lo
	global_store_b16 v[76:77], v57, off
.LBB1202_176:
	s_wait_alu 0xfffe
	s_or_b32 exec_lo, exec_lo, s0
	v_and_b32_e32 v24, 1, v59
	v_cmp_lt_u64_e32 vcc_lo, v[21:22], v[55:56]
	s_delay_alu instid0(VALU_DEP_2)
	v_cmp_eq_u32_e64 s0, 1, v24
	s_or_b32 s1, s23, vcc_lo
	s_wait_alu 0xfffe
	s_and_b32 s1, s1, s0
	s_wait_alu 0xfffe
	s_and_saveexec_b32 s0, s1
	s_cbranch_execz .LBB1202_178
; %bb.177:
	v_lshlrev_b64_e32 v[76:77], 1, v[21:22]
	s_delay_alu instid0(VALU_DEP_1) | instskip(SKIP_1) | instid1(VALU_DEP_2)
	v_add_co_u32 v76, vcc_lo, v67, v76
	s_wait_alu 0xfffd
	v_add_co_ci_u32_e64 v77, null, v75, v77, vcc_lo
	global_store_d16_hi_b16 v[76:77], v57, off
.LBB1202_178:
	s_wait_alu 0xfffe
	s_or_b32 exec_lo, exec_lo, s0
	v_cmp_lt_u64_e32 vcc_lo, v[19:20], v[55:56]
	s_or_b32 s0, s23, vcc_lo
	s_wait_alu 0xfffe
	s_and_b32 s1, s0, s26
	s_wait_alu 0xfffe
	s_and_saveexec_b32 s0, s1
	s_cbranch_execz .LBB1202_180
; %bb.179:
	v_lshlrev_b64_e32 v[54:55], 1, v[19:20]
	s_delay_alu instid0(VALU_DEP_1) | instskip(SKIP_1) | instid1(VALU_DEP_2)
	v_add_co_u32 v54, vcc_lo, v67, v54
	s_wait_alu 0xfffd
	v_add_co_ci_u32_e64 v55, null, v75, v55, vcc_lo
	global_store_b16 v[54:55], v10, off
.LBB1202_180:
	s_wait_alu 0xfffe
	s_or_b32 exec_lo, exec_lo, s0
	s_branch .LBB1202_142
.LBB1202_181:
	s_mov_b32 s0, exec_lo
	v_cmpx_eq_u32_e32 1, v68
; %bb.182:
	v_sub_nc_u32_e32 v20, v43, v4
	s_delay_alu instid0(VALU_DEP_1)
	v_lshlrev_b32_e32 v20, 1, v20
	ds_store_b16 v20, v58
; %bb.183:
	s_wait_alu 0xfffe
	s_or_b32 exec_lo, exec_lo, s0
	v_and_b32_e32 v20, 1, v74
	s_mov_b32 s0, exec_lo
	s_delay_alu instid0(VALU_DEP_1)
	v_cmpx_eq_u32_e32 1, v20
; %bb.184:
	v_sub_nc_u32_e32 v20, v53, v4
	s_delay_alu instid0(VALU_DEP_1)
	v_lshlrev_b32_e32 v20, 1, v20
	ds_store_b16_d16_hi v20, v58
; %bb.185:
	s_wait_alu 0xfffe
	s_or_b32 exec_lo, exec_lo, s0
	v_and_b32_e32 v20, 1, v73
	s_mov_b32 s0, exec_lo
	s_delay_alu instid0(VALU_DEP_1)
	v_cmpx_eq_u32_e32 1, v20
; %bb.186:
	v_sub_nc_u32_e32 v20, v51, v4
	s_delay_alu instid0(VALU_DEP_1)
	v_lshlrev_b32_e32 v20, 1, v20
	ds_store_b16 v20, v15
; %bb.187:
	s_wait_alu 0xfffe
	s_or_b32 exec_lo, exec_lo, s0
	v_and_b32_e32 v20, 1, v66
	s_mov_b32 s0, exec_lo
	s_delay_alu instid0(VALU_DEP_1)
	v_cmpx_eq_u32_e32 1, v20
; %bb.188:
	v_sub_nc_u32_e32 v20, v49, v4
	s_delay_alu instid0(VALU_DEP_1)
	v_lshlrev_b32_e32 v20, 1, v20
	ds_store_b16_d16_hi v20, v15
; %bb.189:
	s_wait_alu 0xfffe
	s_or_b32 exec_lo, exec_lo, s0
	v_and_b32_e32 v15, 1, v63
	s_mov_b32 s0, exec_lo
	s_delay_alu instid0(VALU_DEP_1)
	v_cmpx_eq_u32_e32 1, v15
; %bb.190:
	v_sub_nc_u32_e32 v15, v47, v4
	s_delay_alu instid0(VALU_DEP_1)
	v_lshlrev_b32_e32 v15, 1, v15
	ds_store_b16 v15, v16
; %bb.191:
	s_wait_alu 0xfffe
	s_or_b32 exec_lo, exec_lo, s0
	v_and_b32_e32 v15, 1, v72
	s_mov_b32 s0, exec_lo
	s_delay_alu instid0(VALU_DEP_1)
	v_cmpx_eq_u32_e32 1, v15
; %bb.192:
	v_sub_nc_u32_e32 v15, v45, v4
	s_delay_alu instid0(VALU_DEP_1)
	v_lshlrev_b32_e32 v15, 1, v15
	ds_store_b16_d16_hi v15, v16
; %bb.193:
	s_wait_alu 0xfffe
	s_or_b32 exec_lo, exec_lo, s0
	v_and_b32_e32 v15, 1, v71
	s_mov_b32 s0, exec_lo
	s_delay_alu instid0(VALU_DEP_1)
	v_cmpx_eq_u32_e32 1, v15
; %bb.194:
	v_sub_nc_u32_e32 v15, v41, v4
	s_delay_alu instid0(VALU_DEP_1)
	v_lshlrev_b32_e32 v15, 1, v15
	ds_store_b16 v15, v13
; %bb.195:
	s_wait_alu 0xfffe
	s_or_b32 exec_lo, exec_lo, s0
	v_and_b32_e32 v15, 1, v65
	s_mov_b32 s0, exec_lo
	s_delay_alu instid0(VALU_DEP_1)
	v_cmpx_eq_u32_e32 1, v15
; %bb.196:
	v_sub_nc_u32_e32 v15, v39, v4
	s_delay_alu instid0(VALU_DEP_1)
	v_lshlrev_b32_e32 v15, 1, v15
	ds_store_b16_d16_hi v15, v13
; %bb.197:
	s_wait_alu 0xfffe
	s_or_b32 exec_lo, exec_lo, s0
	v_and_b32_e32 v13, 1, v61
	s_mov_b32 s0, exec_lo
	s_delay_alu instid0(VALU_DEP_1)
	v_cmpx_eq_u32_e32 1, v13
; %bb.198:
	v_sub_nc_u32_e32 v13, v37, v4
	s_delay_alu instid0(VALU_DEP_1)
	v_lshlrev_b32_e32 v13, 1, v13
	ds_store_b16 v13, v14
; %bb.199:
	s_wait_alu 0xfffe
	s_or_b32 exec_lo, exec_lo, s0
	v_and_b32_e32 v13, 1, v70
	s_mov_b32 s0, exec_lo
	s_delay_alu instid0(VALU_DEP_1)
	v_cmpx_eq_u32_e32 1, v13
; %bb.200:
	v_sub_nc_u32_e32 v13, v35, v4
	s_delay_alu instid0(VALU_DEP_1)
	v_lshlrev_b32_e32 v13, 1, v13
	ds_store_b16_d16_hi v13, v14
; %bb.201:
	s_wait_alu 0xfffe
	s_or_b32 exec_lo, exec_lo, s0
	v_and_b32_e32 v13, 1, v69
	s_mov_b32 s0, exec_lo
	s_delay_alu instid0(VALU_DEP_1)
	v_cmpx_eq_u32_e32 1, v13
; %bb.202:
	v_sub_nc_u32_e32 v13, v33, v4
	s_delay_alu instid0(VALU_DEP_1)
	v_lshlrev_b32_e32 v13, 1, v13
	ds_store_b16 v13, v11
; %bb.203:
	s_wait_alu 0xfffe
	s_or_b32 exec_lo, exec_lo, s0
	v_and_b32_e32 v13, 1, v64
	s_mov_b32 s0, exec_lo
	s_delay_alu instid0(VALU_DEP_1)
	v_cmpx_eq_u32_e32 1, v13
; %bb.204:
	v_sub_nc_u32_e32 v13, v31, v4
	s_delay_alu instid0(VALU_DEP_1)
	v_lshlrev_b32_e32 v13, 1, v13
	ds_store_b16_d16_hi v13, v11
; %bb.205:
	s_wait_alu 0xfffe
	s_or_b32 exec_lo, exec_lo, s0
	v_and_b32_e32 v11, 1, v60
	s_mov_b32 s0, exec_lo
	s_delay_alu instid0(VALU_DEP_1)
	v_cmpx_eq_u32_e32 1, v11
; %bb.206:
	v_sub_nc_u32_e32 v11, v29, v4
	s_delay_alu instid0(VALU_DEP_1)
	v_lshlrev_b32_e32 v11, 1, v11
	ds_store_b16 v11, v12
; %bb.207:
	s_wait_alu 0xfffe
	s_or_b32 exec_lo, exec_lo, s0
	v_and_b32_e32 v8, 1, v8
	s_mov_b32 s0, exec_lo
	s_delay_alu instid0(VALU_DEP_1)
	v_cmpx_eq_u32_e32 1, v8
; %bb.208:
	v_sub_nc_u32_e32 v8, v23, v4
	s_delay_alu instid0(VALU_DEP_1)
	v_lshlrev_b32_e32 v8, 1, v8
	ds_store_b16_d16_hi v8, v12
; %bb.209:
	s_wait_alu 0xfffe
	s_or_b32 exec_lo, exec_lo, s0
	v_and_b32_e32 v1, 1, v1
	s_mov_b32 s0, exec_lo
	s_delay_alu instid0(VALU_DEP_1)
	v_cmpx_eq_u32_e32 1, v1
; %bb.210:
	v_sub_nc_u32_e32 v1, v27, v4
	s_delay_alu instid0(VALU_DEP_1)
	v_lshlrev_b32_e32 v1, 1, v1
	ds_store_b16 v1, v9
; %bb.211:
	s_wait_alu 0xfffe
	s_or_b32 exec_lo, exec_lo, s0
	v_and_b32_e32 v1, 1, v62
	s_mov_b32 s0, exec_lo
	s_delay_alu instid0(VALU_DEP_1)
	v_cmpx_eq_u32_e32 1, v1
; %bb.212:
	v_sub_nc_u32_e32 v1, v25, v4
	s_delay_alu instid0(VALU_DEP_1)
	v_lshlrev_b32_e32 v1, 1, v1
	ds_store_b16 v1, v57
; %bb.213:
	s_wait_alu 0xfffe
	s_or_b32 exec_lo, exec_lo, s0
	v_and_b32_e32 v1, 1, v59
	s_mov_b32 s0, exec_lo
	s_delay_alu instid0(VALU_DEP_1)
	v_cmpx_eq_u32_e32 1, v1
; %bb.214:
	v_sub_nc_u32_e32 v1, v21, v4
	s_delay_alu instid0(VALU_DEP_1)
	v_lshlrev_b32_e32 v1, 1, v1
	ds_store_b16_d16_hi v1, v57
; %bb.215:
	s_wait_alu 0xfffe
	s_or_b32 exec_lo, exec_lo, s0
	s_and_saveexec_b32 s0, s26
; %bb.216:
	v_sub_nc_u32_e32 v1, v19, v4
	s_delay_alu instid0(VALU_DEP_1)
	v_lshlrev_b32_e32 v1, 1, v1
	ds_store_b16 v1, v10
; %bb.217:
	s_wait_alu 0xfffe
	s_or_b32 exec_lo, exec_lo, s0
	v_lshlrev_b64_e32 v[8:9], 1, v[4:5]
	v_mov_b32_e32 v1, 0
	s_mov_b32 s1, 0
	s_wait_storecnt 0x0
	s_wait_loadcnt_dscnt 0x0
	s_barrier_signal -1
	s_barrier_wait -1
	v_add_co_u32 v10, vcc_lo, s18, v8
	s_wait_alu 0xfffd
	v_add_co_ci_u32_e64 v11, null, s19, v9, vcc_lo
	v_dual_mov_b32 v9, v1 :: v_dual_mov_b32 v8, v0
	s_delay_alu instid0(VALU_DEP_3) | instskip(SKIP_1) | instid1(VALU_DEP_3)
	v_add_co_u32 v6, vcc_lo, v10, v6
	s_wait_alu 0xfffd
	v_add_co_ci_u32_e64 v7, null, v11, v7, vcc_lo
	v_add_nc_u32_e32 v0, 0x180, v0
	global_inv scope:SCOPE_SE
.LBB1202_218:                           ; =>This Inner Loop Header: Depth=1
	v_lshlrev_b32_e32 v10, 1, v8
	v_cmp_le_u64_e32 vcc_lo, v[2:3], v[0:1]
	ds_load_u16 v12, v10
	v_lshlrev_b64_e32 v[10:11], 1, v[8:9]
	v_dual_mov_b32 v9, v1 :: v_dual_mov_b32 v8, v0
	v_add_nc_u32_e32 v0, 0x180, v0
	s_wait_alu 0xfffe
	s_or_b32 s1, vcc_lo, s1
	s_delay_alu instid0(VALU_DEP_3)
	v_add_co_u32 v10, s0, v6, v10
	s_wait_alu 0xf1ff
	v_add_co_ci_u32_e64 v11, null, v7, v11, s0
	s_wait_dscnt 0x0
	global_store_b16 v[10:11], v12, off
	s_wait_alu 0xfffe
	s_and_not1_b32 exec_lo, exec_lo, s1
	s_cbranch_execnz .LBB1202_218
; %bb.219:
	s_or_b32 exec_lo, exec_lo, s1
	s_and_b32 s0, s2, s22
	s_wait_alu 0xfffe
	s_and_saveexec_b32 s1, s0
	s_cbranch_execz .LBB1202_143
.LBB1202_220:
	v_add_co_u32 v0, vcc_lo, v4, v2
	s_wait_alu 0xfffd
	v_add_co_ci_u32_e64 v1, null, v5, v3, vcc_lo
	v_mov_b32_e32 v2, 0
	s_delay_alu instid0(VALU_DEP_3) | instskip(SKIP_1) | instid1(VALU_DEP_3)
	v_add_co_u32 v0, vcc_lo, v0, v17
	s_wait_alu 0xfffd
	v_add_co_ci_u32_e64 v1, null, v1, v18, vcc_lo
	global_store_b64 v2, v[0:1], s[20:21]
	s_endpgm
	.section	.rodata,"a",@progbits
	.p2align	6, 0x0
	.amdhsa_kernel _ZN7rocprim17ROCPRIM_400000_NS6detail17trampoline_kernelINS0_14default_configENS1_25partition_config_selectorILNS1_17partition_subalgoE6EtNS0_10empty_typeEbEEZZNS1_14partition_implILS5_6ELb0ES3_mN6thrust23THRUST_200600_302600_NS6detail15normal_iteratorINSA_10device_ptrItEEEEPS6_SG_NS0_5tupleIJSF_S6_EEENSH_IJSG_SG_EEES6_PlJNSB_9not_fun_tI7is_trueItEEEEEE10hipError_tPvRmT3_T4_T5_T6_T7_T9_mT8_P12ihipStream_tbDpT10_ENKUlT_T0_E_clISt17integral_constantIbLb0EES17_IbLb1EEEEDaS13_S14_EUlS13_E_NS1_11comp_targetILNS1_3genE10ELNS1_11target_archE1200ELNS1_3gpuE4ELNS1_3repE0EEENS1_30default_config_static_selectorELNS0_4arch9wavefront6targetE0EEEvT1_
		.amdhsa_group_segment_fixed_size 13840
		.amdhsa_private_segment_fixed_size 0
		.amdhsa_kernarg_size 128
		.amdhsa_user_sgpr_count 2
		.amdhsa_user_sgpr_dispatch_ptr 0
		.amdhsa_user_sgpr_queue_ptr 0
		.amdhsa_user_sgpr_kernarg_segment_ptr 1
		.amdhsa_user_sgpr_dispatch_id 0
		.amdhsa_user_sgpr_private_segment_size 0
		.amdhsa_wavefront_size32 1
		.amdhsa_uses_dynamic_stack 0
		.amdhsa_enable_private_segment 0
		.amdhsa_system_sgpr_workgroup_id_x 1
		.amdhsa_system_sgpr_workgroup_id_y 0
		.amdhsa_system_sgpr_workgroup_id_z 0
		.amdhsa_system_sgpr_workgroup_info 0
		.amdhsa_system_vgpr_workitem_id 0
		.amdhsa_next_free_vgpr 78
		.amdhsa_next_free_sgpr 29
		.amdhsa_reserve_vcc 1
		.amdhsa_float_round_mode_32 0
		.amdhsa_float_round_mode_16_64 0
		.amdhsa_float_denorm_mode_32 3
		.amdhsa_float_denorm_mode_16_64 3
		.amdhsa_fp16_overflow 0
		.amdhsa_workgroup_processor_mode 1
		.amdhsa_memory_ordered 1
		.amdhsa_forward_progress 1
		.amdhsa_inst_pref_size 93
		.amdhsa_round_robin_scheduling 0
		.amdhsa_exception_fp_ieee_invalid_op 0
		.amdhsa_exception_fp_denorm_src 0
		.amdhsa_exception_fp_ieee_div_zero 0
		.amdhsa_exception_fp_ieee_overflow 0
		.amdhsa_exception_fp_ieee_underflow 0
		.amdhsa_exception_fp_ieee_inexact 0
		.amdhsa_exception_int_div_zero 0
	.end_amdhsa_kernel
	.section	.text._ZN7rocprim17ROCPRIM_400000_NS6detail17trampoline_kernelINS0_14default_configENS1_25partition_config_selectorILNS1_17partition_subalgoE6EtNS0_10empty_typeEbEEZZNS1_14partition_implILS5_6ELb0ES3_mN6thrust23THRUST_200600_302600_NS6detail15normal_iteratorINSA_10device_ptrItEEEEPS6_SG_NS0_5tupleIJSF_S6_EEENSH_IJSG_SG_EEES6_PlJNSB_9not_fun_tI7is_trueItEEEEEE10hipError_tPvRmT3_T4_T5_T6_T7_T9_mT8_P12ihipStream_tbDpT10_ENKUlT_T0_E_clISt17integral_constantIbLb0EES17_IbLb1EEEEDaS13_S14_EUlS13_E_NS1_11comp_targetILNS1_3genE10ELNS1_11target_archE1200ELNS1_3gpuE4ELNS1_3repE0EEENS1_30default_config_static_selectorELNS0_4arch9wavefront6targetE0EEEvT1_,"axG",@progbits,_ZN7rocprim17ROCPRIM_400000_NS6detail17trampoline_kernelINS0_14default_configENS1_25partition_config_selectorILNS1_17partition_subalgoE6EtNS0_10empty_typeEbEEZZNS1_14partition_implILS5_6ELb0ES3_mN6thrust23THRUST_200600_302600_NS6detail15normal_iteratorINSA_10device_ptrItEEEEPS6_SG_NS0_5tupleIJSF_S6_EEENSH_IJSG_SG_EEES6_PlJNSB_9not_fun_tI7is_trueItEEEEEE10hipError_tPvRmT3_T4_T5_T6_T7_T9_mT8_P12ihipStream_tbDpT10_ENKUlT_T0_E_clISt17integral_constantIbLb0EES17_IbLb1EEEEDaS13_S14_EUlS13_E_NS1_11comp_targetILNS1_3genE10ELNS1_11target_archE1200ELNS1_3gpuE4ELNS1_3repE0EEENS1_30default_config_static_selectorELNS0_4arch9wavefront6targetE0EEEvT1_,comdat
.Lfunc_end1202:
	.size	_ZN7rocprim17ROCPRIM_400000_NS6detail17trampoline_kernelINS0_14default_configENS1_25partition_config_selectorILNS1_17partition_subalgoE6EtNS0_10empty_typeEbEEZZNS1_14partition_implILS5_6ELb0ES3_mN6thrust23THRUST_200600_302600_NS6detail15normal_iteratorINSA_10device_ptrItEEEEPS6_SG_NS0_5tupleIJSF_S6_EEENSH_IJSG_SG_EEES6_PlJNSB_9not_fun_tI7is_trueItEEEEEE10hipError_tPvRmT3_T4_T5_T6_T7_T9_mT8_P12ihipStream_tbDpT10_ENKUlT_T0_E_clISt17integral_constantIbLb0EES17_IbLb1EEEEDaS13_S14_EUlS13_E_NS1_11comp_targetILNS1_3genE10ELNS1_11target_archE1200ELNS1_3gpuE4ELNS1_3repE0EEENS1_30default_config_static_selectorELNS0_4arch9wavefront6targetE0EEEvT1_, .Lfunc_end1202-_ZN7rocprim17ROCPRIM_400000_NS6detail17trampoline_kernelINS0_14default_configENS1_25partition_config_selectorILNS1_17partition_subalgoE6EtNS0_10empty_typeEbEEZZNS1_14partition_implILS5_6ELb0ES3_mN6thrust23THRUST_200600_302600_NS6detail15normal_iteratorINSA_10device_ptrItEEEEPS6_SG_NS0_5tupleIJSF_S6_EEENSH_IJSG_SG_EEES6_PlJNSB_9not_fun_tI7is_trueItEEEEEE10hipError_tPvRmT3_T4_T5_T6_T7_T9_mT8_P12ihipStream_tbDpT10_ENKUlT_T0_E_clISt17integral_constantIbLb0EES17_IbLb1EEEEDaS13_S14_EUlS13_E_NS1_11comp_targetILNS1_3genE10ELNS1_11target_archE1200ELNS1_3gpuE4ELNS1_3repE0EEENS1_30default_config_static_selectorELNS0_4arch9wavefront6targetE0EEEvT1_
                                        ; -- End function
	.set _ZN7rocprim17ROCPRIM_400000_NS6detail17trampoline_kernelINS0_14default_configENS1_25partition_config_selectorILNS1_17partition_subalgoE6EtNS0_10empty_typeEbEEZZNS1_14partition_implILS5_6ELb0ES3_mN6thrust23THRUST_200600_302600_NS6detail15normal_iteratorINSA_10device_ptrItEEEEPS6_SG_NS0_5tupleIJSF_S6_EEENSH_IJSG_SG_EEES6_PlJNSB_9not_fun_tI7is_trueItEEEEEE10hipError_tPvRmT3_T4_T5_T6_T7_T9_mT8_P12ihipStream_tbDpT10_ENKUlT_T0_E_clISt17integral_constantIbLb0EES17_IbLb1EEEEDaS13_S14_EUlS13_E_NS1_11comp_targetILNS1_3genE10ELNS1_11target_archE1200ELNS1_3gpuE4ELNS1_3repE0EEENS1_30default_config_static_selectorELNS0_4arch9wavefront6targetE0EEEvT1_.num_vgpr, 78
	.set _ZN7rocprim17ROCPRIM_400000_NS6detail17trampoline_kernelINS0_14default_configENS1_25partition_config_selectorILNS1_17partition_subalgoE6EtNS0_10empty_typeEbEEZZNS1_14partition_implILS5_6ELb0ES3_mN6thrust23THRUST_200600_302600_NS6detail15normal_iteratorINSA_10device_ptrItEEEEPS6_SG_NS0_5tupleIJSF_S6_EEENSH_IJSG_SG_EEES6_PlJNSB_9not_fun_tI7is_trueItEEEEEE10hipError_tPvRmT3_T4_T5_T6_T7_T9_mT8_P12ihipStream_tbDpT10_ENKUlT_T0_E_clISt17integral_constantIbLb0EES17_IbLb1EEEEDaS13_S14_EUlS13_E_NS1_11comp_targetILNS1_3genE10ELNS1_11target_archE1200ELNS1_3gpuE4ELNS1_3repE0EEENS1_30default_config_static_selectorELNS0_4arch9wavefront6targetE0EEEvT1_.num_agpr, 0
	.set _ZN7rocprim17ROCPRIM_400000_NS6detail17trampoline_kernelINS0_14default_configENS1_25partition_config_selectorILNS1_17partition_subalgoE6EtNS0_10empty_typeEbEEZZNS1_14partition_implILS5_6ELb0ES3_mN6thrust23THRUST_200600_302600_NS6detail15normal_iteratorINSA_10device_ptrItEEEEPS6_SG_NS0_5tupleIJSF_S6_EEENSH_IJSG_SG_EEES6_PlJNSB_9not_fun_tI7is_trueItEEEEEE10hipError_tPvRmT3_T4_T5_T6_T7_T9_mT8_P12ihipStream_tbDpT10_ENKUlT_T0_E_clISt17integral_constantIbLb0EES17_IbLb1EEEEDaS13_S14_EUlS13_E_NS1_11comp_targetILNS1_3genE10ELNS1_11target_archE1200ELNS1_3gpuE4ELNS1_3repE0EEENS1_30default_config_static_selectorELNS0_4arch9wavefront6targetE0EEEvT1_.numbered_sgpr, 29
	.set _ZN7rocprim17ROCPRIM_400000_NS6detail17trampoline_kernelINS0_14default_configENS1_25partition_config_selectorILNS1_17partition_subalgoE6EtNS0_10empty_typeEbEEZZNS1_14partition_implILS5_6ELb0ES3_mN6thrust23THRUST_200600_302600_NS6detail15normal_iteratorINSA_10device_ptrItEEEEPS6_SG_NS0_5tupleIJSF_S6_EEENSH_IJSG_SG_EEES6_PlJNSB_9not_fun_tI7is_trueItEEEEEE10hipError_tPvRmT3_T4_T5_T6_T7_T9_mT8_P12ihipStream_tbDpT10_ENKUlT_T0_E_clISt17integral_constantIbLb0EES17_IbLb1EEEEDaS13_S14_EUlS13_E_NS1_11comp_targetILNS1_3genE10ELNS1_11target_archE1200ELNS1_3gpuE4ELNS1_3repE0EEENS1_30default_config_static_selectorELNS0_4arch9wavefront6targetE0EEEvT1_.num_named_barrier, 0
	.set _ZN7rocprim17ROCPRIM_400000_NS6detail17trampoline_kernelINS0_14default_configENS1_25partition_config_selectorILNS1_17partition_subalgoE6EtNS0_10empty_typeEbEEZZNS1_14partition_implILS5_6ELb0ES3_mN6thrust23THRUST_200600_302600_NS6detail15normal_iteratorINSA_10device_ptrItEEEEPS6_SG_NS0_5tupleIJSF_S6_EEENSH_IJSG_SG_EEES6_PlJNSB_9not_fun_tI7is_trueItEEEEEE10hipError_tPvRmT3_T4_T5_T6_T7_T9_mT8_P12ihipStream_tbDpT10_ENKUlT_T0_E_clISt17integral_constantIbLb0EES17_IbLb1EEEEDaS13_S14_EUlS13_E_NS1_11comp_targetILNS1_3genE10ELNS1_11target_archE1200ELNS1_3gpuE4ELNS1_3repE0EEENS1_30default_config_static_selectorELNS0_4arch9wavefront6targetE0EEEvT1_.private_seg_size, 0
	.set _ZN7rocprim17ROCPRIM_400000_NS6detail17trampoline_kernelINS0_14default_configENS1_25partition_config_selectorILNS1_17partition_subalgoE6EtNS0_10empty_typeEbEEZZNS1_14partition_implILS5_6ELb0ES3_mN6thrust23THRUST_200600_302600_NS6detail15normal_iteratorINSA_10device_ptrItEEEEPS6_SG_NS0_5tupleIJSF_S6_EEENSH_IJSG_SG_EEES6_PlJNSB_9not_fun_tI7is_trueItEEEEEE10hipError_tPvRmT3_T4_T5_T6_T7_T9_mT8_P12ihipStream_tbDpT10_ENKUlT_T0_E_clISt17integral_constantIbLb0EES17_IbLb1EEEEDaS13_S14_EUlS13_E_NS1_11comp_targetILNS1_3genE10ELNS1_11target_archE1200ELNS1_3gpuE4ELNS1_3repE0EEENS1_30default_config_static_selectorELNS0_4arch9wavefront6targetE0EEEvT1_.uses_vcc, 1
	.set _ZN7rocprim17ROCPRIM_400000_NS6detail17trampoline_kernelINS0_14default_configENS1_25partition_config_selectorILNS1_17partition_subalgoE6EtNS0_10empty_typeEbEEZZNS1_14partition_implILS5_6ELb0ES3_mN6thrust23THRUST_200600_302600_NS6detail15normal_iteratorINSA_10device_ptrItEEEEPS6_SG_NS0_5tupleIJSF_S6_EEENSH_IJSG_SG_EEES6_PlJNSB_9not_fun_tI7is_trueItEEEEEE10hipError_tPvRmT3_T4_T5_T6_T7_T9_mT8_P12ihipStream_tbDpT10_ENKUlT_T0_E_clISt17integral_constantIbLb0EES17_IbLb1EEEEDaS13_S14_EUlS13_E_NS1_11comp_targetILNS1_3genE10ELNS1_11target_archE1200ELNS1_3gpuE4ELNS1_3repE0EEENS1_30default_config_static_selectorELNS0_4arch9wavefront6targetE0EEEvT1_.uses_flat_scratch, 1
	.set _ZN7rocprim17ROCPRIM_400000_NS6detail17trampoline_kernelINS0_14default_configENS1_25partition_config_selectorILNS1_17partition_subalgoE6EtNS0_10empty_typeEbEEZZNS1_14partition_implILS5_6ELb0ES3_mN6thrust23THRUST_200600_302600_NS6detail15normal_iteratorINSA_10device_ptrItEEEEPS6_SG_NS0_5tupleIJSF_S6_EEENSH_IJSG_SG_EEES6_PlJNSB_9not_fun_tI7is_trueItEEEEEE10hipError_tPvRmT3_T4_T5_T6_T7_T9_mT8_P12ihipStream_tbDpT10_ENKUlT_T0_E_clISt17integral_constantIbLb0EES17_IbLb1EEEEDaS13_S14_EUlS13_E_NS1_11comp_targetILNS1_3genE10ELNS1_11target_archE1200ELNS1_3gpuE4ELNS1_3repE0EEENS1_30default_config_static_selectorELNS0_4arch9wavefront6targetE0EEEvT1_.has_dyn_sized_stack, 0
	.set _ZN7rocprim17ROCPRIM_400000_NS6detail17trampoline_kernelINS0_14default_configENS1_25partition_config_selectorILNS1_17partition_subalgoE6EtNS0_10empty_typeEbEEZZNS1_14partition_implILS5_6ELb0ES3_mN6thrust23THRUST_200600_302600_NS6detail15normal_iteratorINSA_10device_ptrItEEEEPS6_SG_NS0_5tupleIJSF_S6_EEENSH_IJSG_SG_EEES6_PlJNSB_9not_fun_tI7is_trueItEEEEEE10hipError_tPvRmT3_T4_T5_T6_T7_T9_mT8_P12ihipStream_tbDpT10_ENKUlT_T0_E_clISt17integral_constantIbLb0EES17_IbLb1EEEEDaS13_S14_EUlS13_E_NS1_11comp_targetILNS1_3genE10ELNS1_11target_archE1200ELNS1_3gpuE4ELNS1_3repE0EEENS1_30default_config_static_selectorELNS0_4arch9wavefront6targetE0EEEvT1_.has_recursion, 0
	.set _ZN7rocprim17ROCPRIM_400000_NS6detail17trampoline_kernelINS0_14default_configENS1_25partition_config_selectorILNS1_17partition_subalgoE6EtNS0_10empty_typeEbEEZZNS1_14partition_implILS5_6ELb0ES3_mN6thrust23THRUST_200600_302600_NS6detail15normal_iteratorINSA_10device_ptrItEEEEPS6_SG_NS0_5tupleIJSF_S6_EEENSH_IJSG_SG_EEES6_PlJNSB_9not_fun_tI7is_trueItEEEEEE10hipError_tPvRmT3_T4_T5_T6_T7_T9_mT8_P12ihipStream_tbDpT10_ENKUlT_T0_E_clISt17integral_constantIbLb0EES17_IbLb1EEEEDaS13_S14_EUlS13_E_NS1_11comp_targetILNS1_3genE10ELNS1_11target_archE1200ELNS1_3gpuE4ELNS1_3repE0EEENS1_30default_config_static_selectorELNS0_4arch9wavefront6targetE0EEEvT1_.has_indirect_call, 0
	.section	.AMDGPU.csdata,"",@progbits
; Kernel info:
; codeLenInByte = 11856
; TotalNumSgprs: 31
; NumVgprs: 78
; ScratchSize: 0
; MemoryBound: 0
; FloatMode: 240
; IeeeMode: 1
; LDSByteSize: 13840 bytes/workgroup (compile time only)
; SGPRBlocks: 0
; VGPRBlocks: 9
; NumSGPRsForWavesPerEU: 31
; NumVGPRsForWavesPerEU: 78
; Occupancy: 15
; WaveLimiterHint : 1
; COMPUTE_PGM_RSRC2:SCRATCH_EN: 0
; COMPUTE_PGM_RSRC2:USER_SGPR: 2
; COMPUTE_PGM_RSRC2:TRAP_HANDLER: 0
; COMPUTE_PGM_RSRC2:TGID_X_EN: 1
; COMPUTE_PGM_RSRC2:TGID_Y_EN: 0
; COMPUTE_PGM_RSRC2:TGID_Z_EN: 0
; COMPUTE_PGM_RSRC2:TIDIG_COMP_CNT: 0
	.section	.text._ZN7rocprim17ROCPRIM_400000_NS6detail17trampoline_kernelINS0_14default_configENS1_25partition_config_selectorILNS1_17partition_subalgoE6EtNS0_10empty_typeEbEEZZNS1_14partition_implILS5_6ELb0ES3_mN6thrust23THRUST_200600_302600_NS6detail15normal_iteratorINSA_10device_ptrItEEEEPS6_SG_NS0_5tupleIJSF_S6_EEENSH_IJSG_SG_EEES6_PlJNSB_9not_fun_tI7is_trueItEEEEEE10hipError_tPvRmT3_T4_T5_T6_T7_T9_mT8_P12ihipStream_tbDpT10_ENKUlT_T0_E_clISt17integral_constantIbLb0EES17_IbLb1EEEEDaS13_S14_EUlS13_E_NS1_11comp_targetILNS1_3genE9ELNS1_11target_archE1100ELNS1_3gpuE3ELNS1_3repE0EEENS1_30default_config_static_selectorELNS0_4arch9wavefront6targetE0EEEvT1_,"axG",@progbits,_ZN7rocprim17ROCPRIM_400000_NS6detail17trampoline_kernelINS0_14default_configENS1_25partition_config_selectorILNS1_17partition_subalgoE6EtNS0_10empty_typeEbEEZZNS1_14partition_implILS5_6ELb0ES3_mN6thrust23THRUST_200600_302600_NS6detail15normal_iteratorINSA_10device_ptrItEEEEPS6_SG_NS0_5tupleIJSF_S6_EEENSH_IJSG_SG_EEES6_PlJNSB_9not_fun_tI7is_trueItEEEEEE10hipError_tPvRmT3_T4_T5_T6_T7_T9_mT8_P12ihipStream_tbDpT10_ENKUlT_T0_E_clISt17integral_constantIbLb0EES17_IbLb1EEEEDaS13_S14_EUlS13_E_NS1_11comp_targetILNS1_3genE9ELNS1_11target_archE1100ELNS1_3gpuE3ELNS1_3repE0EEENS1_30default_config_static_selectorELNS0_4arch9wavefront6targetE0EEEvT1_,comdat
	.protected	_ZN7rocprim17ROCPRIM_400000_NS6detail17trampoline_kernelINS0_14default_configENS1_25partition_config_selectorILNS1_17partition_subalgoE6EtNS0_10empty_typeEbEEZZNS1_14partition_implILS5_6ELb0ES3_mN6thrust23THRUST_200600_302600_NS6detail15normal_iteratorINSA_10device_ptrItEEEEPS6_SG_NS0_5tupleIJSF_S6_EEENSH_IJSG_SG_EEES6_PlJNSB_9not_fun_tI7is_trueItEEEEEE10hipError_tPvRmT3_T4_T5_T6_T7_T9_mT8_P12ihipStream_tbDpT10_ENKUlT_T0_E_clISt17integral_constantIbLb0EES17_IbLb1EEEEDaS13_S14_EUlS13_E_NS1_11comp_targetILNS1_3genE9ELNS1_11target_archE1100ELNS1_3gpuE3ELNS1_3repE0EEENS1_30default_config_static_selectorELNS0_4arch9wavefront6targetE0EEEvT1_ ; -- Begin function _ZN7rocprim17ROCPRIM_400000_NS6detail17trampoline_kernelINS0_14default_configENS1_25partition_config_selectorILNS1_17partition_subalgoE6EtNS0_10empty_typeEbEEZZNS1_14partition_implILS5_6ELb0ES3_mN6thrust23THRUST_200600_302600_NS6detail15normal_iteratorINSA_10device_ptrItEEEEPS6_SG_NS0_5tupleIJSF_S6_EEENSH_IJSG_SG_EEES6_PlJNSB_9not_fun_tI7is_trueItEEEEEE10hipError_tPvRmT3_T4_T5_T6_T7_T9_mT8_P12ihipStream_tbDpT10_ENKUlT_T0_E_clISt17integral_constantIbLb0EES17_IbLb1EEEEDaS13_S14_EUlS13_E_NS1_11comp_targetILNS1_3genE9ELNS1_11target_archE1100ELNS1_3gpuE3ELNS1_3repE0EEENS1_30default_config_static_selectorELNS0_4arch9wavefront6targetE0EEEvT1_
	.globl	_ZN7rocprim17ROCPRIM_400000_NS6detail17trampoline_kernelINS0_14default_configENS1_25partition_config_selectorILNS1_17partition_subalgoE6EtNS0_10empty_typeEbEEZZNS1_14partition_implILS5_6ELb0ES3_mN6thrust23THRUST_200600_302600_NS6detail15normal_iteratorINSA_10device_ptrItEEEEPS6_SG_NS0_5tupleIJSF_S6_EEENSH_IJSG_SG_EEES6_PlJNSB_9not_fun_tI7is_trueItEEEEEE10hipError_tPvRmT3_T4_T5_T6_T7_T9_mT8_P12ihipStream_tbDpT10_ENKUlT_T0_E_clISt17integral_constantIbLb0EES17_IbLb1EEEEDaS13_S14_EUlS13_E_NS1_11comp_targetILNS1_3genE9ELNS1_11target_archE1100ELNS1_3gpuE3ELNS1_3repE0EEENS1_30default_config_static_selectorELNS0_4arch9wavefront6targetE0EEEvT1_
	.p2align	8
	.type	_ZN7rocprim17ROCPRIM_400000_NS6detail17trampoline_kernelINS0_14default_configENS1_25partition_config_selectorILNS1_17partition_subalgoE6EtNS0_10empty_typeEbEEZZNS1_14partition_implILS5_6ELb0ES3_mN6thrust23THRUST_200600_302600_NS6detail15normal_iteratorINSA_10device_ptrItEEEEPS6_SG_NS0_5tupleIJSF_S6_EEENSH_IJSG_SG_EEES6_PlJNSB_9not_fun_tI7is_trueItEEEEEE10hipError_tPvRmT3_T4_T5_T6_T7_T9_mT8_P12ihipStream_tbDpT10_ENKUlT_T0_E_clISt17integral_constantIbLb0EES17_IbLb1EEEEDaS13_S14_EUlS13_E_NS1_11comp_targetILNS1_3genE9ELNS1_11target_archE1100ELNS1_3gpuE3ELNS1_3repE0EEENS1_30default_config_static_selectorELNS0_4arch9wavefront6targetE0EEEvT1_,@function
_ZN7rocprim17ROCPRIM_400000_NS6detail17trampoline_kernelINS0_14default_configENS1_25partition_config_selectorILNS1_17partition_subalgoE6EtNS0_10empty_typeEbEEZZNS1_14partition_implILS5_6ELb0ES3_mN6thrust23THRUST_200600_302600_NS6detail15normal_iteratorINSA_10device_ptrItEEEEPS6_SG_NS0_5tupleIJSF_S6_EEENSH_IJSG_SG_EEES6_PlJNSB_9not_fun_tI7is_trueItEEEEEE10hipError_tPvRmT3_T4_T5_T6_T7_T9_mT8_P12ihipStream_tbDpT10_ENKUlT_T0_E_clISt17integral_constantIbLb0EES17_IbLb1EEEEDaS13_S14_EUlS13_E_NS1_11comp_targetILNS1_3genE9ELNS1_11target_archE1100ELNS1_3gpuE3ELNS1_3repE0EEENS1_30default_config_static_selectorELNS0_4arch9wavefront6targetE0EEEvT1_: ; @_ZN7rocprim17ROCPRIM_400000_NS6detail17trampoline_kernelINS0_14default_configENS1_25partition_config_selectorILNS1_17partition_subalgoE6EtNS0_10empty_typeEbEEZZNS1_14partition_implILS5_6ELb0ES3_mN6thrust23THRUST_200600_302600_NS6detail15normal_iteratorINSA_10device_ptrItEEEEPS6_SG_NS0_5tupleIJSF_S6_EEENSH_IJSG_SG_EEES6_PlJNSB_9not_fun_tI7is_trueItEEEEEE10hipError_tPvRmT3_T4_T5_T6_T7_T9_mT8_P12ihipStream_tbDpT10_ENKUlT_T0_E_clISt17integral_constantIbLb0EES17_IbLb1EEEEDaS13_S14_EUlS13_E_NS1_11comp_targetILNS1_3genE9ELNS1_11target_archE1100ELNS1_3gpuE3ELNS1_3repE0EEENS1_30default_config_static_selectorELNS0_4arch9wavefront6targetE0EEEvT1_
; %bb.0:
	.section	.rodata,"a",@progbits
	.p2align	6, 0x0
	.amdhsa_kernel _ZN7rocprim17ROCPRIM_400000_NS6detail17trampoline_kernelINS0_14default_configENS1_25partition_config_selectorILNS1_17partition_subalgoE6EtNS0_10empty_typeEbEEZZNS1_14partition_implILS5_6ELb0ES3_mN6thrust23THRUST_200600_302600_NS6detail15normal_iteratorINSA_10device_ptrItEEEEPS6_SG_NS0_5tupleIJSF_S6_EEENSH_IJSG_SG_EEES6_PlJNSB_9not_fun_tI7is_trueItEEEEEE10hipError_tPvRmT3_T4_T5_T6_T7_T9_mT8_P12ihipStream_tbDpT10_ENKUlT_T0_E_clISt17integral_constantIbLb0EES17_IbLb1EEEEDaS13_S14_EUlS13_E_NS1_11comp_targetILNS1_3genE9ELNS1_11target_archE1100ELNS1_3gpuE3ELNS1_3repE0EEENS1_30default_config_static_selectorELNS0_4arch9wavefront6targetE0EEEvT1_
		.amdhsa_group_segment_fixed_size 0
		.amdhsa_private_segment_fixed_size 0
		.amdhsa_kernarg_size 128
		.amdhsa_user_sgpr_count 2
		.amdhsa_user_sgpr_dispatch_ptr 0
		.amdhsa_user_sgpr_queue_ptr 0
		.amdhsa_user_sgpr_kernarg_segment_ptr 1
		.amdhsa_user_sgpr_dispatch_id 0
		.amdhsa_user_sgpr_private_segment_size 0
		.amdhsa_wavefront_size32 1
		.amdhsa_uses_dynamic_stack 0
		.amdhsa_enable_private_segment 0
		.amdhsa_system_sgpr_workgroup_id_x 1
		.amdhsa_system_sgpr_workgroup_id_y 0
		.amdhsa_system_sgpr_workgroup_id_z 0
		.amdhsa_system_sgpr_workgroup_info 0
		.amdhsa_system_vgpr_workitem_id 0
		.amdhsa_next_free_vgpr 1
		.amdhsa_next_free_sgpr 1
		.amdhsa_reserve_vcc 0
		.amdhsa_float_round_mode_32 0
		.amdhsa_float_round_mode_16_64 0
		.amdhsa_float_denorm_mode_32 3
		.amdhsa_float_denorm_mode_16_64 3
		.amdhsa_fp16_overflow 0
		.amdhsa_workgroup_processor_mode 1
		.amdhsa_memory_ordered 1
		.amdhsa_forward_progress 1
		.amdhsa_inst_pref_size 0
		.amdhsa_round_robin_scheduling 0
		.amdhsa_exception_fp_ieee_invalid_op 0
		.amdhsa_exception_fp_denorm_src 0
		.amdhsa_exception_fp_ieee_div_zero 0
		.amdhsa_exception_fp_ieee_overflow 0
		.amdhsa_exception_fp_ieee_underflow 0
		.amdhsa_exception_fp_ieee_inexact 0
		.amdhsa_exception_int_div_zero 0
	.end_amdhsa_kernel
	.section	.text._ZN7rocprim17ROCPRIM_400000_NS6detail17trampoline_kernelINS0_14default_configENS1_25partition_config_selectorILNS1_17partition_subalgoE6EtNS0_10empty_typeEbEEZZNS1_14partition_implILS5_6ELb0ES3_mN6thrust23THRUST_200600_302600_NS6detail15normal_iteratorINSA_10device_ptrItEEEEPS6_SG_NS0_5tupleIJSF_S6_EEENSH_IJSG_SG_EEES6_PlJNSB_9not_fun_tI7is_trueItEEEEEE10hipError_tPvRmT3_T4_T5_T6_T7_T9_mT8_P12ihipStream_tbDpT10_ENKUlT_T0_E_clISt17integral_constantIbLb0EES17_IbLb1EEEEDaS13_S14_EUlS13_E_NS1_11comp_targetILNS1_3genE9ELNS1_11target_archE1100ELNS1_3gpuE3ELNS1_3repE0EEENS1_30default_config_static_selectorELNS0_4arch9wavefront6targetE0EEEvT1_,"axG",@progbits,_ZN7rocprim17ROCPRIM_400000_NS6detail17trampoline_kernelINS0_14default_configENS1_25partition_config_selectorILNS1_17partition_subalgoE6EtNS0_10empty_typeEbEEZZNS1_14partition_implILS5_6ELb0ES3_mN6thrust23THRUST_200600_302600_NS6detail15normal_iteratorINSA_10device_ptrItEEEEPS6_SG_NS0_5tupleIJSF_S6_EEENSH_IJSG_SG_EEES6_PlJNSB_9not_fun_tI7is_trueItEEEEEE10hipError_tPvRmT3_T4_T5_T6_T7_T9_mT8_P12ihipStream_tbDpT10_ENKUlT_T0_E_clISt17integral_constantIbLb0EES17_IbLb1EEEEDaS13_S14_EUlS13_E_NS1_11comp_targetILNS1_3genE9ELNS1_11target_archE1100ELNS1_3gpuE3ELNS1_3repE0EEENS1_30default_config_static_selectorELNS0_4arch9wavefront6targetE0EEEvT1_,comdat
.Lfunc_end1203:
	.size	_ZN7rocprim17ROCPRIM_400000_NS6detail17trampoline_kernelINS0_14default_configENS1_25partition_config_selectorILNS1_17partition_subalgoE6EtNS0_10empty_typeEbEEZZNS1_14partition_implILS5_6ELb0ES3_mN6thrust23THRUST_200600_302600_NS6detail15normal_iteratorINSA_10device_ptrItEEEEPS6_SG_NS0_5tupleIJSF_S6_EEENSH_IJSG_SG_EEES6_PlJNSB_9not_fun_tI7is_trueItEEEEEE10hipError_tPvRmT3_T4_T5_T6_T7_T9_mT8_P12ihipStream_tbDpT10_ENKUlT_T0_E_clISt17integral_constantIbLb0EES17_IbLb1EEEEDaS13_S14_EUlS13_E_NS1_11comp_targetILNS1_3genE9ELNS1_11target_archE1100ELNS1_3gpuE3ELNS1_3repE0EEENS1_30default_config_static_selectorELNS0_4arch9wavefront6targetE0EEEvT1_, .Lfunc_end1203-_ZN7rocprim17ROCPRIM_400000_NS6detail17trampoline_kernelINS0_14default_configENS1_25partition_config_selectorILNS1_17partition_subalgoE6EtNS0_10empty_typeEbEEZZNS1_14partition_implILS5_6ELb0ES3_mN6thrust23THRUST_200600_302600_NS6detail15normal_iteratorINSA_10device_ptrItEEEEPS6_SG_NS0_5tupleIJSF_S6_EEENSH_IJSG_SG_EEES6_PlJNSB_9not_fun_tI7is_trueItEEEEEE10hipError_tPvRmT3_T4_T5_T6_T7_T9_mT8_P12ihipStream_tbDpT10_ENKUlT_T0_E_clISt17integral_constantIbLb0EES17_IbLb1EEEEDaS13_S14_EUlS13_E_NS1_11comp_targetILNS1_3genE9ELNS1_11target_archE1100ELNS1_3gpuE3ELNS1_3repE0EEENS1_30default_config_static_selectorELNS0_4arch9wavefront6targetE0EEEvT1_
                                        ; -- End function
	.set _ZN7rocprim17ROCPRIM_400000_NS6detail17trampoline_kernelINS0_14default_configENS1_25partition_config_selectorILNS1_17partition_subalgoE6EtNS0_10empty_typeEbEEZZNS1_14partition_implILS5_6ELb0ES3_mN6thrust23THRUST_200600_302600_NS6detail15normal_iteratorINSA_10device_ptrItEEEEPS6_SG_NS0_5tupleIJSF_S6_EEENSH_IJSG_SG_EEES6_PlJNSB_9not_fun_tI7is_trueItEEEEEE10hipError_tPvRmT3_T4_T5_T6_T7_T9_mT8_P12ihipStream_tbDpT10_ENKUlT_T0_E_clISt17integral_constantIbLb0EES17_IbLb1EEEEDaS13_S14_EUlS13_E_NS1_11comp_targetILNS1_3genE9ELNS1_11target_archE1100ELNS1_3gpuE3ELNS1_3repE0EEENS1_30default_config_static_selectorELNS0_4arch9wavefront6targetE0EEEvT1_.num_vgpr, 0
	.set _ZN7rocprim17ROCPRIM_400000_NS6detail17trampoline_kernelINS0_14default_configENS1_25partition_config_selectorILNS1_17partition_subalgoE6EtNS0_10empty_typeEbEEZZNS1_14partition_implILS5_6ELb0ES3_mN6thrust23THRUST_200600_302600_NS6detail15normal_iteratorINSA_10device_ptrItEEEEPS6_SG_NS0_5tupleIJSF_S6_EEENSH_IJSG_SG_EEES6_PlJNSB_9not_fun_tI7is_trueItEEEEEE10hipError_tPvRmT3_T4_T5_T6_T7_T9_mT8_P12ihipStream_tbDpT10_ENKUlT_T0_E_clISt17integral_constantIbLb0EES17_IbLb1EEEEDaS13_S14_EUlS13_E_NS1_11comp_targetILNS1_3genE9ELNS1_11target_archE1100ELNS1_3gpuE3ELNS1_3repE0EEENS1_30default_config_static_selectorELNS0_4arch9wavefront6targetE0EEEvT1_.num_agpr, 0
	.set _ZN7rocprim17ROCPRIM_400000_NS6detail17trampoline_kernelINS0_14default_configENS1_25partition_config_selectorILNS1_17partition_subalgoE6EtNS0_10empty_typeEbEEZZNS1_14partition_implILS5_6ELb0ES3_mN6thrust23THRUST_200600_302600_NS6detail15normal_iteratorINSA_10device_ptrItEEEEPS6_SG_NS0_5tupleIJSF_S6_EEENSH_IJSG_SG_EEES6_PlJNSB_9not_fun_tI7is_trueItEEEEEE10hipError_tPvRmT3_T4_T5_T6_T7_T9_mT8_P12ihipStream_tbDpT10_ENKUlT_T0_E_clISt17integral_constantIbLb0EES17_IbLb1EEEEDaS13_S14_EUlS13_E_NS1_11comp_targetILNS1_3genE9ELNS1_11target_archE1100ELNS1_3gpuE3ELNS1_3repE0EEENS1_30default_config_static_selectorELNS0_4arch9wavefront6targetE0EEEvT1_.numbered_sgpr, 0
	.set _ZN7rocprim17ROCPRIM_400000_NS6detail17trampoline_kernelINS0_14default_configENS1_25partition_config_selectorILNS1_17partition_subalgoE6EtNS0_10empty_typeEbEEZZNS1_14partition_implILS5_6ELb0ES3_mN6thrust23THRUST_200600_302600_NS6detail15normal_iteratorINSA_10device_ptrItEEEEPS6_SG_NS0_5tupleIJSF_S6_EEENSH_IJSG_SG_EEES6_PlJNSB_9not_fun_tI7is_trueItEEEEEE10hipError_tPvRmT3_T4_T5_T6_T7_T9_mT8_P12ihipStream_tbDpT10_ENKUlT_T0_E_clISt17integral_constantIbLb0EES17_IbLb1EEEEDaS13_S14_EUlS13_E_NS1_11comp_targetILNS1_3genE9ELNS1_11target_archE1100ELNS1_3gpuE3ELNS1_3repE0EEENS1_30default_config_static_selectorELNS0_4arch9wavefront6targetE0EEEvT1_.num_named_barrier, 0
	.set _ZN7rocprim17ROCPRIM_400000_NS6detail17trampoline_kernelINS0_14default_configENS1_25partition_config_selectorILNS1_17partition_subalgoE6EtNS0_10empty_typeEbEEZZNS1_14partition_implILS5_6ELb0ES3_mN6thrust23THRUST_200600_302600_NS6detail15normal_iteratorINSA_10device_ptrItEEEEPS6_SG_NS0_5tupleIJSF_S6_EEENSH_IJSG_SG_EEES6_PlJNSB_9not_fun_tI7is_trueItEEEEEE10hipError_tPvRmT3_T4_T5_T6_T7_T9_mT8_P12ihipStream_tbDpT10_ENKUlT_T0_E_clISt17integral_constantIbLb0EES17_IbLb1EEEEDaS13_S14_EUlS13_E_NS1_11comp_targetILNS1_3genE9ELNS1_11target_archE1100ELNS1_3gpuE3ELNS1_3repE0EEENS1_30default_config_static_selectorELNS0_4arch9wavefront6targetE0EEEvT1_.private_seg_size, 0
	.set _ZN7rocprim17ROCPRIM_400000_NS6detail17trampoline_kernelINS0_14default_configENS1_25partition_config_selectorILNS1_17partition_subalgoE6EtNS0_10empty_typeEbEEZZNS1_14partition_implILS5_6ELb0ES3_mN6thrust23THRUST_200600_302600_NS6detail15normal_iteratorINSA_10device_ptrItEEEEPS6_SG_NS0_5tupleIJSF_S6_EEENSH_IJSG_SG_EEES6_PlJNSB_9not_fun_tI7is_trueItEEEEEE10hipError_tPvRmT3_T4_T5_T6_T7_T9_mT8_P12ihipStream_tbDpT10_ENKUlT_T0_E_clISt17integral_constantIbLb0EES17_IbLb1EEEEDaS13_S14_EUlS13_E_NS1_11comp_targetILNS1_3genE9ELNS1_11target_archE1100ELNS1_3gpuE3ELNS1_3repE0EEENS1_30default_config_static_selectorELNS0_4arch9wavefront6targetE0EEEvT1_.uses_vcc, 0
	.set _ZN7rocprim17ROCPRIM_400000_NS6detail17trampoline_kernelINS0_14default_configENS1_25partition_config_selectorILNS1_17partition_subalgoE6EtNS0_10empty_typeEbEEZZNS1_14partition_implILS5_6ELb0ES3_mN6thrust23THRUST_200600_302600_NS6detail15normal_iteratorINSA_10device_ptrItEEEEPS6_SG_NS0_5tupleIJSF_S6_EEENSH_IJSG_SG_EEES6_PlJNSB_9not_fun_tI7is_trueItEEEEEE10hipError_tPvRmT3_T4_T5_T6_T7_T9_mT8_P12ihipStream_tbDpT10_ENKUlT_T0_E_clISt17integral_constantIbLb0EES17_IbLb1EEEEDaS13_S14_EUlS13_E_NS1_11comp_targetILNS1_3genE9ELNS1_11target_archE1100ELNS1_3gpuE3ELNS1_3repE0EEENS1_30default_config_static_selectorELNS0_4arch9wavefront6targetE0EEEvT1_.uses_flat_scratch, 0
	.set _ZN7rocprim17ROCPRIM_400000_NS6detail17trampoline_kernelINS0_14default_configENS1_25partition_config_selectorILNS1_17partition_subalgoE6EtNS0_10empty_typeEbEEZZNS1_14partition_implILS5_6ELb0ES3_mN6thrust23THRUST_200600_302600_NS6detail15normal_iteratorINSA_10device_ptrItEEEEPS6_SG_NS0_5tupleIJSF_S6_EEENSH_IJSG_SG_EEES6_PlJNSB_9not_fun_tI7is_trueItEEEEEE10hipError_tPvRmT3_T4_T5_T6_T7_T9_mT8_P12ihipStream_tbDpT10_ENKUlT_T0_E_clISt17integral_constantIbLb0EES17_IbLb1EEEEDaS13_S14_EUlS13_E_NS1_11comp_targetILNS1_3genE9ELNS1_11target_archE1100ELNS1_3gpuE3ELNS1_3repE0EEENS1_30default_config_static_selectorELNS0_4arch9wavefront6targetE0EEEvT1_.has_dyn_sized_stack, 0
	.set _ZN7rocprim17ROCPRIM_400000_NS6detail17trampoline_kernelINS0_14default_configENS1_25partition_config_selectorILNS1_17partition_subalgoE6EtNS0_10empty_typeEbEEZZNS1_14partition_implILS5_6ELb0ES3_mN6thrust23THRUST_200600_302600_NS6detail15normal_iteratorINSA_10device_ptrItEEEEPS6_SG_NS0_5tupleIJSF_S6_EEENSH_IJSG_SG_EEES6_PlJNSB_9not_fun_tI7is_trueItEEEEEE10hipError_tPvRmT3_T4_T5_T6_T7_T9_mT8_P12ihipStream_tbDpT10_ENKUlT_T0_E_clISt17integral_constantIbLb0EES17_IbLb1EEEEDaS13_S14_EUlS13_E_NS1_11comp_targetILNS1_3genE9ELNS1_11target_archE1100ELNS1_3gpuE3ELNS1_3repE0EEENS1_30default_config_static_selectorELNS0_4arch9wavefront6targetE0EEEvT1_.has_recursion, 0
	.set _ZN7rocprim17ROCPRIM_400000_NS6detail17trampoline_kernelINS0_14default_configENS1_25partition_config_selectorILNS1_17partition_subalgoE6EtNS0_10empty_typeEbEEZZNS1_14partition_implILS5_6ELb0ES3_mN6thrust23THRUST_200600_302600_NS6detail15normal_iteratorINSA_10device_ptrItEEEEPS6_SG_NS0_5tupleIJSF_S6_EEENSH_IJSG_SG_EEES6_PlJNSB_9not_fun_tI7is_trueItEEEEEE10hipError_tPvRmT3_T4_T5_T6_T7_T9_mT8_P12ihipStream_tbDpT10_ENKUlT_T0_E_clISt17integral_constantIbLb0EES17_IbLb1EEEEDaS13_S14_EUlS13_E_NS1_11comp_targetILNS1_3genE9ELNS1_11target_archE1100ELNS1_3gpuE3ELNS1_3repE0EEENS1_30default_config_static_selectorELNS0_4arch9wavefront6targetE0EEEvT1_.has_indirect_call, 0
	.section	.AMDGPU.csdata,"",@progbits
; Kernel info:
; codeLenInByte = 0
; TotalNumSgprs: 0
; NumVgprs: 0
; ScratchSize: 0
; MemoryBound: 0
; FloatMode: 240
; IeeeMode: 1
; LDSByteSize: 0 bytes/workgroup (compile time only)
; SGPRBlocks: 0
; VGPRBlocks: 0
; NumSGPRsForWavesPerEU: 1
; NumVGPRsForWavesPerEU: 1
; Occupancy: 16
; WaveLimiterHint : 0
; COMPUTE_PGM_RSRC2:SCRATCH_EN: 0
; COMPUTE_PGM_RSRC2:USER_SGPR: 2
; COMPUTE_PGM_RSRC2:TRAP_HANDLER: 0
; COMPUTE_PGM_RSRC2:TGID_X_EN: 1
; COMPUTE_PGM_RSRC2:TGID_Y_EN: 0
; COMPUTE_PGM_RSRC2:TGID_Z_EN: 0
; COMPUTE_PGM_RSRC2:TIDIG_COMP_CNT: 0
	.section	.text._ZN7rocprim17ROCPRIM_400000_NS6detail17trampoline_kernelINS0_14default_configENS1_25partition_config_selectorILNS1_17partition_subalgoE6EtNS0_10empty_typeEbEEZZNS1_14partition_implILS5_6ELb0ES3_mN6thrust23THRUST_200600_302600_NS6detail15normal_iteratorINSA_10device_ptrItEEEEPS6_SG_NS0_5tupleIJSF_S6_EEENSH_IJSG_SG_EEES6_PlJNSB_9not_fun_tI7is_trueItEEEEEE10hipError_tPvRmT3_T4_T5_T6_T7_T9_mT8_P12ihipStream_tbDpT10_ENKUlT_T0_E_clISt17integral_constantIbLb0EES17_IbLb1EEEEDaS13_S14_EUlS13_E_NS1_11comp_targetILNS1_3genE8ELNS1_11target_archE1030ELNS1_3gpuE2ELNS1_3repE0EEENS1_30default_config_static_selectorELNS0_4arch9wavefront6targetE0EEEvT1_,"axG",@progbits,_ZN7rocprim17ROCPRIM_400000_NS6detail17trampoline_kernelINS0_14default_configENS1_25partition_config_selectorILNS1_17partition_subalgoE6EtNS0_10empty_typeEbEEZZNS1_14partition_implILS5_6ELb0ES3_mN6thrust23THRUST_200600_302600_NS6detail15normal_iteratorINSA_10device_ptrItEEEEPS6_SG_NS0_5tupleIJSF_S6_EEENSH_IJSG_SG_EEES6_PlJNSB_9not_fun_tI7is_trueItEEEEEE10hipError_tPvRmT3_T4_T5_T6_T7_T9_mT8_P12ihipStream_tbDpT10_ENKUlT_T0_E_clISt17integral_constantIbLb0EES17_IbLb1EEEEDaS13_S14_EUlS13_E_NS1_11comp_targetILNS1_3genE8ELNS1_11target_archE1030ELNS1_3gpuE2ELNS1_3repE0EEENS1_30default_config_static_selectorELNS0_4arch9wavefront6targetE0EEEvT1_,comdat
	.protected	_ZN7rocprim17ROCPRIM_400000_NS6detail17trampoline_kernelINS0_14default_configENS1_25partition_config_selectorILNS1_17partition_subalgoE6EtNS0_10empty_typeEbEEZZNS1_14partition_implILS5_6ELb0ES3_mN6thrust23THRUST_200600_302600_NS6detail15normal_iteratorINSA_10device_ptrItEEEEPS6_SG_NS0_5tupleIJSF_S6_EEENSH_IJSG_SG_EEES6_PlJNSB_9not_fun_tI7is_trueItEEEEEE10hipError_tPvRmT3_T4_T5_T6_T7_T9_mT8_P12ihipStream_tbDpT10_ENKUlT_T0_E_clISt17integral_constantIbLb0EES17_IbLb1EEEEDaS13_S14_EUlS13_E_NS1_11comp_targetILNS1_3genE8ELNS1_11target_archE1030ELNS1_3gpuE2ELNS1_3repE0EEENS1_30default_config_static_selectorELNS0_4arch9wavefront6targetE0EEEvT1_ ; -- Begin function _ZN7rocprim17ROCPRIM_400000_NS6detail17trampoline_kernelINS0_14default_configENS1_25partition_config_selectorILNS1_17partition_subalgoE6EtNS0_10empty_typeEbEEZZNS1_14partition_implILS5_6ELb0ES3_mN6thrust23THRUST_200600_302600_NS6detail15normal_iteratorINSA_10device_ptrItEEEEPS6_SG_NS0_5tupleIJSF_S6_EEENSH_IJSG_SG_EEES6_PlJNSB_9not_fun_tI7is_trueItEEEEEE10hipError_tPvRmT3_T4_T5_T6_T7_T9_mT8_P12ihipStream_tbDpT10_ENKUlT_T0_E_clISt17integral_constantIbLb0EES17_IbLb1EEEEDaS13_S14_EUlS13_E_NS1_11comp_targetILNS1_3genE8ELNS1_11target_archE1030ELNS1_3gpuE2ELNS1_3repE0EEENS1_30default_config_static_selectorELNS0_4arch9wavefront6targetE0EEEvT1_
	.globl	_ZN7rocprim17ROCPRIM_400000_NS6detail17trampoline_kernelINS0_14default_configENS1_25partition_config_selectorILNS1_17partition_subalgoE6EtNS0_10empty_typeEbEEZZNS1_14partition_implILS5_6ELb0ES3_mN6thrust23THRUST_200600_302600_NS6detail15normal_iteratorINSA_10device_ptrItEEEEPS6_SG_NS0_5tupleIJSF_S6_EEENSH_IJSG_SG_EEES6_PlJNSB_9not_fun_tI7is_trueItEEEEEE10hipError_tPvRmT3_T4_T5_T6_T7_T9_mT8_P12ihipStream_tbDpT10_ENKUlT_T0_E_clISt17integral_constantIbLb0EES17_IbLb1EEEEDaS13_S14_EUlS13_E_NS1_11comp_targetILNS1_3genE8ELNS1_11target_archE1030ELNS1_3gpuE2ELNS1_3repE0EEENS1_30default_config_static_selectorELNS0_4arch9wavefront6targetE0EEEvT1_
	.p2align	8
	.type	_ZN7rocprim17ROCPRIM_400000_NS6detail17trampoline_kernelINS0_14default_configENS1_25partition_config_selectorILNS1_17partition_subalgoE6EtNS0_10empty_typeEbEEZZNS1_14partition_implILS5_6ELb0ES3_mN6thrust23THRUST_200600_302600_NS6detail15normal_iteratorINSA_10device_ptrItEEEEPS6_SG_NS0_5tupleIJSF_S6_EEENSH_IJSG_SG_EEES6_PlJNSB_9not_fun_tI7is_trueItEEEEEE10hipError_tPvRmT3_T4_T5_T6_T7_T9_mT8_P12ihipStream_tbDpT10_ENKUlT_T0_E_clISt17integral_constantIbLb0EES17_IbLb1EEEEDaS13_S14_EUlS13_E_NS1_11comp_targetILNS1_3genE8ELNS1_11target_archE1030ELNS1_3gpuE2ELNS1_3repE0EEENS1_30default_config_static_selectorELNS0_4arch9wavefront6targetE0EEEvT1_,@function
_ZN7rocprim17ROCPRIM_400000_NS6detail17trampoline_kernelINS0_14default_configENS1_25partition_config_selectorILNS1_17partition_subalgoE6EtNS0_10empty_typeEbEEZZNS1_14partition_implILS5_6ELb0ES3_mN6thrust23THRUST_200600_302600_NS6detail15normal_iteratorINSA_10device_ptrItEEEEPS6_SG_NS0_5tupleIJSF_S6_EEENSH_IJSG_SG_EEES6_PlJNSB_9not_fun_tI7is_trueItEEEEEE10hipError_tPvRmT3_T4_T5_T6_T7_T9_mT8_P12ihipStream_tbDpT10_ENKUlT_T0_E_clISt17integral_constantIbLb0EES17_IbLb1EEEEDaS13_S14_EUlS13_E_NS1_11comp_targetILNS1_3genE8ELNS1_11target_archE1030ELNS1_3gpuE2ELNS1_3repE0EEENS1_30default_config_static_selectorELNS0_4arch9wavefront6targetE0EEEvT1_: ; @_ZN7rocprim17ROCPRIM_400000_NS6detail17trampoline_kernelINS0_14default_configENS1_25partition_config_selectorILNS1_17partition_subalgoE6EtNS0_10empty_typeEbEEZZNS1_14partition_implILS5_6ELb0ES3_mN6thrust23THRUST_200600_302600_NS6detail15normal_iteratorINSA_10device_ptrItEEEEPS6_SG_NS0_5tupleIJSF_S6_EEENSH_IJSG_SG_EEES6_PlJNSB_9not_fun_tI7is_trueItEEEEEE10hipError_tPvRmT3_T4_T5_T6_T7_T9_mT8_P12ihipStream_tbDpT10_ENKUlT_T0_E_clISt17integral_constantIbLb0EES17_IbLb1EEEEDaS13_S14_EUlS13_E_NS1_11comp_targetILNS1_3genE8ELNS1_11target_archE1030ELNS1_3gpuE2ELNS1_3repE0EEENS1_30default_config_static_selectorELNS0_4arch9wavefront6targetE0EEEvT1_
; %bb.0:
	.section	.rodata,"a",@progbits
	.p2align	6, 0x0
	.amdhsa_kernel _ZN7rocprim17ROCPRIM_400000_NS6detail17trampoline_kernelINS0_14default_configENS1_25partition_config_selectorILNS1_17partition_subalgoE6EtNS0_10empty_typeEbEEZZNS1_14partition_implILS5_6ELb0ES3_mN6thrust23THRUST_200600_302600_NS6detail15normal_iteratorINSA_10device_ptrItEEEEPS6_SG_NS0_5tupleIJSF_S6_EEENSH_IJSG_SG_EEES6_PlJNSB_9not_fun_tI7is_trueItEEEEEE10hipError_tPvRmT3_T4_T5_T6_T7_T9_mT8_P12ihipStream_tbDpT10_ENKUlT_T0_E_clISt17integral_constantIbLb0EES17_IbLb1EEEEDaS13_S14_EUlS13_E_NS1_11comp_targetILNS1_3genE8ELNS1_11target_archE1030ELNS1_3gpuE2ELNS1_3repE0EEENS1_30default_config_static_selectorELNS0_4arch9wavefront6targetE0EEEvT1_
		.amdhsa_group_segment_fixed_size 0
		.amdhsa_private_segment_fixed_size 0
		.amdhsa_kernarg_size 128
		.amdhsa_user_sgpr_count 2
		.amdhsa_user_sgpr_dispatch_ptr 0
		.amdhsa_user_sgpr_queue_ptr 0
		.amdhsa_user_sgpr_kernarg_segment_ptr 1
		.amdhsa_user_sgpr_dispatch_id 0
		.amdhsa_user_sgpr_private_segment_size 0
		.amdhsa_wavefront_size32 1
		.amdhsa_uses_dynamic_stack 0
		.amdhsa_enable_private_segment 0
		.amdhsa_system_sgpr_workgroup_id_x 1
		.amdhsa_system_sgpr_workgroup_id_y 0
		.amdhsa_system_sgpr_workgroup_id_z 0
		.amdhsa_system_sgpr_workgroup_info 0
		.amdhsa_system_vgpr_workitem_id 0
		.amdhsa_next_free_vgpr 1
		.amdhsa_next_free_sgpr 1
		.amdhsa_reserve_vcc 0
		.amdhsa_float_round_mode_32 0
		.amdhsa_float_round_mode_16_64 0
		.amdhsa_float_denorm_mode_32 3
		.amdhsa_float_denorm_mode_16_64 3
		.amdhsa_fp16_overflow 0
		.amdhsa_workgroup_processor_mode 1
		.amdhsa_memory_ordered 1
		.amdhsa_forward_progress 1
		.amdhsa_inst_pref_size 0
		.amdhsa_round_robin_scheduling 0
		.amdhsa_exception_fp_ieee_invalid_op 0
		.amdhsa_exception_fp_denorm_src 0
		.amdhsa_exception_fp_ieee_div_zero 0
		.amdhsa_exception_fp_ieee_overflow 0
		.amdhsa_exception_fp_ieee_underflow 0
		.amdhsa_exception_fp_ieee_inexact 0
		.amdhsa_exception_int_div_zero 0
	.end_amdhsa_kernel
	.section	.text._ZN7rocprim17ROCPRIM_400000_NS6detail17trampoline_kernelINS0_14default_configENS1_25partition_config_selectorILNS1_17partition_subalgoE6EtNS0_10empty_typeEbEEZZNS1_14partition_implILS5_6ELb0ES3_mN6thrust23THRUST_200600_302600_NS6detail15normal_iteratorINSA_10device_ptrItEEEEPS6_SG_NS0_5tupleIJSF_S6_EEENSH_IJSG_SG_EEES6_PlJNSB_9not_fun_tI7is_trueItEEEEEE10hipError_tPvRmT3_T4_T5_T6_T7_T9_mT8_P12ihipStream_tbDpT10_ENKUlT_T0_E_clISt17integral_constantIbLb0EES17_IbLb1EEEEDaS13_S14_EUlS13_E_NS1_11comp_targetILNS1_3genE8ELNS1_11target_archE1030ELNS1_3gpuE2ELNS1_3repE0EEENS1_30default_config_static_selectorELNS0_4arch9wavefront6targetE0EEEvT1_,"axG",@progbits,_ZN7rocprim17ROCPRIM_400000_NS6detail17trampoline_kernelINS0_14default_configENS1_25partition_config_selectorILNS1_17partition_subalgoE6EtNS0_10empty_typeEbEEZZNS1_14partition_implILS5_6ELb0ES3_mN6thrust23THRUST_200600_302600_NS6detail15normal_iteratorINSA_10device_ptrItEEEEPS6_SG_NS0_5tupleIJSF_S6_EEENSH_IJSG_SG_EEES6_PlJNSB_9not_fun_tI7is_trueItEEEEEE10hipError_tPvRmT3_T4_T5_T6_T7_T9_mT8_P12ihipStream_tbDpT10_ENKUlT_T0_E_clISt17integral_constantIbLb0EES17_IbLb1EEEEDaS13_S14_EUlS13_E_NS1_11comp_targetILNS1_3genE8ELNS1_11target_archE1030ELNS1_3gpuE2ELNS1_3repE0EEENS1_30default_config_static_selectorELNS0_4arch9wavefront6targetE0EEEvT1_,comdat
.Lfunc_end1204:
	.size	_ZN7rocprim17ROCPRIM_400000_NS6detail17trampoline_kernelINS0_14default_configENS1_25partition_config_selectorILNS1_17partition_subalgoE6EtNS0_10empty_typeEbEEZZNS1_14partition_implILS5_6ELb0ES3_mN6thrust23THRUST_200600_302600_NS6detail15normal_iteratorINSA_10device_ptrItEEEEPS6_SG_NS0_5tupleIJSF_S6_EEENSH_IJSG_SG_EEES6_PlJNSB_9not_fun_tI7is_trueItEEEEEE10hipError_tPvRmT3_T4_T5_T6_T7_T9_mT8_P12ihipStream_tbDpT10_ENKUlT_T0_E_clISt17integral_constantIbLb0EES17_IbLb1EEEEDaS13_S14_EUlS13_E_NS1_11comp_targetILNS1_3genE8ELNS1_11target_archE1030ELNS1_3gpuE2ELNS1_3repE0EEENS1_30default_config_static_selectorELNS0_4arch9wavefront6targetE0EEEvT1_, .Lfunc_end1204-_ZN7rocprim17ROCPRIM_400000_NS6detail17trampoline_kernelINS0_14default_configENS1_25partition_config_selectorILNS1_17partition_subalgoE6EtNS0_10empty_typeEbEEZZNS1_14partition_implILS5_6ELb0ES3_mN6thrust23THRUST_200600_302600_NS6detail15normal_iteratorINSA_10device_ptrItEEEEPS6_SG_NS0_5tupleIJSF_S6_EEENSH_IJSG_SG_EEES6_PlJNSB_9not_fun_tI7is_trueItEEEEEE10hipError_tPvRmT3_T4_T5_T6_T7_T9_mT8_P12ihipStream_tbDpT10_ENKUlT_T0_E_clISt17integral_constantIbLb0EES17_IbLb1EEEEDaS13_S14_EUlS13_E_NS1_11comp_targetILNS1_3genE8ELNS1_11target_archE1030ELNS1_3gpuE2ELNS1_3repE0EEENS1_30default_config_static_selectorELNS0_4arch9wavefront6targetE0EEEvT1_
                                        ; -- End function
	.set _ZN7rocprim17ROCPRIM_400000_NS6detail17trampoline_kernelINS0_14default_configENS1_25partition_config_selectorILNS1_17partition_subalgoE6EtNS0_10empty_typeEbEEZZNS1_14partition_implILS5_6ELb0ES3_mN6thrust23THRUST_200600_302600_NS6detail15normal_iteratorINSA_10device_ptrItEEEEPS6_SG_NS0_5tupleIJSF_S6_EEENSH_IJSG_SG_EEES6_PlJNSB_9not_fun_tI7is_trueItEEEEEE10hipError_tPvRmT3_T4_T5_T6_T7_T9_mT8_P12ihipStream_tbDpT10_ENKUlT_T0_E_clISt17integral_constantIbLb0EES17_IbLb1EEEEDaS13_S14_EUlS13_E_NS1_11comp_targetILNS1_3genE8ELNS1_11target_archE1030ELNS1_3gpuE2ELNS1_3repE0EEENS1_30default_config_static_selectorELNS0_4arch9wavefront6targetE0EEEvT1_.num_vgpr, 0
	.set _ZN7rocprim17ROCPRIM_400000_NS6detail17trampoline_kernelINS0_14default_configENS1_25partition_config_selectorILNS1_17partition_subalgoE6EtNS0_10empty_typeEbEEZZNS1_14partition_implILS5_6ELb0ES3_mN6thrust23THRUST_200600_302600_NS6detail15normal_iteratorINSA_10device_ptrItEEEEPS6_SG_NS0_5tupleIJSF_S6_EEENSH_IJSG_SG_EEES6_PlJNSB_9not_fun_tI7is_trueItEEEEEE10hipError_tPvRmT3_T4_T5_T6_T7_T9_mT8_P12ihipStream_tbDpT10_ENKUlT_T0_E_clISt17integral_constantIbLb0EES17_IbLb1EEEEDaS13_S14_EUlS13_E_NS1_11comp_targetILNS1_3genE8ELNS1_11target_archE1030ELNS1_3gpuE2ELNS1_3repE0EEENS1_30default_config_static_selectorELNS0_4arch9wavefront6targetE0EEEvT1_.num_agpr, 0
	.set _ZN7rocprim17ROCPRIM_400000_NS6detail17trampoline_kernelINS0_14default_configENS1_25partition_config_selectorILNS1_17partition_subalgoE6EtNS0_10empty_typeEbEEZZNS1_14partition_implILS5_6ELb0ES3_mN6thrust23THRUST_200600_302600_NS6detail15normal_iteratorINSA_10device_ptrItEEEEPS6_SG_NS0_5tupleIJSF_S6_EEENSH_IJSG_SG_EEES6_PlJNSB_9not_fun_tI7is_trueItEEEEEE10hipError_tPvRmT3_T4_T5_T6_T7_T9_mT8_P12ihipStream_tbDpT10_ENKUlT_T0_E_clISt17integral_constantIbLb0EES17_IbLb1EEEEDaS13_S14_EUlS13_E_NS1_11comp_targetILNS1_3genE8ELNS1_11target_archE1030ELNS1_3gpuE2ELNS1_3repE0EEENS1_30default_config_static_selectorELNS0_4arch9wavefront6targetE0EEEvT1_.numbered_sgpr, 0
	.set _ZN7rocprim17ROCPRIM_400000_NS6detail17trampoline_kernelINS0_14default_configENS1_25partition_config_selectorILNS1_17partition_subalgoE6EtNS0_10empty_typeEbEEZZNS1_14partition_implILS5_6ELb0ES3_mN6thrust23THRUST_200600_302600_NS6detail15normal_iteratorINSA_10device_ptrItEEEEPS6_SG_NS0_5tupleIJSF_S6_EEENSH_IJSG_SG_EEES6_PlJNSB_9not_fun_tI7is_trueItEEEEEE10hipError_tPvRmT3_T4_T5_T6_T7_T9_mT8_P12ihipStream_tbDpT10_ENKUlT_T0_E_clISt17integral_constantIbLb0EES17_IbLb1EEEEDaS13_S14_EUlS13_E_NS1_11comp_targetILNS1_3genE8ELNS1_11target_archE1030ELNS1_3gpuE2ELNS1_3repE0EEENS1_30default_config_static_selectorELNS0_4arch9wavefront6targetE0EEEvT1_.num_named_barrier, 0
	.set _ZN7rocprim17ROCPRIM_400000_NS6detail17trampoline_kernelINS0_14default_configENS1_25partition_config_selectorILNS1_17partition_subalgoE6EtNS0_10empty_typeEbEEZZNS1_14partition_implILS5_6ELb0ES3_mN6thrust23THRUST_200600_302600_NS6detail15normal_iteratorINSA_10device_ptrItEEEEPS6_SG_NS0_5tupleIJSF_S6_EEENSH_IJSG_SG_EEES6_PlJNSB_9not_fun_tI7is_trueItEEEEEE10hipError_tPvRmT3_T4_T5_T6_T7_T9_mT8_P12ihipStream_tbDpT10_ENKUlT_T0_E_clISt17integral_constantIbLb0EES17_IbLb1EEEEDaS13_S14_EUlS13_E_NS1_11comp_targetILNS1_3genE8ELNS1_11target_archE1030ELNS1_3gpuE2ELNS1_3repE0EEENS1_30default_config_static_selectorELNS0_4arch9wavefront6targetE0EEEvT1_.private_seg_size, 0
	.set _ZN7rocprim17ROCPRIM_400000_NS6detail17trampoline_kernelINS0_14default_configENS1_25partition_config_selectorILNS1_17partition_subalgoE6EtNS0_10empty_typeEbEEZZNS1_14partition_implILS5_6ELb0ES3_mN6thrust23THRUST_200600_302600_NS6detail15normal_iteratorINSA_10device_ptrItEEEEPS6_SG_NS0_5tupleIJSF_S6_EEENSH_IJSG_SG_EEES6_PlJNSB_9not_fun_tI7is_trueItEEEEEE10hipError_tPvRmT3_T4_T5_T6_T7_T9_mT8_P12ihipStream_tbDpT10_ENKUlT_T0_E_clISt17integral_constantIbLb0EES17_IbLb1EEEEDaS13_S14_EUlS13_E_NS1_11comp_targetILNS1_3genE8ELNS1_11target_archE1030ELNS1_3gpuE2ELNS1_3repE0EEENS1_30default_config_static_selectorELNS0_4arch9wavefront6targetE0EEEvT1_.uses_vcc, 0
	.set _ZN7rocprim17ROCPRIM_400000_NS6detail17trampoline_kernelINS0_14default_configENS1_25partition_config_selectorILNS1_17partition_subalgoE6EtNS0_10empty_typeEbEEZZNS1_14partition_implILS5_6ELb0ES3_mN6thrust23THRUST_200600_302600_NS6detail15normal_iteratorINSA_10device_ptrItEEEEPS6_SG_NS0_5tupleIJSF_S6_EEENSH_IJSG_SG_EEES6_PlJNSB_9not_fun_tI7is_trueItEEEEEE10hipError_tPvRmT3_T4_T5_T6_T7_T9_mT8_P12ihipStream_tbDpT10_ENKUlT_T0_E_clISt17integral_constantIbLb0EES17_IbLb1EEEEDaS13_S14_EUlS13_E_NS1_11comp_targetILNS1_3genE8ELNS1_11target_archE1030ELNS1_3gpuE2ELNS1_3repE0EEENS1_30default_config_static_selectorELNS0_4arch9wavefront6targetE0EEEvT1_.uses_flat_scratch, 0
	.set _ZN7rocprim17ROCPRIM_400000_NS6detail17trampoline_kernelINS0_14default_configENS1_25partition_config_selectorILNS1_17partition_subalgoE6EtNS0_10empty_typeEbEEZZNS1_14partition_implILS5_6ELb0ES3_mN6thrust23THRUST_200600_302600_NS6detail15normal_iteratorINSA_10device_ptrItEEEEPS6_SG_NS0_5tupleIJSF_S6_EEENSH_IJSG_SG_EEES6_PlJNSB_9not_fun_tI7is_trueItEEEEEE10hipError_tPvRmT3_T4_T5_T6_T7_T9_mT8_P12ihipStream_tbDpT10_ENKUlT_T0_E_clISt17integral_constantIbLb0EES17_IbLb1EEEEDaS13_S14_EUlS13_E_NS1_11comp_targetILNS1_3genE8ELNS1_11target_archE1030ELNS1_3gpuE2ELNS1_3repE0EEENS1_30default_config_static_selectorELNS0_4arch9wavefront6targetE0EEEvT1_.has_dyn_sized_stack, 0
	.set _ZN7rocprim17ROCPRIM_400000_NS6detail17trampoline_kernelINS0_14default_configENS1_25partition_config_selectorILNS1_17partition_subalgoE6EtNS0_10empty_typeEbEEZZNS1_14partition_implILS5_6ELb0ES3_mN6thrust23THRUST_200600_302600_NS6detail15normal_iteratorINSA_10device_ptrItEEEEPS6_SG_NS0_5tupleIJSF_S6_EEENSH_IJSG_SG_EEES6_PlJNSB_9not_fun_tI7is_trueItEEEEEE10hipError_tPvRmT3_T4_T5_T6_T7_T9_mT8_P12ihipStream_tbDpT10_ENKUlT_T0_E_clISt17integral_constantIbLb0EES17_IbLb1EEEEDaS13_S14_EUlS13_E_NS1_11comp_targetILNS1_3genE8ELNS1_11target_archE1030ELNS1_3gpuE2ELNS1_3repE0EEENS1_30default_config_static_selectorELNS0_4arch9wavefront6targetE0EEEvT1_.has_recursion, 0
	.set _ZN7rocprim17ROCPRIM_400000_NS6detail17trampoline_kernelINS0_14default_configENS1_25partition_config_selectorILNS1_17partition_subalgoE6EtNS0_10empty_typeEbEEZZNS1_14partition_implILS5_6ELb0ES3_mN6thrust23THRUST_200600_302600_NS6detail15normal_iteratorINSA_10device_ptrItEEEEPS6_SG_NS0_5tupleIJSF_S6_EEENSH_IJSG_SG_EEES6_PlJNSB_9not_fun_tI7is_trueItEEEEEE10hipError_tPvRmT3_T4_T5_T6_T7_T9_mT8_P12ihipStream_tbDpT10_ENKUlT_T0_E_clISt17integral_constantIbLb0EES17_IbLb1EEEEDaS13_S14_EUlS13_E_NS1_11comp_targetILNS1_3genE8ELNS1_11target_archE1030ELNS1_3gpuE2ELNS1_3repE0EEENS1_30default_config_static_selectorELNS0_4arch9wavefront6targetE0EEEvT1_.has_indirect_call, 0
	.section	.AMDGPU.csdata,"",@progbits
; Kernel info:
; codeLenInByte = 0
; TotalNumSgprs: 0
; NumVgprs: 0
; ScratchSize: 0
; MemoryBound: 0
; FloatMode: 240
; IeeeMode: 1
; LDSByteSize: 0 bytes/workgroup (compile time only)
; SGPRBlocks: 0
; VGPRBlocks: 0
; NumSGPRsForWavesPerEU: 1
; NumVGPRsForWavesPerEU: 1
; Occupancy: 16
; WaveLimiterHint : 0
; COMPUTE_PGM_RSRC2:SCRATCH_EN: 0
; COMPUTE_PGM_RSRC2:USER_SGPR: 2
; COMPUTE_PGM_RSRC2:TRAP_HANDLER: 0
; COMPUTE_PGM_RSRC2:TGID_X_EN: 1
; COMPUTE_PGM_RSRC2:TGID_Y_EN: 0
; COMPUTE_PGM_RSRC2:TGID_Z_EN: 0
; COMPUTE_PGM_RSRC2:TIDIG_COMP_CNT: 0
	.section	.text._ZN7rocprim17ROCPRIM_400000_NS6detail17trampoline_kernelINS0_14default_configENS1_25partition_config_selectorILNS1_17partition_subalgoE6ExNS0_10empty_typeEbEEZZNS1_14partition_implILS5_6ELb0ES3_mN6thrust23THRUST_200600_302600_NS6detail15normal_iteratorINSA_10device_ptrIxEEEEPS6_SG_NS0_5tupleIJSF_S6_EEENSH_IJSG_SG_EEES6_PlJNSB_9not_fun_tI7is_trueIxEEEEEE10hipError_tPvRmT3_T4_T5_T6_T7_T9_mT8_P12ihipStream_tbDpT10_ENKUlT_T0_E_clISt17integral_constantIbLb0EES18_EEDaS13_S14_EUlS13_E_NS1_11comp_targetILNS1_3genE0ELNS1_11target_archE4294967295ELNS1_3gpuE0ELNS1_3repE0EEENS1_30default_config_static_selectorELNS0_4arch9wavefront6targetE0EEEvT1_,"axG",@progbits,_ZN7rocprim17ROCPRIM_400000_NS6detail17trampoline_kernelINS0_14default_configENS1_25partition_config_selectorILNS1_17partition_subalgoE6ExNS0_10empty_typeEbEEZZNS1_14partition_implILS5_6ELb0ES3_mN6thrust23THRUST_200600_302600_NS6detail15normal_iteratorINSA_10device_ptrIxEEEEPS6_SG_NS0_5tupleIJSF_S6_EEENSH_IJSG_SG_EEES6_PlJNSB_9not_fun_tI7is_trueIxEEEEEE10hipError_tPvRmT3_T4_T5_T6_T7_T9_mT8_P12ihipStream_tbDpT10_ENKUlT_T0_E_clISt17integral_constantIbLb0EES18_EEDaS13_S14_EUlS13_E_NS1_11comp_targetILNS1_3genE0ELNS1_11target_archE4294967295ELNS1_3gpuE0ELNS1_3repE0EEENS1_30default_config_static_selectorELNS0_4arch9wavefront6targetE0EEEvT1_,comdat
	.protected	_ZN7rocprim17ROCPRIM_400000_NS6detail17trampoline_kernelINS0_14default_configENS1_25partition_config_selectorILNS1_17partition_subalgoE6ExNS0_10empty_typeEbEEZZNS1_14partition_implILS5_6ELb0ES3_mN6thrust23THRUST_200600_302600_NS6detail15normal_iteratorINSA_10device_ptrIxEEEEPS6_SG_NS0_5tupleIJSF_S6_EEENSH_IJSG_SG_EEES6_PlJNSB_9not_fun_tI7is_trueIxEEEEEE10hipError_tPvRmT3_T4_T5_T6_T7_T9_mT8_P12ihipStream_tbDpT10_ENKUlT_T0_E_clISt17integral_constantIbLb0EES18_EEDaS13_S14_EUlS13_E_NS1_11comp_targetILNS1_3genE0ELNS1_11target_archE4294967295ELNS1_3gpuE0ELNS1_3repE0EEENS1_30default_config_static_selectorELNS0_4arch9wavefront6targetE0EEEvT1_ ; -- Begin function _ZN7rocprim17ROCPRIM_400000_NS6detail17trampoline_kernelINS0_14default_configENS1_25partition_config_selectorILNS1_17partition_subalgoE6ExNS0_10empty_typeEbEEZZNS1_14partition_implILS5_6ELb0ES3_mN6thrust23THRUST_200600_302600_NS6detail15normal_iteratorINSA_10device_ptrIxEEEEPS6_SG_NS0_5tupleIJSF_S6_EEENSH_IJSG_SG_EEES6_PlJNSB_9not_fun_tI7is_trueIxEEEEEE10hipError_tPvRmT3_T4_T5_T6_T7_T9_mT8_P12ihipStream_tbDpT10_ENKUlT_T0_E_clISt17integral_constantIbLb0EES18_EEDaS13_S14_EUlS13_E_NS1_11comp_targetILNS1_3genE0ELNS1_11target_archE4294967295ELNS1_3gpuE0ELNS1_3repE0EEENS1_30default_config_static_selectorELNS0_4arch9wavefront6targetE0EEEvT1_
	.globl	_ZN7rocprim17ROCPRIM_400000_NS6detail17trampoline_kernelINS0_14default_configENS1_25partition_config_selectorILNS1_17partition_subalgoE6ExNS0_10empty_typeEbEEZZNS1_14partition_implILS5_6ELb0ES3_mN6thrust23THRUST_200600_302600_NS6detail15normal_iteratorINSA_10device_ptrIxEEEEPS6_SG_NS0_5tupleIJSF_S6_EEENSH_IJSG_SG_EEES6_PlJNSB_9not_fun_tI7is_trueIxEEEEEE10hipError_tPvRmT3_T4_T5_T6_T7_T9_mT8_P12ihipStream_tbDpT10_ENKUlT_T0_E_clISt17integral_constantIbLb0EES18_EEDaS13_S14_EUlS13_E_NS1_11comp_targetILNS1_3genE0ELNS1_11target_archE4294967295ELNS1_3gpuE0ELNS1_3repE0EEENS1_30default_config_static_selectorELNS0_4arch9wavefront6targetE0EEEvT1_
	.p2align	8
	.type	_ZN7rocprim17ROCPRIM_400000_NS6detail17trampoline_kernelINS0_14default_configENS1_25partition_config_selectorILNS1_17partition_subalgoE6ExNS0_10empty_typeEbEEZZNS1_14partition_implILS5_6ELb0ES3_mN6thrust23THRUST_200600_302600_NS6detail15normal_iteratorINSA_10device_ptrIxEEEEPS6_SG_NS0_5tupleIJSF_S6_EEENSH_IJSG_SG_EEES6_PlJNSB_9not_fun_tI7is_trueIxEEEEEE10hipError_tPvRmT3_T4_T5_T6_T7_T9_mT8_P12ihipStream_tbDpT10_ENKUlT_T0_E_clISt17integral_constantIbLb0EES18_EEDaS13_S14_EUlS13_E_NS1_11comp_targetILNS1_3genE0ELNS1_11target_archE4294967295ELNS1_3gpuE0ELNS1_3repE0EEENS1_30default_config_static_selectorELNS0_4arch9wavefront6targetE0EEEvT1_,@function
_ZN7rocprim17ROCPRIM_400000_NS6detail17trampoline_kernelINS0_14default_configENS1_25partition_config_selectorILNS1_17partition_subalgoE6ExNS0_10empty_typeEbEEZZNS1_14partition_implILS5_6ELb0ES3_mN6thrust23THRUST_200600_302600_NS6detail15normal_iteratorINSA_10device_ptrIxEEEEPS6_SG_NS0_5tupleIJSF_S6_EEENSH_IJSG_SG_EEES6_PlJNSB_9not_fun_tI7is_trueIxEEEEEE10hipError_tPvRmT3_T4_T5_T6_T7_T9_mT8_P12ihipStream_tbDpT10_ENKUlT_T0_E_clISt17integral_constantIbLb0EES18_EEDaS13_S14_EUlS13_E_NS1_11comp_targetILNS1_3genE0ELNS1_11target_archE4294967295ELNS1_3gpuE0ELNS1_3repE0EEENS1_30default_config_static_selectorELNS0_4arch9wavefront6targetE0EEEvT1_: ; @_ZN7rocprim17ROCPRIM_400000_NS6detail17trampoline_kernelINS0_14default_configENS1_25partition_config_selectorILNS1_17partition_subalgoE6ExNS0_10empty_typeEbEEZZNS1_14partition_implILS5_6ELb0ES3_mN6thrust23THRUST_200600_302600_NS6detail15normal_iteratorINSA_10device_ptrIxEEEEPS6_SG_NS0_5tupleIJSF_S6_EEENSH_IJSG_SG_EEES6_PlJNSB_9not_fun_tI7is_trueIxEEEEEE10hipError_tPvRmT3_T4_T5_T6_T7_T9_mT8_P12ihipStream_tbDpT10_ENKUlT_T0_E_clISt17integral_constantIbLb0EES18_EEDaS13_S14_EUlS13_E_NS1_11comp_targetILNS1_3genE0ELNS1_11target_archE4294967295ELNS1_3gpuE0ELNS1_3repE0EEENS1_30default_config_static_selectorELNS0_4arch9wavefront6targetE0EEEvT1_
; %bb.0:
	.section	.rodata,"a",@progbits
	.p2align	6, 0x0
	.amdhsa_kernel _ZN7rocprim17ROCPRIM_400000_NS6detail17trampoline_kernelINS0_14default_configENS1_25partition_config_selectorILNS1_17partition_subalgoE6ExNS0_10empty_typeEbEEZZNS1_14partition_implILS5_6ELb0ES3_mN6thrust23THRUST_200600_302600_NS6detail15normal_iteratorINSA_10device_ptrIxEEEEPS6_SG_NS0_5tupleIJSF_S6_EEENSH_IJSG_SG_EEES6_PlJNSB_9not_fun_tI7is_trueIxEEEEEE10hipError_tPvRmT3_T4_T5_T6_T7_T9_mT8_P12ihipStream_tbDpT10_ENKUlT_T0_E_clISt17integral_constantIbLb0EES18_EEDaS13_S14_EUlS13_E_NS1_11comp_targetILNS1_3genE0ELNS1_11target_archE4294967295ELNS1_3gpuE0ELNS1_3repE0EEENS1_30default_config_static_selectorELNS0_4arch9wavefront6targetE0EEEvT1_
		.amdhsa_group_segment_fixed_size 0
		.amdhsa_private_segment_fixed_size 0
		.amdhsa_kernarg_size 112
		.amdhsa_user_sgpr_count 2
		.amdhsa_user_sgpr_dispatch_ptr 0
		.amdhsa_user_sgpr_queue_ptr 0
		.amdhsa_user_sgpr_kernarg_segment_ptr 1
		.amdhsa_user_sgpr_dispatch_id 0
		.amdhsa_user_sgpr_private_segment_size 0
		.amdhsa_wavefront_size32 1
		.amdhsa_uses_dynamic_stack 0
		.amdhsa_enable_private_segment 0
		.amdhsa_system_sgpr_workgroup_id_x 1
		.amdhsa_system_sgpr_workgroup_id_y 0
		.amdhsa_system_sgpr_workgroup_id_z 0
		.amdhsa_system_sgpr_workgroup_info 0
		.amdhsa_system_vgpr_workitem_id 0
		.amdhsa_next_free_vgpr 1
		.amdhsa_next_free_sgpr 1
		.amdhsa_reserve_vcc 0
		.amdhsa_float_round_mode_32 0
		.amdhsa_float_round_mode_16_64 0
		.amdhsa_float_denorm_mode_32 3
		.amdhsa_float_denorm_mode_16_64 3
		.amdhsa_fp16_overflow 0
		.amdhsa_workgroup_processor_mode 1
		.amdhsa_memory_ordered 1
		.amdhsa_forward_progress 1
		.amdhsa_inst_pref_size 0
		.amdhsa_round_robin_scheduling 0
		.amdhsa_exception_fp_ieee_invalid_op 0
		.amdhsa_exception_fp_denorm_src 0
		.amdhsa_exception_fp_ieee_div_zero 0
		.amdhsa_exception_fp_ieee_overflow 0
		.amdhsa_exception_fp_ieee_underflow 0
		.amdhsa_exception_fp_ieee_inexact 0
		.amdhsa_exception_int_div_zero 0
	.end_amdhsa_kernel
	.section	.text._ZN7rocprim17ROCPRIM_400000_NS6detail17trampoline_kernelINS0_14default_configENS1_25partition_config_selectorILNS1_17partition_subalgoE6ExNS0_10empty_typeEbEEZZNS1_14partition_implILS5_6ELb0ES3_mN6thrust23THRUST_200600_302600_NS6detail15normal_iteratorINSA_10device_ptrIxEEEEPS6_SG_NS0_5tupleIJSF_S6_EEENSH_IJSG_SG_EEES6_PlJNSB_9not_fun_tI7is_trueIxEEEEEE10hipError_tPvRmT3_T4_T5_T6_T7_T9_mT8_P12ihipStream_tbDpT10_ENKUlT_T0_E_clISt17integral_constantIbLb0EES18_EEDaS13_S14_EUlS13_E_NS1_11comp_targetILNS1_3genE0ELNS1_11target_archE4294967295ELNS1_3gpuE0ELNS1_3repE0EEENS1_30default_config_static_selectorELNS0_4arch9wavefront6targetE0EEEvT1_,"axG",@progbits,_ZN7rocprim17ROCPRIM_400000_NS6detail17trampoline_kernelINS0_14default_configENS1_25partition_config_selectorILNS1_17partition_subalgoE6ExNS0_10empty_typeEbEEZZNS1_14partition_implILS5_6ELb0ES3_mN6thrust23THRUST_200600_302600_NS6detail15normal_iteratorINSA_10device_ptrIxEEEEPS6_SG_NS0_5tupleIJSF_S6_EEENSH_IJSG_SG_EEES6_PlJNSB_9not_fun_tI7is_trueIxEEEEEE10hipError_tPvRmT3_T4_T5_T6_T7_T9_mT8_P12ihipStream_tbDpT10_ENKUlT_T0_E_clISt17integral_constantIbLb0EES18_EEDaS13_S14_EUlS13_E_NS1_11comp_targetILNS1_3genE0ELNS1_11target_archE4294967295ELNS1_3gpuE0ELNS1_3repE0EEENS1_30default_config_static_selectorELNS0_4arch9wavefront6targetE0EEEvT1_,comdat
.Lfunc_end1205:
	.size	_ZN7rocprim17ROCPRIM_400000_NS6detail17trampoline_kernelINS0_14default_configENS1_25partition_config_selectorILNS1_17partition_subalgoE6ExNS0_10empty_typeEbEEZZNS1_14partition_implILS5_6ELb0ES3_mN6thrust23THRUST_200600_302600_NS6detail15normal_iteratorINSA_10device_ptrIxEEEEPS6_SG_NS0_5tupleIJSF_S6_EEENSH_IJSG_SG_EEES6_PlJNSB_9not_fun_tI7is_trueIxEEEEEE10hipError_tPvRmT3_T4_T5_T6_T7_T9_mT8_P12ihipStream_tbDpT10_ENKUlT_T0_E_clISt17integral_constantIbLb0EES18_EEDaS13_S14_EUlS13_E_NS1_11comp_targetILNS1_3genE0ELNS1_11target_archE4294967295ELNS1_3gpuE0ELNS1_3repE0EEENS1_30default_config_static_selectorELNS0_4arch9wavefront6targetE0EEEvT1_, .Lfunc_end1205-_ZN7rocprim17ROCPRIM_400000_NS6detail17trampoline_kernelINS0_14default_configENS1_25partition_config_selectorILNS1_17partition_subalgoE6ExNS0_10empty_typeEbEEZZNS1_14partition_implILS5_6ELb0ES3_mN6thrust23THRUST_200600_302600_NS6detail15normal_iteratorINSA_10device_ptrIxEEEEPS6_SG_NS0_5tupleIJSF_S6_EEENSH_IJSG_SG_EEES6_PlJNSB_9not_fun_tI7is_trueIxEEEEEE10hipError_tPvRmT3_T4_T5_T6_T7_T9_mT8_P12ihipStream_tbDpT10_ENKUlT_T0_E_clISt17integral_constantIbLb0EES18_EEDaS13_S14_EUlS13_E_NS1_11comp_targetILNS1_3genE0ELNS1_11target_archE4294967295ELNS1_3gpuE0ELNS1_3repE0EEENS1_30default_config_static_selectorELNS0_4arch9wavefront6targetE0EEEvT1_
                                        ; -- End function
	.set _ZN7rocprim17ROCPRIM_400000_NS6detail17trampoline_kernelINS0_14default_configENS1_25partition_config_selectorILNS1_17partition_subalgoE6ExNS0_10empty_typeEbEEZZNS1_14partition_implILS5_6ELb0ES3_mN6thrust23THRUST_200600_302600_NS6detail15normal_iteratorINSA_10device_ptrIxEEEEPS6_SG_NS0_5tupleIJSF_S6_EEENSH_IJSG_SG_EEES6_PlJNSB_9not_fun_tI7is_trueIxEEEEEE10hipError_tPvRmT3_T4_T5_T6_T7_T9_mT8_P12ihipStream_tbDpT10_ENKUlT_T0_E_clISt17integral_constantIbLb0EES18_EEDaS13_S14_EUlS13_E_NS1_11comp_targetILNS1_3genE0ELNS1_11target_archE4294967295ELNS1_3gpuE0ELNS1_3repE0EEENS1_30default_config_static_selectorELNS0_4arch9wavefront6targetE0EEEvT1_.num_vgpr, 0
	.set _ZN7rocprim17ROCPRIM_400000_NS6detail17trampoline_kernelINS0_14default_configENS1_25partition_config_selectorILNS1_17partition_subalgoE6ExNS0_10empty_typeEbEEZZNS1_14partition_implILS5_6ELb0ES3_mN6thrust23THRUST_200600_302600_NS6detail15normal_iteratorINSA_10device_ptrIxEEEEPS6_SG_NS0_5tupleIJSF_S6_EEENSH_IJSG_SG_EEES6_PlJNSB_9not_fun_tI7is_trueIxEEEEEE10hipError_tPvRmT3_T4_T5_T6_T7_T9_mT8_P12ihipStream_tbDpT10_ENKUlT_T0_E_clISt17integral_constantIbLb0EES18_EEDaS13_S14_EUlS13_E_NS1_11comp_targetILNS1_3genE0ELNS1_11target_archE4294967295ELNS1_3gpuE0ELNS1_3repE0EEENS1_30default_config_static_selectorELNS0_4arch9wavefront6targetE0EEEvT1_.num_agpr, 0
	.set _ZN7rocprim17ROCPRIM_400000_NS6detail17trampoline_kernelINS0_14default_configENS1_25partition_config_selectorILNS1_17partition_subalgoE6ExNS0_10empty_typeEbEEZZNS1_14partition_implILS5_6ELb0ES3_mN6thrust23THRUST_200600_302600_NS6detail15normal_iteratorINSA_10device_ptrIxEEEEPS6_SG_NS0_5tupleIJSF_S6_EEENSH_IJSG_SG_EEES6_PlJNSB_9not_fun_tI7is_trueIxEEEEEE10hipError_tPvRmT3_T4_T5_T6_T7_T9_mT8_P12ihipStream_tbDpT10_ENKUlT_T0_E_clISt17integral_constantIbLb0EES18_EEDaS13_S14_EUlS13_E_NS1_11comp_targetILNS1_3genE0ELNS1_11target_archE4294967295ELNS1_3gpuE0ELNS1_3repE0EEENS1_30default_config_static_selectorELNS0_4arch9wavefront6targetE0EEEvT1_.numbered_sgpr, 0
	.set _ZN7rocprim17ROCPRIM_400000_NS6detail17trampoline_kernelINS0_14default_configENS1_25partition_config_selectorILNS1_17partition_subalgoE6ExNS0_10empty_typeEbEEZZNS1_14partition_implILS5_6ELb0ES3_mN6thrust23THRUST_200600_302600_NS6detail15normal_iteratorINSA_10device_ptrIxEEEEPS6_SG_NS0_5tupleIJSF_S6_EEENSH_IJSG_SG_EEES6_PlJNSB_9not_fun_tI7is_trueIxEEEEEE10hipError_tPvRmT3_T4_T5_T6_T7_T9_mT8_P12ihipStream_tbDpT10_ENKUlT_T0_E_clISt17integral_constantIbLb0EES18_EEDaS13_S14_EUlS13_E_NS1_11comp_targetILNS1_3genE0ELNS1_11target_archE4294967295ELNS1_3gpuE0ELNS1_3repE0EEENS1_30default_config_static_selectorELNS0_4arch9wavefront6targetE0EEEvT1_.num_named_barrier, 0
	.set _ZN7rocprim17ROCPRIM_400000_NS6detail17trampoline_kernelINS0_14default_configENS1_25partition_config_selectorILNS1_17partition_subalgoE6ExNS0_10empty_typeEbEEZZNS1_14partition_implILS5_6ELb0ES3_mN6thrust23THRUST_200600_302600_NS6detail15normal_iteratorINSA_10device_ptrIxEEEEPS6_SG_NS0_5tupleIJSF_S6_EEENSH_IJSG_SG_EEES6_PlJNSB_9not_fun_tI7is_trueIxEEEEEE10hipError_tPvRmT3_T4_T5_T6_T7_T9_mT8_P12ihipStream_tbDpT10_ENKUlT_T0_E_clISt17integral_constantIbLb0EES18_EEDaS13_S14_EUlS13_E_NS1_11comp_targetILNS1_3genE0ELNS1_11target_archE4294967295ELNS1_3gpuE0ELNS1_3repE0EEENS1_30default_config_static_selectorELNS0_4arch9wavefront6targetE0EEEvT1_.private_seg_size, 0
	.set _ZN7rocprim17ROCPRIM_400000_NS6detail17trampoline_kernelINS0_14default_configENS1_25partition_config_selectorILNS1_17partition_subalgoE6ExNS0_10empty_typeEbEEZZNS1_14partition_implILS5_6ELb0ES3_mN6thrust23THRUST_200600_302600_NS6detail15normal_iteratorINSA_10device_ptrIxEEEEPS6_SG_NS0_5tupleIJSF_S6_EEENSH_IJSG_SG_EEES6_PlJNSB_9not_fun_tI7is_trueIxEEEEEE10hipError_tPvRmT3_T4_T5_T6_T7_T9_mT8_P12ihipStream_tbDpT10_ENKUlT_T0_E_clISt17integral_constantIbLb0EES18_EEDaS13_S14_EUlS13_E_NS1_11comp_targetILNS1_3genE0ELNS1_11target_archE4294967295ELNS1_3gpuE0ELNS1_3repE0EEENS1_30default_config_static_selectorELNS0_4arch9wavefront6targetE0EEEvT1_.uses_vcc, 0
	.set _ZN7rocprim17ROCPRIM_400000_NS6detail17trampoline_kernelINS0_14default_configENS1_25partition_config_selectorILNS1_17partition_subalgoE6ExNS0_10empty_typeEbEEZZNS1_14partition_implILS5_6ELb0ES3_mN6thrust23THRUST_200600_302600_NS6detail15normal_iteratorINSA_10device_ptrIxEEEEPS6_SG_NS0_5tupleIJSF_S6_EEENSH_IJSG_SG_EEES6_PlJNSB_9not_fun_tI7is_trueIxEEEEEE10hipError_tPvRmT3_T4_T5_T6_T7_T9_mT8_P12ihipStream_tbDpT10_ENKUlT_T0_E_clISt17integral_constantIbLb0EES18_EEDaS13_S14_EUlS13_E_NS1_11comp_targetILNS1_3genE0ELNS1_11target_archE4294967295ELNS1_3gpuE0ELNS1_3repE0EEENS1_30default_config_static_selectorELNS0_4arch9wavefront6targetE0EEEvT1_.uses_flat_scratch, 0
	.set _ZN7rocprim17ROCPRIM_400000_NS6detail17trampoline_kernelINS0_14default_configENS1_25partition_config_selectorILNS1_17partition_subalgoE6ExNS0_10empty_typeEbEEZZNS1_14partition_implILS5_6ELb0ES3_mN6thrust23THRUST_200600_302600_NS6detail15normal_iteratorINSA_10device_ptrIxEEEEPS6_SG_NS0_5tupleIJSF_S6_EEENSH_IJSG_SG_EEES6_PlJNSB_9not_fun_tI7is_trueIxEEEEEE10hipError_tPvRmT3_T4_T5_T6_T7_T9_mT8_P12ihipStream_tbDpT10_ENKUlT_T0_E_clISt17integral_constantIbLb0EES18_EEDaS13_S14_EUlS13_E_NS1_11comp_targetILNS1_3genE0ELNS1_11target_archE4294967295ELNS1_3gpuE0ELNS1_3repE0EEENS1_30default_config_static_selectorELNS0_4arch9wavefront6targetE0EEEvT1_.has_dyn_sized_stack, 0
	.set _ZN7rocprim17ROCPRIM_400000_NS6detail17trampoline_kernelINS0_14default_configENS1_25partition_config_selectorILNS1_17partition_subalgoE6ExNS0_10empty_typeEbEEZZNS1_14partition_implILS5_6ELb0ES3_mN6thrust23THRUST_200600_302600_NS6detail15normal_iteratorINSA_10device_ptrIxEEEEPS6_SG_NS0_5tupleIJSF_S6_EEENSH_IJSG_SG_EEES6_PlJNSB_9not_fun_tI7is_trueIxEEEEEE10hipError_tPvRmT3_T4_T5_T6_T7_T9_mT8_P12ihipStream_tbDpT10_ENKUlT_T0_E_clISt17integral_constantIbLb0EES18_EEDaS13_S14_EUlS13_E_NS1_11comp_targetILNS1_3genE0ELNS1_11target_archE4294967295ELNS1_3gpuE0ELNS1_3repE0EEENS1_30default_config_static_selectorELNS0_4arch9wavefront6targetE0EEEvT1_.has_recursion, 0
	.set _ZN7rocprim17ROCPRIM_400000_NS6detail17trampoline_kernelINS0_14default_configENS1_25partition_config_selectorILNS1_17partition_subalgoE6ExNS0_10empty_typeEbEEZZNS1_14partition_implILS5_6ELb0ES3_mN6thrust23THRUST_200600_302600_NS6detail15normal_iteratorINSA_10device_ptrIxEEEEPS6_SG_NS0_5tupleIJSF_S6_EEENSH_IJSG_SG_EEES6_PlJNSB_9not_fun_tI7is_trueIxEEEEEE10hipError_tPvRmT3_T4_T5_T6_T7_T9_mT8_P12ihipStream_tbDpT10_ENKUlT_T0_E_clISt17integral_constantIbLb0EES18_EEDaS13_S14_EUlS13_E_NS1_11comp_targetILNS1_3genE0ELNS1_11target_archE4294967295ELNS1_3gpuE0ELNS1_3repE0EEENS1_30default_config_static_selectorELNS0_4arch9wavefront6targetE0EEEvT1_.has_indirect_call, 0
	.section	.AMDGPU.csdata,"",@progbits
; Kernel info:
; codeLenInByte = 0
; TotalNumSgprs: 0
; NumVgprs: 0
; ScratchSize: 0
; MemoryBound: 0
; FloatMode: 240
; IeeeMode: 1
; LDSByteSize: 0 bytes/workgroup (compile time only)
; SGPRBlocks: 0
; VGPRBlocks: 0
; NumSGPRsForWavesPerEU: 1
; NumVGPRsForWavesPerEU: 1
; Occupancy: 16
; WaveLimiterHint : 0
; COMPUTE_PGM_RSRC2:SCRATCH_EN: 0
; COMPUTE_PGM_RSRC2:USER_SGPR: 2
; COMPUTE_PGM_RSRC2:TRAP_HANDLER: 0
; COMPUTE_PGM_RSRC2:TGID_X_EN: 1
; COMPUTE_PGM_RSRC2:TGID_Y_EN: 0
; COMPUTE_PGM_RSRC2:TGID_Z_EN: 0
; COMPUTE_PGM_RSRC2:TIDIG_COMP_CNT: 0
	.section	.text._ZN7rocprim17ROCPRIM_400000_NS6detail17trampoline_kernelINS0_14default_configENS1_25partition_config_selectorILNS1_17partition_subalgoE6ExNS0_10empty_typeEbEEZZNS1_14partition_implILS5_6ELb0ES3_mN6thrust23THRUST_200600_302600_NS6detail15normal_iteratorINSA_10device_ptrIxEEEEPS6_SG_NS0_5tupleIJSF_S6_EEENSH_IJSG_SG_EEES6_PlJNSB_9not_fun_tI7is_trueIxEEEEEE10hipError_tPvRmT3_T4_T5_T6_T7_T9_mT8_P12ihipStream_tbDpT10_ENKUlT_T0_E_clISt17integral_constantIbLb0EES18_EEDaS13_S14_EUlS13_E_NS1_11comp_targetILNS1_3genE5ELNS1_11target_archE942ELNS1_3gpuE9ELNS1_3repE0EEENS1_30default_config_static_selectorELNS0_4arch9wavefront6targetE0EEEvT1_,"axG",@progbits,_ZN7rocprim17ROCPRIM_400000_NS6detail17trampoline_kernelINS0_14default_configENS1_25partition_config_selectorILNS1_17partition_subalgoE6ExNS0_10empty_typeEbEEZZNS1_14partition_implILS5_6ELb0ES3_mN6thrust23THRUST_200600_302600_NS6detail15normal_iteratorINSA_10device_ptrIxEEEEPS6_SG_NS0_5tupleIJSF_S6_EEENSH_IJSG_SG_EEES6_PlJNSB_9not_fun_tI7is_trueIxEEEEEE10hipError_tPvRmT3_T4_T5_T6_T7_T9_mT8_P12ihipStream_tbDpT10_ENKUlT_T0_E_clISt17integral_constantIbLb0EES18_EEDaS13_S14_EUlS13_E_NS1_11comp_targetILNS1_3genE5ELNS1_11target_archE942ELNS1_3gpuE9ELNS1_3repE0EEENS1_30default_config_static_selectorELNS0_4arch9wavefront6targetE0EEEvT1_,comdat
	.protected	_ZN7rocprim17ROCPRIM_400000_NS6detail17trampoline_kernelINS0_14default_configENS1_25partition_config_selectorILNS1_17partition_subalgoE6ExNS0_10empty_typeEbEEZZNS1_14partition_implILS5_6ELb0ES3_mN6thrust23THRUST_200600_302600_NS6detail15normal_iteratorINSA_10device_ptrIxEEEEPS6_SG_NS0_5tupleIJSF_S6_EEENSH_IJSG_SG_EEES6_PlJNSB_9not_fun_tI7is_trueIxEEEEEE10hipError_tPvRmT3_T4_T5_T6_T7_T9_mT8_P12ihipStream_tbDpT10_ENKUlT_T0_E_clISt17integral_constantIbLb0EES18_EEDaS13_S14_EUlS13_E_NS1_11comp_targetILNS1_3genE5ELNS1_11target_archE942ELNS1_3gpuE9ELNS1_3repE0EEENS1_30default_config_static_selectorELNS0_4arch9wavefront6targetE0EEEvT1_ ; -- Begin function _ZN7rocprim17ROCPRIM_400000_NS6detail17trampoline_kernelINS0_14default_configENS1_25partition_config_selectorILNS1_17partition_subalgoE6ExNS0_10empty_typeEbEEZZNS1_14partition_implILS5_6ELb0ES3_mN6thrust23THRUST_200600_302600_NS6detail15normal_iteratorINSA_10device_ptrIxEEEEPS6_SG_NS0_5tupleIJSF_S6_EEENSH_IJSG_SG_EEES6_PlJNSB_9not_fun_tI7is_trueIxEEEEEE10hipError_tPvRmT3_T4_T5_T6_T7_T9_mT8_P12ihipStream_tbDpT10_ENKUlT_T0_E_clISt17integral_constantIbLb0EES18_EEDaS13_S14_EUlS13_E_NS1_11comp_targetILNS1_3genE5ELNS1_11target_archE942ELNS1_3gpuE9ELNS1_3repE0EEENS1_30default_config_static_selectorELNS0_4arch9wavefront6targetE0EEEvT1_
	.globl	_ZN7rocprim17ROCPRIM_400000_NS6detail17trampoline_kernelINS0_14default_configENS1_25partition_config_selectorILNS1_17partition_subalgoE6ExNS0_10empty_typeEbEEZZNS1_14partition_implILS5_6ELb0ES3_mN6thrust23THRUST_200600_302600_NS6detail15normal_iteratorINSA_10device_ptrIxEEEEPS6_SG_NS0_5tupleIJSF_S6_EEENSH_IJSG_SG_EEES6_PlJNSB_9not_fun_tI7is_trueIxEEEEEE10hipError_tPvRmT3_T4_T5_T6_T7_T9_mT8_P12ihipStream_tbDpT10_ENKUlT_T0_E_clISt17integral_constantIbLb0EES18_EEDaS13_S14_EUlS13_E_NS1_11comp_targetILNS1_3genE5ELNS1_11target_archE942ELNS1_3gpuE9ELNS1_3repE0EEENS1_30default_config_static_selectorELNS0_4arch9wavefront6targetE0EEEvT1_
	.p2align	8
	.type	_ZN7rocprim17ROCPRIM_400000_NS6detail17trampoline_kernelINS0_14default_configENS1_25partition_config_selectorILNS1_17partition_subalgoE6ExNS0_10empty_typeEbEEZZNS1_14partition_implILS5_6ELb0ES3_mN6thrust23THRUST_200600_302600_NS6detail15normal_iteratorINSA_10device_ptrIxEEEEPS6_SG_NS0_5tupleIJSF_S6_EEENSH_IJSG_SG_EEES6_PlJNSB_9not_fun_tI7is_trueIxEEEEEE10hipError_tPvRmT3_T4_T5_T6_T7_T9_mT8_P12ihipStream_tbDpT10_ENKUlT_T0_E_clISt17integral_constantIbLb0EES18_EEDaS13_S14_EUlS13_E_NS1_11comp_targetILNS1_3genE5ELNS1_11target_archE942ELNS1_3gpuE9ELNS1_3repE0EEENS1_30default_config_static_selectorELNS0_4arch9wavefront6targetE0EEEvT1_,@function
_ZN7rocprim17ROCPRIM_400000_NS6detail17trampoline_kernelINS0_14default_configENS1_25partition_config_selectorILNS1_17partition_subalgoE6ExNS0_10empty_typeEbEEZZNS1_14partition_implILS5_6ELb0ES3_mN6thrust23THRUST_200600_302600_NS6detail15normal_iteratorINSA_10device_ptrIxEEEEPS6_SG_NS0_5tupleIJSF_S6_EEENSH_IJSG_SG_EEES6_PlJNSB_9not_fun_tI7is_trueIxEEEEEE10hipError_tPvRmT3_T4_T5_T6_T7_T9_mT8_P12ihipStream_tbDpT10_ENKUlT_T0_E_clISt17integral_constantIbLb0EES18_EEDaS13_S14_EUlS13_E_NS1_11comp_targetILNS1_3genE5ELNS1_11target_archE942ELNS1_3gpuE9ELNS1_3repE0EEENS1_30default_config_static_selectorELNS0_4arch9wavefront6targetE0EEEvT1_: ; @_ZN7rocprim17ROCPRIM_400000_NS6detail17trampoline_kernelINS0_14default_configENS1_25partition_config_selectorILNS1_17partition_subalgoE6ExNS0_10empty_typeEbEEZZNS1_14partition_implILS5_6ELb0ES3_mN6thrust23THRUST_200600_302600_NS6detail15normal_iteratorINSA_10device_ptrIxEEEEPS6_SG_NS0_5tupleIJSF_S6_EEENSH_IJSG_SG_EEES6_PlJNSB_9not_fun_tI7is_trueIxEEEEEE10hipError_tPvRmT3_T4_T5_T6_T7_T9_mT8_P12ihipStream_tbDpT10_ENKUlT_T0_E_clISt17integral_constantIbLb0EES18_EEDaS13_S14_EUlS13_E_NS1_11comp_targetILNS1_3genE5ELNS1_11target_archE942ELNS1_3gpuE9ELNS1_3repE0EEENS1_30default_config_static_selectorELNS0_4arch9wavefront6targetE0EEEvT1_
; %bb.0:
	.section	.rodata,"a",@progbits
	.p2align	6, 0x0
	.amdhsa_kernel _ZN7rocprim17ROCPRIM_400000_NS6detail17trampoline_kernelINS0_14default_configENS1_25partition_config_selectorILNS1_17partition_subalgoE6ExNS0_10empty_typeEbEEZZNS1_14partition_implILS5_6ELb0ES3_mN6thrust23THRUST_200600_302600_NS6detail15normal_iteratorINSA_10device_ptrIxEEEEPS6_SG_NS0_5tupleIJSF_S6_EEENSH_IJSG_SG_EEES6_PlJNSB_9not_fun_tI7is_trueIxEEEEEE10hipError_tPvRmT3_T4_T5_T6_T7_T9_mT8_P12ihipStream_tbDpT10_ENKUlT_T0_E_clISt17integral_constantIbLb0EES18_EEDaS13_S14_EUlS13_E_NS1_11comp_targetILNS1_3genE5ELNS1_11target_archE942ELNS1_3gpuE9ELNS1_3repE0EEENS1_30default_config_static_selectorELNS0_4arch9wavefront6targetE0EEEvT1_
		.amdhsa_group_segment_fixed_size 0
		.amdhsa_private_segment_fixed_size 0
		.amdhsa_kernarg_size 112
		.amdhsa_user_sgpr_count 2
		.amdhsa_user_sgpr_dispatch_ptr 0
		.amdhsa_user_sgpr_queue_ptr 0
		.amdhsa_user_sgpr_kernarg_segment_ptr 1
		.amdhsa_user_sgpr_dispatch_id 0
		.amdhsa_user_sgpr_private_segment_size 0
		.amdhsa_wavefront_size32 1
		.amdhsa_uses_dynamic_stack 0
		.amdhsa_enable_private_segment 0
		.amdhsa_system_sgpr_workgroup_id_x 1
		.amdhsa_system_sgpr_workgroup_id_y 0
		.amdhsa_system_sgpr_workgroup_id_z 0
		.amdhsa_system_sgpr_workgroup_info 0
		.amdhsa_system_vgpr_workitem_id 0
		.amdhsa_next_free_vgpr 1
		.amdhsa_next_free_sgpr 1
		.amdhsa_reserve_vcc 0
		.amdhsa_float_round_mode_32 0
		.amdhsa_float_round_mode_16_64 0
		.amdhsa_float_denorm_mode_32 3
		.amdhsa_float_denorm_mode_16_64 3
		.amdhsa_fp16_overflow 0
		.amdhsa_workgroup_processor_mode 1
		.amdhsa_memory_ordered 1
		.amdhsa_forward_progress 1
		.amdhsa_inst_pref_size 0
		.amdhsa_round_robin_scheduling 0
		.amdhsa_exception_fp_ieee_invalid_op 0
		.amdhsa_exception_fp_denorm_src 0
		.amdhsa_exception_fp_ieee_div_zero 0
		.amdhsa_exception_fp_ieee_overflow 0
		.amdhsa_exception_fp_ieee_underflow 0
		.amdhsa_exception_fp_ieee_inexact 0
		.amdhsa_exception_int_div_zero 0
	.end_amdhsa_kernel
	.section	.text._ZN7rocprim17ROCPRIM_400000_NS6detail17trampoline_kernelINS0_14default_configENS1_25partition_config_selectorILNS1_17partition_subalgoE6ExNS0_10empty_typeEbEEZZNS1_14partition_implILS5_6ELb0ES3_mN6thrust23THRUST_200600_302600_NS6detail15normal_iteratorINSA_10device_ptrIxEEEEPS6_SG_NS0_5tupleIJSF_S6_EEENSH_IJSG_SG_EEES6_PlJNSB_9not_fun_tI7is_trueIxEEEEEE10hipError_tPvRmT3_T4_T5_T6_T7_T9_mT8_P12ihipStream_tbDpT10_ENKUlT_T0_E_clISt17integral_constantIbLb0EES18_EEDaS13_S14_EUlS13_E_NS1_11comp_targetILNS1_3genE5ELNS1_11target_archE942ELNS1_3gpuE9ELNS1_3repE0EEENS1_30default_config_static_selectorELNS0_4arch9wavefront6targetE0EEEvT1_,"axG",@progbits,_ZN7rocprim17ROCPRIM_400000_NS6detail17trampoline_kernelINS0_14default_configENS1_25partition_config_selectorILNS1_17partition_subalgoE6ExNS0_10empty_typeEbEEZZNS1_14partition_implILS5_6ELb0ES3_mN6thrust23THRUST_200600_302600_NS6detail15normal_iteratorINSA_10device_ptrIxEEEEPS6_SG_NS0_5tupleIJSF_S6_EEENSH_IJSG_SG_EEES6_PlJNSB_9not_fun_tI7is_trueIxEEEEEE10hipError_tPvRmT3_T4_T5_T6_T7_T9_mT8_P12ihipStream_tbDpT10_ENKUlT_T0_E_clISt17integral_constantIbLb0EES18_EEDaS13_S14_EUlS13_E_NS1_11comp_targetILNS1_3genE5ELNS1_11target_archE942ELNS1_3gpuE9ELNS1_3repE0EEENS1_30default_config_static_selectorELNS0_4arch9wavefront6targetE0EEEvT1_,comdat
.Lfunc_end1206:
	.size	_ZN7rocprim17ROCPRIM_400000_NS6detail17trampoline_kernelINS0_14default_configENS1_25partition_config_selectorILNS1_17partition_subalgoE6ExNS0_10empty_typeEbEEZZNS1_14partition_implILS5_6ELb0ES3_mN6thrust23THRUST_200600_302600_NS6detail15normal_iteratorINSA_10device_ptrIxEEEEPS6_SG_NS0_5tupleIJSF_S6_EEENSH_IJSG_SG_EEES6_PlJNSB_9not_fun_tI7is_trueIxEEEEEE10hipError_tPvRmT3_T4_T5_T6_T7_T9_mT8_P12ihipStream_tbDpT10_ENKUlT_T0_E_clISt17integral_constantIbLb0EES18_EEDaS13_S14_EUlS13_E_NS1_11comp_targetILNS1_3genE5ELNS1_11target_archE942ELNS1_3gpuE9ELNS1_3repE0EEENS1_30default_config_static_selectorELNS0_4arch9wavefront6targetE0EEEvT1_, .Lfunc_end1206-_ZN7rocprim17ROCPRIM_400000_NS6detail17trampoline_kernelINS0_14default_configENS1_25partition_config_selectorILNS1_17partition_subalgoE6ExNS0_10empty_typeEbEEZZNS1_14partition_implILS5_6ELb0ES3_mN6thrust23THRUST_200600_302600_NS6detail15normal_iteratorINSA_10device_ptrIxEEEEPS6_SG_NS0_5tupleIJSF_S6_EEENSH_IJSG_SG_EEES6_PlJNSB_9not_fun_tI7is_trueIxEEEEEE10hipError_tPvRmT3_T4_T5_T6_T7_T9_mT8_P12ihipStream_tbDpT10_ENKUlT_T0_E_clISt17integral_constantIbLb0EES18_EEDaS13_S14_EUlS13_E_NS1_11comp_targetILNS1_3genE5ELNS1_11target_archE942ELNS1_3gpuE9ELNS1_3repE0EEENS1_30default_config_static_selectorELNS0_4arch9wavefront6targetE0EEEvT1_
                                        ; -- End function
	.set _ZN7rocprim17ROCPRIM_400000_NS6detail17trampoline_kernelINS0_14default_configENS1_25partition_config_selectorILNS1_17partition_subalgoE6ExNS0_10empty_typeEbEEZZNS1_14partition_implILS5_6ELb0ES3_mN6thrust23THRUST_200600_302600_NS6detail15normal_iteratorINSA_10device_ptrIxEEEEPS6_SG_NS0_5tupleIJSF_S6_EEENSH_IJSG_SG_EEES6_PlJNSB_9not_fun_tI7is_trueIxEEEEEE10hipError_tPvRmT3_T4_T5_T6_T7_T9_mT8_P12ihipStream_tbDpT10_ENKUlT_T0_E_clISt17integral_constantIbLb0EES18_EEDaS13_S14_EUlS13_E_NS1_11comp_targetILNS1_3genE5ELNS1_11target_archE942ELNS1_3gpuE9ELNS1_3repE0EEENS1_30default_config_static_selectorELNS0_4arch9wavefront6targetE0EEEvT1_.num_vgpr, 0
	.set _ZN7rocprim17ROCPRIM_400000_NS6detail17trampoline_kernelINS0_14default_configENS1_25partition_config_selectorILNS1_17partition_subalgoE6ExNS0_10empty_typeEbEEZZNS1_14partition_implILS5_6ELb0ES3_mN6thrust23THRUST_200600_302600_NS6detail15normal_iteratorINSA_10device_ptrIxEEEEPS6_SG_NS0_5tupleIJSF_S6_EEENSH_IJSG_SG_EEES6_PlJNSB_9not_fun_tI7is_trueIxEEEEEE10hipError_tPvRmT3_T4_T5_T6_T7_T9_mT8_P12ihipStream_tbDpT10_ENKUlT_T0_E_clISt17integral_constantIbLb0EES18_EEDaS13_S14_EUlS13_E_NS1_11comp_targetILNS1_3genE5ELNS1_11target_archE942ELNS1_3gpuE9ELNS1_3repE0EEENS1_30default_config_static_selectorELNS0_4arch9wavefront6targetE0EEEvT1_.num_agpr, 0
	.set _ZN7rocprim17ROCPRIM_400000_NS6detail17trampoline_kernelINS0_14default_configENS1_25partition_config_selectorILNS1_17partition_subalgoE6ExNS0_10empty_typeEbEEZZNS1_14partition_implILS5_6ELb0ES3_mN6thrust23THRUST_200600_302600_NS6detail15normal_iteratorINSA_10device_ptrIxEEEEPS6_SG_NS0_5tupleIJSF_S6_EEENSH_IJSG_SG_EEES6_PlJNSB_9not_fun_tI7is_trueIxEEEEEE10hipError_tPvRmT3_T4_T5_T6_T7_T9_mT8_P12ihipStream_tbDpT10_ENKUlT_T0_E_clISt17integral_constantIbLb0EES18_EEDaS13_S14_EUlS13_E_NS1_11comp_targetILNS1_3genE5ELNS1_11target_archE942ELNS1_3gpuE9ELNS1_3repE0EEENS1_30default_config_static_selectorELNS0_4arch9wavefront6targetE0EEEvT1_.numbered_sgpr, 0
	.set _ZN7rocprim17ROCPRIM_400000_NS6detail17trampoline_kernelINS0_14default_configENS1_25partition_config_selectorILNS1_17partition_subalgoE6ExNS0_10empty_typeEbEEZZNS1_14partition_implILS5_6ELb0ES3_mN6thrust23THRUST_200600_302600_NS6detail15normal_iteratorINSA_10device_ptrIxEEEEPS6_SG_NS0_5tupleIJSF_S6_EEENSH_IJSG_SG_EEES6_PlJNSB_9not_fun_tI7is_trueIxEEEEEE10hipError_tPvRmT3_T4_T5_T6_T7_T9_mT8_P12ihipStream_tbDpT10_ENKUlT_T0_E_clISt17integral_constantIbLb0EES18_EEDaS13_S14_EUlS13_E_NS1_11comp_targetILNS1_3genE5ELNS1_11target_archE942ELNS1_3gpuE9ELNS1_3repE0EEENS1_30default_config_static_selectorELNS0_4arch9wavefront6targetE0EEEvT1_.num_named_barrier, 0
	.set _ZN7rocprim17ROCPRIM_400000_NS6detail17trampoline_kernelINS0_14default_configENS1_25partition_config_selectorILNS1_17partition_subalgoE6ExNS0_10empty_typeEbEEZZNS1_14partition_implILS5_6ELb0ES3_mN6thrust23THRUST_200600_302600_NS6detail15normal_iteratorINSA_10device_ptrIxEEEEPS6_SG_NS0_5tupleIJSF_S6_EEENSH_IJSG_SG_EEES6_PlJNSB_9not_fun_tI7is_trueIxEEEEEE10hipError_tPvRmT3_T4_T5_T6_T7_T9_mT8_P12ihipStream_tbDpT10_ENKUlT_T0_E_clISt17integral_constantIbLb0EES18_EEDaS13_S14_EUlS13_E_NS1_11comp_targetILNS1_3genE5ELNS1_11target_archE942ELNS1_3gpuE9ELNS1_3repE0EEENS1_30default_config_static_selectorELNS0_4arch9wavefront6targetE0EEEvT1_.private_seg_size, 0
	.set _ZN7rocprim17ROCPRIM_400000_NS6detail17trampoline_kernelINS0_14default_configENS1_25partition_config_selectorILNS1_17partition_subalgoE6ExNS0_10empty_typeEbEEZZNS1_14partition_implILS5_6ELb0ES3_mN6thrust23THRUST_200600_302600_NS6detail15normal_iteratorINSA_10device_ptrIxEEEEPS6_SG_NS0_5tupleIJSF_S6_EEENSH_IJSG_SG_EEES6_PlJNSB_9not_fun_tI7is_trueIxEEEEEE10hipError_tPvRmT3_T4_T5_T6_T7_T9_mT8_P12ihipStream_tbDpT10_ENKUlT_T0_E_clISt17integral_constantIbLb0EES18_EEDaS13_S14_EUlS13_E_NS1_11comp_targetILNS1_3genE5ELNS1_11target_archE942ELNS1_3gpuE9ELNS1_3repE0EEENS1_30default_config_static_selectorELNS0_4arch9wavefront6targetE0EEEvT1_.uses_vcc, 0
	.set _ZN7rocprim17ROCPRIM_400000_NS6detail17trampoline_kernelINS0_14default_configENS1_25partition_config_selectorILNS1_17partition_subalgoE6ExNS0_10empty_typeEbEEZZNS1_14partition_implILS5_6ELb0ES3_mN6thrust23THRUST_200600_302600_NS6detail15normal_iteratorINSA_10device_ptrIxEEEEPS6_SG_NS0_5tupleIJSF_S6_EEENSH_IJSG_SG_EEES6_PlJNSB_9not_fun_tI7is_trueIxEEEEEE10hipError_tPvRmT3_T4_T5_T6_T7_T9_mT8_P12ihipStream_tbDpT10_ENKUlT_T0_E_clISt17integral_constantIbLb0EES18_EEDaS13_S14_EUlS13_E_NS1_11comp_targetILNS1_3genE5ELNS1_11target_archE942ELNS1_3gpuE9ELNS1_3repE0EEENS1_30default_config_static_selectorELNS0_4arch9wavefront6targetE0EEEvT1_.uses_flat_scratch, 0
	.set _ZN7rocprim17ROCPRIM_400000_NS6detail17trampoline_kernelINS0_14default_configENS1_25partition_config_selectorILNS1_17partition_subalgoE6ExNS0_10empty_typeEbEEZZNS1_14partition_implILS5_6ELb0ES3_mN6thrust23THRUST_200600_302600_NS6detail15normal_iteratorINSA_10device_ptrIxEEEEPS6_SG_NS0_5tupleIJSF_S6_EEENSH_IJSG_SG_EEES6_PlJNSB_9not_fun_tI7is_trueIxEEEEEE10hipError_tPvRmT3_T4_T5_T6_T7_T9_mT8_P12ihipStream_tbDpT10_ENKUlT_T0_E_clISt17integral_constantIbLb0EES18_EEDaS13_S14_EUlS13_E_NS1_11comp_targetILNS1_3genE5ELNS1_11target_archE942ELNS1_3gpuE9ELNS1_3repE0EEENS1_30default_config_static_selectorELNS0_4arch9wavefront6targetE0EEEvT1_.has_dyn_sized_stack, 0
	.set _ZN7rocprim17ROCPRIM_400000_NS6detail17trampoline_kernelINS0_14default_configENS1_25partition_config_selectorILNS1_17partition_subalgoE6ExNS0_10empty_typeEbEEZZNS1_14partition_implILS5_6ELb0ES3_mN6thrust23THRUST_200600_302600_NS6detail15normal_iteratorINSA_10device_ptrIxEEEEPS6_SG_NS0_5tupleIJSF_S6_EEENSH_IJSG_SG_EEES6_PlJNSB_9not_fun_tI7is_trueIxEEEEEE10hipError_tPvRmT3_T4_T5_T6_T7_T9_mT8_P12ihipStream_tbDpT10_ENKUlT_T0_E_clISt17integral_constantIbLb0EES18_EEDaS13_S14_EUlS13_E_NS1_11comp_targetILNS1_3genE5ELNS1_11target_archE942ELNS1_3gpuE9ELNS1_3repE0EEENS1_30default_config_static_selectorELNS0_4arch9wavefront6targetE0EEEvT1_.has_recursion, 0
	.set _ZN7rocprim17ROCPRIM_400000_NS6detail17trampoline_kernelINS0_14default_configENS1_25partition_config_selectorILNS1_17partition_subalgoE6ExNS0_10empty_typeEbEEZZNS1_14partition_implILS5_6ELb0ES3_mN6thrust23THRUST_200600_302600_NS6detail15normal_iteratorINSA_10device_ptrIxEEEEPS6_SG_NS0_5tupleIJSF_S6_EEENSH_IJSG_SG_EEES6_PlJNSB_9not_fun_tI7is_trueIxEEEEEE10hipError_tPvRmT3_T4_T5_T6_T7_T9_mT8_P12ihipStream_tbDpT10_ENKUlT_T0_E_clISt17integral_constantIbLb0EES18_EEDaS13_S14_EUlS13_E_NS1_11comp_targetILNS1_3genE5ELNS1_11target_archE942ELNS1_3gpuE9ELNS1_3repE0EEENS1_30default_config_static_selectorELNS0_4arch9wavefront6targetE0EEEvT1_.has_indirect_call, 0
	.section	.AMDGPU.csdata,"",@progbits
; Kernel info:
; codeLenInByte = 0
; TotalNumSgprs: 0
; NumVgprs: 0
; ScratchSize: 0
; MemoryBound: 0
; FloatMode: 240
; IeeeMode: 1
; LDSByteSize: 0 bytes/workgroup (compile time only)
; SGPRBlocks: 0
; VGPRBlocks: 0
; NumSGPRsForWavesPerEU: 1
; NumVGPRsForWavesPerEU: 1
; Occupancy: 16
; WaveLimiterHint : 0
; COMPUTE_PGM_RSRC2:SCRATCH_EN: 0
; COMPUTE_PGM_RSRC2:USER_SGPR: 2
; COMPUTE_PGM_RSRC2:TRAP_HANDLER: 0
; COMPUTE_PGM_RSRC2:TGID_X_EN: 1
; COMPUTE_PGM_RSRC2:TGID_Y_EN: 0
; COMPUTE_PGM_RSRC2:TGID_Z_EN: 0
; COMPUTE_PGM_RSRC2:TIDIG_COMP_CNT: 0
	.section	.text._ZN7rocprim17ROCPRIM_400000_NS6detail17trampoline_kernelINS0_14default_configENS1_25partition_config_selectorILNS1_17partition_subalgoE6ExNS0_10empty_typeEbEEZZNS1_14partition_implILS5_6ELb0ES3_mN6thrust23THRUST_200600_302600_NS6detail15normal_iteratorINSA_10device_ptrIxEEEEPS6_SG_NS0_5tupleIJSF_S6_EEENSH_IJSG_SG_EEES6_PlJNSB_9not_fun_tI7is_trueIxEEEEEE10hipError_tPvRmT3_T4_T5_T6_T7_T9_mT8_P12ihipStream_tbDpT10_ENKUlT_T0_E_clISt17integral_constantIbLb0EES18_EEDaS13_S14_EUlS13_E_NS1_11comp_targetILNS1_3genE4ELNS1_11target_archE910ELNS1_3gpuE8ELNS1_3repE0EEENS1_30default_config_static_selectorELNS0_4arch9wavefront6targetE0EEEvT1_,"axG",@progbits,_ZN7rocprim17ROCPRIM_400000_NS6detail17trampoline_kernelINS0_14default_configENS1_25partition_config_selectorILNS1_17partition_subalgoE6ExNS0_10empty_typeEbEEZZNS1_14partition_implILS5_6ELb0ES3_mN6thrust23THRUST_200600_302600_NS6detail15normal_iteratorINSA_10device_ptrIxEEEEPS6_SG_NS0_5tupleIJSF_S6_EEENSH_IJSG_SG_EEES6_PlJNSB_9not_fun_tI7is_trueIxEEEEEE10hipError_tPvRmT3_T4_T5_T6_T7_T9_mT8_P12ihipStream_tbDpT10_ENKUlT_T0_E_clISt17integral_constantIbLb0EES18_EEDaS13_S14_EUlS13_E_NS1_11comp_targetILNS1_3genE4ELNS1_11target_archE910ELNS1_3gpuE8ELNS1_3repE0EEENS1_30default_config_static_selectorELNS0_4arch9wavefront6targetE0EEEvT1_,comdat
	.protected	_ZN7rocprim17ROCPRIM_400000_NS6detail17trampoline_kernelINS0_14default_configENS1_25partition_config_selectorILNS1_17partition_subalgoE6ExNS0_10empty_typeEbEEZZNS1_14partition_implILS5_6ELb0ES3_mN6thrust23THRUST_200600_302600_NS6detail15normal_iteratorINSA_10device_ptrIxEEEEPS6_SG_NS0_5tupleIJSF_S6_EEENSH_IJSG_SG_EEES6_PlJNSB_9not_fun_tI7is_trueIxEEEEEE10hipError_tPvRmT3_T4_T5_T6_T7_T9_mT8_P12ihipStream_tbDpT10_ENKUlT_T0_E_clISt17integral_constantIbLb0EES18_EEDaS13_S14_EUlS13_E_NS1_11comp_targetILNS1_3genE4ELNS1_11target_archE910ELNS1_3gpuE8ELNS1_3repE0EEENS1_30default_config_static_selectorELNS0_4arch9wavefront6targetE0EEEvT1_ ; -- Begin function _ZN7rocprim17ROCPRIM_400000_NS6detail17trampoline_kernelINS0_14default_configENS1_25partition_config_selectorILNS1_17partition_subalgoE6ExNS0_10empty_typeEbEEZZNS1_14partition_implILS5_6ELb0ES3_mN6thrust23THRUST_200600_302600_NS6detail15normal_iteratorINSA_10device_ptrIxEEEEPS6_SG_NS0_5tupleIJSF_S6_EEENSH_IJSG_SG_EEES6_PlJNSB_9not_fun_tI7is_trueIxEEEEEE10hipError_tPvRmT3_T4_T5_T6_T7_T9_mT8_P12ihipStream_tbDpT10_ENKUlT_T0_E_clISt17integral_constantIbLb0EES18_EEDaS13_S14_EUlS13_E_NS1_11comp_targetILNS1_3genE4ELNS1_11target_archE910ELNS1_3gpuE8ELNS1_3repE0EEENS1_30default_config_static_selectorELNS0_4arch9wavefront6targetE0EEEvT1_
	.globl	_ZN7rocprim17ROCPRIM_400000_NS6detail17trampoline_kernelINS0_14default_configENS1_25partition_config_selectorILNS1_17partition_subalgoE6ExNS0_10empty_typeEbEEZZNS1_14partition_implILS5_6ELb0ES3_mN6thrust23THRUST_200600_302600_NS6detail15normal_iteratorINSA_10device_ptrIxEEEEPS6_SG_NS0_5tupleIJSF_S6_EEENSH_IJSG_SG_EEES6_PlJNSB_9not_fun_tI7is_trueIxEEEEEE10hipError_tPvRmT3_T4_T5_T6_T7_T9_mT8_P12ihipStream_tbDpT10_ENKUlT_T0_E_clISt17integral_constantIbLb0EES18_EEDaS13_S14_EUlS13_E_NS1_11comp_targetILNS1_3genE4ELNS1_11target_archE910ELNS1_3gpuE8ELNS1_3repE0EEENS1_30default_config_static_selectorELNS0_4arch9wavefront6targetE0EEEvT1_
	.p2align	8
	.type	_ZN7rocprim17ROCPRIM_400000_NS6detail17trampoline_kernelINS0_14default_configENS1_25partition_config_selectorILNS1_17partition_subalgoE6ExNS0_10empty_typeEbEEZZNS1_14partition_implILS5_6ELb0ES3_mN6thrust23THRUST_200600_302600_NS6detail15normal_iteratorINSA_10device_ptrIxEEEEPS6_SG_NS0_5tupleIJSF_S6_EEENSH_IJSG_SG_EEES6_PlJNSB_9not_fun_tI7is_trueIxEEEEEE10hipError_tPvRmT3_T4_T5_T6_T7_T9_mT8_P12ihipStream_tbDpT10_ENKUlT_T0_E_clISt17integral_constantIbLb0EES18_EEDaS13_S14_EUlS13_E_NS1_11comp_targetILNS1_3genE4ELNS1_11target_archE910ELNS1_3gpuE8ELNS1_3repE0EEENS1_30default_config_static_selectorELNS0_4arch9wavefront6targetE0EEEvT1_,@function
_ZN7rocprim17ROCPRIM_400000_NS6detail17trampoline_kernelINS0_14default_configENS1_25partition_config_selectorILNS1_17partition_subalgoE6ExNS0_10empty_typeEbEEZZNS1_14partition_implILS5_6ELb0ES3_mN6thrust23THRUST_200600_302600_NS6detail15normal_iteratorINSA_10device_ptrIxEEEEPS6_SG_NS0_5tupleIJSF_S6_EEENSH_IJSG_SG_EEES6_PlJNSB_9not_fun_tI7is_trueIxEEEEEE10hipError_tPvRmT3_T4_T5_T6_T7_T9_mT8_P12ihipStream_tbDpT10_ENKUlT_T0_E_clISt17integral_constantIbLb0EES18_EEDaS13_S14_EUlS13_E_NS1_11comp_targetILNS1_3genE4ELNS1_11target_archE910ELNS1_3gpuE8ELNS1_3repE0EEENS1_30default_config_static_selectorELNS0_4arch9wavefront6targetE0EEEvT1_: ; @_ZN7rocprim17ROCPRIM_400000_NS6detail17trampoline_kernelINS0_14default_configENS1_25partition_config_selectorILNS1_17partition_subalgoE6ExNS0_10empty_typeEbEEZZNS1_14partition_implILS5_6ELb0ES3_mN6thrust23THRUST_200600_302600_NS6detail15normal_iteratorINSA_10device_ptrIxEEEEPS6_SG_NS0_5tupleIJSF_S6_EEENSH_IJSG_SG_EEES6_PlJNSB_9not_fun_tI7is_trueIxEEEEEE10hipError_tPvRmT3_T4_T5_T6_T7_T9_mT8_P12ihipStream_tbDpT10_ENKUlT_T0_E_clISt17integral_constantIbLb0EES18_EEDaS13_S14_EUlS13_E_NS1_11comp_targetILNS1_3genE4ELNS1_11target_archE910ELNS1_3gpuE8ELNS1_3repE0EEENS1_30default_config_static_selectorELNS0_4arch9wavefront6targetE0EEEvT1_
; %bb.0:
	.section	.rodata,"a",@progbits
	.p2align	6, 0x0
	.amdhsa_kernel _ZN7rocprim17ROCPRIM_400000_NS6detail17trampoline_kernelINS0_14default_configENS1_25partition_config_selectorILNS1_17partition_subalgoE6ExNS0_10empty_typeEbEEZZNS1_14partition_implILS5_6ELb0ES3_mN6thrust23THRUST_200600_302600_NS6detail15normal_iteratorINSA_10device_ptrIxEEEEPS6_SG_NS0_5tupleIJSF_S6_EEENSH_IJSG_SG_EEES6_PlJNSB_9not_fun_tI7is_trueIxEEEEEE10hipError_tPvRmT3_T4_T5_T6_T7_T9_mT8_P12ihipStream_tbDpT10_ENKUlT_T0_E_clISt17integral_constantIbLb0EES18_EEDaS13_S14_EUlS13_E_NS1_11comp_targetILNS1_3genE4ELNS1_11target_archE910ELNS1_3gpuE8ELNS1_3repE0EEENS1_30default_config_static_selectorELNS0_4arch9wavefront6targetE0EEEvT1_
		.amdhsa_group_segment_fixed_size 0
		.amdhsa_private_segment_fixed_size 0
		.amdhsa_kernarg_size 112
		.amdhsa_user_sgpr_count 2
		.amdhsa_user_sgpr_dispatch_ptr 0
		.amdhsa_user_sgpr_queue_ptr 0
		.amdhsa_user_sgpr_kernarg_segment_ptr 1
		.amdhsa_user_sgpr_dispatch_id 0
		.amdhsa_user_sgpr_private_segment_size 0
		.amdhsa_wavefront_size32 1
		.amdhsa_uses_dynamic_stack 0
		.amdhsa_enable_private_segment 0
		.amdhsa_system_sgpr_workgroup_id_x 1
		.amdhsa_system_sgpr_workgroup_id_y 0
		.amdhsa_system_sgpr_workgroup_id_z 0
		.amdhsa_system_sgpr_workgroup_info 0
		.amdhsa_system_vgpr_workitem_id 0
		.amdhsa_next_free_vgpr 1
		.amdhsa_next_free_sgpr 1
		.amdhsa_reserve_vcc 0
		.amdhsa_float_round_mode_32 0
		.amdhsa_float_round_mode_16_64 0
		.amdhsa_float_denorm_mode_32 3
		.amdhsa_float_denorm_mode_16_64 3
		.amdhsa_fp16_overflow 0
		.amdhsa_workgroup_processor_mode 1
		.amdhsa_memory_ordered 1
		.amdhsa_forward_progress 1
		.amdhsa_inst_pref_size 0
		.amdhsa_round_robin_scheduling 0
		.amdhsa_exception_fp_ieee_invalid_op 0
		.amdhsa_exception_fp_denorm_src 0
		.amdhsa_exception_fp_ieee_div_zero 0
		.amdhsa_exception_fp_ieee_overflow 0
		.amdhsa_exception_fp_ieee_underflow 0
		.amdhsa_exception_fp_ieee_inexact 0
		.amdhsa_exception_int_div_zero 0
	.end_amdhsa_kernel
	.section	.text._ZN7rocprim17ROCPRIM_400000_NS6detail17trampoline_kernelINS0_14default_configENS1_25partition_config_selectorILNS1_17partition_subalgoE6ExNS0_10empty_typeEbEEZZNS1_14partition_implILS5_6ELb0ES3_mN6thrust23THRUST_200600_302600_NS6detail15normal_iteratorINSA_10device_ptrIxEEEEPS6_SG_NS0_5tupleIJSF_S6_EEENSH_IJSG_SG_EEES6_PlJNSB_9not_fun_tI7is_trueIxEEEEEE10hipError_tPvRmT3_T4_T5_T6_T7_T9_mT8_P12ihipStream_tbDpT10_ENKUlT_T0_E_clISt17integral_constantIbLb0EES18_EEDaS13_S14_EUlS13_E_NS1_11comp_targetILNS1_3genE4ELNS1_11target_archE910ELNS1_3gpuE8ELNS1_3repE0EEENS1_30default_config_static_selectorELNS0_4arch9wavefront6targetE0EEEvT1_,"axG",@progbits,_ZN7rocprim17ROCPRIM_400000_NS6detail17trampoline_kernelINS0_14default_configENS1_25partition_config_selectorILNS1_17partition_subalgoE6ExNS0_10empty_typeEbEEZZNS1_14partition_implILS5_6ELb0ES3_mN6thrust23THRUST_200600_302600_NS6detail15normal_iteratorINSA_10device_ptrIxEEEEPS6_SG_NS0_5tupleIJSF_S6_EEENSH_IJSG_SG_EEES6_PlJNSB_9not_fun_tI7is_trueIxEEEEEE10hipError_tPvRmT3_T4_T5_T6_T7_T9_mT8_P12ihipStream_tbDpT10_ENKUlT_T0_E_clISt17integral_constantIbLb0EES18_EEDaS13_S14_EUlS13_E_NS1_11comp_targetILNS1_3genE4ELNS1_11target_archE910ELNS1_3gpuE8ELNS1_3repE0EEENS1_30default_config_static_selectorELNS0_4arch9wavefront6targetE0EEEvT1_,comdat
.Lfunc_end1207:
	.size	_ZN7rocprim17ROCPRIM_400000_NS6detail17trampoline_kernelINS0_14default_configENS1_25partition_config_selectorILNS1_17partition_subalgoE6ExNS0_10empty_typeEbEEZZNS1_14partition_implILS5_6ELb0ES3_mN6thrust23THRUST_200600_302600_NS6detail15normal_iteratorINSA_10device_ptrIxEEEEPS6_SG_NS0_5tupleIJSF_S6_EEENSH_IJSG_SG_EEES6_PlJNSB_9not_fun_tI7is_trueIxEEEEEE10hipError_tPvRmT3_T4_T5_T6_T7_T9_mT8_P12ihipStream_tbDpT10_ENKUlT_T0_E_clISt17integral_constantIbLb0EES18_EEDaS13_S14_EUlS13_E_NS1_11comp_targetILNS1_3genE4ELNS1_11target_archE910ELNS1_3gpuE8ELNS1_3repE0EEENS1_30default_config_static_selectorELNS0_4arch9wavefront6targetE0EEEvT1_, .Lfunc_end1207-_ZN7rocprim17ROCPRIM_400000_NS6detail17trampoline_kernelINS0_14default_configENS1_25partition_config_selectorILNS1_17partition_subalgoE6ExNS0_10empty_typeEbEEZZNS1_14partition_implILS5_6ELb0ES3_mN6thrust23THRUST_200600_302600_NS6detail15normal_iteratorINSA_10device_ptrIxEEEEPS6_SG_NS0_5tupleIJSF_S6_EEENSH_IJSG_SG_EEES6_PlJNSB_9not_fun_tI7is_trueIxEEEEEE10hipError_tPvRmT3_T4_T5_T6_T7_T9_mT8_P12ihipStream_tbDpT10_ENKUlT_T0_E_clISt17integral_constantIbLb0EES18_EEDaS13_S14_EUlS13_E_NS1_11comp_targetILNS1_3genE4ELNS1_11target_archE910ELNS1_3gpuE8ELNS1_3repE0EEENS1_30default_config_static_selectorELNS0_4arch9wavefront6targetE0EEEvT1_
                                        ; -- End function
	.set _ZN7rocprim17ROCPRIM_400000_NS6detail17trampoline_kernelINS0_14default_configENS1_25partition_config_selectorILNS1_17partition_subalgoE6ExNS0_10empty_typeEbEEZZNS1_14partition_implILS5_6ELb0ES3_mN6thrust23THRUST_200600_302600_NS6detail15normal_iteratorINSA_10device_ptrIxEEEEPS6_SG_NS0_5tupleIJSF_S6_EEENSH_IJSG_SG_EEES6_PlJNSB_9not_fun_tI7is_trueIxEEEEEE10hipError_tPvRmT3_T4_T5_T6_T7_T9_mT8_P12ihipStream_tbDpT10_ENKUlT_T0_E_clISt17integral_constantIbLb0EES18_EEDaS13_S14_EUlS13_E_NS1_11comp_targetILNS1_3genE4ELNS1_11target_archE910ELNS1_3gpuE8ELNS1_3repE0EEENS1_30default_config_static_selectorELNS0_4arch9wavefront6targetE0EEEvT1_.num_vgpr, 0
	.set _ZN7rocprim17ROCPRIM_400000_NS6detail17trampoline_kernelINS0_14default_configENS1_25partition_config_selectorILNS1_17partition_subalgoE6ExNS0_10empty_typeEbEEZZNS1_14partition_implILS5_6ELb0ES3_mN6thrust23THRUST_200600_302600_NS6detail15normal_iteratorINSA_10device_ptrIxEEEEPS6_SG_NS0_5tupleIJSF_S6_EEENSH_IJSG_SG_EEES6_PlJNSB_9not_fun_tI7is_trueIxEEEEEE10hipError_tPvRmT3_T4_T5_T6_T7_T9_mT8_P12ihipStream_tbDpT10_ENKUlT_T0_E_clISt17integral_constantIbLb0EES18_EEDaS13_S14_EUlS13_E_NS1_11comp_targetILNS1_3genE4ELNS1_11target_archE910ELNS1_3gpuE8ELNS1_3repE0EEENS1_30default_config_static_selectorELNS0_4arch9wavefront6targetE0EEEvT1_.num_agpr, 0
	.set _ZN7rocprim17ROCPRIM_400000_NS6detail17trampoline_kernelINS0_14default_configENS1_25partition_config_selectorILNS1_17partition_subalgoE6ExNS0_10empty_typeEbEEZZNS1_14partition_implILS5_6ELb0ES3_mN6thrust23THRUST_200600_302600_NS6detail15normal_iteratorINSA_10device_ptrIxEEEEPS6_SG_NS0_5tupleIJSF_S6_EEENSH_IJSG_SG_EEES6_PlJNSB_9not_fun_tI7is_trueIxEEEEEE10hipError_tPvRmT3_T4_T5_T6_T7_T9_mT8_P12ihipStream_tbDpT10_ENKUlT_T0_E_clISt17integral_constantIbLb0EES18_EEDaS13_S14_EUlS13_E_NS1_11comp_targetILNS1_3genE4ELNS1_11target_archE910ELNS1_3gpuE8ELNS1_3repE0EEENS1_30default_config_static_selectorELNS0_4arch9wavefront6targetE0EEEvT1_.numbered_sgpr, 0
	.set _ZN7rocprim17ROCPRIM_400000_NS6detail17trampoline_kernelINS0_14default_configENS1_25partition_config_selectorILNS1_17partition_subalgoE6ExNS0_10empty_typeEbEEZZNS1_14partition_implILS5_6ELb0ES3_mN6thrust23THRUST_200600_302600_NS6detail15normal_iteratorINSA_10device_ptrIxEEEEPS6_SG_NS0_5tupleIJSF_S6_EEENSH_IJSG_SG_EEES6_PlJNSB_9not_fun_tI7is_trueIxEEEEEE10hipError_tPvRmT3_T4_T5_T6_T7_T9_mT8_P12ihipStream_tbDpT10_ENKUlT_T0_E_clISt17integral_constantIbLb0EES18_EEDaS13_S14_EUlS13_E_NS1_11comp_targetILNS1_3genE4ELNS1_11target_archE910ELNS1_3gpuE8ELNS1_3repE0EEENS1_30default_config_static_selectorELNS0_4arch9wavefront6targetE0EEEvT1_.num_named_barrier, 0
	.set _ZN7rocprim17ROCPRIM_400000_NS6detail17trampoline_kernelINS0_14default_configENS1_25partition_config_selectorILNS1_17partition_subalgoE6ExNS0_10empty_typeEbEEZZNS1_14partition_implILS5_6ELb0ES3_mN6thrust23THRUST_200600_302600_NS6detail15normal_iteratorINSA_10device_ptrIxEEEEPS6_SG_NS0_5tupleIJSF_S6_EEENSH_IJSG_SG_EEES6_PlJNSB_9not_fun_tI7is_trueIxEEEEEE10hipError_tPvRmT3_T4_T5_T6_T7_T9_mT8_P12ihipStream_tbDpT10_ENKUlT_T0_E_clISt17integral_constantIbLb0EES18_EEDaS13_S14_EUlS13_E_NS1_11comp_targetILNS1_3genE4ELNS1_11target_archE910ELNS1_3gpuE8ELNS1_3repE0EEENS1_30default_config_static_selectorELNS0_4arch9wavefront6targetE0EEEvT1_.private_seg_size, 0
	.set _ZN7rocprim17ROCPRIM_400000_NS6detail17trampoline_kernelINS0_14default_configENS1_25partition_config_selectorILNS1_17partition_subalgoE6ExNS0_10empty_typeEbEEZZNS1_14partition_implILS5_6ELb0ES3_mN6thrust23THRUST_200600_302600_NS6detail15normal_iteratorINSA_10device_ptrIxEEEEPS6_SG_NS0_5tupleIJSF_S6_EEENSH_IJSG_SG_EEES6_PlJNSB_9not_fun_tI7is_trueIxEEEEEE10hipError_tPvRmT3_T4_T5_T6_T7_T9_mT8_P12ihipStream_tbDpT10_ENKUlT_T0_E_clISt17integral_constantIbLb0EES18_EEDaS13_S14_EUlS13_E_NS1_11comp_targetILNS1_3genE4ELNS1_11target_archE910ELNS1_3gpuE8ELNS1_3repE0EEENS1_30default_config_static_selectorELNS0_4arch9wavefront6targetE0EEEvT1_.uses_vcc, 0
	.set _ZN7rocprim17ROCPRIM_400000_NS6detail17trampoline_kernelINS0_14default_configENS1_25partition_config_selectorILNS1_17partition_subalgoE6ExNS0_10empty_typeEbEEZZNS1_14partition_implILS5_6ELb0ES3_mN6thrust23THRUST_200600_302600_NS6detail15normal_iteratorINSA_10device_ptrIxEEEEPS6_SG_NS0_5tupleIJSF_S6_EEENSH_IJSG_SG_EEES6_PlJNSB_9not_fun_tI7is_trueIxEEEEEE10hipError_tPvRmT3_T4_T5_T6_T7_T9_mT8_P12ihipStream_tbDpT10_ENKUlT_T0_E_clISt17integral_constantIbLb0EES18_EEDaS13_S14_EUlS13_E_NS1_11comp_targetILNS1_3genE4ELNS1_11target_archE910ELNS1_3gpuE8ELNS1_3repE0EEENS1_30default_config_static_selectorELNS0_4arch9wavefront6targetE0EEEvT1_.uses_flat_scratch, 0
	.set _ZN7rocprim17ROCPRIM_400000_NS6detail17trampoline_kernelINS0_14default_configENS1_25partition_config_selectorILNS1_17partition_subalgoE6ExNS0_10empty_typeEbEEZZNS1_14partition_implILS5_6ELb0ES3_mN6thrust23THRUST_200600_302600_NS6detail15normal_iteratorINSA_10device_ptrIxEEEEPS6_SG_NS0_5tupleIJSF_S6_EEENSH_IJSG_SG_EEES6_PlJNSB_9not_fun_tI7is_trueIxEEEEEE10hipError_tPvRmT3_T4_T5_T6_T7_T9_mT8_P12ihipStream_tbDpT10_ENKUlT_T0_E_clISt17integral_constantIbLb0EES18_EEDaS13_S14_EUlS13_E_NS1_11comp_targetILNS1_3genE4ELNS1_11target_archE910ELNS1_3gpuE8ELNS1_3repE0EEENS1_30default_config_static_selectorELNS0_4arch9wavefront6targetE0EEEvT1_.has_dyn_sized_stack, 0
	.set _ZN7rocprim17ROCPRIM_400000_NS6detail17trampoline_kernelINS0_14default_configENS1_25partition_config_selectorILNS1_17partition_subalgoE6ExNS0_10empty_typeEbEEZZNS1_14partition_implILS5_6ELb0ES3_mN6thrust23THRUST_200600_302600_NS6detail15normal_iteratorINSA_10device_ptrIxEEEEPS6_SG_NS0_5tupleIJSF_S6_EEENSH_IJSG_SG_EEES6_PlJNSB_9not_fun_tI7is_trueIxEEEEEE10hipError_tPvRmT3_T4_T5_T6_T7_T9_mT8_P12ihipStream_tbDpT10_ENKUlT_T0_E_clISt17integral_constantIbLb0EES18_EEDaS13_S14_EUlS13_E_NS1_11comp_targetILNS1_3genE4ELNS1_11target_archE910ELNS1_3gpuE8ELNS1_3repE0EEENS1_30default_config_static_selectorELNS0_4arch9wavefront6targetE0EEEvT1_.has_recursion, 0
	.set _ZN7rocprim17ROCPRIM_400000_NS6detail17trampoline_kernelINS0_14default_configENS1_25partition_config_selectorILNS1_17partition_subalgoE6ExNS0_10empty_typeEbEEZZNS1_14partition_implILS5_6ELb0ES3_mN6thrust23THRUST_200600_302600_NS6detail15normal_iteratorINSA_10device_ptrIxEEEEPS6_SG_NS0_5tupleIJSF_S6_EEENSH_IJSG_SG_EEES6_PlJNSB_9not_fun_tI7is_trueIxEEEEEE10hipError_tPvRmT3_T4_T5_T6_T7_T9_mT8_P12ihipStream_tbDpT10_ENKUlT_T0_E_clISt17integral_constantIbLb0EES18_EEDaS13_S14_EUlS13_E_NS1_11comp_targetILNS1_3genE4ELNS1_11target_archE910ELNS1_3gpuE8ELNS1_3repE0EEENS1_30default_config_static_selectorELNS0_4arch9wavefront6targetE0EEEvT1_.has_indirect_call, 0
	.section	.AMDGPU.csdata,"",@progbits
; Kernel info:
; codeLenInByte = 0
; TotalNumSgprs: 0
; NumVgprs: 0
; ScratchSize: 0
; MemoryBound: 0
; FloatMode: 240
; IeeeMode: 1
; LDSByteSize: 0 bytes/workgroup (compile time only)
; SGPRBlocks: 0
; VGPRBlocks: 0
; NumSGPRsForWavesPerEU: 1
; NumVGPRsForWavesPerEU: 1
; Occupancy: 16
; WaveLimiterHint : 0
; COMPUTE_PGM_RSRC2:SCRATCH_EN: 0
; COMPUTE_PGM_RSRC2:USER_SGPR: 2
; COMPUTE_PGM_RSRC2:TRAP_HANDLER: 0
; COMPUTE_PGM_RSRC2:TGID_X_EN: 1
; COMPUTE_PGM_RSRC2:TGID_Y_EN: 0
; COMPUTE_PGM_RSRC2:TGID_Z_EN: 0
; COMPUTE_PGM_RSRC2:TIDIG_COMP_CNT: 0
	.section	.text._ZN7rocprim17ROCPRIM_400000_NS6detail17trampoline_kernelINS0_14default_configENS1_25partition_config_selectorILNS1_17partition_subalgoE6ExNS0_10empty_typeEbEEZZNS1_14partition_implILS5_6ELb0ES3_mN6thrust23THRUST_200600_302600_NS6detail15normal_iteratorINSA_10device_ptrIxEEEEPS6_SG_NS0_5tupleIJSF_S6_EEENSH_IJSG_SG_EEES6_PlJNSB_9not_fun_tI7is_trueIxEEEEEE10hipError_tPvRmT3_T4_T5_T6_T7_T9_mT8_P12ihipStream_tbDpT10_ENKUlT_T0_E_clISt17integral_constantIbLb0EES18_EEDaS13_S14_EUlS13_E_NS1_11comp_targetILNS1_3genE3ELNS1_11target_archE908ELNS1_3gpuE7ELNS1_3repE0EEENS1_30default_config_static_selectorELNS0_4arch9wavefront6targetE0EEEvT1_,"axG",@progbits,_ZN7rocprim17ROCPRIM_400000_NS6detail17trampoline_kernelINS0_14default_configENS1_25partition_config_selectorILNS1_17partition_subalgoE6ExNS0_10empty_typeEbEEZZNS1_14partition_implILS5_6ELb0ES3_mN6thrust23THRUST_200600_302600_NS6detail15normal_iteratorINSA_10device_ptrIxEEEEPS6_SG_NS0_5tupleIJSF_S6_EEENSH_IJSG_SG_EEES6_PlJNSB_9not_fun_tI7is_trueIxEEEEEE10hipError_tPvRmT3_T4_T5_T6_T7_T9_mT8_P12ihipStream_tbDpT10_ENKUlT_T0_E_clISt17integral_constantIbLb0EES18_EEDaS13_S14_EUlS13_E_NS1_11comp_targetILNS1_3genE3ELNS1_11target_archE908ELNS1_3gpuE7ELNS1_3repE0EEENS1_30default_config_static_selectorELNS0_4arch9wavefront6targetE0EEEvT1_,comdat
	.protected	_ZN7rocprim17ROCPRIM_400000_NS6detail17trampoline_kernelINS0_14default_configENS1_25partition_config_selectorILNS1_17partition_subalgoE6ExNS0_10empty_typeEbEEZZNS1_14partition_implILS5_6ELb0ES3_mN6thrust23THRUST_200600_302600_NS6detail15normal_iteratorINSA_10device_ptrIxEEEEPS6_SG_NS0_5tupleIJSF_S6_EEENSH_IJSG_SG_EEES6_PlJNSB_9not_fun_tI7is_trueIxEEEEEE10hipError_tPvRmT3_T4_T5_T6_T7_T9_mT8_P12ihipStream_tbDpT10_ENKUlT_T0_E_clISt17integral_constantIbLb0EES18_EEDaS13_S14_EUlS13_E_NS1_11comp_targetILNS1_3genE3ELNS1_11target_archE908ELNS1_3gpuE7ELNS1_3repE0EEENS1_30default_config_static_selectorELNS0_4arch9wavefront6targetE0EEEvT1_ ; -- Begin function _ZN7rocprim17ROCPRIM_400000_NS6detail17trampoline_kernelINS0_14default_configENS1_25partition_config_selectorILNS1_17partition_subalgoE6ExNS0_10empty_typeEbEEZZNS1_14partition_implILS5_6ELb0ES3_mN6thrust23THRUST_200600_302600_NS6detail15normal_iteratorINSA_10device_ptrIxEEEEPS6_SG_NS0_5tupleIJSF_S6_EEENSH_IJSG_SG_EEES6_PlJNSB_9not_fun_tI7is_trueIxEEEEEE10hipError_tPvRmT3_T4_T5_T6_T7_T9_mT8_P12ihipStream_tbDpT10_ENKUlT_T0_E_clISt17integral_constantIbLb0EES18_EEDaS13_S14_EUlS13_E_NS1_11comp_targetILNS1_3genE3ELNS1_11target_archE908ELNS1_3gpuE7ELNS1_3repE0EEENS1_30default_config_static_selectorELNS0_4arch9wavefront6targetE0EEEvT1_
	.globl	_ZN7rocprim17ROCPRIM_400000_NS6detail17trampoline_kernelINS0_14default_configENS1_25partition_config_selectorILNS1_17partition_subalgoE6ExNS0_10empty_typeEbEEZZNS1_14partition_implILS5_6ELb0ES3_mN6thrust23THRUST_200600_302600_NS6detail15normal_iteratorINSA_10device_ptrIxEEEEPS6_SG_NS0_5tupleIJSF_S6_EEENSH_IJSG_SG_EEES6_PlJNSB_9not_fun_tI7is_trueIxEEEEEE10hipError_tPvRmT3_T4_T5_T6_T7_T9_mT8_P12ihipStream_tbDpT10_ENKUlT_T0_E_clISt17integral_constantIbLb0EES18_EEDaS13_S14_EUlS13_E_NS1_11comp_targetILNS1_3genE3ELNS1_11target_archE908ELNS1_3gpuE7ELNS1_3repE0EEENS1_30default_config_static_selectorELNS0_4arch9wavefront6targetE0EEEvT1_
	.p2align	8
	.type	_ZN7rocprim17ROCPRIM_400000_NS6detail17trampoline_kernelINS0_14default_configENS1_25partition_config_selectorILNS1_17partition_subalgoE6ExNS0_10empty_typeEbEEZZNS1_14partition_implILS5_6ELb0ES3_mN6thrust23THRUST_200600_302600_NS6detail15normal_iteratorINSA_10device_ptrIxEEEEPS6_SG_NS0_5tupleIJSF_S6_EEENSH_IJSG_SG_EEES6_PlJNSB_9not_fun_tI7is_trueIxEEEEEE10hipError_tPvRmT3_T4_T5_T6_T7_T9_mT8_P12ihipStream_tbDpT10_ENKUlT_T0_E_clISt17integral_constantIbLb0EES18_EEDaS13_S14_EUlS13_E_NS1_11comp_targetILNS1_3genE3ELNS1_11target_archE908ELNS1_3gpuE7ELNS1_3repE0EEENS1_30default_config_static_selectorELNS0_4arch9wavefront6targetE0EEEvT1_,@function
_ZN7rocprim17ROCPRIM_400000_NS6detail17trampoline_kernelINS0_14default_configENS1_25partition_config_selectorILNS1_17partition_subalgoE6ExNS0_10empty_typeEbEEZZNS1_14partition_implILS5_6ELb0ES3_mN6thrust23THRUST_200600_302600_NS6detail15normal_iteratorINSA_10device_ptrIxEEEEPS6_SG_NS0_5tupleIJSF_S6_EEENSH_IJSG_SG_EEES6_PlJNSB_9not_fun_tI7is_trueIxEEEEEE10hipError_tPvRmT3_T4_T5_T6_T7_T9_mT8_P12ihipStream_tbDpT10_ENKUlT_T0_E_clISt17integral_constantIbLb0EES18_EEDaS13_S14_EUlS13_E_NS1_11comp_targetILNS1_3genE3ELNS1_11target_archE908ELNS1_3gpuE7ELNS1_3repE0EEENS1_30default_config_static_selectorELNS0_4arch9wavefront6targetE0EEEvT1_: ; @_ZN7rocprim17ROCPRIM_400000_NS6detail17trampoline_kernelINS0_14default_configENS1_25partition_config_selectorILNS1_17partition_subalgoE6ExNS0_10empty_typeEbEEZZNS1_14partition_implILS5_6ELb0ES3_mN6thrust23THRUST_200600_302600_NS6detail15normal_iteratorINSA_10device_ptrIxEEEEPS6_SG_NS0_5tupleIJSF_S6_EEENSH_IJSG_SG_EEES6_PlJNSB_9not_fun_tI7is_trueIxEEEEEE10hipError_tPvRmT3_T4_T5_T6_T7_T9_mT8_P12ihipStream_tbDpT10_ENKUlT_T0_E_clISt17integral_constantIbLb0EES18_EEDaS13_S14_EUlS13_E_NS1_11comp_targetILNS1_3genE3ELNS1_11target_archE908ELNS1_3gpuE7ELNS1_3repE0EEENS1_30default_config_static_selectorELNS0_4arch9wavefront6targetE0EEEvT1_
; %bb.0:
	.section	.rodata,"a",@progbits
	.p2align	6, 0x0
	.amdhsa_kernel _ZN7rocprim17ROCPRIM_400000_NS6detail17trampoline_kernelINS0_14default_configENS1_25partition_config_selectorILNS1_17partition_subalgoE6ExNS0_10empty_typeEbEEZZNS1_14partition_implILS5_6ELb0ES3_mN6thrust23THRUST_200600_302600_NS6detail15normal_iteratorINSA_10device_ptrIxEEEEPS6_SG_NS0_5tupleIJSF_S6_EEENSH_IJSG_SG_EEES6_PlJNSB_9not_fun_tI7is_trueIxEEEEEE10hipError_tPvRmT3_T4_T5_T6_T7_T9_mT8_P12ihipStream_tbDpT10_ENKUlT_T0_E_clISt17integral_constantIbLb0EES18_EEDaS13_S14_EUlS13_E_NS1_11comp_targetILNS1_3genE3ELNS1_11target_archE908ELNS1_3gpuE7ELNS1_3repE0EEENS1_30default_config_static_selectorELNS0_4arch9wavefront6targetE0EEEvT1_
		.amdhsa_group_segment_fixed_size 0
		.amdhsa_private_segment_fixed_size 0
		.amdhsa_kernarg_size 112
		.amdhsa_user_sgpr_count 2
		.amdhsa_user_sgpr_dispatch_ptr 0
		.amdhsa_user_sgpr_queue_ptr 0
		.amdhsa_user_sgpr_kernarg_segment_ptr 1
		.amdhsa_user_sgpr_dispatch_id 0
		.amdhsa_user_sgpr_private_segment_size 0
		.amdhsa_wavefront_size32 1
		.amdhsa_uses_dynamic_stack 0
		.amdhsa_enable_private_segment 0
		.amdhsa_system_sgpr_workgroup_id_x 1
		.amdhsa_system_sgpr_workgroup_id_y 0
		.amdhsa_system_sgpr_workgroup_id_z 0
		.amdhsa_system_sgpr_workgroup_info 0
		.amdhsa_system_vgpr_workitem_id 0
		.amdhsa_next_free_vgpr 1
		.amdhsa_next_free_sgpr 1
		.amdhsa_reserve_vcc 0
		.amdhsa_float_round_mode_32 0
		.amdhsa_float_round_mode_16_64 0
		.amdhsa_float_denorm_mode_32 3
		.amdhsa_float_denorm_mode_16_64 3
		.amdhsa_fp16_overflow 0
		.amdhsa_workgroup_processor_mode 1
		.amdhsa_memory_ordered 1
		.amdhsa_forward_progress 1
		.amdhsa_inst_pref_size 0
		.amdhsa_round_robin_scheduling 0
		.amdhsa_exception_fp_ieee_invalid_op 0
		.amdhsa_exception_fp_denorm_src 0
		.amdhsa_exception_fp_ieee_div_zero 0
		.amdhsa_exception_fp_ieee_overflow 0
		.amdhsa_exception_fp_ieee_underflow 0
		.amdhsa_exception_fp_ieee_inexact 0
		.amdhsa_exception_int_div_zero 0
	.end_amdhsa_kernel
	.section	.text._ZN7rocprim17ROCPRIM_400000_NS6detail17trampoline_kernelINS0_14default_configENS1_25partition_config_selectorILNS1_17partition_subalgoE6ExNS0_10empty_typeEbEEZZNS1_14partition_implILS5_6ELb0ES3_mN6thrust23THRUST_200600_302600_NS6detail15normal_iteratorINSA_10device_ptrIxEEEEPS6_SG_NS0_5tupleIJSF_S6_EEENSH_IJSG_SG_EEES6_PlJNSB_9not_fun_tI7is_trueIxEEEEEE10hipError_tPvRmT3_T4_T5_T6_T7_T9_mT8_P12ihipStream_tbDpT10_ENKUlT_T0_E_clISt17integral_constantIbLb0EES18_EEDaS13_S14_EUlS13_E_NS1_11comp_targetILNS1_3genE3ELNS1_11target_archE908ELNS1_3gpuE7ELNS1_3repE0EEENS1_30default_config_static_selectorELNS0_4arch9wavefront6targetE0EEEvT1_,"axG",@progbits,_ZN7rocprim17ROCPRIM_400000_NS6detail17trampoline_kernelINS0_14default_configENS1_25partition_config_selectorILNS1_17partition_subalgoE6ExNS0_10empty_typeEbEEZZNS1_14partition_implILS5_6ELb0ES3_mN6thrust23THRUST_200600_302600_NS6detail15normal_iteratorINSA_10device_ptrIxEEEEPS6_SG_NS0_5tupleIJSF_S6_EEENSH_IJSG_SG_EEES6_PlJNSB_9not_fun_tI7is_trueIxEEEEEE10hipError_tPvRmT3_T4_T5_T6_T7_T9_mT8_P12ihipStream_tbDpT10_ENKUlT_T0_E_clISt17integral_constantIbLb0EES18_EEDaS13_S14_EUlS13_E_NS1_11comp_targetILNS1_3genE3ELNS1_11target_archE908ELNS1_3gpuE7ELNS1_3repE0EEENS1_30default_config_static_selectorELNS0_4arch9wavefront6targetE0EEEvT1_,comdat
.Lfunc_end1208:
	.size	_ZN7rocprim17ROCPRIM_400000_NS6detail17trampoline_kernelINS0_14default_configENS1_25partition_config_selectorILNS1_17partition_subalgoE6ExNS0_10empty_typeEbEEZZNS1_14partition_implILS5_6ELb0ES3_mN6thrust23THRUST_200600_302600_NS6detail15normal_iteratorINSA_10device_ptrIxEEEEPS6_SG_NS0_5tupleIJSF_S6_EEENSH_IJSG_SG_EEES6_PlJNSB_9not_fun_tI7is_trueIxEEEEEE10hipError_tPvRmT3_T4_T5_T6_T7_T9_mT8_P12ihipStream_tbDpT10_ENKUlT_T0_E_clISt17integral_constantIbLb0EES18_EEDaS13_S14_EUlS13_E_NS1_11comp_targetILNS1_3genE3ELNS1_11target_archE908ELNS1_3gpuE7ELNS1_3repE0EEENS1_30default_config_static_selectorELNS0_4arch9wavefront6targetE0EEEvT1_, .Lfunc_end1208-_ZN7rocprim17ROCPRIM_400000_NS6detail17trampoline_kernelINS0_14default_configENS1_25partition_config_selectorILNS1_17partition_subalgoE6ExNS0_10empty_typeEbEEZZNS1_14partition_implILS5_6ELb0ES3_mN6thrust23THRUST_200600_302600_NS6detail15normal_iteratorINSA_10device_ptrIxEEEEPS6_SG_NS0_5tupleIJSF_S6_EEENSH_IJSG_SG_EEES6_PlJNSB_9not_fun_tI7is_trueIxEEEEEE10hipError_tPvRmT3_T4_T5_T6_T7_T9_mT8_P12ihipStream_tbDpT10_ENKUlT_T0_E_clISt17integral_constantIbLb0EES18_EEDaS13_S14_EUlS13_E_NS1_11comp_targetILNS1_3genE3ELNS1_11target_archE908ELNS1_3gpuE7ELNS1_3repE0EEENS1_30default_config_static_selectorELNS0_4arch9wavefront6targetE0EEEvT1_
                                        ; -- End function
	.set _ZN7rocprim17ROCPRIM_400000_NS6detail17trampoline_kernelINS0_14default_configENS1_25partition_config_selectorILNS1_17partition_subalgoE6ExNS0_10empty_typeEbEEZZNS1_14partition_implILS5_6ELb0ES3_mN6thrust23THRUST_200600_302600_NS6detail15normal_iteratorINSA_10device_ptrIxEEEEPS6_SG_NS0_5tupleIJSF_S6_EEENSH_IJSG_SG_EEES6_PlJNSB_9not_fun_tI7is_trueIxEEEEEE10hipError_tPvRmT3_T4_T5_T6_T7_T9_mT8_P12ihipStream_tbDpT10_ENKUlT_T0_E_clISt17integral_constantIbLb0EES18_EEDaS13_S14_EUlS13_E_NS1_11comp_targetILNS1_3genE3ELNS1_11target_archE908ELNS1_3gpuE7ELNS1_3repE0EEENS1_30default_config_static_selectorELNS0_4arch9wavefront6targetE0EEEvT1_.num_vgpr, 0
	.set _ZN7rocprim17ROCPRIM_400000_NS6detail17trampoline_kernelINS0_14default_configENS1_25partition_config_selectorILNS1_17partition_subalgoE6ExNS0_10empty_typeEbEEZZNS1_14partition_implILS5_6ELb0ES3_mN6thrust23THRUST_200600_302600_NS6detail15normal_iteratorINSA_10device_ptrIxEEEEPS6_SG_NS0_5tupleIJSF_S6_EEENSH_IJSG_SG_EEES6_PlJNSB_9not_fun_tI7is_trueIxEEEEEE10hipError_tPvRmT3_T4_T5_T6_T7_T9_mT8_P12ihipStream_tbDpT10_ENKUlT_T0_E_clISt17integral_constantIbLb0EES18_EEDaS13_S14_EUlS13_E_NS1_11comp_targetILNS1_3genE3ELNS1_11target_archE908ELNS1_3gpuE7ELNS1_3repE0EEENS1_30default_config_static_selectorELNS0_4arch9wavefront6targetE0EEEvT1_.num_agpr, 0
	.set _ZN7rocprim17ROCPRIM_400000_NS6detail17trampoline_kernelINS0_14default_configENS1_25partition_config_selectorILNS1_17partition_subalgoE6ExNS0_10empty_typeEbEEZZNS1_14partition_implILS5_6ELb0ES3_mN6thrust23THRUST_200600_302600_NS6detail15normal_iteratorINSA_10device_ptrIxEEEEPS6_SG_NS0_5tupleIJSF_S6_EEENSH_IJSG_SG_EEES6_PlJNSB_9not_fun_tI7is_trueIxEEEEEE10hipError_tPvRmT3_T4_T5_T6_T7_T9_mT8_P12ihipStream_tbDpT10_ENKUlT_T0_E_clISt17integral_constantIbLb0EES18_EEDaS13_S14_EUlS13_E_NS1_11comp_targetILNS1_3genE3ELNS1_11target_archE908ELNS1_3gpuE7ELNS1_3repE0EEENS1_30default_config_static_selectorELNS0_4arch9wavefront6targetE0EEEvT1_.numbered_sgpr, 0
	.set _ZN7rocprim17ROCPRIM_400000_NS6detail17trampoline_kernelINS0_14default_configENS1_25partition_config_selectorILNS1_17partition_subalgoE6ExNS0_10empty_typeEbEEZZNS1_14partition_implILS5_6ELb0ES3_mN6thrust23THRUST_200600_302600_NS6detail15normal_iteratorINSA_10device_ptrIxEEEEPS6_SG_NS0_5tupleIJSF_S6_EEENSH_IJSG_SG_EEES6_PlJNSB_9not_fun_tI7is_trueIxEEEEEE10hipError_tPvRmT3_T4_T5_T6_T7_T9_mT8_P12ihipStream_tbDpT10_ENKUlT_T0_E_clISt17integral_constantIbLb0EES18_EEDaS13_S14_EUlS13_E_NS1_11comp_targetILNS1_3genE3ELNS1_11target_archE908ELNS1_3gpuE7ELNS1_3repE0EEENS1_30default_config_static_selectorELNS0_4arch9wavefront6targetE0EEEvT1_.num_named_barrier, 0
	.set _ZN7rocprim17ROCPRIM_400000_NS6detail17trampoline_kernelINS0_14default_configENS1_25partition_config_selectorILNS1_17partition_subalgoE6ExNS0_10empty_typeEbEEZZNS1_14partition_implILS5_6ELb0ES3_mN6thrust23THRUST_200600_302600_NS6detail15normal_iteratorINSA_10device_ptrIxEEEEPS6_SG_NS0_5tupleIJSF_S6_EEENSH_IJSG_SG_EEES6_PlJNSB_9not_fun_tI7is_trueIxEEEEEE10hipError_tPvRmT3_T4_T5_T6_T7_T9_mT8_P12ihipStream_tbDpT10_ENKUlT_T0_E_clISt17integral_constantIbLb0EES18_EEDaS13_S14_EUlS13_E_NS1_11comp_targetILNS1_3genE3ELNS1_11target_archE908ELNS1_3gpuE7ELNS1_3repE0EEENS1_30default_config_static_selectorELNS0_4arch9wavefront6targetE0EEEvT1_.private_seg_size, 0
	.set _ZN7rocprim17ROCPRIM_400000_NS6detail17trampoline_kernelINS0_14default_configENS1_25partition_config_selectorILNS1_17partition_subalgoE6ExNS0_10empty_typeEbEEZZNS1_14partition_implILS5_6ELb0ES3_mN6thrust23THRUST_200600_302600_NS6detail15normal_iteratorINSA_10device_ptrIxEEEEPS6_SG_NS0_5tupleIJSF_S6_EEENSH_IJSG_SG_EEES6_PlJNSB_9not_fun_tI7is_trueIxEEEEEE10hipError_tPvRmT3_T4_T5_T6_T7_T9_mT8_P12ihipStream_tbDpT10_ENKUlT_T0_E_clISt17integral_constantIbLb0EES18_EEDaS13_S14_EUlS13_E_NS1_11comp_targetILNS1_3genE3ELNS1_11target_archE908ELNS1_3gpuE7ELNS1_3repE0EEENS1_30default_config_static_selectorELNS0_4arch9wavefront6targetE0EEEvT1_.uses_vcc, 0
	.set _ZN7rocprim17ROCPRIM_400000_NS6detail17trampoline_kernelINS0_14default_configENS1_25partition_config_selectorILNS1_17partition_subalgoE6ExNS0_10empty_typeEbEEZZNS1_14partition_implILS5_6ELb0ES3_mN6thrust23THRUST_200600_302600_NS6detail15normal_iteratorINSA_10device_ptrIxEEEEPS6_SG_NS0_5tupleIJSF_S6_EEENSH_IJSG_SG_EEES6_PlJNSB_9not_fun_tI7is_trueIxEEEEEE10hipError_tPvRmT3_T4_T5_T6_T7_T9_mT8_P12ihipStream_tbDpT10_ENKUlT_T0_E_clISt17integral_constantIbLb0EES18_EEDaS13_S14_EUlS13_E_NS1_11comp_targetILNS1_3genE3ELNS1_11target_archE908ELNS1_3gpuE7ELNS1_3repE0EEENS1_30default_config_static_selectorELNS0_4arch9wavefront6targetE0EEEvT1_.uses_flat_scratch, 0
	.set _ZN7rocprim17ROCPRIM_400000_NS6detail17trampoline_kernelINS0_14default_configENS1_25partition_config_selectorILNS1_17partition_subalgoE6ExNS0_10empty_typeEbEEZZNS1_14partition_implILS5_6ELb0ES3_mN6thrust23THRUST_200600_302600_NS6detail15normal_iteratorINSA_10device_ptrIxEEEEPS6_SG_NS0_5tupleIJSF_S6_EEENSH_IJSG_SG_EEES6_PlJNSB_9not_fun_tI7is_trueIxEEEEEE10hipError_tPvRmT3_T4_T5_T6_T7_T9_mT8_P12ihipStream_tbDpT10_ENKUlT_T0_E_clISt17integral_constantIbLb0EES18_EEDaS13_S14_EUlS13_E_NS1_11comp_targetILNS1_3genE3ELNS1_11target_archE908ELNS1_3gpuE7ELNS1_3repE0EEENS1_30default_config_static_selectorELNS0_4arch9wavefront6targetE0EEEvT1_.has_dyn_sized_stack, 0
	.set _ZN7rocprim17ROCPRIM_400000_NS6detail17trampoline_kernelINS0_14default_configENS1_25partition_config_selectorILNS1_17partition_subalgoE6ExNS0_10empty_typeEbEEZZNS1_14partition_implILS5_6ELb0ES3_mN6thrust23THRUST_200600_302600_NS6detail15normal_iteratorINSA_10device_ptrIxEEEEPS6_SG_NS0_5tupleIJSF_S6_EEENSH_IJSG_SG_EEES6_PlJNSB_9not_fun_tI7is_trueIxEEEEEE10hipError_tPvRmT3_T4_T5_T6_T7_T9_mT8_P12ihipStream_tbDpT10_ENKUlT_T0_E_clISt17integral_constantIbLb0EES18_EEDaS13_S14_EUlS13_E_NS1_11comp_targetILNS1_3genE3ELNS1_11target_archE908ELNS1_3gpuE7ELNS1_3repE0EEENS1_30default_config_static_selectorELNS0_4arch9wavefront6targetE0EEEvT1_.has_recursion, 0
	.set _ZN7rocprim17ROCPRIM_400000_NS6detail17trampoline_kernelINS0_14default_configENS1_25partition_config_selectorILNS1_17partition_subalgoE6ExNS0_10empty_typeEbEEZZNS1_14partition_implILS5_6ELb0ES3_mN6thrust23THRUST_200600_302600_NS6detail15normal_iteratorINSA_10device_ptrIxEEEEPS6_SG_NS0_5tupleIJSF_S6_EEENSH_IJSG_SG_EEES6_PlJNSB_9not_fun_tI7is_trueIxEEEEEE10hipError_tPvRmT3_T4_T5_T6_T7_T9_mT8_P12ihipStream_tbDpT10_ENKUlT_T0_E_clISt17integral_constantIbLb0EES18_EEDaS13_S14_EUlS13_E_NS1_11comp_targetILNS1_3genE3ELNS1_11target_archE908ELNS1_3gpuE7ELNS1_3repE0EEENS1_30default_config_static_selectorELNS0_4arch9wavefront6targetE0EEEvT1_.has_indirect_call, 0
	.section	.AMDGPU.csdata,"",@progbits
; Kernel info:
; codeLenInByte = 0
; TotalNumSgprs: 0
; NumVgprs: 0
; ScratchSize: 0
; MemoryBound: 0
; FloatMode: 240
; IeeeMode: 1
; LDSByteSize: 0 bytes/workgroup (compile time only)
; SGPRBlocks: 0
; VGPRBlocks: 0
; NumSGPRsForWavesPerEU: 1
; NumVGPRsForWavesPerEU: 1
; Occupancy: 16
; WaveLimiterHint : 0
; COMPUTE_PGM_RSRC2:SCRATCH_EN: 0
; COMPUTE_PGM_RSRC2:USER_SGPR: 2
; COMPUTE_PGM_RSRC2:TRAP_HANDLER: 0
; COMPUTE_PGM_RSRC2:TGID_X_EN: 1
; COMPUTE_PGM_RSRC2:TGID_Y_EN: 0
; COMPUTE_PGM_RSRC2:TGID_Z_EN: 0
; COMPUTE_PGM_RSRC2:TIDIG_COMP_CNT: 0
	.section	.text._ZN7rocprim17ROCPRIM_400000_NS6detail17trampoline_kernelINS0_14default_configENS1_25partition_config_selectorILNS1_17partition_subalgoE6ExNS0_10empty_typeEbEEZZNS1_14partition_implILS5_6ELb0ES3_mN6thrust23THRUST_200600_302600_NS6detail15normal_iteratorINSA_10device_ptrIxEEEEPS6_SG_NS0_5tupleIJSF_S6_EEENSH_IJSG_SG_EEES6_PlJNSB_9not_fun_tI7is_trueIxEEEEEE10hipError_tPvRmT3_T4_T5_T6_T7_T9_mT8_P12ihipStream_tbDpT10_ENKUlT_T0_E_clISt17integral_constantIbLb0EES18_EEDaS13_S14_EUlS13_E_NS1_11comp_targetILNS1_3genE2ELNS1_11target_archE906ELNS1_3gpuE6ELNS1_3repE0EEENS1_30default_config_static_selectorELNS0_4arch9wavefront6targetE0EEEvT1_,"axG",@progbits,_ZN7rocprim17ROCPRIM_400000_NS6detail17trampoline_kernelINS0_14default_configENS1_25partition_config_selectorILNS1_17partition_subalgoE6ExNS0_10empty_typeEbEEZZNS1_14partition_implILS5_6ELb0ES3_mN6thrust23THRUST_200600_302600_NS6detail15normal_iteratorINSA_10device_ptrIxEEEEPS6_SG_NS0_5tupleIJSF_S6_EEENSH_IJSG_SG_EEES6_PlJNSB_9not_fun_tI7is_trueIxEEEEEE10hipError_tPvRmT3_T4_T5_T6_T7_T9_mT8_P12ihipStream_tbDpT10_ENKUlT_T0_E_clISt17integral_constantIbLb0EES18_EEDaS13_S14_EUlS13_E_NS1_11comp_targetILNS1_3genE2ELNS1_11target_archE906ELNS1_3gpuE6ELNS1_3repE0EEENS1_30default_config_static_selectorELNS0_4arch9wavefront6targetE0EEEvT1_,comdat
	.protected	_ZN7rocprim17ROCPRIM_400000_NS6detail17trampoline_kernelINS0_14default_configENS1_25partition_config_selectorILNS1_17partition_subalgoE6ExNS0_10empty_typeEbEEZZNS1_14partition_implILS5_6ELb0ES3_mN6thrust23THRUST_200600_302600_NS6detail15normal_iteratorINSA_10device_ptrIxEEEEPS6_SG_NS0_5tupleIJSF_S6_EEENSH_IJSG_SG_EEES6_PlJNSB_9not_fun_tI7is_trueIxEEEEEE10hipError_tPvRmT3_T4_T5_T6_T7_T9_mT8_P12ihipStream_tbDpT10_ENKUlT_T0_E_clISt17integral_constantIbLb0EES18_EEDaS13_S14_EUlS13_E_NS1_11comp_targetILNS1_3genE2ELNS1_11target_archE906ELNS1_3gpuE6ELNS1_3repE0EEENS1_30default_config_static_selectorELNS0_4arch9wavefront6targetE0EEEvT1_ ; -- Begin function _ZN7rocprim17ROCPRIM_400000_NS6detail17trampoline_kernelINS0_14default_configENS1_25partition_config_selectorILNS1_17partition_subalgoE6ExNS0_10empty_typeEbEEZZNS1_14partition_implILS5_6ELb0ES3_mN6thrust23THRUST_200600_302600_NS6detail15normal_iteratorINSA_10device_ptrIxEEEEPS6_SG_NS0_5tupleIJSF_S6_EEENSH_IJSG_SG_EEES6_PlJNSB_9not_fun_tI7is_trueIxEEEEEE10hipError_tPvRmT3_T4_T5_T6_T7_T9_mT8_P12ihipStream_tbDpT10_ENKUlT_T0_E_clISt17integral_constantIbLb0EES18_EEDaS13_S14_EUlS13_E_NS1_11comp_targetILNS1_3genE2ELNS1_11target_archE906ELNS1_3gpuE6ELNS1_3repE0EEENS1_30default_config_static_selectorELNS0_4arch9wavefront6targetE0EEEvT1_
	.globl	_ZN7rocprim17ROCPRIM_400000_NS6detail17trampoline_kernelINS0_14default_configENS1_25partition_config_selectorILNS1_17partition_subalgoE6ExNS0_10empty_typeEbEEZZNS1_14partition_implILS5_6ELb0ES3_mN6thrust23THRUST_200600_302600_NS6detail15normal_iteratorINSA_10device_ptrIxEEEEPS6_SG_NS0_5tupleIJSF_S6_EEENSH_IJSG_SG_EEES6_PlJNSB_9not_fun_tI7is_trueIxEEEEEE10hipError_tPvRmT3_T4_T5_T6_T7_T9_mT8_P12ihipStream_tbDpT10_ENKUlT_T0_E_clISt17integral_constantIbLb0EES18_EEDaS13_S14_EUlS13_E_NS1_11comp_targetILNS1_3genE2ELNS1_11target_archE906ELNS1_3gpuE6ELNS1_3repE0EEENS1_30default_config_static_selectorELNS0_4arch9wavefront6targetE0EEEvT1_
	.p2align	8
	.type	_ZN7rocprim17ROCPRIM_400000_NS6detail17trampoline_kernelINS0_14default_configENS1_25partition_config_selectorILNS1_17partition_subalgoE6ExNS0_10empty_typeEbEEZZNS1_14partition_implILS5_6ELb0ES3_mN6thrust23THRUST_200600_302600_NS6detail15normal_iteratorINSA_10device_ptrIxEEEEPS6_SG_NS0_5tupleIJSF_S6_EEENSH_IJSG_SG_EEES6_PlJNSB_9not_fun_tI7is_trueIxEEEEEE10hipError_tPvRmT3_T4_T5_T6_T7_T9_mT8_P12ihipStream_tbDpT10_ENKUlT_T0_E_clISt17integral_constantIbLb0EES18_EEDaS13_S14_EUlS13_E_NS1_11comp_targetILNS1_3genE2ELNS1_11target_archE906ELNS1_3gpuE6ELNS1_3repE0EEENS1_30default_config_static_selectorELNS0_4arch9wavefront6targetE0EEEvT1_,@function
_ZN7rocprim17ROCPRIM_400000_NS6detail17trampoline_kernelINS0_14default_configENS1_25partition_config_selectorILNS1_17partition_subalgoE6ExNS0_10empty_typeEbEEZZNS1_14partition_implILS5_6ELb0ES3_mN6thrust23THRUST_200600_302600_NS6detail15normal_iteratorINSA_10device_ptrIxEEEEPS6_SG_NS0_5tupleIJSF_S6_EEENSH_IJSG_SG_EEES6_PlJNSB_9not_fun_tI7is_trueIxEEEEEE10hipError_tPvRmT3_T4_T5_T6_T7_T9_mT8_P12ihipStream_tbDpT10_ENKUlT_T0_E_clISt17integral_constantIbLb0EES18_EEDaS13_S14_EUlS13_E_NS1_11comp_targetILNS1_3genE2ELNS1_11target_archE906ELNS1_3gpuE6ELNS1_3repE0EEENS1_30default_config_static_selectorELNS0_4arch9wavefront6targetE0EEEvT1_: ; @_ZN7rocprim17ROCPRIM_400000_NS6detail17trampoline_kernelINS0_14default_configENS1_25partition_config_selectorILNS1_17partition_subalgoE6ExNS0_10empty_typeEbEEZZNS1_14partition_implILS5_6ELb0ES3_mN6thrust23THRUST_200600_302600_NS6detail15normal_iteratorINSA_10device_ptrIxEEEEPS6_SG_NS0_5tupleIJSF_S6_EEENSH_IJSG_SG_EEES6_PlJNSB_9not_fun_tI7is_trueIxEEEEEE10hipError_tPvRmT3_T4_T5_T6_T7_T9_mT8_P12ihipStream_tbDpT10_ENKUlT_T0_E_clISt17integral_constantIbLb0EES18_EEDaS13_S14_EUlS13_E_NS1_11comp_targetILNS1_3genE2ELNS1_11target_archE906ELNS1_3gpuE6ELNS1_3repE0EEENS1_30default_config_static_selectorELNS0_4arch9wavefront6targetE0EEEvT1_
; %bb.0:
	.section	.rodata,"a",@progbits
	.p2align	6, 0x0
	.amdhsa_kernel _ZN7rocprim17ROCPRIM_400000_NS6detail17trampoline_kernelINS0_14default_configENS1_25partition_config_selectorILNS1_17partition_subalgoE6ExNS0_10empty_typeEbEEZZNS1_14partition_implILS5_6ELb0ES3_mN6thrust23THRUST_200600_302600_NS6detail15normal_iteratorINSA_10device_ptrIxEEEEPS6_SG_NS0_5tupleIJSF_S6_EEENSH_IJSG_SG_EEES6_PlJNSB_9not_fun_tI7is_trueIxEEEEEE10hipError_tPvRmT3_T4_T5_T6_T7_T9_mT8_P12ihipStream_tbDpT10_ENKUlT_T0_E_clISt17integral_constantIbLb0EES18_EEDaS13_S14_EUlS13_E_NS1_11comp_targetILNS1_3genE2ELNS1_11target_archE906ELNS1_3gpuE6ELNS1_3repE0EEENS1_30default_config_static_selectorELNS0_4arch9wavefront6targetE0EEEvT1_
		.amdhsa_group_segment_fixed_size 0
		.amdhsa_private_segment_fixed_size 0
		.amdhsa_kernarg_size 112
		.amdhsa_user_sgpr_count 2
		.amdhsa_user_sgpr_dispatch_ptr 0
		.amdhsa_user_sgpr_queue_ptr 0
		.amdhsa_user_sgpr_kernarg_segment_ptr 1
		.amdhsa_user_sgpr_dispatch_id 0
		.amdhsa_user_sgpr_private_segment_size 0
		.amdhsa_wavefront_size32 1
		.amdhsa_uses_dynamic_stack 0
		.amdhsa_enable_private_segment 0
		.amdhsa_system_sgpr_workgroup_id_x 1
		.amdhsa_system_sgpr_workgroup_id_y 0
		.amdhsa_system_sgpr_workgroup_id_z 0
		.amdhsa_system_sgpr_workgroup_info 0
		.amdhsa_system_vgpr_workitem_id 0
		.amdhsa_next_free_vgpr 1
		.amdhsa_next_free_sgpr 1
		.amdhsa_reserve_vcc 0
		.amdhsa_float_round_mode_32 0
		.amdhsa_float_round_mode_16_64 0
		.amdhsa_float_denorm_mode_32 3
		.amdhsa_float_denorm_mode_16_64 3
		.amdhsa_fp16_overflow 0
		.amdhsa_workgroup_processor_mode 1
		.amdhsa_memory_ordered 1
		.amdhsa_forward_progress 1
		.amdhsa_inst_pref_size 0
		.amdhsa_round_robin_scheduling 0
		.amdhsa_exception_fp_ieee_invalid_op 0
		.amdhsa_exception_fp_denorm_src 0
		.amdhsa_exception_fp_ieee_div_zero 0
		.amdhsa_exception_fp_ieee_overflow 0
		.amdhsa_exception_fp_ieee_underflow 0
		.amdhsa_exception_fp_ieee_inexact 0
		.amdhsa_exception_int_div_zero 0
	.end_amdhsa_kernel
	.section	.text._ZN7rocprim17ROCPRIM_400000_NS6detail17trampoline_kernelINS0_14default_configENS1_25partition_config_selectorILNS1_17partition_subalgoE6ExNS0_10empty_typeEbEEZZNS1_14partition_implILS5_6ELb0ES3_mN6thrust23THRUST_200600_302600_NS6detail15normal_iteratorINSA_10device_ptrIxEEEEPS6_SG_NS0_5tupleIJSF_S6_EEENSH_IJSG_SG_EEES6_PlJNSB_9not_fun_tI7is_trueIxEEEEEE10hipError_tPvRmT3_T4_T5_T6_T7_T9_mT8_P12ihipStream_tbDpT10_ENKUlT_T0_E_clISt17integral_constantIbLb0EES18_EEDaS13_S14_EUlS13_E_NS1_11comp_targetILNS1_3genE2ELNS1_11target_archE906ELNS1_3gpuE6ELNS1_3repE0EEENS1_30default_config_static_selectorELNS0_4arch9wavefront6targetE0EEEvT1_,"axG",@progbits,_ZN7rocprim17ROCPRIM_400000_NS6detail17trampoline_kernelINS0_14default_configENS1_25partition_config_selectorILNS1_17partition_subalgoE6ExNS0_10empty_typeEbEEZZNS1_14partition_implILS5_6ELb0ES3_mN6thrust23THRUST_200600_302600_NS6detail15normal_iteratorINSA_10device_ptrIxEEEEPS6_SG_NS0_5tupleIJSF_S6_EEENSH_IJSG_SG_EEES6_PlJNSB_9not_fun_tI7is_trueIxEEEEEE10hipError_tPvRmT3_T4_T5_T6_T7_T9_mT8_P12ihipStream_tbDpT10_ENKUlT_T0_E_clISt17integral_constantIbLb0EES18_EEDaS13_S14_EUlS13_E_NS1_11comp_targetILNS1_3genE2ELNS1_11target_archE906ELNS1_3gpuE6ELNS1_3repE0EEENS1_30default_config_static_selectorELNS0_4arch9wavefront6targetE0EEEvT1_,comdat
.Lfunc_end1209:
	.size	_ZN7rocprim17ROCPRIM_400000_NS6detail17trampoline_kernelINS0_14default_configENS1_25partition_config_selectorILNS1_17partition_subalgoE6ExNS0_10empty_typeEbEEZZNS1_14partition_implILS5_6ELb0ES3_mN6thrust23THRUST_200600_302600_NS6detail15normal_iteratorINSA_10device_ptrIxEEEEPS6_SG_NS0_5tupleIJSF_S6_EEENSH_IJSG_SG_EEES6_PlJNSB_9not_fun_tI7is_trueIxEEEEEE10hipError_tPvRmT3_T4_T5_T6_T7_T9_mT8_P12ihipStream_tbDpT10_ENKUlT_T0_E_clISt17integral_constantIbLb0EES18_EEDaS13_S14_EUlS13_E_NS1_11comp_targetILNS1_3genE2ELNS1_11target_archE906ELNS1_3gpuE6ELNS1_3repE0EEENS1_30default_config_static_selectorELNS0_4arch9wavefront6targetE0EEEvT1_, .Lfunc_end1209-_ZN7rocprim17ROCPRIM_400000_NS6detail17trampoline_kernelINS0_14default_configENS1_25partition_config_selectorILNS1_17partition_subalgoE6ExNS0_10empty_typeEbEEZZNS1_14partition_implILS5_6ELb0ES3_mN6thrust23THRUST_200600_302600_NS6detail15normal_iteratorINSA_10device_ptrIxEEEEPS6_SG_NS0_5tupleIJSF_S6_EEENSH_IJSG_SG_EEES6_PlJNSB_9not_fun_tI7is_trueIxEEEEEE10hipError_tPvRmT3_T4_T5_T6_T7_T9_mT8_P12ihipStream_tbDpT10_ENKUlT_T0_E_clISt17integral_constantIbLb0EES18_EEDaS13_S14_EUlS13_E_NS1_11comp_targetILNS1_3genE2ELNS1_11target_archE906ELNS1_3gpuE6ELNS1_3repE0EEENS1_30default_config_static_selectorELNS0_4arch9wavefront6targetE0EEEvT1_
                                        ; -- End function
	.set _ZN7rocprim17ROCPRIM_400000_NS6detail17trampoline_kernelINS0_14default_configENS1_25partition_config_selectorILNS1_17partition_subalgoE6ExNS0_10empty_typeEbEEZZNS1_14partition_implILS5_6ELb0ES3_mN6thrust23THRUST_200600_302600_NS6detail15normal_iteratorINSA_10device_ptrIxEEEEPS6_SG_NS0_5tupleIJSF_S6_EEENSH_IJSG_SG_EEES6_PlJNSB_9not_fun_tI7is_trueIxEEEEEE10hipError_tPvRmT3_T4_T5_T6_T7_T9_mT8_P12ihipStream_tbDpT10_ENKUlT_T0_E_clISt17integral_constantIbLb0EES18_EEDaS13_S14_EUlS13_E_NS1_11comp_targetILNS1_3genE2ELNS1_11target_archE906ELNS1_3gpuE6ELNS1_3repE0EEENS1_30default_config_static_selectorELNS0_4arch9wavefront6targetE0EEEvT1_.num_vgpr, 0
	.set _ZN7rocprim17ROCPRIM_400000_NS6detail17trampoline_kernelINS0_14default_configENS1_25partition_config_selectorILNS1_17partition_subalgoE6ExNS0_10empty_typeEbEEZZNS1_14partition_implILS5_6ELb0ES3_mN6thrust23THRUST_200600_302600_NS6detail15normal_iteratorINSA_10device_ptrIxEEEEPS6_SG_NS0_5tupleIJSF_S6_EEENSH_IJSG_SG_EEES6_PlJNSB_9not_fun_tI7is_trueIxEEEEEE10hipError_tPvRmT3_T4_T5_T6_T7_T9_mT8_P12ihipStream_tbDpT10_ENKUlT_T0_E_clISt17integral_constantIbLb0EES18_EEDaS13_S14_EUlS13_E_NS1_11comp_targetILNS1_3genE2ELNS1_11target_archE906ELNS1_3gpuE6ELNS1_3repE0EEENS1_30default_config_static_selectorELNS0_4arch9wavefront6targetE0EEEvT1_.num_agpr, 0
	.set _ZN7rocprim17ROCPRIM_400000_NS6detail17trampoline_kernelINS0_14default_configENS1_25partition_config_selectorILNS1_17partition_subalgoE6ExNS0_10empty_typeEbEEZZNS1_14partition_implILS5_6ELb0ES3_mN6thrust23THRUST_200600_302600_NS6detail15normal_iteratorINSA_10device_ptrIxEEEEPS6_SG_NS0_5tupleIJSF_S6_EEENSH_IJSG_SG_EEES6_PlJNSB_9not_fun_tI7is_trueIxEEEEEE10hipError_tPvRmT3_T4_T5_T6_T7_T9_mT8_P12ihipStream_tbDpT10_ENKUlT_T0_E_clISt17integral_constantIbLb0EES18_EEDaS13_S14_EUlS13_E_NS1_11comp_targetILNS1_3genE2ELNS1_11target_archE906ELNS1_3gpuE6ELNS1_3repE0EEENS1_30default_config_static_selectorELNS0_4arch9wavefront6targetE0EEEvT1_.numbered_sgpr, 0
	.set _ZN7rocprim17ROCPRIM_400000_NS6detail17trampoline_kernelINS0_14default_configENS1_25partition_config_selectorILNS1_17partition_subalgoE6ExNS0_10empty_typeEbEEZZNS1_14partition_implILS5_6ELb0ES3_mN6thrust23THRUST_200600_302600_NS6detail15normal_iteratorINSA_10device_ptrIxEEEEPS6_SG_NS0_5tupleIJSF_S6_EEENSH_IJSG_SG_EEES6_PlJNSB_9not_fun_tI7is_trueIxEEEEEE10hipError_tPvRmT3_T4_T5_T6_T7_T9_mT8_P12ihipStream_tbDpT10_ENKUlT_T0_E_clISt17integral_constantIbLb0EES18_EEDaS13_S14_EUlS13_E_NS1_11comp_targetILNS1_3genE2ELNS1_11target_archE906ELNS1_3gpuE6ELNS1_3repE0EEENS1_30default_config_static_selectorELNS0_4arch9wavefront6targetE0EEEvT1_.num_named_barrier, 0
	.set _ZN7rocprim17ROCPRIM_400000_NS6detail17trampoline_kernelINS0_14default_configENS1_25partition_config_selectorILNS1_17partition_subalgoE6ExNS0_10empty_typeEbEEZZNS1_14partition_implILS5_6ELb0ES3_mN6thrust23THRUST_200600_302600_NS6detail15normal_iteratorINSA_10device_ptrIxEEEEPS6_SG_NS0_5tupleIJSF_S6_EEENSH_IJSG_SG_EEES6_PlJNSB_9not_fun_tI7is_trueIxEEEEEE10hipError_tPvRmT3_T4_T5_T6_T7_T9_mT8_P12ihipStream_tbDpT10_ENKUlT_T0_E_clISt17integral_constantIbLb0EES18_EEDaS13_S14_EUlS13_E_NS1_11comp_targetILNS1_3genE2ELNS1_11target_archE906ELNS1_3gpuE6ELNS1_3repE0EEENS1_30default_config_static_selectorELNS0_4arch9wavefront6targetE0EEEvT1_.private_seg_size, 0
	.set _ZN7rocprim17ROCPRIM_400000_NS6detail17trampoline_kernelINS0_14default_configENS1_25partition_config_selectorILNS1_17partition_subalgoE6ExNS0_10empty_typeEbEEZZNS1_14partition_implILS5_6ELb0ES3_mN6thrust23THRUST_200600_302600_NS6detail15normal_iteratorINSA_10device_ptrIxEEEEPS6_SG_NS0_5tupleIJSF_S6_EEENSH_IJSG_SG_EEES6_PlJNSB_9not_fun_tI7is_trueIxEEEEEE10hipError_tPvRmT3_T4_T5_T6_T7_T9_mT8_P12ihipStream_tbDpT10_ENKUlT_T0_E_clISt17integral_constantIbLb0EES18_EEDaS13_S14_EUlS13_E_NS1_11comp_targetILNS1_3genE2ELNS1_11target_archE906ELNS1_3gpuE6ELNS1_3repE0EEENS1_30default_config_static_selectorELNS0_4arch9wavefront6targetE0EEEvT1_.uses_vcc, 0
	.set _ZN7rocprim17ROCPRIM_400000_NS6detail17trampoline_kernelINS0_14default_configENS1_25partition_config_selectorILNS1_17partition_subalgoE6ExNS0_10empty_typeEbEEZZNS1_14partition_implILS5_6ELb0ES3_mN6thrust23THRUST_200600_302600_NS6detail15normal_iteratorINSA_10device_ptrIxEEEEPS6_SG_NS0_5tupleIJSF_S6_EEENSH_IJSG_SG_EEES6_PlJNSB_9not_fun_tI7is_trueIxEEEEEE10hipError_tPvRmT3_T4_T5_T6_T7_T9_mT8_P12ihipStream_tbDpT10_ENKUlT_T0_E_clISt17integral_constantIbLb0EES18_EEDaS13_S14_EUlS13_E_NS1_11comp_targetILNS1_3genE2ELNS1_11target_archE906ELNS1_3gpuE6ELNS1_3repE0EEENS1_30default_config_static_selectorELNS0_4arch9wavefront6targetE0EEEvT1_.uses_flat_scratch, 0
	.set _ZN7rocprim17ROCPRIM_400000_NS6detail17trampoline_kernelINS0_14default_configENS1_25partition_config_selectorILNS1_17partition_subalgoE6ExNS0_10empty_typeEbEEZZNS1_14partition_implILS5_6ELb0ES3_mN6thrust23THRUST_200600_302600_NS6detail15normal_iteratorINSA_10device_ptrIxEEEEPS6_SG_NS0_5tupleIJSF_S6_EEENSH_IJSG_SG_EEES6_PlJNSB_9not_fun_tI7is_trueIxEEEEEE10hipError_tPvRmT3_T4_T5_T6_T7_T9_mT8_P12ihipStream_tbDpT10_ENKUlT_T0_E_clISt17integral_constantIbLb0EES18_EEDaS13_S14_EUlS13_E_NS1_11comp_targetILNS1_3genE2ELNS1_11target_archE906ELNS1_3gpuE6ELNS1_3repE0EEENS1_30default_config_static_selectorELNS0_4arch9wavefront6targetE0EEEvT1_.has_dyn_sized_stack, 0
	.set _ZN7rocprim17ROCPRIM_400000_NS6detail17trampoline_kernelINS0_14default_configENS1_25partition_config_selectorILNS1_17partition_subalgoE6ExNS0_10empty_typeEbEEZZNS1_14partition_implILS5_6ELb0ES3_mN6thrust23THRUST_200600_302600_NS6detail15normal_iteratorINSA_10device_ptrIxEEEEPS6_SG_NS0_5tupleIJSF_S6_EEENSH_IJSG_SG_EEES6_PlJNSB_9not_fun_tI7is_trueIxEEEEEE10hipError_tPvRmT3_T4_T5_T6_T7_T9_mT8_P12ihipStream_tbDpT10_ENKUlT_T0_E_clISt17integral_constantIbLb0EES18_EEDaS13_S14_EUlS13_E_NS1_11comp_targetILNS1_3genE2ELNS1_11target_archE906ELNS1_3gpuE6ELNS1_3repE0EEENS1_30default_config_static_selectorELNS0_4arch9wavefront6targetE0EEEvT1_.has_recursion, 0
	.set _ZN7rocprim17ROCPRIM_400000_NS6detail17trampoline_kernelINS0_14default_configENS1_25partition_config_selectorILNS1_17partition_subalgoE6ExNS0_10empty_typeEbEEZZNS1_14partition_implILS5_6ELb0ES3_mN6thrust23THRUST_200600_302600_NS6detail15normal_iteratorINSA_10device_ptrIxEEEEPS6_SG_NS0_5tupleIJSF_S6_EEENSH_IJSG_SG_EEES6_PlJNSB_9not_fun_tI7is_trueIxEEEEEE10hipError_tPvRmT3_T4_T5_T6_T7_T9_mT8_P12ihipStream_tbDpT10_ENKUlT_T0_E_clISt17integral_constantIbLb0EES18_EEDaS13_S14_EUlS13_E_NS1_11comp_targetILNS1_3genE2ELNS1_11target_archE906ELNS1_3gpuE6ELNS1_3repE0EEENS1_30default_config_static_selectorELNS0_4arch9wavefront6targetE0EEEvT1_.has_indirect_call, 0
	.section	.AMDGPU.csdata,"",@progbits
; Kernel info:
; codeLenInByte = 0
; TotalNumSgprs: 0
; NumVgprs: 0
; ScratchSize: 0
; MemoryBound: 0
; FloatMode: 240
; IeeeMode: 1
; LDSByteSize: 0 bytes/workgroup (compile time only)
; SGPRBlocks: 0
; VGPRBlocks: 0
; NumSGPRsForWavesPerEU: 1
; NumVGPRsForWavesPerEU: 1
; Occupancy: 16
; WaveLimiterHint : 0
; COMPUTE_PGM_RSRC2:SCRATCH_EN: 0
; COMPUTE_PGM_RSRC2:USER_SGPR: 2
; COMPUTE_PGM_RSRC2:TRAP_HANDLER: 0
; COMPUTE_PGM_RSRC2:TGID_X_EN: 1
; COMPUTE_PGM_RSRC2:TGID_Y_EN: 0
; COMPUTE_PGM_RSRC2:TGID_Z_EN: 0
; COMPUTE_PGM_RSRC2:TIDIG_COMP_CNT: 0
	.section	.text._ZN7rocprim17ROCPRIM_400000_NS6detail17trampoline_kernelINS0_14default_configENS1_25partition_config_selectorILNS1_17partition_subalgoE6ExNS0_10empty_typeEbEEZZNS1_14partition_implILS5_6ELb0ES3_mN6thrust23THRUST_200600_302600_NS6detail15normal_iteratorINSA_10device_ptrIxEEEEPS6_SG_NS0_5tupleIJSF_S6_EEENSH_IJSG_SG_EEES6_PlJNSB_9not_fun_tI7is_trueIxEEEEEE10hipError_tPvRmT3_T4_T5_T6_T7_T9_mT8_P12ihipStream_tbDpT10_ENKUlT_T0_E_clISt17integral_constantIbLb0EES18_EEDaS13_S14_EUlS13_E_NS1_11comp_targetILNS1_3genE10ELNS1_11target_archE1200ELNS1_3gpuE4ELNS1_3repE0EEENS1_30default_config_static_selectorELNS0_4arch9wavefront6targetE0EEEvT1_,"axG",@progbits,_ZN7rocprim17ROCPRIM_400000_NS6detail17trampoline_kernelINS0_14default_configENS1_25partition_config_selectorILNS1_17partition_subalgoE6ExNS0_10empty_typeEbEEZZNS1_14partition_implILS5_6ELb0ES3_mN6thrust23THRUST_200600_302600_NS6detail15normal_iteratorINSA_10device_ptrIxEEEEPS6_SG_NS0_5tupleIJSF_S6_EEENSH_IJSG_SG_EEES6_PlJNSB_9not_fun_tI7is_trueIxEEEEEE10hipError_tPvRmT3_T4_T5_T6_T7_T9_mT8_P12ihipStream_tbDpT10_ENKUlT_T0_E_clISt17integral_constantIbLb0EES18_EEDaS13_S14_EUlS13_E_NS1_11comp_targetILNS1_3genE10ELNS1_11target_archE1200ELNS1_3gpuE4ELNS1_3repE0EEENS1_30default_config_static_selectorELNS0_4arch9wavefront6targetE0EEEvT1_,comdat
	.protected	_ZN7rocprim17ROCPRIM_400000_NS6detail17trampoline_kernelINS0_14default_configENS1_25partition_config_selectorILNS1_17partition_subalgoE6ExNS0_10empty_typeEbEEZZNS1_14partition_implILS5_6ELb0ES3_mN6thrust23THRUST_200600_302600_NS6detail15normal_iteratorINSA_10device_ptrIxEEEEPS6_SG_NS0_5tupleIJSF_S6_EEENSH_IJSG_SG_EEES6_PlJNSB_9not_fun_tI7is_trueIxEEEEEE10hipError_tPvRmT3_T4_T5_T6_T7_T9_mT8_P12ihipStream_tbDpT10_ENKUlT_T0_E_clISt17integral_constantIbLb0EES18_EEDaS13_S14_EUlS13_E_NS1_11comp_targetILNS1_3genE10ELNS1_11target_archE1200ELNS1_3gpuE4ELNS1_3repE0EEENS1_30default_config_static_selectorELNS0_4arch9wavefront6targetE0EEEvT1_ ; -- Begin function _ZN7rocprim17ROCPRIM_400000_NS6detail17trampoline_kernelINS0_14default_configENS1_25partition_config_selectorILNS1_17partition_subalgoE6ExNS0_10empty_typeEbEEZZNS1_14partition_implILS5_6ELb0ES3_mN6thrust23THRUST_200600_302600_NS6detail15normal_iteratorINSA_10device_ptrIxEEEEPS6_SG_NS0_5tupleIJSF_S6_EEENSH_IJSG_SG_EEES6_PlJNSB_9not_fun_tI7is_trueIxEEEEEE10hipError_tPvRmT3_T4_T5_T6_T7_T9_mT8_P12ihipStream_tbDpT10_ENKUlT_T0_E_clISt17integral_constantIbLb0EES18_EEDaS13_S14_EUlS13_E_NS1_11comp_targetILNS1_3genE10ELNS1_11target_archE1200ELNS1_3gpuE4ELNS1_3repE0EEENS1_30default_config_static_selectorELNS0_4arch9wavefront6targetE0EEEvT1_
	.globl	_ZN7rocprim17ROCPRIM_400000_NS6detail17trampoline_kernelINS0_14default_configENS1_25partition_config_selectorILNS1_17partition_subalgoE6ExNS0_10empty_typeEbEEZZNS1_14partition_implILS5_6ELb0ES3_mN6thrust23THRUST_200600_302600_NS6detail15normal_iteratorINSA_10device_ptrIxEEEEPS6_SG_NS0_5tupleIJSF_S6_EEENSH_IJSG_SG_EEES6_PlJNSB_9not_fun_tI7is_trueIxEEEEEE10hipError_tPvRmT3_T4_T5_T6_T7_T9_mT8_P12ihipStream_tbDpT10_ENKUlT_T0_E_clISt17integral_constantIbLb0EES18_EEDaS13_S14_EUlS13_E_NS1_11comp_targetILNS1_3genE10ELNS1_11target_archE1200ELNS1_3gpuE4ELNS1_3repE0EEENS1_30default_config_static_selectorELNS0_4arch9wavefront6targetE0EEEvT1_
	.p2align	8
	.type	_ZN7rocprim17ROCPRIM_400000_NS6detail17trampoline_kernelINS0_14default_configENS1_25partition_config_selectorILNS1_17partition_subalgoE6ExNS0_10empty_typeEbEEZZNS1_14partition_implILS5_6ELb0ES3_mN6thrust23THRUST_200600_302600_NS6detail15normal_iteratorINSA_10device_ptrIxEEEEPS6_SG_NS0_5tupleIJSF_S6_EEENSH_IJSG_SG_EEES6_PlJNSB_9not_fun_tI7is_trueIxEEEEEE10hipError_tPvRmT3_T4_T5_T6_T7_T9_mT8_P12ihipStream_tbDpT10_ENKUlT_T0_E_clISt17integral_constantIbLb0EES18_EEDaS13_S14_EUlS13_E_NS1_11comp_targetILNS1_3genE10ELNS1_11target_archE1200ELNS1_3gpuE4ELNS1_3repE0EEENS1_30default_config_static_selectorELNS0_4arch9wavefront6targetE0EEEvT1_,@function
_ZN7rocprim17ROCPRIM_400000_NS6detail17trampoline_kernelINS0_14default_configENS1_25partition_config_selectorILNS1_17partition_subalgoE6ExNS0_10empty_typeEbEEZZNS1_14partition_implILS5_6ELb0ES3_mN6thrust23THRUST_200600_302600_NS6detail15normal_iteratorINSA_10device_ptrIxEEEEPS6_SG_NS0_5tupleIJSF_S6_EEENSH_IJSG_SG_EEES6_PlJNSB_9not_fun_tI7is_trueIxEEEEEE10hipError_tPvRmT3_T4_T5_T6_T7_T9_mT8_P12ihipStream_tbDpT10_ENKUlT_T0_E_clISt17integral_constantIbLb0EES18_EEDaS13_S14_EUlS13_E_NS1_11comp_targetILNS1_3genE10ELNS1_11target_archE1200ELNS1_3gpuE4ELNS1_3repE0EEENS1_30default_config_static_selectorELNS0_4arch9wavefront6targetE0EEEvT1_: ; @_ZN7rocprim17ROCPRIM_400000_NS6detail17trampoline_kernelINS0_14default_configENS1_25partition_config_selectorILNS1_17partition_subalgoE6ExNS0_10empty_typeEbEEZZNS1_14partition_implILS5_6ELb0ES3_mN6thrust23THRUST_200600_302600_NS6detail15normal_iteratorINSA_10device_ptrIxEEEEPS6_SG_NS0_5tupleIJSF_S6_EEENSH_IJSG_SG_EEES6_PlJNSB_9not_fun_tI7is_trueIxEEEEEE10hipError_tPvRmT3_T4_T5_T6_T7_T9_mT8_P12ihipStream_tbDpT10_ENKUlT_T0_E_clISt17integral_constantIbLb0EES18_EEDaS13_S14_EUlS13_E_NS1_11comp_targetILNS1_3genE10ELNS1_11target_archE1200ELNS1_3gpuE4ELNS1_3repE0EEENS1_30default_config_static_selectorELNS0_4arch9wavefront6targetE0EEEvT1_
; %bb.0:
	s_clause 0x3
	s_load_b128 s[16:19], s[0:1], 0x8
	s_load_b128 s[8:11], s[0:1], 0x40
	s_load_b32 s3, s[0:1], 0x68
	s_load_b64 s[4:5], s[0:1], 0x50
	s_mov_b32 s13, 0
	s_lshl_b32 s2, ttmp9, 10
	v_lshrrev_b32_e32 v9, 2, v0
	v_or_b32_e32 v11, 0x200, v0
	v_or_b32_e32 v10, 0x300, v0
	s_mov_b32 s6, -1
	s_wait_kmcnt 0x0
	s_lshl_b64 s[14:15], s[18:19], 3
	s_load_b64 s[10:11], s[10:11], 0x0
	s_lshl_b32 s12, s3, 10
	s_add_co_i32 s3, s3, -1
	s_add_nc_u64 s[20:21], s[18:19], s[12:13]
	s_lshl_b32 s7, s3, 10
	v_cmp_le_u64_e64 s19, s[4:5], s[20:21]
	s_add_co_i32 s5, s18, s7
	s_cmp_eq_u32 ttmp9, s3
	s_mov_b32 s3, s13
	s_cselect_b32 s12, -1, 0
	s_add_nc_u64 s[14:15], s[16:17], s[14:15]
	s_and_b32 s7, s12, s19
	s_lshl_b64 s[2:3], s[2:3], 3
	s_xor_b32 s13, s7, -1
	s_add_nc_u64 s[2:3], s[14:15], s[2:3]
	s_and_b32 vcc_lo, exec_lo, s13
	s_cbranch_vccz .LBB1210_2
; %bb.1:
	v_lshlrev_b32_e32 v12, 3, v0
	v_or_b32_e32 v13, 0x100, v0
	v_lshrrev_b32_e32 v14, 2, v11
	v_lshrrev_b32_e32 v15, 2, v10
	v_and_b32_e32 v16, 56, v9
	v_add_co_u32 v1, s6, s2, v12
	s_delay_alu instid0(VALU_DEP_1)
	v_add_co_ci_u32_e64 v2, null, s3, 0, s6
	v_lshrrev_b32_e32 v13, 2, v13
	v_and_b32_e32 v14, 0xb8, v14
	v_and_b32_e32 v15, 0xf8, v15
	s_clause 0x3
	flat_load_b64 v[3:4], v[1:2]
	flat_load_b64 v[5:6], v[1:2] offset:2048
	flat_load_b64 v[7:8], v[1:2] offset:4096
	;; [unrolled: 1-line block ×3, first 2 shown]
	v_add_nc_u32_e32 v16, v16, v12
	v_and_b32_e32 v13, 0x78, v13
	v_add_nc_u32_e32 v14, v14, v12
	s_mov_b32 s6, 0
	s_delay_alu instid0(VALU_DEP_2)
	v_add_nc_u32_e32 v13, v13, v12
	v_add_nc_u32_e32 v12, v15, v12
	s_wait_loadcnt_dscnt 0x303
	ds_store_b64 v16, v[3:4]
	s_wait_loadcnt_dscnt 0x203
	ds_store_b64 v13, v[5:6] offset:2048
	s_wait_loadcnt_dscnt 0x103
	ds_store_b64 v14, v[7:8] offset:4096
	;; [unrolled: 2-line block ×3, first 2 shown]
	s_wait_dscnt 0x0
	s_barrier_signal -1
	s_barrier_wait -1
.LBB1210_2:
	s_wait_alu 0xfffe
	s_and_not1_b32 vcc_lo, exec_lo, s6
	s_sub_co_i32 s7, s4, s5
	s_cbranch_vccnz .LBB1210_10
; %bb.3:
	v_mov_b32_e32 v1, 0
	s_mov_b32 s4, exec_lo
	s_delay_alu instid0(VALU_DEP_1)
	v_dual_mov_b32 v2, v1 :: v_dual_mov_b32 v3, v1
	v_dual_mov_b32 v4, v1 :: v_dual_mov_b32 v5, v1
	;; [unrolled: 1-line block ×3, first 2 shown]
	v_mov_b32_e32 v8, v1
	s_wait_alu 0xfffe
	v_cmpx_gt_u32_e64 s7, v0
	s_cbranch_execz .LBB1210_5
; %bb.4:
	v_dual_mov_b32 v15, v1 :: v_dual_lshlrev_b32 v2, 3, v0
	v_dual_mov_b32 v14, v1 :: v_dual_mov_b32 v17, v1
	v_dual_mov_b32 v16, v1 :: v_dual_mov_b32 v19, v1
	s_delay_alu instid0(VALU_DEP_3)
	v_add_co_u32 v2, s5, s2, v2
	s_wait_alu 0xf1ff
	v_add_co_ci_u32_e64 v3, null, s3, 0, s5
	v_mov_b32_e32 v18, v1
	flat_load_b64 v[12:13], v[2:3]
	s_wait_loadcnt_dscnt 0x0
	v_dual_mov_b32 v1, v12 :: v_dual_mov_b32 v2, v13
	v_dual_mov_b32 v3, v14 :: v_dual_mov_b32 v4, v15
	;; [unrolled: 1-line block ×4, first 2 shown]
.LBB1210_5:
	s_or_b32 exec_lo, exec_lo, s4
	v_or_b32_e32 v12, 0x100, v0
	s_mov_b32 s4, exec_lo
	s_delay_alu instid0(VALU_DEP_1)
	v_cmpx_gt_u32_e64 s7, v12
	s_cbranch_execnz .LBB1210_128
; %bb.6:
	s_wait_alu 0xfffe
	s_or_b32 exec_lo, exec_lo, s4
	s_delay_alu instid0(SALU_CYCLE_1)
	s_mov_b32 s4, exec_lo
	v_cmpx_gt_u32_e64 s7, v11
	s_cbranch_execnz .LBB1210_129
.LBB1210_7:
	s_wait_alu 0xfffe
	s_or_b32 exec_lo, exec_lo, s4
	s_delay_alu instid0(SALU_CYCLE_1)
	s_mov_b32 s4, exec_lo
	v_cmpx_gt_u32_e64 s7, v10
	s_cbranch_execz .LBB1210_9
.LBB1210_8:
	v_lshlrev_b32_e32 v7, 3, v0
	s_delay_alu instid0(VALU_DEP_1)
	v_add_co_u32 v7, s2, s2, v7
	s_wait_alu 0xf1ff
	v_add_co_ci_u32_e64 v8, null, s3, 0, s2
	flat_load_b64 v[7:8], v[7:8] offset:6144
.LBB1210_9:
	s_wait_alu 0xfffe
	s_or_b32 exec_lo, exec_lo, s4
	v_lshrrev_b32_e32 v12, 2, v12
	v_lshrrev_b32_e32 v11, 2, v11
	v_lshrrev_b32_e32 v10, 2, v10
	v_and_b32_e32 v9, 56, v9
	v_lshlrev_b32_e32 v13, 3, v0
	v_and_b32_e32 v12, 0x78, v12
	v_and_b32_e32 v11, 0xf8, v11
	v_and_b32_e32 v10, 0xf8, v10
	s_delay_alu instid0(VALU_DEP_4) | instskip(NEXT) | instid1(VALU_DEP_4)
	v_add_nc_u32_e32 v9, v9, v13
	v_add_nc_u32_e32 v12, v12, v13
	s_delay_alu instid0(VALU_DEP_4) | instskip(NEXT) | instid1(VALU_DEP_4)
	v_add_nc_u32_e32 v11, v11, v13
	v_add_nc_u32_e32 v10, v10, v13
	ds_store_b64 v9, v[1:2]
	s_wait_loadcnt_dscnt 0x1
	ds_store_b64 v12, v[3:4] offset:2048
	ds_store_b64 v11, v[5:6] offset:4096
	;; [unrolled: 1-line block ×3, first 2 shown]
	s_wait_dscnt 0x0
	s_barrier_signal -1
	s_barrier_wait -1
.LBB1210_10:
	v_and_b32_e32 v1, 0xf8, v0
	global_inv scope:SCOPE_SE
	s_and_not1_b32 vcc_lo, exec_lo, s13
	v_lshl_add_u32 v5, v0, 5, v1
	ds_load_2addr_b64 v[1:4], v5 offset1:3
	ds_load_2addr_b64 v[5:8], v5 offset0:1 offset1:2
	s_wait_loadcnt_dscnt 0x0
	s_barrier_signal -1
	s_barrier_wait -1
	global_inv scope:SCOPE_SE
	v_cmp_eq_u64_e64 s2, 0, v[1:2]
	v_cmp_eq_u64_e64 s14, 0, v[3:4]
	s_cbranch_vccnz .LBB1210_12
; %bb.11:
	v_cmp_eq_u64_e32 vcc_lo, 0, v[7:8]
	s_wait_alu 0xf1ff
	v_cndmask_b32_e64 v27, 0, 1, s2
	v_cndmask_b32_e64 v25, 0, 1, vcc_lo
	v_cmp_eq_u64_e32 vcc_lo, 0, v[5:6]
	s_delay_alu instid0(VALU_DEP_2) | instskip(SKIP_2) | instid1(VALU_DEP_1)
	v_lshlrev_b16 v10, 8, v25
	s_wait_alu 0xfffd
	v_cndmask_b32_e64 v9, 0, 1, vcc_lo
	v_or_b32_e32 v26, v9, v10
	s_cbranch_execz .LBB1210_13
	s_branch .LBB1210_14
.LBB1210_12:
                                        ; implicit-def: $sgpr14
                                        ; implicit-def: $vgpr27
                                        ; implicit-def: $vgpr26
                                        ; implicit-def: $vgpr25
.LBB1210_13:
	v_lshlrev_b32_e32 v9, 2, v0
	v_cmp_eq_u64_e64 s2, 0, v[7:8]
	v_cmp_eq_u64_e64 s4, 0, v[5:6]
	v_cmp_eq_u64_e32 vcc_lo, 0, v[1:2]
	v_cmp_eq_u64_e64 s5, 0, v[3:4]
	v_or_b32_e32 v10, 2, v9
	v_or_b32_e32 v11, 1, v9
	s_wait_alu 0xfffe
	s_delay_alu instid0(VALU_DEP_2) | instskip(NEXT) | instid1(VALU_DEP_2)
	v_cmp_gt_u32_e64 s3, s7, v10
	v_cmp_gt_u32_e64 s6, s7, v11
	v_or_b32_e32 v10, 3, v9
	s_and_b32 s2, s3, s2
	s_and_b32 s4, s6, s4
	s_wait_alu 0xfffe
	v_cndmask_b32_e64 v25, 0, 1, s2
	v_cmp_gt_u32_e64 s2, s7, v9
	v_cmp_gt_u32_e64 s3, s7, v10
	v_cndmask_b32_e64 v9, 0, 1, s4
	s_delay_alu instid0(VALU_DEP_4)
	v_lshlrev_b16 v10, 8, v25
	s_and_b32 s2, s2, vcc_lo
	s_wait_alu 0xfffe
	v_cndmask_b32_e64 v27, 0, 1, s2
	s_and_b32 s2, s3, s5
	v_or_b32_e32 v26, v9, v10
	s_and_not1_b32 s3, s14, exec_lo
	s_wait_alu 0xfffe
	s_and_b32 s2, s2, exec_lo
	s_wait_alu 0xfffe
	s_or_b32 s14, s3, s2
.LBB1210_14:
	s_load_b64 s[6:7], s[0:1], 0x60
	v_and_b32_e32 v30, 0xff, v27
	v_dual_mov_b32 v10, 0 :: v_dual_and_b32 v29, 0xff, v26
	v_cndmask_b32_e64 v9, 0, 1, s14
	v_mbcnt_lo_u32_b32 v31, -1, 0
	v_and_b32_e32 v28, 0xff, v25
	s_cmp_lg_u32 ttmp9, 0
	s_mov_b32 s3, -1
	v_add3_u32 v9, v30, v9, v29
	v_and_b32_e32 v32, 15, v31
	s_delay_alu instid0(VALU_DEP_2) | instskip(SKIP_2) | instid1(VALU_DEP_3)
	v_add_co_u32 v17, s2, v9, v28
	s_wait_alu 0xf1ff
	v_add_co_ci_u32_e64 v18, null, 0, 0, s2
	v_cmp_ne_u32_e64 s2, 0, v32
	s_cbranch_scc0 .LBB1210_71
; %bb.15:
	v_mov_b32_e32 v11, v17
	v_mov_b32_dpp v9, v17 row_shr:1 row_mask:0xf bank_mask:0xf
	v_mov_b32_dpp v14, v10 row_shr:1 row_mask:0xf bank_mask:0xf
	v_dual_mov_b32 v13, v17 :: v_dual_mov_b32 v12, v18
	s_and_saveexec_b32 s3, s2
; %bb.16:
	s_delay_alu instid0(VALU_DEP_3) | instskip(SKIP_2) | instid1(VALU_DEP_2)
	v_add_co_u32 v13, vcc_lo, v17, v9
	s_wait_alu 0xfffd
	v_add_co_ci_u32_e64 v10, null, 0, v18, vcc_lo
	v_add_co_u32 v9, vcc_lo, 0, v13
	s_wait_alu 0xfffd
	s_delay_alu instid0(VALU_DEP_2) | instskip(NEXT) | instid1(VALU_DEP_1)
	v_add_co_ci_u32_e64 v10, null, v14, v10, vcc_lo
	v_dual_mov_b32 v12, v10 :: v_dual_mov_b32 v11, v9
; %bb.17:
	s_wait_alu 0xfffe
	s_or_b32 exec_lo, exec_lo, s3
	v_mov_b32_dpp v9, v13 row_shr:2 row_mask:0xf bank_mask:0xf
	v_mov_b32_dpp v14, v10 row_shr:2 row_mask:0xf bank_mask:0xf
	s_mov_b32 s3, exec_lo
	v_cmpx_lt_u32_e32 1, v32
; %bb.18:
	s_delay_alu instid0(VALU_DEP_3) | instskip(SKIP_2) | instid1(VALU_DEP_2)
	v_add_co_u32 v13, vcc_lo, v11, v9
	s_wait_alu 0xfffd
	v_add_co_ci_u32_e64 v10, null, 0, v12, vcc_lo
	v_add_co_u32 v9, vcc_lo, 0, v13
	s_wait_alu 0xfffd
	s_delay_alu instid0(VALU_DEP_2) | instskip(NEXT) | instid1(VALU_DEP_1)
	v_add_co_ci_u32_e64 v10, null, v14, v10, vcc_lo
	v_dual_mov_b32 v12, v10 :: v_dual_mov_b32 v11, v9
; %bb.19:
	s_wait_alu 0xfffe
	s_or_b32 exec_lo, exec_lo, s3
	v_mov_b32_dpp v9, v13 row_shr:4 row_mask:0xf bank_mask:0xf
	v_mov_b32_dpp v14, v10 row_shr:4 row_mask:0xf bank_mask:0xf
	s_mov_b32 s3, exec_lo
	v_cmpx_lt_u32_e32 3, v32
	;; [unrolled: 17-line block ×3, first 2 shown]
; %bb.22:
	s_delay_alu instid0(VALU_DEP_3) | instskip(SKIP_2) | instid1(VALU_DEP_2)
	v_add_co_u32 v13, vcc_lo, v11, v14
	s_wait_alu 0xfffd
	v_add_co_ci_u32_e64 v10, null, 0, v12, vcc_lo
	v_add_co_u32 v11, vcc_lo, 0, v13
	s_wait_alu 0xfffd
	s_delay_alu instid0(VALU_DEP_2) | instskip(NEXT) | instid1(VALU_DEP_1)
	v_add_co_ci_u32_e64 v12, null, v9, v10, vcc_lo
	v_mov_b32_e32 v10, v12
; %bb.23:
	s_wait_alu 0xfffe
	s_or_b32 exec_lo, exec_lo, s3
	ds_swizzle_b32 v9, v13 offset:swizzle(BROADCAST,32,15)
	ds_swizzle_b32 v14, v10 offset:swizzle(BROADCAST,32,15)
	v_and_b32_e32 v15, 16, v31
	s_mov_b32 s3, exec_lo
	s_delay_alu instid0(VALU_DEP_1)
	v_cmpx_ne_u32_e32 0, v15
	s_cbranch_execz .LBB1210_25
; %bb.24:
	s_wait_dscnt 0x1
	v_add_co_u32 v13, vcc_lo, v11, v9
	s_wait_alu 0xfffd
	v_add_co_ci_u32_e64 v10, null, 0, v12, vcc_lo
	s_delay_alu instid0(VALU_DEP_2) | instskip(SKIP_2) | instid1(VALU_DEP_2)
	v_add_co_u32 v9, vcc_lo, 0, v13
	s_wait_dscnt 0x0
	s_wait_alu 0xfffd
	v_add_co_ci_u32_e64 v10, null, v14, v10, vcc_lo
	s_delay_alu instid0(VALU_DEP_1)
	v_dual_mov_b32 v12, v10 :: v_dual_mov_b32 v11, v9
.LBB1210_25:
	s_wait_alu 0xfffe
	s_or_b32 exec_lo, exec_lo, s3
	s_wait_dscnt 0x0
	v_or_b32_e32 v14, 31, v0
	v_lshrrev_b32_e32 v9, 5, v0
	s_mov_b32 s3, exec_lo
	s_delay_alu instid0(VALU_DEP_2)
	v_cmpx_eq_u32_e64 v0, v14
; %bb.26:
	s_delay_alu instid0(VALU_DEP_2)
	v_lshlrev_b32_e32 v14, 3, v9
	ds_store_b64 v14, v[11:12]
; %bb.27:
	s_wait_alu 0xfffe
	s_or_b32 exec_lo, exec_lo, s3
	s_delay_alu instid0(SALU_CYCLE_1)
	s_mov_b32 s3, exec_lo
	s_wait_loadcnt_dscnt 0x0
	s_barrier_signal -1
	s_barrier_wait -1
	global_inv scope:SCOPE_SE
	v_cmpx_gt_u32_e32 8, v0
	s_cbranch_execz .LBB1210_35
; %bb.28:
	v_lshlrev_b32_e32 v14, 3, v0
	s_mov_b32 s4, exec_lo
	ds_load_b64 v[11:12], v14
	s_wait_dscnt 0x0
	v_dual_mov_b32 v16, v11 :: v_dual_and_b32 v15, 7, v31
	v_mov_b32_dpp v20, v11 row_shr:1 row_mask:0xf bank_mask:0xf
	v_mov_b32_dpp v19, v12 row_shr:1 row_mask:0xf bank_mask:0xf
	s_delay_alu instid0(VALU_DEP_3)
	v_cmpx_ne_u32_e32 0, v15
; %bb.29:
	s_delay_alu instid0(VALU_DEP_3) | instskip(SKIP_2) | instid1(VALU_DEP_2)
	v_add_co_u32 v16, vcc_lo, v11, v20
	s_wait_alu 0xfffd
	v_add_co_ci_u32_e64 v12, null, 0, v12, vcc_lo
	v_add_co_u32 v11, vcc_lo, 0, v16
	s_wait_alu 0xfffd
	s_delay_alu instid0(VALU_DEP_2)
	v_add_co_ci_u32_e64 v12, null, v19, v12, vcc_lo
; %bb.30:
	s_wait_alu 0xfffe
	s_or_b32 exec_lo, exec_lo, s4
	v_mov_b32_dpp v20, v16 row_shr:2 row_mask:0xf bank_mask:0xf
	s_delay_alu instid0(VALU_DEP_2)
	v_mov_b32_dpp v19, v12 row_shr:2 row_mask:0xf bank_mask:0xf
	s_mov_b32 s4, exec_lo
	v_cmpx_lt_u32_e32 1, v15
; %bb.31:
	s_delay_alu instid0(VALU_DEP_3) | instskip(SKIP_2) | instid1(VALU_DEP_2)
	v_add_co_u32 v16, vcc_lo, v11, v20
	s_wait_alu 0xfffd
	v_add_co_ci_u32_e64 v12, null, 0, v12, vcc_lo
	v_add_co_u32 v11, vcc_lo, 0, v16
	s_wait_alu 0xfffd
	s_delay_alu instid0(VALU_DEP_2)
	v_add_co_ci_u32_e64 v12, null, v19, v12, vcc_lo
; %bb.32:
	s_wait_alu 0xfffe
	s_or_b32 exec_lo, exec_lo, s4
	v_mov_b32_dpp v19, v16 row_shr:4 row_mask:0xf bank_mask:0xf
	s_delay_alu instid0(VALU_DEP_2)
	v_mov_b32_dpp v16, v12 row_shr:4 row_mask:0xf bank_mask:0xf
	s_mov_b32 s4, exec_lo
	v_cmpx_lt_u32_e32 3, v15
; %bb.33:
	s_delay_alu instid0(VALU_DEP_3) | instskip(SKIP_2) | instid1(VALU_DEP_2)
	v_add_co_u32 v11, vcc_lo, v11, v19
	s_wait_alu 0xfffd
	v_add_co_ci_u32_e64 v12, null, 0, v12, vcc_lo
	v_add_co_u32 v11, vcc_lo, v11, 0
	s_wait_alu 0xfffd
	s_delay_alu instid0(VALU_DEP_2)
	v_add_co_ci_u32_e64 v12, null, v12, v16, vcc_lo
; %bb.34:
	s_wait_alu 0xfffe
	s_or_b32 exec_lo, exec_lo, s4
	ds_store_b64 v14, v[11:12]
.LBB1210_35:
	s_wait_alu 0xfffe
	s_or_b32 exec_lo, exec_lo, s3
	s_delay_alu instid0(SALU_CYCLE_1)
	s_mov_b32 s4, exec_lo
	v_cmp_gt_u32_e32 vcc_lo, 32, v0
	s_wait_loadcnt_dscnt 0x0
	s_barrier_signal -1
	s_barrier_wait -1
	global_inv scope:SCOPE_SE
                                        ; implicit-def: $vgpr19_vgpr20
	v_cmpx_lt_u32_e32 31, v0
	s_cbranch_execz .LBB1210_37
; %bb.36:
	v_lshl_add_u32 v9, v9, 3, -8
	ds_load_b64 v[19:20], v9
	s_wait_dscnt 0x0
	v_add_co_u32 v13, s3, v13, v19
	s_wait_alu 0xf1ff
	v_add_co_ci_u32_e64 v10, null, v10, v20, s3
.LBB1210_37:
	s_wait_alu 0xfffe
	s_or_b32 exec_lo, exec_lo, s4
	v_sub_co_u32 v9, s3, v31, 1
	s_delay_alu instid0(VALU_DEP_1) | instskip(SKIP_1) | instid1(VALU_DEP_1)
	v_cmp_gt_i32_e64 s4, 0, v9
	s_wait_alu 0xf1ff
	v_cndmask_b32_e64 v9, v9, v31, s4
	s_delay_alu instid0(VALU_DEP_1)
	v_lshlrev_b32_e32 v9, 2, v9
	ds_bpermute_b32 v33, v9, v13
	ds_bpermute_b32 v34, v9, v10
	s_and_saveexec_b32 s4, vcc_lo
	s_cbranch_execz .LBB1210_76
; %bb.38:
	v_mov_b32_e32 v12, 0
	ds_load_b64 v[9:10], v12 offset:56
	s_and_saveexec_b32 s5, s3
	s_cbranch_execz .LBB1210_40
; %bb.39:
	s_add_co_i32 s16, ttmp9, 32
	s_mov_b32 s17, 0
	s_delay_alu instid0(SALU_CYCLE_1)
	s_lshl_b64 s[16:17], s[16:17], 4
	s_wait_kmcnt 0x0
	s_add_nc_u64 s[16:17], s[6:7], s[16:17]
	v_mov_b32_e32 v11, 1
	v_dual_mov_b32 v13, s16 :: v_dual_mov_b32 v14, s17
	s_wait_dscnt 0x0
	;;#ASMSTART
	global_store_b128 v[13:14], v[9:12] off scope:SCOPE_DEV	
s_wait_storecnt 0x0
	;;#ASMEND
.LBB1210_40:
	s_wait_alu 0xfffe
	s_or_b32 exec_lo, exec_lo, s5
	v_xad_u32 v21, v31, -1, ttmp9
	s_mov_b32 s15, 0
	s_mov_b32 s5, exec_lo
	s_delay_alu instid0(VALU_DEP_1) | instskip(NEXT) | instid1(VALU_DEP_1)
	v_add_nc_u32_e32 v11, 32, v21
	v_lshlrev_b64_e32 v[11:12], 4, v[11:12]
	s_wait_kmcnt 0x0
	s_delay_alu instid0(VALU_DEP_1) | instskip(SKIP_1) | instid1(VALU_DEP_2)
	v_add_co_u32 v11, vcc_lo, s6, v11
	s_wait_alu 0xfffd
	v_add_co_ci_u32_e64 v12, null, s7, v12, vcc_lo
	;;#ASMSTART
	global_load_b128 v[13:16], v[11:12] off scope:SCOPE_DEV	
s_wait_loadcnt 0x0
	;;#ASMEND
	v_and_b32_e32 v16, 0xff, v15
	s_delay_alu instid0(VALU_DEP_1)
	v_cmpx_eq_u16_e32 0, v16
	s_cbranch_execz .LBB1210_43
.LBB1210_41:                            ; =>This Inner Loop Header: Depth=1
	;;#ASMSTART
	global_load_b128 v[13:16], v[11:12] off scope:SCOPE_DEV	
s_wait_loadcnt 0x0
	;;#ASMEND
	v_and_b32_e32 v16, 0xff, v15
	s_delay_alu instid0(VALU_DEP_1)
	v_cmp_ne_u16_e32 vcc_lo, 0, v16
	s_wait_alu 0xfffe
	s_or_b32 s15, vcc_lo, s15
	s_wait_alu 0xfffe
	s_and_not1_b32 exec_lo, exec_lo, s15
	s_cbranch_execnz .LBB1210_41
; %bb.42:
	s_or_b32 exec_lo, exec_lo, s15
.LBB1210_43:
	s_wait_alu 0xfffe
	s_or_b32 exec_lo, exec_lo, s5
	v_cmp_ne_u32_e32 vcc_lo, 31, v31
	v_and_b32_e32 v12, 0xff, v15
	v_lshlrev_b32_e64 v36, v31, -1
	s_mov_b32 s5, exec_lo
	s_wait_alu 0xfffd
	v_add_co_ci_u32_e64 v11, null, 0, v31, vcc_lo
	v_cmp_eq_u16_e32 vcc_lo, 2, v12
	s_delay_alu instid0(VALU_DEP_2)
	v_dual_mov_b32 v12, v13 :: v_dual_lshlrev_b32 v35, 2, v11
	s_wait_alu 0xfffd
	v_and_or_b32 v11, vcc_lo, v36, 0x80000000
	ds_bpermute_b32 v22, v35, v13
	ds_bpermute_b32 v16, v35, v14
	v_ctz_i32_b32_e32 v11, v11
	s_delay_alu instid0(VALU_DEP_1)
	v_cmpx_lt_u32_e64 v31, v11
	s_cbranch_execz .LBB1210_45
; %bb.44:
	s_wait_dscnt 0x1
	v_add_co_u32 v12, vcc_lo, v13, v22
	s_wait_alu 0xfffd
	v_add_co_ci_u32_e64 v14, null, 0, v14, vcc_lo
	s_delay_alu instid0(VALU_DEP_2) | instskip(SKIP_2) | instid1(VALU_DEP_2)
	v_add_co_u32 v13, vcc_lo, 0, v12
	s_wait_dscnt 0x0
	s_wait_alu 0xfffd
	v_add_co_ci_u32_e64 v14, null, v16, v14, vcc_lo
.LBB1210_45:
	s_wait_alu 0xfffe
	s_or_b32 exec_lo, exec_lo, s5
	v_cmp_gt_u32_e32 vcc_lo, 30, v31
	v_add_nc_u32_e32 v38, 2, v31
	s_mov_b32 s5, exec_lo
	s_wait_dscnt 0x0
	s_wait_alu 0xfffd
	v_cndmask_b32_e64 v16, 0, 2, vcc_lo
	s_delay_alu instid0(VALU_DEP_1)
	v_add_lshl_u32 v37, v16, v31, 2
	ds_bpermute_b32 v22, v37, v12
	ds_bpermute_b32 v16, v37, v14
	v_cmpx_le_u32_e64 v38, v11
	s_cbranch_execz .LBB1210_47
; %bb.46:
	s_wait_dscnt 0x1
	v_add_co_u32 v12, vcc_lo, v13, v22
	s_wait_alu 0xfffd
	v_add_co_ci_u32_e64 v14, null, 0, v14, vcc_lo
	s_delay_alu instid0(VALU_DEP_2) | instskip(SKIP_2) | instid1(VALU_DEP_2)
	v_add_co_u32 v13, vcc_lo, 0, v12
	s_wait_dscnt 0x0
	s_wait_alu 0xfffd
	v_add_co_ci_u32_e64 v14, null, v16, v14, vcc_lo
.LBB1210_47:
	s_wait_alu 0xfffe
	s_or_b32 exec_lo, exec_lo, s5
	v_cmp_gt_u32_e32 vcc_lo, 28, v31
	v_add_nc_u32_e32 v40, 4, v31
	s_mov_b32 s5, exec_lo
	s_wait_dscnt 0x0
	s_wait_alu 0xfffd
	v_cndmask_b32_e64 v16, 0, 4, vcc_lo
	s_delay_alu instid0(VALU_DEP_1)
	v_add_lshl_u32 v39, v16, v31, 2
	ds_bpermute_b32 v22, v39, v12
	ds_bpermute_b32 v16, v39, v14
	v_cmpx_le_u32_e64 v40, v11
	;; [unrolled: 25-line block ×3, first 2 shown]
	s_cbranch_execz .LBB1210_51
; %bb.50:
	s_wait_dscnt 0x1
	v_add_co_u32 v12, vcc_lo, v13, v22
	s_wait_alu 0xfffd
	v_add_co_ci_u32_e64 v14, null, 0, v14, vcc_lo
	s_delay_alu instid0(VALU_DEP_2) | instskip(SKIP_2) | instid1(VALU_DEP_2)
	v_add_co_u32 v13, vcc_lo, 0, v12
	s_wait_dscnt 0x0
	s_wait_alu 0xfffd
	v_add_co_ci_u32_e64 v14, null, v16, v14, vcc_lo
.LBB1210_51:
	s_wait_alu 0xfffe
	s_or_b32 exec_lo, exec_lo, s5
	v_lshl_or_b32 v43, v31, 2, 64
	v_add_nc_u32_e32 v44, 16, v31
	s_mov_b32 s5, exec_lo
	s_wait_dscnt 0x0
	ds_bpermute_b32 v16, v43, v12
	ds_bpermute_b32 v12, v43, v14
	v_cmpx_le_u32_e64 v44, v11
	s_cbranch_execz .LBB1210_53
; %bb.52:
	s_wait_dscnt 0x1
	v_add_co_u32 v11, vcc_lo, v13, v16
	s_wait_alu 0xfffd
	v_add_co_ci_u32_e64 v14, null, 0, v14, vcc_lo
	s_delay_alu instid0(VALU_DEP_2) | instskip(SKIP_2) | instid1(VALU_DEP_2)
	v_add_co_u32 v13, vcc_lo, v11, 0
	s_wait_dscnt 0x0
	s_wait_alu 0xfffd
	v_add_co_ci_u32_e64 v14, null, v14, v12, vcc_lo
.LBB1210_53:
	s_wait_alu 0xfffe
	s_or_b32 exec_lo, exec_lo, s5
	v_mov_b32_e32 v22, 0
	s_branch .LBB1210_56
.LBB1210_54:                            ;   in Loop: Header=BB1210_56 Depth=1
	s_wait_alu 0xfffe
	s_or_b32 exec_lo, exec_lo, s5
	v_add_co_u32 v13, vcc_lo, v13, v11
	v_subrev_nc_u32_e32 v21, 32, v21
	s_wait_alu 0xfffd
	v_add_co_ci_u32_e64 v14, null, v14, v12, vcc_lo
	s_mov_b32 s5, 0
.LBB1210_55:                            ;   in Loop: Header=BB1210_56 Depth=1
	s_wait_alu 0xfffe
	s_and_b32 vcc_lo, exec_lo, s5
	s_wait_alu 0xfffe
	s_cbranch_vccnz .LBB1210_72
.LBB1210_56:                            ; =>This Loop Header: Depth=1
                                        ;     Child Loop BB1210_59 Depth 2
	v_and_b32_e32 v11, 0xff, v15
	s_mov_b32 s5, -1
	s_delay_alu instid0(VALU_DEP_1)
	v_cmp_ne_u16_e32 vcc_lo, 2, v11
	s_wait_dscnt 0x0
	v_dual_mov_b32 v11, v13 :: v_dual_mov_b32 v12, v14
                                        ; implicit-def: $vgpr13_vgpr14
	s_cmp_lg_u32 vcc_lo, exec_lo
	s_cbranch_scc1 .LBB1210_55
; %bb.57:                               ;   in Loop: Header=BB1210_56 Depth=1
	v_lshlrev_b64_e32 v[13:14], 4, v[21:22]
	s_mov_b32 s5, exec_lo
	s_delay_alu instid0(VALU_DEP_1) | instskip(SKIP_1) | instid1(VALU_DEP_2)
	v_add_co_u32 v23, vcc_lo, s6, v13
	s_wait_alu 0xfffd
	v_add_co_ci_u32_e64 v24, null, s7, v14, vcc_lo
	;;#ASMSTART
	global_load_b128 v[13:16], v[23:24] off scope:SCOPE_DEV	
s_wait_loadcnt 0x0
	;;#ASMEND
	v_and_b32_e32 v16, 0xff, v15
	s_delay_alu instid0(VALU_DEP_1)
	v_cmpx_eq_u16_e32 0, v16
	s_cbranch_execz .LBB1210_61
; %bb.58:                               ;   in Loop: Header=BB1210_56 Depth=1
	s_mov_b32 s15, 0
.LBB1210_59:                            ;   Parent Loop BB1210_56 Depth=1
                                        ; =>  This Inner Loop Header: Depth=2
	;;#ASMSTART
	global_load_b128 v[13:16], v[23:24] off scope:SCOPE_DEV	
s_wait_loadcnt 0x0
	;;#ASMEND
	v_and_b32_e32 v16, 0xff, v15
	s_delay_alu instid0(VALU_DEP_1)
	v_cmp_ne_u16_e32 vcc_lo, 0, v16
	s_wait_alu 0xfffe
	s_or_b32 s15, vcc_lo, s15
	s_wait_alu 0xfffe
	s_and_not1_b32 exec_lo, exec_lo, s15
	s_cbranch_execnz .LBB1210_59
; %bb.60:                               ;   in Loop: Header=BB1210_56 Depth=1
	s_or_b32 exec_lo, exec_lo, s15
.LBB1210_61:                            ;   in Loop: Header=BB1210_56 Depth=1
	s_wait_alu 0xfffe
	s_or_b32 exec_lo, exec_lo, s5
	v_dual_mov_b32 v23, v13 :: v_dual_and_b32 v16, 0xff, v15
	ds_bpermute_b32 v45, v35, v13
	ds_bpermute_b32 v24, v35, v14
	s_mov_b32 s5, exec_lo
	v_cmp_eq_u16_e32 vcc_lo, 2, v16
	s_wait_alu 0xfffd
	v_and_or_b32 v16, vcc_lo, v36, 0x80000000
	s_delay_alu instid0(VALU_DEP_1) | instskip(NEXT) | instid1(VALU_DEP_1)
	v_ctz_i32_b32_e32 v16, v16
	v_cmpx_lt_u32_e64 v31, v16
	s_cbranch_execz .LBB1210_63
; %bb.62:                               ;   in Loop: Header=BB1210_56 Depth=1
	s_wait_dscnt 0x1
	v_add_co_u32 v23, vcc_lo, v13, v45
	s_wait_alu 0xfffd
	v_add_co_ci_u32_e64 v14, null, 0, v14, vcc_lo
	s_delay_alu instid0(VALU_DEP_2) | instskip(SKIP_2) | instid1(VALU_DEP_2)
	v_add_co_u32 v13, vcc_lo, 0, v23
	s_wait_dscnt 0x0
	s_wait_alu 0xfffd
	v_add_co_ci_u32_e64 v14, null, v24, v14, vcc_lo
.LBB1210_63:                            ;   in Loop: Header=BB1210_56 Depth=1
	s_wait_alu 0xfffe
	s_or_b32 exec_lo, exec_lo, s5
	s_wait_dscnt 0x1
	ds_bpermute_b32 v45, v37, v23
	s_wait_dscnt 0x1
	ds_bpermute_b32 v24, v37, v14
	s_mov_b32 s5, exec_lo
	v_cmpx_le_u32_e64 v38, v16
	s_cbranch_execz .LBB1210_65
; %bb.64:                               ;   in Loop: Header=BB1210_56 Depth=1
	s_wait_dscnt 0x1
	v_add_co_u32 v23, vcc_lo, v13, v45
	s_wait_alu 0xfffd
	v_add_co_ci_u32_e64 v14, null, 0, v14, vcc_lo
	s_delay_alu instid0(VALU_DEP_2) | instskip(SKIP_2) | instid1(VALU_DEP_2)
	v_add_co_u32 v13, vcc_lo, 0, v23
	s_wait_dscnt 0x0
	s_wait_alu 0xfffd
	v_add_co_ci_u32_e64 v14, null, v24, v14, vcc_lo
.LBB1210_65:                            ;   in Loop: Header=BB1210_56 Depth=1
	s_wait_alu 0xfffe
	s_or_b32 exec_lo, exec_lo, s5
	s_wait_dscnt 0x1
	ds_bpermute_b32 v45, v39, v23
	s_wait_dscnt 0x1
	ds_bpermute_b32 v24, v39, v14
	s_mov_b32 s5, exec_lo
	v_cmpx_le_u32_e64 v40, v16
	;; [unrolled: 20-line block ×3, first 2 shown]
	s_cbranch_execz .LBB1210_69
; %bb.68:                               ;   in Loop: Header=BB1210_56 Depth=1
	s_wait_dscnt 0x1
	v_add_co_u32 v23, vcc_lo, v13, v45
	s_wait_alu 0xfffd
	v_add_co_ci_u32_e64 v14, null, 0, v14, vcc_lo
	s_delay_alu instid0(VALU_DEP_2) | instskip(SKIP_2) | instid1(VALU_DEP_2)
	v_add_co_u32 v13, vcc_lo, 0, v23
	s_wait_dscnt 0x0
	s_wait_alu 0xfffd
	v_add_co_ci_u32_e64 v14, null, v24, v14, vcc_lo
.LBB1210_69:                            ;   in Loop: Header=BB1210_56 Depth=1
	s_wait_alu 0xfffe
	s_or_b32 exec_lo, exec_lo, s5
	s_wait_dscnt 0x0
	ds_bpermute_b32 v24, v43, v23
	ds_bpermute_b32 v23, v43, v14
	s_mov_b32 s5, exec_lo
	v_cmpx_le_u32_e64 v44, v16
	s_cbranch_execz .LBB1210_54
; %bb.70:                               ;   in Loop: Header=BB1210_56 Depth=1
	s_wait_dscnt 0x1
	v_add_co_u32 v13, vcc_lo, v13, v24
	s_wait_alu 0xfffd
	v_add_co_ci_u32_e64 v14, null, 0, v14, vcc_lo
	s_delay_alu instid0(VALU_DEP_2) | instskip(SKIP_2) | instid1(VALU_DEP_2)
	v_add_co_u32 v13, vcc_lo, v13, 0
	s_wait_dscnt 0x0
	s_wait_alu 0xfffd
	v_add_co_ci_u32_e64 v14, null, v14, v23, vcc_lo
	s_branch .LBB1210_54
.LBB1210_71:
                                        ; implicit-def: $vgpr15_vgpr16
                                        ; implicit-def: $vgpr13_vgpr14
                                        ; implicit-def: $vgpr19_vgpr20
                                        ; implicit-def: $vgpr21_vgpr22
                                        ; implicit-def: $vgpr11_vgpr12
	s_wait_alu 0xfffe
	s_and_b32 vcc_lo, exec_lo, s3
	s_wait_alu 0xfffe
	s_cbranch_vccnz .LBB1210_77
	s_branch .LBB1210_102
.LBB1210_72:
	s_and_saveexec_b32 s5, s3
	s_cbranch_execz .LBB1210_74
; %bb.73:
	s_add_co_i32 s16, ttmp9, 32
	s_mov_b32 s17, 0
	v_add_co_u32 v13, vcc_lo, v11, v9
	s_wait_alu 0xfffe
	s_lshl_b64 s[16:17], s[16:17], 4
	v_dual_mov_b32 v15, 2 :: v_dual_mov_b32 v16, 0
	s_wait_alu 0xfffe
	s_add_nc_u64 s[16:17], s[6:7], s[16:17]
	s_wait_alu 0xfffd
	v_add_co_ci_u32_e64 v14, null, v12, v10, vcc_lo
	s_wait_alu 0xfffe
	v_dual_mov_b32 v22, s17 :: v_dual_mov_b32 v21, s16
	;;#ASMSTART
	global_store_b128 v[21:22], v[13:16] off scope:SCOPE_DEV	
s_wait_storecnt 0x0
	;;#ASMEND
	ds_store_b128 v16, v[9:12] offset:8448
.LBB1210_74:
	s_wait_alu 0xfffe
	s_or_b32 exec_lo, exec_lo, s5
	v_cmp_eq_u32_e32 vcc_lo, 0, v0
	s_and_b32 exec_lo, exec_lo, vcc_lo
; %bb.75:
	v_mov_b32_e32 v9, 0
	ds_store_b64 v9, v[11:12] offset:56
.LBB1210_76:
	s_wait_alu 0xfffe
	s_or_b32 exec_lo, exec_lo, s4
	s_wait_dscnt 0x1
	v_cndmask_b32_e64 v10, v33, v19, s3
	v_cmp_ne_u32_e32 vcc_lo, 0, v0
	v_mov_b32_e32 v9, 0
	s_wait_loadcnt_dscnt 0x0
	s_barrier_signal -1
	s_barrier_wait -1
	global_inv scope:SCOPE_SE
	s_wait_alu 0xfffd
	v_cndmask_b32_e32 v16, 0, v10, vcc_lo
	ds_load_b64 v[13:14], v9 offset:56
	v_cndmask_b32_e64 v11, v34, v20, s3
	s_wait_loadcnt_dscnt 0x0
	s_barrier_signal -1
	s_barrier_wait -1
	global_inv scope:SCOPE_SE
	v_cndmask_b32_e32 v15, 0, v11, vcc_lo
	ds_load_b128 v[9:12], v9 offset:8448
	v_add_co_u32 v21, vcc_lo, v13, v16
	s_wait_alu 0xfffd
	v_add_co_ci_u32_e64 v22, null, v14, v15, vcc_lo
	s_delay_alu instid0(VALU_DEP_2) | instskip(SKIP_1) | instid1(VALU_DEP_2)
	v_add_co_u32 v19, vcc_lo, v21, v30
	s_wait_alu 0xfffd
	v_add_co_ci_u32_e64 v20, null, 0, v22, vcc_lo
	s_delay_alu instid0(VALU_DEP_2) | instskip(SKIP_1) | instid1(VALU_DEP_2)
	;; [unrolled: 4-line block ×3, first 2 shown]
	v_add_co_u32 v15, vcc_lo, v13, v28
	s_wait_alu 0xfffd
	v_add_co_ci_u32_e64 v16, null, 0, v14, vcc_lo
	s_branch .LBB1210_102
.LBB1210_77:
	s_wait_dscnt 0x0
	v_dual_mov_b32 v10, 0 :: v_dual_mov_b32 v11, v17
	v_mov_b32_dpp v12, v17 row_shr:1 row_mask:0xf bank_mask:0xf
	s_delay_alu instid0(VALU_DEP_2)
	v_mov_b32_dpp v9, v10 row_shr:1 row_mask:0xf bank_mask:0xf
	s_and_saveexec_b32 s3, s2
; %bb.78:
	s_delay_alu instid0(VALU_DEP_2) | instskip(SKIP_2) | instid1(VALU_DEP_2)
	v_add_co_u32 v11, vcc_lo, v17, v12
	s_wait_alu 0xfffd
	v_add_co_ci_u32_e64 v10, null, 0, v18, vcc_lo
	v_add_co_u32 v17, vcc_lo, 0, v11
	s_wait_alu 0xfffd
	s_delay_alu instid0(VALU_DEP_2) | instskip(NEXT) | instid1(VALU_DEP_1)
	v_add_co_ci_u32_e64 v18, null, v9, v10, vcc_lo
	v_mov_b32_e32 v10, v18
; %bb.79:
	s_wait_alu 0xfffe
	s_or_b32 exec_lo, exec_lo, s3
	v_mov_b32_dpp v9, v11 row_shr:2 row_mask:0xf bank_mask:0xf
	s_delay_alu instid0(VALU_DEP_2)
	v_mov_b32_dpp v12, v10 row_shr:2 row_mask:0xf bank_mask:0xf
	s_mov_b32 s2, exec_lo
	v_cmpx_lt_u32_e32 1, v32
; %bb.80:
	s_delay_alu instid0(VALU_DEP_3) | instskip(SKIP_2) | instid1(VALU_DEP_2)
	v_add_co_u32 v11, vcc_lo, v17, v9
	s_wait_alu 0xfffd
	v_add_co_ci_u32_e64 v10, null, 0, v18, vcc_lo
	v_add_co_u32 v9, vcc_lo, 0, v11
	s_wait_alu 0xfffd
	s_delay_alu instid0(VALU_DEP_2) | instskip(NEXT) | instid1(VALU_DEP_1)
	v_add_co_ci_u32_e64 v10, null, v12, v10, vcc_lo
	v_dual_mov_b32 v18, v10 :: v_dual_mov_b32 v17, v9
; %bb.81:
	s_wait_alu 0xfffe
	s_or_b32 exec_lo, exec_lo, s2
	v_mov_b32_dpp v9, v11 row_shr:4 row_mask:0xf bank_mask:0xf
	v_mov_b32_dpp v12, v10 row_shr:4 row_mask:0xf bank_mask:0xf
	s_mov_b32 s2, exec_lo
	v_cmpx_lt_u32_e32 3, v32
; %bb.82:
	s_delay_alu instid0(VALU_DEP_3) | instskip(SKIP_2) | instid1(VALU_DEP_2)
	v_add_co_u32 v11, vcc_lo, v17, v9
	s_wait_alu 0xfffd
	v_add_co_ci_u32_e64 v10, null, 0, v18, vcc_lo
	v_add_co_u32 v9, vcc_lo, 0, v11
	s_wait_alu 0xfffd
	s_delay_alu instid0(VALU_DEP_2) | instskip(NEXT) | instid1(VALU_DEP_1)
	v_add_co_ci_u32_e64 v10, null, v12, v10, vcc_lo
	v_dual_mov_b32 v18, v10 :: v_dual_mov_b32 v17, v9
; %bb.83:
	s_wait_alu 0xfffe
	s_or_b32 exec_lo, exec_lo, s2
	v_mov_b32_dpp v12, v11 row_shr:8 row_mask:0xf bank_mask:0xf
	v_mov_b32_dpp v9, v10 row_shr:8 row_mask:0xf bank_mask:0xf
	s_mov_b32 s2, exec_lo
	v_cmpx_lt_u32_e32 7, v32
; %bb.84:
	s_delay_alu instid0(VALU_DEP_3) | instskip(SKIP_2) | instid1(VALU_DEP_2)
	v_add_co_u32 v11, vcc_lo, v17, v12
	s_wait_alu 0xfffd
	v_add_co_ci_u32_e64 v10, null, 0, v18, vcc_lo
	v_add_co_u32 v17, vcc_lo, 0, v11
	s_wait_alu 0xfffd
	s_delay_alu instid0(VALU_DEP_2) | instskip(NEXT) | instid1(VALU_DEP_1)
	v_add_co_ci_u32_e64 v18, null, v9, v10, vcc_lo
	v_mov_b32_e32 v10, v18
; %bb.85:
	s_wait_alu 0xfffe
	s_or_b32 exec_lo, exec_lo, s2
	ds_swizzle_b32 v11, v11 offset:swizzle(BROADCAST,32,15)
	ds_swizzle_b32 v9, v10 offset:swizzle(BROADCAST,32,15)
	v_and_b32_e32 v10, 16, v31
	s_mov_b32 s2, exec_lo
	s_delay_alu instid0(VALU_DEP_1)
	v_cmpx_ne_u32_e32 0, v10
	s_cbranch_execz .LBB1210_87
; %bb.86:
	s_wait_dscnt 0x1
	v_add_co_u32 v10, vcc_lo, v17, v11
	s_wait_alu 0xfffd
	v_add_co_ci_u32_e64 v11, null, 0, v18, vcc_lo
	s_delay_alu instid0(VALU_DEP_2) | instskip(SKIP_2) | instid1(VALU_DEP_2)
	v_add_co_u32 v17, vcc_lo, v10, 0
	s_wait_dscnt 0x0
	s_wait_alu 0xfffd
	v_add_co_ci_u32_e64 v18, null, v11, v9, vcc_lo
.LBB1210_87:
	s_wait_alu 0xfffe
	s_or_b32 exec_lo, exec_lo, s2
	s_wait_dscnt 0x0
	v_or_b32_e32 v9, 31, v0
	v_lshrrev_b32_e32 v11, 5, v0
	s_mov_b32 s2, exec_lo
	s_delay_alu instid0(VALU_DEP_2)
	v_cmpx_eq_u32_e64 v0, v9
; %bb.88:
	s_delay_alu instid0(VALU_DEP_2)
	v_lshlrev_b32_e32 v9, 3, v11
	ds_store_b64 v9, v[17:18]
; %bb.89:
	s_wait_alu 0xfffe
	s_or_b32 exec_lo, exec_lo, s2
	s_delay_alu instid0(SALU_CYCLE_1)
	s_mov_b32 s2, exec_lo
	s_wait_loadcnt_dscnt 0x0
	s_barrier_signal -1
	s_barrier_wait -1
	global_inv scope:SCOPE_SE
	v_cmpx_gt_u32_e32 8, v0
	s_cbranch_execz .LBB1210_97
; %bb.90:
	v_lshlrev_b32_e32 v12, 3, v0
	s_mov_b32 s3, exec_lo
	ds_load_b64 v[9:10], v12
	s_wait_dscnt 0x0
	v_dual_mov_b32 v14, v9 :: v_dual_and_b32 v13, 7, v31
	v_mov_b32_dpp v16, v9 row_shr:1 row_mask:0xf bank_mask:0xf
	v_mov_b32_dpp v15, v10 row_shr:1 row_mask:0xf bank_mask:0xf
	s_delay_alu instid0(VALU_DEP_3)
	v_cmpx_ne_u32_e32 0, v13
; %bb.91:
	s_delay_alu instid0(VALU_DEP_3) | instskip(SKIP_2) | instid1(VALU_DEP_2)
	v_add_co_u32 v14, vcc_lo, v9, v16
	s_wait_alu 0xfffd
	v_add_co_ci_u32_e64 v10, null, 0, v10, vcc_lo
	v_add_co_u32 v9, vcc_lo, 0, v14
	s_wait_alu 0xfffd
	s_delay_alu instid0(VALU_DEP_2)
	v_add_co_ci_u32_e64 v10, null, v15, v10, vcc_lo
; %bb.92:
	s_wait_alu 0xfffe
	s_or_b32 exec_lo, exec_lo, s3
	v_mov_b32_dpp v16, v14 row_shr:2 row_mask:0xf bank_mask:0xf
	s_delay_alu instid0(VALU_DEP_2)
	v_mov_b32_dpp v15, v10 row_shr:2 row_mask:0xf bank_mask:0xf
	s_mov_b32 s3, exec_lo
	v_cmpx_lt_u32_e32 1, v13
; %bb.93:
	s_delay_alu instid0(VALU_DEP_3) | instskip(SKIP_2) | instid1(VALU_DEP_2)
	v_add_co_u32 v14, vcc_lo, v9, v16
	s_wait_alu 0xfffd
	v_add_co_ci_u32_e64 v10, null, 0, v10, vcc_lo
	v_add_co_u32 v9, vcc_lo, 0, v14
	s_wait_alu 0xfffd
	s_delay_alu instid0(VALU_DEP_2)
	v_add_co_ci_u32_e64 v10, null, v15, v10, vcc_lo
; %bb.94:
	s_wait_alu 0xfffe
	s_or_b32 exec_lo, exec_lo, s3
	v_mov_b32_dpp v15, v14 row_shr:4 row_mask:0xf bank_mask:0xf
	s_delay_alu instid0(VALU_DEP_2)
	v_mov_b32_dpp v14, v10 row_shr:4 row_mask:0xf bank_mask:0xf
	s_mov_b32 s3, exec_lo
	v_cmpx_lt_u32_e32 3, v13
; %bb.95:
	s_delay_alu instid0(VALU_DEP_3) | instskip(SKIP_2) | instid1(VALU_DEP_2)
	v_add_co_u32 v9, vcc_lo, v9, v15
	s_wait_alu 0xfffd
	v_add_co_ci_u32_e64 v10, null, 0, v10, vcc_lo
	v_add_co_u32 v9, vcc_lo, v9, 0
	s_wait_alu 0xfffd
	s_delay_alu instid0(VALU_DEP_2)
	v_add_co_ci_u32_e64 v10, null, v10, v14, vcc_lo
; %bb.96:
	s_wait_alu 0xfffe
	s_or_b32 exec_lo, exec_lo, s3
	ds_store_b64 v12, v[9:10]
.LBB1210_97:
	s_wait_alu 0xfffe
	s_or_b32 exec_lo, exec_lo, s2
	v_mov_b32_e32 v13, 0
	v_mov_b32_e32 v14, 0
	s_mov_b32 s2, exec_lo
	s_wait_loadcnt_dscnt 0x0
	s_barrier_signal -1
	s_barrier_wait -1
	global_inv scope:SCOPE_SE
	v_cmpx_lt_u32_e32 31, v0
; %bb.98:
	v_lshl_add_u32 v9, v11, 3, -8
	ds_load_b64 v[13:14], v9
; %bb.99:
	s_wait_alu 0xfffe
	s_or_b32 exec_lo, exec_lo, s2
	v_sub_co_u32 v9, vcc_lo, v31, 1
	v_mov_b32_e32 v12, 0
	s_delay_alu instid0(VALU_DEP_2) | instskip(SKIP_1) | instid1(VALU_DEP_1)
	v_cmp_gt_i32_e64 s2, 0, v9
	s_wait_alu 0xf1ff
	v_cndmask_b32_e64 v9, v9, v31, s2
	s_wait_dscnt 0x0
	v_add_co_u32 v10, s2, v13, v17
	s_wait_alu 0xf1ff
	v_add_co_ci_u32_e64 v11, null, v14, v18, s2
	v_lshlrev_b32_e32 v9, 2, v9
	v_cmp_eq_u32_e64 s2, 0, v0
	ds_bpermute_b32 v15, v9, v10
	ds_bpermute_b32 v16, v9, v11
	ds_load_b64 v[9:10], v12 offset:56
	s_and_saveexec_b32 s3, s2
	s_cbranch_execz .LBB1210_101
; %bb.100:
	s_wait_kmcnt 0x0
	s_add_nc_u64 s[4:5], s[6:7], 0x200
	s_wait_alu 0xfffe
	v_dual_mov_b32 v11, 2 :: v_dual_mov_b32 v18, s5
	v_mov_b32_e32 v17, s4
	s_wait_dscnt 0x0
	;;#ASMSTART
	global_store_b128 v[17:18], v[9:12] off scope:SCOPE_DEV	
s_wait_storecnt 0x0
	;;#ASMEND
.LBB1210_101:
	s_wait_alu 0xfffe
	s_or_b32 exec_lo, exec_lo, s3
	s_wait_dscnt 0x1
	s_wait_alu 0xfffd
	v_dual_cndmask_b32 v11, v15, v13 :: v_dual_cndmask_b32 v12, v16, v14
	s_wait_loadcnt_dscnt 0x0
	s_barrier_signal -1
	s_barrier_wait -1
	s_delay_alu instid0(VALU_DEP_1)
	v_cndmask_b32_e64 v21, v11, 0, s2
	v_cndmask_b32_e64 v22, v12, 0, s2
	v_mov_b32_e32 v11, 0
	v_mov_b32_e32 v12, 0
	global_inv scope:SCOPE_SE
	v_add_co_u32 v19, vcc_lo, v21, v30
	s_wait_alu 0xfffd
	v_add_co_ci_u32_e64 v20, null, 0, v22, vcc_lo
	s_delay_alu instid0(VALU_DEP_2) | instskip(SKIP_1) | instid1(VALU_DEP_2)
	v_add_co_u32 v13, vcc_lo, v19, v29
	s_wait_alu 0xfffd
	v_add_co_ci_u32_e64 v14, null, 0, v20, vcc_lo
	s_delay_alu instid0(VALU_DEP_2) | instskip(SKIP_1) | instid1(VALU_DEP_2)
	v_add_co_u32 v15, vcc_lo, v13, v28
	s_wait_alu 0xfffd
	v_add_co_ci_u32_e64 v16, null, 0, v14, vcc_lo
.LBB1210_102:
	s_load_b64 s[2:3], s[0:1], 0x28
	v_and_b32_e32 v23, 1, v27
	s_wait_dscnt 0x0
	v_cmp_gt_u64_e32 vcc_lo, 0x101, v[9:10]
	s_mov_b32 s1, -1
	s_delay_alu instid0(VALU_DEP_2)
	v_cmp_eq_u32_e64 s0, 1, v23
	s_cbranch_vccnz .LBB1210_106
; %bb.103:
	s_wait_alu 0xfffe
	s_and_b32 vcc_lo, exec_lo, s1
	s_wait_alu 0xfffe
	s_cbranch_vccnz .LBB1210_115
.LBB1210_104:
	v_cmp_eq_u32_e32 vcc_lo, 0, v0
	s_and_b32 s0, vcc_lo, s12
	s_wait_alu 0xfffe
	s_and_saveexec_b32 s1, s0
	s_cbranch_execnz .LBB1210_127
.LBB1210_105:
	s_endpgm
.LBB1210_106:
	v_add_co_u32 v17, vcc_lo, v11, v9
	s_wait_alu 0xfffd
	v_add_co_ci_u32_e64 v18, null, v12, v10, vcc_lo
	s_wait_kmcnt 0x0
	s_lshl_b64 s[4:5], s[10:11], 3
	s_wait_alu 0xfffe
	s_add_nc_u64 s[4:5], s[2:3], s[4:5]
	v_cmp_lt_u64_e32 vcc_lo, v[21:22], v[17:18]
	s_or_b32 s1, s13, vcc_lo
	s_wait_alu 0xfffe
	s_and_b32 s1, s1, s0
	s_wait_alu 0xfffe
	s_and_saveexec_b32 s0, s1
	s_cbranch_execz .LBB1210_108
; %bb.107:
	v_lshlrev_b64_e32 v[27:28], 3, v[21:22]
	s_delay_alu instid0(VALU_DEP_1) | instskip(SKIP_1) | instid1(VALU_DEP_2)
	v_add_co_u32 v27, vcc_lo, s4, v27
	s_wait_alu 0xfffd
	v_add_co_ci_u32_e64 v28, null, s5, v28, vcc_lo
	global_store_b64 v[27:28], v[1:2], off
.LBB1210_108:
	s_wait_alu 0xfffe
	s_or_b32 exec_lo, exec_lo, s0
	v_and_b32_e32 v22, 1, v26
	v_cmp_lt_u64_e32 vcc_lo, v[19:20], v[17:18]
	s_delay_alu instid0(VALU_DEP_2)
	v_cmp_eq_u32_e64 s0, 1, v22
	s_or_b32 s1, s13, vcc_lo
	s_wait_alu 0xfffe
	s_and_b32 s1, s1, s0
	s_wait_alu 0xfffe
	s_and_saveexec_b32 s0, s1
	s_cbranch_execz .LBB1210_110
; %bb.109:
	v_lshlrev_b64_e32 v[27:28], 3, v[19:20]
	s_delay_alu instid0(VALU_DEP_1) | instskip(SKIP_1) | instid1(VALU_DEP_2)
	v_add_co_u32 v27, vcc_lo, s4, v27
	s_wait_alu 0xfffd
	v_add_co_ci_u32_e64 v28, null, s5, v28, vcc_lo
	global_store_b64 v[27:28], v[5:6], off
.LBB1210_110:
	s_wait_alu 0xfffe
	s_or_b32 exec_lo, exec_lo, s0
	v_and_b32_e32 v20, 1, v25
	v_cmp_lt_u64_e32 vcc_lo, v[13:14], v[17:18]
	s_delay_alu instid0(VALU_DEP_2)
	v_cmp_eq_u32_e64 s0, 1, v20
	s_or_b32 s1, s13, vcc_lo
	s_wait_alu 0xfffe
	s_and_b32 s1, s1, s0
	s_wait_alu 0xfffe
	s_and_saveexec_b32 s0, s1
	s_cbranch_execz .LBB1210_112
; %bb.111:
	v_lshlrev_b64_e32 v[27:28], 3, v[13:14]
	s_delay_alu instid0(VALU_DEP_1) | instskip(SKIP_1) | instid1(VALU_DEP_2)
	v_add_co_u32 v27, vcc_lo, s4, v27
	s_wait_alu 0xfffd
	v_add_co_ci_u32_e64 v28, null, s5, v28, vcc_lo
	global_store_b64 v[27:28], v[7:8], off
.LBB1210_112:
	s_wait_alu 0xfffe
	s_or_b32 exec_lo, exec_lo, s0
	v_cmp_lt_u64_e32 vcc_lo, v[15:16], v[17:18]
	s_or_b32 s0, s13, vcc_lo
	s_wait_alu 0xfffe
	s_and_b32 s1, s0, s14
	s_wait_alu 0xfffe
	s_and_saveexec_b32 s0, s1
	s_cbranch_execz .LBB1210_114
; %bb.113:
	v_lshlrev_b64_e32 v[16:17], 3, v[15:16]
	s_delay_alu instid0(VALU_DEP_1) | instskip(SKIP_1) | instid1(VALU_DEP_2)
	v_add_co_u32 v16, vcc_lo, s4, v16
	s_wait_alu 0xfffd
	v_add_co_ci_u32_e64 v17, null, s5, v17, vcc_lo
	global_store_b64 v[16:17], v[3:4], off
.LBB1210_114:
	s_wait_alu 0xfffe
	s_or_b32 exec_lo, exec_lo, s0
	s_branch .LBB1210_104
.LBB1210_115:
	s_mov_b32 s0, exec_lo
	v_cmpx_eq_u32_e32 1, v23
; %bb.116:
	v_sub_nc_u32_e32 v14, v21, v11
	s_delay_alu instid0(VALU_DEP_1)
	v_lshlrev_b32_e32 v14, 3, v14
	ds_store_b64 v14, v[1:2]
; %bb.117:
	s_wait_alu 0xfffe
	s_or_b32 exec_lo, exec_lo, s0
	v_and_b32_e32 v1, 1, v26
	s_mov_b32 s0, exec_lo
	s_delay_alu instid0(VALU_DEP_1)
	v_cmpx_eq_u32_e32 1, v1
; %bb.118:
	v_sub_nc_u32_e32 v1, v19, v11
	s_delay_alu instid0(VALU_DEP_1)
	v_lshlrev_b32_e32 v1, 3, v1
	ds_store_b64 v1, v[5:6]
; %bb.119:
	s_wait_alu 0xfffe
	s_or_b32 exec_lo, exec_lo, s0
	v_and_b32_e32 v1, 1, v25
	s_mov_b32 s0, exec_lo
	s_delay_alu instid0(VALU_DEP_1)
	v_cmpx_eq_u32_e32 1, v1
; %bb.120:
	v_sub_nc_u32_e32 v1, v13, v11
	s_delay_alu instid0(VALU_DEP_1)
	v_lshlrev_b32_e32 v1, 3, v1
	ds_store_b64 v1, v[7:8]
; %bb.121:
	s_wait_alu 0xfffe
	s_or_b32 exec_lo, exec_lo, s0
	s_and_saveexec_b32 s0, s14
; %bb.122:
	v_sub_nc_u32_e32 v1, v15, v11
	s_delay_alu instid0(VALU_DEP_1)
	v_lshlrev_b32_e32 v1, 3, v1
	ds_store_b64 v1, v[3:4]
; %bb.123:
	s_wait_alu 0xfffe
	s_or_b32 exec_lo, exec_lo, s0
	v_mov_b32_e32 v3, 0
	s_mov_b32 s1, exec_lo
	s_wait_storecnt 0x0
	s_wait_loadcnt_dscnt 0x0
	s_barrier_signal -1
	s_barrier_wait -1
	v_mov_b32_e32 v1, v3
	global_inv scope:SCOPE_SE
	v_cmpx_gt_u64_e64 v[9:10], v[0:1]
	s_cbranch_execz .LBB1210_126
; %bb.124:
	v_lshlrev_b64_e32 v[4:5], 3, v[11:12]
	s_wait_kmcnt 0x0
	s_lshl_b64 s[4:5], s[10:11], 3
	v_or_b32_e32 v2, 0x100, v0
	s_wait_alu 0xfffe
	s_add_nc_u64 s[2:3], s[2:3], s[4:5]
	s_wait_alu 0xfffe
	v_add_co_u32 v6, vcc_lo, s2, v4
	s_wait_alu 0xfffd
	v_add_co_ci_u32_e64 v7, null, s3, v5, vcc_lo
	v_dual_mov_b32 v5, v1 :: v_dual_mov_b32 v4, v0
	s_mov_b32 s2, 0
.LBB1210_125:                           ; =>This Inner Loop Header: Depth=1
	s_delay_alu instid0(VALU_DEP_1) | instskip(NEXT) | instid1(VALU_DEP_2)
	v_lshlrev_b32_e32 v1, 3, v4
	v_lshlrev_b64_e32 v[15:16], 3, v[4:5]
	v_dual_mov_b32 v5, v3 :: v_dual_mov_b32 v4, v2
	v_cmp_le_u64_e32 vcc_lo, v[9:10], v[2:3]
	ds_load_b64 v[13:14], v1
	v_add_nc_u32_e32 v2, 0x100, v2
	v_add_co_u32 v15, s0, v6, v15
	s_wait_alu 0xf1ff
	v_add_co_ci_u32_e64 v16, null, v7, v16, s0
	s_wait_alu 0xfffe
	s_or_b32 s2, vcc_lo, s2
	s_wait_dscnt 0x0
	global_store_b64 v[15:16], v[13:14], off
	s_wait_alu 0xfffe
	s_and_not1_b32 exec_lo, exec_lo, s2
	s_cbranch_execnz .LBB1210_125
.LBB1210_126:
	s_wait_alu 0xfffe
	s_or_b32 exec_lo, exec_lo, s1
	v_cmp_eq_u32_e32 vcc_lo, 0, v0
	s_and_b32 s0, vcc_lo, s12
	s_wait_alu 0xfffe
	s_and_saveexec_b32 s1, s0
	s_cbranch_execz .LBB1210_105
.LBB1210_127:
	v_add_co_u32 v0, vcc_lo, v11, v9
	s_wait_alu 0xfffd
	v_add_co_ci_u32_e64 v1, null, v12, v10, vcc_lo
	v_mov_b32_e32 v2, 0
	s_wait_kmcnt 0x0
	v_add_co_u32 v0, vcc_lo, v0, s10
	s_wait_alu 0xfffd
	v_add_co_ci_u32_e64 v1, null, s11, v1, vcc_lo
	global_store_b64 v2, v[0:1], s[8:9]
	s_endpgm
.LBB1210_128:
	v_lshlrev_b32_e32 v3, 3, v0
	s_delay_alu instid0(VALU_DEP_1)
	v_add_co_u32 v3, s5, s2, v3
	s_wait_alu 0xf1ff
	v_add_co_ci_u32_e64 v4, null, s3, 0, s5
	flat_load_b64 v[3:4], v[3:4] offset:2048
	s_wait_alu 0xfffe
	s_or_b32 exec_lo, exec_lo, s4
	s_delay_alu instid0(SALU_CYCLE_1)
	s_mov_b32 s4, exec_lo
	v_cmpx_gt_u32_e64 s7, v11
	s_cbranch_execz .LBB1210_7
.LBB1210_129:
	v_lshlrev_b32_e32 v5, 3, v0
	s_delay_alu instid0(VALU_DEP_1)
	v_add_co_u32 v5, s5, s2, v5
	s_wait_alu 0xf1ff
	v_add_co_ci_u32_e64 v6, null, s3, 0, s5
	flat_load_b64 v[5:6], v[5:6] offset:4096
	s_wait_alu 0xfffe
	s_or_b32 exec_lo, exec_lo, s4
	s_delay_alu instid0(SALU_CYCLE_1)
	s_mov_b32 s4, exec_lo
	v_cmpx_gt_u32_e64 s7, v10
	s_cbranch_execnz .LBB1210_8
	s_branch .LBB1210_9
	.section	.rodata,"a",@progbits
	.p2align	6, 0x0
	.amdhsa_kernel _ZN7rocprim17ROCPRIM_400000_NS6detail17trampoline_kernelINS0_14default_configENS1_25partition_config_selectorILNS1_17partition_subalgoE6ExNS0_10empty_typeEbEEZZNS1_14partition_implILS5_6ELb0ES3_mN6thrust23THRUST_200600_302600_NS6detail15normal_iteratorINSA_10device_ptrIxEEEEPS6_SG_NS0_5tupleIJSF_S6_EEENSH_IJSG_SG_EEES6_PlJNSB_9not_fun_tI7is_trueIxEEEEEE10hipError_tPvRmT3_T4_T5_T6_T7_T9_mT8_P12ihipStream_tbDpT10_ENKUlT_T0_E_clISt17integral_constantIbLb0EES18_EEDaS13_S14_EUlS13_E_NS1_11comp_targetILNS1_3genE10ELNS1_11target_archE1200ELNS1_3gpuE4ELNS1_3repE0EEENS1_30default_config_static_selectorELNS0_4arch9wavefront6targetE0EEEvT1_
		.amdhsa_group_segment_fixed_size 8464
		.amdhsa_private_segment_fixed_size 0
		.amdhsa_kernarg_size 112
		.amdhsa_user_sgpr_count 2
		.amdhsa_user_sgpr_dispatch_ptr 0
		.amdhsa_user_sgpr_queue_ptr 0
		.amdhsa_user_sgpr_kernarg_segment_ptr 1
		.amdhsa_user_sgpr_dispatch_id 0
		.amdhsa_user_sgpr_private_segment_size 0
		.amdhsa_wavefront_size32 1
		.amdhsa_uses_dynamic_stack 0
		.amdhsa_enable_private_segment 0
		.amdhsa_system_sgpr_workgroup_id_x 1
		.amdhsa_system_sgpr_workgroup_id_y 0
		.amdhsa_system_sgpr_workgroup_id_z 0
		.amdhsa_system_sgpr_workgroup_info 0
		.amdhsa_system_vgpr_workitem_id 0
		.amdhsa_next_free_vgpr 46
		.amdhsa_next_free_sgpr 22
		.amdhsa_reserve_vcc 1
		.amdhsa_float_round_mode_32 0
		.amdhsa_float_round_mode_16_64 0
		.amdhsa_float_denorm_mode_32 3
		.amdhsa_float_denorm_mode_16_64 3
		.amdhsa_fp16_overflow 0
		.amdhsa_workgroup_processor_mode 1
		.amdhsa_memory_ordered 1
		.amdhsa_forward_progress 1
		.amdhsa_inst_pref_size 50
		.amdhsa_round_robin_scheduling 0
		.amdhsa_exception_fp_ieee_invalid_op 0
		.amdhsa_exception_fp_denorm_src 0
		.amdhsa_exception_fp_ieee_div_zero 0
		.amdhsa_exception_fp_ieee_overflow 0
		.amdhsa_exception_fp_ieee_underflow 0
		.amdhsa_exception_fp_ieee_inexact 0
		.amdhsa_exception_int_div_zero 0
	.end_amdhsa_kernel
	.section	.text._ZN7rocprim17ROCPRIM_400000_NS6detail17trampoline_kernelINS0_14default_configENS1_25partition_config_selectorILNS1_17partition_subalgoE6ExNS0_10empty_typeEbEEZZNS1_14partition_implILS5_6ELb0ES3_mN6thrust23THRUST_200600_302600_NS6detail15normal_iteratorINSA_10device_ptrIxEEEEPS6_SG_NS0_5tupleIJSF_S6_EEENSH_IJSG_SG_EEES6_PlJNSB_9not_fun_tI7is_trueIxEEEEEE10hipError_tPvRmT3_T4_T5_T6_T7_T9_mT8_P12ihipStream_tbDpT10_ENKUlT_T0_E_clISt17integral_constantIbLb0EES18_EEDaS13_S14_EUlS13_E_NS1_11comp_targetILNS1_3genE10ELNS1_11target_archE1200ELNS1_3gpuE4ELNS1_3repE0EEENS1_30default_config_static_selectorELNS0_4arch9wavefront6targetE0EEEvT1_,"axG",@progbits,_ZN7rocprim17ROCPRIM_400000_NS6detail17trampoline_kernelINS0_14default_configENS1_25partition_config_selectorILNS1_17partition_subalgoE6ExNS0_10empty_typeEbEEZZNS1_14partition_implILS5_6ELb0ES3_mN6thrust23THRUST_200600_302600_NS6detail15normal_iteratorINSA_10device_ptrIxEEEEPS6_SG_NS0_5tupleIJSF_S6_EEENSH_IJSG_SG_EEES6_PlJNSB_9not_fun_tI7is_trueIxEEEEEE10hipError_tPvRmT3_T4_T5_T6_T7_T9_mT8_P12ihipStream_tbDpT10_ENKUlT_T0_E_clISt17integral_constantIbLb0EES18_EEDaS13_S14_EUlS13_E_NS1_11comp_targetILNS1_3genE10ELNS1_11target_archE1200ELNS1_3gpuE4ELNS1_3repE0EEENS1_30default_config_static_selectorELNS0_4arch9wavefront6targetE0EEEvT1_,comdat
.Lfunc_end1210:
	.size	_ZN7rocprim17ROCPRIM_400000_NS6detail17trampoline_kernelINS0_14default_configENS1_25partition_config_selectorILNS1_17partition_subalgoE6ExNS0_10empty_typeEbEEZZNS1_14partition_implILS5_6ELb0ES3_mN6thrust23THRUST_200600_302600_NS6detail15normal_iteratorINSA_10device_ptrIxEEEEPS6_SG_NS0_5tupleIJSF_S6_EEENSH_IJSG_SG_EEES6_PlJNSB_9not_fun_tI7is_trueIxEEEEEE10hipError_tPvRmT3_T4_T5_T6_T7_T9_mT8_P12ihipStream_tbDpT10_ENKUlT_T0_E_clISt17integral_constantIbLb0EES18_EEDaS13_S14_EUlS13_E_NS1_11comp_targetILNS1_3genE10ELNS1_11target_archE1200ELNS1_3gpuE4ELNS1_3repE0EEENS1_30default_config_static_selectorELNS0_4arch9wavefront6targetE0EEEvT1_, .Lfunc_end1210-_ZN7rocprim17ROCPRIM_400000_NS6detail17trampoline_kernelINS0_14default_configENS1_25partition_config_selectorILNS1_17partition_subalgoE6ExNS0_10empty_typeEbEEZZNS1_14partition_implILS5_6ELb0ES3_mN6thrust23THRUST_200600_302600_NS6detail15normal_iteratorINSA_10device_ptrIxEEEEPS6_SG_NS0_5tupleIJSF_S6_EEENSH_IJSG_SG_EEES6_PlJNSB_9not_fun_tI7is_trueIxEEEEEE10hipError_tPvRmT3_T4_T5_T6_T7_T9_mT8_P12ihipStream_tbDpT10_ENKUlT_T0_E_clISt17integral_constantIbLb0EES18_EEDaS13_S14_EUlS13_E_NS1_11comp_targetILNS1_3genE10ELNS1_11target_archE1200ELNS1_3gpuE4ELNS1_3repE0EEENS1_30default_config_static_selectorELNS0_4arch9wavefront6targetE0EEEvT1_
                                        ; -- End function
	.set _ZN7rocprim17ROCPRIM_400000_NS6detail17trampoline_kernelINS0_14default_configENS1_25partition_config_selectorILNS1_17partition_subalgoE6ExNS0_10empty_typeEbEEZZNS1_14partition_implILS5_6ELb0ES3_mN6thrust23THRUST_200600_302600_NS6detail15normal_iteratorINSA_10device_ptrIxEEEEPS6_SG_NS0_5tupleIJSF_S6_EEENSH_IJSG_SG_EEES6_PlJNSB_9not_fun_tI7is_trueIxEEEEEE10hipError_tPvRmT3_T4_T5_T6_T7_T9_mT8_P12ihipStream_tbDpT10_ENKUlT_T0_E_clISt17integral_constantIbLb0EES18_EEDaS13_S14_EUlS13_E_NS1_11comp_targetILNS1_3genE10ELNS1_11target_archE1200ELNS1_3gpuE4ELNS1_3repE0EEENS1_30default_config_static_selectorELNS0_4arch9wavefront6targetE0EEEvT1_.num_vgpr, 46
	.set _ZN7rocprim17ROCPRIM_400000_NS6detail17trampoline_kernelINS0_14default_configENS1_25partition_config_selectorILNS1_17partition_subalgoE6ExNS0_10empty_typeEbEEZZNS1_14partition_implILS5_6ELb0ES3_mN6thrust23THRUST_200600_302600_NS6detail15normal_iteratorINSA_10device_ptrIxEEEEPS6_SG_NS0_5tupleIJSF_S6_EEENSH_IJSG_SG_EEES6_PlJNSB_9not_fun_tI7is_trueIxEEEEEE10hipError_tPvRmT3_T4_T5_T6_T7_T9_mT8_P12ihipStream_tbDpT10_ENKUlT_T0_E_clISt17integral_constantIbLb0EES18_EEDaS13_S14_EUlS13_E_NS1_11comp_targetILNS1_3genE10ELNS1_11target_archE1200ELNS1_3gpuE4ELNS1_3repE0EEENS1_30default_config_static_selectorELNS0_4arch9wavefront6targetE0EEEvT1_.num_agpr, 0
	.set _ZN7rocprim17ROCPRIM_400000_NS6detail17trampoline_kernelINS0_14default_configENS1_25partition_config_selectorILNS1_17partition_subalgoE6ExNS0_10empty_typeEbEEZZNS1_14partition_implILS5_6ELb0ES3_mN6thrust23THRUST_200600_302600_NS6detail15normal_iteratorINSA_10device_ptrIxEEEEPS6_SG_NS0_5tupleIJSF_S6_EEENSH_IJSG_SG_EEES6_PlJNSB_9not_fun_tI7is_trueIxEEEEEE10hipError_tPvRmT3_T4_T5_T6_T7_T9_mT8_P12ihipStream_tbDpT10_ENKUlT_T0_E_clISt17integral_constantIbLb0EES18_EEDaS13_S14_EUlS13_E_NS1_11comp_targetILNS1_3genE10ELNS1_11target_archE1200ELNS1_3gpuE4ELNS1_3repE0EEENS1_30default_config_static_selectorELNS0_4arch9wavefront6targetE0EEEvT1_.numbered_sgpr, 22
	.set _ZN7rocprim17ROCPRIM_400000_NS6detail17trampoline_kernelINS0_14default_configENS1_25partition_config_selectorILNS1_17partition_subalgoE6ExNS0_10empty_typeEbEEZZNS1_14partition_implILS5_6ELb0ES3_mN6thrust23THRUST_200600_302600_NS6detail15normal_iteratorINSA_10device_ptrIxEEEEPS6_SG_NS0_5tupleIJSF_S6_EEENSH_IJSG_SG_EEES6_PlJNSB_9not_fun_tI7is_trueIxEEEEEE10hipError_tPvRmT3_T4_T5_T6_T7_T9_mT8_P12ihipStream_tbDpT10_ENKUlT_T0_E_clISt17integral_constantIbLb0EES18_EEDaS13_S14_EUlS13_E_NS1_11comp_targetILNS1_3genE10ELNS1_11target_archE1200ELNS1_3gpuE4ELNS1_3repE0EEENS1_30default_config_static_selectorELNS0_4arch9wavefront6targetE0EEEvT1_.num_named_barrier, 0
	.set _ZN7rocprim17ROCPRIM_400000_NS6detail17trampoline_kernelINS0_14default_configENS1_25partition_config_selectorILNS1_17partition_subalgoE6ExNS0_10empty_typeEbEEZZNS1_14partition_implILS5_6ELb0ES3_mN6thrust23THRUST_200600_302600_NS6detail15normal_iteratorINSA_10device_ptrIxEEEEPS6_SG_NS0_5tupleIJSF_S6_EEENSH_IJSG_SG_EEES6_PlJNSB_9not_fun_tI7is_trueIxEEEEEE10hipError_tPvRmT3_T4_T5_T6_T7_T9_mT8_P12ihipStream_tbDpT10_ENKUlT_T0_E_clISt17integral_constantIbLb0EES18_EEDaS13_S14_EUlS13_E_NS1_11comp_targetILNS1_3genE10ELNS1_11target_archE1200ELNS1_3gpuE4ELNS1_3repE0EEENS1_30default_config_static_selectorELNS0_4arch9wavefront6targetE0EEEvT1_.private_seg_size, 0
	.set _ZN7rocprim17ROCPRIM_400000_NS6detail17trampoline_kernelINS0_14default_configENS1_25partition_config_selectorILNS1_17partition_subalgoE6ExNS0_10empty_typeEbEEZZNS1_14partition_implILS5_6ELb0ES3_mN6thrust23THRUST_200600_302600_NS6detail15normal_iteratorINSA_10device_ptrIxEEEEPS6_SG_NS0_5tupleIJSF_S6_EEENSH_IJSG_SG_EEES6_PlJNSB_9not_fun_tI7is_trueIxEEEEEE10hipError_tPvRmT3_T4_T5_T6_T7_T9_mT8_P12ihipStream_tbDpT10_ENKUlT_T0_E_clISt17integral_constantIbLb0EES18_EEDaS13_S14_EUlS13_E_NS1_11comp_targetILNS1_3genE10ELNS1_11target_archE1200ELNS1_3gpuE4ELNS1_3repE0EEENS1_30default_config_static_selectorELNS0_4arch9wavefront6targetE0EEEvT1_.uses_vcc, 1
	.set _ZN7rocprim17ROCPRIM_400000_NS6detail17trampoline_kernelINS0_14default_configENS1_25partition_config_selectorILNS1_17partition_subalgoE6ExNS0_10empty_typeEbEEZZNS1_14partition_implILS5_6ELb0ES3_mN6thrust23THRUST_200600_302600_NS6detail15normal_iteratorINSA_10device_ptrIxEEEEPS6_SG_NS0_5tupleIJSF_S6_EEENSH_IJSG_SG_EEES6_PlJNSB_9not_fun_tI7is_trueIxEEEEEE10hipError_tPvRmT3_T4_T5_T6_T7_T9_mT8_P12ihipStream_tbDpT10_ENKUlT_T0_E_clISt17integral_constantIbLb0EES18_EEDaS13_S14_EUlS13_E_NS1_11comp_targetILNS1_3genE10ELNS1_11target_archE1200ELNS1_3gpuE4ELNS1_3repE0EEENS1_30default_config_static_selectorELNS0_4arch9wavefront6targetE0EEEvT1_.uses_flat_scratch, 1
	.set _ZN7rocprim17ROCPRIM_400000_NS6detail17trampoline_kernelINS0_14default_configENS1_25partition_config_selectorILNS1_17partition_subalgoE6ExNS0_10empty_typeEbEEZZNS1_14partition_implILS5_6ELb0ES3_mN6thrust23THRUST_200600_302600_NS6detail15normal_iteratorINSA_10device_ptrIxEEEEPS6_SG_NS0_5tupleIJSF_S6_EEENSH_IJSG_SG_EEES6_PlJNSB_9not_fun_tI7is_trueIxEEEEEE10hipError_tPvRmT3_T4_T5_T6_T7_T9_mT8_P12ihipStream_tbDpT10_ENKUlT_T0_E_clISt17integral_constantIbLb0EES18_EEDaS13_S14_EUlS13_E_NS1_11comp_targetILNS1_3genE10ELNS1_11target_archE1200ELNS1_3gpuE4ELNS1_3repE0EEENS1_30default_config_static_selectorELNS0_4arch9wavefront6targetE0EEEvT1_.has_dyn_sized_stack, 0
	.set _ZN7rocprim17ROCPRIM_400000_NS6detail17trampoline_kernelINS0_14default_configENS1_25partition_config_selectorILNS1_17partition_subalgoE6ExNS0_10empty_typeEbEEZZNS1_14partition_implILS5_6ELb0ES3_mN6thrust23THRUST_200600_302600_NS6detail15normal_iteratorINSA_10device_ptrIxEEEEPS6_SG_NS0_5tupleIJSF_S6_EEENSH_IJSG_SG_EEES6_PlJNSB_9not_fun_tI7is_trueIxEEEEEE10hipError_tPvRmT3_T4_T5_T6_T7_T9_mT8_P12ihipStream_tbDpT10_ENKUlT_T0_E_clISt17integral_constantIbLb0EES18_EEDaS13_S14_EUlS13_E_NS1_11comp_targetILNS1_3genE10ELNS1_11target_archE1200ELNS1_3gpuE4ELNS1_3repE0EEENS1_30default_config_static_selectorELNS0_4arch9wavefront6targetE0EEEvT1_.has_recursion, 0
	.set _ZN7rocprim17ROCPRIM_400000_NS6detail17trampoline_kernelINS0_14default_configENS1_25partition_config_selectorILNS1_17partition_subalgoE6ExNS0_10empty_typeEbEEZZNS1_14partition_implILS5_6ELb0ES3_mN6thrust23THRUST_200600_302600_NS6detail15normal_iteratorINSA_10device_ptrIxEEEEPS6_SG_NS0_5tupleIJSF_S6_EEENSH_IJSG_SG_EEES6_PlJNSB_9not_fun_tI7is_trueIxEEEEEE10hipError_tPvRmT3_T4_T5_T6_T7_T9_mT8_P12ihipStream_tbDpT10_ENKUlT_T0_E_clISt17integral_constantIbLb0EES18_EEDaS13_S14_EUlS13_E_NS1_11comp_targetILNS1_3genE10ELNS1_11target_archE1200ELNS1_3gpuE4ELNS1_3repE0EEENS1_30default_config_static_selectorELNS0_4arch9wavefront6targetE0EEEvT1_.has_indirect_call, 0
	.section	.AMDGPU.csdata,"",@progbits
; Kernel info:
; codeLenInByte = 6376
; TotalNumSgprs: 24
; NumVgprs: 46
; ScratchSize: 0
; MemoryBound: 0
; FloatMode: 240
; IeeeMode: 1
; LDSByteSize: 8464 bytes/workgroup (compile time only)
; SGPRBlocks: 0
; VGPRBlocks: 5
; NumSGPRsForWavesPerEU: 24
; NumVGPRsForWavesPerEU: 46
; Occupancy: 16
; WaveLimiterHint : 1
; COMPUTE_PGM_RSRC2:SCRATCH_EN: 0
; COMPUTE_PGM_RSRC2:USER_SGPR: 2
; COMPUTE_PGM_RSRC2:TRAP_HANDLER: 0
; COMPUTE_PGM_RSRC2:TGID_X_EN: 1
; COMPUTE_PGM_RSRC2:TGID_Y_EN: 0
; COMPUTE_PGM_RSRC2:TGID_Z_EN: 0
; COMPUTE_PGM_RSRC2:TIDIG_COMP_CNT: 0
	.section	.text._ZN7rocprim17ROCPRIM_400000_NS6detail17trampoline_kernelINS0_14default_configENS1_25partition_config_selectorILNS1_17partition_subalgoE6ExNS0_10empty_typeEbEEZZNS1_14partition_implILS5_6ELb0ES3_mN6thrust23THRUST_200600_302600_NS6detail15normal_iteratorINSA_10device_ptrIxEEEEPS6_SG_NS0_5tupleIJSF_S6_EEENSH_IJSG_SG_EEES6_PlJNSB_9not_fun_tI7is_trueIxEEEEEE10hipError_tPvRmT3_T4_T5_T6_T7_T9_mT8_P12ihipStream_tbDpT10_ENKUlT_T0_E_clISt17integral_constantIbLb0EES18_EEDaS13_S14_EUlS13_E_NS1_11comp_targetILNS1_3genE9ELNS1_11target_archE1100ELNS1_3gpuE3ELNS1_3repE0EEENS1_30default_config_static_selectorELNS0_4arch9wavefront6targetE0EEEvT1_,"axG",@progbits,_ZN7rocprim17ROCPRIM_400000_NS6detail17trampoline_kernelINS0_14default_configENS1_25partition_config_selectorILNS1_17partition_subalgoE6ExNS0_10empty_typeEbEEZZNS1_14partition_implILS5_6ELb0ES3_mN6thrust23THRUST_200600_302600_NS6detail15normal_iteratorINSA_10device_ptrIxEEEEPS6_SG_NS0_5tupleIJSF_S6_EEENSH_IJSG_SG_EEES6_PlJNSB_9not_fun_tI7is_trueIxEEEEEE10hipError_tPvRmT3_T4_T5_T6_T7_T9_mT8_P12ihipStream_tbDpT10_ENKUlT_T0_E_clISt17integral_constantIbLb0EES18_EEDaS13_S14_EUlS13_E_NS1_11comp_targetILNS1_3genE9ELNS1_11target_archE1100ELNS1_3gpuE3ELNS1_3repE0EEENS1_30default_config_static_selectorELNS0_4arch9wavefront6targetE0EEEvT1_,comdat
	.protected	_ZN7rocprim17ROCPRIM_400000_NS6detail17trampoline_kernelINS0_14default_configENS1_25partition_config_selectorILNS1_17partition_subalgoE6ExNS0_10empty_typeEbEEZZNS1_14partition_implILS5_6ELb0ES3_mN6thrust23THRUST_200600_302600_NS6detail15normal_iteratorINSA_10device_ptrIxEEEEPS6_SG_NS0_5tupleIJSF_S6_EEENSH_IJSG_SG_EEES6_PlJNSB_9not_fun_tI7is_trueIxEEEEEE10hipError_tPvRmT3_T4_T5_T6_T7_T9_mT8_P12ihipStream_tbDpT10_ENKUlT_T0_E_clISt17integral_constantIbLb0EES18_EEDaS13_S14_EUlS13_E_NS1_11comp_targetILNS1_3genE9ELNS1_11target_archE1100ELNS1_3gpuE3ELNS1_3repE0EEENS1_30default_config_static_selectorELNS0_4arch9wavefront6targetE0EEEvT1_ ; -- Begin function _ZN7rocprim17ROCPRIM_400000_NS6detail17trampoline_kernelINS0_14default_configENS1_25partition_config_selectorILNS1_17partition_subalgoE6ExNS0_10empty_typeEbEEZZNS1_14partition_implILS5_6ELb0ES3_mN6thrust23THRUST_200600_302600_NS6detail15normal_iteratorINSA_10device_ptrIxEEEEPS6_SG_NS0_5tupleIJSF_S6_EEENSH_IJSG_SG_EEES6_PlJNSB_9not_fun_tI7is_trueIxEEEEEE10hipError_tPvRmT3_T4_T5_T6_T7_T9_mT8_P12ihipStream_tbDpT10_ENKUlT_T0_E_clISt17integral_constantIbLb0EES18_EEDaS13_S14_EUlS13_E_NS1_11comp_targetILNS1_3genE9ELNS1_11target_archE1100ELNS1_3gpuE3ELNS1_3repE0EEENS1_30default_config_static_selectorELNS0_4arch9wavefront6targetE0EEEvT1_
	.globl	_ZN7rocprim17ROCPRIM_400000_NS6detail17trampoline_kernelINS0_14default_configENS1_25partition_config_selectorILNS1_17partition_subalgoE6ExNS0_10empty_typeEbEEZZNS1_14partition_implILS5_6ELb0ES3_mN6thrust23THRUST_200600_302600_NS6detail15normal_iteratorINSA_10device_ptrIxEEEEPS6_SG_NS0_5tupleIJSF_S6_EEENSH_IJSG_SG_EEES6_PlJNSB_9not_fun_tI7is_trueIxEEEEEE10hipError_tPvRmT3_T4_T5_T6_T7_T9_mT8_P12ihipStream_tbDpT10_ENKUlT_T0_E_clISt17integral_constantIbLb0EES18_EEDaS13_S14_EUlS13_E_NS1_11comp_targetILNS1_3genE9ELNS1_11target_archE1100ELNS1_3gpuE3ELNS1_3repE0EEENS1_30default_config_static_selectorELNS0_4arch9wavefront6targetE0EEEvT1_
	.p2align	8
	.type	_ZN7rocprim17ROCPRIM_400000_NS6detail17trampoline_kernelINS0_14default_configENS1_25partition_config_selectorILNS1_17partition_subalgoE6ExNS0_10empty_typeEbEEZZNS1_14partition_implILS5_6ELb0ES3_mN6thrust23THRUST_200600_302600_NS6detail15normal_iteratorINSA_10device_ptrIxEEEEPS6_SG_NS0_5tupleIJSF_S6_EEENSH_IJSG_SG_EEES6_PlJNSB_9not_fun_tI7is_trueIxEEEEEE10hipError_tPvRmT3_T4_T5_T6_T7_T9_mT8_P12ihipStream_tbDpT10_ENKUlT_T0_E_clISt17integral_constantIbLb0EES18_EEDaS13_S14_EUlS13_E_NS1_11comp_targetILNS1_3genE9ELNS1_11target_archE1100ELNS1_3gpuE3ELNS1_3repE0EEENS1_30default_config_static_selectorELNS0_4arch9wavefront6targetE0EEEvT1_,@function
_ZN7rocprim17ROCPRIM_400000_NS6detail17trampoline_kernelINS0_14default_configENS1_25partition_config_selectorILNS1_17partition_subalgoE6ExNS0_10empty_typeEbEEZZNS1_14partition_implILS5_6ELb0ES3_mN6thrust23THRUST_200600_302600_NS6detail15normal_iteratorINSA_10device_ptrIxEEEEPS6_SG_NS0_5tupleIJSF_S6_EEENSH_IJSG_SG_EEES6_PlJNSB_9not_fun_tI7is_trueIxEEEEEE10hipError_tPvRmT3_T4_T5_T6_T7_T9_mT8_P12ihipStream_tbDpT10_ENKUlT_T0_E_clISt17integral_constantIbLb0EES18_EEDaS13_S14_EUlS13_E_NS1_11comp_targetILNS1_3genE9ELNS1_11target_archE1100ELNS1_3gpuE3ELNS1_3repE0EEENS1_30default_config_static_selectorELNS0_4arch9wavefront6targetE0EEEvT1_: ; @_ZN7rocprim17ROCPRIM_400000_NS6detail17trampoline_kernelINS0_14default_configENS1_25partition_config_selectorILNS1_17partition_subalgoE6ExNS0_10empty_typeEbEEZZNS1_14partition_implILS5_6ELb0ES3_mN6thrust23THRUST_200600_302600_NS6detail15normal_iteratorINSA_10device_ptrIxEEEEPS6_SG_NS0_5tupleIJSF_S6_EEENSH_IJSG_SG_EEES6_PlJNSB_9not_fun_tI7is_trueIxEEEEEE10hipError_tPvRmT3_T4_T5_T6_T7_T9_mT8_P12ihipStream_tbDpT10_ENKUlT_T0_E_clISt17integral_constantIbLb0EES18_EEDaS13_S14_EUlS13_E_NS1_11comp_targetILNS1_3genE9ELNS1_11target_archE1100ELNS1_3gpuE3ELNS1_3repE0EEENS1_30default_config_static_selectorELNS0_4arch9wavefront6targetE0EEEvT1_
; %bb.0:
	.section	.rodata,"a",@progbits
	.p2align	6, 0x0
	.amdhsa_kernel _ZN7rocprim17ROCPRIM_400000_NS6detail17trampoline_kernelINS0_14default_configENS1_25partition_config_selectorILNS1_17partition_subalgoE6ExNS0_10empty_typeEbEEZZNS1_14partition_implILS5_6ELb0ES3_mN6thrust23THRUST_200600_302600_NS6detail15normal_iteratorINSA_10device_ptrIxEEEEPS6_SG_NS0_5tupleIJSF_S6_EEENSH_IJSG_SG_EEES6_PlJNSB_9not_fun_tI7is_trueIxEEEEEE10hipError_tPvRmT3_T4_T5_T6_T7_T9_mT8_P12ihipStream_tbDpT10_ENKUlT_T0_E_clISt17integral_constantIbLb0EES18_EEDaS13_S14_EUlS13_E_NS1_11comp_targetILNS1_3genE9ELNS1_11target_archE1100ELNS1_3gpuE3ELNS1_3repE0EEENS1_30default_config_static_selectorELNS0_4arch9wavefront6targetE0EEEvT1_
		.amdhsa_group_segment_fixed_size 0
		.amdhsa_private_segment_fixed_size 0
		.amdhsa_kernarg_size 112
		.amdhsa_user_sgpr_count 2
		.amdhsa_user_sgpr_dispatch_ptr 0
		.amdhsa_user_sgpr_queue_ptr 0
		.amdhsa_user_sgpr_kernarg_segment_ptr 1
		.amdhsa_user_sgpr_dispatch_id 0
		.amdhsa_user_sgpr_private_segment_size 0
		.amdhsa_wavefront_size32 1
		.amdhsa_uses_dynamic_stack 0
		.amdhsa_enable_private_segment 0
		.amdhsa_system_sgpr_workgroup_id_x 1
		.amdhsa_system_sgpr_workgroup_id_y 0
		.amdhsa_system_sgpr_workgroup_id_z 0
		.amdhsa_system_sgpr_workgroup_info 0
		.amdhsa_system_vgpr_workitem_id 0
		.amdhsa_next_free_vgpr 1
		.amdhsa_next_free_sgpr 1
		.amdhsa_reserve_vcc 0
		.amdhsa_float_round_mode_32 0
		.amdhsa_float_round_mode_16_64 0
		.amdhsa_float_denorm_mode_32 3
		.amdhsa_float_denorm_mode_16_64 3
		.amdhsa_fp16_overflow 0
		.amdhsa_workgroup_processor_mode 1
		.amdhsa_memory_ordered 1
		.amdhsa_forward_progress 1
		.amdhsa_inst_pref_size 0
		.amdhsa_round_robin_scheduling 0
		.amdhsa_exception_fp_ieee_invalid_op 0
		.amdhsa_exception_fp_denorm_src 0
		.amdhsa_exception_fp_ieee_div_zero 0
		.amdhsa_exception_fp_ieee_overflow 0
		.amdhsa_exception_fp_ieee_underflow 0
		.amdhsa_exception_fp_ieee_inexact 0
		.amdhsa_exception_int_div_zero 0
	.end_amdhsa_kernel
	.section	.text._ZN7rocprim17ROCPRIM_400000_NS6detail17trampoline_kernelINS0_14default_configENS1_25partition_config_selectorILNS1_17partition_subalgoE6ExNS0_10empty_typeEbEEZZNS1_14partition_implILS5_6ELb0ES3_mN6thrust23THRUST_200600_302600_NS6detail15normal_iteratorINSA_10device_ptrIxEEEEPS6_SG_NS0_5tupleIJSF_S6_EEENSH_IJSG_SG_EEES6_PlJNSB_9not_fun_tI7is_trueIxEEEEEE10hipError_tPvRmT3_T4_T5_T6_T7_T9_mT8_P12ihipStream_tbDpT10_ENKUlT_T0_E_clISt17integral_constantIbLb0EES18_EEDaS13_S14_EUlS13_E_NS1_11comp_targetILNS1_3genE9ELNS1_11target_archE1100ELNS1_3gpuE3ELNS1_3repE0EEENS1_30default_config_static_selectorELNS0_4arch9wavefront6targetE0EEEvT1_,"axG",@progbits,_ZN7rocprim17ROCPRIM_400000_NS6detail17trampoline_kernelINS0_14default_configENS1_25partition_config_selectorILNS1_17partition_subalgoE6ExNS0_10empty_typeEbEEZZNS1_14partition_implILS5_6ELb0ES3_mN6thrust23THRUST_200600_302600_NS6detail15normal_iteratorINSA_10device_ptrIxEEEEPS6_SG_NS0_5tupleIJSF_S6_EEENSH_IJSG_SG_EEES6_PlJNSB_9not_fun_tI7is_trueIxEEEEEE10hipError_tPvRmT3_T4_T5_T6_T7_T9_mT8_P12ihipStream_tbDpT10_ENKUlT_T0_E_clISt17integral_constantIbLb0EES18_EEDaS13_S14_EUlS13_E_NS1_11comp_targetILNS1_3genE9ELNS1_11target_archE1100ELNS1_3gpuE3ELNS1_3repE0EEENS1_30default_config_static_selectorELNS0_4arch9wavefront6targetE0EEEvT1_,comdat
.Lfunc_end1211:
	.size	_ZN7rocprim17ROCPRIM_400000_NS6detail17trampoline_kernelINS0_14default_configENS1_25partition_config_selectorILNS1_17partition_subalgoE6ExNS0_10empty_typeEbEEZZNS1_14partition_implILS5_6ELb0ES3_mN6thrust23THRUST_200600_302600_NS6detail15normal_iteratorINSA_10device_ptrIxEEEEPS6_SG_NS0_5tupleIJSF_S6_EEENSH_IJSG_SG_EEES6_PlJNSB_9not_fun_tI7is_trueIxEEEEEE10hipError_tPvRmT3_T4_T5_T6_T7_T9_mT8_P12ihipStream_tbDpT10_ENKUlT_T0_E_clISt17integral_constantIbLb0EES18_EEDaS13_S14_EUlS13_E_NS1_11comp_targetILNS1_3genE9ELNS1_11target_archE1100ELNS1_3gpuE3ELNS1_3repE0EEENS1_30default_config_static_selectorELNS0_4arch9wavefront6targetE0EEEvT1_, .Lfunc_end1211-_ZN7rocprim17ROCPRIM_400000_NS6detail17trampoline_kernelINS0_14default_configENS1_25partition_config_selectorILNS1_17partition_subalgoE6ExNS0_10empty_typeEbEEZZNS1_14partition_implILS5_6ELb0ES3_mN6thrust23THRUST_200600_302600_NS6detail15normal_iteratorINSA_10device_ptrIxEEEEPS6_SG_NS0_5tupleIJSF_S6_EEENSH_IJSG_SG_EEES6_PlJNSB_9not_fun_tI7is_trueIxEEEEEE10hipError_tPvRmT3_T4_T5_T6_T7_T9_mT8_P12ihipStream_tbDpT10_ENKUlT_T0_E_clISt17integral_constantIbLb0EES18_EEDaS13_S14_EUlS13_E_NS1_11comp_targetILNS1_3genE9ELNS1_11target_archE1100ELNS1_3gpuE3ELNS1_3repE0EEENS1_30default_config_static_selectorELNS0_4arch9wavefront6targetE0EEEvT1_
                                        ; -- End function
	.set _ZN7rocprim17ROCPRIM_400000_NS6detail17trampoline_kernelINS0_14default_configENS1_25partition_config_selectorILNS1_17partition_subalgoE6ExNS0_10empty_typeEbEEZZNS1_14partition_implILS5_6ELb0ES3_mN6thrust23THRUST_200600_302600_NS6detail15normal_iteratorINSA_10device_ptrIxEEEEPS6_SG_NS0_5tupleIJSF_S6_EEENSH_IJSG_SG_EEES6_PlJNSB_9not_fun_tI7is_trueIxEEEEEE10hipError_tPvRmT3_T4_T5_T6_T7_T9_mT8_P12ihipStream_tbDpT10_ENKUlT_T0_E_clISt17integral_constantIbLb0EES18_EEDaS13_S14_EUlS13_E_NS1_11comp_targetILNS1_3genE9ELNS1_11target_archE1100ELNS1_3gpuE3ELNS1_3repE0EEENS1_30default_config_static_selectorELNS0_4arch9wavefront6targetE0EEEvT1_.num_vgpr, 0
	.set _ZN7rocprim17ROCPRIM_400000_NS6detail17trampoline_kernelINS0_14default_configENS1_25partition_config_selectorILNS1_17partition_subalgoE6ExNS0_10empty_typeEbEEZZNS1_14partition_implILS5_6ELb0ES3_mN6thrust23THRUST_200600_302600_NS6detail15normal_iteratorINSA_10device_ptrIxEEEEPS6_SG_NS0_5tupleIJSF_S6_EEENSH_IJSG_SG_EEES6_PlJNSB_9not_fun_tI7is_trueIxEEEEEE10hipError_tPvRmT3_T4_T5_T6_T7_T9_mT8_P12ihipStream_tbDpT10_ENKUlT_T0_E_clISt17integral_constantIbLb0EES18_EEDaS13_S14_EUlS13_E_NS1_11comp_targetILNS1_3genE9ELNS1_11target_archE1100ELNS1_3gpuE3ELNS1_3repE0EEENS1_30default_config_static_selectorELNS0_4arch9wavefront6targetE0EEEvT1_.num_agpr, 0
	.set _ZN7rocprim17ROCPRIM_400000_NS6detail17trampoline_kernelINS0_14default_configENS1_25partition_config_selectorILNS1_17partition_subalgoE6ExNS0_10empty_typeEbEEZZNS1_14partition_implILS5_6ELb0ES3_mN6thrust23THRUST_200600_302600_NS6detail15normal_iteratorINSA_10device_ptrIxEEEEPS6_SG_NS0_5tupleIJSF_S6_EEENSH_IJSG_SG_EEES6_PlJNSB_9not_fun_tI7is_trueIxEEEEEE10hipError_tPvRmT3_T4_T5_T6_T7_T9_mT8_P12ihipStream_tbDpT10_ENKUlT_T0_E_clISt17integral_constantIbLb0EES18_EEDaS13_S14_EUlS13_E_NS1_11comp_targetILNS1_3genE9ELNS1_11target_archE1100ELNS1_3gpuE3ELNS1_3repE0EEENS1_30default_config_static_selectorELNS0_4arch9wavefront6targetE0EEEvT1_.numbered_sgpr, 0
	.set _ZN7rocprim17ROCPRIM_400000_NS6detail17trampoline_kernelINS0_14default_configENS1_25partition_config_selectorILNS1_17partition_subalgoE6ExNS0_10empty_typeEbEEZZNS1_14partition_implILS5_6ELb0ES3_mN6thrust23THRUST_200600_302600_NS6detail15normal_iteratorINSA_10device_ptrIxEEEEPS6_SG_NS0_5tupleIJSF_S6_EEENSH_IJSG_SG_EEES6_PlJNSB_9not_fun_tI7is_trueIxEEEEEE10hipError_tPvRmT3_T4_T5_T6_T7_T9_mT8_P12ihipStream_tbDpT10_ENKUlT_T0_E_clISt17integral_constantIbLb0EES18_EEDaS13_S14_EUlS13_E_NS1_11comp_targetILNS1_3genE9ELNS1_11target_archE1100ELNS1_3gpuE3ELNS1_3repE0EEENS1_30default_config_static_selectorELNS0_4arch9wavefront6targetE0EEEvT1_.num_named_barrier, 0
	.set _ZN7rocprim17ROCPRIM_400000_NS6detail17trampoline_kernelINS0_14default_configENS1_25partition_config_selectorILNS1_17partition_subalgoE6ExNS0_10empty_typeEbEEZZNS1_14partition_implILS5_6ELb0ES3_mN6thrust23THRUST_200600_302600_NS6detail15normal_iteratorINSA_10device_ptrIxEEEEPS6_SG_NS0_5tupleIJSF_S6_EEENSH_IJSG_SG_EEES6_PlJNSB_9not_fun_tI7is_trueIxEEEEEE10hipError_tPvRmT3_T4_T5_T6_T7_T9_mT8_P12ihipStream_tbDpT10_ENKUlT_T0_E_clISt17integral_constantIbLb0EES18_EEDaS13_S14_EUlS13_E_NS1_11comp_targetILNS1_3genE9ELNS1_11target_archE1100ELNS1_3gpuE3ELNS1_3repE0EEENS1_30default_config_static_selectorELNS0_4arch9wavefront6targetE0EEEvT1_.private_seg_size, 0
	.set _ZN7rocprim17ROCPRIM_400000_NS6detail17trampoline_kernelINS0_14default_configENS1_25partition_config_selectorILNS1_17partition_subalgoE6ExNS0_10empty_typeEbEEZZNS1_14partition_implILS5_6ELb0ES3_mN6thrust23THRUST_200600_302600_NS6detail15normal_iteratorINSA_10device_ptrIxEEEEPS6_SG_NS0_5tupleIJSF_S6_EEENSH_IJSG_SG_EEES6_PlJNSB_9not_fun_tI7is_trueIxEEEEEE10hipError_tPvRmT3_T4_T5_T6_T7_T9_mT8_P12ihipStream_tbDpT10_ENKUlT_T0_E_clISt17integral_constantIbLb0EES18_EEDaS13_S14_EUlS13_E_NS1_11comp_targetILNS1_3genE9ELNS1_11target_archE1100ELNS1_3gpuE3ELNS1_3repE0EEENS1_30default_config_static_selectorELNS0_4arch9wavefront6targetE0EEEvT1_.uses_vcc, 0
	.set _ZN7rocprim17ROCPRIM_400000_NS6detail17trampoline_kernelINS0_14default_configENS1_25partition_config_selectorILNS1_17partition_subalgoE6ExNS0_10empty_typeEbEEZZNS1_14partition_implILS5_6ELb0ES3_mN6thrust23THRUST_200600_302600_NS6detail15normal_iteratorINSA_10device_ptrIxEEEEPS6_SG_NS0_5tupleIJSF_S6_EEENSH_IJSG_SG_EEES6_PlJNSB_9not_fun_tI7is_trueIxEEEEEE10hipError_tPvRmT3_T4_T5_T6_T7_T9_mT8_P12ihipStream_tbDpT10_ENKUlT_T0_E_clISt17integral_constantIbLb0EES18_EEDaS13_S14_EUlS13_E_NS1_11comp_targetILNS1_3genE9ELNS1_11target_archE1100ELNS1_3gpuE3ELNS1_3repE0EEENS1_30default_config_static_selectorELNS0_4arch9wavefront6targetE0EEEvT1_.uses_flat_scratch, 0
	.set _ZN7rocprim17ROCPRIM_400000_NS6detail17trampoline_kernelINS0_14default_configENS1_25partition_config_selectorILNS1_17partition_subalgoE6ExNS0_10empty_typeEbEEZZNS1_14partition_implILS5_6ELb0ES3_mN6thrust23THRUST_200600_302600_NS6detail15normal_iteratorINSA_10device_ptrIxEEEEPS6_SG_NS0_5tupleIJSF_S6_EEENSH_IJSG_SG_EEES6_PlJNSB_9not_fun_tI7is_trueIxEEEEEE10hipError_tPvRmT3_T4_T5_T6_T7_T9_mT8_P12ihipStream_tbDpT10_ENKUlT_T0_E_clISt17integral_constantIbLb0EES18_EEDaS13_S14_EUlS13_E_NS1_11comp_targetILNS1_3genE9ELNS1_11target_archE1100ELNS1_3gpuE3ELNS1_3repE0EEENS1_30default_config_static_selectorELNS0_4arch9wavefront6targetE0EEEvT1_.has_dyn_sized_stack, 0
	.set _ZN7rocprim17ROCPRIM_400000_NS6detail17trampoline_kernelINS0_14default_configENS1_25partition_config_selectorILNS1_17partition_subalgoE6ExNS0_10empty_typeEbEEZZNS1_14partition_implILS5_6ELb0ES3_mN6thrust23THRUST_200600_302600_NS6detail15normal_iteratorINSA_10device_ptrIxEEEEPS6_SG_NS0_5tupleIJSF_S6_EEENSH_IJSG_SG_EEES6_PlJNSB_9not_fun_tI7is_trueIxEEEEEE10hipError_tPvRmT3_T4_T5_T6_T7_T9_mT8_P12ihipStream_tbDpT10_ENKUlT_T0_E_clISt17integral_constantIbLb0EES18_EEDaS13_S14_EUlS13_E_NS1_11comp_targetILNS1_3genE9ELNS1_11target_archE1100ELNS1_3gpuE3ELNS1_3repE0EEENS1_30default_config_static_selectorELNS0_4arch9wavefront6targetE0EEEvT1_.has_recursion, 0
	.set _ZN7rocprim17ROCPRIM_400000_NS6detail17trampoline_kernelINS0_14default_configENS1_25partition_config_selectorILNS1_17partition_subalgoE6ExNS0_10empty_typeEbEEZZNS1_14partition_implILS5_6ELb0ES3_mN6thrust23THRUST_200600_302600_NS6detail15normal_iteratorINSA_10device_ptrIxEEEEPS6_SG_NS0_5tupleIJSF_S6_EEENSH_IJSG_SG_EEES6_PlJNSB_9not_fun_tI7is_trueIxEEEEEE10hipError_tPvRmT3_T4_T5_T6_T7_T9_mT8_P12ihipStream_tbDpT10_ENKUlT_T0_E_clISt17integral_constantIbLb0EES18_EEDaS13_S14_EUlS13_E_NS1_11comp_targetILNS1_3genE9ELNS1_11target_archE1100ELNS1_3gpuE3ELNS1_3repE0EEENS1_30default_config_static_selectorELNS0_4arch9wavefront6targetE0EEEvT1_.has_indirect_call, 0
	.section	.AMDGPU.csdata,"",@progbits
; Kernel info:
; codeLenInByte = 0
; TotalNumSgprs: 0
; NumVgprs: 0
; ScratchSize: 0
; MemoryBound: 0
; FloatMode: 240
; IeeeMode: 1
; LDSByteSize: 0 bytes/workgroup (compile time only)
; SGPRBlocks: 0
; VGPRBlocks: 0
; NumSGPRsForWavesPerEU: 1
; NumVGPRsForWavesPerEU: 1
; Occupancy: 16
; WaveLimiterHint : 0
; COMPUTE_PGM_RSRC2:SCRATCH_EN: 0
; COMPUTE_PGM_RSRC2:USER_SGPR: 2
; COMPUTE_PGM_RSRC2:TRAP_HANDLER: 0
; COMPUTE_PGM_RSRC2:TGID_X_EN: 1
; COMPUTE_PGM_RSRC2:TGID_Y_EN: 0
; COMPUTE_PGM_RSRC2:TGID_Z_EN: 0
; COMPUTE_PGM_RSRC2:TIDIG_COMP_CNT: 0
	.section	.text._ZN7rocprim17ROCPRIM_400000_NS6detail17trampoline_kernelINS0_14default_configENS1_25partition_config_selectorILNS1_17partition_subalgoE6ExNS0_10empty_typeEbEEZZNS1_14partition_implILS5_6ELb0ES3_mN6thrust23THRUST_200600_302600_NS6detail15normal_iteratorINSA_10device_ptrIxEEEEPS6_SG_NS0_5tupleIJSF_S6_EEENSH_IJSG_SG_EEES6_PlJNSB_9not_fun_tI7is_trueIxEEEEEE10hipError_tPvRmT3_T4_T5_T6_T7_T9_mT8_P12ihipStream_tbDpT10_ENKUlT_T0_E_clISt17integral_constantIbLb0EES18_EEDaS13_S14_EUlS13_E_NS1_11comp_targetILNS1_3genE8ELNS1_11target_archE1030ELNS1_3gpuE2ELNS1_3repE0EEENS1_30default_config_static_selectorELNS0_4arch9wavefront6targetE0EEEvT1_,"axG",@progbits,_ZN7rocprim17ROCPRIM_400000_NS6detail17trampoline_kernelINS0_14default_configENS1_25partition_config_selectorILNS1_17partition_subalgoE6ExNS0_10empty_typeEbEEZZNS1_14partition_implILS5_6ELb0ES3_mN6thrust23THRUST_200600_302600_NS6detail15normal_iteratorINSA_10device_ptrIxEEEEPS6_SG_NS0_5tupleIJSF_S6_EEENSH_IJSG_SG_EEES6_PlJNSB_9not_fun_tI7is_trueIxEEEEEE10hipError_tPvRmT3_T4_T5_T6_T7_T9_mT8_P12ihipStream_tbDpT10_ENKUlT_T0_E_clISt17integral_constantIbLb0EES18_EEDaS13_S14_EUlS13_E_NS1_11comp_targetILNS1_3genE8ELNS1_11target_archE1030ELNS1_3gpuE2ELNS1_3repE0EEENS1_30default_config_static_selectorELNS0_4arch9wavefront6targetE0EEEvT1_,comdat
	.protected	_ZN7rocprim17ROCPRIM_400000_NS6detail17trampoline_kernelINS0_14default_configENS1_25partition_config_selectorILNS1_17partition_subalgoE6ExNS0_10empty_typeEbEEZZNS1_14partition_implILS5_6ELb0ES3_mN6thrust23THRUST_200600_302600_NS6detail15normal_iteratorINSA_10device_ptrIxEEEEPS6_SG_NS0_5tupleIJSF_S6_EEENSH_IJSG_SG_EEES6_PlJNSB_9not_fun_tI7is_trueIxEEEEEE10hipError_tPvRmT3_T4_T5_T6_T7_T9_mT8_P12ihipStream_tbDpT10_ENKUlT_T0_E_clISt17integral_constantIbLb0EES18_EEDaS13_S14_EUlS13_E_NS1_11comp_targetILNS1_3genE8ELNS1_11target_archE1030ELNS1_3gpuE2ELNS1_3repE0EEENS1_30default_config_static_selectorELNS0_4arch9wavefront6targetE0EEEvT1_ ; -- Begin function _ZN7rocprim17ROCPRIM_400000_NS6detail17trampoline_kernelINS0_14default_configENS1_25partition_config_selectorILNS1_17partition_subalgoE6ExNS0_10empty_typeEbEEZZNS1_14partition_implILS5_6ELb0ES3_mN6thrust23THRUST_200600_302600_NS6detail15normal_iteratorINSA_10device_ptrIxEEEEPS6_SG_NS0_5tupleIJSF_S6_EEENSH_IJSG_SG_EEES6_PlJNSB_9not_fun_tI7is_trueIxEEEEEE10hipError_tPvRmT3_T4_T5_T6_T7_T9_mT8_P12ihipStream_tbDpT10_ENKUlT_T0_E_clISt17integral_constantIbLb0EES18_EEDaS13_S14_EUlS13_E_NS1_11comp_targetILNS1_3genE8ELNS1_11target_archE1030ELNS1_3gpuE2ELNS1_3repE0EEENS1_30default_config_static_selectorELNS0_4arch9wavefront6targetE0EEEvT1_
	.globl	_ZN7rocprim17ROCPRIM_400000_NS6detail17trampoline_kernelINS0_14default_configENS1_25partition_config_selectorILNS1_17partition_subalgoE6ExNS0_10empty_typeEbEEZZNS1_14partition_implILS5_6ELb0ES3_mN6thrust23THRUST_200600_302600_NS6detail15normal_iteratorINSA_10device_ptrIxEEEEPS6_SG_NS0_5tupleIJSF_S6_EEENSH_IJSG_SG_EEES6_PlJNSB_9not_fun_tI7is_trueIxEEEEEE10hipError_tPvRmT3_T4_T5_T6_T7_T9_mT8_P12ihipStream_tbDpT10_ENKUlT_T0_E_clISt17integral_constantIbLb0EES18_EEDaS13_S14_EUlS13_E_NS1_11comp_targetILNS1_3genE8ELNS1_11target_archE1030ELNS1_3gpuE2ELNS1_3repE0EEENS1_30default_config_static_selectorELNS0_4arch9wavefront6targetE0EEEvT1_
	.p2align	8
	.type	_ZN7rocprim17ROCPRIM_400000_NS6detail17trampoline_kernelINS0_14default_configENS1_25partition_config_selectorILNS1_17partition_subalgoE6ExNS0_10empty_typeEbEEZZNS1_14partition_implILS5_6ELb0ES3_mN6thrust23THRUST_200600_302600_NS6detail15normal_iteratorINSA_10device_ptrIxEEEEPS6_SG_NS0_5tupleIJSF_S6_EEENSH_IJSG_SG_EEES6_PlJNSB_9not_fun_tI7is_trueIxEEEEEE10hipError_tPvRmT3_T4_T5_T6_T7_T9_mT8_P12ihipStream_tbDpT10_ENKUlT_T0_E_clISt17integral_constantIbLb0EES18_EEDaS13_S14_EUlS13_E_NS1_11comp_targetILNS1_3genE8ELNS1_11target_archE1030ELNS1_3gpuE2ELNS1_3repE0EEENS1_30default_config_static_selectorELNS0_4arch9wavefront6targetE0EEEvT1_,@function
_ZN7rocprim17ROCPRIM_400000_NS6detail17trampoline_kernelINS0_14default_configENS1_25partition_config_selectorILNS1_17partition_subalgoE6ExNS0_10empty_typeEbEEZZNS1_14partition_implILS5_6ELb0ES3_mN6thrust23THRUST_200600_302600_NS6detail15normal_iteratorINSA_10device_ptrIxEEEEPS6_SG_NS0_5tupleIJSF_S6_EEENSH_IJSG_SG_EEES6_PlJNSB_9not_fun_tI7is_trueIxEEEEEE10hipError_tPvRmT3_T4_T5_T6_T7_T9_mT8_P12ihipStream_tbDpT10_ENKUlT_T0_E_clISt17integral_constantIbLb0EES18_EEDaS13_S14_EUlS13_E_NS1_11comp_targetILNS1_3genE8ELNS1_11target_archE1030ELNS1_3gpuE2ELNS1_3repE0EEENS1_30default_config_static_selectorELNS0_4arch9wavefront6targetE0EEEvT1_: ; @_ZN7rocprim17ROCPRIM_400000_NS6detail17trampoline_kernelINS0_14default_configENS1_25partition_config_selectorILNS1_17partition_subalgoE6ExNS0_10empty_typeEbEEZZNS1_14partition_implILS5_6ELb0ES3_mN6thrust23THRUST_200600_302600_NS6detail15normal_iteratorINSA_10device_ptrIxEEEEPS6_SG_NS0_5tupleIJSF_S6_EEENSH_IJSG_SG_EEES6_PlJNSB_9not_fun_tI7is_trueIxEEEEEE10hipError_tPvRmT3_T4_T5_T6_T7_T9_mT8_P12ihipStream_tbDpT10_ENKUlT_T0_E_clISt17integral_constantIbLb0EES18_EEDaS13_S14_EUlS13_E_NS1_11comp_targetILNS1_3genE8ELNS1_11target_archE1030ELNS1_3gpuE2ELNS1_3repE0EEENS1_30default_config_static_selectorELNS0_4arch9wavefront6targetE0EEEvT1_
; %bb.0:
	.section	.rodata,"a",@progbits
	.p2align	6, 0x0
	.amdhsa_kernel _ZN7rocprim17ROCPRIM_400000_NS6detail17trampoline_kernelINS0_14default_configENS1_25partition_config_selectorILNS1_17partition_subalgoE6ExNS0_10empty_typeEbEEZZNS1_14partition_implILS5_6ELb0ES3_mN6thrust23THRUST_200600_302600_NS6detail15normal_iteratorINSA_10device_ptrIxEEEEPS6_SG_NS0_5tupleIJSF_S6_EEENSH_IJSG_SG_EEES6_PlJNSB_9not_fun_tI7is_trueIxEEEEEE10hipError_tPvRmT3_T4_T5_T6_T7_T9_mT8_P12ihipStream_tbDpT10_ENKUlT_T0_E_clISt17integral_constantIbLb0EES18_EEDaS13_S14_EUlS13_E_NS1_11comp_targetILNS1_3genE8ELNS1_11target_archE1030ELNS1_3gpuE2ELNS1_3repE0EEENS1_30default_config_static_selectorELNS0_4arch9wavefront6targetE0EEEvT1_
		.amdhsa_group_segment_fixed_size 0
		.amdhsa_private_segment_fixed_size 0
		.amdhsa_kernarg_size 112
		.amdhsa_user_sgpr_count 2
		.amdhsa_user_sgpr_dispatch_ptr 0
		.amdhsa_user_sgpr_queue_ptr 0
		.amdhsa_user_sgpr_kernarg_segment_ptr 1
		.amdhsa_user_sgpr_dispatch_id 0
		.amdhsa_user_sgpr_private_segment_size 0
		.amdhsa_wavefront_size32 1
		.amdhsa_uses_dynamic_stack 0
		.amdhsa_enable_private_segment 0
		.amdhsa_system_sgpr_workgroup_id_x 1
		.amdhsa_system_sgpr_workgroup_id_y 0
		.amdhsa_system_sgpr_workgroup_id_z 0
		.amdhsa_system_sgpr_workgroup_info 0
		.amdhsa_system_vgpr_workitem_id 0
		.amdhsa_next_free_vgpr 1
		.amdhsa_next_free_sgpr 1
		.amdhsa_reserve_vcc 0
		.amdhsa_float_round_mode_32 0
		.amdhsa_float_round_mode_16_64 0
		.amdhsa_float_denorm_mode_32 3
		.amdhsa_float_denorm_mode_16_64 3
		.amdhsa_fp16_overflow 0
		.amdhsa_workgroup_processor_mode 1
		.amdhsa_memory_ordered 1
		.amdhsa_forward_progress 1
		.amdhsa_inst_pref_size 0
		.amdhsa_round_robin_scheduling 0
		.amdhsa_exception_fp_ieee_invalid_op 0
		.amdhsa_exception_fp_denorm_src 0
		.amdhsa_exception_fp_ieee_div_zero 0
		.amdhsa_exception_fp_ieee_overflow 0
		.amdhsa_exception_fp_ieee_underflow 0
		.amdhsa_exception_fp_ieee_inexact 0
		.amdhsa_exception_int_div_zero 0
	.end_amdhsa_kernel
	.section	.text._ZN7rocprim17ROCPRIM_400000_NS6detail17trampoline_kernelINS0_14default_configENS1_25partition_config_selectorILNS1_17partition_subalgoE6ExNS0_10empty_typeEbEEZZNS1_14partition_implILS5_6ELb0ES3_mN6thrust23THRUST_200600_302600_NS6detail15normal_iteratorINSA_10device_ptrIxEEEEPS6_SG_NS0_5tupleIJSF_S6_EEENSH_IJSG_SG_EEES6_PlJNSB_9not_fun_tI7is_trueIxEEEEEE10hipError_tPvRmT3_T4_T5_T6_T7_T9_mT8_P12ihipStream_tbDpT10_ENKUlT_T0_E_clISt17integral_constantIbLb0EES18_EEDaS13_S14_EUlS13_E_NS1_11comp_targetILNS1_3genE8ELNS1_11target_archE1030ELNS1_3gpuE2ELNS1_3repE0EEENS1_30default_config_static_selectorELNS0_4arch9wavefront6targetE0EEEvT1_,"axG",@progbits,_ZN7rocprim17ROCPRIM_400000_NS6detail17trampoline_kernelINS0_14default_configENS1_25partition_config_selectorILNS1_17partition_subalgoE6ExNS0_10empty_typeEbEEZZNS1_14partition_implILS5_6ELb0ES3_mN6thrust23THRUST_200600_302600_NS6detail15normal_iteratorINSA_10device_ptrIxEEEEPS6_SG_NS0_5tupleIJSF_S6_EEENSH_IJSG_SG_EEES6_PlJNSB_9not_fun_tI7is_trueIxEEEEEE10hipError_tPvRmT3_T4_T5_T6_T7_T9_mT8_P12ihipStream_tbDpT10_ENKUlT_T0_E_clISt17integral_constantIbLb0EES18_EEDaS13_S14_EUlS13_E_NS1_11comp_targetILNS1_3genE8ELNS1_11target_archE1030ELNS1_3gpuE2ELNS1_3repE0EEENS1_30default_config_static_selectorELNS0_4arch9wavefront6targetE0EEEvT1_,comdat
.Lfunc_end1212:
	.size	_ZN7rocprim17ROCPRIM_400000_NS6detail17trampoline_kernelINS0_14default_configENS1_25partition_config_selectorILNS1_17partition_subalgoE6ExNS0_10empty_typeEbEEZZNS1_14partition_implILS5_6ELb0ES3_mN6thrust23THRUST_200600_302600_NS6detail15normal_iteratorINSA_10device_ptrIxEEEEPS6_SG_NS0_5tupleIJSF_S6_EEENSH_IJSG_SG_EEES6_PlJNSB_9not_fun_tI7is_trueIxEEEEEE10hipError_tPvRmT3_T4_T5_T6_T7_T9_mT8_P12ihipStream_tbDpT10_ENKUlT_T0_E_clISt17integral_constantIbLb0EES18_EEDaS13_S14_EUlS13_E_NS1_11comp_targetILNS1_3genE8ELNS1_11target_archE1030ELNS1_3gpuE2ELNS1_3repE0EEENS1_30default_config_static_selectorELNS0_4arch9wavefront6targetE0EEEvT1_, .Lfunc_end1212-_ZN7rocprim17ROCPRIM_400000_NS6detail17trampoline_kernelINS0_14default_configENS1_25partition_config_selectorILNS1_17partition_subalgoE6ExNS0_10empty_typeEbEEZZNS1_14partition_implILS5_6ELb0ES3_mN6thrust23THRUST_200600_302600_NS6detail15normal_iteratorINSA_10device_ptrIxEEEEPS6_SG_NS0_5tupleIJSF_S6_EEENSH_IJSG_SG_EEES6_PlJNSB_9not_fun_tI7is_trueIxEEEEEE10hipError_tPvRmT3_T4_T5_T6_T7_T9_mT8_P12ihipStream_tbDpT10_ENKUlT_T0_E_clISt17integral_constantIbLb0EES18_EEDaS13_S14_EUlS13_E_NS1_11comp_targetILNS1_3genE8ELNS1_11target_archE1030ELNS1_3gpuE2ELNS1_3repE0EEENS1_30default_config_static_selectorELNS0_4arch9wavefront6targetE0EEEvT1_
                                        ; -- End function
	.set _ZN7rocprim17ROCPRIM_400000_NS6detail17trampoline_kernelINS0_14default_configENS1_25partition_config_selectorILNS1_17partition_subalgoE6ExNS0_10empty_typeEbEEZZNS1_14partition_implILS5_6ELb0ES3_mN6thrust23THRUST_200600_302600_NS6detail15normal_iteratorINSA_10device_ptrIxEEEEPS6_SG_NS0_5tupleIJSF_S6_EEENSH_IJSG_SG_EEES6_PlJNSB_9not_fun_tI7is_trueIxEEEEEE10hipError_tPvRmT3_T4_T5_T6_T7_T9_mT8_P12ihipStream_tbDpT10_ENKUlT_T0_E_clISt17integral_constantIbLb0EES18_EEDaS13_S14_EUlS13_E_NS1_11comp_targetILNS1_3genE8ELNS1_11target_archE1030ELNS1_3gpuE2ELNS1_3repE0EEENS1_30default_config_static_selectorELNS0_4arch9wavefront6targetE0EEEvT1_.num_vgpr, 0
	.set _ZN7rocprim17ROCPRIM_400000_NS6detail17trampoline_kernelINS0_14default_configENS1_25partition_config_selectorILNS1_17partition_subalgoE6ExNS0_10empty_typeEbEEZZNS1_14partition_implILS5_6ELb0ES3_mN6thrust23THRUST_200600_302600_NS6detail15normal_iteratorINSA_10device_ptrIxEEEEPS6_SG_NS0_5tupleIJSF_S6_EEENSH_IJSG_SG_EEES6_PlJNSB_9not_fun_tI7is_trueIxEEEEEE10hipError_tPvRmT3_T4_T5_T6_T7_T9_mT8_P12ihipStream_tbDpT10_ENKUlT_T0_E_clISt17integral_constantIbLb0EES18_EEDaS13_S14_EUlS13_E_NS1_11comp_targetILNS1_3genE8ELNS1_11target_archE1030ELNS1_3gpuE2ELNS1_3repE0EEENS1_30default_config_static_selectorELNS0_4arch9wavefront6targetE0EEEvT1_.num_agpr, 0
	.set _ZN7rocprim17ROCPRIM_400000_NS6detail17trampoline_kernelINS0_14default_configENS1_25partition_config_selectorILNS1_17partition_subalgoE6ExNS0_10empty_typeEbEEZZNS1_14partition_implILS5_6ELb0ES3_mN6thrust23THRUST_200600_302600_NS6detail15normal_iteratorINSA_10device_ptrIxEEEEPS6_SG_NS0_5tupleIJSF_S6_EEENSH_IJSG_SG_EEES6_PlJNSB_9not_fun_tI7is_trueIxEEEEEE10hipError_tPvRmT3_T4_T5_T6_T7_T9_mT8_P12ihipStream_tbDpT10_ENKUlT_T0_E_clISt17integral_constantIbLb0EES18_EEDaS13_S14_EUlS13_E_NS1_11comp_targetILNS1_3genE8ELNS1_11target_archE1030ELNS1_3gpuE2ELNS1_3repE0EEENS1_30default_config_static_selectorELNS0_4arch9wavefront6targetE0EEEvT1_.numbered_sgpr, 0
	.set _ZN7rocprim17ROCPRIM_400000_NS6detail17trampoline_kernelINS0_14default_configENS1_25partition_config_selectorILNS1_17partition_subalgoE6ExNS0_10empty_typeEbEEZZNS1_14partition_implILS5_6ELb0ES3_mN6thrust23THRUST_200600_302600_NS6detail15normal_iteratorINSA_10device_ptrIxEEEEPS6_SG_NS0_5tupleIJSF_S6_EEENSH_IJSG_SG_EEES6_PlJNSB_9not_fun_tI7is_trueIxEEEEEE10hipError_tPvRmT3_T4_T5_T6_T7_T9_mT8_P12ihipStream_tbDpT10_ENKUlT_T0_E_clISt17integral_constantIbLb0EES18_EEDaS13_S14_EUlS13_E_NS1_11comp_targetILNS1_3genE8ELNS1_11target_archE1030ELNS1_3gpuE2ELNS1_3repE0EEENS1_30default_config_static_selectorELNS0_4arch9wavefront6targetE0EEEvT1_.num_named_barrier, 0
	.set _ZN7rocprim17ROCPRIM_400000_NS6detail17trampoline_kernelINS0_14default_configENS1_25partition_config_selectorILNS1_17partition_subalgoE6ExNS0_10empty_typeEbEEZZNS1_14partition_implILS5_6ELb0ES3_mN6thrust23THRUST_200600_302600_NS6detail15normal_iteratorINSA_10device_ptrIxEEEEPS6_SG_NS0_5tupleIJSF_S6_EEENSH_IJSG_SG_EEES6_PlJNSB_9not_fun_tI7is_trueIxEEEEEE10hipError_tPvRmT3_T4_T5_T6_T7_T9_mT8_P12ihipStream_tbDpT10_ENKUlT_T0_E_clISt17integral_constantIbLb0EES18_EEDaS13_S14_EUlS13_E_NS1_11comp_targetILNS1_3genE8ELNS1_11target_archE1030ELNS1_3gpuE2ELNS1_3repE0EEENS1_30default_config_static_selectorELNS0_4arch9wavefront6targetE0EEEvT1_.private_seg_size, 0
	.set _ZN7rocprim17ROCPRIM_400000_NS6detail17trampoline_kernelINS0_14default_configENS1_25partition_config_selectorILNS1_17partition_subalgoE6ExNS0_10empty_typeEbEEZZNS1_14partition_implILS5_6ELb0ES3_mN6thrust23THRUST_200600_302600_NS6detail15normal_iteratorINSA_10device_ptrIxEEEEPS6_SG_NS0_5tupleIJSF_S6_EEENSH_IJSG_SG_EEES6_PlJNSB_9not_fun_tI7is_trueIxEEEEEE10hipError_tPvRmT3_T4_T5_T6_T7_T9_mT8_P12ihipStream_tbDpT10_ENKUlT_T0_E_clISt17integral_constantIbLb0EES18_EEDaS13_S14_EUlS13_E_NS1_11comp_targetILNS1_3genE8ELNS1_11target_archE1030ELNS1_3gpuE2ELNS1_3repE0EEENS1_30default_config_static_selectorELNS0_4arch9wavefront6targetE0EEEvT1_.uses_vcc, 0
	.set _ZN7rocprim17ROCPRIM_400000_NS6detail17trampoline_kernelINS0_14default_configENS1_25partition_config_selectorILNS1_17partition_subalgoE6ExNS0_10empty_typeEbEEZZNS1_14partition_implILS5_6ELb0ES3_mN6thrust23THRUST_200600_302600_NS6detail15normal_iteratorINSA_10device_ptrIxEEEEPS6_SG_NS0_5tupleIJSF_S6_EEENSH_IJSG_SG_EEES6_PlJNSB_9not_fun_tI7is_trueIxEEEEEE10hipError_tPvRmT3_T4_T5_T6_T7_T9_mT8_P12ihipStream_tbDpT10_ENKUlT_T0_E_clISt17integral_constantIbLb0EES18_EEDaS13_S14_EUlS13_E_NS1_11comp_targetILNS1_3genE8ELNS1_11target_archE1030ELNS1_3gpuE2ELNS1_3repE0EEENS1_30default_config_static_selectorELNS0_4arch9wavefront6targetE0EEEvT1_.uses_flat_scratch, 0
	.set _ZN7rocprim17ROCPRIM_400000_NS6detail17trampoline_kernelINS0_14default_configENS1_25partition_config_selectorILNS1_17partition_subalgoE6ExNS0_10empty_typeEbEEZZNS1_14partition_implILS5_6ELb0ES3_mN6thrust23THRUST_200600_302600_NS6detail15normal_iteratorINSA_10device_ptrIxEEEEPS6_SG_NS0_5tupleIJSF_S6_EEENSH_IJSG_SG_EEES6_PlJNSB_9not_fun_tI7is_trueIxEEEEEE10hipError_tPvRmT3_T4_T5_T6_T7_T9_mT8_P12ihipStream_tbDpT10_ENKUlT_T0_E_clISt17integral_constantIbLb0EES18_EEDaS13_S14_EUlS13_E_NS1_11comp_targetILNS1_3genE8ELNS1_11target_archE1030ELNS1_3gpuE2ELNS1_3repE0EEENS1_30default_config_static_selectorELNS0_4arch9wavefront6targetE0EEEvT1_.has_dyn_sized_stack, 0
	.set _ZN7rocprim17ROCPRIM_400000_NS6detail17trampoline_kernelINS0_14default_configENS1_25partition_config_selectorILNS1_17partition_subalgoE6ExNS0_10empty_typeEbEEZZNS1_14partition_implILS5_6ELb0ES3_mN6thrust23THRUST_200600_302600_NS6detail15normal_iteratorINSA_10device_ptrIxEEEEPS6_SG_NS0_5tupleIJSF_S6_EEENSH_IJSG_SG_EEES6_PlJNSB_9not_fun_tI7is_trueIxEEEEEE10hipError_tPvRmT3_T4_T5_T6_T7_T9_mT8_P12ihipStream_tbDpT10_ENKUlT_T0_E_clISt17integral_constantIbLb0EES18_EEDaS13_S14_EUlS13_E_NS1_11comp_targetILNS1_3genE8ELNS1_11target_archE1030ELNS1_3gpuE2ELNS1_3repE0EEENS1_30default_config_static_selectorELNS0_4arch9wavefront6targetE0EEEvT1_.has_recursion, 0
	.set _ZN7rocprim17ROCPRIM_400000_NS6detail17trampoline_kernelINS0_14default_configENS1_25partition_config_selectorILNS1_17partition_subalgoE6ExNS0_10empty_typeEbEEZZNS1_14partition_implILS5_6ELb0ES3_mN6thrust23THRUST_200600_302600_NS6detail15normal_iteratorINSA_10device_ptrIxEEEEPS6_SG_NS0_5tupleIJSF_S6_EEENSH_IJSG_SG_EEES6_PlJNSB_9not_fun_tI7is_trueIxEEEEEE10hipError_tPvRmT3_T4_T5_T6_T7_T9_mT8_P12ihipStream_tbDpT10_ENKUlT_T0_E_clISt17integral_constantIbLb0EES18_EEDaS13_S14_EUlS13_E_NS1_11comp_targetILNS1_3genE8ELNS1_11target_archE1030ELNS1_3gpuE2ELNS1_3repE0EEENS1_30default_config_static_selectorELNS0_4arch9wavefront6targetE0EEEvT1_.has_indirect_call, 0
	.section	.AMDGPU.csdata,"",@progbits
; Kernel info:
; codeLenInByte = 0
; TotalNumSgprs: 0
; NumVgprs: 0
; ScratchSize: 0
; MemoryBound: 0
; FloatMode: 240
; IeeeMode: 1
; LDSByteSize: 0 bytes/workgroup (compile time only)
; SGPRBlocks: 0
; VGPRBlocks: 0
; NumSGPRsForWavesPerEU: 1
; NumVGPRsForWavesPerEU: 1
; Occupancy: 16
; WaveLimiterHint : 0
; COMPUTE_PGM_RSRC2:SCRATCH_EN: 0
; COMPUTE_PGM_RSRC2:USER_SGPR: 2
; COMPUTE_PGM_RSRC2:TRAP_HANDLER: 0
; COMPUTE_PGM_RSRC2:TGID_X_EN: 1
; COMPUTE_PGM_RSRC2:TGID_Y_EN: 0
; COMPUTE_PGM_RSRC2:TGID_Z_EN: 0
; COMPUTE_PGM_RSRC2:TIDIG_COMP_CNT: 0
	.section	.text._ZN7rocprim17ROCPRIM_400000_NS6detail17trampoline_kernelINS0_14default_configENS1_25partition_config_selectorILNS1_17partition_subalgoE6ExNS0_10empty_typeEbEEZZNS1_14partition_implILS5_6ELb0ES3_mN6thrust23THRUST_200600_302600_NS6detail15normal_iteratorINSA_10device_ptrIxEEEEPS6_SG_NS0_5tupleIJSF_S6_EEENSH_IJSG_SG_EEES6_PlJNSB_9not_fun_tI7is_trueIxEEEEEE10hipError_tPvRmT3_T4_T5_T6_T7_T9_mT8_P12ihipStream_tbDpT10_ENKUlT_T0_E_clISt17integral_constantIbLb1EES18_EEDaS13_S14_EUlS13_E_NS1_11comp_targetILNS1_3genE0ELNS1_11target_archE4294967295ELNS1_3gpuE0ELNS1_3repE0EEENS1_30default_config_static_selectorELNS0_4arch9wavefront6targetE0EEEvT1_,"axG",@progbits,_ZN7rocprim17ROCPRIM_400000_NS6detail17trampoline_kernelINS0_14default_configENS1_25partition_config_selectorILNS1_17partition_subalgoE6ExNS0_10empty_typeEbEEZZNS1_14partition_implILS5_6ELb0ES3_mN6thrust23THRUST_200600_302600_NS6detail15normal_iteratorINSA_10device_ptrIxEEEEPS6_SG_NS0_5tupleIJSF_S6_EEENSH_IJSG_SG_EEES6_PlJNSB_9not_fun_tI7is_trueIxEEEEEE10hipError_tPvRmT3_T4_T5_T6_T7_T9_mT8_P12ihipStream_tbDpT10_ENKUlT_T0_E_clISt17integral_constantIbLb1EES18_EEDaS13_S14_EUlS13_E_NS1_11comp_targetILNS1_3genE0ELNS1_11target_archE4294967295ELNS1_3gpuE0ELNS1_3repE0EEENS1_30default_config_static_selectorELNS0_4arch9wavefront6targetE0EEEvT1_,comdat
	.protected	_ZN7rocprim17ROCPRIM_400000_NS6detail17trampoline_kernelINS0_14default_configENS1_25partition_config_selectorILNS1_17partition_subalgoE6ExNS0_10empty_typeEbEEZZNS1_14partition_implILS5_6ELb0ES3_mN6thrust23THRUST_200600_302600_NS6detail15normal_iteratorINSA_10device_ptrIxEEEEPS6_SG_NS0_5tupleIJSF_S6_EEENSH_IJSG_SG_EEES6_PlJNSB_9not_fun_tI7is_trueIxEEEEEE10hipError_tPvRmT3_T4_T5_T6_T7_T9_mT8_P12ihipStream_tbDpT10_ENKUlT_T0_E_clISt17integral_constantIbLb1EES18_EEDaS13_S14_EUlS13_E_NS1_11comp_targetILNS1_3genE0ELNS1_11target_archE4294967295ELNS1_3gpuE0ELNS1_3repE0EEENS1_30default_config_static_selectorELNS0_4arch9wavefront6targetE0EEEvT1_ ; -- Begin function _ZN7rocprim17ROCPRIM_400000_NS6detail17trampoline_kernelINS0_14default_configENS1_25partition_config_selectorILNS1_17partition_subalgoE6ExNS0_10empty_typeEbEEZZNS1_14partition_implILS5_6ELb0ES3_mN6thrust23THRUST_200600_302600_NS6detail15normal_iteratorINSA_10device_ptrIxEEEEPS6_SG_NS0_5tupleIJSF_S6_EEENSH_IJSG_SG_EEES6_PlJNSB_9not_fun_tI7is_trueIxEEEEEE10hipError_tPvRmT3_T4_T5_T6_T7_T9_mT8_P12ihipStream_tbDpT10_ENKUlT_T0_E_clISt17integral_constantIbLb1EES18_EEDaS13_S14_EUlS13_E_NS1_11comp_targetILNS1_3genE0ELNS1_11target_archE4294967295ELNS1_3gpuE0ELNS1_3repE0EEENS1_30default_config_static_selectorELNS0_4arch9wavefront6targetE0EEEvT1_
	.globl	_ZN7rocprim17ROCPRIM_400000_NS6detail17trampoline_kernelINS0_14default_configENS1_25partition_config_selectorILNS1_17partition_subalgoE6ExNS0_10empty_typeEbEEZZNS1_14partition_implILS5_6ELb0ES3_mN6thrust23THRUST_200600_302600_NS6detail15normal_iteratorINSA_10device_ptrIxEEEEPS6_SG_NS0_5tupleIJSF_S6_EEENSH_IJSG_SG_EEES6_PlJNSB_9not_fun_tI7is_trueIxEEEEEE10hipError_tPvRmT3_T4_T5_T6_T7_T9_mT8_P12ihipStream_tbDpT10_ENKUlT_T0_E_clISt17integral_constantIbLb1EES18_EEDaS13_S14_EUlS13_E_NS1_11comp_targetILNS1_3genE0ELNS1_11target_archE4294967295ELNS1_3gpuE0ELNS1_3repE0EEENS1_30default_config_static_selectorELNS0_4arch9wavefront6targetE0EEEvT1_
	.p2align	8
	.type	_ZN7rocprim17ROCPRIM_400000_NS6detail17trampoline_kernelINS0_14default_configENS1_25partition_config_selectorILNS1_17partition_subalgoE6ExNS0_10empty_typeEbEEZZNS1_14partition_implILS5_6ELb0ES3_mN6thrust23THRUST_200600_302600_NS6detail15normal_iteratorINSA_10device_ptrIxEEEEPS6_SG_NS0_5tupleIJSF_S6_EEENSH_IJSG_SG_EEES6_PlJNSB_9not_fun_tI7is_trueIxEEEEEE10hipError_tPvRmT3_T4_T5_T6_T7_T9_mT8_P12ihipStream_tbDpT10_ENKUlT_T0_E_clISt17integral_constantIbLb1EES18_EEDaS13_S14_EUlS13_E_NS1_11comp_targetILNS1_3genE0ELNS1_11target_archE4294967295ELNS1_3gpuE0ELNS1_3repE0EEENS1_30default_config_static_selectorELNS0_4arch9wavefront6targetE0EEEvT1_,@function
_ZN7rocprim17ROCPRIM_400000_NS6detail17trampoline_kernelINS0_14default_configENS1_25partition_config_selectorILNS1_17partition_subalgoE6ExNS0_10empty_typeEbEEZZNS1_14partition_implILS5_6ELb0ES3_mN6thrust23THRUST_200600_302600_NS6detail15normal_iteratorINSA_10device_ptrIxEEEEPS6_SG_NS0_5tupleIJSF_S6_EEENSH_IJSG_SG_EEES6_PlJNSB_9not_fun_tI7is_trueIxEEEEEE10hipError_tPvRmT3_T4_T5_T6_T7_T9_mT8_P12ihipStream_tbDpT10_ENKUlT_T0_E_clISt17integral_constantIbLb1EES18_EEDaS13_S14_EUlS13_E_NS1_11comp_targetILNS1_3genE0ELNS1_11target_archE4294967295ELNS1_3gpuE0ELNS1_3repE0EEENS1_30default_config_static_selectorELNS0_4arch9wavefront6targetE0EEEvT1_: ; @_ZN7rocprim17ROCPRIM_400000_NS6detail17trampoline_kernelINS0_14default_configENS1_25partition_config_selectorILNS1_17partition_subalgoE6ExNS0_10empty_typeEbEEZZNS1_14partition_implILS5_6ELb0ES3_mN6thrust23THRUST_200600_302600_NS6detail15normal_iteratorINSA_10device_ptrIxEEEEPS6_SG_NS0_5tupleIJSF_S6_EEENSH_IJSG_SG_EEES6_PlJNSB_9not_fun_tI7is_trueIxEEEEEE10hipError_tPvRmT3_T4_T5_T6_T7_T9_mT8_P12ihipStream_tbDpT10_ENKUlT_T0_E_clISt17integral_constantIbLb1EES18_EEDaS13_S14_EUlS13_E_NS1_11comp_targetILNS1_3genE0ELNS1_11target_archE4294967295ELNS1_3gpuE0ELNS1_3repE0EEENS1_30default_config_static_selectorELNS0_4arch9wavefront6targetE0EEEvT1_
; %bb.0:
	.section	.rodata,"a",@progbits
	.p2align	6, 0x0
	.amdhsa_kernel _ZN7rocprim17ROCPRIM_400000_NS6detail17trampoline_kernelINS0_14default_configENS1_25partition_config_selectorILNS1_17partition_subalgoE6ExNS0_10empty_typeEbEEZZNS1_14partition_implILS5_6ELb0ES3_mN6thrust23THRUST_200600_302600_NS6detail15normal_iteratorINSA_10device_ptrIxEEEEPS6_SG_NS0_5tupleIJSF_S6_EEENSH_IJSG_SG_EEES6_PlJNSB_9not_fun_tI7is_trueIxEEEEEE10hipError_tPvRmT3_T4_T5_T6_T7_T9_mT8_P12ihipStream_tbDpT10_ENKUlT_T0_E_clISt17integral_constantIbLb1EES18_EEDaS13_S14_EUlS13_E_NS1_11comp_targetILNS1_3genE0ELNS1_11target_archE4294967295ELNS1_3gpuE0ELNS1_3repE0EEENS1_30default_config_static_selectorELNS0_4arch9wavefront6targetE0EEEvT1_
		.amdhsa_group_segment_fixed_size 0
		.amdhsa_private_segment_fixed_size 0
		.amdhsa_kernarg_size 128
		.amdhsa_user_sgpr_count 2
		.amdhsa_user_sgpr_dispatch_ptr 0
		.amdhsa_user_sgpr_queue_ptr 0
		.amdhsa_user_sgpr_kernarg_segment_ptr 1
		.amdhsa_user_sgpr_dispatch_id 0
		.amdhsa_user_sgpr_private_segment_size 0
		.amdhsa_wavefront_size32 1
		.amdhsa_uses_dynamic_stack 0
		.amdhsa_enable_private_segment 0
		.amdhsa_system_sgpr_workgroup_id_x 1
		.amdhsa_system_sgpr_workgroup_id_y 0
		.amdhsa_system_sgpr_workgroup_id_z 0
		.amdhsa_system_sgpr_workgroup_info 0
		.amdhsa_system_vgpr_workitem_id 0
		.amdhsa_next_free_vgpr 1
		.amdhsa_next_free_sgpr 1
		.amdhsa_reserve_vcc 0
		.amdhsa_float_round_mode_32 0
		.amdhsa_float_round_mode_16_64 0
		.amdhsa_float_denorm_mode_32 3
		.amdhsa_float_denorm_mode_16_64 3
		.amdhsa_fp16_overflow 0
		.amdhsa_workgroup_processor_mode 1
		.amdhsa_memory_ordered 1
		.amdhsa_forward_progress 1
		.amdhsa_inst_pref_size 0
		.amdhsa_round_robin_scheduling 0
		.amdhsa_exception_fp_ieee_invalid_op 0
		.amdhsa_exception_fp_denorm_src 0
		.amdhsa_exception_fp_ieee_div_zero 0
		.amdhsa_exception_fp_ieee_overflow 0
		.amdhsa_exception_fp_ieee_underflow 0
		.amdhsa_exception_fp_ieee_inexact 0
		.amdhsa_exception_int_div_zero 0
	.end_amdhsa_kernel
	.section	.text._ZN7rocprim17ROCPRIM_400000_NS6detail17trampoline_kernelINS0_14default_configENS1_25partition_config_selectorILNS1_17partition_subalgoE6ExNS0_10empty_typeEbEEZZNS1_14partition_implILS5_6ELb0ES3_mN6thrust23THRUST_200600_302600_NS6detail15normal_iteratorINSA_10device_ptrIxEEEEPS6_SG_NS0_5tupleIJSF_S6_EEENSH_IJSG_SG_EEES6_PlJNSB_9not_fun_tI7is_trueIxEEEEEE10hipError_tPvRmT3_T4_T5_T6_T7_T9_mT8_P12ihipStream_tbDpT10_ENKUlT_T0_E_clISt17integral_constantIbLb1EES18_EEDaS13_S14_EUlS13_E_NS1_11comp_targetILNS1_3genE0ELNS1_11target_archE4294967295ELNS1_3gpuE0ELNS1_3repE0EEENS1_30default_config_static_selectorELNS0_4arch9wavefront6targetE0EEEvT1_,"axG",@progbits,_ZN7rocprim17ROCPRIM_400000_NS6detail17trampoline_kernelINS0_14default_configENS1_25partition_config_selectorILNS1_17partition_subalgoE6ExNS0_10empty_typeEbEEZZNS1_14partition_implILS5_6ELb0ES3_mN6thrust23THRUST_200600_302600_NS6detail15normal_iteratorINSA_10device_ptrIxEEEEPS6_SG_NS0_5tupleIJSF_S6_EEENSH_IJSG_SG_EEES6_PlJNSB_9not_fun_tI7is_trueIxEEEEEE10hipError_tPvRmT3_T4_T5_T6_T7_T9_mT8_P12ihipStream_tbDpT10_ENKUlT_T0_E_clISt17integral_constantIbLb1EES18_EEDaS13_S14_EUlS13_E_NS1_11comp_targetILNS1_3genE0ELNS1_11target_archE4294967295ELNS1_3gpuE0ELNS1_3repE0EEENS1_30default_config_static_selectorELNS0_4arch9wavefront6targetE0EEEvT1_,comdat
.Lfunc_end1213:
	.size	_ZN7rocprim17ROCPRIM_400000_NS6detail17trampoline_kernelINS0_14default_configENS1_25partition_config_selectorILNS1_17partition_subalgoE6ExNS0_10empty_typeEbEEZZNS1_14partition_implILS5_6ELb0ES3_mN6thrust23THRUST_200600_302600_NS6detail15normal_iteratorINSA_10device_ptrIxEEEEPS6_SG_NS0_5tupleIJSF_S6_EEENSH_IJSG_SG_EEES6_PlJNSB_9not_fun_tI7is_trueIxEEEEEE10hipError_tPvRmT3_T4_T5_T6_T7_T9_mT8_P12ihipStream_tbDpT10_ENKUlT_T0_E_clISt17integral_constantIbLb1EES18_EEDaS13_S14_EUlS13_E_NS1_11comp_targetILNS1_3genE0ELNS1_11target_archE4294967295ELNS1_3gpuE0ELNS1_3repE0EEENS1_30default_config_static_selectorELNS0_4arch9wavefront6targetE0EEEvT1_, .Lfunc_end1213-_ZN7rocprim17ROCPRIM_400000_NS6detail17trampoline_kernelINS0_14default_configENS1_25partition_config_selectorILNS1_17partition_subalgoE6ExNS0_10empty_typeEbEEZZNS1_14partition_implILS5_6ELb0ES3_mN6thrust23THRUST_200600_302600_NS6detail15normal_iteratorINSA_10device_ptrIxEEEEPS6_SG_NS0_5tupleIJSF_S6_EEENSH_IJSG_SG_EEES6_PlJNSB_9not_fun_tI7is_trueIxEEEEEE10hipError_tPvRmT3_T4_T5_T6_T7_T9_mT8_P12ihipStream_tbDpT10_ENKUlT_T0_E_clISt17integral_constantIbLb1EES18_EEDaS13_S14_EUlS13_E_NS1_11comp_targetILNS1_3genE0ELNS1_11target_archE4294967295ELNS1_3gpuE0ELNS1_3repE0EEENS1_30default_config_static_selectorELNS0_4arch9wavefront6targetE0EEEvT1_
                                        ; -- End function
	.set _ZN7rocprim17ROCPRIM_400000_NS6detail17trampoline_kernelINS0_14default_configENS1_25partition_config_selectorILNS1_17partition_subalgoE6ExNS0_10empty_typeEbEEZZNS1_14partition_implILS5_6ELb0ES3_mN6thrust23THRUST_200600_302600_NS6detail15normal_iteratorINSA_10device_ptrIxEEEEPS6_SG_NS0_5tupleIJSF_S6_EEENSH_IJSG_SG_EEES6_PlJNSB_9not_fun_tI7is_trueIxEEEEEE10hipError_tPvRmT3_T4_T5_T6_T7_T9_mT8_P12ihipStream_tbDpT10_ENKUlT_T0_E_clISt17integral_constantIbLb1EES18_EEDaS13_S14_EUlS13_E_NS1_11comp_targetILNS1_3genE0ELNS1_11target_archE4294967295ELNS1_3gpuE0ELNS1_3repE0EEENS1_30default_config_static_selectorELNS0_4arch9wavefront6targetE0EEEvT1_.num_vgpr, 0
	.set _ZN7rocprim17ROCPRIM_400000_NS6detail17trampoline_kernelINS0_14default_configENS1_25partition_config_selectorILNS1_17partition_subalgoE6ExNS0_10empty_typeEbEEZZNS1_14partition_implILS5_6ELb0ES3_mN6thrust23THRUST_200600_302600_NS6detail15normal_iteratorINSA_10device_ptrIxEEEEPS6_SG_NS0_5tupleIJSF_S6_EEENSH_IJSG_SG_EEES6_PlJNSB_9not_fun_tI7is_trueIxEEEEEE10hipError_tPvRmT3_T4_T5_T6_T7_T9_mT8_P12ihipStream_tbDpT10_ENKUlT_T0_E_clISt17integral_constantIbLb1EES18_EEDaS13_S14_EUlS13_E_NS1_11comp_targetILNS1_3genE0ELNS1_11target_archE4294967295ELNS1_3gpuE0ELNS1_3repE0EEENS1_30default_config_static_selectorELNS0_4arch9wavefront6targetE0EEEvT1_.num_agpr, 0
	.set _ZN7rocprim17ROCPRIM_400000_NS6detail17trampoline_kernelINS0_14default_configENS1_25partition_config_selectorILNS1_17partition_subalgoE6ExNS0_10empty_typeEbEEZZNS1_14partition_implILS5_6ELb0ES3_mN6thrust23THRUST_200600_302600_NS6detail15normal_iteratorINSA_10device_ptrIxEEEEPS6_SG_NS0_5tupleIJSF_S6_EEENSH_IJSG_SG_EEES6_PlJNSB_9not_fun_tI7is_trueIxEEEEEE10hipError_tPvRmT3_T4_T5_T6_T7_T9_mT8_P12ihipStream_tbDpT10_ENKUlT_T0_E_clISt17integral_constantIbLb1EES18_EEDaS13_S14_EUlS13_E_NS1_11comp_targetILNS1_3genE0ELNS1_11target_archE4294967295ELNS1_3gpuE0ELNS1_3repE0EEENS1_30default_config_static_selectorELNS0_4arch9wavefront6targetE0EEEvT1_.numbered_sgpr, 0
	.set _ZN7rocprim17ROCPRIM_400000_NS6detail17trampoline_kernelINS0_14default_configENS1_25partition_config_selectorILNS1_17partition_subalgoE6ExNS0_10empty_typeEbEEZZNS1_14partition_implILS5_6ELb0ES3_mN6thrust23THRUST_200600_302600_NS6detail15normal_iteratorINSA_10device_ptrIxEEEEPS6_SG_NS0_5tupleIJSF_S6_EEENSH_IJSG_SG_EEES6_PlJNSB_9not_fun_tI7is_trueIxEEEEEE10hipError_tPvRmT3_T4_T5_T6_T7_T9_mT8_P12ihipStream_tbDpT10_ENKUlT_T0_E_clISt17integral_constantIbLb1EES18_EEDaS13_S14_EUlS13_E_NS1_11comp_targetILNS1_3genE0ELNS1_11target_archE4294967295ELNS1_3gpuE0ELNS1_3repE0EEENS1_30default_config_static_selectorELNS0_4arch9wavefront6targetE0EEEvT1_.num_named_barrier, 0
	.set _ZN7rocprim17ROCPRIM_400000_NS6detail17trampoline_kernelINS0_14default_configENS1_25partition_config_selectorILNS1_17partition_subalgoE6ExNS0_10empty_typeEbEEZZNS1_14partition_implILS5_6ELb0ES3_mN6thrust23THRUST_200600_302600_NS6detail15normal_iteratorINSA_10device_ptrIxEEEEPS6_SG_NS0_5tupleIJSF_S6_EEENSH_IJSG_SG_EEES6_PlJNSB_9not_fun_tI7is_trueIxEEEEEE10hipError_tPvRmT3_T4_T5_T6_T7_T9_mT8_P12ihipStream_tbDpT10_ENKUlT_T0_E_clISt17integral_constantIbLb1EES18_EEDaS13_S14_EUlS13_E_NS1_11comp_targetILNS1_3genE0ELNS1_11target_archE4294967295ELNS1_3gpuE0ELNS1_3repE0EEENS1_30default_config_static_selectorELNS0_4arch9wavefront6targetE0EEEvT1_.private_seg_size, 0
	.set _ZN7rocprim17ROCPRIM_400000_NS6detail17trampoline_kernelINS0_14default_configENS1_25partition_config_selectorILNS1_17partition_subalgoE6ExNS0_10empty_typeEbEEZZNS1_14partition_implILS5_6ELb0ES3_mN6thrust23THRUST_200600_302600_NS6detail15normal_iteratorINSA_10device_ptrIxEEEEPS6_SG_NS0_5tupleIJSF_S6_EEENSH_IJSG_SG_EEES6_PlJNSB_9not_fun_tI7is_trueIxEEEEEE10hipError_tPvRmT3_T4_T5_T6_T7_T9_mT8_P12ihipStream_tbDpT10_ENKUlT_T0_E_clISt17integral_constantIbLb1EES18_EEDaS13_S14_EUlS13_E_NS1_11comp_targetILNS1_3genE0ELNS1_11target_archE4294967295ELNS1_3gpuE0ELNS1_3repE0EEENS1_30default_config_static_selectorELNS0_4arch9wavefront6targetE0EEEvT1_.uses_vcc, 0
	.set _ZN7rocprim17ROCPRIM_400000_NS6detail17trampoline_kernelINS0_14default_configENS1_25partition_config_selectorILNS1_17partition_subalgoE6ExNS0_10empty_typeEbEEZZNS1_14partition_implILS5_6ELb0ES3_mN6thrust23THRUST_200600_302600_NS6detail15normal_iteratorINSA_10device_ptrIxEEEEPS6_SG_NS0_5tupleIJSF_S6_EEENSH_IJSG_SG_EEES6_PlJNSB_9not_fun_tI7is_trueIxEEEEEE10hipError_tPvRmT3_T4_T5_T6_T7_T9_mT8_P12ihipStream_tbDpT10_ENKUlT_T0_E_clISt17integral_constantIbLb1EES18_EEDaS13_S14_EUlS13_E_NS1_11comp_targetILNS1_3genE0ELNS1_11target_archE4294967295ELNS1_3gpuE0ELNS1_3repE0EEENS1_30default_config_static_selectorELNS0_4arch9wavefront6targetE0EEEvT1_.uses_flat_scratch, 0
	.set _ZN7rocprim17ROCPRIM_400000_NS6detail17trampoline_kernelINS0_14default_configENS1_25partition_config_selectorILNS1_17partition_subalgoE6ExNS0_10empty_typeEbEEZZNS1_14partition_implILS5_6ELb0ES3_mN6thrust23THRUST_200600_302600_NS6detail15normal_iteratorINSA_10device_ptrIxEEEEPS6_SG_NS0_5tupleIJSF_S6_EEENSH_IJSG_SG_EEES6_PlJNSB_9not_fun_tI7is_trueIxEEEEEE10hipError_tPvRmT3_T4_T5_T6_T7_T9_mT8_P12ihipStream_tbDpT10_ENKUlT_T0_E_clISt17integral_constantIbLb1EES18_EEDaS13_S14_EUlS13_E_NS1_11comp_targetILNS1_3genE0ELNS1_11target_archE4294967295ELNS1_3gpuE0ELNS1_3repE0EEENS1_30default_config_static_selectorELNS0_4arch9wavefront6targetE0EEEvT1_.has_dyn_sized_stack, 0
	.set _ZN7rocprim17ROCPRIM_400000_NS6detail17trampoline_kernelINS0_14default_configENS1_25partition_config_selectorILNS1_17partition_subalgoE6ExNS0_10empty_typeEbEEZZNS1_14partition_implILS5_6ELb0ES3_mN6thrust23THRUST_200600_302600_NS6detail15normal_iteratorINSA_10device_ptrIxEEEEPS6_SG_NS0_5tupleIJSF_S6_EEENSH_IJSG_SG_EEES6_PlJNSB_9not_fun_tI7is_trueIxEEEEEE10hipError_tPvRmT3_T4_T5_T6_T7_T9_mT8_P12ihipStream_tbDpT10_ENKUlT_T0_E_clISt17integral_constantIbLb1EES18_EEDaS13_S14_EUlS13_E_NS1_11comp_targetILNS1_3genE0ELNS1_11target_archE4294967295ELNS1_3gpuE0ELNS1_3repE0EEENS1_30default_config_static_selectorELNS0_4arch9wavefront6targetE0EEEvT1_.has_recursion, 0
	.set _ZN7rocprim17ROCPRIM_400000_NS6detail17trampoline_kernelINS0_14default_configENS1_25partition_config_selectorILNS1_17partition_subalgoE6ExNS0_10empty_typeEbEEZZNS1_14partition_implILS5_6ELb0ES3_mN6thrust23THRUST_200600_302600_NS6detail15normal_iteratorINSA_10device_ptrIxEEEEPS6_SG_NS0_5tupleIJSF_S6_EEENSH_IJSG_SG_EEES6_PlJNSB_9not_fun_tI7is_trueIxEEEEEE10hipError_tPvRmT3_T4_T5_T6_T7_T9_mT8_P12ihipStream_tbDpT10_ENKUlT_T0_E_clISt17integral_constantIbLb1EES18_EEDaS13_S14_EUlS13_E_NS1_11comp_targetILNS1_3genE0ELNS1_11target_archE4294967295ELNS1_3gpuE0ELNS1_3repE0EEENS1_30default_config_static_selectorELNS0_4arch9wavefront6targetE0EEEvT1_.has_indirect_call, 0
	.section	.AMDGPU.csdata,"",@progbits
; Kernel info:
; codeLenInByte = 0
; TotalNumSgprs: 0
; NumVgprs: 0
; ScratchSize: 0
; MemoryBound: 0
; FloatMode: 240
; IeeeMode: 1
; LDSByteSize: 0 bytes/workgroup (compile time only)
; SGPRBlocks: 0
; VGPRBlocks: 0
; NumSGPRsForWavesPerEU: 1
; NumVGPRsForWavesPerEU: 1
; Occupancy: 16
; WaveLimiterHint : 0
; COMPUTE_PGM_RSRC2:SCRATCH_EN: 0
; COMPUTE_PGM_RSRC2:USER_SGPR: 2
; COMPUTE_PGM_RSRC2:TRAP_HANDLER: 0
; COMPUTE_PGM_RSRC2:TGID_X_EN: 1
; COMPUTE_PGM_RSRC2:TGID_Y_EN: 0
; COMPUTE_PGM_RSRC2:TGID_Z_EN: 0
; COMPUTE_PGM_RSRC2:TIDIG_COMP_CNT: 0
	.section	.text._ZN7rocprim17ROCPRIM_400000_NS6detail17trampoline_kernelINS0_14default_configENS1_25partition_config_selectorILNS1_17partition_subalgoE6ExNS0_10empty_typeEbEEZZNS1_14partition_implILS5_6ELb0ES3_mN6thrust23THRUST_200600_302600_NS6detail15normal_iteratorINSA_10device_ptrIxEEEEPS6_SG_NS0_5tupleIJSF_S6_EEENSH_IJSG_SG_EEES6_PlJNSB_9not_fun_tI7is_trueIxEEEEEE10hipError_tPvRmT3_T4_T5_T6_T7_T9_mT8_P12ihipStream_tbDpT10_ENKUlT_T0_E_clISt17integral_constantIbLb1EES18_EEDaS13_S14_EUlS13_E_NS1_11comp_targetILNS1_3genE5ELNS1_11target_archE942ELNS1_3gpuE9ELNS1_3repE0EEENS1_30default_config_static_selectorELNS0_4arch9wavefront6targetE0EEEvT1_,"axG",@progbits,_ZN7rocprim17ROCPRIM_400000_NS6detail17trampoline_kernelINS0_14default_configENS1_25partition_config_selectorILNS1_17partition_subalgoE6ExNS0_10empty_typeEbEEZZNS1_14partition_implILS5_6ELb0ES3_mN6thrust23THRUST_200600_302600_NS6detail15normal_iteratorINSA_10device_ptrIxEEEEPS6_SG_NS0_5tupleIJSF_S6_EEENSH_IJSG_SG_EEES6_PlJNSB_9not_fun_tI7is_trueIxEEEEEE10hipError_tPvRmT3_T4_T5_T6_T7_T9_mT8_P12ihipStream_tbDpT10_ENKUlT_T0_E_clISt17integral_constantIbLb1EES18_EEDaS13_S14_EUlS13_E_NS1_11comp_targetILNS1_3genE5ELNS1_11target_archE942ELNS1_3gpuE9ELNS1_3repE0EEENS1_30default_config_static_selectorELNS0_4arch9wavefront6targetE0EEEvT1_,comdat
	.protected	_ZN7rocprim17ROCPRIM_400000_NS6detail17trampoline_kernelINS0_14default_configENS1_25partition_config_selectorILNS1_17partition_subalgoE6ExNS0_10empty_typeEbEEZZNS1_14partition_implILS5_6ELb0ES3_mN6thrust23THRUST_200600_302600_NS6detail15normal_iteratorINSA_10device_ptrIxEEEEPS6_SG_NS0_5tupleIJSF_S6_EEENSH_IJSG_SG_EEES6_PlJNSB_9not_fun_tI7is_trueIxEEEEEE10hipError_tPvRmT3_T4_T5_T6_T7_T9_mT8_P12ihipStream_tbDpT10_ENKUlT_T0_E_clISt17integral_constantIbLb1EES18_EEDaS13_S14_EUlS13_E_NS1_11comp_targetILNS1_3genE5ELNS1_11target_archE942ELNS1_3gpuE9ELNS1_3repE0EEENS1_30default_config_static_selectorELNS0_4arch9wavefront6targetE0EEEvT1_ ; -- Begin function _ZN7rocprim17ROCPRIM_400000_NS6detail17trampoline_kernelINS0_14default_configENS1_25partition_config_selectorILNS1_17partition_subalgoE6ExNS0_10empty_typeEbEEZZNS1_14partition_implILS5_6ELb0ES3_mN6thrust23THRUST_200600_302600_NS6detail15normal_iteratorINSA_10device_ptrIxEEEEPS6_SG_NS0_5tupleIJSF_S6_EEENSH_IJSG_SG_EEES6_PlJNSB_9not_fun_tI7is_trueIxEEEEEE10hipError_tPvRmT3_T4_T5_T6_T7_T9_mT8_P12ihipStream_tbDpT10_ENKUlT_T0_E_clISt17integral_constantIbLb1EES18_EEDaS13_S14_EUlS13_E_NS1_11comp_targetILNS1_3genE5ELNS1_11target_archE942ELNS1_3gpuE9ELNS1_3repE0EEENS1_30default_config_static_selectorELNS0_4arch9wavefront6targetE0EEEvT1_
	.globl	_ZN7rocprim17ROCPRIM_400000_NS6detail17trampoline_kernelINS0_14default_configENS1_25partition_config_selectorILNS1_17partition_subalgoE6ExNS0_10empty_typeEbEEZZNS1_14partition_implILS5_6ELb0ES3_mN6thrust23THRUST_200600_302600_NS6detail15normal_iteratorINSA_10device_ptrIxEEEEPS6_SG_NS0_5tupleIJSF_S6_EEENSH_IJSG_SG_EEES6_PlJNSB_9not_fun_tI7is_trueIxEEEEEE10hipError_tPvRmT3_T4_T5_T6_T7_T9_mT8_P12ihipStream_tbDpT10_ENKUlT_T0_E_clISt17integral_constantIbLb1EES18_EEDaS13_S14_EUlS13_E_NS1_11comp_targetILNS1_3genE5ELNS1_11target_archE942ELNS1_3gpuE9ELNS1_3repE0EEENS1_30default_config_static_selectorELNS0_4arch9wavefront6targetE0EEEvT1_
	.p2align	8
	.type	_ZN7rocprim17ROCPRIM_400000_NS6detail17trampoline_kernelINS0_14default_configENS1_25partition_config_selectorILNS1_17partition_subalgoE6ExNS0_10empty_typeEbEEZZNS1_14partition_implILS5_6ELb0ES3_mN6thrust23THRUST_200600_302600_NS6detail15normal_iteratorINSA_10device_ptrIxEEEEPS6_SG_NS0_5tupleIJSF_S6_EEENSH_IJSG_SG_EEES6_PlJNSB_9not_fun_tI7is_trueIxEEEEEE10hipError_tPvRmT3_T4_T5_T6_T7_T9_mT8_P12ihipStream_tbDpT10_ENKUlT_T0_E_clISt17integral_constantIbLb1EES18_EEDaS13_S14_EUlS13_E_NS1_11comp_targetILNS1_3genE5ELNS1_11target_archE942ELNS1_3gpuE9ELNS1_3repE0EEENS1_30default_config_static_selectorELNS0_4arch9wavefront6targetE0EEEvT1_,@function
_ZN7rocprim17ROCPRIM_400000_NS6detail17trampoline_kernelINS0_14default_configENS1_25partition_config_selectorILNS1_17partition_subalgoE6ExNS0_10empty_typeEbEEZZNS1_14partition_implILS5_6ELb0ES3_mN6thrust23THRUST_200600_302600_NS6detail15normal_iteratorINSA_10device_ptrIxEEEEPS6_SG_NS0_5tupleIJSF_S6_EEENSH_IJSG_SG_EEES6_PlJNSB_9not_fun_tI7is_trueIxEEEEEE10hipError_tPvRmT3_T4_T5_T6_T7_T9_mT8_P12ihipStream_tbDpT10_ENKUlT_T0_E_clISt17integral_constantIbLb1EES18_EEDaS13_S14_EUlS13_E_NS1_11comp_targetILNS1_3genE5ELNS1_11target_archE942ELNS1_3gpuE9ELNS1_3repE0EEENS1_30default_config_static_selectorELNS0_4arch9wavefront6targetE0EEEvT1_: ; @_ZN7rocprim17ROCPRIM_400000_NS6detail17trampoline_kernelINS0_14default_configENS1_25partition_config_selectorILNS1_17partition_subalgoE6ExNS0_10empty_typeEbEEZZNS1_14partition_implILS5_6ELb0ES3_mN6thrust23THRUST_200600_302600_NS6detail15normal_iteratorINSA_10device_ptrIxEEEEPS6_SG_NS0_5tupleIJSF_S6_EEENSH_IJSG_SG_EEES6_PlJNSB_9not_fun_tI7is_trueIxEEEEEE10hipError_tPvRmT3_T4_T5_T6_T7_T9_mT8_P12ihipStream_tbDpT10_ENKUlT_T0_E_clISt17integral_constantIbLb1EES18_EEDaS13_S14_EUlS13_E_NS1_11comp_targetILNS1_3genE5ELNS1_11target_archE942ELNS1_3gpuE9ELNS1_3repE0EEENS1_30default_config_static_selectorELNS0_4arch9wavefront6targetE0EEEvT1_
; %bb.0:
	.section	.rodata,"a",@progbits
	.p2align	6, 0x0
	.amdhsa_kernel _ZN7rocprim17ROCPRIM_400000_NS6detail17trampoline_kernelINS0_14default_configENS1_25partition_config_selectorILNS1_17partition_subalgoE6ExNS0_10empty_typeEbEEZZNS1_14partition_implILS5_6ELb0ES3_mN6thrust23THRUST_200600_302600_NS6detail15normal_iteratorINSA_10device_ptrIxEEEEPS6_SG_NS0_5tupleIJSF_S6_EEENSH_IJSG_SG_EEES6_PlJNSB_9not_fun_tI7is_trueIxEEEEEE10hipError_tPvRmT3_T4_T5_T6_T7_T9_mT8_P12ihipStream_tbDpT10_ENKUlT_T0_E_clISt17integral_constantIbLb1EES18_EEDaS13_S14_EUlS13_E_NS1_11comp_targetILNS1_3genE5ELNS1_11target_archE942ELNS1_3gpuE9ELNS1_3repE0EEENS1_30default_config_static_selectorELNS0_4arch9wavefront6targetE0EEEvT1_
		.amdhsa_group_segment_fixed_size 0
		.amdhsa_private_segment_fixed_size 0
		.amdhsa_kernarg_size 128
		.amdhsa_user_sgpr_count 2
		.amdhsa_user_sgpr_dispatch_ptr 0
		.amdhsa_user_sgpr_queue_ptr 0
		.amdhsa_user_sgpr_kernarg_segment_ptr 1
		.amdhsa_user_sgpr_dispatch_id 0
		.amdhsa_user_sgpr_private_segment_size 0
		.amdhsa_wavefront_size32 1
		.amdhsa_uses_dynamic_stack 0
		.amdhsa_enable_private_segment 0
		.amdhsa_system_sgpr_workgroup_id_x 1
		.amdhsa_system_sgpr_workgroup_id_y 0
		.amdhsa_system_sgpr_workgroup_id_z 0
		.amdhsa_system_sgpr_workgroup_info 0
		.amdhsa_system_vgpr_workitem_id 0
		.amdhsa_next_free_vgpr 1
		.amdhsa_next_free_sgpr 1
		.amdhsa_reserve_vcc 0
		.amdhsa_float_round_mode_32 0
		.amdhsa_float_round_mode_16_64 0
		.amdhsa_float_denorm_mode_32 3
		.amdhsa_float_denorm_mode_16_64 3
		.amdhsa_fp16_overflow 0
		.amdhsa_workgroup_processor_mode 1
		.amdhsa_memory_ordered 1
		.amdhsa_forward_progress 1
		.amdhsa_inst_pref_size 0
		.amdhsa_round_robin_scheduling 0
		.amdhsa_exception_fp_ieee_invalid_op 0
		.amdhsa_exception_fp_denorm_src 0
		.amdhsa_exception_fp_ieee_div_zero 0
		.amdhsa_exception_fp_ieee_overflow 0
		.amdhsa_exception_fp_ieee_underflow 0
		.amdhsa_exception_fp_ieee_inexact 0
		.amdhsa_exception_int_div_zero 0
	.end_amdhsa_kernel
	.section	.text._ZN7rocprim17ROCPRIM_400000_NS6detail17trampoline_kernelINS0_14default_configENS1_25partition_config_selectorILNS1_17partition_subalgoE6ExNS0_10empty_typeEbEEZZNS1_14partition_implILS5_6ELb0ES3_mN6thrust23THRUST_200600_302600_NS6detail15normal_iteratorINSA_10device_ptrIxEEEEPS6_SG_NS0_5tupleIJSF_S6_EEENSH_IJSG_SG_EEES6_PlJNSB_9not_fun_tI7is_trueIxEEEEEE10hipError_tPvRmT3_T4_T5_T6_T7_T9_mT8_P12ihipStream_tbDpT10_ENKUlT_T0_E_clISt17integral_constantIbLb1EES18_EEDaS13_S14_EUlS13_E_NS1_11comp_targetILNS1_3genE5ELNS1_11target_archE942ELNS1_3gpuE9ELNS1_3repE0EEENS1_30default_config_static_selectorELNS0_4arch9wavefront6targetE0EEEvT1_,"axG",@progbits,_ZN7rocprim17ROCPRIM_400000_NS6detail17trampoline_kernelINS0_14default_configENS1_25partition_config_selectorILNS1_17partition_subalgoE6ExNS0_10empty_typeEbEEZZNS1_14partition_implILS5_6ELb0ES3_mN6thrust23THRUST_200600_302600_NS6detail15normal_iteratorINSA_10device_ptrIxEEEEPS6_SG_NS0_5tupleIJSF_S6_EEENSH_IJSG_SG_EEES6_PlJNSB_9not_fun_tI7is_trueIxEEEEEE10hipError_tPvRmT3_T4_T5_T6_T7_T9_mT8_P12ihipStream_tbDpT10_ENKUlT_T0_E_clISt17integral_constantIbLb1EES18_EEDaS13_S14_EUlS13_E_NS1_11comp_targetILNS1_3genE5ELNS1_11target_archE942ELNS1_3gpuE9ELNS1_3repE0EEENS1_30default_config_static_selectorELNS0_4arch9wavefront6targetE0EEEvT1_,comdat
.Lfunc_end1214:
	.size	_ZN7rocprim17ROCPRIM_400000_NS6detail17trampoline_kernelINS0_14default_configENS1_25partition_config_selectorILNS1_17partition_subalgoE6ExNS0_10empty_typeEbEEZZNS1_14partition_implILS5_6ELb0ES3_mN6thrust23THRUST_200600_302600_NS6detail15normal_iteratorINSA_10device_ptrIxEEEEPS6_SG_NS0_5tupleIJSF_S6_EEENSH_IJSG_SG_EEES6_PlJNSB_9not_fun_tI7is_trueIxEEEEEE10hipError_tPvRmT3_T4_T5_T6_T7_T9_mT8_P12ihipStream_tbDpT10_ENKUlT_T0_E_clISt17integral_constantIbLb1EES18_EEDaS13_S14_EUlS13_E_NS1_11comp_targetILNS1_3genE5ELNS1_11target_archE942ELNS1_3gpuE9ELNS1_3repE0EEENS1_30default_config_static_selectorELNS0_4arch9wavefront6targetE0EEEvT1_, .Lfunc_end1214-_ZN7rocprim17ROCPRIM_400000_NS6detail17trampoline_kernelINS0_14default_configENS1_25partition_config_selectorILNS1_17partition_subalgoE6ExNS0_10empty_typeEbEEZZNS1_14partition_implILS5_6ELb0ES3_mN6thrust23THRUST_200600_302600_NS6detail15normal_iteratorINSA_10device_ptrIxEEEEPS6_SG_NS0_5tupleIJSF_S6_EEENSH_IJSG_SG_EEES6_PlJNSB_9not_fun_tI7is_trueIxEEEEEE10hipError_tPvRmT3_T4_T5_T6_T7_T9_mT8_P12ihipStream_tbDpT10_ENKUlT_T0_E_clISt17integral_constantIbLb1EES18_EEDaS13_S14_EUlS13_E_NS1_11comp_targetILNS1_3genE5ELNS1_11target_archE942ELNS1_3gpuE9ELNS1_3repE0EEENS1_30default_config_static_selectorELNS0_4arch9wavefront6targetE0EEEvT1_
                                        ; -- End function
	.set _ZN7rocprim17ROCPRIM_400000_NS6detail17trampoline_kernelINS0_14default_configENS1_25partition_config_selectorILNS1_17partition_subalgoE6ExNS0_10empty_typeEbEEZZNS1_14partition_implILS5_6ELb0ES3_mN6thrust23THRUST_200600_302600_NS6detail15normal_iteratorINSA_10device_ptrIxEEEEPS6_SG_NS0_5tupleIJSF_S6_EEENSH_IJSG_SG_EEES6_PlJNSB_9not_fun_tI7is_trueIxEEEEEE10hipError_tPvRmT3_T4_T5_T6_T7_T9_mT8_P12ihipStream_tbDpT10_ENKUlT_T0_E_clISt17integral_constantIbLb1EES18_EEDaS13_S14_EUlS13_E_NS1_11comp_targetILNS1_3genE5ELNS1_11target_archE942ELNS1_3gpuE9ELNS1_3repE0EEENS1_30default_config_static_selectorELNS0_4arch9wavefront6targetE0EEEvT1_.num_vgpr, 0
	.set _ZN7rocprim17ROCPRIM_400000_NS6detail17trampoline_kernelINS0_14default_configENS1_25partition_config_selectorILNS1_17partition_subalgoE6ExNS0_10empty_typeEbEEZZNS1_14partition_implILS5_6ELb0ES3_mN6thrust23THRUST_200600_302600_NS6detail15normal_iteratorINSA_10device_ptrIxEEEEPS6_SG_NS0_5tupleIJSF_S6_EEENSH_IJSG_SG_EEES6_PlJNSB_9not_fun_tI7is_trueIxEEEEEE10hipError_tPvRmT3_T4_T5_T6_T7_T9_mT8_P12ihipStream_tbDpT10_ENKUlT_T0_E_clISt17integral_constantIbLb1EES18_EEDaS13_S14_EUlS13_E_NS1_11comp_targetILNS1_3genE5ELNS1_11target_archE942ELNS1_3gpuE9ELNS1_3repE0EEENS1_30default_config_static_selectorELNS0_4arch9wavefront6targetE0EEEvT1_.num_agpr, 0
	.set _ZN7rocprim17ROCPRIM_400000_NS6detail17trampoline_kernelINS0_14default_configENS1_25partition_config_selectorILNS1_17partition_subalgoE6ExNS0_10empty_typeEbEEZZNS1_14partition_implILS5_6ELb0ES3_mN6thrust23THRUST_200600_302600_NS6detail15normal_iteratorINSA_10device_ptrIxEEEEPS6_SG_NS0_5tupleIJSF_S6_EEENSH_IJSG_SG_EEES6_PlJNSB_9not_fun_tI7is_trueIxEEEEEE10hipError_tPvRmT3_T4_T5_T6_T7_T9_mT8_P12ihipStream_tbDpT10_ENKUlT_T0_E_clISt17integral_constantIbLb1EES18_EEDaS13_S14_EUlS13_E_NS1_11comp_targetILNS1_3genE5ELNS1_11target_archE942ELNS1_3gpuE9ELNS1_3repE0EEENS1_30default_config_static_selectorELNS0_4arch9wavefront6targetE0EEEvT1_.numbered_sgpr, 0
	.set _ZN7rocprim17ROCPRIM_400000_NS6detail17trampoline_kernelINS0_14default_configENS1_25partition_config_selectorILNS1_17partition_subalgoE6ExNS0_10empty_typeEbEEZZNS1_14partition_implILS5_6ELb0ES3_mN6thrust23THRUST_200600_302600_NS6detail15normal_iteratorINSA_10device_ptrIxEEEEPS6_SG_NS0_5tupleIJSF_S6_EEENSH_IJSG_SG_EEES6_PlJNSB_9not_fun_tI7is_trueIxEEEEEE10hipError_tPvRmT3_T4_T5_T6_T7_T9_mT8_P12ihipStream_tbDpT10_ENKUlT_T0_E_clISt17integral_constantIbLb1EES18_EEDaS13_S14_EUlS13_E_NS1_11comp_targetILNS1_3genE5ELNS1_11target_archE942ELNS1_3gpuE9ELNS1_3repE0EEENS1_30default_config_static_selectorELNS0_4arch9wavefront6targetE0EEEvT1_.num_named_barrier, 0
	.set _ZN7rocprim17ROCPRIM_400000_NS6detail17trampoline_kernelINS0_14default_configENS1_25partition_config_selectorILNS1_17partition_subalgoE6ExNS0_10empty_typeEbEEZZNS1_14partition_implILS5_6ELb0ES3_mN6thrust23THRUST_200600_302600_NS6detail15normal_iteratorINSA_10device_ptrIxEEEEPS6_SG_NS0_5tupleIJSF_S6_EEENSH_IJSG_SG_EEES6_PlJNSB_9not_fun_tI7is_trueIxEEEEEE10hipError_tPvRmT3_T4_T5_T6_T7_T9_mT8_P12ihipStream_tbDpT10_ENKUlT_T0_E_clISt17integral_constantIbLb1EES18_EEDaS13_S14_EUlS13_E_NS1_11comp_targetILNS1_3genE5ELNS1_11target_archE942ELNS1_3gpuE9ELNS1_3repE0EEENS1_30default_config_static_selectorELNS0_4arch9wavefront6targetE0EEEvT1_.private_seg_size, 0
	.set _ZN7rocprim17ROCPRIM_400000_NS6detail17trampoline_kernelINS0_14default_configENS1_25partition_config_selectorILNS1_17partition_subalgoE6ExNS0_10empty_typeEbEEZZNS1_14partition_implILS5_6ELb0ES3_mN6thrust23THRUST_200600_302600_NS6detail15normal_iteratorINSA_10device_ptrIxEEEEPS6_SG_NS0_5tupleIJSF_S6_EEENSH_IJSG_SG_EEES6_PlJNSB_9not_fun_tI7is_trueIxEEEEEE10hipError_tPvRmT3_T4_T5_T6_T7_T9_mT8_P12ihipStream_tbDpT10_ENKUlT_T0_E_clISt17integral_constantIbLb1EES18_EEDaS13_S14_EUlS13_E_NS1_11comp_targetILNS1_3genE5ELNS1_11target_archE942ELNS1_3gpuE9ELNS1_3repE0EEENS1_30default_config_static_selectorELNS0_4arch9wavefront6targetE0EEEvT1_.uses_vcc, 0
	.set _ZN7rocprim17ROCPRIM_400000_NS6detail17trampoline_kernelINS0_14default_configENS1_25partition_config_selectorILNS1_17partition_subalgoE6ExNS0_10empty_typeEbEEZZNS1_14partition_implILS5_6ELb0ES3_mN6thrust23THRUST_200600_302600_NS6detail15normal_iteratorINSA_10device_ptrIxEEEEPS6_SG_NS0_5tupleIJSF_S6_EEENSH_IJSG_SG_EEES6_PlJNSB_9not_fun_tI7is_trueIxEEEEEE10hipError_tPvRmT3_T4_T5_T6_T7_T9_mT8_P12ihipStream_tbDpT10_ENKUlT_T0_E_clISt17integral_constantIbLb1EES18_EEDaS13_S14_EUlS13_E_NS1_11comp_targetILNS1_3genE5ELNS1_11target_archE942ELNS1_3gpuE9ELNS1_3repE0EEENS1_30default_config_static_selectorELNS0_4arch9wavefront6targetE0EEEvT1_.uses_flat_scratch, 0
	.set _ZN7rocprim17ROCPRIM_400000_NS6detail17trampoline_kernelINS0_14default_configENS1_25partition_config_selectorILNS1_17partition_subalgoE6ExNS0_10empty_typeEbEEZZNS1_14partition_implILS5_6ELb0ES3_mN6thrust23THRUST_200600_302600_NS6detail15normal_iteratorINSA_10device_ptrIxEEEEPS6_SG_NS0_5tupleIJSF_S6_EEENSH_IJSG_SG_EEES6_PlJNSB_9not_fun_tI7is_trueIxEEEEEE10hipError_tPvRmT3_T4_T5_T6_T7_T9_mT8_P12ihipStream_tbDpT10_ENKUlT_T0_E_clISt17integral_constantIbLb1EES18_EEDaS13_S14_EUlS13_E_NS1_11comp_targetILNS1_3genE5ELNS1_11target_archE942ELNS1_3gpuE9ELNS1_3repE0EEENS1_30default_config_static_selectorELNS0_4arch9wavefront6targetE0EEEvT1_.has_dyn_sized_stack, 0
	.set _ZN7rocprim17ROCPRIM_400000_NS6detail17trampoline_kernelINS0_14default_configENS1_25partition_config_selectorILNS1_17partition_subalgoE6ExNS0_10empty_typeEbEEZZNS1_14partition_implILS5_6ELb0ES3_mN6thrust23THRUST_200600_302600_NS6detail15normal_iteratorINSA_10device_ptrIxEEEEPS6_SG_NS0_5tupleIJSF_S6_EEENSH_IJSG_SG_EEES6_PlJNSB_9not_fun_tI7is_trueIxEEEEEE10hipError_tPvRmT3_T4_T5_T6_T7_T9_mT8_P12ihipStream_tbDpT10_ENKUlT_T0_E_clISt17integral_constantIbLb1EES18_EEDaS13_S14_EUlS13_E_NS1_11comp_targetILNS1_3genE5ELNS1_11target_archE942ELNS1_3gpuE9ELNS1_3repE0EEENS1_30default_config_static_selectorELNS0_4arch9wavefront6targetE0EEEvT1_.has_recursion, 0
	.set _ZN7rocprim17ROCPRIM_400000_NS6detail17trampoline_kernelINS0_14default_configENS1_25partition_config_selectorILNS1_17partition_subalgoE6ExNS0_10empty_typeEbEEZZNS1_14partition_implILS5_6ELb0ES3_mN6thrust23THRUST_200600_302600_NS6detail15normal_iteratorINSA_10device_ptrIxEEEEPS6_SG_NS0_5tupleIJSF_S6_EEENSH_IJSG_SG_EEES6_PlJNSB_9not_fun_tI7is_trueIxEEEEEE10hipError_tPvRmT3_T4_T5_T6_T7_T9_mT8_P12ihipStream_tbDpT10_ENKUlT_T0_E_clISt17integral_constantIbLb1EES18_EEDaS13_S14_EUlS13_E_NS1_11comp_targetILNS1_3genE5ELNS1_11target_archE942ELNS1_3gpuE9ELNS1_3repE0EEENS1_30default_config_static_selectorELNS0_4arch9wavefront6targetE0EEEvT1_.has_indirect_call, 0
	.section	.AMDGPU.csdata,"",@progbits
; Kernel info:
; codeLenInByte = 0
; TotalNumSgprs: 0
; NumVgprs: 0
; ScratchSize: 0
; MemoryBound: 0
; FloatMode: 240
; IeeeMode: 1
; LDSByteSize: 0 bytes/workgroup (compile time only)
; SGPRBlocks: 0
; VGPRBlocks: 0
; NumSGPRsForWavesPerEU: 1
; NumVGPRsForWavesPerEU: 1
; Occupancy: 16
; WaveLimiterHint : 0
; COMPUTE_PGM_RSRC2:SCRATCH_EN: 0
; COMPUTE_PGM_RSRC2:USER_SGPR: 2
; COMPUTE_PGM_RSRC2:TRAP_HANDLER: 0
; COMPUTE_PGM_RSRC2:TGID_X_EN: 1
; COMPUTE_PGM_RSRC2:TGID_Y_EN: 0
; COMPUTE_PGM_RSRC2:TGID_Z_EN: 0
; COMPUTE_PGM_RSRC2:TIDIG_COMP_CNT: 0
	.section	.text._ZN7rocprim17ROCPRIM_400000_NS6detail17trampoline_kernelINS0_14default_configENS1_25partition_config_selectorILNS1_17partition_subalgoE6ExNS0_10empty_typeEbEEZZNS1_14partition_implILS5_6ELb0ES3_mN6thrust23THRUST_200600_302600_NS6detail15normal_iteratorINSA_10device_ptrIxEEEEPS6_SG_NS0_5tupleIJSF_S6_EEENSH_IJSG_SG_EEES6_PlJNSB_9not_fun_tI7is_trueIxEEEEEE10hipError_tPvRmT3_T4_T5_T6_T7_T9_mT8_P12ihipStream_tbDpT10_ENKUlT_T0_E_clISt17integral_constantIbLb1EES18_EEDaS13_S14_EUlS13_E_NS1_11comp_targetILNS1_3genE4ELNS1_11target_archE910ELNS1_3gpuE8ELNS1_3repE0EEENS1_30default_config_static_selectorELNS0_4arch9wavefront6targetE0EEEvT1_,"axG",@progbits,_ZN7rocprim17ROCPRIM_400000_NS6detail17trampoline_kernelINS0_14default_configENS1_25partition_config_selectorILNS1_17partition_subalgoE6ExNS0_10empty_typeEbEEZZNS1_14partition_implILS5_6ELb0ES3_mN6thrust23THRUST_200600_302600_NS6detail15normal_iteratorINSA_10device_ptrIxEEEEPS6_SG_NS0_5tupleIJSF_S6_EEENSH_IJSG_SG_EEES6_PlJNSB_9not_fun_tI7is_trueIxEEEEEE10hipError_tPvRmT3_T4_T5_T6_T7_T9_mT8_P12ihipStream_tbDpT10_ENKUlT_T0_E_clISt17integral_constantIbLb1EES18_EEDaS13_S14_EUlS13_E_NS1_11comp_targetILNS1_3genE4ELNS1_11target_archE910ELNS1_3gpuE8ELNS1_3repE0EEENS1_30default_config_static_selectorELNS0_4arch9wavefront6targetE0EEEvT1_,comdat
	.protected	_ZN7rocprim17ROCPRIM_400000_NS6detail17trampoline_kernelINS0_14default_configENS1_25partition_config_selectorILNS1_17partition_subalgoE6ExNS0_10empty_typeEbEEZZNS1_14partition_implILS5_6ELb0ES3_mN6thrust23THRUST_200600_302600_NS6detail15normal_iteratorINSA_10device_ptrIxEEEEPS6_SG_NS0_5tupleIJSF_S6_EEENSH_IJSG_SG_EEES6_PlJNSB_9not_fun_tI7is_trueIxEEEEEE10hipError_tPvRmT3_T4_T5_T6_T7_T9_mT8_P12ihipStream_tbDpT10_ENKUlT_T0_E_clISt17integral_constantIbLb1EES18_EEDaS13_S14_EUlS13_E_NS1_11comp_targetILNS1_3genE4ELNS1_11target_archE910ELNS1_3gpuE8ELNS1_3repE0EEENS1_30default_config_static_selectorELNS0_4arch9wavefront6targetE0EEEvT1_ ; -- Begin function _ZN7rocprim17ROCPRIM_400000_NS6detail17trampoline_kernelINS0_14default_configENS1_25partition_config_selectorILNS1_17partition_subalgoE6ExNS0_10empty_typeEbEEZZNS1_14partition_implILS5_6ELb0ES3_mN6thrust23THRUST_200600_302600_NS6detail15normal_iteratorINSA_10device_ptrIxEEEEPS6_SG_NS0_5tupleIJSF_S6_EEENSH_IJSG_SG_EEES6_PlJNSB_9not_fun_tI7is_trueIxEEEEEE10hipError_tPvRmT3_T4_T5_T6_T7_T9_mT8_P12ihipStream_tbDpT10_ENKUlT_T0_E_clISt17integral_constantIbLb1EES18_EEDaS13_S14_EUlS13_E_NS1_11comp_targetILNS1_3genE4ELNS1_11target_archE910ELNS1_3gpuE8ELNS1_3repE0EEENS1_30default_config_static_selectorELNS0_4arch9wavefront6targetE0EEEvT1_
	.globl	_ZN7rocprim17ROCPRIM_400000_NS6detail17trampoline_kernelINS0_14default_configENS1_25partition_config_selectorILNS1_17partition_subalgoE6ExNS0_10empty_typeEbEEZZNS1_14partition_implILS5_6ELb0ES3_mN6thrust23THRUST_200600_302600_NS6detail15normal_iteratorINSA_10device_ptrIxEEEEPS6_SG_NS0_5tupleIJSF_S6_EEENSH_IJSG_SG_EEES6_PlJNSB_9not_fun_tI7is_trueIxEEEEEE10hipError_tPvRmT3_T4_T5_T6_T7_T9_mT8_P12ihipStream_tbDpT10_ENKUlT_T0_E_clISt17integral_constantIbLb1EES18_EEDaS13_S14_EUlS13_E_NS1_11comp_targetILNS1_3genE4ELNS1_11target_archE910ELNS1_3gpuE8ELNS1_3repE0EEENS1_30default_config_static_selectorELNS0_4arch9wavefront6targetE0EEEvT1_
	.p2align	8
	.type	_ZN7rocprim17ROCPRIM_400000_NS6detail17trampoline_kernelINS0_14default_configENS1_25partition_config_selectorILNS1_17partition_subalgoE6ExNS0_10empty_typeEbEEZZNS1_14partition_implILS5_6ELb0ES3_mN6thrust23THRUST_200600_302600_NS6detail15normal_iteratorINSA_10device_ptrIxEEEEPS6_SG_NS0_5tupleIJSF_S6_EEENSH_IJSG_SG_EEES6_PlJNSB_9not_fun_tI7is_trueIxEEEEEE10hipError_tPvRmT3_T4_T5_T6_T7_T9_mT8_P12ihipStream_tbDpT10_ENKUlT_T0_E_clISt17integral_constantIbLb1EES18_EEDaS13_S14_EUlS13_E_NS1_11comp_targetILNS1_3genE4ELNS1_11target_archE910ELNS1_3gpuE8ELNS1_3repE0EEENS1_30default_config_static_selectorELNS0_4arch9wavefront6targetE0EEEvT1_,@function
_ZN7rocprim17ROCPRIM_400000_NS6detail17trampoline_kernelINS0_14default_configENS1_25partition_config_selectorILNS1_17partition_subalgoE6ExNS0_10empty_typeEbEEZZNS1_14partition_implILS5_6ELb0ES3_mN6thrust23THRUST_200600_302600_NS6detail15normal_iteratorINSA_10device_ptrIxEEEEPS6_SG_NS0_5tupleIJSF_S6_EEENSH_IJSG_SG_EEES6_PlJNSB_9not_fun_tI7is_trueIxEEEEEE10hipError_tPvRmT3_T4_T5_T6_T7_T9_mT8_P12ihipStream_tbDpT10_ENKUlT_T0_E_clISt17integral_constantIbLb1EES18_EEDaS13_S14_EUlS13_E_NS1_11comp_targetILNS1_3genE4ELNS1_11target_archE910ELNS1_3gpuE8ELNS1_3repE0EEENS1_30default_config_static_selectorELNS0_4arch9wavefront6targetE0EEEvT1_: ; @_ZN7rocprim17ROCPRIM_400000_NS6detail17trampoline_kernelINS0_14default_configENS1_25partition_config_selectorILNS1_17partition_subalgoE6ExNS0_10empty_typeEbEEZZNS1_14partition_implILS5_6ELb0ES3_mN6thrust23THRUST_200600_302600_NS6detail15normal_iteratorINSA_10device_ptrIxEEEEPS6_SG_NS0_5tupleIJSF_S6_EEENSH_IJSG_SG_EEES6_PlJNSB_9not_fun_tI7is_trueIxEEEEEE10hipError_tPvRmT3_T4_T5_T6_T7_T9_mT8_P12ihipStream_tbDpT10_ENKUlT_T0_E_clISt17integral_constantIbLb1EES18_EEDaS13_S14_EUlS13_E_NS1_11comp_targetILNS1_3genE4ELNS1_11target_archE910ELNS1_3gpuE8ELNS1_3repE0EEENS1_30default_config_static_selectorELNS0_4arch9wavefront6targetE0EEEvT1_
; %bb.0:
	.section	.rodata,"a",@progbits
	.p2align	6, 0x0
	.amdhsa_kernel _ZN7rocprim17ROCPRIM_400000_NS6detail17trampoline_kernelINS0_14default_configENS1_25partition_config_selectorILNS1_17partition_subalgoE6ExNS0_10empty_typeEbEEZZNS1_14partition_implILS5_6ELb0ES3_mN6thrust23THRUST_200600_302600_NS6detail15normal_iteratorINSA_10device_ptrIxEEEEPS6_SG_NS0_5tupleIJSF_S6_EEENSH_IJSG_SG_EEES6_PlJNSB_9not_fun_tI7is_trueIxEEEEEE10hipError_tPvRmT3_T4_T5_T6_T7_T9_mT8_P12ihipStream_tbDpT10_ENKUlT_T0_E_clISt17integral_constantIbLb1EES18_EEDaS13_S14_EUlS13_E_NS1_11comp_targetILNS1_3genE4ELNS1_11target_archE910ELNS1_3gpuE8ELNS1_3repE0EEENS1_30default_config_static_selectorELNS0_4arch9wavefront6targetE0EEEvT1_
		.amdhsa_group_segment_fixed_size 0
		.amdhsa_private_segment_fixed_size 0
		.amdhsa_kernarg_size 128
		.amdhsa_user_sgpr_count 2
		.amdhsa_user_sgpr_dispatch_ptr 0
		.amdhsa_user_sgpr_queue_ptr 0
		.amdhsa_user_sgpr_kernarg_segment_ptr 1
		.amdhsa_user_sgpr_dispatch_id 0
		.amdhsa_user_sgpr_private_segment_size 0
		.amdhsa_wavefront_size32 1
		.amdhsa_uses_dynamic_stack 0
		.amdhsa_enable_private_segment 0
		.amdhsa_system_sgpr_workgroup_id_x 1
		.amdhsa_system_sgpr_workgroup_id_y 0
		.amdhsa_system_sgpr_workgroup_id_z 0
		.amdhsa_system_sgpr_workgroup_info 0
		.amdhsa_system_vgpr_workitem_id 0
		.amdhsa_next_free_vgpr 1
		.amdhsa_next_free_sgpr 1
		.amdhsa_reserve_vcc 0
		.amdhsa_float_round_mode_32 0
		.amdhsa_float_round_mode_16_64 0
		.amdhsa_float_denorm_mode_32 3
		.amdhsa_float_denorm_mode_16_64 3
		.amdhsa_fp16_overflow 0
		.amdhsa_workgroup_processor_mode 1
		.amdhsa_memory_ordered 1
		.amdhsa_forward_progress 1
		.amdhsa_inst_pref_size 0
		.amdhsa_round_robin_scheduling 0
		.amdhsa_exception_fp_ieee_invalid_op 0
		.amdhsa_exception_fp_denorm_src 0
		.amdhsa_exception_fp_ieee_div_zero 0
		.amdhsa_exception_fp_ieee_overflow 0
		.amdhsa_exception_fp_ieee_underflow 0
		.amdhsa_exception_fp_ieee_inexact 0
		.amdhsa_exception_int_div_zero 0
	.end_amdhsa_kernel
	.section	.text._ZN7rocprim17ROCPRIM_400000_NS6detail17trampoline_kernelINS0_14default_configENS1_25partition_config_selectorILNS1_17partition_subalgoE6ExNS0_10empty_typeEbEEZZNS1_14partition_implILS5_6ELb0ES3_mN6thrust23THRUST_200600_302600_NS6detail15normal_iteratorINSA_10device_ptrIxEEEEPS6_SG_NS0_5tupleIJSF_S6_EEENSH_IJSG_SG_EEES6_PlJNSB_9not_fun_tI7is_trueIxEEEEEE10hipError_tPvRmT3_T4_T5_T6_T7_T9_mT8_P12ihipStream_tbDpT10_ENKUlT_T0_E_clISt17integral_constantIbLb1EES18_EEDaS13_S14_EUlS13_E_NS1_11comp_targetILNS1_3genE4ELNS1_11target_archE910ELNS1_3gpuE8ELNS1_3repE0EEENS1_30default_config_static_selectorELNS0_4arch9wavefront6targetE0EEEvT1_,"axG",@progbits,_ZN7rocprim17ROCPRIM_400000_NS6detail17trampoline_kernelINS0_14default_configENS1_25partition_config_selectorILNS1_17partition_subalgoE6ExNS0_10empty_typeEbEEZZNS1_14partition_implILS5_6ELb0ES3_mN6thrust23THRUST_200600_302600_NS6detail15normal_iteratorINSA_10device_ptrIxEEEEPS6_SG_NS0_5tupleIJSF_S6_EEENSH_IJSG_SG_EEES6_PlJNSB_9not_fun_tI7is_trueIxEEEEEE10hipError_tPvRmT3_T4_T5_T6_T7_T9_mT8_P12ihipStream_tbDpT10_ENKUlT_T0_E_clISt17integral_constantIbLb1EES18_EEDaS13_S14_EUlS13_E_NS1_11comp_targetILNS1_3genE4ELNS1_11target_archE910ELNS1_3gpuE8ELNS1_3repE0EEENS1_30default_config_static_selectorELNS0_4arch9wavefront6targetE0EEEvT1_,comdat
.Lfunc_end1215:
	.size	_ZN7rocprim17ROCPRIM_400000_NS6detail17trampoline_kernelINS0_14default_configENS1_25partition_config_selectorILNS1_17partition_subalgoE6ExNS0_10empty_typeEbEEZZNS1_14partition_implILS5_6ELb0ES3_mN6thrust23THRUST_200600_302600_NS6detail15normal_iteratorINSA_10device_ptrIxEEEEPS6_SG_NS0_5tupleIJSF_S6_EEENSH_IJSG_SG_EEES6_PlJNSB_9not_fun_tI7is_trueIxEEEEEE10hipError_tPvRmT3_T4_T5_T6_T7_T9_mT8_P12ihipStream_tbDpT10_ENKUlT_T0_E_clISt17integral_constantIbLb1EES18_EEDaS13_S14_EUlS13_E_NS1_11comp_targetILNS1_3genE4ELNS1_11target_archE910ELNS1_3gpuE8ELNS1_3repE0EEENS1_30default_config_static_selectorELNS0_4arch9wavefront6targetE0EEEvT1_, .Lfunc_end1215-_ZN7rocprim17ROCPRIM_400000_NS6detail17trampoline_kernelINS0_14default_configENS1_25partition_config_selectorILNS1_17partition_subalgoE6ExNS0_10empty_typeEbEEZZNS1_14partition_implILS5_6ELb0ES3_mN6thrust23THRUST_200600_302600_NS6detail15normal_iteratorINSA_10device_ptrIxEEEEPS6_SG_NS0_5tupleIJSF_S6_EEENSH_IJSG_SG_EEES6_PlJNSB_9not_fun_tI7is_trueIxEEEEEE10hipError_tPvRmT3_T4_T5_T6_T7_T9_mT8_P12ihipStream_tbDpT10_ENKUlT_T0_E_clISt17integral_constantIbLb1EES18_EEDaS13_S14_EUlS13_E_NS1_11comp_targetILNS1_3genE4ELNS1_11target_archE910ELNS1_3gpuE8ELNS1_3repE0EEENS1_30default_config_static_selectorELNS0_4arch9wavefront6targetE0EEEvT1_
                                        ; -- End function
	.set _ZN7rocprim17ROCPRIM_400000_NS6detail17trampoline_kernelINS0_14default_configENS1_25partition_config_selectorILNS1_17partition_subalgoE6ExNS0_10empty_typeEbEEZZNS1_14partition_implILS5_6ELb0ES3_mN6thrust23THRUST_200600_302600_NS6detail15normal_iteratorINSA_10device_ptrIxEEEEPS6_SG_NS0_5tupleIJSF_S6_EEENSH_IJSG_SG_EEES6_PlJNSB_9not_fun_tI7is_trueIxEEEEEE10hipError_tPvRmT3_T4_T5_T6_T7_T9_mT8_P12ihipStream_tbDpT10_ENKUlT_T0_E_clISt17integral_constantIbLb1EES18_EEDaS13_S14_EUlS13_E_NS1_11comp_targetILNS1_3genE4ELNS1_11target_archE910ELNS1_3gpuE8ELNS1_3repE0EEENS1_30default_config_static_selectorELNS0_4arch9wavefront6targetE0EEEvT1_.num_vgpr, 0
	.set _ZN7rocprim17ROCPRIM_400000_NS6detail17trampoline_kernelINS0_14default_configENS1_25partition_config_selectorILNS1_17partition_subalgoE6ExNS0_10empty_typeEbEEZZNS1_14partition_implILS5_6ELb0ES3_mN6thrust23THRUST_200600_302600_NS6detail15normal_iteratorINSA_10device_ptrIxEEEEPS6_SG_NS0_5tupleIJSF_S6_EEENSH_IJSG_SG_EEES6_PlJNSB_9not_fun_tI7is_trueIxEEEEEE10hipError_tPvRmT3_T4_T5_T6_T7_T9_mT8_P12ihipStream_tbDpT10_ENKUlT_T0_E_clISt17integral_constantIbLb1EES18_EEDaS13_S14_EUlS13_E_NS1_11comp_targetILNS1_3genE4ELNS1_11target_archE910ELNS1_3gpuE8ELNS1_3repE0EEENS1_30default_config_static_selectorELNS0_4arch9wavefront6targetE0EEEvT1_.num_agpr, 0
	.set _ZN7rocprim17ROCPRIM_400000_NS6detail17trampoline_kernelINS0_14default_configENS1_25partition_config_selectorILNS1_17partition_subalgoE6ExNS0_10empty_typeEbEEZZNS1_14partition_implILS5_6ELb0ES3_mN6thrust23THRUST_200600_302600_NS6detail15normal_iteratorINSA_10device_ptrIxEEEEPS6_SG_NS0_5tupleIJSF_S6_EEENSH_IJSG_SG_EEES6_PlJNSB_9not_fun_tI7is_trueIxEEEEEE10hipError_tPvRmT3_T4_T5_T6_T7_T9_mT8_P12ihipStream_tbDpT10_ENKUlT_T0_E_clISt17integral_constantIbLb1EES18_EEDaS13_S14_EUlS13_E_NS1_11comp_targetILNS1_3genE4ELNS1_11target_archE910ELNS1_3gpuE8ELNS1_3repE0EEENS1_30default_config_static_selectorELNS0_4arch9wavefront6targetE0EEEvT1_.numbered_sgpr, 0
	.set _ZN7rocprim17ROCPRIM_400000_NS6detail17trampoline_kernelINS0_14default_configENS1_25partition_config_selectorILNS1_17partition_subalgoE6ExNS0_10empty_typeEbEEZZNS1_14partition_implILS5_6ELb0ES3_mN6thrust23THRUST_200600_302600_NS6detail15normal_iteratorINSA_10device_ptrIxEEEEPS6_SG_NS0_5tupleIJSF_S6_EEENSH_IJSG_SG_EEES6_PlJNSB_9not_fun_tI7is_trueIxEEEEEE10hipError_tPvRmT3_T4_T5_T6_T7_T9_mT8_P12ihipStream_tbDpT10_ENKUlT_T0_E_clISt17integral_constantIbLb1EES18_EEDaS13_S14_EUlS13_E_NS1_11comp_targetILNS1_3genE4ELNS1_11target_archE910ELNS1_3gpuE8ELNS1_3repE0EEENS1_30default_config_static_selectorELNS0_4arch9wavefront6targetE0EEEvT1_.num_named_barrier, 0
	.set _ZN7rocprim17ROCPRIM_400000_NS6detail17trampoline_kernelINS0_14default_configENS1_25partition_config_selectorILNS1_17partition_subalgoE6ExNS0_10empty_typeEbEEZZNS1_14partition_implILS5_6ELb0ES3_mN6thrust23THRUST_200600_302600_NS6detail15normal_iteratorINSA_10device_ptrIxEEEEPS6_SG_NS0_5tupleIJSF_S6_EEENSH_IJSG_SG_EEES6_PlJNSB_9not_fun_tI7is_trueIxEEEEEE10hipError_tPvRmT3_T4_T5_T6_T7_T9_mT8_P12ihipStream_tbDpT10_ENKUlT_T0_E_clISt17integral_constantIbLb1EES18_EEDaS13_S14_EUlS13_E_NS1_11comp_targetILNS1_3genE4ELNS1_11target_archE910ELNS1_3gpuE8ELNS1_3repE0EEENS1_30default_config_static_selectorELNS0_4arch9wavefront6targetE0EEEvT1_.private_seg_size, 0
	.set _ZN7rocprim17ROCPRIM_400000_NS6detail17trampoline_kernelINS0_14default_configENS1_25partition_config_selectorILNS1_17partition_subalgoE6ExNS0_10empty_typeEbEEZZNS1_14partition_implILS5_6ELb0ES3_mN6thrust23THRUST_200600_302600_NS6detail15normal_iteratorINSA_10device_ptrIxEEEEPS6_SG_NS0_5tupleIJSF_S6_EEENSH_IJSG_SG_EEES6_PlJNSB_9not_fun_tI7is_trueIxEEEEEE10hipError_tPvRmT3_T4_T5_T6_T7_T9_mT8_P12ihipStream_tbDpT10_ENKUlT_T0_E_clISt17integral_constantIbLb1EES18_EEDaS13_S14_EUlS13_E_NS1_11comp_targetILNS1_3genE4ELNS1_11target_archE910ELNS1_3gpuE8ELNS1_3repE0EEENS1_30default_config_static_selectorELNS0_4arch9wavefront6targetE0EEEvT1_.uses_vcc, 0
	.set _ZN7rocprim17ROCPRIM_400000_NS6detail17trampoline_kernelINS0_14default_configENS1_25partition_config_selectorILNS1_17partition_subalgoE6ExNS0_10empty_typeEbEEZZNS1_14partition_implILS5_6ELb0ES3_mN6thrust23THRUST_200600_302600_NS6detail15normal_iteratorINSA_10device_ptrIxEEEEPS6_SG_NS0_5tupleIJSF_S6_EEENSH_IJSG_SG_EEES6_PlJNSB_9not_fun_tI7is_trueIxEEEEEE10hipError_tPvRmT3_T4_T5_T6_T7_T9_mT8_P12ihipStream_tbDpT10_ENKUlT_T0_E_clISt17integral_constantIbLb1EES18_EEDaS13_S14_EUlS13_E_NS1_11comp_targetILNS1_3genE4ELNS1_11target_archE910ELNS1_3gpuE8ELNS1_3repE0EEENS1_30default_config_static_selectorELNS0_4arch9wavefront6targetE0EEEvT1_.uses_flat_scratch, 0
	.set _ZN7rocprim17ROCPRIM_400000_NS6detail17trampoline_kernelINS0_14default_configENS1_25partition_config_selectorILNS1_17partition_subalgoE6ExNS0_10empty_typeEbEEZZNS1_14partition_implILS5_6ELb0ES3_mN6thrust23THRUST_200600_302600_NS6detail15normal_iteratorINSA_10device_ptrIxEEEEPS6_SG_NS0_5tupleIJSF_S6_EEENSH_IJSG_SG_EEES6_PlJNSB_9not_fun_tI7is_trueIxEEEEEE10hipError_tPvRmT3_T4_T5_T6_T7_T9_mT8_P12ihipStream_tbDpT10_ENKUlT_T0_E_clISt17integral_constantIbLb1EES18_EEDaS13_S14_EUlS13_E_NS1_11comp_targetILNS1_3genE4ELNS1_11target_archE910ELNS1_3gpuE8ELNS1_3repE0EEENS1_30default_config_static_selectorELNS0_4arch9wavefront6targetE0EEEvT1_.has_dyn_sized_stack, 0
	.set _ZN7rocprim17ROCPRIM_400000_NS6detail17trampoline_kernelINS0_14default_configENS1_25partition_config_selectorILNS1_17partition_subalgoE6ExNS0_10empty_typeEbEEZZNS1_14partition_implILS5_6ELb0ES3_mN6thrust23THRUST_200600_302600_NS6detail15normal_iteratorINSA_10device_ptrIxEEEEPS6_SG_NS0_5tupleIJSF_S6_EEENSH_IJSG_SG_EEES6_PlJNSB_9not_fun_tI7is_trueIxEEEEEE10hipError_tPvRmT3_T4_T5_T6_T7_T9_mT8_P12ihipStream_tbDpT10_ENKUlT_T0_E_clISt17integral_constantIbLb1EES18_EEDaS13_S14_EUlS13_E_NS1_11comp_targetILNS1_3genE4ELNS1_11target_archE910ELNS1_3gpuE8ELNS1_3repE0EEENS1_30default_config_static_selectorELNS0_4arch9wavefront6targetE0EEEvT1_.has_recursion, 0
	.set _ZN7rocprim17ROCPRIM_400000_NS6detail17trampoline_kernelINS0_14default_configENS1_25partition_config_selectorILNS1_17partition_subalgoE6ExNS0_10empty_typeEbEEZZNS1_14partition_implILS5_6ELb0ES3_mN6thrust23THRUST_200600_302600_NS6detail15normal_iteratorINSA_10device_ptrIxEEEEPS6_SG_NS0_5tupleIJSF_S6_EEENSH_IJSG_SG_EEES6_PlJNSB_9not_fun_tI7is_trueIxEEEEEE10hipError_tPvRmT3_T4_T5_T6_T7_T9_mT8_P12ihipStream_tbDpT10_ENKUlT_T0_E_clISt17integral_constantIbLb1EES18_EEDaS13_S14_EUlS13_E_NS1_11comp_targetILNS1_3genE4ELNS1_11target_archE910ELNS1_3gpuE8ELNS1_3repE0EEENS1_30default_config_static_selectorELNS0_4arch9wavefront6targetE0EEEvT1_.has_indirect_call, 0
	.section	.AMDGPU.csdata,"",@progbits
; Kernel info:
; codeLenInByte = 0
; TotalNumSgprs: 0
; NumVgprs: 0
; ScratchSize: 0
; MemoryBound: 0
; FloatMode: 240
; IeeeMode: 1
; LDSByteSize: 0 bytes/workgroup (compile time only)
; SGPRBlocks: 0
; VGPRBlocks: 0
; NumSGPRsForWavesPerEU: 1
; NumVGPRsForWavesPerEU: 1
; Occupancy: 16
; WaveLimiterHint : 0
; COMPUTE_PGM_RSRC2:SCRATCH_EN: 0
; COMPUTE_PGM_RSRC2:USER_SGPR: 2
; COMPUTE_PGM_RSRC2:TRAP_HANDLER: 0
; COMPUTE_PGM_RSRC2:TGID_X_EN: 1
; COMPUTE_PGM_RSRC2:TGID_Y_EN: 0
; COMPUTE_PGM_RSRC2:TGID_Z_EN: 0
; COMPUTE_PGM_RSRC2:TIDIG_COMP_CNT: 0
	.section	.text._ZN7rocprim17ROCPRIM_400000_NS6detail17trampoline_kernelINS0_14default_configENS1_25partition_config_selectorILNS1_17partition_subalgoE6ExNS0_10empty_typeEbEEZZNS1_14partition_implILS5_6ELb0ES3_mN6thrust23THRUST_200600_302600_NS6detail15normal_iteratorINSA_10device_ptrIxEEEEPS6_SG_NS0_5tupleIJSF_S6_EEENSH_IJSG_SG_EEES6_PlJNSB_9not_fun_tI7is_trueIxEEEEEE10hipError_tPvRmT3_T4_T5_T6_T7_T9_mT8_P12ihipStream_tbDpT10_ENKUlT_T0_E_clISt17integral_constantIbLb1EES18_EEDaS13_S14_EUlS13_E_NS1_11comp_targetILNS1_3genE3ELNS1_11target_archE908ELNS1_3gpuE7ELNS1_3repE0EEENS1_30default_config_static_selectorELNS0_4arch9wavefront6targetE0EEEvT1_,"axG",@progbits,_ZN7rocprim17ROCPRIM_400000_NS6detail17trampoline_kernelINS0_14default_configENS1_25partition_config_selectorILNS1_17partition_subalgoE6ExNS0_10empty_typeEbEEZZNS1_14partition_implILS5_6ELb0ES3_mN6thrust23THRUST_200600_302600_NS6detail15normal_iteratorINSA_10device_ptrIxEEEEPS6_SG_NS0_5tupleIJSF_S6_EEENSH_IJSG_SG_EEES6_PlJNSB_9not_fun_tI7is_trueIxEEEEEE10hipError_tPvRmT3_T4_T5_T6_T7_T9_mT8_P12ihipStream_tbDpT10_ENKUlT_T0_E_clISt17integral_constantIbLb1EES18_EEDaS13_S14_EUlS13_E_NS1_11comp_targetILNS1_3genE3ELNS1_11target_archE908ELNS1_3gpuE7ELNS1_3repE0EEENS1_30default_config_static_selectorELNS0_4arch9wavefront6targetE0EEEvT1_,comdat
	.protected	_ZN7rocprim17ROCPRIM_400000_NS6detail17trampoline_kernelINS0_14default_configENS1_25partition_config_selectorILNS1_17partition_subalgoE6ExNS0_10empty_typeEbEEZZNS1_14partition_implILS5_6ELb0ES3_mN6thrust23THRUST_200600_302600_NS6detail15normal_iteratorINSA_10device_ptrIxEEEEPS6_SG_NS0_5tupleIJSF_S6_EEENSH_IJSG_SG_EEES6_PlJNSB_9not_fun_tI7is_trueIxEEEEEE10hipError_tPvRmT3_T4_T5_T6_T7_T9_mT8_P12ihipStream_tbDpT10_ENKUlT_T0_E_clISt17integral_constantIbLb1EES18_EEDaS13_S14_EUlS13_E_NS1_11comp_targetILNS1_3genE3ELNS1_11target_archE908ELNS1_3gpuE7ELNS1_3repE0EEENS1_30default_config_static_selectorELNS0_4arch9wavefront6targetE0EEEvT1_ ; -- Begin function _ZN7rocprim17ROCPRIM_400000_NS6detail17trampoline_kernelINS0_14default_configENS1_25partition_config_selectorILNS1_17partition_subalgoE6ExNS0_10empty_typeEbEEZZNS1_14partition_implILS5_6ELb0ES3_mN6thrust23THRUST_200600_302600_NS6detail15normal_iteratorINSA_10device_ptrIxEEEEPS6_SG_NS0_5tupleIJSF_S6_EEENSH_IJSG_SG_EEES6_PlJNSB_9not_fun_tI7is_trueIxEEEEEE10hipError_tPvRmT3_T4_T5_T6_T7_T9_mT8_P12ihipStream_tbDpT10_ENKUlT_T0_E_clISt17integral_constantIbLb1EES18_EEDaS13_S14_EUlS13_E_NS1_11comp_targetILNS1_3genE3ELNS1_11target_archE908ELNS1_3gpuE7ELNS1_3repE0EEENS1_30default_config_static_selectorELNS0_4arch9wavefront6targetE0EEEvT1_
	.globl	_ZN7rocprim17ROCPRIM_400000_NS6detail17trampoline_kernelINS0_14default_configENS1_25partition_config_selectorILNS1_17partition_subalgoE6ExNS0_10empty_typeEbEEZZNS1_14partition_implILS5_6ELb0ES3_mN6thrust23THRUST_200600_302600_NS6detail15normal_iteratorINSA_10device_ptrIxEEEEPS6_SG_NS0_5tupleIJSF_S6_EEENSH_IJSG_SG_EEES6_PlJNSB_9not_fun_tI7is_trueIxEEEEEE10hipError_tPvRmT3_T4_T5_T6_T7_T9_mT8_P12ihipStream_tbDpT10_ENKUlT_T0_E_clISt17integral_constantIbLb1EES18_EEDaS13_S14_EUlS13_E_NS1_11comp_targetILNS1_3genE3ELNS1_11target_archE908ELNS1_3gpuE7ELNS1_3repE0EEENS1_30default_config_static_selectorELNS0_4arch9wavefront6targetE0EEEvT1_
	.p2align	8
	.type	_ZN7rocprim17ROCPRIM_400000_NS6detail17trampoline_kernelINS0_14default_configENS1_25partition_config_selectorILNS1_17partition_subalgoE6ExNS0_10empty_typeEbEEZZNS1_14partition_implILS5_6ELb0ES3_mN6thrust23THRUST_200600_302600_NS6detail15normal_iteratorINSA_10device_ptrIxEEEEPS6_SG_NS0_5tupleIJSF_S6_EEENSH_IJSG_SG_EEES6_PlJNSB_9not_fun_tI7is_trueIxEEEEEE10hipError_tPvRmT3_T4_T5_T6_T7_T9_mT8_P12ihipStream_tbDpT10_ENKUlT_T0_E_clISt17integral_constantIbLb1EES18_EEDaS13_S14_EUlS13_E_NS1_11comp_targetILNS1_3genE3ELNS1_11target_archE908ELNS1_3gpuE7ELNS1_3repE0EEENS1_30default_config_static_selectorELNS0_4arch9wavefront6targetE0EEEvT1_,@function
_ZN7rocprim17ROCPRIM_400000_NS6detail17trampoline_kernelINS0_14default_configENS1_25partition_config_selectorILNS1_17partition_subalgoE6ExNS0_10empty_typeEbEEZZNS1_14partition_implILS5_6ELb0ES3_mN6thrust23THRUST_200600_302600_NS6detail15normal_iteratorINSA_10device_ptrIxEEEEPS6_SG_NS0_5tupleIJSF_S6_EEENSH_IJSG_SG_EEES6_PlJNSB_9not_fun_tI7is_trueIxEEEEEE10hipError_tPvRmT3_T4_T5_T6_T7_T9_mT8_P12ihipStream_tbDpT10_ENKUlT_T0_E_clISt17integral_constantIbLb1EES18_EEDaS13_S14_EUlS13_E_NS1_11comp_targetILNS1_3genE3ELNS1_11target_archE908ELNS1_3gpuE7ELNS1_3repE0EEENS1_30default_config_static_selectorELNS0_4arch9wavefront6targetE0EEEvT1_: ; @_ZN7rocprim17ROCPRIM_400000_NS6detail17trampoline_kernelINS0_14default_configENS1_25partition_config_selectorILNS1_17partition_subalgoE6ExNS0_10empty_typeEbEEZZNS1_14partition_implILS5_6ELb0ES3_mN6thrust23THRUST_200600_302600_NS6detail15normal_iteratorINSA_10device_ptrIxEEEEPS6_SG_NS0_5tupleIJSF_S6_EEENSH_IJSG_SG_EEES6_PlJNSB_9not_fun_tI7is_trueIxEEEEEE10hipError_tPvRmT3_T4_T5_T6_T7_T9_mT8_P12ihipStream_tbDpT10_ENKUlT_T0_E_clISt17integral_constantIbLb1EES18_EEDaS13_S14_EUlS13_E_NS1_11comp_targetILNS1_3genE3ELNS1_11target_archE908ELNS1_3gpuE7ELNS1_3repE0EEENS1_30default_config_static_selectorELNS0_4arch9wavefront6targetE0EEEvT1_
; %bb.0:
	.section	.rodata,"a",@progbits
	.p2align	6, 0x0
	.amdhsa_kernel _ZN7rocprim17ROCPRIM_400000_NS6detail17trampoline_kernelINS0_14default_configENS1_25partition_config_selectorILNS1_17partition_subalgoE6ExNS0_10empty_typeEbEEZZNS1_14partition_implILS5_6ELb0ES3_mN6thrust23THRUST_200600_302600_NS6detail15normal_iteratorINSA_10device_ptrIxEEEEPS6_SG_NS0_5tupleIJSF_S6_EEENSH_IJSG_SG_EEES6_PlJNSB_9not_fun_tI7is_trueIxEEEEEE10hipError_tPvRmT3_T4_T5_T6_T7_T9_mT8_P12ihipStream_tbDpT10_ENKUlT_T0_E_clISt17integral_constantIbLb1EES18_EEDaS13_S14_EUlS13_E_NS1_11comp_targetILNS1_3genE3ELNS1_11target_archE908ELNS1_3gpuE7ELNS1_3repE0EEENS1_30default_config_static_selectorELNS0_4arch9wavefront6targetE0EEEvT1_
		.amdhsa_group_segment_fixed_size 0
		.amdhsa_private_segment_fixed_size 0
		.amdhsa_kernarg_size 128
		.amdhsa_user_sgpr_count 2
		.amdhsa_user_sgpr_dispatch_ptr 0
		.amdhsa_user_sgpr_queue_ptr 0
		.amdhsa_user_sgpr_kernarg_segment_ptr 1
		.amdhsa_user_sgpr_dispatch_id 0
		.amdhsa_user_sgpr_private_segment_size 0
		.amdhsa_wavefront_size32 1
		.amdhsa_uses_dynamic_stack 0
		.amdhsa_enable_private_segment 0
		.amdhsa_system_sgpr_workgroup_id_x 1
		.amdhsa_system_sgpr_workgroup_id_y 0
		.amdhsa_system_sgpr_workgroup_id_z 0
		.amdhsa_system_sgpr_workgroup_info 0
		.amdhsa_system_vgpr_workitem_id 0
		.amdhsa_next_free_vgpr 1
		.amdhsa_next_free_sgpr 1
		.amdhsa_reserve_vcc 0
		.amdhsa_float_round_mode_32 0
		.amdhsa_float_round_mode_16_64 0
		.amdhsa_float_denorm_mode_32 3
		.amdhsa_float_denorm_mode_16_64 3
		.amdhsa_fp16_overflow 0
		.amdhsa_workgroup_processor_mode 1
		.amdhsa_memory_ordered 1
		.amdhsa_forward_progress 1
		.amdhsa_inst_pref_size 0
		.amdhsa_round_robin_scheduling 0
		.amdhsa_exception_fp_ieee_invalid_op 0
		.amdhsa_exception_fp_denorm_src 0
		.amdhsa_exception_fp_ieee_div_zero 0
		.amdhsa_exception_fp_ieee_overflow 0
		.amdhsa_exception_fp_ieee_underflow 0
		.amdhsa_exception_fp_ieee_inexact 0
		.amdhsa_exception_int_div_zero 0
	.end_amdhsa_kernel
	.section	.text._ZN7rocprim17ROCPRIM_400000_NS6detail17trampoline_kernelINS0_14default_configENS1_25partition_config_selectorILNS1_17partition_subalgoE6ExNS0_10empty_typeEbEEZZNS1_14partition_implILS5_6ELb0ES3_mN6thrust23THRUST_200600_302600_NS6detail15normal_iteratorINSA_10device_ptrIxEEEEPS6_SG_NS0_5tupleIJSF_S6_EEENSH_IJSG_SG_EEES6_PlJNSB_9not_fun_tI7is_trueIxEEEEEE10hipError_tPvRmT3_T4_T5_T6_T7_T9_mT8_P12ihipStream_tbDpT10_ENKUlT_T0_E_clISt17integral_constantIbLb1EES18_EEDaS13_S14_EUlS13_E_NS1_11comp_targetILNS1_3genE3ELNS1_11target_archE908ELNS1_3gpuE7ELNS1_3repE0EEENS1_30default_config_static_selectorELNS0_4arch9wavefront6targetE0EEEvT1_,"axG",@progbits,_ZN7rocprim17ROCPRIM_400000_NS6detail17trampoline_kernelINS0_14default_configENS1_25partition_config_selectorILNS1_17partition_subalgoE6ExNS0_10empty_typeEbEEZZNS1_14partition_implILS5_6ELb0ES3_mN6thrust23THRUST_200600_302600_NS6detail15normal_iteratorINSA_10device_ptrIxEEEEPS6_SG_NS0_5tupleIJSF_S6_EEENSH_IJSG_SG_EEES6_PlJNSB_9not_fun_tI7is_trueIxEEEEEE10hipError_tPvRmT3_T4_T5_T6_T7_T9_mT8_P12ihipStream_tbDpT10_ENKUlT_T0_E_clISt17integral_constantIbLb1EES18_EEDaS13_S14_EUlS13_E_NS1_11comp_targetILNS1_3genE3ELNS1_11target_archE908ELNS1_3gpuE7ELNS1_3repE0EEENS1_30default_config_static_selectorELNS0_4arch9wavefront6targetE0EEEvT1_,comdat
.Lfunc_end1216:
	.size	_ZN7rocprim17ROCPRIM_400000_NS6detail17trampoline_kernelINS0_14default_configENS1_25partition_config_selectorILNS1_17partition_subalgoE6ExNS0_10empty_typeEbEEZZNS1_14partition_implILS5_6ELb0ES3_mN6thrust23THRUST_200600_302600_NS6detail15normal_iteratorINSA_10device_ptrIxEEEEPS6_SG_NS0_5tupleIJSF_S6_EEENSH_IJSG_SG_EEES6_PlJNSB_9not_fun_tI7is_trueIxEEEEEE10hipError_tPvRmT3_T4_T5_T6_T7_T9_mT8_P12ihipStream_tbDpT10_ENKUlT_T0_E_clISt17integral_constantIbLb1EES18_EEDaS13_S14_EUlS13_E_NS1_11comp_targetILNS1_3genE3ELNS1_11target_archE908ELNS1_3gpuE7ELNS1_3repE0EEENS1_30default_config_static_selectorELNS0_4arch9wavefront6targetE0EEEvT1_, .Lfunc_end1216-_ZN7rocprim17ROCPRIM_400000_NS6detail17trampoline_kernelINS0_14default_configENS1_25partition_config_selectorILNS1_17partition_subalgoE6ExNS0_10empty_typeEbEEZZNS1_14partition_implILS5_6ELb0ES3_mN6thrust23THRUST_200600_302600_NS6detail15normal_iteratorINSA_10device_ptrIxEEEEPS6_SG_NS0_5tupleIJSF_S6_EEENSH_IJSG_SG_EEES6_PlJNSB_9not_fun_tI7is_trueIxEEEEEE10hipError_tPvRmT3_T4_T5_T6_T7_T9_mT8_P12ihipStream_tbDpT10_ENKUlT_T0_E_clISt17integral_constantIbLb1EES18_EEDaS13_S14_EUlS13_E_NS1_11comp_targetILNS1_3genE3ELNS1_11target_archE908ELNS1_3gpuE7ELNS1_3repE0EEENS1_30default_config_static_selectorELNS0_4arch9wavefront6targetE0EEEvT1_
                                        ; -- End function
	.set _ZN7rocprim17ROCPRIM_400000_NS6detail17trampoline_kernelINS0_14default_configENS1_25partition_config_selectorILNS1_17partition_subalgoE6ExNS0_10empty_typeEbEEZZNS1_14partition_implILS5_6ELb0ES3_mN6thrust23THRUST_200600_302600_NS6detail15normal_iteratorINSA_10device_ptrIxEEEEPS6_SG_NS0_5tupleIJSF_S6_EEENSH_IJSG_SG_EEES6_PlJNSB_9not_fun_tI7is_trueIxEEEEEE10hipError_tPvRmT3_T4_T5_T6_T7_T9_mT8_P12ihipStream_tbDpT10_ENKUlT_T0_E_clISt17integral_constantIbLb1EES18_EEDaS13_S14_EUlS13_E_NS1_11comp_targetILNS1_3genE3ELNS1_11target_archE908ELNS1_3gpuE7ELNS1_3repE0EEENS1_30default_config_static_selectorELNS0_4arch9wavefront6targetE0EEEvT1_.num_vgpr, 0
	.set _ZN7rocprim17ROCPRIM_400000_NS6detail17trampoline_kernelINS0_14default_configENS1_25partition_config_selectorILNS1_17partition_subalgoE6ExNS0_10empty_typeEbEEZZNS1_14partition_implILS5_6ELb0ES3_mN6thrust23THRUST_200600_302600_NS6detail15normal_iteratorINSA_10device_ptrIxEEEEPS6_SG_NS0_5tupleIJSF_S6_EEENSH_IJSG_SG_EEES6_PlJNSB_9not_fun_tI7is_trueIxEEEEEE10hipError_tPvRmT3_T4_T5_T6_T7_T9_mT8_P12ihipStream_tbDpT10_ENKUlT_T0_E_clISt17integral_constantIbLb1EES18_EEDaS13_S14_EUlS13_E_NS1_11comp_targetILNS1_3genE3ELNS1_11target_archE908ELNS1_3gpuE7ELNS1_3repE0EEENS1_30default_config_static_selectorELNS0_4arch9wavefront6targetE0EEEvT1_.num_agpr, 0
	.set _ZN7rocprim17ROCPRIM_400000_NS6detail17trampoline_kernelINS0_14default_configENS1_25partition_config_selectorILNS1_17partition_subalgoE6ExNS0_10empty_typeEbEEZZNS1_14partition_implILS5_6ELb0ES3_mN6thrust23THRUST_200600_302600_NS6detail15normal_iteratorINSA_10device_ptrIxEEEEPS6_SG_NS0_5tupleIJSF_S6_EEENSH_IJSG_SG_EEES6_PlJNSB_9not_fun_tI7is_trueIxEEEEEE10hipError_tPvRmT3_T4_T5_T6_T7_T9_mT8_P12ihipStream_tbDpT10_ENKUlT_T0_E_clISt17integral_constantIbLb1EES18_EEDaS13_S14_EUlS13_E_NS1_11comp_targetILNS1_3genE3ELNS1_11target_archE908ELNS1_3gpuE7ELNS1_3repE0EEENS1_30default_config_static_selectorELNS0_4arch9wavefront6targetE0EEEvT1_.numbered_sgpr, 0
	.set _ZN7rocprim17ROCPRIM_400000_NS6detail17trampoline_kernelINS0_14default_configENS1_25partition_config_selectorILNS1_17partition_subalgoE6ExNS0_10empty_typeEbEEZZNS1_14partition_implILS5_6ELb0ES3_mN6thrust23THRUST_200600_302600_NS6detail15normal_iteratorINSA_10device_ptrIxEEEEPS6_SG_NS0_5tupleIJSF_S6_EEENSH_IJSG_SG_EEES6_PlJNSB_9not_fun_tI7is_trueIxEEEEEE10hipError_tPvRmT3_T4_T5_T6_T7_T9_mT8_P12ihipStream_tbDpT10_ENKUlT_T0_E_clISt17integral_constantIbLb1EES18_EEDaS13_S14_EUlS13_E_NS1_11comp_targetILNS1_3genE3ELNS1_11target_archE908ELNS1_3gpuE7ELNS1_3repE0EEENS1_30default_config_static_selectorELNS0_4arch9wavefront6targetE0EEEvT1_.num_named_barrier, 0
	.set _ZN7rocprim17ROCPRIM_400000_NS6detail17trampoline_kernelINS0_14default_configENS1_25partition_config_selectorILNS1_17partition_subalgoE6ExNS0_10empty_typeEbEEZZNS1_14partition_implILS5_6ELb0ES3_mN6thrust23THRUST_200600_302600_NS6detail15normal_iteratorINSA_10device_ptrIxEEEEPS6_SG_NS0_5tupleIJSF_S6_EEENSH_IJSG_SG_EEES6_PlJNSB_9not_fun_tI7is_trueIxEEEEEE10hipError_tPvRmT3_T4_T5_T6_T7_T9_mT8_P12ihipStream_tbDpT10_ENKUlT_T0_E_clISt17integral_constantIbLb1EES18_EEDaS13_S14_EUlS13_E_NS1_11comp_targetILNS1_3genE3ELNS1_11target_archE908ELNS1_3gpuE7ELNS1_3repE0EEENS1_30default_config_static_selectorELNS0_4arch9wavefront6targetE0EEEvT1_.private_seg_size, 0
	.set _ZN7rocprim17ROCPRIM_400000_NS6detail17trampoline_kernelINS0_14default_configENS1_25partition_config_selectorILNS1_17partition_subalgoE6ExNS0_10empty_typeEbEEZZNS1_14partition_implILS5_6ELb0ES3_mN6thrust23THRUST_200600_302600_NS6detail15normal_iteratorINSA_10device_ptrIxEEEEPS6_SG_NS0_5tupleIJSF_S6_EEENSH_IJSG_SG_EEES6_PlJNSB_9not_fun_tI7is_trueIxEEEEEE10hipError_tPvRmT3_T4_T5_T6_T7_T9_mT8_P12ihipStream_tbDpT10_ENKUlT_T0_E_clISt17integral_constantIbLb1EES18_EEDaS13_S14_EUlS13_E_NS1_11comp_targetILNS1_3genE3ELNS1_11target_archE908ELNS1_3gpuE7ELNS1_3repE0EEENS1_30default_config_static_selectorELNS0_4arch9wavefront6targetE0EEEvT1_.uses_vcc, 0
	.set _ZN7rocprim17ROCPRIM_400000_NS6detail17trampoline_kernelINS0_14default_configENS1_25partition_config_selectorILNS1_17partition_subalgoE6ExNS0_10empty_typeEbEEZZNS1_14partition_implILS5_6ELb0ES3_mN6thrust23THRUST_200600_302600_NS6detail15normal_iteratorINSA_10device_ptrIxEEEEPS6_SG_NS0_5tupleIJSF_S6_EEENSH_IJSG_SG_EEES6_PlJNSB_9not_fun_tI7is_trueIxEEEEEE10hipError_tPvRmT3_T4_T5_T6_T7_T9_mT8_P12ihipStream_tbDpT10_ENKUlT_T0_E_clISt17integral_constantIbLb1EES18_EEDaS13_S14_EUlS13_E_NS1_11comp_targetILNS1_3genE3ELNS1_11target_archE908ELNS1_3gpuE7ELNS1_3repE0EEENS1_30default_config_static_selectorELNS0_4arch9wavefront6targetE0EEEvT1_.uses_flat_scratch, 0
	.set _ZN7rocprim17ROCPRIM_400000_NS6detail17trampoline_kernelINS0_14default_configENS1_25partition_config_selectorILNS1_17partition_subalgoE6ExNS0_10empty_typeEbEEZZNS1_14partition_implILS5_6ELb0ES3_mN6thrust23THRUST_200600_302600_NS6detail15normal_iteratorINSA_10device_ptrIxEEEEPS6_SG_NS0_5tupleIJSF_S6_EEENSH_IJSG_SG_EEES6_PlJNSB_9not_fun_tI7is_trueIxEEEEEE10hipError_tPvRmT3_T4_T5_T6_T7_T9_mT8_P12ihipStream_tbDpT10_ENKUlT_T0_E_clISt17integral_constantIbLb1EES18_EEDaS13_S14_EUlS13_E_NS1_11comp_targetILNS1_3genE3ELNS1_11target_archE908ELNS1_3gpuE7ELNS1_3repE0EEENS1_30default_config_static_selectorELNS0_4arch9wavefront6targetE0EEEvT1_.has_dyn_sized_stack, 0
	.set _ZN7rocprim17ROCPRIM_400000_NS6detail17trampoline_kernelINS0_14default_configENS1_25partition_config_selectorILNS1_17partition_subalgoE6ExNS0_10empty_typeEbEEZZNS1_14partition_implILS5_6ELb0ES3_mN6thrust23THRUST_200600_302600_NS6detail15normal_iteratorINSA_10device_ptrIxEEEEPS6_SG_NS0_5tupleIJSF_S6_EEENSH_IJSG_SG_EEES6_PlJNSB_9not_fun_tI7is_trueIxEEEEEE10hipError_tPvRmT3_T4_T5_T6_T7_T9_mT8_P12ihipStream_tbDpT10_ENKUlT_T0_E_clISt17integral_constantIbLb1EES18_EEDaS13_S14_EUlS13_E_NS1_11comp_targetILNS1_3genE3ELNS1_11target_archE908ELNS1_3gpuE7ELNS1_3repE0EEENS1_30default_config_static_selectorELNS0_4arch9wavefront6targetE0EEEvT1_.has_recursion, 0
	.set _ZN7rocprim17ROCPRIM_400000_NS6detail17trampoline_kernelINS0_14default_configENS1_25partition_config_selectorILNS1_17partition_subalgoE6ExNS0_10empty_typeEbEEZZNS1_14partition_implILS5_6ELb0ES3_mN6thrust23THRUST_200600_302600_NS6detail15normal_iteratorINSA_10device_ptrIxEEEEPS6_SG_NS0_5tupleIJSF_S6_EEENSH_IJSG_SG_EEES6_PlJNSB_9not_fun_tI7is_trueIxEEEEEE10hipError_tPvRmT3_T4_T5_T6_T7_T9_mT8_P12ihipStream_tbDpT10_ENKUlT_T0_E_clISt17integral_constantIbLb1EES18_EEDaS13_S14_EUlS13_E_NS1_11comp_targetILNS1_3genE3ELNS1_11target_archE908ELNS1_3gpuE7ELNS1_3repE0EEENS1_30default_config_static_selectorELNS0_4arch9wavefront6targetE0EEEvT1_.has_indirect_call, 0
	.section	.AMDGPU.csdata,"",@progbits
; Kernel info:
; codeLenInByte = 0
; TotalNumSgprs: 0
; NumVgprs: 0
; ScratchSize: 0
; MemoryBound: 0
; FloatMode: 240
; IeeeMode: 1
; LDSByteSize: 0 bytes/workgroup (compile time only)
; SGPRBlocks: 0
; VGPRBlocks: 0
; NumSGPRsForWavesPerEU: 1
; NumVGPRsForWavesPerEU: 1
; Occupancy: 16
; WaveLimiterHint : 0
; COMPUTE_PGM_RSRC2:SCRATCH_EN: 0
; COMPUTE_PGM_RSRC2:USER_SGPR: 2
; COMPUTE_PGM_RSRC2:TRAP_HANDLER: 0
; COMPUTE_PGM_RSRC2:TGID_X_EN: 1
; COMPUTE_PGM_RSRC2:TGID_Y_EN: 0
; COMPUTE_PGM_RSRC2:TGID_Z_EN: 0
; COMPUTE_PGM_RSRC2:TIDIG_COMP_CNT: 0
	.section	.text._ZN7rocprim17ROCPRIM_400000_NS6detail17trampoline_kernelINS0_14default_configENS1_25partition_config_selectorILNS1_17partition_subalgoE6ExNS0_10empty_typeEbEEZZNS1_14partition_implILS5_6ELb0ES3_mN6thrust23THRUST_200600_302600_NS6detail15normal_iteratorINSA_10device_ptrIxEEEEPS6_SG_NS0_5tupleIJSF_S6_EEENSH_IJSG_SG_EEES6_PlJNSB_9not_fun_tI7is_trueIxEEEEEE10hipError_tPvRmT3_T4_T5_T6_T7_T9_mT8_P12ihipStream_tbDpT10_ENKUlT_T0_E_clISt17integral_constantIbLb1EES18_EEDaS13_S14_EUlS13_E_NS1_11comp_targetILNS1_3genE2ELNS1_11target_archE906ELNS1_3gpuE6ELNS1_3repE0EEENS1_30default_config_static_selectorELNS0_4arch9wavefront6targetE0EEEvT1_,"axG",@progbits,_ZN7rocprim17ROCPRIM_400000_NS6detail17trampoline_kernelINS0_14default_configENS1_25partition_config_selectorILNS1_17partition_subalgoE6ExNS0_10empty_typeEbEEZZNS1_14partition_implILS5_6ELb0ES3_mN6thrust23THRUST_200600_302600_NS6detail15normal_iteratorINSA_10device_ptrIxEEEEPS6_SG_NS0_5tupleIJSF_S6_EEENSH_IJSG_SG_EEES6_PlJNSB_9not_fun_tI7is_trueIxEEEEEE10hipError_tPvRmT3_T4_T5_T6_T7_T9_mT8_P12ihipStream_tbDpT10_ENKUlT_T0_E_clISt17integral_constantIbLb1EES18_EEDaS13_S14_EUlS13_E_NS1_11comp_targetILNS1_3genE2ELNS1_11target_archE906ELNS1_3gpuE6ELNS1_3repE0EEENS1_30default_config_static_selectorELNS0_4arch9wavefront6targetE0EEEvT1_,comdat
	.protected	_ZN7rocprim17ROCPRIM_400000_NS6detail17trampoline_kernelINS0_14default_configENS1_25partition_config_selectorILNS1_17partition_subalgoE6ExNS0_10empty_typeEbEEZZNS1_14partition_implILS5_6ELb0ES3_mN6thrust23THRUST_200600_302600_NS6detail15normal_iteratorINSA_10device_ptrIxEEEEPS6_SG_NS0_5tupleIJSF_S6_EEENSH_IJSG_SG_EEES6_PlJNSB_9not_fun_tI7is_trueIxEEEEEE10hipError_tPvRmT3_T4_T5_T6_T7_T9_mT8_P12ihipStream_tbDpT10_ENKUlT_T0_E_clISt17integral_constantIbLb1EES18_EEDaS13_S14_EUlS13_E_NS1_11comp_targetILNS1_3genE2ELNS1_11target_archE906ELNS1_3gpuE6ELNS1_3repE0EEENS1_30default_config_static_selectorELNS0_4arch9wavefront6targetE0EEEvT1_ ; -- Begin function _ZN7rocprim17ROCPRIM_400000_NS6detail17trampoline_kernelINS0_14default_configENS1_25partition_config_selectorILNS1_17partition_subalgoE6ExNS0_10empty_typeEbEEZZNS1_14partition_implILS5_6ELb0ES3_mN6thrust23THRUST_200600_302600_NS6detail15normal_iteratorINSA_10device_ptrIxEEEEPS6_SG_NS0_5tupleIJSF_S6_EEENSH_IJSG_SG_EEES6_PlJNSB_9not_fun_tI7is_trueIxEEEEEE10hipError_tPvRmT3_T4_T5_T6_T7_T9_mT8_P12ihipStream_tbDpT10_ENKUlT_T0_E_clISt17integral_constantIbLb1EES18_EEDaS13_S14_EUlS13_E_NS1_11comp_targetILNS1_3genE2ELNS1_11target_archE906ELNS1_3gpuE6ELNS1_3repE0EEENS1_30default_config_static_selectorELNS0_4arch9wavefront6targetE0EEEvT1_
	.globl	_ZN7rocprim17ROCPRIM_400000_NS6detail17trampoline_kernelINS0_14default_configENS1_25partition_config_selectorILNS1_17partition_subalgoE6ExNS0_10empty_typeEbEEZZNS1_14partition_implILS5_6ELb0ES3_mN6thrust23THRUST_200600_302600_NS6detail15normal_iteratorINSA_10device_ptrIxEEEEPS6_SG_NS0_5tupleIJSF_S6_EEENSH_IJSG_SG_EEES6_PlJNSB_9not_fun_tI7is_trueIxEEEEEE10hipError_tPvRmT3_T4_T5_T6_T7_T9_mT8_P12ihipStream_tbDpT10_ENKUlT_T0_E_clISt17integral_constantIbLb1EES18_EEDaS13_S14_EUlS13_E_NS1_11comp_targetILNS1_3genE2ELNS1_11target_archE906ELNS1_3gpuE6ELNS1_3repE0EEENS1_30default_config_static_selectorELNS0_4arch9wavefront6targetE0EEEvT1_
	.p2align	8
	.type	_ZN7rocprim17ROCPRIM_400000_NS6detail17trampoline_kernelINS0_14default_configENS1_25partition_config_selectorILNS1_17partition_subalgoE6ExNS0_10empty_typeEbEEZZNS1_14partition_implILS5_6ELb0ES3_mN6thrust23THRUST_200600_302600_NS6detail15normal_iteratorINSA_10device_ptrIxEEEEPS6_SG_NS0_5tupleIJSF_S6_EEENSH_IJSG_SG_EEES6_PlJNSB_9not_fun_tI7is_trueIxEEEEEE10hipError_tPvRmT3_T4_T5_T6_T7_T9_mT8_P12ihipStream_tbDpT10_ENKUlT_T0_E_clISt17integral_constantIbLb1EES18_EEDaS13_S14_EUlS13_E_NS1_11comp_targetILNS1_3genE2ELNS1_11target_archE906ELNS1_3gpuE6ELNS1_3repE0EEENS1_30default_config_static_selectorELNS0_4arch9wavefront6targetE0EEEvT1_,@function
_ZN7rocprim17ROCPRIM_400000_NS6detail17trampoline_kernelINS0_14default_configENS1_25partition_config_selectorILNS1_17partition_subalgoE6ExNS0_10empty_typeEbEEZZNS1_14partition_implILS5_6ELb0ES3_mN6thrust23THRUST_200600_302600_NS6detail15normal_iteratorINSA_10device_ptrIxEEEEPS6_SG_NS0_5tupleIJSF_S6_EEENSH_IJSG_SG_EEES6_PlJNSB_9not_fun_tI7is_trueIxEEEEEE10hipError_tPvRmT3_T4_T5_T6_T7_T9_mT8_P12ihipStream_tbDpT10_ENKUlT_T0_E_clISt17integral_constantIbLb1EES18_EEDaS13_S14_EUlS13_E_NS1_11comp_targetILNS1_3genE2ELNS1_11target_archE906ELNS1_3gpuE6ELNS1_3repE0EEENS1_30default_config_static_selectorELNS0_4arch9wavefront6targetE0EEEvT1_: ; @_ZN7rocprim17ROCPRIM_400000_NS6detail17trampoline_kernelINS0_14default_configENS1_25partition_config_selectorILNS1_17partition_subalgoE6ExNS0_10empty_typeEbEEZZNS1_14partition_implILS5_6ELb0ES3_mN6thrust23THRUST_200600_302600_NS6detail15normal_iteratorINSA_10device_ptrIxEEEEPS6_SG_NS0_5tupleIJSF_S6_EEENSH_IJSG_SG_EEES6_PlJNSB_9not_fun_tI7is_trueIxEEEEEE10hipError_tPvRmT3_T4_T5_T6_T7_T9_mT8_P12ihipStream_tbDpT10_ENKUlT_T0_E_clISt17integral_constantIbLb1EES18_EEDaS13_S14_EUlS13_E_NS1_11comp_targetILNS1_3genE2ELNS1_11target_archE906ELNS1_3gpuE6ELNS1_3repE0EEENS1_30default_config_static_selectorELNS0_4arch9wavefront6targetE0EEEvT1_
; %bb.0:
	.section	.rodata,"a",@progbits
	.p2align	6, 0x0
	.amdhsa_kernel _ZN7rocprim17ROCPRIM_400000_NS6detail17trampoline_kernelINS0_14default_configENS1_25partition_config_selectorILNS1_17partition_subalgoE6ExNS0_10empty_typeEbEEZZNS1_14partition_implILS5_6ELb0ES3_mN6thrust23THRUST_200600_302600_NS6detail15normal_iteratorINSA_10device_ptrIxEEEEPS6_SG_NS0_5tupleIJSF_S6_EEENSH_IJSG_SG_EEES6_PlJNSB_9not_fun_tI7is_trueIxEEEEEE10hipError_tPvRmT3_T4_T5_T6_T7_T9_mT8_P12ihipStream_tbDpT10_ENKUlT_T0_E_clISt17integral_constantIbLb1EES18_EEDaS13_S14_EUlS13_E_NS1_11comp_targetILNS1_3genE2ELNS1_11target_archE906ELNS1_3gpuE6ELNS1_3repE0EEENS1_30default_config_static_selectorELNS0_4arch9wavefront6targetE0EEEvT1_
		.amdhsa_group_segment_fixed_size 0
		.amdhsa_private_segment_fixed_size 0
		.amdhsa_kernarg_size 128
		.amdhsa_user_sgpr_count 2
		.amdhsa_user_sgpr_dispatch_ptr 0
		.amdhsa_user_sgpr_queue_ptr 0
		.amdhsa_user_sgpr_kernarg_segment_ptr 1
		.amdhsa_user_sgpr_dispatch_id 0
		.amdhsa_user_sgpr_private_segment_size 0
		.amdhsa_wavefront_size32 1
		.amdhsa_uses_dynamic_stack 0
		.amdhsa_enable_private_segment 0
		.amdhsa_system_sgpr_workgroup_id_x 1
		.amdhsa_system_sgpr_workgroup_id_y 0
		.amdhsa_system_sgpr_workgroup_id_z 0
		.amdhsa_system_sgpr_workgroup_info 0
		.amdhsa_system_vgpr_workitem_id 0
		.amdhsa_next_free_vgpr 1
		.amdhsa_next_free_sgpr 1
		.amdhsa_reserve_vcc 0
		.amdhsa_float_round_mode_32 0
		.amdhsa_float_round_mode_16_64 0
		.amdhsa_float_denorm_mode_32 3
		.amdhsa_float_denorm_mode_16_64 3
		.amdhsa_fp16_overflow 0
		.amdhsa_workgroup_processor_mode 1
		.amdhsa_memory_ordered 1
		.amdhsa_forward_progress 1
		.amdhsa_inst_pref_size 0
		.amdhsa_round_robin_scheduling 0
		.amdhsa_exception_fp_ieee_invalid_op 0
		.amdhsa_exception_fp_denorm_src 0
		.amdhsa_exception_fp_ieee_div_zero 0
		.amdhsa_exception_fp_ieee_overflow 0
		.amdhsa_exception_fp_ieee_underflow 0
		.amdhsa_exception_fp_ieee_inexact 0
		.amdhsa_exception_int_div_zero 0
	.end_amdhsa_kernel
	.section	.text._ZN7rocprim17ROCPRIM_400000_NS6detail17trampoline_kernelINS0_14default_configENS1_25partition_config_selectorILNS1_17partition_subalgoE6ExNS0_10empty_typeEbEEZZNS1_14partition_implILS5_6ELb0ES3_mN6thrust23THRUST_200600_302600_NS6detail15normal_iteratorINSA_10device_ptrIxEEEEPS6_SG_NS0_5tupleIJSF_S6_EEENSH_IJSG_SG_EEES6_PlJNSB_9not_fun_tI7is_trueIxEEEEEE10hipError_tPvRmT3_T4_T5_T6_T7_T9_mT8_P12ihipStream_tbDpT10_ENKUlT_T0_E_clISt17integral_constantIbLb1EES18_EEDaS13_S14_EUlS13_E_NS1_11comp_targetILNS1_3genE2ELNS1_11target_archE906ELNS1_3gpuE6ELNS1_3repE0EEENS1_30default_config_static_selectorELNS0_4arch9wavefront6targetE0EEEvT1_,"axG",@progbits,_ZN7rocprim17ROCPRIM_400000_NS6detail17trampoline_kernelINS0_14default_configENS1_25partition_config_selectorILNS1_17partition_subalgoE6ExNS0_10empty_typeEbEEZZNS1_14partition_implILS5_6ELb0ES3_mN6thrust23THRUST_200600_302600_NS6detail15normal_iteratorINSA_10device_ptrIxEEEEPS6_SG_NS0_5tupleIJSF_S6_EEENSH_IJSG_SG_EEES6_PlJNSB_9not_fun_tI7is_trueIxEEEEEE10hipError_tPvRmT3_T4_T5_T6_T7_T9_mT8_P12ihipStream_tbDpT10_ENKUlT_T0_E_clISt17integral_constantIbLb1EES18_EEDaS13_S14_EUlS13_E_NS1_11comp_targetILNS1_3genE2ELNS1_11target_archE906ELNS1_3gpuE6ELNS1_3repE0EEENS1_30default_config_static_selectorELNS0_4arch9wavefront6targetE0EEEvT1_,comdat
.Lfunc_end1217:
	.size	_ZN7rocprim17ROCPRIM_400000_NS6detail17trampoline_kernelINS0_14default_configENS1_25partition_config_selectorILNS1_17partition_subalgoE6ExNS0_10empty_typeEbEEZZNS1_14partition_implILS5_6ELb0ES3_mN6thrust23THRUST_200600_302600_NS6detail15normal_iteratorINSA_10device_ptrIxEEEEPS6_SG_NS0_5tupleIJSF_S6_EEENSH_IJSG_SG_EEES6_PlJNSB_9not_fun_tI7is_trueIxEEEEEE10hipError_tPvRmT3_T4_T5_T6_T7_T9_mT8_P12ihipStream_tbDpT10_ENKUlT_T0_E_clISt17integral_constantIbLb1EES18_EEDaS13_S14_EUlS13_E_NS1_11comp_targetILNS1_3genE2ELNS1_11target_archE906ELNS1_3gpuE6ELNS1_3repE0EEENS1_30default_config_static_selectorELNS0_4arch9wavefront6targetE0EEEvT1_, .Lfunc_end1217-_ZN7rocprim17ROCPRIM_400000_NS6detail17trampoline_kernelINS0_14default_configENS1_25partition_config_selectorILNS1_17partition_subalgoE6ExNS0_10empty_typeEbEEZZNS1_14partition_implILS5_6ELb0ES3_mN6thrust23THRUST_200600_302600_NS6detail15normal_iteratorINSA_10device_ptrIxEEEEPS6_SG_NS0_5tupleIJSF_S6_EEENSH_IJSG_SG_EEES6_PlJNSB_9not_fun_tI7is_trueIxEEEEEE10hipError_tPvRmT3_T4_T5_T6_T7_T9_mT8_P12ihipStream_tbDpT10_ENKUlT_T0_E_clISt17integral_constantIbLb1EES18_EEDaS13_S14_EUlS13_E_NS1_11comp_targetILNS1_3genE2ELNS1_11target_archE906ELNS1_3gpuE6ELNS1_3repE0EEENS1_30default_config_static_selectorELNS0_4arch9wavefront6targetE0EEEvT1_
                                        ; -- End function
	.set _ZN7rocprim17ROCPRIM_400000_NS6detail17trampoline_kernelINS0_14default_configENS1_25partition_config_selectorILNS1_17partition_subalgoE6ExNS0_10empty_typeEbEEZZNS1_14partition_implILS5_6ELb0ES3_mN6thrust23THRUST_200600_302600_NS6detail15normal_iteratorINSA_10device_ptrIxEEEEPS6_SG_NS0_5tupleIJSF_S6_EEENSH_IJSG_SG_EEES6_PlJNSB_9not_fun_tI7is_trueIxEEEEEE10hipError_tPvRmT3_T4_T5_T6_T7_T9_mT8_P12ihipStream_tbDpT10_ENKUlT_T0_E_clISt17integral_constantIbLb1EES18_EEDaS13_S14_EUlS13_E_NS1_11comp_targetILNS1_3genE2ELNS1_11target_archE906ELNS1_3gpuE6ELNS1_3repE0EEENS1_30default_config_static_selectorELNS0_4arch9wavefront6targetE0EEEvT1_.num_vgpr, 0
	.set _ZN7rocprim17ROCPRIM_400000_NS6detail17trampoline_kernelINS0_14default_configENS1_25partition_config_selectorILNS1_17partition_subalgoE6ExNS0_10empty_typeEbEEZZNS1_14partition_implILS5_6ELb0ES3_mN6thrust23THRUST_200600_302600_NS6detail15normal_iteratorINSA_10device_ptrIxEEEEPS6_SG_NS0_5tupleIJSF_S6_EEENSH_IJSG_SG_EEES6_PlJNSB_9not_fun_tI7is_trueIxEEEEEE10hipError_tPvRmT3_T4_T5_T6_T7_T9_mT8_P12ihipStream_tbDpT10_ENKUlT_T0_E_clISt17integral_constantIbLb1EES18_EEDaS13_S14_EUlS13_E_NS1_11comp_targetILNS1_3genE2ELNS1_11target_archE906ELNS1_3gpuE6ELNS1_3repE0EEENS1_30default_config_static_selectorELNS0_4arch9wavefront6targetE0EEEvT1_.num_agpr, 0
	.set _ZN7rocprim17ROCPRIM_400000_NS6detail17trampoline_kernelINS0_14default_configENS1_25partition_config_selectorILNS1_17partition_subalgoE6ExNS0_10empty_typeEbEEZZNS1_14partition_implILS5_6ELb0ES3_mN6thrust23THRUST_200600_302600_NS6detail15normal_iteratorINSA_10device_ptrIxEEEEPS6_SG_NS0_5tupleIJSF_S6_EEENSH_IJSG_SG_EEES6_PlJNSB_9not_fun_tI7is_trueIxEEEEEE10hipError_tPvRmT3_T4_T5_T6_T7_T9_mT8_P12ihipStream_tbDpT10_ENKUlT_T0_E_clISt17integral_constantIbLb1EES18_EEDaS13_S14_EUlS13_E_NS1_11comp_targetILNS1_3genE2ELNS1_11target_archE906ELNS1_3gpuE6ELNS1_3repE0EEENS1_30default_config_static_selectorELNS0_4arch9wavefront6targetE0EEEvT1_.numbered_sgpr, 0
	.set _ZN7rocprim17ROCPRIM_400000_NS6detail17trampoline_kernelINS0_14default_configENS1_25partition_config_selectorILNS1_17partition_subalgoE6ExNS0_10empty_typeEbEEZZNS1_14partition_implILS5_6ELb0ES3_mN6thrust23THRUST_200600_302600_NS6detail15normal_iteratorINSA_10device_ptrIxEEEEPS6_SG_NS0_5tupleIJSF_S6_EEENSH_IJSG_SG_EEES6_PlJNSB_9not_fun_tI7is_trueIxEEEEEE10hipError_tPvRmT3_T4_T5_T6_T7_T9_mT8_P12ihipStream_tbDpT10_ENKUlT_T0_E_clISt17integral_constantIbLb1EES18_EEDaS13_S14_EUlS13_E_NS1_11comp_targetILNS1_3genE2ELNS1_11target_archE906ELNS1_3gpuE6ELNS1_3repE0EEENS1_30default_config_static_selectorELNS0_4arch9wavefront6targetE0EEEvT1_.num_named_barrier, 0
	.set _ZN7rocprim17ROCPRIM_400000_NS6detail17trampoline_kernelINS0_14default_configENS1_25partition_config_selectorILNS1_17partition_subalgoE6ExNS0_10empty_typeEbEEZZNS1_14partition_implILS5_6ELb0ES3_mN6thrust23THRUST_200600_302600_NS6detail15normal_iteratorINSA_10device_ptrIxEEEEPS6_SG_NS0_5tupleIJSF_S6_EEENSH_IJSG_SG_EEES6_PlJNSB_9not_fun_tI7is_trueIxEEEEEE10hipError_tPvRmT3_T4_T5_T6_T7_T9_mT8_P12ihipStream_tbDpT10_ENKUlT_T0_E_clISt17integral_constantIbLb1EES18_EEDaS13_S14_EUlS13_E_NS1_11comp_targetILNS1_3genE2ELNS1_11target_archE906ELNS1_3gpuE6ELNS1_3repE0EEENS1_30default_config_static_selectorELNS0_4arch9wavefront6targetE0EEEvT1_.private_seg_size, 0
	.set _ZN7rocprim17ROCPRIM_400000_NS6detail17trampoline_kernelINS0_14default_configENS1_25partition_config_selectorILNS1_17partition_subalgoE6ExNS0_10empty_typeEbEEZZNS1_14partition_implILS5_6ELb0ES3_mN6thrust23THRUST_200600_302600_NS6detail15normal_iteratorINSA_10device_ptrIxEEEEPS6_SG_NS0_5tupleIJSF_S6_EEENSH_IJSG_SG_EEES6_PlJNSB_9not_fun_tI7is_trueIxEEEEEE10hipError_tPvRmT3_T4_T5_T6_T7_T9_mT8_P12ihipStream_tbDpT10_ENKUlT_T0_E_clISt17integral_constantIbLb1EES18_EEDaS13_S14_EUlS13_E_NS1_11comp_targetILNS1_3genE2ELNS1_11target_archE906ELNS1_3gpuE6ELNS1_3repE0EEENS1_30default_config_static_selectorELNS0_4arch9wavefront6targetE0EEEvT1_.uses_vcc, 0
	.set _ZN7rocprim17ROCPRIM_400000_NS6detail17trampoline_kernelINS0_14default_configENS1_25partition_config_selectorILNS1_17partition_subalgoE6ExNS0_10empty_typeEbEEZZNS1_14partition_implILS5_6ELb0ES3_mN6thrust23THRUST_200600_302600_NS6detail15normal_iteratorINSA_10device_ptrIxEEEEPS6_SG_NS0_5tupleIJSF_S6_EEENSH_IJSG_SG_EEES6_PlJNSB_9not_fun_tI7is_trueIxEEEEEE10hipError_tPvRmT3_T4_T5_T6_T7_T9_mT8_P12ihipStream_tbDpT10_ENKUlT_T0_E_clISt17integral_constantIbLb1EES18_EEDaS13_S14_EUlS13_E_NS1_11comp_targetILNS1_3genE2ELNS1_11target_archE906ELNS1_3gpuE6ELNS1_3repE0EEENS1_30default_config_static_selectorELNS0_4arch9wavefront6targetE0EEEvT1_.uses_flat_scratch, 0
	.set _ZN7rocprim17ROCPRIM_400000_NS6detail17trampoline_kernelINS0_14default_configENS1_25partition_config_selectorILNS1_17partition_subalgoE6ExNS0_10empty_typeEbEEZZNS1_14partition_implILS5_6ELb0ES3_mN6thrust23THRUST_200600_302600_NS6detail15normal_iteratorINSA_10device_ptrIxEEEEPS6_SG_NS0_5tupleIJSF_S6_EEENSH_IJSG_SG_EEES6_PlJNSB_9not_fun_tI7is_trueIxEEEEEE10hipError_tPvRmT3_T4_T5_T6_T7_T9_mT8_P12ihipStream_tbDpT10_ENKUlT_T0_E_clISt17integral_constantIbLb1EES18_EEDaS13_S14_EUlS13_E_NS1_11comp_targetILNS1_3genE2ELNS1_11target_archE906ELNS1_3gpuE6ELNS1_3repE0EEENS1_30default_config_static_selectorELNS0_4arch9wavefront6targetE0EEEvT1_.has_dyn_sized_stack, 0
	.set _ZN7rocprim17ROCPRIM_400000_NS6detail17trampoline_kernelINS0_14default_configENS1_25partition_config_selectorILNS1_17partition_subalgoE6ExNS0_10empty_typeEbEEZZNS1_14partition_implILS5_6ELb0ES3_mN6thrust23THRUST_200600_302600_NS6detail15normal_iteratorINSA_10device_ptrIxEEEEPS6_SG_NS0_5tupleIJSF_S6_EEENSH_IJSG_SG_EEES6_PlJNSB_9not_fun_tI7is_trueIxEEEEEE10hipError_tPvRmT3_T4_T5_T6_T7_T9_mT8_P12ihipStream_tbDpT10_ENKUlT_T0_E_clISt17integral_constantIbLb1EES18_EEDaS13_S14_EUlS13_E_NS1_11comp_targetILNS1_3genE2ELNS1_11target_archE906ELNS1_3gpuE6ELNS1_3repE0EEENS1_30default_config_static_selectorELNS0_4arch9wavefront6targetE0EEEvT1_.has_recursion, 0
	.set _ZN7rocprim17ROCPRIM_400000_NS6detail17trampoline_kernelINS0_14default_configENS1_25partition_config_selectorILNS1_17partition_subalgoE6ExNS0_10empty_typeEbEEZZNS1_14partition_implILS5_6ELb0ES3_mN6thrust23THRUST_200600_302600_NS6detail15normal_iteratorINSA_10device_ptrIxEEEEPS6_SG_NS0_5tupleIJSF_S6_EEENSH_IJSG_SG_EEES6_PlJNSB_9not_fun_tI7is_trueIxEEEEEE10hipError_tPvRmT3_T4_T5_T6_T7_T9_mT8_P12ihipStream_tbDpT10_ENKUlT_T0_E_clISt17integral_constantIbLb1EES18_EEDaS13_S14_EUlS13_E_NS1_11comp_targetILNS1_3genE2ELNS1_11target_archE906ELNS1_3gpuE6ELNS1_3repE0EEENS1_30default_config_static_selectorELNS0_4arch9wavefront6targetE0EEEvT1_.has_indirect_call, 0
	.section	.AMDGPU.csdata,"",@progbits
; Kernel info:
; codeLenInByte = 0
; TotalNumSgprs: 0
; NumVgprs: 0
; ScratchSize: 0
; MemoryBound: 0
; FloatMode: 240
; IeeeMode: 1
; LDSByteSize: 0 bytes/workgroup (compile time only)
; SGPRBlocks: 0
; VGPRBlocks: 0
; NumSGPRsForWavesPerEU: 1
; NumVGPRsForWavesPerEU: 1
; Occupancy: 16
; WaveLimiterHint : 0
; COMPUTE_PGM_RSRC2:SCRATCH_EN: 0
; COMPUTE_PGM_RSRC2:USER_SGPR: 2
; COMPUTE_PGM_RSRC2:TRAP_HANDLER: 0
; COMPUTE_PGM_RSRC2:TGID_X_EN: 1
; COMPUTE_PGM_RSRC2:TGID_Y_EN: 0
; COMPUTE_PGM_RSRC2:TGID_Z_EN: 0
; COMPUTE_PGM_RSRC2:TIDIG_COMP_CNT: 0
	.section	.text._ZN7rocprim17ROCPRIM_400000_NS6detail17trampoline_kernelINS0_14default_configENS1_25partition_config_selectorILNS1_17partition_subalgoE6ExNS0_10empty_typeEbEEZZNS1_14partition_implILS5_6ELb0ES3_mN6thrust23THRUST_200600_302600_NS6detail15normal_iteratorINSA_10device_ptrIxEEEEPS6_SG_NS0_5tupleIJSF_S6_EEENSH_IJSG_SG_EEES6_PlJNSB_9not_fun_tI7is_trueIxEEEEEE10hipError_tPvRmT3_T4_T5_T6_T7_T9_mT8_P12ihipStream_tbDpT10_ENKUlT_T0_E_clISt17integral_constantIbLb1EES18_EEDaS13_S14_EUlS13_E_NS1_11comp_targetILNS1_3genE10ELNS1_11target_archE1200ELNS1_3gpuE4ELNS1_3repE0EEENS1_30default_config_static_selectorELNS0_4arch9wavefront6targetE0EEEvT1_,"axG",@progbits,_ZN7rocprim17ROCPRIM_400000_NS6detail17trampoline_kernelINS0_14default_configENS1_25partition_config_selectorILNS1_17partition_subalgoE6ExNS0_10empty_typeEbEEZZNS1_14partition_implILS5_6ELb0ES3_mN6thrust23THRUST_200600_302600_NS6detail15normal_iteratorINSA_10device_ptrIxEEEEPS6_SG_NS0_5tupleIJSF_S6_EEENSH_IJSG_SG_EEES6_PlJNSB_9not_fun_tI7is_trueIxEEEEEE10hipError_tPvRmT3_T4_T5_T6_T7_T9_mT8_P12ihipStream_tbDpT10_ENKUlT_T0_E_clISt17integral_constantIbLb1EES18_EEDaS13_S14_EUlS13_E_NS1_11comp_targetILNS1_3genE10ELNS1_11target_archE1200ELNS1_3gpuE4ELNS1_3repE0EEENS1_30default_config_static_selectorELNS0_4arch9wavefront6targetE0EEEvT1_,comdat
	.protected	_ZN7rocprim17ROCPRIM_400000_NS6detail17trampoline_kernelINS0_14default_configENS1_25partition_config_selectorILNS1_17partition_subalgoE6ExNS0_10empty_typeEbEEZZNS1_14partition_implILS5_6ELb0ES3_mN6thrust23THRUST_200600_302600_NS6detail15normal_iteratorINSA_10device_ptrIxEEEEPS6_SG_NS0_5tupleIJSF_S6_EEENSH_IJSG_SG_EEES6_PlJNSB_9not_fun_tI7is_trueIxEEEEEE10hipError_tPvRmT3_T4_T5_T6_T7_T9_mT8_P12ihipStream_tbDpT10_ENKUlT_T0_E_clISt17integral_constantIbLb1EES18_EEDaS13_S14_EUlS13_E_NS1_11comp_targetILNS1_3genE10ELNS1_11target_archE1200ELNS1_3gpuE4ELNS1_3repE0EEENS1_30default_config_static_selectorELNS0_4arch9wavefront6targetE0EEEvT1_ ; -- Begin function _ZN7rocprim17ROCPRIM_400000_NS6detail17trampoline_kernelINS0_14default_configENS1_25partition_config_selectorILNS1_17partition_subalgoE6ExNS0_10empty_typeEbEEZZNS1_14partition_implILS5_6ELb0ES3_mN6thrust23THRUST_200600_302600_NS6detail15normal_iteratorINSA_10device_ptrIxEEEEPS6_SG_NS0_5tupleIJSF_S6_EEENSH_IJSG_SG_EEES6_PlJNSB_9not_fun_tI7is_trueIxEEEEEE10hipError_tPvRmT3_T4_T5_T6_T7_T9_mT8_P12ihipStream_tbDpT10_ENKUlT_T0_E_clISt17integral_constantIbLb1EES18_EEDaS13_S14_EUlS13_E_NS1_11comp_targetILNS1_3genE10ELNS1_11target_archE1200ELNS1_3gpuE4ELNS1_3repE0EEENS1_30default_config_static_selectorELNS0_4arch9wavefront6targetE0EEEvT1_
	.globl	_ZN7rocprim17ROCPRIM_400000_NS6detail17trampoline_kernelINS0_14default_configENS1_25partition_config_selectorILNS1_17partition_subalgoE6ExNS0_10empty_typeEbEEZZNS1_14partition_implILS5_6ELb0ES3_mN6thrust23THRUST_200600_302600_NS6detail15normal_iteratorINSA_10device_ptrIxEEEEPS6_SG_NS0_5tupleIJSF_S6_EEENSH_IJSG_SG_EEES6_PlJNSB_9not_fun_tI7is_trueIxEEEEEE10hipError_tPvRmT3_T4_T5_T6_T7_T9_mT8_P12ihipStream_tbDpT10_ENKUlT_T0_E_clISt17integral_constantIbLb1EES18_EEDaS13_S14_EUlS13_E_NS1_11comp_targetILNS1_3genE10ELNS1_11target_archE1200ELNS1_3gpuE4ELNS1_3repE0EEENS1_30default_config_static_selectorELNS0_4arch9wavefront6targetE0EEEvT1_
	.p2align	8
	.type	_ZN7rocprim17ROCPRIM_400000_NS6detail17trampoline_kernelINS0_14default_configENS1_25partition_config_selectorILNS1_17partition_subalgoE6ExNS0_10empty_typeEbEEZZNS1_14partition_implILS5_6ELb0ES3_mN6thrust23THRUST_200600_302600_NS6detail15normal_iteratorINSA_10device_ptrIxEEEEPS6_SG_NS0_5tupleIJSF_S6_EEENSH_IJSG_SG_EEES6_PlJNSB_9not_fun_tI7is_trueIxEEEEEE10hipError_tPvRmT3_T4_T5_T6_T7_T9_mT8_P12ihipStream_tbDpT10_ENKUlT_T0_E_clISt17integral_constantIbLb1EES18_EEDaS13_S14_EUlS13_E_NS1_11comp_targetILNS1_3genE10ELNS1_11target_archE1200ELNS1_3gpuE4ELNS1_3repE0EEENS1_30default_config_static_selectorELNS0_4arch9wavefront6targetE0EEEvT1_,@function
_ZN7rocprim17ROCPRIM_400000_NS6detail17trampoline_kernelINS0_14default_configENS1_25partition_config_selectorILNS1_17partition_subalgoE6ExNS0_10empty_typeEbEEZZNS1_14partition_implILS5_6ELb0ES3_mN6thrust23THRUST_200600_302600_NS6detail15normal_iteratorINSA_10device_ptrIxEEEEPS6_SG_NS0_5tupleIJSF_S6_EEENSH_IJSG_SG_EEES6_PlJNSB_9not_fun_tI7is_trueIxEEEEEE10hipError_tPvRmT3_T4_T5_T6_T7_T9_mT8_P12ihipStream_tbDpT10_ENKUlT_T0_E_clISt17integral_constantIbLb1EES18_EEDaS13_S14_EUlS13_E_NS1_11comp_targetILNS1_3genE10ELNS1_11target_archE1200ELNS1_3gpuE4ELNS1_3repE0EEENS1_30default_config_static_selectorELNS0_4arch9wavefront6targetE0EEEvT1_: ; @_ZN7rocprim17ROCPRIM_400000_NS6detail17trampoline_kernelINS0_14default_configENS1_25partition_config_selectorILNS1_17partition_subalgoE6ExNS0_10empty_typeEbEEZZNS1_14partition_implILS5_6ELb0ES3_mN6thrust23THRUST_200600_302600_NS6detail15normal_iteratorINSA_10device_ptrIxEEEEPS6_SG_NS0_5tupleIJSF_S6_EEENSH_IJSG_SG_EEES6_PlJNSB_9not_fun_tI7is_trueIxEEEEEE10hipError_tPvRmT3_T4_T5_T6_T7_T9_mT8_P12ihipStream_tbDpT10_ENKUlT_T0_E_clISt17integral_constantIbLb1EES18_EEDaS13_S14_EUlS13_E_NS1_11comp_targetILNS1_3genE10ELNS1_11target_archE1200ELNS1_3gpuE4ELNS1_3repE0EEENS1_30default_config_static_selectorELNS0_4arch9wavefront6targetE0EEEvT1_
; %bb.0:
	s_endpgm
	.section	.rodata,"a",@progbits
	.p2align	6, 0x0
	.amdhsa_kernel _ZN7rocprim17ROCPRIM_400000_NS6detail17trampoline_kernelINS0_14default_configENS1_25partition_config_selectorILNS1_17partition_subalgoE6ExNS0_10empty_typeEbEEZZNS1_14partition_implILS5_6ELb0ES3_mN6thrust23THRUST_200600_302600_NS6detail15normal_iteratorINSA_10device_ptrIxEEEEPS6_SG_NS0_5tupleIJSF_S6_EEENSH_IJSG_SG_EEES6_PlJNSB_9not_fun_tI7is_trueIxEEEEEE10hipError_tPvRmT3_T4_T5_T6_T7_T9_mT8_P12ihipStream_tbDpT10_ENKUlT_T0_E_clISt17integral_constantIbLb1EES18_EEDaS13_S14_EUlS13_E_NS1_11comp_targetILNS1_3genE10ELNS1_11target_archE1200ELNS1_3gpuE4ELNS1_3repE0EEENS1_30default_config_static_selectorELNS0_4arch9wavefront6targetE0EEEvT1_
		.amdhsa_group_segment_fixed_size 0
		.amdhsa_private_segment_fixed_size 0
		.amdhsa_kernarg_size 128
		.amdhsa_user_sgpr_count 2
		.amdhsa_user_sgpr_dispatch_ptr 0
		.amdhsa_user_sgpr_queue_ptr 0
		.amdhsa_user_sgpr_kernarg_segment_ptr 1
		.amdhsa_user_sgpr_dispatch_id 0
		.amdhsa_user_sgpr_private_segment_size 0
		.amdhsa_wavefront_size32 1
		.amdhsa_uses_dynamic_stack 0
		.amdhsa_enable_private_segment 0
		.amdhsa_system_sgpr_workgroup_id_x 1
		.amdhsa_system_sgpr_workgroup_id_y 0
		.amdhsa_system_sgpr_workgroup_id_z 0
		.amdhsa_system_sgpr_workgroup_info 0
		.amdhsa_system_vgpr_workitem_id 0
		.amdhsa_next_free_vgpr 1
		.amdhsa_next_free_sgpr 1
		.amdhsa_reserve_vcc 0
		.amdhsa_float_round_mode_32 0
		.amdhsa_float_round_mode_16_64 0
		.amdhsa_float_denorm_mode_32 3
		.amdhsa_float_denorm_mode_16_64 3
		.amdhsa_fp16_overflow 0
		.amdhsa_workgroup_processor_mode 1
		.amdhsa_memory_ordered 1
		.amdhsa_forward_progress 1
		.amdhsa_inst_pref_size 1
		.amdhsa_round_robin_scheduling 0
		.amdhsa_exception_fp_ieee_invalid_op 0
		.amdhsa_exception_fp_denorm_src 0
		.amdhsa_exception_fp_ieee_div_zero 0
		.amdhsa_exception_fp_ieee_overflow 0
		.amdhsa_exception_fp_ieee_underflow 0
		.amdhsa_exception_fp_ieee_inexact 0
		.amdhsa_exception_int_div_zero 0
	.end_amdhsa_kernel
	.section	.text._ZN7rocprim17ROCPRIM_400000_NS6detail17trampoline_kernelINS0_14default_configENS1_25partition_config_selectorILNS1_17partition_subalgoE6ExNS0_10empty_typeEbEEZZNS1_14partition_implILS5_6ELb0ES3_mN6thrust23THRUST_200600_302600_NS6detail15normal_iteratorINSA_10device_ptrIxEEEEPS6_SG_NS0_5tupleIJSF_S6_EEENSH_IJSG_SG_EEES6_PlJNSB_9not_fun_tI7is_trueIxEEEEEE10hipError_tPvRmT3_T4_T5_T6_T7_T9_mT8_P12ihipStream_tbDpT10_ENKUlT_T0_E_clISt17integral_constantIbLb1EES18_EEDaS13_S14_EUlS13_E_NS1_11comp_targetILNS1_3genE10ELNS1_11target_archE1200ELNS1_3gpuE4ELNS1_3repE0EEENS1_30default_config_static_selectorELNS0_4arch9wavefront6targetE0EEEvT1_,"axG",@progbits,_ZN7rocprim17ROCPRIM_400000_NS6detail17trampoline_kernelINS0_14default_configENS1_25partition_config_selectorILNS1_17partition_subalgoE6ExNS0_10empty_typeEbEEZZNS1_14partition_implILS5_6ELb0ES3_mN6thrust23THRUST_200600_302600_NS6detail15normal_iteratorINSA_10device_ptrIxEEEEPS6_SG_NS0_5tupleIJSF_S6_EEENSH_IJSG_SG_EEES6_PlJNSB_9not_fun_tI7is_trueIxEEEEEE10hipError_tPvRmT3_T4_T5_T6_T7_T9_mT8_P12ihipStream_tbDpT10_ENKUlT_T0_E_clISt17integral_constantIbLb1EES18_EEDaS13_S14_EUlS13_E_NS1_11comp_targetILNS1_3genE10ELNS1_11target_archE1200ELNS1_3gpuE4ELNS1_3repE0EEENS1_30default_config_static_selectorELNS0_4arch9wavefront6targetE0EEEvT1_,comdat
.Lfunc_end1218:
	.size	_ZN7rocprim17ROCPRIM_400000_NS6detail17trampoline_kernelINS0_14default_configENS1_25partition_config_selectorILNS1_17partition_subalgoE6ExNS0_10empty_typeEbEEZZNS1_14partition_implILS5_6ELb0ES3_mN6thrust23THRUST_200600_302600_NS6detail15normal_iteratorINSA_10device_ptrIxEEEEPS6_SG_NS0_5tupleIJSF_S6_EEENSH_IJSG_SG_EEES6_PlJNSB_9not_fun_tI7is_trueIxEEEEEE10hipError_tPvRmT3_T4_T5_T6_T7_T9_mT8_P12ihipStream_tbDpT10_ENKUlT_T0_E_clISt17integral_constantIbLb1EES18_EEDaS13_S14_EUlS13_E_NS1_11comp_targetILNS1_3genE10ELNS1_11target_archE1200ELNS1_3gpuE4ELNS1_3repE0EEENS1_30default_config_static_selectorELNS0_4arch9wavefront6targetE0EEEvT1_, .Lfunc_end1218-_ZN7rocprim17ROCPRIM_400000_NS6detail17trampoline_kernelINS0_14default_configENS1_25partition_config_selectorILNS1_17partition_subalgoE6ExNS0_10empty_typeEbEEZZNS1_14partition_implILS5_6ELb0ES3_mN6thrust23THRUST_200600_302600_NS6detail15normal_iteratorINSA_10device_ptrIxEEEEPS6_SG_NS0_5tupleIJSF_S6_EEENSH_IJSG_SG_EEES6_PlJNSB_9not_fun_tI7is_trueIxEEEEEE10hipError_tPvRmT3_T4_T5_T6_T7_T9_mT8_P12ihipStream_tbDpT10_ENKUlT_T0_E_clISt17integral_constantIbLb1EES18_EEDaS13_S14_EUlS13_E_NS1_11comp_targetILNS1_3genE10ELNS1_11target_archE1200ELNS1_3gpuE4ELNS1_3repE0EEENS1_30default_config_static_selectorELNS0_4arch9wavefront6targetE0EEEvT1_
                                        ; -- End function
	.set _ZN7rocprim17ROCPRIM_400000_NS6detail17trampoline_kernelINS0_14default_configENS1_25partition_config_selectorILNS1_17partition_subalgoE6ExNS0_10empty_typeEbEEZZNS1_14partition_implILS5_6ELb0ES3_mN6thrust23THRUST_200600_302600_NS6detail15normal_iteratorINSA_10device_ptrIxEEEEPS6_SG_NS0_5tupleIJSF_S6_EEENSH_IJSG_SG_EEES6_PlJNSB_9not_fun_tI7is_trueIxEEEEEE10hipError_tPvRmT3_T4_T5_T6_T7_T9_mT8_P12ihipStream_tbDpT10_ENKUlT_T0_E_clISt17integral_constantIbLb1EES18_EEDaS13_S14_EUlS13_E_NS1_11comp_targetILNS1_3genE10ELNS1_11target_archE1200ELNS1_3gpuE4ELNS1_3repE0EEENS1_30default_config_static_selectorELNS0_4arch9wavefront6targetE0EEEvT1_.num_vgpr, 0
	.set _ZN7rocprim17ROCPRIM_400000_NS6detail17trampoline_kernelINS0_14default_configENS1_25partition_config_selectorILNS1_17partition_subalgoE6ExNS0_10empty_typeEbEEZZNS1_14partition_implILS5_6ELb0ES3_mN6thrust23THRUST_200600_302600_NS6detail15normal_iteratorINSA_10device_ptrIxEEEEPS6_SG_NS0_5tupleIJSF_S6_EEENSH_IJSG_SG_EEES6_PlJNSB_9not_fun_tI7is_trueIxEEEEEE10hipError_tPvRmT3_T4_T5_T6_T7_T9_mT8_P12ihipStream_tbDpT10_ENKUlT_T0_E_clISt17integral_constantIbLb1EES18_EEDaS13_S14_EUlS13_E_NS1_11comp_targetILNS1_3genE10ELNS1_11target_archE1200ELNS1_3gpuE4ELNS1_3repE0EEENS1_30default_config_static_selectorELNS0_4arch9wavefront6targetE0EEEvT1_.num_agpr, 0
	.set _ZN7rocprim17ROCPRIM_400000_NS6detail17trampoline_kernelINS0_14default_configENS1_25partition_config_selectorILNS1_17partition_subalgoE6ExNS0_10empty_typeEbEEZZNS1_14partition_implILS5_6ELb0ES3_mN6thrust23THRUST_200600_302600_NS6detail15normal_iteratorINSA_10device_ptrIxEEEEPS6_SG_NS0_5tupleIJSF_S6_EEENSH_IJSG_SG_EEES6_PlJNSB_9not_fun_tI7is_trueIxEEEEEE10hipError_tPvRmT3_T4_T5_T6_T7_T9_mT8_P12ihipStream_tbDpT10_ENKUlT_T0_E_clISt17integral_constantIbLb1EES18_EEDaS13_S14_EUlS13_E_NS1_11comp_targetILNS1_3genE10ELNS1_11target_archE1200ELNS1_3gpuE4ELNS1_3repE0EEENS1_30default_config_static_selectorELNS0_4arch9wavefront6targetE0EEEvT1_.numbered_sgpr, 0
	.set _ZN7rocprim17ROCPRIM_400000_NS6detail17trampoline_kernelINS0_14default_configENS1_25partition_config_selectorILNS1_17partition_subalgoE6ExNS0_10empty_typeEbEEZZNS1_14partition_implILS5_6ELb0ES3_mN6thrust23THRUST_200600_302600_NS6detail15normal_iteratorINSA_10device_ptrIxEEEEPS6_SG_NS0_5tupleIJSF_S6_EEENSH_IJSG_SG_EEES6_PlJNSB_9not_fun_tI7is_trueIxEEEEEE10hipError_tPvRmT3_T4_T5_T6_T7_T9_mT8_P12ihipStream_tbDpT10_ENKUlT_T0_E_clISt17integral_constantIbLb1EES18_EEDaS13_S14_EUlS13_E_NS1_11comp_targetILNS1_3genE10ELNS1_11target_archE1200ELNS1_3gpuE4ELNS1_3repE0EEENS1_30default_config_static_selectorELNS0_4arch9wavefront6targetE0EEEvT1_.num_named_barrier, 0
	.set _ZN7rocprim17ROCPRIM_400000_NS6detail17trampoline_kernelINS0_14default_configENS1_25partition_config_selectorILNS1_17partition_subalgoE6ExNS0_10empty_typeEbEEZZNS1_14partition_implILS5_6ELb0ES3_mN6thrust23THRUST_200600_302600_NS6detail15normal_iteratorINSA_10device_ptrIxEEEEPS6_SG_NS0_5tupleIJSF_S6_EEENSH_IJSG_SG_EEES6_PlJNSB_9not_fun_tI7is_trueIxEEEEEE10hipError_tPvRmT3_T4_T5_T6_T7_T9_mT8_P12ihipStream_tbDpT10_ENKUlT_T0_E_clISt17integral_constantIbLb1EES18_EEDaS13_S14_EUlS13_E_NS1_11comp_targetILNS1_3genE10ELNS1_11target_archE1200ELNS1_3gpuE4ELNS1_3repE0EEENS1_30default_config_static_selectorELNS0_4arch9wavefront6targetE0EEEvT1_.private_seg_size, 0
	.set _ZN7rocprim17ROCPRIM_400000_NS6detail17trampoline_kernelINS0_14default_configENS1_25partition_config_selectorILNS1_17partition_subalgoE6ExNS0_10empty_typeEbEEZZNS1_14partition_implILS5_6ELb0ES3_mN6thrust23THRUST_200600_302600_NS6detail15normal_iteratorINSA_10device_ptrIxEEEEPS6_SG_NS0_5tupleIJSF_S6_EEENSH_IJSG_SG_EEES6_PlJNSB_9not_fun_tI7is_trueIxEEEEEE10hipError_tPvRmT3_T4_T5_T6_T7_T9_mT8_P12ihipStream_tbDpT10_ENKUlT_T0_E_clISt17integral_constantIbLb1EES18_EEDaS13_S14_EUlS13_E_NS1_11comp_targetILNS1_3genE10ELNS1_11target_archE1200ELNS1_3gpuE4ELNS1_3repE0EEENS1_30default_config_static_selectorELNS0_4arch9wavefront6targetE0EEEvT1_.uses_vcc, 0
	.set _ZN7rocprim17ROCPRIM_400000_NS6detail17trampoline_kernelINS0_14default_configENS1_25partition_config_selectorILNS1_17partition_subalgoE6ExNS0_10empty_typeEbEEZZNS1_14partition_implILS5_6ELb0ES3_mN6thrust23THRUST_200600_302600_NS6detail15normal_iteratorINSA_10device_ptrIxEEEEPS6_SG_NS0_5tupleIJSF_S6_EEENSH_IJSG_SG_EEES6_PlJNSB_9not_fun_tI7is_trueIxEEEEEE10hipError_tPvRmT3_T4_T5_T6_T7_T9_mT8_P12ihipStream_tbDpT10_ENKUlT_T0_E_clISt17integral_constantIbLb1EES18_EEDaS13_S14_EUlS13_E_NS1_11comp_targetILNS1_3genE10ELNS1_11target_archE1200ELNS1_3gpuE4ELNS1_3repE0EEENS1_30default_config_static_selectorELNS0_4arch9wavefront6targetE0EEEvT1_.uses_flat_scratch, 0
	.set _ZN7rocprim17ROCPRIM_400000_NS6detail17trampoline_kernelINS0_14default_configENS1_25partition_config_selectorILNS1_17partition_subalgoE6ExNS0_10empty_typeEbEEZZNS1_14partition_implILS5_6ELb0ES3_mN6thrust23THRUST_200600_302600_NS6detail15normal_iteratorINSA_10device_ptrIxEEEEPS6_SG_NS0_5tupleIJSF_S6_EEENSH_IJSG_SG_EEES6_PlJNSB_9not_fun_tI7is_trueIxEEEEEE10hipError_tPvRmT3_T4_T5_T6_T7_T9_mT8_P12ihipStream_tbDpT10_ENKUlT_T0_E_clISt17integral_constantIbLb1EES18_EEDaS13_S14_EUlS13_E_NS1_11comp_targetILNS1_3genE10ELNS1_11target_archE1200ELNS1_3gpuE4ELNS1_3repE0EEENS1_30default_config_static_selectorELNS0_4arch9wavefront6targetE0EEEvT1_.has_dyn_sized_stack, 0
	.set _ZN7rocprim17ROCPRIM_400000_NS6detail17trampoline_kernelINS0_14default_configENS1_25partition_config_selectorILNS1_17partition_subalgoE6ExNS0_10empty_typeEbEEZZNS1_14partition_implILS5_6ELb0ES3_mN6thrust23THRUST_200600_302600_NS6detail15normal_iteratorINSA_10device_ptrIxEEEEPS6_SG_NS0_5tupleIJSF_S6_EEENSH_IJSG_SG_EEES6_PlJNSB_9not_fun_tI7is_trueIxEEEEEE10hipError_tPvRmT3_T4_T5_T6_T7_T9_mT8_P12ihipStream_tbDpT10_ENKUlT_T0_E_clISt17integral_constantIbLb1EES18_EEDaS13_S14_EUlS13_E_NS1_11comp_targetILNS1_3genE10ELNS1_11target_archE1200ELNS1_3gpuE4ELNS1_3repE0EEENS1_30default_config_static_selectorELNS0_4arch9wavefront6targetE0EEEvT1_.has_recursion, 0
	.set _ZN7rocprim17ROCPRIM_400000_NS6detail17trampoline_kernelINS0_14default_configENS1_25partition_config_selectorILNS1_17partition_subalgoE6ExNS0_10empty_typeEbEEZZNS1_14partition_implILS5_6ELb0ES3_mN6thrust23THRUST_200600_302600_NS6detail15normal_iteratorINSA_10device_ptrIxEEEEPS6_SG_NS0_5tupleIJSF_S6_EEENSH_IJSG_SG_EEES6_PlJNSB_9not_fun_tI7is_trueIxEEEEEE10hipError_tPvRmT3_T4_T5_T6_T7_T9_mT8_P12ihipStream_tbDpT10_ENKUlT_T0_E_clISt17integral_constantIbLb1EES18_EEDaS13_S14_EUlS13_E_NS1_11comp_targetILNS1_3genE10ELNS1_11target_archE1200ELNS1_3gpuE4ELNS1_3repE0EEENS1_30default_config_static_selectorELNS0_4arch9wavefront6targetE0EEEvT1_.has_indirect_call, 0
	.section	.AMDGPU.csdata,"",@progbits
; Kernel info:
; codeLenInByte = 4
; TotalNumSgprs: 0
; NumVgprs: 0
; ScratchSize: 0
; MemoryBound: 0
; FloatMode: 240
; IeeeMode: 1
; LDSByteSize: 0 bytes/workgroup (compile time only)
; SGPRBlocks: 0
; VGPRBlocks: 0
; NumSGPRsForWavesPerEU: 1
; NumVGPRsForWavesPerEU: 1
; Occupancy: 16
; WaveLimiterHint : 0
; COMPUTE_PGM_RSRC2:SCRATCH_EN: 0
; COMPUTE_PGM_RSRC2:USER_SGPR: 2
; COMPUTE_PGM_RSRC2:TRAP_HANDLER: 0
; COMPUTE_PGM_RSRC2:TGID_X_EN: 1
; COMPUTE_PGM_RSRC2:TGID_Y_EN: 0
; COMPUTE_PGM_RSRC2:TGID_Z_EN: 0
; COMPUTE_PGM_RSRC2:TIDIG_COMP_CNT: 0
	.section	.text._ZN7rocprim17ROCPRIM_400000_NS6detail17trampoline_kernelINS0_14default_configENS1_25partition_config_selectorILNS1_17partition_subalgoE6ExNS0_10empty_typeEbEEZZNS1_14partition_implILS5_6ELb0ES3_mN6thrust23THRUST_200600_302600_NS6detail15normal_iteratorINSA_10device_ptrIxEEEEPS6_SG_NS0_5tupleIJSF_S6_EEENSH_IJSG_SG_EEES6_PlJNSB_9not_fun_tI7is_trueIxEEEEEE10hipError_tPvRmT3_T4_T5_T6_T7_T9_mT8_P12ihipStream_tbDpT10_ENKUlT_T0_E_clISt17integral_constantIbLb1EES18_EEDaS13_S14_EUlS13_E_NS1_11comp_targetILNS1_3genE9ELNS1_11target_archE1100ELNS1_3gpuE3ELNS1_3repE0EEENS1_30default_config_static_selectorELNS0_4arch9wavefront6targetE0EEEvT1_,"axG",@progbits,_ZN7rocprim17ROCPRIM_400000_NS6detail17trampoline_kernelINS0_14default_configENS1_25partition_config_selectorILNS1_17partition_subalgoE6ExNS0_10empty_typeEbEEZZNS1_14partition_implILS5_6ELb0ES3_mN6thrust23THRUST_200600_302600_NS6detail15normal_iteratorINSA_10device_ptrIxEEEEPS6_SG_NS0_5tupleIJSF_S6_EEENSH_IJSG_SG_EEES6_PlJNSB_9not_fun_tI7is_trueIxEEEEEE10hipError_tPvRmT3_T4_T5_T6_T7_T9_mT8_P12ihipStream_tbDpT10_ENKUlT_T0_E_clISt17integral_constantIbLb1EES18_EEDaS13_S14_EUlS13_E_NS1_11comp_targetILNS1_3genE9ELNS1_11target_archE1100ELNS1_3gpuE3ELNS1_3repE0EEENS1_30default_config_static_selectorELNS0_4arch9wavefront6targetE0EEEvT1_,comdat
	.protected	_ZN7rocprim17ROCPRIM_400000_NS6detail17trampoline_kernelINS0_14default_configENS1_25partition_config_selectorILNS1_17partition_subalgoE6ExNS0_10empty_typeEbEEZZNS1_14partition_implILS5_6ELb0ES3_mN6thrust23THRUST_200600_302600_NS6detail15normal_iteratorINSA_10device_ptrIxEEEEPS6_SG_NS0_5tupleIJSF_S6_EEENSH_IJSG_SG_EEES6_PlJNSB_9not_fun_tI7is_trueIxEEEEEE10hipError_tPvRmT3_T4_T5_T6_T7_T9_mT8_P12ihipStream_tbDpT10_ENKUlT_T0_E_clISt17integral_constantIbLb1EES18_EEDaS13_S14_EUlS13_E_NS1_11comp_targetILNS1_3genE9ELNS1_11target_archE1100ELNS1_3gpuE3ELNS1_3repE0EEENS1_30default_config_static_selectorELNS0_4arch9wavefront6targetE0EEEvT1_ ; -- Begin function _ZN7rocprim17ROCPRIM_400000_NS6detail17trampoline_kernelINS0_14default_configENS1_25partition_config_selectorILNS1_17partition_subalgoE6ExNS0_10empty_typeEbEEZZNS1_14partition_implILS5_6ELb0ES3_mN6thrust23THRUST_200600_302600_NS6detail15normal_iteratorINSA_10device_ptrIxEEEEPS6_SG_NS0_5tupleIJSF_S6_EEENSH_IJSG_SG_EEES6_PlJNSB_9not_fun_tI7is_trueIxEEEEEE10hipError_tPvRmT3_T4_T5_T6_T7_T9_mT8_P12ihipStream_tbDpT10_ENKUlT_T0_E_clISt17integral_constantIbLb1EES18_EEDaS13_S14_EUlS13_E_NS1_11comp_targetILNS1_3genE9ELNS1_11target_archE1100ELNS1_3gpuE3ELNS1_3repE0EEENS1_30default_config_static_selectorELNS0_4arch9wavefront6targetE0EEEvT1_
	.globl	_ZN7rocprim17ROCPRIM_400000_NS6detail17trampoline_kernelINS0_14default_configENS1_25partition_config_selectorILNS1_17partition_subalgoE6ExNS0_10empty_typeEbEEZZNS1_14partition_implILS5_6ELb0ES3_mN6thrust23THRUST_200600_302600_NS6detail15normal_iteratorINSA_10device_ptrIxEEEEPS6_SG_NS0_5tupleIJSF_S6_EEENSH_IJSG_SG_EEES6_PlJNSB_9not_fun_tI7is_trueIxEEEEEE10hipError_tPvRmT3_T4_T5_T6_T7_T9_mT8_P12ihipStream_tbDpT10_ENKUlT_T0_E_clISt17integral_constantIbLb1EES18_EEDaS13_S14_EUlS13_E_NS1_11comp_targetILNS1_3genE9ELNS1_11target_archE1100ELNS1_3gpuE3ELNS1_3repE0EEENS1_30default_config_static_selectorELNS0_4arch9wavefront6targetE0EEEvT1_
	.p2align	8
	.type	_ZN7rocprim17ROCPRIM_400000_NS6detail17trampoline_kernelINS0_14default_configENS1_25partition_config_selectorILNS1_17partition_subalgoE6ExNS0_10empty_typeEbEEZZNS1_14partition_implILS5_6ELb0ES3_mN6thrust23THRUST_200600_302600_NS6detail15normal_iteratorINSA_10device_ptrIxEEEEPS6_SG_NS0_5tupleIJSF_S6_EEENSH_IJSG_SG_EEES6_PlJNSB_9not_fun_tI7is_trueIxEEEEEE10hipError_tPvRmT3_T4_T5_T6_T7_T9_mT8_P12ihipStream_tbDpT10_ENKUlT_T0_E_clISt17integral_constantIbLb1EES18_EEDaS13_S14_EUlS13_E_NS1_11comp_targetILNS1_3genE9ELNS1_11target_archE1100ELNS1_3gpuE3ELNS1_3repE0EEENS1_30default_config_static_selectorELNS0_4arch9wavefront6targetE0EEEvT1_,@function
_ZN7rocprim17ROCPRIM_400000_NS6detail17trampoline_kernelINS0_14default_configENS1_25partition_config_selectorILNS1_17partition_subalgoE6ExNS0_10empty_typeEbEEZZNS1_14partition_implILS5_6ELb0ES3_mN6thrust23THRUST_200600_302600_NS6detail15normal_iteratorINSA_10device_ptrIxEEEEPS6_SG_NS0_5tupleIJSF_S6_EEENSH_IJSG_SG_EEES6_PlJNSB_9not_fun_tI7is_trueIxEEEEEE10hipError_tPvRmT3_T4_T5_T6_T7_T9_mT8_P12ihipStream_tbDpT10_ENKUlT_T0_E_clISt17integral_constantIbLb1EES18_EEDaS13_S14_EUlS13_E_NS1_11comp_targetILNS1_3genE9ELNS1_11target_archE1100ELNS1_3gpuE3ELNS1_3repE0EEENS1_30default_config_static_selectorELNS0_4arch9wavefront6targetE0EEEvT1_: ; @_ZN7rocprim17ROCPRIM_400000_NS6detail17trampoline_kernelINS0_14default_configENS1_25partition_config_selectorILNS1_17partition_subalgoE6ExNS0_10empty_typeEbEEZZNS1_14partition_implILS5_6ELb0ES3_mN6thrust23THRUST_200600_302600_NS6detail15normal_iteratorINSA_10device_ptrIxEEEEPS6_SG_NS0_5tupleIJSF_S6_EEENSH_IJSG_SG_EEES6_PlJNSB_9not_fun_tI7is_trueIxEEEEEE10hipError_tPvRmT3_T4_T5_T6_T7_T9_mT8_P12ihipStream_tbDpT10_ENKUlT_T0_E_clISt17integral_constantIbLb1EES18_EEDaS13_S14_EUlS13_E_NS1_11comp_targetILNS1_3genE9ELNS1_11target_archE1100ELNS1_3gpuE3ELNS1_3repE0EEENS1_30default_config_static_selectorELNS0_4arch9wavefront6targetE0EEEvT1_
; %bb.0:
	.section	.rodata,"a",@progbits
	.p2align	6, 0x0
	.amdhsa_kernel _ZN7rocprim17ROCPRIM_400000_NS6detail17trampoline_kernelINS0_14default_configENS1_25partition_config_selectorILNS1_17partition_subalgoE6ExNS0_10empty_typeEbEEZZNS1_14partition_implILS5_6ELb0ES3_mN6thrust23THRUST_200600_302600_NS6detail15normal_iteratorINSA_10device_ptrIxEEEEPS6_SG_NS0_5tupleIJSF_S6_EEENSH_IJSG_SG_EEES6_PlJNSB_9not_fun_tI7is_trueIxEEEEEE10hipError_tPvRmT3_T4_T5_T6_T7_T9_mT8_P12ihipStream_tbDpT10_ENKUlT_T0_E_clISt17integral_constantIbLb1EES18_EEDaS13_S14_EUlS13_E_NS1_11comp_targetILNS1_3genE9ELNS1_11target_archE1100ELNS1_3gpuE3ELNS1_3repE0EEENS1_30default_config_static_selectorELNS0_4arch9wavefront6targetE0EEEvT1_
		.amdhsa_group_segment_fixed_size 0
		.amdhsa_private_segment_fixed_size 0
		.amdhsa_kernarg_size 128
		.amdhsa_user_sgpr_count 2
		.amdhsa_user_sgpr_dispatch_ptr 0
		.amdhsa_user_sgpr_queue_ptr 0
		.amdhsa_user_sgpr_kernarg_segment_ptr 1
		.amdhsa_user_sgpr_dispatch_id 0
		.amdhsa_user_sgpr_private_segment_size 0
		.amdhsa_wavefront_size32 1
		.amdhsa_uses_dynamic_stack 0
		.amdhsa_enable_private_segment 0
		.amdhsa_system_sgpr_workgroup_id_x 1
		.amdhsa_system_sgpr_workgroup_id_y 0
		.amdhsa_system_sgpr_workgroup_id_z 0
		.amdhsa_system_sgpr_workgroup_info 0
		.amdhsa_system_vgpr_workitem_id 0
		.amdhsa_next_free_vgpr 1
		.amdhsa_next_free_sgpr 1
		.amdhsa_reserve_vcc 0
		.amdhsa_float_round_mode_32 0
		.amdhsa_float_round_mode_16_64 0
		.amdhsa_float_denorm_mode_32 3
		.amdhsa_float_denorm_mode_16_64 3
		.amdhsa_fp16_overflow 0
		.amdhsa_workgroup_processor_mode 1
		.amdhsa_memory_ordered 1
		.amdhsa_forward_progress 1
		.amdhsa_inst_pref_size 0
		.amdhsa_round_robin_scheduling 0
		.amdhsa_exception_fp_ieee_invalid_op 0
		.amdhsa_exception_fp_denorm_src 0
		.amdhsa_exception_fp_ieee_div_zero 0
		.amdhsa_exception_fp_ieee_overflow 0
		.amdhsa_exception_fp_ieee_underflow 0
		.amdhsa_exception_fp_ieee_inexact 0
		.amdhsa_exception_int_div_zero 0
	.end_amdhsa_kernel
	.section	.text._ZN7rocprim17ROCPRIM_400000_NS6detail17trampoline_kernelINS0_14default_configENS1_25partition_config_selectorILNS1_17partition_subalgoE6ExNS0_10empty_typeEbEEZZNS1_14partition_implILS5_6ELb0ES3_mN6thrust23THRUST_200600_302600_NS6detail15normal_iteratorINSA_10device_ptrIxEEEEPS6_SG_NS0_5tupleIJSF_S6_EEENSH_IJSG_SG_EEES6_PlJNSB_9not_fun_tI7is_trueIxEEEEEE10hipError_tPvRmT3_T4_T5_T6_T7_T9_mT8_P12ihipStream_tbDpT10_ENKUlT_T0_E_clISt17integral_constantIbLb1EES18_EEDaS13_S14_EUlS13_E_NS1_11comp_targetILNS1_3genE9ELNS1_11target_archE1100ELNS1_3gpuE3ELNS1_3repE0EEENS1_30default_config_static_selectorELNS0_4arch9wavefront6targetE0EEEvT1_,"axG",@progbits,_ZN7rocprim17ROCPRIM_400000_NS6detail17trampoline_kernelINS0_14default_configENS1_25partition_config_selectorILNS1_17partition_subalgoE6ExNS0_10empty_typeEbEEZZNS1_14partition_implILS5_6ELb0ES3_mN6thrust23THRUST_200600_302600_NS6detail15normal_iteratorINSA_10device_ptrIxEEEEPS6_SG_NS0_5tupleIJSF_S6_EEENSH_IJSG_SG_EEES6_PlJNSB_9not_fun_tI7is_trueIxEEEEEE10hipError_tPvRmT3_T4_T5_T6_T7_T9_mT8_P12ihipStream_tbDpT10_ENKUlT_T0_E_clISt17integral_constantIbLb1EES18_EEDaS13_S14_EUlS13_E_NS1_11comp_targetILNS1_3genE9ELNS1_11target_archE1100ELNS1_3gpuE3ELNS1_3repE0EEENS1_30default_config_static_selectorELNS0_4arch9wavefront6targetE0EEEvT1_,comdat
.Lfunc_end1219:
	.size	_ZN7rocprim17ROCPRIM_400000_NS6detail17trampoline_kernelINS0_14default_configENS1_25partition_config_selectorILNS1_17partition_subalgoE6ExNS0_10empty_typeEbEEZZNS1_14partition_implILS5_6ELb0ES3_mN6thrust23THRUST_200600_302600_NS6detail15normal_iteratorINSA_10device_ptrIxEEEEPS6_SG_NS0_5tupleIJSF_S6_EEENSH_IJSG_SG_EEES6_PlJNSB_9not_fun_tI7is_trueIxEEEEEE10hipError_tPvRmT3_T4_T5_T6_T7_T9_mT8_P12ihipStream_tbDpT10_ENKUlT_T0_E_clISt17integral_constantIbLb1EES18_EEDaS13_S14_EUlS13_E_NS1_11comp_targetILNS1_3genE9ELNS1_11target_archE1100ELNS1_3gpuE3ELNS1_3repE0EEENS1_30default_config_static_selectorELNS0_4arch9wavefront6targetE0EEEvT1_, .Lfunc_end1219-_ZN7rocprim17ROCPRIM_400000_NS6detail17trampoline_kernelINS0_14default_configENS1_25partition_config_selectorILNS1_17partition_subalgoE6ExNS0_10empty_typeEbEEZZNS1_14partition_implILS5_6ELb0ES3_mN6thrust23THRUST_200600_302600_NS6detail15normal_iteratorINSA_10device_ptrIxEEEEPS6_SG_NS0_5tupleIJSF_S6_EEENSH_IJSG_SG_EEES6_PlJNSB_9not_fun_tI7is_trueIxEEEEEE10hipError_tPvRmT3_T4_T5_T6_T7_T9_mT8_P12ihipStream_tbDpT10_ENKUlT_T0_E_clISt17integral_constantIbLb1EES18_EEDaS13_S14_EUlS13_E_NS1_11comp_targetILNS1_3genE9ELNS1_11target_archE1100ELNS1_3gpuE3ELNS1_3repE0EEENS1_30default_config_static_selectorELNS0_4arch9wavefront6targetE0EEEvT1_
                                        ; -- End function
	.set _ZN7rocprim17ROCPRIM_400000_NS6detail17trampoline_kernelINS0_14default_configENS1_25partition_config_selectorILNS1_17partition_subalgoE6ExNS0_10empty_typeEbEEZZNS1_14partition_implILS5_6ELb0ES3_mN6thrust23THRUST_200600_302600_NS6detail15normal_iteratorINSA_10device_ptrIxEEEEPS6_SG_NS0_5tupleIJSF_S6_EEENSH_IJSG_SG_EEES6_PlJNSB_9not_fun_tI7is_trueIxEEEEEE10hipError_tPvRmT3_T4_T5_T6_T7_T9_mT8_P12ihipStream_tbDpT10_ENKUlT_T0_E_clISt17integral_constantIbLb1EES18_EEDaS13_S14_EUlS13_E_NS1_11comp_targetILNS1_3genE9ELNS1_11target_archE1100ELNS1_3gpuE3ELNS1_3repE0EEENS1_30default_config_static_selectorELNS0_4arch9wavefront6targetE0EEEvT1_.num_vgpr, 0
	.set _ZN7rocprim17ROCPRIM_400000_NS6detail17trampoline_kernelINS0_14default_configENS1_25partition_config_selectorILNS1_17partition_subalgoE6ExNS0_10empty_typeEbEEZZNS1_14partition_implILS5_6ELb0ES3_mN6thrust23THRUST_200600_302600_NS6detail15normal_iteratorINSA_10device_ptrIxEEEEPS6_SG_NS0_5tupleIJSF_S6_EEENSH_IJSG_SG_EEES6_PlJNSB_9not_fun_tI7is_trueIxEEEEEE10hipError_tPvRmT3_T4_T5_T6_T7_T9_mT8_P12ihipStream_tbDpT10_ENKUlT_T0_E_clISt17integral_constantIbLb1EES18_EEDaS13_S14_EUlS13_E_NS1_11comp_targetILNS1_3genE9ELNS1_11target_archE1100ELNS1_3gpuE3ELNS1_3repE0EEENS1_30default_config_static_selectorELNS0_4arch9wavefront6targetE0EEEvT1_.num_agpr, 0
	.set _ZN7rocprim17ROCPRIM_400000_NS6detail17trampoline_kernelINS0_14default_configENS1_25partition_config_selectorILNS1_17partition_subalgoE6ExNS0_10empty_typeEbEEZZNS1_14partition_implILS5_6ELb0ES3_mN6thrust23THRUST_200600_302600_NS6detail15normal_iteratorINSA_10device_ptrIxEEEEPS6_SG_NS0_5tupleIJSF_S6_EEENSH_IJSG_SG_EEES6_PlJNSB_9not_fun_tI7is_trueIxEEEEEE10hipError_tPvRmT3_T4_T5_T6_T7_T9_mT8_P12ihipStream_tbDpT10_ENKUlT_T0_E_clISt17integral_constantIbLb1EES18_EEDaS13_S14_EUlS13_E_NS1_11comp_targetILNS1_3genE9ELNS1_11target_archE1100ELNS1_3gpuE3ELNS1_3repE0EEENS1_30default_config_static_selectorELNS0_4arch9wavefront6targetE0EEEvT1_.numbered_sgpr, 0
	.set _ZN7rocprim17ROCPRIM_400000_NS6detail17trampoline_kernelINS0_14default_configENS1_25partition_config_selectorILNS1_17partition_subalgoE6ExNS0_10empty_typeEbEEZZNS1_14partition_implILS5_6ELb0ES3_mN6thrust23THRUST_200600_302600_NS6detail15normal_iteratorINSA_10device_ptrIxEEEEPS6_SG_NS0_5tupleIJSF_S6_EEENSH_IJSG_SG_EEES6_PlJNSB_9not_fun_tI7is_trueIxEEEEEE10hipError_tPvRmT3_T4_T5_T6_T7_T9_mT8_P12ihipStream_tbDpT10_ENKUlT_T0_E_clISt17integral_constantIbLb1EES18_EEDaS13_S14_EUlS13_E_NS1_11comp_targetILNS1_3genE9ELNS1_11target_archE1100ELNS1_3gpuE3ELNS1_3repE0EEENS1_30default_config_static_selectorELNS0_4arch9wavefront6targetE0EEEvT1_.num_named_barrier, 0
	.set _ZN7rocprim17ROCPRIM_400000_NS6detail17trampoline_kernelINS0_14default_configENS1_25partition_config_selectorILNS1_17partition_subalgoE6ExNS0_10empty_typeEbEEZZNS1_14partition_implILS5_6ELb0ES3_mN6thrust23THRUST_200600_302600_NS6detail15normal_iteratorINSA_10device_ptrIxEEEEPS6_SG_NS0_5tupleIJSF_S6_EEENSH_IJSG_SG_EEES6_PlJNSB_9not_fun_tI7is_trueIxEEEEEE10hipError_tPvRmT3_T4_T5_T6_T7_T9_mT8_P12ihipStream_tbDpT10_ENKUlT_T0_E_clISt17integral_constantIbLb1EES18_EEDaS13_S14_EUlS13_E_NS1_11comp_targetILNS1_3genE9ELNS1_11target_archE1100ELNS1_3gpuE3ELNS1_3repE0EEENS1_30default_config_static_selectorELNS0_4arch9wavefront6targetE0EEEvT1_.private_seg_size, 0
	.set _ZN7rocprim17ROCPRIM_400000_NS6detail17trampoline_kernelINS0_14default_configENS1_25partition_config_selectorILNS1_17partition_subalgoE6ExNS0_10empty_typeEbEEZZNS1_14partition_implILS5_6ELb0ES3_mN6thrust23THRUST_200600_302600_NS6detail15normal_iteratorINSA_10device_ptrIxEEEEPS6_SG_NS0_5tupleIJSF_S6_EEENSH_IJSG_SG_EEES6_PlJNSB_9not_fun_tI7is_trueIxEEEEEE10hipError_tPvRmT3_T4_T5_T6_T7_T9_mT8_P12ihipStream_tbDpT10_ENKUlT_T0_E_clISt17integral_constantIbLb1EES18_EEDaS13_S14_EUlS13_E_NS1_11comp_targetILNS1_3genE9ELNS1_11target_archE1100ELNS1_3gpuE3ELNS1_3repE0EEENS1_30default_config_static_selectorELNS0_4arch9wavefront6targetE0EEEvT1_.uses_vcc, 0
	.set _ZN7rocprim17ROCPRIM_400000_NS6detail17trampoline_kernelINS0_14default_configENS1_25partition_config_selectorILNS1_17partition_subalgoE6ExNS0_10empty_typeEbEEZZNS1_14partition_implILS5_6ELb0ES3_mN6thrust23THRUST_200600_302600_NS6detail15normal_iteratorINSA_10device_ptrIxEEEEPS6_SG_NS0_5tupleIJSF_S6_EEENSH_IJSG_SG_EEES6_PlJNSB_9not_fun_tI7is_trueIxEEEEEE10hipError_tPvRmT3_T4_T5_T6_T7_T9_mT8_P12ihipStream_tbDpT10_ENKUlT_T0_E_clISt17integral_constantIbLb1EES18_EEDaS13_S14_EUlS13_E_NS1_11comp_targetILNS1_3genE9ELNS1_11target_archE1100ELNS1_3gpuE3ELNS1_3repE0EEENS1_30default_config_static_selectorELNS0_4arch9wavefront6targetE0EEEvT1_.uses_flat_scratch, 0
	.set _ZN7rocprim17ROCPRIM_400000_NS6detail17trampoline_kernelINS0_14default_configENS1_25partition_config_selectorILNS1_17partition_subalgoE6ExNS0_10empty_typeEbEEZZNS1_14partition_implILS5_6ELb0ES3_mN6thrust23THRUST_200600_302600_NS6detail15normal_iteratorINSA_10device_ptrIxEEEEPS6_SG_NS0_5tupleIJSF_S6_EEENSH_IJSG_SG_EEES6_PlJNSB_9not_fun_tI7is_trueIxEEEEEE10hipError_tPvRmT3_T4_T5_T6_T7_T9_mT8_P12ihipStream_tbDpT10_ENKUlT_T0_E_clISt17integral_constantIbLb1EES18_EEDaS13_S14_EUlS13_E_NS1_11comp_targetILNS1_3genE9ELNS1_11target_archE1100ELNS1_3gpuE3ELNS1_3repE0EEENS1_30default_config_static_selectorELNS0_4arch9wavefront6targetE0EEEvT1_.has_dyn_sized_stack, 0
	.set _ZN7rocprim17ROCPRIM_400000_NS6detail17trampoline_kernelINS0_14default_configENS1_25partition_config_selectorILNS1_17partition_subalgoE6ExNS0_10empty_typeEbEEZZNS1_14partition_implILS5_6ELb0ES3_mN6thrust23THRUST_200600_302600_NS6detail15normal_iteratorINSA_10device_ptrIxEEEEPS6_SG_NS0_5tupleIJSF_S6_EEENSH_IJSG_SG_EEES6_PlJNSB_9not_fun_tI7is_trueIxEEEEEE10hipError_tPvRmT3_T4_T5_T6_T7_T9_mT8_P12ihipStream_tbDpT10_ENKUlT_T0_E_clISt17integral_constantIbLb1EES18_EEDaS13_S14_EUlS13_E_NS1_11comp_targetILNS1_3genE9ELNS1_11target_archE1100ELNS1_3gpuE3ELNS1_3repE0EEENS1_30default_config_static_selectorELNS0_4arch9wavefront6targetE0EEEvT1_.has_recursion, 0
	.set _ZN7rocprim17ROCPRIM_400000_NS6detail17trampoline_kernelINS0_14default_configENS1_25partition_config_selectorILNS1_17partition_subalgoE6ExNS0_10empty_typeEbEEZZNS1_14partition_implILS5_6ELb0ES3_mN6thrust23THRUST_200600_302600_NS6detail15normal_iteratorINSA_10device_ptrIxEEEEPS6_SG_NS0_5tupleIJSF_S6_EEENSH_IJSG_SG_EEES6_PlJNSB_9not_fun_tI7is_trueIxEEEEEE10hipError_tPvRmT3_T4_T5_T6_T7_T9_mT8_P12ihipStream_tbDpT10_ENKUlT_T0_E_clISt17integral_constantIbLb1EES18_EEDaS13_S14_EUlS13_E_NS1_11comp_targetILNS1_3genE9ELNS1_11target_archE1100ELNS1_3gpuE3ELNS1_3repE0EEENS1_30default_config_static_selectorELNS0_4arch9wavefront6targetE0EEEvT1_.has_indirect_call, 0
	.section	.AMDGPU.csdata,"",@progbits
; Kernel info:
; codeLenInByte = 0
; TotalNumSgprs: 0
; NumVgprs: 0
; ScratchSize: 0
; MemoryBound: 0
; FloatMode: 240
; IeeeMode: 1
; LDSByteSize: 0 bytes/workgroup (compile time only)
; SGPRBlocks: 0
; VGPRBlocks: 0
; NumSGPRsForWavesPerEU: 1
; NumVGPRsForWavesPerEU: 1
; Occupancy: 16
; WaveLimiterHint : 0
; COMPUTE_PGM_RSRC2:SCRATCH_EN: 0
; COMPUTE_PGM_RSRC2:USER_SGPR: 2
; COMPUTE_PGM_RSRC2:TRAP_HANDLER: 0
; COMPUTE_PGM_RSRC2:TGID_X_EN: 1
; COMPUTE_PGM_RSRC2:TGID_Y_EN: 0
; COMPUTE_PGM_RSRC2:TGID_Z_EN: 0
; COMPUTE_PGM_RSRC2:TIDIG_COMP_CNT: 0
	.section	.text._ZN7rocprim17ROCPRIM_400000_NS6detail17trampoline_kernelINS0_14default_configENS1_25partition_config_selectorILNS1_17partition_subalgoE6ExNS0_10empty_typeEbEEZZNS1_14partition_implILS5_6ELb0ES3_mN6thrust23THRUST_200600_302600_NS6detail15normal_iteratorINSA_10device_ptrIxEEEEPS6_SG_NS0_5tupleIJSF_S6_EEENSH_IJSG_SG_EEES6_PlJNSB_9not_fun_tI7is_trueIxEEEEEE10hipError_tPvRmT3_T4_T5_T6_T7_T9_mT8_P12ihipStream_tbDpT10_ENKUlT_T0_E_clISt17integral_constantIbLb1EES18_EEDaS13_S14_EUlS13_E_NS1_11comp_targetILNS1_3genE8ELNS1_11target_archE1030ELNS1_3gpuE2ELNS1_3repE0EEENS1_30default_config_static_selectorELNS0_4arch9wavefront6targetE0EEEvT1_,"axG",@progbits,_ZN7rocprim17ROCPRIM_400000_NS6detail17trampoline_kernelINS0_14default_configENS1_25partition_config_selectorILNS1_17partition_subalgoE6ExNS0_10empty_typeEbEEZZNS1_14partition_implILS5_6ELb0ES3_mN6thrust23THRUST_200600_302600_NS6detail15normal_iteratorINSA_10device_ptrIxEEEEPS6_SG_NS0_5tupleIJSF_S6_EEENSH_IJSG_SG_EEES6_PlJNSB_9not_fun_tI7is_trueIxEEEEEE10hipError_tPvRmT3_T4_T5_T6_T7_T9_mT8_P12ihipStream_tbDpT10_ENKUlT_T0_E_clISt17integral_constantIbLb1EES18_EEDaS13_S14_EUlS13_E_NS1_11comp_targetILNS1_3genE8ELNS1_11target_archE1030ELNS1_3gpuE2ELNS1_3repE0EEENS1_30default_config_static_selectorELNS0_4arch9wavefront6targetE0EEEvT1_,comdat
	.protected	_ZN7rocprim17ROCPRIM_400000_NS6detail17trampoline_kernelINS0_14default_configENS1_25partition_config_selectorILNS1_17partition_subalgoE6ExNS0_10empty_typeEbEEZZNS1_14partition_implILS5_6ELb0ES3_mN6thrust23THRUST_200600_302600_NS6detail15normal_iteratorINSA_10device_ptrIxEEEEPS6_SG_NS0_5tupleIJSF_S6_EEENSH_IJSG_SG_EEES6_PlJNSB_9not_fun_tI7is_trueIxEEEEEE10hipError_tPvRmT3_T4_T5_T6_T7_T9_mT8_P12ihipStream_tbDpT10_ENKUlT_T0_E_clISt17integral_constantIbLb1EES18_EEDaS13_S14_EUlS13_E_NS1_11comp_targetILNS1_3genE8ELNS1_11target_archE1030ELNS1_3gpuE2ELNS1_3repE0EEENS1_30default_config_static_selectorELNS0_4arch9wavefront6targetE0EEEvT1_ ; -- Begin function _ZN7rocprim17ROCPRIM_400000_NS6detail17trampoline_kernelINS0_14default_configENS1_25partition_config_selectorILNS1_17partition_subalgoE6ExNS0_10empty_typeEbEEZZNS1_14partition_implILS5_6ELb0ES3_mN6thrust23THRUST_200600_302600_NS6detail15normal_iteratorINSA_10device_ptrIxEEEEPS6_SG_NS0_5tupleIJSF_S6_EEENSH_IJSG_SG_EEES6_PlJNSB_9not_fun_tI7is_trueIxEEEEEE10hipError_tPvRmT3_T4_T5_T6_T7_T9_mT8_P12ihipStream_tbDpT10_ENKUlT_T0_E_clISt17integral_constantIbLb1EES18_EEDaS13_S14_EUlS13_E_NS1_11comp_targetILNS1_3genE8ELNS1_11target_archE1030ELNS1_3gpuE2ELNS1_3repE0EEENS1_30default_config_static_selectorELNS0_4arch9wavefront6targetE0EEEvT1_
	.globl	_ZN7rocprim17ROCPRIM_400000_NS6detail17trampoline_kernelINS0_14default_configENS1_25partition_config_selectorILNS1_17partition_subalgoE6ExNS0_10empty_typeEbEEZZNS1_14partition_implILS5_6ELb0ES3_mN6thrust23THRUST_200600_302600_NS6detail15normal_iteratorINSA_10device_ptrIxEEEEPS6_SG_NS0_5tupleIJSF_S6_EEENSH_IJSG_SG_EEES6_PlJNSB_9not_fun_tI7is_trueIxEEEEEE10hipError_tPvRmT3_T4_T5_T6_T7_T9_mT8_P12ihipStream_tbDpT10_ENKUlT_T0_E_clISt17integral_constantIbLb1EES18_EEDaS13_S14_EUlS13_E_NS1_11comp_targetILNS1_3genE8ELNS1_11target_archE1030ELNS1_3gpuE2ELNS1_3repE0EEENS1_30default_config_static_selectorELNS0_4arch9wavefront6targetE0EEEvT1_
	.p2align	8
	.type	_ZN7rocprim17ROCPRIM_400000_NS6detail17trampoline_kernelINS0_14default_configENS1_25partition_config_selectorILNS1_17partition_subalgoE6ExNS0_10empty_typeEbEEZZNS1_14partition_implILS5_6ELb0ES3_mN6thrust23THRUST_200600_302600_NS6detail15normal_iteratorINSA_10device_ptrIxEEEEPS6_SG_NS0_5tupleIJSF_S6_EEENSH_IJSG_SG_EEES6_PlJNSB_9not_fun_tI7is_trueIxEEEEEE10hipError_tPvRmT3_T4_T5_T6_T7_T9_mT8_P12ihipStream_tbDpT10_ENKUlT_T0_E_clISt17integral_constantIbLb1EES18_EEDaS13_S14_EUlS13_E_NS1_11comp_targetILNS1_3genE8ELNS1_11target_archE1030ELNS1_3gpuE2ELNS1_3repE0EEENS1_30default_config_static_selectorELNS0_4arch9wavefront6targetE0EEEvT1_,@function
_ZN7rocprim17ROCPRIM_400000_NS6detail17trampoline_kernelINS0_14default_configENS1_25partition_config_selectorILNS1_17partition_subalgoE6ExNS0_10empty_typeEbEEZZNS1_14partition_implILS5_6ELb0ES3_mN6thrust23THRUST_200600_302600_NS6detail15normal_iteratorINSA_10device_ptrIxEEEEPS6_SG_NS0_5tupleIJSF_S6_EEENSH_IJSG_SG_EEES6_PlJNSB_9not_fun_tI7is_trueIxEEEEEE10hipError_tPvRmT3_T4_T5_T6_T7_T9_mT8_P12ihipStream_tbDpT10_ENKUlT_T0_E_clISt17integral_constantIbLb1EES18_EEDaS13_S14_EUlS13_E_NS1_11comp_targetILNS1_3genE8ELNS1_11target_archE1030ELNS1_3gpuE2ELNS1_3repE0EEENS1_30default_config_static_selectorELNS0_4arch9wavefront6targetE0EEEvT1_: ; @_ZN7rocprim17ROCPRIM_400000_NS6detail17trampoline_kernelINS0_14default_configENS1_25partition_config_selectorILNS1_17partition_subalgoE6ExNS0_10empty_typeEbEEZZNS1_14partition_implILS5_6ELb0ES3_mN6thrust23THRUST_200600_302600_NS6detail15normal_iteratorINSA_10device_ptrIxEEEEPS6_SG_NS0_5tupleIJSF_S6_EEENSH_IJSG_SG_EEES6_PlJNSB_9not_fun_tI7is_trueIxEEEEEE10hipError_tPvRmT3_T4_T5_T6_T7_T9_mT8_P12ihipStream_tbDpT10_ENKUlT_T0_E_clISt17integral_constantIbLb1EES18_EEDaS13_S14_EUlS13_E_NS1_11comp_targetILNS1_3genE8ELNS1_11target_archE1030ELNS1_3gpuE2ELNS1_3repE0EEENS1_30default_config_static_selectorELNS0_4arch9wavefront6targetE0EEEvT1_
; %bb.0:
	.section	.rodata,"a",@progbits
	.p2align	6, 0x0
	.amdhsa_kernel _ZN7rocprim17ROCPRIM_400000_NS6detail17trampoline_kernelINS0_14default_configENS1_25partition_config_selectorILNS1_17partition_subalgoE6ExNS0_10empty_typeEbEEZZNS1_14partition_implILS5_6ELb0ES3_mN6thrust23THRUST_200600_302600_NS6detail15normal_iteratorINSA_10device_ptrIxEEEEPS6_SG_NS0_5tupleIJSF_S6_EEENSH_IJSG_SG_EEES6_PlJNSB_9not_fun_tI7is_trueIxEEEEEE10hipError_tPvRmT3_T4_T5_T6_T7_T9_mT8_P12ihipStream_tbDpT10_ENKUlT_T0_E_clISt17integral_constantIbLb1EES18_EEDaS13_S14_EUlS13_E_NS1_11comp_targetILNS1_3genE8ELNS1_11target_archE1030ELNS1_3gpuE2ELNS1_3repE0EEENS1_30default_config_static_selectorELNS0_4arch9wavefront6targetE0EEEvT1_
		.amdhsa_group_segment_fixed_size 0
		.amdhsa_private_segment_fixed_size 0
		.amdhsa_kernarg_size 128
		.amdhsa_user_sgpr_count 2
		.amdhsa_user_sgpr_dispatch_ptr 0
		.amdhsa_user_sgpr_queue_ptr 0
		.amdhsa_user_sgpr_kernarg_segment_ptr 1
		.amdhsa_user_sgpr_dispatch_id 0
		.amdhsa_user_sgpr_private_segment_size 0
		.amdhsa_wavefront_size32 1
		.amdhsa_uses_dynamic_stack 0
		.amdhsa_enable_private_segment 0
		.amdhsa_system_sgpr_workgroup_id_x 1
		.amdhsa_system_sgpr_workgroup_id_y 0
		.amdhsa_system_sgpr_workgroup_id_z 0
		.amdhsa_system_sgpr_workgroup_info 0
		.amdhsa_system_vgpr_workitem_id 0
		.amdhsa_next_free_vgpr 1
		.amdhsa_next_free_sgpr 1
		.amdhsa_reserve_vcc 0
		.amdhsa_float_round_mode_32 0
		.amdhsa_float_round_mode_16_64 0
		.amdhsa_float_denorm_mode_32 3
		.amdhsa_float_denorm_mode_16_64 3
		.amdhsa_fp16_overflow 0
		.amdhsa_workgroup_processor_mode 1
		.amdhsa_memory_ordered 1
		.amdhsa_forward_progress 1
		.amdhsa_inst_pref_size 0
		.amdhsa_round_robin_scheduling 0
		.amdhsa_exception_fp_ieee_invalid_op 0
		.amdhsa_exception_fp_denorm_src 0
		.amdhsa_exception_fp_ieee_div_zero 0
		.amdhsa_exception_fp_ieee_overflow 0
		.amdhsa_exception_fp_ieee_underflow 0
		.amdhsa_exception_fp_ieee_inexact 0
		.amdhsa_exception_int_div_zero 0
	.end_amdhsa_kernel
	.section	.text._ZN7rocprim17ROCPRIM_400000_NS6detail17trampoline_kernelINS0_14default_configENS1_25partition_config_selectorILNS1_17partition_subalgoE6ExNS0_10empty_typeEbEEZZNS1_14partition_implILS5_6ELb0ES3_mN6thrust23THRUST_200600_302600_NS6detail15normal_iteratorINSA_10device_ptrIxEEEEPS6_SG_NS0_5tupleIJSF_S6_EEENSH_IJSG_SG_EEES6_PlJNSB_9not_fun_tI7is_trueIxEEEEEE10hipError_tPvRmT3_T4_T5_T6_T7_T9_mT8_P12ihipStream_tbDpT10_ENKUlT_T0_E_clISt17integral_constantIbLb1EES18_EEDaS13_S14_EUlS13_E_NS1_11comp_targetILNS1_3genE8ELNS1_11target_archE1030ELNS1_3gpuE2ELNS1_3repE0EEENS1_30default_config_static_selectorELNS0_4arch9wavefront6targetE0EEEvT1_,"axG",@progbits,_ZN7rocprim17ROCPRIM_400000_NS6detail17trampoline_kernelINS0_14default_configENS1_25partition_config_selectorILNS1_17partition_subalgoE6ExNS0_10empty_typeEbEEZZNS1_14partition_implILS5_6ELb0ES3_mN6thrust23THRUST_200600_302600_NS6detail15normal_iteratorINSA_10device_ptrIxEEEEPS6_SG_NS0_5tupleIJSF_S6_EEENSH_IJSG_SG_EEES6_PlJNSB_9not_fun_tI7is_trueIxEEEEEE10hipError_tPvRmT3_T4_T5_T6_T7_T9_mT8_P12ihipStream_tbDpT10_ENKUlT_T0_E_clISt17integral_constantIbLb1EES18_EEDaS13_S14_EUlS13_E_NS1_11comp_targetILNS1_3genE8ELNS1_11target_archE1030ELNS1_3gpuE2ELNS1_3repE0EEENS1_30default_config_static_selectorELNS0_4arch9wavefront6targetE0EEEvT1_,comdat
.Lfunc_end1220:
	.size	_ZN7rocprim17ROCPRIM_400000_NS6detail17trampoline_kernelINS0_14default_configENS1_25partition_config_selectorILNS1_17partition_subalgoE6ExNS0_10empty_typeEbEEZZNS1_14partition_implILS5_6ELb0ES3_mN6thrust23THRUST_200600_302600_NS6detail15normal_iteratorINSA_10device_ptrIxEEEEPS6_SG_NS0_5tupleIJSF_S6_EEENSH_IJSG_SG_EEES6_PlJNSB_9not_fun_tI7is_trueIxEEEEEE10hipError_tPvRmT3_T4_T5_T6_T7_T9_mT8_P12ihipStream_tbDpT10_ENKUlT_T0_E_clISt17integral_constantIbLb1EES18_EEDaS13_S14_EUlS13_E_NS1_11comp_targetILNS1_3genE8ELNS1_11target_archE1030ELNS1_3gpuE2ELNS1_3repE0EEENS1_30default_config_static_selectorELNS0_4arch9wavefront6targetE0EEEvT1_, .Lfunc_end1220-_ZN7rocprim17ROCPRIM_400000_NS6detail17trampoline_kernelINS0_14default_configENS1_25partition_config_selectorILNS1_17partition_subalgoE6ExNS0_10empty_typeEbEEZZNS1_14partition_implILS5_6ELb0ES3_mN6thrust23THRUST_200600_302600_NS6detail15normal_iteratorINSA_10device_ptrIxEEEEPS6_SG_NS0_5tupleIJSF_S6_EEENSH_IJSG_SG_EEES6_PlJNSB_9not_fun_tI7is_trueIxEEEEEE10hipError_tPvRmT3_T4_T5_T6_T7_T9_mT8_P12ihipStream_tbDpT10_ENKUlT_T0_E_clISt17integral_constantIbLb1EES18_EEDaS13_S14_EUlS13_E_NS1_11comp_targetILNS1_3genE8ELNS1_11target_archE1030ELNS1_3gpuE2ELNS1_3repE0EEENS1_30default_config_static_selectorELNS0_4arch9wavefront6targetE0EEEvT1_
                                        ; -- End function
	.set _ZN7rocprim17ROCPRIM_400000_NS6detail17trampoline_kernelINS0_14default_configENS1_25partition_config_selectorILNS1_17partition_subalgoE6ExNS0_10empty_typeEbEEZZNS1_14partition_implILS5_6ELb0ES3_mN6thrust23THRUST_200600_302600_NS6detail15normal_iteratorINSA_10device_ptrIxEEEEPS6_SG_NS0_5tupleIJSF_S6_EEENSH_IJSG_SG_EEES6_PlJNSB_9not_fun_tI7is_trueIxEEEEEE10hipError_tPvRmT3_T4_T5_T6_T7_T9_mT8_P12ihipStream_tbDpT10_ENKUlT_T0_E_clISt17integral_constantIbLb1EES18_EEDaS13_S14_EUlS13_E_NS1_11comp_targetILNS1_3genE8ELNS1_11target_archE1030ELNS1_3gpuE2ELNS1_3repE0EEENS1_30default_config_static_selectorELNS0_4arch9wavefront6targetE0EEEvT1_.num_vgpr, 0
	.set _ZN7rocprim17ROCPRIM_400000_NS6detail17trampoline_kernelINS0_14default_configENS1_25partition_config_selectorILNS1_17partition_subalgoE6ExNS0_10empty_typeEbEEZZNS1_14partition_implILS5_6ELb0ES3_mN6thrust23THRUST_200600_302600_NS6detail15normal_iteratorINSA_10device_ptrIxEEEEPS6_SG_NS0_5tupleIJSF_S6_EEENSH_IJSG_SG_EEES6_PlJNSB_9not_fun_tI7is_trueIxEEEEEE10hipError_tPvRmT3_T4_T5_T6_T7_T9_mT8_P12ihipStream_tbDpT10_ENKUlT_T0_E_clISt17integral_constantIbLb1EES18_EEDaS13_S14_EUlS13_E_NS1_11comp_targetILNS1_3genE8ELNS1_11target_archE1030ELNS1_3gpuE2ELNS1_3repE0EEENS1_30default_config_static_selectorELNS0_4arch9wavefront6targetE0EEEvT1_.num_agpr, 0
	.set _ZN7rocprim17ROCPRIM_400000_NS6detail17trampoline_kernelINS0_14default_configENS1_25partition_config_selectorILNS1_17partition_subalgoE6ExNS0_10empty_typeEbEEZZNS1_14partition_implILS5_6ELb0ES3_mN6thrust23THRUST_200600_302600_NS6detail15normal_iteratorINSA_10device_ptrIxEEEEPS6_SG_NS0_5tupleIJSF_S6_EEENSH_IJSG_SG_EEES6_PlJNSB_9not_fun_tI7is_trueIxEEEEEE10hipError_tPvRmT3_T4_T5_T6_T7_T9_mT8_P12ihipStream_tbDpT10_ENKUlT_T0_E_clISt17integral_constantIbLb1EES18_EEDaS13_S14_EUlS13_E_NS1_11comp_targetILNS1_3genE8ELNS1_11target_archE1030ELNS1_3gpuE2ELNS1_3repE0EEENS1_30default_config_static_selectorELNS0_4arch9wavefront6targetE0EEEvT1_.numbered_sgpr, 0
	.set _ZN7rocprim17ROCPRIM_400000_NS6detail17trampoline_kernelINS0_14default_configENS1_25partition_config_selectorILNS1_17partition_subalgoE6ExNS0_10empty_typeEbEEZZNS1_14partition_implILS5_6ELb0ES3_mN6thrust23THRUST_200600_302600_NS6detail15normal_iteratorINSA_10device_ptrIxEEEEPS6_SG_NS0_5tupleIJSF_S6_EEENSH_IJSG_SG_EEES6_PlJNSB_9not_fun_tI7is_trueIxEEEEEE10hipError_tPvRmT3_T4_T5_T6_T7_T9_mT8_P12ihipStream_tbDpT10_ENKUlT_T0_E_clISt17integral_constantIbLb1EES18_EEDaS13_S14_EUlS13_E_NS1_11comp_targetILNS1_3genE8ELNS1_11target_archE1030ELNS1_3gpuE2ELNS1_3repE0EEENS1_30default_config_static_selectorELNS0_4arch9wavefront6targetE0EEEvT1_.num_named_barrier, 0
	.set _ZN7rocprim17ROCPRIM_400000_NS6detail17trampoline_kernelINS0_14default_configENS1_25partition_config_selectorILNS1_17partition_subalgoE6ExNS0_10empty_typeEbEEZZNS1_14partition_implILS5_6ELb0ES3_mN6thrust23THRUST_200600_302600_NS6detail15normal_iteratorINSA_10device_ptrIxEEEEPS6_SG_NS0_5tupleIJSF_S6_EEENSH_IJSG_SG_EEES6_PlJNSB_9not_fun_tI7is_trueIxEEEEEE10hipError_tPvRmT3_T4_T5_T6_T7_T9_mT8_P12ihipStream_tbDpT10_ENKUlT_T0_E_clISt17integral_constantIbLb1EES18_EEDaS13_S14_EUlS13_E_NS1_11comp_targetILNS1_3genE8ELNS1_11target_archE1030ELNS1_3gpuE2ELNS1_3repE0EEENS1_30default_config_static_selectorELNS0_4arch9wavefront6targetE0EEEvT1_.private_seg_size, 0
	.set _ZN7rocprim17ROCPRIM_400000_NS6detail17trampoline_kernelINS0_14default_configENS1_25partition_config_selectorILNS1_17partition_subalgoE6ExNS0_10empty_typeEbEEZZNS1_14partition_implILS5_6ELb0ES3_mN6thrust23THRUST_200600_302600_NS6detail15normal_iteratorINSA_10device_ptrIxEEEEPS6_SG_NS0_5tupleIJSF_S6_EEENSH_IJSG_SG_EEES6_PlJNSB_9not_fun_tI7is_trueIxEEEEEE10hipError_tPvRmT3_T4_T5_T6_T7_T9_mT8_P12ihipStream_tbDpT10_ENKUlT_T0_E_clISt17integral_constantIbLb1EES18_EEDaS13_S14_EUlS13_E_NS1_11comp_targetILNS1_3genE8ELNS1_11target_archE1030ELNS1_3gpuE2ELNS1_3repE0EEENS1_30default_config_static_selectorELNS0_4arch9wavefront6targetE0EEEvT1_.uses_vcc, 0
	.set _ZN7rocprim17ROCPRIM_400000_NS6detail17trampoline_kernelINS0_14default_configENS1_25partition_config_selectorILNS1_17partition_subalgoE6ExNS0_10empty_typeEbEEZZNS1_14partition_implILS5_6ELb0ES3_mN6thrust23THRUST_200600_302600_NS6detail15normal_iteratorINSA_10device_ptrIxEEEEPS6_SG_NS0_5tupleIJSF_S6_EEENSH_IJSG_SG_EEES6_PlJNSB_9not_fun_tI7is_trueIxEEEEEE10hipError_tPvRmT3_T4_T5_T6_T7_T9_mT8_P12ihipStream_tbDpT10_ENKUlT_T0_E_clISt17integral_constantIbLb1EES18_EEDaS13_S14_EUlS13_E_NS1_11comp_targetILNS1_3genE8ELNS1_11target_archE1030ELNS1_3gpuE2ELNS1_3repE0EEENS1_30default_config_static_selectorELNS0_4arch9wavefront6targetE0EEEvT1_.uses_flat_scratch, 0
	.set _ZN7rocprim17ROCPRIM_400000_NS6detail17trampoline_kernelINS0_14default_configENS1_25partition_config_selectorILNS1_17partition_subalgoE6ExNS0_10empty_typeEbEEZZNS1_14partition_implILS5_6ELb0ES3_mN6thrust23THRUST_200600_302600_NS6detail15normal_iteratorINSA_10device_ptrIxEEEEPS6_SG_NS0_5tupleIJSF_S6_EEENSH_IJSG_SG_EEES6_PlJNSB_9not_fun_tI7is_trueIxEEEEEE10hipError_tPvRmT3_T4_T5_T6_T7_T9_mT8_P12ihipStream_tbDpT10_ENKUlT_T0_E_clISt17integral_constantIbLb1EES18_EEDaS13_S14_EUlS13_E_NS1_11comp_targetILNS1_3genE8ELNS1_11target_archE1030ELNS1_3gpuE2ELNS1_3repE0EEENS1_30default_config_static_selectorELNS0_4arch9wavefront6targetE0EEEvT1_.has_dyn_sized_stack, 0
	.set _ZN7rocprim17ROCPRIM_400000_NS6detail17trampoline_kernelINS0_14default_configENS1_25partition_config_selectorILNS1_17partition_subalgoE6ExNS0_10empty_typeEbEEZZNS1_14partition_implILS5_6ELb0ES3_mN6thrust23THRUST_200600_302600_NS6detail15normal_iteratorINSA_10device_ptrIxEEEEPS6_SG_NS0_5tupleIJSF_S6_EEENSH_IJSG_SG_EEES6_PlJNSB_9not_fun_tI7is_trueIxEEEEEE10hipError_tPvRmT3_T4_T5_T6_T7_T9_mT8_P12ihipStream_tbDpT10_ENKUlT_T0_E_clISt17integral_constantIbLb1EES18_EEDaS13_S14_EUlS13_E_NS1_11comp_targetILNS1_3genE8ELNS1_11target_archE1030ELNS1_3gpuE2ELNS1_3repE0EEENS1_30default_config_static_selectorELNS0_4arch9wavefront6targetE0EEEvT1_.has_recursion, 0
	.set _ZN7rocprim17ROCPRIM_400000_NS6detail17trampoline_kernelINS0_14default_configENS1_25partition_config_selectorILNS1_17partition_subalgoE6ExNS0_10empty_typeEbEEZZNS1_14partition_implILS5_6ELb0ES3_mN6thrust23THRUST_200600_302600_NS6detail15normal_iteratorINSA_10device_ptrIxEEEEPS6_SG_NS0_5tupleIJSF_S6_EEENSH_IJSG_SG_EEES6_PlJNSB_9not_fun_tI7is_trueIxEEEEEE10hipError_tPvRmT3_T4_T5_T6_T7_T9_mT8_P12ihipStream_tbDpT10_ENKUlT_T0_E_clISt17integral_constantIbLb1EES18_EEDaS13_S14_EUlS13_E_NS1_11comp_targetILNS1_3genE8ELNS1_11target_archE1030ELNS1_3gpuE2ELNS1_3repE0EEENS1_30default_config_static_selectorELNS0_4arch9wavefront6targetE0EEEvT1_.has_indirect_call, 0
	.section	.AMDGPU.csdata,"",@progbits
; Kernel info:
; codeLenInByte = 0
; TotalNumSgprs: 0
; NumVgprs: 0
; ScratchSize: 0
; MemoryBound: 0
; FloatMode: 240
; IeeeMode: 1
; LDSByteSize: 0 bytes/workgroup (compile time only)
; SGPRBlocks: 0
; VGPRBlocks: 0
; NumSGPRsForWavesPerEU: 1
; NumVGPRsForWavesPerEU: 1
; Occupancy: 16
; WaveLimiterHint : 0
; COMPUTE_PGM_RSRC2:SCRATCH_EN: 0
; COMPUTE_PGM_RSRC2:USER_SGPR: 2
; COMPUTE_PGM_RSRC2:TRAP_HANDLER: 0
; COMPUTE_PGM_RSRC2:TGID_X_EN: 1
; COMPUTE_PGM_RSRC2:TGID_Y_EN: 0
; COMPUTE_PGM_RSRC2:TGID_Z_EN: 0
; COMPUTE_PGM_RSRC2:TIDIG_COMP_CNT: 0
	.section	.text._ZN7rocprim17ROCPRIM_400000_NS6detail17trampoline_kernelINS0_14default_configENS1_25partition_config_selectorILNS1_17partition_subalgoE6ExNS0_10empty_typeEbEEZZNS1_14partition_implILS5_6ELb0ES3_mN6thrust23THRUST_200600_302600_NS6detail15normal_iteratorINSA_10device_ptrIxEEEEPS6_SG_NS0_5tupleIJSF_S6_EEENSH_IJSG_SG_EEES6_PlJNSB_9not_fun_tI7is_trueIxEEEEEE10hipError_tPvRmT3_T4_T5_T6_T7_T9_mT8_P12ihipStream_tbDpT10_ENKUlT_T0_E_clISt17integral_constantIbLb1EES17_IbLb0EEEEDaS13_S14_EUlS13_E_NS1_11comp_targetILNS1_3genE0ELNS1_11target_archE4294967295ELNS1_3gpuE0ELNS1_3repE0EEENS1_30default_config_static_selectorELNS0_4arch9wavefront6targetE0EEEvT1_,"axG",@progbits,_ZN7rocprim17ROCPRIM_400000_NS6detail17trampoline_kernelINS0_14default_configENS1_25partition_config_selectorILNS1_17partition_subalgoE6ExNS0_10empty_typeEbEEZZNS1_14partition_implILS5_6ELb0ES3_mN6thrust23THRUST_200600_302600_NS6detail15normal_iteratorINSA_10device_ptrIxEEEEPS6_SG_NS0_5tupleIJSF_S6_EEENSH_IJSG_SG_EEES6_PlJNSB_9not_fun_tI7is_trueIxEEEEEE10hipError_tPvRmT3_T4_T5_T6_T7_T9_mT8_P12ihipStream_tbDpT10_ENKUlT_T0_E_clISt17integral_constantIbLb1EES17_IbLb0EEEEDaS13_S14_EUlS13_E_NS1_11comp_targetILNS1_3genE0ELNS1_11target_archE4294967295ELNS1_3gpuE0ELNS1_3repE0EEENS1_30default_config_static_selectorELNS0_4arch9wavefront6targetE0EEEvT1_,comdat
	.protected	_ZN7rocprim17ROCPRIM_400000_NS6detail17trampoline_kernelINS0_14default_configENS1_25partition_config_selectorILNS1_17partition_subalgoE6ExNS0_10empty_typeEbEEZZNS1_14partition_implILS5_6ELb0ES3_mN6thrust23THRUST_200600_302600_NS6detail15normal_iteratorINSA_10device_ptrIxEEEEPS6_SG_NS0_5tupleIJSF_S6_EEENSH_IJSG_SG_EEES6_PlJNSB_9not_fun_tI7is_trueIxEEEEEE10hipError_tPvRmT3_T4_T5_T6_T7_T9_mT8_P12ihipStream_tbDpT10_ENKUlT_T0_E_clISt17integral_constantIbLb1EES17_IbLb0EEEEDaS13_S14_EUlS13_E_NS1_11comp_targetILNS1_3genE0ELNS1_11target_archE4294967295ELNS1_3gpuE0ELNS1_3repE0EEENS1_30default_config_static_selectorELNS0_4arch9wavefront6targetE0EEEvT1_ ; -- Begin function _ZN7rocprim17ROCPRIM_400000_NS6detail17trampoline_kernelINS0_14default_configENS1_25partition_config_selectorILNS1_17partition_subalgoE6ExNS0_10empty_typeEbEEZZNS1_14partition_implILS5_6ELb0ES3_mN6thrust23THRUST_200600_302600_NS6detail15normal_iteratorINSA_10device_ptrIxEEEEPS6_SG_NS0_5tupleIJSF_S6_EEENSH_IJSG_SG_EEES6_PlJNSB_9not_fun_tI7is_trueIxEEEEEE10hipError_tPvRmT3_T4_T5_T6_T7_T9_mT8_P12ihipStream_tbDpT10_ENKUlT_T0_E_clISt17integral_constantIbLb1EES17_IbLb0EEEEDaS13_S14_EUlS13_E_NS1_11comp_targetILNS1_3genE0ELNS1_11target_archE4294967295ELNS1_3gpuE0ELNS1_3repE0EEENS1_30default_config_static_selectorELNS0_4arch9wavefront6targetE0EEEvT1_
	.globl	_ZN7rocprim17ROCPRIM_400000_NS6detail17trampoline_kernelINS0_14default_configENS1_25partition_config_selectorILNS1_17partition_subalgoE6ExNS0_10empty_typeEbEEZZNS1_14partition_implILS5_6ELb0ES3_mN6thrust23THRUST_200600_302600_NS6detail15normal_iteratorINSA_10device_ptrIxEEEEPS6_SG_NS0_5tupleIJSF_S6_EEENSH_IJSG_SG_EEES6_PlJNSB_9not_fun_tI7is_trueIxEEEEEE10hipError_tPvRmT3_T4_T5_T6_T7_T9_mT8_P12ihipStream_tbDpT10_ENKUlT_T0_E_clISt17integral_constantIbLb1EES17_IbLb0EEEEDaS13_S14_EUlS13_E_NS1_11comp_targetILNS1_3genE0ELNS1_11target_archE4294967295ELNS1_3gpuE0ELNS1_3repE0EEENS1_30default_config_static_selectorELNS0_4arch9wavefront6targetE0EEEvT1_
	.p2align	8
	.type	_ZN7rocprim17ROCPRIM_400000_NS6detail17trampoline_kernelINS0_14default_configENS1_25partition_config_selectorILNS1_17partition_subalgoE6ExNS0_10empty_typeEbEEZZNS1_14partition_implILS5_6ELb0ES3_mN6thrust23THRUST_200600_302600_NS6detail15normal_iteratorINSA_10device_ptrIxEEEEPS6_SG_NS0_5tupleIJSF_S6_EEENSH_IJSG_SG_EEES6_PlJNSB_9not_fun_tI7is_trueIxEEEEEE10hipError_tPvRmT3_T4_T5_T6_T7_T9_mT8_P12ihipStream_tbDpT10_ENKUlT_T0_E_clISt17integral_constantIbLb1EES17_IbLb0EEEEDaS13_S14_EUlS13_E_NS1_11comp_targetILNS1_3genE0ELNS1_11target_archE4294967295ELNS1_3gpuE0ELNS1_3repE0EEENS1_30default_config_static_selectorELNS0_4arch9wavefront6targetE0EEEvT1_,@function
_ZN7rocprim17ROCPRIM_400000_NS6detail17trampoline_kernelINS0_14default_configENS1_25partition_config_selectorILNS1_17partition_subalgoE6ExNS0_10empty_typeEbEEZZNS1_14partition_implILS5_6ELb0ES3_mN6thrust23THRUST_200600_302600_NS6detail15normal_iteratorINSA_10device_ptrIxEEEEPS6_SG_NS0_5tupleIJSF_S6_EEENSH_IJSG_SG_EEES6_PlJNSB_9not_fun_tI7is_trueIxEEEEEE10hipError_tPvRmT3_T4_T5_T6_T7_T9_mT8_P12ihipStream_tbDpT10_ENKUlT_T0_E_clISt17integral_constantIbLb1EES17_IbLb0EEEEDaS13_S14_EUlS13_E_NS1_11comp_targetILNS1_3genE0ELNS1_11target_archE4294967295ELNS1_3gpuE0ELNS1_3repE0EEENS1_30default_config_static_selectorELNS0_4arch9wavefront6targetE0EEEvT1_: ; @_ZN7rocprim17ROCPRIM_400000_NS6detail17trampoline_kernelINS0_14default_configENS1_25partition_config_selectorILNS1_17partition_subalgoE6ExNS0_10empty_typeEbEEZZNS1_14partition_implILS5_6ELb0ES3_mN6thrust23THRUST_200600_302600_NS6detail15normal_iteratorINSA_10device_ptrIxEEEEPS6_SG_NS0_5tupleIJSF_S6_EEENSH_IJSG_SG_EEES6_PlJNSB_9not_fun_tI7is_trueIxEEEEEE10hipError_tPvRmT3_T4_T5_T6_T7_T9_mT8_P12ihipStream_tbDpT10_ENKUlT_T0_E_clISt17integral_constantIbLb1EES17_IbLb0EEEEDaS13_S14_EUlS13_E_NS1_11comp_targetILNS1_3genE0ELNS1_11target_archE4294967295ELNS1_3gpuE0ELNS1_3repE0EEENS1_30default_config_static_selectorELNS0_4arch9wavefront6targetE0EEEvT1_
; %bb.0:
	.section	.rodata,"a",@progbits
	.p2align	6, 0x0
	.amdhsa_kernel _ZN7rocprim17ROCPRIM_400000_NS6detail17trampoline_kernelINS0_14default_configENS1_25partition_config_selectorILNS1_17partition_subalgoE6ExNS0_10empty_typeEbEEZZNS1_14partition_implILS5_6ELb0ES3_mN6thrust23THRUST_200600_302600_NS6detail15normal_iteratorINSA_10device_ptrIxEEEEPS6_SG_NS0_5tupleIJSF_S6_EEENSH_IJSG_SG_EEES6_PlJNSB_9not_fun_tI7is_trueIxEEEEEE10hipError_tPvRmT3_T4_T5_T6_T7_T9_mT8_P12ihipStream_tbDpT10_ENKUlT_T0_E_clISt17integral_constantIbLb1EES17_IbLb0EEEEDaS13_S14_EUlS13_E_NS1_11comp_targetILNS1_3genE0ELNS1_11target_archE4294967295ELNS1_3gpuE0ELNS1_3repE0EEENS1_30default_config_static_selectorELNS0_4arch9wavefront6targetE0EEEvT1_
		.amdhsa_group_segment_fixed_size 0
		.amdhsa_private_segment_fixed_size 0
		.amdhsa_kernarg_size 112
		.amdhsa_user_sgpr_count 2
		.amdhsa_user_sgpr_dispatch_ptr 0
		.amdhsa_user_sgpr_queue_ptr 0
		.amdhsa_user_sgpr_kernarg_segment_ptr 1
		.amdhsa_user_sgpr_dispatch_id 0
		.amdhsa_user_sgpr_private_segment_size 0
		.amdhsa_wavefront_size32 1
		.amdhsa_uses_dynamic_stack 0
		.amdhsa_enable_private_segment 0
		.amdhsa_system_sgpr_workgroup_id_x 1
		.amdhsa_system_sgpr_workgroup_id_y 0
		.amdhsa_system_sgpr_workgroup_id_z 0
		.amdhsa_system_sgpr_workgroup_info 0
		.amdhsa_system_vgpr_workitem_id 0
		.amdhsa_next_free_vgpr 1
		.amdhsa_next_free_sgpr 1
		.amdhsa_reserve_vcc 0
		.amdhsa_float_round_mode_32 0
		.amdhsa_float_round_mode_16_64 0
		.amdhsa_float_denorm_mode_32 3
		.amdhsa_float_denorm_mode_16_64 3
		.amdhsa_fp16_overflow 0
		.amdhsa_workgroup_processor_mode 1
		.amdhsa_memory_ordered 1
		.amdhsa_forward_progress 1
		.amdhsa_inst_pref_size 0
		.amdhsa_round_robin_scheduling 0
		.amdhsa_exception_fp_ieee_invalid_op 0
		.amdhsa_exception_fp_denorm_src 0
		.amdhsa_exception_fp_ieee_div_zero 0
		.amdhsa_exception_fp_ieee_overflow 0
		.amdhsa_exception_fp_ieee_underflow 0
		.amdhsa_exception_fp_ieee_inexact 0
		.amdhsa_exception_int_div_zero 0
	.end_amdhsa_kernel
	.section	.text._ZN7rocprim17ROCPRIM_400000_NS6detail17trampoline_kernelINS0_14default_configENS1_25partition_config_selectorILNS1_17partition_subalgoE6ExNS0_10empty_typeEbEEZZNS1_14partition_implILS5_6ELb0ES3_mN6thrust23THRUST_200600_302600_NS6detail15normal_iteratorINSA_10device_ptrIxEEEEPS6_SG_NS0_5tupleIJSF_S6_EEENSH_IJSG_SG_EEES6_PlJNSB_9not_fun_tI7is_trueIxEEEEEE10hipError_tPvRmT3_T4_T5_T6_T7_T9_mT8_P12ihipStream_tbDpT10_ENKUlT_T0_E_clISt17integral_constantIbLb1EES17_IbLb0EEEEDaS13_S14_EUlS13_E_NS1_11comp_targetILNS1_3genE0ELNS1_11target_archE4294967295ELNS1_3gpuE0ELNS1_3repE0EEENS1_30default_config_static_selectorELNS0_4arch9wavefront6targetE0EEEvT1_,"axG",@progbits,_ZN7rocprim17ROCPRIM_400000_NS6detail17trampoline_kernelINS0_14default_configENS1_25partition_config_selectorILNS1_17partition_subalgoE6ExNS0_10empty_typeEbEEZZNS1_14partition_implILS5_6ELb0ES3_mN6thrust23THRUST_200600_302600_NS6detail15normal_iteratorINSA_10device_ptrIxEEEEPS6_SG_NS0_5tupleIJSF_S6_EEENSH_IJSG_SG_EEES6_PlJNSB_9not_fun_tI7is_trueIxEEEEEE10hipError_tPvRmT3_T4_T5_T6_T7_T9_mT8_P12ihipStream_tbDpT10_ENKUlT_T0_E_clISt17integral_constantIbLb1EES17_IbLb0EEEEDaS13_S14_EUlS13_E_NS1_11comp_targetILNS1_3genE0ELNS1_11target_archE4294967295ELNS1_3gpuE0ELNS1_3repE0EEENS1_30default_config_static_selectorELNS0_4arch9wavefront6targetE0EEEvT1_,comdat
.Lfunc_end1221:
	.size	_ZN7rocprim17ROCPRIM_400000_NS6detail17trampoline_kernelINS0_14default_configENS1_25partition_config_selectorILNS1_17partition_subalgoE6ExNS0_10empty_typeEbEEZZNS1_14partition_implILS5_6ELb0ES3_mN6thrust23THRUST_200600_302600_NS6detail15normal_iteratorINSA_10device_ptrIxEEEEPS6_SG_NS0_5tupleIJSF_S6_EEENSH_IJSG_SG_EEES6_PlJNSB_9not_fun_tI7is_trueIxEEEEEE10hipError_tPvRmT3_T4_T5_T6_T7_T9_mT8_P12ihipStream_tbDpT10_ENKUlT_T0_E_clISt17integral_constantIbLb1EES17_IbLb0EEEEDaS13_S14_EUlS13_E_NS1_11comp_targetILNS1_3genE0ELNS1_11target_archE4294967295ELNS1_3gpuE0ELNS1_3repE0EEENS1_30default_config_static_selectorELNS0_4arch9wavefront6targetE0EEEvT1_, .Lfunc_end1221-_ZN7rocprim17ROCPRIM_400000_NS6detail17trampoline_kernelINS0_14default_configENS1_25partition_config_selectorILNS1_17partition_subalgoE6ExNS0_10empty_typeEbEEZZNS1_14partition_implILS5_6ELb0ES3_mN6thrust23THRUST_200600_302600_NS6detail15normal_iteratorINSA_10device_ptrIxEEEEPS6_SG_NS0_5tupleIJSF_S6_EEENSH_IJSG_SG_EEES6_PlJNSB_9not_fun_tI7is_trueIxEEEEEE10hipError_tPvRmT3_T4_T5_T6_T7_T9_mT8_P12ihipStream_tbDpT10_ENKUlT_T0_E_clISt17integral_constantIbLb1EES17_IbLb0EEEEDaS13_S14_EUlS13_E_NS1_11comp_targetILNS1_3genE0ELNS1_11target_archE4294967295ELNS1_3gpuE0ELNS1_3repE0EEENS1_30default_config_static_selectorELNS0_4arch9wavefront6targetE0EEEvT1_
                                        ; -- End function
	.set _ZN7rocprim17ROCPRIM_400000_NS6detail17trampoline_kernelINS0_14default_configENS1_25partition_config_selectorILNS1_17partition_subalgoE6ExNS0_10empty_typeEbEEZZNS1_14partition_implILS5_6ELb0ES3_mN6thrust23THRUST_200600_302600_NS6detail15normal_iteratorINSA_10device_ptrIxEEEEPS6_SG_NS0_5tupleIJSF_S6_EEENSH_IJSG_SG_EEES6_PlJNSB_9not_fun_tI7is_trueIxEEEEEE10hipError_tPvRmT3_T4_T5_T6_T7_T9_mT8_P12ihipStream_tbDpT10_ENKUlT_T0_E_clISt17integral_constantIbLb1EES17_IbLb0EEEEDaS13_S14_EUlS13_E_NS1_11comp_targetILNS1_3genE0ELNS1_11target_archE4294967295ELNS1_3gpuE0ELNS1_3repE0EEENS1_30default_config_static_selectorELNS0_4arch9wavefront6targetE0EEEvT1_.num_vgpr, 0
	.set _ZN7rocprim17ROCPRIM_400000_NS6detail17trampoline_kernelINS0_14default_configENS1_25partition_config_selectorILNS1_17partition_subalgoE6ExNS0_10empty_typeEbEEZZNS1_14partition_implILS5_6ELb0ES3_mN6thrust23THRUST_200600_302600_NS6detail15normal_iteratorINSA_10device_ptrIxEEEEPS6_SG_NS0_5tupleIJSF_S6_EEENSH_IJSG_SG_EEES6_PlJNSB_9not_fun_tI7is_trueIxEEEEEE10hipError_tPvRmT3_T4_T5_T6_T7_T9_mT8_P12ihipStream_tbDpT10_ENKUlT_T0_E_clISt17integral_constantIbLb1EES17_IbLb0EEEEDaS13_S14_EUlS13_E_NS1_11comp_targetILNS1_3genE0ELNS1_11target_archE4294967295ELNS1_3gpuE0ELNS1_3repE0EEENS1_30default_config_static_selectorELNS0_4arch9wavefront6targetE0EEEvT1_.num_agpr, 0
	.set _ZN7rocprim17ROCPRIM_400000_NS6detail17trampoline_kernelINS0_14default_configENS1_25partition_config_selectorILNS1_17partition_subalgoE6ExNS0_10empty_typeEbEEZZNS1_14partition_implILS5_6ELb0ES3_mN6thrust23THRUST_200600_302600_NS6detail15normal_iteratorINSA_10device_ptrIxEEEEPS6_SG_NS0_5tupleIJSF_S6_EEENSH_IJSG_SG_EEES6_PlJNSB_9not_fun_tI7is_trueIxEEEEEE10hipError_tPvRmT3_T4_T5_T6_T7_T9_mT8_P12ihipStream_tbDpT10_ENKUlT_T0_E_clISt17integral_constantIbLb1EES17_IbLb0EEEEDaS13_S14_EUlS13_E_NS1_11comp_targetILNS1_3genE0ELNS1_11target_archE4294967295ELNS1_3gpuE0ELNS1_3repE0EEENS1_30default_config_static_selectorELNS0_4arch9wavefront6targetE0EEEvT1_.numbered_sgpr, 0
	.set _ZN7rocprim17ROCPRIM_400000_NS6detail17trampoline_kernelINS0_14default_configENS1_25partition_config_selectorILNS1_17partition_subalgoE6ExNS0_10empty_typeEbEEZZNS1_14partition_implILS5_6ELb0ES3_mN6thrust23THRUST_200600_302600_NS6detail15normal_iteratorINSA_10device_ptrIxEEEEPS6_SG_NS0_5tupleIJSF_S6_EEENSH_IJSG_SG_EEES6_PlJNSB_9not_fun_tI7is_trueIxEEEEEE10hipError_tPvRmT3_T4_T5_T6_T7_T9_mT8_P12ihipStream_tbDpT10_ENKUlT_T0_E_clISt17integral_constantIbLb1EES17_IbLb0EEEEDaS13_S14_EUlS13_E_NS1_11comp_targetILNS1_3genE0ELNS1_11target_archE4294967295ELNS1_3gpuE0ELNS1_3repE0EEENS1_30default_config_static_selectorELNS0_4arch9wavefront6targetE0EEEvT1_.num_named_barrier, 0
	.set _ZN7rocprim17ROCPRIM_400000_NS6detail17trampoline_kernelINS0_14default_configENS1_25partition_config_selectorILNS1_17partition_subalgoE6ExNS0_10empty_typeEbEEZZNS1_14partition_implILS5_6ELb0ES3_mN6thrust23THRUST_200600_302600_NS6detail15normal_iteratorINSA_10device_ptrIxEEEEPS6_SG_NS0_5tupleIJSF_S6_EEENSH_IJSG_SG_EEES6_PlJNSB_9not_fun_tI7is_trueIxEEEEEE10hipError_tPvRmT3_T4_T5_T6_T7_T9_mT8_P12ihipStream_tbDpT10_ENKUlT_T0_E_clISt17integral_constantIbLb1EES17_IbLb0EEEEDaS13_S14_EUlS13_E_NS1_11comp_targetILNS1_3genE0ELNS1_11target_archE4294967295ELNS1_3gpuE0ELNS1_3repE0EEENS1_30default_config_static_selectorELNS0_4arch9wavefront6targetE0EEEvT1_.private_seg_size, 0
	.set _ZN7rocprim17ROCPRIM_400000_NS6detail17trampoline_kernelINS0_14default_configENS1_25partition_config_selectorILNS1_17partition_subalgoE6ExNS0_10empty_typeEbEEZZNS1_14partition_implILS5_6ELb0ES3_mN6thrust23THRUST_200600_302600_NS6detail15normal_iteratorINSA_10device_ptrIxEEEEPS6_SG_NS0_5tupleIJSF_S6_EEENSH_IJSG_SG_EEES6_PlJNSB_9not_fun_tI7is_trueIxEEEEEE10hipError_tPvRmT3_T4_T5_T6_T7_T9_mT8_P12ihipStream_tbDpT10_ENKUlT_T0_E_clISt17integral_constantIbLb1EES17_IbLb0EEEEDaS13_S14_EUlS13_E_NS1_11comp_targetILNS1_3genE0ELNS1_11target_archE4294967295ELNS1_3gpuE0ELNS1_3repE0EEENS1_30default_config_static_selectorELNS0_4arch9wavefront6targetE0EEEvT1_.uses_vcc, 0
	.set _ZN7rocprim17ROCPRIM_400000_NS6detail17trampoline_kernelINS0_14default_configENS1_25partition_config_selectorILNS1_17partition_subalgoE6ExNS0_10empty_typeEbEEZZNS1_14partition_implILS5_6ELb0ES3_mN6thrust23THRUST_200600_302600_NS6detail15normal_iteratorINSA_10device_ptrIxEEEEPS6_SG_NS0_5tupleIJSF_S6_EEENSH_IJSG_SG_EEES6_PlJNSB_9not_fun_tI7is_trueIxEEEEEE10hipError_tPvRmT3_T4_T5_T6_T7_T9_mT8_P12ihipStream_tbDpT10_ENKUlT_T0_E_clISt17integral_constantIbLb1EES17_IbLb0EEEEDaS13_S14_EUlS13_E_NS1_11comp_targetILNS1_3genE0ELNS1_11target_archE4294967295ELNS1_3gpuE0ELNS1_3repE0EEENS1_30default_config_static_selectorELNS0_4arch9wavefront6targetE0EEEvT1_.uses_flat_scratch, 0
	.set _ZN7rocprim17ROCPRIM_400000_NS6detail17trampoline_kernelINS0_14default_configENS1_25partition_config_selectorILNS1_17partition_subalgoE6ExNS0_10empty_typeEbEEZZNS1_14partition_implILS5_6ELb0ES3_mN6thrust23THRUST_200600_302600_NS6detail15normal_iteratorINSA_10device_ptrIxEEEEPS6_SG_NS0_5tupleIJSF_S6_EEENSH_IJSG_SG_EEES6_PlJNSB_9not_fun_tI7is_trueIxEEEEEE10hipError_tPvRmT3_T4_T5_T6_T7_T9_mT8_P12ihipStream_tbDpT10_ENKUlT_T0_E_clISt17integral_constantIbLb1EES17_IbLb0EEEEDaS13_S14_EUlS13_E_NS1_11comp_targetILNS1_3genE0ELNS1_11target_archE4294967295ELNS1_3gpuE0ELNS1_3repE0EEENS1_30default_config_static_selectorELNS0_4arch9wavefront6targetE0EEEvT1_.has_dyn_sized_stack, 0
	.set _ZN7rocprim17ROCPRIM_400000_NS6detail17trampoline_kernelINS0_14default_configENS1_25partition_config_selectorILNS1_17partition_subalgoE6ExNS0_10empty_typeEbEEZZNS1_14partition_implILS5_6ELb0ES3_mN6thrust23THRUST_200600_302600_NS6detail15normal_iteratorINSA_10device_ptrIxEEEEPS6_SG_NS0_5tupleIJSF_S6_EEENSH_IJSG_SG_EEES6_PlJNSB_9not_fun_tI7is_trueIxEEEEEE10hipError_tPvRmT3_T4_T5_T6_T7_T9_mT8_P12ihipStream_tbDpT10_ENKUlT_T0_E_clISt17integral_constantIbLb1EES17_IbLb0EEEEDaS13_S14_EUlS13_E_NS1_11comp_targetILNS1_3genE0ELNS1_11target_archE4294967295ELNS1_3gpuE0ELNS1_3repE0EEENS1_30default_config_static_selectorELNS0_4arch9wavefront6targetE0EEEvT1_.has_recursion, 0
	.set _ZN7rocprim17ROCPRIM_400000_NS6detail17trampoline_kernelINS0_14default_configENS1_25partition_config_selectorILNS1_17partition_subalgoE6ExNS0_10empty_typeEbEEZZNS1_14partition_implILS5_6ELb0ES3_mN6thrust23THRUST_200600_302600_NS6detail15normal_iteratorINSA_10device_ptrIxEEEEPS6_SG_NS0_5tupleIJSF_S6_EEENSH_IJSG_SG_EEES6_PlJNSB_9not_fun_tI7is_trueIxEEEEEE10hipError_tPvRmT3_T4_T5_T6_T7_T9_mT8_P12ihipStream_tbDpT10_ENKUlT_T0_E_clISt17integral_constantIbLb1EES17_IbLb0EEEEDaS13_S14_EUlS13_E_NS1_11comp_targetILNS1_3genE0ELNS1_11target_archE4294967295ELNS1_3gpuE0ELNS1_3repE0EEENS1_30default_config_static_selectorELNS0_4arch9wavefront6targetE0EEEvT1_.has_indirect_call, 0
	.section	.AMDGPU.csdata,"",@progbits
; Kernel info:
; codeLenInByte = 0
; TotalNumSgprs: 0
; NumVgprs: 0
; ScratchSize: 0
; MemoryBound: 0
; FloatMode: 240
; IeeeMode: 1
; LDSByteSize: 0 bytes/workgroup (compile time only)
; SGPRBlocks: 0
; VGPRBlocks: 0
; NumSGPRsForWavesPerEU: 1
; NumVGPRsForWavesPerEU: 1
; Occupancy: 16
; WaveLimiterHint : 0
; COMPUTE_PGM_RSRC2:SCRATCH_EN: 0
; COMPUTE_PGM_RSRC2:USER_SGPR: 2
; COMPUTE_PGM_RSRC2:TRAP_HANDLER: 0
; COMPUTE_PGM_RSRC2:TGID_X_EN: 1
; COMPUTE_PGM_RSRC2:TGID_Y_EN: 0
; COMPUTE_PGM_RSRC2:TGID_Z_EN: 0
; COMPUTE_PGM_RSRC2:TIDIG_COMP_CNT: 0
	.section	.text._ZN7rocprim17ROCPRIM_400000_NS6detail17trampoline_kernelINS0_14default_configENS1_25partition_config_selectorILNS1_17partition_subalgoE6ExNS0_10empty_typeEbEEZZNS1_14partition_implILS5_6ELb0ES3_mN6thrust23THRUST_200600_302600_NS6detail15normal_iteratorINSA_10device_ptrIxEEEEPS6_SG_NS0_5tupleIJSF_S6_EEENSH_IJSG_SG_EEES6_PlJNSB_9not_fun_tI7is_trueIxEEEEEE10hipError_tPvRmT3_T4_T5_T6_T7_T9_mT8_P12ihipStream_tbDpT10_ENKUlT_T0_E_clISt17integral_constantIbLb1EES17_IbLb0EEEEDaS13_S14_EUlS13_E_NS1_11comp_targetILNS1_3genE5ELNS1_11target_archE942ELNS1_3gpuE9ELNS1_3repE0EEENS1_30default_config_static_selectorELNS0_4arch9wavefront6targetE0EEEvT1_,"axG",@progbits,_ZN7rocprim17ROCPRIM_400000_NS6detail17trampoline_kernelINS0_14default_configENS1_25partition_config_selectorILNS1_17partition_subalgoE6ExNS0_10empty_typeEbEEZZNS1_14partition_implILS5_6ELb0ES3_mN6thrust23THRUST_200600_302600_NS6detail15normal_iteratorINSA_10device_ptrIxEEEEPS6_SG_NS0_5tupleIJSF_S6_EEENSH_IJSG_SG_EEES6_PlJNSB_9not_fun_tI7is_trueIxEEEEEE10hipError_tPvRmT3_T4_T5_T6_T7_T9_mT8_P12ihipStream_tbDpT10_ENKUlT_T0_E_clISt17integral_constantIbLb1EES17_IbLb0EEEEDaS13_S14_EUlS13_E_NS1_11comp_targetILNS1_3genE5ELNS1_11target_archE942ELNS1_3gpuE9ELNS1_3repE0EEENS1_30default_config_static_selectorELNS0_4arch9wavefront6targetE0EEEvT1_,comdat
	.protected	_ZN7rocprim17ROCPRIM_400000_NS6detail17trampoline_kernelINS0_14default_configENS1_25partition_config_selectorILNS1_17partition_subalgoE6ExNS0_10empty_typeEbEEZZNS1_14partition_implILS5_6ELb0ES3_mN6thrust23THRUST_200600_302600_NS6detail15normal_iteratorINSA_10device_ptrIxEEEEPS6_SG_NS0_5tupleIJSF_S6_EEENSH_IJSG_SG_EEES6_PlJNSB_9not_fun_tI7is_trueIxEEEEEE10hipError_tPvRmT3_T4_T5_T6_T7_T9_mT8_P12ihipStream_tbDpT10_ENKUlT_T0_E_clISt17integral_constantIbLb1EES17_IbLb0EEEEDaS13_S14_EUlS13_E_NS1_11comp_targetILNS1_3genE5ELNS1_11target_archE942ELNS1_3gpuE9ELNS1_3repE0EEENS1_30default_config_static_selectorELNS0_4arch9wavefront6targetE0EEEvT1_ ; -- Begin function _ZN7rocprim17ROCPRIM_400000_NS6detail17trampoline_kernelINS0_14default_configENS1_25partition_config_selectorILNS1_17partition_subalgoE6ExNS0_10empty_typeEbEEZZNS1_14partition_implILS5_6ELb0ES3_mN6thrust23THRUST_200600_302600_NS6detail15normal_iteratorINSA_10device_ptrIxEEEEPS6_SG_NS0_5tupleIJSF_S6_EEENSH_IJSG_SG_EEES6_PlJNSB_9not_fun_tI7is_trueIxEEEEEE10hipError_tPvRmT3_T4_T5_T6_T7_T9_mT8_P12ihipStream_tbDpT10_ENKUlT_T0_E_clISt17integral_constantIbLb1EES17_IbLb0EEEEDaS13_S14_EUlS13_E_NS1_11comp_targetILNS1_3genE5ELNS1_11target_archE942ELNS1_3gpuE9ELNS1_3repE0EEENS1_30default_config_static_selectorELNS0_4arch9wavefront6targetE0EEEvT1_
	.globl	_ZN7rocprim17ROCPRIM_400000_NS6detail17trampoline_kernelINS0_14default_configENS1_25partition_config_selectorILNS1_17partition_subalgoE6ExNS0_10empty_typeEbEEZZNS1_14partition_implILS5_6ELb0ES3_mN6thrust23THRUST_200600_302600_NS6detail15normal_iteratorINSA_10device_ptrIxEEEEPS6_SG_NS0_5tupleIJSF_S6_EEENSH_IJSG_SG_EEES6_PlJNSB_9not_fun_tI7is_trueIxEEEEEE10hipError_tPvRmT3_T4_T5_T6_T7_T9_mT8_P12ihipStream_tbDpT10_ENKUlT_T0_E_clISt17integral_constantIbLb1EES17_IbLb0EEEEDaS13_S14_EUlS13_E_NS1_11comp_targetILNS1_3genE5ELNS1_11target_archE942ELNS1_3gpuE9ELNS1_3repE0EEENS1_30default_config_static_selectorELNS0_4arch9wavefront6targetE0EEEvT1_
	.p2align	8
	.type	_ZN7rocprim17ROCPRIM_400000_NS6detail17trampoline_kernelINS0_14default_configENS1_25partition_config_selectorILNS1_17partition_subalgoE6ExNS0_10empty_typeEbEEZZNS1_14partition_implILS5_6ELb0ES3_mN6thrust23THRUST_200600_302600_NS6detail15normal_iteratorINSA_10device_ptrIxEEEEPS6_SG_NS0_5tupleIJSF_S6_EEENSH_IJSG_SG_EEES6_PlJNSB_9not_fun_tI7is_trueIxEEEEEE10hipError_tPvRmT3_T4_T5_T6_T7_T9_mT8_P12ihipStream_tbDpT10_ENKUlT_T0_E_clISt17integral_constantIbLb1EES17_IbLb0EEEEDaS13_S14_EUlS13_E_NS1_11comp_targetILNS1_3genE5ELNS1_11target_archE942ELNS1_3gpuE9ELNS1_3repE0EEENS1_30default_config_static_selectorELNS0_4arch9wavefront6targetE0EEEvT1_,@function
_ZN7rocprim17ROCPRIM_400000_NS6detail17trampoline_kernelINS0_14default_configENS1_25partition_config_selectorILNS1_17partition_subalgoE6ExNS0_10empty_typeEbEEZZNS1_14partition_implILS5_6ELb0ES3_mN6thrust23THRUST_200600_302600_NS6detail15normal_iteratorINSA_10device_ptrIxEEEEPS6_SG_NS0_5tupleIJSF_S6_EEENSH_IJSG_SG_EEES6_PlJNSB_9not_fun_tI7is_trueIxEEEEEE10hipError_tPvRmT3_T4_T5_T6_T7_T9_mT8_P12ihipStream_tbDpT10_ENKUlT_T0_E_clISt17integral_constantIbLb1EES17_IbLb0EEEEDaS13_S14_EUlS13_E_NS1_11comp_targetILNS1_3genE5ELNS1_11target_archE942ELNS1_3gpuE9ELNS1_3repE0EEENS1_30default_config_static_selectorELNS0_4arch9wavefront6targetE0EEEvT1_: ; @_ZN7rocprim17ROCPRIM_400000_NS6detail17trampoline_kernelINS0_14default_configENS1_25partition_config_selectorILNS1_17partition_subalgoE6ExNS0_10empty_typeEbEEZZNS1_14partition_implILS5_6ELb0ES3_mN6thrust23THRUST_200600_302600_NS6detail15normal_iteratorINSA_10device_ptrIxEEEEPS6_SG_NS0_5tupleIJSF_S6_EEENSH_IJSG_SG_EEES6_PlJNSB_9not_fun_tI7is_trueIxEEEEEE10hipError_tPvRmT3_T4_T5_T6_T7_T9_mT8_P12ihipStream_tbDpT10_ENKUlT_T0_E_clISt17integral_constantIbLb1EES17_IbLb0EEEEDaS13_S14_EUlS13_E_NS1_11comp_targetILNS1_3genE5ELNS1_11target_archE942ELNS1_3gpuE9ELNS1_3repE0EEENS1_30default_config_static_selectorELNS0_4arch9wavefront6targetE0EEEvT1_
; %bb.0:
	.section	.rodata,"a",@progbits
	.p2align	6, 0x0
	.amdhsa_kernel _ZN7rocprim17ROCPRIM_400000_NS6detail17trampoline_kernelINS0_14default_configENS1_25partition_config_selectorILNS1_17partition_subalgoE6ExNS0_10empty_typeEbEEZZNS1_14partition_implILS5_6ELb0ES3_mN6thrust23THRUST_200600_302600_NS6detail15normal_iteratorINSA_10device_ptrIxEEEEPS6_SG_NS0_5tupleIJSF_S6_EEENSH_IJSG_SG_EEES6_PlJNSB_9not_fun_tI7is_trueIxEEEEEE10hipError_tPvRmT3_T4_T5_T6_T7_T9_mT8_P12ihipStream_tbDpT10_ENKUlT_T0_E_clISt17integral_constantIbLb1EES17_IbLb0EEEEDaS13_S14_EUlS13_E_NS1_11comp_targetILNS1_3genE5ELNS1_11target_archE942ELNS1_3gpuE9ELNS1_3repE0EEENS1_30default_config_static_selectorELNS0_4arch9wavefront6targetE0EEEvT1_
		.amdhsa_group_segment_fixed_size 0
		.amdhsa_private_segment_fixed_size 0
		.amdhsa_kernarg_size 112
		.amdhsa_user_sgpr_count 2
		.amdhsa_user_sgpr_dispatch_ptr 0
		.amdhsa_user_sgpr_queue_ptr 0
		.amdhsa_user_sgpr_kernarg_segment_ptr 1
		.amdhsa_user_sgpr_dispatch_id 0
		.amdhsa_user_sgpr_private_segment_size 0
		.amdhsa_wavefront_size32 1
		.amdhsa_uses_dynamic_stack 0
		.amdhsa_enable_private_segment 0
		.amdhsa_system_sgpr_workgroup_id_x 1
		.amdhsa_system_sgpr_workgroup_id_y 0
		.amdhsa_system_sgpr_workgroup_id_z 0
		.amdhsa_system_sgpr_workgroup_info 0
		.amdhsa_system_vgpr_workitem_id 0
		.amdhsa_next_free_vgpr 1
		.amdhsa_next_free_sgpr 1
		.amdhsa_reserve_vcc 0
		.amdhsa_float_round_mode_32 0
		.amdhsa_float_round_mode_16_64 0
		.amdhsa_float_denorm_mode_32 3
		.amdhsa_float_denorm_mode_16_64 3
		.amdhsa_fp16_overflow 0
		.amdhsa_workgroup_processor_mode 1
		.amdhsa_memory_ordered 1
		.amdhsa_forward_progress 1
		.amdhsa_inst_pref_size 0
		.amdhsa_round_robin_scheduling 0
		.amdhsa_exception_fp_ieee_invalid_op 0
		.amdhsa_exception_fp_denorm_src 0
		.amdhsa_exception_fp_ieee_div_zero 0
		.amdhsa_exception_fp_ieee_overflow 0
		.amdhsa_exception_fp_ieee_underflow 0
		.amdhsa_exception_fp_ieee_inexact 0
		.amdhsa_exception_int_div_zero 0
	.end_amdhsa_kernel
	.section	.text._ZN7rocprim17ROCPRIM_400000_NS6detail17trampoline_kernelINS0_14default_configENS1_25partition_config_selectorILNS1_17partition_subalgoE6ExNS0_10empty_typeEbEEZZNS1_14partition_implILS5_6ELb0ES3_mN6thrust23THRUST_200600_302600_NS6detail15normal_iteratorINSA_10device_ptrIxEEEEPS6_SG_NS0_5tupleIJSF_S6_EEENSH_IJSG_SG_EEES6_PlJNSB_9not_fun_tI7is_trueIxEEEEEE10hipError_tPvRmT3_T4_T5_T6_T7_T9_mT8_P12ihipStream_tbDpT10_ENKUlT_T0_E_clISt17integral_constantIbLb1EES17_IbLb0EEEEDaS13_S14_EUlS13_E_NS1_11comp_targetILNS1_3genE5ELNS1_11target_archE942ELNS1_3gpuE9ELNS1_3repE0EEENS1_30default_config_static_selectorELNS0_4arch9wavefront6targetE0EEEvT1_,"axG",@progbits,_ZN7rocprim17ROCPRIM_400000_NS6detail17trampoline_kernelINS0_14default_configENS1_25partition_config_selectorILNS1_17partition_subalgoE6ExNS0_10empty_typeEbEEZZNS1_14partition_implILS5_6ELb0ES3_mN6thrust23THRUST_200600_302600_NS6detail15normal_iteratorINSA_10device_ptrIxEEEEPS6_SG_NS0_5tupleIJSF_S6_EEENSH_IJSG_SG_EEES6_PlJNSB_9not_fun_tI7is_trueIxEEEEEE10hipError_tPvRmT3_T4_T5_T6_T7_T9_mT8_P12ihipStream_tbDpT10_ENKUlT_T0_E_clISt17integral_constantIbLb1EES17_IbLb0EEEEDaS13_S14_EUlS13_E_NS1_11comp_targetILNS1_3genE5ELNS1_11target_archE942ELNS1_3gpuE9ELNS1_3repE0EEENS1_30default_config_static_selectorELNS0_4arch9wavefront6targetE0EEEvT1_,comdat
.Lfunc_end1222:
	.size	_ZN7rocprim17ROCPRIM_400000_NS6detail17trampoline_kernelINS0_14default_configENS1_25partition_config_selectorILNS1_17partition_subalgoE6ExNS0_10empty_typeEbEEZZNS1_14partition_implILS5_6ELb0ES3_mN6thrust23THRUST_200600_302600_NS6detail15normal_iteratorINSA_10device_ptrIxEEEEPS6_SG_NS0_5tupleIJSF_S6_EEENSH_IJSG_SG_EEES6_PlJNSB_9not_fun_tI7is_trueIxEEEEEE10hipError_tPvRmT3_T4_T5_T6_T7_T9_mT8_P12ihipStream_tbDpT10_ENKUlT_T0_E_clISt17integral_constantIbLb1EES17_IbLb0EEEEDaS13_S14_EUlS13_E_NS1_11comp_targetILNS1_3genE5ELNS1_11target_archE942ELNS1_3gpuE9ELNS1_3repE0EEENS1_30default_config_static_selectorELNS0_4arch9wavefront6targetE0EEEvT1_, .Lfunc_end1222-_ZN7rocprim17ROCPRIM_400000_NS6detail17trampoline_kernelINS0_14default_configENS1_25partition_config_selectorILNS1_17partition_subalgoE6ExNS0_10empty_typeEbEEZZNS1_14partition_implILS5_6ELb0ES3_mN6thrust23THRUST_200600_302600_NS6detail15normal_iteratorINSA_10device_ptrIxEEEEPS6_SG_NS0_5tupleIJSF_S6_EEENSH_IJSG_SG_EEES6_PlJNSB_9not_fun_tI7is_trueIxEEEEEE10hipError_tPvRmT3_T4_T5_T6_T7_T9_mT8_P12ihipStream_tbDpT10_ENKUlT_T0_E_clISt17integral_constantIbLb1EES17_IbLb0EEEEDaS13_S14_EUlS13_E_NS1_11comp_targetILNS1_3genE5ELNS1_11target_archE942ELNS1_3gpuE9ELNS1_3repE0EEENS1_30default_config_static_selectorELNS0_4arch9wavefront6targetE0EEEvT1_
                                        ; -- End function
	.set _ZN7rocprim17ROCPRIM_400000_NS6detail17trampoline_kernelINS0_14default_configENS1_25partition_config_selectorILNS1_17partition_subalgoE6ExNS0_10empty_typeEbEEZZNS1_14partition_implILS5_6ELb0ES3_mN6thrust23THRUST_200600_302600_NS6detail15normal_iteratorINSA_10device_ptrIxEEEEPS6_SG_NS0_5tupleIJSF_S6_EEENSH_IJSG_SG_EEES6_PlJNSB_9not_fun_tI7is_trueIxEEEEEE10hipError_tPvRmT3_T4_T5_T6_T7_T9_mT8_P12ihipStream_tbDpT10_ENKUlT_T0_E_clISt17integral_constantIbLb1EES17_IbLb0EEEEDaS13_S14_EUlS13_E_NS1_11comp_targetILNS1_3genE5ELNS1_11target_archE942ELNS1_3gpuE9ELNS1_3repE0EEENS1_30default_config_static_selectorELNS0_4arch9wavefront6targetE0EEEvT1_.num_vgpr, 0
	.set _ZN7rocprim17ROCPRIM_400000_NS6detail17trampoline_kernelINS0_14default_configENS1_25partition_config_selectorILNS1_17partition_subalgoE6ExNS0_10empty_typeEbEEZZNS1_14partition_implILS5_6ELb0ES3_mN6thrust23THRUST_200600_302600_NS6detail15normal_iteratorINSA_10device_ptrIxEEEEPS6_SG_NS0_5tupleIJSF_S6_EEENSH_IJSG_SG_EEES6_PlJNSB_9not_fun_tI7is_trueIxEEEEEE10hipError_tPvRmT3_T4_T5_T6_T7_T9_mT8_P12ihipStream_tbDpT10_ENKUlT_T0_E_clISt17integral_constantIbLb1EES17_IbLb0EEEEDaS13_S14_EUlS13_E_NS1_11comp_targetILNS1_3genE5ELNS1_11target_archE942ELNS1_3gpuE9ELNS1_3repE0EEENS1_30default_config_static_selectorELNS0_4arch9wavefront6targetE0EEEvT1_.num_agpr, 0
	.set _ZN7rocprim17ROCPRIM_400000_NS6detail17trampoline_kernelINS0_14default_configENS1_25partition_config_selectorILNS1_17partition_subalgoE6ExNS0_10empty_typeEbEEZZNS1_14partition_implILS5_6ELb0ES3_mN6thrust23THRUST_200600_302600_NS6detail15normal_iteratorINSA_10device_ptrIxEEEEPS6_SG_NS0_5tupleIJSF_S6_EEENSH_IJSG_SG_EEES6_PlJNSB_9not_fun_tI7is_trueIxEEEEEE10hipError_tPvRmT3_T4_T5_T6_T7_T9_mT8_P12ihipStream_tbDpT10_ENKUlT_T0_E_clISt17integral_constantIbLb1EES17_IbLb0EEEEDaS13_S14_EUlS13_E_NS1_11comp_targetILNS1_3genE5ELNS1_11target_archE942ELNS1_3gpuE9ELNS1_3repE0EEENS1_30default_config_static_selectorELNS0_4arch9wavefront6targetE0EEEvT1_.numbered_sgpr, 0
	.set _ZN7rocprim17ROCPRIM_400000_NS6detail17trampoline_kernelINS0_14default_configENS1_25partition_config_selectorILNS1_17partition_subalgoE6ExNS0_10empty_typeEbEEZZNS1_14partition_implILS5_6ELb0ES3_mN6thrust23THRUST_200600_302600_NS6detail15normal_iteratorINSA_10device_ptrIxEEEEPS6_SG_NS0_5tupleIJSF_S6_EEENSH_IJSG_SG_EEES6_PlJNSB_9not_fun_tI7is_trueIxEEEEEE10hipError_tPvRmT3_T4_T5_T6_T7_T9_mT8_P12ihipStream_tbDpT10_ENKUlT_T0_E_clISt17integral_constantIbLb1EES17_IbLb0EEEEDaS13_S14_EUlS13_E_NS1_11comp_targetILNS1_3genE5ELNS1_11target_archE942ELNS1_3gpuE9ELNS1_3repE0EEENS1_30default_config_static_selectorELNS0_4arch9wavefront6targetE0EEEvT1_.num_named_barrier, 0
	.set _ZN7rocprim17ROCPRIM_400000_NS6detail17trampoline_kernelINS0_14default_configENS1_25partition_config_selectorILNS1_17partition_subalgoE6ExNS0_10empty_typeEbEEZZNS1_14partition_implILS5_6ELb0ES3_mN6thrust23THRUST_200600_302600_NS6detail15normal_iteratorINSA_10device_ptrIxEEEEPS6_SG_NS0_5tupleIJSF_S6_EEENSH_IJSG_SG_EEES6_PlJNSB_9not_fun_tI7is_trueIxEEEEEE10hipError_tPvRmT3_T4_T5_T6_T7_T9_mT8_P12ihipStream_tbDpT10_ENKUlT_T0_E_clISt17integral_constantIbLb1EES17_IbLb0EEEEDaS13_S14_EUlS13_E_NS1_11comp_targetILNS1_3genE5ELNS1_11target_archE942ELNS1_3gpuE9ELNS1_3repE0EEENS1_30default_config_static_selectorELNS0_4arch9wavefront6targetE0EEEvT1_.private_seg_size, 0
	.set _ZN7rocprim17ROCPRIM_400000_NS6detail17trampoline_kernelINS0_14default_configENS1_25partition_config_selectorILNS1_17partition_subalgoE6ExNS0_10empty_typeEbEEZZNS1_14partition_implILS5_6ELb0ES3_mN6thrust23THRUST_200600_302600_NS6detail15normal_iteratorINSA_10device_ptrIxEEEEPS6_SG_NS0_5tupleIJSF_S6_EEENSH_IJSG_SG_EEES6_PlJNSB_9not_fun_tI7is_trueIxEEEEEE10hipError_tPvRmT3_T4_T5_T6_T7_T9_mT8_P12ihipStream_tbDpT10_ENKUlT_T0_E_clISt17integral_constantIbLb1EES17_IbLb0EEEEDaS13_S14_EUlS13_E_NS1_11comp_targetILNS1_3genE5ELNS1_11target_archE942ELNS1_3gpuE9ELNS1_3repE0EEENS1_30default_config_static_selectorELNS0_4arch9wavefront6targetE0EEEvT1_.uses_vcc, 0
	.set _ZN7rocprim17ROCPRIM_400000_NS6detail17trampoline_kernelINS0_14default_configENS1_25partition_config_selectorILNS1_17partition_subalgoE6ExNS0_10empty_typeEbEEZZNS1_14partition_implILS5_6ELb0ES3_mN6thrust23THRUST_200600_302600_NS6detail15normal_iteratorINSA_10device_ptrIxEEEEPS6_SG_NS0_5tupleIJSF_S6_EEENSH_IJSG_SG_EEES6_PlJNSB_9not_fun_tI7is_trueIxEEEEEE10hipError_tPvRmT3_T4_T5_T6_T7_T9_mT8_P12ihipStream_tbDpT10_ENKUlT_T0_E_clISt17integral_constantIbLb1EES17_IbLb0EEEEDaS13_S14_EUlS13_E_NS1_11comp_targetILNS1_3genE5ELNS1_11target_archE942ELNS1_3gpuE9ELNS1_3repE0EEENS1_30default_config_static_selectorELNS0_4arch9wavefront6targetE0EEEvT1_.uses_flat_scratch, 0
	.set _ZN7rocprim17ROCPRIM_400000_NS6detail17trampoline_kernelINS0_14default_configENS1_25partition_config_selectorILNS1_17partition_subalgoE6ExNS0_10empty_typeEbEEZZNS1_14partition_implILS5_6ELb0ES3_mN6thrust23THRUST_200600_302600_NS6detail15normal_iteratorINSA_10device_ptrIxEEEEPS6_SG_NS0_5tupleIJSF_S6_EEENSH_IJSG_SG_EEES6_PlJNSB_9not_fun_tI7is_trueIxEEEEEE10hipError_tPvRmT3_T4_T5_T6_T7_T9_mT8_P12ihipStream_tbDpT10_ENKUlT_T0_E_clISt17integral_constantIbLb1EES17_IbLb0EEEEDaS13_S14_EUlS13_E_NS1_11comp_targetILNS1_3genE5ELNS1_11target_archE942ELNS1_3gpuE9ELNS1_3repE0EEENS1_30default_config_static_selectorELNS0_4arch9wavefront6targetE0EEEvT1_.has_dyn_sized_stack, 0
	.set _ZN7rocprim17ROCPRIM_400000_NS6detail17trampoline_kernelINS0_14default_configENS1_25partition_config_selectorILNS1_17partition_subalgoE6ExNS0_10empty_typeEbEEZZNS1_14partition_implILS5_6ELb0ES3_mN6thrust23THRUST_200600_302600_NS6detail15normal_iteratorINSA_10device_ptrIxEEEEPS6_SG_NS0_5tupleIJSF_S6_EEENSH_IJSG_SG_EEES6_PlJNSB_9not_fun_tI7is_trueIxEEEEEE10hipError_tPvRmT3_T4_T5_T6_T7_T9_mT8_P12ihipStream_tbDpT10_ENKUlT_T0_E_clISt17integral_constantIbLb1EES17_IbLb0EEEEDaS13_S14_EUlS13_E_NS1_11comp_targetILNS1_3genE5ELNS1_11target_archE942ELNS1_3gpuE9ELNS1_3repE0EEENS1_30default_config_static_selectorELNS0_4arch9wavefront6targetE0EEEvT1_.has_recursion, 0
	.set _ZN7rocprim17ROCPRIM_400000_NS6detail17trampoline_kernelINS0_14default_configENS1_25partition_config_selectorILNS1_17partition_subalgoE6ExNS0_10empty_typeEbEEZZNS1_14partition_implILS5_6ELb0ES3_mN6thrust23THRUST_200600_302600_NS6detail15normal_iteratorINSA_10device_ptrIxEEEEPS6_SG_NS0_5tupleIJSF_S6_EEENSH_IJSG_SG_EEES6_PlJNSB_9not_fun_tI7is_trueIxEEEEEE10hipError_tPvRmT3_T4_T5_T6_T7_T9_mT8_P12ihipStream_tbDpT10_ENKUlT_T0_E_clISt17integral_constantIbLb1EES17_IbLb0EEEEDaS13_S14_EUlS13_E_NS1_11comp_targetILNS1_3genE5ELNS1_11target_archE942ELNS1_3gpuE9ELNS1_3repE0EEENS1_30default_config_static_selectorELNS0_4arch9wavefront6targetE0EEEvT1_.has_indirect_call, 0
	.section	.AMDGPU.csdata,"",@progbits
; Kernel info:
; codeLenInByte = 0
; TotalNumSgprs: 0
; NumVgprs: 0
; ScratchSize: 0
; MemoryBound: 0
; FloatMode: 240
; IeeeMode: 1
; LDSByteSize: 0 bytes/workgroup (compile time only)
; SGPRBlocks: 0
; VGPRBlocks: 0
; NumSGPRsForWavesPerEU: 1
; NumVGPRsForWavesPerEU: 1
; Occupancy: 16
; WaveLimiterHint : 0
; COMPUTE_PGM_RSRC2:SCRATCH_EN: 0
; COMPUTE_PGM_RSRC2:USER_SGPR: 2
; COMPUTE_PGM_RSRC2:TRAP_HANDLER: 0
; COMPUTE_PGM_RSRC2:TGID_X_EN: 1
; COMPUTE_PGM_RSRC2:TGID_Y_EN: 0
; COMPUTE_PGM_RSRC2:TGID_Z_EN: 0
; COMPUTE_PGM_RSRC2:TIDIG_COMP_CNT: 0
	.section	.text._ZN7rocprim17ROCPRIM_400000_NS6detail17trampoline_kernelINS0_14default_configENS1_25partition_config_selectorILNS1_17partition_subalgoE6ExNS0_10empty_typeEbEEZZNS1_14partition_implILS5_6ELb0ES3_mN6thrust23THRUST_200600_302600_NS6detail15normal_iteratorINSA_10device_ptrIxEEEEPS6_SG_NS0_5tupleIJSF_S6_EEENSH_IJSG_SG_EEES6_PlJNSB_9not_fun_tI7is_trueIxEEEEEE10hipError_tPvRmT3_T4_T5_T6_T7_T9_mT8_P12ihipStream_tbDpT10_ENKUlT_T0_E_clISt17integral_constantIbLb1EES17_IbLb0EEEEDaS13_S14_EUlS13_E_NS1_11comp_targetILNS1_3genE4ELNS1_11target_archE910ELNS1_3gpuE8ELNS1_3repE0EEENS1_30default_config_static_selectorELNS0_4arch9wavefront6targetE0EEEvT1_,"axG",@progbits,_ZN7rocprim17ROCPRIM_400000_NS6detail17trampoline_kernelINS0_14default_configENS1_25partition_config_selectorILNS1_17partition_subalgoE6ExNS0_10empty_typeEbEEZZNS1_14partition_implILS5_6ELb0ES3_mN6thrust23THRUST_200600_302600_NS6detail15normal_iteratorINSA_10device_ptrIxEEEEPS6_SG_NS0_5tupleIJSF_S6_EEENSH_IJSG_SG_EEES6_PlJNSB_9not_fun_tI7is_trueIxEEEEEE10hipError_tPvRmT3_T4_T5_T6_T7_T9_mT8_P12ihipStream_tbDpT10_ENKUlT_T0_E_clISt17integral_constantIbLb1EES17_IbLb0EEEEDaS13_S14_EUlS13_E_NS1_11comp_targetILNS1_3genE4ELNS1_11target_archE910ELNS1_3gpuE8ELNS1_3repE0EEENS1_30default_config_static_selectorELNS0_4arch9wavefront6targetE0EEEvT1_,comdat
	.protected	_ZN7rocprim17ROCPRIM_400000_NS6detail17trampoline_kernelINS0_14default_configENS1_25partition_config_selectorILNS1_17partition_subalgoE6ExNS0_10empty_typeEbEEZZNS1_14partition_implILS5_6ELb0ES3_mN6thrust23THRUST_200600_302600_NS6detail15normal_iteratorINSA_10device_ptrIxEEEEPS6_SG_NS0_5tupleIJSF_S6_EEENSH_IJSG_SG_EEES6_PlJNSB_9not_fun_tI7is_trueIxEEEEEE10hipError_tPvRmT3_T4_T5_T6_T7_T9_mT8_P12ihipStream_tbDpT10_ENKUlT_T0_E_clISt17integral_constantIbLb1EES17_IbLb0EEEEDaS13_S14_EUlS13_E_NS1_11comp_targetILNS1_3genE4ELNS1_11target_archE910ELNS1_3gpuE8ELNS1_3repE0EEENS1_30default_config_static_selectorELNS0_4arch9wavefront6targetE0EEEvT1_ ; -- Begin function _ZN7rocprim17ROCPRIM_400000_NS6detail17trampoline_kernelINS0_14default_configENS1_25partition_config_selectorILNS1_17partition_subalgoE6ExNS0_10empty_typeEbEEZZNS1_14partition_implILS5_6ELb0ES3_mN6thrust23THRUST_200600_302600_NS6detail15normal_iteratorINSA_10device_ptrIxEEEEPS6_SG_NS0_5tupleIJSF_S6_EEENSH_IJSG_SG_EEES6_PlJNSB_9not_fun_tI7is_trueIxEEEEEE10hipError_tPvRmT3_T4_T5_T6_T7_T9_mT8_P12ihipStream_tbDpT10_ENKUlT_T0_E_clISt17integral_constantIbLb1EES17_IbLb0EEEEDaS13_S14_EUlS13_E_NS1_11comp_targetILNS1_3genE4ELNS1_11target_archE910ELNS1_3gpuE8ELNS1_3repE0EEENS1_30default_config_static_selectorELNS0_4arch9wavefront6targetE0EEEvT1_
	.globl	_ZN7rocprim17ROCPRIM_400000_NS6detail17trampoline_kernelINS0_14default_configENS1_25partition_config_selectorILNS1_17partition_subalgoE6ExNS0_10empty_typeEbEEZZNS1_14partition_implILS5_6ELb0ES3_mN6thrust23THRUST_200600_302600_NS6detail15normal_iteratorINSA_10device_ptrIxEEEEPS6_SG_NS0_5tupleIJSF_S6_EEENSH_IJSG_SG_EEES6_PlJNSB_9not_fun_tI7is_trueIxEEEEEE10hipError_tPvRmT3_T4_T5_T6_T7_T9_mT8_P12ihipStream_tbDpT10_ENKUlT_T0_E_clISt17integral_constantIbLb1EES17_IbLb0EEEEDaS13_S14_EUlS13_E_NS1_11comp_targetILNS1_3genE4ELNS1_11target_archE910ELNS1_3gpuE8ELNS1_3repE0EEENS1_30default_config_static_selectorELNS0_4arch9wavefront6targetE0EEEvT1_
	.p2align	8
	.type	_ZN7rocprim17ROCPRIM_400000_NS6detail17trampoline_kernelINS0_14default_configENS1_25partition_config_selectorILNS1_17partition_subalgoE6ExNS0_10empty_typeEbEEZZNS1_14partition_implILS5_6ELb0ES3_mN6thrust23THRUST_200600_302600_NS6detail15normal_iteratorINSA_10device_ptrIxEEEEPS6_SG_NS0_5tupleIJSF_S6_EEENSH_IJSG_SG_EEES6_PlJNSB_9not_fun_tI7is_trueIxEEEEEE10hipError_tPvRmT3_T4_T5_T6_T7_T9_mT8_P12ihipStream_tbDpT10_ENKUlT_T0_E_clISt17integral_constantIbLb1EES17_IbLb0EEEEDaS13_S14_EUlS13_E_NS1_11comp_targetILNS1_3genE4ELNS1_11target_archE910ELNS1_3gpuE8ELNS1_3repE0EEENS1_30default_config_static_selectorELNS0_4arch9wavefront6targetE0EEEvT1_,@function
_ZN7rocprim17ROCPRIM_400000_NS6detail17trampoline_kernelINS0_14default_configENS1_25partition_config_selectorILNS1_17partition_subalgoE6ExNS0_10empty_typeEbEEZZNS1_14partition_implILS5_6ELb0ES3_mN6thrust23THRUST_200600_302600_NS6detail15normal_iteratorINSA_10device_ptrIxEEEEPS6_SG_NS0_5tupleIJSF_S6_EEENSH_IJSG_SG_EEES6_PlJNSB_9not_fun_tI7is_trueIxEEEEEE10hipError_tPvRmT3_T4_T5_T6_T7_T9_mT8_P12ihipStream_tbDpT10_ENKUlT_T0_E_clISt17integral_constantIbLb1EES17_IbLb0EEEEDaS13_S14_EUlS13_E_NS1_11comp_targetILNS1_3genE4ELNS1_11target_archE910ELNS1_3gpuE8ELNS1_3repE0EEENS1_30default_config_static_selectorELNS0_4arch9wavefront6targetE0EEEvT1_: ; @_ZN7rocprim17ROCPRIM_400000_NS6detail17trampoline_kernelINS0_14default_configENS1_25partition_config_selectorILNS1_17partition_subalgoE6ExNS0_10empty_typeEbEEZZNS1_14partition_implILS5_6ELb0ES3_mN6thrust23THRUST_200600_302600_NS6detail15normal_iteratorINSA_10device_ptrIxEEEEPS6_SG_NS0_5tupleIJSF_S6_EEENSH_IJSG_SG_EEES6_PlJNSB_9not_fun_tI7is_trueIxEEEEEE10hipError_tPvRmT3_T4_T5_T6_T7_T9_mT8_P12ihipStream_tbDpT10_ENKUlT_T0_E_clISt17integral_constantIbLb1EES17_IbLb0EEEEDaS13_S14_EUlS13_E_NS1_11comp_targetILNS1_3genE4ELNS1_11target_archE910ELNS1_3gpuE8ELNS1_3repE0EEENS1_30default_config_static_selectorELNS0_4arch9wavefront6targetE0EEEvT1_
; %bb.0:
	.section	.rodata,"a",@progbits
	.p2align	6, 0x0
	.amdhsa_kernel _ZN7rocprim17ROCPRIM_400000_NS6detail17trampoline_kernelINS0_14default_configENS1_25partition_config_selectorILNS1_17partition_subalgoE6ExNS0_10empty_typeEbEEZZNS1_14partition_implILS5_6ELb0ES3_mN6thrust23THRUST_200600_302600_NS6detail15normal_iteratorINSA_10device_ptrIxEEEEPS6_SG_NS0_5tupleIJSF_S6_EEENSH_IJSG_SG_EEES6_PlJNSB_9not_fun_tI7is_trueIxEEEEEE10hipError_tPvRmT3_T4_T5_T6_T7_T9_mT8_P12ihipStream_tbDpT10_ENKUlT_T0_E_clISt17integral_constantIbLb1EES17_IbLb0EEEEDaS13_S14_EUlS13_E_NS1_11comp_targetILNS1_3genE4ELNS1_11target_archE910ELNS1_3gpuE8ELNS1_3repE0EEENS1_30default_config_static_selectorELNS0_4arch9wavefront6targetE0EEEvT1_
		.amdhsa_group_segment_fixed_size 0
		.amdhsa_private_segment_fixed_size 0
		.amdhsa_kernarg_size 112
		.amdhsa_user_sgpr_count 2
		.amdhsa_user_sgpr_dispatch_ptr 0
		.amdhsa_user_sgpr_queue_ptr 0
		.amdhsa_user_sgpr_kernarg_segment_ptr 1
		.amdhsa_user_sgpr_dispatch_id 0
		.amdhsa_user_sgpr_private_segment_size 0
		.amdhsa_wavefront_size32 1
		.amdhsa_uses_dynamic_stack 0
		.amdhsa_enable_private_segment 0
		.amdhsa_system_sgpr_workgroup_id_x 1
		.amdhsa_system_sgpr_workgroup_id_y 0
		.amdhsa_system_sgpr_workgroup_id_z 0
		.amdhsa_system_sgpr_workgroup_info 0
		.amdhsa_system_vgpr_workitem_id 0
		.amdhsa_next_free_vgpr 1
		.amdhsa_next_free_sgpr 1
		.amdhsa_reserve_vcc 0
		.amdhsa_float_round_mode_32 0
		.amdhsa_float_round_mode_16_64 0
		.amdhsa_float_denorm_mode_32 3
		.amdhsa_float_denorm_mode_16_64 3
		.amdhsa_fp16_overflow 0
		.amdhsa_workgroup_processor_mode 1
		.amdhsa_memory_ordered 1
		.amdhsa_forward_progress 1
		.amdhsa_inst_pref_size 0
		.amdhsa_round_robin_scheduling 0
		.amdhsa_exception_fp_ieee_invalid_op 0
		.amdhsa_exception_fp_denorm_src 0
		.amdhsa_exception_fp_ieee_div_zero 0
		.amdhsa_exception_fp_ieee_overflow 0
		.amdhsa_exception_fp_ieee_underflow 0
		.amdhsa_exception_fp_ieee_inexact 0
		.amdhsa_exception_int_div_zero 0
	.end_amdhsa_kernel
	.section	.text._ZN7rocprim17ROCPRIM_400000_NS6detail17trampoline_kernelINS0_14default_configENS1_25partition_config_selectorILNS1_17partition_subalgoE6ExNS0_10empty_typeEbEEZZNS1_14partition_implILS5_6ELb0ES3_mN6thrust23THRUST_200600_302600_NS6detail15normal_iteratorINSA_10device_ptrIxEEEEPS6_SG_NS0_5tupleIJSF_S6_EEENSH_IJSG_SG_EEES6_PlJNSB_9not_fun_tI7is_trueIxEEEEEE10hipError_tPvRmT3_T4_T5_T6_T7_T9_mT8_P12ihipStream_tbDpT10_ENKUlT_T0_E_clISt17integral_constantIbLb1EES17_IbLb0EEEEDaS13_S14_EUlS13_E_NS1_11comp_targetILNS1_3genE4ELNS1_11target_archE910ELNS1_3gpuE8ELNS1_3repE0EEENS1_30default_config_static_selectorELNS0_4arch9wavefront6targetE0EEEvT1_,"axG",@progbits,_ZN7rocprim17ROCPRIM_400000_NS6detail17trampoline_kernelINS0_14default_configENS1_25partition_config_selectorILNS1_17partition_subalgoE6ExNS0_10empty_typeEbEEZZNS1_14partition_implILS5_6ELb0ES3_mN6thrust23THRUST_200600_302600_NS6detail15normal_iteratorINSA_10device_ptrIxEEEEPS6_SG_NS0_5tupleIJSF_S6_EEENSH_IJSG_SG_EEES6_PlJNSB_9not_fun_tI7is_trueIxEEEEEE10hipError_tPvRmT3_T4_T5_T6_T7_T9_mT8_P12ihipStream_tbDpT10_ENKUlT_T0_E_clISt17integral_constantIbLb1EES17_IbLb0EEEEDaS13_S14_EUlS13_E_NS1_11comp_targetILNS1_3genE4ELNS1_11target_archE910ELNS1_3gpuE8ELNS1_3repE0EEENS1_30default_config_static_selectorELNS0_4arch9wavefront6targetE0EEEvT1_,comdat
.Lfunc_end1223:
	.size	_ZN7rocprim17ROCPRIM_400000_NS6detail17trampoline_kernelINS0_14default_configENS1_25partition_config_selectorILNS1_17partition_subalgoE6ExNS0_10empty_typeEbEEZZNS1_14partition_implILS5_6ELb0ES3_mN6thrust23THRUST_200600_302600_NS6detail15normal_iteratorINSA_10device_ptrIxEEEEPS6_SG_NS0_5tupleIJSF_S6_EEENSH_IJSG_SG_EEES6_PlJNSB_9not_fun_tI7is_trueIxEEEEEE10hipError_tPvRmT3_T4_T5_T6_T7_T9_mT8_P12ihipStream_tbDpT10_ENKUlT_T0_E_clISt17integral_constantIbLb1EES17_IbLb0EEEEDaS13_S14_EUlS13_E_NS1_11comp_targetILNS1_3genE4ELNS1_11target_archE910ELNS1_3gpuE8ELNS1_3repE0EEENS1_30default_config_static_selectorELNS0_4arch9wavefront6targetE0EEEvT1_, .Lfunc_end1223-_ZN7rocprim17ROCPRIM_400000_NS6detail17trampoline_kernelINS0_14default_configENS1_25partition_config_selectorILNS1_17partition_subalgoE6ExNS0_10empty_typeEbEEZZNS1_14partition_implILS5_6ELb0ES3_mN6thrust23THRUST_200600_302600_NS6detail15normal_iteratorINSA_10device_ptrIxEEEEPS6_SG_NS0_5tupleIJSF_S6_EEENSH_IJSG_SG_EEES6_PlJNSB_9not_fun_tI7is_trueIxEEEEEE10hipError_tPvRmT3_T4_T5_T6_T7_T9_mT8_P12ihipStream_tbDpT10_ENKUlT_T0_E_clISt17integral_constantIbLb1EES17_IbLb0EEEEDaS13_S14_EUlS13_E_NS1_11comp_targetILNS1_3genE4ELNS1_11target_archE910ELNS1_3gpuE8ELNS1_3repE0EEENS1_30default_config_static_selectorELNS0_4arch9wavefront6targetE0EEEvT1_
                                        ; -- End function
	.set _ZN7rocprim17ROCPRIM_400000_NS6detail17trampoline_kernelINS0_14default_configENS1_25partition_config_selectorILNS1_17partition_subalgoE6ExNS0_10empty_typeEbEEZZNS1_14partition_implILS5_6ELb0ES3_mN6thrust23THRUST_200600_302600_NS6detail15normal_iteratorINSA_10device_ptrIxEEEEPS6_SG_NS0_5tupleIJSF_S6_EEENSH_IJSG_SG_EEES6_PlJNSB_9not_fun_tI7is_trueIxEEEEEE10hipError_tPvRmT3_T4_T5_T6_T7_T9_mT8_P12ihipStream_tbDpT10_ENKUlT_T0_E_clISt17integral_constantIbLb1EES17_IbLb0EEEEDaS13_S14_EUlS13_E_NS1_11comp_targetILNS1_3genE4ELNS1_11target_archE910ELNS1_3gpuE8ELNS1_3repE0EEENS1_30default_config_static_selectorELNS0_4arch9wavefront6targetE0EEEvT1_.num_vgpr, 0
	.set _ZN7rocprim17ROCPRIM_400000_NS6detail17trampoline_kernelINS0_14default_configENS1_25partition_config_selectorILNS1_17partition_subalgoE6ExNS0_10empty_typeEbEEZZNS1_14partition_implILS5_6ELb0ES3_mN6thrust23THRUST_200600_302600_NS6detail15normal_iteratorINSA_10device_ptrIxEEEEPS6_SG_NS0_5tupleIJSF_S6_EEENSH_IJSG_SG_EEES6_PlJNSB_9not_fun_tI7is_trueIxEEEEEE10hipError_tPvRmT3_T4_T5_T6_T7_T9_mT8_P12ihipStream_tbDpT10_ENKUlT_T0_E_clISt17integral_constantIbLb1EES17_IbLb0EEEEDaS13_S14_EUlS13_E_NS1_11comp_targetILNS1_3genE4ELNS1_11target_archE910ELNS1_3gpuE8ELNS1_3repE0EEENS1_30default_config_static_selectorELNS0_4arch9wavefront6targetE0EEEvT1_.num_agpr, 0
	.set _ZN7rocprim17ROCPRIM_400000_NS6detail17trampoline_kernelINS0_14default_configENS1_25partition_config_selectorILNS1_17partition_subalgoE6ExNS0_10empty_typeEbEEZZNS1_14partition_implILS5_6ELb0ES3_mN6thrust23THRUST_200600_302600_NS6detail15normal_iteratorINSA_10device_ptrIxEEEEPS6_SG_NS0_5tupleIJSF_S6_EEENSH_IJSG_SG_EEES6_PlJNSB_9not_fun_tI7is_trueIxEEEEEE10hipError_tPvRmT3_T4_T5_T6_T7_T9_mT8_P12ihipStream_tbDpT10_ENKUlT_T0_E_clISt17integral_constantIbLb1EES17_IbLb0EEEEDaS13_S14_EUlS13_E_NS1_11comp_targetILNS1_3genE4ELNS1_11target_archE910ELNS1_3gpuE8ELNS1_3repE0EEENS1_30default_config_static_selectorELNS0_4arch9wavefront6targetE0EEEvT1_.numbered_sgpr, 0
	.set _ZN7rocprim17ROCPRIM_400000_NS6detail17trampoline_kernelINS0_14default_configENS1_25partition_config_selectorILNS1_17partition_subalgoE6ExNS0_10empty_typeEbEEZZNS1_14partition_implILS5_6ELb0ES3_mN6thrust23THRUST_200600_302600_NS6detail15normal_iteratorINSA_10device_ptrIxEEEEPS6_SG_NS0_5tupleIJSF_S6_EEENSH_IJSG_SG_EEES6_PlJNSB_9not_fun_tI7is_trueIxEEEEEE10hipError_tPvRmT3_T4_T5_T6_T7_T9_mT8_P12ihipStream_tbDpT10_ENKUlT_T0_E_clISt17integral_constantIbLb1EES17_IbLb0EEEEDaS13_S14_EUlS13_E_NS1_11comp_targetILNS1_3genE4ELNS1_11target_archE910ELNS1_3gpuE8ELNS1_3repE0EEENS1_30default_config_static_selectorELNS0_4arch9wavefront6targetE0EEEvT1_.num_named_barrier, 0
	.set _ZN7rocprim17ROCPRIM_400000_NS6detail17trampoline_kernelINS0_14default_configENS1_25partition_config_selectorILNS1_17partition_subalgoE6ExNS0_10empty_typeEbEEZZNS1_14partition_implILS5_6ELb0ES3_mN6thrust23THRUST_200600_302600_NS6detail15normal_iteratorINSA_10device_ptrIxEEEEPS6_SG_NS0_5tupleIJSF_S6_EEENSH_IJSG_SG_EEES6_PlJNSB_9not_fun_tI7is_trueIxEEEEEE10hipError_tPvRmT3_T4_T5_T6_T7_T9_mT8_P12ihipStream_tbDpT10_ENKUlT_T0_E_clISt17integral_constantIbLb1EES17_IbLb0EEEEDaS13_S14_EUlS13_E_NS1_11comp_targetILNS1_3genE4ELNS1_11target_archE910ELNS1_3gpuE8ELNS1_3repE0EEENS1_30default_config_static_selectorELNS0_4arch9wavefront6targetE0EEEvT1_.private_seg_size, 0
	.set _ZN7rocprim17ROCPRIM_400000_NS6detail17trampoline_kernelINS0_14default_configENS1_25partition_config_selectorILNS1_17partition_subalgoE6ExNS0_10empty_typeEbEEZZNS1_14partition_implILS5_6ELb0ES3_mN6thrust23THRUST_200600_302600_NS6detail15normal_iteratorINSA_10device_ptrIxEEEEPS6_SG_NS0_5tupleIJSF_S6_EEENSH_IJSG_SG_EEES6_PlJNSB_9not_fun_tI7is_trueIxEEEEEE10hipError_tPvRmT3_T4_T5_T6_T7_T9_mT8_P12ihipStream_tbDpT10_ENKUlT_T0_E_clISt17integral_constantIbLb1EES17_IbLb0EEEEDaS13_S14_EUlS13_E_NS1_11comp_targetILNS1_3genE4ELNS1_11target_archE910ELNS1_3gpuE8ELNS1_3repE0EEENS1_30default_config_static_selectorELNS0_4arch9wavefront6targetE0EEEvT1_.uses_vcc, 0
	.set _ZN7rocprim17ROCPRIM_400000_NS6detail17trampoline_kernelINS0_14default_configENS1_25partition_config_selectorILNS1_17partition_subalgoE6ExNS0_10empty_typeEbEEZZNS1_14partition_implILS5_6ELb0ES3_mN6thrust23THRUST_200600_302600_NS6detail15normal_iteratorINSA_10device_ptrIxEEEEPS6_SG_NS0_5tupleIJSF_S6_EEENSH_IJSG_SG_EEES6_PlJNSB_9not_fun_tI7is_trueIxEEEEEE10hipError_tPvRmT3_T4_T5_T6_T7_T9_mT8_P12ihipStream_tbDpT10_ENKUlT_T0_E_clISt17integral_constantIbLb1EES17_IbLb0EEEEDaS13_S14_EUlS13_E_NS1_11comp_targetILNS1_3genE4ELNS1_11target_archE910ELNS1_3gpuE8ELNS1_3repE0EEENS1_30default_config_static_selectorELNS0_4arch9wavefront6targetE0EEEvT1_.uses_flat_scratch, 0
	.set _ZN7rocprim17ROCPRIM_400000_NS6detail17trampoline_kernelINS0_14default_configENS1_25partition_config_selectorILNS1_17partition_subalgoE6ExNS0_10empty_typeEbEEZZNS1_14partition_implILS5_6ELb0ES3_mN6thrust23THRUST_200600_302600_NS6detail15normal_iteratorINSA_10device_ptrIxEEEEPS6_SG_NS0_5tupleIJSF_S6_EEENSH_IJSG_SG_EEES6_PlJNSB_9not_fun_tI7is_trueIxEEEEEE10hipError_tPvRmT3_T4_T5_T6_T7_T9_mT8_P12ihipStream_tbDpT10_ENKUlT_T0_E_clISt17integral_constantIbLb1EES17_IbLb0EEEEDaS13_S14_EUlS13_E_NS1_11comp_targetILNS1_3genE4ELNS1_11target_archE910ELNS1_3gpuE8ELNS1_3repE0EEENS1_30default_config_static_selectorELNS0_4arch9wavefront6targetE0EEEvT1_.has_dyn_sized_stack, 0
	.set _ZN7rocprim17ROCPRIM_400000_NS6detail17trampoline_kernelINS0_14default_configENS1_25partition_config_selectorILNS1_17partition_subalgoE6ExNS0_10empty_typeEbEEZZNS1_14partition_implILS5_6ELb0ES3_mN6thrust23THRUST_200600_302600_NS6detail15normal_iteratorINSA_10device_ptrIxEEEEPS6_SG_NS0_5tupleIJSF_S6_EEENSH_IJSG_SG_EEES6_PlJNSB_9not_fun_tI7is_trueIxEEEEEE10hipError_tPvRmT3_T4_T5_T6_T7_T9_mT8_P12ihipStream_tbDpT10_ENKUlT_T0_E_clISt17integral_constantIbLb1EES17_IbLb0EEEEDaS13_S14_EUlS13_E_NS1_11comp_targetILNS1_3genE4ELNS1_11target_archE910ELNS1_3gpuE8ELNS1_3repE0EEENS1_30default_config_static_selectorELNS0_4arch9wavefront6targetE0EEEvT1_.has_recursion, 0
	.set _ZN7rocprim17ROCPRIM_400000_NS6detail17trampoline_kernelINS0_14default_configENS1_25partition_config_selectorILNS1_17partition_subalgoE6ExNS0_10empty_typeEbEEZZNS1_14partition_implILS5_6ELb0ES3_mN6thrust23THRUST_200600_302600_NS6detail15normal_iteratorINSA_10device_ptrIxEEEEPS6_SG_NS0_5tupleIJSF_S6_EEENSH_IJSG_SG_EEES6_PlJNSB_9not_fun_tI7is_trueIxEEEEEE10hipError_tPvRmT3_T4_T5_T6_T7_T9_mT8_P12ihipStream_tbDpT10_ENKUlT_T0_E_clISt17integral_constantIbLb1EES17_IbLb0EEEEDaS13_S14_EUlS13_E_NS1_11comp_targetILNS1_3genE4ELNS1_11target_archE910ELNS1_3gpuE8ELNS1_3repE0EEENS1_30default_config_static_selectorELNS0_4arch9wavefront6targetE0EEEvT1_.has_indirect_call, 0
	.section	.AMDGPU.csdata,"",@progbits
; Kernel info:
; codeLenInByte = 0
; TotalNumSgprs: 0
; NumVgprs: 0
; ScratchSize: 0
; MemoryBound: 0
; FloatMode: 240
; IeeeMode: 1
; LDSByteSize: 0 bytes/workgroup (compile time only)
; SGPRBlocks: 0
; VGPRBlocks: 0
; NumSGPRsForWavesPerEU: 1
; NumVGPRsForWavesPerEU: 1
; Occupancy: 16
; WaveLimiterHint : 0
; COMPUTE_PGM_RSRC2:SCRATCH_EN: 0
; COMPUTE_PGM_RSRC2:USER_SGPR: 2
; COMPUTE_PGM_RSRC2:TRAP_HANDLER: 0
; COMPUTE_PGM_RSRC2:TGID_X_EN: 1
; COMPUTE_PGM_RSRC2:TGID_Y_EN: 0
; COMPUTE_PGM_RSRC2:TGID_Z_EN: 0
; COMPUTE_PGM_RSRC2:TIDIG_COMP_CNT: 0
	.section	.text._ZN7rocprim17ROCPRIM_400000_NS6detail17trampoline_kernelINS0_14default_configENS1_25partition_config_selectorILNS1_17partition_subalgoE6ExNS0_10empty_typeEbEEZZNS1_14partition_implILS5_6ELb0ES3_mN6thrust23THRUST_200600_302600_NS6detail15normal_iteratorINSA_10device_ptrIxEEEEPS6_SG_NS0_5tupleIJSF_S6_EEENSH_IJSG_SG_EEES6_PlJNSB_9not_fun_tI7is_trueIxEEEEEE10hipError_tPvRmT3_T4_T5_T6_T7_T9_mT8_P12ihipStream_tbDpT10_ENKUlT_T0_E_clISt17integral_constantIbLb1EES17_IbLb0EEEEDaS13_S14_EUlS13_E_NS1_11comp_targetILNS1_3genE3ELNS1_11target_archE908ELNS1_3gpuE7ELNS1_3repE0EEENS1_30default_config_static_selectorELNS0_4arch9wavefront6targetE0EEEvT1_,"axG",@progbits,_ZN7rocprim17ROCPRIM_400000_NS6detail17trampoline_kernelINS0_14default_configENS1_25partition_config_selectorILNS1_17partition_subalgoE6ExNS0_10empty_typeEbEEZZNS1_14partition_implILS5_6ELb0ES3_mN6thrust23THRUST_200600_302600_NS6detail15normal_iteratorINSA_10device_ptrIxEEEEPS6_SG_NS0_5tupleIJSF_S6_EEENSH_IJSG_SG_EEES6_PlJNSB_9not_fun_tI7is_trueIxEEEEEE10hipError_tPvRmT3_T4_T5_T6_T7_T9_mT8_P12ihipStream_tbDpT10_ENKUlT_T0_E_clISt17integral_constantIbLb1EES17_IbLb0EEEEDaS13_S14_EUlS13_E_NS1_11comp_targetILNS1_3genE3ELNS1_11target_archE908ELNS1_3gpuE7ELNS1_3repE0EEENS1_30default_config_static_selectorELNS0_4arch9wavefront6targetE0EEEvT1_,comdat
	.protected	_ZN7rocprim17ROCPRIM_400000_NS6detail17trampoline_kernelINS0_14default_configENS1_25partition_config_selectorILNS1_17partition_subalgoE6ExNS0_10empty_typeEbEEZZNS1_14partition_implILS5_6ELb0ES3_mN6thrust23THRUST_200600_302600_NS6detail15normal_iteratorINSA_10device_ptrIxEEEEPS6_SG_NS0_5tupleIJSF_S6_EEENSH_IJSG_SG_EEES6_PlJNSB_9not_fun_tI7is_trueIxEEEEEE10hipError_tPvRmT3_T4_T5_T6_T7_T9_mT8_P12ihipStream_tbDpT10_ENKUlT_T0_E_clISt17integral_constantIbLb1EES17_IbLb0EEEEDaS13_S14_EUlS13_E_NS1_11comp_targetILNS1_3genE3ELNS1_11target_archE908ELNS1_3gpuE7ELNS1_3repE0EEENS1_30default_config_static_selectorELNS0_4arch9wavefront6targetE0EEEvT1_ ; -- Begin function _ZN7rocprim17ROCPRIM_400000_NS6detail17trampoline_kernelINS0_14default_configENS1_25partition_config_selectorILNS1_17partition_subalgoE6ExNS0_10empty_typeEbEEZZNS1_14partition_implILS5_6ELb0ES3_mN6thrust23THRUST_200600_302600_NS6detail15normal_iteratorINSA_10device_ptrIxEEEEPS6_SG_NS0_5tupleIJSF_S6_EEENSH_IJSG_SG_EEES6_PlJNSB_9not_fun_tI7is_trueIxEEEEEE10hipError_tPvRmT3_T4_T5_T6_T7_T9_mT8_P12ihipStream_tbDpT10_ENKUlT_T0_E_clISt17integral_constantIbLb1EES17_IbLb0EEEEDaS13_S14_EUlS13_E_NS1_11comp_targetILNS1_3genE3ELNS1_11target_archE908ELNS1_3gpuE7ELNS1_3repE0EEENS1_30default_config_static_selectorELNS0_4arch9wavefront6targetE0EEEvT1_
	.globl	_ZN7rocprim17ROCPRIM_400000_NS6detail17trampoline_kernelINS0_14default_configENS1_25partition_config_selectorILNS1_17partition_subalgoE6ExNS0_10empty_typeEbEEZZNS1_14partition_implILS5_6ELb0ES3_mN6thrust23THRUST_200600_302600_NS6detail15normal_iteratorINSA_10device_ptrIxEEEEPS6_SG_NS0_5tupleIJSF_S6_EEENSH_IJSG_SG_EEES6_PlJNSB_9not_fun_tI7is_trueIxEEEEEE10hipError_tPvRmT3_T4_T5_T6_T7_T9_mT8_P12ihipStream_tbDpT10_ENKUlT_T0_E_clISt17integral_constantIbLb1EES17_IbLb0EEEEDaS13_S14_EUlS13_E_NS1_11comp_targetILNS1_3genE3ELNS1_11target_archE908ELNS1_3gpuE7ELNS1_3repE0EEENS1_30default_config_static_selectorELNS0_4arch9wavefront6targetE0EEEvT1_
	.p2align	8
	.type	_ZN7rocprim17ROCPRIM_400000_NS6detail17trampoline_kernelINS0_14default_configENS1_25partition_config_selectorILNS1_17partition_subalgoE6ExNS0_10empty_typeEbEEZZNS1_14partition_implILS5_6ELb0ES3_mN6thrust23THRUST_200600_302600_NS6detail15normal_iteratorINSA_10device_ptrIxEEEEPS6_SG_NS0_5tupleIJSF_S6_EEENSH_IJSG_SG_EEES6_PlJNSB_9not_fun_tI7is_trueIxEEEEEE10hipError_tPvRmT3_T4_T5_T6_T7_T9_mT8_P12ihipStream_tbDpT10_ENKUlT_T0_E_clISt17integral_constantIbLb1EES17_IbLb0EEEEDaS13_S14_EUlS13_E_NS1_11comp_targetILNS1_3genE3ELNS1_11target_archE908ELNS1_3gpuE7ELNS1_3repE0EEENS1_30default_config_static_selectorELNS0_4arch9wavefront6targetE0EEEvT1_,@function
_ZN7rocprim17ROCPRIM_400000_NS6detail17trampoline_kernelINS0_14default_configENS1_25partition_config_selectorILNS1_17partition_subalgoE6ExNS0_10empty_typeEbEEZZNS1_14partition_implILS5_6ELb0ES3_mN6thrust23THRUST_200600_302600_NS6detail15normal_iteratorINSA_10device_ptrIxEEEEPS6_SG_NS0_5tupleIJSF_S6_EEENSH_IJSG_SG_EEES6_PlJNSB_9not_fun_tI7is_trueIxEEEEEE10hipError_tPvRmT3_T4_T5_T6_T7_T9_mT8_P12ihipStream_tbDpT10_ENKUlT_T0_E_clISt17integral_constantIbLb1EES17_IbLb0EEEEDaS13_S14_EUlS13_E_NS1_11comp_targetILNS1_3genE3ELNS1_11target_archE908ELNS1_3gpuE7ELNS1_3repE0EEENS1_30default_config_static_selectorELNS0_4arch9wavefront6targetE0EEEvT1_: ; @_ZN7rocprim17ROCPRIM_400000_NS6detail17trampoline_kernelINS0_14default_configENS1_25partition_config_selectorILNS1_17partition_subalgoE6ExNS0_10empty_typeEbEEZZNS1_14partition_implILS5_6ELb0ES3_mN6thrust23THRUST_200600_302600_NS6detail15normal_iteratorINSA_10device_ptrIxEEEEPS6_SG_NS0_5tupleIJSF_S6_EEENSH_IJSG_SG_EEES6_PlJNSB_9not_fun_tI7is_trueIxEEEEEE10hipError_tPvRmT3_T4_T5_T6_T7_T9_mT8_P12ihipStream_tbDpT10_ENKUlT_T0_E_clISt17integral_constantIbLb1EES17_IbLb0EEEEDaS13_S14_EUlS13_E_NS1_11comp_targetILNS1_3genE3ELNS1_11target_archE908ELNS1_3gpuE7ELNS1_3repE0EEENS1_30default_config_static_selectorELNS0_4arch9wavefront6targetE0EEEvT1_
; %bb.0:
	.section	.rodata,"a",@progbits
	.p2align	6, 0x0
	.amdhsa_kernel _ZN7rocprim17ROCPRIM_400000_NS6detail17trampoline_kernelINS0_14default_configENS1_25partition_config_selectorILNS1_17partition_subalgoE6ExNS0_10empty_typeEbEEZZNS1_14partition_implILS5_6ELb0ES3_mN6thrust23THRUST_200600_302600_NS6detail15normal_iteratorINSA_10device_ptrIxEEEEPS6_SG_NS0_5tupleIJSF_S6_EEENSH_IJSG_SG_EEES6_PlJNSB_9not_fun_tI7is_trueIxEEEEEE10hipError_tPvRmT3_T4_T5_T6_T7_T9_mT8_P12ihipStream_tbDpT10_ENKUlT_T0_E_clISt17integral_constantIbLb1EES17_IbLb0EEEEDaS13_S14_EUlS13_E_NS1_11comp_targetILNS1_3genE3ELNS1_11target_archE908ELNS1_3gpuE7ELNS1_3repE0EEENS1_30default_config_static_selectorELNS0_4arch9wavefront6targetE0EEEvT1_
		.amdhsa_group_segment_fixed_size 0
		.amdhsa_private_segment_fixed_size 0
		.amdhsa_kernarg_size 112
		.amdhsa_user_sgpr_count 2
		.amdhsa_user_sgpr_dispatch_ptr 0
		.amdhsa_user_sgpr_queue_ptr 0
		.amdhsa_user_sgpr_kernarg_segment_ptr 1
		.amdhsa_user_sgpr_dispatch_id 0
		.amdhsa_user_sgpr_private_segment_size 0
		.amdhsa_wavefront_size32 1
		.amdhsa_uses_dynamic_stack 0
		.amdhsa_enable_private_segment 0
		.amdhsa_system_sgpr_workgroup_id_x 1
		.amdhsa_system_sgpr_workgroup_id_y 0
		.amdhsa_system_sgpr_workgroup_id_z 0
		.amdhsa_system_sgpr_workgroup_info 0
		.amdhsa_system_vgpr_workitem_id 0
		.amdhsa_next_free_vgpr 1
		.amdhsa_next_free_sgpr 1
		.amdhsa_reserve_vcc 0
		.amdhsa_float_round_mode_32 0
		.amdhsa_float_round_mode_16_64 0
		.amdhsa_float_denorm_mode_32 3
		.amdhsa_float_denorm_mode_16_64 3
		.amdhsa_fp16_overflow 0
		.amdhsa_workgroup_processor_mode 1
		.amdhsa_memory_ordered 1
		.amdhsa_forward_progress 1
		.amdhsa_inst_pref_size 0
		.amdhsa_round_robin_scheduling 0
		.amdhsa_exception_fp_ieee_invalid_op 0
		.amdhsa_exception_fp_denorm_src 0
		.amdhsa_exception_fp_ieee_div_zero 0
		.amdhsa_exception_fp_ieee_overflow 0
		.amdhsa_exception_fp_ieee_underflow 0
		.amdhsa_exception_fp_ieee_inexact 0
		.amdhsa_exception_int_div_zero 0
	.end_amdhsa_kernel
	.section	.text._ZN7rocprim17ROCPRIM_400000_NS6detail17trampoline_kernelINS0_14default_configENS1_25partition_config_selectorILNS1_17partition_subalgoE6ExNS0_10empty_typeEbEEZZNS1_14partition_implILS5_6ELb0ES3_mN6thrust23THRUST_200600_302600_NS6detail15normal_iteratorINSA_10device_ptrIxEEEEPS6_SG_NS0_5tupleIJSF_S6_EEENSH_IJSG_SG_EEES6_PlJNSB_9not_fun_tI7is_trueIxEEEEEE10hipError_tPvRmT3_T4_T5_T6_T7_T9_mT8_P12ihipStream_tbDpT10_ENKUlT_T0_E_clISt17integral_constantIbLb1EES17_IbLb0EEEEDaS13_S14_EUlS13_E_NS1_11comp_targetILNS1_3genE3ELNS1_11target_archE908ELNS1_3gpuE7ELNS1_3repE0EEENS1_30default_config_static_selectorELNS0_4arch9wavefront6targetE0EEEvT1_,"axG",@progbits,_ZN7rocprim17ROCPRIM_400000_NS6detail17trampoline_kernelINS0_14default_configENS1_25partition_config_selectorILNS1_17partition_subalgoE6ExNS0_10empty_typeEbEEZZNS1_14partition_implILS5_6ELb0ES3_mN6thrust23THRUST_200600_302600_NS6detail15normal_iteratorINSA_10device_ptrIxEEEEPS6_SG_NS0_5tupleIJSF_S6_EEENSH_IJSG_SG_EEES6_PlJNSB_9not_fun_tI7is_trueIxEEEEEE10hipError_tPvRmT3_T4_T5_T6_T7_T9_mT8_P12ihipStream_tbDpT10_ENKUlT_T0_E_clISt17integral_constantIbLb1EES17_IbLb0EEEEDaS13_S14_EUlS13_E_NS1_11comp_targetILNS1_3genE3ELNS1_11target_archE908ELNS1_3gpuE7ELNS1_3repE0EEENS1_30default_config_static_selectorELNS0_4arch9wavefront6targetE0EEEvT1_,comdat
.Lfunc_end1224:
	.size	_ZN7rocprim17ROCPRIM_400000_NS6detail17trampoline_kernelINS0_14default_configENS1_25partition_config_selectorILNS1_17partition_subalgoE6ExNS0_10empty_typeEbEEZZNS1_14partition_implILS5_6ELb0ES3_mN6thrust23THRUST_200600_302600_NS6detail15normal_iteratorINSA_10device_ptrIxEEEEPS6_SG_NS0_5tupleIJSF_S6_EEENSH_IJSG_SG_EEES6_PlJNSB_9not_fun_tI7is_trueIxEEEEEE10hipError_tPvRmT3_T4_T5_T6_T7_T9_mT8_P12ihipStream_tbDpT10_ENKUlT_T0_E_clISt17integral_constantIbLb1EES17_IbLb0EEEEDaS13_S14_EUlS13_E_NS1_11comp_targetILNS1_3genE3ELNS1_11target_archE908ELNS1_3gpuE7ELNS1_3repE0EEENS1_30default_config_static_selectorELNS0_4arch9wavefront6targetE0EEEvT1_, .Lfunc_end1224-_ZN7rocprim17ROCPRIM_400000_NS6detail17trampoline_kernelINS0_14default_configENS1_25partition_config_selectorILNS1_17partition_subalgoE6ExNS0_10empty_typeEbEEZZNS1_14partition_implILS5_6ELb0ES3_mN6thrust23THRUST_200600_302600_NS6detail15normal_iteratorINSA_10device_ptrIxEEEEPS6_SG_NS0_5tupleIJSF_S6_EEENSH_IJSG_SG_EEES6_PlJNSB_9not_fun_tI7is_trueIxEEEEEE10hipError_tPvRmT3_T4_T5_T6_T7_T9_mT8_P12ihipStream_tbDpT10_ENKUlT_T0_E_clISt17integral_constantIbLb1EES17_IbLb0EEEEDaS13_S14_EUlS13_E_NS1_11comp_targetILNS1_3genE3ELNS1_11target_archE908ELNS1_3gpuE7ELNS1_3repE0EEENS1_30default_config_static_selectorELNS0_4arch9wavefront6targetE0EEEvT1_
                                        ; -- End function
	.set _ZN7rocprim17ROCPRIM_400000_NS6detail17trampoline_kernelINS0_14default_configENS1_25partition_config_selectorILNS1_17partition_subalgoE6ExNS0_10empty_typeEbEEZZNS1_14partition_implILS5_6ELb0ES3_mN6thrust23THRUST_200600_302600_NS6detail15normal_iteratorINSA_10device_ptrIxEEEEPS6_SG_NS0_5tupleIJSF_S6_EEENSH_IJSG_SG_EEES6_PlJNSB_9not_fun_tI7is_trueIxEEEEEE10hipError_tPvRmT3_T4_T5_T6_T7_T9_mT8_P12ihipStream_tbDpT10_ENKUlT_T0_E_clISt17integral_constantIbLb1EES17_IbLb0EEEEDaS13_S14_EUlS13_E_NS1_11comp_targetILNS1_3genE3ELNS1_11target_archE908ELNS1_3gpuE7ELNS1_3repE0EEENS1_30default_config_static_selectorELNS0_4arch9wavefront6targetE0EEEvT1_.num_vgpr, 0
	.set _ZN7rocprim17ROCPRIM_400000_NS6detail17trampoline_kernelINS0_14default_configENS1_25partition_config_selectorILNS1_17partition_subalgoE6ExNS0_10empty_typeEbEEZZNS1_14partition_implILS5_6ELb0ES3_mN6thrust23THRUST_200600_302600_NS6detail15normal_iteratorINSA_10device_ptrIxEEEEPS6_SG_NS0_5tupleIJSF_S6_EEENSH_IJSG_SG_EEES6_PlJNSB_9not_fun_tI7is_trueIxEEEEEE10hipError_tPvRmT3_T4_T5_T6_T7_T9_mT8_P12ihipStream_tbDpT10_ENKUlT_T0_E_clISt17integral_constantIbLb1EES17_IbLb0EEEEDaS13_S14_EUlS13_E_NS1_11comp_targetILNS1_3genE3ELNS1_11target_archE908ELNS1_3gpuE7ELNS1_3repE0EEENS1_30default_config_static_selectorELNS0_4arch9wavefront6targetE0EEEvT1_.num_agpr, 0
	.set _ZN7rocprim17ROCPRIM_400000_NS6detail17trampoline_kernelINS0_14default_configENS1_25partition_config_selectorILNS1_17partition_subalgoE6ExNS0_10empty_typeEbEEZZNS1_14partition_implILS5_6ELb0ES3_mN6thrust23THRUST_200600_302600_NS6detail15normal_iteratorINSA_10device_ptrIxEEEEPS6_SG_NS0_5tupleIJSF_S6_EEENSH_IJSG_SG_EEES6_PlJNSB_9not_fun_tI7is_trueIxEEEEEE10hipError_tPvRmT3_T4_T5_T6_T7_T9_mT8_P12ihipStream_tbDpT10_ENKUlT_T0_E_clISt17integral_constantIbLb1EES17_IbLb0EEEEDaS13_S14_EUlS13_E_NS1_11comp_targetILNS1_3genE3ELNS1_11target_archE908ELNS1_3gpuE7ELNS1_3repE0EEENS1_30default_config_static_selectorELNS0_4arch9wavefront6targetE0EEEvT1_.numbered_sgpr, 0
	.set _ZN7rocprim17ROCPRIM_400000_NS6detail17trampoline_kernelINS0_14default_configENS1_25partition_config_selectorILNS1_17partition_subalgoE6ExNS0_10empty_typeEbEEZZNS1_14partition_implILS5_6ELb0ES3_mN6thrust23THRUST_200600_302600_NS6detail15normal_iteratorINSA_10device_ptrIxEEEEPS6_SG_NS0_5tupleIJSF_S6_EEENSH_IJSG_SG_EEES6_PlJNSB_9not_fun_tI7is_trueIxEEEEEE10hipError_tPvRmT3_T4_T5_T6_T7_T9_mT8_P12ihipStream_tbDpT10_ENKUlT_T0_E_clISt17integral_constantIbLb1EES17_IbLb0EEEEDaS13_S14_EUlS13_E_NS1_11comp_targetILNS1_3genE3ELNS1_11target_archE908ELNS1_3gpuE7ELNS1_3repE0EEENS1_30default_config_static_selectorELNS0_4arch9wavefront6targetE0EEEvT1_.num_named_barrier, 0
	.set _ZN7rocprim17ROCPRIM_400000_NS6detail17trampoline_kernelINS0_14default_configENS1_25partition_config_selectorILNS1_17partition_subalgoE6ExNS0_10empty_typeEbEEZZNS1_14partition_implILS5_6ELb0ES3_mN6thrust23THRUST_200600_302600_NS6detail15normal_iteratorINSA_10device_ptrIxEEEEPS6_SG_NS0_5tupleIJSF_S6_EEENSH_IJSG_SG_EEES6_PlJNSB_9not_fun_tI7is_trueIxEEEEEE10hipError_tPvRmT3_T4_T5_T6_T7_T9_mT8_P12ihipStream_tbDpT10_ENKUlT_T0_E_clISt17integral_constantIbLb1EES17_IbLb0EEEEDaS13_S14_EUlS13_E_NS1_11comp_targetILNS1_3genE3ELNS1_11target_archE908ELNS1_3gpuE7ELNS1_3repE0EEENS1_30default_config_static_selectorELNS0_4arch9wavefront6targetE0EEEvT1_.private_seg_size, 0
	.set _ZN7rocprim17ROCPRIM_400000_NS6detail17trampoline_kernelINS0_14default_configENS1_25partition_config_selectorILNS1_17partition_subalgoE6ExNS0_10empty_typeEbEEZZNS1_14partition_implILS5_6ELb0ES3_mN6thrust23THRUST_200600_302600_NS6detail15normal_iteratorINSA_10device_ptrIxEEEEPS6_SG_NS0_5tupleIJSF_S6_EEENSH_IJSG_SG_EEES6_PlJNSB_9not_fun_tI7is_trueIxEEEEEE10hipError_tPvRmT3_T4_T5_T6_T7_T9_mT8_P12ihipStream_tbDpT10_ENKUlT_T0_E_clISt17integral_constantIbLb1EES17_IbLb0EEEEDaS13_S14_EUlS13_E_NS1_11comp_targetILNS1_3genE3ELNS1_11target_archE908ELNS1_3gpuE7ELNS1_3repE0EEENS1_30default_config_static_selectorELNS0_4arch9wavefront6targetE0EEEvT1_.uses_vcc, 0
	.set _ZN7rocprim17ROCPRIM_400000_NS6detail17trampoline_kernelINS0_14default_configENS1_25partition_config_selectorILNS1_17partition_subalgoE6ExNS0_10empty_typeEbEEZZNS1_14partition_implILS5_6ELb0ES3_mN6thrust23THRUST_200600_302600_NS6detail15normal_iteratorINSA_10device_ptrIxEEEEPS6_SG_NS0_5tupleIJSF_S6_EEENSH_IJSG_SG_EEES6_PlJNSB_9not_fun_tI7is_trueIxEEEEEE10hipError_tPvRmT3_T4_T5_T6_T7_T9_mT8_P12ihipStream_tbDpT10_ENKUlT_T0_E_clISt17integral_constantIbLb1EES17_IbLb0EEEEDaS13_S14_EUlS13_E_NS1_11comp_targetILNS1_3genE3ELNS1_11target_archE908ELNS1_3gpuE7ELNS1_3repE0EEENS1_30default_config_static_selectorELNS0_4arch9wavefront6targetE0EEEvT1_.uses_flat_scratch, 0
	.set _ZN7rocprim17ROCPRIM_400000_NS6detail17trampoline_kernelINS0_14default_configENS1_25partition_config_selectorILNS1_17partition_subalgoE6ExNS0_10empty_typeEbEEZZNS1_14partition_implILS5_6ELb0ES3_mN6thrust23THRUST_200600_302600_NS6detail15normal_iteratorINSA_10device_ptrIxEEEEPS6_SG_NS0_5tupleIJSF_S6_EEENSH_IJSG_SG_EEES6_PlJNSB_9not_fun_tI7is_trueIxEEEEEE10hipError_tPvRmT3_T4_T5_T6_T7_T9_mT8_P12ihipStream_tbDpT10_ENKUlT_T0_E_clISt17integral_constantIbLb1EES17_IbLb0EEEEDaS13_S14_EUlS13_E_NS1_11comp_targetILNS1_3genE3ELNS1_11target_archE908ELNS1_3gpuE7ELNS1_3repE0EEENS1_30default_config_static_selectorELNS0_4arch9wavefront6targetE0EEEvT1_.has_dyn_sized_stack, 0
	.set _ZN7rocprim17ROCPRIM_400000_NS6detail17trampoline_kernelINS0_14default_configENS1_25partition_config_selectorILNS1_17partition_subalgoE6ExNS0_10empty_typeEbEEZZNS1_14partition_implILS5_6ELb0ES3_mN6thrust23THRUST_200600_302600_NS6detail15normal_iteratorINSA_10device_ptrIxEEEEPS6_SG_NS0_5tupleIJSF_S6_EEENSH_IJSG_SG_EEES6_PlJNSB_9not_fun_tI7is_trueIxEEEEEE10hipError_tPvRmT3_T4_T5_T6_T7_T9_mT8_P12ihipStream_tbDpT10_ENKUlT_T0_E_clISt17integral_constantIbLb1EES17_IbLb0EEEEDaS13_S14_EUlS13_E_NS1_11comp_targetILNS1_3genE3ELNS1_11target_archE908ELNS1_3gpuE7ELNS1_3repE0EEENS1_30default_config_static_selectorELNS0_4arch9wavefront6targetE0EEEvT1_.has_recursion, 0
	.set _ZN7rocprim17ROCPRIM_400000_NS6detail17trampoline_kernelINS0_14default_configENS1_25partition_config_selectorILNS1_17partition_subalgoE6ExNS0_10empty_typeEbEEZZNS1_14partition_implILS5_6ELb0ES3_mN6thrust23THRUST_200600_302600_NS6detail15normal_iteratorINSA_10device_ptrIxEEEEPS6_SG_NS0_5tupleIJSF_S6_EEENSH_IJSG_SG_EEES6_PlJNSB_9not_fun_tI7is_trueIxEEEEEE10hipError_tPvRmT3_T4_T5_T6_T7_T9_mT8_P12ihipStream_tbDpT10_ENKUlT_T0_E_clISt17integral_constantIbLb1EES17_IbLb0EEEEDaS13_S14_EUlS13_E_NS1_11comp_targetILNS1_3genE3ELNS1_11target_archE908ELNS1_3gpuE7ELNS1_3repE0EEENS1_30default_config_static_selectorELNS0_4arch9wavefront6targetE0EEEvT1_.has_indirect_call, 0
	.section	.AMDGPU.csdata,"",@progbits
; Kernel info:
; codeLenInByte = 0
; TotalNumSgprs: 0
; NumVgprs: 0
; ScratchSize: 0
; MemoryBound: 0
; FloatMode: 240
; IeeeMode: 1
; LDSByteSize: 0 bytes/workgroup (compile time only)
; SGPRBlocks: 0
; VGPRBlocks: 0
; NumSGPRsForWavesPerEU: 1
; NumVGPRsForWavesPerEU: 1
; Occupancy: 16
; WaveLimiterHint : 0
; COMPUTE_PGM_RSRC2:SCRATCH_EN: 0
; COMPUTE_PGM_RSRC2:USER_SGPR: 2
; COMPUTE_PGM_RSRC2:TRAP_HANDLER: 0
; COMPUTE_PGM_RSRC2:TGID_X_EN: 1
; COMPUTE_PGM_RSRC2:TGID_Y_EN: 0
; COMPUTE_PGM_RSRC2:TGID_Z_EN: 0
; COMPUTE_PGM_RSRC2:TIDIG_COMP_CNT: 0
	.section	.text._ZN7rocprim17ROCPRIM_400000_NS6detail17trampoline_kernelINS0_14default_configENS1_25partition_config_selectorILNS1_17partition_subalgoE6ExNS0_10empty_typeEbEEZZNS1_14partition_implILS5_6ELb0ES3_mN6thrust23THRUST_200600_302600_NS6detail15normal_iteratorINSA_10device_ptrIxEEEEPS6_SG_NS0_5tupleIJSF_S6_EEENSH_IJSG_SG_EEES6_PlJNSB_9not_fun_tI7is_trueIxEEEEEE10hipError_tPvRmT3_T4_T5_T6_T7_T9_mT8_P12ihipStream_tbDpT10_ENKUlT_T0_E_clISt17integral_constantIbLb1EES17_IbLb0EEEEDaS13_S14_EUlS13_E_NS1_11comp_targetILNS1_3genE2ELNS1_11target_archE906ELNS1_3gpuE6ELNS1_3repE0EEENS1_30default_config_static_selectorELNS0_4arch9wavefront6targetE0EEEvT1_,"axG",@progbits,_ZN7rocprim17ROCPRIM_400000_NS6detail17trampoline_kernelINS0_14default_configENS1_25partition_config_selectorILNS1_17partition_subalgoE6ExNS0_10empty_typeEbEEZZNS1_14partition_implILS5_6ELb0ES3_mN6thrust23THRUST_200600_302600_NS6detail15normal_iteratorINSA_10device_ptrIxEEEEPS6_SG_NS0_5tupleIJSF_S6_EEENSH_IJSG_SG_EEES6_PlJNSB_9not_fun_tI7is_trueIxEEEEEE10hipError_tPvRmT3_T4_T5_T6_T7_T9_mT8_P12ihipStream_tbDpT10_ENKUlT_T0_E_clISt17integral_constantIbLb1EES17_IbLb0EEEEDaS13_S14_EUlS13_E_NS1_11comp_targetILNS1_3genE2ELNS1_11target_archE906ELNS1_3gpuE6ELNS1_3repE0EEENS1_30default_config_static_selectorELNS0_4arch9wavefront6targetE0EEEvT1_,comdat
	.protected	_ZN7rocprim17ROCPRIM_400000_NS6detail17trampoline_kernelINS0_14default_configENS1_25partition_config_selectorILNS1_17partition_subalgoE6ExNS0_10empty_typeEbEEZZNS1_14partition_implILS5_6ELb0ES3_mN6thrust23THRUST_200600_302600_NS6detail15normal_iteratorINSA_10device_ptrIxEEEEPS6_SG_NS0_5tupleIJSF_S6_EEENSH_IJSG_SG_EEES6_PlJNSB_9not_fun_tI7is_trueIxEEEEEE10hipError_tPvRmT3_T4_T5_T6_T7_T9_mT8_P12ihipStream_tbDpT10_ENKUlT_T0_E_clISt17integral_constantIbLb1EES17_IbLb0EEEEDaS13_S14_EUlS13_E_NS1_11comp_targetILNS1_3genE2ELNS1_11target_archE906ELNS1_3gpuE6ELNS1_3repE0EEENS1_30default_config_static_selectorELNS0_4arch9wavefront6targetE0EEEvT1_ ; -- Begin function _ZN7rocprim17ROCPRIM_400000_NS6detail17trampoline_kernelINS0_14default_configENS1_25partition_config_selectorILNS1_17partition_subalgoE6ExNS0_10empty_typeEbEEZZNS1_14partition_implILS5_6ELb0ES3_mN6thrust23THRUST_200600_302600_NS6detail15normal_iteratorINSA_10device_ptrIxEEEEPS6_SG_NS0_5tupleIJSF_S6_EEENSH_IJSG_SG_EEES6_PlJNSB_9not_fun_tI7is_trueIxEEEEEE10hipError_tPvRmT3_T4_T5_T6_T7_T9_mT8_P12ihipStream_tbDpT10_ENKUlT_T0_E_clISt17integral_constantIbLb1EES17_IbLb0EEEEDaS13_S14_EUlS13_E_NS1_11comp_targetILNS1_3genE2ELNS1_11target_archE906ELNS1_3gpuE6ELNS1_3repE0EEENS1_30default_config_static_selectorELNS0_4arch9wavefront6targetE0EEEvT1_
	.globl	_ZN7rocprim17ROCPRIM_400000_NS6detail17trampoline_kernelINS0_14default_configENS1_25partition_config_selectorILNS1_17partition_subalgoE6ExNS0_10empty_typeEbEEZZNS1_14partition_implILS5_6ELb0ES3_mN6thrust23THRUST_200600_302600_NS6detail15normal_iteratorINSA_10device_ptrIxEEEEPS6_SG_NS0_5tupleIJSF_S6_EEENSH_IJSG_SG_EEES6_PlJNSB_9not_fun_tI7is_trueIxEEEEEE10hipError_tPvRmT3_T4_T5_T6_T7_T9_mT8_P12ihipStream_tbDpT10_ENKUlT_T0_E_clISt17integral_constantIbLb1EES17_IbLb0EEEEDaS13_S14_EUlS13_E_NS1_11comp_targetILNS1_3genE2ELNS1_11target_archE906ELNS1_3gpuE6ELNS1_3repE0EEENS1_30default_config_static_selectorELNS0_4arch9wavefront6targetE0EEEvT1_
	.p2align	8
	.type	_ZN7rocprim17ROCPRIM_400000_NS6detail17trampoline_kernelINS0_14default_configENS1_25partition_config_selectorILNS1_17partition_subalgoE6ExNS0_10empty_typeEbEEZZNS1_14partition_implILS5_6ELb0ES3_mN6thrust23THRUST_200600_302600_NS6detail15normal_iteratorINSA_10device_ptrIxEEEEPS6_SG_NS0_5tupleIJSF_S6_EEENSH_IJSG_SG_EEES6_PlJNSB_9not_fun_tI7is_trueIxEEEEEE10hipError_tPvRmT3_T4_T5_T6_T7_T9_mT8_P12ihipStream_tbDpT10_ENKUlT_T0_E_clISt17integral_constantIbLb1EES17_IbLb0EEEEDaS13_S14_EUlS13_E_NS1_11comp_targetILNS1_3genE2ELNS1_11target_archE906ELNS1_3gpuE6ELNS1_3repE0EEENS1_30default_config_static_selectorELNS0_4arch9wavefront6targetE0EEEvT1_,@function
_ZN7rocprim17ROCPRIM_400000_NS6detail17trampoline_kernelINS0_14default_configENS1_25partition_config_selectorILNS1_17partition_subalgoE6ExNS0_10empty_typeEbEEZZNS1_14partition_implILS5_6ELb0ES3_mN6thrust23THRUST_200600_302600_NS6detail15normal_iteratorINSA_10device_ptrIxEEEEPS6_SG_NS0_5tupleIJSF_S6_EEENSH_IJSG_SG_EEES6_PlJNSB_9not_fun_tI7is_trueIxEEEEEE10hipError_tPvRmT3_T4_T5_T6_T7_T9_mT8_P12ihipStream_tbDpT10_ENKUlT_T0_E_clISt17integral_constantIbLb1EES17_IbLb0EEEEDaS13_S14_EUlS13_E_NS1_11comp_targetILNS1_3genE2ELNS1_11target_archE906ELNS1_3gpuE6ELNS1_3repE0EEENS1_30default_config_static_selectorELNS0_4arch9wavefront6targetE0EEEvT1_: ; @_ZN7rocprim17ROCPRIM_400000_NS6detail17trampoline_kernelINS0_14default_configENS1_25partition_config_selectorILNS1_17partition_subalgoE6ExNS0_10empty_typeEbEEZZNS1_14partition_implILS5_6ELb0ES3_mN6thrust23THRUST_200600_302600_NS6detail15normal_iteratorINSA_10device_ptrIxEEEEPS6_SG_NS0_5tupleIJSF_S6_EEENSH_IJSG_SG_EEES6_PlJNSB_9not_fun_tI7is_trueIxEEEEEE10hipError_tPvRmT3_T4_T5_T6_T7_T9_mT8_P12ihipStream_tbDpT10_ENKUlT_T0_E_clISt17integral_constantIbLb1EES17_IbLb0EEEEDaS13_S14_EUlS13_E_NS1_11comp_targetILNS1_3genE2ELNS1_11target_archE906ELNS1_3gpuE6ELNS1_3repE0EEENS1_30default_config_static_selectorELNS0_4arch9wavefront6targetE0EEEvT1_
; %bb.0:
	.section	.rodata,"a",@progbits
	.p2align	6, 0x0
	.amdhsa_kernel _ZN7rocprim17ROCPRIM_400000_NS6detail17trampoline_kernelINS0_14default_configENS1_25partition_config_selectorILNS1_17partition_subalgoE6ExNS0_10empty_typeEbEEZZNS1_14partition_implILS5_6ELb0ES3_mN6thrust23THRUST_200600_302600_NS6detail15normal_iteratorINSA_10device_ptrIxEEEEPS6_SG_NS0_5tupleIJSF_S6_EEENSH_IJSG_SG_EEES6_PlJNSB_9not_fun_tI7is_trueIxEEEEEE10hipError_tPvRmT3_T4_T5_T6_T7_T9_mT8_P12ihipStream_tbDpT10_ENKUlT_T0_E_clISt17integral_constantIbLb1EES17_IbLb0EEEEDaS13_S14_EUlS13_E_NS1_11comp_targetILNS1_3genE2ELNS1_11target_archE906ELNS1_3gpuE6ELNS1_3repE0EEENS1_30default_config_static_selectorELNS0_4arch9wavefront6targetE0EEEvT1_
		.amdhsa_group_segment_fixed_size 0
		.amdhsa_private_segment_fixed_size 0
		.amdhsa_kernarg_size 112
		.amdhsa_user_sgpr_count 2
		.amdhsa_user_sgpr_dispatch_ptr 0
		.amdhsa_user_sgpr_queue_ptr 0
		.amdhsa_user_sgpr_kernarg_segment_ptr 1
		.amdhsa_user_sgpr_dispatch_id 0
		.amdhsa_user_sgpr_private_segment_size 0
		.amdhsa_wavefront_size32 1
		.amdhsa_uses_dynamic_stack 0
		.amdhsa_enable_private_segment 0
		.amdhsa_system_sgpr_workgroup_id_x 1
		.amdhsa_system_sgpr_workgroup_id_y 0
		.amdhsa_system_sgpr_workgroup_id_z 0
		.amdhsa_system_sgpr_workgroup_info 0
		.amdhsa_system_vgpr_workitem_id 0
		.amdhsa_next_free_vgpr 1
		.amdhsa_next_free_sgpr 1
		.amdhsa_reserve_vcc 0
		.amdhsa_float_round_mode_32 0
		.amdhsa_float_round_mode_16_64 0
		.amdhsa_float_denorm_mode_32 3
		.amdhsa_float_denorm_mode_16_64 3
		.amdhsa_fp16_overflow 0
		.amdhsa_workgroup_processor_mode 1
		.amdhsa_memory_ordered 1
		.amdhsa_forward_progress 1
		.amdhsa_inst_pref_size 0
		.amdhsa_round_robin_scheduling 0
		.amdhsa_exception_fp_ieee_invalid_op 0
		.amdhsa_exception_fp_denorm_src 0
		.amdhsa_exception_fp_ieee_div_zero 0
		.amdhsa_exception_fp_ieee_overflow 0
		.amdhsa_exception_fp_ieee_underflow 0
		.amdhsa_exception_fp_ieee_inexact 0
		.amdhsa_exception_int_div_zero 0
	.end_amdhsa_kernel
	.section	.text._ZN7rocprim17ROCPRIM_400000_NS6detail17trampoline_kernelINS0_14default_configENS1_25partition_config_selectorILNS1_17partition_subalgoE6ExNS0_10empty_typeEbEEZZNS1_14partition_implILS5_6ELb0ES3_mN6thrust23THRUST_200600_302600_NS6detail15normal_iteratorINSA_10device_ptrIxEEEEPS6_SG_NS0_5tupleIJSF_S6_EEENSH_IJSG_SG_EEES6_PlJNSB_9not_fun_tI7is_trueIxEEEEEE10hipError_tPvRmT3_T4_T5_T6_T7_T9_mT8_P12ihipStream_tbDpT10_ENKUlT_T0_E_clISt17integral_constantIbLb1EES17_IbLb0EEEEDaS13_S14_EUlS13_E_NS1_11comp_targetILNS1_3genE2ELNS1_11target_archE906ELNS1_3gpuE6ELNS1_3repE0EEENS1_30default_config_static_selectorELNS0_4arch9wavefront6targetE0EEEvT1_,"axG",@progbits,_ZN7rocprim17ROCPRIM_400000_NS6detail17trampoline_kernelINS0_14default_configENS1_25partition_config_selectorILNS1_17partition_subalgoE6ExNS0_10empty_typeEbEEZZNS1_14partition_implILS5_6ELb0ES3_mN6thrust23THRUST_200600_302600_NS6detail15normal_iteratorINSA_10device_ptrIxEEEEPS6_SG_NS0_5tupleIJSF_S6_EEENSH_IJSG_SG_EEES6_PlJNSB_9not_fun_tI7is_trueIxEEEEEE10hipError_tPvRmT3_T4_T5_T6_T7_T9_mT8_P12ihipStream_tbDpT10_ENKUlT_T0_E_clISt17integral_constantIbLb1EES17_IbLb0EEEEDaS13_S14_EUlS13_E_NS1_11comp_targetILNS1_3genE2ELNS1_11target_archE906ELNS1_3gpuE6ELNS1_3repE0EEENS1_30default_config_static_selectorELNS0_4arch9wavefront6targetE0EEEvT1_,comdat
.Lfunc_end1225:
	.size	_ZN7rocprim17ROCPRIM_400000_NS6detail17trampoline_kernelINS0_14default_configENS1_25partition_config_selectorILNS1_17partition_subalgoE6ExNS0_10empty_typeEbEEZZNS1_14partition_implILS5_6ELb0ES3_mN6thrust23THRUST_200600_302600_NS6detail15normal_iteratorINSA_10device_ptrIxEEEEPS6_SG_NS0_5tupleIJSF_S6_EEENSH_IJSG_SG_EEES6_PlJNSB_9not_fun_tI7is_trueIxEEEEEE10hipError_tPvRmT3_T4_T5_T6_T7_T9_mT8_P12ihipStream_tbDpT10_ENKUlT_T0_E_clISt17integral_constantIbLb1EES17_IbLb0EEEEDaS13_S14_EUlS13_E_NS1_11comp_targetILNS1_3genE2ELNS1_11target_archE906ELNS1_3gpuE6ELNS1_3repE0EEENS1_30default_config_static_selectorELNS0_4arch9wavefront6targetE0EEEvT1_, .Lfunc_end1225-_ZN7rocprim17ROCPRIM_400000_NS6detail17trampoline_kernelINS0_14default_configENS1_25partition_config_selectorILNS1_17partition_subalgoE6ExNS0_10empty_typeEbEEZZNS1_14partition_implILS5_6ELb0ES3_mN6thrust23THRUST_200600_302600_NS6detail15normal_iteratorINSA_10device_ptrIxEEEEPS6_SG_NS0_5tupleIJSF_S6_EEENSH_IJSG_SG_EEES6_PlJNSB_9not_fun_tI7is_trueIxEEEEEE10hipError_tPvRmT3_T4_T5_T6_T7_T9_mT8_P12ihipStream_tbDpT10_ENKUlT_T0_E_clISt17integral_constantIbLb1EES17_IbLb0EEEEDaS13_S14_EUlS13_E_NS1_11comp_targetILNS1_3genE2ELNS1_11target_archE906ELNS1_3gpuE6ELNS1_3repE0EEENS1_30default_config_static_selectorELNS0_4arch9wavefront6targetE0EEEvT1_
                                        ; -- End function
	.set _ZN7rocprim17ROCPRIM_400000_NS6detail17trampoline_kernelINS0_14default_configENS1_25partition_config_selectorILNS1_17partition_subalgoE6ExNS0_10empty_typeEbEEZZNS1_14partition_implILS5_6ELb0ES3_mN6thrust23THRUST_200600_302600_NS6detail15normal_iteratorINSA_10device_ptrIxEEEEPS6_SG_NS0_5tupleIJSF_S6_EEENSH_IJSG_SG_EEES6_PlJNSB_9not_fun_tI7is_trueIxEEEEEE10hipError_tPvRmT3_T4_T5_T6_T7_T9_mT8_P12ihipStream_tbDpT10_ENKUlT_T0_E_clISt17integral_constantIbLb1EES17_IbLb0EEEEDaS13_S14_EUlS13_E_NS1_11comp_targetILNS1_3genE2ELNS1_11target_archE906ELNS1_3gpuE6ELNS1_3repE0EEENS1_30default_config_static_selectorELNS0_4arch9wavefront6targetE0EEEvT1_.num_vgpr, 0
	.set _ZN7rocprim17ROCPRIM_400000_NS6detail17trampoline_kernelINS0_14default_configENS1_25partition_config_selectorILNS1_17partition_subalgoE6ExNS0_10empty_typeEbEEZZNS1_14partition_implILS5_6ELb0ES3_mN6thrust23THRUST_200600_302600_NS6detail15normal_iteratorINSA_10device_ptrIxEEEEPS6_SG_NS0_5tupleIJSF_S6_EEENSH_IJSG_SG_EEES6_PlJNSB_9not_fun_tI7is_trueIxEEEEEE10hipError_tPvRmT3_T4_T5_T6_T7_T9_mT8_P12ihipStream_tbDpT10_ENKUlT_T0_E_clISt17integral_constantIbLb1EES17_IbLb0EEEEDaS13_S14_EUlS13_E_NS1_11comp_targetILNS1_3genE2ELNS1_11target_archE906ELNS1_3gpuE6ELNS1_3repE0EEENS1_30default_config_static_selectorELNS0_4arch9wavefront6targetE0EEEvT1_.num_agpr, 0
	.set _ZN7rocprim17ROCPRIM_400000_NS6detail17trampoline_kernelINS0_14default_configENS1_25partition_config_selectorILNS1_17partition_subalgoE6ExNS0_10empty_typeEbEEZZNS1_14partition_implILS5_6ELb0ES3_mN6thrust23THRUST_200600_302600_NS6detail15normal_iteratorINSA_10device_ptrIxEEEEPS6_SG_NS0_5tupleIJSF_S6_EEENSH_IJSG_SG_EEES6_PlJNSB_9not_fun_tI7is_trueIxEEEEEE10hipError_tPvRmT3_T4_T5_T6_T7_T9_mT8_P12ihipStream_tbDpT10_ENKUlT_T0_E_clISt17integral_constantIbLb1EES17_IbLb0EEEEDaS13_S14_EUlS13_E_NS1_11comp_targetILNS1_3genE2ELNS1_11target_archE906ELNS1_3gpuE6ELNS1_3repE0EEENS1_30default_config_static_selectorELNS0_4arch9wavefront6targetE0EEEvT1_.numbered_sgpr, 0
	.set _ZN7rocprim17ROCPRIM_400000_NS6detail17trampoline_kernelINS0_14default_configENS1_25partition_config_selectorILNS1_17partition_subalgoE6ExNS0_10empty_typeEbEEZZNS1_14partition_implILS5_6ELb0ES3_mN6thrust23THRUST_200600_302600_NS6detail15normal_iteratorINSA_10device_ptrIxEEEEPS6_SG_NS0_5tupleIJSF_S6_EEENSH_IJSG_SG_EEES6_PlJNSB_9not_fun_tI7is_trueIxEEEEEE10hipError_tPvRmT3_T4_T5_T6_T7_T9_mT8_P12ihipStream_tbDpT10_ENKUlT_T0_E_clISt17integral_constantIbLb1EES17_IbLb0EEEEDaS13_S14_EUlS13_E_NS1_11comp_targetILNS1_3genE2ELNS1_11target_archE906ELNS1_3gpuE6ELNS1_3repE0EEENS1_30default_config_static_selectorELNS0_4arch9wavefront6targetE0EEEvT1_.num_named_barrier, 0
	.set _ZN7rocprim17ROCPRIM_400000_NS6detail17trampoline_kernelINS0_14default_configENS1_25partition_config_selectorILNS1_17partition_subalgoE6ExNS0_10empty_typeEbEEZZNS1_14partition_implILS5_6ELb0ES3_mN6thrust23THRUST_200600_302600_NS6detail15normal_iteratorINSA_10device_ptrIxEEEEPS6_SG_NS0_5tupleIJSF_S6_EEENSH_IJSG_SG_EEES6_PlJNSB_9not_fun_tI7is_trueIxEEEEEE10hipError_tPvRmT3_T4_T5_T6_T7_T9_mT8_P12ihipStream_tbDpT10_ENKUlT_T0_E_clISt17integral_constantIbLb1EES17_IbLb0EEEEDaS13_S14_EUlS13_E_NS1_11comp_targetILNS1_3genE2ELNS1_11target_archE906ELNS1_3gpuE6ELNS1_3repE0EEENS1_30default_config_static_selectorELNS0_4arch9wavefront6targetE0EEEvT1_.private_seg_size, 0
	.set _ZN7rocprim17ROCPRIM_400000_NS6detail17trampoline_kernelINS0_14default_configENS1_25partition_config_selectorILNS1_17partition_subalgoE6ExNS0_10empty_typeEbEEZZNS1_14partition_implILS5_6ELb0ES3_mN6thrust23THRUST_200600_302600_NS6detail15normal_iteratorINSA_10device_ptrIxEEEEPS6_SG_NS0_5tupleIJSF_S6_EEENSH_IJSG_SG_EEES6_PlJNSB_9not_fun_tI7is_trueIxEEEEEE10hipError_tPvRmT3_T4_T5_T6_T7_T9_mT8_P12ihipStream_tbDpT10_ENKUlT_T0_E_clISt17integral_constantIbLb1EES17_IbLb0EEEEDaS13_S14_EUlS13_E_NS1_11comp_targetILNS1_3genE2ELNS1_11target_archE906ELNS1_3gpuE6ELNS1_3repE0EEENS1_30default_config_static_selectorELNS0_4arch9wavefront6targetE0EEEvT1_.uses_vcc, 0
	.set _ZN7rocprim17ROCPRIM_400000_NS6detail17trampoline_kernelINS0_14default_configENS1_25partition_config_selectorILNS1_17partition_subalgoE6ExNS0_10empty_typeEbEEZZNS1_14partition_implILS5_6ELb0ES3_mN6thrust23THRUST_200600_302600_NS6detail15normal_iteratorINSA_10device_ptrIxEEEEPS6_SG_NS0_5tupleIJSF_S6_EEENSH_IJSG_SG_EEES6_PlJNSB_9not_fun_tI7is_trueIxEEEEEE10hipError_tPvRmT3_T4_T5_T6_T7_T9_mT8_P12ihipStream_tbDpT10_ENKUlT_T0_E_clISt17integral_constantIbLb1EES17_IbLb0EEEEDaS13_S14_EUlS13_E_NS1_11comp_targetILNS1_3genE2ELNS1_11target_archE906ELNS1_3gpuE6ELNS1_3repE0EEENS1_30default_config_static_selectorELNS0_4arch9wavefront6targetE0EEEvT1_.uses_flat_scratch, 0
	.set _ZN7rocprim17ROCPRIM_400000_NS6detail17trampoline_kernelINS0_14default_configENS1_25partition_config_selectorILNS1_17partition_subalgoE6ExNS0_10empty_typeEbEEZZNS1_14partition_implILS5_6ELb0ES3_mN6thrust23THRUST_200600_302600_NS6detail15normal_iteratorINSA_10device_ptrIxEEEEPS6_SG_NS0_5tupleIJSF_S6_EEENSH_IJSG_SG_EEES6_PlJNSB_9not_fun_tI7is_trueIxEEEEEE10hipError_tPvRmT3_T4_T5_T6_T7_T9_mT8_P12ihipStream_tbDpT10_ENKUlT_T0_E_clISt17integral_constantIbLb1EES17_IbLb0EEEEDaS13_S14_EUlS13_E_NS1_11comp_targetILNS1_3genE2ELNS1_11target_archE906ELNS1_3gpuE6ELNS1_3repE0EEENS1_30default_config_static_selectorELNS0_4arch9wavefront6targetE0EEEvT1_.has_dyn_sized_stack, 0
	.set _ZN7rocprim17ROCPRIM_400000_NS6detail17trampoline_kernelINS0_14default_configENS1_25partition_config_selectorILNS1_17partition_subalgoE6ExNS0_10empty_typeEbEEZZNS1_14partition_implILS5_6ELb0ES3_mN6thrust23THRUST_200600_302600_NS6detail15normal_iteratorINSA_10device_ptrIxEEEEPS6_SG_NS0_5tupleIJSF_S6_EEENSH_IJSG_SG_EEES6_PlJNSB_9not_fun_tI7is_trueIxEEEEEE10hipError_tPvRmT3_T4_T5_T6_T7_T9_mT8_P12ihipStream_tbDpT10_ENKUlT_T0_E_clISt17integral_constantIbLb1EES17_IbLb0EEEEDaS13_S14_EUlS13_E_NS1_11comp_targetILNS1_3genE2ELNS1_11target_archE906ELNS1_3gpuE6ELNS1_3repE0EEENS1_30default_config_static_selectorELNS0_4arch9wavefront6targetE0EEEvT1_.has_recursion, 0
	.set _ZN7rocprim17ROCPRIM_400000_NS6detail17trampoline_kernelINS0_14default_configENS1_25partition_config_selectorILNS1_17partition_subalgoE6ExNS0_10empty_typeEbEEZZNS1_14partition_implILS5_6ELb0ES3_mN6thrust23THRUST_200600_302600_NS6detail15normal_iteratorINSA_10device_ptrIxEEEEPS6_SG_NS0_5tupleIJSF_S6_EEENSH_IJSG_SG_EEES6_PlJNSB_9not_fun_tI7is_trueIxEEEEEE10hipError_tPvRmT3_T4_T5_T6_T7_T9_mT8_P12ihipStream_tbDpT10_ENKUlT_T0_E_clISt17integral_constantIbLb1EES17_IbLb0EEEEDaS13_S14_EUlS13_E_NS1_11comp_targetILNS1_3genE2ELNS1_11target_archE906ELNS1_3gpuE6ELNS1_3repE0EEENS1_30default_config_static_selectorELNS0_4arch9wavefront6targetE0EEEvT1_.has_indirect_call, 0
	.section	.AMDGPU.csdata,"",@progbits
; Kernel info:
; codeLenInByte = 0
; TotalNumSgprs: 0
; NumVgprs: 0
; ScratchSize: 0
; MemoryBound: 0
; FloatMode: 240
; IeeeMode: 1
; LDSByteSize: 0 bytes/workgroup (compile time only)
; SGPRBlocks: 0
; VGPRBlocks: 0
; NumSGPRsForWavesPerEU: 1
; NumVGPRsForWavesPerEU: 1
; Occupancy: 16
; WaveLimiterHint : 0
; COMPUTE_PGM_RSRC2:SCRATCH_EN: 0
; COMPUTE_PGM_RSRC2:USER_SGPR: 2
; COMPUTE_PGM_RSRC2:TRAP_HANDLER: 0
; COMPUTE_PGM_RSRC2:TGID_X_EN: 1
; COMPUTE_PGM_RSRC2:TGID_Y_EN: 0
; COMPUTE_PGM_RSRC2:TGID_Z_EN: 0
; COMPUTE_PGM_RSRC2:TIDIG_COMP_CNT: 0
	.section	.text._ZN7rocprim17ROCPRIM_400000_NS6detail17trampoline_kernelINS0_14default_configENS1_25partition_config_selectorILNS1_17partition_subalgoE6ExNS0_10empty_typeEbEEZZNS1_14partition_implILS5_6ELb0ES3_mN6thrust23THRUST_200600_302600_NS6detail15normal_iteratorINSA_10device_ptrIxEEEEPS6_SG_NS0_5tupleIJSF_S6_EEENSH_IJSG_SG_EEES6_PlJNSB_9not_fun_tI7is_trueIxEEEEEE10hipError_tPvRmT3_T4_T5_T6_T7_T9_mT8_P12ihipStream_tbDpT10_ENKUlT_T0_E_clISt17integral_constantIbLb1EES17_IbLb0EEEEDaS13_S14_EUlS13_E_NS1_11comp_targetILNS1_3genE10ELNS1_11target_archE1200ELNS1_3gpuE4ELNS1_3repE0EEENS1_30default_config_static_selectorELNS0_4arch9wavefront6targetE0EEEvT1_,"axG",@progbits,_ZN7rocprim17ROCPRIM_400000_NS6detail17trampoline_kernelINS0_14default_configENS1_25partition_config_selectorILNS1_17partition_subalgoE6ExNS0_10empty_typeEbEEZZNS1_14partition_implILS5_6ELb0ES3_mN6thrust23THRUST_200600_302600_NS6detail15normal_iteratorINSA_10device_ptrIxEEEEPS6_SG_NS0_5tupleIJSF_S6_EEENSH_IJSG_SG_EEES6_PlJNSB_9not_fun_tI7is_trueIxEEEEEE10hipError_tPvRmT3_T4_T5_T6_T7_T9_mT8_P12ihipStream_tbDpT10_ENKUlT_T0_E_clISt17integral_constantIbLb1EES17_IbLb0EEEEDaS13_S14_EUlS13_E_NS1_11comp_targetILNS1_3genE10ELNS1_11target_archE1200ELNS1_3gpuE4ELNS1_3repE0EEENS1_30default_config_static_selectorELNS0_4arch9wavefront6targetE0EEEvT1_,comdat
	.protected	_ZN7rocprim17ROCPRIM_400000_NS6detail17trampoline_kernelINS0_14default_configENS1_25partition_config_selectorILNS1_17partition_subalgoE6ExNS0_10empty_typeEbEEZZNS1_14partition_implILS5_6ELb0ES3_mN6thrust23THRUST_200600_302600_NS6detail15normal_iteratorINSA_10device_ptrIxEEEEPS6_SG_NS0_5tupleIJSF_S6_EEENSH_IJSG_SG_EEES6_PlJNSB_9not_fun_tI7is_trueIxEEEEEE10hipError_tPvRmT3_T4_T5_T6_T7_T9_mT8_P12ihipStream_tbDpT10_ENKUlT_T0_E_clISt17integral_constantIbLb1EES17_IbLb0EEEEDaS13_S14_EUlS13_E_NS1_11comp_targetILNS1_3genE10ELNS1_11target_archE1200ELNS1_3gpuE4ELNS1_3repE0EEENS1_30default_config_static_selectorELNS0_4arch9wavefront6targetE0EEEvT1_ ; -- Begin function _ZN7rocprim17ROCPRIM_400000_NS6detail17trampoline_kernelINS0_14default_configENS1_25partition_config_selectorILNS1_17partition_subalgoE6ExNS0_10empty_typeEbEEZZNS1_14partition_implILS5_6ELb0ES3_mN6thrust23THRUST_200600_302600_NS6detail15normal_iteratorINSA_10device_ptrIxEEEEPS6_SG_NS0_5tupleIJSF_S6_EEENSH_IJSG_SG_EEES6_PlJNSB_9not_fun_tI7is_trueIxEEEEEE10hipError_tPvRmT3_T4_T5_T6_T7_T9_mT8_P12ihipStream_tbDpT10_ENKUlT_T0_E_clISt17integral_constantIbLb1EES17_IbLb0EEEEDaS13_S14_EUlS13_E_NS1_11comp_targetILNS1_3genE10ELNS1_11target_archE1200ELNS1_3gpuE4ELNS1_3repE0EEENS1_30default_config_static_selectorELNS0_4arch9wavefront6targetE0EEEvT1_
	.globl	_ZN7rocprim17ROCPRIM_400000_NS6detail17trampoline_kernelINS0_14default_configENS1_25partition_config_selectorILNS1_17partition_subalgoE6ExNS0_10empty_typeEbEEZZNS1_14partition_implILS5_6ELb0ES3_mN6thrust23THRUST_200600_302600_NS6detail15normal_iteratorINSA_10device_ptrIxEEEEPS6_SG_NS0_5tupleIJSF_S6_EEENSH_IJSG_SG_EEES6_PlJNSB_9not_fun_tI7is_trueIxEEEEEE10hipError_tPvRmT3_T4_T5_T6_T7_T9_mT8_P12ihipStream_tbDpT10_ENKUlT_T0_E_clISt17integral_constantIbLb1EES17_IbLb0EEEEDaS13_S14_EUlS13_E_NS1_11comp_targetILNS1_3genE10ELNS1_11target_archE1200ELNS1_3gpuE4ELNS1_3repE0EEENS1_30default_config_static_selectorELNS0_4arch9wavefront6targetE0EEEvT1_
	.p2align	8
	.type	_ZN7rocprim17ROCPRIM_400000_NS6detail17trampoline_kernelINS0_14default_configENS1_25partition_config_selectorILNS1_17partition_subalgoE6ExNS0_10empty_typeEbEEZZNS1_14partition_implILS5_6ELb0ES3_mN6thrust23THRUST_200600_302600_NS6detail15normal_iteratorINSA_10device_ptrIxEEEEPS6_SG_NS0_5tupleIJSF_S6_EEENSH_IJSG_SG_EEES6_PlJNSB_9not_fun_tI7is_trueIxEEEEEE10hipError_tPvRmT3_T4_T5_T6_T7_T9_mT8_P12ihipStream_tbDpT10_ENKUlT_T0_E_clISt17integral_constantIbLb1EES17_IbLb0EEEEDaS13_S14_EUlS13_E_NS1_11comp_targetILNS1_3genE10ELNS1_11target_archE1200ELNS1_3gpuE4ELNS1_3repE0EEENS1_30default_config_static_selectorELNS0_4arch9wavefront6targetE0EEEvT1_,@function
_ZN7rocprim17ROCPRIM_400000_NS6detail17trampoline_kernelINS0_14default_configENS1_25partition_config_selectorILNS1_17partition_subalgoE6ExNS0_10empty_typeEbEEZZNS1_14partition_implILS5_6ELb0ES3_mN6thrust23THRUST_200600_302600_NS6detail15normal_iteratorINSA_10device_ptrIxEEEEPS6_SG_NS0_5tupleIJSF_S6_EEENSH_IJSG_SG_EEES6_PlJNSB_9not_fun_tI7is_trueIxEEEEEE10hipError_tPvRmT3_T4_T5_T6_T7_T9_mT8_P12ihipStream_tbDpT10_ENKUlT_T0_E_clISt17integral_constantIbLb1EES17_IbLb0EEEEDaS13_S14_EUlS13_E_NS1_11comp_targetILNS1_3genE10ELNS1_11target_archE1200ELNS1_3gpuE4ELNS1_3repE0EEENS1_30default_config_static_selectorELNS0_4arch9wavefront6targetE0EEEvT1_: ; @_ZN7rocprim17ROCPRIM_400000_NS6detail17trampoline_kernelINS0_14default_configENS1_25partition_config_selectorILNS1_17partition_subalgoE6ExNS0_10empty_typeEbEEZZNS1_14partition_implILS5_6ELb0ES3_mN6thrust23THRUST_200600_302600_NS6detail15normal_iteratorINSA_10device_ptrIxEEEEPS6_SG_NS0_5tupleIJSF_S6_EEENSH_IJSG_SG_EEES6_PlJNSB_9not_fun_tI7is_trueIxEEEEEE10hipError_tPvRmT3_T4_T5_T6_T7_T9_mT8_P12ihipStream_tbDpT10_ENKUlT_T0_E_clISt17integral_constantIbLb1EES17_IbLb0EEEEDaS13_S14_EUlS13_E_NS1_11comp_targetILNS1_3genE10ELNS1_11target_archE1200ELNS1_3gpuE4ELNS1_3repE0EEENS1_30default_config_static_selectorELNS0_4arch9wavefront6targetE0EEEvT1_
; %bb.0:
	s_endpgm
	.section	.rodata,"a",@progbits
	.p2align	6, 0x0
	.amdhsa_kernel _ZN7rocprim17ROCPRIM_400000_NS6detail17trampoline_kernelINS0_14default_configENS1_25partition_config_selectorILNS1_17partition_subalgoE6ExNS0_10empty_typeEbEEZZNS1_14partition_implILS5_6ELb0ES3_mN6thrust23THRUST_200600_302600_NS6detail15normal_iteratorINSA_10device_ptrIxEEEEPS6_SG_NS0_5tupleIJSF_S6_EEENSH_IJSG_SG_EEES6_PlJNSB_9not_fun_tI7is_trueIxEEEEEE10hipError_tPvRmT3_T4_T5_T6_T7_T9_mT8_P12ihipStream_tbDpT10_ENKUlT_T0_E_clISt17integral_constantIbLb1EES17_IbLb0EEEEDaS13_S14_EUlS13_E_NS1_11comp_targetILNS1_3genE10ELNS1_11target_archE1200ELNS1_3gpuE4ELNS1_3repE0EEENS1_30default_config_static_selectorELNS0_4arch9wavefront6targetE0EEEvT1_
		.amdhsa_group_segment_fixed_size 0
		.amdhsa_private_segment_fixed_size 0
		.amdhsa_kernarg_size 112
		.amdhsa_user_sgpr_count 2
		.amdhsa_user_sgpr_dispatch_ptr 0
		.amdhsa_user_sgpr_queue_ptr 0
		.amdhsa_user_sgpr_kernarg_segment_ptr 1
		.amdhsa_user_sgpr_dispatch_id 0
		.amdhsa_user_sgpr_private_segment_size 0
		.amdhsa_wavefront_size32 1
		.amdhsa_uses_dynamic_stack 0
		.amdhsa_enable_private_segment 0
		.amdhsa_system_sgpr_workgroup_id_x 1
		.amdhsa_system_sgpr_workgroup_id_y 0
		.amdhsa_system_sgpr_workgroup_id_z 0
		.amdhsa_system_sgpr_workgroup_info 0
		.amdhsa_system_vgpr_workitem_id 0
		.amdhsa_next_free_vgpr 1
		.amdhsa_next_free_sgpr 1
		.amdhsa_reserve_vcc 0
		.amdhsa_float_round_mode_32 0
		.amdhsa_float_round_mode_16_64 0
		.amdhsa_float_denorm_mode_32 3
		.amdhsa_float_denorm_mode_16_64 3
		.amdhsa_fp16_overflow 0
		.amdhsa_workgroup_processor_mode 1
		.amdhsa_memory_ordered 1
		.amdhsa_forward_progress 1
		.amdhsa_inst_pref_size 1
		.amdhsa_round_robin_scheduling 0
		.amdhsa_exception_fp_ieee_invalid_op 0
		.amdhsa_exception_fp_denorm_src 0
		.amdhsa_exception_fp_ieee_div_zero 0
		.amdhsa_exception_fp_ieee_overflow 0
		.amdhsa_exception_fp_ieee_underflow 0
		.amdhsa_exception_fp_ieee_inexact 0
		.amdhsa_exception_int_div_zero 0
	.end_amdhsa_kernel
	.section	.text._ZN7rocprim17ROCPRIM_400000_NS6detail17trampoline_kernelINS0_14default_configENS1_25partition_config_selectorILNS1_17partition_subalgoE6ExNS0_10empty_typeEbEEZZNS1_14partition_implILS5_6ELb0ES3_mN6thrust23THRUST_200600_302600_NS6detail15normal_iteratorINSA_10device_ptrIxEEEEPS6_SG_NS0_5tupleIJSF_S6_EEENSH_IJSG_SG_EEES6_PlJNSB_9not_fun_tI7is_trueIxEEEEEE10hipError_tPvRmT3_T4_T5_T6_T7_T9_mT8_P12ihipStream_tbDpT10_ENKUlT_T0_E_clISt17integral_constantIbLb1EES17_IbLb0EEEEDaS13_S14_EUlS13_E_NS1_11comp_targetILNS1_3genE10ELNS1_11target_archE1200ELNS1_3gpuE4ELNS1_3repE0EEENS1_30default_config_static_selectorELNS0_4arch9wavefront6targetE0EEEvT1_,"axG",@progbits,_ZN7rocprim17ROCPRIM_400000_NS6detail17trampoline_kernelINS0_14default_configENS1_25partition_config_selectorILNS1_17partition_subalgoE6ExNS0_10empty_typeEbEEZZNS1_14partition_implILS5_6ELb0ES3_mN6thrust23THRUST_200600_302600_NS6detail15normal_iteratorINSA_10device_ptrIxEEEEPS6_SG_NS0_5tupleIJSF_S6_EEENSH_IJSG_SG_EEES6_PlJNSB_9not_fun_tI7is_trueIxEEEEEE10hipError_tPvRmT3_T4_T5_T6_T7_T9_mT8_P12ihipStream_tbDpT10_ENKUlT_T0_E_clISt17integral_constantIbLb1EES17_IbLb0EEEEDaS13_S14_EUlS13_E_NS1_11comp_targetILNS1_3genE10ELNS1_11target_archE1200ELNS1_3gpuE4ELNS1_3repE0EEENS1_30default_config_static_selectorELNS0_4arch9wavefront6targetE0EEEvT1_,comdat
.Lfunc_end1226:
	.size	_ZN7rocprim17ROCPRIM_400000_NS6detail17trampoline_kernelINS0_14default_configENS1_25partition_config_selectorILNS1_17partition_subalgoE6ExNS0_10empty_typeEbEEZZNS1_14partition_implILS5_6ELb0ES3_mN6thrust23THRUST_200600_302600_NS6detail15normal_iteratorINSA_10device_ptrIxEEEEPS6_SG_NS0_5tupleIJSF_S6_EEENSH_IJSG_SG_EEES6_PlJNSB_9not_fun_tI7is_trueIxEEEEEE10hipError_tPvRmT3_T4_T5_T6_T7_T9_mT8_P12ihipStream_tbDpT10_ENKUlT_T0_E_clISt17integral_constantIbLb1EES17_IbLb0EEEEDaS13_S14_EUlS13_E_NS1_11comp_targetILNS1_3genE10ELNS1_11target_archE1200ELNS1_3gpuE4ELNS1_3repE0EEENS1_30default_config_static_selectorELNS0_4arch9wavefront6targetE0EEEvT1_, .Lfunc_end1226-_ZN7rocprim17ROCPRIM_400000_NS6detail17trampoline_kernelINS0_14default_configENS1_25partition_config_selectorILNS1_17partition_subalgoE6ExNS0_10empty_typeEbEEZZNS1_14partition_implILS5_6ELb0ES3_mN6thrust23THRUST_200600_302600_NS6detail15normal_iteratorINSA_10device_ptrIxEEEEPS6_SG_NS0_5tupleIJSF_S6_EEENSH_IJSG_SG_EEES6_PlJNSB_9not_fun_tI7is_trueIxEEEEEE10hipError_tPvRmT3_T4_T5_T6_T7_T9_mT8_P12ihipStream_tbDpT10_ENKUlT_T0_E_clISt17integral_constantIbLb1EES17_IbLb0EEEEDaS13_S14_EUlS13_E_NS1_11comp_targetILNS1_3genE10ELNS1_11target_archE1200ELNS1_3gpuE4ELNS1_3repE0EEENS1_30default_config_static_selectorELNS0_4arch9wavefront6targetE0EEEvT1_
                                        ; -- End function
	.set _ZN7rocprim17ROCPRIM_400000_NS6detail17trampoline_kernelINS0_14default_configENS1_25partition_config_selectorILNS1_17partition_subalgoE6ExNS0_10empty_typeEbEEZZNS1_14partition_implILS5_6ELb0ES3_mN6thrust23THRUST_200600_302600_NS6detail15normal_iteratorINSA_10device_ptrIxEEEEPS6_SG_NS0_5tupleIJSF_S6_EEENSH_IJSG_SG_EEES6_PlJNSB_9not_fun_tI7is_trueIxEEEEEE10hipError_tPvRmT3_T4_T5_T6_T7_T9_mT8_P12ihipStream_tbDpT10_ENKUlT_T0_E_clISt17integral_constantIbLb1EES17_IbLb0EEEEDaS13_S14_EUlS13_E_NS1_11comp_targetILNS1_3genE10ELNS1_11target_archE1200ELNS1_3gpuE4ELNS1_3repE0EEENS1_30default_config_static_selectorELNS0_4arch9wavefront6targetE0EEEvT1_.num_vgpr, 0
	.set _ZN7rocprim17ROCPRIM_400000_NS6detail17trampoline_kernelINS0_14default_configENS1_25partition_config_selectorILNS1_17partition_subalgoE6ExNS0_10empty_typeEbEEZZNS1_14partition_implILS5_6ELb0ES3_mN6thrust23THRUST_200600_302600_NS6detail15normal_iteratorINSA_10device_ptrIxEEEEPS6_SG_NS0_5tupleIJSF_S6_EEENSH_IJSG_SG_EEES6_PlJNSB_9not_fun_tI7is_trueIxEEEEEE10hipError_tPvRmT3_T4_T5_T6_T7_T9_mT8_P12ihipStream_tbDpT10_ENKUlT_T0_E_clISt17integral_constantIbLb1EES17_IbLb0EEEEDaS13_S14_EUlS13_E_NS1_11comp_targetILNS1_3genE10ELNS1_11target_archE1200ELNS1_3gpuE4ELNS1_3repE0EEENS1_30default_config_static_selectorELNS0_4arch9wavefront6targetE0EEEvT1_.num_agpr, 0
	.set _ZN7rocprim17ROCPRIM_400000_NS6detail17trampoline_kernelINS0_14default_configENS1_25partition_config_selectorILNS1_17partition_subalgoE6ExNS0_10empty_typeEbEEZZNS1_14partition_implILS5_6ELb0ES3_mN6thrust23THRUST_200600_302600_NS6detail15normal_iteratorINSA_10device_ptrIxEEEEPS6_SG_NS0_5tupleIJSF_S6_EEENSH_IJSG_SG_EEES6_PlJNSB_9not_fun_tI7is_trueIxEEEEEE10hipError_tPvRmT3_T4_T5_T6_T7_T9_mT8_P12ihipStream_tbDpT10_ENKUlT_T0_E_clISt17integral_constantIbLb1EES17_IbLb0EEEEDaS13_S14_EUlS13_E_NS1_11comp_targetILNS1_3genE10ELNS1_11target_archE1200ELNS1_3gpuE4ELNS1_3repE0EEENS1_30default_config_static_selectorELNS0_4arch9wavefront6targetE0EEEvT1_.numbered_sgpr, 0
	.set _ZN7rocprim17ROCPRIM_400000_NS6detail17trampoline_kernelINS0_14default_configENS1_25partition_config_selectorILNS1_17partition_subalgoE6ExNS0_10empty_typeEbEEZZNS1_14partition_implILS5_6ELb0ES3_mN6thrust23THRUST_200600_302600_NS6detail15normal_iteratorINSA_10device_ptrIxEEEEPS6_SG_NS0_5tupleIJSF_S6_EEENSH_IJSG_SG_EEES6_PlJNSB_9not_fun_tI7is_trueIxEEEEEE10hipError_tPvRmT3_T4_T5_T6_T7_T9_mT8_P12ihipStream_tbDpT10_ENKUlT_T0_E_clISt17integral_constantIbLb1EES17_IbLb0EEEEDaS13_S14_EUlS13_E_NS1_11comp_targetILNS1_3genE10ELNS1_11target_archE1200ELNS1_3gpuE4ELNS1_3repE0EEENS1_30default_config_static_selectorELNS0_4arch9wavefront6targetE0EEEvT1_.num_named_barrier, 0
	.set _ZN7rocprim17ROCPRIM_400000_NS6detail17trampoline_kernelINS0_14default_configENS1_25partition_config_selectorILNS1_17partition_subalgoE6ExNS0_10empty_typeEbEEZZNS1_14partition_implILS5_6ELb0ES3_mN6thrust23THRUST_200600_302600_NS6detail15normal_iteratorINSA_10device_ptrIxEEEEPS6_SG_NS0_5tupleIJSF_S6_EEENSH_IJSG_SG_EEES6_PlJNSB_9not_fun_tI7is_trueIxEEEEEE10hipError_tPvRmT3_T4_T5_T6_T7_T9_mT8_P12ihipStream_tbDpT10_ENKUlT_T0_E_clISt17integral_constantIbLb1EES17_IbLb0EEEEDaS13_S14_EUlS13_E_NS1_11comp_targetILNS1_3genE10ELNS1_11target_archE1200ELNS1_3gpuE4ELNS1_3repE0EEENS1_30default_config_static_selectorELNS0_4arch9wavefront6targetE0EEEvT1_.private_seg_size, 0
	.set _ZN7rocprim17ROCPRIM_400000_NS6detail17trampoline_kernelINS0_14default_configENS1_25partition_config_selectorILNS1_17partition_subalgoE6ExNS0_10empty_typeEbEEZZNS1_14partition_implILS5_6ELb0ES3_mN6thrust23THRUST_200600_302600_NS6detail15normal_iteratorINSA_10device_ptrIxEEEEPS6_SG_NS0_5tupleIJSF_S6_EEENSH_IJSG_SG_EEES6_PlJNSB_9not_fun_tI7is_trueIxEEEEEE10hipError_tPvRmT3_T4_T5_T6_T7_T9_mT8_P12ihipStream_tbDpT10_ENKUlT_T0_E_clISt17integral_constantIbLb1EES17_IbLb0EEEEDaS13_S14_EUlS13_E_NS1_11comp_targetILNS1_3genE10ELNS1_11target_archE1200ELNS1_3gpuE4ELNS1_3repE0EEENS1_30default_config_static_selectorELNS0_4arch9wavefront6targetE0EEEvT1_.uses_vcc, 0
	.set _ZN7rocprim17ROCPRIM_400000_NS6detail17trampoline_kernelINS0_14default_configENS1_25partition_config_selectorILNS1_17partition_subalgoE6ExNS0_10empty_typeEbEEZZNS1_14partition_implILS5_6ELb0ES3_mN6thrust23THRUST_200600_302600_NS6detail15normal_iteratorINSA_10device_ptrIxEEEEPS6_SG_NS0_5tupleIJSF_S6_EEENSH_IJSG_SG_EEES6_PlJNSB_9not_fun_tI7is_trueIxEEEEEE10hipError_tPvRmT3_T4_T5_T6_T7_T9_mT8_P12ihipStream_tbDpT10_ENKUlT_T0_E_clISt17integral_constantIbLb1EES17_IbLb0EEEEDaS13_S14_EUlS13_E_NS1_11comp_targetILNS1_3genE10ELNS1_11target_archE1200ELNS1_3gpuE4ELNS1_3repE0EEENS1_30default_config_static_selectorELNS0_4arch9wavefront6targetE0EEEvT1_.uses_flat_scratch, 0
	.set _ZN7rocprim17ROCPRIM_400000_NS6detail17trampoline_kernelINS0_14default_configENS1_25partition_config_selectorILNS1_17partition_subalgoE6ExNS0_10empty_typeEbEEZZNS1_14partition_implILS5_6ELb0ES3_mN6thrust23THRUST_200600_302600_NS6detail15normal_iteratorINSA_10device_ptrIxEEEEPS6_SG_NS0_5tupleIJSF_S6_EEENSH_IJSG_SG_EEES6_PlJNSB_9not_fun_tI7is_trueIxEEEEEE10hipError_tPvRmT3_T4_T5_T6_T7_T9_mT8_P12ihipStream_tbDpT10_ENKUlT_T0_E_clISt17integral_constantIbLb1EES17_IbLb0EEEEDaS13_S14_EUlS13_E_NS1_11comp_targetILNS1_3genE10ELNS1_11target_archE1200ELNS1_3gpuE4ELNS1_3repE0EEENS1_30default_config_static_selectorELNS0_4arch9wavefront6targetE0EEEvT1_.has_dyn_sized_stack, 0
	.set _ZN7rocprim17ROCPRIM_400000_NS6detail17trampoline_kernelINS0_14default_configENS1_25partition_config_selectorILNS1_17partition_subalgoE6ExNS0_10empty_typeEbEEZZNS1_14partition_implILS5_6ELb0ES3_mN6thrust23THRUST_200600_302600_NS6detail15normal_iteratorINSA_10device_ptrIxEEEEPS6_SG_NS0_5tupleIJSF_S6_EEENSH_IJSG_SG_EEES6_PlJNSB_9not_fun_tI7is_trueIxEEEEEE10hipError_tPvRmT3_T4_T5_T6_T7_T9_mT8_P12ihipStream_tbDpT10_ENKUlT_T0_E_clISt17integral_constantIbLb1EES17_IbLb0EEEEDaS13_S14_EUlS13_E_NS1_11comp_targetILNS1_3genE10ELNS1_11target_archE1200ELNS1_3gpuE4ELNS1_3repE0EEENS1_30default_config_static_selectorELNS0_4arch9wavefront6targetE0EEEvT1_.has_recursion, 0
	.set _ZN7rocprim17ROCPRIM_400000_NS6detail17trampoline_kernelINS0_14default_configENS1_25partition_config_selectorILNS1_17partition_subalgoE6ExNS0_10empty_typeEbEEZZNS1_14partition_implILS5_6ELb0ES3_mN6thrust23THRUST_200600_302600_NS6detail15normal_iteratorINSA_10device_ptrIxEEEEPS6_SG_NS0_5tupleIJSF_S6_EEENSH_IJSG_SG_EEES6_PlJNSB_9not_fun_tI7is_trueIxEEEEEE10hipError_tPvRmT3_T4_T5_T6_T7_T9_mT8_P12ihipStream_tbDpT10_ENKUlT_T0_E_clISt17integral_constantIbLb1EES17_IbLb0EEEEDaS13_S14_EUlS13_E_NS1_11comp_targetILNS1_3genE10ELNS1_11target_archE1200ELNS1_3gpuE4ELNS1_3repE0EEENS1_30default_config_static_selectorELNS0_4arch9wavefront6targetE0EEEvT1_.has_indirect_call, 0
	.section	.AMDGPU.csdata,"",@progbits
; Kernel info:
; codeLenInByte = 4
; TotalNumSgprs: 0
; NumVgprs: 0
; ScratchSize: 0
; MemoryBound: 0
; FloatMode: 240
; IeeeMode: 1
; LDSByteSize: 0 bytes/workgroup (compile time only)
; SGPRBlocks: 0
; VGPRBlocks: 0
; NumSGPRsForWavesPerEU: 1
; NumVGPRsForWavesPerEU: 1
; Occupancy: 16
; WaveLimiterHint : 0
; COMPUTE_PGM_RSRC2:SCRATCH_EN: 0
; COMPUTE_PGM_RSRC2:USER_SGPR: 2
; COMPUTE_PGM_RSRC2:TRAP_HANDLER: 0
; COMPUTE_PGM_RSRC2:TGID_X_EN: 1
; COMPUTE_PGM_RSRC2:TGID_Y_EN: 0
; COMPUTE_PGM_RSRC2:TGID_Z_EN: 0
; COMPUTE_PGM_RSRC2:TIDIG_COMP_CNT: 0
	.section	.text._ZN7rocprim17ROCPRIM_400000_NS6detail17trampoline_kernelINS0_14default_configENS1_25partition_config_selectorILNS1_17partition_subalgoE6ExNS0_10empty_typeEbEEZZNS1_14partition_implILS5_6ELb0ES3_mN6thrust23THRUST_200600_302600_NS6detail15normal_iteratorINSA_10device_ptrIxEEEEPS6_SG_NS0_5tupleIJSF_S6_EEENSH_IJSG_SG_EEES6_PlJNSB_9not_fun_tI7is_trueIxEEEEEE10hipError_tPvRmT3_T4_T5_T6_T7_T9_mT8_P12ihipStream_tbDpT10_ENKUlT_T0_E_clISt17integral_constantIbLb1EES17_IbLb0EEEEDaS13_S14_EUlS13_E_NS1_11comp_targetILNS1_3genE9ELNS1_11target_archE1100ELNS1_3gpuE3ELNS1_3repE0EEENS1_30default_config_static_selectorELNS0_4arch9wavefront6targetE0EEEvT1_,"axG",@progbits,_ZN7rocprim17ROCPRIM_400000_NS6detail17trampoline_kernelINS0_14default_configENS1_25partition_config_selectorILNS1_17partition_subalgoE6ExNS0_10empty_typeEbEEZZNS1_14partition_implILS5_6ELb0ES3_mN6thrust23THRUST_200600_302600_NS6detail15normal_iteratorINSA_10device_ptrIxEEEEPS6_SG_NS0_5tupleIJSF_S6_EEENSH_IJSG_SG_EEES6_PlJNSB_9not_fun_tI7is_trueIxEEEEEE10hipError_tPvRmT3_T4_T5_T6_T7_T9_mT8_P12ihipStream_tbDpT10_ENKUlT_T0_E_clISt17integral_constantIbLb1EES17_IbLb0EEEEDaS13_S14_EUlS13_E_NS1_11comp_targetILNS1_3genE9ELNS1_11target_archE1100ELNS1_3gpuE3ELNS1_3repE0EEENS1_30default_config_static_selectorELNS0_4arch9wavefront6targetE0EEEvT1_,comdat
	.protected	_ZN7rocprim17ROCPRIM_400000_NS6detail17trampoline_kernelINS0_14default_configENS1_25partition_config_selectorILNS1_17partition_subalgoE6ExNS0_10empty_typeEbEEZZNS1_14partition_implILS5_6ELb0ES3_mN6thrust23THRUST_200600_302600_NS6detail15normal_iteratorINSA_10device_ptrIxEEEEPS6_SG_NS0_5tupleIJSF_S6_EEENSH_IJSG_SG_EEES6_PlJNSB_9not_fun_tI7is_trueIxEEEEEE10hipError_tPvRmT3_T4_T5_T6_T7_T9_mT8_P12ihipStream_tbDpT10_ENKUlT_T0_E_clISt17integral_constantIbLb1EES17_IbLb0EEEEDaS13_S14_EUlS13_E_NS1_11comp_targetILNS1_3genE9ELNS1_11target_archE1100ELNS1_3gpuE3ELNS1_3repE0EEENS1_30default_config_static_selectorELNS0_4arch9wavefront6targetE0EEEvT1_ ; -- Begin function _ZN7rocprim17ROCPRIM_400000_NS6detail17trampoline_kernelINS0_14default_configENS1_25partition_config_selectorILNS1_17partition_subalgoE6ExNS0_10empty_typeEbEEZZNS1_14partition_implILS5_6ELb0ES3_mN6thrust23THRUST_200600_302600_NS6detail15normal_iteratorINSA_10device_ptrIxEEEEPS6_SG_NS0_5tupleIJSF_S6_EEENSH_IJSG_SG_EEES6_PlJNSB_9not_fun_tI7is_trueIxEEEEEE10hipError_tPvRmT3_T4_T5_T6_T7_T9_mT8_P12ihipStream_tbDpT10_ENKUlT_T0_E_clISt17integral_constantIbLb1EES17_IbLb0EEEEDaS13_S14_EUlS13_E_NS1_11comp_targetILNS1_3genE9ELNS1_11target_archE1100ELNS1_3gpuE3ELNS1_3repE0EEENS1_30default_config_static_selectorELNS0_4arch9wavefront6targetE0EEEvT1_
	.globl	_ZN7rocprim17ROCPRIM_400000_NS6detail17trampoline_kernelINS0_14default_configENS1_25partition_config_selectorILNS1_17partition_subalgoE6ExNS0_10empty_typeEbEEZZNS1_14partition_implILS5_6ELb0ES3_mN6thrust23THRUST_200600_302600_NS6detail15normal_iteratorINSA_10device_ptrIxEEEEPS6_SG_NS0_5tupleIJSF_S6_EEENSH_IJSG_SG_EEES6_PlJNSB_9not_fun_tI7is_trueIxEEEEEE10hipError_tPvRmT3_T4_T5_T6_T7_T9_mT8_P12ihipStream_tbDpT10_ENKUlT_T0_E_clISt17integral_constantIbLb1EES17_IbLb0EEEEDaS13_S14_EUlS13_E_NS1_11comp_targetILNS1_3genE9ELNS1_11target_archE1100ELNS1_3gpuE3ELNS1_3repE0EEENS1_30default_config_static_selectorELNS0_4arch9wavefront6targetE0EEEvT1_
	.p2align	8
	.type	_ZN7rocprim17ROCPRIM_400000_NS6detail17trampoline_kernelINS0_14default_configENS1_25partition_config_selectorILNS1_17partition_subalgoE6ExNS0_10empty_typeEbEEZZNS1_14partition_implILS5_6ELb0ES3_mN6thrust23THRUST_200600_302600_NS6detail15normal_iteratorINSA_10device_ptrIxEEEEPS6_SG_NS0_5tupleIJSF_S6_EEENSH_IJSG_SG_EEES6_PlJNSB_9not_fun_tI7is_trueIxEEEEEE10hipError_tPvRmT3_T4_T5_T6_T7_T9_mT8_P12ihipStream_tbDpT10_ENKUlT_T0_E_clISt17integral_constantIbLb1EES17_IbLb0EEEEDaS13_S14_EUlS13_E_NS1_11comp_targetILNS1_3genE9ELNS1_11target_archE1100ELNS1_3gpuE3ELNS1_3repE0EEENS1_30default_config_static_selectorELNS0_4arch9wavefront6targetE0EEEvT1_,@function
_ZN7rocprim17ROCPRIM_400000_NS6detail17trampoline_kernelINS0_14default_configENS1_25partition_config_selectorILNS1_17partition_subalgoE6ExNS0_10empty_typeEbEEZZNS1_14partition_implILS5_6ELb0ES3_mN6thrust23THRUST_200600_302600_NS6detail15normal_iteratorINSA_10device_ptrIxEEEEPS6_SG_NS0_5tupleIJSF_S6_EEENSH_IJSG_SG_EEES6_PlJNSB_9not_fun_tI7is_trueIxEEEEEE10hipError_tPvRmT3_T4_T5_T6_T7_T9_mT8_P12ihipStream_tbDpT10_ENKUlT_T0_E_clISt17integral_constantIbLb1EES17_IbLb0EEEEDaS13_S14_EUlS13_E_NS1_11comp_targetILNS1_3genE9ELNS1_11target_archE1100ELNS1_3gpuE3ELNS1_3repE0EEENS1_30default_config_static_selectorELNS0_4arch9wavefront6targetE0EEEvT1_: ; @_ZN7rocprim17ROCPRIM_400000_NS6detail17trampoline_kernelINS0_14default_configENS1_25partition_config_selectorILNS1_17partition_subalgoE6ExNS0_10empty_typeEbEEZZNS1_14partition_implILS5_6ELb0ES3_mN6thrust23THRUST_200600_302600_NS6detail15normal_iteratorINSA_10device_ptrIxEEEEPS6_SG_NS0_5tupleIJSF_S6_EEENSH_IJSG_SG_EEES6_PlJNSB_9not_fun_tI7is_trueIxEEEEEE10hipError_tPvRmT3_T4_T5_T6_T7_T9_mT8_P12ihipStream_tbDpT10_ENKUlT_T0_E_clISt17integral_constantIbLb1EES17_IbLb0EEEEDaS13_S14_EUlS13_E_NS1_11comp_targetILNS1_3genE9ELNS1_11target_archE1100ELNS1_3gpuE3ELNS1_3repE0EEENS1_30default_config_static_selectorELNS0_4arch9wavefront6targetE0EEEvT1_
; %bb.0:
	.section	.rodata,"a",@progbits
	.p2align	6, 0x0
	.amdhsa_kernel _ZN7rocprim17ROCPRIM_400000_NS6detail17trampoline_kernelINS0_14default_configENS1_25partition_config_selectorILNS1_17partition_subalgoE6ExNS0_10empty_typeEbEEZZNS1_14partition_implILS5_6ELb0ES3_mN6thrust23THRUST_200600_302600_NS6detail15normal_iteratorINSA_10device_ptrIxEEEEPS6_SG_NS0_5tupleIJSF_S6_EEENSH_IJSG_SG_EEES6_PlJNSB_9not_fun_tI7is_trueIxEEEEEE10hipError_tPvRmT3_T4_T5_T6_T7_T9_mT8_P12ihipStream_tbDpT10_ENKUlT_T0_E_clISt17integral_constantIbLb1EES17_IbLb0EEEEDaS13_S14_EUlS13_E_NS1_11comp_targetILNS1_3genE9ELNS1_11target_archE1100ELNS1_3gpuE3ELNS1_3repE0EEENS1_30default_config_static_selectorELNS0_4arch9wavefront6targetE0EEEvT1_
		.amdhsa_group_segment_fixed_size 0
		.amdhsa_private_segment_fixed_size 0
		.amdhsa_kernarg_size 112
		.amdhsa_user_sgpr_count 2
		.amdhsa_user_sgpr_dispatch_ptr 0
		.amdhsa_user_sgpr_queue_ptr 0
		.amdhsa_user_sgpr_kernarg_segment_ptr 1
		.amdhsa_user_sgpr_dispatch_id 0
		.amdhsa_user_sgpr_private_segment_size 0
		.amdhsa_wavefront_size32 1
		.amdhsa_uses_dynamic_stack 0
		.amdhsa_enable_private_segment 0
		.amdhsa_system_sgpr_workgroup_id_x 1
		.amdhsa_system_sgpr_workgroup_id_y 0
		.amdhsa_system_sgpr_workgroup_id_z 0
		.amdhsa_system_sgpr_workgroup_info 0
		.amdhsa_system_vgpr_workitem_id 0
		.amdhsa_next_free_vgpr 1
		.amdhsa_next_free_sgpr 1
		.amdhsa_reserve_vcc 0
		.amdhsa_float_round_mode_32 0
		.amdhsa_float_round_mode_16_64 0
		.amdhsa_float_denorm_mode_32 3
		.amdhsa_float_denorm_mode_16_64 3
		.amdhsa_fp16_overflow 0
		.amdhsa_workgroup_processor_mode 1
		.amdhsa_memory_ordered 1
		.amdhsa_forward_progress 1
		.amdhsa_inst_pref_size 0
		.amdhsa_round_robin_scheduling 0
		.amdhsa_exception_fp_ieee_invalid_op 0
		.amdhsa_exception_fp_denorm_src 0
		.amdhsa_exception_fp_ieee_div_zero 0
		.amdhsa_exception_fp_ieee_overflow 0
		.amdhsa_exception_fp_ieee_underflow 0
		.amdhsa_exception_fp_ieee_inexact 0
		.amdhsa_exception_int_div_zero 0
	.end_amdhsa_kernel
	.section	.text._ZN7rocprim17ROCPRIM_400000_NS6detail17trampoline_kernelINS0_14default_configENS1_25partition_config_selectorILNS1_17partition_subalgoE6ExNS0_10empty_typeEbEEZZNS1_14partition_implILS5_6ELb0ES3_mN6thrust23THRUST_200600_302600_NS6detail15normal_iteratorINSA_10device_ptrIxEEEEPS6_SG_NS0_5tupleIJSF_S6_EEENSH_IJSG_SG_EEES6_PlJNSB_9not_fun_tI7is_trueIxEEEEEE10hipError_tPvRmT3_T4_T5_T6_T7_T9_mT8_P12ihipStream_tbDpT10_ENKUlT_T0_E_clISt17integral_constantIbLb1EES17_IbLb0EEEEDaS13_S14_EUlS13_E_NS1_11comp_targetILNS1_3genE9ELNS1_11target_archE1100ELNS1_3gpuE3ELNS1_3repE0EEENS1_30default_config_static_selectorELNS0_4arch9wavefront6targetE0EEEvT1_,"axG",@progbits,_ZN7rocprim17ROCPRIM_400000_NS6detail17trampoline_kernelINS0_14default_configENS1_25partition_config_selectorILNS1_17partition_subalgoE6ExNS0_10empty_typeEbEEZZNS1_14partition_implILS5_6ELb0ES3_mN6thrust23THRUST_200600_302600_NS6detail15normal_iteratorINSA_10device_ptrIxEEEEPS6_SG_NS0_5tupleIJSF_S6_EEENSH_IJSG_SG_EEES6_PlJNSB_9not_fun_tI7is_trueIxEEEEEE10hipError_tPvRmT3_T4_T5_T6_T7_T9_mT8_P12ihipStream_tbDpT10_ENKUlT_T0_E_clISt17integral_constantIbLb1EES17_IbLb0EEEEDaS13_S14_EUlS13_E_NS1_11comp_targetILNS1_3genE9ELNS1_11target_archE1100ELNS1_3gpuE3ELNS1_3repE0EEENS1_30default_config_static_selectorELNS0_4arch9wavefront6targetE0EEEvT1_,comdat
.Lfunc_end1227:
	.size	_ZN7rocprim17ROCPRIM_400000_NS6detail17trampoline_kernelINS0_14default_configENS1_25partition_config_selectorILNS1_17partition_subalgoE6ExNS0_10empty_typeEbEEZZNS1_14partition_implILS5_6ELb0ES3_mN6thrust23THRUST_200600_302600_NS6detail15normal_iteratorINSA_10device_ptrIxEEEEPS6_SG_NS0_5tupleIJSF_S6_EEENSH_IJSG_SG_EEES6_PlJNSB_9not_fun_tI7is_trueIxEEEEEE10hipError_tPvRmT3_T4_T5_T6_T7_T9_mT8_P12ihipStream_tbDpT10_ENKUlT_T0_E_clISt17integral_constantIbLb1EES17_IbLb0EEEEDaS13_S14_EUlS13_E_NS1_11comp_targetILNS1_3genE9ELNS1_11target_archE1100ELNS1_3gpuE3ELNS1_3repE0EEENS1_30default_config_static_selectorELNS0_4arch9wavefront6targetE0EEEvT1_, .Lfunc_end1227-_ZN7rocprim17ROCPRIM_400000_NS6detail17trampoline_kernelINS0_14default_configENS1_25partition_config_selectorILNS1_17partition_subalgoE6ExNS0_10empty_typeEbEEZZNS1_14partition_implILS5_6ELb0ES3_mN6thrust23THRUST_200600_302600_NS6detail15normal_iteratorINSA_10device_ptrIxEEEEPS6_SG_NS0_5tupleIJSF_S6_EEENSH_IJSG_SG_EEES6_PlJNSB_9not_fun_tI7is_trueIxEEEEEE10hipError_tPvRmT3_T4_T5_T6_T7_T9_mT8_P12ihipStream_tbDpT10_ENKUlT_T0_E_clISt17integral_constantIbLb1EES17_IbLb0EEEEDaS13_S14_EUlS13_E_NS1_11comp_targetILNS1_3genE9ELNS1_11target_archE1100ELNS1_3gpuE3ELNS1_3repE0EEENS1_30default_config_static_selectorELNS0_4arch9wavefront6targetE0EEEvT1_
                                        ; -- End function
	.set _ZN7rocprim17ROCPRIM_400000_NS6detail17trampoline_kernelINS0_14default_configENS1_25partition_config_selectorILNS1_17partition_subalgoE6ExNS0_10empty_typeEbEEZZNS1_14partition_implILS5_6ELb0ES3_mN6thrust23THRUST_200600_302600_NS6detail15normal_iteratorINSA_10device_ptrIxEEEEPS6_SG_NS0_5tupleIJSF_S6_EEENSH_IJSG_SG_EEES6_PlJNSB_9not_fun_tI7is_trueIxEEEEEE10hipError_tPvRmT3_T4_T5_T6_T7_T9_mT8_P12ihipStream_tbDpT10_ENKUlT_T0_E_clISt17integral_constantIbLb1EES17_IbLb0EEEEDaS13_S14_EUlS13_E_NS1_11comp_targetILNS1_3genE9ELNS1_11target_archE1100ELNS1_3gpuE3ELNS1_3repE0EEENS1_30default_config_static_selectorELNS0_4arch9wavefront6targetE0EEEvT1_.num_vgpr, 0
	.set _ZN7rocprim17ROCPRIM_400000_NS6detail17trampoline_kernelINS0_14default_configENS1_25partition_config_selectorILNS1_17partition_subalgoE6ExNS0_10empty_typeEbEEZZNS1_14partition_implILS5_6ELb0ES3_mN6thrust23THRUST_200600_302600_NS6detail15normal_iteratorINSA_10device_ptrIxEEEEPS6_SG_NS0_5tupleIJSF_S6_EEENSH_IJSG_SG_EEES6_PlJNSB_9not_fun_tI7is_trueIxEEEEEE10hipError_tPvRmT3_T4_T5_T6_T7_T9_mT8_P12ihipStream_tbDpT10_ENKUlT_T0_E_clISt17integral_constantIbLb1EES17_IbLb0EEEEDaS13_S14_EUlS13_E_NS1_11comp_targetILNS1_3genE9ELNS1_11target_archE1100ELNS1_3gpuE3ELNS1_3repE0EEENS1_30default_config_static_selectorELNS0_4arch9wavefront6targetE0EEEvT1_.num_agpr, 0
	.set _ZN7rocprim17ROCPRIM_400000_NS6detail17trampoline_kernelINS0_14default_configENS1_25partition_config_selectorILNS1_17partition_subalgoE6ExNS0_10empty_typeEbEEZZNS1_14partition_implILS5_6ELb0ES3_mN6thrust23THRUST_200600_302600_NS6detail15normal_iteratorINSA_10device_ptrIxEEEEPS6_SG_NS0_5tupleIJSF_S6_EEENSH_IJSG_SG_EEES6_PlJNSB_9not_fun_tI7is_trueIxEEEEEE10hipError_tPvRmT3_T4_T5_T6_T7_T9_mT8_P12ihipStream_tbDpT10_ENKUlT_T0_E_clISt17integral_constantIbLb1EES17_IbLb0EEEEDaS13_S14_EUlS13_E_NS1_11comp_targetILNS1_3genE9ELNS1_11target_archE1100ELNS1_3gpuE3ELNS1_3repE0EEENS1_30default_config_static_selectorELNS0_4arch9wavefront6targetE0EEEvT1_.numbered_sgpr, 0
	.set _ZN7rocprim17ROCPRIM_400000_NS6detail17trampoline_kernelINS0_14default_configENS1_25partition_config_selectorILNS1_17partition_subalgoE6ExNS0_10empty_typeEbEEZZNS1_14partition_implILS5_6ELb0ES3_mN6thrust23THRUST_200600_302600_NS6detail15normal_iteratorINSA_10device_ptrIxEEEEPS6_SG_NS0_5tupleIJSF_S6_EEENSH_IJSG_SG_EEES6_PlJNSB_9not_fun_tI7is_trueIxEEEEEE10hipError_tPvRmT3_T4_T5_T6_T7_T9_mT8_P12ihipStream_tbDpT10_ENKUlT_T0_E_clISt17integral_constantIbLb1EES17_IbLb0EEEEDaS13_S14_EUlS13_E_NS1_11comp_targetILNS1_3genE9ELNS1_11target_archE1100ELNS1_3gpuE3ELNS1_3repE0EEENS1_30default_config_static_selectorELNS0_4arch9wavefront6targetE0EEEvT1_.num_named_barrier, 0
	.set _ZN7rocprim17ROCPRIM_400000_NS6detail17trampoline_kernelINS0_14default_configENS1_25partition_config_selectorILNS1_17partition_subalgoE6ExNS0_10empty_typeEbEEZZNS1_14partition_implILS5_6ELb0ES3_mN6thrust23THRUST_200600_302600_NS6detail15normal_iteratorINSA_10device_ptrIxEEEEPS6_SG_NS0_5tupleIJSF_S6_EEENSH_IJSG_SG_EEES6_PlJNSB_9not_fun_tI7is_trueIxEEEEEE10hipError_tPvRmT3_T4_T5_T6_T7_T9_mT8_P12ihipStream_tbDpT10_ENKUlT_T0_E_clISt17integral_constantIbLb1EES17_IbLb0EEEEDaS13_S14_EUlS13_E_NS1_11comp_targetILNS1_3genE9ELNS1_11target_archE1100ELNS1_3gpuE3ELNS1_3repE0EEENS1_30default_config_static_selectorELNS0_4arch9wavefront6targetE0EEEvT1_.private_seg_size, 0
	.set _ZN7rocprim17ROCPRIM_400000_NS6detail17trampoline_kernelINS0_14default_configENS1_25partition_config_selectorILNS1_17partition_subalgoE6ExNS0_10empty_typeEbEEZZNS1_14partition_implILS5_6ELb0ES3_mN6thrust23THRUST_200600_302600_NS6detail15normal_iteratorINSA_10device_ptrIxEEEEPS6_SG_NS0_5tupleIJSF_S6_EEENSH_IJSG_SG_EEES6_PlJNSB_9not_fun_tI7is_trueIxEEEEEE10hipError_tPvRmT3_T4_T5_T6_T7_T9_mT8_P12ihipStream_tbDpT10_ENKUlT_T0_E_clISt17integral_constantIbLb1EES17_IbLb0EEEEDaS13_S14_EUlS13_E_NS1_11comp_targetILNS1_3genE9ELNS1_11target_archE1100ELNS1_3gpuE3ELNS1_3repE0EEENS1_30default_config_static_selectorELNS0_4arch9wavefront6targetE0EEEvT1_.uses_vcc, 0
	.set _ZN7rocprim17ROCPRIM_400000_NS6detail17trampoline_kernelINS0_14default_configENS1_25partition_config_selectorILNS1_17partition_subalgoE6ExNS0_10empty_typeEbEEZZNS1_14partition_implILS5_6ELb0ES3_mN6thrust23THRUST_200600_302600_NS6detail15normal_iteratorINSA_10device_ptrIxEEEEPS6_SG_NS0_5tupleIJSF_S6_EEENSH_IJSG_SG_EEES6_PlJNSB_9not_fun_tI7is_trueIxEEEEEE10hipError_tPvRmT3_T4_T5_T6_T7_T9_mT8_P12ihipStream_tbDpT10_ENKUlT_T0_E_clISt17integral_constantIbLb1EES17_IbLb0EEEEDaS13_S14_EUlS13_E_NS1_11comp_targetILNS1_3genE9ELNS1_11target_archE1100ELNS1_3gpuE3ELNS1_3repE0EEENS1_30default_config_static_selectorELNS0_4arch9wavefront6targetE0EEEvT1_.uses_flat_scratch, 0
	.set _ZN7rocprim17ROCPRIM_400000_NS6detail17trampoline_kernelINS0_14default_configENS1_25partition_config_selectorILNS1_17partition_subalgoE6ExNS0_10empty_typeEbEEZZNS1_14partition_implILS5_6ELb0ES3_mN6thrust23THRUST_200600_302600_NS6detail15normal_iteratorINSA_10device_ptrIxEEEEPS6_SG_NS0_5tupleIJSF_S6_EEENSH_IJSG_SG_EEES6_PlJNSB_9not_fun_tI7is_trueIxEEEEEE10hipError_tPvRmT3_T4_T5_T6_T7_T9_mT8_P12ihipStream_tbDpT10_ENKUlT_T0_E_clISt17integral_constantIbLb1EES17_IbLb0EEEEDaS13_S14_EUlS13_E_NS1_11comp_targetILNS1_3genE9ELNS1_11target_archE1100ELNS1_3gpuE3ELNS1_3repE0EEENS1_30default_config_static_selectorELNS0_4arch9wavefront6targetE0EEEvT1_.has_dyn_sized_stack, 0
	.set _ZN7rocprim17ROCPRIM_400000_NS6detail17trampoline_kernelINS0_14default_configENS1_25partition_config_selectorILNS1_17partition_subalgoE6ExNS0_10empty_typeEbEEZZNS1_14partition_implILS5_6ELb0ES3_mN6thrust23THRUST_200600_302600_NS6detail15normal_iteratorINSA_10device_ptrIxEEEEPS6_SG_NS0_5tupleIJSF_S6_EEENSH_IJSG_SG_EEES6_PlJNSB_9not_fun_tI7is_trueIxEEEEEE10hipError_tPvRmT3_T4_T5_T6_T7_T9_mT8_P12ihipStream_tbDpT10_ENKUlT_T0_E_clISt17integral_constantIbLb1EES17_IbLb0EEEEDaS13_S14_EUlS13_E_NS1_11comp_targetILNS1_3genE9ELNS1_11target_archE1100ELNS1_3gpuE3ELNS1_3repE0EEENS1_30default_config_static_selectorELNS0_4arch9wavefront6targetE0EEEvT1_.has_recursion, 0
	.set _ZN7rocprim17ROCPRIM_400000_NS6detail17trampoline_kernelINS0_14default_configENS1_25partition_config_selectorILNS1_17partition_subalgoE6ExNS0_10empty_typeEbEEZZNS1_14partition_implILS5_6ELb0ES3_mN6thrust23THRUST_200600_302600_NS6detail15normal_iteratorINSA_10device_ptrIxEEEEPS6_SG_NS0_5tupleIJSF_S6_EEENSH_IJSG_SG_EEES6_PlJNSB_9not_fun_tI7is_trueIxEEEEEE10hipError_tPvRmT3_T4_T5_T6_T7_T9_mT8_P12ihipStream_tbDpT10_ENKUlT_T0_E_clISt17integral_constantIbLb1EES17_IbLb0EEEEDaS13_S14_EUlS13_E_NS1_11comp_targetILNS1_3genE9ELNS1_11target_archE1100ELNS1_3gpuE3ELNS1_3repE0EEENS1_30default_config_static_selectorELNS0_4arch9wavefront6targetE0EEEvT1_.has_indirect_call, 0
	.section	.AMDGPU.csdata,"",@progbits
; Kernel info:
; codeLenInByte = 0
; TotalNumSgprs: 0
; NumVgprs: 0
; ScratchSize: 0
; MemoryBound: 0
; FloatMode: 240
; IeeeMode: 1
; LDSByteSize: 0 bytes/workgroup (compile time only)
; SGPRBlocks: 0
; VGPRBlocks: 0
; NumSGPRsForWavesPerEU: 1
; NumVGPRsForWavesPerEU: 1
; Occupancy: 16
; WaveLimiterHint : 0
; COMPUTE_PGM_RSRC2:SCRATCH_EN: 0
; COMPUTE_PGM_RSRC2:USER_SGPR: 2
; COMPUTE_PGM_RSRC2:TRAP_HANDLER: 0
; COMPUTE_PGM_RSRC2:TGID_X_EN: 1
; COMPUTE_PGM_RSRC2:TGID_Y_EN: 0
; COMPUTE_PGM_RSRC2:TGID_Z_EN: 0
; COMPUTE_PGM_RSRC2:TIDIG_COMP_CNT: 0
	.section	.text._ZN7rocprim17ROCPRIM_400000_NS6detail17trampoline_kernelINS0_14default_configENS1_25partition_config_selectorILNS1_17partition_subalgoE6ExNS0_10empty_typeEbEEZZNS1_14partition_implILS5_6ELb0ES3_mN6thrust23THRUST_200600_302600_NS6detail15normal_iteratorINSA_10device_ptrIxEEEEPS6_SG_NS0_5tupleIJSF_S6_EEENSH_IJSG_SG_EEES6_PlJNSB_9not_fun_tI7is_trueIxEEEEEE10hipError_tPvRmT3_T4_T5_T6_T7_T9_mT8_P12ihipStream_tbDpT10_ENKUlT_T0_E_clISt17integral_constantIbLb1EES17_IbLb0EEEEDaS13_S14_EUlS13_E_NS1_11comp_targetILNS1_3genE8ELNS1_11target_archE1030ELNS1_3gpuE2ELNS1_3repE0EEENS1_30default_config_static_selectorELNS0_4arch9wavefront6targetE0EEEvT1_,"axG",@progbits,_ZN7rocprim17ROCPRIM_400000_NS6detail17trampoline_kernelINS0_14default_configENS1_25partition_config_selectorILNS1_17partition_subalgoE6ExNS0_10empty_typeEbEEZZNS1_14partition_implILS5_6ELb0ES3_mN6thrust23THRUST_200600_302600_NS6detail15normal_iteratorINSA_10device_ptrIxEEEEPS6_SG_NS0_5tupleIJSF_S6_EEENSH_IJSG_SG_EEES6_PlJNSB_9not_fun_tI7is_trueIxEEEEEE10hipError_tPvRmT3_T4_T5_T6_T7_T9_mT8_P12ihipStream_tbDpT10_ENKUlT_T0_E_clISt17integral_constantIbLb1EES17_IbLb0EEEEDaS13_S14_EUlS13_E_NS1_11comp_targetILNS1_3genE8ELNS1_11target_archE1030ELNS1_3gpuE2ELNS1_3repE0EEENS1_30default_config_static_selectorELNS0_4arch9wavefront6targetE0EEEvT1_,comdat
	.protected	_ZN7rocprim17ROCPRIM_400000_NS6detail17trampoline_kernelINS0_14default_configENS1_25partition_config_selectorILNS1_17partition_subalgoE6ExNS0_10empty_typeEbEEZZNS1_14partition_implILS5_6ELb0ES3_mN6thrust23THRUST_200600_302600_NS6detail15normal_iteratorINSA_10device_ptrIxEEEEPS6_SG_NS0_5tupleIJSF_S6_EEENSH_IJSG_SG_EEES6_PlJNSB_9not_fun_tI7is_trueIxEEEEEE10hipError_tPvRmT3_T4_T5_T6_T7_T9_mT8_P12ihipStream_tbDpT10_ENKUlT_T0_E_clISt17integral_constantIbLb1EES17_IbLb0EEEEDaS13_S14_EUlS13_E_NS1_11comp_targetILNS1_3genE8ELNS1_11target_archE1030ELNS1_3gpuE2ELNS1_3repE0EEENS1_30default_config_static_selectorELNS0_4arch9wavefront6targetE0EEEvT1_ ; -- Begin function _ZN7rocprim17ROCPRIM_400000_NS6detail17trampoline_kernelINS0_14default_configENS1_25partition_config_selectorILNS1_17partition_subalgoE6ExNS0_10empty_typeEbEEZZNS1_14partition_implILS5_6ELb0ES3_mN6thrust23THRUST_200600_302600_NS6detail15normal_iteratorINSA_10device_ptrIxEEEEPS6_SG_NS0_5tupleIJSF_S6_EEENSH_IJSG_SG_EEES6_PlJNSB_9not_fun_tI7is_trueIxEEEEEE10hipError_tPvRmT3_T4_T5_T6_T7_T9_mT8_P12ihipStream_tbDpT10_ENKUlT_T0_E_clISt17integral_constantIbLb1EES17_IbLb0EEEEDaS13_S14_EUlS13_E_NS1_11comp_targetILNS1_3genE8ELNS1_11target_archE1030ELNS1_3gpuE2ELNS1_3repE0EEENS1_30default_config_static_selectorELNS0_4arch9wavefront6targetE0EEEvT1_
	.globl	_ZN7rocprim17ROCPRIM_400000_NS6detail17trampoline_kernelINS0_14default_configENS1_25partition_config_selectorILNS1_17partition_subalgoE6ExNS0_10empty_typeEbEEZZNS1_14partition_implILS5_6ELb0ES3_mN6thrust23THRUST_200600_302600_NS6detail15normal_iteratorINSA_10device_ptrIxEEEEPS6_SG_NS0_5tupleIJSF_S6_EEENSH_IJSG_SG_EEES6_PlJNSB_9not_fun_tI7is_trueIxEEEEEE10hipError_tPvRmT3_T4_T5_T6_T7_T9_mT8_P12ihipStream_tbDpT10_ENKUlT_T0_E_clISt17integral_constantIbLb1EES17_IbLb0EEEEDaS13_S14_EUlS13_E_NS1_11comp_targetILNS1_3genE8ELNS1_11target_archE1030ELNS1_3gpuE2ELNS1_3repE0EEENS1_30default_config_static_selectorELNS0_4arch9wavefront6targetE0EEEvT1_
	.p2align	8
	.type	_ZN7rocprim17ROCPRIM_400000_NS6detail17trampoline_kernelINS0_14default_configENS1_25partition_config_selectorILNS1_17partition_subalgoE6ExNS0_10empty_typeEbEEZZNS1_14partition_implILS5_6ELb0ES3_mN6thrust23THRUST_200600_302600_NS6detail15normal_iteratorINSA_10device_ptrIxEEEEPS6_SG_NS0_5tupleIJSF_S6_EEENSH_IJSG_SG_EEES6_PlJNSB_9not_fun_tI7is_trueIxEEEEEE10hipError_tPvRmT3_T4_T5_T6_T7_T9_mT8_P12ihipStream_tbDpT10_ENKUlT_T0_E_clISt17integral_constantIbLb1EES17_IbLb0EEEEDaS13_S14_EUlS13_E_NS1_11comp_targetILNS1_3genE8ELNS1_11target_archE1030ELNS1_3gpuE2ELNS1_3repE0EEENS1_30default_config_static_selectorELNS0_4arch9wavefront6targetE0EEEvT1_,@function
_ZN7rocprim17ROCPRIM_400000_NS6detail17trampoline_kernelINS0_14default_configENS1_25partition_config_selectorILNS1_17partition_subalgoE6ExNS0_10empty_typeEbEEZZNS1_14partition_implILS5_6ELb0ES3_mN6thrust23THRUST_200600_302600_NS6detail15normal_iteratorINSA_10device_ptrIxEEEEPS6_SG_NS0_5tupleIJSF_S6_EEENSH_IJSG_SG_EEES6_PlJNSB_9not_fun_tI7is_trueIxEEEEEE10hipError_tPvRmT3_T4_T5_T6_T7_T9_mT8_P12ihipStream_tbDpT10_ENKUlT_T0_E_clISt17integral_constantIbLb1EES17_IbLb0EEEEDaS13_S14_EUlS13_E_NS1_11comp_targetILNS1_3genE8ELNS1_11target_archE1030ELNS1_3gpuE2ELNS1_3repE0EEENS1_30default_config_static_selectorELNS0_4arch9wavefront6targetE0EEEvT1_: ; @_ZN7rocprim17ROCPRIM_400000_NS6detail17trampoline_kernelINS0_14default_configENS1_25partition_config_selectorILNS1_17partition_subalgoE6ExNS0_10empty_typeEbEEZZNS1_14partition_implILS5_6ELb0ES3_mN6thrust23THRUST_200600_302600_NS6detail15normal_iteratorINSA_10device_ptrIxEEEEPS6_SG_NS0_5tupleIJSF_S6_EEENSH_IJSG_SG_EEES6_PlJNSB_9not_fun_tI7is_trueIxEEEEEE10hipError_tPvRmT3_T4_T5_T6_T7_T9_mT8_P12ihipStream_tbDpT10_ENKUlT_T0_E_clISt17integral_constantIbLb1EES17_IbLb0EEEEDaS13_S14_EUlS13_E_NS1_11comp_targetILNS1_3genE8ELNS1_11target_archE1030ELNS1_3gpuE2ELNS1_3repE0EEENS1_30default_config_static_selectorELNS0_4arch9wavefront6targetE0EEEvT1_
; %bb.0:
	.section	.rodata,"a",@progbits
	.p2align	6, 0x0
	.amdhsa_kernel _ZN7rocprim17ROCPRIM_400000_NS6detail17trampoline_kernelINS0_14default_configENS1_25partition_config_selectorILNS1_17partition_subalgoE6ExNS0_10empty_typeEbEEZZNS1_14partition_implILS5_6ELb0ES3_mN6thrust23THRUST_200600_302600_NS6detail15normal_iteratorINSA_10device_ptrIxEEEEPS6_SG_NS0_5tupleIJSF_S6_EEENSH_IJSG_SG_EEES6_PlJNSB_9not_fun_tI7is_trueIxEEEEEE10hipError_tPvRmT3_T4_T5_T6_T7_T9_mT8_P12ihipStream_tbDpT10_ENKUlT_T0_E_clISt17integral_constantIbLb1EES17_IbLb0EEEEDaS13_S14_EUlS13_E_NS1_11comp_targetILNS1_3genE8ELNS1_11target_archE1030ELNS1_3gpuE2ELNS1_3repE0EEENS1_30default_config_static_selectorELNS0_4arch9wavefront6targetE0EEEvT1_
		.amdhsa_group_segment_fixed_size 0
		.amdhsa_private_segment_fixed_size 0
		.amdhsa_kernarg_size 112
		.amdhsa_user_sgpr_count 2
		.amdhsa_user_sgpr_dispatch_ptr 0
		.amdhsa_user_sgpr_queue_ptr 0
		.amdhsa_user_sgpr_kernarg_segment_ptr 1
		.amdhsa_user_sgpr_dispatch_id 0
		.amdhsa_user_sgpr_private_segment_size 0
		.amdhsa_wavefront_size32 1
		.amdhsa_uses_dynamic_stack 0
		.amdhsa_enable_private_segment 0
		.amdhsa_system_sgpr_workgroup_id_x 1
		.amdhsa_system_sgpr_workgroup_id_y 0
		.amdhsa_system_sgpr_workgroup_id_z 0
		.amdhsa_system_sgpr_workgroup_info 0
		.amdhsa_system_vgpr_workitem_id 0
		.amdhsa_next_free_vgpr 1
		.amdhsa_next_free_sgpr 1
		.amdhsa_reserve_vcc 0
		.amdhsa_float_round_mode_32 0
		.amdhsa_float_round_mode_16_64 0
		.amdhsa_float_denorm_mode_32 3
		.amdhsa_float_denorm_mode_16_64 3
		.amdhsa_fp16_overflow 0
		.amdhsa_workgroup_processor_mode 1
		.amdhsa_memory_ordered 1
		.amdhsa_forward_progress 1
		.amdhsa_inst_pref_size 0
		.amdhsa_round_robin_scheduling 0
		.amdhsa_exception_fp_ieee_invalid_op 0
		.amdhsa_exception_fp_denorm_src 0
		.amdhsa_exception_fp_ieee_div_zero 0
		.amdhsa_exception_fp_ieee_overflow 0
		.amdhsa_exception_fp_ieee_underflow 0
		.amdhsa_exception_fp_ieee_inexact 0
		.amdhsa_exception_int_div_zero 0
	.end_amdhsa_kernel
	.section	.text._ZN7rocprim17ROCPRIM_400000_NS6detail17trampoline_kernelINS0_14default_configENS1_25partition_config_selectorILNS1_17partition_subalgoE6ExNS0_10empty_typeEbEEZZNS1_14partition_implILS5_6ELb0ES3_mN6thrust23THRUST_200600_302600_NS6detail15normal_iteratorINSA_10device_ptrIxEEEEPS6_SG_NS0_5tupleIJSF_S6_EEENSH_IJSG_SG_EEES6_PlJNSB_9not_fun_tI7is_trueIxEEEEEE10hipError_tPvRmT3_T4_T5_T6_T7_T9_mT8_P12ihipStream_tbDpT10_ENKUlT_T0_E_clISt17integral_constantIbLb1EES17_IbLb0EEEEDaS13_S14_EUlS13_E_NS1_11comp_targetILNS1_3genE8ELNS1_11target_archE1030ELNS1_3gpuE2ELNS1_3repE0EEENS1_30default_config_static_selectorELNS0_4arch9wavefront6targetE0EEEvT1_,"axG",@progbits,_ZN7rocprim17ROCPRIM_400000_NS6detail17trampoline_kernelINS0_14default_configENS1_25partition_config_selectorILNS1_17partition_subalgoE6ExNS0_10empty_typeEbEEZZNS1_14partition_implILS5_6ELb0ES3_mN6thrust23THRUST_200600_302600_NS6detail15normal_iteratorINSA_10device_ptrIxEEEEPS6_SG_NS0_5tupleIJSF_S6_EEENSH_IJSG_SG_EEES6_PlJNSB_9not_fun_tI7is_trueIxEEEEEE10hipError_tPvRmT3_T4_T5_T6_T7_T9_mT8_P12ihipStream_tbDpT10_ENKUlT_T0_E_clISt17integral_constantIbLb1EES17_IbLb0EEEEDaS13_S14_EUlS13_E_NS1_11comp_targetILNS1_3genE8ELNS1_11target_archE1030ELNS1_3gpuE2ELNS1_3repE0EEENS1_30default_config_static_selectorELNS0_4arch9wavefront6targetE0EEEvT1_,comdat
.Lfunc_end1228:
	.size	_ZN7rocprim17ROCPRIM_400000_NS6detail17trampoline_kernelINS0_14default_configENS1_25partition_config_selectorILNS1_17partition_subalgoE6ExNS0_10empty_typeEbEEZZNS1_14partition_implILS5_6ELb0ES3_mN6thrust23THRUST_200600_302600_NS6detail15normal_iteratorINSA_10device_ptrIxEEEEPS6_SG_NS0_5tupleIJSF_S6_EEENSH_IJSG_SG_EEES6_PlJNSB_9not_fun_tI7is_trueIxEEEEEE10hipError_tPvRmT3_T4_T5_T6_T7_T9_mT8_P12ihipStream_tbDpT10_ENKUlT_T0_E_clISt17integral_constantIbLb1EES17_IbLb0EEEEDaS13_S14_EUlS13_E_NS1_11comp_targetILNS1_3genE8ELNS1_11target_archE1030ELNS1_3gpuE2ELNS1_3repE0EEENS1_30default_config_static_selectorELNS0_4arch9wavefront6targetE0EEEvT1_, .Lfunc_end1228-_ZN7rocprim17ROCPRIM_400000_NS6detail17trampoline_kernelINS0_14default_configENS1_25partition_config_selectorILNS1_17partition_subalgoE6ExNS0_10empty_typeEbEEZZNS1_14partition_implILS5_6ELb0ES3_mN6thrust23THRUST_200600_302600_NS6detail15normal_iteratorINSA_10device_ptrIxEEEEPS6_SG_NS0_5tupleIJSF_S6_EEENSH_IJSG_SG_EEES6_PlJNSB_9not_fun_tI7is_trueIxEEEEEE10hipError_tPvRmT3_T4_T5_T6_T7_T9_mT8_P12ihipStream_tbDpT10_ENKUlT_T0_E_clISt17integral_constantIbLb1EES17_IbLb0EEEEDaS13_S14_EUlS13_E_NS1_11comp_targetILNS1_3genE8ELNS1_11target_archE1030ELNS1_3gpuE2ELNS1_3repE0EEENS1_30default_config_static_selectorELNS0_4arch9wavefront6targetE0EEEvT1_
                                        ; -- End function
	.set _ZN7rocprim17ROCPRIM_400000_NS6detail17trampoline_kernelINS0_14default_configENS1_25partition_config_selectorILNS1_17partition_subalgoE6ExNS0_10empty_typeEbEEZZNS1_14partition_implILS5_6ELb0ES3_mN6thrust23THRUST_200600_302600_NS6detail15normal_iteratorINSA_10device_ptrIxEEEEPS6_SG_NS0_5tupleIJSF_S6_EEENSH_IJSG_SG_EEES6_PlJNSB_9not_fun_tI7is_trueIxEEEEEE10hipError_tPvRmT3_T4_T5_T6_T7_T9_mT8_P12ihipStream_tbDpT10_ENKUlT_T0_E_clISt17integral_constantIbLb1EES17_IbLb0EEEEDaS13_S14_EUlS13_E_NS1_11comp_targetILNS1_3genE8ELNS1_11target_archE1030ELNS1_3gpuE2ELNS1_3repE0EEENS1_30default_config_static_selectorELNS0_4arch9wavefront6targetE0EEEvT1_.num_vgpr, 0
	.set _ZN7rocprim17ROCPRIM_400000_NS6detail17trampoline_kernelINS0_14default_configENS1_25partition_config_selectorILNS1_17partition_subalgoE6ExNS0_10empty_typeEbEEZZNS1_14partition_implILS5_6ELb0ES3_mN6thrust23THRUST_200600_302600_NS6detail15normal_iteratorINSA_10device_ptrIxEEEEPS6_SG_NS0_5tupleIJSF_S6_EEENSH_IJSG_SG_EEES6_PlJNSB_9not_fun_tI7is_trueIxEEEEEE10hipError_tPvRmT3_T4_T5_T6_T7_T9_mT8_P12ihipStream_tbDpT10_ENKUlT_T0_E_clISt17integral_constantIbLb1EES17_IbLb0EEEEDaS13_S14_EUlS13_E_NS1_11comp_targetILNS1_3genE8ELNS1_11target_archE1030ELNS1_3gpuE2ELNS1_3repE0EEENS1_30default_config_static_selectorELNS0_4arch9wavefront6targetE0EEEvT1_.num_agpr, 0
	.set _ZN7rocprim17ROCPRIM_400000_NS6detail17trampoline_kernelINS0_14default_configENS1_25partition_config_selectorILNS1_17partition_subalgoE6ExNS0_10empty_typeEbEEZZNS1_14partition_implILS5_6ELb0ES3_mN6thrust23THRUST_200600_302600_NS6detail15normal_iteratorINSA_10device_ptrIxEEEEPS6_SG_NS0_5tupleIJSF_S6_EEENSH_IJSG_SG_EEES6_PlJNSB_9not_fun_tI7is_trueIxEEEEEE10hipError_tPvRmT3_T4_T5_T6_T7_T9_mT8_P12ihipStream_tbDpT10_ENKUlT_T0_E_clISt17integral_constantIbLb1EES17_IbLb0EEEEDaS13_S14_EUlS13_E_NS1_11comp_targetILNS1_3genE8ELNS1_11target_archE1030ELNS1_3gpuE2ELNS1_3repE0EEENS1_30default_config_static_selectorELNS0_4arch9wavefront6targetE0EEEvT1_.numbered_sgpr, 0
	.set _ZN7rocprim17ROCPRIM_400000_NS6detail17trampoline_kernelINS0_14default_configENS1_25partition_config_selectorILNS1_17partition_subalgoE6ExNS0_10empty_typeEbEEZZNS1_14partition_implILS5_6ELb0ES3_mN6thrust23THRUST_200600_302600_NS6detail15normal_iteratorINSA_10device_ptrIxEEEEPS6_SG_NS0_5tupleIJSF_S6_EEENSH_IJSG_SG_EEES6_PlJNSB_9not_fun_tI7is_trueIxEEEEEE10hipError_tPvRmT3_T4_T5_T6_T7_T9_mT8_P12ihipStream_tbDpT10_ENKUlT_T0_E_clISt17integral_constantIbLb1EES17_IbLb0EEEEDaS13_S14_EUlS13_E_NS1_11comp_targetILNS1_3genE8ELNS1_11target_archE1030ELNS1_3gpuE2ELNS1_3repE0EEENS1_30default_config_static_selectorELNS0_4arch9wavefront6targetE0EEEvT1_.num_named_barrier, 0
	.set _ZN7rocprim17ROCPRIM_400000_NS6detail17trampoline_kernelINS0_14default_configENS1_25partition_config_selectorILNS1_17partition_subalgoE6ExNS0_10empty_typeEbEEZZNS1_14partition_implILS5_6ELb0ES3_mN6thrust23THRUST_200600_302600_NS6detail15normal_iteratorINSA_10device_ptrIxEEEEPS6_SG_NS0_5tupleIJSF_S6_EEENSH_IJSG_SG_EEES6_PlJNSB_9not_fun_tI7is_trueIxEEEEEE10hipError_tPvRmT3_T4_T5_T6_T7_T9_mT8_P12ihipStream_tbDpT10_ENKUlT_T0_E_clISt17integral_constantIbLb1EES17_IbLb0EEEEDaS13_S14_EUlS13_E_NS1_11comp_targetILNS1_3genE8ELNS1_11target_archE1030ELNS1_3gpuE2ELNS1_3repE0EEENS1_30default_config_static_selectorELNS0_4arch9wavefront6targetE0EEEvT1_.private_seg_size, 0
	.set _ZN7rocprim17ROCPRIM_400000_NS6detail17trampoline_kernelINS0_14default_configENS1_25partition_config_selectorILNS1_17partition_subalgoE6ExNS0_10empty_typeEbEEZZNS1_14partition_implILS5_6ELb0ES3_mN6thrust23THRUST_200600_302600_NS6detail15normal_iteratorINSA_10device_ptrIxEEEEPS6_SG_NS0_5tupleIJSF_S6_EEENSH_IJSG_SG_EEES6_PlJNSB_9not_fun_tI7is_trueIxEEEEEE10hipError_tPvRmT3_T4_T5_T6_T7_T9_mT8_P12ihipStream_tbDpT10_ENKUlT_T0_E_clISt17integral_constantIbLb1EES17_IbLb0EEEEDaS13_S14_EUlS13_E_NS1_11comp_targetILNS1_3genE8ELNS1_11target_archE1030ELNS1_3gpuE2ELNS1_3repE0EEENS1_30default_config_static_selectorELNS0_4arch9wavefront6targetE0EEEvT1_.uses_vcc, 0
	.set _ZN7rocprim17ROCPRIM_400000_NS6detail17trampoline_kernelINS0_14default_configENS1_25partition_config_selectorILNS1_17partition_subalgoE6ExNS0_10empty_typeEbEEZZNS1_14partition_implILS5_6ELb0ES3_mN6thrust23THRUST_200600_302600_NS6detail15normal_iteratorINSA_10device_ptrIxEEEEPS6_SG_NS0_5tupleIJSF_S6_EEENSH_IJSG_SG_EEES6_PlJNSB_9not_fun_tI7is_trueIxEEEEEE10hipError_tPvRmT3_T4_T5_T6_T7_T9_mT8_P12ihipStream_tbDpT10_ENKUlT_T0_E_clISt17integral_constantIbLb1EES17_IbLb0EEEEDaS13_S14_EUlS13_E_NS1_11comp_targetILNS1_3genE8ELNS1_11target_archE1030ELNS1_3gpuE2ELNS1_3repE0EEENS1_30default_config_static_selectorELNS0_4arch9wavefront6targetE0EEEvT1_.uses_flat_scratch, 0
	.set _ZN7rocprim17ROCPRIM_400000_NS6detail17trampoline_kernelINS0_14default_configENS1_25partition_config_selectorILNS1_17partition_subalgoE6ExNS0_10empty_typeEbEEZZNS1_14partition_implILS5_6ELb0ES3_mN6thrust23THRUST_200600_302600_NS6detail15normal_iteratorINSA_10device_ptrIxEEEEPS6_SG_NS0_5tupleIJSF_S6_EEENSH_IJSG_SG_EEES6_PlJNSB_9not_fun_tI7is_trueIxEEEEEE10hipError_tPvRmT3_T4_T5_T6_T7_T9_mT8_P12ihipStream_tbDpT10_ENKUlT_T0_E_clISt17integral_constantIbLb1EES17_IbLb0EEEEDaS13_S14_EUlS13_E_NS1_11comp_targetILNS1_3genE8ELNS1_11target_archE1030ELNS1_3gpuE2ELNS1_3repE0EEENS1_30default_config_static_selectorELNS0_4arch9wavefront6targetE0EEEvT1_.has_dyn_sized_stack, 0
	.set _ZN7rocprim17ROCPRIM_400000_NS6detail17trampoline_kernelINS0_14default_configENS1_25partition_config_selectorILNS1_17partition_subalgoE6ExNS0_10empty_typeEbEEZZNS1_14partition_implILS5_6ELb0ES3_mN6thrust23THRUST_200600_302600_NS6detail15normal_iteratorINSA_10device_ptrIxEEEEPS6_SG_NS0_5tupleIJSF_S6_EEENSH_IJSG_SG_EEES6_PlJNSB_9not_fun_tI7is_trueIxEEEEEE10hipError_tPvRmT3_T4_T5_T6_T7_T9_mT8_P12ihipStream_tbDpT10_ENKUlT_T0_E_clISt17integral_constantIbLb1EES17_IbLb0EEEEDaS13_S14_EUlS13_E_NS1_11comp_targetILNS1_3genE8ELNS1_11target_archE1030ELNS1_3gpuE2ELNS1_3repE0EEENS1_30default_config_static_selectorELNS0_4arch9wavefront6targetE0EEEvT1_.has_recursion, 0
	.set _ZN7rocprim17ROCPRIM_400000_NS6detail17trampoline_kernelINS0_14default_configENS1_25partition_config_selectorILNS1_17partition_subalgoE6ExNS0_10empty_typeEbEEZZNS1_14partition_implILS5_6ELb0ES3_mN6thrust23THRUST_200600_302600_NS6detail15normal_iteratorINSA_10device_ptrIxEEEEPS6_SG_NS0_5tupleIJSF_S6_EEENSH_IJSG_SG_EEES6_PlJNSB_9not_fun_tI7is_trueIxEEEEEE10hipError_tPvRmT3_T4_T5_T6_T7_T9_mT8_P12ihipStream_tbDpT10_ENKUlT_T0_E_clISt17integral_constantIbLb1EES17_IbLb0EEEEDaS13_S14_EUlS13_E_NS1_11comp_targetILNS1_3genE8ELNS1_11target_archE1030ELNS1_3gpuE2ELNS1_3repE0EEENS1_30default_config_static_selectorELNS0_4arch9wavefront6targetE0EEEvT1_.has_indirect_call, 0
	.section	.AMDGPU.csdata,"",@progbits
; Kernel info:
; codeLenInByte = 0
; TotalNumSgprs: 0
; NumVgprs: 0
; ScratchSize: 0
; MemoryBound: 0
; FloatMode: 240
; IeeeMode: 1
; LDSByteSize: 0 bytes/workgroup (compile time only)
; SGPRBlocks: 0
; VGPRBlocks: 0
; NumSGPRsForWavesPerEU: 1
; NumVGPRsForWavesPerEU: 1
; Occupancy: 16
; WaveLimiterHint : 0
; COMPUTE_PGM_RSRC2:SCRATCH_EN: 0
; COMPUTE_PGM_RSRC2:USER_SGPR: 2
; COMPUTE_PGM_RSRC2:TRAP_HANDLER: 0
; COMPUTE_PGM_RSRC2:TGID_X_EN: 1
; COMPUTE_PGM_RSRC2:TGID_Y_EN: 0
; COMPUTE_PGM_RSRC2:TGID_Z_EN: 0
; COMPUTE_PGM_RSRC2:TIDIG_COMP_CNT: 0
	.section	.text._ZN7rocprim17ROCPRIM_400000_NS6detail17trampoline_kernelINS0_14default_configENS1_25partition_config_selectorILNS1_17partition_subalgoE6ExNS0_10empty_typeEbEEZZNS1_14partition_implILS5_6ELb0ES3_mN6thrust23THRUST_200600_302600_NS6detail15normal_iteratorINSA_10device_ptrIxEEEEPS6_SG_NS0_5tupleIJSF_S6_EEENSH_IJSG_SG_EEES6_PlJNSB_9not_fun_tI7is_trueIxEEEEEE10hipError_tPvRmT3_T4_T5_T6_T7_T9_mT8_P12ihipStream_tbDpT10_ENKUlT_T0_E_clISt17integral_constantIbLb0EES17_IbLb1EEEEDaS13_S14_EUlS13_E_NS1_11comp_targetILNS1_3genE0ELNS1_11target_archE4294967295ELNS1_3gpuE0ELNS1_3repE0EEENS1_30default_config_static_selectorELNS0_4arch9wavefront6targetE0EEEvT1_,"axG",@progbits,_ZN7rocprim17ROCPRIM_400000_NS6detail17trampoline_kernelINS0_14default_configENS1_25partition_config_selectorILNS1_17partition_subalgoE6ExNS0_10empty_typeEbEEZZNS1_14partition_implILS5_6ELb0ES3_mN6thrust23THRUST_200600_302600_NS6detail15normal_iteratorINSA_10device_ptrIxEEEEPS6_SG_NS0_5tupleIJSF_S6_EEENSH_IJSG_SG_EEES6_PlJNSB_9not_fun_tI7is_trueIxEEEEEE10hipError_tPvRmT3_T4_T5_T6_T7_T9_mT8_P12ihipStream_tbDpT10_ENKUlT_T0_E_clISt17integral_constantIbLb0EES17_IbLb1EEEEDaS13_S14_EUlS13_E_NS1_11comp_targetILNS1_3genE0ELNS1_11target_archE4294967295ELNS1_3gpuE0ELNS1_3repE0EEENS1_30default_config_static_selectorELNS0_4arch9wavefront6targetE0EEEvT1_,comdat
	.protected	_ZN7rocprim17ROCPRIM_400000_NS6detail17trampoline_kernelINS0_14default_configENS1_25partition_config_selectorILNS1_17partition_subalgoE6ExNS0_10empty_typeEbEEZZNS1_14partition_implILS5_6ELb0ES3_mN6thrust23THRUST_200600_302600_NS6detail15normal_iteratorINSA_10device_ptrIxEEEEPS6_SG_NS0_5tupleIJSF_S6_EEENSH_IJSG_SG_EEES6_PlJNSB_9not_fun_tI7is_trueIxEEEEEE10hipError_tPvRmT3_T4_T5_T6_T7_T9_mT8_P12ihipStream_tbDpT10_ENKUlT_T0_E_clISt17integral_constantIbLb0EES17_IbLb1EEEEDaS13_S14_EUlS13_E_NS1_11comp_targetILNS1_3genE0ELNS1_11target_archE4294967295ELNS1_3gpuE0ELNS1_3repE0EEENS1_30default_config_static_selectorELNS0_4arch9wavefront6targetE0EEEvT1_ ; -- Begin function _ZN7rocprim17ROCPRIM_400000_NS6detail17trampoline_kernelINS0_14default_configENS1_25partition_config_selectorILNS1_17partition_subalgoE6ExNS0_10empty_typeEbEEZZNS1_14partition_implILS5_6ELb0ES3_mN6thrust23THRUST_200600_302600_NS6detail15normal_iteratorINSA_10device_ptrIxEEEEPS6_SG_NS0_5tupleIJSF_S6_EEENSH_IJSG_SG_EEES6_PlJNSB_9not_fun_tI7is_trueIxEEEEEE10hipError_tPvRmT3_T4_T5_T6_T7_T9_mT8_P12ihipStream_tbDpT10_ENKUlT_T0_E_clISt17integral_constantIbLb0EES17_IbLb1EEEEDaS13_S14_EUlS13_E_NS1_11comp_targetILNS1_3genE0ELNS1_11target_archE4294967295ELNS1_3gpuE0ELNS1_3repE0EEENS1_30default_config_static_selectorELNS0_4arch9wavefront6targetE0EEEvT1_
	.globl	_ZN7rocprim17ROCPRIM_400000_NS6detail17trampoline_kernelINS0_14default_configENS1_25partition_config_selectorILNS1_17partition_subalgoE6ExNS0_10empty_typeEbEEZZNS1_14partition_implILS5_6ELb0ES3_mN6thrust23THRUST_200600_302600_NS6detail15normal_iteratorINSA_10device_ptrIxEEEEPS6_SG_NS0_5tupleIJSF_S6_EEENSH_IJSG_SG_EEES6_PlJNSB_9not_fun_tI7is_trueIxEEEEEE10hipError_tPvRmT3_T4_T5_T6_T7_T9_mT8_P12ihipStream_tbDpT10_ENKUlT_T0_E_clISt17integral_constantIbLb0EES17_IbLb1EEEEDaS13_S14_EUlS13_E_NS1_11comp_targetILNS1_3genE0ELNS1_11target_archE4294967295ELNS1_3gpuE0ELNS1_3repE0EEENS1_30default_config_static_selectorELNS0_4arch9wavefront6targetE0EEEvT1_
	.p2align	8
	.type	_ZN7rocprim17ROCPRIM_400000_NS6detail17trampoline_kernelINS0_14default_configENS1_25partition_config_selectorILNS1_17partition_subalgoE6ExNS0_10empty_typeEbEEZZNS1_14partition_implILS5_6ELb0ES3_mN6thrust23THRUST_200600_302600_NS6detail15normal_iteratorINSA_10device_ptrIxEEEEPS6_SG_NS0_5tupleIJSF_S6_EEENSH_IJSG_SG_EEES6_PlJNSB_9not_fun_tI7is_trueIxEEEEEE10hipError_tPvRmT3_T4_T5_T6_T7_T9_mT8_P12ihipStream_tbDpT10_ENKUlT_T0_E_clISt17integral_constantIbLb0EES17_IbLb1EEEEDaS13_S14_EUlS13_E_NS1_11comp_targetILNS1_3genE0ELNS1_11target_archE4294967295ELNS1_3gpuE0ELNS1_3repE0EEENS1_30default_config_static_selectorELNS0_4arch9wavefront6targetE0EEEvT1_,@function
_ZN7rocprim17ROCPRIM_400000_NS6detail17trampoline_kernelINS0_14default_configENS1_25partition_config_selectorILNS1_17partition_subalgoE6ExNS0_10empty_typeEbEEZZNS1_14partition_implILS5_6ELb0ES3_mN6thrust23THRUST_200600_302600_NS6detail15normal_iteratorINSA_10device_ptrIxEEEEPS6_SG_NS0_5tupleIJSF_S6_EEENSH_IJSG_SG_EEES6_PlJNSB_9not_fun_tI7is_trueIxEEEEEE10hipError_tPvRmT3_T4_T5_T6_T7_T9_mT8_P12ihipStream_tbDpT10_ENKUlT_T0_E_clISt17integral_constantIbLb0EES17_IbLb1EEEEDaS13_S14_EUlS13_E_NS1_11comp_targetILNS1_3genE0ELNS1_11target_archE4294967295ELNS1_3gpuE0ELNS1_3repE0EEENS1_30default_config_static_selectorELNS0_4arch9wavefront6targetE0EEEvT1_: ; @_ZN7rocprim17ROCPRIM_400000_NS6detail17trampoline_kernelINS0_14default_configENS1_25partition_config_selectorILNS1_17partition_subalgoE6ExNS0_10empty_typeEbEEZZNS1_14partition_implILS5_6ELb0ES3_mN6thrust23THRUST_200600_302600_NS6detail15normal_iteratorINSA_10device_ptrIxEEEEPS6_SG_NS0_5tupleIJSF_S6_EEENSH_IJSG_SG_EEES6_PlJNSB_9not_fun_tI7is_trueIxEEEEEE10hipError_tPvRmT3_T4_T5_T6_T7_T9_mT8_P12ihipStream_tbDpT10_ENKUlT_T0_E_clISt17integral_constantIbLb0EES17_IbLb1EEEEDaS13_S14_EUlS13_E_NS1_11comp_targetILNS1_3genE0ELNS1_11target_archE4294967295ELNS1_3gpuE0ELNS1_3repE0EEENS1_30default_config_static_selectorELNS0_4arch9wavefront6targetE0EEEvT1_
; %bb.0:
	.section	.rodata,"a",@progbits
	.p2align	6, 0x0
	.amdhsa_kernel _ZN7rocprim17ROCPRIM_400000_NS6detail17trampoline_kernelINS0_14default_configENS1_25partition_config_selectorILNS1_17partition_subalgoE6ExNS0_10empty_typeEbEEZZNS1_14partition_implILS5_6ELb0ES3_mN6thrust23THRUST_200600_302600_NS6detail15normal_iteratorINSA_10device_ptrIxEEEEPS6_SG_NS0_5tupleIJSF_S6_EEENSH_IJSG_SG_EEES6_PlJNSB_9not_fun_tI7is_trueIxEEEEEE10hipError_tPvRmT3_T4_T5_T6_T7_T9_mT8_P12ihipStream_tbDpT10_ENKUlT_T0_E_clISt17integral_constantIbLb0EES17_IbLb1EEEEDaS13_S14_EUlS13_E_NS1_11comp_targetILNS1_3genE0ELNS1_11target_archE4294967295ELNS1_3gpuE0ELNS1_3repE0EEENS1_30default_config_static_selectorELNS0_4arch9wavefront6targetE0EEEvT1_
		.amdhsa_group_segment_fixed_size 0
		.amdhsa_private_segment_fixed_size 0
		.amdhsa_kernarg_size 128
		.amdhsa_user_sgpr_count 2
		.amdhsa_user_sgpr_dispatch_ptr 0
		.amdhsa_user_sgpr_queue_ptr 0
		.amdhsa_user_sgpr_kernarg_segment_ptr 1
		.amdhsa_user_sgpr_dispatch_id 0
		.amdhsa_user_sgpr_private_segment_size 0
		.amdhsa_wavefront_size32 1
		.amdhsa_uses_dynamic_stack 0
		.amdhsa_enable_private_segment 0
		.amdhsa_system_sgpr_workgroup_id_x 1
		.amdhsa_system_sgpr_workgroup_id_y 0
		.amdhsa_system_sgpr_workgroup_id_z 0
		.amdhsa_system_sgpr_workgroup_info 0
		.amdhsa_system_vgpr_workitem_id 0
		.amdhsa_next_free_vgpr 1
		.amdhsa_next_free_sgpr 1
		.amdhsa_reserve_vcc 0
		.amdhsa_float_round_mode_32 0
		.amdhsa_float_round_mode_16_64 0
		.amdhsa_float_denorm_mode_32 3
		.amdhsa_float_denorm_mode_16_64 3
		.amdhsa_fp16_overflow 0
		.amdhsa_workgroup_processor_mode 1
		.amdhsa_memory_ordered 1
		.amdhsa_forward_progress 1
		.amdhsa_inst_pref_size 0
		.amdhsa_round_robin_scheduling 0
		.amdhsa_exception_fp_ieee_invalid_op 0
		.amdhsa_exception_fp_denorm_src 0
		.amdhsa_exception_fp_ieee_div_zero 0
		.amdhsa_exception_fp_ieee_overflow 0
		.amdhsa_exception_fp_ieee_underflow 0
		.amdhsa_exception_fp_ieee_inexact 0
		.amdhsa_exception_int_div_zero 0
	.end_amdhsa_kernel
	.section	.text._ZN7rocprim17ROCPRIM_400000_NS6detail17trampoline_kernelINS0_14default_configENS1_25partition_config_selectorILNS1_17partition_subalgoE6ExNS0_10empty_typeEbEEZZNS1_14partition_implILS5_6ELb0ES3_mN6thrust23THRUST_200600_302600_NS6detail15normal_iteratorINSA_10device_ptrIxEEEEPS6_SG_NS0_5tupleIJSF_S6_EEENSH_IJSG_SG_EEES6_PlJNSB_9not_fun_tI7is_trueIxEEEEEE10hipError_tPvRmT3_T4_T5_T6_T7_T9_mT8_P12ihipStream_tbDpT10_ENKUlT_T0_E_clISt17integral_constantIbLb0EES17_IbLb1EEEEDaS13_S14_EUlS13_E_NS1_11comp_targetILNS1_3genE0ELNS1_11target_archE4294967295ELNS1_3gpuE0ELNS1_3repE0EEENS1_30default_config_static_selectorELNS0_4arch9wavefront6targetE0EEEvT1_,"axG",@progbits,_ZN7rocprim17ROCPRIM_400000_NS6detail17trampoline_kernelINS0_14default_configENS1_25partition_config_selectorILNS1_17partition_subalgoE6ExNS0_10empty_typeEbEEZZNS1_14partition_implILS5_6ELb0ES3_mN6thrust23THRUST_200600_302600_NS6detail15normal_iteratorINSA_10device_ptrIxEEEEPS6_SG_NS0_5tupleIJSF_S6_EEENSH_IJSG_SG_EEES6_PlJNSB_9not_fun_tI7is_trueIxEEEEEE10hipError_tPvRmT3_T4_T5_T6_T7_T9_mT8_P12ihipStream_tbDpT10_ENKUlT_T0_E_clISt17integral_constantIbLb0EES17_IbLb1EEEEDaS13_S14_EUlS13_E_NS1_11comp_targetILNS1_3genE0ELNS1_11target_archE4294967295ELNS1_3gpuE0ELNS1_3repE0EEENS1_30default_config_static_selectorELNS0_4arch9wavefront6targetE0EEEvT1_,comdat
.Lfunc_end1229:
	.size	_ZN7rocprim17ROCPRIM_400000_NS6detail17trampoline_kernelINS0_14default_configENS1_25partition_config_selectorILNS1_17partition_subalgoE6ExNS0_10empty_typeEbEEZZNS1_14partition_implILS5_6ELb0ES3_mN6thrust23THRUST_200600_302600_NS6detail15normal_iteratorINSA_10device_ptrIxEEEEPS6_SG_NS0_5tupleIJSF_S6_EEENSH_IJSG_SG_EEES6_PlJNSB_9not_fun_tI7is_trueIxEEEEEE10hipError_tPvRmT3_T4_T5_T6_T7_T9_mT8_P12ihipStream_tbDpT10_ENKUlT_T0_E_clISt17integral_constantIbLb0EES17_IbLb1EEEEDaS13_S14_EUlS13_E_NS1_11comp_targetILNS1_3genE0ELNS1_11target_archE4294967295ELNS1_3gpuE0ELNS1_3repE0EEENS1_30default_config_static_selectorELNS0_4arch9wavefront6targetE0EEEvT1_, .Lfunc_end1229-_ZN7rocprim17ROCPRIM_400000_NS6detail17trampoline_kernelINS0_14default_configENS1_25partition_config_selectorILNS1_17partition_subalgoE6ExNS0_10empty_typeEbEEZZNS1_14partition_implILS5_6ELb0ES3_mN6thrust23THRUST_200600_302600_NS6detail15normal_iteratorINSA_10device_ptrIxEEEEPS6_SG_NS0_5tupleIJSF_S6_EEENSH_IJSG_SG_EEES6_PlJNSB_9not_fun_tI7is_trueIxEEEEEE10hipError_tPvRmT3_T4_T5_T6_T7_T9_mT8_P12ihipStream_tbDpT10_ENKUlT_T0_E_clISt17integral_constantIbLb0EES17_IbLb1EEEEDaS13_S14_EUlS13_E_NS1_11comp_targetILNS1_3genE0ELNS1_11target_archE4294967295ELNS1_3gpuE0ELNS1_3repE0EEENS1_30default_config_static_selectorELNS0_4arch9wavefront6targetE0EEEvT1_
                                        ; -- End function
	.set _ZN7rocprim17ROCPRIM_400000_NS6detail17trampoline_kernelINS0_14default_configENS1_25partition_config_selectorILNS1_17partition_subalgoE6ExNS0_10empty_typeEbEEZZNS1_14partition_implILS5_6ELb0ES3_mN6thrust23THRUST_200600_302600_NS6detail15normal_iteratorINSA_10device_ptrIxEEEEPS6_SG_NS0_5tupleIJSF_S6_EEENSH_IJSG_SG_EEES6_PlJNSB_9not_fun_tI7is_trueIxEEEEEE10hipError_tPvRmT3_T4_T5_T6_T7_T9_mT8_P12ihipStream_tbDpT10_ENKUlT_T0_E_clISt17integral_constantIbLb0EES17_IbLb1EEEEDaS13_S14_EUlS13_E_NS1_11comp_targetILNS1_3genE0ELNS1_11target_archE4294967295ELNS1_3gpuE0ELNS1_3repE0EEENS1_30default_config_static_selectorELNS0_4arch9wavefront6targetE0EEEvT1_.num_vgpr, 0
	.set _ZN7rocprim17ROCPRIM_400000_NS6detail17trampoline_kernelINS0_14default_configENS1_25partition_config_selectorILNS1_17partition_subalgoE6ExNS0_10empty_typeEbEEZZNS1_14partition_implILS5_6ELb0ES3_mN6thrust23THRUST_200600_302600_NS6detail15normal_iteratorINSA_10device_ptrIxEEEEPS6_SG_NS0_5tupleIJSF_S6_EEENSH_IJSG_SG_EEES6_PlJNSB_9not_fun_tI7is_trueIxEEEEEE10hipError_tPvRmT3_T4_T5_T6_T7_T9_mT8_P12ihipStream_tbDpT10_ENKUlT_T0_E_clISt17integral_constantIbLb0EES17_IbLb1EEEEDaS13_S14_EUlS13_E_NS1_11comp_targetILNS1_3genE0ELNS1_11target_archE4294967295ELNS1_3gpuE0ELNS1_3repE0EEENS1_30default_config_static_selectorELNS0_4arch9wavefront6targetE0EEEvT1_.num_agpr, 0
	.set _ZN7rocprim17ROCPRIM_400000_NS6detail17trampoline_kernelINS0_14default_configENS1_25partition_config_selectorILNS1_17partition_subalgoE6ExNS0_10empty_typeEbEEZZNS1_14partition_implILS5_6ELb0ES3_mN6thrust23THRUST_200600_302600_NS6detail15normal_iteratorINSA_10device_ptrIxEEEEPS6_SG_NS0_5tupleIJSF_S6_EEENSH_IJSG_SG_EEES6_PlJNSB_9not_fun_tI7is_trueIxEEEEEE10hipError_tPvRmT3_T4_T5_T6_T7_T9_mT8_P12ihipStream_tbDpT10_ENKUlT_T0_E_clISt17integral_constantIbLb0EES17_IbLb1EEEEDaS13_S14_EUlS13_E_NS1_11comp_targetILNS1_3genE0ELNS1_11target_archE4294967295ELNS1_3gpuE0ELNS1_3repE0EEENS1_30default_config_static_selectorELNS0_4arch9wavefront6targetE0EEEvT1_.numbered_sgpr, 0
	.set _ZN7rocprim17ROCPRIM_400000_NS6detail17trampoline_kernelINS0_14default_configENS1_25partition_config_selectorILNS1_17partition_subalgoE6ExNS0_10empty_typeEbEEZZNS1_14partition_implILS5_6ELb0ES3_mN6thrust23THRUST_200600_302600_NS6detail15normal_iteratorINSA_10device_ptrIxEEEEPS6_SG_NS0_5tupleIJSF_S6_EEENSH_IJSG_SG_EEES6_PlJNSB_9not_fun_tI7is_trueIxEEEEEE10hipError_tPvRmT3_T4_T5_T6_T7_T9_mT8_P12ihipStream_tbDpT10_ENKUlT_T0_E_clISt17integral_constantIbLb0EES17_IbLb1EEEEDaS13_S14_EUlS13_E_NS1_11comp_targetILNS1_3genE0ELNS1_11target_archE4294967295ELNS1_3gpuE0ELNS1_3repE0EEENS1_30default_config_static_selectorELNS0_4arch9wavefront6targetE0EEEvT1_.num_named_barrier, 0
	.set _ZN7rocprim17ROCPRIM_400000_NS6detail17trampoline_kernelINS0_14default_configENS1_25partition_config_selectorILNS1_17partition_subalgoE6ExNS0_10empty_typeEbEEZZNS1_14partition_implILS5_6ELb0ES3_mN6thrust23THRUST_200600_302600_NS6detail15normal_iteratorINSA_10device_ptrIxEEEEPS6_SG_NS0_5tupleIJSF_S6_EEENSH_IJSG_SG_EEES6_PlJNSB_9not_fun_tI7is_trueIxEEEEEE10hipError_tPvRmT3_T4_T5_T6_T7_T9_mT8_P12ihipStream_tbDpT10_ENKUlT_T0_E_clISt17integral_constantIbLb0EES17_IbLb1EEEEDaS13_S14_EUlS13_E_NS1_11comp_targetILNS1_3genE0ELNS1_11target_archE4294967295ELNS1_3gpuE0ELNS1_3repE0EEENS1_30default_config_static_selectorELNS0_4arch9wavefront6targetE0EEEvT1_.private_seg_size, 0
	.set _ZN7rocprim17ROCPRIM_400000_NS6detail17trampoline_kernelINS0_14default_configENS1_25partition_config_selectorILNS1_17partition_subalgoE6ExNS0_10empty_typeEbEEZZNS1_14partition_implILS5_6ELb0ES3_mN6thrust23THRUST_200600_302600_NS6detail15normal_iteratorINSA_10device_ptrIxEEEEPS6_SG_NS0_5tupleIJSF_S6_EEENSH_IJSG_SG_EEES6_PlJNSB_9not_fun_tI7is_trueIxEEEEEE10hipError_tPvRmT3_T4_T5_T6_T7_T9_mT8_P12ihipStream_tbDpT10_ENKUlT_T0_E_clISt17integral_constantIbLb0EES17_IbLb1EEEEDaS13_S14_EUlS13_E_NS1_11comp_targetILNS1_3genE0ELNS1_11target_archE4294967295ELNS1_3gpuE0ELNS1_3repE0EEENS1_30default_config_static_selectorELNS0_4arch9wavefront6targetE0EEEvT1_.uses_vcc, 0
	.set _ZN7rocprim17ROCPRIM_400000_NS6detail17trampoline_kernelINS0_14default_configENS1_25partition_config_selectorILNS1_17partition_subalgoE6ExNS0_10empty_typeEbEEZZNS1_14partition_implILS5_6ELb0ES3_mN6thrust23THRUST_200600_302600_NS6detail15normal_iteratorINSA_10device_ptrIxEEEEPS6_SG_NS0_5tupleIJSF_S6_EEENSH_IJSG_SG_EEES6_PlJNSB_9not_fun_tI7is_trueIxEEEEEE10hipError_tPvRmT3_T4_T5_T6_T7_T9_mT8_P12ihipStream_tbDpT10_ENKUlT_T0_E_clISt17integral_constantIbLb0EES17_IbLb1EEEEDaS13_S14_EUlS13_E_NS1_11comp_targetILNS1_3genE0ELNS1_11target_archE4294967295ELNS1_3gpuE0ELNS1_3repE0EEENS1_30default_config_static_selectorELNS0_4arch9wavefront6targetE0EEEvT1_.uses_flat_scratch, 0
	.set _ZN7rocprim17ROCPRIM_400000_NS6detail17trampoline_kernelINS0_14default_configENS1_25partition_config_selectorILNS1_17partition_subalgoE6ExNS0_10empty_typeEbEEZZNS1_14partition_implILS5_6ELb0ES3_mN6thrust23THRUST_200600_302600_NS6detail15normal_iteratorINSA_10device_ptrIxEEEEPS6_SG_NS0_5tupleIJSF_S6_EEENSH_IJSG_SG_EEES6_PlJNSB_9not_fun_tI7is_trueIxEEEEEE10hipError_tPvRmT3_T4_T5_T6_T7_T9_mT8_P12ihipStream_tbDpT10_ENKUlT_T0_E_clISt17integral_constantIbLb0EES17_IbLb1EEEEDaS13_S14_EUlS13_E_NS1_11comp_targetILNS1_3genE0ELNS1_11target_archE4294967295ELNS1_3gpuE0ELNS1_3repE0EEENS1_30default_config_static_selectorELNS0_4arch9wavefront6targetE0EEEvT1_.has_dyn_sized_stack, 0
	.set _ZN7rocprim17ROCPRIM_400000_NS6detail17trampoline_kernelINS0_14default_configENS1_25partition_config_selectorILNS1_17partition_subalgoE6ExNS0_10empty_typeEbEEZZNS1_14partition_implILS5_6ELb0ES3_mN6thrust23THRUST_200600_302600_NS6detail15normal_iteratorINSA_10device_ptrIxEEEEPS6_SG_NS0_5tupleIJSF_S6_EEENSH_IJSG_SG_EEES6_PlJNSB_9not_fun_tI7is_trueIxEEEEEE10hipError_tPvRmT3_T4_T5_T6_T7_T9_mT8_P12ihipStream_tbDpT10_ENKUlT_T0_E_clISt17integral_constantIbLb0EES17_IbLb1EEEEDaS13_S14_EUlS13_E_NS1_11comp_targetILNS1_3genE0ELNS1_11target_archE4294967295ELNS1_3gpuE0ELNS1_3repE0EEENS1_30default_config_static_selectorELNS0_4arch9wavefront6targetE0EEEvT1_.has_recursion, 0
	.set _ZN7rocprim17ROCPRIM_400000_NS6detail17trampoline_kernelINS0_14default_configENS1_25partition_config_selectorILNS1_17partition_subalgoE6ExNS0_10empty_typeEbEEZZNS1_14partition_implILS5_6ELb0ES3_mN6thrust23THRUST_200600_302600_NS6detail15normal_iteratorINSA_10device_ptrIxEEEEPS6_SG_NS0_5tupleIJSF_S6_EEENSH_IJSG_SG_EEES6_PlJNSB_9not_fun_tI7is_trueIxEEEEEE10hipError_tPvRmT3_T4_T5_T6_T7_T9_mT8_P12ihipStream_tbDpT10_ENKUlT_T0_E_clISt17integral_constantIbLb0EES17_IbLb1EEEEDaS13_S14_EUlS13_E_NS1_11comp_targetILNS1_3genE0ELNS1_11target_archE4294967295ELNS1_3gpuE0ELNS1_3repE0EEENS1_30default_config_static_selectorELNS0_4arch9wavefront6targetE0EEEvT1_.has_indirect_call, 0
	.section	.AMDGPU.csdata,"",@progbits
; Kernel info:
; codeLenInByte = 0
; TotalNumSgprs: 0
; NumVgprs: 0
; ScratchSize: 0
; MemoryBound: 0
; FloatMode: 240
; IeeeMode: 1
; LDSByteSize: 0 bytes/workgroup (compile time only)
; SGPRBlocks: 0
; VGPRBlocks: 0
; NumSGPRsForWavesPerEU: 1
; NumVGPRsForWavesPerEU: 1
; Occupancy: 16
; WaveLimiterHint : 0
; COMPUTE_PGM_RSRC2:SCRATCH_EN: 0
; COMPUTE_PGM_RSRC2:USER_SGPR: 2
; COMPUTE_PGM_RSRC2:TRAP_HANDLER: 0
; COMPUTE_PGM_RSRC2:TGID_X_EN: 1
; COMPUTE_PGM_RSRC2:TGID_Y_EN: 0
; COMPUTE_PGM_RSRC2:TGID_Z_EN: 0
; COMPUTE_PGM_RSRC2:TIDIG_COMP_CNT: 0
	.section	.text._ZN7rocprim17ROCPRIM_400000_NS6detail17trampoline_kernelINS0_14default_configENS1_25partition_config_selectorILNS1_17partition_subalgoE6ExNS0_10empty_typeEbEEZZNS1_14partition_implILS5_6ELb0ES3_mN6thrust23THRUST_200600_302600_NS6detail15normal_iteratorINSA_10device_ptrIxEEEEPS6_SG_NS0_5tupleIJSF_S6_EEENSH_IJSG_SG_EEES6_PlJNSB_9not_fun_tI7is_trueIxEEEEEE10hipError_tPvRmT3_T4_T5_T6_T7_T9_mT8_P12ihipStream_tbDpT10_ENKUlT_T0_E_clISt17integral_constantIbLb0EES17_IbLb1EEEEDaS13_S14_EUlS13_E_NS1_11comp_targetILNS1_3genE5ELNS1_11target_archE942ELNS1_3gpuE9ELNS1_3repE0EEENS1_30default_config_static_selectorELNS0_4arch9wavefront6targetE0EEEvT1_,"axG",@progbits,_ZN7rocprim17ROCPRIM_400000_NS6detail17trampoline_kernelINS0_14default_configENS1_25partition_config_selectorILNS1_17partition_subalgoE6ExNS0_10empty_typeEbEEZZNS1_14partition_implILS5_6ELb0ES3_mN6thrust23THRUST_200600_302600_NS6detail15normal_iteratorINSA_10device_ptrIxEEEEPS6_SG_NS0_5tupleIJSF_S6_EEENSH_IJSG_SG_EEES6_PlJNSB_9not_fun_tI7is_trueIxEEEEEE10hipError_tPvRmT3_T4_T5_T6_T7_T9_mT8_P12ihipStream_tbDpT10_ENKUlT_T0_E_clISt17integral_constantIbLb0EES17_IbLb1EEEEDaS13_S14_EUlS13_E_NS1_11comp_targetILNS1_3genE5ELNS1_11target_archE942ELNS1_3gpuE9ELNS1_3repE0EEENS1_30default_config_static_selectorELNS0_4arch9wavefront6targetE0EEEvT1_,comdat
	.protected	_ZN7rocprim17ROCPRIM_400000_NS6detail17trampoline_kernelINS0_14default_configENS1_25partition_config_selectorILNS1_17partition_subalgoE6ExNS0_10empty_typeEbEEZZNS1_14partition_implILS5_6ELb0ES3_mN6thrust23THRUST_200600_302600_NS6detail15normal_iteratorINSA_10device_ptrIxEEEEPS6_SG_NS0_5tupleIJSF_S6_EEENSH_IJSG_SG_EEES6_PlJNSB_9not_fun_tI7is_trueIxEEEEEE10hipError_tPvRmT3_T4_T5_T6_T7_T9_mT8_P12ihipStream_tbDpT10_ENKUlT_T0_E_clISt17integral_constantIbLb0EES17_IbLb1EEEEDaS13_S14_EUlS13_E_NS1_11comp_targetILNS1_3genE5ELNS1_11target_archE942ELNS1_3gpuE9ELNS1_3repE0EEENS1_30default_config_static_selectorELNS0_4arch9wavefront6targetE0EEEvT1_ ; -- Begin function _ZN7rocprim17ROCPRIM_400000_NS6detail17trampoline_kernelINS0_14default_configENS1_25partition_config_selectorILNS1_17partition_subalgoE6ExNS0_10empty_typeEbEEZZNS1_14partition_implILS5_6ELb0ES3_mN6thrust23THRUST_200600_302600_NS6detail15normal_iteratorINSA_10device_ptrIxEEEEPS6_SG_NS0_5tupleIJSF_S6_EEENSH_IJSG_SG_EEES6_PlJNSB_9not_fun_tI7is_trueIxEEEEEE10hipError_tPvRmT3_T4_T5_T6_T7_T9_mT8_P12ihipStream_tbDpT10_ENKUlT_T0_E_clISt17integral_constantIbLb0EES17_IbLb1EEEEDaS13_S14_EUlS13_E_NS1_11comp_targetILNS1_3genE5ELNS1_11target_archE942ELNS1_3gpuE9ELNS1_3repE0EEENS1_30default_config_static_selectorELNS0_4arch9wavefront6targetE0EEEvT1_
	.globl	_ZN7rocprim17ROCPRIM_400000_NS6detail17trampoline_kernelINS0_14default_configENS1_25partition_config_selectorILNS1_17partition_subalgoE6ExNS0_10empty_typeEbEEZZNS1_14partition_implILS5_6ELb0ES3_mN6thrust23THRUST_200600_302600_NS6detail15normal_iteratorINSA_10device_ptrIxEEEEPS6_SG_NS0_5tupleIJSF_S6_EEENSH_IJSG_SG_EEES6_PlJNSB_9not_fun_tI7is_trueIxEEEEEE10hipError_tPvRmT3_T4_T5_T6_T7_T9_mT8_P12ihipStream_tbDpT10_ENKUlT_T0_E_clISt17integral_constantIbLb0EES17_IbLb1EEEEDaS13_S14_EUlS13_E_NS1_11comp_targetILNS1_3genE5ELNS1_11target_archE942ELNS1_3gpuE9ELNS1_3repE0EEENS1_30default_config_static_selectorELNS0_4arch9wavefront6targetE0EEEvT1_
	.p2align	8
	.type	_ZN7rocprim17ROCPRIM_400000_NS6detail17trampoline_kernelINS0_14default_configENS1_25partition_config_selectorILNS1_17partition_subalgoE6ExNS0_10empty_typeEbEEZZNS1_14partition_implILS5_6ELb0ES3_mN6thrust23THRUST_200600_302600_NS6detail15normal_iteratorINSA_10device_ptrIxEEEEPS6_SG_NS0_5tupleIJSF_S6_EEENSH_IJSG_SG_EEES6_PlJNSB_9not_fun_tI7is_trueIxEEEEEE10hipError_tPvRmT3_T4_T5_T6_T7_T9_mT8_P12ihipStream_tbDpT10_ENKUlT_T0_E_clISt17integral_constantIbLb0EES17_IbLb1EEEEDaS13_S14_EUlS13_E_NS1_11comp_targetILNS1_3genE5ELNS1_11target_archE942ELNS1_3gpuE9ELNS1_3repE0EEENS1_30default_config_static_selectorELNS0_4arch9wavefront6targetE0EEEvT1_,@function
_ZN7rocprim17ROCPRIM_400000_NS6detail17trampoline_kernelINS0_14default_configENS1_25partition_config_selectorILNS1_17partition_subalgoE6ExNS0_10empty_typeEbEEZZNS1_14partition_implILS5_6ELb0ES3_mN6thrust23THRUST_200600_302600_NS6detail15normal_iteratorINSA_10device_ptrIxEEEEPS6_SG_NS0_5tupleIJSF_S6_EEENSH_IJSG_SG_EEES6_PlJNSB_9not_fun_tI7is_trueIxEEEEEE10hipError_tPvRmT3_T4_T5_T6_T7_T9_mT8_P12ihipStream_tbDpT10_ENKUlT_T0_E_clISt17integral_constantIbLb0EES17_IbLb1EEEEDaS13_S14_EUlS13_E_NS1_11comp_targetILNS1_3genE5ELNS1_11target_archE942ELNS1_3gpuE9ELNS1_3repE0EEENS1_30default_config_static_selectorELNS0_4arch9wavefront6targetE0EEEvT1_: ; @_ZN7rocprim17ROCPRIM_400000_NS6detail17trampoline_kernelINS0_14default_configENS1_25partition_config_selectorILNS1_17partition_subalgoE6ExNS0_10empty_typeEbEEZZNS1_14partition_implILS5_6ELb0ES3_mN6thrust23THRUST_200600_302600_NS6detail15normal_iteratorINSA_10device_ptrIxEEEEPS6_SG_NS0_5tupleIJSF_S6_EEENSH_IJSG_SG_EEES6_PlJNSB_9not_fun_tI7is_trueIxEEEEEE10hipError_tPvRmT3_T4_T5_T6_T7_T9_mT8_P12ihipStream_tbDpT10_ENKUlT_T0_E_clISt17integral_constantIbLb0EES17_IbLb1EEEEDaS13_S14_EUlS13_E_NS1_11comp_targetILNS1_3genE5ELNS1_11target_archE942ELNS1_3gpuE9ELNS1_3repE0EEENS1_30default_config_static_selectorELNS0_4arch9wavefront6targetE0EEEvT1_
; %bb.0:
	.section	.rodata,"a",@progbits
	.p2align	6, 0x0
	.amdhsa_kernel _ZN7rocprim17ROCPRIM_400000_NS6detail17trampoline_kernelINS0_14default_configENS1_25partition_config_selectorILNS1_17partition_subalgoE6ExNS0_10empty_typeEbEEZZNS1_14partition_implILS5_6ELb0ES3_mN6thrust23THRUST_200600_302600_NS6detail15normal_iteratorINSA_10device_ptrIxEEEEPS6_SG_NS0_5tupleIJSF_S6_EEENSH_IJSG_SG_EEES6_PlJNSB_9not_fun_tI7is_trueIxEEEEEE10hipError_tPvRmT3_T4_T5_T6_T7_T9_mT8_P12ihipStream_tbDpT10_ENKUlT_T0_E_clISt17integral_constantIbLb0EES17_IbLb1EEEEDaS13_S14_EUlS13_E_NS1_11comp_targetILNS1_3genE5ELNS1_11target_archE942ELNS1_3gpuE9ELNS1_3repE0EEENS1_30default_config_static_selectorELNS0_4arch9wavefront6targetE0EEEvT1_
		.amdhsa_group_segment_fixed_size 0
		.amdhsa_private_segment_fixed_size 0
		.amdhsa_kernarg_size 128
		.amdhsa_user_sgpr_count 2
		.amdhsa_user_sgpr_dispatch_ptr 0
		.amdhsa_user_sgpr_queue_ptr 0
		.amdhsa_user_sgpr_kernarg_segment_ptr 1
		.amdhsa_user_sgpr_dispatch_id 0
		.amdhsa_user_sgpr_private_segment_size 0
		.amdhsa_wavefront_size32 1
		.amdhsa_uses_dynamic_stack 0
		.amdhsa_enable_private_segment 0
		.amdhsa_system_sgpr_workgroup_id_x 1
		.amdhsa_system_sgpr_workgroup_id_y 0
		.amdhsa_system_sgpr_workgroup_id_z 0
		.amdhsa_system_sgpr_workgroup_info 0
		.amdhsa_system_vgpr_workitem_id 0
		.amdhsa_next_free_vgpr 1
		.amdhsa_next_free_sgpr 1
		.amdhsa_reserve_vcc 0
		.amdhsa_float_round_mode_32 0
		.amdhsa_float_round_mode_16_64 0
		.amdhsa_float_denorm_mode_32 3
		.amdhsa_float_denorm_mode_16_64 3
		.amdhsa_fp16_overflow 0
		.amdhsa_workgroup_processor_mode 1
		.amdhsa_memory_ordered 1
		.amdhsa_forward_progress 1
		.amdhsa_inst_pref_size 0
		.amdhsa_round_robin_scheduling 0
		.amdhsa_exception_fp_ieee_invalid_op 0
		.amdhsa_exception_fp_denorm_src 0
		.amdhsa_exception_fp_ieee_div_zero 0
		.amdhsa_exception_fp_ieee_overflow 0
		.amdhsa_exception_fp_ieee_underflow 0
		.amdhsa_exception_fp_ieee_inexact 0
		.amdhsa_exception_int_div_zero 0
	.end_amdhsa_kernel
	.section	.text._ZN7rocprim17ROCPRIM_400000_NS6detail17trampoline_kernelINS0_14default_configENS1_25partition_config_selectorILNS1_17partition_subalgoE6ExNS0_10empty_typeEbEEZZNS1_14partition_implILS5_6ELb0ES3_mN6thrust23THRUST_200600_302600_NS6detail15normal_iteratorINSA_10device_ptrIxEEEEPS6_SG_NS0_5tupleIJSF_S6_EEENSH_IJSG_SG_EEES6_PlJNSB_9not_fun_tI7is_trueIxEEEEEE10hipError_tPvRmT3_T4_T5_T6_T7_T9_mT8_P12ihipStream_tbDpT10_ENKUlT_T0_E_clISt17integral_constantIbLb0EES17_IbLb1EEEEDaS13_S14_EUlS13_E_NS1_11comp_targetILNS1_3genE5ELNS1_11target_archE942ELNS1_3gpuE9ELNS1_3repE0EEENS1_30default_config_static_selectorELNS0_4arch9wavefront6targetE0EEEvT1_,"axG",@progbits,_ZN7rocprim17ROCPRIM_400000_NS6detail17trampoline_kernelINS0_14default_configENS1_25partition_config_selectorILNS1_17partition_subalgoE6ExNS0_10empty_typeEbEEZZNS1_14partition_implILS5_6ELb0ES3_mN6thrust23THRUST_200600_302600_NS6detail15normal_iteratorINSA_10device_ptrIxEEEEPS6_SG_NS0_5tupleIJSF_S6_EEENSH_IJSG_SG_EEES6_PlJNSB_9not_fun_tI7is_trueIxEEEEEE10hipError_tPvRmT3_T4_T5_T6_T7_T9_mT8_P12ihipStream_tbDpT10_ENKUlT_T0_E_clISt17integral_constantIbLb0EES17_IbLb1EEEEDaS13_S14_EUlS13_E_NS1_11comp_targetILNS1_3genE5ELNS1_11target_archE942ELNS1_3gpuE9ELNS1_3repE0EEENS1_30default_config_static_selectorELNS0_4arch9wavefront6targetE0EEEvT1_,comdat
.Lfunc_end1230:
	.size	_ZN7rocprim17ROCPRIM_400000_NS6detail17trampoline_kernelINS0_14default_configENS1_25partition_config_selectorILNS1_17partition_subalgoE6ExNS0_10empty_typeEbEEZZNS1_14partition_implILS5_6ELb0ES3_mN6thrust23THRUST_200600_302600_NS6detail15normal_iteratorINSA_10device_ptrIxEEEEPS6_SG_NS0_5tupleIJSF_S6_EEENSH_IJSG_SG_EEES6_PlJNSB_9not_fun_tI7is_trueIxEEEEEE10hipError_tPvRmT3_T4_T5_T6_T7_T9_mT8_P12ihipStream_tbDpT10_ENKUlT_T0_E_clISt17integral_constantIbLb0EES17_IbLb1EEEEDaS13_S14_EUlS13_E_NS1_11comp_targetILNS1_3genE5ELNS1_11target_archE942ELNS1_3gpuE9ELNS1_3repE0EEENS1_30default_config_static_selectorELNS0_4arch9wavefront6targetE0EEEvT1_, .Lfunc_end1230-_ZN7rocprim17ROCPRIM_400000_NS6detail17trampoline_kernelINS0_14default_configENS1_25partition_config_selectorILNS1_17partition_subalgoE6ExNS0_10empty_typeEbEEZZNS1_14partition_implILS5_6ELb0ES3_mN6thrust23THRUST_200600_302600_NS6detail15normal_iteratorINSA_10device_ptrIxEEEEPS6_SG_NS0_5tupleIJSF_S6_EEENSH_IJSG_SG_EEES6_PlJNSB_9not_fun_tI7is_trueIxEEEEEE10hipError_tPvRmT3_T4_T5_T6_T7_T9_mT8_P12ihipStream_tbDpT10_ENKUlT_T0_E_clISt17integral_constantIbLb0EES17_IbLb1EEEEDaS13_S14_EUlS13_E_NS1_11comp_targetILNS1_3genE5ELNS1_11target_archE942ELNS1_3gpuE9ELNS1_3repE0EEENS1_30default_config_static_selectorELNS0_4arch9wavefront6targetE0EEEvT1_
                                        ; -- End function
	.set _ZN7rocprim17ROCPRIM_400000_NS6detail17trampoline_kernelINS0_14default_configENS1_25partition_config_selectorILNS1_17partition_subalgoE6ExNS0_10empty_typeEbEEZZNS1_14partition_implILS5_6ELb0ES3_mN6thrust23THRUST_200600_302600_NS6detail15normal_iteratorINSA_10device_ptrIxEEEEPS6_SG_NS0_5tupleIJSF_S6_EEENSH_IJSG_SG_EEES6_PlJNSB_9not_fun_tI7is_trueIxEEEEEE10hipError_tPvRmT3_T4_T5_T6_T7_T9_mT8_P12ihipStream_tbDpT10_ENKUlT_T0_E_clISt17integral_constantIbLb0EES17_IbLb1EEEEDaS13_S14_EUlS13_E_NS1_11comp_targetILNS1_3genE5ELNS1_11target_archE942ELNS1_3gpuE9ELNS1_3repE0EEENS1_30default_config_static_selectorELNS0_4arch9wavefront6targetE0EEEvT1_.num_vgpr, 0
	.set _ZN7rocprim17ROCPRIM_400000_NS6detail17trampoline_kernelINS0_14default_configENS1_25partition_config_selectorILNS1_17partition_subalgoE6ExNS0_10empty_typeEbEEZZNS1_14partition_implILS5_6ELb0ES3_mN6thrust23THRUST_200600_302600_NS6detail15normal_iteratorINSA_10device_ptrIxEEEEPS6_SG_NS0_5tupleIJSF_S6_EEENSH_IJSG_SG_EEES6_PlJNSB_9not_fun_tI7is_trueIxEEEEEE10hipError_tPvRmT3_T4_T5_T6_T7_T9_mT8_P12ihipStream_tbDpT10_ENKUlT_T0_E_clISt17integral_constantIbLb0EES17_IbLb1EEEEDaS13_S14_EUlS13_E_NS1_11comp_targetILNS1_3genE5ELNS1_11target_archE942ELNS1_3gpuE9ELNS1_3repE0EEENS1_30default_config_static_selectorELNS0_4arch9wavefront6targetE0EEEvT1_.num_agpr, 0
	.set _ZN7rocprim17ROCPRIM_400000_NS6detail17trampoline_kernelINS0_14default_configENS1_25partition_config_selectorILNS1_17partition_subalgoE6ExNS0_10empty_typeEbEEZZNS1_14partition_implILS5_6ELb0ES3_mN6thrust23THRUST_200600_302600_NS6detail15normal_iteratorINSA_10device_ptrIxEEEEPS6_SG_NS0_5tupleIJSF_S6_EEENSH_IJSG_SG_EEES6_PlJNSB_9not_fun_tI7is_trueIxEEEEEE10hipError_tPvRmT3_T4_T5_T6_T7_T9_mT8_P12ihipStream_tbDpT10_ENKUlT_T0_E_clISt17integral_constantIbLb0EES17_IbLb1EEEEDaS13_S14_EUlS13_E_NS1_11comp_targetILNS1_3genE5ELNS1_11target_archE942ELNS1_3gpuE9ELNS1_3repE0EEENS1_30default_config_static_selectorELNS0_4arch9wavefront6targetE0EEEvT1_.numbered_sgpr, 0
	.set _ZN7rocprim17ROCPRIM_400000_NS6detail17trampoline_kernelINS0_14default_configENS1_25partition_config_selectorILNS1_17partition_subalgoE6ExNS0_10empty_typeEbEEZZNS1_14partition_implILS5_6ELb0ES3_mN6thrust23THRUST_200600_302600_NS6detail15normal_iteratorINSA_10device_ptrIxEEEEPS6_SG_NS0_5tupleIJSF_S6_EEENSH_IJSG_SG_EEES6_PlJNSB_9not_fun_tI7is_trueIxEEEEEE10hipError_tPvRmT3_T4_T5_T6_T7_T9_mT8_P12ihipStream_tbDpT10_ENKUlT_T0_E_clISt17integral_constantIbLb0EES17_IbLb1EEEEDaS13_S14_EUlS13_E_NS1_11comp_targetILNS1_3genE5ELNS1_11target_archE942ELNS1_3gpuE9ELNS1_3repE0EEENS1_30default_config_static_selectorELNS0_4arch9wavefront6targetE0EEEvT1_.num_named_barrier, 0
	.set _ZN7rocprim17ROCPRIM_400000_NS6detail17trampoline_kernelINS0_14default_configENS1_25partition_config_selectorILNS1_17partition_subalgoE6ExNS0_10empty_typeEbEEZZNS1_14partition_implILS5_6ELb0ES3_mN6thrust23THRUST_200600_302600_NS6detail15normal_iteratorINSA_10device_ptrIxEEEEPS6_SG_NS0_5tupleIJSF_S6_EEENSH_IJSG_SG_EEES6_PlJNSB_9not_fun_tI7is_trueIxEEEEEE10hipError_tPvRmT3_T4_T5_T6_T7_T9_mT8_P12ihipStream_tbDpT10_ENKUlT_T0_E_clISt17integral_constantIbLb0EES17_IbLb1EEEEDaS13_S14_EUlS13_E_NS1_11comp_targetILNS1_3genE5ELNS1_11target_archE942ELNS1_3gpuE9ELNS1_3repE0EEENS1_30default_config_static_selectorELNS0_4arch9wavefront6targetE0EEEvT1_.private_seg_size, 0
	.set _ZN7rocprim17ROCPRIM_400000_NS6detail17trampoline_kernelINS0_14default_configENS1_25partition_config_selectorILNS1_17partition_subalgoE6ExNS0_10empty_typeEbEEZZNS1_14partition_implILS5_6ELb0ES3_mN6thrust23THRUST_200600_302600_NS6detail15normal_iteratorINSA_10device_ptrIxEEEEPS6_SG_NS0_5tupleIJSF_S6_EEENSH_IJSG_SG_EEES6_PlJNSB_9not_fun_tI7is_trueIxEEEEEE10hipError_tPvRmT3_T4_T5_T6_T7_T9_mT8_P12ihipStream_tbDpT10_ENKUlT_T0_E_clISt17integral_constantIbLb0EES17_IbLb1EEEEDaS13_S14_EUlS13_E_NS1_11comp_targetILNS1_3genE5ELNS1_11target_archE942ELNS1_3gpuE9ELNS1_3repE0EEENS1_30default_config_static_selectorELNS0_4arch9wavefront6targetE0EEEvT1_.uses_vcc, 0
	.set _ZN7rocprim17ROCPRIM_400000_NS6detail17trampoline_kernelINS0_14default_configENS1_25partition_config_selectorILNS1_17partition_subalgoE6ExNS0_10empty_typeEbEEZZNS1_14partition_implILS5_6ELb0ES3_mN6thrust23THRUST_200600_302600_NS6detail15normal_iteratorINSA_10device_ptrIxEEEEPS6_SG_NS0_5tupleIJSF_S6_EEENSH_IJSG_SG_EEES6_PlJNSB_9not_fun_tI7is_trueIxEEEEEE10hipError_tPvRmT3_T4_T5_T6_T7_T9_mT8_P12ihipStream_tbDpT10_ENKUlT_T0_E_clISt17integral_constantIbLb0EES17_IbLb1EEEEDaS13_S14_EUlS13_E_NS1_11comp_targetILNS1_3genE5ELNS1_11target_archE942ELNS1_3gpuE9ELNS1_3repE0EEENS1_30default_config_static_selectorELNS0_4arch9wavefront6targetE0EEEvT1_.uses_flat_scratch, 0
	.set _ZN7rocprim17ROCPRIM_400000_NS6detail17trampoline_kernelINS0_14default_configENS1_25partition_config_selectorILNS1_17partition_subalgoE6ExNS0_10empty_typeEbEEZZNS1_14partition_implILS5_6ELb0ES3_mN6thrust23THRUST_200600_302600_NS6detail15normal_iteratorINSA_10device_ptrIxEEEEPS6_SG_NS0_5tupleIJSF_S6_EEENSH_IJSG_SG_EEES6_PlJNSB_9not_fun_tI7is_trueIxEEEEEE10hipError_tPvRmT3_T4_T5_T6_T7_T9_mT8_P12ihipStream_tbDpT10_ENKUlT_T0_E_clISt17integral_constantIbLb0EES17_IbLb1EEEEDaS13_S14_EUlS13_E_NS1_11comp_targetILNS1_3genE5ELNS1_11target_archE942ELNS1_3gpuE9ELNS1_3repE0EEENS1_30default_config_static_selectorELNS0_4arch9wavefront6targetE0EEEvT1_.has_dyn_sized_stack, 0
	.set _ZN7rocprim17ROCPRIM_400000_NS6detail17trampoline_kernelINS0_14default_configENS1_25partition_config_selectorILNS1_17partition_subalgoE6ExNS0_10empty_typeEbEEZZNS1_14partition_implILS5_6ELb0ES3_mN6thrust23THRUST_200600_302600_NS6detail15normal_iteratorINSA_10device_ptrIxEEEEPS6_SG_NS0_5tupleIJSF_S6_EEENSH_IJSG_SG_EEES6_PlJNSB_9not_fun_tI7is_trueIxEEEEEE10hipError_tPvRmT3_T4_T5_T6_T7_T9_mT8_P12ihipStream_tbDpT10_ENKUlT_T0_E_clISt17integral_constantIbLb0EES17_IbLb1EEEEDaS13_S14_EUlS13_E_NS1_11comp_targetILNS1_3genE5ELNS1_11target_archE942ELNS1_3gpuE9ELNS1_3repE0EEENS1_30default_config_static_selectorELNS0_4arch9wavefront6targetE0EEEvT1_.has_recursion, 0
	.set _ZN7rocprim17ROCPRIM_400000_NS6detail17trampoline_kernelINS0_14default_configENS1_25partition_config_selectorILNS1_17partition_subalgoE6ExNS0_10empty_typeEbEEZZNS1_14partition_implILS5_6ELb0ES3_mN6thrust23THRUST_200600_302600_NS6detail15normal_iteratorINSA_10device_ptrIxEEEEPS6_SG_NS0_5tupleIJSF_S6_EEENSH_IJSG_SG_EEES6_PlJNSB_9not_fun_tI7is_trueIxEEEEEE10hipError_tPvRmT3_T4_T5_T6_T7_T9_mT8_P12ihipStream_tbDpT10_ENKUlT_T0_E_clISt17integral_constantIbLb0EES17_IbLb1EEEEDaS13_S14_EUlS13_E_NS1_11comp_targetILNS1_3genE5ELNS1_11target_archE942ELNS1_3gpuE9ELNS1_3repE0EEENS1_30default_config_static_selectorELNS0_4arch9wavefront6targetE0EEEvT1_.has_indirect_call, 0
	.section	.AMDGPU.csdata,"",@progbits
; Kernel info:
; codeLenInByte = 0
; TotalNumSgprs: 0
; NumVgprs: 0
; ScratchSize: 0
; MemoryBound: 0
; FloatMode: 240
; IeeeMode: 1
; LDSByteSize: 0 bytes/workgroup (compile time only)
; SGPRBlocks: 0
; VGPRBlocks: 0
; NumSGPRsForWavesPerEU: 1
; NumVGPRsForWavesPerEU: 1
; Occupancy: 16
; WaveLimiterHint : 0
; COMPUTE_PGM_RSRC2:SCRATCH_EN: 0
; COMPUTE_PGM_RSRC2:USER_SGPR: 2
; COMPUTE_PGM_RSRC2:TRAP_HANDLER: 0
; COMPUTE_PGM_RSRC2:TGID_X_EN: 1
; COMPUTE_PGM_RSRC2:TGID_Y_EN: 0
; COMPUTE_PGM_RSRC2:TGID_Z_EN: 0
; COMPUTE_PGM_RSRC2:TIDIG_COMP_CNT: 0
	.section	.text._ZN7rocprim17ROCPRIM_400000_NS6detail17trampoline_kernelINS0_14default_configENS1_25partition_config_selectorILNS1_17partition_subalgoE6ExNS0_10empty_typeEbEEZZNS1_14partition_implILS5_6ELb0ES3_mN6thrust23THRUST_200600_302600_NS6detail15normal_iteratorINSA_10device_ptrIxEEEEPS6_SG_NS0_5tupleIJSF_S6_EEENSH_IJSG_SG_EEES6_PlJNSB_9not_fun_tI7is_trueIxEEEEEE10hipError_tPvRmT3_T4_T5_T6_T7_T9_mT8_P12ihipStream_tbDpT10_ENKUlT_T0_E_clISt17integral_constantIbLb0EES17_IbLb1EEEEDaS13_S14_EUlS13_E_NS1_11comp_targetILNS1_3genE4ELNS1_11target_archE910ELNS1_3gpuE8ELNS1_3repE0EEENS1_30default_config_static_selectorELNS0_4arch9wavefront6targetE0EEEvT1_,"axG",@progbits,_ZN7rocprim17ROCPRIM_400000_NS6detail17trampoline_kernelINS0_14default_configENS1_25partition_config_selectorILNS1_17partition_subalgoE6ExNS0_10empty_typeEbEEZZNS1_14partition_implILS5_6ELb0ES3_mN6thrust23THRUST_200600_302600_NS6detail15normal_iteratorINSA_10device_ptrIxEEEEPS6_SG_NS0_5tupleIJSF_S6_EEENSH_IJSG_SG_EEES6_PlJNSB_9not_fun_tI7is_trueIxEEEEEE10hipError_tPvRmT3_T4_T5_T6_T7_T9_mT8_P12ihipStream_tbDpT10_ENKUlT_T0_E_clISt17integral_constantIbLb0EES17_IbLb1EEEEDaS13_S14_EUlS13_E_NS1_11comp_targetILNS1_3genE4ELNS1_11target_archE910ELNS1_3gpuE8ELNS1_3repE0EEENS1_30default_config_static_selectorELNS0_4arch9wavefront6targetE0EEEvT1_,comdat
	.protected	_ZN7rocprim17ROCPRIM_400000_NS6detail17trampoline_kernelINS0_14default_configENS1_25partition_config_selectorILNS1_17partition_subalgoE6ExNS0_10empty_typeEbEEZZNS1_14partition_implILS5_6ELb0ES3_mN6thrust23THRUST_200600_302600_NS6detail15normal_iteratorINSA_10device_ptrIxEEEEPS6_SG_NS0_5tupleIJSF_S6_EEENSH_IJSG_SG_EEES6_PlJNSB_9not_fun_tI7is_trueIxEEEEEE10hipError_tPvRmT3_T4_T5_T6_T7_T9_mT8_P12ihipStream_tbDpT10_ENKUlT_T0_E_clISt17integral_constantIbLb0EES17_IbLb1EEEEDaS13_S14_EUlS13_E_NS1_11comp_targetILNS1_3genE4ELNS1_11target_archE910ELNS1_3gpuE8ELNS1_3repE0EEENS1_30default_config_static_selectorELNS0_4arch9wavefront6targetE0EEEvT1_ ; -- Begin function _ZN7rocprim17ROCPRIM_400000_NS6detail17trampoline_kernelINS0_14default_configENS1_25partition_config_selectorILNS1_17partition_subalgoE6ExNS0_10empty_typeEbEEZZNS1_14partition_implILS5_6ELb0ES3_mN6thrust23THRUST_200600_302600_NS6detail15normal_iteratorINSA_10device_ptrIxEEEEPS6_SG_NS0_5tupleIJSF_S6_EEENSH_IJSG_SG_EEES6_PlJNSB_9not_fun_tI7is_trueIxEEEEEE10hipError_tPvRmT3_T4_T5_T6_T7_T9_mT8_P12ihipStream_tbDpT10_ENKUlT_T0_E_clISt17integral_constantIbLb0EES17_IbLb1EEEEDaS13_S14_EUlS13_E_NS1_11comp_targetILNS1_3genE4ELNS1_11target_archE910ELNS1_3gpuE8ELNS1_3repE0EEENS1_30default_config_static_selectorELNS0_4arch9wavefront6targetE0EEEvT1_
	.globl	_ZN7rocprim17ROCPRIM_400000_NS6detail17trampoline_kernelINS0_14default_configENS1_25partition_config_selectorILNS1_17partition_subalgoE6ExNS0_10empty_typeEbEEZZNS1_14partition_implILS5_6ELb0ES3_mN6thrust23THRUST_200600_302600_NS6detail15normal_iteratorINSA_10device_ptrIxEEEEPS6_SG_NS0_5tupleIJSF_S6_EEENSH_IJSG_SG_EEES6_PlJNSB_9not_fun_tI7is_trueIxEEEEEE10hipError_tPvRmT3_T4_T5_T6_T7_T9_mT8_P12ihipStream_tbDpT10_ENKUlT_T0_E_clISt17integral_constantIbLb0EES17_IbLb1EEEEDaS13_S14_EUlS13_E_NS1_11comp_targetILNS1_3genE4ELNS1_11target_archE910ELNS1_3gpuE8ELNS1_3repE0EEENS1_30default_config_static_selectorELNS0_4arch9wavefront6targetE0EEEvT1_
	.p2align	8
	.type	_ZN7rocprim17ROCPRIM_400000_NS6detail17trampoline_kernelINS0_14default_configENS1_25partition_config_selectorILNS1_17partition_subalgoE6ExNS0_10empty_typeEbEEZZNS1_14partition_implILS5_6ELb0ES3_mN6thrust23THRUST_200600_302600_NS6detail15normal_iteratorINSA_10device_ptrIxEEEEPS6_SG_NS0_5tupleIJSF_S6_EEENSH_IJSG_SG_EEES6_PlJNSB_9not_fun_tI7is_trueIxEEEEEE10hipError_tPvRmT3_T4_T5_T6_T7_T9_mT8_P12ihipStream_tbDpT10_ENKUlT_T0_E_clISt17integral_constantIbLb0EES17_IbLb1EEEEDaS13_S14_EUlS13_E_NS1_11comp_targetILNS1_3genE4ELNS1_11target_archE910ELNS1_3gpuE8ELNS1_3repE0EEENS1_30default_config_static_selectorELNS0_4arch9wavefront6targetE0EEEvT1_,@function
_ZN7rocprim17ROCPRIM_400000_NS6detail17trampoline_kernelINS0_14default_configENS1_25partition_config_selectorILNS1_17partition_subalgoE6ExNS0_10empty_typeEbEEZZNS1_14partition_implILS5_6ELb0ES3_mN6thrust23THRUST_200600_302600_NS6detail15normal_iteratorINSA_10device_ptrIxEEEEPS6_SG_NS0_5tupleIJSF_S6_EEENSH_IJSG_SG_EEES6_PlJNSB_9not_fun_tI7is_trueIxEEEEEE10hipError_tPvRmT3_T4_T5_T6_T7_T9_mT8_P12ihipStream_tbDpT10_ENKUlT_T0_E_clISt17integral_constantIbLb0EES17_IbLb1EEEEDaS13_S14_EUlS13_E_NS1_11comp_targetILNS1_3genE4ELNS1_11target_archE910ELNS1_3gpuE8ELNS1_3repE0EEENS1_30default_config_static_selectorELNS0_4arch9wavefront6targetE0EEEvT1_: ; @_ZN7rocprim17ROCPRIM_400000_NS6detail17trampoline_kernelINS0_14default_configENS1_25partition_config_selectorILNS1_17partition_subalgoE6ExNS0_10empty_typeEbEEZZNS1_14partition_implILS5_6ELb0ES3_mN6thrust23THRUST_200600_302600_NS6detail15normal_iteratorINSA_10device_ptrIxEEEEPS6_SG_NS0_5tupleIJSF_S6_EEENSH_IJSG_SG_EEES6_PlJNSB_9not_fun_tI7is_trueIxEEEEEE10hipError_tPvRmT3_T4_T5_T6_T7_T9_mT8_P12ihipStream_tbDpT10_ENKUlT_T0_E_clISt17integral_constantIbLb0EES17_IbLb1EEEEDaS13_S14_EUlS13_E_NS1_11comp_targetILNS1_3genE4ELNS1_11target_archE910ELNS1_3gpuE8ELNS1_3repE0EEENS1_30default_config_static_selectorELNS0_4arch9wavefront6targetE0EEEvT1_
; %bb.0:
	.section	.rodata,"a",@progbits
	.p2align	6, 0x0
	.amdhsa_kernel _ZN7rocprim17ROCPRIM_400000_NS6detail17trampoline_kernelINS0_14default_configENS1_25partition_config_selectorILNS1_17partition_subalgoE6ExNS0_10empty_typeEbEEZZNS1_14partition_implILS5_6ELb0ES3_mN6thrust23THRUST_200600_302600_NS6detail15normal_iteratorINSA_10device_ptrIxEEEEPS6_SG_NS0_5tupleIJSF_S6_EEENSH_IJSG_SG_EEES6_PlJNSB_9not_fun_tI7is_trueIxEEEEEE10hipError_tPvRmT3_T4_T5_T6_T7_T9_mT8_P12ihipStream_tbDpT10_ENKUlT_T0_E_clISt17integral_constantIbLb0EES17_IbLb1EEEEDaS13_S14_EUlS13_E_NS1_11comp_targetILNS1_3genE4ELNS1_11target_archE910ELNS1_3gpuE8ELNS1_3repE0EEENS1_30default_config_static_selectorELNS0_4arch9wavefront6targetE0EEEvT1_
		.amdhsa_group_segment_fixed_size 0
		.amdhsa_private_segment_fixed_size 0
		.amdhsa_kernarg_size 128
		.amdhsa_user_sgpr_count 2
		.amdhsa_user_sgpr_dispatch_ptr 0
		.amdhsa_user_sgpr_queue_ptr 0
		.amdhsa_user_sgpr_kernarg_segment_ptr 1
		.amdhsa_user_sgpr_dispatch_id 0
		.amdhsa_user_sgpr_private_segment_size 0
		.amdhsa_wavefront_size32 1
		.amdhsa_uses_dynamic_stack 0
		.amdhsa_enable_private_segment 0
		.amdhsa_system_sgpr_workgroup_id_x 1
		.amdhsa_system_sgpr_workgroup_id_y 0
		.amdhsa_system_sgpr_workgroup_id_z 0
		.amdhsa_system_sgpr_workgroup_info 0
		.amdhsa_system_vgpr_workitem_id 0
		.amdhsa_next_free_vgpr 1
		.amdhsa_next_free_sgpr 1
		.amdhsa_reserve_vcc 0
		.amdhsa_float_round_mode_32 0
		.amdhsa_float_round_mode_16_64 0
		.amdhsa_float_denorm_mode_32 3
		.amdhsa_float_denorm_mode_16_64 3
		.amdhsa_fp16_overflow 0
		.amdhsa_workgroup_processor_mode 1
		.amdhsa_memory_ordered 1
		.amdhsa_forward_progress 1
		.amdhsa_inst_pref_size 0
		.amdhsa_round_robin_scheduling 0
		.amdhsa_exception_fp_ieee_invalid_op 0
		.amdhsa_exception_fp_denorm_src 0
		.amdhsa_exception_fp_ieee_div_zero 0
		.amdhsa_exception_fp_ieee_overflow 0
		.amdhsa_exception_fp_ieee_underflow 0
		.amdhsa_exception_fp_ieee_inexact 0
		.amdhsa_exception_int_div_zero 0
	.end_amdhsa_kernel
	.section	.text._ZN7rocprim17ROCPRIM_400000_NS6detail17trampoline_kernelINS0_14default_configENS1_25partition_config_selectorILNS1_17partition_subalgoE6ExNS0_10empty_typeEbEEZZNS1_14partition_implILS5_6ELb0ES3_mN6thrust23THRUST_200600_302600_NS6detail15normal_iteratorINSA_10device_ptrIxEEEEPS6_SG_NS0_5tupleIJSF_S6_EEENSH_IJSG_SG_EEES6_PlJNSB_9not_fun_tI7is_trueIxEEEEEE10hipError_tPvRmT3_T4_T5_T6_T7_T9_mT8_P12ihipStream_tbDpT10_ENKUlT_T0_E_clISt17integral_constantIbLb0EES17_IbLb1EEEEDaS13_S14_EUlS13_E_NS1_11comp_targetILNS1_3genE4ELNS1_11target_archE910ELNS1_3gpuE8ELNS1_3repE0EEENS1_30default_config_static_selectorELNS0_4arch9wavefront6targetE0EEEvT1_,"axG",@progbits,_ZN7rocprim17ROCPRIM_400000_NS6detail17trampoline_kernelINS0_14default_configENS1_25partition_config_selectorILNS1_17partition_subalgoE6ExNS0_10empty_typeEbEEZZNS1_14partition_implILS5_6ELb0ES3_mN6thrust23THRUST_200600_302600_NS6detail15normal_iteratorINSA_10device_ptrIxEEEEPS6_SG_NS0_5tupleIJSF_S6_EEENSH_IJSG_SG_EEES6_PlJNSB_9not_fun_tI7is_trueIxEEEEEE10hipError_tPvRmT3_T4_T5_T6_T7_T9_mT8_P12ihipStream_tbDpT10_ENKUlT_T0_E_clISt17integral_constantIbLb0EES17_IbLb1EEEEDaS13_S14_EUlS13_E_NS1_11comp_targetILNS1_3genE4ELNS1_11target_archE910ELNS1_3gpuE8ELNS1_3repE0EEENS1_30default_config_static_selectorELNS0_4arch9wavefront6targetE0EEEvT1_,comdat
.Lfunc_end1231:
	.size	_ZN7rocprim17ROCPRIM_400000_NS6detail17trampoline_kernelINS0_14default_configENS1_25partition_config_selectorILNS1_17partition_subalgoE6ExNS0_10empty_typeEbEEZZNS1_14partition_implILS5_6ELb0ES3_mN6thrust23THRUST_200600_302600_NS6detail15normal_iteratorINSA_10device_ptrIxEEEEPS6_SG_NS0_5tupleIJSF_S6_EEENSH_IJSG_SG_EEES6_PlJNSB_9not_fun_tI7is_trueIxEEEEEE10hipError_tPvRmT3_T4_T5_T6_T7_T9_mT8_P12ihipStream_tbDpT10_ENKUlT_T0_E_clISt17integral_constantIbLb0EES17_IbLb1EEEEDaS13_S14_EUlS13_E_NS1_11comp_targetILNS1_3genE4ELNS1_11target_archE910ELNS1_3gpuE8ELNS1_3repE0EEENS1_30default_config_static_selectorELNS0_4arch9wavefront6targetE0EEEvT1_, .Lfunc_end1231-_ZN7rocprim17ROCPRIM_400000_NS6detail17trampoline_kernelINS0_14default_configENS1_25partition_config_selectorILNS1_17partition_subalgoE6ExNS0_10empty_typeEbEEZZNS1_14partition_implILS5_6ELb0ES3_mN6thrust23THRUST_200600_302600_NS6detail15normal_iteratorINSA_10device_ptrIxEEEEPS6_SG_NS0_5tupleIJSF_S6_EEENSH_IJSG_SG_EEES6_PlJNSB_9not_fun_tI7is_trueIxEEEEEE10hipError_tPvRmT3_T4_T5_T6_T7_T9_mT8_P12ihipStream_tbDpT10_ENKUlT_T0_E_clISt17integral_constantIbLb0EES17_IbLb1EEEEDaS13_S14_EUlS13_E_NS1_11comp_targetILNS1_3genE4ELNS1_11target_archE910ELNS1_3gpuE8ELNS1_3repE0EEENS1_30default_config_static_selectorELNS0_4arch9wavefront6targetE0EEEvT1_
                                        ; -- End function
	.set _ZN7rocprim17ROCPRIM_400000_NS6detail17trampoline_kernelINS0_14default_configENS1_25partition_config_selectorILNS1_17partition_subalgoE6ExNS0_10empty_typeEbEEZZNS1_14partition_implILS5_6ELb0ES3_mN6thrust23THRUST_200600_302600_NS6detail15normal_iteratorINSA_10device_ptrIxEEEEPS6_SG_NS0_5tupleIJSF_S6_EEENSH_IJSG_SG_EEES6_PlJNSB_9not_fun_tI7is_trueIxEEEEEE10hipError_tPvRmT3_T4_T5_T6_T7_T9_mT8_P12ihipStream_tbDpT10_ENKUlT_T0_E_clISt17integral_constantIbLb0EES17_IbLb1EEEEDaS13_S14_EUlS13_E_NS1_11comp_targetILNS1_3genE4ELNS1_11target_archE910ELNS1_3gpuE8ELNS1_3repE0EEENS1_30default_config_static_selectorELNS0_4arch9wavefront6targetE0EEEvT1_.num_vgpr, 0
	.set _ZN7rocprim17ROCPRIM_400000_NS6detail17trampoline_kernelINS0_14default_configENS1_25partition_config_selectorILNS1_17partition_subalgoE6ExNS0_10empty_typeEbEEZZNS1_14partition_implILS5_6ELb0ES3_mN6thrust23THRUST_200600_302600_NS6detail15normal_iteratorINSA_10device_ptrIxEEEEPS6_SG_NS0_5tupleIJSF_S6_EEENSH_IJSG_SG_EEES6_PlJNSB_9not_fun_tI7is_trueIxEEEEEE10hipError_tPvRmT3_T4_T5_T6_T7_T9_mT8_P12ihipStream_tbDpT10_ENKUlT_T0_E_clISt17integral_constantIbLb0EES17_IbLb1EEEEDaS13_S14_EUlS13_E_NS1_11comp_targetILNS1_3genE4ELNS1_11target_archE910ELNS1_3gpuE8ELNS1_3repE0EEENS1_30default_config_static_selectorELNS0_4arch9wavefront6targetE0EEEvT1_.num_agpr, 0
	.set _ZN7rocprim17ROCPRIM_400000_NS6detail17trampoline_kernelINS0_14default_configENS1_25partition_config_selectorILNS1_17partition_subalgoE6ExNS0_10empty_typeEbEEZZNS1_14partition_implILS5_6ELb0ES3_mN6thrust23THRUST_200600_302600_NS6detail15normal_iteratorINSA_10device_ptrIxEEEEPS6_SG_NS0_5tupleIJSF_S6_EEENSH_IJSG_SG_EEES6_PlJNSB_9not_fun_tI7is_trueIxEEEEEE10hipError_tPvRmT3_T4_T5_T6_T7_T9_mT8_P12ihipStream_tbDpT10_ENKUlT_T0_E_clISt17integral_constantIbLb0EES17_IbLb1EEEEDaS13_S14_EUlS13_E_NS1_11comp_targetILNS1_3genE4ELNS1_11target_archE910ELNS1_3gpuE8ELNS1_3repE0EEENS1_30default_config_static_selectorELNS0_4arch9wavefront6targetE0EEEvT1_.numbered_sgpr, 0
	.set _ZN7rocprim17ROCPRIM_400000_NS6detail17trampoline_kernelINS0_14default_configENS1_25partition_config_selectorILNS1_17partition_subalgoE6ExNS0_10empty_typeEbEEZZNS1_14partition_implILS5_6ELb0ES3_mN6thrust23THRUST_200600_302600_NS6detail15normal_iteratorINSA_10device_ptrIxEEEEPS6_SG_NS0_5tupleIJSF_S6_EEENSH_IJSG_SG_EEES6_PlJNSB_9not_fun_tI7is_trueIxEEEEEE10hipError_tPvRmT3_T4_T5_T6_T7_T9_mT8_P12ihipStream_tbDpT10_ENKUlT_T0_E_clISt17integral_constantIbLb0EES17_IbLb1EEEEDaS13_S14_EUlS13_E_NS1_11comp_targetILNS1_3genE4ELNS1_11target_archE910ELNS1_3gpuE8ELNS1_3repE0EEENS1_30default_config_static_selectorELNS0_4arch9wavefront6targetE0EEEvT1_.num_named_barrier, 0
	.set _ZN7rocprim17ROCPRIM_400000_NS6detail17trampoline_kernelINS0_14default_configENS1_25partition_config_selectorILNS1_17partition_subalgoE6ExNS0_10empty_typeEbEEZZNS1_14partition_implILS5_6ELb0ES3_mN6thrust23THRUST_200600_302600_NS6detail15normal_iteratorINSA_10device_ptrIxEEEEPS6_SG_NS0_5tupleIJSF_S6_EEENSH_IJSG_SG_EEES6_PlJNSB_9not_fun_tI7is_trueIxEEEEEE10hipError_tPvRmT3_T4_T5_T6_T7_T9_mT8_P12ihipStream_tbDpT10_ENKUlT_T0_E_clISt17integral_constantIbLb0EES17_IbLb1EEEEDaS13_S14_EUlS13_E_NS1_11comp_targetILNS1_3genE4ELNS1_11target_archE910ELNS1_3gpuE8ELNS1_3repE0EEENS1_30default_config_static_selectorELNS0_4arch9wavefront6targetE0EEEvT1_.private_seg_size, 0
	.set _ZN7rocprim17ROCPRIM_400000_NS6detail17trampoline_kernelINS0_14default_configENS1_25partition_config_selectorILNS1_17partition_subalgoE6ExNS0_10empty_typeEbEEZZNS1_14partition_implILS5_6ELb0ES3_mN6thrust23THRUST_200600_302600_NS6detail15normal_iteratorINSA_10device_ptrIxEEEEPS6_SG_NS0_5tupleIJSF_S6_EEENSH_IJSG_SG_EEES6_PlJNSB_9not_fun_tI7is_trueIxEEEEEE10hipError_tPvRmT3_T4_T5_T6_T7_T9_mT8_P12ihipStream_tbDpT10_ENKUlT_T0_E_clISt17integral_constantIbLb0EES17_IbLb1EEEEDaS13_S14_EUlS13_E_NS1_11comp_targetILNS1_3genE4ELNS1_11target_archE910ELNS1_3gpuE8ELNS1_3repE0EEENS1_30default_config_static_selectorELNS0_4arch9wavefront6targetE0EEEvT1_.uses_vcc, 0
	.set _ZN7rocprim17ROCPRIM_400000_NS6detail17trampoline_kernelINS0_14default_configENS1_25partition_config_selectorILNS1_17partition_subalgoE6ExNS0_10empty_typeEbEEZZNS1_14partition_implILS5_6ELb0ES3_mN6thrust23THRUST_200600_302600_NS6detail15normal_iteratorINSA_10device_ptrIxEEEEPS6_SG_NS0_5tupleIJSF_S6_EEENSH_IJSG_SG_EEES6_PlJNSB_9not_fun_tI7is_trueIxEEEEEE10hipError_tPvRmT3_T4_T5_T6_T7_T9_mT8_P12ihipStream_tbDpT10_ENKUlT_T0_E_clISt17integral_constantIbLb0EES17_IbLb1EEEEDaS13_S14_EUlS13_E_NS1_11comp_targetILNS1_3genE4ELNS1_11target_archE910ELNS1_3gpuE8ELNS1_3repE0EEENS1_30default_config_static_selectorELNS0_4arch9wavefront6targetE0EEEvT1_.uses_flat_scratch, 0
	.set _ZN7rocprim17ROCPRIM_400000_NS6detail17trampoline_kernelINS0_14default_configENS1_25partition_config_selectorILNS1_17partition_subalgoE6ExNS0_10empty_typeEbEEZZNS1_14partition_implILS5_6ELb0ES3_mN6thrust23THRUST_200600_302600_NS6detail15normal_iteratorINSA_10device_ptrIxEEEEPS6_SG_NS0_5tupleIJSF_S6_EEENSH_IJSG_SG_EEES6_PlJNSB_9not_fun_tI7is_trueIxEEEEEE10hipError_tPvRmT3_T4_T5_T6_T7_T9_mT8_P12ihipStream_tbDpT10_ENKUlT_T0_E_clISt17integral_constantIbLb0EES17_IbLb1EEEEDaS13_S14_EUlS13_E_NS1_11comp_targetILNS1_3genE4ELNS1_11target_archE910ELNS1_3gpuE8ELNS1_3repE0EEENS1_30default_config_static_selectorELNS0_4arch9wavefront6targetE0EEEvT1_.has_dyn_sized_stack, 0
	.set _ZN7rocprim17ROCPRIM_400000_NS6detail17trampoline_kernelINS0_14default_configENS1_25partition_config_selectorILNS1_17partition_subalgoE6ExNS0_10empty_typeEbEEZZNS1_14partition_implILS5_6ELb0ES3_mN6thrust23THRUST_200600_302600_NS6detail15normal_iteratorINSA_10device_ptrIxEEEEPS6_SG_NS0_5tupleIJSF_S6_EEENSH_IJSG_SG_EEES6_PlJNSB_9not_fun_tI7is_trueIxEEEEEE10hipError_tPvRmT3_T4_T5_T6_T7_T9_mT8_P12ihipStream_tbDpT10_ENKUlT_T0_E_clISt17integral_constantIbLb0EES17_IbLb1EEEEDaS13_S14_EUlS13_E_NS1_11comp_targetILNS1_3genE4ELNS1_11target_archE910ELNS1_3gpuE8ELNS1_3repE0EEENS1_30default_config_static_selectorELNS0_4arch9wavefront6targetE0EEEvT1_.has_recursion, 0
	.set _ZN7rocprim17ROCPRIM_400000_NS6detail17trampoline_kernelINS0_14default_configENS1_25partition_config_selectorILNS1_17partition_subalgoE6ExNS0_10empty_typeEbEEZZNS1_14partition_implILS5_6ELb0ES3_mN6thrust23THRUST_200600_302600_NS6detail15normal_iteratorINSA_10device_ptrIxEEEEPS6_SG_NS0_5tupleIJSF_S6_EEENSH_IJSG_SG_EEES6_PlJNSB_9not_fun_tI7is_trueIxEEEEEE10hipError_tPvRmT3_T4_T5_T6_T7_T9_mT8_P12ihipStream_tbDpT10_ENKUlT_T0_E_clISt17integral_constantIbLb0EES17_IbLb1EEEEDaS13_S14_EUlS13_E_NS1_11comp_targetILNS1_3genE4ELNS1_11target_archE910ELNS1_3gpuE8ELNS1_3repE0EEENS1_30default_config_static_selectorELNS0_4arch9wavefront6targetE0EEEvT1_.has_indirect_call, 0
	.section	.AMDGPU.csdata,"",@progbits
; Kernel info:
; codeLenInByte = 0
; TotalNumSgprs: 0
; NumVgprs: 0
; ScratchSize: 0
; MemoryBound: 0
; FloatMode: 240
; IeeeMode: 1
; LDSByteSize: 0 bytes/workgroup (compile time only)
; SGPRBlocks: 0
; VGPRBlocks: 0
; NumSGPRsForWavesPerEU: 1
; NumVGPRsForWavesPerEU: 1
; Occupancy: 16
; WaveLimiterHint : 0
; COMPUTE_PGM_RSRC2:SCRATCH_EN: 0
; COMPUTE_PGM_RSRC2:USER_SGPR: 2
; COMPUTE_PGM_RSRC2:TRAP_HANDLER: 0
; COMPUTE_PGM_RSRC2:TGID_X_EN: 1
; COMPUTE_PGM_RSRC2:TGID_Y_EN: 0
; COMPUTE_PGM_RSRC2:TGID_Z_EN: 0
; COMPUTE_PGM_RSRC2:TIDIG_COMP_CNT: 0
	.section	.text._ZN7rocprim17ROCPRIM_400000_NS6detail17trampoline_kernelINS0_14default_configENS1_25partition_config_selectorILNS1_17partition_subalgoE6ExNS0_10empty_typeEbEEZZNS1_14partition_implILS5_6ELb0ES3_mN6thrust23THRUST_200600_302600_NS6detail15normal_iteratorINSA_10device_ptrIxEEEEPS6_SG_NS0_5tupleIJSF_S6_EEENSH_IJSG_SG_EEES6_PlJNSB_9not_fun_tI7is_trueIxEEEEEE10hipError_tPvRmT3_T4_T5_T6_T7_T9_mT8_P12ihipStream_tbDpT10_ENKUlT_T0_E_clISt17integral_constantIbLb0EES17_IbLb1EEEEDaS13_S14_EUlS13_E_NS1_11comp_targetILNS1_3genE3ELNS1_11target_archE908ELNS1_3gpuE7ELNS1_3repE0EEENS1_30default_config_static_selectorELNS0_4arch9wavefront6targetE0EEEvT1_,"axG",@progbits,_ZN7rocprim17ROCPRIM_400000_NS6detail17trampoline_kernelINS0_14default_configENS1_25partition_config_selectorILNS1_17partition_subalgoE6ExNS0_10empty_typeEbEEZZNS1_14partition_implILS5_6ELb0ES3_mN6thrust23THRUST_200600_302600_NS6detail15normal_iteratorINSA_10device_ptrIxEEEEPS6_SG_NS0_5tupleIJSF_S6_EEENSH_IJSG_SG_EEES6_PlJNSB_9not_fun_tI7is_trueIxEEEEEE10hipError_tPvRmT3_T4_T5_T6_T7_T9_mT8_P12ihipStream_tbDpT10_ENKUlT_T0_E_clISt17integral_constantIbLb0EES17_IbLb1EEEEDaS13_S14_EUlS13_E_NS1_11comp_targetILNS1_3genE3ELNS1_11target_archE908ELNS1_3gpuE7ELNS1_3repE0EEENS1_30default_config_static_selectorELNS0_4arch9wavefront6targetE0EEEvT1_,comdat
	.protected	_ZN7rocprim17ROCPRIM_400000_NS6detail17trampoline_kernelINS0_14default_configENS1_25partition_config_selectorILNS1_17partition_subalgoE6ExNS0_10empty_typeEbEEZZNS1_14partition_implILS5_6ELb0ES3_mN6thrust23THRUST_200600_302600_NS6detail15normal_iteratorINSA_10device_ptrIxEEEEPS6_SG_NS0_5tupleIJSF_S6_EEENSH_IJSG_SG_EEES6_PlJNSB_9not_fun_tI7is_trueIxEEEEEE10hipError_tPvRmT3_T4_T5_T6_T7_T9_mT8_P12ihipStream_tbDpT10_ENKUlT_T0_E_clISt17integral_constantIbLb0EES17_IbLb1EEEEDaS13_S14_EUlS13_E_NS1_11comp_targetILNS1_3genE3ELNS1_11target_archE908ELNS1_3gpuE7ELNS1_3repE0EEENS1_30default_config_static_selectorELNS0_4arch9wavefront6targetE0EEEvT1_ ; -- Begin function _ZN7rocprim17ROCPRIM_400000_NS6detail17trampoline_kernelINS0_14default_configENS1_25partition_config_selectorILNS1_17partition_subalgoE6ExNS0_10empty_typeEbEEZZNS1_14partition_implILS5_6ELb0ES3_mN6thrust23THRUST_200600_302600_NS6detail15normal_iteratorINSA_10device_ptrIxEEEEPS6_SG_NS0_5tupleIJSF_S6_EEENSH_IJSG_SG_EEES6_PlJNSB_9not_fun_tI7is_trueIxEEEEEE10hipError_tPvRmT3_T4_T5_T6_T7_T9_mT8_P12ihipStream_tbDpT10_ENKUlT_T0_E_clISt17integral_constantIbLb0EES17_IbLb1EEEEDaS13_S14_EUlS13_E_NS1_11comp_targetILNS1_3genE3ELNS1_11target_archE908ELNS1_3gpuE7ELNS1_3repE0EEENS1_30default_config_static_selectorELNS0_4arch9wavefront6targetE0EEEvT1_
	.globl	_ZN7rocprim17ROCPRIM_400000_NS6detail17trampoline_kernelINS0_14default_configENS1_25partition_config_selectorILNS1_17partition_subalgoE6ExNS0_10empty_typeEbEEZZNS1_14partition_implILS5_6ELb0ES3_mN6thrust23THRUST_200600_302600_NS6detail15normal_iteratorINSA_10device_ptrIxEEEEPS6_SG_NS0_5tupleIJSF_S6_EEENSH_IJSG_SG_EEES6_PlJNSB_9not_fun_tI7is_trueIxEEEEEE10hipError_tPvRmT3_T4_T5_T6_T7_T9_mT8_P12ihipStream_tbDpT10_ENKUlT_T0_E_clISt17integral_constantIbLb0EES17_IbLb1EEEEDaS13_S14_EUlS13_E_NS1_11comp_targetILNS1_3genE3ELNS1_11target_archE908ELNS1_3gpuE7ELNS1_3repE0EEENS1_30default_config_static_selectorELNS0_4arch9wavefront6targetE0EEEvT1_
	.p2align	8
	.type	_ZN7rocprim17ROCPRIM_400000_NS6detail17trampoline_kernelINS0_14default_configENS1_25partition_config_selectorILNS1_17partition_subalgoE6ExNS0_10empty_typeEbEEZZNS1_14partition_implILS5_6ELb0ES3_mN6thrust23THRUST_200600_302600_NS6detail15normal_iteratorINSA_10device_ptrIxEEEEPS6_SG_NS0_5tupleIJSF_S6_EEENSH_IJSG_SG_EEES6_PlJNSB_9not_fun_tI7is_trueIxEEEEEE10hipError_tPvRmT3_T4_T5_T6_T7_T9_mT8_P12ihipStream_tbDpT10_ENKUlT_T0_E_clISt17integral_constantIbLb0EES17_IbLb1EEEEDaS13_S14_EUlS13_E_NS1_11comp_targetILNS1_3genE3ELNS1_11target_archE908ELNS1_3gpuE7ELNS1_3repE0EEENS1_30default_config_static_selectorELNS0_4arch9wavefront6targetE0EEEvT1_,@function
_ZN7rocprim17ROCPRIM_400000_NS6detail17trampoline_kernelINS0_14default_configENS1_25partition_config_selectorILNS1_17partition_subalgoE6ExNS0_10empty_typeEbEEZZNS1_14partition_implILS5_6ELb0ES3_mN6thrust23THRUST_200600_302600_NS6detail15normal_iteratorINSA_10device_ptrIxEEEEPS6_SG_NS0_5tupleIJSF_S6_EEENSH_IJSG_SG_EEES6_PlJNSB_9not_fun_tI7is_trueIxEEEEEE10hipError_tPvRmT3_T4_T5_T6_T7_T9_mT8_P12ihipStream_tbDpT10_ENKUlT_T0_E_clISt17integral_constantIbLb0EES17_IbLb1EEEEDaS13_S14_EUlS13_E_NS1_11comp_targetILNS1_3genE3ELNS1_11target_archE908ELNS1_3gpuE7ELNS1_3repE0EEENS1_30default_config_static_selectorELNS0_4arch9wavefront6targetE0EEEvT1_: ; @_ZN7rocprim17ROCPRIM_400000_NS6detail17trampoline_kernelINS0_14default_configENS1_25partition_config_selectorILNS1_17partition_subalgoE6ExNS0_10empty_typeEbEEZZNS1_14partition_implILS5_6ELb0ES3_mN6thrust23THRUST_200600_302600_NS6detail15normal_iteratorINSA_10device_ptrIxEEEEPS6_SG_NS0_5tupleIJSF_S6_EEENSH_IJSG_SG_EEES6_PlJNSB_9not_fun_tI7is_trueIxEEEEEE10hipError_tPvRmT3_T4_T5_T6_T7_T9_mT8_P12ihipStream_tbDpT10_ENKUlT_T0_E_clISt17integral_constantIbLb0EES17_IbLb1EEEEDaS13_S14_EUlS13_E_NS1_11comp_targetILNS1_3genE3ELNS1_11target_archE908ELNS1_3gpuE7ELNS1_3repE0EEENS1_30default_config_static_selectorELNS0_4arch9wavefront6targetE0EEEvT1_
; %bb.0:
	.section	.rodata,"a",@progbits
	.p2align	6, 0x0
	.amdhsa_kernel _ZN7rocprim17ROCPRIM_400000_NS6detail17trampoline_kernelINS0_14default_configENS1_25partition_config_selectorILNS1_17partition_subalgoE6ExNS0_10empty_typeEbEEZZNS1_14partition_implILS5_6ELb0ES3_mN6thrust23THRUST_200600_302600_NS6detail15normal_iteratorINSA_10device_ptrIxEEEEPS6_SG_NS0_5tupleIJSF_S6_EEENSH_IJSG_SG_EEES6_PlJNSB_9not_fun_tI7is_trueIxEEEEEE10hipError_tPvRmT3_T4_T5_T6_T7_T9_mT8_P12ihipStream_tbDpT10_ENKUlT_T0_E_clISt17integral_constantIbLb0EES17_IbLb1EEEEDaS13_S14_EUlS13_E_NS1_11comp_targetILNS1_3genE3ELNS1_11target_archE908ELNS1_3gpuE7ELNS1_3repE0EEENS1_30default_config_static_selectorELNS0_4arch9wavefront6targetE0EEEvT1_
		.amdhsa_group_segment_fixed_size 0
		.amdhsa_private_segment_fixed_size 0
		.amdhsa_kernarg_size 128
		.amdhsa_user_sgpr_count 2
		.amdhsa_user_sgpr_dispatch_ptr 0
		.amdhsa_user_sgpr_queue_ptr 0
		.amdhsa_user_sgpr_kernarg_segment_ptr 1
		.amdhsa_user_sgpr_dispatch_id 0
		.amdhsa_user_sgpr_private_segment_size 0
		.amdhsa_wavefront_size32 1
		.amdhsa_uses_dynamic_stack 0
		.amdhsa_enable_private_segment 0
		.amdhsa_system_sgpr_workgroup_id_x 1
		.amdhsa_system_sgpr_workgroup_id_y 0
		.amdhsa_system_sgpr_workgroup_id_z 0
		.amdhsa_system_sgpr_workgroup_info 0
		.amdhsa_system_vgpr_workitem_id 0
		.amdhsa_next_free_vgpr 1
		.amdhsa_next_free_sgpr 1
		.amdhsa_reserve_vcc 0
		.amdhsa_float_round_mode_32 0
		.amdhsa_float_round_mode_16_64 0
		.amdhsa_float_denorm_mode_32 3
		.amdhsa_float_denorm_mode_16_64 3
		.amdhsa_fp16_overflow 0
		.amdhsa_workgroup_processor_mode 1
		.amdhsa_memory_ordered 1
		.amdhsa_forward_progress 1
		.amdhsa_inst_pref_size 0
		.amdhsa_round_robin_scheduling 0
		.amdhsa_exception_fp_ieee_invalid_op 0
		.amdhsa_exception_fp_denorm_src 0
		.amdhsa_exception_fp_ieee_div_zero 0
		.amdhsa_exception_fp_ieee_overflow 0
		.amdhsa_exception_fp_ieee_underflow 0
		.amdhsa_exception_fp_ieee_inexact 0
		.amdhsa_exception_int_div_zero 0
	.end_amdhsa_kernel
	.section	.text._ZN7rocprim17ROCPRIM_400000_NS6detail17trampoline_kernelINS0_14default_configENS1_25partition_config_selectorILNS1_17partition_subalgoE6ExNS0_10empty_typeEbEEZZNS1_14partition_implILS5_6ELb0ES3_mN6thrust23THRUST_200600_302600_NS6detail15normal_iteratorINSA_10device_ptrIxEEEEPS6_SG_NS0_5tupleIJSF_S6_EEENSH_IJSG_SG_EEES6_PlJNSB_9not_fun_tI7is_trueIxEEEEEE10hipError_tPvRmT3_T4_T5_T6_T7_T9_mT8_P12ihipStream_tbDpT10_ENKUlT_T0_E_clISt17integral_constantIbLb0EES17_IbLb1EEEEDaS13_S14_EUlS13_E_NS1_11comp_targetILNS1_3genE3ELNS1_11target_archE908ELNS1_3gpuE7ELNS1_3repE0EEENS1_30default_config_static_selectorELNS0_4arch9wavefront6targetE0EEEvT1_,"axG",@progbits,_ZN7rocprim17ROCPRIM_400000_NS6detail17trampoline_kernelINS0_14default_configENS1_25partition_config_selectorILNS1_17partition_subalgoE6ExNS0_10empty_typeEbEEZZNS1_14partition_implILS5_6ELb0ES3_mN6thrust23THRUST_200600_302600_NS6detail15normal_iteratorINSA_10device_ptrIxEEEEPS6_SG_NS0_5tupleIJSF_S6_EEENSH_IJSG_SG_EEES6_PlJNSB_9not_fun_tI7is_trueIxEEEEEE10hipError_tPvRmT3_T4_T5_T6_T7_T9_mT8_P12ihipStream_tbDpT10_ENKUlT_T0_E_clISt17integral_constantIbLb0EES17_IbLb1EEEEDaS13_S14_EUlS13_E_NS1_11comp_targetILNS1_3genE3ELNS1_11target_archE908ELNS1_3gpuE7ELNS1_3repE0EEENS1_30default_config_static_selectorELNS0_4arch9wavefront6targetE0EEEvT1_,comdat
.Lfunc_end1232:
	.size	_ZN7rocprim17ROCPRIM_400000_NS6detail17trampoline_kernelINS0_14default_configENS1_25partition_config_selectorILNS1_17partition_subalgoE6ExNS0_10empty_typeEbEEZZNS1_14partition_implILS5_6ELb0ES3_mN6thrust23THRUST_200600_302600_NS6detail15normal_iteratorINSA_10device_ptrIxEEEEPS6_SG_NS0_5tupleIJSF_S6_EEENSH_IJSG_SG_EEES6_PlJNSB_9not_fun_tI7is_trueIxEEEEEE10hipError_tPvRmT3_T4_T5_T6_T7_T9_mT8_P12ihipStream_tbDpT10_ENKUlT_T0_E_clISt17integral_constantIbLb0EES17_IbLb1EEEEDaS13_S14_EUlS13_E_NS1_11comp_targetILNS1_3genE3ELNS1_11target_archE908ELNS1_3gpuE7ELNS1_3repE0EEENS1_30default_config_static_selectorELNS0_4arch9wavefront6targetE0EEEvT1_, .Lfunc_end1232-_ZN7rocprim17ROCPRIM_400000_NS6detail17trampoline_kernelINS0_14default_configENS1_25partition_config_selectorILNS1_17partition_subalgoE6ExNS0_10empty_typeEbEEZZNS1_14partition_implILS5_6ELb0ES3_mN6thrust23THRUST_200600_302600_NS6detail15normal_iteratorINSA_10device_ptrIxEEEEPS6_SG_NS0_5tupleIJSF_S6_EEENSH_IJSG_SG_EEES6_PlJNSB_9not_fun_tI7is_trueIxEEEEEE10hipError_tPvRmT3_T4_T5_T6_T7_T9_mT8_P12ihipStream_tbDpT10_ENKUlT_T0_E_clISt17integral_constantIbLb0EES17_IbLb1EEEEDaS13_S14_EUlS13_E_NS1_11comp_targetILNS1_3genE3ELNS1_11target_archE908ELNS1_3gpuE7ELNS1_3repE0EEENS1_30default_config_static_selectorELNS0_4arch9wavefront6targetE0EEEvT1_
                                        ; -- End function
	.set _ZN7rocprim17ROCPRIM_400000_NS6detail17trampoline_kernelINS0_14default_configENS1_25partition_config_selectorILNS1_17partition_subalgoE6ExNS0_10empty_typeEbEEZZNS1_14partition_implILS5_6ELb0ES3_mN6thrust23THRUST_200600_302600_NS6detail15normal_iteratorINSA_10device_ptrIxEEEEPS6_SG_NS0_5tupleIJSF_S6_EEENSH_IJSG_SG_EEES6_PlJNSB_9not_fun_tI7is_trueIxEEEEEE10hipError_tPvRmT3_T4_T5_T6_T7_T9_mT8_P12ihipStream_tbDpT10_ENKUlT_T0_E_clISt17integral_constantIbLb0EES17_IbLb1EEEEDaS13_S14_EUlS13_E_NS1_11comp_targetILNS1_3genE3ELNS1_11target_archE908ELNS1_3gpuE7ELNS1_3repE0EEENS1_30default_config_static_selectorELNS0_4arch9wavefront6targetE0EEEvT1_.num_vgpr, 0
	.set _ZN7rocprim17ROCPRIM_400000_NS6detail17trampoline_kernelINS0_14default_configENS1_25partition_config_selectorILNS1_17partition_subalgoE6ExNS0_10empty_typeEbEEZZNS1_14partition_implILS5_6ELb0ES3_mN6thrust23THRUST_200600_302600_NS6detail15normal_iteratorINSA_10device_ptrIxEEEEPS6_SG_NS0_5tupleIJSF_S6_EEENSH_IJSG_SG_EEES6_PlJNSB_9not_fun_tI7is_trueIxEEEEEE10hipError_tPvRmT3_T4_T5_T6_T7_T9_mT8_P12ihipStream_tbDpT10_ENKUlT_T0_E_clISt17integral_constantIbLb0EES17_IbLb1EEEEDaS13_S14_EUlS13_E_NS1_11comp_targetILNS1_3genE3ELNS1_11target_archE908ELNS1_3gpuE7ELNS1_3repE0EEENS1_30default_config_static_selectorELNS0_4arch9wavefront6targetE0EEEvT1_.num_agpr, 0
	.set _ZN7rocprim17ROCPRIM_400000_NS6detail17trampoline_kernelINS0_14default_configENS1_25partition_config_selectorILNS1_17partition_subalgoE6ExNS0_10empty_typeEbEEZZNS1_14partition_implILS5_6ELb0ES3_mN6thrust23THRUST_200600_302600_NS6detail15normal_iteratorINSA_10device_ptrIxEEEEPS6_SG_NS0_5tupleIJSF_S6_EEENSH_IJSG_SG_EEES6_PlJNSB_9not_fun_tI7is_trueIxEEEEEE10hipError_tPvRmT3_T4_T5_T6_T7_T9_mT8_P12ihipStream_tbDpT10_ENKUlT_T0_E_clISt17integral_constantIbLb0EES17_IbLb1EEEEDaS13_S14_EUlS13_E_NS1_11comp_targetILNS1_3genE3ELNS1_11target_archE908ELNS1_3gpuE7ELNS1_3repE0EEENS1_30default_config_static_selectorELNS0_4arch9wavefront6targetE0EEEvT1_.numbered_sgpr, 0
	.set _ZN7rocprim17ROCPRIM_400000_NS6detail17trampoline_kernelINS0_14default_configENS1_25partition_config_selectorILNS1_17partition_subalgoE6ExNS0_10empty_typeEbEEZZNS1_14partition_implILS5_6ELb0ES3_mN6thrust23THRUST_200600_302600_NS6detail15normal_iteratorINSA_10device_ptrIxEEEEPS6_SG_NS0_5tupleIJSF_S6_EEENSH_IJSG_SG_EEES6_PlJNSB_9not_fun_tI7is_trueIxEEEEEE10hipError_tPvRmT3_T4_T5_T6_T7_T9_mT8_P12ihipStream_tbDpT10_ENKUlT_T0_E_clISt17integral_constantIbLb0EES17_IbLb1EEEEDaS13_S14_EUlS13_E_NS1_11comp_targetILNS1_3genE3ELNS1_11target_archE908ELNS1_3gpuE7ELNS1_3repE0EEENS1_30default_config_static_selectorELNS0_4arch9wavefront6targetE0EEEvT1_.num_named_barrier, 0
	.set _ZN7rocprim17ROCPRIM_400000_NS6detail17trampoline_kernelINS0_14default_configENS1_25partition_config_selectorILNS1_17partition_subalgoE6ExNS0_10empty_typeEbEEZZNS1_14partition_implILS5_6ELb0ES3_mN6thrust23THRUST_200600_302600_NS6detail15normal_iteratorINSA_10device_ptrIxEEEEPS6_SG_NS0_5tupleIJSF_S6_EEENSH_IJSG_SG_EEES6_PlJNSB_9not_fun_tI7is_trueIxEEEEEE10hipError_tPvRmT3_T4_T5_T6_T7_T9_mT8_P12ihipStream_tbDpT10_ENKUlT_T0_E_clISt17integral_constantIbLb0EES17_IbLb1EEEEDaS13_S14_EUlS13_E_NS1_11comp_targetILNS1_3genE3ELNS1_11target_archE908ELNS1_3gpuE7ELNS1_3repE0EEENS1_30default_config_static_selectorELNS0_4arch9wavefront6targetE0EEEvT1_.private_seg_size, 0
	.set _ZN7rocprim17ROCPRIM_400000_NS6detail17trampoline_kernelINS0_14default_configENS1_25partition_config_selectorILNS1_17partition_subalgoE6ExNS0_10empty_typeEbEEZZNS1_14partition_implILS5_6ELb0ES3_mN6thrust23THRUST_200600_302600_NS6detail15normal_iteratorINSA_10device_ptrIxEEEEPS6_SG_NS0_5tupleIJSF_S6_EEENSH_IJSG_SG_EEES6_PlJNSB_9not_fun_tI7is_trueIxEEEEEE10hipError_tPvRmT3_T4_T5_T6_T7_T9_mT8_P12ihipStream_tbDpT10_ENKUlT_T0_E_clISt17integral_constantIbLb0EES17_IbLb1EEEEDaS13_S14_EUlS13_E_NS1_11comp_targetILNS1_3genE3ELNS1_11target_archE908ELNS1_3gpuE7ELNS1_3repE0EEENS1_30default_config_static_selectorELNS0_4arch9wavefront6targetE0EEEvT1_.uses_vcc, 0
	.set _ZN7rocprim17ROCPRIM_400000_NS6detail17trampoline_kernelINS0_14default_configENS1_25partition_config_selectorILNS1_17partition_subalgoE6ExNS0_10empty_typeEbEEZZNS1_14partition_implILS5_6ELb0ES3_mN6thrust23THRUST_200600_302600_NS6detail15normal_iteratorINSA_10device_ptrIxEEEEPS6_SG_NS0_5tupleIJSF_S6_EEENSH_IJSG_SG_EEES6_PlJNSB_9not_fun_tI7is_trueIxEEEEEE10hipError_tPvRmT3_T4_T5_T6_T7_T9_mT8_P12ihipStream_tbDpT10_ENKUlT_T0_E_clISt17integral_constantIbLb0EES17_IbLb1EEEEDaS13_S14_EUlS13_E_NS1_11comp_targetILNS1_3genE3ELNS1_11target_archE908ELNS1_3gpuE7ELNS1_3repE0EEENS1_30default_config_static_selectorELNS0_4arch9wavefront6targetE0EEEvT1_.uses_flat_scratch, 0
	.set _ZN7rocprim17ROCPRIM_400000_NS6detail17trampoline_kernelINS0_14default_configENS1_25partition_config_selectorILNS1_17partition_subalgoE6ExNS0_10empty_typeEbEEZZNS1_14partition_implILS5_6ELb0ES3_mN6thrust23THRUST_200600_302600_NS6detail15normal_iteratorINSA_10device_ptrIxEEEEPS6_SG_NS0_5tupleIJSF_S6_EEENSH_IJSG_SG_EEES6_PlJNSB_9not_fun_tI7is_trueIxEEEEEE10hipError_tPvRmT3_T4_T5_T6_T7_T9_mT8_P12ihipStream_tbDpT10_ENKUlT_T0_E_clISt17integral_constantIbLb0EES17_IbLb1EEEEDaS13_S14_EUlS13_E_NS1_11comp_targetILNS1_3genE3ELNS1_11target_archE908ELNS1_3gpuE7ELNS1_3repE0EEENS1_30default_config_static_selectorELNS0_4arch9wavefront6targetE0EEEvT1_.has_dyn_sized_stack, 0
	.set _ZN7rocprim17ROCPRIM_400000_NS6detail17trampoline_kernelINS0_14default_configENS1_25partition_config_selectorILNS1_17partition_subalgoE6ExNS0_10empty_typeEbEEZZNS1_14partition_implILS5_6ELb0ES3_mN6thrust23THRUST_200600_302600_NS6detail15normal_iteratorINSA_10device_ptrIxEEEEPS6_SG_NS0_5tupleIJSF_S6_EEENSH_IJSG_SG_EEES6_PlJNSB_9not_fun_tI7is_trueIxEEEEEE10hipError_tPvRmT3_T4_T5_T6_T7_T9_mT8_P12ihipStream_tbDpT10_ENKUlT_T0_E_clISt17integral_constantIbLb0EES17_IbLb1EEEEDaS13_S14_EUlS13_E_NS1_11comp_targetILNS1_3genE3ELNS1_11target_archE908ELNS1_3gpuE7ELNS1_3repE0EEENS1_30default_config_static_selectorELNS0_4arch9wavefront6targetE0EEEvT1_.has_recursion, 0
	.set _ZN7rocprim17ROCPRIM_400000_NS6detail17trampoline_kernelINS0_14default_configENS1_25partition_config_selectorILNS1_17partition_subalgoE6ExNS0_10empty_typeEbEEZZNS1_14partition_implILS5_6ELb0ES3_mN6thrust23THRUST_200600_302600_NS6detail15normal_iteratorINSA_10device_ptrIxEEEEPS6_SG_NS0_5tupleIJSF_S6_EEENSH_IJSG_SG_EEES6_PlJNSB_9not_fun_tI7is_trueIxEEEEEE10hipError_tPvRmT3_T4_T5_T6_T7_T9_mT8_P12ihipStream_tbDpT10_ENKUlT_T0_E_clISt17integral_constantIbLb0EES17_IbLb1EEEEDaS13_S14_EUlS13_E_NS1_11comp_targetILNS1_3genE3ELNS1_11target_archE908ELNS1_3gpuE7ELNS1_3repE0EEENS1_30default_config_static_selectorELNS0_4arch9wavefront6targetE0EEEvT1_.has_indirect_call, 0
	.section	.AMDGPU.csdata,"",@progbits
; Kernel info:
; codeLenInByte = 0
; TotalNumSgprs: 0
; NumVgprs: 0
; ScratchSize: 0
; MemoryBound: 0
; FloatMode: 240
; IeeeMode: 1
; LDSByteSize: 0 bytes/workgroup (compile time only)
; SGPRBlocks: 0
; VGPRBlocks: 0
; NumSGPRsForWavesPerEU: 1
; NumVGPRsForWavesPerEU: 1
; Occupancy: 16
; WaveLimiterHint : 0
; COMPUTE_PGM_RSRC2:SCRATCH_EN: 0
; COMPUTE_PGM_RSRC2:USER_SGPR: 2
; COMPUTE_PGM_RSRC2:TRAP_HANDLER: 0
; COMPUTE_PGM_RSRC2:TGID_X_EN: 1
; COMPUTE_PGM_RSRC2:TGID_Y_EN: 0
; COMPUTE_PGM_RSRC2:TGID_Z_EN: 0
; COMPUTE_PGM_RSRC2:TIDIG_COMP_CNT: 0
	.section	.text._ZN7rocprim17ROCPRIM_400000_NS6detail17trampoline_kernelINS0_14default_configENS1_25partition_config_selectorILNS1_17partition_subalgoE6ExNS0_10empty_typeEbEEZZNS1_14partition_implILS5_6ELb0ES3_mN6thrust23THRUST_200600_302600_NS6detail15normal_iteratorINSA_10device_ptrIxEEEEPS6_SG_NS0_5tupleIJSF_S6_EEENSH_IJSG_SG_EEES6_PlJNSB_9not_fun_tI7is_trueIxEEEEEE10hipError_tPvRmT3_T4_T5_T6_T7_T9_mT8_P12ihipStream_tbDpT10_ENKUlT_T0_E_clISt17integral_constantIbLb0EES17_IbLb1EEEEDaS13_S14_EUlS13_E_NS1_11comp_targetILNS1_3genE2ELNS1_11target_archE906ELNS1_3gpuE6ELNS1_3repE0EEENS1_30default_config_static_selectorELNS0_4arch9wavefront6targetE0EEEvT1_,"axG",@progbits,_ZN7rocprim17ROCPRIM_400000_NS6detail17trampoline_kernelINS0_14default_configENS1_25partition_config_selectorILNS1_17partition_subalgoE6ExNS0_10empty_typeEbEEZZNS1_14partition_implILS5_6ELb0ES3_mN6thrust23THRUST_200600_302600_NS6detail15normal_iteratorINSA_10device_ptrIxEEEEPS6_SG_NS0_5tupleIJSF_S6_EEENSH_IJSG_SG_EEES6_PlJNSB_9not_fun_tI7is_trueIxEEEEEE10hipError_tPvRmT3_T4_T5_T6_T7_T9_mT8_P12ihipStream_tbDpT10_ENKUlT_T0_E_clISt17integral_constantIbLb0EES17_IbLb1EEEEDaS13_S14_EUlS13_E_NS1_11comp_targetILNS1_3genE2ELNS1_11target_archE906ELNS1_3gpuE6ELNS1_3repE0EEENS1_30default_config_static_selectorELNS0_4arch9wavefront6targetE0EEEvT1_,comdat
	.protected	_ZN7rocprim17ROCPRIM_400000_NS6detail17trampoline_kernelINS0_14default_configENS1_25partition_config_selectorILNS1_17partition_subalgoE6ExNS0_10empty_typeEbEEZZNS1_14partition_implILS5_6ELb0ES3_mN6thrust23THRUST_200600_302600_NS6detail15normal_iteratorINSA_10device_ptrIxEEEEPS6_SG_NS0_5tupleIJSF_S6_EEENSH_IJSG_SG_EEES6_PlJNSB_9not_fun_tI7is_trueIxEEEEEE10hipError_tPvRmT3_T4_T5_T6_T7_T9_mT8_P12ihipStream_tbDpT10_ENKUlT_T0_E_clISt17integral_constantIbLb0EES17_IbLb1EEEEDaS13_S14_EUlS13_E_NS1_11comp_targetILNS1_3genE2ELNS1_11target_archE906ELNS1_3gpuE6ELNS1_3repE0EEENS1_30default_config_static_selectorELNS0_4arch9wavefront6targetE0EEEvT1_ ; -- Begin function _ZN7rocprim17ROCPRIM_400000_NS6detail17trampoline_kernelINS0_14default_configENS1_25partition_config_selectorILNS1_17partition_subalgoE6ExNS0_10empty_typeEbEEZZNS1_14partition_implILS5_6ELb0ES3_mN6thrust23THRUST_200600_302600_NS6detail15normal_iteratorINSA_10device_ptrIxEEEEPS6_SG_NS0_5tupleIJSF_S6_EEENSH_IJSG_SG_EEES6_PlJNSB_9not_fun_tI7is_trueIxEEEEEE10hipError_tPvRmT3_T4_T5_T6_T7_T9_mT8_P12ihipStream_tbDpT10_ENKUlT_T0_E_clISt17integral_constantIbLb0EES17_IbLb1EEEEDaS13_S14_EUlS13_E_NS1_11comp_targetILNS1_3genE2ELNS1_11target_archE906ELNS1_3gpuE6ELNS1_3repE0EEENS1_30default_config_static_selectorELNS0_4arch9wavefront6targetE0EEEvT1_
	.globl	_ZN7rocprim17ROCPRIM_400000_NS6detail17trampoline_kernelINS0_14default_configENS1_25partition_config_selectorILNS1_17partition_subalgoE6ExNS0_10empty_typeEbEEZZNS1_14partition_implILS5_6ELb0ES3_mN6thrust23THRUST_200600_302600_NS6detail15normal_iteratorINSA_10device_ptrIxEEEEPS6_SG_NS0_5tupleIJSF_S6_EEENSH_IJSG_SG_EEES6_PlJNSB_9not_fun_tI7is_trueIxEEEEEE10hipError_tPvRmT3_T4_T5_T6_T7_T9_mT8_P12ihipStream_tbDpT10_ENKUlT_T0_E_clISt17integral_constantIbLb0EES17_IbLb1EEEEDaS13_S14_EUlS13_E_NS1_11comp_targetILNS1_3genE2ELNS1_11target_archE906ELNS1_3gpuE6ELNS1_3repE0EEENS1_30default_config_static_selectorELNS0_4arch9wavefront6targetE0EEEvT1_
	.p2align	8
	.type	_ZN7rocprim17ROCPRIM_400000_NS6detail17trampoline_kernelINS0_14default_configENS1_25partition_config_selectorILNS1_17partition_subalgoE6ExNS0_10empty_typeEbEEZZNS1_14partition_implILS5_6ELb0ES3_mN6thrust23THRUST_200600_302600_NS6detail15normal_iteratorINSA_10device_ptrIxEEEEPS6_SG_NS0_5tupleIJSF_S6_EEENSH_IJSG_SG_EEES6_PlJNSB_9not_fun_tI7is_trueIxEEEEEE10hipError_tPvRmT3_T4_T5_T6_T7_T9_mT8_P12ihipStream_tbDpT10_ENKUlT_T0_E_clISt17integral_constantIbLb0EES17_IbLb1EEEEDaS13_S14_EUlS13_E_NS1_11comp_targetILNS1_3genE2ELNS1_11target_archE906ELNS1_3gpuE6ELNS1_3repE0EEENS1_30default_config_static_selectorELNS0_4arch9wavefront6targetE0EEEvT1_,@function
_ZN7rocprim17ROCPRIM_400000_NS6detail17trampoline_kernelINS0_14default_configENS1_25partition_config_selectorILNS1_17partition_subalgoE6ExNS0_10empty_typeEbEEZZNS1_14partition_implILS5_6ELb0ES3_mN6thrust23THRUST_200600_302600_NS6detail15normal_iteratorINSA_10device_ptrIxEEEEPS6_SG_NS0_5tupleIJSF_S6_EEENSH_IJSG_SG_EEES6_PlJNSB_9not_fun_tI7is_trueIxEEEEEE10hipError_tPvRmT3_T4_T5_T6_T7_T9_mT8_P12ihipStream_tbDpT10_ENKUlT_T0_E_clISt17integral_constantIbLb0EES17_IbLb1EEEEDaS13_S14_EUlS13_E_NS1_11comp_targetILNS1_3genE2ELNS1_11target_archE906ELNS1_3gpuE6ELNS1_3repE0EEENS1_30default_config_static_selectorELNS0_4arch9wavefront6targetE0EEEvT1_: ; @_ZN7rocprim17ROCPRIM_400000_NS6detail17trampoline_kernelINS0_14default_configENS1_25partition_config_selectorILNS1_17partition_subalgoE6ExNS0_10empty_typeEbEEZZNS1_14partition_implILS5_6ELb0ES3_mN6thrust23THRUST_200600_302600_NS6detail15normal_iteratorINSA_10device_ptrIxEEEEPS6_SG_NS0_5tupleIJSF_S6_EEENSH_IJSG_SG_EEES6_PlJNSB_9not_fun_tI7is_trueIxEEEEEE10hipError_tPvRmT3_T4_T5_T6_T7_T9_mT8_P12ihipStream_tbDpT10_ENKUlT_T0_E_clISt17integral_constantIbLb0EES17_IbLb1EEEEDaS13_S14_EUlS13_E_NS1_11comp_targetILNS1_3genE2ELNS1_11target_archE906ELNS1_3gpuE6ELNS1_3repE0EEENS1_30default_config_static_selectorELNS0_4arch9wavefront6targetE0EEEvT1_
; %bb.0:
	.section	.rodata,"a",@progbits
	.p2align	6, 0x0
	.amdhsa_kernel _ZN7rocprim17ROCPRIM_400000_NS6detail17trampoline_kernelINS0_14default_configENS1_25partition_config_selectorILNS1_17partition_subalgoE6ExNS0_10empty_typeEbEEZZNS1_14partition_implILS5_6ELb0ES3_mN6thrust23THRUST_200600_302600_NS6detail15normal_iteratorINSA_10device_ptrIxEEEEPS6_SG_NS0_5tupleIJSF_S6_EEENSH_IJSG_SG_EEES6_PlJNSB_9not_fun_tI7is_trueIxEEEEEE10hipError_tPvRmT3_T4_T5_T6_T7_T9_mT8_P12ihipStream_tbDpT10_ENKUlT_T0_E_clISt17integral_constantIbLb0EES17_IbLb1EEEEDaS13_S14_EUlS13_E_NS1_11comp_targetILNS1_3genE2ELNS1_11target_archE906ELNS1_3gpuE6ELNS1_3repE0EEENS1_30default_config_static_selectorELNS0_4arch9wavefront6targetE0EEEvT1_
		.amdhsa_group_segment_fixed_size 0
		.amdhsa_private_segment_fixed_size 0
		.amdhsa_kernarg_size 128
		.amdhsa_user_sgpr_count 2
		.amdhsa_user_sgpr_dispatch_ptr 0
		.amdhsa_user_sgpr_queue_ptr 0
		.amdhsa_user_sgpr_kernarg_segment_ptr 1
		.amdhsa_user_sgpr_dispatch_id 0
		.amdhsa_user_sgpr_private_segment_size 0
		.amdhsa_wavefront_size32 1
		.amdhsa_uses_dynamic_stack 0
		.amdhsa_enable_private_segment 0
		.amdhsa_system_sgpr_workgroup_id_x 1
		.amdhsa_system_sgpr_workgroup_id_y 0
		.amdhsa_system_sgpr_workgroup_id_z 0
		.amdhsa_system_sgpr_workgroup_info 0
		.amdhsa_system_vgpr_workitem_id 0
		.amdhsa_next_free_vgpr 1
		.amdhsa_next_free_sgpr 1
		.amdhsa_reserve_vcc 0
		.amdhsa_float_round_mode_32 0
		.amdhsa_float_round_mode_16_64 0
		.amdhsa_float_denorm_mode_32 3
		.amdhsa_float_denorm_mode_16_64 3
		.amdhsa_fp16_overflow 0
		.amdhsa_workgroup_processor_mode 1
		.amdhsa_memory_ordered 1
		.amdhsa_forward_progress 1
		.amdhsa_inst_pref_size 0
		.amdhsa_round_robin_scheduling 0
		.amdhsa_exception_fp_ieee_invalid_op 0
		.amdhsa_exception_fp_denorm_src 0
		.amdhsa_exception_fp_ieee_div_zero 0
		.amdhsa_exception_fp_ieee_overflow 0
		.amdhsa_exception_fp_ieee_underflow 0
		.amdhsa_exception_fp_ieee_inexact 0
		.amdhsa_exception_int_div_zero 0
	.end_amdhsa_kernel
	.section	.text._ZN7rocprim17ROCPRIM_400000_NS6detail17trampoline_kernelINS0_14default_configENS1_25partition_config_selectorILNS1_17partition_subalgoE6ExNS0_10empty_typeEbEEZZNS1_14partition_implILS5_6ELb0ES3_mN6thrust23THRUST_200600_302600_NS6detail15normal_iteratorINSA_10device_ptrIxEEEEPS6_SG_NS0_5tupleIJSF_S6_EEENSH_IJSG_SG_EEES6_PlJNSB_9not_fun_tI7is_trueIxEEEEEE10hipError_tPvRmT3_T4_T5_T6_T7_T9_mT8_P12ihipStream_tbDpT10_ENKUlT_T0_E_clISt17integral_constantIbLb0EES17_IbLb1EEEEDaS13_S14_EUlS13_E_NS1_11comp_targetILNS1_3genE2ELNS1_11target_archE906ELNS1_3gpuE6ELNS1_3repE0EEENS1_30default_config_static_selectorELNS0_4arch9wavefront6targetE0EEEvT1_,"axG",@progbits,_ZN7rocprim17ROCPRIM_400000_NS6detail17trampoline_kernelINS0_14default_configENS1_25partition_config_selectorILNS1_17partition_subalgoE6ExNS0_10empty_typeEbEEZZNS1_14partition_implILS5_6ELb0ES3_mN6thrust23THRUST_200600_302600_NS6detail15normal_iteratorINSA_10device_ptrIxEEEEPS6_SG_NS0_5tupleIJSF_S6_EEENSH_IJSG_SG_EEES6_PlJNSB_9not_fun_tI7is_trueIxEEEEEE10hipError_tPvRmT3_T4_T5_T6_T7_T9_mT8_P12ihipStream_tbDpT10_ENKUlT_T0_E_clISt17integral_constantIbLb0EES17_IbLb1EEEEDaS13_S14_EUlS13_E_NS1_11comp_targetILNS1_3genE2ELNS1_11target_archE906ELNS1_3gpuE6ELNS1_3repE0EEENS1_30default_config_static_selectorELNS0_4arch9wavefront6targetE0EEEvT1_,comdat
.Lfunc_end1233:
	.size	_ZN7rocprim17ROCPRIM_400000_NS6detail17trampoline_kernelINS0_14default_configENS1_25partition_config_selectorILNS1_17partition_subalgoE6ExNS0_10empty_typeEbEEZZNS1_14partition_implILS5_6ELb0ES3_mN6thrust23THRUST_200600_302600_NS6detail15normal_iteratorINSA_10device_ptrIxEEEEPS6_SG_NS0_5tupleIJSF_S6_EEENSH_IJSG_SG_EEES6_PlJNSB_9not_fun_tI7is_trueIxEEEEEE10hipError_tPvRmT3_T4_T5_T6_T7_T9_mT8_P12ihipStream_tbDpT10_ENKUlT_T0_E_clISt17integral_constantIbLb0EES17_IbLb1EEEEDaS13_S14_EUlS13_E_NS1_11comp_targetILNS1_3genE2ELNS1_11target_archE906ELNS1_3gpuE6ELNS1_3repE0EEENS1_30default_config_static_selectorELNS0_4arch9wavefront6targetE0EEEvT1_, .Lfunc_end1233-_ZN7rocprim17ROCPRIM_400000_NS6detail17trampoline_kernelINS0_14default_configENS1_25partition_config_selectorILNS1_17partition_subalgoE6ExNS0_10empty_typeEbEEZZNS1_14partition_implILS5_6ELb0ES3_mN6thrust23THRUST_200600_302600_NS6detail15normal_iteratorINSA_10device_ptrIxEEEEPS6_SG_NS0_5tupleIJSF_S6_EEENSH_IJSG_SG_EEES6_PlJNSB_9not_fun_tI7is_trueIxEEEEEE10hipError_tPvRmT3_T4_T5_T6_T7_T9_mT8_P12ihipStream_tbDpT10_ENKUlT_T0_E_clISt17integral_constantIbLb0EES17_IbLb1EEEEDaS13_S14_EUlS13_E_NS1_11comp_targetILNS1_3genE2ELNS1_11target_archE906ELNS1_3gpuE6ELNS1_3repE0EEENS1_30default_config_static_selectorELNS0_4arch9wavefront6targetE0EEEvT1_
                                        ; -- End function
	.set _ZN7rocprim17ROCPRIM_400000_NS6detail17trampoline_kernelINS0_14default_configENS1_25partition_config_selectorILNS1_17partition_subalgoE6ExNS0_10empty_typeEbEEZZNS1_14partition_implILS5_6ELb0ES3_mN6thrust23THRUST_200600_302600_NS6detail15normal_iteratorINSA_10device_ptrIxEEEEPS6_SG_NS0_5tupleIJSF_S6_EEENSH_IJSG_SG_EEES6_PlJNSB_9not_fun_tI7is_trueIxEEEEEE10hipError_tPvRmT3_T4_T5_T6_T7_T9_mT8_P12ihipStream_tbDpT10_ENKUlT_T0_E_clISt17integral_constantIbLb0EES17_IbLb1EEEEDaS13_S14_EUlS13_E_NS1_11comp_targetILNS1_3genE2ELNS1_11target_archE906ELNS1_3gpuE6ELNS1_3repE0EEENS1_30default_config_static_selectorELNS0_4arch9wavefront6targetE0EEEvT1_.num_vgpr, 0
	.set _ZN7rocprim17ROCPRIM_400000_NS6detail17trampoline_kernelINS0_14default_configENS1_25partition_config_selectorILNS1_17partition_subalgoE6ExNS0_10empty_typeEbEEZZNS1_14partition_implILS5_6ELb0ES3_mN6thrust23THRUST_200600_302600_NS6detail15normal_iteratorINSA_10device_ptrIxEEEEPS6_SG_NS0_5tupleIJSF_S6_EEENSH_IJSG_SG_EEES6_PlJNSB_9not_fun_tI7is_trueIxEEEEEE10hipError_tPvRmT3_T4_T5_T6_T7_T9_mT8_P12ihipStream_tbDpT10_ENKUlT_T0_E_clISt17integral_constantIbLb0EES17_IbLb1EEEEDaS13_S14_EUlS13_E_NS1_11comp_targetILNS1_3genE2ELNS1_11target_archE906ELNS1_3gpuE6ELNS1_3repE0EEENS1_30default_config_static_selectorELNS0_4arch9wavefront6targetE0EEEvT1_.num_agpr, 0
	.set _ZN7rocprim17ROCPRIM_400000_NS6detail17trampoline_kernelINS0_14default_configENS1_25partition_config_selectorILNS1_17partition_subalgoE6ExNS0_10empty_typeEbEEZZNS1_14partition_implILS5_6ELb0ES3_mN6thrust23THRUST_200600_302600_NS6detail15normal_iteratorINSA_10device_ptrIxEEEEPS6_SG_NS0_5tupleIJSF_S6_EEENSH_IJSG_SG_EEES6_PlJNSB_9not_fun_tI7is_trueIxEEEEEE10hipError_tPvRmT3_T4_T5_T6_T7_T9_mT8_P12ihipStream_tbDpT10_ENKUlT_T0_E_clISt17integral_constantIbLb0EES17_IbLb1EEEEDaS13_S14_EUlS13_E_NS1_11comp_targetILNS1_3genE2ELNS1_11target_archE906ELNS1_3gpuE6ELNS1_3repE0EEENS1_30default_config_static_selectorELNS0_4arch9wavefront6targetE0EEEvT1_.numbered_sgpr, 0
	.set _ZN7rocprim17ROCPRIM_400000_NS6detail17trampoline_kernelINS0_14default_configENS1_25partition_config_selectorILNS1_17partition_subalgoE6ExNS0_10empty_typeEbEEZZNS1_14partition_implILS5_6ELb0ES3_mN6thrust23THRUST_200600_302600_NS6detail15normal_iteratorINSA_10device_ptrIxEEEEPS6_SG_NS0_5tupleIJSF_S6_EEENSH_IJSG_SG_EEES6_PlJNSB_9not_fun_tI7is_trueIxEEEEEE10hipError_tPvRmT3_T4_T5_T6_T7_T9_mT8_P12ihipStream_tbDpT10_ENKUlT_T0_E_clISt17integral_constantIbLb0EES17_IbLb1EEEEDaS13_S14_EUlS13_E_NS1_11comp_targetILNS1_3genE2ELNS1_11target_archE906ELNS1_3gpuE6ELNS1_3repE0EEENS1_30default_config_static_selectorELNS0_4arch9wavefront6targetE0EEEvT1_.num_named_barrier, 0
	.set _ZN7rocprim17ROCPRIM_400000_NS6detail17trampoline_kernelINS0_14default_configENS1_25partition_config_selectorILNS1_17partition_subalgoE6ExNS0_10empty_typeEbEEZZNS1_14partition_implILS5_6ELb0ES3_mN6thrust23THRUST_200600_302600_NS6detail15normal_iteratorINSA_10device_ptrIxEEEEPS6_SG_NS0_5tupleIJSF_S6_EEENSH_IJSG_SG_EEES6_PlJNSB_9not_fun_tI7is_trueIxEEEEEE10hipError_tPvRmT3_T4_T5_T6_T7_T9_mT8_P12ihipStream_tbDpT10_ENKUlT_T0_E_clISt17integral_constantIbLb0EES17_IbLb1EEEEDaS13_S14_EUlS13_E_NS1_11comp_targetILNS1_3genE2ELNS1_11target_archE906ELNS1_3gpuE6ELNS1_3repE0EEENS1_30default_config_static_selectorELNS0_4arch9wavefront6targetE0EEEvT1_.private_seg_size, 0
	.set _ZN7rocprim17ROCPRIM_400000_NS6detail17trampoline_kernelINS0_14default_configENS1_25partition_config_selectorILNS1_17partition_subalgoE6ExNS0_10empty_typeEbEEZZNS1_14partition_implILS5_6ELb0ES3_mN6thrust23THRUST_200600_302600_NS6detail15normal_iteratorINSA_10device_ptrIxEEEEPS6_SG_NS0_5tupleIJSF_S6_EEENSH_IJSG_SG_EEES6_PlJNSB_9not_fun_tI7is_trueIxEEEEEE10hipError_tPvRmT3_T4_T5_T6_T7_T9_mT8_P12ihipStream_tbDpT10_ENKUlT_T0_E_clISt17integral_constantIbLb0EES17_IbLb1EEEEDaS13_S14_EUlS13_E_NS1_11comp_targetILNS1_3genE2ELNS1_11target_archE906ELNS1_3gpuE6ELNS1_3repE0EEENS1_30default_config_static_selectorELNS0_4arch9wavefront6targetE0EEEvT1_.uses_vcc, 0
	.set _ZN7rocprim17ROCPRIM_400000_NS6detail17trampoline_kernelINS0_14default_configENS1_25partition_config_selectorILNS1_17partition_subalgoE6ExNS0_10empty_typeEbEEZZNS1_14partition_implILS5_6ELb0ES3_mN6thrust23THRUST_200600_302600_NS6detail15normal_iteratorINSA_10device_ptrIxEEEEPS6_SG_NS0_5tupleIJSF_S6_EEENSH_IJSG_SG_EEES6_PlJNSB_9not_fun_tI7is_trueIxEEEEEE10hipError_tPvRmT3_T4_T5_T6_T7_T9_mT8_P12ihipStream_tbDpT10_ENKUlT_T0_E_clISt17integral_constantIbLb0EES17_IbLb1EEEEDaS13_S14_EUlS13_E_NS1_11comp_targetILNS1_3genE2ELNS1_11target_archE906ELNS1_3gpuE6ELNS1_3repE0EEENS1_30default_config_static_selectorELNS0_4arch9wavefront6targetE0EEEvT1_.uses_flat_scratch, 0
	.set _ZN7rocprim17ROCPRIM_400000_NS6detail17trampoline_kernelINS0_14default_configENS1_25partition_config_selectorILNS1_17partition_subalgoE6ExNS0_10empty_typeEbEEZZNS1_14partition_implILS5_6ELb0ES3_mN6thrust23THRUST_200600_302600_NS6detail15normal_iteratorINSA_10device_ptrIxEEEEPS6_SG_NS0_5tupleIJSF_S6_EEENSH_IJSG_SG_EEES6_PlJNSB_9not_fun_tI7is_trueIxEEEEEE10hipError_tPvRmT3_T4_T5_T6_T7_T9_mT8_P12ihipStream_tbDpT10_ENKUlT_T0_E_clISt17integral_constantIbLb0EES17_IbLb1EEEEDaS13_S14_EUlS13_E_NS1_11comp_targetILNS1_3genE2ELNS1_11target_archE906ELNS1_3gpuE6ELNS1_3repE0EEENS1_30default_config_static_selectorELNS0_4arch9wavefront6targetE0EEEvT1_.has_dyn_sized_stack, 0
	.set _ZN7rocprim17ROCPRIM_400000_NS6detail17trampoline_kernelINS0_14default_configENS1_25partition_config_selectorILNS1_17partition_subalgoE6ExNS0_10empty_typeEbEEZZNS1_14partition_implILS5_6ELb0ES3_mN6thrust23THRUST_200600_302600_NS6detail15normal_iteratorINSA_10device_ptrIxEEEEPS6_SG_NS0_5tupleIJSF_S6_EEENSH_IJSG_SG_EEES6_PlJNSB_9not_fun_tI7is_trueIxEEEEEE10hipError_tPvRmT3_T4_T5_T6_T7_T9_mT8_P12ihipStream_tbDpT10_ENKUlT_T0_E_clISt17integral_constantIbLb0EES17_IbLb1EEEEDaS13_S14_EUlS13_E_NS1_11comp_targetILNS1_3genE2ELNS1_11target_archE906ELNS1_3gpuE6ELNS1_3repE0EEENS1_30default_config_static_selectorELNS0_4arch9wavefront6targetE0EEEvT1_.has_recursion, 0
	.set _ZN7rocprim17ROCPRIM_400000_NS6detail17trampoline_kernelINS0_14default_configENS1_25partition_config_selectorILNS1_17partition_subalgoE6ExNS0_10empty_typeEbEEZZNS1_14partition_implILS5_6ELb0ES3_mN6thrust23THRUST_200600_302600_NS6detail15normal_iteratorINSA_10device_ptrIxEEEEPS6_SG_NS0_5tupleIJSF_S6_EEENSH_IJSG_SG_EEES6_PlJNSB_9not_fun_tI7is_trueIxEEEEEE10hipError_tPvRmT3_T4_T5_T6_T7_T9_mT8_P12ihipStream_tbDpT10_ENKUlT_T0_E_clISt17integral_constantIbLb0EES17_IbLb1EEEEDaS13_S14_EUlS13_E_NS1_11comp_targetILNS1_3genE2ELNS1_11target_archE906ELNS1_3gpuE6ELNS1_3repE0EEENS1_30default_config_static_selectorELNS0_4arch9wavefront6targetE0EEEvT1_.has_indirect_call, 0
	.section	.AMDGPU.csdata,"",@progbits
; Kernel info:
; codeLenInByte = 0
; TotalNumSgprs: 0
; NumVgprs: 0
; ScratchSize: 0
; MemoryBound: 0
; FloatMode: 240
; IeeeMode: 1
; LDSByteSize: 0 bytes/workgroup (compile time only)
; SGPRBlocks: 0
; VGPRBlocks: 0
; NumSGPRsForWavesPerEU: 1
; NumVGPRsForWavesPerEU: 1
; Occupancy: 16
; WaveLimiterHint : 0
; COMPUTE_PGM_RSRC2:SCRATCH_EN: 0
; COMPUTE_PGM_RSRC2:USER_SGPR: 2
; COMPUTE_PGM_RSRC2:TRAP_HANDLER: 0
; COMPUTE_PGM_RSRC2:TGID_X_EN: 1
; COMPUTE_PGM_RSRC2:TGID_Y_EN: 0
; COMPUTE_PGM_RSRC2:TGID_Z_EN: 0
; COMPUTE_PGM_RSRC2:TIDIG_COMP_CNT: 0
	.section	.text._ZN7rocprim17ROCPRIM_400000_NS6detail17trampoline_kernelINS0_14default_configENS1_25partition_config_selectorILNS1_17partition_subalgoE6ExNS0_10empty_typeEbEEZZNS1_14partition_implILS5_6ELb0ES3_mN6thrust23THRUST_200600_302600_NS6detail15normal_iteratorINSA_10device_ptrIxEEEEPS6_SG_NS0_5tupleIJSF_S6_EEENSH_IJSG_SG_EEES6_PlJNSB_9not_fun_tI7is_trueIxEEEEEE10hipError_tPvRmT3_T4_T5_T6_T7_T9_mT8_P12ihipStream_tbDpT10_ENKUlT_T0_E_clISt17integral_constantIbLb0EES17_IbLb1EEEEDaS13_S14_EUlS13_E_NS1_11comp_targetILNS1_3genE10ELNS1_11target_archE1200ELNS1_3gpuE4ELNS1_3repE0EEENS1_30default_config_static_selectorELNS0_4arch9wavefront6targetE0EEEvT1_,"axG",@progbits,_ZN7rocprim17ROCPRIM_400000_NS6detail17trampoline_kernelINS0_14default_configENS1_25partition_config_selectorILNS1_17partition_subalgoE6ExNS0_10empty_typeEbEEZZNS1_14partition_implILS5_6ELb0ES3_mN6thrust23THRUST_200600_302600_NS6detail15normal_iteratorINSA_10device_ptrIxEEEEPS6_SG_NS0_5tupleIJSF_S6_EEENSH_IJSG_SG_EEES6_PlJNSB_9not_fun_tI7is_trueIxEEEEEE10hipError_tPvRmT3_T4_T5_T6_T7_T9_mT8_P12ihipStream_tbDpT10_ENKUlT_T0_E_clISt17integral_constantIbLb0EES17_IbLb1EEEEDaS13_S14_EUlS13_E_NS1_11comp_targetILNS1_3genE10ELNS1_11target_archE1200ELNS1_3gpuE4ELNS1_3repE0EEENS1_30default_config_static_selectorELNS0_4arch9wavefront6targetE0EEEvT1_,comdat
	.protected	_ZN7rocprim17ROCPRIM_400000_NS6detail17trampoline_kernelINS0_14default_configENS1_25partition_config_selectorILNS1_17partition_subalgoE6ExNS0_10empty_typeEbEEZZNS1_14partition_implILS5_6ELb0ES3_mN6thrust23THRUST_200600_302600_NS6detail15normal_iteratorINSA_10device_ptrIxEEEEPS6_SG_NS0_5tupleIJSF_S6_EEENSH_IJSG_SG_EEES6_PlJNSB_9not_fun_tI7is_trueIxEEEEEE10hipError_tPvRmT3_T4_T5_T6_T7_T9_mT8_P12ihipStream_tbDpT10_ENKUlT_T0_E_clISt17integral_constantIbLb0EES17_IbLb1EEEEDaS13_S14_EUlS13_E_NS1_11comp_targetILNS1_3genE10ELNS1_11target_archE1200ELNS1_3gpuE4ELNS1_3repE0EEENS1_30default_config_static_selectorELNS0_4arch9wavefront6targetE0EEEvT1_ ; -- Begin function _ZN7rocprim17ROCPRIM_400000_NS6detail17trampoline_kernelINS0_14default_configENS1_25partition_config_selectorILNS1_17partition_subalgoE6ExNS0_10empty_typeEbEEZZNS1_14partition_implILS5_6ELb0ES3_mN6thrust23THRUST_200600_302600_NS6detail15normal_iteratorINSA_10device_ptrIxEEEEPS6_SG_NS0_5tupleIJSF_S6_EEENSH_IJSG_SG_EEES6_PlJNSB_9not_fun_tI7is_trueIxEEEEEE10hipError_tPvRmT3_T4_T5_T6_T7_T9_mT8_P12ihipStream_tbDpT10_ENKUlT_T0_E_clISt17integral_constantIbLb0EES17_IbLb1EEEEDaS13_S14_EUlS13_E_NS1_11comp_targetILNS1_3genE10ELNS1_11target_archE1200ELNS1_3gpuE4ELNS1_3repE0EEENS1_30default_config_static_selectorELNS0_4arch9wavefront6targetE0EEEvT1_
	.globl	_ZN7rocprim17ROCPRIM_400000_NS6detail17trampoline_kernelINS0_14default_configENS1_25partition_config_selectorILNS1_17partition_subalgoE6ExNS0_10empty_typeEbEEZZNS1_14partition_implILS5_6ELb0ES3_mN6thrust23THRUST_200600_302600_NS6detail15normal_iteratorINSA_10device_ptrIxEEEEPS6_SG_NS0_5tupleIJSF_S6_EEENSH_IJSG_SG_EEES6_PlJNSB_9not_fun_tI7is_trueIxEEEEEE10hipError_tPvRmT3_T4_T5_T6_T7_T9_mT8_P12ihipStream_tbDpT10_ENKUlT_T0_E_clISt17integral_constantIbLb0EES17_IbLb1EEEEDaS13_S14_EUlS13_E_NS1_11comp_targetILNS1_3genE10ELNS1_11target_archE1200ELNS1_3gpuE4ELNS1_3repE0EEENS1_30default_config_static_selectorELNS0_4arch9wavefront6targetE0EEEvT1_
	.p2align	8
	.type	_ZN7rocprim17ROCPRIM_400000_NS6detail17trampoline_kernelINS0_14default_configENS1_25partition_config_selectorILNS1_17partition_subalgoE6ExNS0_10empty_typeEbEEZZNS1_14partition_implILS5_6ELb0ES3_mN6thrust23THRUST_200600_302600_NS6detail15normal_iteratorINSA_10device_ptrIxEEEEPS6_SG_NS0_5tupleIJSF_S6_EEENSH_IJSG_SG_EEES6_PlJNSB_9not_fun_tI7is_trueIxEEEEEE10hipError_tPvRmT3_T4_T5_T6_T7_T9_mT8_P12ihipStream_tbDpT10_ENKUlT_T0_E_clISt17integral_constantIbLb0EES17_IbLb1EEEEDaS13_S14_EUlS13_E_NS1_11comp_targetILNS1_3genE10ELNS1_11target_archE1200ELNS1_3gpuE4ELNS1_3repE0EEENS1_30default_config_static_selectorELNS0_4arch9wavefront6targetE0EEEvT1_,@function
_ZN7rocprim17ROCPRIM_400000_NS6detail17trampoline_kernelINS0_14default_configENS1_25partition_config_selectorILNS1_17partition_subalgoE6ExNS0_10empty_typeEbEEZZNS1_14partition_implILS5_6ELb0ES3_mN6thrust23THRUST_200600_302600_NS6detail15normal_iteratorINSA_10device_ptrIxEEEEPS6_SG_NS0_5tupleIJSF_S6_EEENSH_IJSG_SG_EEES6_PlJNSB_9not_fun_tI7is_trueIxEEEEEE10hipError_tPvRmT3_T4_T5_T6_T7_T9_mT8_P12ihipStream_tbDpT10_ENKUlT_T0_E_clISt17integral_constantIbLb0EES17_IbLb1EEEEDaS13_S14_EUlS13_E_NS1_11comp_targetILNS1_3genE10ELNS1_11target_archE1200ELNS1_3gpuE4ELNS1_3repE0EEENS1_30default_config_static_selectorELNS0_4arch9wavefront6targetE0EEEvT1_: ; @_ZN7rocprim17ROCPRIM_400000_NS6detail17trampoline_kernelINS0_14default_configENS1_25partition_config_selectorILNS1_17partition_subalgoE6ExNS0_10empty_typeEbEEZZNS1_14partition_implILS5_6ELb0ES3_mN6thrust23THRUST_200600_302600_NS6detail15normal_iteratorINSA_10device_ptrIxEEEEPS6_SG_NS0_5tupleIJSF_S6_EEENSH_IJSG_SG_EEES6_PlJNSB_9not_fun_tI7is_trueIxEEEEEE10hipError_tPvRmT3_T4_T5_T6_T7_T9_mT8_P12ihipStream_tbDpT10_ENKUlT_T0_E_clISt17integral_constantIbLb0EES17_IbLb1EEEEDaS13_S14_EUlS13_E_NS1_11comp_targetILNS1_3genE10ELNS1_11target_archE1200ELNS1_3gpuE4ELNS1_3repE0EEENS1_30default_config_static_selectorELNS0_4arch9wavefront6targetE0EEEvT1_
; %bb.0:
	s_clause 0x3
	s_load_b64 s[12:13], s[0:1], 0x28
	s_load_b128 s[8:11], s[0:1], 0x40
	s_load_b64 s[16:17], s[0:1], 0x50
	s_load_b64 s[14:15], s[0:1], 0x60
	v_cmp_eq_u32_e64 s2, 0, v0
	s_and_saveexec_b32 s3, s2
	s_cbranch_execz .LBB1234_4
; %bb.1:
	s_mov_b32 s5, exec_lo
	s_mov_b32 s4, exec_lo
	v_mbcnt_lo_u32_b32 v1, s5, 0
                                        ; implicit-def: $vgpr2
	s_delay_alu instid0(VALU_DEP_1)
	v_cmpx_eq_u32_e32 0, v1
	s_cbranch_execz .LBB1234_3
; %bb.2:
	s_load_b64 s[6:7], s[0:1], 0x70
	s_bcnt1_i32_b32 s5, s5
	s_wait_alu 0xfffe
	v_dual_mov_b32 v2, 0 :: v_dual_mov_b32 v3, s5
	s_wait_kmcnt 0x0
	global_atomic_add_u32 v2, v2, v3, s[6:7] th:TH_ATOMIC_RETURN scope:SCOPE_DEV
.LBB1234_3:
	s_or_b32 exec_lo, exec_lo, s4
	s_wait_loadcnt 0x0
	v_readfirstlane_b32 s4, v2
	s_wait_alu 0xf1ff
	s_delay_alu instid0(VALU_DEP_1)
	v_dual_mov_b32 v2, 0 :: v_dual_add_nc_u32 v1, s4, v1
	ds_store_b32 v2, v1
.LBB1234_4:
	s_or_b32 exec_lo, exec_lo, s3
	v_mov_b32_e32 v2, 0
	s_clause 0x1
	s_load_b128 s[4:7], s[0:1], 0x8
	s_load_b32 s0, s[0:1], 0x68
	s_wait_dscnt 0x0
	s_barrier_signal -1
	s_barrier_wait -1
	global_inv scope:SCOPE_SE
	ds_load_b32 v1, v2
	s_wait_loadcnt_dscnt 0x0
	s_barrier_signal -1
	s_barrier_wait -1
	global_inv scope:SCOPE_SE
	s_wait_kmcnt 0x0
	global_load_b64 v[17:18], v2, s[10:11]
	s_mov_b32 s1, 0
	v_lshrrev_b32_e32 v9, 2, v0
	v_or_b32_e32 v11, 0x200, v0
	v_or_b32_e32 v10, 0x300, v0
	s_lshl_b64 s[18:19], s[6:7], 3
	s_add_co_i32 s3, s0, -1
	s_lshl_b32 s0, s0, 10
	s_lshl_b32 s10, s3, 10
	s_add_nc_u64 s[20:21], s[6:7], s[0:1]
	s_add_co_i32 s0, s6, s10
	v_readfirstlane_b32 s11, v1
	v_lshlrev_b32_e32 v1, 10, v1
	v_cmp_le_u64_e64 s1, s[16:17], s[20:21]
	s_add_nc_u64 s[4:5], s[4:5], s[18:19]
	s_cmp_eq_u32 s11, s3
	v_lshlrev_b64_e32 v[1:2], 3, v[1:2]
	s_cselect_b32 s6, -1, 0
	s_delay_alu instid0(SALU_CYCLE_1) | instskip(NEXT) | instid1(SALU_CYCLE_1)
	s_and_b32 s1, s1, s6
	s_xor_b32 s7, s1, -1
	s_wait_alu 0xfffe
	s_delay_alu instid0(VALU_DEP_1) | instskip(NEXT) | instid1(VALU_DEP_1)
	v_add_co_u32 v12, vcc_lo, s4, v1
	v_add_co_ci_u32_e64 v13, null, s5, v2, vcc_lo
	s_and_b32 vcc_lo, exec_lo, s7
	s_mov_b32 s1, -1
	s_wait_alu 0xfffe
	s_cbranch_vccz .LBB1234_6
; %bb.5:
	v_lshlrev_b32_e32 v14, 3, v0
	v_or_b32_e32 v15, 0x100, v0
	v_lshrrev_b32_e32 v16, 2, v11
	v_lshrrev_b32_e32 v19, 2, v10
	v_and_b32_e32 v20, 56, v9
	v_add_co_u32 v1, vcc_lo, v12, v14
	s_wait_alu 0xfffd
	v_add_co_ci_u32_e64 v2, null, 0, v13, vcc_lo
	v_lshrrev_b32_e32 v15, 2, v15
	v_and_b32_e32 v16, 0xb8, v16
	v_and_b32_e32 v19, 0xf8, v19
	s_clause 0x3
	flat_load_b64 v[3:4], v[1:2]
	flat_load_b64 v[5:6], v[1:2] offset:2048
	flat_load_b64 v[7:8], v[1:2] offset:4096
	;; [unrolled: 1-line block ×3, first 2 shown]
	v_add_nc_u32_e32 v20, v20, v14
	v_and_b32_e32 v15, 0x78, v15
	v_add_nc_u32_e32 v16, v16, v14
	s_mov_b32 s1, 0
	s_delay_alu instid0(VALU_DEP_2)
	v_add_nc_u32_e32 v15, v15, v14
	v_add_nc_u32_e32 v14, v19, v14
	s_wait_loadcnt_dscnt 0x303
	ds_store_b64 v20, v[3:4]
	s_wait_loadcnt_dscnt 0x203
	ds_store_b64 v15, v[5:6] offset:2048
	s_wait_loadcnt_dscnt 0x103
	ds_store_b64 v16, v[7:8] offset:4096
	;; [unrolled: 2-line block ×3, first 2 shown]
	s_wait_dscnt 0x0
	s_barrier_signal -1
	s_barrier_wait -1
.LBB1234_6:
	s_and_not1_b32 vcc_lo, exec_lo, s1
	s_sub_co_i32 s16, s16, s0
	s_wait_alu 0xfffe
	s_cbranch_vccnz .LBB1234_14
; %bb.7:
	v_mov_b32_e32 v1, 0
	s_mov_b32 s0, exec_lo
	s_delay_alu instid0(VALU_DEP_1)
	v_dual_mov_b32 v2, v1 :: v_dual_mov_b32 v3, v1
	v_dual_mov_b32 v4, v1 :: v_dual_mov_b32 v5, v1
	v_dual_mov_b32 v6, v1 :: v_dual_mov_b32 v7, v1
	v_mov_b32_e32 v8, v1
	v_cmpx_gt_u32_e64 s16, v0
	s_cbranch_execz .LBB1234_9
; %bb.8:
	v_dual_mov_b32 v21, v1 :: v_dual_lshlrev_b32 v2, 3, v0
	v_dual_mov_b32 v22, v1 :: v_dual_mov_b32 v23, v1
	v_dual_mov_b32 v24, v1 :: v_dual_mov_b32 v25, v1
	s_delay_alu instid0(VALU_DEP_3)
	v_add_co_u32 v2, vcc_lo, v12, v2
	s_wait_alu 0xfffd
	v_add_co_ci_u32_e64 v3, null, 0, v13, vcc_lo
	v_mov_b32_e32 v26, v1
	flat_load_b64 v[19:20], v[2:3]
	s_wait_loadcnt_dscnt 0x0
	v_dual_mov_b32 v1, v19 :: v_dual_mov_b32 v2, v20
	v_dual_mov_b32 v3, v21 :: v_dual_mov_b32 v4, v22
	;; [unrolled: 1-line block ×4, first 2 shown]
.LBB1234_9:
	s_or_b32 exec_lo, exec_lo, s0
	v_or_b32_e32 v14, 0x100, v0
	s_mov_b32 s0, exec_lo
	s_delay_alu instid0(VALU_DEP_1)
	v_cmpx_gt_u32_e64 s16, v14
	s_cbranch_execnz .LBB1234_132
; %bb.10:
	s_or_b32 exec_lo, exec_lo, s0
	s_delay_alu instid0(SALU_CYCLE_1)
	s_mov_b32 s0, exec_lo
	v_cmpx_gt_u32_e64 s16, v11
	s_cbranch_execnz .LBB1234_133
.LBB1234_11:
	s_or_b32 exec_lo, exec_lo, s0
	s_delay_alu instid0(SALU_CYCLE_1)
	s_mov_b32 s0, exec_lo
	v_cmpx_gt_u32_e64 s16, v10
	s_cbranch_execz .LBB1234_13
.LBB1234_12:
	v_lshlrev_b32_e32 v7, 3, v0
	s_delay_alu instid0(VALU_DEP_1)
	v_add_co_u32 v7, vcc_lo, v12, v7
	s_wait_alu 0xfffd
	v_add_co_ci_u32_e64 v8, null, 0, v13, vcc_lo
	flat_load_b64 v[7:8], v[7:8] offset:6144
.LBB1234_13:
	s_or_b32 exec_lo, exec_lo, s0
	v_lshrrev_b32_e32 v12, 2, v14
	v_lshrrev_b32_e32 v11, 2, v11
	v_lshrrev_b32_e32 v10, 2, v10
	v_and_b32_e32 v9, 56, v9
	v_lshlrev_b32_e32 v13, 3, v0
	v_and_b32_e32 v12, 0x78, v12
	v_and_b32_e32 v11, 0xf8, v11
	;; [unrolled: 1-line block ×3, first 2 shown]
	s_delay_alu instid0(VALU_DEP_4) | instskip(NEXT) | instid1(VALU_DEP_4)
	v_add_nc_u32_e32 v9, v9, v13
	v_add_nc_u32_e32 v12, v12, v13
	s_delay_alu instid0(VALU_DEP_4) | instskip(NEXT) | instid1(VALU_DEP_4)
	v_add_nc_u32_e32 v11, v11, v13
	v_add_nc_u32_e32 v10, v10, v13
	ds_store_b64 v9, v[1:2]
	s_wait_loadcnt_dscnt 0x1
	ds_store_b64 v12, v[3:4] offset:2048
	ds_store_b64 v11, v[5:6] offset:4096
	;; [unrolled: 1-line block ×3, first 2 shown]
	s_wait_dscnt 0x0
	s_barrier_signal -1
	s_barrier_wait -1
.LBB1234_14:
	v_and_b32_e32 v1, 0xf8, v0
	s_wait_loadcnt 0x0
	global_inv scope:SCOPE_SE
	s_and_not1_b32 vcc_lo, exec_lo, s7
	v_lshl_add_u32 v5, v0, 5, v1
	ds_load_2addr_b64 v[1:4], v5 offset1:3
	ds_load_2addr_b64 v[5:8], v5 offset0:1 offset1:2
	s_wait_loadcnt_dscnt 0x0
	s_barrier_signal -1
	s_barrier_wait -1
	global_inv scope:SCOPE_SE
	v_cmp_eq_u64_e64 s0, 0, v[1:2]
	v_cmp_eq_u64_e64 s10, 0, v[3:4]
	s_wait_alu 0xfffe
	s_cbranch_vccnz .LBB1234_16
; %bb.15:
	v_cmp_eq_u64_e32 vcc_lo, 0, v[7:8]
	v_cndmask_b32_e64 v29, 0, 1, s0
	s_wait_alu 0xfffd
	v_cndmask_b32_e64 v27, 0, 1, vcc_lo
	v_cmp_eq_u64_e32 vcc_lo, 0, v[5:6]
	s_delay_alu instid0(VALU_DEP_2) | instskip(SKIP_2) | instid1(VALU_DEP_1)
	v_lshlrev_b16 v10, 8, v27
	s_wait_alu 0xfffd
	v_cndmask_b32_e64 v9, 0, 1, vcc_lo
	v_or_b32_e32 v28, v9, v10
	s_cbranch_execz .LBB1234_17
	s_branch .LBB1234_18
.LBB1234_16:
                                        ; implicit-def: $sgpr10
                                        ; implicit-def: $vgpr29
                                        ; implicit-def: $vgpr28
                                        ; implicit-def: $vgpr27
.LBB1234_17:
	v_lshlrev_b32_e32 v9, 2, v0
	v_cmp_eq_u64_e64 s0, 0, v[7:8]
	v_cmp_eq_u64_e64 s3, 0, v[5:6]
	v_cmp_eq_u64_e32 vcc_lo, 0, v[1:2]
	v_cmp_eq_u64_e64 s4, 0, v[3:4]
	v_or_b32_e32 v10, 2, v9
	v_or_b32_e32 v11, 1, v9
	s_delay_alu instid0(VALU_DEP_2) | instskip(NEXT) | instid1(VALU_DEP_2)
	v_cmp_gt_u32_e64 s1, s16, v10
	v_cmp_gt_u32_e64 s5, s16, v11
	v_or_b32_e32 v10, 3, v9
	s_and_b32 s0, s1, s0
	s_and_b32 s3, s5, s3
	s_wait_alu 0xfffe
	v_cndmask_b32_e64 v27, 0, 1, s0
	v_cmp_gt_u32_e64 s0, s16, v9
	v_cmp_gt_u32_e64 s1, s16, v10
	v_cndmask_b32_e64 v9, 0, 1, s3
	s_delay_alu instid0(VALU_DEP_4)
	v_lshlrev_b16 v10, 8, v27
	s_and_b32 s0, s0, vcc_lo
	s_wait_alu 0xfffe
	v_cndmask_b32_e64 v29, 0, 1, s0
	s_and_b32 s0, s1, s4
	v_or_b32_e32 v28, v9, v10
	s_and_not1_b32 s1, s10, exec_lo
	s_wait_alu 0xfffe
	s_and_b32 s0, s0, exec_lo
	s_wait_alu 0xfffe
	s_or_b32 s10, s1, s0
.LBB1234_18:
	v_and_b32_e32 v32, 0xff, v29
	s_delay_alu instid0(VALU_DEP_2)
	v_dual_mov_b32 v10, 0 :: v_dual_and_b32 v31, 0xff, v28
	v_cndmask_b32_e64 v9, 0, 1, s10
	v_mbcnt_lo_u32_b32 v33, -1, 0
	v_and_b32_e32 v30, 0xff, v27
	s_cmp_lg_u32 s11, 0
	s_mov_b32 s1, -1
	v_add3_u32 v9, v32, v9, v31
	v_and_b32_e32 v34, 15, v33
	s_delay_alu instid0(VALU_DEP_2) | instskip(SKIP_2) | instid1(VALU_DEP_3)
	v_add_co_u32 v19, s0, v9, v30
	s_wait_alu 0xf1ff
	v_add_co_ci_u32_e64 v20, null, 0, 0, s0
	v_cmp_ne_u32_e64 s0, 0, v34
	s_cbranch_scc0 .LBB1234_75
; %bb.19:
	v_mov_b32_e32 v11, v19
	v_mov_b32_dpp v9, v19 row_shr:1 row_mask:0xf bank_mask:0xf
	v_mov_b32_dpp v14, v10 row_shr:1 row_mask:0xf bank_mask:0xf
	v_dual_mov_b32 v13, v19 :: v_dual_mov_b32 v12, v20
	s_and_saveexec_b32 s1, s0
; %bb.20:
	s_delay_alu instid0(VALU_DEP_3) | instskip(SKIP_2) | instid1(VALU_DEP_2)
	v_add_co_u32 v13, vcc_lo, v19, v9
	s_wait_alu 0xfffd
	v_add_co_ci_u32_e64 v10, null, 0, v20, vcc_lo
	v_add_co_u32 v9, vcc_lo, 0, v13
	s_wait_alu 0xfffd
	s_delay_alu instid0(VALU_DEP_2) | instskip(NEXT) | instid1(VALU_DEP_1)
	v_add_co_ci_u32_e64 v10, null, v14, v10, vcc_lo
	v_dual_mov_b32 v12, v10 :: v_dual_mov_b32 v11, v9
; %bb.21:
	s_wait_alu 0xfffe
	s_or_b32 exec_lo, exec_lo, s1
	v_mov_b32_dpp v9, v13 row_shr:2 row_mask:0xf bank_mask:0xf
	v_mov_b32_dpp v14, v10 row_shr:2 row_mask:0xf bank_mask:0xf
	s_mov_b32 s1, exec_lo
	v_cmpx_lt_u32_e32 1, v34
; %bb.22:
	s_delay_alu instid0(VALU_DEP_3) | instskip(SKIP_2) | instid1(VALU_DEP_2)
	v_add_co_u32 v13, vcc_lo, v11, v9
	s_wait_alu 0xfffd
	v_add_co_ci_u32_e64 v10, null, 0, v12, vcc_lo
	v_add_co_u32 v9, vcc_lo, 0, v13
	s_wait_alu 0xfffd
	s_delay_alu instid0(VALU_DEP_2) | instskip(NEXT) | instid1(VALU_DEP_1)
	v_add_co_ci_u32_e64 v10, null, v14, v10, vcc_lo
	v_dual_mov_b32 v12, v10 :: v_dual_mov_b32 v11, v9
; %bb.23:
	s_wait_alu 0xfffe
	s_or_b32 exec_lo, exec_lo, s1
	v_mov_b32_dpp v9, v13 row_shr:4 row_mask:0xf bank_mask:0xf
	v_mov_b32_dpp v14, v10 row_shr:4 row_mask:0xf bank_mask:0xf
	s_mov_b32 s1, exec_lo
	v_cmpx_lt_u32_e32 3, v34
	;; [unrolled: 17-line block ×3, first 2 shown]
; %bb.26:
	s_delay_alu instid0(VALU_DEP_3) | instskip(SKIP_2) | instid1(VALU_DEP_2)
	v_add_co_u32 v13, vcc_lo, v11, v14
	s_wait_alu 0xfffd
	v_add_co_ci_u32_e64 v10, null, 0, v12, vcc_lo
	v_add_co_u32 v11, vcc_lo, 0, v13
	s_wait_alu 0xfffd
	s_delay_alu instid0(VALU_DEP_2) | instskip(NEXT) | instid1(VALU_DEP_1)
	v_add_co_ci_u32_e64 v12, null, v9, v10, vcc_lo
	v_mov_b32_e32 v10, v12
; %bb.27:
	s_wait_alu 0xfffe
	s_or_b32 exec_lo, exec_lo, s1
	ds_swizzle_b32 v9, v13 offset:swizzle(BROADCAST,32,15)
	ds_swizzle_b32 v14, v10 offset:swizzle(BROADCAST,32,15)
	v_and_b32_e32 v15, 16, v33
	s_mov_b32 s1, exec_lo
	s_delay_alu instid0(VALU_DEP_1)
	v_cmpx_ne_u32_e32 0, v15
	s_cbranch_execz .LBB1234_29
; %bb.28:
	s_wait_dscnt 0x1
	v_add_co_u32 v13, vcc_lo, v11, v9
	s_wait_alu 0xfffd
	v_add_co_ci_u32_e64 v10, null, 0, v12, vcc_lo
	s_delay_alu instid0(VALU_DEP_2) | instskip(SKIP_2) | instid1(VALU_DEP_2)
	v_add_co_u32 v9, vcc_lo, 0, v13
	s_wait_dscnt 0x0
	s_wait_alu 0xfffd
	v_add_co_ci_u32_e64 v10, null, v14, v10, vcc_lo
	s_delay_alu instid0(VALU_DEP_1)
	v_dual_mov_b32 v12, v10 :: v_dual_mov_b32 v11, v9
.LBB1234_29:
	s_wait_alu 0xfffe
	s_or_b32 exec_lo, exec_lo, s1
	s_wait_dscnt 0x0
	v_or_b32_e32 v14, 31, v0
	v_lshrrev_b32_e32 v9, 5, v0
	s_mov_b32 s1, exec_lo
	s_delay_alu instid0(VALU_DEP_2)
	v_cmpx_eq_u32_e64 v0, v14
; %bb.30:
	s_delay_alu instid0(VALU_DEP_2)
	v_lshlrev_b32_e32 v14, 3, v9
	ds_store_b64 v14, v[11:12]
; %bb.31:
	s_wait_alu 0xfffe
	s_or_b32 exec_lo, exec_lo, s1
	s_delay_alu instid0(SALU_CYCLE_1)
	s_mov_b32 s1, exec_lo
	s_wait_loadcnt_dscnt 0x0
	s_barrier_signal -1
	s_barrier_wait -1
	global_inv scope:SCOPE_SE
	v_cmpx_gt_u32_e32 8, v0
	s_cbranch_execz .LBB1234_39
; %bb.32:
	v_lshlrev_b32_e32 v14, 3, v0
	s_mov_b32 s3, exec_lo
	ds_load_b64 v[11:12], v14
	s_wait_dscnt 0x0
	v_dual_mov_b32 v16, v11 :: v_dual_and_b32 v15, 7, v33
	v_mov_b32_dpp v22, v11 row_shr:1 row_mask:0xf bank_mask:0xf
	v_mov_b32_dpp v21, v12 row_shr:1 row_mask:0xf bank_mask:0xf
	s_delay_alu instid0(VALU_DEP_3)
	v_cmpx_ne_u32_e32 0, v15
; %bb.33:
	s_delay_alu instid0(VALU_DEP_3) | instskip(SKIP_2) | instid1(VALU_DEP_2)
	v_add_co_u32 v16, vcc_lo, v11, v22
	s_wait_alu 0xfffd
	v_add_co_ci_u32_e64 v12, null, 0, v12, vcc_lo
	v_add_co_u32 v11, vcc_lo, 0, v16
	s_wait_alu 0xfffd
	s_delay_alu instid0(VALU_DEP_2)
	v_add_co_ci_u32_e64 v12, null, v21, v12, vcc_lo
; %bb.34:
	s_wait_alu 0xfffe
	s_or_b32 exec_lo, exec_lo, s3
	v_mov_b32_dpp v22, v16 row_shr:2 row_mask:0xf bank_mask:0xf
	s_delay_alu instid0(VALU_DEP_2)
	v_mov_b32_dpp v21, v12 row_shr:2 row_mask:0xf bank_mask:0xf
	s_mov_b32 s3, exec_lo
	v_cmpx_lt_u32_e32 1, v15
; %bb.35:
	s_delay_alu instid0(VALU_DEP_3) | instskip(SKIP_2) | instid1(VALU_DEP_2)
	v_add_co_u32 v16, vcc_lo, v11, v22
	s_wait_alu 0xfffd
	v_add_co_ci_u32_e64 v12, null, 0, v12, vcc_lo
	v_add_co_u32 v11, vcc_lo, 0, v16
	s_wait_alu 0xfffd
	s_delay_alu instid0(VALU_DEP_2)
	v_add_co_ci_u32_e64 v12, null, v21, v12, vcc_lo
; %bb.36:
	s_wait_alu 0xfffe
	s_or_b32 exec_lo, exec_lo, s3
	v_mov_b32_dpp v21, v16 row_shr:4 row_mask:0xf bank_mask:0xf
	s_delay_alu instid0(VALU_DEP_2)
	v_mov_b32_dpp v16, v12 row_shr:4 row_mask:0xf bank_mask:0xf
	s_mov_b32 s3, exec_lo
	v_cmpx_lt_u32_e32 3, v15
; %bb.37:
	s_delay_alu instid0(VALU_DEP_3) | instskip(SKIP_2) | instid1(VALU_DEP_2)
	v_add_co_u32 v11, vcc_lo, v11, v21
	s_wait_alu 0xfffd
	v_add_co_ci_u32_e64 v12, null, 0, v12, vcc_lo
	v_add_co_u32 v11, vcc_lo, v11, 0
	s_wait_alu 0xfffd
	s_delay_alu instid0(VALU_DEP_2)
	v_add_co_ci_u32_e64 v12, null, v12, v16, vcc_lo
; %bb.38:
	s_wait_alu 0xfffe
	s_or_b32 exec_lo, exec_lo, s3
	ds_store_b64 v14, v[11:12]
.LBB1234_39:
	s_wait_alu 0xfffe
	s_or_b32 exec_lo, exec_lo, s1
	s_delay_alu instid0(SALU_CYCLE_1)
	s_mov_b32 s3, exec_lo
	v_cmp_gt_u32_e32 vcc_lo, 32, v0
	s_wait_loadcnt_dscnt 0x0
	s_barrier_signal -1
	s_barrier_wait -1
	global_inv scope:SCOPE_SE
                                        ; implicit-def: $vgpr21_vgpr22
	v_cmpx_lt_u32_e32 31, v0
	s_cbranch_execz .LBB1234_41
; %bb.40:
	v_lshl_add_u32 v9, v9, 3, -8
	ds_load_b64 v[21:22], v9
	s_wait_dscnt 0x0
	v_add_co_u32 v13, s1, v13, v21
	s_wait_alu 0xf1ff
	v_add_co_ci_u32_e64 v10, null, v10, v22, s1
.LBB1234_41:
	s_wait_alu 0xfffe
	s_or_b32 exec_lo, exec_lo, s3
	v_sub_co_u32 v9, s1, v33, 1
	s_delay_alu instid0(VALU_DEP_1) | instskip(SKIP_1) | instid1(VALU_DEP_1)
	v_cmp_gt_i32_e64 s3, 0, v9
	s_wait_alu 0xf1ff
	v_cndmask_b32_e64 v9, v9, v33, s3
	s_delay_alu instid0(VALU_DEP_1)
	v_lshlrev_b32_e32 v9, 2, v9
	ds_bpermute_b32 v35, v9, v13
	ds_bpermute_b32 v36, v9, v10
	s_and_saveexec_b32 s3, vcc_lo
	s_cbranch_execz .LBB1234_80
; %bb.42:
	v_mov_b32_e32 v12, 0
	ds_load_b64 v[9:10], v12 offset:56
	s_and_saveexec_b32 s4, s1
	s_cbranch_execz .LBB1234_44
; %bb.43:
	s_add_co_i32 s16, s11, 32
	s_mov_b32 s17, 0
	s_wait_alu 0xfffe
	s_lshl_b64 s[16:17], s[16:17], 4
	s_wait_alu 0xfffe
	s_add_nc_u64 s[16:17], s[14:15], s[16:17]
	v_mov_b32_e32 v11, 1
	s_wait_alu 0xfffe
	v_dual_mov_b32 v13, s16 :: v_dual_mov_b32 v14, s17
	s_wait_dscnt 0x0
	;;#ASMSTART
	global_store_b128 v[13:14], v[9:12] off scope:SCOPE_DEV	
s_wait_storecnt 0x0
	;;#ASMEND
.LBB1234_44:
	s_wait_alu 0xfffe
	s_or_b32 exec_lo, exec_lo, s4
	v_xad_u32 v23, v33, -1, s11
	s_mov_b32 s5, 0
	s_mov_b32 s4, exec_lo
	s_delay_alu instid0(VALU_DEP_1) | instskip(NEXT) | instid1(VALU_DEP_1)
	v_add_nc_u32_e32 v11, 32, v23
	v_lshlrev_b64_e32 v[11:12], 4, v[11:12]
	s_delay_alu instid0(VALU_DEP_1) | instskip(SKIP_1) | instid1(VALU_DEP_2)
	v_add_co_u32 v11, vcc_lo, s14, v11
	s_wait_alu 0xfffd
	v_add_co_ci_u32_e64 v12, null, s15, v12, vcc_lo
	;;#ASMSTART
	global_load_b128 v[13:16], v[11:12] off scope:SCOPE_DEV	
s_wait_loadcnt 0x0
	;;#ASMEND
	v_and_b32_e32 v16, 0xff, v15
	s_delay_alu instid0(VALU_DEP_1)
	v_cmpx_eq_u16_e32 0, v16
	s_cbranch_execz .LBB1234_47
.LBB1234_45:                            ; =>This Inner Loop Header: Depth=1
	;;#ASMSTART
	global_load_b128 v[13:16], v[11:12] off scope:SCOPE_DEV	
s_wait_loadcnt 0x0
	;;#ASMEND
	v_and_b32_e32 v16, 0xff, v15
	s_delay_alu instid0(VALU_DEP_1)
	v_cmp_ne_u16_e32 vcc_lo, 0, v16
	s_wait_alu 0xfffe
	s_or_b32 s5, vcc_lo, s5
	s_wait_alu 0xfffe
	s_and_not1_b32 exec_lo, exec_lo, s5
	s_cbranch_execnz .LBB1234_45
; %bb.46:
	s_or_b32 exec_lo, exec_lo, s5
.LBB1234_47:
	s_wait_alu 0xfffe
	s_or_b32 exec_lo, exec_lo, s4
	v_cmp_ne_u32_e32 vcc_lo, 31, v33
	v_and_b32_e32 v12, 0xff, v15
	v_lshlrev_b32_e64 v38, v33, -1
	s_mov_b32 s4, exec_lo
	s_wait_alu 0xfffd
	v_add_co_ci_u32_e64 v11, null, 0, v33, vcc_lo
	v_cmp_eq_u16_e32 vcc_lo, 2, v12
	s_delay_alu instid0(VALU_DEP_2)
	v_dual_mov_b32 v12, v13 :: v_dual_lshlrev_b32 v37, 2, v11
	s_wait_alu 0xfffd
	v_and_or_b32 v11, vcc_lo, v38, 0x80000000
	ds_bpermute_b32 v24, v37, v13
	ds_bpermute_b32 v16, v37, v14
	v_ctz_i32_b32_e32 v11, v11
	s_delay_alu instid0(VALU_DEP_1)
	v_cmpx_lt_u32_e64 v33, v11
	s_cbranch_execz .LBB1234_49
; %bb.48:
	s_wait_dscnt 0x1
	v_add_co_u32 v12, vcc_lo, v13, v24
	s_wait_alu 0xfffd
	v_add_co_ci_u32_e64 v14, null, 0, v14, vcc_lo
	s_delay_alu instid0(VALU_DEP_2) | instskip(SKIP_2) | instid1(VALU_DEP_2)
	v_add_co_u32 v13, vcc_lo, 0, v12
	s_wait_dscnt 0x0
	s_wait_alu 0xfffd
	v_add_co_ci_u32_e64 v14, null, v16, v14, vcc_lo
.LBB1234_49:
	s_wait_alu 0xfffe
	s_or_b32 exec_lo, exec_lo, s4
	v_cmp_gt_u32_e32 vcc_lo, 30, v33
	v_add_nc_u32_e32 v40, 2, v33
	s_mov_b32 s4, exec_lo
	s_wait_dscnt 0x0
	s_wait_alu 0xfffd
	v_cndmask_b32_e64 v16, 0, 2, vcc_lo
	s_delay_alu instid0(VALU_DEP_1)
	v_add_lshl_u32 v39, v16, v33, 2
	ds_bpermute_b32 v24, v39, v12
	ds_bpermute_b32 v16, v39, v14
	v_cmpx_le_u32_e64 v40, v11
	s_cbranch_execz .LBB1234_51
; %bb.50:
	s_wait_dscnt 0x1
	v_add_co_u32 v12, vcc_lo, v13, v24
	s_wait_alu 0xfffd
	v_add_co_ci_u32_e64 v14, null, 0, v14, vcc_lo
	s_delay_alu instid0(VALU_DEP_2) | instskip(SKIP_2) | instid1(VALU_DEP_2)
	v_add_co_u32 v13, vcc_lo, 0, v12
	s_wait_dscnt 0x0
	s_wait_alu 0xfffd
	v_add_co_ci_u32_e64 v14, null, v16, v14, vcc_lo
.LBB1234_51:
	s_wait_alu 0xfffe
	s_or_b32 exec_lo, exec_lo, s4
	v_cmp_gt_u32_e32 vcc_lo, 28, v33
	v_add_nc_u32_e32 v42, 4, v33
	s_mov_b32 s4, exec_lo
	s_wait_dscnt 0x0
	s_wait_alu 0xfffd
	v_cndmask_b32_e64 v16, 0, 4, vcc_lo
	s_delay_alu instid0(VALU_DEP_1)
	v_add_lshl_u32 v41, v16, v33, 2
	ds_bpermute_b32 v24, v41, v12
	ds_bpermute_b32 v16, v41, v14
	v_cmpx_le_u32_e64 v42, v11
	;; [unrolled: 25-line block ×3, first 2 shown]
	s_cbranch_execz .LBB1234_55
; %bb.54:
	s_wait_dscnt 0x1
	v_add_co_u32 v12, vcc_lo, v13, v24
	s_wait_alu 0xfffd
	v_add_co_ci_u32_e64 v14, null, 0, v14, vcc_lo
	s_delay_alu instid0(VALU_DEP_2) | instskip(SKIP_2) | instid1(VALU_DEP_2)
	v_add_co_u32 v13, vcc_lo, 0, v12
	s_wait_dscnt 0x0
	s_wait_alu 0xfffd
	v_add_co_ci_u32_e64 v14, null, v16, v14, vcc_lo
.LBB1234_55:
	s_wait_alu 0xfffe
	s_or_b32 exec_lo, exec_lo, s4
	v_lshl_or_b32 v45, v33, 2, 64
	v_add_nc_u32_e32 v46, 16, v33
	s_mov_b32 s4, exec_lo
	s_wait_dscnt 0x0
	ds_bpermute_b32 v16, v45, v12
	ds_bpermute_b32 v12, v45, v14
	v_cmpx_le_u32_e64 v46, v11
	s_cbranch_execz .LBB1234_57
; %bb.56:
	s_wait_dscnt 0x1
	v_add_co_u32 v11, vcc_lo, v13, v16
	s_wait_alu 0xfffd
	v_add_co_ci_u32_e64 v14, null, 0, v14, vcc_lo
	s_delay_alu instid0(VALU_DEP_2) | instskip(SKIP_2) | instid1(VALU_DEP_2)
	v_add_co_u32 v13, vcc_lo, v11, 0
	s_wait_dscnt 0x0
	s_wait_alu 0xfffd
	v_add_co_ci_u32_e64 v14, null, v14, v12, vcc_lo
.LBB1234_57:
	s_wait_alu 0xfffe
	s_or_b32 exec_lo, exec_lo, s4
	v_mov_b32_e32 v24, 0
	s_branch .LBB1234_60
.LBB1234_58:                            ;   in Loop: Header=BB1234_60 Depth=1
	s_wait_alu 0xfffe
	s_or_b32 exec_lo, exec_lo, s4
	v_add_co_u32 v13, vcc_lo, v13, v11
	v_subrev_nc_u32_e32 v23, 32, v23
	s_wait_alu 0xfffd
	v_add_co_ci_u32_e64 v14, null, v14, v12, vcc_lo
	s_mov_b32 s4, 0
.LBB1234_59:                            ;   in Loop: Header=BB1234_60 Depth=1
	s_wait_alu 0xfffe
	s_and_b32 vcc_lo, exec_lo, s4
	s_wait_alu 0xfffe
	s_cbranch_vccnz .LBB1234_76
.LBB1234_60:                            ; =>This Loop Header: Depth=1
                                        ;     Child Loop BB1234_63 Depth 2
	v_and_b32_e32 v11, 0xff, v15
	s_mov_b32 s4, -1
	s_delay_alu instid0(VALU_DEP_1)
	v_cmp_ne_u16_e32 vcc_lo, 2, v11
	s_wait_dscnt 0x0
	v_dual_mov_b32 v11, v13 :: v_dual_mov_b32 v12, v14
                                        ; implicit-def: $vgpr13_vgpr14
	s_cmp_lg_u32 vcc_lo, exec_lo
	s_cbranch_scc1 .LBB1234_59
; %bb.61:                               ;   in Loop: Header=BB1234_60 Depth=1
	v_lshlrev_b64_e32 v[13:14], 4, v[23:24]
	s_mov_b32 s4, exec_lo
	s_delay_alu instid0(VALU_DEP_1) | instskip(SKIP_1) | instid1(VALU_DEP_2)
	v_add_co_u32 v25, vcc_lo, s14, v13
	s_wait_alu 0xfffd
	v_add_co_ci_u32_e64 v26, null, s15, v14, vcc_lo
	;;#ASMSTART
	global_load_b128 v[13:16], v[25:26] off scope:SCOPE_DEV	
s_wait_loadcnt 0x0
	;;#ASMEND
	v_and_b32_e32 v16, 0xff, v15
	s_delay_alu instid0(VALU_DEP_1)
	v_cmpx_eq_u16_e32 0, v16
	s_cbranch_execz .LBB1234_65
; %bb.62:                               ;   in Loop: Header=BB1234_60 Depth=1
	s_mov_b32 s5, 0
.LBB1234_63:                            ;   Parent Loop BB1234_60 Depth=1
                                        ; =>  This Inner Loop Header: Depth=2
	;;#ASMSTART
	global_load_b128 v[13:16], v[25:26] off scope:SCOPE_DEV	
s_wait_loadcnt 0x0
	;;#ASMEND
	v_and_b32_e32 v16, 0xff, v15
	s_delay_alu instid0(VALU_DEP_1)
	v_cmp_ne_u16_e32 vcc_lo, 0, v16
	s_wait_alu 0xfffe
	s_or_b32 s5, vcc_lo, s5
	s_wait_alu 0xfffe
	s_and_not1_b32 exec_lo, exec_lo, s5
	s_cbranch_execnz .LBB1234_63
; %bb.64:                               ;   in Loop: Header=BB1234_60 Depth=1
	s_or_b32 exec_lo, exec_lo, s5
.LBB1234_65:                            ;   in Loop: Header=BB1234_60 Depth=1
	s_wait_alu 0xfffe
	s_or_b32 exec_lo, exec_lo, s4
	v_dual_mov_b32 v25, v13 :: v_dual_and_b32 v16, 0xff, v15
	ds_bpermute_b32 v47, v37, v13
	ds_bpermute_b32 v26, v37, v14
	s_mov_b32 s4, exec_lo
	v_cmp_eq_u16_e32 vcc_lo, 2, v16
	s_wait_alu 0xfffd
	v_and_or_b32 v16, vcc_lo, v38, 0x80000000
	s_delay_alu instid0(VALU_DEP_1) | instskip(NEXT) | instid1(VALU_DEP_1)
	v_ctz_i32_b32_e32 v16, v16
	v_cmpx_lt_u32_e64 v33, v16
	s_cbranch_execz .LBB1234_67
; %bb.66:                               ;   in Loop: Header=BB1234_60 Depth=1
	s_wait_dscnt 0x1
	v_add_co_u32 v25, vcc_lo, v13, v47
	s_wait_alu 0xfffd
	v_add_co_ci_u32_e64 v14, null, 0, v14, vcc_lo
	s_delay_alu instid0(VALU_DEP_2) | instskip(SKIP_2) | instid1(VALU_DEP_2)
	v_add_co_u32 v13, vcc_lo, 0, v25
	s_wait_dscnt 0x0
	s_wait_alu 0xfffd
	v_add_co_ci_u32_e64 v14, null, v26, v14, vcc_lo
.LBB1234_67:                            ;   in Loop: Header=BB1234_60 Depth=1
	s_wait_alu 0xfffe
	s_or_b32 exec_lo, exec_lo, s4
	s_wait_dscnt 0x1
	ds_bpermute_b32 v47, v39, v25
	s_wait_dscnt 0x1
	ds_bpermute_b32 v26, v39, v14
	s_mov_b32 s4, exec_lo
	v_cmpx_le_u32_e64 v40, v16
	s_cbranch_execz .LBB1234_69
; %bb.68:                               ;   in Loop: Header=BB1234_60 Depth=1
	s_wait_dscnt 0x1
	v_add_co_u32 v25, vcc_lo, v13, v47
	s_wait_alu 0xfffd
	v_add_co_ci_u32_e64 v14, null, 0, v14, vcc_lo
	s_delay_alu instid0(VALU_DEP_2) | instskip(SKIP_2) | instid1(VALU_DEP_2)
	v_add_co_u32 v13, vcc_lo, 0, v25
	s_wait_dscnt 0x0
	s_wait_alu 0xfffd
	v_add_co_ci_u32_e64 v14, null, v26, v14, vcc_lo
.LBB1234_69:                            ;   in Loop: Header=BB1234_60 Depth=1
	s_wait_alu 0xfffe
	s_or_b32 exec_lo, exec_lo, s4
	s_wait_dscnt 0x1
	ds_bpermute_b32 v47, v41, v25
	s_wait_dscnt 0x1
	ds_bpermute_b32 v26, v41, v14
	s_mov_b32 s4, exec_lo
	v_cmpx_le_u32_e64 v42, v16
	;; [unrolled: 20-line block ×3, first 2 shown]
	s_cbranch_execz .LBB1234_73
; %bb.72:                               ;   in Loop: Header=BB1234_60 Depth=1
	s_wait_dscnt 0x1
	v_add_co_u32 v25, vcc_lo, v13, v47
	s_wait_alu 0xfffd
	v_add_co_ci_u32_e64 v14, null, 0, v14, vcc_lo
	s_delay_alu instid0(VALU_DEP_2) | instskip(SKIP_2) | instid1(VALU_DEP_2)
	v_add_co_u32 v13, vcc_lo, 0, v25
	s_wait_dscnt 0x0
	s_wait_alu 0xfffd
	v_add_co_ci_u32_e64 v14, null, v26, v14, vcc_lo
.LBB1234_73:                            ;   in Loop: Header=BB1234_60 Depth=1
	s_wait_alu 0xfffe
	s_or_b32 exec_lo, exec_lo, s4
	s_wait_dscnt 0x0
	ds_bpermute_b32 v26, v45, v25
	ds_bpermute_b32 v25, v45, v14
	s_mov_b32 s4, exec_lo
	v_cmpx_le_u32_e64 v46, v16
	s_cbranch_execz .LBB1234_58
; %bb.74:                               ;   in Loop: Header=BB1234_60 Depth=1
	s_wait_dscnt 0x1
	v_add_co_u32 v13, vcc_lo, v13, v26
	s_wait_alu 0xfffd
	v_add_co_ci_u32_e64 v14, null, 0, v14, vcc_lo
	s_delay_alu instid0(VALU_DEP_2) | instskip(SKIP_2) | instid1(VALU_DEP_2)
	v_add_co_u32 v13, vcc_lo, v13, 0
	s_wait_dscnt 0x0
	s_wait_alu 0xfffd
	v_add_co_ci_u32_e64 v14, null, v14, v25, vcc_lo
	s_branch .LBB1234_58
.LBB1234_75:
                                        ; implicit-def: $vgpr15_vgpr16
                                        ; implicit-def: $vgpr13_vgpr14
                                        ; implicit-def: $vgpr21_vgpr22
                                        ; implicit-def: $vgpr23_vgpr24
                                        ; implicit-def: $vgpr11_vgpr12
	s_wait_alu 0xfffe
	s_and_b32 vcc_lo, exec_lo, s1
	s_wait_alu 0xfffe
	s_cbranch_vccnz .LBB1234_81
	s_branch .LBB1234_106
.LBB1234_76:
	s_and_saveexec_b32 s4, s1
	s_cbranch_execz .LBB1234_78
; %bb.77:
	s_add_co_i32 s16, s11, 32
	s_mov_b32 s17, 0
	v_add_co_u32 v13, vcc_lo, v11, v9
	s_wait_alu 0xfffe
	s_lshl_b64 s[16:17], s[16:17], 4
	v_dual_mov_b32 v15, 2 :: v_dual_mov_b32 v16, 0
	s_wait_alu 0xfffe
	s_add_nc_u64 s[16:17], s[14:15], s[16:17]
	s_wait_alu 0xfffd
	v_add_co_ci_u32_e64 v14, null, v12, v10, vcc_lo
	s_wait_alu 0xfffe
	v_dual_mov_b32 v24, s17 :: v_dual_mov_b32 v23, s16
	;;#ASMSTART
	global_store_b128 v[23:24], v[13:16] off scope:SCOPE_DEV	
s_wait_storecnt 0x0
	;;#ASMEND
	ds_store_b128 v16, v[9:12] offset:8448
.LBB1234_78:
	s_wait_alu 0xfffe
	s_or_b32 exec_lo, exec_lo, s4
	s_delay_alu instid0(SALU_CYCLE_1)
	s_and_b32 exec_lo, exec_lo, s2
; %bb.79:
	v_mov_b32_e32 v9, 0
	ds_store_b64 v9, v[11:12] offset:56
.LBB1234_80:
	s_wait_alu 0xfffe
	s_or_b32 exec_lo, exec_lo, s3
	v_mov_b32_e32 v9, 0
	s_wait_loadcnt_dscnt 0x0
	s_barrier_signal -1
	s_barrier_wait -1
	global_inv scope:SCOPE_SE
	ds_load_b64 v[13:14], v9 offset:56
	v_cndmask_b32_e64 v11, v35, v21, s1
	v_cndmask_b32_e64 v10, v36, v22, s1
	s_wait_loadcnt_dscnt 0x0
	s_barrier_signal -1
	s_barrier_wait -1
	v_cndmask_b32_e64 v16, v11, 0, s2
	v_cndmask_b32_e64 v15, v10, 0, s2
	global_inv scope:SCOPE_SE
	ds_load_b128 v[9:12], v9 offset:8448
	v_add_co_u32 v23, vcc_lo, v13, v16
	s_wait_alu 0xfffd
	v_add_co_ci_u32_e64 v24, null, v14, v15, vcc_lo
	s_delay_alu instid0(VALU_DEP_2) | instskip(SKIP_1) | instid1(VALU_DEP_2)
	v_add_co_u32 v21, vcc_lo, v23, v32
	s_wait_alu 0xfffd
	v_add_co_ci_u32_e64 v22, null, 0, v24, vcc_lo
	s_delay_alu instid0(VALU_DEP_2) | instskip(SKIP_1) | instid1(VALU_DEP_2)
	;; [unrolled: 4-line block ×3, first 2 shown]
	v_add_co_u32 v15, vcc_lo, v13, v30
	s_wait_alu 0xfffd
	v_add_co_ci_u32_e64 v16, null, 0, v14, vcc_lo
	s_branch .LBB1234_106
.LBB1234_81:
	s_wait_dscnt 0x0
	v_dual_mov_b32 v10, 0 :: v_dual_mov_b32 v11, v19
	v_mov_b32_dpp v12, v19 row_shr:1 row_mask:0xf bank_mask:0xf
	s_delay_alu instid0(VALU_DEP_2)
	v_mov_b32_dpp v9, v10 row_shr:1 row_mask:0xf bank_mask:0xf
	s_and_saveexec_b32 s1, s0
; %bb.82:
	s_delay_alu instid0(VALU_DEP_2) | instskip(SKIP_2) | instid1(VALU_DEP_2)
	v_add_co_u32 v11, vcc_lo, v19, v12
	s_wait_alu 0xfffd
	v_add_co_ci_u32_e64 v10, null, 0, v20, vcc_lo
	v_add_co_u32 v19, vcc_lo, 0, v11
	s_wait_alu 0xfffd
	s_delay_alu instid0(VALU_DEP_2) | instskip(NEXT) | instid1(VALU_DEP_1)
	v_add_co_ci_u32_e64 v20, null, v9, v10, vcc_lo
	v_mov_b32_e32 v10, v20
; %bb.83:
	s_wait_alu 0xfffe
	s_or_b32 exec_lo, exec_lo, s1
	v_mov_b32_dpp v9, v11 row_shr:2 row_mask:0xf bank_mask:0xf
	s_delay_alu instid0(VALU_DEP_2)
	v_mov_b32_dpp v12, v10 row_shr:2 row_mask:0xf bank_mask:0xf
	s_mov_b32 s0, exec_lo
	v_cmpx_lt_u32_e32 1, v34
; %bb.84:
	s_delay_alu instid0(VALU_DEP_3) | instskip(SKIP_2) | instid1(VALU_DEP_2)
	v_add_co_u32 v11, vcc_lo, v19, v9
	s_wait_alu 0xfffd
	v_add_co_ci_u32_e64 v10, null, 0, v20, vcc_lo
	v_add_co_u32 v9, vcc_lo, 0, v11
	s_wait_alu 0xfffd
	s_delay_alu instid0(VALU_DEP_2) | instskip(NEXT) | instid1(VALU_DEP_1)
	v_add_co_ci_u32_e64 v10, null, v12, v10, vcc_lo
	v_dual_mov_b32 v20, v10 :: v_dual_mov_b32 v19, v9
; %bb.85:
	s_wait_alu 0xfffe
	s_or_b32 exec_lo, exec_lo, s0
	v_mov_b32_dpp v9, v11 row_shr:4 row_mask:0xf bank_mask:0xf
	v_mov_b32_dpp v12, v10 row_shr:4 row_mask:0xf bank_mask:0xf
	s_mov_b32 s0, exec_lo
	v_cmpx_lt_u32_e32 3, v34
; %bb.86:
	s_delay_alu instid0(VALU_DEP_3) | instskip(SKIP_2) | instid1(VALU_DEP_2)
	v_add_co_u32 v11, vcc_lo, v19, v9
	s_wait_alu 0xfffd
	v_add_co_ci_u32_e64 v10, null, 0, v20, vcc_lo
	v_add_co_u32 v9, vcc_lo, 0, v11
	s_wait_alu 0xfffd
	s_delay_alu instid0(VALU_DEP_2) | instskip(NEXT) | instid1(VALU_DEP_1)
	v_add_co_ci_u32_e64 v10, null, v12, v10, vcc_lo
	v_dual_mov_b32 v20, v10 :: v_dual_mov_b32 v19, v9
; %bb.87:
	s_wait_alu 0xfffe
	s_or_b32 exec_lo, exec_lo, s0
	v_mov_b32_dpp v12, v11 row_shr:8 row_mask:0xf bank_mask:0xf
	v_mov_b32_dpp v9, v10 row_shr:8 row_mask:0xf bank_mask:0xf
	s_mov_b32 s0, exec_lo
	v_cmpx_lt_u32_e32 7, v34
; %bb.88:
	s_delay_alu instid0(VALU_DEP_3) | instskip(SKIP_2) | instid1(VALU_DEP_2)
	v_add_co_u32 v11, vcc_lo, v19, v12
	s_wait_alu 0xfffd
	v_add_co_ci_u32_e64 v10, null, 0, v20, vcc_lo
	v_add_co_u32 v19, vcc_lo, 0, v11
	s_wait_alu 0xfffd
	s_delay_alu instid0(VALU_DEP_2) | instskip(NEXT) | instid1(VALU_DEP_1)
	v_add_co_ci_u32_e64 v20, null, v9, v10, vcc_lo
	v_mov_b32_e32 v10, v20
; %bb.89:
	s_wait_alu 0xfffe
	s_or_b32 exec_lo, exec_lo, s0
	ds_swizzle_b32 v11, v11 offset:swizzle(BROADCAST,32,15)
	ds_swizzle_b32 v9, v10 offset:swizzle(BROADCAST,32,15)
	v_and_b32_e32 v10, 16, v33
	s_mov_b32 s0, exec_lo
	s_delay_alu instid0(VALU_DEP_1)
	v_cmpx_ne_u32_e32 0, v10
	s_cbranch_execz .LBB1234_91
; %bb.90:
	s_wait_dscnt 0x1
	v_add_co_u32 v10, vcc_lo, v19, v11
	s_wait_alu 0xfffd
	v_add_co_ci_u32_e64 v11, null, 0, v20, vcc_lo
	s_delay_alu instid0(VALU_DEP_2) | instskip(SKIP_2) | instid1(VALU_DEP_2)
	v_add_co_u32 v19, vcc_lo, v10, 0
	s_wait_dscnt 0x0
	s_wait_alu 0xfffd
	v_add_co_ci_u32_e64 v20, null, v11, v9, vcc_lo
.LBB1234_91:
	s_wait_alu 0xfffe
	s_or_b32 exec_lo, exec_lo, s0
	s_wait_dscnt 0x0
	v_or_b32_e32 v9, 31, v0
	v_lshrrev_b32_e32 v11, 5, v0
	s_mov_b32 s0, exec_lo
	s_delay_alu instid0(VALU_DEP_2)
	v_cmpx_eq_u32_e64 v0, v9
; %bb.92:
	s_delay_alu instid0(VALU_DEP_2)
	v_lshlrev_b32_e32 v9, 3, v11
	ds_store_b64 v9, v[19:20]
; %bb.93:
	s_wait_alu 0xfffe
	s_or_b32 exec_lo, exec_lo, s0
	s_delay_alu instid0(SALU_CYCLE_1)
	s_mov_b32 s0, exec_lo
	s_wait_loadcnt_dscnt 0x0
	s_barrier_signal -1
	s_barrier_wait -1
	global_inv scope:SCOPE_SE
	v_cmpx_gt_u32_e32 8, v0
	s_cbranch_execz .LBB1234_101
; %bb.94:
	v_lshlrev_b32_e32 v12, 3, v0
	s_mov_b32 s1, exec_lo
	ds_load_b64 v[9:10], v12
	s_wait_dscnt 0x0
	v_dual_mov_b32 v14, v9 :: v_dual_and_b32 v13, 7, v33
	v_mov_b32_dpp v16, v9 row_shr:1 row_mask:0xf bank_mask:0xf
	v_mov_b32_dpp v15, v10 row_shr:1 row_mask:0xf bank_mask:0xf
	s_delay_alu instid0(VALU_DEP_3)
	v_cmpx_ne_u32_e32 0, v13
; %bb.95:
	s_delay_alu instid0(VALU_DEP_3) | instskip(SKIP_2) | instid1(VALU_DEP_2)
	v_add_co_u32 v14, vcc_lo, v9, v16
	s_wait_alu 0xfffd
	v_add_co_ci_u32_e64 v10, null, 0, v10, vcc_lo
	v_add_co_u32 v9, vcc_lo, 0, v14
	s_wait_alu 0xfffd
	s_delay_alu instid0(VALU_DEP_2)
	v_add_co_ci_u32_e64 v10, null, v15, v10, vcc_lo
; %bb.96:
	s_wait_alu 0xfffe
	s_or_b32 exec_lo, exec_lo, s1
	v_mov_b32_dpp v16, v14 row_shr:2 row_mask:0xf bank_mask:0xf
	s_delay_alu instid0(VALU_DEP_2)
	v_mov_b32_dpp v15, v10 row_shr:2 row_mask:0xf bank_mask:0xf
	s_mov_b32 s1, exec_lo
	v_cmpx_lt_u32_e32 1, v13
; %bb.97:
	s_delay_alu instid0(VALU_DEP_3) | instskip(SKIP_2) | instid1(VALU_DEP_2)
	v_add_co_u32 v14, vcc_lo, v9, v16
	s_wait_alu 0xfffd
	v_add_co_ci_u32_e64 v10, null, 0, v10, vcc_lo
	v_add_co_u32 v9, vcc_lo, 0, v14
	s_wait_alu 0xfffd
	s_delay_alu instid0(VALU_DEP_2)
	v_add_co_ci_u32_e64 v10, null, v15, v10, vcc_lo
; %bb.98:
	s_wait_alu 0xfffe
	s_or_b32 exec_lo, exec_lo, s1
	v_mov_b32_dpp v15, v14 row_shr:4 row_mask:0xf bank_mask:0xf
	s_delay_alu instid0(VALU_DEP_2)
	v_mov_b32_dpp v14, v10 row_shr:4 row_mask:0xf bank_mask:0xf
	s_mov_b32 s1, exec_lo
	v_cmpx_lt_u32_e32 3, v13
; %bb.99:
	s_delay_alu instid0(VALU_DEP_3) | instskip(SKIP_2) | instid1(VALU_DEP_2)
	v_add_co_u32 v9, vcc_lo, v9, v15
	s_wait_alu 0xfffd
	v_add_co_ci_u32_e64 v10, null, 0, v10, vcc_lo
	v_add_co_u32 v9, vcc_lo, v9, 0
	s_wait_alu 0xfffd
	s_delay_alu instid0(VALU_DEP_2)
	v_add_co_ci_u32_e64 v10, null, v10, v14, vcc_lo
; %bb.100:
	s_wait_alu 0xfffe
	s_or_b32 exec_lo, exec_lo, s1
	ds_store_b64 v12, v[9:10]
.LBB1234_101:
	s_wait_alu 0xfffe
	s_or_b32 exec_lo, exec_lo, s0
	v_mov_b32_e32 v13, 0
	v_mov_b32_e32 v14, 0
	s_mov_b32 s0, exec_lo
	s_wait_loadcnt_dscnt 0x0
	s_barrier_signal -1
	s_barrier_wait -1
	global_inv scope:SCOPE_SE
	v_cmpx_lt_u32_e32 31, v0
; %bb.102:
	v_lshl_add_u32 v9, v11, 3, -8
	ds_load_b64 v[13:14], v9
; %bb.103:
	s_wait_alu 0xfffe
	s_or_b32 exec_lo, exec_lo, s0
	v_sub_co_u32 v9, vcc_lo, v33, 1
	v_mov_b32_e32 v12, 0
	s_delay_alu instid0(VALU_DEP_2) | instskip(SKIP_1) | instid1(VALU_DEP_1)
	v_cmp_gt_i32_e64 s0, 0, v9
	s_wait_alu 0xf1ff
	v_cndmask_b32_e64 v9, v9, v33, s0
	s_wait_dscnt 0x0
	v_add_co_u32 v10, s0, v13, v19
	s_wait_alu 0xf1ff
	v_add_co_ci_u32_e64 v11, null, v14, v20, s0
	v_lshlrev_b32_e32 v9, 2, v9
	ds_bpermute_b32 v15, v9, v10
	ds_bpermute_b32 v16, v9, v11
	ds_load_b64 v[9:10], v12 offset:56
	s_and_saveexec_b32 s0, s2
	s_cbranch_execz .LBB1234_105
; %bb.104:
	s_add_nc_u64 s[4:5], s[14:15], 0x200
	s_wait_alu 0xfffe
	v_dual_mov_b32 v11, 2 :: v_dual_mov_b32 v20, s5
	v_mov_b32_e32 v19, s4
	s_wait_dscnt 0x0
	;;#ASMSTART
	global_store_b128 v[19:20], v[9:12] off scope:SCOPE_DEV	
s_wait_storecnt 0x0
	;;#ASMEND
.LBB1234_105:
	s_wait_alu 0xfffe
	s_or_b32 exec_lo, exec_lo, s0
	s_wait_dscnt 0x1
	s_wait_alu 0xfffd
	v_dual_cndmask_b32 v11, v15, v13 :: v_dual_cndmask_b32 v12, v16, v14
	s_wait_loadcnt_dscnt 0x0
	s_barrier_signal -1
	s_barrier_wait -1
	s_delay_alu instid0(VALU_DEP_1)
	v_cndmask_b32_e64 v23, v11, 0, s2
	v_cndmask_b32_e64 v24, v12, 0, s2
	v_mov_b32_e32 v11, 0
	v_mov_b32_e32 v12, 0
	global_inv scope:SCOPE_SE
	v_add_co_u32 v21, vcc_lo, v23, v32
	s_wait_alu 0xfffd
	v_add_co_ci_u32_e64 v22, null, 0, v24, vcc_lo
	s_delay_alu instid0(VALU_DEP_2) | instskip(SKIP_1) | instid1(VALU_DEP_2)
	v_add_co_u32 v13, vcc_lo, v21, v31
	s_wait_alu 0xfffd
	v_add_co_ci_u32_e64 v14, null, 0, v22, vcc_lo
	s_delay_alu instid0(VALU_DEP_2) | instskip(SKIP_1) | instid1(VALU_DEP_2)
	v_add_co_u32 v15, vcc_lo, v13, v30
	s_wait_alu 0xfffd
	v_add_co_ci_u32_e64 v16, null, 0, v14, vcc_lo
.LBB1234_106:
	v_and_b32_e32 v25, 1, v29
	s_wait_dscnt 0x0
	v_cmp_gt_u64_e32 vcc_lo, 0x101, v[9:10]
	s_mov_b32 s1, -1
	s_delay_alu instid0(VALU_DEP_2)
	v_cmp_eq_u32_e64 s0, 1, v25
	s_cbranch_vccnz .LBB1234_110
; %bb.107:
	s_wait_alu 0xfffe
	s_and_b32 vcc_lo, exec_lo, s1
	s_wait_alu 0xfffe
	s_cbranch_vccnz .LBB1234_119
.LBB1234_108:
	s_and_b32 s0, s2, s6
	s_wait_alu 0xfffe
	s_and_saveexec_b32 s1, s0
	s_cbranch_execnz .LBB1234_131
.LBB1234_109:
	s_endpgm
.LBB1234_110:
	v_add_co_u32 v19, vcc_lo, v11, v9
	s_wait_alu 0xfffd
	v_add_co_ci_u32_e64 v20, null, v12, v10, vcc_lo
	v_lshlrev_b64_e32 v[29:30], 3, v[17:18]
	s_delay_alu instid0(VALU_DEP_2) | instskip(NEXT) | instid1(VALU_DEP_2)
	v_cmp_lt_u64_e32 vcc_lo, v[23:24], v[19:20]
	v_add_co_u32 v26, s1, s12, v29
	s_wait_alu 0xf1fe
	s_delay_alu instid0(VALU_DEP_3)
	v_add_co_ci_u32_e64 v29, null, s13, v30, s1
	s_or_b32 s1, s7, vcc_lo
	s_wait_alu 0xfffe
	s_and_b32 s1, s1, s0
	s_wait_alu 0xfffe
	s_and_saveexec_b32 s0, s1
	s_cbranch_execz .LBB1234_112
; %bb.111:
	v_lshlrev_b64_e32 v[30:31], 3, v[23:24]
	s_delay_alu instid0(VALU_DEP_1) | instskip(SKIP_1) | instid1(VALU_DEP_2)
	v_add_co_u32 v30, vcc_lo, v26, v30
	s_wait_alu 0xfffd
	v_add_co_ci_u32_e64 v31, null, v29, v31, vcc_lo
	global_store_b64 v[30:31], v[1:2], off
.LBB1234_112:
	s_wait_alu 0xfffe
	s_or_b32 exec_lo, exec_lo, s0
	v_and_b32_e32 v24, 1, v28
	v_cmp_lt_u64_e32 vcc_lo, v[21:22], v[19:20]
	s_delay_alu instid0(VALU_DEP_2)
	v_cmp_eq_u32_e64 s0, 1, v24
	s_or_b32 s1, s7, vcc_lo
	s_wait_alu 0xfffe
	s_and_b32 s1, s1, s0
	s_wait_alu 0xfffe
	s_and_saveexec_b32 s0, s1
	s_cbranch_execz .LBB1234_114
; %bb.113:
	v_lshlrev_b64_e32 v[30:31], 3, v[21:22]
	s_delay_alu instid0(VALU_DEP_1) | instskip(SKIP_1) | instid1(VALU_DEP_2)
	v_add_co_u32 v30, vcc_lo, v26, v30
	s_wait_alu 0xfffd
	v_add_co_ci_u32_e64 v31, null, v29, v31, vcc_lo
	global_store_b64 v[30:31], v[5:6], off
.LBB1234_114:
	s_wait_alu 0xfffe
	s_or_b32 exec_lo, exec_lo, s0
	v_and_b32_e32 v22, 1, v27
	v_cmp_lt_u64_e32 vcc_lo, v[13:14], v[19:20]
	s_delay_alu instid0(VALU_DEP_2)
	v_cmp_eq_u32_e64 s0, 1, v22
	s_or_b32 s1, s7, vcc_lo
	s_wait_alu 0xfffe
	s_and_b32 s1, s1, s0
	s_wait_alu 0xfffe
	s_and_saveexec_b32 s0, s1
	s_cbranch_execz .LBB1234_116
; %bb.115:
	v_lshlrev_b64_e32 v[30:31], 3, v[13:14]
	s_delay_alu instid0(VALU_DEP_1) | instskip(SKIP_1) | instid1(VALU_DEP_2)
	v_add_co_u32 v30, vcc_lo, v26, v30
	s_wait_alu 0xfffd
	v_add_co_ci_u32_e64 v31, null, v29, v31, vcc_lo
	global_store_b64 v[30:31], v[7:8], off
.LBB1234_116:
	s_wait_alu 0xfffe
	s_or_b32 exec_lo, exec_lo, s0
	v_cmp_lt_u64_e32 vcc_lo, v[15:16], v[19:20]
	s_or_b32 s0, s7, vcc_lo
	s_wait_alu 0xfffe
	s_and_b32 s1, s0, s10
	s_wait_alu 0xfffe
	s_and_saveexec_b32 s0, s1
	s_cbranch_execz .LBB1234_118
; %bb.117:
	v_lshlrev_b64_e32 v[19:20], 3, v[15:16]
	s_delay_alu instid0(VALU_DEP_1) | instskip(SKIP_1) | instid1(VALU_DEP_2)
	v_add_co_u32 v19, vcc_lo, v26, v19
	s_wait_alu 0xfffd
	v_add_co_ci_u32_e64 v20, null, v29, v20, vcc_lo
	global_store_b64 v[19:20], v[3:4], off
.LBB1234_118:
	s_wait_alu 0xfffe
	s_or_b32 exec_lo, exec_lo, s0
	s_branch .LBB1234_108
.LBB1234_119:
	s_mov_b32 s0, exec_lo
	v_cmpx_eq_u32_e32 1, v25
; %bb.120:
	v_sub_nc_u32_e32 v14, v23, v11
	s_delay_alu instid0(VALU_DEP_1)
	v_lshlrev_b32_e32 v14, 3, v14
	ds_store_b64 v14, v[1:2]
; %bb.121:
	s_wait_alu 0xfffe
	s_or_b32 exec_lo, exec_lo, s0
	v_and_b32_e32 v1, 1, v28
	s_mov_b32 s0, exec_lo
	s_delay_alu instid0(VALU_DEP_1)
	v_cmpx_eq_u32_e32 1, v1
; %bb.122:
	v_sub_nc_u32_e32 v1, v21, v11
	s_delay_alu instid0(VALU_DEP_1)
	v_lshlrev_b32_e32 v1, 3, v1
	ds_store_b64 v1, v[5:6]
; %bb.123:
	s_wait_alu 0xfffe
	s_or_b32 exec_lo, exec_lo, s0
	v_and_b32_e32 v1, 1, v27
	s_mov_b32 s0, exec_lo
	s_delay_alu instid0(VALU_DEP_1)
	v_cmpx_eq_u32_e32 1, v1
; %bb.124:
	v_sub_nc_u32_e32 v1, v13, v11
	s_delay_alu instid0(VALU_DEP_1)
	v_lshlrev_b32_e32 v1, 3, v1
	ds_store_b64 v1, v[7:8]
; %bb.125:
	s_wait_alu 0xfffe
	s_or_b32 exec_lo, exec_lo, s0
	s_and_saveexec_b32 s0, s10
; %bb.126:
	v_sub_nc_u32_e32 v1, v15, v11
	s_delay_alu instid0(VALU_DEP_1)
	v_lshlrev_b32_e32 v1, 3, v1
	ds_store_b64 v1, v[3:4]
; %bb.127:
	s_wait_alu 0xfffe
	s_or_b32 exec_lo, exec_lo, s0
	v_mov_b32_e32 v1, 0
	s_mov_b32 s1, exec_lo
	s_wait_storecnt 0x0
	s_wait_loadcnt_dscnt 0x0
	s_barrier_signal -1
	s_barrier_wait -1
	global_inv scope:SCOPE_SE
	v_cmpx_gt_u64_e64 v[9:10], v[0:1]
	s_cbranch_execz .LBB1234_130
; %bb.128:
	v_lshlrev_b64_e32 v[2:3], 3, v[17:18]
	v_lshlrev_b64_e32 v[4:5], 3, v[11:12]
	s_mov_b32 s3, 0
	s_delay_alu instid0(VALU_DEP_2) | instskip(SKIP_1) | instid1(VALU_DEP_3)
	v_add_co_u32 v6, vcc_lo, s12, v2
	s_wait_alu 0xfffd
	v_add_co_ci_u32_e64 v7, null, s13, v3, vcc_lo
	v_dual_mov_b32 v3, v1 :: v_dual_mov_b32 v2, v0
	s_delay_alu instid0(VALU_DEP_3) | instskip(SKIP_1) | instid1(VALU_DEP_3)
	v_add_co_u32 v4, vcc_lo, v6, v4
	s_wait_alu 0xfffd
	v_add_co_ci_u32_e64 v5, null, v7, v5, vcc_lo
	v_or_b32_e32 v0, 0x100, v0
.LBB1234_129:                           ; =>This Inner Loop Header: Depth=1
	v_lshlrev_b32_e32 v6, 3, v2
	v_lshlrev_b64_e32 v[13:14], 3, v[2:3]
	v_mov_b32_e32 v3, v1
	s_delay_alu instid0(VALU_DEP_4)
	v_cmp_le_u64_e32 vcc_lo, v[9:10], v[0:1]
	v_mov_b32_e32 v2, v0
	ds_load_b64 v[6:7], v6
	v_add_nc_u32_e32 v0, 0x100, v0
	v_add_co_u32 v13, s0, v4, v13
	s_wait_alu 0xf1ff
	v_add_co_ci_u32_e64 v14, null, v5, v14, s0
	s_wait_alu 0xfffe
	s_or_b32 s3, vcc_lo, s3
	s_wait_dscnt 0x0
	global_store_b64 v[13:14], v[6:7], off
	s_wait_alu 0xfffe
	s_and_not1_b32 exec_lo, exec_lo, s3
	s_cbranch_execnz .LBB1234_129
.LBB1234_130:
	s_wait_alu 0xfffe
	s_or_b32 exec_lo, exec_lo, s1
	s_and_b32 s0, s2, s6
	s_wait_alu 0xfffe
	s_and_saveexec_b32 s1, s0
	s_cbranch_execz .LBB1234_109
.LBB1234_131:
	v_add_co_u32 v0, vcc_lo, v11, v9
	s_wait_alu 0xfffd
	v_add_co_ci_u32_e64 v1, null, v12, v10, vcc_lo
	v_mov_b32_e32 v2, 0
	s_delay_alu instid0(VALU_DEP_3) | instskip(SKIP_1) | instid1(VALU_DEP_3)
	v_add_co_u32 v0, vcc_lo, v0, v17
	s_wait_alu 0xfffd
	v_add_co_ci_u32_e64 v1, null, v1, v18, vcc_lo
	global_store_b64 v2, v[0:1], s[8:9]
	s_endpgm
.LBB1234_132:
	v_lshlrev_b32_e32 v3, 3, v0
	s_delay_alu instid0(VALU_DEP_1) | instskip(SKIP_4) | instid1(SALU_CYCLE_1)
	v_add_co_u32 v3, vcc_lo, v12, v3
	s_wait_alu 0xfffd
	v_add_co_ci_u32_e64 v4, null, 0, v13, vcc_lo
	flat_load_b64 v[3:4], v[3:4] offset:2048
	s_or_b32 exec_lo, exec_lo, s0
	s_mov_b32 s0, exec_lo
	v_cmpx_gt_u32_e64 s16, v11
	s_cbranch_execz .LBB1234_11
.LBB1234_133:
	v_lshlrev_b32_e32 v5, 3, v0
	s_delay_alu instid0(VALU_DEP_1) | instskip(SKIP_4) | instid1(SALU_CYCLE_1)
	v_add_co_u32 v5, vcc_lo, v12, v5
	s_wait_alu 0xfffd
	v_add_co_ci_u32_e64 v6, null, 0, v13, vcc_lo
	flat_load_b64 v[5:6], v[5:6] offset:4096
	s_or_b32 exec_lo, exec_lo, s0
	s_mov_b32 s0, exec_lo
	v_cmpx_gt_u32_e64 s16, v10
	s_cbranch_execnz .LBB1234_12
	s_branch .LBB1234_13
	.section	.rodata,"a",@progbits
	.p2align	6, 0x0
	.amdhsa_kernel _ZN7rocprim17ROCPRIM_400000_NS6detail17trampoline_kernelINS0_14default_configENS1_25partition_config_selectorILNS1_17partition_subalgoE6ExNS0_10empty_typeEbEEZZNS1_14partition_implILS5_6ELb0ES3_mN6thrust23THRUST_200600_302600_NS6detail15normal_iteratorINSA_10device_ptrIxEEEEPS6_SG_NS0_5tupleIJSF_S6_EEENSH_IJSG_SG_EEES6_PlJNSB_9not_fun_tI7is_trueIxEEEEEE10hipError_tPvRmT3_T4_T5_T6_T7_T9_mT8_P12ihipStream_tbDpT10_ENKUlT_T0_E_clISt17integral_constantIbLb0EES17_IbLb1EEEEDaS13_S14_EUlS13_E_NS1_11comp_targetILNS1_3genE10ELNS1_11target_archE1200ELNS1_3gpuE4ELNS1_3repE0EEENS1_30default_config_static_selectorELNS0_4arch9wavefront6targetE0EEEvT1_
		.amdhsa_group_segment_fixed_size 8464
		.amdhsa_private_segment_fixed_size 0
		.amdhsa_kernarg_size 128
		.amdhsa_user_sgpr_count 2
		.amdhsa_user_sgpr_dispatch_ptr 0
		.amdhsa_user_sgpr_queue_ptr 0
		.amdhsa_user_sgpr_kernarg_segment_ptr 1
		.amdhsa_user_sgpr_dispatch_id 0
		.amdhsa_user_sgpr_private_segment_size 0
		.amdhsa_wavefront_size32 1
		.amdhsa_uses_dynamic_stack 0
		.amdhsa_enable_private_segment 0
		.amdhsa_system_sgpr_workgroup_id_x 1
		.amdhsa_system_sgpr_workgroup_id_y 0
		.amdhsa_system_sgpr_workgroup_id_z 0
		.amdhsa_system_sgpr_workgroup_info 0
		.amdhsa_system_vgpr_workitem_id 0
		.amdhsa_next_free_vgpr 48
		.amdhsa_next_free_sgpr 22
		.amdhsa_reserve_vcc 1
		.amdhsa_float_round_mode_32 0
		.amdhsa_float_round_mode_16_64 0
		.amdhsa_float_denorm_mode_32 3
		.amdhsa_float_denorm_mode_16_64 3
		.amdhsa_fp16_overflow 0
		.amdhsa_workgroup_processor_mode 1
		.amdhsa_memory_ordered 1
		.amdhsa_forward_progress 1
		.amdhsa_inst_pref_size 52
		.amdhsa_round_robin_scheduling 0
		.amdhsa_exception_fp_ieee_invalid_op 0
		.amdhsa_exception_fp_denorm_src 0
		.amdhsa_exception_fp_ieee_div_zero 0
		.amdhsa_exception_fp_ieee_overflow 0
		.amdhsa_exception_fp_ieee_underflow 0
		.amdhsa_exception_fp_ieee_inexact 0
		.amdhsa_exception_int_div_zero 0
	.end_amdhsa_kernel
	.section	.text._ZN7rocprim17ROCPRIM_400000_NS6detail17trampoline_kernelINS0_14default_configENS1_25partition_config_selectorILNS1_17partition_subalgoE6ExNS0_10empty_typeEbEEZZNS1_14partition_implILS5_6ELb0ES3_mN6thrust23THRUST_200600_302600_NS6detail15normal_iteratorINSA_10device_ptrIxEEEEPS6_SG_NS0_5tupleIJSF_S6_EEENSH_IJSG_SG_EEES6_PlJNSB_9not_fun_tI7is_trueIxEEEEEE10hipError_tPvRmT3_T4_T5_T6_T7_T9_mT8_P12ihipStream_tbDpT10_ENKUlT_T0_E_clISt17integral_constantIbLb0EES17_IbLb1EEEEDaS13_S14_EUlS13_E_NS1_11comp_targetILNS1_3genE10ELNS1_11target_archE1200ELNS1_3gpuE4ELNS1_3repE0EEENS1_30default_config_static_selectorELNS0_4arch9wavefront6targetE0EEEvT1_,"axG",@progbits,_ZN7rocprim17ROCPRIM_400000_NS6detail17trampoline_kernelINS0_14default_configENS1_25partition_config_selectorILNS1_17partition_subalgoE6ExNS0_10empty_typeEbEEZZNS1_14partition_implILS5_6ELb0ES3_mN6thrust23THRUST_200600_302600_NS6detail15normal_iteratorINSA_10device_ptrIxEEEEPS6_SG_NS0_5tupleIJSF_S6_EEENSH_IJSG_SG_EEES6_PlJNSB_9not_fun_tI7is_trueIxEEEEEE10hipError_tPvRmT3_T4_T5_T6_T7_T9_mT8_P12ihipStream_tbDpT10_ENKUlT_T0_E_clISt17integral_constantIbLb0EES17_IbLb1EEEEDaS13_S14_EUlS13_E_NS1_11comp_targetILNS1_3genE10ELNS1_11target_archE1200ELNS1_3gpuE4ELNS1_3repE0EEENS1_30default_config_static_selectorELNS0_4arch9wavefront6targetE0EEEvT1_,comdat
.Lfunc_end1234:
	.size	_ZN7rocprim17ROCPRIM_400000_NS6detail17trampoline_kernelINS0_14default_configENS1_25partition_config_selectorILNS1_17partition_subalgoE6ExNS0_10empty_typeEbEEZZNS1_14partition_implILS5_6ELb0ES3_mN6thrust23THRUST_200600_302600_NS6detail15normal_iteratorINSA_10device_ptrIxEEEEPS6_SG_NS0_5tupleIJSF_S6_EEENSH_IJSG_SG_EEES6_PlJNSB_9not_fun_tI7is_trueIxEEEEEE10hipError_tPvRmT3_T4_T5_T6_T7_T9_mT8_P12ihipStream_tbDpT10_ENKUlT_T0_E_clISt17integral_constantIbLb0EES17_IbLb1EEEEDaS13_S14_EUlS13_E_NS1_11comp_targetILNS1_3genE10ELNS1_11target_archE1200ELNS1_3gpuE4ELNS1_3repE0EEENS1_30default_config_static_selectorELNS0_4arch9wavefront6targetE0EEEvT1_, .Lfunc_end1234-_ZN7rocprim17ROCPRIM_400000_NS6detail17trampoline_kernelINS0_14default_configENS1_25partition_config_selectorILNS1_17partition_subalgoE6ExNS0_10empty_typeEbEEZZNS1_14partition_implILS5_6ELb0ES3_mN6thrust23THRUST_200600_302600_NS6detail15normal_iteratorINSA_10device_ptrIxEEEEPS6_SG_NS0_5tupleIJSF_S6_EEENSH_IJSG_SG_EEES6_PlJNSB_9not_fun_tI7is_trueIxEEEEEE10hipError_tPvRmT3_T4_T5_T6_T7_T9_mT8_P12ihipStream_tbDpT10_ENKUlT_T0_E_clISt17integral_constantIbLb0EES17_IbLb1EEEEDaS13_S14_EUlS13_E_NS1_11comp_targetILNS1_3genE10ELNS1_11target_archE1200ELNS1_3gpuE4ELNS1_3repE0EEENS1_30default_config_static_selectorELNS0_4arch9wavefront6targetE0EEEvT1_
                                        ; -- End function
	.set _ZN7rocprim17ROCPRIM_400000_NS6detail17trampoline_kernelINS0_14default_configENS1_25partition_config_selectorILNS1_17partition_subalgoE6ExNS0_10empty_typeEbEEZZNS1_14partition_implILS5_6ELb0ES3_mN6thrust23THRUST_200600_302600_NS6detail15normal_iteratorINSA_10device_ptrIxEEEEPS6_SG_NS0_5tupleIJSF_S6_EEENSH_IJSG_SG_EEES6_PlJNSB_9not_fun_tI7is_trueIxEEEEEE10hipError_tPvRmT3_T4_T5_T6_T7_T9_mT8_P12ihipStream_tbDpT10_ENKUlT_T0_E_clISt17integral_constantIbLb0EES17_IbLb1EEEEDaS13_S14_EUlS13_E_NS1_11comp_targetILNS1_3genE10ELNS1_11target_archE1200ELNS1_3gpuE4ELNS1_3repE0EEENS1_30default_config_static_selectorELNS0_4arch9wavefront6targetE0EEEvT1_.num_vgpr, 48
	.set _ZN7rocprim17ROCPRIM_400000_NS6detail17trampoline_kernelINS0_14default_configENS1_25partition_config_selectorILNS1_17partition_subalgoE6ExNS0_10empty_typeEbEEZZNS1_14partition_implILS5_6ELb0ES3_mN6thrust23THRUST_200600_302600_NS6detail15normal_iteratorINSA_10device_ptrIxEEEEPS6_SG_NS0_5tupleIJSF_S6_EEENSH_IJSG_SG_EEES6_PlJNSB_9not_fun_tI7is_trueIxEEEEEE10hipError_tPvRmT3_T4_T5_T6_T7_T9_mT8_P12ihipStream_tbDpT10_ENKUlT_T0_E_clISt17integral_constantIbLb0EES17_IbLb1EEEEDaS13_S14_EUlS13_E_NS1_11comp_targetILNS1_3genE10ELNS1_11target_archE1200ELNS1_3gpuE4ELNS1_3repE0EEENS1_30default_config_static_selectorELNS0_4arch9wavefront6targetE0EEEvT1_.num_agpr, 0
	.set _ZN7rocprim17ROCPRIM_400000_NS6detail17trampoline_kernelINS0_14default_configENS1_25partition_config_selectorILNS1_17partition_subalgoE6ExNS0_10empty_typeEbEEZZNS1_14partition_implILS5_6ELb0ES3_mN6thrust23THRUST_200600_302600_NS6detail15normal_iteratorINSA_10device_ptrIxEEEEPS6_SG_NS0_5tupleIJSF_S6_EEENSH_IJSG_SG_EEES6_PlJNSB_9not_fun_tI7is_trueIxEEEEEE10hipError_tPvRmT3_T4_T5_T6_T7_T9_mT8_P12ihipStream_tbDpT10_ENKUlT_T0_E_clISt17integral_constantIbLb0EES17_IbLb1EEEEDaS13_S14_EUlS13_E_NS1_11comp_targetILNS1_3genE10ELNS1_11target_archE1200ELNS1_3gpuE4ELNS1_3repE0EEENS1_30default_config_static_selectorELNS0_4arch9wavefront6targetE0EEEvT1_.numbered_sgpr, 22
	.set _ZN7rocprim17ROCPRIM_400000_NS6detail17trampoline_kernelINS0_14default_configENS1_25partition_config_selectorILNS1_17partition_subalgoE6ExNS0_10empty_typeEbEEZZNS1_14partition_implILS5_6ELb0ES3_mN6thrust23THRUST_200600_302600_NS6detail15normal_iteratorINSA_10device_ptrIxEEEEPS6_SG_NS0_5tupleIJSF_S6_EEENSH_IJSG_SG_EEES6_PlJNSB_9not_fun_tI7is_trueIxEEEEEE10hipError_tPvRmT3_T4_T5_T6_T7_T9_mT8_P12ihipStream_tbDpT10_ENKUlT_T0_E_clISt17integral_constantIbLb0EES17_IbLb1EEEEDaS13_S14_EUlS13_E_NS1_11comp_targetILNS1_3genE10ELNS1_11target_archE1200ELNS1_3gpuE4ELNS1_3repE0EEENS1_30default_config_static_selectorELNS0_4arch9wavefront6targetE0EEEvT1_.num_named_barrier, 0
	.set _ZN7rocprim17ROCPRIM_400000_NS6detail17trampoline_kernelINS0_14default_configENS1_25partition_config_selectorILNS1_17partition_subalgoE6ExNS0_10empty_typeEbEEZZNS1_14partition_implILS5_6ELb0ES3_mN6thrust23THRUST_200600_302600_NS6detail15normal_iteratorINSA_10device_ptrIxEEEEPS6_SG_NS0_5tupleIJSF_S6_EEENSH_IJSG_SG_EEES6_PlJNSB_9not_fun_tI7is_trueIxEEEEEE10hipError_tPvRmT3_T4_T5_T6_T7_T9_mT8_P12ihipStream_tbDpT10_ENKUlT_T0_E_clISt17integral_constantIbLb0EES17_IbLb1EEEEDaS13_S14_EUlS13_E_NS1_11comp_targetILNS1_3genE10ELNS1_11target_archE1200ELNS1_3gpuE4ELNS1_3repE0EEENS1_30default_config_static_selectorELNS0_4arch9wavefront6targetE0EEEvT1_.private_seg_size, 0
	.set _ZN7rocprim17ROCPRIM_400000_NS6detail17trampoline_kernelINS0_14default_configENS1_25partition_config_selectorILNS1_17partition_subalgoE6ExNS0_10empty_typeEbEEZZNS1_14partition_implILS5_6ELb0ES3_mN6thrust23THRUST_200600_302600_NS6detail15normal_iteratorINSA_10device_ptrIxEEEEPS6_SG_NS0_5tupleIJSF_S6_EEENSH_IJSG_SG_EEES6_PlJNSB_9not_fun_tI7is_trueIxEEEEEE10hipError_tPvRmT3_T4_T5_T6_T7_T9_mT8_P12ihipStream_tbDpT10_ENKUlT_T0_E_clISt17integral_constantIbLb0EES17_IbLb1EEEEDaS13_S14_EUlS13_E_NS1_11comp_targetILNS1_3genE10ELNS1_11target_archE1200ELNS1_3gpuE4ELNS1_3repE0EEENS1_30default_config_static_selectorELNS0_4arch9wavefront6targetE0EEEvT1_.uses_vcc, 1
	.set _ZN7rocprim17ROCPRIM_400000_NS6detail17trampoline_kernelINS0_14default_configENS1_25partition_config_selectorILNS1_17partition_subalgoE6ExNS0_10empty_typeEbEEZZNS1_14partition_implILS5_6ELb0ES3_mN6thrust23THRUST_200600_302600_NS6detail15normal_iteratorINSA_10device_ptrIxEEEEPS6_SG_NS0_5tupleIJSF_S6_EEENSH_IJSG_SG_EEES6_PlJNSB_9not_fun_tI7is_trueIxEEEEEE10hipError_tPvRmT3_T4_T5_T6_T7_T9_mT8_P12ihipStream_tbDpT10_ENKUlT_T0_E_clISt17integral_constantIbLb0EES17_IbLb1EEEEDaS13_S14_EUlS13_E_NS1_11comp_targetILNS1_3genE10ELNS1_11target_archE1200ELNS1_3gpuE4ELNS1_3repE0EEENS1_30default_config_static_selectorELNS0_4arch9wavefront6targetE0EEEvT1_.uses_flat_scratch, 1
	.set _ZN7rocprim17ROCPRIM_400000_NS6detail17trampoline_kernelINS0_14default_configENS1_25partition_config_selectorILNS1_17partition_subalgoE6ExNS0_10empty_typeEbEEZZNS1_14partition_implILS5_6ELb0ES3_mN6thrust23THRUST_200600_302600_NS6detail15normal_iteratorINSA_10device_ptrIxEEEEPS6_SG_NS0_5tupleIJSF_S6_EEENSH_IJSG_SG_EEES6_PlJNSB_9not_fun_tI7is_trueIxEEEEEE10hipError_tPvRmT3_T4_T5_T6_T7_T9_mT8_P12ihipStream_tbDpT10_ENKUlT_T0_E_clISt17integral_constantIbLb0EES17_IbLb1EEEEDaS13_S14_EUlS13_E_NS1_11comp_targetILNS1_3genE10ELNS1_11target_archE1200ELNS1_3gpuE4ELNS1_3repE0EEENS1_30default_config_static_selectorELNS0_4arch9wavefront6targetE0EEEvT1_.has_dyn_sized_stack, 0
	.set _ZN7rocprim17ROCPRIM_400000_NS6detail17trampoline_kernelINS0_14default_configENS1_25partition_config_selectorILNS1_17partition_subalgoE6ExNS0_10empty_typeEbEEZZNS1_14partition_implILS5_6ELb0ES3_mN6thrust23THRUST_200600_302600_NS6detail15normal_iteratorINSA_10device_ptrIxEEEEPS6_SG_NS0_5tupleIJSF_S6_EEENSH_IJSG_SG_EEES6_PlJNSB_9not_fun_tI7is_trueIxEEEEEE10hipError_tPvRmT3_T4_T5_T6_T7_T9_mT8_P12ihipStream_tbDpT10_ENKUlT_T0_E_clISt17integral_constantIbLb0EES17_IbLb1EEEEDaS13_S14_EUlS13_E_NS1_11comp_targetILNS1_3genE10ELNS1_11target_archE1200ELNS1_3gpuE4ELNS1_3repE0EEENS1_30default_config_static_selectorELNS0_4arch9wavefront6targetE0EEEvT1_.has_recursion, 0
	.set _ZN7rocprim17ROCPRIM_400000_NS6detail17trampoline_kernelINS0_14default_configENS1_25partition_config_selectorILNS1_17partition_subalgoE6ExNS0_10empty_typeEbEEZZNS1_14partition_implILS5_6ELb0ES3_mN6thrust23THRUST_200600_302600_NS6detail15normal_iteratorINSA_10device_ptrIxEEEEPS6_SG_NS0_5tupleIJSF_S6_EEENSH_IJSG_SG_EEES6_PlJNSB_9not_fun_tI7is_trueIxEEEEEE10hipError_tPvRmT3_T4_T5_T6_T7_T9_mT8_P12ihipStream_tbDpT10_ENKUlT_T0_E_clISt17integral_constantIbLb0EES17_IbLb1EEEEDaS13_S14_EUlS13_E_NS1_11comp_targetILNS1_3genE10ELNS1_11target_archE1200ELNS1_3gpuE4ELNS1_3repE0EEENS1_30default_config_static_selectorELNS0_4arch9wavefront6targetE0EEEvT1_.has_indirect_call, 0
	.section	.AMDGPU.csdata,"",@progbits
; Kernel info:
; codeLenInByte = 6572
; TotalNumSgprs: 24
; NumVgprs: 48
; ScratchSize: 0
; MemoryBound: 0
; FloatMode: 240
; IeeeMode: 1
; LDSByteSize: 8464 bytes/workgroup (compile time only)
; SGPRBlocks: 0
; VGPRBlocks: 5
; NumSGPRsForWavesPerEU: 24
; NumVGPRsForWavesPerEU: 48
; Occupancy: 16
; WaveLimiterHint : 1
; COMPUTE_PGM_RSRC2:SCRATCH_EN: 0
; COMPUTE_PGM_RSRC2:USER_SGPR: 2
; COMPUTE_PGM_RSRC2:TRAP_HANDLER: 0
; COMPUTE_PGM_RSRC2:TGID_X_EN: 1
; COMPUTE_PGM_RSRC2:TGID_Y_EN: 0
; COMPUTE_PGM_RSRC2:TGID_Z_EN: 0
; COMPUTE_PGM_RSRC2:TIDIG_COMP_CNT: 0
	.section	.text._ZN7rocprim17ROCPRIM_400000_NS6detail17trampoline_kernelINS0_14default_configENS1_25partition_config_selectorILNS1_17partition_subalgoE6ExNS0_10empty_typeEbEEZZNS1_14partition_implILS5_6ELb0ES3_mN6thrust23THRUST_200600_302600_NS6detail15normal_iteratorINSA_10device_ptrIxEEEEPS6_SG_NS0_5tupleIJSF_S6_EEENSH_IJSG_SG_EEES6_PlJNSB_9not_fun_tI7is_trueIxEEEEEE10hipError_tPvRmT3_T4_T5_T6_T7_T9_mT8_P12ihipStream_tbDpT10_ENKUlT_T0_E_clISt17integral_constantIbLb0EES17_IbLb1EEEEDaS13_S14_EUlS13_E_NS1_11comp_targetILNS1_3genE9ELNS1_11target_archE1100ELNS1_3gpuE3ELNS1_3repE0EEENS1_30default_config_static_selectorELNS0_4arch9wavefront6targetE0EEEvT1_,"axG",@progbits,_ZN7rocprim17ROCPRIM_400000_NS6detail17trampoline_kernelINS0_14default_configENS1_25partition_config_selectorILNS1_17partition_subalgoE6ExNS0_10empty_typeEbEEZZNS1_14partition_implILS5_6ELb0ES3_mN6thrust23THRUST_200600_302600_NS6detail15normal_iteratorINSA_10device_ptrIxEEEEPS6_SG_NS0_5tupleIJSF_S6_EEENSH_IJSG_SG_EEES6_PlJNSB_9not_fun_tI7is_trueIxEEEEEE10hipError_tPvRmT3_T4_T5_T6_T7_T9_mT8_P12ihipStream_tbDpT10_ENKUlT_T0_E_clISt17integral_constantIbLb0EES17_IbLb1EEEEDaS13_S14_EUlS13_E_NS1_11comp_targetILNS1_3genE9ELNS1_11target_archE1100ELNS1_3gpuE3ELNS1_3repE0EEENS1_30default_config_static_selectorELNS0_4arch9wavefront6targetE0EEEvT1_,comdat
	.protected	_ZN7rocprim17ROCPRIM_400000_NS6detail17trampoline_kernelINS0_14default_configENS1_25partition_config_selectorILNS1_17partition_subalgoE6ExNS0_10empty_typeEbEEZZNS1_14partition_implILS5_6ELb0ES3_mN6thrust23THRUST_200600_302600_NS6detail15normal_iteratorINSA_10device_ptrIxEEEEPS6_SG_NS0_5tupleIJSF_S6_EEENSH_IJSG_SG_EEES6_PlJNSB_9not_fun_tI7is_trueIxEEEEEE10hipError_tPvRmT3_T4_T5_T6_T7_T9_mT8_P12ihipStream_tbDpT10_ENKUlT_T0_E_clISt17integral_constantIbLb0EES17_IbLb1EEEEDaS13_S14_EUlS13_E_NS1_11comp_targetILNS1_3genE9ELNS1_11target_archE1100ELNS1_3gpuE3ELNS1_3repE0EEENS1_30default_config_static_selectorELNS0_4arch9wavefront6targetE0EEEvT1_ ; -- Begin function _ZN7rocprim17ROCPRIM_400000_NS6detail17trampoline_kernelINS0_14default_configENS1_25partition_config_selectorILNS1_17partition_subalgoE6ExNS0_10empty_typeEbEEZZNS1_14partition_implILS5_6ELb0ES3_mN6thrust23THRUST_200600_302600_NS6detail15normal_iteratorINSA_10device_ptrIxEEEEPS6_SG_NS0_5tupleIJSF_S6_EEENSH_IJSG_SG_EEES6_PlJNSB_9not_fun_tI7is_trueIxEEEEEE10hipError_tPvRmT3_T4_T5_T6_T7_T9_mT8_P12ihipStream_tbDpT10_ENKUlT_T0_E_clISt17integral_constantIbLb0EES17_IbLb1EEEEDaS13_S14_EUlS13_E_NS1_11comp_targetILNS1_3genE9ELNS1_11target_archE1100ELNS1_3gpuE3ELNS1_3repE0EEENS1_30default_config_static_selectorELNS0_4arch9wavefront6targetE0EEEvT1_
	.globl	_ZN7rocprim17ROCPRIM_400000_NS6detail17trampoline_kernelINS0_14default_configENS1_25partition_config_selectorILNS1_17partition_subalgoE6ExNS0_10empty_typeEbEEZZNS1_14partition_implILS5_6ELb0ES3_mN6thrust23THRUST_200600_302600_NS6detail15normal_iteratorINSA_10device_ptrIxEEEEPS6_SG_NS0_5tupleIJSF_S6_EEENSH_IJSG_SG_EEES6_PlJNSB_9not_fun_tI7is_trueIxEEEEEE10hipError_tPvRmT3_T4_T5_T6_T7_T9_mT8_P12ihipStream_tbDpT10_ENKUlT_T0_E_clISt17integral_constantIbLb0EES17_IbLb1EEEEDaS13_S14_EUlS13_E_NS1_11comp_targetILNS1_3genE9ELNS1_11target_archE1100ELNS1_3gpuE3ELNS1_3repE0EEENS1_30default_config_static_selectorELNS0_4arch9wavefront6targetE0EEEvT1_
	.p2align	8
	.type	_ZN7rocprim17ROCPRIM_400000_NS6detail17trampoline_kernelINS0_14default_configENS1_25partition_config_selectorILNS1_17partition_subalgoE6ExNS0_10empty_typeEbEEZZNS1_14partition_implILS5_6ELb0ES3_mN6thrust23THRUST_200600_302600_NS6detail15normal_iteratorINSA_10device_ptrIxEEEEPS6_SG_NS0_5tupleIJSF_S6_EEENSH_IJSG_SG_EEES6_PlJNSB_9not_fun_tI7is_trueIxEEEEEE10hipError_tPvRmT3_T4_T5_T6_T7_T9_mT8_P12ihipStream_tbDpT10_ENKUlT_T0_E_clISt17integral_constantIbLb0EES17_IbLb1EEEEDaS13_S14_EUlS13_E_NS1_11comp_targetILNS1_3genE9ELNS1_11target_archE1100ELNS1_3gpuE3ELNS1_3repE0EEENS1_30default_config_static_selectorELNS0_4arch9wavefront6targetE0EEEvT1_,@function
_ZN7rocprim17ROCPRIM_400000_NS6detail17trampoline_kernelINS0_14default_configENS1_25partition_config_selectorILNS1_17partition_subalgoE6ExNS0_10empty_typeEbEEZZNS1_14partition_implILS5_6ELb0ES3_mN6thrust23THRUST_200600_302600_NS6detail15normal_iteratorINSA_10device_ptrIxEEEEPS6_SG_NS0_5tupleIJSF_S6_EEENSH_IJSG_SG_EEES6_PlJNSB_9not_fun_tI7is_trueIxEEEEEE10hipError_tPvRmT3_T4_T5_T6_T7_T9_mT8_P12ihipStream_tbDpT10_ENKUlT_T0_E_clISt17integral_constantIbLb0EES17_IbLb1EEEEDaS13_S14_EUlS13_E_NS1_11comp_targetILNS1_3genE9ELNS1_11target_archE1100ELNS1_3gpuE3ELNS1_3repE0EEENS1_30default_config_static_selectorELNS0_4arch9wavefront6targetE0EEEvT1_: ; @_ZN7rocprim17ROCPRIM_400000_NS6detail17trampoline_kernelINS0_14default_configENS1_25partition_config_selectorILNS1_17partition_subalgoE6ExNS0_10empty_typeEbEEZZNS1_14partition_implILS5_6ELb0ES3_mN6thrust23THRUST_200600_302600_NS6detail15normal_iteratorINSA_10device_ptrIxEEEEPS6_SG_NS0_5tupleIJSF_S6_EEENSH_IJSG_SG_EEES6_PlJNSB_9not_fun_tI7is_trueIxEEEEEE10hipError_tPvRmT3_T4_T5_T6_T7_T9_mT8_P12ihipStream_tbDpT10_ENKUlT_T0_E_clISt17integral_constantIbLb0EES17_IbLb1EEEEDaS13_S14_EUlS13_E_NS1_11comp_targetILNS1_3genE9ELNS1_11target_archE1100ELNS1_3gpuE3ELNS1_3repE0EEENS1_30default_config_static_selectorELNS0_4arch9wavefront6targetE0EEEvT1_
; %bb.0:
	.section	.rodata,"a",@progbits
	.p2align	6, 0x0
	.amdhsa_kernel _ZN7rocprim17ROCPRIM_400000_NS6detail17trampoline_kernelINS0_14default_configENS1_25partition_config_selectorILNS1_17partition_subalgoE6ExNS0_10empty_typeEbEEZZNS1_14partition_implILS5_6ELb0ES3_mN6thrust23THRUST_200600_302600_NS6detail15normal_iteratorINSA_10device_ptrIxEEEEPS6_SG_NS0_5tupleIJSF_S6_EEENSH_IJSG_SG_EEES6_PlJNSB_9not_fun_tI7is_trueIxEEEEEE10hipError_tPvRmT3_T4_T5_T6_T7_T9_mT8_P12ihipStream_tbDpT10_ENKUlT_T0_E_clISt17integral_constantIbLb0EES17_IbLb1EEEEDaS13_S14_EUlS13_E_NS1_11comp_targetILNS1_3genE9ELNS1_11target_archE1100ELNS1_3gpuE3ELNS1_3repE0EEENS1_30default_config_static_selectorELNS0_4arch9wavefront6targetE0EEEvT1_
		.amdhsa_group_segment_fixed_size 0
		.amdhsa_private_segment_fixed_size 0
		.amdhsa_kernarg_size 128
		.amdhsa_user_sgpr_count 2
		.amdhsa_user_sgpr_dispatch_ptr 0
		.amdhsa_user_sgpr_queue_ptr 0
		.amdhsa_user_sgpr_kernarg_segment_ptr 1
		.amdhsa_user_sgpr_dispatch_id 0
		.amdhsa_user_sgpr_private_segment_size 0
		.amdhsa_wavefront_size32 1
		.amdhsa_uses_dynamic_stack 0
		.amdhsa_enable_private_segment 0
		.amdhsa_system_sgpr_workgroup_id_x 1
		.amdhsa_system_sgpr_workgroup_id_y 0
		.amdhsa_system_sgpr_workgroup_id_z 0
		.amdhsa_system_sgpr_workgroup_info 0
		.amdhsa_system_vgpr_workitem_id 0
		.amdhsa_next_free_vgpr 1
		.amdhsa_next_free_sgpr 1
		.amdhsa_reserve_vcc 0
		.amdhsa_float_round_mode_32 0
		.amdhsa_float_round_mode_16_64 0
		.amdhsa_float_denorm_mode_32 3
		.amdhsa_float_denorm_mode_16_64 3
		.amdhsa_fp16_overflow 0
		.amdhsa_workgroup_processor_mode 1
		.amdhsa_memory_ordered 1
		.amdhsa_forward_progress 1
		.amdhsa_inst_pref_size 0
		.amdhsa_round_robin_scheduling 0
		.amdhsa_exception_fp_ieee_invalid_op 0
		.amdhsa_exception_fp_denorm_src 0
		.amdhsa_exception_fp_ieee_div_zero 0
		.amdhsa_exception_fp_ieee_overflow 0
		.amdhsa_exception_fp_ieee_underflow 0
		.amdhsa_exception_fp_ieee_inexact 0
		.amdhsa_exception_int_div_zero 0
	.end_amdhsa_kernel
	.section	.text._ZN7rocprim17ROCPRIM_400000_NS6detail17trampoline_kernelINS0_14default_configENS1_25partition_config_selectorILNS1_17partition_subalgoE6ExNS0_10empty_typeEbEEZZNS1_14partition_implILS5_6ELb0ES3_mN6thrust23THRUST_200600_302600_NS6detail15normal_iteratorINSA_10device_ptrIxEEEEPS6_SG_NS0_5tupleIJSF_S6_EEENSH_IJSG_SG_EEES6_PlJNSB_9not_fun_tI7is_trueIxEEEEEE10hipError_tPvRmT3_T4_T5_T6_T7_T9_mT8_P12ihipStream_tbDpT10_ENKUlT_T0_E_clISt17integral_constantIbLb0EES17_IbLb1EEEEDaS13_S14_EUlS13_E_NS1_11comp_targetILNS1_3genE9ELNS1_11target_archE1100ELNS1_3gpuE3ELNS1_3repE0EEENS1_30default_config_static_selectorELNS0_4arch9wavefront6targetE0EEEvT1_,"axG",@progbits,_ZN7rocprim17ROCPRIM_400000_NS6detail17trampoline_kernelINS0_14default_configENS1_25partition_config_selectorILNS1_17partition_subalgoE6ExNS0_10empty_typeEbEEZZNS1_14partition_implILS5_6ELb0ES3_mN6thrust23THRUST_200600_302600_NS6detail15normal_iteratorINSA_10device_ptrIxEEEEPS6_SG_NS0_5tupleIJSF_S6_EEENSH_IJSG_SG_EEES6_PlJNSB_9not_fun_tI7is_trueIxEEEEEE10hipError_tPvRmT3_T4_T5_T6_T7_T9_mT8_P12ihipStream_tbDpT10_ENKUlT_T0_E_clISt17integral_constantIbLb0EES17_IbLb1EEEEDaS13_S14_EUlS13_E_NS1_11comp_targetILNS1_3genE9ELNS1_11target_archE1100ELNS1_3gpuE3ELNS1_3repE0EEENS1_30default_config_static_selectorELNS0_4arch9wavefront6targetE0EEEvT1_,comdat
.Lfunc_end1235:
	.size	_ZN7rocprim17ROCPRIM_400000_NS6detail17trampoline_kernelINS0_14default_configENS1_25partition_config_selectorILNS1_17partition_subalgoE6ExNS0_10empty_typeEbEEZZNS1_14partition_implILS5_6ELb0ES3_mN6thrust23THRUST_200600_302600_NS6detail15normal_iteratorINSA_10device_ptrIxEEEEPS6_SG_NS0_5tupleIJSF_S6_EEENSH_IJSG_SG_EEES6_PlJNSB_9not_fun_tI7is_trueIxEEEEEE10hipError_tPvRmT3_T4_T5_T6_T7_T9_mT8_P12ihipStream_tbDpT10_ENKUlT_T0_E_clISt17integral_constantIbLb0EES17_IbLb1EEEEDaS13_S14_EUlS13_E_NS1_11comp_targetILNS1_3genE9ELNS1_11target_archE1100ELNS1_3gpuE3ELNS1_3repE0EEENS1_30default_config_static_selectorELNS0_4arch9wavefront6targetE0EEEvT1_, .Lfunc_end1235-_ZN7rocprim17ROCPRIM_400000_NS6detail17trampoline_kernelINS0_14default_configENS1_25partition_config_selectorILNS1_17partition_subalgoE6ExNS0_10empty_typeEbEEZZNS1_14partition_implILS5_6ELb0ES3_mN6thrust23THRUST_200600_302600_NS6detail15normal_iteratorINSA_10device_ptrIxEEEEPS6_SG_NS0_5tupleIJSF_S6_EEENSH_IJSG_SG_EEES6_PlJNSB_9not_fun_tI7is_trueIxEEEEEE10hipError_tPvRmT3_T4_T5_T6_T7_T9_mT8_P12ihipStream_tbDpT10_ENKUlT_T0_E_clISt17integral_constantIbLb0EES17_IbLb1EEEEDaS13_S14_EUlS13_E_NS1_11comp_targetILNS1_3genE9ELNS1_11target_archE1100ELNS1_3gpuE3ELNS1_3repE0EEENS1_30default_config_static_selectorELNS0_4arch9wavefront6targetE0EEEvT1_
                                        ; -- End function
	.set _ZN7rocprim17ROCPRIM_400000_NS6detail17trampoline_kernelINS0_14default_configENS1_25partition_config_selectorILNS1_17partition_subalgoE6ExNS0_10empty_typeEbEEZZNS1_14partition_implILS5_6ELb0ES3_mN6thrust23THRUST_200600_302600_NS6detail15normal_iteratorINSA_10device_ptrIxEEEEPS6_SG_NS0_5tupleIJSF_S6_EEENSH_IJSG_SG_EEES6_PlJNSB_9not_fun_tI7is_trueIxEEEEEE10hipError_tPvRmT3_T4_T5_T6_T7_T9_mT8_P12ihipStream_tbDpT10_ENKUlT_T0_E_clISt17integral_constantIbLb0EES17_IbLb1EEEEDaS13_S14_EUlS13_E_NS1_11comp_targetILNS1_3genE9ELNS1_11target_archE1100ELNS1_3gpuE3ELNS1_3repE0EEENS1_30default_config_static_selectorELNS0_4arch9wavefront6targetE0EEEvT1_.num_vgpr, 0
	.set _ZN7rocprim17ROCPRIM_400000_NS6detail17trampoline_kernelINS0_14default_configENS1_25partition_config_selectorILNS1_17partition_subalgoE6ExNS0_10empty_typeEbEEZZNS1_14partition_implILS5_6ELb0ES3_mN6thrust23THRUST_200600_302600_NS6detail15normal_iteratorINSA_10device_ptrIxEEEEPS6_SG_NS0_5tupleIJSF_S6_EEENSH_IJSG_SG_EEES6_PlJNSB_9not_fun_tI7is_trueIxEEEEEE10hipError_tPvRmT3_T4_T5_T6_T7_T9_mT8_P12ihipStream_tbDpT10_ENKUlT_T0_E_clISt17integral_constantIbLb0EES17_IbLb1EEEEDaS13_S14_EUlS13_E_NS1_11comp_targetILNS1_3genE9ELNS1_11target_archE1100ELNS1_3gpuE3ELNS1_3repE0EEENS1_30default_config_static_selectorELNS0_4arch9wavefront6targetE0EEEvT1_.num_agpr, 0
	.set _ZN7rocprim17ROCPRIM_400000_NS6detail17trampoline_kernelINS0_14default_configENS1_25partition_config_selectorILNS1_17partition_subalgoE6ExNS0_10empty_typeEbEEZZNS1_14partition_implILS5_6ELb0ES3_mN6thrust23THRUST_200600_302600_NS6detail15normal_iteratorINSA_10device_ptrIxEEEEPS6_SG_NS0_5tupleIJSF_S6_EEENSH_IJSG_SG_EEES6_PlJNSB_9not_fun_tI7is_trueIxEEEEEE10hipError_tPvRmT3_T4_T5_T6_T7_T9_mT8_P12ihipStream_tbDpT10_ENKUlT_T0_E_clISt17integral_constantIbLb0EES17_IbLb1EEEEDaS13_S14_EUlS13_E_NS1_11comp_targetILNS1_3genE9ELNS1_11target_archE1100ELNS1_3gpuE3ELNS1_3repE0EEENS1_30default_config_static_selectorELNS0_4arch9wavefront6targetE0EEEvT1_.numbered_sgpr, 0
	.set _ZN7rocprim17ROCPRIM_400000_NS6detail17trampoline_kernelINS0_14default_configENS1_25partition_config_selectorILNS1_17partition_subalgoE6ExNS0_10empty_typeEbEEZZNS1_14partition_implILS5_6ELb0ES3_mN6thrust23THRUST_200600_302600_NS6detail15normal_iteratorINSA_10device_ptrIxEEEEPS6_SG_NS0_5tupleIJSF_S6_EEENSH_IJSG_SG_EEES6_PlJNSB_9not_fun_tI7is_trueIxEEEEEE10hipError_tPvRmT3_T4_T5_T6_T7_T9_mT8_P12ihipStream_tbDpT10_ENKUlT_T0_E_clISt17integral_constantIbLb0EES17_IbLb1EEEEDaS13_S14_EUlS13_E_NS1_11comp_targetILNS1_3genE9ELNS1_11target_archE1100ELNS1_3gpuE3ELNS1_3repE0EEENS1_30default_config_static_selectorELNS0_4arch9wavefront6targetE0EEEvT1_.num_named_barrier, 0
	.set _ZN7rocprim17ROCPRIM_400000_NS6detail17trampoline_kernelINS0_14default_configENS1_25partition_config_selectorILNS1_17partition_subalgoE6ExNS0_10empty_typeEbEEZZNS1_14partition_implILS5_6ELb0ES3_mN6thrust23THRUST_200600_302600_NS6detail15normal_iteratorINSA_10device_ptrIxEEEEPS6_SG_NS0_5tupleIJSF_S6_EEENSH_IJSG_SG_EEES6_PlJNSB_9not_fun_tI7is_trueIxEEEEEE10hipError_tPvRmT3_T4_T5_T6_T7_T9_mT8_P12ihipStream_tbDpT10_ENKUlT_T0_E_clISt17integral_constantIbLb0EES17_IbLb1EEEEDaS13_S14_EUlS13_E_NS1_11comp_targetILNS1_3genE9ELNS1_11target_archE1100ELNS1_3gpuE3ELNS1_3repE0EEENS1_30default_config_static_selectorELNS0_4arch9wavefront6targetE0EEEvT1_.private_seg_size, 0
	.set _ZN7rocprim17ROCPRIM_400000_NS6detail17trampoline_kernelINS0_14default_configENS1_25partition_config_selectorILNS1_17partition_subalgoE6ExNS0_10empty_typeEbEEZZNS1_14partition_implILS5_6ELb0ES3_mN6thrust23THRUST_200600_302600_NS6detail15normal_iteratorINSA_10device_ptrIxEEEEPS6_SG_NS0_5tupleIJSF_S6_EEENSH_IJSG_SG_EEES6_PlJNSB_9not_fun_tI7is_trueIxEEEEEE10hipError_tPvRmT3_T4_T5_T6_T7_T9_mT8_P12ihipStream_tbDpT10_ENKUlT_T0_E_clISt17integral_constantIbLb0EES17_IbLb1EEEEDaS13_S14_EUlS13_E_NS1_11comp_targetILNS1_3genE9ELNS1_11target_archE1100ELNS1_3gpuE3ELNS1_3repE0EEENS1_30default_config_static_selectorELNS0_4arch9wavefront6targetE0EEEvT1_.uses_vcc, 0
	.set _ZN7rocprim17ROCPRIM_400000_NS6detail17trampoline_kernelINS0_14default_configENS1_25partition_config_selectorILNS1_17partition_subalgoE6ExNS0_10empty_typeEbEEZZNS1_14partition_implILS5_6ELb0ES3_mN6thrust23THRUST_200600_302600_NS6detail15normal_iteratorINSA_10device_ptrIxEEEEPS6_SG_NS0_5tupleIJSF_S6_EEENSH_IJSG_SG_EEES6_PlJNSB_9not_fun_tI7is_trueIxEEEEEE10hipError_tPvRmT3_T4_T5_T6_T7_T9_mT8_P12ihipStream_tbDpT10_ENKUlT_T0_E_clISt17integral_constantIbLb0EES17_IbLb1EEEEDaS13_S14_EUlS13_E_NS1_11comp_targetILNS1_3genE9ELNS1_11target_archE1100ELNS1_3gpuE3ELNS1_3repE0EEENS1_30default_config_static_selectorELNS0_4arch9wavefront6targetE0EEEvT1_.uses_flat_scratch, 0
	.set _ZN7rocprim17ROCPRIM_400000_NS6detail17trampoline_kernelINS0_14default_configENS1_25partition_config_selectorILNS1_17partition_subalgoE6ExNS0_10empty_typeEbEEZZNS1_14partition_implILS5_6ELb0ES3_mN6thrust23THRUST_200600_302600_NS6detail15normal_iteratorINSA_10device_ptrIxEEEEPS6_SG_NS0_5tupleIJSF_S6_EEENSH_IJSG_SG_EEES6_PlJNSB_9not_fun_tI7is_trueIxEEEEEE10hipError_tPvRmT3_T4_T5_T6_T7_T9_mT8_P12ihipStream_tbDpT10_ENKUlT_T0_E_clISt17integral_constantIbLb0EES17_IbLb1EEEEDaS13_S14_EUlS13_E_NS1_11comp_targetILNS1_3genE9ELNS1_11target_archE1100ELNS1_3gpuE3ELNS1_3repE0EEENS1_30default_config_static_selectorELNS0_4arch9wavefront6targetE0EEEvT1_.has_dyn_sized_stack, 0
	.set _ZN7rocprim17ROCPRIM_400000_NS6detail17trampoline_kernelINS0_14default_configENS1_25partition_config_selectorILNS1_17partition_subalgoE6ExNS0_10empty_typeEbEEZZNS1_14partition_implILS5_6ELb0ES3_mN6thrust23THRUST_200600_302600_NS6detail15normal_iteratorINSA_10device_ptrIxEEEEPS6_SG_NS0_5tupleIJSF_S6_EEENSH_IJSG_SG_EEES6_PlJNSB_9not_fun_tI7is_trueIxEEEEEE10hipError_tPvRmT3_T4_T5_T6_T7_T9_mT8_P12ihipStream_tbDpT10_ENKUlT_T0_E_clISt17integral_constantIbLb0EES17_IbLb1EEEEDaS13_S14_EUlS13_E_NS1_11comp_targetILNS1_3genE9ELNS1_11target_archE1100ELNS1_3gpuE3ELNS1_3repE0EEENS1_30default_config_static_selectorELNS0_4arch9wavefront6targetE0EEEvT1_.has_recursion, 0
	.set _ZN7rocprim17ROCPRIM_400000_NS6detail17trampoline_kernelINS0_14default_configENS1_25partition_config_selectorILNS1_17partition_subalgoE6ExNS0_10empty_typeEbEEZZNS1_14partition_implILS5_6ELb0ES3_mN6thrust23THRUST_200600_302600_NS6detail15normal_iteratorINSA_10device_ptrIxEEEEPS6_SG_NS0_5tupleIJSF_S6_EEENSH_IJSG_SG_EEES6_PlJNSB_9not_fun_tI7is_trueIxEEEEEE10hipError_tPvRmT3_T4_T5_T6_T7_T9_mT8_P12ihipStream_tbDpT10_ENKUlT_T0_E_clISt17integral_constantIbLb0EES17_IbLb1EEEEDaS13_S14_EUlS13_E_NS1_11comp_targetILNS1_3genE9ELNS1_11target_archE1100ELNS1_3gpuE3ELNS1_3repE0EEENS1_30default_config_static_selectorELNS0_4arch9wavefront6targetE0EEEvT1_.has_indirect_call, 0
	.section	.AMDGPU.csdata,"",@progbits
; Kernel info:
; codeLenInByte = 0
; TotalNumSgprs: 0
; NumVgprs: 0
; ScratchSize: 0
; MemoryBound: 0
; FloatMode: 240
; IeeeMode: 1
; LDSByteSize: 0 bytes/workgroup (compile time only)
; SGPRBlocks: 0
; VGPRBlocks: 0
; NumSGPRsForWavesPerEU: 1
; NumVGPRsForWavesPerEU: 1
; Occupancy: 16
; WaveLimiterHint : 0
; COMPUTE_PGM_RSRC2:SCRATCH_EN: 0
; COMPUTE_PGM_RSRC2:USER_SGPR: 2
; COMPUTE_PGM_RSRC2:TRAP_HANDLER: 0
; COMPUTE_PGM_RSRC2:TGID_X_EN: 1
; COMPUTE_PGM_RSRC2:TGID_Y_EN: 0
; COMPUTE_PGM_RSRC2:TGID_Z_EN: 0
; COMPUTE_PGM_RSRC2:TIDIG_COMP_CNT: 0
	.section	.text._ZN7rocprim17ROCPRIM_400000_NS6detail17trampoline_kernelINS0_14default_configENS1_25partition_config_selectorILNS1_17partition_subalgoE6ExNS0_10empty_typeEbEEZZNS1_14partition_implILS5_6ELb0ES3_mN6thrust23THRUST_200600_302600_NS6detail15normal_iteratorINSA_10device_ptrIxEEEEPS6_SG_NS0_5tupleIJSF_S6_EEENSH_IJSG_SG_EEES6_PlJNSB_9not_fun_tI7is_trueIxEEEEEE10hipError_tPvRmT3_T4_T5_T6_T7_T9_mT8_P12ihipStream_tbDpT10_ENKUlT_T0_E_clISt17integral_constantIbLb0EES17_IbLb1EEEEDaS13_S14_EUlS13_E_NS1_11comp_targetILNS1_3genE8ELNS1_11target_archE1030ELNS1_3gpuE2ELNS1_3repE0EEENS1_30default_config_static_selectorELNS0_4arch9wavefront6targetE0EEEvT1_,"axG",@progbits,_ZN7rocprim17ROCPRIM_400000_NS6detail17trampoline_kernelINS0_14default_configENS1_25partition_config_selectorILNS1_17partition_subalgoE6ExNS0_10empty_typeEbEEZZNS1_14partition_implILS5_6ELb0ES3_mN6thrust23THRUST_200600_302600_NS6detail15normal_iteratorINSA_10device_ptrIxEEEEPS6_SG_NS0_5tupleIJSF_S6_EEENSH_IJSG_SG_EEES6_PlJNSB_9not_fun_tI7is_trueIxEEEEEE10hipError_tPvRmT3_T4_T5_T6_T7_T9_mT8_P12ihipStream_tbDpT10_ENKUlT_T0_E_clISt17integral_constantIbLb0EES17_IbLb1EEEEDaS13_S14_EUlS13_E_NS1_11comp_targetILNS1_3genE8ELNS1_11target_archE1030ELNS1_3gpuE2ELNS1_3repE0EEENS1_30default_config_static_selectorELNS0_4arch9wavefront6targetE0EEEvT1_,comdat
	.protected	_ZN7rocprim17ROCPRIM_400000_NS6detail17trampoline_kernelINS0_14default_configENS1_25partition_config_selectorILNS1_17partition_subalgoE6ExNS0_10empty_typeEbEEZZNS1_14partition_implILS5_6ELb0ES3_mN6thrust23THRUST_200600_302600_NS6detail15normal_iteratorINSA_10device_ptrIxEEEEPS6_SG_NS0_5tupleIJSF_S6_EEENSH_IJSG_SG_EEES6_PlJNSB_9not_fun_tI7is_trueIxEEEEEE10hipError_tPvRmT3_T4_T5_T6_T7_T9_mT8_P12ihipStream_tbDpT10_ENKUlT_T0_E_clISt17integral_constantIbLb0EES17_IbLb1EEEEDaS13_S14_EUlS13_E_NS1_11comp_targetILNS1_3genE8ELNS1_11target_archE1030ELNS1_3gpuE2ELNS1_3repE0EEENS1_30default_config_static_selectorELNS0_4arch9wavefront6targetE0EEEvT1_ ; -- Begin function _ZN7rocprim17ROCPRIM_400000_NS6detail17trampoline_kernelINS0_14default_configENS1_25partition_config_selectorILNS1_17partition_subalgoE6ExNS0_10empty_typeEbEEZZNS1_14partition_implILS5_6ELb0ES3_mN6thrust23THRUST_200600_302600_NS6detail15normal_iteratorINSA_10device_ptrIxEEEEPS6_SG_NS0_5tupleIJSF_S6_EEENSH_IJSG_SG_EEES6_PlJNSB_9not_fun_tI7is_trueIxEEEEEE10hipError_tPvRmT3_T4_T5_T6_T7_T9_mT8_P12ihipStream_tbDpT10_ENKUlT_T0_E_clISt17integral_constantIbLb0EES17_IbLb1EEEEDaS13_S14_EUlS13_E_NS1_11comp_targetILNS1_3genE8ELNS1_11target_archE1030ELNS1_3gpuE2ELNS1_3repE0EEENS1_30default_config_static_selectorELNS0_4arch9wavefront6targetE0EEEvT1_
	.globl	_ZN7rocprim17ROCPRIM_400000_NS6detail17trampoline_kernelINS0_14default_configENS1_25partition_config_selectorILNS1_17partition_subalgoE6ExNS0_10empty_typeEbEEZZNS1_14partition_implILS5_6ELb0ES3_mN6thrust23THRUST_200600_302600_NS6detail15normal_iteratorINSA_10device_ptrIxEEEEPS6_SG_NS0_5tupleIJSF_S6_EEENSH_IJSG_SG_EEES6_PlJNSB_9not_fun_tI7is_trueIxEEEEEE10hipError_tPvRmT3_T4_T5_T6_T7_T9_mT8_P12ihipStream_tbDpT10_ENKUlT_T0_E_clISt17integral_constantIbLb0EES17_IbLb1EEEEDaS13_S14_EUlS13_E_NS1_11comp_targetILNS1_3genE8ELNS1_11target_archE1030ELNS1_3gpuE2ELNS1_3repE0EEENS1_30default_config_static_selectorELNS0_4arch9wavefront6targetE0EEEvT1_
	.p2align	8
	.type	_ZN7rocprim17ROCPRIM_400000_NS6detail17trampoline_kernelINS0_14default_configENS1_25partition_config_selectorILNS1_17partition_subalgoE6ExNS0_10empty_typeEbEEZZNS1_14partition_implILS5_6ELb0ES3_mN6thrust23THRUST_200600_302600_NS6detail15normal_iteratorINSA_10device_ptrIxEEEEPS6_SG_NS0_5tupleIJSF_S6_EEENSH_IJSG_SG_EEES6_PlJNSB_9not_fun_tI7is_trueIxEEEEEE10hipError_tPvRmT3_T4_T5_T6_T7_T9_mT8_P12ihipStream_tbDpT10_ENKUlT_T0_E_clISt17integral_constantIbLb0EES17_IbLb1EEEEDaS13_S14_EUlS13_E_NS1_11comp_targetILNS1_3genE8ELNS1_11target_archE1030ELNS1_3gpuE2ELNS1_3repE0EEENS1_30default_config_static_selectorELNS0_4arch9wavefront6targetE0EEEvT1_,@function
_ZN7rocprim17ROCPRIM_400000_NS6detail17trampoline_kernelINS0_14default_configENS1_25partition_config_selectorILNS1_17partition_subalgoE6ExNS0_10empty_typeEbEEZZNS1_14partition_implILS5_6ELb0ES3_mN6thrust23THRUST_200600_302600_NS6detail15normal_iteratorINSA_10device_ptrIxEEEEPS6_SG_NS0_5tupleIJSF_S6_EEENSH_IJSG_SG_EEES6_PlJNSB_9not_fun_tI7is_trueIxEEEEEE10hipError_tPvRmT3_T4_T5_T6_T7_T9_mT8_P12ihipStream_tbDpT10_ENKUlT_T0_E_clISt17integral_constantIbLb0EES17_IbLb1EEEEDaS13_S14_EUlS13_E_NS1_11comp_targetILNS1_3genE8ELNS1_11target_archE1030ELNS1_3gpuE2ELNS1_3repE0EEENS1_30default_config_static_selectorELNS0_4arch9wavefront6targetE0EEEvT1_: ; @_ZN7rocprim17ROCPRIM_400000_NS6detail17trampoline_kernelINS0_14default_configENS1_25partition_config_selectorILNS1_17partition_subalgoE6ExNS0_10empty_typeEbEEZZNS1_14partition_implILS5_6ELb0ES3_mN6thrust23THRUST_200600_302600_NS6detail15normal_iteratorINSA_10device_ptrIxEEEEPS6_SG_NS0_5tupleIJSF_S6_EEENSH_IJSG_SG_EEES6_PlJNSB_9not_fun_tI7is_trueIxEEEEEE10hipError_tPvRmT3_T4_T5_T6_T7_T9_mT8_P12ihipStream_tbDpT10_ENKUlT_T0_E_clISt17integral_constantIbLb0EES17_IbLb1EEEEDaS13_S14_EUlS13_E_NS1_11comp_targetILNS1_3genE8ELNS1_11target_archE1030ELNS1_3gpuE2ELNS1_3repE0EEENS1_30default_config_static_selectorELNS0_4arch9wavefront6targetE0EEEvT1_
; %bb.0:
	.section	.rodata,"a",@progbits
	.p2align	6, 0x0
	.amdhsa_kernel _ZN7rocprim17ROCPRIM_400000_NS6detail17trampoline_kernelINS0_14default_configENS1_25partition_config_selectorILNS1_17partition_subalgoE6ExNS0_10empty_typeEbEEZZNS1_14partition_implILS5_6ELb0ES3_mN6thrust23THRUST_200600_302600_NS6detail15normal_iteratorINSA_10device_ptrIxEEEEPS6_SG_NS0_5tupleIJSF_S6_EEENSH_IJSG_SG_EEES6_PlJNSB_9not_fun_tI7is_trueIxEEEEEE10hipError_tPvRmT3_T4_T5_T6_T7_T9_mT8_P12ihipStream_tbDpT10_ENKUlT_T0_E_clISt17integral_constantIbLb0EES17_IbLb1EEEEDaS13_S14_EUlS13_E_NS1_11comp_targetILNS1_3genE8ELNS1_11target_archE1030ELNS1_3gpuE2ELNS1_3repE0EEENS1_30default_config_static_selectorELNS0_4arch9wavefront6targetE0EEEvT1_
		.amdhsa_group_segment_fixed_size 0
		.amdhsa_private_segment_fixed_size 0
		.amdhsa_kernarg_size 128
		.amdhsa_user_sgpr_count 2
		.amdhsa_user_sgpr_dispatch_ptr 0
		.amdhsa_user_sgpr_queue_ptr 0
		.amdhsa_user_sgpr_kernarg_segment_ptr 1
		.amdhsa_user_sgpr_dispatch_id 0
		.amdhsa_user_sgpr_private_segment_size 0
		.amdhsa_wavefront_size32 1
		.amdhsa_uses_dynamic_stack 0
		.amdhsa_enable_private_segment 0
		.amdhsa_system_sgpr_workgroup_id_x 1
		.amdhsa_system_sgpr_workgroup_id_y 0
		.amdhsa_system_sgpr_workgroup_id_z 0
		.amdhsa_system_sgpr_workgroup_info 0
		.amdhsa_system_vgpr_workitem_id 0
		.amdhsa_next_free_vgpr 1
		.amdhsa_next_free_sgpr 1
		.amdhsa_reserve_vcc 0
		.amdhsa_float_round_mode_32 0
		.amdhsa_float_round_mode_16_64 0
		.amdhsa_float_denorm_mode_32 3
		.amdhsa_float_denorm_mode_16_64 3
		.amdhsa_fp16_overflow 0
		.amdhsa_workgroup_processor_mode 1
		.amdhsa_memory_ordered 1
		.amdhsa_forward_progress 1
		.amdhsa_inst_pref_size 0
		.amdhsa_round_robin_scheduling 0
		.amdhsa_exception_fp_ieee_invalid_op 0
		.amdhsa_exception_fp_denorm_src 0
		.amdhsa_exception_fp_ieee_div_zero 0
		.amdhsa_exception_fp_ieee_overflow 0
		.amdhsa_exception_fp_ieee_underflow 0
		.amdhsa_exception_fp_ieee_inexact 0
		.amdhsa_exception_int_div_zero 0
	.end_amdhsa_kernel
	.section	.text._ZN7rocprim17ROCPRIM_400000_NS6detail17trampoline_kernelINS0_14default_configENS1_25partition_config_selectorILNS1_17partition_subalgoE6ExNS0_10empty_typeEbEEZZNS1_14partition_implILS5_6ELb0ES3_mN6thrust23THRUST_200600_302600_NS6detail15normal_iteratorINSA_10device_ptrIxEEEEPS6_SG_NS0_5tupleIJSF_S6_EEENSH_IJSG_SG_EEES6_PlJNSB_9not_fun_tI7is_trueIxEEEEEE10hipError_tPvRmT3_T4_T5_T6_T7_T9_mT8_P12ihipStream_tbDpT10_ENKUlT_T0_E_clISt17integral_constantIbLb0EES17_IbLb1EEEEDaS13_S14_EUlS13_E_NS1_11comp_targetILNS1_3genE8ELNS1_11target_archE1030ELNS1_3gpuE2ELNS1_3repE0EEENS1_30default_config_static_selectorELNS0_4arch9wavefront6targetE0EEEvT1_,"axG",@progbits,_ZN7rocprim17ROCPRIM_400000_NS6detail17trampoline_kernelINS0_14default_configENS1_25partition_config_selectorILNS1_17partition_subalgoE6ExNS0_10empty_typeEbEEZZNS1_14partition_implILS5_6ELb0ES3_mN6thrust23THRUST_200600_302600_NS6detail15normal_iteratorINSA_10device_ptrIxEEEEPS6_SG_NS0_5tupleIJSF_S6_EEENSH_IJSG_SG_EEES6_PlJNSB_9not_fun_tI7is_trueIxEEEEEE10hipError_tPvRmT3_T4_T5_T6_T7_T9_mT8_P12ihipStream_tbDpT10_ENKUlT_T0_E_clISt17integral_constantIbLb0EES17_IbLb1EEEEDaS13_S14_EUlS13_E_NS1_11comp_targetILNS1_3genE8ELNS1_11target_archE1030ELNS1_3gpuE2ELNS1_3repE0EEENS1_30default_config_static_selectorELNS0_4arch9wavefront6targetE0EEEvT1_,comdat
.Lfunc_end1236:
	.size	_ZN7rocprim17ROCPRIM_400000_NS6detail17trampoline_kernelINS0_14default_configENS1_25partition_config_selectorILNS1_17partition_subalgoE6ExNS0_10empty_typeEbEEZZNS1_14partition_implILS5_6ELb0ES3_mN6thrust23THRUST_200600_302600_NS6detail15normal_iteratorINSA_10device_ptrIxEEEEPS6_SG_NS0_5tupleIJSF_S6_EEENSH_IJSG_SG_EEES6_PlJNSB_9not_fun_tI7is_trueIxEEEEEE10hipError_tPvRmT3_T4_T5_T6_T7_T9_mT8_P12ihipStream_tbDpT10_ENKUlT_T0_E_clISt17integral_constantIbLb0EES17_IbLb1EEEEDaS13_S14_EUlS13_E_NS1_11comp_targetILNS1_3genE8ELNS1_11target_archE1030ELNS1_3gpuE2ELNS1_3repE0EEENS1_30default_config_static_selectorELNS0_4arch9wavefront6targetE0EEEvT1_, .Lfunc_end1236-_ZN7rocprim17ROCPRIM_400000_NS6detail17trampoline_kernelINS0_14default_configENS1_25partition_config_selectorILNS1_17partition_subalgoE6ExNS0_10empty_typeEbEEZZNS1_14partition_implILS5_6ELb0ES3_mN6thrust23THRUST_200600_302600_NS6detail15normal_iteratorINSA_10device_ptrIxEEEEPS6_SG_NS0_5tupleIJSF_S6_EEENSH_IJSG_SG_EEES6_PlJNSB_9not_fun_tI7is_trueIxEEEEEE10hipError_tPvRmT3_T4_T5_T6_T7_T9_mT8_P12ihipStream_tbDpT10_ENKUlT_T0_E_clISt17integral_constantIbLb0EES17_IbLb1EEEEDaS13_S14_EUlS13_E_NS1_11comp_targetILNS1_3genE8ELNS1_11target_archE1030ELNS1_3gpuE2ELNS1_3repE0EEENS1_30default_config_static_selectorELNS0_4arch9wavefront6targetE0EEEvT1_
                                        ; -- End function
	.set _ZN7rocprim17ROCPRIM_400000_NS6detail17trampoline_kernelINS0_14default_configENS1_25partition_config_selectorILNS1_17partition_subalgoE6ExNS0_10empty_typeEbEEZZNS1_14partition_implILS5_6ELb0ES3_mN6thrust23THRUST_200600_302600_NS6detail15normal_iteratorINSA_10device_ptrIxEEEEPS6_SG_NS0_5tupleIJSF_S6_EEENSH_IJSG_SG_EEES6_PlJNSB_9not_fun_tI7is_trueIxEEEEEE10hipError_tPvRmT3_T4_T5_T6_T7_T9_mT8_P12ihipStream_tbDpT10_ENKUlT_T0_E_clISt17integral_constantIbLb0EES17_IbLb1EEEEDaS13_S14_EUlS13_E_NS1_11comp_targetILNS1_3genE8ELNS1_11target_archE1030ELNS1_3gpuE2ELNS1_3repE0EEENS1_30default_config_static_selectorELNS0_4arch9wavefront6targetE0EEEvT1_.num_vgpr, 0
	.set _ZN7rocprim17ROCPRIM_400000_NS6detail17trampoline_kernelINS0_14default_configENS1_25partition_config_selectorILNS1_17partition_subalgoE6ExNS0_10empty_typeEbEEZZNS1_14partition_implILS5_6ELb0ES3_mN6thrust23THRUST_200600_302600_NS6detail15normal_iteratorINSA_10device_ptrIxEEEEPS6_SG_NS0_5tupleIJSF_S6_EEENSH_IJSG_SG_EEES6_PlJNSB_9not_fun_tI7is_trueIxEEEEEE10hipError_tPvRmT3_T4_T5_T6_T7_T9_mT8_P12ihipStream_tbDpT10_ENKUlT_T0_E_clISt17integral_constantIbLb0EES17_IbLb1EEEEDaS13_S14_EUlS13_E_NS1_11comp_targetILNS1_3genE8ELNS1_11target_archE1030ELNS1_3gpuE2ELNS1_3repE0EEENS1_30default_config_static_selectorELNS0_4arch9wavefront6targetE0EEEvT1_.num_agpr, 0
	.set _ZN7rocprim17ROCPRIM_400000_NS6detail17trampoline_kernelINS0_14default_configENS1_25partition_config_selectorILNS1_17partition_subalgoE6ExNS0_10empty_typeEbEEZZNS1_14partition_implILS5_6ELb0ES3_mN6thrust23THRUST_200600_302600_NS6detail15normal_iteratorINSA_10device_ptrIxEEEEPS6_SG_NS0_5tupleIJSF_S6_EEENSH_IJSG_SG_EEES6_PlJNSB_9not_fun_tI7is_trueIxEEEEEE10hipError_tPvRmT3_T4_T5_T6_T7_T9_mT8_P12ihipStream_tbDpT10_ENKUlT_T0_E_clISt17integral_constantIbLb0EES17_IbLb1EEEEDaS13_S14_EUlS13_E_NS1_11comp_targetILNS1_3genE8ELNS1_11target_archE1030ELNS1_3gpuE2ELNS1_3repE0EEENS1_30default_config_static_selectorELNS0_4arch9wavefront6targetE0EEEvT1_.numbered_sgpr, 0
	.set _ZN7rocprim17ROCPRIM_400000_NS6detail17trampoline_kernelINS0_14default_configENS1_25partition_config_selectorILNS1_17partition_subalgoE6ExNS0_10empty_typeEbEEZZNS1_14partition_implILS5_6ELb0ES3_mN6thrust23THRUST_200600_302600_NS6detail15normal_iteratorINSA_10device_ptrIxEEEEPS6_SG_NS0_5tupleIJSF_S6_EEENSH_IJSG_SG_EEES6_PlJNSB_9not_fun_tI7is_trueIxEEEEEE10hipError_tPvRmT3_T4_T5_T6_T7_T9_mT8_P12ihipStream_tbDpT10_ENKUlT_T0_E_clISt17integral_constantIbLb0EES17_IbLb1EEEEDaS13_S14_EUlS13_E_NS1_11comp_targetILNS1_3genE8ELNS1_11target_archE1030ELNS1_3gpuE2ELNS1_3repE0EEENS1_30default_config_static_selectorELNS0_4arch9wavefront6targetE0EEEvT1_.num_named_barrier, 0
	.set _ZN7rocprim17ROCPRIM_400000_NS6detail17trampoline_kernelINS0_14default_configENS1_25partition_config_selectorILNS1_17partition_subalgoE6ExNS0_10empty_typeEbEEZZNS1_14partition_implILS5_6ELb0ES3_mN6thrust23THRUST_200600_302600_NS6detail15normal_iteratorINSA_10device_ptrIxEEEEPS6_SG_NS0_5tupleIJSF_S6_EEENSH_IJSG_SG_EEES6_PlJNSB_9not_fun_tI7is_trueIxEEEEEE10hipError_tPvRmT3_T4_T5_T6_T7_T9_mT8_P12ihipStream_tbDpT10_ENKUlT_T0_E_clISt17integral_constantIbLb0EES17_IbLb1EEEEDaS13_S14_EUlS13_E_NS1_11comp_targetILNS1_3genE8ELNS1_11target_archE1030ELNS1_3gpuE2ELNS1_3repE0EEENS1_30default_config_static_selectorELNS0_4arch9wavefront6targetE0EEEvT1_.private_seg_size, 0
	.set _ZN7rocprim17ROCPRIM_400000_NS6detail17trampoline_kernelINS0_14default_configENS1_25partition_config_selectorILNS1_17partition_subalgoE6ExNS0_10empty_typeEbEEZZNS1_14partition_implILS5_6ELb0ES3_mN6thrust23THRUST_200600_302600_NS6detail15normal_iteratorINSA_10device_ptrIxEEEEPS6_SG_NS0_5tupleIJSF_S6_EEENSH_IJSG_SG_EEES6_PlJNSB_9not_fun_tI7is_trueIxEEEEEE10hipError_tPvRmT3_T4_T5_T6_T7_T9_mT8_P12ihipStream_tbDpT10_ENKUlT_T0_E_clISt17integral_constantIbLb0EES17_IbLb1EEEEDaS13_S14_EUlS13_E_NS1_11comp_targetILNS1_3genE8ELNS1_11target_archE1030ELNS1_3gpuE2ELNS1_3repE0EEENS1_30default_config_static_selectorELNS0_4arch9wavefront6targetE0EEEvT1_.uses_vcc, 0
	.set _ZN7rocprim17ROCPRIM_400000_NS6detail17trampoline_kernelINS0_14default_configENS1_25partition_config_selectorILNS1_17partition_subalgoE6ExNS0_10empty_typeEbEEZZNS1_14partition_implILS5_6ELb0ES3_mN6thrust23THRUST_200600_302600_NS6detail15normal_iteratorINSA_10device_ptrIxEEEEPS6_SG_NS0_5tupleIJSF_S6_EEENSH_IJSG_SG_EEES6_PlJNSB_9not_fun_tI7is_trueIxEEEEEE10hipError_tPvRmT3_T4_T5_T6_T7_T9_mT8_P12ihipStream_tbDpT10_ENKUlT_T0_E_clISt17integral_constantIbLb0EES17_IbLb1EEEEDaS13_S14_EUlS13_E_NS1_11comp_targetILNS1_3genE8ELNS1_11target_archE1030ELNS1_3gpuE2ELNS1_3repE0EEENS1_30default_config_static_selectorELNS0_4arch9wavefront6targetE0EEEvT1_.uses_flat_scratch, 0
	.set _ZN7rocprim17ROCPRIM_400000_NS6detail17trampoline_kernelINS0_14default_configENS1_25partition_config_selectorILNS1_17partition_subalgoE6ExNS0_10empty_typeEbEEZZNS1_14partition_implILS5_6ELb0ES3_mN6thrust23THRUST_200600_302600_NS6detail15normal_iteratorINSA_10device_ptrIxEEEEPS6_SG_NS0_5tupleIJSF_S6_EEENSH_IJSG_SG_EEES6_PlJNSB_9not_fun_tI7is_trueIxEEEEEE10hipError_tPvRmT3_T4_T5_T6_T7_T9_mT8_P12ihipStream_tbDpT10_ENKUlT_T0_E_clISt17integral_constantIbLb0EES17_IbLb1EEEEDaS13_S14_EUlS13_E_NS1_11comp_targetILNS1_3genE8ELNS1_11target_archE1030ELNS1_3gpuE2ELNS1_3repE0EEENS1_30default_config_static_selectorELNS0_4arch9wavefront6targetE0EEEvT1_.has_dyn_sized_stack, 0
	.set _ZN7rocprim17ROCPRIM_400000_NS6detail17trampoline_kernelINS0_14default_configENS1_25partition_config_selectorILNS1_17partition_subalgoE6ExNS0_10empty_typeEbEEZZNS1_14partition_implILS5_6ELb0ES3_mN6thrust23THRUST_200600_302600_NS6detail15normal_iteratorINSA_10device_ptrIxEEEEPS6_SG_NS0_5tupleIJSF_S6_EEENSH_IJSG_SG_EEES6_PlJNSB_9not_fun_tI7is_trueIxEEEEEE10hipError_tPvRmT3_T4_T5_T6_T7_T9_mT8_P12ihipStream_tbDpT10_ENKUlT_T0_E_clISt17integral_constantIbLb0EES17_IbLb1EEEEDaS13_S14_EUlS13_E_NS1_11comp_targetILNS1_3genE8ELNS1_11target_archE1030ELNS1_3gpuE2ELNS1_3repE0EEENS1_30default_config_static_selectorELNS0_4arch9wavefront6targetE0EEEvT1_.has_recursion, 0
	.set _ZN7rocprim17ROCPRIM_400000_NS6detail17trampoline_kernelINS0_14default_configENS1_25partition_config_selectorILNS1_17partition_subalgoE6ExNS0_10empty_typeEbEEZZNS1_14partition_implILS5_6ELb0ES3_mN6thrust23THRUST_200600_302600_NS6detail15normal_iteratorINSA_10device_ptrIxEEEEPS6_SG_NS0_5tupleIJSF_S6_EEENSH_IJSG_SG_EEES6_PlJNSB_9not_fun_tI7is_trueIxEEEEEE10hipError_tPvRmT3_T4_T5_T6_T7_T9_mT8_P12ihipStream_tbDpT10_ENKUlT_T0_E_clISt17integral_constantIbLb0EES17_IbLb1EEEEDaS13_S14_EUlS13_E_NS1_11comp_targetILNS1_3genE8ELNS1_11target_archE1030ELNS1_3gpuE2ELNS1_3repE0EEENS1_30default_config_static_selectorELNS0_4arch9wavefront6targetE0EEEvT1_.has_indirect_call, 0
	.section	.AMDGPU.csdata,"",@progbits
; Kernel info:
; codeLenInByte = 0
; TotalNumSgprs: 0
; NumVgprs: 0
; ScratchSize: 0
; MemoryBound: 0
; FloatMode: 240
; IeeeMode: 1
; LDSByteSize: 0 bytes/workgroup (compile time only)
; SGPRBlocks: 0
; VGPRBlocks: 0
; NumSGPRsForWavesPerEU: 1
; NumVGPRsForWavesPerEU: 1
; Occupancy: 16
; WaveLimiterHint : 0
; COMPUTE_PGM_RSRC2:SCRATCH_EN: 0
; COMPUTE_PGM_RSRC2:USER_SGPR: 2
; COMPUTE_PGM_RSRC2:TRAP_HANDLER: 0
; COMPUTE_PGM_RSRC2:TGID_X_EN: 1
; COMPUTE_PGM_RSRC2:TGID_Y_EN: 0
; COMPUTE_PGM_RSRC2:TGID_Z_EN: 0
; COMPUTE_PGM_RSRC2:TIDIG_COMP_CNT: 0
	.section	.text._ZN7rocprim17ROCPRIM_400000_NS6detail17trampoline_kernelINS0_14default_configENS1_25partition_config_selectorILNS1_17partition_subalgoE6EiNS0_10empty_typeEbEEZZNS1_14partition_implILS5_6ELb0ES3_mN6thrust23THRUST_200600_302600_NS6detail15normal_iteratorINSA_10device_ptrIiEEEEPS6_SG_NS0_5tupleIJSF_S6_EEENSH_IJSG_SG_EEES6_PlJNSB_9not_fun_tI7is_trueIiEEEEEE10hipError_tPvRmT3_T4_T5_T6_T7_T9_mT8_P12ihipStream_tbDpT10_ENKUlT_T0_E_clISt17integral_constantIbLb0EES18_EEDaS13_S14_EUlS13_E_NS1_11comp_targetILNS1_3genE0ELNS1_11target_archE4294967295ELNS1_3gpuE0ELNS1_3repE0EEENS1_30default_config_static_selectorELNS0_4arch9wavefront6targetE0EEEvT1_,"axG",@progbits,_ZN7rocprim17ROCPRIM_400000_NS6detail17trampoline_kernelINS0_14default_configENS1_25partition_config_selectorILNS1_17partition_subalgoE6EiNS0_10empty_typeEbEEZZNS1_14partition_implILS5_6ELb0ES3_mN6thrust23THRUST_200600_302600_NS6detail15normal_iteratorINSA_10device_ptrIiEEEEPS6_SG_NS0_5tupleIJSF_S6_EEENSH_IJSG_SG_EEES6_PlJNSB_9not_fun_tI7is_trueIiEEEEEE10hipError_tPvRmT3_T4_T5_T6_T7_T9_mT8_P12ihipStream_tbDpT10_ENKUlT_T0_E_clISt17integral_constantIbLb0EES18_EEDaS13_S14_EUlS13_E_NS1_11comp_targetILNS1_3genE0ELNS1_11target_archE4294967295ELNS1_3gpuE0ELNS1_3repE0EEENS1_30default_config_static_selectorELNS0_4arch9wavefront6targetE0EEEvT1_,comdat
	.protected	_ZN7rocprim17ROCPRIM_400000_NS6detail17trampoline_kernelINS0_14default_configENS1_25partition_config_selectorILNS1_17partition_subalgoE6EiNS0_10empty_typeEbEEZZNS1_14partition_implILS5_6ELb0ES3_mN6thrust23THRUST_200600_302600_NS6detail15normal_iteratorINSA_10device_ptrIiEEEEPS6_SG_NS0_5tupleIJSF_S6_EEENSH_IJSG_SG_EEES6_PlJNSB_9not_fun_tI7is_trueIiEEEEEE10hipError_tPvRmT3_T4_T5_T6_T7_T9_mT8_P12ihipStream_tbDpT10_ENKUlT_T0_E_clISt17integral_constantIbLb0EES18_EEDaS13_S14_EUlS13_E_NS1_11comp_targetILNS1_3genE0ELNS1_11target_archE4294967295ELNS1_3gpuE0ELNS1_3repE0EEENS1_30default_config_static_selectorELNS0_4arch9wavefront6targetE0EEEvT1_ ; -- Begin function _ZN7rocprim17ROCPRIM_400000_NS6detail17trampoline_kernelINS0_14default_configENS1_25partition_config_selectorILNS1_17partition_subalgoE6EiNS0_10empty_typeEbEEZZNS1_14partition_implILS5_6ELb0ES3_mN6thrust23THRUST_200600_302600_NS6detail15normal_iteratorINSA_10device_ptrIiEEEEPS6_SG_NS0_5tupleIJSF_S6_EEENSH_IJSG_SG_EEES6_PlJNSB_9not_fun_tI7is_trueIiEEEEEE10hipError_tPvRmT3_T4_T5_T6_T7_T9_mT8_P12ihipStream_tbDpT10_ENKUlT_T0_E_clISt17integral_constantIbLb0EES18_EEDaS13_S14_EUlS13_E_NS1_11comp_targetILNS1_3genE0ELNS1_11target_archE4294967295ELNS1_3gpuE0ELNS1_3repE0EEENS1_30default_config_static_selectorELNS0_4arch9wavefront6targetE0EEEvT1_
	.globl	_ZN7rocprim17ROCPRIM_400000_NS6detail17trampoline_kernelINS0_14default_configENS1_25partition_config_selectorILNS1_17partition_subalgoE6EiNS0_10empty_typeEbEEZZNS1_14partition_implILS5_6ELb0ES3_mN6thrust23THRUST_200600_302600_NS6detail15normal_iteratorINSA_10device_ptrIiEEEEPS6_SG_NS0_5tupleIJSF_S6_EEENSH_IJSG_SG_EEES6_PlJNSB_9not_fun_tI7is_trueIiEEEEEE10hipError_tPvRmT3_T4_T5_T6_T7_T9_mT8_P12ihipStream_tbDpT10_ENKUlT_T0_E_clISt17integral_constantIbLb0EES18_EEDaS13_S14_EUlS13_E_NS1_11comp_targetILNS1_3genE0ELNS1_11target_archE4294967295ELNS1_3gpuE0ELNS1_3repE0EEENS1_30default_config_static_selectorELNS0_4arch9wavefront6targetE0EEEvT1_
	.p2align	8
	.type	_ZN7rocprim17ROCPRIM_400000_NS6detail17trampoline_kernelINS0_14default_configENS1_25partition_config_selectorILNS1_17partition_subalgoE6EiNS0_10empty_typeEbEEZZNS1_14partition_implILS5_6ELb0ES3_mN6thrust23THRUST_200600_302600_NS6detail15normal_iteratorINSA_10device_ptrIiEEEEPS6_SG_NS0_5tupleIJSF_S6_EEENSH_IJSG_SG_EEES6_PlJNSB_9not_fun_tI7is_trueIiEEEEEE10hipError_tPvRmT3_T4_T5_T6_T7_T9_mT8_P12ihipStream_tbDpT10_ENKUlT_T0_E_clISt17integral_constantIbLb0EES18_EEDaS13_S14_EUlS13_E_NS1_11comp_targetILNS1_3genE0ELNS1_11target_archE4294967295ELNS1_3gpuE0ELNS1_3repE0EEENS1_30default_config_static_selectorELNS0_4arch9wavefront6targetE0EEEvT1_,@function
_ZN7rocprim17ROCPRIM_400000_NS6detail17trampoline_kernelINS0_14default_configENS1_25partition_config_selectorILNS1_17partition_subalgoE6EiNS0_10empty_typeEbEEZZNS1_14partition_implILS5_6ELb0ES3_mN6thrust23THRUST_200600_302600_NS6detail15normal_iteratorINSA_10device_ptrIiEEEEPS6_SG_NS0_5tupleIJSF_S6_EEENSH_IJSG_SG_EEES6_PlJNSB_9not_fun_tI7is_trueIiEEEEEE10hipError_tPvRmT3_T4_T5_T6_T7_T9_mT8_P12ihipStream_tbDpT10_ENKUlT_T0_E_clISt17integral_constantIbLb0EES18_EEDaS13_S14_EUlS13_E_NS1_11comp_targetILNS1_3genE0ELNS1_11target_archE4294967295ELNS1_3gpuE0ELNS1_3repE0EEENS1_30default_config_static_selectorELNS0_4arch9wavefront6targetE0EEEvT1_: ; @_ZN7rocprim17ROCPRIM_400000_NS6detail17trampoline_kernelINS0_14default_configENS1_25partition_config_selectorILNS1_17partition_subalgoE6EiNS0_10empty_typeEbEEZZNS1_14partition_implILS5_6ELb0ES3_mN6thrust23THRUST_200600_302600_NS6detail15normal_iteratorINSA_10device_ptrIiEEEEPS6_SG_NS0_5tupleIJSF_S6_EEENSH_IJSG_SG_EEES6_PlJNSB_9not_fun_tI7is_trueIiEEEEEE10hipError_tPvRmT3_T4_T5_T6_T7_T9_mT8_P12ihipStream_tbDpT10_ENKUlT_T0_E_clISt17integral_constantIbLb0EES18_EEDaS13_S14_EUlS13_E_NS1_11comp_targetILNS1_3genE0ELNS1_11target_archE4294967295ELNS1_3gpuE0ELNS1_3repE0EEENS1_30default_config_static_selectorELNS0_4arch9wavefront6targetE0EEEvT1_
; %bb.0:
	.section	.rodata,"a",@progbits
	.p2align	6, 0x0
	.amdhsa_kernel _ZN7rocprim17ROCPRIM_400000_NS6detail17trampoline_kernelINS0_14default_configENS1_25partition_config_selectorILNS1_17partition_subalgoE6EiNS0_10empty_typeEbEEZZNS1_14partition_implILS5_6ELb0ES3_mN6thrust23THRUST_200600_302600_NS6detail15normal_iteratorINSA_10device_ptrIiEEEEPS6_SG_NS0_5tupleIJSF_S6_EEENSH_IJSG_SG_EEES6_PlJNSB_9not_fun_tI7is_trueIiEEEEEE10hipError_tPvRmT3_T4_T5_T6_T7_T9_mT8_P12ihipStream_tbDpT10_ENKUlT_T0_E_clISt17integral_constantIbLb0EES18_EEDaS13_S14_EUlS13_E_NS1_11comp_targetILNS1_3genE0ELNS1_11target_archE4294967295ELNS1_3gpuE0ELNS1_3repE0EEENS1_30default_config_static_selectorELNS0_4arch9wavefront6targetE0EEEvT1_
		.amdhsa_group_segment_fixed_size 0
		.amdhsa_private_segment_fixed_size 0
		.amdhsa_kernarg_size 112
		.amdhsa_user_sgpr_count 2
		.amdhsa_user_sgpr_dispatch_ptr 0
		.amdhsa_user_sgpr_queue_ptr 0
		.amdhsa_user_sgpr_kernarg_segment_ptr 1
		.amdhsa_user_sgpr_dispatch_id 0
		.amdhsa_user_sgpr_private_segment_size 0
		.amdhsa_wavefront_size32 1
		.amdhsa_uses_dynamic_stack 0
		.amdhsa_enable_private_segment 0
		.amdhsa_system_sgpr_workgroup_id_x 1
		.amdhsa_system_sgpr_workgroup_id_y 0
		.amdhsa_system_sgpr_workgroup_id_z 0
		.amdhsa_system_sgpr_workgroup_info 0
		.amdhsa_system_vgpr_workitem_id 0
		.amdhsa_next_free_vgpr 1
		.amdhsa_next_free_sgpr 1
		.amdhsa_reserve_vcc 0
		.amdhsa_float_round_mode_32 0
		.amdhsa_float_round_mode_16_64 0
		.amdhsa_float_denorm_mode_32 3
		.amdhsa_float_denorm_mode_16_64 3
		.amdhsa_fp16_overflow 0
		.amdhsa_workgroup_processor_mode 1
		.amdhsa_memory_ordered 1
		.amdhsa_forward_progress 1
		.amdhsa_inst_pref_size 0
		.amdhsa_round_robin_scheduling 0
		.amdhsa_exception_fp_ieee_invalid_op 0
		.amdhsa_exception_fp_denorm_src 0
		.amdhsa_exception_fp_ieee_div_zero 0
		.amdhsa_exception_fp_ieee_overflow 0
		.amdhsa_exception_fp_ieee_underflow 0
		.amdhsa_exception_fp_ieee_inexact 0
		.amdhsa_exception_int_div_zero 0
	.end_amdhsa_kernel
	.section	.text._ZN7rocprim17ROCPRIM_400000_NS6detail17trampoline_kernelINS0_14default_configENS1_25partition_config_selectorILNS1_17partition_subalgoE6EiNS0_10empty_typeEbEEZZNS1_14partition_implILS5_6ELb0ES3_mN6thrust23THRUST_200600_302600_NS6detail15normal_iteratorINSA_10device_ptrIiEEEEPS6_SG_NS0_5tupleIJSF_S6_EEENSH_IJSG_SG_EEES6_PlJNSB_9not_fun_tI7is_trueIiEEEEEE10hipError_tPvRmT3_T4_T5_T6_T7_T9_mT8_P12ihipStream_tbDpT10_ENKUlT_T0_E_clISt17integral_constantIbLb0EES18_EEDaS13_S14_EUlS13_E_NS1_11comp_targetILNS1_3genE0ELNS1_11target_archE4294967295ELNS1_3gpuE0ELNS1_3repE0EEENS1_30default_config_static_selectorELNS0_4arch9wavefront6targetE0EEEvT1_,"axG",@progbits,_ZN7rocprim17ROCPRIM_400000_NS6detail17trampoline_kernelINS0_14default_configENS1_25partition_config_selectorILNS1_17partition_subalgoE6EiNS0_10empty_typeEbEEZZNS1_14partition_implILS5_6ELb0ES3_mN6thrust23THRUST_200600_302600_NS6detail15normal_iteratorINSA_10device_ptrIiEEEEPS6_SG_NS0_5tupleIJSF_S6_EEENSH_IJSG_SG_EEES6_PlJNSB_9not_fun_tI7is_trueIiEEEEEE10hipError_tPvRmT3_T4_T5_T6_T7_T9_mT8_P12ihipStream_tbDpT10_ENKUlT_T0_E_clISt17integral_constantIbLb0EES18_EEDaS13_S14_EUlS13_E_NS1_11comp_targetILNS1_3genE0ELNS1_11target_archE4294967295ELNS1_3gpuE0ELNS1_3repE0EEENS1_30default_config_static_selectorELNS0_4arch9wavefront6targetE0EEEvT1_,comdat
.Lfunc_end1237:
	.size	_ZN7rocprim17ROCPRIM_400000_NS6detail17trampoline_kernelINS0_14default_configENS1_25partition_config_selectorILNS1_17partition_subalgoE6EiNS0_10empty_typeEbEEZZNS1_14partition_implILS5_6ELb0ES3_mN6thrust23THRUST_200600_302600_NS6detail15normal_iteratorINSA_10device_ptrIiEEEEPS6_SG_NS0_5tupleIJSF_S6_EEENSH_IJSG_SG_EEES6_PlJNSB_9not_fun_tI7is_trueIiEEEEEE10hipError_tPvRmT3_T4_T5_T6_T7_T9_mT8_P12ihipStream_tbDpT10_ENKUlT_T0_E_clISt17integral_constantIbLb0EES18_EEDaS13_S14_EUlS13_E_NS1_11comp_targetILNS1_3genE0ELNS1_11target_archE4294967295ELNS1_3gpuE0ELNS1_3repE0EEENS1_30default_config_static_selectorELNS0_4arch9wavefront6targetE0EEEvT1_, .Lfunc_end1237-_ZN7rocprim17ROCPRIM_400000_NS6detail17trampoline_kernelINS0_14default_configENS1_25partition_config_selectorILNS1_17partition_subalgoE6EiNS0_10empty_typeEbEEZZNS1_14partition_implILS5_6ELb0ES3_mN6thrust23THRUST_200600_302600_NS6detail15normal_iteratorINSA_10device_ptrIiEEEEPS6_SG_NS0_5tupleIJSF_S6_EEENSH_IJSG_SG_EEES6_PlJNSB_9not_fun_tI7is_trueIiEEEEEE10hipError_tPvRmT3_T4_T5_T6_T7_T9_mT8_P12ihipStream_tbDpT10_ENKUlT_T0_E_clISt17integral_constantIbLb0EES18_EEDaS13_S14_EUlS13_E_NS1_11comp_targetILNS1_3genE0ELNS1_11target_archE4294967295ELNS1_3gpuE0ELNS1_3repE0EEENS1_30default_config_static_selectorELNS0_4arch9wavefront6targetE0EEEvT1_
                                        ; -- End function
	.set _ZN7rocprim17ROCPRIM_400000_NS6detail17trampoline_kernelINS0_14default_configENS1_25partition_config_selectorILNS1_17partition_subalgoE6EiNS0_10empty_typeEbEEZZNS1_14partition_implILS5_6ELb0ES3_mN6thrust23THRUST_200600_302600_NS6detail15normal_iteratorINSA_10device_ptrIiEEEEPS6_SG_NS0_5tupleIJSF_S6_EEENSH_IJSG_SG_EEES6_PlJNSB_9not_fun_tI7is_trueIiEEEEEE10hipError_tPvRmT3_T4_T5_T6_T7_T9_mT8_P12ihipStream_tbDpT10_ENKUlT_T0_E_clISt17integral_constantIbLb0EES18_EEDaS13_S14_EUlS13_E_NS1_11comp_targetILNS1_3genE0ELNS1_11target_archE4294967295ELNS1_3gpuE0ELNS1_3repE0EEENS1_30default_config_static_selectorELNS0_4arch9wavefront6targetE0EEEvT1_.num_vgpr, 0
	.set _ZN7rocprim17ROCPRIM_400000_NS6detail17trampoline_kernelINS0_14default_configENS1_25partition_config_selectorILNS1_17partition_subalgoE6EiNS0_10empty_typeEbEEZZNS1_14partition_implILS5_6ELb0ES3_mN6thrust23THRUST_200600_302600_NS6detail15normal_iteratorINSA_10device_ptrIiEEEEPS6_SG_NS0_5tupleIJSF_S6_EEENSH_IJSG_SG_EEES6_PlJNSB_9not_fun_tI7is_trueIiEEEEEE10hipError_tPvRmT3_T4_T5_T6_T7_T9_mT8_P12ihipStream_tbDpT10_ENKUlT_T0_E_clISt17integral_constantIbLb0EES18_EEDaS13_S14_EUlS13_E_NS1_11comp_targetILNS1_3genE0ELNS1_11target_archE4294967295ELNS1_3gpuE0ELNS1_3repE0EEENS1_30default_config_static_selectorELNS0_4arch9wavefront6targetE0EEEvT1_.num_agpr, 0
	.set _ZN7rocprim17ROCPRIM_400000_NS6detail17trampoline_kernelINS0_14default_configENS1_25partition_config_selectorILNS1_17partition_subalgoE6EiNS0_10empty_typeEbEEZZNS1_14partition_implILS5_6ELb0ES3_mN6thrust23THRUST_200600_302600_NS6detail15normal_iteratorINSA_10device_ptrIiEEEEPS6_SG_NS0_5tupleIJSF_S6_EEENSH_IJSG_SG_EEES6_PlJNSB_9not_fun_tI7is_trueIiEEEEEE10hipError_tPvRmT3_T4_T5_T6_T7_T9_mT8_P12ihipStream_tbDpT10_ENKUlT_T0_E_clISt17integral_constantIbLb0EES18_EEDaS13_S14_EUlS13_E_NS1_11comp_targetILNS1_3genE0ELNS1_11target_archE4294967295ELNS1_3gpuE0ELNS1_3repE0EEENS1_30default_config_static_selectorELNS0_4arch9wavefront6targetE0EEEvT1_.numbered_sgpr, 0
	.set _ZN7rocprim17ROCPRIM_400000_NS6detail17trampoline_kernelINS0_14default_configENS1_25partition_config_selectorILNS1_17partition_subalgoE6EiNS0_10empty_typeEbEEZZNS1_14partition_implILS5_6ELb0ES3_mN6thrust23THRUST_200600_302600_NS6detail15normal_iteratorINSA_10device_ptrIiEEEEPS6_SG_NS0_5tupleIJSF_S6_EEENSH_IJSG_SG_EEES6_PlJNSB_9not_fun_tI7is_trueIiEEEEEE10hipError_tPvRmT3_T4_T5_T6_T7_T9_mT8_P12ihipStream_tbDpT10_ENKUlT_T0_E_clISt17integral_constantIbLb0EES18_EEDaS13_S14_EUlS13_E_NS1_11comp_targetILNS1_3genE0ELNS1_11target_archE4294967295ELNS1_3gpuE0ELNS1_3repE0EEENS1_30default_config_static_selectorELNS0_4arch9wavefront6targetE0EEEvT1_.num_named_barrier, 0
	.set _ZN7rocprim17ROCPRIM_400000_NS6detail17trampoline_kernelINS0_14default_configENS1_25partition_config_selectorILNS1_17partition_subalgoE6EiNS0_10empty_typeEbEEZZNS1_14partition_implILS5_6ELb0ES3_mN6thrust23THRUST_200600_302600_NS6detail15normal_iteratorINSA_10device_ptrIiEEEEPS6_SG_NS0_5tupleIJSF_S6_EEENSH_IJSG_SG_EEES6_PlJNSB_9not_fun_tI7is_trueIiEEEEEE10hipError_tPvRmT3_T4_T5_T6_T7_T9_mT8_P12ihipStream_tbDpT10_ENKUlT_T0_E_clISt17integral_constantIbLb0EES18_EEDaS13_S14_EUlS13_E_NS1_11comp_targetILNS1_3genE0ELNS1_11target_archE4294967295ELNS1_3gpuE0ELNS1_3repE0EEENS1_30default_config_static_selectorELNS0_4arch9wavefront6targetE0EEEvT1_.private_seg_size, 0
	.set _ZN7rocprim17ROCPRIM_400000_NS6detail17trampoline_kernelINS0_14default_configENS1_25partition_config_selectorILNS1_17partition_subalgoE6EiNS0_10empty_typeEbEEZZNS1_14partition_implILS5_6ELb0ES3_mN6thrust23THRUST_200600_302600_NS6detail15normal_iteratorINSA_10device_ptrIiEEEEPS6_SG_NS0_5tupleIJSF_S6_EEENSH_IJSG_SG_EEES6_PlJNSB_9not_fun_tI7is_trueIiEEEEEE10hipError_tPvRmT3_T4_T5_T6_T7_T9_mT8_P12ihipStream_tbDpT10_ENKUlT_T0_E_clISt17integral_constantIbLb0EES18_EEDaS13_S14_EUlS13_E_NS1_11comp_targetILNS1_3genE0ELNS1_11target_archE4294967295ELNS1_3gpuE0ELNS1_3repE0EEENS1_30default_config_static_selectorELNS0_4arch9wavefront6targetE0EEEvT1_.uses_vcc, 0
	.set _ZN7rocprim17ROCPRIM_400000_NS6detail17trampoline_kernelINS0_14default_configENS1_25partition_config_selectorILNS1_17partition_subalgoE6EiNS0_10empty_typeEbEEZZNS1_14partition_implILS5_6ELb0ES3_mN6thrust23THRUST_200600_302600_NS6detail15normal_iteratorINSA_10device_ptrIiEEEEPS6_SG_NS0_5tupleIJSF_S6_EEENSH_IJSG_SG_EEES6_PlJNSB_9not_fun_tI7is_trueIiEEEEEE10hipError_tPvRmT3_T4_T5_T6_T7_T9_mT8_P12ihipStream_tbDpT10_ENKUlT_T0_E_clISt17integral_constantIbLb0EES18_EEDaS13_S14_EUlS13_E_NS1_11comp_targetILNS1_3genE0ELNS1_11target_archE4294967295ELNS1_3gpuE0ELNS1_3repE0EEENS1_30default_config_static_selectorELNS0_4arch9wavefront6targetE0EEEvT1_.uses_flat_scratch, 0
	.set _ZN7rocprim17ROCPRIM_400000_NS6detail17trampoline_kernelINS0_14default_configENS1_25partition_config_selectorILNS1_17partition_subalgoE6EiNS0_10empty_typeEbEEZZNS1_14partition_implILS5_6ELb0ES3_mN6thrust23THRUST_200600_302600_NS6detail15normal_iteratorINSA_10device_ptrIiEEEEPS6_SG_NS0_5tupleIJSF_S6_EEENSH_IJSG_SG_EEES6_PlJNSB_9not_fun_tI7is_trueIiEEEEEE10hipError_tPvRmT3_T4_T5_T6_T7_T9_mT8_P12ihipStream_tbDpT10_ENKUlT_T0_E_clISt17integral_constantIbLb0EES18_EEDaS13_S14_EUlS13_E_NS1_11comp_targetILNS1_3genE0ELNS1_11target_archE4294967295ELNS1_3gpuE0ELNS1_3repE0EEENS1_30default_config_static_selectorELNS0_4arch9wavefront6targetE0EEEvT1_.has_dyn_sized_stack, 0
	.set _ZN7rocprim17ROCPRIM_400000_NS6detail17trampoline_kernelINS0_14default_configENS1_25partition_config_selectorILNS1_17partition_subalgoE6EiNS0_10empty_typeEbEEZZNS1_14partition_implILS5_6ELb0ES3_mN6thrust23THRUST_200600_302600_NS6detail15normal_iteratorINSA_10device_ptrIiEEEEPS6_SG_NS0_5tupleIJSF_S6_EEENSH_IJSG_SG_EEES6_PlJNSB_9not_fun_tI7is_trueIiEEEEEE10hipError_tPvRmT3_T4_T5_T6_T7_T9_mT8_P12ihipStream_tbDpT10_ENKUlT_T0_E_clISt17integral_constantIbLb0EES18_EEDaS13_S14_EUlS13_E_NS1_11comp_targetILNS1_3genE0ELNS1_11target_archE4294967295ELNS1_3gpuE0ELNS1_3repE0EEENS1_30default_config_static_selectorELNS0_4arch9wavefront6targetE0EEEvT1_.has_recursion, 0
	.set _ZN7rocprim17ROCPRIM_400000_NS6detail17trampoline_kernelINS0_14default_configENS1_25partition_config_selectorILNS1_17partition_subalgoE6EiNS0_10empty_typeEbEEZZNS1_14partition_implILS5_6ELb0ES3_mN6thrust23THRUST_200600_302600_NS6detail15normal_iteratorINSA_10device_ptrIiEEEEPS6_SG_NS0_5tupleIJSF_S6_EEENSH_IJSG_SG_EEES6_PlJNSB_9not_fun_tI7is_trueIiEEEEEE10hipError_tPvRmT3_T4_T5_T6_T7_T9_mT8_P12ihipStream_tbDpT10_ENKUlT_T0_E_clISt17integral_constantIbLb0EES18_EEDaS13_S14_EUlS13_E_NS1_11comp_targetILNS1_3genE0ELNS1_11target_archE4294967295ELNS1_3gpuE0ELNS1_3repE0EEENS1_30default_config_static_selectorELNS0_4arch9wavefront6targetE0EEEvT1_.has_indirect_call, 0
	.section	.AMDGPU.csdata,"",@progbits
; Kernel info:
; codeLenInByte = 0
; TotalNumSgprs: 0
; NumVgprs: 0
; ScratchSize: 0
; MemoryBound: 0
; FloatMode: 240
; IeeeMode: 1
; LDSByteSize: 0 bytes/workgroup (compile time only)
; SGPRBlocks: 0
; VGPRBlocks: 0
; NumSGPRsForWavesPerEU: 1
; NumVGPRsForWavesPerEU: 1
; Occupancy: 16
; WaveLimiterHint : 0
; COMPUTE_PGM_RSRC2:SCRATCH_EN: 0
; COMPUTE_PGM_RSRC2:USER_SGPR: 2
; COMPUTE_PGM_RSRC2:TRAP_HANDLER: 0
; COMPUTE_PGM_RSRC2:TGID_X_EN: 1
; COMPUTE_PGM_RSRC2:TGID_Y_EN: 0
; COMPUTE_PGM_RSRC2:TGID_Z_EN: 0
; COMPUTE_PGM_RSRC2:TIDIG_COMP_CNT: 0
	.section	.text._ZN7rocprim17ROCPRIM_400000_NS6detail17trampoline_kernelINS0_14default_configENS1_25partition_config_selectorILNS1_17partition_subalgoE6EiNS0_10empty_typeEbEEZZNS1_14partition_implILS5_6ELb0ES3_mN6thrust23THRUST_200600_302600_NS6detail15normal_iteratorINSA_10device_ptrIiEEEEPS6_SG_NS0_5tupleIJSF_S6_EEENSH_IJSG_SG_EEES6_PlJNSB_9not_fun_tI7is_trueIiEEEEEE10hipError_tPvRmT3_T4_T5_T6_T7_T9_mT8_P12ihipStream_tbDpT10_ENKUlT_T0_E_clISt17integral_constantIbLb0EES18_EEDaS13_S14_EUlS13_E_NS1_11comp_targetILNS1_3genE5ELNS1_11target_archE942ELNS1_3gpuE9ELNS1_3repE0EEENS1_30default_config_static_selectorELNS0_4arch9wavefront6targetE0EEEvT1_,"axG",@progbits,_ZN7rocprim17ROCPRIM_400000_NS6detail17trampoline_kernelINS0_14default_configENS1_25partition_config_selectorILNS1_17partition_subalgoE6EiNS0_10empty_typeEbEEZZNS1_14partition_implILS5_6ELb0ES3_mN6thrust23THRUST_200600_302600_NS6detail15normal_iteratorINSA_10device_ptrIiEEEEPS6_SG_NS0_5tupleIJSF_S6_EEENSH_IJSG_SG_EEES6_PlJNSB_9not_fun_tI7is_trueIiEEEEEE10hipError_tPvRmT3_T4_T5_T6_T7_T9_mT8_P12ihipStream_tbDpT10_ENKUlT_T0_E_clISt17integral_constantIbLb0EES18_EEDaS13_S14_EUlS13_E_NS1_11comp_targetILNS1_3genE5ELNS1_11target_archE942ELNS1_3gpuE9ELNS1_3repE0EEENS1_30default_config_static_selectorELNS0_4arch9wavefront6targetE0EEEvT1_,comdat
	.protected	_ZN7rocprim17ROCPRIM_400000_NS6detail17trampoline_kernelINS0_14default_configENS1_25partition_config_selectorILNS1_17partition_subalgoE6EiNS0_10empty_typeEbEEZZNS1_14partition_implILS5_6ELb0ES3_mN6thrust23THRUST_200600_302600_NS6detail15normal_iteratorINSA_10device_ptrIiEEEEPS6_SG_NS0_5tupleIJSF_S6_EEENSH_IJSG_SG_EEES6_PlJNSB_9not_fun_tI7is_trueIiEEEEEE10hipError_tPvRmT3_T4_T5_T6_T7_T9_mT8_P12ihipStream_tbDpT10_ENKUlT_T0_E_clISt17integral_constantIbLb0EES18_EEDaS13_S14_EUlS13_E_NS1_11comp_targetILNS1_3genE5ELNS1_11target_archE942ELNS1_3gpuE9ELNS1_3repE0EEENS1_30default_config_static_selectorELNS0_4arch9wavefront6targetE0EEEvT1_ ; -- Begin function _ZN7rocprim17ROCPRIM_400000_NS6detail17trampoline_kernelINS0_14default_configENS1_25partition_config_selectorILNS1_17partition_subalgoE6EiNS0_10empty_typeEbEEZZNS1_14partition_implILS5_6ELb0ES3_mN6thrust23THRUST_200600_302600_NS6detail15normal_iteratorINSA_10device_ptrIiEEEEPS6_SG_NS0_5tupleIJSF_S6_EEENSH_IJSG_SG_EEES6_PlJNSB_9not_fun_tI7is_trueIiEEEEEE10hipError_tPvRmT3_T4_T5_T6_T7_T9_mT8_P12ihipStream_tbDpT10_ENKUlT_T0_E_clISt17integral_constantIbLb0EES18_EEDaS13_S14_EUlS13_E_NS1_11comp_targetILNS1_3genE5ELNS1_11target_archE942ELNS1_3gpuE9ELNS1_3repE0EEENS1_30default_config_static_selectorELNS0_4arch9wavefront6targetE0EEEvT1_
	.globl	_ZN7rocprim17ROCPRIM_400000_NS6detail17trampoline_kernelINS0_14default_configENS1_25partition_config_selectorILNS1_17partition_subalgoE6EiNS0_10empty_typeEbEEZZNS1_14partition_implILS5_6ELb0ES3_mN6thrust23THRUST_200600_302600_NS6detail15normal_iteratorINSA_10device_ptrIiEEEEPS6_SG_NS0_5tupleIJSF_S6_EEENSH_IJSG_SG_EEES6_PlJNSB_9not_fun_tI7is_trueIiEEEEEE10hipError_tPvRmT3_T4_T5_T6_T7_T9_mT8_P12ihipStream_tbDpT10_ENKUlT_T0_E_clISt17integral_constantIbLb0EES18_EEDaS13_S14_EUlS13_E_NS1_11comp_targetILNS1_3genE5ELNS1_11target_archE942ELNS1_3gpuE9ELNS1_3repE0EEENS1_30default_config_static_selectorELNS0_4arch9wavefront6targetE0EEEvT1_
	.p2align	8
	.type	_ZN7rocprim17ROCPRIM_400000_NS6detail17trampoline_kernelINS0_14default_configENS1_25partition_config_selectorILNS1_17partition_subalgoE6EiNS0_10empty_typeEbEEZZNS1_14partition_implILS5_6ELb0ES3_mN6thrust23THRUST_200600_302600_NS6detail15normal_iteratorINSA_10device_ptrIiEEEEPS6_SG_NS0_5tupleIJSF_S6_EEENSH_IJSG_SG_EEES6_PlJNSB_9not_fun_tI7is_trueIiEEEEEE10hipError_tPvRmT3_T4_T5_T6_T7_T9_mT8_P12ihipStream_tbDpT10_ENKUlT_T0_E_clISt17integral_constantIbLb0EES18_EEDaS13_S14_EUlS13_E_NS1_11comp_targetILNS1_3genE5ELNS1_11target_archE942ELNS1_3gpuE9ELNS1_3repE0EEENS1_30default_config_static_selectorELNS0_4arch9wavefront6targetE0EEEvT1_,@function
_ZN7rocprim17ROCPRIM_400000_NS6detail17trampoline_kernelINS0_14default_configENS1_25partition_config_selectorILNS1_17partition_subalgoE6EiNS0_10empty_typeEbEEZZNS1_14partition_implILS5_6ELb0ES3_mN6thrust23THRUST_200600_302600_NS6detail15normal_iteratorINSA_10device_ptrIiEEEEPS6_SG_NS0_5tupleIJSF_S6_EEENSH_IJSG_SG_EEES6_PlJNSB_9not_fun_tI7is_trueIiEEEEEE10hipError_tPvRmT3_T4_T5_T6_T7_T9_mT8_P12ihipStream_tbDpT10_ENKUlT_T0_E_clISt17integral_constantIbLb0EES18_EEDaS13_S14_EUlS13_E_NS1_11comp_targetILNS1_3genE5ELNS1_11target_archE942ELNS1_3gpuE9ELNS1_3repE0EEENS1_30default_config_static_selectorELNS0_4arch9wavefront6targetE0EEEvT1_: ; @_ZN7rocprim17ROCPRIM_400000_NS6detail17trampoline_kernelINS0_14default_configENS1_25partition_config_selectorILNS1_17partition_subalgoE6EiNS0_10empty_typeEbEEZZNS1_14partition_implILS5_6ELb0ES3_mN6thrust23THRUST_200600_302600_NS6detail15normal_iteratorINSA_10device_ptrIiEEEEPS6_SG_NS0_5tupleIJSF_S6_EEENSH_IJSG_SG_EEES6_PlJNSB_9not_fun_tI7is_trueIiEEEEEE10hipError_tPvRmT3_T4_T5_T6_T7_T9_mT8_P12ihipStream_tbDpT10_ENKUlT_T0_E_clISt17integral_constantIbLb0EES18_EEDaS13_S14_EUlS13_E_NS1_11comp_targetILNS1_3genE5ELNS1_11target_archE942ELNS1_3gpuE9ELNS1_3repE0EEENS1_30default_config_static_selectorELNS0_4arch9wavefront6targetE0EEEvT1_
; %bb.0:
	.section	.rodata,"a",@progbits
	.p2align	6, 0x0
	.amdhsa_kernel _ZN7rocprim17ROCPRIM_400000_NS6detail17trampoline_kernelINS0_14default_configENS1_25partition_config_selectorILNS1_17partition_subalgoE6EiNS0_10empty_typeEbEEZZNS1_14partition_implILS5_6ELb0ES3_mN6thrust23THRUST_200600_302600_NS6detail15normal_iteratorINSA_10device_ptrIiEEEEPS6_SG_NS0_5tupleIJSF_S6_EEENSH_IJSG_SG_EEES6_PlJNSB_9not_fun_tI7is_trueIiEEEEEE10hipError_tPvRmT3_T4_T5_T6_T7_T9_mT8_P12ihipStream_tbDpT10_ENKUlT_T0_E_clISt17integral_constantIbLb0EES18_EEDaS13_S14_EUlS13_E_NS1_11comp_targetILNS1_3genE5ELNS1_11target_archE942ELNS1_3gpuE9ELNS1_3repE0EEENS1_30default_config_static_selectorELNS0_4arch9wavefront6targetE0EEEvT1_
		.amdhsa_group_segment_fixed_size 0
		.amdhsa_private_segment_fixed_size 0
		.amdhsa_kernarg_size 112
		.amdhsa_user_sgpr_count 2
		.amdhsa_user_sgpr_dispatch_ptr 0
		.amdhsa_user_sgpr_queue_ptr 0
		.amdhsa_user_sgpr_kernarg_segment_ptr 1
		.amdhsa_user_sgpr_dispatch_id 0
		.amdhsa_user_sgpr_private_segment_size 0
		.amdhsa_wavefront_size32 1
		.amdhsa_uses_dynamic_stack 0
		.amdhsa_enable_private_segment 0
		.amdhsa_system_sgpr_workgroup_id_x 1
		.amdhsa_system_sgpr_workgroup_id_y 0
		.amdhsa_system_sgpr_workgroup_id_z 0
		.amdhsa_system_sgpr_workgroup_info 0
		.amdhsa_system_vgpr_workitem_id 0
		.amdhsa_next_free_vgpr 1
		.amdhsa_next_free_sgpr 1
		.amdhsa_reserve_vcc 0
		.amdhsa_float_round_mode_32 0
		.amdhsa_float_round_mode_16_64 0
		.amdhsa_float_denorm_mode_32 3
		.amdhsa_float_denorm_mode_16_64 3
		.amdhsa_fp16_overflow 0
		.amdhsa_workgroup_processor_mode 1
		.amdhsa_memory_ordered 1
		.amdhsa_forward_progress 1
		.amdhsa_inst_pref_size 0
		.amdhsa_round_robin_scheduling 0
		.amdhsa_exception_fp_ieee_invalid_op 0
		.amdhsa_exception_fp_denorm_src 0
		.amdhsa_exception_fp_ieee_div_zero 0
		.amdhsa_exception_fp_ieee_overflow 0
		.amdhsa_exception_fp_ieee_underflow 0
		.amdhsa_exception_fp_ieee_inexact 0
		.amdhsa_exception_int_div_zero 0
	.end_amdhsa_kernel
	.section	.text._ZN7rocprim17ROCPRIM_400000_NS6detail17trampoline_kernelINS0_14default_configENS1_25partition_config_selectorILNS1_17partition_subalgoE6EiNS0_10empty_typeEbEEZZNS1_14partition_implILS5_6ELb0ES3_mN6thrust23THRUST_200600_302600_NS6detail15normal_iteratorINSA_10device_ptrIiEEEEPS6_SG_NS0_5tupleIJSF_S6_EEENSH_IJSG_SG_EEES6_PlJNSB_9not_fun_tI7is_trueIiEEEEEE10hipError_tPvRmT3_T4_T5_T6_T7_T9_mT8_P12ihipStream_tbDpT10_ENKUlT_T0_E_clISt17integral_constantIbLb0EES18_EEDaS13_S14_EUlS13_E_NS1_11comp_targetILNS1_3genE5ELNS1_11target_archE942ELNS1_3gpuE9ELNS1_3repE0EEENS1_30default_config_static_selectorELNS0_4arch9wavefront6targetE0EEEvT1_,"axG",@progbits,_ZN7rocprim17ROCPRIM_400000_NS6detail17trampoline_kernelINS0_14default_configENS1_25partition_config_selectorILNS1_17partition_subalgoE6EiNS0_10empty_typeEbEEZZNS1_14partition_implILS5_6ELb0ES3_mN6thrust23THRUST_200600_302600_NS6detail15normal_iteratorINSA_10device_ptrIiEEEEPS6_SG_NS0_5tupleIJSF_S6_EEENSH_IJSG_SG_EEES6_PlJNSB_9not_fun_tI7is_trueIiEEEEEE10hipError_tPvRmT3_T4_T5_T6_T7_T9_mT8_P12ihipStream_tbDpT10_ENKUlT_T0_E_clISt17integral_constantIbLb0EES18_EEDaS13_S14_EUlS13_E_NS1_11comp_targetILNS1_3genE5ELNS1_11target_archE942ELNS1_3gpuE9ELNS1_3repE0EEENS1_30default_config_static_selectorELNS0_4arch9wavefront6targetE0EEEvT1_,comdat
.Lfunc_end1238:
	.size	_ZN7rocprim17ROCPRIM_400000_NS6detail17trampoline_kernelINS0_14default_configENS1_25partition_config_selectorILNS1_17partition_subalgoE6EiNS0_10empty_typeEbEEZZNS1_14partition_implILS5_6ELb0ES3_mN6thrust23THRUST_200600_302600_NS6detail15normal_iteratorINSA_10device_ptrIiEEEEPS6_SG_NS0_5tupleIJSF_S6_EEENSH_IJSG_SG_EEES6_PlJNSB_9not_fun_tI7is_trueIiEEEEEE10hipError_tPvRmT3_T4_T5_T6_T7_T9_mT8_P12ihipStream_tbDpT10_ENKUlT_T0_E_clISt17integral_constantIbLb0EES18_EEDaS13_S14_EUlS13_E_NS1_11comp_targetILNS1_3genE5ELNS1_11target_archE942ELNS1_3gpuE9ELNS1_3repE0EEENS1_30default_config_static_selectorELNS0_4arch9wavefront6targetE0EEEvT1_, .Lfunc_end1238-_ZN7rocprim17ROCPRIM_400000_NS6detail17trampoline_kernelINS0_14default_configENS1_25partition_config_selectorILNS1_17partition_subalgoE6EiNS0_10empty_typeEbEEZZNS1_14partition_implILS5_6ELb0ES3_mN6thrust23THRUST_200600_302600_NS6detail15normal_iteratorINSA_10device_ptrIiEEEEPS6_SG_NS0_5tupleIJSF_S6_EEENSH_IJSG_SG_EEES6_PlJNSB_9not_fun_tI7is_trueIiEEEEEE10hipError_tPvRmT3_T4_T5_T6_T7_T9_mT8_P12ihipStream_tbDpT10_ENKUlT_T0_E_clISt17integral_constantIbLb0EES18_EEDaS13_S14_EUlS13_E_NS1_11comp_targetILNS1_3genE5ELNS1_11target_archE942ELNS1_3gpuE9ELNS1_3repE0EEENS1_30default_config_static_selectorELNS0_4arch9wavefront6targetE0EEEvT1_
                                        ; -- End function
	.set _ZN7rocprim17ROCPRIM_400000_NS6detail17trampoline_kernelINS0_14default_configENS1_25partition_config_selectorILNS1_17partition_subalgoE6EiNS0_10empty_typeEbEEZZNS1_14partition_implILS5_6ELb0ES3_mN6thrust23THRUST_200600_302600_NS6detail15normal_iteratorINSA_10device_ptrIiEEEEPS6_SG_NS0_5tupleIJSF_S6_EEENSH_IJSG_SG_EEES6_PlJNSB_9not_fun_tI7is_trueIiEEEEEE10hipError_tPvRmT3_T4_T5_T6_T7_T9_mT8_P12ihipStream_tbDpT10_ENKUlT_T0_E_clISt17integral_constantIbLb0EES18_EEDaS13_S14_EUlS13_E_NS1_11comp_targetILNS1_3genE5ELNS1_11target_archE942ELNS1_3gpuE9ELNS1_3repE0EEENS1_30default_config_static_selectorELNS0_4arch9wavefront6targetE0EEEvT1_.num_vgpr, 0
	.set _ZN7rocprim17ROCPRIM_400000_NS6detail17trampoline_kernelINS0_14default_configENS1_25partition_config_selectorILNS1_17partition_subalgoE6EiNS0_10empty_typeEbEEZZNS1_14partition_implILS5_6ELb0ES3_mN6thrust23THRUST_200600_302600_NS6detail15normal_iteratorINSA_10device_ptrIiEEEEPS6_SG_NS0_5tupleIJSF_S6_EEENSH_IJSG_SG_EEES6_PlJNSB_9not_fun_tI7is_trueIiEEEEEE10hipError_tPvRmT3_T4_T5_T6_T7_T9_mT8_P12ihipStream_tbDpT10_ENKUlT_T0_E_clISt17integral_constantIbLb0EES18_EEDaS13_S14_EUlS13_E_NS1_11comp_targetILNS1_3genE5ELNS1_11target_archE942ELNS1_3gpuE9ELNS1_3repE0EEENS1_30default_config_static_selectorELNS0_4arch9wavefront6targetE0EEEvT1_.num_agpr, 0
	.set _ZN7rocprim17ROCPRIM_400000_NS6detail17trampoline_kernelINS0_14default_configENS1_25partition_config_selectorILNS1_17partition_subalgoE6EiNS0_10empty_typeEbEEZZNS1_14partition_implILS5_6ELb0ES3_mN6thrust23THRUST_200600_302600_NS6detail15normal_iteratorINSA_10device_ptrIiEEEEPS6_SG_NS0_5tupleIJSF_S6_EEENSH_IJSG_SG_EEES6_PlJNSB_9not_fun_tI7is_trueIiEEEEEE10hipError_tPvRmT3_T4_T5_T6_T7_T9_mT8_P12ihipStream_tbDpT10_ENKUlT_T0_E_clISt17integral_constantIbLb0EES18_EEDaS13_S14_EUlS13_E_NS1_11comp_targetILNS1_3genE5ELNS1_11target_archE942ELNS1_3gpuE9ELNS1_3repE0EEENS1_30default_config_static_selectorELNS0_4arch9wavefront6targetE0EEEvT1_.numbered_sgpr, 0
	.set _ZN7rocprim17ROCPRIM_400000_NS6detail17trampoline_kernelINS0_14default_configENS1_25partition_config_selectorILNS1_17partition_subalgoE6EiNS0_10empty_typeEbEEZZNS1_14partition_implILS5_6ELb0ES3_mN6thrust23THRUST_200600_302600_NS6detail15normal_iteratorINSA_10device_ptrIiEEEEPS6_SG_NS0_5tupleIJSF_S6_EEENSH_IJSG_SG_EEES6_PlJNSB_9not_fun_tI7is_trueIiEEEEEE10hipError_tPvRmT3_T4_T5_T6_T7_T9_mT8_P12ihipStream_tbDpT10_ENKUlT_T0_E_clISt17integral_constantIbLb0EES18_EEDaS13_S14_EUlS13_E_NS1_11comp_targetILNS1_3genE5ELNS1_11target_archE942ELNS1_3gpuE9ELNS1_3repE0EEENS1_30default_config_static_selectorELNS0_4arch9wavefront6targetE0EEEvT1_.num_named_barrier, 0
	.set _ZN7rocprim17ROCPRIM_400000_NS6detail17trampoline_kernelINS0_14default_configENS1_25partition_config_selectorILNS1_17partition_subalgoE6EiNS0_10empty_typeEbEEZZNS1_14partition_implILS5_6ELb0ES3_mN6thrust23THRUST_200600_302600_NS6detail15normal_iteratorINSA_10device_ptrIiEEEEPS6_SG_NS0_5tupleIJSF_S6_EEENSH_IJSG_SG_EEES6_PlJNSB_9not_fun_tI7is_trueIiEEEEEE10hipError_tPvRmT3_T4_T5_T6_T7_T9_mT8_P12ihipStream_tbDpT10_ENKUlT_T0_E_clISt17integral_constantIbLb0EES18_EEDaS13_S14_EUlS13_E_NS1_11comp_targetILNS1_3genE5ELNS1_11target_archE942ELNS1_3gpuE9ELNS1_3repE0EEENS1_30default_config_static_selectorELNS0_4arch9wavefront6targetE0EEEvT1_.private_seg_size, 0
	.set _ZN7rocprim17ROCPRIM_400000_NS6detail17trampoline_kernelINS0_14default_configENS1_25partition_config_selectorILNS1_17partition_subalgoE6EiNS0_10empty_typeEbEEZZNS1_14partition_implILS5_6ELb0ES3_mN6thrust23THRUST_200600_302600_NS6detail15normal_iteratorINSA_10device_ptrIiEEEEPS6_SG_NS0_5tupleIJSF_S6_EEENSH_IJSG_SG_EEES6_PlJNSB_9not_fun_tI7is_trueIiEEEEEE10hipError_tPvRmT3_T4_T5_T6_T7_T9_mT8_P12ihipStream_tbDpT10_ENKUlT_T0_E_clISt17integral_constantIbLb0EES18_EEDaS13_S14_EUlS13_E_NS1_11comp_targetILNS1_3genE5ELNS1_11target_archE942ELNS1_3gpuE9ELNS1_3repE0EEENS1_30default_config_static_selectorELNS0_4arch9wavefront6targetE0EEEvT1_.uses_vcc, 0
	.set _ZN7rocprim17ROCPRIM_400000_NS6detail17trampoline_kernelINS0_14default_configENS1_25partition_config_selectorILNS1_17partition_subalgoE6EiNS0_10empty_typeEbEEZZNS1_14partition_implILS5_6ELb0ES3_mN6thrust23THRUST_200600_302600_NS6detail15normal_iteratorINSA_10device_ptrIiEEEEPS6_SG_NS0_5tupleIJSF_S6_EEENSH_IJSG_SG_EEES6_PlJNSB_9not_fun_tI7is_trueIiEEEEEE10hipError_tPvRmT3_T4_T5_T6_T7_T9_mT8_P12ihipStream_tbDpT10_ENKUlT_T0_E_clISt17integral_constantIbLb0EES18_EEDaS13_S14_EUlS13_E_NS1_11comp_targetILNS1_3genE5ELNS1_11target_archE942ELNS1_3gpuE9ELNS1_3repE0EEENS1_30default_config_static_selectorELNS0_4arch9wavefront6targetE0EEEvT1_.uses_flat_scratch, 0
	.set _ZN7rocprim17ROCPRIM_400000_NS6detail17trampoline_kernelINS0_14default_configENS1_25partition_config_selectorILNS1_17partition_subalgoE6EiNS0_10empty_typeEbEEZZNS1_14partition_implILS5_6ELb0ES3_mN6thrust23THRUST_200600_302600_NS6detail15normal_iteratorINSA_10device_ptrIiEEEEPS6_SG_NS0_5tupleIJSF_S6_EEENSH_IJSG_SG_EEES6_PlJNSB_9not_fun_tI7is_trueIiEEEEEE10hipError_tPvRmT3_T4_T5_T6_T7_T9_mT8_P12ihipStream_tbDpT10_ENKUlT_T0_E_clISt17integral_constantIbLb0EES18_EEDaS13_S14_EUlS13_E_NS1_11comp_targetILNS1_3genE5ELNS1_11target_archE942ELNS1_3gpuE9ELNS1_3repE0EEENS1_30default_config_static_selectorELNS0_4arch9wavefront6targetE0EEEvT1_.has_dyn_sized_stack, 0
	.set _ZN7rocprim17ROCPRIM_400000_NS6detail17trampoline_kernelINS0_14default_configENS1_25partition_config_selectorILNS1_17partition_subalgoE6EiNS0_10empty_typeEbEEZZNS1_14partition_implILS5_6ELb0ES3_mN6thrust23THRUST_200600_302600_NS6detail15normal_iteratorINSA_10device_ptrIiEEEEPS6_SG_NS0_5tupleIJSF_S6_EEENSH_IJSG_SG_EEES6_PlJNSB_9not_fun_tI7is_trueIiEEEEEE10hipError_tPvRmT3_T4_T5_T6_T7_T9_mT8_P12ihipStream_tbDpT10_ENKUlT_T0_E_clISt17integral_constantIbLb0EES18_EEDaS13_S14_EUlS13_E_NS1_11comp_targetILNS1_3genE5ELNS1_11target_archE942ELNS1_3gpuE9ELNS1_3repE0EEENS1_30default_config_static_selectorELNS0_4arch9wavefront6targetE0EEEvT1_.has_recursion, 0
	.set _ZN7rocprim17ROCPRIM_400000_NS6detail17trampoline_kernelINS0_14default_configENS1_25partition_config_selectorILNS1_17partition_subalgoE6EiNS0_10empty_typeEbEEZZNS1_14partition_implILS5_6ELb0ES3_mN6thrust23THRUST_200600_302600_NS6detail15normal_iteratorINSA_10device_ptrIiEEEEPS6_SG_NS0_5tupleIJSF_S6_EEENSH_IJSG_SG_EEES6_PlJNSB_9not_fun_tI7is_trueIiEEEEEE10hipError_tPvRmT3_T4_T5_T6_T7_T9_mT8_P12ihipStream_tbDpT10_ENKUlT_T0_E_clISt17integral_constantIbLb0EES18_EEDaS13_S14_EUlS13_E_NS1_11comp_targetILNS1_3genE5ELNS1_11target_archE942ELNS1_3gpuE9ELNS1_3repE0EEENS1_30default_config_static_selectorELNS0_4arch9wavefront6targetE0EEEvT1_.has_indirect_call, 0
	.section	.AMDGPU.csdata,"",@progbits
; Kernel info:
; codeLenInByte = 0
; TotalNumSgprs: 0
; NumVgprs: 0
; ScratchSize: 0
; MemoryBound: 0
; FloatMode: 240
; IeeeMode: 1
; LDSByteSize: 0 bytes/workgroup (compile time only)
; SGPRBlocks: 0
; VGPRBlocks: 0
; NumSGPRsForWavesPerEU: 1
; NumVGPRsForWavesPerEU: 1
; Occupancy: 16
; WaveLimiterHint : 0
; COMPUTE_PGM_RSRC2:SCRATCH_EN: 0
; COMPUTE_PGM_RSRC2:USER_SGPR: 2
; COMPUTE_PGM_RSRC2:TRAP_HANDLER: 0
; COMPUTE_PGM_RSRC2:TGID_X_EN: 1
; COMPUTE_PGM_RSRC2:TGID_Y_EN: 0
; COMPUTE_PGM_RSRC2:TGID_Z_EN: 0
; COMPUTE_PGM_RSRC2:TIDIG_COMP_CNT: 0
	.section	.text._ZN7rocprim17ROCPRIM_400000_NS6detail17trampoline_kernelINS0_14default_configENS1_25partition_config_selectorILNS1_17partition_subalgoE6EiNS0_10empty_typeEbEEZZNS1_14partition_implILS5_6ELb0ES3_mN6thrust23THRUST_200600_302600_NS6detail15normal_iteratorINSA_10device_ptrIiEEEEPS6_SG_NS0_5tupleIJSF_S6_EEENSH_IJSG_SG_EEES6_PlJNSB_9not_fun_tI7is_trueIiEEEEEE10hipError_tPvRmT3_T4_T5_T6_T7_T9_mT8_P12ihipStream_tbDpT10_ENKUlT_T0_E_clISt17integral_constantIbLb0EES18_EEDaS13_S14_EUlS13_E_NS1_11comp_targetILNS1_3genE4ELNS1_11target_archE910ELNS1_3gpuE8ELNS1_3repE0EEENS1_30default_config_static_selectorELNS0_4arch9wavefront6targetE0EEEvT1_,"axG",@progbits,_ZN7rocprim17ROCPRIM_400000_NS6detail17trampoline_kernelINS0_14default_configENS1_25partition_config_selectorILNS1_17partition_subalgoE6EiNS0_10empty_typeEbEEZZNS1_14partition_implILS5_6ELb0ES3_mN6thrust23THRUST_200600_302600_NS6detail15normal_iteratorINSA_10device_ptrIiEEEEPS6_SG_NS0_5tupleIJSF_S6_EEENSH_IJSG_SG_EEES6_PlJNSB_9not_fun_tI7is_trueIiEEEEEE10hipError_tPvRmT3_T4_T5_T6_T7_T9_mT8_P12ihipStream_tbDpT10_ENKUlT_T0_E_clISt17integral_constantIbLb0EES18_EEDaS13_S14_EUlS13_E_NS1_11comp_targetILNS1_3genE4ELNS1_11target_archE910ELNS1_3gpuE8ELNS1_3repE0EEENS1_30default_config_static_selectorELNS0_4arch9wavefront6targetE0EEEvT1_,comdat
	.protected	_ZN7rocprim17ROCPRIM_400000_NS6detail17trampoline_kernelINS0_14default_configENS1_25partition_config_selectorILNS1_17partition_subalgoE6EiNS0_10empty_typeEbEEZZNS1_14partition_implILS5_6ELb0ES3_mN6thrust23THRUST_200600_302600_NS6detail15normal_iteratorINSA_10device_ptrIiEEEEPS6_SG_NS0_5tupleIJSF_S6_EEENSH_IJSG_SG_EEES6_PlJNSB_9not_fun_tI7is_trueIiEEEEEE10hipError_tPvRmT3_T4_T5_T6_T7_T9_mT8_P12ihipStream_tbDpT10_ENKUlT_T0_E_clISt17integral_constantIbLb0EES18_EEDaS13_S14_EUlS13_E_NS1_11comp_targetILNS1_3genE4ELNS1_11target_archE910ELNS1_3gpuE8ELNS1_3repE0EEENS1_30default_config_static_selectorELNS0_4arch9wavefront6targetE0EEEvT1_ ; -- Begin function _ZN7rocprim17ROCPRIM_400000_NS6detail17trampoline_kernelINS0_14default_configENS1_25partition_config_selectorILNS1_17partition_subalgoE6EiNS0_10empty_typeEbEEZZNS1_14partition_implILS5_6ELb0ES3_mN6thrust23THRUST_200600_302600_NS6detail15normal_iteratorINSA_10device_ptrIiEEEEPS6_SG_NS0_5tupleIJSF_S6_EEENSH_IJSG_SG_EEES6_PlJNSB_9not_fun_tI7is_trueIiEEEEEE10hipError_tPvRmT3_T4_T5_T6_T7_T9_mT8_P12ihipStream_tbDpT10_ENKUlT_T0_E_clISt17integral_constantIbLb0EES18_EEDaS13_S14_EUlS13_E_NS1_11comp_targetILNS1_3genE4ELNS1_11target_archE910ELNS1_3gpuE8ELNS1_3repE0EEENS1_30default_config_static_selectorELNS0_4arch9wavefront6targetE0EEEvT1_
	.globl	_ZN7rocprim17ROCPRIM_400000_NS6detail17trampoline_kernelINS0_14default_configENS1_25partition_config_selectorILNS1_17partition_subalgoE6EiNS0_10empty_typeEbEEZZNS1_14partition_implILS5_6ELb0ES3_mN6thrust23THRUST_200600_302600_NS6detail15normal_iteratorINSA_10device_ptrIiEEEEPS6_SG_NS0_5tupleIJSF_S6_EEENSH_IJSG_SG_EEES6_PlJNSB_9not_fun_tI7is_trueIiEEEEEE10hipError_tPvRmT3_T4_T5_T6_T7_T9_mT8_P12ihipStream_tbDpT10_ENKUlT_T0_E_clISt17integral_constantIbLb0EES18_EEDaS13_S14_EUlS13_E_NS1_11comp_targetILNS1_3genE4ELNS1_11target_archE910ELNS1_3gpuE8ELNS1_3repE0EEENS1_30default_config_static_selectorELNS0_4arch9wavefront6targetE0EEEvT1_
	.p2align	8
	.type	_ZN7rocprim17ROCPRIM_400000_NS6detail17trampoline_kernelINS0_14default_configENS1_25partition_config_selectorILNS1_17partition_subalgoE6EiNS0_10empty_typeEbEEZZNS1_14partition_implILS5_6ELb0ES3_mN6thrust23THRUST_200600_302600_NS6detail15normal_iteratorINSA_10device_ptrIiEEEEPS6_SG_NS0_5tupleIJSF_S6_EEENSH_IJSG_SG_EEES6_PlJNSB_9not_fun_tI7is_trueIiEEEEEE10hipError_tPvRmT3_T4_T5_T6_T7_T9_mT8_P12ihipStream_tbDpT10_ENKUlT_T0_E_clISt17integral_constantIbLb0EES18_EEDaS13_S14_EUlS13_E_NS1_11comp_targetILNS1_3genE4ELNS1_11target_archE910ELNS1_3gpuE8ELNS1_3repE0EEENS1_30default_config_static_selectorELNS0_4arch9wavefront6targetE0EEEvT1_,@function
_ZN7rocprim17ROCPRIM_400000_NS6detail17trampoline_kernelINS0_14default_configENS1_25partition_config_selectorILNS1_17partition_subalgoE6EiNS0_10empty_typeEbEEZZNS1_14partition_implILS5_6ELb0ES3_mN6thrust23THRUST_200600_302600_NS6detail15normal_iteratorINSA_10device_ptrIiEEEEPS6_SG_NS0_5tupleIJSF_S6_EEENSH_IJSG_SG_EEES6_PlJNSB_9not_fun_tI7is_trueIiEEEEEE10hipError_tPvRmT3_T4_T5_T6_T7_T9_mT8_P12ihipStream_tbDpT10_ENKUlT_T0_E_clISt17integral_constantIbLb0EES18_EEDaS13_S14_EUlS13_E_NS1_11comp_targetILNS1_3genE4ELNS1_11target_archE910ELNS1_3gpuE8ELNS1_3repE0EEENS1_30default_config_static_selectorELNS0_4arch9wavefront6targetE0EEEvT1_: ; @_ZN7rocprim17ROCPRIM_400000_NS6detail17trampoline_kernelINS0_14default_configENS1_25partition_config_selectorILNS1_17partition_subalgoE6EiNS0_10empty_typeEbEEZZNS1_14partition_implILS5_6ELb0ES3_mN6thrust23THRUST_200600_302600_NS6detail15normal_iteratorINSA_10device_ptrIiEEEEPS6_SG_NS0_5tupleIJSF_S6_EEENSH_IJSG_SG_EEES6_PlJNSB_9not_fun_tI7is_trueIiEEEEEE10hipError_tPvRmT3_T4_T5_T6_T7_T9_mT8_P12ihipStream_tbDpT10_ENKUlT_T0_E_clISt17integral_constantIbLb0EES18_EEDaS13_S14_EUlS13_E_NS1_11comp_targetILNS1_3genE4ELNS1_11target_archE910ELNS1_3gpuE8ELNS1_3repE0EEENS1_30default_config_static_selectorELNS0_4arch9wavefront6targetE0EEEvT1_
; %bb.0:
	.section	.rodata,"a",@progbits
	.p2align	6, 0x0
	.amdhsa_kernel _ZN7rocprim17ROCPRIM_400000_NS6detail17trampoline_kernelINS0_14default_configENS1_25partition_config_selectorILNS1_17partition_subalgoE6EiNS0_10empty_typeEbEEZZNS1_14partition_implILS5_6ELb0ES3_mN6thrust23THRUST_200600_302600_NS6detail15normal_iteratorINSA_10device_ptrIiEEEEPS6_SG_NS0_5tupleIJSF_S6_EEENSH_IJSG_SG_EEES6_PlJNSB_9not_fun_tI7is_trueIiEEEEEE10hipError_tPvRmT3_T4_T5_T6_T7_T9_mT8_P12ihipStream_tbDpT10_ENKUlT_T0_E_clISt17integral_constantIbLb0EES18_EEDaS13_S14_EUlS13_E_NS1_11comp_targetILNS1_3genE4ELNS1_11target_archE910ELNS1_3gpuE8ELNS1_3repE0EEENS1_30default_config_static_selectorELNS0_4arch9wavefront6targetE0EEEvT1_
		.amdhsa_group_segment_fixed_size 0
		.amdhsa_private_segment_fixed_size 0
		.amdhsa_kernarg_size 112
		.amdhsa_user_sgpr_count 2
		.amdhsa_user_sgpr_dispatch_ptr 0
		.amdhsa_user_sgpr_queue_ptr 0
		.amdhsa_user_sgpr_kernarg_segment_ptr 1
		.amdhsa_user_sgpr_dispatch_id 0
		.amdhsa_user_sgpr_private_segment_size 0
		.amdhsa_wavefront_size32 1
		.amdhsa_uses_dynamic_stack 0
		.amdhsa_enable_private_segment 0
		.amdhsa_system_sgpr_workgroup_id_x 1
		.amdhsa_system_sgpr_workgroup_id_y 0
		.amdhsa_system_sgpr_workgroup_id_z 0
		.amdhsa_system_sgpr_workgroup_info 0
		.amdhsa_system_vgpr_workitem_id 0
		.amdhsa_next_free_vgpr 1
		.amdhsa_next_free_sgpr 1
		.amdhsa_reserve_vcc 0
		.amdhsa_float_round_mode_32 0
		.amdhsa_float_round_mode_16_64 0
		.amdhsa_float_denorm_mode_32 3
		.amdhsa_float_denorm_mode_16_64 3
		.amdhsa_fp16_overflow 0
		.amdhsa_workgroup_processor_mode 1
		.amdhsa_memory_ordered 1
		.amdhsa_forward_progress 1
		.amdhsa_inst_pref_size 0
		.amdhsa_round_robin_scheduling 0
		.amdhsa_exception_fp_ieee_invalid_op 0
		.amdhsa_exception_fp_denorm_src 0
		.amdhsa_exception_fp_ieee_div_zero 0
		.amdhsa_exception_fp_ieee_overflow 0
		.amdhsa_exception_fp_ieee_underflow 0
		.amdhsa_exception_fp_ieee_inexact 0
		.amdhsa_exception_int_div_zero 0
	.end_amdhsa_kernel
	.section	.text._ZN7rocprim17ROCPRIM_400000_NS6detail17trampoline_kernelINS0_14default_configENS1_25partition_config_selectorILNS1_17partition_subalgoE6EiNS0_10empty_typeEbEEZZNS1_14partition_implILS5_6ELb0ES3_mN6thrust23THRUST_200600_302600_NS6detail15normal_iteratorINSA_10device_ptrIiEEEEPS6_SG_NS0_5tupleIJSF_S6_EEENSH_IJSG_SG_EEES6_PlJNSB_9not_fun_tI7is_trueIiEEEEEE10hipError_tPvRmT3_T4_T5_T6_T7_T9_mT8_P12ihipStream_tbDpT10_ENKUlT_T0_E_clISt17integral_constantIbLb0EES18_EEDaS13_S14_EUlS13_E_NS1_11comp_targetILNS1_3genE4ELNS1_11target_archE910ELNS1_3gpuE8ELNS1_3repE0EEENS1_30default_config_static_selectorELNS0_4arch9wavefront6targetE0EEEvT1_,"axG",@progbits,_ZN7rocprim17ROCPRIM_400000_NS6detail17trampoline_kernelINS0_14default_configENS1_25partition_config_selectorILNS1_17partition_subalgoE6EiNS0_10empty_typeEbEEZZNS1_14partition_implILS5_6ELb0ES3_mN6thrust23THRUST_200600_302600_NS6detail15normal_iteratorINSA_10device_ptrIiEEEEPS6_SG_NS0_5tupleIJSF_S6_EEENSH_IJSG_SG_EEES6_PlJNSB_9not_fun_tI7is_trueIiEEEEEE10hipError_tPvRmT3_T4_T5_T6_T7_T9_mT8_P12ihipStream_tbDpT10_ENKUlT_T0_E_clISt17integral_constantIbLb0EES18_EEDaS13_S14_EUlS13_E_NS1_11comp_targetILNS1_3genE4ELNS1_11target_archE910ELNS1_3gpuE8ELNS1_3repE0EEENS1_30default_config_static_selectorELNS0_4arch9wavefront6targetE0EEEvT1_,comdat
.Lfunc_end1239:
	.size	_ZN7rocprim17ROCPRIM_400000_NS6detail17trampoline_kernelINS0_14default_configENS1_25partition_config_selectorILNS1_17partition_subalgoE6EiNS0_10empty_typeEbEEZZNS1_14partition_implILS5_6ELb0ES3_mN6thrust23THRUST_200600_302600_NS6detail15normal_iteratorINSA_10device_ptrIiEEEEPS6_SG_NS0_5tupleIJSF_S6_EEENSH_IJSG_SG_EEES6_PlJNSB_9not_fun_tI7is_trueIiEEEEEE10hipError_tPvRmT3_T4_T5_T6_T7_T9_mT8_P12ihipStream_tbDpT10_ENKUlT_T0_E_clISt17integral_constantIbLb0EES18_EEDaS13_S14_EUlS13_E_NS1_11comp_targetILNS1_3genE4ELNS1_11target_archE910ELNS1_3gpuE8ELNS1_3repE0EEENS1_30default_config_static_selectorELNS0_4arch9wavefront6targetE0EEEvT1_, .Lfunc_end1239-_ZN7rocprim17ROCPRIM_400000_NS6detail17trampoline_kernelINS0_14default_configENS1_25partition_config_selectorILNS1_17partition_subalgoE6EiNS0_10empty_typeEbEEZZNS1_14partition_implILS5_6ELb0ES3_mN6thrust23THRUST_200600_302600_NS6detail15normal_iteratorINSA_10device_ptrIiEEEEPS6_SG_NS0_5tupleIJSF_S6_EEENSH_IJSG_SG_EEES6_PlJNSB_9not_fun_tI7is_trueIiEEEEEE10hipError_tPvRmT3_T4_T5_T6_T7_T9_mT8_P12ihipStream_tbDpT10_ENKUlT_T0_E_clISt17integral_constantIbLb0EES18_EEDaS13_S14_EUlS13_E_NS1_11comp_targetILNS1_3genE4ELNS1_11target_archE910ELNS1_3gpuE8ELNS1_3repE0EEENS1_30default_config_static_selectorELNS0_4arch9wavefront6targetE0EEEvT1_
                                        ; -- End function
	.set _ZN7rocprim17ROCPRIM_400000_NS6detail17trampoline_kernelINS0_14default_configENS1_25partition_config_selectorILNS1_17partition_subalgoE6EiNS0_10empty_typeEbEEZZNS1_14partition_implILS5_6ELb0ES3_mN6thrust23THRUST_200600_302600_NS6detail15normal_iteratorINSA_10device_ptrIiEEEEPS6_SG_NS0_5tupleIJSF_S6_EEENSH_IJSG_SG_EEES6_PlJNSB_9not_fun_tI7is_trueIiEEEEEE10hipError_tPvRmT3_T4_T5_T6_T7_T9_mT8_P12ihipStream_tbDpT10_ENKUlT_T0_E_clISt17integral_constantIbLb0EES18_EEDaS13_S14_EUlS13_E_NS1_11comp_targetILNS1_3genE4ELNS1_11target_archE910ELNS1_3gpuE8ELNS1_3repE0EEENS1_30default_config_static_selectorELNS0_4arch9wavefront6targetE0EEEvT1_.num_vgpr, 0
	.set _ZN7rocprim17ROCPRIM_400000_NS6detail17trampoline_kernelINS0_14default_configENS1_25partition_config_selectorILNS1_17partition_subalgoE6EiNS0_10empty_typeEbEEZZNS1_14partition_implILS5_6ELb0ES3_mN6thrust23THRUST_200600_302600_NS6detail15normal_iteratorINSA_10device_ptrIiEEEEPS6_SG_NS0_5tupleIJSF_S6_EEENSH_IJSG_SG_EEES6_PlJNSB_9not_fun_tI7is_trueIiEEEEEE10hipError_tPvRmT3_T4_T5_T6_T7_T9_mT8_P12ihipStream_tbDpT10_ENKUlT_T0_E_clISt17integral_constantIbLb0EES18_EEDaS13_S14_EUlS13_E_NS1_11comp_targetILNS1_3genE4ELNS1_11target_archE910ELNS1_3gpuE8ELNS1_3repE0EEENS1_30default_config_static_selectorELNS0_4arch9wavefront6targetE0EEEvT1_.num_agpr, 0
	.set _ZN7rocprim17ROCPRIM_400000_NS6detail17trampoline_kernelINS0_14default_configENS1_25partition_config_selectorILNS1_17partition_subalgoE6EiNS0_10empty_typeEbEEZZNS1_14partition_implILS5_6ELb0ES3_mN6thrust23THRUST_200600_302600_NS6detail15normal_iteratorINSA_10device_ptrIiEEEEPS6_SG_NS0_5tupleIJSF_S6_EEENSH_IJSG_SG_EEES6_PlJNSB_9not_fun_tI7is_trueIiEEEEEE10hipError_tPvRmT3_T4_T5_T6_T7_T9_mT8_P12ihipStream_tbDpT10_ENKUlT_T0_E_clISt17integral_constantIbLb0EES18_EEDaS13_S14_EUlS13_E_NS1_11comp_targetILNS1_3genE4ELNS1_11target_archE910ELNS1_3gpuE8ELNS1_3repE0EEENS1_30default_config_static_selectorELNS0_4arch9wavefront6targetE0EEEvT1_.numbered_sgpr, 0
	.set _ZN7rocprim17ROCPRIM_400000_NS6detail17trampoline_kernelINS0_14default_configENS1_25partition_config_selectorILNS1_17partition_subalgoE6EiNS0_10empty_typeEbEEZZNS1_14partition_implILS5_6ELb0ES3_mN6thrust23THRUST_200600_302600_NS6detail15normal_iteratorINSA_10device_ptrIiEEEEPS6_SG_NS0_5tupleIJSF_S6_EEENSH_IJSG_SG_EEES6_PlJNSB_9not_fun_tI7is_trueIiEEEEEE10hipError_tPvRmT3_T4_T5_T6_T7_T9_mT8_P12ihipStream_tbDpT10_ENKUlT_T0_E_clISt17integral_constantIbLb0EES18_EEDaS13_S14_EUlS13_E_NS1_11comp_targetILNS1_3genE4ELNS1_11target_archE910ELNS1_3gpuE8ELNS1_3repE0EEENS1_30default_config_static_selectorELNS0_4arch9wavefront6targetE0EEEvT1_.num_named_barrier, 0
	.set _ZN7rocprim17ROCPRIM_400000_NS6detail17trampoline_kernelINS0_14default_configENS1_25partition_config_selectorILNS1_17partition_subalgoE6EiNS0_10empty_typeEbEEZZNS1_14partition_implILS5_6ELb0ES3_mN6thrust23THRUST_200600_302600_NS6detail15normal_iteratorINSA_10device_ptrIiEEEEPS6_SG_NS0_5tupleIJSF_S6_EEENSH_IJSG_SG_EEES6_PlJNSB_9not_fun_tI7is_trueIiEEEEEE10hipError_tPvRmT3_T4_T5_T6_T7_T9_mT8_P12ihipStream_tbDpT10_ENKUlT_T0_E_clISt17integral_constantIbLb0EES18_EEDaS13_S14_EUlS13_E_NS1_11comp_targetILNS1_3genE4ELNS1_11target_archE910ELNS1_3gpuE8ELNS1_3repE0EEENS1_30default_config_static_selectorELNS0_4arch9wavefront6targetE0EEEvT1_.private_seg_size, 0
	.set _ZN7rocprim17ROCPRIM_400000_NS6detail17trampoline_kernelINS0_14default_configENS1_25partition_config_selectorILNS1_17partition_subalgoE6EiNS0_10empty_typeEbEEZZNS1_14partition_implILS5_6ELb0ES3_mN6thrust23THRUST_200600_302600_NS6detail15normal_iteratorINSA_10device_ptrIiEEEEPS6_SG_NS0_5tupleIJSF_S6_EEENSH_IJSG_SG_EEES6_PlJNSB_9not_fun_tI7is_trueIiEEEEEE10hipError_tPvRmT3_T4_T5_T6_T7_T9_mT8_P12ihipStream_tbDpT10_ENKUlT_T0_E_clISt17integral_constantIbLb0EES18_EEDaS13_S14_EUlS13_E_NS1_11comp_targetILNS1_3genE4ELNS1_11target_archE910ELNS1_3gpuE8ELNS1_3repE0EEENS1_30default_config_static_selectorELNS0_4arch9wavefront6targetE0EEEvT1_.uses_vcc, 0
	.set _ZN7rocprim17ROCPRIM_400000_NS6detail17trampoline_kernelINS0_14default_configENS1_25partition_config_selectorILNS1_17partition_subalgoE6EiNS0_10empty_typeEbEEZZNS1_14partition_implILS5_6ELb0ES3_mN6thrust23THRUST_200600_302600_NS6detail15normal_iteratorINSA_10device_ptrIiEEEEPS6_SG_NS0_5tupleIJSF_S6_EEENSH_IJSG_SG_EEES6_PlJNSB_9not_fun_tI7is_trueIiEEEEEE10hipError_tPvRmT3_T4_T5_T6_T7_T9_mT8_P12ihipStream_tbDpT10_ENKUlT_T0_E_clISt17integral_constantIbLb0EES18_EEDaS13_S14_EUlS13_E_NS1_11comp_targetILNS1_3genE4ELNS1_11target_archE910ELNS1_3gpuE8ELNS1_3repE0EEENS1_30default_config_static_selectorELNS0_4arch9wavefront6targetE0EEEvT1_.uses_flat_scratch, 0
	.set _ZN7rocprim17ROCPRIM_400000_NS6detail17trampoline_kernelINS0_14default_configENS1_25partition_config_selectorILNS1_17partition_subalgoE6EiNS0_10empty_typeEbEEZZNS1_14partition_implILS5_6ELb0ES3_mN6thrust23THRUST_200600_302600_NS6detail15normal_iteratorINSA_10device_ptrIiEEEEPS6_SG_NS0_5tupleIJSF_S6_EEENSH_IJSG_SG_EEES6_PlJNSB_9not_fun_tI7is_trueIiEEEEEE10hipError_tPvRmT3_T4_T5_T6_T7_T9_mT8_P12ihipStream_tbDpT10_ENKUlT_T0_E_clISt17integral_constantIbLb0EES18_EEDaS13_S14_EUlS13_E_NS1_11comp_targetILNS1_3genE4ELNS1_11target_archE910ELNS1_3gpuE8ELNS1_3repE0EEENS1_30default_config_static_selectorELNS0_4arch9wavefront6targetE0EEEvT1_.has_dyn_sized_stack, 0
	.set _ZN7rocprim17ROCPRIM_400000_NS6detail17trampoline_kernelINS0_14default_configENS1_25partition_config_selectorILNS1_17partition_subalgoE6EiNS0_10empty_typeEbEEZZNS1_14partition_implILS5_6ELb0ES3_mN6thrust23THRUST_200600_302600_NS6detail15normal_iteratorINSA_10device_ptrIiEEEEPS6_SG_NS0_5tupleIJSF_S6_EEENSH_IJSG_SG_EEES6_PlJNSB_9not_fun_tI7is_trueIiEEEEEE10hipError_tPvRmT3_T4_T5_T6_T7_T9_mT8_P12ihipStream_tbDpT10_ENKUlT_T0_E_clISt17integral_constantIbLb0EES18_EEDaS13_S14_EUlS13_E_NS1_11comp_targetILNS1_3genE4ELNS1_11target_archE910ELNS1_3gpuE8ELNS1_3repE0EEENS1_30default_config_static_selectorELNS0_4arch9wavefront6targetE0EEEvT1_.has_recursion, 0
	.set _ZN7rocprim17ROCPRIM_400000_NS6detail17trampoline_kernelINS0_14default_configENS1_25partition_config_selectorILNS1_17partition_subalgoE6EiNS0_10empty_typeEbEEZZNS1_14partition_implILS5_6ELb0ES3_mN6thrust23THRUST_200600_302600_NS6detail15normal_iteratorINSA_10device_ptrIiEEEEPS6_SG_NS0_5tupleIJSF_S6_EEENSH_IJSG_SG_EEES6_PlJNSB_9not_fun_tI7is_trueIiEEEEEE10hipError_tPvRmT3_T4_T5_T6_T7_T9_mT8_P12ihipStream_tbDpT10_ENKUlT_T0_E_clISt17integral_constantIbLb0EES18_EEDaS13_S14_EUlS13_E_NS1_11comp_targetILNS1_3genE4ELNS1_11target_archE910ELNS1_3gpuE8ELNS1_3repE0EEENS1_30default_config_static_selectorELNS0_4arch9wavefront6targetE0EEEvT1_.has_indirect_call, 0
	.section	.AMDGPU.csdata,"",@progbits
; Kernel info:
; codeLenInByte = 0
; TotalNumSgprs: 0
; NumVgprs: 0
; ScratchSize: 0
; MemoryBound: 0
; FloatMode: 240
; IeeeMode: 1
; LDSByteSize: 0 bytes/workgroup (compile time only)
; SGPRBlocks: 0
; VGPRBlocks: 0
; NumSGPRsForWavesPerEU: 1
; NumVGPRsForWavesPerEU: 1
; Occupancy: 16
; WaveLimiterHint : 0
; COMPUTE_PGM_RSRC2:SCRATCH_EN: 0
; COMPUTE_PGM_RSRC2:USER_SGPR: 2
; COMPUTE_PGM_RSRC2:TRAP_HANDLER: 0
; COMPUTE_PGM_RSRC2:TGID_X_EN: 1
; COMPUTE_PGM_RSRC2:TGID_Y_EN: 0
; COMPUTE_PGM_RSRC2:TGID_Z_EN: 0
; COMPUTE_PGM_RSRC2:TIDIG_COMP_CNT: 0
	.section	.text._ZN7rocprim17ROCPRIM_400000_NS6detail17trampoline_kernelINS0_14default_configENS1_25partition_config_selectorILNS1_17partition_subalgoE6EiNS0_10empty_typeEbEEZZNS1_14partition_implILS5_6ELb0ES3_mN6thrust23THRUST_200600_302600_NS6detail15normal_iteratorINSA_10device_ptrIiEEEEPS6_SG_NS0_5tupleIJSF_S6_EEENSH_IJSG_SG_EEES6_PlJNSB_9not_fun_tI7is_trueIiEEEEEE10hipError_tPvRmT3_T4_T5_T6_T7_T9_mT8_P12ihipStream_tbDpT10_ENKUlT_T0_E_clISt17integral_constantIbLb0EES18_EEDaS13_S14_EUlS13_E_NS1_11comp_targetILNS1_3genE3ELNS1_11target_archE908ELNS1_3gpuE7ELNS1_3repE0EEENS1_30default_config_static_selectorELNS0_4arch9wavefront6targetE0EEEvT1_,"axG",@progbits,_ZN7rocprim17ROCPRIM_400000_NS6detail17trampoline_kernelINS0_14default_configENS1_25partition_config_selectorILNS1_17partition_subalgoE6EiNS0_10empty_typeEbEEZZNS1_14partition_implILS5_6ELb0ES3_mN6thrust23THRUST_200600_302600_NS6detail15normal_iteratorINSA_10device_ptrIiEEEEPS6_SG_NS0_5tupleIJSF_S6_EEENSH_IJSG_SG_EEES6_PlJNSB_9not_fun_tI7is_trueIiEEEEEE10hipError_tPvRmT3_T4_T5_T6_T7_T9_mT8_P12ihipStream_tbDpT10_ENKUlT_T0_E_clISt17integral_constantIbLb0EES18_EEDaS13_S14_EUlS13_E_NS1_11comp_targetILNS1_3genE3ELNS1_11target_archE908ELNS1_3gpuE7ELNS1_3repE0EEENS1_30default_config_static_selectorELNS0_4arch9wavefront6targetE0EEEvT1_,comdat
	.protected	_ZN7rocprim17ROCPRIM_400000_NS6detail17trampoline_kernelINS0_14default_configENS1_25partition_config_selectorILNS1_17partition_subalgoE6EiNS0_10empty_typeEbEEZZNS1_14partition_implILS5_6ELb0ES3_mN6thrust23THRUST_200600_302600_NS6detail15normal_iteratorINSA_10device_ptrIiEEEEPS6_SG_NS0_5tupleIJSF_S6_EEENSH_IJSG_SG_EEES6_PlJNSB_9not_fun_tI7is_trueIiEEEEEE10hipError_tPvRmT3_T4_T5_T6_T7_T9_mT8_P12ihipStream_tbDpT10_ENKUlT_T0_E_clISt17integral_constantIbLb0EES18_EEDaS13_S14_EUlS13_E_NS1_11comp_targetILNS1_3genE3ELNS1_11target_archE908ELNS1_3gpuE7ELNS1_3repE0EEENS1_30default_config_static_selectorELNS0_4arch9wavefront6targetE0EEEvT1_ ; -- Begin function _ZN7rocprim17ROCPRIM_400000_NS6detail17trampoline_kernelINS0_14default_configENS1_25partition_config_selectorILNS1_17partition_subalgoE6EiNS0_10empty_typeEbEEZZNS1_14partition_implILS5_6ELb0ES3_mN6thrust23THRUST_200600_302600_NS6detail15normal_iteratorINSA_10device_ptrIiEEEEPS6_SG_NS0_5tupleIJSF_S6_EEENSH_IJSG_SG_EEES6_PlJNSB_9not_fun_tI7is_trueIiEEEEEE10hipError_tPvRmT3_T4_T5_T6_T7_T9_mT8_P12ihipStream_tbDpT10_ENKUlT_T0_E_clISt17integral_constantIbLb0EES18_EEDaS13_S14_EUlS13_E_NS1_11comp_targetILNS1_3genE3ELNS1_11target_archE908ELNS1_3gpuE7ELNS1_3repE0EEENS1_30default_config_static_selectorELNS0_4arch9wavefront6targetE0EEEvT1_
	.globl	_ZN7rocprim17ROCPRIM_400000_NS6detail17trampoline_kernelINS0_14default_configENS1_25partition_config_selectorILNS1_17partition_subalgoE6EiNS0_10empty_typeEbEEZZNS1_14partition_implILS5_6ELb0ES3_mN6thrust23THRUST_200600_302600_NS6detail15normal_iteratorINSA_10device_ptrIiEEEEPS6_SG_NS0_5tupleIJSF_S6_EEENSH_IJSG_SG_EEES6_PlJNSB_9not_fun_tI7is_trueIiEEEEEE10hipError_tPvRmT3_T4_T5_T6_T7_T9_mT8_P12ihipStream_tbDpT10_ENKUlT_T0_E_clISt17integral_constantIbLb0EES18_EEDaS13_S14_EUlS13_E_NS1_11comp_targetILNS1_3genE3ELNS1_11target_archE908ELNS1_3gpuE7ELNS1_3repE0EEENS1_30default_config_static_selectorELNS0_4arch9wavefront6targetE0EEEvT1_
	.p2align	8
	.type	_ZN7rocprim17ROCPRIM_400000_NS6detail17trampoline_kernelINS0_14default_configENS1_25partition_config_selectorILNS1_17partition_subalgoE6EiNS0_10empty_typeEbEEZZNS1_14partition_implILS5_6ELb0ES3_mN6thrust23THRUST_200600_302600_NS6detail15normal_iteratorINSA_10device_ptrIiEEEEPS6_SG_NS0_5tupleIJSF_S6_EEENSH_IJSG_SG_EEES6_PlJNSB_9not_fun_tI7is_trueIiEEEEEE10hipError_tPvRmT3_T4_T5_T6_T7_T9_mT8_P12ihipStream_tbDpT10_ENKUlT_T0_E_clISt17integral_constantIbLb0EES18_EEDaS13_S14_EUlS13_E_NS1_11comp_targetILNS1_3genE3ELNS1_11target_archE908ELNS1_3gpuE7ELNS1_3repE0EEENS1_30default_config_static_selectorELNS0_4arch9wavefront6targetE0EEEvT1_,@function
_ZN7rocprim17ROCPRIM_400000_NS6detail17trampoline_kernelINS0_14default_configENS1_25partition_config_selectorILNS1_17partition_subalgoE6EiNS0_10empty_typeEbEEZZNS1_14partition_implILS5_6ELb0ES3_mN6thrust23THRUST_200600_302600_NS6detail15normal_iteratorINSA_10device_ptrIiEEEEPS6_SG_NS0_5tupleIJSF_S6_EEENSH_IJSG_SG_EEES6_PlJNSB_9not_fun_tI7is_trueIiEEEEEE10hipError_tPvRmT3_T4_T5_T6_T7_T9_mT8_P12ihipStream_tbDpT10_ENKUlT_T0_E_clISt17integral_constantIbLb0EES18_EEDaS13_S14_EUlS13_E_NS1_11comp_targetILNS1_3genE3ELNS1_11target_archE908ELNS1_3gpuE7ELNS1_3repE0EEENS1_30default_config_static_selectorELNS0_4arch9wavefront6targetE0EEEvT1_: ; @_ZN7rocprim17ROCPRIM_400000_NS6detail17trampoline_kernelINS0_14default_configENS1_25partition_config_selectorILNS1_17partition_subalgoE6EiNS0_10empty_typeEbEEZZNS1_14partition_implILS5_6ELb0ES3_mN6thrust23THRUST_200600_302600_NS6detail15normal_iteratorINSA_10device_ptrIiEEEEPS6_SG_NS0_5tupleIJSF_S6_EEENSH_IJSG_SG_EEES6_PlJNSB_9not_fun_tI7is_trueIiEEEEEE10hipError_tPvRmT3_T4_T5_T6_T7_T9_mT8_P12ihipStream_tbDpT10_ENKUlT_T0_E_clISt17integral_constantIbLb0EES18_EEDaS13_S14_EUlS13_E_NS1_11comp_targetILNS1_3genE3ELNS1_11target_archE908ELNS1_3gpuE7ELNS1_3repE0EEENS1_30default_config_static_selectorELNS0_4arch9wavefront6targetE0EEEvT1_
; %bb.0:
	.section	.rodata,"a",@progbits
	.p2align	6, 0x0
	.amdhsa_kernel _ZN7rocprim17ROCPRIM_400000_NS6detail17trampoline_kernelINS0_14default_configENS1_25partition_config_selectorILNS1_17partition_subalgoE6EiNS0_10empty_typeEbEEZZNS1_14partition_implILS5_6ELb0ES3_mN6thrust23THRUST_200600_302600_NS6detail15normal_iteratorINSA_10device_ptrIiEEEEPS6_SG_NS0_5tupleIJSF_S6_EEENSH_IJSG_SG_EEES6_PlJNSB_9not_fun_tI7is_trueIiEEEEEE10hipError_tPvRmT3_T4_T5_T6_T7_T9_mT8_P12ihipStream_tbDpT10_ENKUlT_T0_E_clISt17integral_constantIbLb0EES18_EEDaS13_S14_EUlS13_E_NS1_11comp_targetILNS1_3genE3ELNS1_11target_archE908ELNS1_3gpuE7ELNS1_3repE0EEENS1_30default_config_static_selectorELNS0_4arch9wavefront6targetE0EEEvT1_
		.amdhsa_group_segment_fixed_size 0
		.amdhsa_private_segment_fixed_size 0
		.amdhsa_kernarg_size 112
		.amdhsa_user_sgpr_count 2
		.amdhsa_user_sgpr_dispatch_ptr 0
		.amdhsa_user_sgpr_queue_ptr 0
		.amdhsa_user_sgpr_kernarg_segment_ptr 1
		.amdhsa_user_sgpr_dispatch_id 0
		.amdhsa_user_sgpr_private_segment_size 0
		.amdhsa_wavefront_size32 1
		.amdhsa_uses_dynamic_stack 0
		.amdhsa_enable_private_segment 0
		.amdhsa_system_sgpr_workgroup_id_x 1
		.amdhsa_system_sgpr_workgroup_id_y 0
		.amdhsa_system_sgpr_workgroup_id_z 0
		.amdhsa_system_sgpr_workgroup_info 0
		.amdhsa_system_vgpr_workitem_id 0
		.amdhsa_next_free_vgpr 1
		.amdhsa_next_free_sgpr 1
		.amdhsa_reserve_vcc 0
		.amdhsa_float_round_mode_32 0
		.amdhsa_float_round_mode_16_64 0
		.amdhsa_float_denorm_mode_32 3
		.amdhsa_float_denorm_mode_16_64 3
		.amdhsa_fp16_overflow 0
		.amdhsa_workgroup_processor_mode 1
		.amdhsa_memory_ordered 1
		.amdhsa_forward_progress 1
		.amdhsa_inst_pref_size 0
		.amdhsa_round_robin_scheduling 0
		.amdhsa_exception_fp_ieee_invalid_op 0
		.amdhsa_exception_fp_denorm_src 0
		.amdhsa_exception_fp_ieee_div_zero 0
		.amdhsa_exception_fp_ieee_overflow 0
		.amdhsa_exception_fp_ieee_underflow 0
		.amdhsa_exception_fp_ieee_inexact 0
		.amdhsa_exception_int_div_zero 0
	.end_amdhsa_kernel
	.section	.text._ZN7rocprim17ROCPRIM_400000_NS6detail17trampoline_kernelINS0_14default_configENS1_25partition_config_selectorILNS1_17partition_subalgoE6EiNS0_10empty_typeEbEEZZNS1_14partition_implILS5_6ELb0ES3_mN6thrust23THRUST_200600_302600_NS6detail15normal_iteratorINSA_10device_ptrIiEEEEPS6_SG_NS0_5tupleIJSF_S6_EEENSH_IJSG_SG_EEES6_PlJNSB_9not_fun_tI7is_trueIiEEEEEE10hipError_tPvRmT3_T4_T5_T6_T7_T9_mT8_P12ihipStream_tbDpT10_ENKUlT_T0_E_clISt17integral_constantIbLb0EES18_EEDaS13_S14_EUlS13_E_NS1_11comp_targetILNS1_3genE3ELNS1_11target_archE908ELNS1_3gpuE7ELNS1_3repE0EEENS1_30default_config_static_selectorELNS0_4arch9wavefront6targetE0EEEvT1_,"axG",@progbits,_ZN7rocprim17ROCPRIM_400000_NS6detail17trampoline_kernelINS0_14default_configENS1_25partition_config_selectorILNS1_17partition_subalgoE6EiNS0_10empty_typeEbEEZZNS1_14partition_implILS5_6ELb0ES3_mN6thrust23THRUST_200600_302600_NS6detail15normal_iteratorINSA_10device_ptrIiEEEEPS6_SG_NS0_5tupleIJSF_S6_EEENSH_IJSG_SG_EEES6_PlJNSB_9not_fun_tI7is_trueIiEEEEEE10hipError_tPvRmT3_T4_T5_T6_T7_T9_mT8_P12ihipStream_tbDpT10_ENKUlT_T0_E_clISt17integral_constantIbLb0EES18_EEDaS13_S14_EUlS13_E_NS1_11comp_targetILNS1_3genE3ELNS1_11target_archE908ELNS1_3gpuE7ELNS1_3repE0EEENS1_30default_config_static_selectorELNS0_4arch9wavefront6targetE0EEEvT1_,comdat
.Lfunc_end1240:
	.size	_ZN7rocprim17ROCPRIM_400000_NS6detail17trampoline_kernelINS0_14default_configENS1_25partition_config_selectorILNS1_17partition_subalgoE6EiNS0_10empty_typeEbEEZZNS1_14partition_implILS5_6ELb0ES3_mN6thrust23THRUST_200600_302600_NS6detail15normal_iteratorINSA_10device_ptrIiEEEEPS6_SG_NS0_5tupleIJSF_S6_EEENSH_IJSG_SG_EEES6_PlJNSB_9not_fun_tI7is_trueIiEEEEEE10hipError_tPvRmT3_T4_T5_T6_T7_T9_mT8_P12ihipStream_tbDpT10_ENKUlT_T0_E_clISt17integral_constantIbLb0EES18_EEDaS13_S14_EUlS13_E_NS1_11comp_targetILNS1_3genE3ELNS1_11target_archE908ELNS1_3gpuE7ELNS1_3repE0EEENS1_30default_config_static_selectorELNS0_4arch9wavefront6targetE0EEEvT1_, .Lfunc_end1240-_ZN7rocprim17ROCPRIM_400000_NS6detail17trampoline_kernelINS0_14default_configENS1_25partition_config_selectorILNS1_17partition_subalgoE6EiNS0_10empty_typeEbEEZZNS1_14partition_implILS5_6ELb0ES3_mN6thrust23THRUST_200600_302600_NS6detail15normal_iteratorINSA_10device_ptrIiEEEEPS6_SG_NS0_5tupleIJSF_S6_EEENSH_IJSG_SG_EEES6_PlJNSB_9not_fun_tI7is_trueIiEEEEEE10hipError_tPvRmT3_T4_T5_T6_T7_T9_mT8_P12ihipStream_tbDpT10_ENKUlT_T0_E_clISt17integral_constantIbLb0EES18_EEDaS13_S14_EUlS13_E_NS1_11comp_targetILNS1_3genE3ELNS1_11target_archE908ELNS1_3gpuE7ELNS1_3repE0EEENS1_30default_config_static_selectorELNS0_4arch9wavefront6targetE0EEEvT1_
                                        ; -- End function
	.set _ZN7rocprim17ROCPRIM_400000_NS6detail17trampoline_kernelINS0_14default_configENS1_25partition_config_selectorILNS1_17partition_subalgoE6EiNS0_10empty_typeEbEEZZNS1_14partition_implILS5_6ELb0ES3_mN6thrust23THRUST_200600_302600_NS6detail15normal_iteratorINSA_10device_ptrIiEEEEPS6_SG_NS0_5tupleIJSF_S6_EEENSH_IJSG_SG_EEES6_PlJNSB_9not_fun_tI7is_trueIiEEEEEE10hipError_tPvRmT3_T4_T5_T6_T7_T9_mT8_P12ihipStream_tbDpT10_ENKUlT_T0_E_clISt17integral_constantIbLb0EES18_EEDaS13_S14_EUlS13_E_NS1_11comp_targetILNS1_3genE3ELNS1_11target_archE908ELNS1_3gpuE7ELNS1_3repE0EEENS1_30default_config_static_selectorELNS0_4arch9wavefront6targetE0EEEvT1_.num_vgpr, 0
	.set _ZN7rocprim17ROCPRIM_400000_NS6detail17trampoline_kernelINS0_14default_configENS1_25partition_config_selectorILNS1_17partition_subalgoE6EiNS0_10empty_typeEbEEZZNS1_14partition_implILS5_6ELb0ES3_mN6thrust23THRUST_200600_302600_NS6detail15normal_iteratorINSA_10device_ptrIiEEEEPS6_SG_NS0_5tupleIJSF_S6_EEENSH_IJSG_SG_EEES6_PlJNSB_9not_fun_tI7is_trueIiEEEEEE10hipError_tPvRmT3_T4_T5_T6_T7_T9_mT8_P12ihipStream_tbDpT10_ENKUlT_T0_E_clISt17integral_constantIbLb0EES18_EEDaS13_S14_EUlS13_E_NS1_11comp_targetILNS1_3genE3ELNS1_11target_archE908ELNS1_3gpuE7ELNS1_3repE0EEENS1_30default_config_static_selectorELNS0_4arch9wavefront6targetE0EEEvT1_.num_agpr, 0
	.set _ZN7rocprim17ROCPRIM_400000_NS6detail17trampoline_kernelINS0_14default_configENS1_25partition_config_selectorILNS1_17partition_subalgoE6EiNS0_10empty_typeEbEEZZNS1_14partition_implILS5_6ELb0ES3_mN6thrust23THRUST_200600_302600_NS6detail15normal_iteratorINSA_10device_ptrIiEEEEPS6_SG_NS0_5tupleIJSF_S6_EEENSH_IJSG_SG_EEES6_PlJNSB_9not_fun_tI7is_trueIiEEEEEE10hipError_tPvRmT3_T4_T5_T6_T7_T9_mT8_P12ihipStream_tbDpT10_ENKUlT_T0_E_clISt17integral_constantIbLb0EES18_EEDaS13_S14_EUlS13_E_NS1_11comp_targetILNS1_3genE3ELNS1_11target_archE908ELNS1_3gpuE7ELNS1_3repE0EEENS1_30default_config_static_selectorELNS0_4arch9wavefront6targetE0EEEvT1_.numbered_sgpr, 0
	.set _ZN7rocprim17ROCPRIM_400000_NS6detail17trampoline_kernelINS0_14default_configENS1_25partition_config_selectorILNS1_17partition_subalgoE6EiNS0_10empty_typeEbEEZZNS1_14partition_implILS5_6ELb0ES3_mN6thrust23THRUST_200600_302600_NS6detail15normal_iteratorINSA_10device_ptrIiEEEEPS6_SG_NS0_5tupleIJSF_S6_EEENSH_IJSG_SG_EEES6_PlJNSB_9not_fun_tI7is_trueIiEEEEEE10hipError_tPvRmT3_T4_T5_T6_T7_T9_mT8_P12ihipStream_tbDpT10_ENKUlT_T0_E_clISt17integral_constantIbLb0EES18_EEDaS13_S14_EUlS13_E_NS1_11comp_targetILNS1_3genE3ELNS1_11target_archE908ELNS1_3gpuE7ELNS1_3repE0EEENS1_30default_config_static_selectorELNS0_4arch9wavefront6targetE0EEEvT1_.num_named_barrier, 0
	.set _ZN7rocprim17ROCPRIM_400000_NS6detail17trampoline_kernelINS0_14default_configENS1_25partition_config_selectorILNS1_17partition_subalgoE6EiNS0_10empty_typeEbEEZZNS1_14partition_implILS5_6ELb0ES3_mN6thrust23THRUST_200600_302600_NS6detail15normal_iteratorINSA_10device_ptrIiEEEEPS6_SG_NS0_5tupleIJSF_S6_EEENSH_IJSG_SG_EEES6_PlJNSB_9not_fun_tI7is_trueIiEEEEEE10hipError_tPvRmT3_T4_T5_T6_T7_T9_mT8_P12ihipStream_tbDpT10_ENKUlT_T0_E_clISt17integral_constantIbLb0EES18_EEDaS13_S14_EUlS13_E_NS1_11comp_targetILNS1_3genE3ELNS1_11target_archE908ELNS1_3gpuE7ELNS1_3repE0EEENS1_30default_config_static_selectorELNS0_4arch9wavefront6targetE0EEEvT1_.private_seg_size, 0
	.set _ZN7rocprim17ROCPRIM_400000_NS6detail17trampoline_kernelINS0_14default_configENS1_25partition_config_selectorILNS1_17partition_subalgoE6EiNS0_10empty_typeEbEEZZNS1_14partition_implILS5_6ELb0ES3_mN6thrust23THRUST_200600_302600_NS6detail15normal_iteratorINSA_10device_ptrIiEEEEPS6_SG_NS0_5tupleIJSF_S6_EEENSH_IJSG_SG_EEES6_PlJNSB_9not_fun_tI7is_trueIiEEEEEE10hipError_tPvRmT3_T4_T5_T6_T7_T9_mT8_P12ihipStream_tbDpT10_ENKUlT_T0_E_clISt17integral_constantIbLb0EES18_EEDaS13_S14_EUlS13_E_NS1_11comp_targetILNS1_3genE3ELNS1_11target_archE908ELNS1_3gpuE7ELNS1_3repE0EEENS1_30default_config_static_selectorELNS0_4arch9wavefront6targetE0EEEvT1_.uses_vcc, 0
	.set _ZN7rocprim17ROCPRIM_400000_NS6detail17trampoline_kernelINS0_14default_configENS1_25partition_config_selectorILNS1_17partition_subalgoE6EiNS0_10empty_typeEbEEZZNS1_14partition_implILS5_6ELb0ES3_mN6thrust23THRUST_200600_302600_NS6detail15normal_iteratorINSA_10device_ptrIiEEEEPS6_SG_NS0_5tupleIJSF_S6_EEENSH_IJSG_SG_EEES6_PlJNSB_9not_fun_tI7is_trueIiEEEEEE10hipError_tPvRmT3_T4_T5_T6_T7_T9_mT8_P12ihipStream_tbDpT10_ENKUlT_T0_E_clISt17integral_constantIbLb0EES18_EEDaS13_S14_EUlS13_E_NS1_11comp_targetILNS1_3genE3ELNS1_11target_archE908ELNS1_3gpuE7ELNS1_3repE0EEENS1_30default_config_static_selectorELNS0_4arch9wavefront6targetE0EEEvT1_.uses_flat_scratch, 0
	.set _ZN7rocprim17ROCPRIM_400000_NS6detail17trampoline_kernelINS0_14default_configENS1_25partition_config_selectorILNS1_17partition_subalgoE6EiNS0_10empty_typeEbEEZZNS1_14partition_implILS5_6ELb0ES3_mN6thrust23THRUST_200600_302600_NS6detail15normal_iteratorINSA_10device_ptrIiEEEEPS6_SG_NS0_5tupleIJSF_S6_EEENSH_IJSG_SG_EEES6_PlJNSB_9not_fun_tI7is_trueIiEEEEEE10hipError_tPvRmT3_T4_T5_T6_T7_T9_mT8_P12ihipStream_tbDpT10_ENKUlT_T0_E_clISt17integral_constantIbLb0EES18_EEDaS13_S14_EUlS13_E_NS1_11comp_targetILNS1_3genE3ELNS1_11target_archE908ELNS1_3gpuE7ELNS1_3repE0EEENS1_30default_config_static_selectorELNS0_4arch9wavefront6targetE0EEEvT1_.has_dyn_sized_stack, 0
	.set _ZN7rocprim17ROCPRIM_400000_NS6detail17trampoline_kernelINS0_14default_configENS1_25partition_config_selectorILNS1_17partition_subalgoE6EiNS0_10empty_typeEbEEZZNS1_14partition_implILS5_6ELb0ES3_mN6thrust23THRUST_200600_302600_NS6detail15normal_iteratorINSA_10device_ptrIiEEEEPS6_SG_NS0_5tupleIJSF_S6_EEENSH_IJSG_SG_EEES6_PlJNSB_9not_fun_tI7is_trueIiEEEEEE10hipError_tPvRmT3_T4_T5_T6_T7_T9_mT8_P12ihipStream_tbDpT10_ENKUlT_T0_E_clISt17integral_constantIbLb0EES18_EEDaS13_S14_EUlS13_E_NS1_11comp_targetILNS1_3genE3ELNS1_11target_archE908ELNS1_3gpuE7ELNS1_3repE0EEENS1_30default_config_static_selectorELNS0_4arch9wavefront6targetE0EEEvT1_.has_recursion, 0
	.set _ZN7rocprim17ROCPRIM_400000_NS6detail17trampoline_kernelINS0_14default_configENS1_25partition_config_selectorILNS1_17partition_subalgoE6EiNS0_10empty_typeEbEEZZNS1_14partition_implILS5_6ELb0ES3_mN6thrust23THRUST_200600_302600_NS6detail15normal_iteratorINSA_10device_ptrIiEEEEPS6_SG_NS0_5tupleIJSF_S6_EEENSH_IJSG_SG_EEES6_PlJNSB_9not_fun_tI7is_trueIiEEEEEE10hipError_tPvRmT3_T4_T5_T6_T7_T9_mT8_P12ihipStream_tbDpT10_ENKUlT_T0_E_clISt17integral_constantIbLb0EES18_EEDaS13_S14_EUlS13_E_NS1_11comp_targetILNS1_3genE3ELNS1_11target_archE908ELNS1_3gpuE7ELNS1_3repE0EEENS1_30default_config_static_selectorELNS0_4arch9wavefront6targetE0EEEvT1_.has_indirect_call, 0
	.section	.AMDGPU.csdata,"",@progbits
; Kernel info:
; codeLenInByte = 0
; TotalNumSgprs: 0
; NumVgprs: 0
; ScratchSize: 0
; MemoryBound: 0
; FloatMode: 240
; IeeeMode: 1
; LDSByteSize: 0 bytes/workgroup (compile time only)
; SGPRBlocks: 0
; VGPRBlocks: 0
; NumSGPRsForWavesPerEU: 1
; NumVGPRsForWavesPerEU: 1
; Occupancy: 16
; WaveLimiterHint : 0
; COMPUTE_PGM_RSRC2:SCRATCH_EN: 0
; COMPUTE_PGM_RSRC2:USER_SGPR: 2
; COMPUTE_PGM_RSRC2:TRAP_HANDLER: 0
; COMPUTE_PGM_RSRC2:TGID_X_EN: 1
; COMPUTE_PGM_RSRC2:TGID_Y_EN: 0
; COMPUTE_PGM_RSRC2:TGID_Z_EN: 0
; COMPUTE_PGM_RSRC2:TIDIG_COMP_CNT: 0
	.section	.text._ZN7rocprim17ROCPRIM_400000_NS6detail17trampoline_kernelINS0_14default_configENS1_25partition_config_selectorILNS1_17partition_subalgoE6EiNS0_10empty_typeEbEEZZNS1_14partition_implILS5_6ELb0ES3_mN6thrust23THRUST_200600_302600_NS6detail15normal_iteratorINSA_10device_ptrIiEEEEPS6_SG_NS0_5tupleIJSF_S6_EEENSH_IJSG_SG_EEES6_PlJNSB_9not_fun_tI7is_trueIiEEEEEE10hipError_tPvRmT3_T4_T5_T6_T7_T9_mT8_P12ihipStream_tbDpT10_ENKUlT_T0_E_clISt17integral_constantIbLb0EES18_EEDaS13_S14_EUlS13_E_NS1_11comp_targetILNS1_3genE2ELNS1_11target_archE906ELNS1_3gpuE6ELNS1_3repE0EEENS1_30default_config_static_selectorELNS0_4arch9wavefront6targetE0EEEvT1_,"axG",@progbits,_ZN7rocprim17ROCPRIM_400000_NS6detail17trampoline_kernelINS0_14default_configENS1_25partition_config_selectorILNS1_17partition_subalgoE6EiNS0_10empty_typeEbEEZZNS1_14partition_implILS5_6ELb0ES3_mN6thrust23THRUST_200600_302600_NS6detail15normal_iteratorINSA_10device_ptrIiEEEEPS6_SG_NS0_5tupleIJSF_S6_EEENSH_IJSG_SG_EEES6_PlJNSB_9not_fun_tI7is_trueIiEEEEEE10hipError_tPvRmT3_T4_T5_T6_T7_T9_mT8_P12ihipStream_tbDpT10_ENKUlT_T0_E_clISt17integral_constantIbLb0EES18_EEDaS13_S14_EUlS13_E_NS1_11comp_targetILNS1_3genE2ELNS1_11target_archE906ELNS1_3gpuE6ELNS1_3repE0EEENS1_30default_config_static_selectorELNS0_4arch9wavefront6targetE0EEEvT1_,comdat
	.protected	_ZN7rocprim17ROCPRIM_400000_NS6detail17trampoline_kernelINS0_14default_configENS1_25partition_config_selectorILNS1_17partition_subalgoE6EiNS0_10empty_typeEbEEZZNS1_14partition_implILS5_6ELb0ES3_mN6thrust23THRUST_200600_302600_NS6detail15normal_iteratorINSA_10device_ptrIiEEEEPS6_SG_NS0_5tupleIJSF_S6_EEENSH_IJSG_SG_EEES6_PlJNSB_9not_fun_tI7is_trueIiEEEEEE10hipError_tPvRmT3_T4_T5_T6_T7_T9_mT8_P12ihipStream_tbDpT10_ENKUlT_T0_E_clISt17integral_constantIbLb0EES18_EEDaS13_S14_EUlS13_E_NS1_11comp_targetILNS1_3genE2ELNS1_11target_archE906ELNS1_3gpuE6ELNS1_3repE0EEENS1_30default_config_static_selectorELNS0_4arch9wavefront6targetE0EEEvT1_ ; -- Begin function _ZN7rocprim17ROCPRIM_400000_NS6detail17trampoline_kernelINS0_14default_configENS1_25partition_config_selectorILNS1_17partition_subalgoE6EiNS0_10empty_typeEbEEZZNS1_14partition_implILS5_6ELb0ES3_mN6thrust23THRUST_200600_302600_NS6detail15normal_iteratorINSA_10device_ptrIiEEEEPS6_SG_NS0_5tupleIJSF_S6_EEENSH_IJSG_SG_EEES6_PlJNSB_9not_fun_tI7is_trueIiEEEEEE10hipError_tPvRmT3_T4_T5_T6_T7_T9_mT8_P12ihipStream_tbDpT10_ENKUlT_T0_E_clISt17integral_constantIbLb0EES18_EEDaS13_S14_EUlS13_E_NS1_11comp_targetILNS1_3genE2ELNS1_11target_archE906ELNS1_3gpuE6ELNS1_3repE0EEENS1_30default_config_static_selectorELNS0_4arch9wavefront6targetE0EEEvT1_
	.globl	_ZN7rocprim17ROCPRIM_400000_NS6detail17trampoline_kernelINS0_14default_configENS1_25partition_config_selectorILNS1_17partition_subalgoE6EiNS0_10empty_typeEbEEZZNS1_14partition_implILS5_6ELb0ES3_mN6thrust23THRUST_200600_302600_NS6detail15normal_iteratorINSA_10device_ptrIiEEEEPS6_SG_NS0_5tupleIJSF_S6_EEENSH_IJSG_SG_EEES6_PlJNSB_9not_fun_tI7is_trueIiEEEEEE10hipError_tPvRmT3_T4_T5_T6_T7_T9_mT8_P12ihipStream_tbDpT10_ENKUlT_T0_E_clISt17integral_constantIbLb0EES18_EEDaS13_S14_EUlS13_E_NS1_11comp_targetILNS1_3genE2ELNS1_11target_archE906ELNS1_3gpuE6ELNS1_3repE0EEENS1_30default_config_static_selectorELNS0_4arch9wavefront6targetE0EEEvT1_
	.p2align	8
	.type	_ZN7rocprim17ROCPRIM_400000_NS6detail17trampoline_kernelINS0_14default_configENS1_25partition_config_selectorILNS1_17partition_subalgoE6EiNS0_10empty_typeEbEEZZNS1_14partition_implILS5_6ELb0ES3_mN6thrust23THRUST_200600_302600_NS6detail15normal_iteratorINSA_10device_ptrIiEEEEPS6_SG_NS0_5tupleIJSF_S6_EEENSH_IJSG_SG_EEES6_PlJNSB_9not_fun_tI7is_trueIiEEEEEE10hipError_tPvRmT3_T4_T5_T6_T7_T9_mT8_P12ihipStream_tbDpT10_ENKUlT_T0_E_clISt17integral_constantIbLb0EES18_EEDaS13_S14_EUlS13_E_NS1_11comp_targetILNS1_3genE2ELNS1_11target_archE906ELNS1_3gpuE6ELNS1_3repE0EEENS1_30default_config_static_selectorELNS0_4arch9wavefront6targetE0EEEvT1_,@function
_ZN7rocprim17ROCPRIM_400000_NS6detail17trampoline_kernelINS0_14default_configENS1_25partition_config_selectorILNS1_17partition_subalgoE6EiNS0_10empty_typeEbEEZZNS1_14partition_implILS5_6ELb0ES3_mN6thrust23THRUST_200600_302600_NS6detail15normal_iteratorINSA_10device_ptrIiEEEEPS6_SG_NS0_5tupleIJSF_S6_EEENSH_IJSG_SG_EEES6_PlJNSB_9not_fun_tI7is_trueIiEEEEEE10hipError_tPvRmT3_T4_T5_T6_T7_T9_mT8_P12ihipStream_tbDpT10_ENKUlT_T0_E_clISt17integral_constantIbLb0EES18_EEDaS13_S14_EUlS13_E_NS1_11comp_targetILNS1_3genE2ELNS1_11target_archE906ELNS1_3gpuE6ELNS1_3repE0EEENS1_30default_config_static_selectorELNS0_4arch9wavefront6targetE0EEEvT1_: ; @_ZN7rocprim17ROCPRIM_400000_NS6detail17trampoline_kernelINS0_14default_configENS1_25partition_config_selectorILNS1_17partition_subalgoE6EiNS0_10empty_typeEbEEZZNS1_14partition_implILS5_6ELb0ES3_mN6thrust23THRUST_200600_302600_NS6detail15normal_iteratorINSA_10device_ptrIiEEEEPS6_SG_NS0_5tupleIJSF_S6_EEENSH_IJSG_SG_EEES6_PlJNSB_9not_fun_tI7is_trueIiEEEEEE10hipError_tPvRmT3_T4_T5_T6_T7_T9_mT8_P12ihipStream_tbDpT10_ENKUlT_T0_E_clISt17integral_constantIbLb0EES18_EEDaS13_S14_EUlS13_E_NS1_11comp_targetILNS1_3genE2ELNS1_11target_archE906ELNS1_3gpuE6ELNS1_3repE0EEENS1_30default_config_static_selectorELNS0_4arch9wavefront6targetE0EEEvT1_
; %bb.0:
	.section	.rodata,"a",@progbits
	.p2align	6, 0x0
	.amdhsa_kernel _ZN7rocprim17ROCPRIM_400000_NS6detail17trampoline_kernelINS0_14default_configENS1_25partition_config_selectorILNS1_17partition_subalgoE6EiNS0_10empty_typeEbEEZZNS1_14partition_implILS5_6ELb0ES3_mN6thrust23THRUST_200600_302600_NS6detail15normal_iteratorINSA_10device_ptrIiEEEEPS6_SG_NS0_5tupleIJSF_S6_EEENSH_IJSG_SG_EEES6_PlJNSB_9not_fun_tI7is_trueIiEEEEEE10hipError_tPvRmT3_T4_T5_T6_T7_T9_mT8_P12ihipStream_tbDpT10_ENKUlT_T0_E_clISt17integral_constantIbLb0EES18_EEDaS13_S14_EUlS13_E_NS1_11comp_targetILNS1_3genE2ELNS1_11target_archE906ELNS1_3gpuE6ELNS1_3repE0EEENS1_30default_config_static_selectorELNS0_4arch9wavefront6targetE0EEEvT1_
		.amdhsa_group_segment_fixed_size 0
		.amdhsa_private_segment_fixed_size 0
		.amdhsa_kernarg_size 112
		.amdhsa_user_sgpr_count 2
		.amdhsa_user_sgpr_dispatch_ptr 0
		.amdhsa_user_sgpr_queue_ptr 0
		.amdhsa_user_sgpr_kernarg_segment_ptr 1
		.amdhsa_user_sgpr_dispatch_id 0
		.amdhsa_user_sgpr_private_segment_size 0
		.amdhsa_wavefront_size32 1
		.amdhsa_uses_dynamic_stack 0
		.amdhsa_enable_private_segment 0
		.amdhsa_system_sgpr_workgroup_id_x 1
		.amdhsa_system_sgpr_workgroup_id_y 0
		.amdhsa_system_sgpr_workgroup_id_z 0
		.amdhsa_system_sgpr_workgroup_info 0
		.amdhsa_system_vgpr_workitem_id 0
		.amdhsa_next_free_vgpr 1
		.amdhsa_next_free_sgpr 1
		.amdhsa_reserve_vcc 0
		.amdhsa_float_round_mode_32 0
		.amdhsa_float_round_mode_16_64 0
		.amdhsa_float_denorm_mode_32 3
		.amdhsa_float_denorm_mode_16_64 3
		.amdhsa_fp16_overflow 0
		.amdhsa_workgroup_processor_mode 1
		.amdhsa_memory_ordered 1
		.amdhsa_forward_progress 1
		.amdhsa_inst_pref_size 0
		.amdhsa_round_robin_scheduling 0
		.amdhsa_exception_fp_ieee_invalid_op 0
		.amdhsa_exception_fp_denorm_src 0
		.amdhsa_exception_fp_ieee_div_zero 0
		.amdhsa_exception_fp_ieee_overflow 0
		.amdhsa_exception_fp_ieee_underflow 0
		.amdhsa_exception_fp_ieee_inexact 0
		.amdhsa_exception_int_div_zero 0
	.end_amdhsa_kernel
	.section	.text._ZN7rocprim17ROCPRIM_400000_NS6detail17trampoline_kernelINS0_14default_configENS1_25partition_config_selectorILNS1_17partition_subalgoE6EiNS0_10empty_typeEbEEZZNS1_14partition_implILS5_6ELb0ES3_mN6thrust23THRUST_200600_302600_NS6detail15normal_iteratorINSA_10device_ptrIiEEEEPS6_SG_NS0_5tupleIJSF_S6_EEENSH_IJSG_SG_EEES6_PlJNSB_9not_fun_tI7is_trueIiEEEEEE10hipError_tPvRmT3_T4_T5_T6_T7_T9_mT8_P12ihipStream_tbDpT10_ENKUlT_T0_E_clISt17integral_constantIbLb0EES18_EEDaS13_S14_EUlS13_E_NS1_11comp_targetILNS1_3genE2ELNS1_11target_archE906ELNS1_3gpuE6ELNS1_3repE0EEENS1_30default_config_static_selectorELNS0_4arch9wavefront6targetE0EEEvT1_,"axG",@progbits,_ZN7rocprim17ROCPRIM_400000_NS6detail17trampoline_kernelINS0_14default_configENS1_25partition_config_selectorILNS1_17partition_subalgoE6EiNS0_10empty_typeEbEEZZNS1_14partition_implILS5_6ELb0ES3_mN6thrust23THRUST_200600_302600_NS6detail15normal_iteratorINSA_10device_ptrIiEEEEPS6_SG_NS0_5tupleIJSF_S6_EEENSH_IJSG_SG_EEES6_PlJNSB_9not_fun_tI7is_trueIiEEEEEE10hipError_tPvRmT3_T4_T5_T6_T7_T9_mT8_P12ihipStream_tbDpT10_ENKUlT_T0_E_clISt17integral_constantIbLb0EES18_EEDaS13_S14_EUlS13_E_NS1_11comp_targetILNS1_3genE2ELNS1_11target_archE906ELNS1_3gpuE6ELNS1_3repE0EEENS1_30default_config_static_selectorELNS0_4arch9wavefront6targetE0EEEvT1_,comdat
.Lfunc_end1241:
	.size	_ZN7rocprim17ROCPRIM_400000_NS6detail17trampoline_kernelINS0_14default_configENS1_25partition_config_selectorILNS1_17partition_subalgoE6EiNS0_10empty_typeEbEEZZNS1_14partition_implILS5_6ELb0ES3_mN6thrust23THRUST_200600_302600_NS6detail15normal_iteratorINSA_10device_ptrIiEEEEPS6_SG_NS0_5tupleIJSF_S6_EEENSH_IJSG_SG_EEES6_PlJNSB_9not_fun_tI7is_trueIiEEEEEE10hipError_tPvRmT3_T4_T5_T6_T7_T9_mT8_P12ihipStream_tbDpT10_ENKUlT_T0_E_clISt17integral_constantIbLb0EES18_EEDaS13_S14_EUlS13_E_NS1_11comp_targetILNS1_3genE2ELNS1_11target_archE906ELNS1_3gpuE6ELNS1_3repE0EEENS1_30default_config_static_selectorELNS0_4arch9wavefront6targetE0EEEvT1_, .Lfunc_end1241-_ZN7rocprim17ROCPRIM_400000_NS6detail17trampoline_kernelINS0_14default_configENS1_25partition_config_selectorILNS1_17partition_subalgoE6EiNS0_10empty_typeEbEEZZNS1_14partition_implILS5_6ELb0ES3_mN6thrust23THRUST_200600_302600_NS6detail15normal_iteratorINSA_10device_ptrIiEEEEPS6_SG_NS0_5tupleIJSF_S6_EEENSH_IJSG_SG_EEES6_PlJNSB_9not_fun_tI7is_trueIiEEEEEE10hipError_tPvRmT3_T4_T5_T6_T7_T9_mT8_P12ihipStream_tbDpT10_ENKUlT_T0_E_clISt17integral_constantIbLb0EES18_EEDaS13_S14_EUlS13_E_NS1_11comp_targetILNS1_3genE2ELNS1_11target_archE906ELNS1_3gpuE6ELNS1_3repE0EEENS1_30default_config_static_selectorELNS0_4arch9wavefront6targetE0EEEvT1_
                                        ; -- End function
	.set _ZN7rocprim17ROCPRIM_400000_NS6detail17trampoline_kernelINS0_14default_configENS1_25partition_config_selectorILNS1_17partition_subalgoE6EiNS0_10empty_typeEbEEZZNS1_14partition_implILS5_6ELb0ES3_mN6thrust23THRUST_200600_302600_NS6detail15normal_iteratorINSA_10device_ptrIiEEEEPS6_SG_NS0_5tupleIJSF_S6_EEENSH_IJSG_SG_EEES6_PlJNSB_9not_fun_tI7is_trueIiEEEEEE10hipError_tPvRmT3_T4_T5_T6_T7_T9_mT8_P12ihipStream_tbDpT10_ENKUlT_T0_E_clISt17integral_constantIbLb0EES18_EEDaS13_S14_EUlS13_E_NS1_11comp_targetILNS1_3genE2ELNS1_11target_archE906ELNS1_3gpuE6ELNS1_3repE0EEENS1_30default_config_static_selectorELNS0_4arch9wavefront6targetE0EEEvT1_.num_vgpr, 0
	.set _ZN7rocprim17ROCPRIM_400000_NS6detail17trampoline_kernelINS0_14default_configENS1_25partition_config_selectorILNS1_17partition_subalgoE6EiNS0_10empty_typeEbEEZZNS1_14partition_implILS5_6ELb0ES3_mN6thrust23THRUST_200600_302600_NS6detail15normal_iteratorINSA_10device_ptrIiEEEEPS6_SG_NS0_5tupleIJSF_S6_EEENSH_IJSG_SG_EEES6_PlJNSB_9not_fun_tI7is_trueIiEEEEEE10hipError_tPvRmT3_T4_T5_T6_T7_T9_mT8_P12ihipStream_tbDpT10_ENKUlT_T0_E_clISt17integral_constantIbLb0EES18_EEDaS13_S14_EUlS13_E_NS1_11comp_targetILNS1_3genE2ELNS1_11target_archE906ELNS1_3gpuE6ELNS1_3repE0EEENS1_30default_config_static_selectorELNS0_4arch9wavefront6targetE0EEEvT1_.num_agpr, 0
	.set _ZN7rocprim17ROCPRIM_400000_NS6detail17trampoline_kernelINS0_14default_configENS1_25partition_config_selectorILNS1_17partition_subalgoE6EiNS0_10empty_typeEbEEZZNS1_14partition_implILS5_6ELb0ES3_mN6thrust23THRUST_200600_302600_NS6detail15normal_iteratorINSA_10device_ptrIiEEEEPS6_SG_NS0_5tupleIJSF_S6_EEENSH_IJSG_SG_EEES6_PlJNSB_9not_fun_tI7is_trueIiEEEEEE10hipError_tPvRmT3_T4_T5_T6_T7_T9_mT8_P12ihipStream_tbDpT10_ENKUlT_T0_E_clISt17integral_constantIbLb0EES18_EEDaS13_S14_EUlS13_E_NS1_11comp_targetILNS1_3genE2ELNS1_11target_archE906ELNS1_3gpuE6ELNS1_3repE0EEENS1_30default_config_static_selectorELNS0_4arch9wavefront6targetE0EEEvT1_.numbered_sgpr, 0
	.set _ZN7rocprim17ROCPRIM_400000_NS6detail17trampoline_kernelINS0_14default_configENS1_25partition_config_selectorILNS1_17partition_subalgoE6EiNS0_10empty_typeEbEEZZNS1_14partition_implILS5_6ELb0ES3_mN6thrust23THRUST_200600_302600_NS6detail15normal_iteratorINSA_10device_ptrIiEEEEPS6_SG_NS0_5tupleIJSF_S6_EEENSH_IJSG_SG_EEES6_PlJNSB_9not_fun_tI7is_trueIiEEEEEE10hipError_tPvRmT3_T4_T5_T6_T7_T9_mT8_P12ihipStream_tbDpT10_ENKUlT_T0_E_clISt17integral_constantIbLb0EES18_EEDaS13_S14_EUlS13_E_NS1_11comp_targetILNS1_3genE2ELNS1_11target_archE906ELNS1_3gpuE6ELNS1_3repE0EEENS1_30default_config_static_selectorELNS0_4arch9wavefront6targetE0EEEvT1_.num_named_barrier, 0
	.set _ZN7rocprim17ROCPRIM_400000_NS6detail17trampoline_kernelINS0_14default_configENS1_25partition_config_selectorILNS1_17partition_subalgoE6EiNS0_10empty_typeEbEEZZNS1_14partition_implILS5_6ELb0ES3_mN6thrust23THRUST_200600_302600_NS6detail15normal_iteratorINSA_10device_ptrIiEEEEPS6_SG_NS0_5tupleIJSF_S6_EEENSH_IJSG_SG_EEES6_PlJNSB_9not_fun_tI7is_trueIiEEEEEE10hipError_tPvRmT3_T4_T5_T6_T7_T9_mT8_P12ihipStream_tbDpT10_ENKUlT_T0_E_clISt17integral_constantIbLb0EES18_EEDaS13_S14_EUlS13_E_NS1_11comp_targetILNS1_3genE2ELNS1_11target_archE906ELNS1_3gpuE6ELNS1_3repE0EEENS1_30default_config_static_selectorELNS0_4arch9wavefront6targetE0EEEvT1_.private_seg_size, 0
	.set _ZN7rocprim17ROCPRIM_400000_NS6detail17trampoline_kernelINS0_14default_configENS1_25partition_config_selectorILNS1_17partition_subalgoE6EiNS0_10empty_typeEbEEZZNS1_14partition_implILS5_6ELb0ES3_mN6thrust23THRUST_200600_302600_NS6detail15normal_iteratorINSA_10device_ptrIiEEEEPS6_SG_NS0_5tupleIJSF_S6_EEENSH_IJSG_SG_EEES6_PlJNSB_9not_fun_tI7is_trueIiEEEEEE10hipError_tPvRmT3_T4_T5_T6_T7_T9_mT8_P12ihipStream_tbDpT10_ENKUlT_T0_E_clISt17integral_constantIbLb0EES18_EEDaS13_S14_EUlS13_E_NS1_11comp_targetILNS1_3genE2ELNS1_11target_archE906ELNS1_3gpuE6ELNS1_3repE0EEENS1_30default_config_static_selectorELNS0_4arch9wavefront6targetE0EEEvT1_.uses_vcc, 0
	.set _ZN7rocprim17ROCPRIM_400000_NS6detail17trampoline_kernelINS0_14default_configENS1_25partition_config_selectorILNS1_17partition_subalgoE6EiNS0_10empty_typeEbEEZZNS1_14partition_implILS5_6ELb0ES3_mN6thrust23THRUST_200600_302600_NS6detail15normal_iteratorINSA_10device_ptrIiEEEEPS6_SG_NS0_5tupleIJSF_S6_EEENSH_IJSG_SG_EEES6_PlJNSB_9not_fun_tI7is_trueIiEEEEEE10hipError_tPvRmT3_T4_T5_T6_T7_T9_mT8_P12ihipStream_tbDpT10_ENKUlT_T0_E_clISt17integral_constantIbLb0EES18_EEDaS13_S14_EUlS13_E_NS1_11comp_targetILNS1_3genE2ELNS1_11target_archE906ELNS1_3gpuE6ELNS1_3repE0EEENS1_30default_config_static_selectorELNS0_4arch9wavefront6targetE0EEEvT1_.uses_flat_scratch, 0
	.set _ZN7rocprim17ROCPRIM_400000_NS6detail17trampoline_kernelINS0_14default_configENS1_25partition_config_selectorILNS1_17partition_subalgoE6EiNS0_10empty_typeEbEEZZNS1_14partition_implILS5_6ELb0ES3_mN6thrust23THRUST_200600_302600_NS6detail15normal_iteratorINSA_10device_ptrIiEEEEPS6_SG_NS0_5tupleIJSF_S6_EEENSH_IJSG_SG_EEES6_PlJNSB_9not_fun_tI7is_trueIiEEEEEE10hipError_tPvRmT3_T4_T5_T6_T7_T9_mT8_P12ihipStream_tbDpT10_ENKUlT_T0_E_clISt17integral_constantIbLb0EES18_EEDaS13_S14_EUlS13_E_NS1_11comp_targetILNS1_3genE2ELNS1_11target_archE906ELNS1_3gpuE6ELNS1_3repE0EEENS1_30default_config_static_selectorELNS0_4arch9wavefront6targetE0EEEvT1_.has_dyn_sized_stack, 0
	.set _ZN7rocprim17ROCPRIM_400000_NS6detail17trampoline_kernelINS0_14default_configENS1_25partition_config_selectorILNS1_17partition_subalgoE6EiNS0_10empty_typeEbEEZZNS1_14partition_implILS5_6ELb0ES3_mN6thrust23THRUST_200600_302600_NS6detail15normal_iteratorINSA_10device_ptrIiEEEEPS6_SG_NS0_5tupleIJSF_S6_EEENSH_IJSG_SG_EEES6_PlJNSB_9not_fun_tI7is_trueIiEEEEEE10hipError_tPvRmT3_T4_T5_T6_T7_T9_mT8_P12ihipStream_tbDpT10_ENKUlT_T0_E_clISt17integral_constantIbLb0EES18_EEDaS13_S14_EUlS13_E_NS1_11comp_targetILNS1_3genE2ELNS1_11target_archE906ELNS1_3gpuE6ELNS1_3repE0EEENS1_30default_config_static_selectorELNS0_4arch9wavefront6targetE0EEEvT1_.has_recursion, 0
	.set _ZN7rocprim17ROCPRIM_400000_NS6detail17trampoline_kernelINS0_14default_configENS1_25partition_config_selectorILNS1_17partition_subalgoE6EiNS0_10empty_typeEbEEZZNS1_14partition_implILS5_6ELb0ES3_mN6thrust23THRUST_200600_302600_NS6detail15normal_iteratorINSA_10device_ptrIiEEEEPS6_SG_NS0_5tupleIJSF_S6_EEENSH_IJSG_SG_EEES6_PlJNSB_9not_fun_tI7is_trueIiEEEEEE10hipError_tPvRmT3_T4_T5_T6_T7_T9_mT8_P12ihipStream_tbDpT10_ENKUlT_T0_E_clISt17integral_constantIbLb0EES18_EEDaS13_S14_EUlS13_E_NS1_11comp_targetILNS1_3genE2ELNS1_11target_archE906ELNS1_3gpuE6ELNS1_3repE0EEENS1_30default_config_static_selectorELNS0_4arch9wavefront6targetE0EEEvT1_.has_indirect_call, 0
	.section	.AMDGPU.csdata,"",@progbits
; Kernel info:
; codeLenInByte = 0
; TotalNumSgprs: 0
; NumVgprs: 0
; ScratchSize: 0
; MemoryBound: 0
; FloatMode: 240
; IeeeMode: 1
; LDSByteSize: 0 bytes/workgroup (compile time only)
; SGPRBlocks: 0
; VGPRBlocks: 0
; NumSGPRsForWavesPerEU: 1
; NumVGPRsForWavesPerEU: 1
; Occupancy: 16
; WaveLimiterHint : 0
; COMPUTE_PGM_RSRC2:SCRATCH_EN: 0
; COMPUTE_PGM_RSRC2:USER_SGPR: 2
; COMPUTE_PGM_RSRC2:TRAP_HANDLER: 0
; COMPUTE_PGM_RSRC2:TGID_X_EN: 1
; COMPUTE_PGM_RSRC2:TGID_Y_EN: 0
; COMPUTE_PGM_RSRC2:TGID_Z_EN: 0
; COMPUTE_PGM_RSRC2:TIDIG_COMP_CNT: 0
	.section	.text._ZN7rocprim17ROCPRIM_400000_NS6detail17trampoline_kernelINS0_14default_configENS1_25partition_config_selectorILNS1_17partition_subalgoE6EiNS0_10empty_typeEbEEZZNS1_14partition_implILS5_6ELb0ES3_mN6thrust23THRUST_200600_302600_NS6detail15normal_iteratorINSA_10device_ptrIiEEEEPS6_SG_NS0_5tupleIJSF_S6_EEENSH_IJSG_SG_EEES6_PlJNSB_9not_fun_tI7is_trueIiEEEEEE10hipError_tPvRmT3_T4_T5_T6_T7_T9_mT8_P12ihipStream_tbDpT10_ENKUlT_T0_E_clISt17integral_constantIbLb0EES18_EEDaS13_S14_EUlS13_E_NS1_11comp_targetILNS1_3genE10ELNS1_11target_archE1200ELNS1_3gpuE4ELNS1_3repE0EEENS1_30default_config_static_selectorELNS0_4arch9wavefront6targetE0EEEvT1_,"axG",@progbits,_ZN7rocprim17ROCPRIM_400000_NS6detail17trampoline_kernelINS0_14default_configENS1_25partition_config_selectorILNS1_17partition_subalgoE6EiNS0_10empty_typeEbEEZZNS1_14partition_implILS5_6ELb0ES3_mN6thrust23THRUST_200600_302600_NS6detail15normal_iteratorINSA_10device_ptrIiEEEEPS6_SG_NS0_5tupleIJSF_S6_EEENSH_IJSG_SG_EEES6_PlJNSB_9not_fun_tI7is_trueIiEEEEEE10hipError_tPvRmT3_T4_T5_T6_T7_T9_mT8_P12ihipStream_tbDpT10_ENKUlT_T0_E_clISt17integral_constantIbLb0EES18_EEDaS13_S14_EUlS13_E_NS1_11comp_targetILNS1_3genE10ELNS1_11target_archE1200ELNS1_3gpuE4ELNS1_3repE0EEENS1_30default_config_static_selectorELNS0_4arch9wavefront6targetE0EEEvT1_,comdat
	.protected	_ZN7rocprim17ROCPRIM_400000_NS6detail17trampoline_kernelINS0_14default_configENS1_25partition_config_selectorILNS1_17partition_subalgoE6EiNS0_10empty_typeEbEEZZNS1_14partition_implILS5_6ELb0ES3_mN6thrust23THRUST_200600_302600_NS6detail15normal_iteratorINSA_10device_ptrIiEEEEPS6_SG_NS0_5tupleIJSF_S6_EEENSH_IJSG_SG_EEES6_PlJNSB_9not_fun_tI7is_trueIiEEEEEE10hipError_tPvRmT3_T4_T5_T6_T7_T9_mT8_P12ihipStream_tbDpT10_ENKUlT_T0_E_clISt17integral_constantIbLb0EES18_EEDaS13_S14_EUlS13_E_NS1_11comp_targetILNS1_3genE10ELNS1_11target_archE1200ELNS1_3gpuE4ELNS1_3repE0EEENS1_30default_config_static_selectorELNS0_4arch9wavefront6targetE0EEEvT1_ ; -- Begin function _ZN7rocprim17ROCPRIM_400000_NS6detail17trampoline_kernelINS0_14default_configENS1_25partition_config_selectorILNS1_17partition_subalgoE6EiNS0_10empty_typeEbEEZZNS1_14partition_implILS5_6ELb0ES3_mN6thrust23THRUST_200600_302600_NS6detail15normal_iteratorINSA_10device_ptrIiEEEEPS6_SG_NS0_5tupleIJSF_S6_EEENSH_IJSG_SG_EEES6_PlJNSB_9not_fun_tI7is_trueIiEEEEEE10hipError_tPvRmT3_T4_T5_T6_T7_T9_mT8_P12ihipStream_tbDpT10_ENKUlT_T0_E_clISt17integral_constantIbLb0EES18_EEDaS13_S14_EUlS13_E_NS1_11comp_targetILNS1_3genE10ELNS1_11target_archE1200ELNS1_3gpuE4ELNS1_3repE0EEENS1_30default_config_static_selectorELNS0_4arch9wavefront6targetE0EEEvT1_
	.globl	_ZN7rocprim17ROCPRIM_400000_NS6detail17trampoline_kernelINS0_14default_configENS1_25partition_config_selectorILNS1_17partition_subalgoE6EiNS0_10empty_typeEbEEZZNS1_14partition_implILS5_6ELb0ES3_mN6thrust23THRUST_200600_302600_NS6detail15normal_iteratorINSA_10device_ptrIiEEEEPS6_SG_NS0_5tupleIJSF_S6_EEENSH_IJSG_SG_EEES6_PlJNSB_9not_fun_tI7is_trueIiEEEEEE10hipError_tPvRmT3_T4_T5_T6_T7_T9_mT8_P12ihipStream_tbDpT10_ENKUlT_T0_E_clISt17integral_constantIbLb0EES18_EEDaS13_S14_EUlS13_E_NS1_11comp_targetILNS1_3genE10ELNS1_11target_archE1200ELNS1_3gpuE4ELNS1_3repE0EEENS1_30default_config_static_selectorELNS0_4arch9wavefront6targetE0EEEvT1_
	.p2align	8
	.type	_ZN7rocprim17ROCPRIM_400000_NS6detail17trampoline_kernelINS0_14default_configENS1_25partition_config_selectorILNS1_17partition_subalgoE6EiNS0_10empty_typeEbEEZZNS1_14partition_implILS5_6ELb0ES3_mN6thrust23THRUST_200600_302600_NS6detail15normal_iteratorINSA_10device_ptrIiEEEEPS6_SG_NS0_5tupleIJSF_S6_EEENSH_IJSG_SG_EEES6_PlJNSB_9not_fun_tI7is_trueIiEEEEEE10hipError_tPvRmT3_T4_T5_T6_T7_T9_mT8_P12ihipStream_tbDpT10_ENKUlT_T0_E_clISt17integral_constantIbLb0EES18_EEDaS13_S14_EUlS13_E_NS1_11comp_targetILNS1_3genE10ELNS1_11target_archE1200ELNS1_3gpuE4ELNS1_3repE0EEENS1_30default_config_static_selectorELNS0_4arch9wavefront6targetE0EEEvT1_,@function
_ZN7rocprim17ROCPRIM_400000_NS6detail17trampoline_kernelINS0_14default_configENS1_25partition_config_selectorILNS1_17partition_subalgoE6EiNS0_10empty_typeEbEEZZNS1_14partition_implILS5_6ELb0ES3_mN6thrust23THRUST_200600_302600_NS6detail15normal_iteratorINSA_10device_ptrIiEEEEPS6_SG_NS0_5tupleIJSF_S6_EEENSH_IJSG_SG_EEES6_PlJNSB_9not_fun_tI7is_trueIiEEEEEE10hipError_tPvRmT3_T4_T5_T6_T7_T9_mT8_P12ihipStream_tbDpT10_ENKUlT_T0_E_clISt17integral_constantIbLb0EES18_EEDaS13_S14_EUlS13_E_NS1_11comp_targetILNS1_3genE10ELNS1_11target_archE1200ELNS1_3gpuE4ELNS1_3repE0EEENS1_30default_config_static_selectorELNS0_4arch9wavefront6targetE0EEEvT1_: ; @_ZN7rocprim17ROCPRIM_400000_NS6detail17trampoline_kernelINS0_14default_configENS1_25partition_config_selectorILNS1_17partition_subalgoE6EiNS0_10empty_typeEbEEZZNS1_14partition_implILS5_6ELb0ES3_mN6thrust23THRUST_200600_302600_NS6detail15normal_iteratorINSA_10device_ptrIiEEEEPS6_SG_NS0_5tupleIJSF_S6_EEENSH_IJSG_SG_EEES6_PlJNSB_9not_fun_tI7is_trueIiEEEEEE10hipError_tPvRmT3_T4_T5_T6_T7_T9_mT8_P12ihipStream_tbDpT10_ENKUlT_T0_E_clISt17integral_constantIbLb0EES18_EEDaS13_S14_EUlS13_E_NS1_11comp_targetILNS1_3genE10ELNS1_11target_archE1200ELNS1_3gpuE4ELNS1_3repE0EEENS1_30default_config_static_selectorELNS0_4arch9wavefront6targetE0EEEvT1_
; %bb.0:
	s_clause 0x3
	s_load_b128 s[4:7], s[0:1], 0x8
	s_load_b128 s[8:11], s[0:1], 0x40
	s_load_b32 s12, s[0:1], 0x68
	s_load_b64 s[2:3], s[0:1], 0x50
	s_mov_b32 s13, 0
	v_lshlrev_b32_e32 v8, 2, v0
	s_wait_kmcnt 0x0
	s_lshl_b64 s[14:15], s[6:7], 2
	s_load_b64 s[10:11], s[10:11], 0x0
	s_add_co_i32 s18, s12, -1
	s_mulk_i32 s12, 0xa80
	s_add_nc_u64 s[16:17], s[4:5], s[14:15]
	s_add_nc_u64 s[4:5], s[6:7], s[12:13]
	s_add_co_i32 s6, s12, s6
	v_cmp_le_u64_e64 s3, s[2:3], s[4:5]
	s_sub_co_i32 s15, s2, s6
	s_cmp_eq_u32 ttmp9, s18
	s_mul_i32 s2, ttmp9, 0xa80
	s_cselect_b32 s12, -1, 0
	s_mov_b32 s4, -1
	s_and_b32 s5, s12, s3
	s_mov_b32 s3, s13
	s_wait_alu 0xfffe
	s_xor_b32 s13, s5, -1
	s_lshl_b64 s[2:3], s[2:3], 2
	s_and_b32 vcc_lo, exec_lo, s13
	s_wait_alu 0xfffe
	s_add_nc_u64 s[2:3], s[16:17], s[2:3]
	s_cbranch_vccz .LBB1242_2
; %bb.1:
	s_wait_alu 0xfffe
	v_add_co_u32 v1, s4, s2, v8
	s_wait_alu 0xf1ff
	v_add_co_ci_u32_e64 v2, null, s3, 0, s4
	s_mov_b32 s4, 0
	s_clause 0x6
	flat_load_b32 v3, v[1:2]
	flat_load_b32 v4, v[1:2] offset:1536
	flat_load_b32 v5, v[1:2] offset:3072
	;; [unrolled: 1-line block ×6, first 2 shown]
	s_wait_loadcnt_dscnt 0x505
	ds_store_2addr_stride64_b32 v8, v3, v4 offset1:6
	s_wait_loadcnt_dscnt 0x304
	ds_store_2addr_stride64_b32 v8, v5, v6 offset0:12 offset1:18
	s_wait_loadcnt_dscnt 0x103
	ds_store_2addr_stride64_b32 v8, v7, v9 offset0:24 offset1:30
	s_wait_loadcnt_dscnt 0x3
	ds_store_b32 v8, v1 offset:9216
	s_wait_dscnt 0x0
	s_barrier_signal -1
	s_barrier_wait -1
.LBB1242_2:
	s_wait_alu 0xfffe
	s_and_not1_b32 vcc_lo, exec_lo, s4
	s_addk_co_i32 s15, 0xa80
	s_cbranch_vccnz .LBB1242_18
; %bb.3:
	v_mov_b32_e32 v1, 0
	s_mov_b32 s4, exec_lo
	s_delay_alu instid0(VALU_DEP_1)
	v_dual_mov_b32 v2, v1 :: v_dual_mov_b32 v3, v1
	v_dual_mov_b32 v4, v1 :: v_dual_mov_b32 v5, v1
	;; [unrolled: 1-line block ×3, first 2 shown]
	v_cmpx_gt_u32_e64 s15, v0
	s_cbranch_execz .LBB1242_5
; %bb.4:
	v_add_co_u32 v2, s5, s2, v8
	s_wait_alu 0xf1ff
	v_add_co_ci_u32_e64 v3, null, s3, 0, s5
	v_dual_mov_b32 v10, v1 :: v_dual_mov_b32 v11, v1
	v_dual_mov_b32 v12, v1 :: v_dual_mov_b32 v13, v1
	flat_load_b32 v9, v[2:3]
	v_dual_mov_b32 v14, v1 :: v_dual_mov_b32 v15, v1
	s_wait_loadcnt_dscnt 0x0
	v_dual_mov_b32 v1, v9 :: v_dual_mov_b32 v2, v10
	v_dual_mov_b32 v3, v11 :: v_dual_mov_b32 v4, v12
	s_delay_alu instid0(VALU_DEP_3)
	v_dual_mov_b32 v5, v13 :: v_dual_mov_b32 v6, v14
	v_mov_b32_e32 v7, v15
.LBB1242_5:
	s_wait_alu 0xfffe
	s_or_b32 exec_lo, exec_lo, s4
	v_add_nc_u32_e32 v9, 0x180, v0
	s_mov_b32 s4, exec_lo
	s_delay_alu instid0(VALU_DEP_1)
	v_cmpx_gt_u32_e64 s15, v9
	s_cbranch_execz .LBB1242_7
; %bb.6:
	v_add_co_u32 v9, s5, s2, v8
	s_wait_alu 0xf1ff
	v_add_co_ci_u32_e64 v10, null, s3, 0, s5
	flat_load_b32 v2, v[9:10] offset:1536
.LBB1242_7:
	s_wait_alu 0xfffe
	s_or_b32 exec_lo, exec_lo, s4
	v_add_nc_u32_e32 v9, 0x300, v0
	s_mov_b32 s4, exec_lo
	s_delay_alu instid0(VALU_DEP_1)
	v_cmpx_gt_u32_e64 s15, v9
	s_cbranch_execz .LBB1242_9
; %bb.8:
	v_add_co_u32 v9, s5, s2, v8
	s_wait_alu 0xf1ff
	v_add_co_ci_u32_e64 v10, null, s3, 0, s5
	flat_load_b32 v3, v[9:10] offset:3072
.LBB1242_9:
	;; [unrolled: 13-line block ×3, first 2 shown]
	s_wait_alu 0xfffe
	s_or_b32 exec_lo, exec_lo, s4
	v_or_b32_e32 v9, 0x600, v0
	s_mov_b32 s4, exec_lo
	s_delay_alu instid0(VALU_DEP_1)
	v_cmpx_gt_u32_e64 s15, v9
	s_cbranch_execz .LBB1242_13
; %bb.12:
	v_add_co_u32 v9, s5, s2, v8
	s_wait_alu 0xf1ff
	v_add_co_ci_u32_e64 v10, null, s3, 0, s5
	flat_load_b32 v5, v[9:10] offset:6144
.LBB1242_13:
	s_wait_alu 0xfffe
	s_or_b32 exec_lo, exec_lo, s4
	v_add_nc_u32_e32 v9, 0x780, v0
	s_mov_b32 s4, exec_lo
	s_delay_alu instid0(VALU_DEP_1)
	v_cmpx_gt_u32_e64 s15, v9
	s_cbranch_execz .LBB1242_15
; %bb.14:
	v_add_co_u32 v9, s5, s2, v8
	s_wait_alu 0xf1ff
	v_add_co_ci_u32_e64 v10, null, s3, 0, s5
	flat_load_b32 v6, v[9:10] offset:7680
.LBB1242_15:
	s_wait_alu 0xfffe
	s_or_b32 exec_lo, exec_lo, s4
	v_add_nc_u32_e32 v9, 0x900, v0
	s_mov_b32 s4, exec_lo
	s_delay_alu instid0(VALU_DEP_1)
	v_cmpx_gt_u32_e64 s15, v9
	s_cbranch_execz .LBB1242_17
; %bb.16:
	v_add_co_u32 v9, s2, s2, v8
	s_wait_alu 0xf1ff
	v_add_co_ci_u32_e64 v10, null, s3, 0, s2
	flat_load_b32 v7, v[9:10] offset:9216
.LBB1242_17:
	s_wait_alu 0xfffe
	s_or_b32 exec_lo, exec_lo, s4
	s_wait_loadcnt_dscnt 0x0
	ds_store_2addr_stride64_b32 v8, v1, v2 offset1:6
	ds_store_2addr_stride64_b32 v8, v3, v4 offset0:12 offset1:18
	ds_store_2addr_stride64_b32 v8, v5, v6 offset0:24 offset1:30
	ds_store_b32 v8, v7 offset:9216
	s_wait_dscnt 0x0
	s_barrier_signal -1
	s_barrier_wait -1
.LBB1242_18:
	v_mul_u32_u24_e32 v1, 7, v0
	global_inv scope:SCOPE_SE
	s_and_not1_b32 vcc_lo, exec_lo, s13
	v_lshlrev_b32_e32 v34, 2, v1
	ds_load_2addr_b32 v[9:10], v34 offset0:4 offset1:5
	ds_load_b32 v29, v34 offset:24
	ds_load_2addr_b32 v[13:14], v34 offset1:1
	ds_load_2addr_b32 v[11:12], v34 offset0:2 offset1:3
	s_wait_loadcnt_dscnt 0x0
	s_barrier_signal -1
	s_barrier_wait -1
	global_inv scope:SCOPE_SE
	v_cmp_eq_u32_e64 s2, 0, v9
	v_cmp_eq_u32_e64 s3, 0, v10
	;; [unrolled: 1-line block ×7, first 2 shown]
	s_cbranch_vccnz .LBB1242_20
; %bb.19:
	v_cndmask_b32_e64 v2, 0, 1, s6
	v_cndmask_b32_e64 v3, 0, 1, s7
	s_wait_alu 0xf1ff
	v_cndmask_b32_e64 v4, 0, 1, s4
	v_cndmask_b32_e64 v5, 0, 1, s5
	;; [unrolled: 1-line block ×3, first 2 shown]
	v_lshlrev_b16 v2, 8, v2
	v_lshlrev_b16 v3, 8, v3
	v_cndmask_b32_e64 v30, 0, 1, s3
	s_delay_alu instid0(VALU_DEP_3) | instskip(NEXT) | instid1(VALU_DEP_3)
	v_or_b32_e32 v2, v4, v2
	v_or_b32_e32 v3, v5, v3
	s_delay_alu instid0(VALU_DEP_2) | instskip(NEXT) | instid1(VALU_DEP_2)
	v_and_b32_e32 v2, 0xffff, v2
	v_lshlrev_b32_e32 v3, 16, v3
	s_delay_alu instid0(VALU_DEP_1)
	v_or_b32_e32 v33, v2, v3
	s_cbranch_execz .LBB1242_21
	s_branch .LBB1242_22
.LBB1242_20:
                                        ; implicit-def: $sgpr14
                                        ; implicit-def: $vgpr30
                                        ; implicit-def: $vgpr31
                                        ; implicit-def: $vgpr33
.LBB1242_21:
	v_add_nc_u32_e32 v2, 1, v1
	v_cmp_eq_u32_e32 vcc_lo, 0, v14
	v_add_nc_u32_e32 v3, 3, v1
	v_cmp_eq_u32_e64 s2, 0, v13
	v_cmp_eq_u32_e64 s4, 0, v12
	v_cmp_gt_u32_e64 s3, s15, v2
	v_add_nc_u32_e32 v2, 2, v1
	v_cmp_gt_u32_e64 s6, s15, v3
	v_cmp_eq_u32_e64 s5, 0, v11
	v_add_nc_u32_e32 v5, 5, v1
	s_and_b32 s3, s3, vcc_lo
	v_cmp_gt_u32_e32 vcc_lo, s15, v1
	s_wait_alu 0xfffe
	v_cndmask_b32_e64 v3, 0, 1, s3
	v_cmp_gt_u32_e64 s3, s15, v2
	s_and_b32 s4, s6, s4
	s_and_b32 s2, vcc_lo, s2
	v_lshlrev_b16 v3, 8, v3
	s_wait_alu 0xfffe
	v_cndmask_b32_e64 v4, 0, 1, s2
	v_cndmask_b32_e64 v2, 0, 1, s4
	s_and_b32 s2, s3, s5
	v_cmp_eq_u32_e32 vcc_lo, 0, v10
	s_wait_alu 0xfffe
	v_cndmask_b32_e64 v6, 0, 1, s2
	v_cmp_gt_u32_e64 s2, s15, v5
	v_or_b32_e32 v3, v4, v3
	v_add_nc_u32_e32 v4, 4, v1
	v_lshlrev_b16 v2, 8, v2
	v_cmp_eq_u32_e64 s3, 0, v9
	s_and_b32 s2, s2, vcc_lo
	v_add_nc_u32_e32 v1, 6, v1
	v_cmp_gt_u32_e32 vcc_lo, s15, v4
	v_or_b32_e32 v2, v6, v2
	s_wait_alu 0xfffe
	v_cndmask_b32_e64 v30, 0, 1, s2
	v_and_b32_e32 v3, 0xffff, v3
	s_and_b32 s2, vcc_lo, s3
	v_cmp_gt_u32_e32 vcc_lo, s15, v1
	s_wait_alu 0xfffe
	v_cndmask_b32_e64 v5, 0, 1, s2
	v_cmp_eq_u32_e64 s2, 0, v29
	v_lshlrev_b32_e32 v2, 16, v2
	v_lshlrev_b16 v4, 8, v30
	s_and_not1_b32 s3, s14, exec_lo
	s_and_b32 s2, vcc_lo, s2
	s_delay_alu instid0(VALU_DEP_2) | instskip(NEXT) | instid1(VALU_DEP_2)
	v_or_b32_e32 v33, v3, v2
	v_or_b32_e32 v31, v5, v4
	s_wait_alu 0xfffe
	s_and_b32 s2, s2, exec_lo
	s_wait_alu 0xfffe
	s_or_b32 s14, s3, s2
.LBB1242_22:
	s_delay_alu instid0(VALU_DEP_1)
	v_dual_mov_b32 v2, 0 :: v_dual_and_b32 v37, 0xff, v33
	v_bfe_u32 v36, v33, 8, 8
	s_wait_alu 0xfffe
	v_cndmask_b32_e64 v1, 0, 1, s14
	v_bfe_u32 v39, v33, 16, 8
	v_lshrrev_b32_e32 v32, 24, v33
	s_load_b64 s[6:7], s[0:1], 0x60
	v_and_b32_e32 v38, 0xff, v31
	v_add3_u32 v1, v37, v1, v36
	v_mbcnt_lo_u32_b32 v40, -1, 0
	v_and_b32_e32 v35, 0xff, v30
	s_cmp_lg_u32 ttmp9, 0
	s_mov_b32 s3, -1
	v_add_co_u32 v1, s2, v1, v39
	s_wait_alu 0xf1ff
	v_add_co_ci_u32_e64 v3, null, 0, 0, s2
	v_and_b32_e32 v41, 15, v40
	s_delay_alu instid0(VALU_DEP_3) | instskip(NEXT) | instid1(VALU_DEP_1)
	v_add_co_u32 v1, vcc_lo, v1, v32
	v_add_co_ci_u32_e64 v3, null, 0, v3, vcc_lo
	s_delay_alu instid0(VALU_DEP_3) | instskip(NEXT) | instid1(VALU_DEP_3)
	v_cmp_ne_u32_e64 s2, 0, v41
	v_add_co_u32 v1, vcc_lo, v1, v38
	s_wait_alu 0xfffd
	s_delay_alu instid0(VALU_DEP_3) | instskip(NEXT) | instid1(VALU_DEP_2)
	v_add_co_ci_u32_e64 v3, null, 0, v3, vcc_lo
	v_add_co_u32 v15, vcc_lo, v1, v35
	s_wait_alu 0xfffd
	s_delay_alu instid0(VALU_DEP_2)
	v_add_co_ci_u32_e64 v16, null, 0, v3, vcc_lo
	s_cbranch_scc0 .LBB1242_81
; %bb.23:
	v_mov_b32_e32 v3, v15
	v_mov_b32_dpp v1, v15 row_shr:1 row_mask:0xf bank_mask:0xf
	v_mov_b32_dpp v6, v2 row_shr:1 row_mask:0xf bank_mask:0xf
	v_dual_mov_b32 v5, v15 :: v_dual_mov_b32 v4, v16
	s_and_saveexec_b32 s3, s2
; %bb.24:
	s_delay_alu instid0(VALU_DEP_3) | instskip(SKIP_2) | instid1(VALU_DEP_2)
	v_add_co_u32 v5, vcc_lo, v15, v1
	s_wait_alu 0xfffd
	v_add_co_ci_u32_e64 v2, null, 0, v16, vcc_lo
	v_add_co_u32 v1, vcc_lo, 0, v5
	s_wait_alu 0xfffd
	s_delay_alu instid0(VALU_DEP_2) | instskip(NEXT) | instid1(VALU_DEP_1)
	v_add_co_ci_u32_e64 v2, null, v6, v2, vcc_lo
	v_dual_mov_b32 v4, v2 :: v_dual_mov_b32 v3, v1
; %bb.25:
	s_wait_alu 0xfffe
	s_or_b32 exec_lo, exec_lo, s3
	v_mov_b32_dpp v1, v5 row_shr:2 row_mask:0xf bank_mask:0xf
	v_mov_b32_dpp v6, v2 row_shr:2 row_mask:0xf bank_mask:0xf
	v_cmp_lt_u32_e32 vcc_lo, 1, v41
	s_and_saveexec_b32 s4, vcc_lo
; %bb.26:
	s_delay_alu instid0(VALU_DEP_3) | instskip(SKIP_2) | instid1(VALU_DEP_2)
	v_add_co_u32 v5, s3, v3, v1
	s_wait_alu 0xf1ff
	v_add_co_ci_u32_e64 v2, null, 0, v4, s3
	v_add_co_u32 v1, s3, 0, v5
	s_wait_alu 0xf1ff
	s_delay_alu instid0(VALU_DEP_2) | instskip(NEXT) | instid1(VALU_DEP_1)
	v_add_co_ci_u32_e64 v2, null, v6, v2, s3
	v_dual_mov_b32 v4, v2 :: v_dual_mov_b32 v3, v1
; %bb.27:
	s_wait_alu 0xfffe
	s_or_b32 exec_lo, exec_lo, s4
	v_mov_b32_dpp v1, v5 row_shr:4 row_mask:0xf bank_mask:0xf
	v_mov_b32_dpp v6, v2 row_shr:4 row_mask:0xf bank_mask:0xf
	v_cmp_lt_u32_e64 s3, 3, v41
	s_and_saveexec_b32 s5, s3
; %bb.28:
	v_add_co_u32 v5, s4, v3, v1
	s_wait_alu 0xf1ff
	v_add_co_ci_u32_e64 v2, null, 0, v4, s4
	s_delay_alu instid0(VALU_DEP_2) | instskip(SKIP_1) | instid1(VALU_DEP_2)
	v_add_co_u32 v1, s4, 0, v5
	s_wait_alu 0xf1ff
	v_add_co_ci_u32_e64 v2, null, v6, v2, s4
	s_delay_alu instid0(VALU_DEP_1)
	v_dual_mov_b32 v4, v2 :: v_dual_mov_b32 v3, v1
; %bb.29:
	s_wait_alu 0xfffe
	s_or_b32 exec_lo, exec_lo, s5
	v_mov_b32_dpp v6, v5 row_shr:8 row_mask:0xf bank_mask:0xf
	v_mov_b32_dpp v1, v2 row_shr:8 row_mask:0xf bank_mask:0xf
	v_cmp_lt_u32_e64 s4, 7, v41
	s_and_saveexec_b32 s15, s4
; %bb.30:
	v_add_co_u32 v5, s5, v3, v6
	s_wait_alu 0xf1ff
	v_add_co_ci_u32_e64 v2, null, 0, v4, s5
	s_delay_alu instid0(VALU_DEP_2) | instskip(SKIP_1) | instid1(VALU_DEP_2)
	v_add_co_u32 v3, s5, 0, v5
	s_wait_alu 0xf1ff
	v_add_co_ci_u32_e64 v4, null, v1, v2, s5
	s_delay_alu instid0(VALU_DEP_1)
	v_mov_b32_e32 v2, v4
; %bb.31:
	s_wait_alu 0xfffe
	s_or_b32 exec_lo, exec_lo, s15
	ds_swizzle_b32 v1, v5 offset:swizzle(BROADCAST,32,15)
	ds_swizzle_b32 v6, v2 offset:swizzle(BROADCAST,32,15)
	v_and_b32_e32 v7, 16, v40
	s_mov_b32 s15, exec_lo
	s_delay_alu instid0(VALU_DEP_1)
	v_cmpx_ne_u32_e32 0, v7
	s_cbranch_execz .LBB1242_33
; %bb.32:
	s_wait_dscnt 0x1
	v_add_co_u32 v5, s5, v3, v1
	s_wait_alu 0xf1ff
	v_add_co_ci_u32_e64 v2, null, 0, v4, s5
	s_delay_alu instid0(VALU_DEP_2) | instskip(SKIP_2) | instid1(VALU_DEP_2)
	v_add_co_u32 v1, s5, 0, v5
	s_wait_dscnt 0x0
	s_wait_alu 0xf1ff
	v_add_co_ci_u32_e64 v2, null, v6, v2, s5
	s_delay_alu instid0(VALU_DEP_1)
	v_dual_mov_b32 v4, v2 :: v_dual_mov_b32 v3, v1
.LBB1242_33:
	s_wait_alu 0xfffe
	s_or_b32 exec_lo, exec_lo, s15
	s_wait_dscnt 0x1
	v_and_b32_e32 v1, 0x1e0, v0
	s_mov_b32 s15, exec_lo
	s_delay_alu instid0(VALU_DEP_1) | instskip(SKIP_1) | instid1(VALU_DEP_1)
	v_min_u32_e32 v1, 0x160, v1
	s_wait_dscnt 0x0
	v_or_b32_e32 v6, 31, v1
	v_lshrrev_b32_e32 v1, 5, v0
	s_delay_alu instid0(VALU_DEP_2)
	v_cmpx_eq_u32_e64 v0, v6
; %bb.34:
	s_delay_alu instid0(VALU_DEP_2)
	v_lshlrev_b32_e32 v6, 3, v1
	ds_store_b64 v6, v[3:4]
; %bb.35:
	s_wait_alu 0xfffe
	s_or_b32 exec_lo, exec_lo, s15
	s_delay_alu instid0(SALU_CYCLE_1)
	s_mov_b32 s15, exec_lo
	s_wait_loadcnt_dscnt 0x0
	s_barrier_signal -1
	s_barrier_wait -1
	global_inv scope:SCOPE_SE
	v_cmpx_gt_u32_e32 12, v0
	s_cbranch_execz .LBB1242_45
; %bb.36:
	v_lshlrev_b32_e32 v6, 3, v0
	ds_load_b64 v[3:4], v6
	s_wait_dscnt 0x0
	v_mov_b32_dpp v17, v3 row_shr:1 row_mask:0xf bank_mask:0xf
	v_mov_b32_dpp v8, v4 row_shr:1 row_mask:0xf bank_mask:0xf
	v_mov_b32_e32 v7, v3
	s_and_saveexec_b32 s16, s2
; %bb.37:
	s_delay_alu instid0(VALU_DEP_3) | instskip(SKIP_2) | instid1(VALU_DEP_2)
	v_add_co_u32 v7, s5, v3, v17
	s_wait_alu 0xf1ff
	v_add_co_ci_u32_e64 v4, null, 0, v4, s5
	v_add_co_u32 v3, s5, 0, v7
	s_wait_alu 0xf1ff
	s_delay_alu instid0(VALU_DEP_2)
	v_add_co_ci_u32_e64 v4, null, v8, v4, s5
; %bb.38:
	s_or_b32 exec_lo, exec_lo, s16
	v_mov_b32_dpp v17, v7 row_shr:2 row_mask:0xf bank_mask:0xf
	s_delay_alu instid0(VALU_DEP_2)
	v_mov_b32_dpp v8, v4 row_shr:2 row_mask:0xf bank_mask:0xf
	s_and_saveexec_b32 s5, vcc_lo
; %bb.39:
	s_delay_alu instid0(VALU_DEP_2) | instskip(SKIP_2) | instid1(VALU_DEP_2)
	v_add_co_u32 v7, vcc_lo, v3, v17
	s_wait_alu 0xfffd
	v_add_co_ci_u32_e64 v4, null, 0, v4, vcc_lo
	v_add_co_u32 v3, vcc_lo, 0, v7
	s_wait_alu 0xfffd
	s_delay_alu instid0(VALU_DEP_2)
	v_add_co_ci_u32_e64 v4, null, v8, v4, vcc_lo
; %bb.40:
	s_wait_alu 0xfffe
	s_or_b32 exec_lo, exec_lo, s5
	v_mov_b32_dpp v17, v7 row_shr:4 row_mask:0xf bank_mask:0xf
	s_delay_alu instid0(VALU_DEP_2)
	v_mov_b32_dpp v8, v4 row_shr:4 row_mask:0xf bank_mask:0xf
	s_and_saveexec_b32 s5, s3
; %bb.41:
	s_delay_alu instid0(VALU_DEP_2) | instskip(SKIP_2) | instid1(VALU_DEP_2)
	v_add_co_u32 v7, vcc_lo, v3, v17
	s_wait_alu 0xfffd
	v_add_co_ci_u32_e64 v4, null, 0, v4, vcc_lo
	v_add_co_u32 v3, vcc_lo, 0, v7
	s_wait_alu 0xfffd
	s_delay_alu instid0(VALU_DEP_2)
	v_add_co_ci_u32_e64 v4, null, v8, v4, vcc_lo
; %bb.42:
	s_wait_alu 0xfffe
	s_or_b32 exec_lo, exec_lo, s5
	v_mov_b32_dpp v8, v7 row_shr:8 row_mask:0xf bank_mask:0xf
	s_delay_alu instid0(VALU_DEP_2)
	v_mov_b32_dpp v7, v4 row_shr:8 row_mask:0xf bank_mask:0xf
	s_and_saveexec_b32 s3, s4
; %bb.43:
	s_delay_alu instid0(VALU_DEP_2) | instskip(SKIP_2) | instid1(VALU_DEP_2)
	v_add_co_u32 v3, vcc_lo, v3, v8
	s_wait_alu 0xfffd
	v_add_co_ci_u32_e64 v4, null, 0, v4, vcc_lo
	v_add_co_u32 v3, vcc_lo, v3, 0
	s_wait_alu 0xfffd
	s_delay_alu instid0(VALU_DEP_2)
	v_add_co_ci_u32_e64 v4, null, v4, v7, vcc_lo
; %bb.44:
	s_wait_alu 0xfffe
	s_or_b32 exec_lo, exec_lo, s3
	ds_store_b64 v6, v[3:4]
.LBB1242_45:
	s_wait_alu 0xfffe
	s_or_b32 exec_lo, exec_lo, s15
	s_delay_alu instid0(SALU_CYCLE_1)
	s_mov_b32 s4, exec_lo
	v_cmp_gt_u32_e32 vcc_lo, 32, v0
	s_wait_loadcnt_dscnt 0x0
	s_barrier_signal -1
	s_barrier_wait -1
	global_inv scope:SCOPE_SE
                                        ; implicit-def: $vgpr17_vgpr18
	v_cmpx_lt_u32_e32 31, v0
	s_cbranch_execz .LBB1242_47
; %bb.46:
	v_lshl_add_u32 v1, v1, 3, -8
	ds_load_b64 v[17:18], v1
	s_wait_dscnt 0x0
	v_add_co_u32 v5, s3, v5, v17
	s_wait_alu 0xf1ff
	v_add_co_ci_u32_e64 v2, null, v2, v18, s3
.LBB1242_47:
	s_wait_alu 0xfffe
	s_or_b32 exec_lo, exec_lo, s4
	v_sub_co_u32 v1, s3, v40, 1
	s_delay_alu instid0(VALU_DEP_1) | instskip(SKIP_1) | instid1(VALU_DEP_1)
	v_cmp_gt_i32_e64 s4, 0, v1
	s_wait_alu 0xf1ff
	v_cndmask_b32_e64 v1, v1, v40, s4
	s_delay_alu instid0(VALU_DEP_1)
	v_lshlrev_b32_e32 v1, 2, v1
	ds_bpermute_b32 v23, v1, v5
	ds_bpermute_b32 v24, v1, v2
	s_and_saveexec_b32 s4, vcc_lo
	s_cbranch_execz .LBB1242_86
; %bb.48:
	v_mov_b32_e32 v4, 0
	ds_load_b64 v[1:2], v4 offset:88
	s_and_saveexec_b32 s5, s3
	s_cbranch_execz .LBB1242_50
; %bb.49:
	s_add_co_i32 s16, ttmp9, 32
	s_mov_b32 s17, 0
	s_delay_alu instid0(SALU_CYCLE_1)
	s_lshl_b64 s[16:17], s[16:17], 4
	s_wait_kmcnt 0x0
	s_add_nc_u64 s[16:17], s[6:7], s[16:17]
	v_mov_b32_e32 v3, 1
	v_dual_mov_b32 v5, s16 :: v_dual_mov_b32 v6, s17
	s_wait_dscnt 0x0
	;;#ASMSTART
	global_store_b128 v[5:6], v[1:4] off scope:SCOPE_DEV	
s_wait_storecnt 0x0
	;;#ASMEND
.LBB1242_50:
	s_wait_alu 0xfffe
	s_or_b32 exec_lo, exec_lo, s5
	v_xad_u32 v19, v40, -1, ttmp9
	s_mov_b32 s15, 0
	s_mov_b32 s5, exec_lo
	s_delay_alu instid0(VALU_DEP_1) | instskip(NEXT) | instid1(VALU_DEP_1)
	v_add_nc_u32_e32 v3, 32, v19
	v_lshlrev_b64_e32 v[3:4], 4, v[3:4]
	s_wait_kmcnt 0x0
	s_delay_alu instid0(VALU_DEP_1) | instskip(SKIP_1) | instid1(VALU_DEP_2)
	v_add_co_u32 v3, vcc_lo, s6, v3
	s_wait_alu 0xfffd
	v_add_co_ci_u32_e64 v4, null, s7, v4, vcc_lo
	;;#ASMSTART
	global_load_b128 v[5:8], v[3:4] off scope:SCOPE_DEV	
s_wait_loadcnt 0x0
	;;#ASMEND
	v_and_b32_e32 v8, 0xff, v7
	s_delay_alu instid0(VALU_DEP_1)
	v_cmpx_eq_u16_e32 0, v8
	s_cbranch_execz .LBB1242_53
.LBB1242_51:                            ; =>This Inner Loop Header: Depth=1
	;;#ASMSTART
	global_load_b128 v[5:8], v[3:4] off scope:SCOPE_DEV	
s_wait_loadcnt 0x0
	;;#ASMEND
	v_and_b32_e32 v8, 0xff, v7
	s_delay_alu instid0(VALU_DEP_1)
	v_cmp_ne_u16_e32 vcc_lo, 0, v8
	s_wait_alu 0xfffe
	s_or_b32 s15, vcc_lo, s15
	s_wait_alu 0xfffe
	s_and_not1_b32 exec_lo, exec_lo, s15
	s_cbranch_execnz .LBB1242_51
; %bb.52:
	s_or_b32 exec_lo, exec_lo, s15
.LBB1242_53:
	s_wait_alu 0xfffe
	s_or_b32 exec_lo, exec_lo, s5
	v_cmp_ne_u32_e32 vcc_lo, 31, v40
	v_and_b32_e32 v4, 0xff, v7
	v_lshlrev_b32_e64 v26, v40, -1
	s_mov_b32 s5, exec_lo
	s_wait_alu 0xfffd
	v_add_co_ci_u32_e64 v3, null, 0, v40, vcc_lo
	v_cmp_eq_u16_e32 vcc_lo, 2, v4
	s_delay_alu instid0(VALU_DEP_2)
	v_dual_mov_b32 v4, v5 :: v_dual_lshlrev_b32 v25, 2, v3
	s_wait_alu 0xfffd
	v_and_or_b32 v3, vcc_lo, v26, 0x80000000
	ds_bpermute_b32 v20, v25, v5
	ds_bpermute_b32 v8, v25, v6
	v_ctz_i32_b32_e32 v3, v3
	s_delay_alu instid0(VALU_DEP_1)
	v_cmpx_lt_u32_e64 v40, v3
	s_cbranch_execz .LBB1242_55
; %bb.54:
	s_wait_dscnt 0x1
	v_add_co_u32 v4, vcc_lo, v5, v20
	s_wait_alu 0xfffd
	v_add_co_ci_u32_e64 v6, null, 0, v6, vcc_lo
	s_delay_alu instid0(VALU_DEP_2) | instskip(SKIP_2) | instid1(VALU_DEP_2)
	v_add_co_u32 v5, vcc_lo, 0, v4
	s_wait_dscnt 0x0
	s_wait_alu 0xfffd
	v_add_co_ci_u32_e64 v6, null, v8, v6, vcc_lo
.LBB1242_55:
	s_wait_alu 0xfffe
	s_or_b32 exec_lo, exec_lo, s5
	v_cmp_gt_u32_e32 vcc_lo, 30, v40
	v_add_nc_u32_e32 v28, 2, v40
	s_mov_b32 s5, exec_lo
	s_wait_dscnt 0x0
	s_wait_alu 0xfffd
	v_cndmask_b32_e64 v8, 0, 2, vcc_lo
	s_delay_alu instid0(VALU_DEP_1)
	v_add_lshl_u32 v27, v8, v40, 2
	ds_bpermute_b32 v20, v27, v4
	ds_bpermute_b32 v8, v27, v6
	v_cmpx_le_u32_e64 v28, v3
	s_cbranch_execz .LBB1242_57
; %bb.56:
	s_wait_dscnt 0x1
	v_add_co_u32 v4, vcc_lo, v5, v20
	s_wait_alu 0xfffd
	v_add_co_ci_u32_e64 v6, null, 0, v6, vcc_lo
	s_delay_alu instid0(VALU_DEP_2) | instskip(SKIP_2) | instid1(VALU_DEP_2)
	v_add_co_u32 v5, vcc_lo, 0, v4
	s_wait_dscnt 0x0
	s_wait_alu 0xfffd
	v_add_co_ci_u32_e64 v6, null, v8, v6, vcc_lo
.LBB1242_57:
	s_wait_alu 0xfffe
	s_or_b32 exec_lo, exec_lo, s5
	v_cmp_gt_u32_e32 vcc_lo, 28, v40
	v_add_nc_u32_e32 v43, 4, v40
	s_mov_b32 s5, exec_lo
	s_wait_dscnt 0x0
	s_wait_alu 0xfffd
	v_cndmask_b32_e64 v8, 0, 4, vcc_lo
	s_delay_alu instid0(VALU_DEP_1)
	v_add_lshl_u32 v42, v8, v40, 2
	ds_bpermute_b32 v20, v42, v4
	ds_bpermute_b32 v8, v42, v6
	v_cmpx_le_u32_e64 v43, v3
	;; [unrolled: 25-line block ×3, first 2 shown]
	s_cbranch_execz .LBB1242_61
; %bb.60:
	s_wait_dscnt 0x1
	v_add_co_u32 v4, vcc_lo, v5, v20
	s_wait_alu 0xfffd
	v_add_co_ci_u32_e64 v6, null, 0, v6, vcc_lo
	s_delay_alu instid0(VALU_DEP_2) | instskip(SKIP_2) | instid1(VALU_DEP_2)
	v_add_co_u32 v5, vcc_lo, 0, v4
	s_wait_dscnt 0x0
	s_wait_alu 0xfffd
	v_add_co_ci_u32_e64 v6, null, v8, v6, vcc_lo
.LBB1242_61:
	s_wait_alu 0xfffe
	s_or_b32 exec_lo, exec_lo, s5
	v_lshl_or_b32 v46, v40, 2, 64
	v_add_nc_u32_e32 v47, 16, v40
	s_mov_b32 s5, exec_lo
	s_wait_dscnt 0x0
	ds_bpermute_b32 v8, v46, v4
	ds_bpermute_b32 v4, v46, v6
	v_cmpx_le_u32_e64 v47, v3
	s_cbranch_execz .LBB1242_63
; %bb.62:
	s_wait_dscnt 0x1
	v_add_co_u32 v3, vcc_lo, v5, v8
	s_wait_alu 0xfffd
	v_add_co_ci_u32_e64 v6, null, 0, v6, vcc_lo
	s_delay_alu instid0(VALU_DEP_2) | instskip(SKIP_2) | instid1(VALU_DEP_2)
	v_add_co_u32 v5, vcc_lo, v3, 0
	s_wait_dscnt 0x0
	s_wait_alu 0xfffd
	v_add_co_ci_u32_e64 v6, null, v6, v4, vcc_lo
.LBB1242_63:
	s_wait_alu 0xfffe
	s_or_b32 exec_lo, exec_lo, s5
	v_mov_b32_e32 v20, 0
	s_branch .LBB1242_66
.LBB1242_64:                            ;   in Loop: Header=BB1242_66 Depth=1
	s_wait_alu 0xfffe
	s_or_b32 exec_lo, exec_lo, s5
	v_add_co_u32 v5, vcc_lo, v5, v3
	v_subrev_nc_u32_e32 v19, 32, v19
	s_wait_alu 0xfffd
	v_add_co_ci_u32_e64 v6, null, v6, v4, vcc_lo
	s_mov_b32 s5, 0
.LBB1242_65:                            ;   in Loop: Header=BB1242_66 Depth=1
	s_wait_alu 0xfffe
	s_and_b32 vcc_lo, exec_lo, s5
	s_wait_alu 0xfffe
	s_cbranch_vccnz .LBB1242_82
.LBB1242_66:                            ; =>This Loop Header: Depth=1
                                        ;     Child Loop BB1242_69 Depth 2
	v_and_b32_e32 v3, 0xff, v7
	s_mov_b32 s5, -1
	s_delay_alu instid0(VALU_DEP_1)
	v_cmp_ne_u16_e32 vcc_lo, 2, v3
	s_wait_dscnt 0x0
	v_dual_mov_b32 v3, v5 :: v_dual_mov_b32 v4, v6
                                        ; implicit-def: $vgpr5_vgpr6
	s_cmp_lg_u32 vcc_lo, exec_lo
	s_cbranch_scc1 .LBB1242_65
; %bb.67:                               ;   in Loop: Header=BB1242_66 Depth=1
	v_lshlrev_b64_e32 v[5:6], 4, v[19:20]
	s_mov_b32 s5, exec_lo
	s_delay_alu instid0(VALU_DEP_1) | instskip(SKIP_1) | instid1(VALU_DEP_2)
	v_add_co_u32 v21, vcc_lo, s6, v5
	s_wait_alu 0xfffd
	v_add_co_ci_u32_e64 v22, null, s7, v6, vcc_lo
	;;#ASMSTART
	global_load_b128 v[5:8], v[21:22] off scope:SCOPE_DEV	
s_wait_loadcnt 0x0
	;;#ASMEND
	v_and_b32_e32 v8, 0xff, v7
	s_delay_alu instid0(VALU_DEP_1)
	v_cmpx_eq_u16_e32 0, v8
	s_cbranch_execz .LBB1242_71
; %bb.68:                               ;   in Loop: Header=BB1242_66 Depth=1
	s_mov_b32 s15, 0
.LBB1242_69:                            ;   Parent Loop BB1242_66 Depth=1
                                        ; =>  This Inner Loop Header: Depth=2
	;;#ASMSTART
	global_load_b128 v[5:8], v[21:22] off scope:SCOPE_DEV	
s_wait_loadcnt 0x0
	;;#ASMEND
	v_and_b32_e32 v8, 0xff, v7
	s_delay_alu instid0(VALU_DEP_1)
	v_cmp_ne_u16_e32 vcc_lo, 0, v8
	s_wait_alu 0xfffe
	s_or_b32 s15, vcc_lo, s15
	s_wait_alu 0xfffe
	s_and_not1_b32 exec_lo, exec_lo, s15
	s_cbranch_execnz .LBB1242_69
; %bb.70:                               ;   in Loop: Header=BB1242_66 Depth=1
	s_or_b32 exec_lo, exec_lo, s15
.LBB1242_71:                            ;   in Loop: Header=BB1242_66 Depth=1
	s_wait_alu 0xfffe
	s_or_b32 exec_lo, exec_lo, s5
	v_dual_mov_b32 v21, v5 :: v_dual_and_b32 v8, 0xff, v7
	ds_bpermute_b32 v48, v25, v5
	ds_bpermute_b32 v22, v25, v6
	s_mov_b32 s5, exec_lo
	v_cmp_eq_u16_e32 vcc_lo, 2, v8
	s_wait_alu 0xfffd
	v_and_or_b32 v8, vcc_lo, v26, 0x80000000
	s_delay_alu instid0(VALU_DEP_1) | instskip(NEXT) | instid1(VALU_DEP_1)
	v_ctz_i32_b32_e32 v8, v8
	v_cmpx_lt_u32_e64 v40, v8
	s_cbranch_execz .LBB1242_73
; %bb.72:                               ;   in Loop: Header=BB1242_66 Depth=1
	s_wait_dscnt 0x1
	v_add_co_u32 v21, vcc_lo, v5, v48
	s_wait_alu 0xfffd
	v_add_co_ci_u32_e64 v6, null, 0, v6, vcc_lo
	s_delay_alu instid0(VALU_DEP_2) | instskip(SKIP_2) | instid1(VALU_DEP_2)
	v_add_co_u32 v5, vcc_lo, 0, v21
	s_wait_dscnt 0x0
	s_wait_alu 0xfffd
	v_add_co_ci_u32_e64 v6, null, v22, v6, vcc_lo
.LBB1242_73:                            ;   in Loop: Header=BB1242_66 Depth=1
	s_wait_alu 0xfffe
	s_or_b32 exec_lo, exec_lo, s5
	s_wait_dscnt 0x1
	ds_bpermute_b32 v48, v27, v21
	s_wait_dscnt 0x1
	ds_bpermute_b32 v22, v27, v6
	s_mov_b32 s5, exec_lo
	v_cmpx_le_u32_e64 v28, v8
	s_cbranch_execz .LBB1242_75
; %bb.74:                               ;   in Loop: Header=BB1242_66 Depth=1
	s_wait_dscnt 0x1
	v_add_co_u32 v21, vcc_lo, v5, v48
	s_wait_alu 0xfffd
	v_add_co_ci_u32_e64 v6, null, 0, v6, vcc_lo
	s_delay_alu instid0(VALU_DEP_2) | instskip(SKIP_2) | instid1(VALU_DEP_2)
	v_add_co_u32 v5, vcc_lo, 0, v21
	s_wait_dscnt 0x0
	s_wait_alu 0xfffd
	v_add_co_ci_u32_e64 v6, null, v22, v6, vcc_lo
.LBB1242_75:                            ;   in Loop: Header=BB1242_66 Depth=1
	s_wait_alu 0xfffe
	s_or_b32 exec_lo, exec_lo, s5
	s_wait_dscnt 0x1
	ds_bpermute_b32 v48, v42, v21
	s_wait_dscnt 0x1
	ds_bpermute_b32 v22, v42, v6
	s_mov_b32 s5, exec_lo
	v_cmpx_le_u32_e64 v43, v8
	s_cbranch_execz .LBB1242_77
; %bb.76:                               ;   in Loop: Header=BB1242_66 Depth=1
	s_wait_dscnt 0x1
	v_add_co_u32 v21, vcc_lo, v5, v48
	s_wait_alu 0xfffd
	v_add_co_ci_u32_e64 v6, null, 0, v6, vcc_lo
	s_delay_alu instid0(VALU_DEP_2) | instskip(SKIP_2) | instid1(VALU_DEP_2)
	v_add_co_u32 v5, vcc_lo, 0, v21
	s_wait_dscnt 0x0
	s_wait_alu 0xfffd
	v_add_co_ci_u32_e64 v6, null, v22, v6, vcc_lo
.LBB1242_77:                            ;   in Loop: Header=BB1242_66 Depth=1
	s_wait_alu 0xfffe
	s_or_b32 exec_lo, exec_lo, s5
	s_wait_dscnt 0x1
	ds_bpermute_b32 v48, v44, v21
	s_wait_dscnt 0x1
	ds_bpermute_b32 v22, v44, v6
	s_mov_b32 s5, exec_lo
	v_cmpx_le_u32_e64 v45, v8
	s_cbranch_execz .LBB1242_79
; %bb.78:                               ;   in Loop: Header=BB1242_66 Depth=1
	s_wait_dscnt 0x1
	v_add_co_u32 v21, vcc_lo, v5, v48
	s_wait_alu 0xfffd
	v_add_co_ci_u32_e64 v6, null, 0, v6, vcc_lo
	s_delay_alu instid0(VALU_DEP_2) | instskip(SKIP_2) | instid1(VALU_DEP_2)
	v_add_co_u32 v5, vcc_lo, 0, v21
	s_wait_dscnt 0x0
	s_wait_alu 0xfffd
	v_add_co_ci_u32_e64 v6, null, v22, v6, vcc_lo
.LBB1242_79:                            ;   in Loop: Header=BB1242_66 Depth=1
	s_wait_alu 0xfffe
	s_or_b32 exec_lo, exec_lo, s5
	s_wait_dscnt 0x0
	ds_bpermute_b32 v22, v46, v21
	ds_bpermute_b32 v21, v46, v6
	s_mov_b32 s5, exec_lo
	v_cmpx_le_u32_e64 v47, v8
	s_cbranch_execz .LBB1242_64
; %bb.80:                               ;   in Loop: Header=BB1242_66 Depth=1
	s_wait_dscnt 0x1
	v_add_co_u32 v5, vcc_lo, v5, v22
	s_wait_alu 0xfffd
	v_add_co_ci_u32_e64 v6, null, 0, v6, vcc_lo
	s_delay_alu instid0(VALU_DEP_2) | instskip(SKIP_2) | instid1(VALU_DEP_2)
	v_add_co_u32 v5, vcc_lo, v5, 0
	s_wait_dscnt 0x0
	s_wait_alu 0xfffd
	v_add_co_ci_u32_e64 v6, null, v6, v21, vcc_lo
	s_branch .LBB1242_64
.LBB1242_81:
                                        ; implicit-def: $vgpr17_vgpr18
                                        ; implicit-def: $vgpr6_vgpr7
                                        ; implicit-def: $vgpr19_vgpr20
                                        ; implicit-def: $vgpr21_vgpr22
                                        ; implicit-def: $vgpr23_vgpr24
                                        ; implicit-def: $vgpr25_vgpr26
                                        ; implicit-def: $vgpr27_vgpr28
                                        ; implicit-def: $vgpr4_vgpr5
	s_wait_alu 0xfffe
	s_and_b32 vcc_lo, exec_lo, s3
	s_wait_alu 0xfffe
	s_cbranch_vccnz .LBB1242_87
	s_branch .LBB1242_114
.LBB1242_82:
	s_and_saveexec_b32 s5, s3
	s_cbranch_execz .LBB1242_84
; %bb.83:
	s_add_co_i32 s16, ttmp9, 32
	s_mov_b32 s17, 0
	v_add_co_u32 v5, vcc_lo, v3, v1
	s_wait_alu 0xfffe
	s_lshl_b64 s[16:17], s[16:17], 4
	v_dual_mov_b32 v7, 2 :: v_dual_mov_b32 v8, 0
	s_wait_alu 0xfffe
	s_add_nc_u64 s[16:17], s[6:7], s[16:17]
	s_wait_alu 0xfffd
	v_add_co_ci_u32_e64 v6, null, v4, v2, vcc_lo
	s_wait_alu 0xfffe
	v_dual_mov_b32 v20, s17 :: v_dual_mov_b32 v19, s16
	;;#ASMSTART
	global_store_b128 v[19:20], v[5:8] off scope:SCOPE_DEV	
s_wait_storecnt 0x0
	;;#ASMEND
	ds_store_b128 v8, v[1:4] offset:10752
.LBB1242_84:
	s_wait_alu 0xfffe
	s_or_b32 exec_lo, exec_lo, s5
	v_cmp_eq_u32_e32 vcc_lo, 0, v0
	s_and_b32 exec_lo, exec_lo, vcc_lo
; %bb.85:
	v_mov_b32_e32 v1, 0
	ds_store_b64 v1, v[3:4] offset:88
.LBB1242_86:
	s_wait_alu 0xfffe
	s_or_b32 exec_lo, exec_lo, s4
	s_wait_dscnt 0x1
	v_cndmask_b32_e64 v4, v23, v17, s3
	v_cmp_ne_u32_e32 vcc_lo, 0, v0
	v_mov_b32_e32 v3, 0
	s_wait_loadcnt_dscnt 0x0
	s_barrier_signal -1
	s_barrier_wait -1
	global_inv scope:SCOPE_SE
	s_wait_alu 0xfffd
	v_cndmask_b32_e32 v4, 0, v4, vcc_lo
	ds_load_b64 v[1:2], v3 offset:88
	v_cndmask_b32_e64 v5, v24, v18, s3
	s_wait_loadcnt_dscnt 0x0
	s_barrier_signal -1
	s_barrier_wait -1
	global_inv scope:SCOPE_SE
	v_cndmask_b32_e32 v5, 0, v5, vcc_lo
	v_add_co_u32 v27, vcc_lo, v1, v4
	s_wait_alu 0xfffd
	s_delay_alu instid0(VALU_DEP_2) | instskip(SKIP_4) | instid1(VALU_DEP_2)
	v_add_co_ci_u32_e64 v28, null, v2, v5, vcc_lo
	ds_load_b128 v[2:5], v3 offset:10752
	v_add_co_u32 v25, vcc_lo, v27, v37
	s_wait_alu 0xfffd
	v_add_co_ci_u32_e64 v26, null, 0, v28, vcc_lo
	v_add_co_u32 v23, vcc_lo, v25, v36
	s_wait_alu 0xfffd
	s_delay_alu instid0(VALU_DEP_2) | instskip(NEXT) | instid1(VALU_DEP_2)
	v_add_co_ci_u32_e64 v24, null, 0, v26, vcc_lo
	v_add_co_u32 v21, vcc_lo, v23, v39
	s_wait_alu 0xfffd
	s_delay_alu instid0(VALU_DEP_2) | instskip(NEXT) | instid1(VALU_DEP_2)
	;; [unrolled: 4-line block ×4, first 2 shown]
	v_add_co_ci_u32_e64 v7, null, 0, v20, vcc_lo
	v_add_co_u32 v17, vcc_lo, v6, v35
	s_wait_alu 0xfffd
	s_delay_alu instid0(VALU_DEP_2)
	v_add_co_ci_u32_e64 v18, null, 0, v7, vcc_lo
	s_branch .LBB1242_114
.LBB1242_87:
	s_wait_dscnt 0x0
	v_dual_mov_b32 v2, 0 :: v_dual_mov_b32 v3, v15
	v_mov_b32_dpp v4, v15 row_shr:1 row_mask:0xf bank_mask:0xf
	s_delay_alu instid0(VALU_DEP_2)
	v_mov_b32_dpp v1, v2 row_shr:1 row_mask:0xf bank_mask:0xf
	s_and_saveexec_b32 s3, s2
; %bb.88:
	s_delay_alu instid0(VALU_DEP_2) | instskip(SKIP_2) | instid1(VALU_DEP_2)
	v_add_co_u32 v3, vcc_lo, v15, v4
	s_wait_alu 0xfffd
	v_add_co_ci_u32_e64 v2, null, 0, v16, vcc_lo
	v_add_co_u32 v15, vcc_lo, 0, v3
	s_wait_alu 0xfffd
	s_delay_alu instid0(VALU_DEP_2) | instskip(NEXT) | instid1(VALU_DEP_1)
	v_add_co_ci_u32_e64 v16, null, v1, v2, vcc_lo
	v_mov_b32_e32 v2, v16
; %bb.89:
	s_wait_alu 0xfffe
	s_or_b32 exec_lo, exec_lo, s3
	v_mov_b32_dpp v1, v3 row_shr:2 row_mask:0xf bank_mask:0xf
	s_delay_alu instid0(VALU_DEP_2)
	v_mov_b32_dpp v4, v2 row_shr:2 row_mask:0xf bank_mask:0xf
	v_cmp_lt_u32_e32 vcc_lo, 1, v41
	s_and_saveexec_b32 s4, vcc_lo
; %bb.90:
	s_delay_alu instid0(VALU_DEP_3) | instskip(SKIP_2) | instid1(VALU_DEP_2)
	v_add_co_u32 v3, s3, v15, v1
	s_wait_alu 0xf1ff
	v_add_co_ci_u32_e64 v2, null, 0, v16, s3
	v_add_co_u32 v1, s3, 0, v3
	s_wait_alu 0xf1ff
	s_delay_alu instid0(VALU_DEP_2) | instskip(NEXT) | instid1(VALU_DEP_1)
	v_add_co_ci_u32_e64 v2, null, v4, v2, s3
	v_dual_mov_b32 v16, v2 :: v_dual_mov_b32 v15, v1
; %bb.91:
	s_wait_alu 0xfffe
	s_or_b32 exec_lo, exec_lo, s4
	v_mov_b32_dpp v1, v3 row_shr:4 row_mask:0xf bank_mask:0xf
	v_mov_b32_dpp v4, v2 row_shr:4 row_mask:0xf bank_mask:0xf
	v_cmp_lt_u32_e64 s3, 3, v41
	s_and_saveexec_b32 s5, s3
; %bb.92:
	v_add_co_u32 v3, s4, v15, v1
	s_wait_alu 0xf1ff
	v_add_co_ci_u32_e64 v2, null, 0, v16, s4
	s_delay_alu instid0(VALU_DEP_2) | instskip(SKIP_1) | instid1(VALU_DEP_2)
	v_add_co_u32 v1, s4, 0, v3
	s_wait_alu 0xf1ff
	v_add_co_ci_u32_e64 v2, null, v4, v2, s4
	s_delay_alu instid0(VALU_DEP_1)
	v_dual_mov_b32 v16, v2 :: v_dual_mov_b32 v15, v1
; %bb.93:
	s_wait_alu 0xfffe
	s_or_b32 exec_lo, exec_lo, s5
	v_mov_b32_dpp v4, v3 row_shr:8 row_mask:0xf bank_mask:0xf
	v_mov_b32_dpp v1, v2 row_shr:8 row_mask:0xf bank_mask:0xf
	v_cmp_lt_u32_e64 s4, 7, v41
	s_and_saveexec_b32 s15, s4
; %bb.94:
	v_add_co_u32 v3, s5, v15, v4
	s_wait_alu 0xf1ff
	v_add_co_ci_u32_e64 v2, null, 0, v16, s5
	s_delay_alu instid0(VALU_DEP_2) | instskip(SKIP_1) | instid1(VALU_DEP_2)
	v_add_co_u32 v15, s5, 0, v3
	s_wait_alu 0xf1ff
	v_add_co_ci_u32_e64 v16, null, v1, v2, s5
	s_delay_alu instid0(VALU_DEP_1)
	v_mov_b32_e32 v2, v16
; %bb.95:
	s_wait_alu 0xfffe
	s_or_b32 exec_lo, exec_lo, s15
	ds_swizzle_b32 v3, v3 offset:swizzle(BROADCAST,32,15)
	ds_swizzle_b32 v1, v2 offset:swizzle(BROADCAST,32,15)
	v_and_b32_e32 v2, 16, v40
	s_mov_b32 s15, exec_lo
	s_delay_alu instid0(VALU_DEP_1)
	v_cmpx_ne_u32_e32 0, v2
	s_cbranch_execz .LBB1242_97
; %bb.96:
	s_wait_dscnt 0x1
	v_add_co_u32 v2, s5, v15, v3
	s_wait_alu 0xf1ff
	v_add_co_ci_u32_e64 v3, null, 0, v16, s5
	s_delay_alu instid0(VALU_DEP_2) | instskip(SKIP_2) | instid1(VALU_DEP_2)
	v_add_co_u32 v15, s5, v2, 0
	s_wait_dscnt 0x0
	s_wait_alu 0xf1ff
	v_add_co_ci_u32_e64 v16, null, v3, v1, s5
.LBB1242_97:
	s_wait_alu 0xfffe
	s_or_b32 exec_lo, exec_lo, s15
	s_wait_dscnt 0x0
	v_and_b32_e32 v1, 0x1e0, v0
	v_lshrrev_b32_e32 v3, 5, v0
	s_mov_b32 s15, exec_lo
	s_delay_alu instid0(VALU_DEP_2) | instskip(NEXT) | instid1(VALU_DEP_1)
	v_min_u32_e32 v1, 0x160, v1
	v_or_b32_e32 v1, 31, v1
	s_delay_alu instid0(VALU_DEP_1)
	v_cmpx_eq_u32_e64 v0, v1
; %bb.98:
	v_lshlrev_b32_e32 v1, 3, v3
	ds_store_b64 v1, v[15:16]
; %bb.99:
	s_wait_alu 0xfffe
	s_or_b32 exec_lo, exec_lo, s15
	s_delay_alu instid0(SALU_CYCLE_1)
	s_mov_b32 s15, exec_lo
	s_wait_loadcnt_dscnt 0x0
	s_barrier_signal -1
	s_barrier_wait -1
	global_inv scope:SCOPE_SE
	v_cmpx_gt_u32_e32 12, v0
	s_cbranch_execz .LBB1242_109
; %bb.100:
	v_mad_i32_i24 v1, 0xffffffec, v0, v34
	ds_load_b64 v[1:2], v1
	s_wait_dscnt 0x0
	v_mov_b32_dpp v6, v1 row_shr:1 row_mask:0xf bank_mask:0xf
	v_mov_b32_dpp v5, v2 row_shr:1 row_mask:0xf bank_mask:0xf
	v_mov_b32_e32 v4, v1
	s_and_saveexec_b32 s5, s2
; %bb.101:
	s_delay_alu instid0(VALU_DEP_3) | instskip(SKIP_2) | instid1(VALU_DEP_2)
	v_add_co_u32 v4, s2, v1, v6
	s_wait_alu 0xf1ff
	v_add_co_ci_u32_e64 v2, null, 0, v2, s2
	v_add_co_u32 v1, s2, 0, v4
	s_wait_alu 0xf1ff
	s_delay_alu instid0(VALU_DEP_2)
	v_add_co_ci_u32_e64 v2, null, v5, v2, s2
; %bb.102:
	s_wait_alu 0xfffe
	s_or_b32 exec_lo, exec_lo, s5
	v_mov_b32_dpp v6, v4 row_shr:2 row_mask:0xf bank_mask:0xf
	s_delay_alu instid0(VALU_DEP_2)
	v_mov_b32_dpp v5, v2 row_shr:2 row_mask:0xf bank_mask:0xf
	s_and_saveexec_b32 s2, vcc_lo
; %bb.103:
	s_delay_alu instid0(VALU_DEP_2) | instskip(SKIP_2) | instid1(VALU_DEP_2)
	v_add_co_u32 v4, vcc_lo, v1, v6
	s_wait_alu 0xfffd
	v_add_co_ci_u32_e64 v2, null, 0, v2, vcc_lo
	v_add_co_u32 v1, vcc_lo, 0, v4
	s_wait_alu 0xfffd
	s_delay_alu instid0(VALU_DEP_2)
	v_add_co_ci_u32_e64 v2, null, v5, v2, vcc_lo
; %bb.104:
	s_wait_alu 0xfffe
	s_or_b32 exec_lo, exec_lo, s2
	v_mov_b32_dpp v6, v4 row_shr:4 row_mask:0xf bank_mask:0xf
	s_delay_alu instid0(VALU_DEP_2)
	v_mov_b32_dpp v5, v2 row_shr:4 row_mask:0xf bank_mask:0xf
	s_and_saveexec_b32 s2, s3
; %bb.105:
	s_delay_alu instid0(VALU_DEP_2) | instskip(SKIP_2) | instid1(VALU_DEP_2)
	v_add_co_u32 v4, vcc_lo, v1, v6
	s_wait_alu 0xfffd
	v_add_co_ci_u32_e64 v2, null, 0, v2, vcc_lo
	v_add_co_u32 v1, vcc_lo, 0, v4
	s_wait_alu 0xfffd
	s_delay_alu instid0(VALU_DEP_2)
	v_add_co_ci_u32_e64 v2, null, v5, v2, vcc_lo
; %bb.106:
	s_wait_alu 0xfffe
	s_or_b32 exec_lo, exec_lo, s2
	v_mul_i32_i24_e32 v5, 0xffffffec, v0
	v_mov_b32_dpp v6, v4 row_shr:8 row_mask:0xf bank_mask:0xf
	v_mov_b32_dpp v4, v2 row_shr:8 row_mask:0xf bank_mask:0xf
	s_and_saveexec_b32 s2, s4
; %bb.107:
	s_delay_alu instid0(VALU_DEP_2) | instskip(SKIP_2) | instid1(VALU_DEP_2)
	v_add_co_u32 v1, vcc_lo, v1, v6
	s_wait_alu 0xfffd
	v_add_co_ci_u32_e64 v2, null, 0, v2, vcc_lo
	v_add_co_u32 v1, vcc_lo, v1, 0
	s_wait_alu 0xfffd
	s_delay_alu instid0(VALU_DEP_2)
	v_add_co_ci_u32_e64 v2, null, v2, v4, vcc_lo
; %bb.108:
	s_wait_alu 0xfffe
	s_or_b32 exec_lo, exec_lo, s2
	v_add_nc_u32_e32 v4, v34, v5
	ds_store_b64 v4, v[1:2]
.LBB1242_109:
	s_wait_alu 0xfffe
	s_or_b32 exec_lo, exec_lo, s15
	v_mov_b32_e32 v6, 0
	v_mov_b32_e32 v7, 0
	s_mov_b32 s2, exec_lo
	s_wait_loadcnt_dscnt 0x0
	s_barrier_signal -1
	s_barrier_wait -1
	global_inv scope:SCOPE_SE
	v_cmpx_lt_u32_e32 31, v0
; %bb.110:
	v_lshl_add_u32 v1, v3, 3, -8
	ds_load_b64 v[6:7], v1
; %bb.111:
	s_wait_alu 0xfffe
	s_or_b32 exec_lo, exec_lo, s2
	v_sub_co_u32 v1, vcc_lo, v40, 1
	v_mov_b32_e32 v5, 0
	s_delay_alu instid0(VALU_DEP_2) | instskip(SKIP_1) | instid1(VALU_DEP_1)
	v_cmp_gt_i32_e64 s2, 0, v1
	s_wait_alu 0xf1ff
	v_cndmask_b32_e64 v1, v1, v40, s2
	s_delay_alu instid0(VALU_DEP_1)
	v_lshlrev_b32_e32 v2, 2, v1
	s_wait_dscnt 0x0
	v_add_co_u32 v1, s2, v6, v15
	s_wait_alu 0xf1ff
	v_add_co_ci_u32_e64 v3, null, v7, v16, s2
	v_cmp_eq_u32_e64 s2, 0, v0
	ds_bpermute_b32 v1, v2, v1
	ds_bpermute_b32 v8, v2, v3
	ds_load_b64 v[2:3], v5 offset:88
	s_and_saveexec_b32 s3, s2
	s_cbranch_execz .LBB1242_113
; %bb.112:
	s_wait_kmcnt 0x0
	s_add_nc_u64 s[4:5], s[6:7], 0x200
	v_mov_b32_e32 v4, 2
	s_wait_alu 0xfffe
	v_dual_mov_b32 v16, s5 :: v_dual_mov_b32 v15, s4
	s_wait_dscnt 0x0
	;;#ASMSTART
	global_store_b128 v[15:16], v[2:5] off scope:SCOPE_DEV	
s_wait_storecnt 0x0
	;;#ASMEND
.LBB1242_113:
	s_wait_alu 0xfffe
	s_or_b32 exec_lo, exec_lo, s3
	s_wait_dscnt 0x1
	s_wait_alu 0xfffd
	v_dual_cndmask_b32 v1, v1, v6 :: v_dual_cndmask_b32 v4, v8, v7
	s_wait_loadcnt_dscnt 0x0
	s_barrier_signal -1
	s_barrier_wait -1
	s_delay_alu instid0(VALU_DEP_1)
	v_cndmask_b32_e64 v27, v1, 0, s2
	v_cndmask_b32_e64 v28, v4, 0, s2
	v_mov_b32_e32 v4, 0
	v_mov_b32_e32 v5, 0
	global_inv scope:SCOPE_SE
	v_add_co_u32 v25, vcc_lo, v27, v37
	s_wait_alu 0xfffd
	v_add_co_ci_u32_e64 v26, null, 0, v28, vcc_lo
	s_delay_alu instid0(VALU_DEP_2) | instskip(SKIP_1) | instid1(VALU_DEP_2)
	v_add_co_u32 v23, vcc_lo, v25, v36
	s_wait_alu 0xfffd
	v_add_co_ci_u32_e64 v24, null, 0, v26, vcc_lo
	s_delay_alu instid0(VALU_DEP_2) | instskip(SKIP_1) | instid1(VALU_DEP_2)
	;; [unrolled: 4-line block ×5, first 2 shown]
	v_add_co_u32 v17, vcc_lo, v6, v35
	s_wait_alu 0xfffd
	v_add_co_ci_u32_e64 v18, null, 0, v7, vcc_lo
.LBB1242_114:
	s_load_b64 s[2:3], s[0:1], 0x28
	v_lshrrev_b32_e32 v8, 8, v33
	v_lshrrev_b32_e32 v1, 16, v33
	v_and_b32_e32 v33, 1, v33
	s_wait_dscnt 0x0
	v_cmp_gt_u64_e32 vcc_lo, 0x181, v[2:3]
	s_mov_b32 s1, -1
	s_delay_alu instid0(VALU_DEP_2)
	v_cmp_eq_u32_e64 s0, 1, v33
	s_cbranch_vccnz .LBB1242_118
; %bb.115:
	s_wait_alu 0xfffe
	s_and_b32 vcc_lo, exec_lo, s1
	s_wait_alu 0xfffe
	s_cbranch_vccnz .LBB1242_133
.LBB1242_116:
	v_cmp_eq_u32_e32 vcc_lo, 0, v0
	s_and_b32 s0, vcc_lo, s12
	s_wait_alu 0xfffe
	s_and_saveexec_b32 s1, s0
	s_cbranch_execnz .LBB1242_150
.LBB1242_117:
	s_endpgm
.LBB1242_118:
	v_add_co_u32 v15, vcc_lo, v4, v2
	s_wait_alu 0xfffd
	v_add_co_ci_u32_e64 v16, null, v5, v3, vcc_lo
	s_wait_kmcnt 0x0
	s_lshl_b64 s[4:5], s[10:11], 2
	s_wait_alu 0xfffe
	s_add_nc_u64 s[4:5], s[2:3], s[4:5]
	v_cmp_lt_u64_e32 vcc_lo, v[27:28], v[15:16]
	s_or_b32 s1, s13, vcc_lo
	s_wait_alu 0xfffe
	s_and_b32 s1, s1, s0
	s_wait_alu 0xfffe
	s_and_saveexec_b32 s0, s1
	s_cbranch_execz .LBB1242_120
; %bb.119:
	v_lshlrev_b64_e32 v[34:35], 2, v[27:28]
	s_delay_alu instid0(VALU_DEP_1) | instskip(SKIP_1) | instid1(VALU_DEP_2)
	v_add_co_u32 v34, vcc_lo, s4, v34
	s_wait_alu 0xfffd
	v_add_co_ci_u32_e64 v35, null, s5, v35, vcc_lo
	global_store_b32 v[34:35], v13, off
.LBB1242_120:
	s_wait_alu 0xfffe
	s_or_b32 exec_lo, exec_lo, s0
	v_and_b32_e32 v28, 1, v8
	v_cmp_lt_u64_e32 vcc_lo, v[25:26], v[15:16]
	s_delay_alu instid0(VALU_DEP_2)
	v_cmp_eq_u32_e64 s0, 1, v28
	s_or_b32 s1, s13, vcc_lo
	s_wait_alu 0xfffe
	s_and_b32 s1, s1, s0
	s_wait_alu 0xfffe
	s_and_saveexec_b32 s0, s1
	s_cbranch_execz .LBB1242_122
; %bb.121:
	v_lshlrev_b64_e32 v[34:35], 2, v[25:26]
	s_delay_alu instid0(VALU_DEP_1) | instskip(SKIP_1) | instid1(VALU_DEP_2)
	v_add_co_u32 v34, vcc_lo, s4, v34
	s_wait_alu 0xfffd
	v_add_co_ci_u32_e64 v35, null, s5, v35, vcc_lo
	global_store_b32 v[34:35], v14, off
.LBB1242_122:
	s_wait_alu 0xfffe
	s_or_b32 exec_lo, exec_lo, s0
	v_and_b32_e32 v26, 1, v1
	v_cmp_lt_u64_e32 vcc_lo, v[23:24], v[15:16]
	s_delay_alu instid0(VALU_DEP_2)
	v_cmp_eq_u32_e64 s0, 1, v26
	s_or_b32 s1, s13, vcc_lo
	s_wait_alu 0xfffe
	s_and_b32 s1, s1, s0
	s_wait_alu 0xfffe
	s_and_saveexec_b32 s0, s1
	s_cbranch_execz .LBB1242_124
; %bb.123:
	v_lshlrev_b64_e32 v[34:35], 2, v[23:24]
	s_delay_alu instid0(VALU_DEP_1) | instskip(SKIP_1) | instid1(VALU_DEP_2)
	v_add_co_u32 v34, vcc_lo, s4, v34
	s_wait_alu 0xfffd
	v_add_co_ci_u32_e64 v35, null, s5, v35, vcc_lo
	global_store_b32 v[34:35], v11, off
.LBB1242_124:
	s_wait_alu 0xfffe
	s_or_b32 exec_lo, exec_lo, s0
	v_and_b32_e32 v24, 1, v32
	v_cmp_lt_u64_e32 vcc_lo, v[21:22], v[15:16]
	s_delay_alu instid0(VALU_DEP_2)
	v_cmp_eq_u32_e64 s0, 1, v24
	s_or_b32 s1, s13, vcc_lo
	s_wait_alu 0xfffe
	s_and_b32 s1, s1, s0
	s_wait_alu 0xfffe
	s_and_saveexec_b32 s0, s1
	s_cbranch_execz .LBB1242_126
; %bb.125:
	v_lshlrev_b64_e32 v[34:35], 2, v[21:22]
	s_delay_alu instid0(VALU_DEP_1) | instskip(SKIP_1) | instid1(VALU_DEP_2)
	v_add_co_u32 v34, vcc_lo, s4, v34
	s_wait_alu 0xfffd
	v_add_co_ci_u32_e64 v35, null, s5, v35, vcc_lo
	global_store_b32 v[34:35], v12, off
.LBB1242_126:
	s_wait_alu 0xfffe
	s_or_b32 exec_lo, exec_lo, s0
	v_and_b32_e32 v22, 1, v31
	v_cmp_lt_u64_e32 vcc_lo, v[19:20], v[15:16]
	s_delay_alu instid0(VALU_DEP_2)
	v_cmp_eq_u32_e64 s0, 1, v22
	s_or_b32 s1, s13, vcc_lo
	s_wait_alu 0xfffe
	s_and_b32 s1, s1, s0
	s_wait_alu 0xfffe
	s_and_saveexec_b32 s0, s1
	s_cbranch_execz .LBB1242_128
; %bb.127:
	v_lshlrev_b64_e32 v[34:35], 2, v[19:20]
	s_delay_alu instid0(VALU_DEP_1) | instskip(SKIP_1) | instid1(VALU_DEP_2)
	v_add_co_u32 v34, vcc_lo, s4, v34
	s_wait_alu 0xfffd
	v_add_co_ci_u32_e64 v35, null, s5, v35, vcc_lo
	global_store_b32 v[34:35], v9, off
.LBB1242_128:
	s_wait_alu 0xfffe
	s_or_b32 exec_lo, exec_lo, s0
	v_and_b32_e32 v20, 1, v30
	v_cmp_lt_u64_e32 vcc_lo, v[6:7], v[15:16]
	s_delay_alu instid0(VALU_DEP_2)
	v_cmp_eq_u32_e64 s0, 1, v20
	s_or_b32 s1, s13, vcc_lo
	s_wait_alu 0xfffe
	s_and_b32 s1, s1, s0
	s_wait_alu 0xfffe
	s_and_saveexec_b32 s0, s1
	s_cbranch_execz .LBB1242_130
; %bb.129:
	v_lshlrev_b64_e32 v[34:35], 2, v[6:7]
	s_delay_alu instid0(VALU_DEP_1) | instskip(SKIP_1) | instid1(VALU_DEP_2)
	v_add_co_u32 v34, vcc_lo, s4, v34
	s_wait_alu 0xfffd
	v_add_co_ci_u32_e64 v35, null, s5, v35, vcc_lo
	global_store_b32 v[34:35], v10, off
.LBB1242_130:
	s_wait_alu 0xfffe
	s_or_b32 exec_lo, exec_lo, s0
	v_cmp_lt_u64_e32 vcc_lo, v[17:18], v[15:16]
	s_or_b32 s0, s13, vcc_lo
	s_wait_alu 0xfffe
	s_and_b32 s1, s0, s14
	s_wait_alu 0xfffe
	s_and_saveexec_b32 s0, s1
	s_cbranch_execz .LBB1242_132
; %bb.131:
	v_lshlrev_b64_e32 v[15:16], 2, v[17:18]
	s_delay_alu instid0(VALU_DEP_1) | instskip(SKIP_1) | instid1(VALU_DEP_2)
	v_add_co_u32 v15, vcc_lo, s4, v15
	s_wait_alu 0xfffd
	v_add_co_ci_u32_e64 v16, null, s5, v16, vcc_lo
	global_store_b32 v[15:16], v29, off
.LBB1242_132:
	s_wait_alu 0xfffe
	s_or_b32 exec_lo, exec_lo, s0
	s_branch .LBB1242_116
.LBB1242_133:
	s_mov_b32 s0, exec_lo
	v_cmpx_eq_u32_e32 1, v33
; %bb.134:
	v_sub_nc_u32_e32 v7, v27, v4
	s_delay_alu instid0(VALU_DEP_1)
	v_lshlrev_b32_e32 v7, 2, v7
	ds_store_b32 v7, v13
; %bb.135:
	s_wait_alu 0xfffe
	s_or_b32 exec_lo, exec_lo, s0
	v_and_b32_e32 v7, 1, v8
	s_mov_b32 s0, exec_lo
	s_delay_alu instid0(VALU_DEP_1)
	v_cmpx_eq_u32_e32 1, v7
; %bb.136:
	v_sub_nc_u32_e32 v7, v25, v4
	s_delay_alu instid0(VALU_DEP_1)
	v_lshlrev_b32_e32 v7, 2, v7
	ds_store_b32 v7, v14
; %bb.137:
	s_wait_alu 0xfffe
	s_or_b32 exec_lo, exec_lo, s0
	v_and_b32_e32 v1, 1, v1
	s_mov_b32 s0, exec_lo
	s_delay_alu instid0(VALU_DEP_1)
	;; [unrolled: 12-line block ×5, first 2 shown]
	v_cmpx_eq_u32_e32 1, v1
; %bb.144:
	v_sub_nc_u32_e32 v1, v6, v4
	s_delay_alu instid0(VALU_DEP_1)
	v_lshlrev_b32_e32 v1, 2, v1
	ds_store_b32 v1, v10
; %bb.145:
	s_wait_alu 0xfffe
	s_or_b32 exec_lo, exec_lo, s0
	s_and_saveexec_b32 s0, s14
; %bb.146:
	v_sub_nc_u32_e32 v1, v17, v4
	s_delay_alu instid0(VALU_DEP_1)
	v_lshlrev_b32_e32 v1, 2, v1
	ds_store_b32 v1, v29
; %bb.147:
	s_wait_alu 0xfffe
	s_or_b32 exec_lo, exec_lo, s0
	v_dual_mov_b32 v7, 0 :: v_dual_add_nc_u32 v6, 0x180, v0
	v_lshlrev_b64_e32 v[8:9], 2, v[4:5]
	s_wait_kmcnt 0x0
	s_lshl_b64 s[0:1], s[10:11], 2
	s_wait_storecnt 0x0
	s_wait_loadcnt_dscnt 0x0
	v_mov_b32_e32 v1, v7
	s_wait_alu 0xfffe
	s_add_nc_u64 s[0:1], s[2:3], s[0:1]
	s_barrier_signal -1
	s_wait_alu 0xfffe
	v_add_co_u32 v10, vcc_lo, s0, v8
	s_wait_alu 0xfffd
	v_add_co_ci_u32_e64 v11, null, s1, v9, vcc_lo
	v_dual_mov_b32 v9, v1 :: v_dual_mov_b32 v8, v0
	s_mov_b32 s1, 0
	s_barrier_wait -1
	global_inv scope:SCOPE_SE
.LBB1242_148:                           ; =>This Inner Loop Header: Depth=1
	v_lshlrev_b32_e32 v1, 2, v8
	v_lshlrev_b64_e32 v[12:13], 2, v[8:9]
	v_dual_mov_b32 v9, v7 :: v_dual_mov_b32 v8, v6
	v_cmp_le_u64_e32 vcc_lo, v[2:3], v[6:7]
	ds_load_b32 v1, v1
	v_add_nc_u32_e32 v6, 0x180, v6
	v_add_co_u32 v12, s0, v10, v12
	s_wait_alu 0xf1ff
	v_add_co_ci_u32_e64 v13, null, v11, v13, s0
	s_wait_alu 0xfffe
	s_or_b32 s1, vcc_lo, s1
	s_wait_dscnt 0x0
	global_store_b32 v[12:13], v1, off
	s_wait_alu 0xfffe
	s_and_not1_b32 exec_lo, exec_lo, s1
	s_cbranch_execnz .LBB1242_148
; %bb.149:
	s_or_b32 exec_lo, exec_lo, s1
	v_cmp_eq_u32_e32 vcc_lo, 0, v0
	s_and_b32 s0, vcc_lo, s12
	s_wait_alu 0xfffe
	s_and_saveexec_b32 s1, s0
	s_cbranch_execz .LBB1242_117
.LBB1242_150:
	v_add_co_u32 v0, vcc_lo, v4, v2
	s_wait_alu 0xfffd
	v_add_co_ci_u32_e64 v1, null, v5, v3, vcc_lo
	v_mov_b32_e32 v2, 0
	s_wait_kmcnt 0x0
	v_add_co_u32 v0, vcc_lo, v0, s10
	s_wait_alu 0xfffd
	v_add_co_ci_u32_e64 v1, null, s11, v1, vcc_lo
	global_store_b64 v2, v[0:1], s[8:9]
	s_endpgm
	.section	.rodata,"a",@progbits
	.p2align	6, 0x0
	.amdhsa_kernel _ZN7rocprim17ROCPRIM_400000_NS6detail17trampoline_kernelINS0_14default_configENS1_25partition_config_selectorILNS1_17partition_subalgoE6EiNS0_10empty_typeEbEEZZNS1_14partition_implILS5_6ELb0ES3_mN6thrust23THRUST_200600_302600_NS6detail15normal_iteratorINSA_10device_ptrIiEEEEPS6_SG_NS0_5tupleIJSF_S6_EEENSH_IJSG_SG_EEES6_PlJNSB_9not_fun_tI7is_trueIiEEEEEE10hipError_tPvRmT3_T4_T5_T6_T7_T9_mT8_P12ihipStream_tbDpT10_ENKUlT_T0_E_clISt17integral_constantIbLb0EES18_EEDaS13_S14_EUlS13_E_NS1_11comp_targetILNS1_3genE10ELNS1_11target_archE1200ELNS1_3gpuE4ELNS1_3repE0EEENS1_30default_config_static_selectorELNS0_4arch9wavefront6targetE0EEEvT1_
		.amdhsa_group_segment_fixed_size 10768
		.amdhsa_private_segment_fixed_size 0
		.amdhsa_kernarg_size 112
		.amdhsa_user_sgpr_count 2
		.amdhsa_user_sgpr_dispatch_ptr 0
		.amdhsa_user_sgpr_queue_ptr 0
		.amdhsa_user_sgpr_kernarg_segment_ptr 1
		.amdhsa_user_sgpr_dispatch_id 0
		.amdhsa_user_sgpr_private_segment_size 0
		.amdhsa_wavefront_size32 1
		.amdhsa_uses_dynamic_stack 0
		.amdhsa_enable_private_segment 0
		.amdhsa_system_sgpr_workgroup_id_x 1
		.amdhsa_system_sgpr_workgroup_id_y 0
		.amdhsa_system_sgpr_workgroup_id_z 0
		.amdhsa_system_sgpr_workgroup_info 0
		.amdhsa_system_vgpr_workitem_id 0
		.amdhsa_next_free_vgpr 49
		.amdhsa_next_free_sgpr 19
		.amdhsa_reserve_vcc 1
		.amdhsa_float_round_mode_32 0
		.amdhsa_float_round_mode_16_64 0
		.amdhsa_float_denorm_mode_32 3
		.amdhsa_float_denorm_mode_16_64 3
		.amdhsa_fp16_overflow 0
		.amdhsa_workgroup_processor_mode 1
		.amdhsa_memory_ordered 1
		.amdhsa_forward_progress 1
		.amdhsa_inst_pref_size 59
		.amdhsa_round_robin_scheduling 0
		.amdhsa_exception_fp_ieee_invalid_op 0
		.amdhsa_exception_fp_denorm_src 0
		.amdhsa_exception_fp_ieee_div_zero 0
		.amdhsa_exception_fp_ieee_overflow 0
		.amdhsa_exception_fp_ieee_underflow 0
		.amdhsa_exception_fp_ieee_inexact 0
		.amdhsa_exception_int_div_zero 0
	.end_amdhsa_kernel
	.section	.text._ZN7rocprim17ROCPRIM_400000_NS6detail17trampoline_kernelINS0_14default_configENS1_25partition_config_selectorILNS1_17partition_subalgoE6EiNS0_10empty_typeEbEEZZNS1_14partition_implILS5_6ELb0ES3_mN6thrust23THRUST_200600_302600_NS6detail15normal_iteratorINSA_10device_ptrIiEEEEPS6_SG_NS0_5tupleIJSF_S6_EEENSH_IJSG_SG_EEES6_PlJNSB_9not_fun_tI7is_trueIiEEEEEE10hipError_tPvRmT3_T4_T5_T6_T7_T9_mT8_P12ihipStream_tbDpT10_ENKUlT_T0_E_clISt17integral_constantIbLb0EES18_EEDaS13_S14_EUlS13_E_NS1_11comp_targetILNS1_3genE10ELNS1_11target_archE1200ELNS1_3gpuE4ELNS1_3repE0EEENS1_30default_config_static_selectorELNS0_4arch9wavefront6targetE0EEEvT1_,"axG",@progbits,_ZN7rocprim17ROCPRIM_400000_NS6detail17trampoline_kernelINS0_14default_configENS1_25partition_config_selectorILNS1_17partition_subalgoE6EiNS0_10empty_typeEbEEZZNS1_14partition_implILS5_6ELb0ES3_mN6thrust23THRUST_200600_302600_NS6detail15normal_iteratorINSA_10device_ptrIiEEEEPS6_SG_NS0_5tupleIJSF_S6_EEENSH_IJSG_SG_EEES6_PlJNSB_9not_fun_tI7is_trueIiEEEEEE10hipError_tPvRmT3_T4_T5_T6_T7_T9_mT8_P12ihipStream_tbDpT10_ENKUlT_T0_E_clISt17integral_constantIbLb0EES18_EEDaS13_S14_EUlS13_E_NS1_11comp_targetILNS1_3genE10ELNS1_11target_archE1200ELNS1_3gpuE4ELNS1_3repE0EEENS1_30default_config_static_selectorELNS0_4arch9wavefront6targetE0EEEvT1_,comdat
.Lfunc_end1242:
	.size	_ZN7rocprim17ROCPRIM_400000_NS6detail17trampoline_kernelINS0_14default_configENS1_25partition_config_selectorILNS1_17partition_subalgoE6EiNS0_10empty_typeEbEEZZNS1_14partition_implILS5_6ELb0ES3_mN6thrust23THRUST_200600_302600_NS6detail15normal_iteratorINSA_10device_ptrIiEEEEPS6_SG_NS0_5tupleIJSF_S6_EEENSH_IJSG_SG_EEES6_PlJNSB_9not_fun_tI7is_trueIiEEEEEE10hipError_tPvRmT3_T4_T5_T6_T7_T9_mT8_P12ihipStream_tbDpT10_ENKUlT_T0_E_clISt17integral_constantIbLb0EES18_EEDaS13_S14_EUlS13_E_NS1_11comp_targetILNS1_3genE10ELNS1_11target_archE1200ELNS1_3gpuE4ELNS1_3repE0EEENS1_30default_config_static_selectorELNS0_4arch9wavefront6targetE0EEEvT1_, .Lfunc_end1242-_ZN7rocprim17ROCPRIM_400000_NS6detail17trampoline_kernelINS0_14default_configENS1_25partition_config_selectorILNS1_17partition_subalgoE6EiNS0_10empty_typeEbEEZZNS1_14partition_implILS5_6ELb0ES3_mN6thrust23THRUST_200600_302600_NS6detail15normal_iteratorINSA_10device_ptrIiEEEEPS6_SG_NS0_5tupleIJSF_S6_EEENSH_IJSG_SG_EEES6_PlJNSB_9not_fun_tI7is_trueIiEEEEEE10hipError_tPvRmT3_T4_T5_T6_T7_T9_mT8_P12ihipStream_tbDpT10_ENKUlT_T0_E_clISt17integral_constantIbLb0EES18_EEDaS13_S14_EUlS13_E_NS1_11comp_targetILNS1_3genE10ELNS1_11target_archE1200ELNS1_3gpuE4ELNS1_3repE0EEENS1_30default_config_static_selectorELNS0_4arch9wavefront6targetE0EEEvT1_
                                        ; -- End function
	.set _ZN7rocprim17ROCPRIM_400000_NS6detail17trampoline_kernelINS0_14default_configENS1_25partition_config_selectorILNS1_17partition_subalgoE6EiNS0_10empty_typeEbEEZZNS1_14partition_implILS5_6ELb0ES3_mN6thrust23THRUST_200600_302600_NS6detail15normal_iteratorINSA_10device_ptrIiEEEEPS6_SG_NS0_5tupleIJSF_S6_EEENSH_IJSG_SG_EEES6_PlJNSB_9not_fun_tI7is_trueIiEEEEEE10hipError_tPvRmT3_T4_T5_T6_T7_T9_mT8_P12ihipStream_tbDpT10_ENKUlT_T0_E_clISt17integral_constantIbLb0EES18_EEDaS13_S14_EUlS13_E_NS1_11comp_targetILNS1_3genE10ELNS1_11target_archE1200ELNS1_3gpuE4ELNS1_3repE0EEENS1_30default_config_static_selectorELNS0_4arch9wavefront6targetE0EEEvT1_.num_vgpr, 49
	.set _ZN7rocprim17ROCPRIM_400000_NS6detail17trampoline_kernelINS0_14default_configENS1_25partition_config_selectorILNS1_17partition_subalgoE6EiNS0_10empty_typeEbEEZZNS1_14partition_implILS5_6ELb0ES3_mN6thrust23THRUST_200600_302600_NS6detail15normal_iteratorINSA_10device_ptrIiEEEEPS6_SG_NS0_5tupleIJSF_S6_EEENSH_IJSG_SG_EEES6_PlJNSB_9not_fun_tI7is_trueIiEEEEEE10hipError_tPvRmT3_T4_T5_T6_T7_T9_mT8_P12ihipStream_tbDpT10_ENKUlT_T0_E_clISt17integral_constantIbLb0EES18_EEDaS13_S14_EUlS13_E_NS1_11comp_targetILNS1_3genE10ELNS1_11target_archE1200ELNS1_3gpuE4ELNS1_3repE0EEENS1_30default_config_static_selectorELNS0_4arch9wavefront6targetE0EEEvT1_.num_agpr, 0
	.set _ZN7rocprim17ROCPRIM_400000_NS6detail17trampoline_kernelINS0_14default_configENS1_25partition_config_selectorILNS1_17partition_subalgoE6EiNS0_10empty_typeEbEEZZNS1_14partition_implILS5_6ELb0ES3_mN6thrust23THRUST_200600_302600_NS6detail15normal_iteratorINSA_10device_ptrIiEEEEPS6_SG_NS0_5tupleIJSF_S6_EEENSH_IJSG_SG_EEES6_PlJNSB_9not_fun_tI7is_trueIiEEEEEE10hipError_tPvRmT3_T4_T5_T6_T7_T9_mT8_P12ihipStream_tbDpT10_ENKUlT_T0_E_clISt17integral_constantIbLb0EES18_EEDaS13_S14_EUlS13_E_NS1_11comp_targetILNS1_3genE10ELNS1_11target_archE1200ELNS1_3gpuE4ELNS1_3repE0EEENS1_30default_config_static_selectorELNS0_4arch9wavefront6targetE0EEEvT1_.numbered_sgpr, 19
	.set _ZN7rocprim17ROCPRIM_400000_NS6detail17trampoline_kernelINS0_14default_configENS1_25partition_config_selectorILNS1_17partition_subalgoE6EiNS0_10empty_typeEbEEZZNS1_14partition_implILS5_6ELb0ES3_mN6thrust23THRUST_200600_302600_NS6detail15normal_iteratorINSA_10device_ptrIiEEEEPS6_SG_NS0_5tupleIJSF_S6_EEENSH_IJSG_SG_EEES6_PlJNSB_9not_fun_tI7is_trueIiEEEEEE10hipError_tPvRmT3_T4_T5_T6_T7_T9_mT8_P12ihipStream_tbDpT10_ENKUlT_T0_E_clISt17integral_constantIbLb0EES18_EEDaS13_S14_EUlS13_E_NS1_11comp_targetILNS1_3genE10ELNS1_11target_archE1200ELNS1_3gpuE4ELNS1_3repE0EEENS1_30default_config_static_selectorELNS0_4arch9wavefront6targetE0EEEvT1_.num_named_barrier, 0
	.set _ZN7rocprim17ROCPRIM_400000_NS6detail17trampoline_kernelINS0_14default_configENS1_25partition_config_selectorILNS1_17partition_subalgoE6EiNS0_10empty_typeEbEEZZNS1_14partition_implILS5_6ELb0ES3_mN6thrust23THRUST_200600_302600_NS6detail15normal_iteratorINSA_10device_ptrIiEEEEPS6_SG_NS0_5tupleIJSF_S6_EEENSH_IJSG_SG_EEES6_PlJNSB_9not_fun_tI7is_trueIiEEEEEE10hipError_tPvRmT3_T4_T5_T6_T7_T9_mT8_P12ihipStream_tbDpT10_ENKUlT_T0_E_clISt17integral_constantIbLb0EES18_EEDaS13_S14_EUlS13_E_NS1_11comp_targetILNS1_3genE10ELNS1_11target_archE1200ELNS1_3gpuE4ELNS1_3repE0EEENS1_30default_config_static_selectorELNS0_4arch9wavefront6targetE0EEEvT1_.private_seg_size, 0
	.set _ZN7rocprim17ROCPRIM_400000_NS6detail17trampoline_kernelINS0_14default_configENS1_25partition_config_selectorILNS1_17partition_subalgoE6EiNS0_10empty_typeEbEEZZNS1_14partition_implILS5_6ELb0ES3_mN6thrust23THRUST_200600_302600_NS6detail15normal_iteratorINSA_10device_ptrIiEEEEPS6_SG_NS0_5tupleIJSF_S6_EEENSH_IJSG_SG_EEES6_PlJNSB_9not_fun_tI7is_trueIiEEEEEE10hipError_tPvRmT3_T4_T5_T6_T7_T9_mT8_P12ihipStream_tbDpT10_ENKUlT_T0_E_clISt17integral_constantIbLb0EES18_EEDaS13_S14_EUlS13_E_NS1_11comp_targetILNS1_3genE10ELNS1_11target_archE1200ELNS1_3gpuE4ELNS1_3repE0EEENS1_30default_config_static_selectorELNS0_4arch9wavefront6targetE0EEEvT1_.uses_vcc, 1
	.set _ZN7rocprim17ROCPRIM_400000_NS6detail17trampoline_kernelINS0_14default_configENS1_25partition_config_selectorILNS1_17partition_subalgoE6EiNS0_10empty_typeEbEEZZNS1_14partition_implILS5_6ELb0ES3_mN6thrust23THRUST_200600_302600_NS6detail15normal_iteratorINSA_10device_ptrIiEEEEPS6_SG_NS0_5tupleIJSF_S6_EEENSH_IJSG_SG_EEES6_PlJNSB_9not_fun_tI7is_trueIiEEEEEE10hipError_tPvRmT3_T4_T5_T6_T7_T9_mT8_P12ihipStream_tbDpT10_ENKUlT_T0_E_clISt17integral_constantIbLb0EES18_EEDaS13_S14_EUlS13_E_NS1_11comp_targetILNS1_3genE10ELNS1_11target_archE1200ELNS1_3gpuE4ELNS1_3repE0EEENS1_30default_config_static_selectorELNS0_4arch9wavefront6targetE0EEEvT1_.uses_flat_scratch, 1
	.set _ZN7rocprim17ROCPRIM_400000_NS6detail17trampoline_kernelINS0_14default_configENS1_25partition_config_selectorILNS1_17partition_subalgoE6EiNS0_10empty_typeEbEEZZNS1_14partition_implILS5_6ELb0ES3_mN6thrust23THRUST_200600_302600_NS6detail15normal_iteratorINSA_10device_ptrIiEEEEPS6_SG_NS0_5tupleIJSF_S6_EEENSH_IJSG_SG_EEES6_PlJNSB_9not_fun_tI7is_trueIiEEEEEE10hipError_tPvRmT3_T4_T5_T6_T7_T9_mT8_P12ihipStream_tbDpT10_ENKUlT_T0_E_clISt17integral_constantIbLb0EES18_EEDaS13_S14_EUlS13_E_NS1_11comp_targetILNS1_3genE10ELNS1_11target_archE1200ELNS1_3gpuE4ELNS1_3repE0EEENS1_30default_config_static_selectorELNS0_4arch9wavefront6targetE0EEEvT1_.has_dyn_sized_stack, 0
	.set _ZN7rocprim17ROCPRIM_400000_NS6detail17trampoline_kernelINS0_14default_configENS1_25partition_config_selectorILNS1_17partition_subalgoE6EiNS0_10empty_typeEbEEZZNS1_14partition_implILS5_6ELb0ES3_mN6thrust23THRUST_200600_302600_NS6detail15normal_iteratorINSA_10device_ptrIiEEEEPS6_SG_NS0_5tupleIJSF_S6_EEENSH_IJSG_SG_EEES6_PlJNSB_9not_fun_tI7is_trueIiEEEEEE10hipError_tPvRmT3_T4_T5_T6_T7_T9_mT8_P12ihipStream_tbDpT10_ENKUlT_T0_E_clISt17integral_constantIbLb0EES18_EEDaS13_S14_EUlS13_E_NS1_11comp_targetILNS1_3genE10ELNS1_11target_archE1200ELNS1_3gpuE4ELNS1_3repE0EEENS1_30default_config_static_selectorELNS0_4arch9wavefront6targetE0EEEvT1_.has_recursion, 0
	.set _ZN7rocprim17ROCPRIM_400000_NS6detail17trampoline_kernelINS0_14default_configENS1_25partition_config_selectorILNS1_17partition_subalgoE6EiNS0_10empty_typeEbEEZZNS1_14partition_implILS5_6ELb0ES3_mN6thrust23THRUST_200600_302600_NS6detail15normal_iteratorINSA_10device_ptrIiEEEEPS6_SG_NS0_5tupleIJSF_S6_EEENSH_IJSG_SG_EEES6_PlJNSB_9not_fun_tI7is_trueIiEEEEEE10hipError_tPvRmT3_T4_T5_T6_T7_T9_mT8_P12ihipStream_tbDpT10_ENKUlT_T0_E_clISt17integral_constantIbLb0EES18_EEDaS13_S14_EUlS13_E_NS1_11comp_targetILNS1_3genE10ELNS1_11target_archE1200ELNS1_3gpuE4ELNS1_3repE0EEENS1_30default_config_static_selectorELNS0_4arch9wavefront6targetE0EEEvT1_.has_indirect_call, 0
	.section	.AMDGPU.csdata,"",@progbits
; Kernel info:
; codeLenInByte = 7436
; TotalNumSgprs: 21
; NumVgprs: 49
; ScratchSize: 0
; MemoryBound: 0
; FloatMode: 240
; IeeeMode: 1
; LDSByteSize: 10768 bytes/workgroup (compile time only)
; SGPRBlocks: 0
; VGPRBlocks: 6
; NumSGPRsForWavesPerEU: 21
; NumVGPRsForWavesPerEU: 49
; Occupancy: 15
; WaveLimiterHint : 1
; COMPUTE_PGM_RSRC2:SCRATCH_EN: 0
; COMPUTE_PGM_RSRC2:USER_SGPR: 2
; COMPUTE_PGM_RSRC2:TRAP_HANDLER: 0
; COMPUTE_PGM_RSRC2:TGID_X_EN: 1
; COMPUTE_PGM_RSRC2:TGID_Y_EN: 0
; COMPUTE_PGM_RSRC2:TGID_Z_EN: 0
; COMPUTE_PGM_RSRC2:TIDIG_COMP_CNT: 0
	.section	.text._ZN7rocprim17ROCPRIM_400000_NS6detail17trampoline_kernelINS0_14default_configENS1_25partition_config_selectorILNS1_17partition_subalgoE6EiNS0_10empty_typeEbEEZZNS1_14partition_implILS5_6ELb0ES3_mN6thrust23THRUST_200600_302600_NS6detail15normal_iteratorINSA_10device_ptrIiEEEEPS6_SG_NS0_5tupleIJSF_S6_EEENSH_IJSG_SG_EEES6_PlJNSB_9not_fun_tI7is_trueIiEEEEEE10hipError_tPvRmT3_T4_T5_T6_T7_T9_mT8_P12ihipStream_tbDpT10_ENKUlT_T0_E_clISt17integral_constantIbLb0EES18_EEDaS13_S14_EUlS13_E_NS1_11comp_targetILNS1_3genE9ELNS1_11target_archE1100ELNS1_3gpuE3ELNS1_3repE0EEENS1_30default_config_static_selectorELNS0_4arch9wavefront6targetE0EEEvT1_,"axG",@progbits,_ZN7rocprim17ROCPRIM_400000_NS6detail17trampoline_kernelINS0_14default_configENS1_25partition_config_selectorILNS1_17partition_subalgoE6EiNS0_10empty_typeEbEEZZNS1_14partition_implILS5_6ELb0ES3_mN6thrust23THRUST_200600_302600_NS6detail15normal_iteratorINSA_10device_ptrIiEEEEPS6_SG_NS0_5tupleIJSF_S6_EEENSH_IJSG_SG_EEES6_PlJNSB_9not_fun_tI7is_trueIiEEEEEE10hipError_tPvRmT3_T4_T5_T6_T7_T9_mT8_P12ihipStream_tbDpT10_ENKUlT_T0_E_clISt17integral_constantIbLb0EES18_EEDaS13_S14_EUlS13_E_NS1_11comp_targetILNS1_3genE9ELNS1_11target_archE1100ELNS1_3gpuE3ELNS1_3repE0EEENS1_30default_config_static_selectorELNS0_4arch9wavefront6targetE0EEEvT1_,comdat
	.protected	_ZN7rocprim17ROCPRIM_400000_NS6detail17trampoline_kernelINS0_14default_configENS1_25partition_config_selectorILNS1_17partition_subalgoE6EiNS0_10empty_typeEbEEZZNS1_14partition_implILS5_6ELb0ES3_mN6thrust23THRUST_200600_302600_NS6detail15normal_iteratorINSA_10device_ptrIiEEEEPS6_SG_NS0_5tupleIJSF_S6_EEENSH_IJSG_SG_EEES6_PlJNSB_9not_fun_tI7is_trueIiEEEEEE10hipError_tPvRmT3_T4_T5_T6_T7_T9_mT8_P12ihipStream_tbDpT10_ENKUlT_T0_E_clISt17integral_constantIbLb0EES18_EEDaS13_S14_EUlS13_E_NS1_11comp_targetILNS1_3genE9ELNS1_11target_archE1100ELNS1_3gpuE3ELNS1_3repE0EEENS1_30default_config_static_selectorELNS0_4arch9wavefront6targetE0EEEvT1_ ; -- Begin function _ZN7rocprim17ROCPRIM_400000_NS6detail17trampoline_kernelINS0_14default_configENS1_25partition_config_selectorILNS1_17partition_subalgoE6EiNS0_10empty_typeEbEEZZNS1_14partition_implILS5_6ELb0ES3_mN6thrust23THRUST_200600_302600_NS6detail15normal_iteratorINSA_10device_ptrIiEEEEPS6_SG_NS0_5tupleIJSF_S6_EEENSH_IJSG_SG_EEES6_PlJNSB_9not_fun_tI7is_trueIiEEEEEE10hipError_tPvRmT3_T4_T5_T6_T7_T9_mT8_P12ihipStream_tbDpT10_ENKUlT_T0_E_clISt17integral_constantIbLb0EES18_EEDaS13_S14_EUlS13_E_NS1_11comp_targetILNS1_3genE9ELNS1_11target_archE1100ELNS1_3gpuE3ELNS1_3repE0EEENS1_30default_config_static_selectorELNS0_4arch9wavefront6targetE0EEEvT1_
	.globl	_ZN7rocprim17ROCPRIM_400000_NS6detail17trampoline_kernelINS0_14default_configENS1_25partition_config_selectorILNS1_17partition_subalgoE6EiNS0_10empty_typeEbEEZZNS1_14partition_implILS5_6ELb0ES3_mN6thrust23THRUST_200600_302600_NS6detail15normal_iteratorINSA_10device_ptrIiEEEEPS6_SG_NS0_5tupleIJSF_S6_EEENSH_IJSG_SG_EEES6_PlJNSB_9not_fun_tI7is_trueIiEEEEEE10hipError_tPvRmT3_T4_T5_T6_T7_T9_mT8_P12ihipStream_tbDpT10_ENKUlT_T0_E_clISt17integral_constantIbLb0EES18_EEDaS13_S14_EUlS13_E_NS1_11comp_targetILNS1_3genE9ELNS1_11target_archE1100ELNS1_3gpuE3ELNS1_3repE0EEENS1_30default_config_static_selectorELNS0_4arch9wavefront6targetE0EEEvT1_
	.p2align	8
	.type	_ZN7rocprim17ROCPRIM_400000_NS6detail17trampoline_kernelINS0_14default_configENS1_25partition_config_selectorILNS1_17partition_subalgoE6EiNS0_10empty_typeEbEEZZNS1_14partition_implILS5_6ELb0ES3_mN6thrust23THRUST_200600_302600_NS6detail15normal_iteratorINSA_10device_ptrIiEEEEPS6_SG_NS0_5tupleIJSF_S6_EEENSH_IJSG_SG_EEES6_PlJNSB_9not_fun_tI7is_trueIiEEEEEE10hipError_tPvRmT3_T4_T5_T6_T7_T9_mT8_P12ihipStream_tbDpT10_ENKUlT_T0_E_clISt17integral_constantIbLb0EES18_EEDaS13_S14_EUlS13_E_NS1_11comp_targetILNS1_3genE9ELNS1_11target_archE1100ELNS1_3gpuE3ELNS1_3repE0EEENS1_30default_config_static_selectorELNS0_4arch9wavefront6targetE0EEEvT1_,@function
_ZN7rocprim17ROCPRIM_400000_NS6detail17trampoline_kernelINS0_14default_configENS1_25partition_config_selectorILNS1_17partition_subalgoE6EiNS0_10empty_typeEbEEZZNS1_14partition_implILS5_6ELb0ES3_mN6thrust23THRUST_200600_302600_NS6detail15normal_iteratorINSA_10device_ptrIiEEEEPS6_SG_NS0_5tupleIJSF_S6_EEENSH_IJSG_SG_EEES6_PlJNSB_9not_fun_tI7is_trueIiEEEEEE10hipError_tPvRmT3_T4_T5_T6_T7_T9_mT8_P12ihipStream_tbDpT10_ENKUlT_T0_E_clISt17integral_constantIbLb0EES18_EEDaS13_S14_EUlS13_E_NS1_11comp_targetILNS1_3genE9ELNS1_11target_archE1100ELNS1_3gpuE3ELNS1_3repE0EEENS1_30default_config_static_selectorELNS0_4arch9wavefront6targetE0EEEvT1_: ; @_ZN7rocprim17ROCPRIM_400000_NS6detail17trampoline_kernelINS0_14default_configENS1_25partition_config_selectorILNS1_17partition_subalgoE6EiNS0_10empty_typeEbEEZZNS1_14partition_implILS5_6ELb0ES3_mN6thrust23THRUST_200600_302600_NS6detail15normal_iteratorINSA_10device_ptrIiEEEEPS6_SG_NS0_5tupleIJSF_S6_EEENSH_IJSG_SG_EEES6_PlJNSB_9not_fun_tI7is_trueIiEEEEEE10hipError_tPvRmT3_T4_T5_T6_T7_T9_mT8_P12ihipStream_tbDpT10_ENKUlT_T0_E_clISt17integral_constantIbLb0EES18_EEDaS13_S14_EUlS13_E_NS1_11comp_targetILNS1_3genE9ELNS1_11target_archE1100ELNS1_3gpuE3ELNS1_3repE0EEENS1_30default_config_static_selectorELNS0_4arch9wavefront6targetE0EEEvT1_
; %bb.0:
	.section	.rodata,"a",@progbits
	.p2align	6, 0x0
	.amdhsa_kernel _ZN7rocprim17ROCPRIM_400000_NS6detail17trampoline_kernelINS0_14default_configENS1_25partition_config_selectorILNS1_17partition_subalgoE6EiNS0_10empty_typeEbEEZZNS1_14partition_implILS5_6ELb0ES3_mN6thrust23THRUST_200600_302600_NS6detail15normal_iteratorINSA_10device_ptrIiEEEEPS6_SG_NS0_5tupleIJSF_S6_EEENSH_IJSG_SG_EEES6_PlJNSB_9not_fun_tI7is_trueIiEEEEEE10hipError_tPvRmT3_T4_T5_T6_T7_T9_mT8_P12ihipStream_tbDpT10_ENKUlT_T0_E_clISt17integral_constantIbLb0EES18_EEDaS13_S14_EUlS13_E_NS1_11comp_targetILNS1_3genE9ELNS1_11target_archE1100ELNS1_3gpuE3ELNS1_3repE0EEENS1_30default_config_static_selectorELNS0_4arch9wavefront6targetE0EEEvT1_
		.amdhsa_group_segment_fixed_size 0
		.amdhsa_private_segment_fixed_size 0
		.amdhsa_kernarg_size 112
		.amdhsa_user_sgpr_count 2
		.amdhsa_user_sgpr_dispatch_ptr 0
		.amdhsa_user_sgpr_queue_ptr 0
		.amdhsa_user_sgpr_kernarg_segment_ptr 1
		.amdhsa_user_sgpr_dispatch_id 0
		.amdhsa_user_sgpr_private_segment_size 0
		.amdhsa_wavefront_size32 1
		.amdhsa_uses_dynamic_stack 0
		.amdhsa_enable_private_segment 0
		.amdhsa_system_sgpr_workgroup_id_x 1
		.amdhsa_system_sgpr_workgroup_id_y 0
		.amdhsa_system_sgpr_workgroup_id_z 0
		.amdhsa_system_sgpr_workgroup_info 0
		.amdhsa_system_vgpr_workitem_id 0
		.amdhsa_next_free_vgpr 1
		.amdhsa_next_free_sgpr 1
		.amdhsa_reserve_vcc 0
		.amdhsa_float_round_mode_32 0
		.amdhsa_float_round_mode_16_64 0
		.amdhsa_float_denorm_mode_32 3
		.amdhsa_float_denorm_mode_16_64 3
		.amdhsa_fp16_overflow 0
		.amdhsa_workgroup_processor_mode 1
		.amdhsa_memory_ordered 1
		.amdhsa_forward_progress 1
		.amdhsa_inst_pref_size 0
		.amdhsa_round_robin_scheduling 0
		.amdhsa_exception_fp_ieee_invalid_op 0
		.amdhsa_exception_fp_denorm_src 0
		.amdhsa_exception_fp_ieee_div_zero 0
		.amdhsa_exception_fp_ieee_overflow 0
		.amdhsa_exception_fp_ieee_underflow 0
		.amdhsa_exception_fp_ieee_inexact 0
		.amdhsa_exception_int_div_zero 0
	.end_amdhsa_kernel
	.section	.text._ZN7rocprim17ROCPRIM_400000_NS6detail17trampoline_kernelINS0_14default_configENS1_25partition_config_selectorILNS1_17partition_subalgoE6EiNS0_10empty_typeEbEEZZNS1_14partition_implILS5_6ELb0ES3_mN6thrust23THRUST_200600_302600_NS6detail15normal_iteratorINSA_10device_ptrIiEEEEPS6_SG_NS0_5tupleIJSF_S6_EEENSH_IJSG_SG_EEES6_PlJNSB_9not_fun_tI7is_trueIiEEEEEE10hipError_tPvRmT3_T4_T5_T6_T7_T9_mT8_P12ihipStream_tbDpT10_ENKUlT_T0_E_clISt17integral_constantIbLb0EES18_EEDaS13_S14_EUlS13_E_NS1_11comp_targetILNS1_3genE9ELNS1_11target_archE1100ELNS1_3gpuE3ELNS1_3repE0EEENS1_30default_config_static_selectorELNS0_4arch9wavefront6targetE0EEEvT1_,"axG",@progbits,_ZN7rocprim17ROCPRIM_400000_NS6detail17trampoline_kernelINS0_14default_configENS1_25partition_config_selectorILNS1_17partition_subalgoE6EiNS0_10empty_typeEbEEZZNS1_14partition_implILS5_6ELb0ES3_mN6thrust23THRUST_200600_302600_NS6detail15normal_iteratorINSA_10device_ptrIiEEEEPS6_SG_NS0_5tupleIJSF_S6_EEENSH_IJSG_SG_EEES6_PlJNSB_9not_fun_tI7is_trueIiEEEEEE10hipError_tPvRmT3_T4_T5_T6_T7_T9_mT8_P12ihipStream_tbDpT10_ENKUlT_T0_E_clISt17integral_constantIbLb0EES18_EEDaS13_S14_EUlS13_E_NS1_11comp_targetILNS1_3genE9ELNS1_11target_archE1100ELNS1_3gpuE3ELNS1_3repE0EEENS1_30default_config_static_selectorELNS0_4arch9wavefront6targetE0EEEvT1_,comdat
.Lfunc_end1243:
	.size	_ZN7rocprim17ROCPRIM_400000_NS6detail17trampoline_kernelINS0_14default_configENS1_25partition_config_selectorILNS1_17partition_subalgoE6EiNS0_10empty_typeEbEEZZNS1_14partition_implILS5_6ELb0ES3_mN6thrust23THRUST_200600_302600_NS6detail15normal_iteratorINSA_10device_ptrIiEEEEPS6_SG_NS0_5tupleIJSF_S6_EEENSH_IJSG_SG_EEES6_PlJNSB_9not_fun_tI7is_trueIiEEEEEE10hipError_tPvRmT3_T4_T5_T6_T7_T9_mT8_P12ihipStream_tbDpT10_ENKUlT_T0_E_clISt17integral_constantIbLb0EES18_EEDaS13_S14_EUlS13_E_NS1_11comp_targetILNS1_3genE9ELNS1_11target_archE1100ELNS1_3gpuE3ELNS1_3repE0EEENS1_30default_config_static_selectorELNS0_4arch9wavefront6targetE0EEEvT1_, .Lfunc_end1243-_ZN7rocprim17ROCPRIM_400000_NS6detail17trampoline_kernelINS0_14default_configENS1_25partition_config_selectorILNS1_17partition_subalgoE6EiNS0_10empty_typeEbEEZZNS1_14partition_implILS5_6ELb0ES3_mN6thrust23THRUST_200600_302600_NS6detail15normal_iteratorINSA_10device_ptrIiEEEEPS6_SG_NS0_5tupleIJSF_S6_EEENSH_IJSG_SG_EEES6_PlJNSB_9not_fun_tI7is_trueIiEEEEEE10hipError_tPvRmT3_T4_T5_T6_T7_T9_mT8_P12ihipStream_tbDpT10_ENKUlT_T0_E_clISt17integral_constantIbLb0EES18_EEDaS13_S14_EUlS13_E_NS1_11comp_targetILNS1_3genE9ELNS1_11target_archE1100ELNS1_3gpuE3ELNS1_3repE0EEENS1_30default_config_static_selectorELNS0_4arch9wavefront6targetE0EEEvT1_
                                        ; -- End function
	.set _ZN7rocprim17ROCPRIM_400000_NS6detail17trampoline_kernelINS0_14default_configENS1_25partition_config_selectorILNS1_17partition_subalgoE6EiNS0_10empty_typeEbEEZZNS1_14partition_implILS5_6ELb0ES3_mN6thrust23THRUST_200600_302600_NS6detail15normal_iteratorINSA_10device_ptrIiEEEEPS6_SG_NS0_5tupleIJSF_S6_EEENSH_IJSG_SG_EEES6_PlJNSB_9not_fun_tI7is_trueIiEEEEEE10hipError_tPvRmT3_T4_T5_T6_T7_T9_mT8_P12ihipStream_tbDpT10_ENKUlT_T0_E_clISt17integral_constantIbLb0EES18_EEDaS13_S14_EUlS13_E_NS1_11comp_targetILNS1_3genE9ELNS1_11target_archE1100ELNS1_3gpuE3ELNS1_3repE0EEENS1_30default_config_static_selectorELNS0_4arch9wavefront6targetE0EEEvT1_.num_vgpr, 0
	.set _ZN7rocprim17ROCPRIM_400000_NS6detail17trampoline_kernelINS0_14default_configENS1_25partition_config_selectorILNS1_17partition_subalgoE6EiNS0_10empty_typeEbEEZZNS1_14partition_implILS5_6ELb0ES3_mN6thrust23THRUST_200600_302600_NS6detail15normal_iteratorINSA_10device_ptrIiEEEEPS6_SG_NS0_5tupleIJSF_S6_EEENSH_IJSG_SG_EEES6_PlJNSB_9not_fun_tI7is_trueIiEEEEEE10hipError_tPvRmT3_T4_T5_T6_T7_T9_mT8_P12ihipStream_tbDpT10_ENKUlT_T0_E_clISt17integral_constantIbLb0EES18_EEDaS13_S14_EUlS13_E_NS1_11comp_targetILNS1_3genE9ELNS1_11target_archE1100ELNS1_3gpuE3ELNS1_3repE0EEENS1_30default_config_static_selectorELNS0_4arch9wavefront6targetE0EEEvT1_.num_agpr, 0
	.set _ZN7rocprim17ROCPRIM_400000_NS6detail17trampoline_kernelINS0_14default_configENS1_25partition_config_selectorILNS1_17partition_subalgoE6EiNS0_10empty_typeEbEEZZNS1_14partition_implILS5_6ELb0ES3_mN6thrust23THRUST_200600_302600_NS6detail15normal_iteratorINSA_10device_ptrIiEEEEPS6_SG_NS0_5tupleIJSF_S6_EEENSH_IJSG_SG_EEES6_PlJNSB_9not_fun_tI7is_trueIiEEEEEE10hipError_tPvRmT3_T4_T5_T6_T7_T9_mT8_P12ihipStream_tbDpT10_ENKUlT_T0_E_clISt17integral_constantIbLb0EES18_EEDaS13_S14_EUlS13_E_NS1_11comp_targetILNS1_3genE9ELNS1_11target_archE1100ELNS1_3gpuE3ELNS1_3repE0EEENS1_30default_config_static_selectorELNS0_4arch9wavefront6targetE0EEEvT1_.numbered_sgpr, 0
	.set _ZN7rocprim17ROCPRIM_400000_NS6detail17trampoline_kernelINS0_14default_configENS1_25partition_config_selectorILNS1_17partition_subalgoE6EiNS0_10empty_typeEbEEZZNS1_14partition_implILS5_6ELb0ES3_mN6thrust23THRUST_200600_302600_NS6detail15normal_iteratorINSA_10device_ptrIiEEEEPS6_SG_NS0_5tupleIJSF_S6_EEENSH_IJSG_SG_EEES6_PlJNSB_9not_fun_tI7is_trueIiEEEEEE10hipError_tPvRmT3_T4_T5_T6_T7_T9_mT8_P12ihipStream_tbDpT10_ENKUlT_T0_E_clISt17integral_constantIbLb0EES18_EEDaS13_S14_EUlS13_E_NS1_11comp_targetILNS1_3genE9ELNS1_11target_archE1100ELNS1_3gpuE3ELNS1_3repE0EEENS1_30default_config_static_selectorELNS0_4arch9wavefront6targetE0EEEvT1_.num_named_barrier, 0
	.set _ZN7rocprim17ROCPRIM_400000_NS6detail17trampoline_kernelINS0_14default_configENS1_25partition_config_selectorILNS1_17partition_subalgoE6EiNS0_10empty_typeEbEEZZNS1_14partition_implILS5_6ELb0ES3_mN6thrust23THRUST_200600_302600_NS6detail15normal_iteratorINSA_10device_ptrIiEEEEPS6_SG_NS0_5tupleIJSF_S6_EEENSH_IJSG_SG_EEES6_PlJNSB_9not_fun_tI7is_trueIiEEEEEE10hipError_tPvRmT3_T4_T5_T6_T7_T9_mT8_P12ihipStream_tbDpT10_ENKUlT_T0_E_clISt17integral_constantIbLb0EES18_EEDaS13_S14_EUlS13_E_NS1_11comp_targetILNS1_3genE9ELNS1_11target_archE1100ELNS1_3gpuE3ELNS1_3repE0EEENS1_30default_config_static_selectorELNS0_4arch9wavefront6targetE0EEEvT1_.private_seg_size, 0
	.set _ZN7rocprim17ROCPRIM_400000_NS6detail17trampoline_kernelINS0_14default_configENS1_25partition_config_selectorILNS1_17partition_subalgoE6EiNS0_10empty_typeEbEEZZNS1_14partition_implILS5_6ELb0ES3_mN6thrust23THRUST_200600_302600_NS6detail15normal_iteratorINSA_10device_ptrIiEEEEPS6_SG_NS0_5tupleIJSF_S6_EEENSH_IJSG_SG_EEES6_PlJNSB_9not_fun_tI7is_trueIiEEEEEE10hipError_tPvRmT3_T4_T5_T6_T7_T9_mT8_P12ihipStream_tbDpT10_ENKUlT_T0_E_clISt17integral_constantIbLb0EES18_EEDaS13_S14_EUlS13_E_NS1_11comp_targetILNS1_3genE9ELNS1_11target_archE1100ELNS1_3gpuE3ELNS1_3repE0EEENS1_30default_config_static_selectorELNS0_4arch9wavefront6targetE0EEEvT1_.uses_vcc, 0
	.set _ZN7rocprim17ROCPRIM_400000_NS6detail17trampoline_kernelINS0_14default_configENS1_25partition_config_selectorILNS1_17partition_subalgoE6EiNS0_10empty_typeEbEEZZNS1_14partition_implILS5_6ELb0ES3_mN6thrust23THRUST_200600_302600_NS6detail15normal_iteratorINSA_10device_ptrIiEEEEPS6_SG_NS0_5tupleIJSF_S6_EEENSH_IJSG_SG_EEES6_PlJNSB_9not_fun_tI7is_trueIiEEEEEE10hipError_tPvRmT3_T4_T5_T6_T7_T9_mT8_P12ihipStream_tbDpT10_ENKUlT_T0_E_clISt17integral_constantIbLb0EES18_EEDaS13_S14_EUlS13_E_NS1_11comp_targetILNS1_3genE9ELNS1_11target_archE1100ELNS1_3gpuE3ELNS1_3repE0EEENS1_30default_config_static_selectorELNS0_4arch9wavefront6targetE0EEEvT1_.uses_flat_scratch, 0
	.set _ZN7rocprim17ROCPRIM_400000_NS6detail17trampoline_kernelINS0_14default_configENS1_25partition_config_selectorILNS1_17partition_subalgoE6EiNS0_10empty_typeEbEEZZNS1_14partition_implILS5_6ELb0ES3_mN6thrust23THRUST_200600_302600_NS6detail15normal_iteratorINSA_10device_ptrIiEEEEPS6_SG_NS0_5tupleIJSF_S6_EEENSH_IJSG_SG_EEES6_PlJNSB_9not_fun_tI7is_trueIiEEEEEE10hipError_tPvRmT3_T4_T5_T6_T7_T9_mT8_P12ihipStream_tbDpT10_ENKUlT_T0_E_clISt17integral_constantIbLb0EES18_EEDaS13_S14_EUlS13_E_NS1_11comp_targetILNS1_3genE9ELNS1_11target_archE1100ELNS1_3gpuE3ELNS1_3repE0EEENS1_30default_config_static_selectorELNS0_4arch9wavefront6targetE0EEEvT1_.has_dyn_sized_stack, 0
	.set _ZN7rocprim17ROCPRIM_400000_NS6detail17trampoline_kernelINS0_14default_configENS1_25partition_config_selectorILNS1_17partition_subalgoE6EiNS0_10empty_typeEbEEZZNS1_14partition_implILS5_6ELb0ES3_mN6thrust23THRUST_200600_302600_NS6detail15normal_iteratorINSA_10device_ptrIiEEEEPS6_SG_NS0_5tupleIJSF_S6_EEENSH_IJSG_SG_EEES6_PlJNSB_9not_fun_tI7is_trueIiEEEEEE10hipError_tPvRmT3_T4_T5_T6_T7_T9_mT8_P12ihipStream_tbDpT10_ENKUlT_T0_E_clISt17integral_constantIbLb0EES18_EEDaS13_S14_EUlS13_E_NS1_11comp_targetILNS1_3genE9ELNS1_11target_archE1100ELNS1_3gpuE3ELNS1_3repE0EEENS1_30default_config_static_selectorELNS0_4arch9wavefront6targetE0EEEvT1_.has_recursion, 0
	.set _ZN7rocprim17ROCPRIM_400000_NS6detail17trampoline_kernelINS0_14default_configENS1_25partition_config_selectorILNS1_17partition_subalgoE6EiNS0_10empty_typeEbEEZZNS1_14partition_implILS5_6ELb0ES3_mN6thrust23THRUST_200600_302600_NS6detail15normal_iteratorINSA_10device_ptrIiEEEEPS6_SG_NS0_5tupleIJSF_S6_EEENSH_IJSG_SG_EEES6_PlJNSB_9not_fun_tI7is_trueIiEEEEEE10hipError_tPvRmT3_T4_T5_T6_T7_T9_mT8_P12ihipStream_tbDpT10_ENKUlT_T0_E_clISt17integral_constantIbLb0EES18_EEDaS13_S14_EUlS13_E_NS1_11comp_targetILNS1_3genE9ELNS1_11target_archE1100ELNS1_3gpuE3ELNS1_3repE0EEENS1_30default_config_static_selectorELNS0_4arch9wavefront6targetE0EEEvT1_.has_indirect_call, 0
	.section	.AMDGPU.csdata,"",@progbits
; Kernel info:
; codeLenInByte = 0
; TotalNumSgprs: 0
; NumVgprs: 0
; ScratchSize: 0
; MemoryBound: 0
; FloatMode: 240
; IeeeMode: 1
; LDSByteSize: 0 bytes/workgroup (compile time only)
; SGPRBlocks: 0
; VGPRBlocks: 0
; NumSGPRsForWavesPerEU: 1
; NumVGPRsForWavesPerEU: 1
; Occupancy: 16
; WaveLimiterHint : 0
; COMPUTE_PGM_RSRC2:SCRATCH_EN: 0
; COMPUTE_PGM_RSRC2:USER_SGPR: 2
; COMPUTE_PGM_RSRC2:TRAP_HANDLER: 0
; COMPUTE_PGM_RSRC2:TGID_X_EN: 1
; COMPUTE_PGM_RSRC2:TGID_Y_EN: 0
; COMPUTE_PGM_RSRC2:TGID_Z_EN: 0
; COMPUTE_PGM_RSRC2:TIDIG_COMP_CNT: 0
	.section	.text._ZN7rocprim17ROCPRIM_400000_NS6detail17trampoline_kernelINS0_14default_configENS1_25partition_config_selectorILNS1_17partition_subalgoE6EiNS0_10empty_typeEbEEZZNS1_14partition_implILS5_6ELb0ES3_mN6thrust23THRUST_200600_302600_NS6detail15normal_iteratorINSA_10device_ptrIiEEEEPS6_SG_NS0_5tupleIJSF_S6_EEENSH_IJSG_SG_EEES6_PlJNSB_9not_fun_tI7is_trueIiEEEEEE10hipError_tPvRmT3_T4_T5_T6_T7_T9_mT8_P12ihipStream_tbDpT10_ENKUlT_T0_E_clISt17integral_constantIbLb0EES18_EEDaS13_S14_EUlS13_E_NS1_11comp_targetILNS1_3genE8ELNS1_11target_archE1030ELNS1_3gpuE2ELNS1_3repE0EEENS1_30default_config_static_selectorELNS0_4arch9wavefront6targetE0EEEvT1_,"axG",@progbits,_ZN7rocprim17ROCPRIM_400000_NS6detail17trampoline_kernelINS0_14default_configENS1_25partition_config_selectorILNS1_17partition_subalgoE6EiNS0_10empty_typeEbEEZZNS1_14partition_implILS5_6ELb0ES3_mN6thrust23THRUST_200600_302600_NS6detail15normal_iteratorINSA_10device_ptrIiEEEEPS6_SG_NS0_5tupleIJSF_S6_EEENSH_IJSG_SG_EEES6_PlJNSB_9not_fun_tI7is_trueIiEEEEEE10hipError_tPvRmT3_T4_T5_T6_T7_T9_mT8_P12ihipStream_tbDpT10_ENKUlT_T0_E_clISt17integral_constantIbLb0EES18_EEDaS13_S14_EUlS13_E_NS1_11comp_targetILNS1_3genE8ELNS1_11target_archE1030ELNS1_3gpuE2ELNS1_3repE0EEENS1_30default_config_static_selectorELNS0_4arch9wavefront6targetE0EEEvT1_,comdat
	.protected	_ZN7rocprim17ROCPRIM_400000_NS6detail17trampoline_kernelINS0_14default_configENS1_25partition_config_selectorILNS1_17partition_subalgoE6EiNS0_10empty_typeEbEEZZNS1_14partition_implILS5_6ELb0ES3_mN6thrust23THRUST_200600_302600_NS6detail15normal_iteratorINSA_10device_ptrIiEEEEPS6_SG_NS0_5tupleIJSF_S6_EEENSH_IJSG_SG_EEES6_PlJNSB_9not_fun_tI7is_trueIiEEEEEE10hipError_tPvRmT3_T4_T5_T6_T7_T9_mT8_P12ihipStream_tbDpT10_ENKUlT_T0_E_clISt17integral_constantIbLb0EES18_EEDaS13_S14_EUlS13_E_NS1_11comp_targetILNS1_3genE8ELNS1_11target_archE1030ELNS1_3gpuE2ELNS1_3repE0EEENS1_30default_config_static_selectorELNS0_4arch9wavefront6targetE0EEEvT1_ ; -- Begin function _ZN7rocprim17ROCPRIM_400000_NS6detail17trampoline_kernelINS0_14default_configENS1_25partition_config_selectorILNS1_17partition_subalgoE6EiNS0_10empty_typeEbEEZZNS1_14partition_implILS5_6ELb0ES3_mN6thrust23THRUST_200600_302600_NS6detail15normal_iteratorINSA_10device_ptrIiEEEEPS6_SG_NS0_5tupleIJSF_S6_EEENSH_IJSG_SG_EEES6_PlJNSB_9not_fun_tI7is_trueIiEEEEEE10hipError_tPvRmT3_T4_T5_T6_T7_T9_mT8_P12ihipStream_tbDpT10_ENKUlT_T0_E_clISt17integral_constantIbLb0EES18_EEDaS13_S14_EUlS13_E_NS1_11comp_targetILNS1_3genE8ELNS1_11target_archE1030ELNS1_3gpuE2ELNS1_3repE0EEENS1_30default_config_static_selectorELNS0_4arch9wavefront6targetE0EEEvT1_
	.globl	_ZN7rocprim17ROCPRIM_400000_NS6detail17trampoline_kernelINS0_14default_configENS1_25partition_config_selectorILNS1_17partition_subalgoE6EiNS0_10empty_typeEbEEZZNS1_14partition_implILS5_6ELb0ES3_mN6thrust23THRUST_200600_302600_NS6detail15normal_iteratorINSA_10device_ptrIiEEEEPS6_SG_NS0_5tupleIJSF_S6_EEENSH_IJSG_SG_EEES6_PlJNSB_9not_fun_tI7is_trueIiEEEEEE10hipError_tPvRmT3_T4_T5_T6_T7_T9_mT8_P12ihipStream_tbDpT10_ENKUlT_T0_E_clISt17integral_constantIbLb0EES18_EEDaS13_S14_EUlS13_E_NS1_11comp_targetILNS1_3genE8ELNS1_11target_archE1030ELNS1_3gpuE2ELNS1_3repE0EEENS1_30default_config_static_selectorELNS0_4arch9wavefront6targetE0EEEvT1_
	.p2align	8
	.type	_ZN7rocprim17ROCPRIM_400000_NS6detail17trampoline_kernelINS0_14default_configENS1_25partition_config_selectorILNS1_17partition_subalgoE6EiNS0_10empty_typeEbEEZZNS1_14partition_implILS5_6ELb0ES3_mN6thrust23THRUST_200600_302600_NS6detail15normal_iteratorINSA_10device_ptrIiEEEEPS6_SG_NS0_5tupleIJSF_S6_EEENSH_IJSG_SG_EEES6_PlJNSB_9not_fun_tI7is_trueIiEEEEEE10hipError_tPvRmT3_T4_T5_T6_T7_T9_mT8_P12ihipStream_tbDpT10_ENKUlT_T0_E_clISt17integral_constantIbLb0EES18_EEDaS13_S14_EUlS13_E_NS1_11comp_targetILNS1_3genE8ELNS1_11target_archE1030ELNS1_3gpuE2ELNS1_3repE0EEENS1_30default_config_static_selectorELNS0_4arch9wavefront6targetE0EEEvT1_,@function
_ZN7rocprim17ROCPRIM_400000_NS6detail17trampoline_kernelINS0_14default_configENS1_25partition_config_selectorILNS1_17partition_subalgoE6EiNS0_10empty_typeEbEEZZNS1_14partition_implILS5_6ELb0ES3_mN6thrust23THRUST_200600_302600_NS6detail15normal_iteratorINSA_10device_ptrIiEEEEPS6_SG_NS0_5tupleIJSF_S6_EEENSH_IJSG_SG_EEES6_PlJNSB_9not_fun_tI7is_trueIiEEEEEE10hipError_tPvRmT3_T4_T5_T6_T7_T9_mT8_P12ihipStream_tbDpT10_ENKUlT_T0_E_clISt17integral_constantIbLb0EES18_EEDaS13_S14_EUlS13_E_NS1_11comp_targetILNS1_3genE8ELNS1_11target_archE1030ELNS1_3gpuE2ELNS1_3repE0EEENS1_30default_config_static_selectorELNS0_4arch9wavefront6targetE0EEEvT1_: ; @_ZN7rocprim17ROCPRIM_400000_NS6detail17trampoline_kernelINS0_14default_configENS1_25partition_config_selectorILNS1_17partition_subalgoE6EiNS0_10empty_typeEbEEZZNS1_14partition_implILS5_6ELb0ES3_mN6thrust23THRUST_200600_302600_NS6detail15normal_iteratorINSA_10device_ptrIiEEEEPS6_SG_NS0_5tupleIJSF_S6_EEENSH_IJSG_SG_EEES6_PlJNSB_9not_fun_tI7is_trueIiEEEEEE10hipError_tPvRmT3_T4_T5_T6_T7_T9_mT8_P12ihipStream_tbDpT10_ENKUlT_T0_E_clISt17integral_constantIbLb0EES18_EEDaS13_S14_EUlS13_E_NS1_11comp_targetILNS1_3genE8ELNS1_11target_archE1030ELNS1_3gpuE2ELNS1_3repE0EEENS1_30default_config_static_selectorELNS0_4arch9wavefront6targetE0EEEvT1_
; %bb.0:
	.section	.rodata,"a",@progbits
	.p2align	6, 0x0
	.amdhsa_kernel _ZN7rocprim17ROCPRIM_400000_NS6detail17trampoline_kernelINS0_14default_configENS1_25partition_config_selectorILNS1_17partition_subalgoE6EiNS0_10empty_typeEbEEZZNS1_14partition_implILS5_6ELb0ES3_mN6thrust23THRUST_200600_302600_NS6detail15normal_iteratorINSA_10device_ptrIiEEEEPS6_SG_NS0_5tupleIJSF_S6_EEENSH_IJSG_SG_EEES6_PlJNSB_9not_fun_tI7is_trueIiEEEEEE10hipError_tPvRmT3_T4_T5_T6_T7_T9_mT8_P12ihipStream_tbDpT10_ENKUlT_T0_E_clISt17integral_constantIbLb0EES18_EEDaS13_S14_EUlS13_E_NS1_11comp_targetILNS1_3genE8ELNS1_11target_archE1030ELNS1_3gpuE2ELNS1_3repE0EEENS1_30default_config_static_selectorELNS0_4arch9wavefront6targetE0EEEvT1_
		.amdhsa_group_segment_fixed_size 0
		.amdhsa_private_segment_fixed_size 0
		.amdhsa_kernarg_size 112
		.amdhsa_user_sgpr_count 2
		.amdhsa_user_sgpr_dispatch_ptr 0
		.amdhsa_user_sgpr_queue_ptr 0
		.amdhsa_user_sgpr_kernarg_segment_ptr 1
		.amdhsa_user_sgpr_dispatch_id 0
		.amdhsa_user_sgpr_private_segment_size 0
		.amdhsa_wavefront_size32 1
		.amdhsa_uses_dynamic_stack 0
		.amdhsa_enable_private_segment 0
		.amdhsa_system_sgpr_workgroup_id_x 1
		.amdhsa_system_sgpr_workgroup_id_y 0
		.amdhsa_system_sgpr_workgroup_id_z 0
		.amdhsa_system_sgpr_workgroup_info 0
		.amdhsa_system_vgpr_workitem_id 0
		.amdhsa_next_free_vgpr 1
		.amdhsa_next_free_sgpr 1
		.amdhsa_reserve_vcc 0
		.amdhsa_float_round_mode_32 0
		.amdhsa_float_round_mode_16_64 0
		.amdhsa_float_denorm_mode_32 3
		.amdhsa_float_denorm_mode_16_64 3
		.amdhsa_fp16_overflow 0
		.amdhsa_workgroup_processor_mode 1
		.amdhsa_memory_ordered 1
		.amdhsa_forward_progress 1
		.amdhsa_inst_pref_size 0
		.amdhsa_round_robin_scheduling 0
		.amdhsa_exception_fp_ieee_invalid_op 0
		.amdhsa_exception_fp_denorm_src 0
		.amdhsa_exception_fp_ieee_div_zero 0
		.amdhsa_exception_fp_ieee_overflow 0
		.amdhsa_exception_fp_ieee_underflow 0
		.amdhsa_exception_fp_ieee_inexact 0
		.amdhsa_exception_int_div_zero 0
	.end_amdhsa_kernel
	.section	.text._ZN7rocprim17ROCPRIM_400000_NS6detail17trampoline_kernelINS0_14default_configENS1_25partition_config_selectorILNS1_17partition_subalgoE6EiNS0_10empty_typeEbEEZZNS1_14partition_implILS5_6ELb0ES3_mN6thrust23THRUST_200600_302600_NS6detail15normal_iteratorINSA_10device_ptrIiEEEEPS6_SG_NS0_5tupleIJSF_S6_EEENSH_IJSG_SG_EEES6_PlJNSB_9not_fun_tI7is_trueIiEEEEEE10hipError_tPvRmT3_T4_T5_T6_T7_T9_mT8_P12ihipStream_tbDpT10_ENKUlT_T0_E_clISt17integral_constantIbLb0EES18_EEDaS13_S14_EUlS13_E_NS1_11comp_targetILNS1_3genE8ELNS1_11target_archE1030ELNS1_3gpuE2ELNS1_3repE0EEENS1_30default_config_static_selectorELNS0_4arch9wavefront6targetE0EEEvT1_,"axG",@progbits,_ZN7rocprim17ROCPRIM_400000_NS6detail17trampoline_kernelINS0_14default_configENS1_25partition_config_selectorILNS1_17partition_subalgoE6EiNS0_10empty_typeEbEEZZNS1_14partition_implILS5_6ELb0ES3_mN6thrust23THRUST_200600_302600_NS6detail15normal_iteratorINSA_10device_ptrIiEEEEPS6_SG_NS0_5tupleIJSF_S6_EEENSH_IJSG_SG_EEES6_PlJNSB_9not_fun_tI7is_trueIiEEEEEE10hipError_tPvRmT3_T4_T5_T6_T7_T9_mT8_P12ihipStream_tbDpT10_ENKUlT_T0_E_clISt17integral_constantIbLb0EES18_EEDaS13_S14_EUlS13_E_NS1_11comp_targetILNS1_3genE8ELNS1_11target_archE1030ELNS1_3gpuE2ELNS1_3repE0EEENS1_30default_config_static_selectorELNS0_4arch9wavefront6targetE0EEEvT1_,comdat
.Lfunc_end1244:
	.size	_ZN7rocprim17ROCPRIM_400000_NS6detail17trampoline_kernelINS0_14default_configENS1_25partition_config_selectorILNS1_17partition_subalgoE6EiNS0_10empty_typeEbEEZZNS1_14partition_implILS5_6ELb0ES3_mN6thrust23THRUST_200600_302600_NS6detail15normal_iteratorINSA_10device_ptrIiEEEEPS6_SG_NS0_5tupleIJSF_S6_EEENSH_IJSG_SG_EEES6_PlJNSB_9not_fun_tI7is_trueIiEEEEEE10hipError_tPvRmT3_T4_T5_T6_T7_T9_mT8_P12ihipStream_tbDpT10_ENKUlT_T0_E_clISt17integral_constantIbLb0EES18_EEDaS13_S14_EUlS13_E_NS1_11comp_targetILNS1_3genE8ELNS1_11target_archE1030ELNS1_3gpuE2ELNS1_3repE0EEENS1_30default_config_static_selectorELNS0_4arch9wavefront6targetE0EEEvT1_, .Lfunc_end1244-_ZN7rocprim17ROCPRIM_400000_NS6detail17trampoline_kernelINS0_14default_configENS1_25partition_config_selectorILNS1_17partition_subalgoE6EiNS0_10empty_typeEbEEZZNS1_14partition_implILS5_6ELb0ES3_mN6thrust23THRUST_200600_302600_NS6detail15normal_iteratorINSA_10device_ptrIiEEEEPS6_SG_NS0_5tupleIJSF_S6_EEENSH_IJSG_SG_EEES6_PlJNSB_9not_fun_tI7is_trueIiEEEEEE10hipError_tPvRmT3_T4_T5_T6_T7_T9_mT8_P12ihipStream_tbDpT10_ENKUlT_T0_E_clISt17integral_constantIbLb0EES18_EEDaS13_S14_EUlS13_E_NS1_11comp_targetILNS1_3genE8ELNS1_11target_archE1030ELNS1_3gpuE2ELNS1_3repE0EEENS1_30default_config_static_selectorELNS0_4arch9wavefront6targetE0EEEvT1_
                                        ; -- End function
	.set _ZN7rocprim17ROCPRIM_400000_NS6detail17trampoline_kernelINS0_14default_configENS1_25partition_config_selectorILNS1_17partition_subalgoE6EiNS0_10empty_typeEbEEZZNS1_14partition_implILS5_6ELb0ES3_mN6thrust23THRUST_200600_302600_NS6detail15normal_iteratorINSA_10device_ptrIiEEEEPS6_SG_NS0_5tupleIJSF_S6_EEENSH_IJSG_SG_EEES6_PlJNSB_9not_fun_tI7is_trueIiEEEEEE10hipError_tPvRmT3_T4_T5_T6_T7_T9_mT8_P12ihipStream_tbDpT10_ENKUlT_T0_E_clISt17integral_constantIbLb0EES18_EEDaS13_S14_EUlS13_E_NS1_11comp_targetILNS1_3genE8ELNS1_11target_archE1030ELNS1_3gpuE2ELNS1_3repE0EEENS1_30default_config_static_selectorELNS0_4arch9wavefront6targetE0EEEvT1_.num_vgpr, 0
	.set _ZN7rocprim17ROCPRIM_400000_NS6detail17trampoline_kernelINS0_14default_configENS1_25partition_config_selectorILNS1_17partition_subalgoE6EiNS0_10empty_typeEbEEZZNS1_14partition_implILS5_6ELb0ES3_mN6thrust23THRUST_200600_302600_NS6detail15normal_iteratorINSA_10device_ptrIiEEEEPS6_SG_NS0_5tupleIJSF_S6_EEENSH_IJSG_SG_EEES6_PlJNSB_9not_fun_tI7is_trueIiEEEEEE10hipError_tPvRmT3_T4_T5_T6_T7_T9_mT8_P12ihipStream_tbDpT10_ENKUlT_T0_E_clISt17integral_constantIbLb0EES18_EEDaS13_S14_EUlS13_E_NS1_11comp_targetILNS1_3genE8ELNS1_11target_archE1030ELNS1_3gpuE2ELNS1_3repE0EEENS1_30default_config_static_selectorELNS0_4arch9wavefront6targetE0EEEvT1_.num_agpr, 0
	.set _ZN7rocprim17ROCPRIM_400000_NS6detail17trampoline_kernelINS0_14default_configENS1_25partition_config_selectorILNS1_17partition_subalgoE6EiNS0_10empty_typeEbEEZZNS1_14partition_implILS5_6ELb0ES3_mN6thrust23THRUST_200600_302600_NS6detail15normal_iteratorINSA_10device_ptrIiEEEEPS6_SG_NS0_5tupleIJSF_S6_EEENSH_IJSG_SG_EEES6_PlJNSB_9not_fun_tI7is_trueIiEEEEEE10hipError_tPvRmT3_T4_T5_T6_T7_T9_mT8_P12ihipStream_tbDpT10_ENKUlT_T0_E_clISt17integral_constantIbLb0EES18_EEDaS13_S14_EUlS13_E_NS1_11comp_targetILNS1_3genE8ELNS1_11target_archE1030ELNS1_3gpuE2ELNS1_3repE0EEENS1_30default_config_static_selectorELNS0_4arch9wavefront6targetE0EEEvT1_.numbered_sgpr, 0
	.set _ZN7rocprim17ROCPRIM_400000_NS6detail17trampoline_kernelINS0_14default_configENS1_25partition_config_selectorILNS1_17partition_subalgoE6EiNS0_10empty_typeEbEEZZNS1_14partition_implILS5_6ELb0ES3_mN6thrust23THRUST_200600_302600_NS6detail15normal_iteratorINSA_10device_ptrIiEEEEPS6_SG_NS0_5tupleIJSF_S6_EEENSH_IJSG_SG_EEES6_PlJNSB_9not_fun_tI7is_trueIiEEEEEE10hipError_tPvRmT3_T4_T5_T6_T7_T9_mT8_P12ihipStream_tbDpT10_ENKUlT_T0_E_clISt17integral_constantIbLb0EES18_EEDaS13_S14_EUlS13_E_NS1_11comp_targetILNS1_3genE8ELNS1_11target_archE1030ELNS1_3gpuE2ELNS1_3repE0EEENS1_30default_config_static_selectorELNS0_4arch9wavefront6targetE0EEEvT1_.num_named_barrier, 0
	.set _ZN7rocprim17ROCPRIM_400000_NS6detail17trampoline_kernelINS0_14default_configENS1_25partition_config_selectorILNS1_17partition_subalgoE6EiNS0_10empty_typeEbEEZZNS1_14partition_implILS5_6ELb0ES3_mN6thrust23THRUST_200600_302600_NS6detail15normal_iteratorINSA_10device_ptrIiEEEEPS6_SG_NS0_5tupleIJSF_S6_EEENSH_IJSG_SG_EEES6_PlJNSB_9not_fun_tI7is_trueIiEEEEEE10hipError_tPvRmT3_T4_T5_T6_T7_T9_mT8_P12ihipStream_tbDpT10_ENKUlT_T0_E_clISt17integral_constantIbLb0EES18_EEDaS13_S14_EUlS13_E_NS1_11comp_targetILNS1_3genE8ELNS1_11target_archE1030ELNS1_3gpuE2ELNS1_3repE0EEENS1_30default_config_static_selectorELNS0_4arch9wavefront6targetE0EEEvT1_.private_seg_size, 0
	.set _ZN7rocprim17ROCPRIM_400000_NS6detail17trampoline_kernelINS0_14default_configENS1_25partition_config_selectorILNS1_17partition_subalgoE6EiNS0_10empty_typeEbEEZZNS1_14partition_implILS5_6ELb0ES3_mN6thrust23THRUST_200600_302600_NS6detail15normal_iteratorINSA_10device_ptrIiEEEEPS6_SG_NS0_5tupleIJSF_S6_EEENSH_IJSG_SG_EEES6_PlJNSB_9not_fun_tI7is_trueIiEEEEEE10hipError_tPvRmT3_T4_T5_T6_T7_T9_mT8_P12ihipStream_tbDpT10_ENKUlT_T0_E_clISt17integral_constantIbLb0EES18_EEDaS13_S14_EUlS13_E_NS1_11comp_targetILNS1_3genE8ELNS1_11target_archE1030ELNS1_3gpuE2ELNS1_3repE0EEENS1_30default_config_static_selectorELNS0_4arch9wavefront6targetE0EEEvT1_.uses_vcc, 0
	.set _ZN7rocprim17ROCPRIM_400000_NS6detail17trampoline_kernelINS0_14default_configENS1_25partition_config_selectorILNS1_17partition_subalgoE6EiNS0_10empty_typeEbEEZZNS1_14partition_implILS5_6ELb0ES3_mN6thrust23THRUST_200600_302600_NS6detail15normal_iteratorINSA_10device_ptrIiEEEEPS6_SG_NS0_5tupleIJSF_S6_EEENSH_IJSG_SG_EEES6_PlJNSB_9not_fun_tI7is_trueIiEEEEEE10hipError_tPvRmT3_T4_T5_T6_T7_T9_mT8_P12ihipStream_tbDpT10_ENKUlT_T0_E_clISt17integral_constantIbLb0EES18_EEDaS13_S14_EUlS13_E_NS1_11comp_targetILNS1_3genE8ELNS1_11target_archE1030ELNS1_3gpuE2ELNS1_3repE0EEENS1_30default_config_static_selectorELNS0_4arch9wavefront6targetE0EEEvT1_.uses_flat_scratch, 0
	.set _ZN7rocprim17ROCPRIM_400000_NS6detail17trampoline_kernelINS0_14default_configENS1_25partition_config_selectorILNS1_17partition_subalgoE6EiNS0_10empty_typeEbEEZZNS1_14partition_implILS5_6ELb0ES3_mN6thrust23THRUST_200600_302600_NS6detail15normal_iteratorINSA_10device_ptrIiEEEEPS6_SG_NS0_5tupleIJSF_S6_EEENSH_IJSG_SG_EEES6_PlJNSB_9not_fun_tI7is_trueIiEEEEEE10hipError_tPvRmT3_T4_T5_T6_T7_T9_mT8_P12ihipStream_tbDpT10_ENKUlT_T0_E_clISt17integral_constantIbLb0EES18_EEDaS13_S14_EUlS13_E_NS1_11comp_targetILNS1_3genE8ELNS1_11target_archE1030ELNS1_3gpuE2ELNS1_3repE0EEENS1_30default_config_static_selectorELNS0_4arch9wavefront6targetE0EEEvT1_.has_dyn_sized_stack, 0
	.set _ZN7rocprim17ROCPRIM_400000_NS6detail17trampoline_kernelINS0_14default_configENS1_25partition_config_selectorILNS1_17partition_subalgoE6EiNS0_10empty_typeEbEEZZNS1_14partition_implILS5_6ELb0ES3_mN6thrust23THRUST_200600_302600_NS6detail15normal_iteratorINSA_10device_ptrIiEEEEPS6_SG_NS0_5tupleIJSF_S6_EEENSH_IJSG_SG_EEES6_PlJNSB_9not_fun_tI7is_trueIiEEEEEE10hipError_tPvRmT3_T4_T5_T6_T7_T9_mT8_P12ihipStream_tbDpT10_ENKUlT_T0_E_clISt17integral_constantIbLb0EES18_EEDaS13_S14_EUlS13_E_NS1_11comp_targetILNS1_3genE8ELNS1_11target_archE1030ELNS1_3gpuE2ELNS1_3repE0EEENS1_30default_config_static_selectorELNS0_4arch9wavefront6targetE0EEEvT1_.has_recursion, 0
	.set _ZN7rocprim17ROCPRIM_400000_NS6detail17trampoline_kernelINS0_14default_configENS1_25partition_config_selectorILNS1_17partition_subalgoE6EiNS0_10empty_typeEbEEZZNS1_14partition_implILS5_6ELb0ES3_mN6thrust23THRUST_200600_302600_NS6detail15normal_iteratorINSA_10device_ptrIiEEEEPS6_SG_NS0_5tupleIJSF_S6_EEENSH_IJSG_SG_EEES6_PlJNSB_9not_fun_tI7is_trueIiEEEEEE10hipError_tPvRmT3_T4_T5_T6_T7_T9_mT8_P12ihipStream_tbDpT10_ENKUlT_T0_E_clISt17integral_constantIbLb0EES18_EEDaS13_S14_EUlS13_E_NS1_11comp_targetILNS1_3genE8ELNS1_11target_archE1030ELNS1_3gpuE2ELNS1_3repE0EEENS1_30default_config_static_selectorELNS0_4arch9wavefront6targetE0EEEvT1_.has_indirect_call, 0
	.section	.AMDGPU.csdata,"",@progbits
; Kernel info:
; codeLenInByte = 0
; TotalNumSgprs: 0
; NumVgprs: 0
; ScratchSize: 0
; MemoryBound: 0
; FloatMode: 240
; IeeeMode: 1
; LDSByteSize: 0 bytes/workgroup (compile time only)
; SGPRBlocks: 0
; VGPRBlocks: 0
; NumSGPRsForWavesPerEU: 1
; NumVGPRsForWavesPerEU: 1
; Occupancy: 16
; WaveLimiterHint : 0
; COMPUTE_PGM_RSRC2:SCRATCH_EN: 0
; COMPUTE_PGM_RSRC2:USER_SGPR: 2
; COMPUTE_PGM_RSRC2:TRAP_HANDLER: 0
; COMPUTE_PGM_RSRC2:TGID_X_EN: 1
; COMPUTE_PGM_RSRC2:TGID_Y_EN: 0
; COMPUTE_PGM_RSRC2:TGID_Z_EN: 0
; COMPUTE_PGM_RSRC2:TIDIG_COMP_CNT: 0
	.section	.text._ZN7rocprim17ROCPRIM_400000_NS6detail17trampoline_kernelINS0_14default_configENS1_25partition_config_selectorILNS1_17partition_subalgoE6EiNS0_10empty_typeEbEEZZNS1_14partition_implILS5_6ELb0ES3_mN6thrust23THRUST_200600_302600_NS6detail15normal_iteratorINSA_10device_ptrIiEEEEPS6_SG_NS0_5tupleIJSF_S6_EEENSH_IJSG_SG_EEES6_PlJNSB_9not_fun_tI7is_trueIiEEEEEE10hipError_tPvRmT3_T4_T5_T6_T7_T9_mT8_P12ihipStream_tbDpT10_ENKUlT_T0_E_clISt17integral_constantIbLb1EES18_EEDaS13_S14_EUlS13_E_NS1_11comp_targetILNS1_3genE0ELNS1_11target_archE4294967295ELNS1_3gpuE0ELNS1_3repE0EEENS1_30default_config_static_selectorELNS0_4arch9wavefront6targetE0EEEvT1_,"axG",@progbits,_ZN7rocprim17ROCPRIM_400000_NS6detail17trampoline_kernelINS0_14default_configENS1_25partition_config_selectorILNS1_17partition_subalgoE6EiNS0_10empty_typeEbEEZZNS1_14partition_implILS5_6ELb0ES3_mN6thrust23THRUST_200600_302600_NS6detail15normal_iteratorINSA_10device_ptrIiEEEEPS6_SG_NS0_5tupleIJSF_S6_EEENSH_IJSG_SG_EEES6_PlJNSB_9not_fun_tI7is_trueIiEEEEEE10hipError_tPvRmT3_T4_T5_T6_T7_T9_mT8_P12ihipStream_tbDpT10_ENKUlT_T0_E_clISt17integral_constantIbLb1EES18_EEDaS13_S14_EUlS13_E_NS1_11comp_targetILNS1_3genE0ELNS1_11target_archE4294967295ELNS1_3gpuE0ELNS1_3repE0EEENS1_30default_config_static_selectorELNS0_4arch9wavefront6targetE0EEEvT1_,comdat
	.protected	_ZN7rocprim17ROCPRIM_400000_NS6detail17trampoline_kernelINS0_14default_configENS1_25partition_config_selectorILNS1_17partition_subalgoE6EiNS0_10empty_typeEbEEZZNS1_14partition_implILS5_6ELb0ES3_mN6thrust23THRUST_200600_302600_NS6detail15normal_iteratorINSA_10device_ptrIiEEEEPS6_SG_NS0_5tupleIJSF_S6_EEENSH_IJSG_SG_EEES6_PlJNSB_9not_fun_tI7is_trueIiEEEEEE10hipError_tPvRmT3_T4_T5_T6_T7_T9_mT8_P12ihipStream_tbDpT10_ENKUlT_T0_E_clISt17integral_constantIbLb1EES18_EEDaS13_S14_EUlS13_E_NS1_11comp_targetILNS1_3genE0ELNS1_11target_archE4294967295ELNS1_3gpuE0ELNS1_3repE0EEENS1_30default_config_static_selectorELNS0_4arch9wavefront6targetE0EEEvT1_ ; -- Begin function _ZN7rocprim17ROCPRIM_400000_NS6detail17trampoline_kernelINS0_14default_configENS1_25partition_config_selectorILNS1_17partition_subalgoE6EiNS0_10empty_typeEbEEZZNS1_14partition_implILS5_6ELb0ES3_mN6thrust23THRUST_200600_302600_NS6detail15normal_iteratorINSA_10device_ptrIiEEEEPS6_SG_NS0_5tupleIJSF_S6_EEENSH_IJSG_SG_EEES6_PlJNSB_9not_fun_tI7is_trueIiEEEEEE10hipError_tPvRmT3_T4_T5_T6_T7_T9_mT8_P12ihipStream_tbDpT10_ENKUlT_T0_E_clISt17integral_constantIbLb1EES18_EEDaS13_S14_EUlS13_E_NS1_11comp_targetILNS1_3genE0ELNS1_11target_archE4294967295ELNS1_3gpuE0ELNS1_3repE0EEENS1_30default_config_static_selectorELNS0_4arch9wavefront6targetE0EEEvT1_
	.globl	_ZN7rocprim17ROCPRIM_400000_NS6detail17trampoline_kernelINS0_14default_configENS1_25partition_config_selectorILNS1_17partition_subalgoE6EiNS0_10empty_typeEbEEZZNS1_14partition_implILS5_6ELb0ES3_mN6thrust23THRUST_200600_302600_NS6detail15normal_iteratorINSA_10device_ptrIiEEEEPS6_SG_NS0_5tupleIJSF_S6_EEENSH_IJSG_SG_EEES6_PlJNSB_9not_fun_tI7is_trueIiEEEEEE10hipError_tPvRmT3_T4_T5_T6_T7_T9_mT8_P12ihipStream_tbDpT10_ENKUlT_T0_E_clISt17integral_constantIbLb1EES18_EEDaS13_S14_EUlS13_E_NS1_11comp_targetILNS1_3genE0ELNS1_11target_archE4294967295ELNS1_3gpuE0ELNS1_3repE0EEENS1_30default_config_static_selectorELNS0_4arch9wavefront6targetE0EEEvT1_
	.p2align	8
	.type	_ZN7rocprim17ROCPRIM_400000_NS6detail17trampoline_kernelINS0_14default_configENS1_25partition_config_selectorILNS1_17partition_subalgoE6EiNS0_10empty_typeEbEEZZNS1_14partition_implILS5_6ELb0ES3_mN6thrust23THRUST_200600_302600_NS6detail15normal_iteratorINSA_10device_ptrIiEEEEPS6_SG_NS0_5tupleIJSF_S6_EEENSH_IJSG_SG_EEES6_PlJNSB_9not_fun_tI7is_trueIiEEEEEE10hipError_tPvRmT3_T4_T5_T6_T7_T9_mT8_P12ihipStream_tbDpT10_ENKUlT_T0_E_clISt17integral_constantIbLb1EES18_EEDaS13_S14_EUlS13_E_NS1_11comp_targetILNS1_3genE0ELNS1_11target_archE4294967295ELNS1_3gpuE0ELNS1_3repE0EEENS1_30default_config_static_selectorELNS0_4arch9wavefront6targetE0EEEvT1_,@function
_ZN7rocprim17ROCPRIM_400000_NS6detail17trampoline_kernelINS0_14default_configENS1_25partition_config_selectorILNS1_17partition_subalgoE6EiNS0_10empty_typeEbEEZZNS1_14partition_implILS5_6ELb0ES3_mN6thrust23THRUST_200600_302600_NS6detail15normal_iteratorINSA_10device_ptrIiEEEEPS6_SG_NS0_5tupleIJSF_S6_EEENSH_IJSG_SG_EEES6_PlJNSB_9not_fun_tI7is_trueIiEEEEEE10hipError_tPvRmT3_T4_T5_T6_T7_T9_mT8_P12ihipStream_tbDpT10_ENKUlT_T0_E_clISt17integral_constantIbLb1EES18_EEDaS13_S14_EUlS13_E_NS1_11comp_targetILNS1_3genE0ELNS1_11target_archE4294967295ELNS1_3gpuE0ELNS1_3repE0EEENS1_30default_config_static_selectorELNS0_4arch9wavefront6targetE0EEEvT1_: ; @_ZN7rocprim17ROCPRIM_400000_NS6detail17trampoline_kernelINS0_14default_configENS1_25partition_config_selectorILNS1_17partition_subalgoE6EiNS0_10empty_typeEbEEZZNS1_14partition_implILS5_6ELb0ES3_mN6thrust23THRUST_200600_302600_NS6detail15normal_iteratorINSA_10device_ptrIiEEEEPS6_SG_NS0_5tupleIJSF_S6_EEENSH_IJSG_SG_EEES6_PlJNSB_9not_fun_tI7is_trueIiEEEEEE10hipError_tPvRmT3_T4_T5_T6_T7_T9_mT8_P12ihipStream_tbDpT10_ENKUlT_T0_E_clISt17integral_constantIbLb1EES18_EEDaS13_S14_EUlS13_E_NS1_11comp_targetILNS1_3genE0ELNS1_11target_archE4294967295ELNS1_3gpuE0ELNS1_3repE0EEENS1_30default_config_static_selectorELNS0_4arch9wavefront6targetE0EEEvT1_
; %bb.0:
	.section	.rodata,"a",@progbits
	.p2align	6, 0x0
	.amdhsa_kernel _ZN7rocprim17ROCPRIM_400000_NS6detail17trampoline_kernelINS0_14default_configENS1_25partition_config_selectorILNS1_17partition_subalgoE6EiNS0_10empty_typeEbEEZZNS1_14partition_implILS5_6ELb0ES3_mN6thrust23THRUST_200600_302600_NS6detail15normal_iteratorINSA_10device_ptrIiEEEEPS6_SG_NS0_5tupleIJSF_S6_EEENSH_IJSG_SG_EEES6_PlJNSB_9not_fun_tI7is_trueIiEEEEEE10hipError_tPvRmT3_T4_T5_T6_T7_T9_mT8_P12ihipStream_tbDpT10_ENKUlT_T0_E_clISt17integral_constantIbLb1EES18_EEDaS13_S14_EUlS13_E_NS1_11comp_targetILNS1_3genE0ELNS1_11target_archE4294967295ELNS1_3gpuE0ELNS1_3repE0EEENS1_30default_config_static_selectorELNS0_4arch9wavefront6targetE0EEEvT1_
		.amdhsa_group_segment_fixed_size 0
		.amdhsa_private_segment_fixed_size 0
		.amdhsa_kernarg_size 128
		.amdhsa_user_sgpr_count 2
		.amdhsa_user_sgpr_dispatch_ptr 0
		.amdhsa_user_sgpr_queue_ptr 0
		.amdhsa_user_sgpr_kernarg_segment_ptr 1
		.amdhsa_user_sgpr_dispatch_id 0
		.amdhsa_user_sgpr_private_segment_size 0
		.amdhsa_wavefront_size32 1
		.amdhsa_uses_dynamic_stack 0
		.amdhsa_enable_private_segment 0
		.amdhsa_system_sgpr_workgroup_id_x 1
		.amdhsa_system_sgpr_workgroup_id_y 0
		.amdhsa_system_sgpr_workgroup_id_z 0
		.amdhsa_system_sgpr_workgroup_info 0
		.amdhsa_system_vgpr_workitem_id 0
		.amdhsa_next_free_vgpr 1
		.amdhsa_next_free_sgpr 1
		.amdhsa_reserve_vcc 0
		.amdhsa_float_round_mode_32 0
		.amdhsa_float_round_mode_16_64 0
		.amdhsa_float_denorm_mode_32 3
		.amdhsa_float_denorm_mode_16_64 3
		.amdhsa_fp16_overflow 0
		.amdhsa_workgroup_processor_mode 1
		.amdhsa_memory_ordered 1
		.amdhsa_forward_progress 1
		.amdhsa_inst_pref_size 0
		.amdhsa_round_robin_scheduling 0
		.amdhsa_exception_fp_ieee_invalid_op 0
		.amdhsa_exception_fp_denorm_src 0
		.amdhsa_exception_fp_ieee_div_zero 0
		.amdhsa_exception_fp_ieee_overflow 0
		.amdhsa_exception_fp_ieee_underflow 0
		.amdhsa_exception_fp_ieee_inexact 0
		.amdhsa_exception_int_div_zero 0
	.end_amdhsa_kernel
	.section	.text._ZN7rocprim17ROCPRIM_400000_NS6detail17trampoline_kernelINS0_14default_configENS1_25partition_config_selectorILNS1_17partition_subalgoE6EiNS0_10empty_typeEbEEZZNS1_14partition_implILS5_6ELb0ES3_mN6thrust23THRUST_200600_302600_NS6detail15normal_iteratorINSA_10device_ptrIiEEEEPS6_SG_NS0_5tupleIJSF_S6_EEENSH_IJSG_SG_EEES6_PlJNSB_9not_fun_tI7is_trueIiEEEEEE10hipError_tPvRmT3_T4_T5_T6_T7_T9_mT8_P12ihipStream_tbDpT10_ENKUlT_T0_E_clISt17integral_constantIbLb1EES18_EEDaS13_S14_EUlS13_E_NS1_11comp_targetILNS1_3genE0ELNS1_11target_archE4294967295ELNS1_3gpuE0ELNS1_3repE0EEENS1_30default_config_static_selectorELNS0_4arch9wavefront6targetE0EEEvT1_,"axG",@progbits,_ZN7rocprim17ROCPRIM_400000_NS6detail17trampoline_kernelINS0_14default_configENS1_25partition_config_selectorILNS1_17partition_subalgoE6EiNS0_10empty_typeEbEEZZNS1_14partition_implILS5_6ELb0ES3_mN6thrust23THRUST_200600_302600_NS6detail15normal_iteratorINSA_10device_ptrIiEEEEPS6_SG_NS0_5tupleIJSF_S6_EEENSH_IJSG_SG_EEES6_PlJNSB_9not_fun_tI7is_trueIiEEEEEE10hipError_tPvRmT3_T4_T5_T6_T7_T9_mT8_P12ihipStream_tbDpT10_ENKUlT_T0_E_clISt17integral_constantIbLb1EES18_EEDaS13_S14_EUlS13_E_NS1_11comp_targetILNS1_3genE0ELNS1_11target_archE4294967295ELNS1_3gpuE0ELNS1_3repE0EEENS1_30default_config_static_selectorELNS0_4arch9wavefront6targetE0EEEvT1_,comdat
.Lfunc_end1245:
	.size	_ZN7rocprim17ROCPRIM_400000_NS6detail17trampoline_kernelINS0_14default_configENS1_25partition_config_selectorILNS1_17partition_subalgoE6EiNS0_10empty_typeEbEEZZNS1_14partition_implILS5_6ELb0ES3_mN6thrust23THRUST_200600_302600_NS6detail15normal_iteratorINSA_10device_ptrIiEEEEPS6_SG_NS0_5tupleIJSF_S6_EEENSH_IJSG_SG_EEES6_PlJNSB_9not_fun_tI7is_trueIiEEEEEE10hipError_tPvRmT3_T4_T5_T6_T7_T9_mT8_P12ihipStream_tbDpT10_ENKUlT_T0_E_clISt17integral_constantIbLb1EES18_EEDaS13_S14_EUlS13_E_NS1_11comp_targetILNS1_3genE0ELNS1_11target_archE4294967295ELNS1_3gpuE0ELNS1_3repE0EEENS1_30default_config_static_selectorELNS0_4arch9wavefront6targetE0EEEvT1_, .Lfunc_end1245-_ZN7rocprim17ROCPRIM_400000_NS6detail17trampoline_kernelINS0_14default_configENS1_25partition_config_selectorILNS1_17partition_subalgoE6EiNS0_10empty_typeEbEEZZNS1_14partition_implILS5_6ELb0ES3_mN6thrust23THRUST_200600_302600_NS6detail15normal_iteratorINSA_10device_ptrIiEEEEPS6_SG_NS0_5tupleIJSF_S6_EEENSH_IJSG_SG_EEES6_PlJNSB_9not_fun_tI7is_trueIiEEEEEE10hipError_tPvRmT3_T4_T5_T6_T7_T9_mT8_P12ihipStream_tbDpT10_ENKUlT_T0_E_clISt17integral_constantIbLb1EES18_EEDaS13_S14_EUlS13_E_NS1_11comp_targetILNS1_3genE0ELNS1_11target_archE4294967295ELNS1_3gpuE0ELNS1_3repE0EEENS1_30default_config_static_selectorELNS0_4arch9wavefront6targetE0EEEvT1_
                                        ; -- End function
	.set _ZN7rocprim17ROCPRIM_400000_NS6detail17trampoline_kernelINS0_14default_configENS1_25partition_config_selectorILNS1_17partition_subalgoE6EiNS0_10empty_typeEbEEZZNS1_14partition_implILS5_6ELb0ES3_mN6thrust23THRUST_200600_302600_NS6detail15normal_iteratorINSA_10device_ptrIiEEEEPS6_SG_NS0_5tupleIJSF_S6_EEENSH_IJSG_SG_EEES6_PlJNSB_9not_fun_tI7is_trueIiEEEEEE10hipError_tPvRmT3_T4_T5_T6_T7_T9_mT8_P12ihipStream_tbDpT10_ENKUlT_T0_E_clISt17integral_constantIbLb1EES18_EEDaS13_S14_EUlS13_E_NS1_11comp_targetILNS1_3genE0ELNS1_11target_archE4294967295ELNS1_3gpuE0ELNS1_3repE0EEENS1_30default_config_static_selectorELNS0_4arch9wavefront6targetE0EEEvT1_.num_vgpr, 0
	.set _ZN7rocprim17ROCPRIM_400000_NS6detail17trampoline_kernelINS0_14default_configENS1_25partition_config_selectorILNS1_17partition_subalgoE6EiNS0_10empty_typeEbEEZZNS1_14partition_implILS5_6ELb0ES3_mN6thrust23THRUST_200600_302600_NS6detail15normal_iteratorINSA_10device_ptrIiEEEEPS6_SG_NS0_5tupleIJSF_S6_EEENSH_IJSG_SG_EEES6_PlJNSB_9not_fun_tI7is_trueIiEEEEEE10hipError_tPvRmT3_T4_T5_T6_T7_T9_mT8_P12ihipStream_tbDpT10_ENKUlT_T0_E_clISt17integral_constantIbLb1EES18_EEDaS13_S14_EUlS13_E_NS1_11comp_targetILNS1_3genE0ELNS1_11target_archE4294967295ELNS1_3gpuE0ELNS1_3repE0EEENS1_30default_config_static_selectorELNS0_4arch9wavefront6targetE0EEEvT1_.num_agpr, 0
	.set _ZN7rocprim17ROCPRIM_400000_NS6detail17trampoline_kernelINS0_14default_configENS1_25partition_config_selectorILNS1_17partition_subalgoE6EiNS0_10empty_typeEbEEZZNS1_14partition_implILS5_6ELb0ES3_mN6thrust23THRUST_200600_302600_NS6detail15normal_iteratorINSA_10device_ptrIiEEEEPS6_SG_NS0_5tupleIJSF_S6_EEENSH_IJSG_SG_EEES6_PlJNSB_9not_fun_tI7is_trueIiEEEEEE10hipError_tPvRmT3_T4_T5_T6_T7_T9_mT8_P12ihipStream_tbDpT10_ENKUlT_T0_E_clISt17integral_constantIbLb1EES18_EEDaS13_S14_EUlS13_E_NS1_11comp_targetILNS1_3genE0ELNS1_11target_archE4294967295ELNS1_3gpuE0ELNS1_3repE0EEENS1_30default_config_static_selectorELNS0_4arch9wavefront6targetE0EEEvT1_.numbered_sgpr, 0
	.set _ZN7rocprim17ROCPRIM_400000_NS6detail17trampoline_kernelINS0_14default_configENS1_25partition_config_selectorILNS1_17partition_subalgoE6EiNS0_10empty_typeEbEEZZNS1_14partition_implILS5_6ELb0ES3_mN6thrust23THRUST_200600_302600_NS6detail15normal_iteratorINSA_10device_ptrIiEEEEPS6_SG_NS0_5tupleIJSF_S6_EEENSH_IJSG_SG_EEES6_PlJNSB_9not_fun_tI7is_trueIiEEEEEE10hipError_tPvRmT3_T4_T5_T6_T7_T9_mT8_P12ihipStream_tbDpT10_ENKUlT_T0_E_clISt17integral_constantIbLb1EES18_EEDaS13_S14_EUlS13_E_NS1_11comp_targetILNS1_3genE0ELNS1_11target_archE4294967295ELNS1_3gpuE0ELNS1_3repE0EEENS1_30default_config_static_selectorELNS0_4arch9wavefront6targetE0EEEvT1_.num_named_barrier, 0
	.set _ZN7rocprim17ROCPRIM_400000_NS6detail17trampoline_kernelINS0_14default_configENS1_25partition_config_selectorILNS1_17partition_subalgoE6EiNS0_10empty_typeEbEEZZNS1_14partition_implILS5_6ELb0ES3_mN6thrust23THRUST_200600_302600_NS6detail15normal_iteratorINSA_10device_ptrIiEEEEPS6_SG_NS0_5tupleIJSF_S6_EEENSH_IJSG_SG_EEES6_PlJNSB_9not_fun_tI7is_trueIiEEEEEE10hipError_tPvRmT3_T4_T5_T6_T7_T9_mT8_P12ihipStream_tbDpT10_ENKUlT_T0_E_clISt17integral_constantIbLb1EES18_EEDaS13_S14_EUlS13_E_NS1_11comp_targetILNS1_3genE0ELNS1_11target_archE4294967295ELNS1_3gpuE0ELNS1_3repE0EEENS1_30default_config_static_selectorELNS0_4arch9wavefront6targetE0EEEvT1_.private_seg_size, 0
	.set _ZN7rocprim17ROCPRIM_400000_NS6detail17trampoline_kernelINS0_14default_configENS1_25partition_config_selectorILNS1_17partition_subalgoE6EiNS0_10empty_typeEbEEZZNS1_14partition_implILS5_6ELb0ES3_mN6thrust23THRUST_200600_302600_NS6detail15normal_iteratorINSA_10device_ptrIiEEEEPS6_SG_NS0_5tupleIJSF_S6_EEENSH_IJSG_SG_EEES6_PlJNSB_9not_fun_tI7is_trueIiEEEEEE10hipError_tPvRmT3_T4_T5_T6_T7_T9_mT8_P12ihipStream_tbDpT10_ENKUlT_T0_E_clISt17integral_constantIbLb1EES18_EEDaS13_S14_EUlS13_E_NS1_11comp_targetILNS1_3genE0ELNS1_11target_archE4294967295ELNS1_3gpuE0ELNS1_3repE0EEENS1_30default_config_static_selectorELNS0_4arch9wavefront6targetE0EEEvT1_.uses_vcc, 0
	.set _ZN7rocprim17ROCPRIM_400000_NS6detail17trampoline_kernelINS0_14default_configENS1_25partition_config_selectorILNS1_17partition_subalgoE6EiNS0_10empty_typeEbEEZZNS1_14partition_implILS5_6ELb0ES3_mN6thrust23THRUST_200600_302600_NS6detail15normal_iteratorINSA_10device_ptrIiEEEEPS6_SG_NS0_5tupleIJSF_S6_EEENSH_IJSG_SG_EEES6_PlJNSB_9not_fun_tI7is_trueIiEEEEEE10hipError_tPvRmT3_T4_T5_T6_T7_T9_mT8_P12ihipStream_tbDpT10_ENKUlT_T0_E_clISt17integral_constantIbLb1EES18_EEDaS13_S14_EUlS13_E_NS1_11comp_targetILNS1_3genE0ELNS1_11target_archE4294967295ELNS1_3gpuE0ELNS1_3repE0EEENS1_30default_config_static_selectorELNS0_4arch9wavefront6targetE0EEEvT1_.uses_flat_scratch, 0
	.set _ZN7rocprim17ROCPRIM_400000_NS6detail17trampoline_kernelINS0_14default_configENS1_25partition_config_selectorILNS1_17partition_subalgoE6EiNS0_10empty_typeEbEEZZNS1_14partition_implILS5_6ELb0ES3_mN6thrust23THRUST_200600_302600_NS6detail15normal_iteratorINSA_10device_ptrIiEEEEPS6_SG_NS0_5tupleIJSF_S6_EEENSH_IJSG_SG_EEES6_PlJNSB_9not_fun_tI7is_trueIiEEEEEE10hipError_tPvRmT3_T4_T5_T6_T7_T9_mT8_P12ihipStream_tbDpT10_ENKUlT_T0_E_clISt17integral_constantIbLb1EES18_EEDaS13_S14_EUlS13_E_NS1_11comp_targetILNS1_3genE0ELNS1_11target_archE4294967295ELNS1_3gpuE0ELNS1_3repE0EEENS1_30default_config_static_selectorELNS0_4arch9wavefront6targetE0EEEvT1_.has_dyn_sized_stack, 0
	.set _ZN7rocprim17ROCPRIM_400000_NS6detail17trampoline_kernelINS0_14default_configENS1_25partition_config_selectorILNS1_17partition_subalgoE6EiNS0_10empty_typeEbEEZZNS1_14partition_implILS5_6ELb0ES3_mN6thrust23THRUST_200600_302600_NS6detail15normal_iteratorINSA_10device_ptrIiEEEEPS6_SG_NS0_5tupleIJSF_S6_EEENSH_IJSG_SG_EEES6_PlJNSB_9not_fun_tI7is_trueIiEEEEEE10hipError_tPvRmT3_T4_T5_T6_T7_T9_mT8_P12ihipStream_tbDpT10_ENKUlT_T0_E_clISt17integral_constantIbLb1EES18_EEDaS13_S14_EUlS13_E_NS1_11comp_targetILNS1_3genE0ELNS1_11target_archE4294967295ELNS1_3gpuE0ELNS1_3repE0EEENS1_30default_config_static_selectorELNS0_4arch9wavefront6targetE0EEEvT1_.has_recursion, 0
	.set _ZN7rocprim17ROCPRIM_400000_NS6detail17trampoline_kernelINS0_14default_configENS1_25partition_config_selectorILNS1_17partition_subalgoE6EiNS0_10empty_typeEbEEZZNS1_14partition_implILS5_6ELb0ES3_mN6thrust23THRUST_200600_302600_NS6detail15normal_iteratorINSA_10device_ptrIiEEEEPS6_SG_NS0_5tupleIJSF_S6_EEENSH_IJSG_SG_EEES6_PlJNSB_9not_fun_tI7is_trueIiEEEEEE10hipError_tPvRmT3_T4_T5_T6_T7_T9_mT8_P12ihipStream_tbDpT10_ENKUlT_T0_E_clISt17integral_constantIbLb1EES18_EEDaS13_S14_EUlS13_E_NS1_11comp_targetILNS1_3genE0ELNS1_11target_archE4294967295ELNS1_3gpuE0ELNS1_3repE0EEENS1_30default_config_static_selectorELNS0_4arch9wavefront6targetE0EEEvT1_.has_indirect_call, 0
	.section	.AMDGPU.csdata,"",@progbits
; Kernel info:
; codeLenInByte = 0
; TotalNumSgprs: 0
; NumVgprs: 0
; ScratchSize: 0
; MemoryBound: 0
; FloatMode: 240
; IeeeMode: 1
; LDSByteSize: 0 bytes/workgroup (compile time only)
; SGPRBlocks: 0
; VGPRBlocks: 0
; NumSGPRsForWavesPerEU: 1
; NumVGPRsForWavesPerEU: 1
; Occupancy: 16
; WaveLimiterHint : 0
; COMPUTE_PGM_RSRC2:SCRATCH_EN: 0
; COMPUTE_PGM_RSRC2:USER_SGPR: 2
; COMPUTE_PGM_RSRC2:TRAP_HANDLER: 0
; COMPUTE_PGM_RSRC2:TGID_X_EN: 1
; COMPUTE_PGM_RSRC2:TGID_Y_EN: 0
; COMPUTE_PGM_RSRC2:TGID_Z_EN: 0
; COMPUTE_PGM_RSRC2:TIDIG_COMP_CNT: 0
	.section	.text._ZN7rocprim17ROCPRIM_400000_NS6detail17trampoline_kernelINS0_14default_configENS1_25partition_config_selectorILNS1_17partition_subalgoE6EiNS0_10empty_typeEbEEZZNS1_14partition_implILS5_6ELb0ES3_mN6thrust23THRUST_200600_302600_NS6detail15normal_iteratorINSA_10device_ptrIiEEEEPS6_SG_NS0_5tupleIJSF_S6_EEENSH_IJSG_SG_EEES6_PlJNSB_9not_fun_tI7is_trueIiEEEEEE10hipError_tPvRmT3_T4_T5_T6_T7_T9_mT8_P12ihipStream_tbDpT10_ENKUlT_T0_E_clISt17integral_constantIbLb1EES18_EEDaS13_S14_EUlS13_E_NS1_11comp_targetILNS1_3genE5ELNS1_11target_archE942ELNS1_3gpuE9ELNS1_3repE0EEENS1_30default_config_static_selectorELNS0_4arch9wavefront6targetE0EEEvT1_,"axG",@progbits,_ZN7rocprim17ROCPRIM_400000_NS6detail17trampoline_kernelINS0_14default_configENS1_25partition_config_selectorILNS1_17partition_subalgoE6EiNS0_10empty_typeEbEEZZNS1_14partition_implILS5_6ELb0ES3_mN6thrust23THRUST_200600_302600_NS6detail15normal_iteratorINSA_10device_ptrIiEEEEPS6_SG_NS0_5tupleIJSF_S6_EEENSH_IJSG_SG_EEES6_PlJNSB_9not_fun_tI7is_trueIiEEEEEE10hipError_tPvRmT3_T4_T5_T6_T7_T9_mT8_P12ihipStream_tbDpT10_ENKUlT_T0_E_clISt17integral_constantIbLb1EES18_EEDaS13_S14_EUlS13_E_NS1_11comp_targetILNS1_3genE5ELNS1_11target_archE942ELNS1_3gpuE9ELNS1_3repE0EEENS1_30default_config_static_selectorELNS0_4arch9wavefront6targetE0EEEvT1_,comdat
	.protected	_ZN7rocprim17ROCPRIM_400000_NS6detail17trampoline_kernelINS0_14default_configENS1_25partition_config_selectorILNS1_17partition_subalgoE6EiNS0_10empty_typeEbEEZZNS1_14partition_implILS5_6ELb0ES3_mN6thrust23THRUST_200600_302600_NS6detail15normal_iteratorINSA_10device_ptrIiEEEEPS6_SG_NS0_5tupleIJSF_S6_EEENSH_IJSG_SG_EEES6_PlJNSB_9not_fun_tI7is_trueIiEEEEEE10hipError_tPvRmT3_T4_T5_T6_T7_T9_mT8_P12ihipStream_tbDpT10_ENKUlT_T0_E_clISt17integral_constantIbLb1EES18_EEDaS13_S14_EUlS13_E_NS1_11comp_targetILNS1_3genE5ELNS1_11target_archE942ELNS1_3gpuE9ELNS1_3repE0EEENS1_30default_config_static_selectorELNS0_4arch9wavefront6targetE0EEEvT1_ ; -- Begin function _ZN7rocprim17ROCPRIM_400000_NS6detail17trampoline_kernelINS0_14default_configENS1_25partition_config_selectorILNS1_17partition_subalgoE6EiNS0_10empty_typeEbEEZZNS1_14partition_implILS5_6ELb0ES3_mN6thrust23THRUST_200600_302600_NS6detail15normal_iteratorINSA_10device_ptrIiEEEEPS6_SG_NS0_5tupleIJSF_S6_EEENSH_IJSG_SG_EEES6_PlJNSB_9not_fun_tI7is_trueIiEEEEEE10hipError_tPvRmT3_T4_T5_T6_T7_T9_mT8_P12ihipStream_tbDpT10_ENKUlT_T0_E_clISt17integral_constantIbLb1EES18_EEDaS13_S14_EUlS13_E_NS1_11comp_targetILNS1_3genE5ELNS1_11target_archE942ELNS1_3gpuE9ELNS1_3repE0EEENS1_30default_config_static_selectorELNS0_4arch9wavefront6targetE0EEEvT1_
	.globl	_ZN7rocprim17ROCPRIM_400000_NS6detail17trampoline_kernelINS0_14default_configENS1_25partition_config_selectorILNS1_17partition_subalgoE6EiNS0_10empty_typeEbEEZZNS1_14partition_implILS5_6ELb0ES3_mN6thrust23THRUST_200600_302600_NS6detail15normal_iteratorINSA_10device_ptrIiEEEEPS6_SG_NS0_5tupleIJSF_S6_EEENSH_IJSG_SG_EEES6_PlJNSB_9not_fun_tI7is_trueIiEEEEEE10hipError_tPvRmT3_T4_T5_T6_T7_T9_mT8_P12ihipStream_tbDpT10_ENKUlT_T0_E_clISt17integral_constantIbLb1EES18_EEDaS13_S14_EUlS13_E_NS1_11comp_targetILNS1_3genE5ELNS1_11target_archE942ELNS1_3gpuE9ELNS1_3repE0EEENS1_30default_config_static_selectorELNS0_4arch9wavefront6targetE0EEEvT1_
	.p2align	8
	.type	_ZN7rocprim17ROCPRIM_400000_NS6detail17trampoline_kernelINS0_14default_configENS1_25partition_config_selectorILNS1_17partition_subalgoE6EiNS0_10empty_typeEbEEZZNS1_14partition_implILS5_6ELb0ES3_mN6thrust23THRUST_200600_302600_NS6detail15normal_iteratorINSA_10device_ptrIiEEEEPS6_SG_NS0_5tupleIJSF_S6_EEENSH_IJSG_SG_EEES6_PlJNSB_9not_fun_tI7is_trueIiEEEEEE10hipError_tPvRmT3_T4_T5_T6_T7_T9_mT8_P12ihipStream_tbDpT10_ENKUlT_T0_E_clISt17integral_constantIbLb1EES18_EEDaS13_S14_EUlS13_E_NS1_11comp_targetILNS1_3genE5ELNS1_11target_archE942ELNS1_3gpuE9ELNS1_3repE0EEENS1_30default_config_static_selectorELNS0_4arch9wavefront6targetE0EEEvT1_,@function
_ZN7rocprim17ROCPRIM_400000_NS6detail17trampoline_kernelINS0_14default_configENS1_25partition_config_selectorILNS1_17partition_subalgoE6EiNS0_10empty_typeEbEEZZNS1_14partition_implILS5_6ELb0ES3_mN6thrust23THRUST_200600_302600_NS6detail15normal_iteratorINSA_10device_ptrIiEEEEPS6_SG_NS0_5tupleIJSF_S6_EEENSH_IJSG_SG_EEES6_PlJNSB_9not_fun_tI7is_trueIiEEEEEE10hipError_tPvRmT3_T4_T5_T6_T7_T9_mT8_P12ihipStream_tbDpT10_ENKUlT_T0_E_clISt17integral_constantIbLb1EES18_EEDaS13_S14_EUlS13_E_NS1_11comp_targetILNS1_3genE5ELNS1_11target_archE942ELNS1_3gpuE9ELNS1_3repE0EEENS1_30default_config_static_selectorELNS0_4arch9wavefront6targetE0EEEvT1_: ; @_ZN7rocprim17ROCPRIM_400000_NS6detail17trampoline_kernelINS0_14default_configENS1_25partition_config_selectorILNS1_17partition_subalgoE6EiNS0_10empty_typeEbEEZZNS1_14partition_implILS5_6ELb0ES3_mN6thrust23THRUST_200600_302600_NS6detail15normal_iteratorINSA_10device_ptrIiEEEEPS6_SG_NS0_5tupleIJSF_S6_EEENSH_IJSG_SG_EEES6_PlJNSB_9not_fun_tI7is_trueIiEEEEEE10hipError_tPvRmT3_T4_T5_T6_T7_T9_mT8_P12ihipStream_tbDpT10_ENKUlT_T0_E_clISt17integral_constantIbLb1EES18_EEDaS13_S14_EUlS13_E_NS1_11comp_targetILNS1_3genE5ELNS1_11target_archE942ELNS1_3gpuE9ELNS1_3repE0EEENS1_30default_config_static_selectorELNS0_4arch9wavefront6targetE0EEEvT1_
; %bb.0:
	.section	.rodata,"a",@progbits
	.p2align	6, 0x0
	.amdhsa_kernel _ZN7rocprim17ROCPRIM_400000_NS6detail17trampoline_kernelINS0_14default_configENS1_25partition_config_selectorILNS1_17partition_subalgoE6EiNS0_10empty_typeEbEEZZNS1_14partition_implILS5_6ELb0ES3_mN6thrust23THRUST_200600_302600_NS6detail15normal_iteratorINSA_10device_ptrIiEEEEPS6_SG_NS0_5tupleIJSF_S6_EEENSH_IJSG_SG_EEES6_PlJNSB_9not_fun_tI7is_trueIiEEEEEE10hipError_tPvRmT3_T4_T5_T6_T7_T9_mT8_P12ihipStream_tbDpT10_ENKUlT_T0_E_clISt17integral_constantIbLb1EES18_EEDaS13_S14_EUlS13_E_NS1_11comp_targetILNS1_3genE5ELNS1_11target_archE942ELNS1_3gpuE9ELNS1_3repE0EEENS1_30default_config_static_selectorELNS0_4arch9wavefront6targetE0EEEvT1_
		.amdhsa_group_segment_fixed_size 0
		.amdhsa_private_segment_fixed_size 0
		.amdhsa_kernarg_size 128
		.amdhsa_user_sgpr_count 2
		.amdhsa_user_sgpr_dispatch_ptr 0
		.amdhsa_user_sgpr_queue_ptr 0
		.amdhsa_user_sgpr_kernarg_segment_ptr 1
		.amdhsa_user_sgpr_dispatch_id 0
		.amdhsa_user_sgpr_private_segment_size 0
		.amdhsa_wavefront_size32 1
		.amdhsa_uses_dynamic_stack 0
		.amdhsa_enable_private_segment 0
		.amdhsa_system_sgpr_workgroup_id_x 1
		.amdhsa_system_sgpr_workgroup_id_y 0
		.amdhsa_system_sgpr_workgroup_id_z 0
		.amdhsa_system_sgpr_workgroup_info 0
		.amdhsa_system_vgpr_workitem_id 0
		.amdhsa_next_free_vgpr 1
		.amdhsa_next_free_sgpr 1
		.amdhsa_reserve_vcc 0
		.amdhsa_float_round_mode_32 0
		.amdhsa_float_round_mode_16_64 0
		.amdhsa_float_denorm_mode_32 3
		.amdhsa_float_denorm_mode_16_64 3
		.amdhsa_fp16_overflow 0
		.amdhsa_workgroup_processor_mode 1
		.amdhsa_memory_ordered 1
		.amdhsa_forward_progress 1
		.amdhsa_inst_pref_size 0
		.amdhsa_round_robin_scheduling 0
		.amdhsa_exception_fp_ieee_invalid_op 0
		.amdhsa_exception_fp_denorm_src 0
		.amdhsa_exception_fp_ieee_div_zero 0
		.amdhsa_exception_fp_ieee_overflow 0
		.amdhsa_exception_fp_ieee_underflow 0
		.amdhsa_exception_fp_ieee_inexact 0
		.amdhsa_exception_int_div_zero 0
	.end_amdhsa_kernel
	.section	.text._ZN7rocprim17ROCPRIM_400000_NS6detail17trampoline_kernelINS0_14default_configENS1_25partition_config_selectorILNS1_17partition_subalgoE6EiNS0_10empty_typeEbEEZZNS1_14partition_implILS5_6ELb0ES3_mN6thrust23THRUST_200600_302600_NS6detail15normal_iteratorINSA_10device_ptrIiEEEEPS6_SG_NS0_5tupleIJSF_S6_EEENSH_IJSG_SG_EEES6_PlJNSB_9not_fun_tI7is_trueIiEEEEEE10hipError_tPvRmT3_T4_T5_T6_T7_T9_mT8_P12ihipStream_tbDpT10_ENKUlT_T0_E_clISt17integral_constantIbLb1EES18_EEDaS13_S14_EUlS13_E_NS1_11comp_targetILNS1_3genE5ELNS1_11target_archE942ELNS1_3gpuE9ELNS1_3repE0EEENS1_30default_config_static_selectorELNS0_4arch9wavefront6targetE0EEEvT1_,"axG",@progbits,_ZN7rocprim17ROCPRIM_400000_NS6detail17trampoline_kernelINS0_14default_configENS1_25partition_config_selectorILNS1_17partition_subalgoE6EiNS0_10empty_typeEbEEZZNS1_14partition_implILS5_6ELb0ES3_mN6thrust23THRUST_200600_302600_NS6detail15normal_iteratorINSA_10device_ptrIiEEEEPS6_SG_NS0_5tupleIJSF_S6_EEENSH_IJSG_SG_EEES6_PlJNSB_9not_fun_tI7is_trueIiEEEEEE10hipError_tPvRmT3_T4_T5_T6_T7_T9_mT8_P12ihipStream_tbDpT10_ENKUlT_T0_E_clISt17integral_constantIbLb1EES18_EEDaS13_S14_EUlS13_E_NS1_11comp_targetILNS1_3genE5ELNS1_11target_archE942ELNS1_3gpuE9ELNS1_3repE0EEENS1_30default_config_static_selectorELNS0_4arch9wavefront6targetE0EEEvT1_,comdat
.Lfunc_end1246:
	.size	_ZN7rocprim17ROCPRIM_400000_NS6detail17trampoline_kernelINS0_14default_configENS1_25partition_config_selectorILNS1_17partition_subalgoE6EiNS0_10empty_typeEbEEZZNS1_14partition_implILS5_6ELb0ES3_mN6thrust23THRUST_200600_302600_NS6detail15normal_iteratorINSA_10device_ptrIiEEEEPS6_SG_NS0_5tupleIJSF_S6_EEENSH_IJSG_SG_EEES6_PlJNSB_9not_fun_tI7is_trueIiEEEEEE10hipError_tPvRmT3_T4_T5_T6_T7_T9_mT8_P12ihipStream_tbDpT10_ENKUlT_T0_E_clISt17integral_constantIbLb1EES18_EEDaS13_S14_EUlS13_E_NS1_11comp_targetILNS1_3genE5ELNS1_11target_archE942ELNS1_3gpuE9ELNS1_3repE0EEENS1_30default_config_static_selectorELNS0_4arch9wavefront6targetE0EEEvT1_, .Lfunc_end1246-_ZN7rocprim17ROCPRIM_400000_NS6detail17trampoline_kernelINS0_14default_configENS1_25partition_config_selectorILNS1_17partition_subalgoE6EiNS0_10empty_typeEbEEZZNS1_14partition_implILS5_6ELb0ES3_mN6thrust23THRUST_200600_302600_NS6detail15normal_iteratorINSA_10device_ptrIiEEEEPS6_SG_NS0_5tupleIJSF_S6_EEENSH_IJSG_SG_EEES6_PlJNSB_9not_fun_tI7is_trueIiEEEEEE10hipError_tPvRmT3_T4_T5_T6_T7_T9_mT8_P12ihipStream_tbDpT10_ENKUlT_T0_E_clISt17integral_constantIbLb1EES18_EEDaS13_S14_EUlS13_E_NS1_11comp_targetILNS1_3genE5ELNS1_11target_archE942ELNS1_3gpuE9ELNS1_3repE0EEENS1_30default_config_static_selectorELNS0_4arch9wavefront6targetE0EEEvT1_
                                        ; -- End function
	.set _ZN7rocprim17ROCPRIM_400000_NS6detail17trampoline_kernelINS0_14default_configENS1_25partition_config_selectorILNS1_17partition_subalgoE6EiNS0_10empty_typeEbEEZZNS1_14partition_implILS5_6ELb0ES3_mN6thrust23THRUST_200600_302600_NS6detail15normal_iteratorINSA_10device_ptrIiEEEEPS6_SG_NS0_5tupleIJSF_S6_EEENSH_IJSG_SG_EEES6_PlJNSB_9not_fun_tI7is_trueIiEEEEEE10hipError_tPvRmT3_T4_T5_T6_T7_T9_mT8_P12ihipStream_tbDpT10_ENKUlT_T0_E_clISt17integral_constantIbLb1EES18_EEDaS13_S14_EUlS13_E_NS1_11comp_targetILNS1_3genE5ELNS1_11target_archE942ELNS1_3gpuE9ELNS1_3repE0EEENS1_30default_config_static_selectorELNS0_4arch9wavefront6targetE0EEEvT1_.num_vgpr, 0
	.set _ZN7rocprim17ROCPRIM_400000_NS6detail17trampoline_kernelINS0_14default_configENS1_25partition_config_selectorILNS1_17partition_subalgoE6EiNS0_10empty_typeEbEEZZNS1_14partition_implILS5_6ELb0ES3_mN6thrust23THRUST_200600_302600_NS6detail15normal_iteratorINSA_10device_ptrIiEEEEPS6_SG_NS0_5tupleIJSF_S6_EEENSH_IJSG_SG_EEES6_PlJNSB_9not_fun_tI7is_trueIiEEEEEE10hipError_tPvRmT3_T4_T5_T6_T7_T9_mT8_P12ihipStream_tbDpT10_ENKUlT_T0_E_clISt17integral_constantIbLb1EES18_EEDaS13_S14_EUlS13_E_NS1_11comp_targetILNS1_3genE5ELNS1_11target_archE942ELNS1_3gpuE9ELNS1_3repE0EEENS1_30default_config_static_selectorELNS0_4arch9wavefront6targetE0EEEvT1_.num_agpr, 0
	.set _ZN7rocprim17ROCPRIM_400000_NS6detail17trampoline_kernelINS0_14default_configENS1_25partition_config_selectorILNS1_17partition_subalgoE6EiNS0_10empty_typeEbEEZZNS1_14partition_implILS5_6ELb0ES3_mN6thrust23THRUST_200600_302600_NS6detail15normal_iteratorINSA_10device_ptrIiEEEEPS6_SG_NS0_5tupleIJSF_S6_EEENSH_IJSG_SG_EEES6_PlJNSB_9not_fun_tI7is_trueIiEEEEEE10hipError_tPvRmT3_T4_T5_T6_T7_T9_mT8_P12ihipStream_tbDpT10_ENKUlT_T0_E_clISt17integral_constantIbLb1EES18_EEDaS13_S14_EUlS13_E_NS1_11comp_targetILNS1_3genE5ELNS1_11target_archE942ELNS1_3gpuE9ELNS1_3repE0EEENS1_30default_config_static_selectorELNS0_4arch9wavefront6targetE0EEEvT1_.numbered_sgpr, 0
	.set _ZN7rocprim17ROCPRIM_400000_NS6detail17trampoline_kernelINS0_14default_configENS1_25partition_config_selectorILNS1_17partition_subalgoE6EiNS0_10empty_typeEbEEZZNS1_14partition_implILS5_6ELb0ES3_mN6thrust23THRUST_200600_302600_NS6detail15normal_iteratorINSA_10device_ptrIiEEEEPS6_SG_NS0_5tupleIJSF_S6_EEENSH_IJSG_SG_EEES6_PlJNSB_9not_fun_tI7is_trueIiEEEEEE10hipError_tPvRmT3_T4_T5_T6_T7_T9_mT8_P12ihipStream_tbDpT10_ENKUlT_T0_E_clISt17integral_constantIbLb1EES18_EEDaS13_S14_EUlS13_E_NS1_11comp_targetILNS1_3genE5ELNS1_11target_archE942ELNS1_3gpuE9ELNS1_3repE0EEENS1_30default_config_static_selectorELNS0_4arch9wavefront6targetE0EEEvT1_.num_named_barrier, 0
	.set _ZN7rocprim17ROCPRIM_400000_NS6detail17trampoline_kernelINS0_14default_configENS1_25partition_config_selectorILNS1_17partition_subalgoE6EiNS0_10empty_typeEbEEZZNS1_14partition_implILS5_6ELb0ES3_mN6thrust23THRUST_200600_302600_NS6detail15normal_iteratorINSA_10device_ptrIiEEEEPS6_SG_NS0_5tupleIJSF_S6_EEENSH_IJSG_SG_EEES6_PlJNSB_9not_fun_tI7is_trueIiEEEEEE10hipError_tPvRmT3_T4_T5_T6_T7_T9_mT8_P12ihipStream_tbDpT10_ENKUlT_T0_E_clISt17integral_constantIbLb1EES18_EEDaS13_S14_EUlS13_E_NS1_11comp_targetILNS1_3genE5ELNS1_11target_archE942ELNS1_3gpuE9ELNS1_3repE0EEENS1_30default_config_static_selectorELNS0_4arch9wavefront6targetE0EEEvT1_.private_seg_size, 0
	.set _ZN7rocprim17ROCPRIM_400000_NS6detail17trampoline_kernelINS0_14default_configENS1_25partition_config_selectorILNS1_17partition_subalgoE6EiNS0_10empty_typeEbEEZZNS1_14partition_implILS5_6ELb0ES3_mN6thrust23THRUST_200600_302600_NS6detail15normal_iteratorINSA_10device_ptrIiEEEEPS6_SG_NS0_5tupleIJSF_S6_EEENSH_IJSG_SG_EEES6_PlJNSB_9not_fun_tI7is_trueIiEEEEEE10hipError_tPvRmT3_T4_T5_T6_T7_T9_mT8_P12ihipStream_tbDpT10_ENKUlT_T0_E_clISt17integral_constantIbLb1EES18_EEDaS13_S14_EUlS13_E_NS1_11comp_targetILNS1_3genE5ELNS1_11target_archE942ELNS1_3gpuE9ELNS1_3repE0EEENS1_30default_config_static_selectorELNS0_4arch9wavefront6targetE0EEEvT1_.uses_vcc, 0
	.set _ZN7rocprim17ROCPRIM_400000_NS6detail17trampoline_kernelINS0_14default_configENS1_25partition_config_selectorILNS1_17partition_subalgoE6EiNS0_10empty_typeEbEEZZNS1_14partition_implILS5_6ELb0ES3_mN6thrust23THRUST_200600_302600_NS6detail15normal_iteratorINSA_10device_ptrIiEEEEPS6_SG_NS0_5tupleIJSF_S6_EEENSH_IJSG_SG_EEES6_PlJNSB_9not_fun_tI7is_trueIiEEEEEE10hipError_tPvRmT3_T4_T5_T6_T7_T9_mT8_P12ihipStream_tbDpT10_ENKUlT_T0_E_clISt17integral_constantIbLb1EES18_EEDaS13_S14_EUlS13_E_NS1_11comp_targetILNS1_3genE5ELNS1_11target_archE942ELNS1_3gpuE9ELNS1_3repE0EEENS1_30default_config_static_selectorELNS0_4arch9wavefront6targetE0EEEvT1_.uses_flat_scratch, 0
	.set _ZN7rocprim17ROCPRIM_400000_NS6detail17trampoline_kernelINS0_14default_configENS1_25partition_config_selectorILNS1_17partition_subalgoE6EiNS0_10empty_typeEbEEZZNS1_14partition_implILS5_6ELb0ES3_mN6thrust23THRUST_200600_302600_NS6detail15normal_iteratorINSA_10device_ptrIiEEEEPS6_SG_NS0_5tupleIJSF_S6_EEENSH_IJSG_SG_EEES6_PlJNSB_9not_fun_tI7is_trueIiEEEEEE10hipError_tPvRmT3_T4_T5_T6_T7_T9_mT8_P12ihipStream_tbDpT10_ENKUlT_T0_E_clISt17integral_constantIbLb1EES18_EEDaS13_S14_EUlS13_E_NS1_11comp_targetILNS1_3genE5ELNS1_11target_archE942ELNS1_3gpuE9ELNS1_3repE0EEENS1_30default_config_static_selectorELNS0_4arch9wavefront6targetE0EEEvT1_.has_dyn_sized_stack, 0
	.set _ZN7rocprim17ROCPRIM_400000_NS6detail17trampoline_kernelINS0_14default_configENS1_25partition_config_selectorILNS1_17partition_subalgoE6EiNS0_10empty_typeEbEEZZNS1_14partition_implILS5_6ELb0ES3_mN6thrust23THRUST_200600_302600_NS6detail15normal_iteratorINSA_10device_ptrIiEEEEPS6_SG_NS0_5tupleIJSF_S6_EEENSH_IJSG_SG_EEES6_PlJNSB_9not_fun_tI7is_trueIiEEEEEE10hipError_tPvRmT3_T4_T5_T6_T7_T9_mT8_P12ihipStream_tbDpT10_ENKUlT_T0_E_clISt17integral_constantIbLb1EES18_EEDaS13_S14_EUlS13_E_NS1_11comp_targetILNS1_3genE5ELNS1_11target_archE942ELNS1_3gpuE9ELNS1_3repE0EEENS1_30default_config_static_selectorELNS0_4arch9wavefront6targetE0EEEvT1_.has_recursion, 0
	.set _ZN7rocprim17ROCPRIM_400000_NS6detail17trampoline_kernelINS0_14default_configENS1_25partition_config_selectorILNS1_17partition_subalgoE6EiNS0_10empty_typeEbEEZZNS1_14partition_implILS5_6ELb0ES3_mN6thrust23THRUST_200600_302600_NS6detail15normal_iteratorINSA_10device_ptrIiEEEEPS6_SG_NS0_5tupleIJSF_S6_EEENSH_IJSG_SG_EEES6_PlJNSB_9not_fun_tI7is_trueIiEEEEEE10hipError_tPvRmT3_T4_T5_T6_T7_T9_mT8_P12ihipStream_tbDpT10_ENKUlT_T0_E_clISt17integral_constantIbLb1EES18_EEDaS13_S14_EUlS13_E_NS1_11comp_targetILNS1_3genE5ELNS1_11target_archE942ELNS1_3gpuE9ELNS1_3repE0EEENS1_30default_config_static_selectorELNS0_4arch9wavefront6targetE0EEEvT1_.has_indirect_call, 0
	.section	.AMDGPU.csdata,"",@progbits
; Kernel info:
; codeLenInByte = 0
; TotalNumSgprs: 0
; NumVgprs: 0
; ScratchSize: 0
; MemoryBound: 0
; FloatMode: 240
; IeeeMode: 1
; LDSByteSize: 0 bytes/workgroup (compile time only)
; SGPRBlocks: 0
; VGPRBlocks: 0
; NumSGPRsForWavesPerEU: 1
; NumVGPRsForWavesPerEU: 1
; Occupancy: 16
; WaveLimiterHint : 0
; COMPUTE_PGM_RSRC2:SCRATCH_EN: 0
; COMPUTE_PGM_RSRC2:USER_SGPR: 2
; COMPUTE_PGM_RSRC2:TRAP_HANDLER: 0
; COMPUTE_PGM_RSRC2:TGID_X_EN: 1
; COMPUTE_PGM_RSRC2:TGID_Y_EN: 0
; COMPUTE_PGM_RSRC2:TGID_Z_EN: 0
; COMPUTE_PGM_RSRC2:TIDIG_COMP_CNT: 0
	.section	.text._ZN7rocprim17ROCPRIM_400000_NS6detail17trampoline_kernelINS0_14default_configENS1_25partition_config_selectorILNS1_17partition_subalgoE6EiNS0_10empty_typeEbEEZZNS1_14partition_implILS5_6ELb0ES3_mN6thrust23THRUST_200600_302600_NS6detail15normal_iteratorINSA_10device_ptrIiEEEEPS6_SG_NS0_5tupleIJSF_S6_EEENSH_IJSG_SG_EEES6_PlJNSB_9not_fun_tI7is_trueIiEEEEEE10hipError_tPvRmT3_T4_T5_T6_T7_T9_mT8_P12ihipStream_tbDpT10_ENKUlT_T0_E_clISt17integral_constantIbLb1EES18_EEDaS13_S14_EUlS13_E_NS1_11comp_targetILNS1_3genE4ELNS1_11target_archE910ELNS1_3gpuE8ELNS1_3repE0EEENS1_30default_config_static_selectorELNS0_4arch9wavefront6targetE0EEEvT1_,"axG",@progbits,_ZN7rocprim17ROCPRIM_400000_NS6detail17trampoline_kernelINS0_14default_configENS1_25partition_config_selectorILNS1_17partition_subalgoE6EiNS0_10empty_typeEbEEZZNS1_14partition_implILS5_6ELb0ES3_mN6thrust23THRUST_200600_302600_NS6detail15normal_iteratorINSA_10device_ptrIiEEEEPS6_SG_NS0_5tupleIJSF_S6_EEENSH_IJSG_SG_EEES6_PlJNSB_9not_fun_tI7is_trueIiEEEEEE10hipError_tPvRmT3_T4_T5_T6_T7_T9_mT8_P12ihipStream_tbDpT10_ENKUlT_T0_E_clISt17integral_constantIbLb1EES18_EEDaS13_S14_EUlS13_E_NS1_11comp_targetILNS1_3genE4ELNS1_11target_archE910ELNS1_3gpuE8ELNS1_3repE0EEENS1_30default_config_static_selectorELNS0_4arch9wavefront6targetE0EEEvT1_,comdat
	.protected	_ZN7rocprim17ROCPRIM_400000_NS6detail17trampoline_kernelINS0_14default_configENS1_25partition_config_selectorILNS1_17partition_subalgoE6EiNS0_10empty_typeEbEEZZNS1_14partition_implILS5_6ELb0ES3_mN6thrust23THRUST_200600_302600_NS6detail15normal_iteratorINSA_10device_ptrIiEEEEPS6_SG_NS0_5tupleIJSF_S6_EEENSH_IJSG_SG_EEES6_PlJNSB_9not_fun_tI7is_trueIiEEEEEE10hipError_tPvRmT3_T4_T5_T6_T7_T9_mT8_P12ihipStream_tbDpT10_ENKUlT_T0_E_clISt17integral_constantIbLb1EES18_EEDaS13_S14_EUlS13_E_NS1_11comp_targetILNS1_3genE4ELNS1_11target_archE910ELNS1_3gpuE8ELNS1_3repE0EEENS1_30default_config_static_selectorELNS0_4arch9wavefront6targetE0EEEvT1_ ; -- Begin function _ZN7rocprim17ROCPRIM_400000_NS6detail17trampoline_kernelINS0_14default_configENS1_25partition_config_selectorILNS1_17partition_subalgoE6EiNS0_10empty_typeEbEEZZNS1_14partition_implILS5_6ELb0ES3_mN6thrust23THRUST_200600_302600_NS6detail15normal_iteratorINSA_10device_ptrIiEEEEPS6_SG_NS0_5tupleIJSF_S6_EEENSH_IJSG_SG_EEES6_PlJNSB_9not_fun_tI7is_trueIiEEEEEE10hipError_tPvRmT3_T4_T5_T6_T7_T9_mT8_P12ihipStream_tbDpT10_ENKUlT_T0_E_clISt17integral_constantIbLb1EES18_EEDaS13_S14_EUlS13_E_NS1_11comp_targetILNS1_3genE4ELNS1_11target_archE910ELNS1_3gpuE8ELNS1_3repE0EEENS1_30default_config_static_selectorELNS0_4arch9wavefront6targetE0EEEvT1_
	.globl	_ZN7rocprim17ROCPRIM_400000_NS6detail17trampoline_kernelINS0_14default_configENS1_25partition_config_selectorILNS1_17partition_subalgoE6EiNS0_10empty_typeEbEEZZNS1_14partition_implILS5_6ELb0ES3_mN6thrust23THRUST_200600_302600_NS6detail15normal_iteratorINSA_10device_ptrIiEEEEPS6_SG_NS0_5tupleIJSF_S6_EEENSH_IJSG_SG_EEES6_PlJNSB_9not_fun_tI7is_trueIiEEEEEE10hipError_tPvRmT3_T4_T5_T6_T7_T9_mT8_P12ihipStream_tbDpT10_ENKUlT_T0_E_clISt17integral_constantIbLb1EES18_EEDaS13_S14_EUlS13_E_NS1_11comp_targetILNS1_3genE4ELNS1_11target_archE910ELNS1_3gpuE8ELNS1_3repE0EEENS1_30default_config_static_selectorELNS0_4arch9wavefront6targetE0EEEvT1_
	.p2align	8
	.type	_ZN7rocprim17ROCPRIM_400000_NS6detail17trampoline_kernelINS0_14default_configENS1_25partition_config_selectorILNS1_17partition_subalgoE6EiNS0_10empty_typeEbEEZZNS1_14partition_implILS5_6ELb0ES3_mN6thrust23THRUST_200600_302600_NS6detail15normal_iteratorINSA_10device_ptrIiEEEEPS6_SG_NS0_5tupleIJSF_S6_EEENSH_IJSG_SG_EEES6_PlJNSB_9not_fun_tI7is_trueIiEEEEEE10hipError_tPvRmT3_T4_T5_T6_T7_T9_mT8_P12ihipStream_tbDpT10_ENKUlT_T0_E_clISt17integral_constantIbLb1EES18_EEDaS13_S14_EUlS13_E_NS1_11comp_targetILNS1_3genE4ELNS1_11target_archE910ELNS1_3gpuE8ELNS1_3repE0EEENS1_30default_config_static_selectorELNS0_4arch9wavefront6targetE0EEEvT1_,@function
_ZN7rocprim17ROCPRIM_400000_NS6detail17trampoline_kernelINS0_14default_configENS1_25partition_config_selectorILNS1_17partition_subalgoE6EiNS0_10empty_typeEbEEZZNS1_14partition_implILS5_6ELb0ES3_mN6thrust23THRUST_200600_302600_NS6detail15normal_iteratorINSA_10device_ptrIiEEEEPS6_SG_NS0_5tupleIJSF_S6_EEENSH_IJSG_SG_EEES6_PlJNSB_9not_fun_tI7is_trueIiEEEEEE10hipError_tPvRmT3_T4_T5_T6_T7_T9_mT8_P12ihipStream_tbDpT10_ENKUlT_T0_E_clISt17integral_constantIbLb1EES18_EEDaS13_S14_EUlS13_E_NS1_11comp_targetILNS1_3genE4ELNS1_11target_archE910ELNS1_3gpuE8ELNS1_3repE0EEENS1_30default_config_static_selectorELNS0_4arch9wavefront6targetE0EEEvT1_: ; @_ZN7rocprim17ROCPRIM_400000_NS6detail17trampoline_kernelINS0_14default_configENS1_25partition_config_selectorILNS1_17partition_subalgoE6EiNS0_10empty_typeEbEEZZNS1_14partition_implILS5_6ELb0ES3_mN6thrust23THRUST_200600_302600_NS6detail15normal_iteratorINSA_10device_ptrIiEEEEPS6_SG_NS0_5tupleIJSF_S6_EEENSH_IJSG_SG_EEES6_PlJNSB_9not_fun_tI7is_trueIiEEEEEE10hipError_tPvRmT3_T4_T5_T6_T7_T9_mT8_P12ihipStream_tbDpT10_ENKUlT_T0_E_clISt17integral_constantIbLb1EES18_EEDaS13_S14_EUlS13_E_NS1_11comp_targetILNS1_3genE4ELNS1_11target_archE910ELNS1_3gpuE8ELNS1_3repE0EEENS1_30default_config_static_selectorELNS0_4arch9wavefront6targetE0EEEvT1_
; %bb.0:
	.section	.rodata,"a",@progbits
	.p2align	6, 0x0
	.amdhsa_kernel _ZN7rocprim17ROCPRIM_400000_NS6detail17trampoline_kernelINS0_14default_configENS1_25partition_config_selectorILNS1_17partition_subalgoE6EiNS0_10empty_typeEbEEZZNS1_14partition_implILS5_6ELb0ES3_mN6thrust23THRUST_200600_302600_NS6detail15normal_iteratorINSA_10device_ptrIiEEEEPS6_SG_NS0_5tupleIJSF_S6_EEENSH_IJSG_SG_EEES6_PlJNSB_9not_fun_tI7is_trueIiEEEEEE10hipError_tPvRmT3_T4_T5_T6_T7_T9_mT8_P12ihipStream_tbDpT10_ENKUlT_T0_E_clISt17integral_constantIbLb1EES18_EEDaS13_S14_EUlS13_E_NS1_11comp_targetILNS1_3genE4ELNS1_11target_archE910ELNS1_3gpuE8ELNS1_3repE0EEENS1_30default_config_static_selectorELNS0_4arch9wavefront6targetE0EEEvT1_
		.amdhsa_group_segment_fixed_size 0
		.amdhsa_private_segment_fixed_size 0
		.amdhsa_kernarg_size 128
		.amdhsa_user_sgpr_count 2
		.amdhsa_user_sgpr_dispatch_ptr 0
		.amdhsa_user_sgpr_queue_ptr 0
		.amdhsa_user_sgpr_kernarg_segment_ptr 1
		.amdhsa_user_sgpr_dispatch_id 0
		.amdhsa_user_sgpr_private_segment_size 0
		.amdhsa_wavefront_size32 1
		.amdhsa_uses_dynamic_stack 0
		.amdhsa_enable_private_segment 0
		.amdhsa_system_sgpr_workgroup_id_x 1
		.amdhsa_system_sgpr_workgroup_id_y 0
		.amdhsa_system_sgpr_workgroup_id_z 0
		.amdhsa_system_sgpr_workgroup_info 0
		.amdhsa_system_vgpr_workitem_id 0
		.amdhsa_next_free_vgpr 1
		.amdhsa_next_free_sgpr 1
		.amdhsa_reserve_vcc 0
		.amdhsa_float_round_mode_32 0
		.amdhsa_float_round_mode_16_64 0
		.amdhsa_float_denorm_mode_32 3
		.amdhsa_float_denorm_mode_16_64 3
		.amdhsa_fp16_overflow 0
		.amdhsa_workgroup_processor_mode 1
		.amdhsa_memory_ordered 1
		.amdhsa_forward_progress 1
		.amdhsa_inst_pref_size 0
		.amdhsa_round_robin_scheduling 0
		.amdhsa_exception_fp_ieee_invalid_op 0
		.amdhsa_exception_fp_denorm_src 0
		.amdhsa_exception_fp_ieee_div_zero 0
		.amdhsa_exception_fp_ieee_overflow 0
		.amdhsa_exception_fp_ieee_underflow 0
		.amdhsa_exception_fp_ieee_inexact 0
		.amdhsa_exception_int_div_zero 0
	.end_amdhsa_kernel
	.section	.text._ZN7rocprim17ROCPRIM_400000_NS6detail17trampoline_kernelINS0_14default_configENS1_25partition_config_selectorILNS1_17partition_subalgoE6EiNS0_10empty_typeEbEEZZNS1_14partition_implILS5_6ELb0ES3_mN6thrust23THRUST_200600_302600_NS6detail15normal_iteratorINSA_10device_ptrIiEEEEPS6_SG_NS0_5tupleIJSF_S6_EEENSH_IJSG_SG_EEES6_PlJNSB_9not_fun_tI7is_trueIiEEEEEE10hipError_tPvRmT3_T4_T5_T6_T7_T9_mT8_P12ihipStream_tbDpT10_ENKUlT_T0_E_clISt17integral_constantIbLb1EES18_EEDaS13_S14_EUlS13_E_NS1_11comp_targetILNS1_3genE4ELNS1_11target_archE910ELNS1_3gpuE8ELNS1_3repE0EEENS1_30default_config_static_selectorELNS0_4arch9wavefront6targetE0EEEvT1_,"axG",@progbits,_ZN7rocprim17ROCPRIM_400000_NS6detail17trampoline_kernelINS0_14default_configENS1_25partition_config_selectorILNS1_17partition_subalgoE6EiNS0_10empty_typeEbEEZZNS1_14partition_implILS5_6ELb0ES3_mN6thrust23THRUST_200600_302600_NS6detail15normal_iteratorINSA_10device_ptrIiEEEEPS6_SG_NS0_5tupleIJSF_S6_EEENSH_IJSG_SG_EEES6_PlJNSB_9not_fun_tI7is_trueIiEEEEEE10hipError_tPvRmT3_T4_T5_T6_T7_T9_mT8_P12ihipStream_tbDpT10_ENKUlT_T0_E_clISt17integral_constantIbLb1EES18_EEDaS13_S14_EUlS13_E_NS1_11comp_targetILNS1_3genE4ELNS1_11target_archE910ELNS1_3gpuE8ELNS1_3repE0EEENS1_30default_config_static_selectorELNS0_4arch9wavefront6targetE0EEEvT1_,comdat
.Lfunc_end1247:
	.size	_ZN7rocprim17ROCPRIM_400000_NS6detail17trampoline_kernelINS0_14default_configENS1_25partition_config_selectorILNS1_17partition_subalgoE6EiNS0_10empty_typeEbEEZZNS1_14partition_implILS5_6ELb0ES3_mN6thrust23THRUST_200600_302600_NS6detail15normal_iteratorINSA_10device_ptrIiEEEEPS6_SG_NS0_5tupleIJSF_S6_EEENSH_IJSG_SG_EEES6_PlJNSB_9not_fun_tI7is_trueIiEEEEEE10hipError_tPvRmT3_T4_T5_T6_T7_T9_mT8_P12ihipStream_tbDpT10_ENKUlT_T0_E_clISt17integral_constantIbLb1EES18_EEDaS13_S14_EUlS13_E_NS1_11comp_targetILNS1_3genE4ELNS1_11target_archE910ELNS1_3gpuE8ELNS1_3repE0EEENS1_30default_config_static_selectorELNS0_4arch9wavefront6targetE0EEEvT1_, .Lfunc_end1247-_ZN7rocprim17ROCPRIM_400000_NS6detail17trampoline_kernelINS0_14default_configENS1_25partition_config_selectorILNS1_17partition_subalgoE6EiNS0_10empty_typeEbEEZZNS1_14partition_implILS5_6ELb0ES3_mN6thrust23THRUST_200600_302600_NS6detail15normal_iteratorINSA_10device_ptrIiEEEEPS6_SG_NS0_5tupleIJSF_S6_EEENSH_IJSG_SG_EEES6_PlJNSB_9not_fun_tI7is_trueIiEEEEEE10hipError_tPvRmT3_T4_T5_T6_T7_T9_mT8_P12ihipStream_tbDpT10_ENKUlT_T0_E_clISt17integral_constantIbLb1EES18_EEDaS13_S14_EUlS13_E_NS1_11comp_targetILNS1_3genE4ELNS1_11target_archE910ELNS1_3gpuE8ELNS1_3repE0EEENS1_30default_config_static_selectorELNS0_4arch9wavefront6targetE0EEEvT1_
                                        ; -- End function
	.set _ZN7rocprim17ROCPRIM_400000_NS6detail17trampoline_kernelINS0_14default_configENS1_25partition_config_selectorILNS1_17partition_subalgoE6EiNS0_10empty_typeEbEEZZNS1_14partition_implILS5_6ELb0ES3_mN6thrust23THRUST_200600_302600_NS6detail15normal_iteratorINSA_10device_ptrIiEEEEPS6_SG_NS0_5tupleIJSF_S6_EEENSH_IJSG_SG_EEES6_PlJNSB_9not_fun_tI7is_trueIiEEEEEE10hipError_tPvRmT3_T4_T5_T6_T7_T9_mT8_P12ihipStream_tbDpT10_ENKUlT_T0_E_clISt17integral_constantIbLb1EES18_EEDaS13_S14_EUlS13_E_NS1_11comp_targetILNS1_3genE4ELNS1_11target_archE910ELNS1_3gpuE8ELNS1_3repE0EEENS1_30default_config_static_selectorELNS0_4arch9wavefront6targetE0EEEvT1_.num_vgpr, 0
	.set _ZN7rocprim17ROCPRIM_400000_NS6detail17trampoline_kernelINS0_14default_configENS1_25partition_config_selectorILNS1_17partition_subalgoE6EiNS0_10empty_typeEbEEZZNS1_14partition_implILS5_6ELb0ES3_mN6thrust23THRUST_200600_302600_NS6detail15normal_iteratorINSA_10device_ptrIiEEEEPS6_SG_NS0_5tupleIJSF_S6_EEENSH_IJSG_SG_EEES6_PlJNSB_9not_fun_tI7is_trueIiEEEEEE10hipError_tPvRmT3_T4_T5_T6_T7_T9_mT8_P12ihipStream_tbDpT10_ENKUlT_T0_E_clISt17integral_constantIbLb1EES18_EEDaS13_S14_EUlS13_E_NS1_11comp_targetILNS1_3genE4ELNS1_11target_archE910ELNS1_3gpuE8ELNS1_3repE0EEENS1_30default_config_static_selectorELNS0_4arch9wavefront6targetE0EEEvT1_.num_agpr, 0
	.set _ZN7rocprim17ROCPRIM_400000_NS6detail17trampoline_kernelINS0_14default_configENS1_25partition_config_selectorILNS1_17partition_subalgoE6EiNS0_10empty_typeEbEEZZNS1_14partition_implILS5_6ELb0ES3_mN6thrust23THRUST_200600_302600_NS6detail15normal_iteratorINSA_10device_ptrIiEEEEPS6_SG_NS0_5tupleIJSF_S6_EEENSH_IJSG_SG_EEES6_PlJNSB_9not_fun_tI7is_trueIiEEEEEE10hipError_tPvRmT3_T4_T5_T6_T7_T9_mT8_P12ihipStream_tbDpT10_ENKUlT_T0_E_clISt17integral_constantIbLb1EES18_EEDaS13_S14_EUlS13_E_NS1_11comp_targetILNS1_3genE4ELNS1_11target_archE910ELNS1_3gpuE8ELNS1_3repE0EEENS1_30default_config_static_selectorELNS0_4arch9wavefront6targetE0EEEvT1_.numbered_sgpr, 0
	.set _ZN7rocprim17ROCPRIM_400000_NS6detail17trampoline_kernelINS0_14default_configENS1_25partition_config_selectorILNS1_17partition_subalgoE6EiNS0_10empty_typeEbEEZZNS1_14partition_implILS5_6ELb0ES3_mN6thrust23THRUST_200600_302600_NS6detail15normal_iteratorINSA_10device_ptrIiEEEEPS6_SG_NS0_5tupleIJSF_S6_EEENSH_IJSG_SG_EEES6_PlJNSB_9not_fun_tI7is_trueIiEEEEEE10hipError_tPvRmT3_T4_T5_T6_T7_T9_mT8_P12ihipStream_tbDpT10_ENKUlT_T0_E_clISt17integral_constantIbLb1EES18_EEDaS13_S14_EUlS13_E_NS1_11comp_targetILNS1_3genE4ELNS1_11target_archE910ELNS1_3gpuE8ELNS1_3repE0EEENS1_30default_config_static_selectorELNS0_4arch9wavefront6targetE0EEEvT1_.num_named_barrier, 0
	.set _ZN7rocprim17ROCPRIM_400000_NS6detail17trampoline_kernelINS0_14default_configENS1_25partition_config_selectorILNS1_17partition_subalgoE6EiNS0_10empty_typeEbEEZZNS1_14partition_implILS5_6ELb0ES3_mN6thrust23THRUST_200600_302600_NS6detail15normal_iteratorINSA_10device_ptrIiEEEEPS6_SG_NS0_5tupleIJSF_S6_EEENSH_IJSG_SG_EEES6_PlJNSB_9not_fun_tI7is_trueIiEEEEEE10hipError_tPvRmT3_T4_T5_T6_T7_T9_mT8_P12ihipStream_tbDpT10_ENKUlT_T0_E_clISt17integral_constantIbLb1EES18_EEDaS13_S14_EUlS13_E_NS1_11comp_targetILNS1_3genE4ELNS1_11target_archE910ELNS1_3gpuE8ELNS1_3repE0EEENS1_30default_config_static_selectorELNS0_4arch9wavefront6targetE0EEEvT1_.private_seg_size, 0
	.set _ZN7rocprim17ROCPRIM_400000_NS6detail17trampoline_kernelINS0_14default_configENS1_25partition_config_selectorILNS1_17partition_subalgoE6EiNS0_10empty_typeEbEEZZNS1_14partition_implILS5_6ELb0ES3_mN6thrust23THRUST_200600_302600_NS6detail15normal_iteratorINSA_10device_ptrIiEEEEPS6_SG_NS0_5tupleIJSF_S6_EEENSH_IJSG_SG_EEES6_PlJNSB_9not_fun_tI7is_trueIiEEEEEE10hipError_tPvRmT3_T4_T5_T6_T7_T9_mT8_P12ihipStream_tbDpT10_ENKUlT_T0_E_clISt17integral_constantIbLb1EES18_EEDaS13_S14_EUlS13_E_NS1_11comp_targetILNS1_3genE4ELNS1_11target_archE910ELNS1_3gpuE8ELNS1_3repE0EEENS1_30default_config_static_selectorELNS0_4arch9wavefront6targetE0EEEvT1_.uses_vcc, 0
	.set _ZN7rocprim17ROCPRIM_400000_NS6detail17trampoline_kernelINS0_14default_configENS1_25partition_config_selectorILNS1_17partition_subalgoE6EiNS0_10empty_typeEbEEZZNS1_14partition_implILS5_6ELb0ES3_mN6thrust23THRUST_200600_302600_NS6detail15normal_iteratorINSA_10device_ptrIiEEEEPS6_SG_NS0_5tupleIJSF_S6_EEENSH_IJSG_SG_EEES6_PlJNSB_9not_fun_tI7is_trueIiEEEEEE10hipError_tPvRmT3_T4_T5_T6_T7_T9_mT8_P12ihipStream_tbDpT10_ENKUlT_T0_E_clISt17integral_constantIbLb1EES18_EEDaS13_S14_EUlS13_E_NS1_11comp_targetILNS1_3genE4ELNS1_11target_archE910ELNS1_3gpuE8ELNS1_3repE0EEENS1_30default_config_static_selectorELNS0_4arch9wavefront6targetE0EEEvT1_.uses_flat_scratch, 0
	.set _ZN7rocprim17ROCPRIM_400000_NS6detail17trampoline_kernelINS0_14default_configENS1_25partition_config_selectorILNS1_17partition_subalgoE6EiNS0_10empty_typeEbEEZZNS1_14partition_implILS5_6ELb0ES3_mN6thrust23THRUST_200600_302600_NS6detail15normal_iteratorINSA_10device_ptrIiEEEEPS6_SG_NS0_5tupleIJSF_S6_EEENSH_IJSG_SG_EEES6_PlJNSB_9not_fun_tI7is_trueIiEEEEEE10hipError_tPvRmT3_T4_T5_T6_T7_T9_mT8_P12ihipStream_tbDpT10_ENKUlT_T0_E_clISt17integral_constantIbLb1EES18_EEDaS13_S14_EUlS13_E_NS1_11comp_targetILNS1_3genE4ELNS1_11target_archE910ELNS1_3gpuE8ELNS1_3repE0EEENS1_30default_config_static_selectorELNS0_4arch9wavefront6targetE0EEEvT1_.has_dyn_sized_stack, 0
	.set _ZN7rocprim17ROCPRIM_400000_NS6detail17trampoline_kernelINS0_14default_configENS1_25partition_config_selectorILNS1_17partition_subalgoE6EiNS0_10empty_typeEbEEZZNS1_14partition_implILS5_6ELb0ES3_mN6thrust23THRUST_200600_302600_NS6detail15normal_iteratorINSA_10device_ptrIiEEEEPS6_SG_NS0_5tupleIJSF_S6_EEENSH_IJSG_SG_EEES6_PlJNSB_9not_fun_tI7is_trueIiEEEEEE10hipError_tPvRmT3_T4_T5_T6_T7_T9_mT8_P12ihipStream_tbDpT10_ENKUlT_T0_E_clISt17integral_constantIbLb1EES18_EEDaS13_S14_EUlS13_E_NS1_11comp_targetILNS1_3genE4ELNS1_11target_archE910ELNS1_3gpuE8ELNS1_3repE0EEENS1_30default_config_static_selectorELNS0_4arch9wavefront6targetE0EEEvT1_.has_recursion, 0
	.set _ZN7rocprim17ROCPRIM_400000_NS6detail17trampoline_kernelINS0_14default_configENS1_25partition_config_selectorILNS1_17partition_subalgoE6EiNS0_10empty_typeEbEEZZNS1_14partition_implILS5_6ELb0ES3_mN6thrust23THRUST_200600_302600_NS6detail15normal_iteratorINSA_10device_ptrIiEEEEPS6_SG_NS0_5tupleIJSF_S6_EEENSH_IJSG_SG_EEES6_PlJNSB_9not_fun_tI7is_trueIiEEEEEE10hipError_tPvRmT3_T4_T5_T6_T7_T9_mT8_P12ihipStream_tbDpT10_ENKUlT_T0_E_clISt17integral_constantIbLb1EES18_EEDaS13_S14_EUlS13_E_NS1_11comp_targetILNS1_3genE4ELNS1_11target_archE910ELNS1_3gpuE8ELNS1_3repE0EEENS1_30default_config_static_selectorELNS0_4arch9wavefront6targetE0EEEvT1_.has_indirect_call, 0
	.section	.AMDGPU.csdata,"",@progbits
; Kernel info:
; codeLenInByte = 0
; TotalNumSgprs: 0
; NumVgprs: 0
; ScratchSize: 0
; MemoryBound: 0
; FloatMode: 240
; IeeeMode: 1
; LDSByteSize: 0 bytes/workgroup (compile time only)
; SGPRBlocks: 0
; VGPRBlocks: 0
; NumSGPRsForWavesPerEU: 1
; NumVGPRsForWavesPerEU: 1
; Occupancy: 16
; WaveLimiterHint : 0
; COMPUTE_PGM_RSRC2:SCRATCH_EN: 0
; COMPUTE_PGM_RSRC2:USER_SGPR: 2
; COMPUTE_PGM_RSRC2:TRAP_HANDLER: 0
; COMPUTE_PGM_RSRC2:TGID_X_EN: 1
; COMPUTE_PGM_RSRC2:TGID_Y_EN: 0
; COMPUTE_PGM_RSRC2:TGID_Z_EN: 0
; COMPUTE_PGM_RSRC2:TIDIG_COMP_CNT: 0
	.section	.text._ZN7rocprim17ROCPRIM_400000_NS6detail17trampoline_kernelINS0_14default_configENS1_25partition_config_selectorILNS1_17partition_subalgoE6EiNS0_10empty_typeEbEEZZNS1_14partition_implILS5_6ELb0ES3_mN6thrust23THRUST_200600_302600_NS6detail15normal_iteratorINSA_10device_ptrIiEEEEPS6_SG_NS0_5tupleIJSF_S6_EEENSH_IJSG_SG_EEES6_PlJNSB_9not_fun_tI7is_trueIiEEEEEE10hipError_tPvRmT3_T4_T5_T6_T7_T9_mT8_P12ihipStream_tbDpT10_ENKUlT_T0_E_clISt17integral_constantIbLb1EES18_EEDaS13_S14_EUlS13_E_NS1_11comp_targetILNS1_3genE3ELNS1_11target_archE908ELNS1_3gpuE7ELNS1_3repE0EEENS1_30default_config_static_selectorELNS0_4arch9wavefront6targetE0EEEvT1_,"axG",@progbits,_ZN7rocprim17ROCPRIM_400000_NS6detail17trampoline_kernelINS0_14default_configENS1_25partition_config_selectorILNS1_17partition_subalgoE6EiNS0_10empty_typeEbEEZZNS1_14partition_implILS5_6ELb0ES3_mN6thrust23THRUST_200600_302600_NS6detail15normal_iteratorINSA_10device_ptrIiEEEEPS6_SG_NS0_5tupleIJSF_S6_EEENSH_IJSG_SG_EEES6_PlJNSB_9not_fun_tI7is_trueIiEEEEEE10hipError_tPvRmT3_T4_T5_T6_T7_T9_mT8_P12ihipStream_tbDpT10_ENKUlT_T0_E_clISt17integral_constantIbLb1EES18_EEDaS13_S14_EUlS13_E_NS1_11comp_targetILNS1_3genE3ELNS1_11target_archE908ELNS1_3gpuE7ELNS1_3repE0EEENS1_30default_config_static_selectorELNS0_4arch9wavefront6targetE0EEEvT1_,comdat
	.protected	_ZN7rocprim17ROCPRIM_400000_NS6detail17trampoline_kernelINS0_14default_configENS1_25partition_config_selectorILNS1_17partition_subalgoE6EiNS0_10empty_typeEbEEZZNS1_14partition_implILS5_6ELb0ES3_mN6thrust23THRUST_200600_302600_NS6detail15normal_iteratorINSA_10device_ptrIiEEEEPS6_SG_NS0_5tupleIJSF_S6_EEENSH_IJSG_SG_EEES6_PlJNSB_9not_fun_tI7is_trueIiEEEEEE10hipError_tPvRmT3_T4_T5_T6_T7_T9_mT8_P12ihipStream_tbDpT10_ENKUlT_T0_E_clISt17integral_constantIbLb1EES18_EEDaS13_S14_EUlS13_E_NS1_11comp_targetILNS1_3genE3ELNS1_11target_archE908ELNS1_3gpuE7ELNS1_3repE0EEENS1_30default_config_static_selectorELNS0_4arch9wavefront6targetE0EEEvT1_ ; -- Begin function _ZN7rocprim17ROCPRIM_400000_NS6detail17trampoline_kernelINS0_14default_configENS1_25partition_config_selectorILNS1_17partition_subalgoE6EiNS0_10empty_typeEbEEZZNS1_14partition_implILS5_6ELb0ES3_mN6thrust23THRUST_200600_302600_NS6detail15normal_iteratorINSA_10device_ptrIiEEEEPS6_SG_NS0_5tupleIJSF_S6_EEENSH_IJSG_SG_EEES6_PlJNSB_9not_fun_tI7is_trueIiEEEEEE10hipError_tPvRmT3_T4_T5_T6_T7_T9_mT8_P12ihipStream_tbDpT10_ENKUlT_T0_E_clISt17integral_constantIbLb1EES18_EEDaS13_S14_EUlS13_E_NS1_11comp_targetILNS1_3genE3ELNS1_11target_archE908ELNS1_3gpuE7ELNS1_3repE0EEENS1_30default_config_static_selectorELNS0_4arch9wavefront6targetE0EEEvT1_
	.globl	_ZN7rocprim17ROCPRIM_400000_NS6detail17trampoline_kernelINS0_14default_configENS1_25partition_config_selectorILNS1_17partition_subalgoE6EiNS0_10empty_typeEbEEZZNS1_14partition_implILS5_6ELb0ES3_mN6thrust23THRUST_200600_302600_NS6detail15normal_iteratorINSA_10device_ptrIiEEEEPS6_SG_NS0_5tupleIJSF_S6_EEENSH_IJSG_SG_EEES6_PlJNSB_9not_fun_tI7is_trueIiEEEEEE10hipError_tPvRmT3_T4_T5_T6_T7_T9_mT8_P12ihipStream_tbDpT10_ENKUlT_T0_E_clISt17integral_constantIbLb1EES18_EEDaS13_S14_EUlS13_E_NS1_11comp_targetILNS1_3genE3ELNS1_11target_archE908ELNS1_3gpuE7ELNS1_3repE0EEENS1_30default_config_static_selectorELNS0_4arch9wavefront6targetE0EEEvT1_
	.p2align	8
	.type	_ZN7rocprim17ROCPRIM_400000_NS6detail17trampoline_kernelINS0_14default_configENS1_25partition_config_selectorILNS1_17partition_subalgoE6EiNS0_10empty_typeEbEEZZNS1_14partition_implILS5_6ELb0ES3_mN6thrust23THRUST_200600_302600_NS6detail15normal_iteratorINSA_10device_ptrIiEEEEPS6_SG_NS0_5tupleIJSF_S6_EEENSH_IJSG_SG_EEES6_PlJNSB_9not_fun_tI7is_trueIiEEEEEE10hipError_tPvRmT3_T4_T5_T6_T7_T9_mT8_P12ihipStream_tbDpT10_ENKUlT_T0_E_clISt17integral_constantIbLb1EES18_EEDaS13_S14_EUlS13_E_NS1_11comp_targetILNS1_3genE3ELNS1_11target_archE908ELNS1_3gpuE7ELNS1_3repE0EEENS1_30default_config_static_selectorELNS0_4arch9wavefront6targetE0EEEvT1_,@function
_ZN7rocprim17ROCPRIM_400000_NS6detail17trampoline_kernelINS0_14default_configENS1_25partition_config_selectorILNS1_17partition_subalgoE6EiNS0_10empty_typeEbEEZZNS1_14partition_implILS5_6ELb0ES3_mN6thrust23THRUST_200600_302600_NS6detail15normal_iteratorINSA_10device_ptrIiEEEEPS6_SG_NS0_5tupleIJSF_S6_EEENSH_IJSG_SG_EEES6_PlJNSB_9not_fun_tI7is_trueIiEEEEEE10hipError_tPvRmT3_T4_T5_T6_T7_T9_mT8_P12ihipStream_tbDpT10_ENKUlT_T0_E_clISt17integral_constantIbLb1EES18_EEDaS13_S14_EUlS13_E_NS1_11comp_targetILNS1_3genE3ELNS1_11target_archE908ELNS1_3gpuE7ELNS1_3repE0EEENS1_30default_config_static_selectorELNS0_4arch9wavefront6targetE0EEEvT1_: ; @_ZN7rocprim17ROCPRIM_400000_NS6detail17trampoline_kernelINS0_14default_configENS1_25partition_config_selectorILNS1_17partition_subalgoE6EiNS0_10empty_typeEbEEZZNS1_14partition_implILS5_6ELb0ES3_mN6thrust23THRUST_200600_302600_NS6detail15normal_iteratorINSA_10device_ptrIiEEEEPS6_SG_NS0_5tupleIJSF_S6_EEENSH_IJSG_SG_EEES6_PlJNSB_9not_fun_tI7is_trueIiEEEEEE10hipError_tPvRmT3_T4_T5_T6_T7_T9_mT8_P12ihipStream_tbDpT10_ENKUlT_T0_E_clISt17integral_constantIbLb1EES18_EEDaS13_S14_EUlS13_E_NS1_11comp_targetILNS1_3genE3ELNS1_11target_archE908ELNS1_3gpuE7ELNS1_3repE0EEENS1_30default_config_static_selectorELNS0_4arch9wavefront6targetE0EEEvT1_
; %bb.0:
	.section	.rodata,"a",@progbits
	.p2align	6, 0x0
	.amdhsa_kernel _ZN7rocprim17ROCPRIM_400000_NS6detail17trampoline_kernelINS0_14default_configENS1_25partition_config_selectorILNS1_17partition_subalgoE6EiNS0_10empty_typeEbEEZZNS1_14partition_implILS5_6ELb0ES3_mN6thrust23THRUST_200600_302600_NS6detail15normal_iteratorINSA_10device_ptrIiEEEEPS6_SG_NS0_5tupleIJSF_S6_EEENSH_IJSG_SG_EEES6_PlJNSB_9not_fun_tI7is_trueIiEEEEEE10hipError_tPvRmT3_T4_T5_T6_T7_T9_mT8_P12ihipStream_tbDpT10_ENKUlT_T0_E_clISt17integral_constantIbLb1EES18_EEDaS13_S14_EUlS13_E_NS1_11comp_targetILNS1_3genE3ELNS1_11target_archE908ELNS1_3gpuE7ELNS1_3repE0EEENS1_30default_config_static_selectorELNS0_4arch9wavefront6targetE0EEEvT1_
		.amdhsa_group_segment_fixed_size 0
		.amdhsa_private_segment_fixed_size 0
		.amdhsa_kernarg_size 128
		.amdhsa_user_sgpr_count 2
		.amdhsa_user_sgpr_dispatch_ptr 0
		.amdhsa_user_sgpr_queue_ptr 0
		.amdhsa_user_sgpr_kernarg_segment_ptr 1
		.amdhsa_user_sgpr_dispatch_id 0
		.amdhsa_user_sgpr_private_segment_size 0
		.amdhsa_wavefront_size32 1
		.amdhsa_uses_dynamic_stack 0
		.amdhsa_enable_private_segment 0
		.amdhsa_system_sgpr_workgroup_id_x 1
		.amdhsa_system_sgpr_workgroup_id_y 0
		.amdhsa_system_sgpr_workgroup_id_z 0
		.amdhsa_system_sgpr_workgroup_info 0
		.amdhsa_system_vgpr_workitem_id 0
		.amdhsa_next_free_vgpr 1
		.amdhsa_next_free_sgpr 1
		.amdhsa_reserve_vcc 0
		.amdhsa_float_round_mode_32 0
		.amdhsa_float_round_mode_16_64 0
		.amdhsa_float_denorm_mode_32 3
		.amdhsa_float_denorm_mode_16_64 3
		.amdhsa_fp16_overflow 0
		.amdhsa_workgroup_processor_mode 1
		.amdhsa_memory_ordered 1
		.amdhsa_forward_progress 1
		.amdhsa_inst_pref_size 0
		.amdhsa_round_robin_scheduling 0
		.amdhsa_exception_fp_ieee_invalid_op 0
		.amdhsa_exception_fp_denorm_src 0
		.amdhsa_exception_fp_ieee_div_zero 0
		.amdhsa_exception_fp_ieee_overflow 0
		.amdhsa_exception_fp_ieee_underflow 0
		.amdhsa_exception_fp_ieee_inexact 0
		.amdhsa_exception_int_div_zero 0
	.end_amdhsa_kernel
	.section	.text._ZN7rocprim17ROCPRIM_400000_NS6detail17trampoline_kernelINS0_14default_configENS1_25partition_config_selectorILNS1_17partition_subalgoE6EiNS0_10empty_typeEbEEZZNS1_14partition_implILS5_6ELb0ES3_mN6thrust23THRUST_200600_302600_NS6detail15normal_iteratorINSA_10device_ptrIiEEEEPS6_SG_NS0_5tupleIJSF_S6_EEENSH_IJSG_SG_EEES6_PlJNSB_9not_fun_tI7is_trueIiEEEEEE10hipError_tPvRmT3_T4_T5_T6_T7_T9_mT8_P12ihipStream_tbDpT10_ENKUlT_T0_E_clISt17integral_constantIbLb1EES18_EEDaS13_S14_EUlS13_E_NS1_11comp_targetILNS1_3genE3ELNS1_11target_archE908ELNS1_3gpuE7ELNS1_3repE0EEENS1_30default_config_static_selectorELNS0_4arch9wavefront6targetE0EEEvT1_,"axG",@progbits,_ZN7rocprim17ROCPRIM_400000_NS6detail17trampoline_kernelINS0_14default_configENS1_25partition_config_selectorILNS1_17partition_subalgoE6EiNS0_10empty_typeEbEEZZNS1_14partition_implILS5_6ELb0ES3_mN6thrust23THRUST_200600_302600_NS6detail15normal_iteratorINSA_10device_ptrIiEEEEPS6_SG_NS0_5tupleIJSF_S6_EEENSH_IJSG_SG_EEES6_PlJNSB_9not_fun_tI7is_trueIiEEEEEE10hipError_tPvRmT3_T4_T5_T6_T7_T9_mT8_P12ihipStream_tbDpT10_ENKUlT_T0_E_clISt17integral_constantIbLb1EES18_EEDaS13_S14_EUlS13_E_NS1_11comp_targetILNS1_3genE3ELNS1_11target_archE908ELNS1_3gpuE7ELNS1_3repE0EEENS1_30default_config_static_selectorELNS0_4arch9wavefront6targetE0EEEvT1_,comdat
.Lfunc_end1248:
	.size	_ZN7rocprim17ROCPRIM_400000_NS6detail17trampoline_kernelINS0_14default_configENS1_25partition_config_selectorILNS1_17partition_subalgoE6EiNS0_10empty_typeEbEEZZNS1_14partition_implILS5_6ELb0ES3_mN6thrust23THRUST_200600_302600_NS6detail15normal_iteratorINSA_10device_ptrIiEEEEPS6_SG_NS0_5tupleIJSF_S6_EEENSH_IJSG_SG_EEES6_PlJNSB_9not_fun_tI7is_trueIiEEEEEE10hipError_tPvRmT3_T4_T5_T6_T7_T9_mT8_P12ihipStream_tbDpT10_ENKUlT_T0_E_clISt17integral_constantIbLb1EES18_EEDaS13_S14_EUlS13_E_NS1_11comp_targetILNS1_3genE3ELNS1_11target_archE908ELNS1_3gpuE7ELNS1_3repE0EEENS1_30default_config_static_selectorELNS0_4arch9wavefront6targetE0EEEvT1_, .Lfunc_end1248-_ZN7rocprim17ROCPRIM_400000_NS6detail17trampoline_kernelINS0_14default_configENS1_25partition_config_selectorILNS1_17partition_subalgoE6EiNS0_10empty_typeEbEEZZNS1_14partition_implILS5_6ELb0ES3_mN6thrust23THRUST_200600_302600_NS6detail15normal_iteratorINSA_10device_ptrIiEEEEPS6_SG_NS0_5tupleIJSF_S6_EEENSH_IJSG_SG_EEES6_PlJNSB_9not_fun_tI7is_trueIiEEEEEE10hipError_tPvRmT3_T4_T5_T6_T7_T9_mT8_P12ihipStream_tbDpT10_ENKUlT_T0_E_clISt17integral_constantIbLb1EES18_EEDaS13_S14_EUlS13_E_NS1_11comp_targetILNS1_3genE3ELNS1_11target_archE908ELNS1_3gpuE7ELNS1_3repE0EEENS1_30default_config_static_selectorELNS0_4arch9wavefront6targetE0EEEvT1_
                                        ; -- End function
	.set _ZN7rocprim17ROCPRIM_400000_NS6detail17trampoline_kernelINS0_14default_configENS1_25partition_config_selectorILNS1_17partition_subalgoE6EiNS0_10empty_typeEbEEZZNS1_14partition_implILS5_6ELb0ES3_mN6thrust23THRUST_200600_302600_NS6detail15normal_iteratorINSA_10device_ptrIiEEEEPS6_SG_NS0_5tupleIJSF_S6_EEENSH_IJSG_SG_EEES6_PlJNSB_9not_fun_tI7is_trueIiEEEEEE10hipError_tPvRmT3_T4_T5_T6_T7_T9_mT8_P12ihipStream_tbDpT10_ENKUlT_T0_E_clISt17integral_constantIbLb1EES18_EEDaS13_S14_EUlS13_E_NS1_11comp_targetILNS1_3genE3ELNS1_11target_archE908ELNS1_3gpuE7ELNS1_3repE0EEENS1_30default_config_static_selectorELNS0_4arch9wavefront6targetE0EEEvT1_.num_vgpr, 0
	.set _ZN7rocprim17ROCPRIM_400000_NS6detail17trampoline_kernelINS0_14default_configENS1_25partition_config_selectorILNS1_17partition_subalgoE6EiNS0_10empty_typeEbEEZZNS1_14partition_implILS5_6ELb0ES3_mN6thrust23THRUST_200600_302600_NS6detail15normal_iteratorINSA_10device_ptrIiEEEEPS6_SG_NS0_5tupleIJSF_S6_EEENSH_IJSG_SG_EEES6_PlJNSB_9not_fun_tI7is_trueIiEEEEEE10hipError_tPvRmT3_T4_T5_T6_T7_T9_mT8_P12ihipStream_tbDpT10_ENKUlT_T0_E_clISt17integral_constantIbLb1EES18_EEDaS13_S14_EUlS13_E_NS1_11comp_targetILNS1_3genE3ELNS1_11target_archE908ELNS1_3gpuE7ELNS1_3repE0EEENS1_30default_config_static_selectorELNS0_4arch9wavefront6targetE0EEEvT1_.num_agpr, 0
	.set _ZN7rocprim17ROCPRIM_400000_NS6detail17trampoline_kernelINS0_14default_configENS1_25partition_config_selectorILNS1_17partition_subalgoE6EiNS0_10empty_typeEbEEZZNS1_14partition_implILS5_6ELb0ES3_mN6thrust23THRUST_200600_302600_NS6detail15normal_iteratorINSA_10device_ptrIiEEEEPS6_SG_NS0_5tupleIJSF_S6_EEENSH_IJSG_SG_EEES6_PlJNSB_9not_fun_tI7is_trueIiEEEEEE10hipError_tPvRmT3_T4_T5_T6_T7_T9_mT8_P12ihipStream_tbDpT10_ENKUlT_T0_E_clISt17integral_constantIbLb1EES18_EEDaS13_S14_EUlS13_E_NS1_11comp_targetILNS1_3genE3ELNS1_11target_archE908ELNS1_3gpuE7ELNS1_3repE0EEENS1_30default_config_static_selectorELNS0_4arch9wavefront6targetE0EEEvT1_.numbered_sgpr, 0
	.set _ZN7rocprim17ROCPRIM_400000_NS6detail17trampoline_kernelINS0_14default_configENS1_25partition_config_selectorILNS1_17partition_subalgoE6EiNS0_10empty_typeEbEEZZNS1_14partition_implILS5_6ELb0ES3_mN6thrust23THRUST_200600_302600_NS6detail15normal_iteratorINSA_10device_ptrIiEEEEPS6_SG_NS0_5tupleIJSF_S6_EEENSH_IJSG_SG_EEES6_PlJNSB_9not_fun_tI7is_trueIiEEEEEE10hipError_tPvRmT3_T4_T5_T6_T7_T9_mT8_P12ihipStream_tbDpT10_ENKUlT_T0_E_clISt17integral_constantIbLb1EES18_EEDaS13_S14_EUlS13_E_NS1_11comp_targetILNS1_3genE3ELNS1_11target_archE908ELNS1_3gpuE7ELNS1_3repE0EEENS1_30default_config_static_selectorELNS0_4arch9wavefront6targetE0EEEvT1_.num_named_barrier, 0
	.set _ZN7rocprim17ROCPRIM_400000_NS6detail17trampoline_kernelINS0_14default_configENS1_25partition_config_selectorILNS1_17partition_subalgoE6EiNS0_10empty_typeEbEEZZNS1_14partition_implILS5_6ELb0ES3_mN6thrust23THRUST_200600_302600_NS6detail15normal_iteratorINSA_10device_ptrIiEEEEPS6_SG_NS0_5tupleIJSF_S6_EEENSH_IJSG_SG_EEES6_PlJNSB_9not_fun_tI7is_trueIiEEEEEE10hipError_tPvRmT3_T4_T5_T6_T7_T9_mT8_P12ihipStream_tbDpT10_ENKUlT_T0_E_clISt17integral_constantIbLb1EES18_EEDaS13_S14_EUlS13_E_NS1_11comp_targetILNS1_3genE3ELNS1_11target_archE908ELNS1_3gpuE7ELNS1_3repE0EEENS1_30default_config_static_selectorELNS0_4arch9wavefront6targetE0EEEvT1_.private_seg_size, 0
	.set _ZN7rocprim17ROCPRIM_400000_NS6detail17trampoline_kernelINS0_14default_configENS1_25partition_config_selectorILNS1_17partition_subalgoE6EiNS0_10empty_typeEbEEZZNS1_14partition_implILS5_6ELb0ES3_mN6thrust23THRUST_200600_302600_NS6detail15normal_iteratorINSA_10device_ptrIiEEEEPS6_SG_NS0_5tupleIJSF_S6_EEENSH_IJSG_SG_EEES6_PlJNSB_9not_fun_tI7is_trueIiEEEEEE10hipError_tPvRmT3_T4_T5_T6_T7_T9_mT8_P12ihipStream_tbDpT10_ENKUlT_T0_E_clISt17integral_constantIbLb1EES18_EEDaS13_S14_EUlS13_E_NS1_11comp_targetILNS1_3genE3ELNS1_11target_archE908ELNS1_3gpuE7ELNS1_3repE0EEENS1_30default_config_static_selectorELNS0_4arch9wavefront6targetE0EEEvT1_.uses_vcc, 0
	.set _ZN7rocprim17ROCPRIM_400000_NS6detail17trampoline_kernelINS0_14default_configENS1_25partition_config_selectorILNS1_17partition_subalgoE6EiNS0_10empty_typeEbEEZZNS1_14partition_implILS5_6ELb0ES3_mN6thrust23THRUST_200600_302600_NS6detail15normal_iteratorINSA_10device_ptrIiEEEEPS6_SG_NS0_5tupleIJSF_S6_EEENSH_IJSG_SG_EEES6_PlJNSB_9not_fun_tI7is_trueIiEEEEEE10hipError_tPvRmT3_T4_T5_T6_T7_T9_mT8_P12ihipStream_tbDpT10_ENKUlT_T0_E_clISt17integral_constantIbLb1EES18_EEDaS13_S14_EUlS13_E_NS1_11comp_targetILNS1_3genE3ELNS1_11target_archE908ELNS1_3gpuE7ELNS1_3repE0EEENS1_30default_config_static_selectorELNS0_4arch9wavefront6targetE0EEEvT1_.uses_flat_scratch, 0
	.set _ZN7rocprim17ROCPRIM_400000_NS6detail17trampoline_kernelINS0_14default_configENS1_25partition_config_selectorILNS1_17partition_subalgoE6EiNS0_10empty_typeEbEEZZNS1_14partition_implILS5_6ELb0ES3_mN6thrust23THRUST_200600_302600_NS6detail15normal_iteratorINSA_10device_ptrIiEEEEPS6_SG_NS0_5tupleIJSF_S6_EEENSH_IJSG_SG_EEES6_PlJNSB_9not_fun_tI7is_trueIiEEEEEE10hipError_tPvRmT3_T4_T5_T6_T7_T9_mT8_P12ihipStream_tbDpT10_ENKUlT_T0_E_clISt17integral_constantIbLb1EES18_EEDaS13_S14_EUlS13_E_NS1_11comp_targetILNS1_3genE3ELNS1_11target_archE908ELNS1_3gpuE7ELNS1_3repE0EEENS1_30default_config_static_selectorELNS0_4arch9wavefront6targetE0EEEvT1_.has_dyn_sized_stack, 0
	.set _ZN7rocprim17ROCPRIM_400000_NS6detail17trampoline_kernelINS0_14default_configENS1_25partition_config_selectorILNS1_17partition_subalgoE6EiNS0_10empty_typeEbEEZZNS1_14partition_implILS5_6ELb0ES3_mN6thrust23THRUST_200600_302600_NS6detail15normal_iteratorINSA_10device_ptrIiEEEEPS6_SG_NS0_5tupleIJSF_S6_EEENSH_IJSG_SG_EEES6_PlJNSB_9not_fun_tI7is_trueIiEEEEEE10hipError_tPvRmT3_T4_T5_T6_T7_T9_mT8_P12ihipStream_tbDpT10_ENKUlT_T0_E_clISt17integral_constantIbLb1EES18_EEDaS13_S14_EUlS13_E_NS1_11comp_targetILNS1_3genE3ELNS1_11target_archE908ELNS1_3gpuE7ELNS1_3repE0EEENS1_30default_config_static_selectorELNS0_4arch9wavefront6targetE0EEEvT1_.has_recursion, 0
	.set _ZN7rocprim17ROCPRIM_400000_NS6detail17trampoline_kernelINS0_14default_configENS1_25partition_config_selectorILNS1_17partition_subalgoE6EiNS0_10empty_typeEbEEZZNS1_14partition_implILS5_6ELb0ES3_mN6thrust23THRUST_200600_302600_NS6detail15normal_iteratorINSA_10device_ptrIiEEEEPS6_SG_NS0_5tupleIJSF_S6_EEENSH_IJSG_SG_EEES6_PlJNSB_9not_fun_tI7is_trueIiEEEEEE10hipError_tPvRmT3_T4_T5_T6_T7_T9_mT8_P12ihipStream_tbDpT10_ENKUlT_T0_E_clISt17integral_constantIbLb1EES18_EEDaS13_S14_EUlS13_E_NS1_11comp_targetILNS1_3genE3ELNS1_11target_archE908ELNS1_3gpuE7ELNS1_3repE0EEENS1_30default_config_static_selectorELNS0_4arch9wavefront6targetE0EEEvT1_.has_indirect_call, 0
	.section	.AMDGPU.csdata,"",@progbits
; Kernel info:
; codeLenInByte = 0
; TotalNumSgprs: 0
; NumVgprs: 0
; ScratchSize: 0
; MemoryBound: 0
; FloatMode: 240
; IeeeMode: 1
; LDSByteSize: 0 bytes/workgroup (compile time only)
; SGPRBlocks: 0
; VGPRBlocks: 0
; NumSGPRsForWavesPerEU: 1
; NumVGPRsForWavesPerEU: 1
; Occupancy: 16
; WaveLimiterHint : 0
; COMPUTE_PGM_RSRC2:SCRATCH_EN: 0
; COMPUTE_PGM_RSRC2:USER_SGPR: 2
; COMPUTE_PGM_RSRC2:TRAP_HANDLER: 0
; COMPUTE_PGM_RSRC2:TGID_X_EN: 1
; COMPUTE_PGM_RSRC2:TGID_Y_EN: 0
; COMPUTE_PGM_RSRC2:TGID_Z_EN: 0
; COMPUTE_PGM_RSRC2:TIDIG_COMP_CNT: 0
	.section	.text._ZN7rocprim17ROCPRIM_400000_NS6detail17trampoline_kernelINS0_14default_configENS1_25partition_config_selectorILNS1_17partition_subalgoE6EiNS0_10empty_typeEbEEZZNS1_14partition_implILS5_6ELb0ES3_mN6thrust23THRUST_200600_302600_NS6detail15normal_iteratorINSA_10device_ptrIiEEEEPS6_SG_NS0_5tupleIJSF_S6_EEENSH_IJSG_SG_EEES6_PlJNSB_9not_fun_tI7is_trueIiEEEEEE10hipError_tPvRmT3_T4_T5_T6_T7_T9_mT8_P12ihipStream_tbDpT10_ENKUlT_T0_E_clISt17integral_constantIbLb1EES18_EEDaS13_S14_EUlS13_E_NS1_11comp_targetILNS1_3genE2ELNS1_11target_archE906ELNS1_3gpuE6ELNS1_3repE0EEENS1_30default_config_static_selectorELNS0_4arch9wavefront6targetE0EEEvT1_,"axG",@progbits,_ZN7rocprim17ROCPRIM_400000_NS6detail17trampoline_kernelINS0_14default_configENS1_25partition_config_selectorILNS1_17partition_subalgoE6EiNS0_10empty_typeEbEEZZNS1_14partition_implILS5_6ELb0ES3_mN6thrust23THRUST_200600_302600_NS6detail15normal_iteratorINSA_10device_ptrIiEEEEPS6_SG_NS0_5tupleIJSF_S6_EEENSH_IJSG_SG_EEES6_PlJNSB_9not_fun_tI7is_trueIiEEEEEE10hipError_tPvRmT3_T4_T5_T6_T7_T9_mT8_P12ihipStream_tbDpT10_ENKUlT_T0_E_clISt17integral_constantIbLb1EES18_EEDaS13_S14_EUlS13_E_NS1_11comp_targetILNS1_3genE2ELNS1_11target_archE906ELNS1_3gpuE6ELNS1_3repE0EEENS1_30default_config_static_selectorELNS0_4arch9wavefront6targetE0EEEvT1_,comdat
	.protected	_ZN7rocprim17ROCPRIM_400000_NS6detail17trampoline_kernelINS0_14default_configENS1_25partition_config_selectorILNS1_17partition_subalgoE6EiNS0_10empty_typeEbEEZZNS1_14partition_implILS5_6ELb0ES3_mN6thrust23THRUST_200600_302600_NS6detail15normal_iteratorINSA_10device_ptrIiEEEEPS6_SG_NS0_5tupleIJSF_S6_EEENSH_IJSG_SG_EEES6_PlJNSB_9not_fun_tI7is_trueIiEEEEEE10hipError_tPvRmT3_T4_T5_T6_T7_T9_mT8_P12ihipStream_tbDpT10_ENKUlT_T0_E_clISt17integral_constantIbLb1EES18_EEDaS13_S14_EUlS13_E_NS1_11comp_targetILNS1_3genE2ELNS1_11target_archE906ELNS1_3gpuE6ELNS1_3repE0EEENS1_30default_config_static_selectorELNS0_4arch9wavefront6targetE0EEEvT1_ ; -- Begin function _ZN7rocprim17ROCPRIM_400000_NS6detail17trampoline_kernelINS0_14default_configENS1_25partition_config_selectorILNS1_17partition_subalgoE6EiNS0_10empty_typeEbEEZZNS1_14partition_implILS5_6ELb0ES3_mN6thrust23THRUST_200600_302600_NS6detail15normal_iteratorINSA_10device_ptrIiEEEEPS6_SG_NS0_5tupleIJSF_S6_EEENSH_IJSG_SG_EEES6_PlJNSB_9not_fun_tI7is_trueIiEEEEEE10hipError_tPvRmT3_T4_T5_T6_T7_T9_mT8_P12ihipStream_tbDpT10_ENKUlT_T0_E_clISt17integral_constantIbLb1EES18_EEDaS13_S14_EUlS13_E_NS1_11comp_targetILNS1_3genE2ELNS1_11target_archE906ELNS1_3gpuE6ELNS1_3repE0EEENS1_30default_config_static_selectorELNS0_4arch9wavefront6targetE0EEEvT1_
	.globl	_ZN7rocprim17ROCPRIM_400000_NS6detail17trampoline_kernelINS0_14default_configENS1_25partition_config_selectorILNS1_17partition_subalgoE6EiNS0_10empty_typeEbEEZZNS1_14partition_implILS5_6ELb0ES3_mN6thrust23THRUST_200600_302600_NS6detail15normal_iteratorINSA_10device_ptrIiEEEEPS6_SG_NS0_5tupleIJSF_S6_EEENSH_IJSG_SG_EEES6_PlJNSB_9not_fun_tI7is_trueIiEEEEEE10hipError_tPvRmT3_T4_T5_T6_T7_T9_mT8_P12ihipStream_tbDpT10_ENKUlT_T0_E_clISt17integral_constantIbLb1EES18_EEDaS13_S14_EUlS13_E_NS1_11comp_targetILNS1_3genE2ELNS1_11target_archE906ELNS1_3gpuE6ELNS1_3repE0EEENS1_30default_config_static_selectorELNS0_4arch9wavefront6targetE0EEEvT1_
	.p2align	8
	.type	_ZN7rocprim17ROCPRIM_400000_NS6detail17trampoline_kernelINS0_14default_configENS1_25partition_config_selectorILNS1_17partition_subalgoE6EiNS0_10empty_typeEbEEZZNS1_14partition_implILS5_6ELb0ES3_mN6thrust23THRUST_200600_302600_NS6detail15normal_iteratorINSA_10device_ptrIiEEEEPS6_SG_NS0_5tupleIJSF_S6_EEENSH_IJSG_SG_EEES6_PlJNSB_9not_fun_tI7is_trueIiEEEEEE10hipError_tPvRmT3_T4_T5_T6_T7_T9_mT8_P12ihipStream_tbDpT10_ENKUlT_T0_E_clISt17integral_constantIbLb1EES18_EEDaS13_S14_EUlS13_E_NS1_11comp_targetILNS1_3genE2ELNS1_11target_archE906ELNS1_3gpuE6ELNS1_3repE0EEENS1_30default_config_static_selectorELNS0_4arch9wavefront6targetE0EEEvT1_,@function
_ZN7rocprim17ROCPRIM_400000_NS6detail17trampoline_kernelINS0_14default_configENS1_25partition_config_selectorILNS1_17partition_subalgoE6EiNS0_10empty_typeEbEEZZNS1_14partition_implILS5_6ELb0ES3_mN6thrust23THRUST_200600_302600_NS6detail15normal_iteratorINSA_10device_ptrIiEEEEPS6_SG_NS0_5tupleIJSF_S6_EEENSH_IJSG_SG_EEES6_PlJNSB_9not_fun_tI7is_trueIiEEEEEE10hipError_tPvRmT3_T4_T5_T6_T7_T9_mT8_P12ihipStream_tbDpT10_ENKUlT_T0_E_clISt17integral_constantIbLb1EES18_EEDaS13_S14_EUlS13_E_NS1_11comp_targetILNS1_3genE2ELNS1_11target_archE906ELNS1_3gpuE6ELNS1_3repE0EEENS1_30default_config_static_selectorELNS0_4arch9wavefront6targetE0EEEvT1_: ; @_ZN7rocprim17ROCPRIM_400000_NS6detail17trampoline_kernelINS0_14default_configENS1_25partition_config_selectorILNS1_17partition_subalgoE6EiNS0_10empty_typeEbEEZZNS1_14partition_implILS5_6ELb0ES3_mN6thrust23THRUST_200600_302600_NS6detail15normal_iteratorINSA_10device_ptrIiEEEEPS6_SG_NS0_5tupleIJSF_S6_EEENSH_IJSG_SG_EEES6_PlJNSB_9not_fun_tI7is_trueIiEEEEEE10hipError_tPvRmT3_T4_T5_T6_T7_T9_mT8_P12ihipStream_tbDpT10_ENKUlT_T0_E_clISt17integral_constantIbLb1EES18_EEDaS13_S14_EUlS13_E_NS1_11comp_targetILNS1_3genE2ELNS1_11target_archE906ELNS1_3gpuE6ELNS1_3repE0EEENS1_30default_config_static_selectorELNS0_4arch9wavefront6targetE0EEEvT1_
; %bb.0:
	.section	.rodata,"a",@progbits
	.p2align	6, 0x0
	.amdhsa_kernel _ZN7rocprim17ROCPRIM_400000_NS6detail17trampoline_kernelINS0_14default_configENS1_25partition_config_selectorILNS1_17partition_subalgoE6EiNS0_10empty_typeEbEEZZNS1_14partition_implILS5_6ELb0ES3_mN6thrust23THRUST_200600_302600_NS6detail15normal_iteratorINSA_10device_ptrIiEEEEPS6_SG_NS0_5tupleIJSF_S6_EEENSH_IJSG_SG_EEES6_PlJNSB_9not_fun_tI7is_trueIiEEEEEE10hipError_tPvRmT3_T4_T5_T6_T7_T9_mT8_P12ihipStream_tbDpT10_ENKUlT_T0_E_clISt17integral_constantIbLb1EES18_EEDaS13_S14_EUlS13_E_NS1_11comp_targetILNS1_3genE2ELNS1_11target_archE906ELNS1_3gpuE6ELNS1_3repE0EEENS1_30default_config_static_selectorELNS0_4arch9wavefront6targetE0EEEvT1_
		.amdhsa_group_segment_fixed_size 0
		.amdhsa_private_segment_fixed_size 0
		.amdhsa_kernarg_size 128
		.amdhsa_user_sgpr_count 2
		.amdhsa_user_sgpr_dispatch_ptr 0
		.amdhsa_user_sgpr_queue_ptr 0
		.amdhsa_user_sgpr_kernarg_segment_ptr 1
		.amdhsa_user_sgpr_dispatch_id 0
		.amdhsa_user_sgpr_private_segment_size 0
		.amdhsa_wavefront_size32 1
		.amdhsa_uses_dynamic_stack 0
		.amdhsa_enable_private_segment 0
		.amdhsa_system_sgpr_workgroup_id_x 1
		.amdhsa_system_sgpr_workgroup_id_y 0
		.amdhsa_system_sgpr_workgroup_id_z 0
		.amdhsa_system_sgpr_workgroup_info 0
		.amdhsa_system_vgpr_workitem_id 0
		.amdhsa_next_free_vgpr 1
		.amdhsa_next_free_sgpr 1
		.amdhsa_reserve_vcc 0
		.amdhsa_float_round_mode_32 0
		.amdhsa_float_round_mode_16_64 0
		.amdhsa_float_denorm_mode_32 3
		.amdhsa_float_denorm_mode_16_64 3
		.amdhsa_fp16_overflow 0
		.amdhsa_workgroup_processor_mode 1
		.amdhsa_memory_ordered 1
		.amdhsa_forward_progress 1
		.amdhsa_inst_pref_size 0
		.amdhsa_round_robin_scheduling 0
		.amdhsa_exception_fp_ieee_invalid_op 0
		.amdhsa_exception_fp_denorm_src 0
		.amdhsa_exception_fp_ieee_div_zero 0
		.amdhsa_exception_fp_ieee_overflow 0
		.amdhsa_exception_fp_ieee_underflow 0
		.amdhsa_exception_fp_ieee_inexact 0
		.amdhsa_exception_int_div_zero 0
	.end_amdhsa_kernel
	.section	.text._ZN7rocprim17ROCPRIM_400000_NS6detail17trampoline_kernelINS0_14default_configENS1_25partition_config_selectorILNS1_17partition_subalgoE6EiNS0_10empty_typeEbEEZZNS1_14partition_implILS5_6ELb0ES3_mN6thrust23THRUST_200600_302600_NS6detail15normal_iteratorINSA_10device_ptrIiEEEEPS6_SG_NS0_5tupleIJSF_S6_EEENSH_IJSG_SG_EEES6_PlJNSB_9not_fun_tI7is_trueIiEEEEEE10hipError_tPvRmT3_T4_T5_T6_T7_T9_mT8_P12ihipStream_tbDpT10_ENKUlT_T0_E_clISt17integral_constantIbLb1EES18_EEDaS13_S14_EUlS13_E_NS1_11comp_targetILNS1_3genE2ELNS1_11target_archE906ELNS1_3gpuE6ELNS1_3repE0EEENS1_30default_config_static_selectorELNS0_4arch9wavefront6targetE0EEEvT1_,"axG",@progbits,_ZN7rocprim17ROCPRIM_400000_NS6detail17trampoline_kernelINS0_14default_configENS1_25partition_config_selectorILNS1_17partition_subalgoE6EiNS0_10empty_typeEbEEZZNS1_14partition_implILS5_6ELb0ES3_mN6thrust23THRUST_200600_302600_NS6detail15normal_iteratorINSA_10device_ptrIiEEEEPS6_SG_NS0_5tupleIJSF_S6_EEENSH_IJSG_SG_EEES6_PlJNSB_9not_fun_tI7is_trueIiEEEEEE10hipError_tPvRmT3_T4_T5_T6_T7_T9_mT8_P12ihipStream_tbDpT10_ENKUlT_T0_E_clISt17integral_constantIbLb1EES18_EEDaS13_S14_EUlS13_E_NS1_11comp_targetILNS1_3genE2ELNS1_11target_archE906ELNS1_3gpuE6ELNS1_3repE0EEENS1_30default_config_static_selectorELNS0_4arch9wavefront6targetE0EEEvT1_,comdat
.Lfunc_end1249:
	.size	_ZN7rocprim17ROCPRIM_400000_NS6detail17trampoline_kernelINS0_14default_configENS1_25partition_config_selectorILNS1_17partition_subalgoE6EiNS0_10empty_typeEbEEZZNS1_14partition_implILS5_6ELb0ES3_mN6thrust23THRUST_200600_302600_NS6detail15normal_iteratorINSA_10device_ptrIiEEEEPS6_SG_NS0_5tupleIJSF_S6_EEENSH_IJSG_SG_EEES6_PlJNSB_9not_fun_tI7is_trueIiEEEEEE10hipError_tPvRmT3_T4_T5_T6_T7_T9_mT8_P12ihipStream_tbDpT10_ENKUlT_T0_E_clISt17integral_constantIbLb1EES18_EEDaS13_S14_EUlS13_E_NS1_11comp_targetILNS1_3genE2ELNS1_11target_archE906ELNS1_3gpuE6ELNS1_3repE0EEENS1_30default_config_static_selectorELNS0_4arch9wavefront6targetE0EEEvT1_, .Lfunc_end1249-_ZN7rocprim17ROCPRIM_400000_NS6detail17trampoline_kernelINS0_14default_configENS1_25partition_config_selectorILNS1_17partition_subalgoE6EiNS0_10empty_typeEbEEZZNS1_14partition_implILS5_6ELb0ES3_mN6thrust23THRUST_200600_302600_NS6detail15normal_iteratorINSA_10device_ptrIiEEEEPS6_SG_NS0_5tupleIJSF_S6_EEENSH_IJSG_SG_EEES6_PlJNSB_9not_fun_tI7is_trueIiEEEEEE10hipError_tPvRmT3_T4_T5_T6_T7_T9_mT8_P12ihipStream_tbDpT10_ENKUlT_T0_E_clISt17integral_constantIbLb1EES18_EEDaS13_S14_EUlS13_E_NS1_11comp_targetILNS1_3genE2ELNS1_11target_archE906ELNS1_3gpuE6ELNS1_3repE0EEENS1_30default_config_static_selectorELNS0_4arch9wavefront6targetE0EEEvT1_
                                        ; -- End function
	.set _ZN7rocprim17ROCPRIM_400000_NS6detail17trampoline_kernelINS0_14default_configENS1_25partition_config_selectorILNS1_17partition_subalgoE6EiNS0_10empty_typeEbEEZZNS1_14partition_implILS5_6ELb0ES3_mN6thrust23THRUST_200600_302600_NS6detail15normal_iteratorINSA_10device_ptrIiEEEEPS6_SG_NS0_5tupleIJSF_S6_EEENSH_IJSG_SG_EEES6_PlJNSB_9not_fun_tI7is_trueIiEEEEEE10hipError_tPvRmT3_T4_T5_T6_T7_T9_mT8_P12ihipStream_tbDpT10_ENKUlT_T0_E_clISt17integral_constantIbLb1EES18_EEDaS13_S14_EUlS13_E_NS1_11comp_targetILNS1_3genE2ELNS1_11target_archE906ELNS1_3gpuE6ELNS1_3repE0EEENS1_30default_config_static_selectorELNS0_4arch9wavefront6targetE0EEEvT1_.num_vgpr, 0
	.set _ZN7rocprim17ROCPRIM_400000_NS6detail17trampoline_kernelINS0_14default_configENS1_25partition_config_selectorILNS1_17partition_subalgoE6EiNS0_10empty_typeEbEEZZNS1_14partition_implILS5_6ELb0ES3_mN6thrust23THRUST_200600_302600_NS6detail15normal_iteratorINSA_10device_ptrIiEEEEPS6_SG_NS0_5tupleIJSF_S6_EEENSH_IJSG_SG_EEES6_PlJNSB_9not_fun_tI7is_trueIiEEEEEE10hipError_tPvRmT3_T4_T5_T6_T7_T9_mT8_P12ihipStream_tbDpT10_ENKUlT_T0_E_clISt17integral_constantIbLb1EES18_EEDaS13_S14_EUlS13_E_NS1_11comp_targetILNS1_3genE2ELNS1_11target_archE906ELNS1_3gpuE6ELNS1_3repE0EEENS1_30default_config_static_selectorELNS0_4arch9wavefront6targetE0EEEvT1_.num_agpr, 0
	.set _ZN7rocprim17ROCPRIM_400000_NS6detail17trampoline_kernelINS0_14default_configENS1_25partition_config_selectorILNS1_17partition_subalgoE6EiNS0_10empty_typeEbEEZZNS1_14partition_implILS5_6ELb0ES3_mN6thrust23THRUST_200600_302600_NS6detail15normal_iteratorINSA_10device_ptrIiEEEEPS6_SG_NS0_5tupleIJSF_S6_EEENSH_IJSG_SG_EEES6_PlJNSB_9not_fun_tI7is_trueIiEEEEEE10hipError_tPvRmT3_T4_T5_T6_T7_T9_mT8_P12ihipStream_tbDpT10_ENKUlT_T0_E_clISt17integral_constantIbLb1EES18_EEDaS13_S14_EUlS13_E_NS1_11comp_targetILNS1_3genE2ELNS1_11target_archE906ELNS1_3gpuE6ELNS1_3repE0EEENS1_30default_config_static_selectorELNS0_4arch9wavefront6targetE0EEEvT1_.numbered_sgpr, 0
	.set _ZN7rocprim17ROCPRIM_400000_NS6detail17trampoline_kernelINS0_14default_configENS1_25partition_config_selectorILNS1_17partition_subalgoE6EiNS0_10empty_typeEbEEZZNS1_14partition_implILS5_6ELb0ES3_mN6thrust23THRUST_200600_302600_NS6detail15normal_iteratorINSA_10device_ptrIiEEEEPS6_SG_NS0_5tupleIJSF_S6_EEENSH_IJSG_SG_EEES6_PlJNSB_9not_fun_tI7is_trueIiEEEEEE10hipError_tPvRmT3_T4_T5_T6_T7_T9_mT8_P12ihipStream_tbDpT10_ENKUlT_T0_E_clISt17integral_constantIbLb1EES18_EEDaS13_S14_EUlS13_E_NS1_11comp_targetILNS1_3genE2ELNS1_11target_archE906ELNS1_3gpuE6ELNS1_3repE0EEENS1_30default_config_static_selectorELNS0_4arch9wavefront6targetE0EEEvT1_.num_named_barrier, 0
	.set _ZN7rocprim17ROCPRIM_400000_NS6detail17trampoline_kernelINS0_14default_configENS1_25partition_config_selectorILNS1_17partition_subalgoE6EiNS0_10empty_typeEbEEZZNS1_14partition_implILS5_6ELb0ES3_mN6thrust23THRUST_200600_302600_NS6detail15normal_iteratorINSA_10device_ptrIiEEEEPS6_SG_NS0_5tupleIJSF_S6_EEENSH_IJSG_SG_EEES6_PlJNSB_9not_fun_tI7is_trueIiEEEEEE10hipError_tPvRmT3_T4_T5_T6_T7_T9_mT8_P12ihipStream_tbDpT10_ENKUlT_T0_E_clISt17integral_constantIbLb1EES18_EEDaS13_S14_EUlS13_E_NS1_11comp_targetILNS1_3genE2ELNS1_11target_archE906ELNS1_3gpuE6ELNS1_3repE0EEENS1_30default_config_static_selectorELNS0_4arch9wavefront6targetE0EEEvT1_.private_seg_size, 0
	.set _ZN7rocprim17ROCPRIM_400000_NS6detail17trampoline_kernelINS0_14default_configENS1_25partition_config_selectorILNS1_17partition_subalgoE6EiNS0_10empty_typeEbEEZZNS1_14partition_implILS5_6ELb0ES3_mN6thrust23THRUST_200600_302600_NS6detail15normal_iteratorINSA_10device_ptrIiEEEEPS6_SG_NS0_5tupleIJSF_S6_EEENSH_IJSG_SG_EEES6_PlJNSB_9not_fun_tI7is_trueIiEEEEEE10hipError_tPvRmT3_T4_T5_T6_T7_T9_mT8_P12ihipStream_tbDpT10_ENKUlT_T0_E_clISt17integral_constantIbLb1EES18_EEDaS13_S14_EUlS13_E_NS1_11comp_targetILNS1_3genE2ELNS1_11target_archE906ELNS1_3gpuE6ELNS1_3repE0EEENS1_30default_config_static_selectorELNS0_4arch9wavefront6targetE0EEEvT1_.uses_vcc, 0
	.set _ZN7rocprim17ROCPRIM_400000_NS6detail17trampoline_kernelINS0_14default_configENS1_25partition_config_selectorILNS1_17partition_subalgoE6EiNS0_10empty_typeEbEEZZNS1_14partition_implILS5_6ELb0ES3_mN6thrust23THRUST_200600_302600_NS6detail15normal_iteratorINSA_10device_ptrIiEEEEPS6_SG_NS0_5tupleIJSF_S6_EEENSH_IJSG_SG_EEES6_PlJNSB_9not_fun_tI7is_trueIiEEEEEE10hipError_tPvRmT3_T4_T5_T6_T7_T9_mT8_P12ihipStream_tbDpT10_ENKUlT_T0_E_clISt17integral_constantIbLb1EES18_EEDaS13_S14_EUlS13_E_NS1_11comp_targetILNS1_3genE2ELNS1_11target_archE906ELNS1_3gpuE6ELNS1_3repE0EEENS1_30default_config_static_selectorELNS0_4arch9wavefront6targetE0EEEvT1_.uses_flat_scratch, 0
	.set _ZN7rocprim17ROCPRIM_400000_NS6detail17trampoline_kernelINS0_14default_configENS1_25partition_config_selectorILNS1_17partition_subalgoE6EiNS0_10empty_typeEbEEZZNS1_14partition_implILS5_6ELb0ES3_mN6thrust23THRUST_200600_302600_NS6detail15normal_iteratorINSA_10device_ptrIiEEEEPS6_SG_NS0_5tupleIJSF_S6_EEENSH_IJSG_SG_EEES6_PlJNSB_9not_fun_tI7is_trueIiEEEEEE10hipError_tPvRmT3_T4_T5_T6_T7_T9_mT8_P12ihipStream_tbDpT10_ENKUlT_T0_E_clISt17integral_constantIbLb1EES18_EEDaS13_S14_EUlS13_E_NS1_11comp_targetILNS1_3genE2ELNS1_11target_archE906ELNS1_3gpuE6ELNS1_3repE0EEENS1_30default_config_static_selectorELNS0_4arch9wavefront6targetE0EEEvT1_.has_dyn_sized_stack, 0
	.set _ZN7rocprim17ROCPRIM_400000_NS6detail17trampoline_kernelINS0_14default_configENS1_25partition_config_selectorILNS1_17partition_subalgoE6EiNS0_10empty_typeEbEEZZNS1_14partition_implILS5_6ELb0ES3_mN6thrust23THRUST_200600_302600_NS6detail15normal_iteratorINSA_10device_ptrIiEEEEPS6_SG_NS0_5tupleIJSF_S6_EEENSH_IJSG_SG_EEES6_PlJNSB_9not_fun_tI7is_trueIiEEEEEE10hipError_tPvRmT3_T4_T5_T6_T7_T9_mT8_P12ihipStream_tbDpT10_ENKUlT_T0_E_clISt17integral_constantIbLb1EES18_EEDaS13_S14_EUlS13_E_NS1_11comp_targetILNS1_3genE2ELNS1_11target_archE906ELNS1_3gpuE6ELNS1_3repE0EEENS1_30default_config_static_selectorELNS0_4arch9wavefront6targetE0EEEvT1_.has_recursion, 0
	.set _ZN7rocprim17ROCPRIM_400000_NS6detail17trampoline_kernelINS0_14default_configENS1_25partition_config_selectorILNS1_17partition_subalgoE6EiNS0_10empty_typeEbEEZZNS1_14partition_implILS5_6ELb0ES3_mN6thrust23THRUST_200600_302600_NS6detail15normal_iteratorINSA_10device_ptrIiEEEEPS6_SG_NS0_5tupleIJSF_S6_EEENSH_IJSG_SG_EEES6_PlJNSB_9not_fun_tI7is_trueIiEEEEEE10hipError_tPvRmT3_T4_T5_T6_T7_T9_mT8_P12ihipStream_tbDpT10_ENKUlT_T0_E_clISt17integral_constantIbLb1EES18_EEDaS13_S14_EUlS13_E_NS1_11comp_targetILNS1_3genE2ELNS1_11target_archE906ELNS1_3gpuE6ELNS1_3repE0EEENS1_30default_config_static_selectorELNS0_4arch9wavefront6targetE0EEEvT1_.has_indirect_call, 0
	.section	.AMDGPU.csdata,"",@progbits
; Kernel info:
; codeLenInByte = 0
; TotalNumSgprs: 0
; NumVgprs: 0
; ScratchSize: 0
; MemoryBound: 0
; FloatMode: 240
; IeeeMode: 1
; LDSByteSize: 0 bytes/workgroup (compile time only)
; SGPRBlocks: 0
; VGPRBlocks: 0
; NumSGPRsForWavesPerEU: 1
; NumVGPRsForWavesPerEU: 1
; Occupancy: 16
; WaveLimiterHint : 0
; COMPUTE_PGM_RSRC2:SCRATCH_EN: 0
; COMPUTE_PGM_RSRC2:USER_SGPR: 2
; COMPUTE_PGM_RSRC2:TRAP_HANDLER: 0
; COMPUTE_PGM_RSRC2:TGID_X_EN: 1
; COMPUTE_PGM_RSRC2:TGID_Y_EN: 0
; COMPUTE_PGM_RSRC2:TGID_Z_EN: 0
; COMPUTE_PGM_RSRC2:TIDIG_COMP_CNT: 0
	.section	.text._ZN7rocprim17ROCPRIM_400000_NS6detail17trampoline_kernelINS0_14default_configENS1_25partition_config_selectorILNS1_17partition_subalgoE6EiNS0_10empty_typeEbEEZZNS1_14partition_implILS5_6ELb0ES3_mN6thrust23THRUST_200600_302600_NS6detail15normal_iteratorINSA_10device_ptrIiEEEEPS6_SG_NS0_5tupleIJSF_S6_EEENSH_IJSG_SG_EEES6_PlJNSB_9not_fun_tI7is_trueIiEEEEEE10hipError_tPvRmT3_T4_T5_T6_T7_T9_mT8_P12ihipStream_tbDpT10_ENKUlT_T0_E_clISt17integral_constantIbLb1EES18_EEDaS13_S14_EUlS13_E_NS1_11comp_targetILNS1_3genE10ELNS1_11target_archE1200ELNS1_3gpuE4ELNS1_3repE0EEENS1_30default_config_static_selectorELNS0_4arch9wavefront6targetE0EEEvT1_,"axG",@progbits,_ZN7rocprim17ROCPRIM_400000_NS6detail17trampoline_kernelINS0_14default_configENS1_25partition_config_selectorILNS1_17partition_subalgoE6EiNS0_10empty_typeEbEEZZNS1_14partition_implILS5_6ELb0ES3_mN6thrust23THRUST_200600_302600_NS6detail15normal_iteratorINSA_10device_ptrIiEEEEPS6_SG_NS0_5tupleIJSF_S6_EEENSH_IJSG_SG_EEES6_PlJNSB_9not_fun_tI7is_trueIiEEEEEE10hipError_tPvRmT3_T4_T5_T6_T7_T9_mT8_P12ihipStream_tbDpT10_ENKUlT_T0_E_clISt17integral_constantIbLb1EES18_EEDaS13_S14_EUlS13_E_NS1_11comp_targetILNS1_3genE10ELNS1_11target_archE1200ELNS1_3gpuE4ELNS1_3repE0EEENS1_30default_config_static_selectorELNS0_4arch9wavefront6targetE0EEEvT1_,comdat
	.protected	_ZN7rocprim17ROCPRIM_400000_NS6detail17trampoline_kernelINS0_14default_configENS1_25partition_config_selectorILNS1_17partition_subalgoE6EiNS0_10empty_typeEbEEZZNS1_14partition_implILS5_6ELb0ES3_mN6thrust23THRUST_200600_302600_NS6detail15normal_iteratorINSA_10device_ptrIiEEEEPS6_SG_NS0_5tupleIJSF_S6_EEENSH_IJSG_SG_EEES6_PlJNSB_9not_fun_tI7is_trueIiEEEEEE10hipError_tPvRmT3_T4_T5_T6_T7_T9_mT8_P12ihipStream_tbDpT10_ENKUlT_T0_E_clISt17integral_constantIbLb1EES18_EEDaS13_S14_EUlS13_E_NS1_11comp_targetILNS1_3genE10ELNS1_11target_archE1200ELNS1_3gpuE4ELNS1_3repE0EEENS1_30default_config_static_selectorELNS0_4arch9wavefront6targetE0EEEvT1_ ; -- Begin function _ZN7rocprim17ROCPRIM_400000_NS6detail17trampoline_kernelINS0_14default_configENS1_25partition_config_selectorILNS1_17partition_subalgoE6EiNS0_10empty_typeEbEEZZNS1_14partition_implILS5_6ELb0ES3_mN6thrust23THRUST_200600_302600_NS6detail15normal_iteratorINSA_10device_ptrIiEEEEPS6_SG_NS0_5tupleIJSF_S6_EEENSH_IJSG_SG_EEES6_PlJNSB_9not_fun_tI7is_trueIiEEEEEE10hipError_tPvRmT3_T4_T5_T6_T7_T9_mT8_P12ihipStream_tbDpT10_ENKUlT_T0_E_clISt17integral_constantIbLb1EES18_EEDaS13_S14_EUlS13_E_NS1_11comp_targetILNS1_3genE10ELNS1_11target_archE1200ELNS1_3gpuE4ELNS1_3repE0EEENS1_30default_config_static_selectorELNS0_4arch9wavefront6targetE0EEEvT1_
	.globl	_ZN7rocprim17ROCPRIM_400000_NS6detail17trampoline_kernelINS0_14default_configENS1_25partition_config_selectorILNS1_17partition_subalgoE6EiNS0_10empty_typeEbEEZZNS1_14partition_implILS5_6ELb0ES3_mN6thrust23THRUST_200600_302600_NS6detail15normal_iteratorINSA_10device_ptrIiEEEEPS6_SG_NS0_5tupleIJSF_S6_EEENSH_IJSG_SG_EEES6_PlJNSB_9not_fun_tI7is_trueIiEEEEEE10hipError_tPvRmT3_T4_T5_T6_T7_T9_mT8_P12ihipStream_tbDpT10_ENKUlT_T0_E_clISt17integral_constantIbLb1EES18_EEDaS13_S14_EUlS13_E_NS1_11comp_targetILNS1_3genE10ELNS1_11target_archE1200ELNS1_3gpuE4ELNS1_3repE0EEENS1_30default_config_static_selectorELNS0_4arch9wavefront6targetE0EEEvT1_
	.p2align	8
	.type	_ZN7rocprim17ROCPRIM_400000_NS6detail17trampoline_kernelINS0_14default_configENS1_25partition_config_selectorILNS1_17partition_subalgoE6EiNS0_10empty_typeEbEEZZNS1_14partition_implILS5_6ELb0ES3_mN6thrust23THRUST_200600_302600_NS6detail15normal_iteratorINSA_10device_ptrIiEEEEPS6_SG_NS0_5tupleIJSF_S6_EEENSH_IJSG_SG_EEES6_PlJNSB_9not_fun_tI7is_trueIiEEEEEE10hipError_tPvRmT3_T4_T5_T6_T7_T9_mT8_P12ihipStream_tbDpT10_ENKUlT_T0_E_clISt17integral_constantIbLb1EES18_EEDaS13_S14_EUlS13_E_NS1_11comp_targetILNS1_3genE10ELNS1_11target_archE1200ELNS1_3gpuE4ELNS1_3repE0EEENS1_30default_config_static_selectorELNS0_4arch9wavefront6targetE0EEEvT1_,@function
_ZN7rocprim17ROCPRIM_400000_NS6detail17trampoline_kernelINS0_14default_configENS1_25partition_config_selectorILNS1_17partition_subalgoE6EiNS0_10empty_typeEbEEZZNS1_14partition_implILS5_6ELb0ES3_mN6thrust23THRUST_200600_302600_NS6detail15normal_iteratorINSA_10device_ptrIiEEEEPS6_SG_NS0_5tupleIJSF_S6_EEENSH_IJSG_SG_EEES6_PlJNSB_9not_fun_tI7is_trueIiEEEEEE10hipError_tPvRmT3_T4_T5_T6_T7_T9_mT8_P12ihipStream_tbDpT10_ENKUlT_T0_E_clISt17integral_constantIbLb1EES18_EEDaS13_S14_EUlS13_E_NS1_11comp_targetILNS1_3genE10ELNS1_11target_archE1200ELNS1_3gpuE4ELNS1_3repE0EEENS1_30default_config_static_selectorELNS0_4arch9wavefront6targetE0EEEvT1_: ; @_ZN7rocprim17ROCPRIM_400000_NS6detail17trampoline_kernelINS0_14default_configENS1_25partition_config_selectorILNS1_17partition_subalgoE6EiNS0_10empty_typeEbEEZZNS1_14partition_implILS5_6ELb0ES3_mN6thrust23THRUST_200600_302600_NS6detail15normal_iteratorINSA_10device_ptrIiEEEEPS6_SG_NS0_5tupleIJSF_S6_EEENSH_IJSG_SG_EEES6_PlJNSB_9not_fun_tI7is_trueIiEEEEEE10hipError_tPvRmT3_T4_T5_T6_T7_T9_mT8_P12ihipStream_tbDpT10_ENKUlT_T0_E_clISt17integral_constantIbLb1EES18_EEDaS13_S14_EUlS13_E_NS1_11comp_targetILNS1_3genE10ELNS1_11target_archE1200ELNS1_3gpuE4ELNS1_3repE0EEENS1_30default_config_static_selectorELNS0_4arch9wavefront6targetE0EEEvT1_
; %bb.0:
	s_endpgm
	.section	.rodata,"a",@progbits
	.p2align	6, 0x0
	.amdhsa_kernel _ZN7rocprim17ROCPRIM_400000_NS6detail17trampoline_kernelINS0_14default_configENS1_25partition_config_selectorILNS1_17partition_subalgoE6EiNS0_10empty_typeEbEEZZNS1_14partition_implILS5_6ELb0ES3_mN6thrust23THRUST_200600_302600_NS6detail15normal_iteratorINSA_10device_ptrIiEEEEPS6_SG_NS0_5tupleIJSF_S6_EEENSH_IJSG_SG_EEES6_PlJNSB_9not_fun_tI7is_trueIiEEEEEE10hipError_tPvRmT3_T4_T5_T6_T7_T9_mT8_P12ihipStream_tbDpT10_ENKUlT_T0_E_clISt17integral_constantIbLb1EES18_EEDaS13_S14_EUlS13_E_NS1_11comp_targetILNS1_3genE10ELNS1_11target_archE1200ELNS1_3gpuE4ELNS1_3repE0EEENS1_30default_config_static_selectorELNS0_4arch9wavefront6targetE0EEEvT1_
		.amdhsa_group_segment_fixed_size 0
		.amdhsa_private_segment_fixed_size 0
		.amdhsa_kernarg_size 128
		.amdhsa_user_sgpr_count 2
		.amdhsa_user_sgpr_dispatch_ptr 0
		.amdhsa_user_sgpr_queue_ptr 0
		.amdhsa_user_sgpr_kernarg_segment_ptr 1
		.amdhsa_user_sgpr_dispatch_id 0
		.amdhsa_user_sgpr_private_segment_size 0
		.amdhsa_wavefront_size32 1
		.amdhsa_uses_dynamic_stack 0
		.amdhsa_enable_private_segment 0
		.amdhsa_system_sgpr_workgroup_id_x 1
		.amdhsa_system_sgpr_workgroup_id_y 0
		.amdhsa_system_sgpr_workgroup_id_z 0
		.amdhsa_system_sgpr_workgroup_info 0
		.amdhsa_system_vgpr_workitem_id 0
		.amdhsa_next_free_vgpr 1
		.amdhsa_next_free_sgpr 1
		.amdhsa_reserve_vcc 0
		.amdhsa_float_round_mode_32 0
		.amdhsa_float_round_mode_16_64 0
		.amdhsa_float_denorm_mode_32 3
		.amdhsa_float_denorm_mode_16_64 3
		.amdhsa_fp16_overflow 0
		.amdhsa_workgroup_processor_mode 1
		.amdhsa_memory_ordered 1
		.amdhsa_forward_progress 1
		.amdhsa_inst_pref_size 1
		.amdhsa_round_robin_scheduling 0
		.amdhsa_exception_fp_ieee_invalid_op 0
		.amdhsa_exception_fp_denorm_src 0
		.amdhsa_exception_fp_ieee_div_zero 0
		.amdhsa_exception_fp_ieee_overflow 0
		.amdhsa_exception_fp_ieee_underflow 0
		.amdhsa_exception_fp_ieee_inexact 0
		.amdhsa_exception_int_div_zero 0
	.end_amdhsa_kernel
	.section	.text._ZN7rocprim17ROCPRIM_400000_NS6detail17trampoline_kernelINS0_14default_configENS1_25partition_config_selectorILNS1_17partition_subalgoE6EiNS0_10empty_typeEbEEZZNS1_14partition_implILS5_6ELb0ES3_mN6thrust23THRUST_200600_302600_NS6detail15normal_iteratorINSA_10device_ptrIiEEEEPS6_SG_NS0_5tupleIJSF_S6_EEENSH_IJSG_SG_EEES6_PlJNSB_9not_fun_tI7is_trueIiEEEEEE10hipError_tPvRmT3_T4_T5_T6_T7_T9_mT8_P12ihipStream_tbDpT10_ENKUlT_T0_E_clISt17integral_constantIbLb1EES18_EEDaS13_S14_EUlS13_E_NS1_11comp_targetILNS1_3genE10ELNS1_11target_archE1200ELNS1_3gpuE4ELNS1_3repE0EEENS1_30default_config_static_selectorELNS0_4arch9wavefront6targetE0EEEvT1_,"axG",@progbits,_ZN7rocprim17ROCPRIM_400000_NS6detail17trampoline_kernelINS0_14default_configENS1_25partition_config_selectorILNS1_17partition_subalgoE6EiNS0_10empty_typeEbEEZZNS1_14partition_implILS5_6ELb0ES3_mN6thrust23THRUST_200600_302600_NS6detail15normal_iteratorINSA_10device_ptrIiEEEEPS6_SG_NS0_5tupleIJSF_S6_EEENSH_IJSG_SG_EEES6_PlJNSB_9not_fun_tI7is_trueIiEEEEEE10hipError_tPvRmT3_T4_T5_T6_T7_T9_mT8_P12ihipStream_tbDpT10_ENKUlT_T0_E_clISt17integral_constantIbLb1EES18_EEDaS13_S14_EUlS13_E_NS1_11comp_targetILNS1_3genE10ELNS1_11target_archE1200ELNS1_3gpuE4ELNS1_3repE0EEENS1_30default_config_static_selectorELNS0_4arch9wavefront6targetE0EEEvT1_,comdat
.Lfunc_end1250:
	.size	_ZN7rocprim17ROCPRIM_400000_NS6detail17trampoline_kernelINS0_14default_configENS1_25partition_config_selectorILNS1_17partition_subalgoE6EiNS0_10empty_typeEbEEZZNS1_14partition_implILS5_6ELb0ES3_mN6thrust23THRUST_200600_302600_NS6detail15normal_iteratorINSA_10device_ptrIiEEEEPS6_SG_NS0_5tupleIJSF_S6_EEENSH_IJSG_SG_EEES6_PlJNSB_9not_fun_tI7is_trueIiEEEEEE10hipError_tPvRmT3_T4_T5_T6_T7_T9_mT8_P12ihipStream_tbDpT10_ENKUlT_T0_E_clISt17integral_constantIbLb1EES18_EEDaS13_S14_EUlS13_E_NS1_11comp_targetILNS1_3genE10ELNS1_11target_archE1200ELNS1_3gpuE4ELNS1_3repE0EEENS1_30default_config_static_selectorELNS0_4arch9wavefront6targetE0EEEvT1_, .Lfunc_end1250-_ZN7rocprim17ROCPRIM_400000_NS6detail17trampoline_kernelINS0_14default_configENS1_25partition_config_selectorILNS1_17partition_subalgoE6EiNS0_10empty_typeEbEEZZNS1_14partition_implILS5_6ELb0ES3_mN6thrust23THRUST_200600_302600_NS6detail15normal_iteratorINSA_10device_ptrIiEEEEPS6_SG_NS0_5tupleIJSF_S6_EEENSH_IJSG_SG_EEES6_PlJNSB_9not_fun_tI7is_trueIiEEEEEE10hipError_tPvRmT3_T4_T5_T6_T7_T9_mT8_P12ihipStream_tbDpT10_ENKUlT_T0_E_clISt17integral_constantIbLb1EES18_EEDaS13_S14_EUlS13_E_NS1_11comp_targetILNS1_3genE10ELNS1_11target_archE1200ELNS1_3gpuE4ELNS1_3repE0EEENS1_30default_config_static_selectorELNS0_4arch9wavefront6targetE0EEEvT1_
                                        ; -- End function
	.set _ZN7rocprim17ROCPRIM_400000_NS6detail17trampoline_kernelINS0_14default_configENS1_25partition_config_selectorILNS1_17partition_subalgoE6EiNS0_10empty_typeEbEEZZNS1_14partition_implILS5_6ELb0ES3_mN6thrust23THRUST_200600_302600_NS6detail15normal_iteratorINSA_10device_ptrIiEEEEPS6_SG_NS0_5tupleIJSF_S6_EEENSH_IJSG_SG_EEES6_PlJNSB_9not_fun_tI7is_trueIiEEEEEE10hipError_tPvRmT3_T4_T5_T6_T7_T9_mT8_P12ihipStream_tbDpT10_ENKUlT_T0_E_clISt17integral_constantIbLb1EES18_EEDaS13_S14_EUlS13_E_NS1_11comp_targetILNS1_3genE10ELNS1_11target_archE1200ELNS1_3gpuE4ELNS1_3repE0EEENS1_30default_config_static_selectorELNS0_4arch9wavefront6targetE0EEEvT1_.num_vgpr, 0
	.set _ZN7rocprim17ROCPRIM_400000_NS6detail17trampoline_kernelINS0_14default_configENS1_25partition_config_selectorILNS1_17partition_subalgoE6EiNS0_10empty_typeEbEEZZNS1_14partition_implILS5_6ELb0ES3_mN6thrust23THRUST_200600_302600_NS6detail15normal_iteratorINSA_10device_ptrIiEEEEPS6_SG_NS0_5tupleIJSF_S6_EEENSH_IJSG_SG_EEES6_PlJNSB_9not_fun_tI7is_trueIiEEEEEE10hipError_tPvRmT3_T4_T5_T6_T7_T9_mT8_P12ihipStream_tbDpT10_ENKUlT_T0_E_clISt17integral_constantIbLb1EES18_EEDaS13_S14_EUlS13_E_NS1_11comp_targetILNS1_3genE10ELNS1_11target_archE1200ELNS1_3gpuE4ELNS1_3repE0EEENS1_30default_config_static_selectorELNS0_4arch9wavefront6targetE0EEEvT1_.num_agpr, 0
	.set _ZN7rocprim17ROCPRIM_400000_NS6detail17trampoline_kernelINS0_14default_configENS1_25partition_config_selectorILNS1_17partition_subalgoE6EiNS0_10empty_typeEbEEZZNS1_14partition_implILS5_6ELb0ES3_mN6thrust23THRUST_200600_302600_NS6detail15normal_iteratorINSA_10device_ptrIiEEEEPS6_SG_NS0_5tupleIJSF_S6_EEENSH_IJSG_SG_EEES6_PlJNSB_9not_fun_tI7is_trueIiEEEEEE10hipError_tPvRmT3_T4_T5_T6_T7_T9_mT8_P12ihipStream_tbDpT10_ENKUlT_T0_E_clISt17integral_constantIbLb1EES18_EEDaS13_S14_EUlS13_E_NS1_11comp_targetILNS1_3genE10ELNS1_11target_archE1200ELNS1_3gpuE4ELNS1_3repE0EEENS1_30default_config_static_selectorELNS0_4arch9wavefront6targetE0EEEvT1_.numbered_sgpr, 0
	.set _ZN7rocprim17ROCPRIM_400000_NS6detail17trampoline_kernelINS0_14default_configENS1_25partition_config_selectorILNS1_17partition_subalgoE6EiNS0_10empty_typeEbEEZZNS1_14partition_implILS5_6ELb0ES3_mN6thrust23THRUST_200600_302600_NS6detail15normal_iteratorINSA_10device_ptrIiEEEEPS6_SG_NS0_5tupleIJSF_S6_EEENSH_IJSG_SG_EEES6_PlJNSB_9not_fun_tI7is_trueIiEEEEEE10hipError_tPvRmT3_T4_T5_T6_T7_T9_mT8_P12ihipStream_tbDpT10_ENKUlT_T0_E_clISt17integral_constantIbLb1EES18_EEDaS13_S14_EUlS13_E_NS1_11comp_targetILNS1_3genE10ELNS1_11target_archE1200ELNS1_3gpuE4ELNS1_3repE0EEENS1_30default_config_static_selectorELNS0_4arch9wavefront6targetE0EEEvT1_.num_named_barrier, 0
	.set _ZN7rocprim17ROCPRIM_400000_NS6detail17trampoline_kernelINS0_14default_configENS1_25partition_config_selectorILNS1_17partition_subalgoE6EiNS0_10empty_typeEbEEZZNS1_14partition_implILS5_6ELb0ES3_mN6thrust23THRUST_200600_302600_NS6detail15normal_iteratorINSA_10device_ptrIiEEEEPS6_SG_NS0_5tupleIJSF_S6_EEENSH_IJSG_SG_EEES6_PlJNSB_9not_fun_tI7is_trueIiEEEEEE10hipError_tPvRmT3_T4_T5_T6_T7_T9_mT8_P12ihipStream_tbDpT10_ENKUlT_T0_E_clISt17integral_constantIbLb1EES18_EEDaS13_S14_EUlS13_E_NS1_11comp_targetILNS1_3genE10ELNS1_11target_archE1200ELNS1_3gpuE4ELNS1_3repE0EEENS1_30default_config_static_selectorELNS0_4arch9wavefront6targetE0EEEvT1_.private_seg_size, 0
	.set _ZN7rocprim17ROCPRIM_400000_NS6detail17trampoline_kernelINS0_14default_configENS1_25partition_config_selectorILNS1_17partition_subalgoE6EiNS0_10empty_typeEbEEZZNS1_14partition_implILS5_6ELb0ES3_mN6thrust23THRUST_200600_302600_NS6detail15normal_iteratorINSA_10device_ptrIiEEEEPS6_SG_NS0_5tupleIJSF_S6_EEENSH_IJSG_SG_EEES6_PlJNSB_9not_fun_tI7is_trueIiEEEEEE10hipError_tPvRmT3_T4_T5_T6_T7_T9_mT8_P12ihipStream_tbDpT10_ENKUlT_T0_E_clISt17integral_constantIbLb1EES18_EEDaS13_S14_EUlS13_E_NS1_11comp_targetILNS1_3genE10ELNS1_11target_archE1200ELNS1_3gpuE4ELNS1_3repE0EEENS1_30default_config_static_selectorELNS0_4arch9wavefront6targetE0EEEvT1_.uses_vcc, 0
	.set _ZN7rocprim17ROCPRIM_400000_NS6detail17trampoline_kernelINS0_14default_configENS1_25partition_config_selectorILNS1_17partition_subalgoE6EiNS0_10empty_typeEbEEZZNS1_14partition_implILS5_6ELb0ES3_mN6thrust23THRUST_200600_302600_NS6detail15normal_iteratorINSA_10device_ptrIiEEEEPS6_SG_NS0_5tupleIJSF_S6_EEENSH_IJSG_SG_EEES6_PlJNSB_9not_fun_tI7is_trueIiEEEEEE10hipError_tPvRmT3_T4_T5_T6_T7_T9_mT8_P12ihipStream_tbDpT10_ENKUlT_T0_E_clISt17integral_constantIbLb1EES18_EEDaS13_S14_EUlS13_E_NS1_11comp_targetILNS1_3genE10ELNS1_11target_archE1200ELNS1_3gpuE4ELNS1_3repE0EEENS1_30default_config_static_selectorELNS0_4arch9wavefront6targetE0EEEvT1_.uses_flat_scratch, 0
	.set _ZN7rocprim17ROCPRIM_400000_NS6detail17trampoline_kernelINS0_14default_configENS1_25partition_config_selectorILNS1_17partition_subalgoE6EiNS0_10empty_typeEbEEZZNS1_14partition_implILS5_6ELb0ES3_mN6thrust23THRUST_200600_302600_NS6detail15normal_iteratorINSA_10device_ptrIiEEEEPS6_SG_NS0_5tupleIJSF_S6_EEENSH_IJSG_SG_EEES6_PlJNSB_9not_fun_tI7is_trueIiEEEEEE10hipError_tPvRmT3_T4_T5_T6_T7_T9_mT8_P12ihipStream_tbDpT10_ENKUlT_T0_E_clISt17integral_constantIbLb1EES18_EEDaS13_S14_EUlS13_E_NS1_11comp_targetILNS1_3genE10ELNS1_11target_archE1200ELNS1_3gpuE4ELNS1_3repE0EEENS1_30default_config_static_selectorELNS0_4arch9wavefront6targetE0EEEvT1_.has_dyn_sized_stack, 0
	.set _ZN7rocprim17ROCPRIM_400000_NS6detail17trampoline_kernelINS0_14default_configENS1_25partition_config_selectorILNS1_17partition_subalgoE6EiNS0_10empty_typeEbEEZZNS1_14partition_implILS5_6ELb0ES3_mN6thrust23THRUST_200600_302600_NS6detail15normal_iteratorINSA_10device_ptrIiEEEEPS6_SG_NS0_5tupleIJSF_S6_EEENSH_IJSG_SG_EEES6_PlJNSB_9not_fun_tI7is_trueIiEEEEEE10hipError_tPvRmT3_T4_T5_T6_T7_T9_mT8_P12ihipStream_tbDpT10_ENKUlT_T0_E_clISt17integral_constantIbLb1EES18_EEDaS13_S14_EUlS13_E_NS1_11comp_targetILNS1_3genE10ELNS1_11target_archE1200ELNS1_3gpuE4ELNS1_3repE0EEENS1_30default_config_static_selectorELNS0_4arch9wavefront6targetE0EEEvT1_.has_recursion, 0
	.set _ZN7rocprim17ROCPRIM_400000_NS6detail17trampoline_kernelINS0_14default_configENS1_25partition_config_selectorILNS1_17partition_subalgoE6EiNS0_10empty_typeEbEEZZNS1_14partition_implILS5_6ELb0ES3_mN6thrust23THRUST_200600_302600_NS6detail15normal_iteratorINSA_10device_ptrIiEEEEPS6_SG_NS0_5tupleIJSF_S6_EEENSH_IJSG_SG_EEES6_PlJNSB_9not_fun_tI7is_trueIiEEEEEE10hipError_tPvRmT3_T4_T5_T6_T7_T9_mT8_P12ihipStream_tbDpT10_ENKUlT_T0_E_clISt17integral_constantIbLb1EES18_EEDaS13_S14_EUlS13_E_NS1_11comp_targetILNS1_3genE10ELNS1_11target_archE1200ELNS1_3gpuE4ELNS1_3repE0EEENS1_30default_config_static_selectorELNS0_4arch9wavefront6targetE0EEEvT1_.has_indirect_call, 0
	.section	.AMDGPU.csdata,"",@progbits
; Kernel info:
; codeLenInByte = 4
; TotalNumSgprs: 0
; NumVgprs: 0
; ScratchSize: 0
; MemoryBound: 0
; FloatMode: 240
; IeeeMode: 1
; LDSByteSize: 0 bytes/workgroup (compile time only)
; SGPRBlocks: 0
; VGPRBlocks: 0
; NumSGPRsForWavesPerEU: 1
; NumVGPRsForWavesPerEU: 1
; Occupancy: 16
; WaveLimiterHint : 0
; COMPUTE_PGM_RSRC2:SCRATCH_EN: 0
; COMPUTE_PGM_RSRC2:USER_SGPR: 2
; COMPUTE_PGM_RSRC2:TRAP_HANDLER: 0
; COMPUTE_PGM_RSRC2:TGID_X_EN: 1
; COMPUTE_PGM_RSRC2:TGID_Y_EN: 0
; COMPUTE_PGM_RSRC2:TGID_Z_EN: 0
; COMPUTE_PGM_RSRC2:TIDIG_COMP_CNT: 0
	.section	.text._ZN7rocprim17ROCPRIM_400000_NS6detail17trampoline_kernelINS0_14default_configENS1_25partition_config_selectorILNS1_17partition_subalgoE6EiNS0_10empty_typeEbEEZZNS1_14partition_implILS5_6ELb0ES3_mN6thrust23THRUST_200600_302600_NS6detail15normal_iteratorINSA_10device_ptrIiEEEEPS6_SG_NS0_5tupleIJSF_S6_EEENSH_IJSG_SG_EEES6_PlJNSB_9not_fun_tI7is_trueIiEEEEEE10hipError_tPvRmT3_T4_T5_T6_T7_T9_mT8_P12ihipStream_tbDpT10_ENKUlT_T0_E_clISt17integral_constantIbLb1EES18_EEDaS13_S14_EUlS13_E_NS1_11comp_targetILNS1_3genE9ELNS1_11target_archE1100ELNS1_3gpuE3ELNS1_3repE0EEENS1_30default_config_static_selectorELNS0_4arch9wavefront6targetE0EEEvT1_,"axG",@progbits,_ZN7rocprim17ROCPRIM_400000_NS6detail17trampoline_kernelINS0_14default_configENS1_25partition_config_selectorILNS1_17partition_subalgoE6EiNS0_10empty_typeEbEEZZNS1_14partition_implILS5_6ELb0ES3_mN6thrust23THRUST_200600_302600_NS6detail15normal_iteratorINSA_10device_ptrIiEEEEPS6_SG_NS0_5tupleIJSF_S6_EEENSH_IJSG_SG_EEES6_PlJNSB_9not_fun_tI7is_trueIiEEEEEE10hipError_tPvRmT3_T4_T5_T6_T7_T9_mT8_P12ihipStream_tbDpT10_ENKUlT_T0_E_clISt17integral_constantIbLb1EES18_EEDaS13_S14_EUlS13_E_NS1_11comp_targetILNS1_3genE9ELNS1_11target_archE1100ELNS1_3gpuE3ELNS1_3repE0EEENS1_30default_config_static_selectorELNS0_4arch9wavefront6targetE0EEEvT1_,comdat
	.protected	_ZN7rocprim17ROCPRIM_400000_NS6detail17trampoline_kernelINS0_14default_configENS1_25partition_config_selectorILNS1_17partition_subalgoE6EiNS0_10empty_typeEbEEZZNS1_14partition_implILS5_6ELb0ES3_mN6thrust23THRUST_200600_302600_NS6detail15normal_iteratorINSA_10device_ptrIiEEEEPS6_SG_NS0_5tupleIJSF_S6_EEENSH_IJSG_SG_EEES6_PlJNSB_9not_fun_tI7is_trueIiEEEEEE10hipError_tPvRmT3_T4_T5_T6_T7_T9_mT8_P12ihipStream_tbDpT10_ENKUlT_T0_E_clISt17integral_constantIbLb1EES18_EEDaS13_S14_EUlS13_E_NS1_11comp_targetILNS1_3genE9ELNS1_11target_archE1100ELNS1_3gpuE3ELNS1_3repE0EEENS1_30default_config_static_selectorELNS0_4arch9wavefront6targetE0EEEvT1_ ; -- Begin function _ZN7rocprim17ROCPRIM_400000_NS6detail17trampoline_kernelINS0_14default_configENS1_25partition_config_selectorILNS1_17partition_subalgoE6EiNS0_10empty_typeEbEEZZNS1_14partition_implILS5_6ELb0ES3_mN6thrust23THRUST_200600_302600_NS6detail15normal_iteratorINSA_10device_ptrIiEEEEPS6_SG_NS0_5tupleIJSF_S6_EEENSH_IJSG_SG_EEES6_PlJNSB_9not_fun_tI7is_trueIiEEEEEE10hipError_tPvRmT3_T4_T5_T6_T7_T9_mT8_P12ihipStream_tbDpT10_ENKUlT_T0_E_clISt17integral_constantIbLb1EES18_EEDaS13_S14_EUlS13_E_NS1_11comp_targetILNS1_3genE9ELNS1_11target_archE1100ELNS1_3gpuE3ELNS1_3repE0EEENS1_30default_config_static_selectorELNS0_4arch9wavefront6targetE0EEEvT1_
	.globl	_ZN7rocprim17ROCPRIM_400000_NS6detail17trampoline_kernelINS0_14default_configENS1_25partition_config_selectorILNS1_17partition_subalgoE6EiNS0_10empty_typeEbEEZZNS1_14partition_implILS5_6ELb0ES3_mN6thrust23THRUST_200600_302600_NS6detail15normal_iteratorINSA_10device_ptrIiEEEEPS6_SG_NS0_5tupleIJSF_S6_EEENSH_IJSG_SG_EEES6_PlJNSB_9not_fun_tI7is_trueIiEEEEEE10hipError_tPvRmT3_T4_T5_T6_T7_T9_mT8_P12ihipStream_tbDpT10_ENKUlT_T0_E_clISt17integral_constantIbLb1EES18_EEDaS13_S14_EUlS13_E_NS1_11comp_targetILNS1_3genE9ELNS1_11target_archE1100ELNS1_3gpuE3ELNS1_3repE0EEENS1_30default_config_static_selectorELNS0_4arch9wavefront6targetE0EEEvT1_
	.p2align	8
	.type	_ZN7rocprim17ROCPRIM_400000_NS6detail17trampoline_kernelINS0_14default_configENS1_25partition_config_selectorILNS1_17partition_subalgoE6EiNS0_10empty_typeEbEEZZNS1_14partition_implILS5_6ELb0ES3_mN6thrust23THRUST_200600_302600_NS6detail15normal_iteratorINSA_10device_ptrIiEEEEPS6_SG_NS0_5tupleIJSF_S6_EEENSH_IJSG_SG_EEES6_PlJNSB_9not_fun_tI7is_trueIiEEEEEE10hipError_tPvRmT3_T4_T5_T6_T7_T9_mT8_P12ihipStream_tbDpT10_ENKUlT_T0_E_clISt17integral_constantIbLb1EES18_EEDaS13_S14_EUlS13_E_NS1_11comp_targetILNS1_3genE9ELNS1_11target_archE1100ELNS1_3gpuE3ELNS1_3repE0EEENS1_30default_config_static_selectorELNS0_4arch9wavefront6targetE0EEEvT1_,@function
_ZN7rocprim17ROCPRIM_400000_NS6detail17trampoline_kernelINS0_14default_configENS1_25partition_config_selectorILNS1_17partition_subalgoE6EiNS0_10empty_typeEbEEZZNS1_14partition_implILS5_6ELb0ES3_mN6thrust23THRUST_200600_302600_NS6detail15normal_iteratorINSA_10device_ptrIiEEEEPS6_SG_NS0_5tupleIJSF_S6_EEENSH_IJSG_SG_EEES6_PlJNSB_9not_fun_tI7is_trueIiEEEEEE10hipError_tPvRmT3_T4_T5_T6_T7_T9_mT8_P12ihipStream_tbDpT10_ENKUlT_T0_E_clISt17integral_constantIbLb1EES18_EEDaS13_S14_EUlS13_E_NS1_11comp_targetILNS1_3genE9ELNS1_11target_archE1100ELNS1_3gpuE3ELNS1_3repE0EEENS1_30default_config_static_selectorELNS0_4arch9wavefront6targetE0EEEvT1_: ; @_ZN7rocprim17ROCPRIM_400000_NS6detail17trampoline_kernelINS0_14default_configENS1_25partition_config_selectorILNS1_17partition_subalgoE6EiNS0_10empty_typeEbEEZZNS1_14partition_implILS5_6ELb0ES3_mN6thrust23THRUST_200600_302600_NS6detail15normal_iteratorINSA_10device_ptrIiEEEEPS6_SG_NS0_5tupleIJSF_S6_EEENSH_IJSG_SG_EEES6_PlJNSB_9not_fun_tI7is_trueIiEEEEEE10hipError_tPvRmT3_T4_T5_T6_T7_T9_mT8_P12ihipStream_tbDpT10_ENKUlT_T0_E_clISt17integral_constantIbLb1EES18_EEDaS13_S14_EUlS13_E_NS1_11comp_targetILNS1_3genE9ELNS1_11target_archE1100ELNS1_3gpuE3ELNS1_3repE0EEENS1_30default_config_static_selectorELNS0_4arch9wavefront6targetE0EEEvT1_
; %bb.0:
	.section	.rodata,"a",@progbits
	.p2align	6, 0x0
	.amdhsa_kernel _ZN7rocprim17ROCPRIM_400000_NS6detail17trampoline_kernelINS0_14default_configENS1_25partition_config_selectorILNS1_17partition_subalgoE6EiNS0_10empty_typeEbEEZZNS1_14partition_implILS5_6ELb0ES3_mN6thrust23THRUST_200600_302600_NS6detail15normal_iteratorINSA_10device_ptrIiEEEEPS6_SG_NS0_5tupleIJSF_S6_EEENSH_IJSG_SG_EEES6_PlJNSB_9not_fun_tI7is_trueIiEEEEEE10hipError_tPvRmT3_T4_T5_T6_T7_T9_mT8_P12ihipStream_tbDpT10_ENKUlT_T0_E_clISt17integral_constantIbLb1EES18_EEDaS13_S14_EUlS13_E_NS1_11comp_targetILNS1_3genE9ELNS1_11target_archE1100ELNS1_3gpuE3ELNS1_3repE0EEENS1_30default_config_static_selectorELNS0_4arch9wavefront6targetE0EEEvT1_
		.amdhsa_group_segment_fixed_size 0
		.amdhsa_private_segment_fixed_size 0
		.amdhsa_kernarg_size 128
		.amdhsa_user_sgpr_count 2
		.amdhsa_user_sgpr_dispatch_ptr 0
		.amdhsa_user_sgpr_queue_ptr 0
		.amdhsa_user_sgpr_kernarg_segment_ptr 1
		.amdhsa_user_sgpr_dispatch_id 0
		.amdhsa_user_sgpr_private_segment_size 0
		.amdhsa_wavefront_size32 1
		.amdhsa_uses_dynamic_stack 0
		.amdhsa_enable_private_segment 0
		.amdhsa_system_sgpr_workgroup_id_x 1
		.amdhsa_system_sgpr_workgroup_id_y 0
		.amdhsa_system_sgpr_workgroup_id_z 0
		.amdhsa_system_sgpr_workgroup_info 0
		.amdhsa_system_vgpr_workitem_id 0
		.amdhsa_next_free_vgpr 1
		.amdhsa_next_free_sgpr 1
		.amdhsa_reserve_vcc 0
		.amdhsa_float_round_mode_32 0
		.amdhsa_float_round_mode_16_64 0
		.amdhsa_float_denorm_mode_32 3
		.amdhsa_float_denorm_mode_16_64 3
		.amdhsa_fp16_overflow 0
		.amdhsa_workgroup_processor_mode 1
		.amdhsa_memory_ordered 1
		.amdhsa_forward_progress 1
		.amdhsa_inst_pref_size 0
		.amdhsa_round_robin_scheduling 0
		.amdhsa_exception_fp_ieee_invalid_op 0
		.amdhsa_exception_fp_denorm_src 0
		.amdhsa_exception_fp_ieee_div_zero 0
		.amdhsa_exception_fp_ieee_overflow 0
		.amdhsa_exception_fp_ieee_underflow 0
		.amdhsa_exception_fp_ieee_inexact 0
		.amdhsa_exception_int_div_zero 0
	.end_amdhsa_kernel
	.section	.text._ZN7rocprim17ROCPRIM_400000_NS6detail17trampoline_kernelINS0_14default_configENS1_25partition_config_selectorILNS1_17partition_subalgoE6EiNS0_10empty_typeEbEEZZNS1_14partition_implILS5_6ELb0ES3_mN6thrust23THRUST_200600_302600_NS6detail15normal_iteratorINSA_10device_ptrIiEEEEPS6_SG_NS0_5tupleIJSF_S6_EEENSH_IJSG_SG_EEES6_PlJNSB_9not_fun_tI7is_trueIiEEEEEE10hipError_tPvRmT3_T4_T5_T6_T7_T9_mT8_P12ihipStream_tbDpT10_ENKUlT_T0_E_clISt17integral_constantIbLb1EES18_EEDaS13_S14_EUlS13_E_NS1_11comp_targetILNS1_3genE9ELNS1_11target_archE1100ELNS1_3gpuE3ELNS1_3repE0EEENS1_30default_config_static_selectorELNS0_4arch9wavefront6targetE0EEEvT1_,"axG",@progbits,_ZN7rocprim17ROCPRIM_400000_NS6detail17trampoline_kernelINS0_14default_configENS1_25partition_config_selectorILNS1_17partition_subalgoE6EiNS0_10empty_typeEbEEZZNS1_14partition_implILS5_6ELb0ES3_mN6thrust23THRUST_200600_302600_NS6detail15normal_iteratorINSA_10device_ptrIiEEEEPS6_SG_NS0_5tupleIJSF_S6_EEENSH_IJSG_SG_EEES6_PlJNSB_9not_fun_tI7is_trueIiEEEEEE10hipError_tPvRmT3_T4_T5_T6_T7_T9_mT8_P12ihipStream_tbDpT10_ENKUlT_T0_E_clISt17integral_constantIbLb1EES18_EEDaS13_S14_EUlS13_E_NS1_11comp_targetILNS1_3genE9ELNS1_11target_archE1100ELNS1_3gpuE3ELNS1_3repE0EEENS1_30default_config_static_selectorELNS0_4arch9wavefront6targetE0EEEvT1_,comdat
.Lfunc_end1251:
	.size	_ZN7rocprim17ROCPRIM_400000_NS6detail17trampoline_kernelINS0_14default_configENS1_25partition_config_selectorILNS1_17partition_subalgoE6EiNS0_10empty_typeEbEEZZNS1_14partition_implILS5_6ELb0ES3_mN6thrust23THRUST_200600_302600_NS6detail15normal_iteratorINSA_10device_ptrIiEEEEPS6_SG_NS0_5tupleIJSF_S6_EEENSH_IJSG_SG_EEES6_PlJNSB_9not_fun_tI7is_trueIiEEEEEE10hipError_tPvRmT3_T4_T5_T6_T7_T9_mT8_P12ihipStream_tbDpT10_ENKUlT_T0_E_clISt17integral_constantIbLb1EES18_EEDaS13_S14_EUlS13_E_NS1_11comp_targetILNS1_3genE9ELNS1_11target_archE1100ELNS1_3gpuE3ELNS1_3repE0EEENS1_30default_config_static_selectorELNS0_4arch9wavefront6targetE0EEEvT1_, .Lfunc_end1251-_ZN7rocprim17ROCPRIM_400000_NS6detail17trampoline_kernelINS0_14default_configENS1_25partition_config_selectorILNS1_17partition_subalgoE6EiNS0_10empty_typeEbEEZZNS1_14partition_implILS5_6ELb0ES3_mN6thrust23THRUST_200600_302600_NS6detail15normal_iteratorINSA_10device_ptrIiEEEEPS6_SG_NS0_5tupleIJSF_S6_EEENSH_IJSG_SG_EEES6_PlJNSB_9not_fun_tI7is_trueIiEEEEEE10hipError_tPvRmT3_T4_T5_T6_T7_T9_mT8_P12ihipStream_tbDpT10_ENKUlT_T0_E_clISt17integral_constantIbLb1EES18_EEDaS13_S14_EUlS13_E_NS1_11comp_targetILNS1_3genE9ELNS1_11target_archE1100ELNS1_3gpuE3ELNS1_3repE0EEENS1_30default_config_static_selectorELNS0_4arch9wavefront6targetE0EEEvT1_
                                        ; -- End function
	.set _ZN7rocprim17ROCPRIM_400000_NS6detail17trampoline_kernelINS0_14default_configENS1_25partition_config_selectorILNS1_17partition_subalgoE6EiNS0_10empty_typeEbEEZZNS1_14partition_implILS5_6ELb0ES3_mN6thrust23THRUST_200600_302600_NS6detail15normal_iteratorINSA_10device_ptrIiEEEEPS6_SG_NS0_5tupleIJSF_S6_EEENSH_IJSG_SG_EEES6_PlJNSB_9not_fun_tI7is_trueIiEEEEEE10hipError_tPvRmT3_T4_T5_T6_T7_T9_mT8_P12ihipStream_tbDpT10_ENKUlT_T0_E_clISt17integral_constantIbLb1EES18_EEDaS13_S14_EUlS13_E_NS1_11comp_targetILNS1_3genE9ELNS1_11target_archE1100ELNS1_3gpuE3ELNS1_3repE0EEENS1_30default_config_static_selectorELNS0_4arch9wavefront6targetE0EEEvT1_.num_vgpr, 0
	.set _ZN7rocprim17ROCPRIM_400000_NS6detail17trampoline_kernelINS0_14default_configENS1_25partition_config_selectorILNS1_17partition_subalgoE6EiNS0_10empty_typeEbEEZZNS1_14partition_implILS5_6ELb0ES3_mN6thrust23THRUST_200600_302600_NS6detail15normal_iteratorINSA_10device_ptrIiEEEEPS6_SG_NS0_5tupleIJSF_S6_EEENSH_IJSG_SG_EEES6_PlJNSB_9not_fun_tI7is_trueIiEEEEEE10hipError_tPvRmT3_T4_T5_T6_T7_T9_mT8_P12ihipStream_tbDpT10_ENKUlT_T0_E_clISt17integral_constantIbLb1EES18_EEDaS13_S14_EUlS13_E_NS1_11comp_targetILNS1_3genE9ELNS1_11target_archE1100ELNS1_3gpuE3ELNS1_3repE0EEENS1_30default_config_static_selectorELNS0_4arch9wavefront6targetE0EEEvT1_.num_agpr, 0
	.set _ZN7rocprim17ROCPRIM_400000_NS6detail17trampoline_kernelINS0_14default_configENS1_25partition_config_selectorILNS1_17partition_subalgoE6EiNS0_10empty_typeEbEEZZNS1_14partition_implILS5_6ELb0ES3_mN6thrust23THRUST_200600_302600_NS6detail15normal_iteratorINSA_10device_ptrIiEEEEPS6_SG_NS0_5tupleIJSF_S6_EEENSH_IJSG_SG_EEES6_PlJNSB_9not_fun_tI7is_trueIiEEEEEE10hipError_tPvRmT3_T4_T5_T6_T7_T9_mT8_P12ihipStream_tbDpT10_ENKUlT_T0_E_clISt17integral_constantIbLb1EES18_EEDaS13_S14_EUlS13_E_NS1_11comp_targetILNS1_3genE9ELNS1_11target_archE1100ELNS1_3gpuE3ELNS1_3repE0EEENS1_30default_config_static_selectorELNS0_4arch9wavefront6targetE0EEEvT1_.numbered_sgpr, 0
	.set _ZN7rocprim17ROCPRIM_400000_NS6detail17trampoline_kernelINS0_14default_configENS1_25partition_config_selectorILNS1_17partition_subalgoE6EiNS0_10empty_typeEbEEZZNS1_14partition_implILS5_6ELb0ES3_mN6thrust23THRUST_200600_302600_NS6detail15normal_iteratorINSA_10device_ptrIiEEEEPS6_SG_NS0_5tupleIJSF_S6_EEENSH_IJSG_SG_EEES6_PlJNSB_9not_fun_tI7is_trueIiEEEEEE10hipError_tPvRmT3_T4_T5_T6_T7_T9_mT8_P12ihipStream_tbDpT10_ENKUlT_T0_E_clISt17integral_constantIbLb1EES18_EEDaS13_S14_EUlS13_E_NS1_11comp_targetILNS1_3genE9ELNS1_11target_archE1100ELNS1_3gpuE3ELNS1_3repE0EEENS1_30default_config_static_selectorELNS0_4arch9wavefront6targetE0EEEvT1_.num_named_barrier, 0
	.set _ZN7rocprim17ROCPRIM_400000_NS6detail17trampoline_kernelINS0_14default_configENS1_25partition_config_selectorILNS1_17partition_subalgoE6EiNS0_10empty_typeEbEEZZNS1_14partition_implILS5_6ELb0ES3_mN6thrust23THRUST_200600_302600_NS6detail15normal_iteratorINSA_10device_ptrIiEEEEPS6_SG_NS0_5tupleIJSF_S6_EEENSH_IJSG_SG_EEES6_PlJNSB_9not_fun_tI7is_trueIiEEEEEE10hipError_tPvRmT3_T4_T5_T6_T7_T9_mT8_P12ihipStream_tbDpT10_ENKUlT_T0_E_clISt17integral_constantIbLb1EES18_EEDaS13_S14_EUlS13_E_NS1_11comp_targetILNS1_3genE9ELNS1_11target_archE1100ELNS1_3gpuE3ELNS1_3repE0EEENS1_30default_config_static_selectorELNS0_4arch9wavefront6targetE0EEEvT1_.private_seg_size, 0
	.set _ZN7rocprim17ROCPRIM_400000_NS6detail17trampoline_kernelINS0_14default_configENS1_25partition_config_selectorILNS1_17partition_subalgoE6EiNS0_10empty_typeEbEEZZNS1_14partition_implILS5_6ELb0ES3_mN6thrust23THRUST_200600_302600_NS6detail15normal_iteratorINSA_10device_ptrIiEEEEPS6_SG_NS0_5tupleIJSF_S6_EEENSH_IJSG_SG_EEES6_PlJNSB_9not_fun_tI7is_trueIiEEEEEE10hipError_tPvRmT3_T4_T5_T6_T7_T9_mT8_P12ihipStream_tbDpT10_ENKUlT_T0_E_clISt17integral_constantIbLb1EES18_EEDaS13_S14_EUlS13_E_NS1_11comp_targetILNS1_3genE9ELNS1_11target_archE1100ELNS1_3gpuE3ELNS1_3repE0EEENS1_30default_config_static_selectorELNS0_4arch9wavefront6targetE0EEEvT1_.uses_vcc, 0
	.set _ZN7rocprim17ROCPRIM_400000_NS6detail17trampoline_kernelINS0_14default_configENS1_25partition_config_selectorILNS1_17partition_subalgoE6EiNS0_10empty_typeEbEEZZNS1_14partition_implILS5_6ELb0ES3_mN6thrust23THRUST_200600_302600_NS6detail15normal_iteratorINSA_10device_ptrIiEEEEPS6_SG_NS0_5tupleIJSF_S6_EEENSH_IJSG_SG_EEES6_PlJNSB_9not_fun_tI7is_trueIiEEEEEE10hipError_tPvRmT3_T4_T5_T6_T7_T9_mT8_P12ihipStream_tbDpT10_ENKUlT_T0_E_clISt17integral_constantIbLb1EES18_EEDaS13_S14_EUlS13_E_NS1_11comp_targetILNS1_3genE9ELNS1_11target_archE1100ELNS1_3gpuE3ELNS1_3repE0EEENS1_30default_config_static_selectorELNS0_4arch9wavefront6targetE0EEEvT1_.uses_flat_scratch, 0
	.set _ZN7rocprim17ROCPRIM_400000_NS6detail17trampoline_kernelINS0_14default_configENS1_25partition_config_selectorILNS1_17partition_subalgoE6EiNS0_10empty_typeEbEEZZNS1_14partition_implILS5_6ELb0ES3_mN6thrust23THRUST_200600_302600_NS6detail15normal_iteratorINSA_10device_ptrIiEEEEPS6_SG_NS0_5tupleIJSF_S6_EEENSH_IJSG_SG_EEES6_PlJNSB_9not_fun_tI7is_trueIiEEEEEE10hipError_tPvRmT3_T4_T5_T6_T7_T9_mT8_P12ihipStream_tbDpT10_ENKUlT_T0_E_clISt17integral_constantIbLb1EES18_EEDaS13_S14_EUlS13_E_NS1_11comp_targetILNS1_3genE9ELNS1_11target_archE1100ELNS1_3gpuE3ELNS1_3repE0EEENS1_30default_config_static_selectorELNS0_4arch9wavefront6targetE0EEEvT1_.has_dyn_sized_stack, 0
	.set _ZN7rocprim17ROCPRIM_400000_NS6detail17trampoline_kernelINS0_14default_configENS1_25partition_config_selectorILNS1_17partition_subalgoE6EiNS0_10empty_typeEbEEZZNS1_14partition_implILS5_6ELb0ES3_mN6thrust23THRUST_200600_302600_NS6detail15normal_iteratorINSA_10device_ptrIiEEEEPS6_SG_NS0_5tupleIJSF_S6_EEENSH_IJSG_SG_EEES6_PlJNSB_9not_fun_tI7is_trueIiEEEEEE10hipError_tPvRmT3_T4_T5_T6_T7_T9_mT8_P12ihipStream_tbDpT10_ENKUlT_T0_E_clISt17integral_constantIbLb1EES18_EEDaS13_S14_EUlS13_E_NS1_11comp_targetILNS1_3genE9ELNS1_11target_archE1100ELNS1_3gpuE3ELNS1_3repE0EEENS1_30default_config_static_selectorELNS0_4arch9wavefront6targetE0EEEvT1_.has_recursion, 0
	.set _ZN7rocprim17ROCPRIM_400000_NS6detail17trampoline_kernelINS0_14default_configENS1_25partition_config_selectorILNS1_17partition_subalgoE6EiNS0_10empty_typeEbEEZZNS1_14partition_implILS5_6ELb0ES3_mN6thrust23THRUST_200600_302600_NS6detail15normal_iteratorINSA_10device_ptrIiEEEEPS6_SG_NS0_5tupleIJSF_S6_EEENSH_IJSG_SG_EEES6_PlJNSB_9not_fun_tI7is_trueIiEEEEEE10hipError_tPvRmT3_T4_T5_T6_T7_T9_mT8_P12ihipStream_tbDpT10_ENKUlT_T0_E_clISt17integral_constantIbLb1EES18_EEDaS13_S14_EUlS13_E_NS1_11comp_targetILNS1_3genE9ELNS1_11target_archE1100ELNS1_3gpuE3ELNS1_3repE0EEENS1_30default_config_static_selectorELNS0_4arch9wavefront6targetE0EEEvT1_.has_indirect_call, 0
	.section	.AMDGPU.csdata,"",@progbits
; Kernel info:
; codeLenInByte = 0
; TotalNumSgprs: 0
; NumVgprs: 0
; ScratchSize: 0
; MemoryBound: 0
; FloatMode: 240
; IeeeMode: 1
; LDSByteSize: 0 bytes/workgroup (compile time only)
; SGPRBlocks: 0
; VGPRBlocks: 0
; NumSGPRsForWavesPerEU: 1
; NumVGPRsForWavesPerEU: 1
; Occupancy: 16
; WaveLimiterHint : 0
; COMPUTE_PGM_RSRC2:SCRATCH_EN: 0
; COMPUTE_PGM_RSRC2:USER_SGPR: 2
; COMPUTE_PGM_RSRC2:TRAP_HANDLER: 0
; COMPUTE_PGM_RSRC2:TGID_X_EN: 1
; COMPUTE_PGM_RSRC2:TGID_Y_EN: 0
; COMPUTE_PGM_RSRC2:TGID_Z_EN: 0
; COMPUTE_PGM_RSRC2:TIDIG_COMP_CNT: 0
	.section	.text._ZN7rocprim17ROCPRIM_400000_NS6detail17trampoline_kernelINS0_14default_configENS1_25partition_config_selectorILNS1_17partition_subalgoE6EiNS0_10empty_typeEbEEZZNS1_14partition_implILS5_6ELb0ES3_mN6thrust23THRUST_200600_302600_NS6detail15normal_iteratorINSA_10device_ptrIiEEEEPS6_SG_NS0_5tupleIJSF_S6_EEENSH_IJSG_SG_EEES6_PlJNSB_9not_fun_tI7is_trueIiEEEEEE10hipError_tPvRmT3_T4_T5_T6_T7_T9_mT8_P12ihipStream_tbDpT10_ENKUlT_T0_E_clISt17integral_constantIbLb1EES18_EEDaS13_S14_EUlS13_E_NS1_11comp_targetILNS1_3genE8ELNS1_11target_archE1030ELNS1_3gpuE2ELNS1_3repE0EEENS1_30default_config_static_selectorELNS0_4arch9wavefront6targetE0EEEvT1_,"axG",@progbits,_ZN7rocprim17ROCPRIM_400000_NS6detail17trampoline_kernelINS0_14default_configENS1_25partition_config_selectorILNS1_17partition_subalgoE6EiNS0_10empty_typeEbEEZZNS1_14partition_implILS5_6ELb0ES3_mN6thrust23THRUST_200600_302600_NS6detail15normal_iteratorINSA_10device_ptrIiEEEEPS6_SG_NS0_5tupleIJSF_S6_EEENSH_IJSG_SG_EEES6_PlJNSB_9not_fun_tI7is_trueIiEEEEEE10hipError_tPvRmT3_T4_T5_T6_T7_T9_mT8_P12ihipStream_tbDpT10_ENKUlT_T0_E_clISt17integral_constantIbLb1EES18_EEDaS13_S14_EUlS13_E_NS1_11comp_targetILNS1_3genE8ELNS1_11target_archE1030ELNS1_3gpuE2ELNS1_3repE0EEENS1_30default_config_static_selectorELNS0_4arch9wavefront6targetE0EEEvT1_,comdat
	.protected	_ZN7rocprim17ROCPRIM_400000_NS6detail17trampoline_kernelINS0_14default_configENS1_25partition_config_selectorILNS1_17partition_subalgoE6EiNS0_10empty_typeEbEEZZNS1_14partition_implILS5_6ELb0ES3_mN6thrust23THRUST_200600_302600_NS6detail15normal_iteratorINSA_10device_ptrIiEEEEPS6_SG_NS0_5tupleIJSF_S6_EEENSH_IJSG_SG_EEES6_PlJNSB_9not_fun_tI7is_trueIiEEEEEE10hipError_tPvRmT3_T4_T5_T6_T7_T9_mT8_P12ihipStream_tbDpT10_ENKUlT_T0_E_clISt17integral_constantIbLb1EES18_EEDaS13_S14_EUlS13_E_NS1_11comp_targetILNS1_3genE8ELNS1_11target_archE1030ELNS1_3gpuE2ELNS1_3repE0EEENS1_30default_config_static_selectorELNS0_4arch9wavefront6targetE0EEEvT1_ ; -- Begin function _ZN7rocprim17ROCPRIM_400000_NS6detail17trampoline_kernelINS0_14default_configENS1_25partition_config_selectorILNS1_17partition_subalgoE6EiNS0_10empty_typeEbEEZZNS1_14partition_implILS5_6ELb0ES3_mN6thrust23THRUST_200600_302600_NS6detail15normal_iteratorINSA_10device_ptrIiEEEEPS6_SG_NS0_5tupleIJSF_S6_EEENSH_IJSG_SG_EEES6_PlJNSB_9not_fun_tI7is_trueIiEEEEEE10hipError_tPvRmT3_T4_T5_T6_T7_T9_mT8_P12ihipStream_tbDpT10_ENKUlT_T0_E_clISt17integral_constantIbLb1EES18_EEDaS13_S14_EUlS13_E_NS1_11comp_targetILNS1_3genE8ELNS1_11target_archE1030ELNS1_3gpuE2ELNS1_3repE0EEENS1_30default_config_static_selectorELNS0_4arch9wavefront6targetE0EEEvT1_
	.globl	_ZN7rocprim17ROCPRIM_400000_NS6detail17trampoline_kernelINS0_14default_configENS1_25partition_config_selectorILNS1_17partition_subalgoE6EiNS0_10empty_typeEbEEZZNS1_14partition_implILS5_6ELb0ES3_mN6thrust23THRUST_200600_302600_NS6detail15normal_iteratorINSA_10device_ptrIiEEEEPS6_SG_NS0_5tupleIJSF_S6_EEENSH_IJSG_SG_EEES6_PlJNSB_9not_fun_tI7is_trueIiEEEEEE10hipError_tPvRmT3_T4_T5_T6_T7_T9_mT8_P12ihipStream_tbDpT10_ENKUlT_T0_E_clISt17integral_constantIbLb1EES18_EEDaS13_S14_EUlS13_E_NS1_11comp_targetILNS1_3genE8ELNS1_11target_archE1030ELNS1_3gpuE2ELNS1_3repE0EEENS1_30default_config_static_selectorELNS0_4arch9wavefront6targetE0EEEvT1_
	.p2align	8
	.type	_ZN7rocprim17ROCPRIM_400000_NS6detail17trampoline_kernelINS0_14default_configENS1_25partition_config_selectorILNS1_17partition_subalgoE6EiNS0_10empty_typeEbEEZZNS1_14partition_implILS5_6ELb0ES3_mN6thrust23THRUST_200600_302600_NS6detail15normal_iteratorINSA_10device_ptrIiEEEEPS6_SG_NS0_5tupleIJSF_S6_EEENSH_IJSG_SG_EEES6_PlJNSB_9not_fun_tI7is_trueIiEEEEEE10hipError_tPvRmT3_T4_T5_T6_T7_T9_mT8_P12ihipStream_tbDpT10_ENKUlT_T0_E_clISt17integral_constantIbLb1EES18_EEDaS13_S14_EUlS13_E_NS1_11comp_targetILNS1_3genE8ELNS1_11target_archE1030ELNS1_3gpuE2ELNS1_3repE0EEENS1_30default_config_static_selectorELNS0_4arch9wavefront6targetE0EEEvT1_,@function
_ZN7rocprim17ROCPRIM_400000_NS6detail17trampoline_kernelINS0_14default_configENS1_25partition_config_selectorILNS1_17partition_subalgoE6EiNS0_10empty_typeEbEEZZNS1_14partition_implILS5_6ELb0ES3_mN6thrust23THRUST_200600_302600_NS6detail15normal_iteratorINSA_10device_ptrIiEEEEPS6_SG_NS0_5tupleIJSF_S6_EEENSH_IJSG_SG_EEES6_PlJNSB_9not_fun_tI7is_trueIiEEEEEE10hipError_tPvRmT3_T4_T5_T6_T7_T9_mT8_P12ihipStream_tbDpT10_ENKUlT_T0_E_clISt17integral_constantIbLb1EES18_EEDaS13_S14_EUlS13_E_NS1_11comp_targetILNS1_3genE8ELNS1_11target_archE1030ELNS1_3gpuE2ELNS1_3repE0EEENS1_30default_config_static_selectorELNS0_4arch9wavefront6targetE0EEEvT1_: ; @_ZN7rocprim17ROCPRIM_400000_NS6detail17trampoline_kernelINS0_14default_configENS1_25partition_config_selectorILNS1_17partition_subalgoE6EiNS0_10empty_typeEbEEZZNS1_14partition_implILS5_6ELb0ES3_mN6thrust23THRUST_200600_302600_NS6detail15normal_iteratorINSA_10device_ptrIiEEEEPS6_SG_NS0_5tupleIJSF_S6_EEENSH_IJSG_SG_EEES6_PlJNSB_9not_fun_tI7is_trueIiEEEEEE10hipError_tPvRmT3_T4_T5_T6_T7_T9_mT8_P12ihipStream_tbDpT10_ENKUlT_T0_E_clISt17integral_constantIbLb1EES18_EEDaS13_S14_EUlS13_E_NS1_11comp_targetILNS1_3genE8ELNS1_11target_archE1030ELNS1_3gpuE2ELNS1_3repE0EEENS1_30default_config_static_selectorELNS0_4arch9wavefront6targetE0EEEvT1_
; %bb.0:
	.section	.rodata,"a",@progbits
	.p2align	6, 0x0
	.amdhsa_kernel _ZN7rocprim17ROCPRIM_400000_NS6detail17trampoline_kernelINS0_14default_configENS1_25partition_config_selectorILNS1_17partition_subalgoE6EiNS0_10empty_typeEbEEZZNS1_14partition_implILS5_6ELb0ES3_mN6thrust23THRUST_200600_302600_NS6detail15normal_iteratorINSA_10device_ptrIiEEEEPS6_SG_NS0_5tupleIJSF_S6_EEENSH_IJSG_SG_EEES6_PlJNSB_9not_fun_tI7is_trueIiEEEEEE10hipError_tPvRmT3_T4_T5_T6_T7_T9_mT8_P12ihipStream_tbDpT10_ENKUlT_T0_E_clISt17integral_constantIbLb1EES18_EEDaS13_S14_EUlS13_E_NS1_11comp_targetILNS1_3genE8ELNS1_11target_archE1030ELNS1_3gpuE2ELNS1_3repE0EEENS1_30default_config_static_selectorELNS0_4arch9wavefront6targetE0EEEvT1_
		.amdhsa_group_segment_fixed_size 0
		.amdhsa_private_segment_fixed_size 0
		.amdhsa_kernarg_size 128
		.amdhsa_user_sgpr_count 2
		.amdhsa_user_sgpr_dispatch_ptr 0
		.amdhsa_user_sgpr_queue_ptr 0
		.amdhsa_user_sgpr_kernarg_segment_ptr 1
		.amdhsa_user_sgpr_dispatch_id 0
		.amdhsa_user_sgpr_private_segment_size 0
		.amdhsa_wavefront_size32 1
		.amdhsa_uses_dynamic_stack 0
		.amdhsa_enable_private_segment 0
		.amdhsa_system_sgpr_workgroup_id_x 1
		.amdhsa_system_sgpr_workgroup_id_y 0
		.amdhsa_system_sgpr_workgroup_id_z 0
		.amdhsa_system_sgpr_workgroup_info 0
		.amdhsa_system_vgpr_workitem_id 0
		.amdhsa_next_free_vgpr 1
		.amdhsa_next_free_sgpr 1
		.amdhsa_reserve_vcc 0
		.amdhsa_float_round_mode_32 0
		.amdhsa_float_round_mode_16_64 0
		.amdhsa_float_denorm_mode_32 3
		.amdhsa_float_denorm_mode_16_64 3
		.amdhsa_fp16_overflow 0
		.amdhsa_workgroup_processor_mode 1
		.amdhsa_memory_ordered 1
		.amdhsa_forward_progress 1
		.amdhsa_inst_pref_size 0
		.amdhsa_round_robin_scheduling 0
		.amdhsa_exception_fp_ieee_invalid_op 0
		.amdhsa_exception_fp_denorm_src 0
		.amdhsa_exception_fp_ieee_div_zero 0
		.amdhsa_exception_fp_ieee_overflow 0
		.amdhsa_exception_fp_ieee_underflow 0
		.amdhsa_exception_fp_ieee_inexact 0
		.amdhsa_exception_int_div_zero 0
	.end_amdhsa_kernel
	.section	.text._ZN7rocprim17ROCPRIM_400000_NS6detail17trampoline_kernelINS0_14default_configENS1_25partition_config_selectorILNS1_17partition_subalgoE6EiNS0_10empty_typeEbEEZZNS1_14partition_implILS5_6ELb0ES3_mN6thrust23THRUST_200600_302600_NS6detail15normal_iteratorINSA_10device_ptrIiEEEEPS6_SG_NS0_5tupleIJSF_S6_EEENSH_IJSG_SG_EEES6_PlJNSB_9not_fun_tI7is_trueIiEEEEEE10hipError_tPvRmT3_T4_T5_T6_T7_T9_mT8_P12ihipStream_tbDpT10_ENKUlT_T0_E_clISt17integral_constantIbLb1EES18_EEDaS13_S14_EUlS13_E_NS1_11comp_targetILNS1_3genE8ELNS1_11target_archE1030ELNS1_3gpuE2ELNS1_3repE0EEENS1_30default_config_static_selectorELNS0_4arch9wavefront6targetE0EEEvT1_,"axG",@progbits,_ZN7rocprim17ROCPRIM_400000_NS6detail17trampoline_kernelINS0_14default_configENS1_25partition_config_selectorILNS1_17partition_subalgoE6EiNS0_10empty_typeEbEEZZNS1_14partition_implILS5_6ELb0ES3_mN6thrust23THRUST_200600_302600_NS6detail15normal_iteratorINSA_10device_ptrIiEEEEPS6_SG_NS0_5tupleIJSF_S6_EEENSH_IJSG_SG_EEES6_PlJNSB_9not_fun_tI7is_trueIiEEEEEE10hipError_tPvRmT3_T4_T5_T6_T7_T9_mT8_P12ihipStream_tbDpT10_ENKUlT_T0_E_clISt17integral_constantIbLb1EES18_EEDaS13_S14_EUlS13_E_NS1_11comp_targetILNS1_3genE8ELNS1_11target_archE1030ELNS1_3gpuE2ELNS1_3repE0EEENS1_30default_config_static_selectorELNS0_4arch9wavefront6targetE0EEEvT1_,comdat
.Lfunc_end1252:
	.size	_ZN7rocprim17ROCPRIM_400000_NS6detail17trampoline_kernelINS0_14default_configENS1_25partition_config_selectorILNS1_17partition_subalgoE6EiNS0_10empty_typeEbEEZZNS1_14partition_implILS5_6ELb0ES3_mN6thrust23THRUST_200600_302600_NS6detail15normal_iteratorINSA_10device_ptrIiEEEEPS6_SG_NS0_5tupleIJSF_S6_EEENSH_IJSG_SG_EEES6_PlJNSB_9not_fun_tI7is_trueIiEEEEEE10hipError_tPvRmT3_T4_T5_T6_T7_T9_mT8_P12ihipStream_tbDpT10_ENKUlT_T0_E_clISt17integral_constantIbLb1EES18_EEDaS13_S14_EUlS13_E_NS1_11comp_targetILNS1_3genE8ELNS1_11target_archE1030ELNS1_3gpuE2ELNS1_3repE0EEENS1_30default_config_static_selectorELNS0_4arch9wavefront6targetE0EEEvT1_, .Lfunc_end1252-_ZN7rocprim17ROCPRIM_400000_NS6detail17trampoline_kernelINS0_14default_configENS1_25partition_config_selectorILNS1_17partition_subalgoE6EiNS0_10empty_typeEbEEZZNS1_14partition_implILS5_6ELb0ES3_mN6thrust23THRUST_200600_302600_NS6detail15normal_iteratorINSA_10device_ptrIiEEEEPS6_SG_NS0_5tupleIJSF_S6_EEENSH_IJSG_SG_EEES6_PlJNSB_9not_fun_tI7is_trueIiEEEEEE10hipError_tPvRmT3_T4_T5_T6_T7_T9_mT8_P12ihipStream_tbDpT10_ENKUlT_T0_E_clISt17integral_constantIbLb1EES18_EEDaS13_S14_EUlS13_E_NS1_11comp_targetILNS1_3genE8ELNS1_11target_archE1030ELNS1_3gpuE2ELNS1_3repE0EEENS1_30default_config_static_selectorELNS0_4arch9wavefront6targetE0EEEvT1_
                                        ; -- End function
	.set _ZN7rocprim17ROCPRIM_400000_NS6detail17trampoline_kernelINS0_14default_configENS1_25partition_config_selectorILNS1_17partition_subalgoE6EiNS0_10empty_typeEbEEZZNS1_14partition_implILS5_6ELb0ES3_mN6thrust23THRUST_200600_302600_NS6detail15normal_iteratorINSA_10device_ptrIiEEEEPS6_SG_NS0_5tupleIJSF_S6_EEENSH_IJSG_SG_EEES6_PlJNSB_9not_fun_tI7is_trueIiEEEEEE10hipError_tPvRmT3_T4_T5_T6_T7_T9_mT8_P12ihipStream_tbDpT10_ENKUlT_T0_E_clISt17integral_constantIbLb1EES18_EEDaS13_S14_EUlS13_E_NS1_11comp_targetILNS1_3genE8ELNS1_11target_archE1030ELNS1_3gpuE2ELNS1_3repE0EEENS1_30default_config_static_selectorELNS0_4arch9wavefront6targetE0EEEvT1_.num_vgpr, 0
	.set _ZN7rocprim17ROCPRIM_400000_NS6detail17trampoline_kernelINS0_14default_configENS1_25partition_config_selectorILNS1_17partition_subalgoE6EiNS0_10empty_typeEbEEZZNS1_14partition_implILS5_6ELb0ES3_mN6thrust23THRUST_200600_302600_NS6detail15normal_iteratorINSA_10device_ptrIiEEEEPS6_SG_NS0_5tupleIJSF_S6_EEENSH_IJSG_SG_EEES6_PlJNSB_9not_fun_tI7is_trueIiEEEEEE10hipError_tPvRmT3_T4_T5_T6_T7_T9_mT8_P12ihipStream_tbDpT10_ENKUlT_T0_E_clISt17integral_constantIbLb1EES18_EEDaS13_S14_EUlS13_E_NS1_11comp_targetILNS1_3genE8ELNS1_11target_archE1030ELNS1_3gpuE2ELNS1_3repE0EEENS1_30default_config_static_selectorELNS0_4arch9wavefront6targetE0EEEvT1_.num_agpr, 0
	.set _ZN7rocprim17ROCPRIM_400000_NS6detail17trampoline_kernelINS0_14default_configENS1_25partition_config_selectorILNS1_17partition_subalgoE6EiNS0_10empty_typeEbEEZZNS1_14partition_implILS5_6ELb0ES3_mN6thrust23THRUST_200600_302600_NS6detail15normal_iteratorINSA_10device_ptrIiEEEEPS6_SG_NS0_5tupleIJSF_S6_EEENSH_IJSG_SG_EEES6_PlJNSB_9not_fun_tI7is_trueIiEEEEEE10hipError_tPvRmT3_T4_T5_T6_T7_T9_mT8_P12ihipStream_tbDpT10_ENKUlT_T0_E_clISt17integral_constantIbLb1EES18_EEDaS13_S14_EUlS13_E_NS1_11comp_targetILNS1_3genE8ELNS1_11target_archE1030ELNS1_3gpuE2ELNS1_3repE0EEENS1_30default_config_static_selectorELNS0_4arch9wavefront6targetE0EEEvT1_.numbered_sgpr, 0
	.set _ZN7rocprim17ROCPRIM_400000_NS6detail17trampoline_kernelINS0_14default_configENS1_25partition_config_selectorILNS1_17partition_subalgoE6EiNS0_10empty_typeEbEEZZNS1_14partition_implILS5_6ELb0ES3_mN6thrust23THRUST_200600_302600_NS6detail15normal_iteratorINSA_10device_ptrIiEEEEPS6_SG_NS0_5tupleIJSF_S6_EEENSH_IJSG_SG_EEES6_PlJNSB_9not_fun_tI7is_trueIiEEEEEE10hipError_tPvRmT3_T4_T5_T6_T7_T9_mT8_P12ihipStream_tbDpT10_ENKUlT_T0_E_clISt17integral_constantIbLb1EES18_EEDaS13_S14_EUlS13_E_NS1_11comp_targetILNS1_3genE8ELNS1_11target_archE1030ELNS1_3gpuE2ELNS1_3repE0EEENS1_30default_config_static_selectorELNS0_4arch9wavefront6targetE0EEEvT1_.num_named_barrier, 0
	.set _ZN7rocprim17ROCPRIM_400000_NS6detail17trampoline_kernelINS0_14default_configENS1_25partition_config_selectorILNS1_17partition_subalgoE6EiNS0_10empty_typeEbEEZZNS1_14partition_implILS5_6ELb0ES3_mN6thrust23THRUST_200600_302600_NS6detail15normal_iteratorINSA_10device_ptrIiEEEEPS6_SG_NS0_5tupleIJSF_S6_EEENSH_IJSG_SG_EEES6_PlJNSB_9not_fun_tI7is_trueIiEEEEEE10hipError_tPvRmT3_T4_T5_T6_T7_T9_mT8_P12ihipStream_tbDpT10_ENKUlT_T0_E_clISt17integral_constantIbLb1EES18_EEDaS13_S14_EUlS13_E_NS1_11comp_targetILNS1_3genE8ELNS1_11target_archE1030ELNS1_3gpuE2ELNS1_3repE0EEENS1_30default_config_static_selectorELNS0_4arch9wavefront6targetE0EEEvT1_.private_seg_size, 0
	.set _ZN7rocprim17ROCPRIM_400000_NS6detail17trampoline_kernelINS0_14default_configENS1_25partition_config_selectorILNS1_17partition_subalgoE6EiNS0_10empty_typeEbEEZZNS1_14partition_implILS5_6ELb0ES3_mN6thrust23THRUST_200600_302600_NS6detail15normal_iteratorINSA_10device_ptrIiEEEEPS6_SG_NS0_5tupleIJSF_S6_EEENSH_IJSG_SG_EEES6_PlJNSB_9not_fun_tI7is_trueIiEEEEEE10hipError_tPvRmT3_T4_T5_T6_T7_T9_mT8_P12ihipStream_tbDpT10_ENKUlT_T0_E_clISt17integral_constantIbLb1EES18_EEDaS13_S14_EUlS13_E_NS1_11comp_targetILNS1_3genE8ELNS1_11target_archE1030ELNS1_3gpuE2ELNS1_3repE0EEENS1_30default_config_static_selectorELNS0_4arch9wavefront6targetE0EEEvT1_.uses_vcc, 0
	.set _ZN7rocprim17ROCPRIM_400000_NS6detail17trampoline_kernelINS0_14default_configENS1_25partition_config_selectorILNS1_17partition_subalgoE6EiNS0_10empty_typeEbEEZZNS1_14partition_implILS5_6ELb0ES3_mN6thrust23THRUST_200600_302600_NS6detail15normal_iteratorINSA_10device_ptrIiEEEEPS6_SG_NS0_5tupleIJSF_S6_EEENSH_IJSG_SG_EEES6_PlJNSB_9not_fun_tI7is_trueIiEEEEEE10hipError_tPvRmT3_T4_T5_T6_T7_T9_mT8_P12ihipStream_tbDpT10_ENKUlT_T0_E_clISt17integral_constantIbLb1EES18_EEDaS13_S14_EUlS13_E_NS1_11comp_targetILNS1_3genE8ELNS1_11target_archE1030ELNS1_3gpuE2ELNS1_3repE0EEENS1_30default_config_static_selectorELNS0_4arch9wavefront6targetE0EEEvT1_.uses_flat_scratch, 0
	.set _ZN7rocprim17ROCPRIM_400000_NS6detail17trampoline_kernelINS0_14default_configENS1_25partition_config_selectorILNS1_17partition_subalgoE6EiNS0_10empty_typeEbEEZZNS1_14partition_implILS5_6ELb0ES3_mN6thrust23THRUST_200600_302600_NS6detail15normal_iteratorINSA_10device_ptrIiEEEEPS6_SG_NS0_5tupleIJSF_S6_EEENSH_IJSG_SG_EEES6_PlJNSB_9not_fun_tI7is_trueIiEEEEEE10hipError_tPvRmT3_T4_T5_T6_T7_T9_mT8_P12ihipStream_tbDpT10_ENKUlT_T0_E_clISt17integral_constantIbLb1EES18_EEDaS13_S14_EUlS13_E_NS1_11comp_targetILNS1_3genE8ELNS1_11target_archE1030ELNS1_3gpuE2ELNS1_3repE0EEENS1_30default_config_static_selectorELNS0_4arch9wavefront6targetE0EEEvT1_.has_dyn_sized_stack, 0
	.set _ZN7rocprim17ROCPRIM_400000_NS6detail17trampoline_kernelINS0_14default_configENS1_25partition_config_selectorILNS1_17partition_subalgoE6EiNS0_10empty_typeEbEEZZNS1_14partition_implILS5_6ELb0ES3_mN6thrust23THRUST_200600_302600_NS6detail15normal_iteratorINSA_10device_ptrIiEEEEPS6_SG_NS0_5tupleIJSF_S6_EEENSH_IJSG_SG_EEES6_PlJNSB_9not_fun_tI7is_trueIiEEEEEE10hipError_tPvRmT3_T4_T5_T6_T7_T9_mT8_P12ihipStream_tbDpT10_ENKUlT_T0_E_clISt17integral_constantIbLb1EES18_EEDaS13_S14_EUlS13_E_NS1_11comp_targetILNS1_3genE8ELNS1_11target_archE1030ELNS1_3gpuE2ELNS1_3repE0EEENS1_30default_config_static_selectorELNS0_4arch9wavefront6targetE0EEEvT1_.has_recursion, 0
	.set _ZN7rocprim17ROCPRIM_400000_NS6detail17trampoline_kernelINS0_14default_configENS1_25partition_config_selectorILNS1_17partition_subalgoE6EiNS0_10empty_typeEbEEZZNS1_14partition_implILS5_6ELb0ES3_mN6thrust23THRUST_200600_302600_NS6detail15normal_iteratorINSA_10device_ptrIiEEEEPS6_SG_NS0_5tupleIJSF_S6_EEENSH_IJSG_SG_EEES6_PlJNSB_9not_fun_tI7is_trueIiEEEEEE10hipError_tPvRmT3_T4_T5_T6_T7_T9_mT8_P12ihipStream_tbDpT10_ENKUlT_T0_E_clISt17integral_constantIbLb1EES18_EEDaS13_S14_EUlS13_E_NS1_11comp_targetILNS1_3genE8ELNS1_11target_archE1030ELNS1_3gpuE2ELNS1_3repE0EEENS1_30default_config_static_selectorELNS0_4arch9wavefront6targetE0EEEvT1_.has_indirect_call, 0
	.section	.AMDGPU.csdata,"",@progbits
; Kernel info:
; codeLenInByte = 0
; TotalNumSgprs: 0
; NumVgprs: 0
; ScratchSize: 0
; MemoryBound: 0
; FloatMode: 240
; IeeeMode: 1
; LDSByteSize: 0 bytes/workgroup (compile time only)
; SGPRBlocks: 0
; VGPRBlocks: 0
; NumSGPRsForWavesPerEU: 1
; NumVGPRsForWavesPerEU: 1
; Occupancy: 16
; WaveLimiterHint : 0
; COMPUTE_PGM_RSRC2:SCRATCH_EN: 0
; COMPUTE_PGM_RSRC2:USER_SGPR: 2
; COMPUTE_PGM_RSRC2:TRAP_HANDLER: 0
; COMPUTE_PGM_RSRC2:TGID_X_EN: 1
; COMPUTE_PGM_RSRC2:TGID_Y_EN: 0
; COMPUTE_PGM_RSRC2:TGID_Z_EN: 0
; COMPUTE_PGM_RSRC2:TIDIG_COMP_CNT: 0
	.section	.text._ZN7rocprim17ROCPRIM_400000_NS6detail17trampoline_kernelINS0_14default_configENS1_25partition_config_selectorILNS1_17partition_subalgoE6EiNS0_10empty_typeEbEEZZNS1_14partition_implILS5_6ELb0ES3_mN6thrust23THRUST_200600_302600_NS6detail15normal_iteratorINSA_10device_ptrIiEEEEPS6_SG_NS0_5tupleIJSF_S6_EEENSH_IJSG_SG_EEES6_PlJNSB_9not_fun_tI7is_trueIiEEEEEE10hipError_tPvRmT3_T4_T5_T6_T7_T9_mT8_P12ihipStream_tbDpT10_ENKUlT_T0_E_clISt17integral_constantIbLb1EES17_IbLb0EEEEDaS13_S14_EUlS13_E_NS1_11comp_targetILNS1_3genE0ELNS1_11target_archE4294967295ELNS1_3gpuE0ELNS1_3repE0EEENS1_30default_config_static_selectorELNS0_4arch9wavefront6targetE0EEEvT1_,"axG",@progbits,_ZN7rocprim17ROCPRIM_400000_NS6detail17trampoline_kernelINS0_14default_configENS1_25partition_config_selectorILNS1_17partition_subalgoE6EiNS0_10empty_typeEbEEZZNS1_14partition_implILS5_6ELb0ES3_mN6thrust23THRUST_200600_302600_NS6detail15normal_iteratorINSA_10device_ptrIiEEEEPS6_SG_NS0_5tupleIJSF_S6_EEENSH_IJSG_SG_EEES6_PlJNSB_9not_fun_tI7is_trueIiEEEEEE10hipError_tPvRmT3_T4_T5_T6_T7_T9_mT8_P12ihipStream_tbDpT10_ENKUlT_T0_E_clISt17integral_constantIbLb1EES17_IbLb0EEEEDaS13_S14_EUlS13_E_NS1_11comp_targetILNS1_3genE0ELNS1_11target_archE4294967295ELNS1_3gpuE0ELNS1_3repE0EEENS1_30default_config_static_selectorELNS0_4arch9wavefront6targetE0EEEvT1_,comdat
	.protected	_ZN7rocprim17ROCPRIM_400000_NS6detail17trampoline_kernelINS0_14default_configENS1_25partition_config_selectorILNS1_17partition_subalgoE6EiNS0_10empty_typeEbEEZZNS1_14partition_implILS5_6ELb0ES3_mN6thrust23THRUST_200600_302600_NS6detail15normal_iteratorINSA_10device_ptrIiEEEEPS6_SG_NS0_5tupleIJSF_S6_EEENSH_IJSG_SG_EEES6_PlJNSB_9not_fun_tI7is_trueIiEEEEEE10hipError_tPvRmT3_T4_T5_T6_T7_T9_mT8_P12ihipStream_tbDpT10_ENKUlT_T0_E_clISt17integral_constantIbLb1EES17_IbLb0EEEEDaS13_S14_EUlS13_E_NS1_11comp_targetILNS1_3genE0ELNS1_11target_archE4294967295ELNS1_3gpuE0ELNS1_3repE0EEENS1_30default_config_static_selectorELNS0_4arch9wavefront6targetE0EEEvT1_ ; -- Begin function _ZN7rocprim17ROCPRIM_400000_NS6detail17trampoline_kernelINS0_14default_configENS1_25partition_config_selectorILNS1_17partition_subalgoE6EiNS0_10empty_typeEbEEZZNS1_14partition_implILS5_6ELb0ES3_mN6thrust23THRUST_200600_302600_NS6detail15normal_iteratorINSA_10device_ptrIiEEEEPS6_SG_NS0_5tupleIJSF_S6_EEENSH_IJSG_SG_EEES6_PlJNSB_9not_fun_tI7is_trueIiEEEEEE10hipError_tPvRmT3_T4_T5_T6_T7_T9_mT8_P12ihipStream_tbDpT10_ENKUlT_T0_E_clISt17integral_constantIbLb1EES17_IbLb0EEEEDaS13_S14_EUlS13_E_NS1_11comp_targetILNS1_3genE0ELNS1_11target_archE4294967295ELNS1_3gpuE0ELNS1_3repE0EEENS1_30default_config_static_selectorELNS0_4arch9wavefront6targetE0EEEvT1_
	.globl	_ZN7rocprim17ROCPRIM_400000_NS6detail17trampoline_kernelINS0_14default_configENS1_25partition_config_selectorILNS1_17partition_subalgoE6EiNS0_10empty_typeEbEEZZNS1_14partition_implILS5_6ELb0ES3_mN6thrust23THRUST_200600_302600_NS6detail15normal_iteratorINSA_10device_ptrIiEEEEPS6_SG_NS0_5tupleIJSF_S6_EEENSH_IJSG_SG_EEES6_PlJNSB_9not_fun_tI7is_trueIiEEEEEE10hipError_tPvRmT3_T4_T5_T6_T7_T9_mT8_P12ihipStream_tbDpT10_ENKUlT_T0_E_clISt17integral_constantIbLb1EES17_IbLb0EEEEDaS13_S14_EUlS13_E_NS1_11comp_targetILNS1_3genE0ELNS1_11target_archE4294967295ELNS1_3gpuE0ELNS1_3repE0EEENS1_30default_config_static_selectorELNS0_4arch9wavefront6targetE0EEEvT1_
	.p2align	8
	.type	_ZN7rocprim17ROCPRIM_400000_NS6detail17trampoline_kernelINS0_14default_configENS1_25partition_config_selectorILNS1_17partition_subalgoE6EiNS0_10empty_typeEbEEZZNS1_14partition_implILS5_6ELb0ES3_mN6thrust23THRUST_200600_302600_NS6detail15normal_iteratorINSA_10device_ptrIiEEEEPS6_SG_NS0_5tupleIJSF_S6_EEENSH_IJSG_SG_EEES6_PlJNSB_9not_fun_tI7is_trueIiEEEEEE10hipError_tPvRmT3_T4_T5_T6_T7_T9_mT8_P12ihipStream_tbDpT10_ENKUlT_T0_E_clISt17integral_constantIbLb1EES17_IbLb0EEEEDaS13_S14_EUlS13_E_NS1_11comp_targetILNS1_3genE0ELNS1_11target_archE4294967295ELNS1_3gpuE0ELNS1_3repE0EEENS1_30default_config_static_selectorELNS0_4arch9wavefront6targetE0EEEvT1_,@function
_ZN7rocprim17ROCPRIM_400000_NS6detail17trampoline_kernelINS0_14default_configENS1_25partition_config_selectorILNS1_17partition_subalgoE6EiNS0_10empty_typeEbEEZZNS1_14partition_implILS5_6ELb0ES3_mN6thrust23THRUST_200600_302600_NS6detail15normal_iteratorINSA_10device_ptrIiEEEEPS6_SG_NS0_5tupleIJSF_S6_EEENSH_IJSG_SG_EEES6_PlJNSB_9not_fun_tI7is_trueIiEEEEEE10hipError_tPvRmT3_T4_T5_T6_T7_T9_mT8_P12ihipStream_tbDpT10_ENKUlT_T0_E_clISt17integral_constantIbLb1EES17_IbLb0EEEEDaS13_S14_EUlS13_E_NS1_11comp_targetILNS1_3genE0ELNS1_11target_archE4294967295ELNS1_3gpuE0ELNS1_3repE0EEENS1_30default_config_static_selectorELNS0_4arch9wavefront6targetE0EEEvT1_: ; @_ZN7rocprim17ROCPRIM_400000_NS6detail17trampoline_kernelINS0_14default_configENS1_25partition_config_selectorILNS1_17partition_subalgoE6EiNS0_10empty_typeEbEEZZNS1_14partition_implILS5_6ELb0ES3_mN6thrust23THRUST_200600_302600_NS6detail15normal_iteratorINSA_10device_ptrIiEEEEPS6_SG_NS0_5tupleIJSF_S6_EEENSH_IJSG_SG_EEES6_PlJNSB_9not_fun_tI7is_trueIiEEEEEE10hipError_tPvRmT3_T4_T5_T6_T7_T9_mT8_P12ihipStream_tbDpT10_ENKUlT_T0_E_clISt17integral_constantIbLb1EES17_IbLb0EEEEDaS13_S14_EUlS13_E_NS1_11comp_targetILNS1_3genE0ELNS1_11target_archE4294967295ELNS1_3gpuE0ELNS1_3repE0EEENS1_30default_config_static_selectorELNS0_4arch9wavefront6targetE0EEEvT1_
; %bb.0:
	.section	.rodata,"a",@progbits
	.p2align	6, 0x0
	.amdhsa_kernel _ZN7rocprim17ROCPRIM_400000_NS6detail17trampoline_kernelINS0_14default_configENS1_25partition_config_selectorILNS1_17partition_subalgoE6EiNS0_10empty_typeEbEEZZNS1_14partition_implILS5_6ELb0ES3_mN6thrust23THRUST_200600_302600_NS6detail15normal_iteratorINSA_10device_ptrIiEEEEPS6_SG_NS0_5tupleIJSF_S6_EEENSH_IJSG_SG_EEES6_PlJNSB_9not_fun_tI7is_trueIiEEEEEE10hipError_tPvRmT3_T4_T5_T6_T7_T9_mT8_P12ihipStream_tbDpT10_ENKUlT_T0_E_clISt17integral_constantIbLb1EES17_IbLb0EEEEDaS13_S14_EUlS13_E_NS1_11comp_targetILNS1_3genE0ELNS1_11target_archE4294967295ELNS1_3gpuE0ELNS1_3repE0EEENS1_30default_config_static_selectorELNS0_4arch9wavefront6targetE0EEEvT1_
		.amdhsa_group_segment_fixed_size 0
		.amdhsa_private_segment_fixed_size 0
		.amdhsa_kernarg_size 112
		.amdhsa_user_sgpr_count 2
		.amdhsa_user_sgpr_dispatch_ptr 0
		.amdhsa_user_sgpr_queue_ptr 0
		.amdhsa_user_sgpr_kernarg_segment_ptr 1
		.amdhsa_user_sgpr_dispatch_id 0
		.amdhsa_user_sgpr_private_segment_size 0
		.amdhsa_wavefront_size32 1
		.amdhsa_uses_dynamic_stack 0
		.amdhsa_enable_private_segment 0
		.amdhsa_system_sgpr_workgroup_id_x 1
		.amdhsa_system_sgpr_workgroup_id_y 0
		.amdhsa_system_sgpr_workgroup_id_z 0
		.amdhsa_system_sgpr_workgroup_info 0
		.amdhsa_system_vgpr_workitem_id 0
		.amdhsa_next_free_vgpr 1
		.amdhsa_next_free_sgpr 1
		.amdhsa_reserve_vcc 0
		.amdhsa_float_round_mode_32 0
		.amdhsa_float_round_mode_16_64 0
		.amdhsa_float_denorm_mode_32 3
		.amdhsa_float_denorm_mode_16_64 3
		.amdhsa_fp16_overflow 0
		.amdhsa_workgroup_processor_mode 1
		.amdhsa_memory_ordered 1
		.amdhsa_forward_progress 1
		.amdhsa_inst_pref_size 0
		.amdhsa_round_robin_scheduling 0
		.amdhsa_exception_fp_ieee_invalid_op 0
		.amdhsa_exception_fp_denorm_src 0
		.amdhsa_exception_fp_ieee_div_zero 0
		.amdhsa_exception_fp_ieee_overflow 0
		.amdhsa_exception_fp_ieee_underflow 0
		.amdhsa_exception_fp_ieee_inexact 0
		.amdhsa_exception_int_div_zero 0
	.end_amdhsa_kernel
	.section	.text._ZN7rocprim17ROCPRIM_400000_NS6detail17trampoline_kernelINS0_14default_configENS1_25partition_config_selectorILNS1_17partition_subalgoE6EiNS0_10empty_typeEbEEZZNS1_14partition_implILS5_6ELb0ES3_mN6thrust23THRUST_200600_302600_NS6detail15normal_iteratorINSA_10device_ptrIiEEEEPS6_SG_NS0_5tupleIJSF_S6_EEENSH_IJSG_SG_EEES6_PlJNSB_9not_fun_tI7is_trueIiEEEEEE10hipError_tPvRmT3_T4_T5_T6_T7_T9_mT8_P12ihipStream_tbDpT10_ENKUlT_T0_E_clISt17integral_constantIbLb1EES17_IbLb0EEEEDaS13_S14_EUlS13_E_NS1_11comp_targetILNS1_3genE0ELNS1_11target_archE4294967295ELNS1_3gpuE0ELNS1_3repE0EEENS1_30default_config_static_selectorELNS0_4arch9wavefront6targetE0EEEvT1_,"axG",@progbits,_ZN7rocprim17ROCPRIM_400000_NS6detail17trampoline_kernelINS0_14default_configENS1_25partition_config_selectorILNS1_17partition_subalgoE6EiNS0_10empty_typeEbEEZZNS1_14partition_implILS5_6ELb0ES3_mN6thrust23THRUST_200600_302600_NS6detail15normal_iteratorINSA_10device_ptrIiEEEEPS6_SG_NS0_5tupleIJSF_S6_EEENSH_IJSG_SG_EEES6_PlJNSB_9not_fun_tI7is_trueIiEEEEEE10hipError_tPvRmT3_T4_T5_T6_T7_T9_mT8_P12ihipStream_tbDpT10_ENKUlT_T0_E_clISt17integral_constantIbLb1EES17_IbLb0EEEEDaS13_S14_EUlS13_E_NS1_11comp_targetILNS1_3genE0ELNS1_11target_archE4294967295ELNS1_3gpuE0ELNS1_3repE0EEENS1_30default_config_static_selectorELNS0_4arch9wavefront6targetE0EEEvT1_,comdat
.Lfunc_end1253:
	.size	_ZN7rocprim17ROCPRIM_400000_NS6detail17trampoline_kernelINS0_14default_configENS1_25partition_config_selectorILNS1_17partition_subalgoE6EiNS0_10empty_typeEbEEZZNS1_14partition_implILS5_6ELb0ES3_mN6thrust23THRUST_200600_302600_NS6detail15normal_iteratorINSA_10device_ptrIiEEEEPS6_SG_NS0_5tupleIJSF_S6_EEENSH_IJSG_SG_EEES6_PlJNSB_9not_fun_tI7is_trueIiEEEEEE10hipError_tPvRmT3_T4_T5_T6_T7_T9_mT8_P12ihipStream_tbDpT10_ENKUlT_T0_E_clISt17integral_constantIbLb1EES17_IbLb0EEEEDaS13_S14_EUlS13_E_NS1_11comp_targetILNS1_3genE0ELNS1_11target_archE4294967295ELNS1_3gpuE0ELNS1_3repE0EEENS1_30default_config_static_selectorELNS0_4arch9wavefront6targetE0EEEvT1_, .Lfunc_end1253-_ZN7rocprim17ROCPRIM_400000_NS6detail17trampoline_kernelINS0_14default_configENS1_25partition_config_selectorILNS1_17partition_subalgoE6EiNS0_10empty_typeEbEEZZNS1_14partition_implILS5_6ELb0ES3_mN6thrust23THRUST_200600_302600_NS6detail15normal_iteratorINSA_10device_ptrIiEEEEPS6_SG_NS0_5tupleIJSF_S6_EEENSH_IJSG_SG_EEES6_PlJNSB_9not_fun_tI7is_trueIiEEEEEE10hipError_tPvRmT3_T4_T5_T6_T7_T9_mT8_P12ihipStream_tbDpT10_ENKUlT_T0_E_clISt17integral_constantIbLb1EES17_IbLb0EEEEDaS13_S14_EUlS13_E_NS1_11comp_targetILNS1_3genE0ELNS1_11target_archE4294967295ELNS1_3gpuE0ELNS1_3repE0EEENS1_30default_config_static_selectorELNS0_4arch9wavefront6targetE0EEEvT1_
                                        ; -- End function
	.set _ZN7rocprim17ROCPRIM_400000_NS6detail17trampoline_kernelINS0_14default_configENS1_25partition_config_selectorILNS1_17partition_subalgoE6EiNS0_10empty_typeEbEEZZNS1_14partition_implILS5_6ELb0ES3_mN6thrust23THRUST_200600_302600_NS6detail15normal_iteratorINSA_10device_ptrIiEEEEPS6_SG_NS0_5tupleIJSF_S6_EEENSH_IJSG_SG_EEES6_PlJNSB_9not_fun_tI7is_trueIiEEEEEE10hipError_tPvRmT3_T4_T5_T6_T7_T9_mT8_P12ihipStream_tbDpT10_ENKUlT_T0_E_clISt17integral_constantIbLb1EES17_IbLb0EEEEDaS13_S14_EUlS13_E_NS1_11comp_targetILNS1_3genE0ELNS1_11target_archE4294967295ELNS1_3gpuE0ELNS1_3repE0EEENS1_30default_config_static_selectorELNS0_4arch9wavefront6targetE0EEEvT1_.num_vgpr, 0
	.set _ZN7rocprim17ROCPRIM_400000_NS6detail17trampoline_kernelINS0_14default_configENS1_25partition_config_selectorILNS1_17partition_subalgoE6EiNS0_10empty_typeEbEEZZNS1_14partition_implILS5_6ELb0ES3_mN6thrust23THRUST_200600_302600_NS6detail15normal_iteratorINSA_10device_ptrIiEEEEPS6_SG_NS0_5tupleIJSF_S6_EEENSH_IJSG_SG_EEES6_PlJNSB_9not_fun_tI7is_trueIiEEEEEE10hipError_tPvRmT3_T4_T5_T6_T7_T9_mT8_P12ihipStream_tbDpT10_ENKUlT_T0_E_clISt17integral_constantIbLb1EES17_IbLb0EEEEDaS13_S14_EUlS13_E_NS1_11comp_targetILNS1_3genE0ELNS1_11target_archE4294967295ELNS1_3gpuE0ELNS1_3repE0EEENS1_30default_config_static_selectorELNS0_4arch9wavefront6targetE0EEEvT1_.num_agpr, 0
	.set _ZN7rocprim17ROCPRIM_400000_NS6detail17trampoline_kernelINS0_14default_configENS1_25partition_config_selectorILNS1_17partition_subalgoE6EiNS0_10empty_typeEbEEZZNS1_14partition_implILS5_6ELb0ES3_mN6thrust23THRUST_200600_302600_NS6detail15normal_iteratorINSA_10device_ptrIiEEEEPS6_SG_NS0_5tupleIJSF_S6_EEENSH_IJSG_SG_EEES6_PlJNSB_9not_fun_tI7is_trueIiEEEEEE10hipError_tPvRmT3_T4_T5_T6_T7_T9_mT8_P12ihipStream_tbDpT10_ENKUlT_T0_E_clISt17integral_constantIbLb1EES17_IbLb0EEEEDaS13_S14_EUlS13_E_NS1_11comp_targetILNS1_3genE0ELNS1_11target_archE4294967295ELNS1_3gpuE0ELNS1_3repE0EEENS1_30default_config_static_selectorELNS0_4arch9wavefront6targetE0EEEvT1_.numbered_sgpr, 0
	.set _ZN7rocprim17ROCPRIM_400000_NS6detail17trampoline_kernelINS0_14default_configENS1_25partition_config_selectorILNS1_17partition_subalgoE6EiNS0_10empty_typeEbEEZZNS1_14partition_implILS5_6ELb0ES3_mN6thrust23THRUST_200600_302600_NS6detail15normal_iteratorINSA_10device_ptrIiEEEEPS6_SG_NS0_5tupleIJSF_S6_EEENSH_IJSG_SG_EEES6_PlJNSB_9not_fun_tI7is_trueIiEEEEEE10hipError_tPvRmT3_T4_T5_T6_T7_T9_mT8_P12ihipStream_tbDpT10_ENKUlT_T0_E_clISt17integral_constantIbLb1EES17_IbLb0EEEEDaS13_S14_EUlS13_E_NS1_11comp_targetILNS1_3genE0ELNS1_11target_archE4294967295ELNS1_3gpuE0ELNS1_3repE0EEENS1_30default_config_static_selectorELNS0_4arch9wavefront6targetE0EEEvT1_.num_named_barrier, 0
	.set _ZN7rocprim17ROCPRIM_400000_NS6detail17trampoline_kernelINS0_14default_configENS1_25partition_config_selectorILNS1_17partition_subalgoE6EiNS0_10empty_typeEbEEZZNS1_14partition_implILS5_6ELb0ES3_mN6thrust23THRUST_200600_302600_NS6detail15normal_iteratorINSA_10device_ptrIiEEEEPS6_SG_NS0_5tupleIJSF_S6_EEENSH_IJSG_SG_EEES6_PlJNSB_9not_fun_tI7is_trueIiEEEEEE10hipError_tPvRmT3_T4_T5_T6_T7_T9_mT8_P12ihipStream_tbDpT10_ENKUlT_T0_E_clISt17integral_constantIbLb1EES17_IbLb0EEEEDaS13_S14_EUlS13_E_NS1_11comp_targetILNS1_3genE0ELNS1_11target_archE4294967295ELNS1_3gpuE0ELNS1_3repE0EEENS1_30default_config_static_selectorELNS0_4arch9wavefront6targetE0EEEvT1_.private_seg_size, 0
	.set _ZN7rocprim17ROCPRIM_400000_NS6detail17trampoline_kernelINS0_14default_configENS1_25partition_config_selectorILNS1_17partition_subalgoE6EiNS0_10empty_typeEbEEZZNS1_14partition_implILS5_6ELb0ES3_mN6thrust23THRUST_200600_302600_NS6detail15normal_iteratorINSA_10device_ptrIiEEEEPS6_SG_NS0_5tupleIJSF_S6_EEENSH_IJSG_SG_EEES6_PlJNSB_9not_fun_tI7is_trueIiEEEEEE10hipError_tPvRmT3_T4_T5_T6_T7_T9_mT8_P12ihipStream_tbDpT10_ENKUlT_T0_E_clISt17integral_constantIbLb1EES17_IbLb0EEEEDaS13_S14_EUlS13_E_NS1_11comp_targetILNS1_3genE0ELNS1_11target_archE4294967295ELNS1_3gpuE0ELNS1_3repE0EEENS1_30default_config_static_selectorELNS0_4arch9wavefront6targetE0EEEvT1_.uses_vcc, 0
	.set _ZN7rocprim17ROCPRIM_400000_NS6detail17trampoline_kernelINS0_14default_configENS1_25partition_config_selectorILNS1_17partition_subalgoE6EiNS0_10empty_typeEbEEZZNS1_14partition_implILS5_6ELb0ES3_mN6thrust23THRUST_200600_302600_NS6detail15normal_iteratorINSA_10device_ptrIiEEEEPS6_SG_NS0_5tupleIJSF_S6_EEENSH_IJSG_SG_EEES6_PlJNSB_9not_fun_tI7is_trueIiEEEEEE10hipError_tPvRmT3_T4_T5_T6_T7_T9_mT8_P12ihipStream_tbDpT10_ENKUlT_T0_E_clISt17integral_constantIbLb1EES17_IbLb0EEEEDaS13_S14_EUlS13_E_NS1_11comp_targetILNS1_3genE0ELNS1_11target_archE4294967295ELNS1_3gpuE0ELNS1_3repE0EEENS1_30default_config_static_selectorELNS0_4arch9wavefront6targetE0EEEvT1_.uses_flat_scratch, 0
	.set _ZN7rocprim17ROCPRIM_400000_NS6detail17trampoline_kernelINS0_14default_configENS1_25partition_config_selectorILNS1_17partition_subalgoE6EiNS0_10empty_typeEbEEZZNS1_14partition_implILS5_6ELb0ES3_mN6thrust23THRUST_200600_302600_NS6detail15normal_iteratorINSA_10device_ptrIiEEEEPS6_SG_NS0_5tupleIJSF_S6_EEENSH_IJSG_SG_EEES6_PlJNSB_9not_fun_tI7is_trueIiEEEEEE10hipError_tPvRmT3_T4_T5_T6_T7_T9_mT8_P12ihipStream_tbDpT10_ENKUlT_T0_E_clISt17integral_constantIbLb1EES17_IbLb0EEEEDaS13_S14_EUlS13_E_NS1_11comp_targetILNS1_3genE0ELNS1_11target_archE4294967295ELNS1_3gpuE0ELNS1_3repE0EEENS1_30default_config_static_selectorELNS0_4arch9wavefront6targetE0EEEvT1_.has_dyn_sized_stack, 0
	.set _ZN7rocprim17ROCPRIM_400000_NS6detail17trampoline_kernelINS0_14default_configENS1_25partition_config_selectorILNS1_17partition_subalgoE6EiNS0_10empty_typeEbEEZZNS1_14partition_implILS5_6ELb0ES3_mN6thrust23THRUST_200600_302600_NS6detail15normal_iteratorINSA_10device_ptrIiEEEEPS6_SG_NS0_5tupleIJSF_S6_EEENSH_IJSG_SG_EEES6_PlJNSB_9not_fun_tI7is_trueIiEEEEEE10hipError_tPvRmT3_T4_T5_T6_T7_T9_mT8_P12ihipStream_tbDpT10_ENKUlT_T0_E_clISt17integral_constantIbLb1EES17_IbLb0EEEEDaS13_S14_EUlS13_E_NS1_11comp_targetILNS1_3genE0ELNS1_11target_archE4294967295ELNS1_3gpuE0ELNS1_3repE0EEENS1_30default_config_static_selectorELNS0_4arch9wavefront6targetE0EEEvT1_.has_recursion, 0
	.set _ZN7rocprim17ROCPRIM_400000_NS6detail17trampoline_kernelINS0_14default_configENS1_25partition_config_selectorILNS1_17partition_subalgoE6EiNS0_10empty_typeEbEEZZNS1_14partition_implILS5_6ELb0ES3_mN6thrust23THRUST_200600_302600_NS6detail15normal_iteratorINSA_10device_ptrIiEEEEPS6_SG_NS0_5tupleIJSF_S6_EEENSH_IJSG_SG_EEES6_PlJNSB_9not_fun_tI7is_trueIiEEEEEE10hipError_tPvRmT3_T4_T5_T6_T7_T9_mT8_P12ihipStream_tbDpT10_ENKUlT_T0_E_clISt17integral_constantIbLb1EES17_IbLb0EEEEDaS13_S14_EUlS13_E_NS1_11comp_targetILNS1_3genE0ELNS1_11target_archE4294967295ELNS1_3gpuE0ELNS1_3repE0EEENS1_30default_config_static_selectorELNS0_4arch9wavefront6targetE0EEEvT1_.has_indirect_call, 0
	.section	.AMDGPU.csdata,"",@progbits
; Kernel info:
; codeLenInByte = 0
; TotalNumSgprs: 0
; NumVgprs: 0
; ScratchSize: 0
; MemoryBound: 0
; FloatMode: 240
; IeeeMode: 1
; LDSByteSize: 0 bytes/workgroup (compile time only)
; SGPRBlocks: 0
; VGPRBlocks: 0
; NumSGPRsForWavesPerEU: 1
; NumVGPRsForWavesPerEU: 1
; Occupancy: 16
; WaveLimiterHint : 0
; COMPUTE_PGM_RSRC2:SCRATCH_EN: 0
; COMPUTE_PGM_RSRC2:USER_SGPR: 2
; COMPUTE_PGM_RSRC2:TRAP_HANDLER: 0
; COMPUTE_PGM_RSRC2:TGID_X_EN: 1
; COMPUTE_PGM_RSRC2:TGID_Y_EN: 0
; COMPUTE_PGM_RSRC2:TGID_Z_EN: 0
; COMPUTE_PGM_RSRC2:TIDIG_COMP_CNT: 0
	.section	.text._ZN7rocprim17ROCPRIM_400000_NS6detail17trampoline_kernelINS0_14default_configENS1_25partition_config_selectorILNS1_17partition_subalgoE6EiNS0_10empty_typeEbEEZZNS1_14partition_implILS5_6ELb0ES3_mN6thrust23THRUST_200600_302600_NS6detail15normal_iteratorINSA_10device_ptrIiEEEEPS6_SG_NS0_5tupleIJSF_S6_EEENSH_IJSG_SG_EEES6_PlJNSB_9not_fun_tI7is_trueIiEEEEEE10hipError_tPvRmT3_T4_T5_T6_T7_T9_mT8_P12ihipStream_tbDpT10_ENKUlT_T0_E_clISt17integral_constantIbLb1EES17_IbLb0EEEEDaS13_S14_EUlS13_E_NS1_11comp_targetILNS1_3genE5ELNS1_11target_archE942ELNS1_3gpuE9ELNS1_3repE0EEENS1_30default_config_static_selectorELNS0_4arch9wavefront6targetE0EEEvT1_,"axG",@progbits,_ZN7rocprim17ROCPRIM_400000_NS6detail17trampoline_kernelINS0_14default_configENS1_25partition_config_selectorILNS1_17partition_subalgoE6EiNS0_10empty_typeEbEEZZNS1_14partition_implILS5_6ELb0ES3_mN6thrust23THRUST_200600_302600_NS6detail15normal_iteratorINSA_10device_ptrIiEEEEPS6_SG_NS0_5tupleIJSF_S6_EEENSH_IJSG_SG_EEES6_PlJNSB_9not_fun_tI7is_trueIiEEEEEE10hipError_tPvRmT3_T4_T5_T6_T7_T9_mT8_P12ihipStream_tbDpT10_ENKUlT_T0_E_clISt17integral_constantIbLb1EES17_IbLb0EEEEDaS13_S14_EUlS13_E_NS1_11comp_targetILNS1_3genE5ELNS1_11target_archE942ELNS1_3gpuE9ELNS1_3repE0EEENS1_30default_config_static_selectorELNS0_4arch9wavefront6targetE0EEEvT1_,comdat
	.protected	_ZN7rocprim17ROCPRIM_400000_NS6detail17trampoline_kernelINS0_14default_configENS1_25partition_config_selectorILNS1_17partition_subalgoE6EiNS0_10empty_typeEbEEZZNS1_14partition_implILS5_6ELb0ES3_mN6thrust23THRUST_200600_302600_NS6detail15normal_iteratorINSA_10device_ptrIiEEEEPS6_SG_NS0_5tupleIJSF_S6_EEENSH_IJSG_SG_EEES6_PlJNSB_9not_fun_tI7is_trueIiEEEEEE10hipError_tPvRmT3_T4_T5_T6_T7_T9_mT8_P12ihipStream_tbDpT10_ENKUlT_T0_E_clISt17integral_constantIbLb1EES17_IbLb0EEEEDaS13_S14_EUlS13_E_NS1_11comp_targetILNS1_3genE5ELNS1_11target_archE942ELNS1_3gpuE9ELNS1_3repE0EEENS1_30default_config_static_selectorELNS0_4arch9wavefront6targetE0EEEvT1_ ; -- Begin function _ZN7rocprim17ROCPRIM_400000_NS6detail17trampoline_kernelINS0_14default_configENS1_25partition_config_selectorILNS1_17partition_subalgoE6EiNS0_10empty_typeEbEEZZNS1_14partition_implILS5_6ELb0ES3_mN6thrust23THRUST_200600_302600_NS6detail15normal_iteratorINSA_10device_ptrIiEEEEPS6_SG_NS0_5tupleIJSF_S6_EEENSH_IJSG_SG_EEES6_PlJNSB_9not_fun_tI7is_trueIiEEEEEE10hipError_tPvRmT3_T4_T5_T6_T7_T9_mT8_P12ihipStream_tbDpT10_ENKUlT_T0_E_clISt17integral_constantIbLb1EES17_IbLb0EEEEDaS13_S14_EUlS13_E_NS1_11comp_targetILNS1_3genE5ELNS1_11target_archE942ELNS1_3gpuE9ELNS1_3repE0EEENS1_30default_config_static_selectorELNS0_4arch9wavefront6targetE0EEEvT1_
	.globl	_ZN7rocprim17ROCPRIM_400000_NS6detail17trampoline_kernelINS0_14default_configENS1_25partition_config_selectorILNS1_17partition_subalgoE6EiNS0_10empty_typeEbEEZZNS1_14partition_implILS5_6ELb0ES3_mN6thrust23THRUST_200600_302600_NS6detail15normal_iteratorINSA_10device_ptrIiEEEEPS6_SG_NS0_5tupleIJSF_S6_EEENSH_IJSG_SG_EEES6_PlJNSB_9not_fun_tI7is_trueIiEEEEEE10hipError_tPvRmT3_T4_T5_T6_T7_T9_mT8_P12ihipStream_tbDpT10_ENKUlT_T0_E_clISt17integral_constantIbLb1EES17_IbLb0EEEEDaS13_S14_EUlS13_E_NS1_11comp_targetILNS1_3genE5ELNS1_11target_archE942ELNS1_3gpuE9ELNS1_3repE0EEENS1_30default_config_static_selectorELNS0_4arch9wavefront6targetE0EEEvT1_
	.p2align	8
	.type	_ZN7rocprim17ROCPRIM_400000_NS6detail17trampoline_kernelINS0_14default_configENS1_25partition_config_selectorILNS1_17partition_subalgoE6EiNS0_10empty_typeEbEEZZNS1_14partition_implILS5_6ELb0ES3_mN6thrust23THRUST_200600_302600_NS6detail15normal_iteratorINSA_10device_ptrIiEEEEPS6_SG_NS0_5tupleIJSF_S6_EEENSH_IJSG_SG_EEES6_PlJNSB_9not_fun_tI7is_trueIiEEEEEE10hipError_tPvRmT3_T4_T5_T6_T7_T9_mT8_P12ihipStream_tbDpT10_ENKUlT_T0_E_clISt17integral_constantIbLb1EES17_IbLb0EEEEDaS13_S14_EUlS13_E_NS1_11comp_targetILNS1_3genE5ELNS1_11target_archE942ELNS1_3gpuE9ELNS1_3repE0EEENS1_30default_config_static_selectorELNS0_4arch9wavefront6targetE0EEEvT1_,@function
_ZN7rocprim17ROCPRIM_400000_NS6detail17trampoline_kernelINS0_14default_configENS1_25partition_config_selectorILNS1_17partition_subalgoE6EiNS0_10empty_typeEbEEZZNS1_14partition_implILS5_6ELb0ES3_mN6thrust23THRUST_200600_302600_NS6detail15normal_iteratorINSA_10device_ptrIiEEEEPS6_SG_NS0_5tupleIJSF_S6_EEENSH_IJSG_SG_EEES6_PlJNSB_9not_fun_tI7is_trueIiEEEEEE10hipError_tPvRmT3_T4_T5_T6_T7_T9_mT8_P12ihipStream_tbDpT10_ENKUlT_T0_E_clISt17integral_constantIbLb1EES17_IbLb0EEEEDaS13_S14_EUlS13_E_NS1_11comp_targetILNS1_3genE5ELNS1_11target_archE942ELNS1_3gpuE9ELNS1_3repE0EEENS1_30default_config_static_selectorELNS0_4arch9wavefront6targetE0EEEvT1_: ; @_ZN7rocprim17ROCPRIM_400000_NS6detail17trampoline_kernelINS0_14default_configENS1_25partition_config_selectorILNS1_17partition_subalgoE6EiNS0_10empty_typeEbEEZZNS1_14partition_implILS5_6ELb0ES3_mN6thrust23THRUST_200600_302600_NS6detail15normal_iteratorINSA_10device_ptrIiEEEEPS6_SG_NS0_5tupleIJSF_S6_EEENSH_IJSG_SG_EEES6_PlJNSB_9not_fun_tI7is_trueIiEEEEEE10hipError_tPvRmT3_T4_T5_T6_T7_T9_mT8_P12ihipStream_tbDpT10_ENKUlT_T0_E_clISt17integral_constantIbLb1EES17_IbLb0EEEEDaS13_S14_EUlS13_E_NS1_11comp_targetILNS1_3genE5ELNS1_11target_archE942ELNS1_3gpuE9ELNS1_3repE0EEENS1_30default_config_static_selectorELNS0_4arch9wavefront6targetE0EEEvT1_
; %bb.0:
	.section	.rodata,"a",@progbits
	.p2align	6, 0x0
	.amdhsa_kernel _ZN7rocprim17ROCPRIM_400000_NS6detail17trampoline_kernelINS0_14default_configENS1_25partition_config_selectorILNS1_17partition_subalgoE6EiNS0_10empty_typeEbEEZZNS1_14partition_implILS5_6ELb0ES3_mN6thrust23THRUST_200600_302600_NS6detail15normal_iteratorINSA_10device_ptrIiEEEEPS6_SG_NS0_5tupleIJSF_S6_EEENSH_IJSG_SG_EEES6_PlJNSB_9not_fun_tI7is_trueIiEEEEEE10hipError_tPvRmT3_T4_T5_T6_T7_T9_mT8_P12ihipStream_tbDpT10_ENKUlT_T0_E_clISt17integral_constantIbLb1EES17_IbLb0EEEEDaS13_S14_EUlS13_E_NS1_11comp_targetILNS1_3genE5ELNS1_11target_archE942ELNS1_3gpuE9ELNS1_3repE0EEENS1_30default_config_static_selectorELNS0_4arch9wavefront6targetE0EEEvT1_
		.amdhsa_group_segment_fixed_size 0
		.amdhsa_private_segment_fixed_size 0
		.amdhsa_kernarg_size 112
		.amdhsa_user_sgpr_count 2
		.amdhsa_user_sgpr_dispatch_ptr 0
		.amdhsa_user_sgpr_queue_ptr 0
		.amdhsa_user_sgpr_kernarg_segment_ptr 1
		.amdhsa_user_sgpr_dispatch_id 0
		.amdhsa_user_sgpr_private_segment_size 0
		.amdhsa_wavefront_size32 1
		.amdhsa_uses_dynamic_stack 0
		.amdhsa_enable_private_segment 0
		.amdhsa_system_sgpr_workgroup_id_x 1
		.amdhsa_system_sgpr_workgroup_id_y 0
		.amdhsa_system_sgpr_workgroup_id_z 0
		.amdhsa_system_sgpr_workgroup_info 0
		.amdhsa_system_vgpr_workitem_id 0
		.amdhsa_next_free_vgpr 1
		.amdhsa_next_free_sgpr 1
		.amdhsa_reserve_vcc 0
		.amdhsa_float_round_mode_32 0
		.amdhsa_float_round_mode_16_64 0
		.amdhsa_float_denorm_mode_32 3
		.amdhsa_float_denorm_mode_16_64 3
		.amdhsa_fp16_overflow 0
		.amdhsa_workgroup_processor_mode 1
		.amdhsa_memory_ordered 1
		.amdhsa_forward_progress 1
		.amdhsa_inst_pref_size 0
		.amdhsa_round_robin_scheduling 0
		.amdhsa_exception_fp_ieee_invalid_op 0
		.amdhsa_exception_fp_denorm_src 0
		.amdhsa_exception_fp_ieee_div_zero 0
		.amdhsa_exception_fp_ieee_overflow 0
		.amdhsa_exception_fp_ieee_underflow 0
		.amdhsa_exception_fp_ieee_inexact 0
		.amdhsa_exception_int_div_zero 0
	.end_amdhsa_kernel
	.section	.text._ZN7rocprim17ROCPRIM_400000_NS6detail17trampoline_kernelINS0_14default_configENS1_25partition_config_selectorILNS1_17partition_subalgoE6EiNS0_10empty_typeEbEEZZNS1_14partition_implILS5_6ELb0ES3_mN6thrust23THRUST_200600_302600_NS6detail15normal_iteratorINSA_10device_ptrIiEEEEPS6_SG_NS0_5tupleIJSF_S6_EEENSH_IJSG_SG_EEES6_PlJNSB_9not_fun_tI7is_trueIiEEEEEE10hipError_tPvRmT3_T4_T5_T6_T7_T9_mT8_P12ihipStream_tbDpT10_ENKUlT_T0_E_clISt17integral_constantIbLb1EES17_IbLb0EEEEDaS13_S14_EUlS13_E_NS1_11comp_targetILNS1_3genE5ELNS1_11target_archE942ELNS1_3gpuE9ELNS1_3repE0EEENS1_30default_config_static_selectorELNS0_4arch9wavefront6targetE0EEEvT1_,"axG",@progbits,_ZN7rocprim17ROCPRIM_400000_NS6detail17trampoline_kernelINS0_14default_configENS1_25partition_config_selectorILNS1_17partition_subalgoE6EiNS0_10empty_typeEbEEZZNS1_14partition_implILS5_6ELb0ES3_mN6thrust23THRUST_200600_302600_NS6detail15normal_iteratorINSA_10device_ptrIiEEEEPS6_SG_NS0_5tupleIJSF_S6_EEENSH_IJSG_SG_EEES6_PlJNSB_9not_fun_tI7is_trueIiEEEEEE10hipError_tPvRmT3_T4_T5_T6_T7_T9_mT8_P12ihipStream_tbDpT10_ENKUlT_T0_E_clISt17integral_constantIbLb1EES17_IbLb0EEEEDaS13_S14_EUlS13_E_NS1_11comp_targetILNS1_3genE5ELNS1_11target_archE942ELNS1_3gpuE9ELNS1_3repE0EEENS1_30default_config_static_selectorELNS0_4arch9wavefront6targetE0EEEvT1_,comdat
.Lfunc_end1254:
	.size	_ZN7rocprim17ROCPRIM_400000_NS6detail17trampoline_kernelINS0_14default_configENS1_25partition_config_selectorILNS1_17partition_subalgoE6EiNS0_10empty_typeEbEEZZNS1_14partition_implILS5_6ELb0ES3_mN6thrust23THRUST_200600_302600_NS6detail15normal_iteratorINSA_10device_ptrIiEEEEPS6_SG_NS0_5tupleIJSF_S6_EEENSH_IJSG_SG_EEES6_PlJNSB_9not_fun_tI7is_trueIiEEEEEE10hipError_tPvRmT3_T4_T5_T6_T7_T9_mT8_P12ihipStream_tbDpT10_ENKUlT_T0_E_clISt17integral_constantIbLb1EES17_IbLb0EEEEDaS13_S14_EUlS13_E_NS1_11comp_targetILNS1_3genE5ELNS1_11target_archE942ELNS1_3gpuE9ELNS1_3repE0EEENS1_30default_config_static_selectorELNS0_4arch9wavefront6targetE0EEEvT1_, .Lfunc_end1254-_ZN7rocprim17ROCPRIM_400000_NS6detail17trampoline_kernelINS0_14default_configENS1_25partition_config_selectorILNS1_17partition_subalgoE6EiNS0_10empty_typeEbEEZZNS1_14partition_implILS5_6ELb0ES3_mN6thrust23THRUST_200600_302600_NS6detail15normal_iteratorINSA_10device_ptrIiEEEEPS6_SG_NS0_5tupleIJSF_S6_EEENSH_IJSG_SG_EEES6_PlJNSB_9not_fun_tI7is_trueIiEEEEEE10hipError_tPvRmT3_T4_T5_T6_T7_T9_mT8_P12ihipStream_tbDpT10_ENKUlT_T0_E_clISt17integral_constantIbLb1EES17_IbLb0EEEEDaS13_S14_EUlS13_E_NS1_11comp_targetILNS1_3genE5ELNS1_11target_archE942ELNS1_3gpuE9ELNS1_3repE0EEENS1_30default_config_static_selectorELNS0_4arch9wavefront6targetE0EEEvT1_
                                        ; -- End function
	.set _ZN7rocprim17ROCPRIM_400000_NS6detail17trampoline_kernelINS0_14default_configENS1_25partition_config_selectorILNS1_17partition_subalgoE6EiNS0_10empty_typeEbEEZZNS1_14partition_implILS5_6ELb0ES3_mN6thrust23THRUST_200600_302600_NS6detail15normal_iteratorINSA_10device_ptrIiEEEEPS6_SG_NS0_5tupleIJSF_S6_EEENSH_IJSG_SG_EEES6_PlJNSB_9not_fun_tI7is_trueIiEEEEEE10hipError_tPvRmT3_T4_T5_T6_T7_T9_mT8_P12ihipStream_tbDpT10_ENKUlT_T0_E_clISt17integral_constantIbLb1EES17_IbLb0EEEEDaS13_S14_EUlS13_E_NS1_11comp_targetILNS1_3genE5ELNS1_11target_archE942ELNS1_3gpuE9ELNS1_3repE0EEENS1_30default_config_static_selectorELNS0_4arch9wavefront6targetE0EEEvT1_.num_vgpr, 0
	.set _ZN7rocprim17ROCPRIM_400000_NS6detail17trampoline_kernelINS0_14default_configENS1_25partition_config_selectorILNS1_17partition_subalgoE6EiNS0_10empty_typeEbEEZZNS1_14partition_implILS5_6ELb0ES3_mN6thrust23THRUST_200600_302600_NS6detail15normal_iteratorINSA_10device_ptrIiEEEEPS6_SG_NS0_5tupleIJSF_S6_EEENSH_IJSG_SG_EEES6_PlJNSB_9not_fun_tI7is_trueIiEEEEEE10hipError_tPvRmT3_T4_T5_T6_T7_T9_mT8_P12ihipStream_tbDpT10_ENKUlT_T0_E_clISt17integral_constantIbLb1EES17_IbLb0EEEEDaS13_S14_EUlS13_E_NS1_11comp_targetILNS1_3genE5ELNS1_11target_archE942ELNS1_3gpuE9ELNS1_3repE0EEENS1_30default_config_static_selectorELNS0_4arch9wavefront6targetE0EEEvT1_.num_agpr, 0
	.set _ZN7rocprim17ROCPRIM_400000_NS6detail17trampoline_kernelINS0_14default_configENS1_25partition_config_selectorILNS1_17partition_subalgoE6EiNS0_10empty_typeEbEEZZNS1_14partition_implILS5_6ELb0ES3_mN6thrust23THRUST_200600_302600_NS6detail15normal_iteratorINSA_10device_ptrIiEEEEPS6_SG_NS0_5tupleIJSF_S6_EEENSH_IJSG_SG_EEES6_PlJNSB_9not_fun_tI7is_trueIiEEEEEE10hipError_tPvRmT3_T4_T5_T6_T7_T9_mT8_P12ihipStream_tbDpT10_ENKUlT_T0_E_clISt17integral_constantIbLb1EES17_IbLb0EEEEDaS13_S14_EUlS13_E_NS1_11comp_targetILNS1_3genE5ELNS1_11target_archE942ELNS1_3gpuE9ELNS1_3repE0EEENS1_30default_config_static_selectorELNS0_4arch9wavefront6targetE0EEEvT1_.numbered_sgpr, 0
	.set _ZN7rocprim17ROCPRIM_400000_NS6detail17trampoline_kernelINS0_14default_configENS1_25partition_config_selectorILNS1_17partition_subalgoE6EiNS0_10empty_typeEbEEZZNS1_14partition_implILS5_6ELb0ES3_mN6thrust23THRUST_200600_302600_NS6detail15normal_iteratorINSA_10device_ptrIiEEEEPS6_SG_NS0_5tupleIJSF_S6_EEENSH_IJSG_SG_EEES6_PlJNSB_9not_fun_tI7is_trueIiEEEEEE10hipError_tPvRmT3_T4_T5_T6_T7_T9_mT8_P12ihipStream_tbDpT10_ENKUlT_T0_E_clISt17integral_constantIbLb1EES17_IbLb0EEEEDaS13_S14_EUlS13_E_NS1_11comp_targetILNS1_3genE5ELNS1_11target_archE942ELNS1_3gpuE9ELNS1_3repE0EEENS1_30default_config_static_selectorELNS0_4arch9wavefront6targetE0EEEvT1_.num_named_barrier, 0
	.set _ZN7rocprim17ROCPRIM_400000_NS6detail17trampoline_kernelINS0_14default_configENS1_25partition_config_selectorILNS1_17partition_subalgoE6EiNS0_10empty_typeEbEEZZNS1_14partition_implILS5_6ELb0ES3_mN6thrust23THRUST_200600_302600_NS6detail15normal_iteratorINSA_10device_ptrIiEEEEPS6_SG_NS0_5tupleIJSF_S6_EEENSH_IJSG_SG_EEES6_PlJNSB_9not_fun_tI7is_trueIiEEEEEE10hipError_tPvRmT3_T4_T5_T6_T7_T9_mT8_P12ihipStream_tbDpT10_ENKUlT_T0_E_clISt17integral_constantIbLb1EES17_IbLb0EEEEDaS13_S14_EUlS13_E_NS1_11comp_targetILNS1_3genE5ELNS1_11target_archE942ELNS1_3gpuE9ELNS1_3repE0EEENS1_30default_config_static_selectorELNS0_4arch9wavefront6targetE0EEEvT1_.private_seg_size, 0
	.set _ZN7rocprim17ROCPRIM_400000_NS6detail17trampoline_kernelINS0_14default_configENS1_25partition_config_selectorILNS1_17partition_subalgoE6EiNS0_10empty_typeEbEEZZNS1_14partition_implILS5_6ELb0ES3_mN6thrust23THRUST_200600_302600_NS6detail15normal_iteratorINSA_10device_ptrIiEEEEPS6_SG_NS0_5tupleIJSF_S6_EEENSH_IJSG_SG_EEES6_PlJNSB_9not_fun_tI7is_trueIiEEEEEE10hipError_tPvRmT3_T4_T5_T6_T7_T9_mT8_P12ihipStream_tbDpT10_ENKUlT_T0_E_clISt17integral_constantIbLb1EES17_IbLb0EEEEDaS13_S14_EUlS13_E_NS1_11comp_targetILNS1_3genE5ELNS1_11target_archE942ELNS1_3gpuE9ELNS1_3repE0EEENS1_30default_config_static_selectorELNS0_4arch9wavefront6targetE0EEEvT1_.uses_vcc, 0
	.set _ZN7rocprim17ROCPRIM_400000_NS6detail17trampoline_kernelINS0_14default_configENS1_25partition_config_selectorILNS1_17partition_subalgoE6EiNS0_10empty_typeEbEEZZNS1_14partition_implILS5_6ELb0ES3_mN6thrust23THRUST_200600_302600_NS6detail15normal_iteratorINSA_10device_ptrIiEEEEPS6_SG_NS0_5tupleIJSF_S6_EEENSH_IJSG_SG_EEES6_PlJNSB_9not_fun_tI7is_trueIiEEEEEE10hipError_tPvRmT3_T4_T5_T6_T7_T9_mT8_P12ihipStream_tbDpT10_ENKUlT_T0_E_clISt17integral_constantIbLb1EES17_IbLb0EEEEDaS13_S14_EUlS13_E_NS1_11comp_targetILNS1_3genE5ELNS1_11target_archE942ELNS1_3gpuE9ELNS1_3repE0EEENS1_30default_config_static_selectorELNS0_4arch9wavefront6targetE0EEEvT1_.uses_flat_scratch, 0
	.set _ZN7rocprim17ROCPRIM_400000_NS6detail17trampoline_kernelINS0_14default_configENS1_25partition_config_selectorILNS1_17partition_subalgoE6EiNS0_10empty_typeEbEEZZNS1_14partition_implILS5_6ELb0ES3_mN6thrust23THRUST_200600_302600_NS6detail15normal_iteratorINSA_10device_ptrIiEEEEPS6_SG_NS0_5tupleIJSF_S6_EEENSH_IJSG_SG_EEES6_PlJNSB_9not_fun_tI7is_trueIiEEEEEE10hipError_tPvRmT3_T4_T5_T6_T7_T9_mT8_P12ihipStream_tbDpT10_ENKUlT_T0_E_clISt17integral_constantIbLb1EES17_IbLb0EEEEDaS13_S14_EUlS13_E_NS1_11comp_targetILNS1_3genE5ELNS1_11target_archE942ELNS1_3gpuE9ELNS1_3repE0EEENS1_30default_config_static_selectorELNS0_4arch9wavefront6targetE0EEEvT1_.has_dyn_sized_stack, 0
	.set _ZN7rocprim17ROCPRIM_400000_NS6detail17trampoline_kernelINS0_14default_configENS1_25partition_config_selectorILNS1_17partition_subalgoE6EiNS0_10empty_typeEbEEZZNS1_14partition_implILS5_6ELb0ES3_mN6thrust23THRUST_200600_302600_NS6detail15normal_iteratorINSA_10device_ptrIiEEEEPS6_SG_NS0_5tupleIJSF_S6_EEENSH_IJSG_SG_EEES6_PlJNSB_9not_fun_tI7is_trueIiEEEEEE10hipError_tPvRmT3_T4_T5_T6_T7_T9_mT8_P12ihipStream_tbDpT10_ENKUlT_T0_E_clISt17integral_constantIbLb1EES17_IbLb0EEEEDaS13_S14_EUlS13_E_NS1_11comp_targetILNS1_3genE5ELNS1_11target_archE942ELNS1_3gpuE9ELNS1_3repE0EEENS1_30default_config_static_selectorELNS0_4arch9wavefront6targetE0EEEvT1_.has_recursion, 0
	.set _ZN7rocprim17ROCPRIM_400000_NS6detail17trampoline_kernelINS0_14default_configENS1_25partition_config_selectorILNS1_17partition_subalgoE6EiNS0_10empty_typeEbEEZZNS1_14partition_implILS5_6ELb0ES3_mN6thrust23THRUST_200600_302600_NS6detail15normal_iteratorINSA_10device_ptrIiEEEEPS6_SG_NS0_5tupleIJSF_S6_EEENSH_IJSG_SG_EEES6_PlJNSB_9not_fun_tI7is_trueIiEEEEEE10hipError_tPvRmT3_T4_T5_T6_T7_T9_mT8_P12ihipStream_tbDpT10_ENKUlT_T0_E_clISt17integral_constantIbLb1EES17_IbLb0EEEEDaS13_S14_EUlS13_E_NS1_11comp_targetILNS1_3genE5ELNS1_11target_archE942ELNS1_3gpuE9ELNS1_3repE0EEENS1_30default_config_static_selectorELNS0_4arch9wavefront6targetE0EEEvT1_.has_indirect_call, 0
	.section	.AMDGPU.csdata,"",@progbits
; Kernel info:
; codeLenInByte = 0
; TotalNumSgprs: 0
; NumVgprs: 0
; ScratchSize: 0
; MemoryBound: 0
; FloatMode: 240
; IeeeMode: 1
; LDSByteSize: 0 bytes/workgroup (compile time only)
; SGPRBlocks: 0
; VGPRBlocks: 0
; NumSGPRsForWavesPerEU: 1
; NumVGPRsForWavesPerEU: 1
; Occupancy: 16
; WaveLimiterHint : 0
; COMPUTE_PGM_RSRC2:SCRATCH_EN: 0
; COMPUTE_PGM_RSRC2:USER_SGPR: 2
; COMPUTE_PGM_RSRC2:TRAP_HANDLER: 0
; COMPUTE_PGM_RSRC2:TGID_X_EN: 1
; COMPUTE_PGM_RSRC2:TGID_Y_EN: 0
; COMPUTE_PGM_RSRC2:TGID_Z_EN: 0
; COMPUTE_PGM_RSRC2:TIDIG_COMP_CNT: 0
	.section	.text._ZN7rocprim17ROCPRIM_400000_NS6detail17trampoline_kernelINS0_14default_configENS1_25partition_config_selectorILNS1_17partition_subalgoE6EiNS0_10empty_typeEbEEZZNS1_14partition_implILS5_6ELb0ES3_mN6thrust23THRUST_200600_302600_NS6detail15normal_iteratorINSA_10device_ptrIiEEEEPS6_SG_NS0_5tupleIJSF_S6_EEENSH_IJSG_SG_EEES6_PlJNSB_9not_fun_tI7is_trueIiEEEEEE10hipError_tPvRmT3_T4_T5_T6_T7_T9_mT8_P12ihipStream_tbDpT10_ENKUlT_T0_E_clISt17integral_constantIbLb1EES17_IbLb0EEEEDaS13_S14_EUlS13_E_NS1_11comp_targetILNS1_3genE4ELNS1_11target_archE910ELNS1_3gpuE8ELNS1_3repE0EEENS1_30default_config_static_selectorELNS0_4arch9wavefront6targetE0EEEvT1_,"axG",@progbits,_ZN7rocprim17ROCPRIM_400000_NS6detail17trampoline_kernelINS0_14default_configENS1_25partition_config_selectorILNS1_17partition_subalgoE6EiNS0_10empty_typeEbEEZZNS1_14partition_implILS5_6ELb0ES3_mN6thrust23THRUST_200600_302600_NS6detail15normal_iteratorINSA_10device_ptrIiEEEEPS6_SG_NS0_5tupleIJSF_S6_EEENSH_IJSG_SG_EEES6_PlJNSB_9not_fun_tI7is_trueIiEEEEEE10hipError_tPvRmT3_T4_T5_T6_T7_T9_mT8_P12ihipStream_tbDpT10_ENKUlT_T0_E_clISt17integral_constantIbLb1EES17_IbLb0EEEEDaS13_S14_EUlS13_E_NS1_11comp_targetILNS1_3genE4ELNS1_11target_archE910ELNS1_3gpuE8ELNS1_3repE0EEENS1_30default_config_static_selectorELNS0_4arch9wavefront6targetE0EEEvT1_,comdat
	.protected	_ZN7rocprim17ROCPRIM_400000_NS6detail17trampoline_kernelINS0_14default_configENS1_25partition_config_selectorILNS1_17partition_subalgoE6EiNS0_10empty_typeEbEEZZNS1_14partition_implILS5_6ELb0ES3_mN6thrust23THRUST_200600_302600_NS6detail15normal_iteratorINSA_10device_ptrIiEEEEPS6_SG_NS0_5tupleIJSF_S6_EEENSH_IJSG_SG_EEES6_PlJNSB_9not_fun_tI7is_trueIiEEEEEE10hipError_tPvRmT3_T4_T5_T6_T7_T9_mT8_P12ihipStream_tbDpT10_ENKUlT_T0_E_clISt17integral_constantIbLb1EES17_IbLb0EEEEDaS13_S14_EUlS13_E_NS1_11comp_targetILNS1_3genE4ELNS1_11target_archE910ELNS1_3gpuE8ELNS1_3repE0EEENS1_30default_config_static_selectorELNS0_4arch9wavefront6targetE0EEEvT1_ ; -- Begin function _ZN7rocprim17ROCPRIM_400000_NS6detail17trampoline_kernelINS0_14default_configENS1_25partition_config_selectorILNS1_17partition_subalgoE6EiNS0_10empty_typeEbEEZZNS1_14partition_implILS5_6ELb0ES3_mN6thrust23THRUST_200600_302600_NS6detail15normal_iteratorINSA_10device_ptrIiEEEEPS6_SG_NS0_5tupleIJSF_S6_EEENSH_IJSG_SG_EEES6_PlJNSB_9not_fun_tI7is_trueIiEEEEEE10hipError_tPvRmT3_T4_T5_T6_T7_T9_mT8_P12ihipStream_tbDpT10_ENKUlT_T0_E_clISt17integral_constantIbLb1EES17_IbLb0EEEEDaS13_S14_EUlS13_E_NS1_11comp_targetILNS1_3genE4ELNS1_11target_archE910ELNS1_3gpuE8ELNS1_3repE0EEENS1_30default_config_static_selectorELNS0_4arch9wavefront6targetE0EEEvT1_
	.globl	_ZN7rocprim17ROCPRIM_400000_NS6detail17trampoline_kernelINS0_14default_configENS1_25partition_config_selectorILNS1_17partition_subalgoE6EiNS0_10empty_typeEbEEZZNS1_14partition_implILS5_6ELb0ES3_mN6thrust23THRUST_200600_302600_NS6detail15normal_iteratorINSA_10device_ptrIiEEEEPS6_SG_NS0_5tupleIJSF_S6_EEENSH_IJSG_SG_EEES6_PlJNSB_9not_fun_tI7is_trueIiEEEEEE10hipError_tPvRmT3_T4_T5_T6_T7_T9_mT8_P12ihipStream_tbDpT10_ENKUlT_T0_E_clISt17integral_constantIbLb1EES17_IbLb0EEEEDaS13_S14_EUlS13_E_NS1_11comp_targetILNS1_3genE4ELNS1_11target_archE910ELNS1_3gpuE8ELNS1_3repE0EEENS1_30default_config_static_selectorELNS0_4arch9wavefront6targetE0EEEvT1_
	.p2align	8
	.type	_ZN7rocprim17ROCPRIM_400000_NS6detail17trampoline_kernelINS0_14default_configENS1_25partition_config_selectorILNS1_17partition_subalgoE6EiNS0_10empty_typeEbEEZZNS1_14partition_implILS5_6ELb0ES3_mN6thrust23THRUST_200600_302600_NS6detail15normal_iteratorINSA_10device_ptrIiEEEEPS6_SG_NS0_5tupleIJSF_S6_EEENSH_IJSG_SG_EEES6_PlJNSB_9not_fun_tI7is_trueIiEEEEEE10hipError_tPvRmT3_T4_T5_T6_T7_T9_mT8_P12ihipStream_tbDpT10_ENKUlT_T0_E_clISt17integral_constantIbLb1EES17_IbLb0EEEEDaS13_S14_EUlS13_E_NS1_11comp_targetILNS1_3genE4ELNS1_11target_archE910ELNS1_3gpuE8ELNS1_3repE0EEENS1_30default_config_static_selectorELNS0_4arch9wavefront6targetE0EEEvT1_,@function
_ZN7rocprim17ROCPRIM_400000_NS6detail17trampoline_kernelINS0_14default_configENS1_25partition_config_selectorILNS1_17partition_subalgoE6EiNS0_10empty_typeEbEEZZNS1_14partition_implILS5_6ELb0ES3_mN6thrust23THRUST_200600_302600_NS6detail15normal_iteratorINSA_10device_ptrIiEEEEPS6_SG_NS0_5tupleIJSF_S6_EEENSH_IJSG_SG_EEES6_PlJNSB_9not_fun_tI7is_trueIiEEEEEE10hipError_tPvRmT3_T4_T5_T6_T7_T9_mT8_P12ihipStream_tbDpT10_ENKUlT_T0_E_clISt17integral_constantIbLb1EES17_IbLb0EEEEDaS13_S14_EUlS13_E_NS1_11comp_targetILNS1_3genE4ELNS1_11target_archE910ELNS1_3gpuE8ELNS1_3repE0EEENS1_30default_config_static_selectorELNS0_4arch9wavefront6targetE0EEEvT1_: ; @_ZN7rocprim17ROCPRIM_400000_NS6detail17trampoline_kernelINS0_14default_configENS1_25partition_config_selectorILNS1_17partition_subalgoE6EiNS0_10empty_typeEbEEZZNS1_14partition_implILS5_6ELb0ES3_mN6thrust23THRUST_200600_302600_NS6detail15normal_iteratorINSA_10device_ptrIiEEEEPS6_SG_NS0_5tupleIJSF_S6_EEENSH_IJSG_SG_EEES6_PlJNSB_9not_fun_tI7is_trueIiEEEEEE10hipError_tPvRmT3_T4_T5_T6_T7_T9_mT8_P12ihipStream_tbDpT10_ENKUlT_T0_E_clISt17integral_constantIbLb1EES17_IbLb0EEEEDaS13_S14_EUlS13_E_NS1_11comp_targetILNS1_3genE4ELNS1_11target_archE910ELNS1_3gpuE8ELNS1_3repE0EEENS1_30default_config_static_selectorELNS0_4arch9wavefront6targetE0EEEvT1_
; %bb.0:
	.section	.rodata,"a",@progbits
	.p2align	6, 0x0
	.amdhsa_kernel _ZN7rocprim17ROCPRIM_400000_NS6detail17trampoline_kernelINS0_14default_configENS1_25partition_config_selectorILNS1_17partition_subalgoE6EiNS0_10empty_typeEbEEZZNS1_14partition_implILS5_6ELb0ES3_mN6thrust23THRUST_200600_302600_NS6detail15normal_iteratorINSA_10device_ptrIiEEEEPS6_SG_NS0_5tupleIJSF_S6_EEENSH_IJSG_SG_EEES6_PlJNSB_9not_fun_tI7is_trueIiEEEEEE10hipError_tPvRmT3_T4_T5_T6_T7_T9_mT8_P12ihipStream_tbDpT10_ENKUlT_T0_E_clISt17integral_constantIbLb1EES17_IbLb0EEEEDaS13_S14_EUlS13_E_NS1_11comp_targetILNS1_3genE4ELNS1_11target_archE910ELNS1_3gpuE8ELNS1_3repE0EEENS1_30default_config_static_selectorELNS0_4arch9wavefront6targetE0EEEvT1_
		.amdhsa_group_segment_fixed_size 0
		.amdhsa_private_segment_fixed_size 0
		.amdhsa_kernarg_size 112
		.amdhsa_user_sgpr_count 2
		.amdhsa_user_sgpr_dispatch_ptr 0
		.amdhsa_user_sgpr_queue_ptr 0
		.amdhsa_user_sgpr_kernarg_segment_ptr 1
		.amdhsa_user_sgpr_dispatch_id 0
		.amdhsa_user_sgpr_private_segment_size 0
		.amdhsa_wavefront_size32 1
		.amdhsa_uses_dynamic_stack 0
		.amdhsa_enable_private_segment 0
		.amdhsa_system_sgpr_workgroup_id_x 1
		.amdhsa_system_sgpr_workgroup_id_y 0
		.amdhsa_system_sgpr_workgroup_id_z 0
		.amdhsa_system_sgpr_workgroup_info 0
		.amdhsa_system_vgpr_workitem_id 0
		.amdhsa_next_free_vgpr 1
		.amdhsa_next_free_sgpr 1
		.amdhsa_reserve_vcc 0
		.amdhsa_float_round_mode_32 0
		.amdhsa_float_round_mode_16_64 0
		.amdhsa_float_denorm_mode_32 3
		.amdhsa_float_denorm_mode_16_64 3
		.amdhsa_fp16_overflow 0
		.amdhsa_workgroup_processor_mode 1
		.amdhsa_memory_ordered 1
		.amdhsa_forward_progress 1
		.amdhsa_inst_pref_size 0
		.amdhsa_round_robin_scheduling 0
		.amdhsa_exception_fp_ieee_invalid_op 0
		.amdhsa_exception_fp_denorm_src 0
		.amdhsa_exception_fp_ieee_div_zero 0
		.amdhsa_exception_fp_ieee_overflow 0
		.amdhsa_exception_fp_ieee_underflow 0
		.amdhsa_exception_fp_ieee_inexact 0
		.amdhsa_exception_int_div_zero 0
	.end_amdhsa_kernel
	.section	.text._ZN7rocprim17ROCPRIM_400000_NS6detail17trampoline_kernelINS0_14default_configENS1_25partition_config_selectorILNS1_17partition_subalgoE6EiNS0_10empty_typeEbEEZZNS1_14partition_implILS5_6ELb0ES3_mN6thrust23THRUST_200600_302600_NS6detail15normal_iteratorINSA_10device_ptrIiEEEEPS6_SG_NS0_5tupleIJSF_S6_EEENSH_IJSG_SG_EEES6_PlJNSB_9not_fun_tI7is_trueIiEEEEEE10hipError_tPvRmT3_T4_T5_T6_T7_T9_mT8_P12ihipStream_tbDpT10_ENKUlT_T0_E_clISt17integral_constantIbLb1EES17_IbLb0EEEEDaS13_S14_EUlS13_E_NS1_11comp_targetILNS1_3genE4ELNS1_11target_archE910ELNS1_3gpuE8ELNS1_3repE0EEENS1_30default_config_static_selectorELNS0_4arch9wavefront6targetE0EEEvT1_,"axG",@progbits,_ZN7rocprim17ROCPRIM_400000_NS6detail17trampoline_kernelINS0_14default_configENS1_25partition_config_selectorILNS1_17partition_subalgoE6EiNS0_10empty_typeEbEEZZNS1_14partition_implILS5_6ELb0ES3_mN6thrust23THRUST_200600_302600_NS6detail15normal_iteratorINSA_10device_ptrIiEEEEPS6_SG_NS0_5tupleIJSF_S6_EEENSH_IJSG_SG_EEES6_PlJNSB_9not_fun_tI7is_trueIiEEEEEE10hipError_tPvRmT3_T4_T5_T6_T7_T9_mT8_P12ihipStream_tbDpT10_ENKUlT_T0_E_clISt17integral_constantIbLb1EES17_IbLb0EEEEDaS13_S14_EUlS13_E_NS1_11comp_targetILNS1_3genE4ELNS1_11target_archE910ELNS1_3gpuE8ELNS1_3repE0EEENS1_30default_config_static_selectorELNS0_4arch9wavefront6targetE0EEEvT1_,comdat
.Lfunc_end1255:
	.size	_ZN7rocprim17ROCPRIM_400000_NS6detail17trampoline_kernelINS0_14default_configENS1_25partition_config_selectorILNS1_17partition_subalgoE6EiNS0_10empty_typeEbEEZZNS1_14partition_implILS5_6ELb0ES3_mN6thrust23THRUST_200600_302600_NS6detail15normal_iteratorINSA_10device_ptrIiEEEEPS6_SG_NS0_5tupleIJSF_S6_EEENSH_IJSG_SG_EEES6_PlJNSB_9not_fun_tI7is_trueIiEEEEEE10hipError_tPvRmT3_T4_T5_T6_T7_T9_mT8_P12ihipStream_tbDpT10_ENKUlT_T0_E_clISt17integral_constantIbLb1EES17_IbLb0EEEEDaS13_S14_EUlS13_E_NS1_11comp_targetILNS1_3genE4ELNS1_11target_archE910ELNS1_3gpuE8ELNS1_3repE0EEENS1_30default_config_static_selectorELNS0_4arch9wavefront6targetE0EEEvT1_, .Lfunc_end1255-_ZN7rocprim17ROCPRIM_400000_NS6detail17trampoline_kernelINS0_14default_configENS1_25partition_config_selectorILNS1_17partition_subalgoE6EiNS0_10empty_typeEbEEZZNS1_14partition_implILS5_6ELb0ES3_mN6thrust23THRUST_200600_302600_NS6detail15normal_iteratorINSA_10device_ptrIiEEEEPS6_SG_NS0_5tupleIJSF_S6_EEENSH_IJSG_SG_EEES6_PlJNSB_9not_fun_tI7is_trueIiEEEEEE10hipError_tPvRmT3_T4_T5_T6_T7_T9_mT8_P12ihipStream_tbDpT10_ENKUlT_T0_E_clISt17integral_constantIbLb1EES17_IbLb0EEEEDaS13_S14_EUlS13_E_NS1_11comp_targetILNS1_3genE4ELNS1_11target_archE910ELNS1_3gpuE8ELNS1_3repE0EEENS1_30default_config_static_selectorELNS0_4arch9wavefront6targetE0EEEvT1_
                                        ; -- End function
	.set _ZN7rocprim17ROCPRIM_400000_NS6detail17trampoline_kernelINS0_14default_configENS1_25partition_config_selectorILNS1_17partition_subalgoE6EiNS0_10empty_typeEbEEZZNS1_14partition_implILS5_6ELb0ES3_mN6thrust23THRUST_200600_302600_NS6detail15normal_iteratorINSA_10device_ptrIiEEEEPS6_SG_NS0_5tupleIJSF_S6_EEENSH_IJSG_SG_EEES6_PlJNSB_9not_fun_tI7is_trueIiEEEEEE10hipError_tPvRmT3_T4_T5_T6_T7_T9_mT8_P12ihipStream_tbDpT10_ENKUlT_T0_E_clISt17integral_constantIbLb1EES17_IbLb0EEEEDaS13_S14_EUlS13_E_NS1_11comp_targetILNS1_3genE4ELNS1_11target_archE910ELNS1_3gpuE8ELNS1_3repE0EEENS1_30default_config_static_selectorELNS0_4arch9wavefront6targetE0EEEvT1_.num_vgpr, 0
	.set _ZN7rocprim17ROCPRIM_400000_NS6detail17trampoline_kernelINS0_14default_configENS1_25partition_config_selectorILNS1_17partition_subalgoE6EiNS0_10empty_typeEbEEZZNS1_14partition_implILS5_6ELb0ES3_mN6thrust23THRUST_200600_302600_NS6detail15normal_iteratorINSA_10device_ptrIiEEEEPS6_SG_NS0_5tupleIJSF_S6_EEENSH_IJSG_SG_EEES6_PlJNSB_9not_fun_tI7is_trueIiEEEEEE10hipError_tPvRmT3_T4_T5_T6_T7_T9_mT8_P12ihipStream_tbDpT10_ENKUlT_T0_E_clISt17integral_constantIbLb1EES17_IbLb0EEEEDaS13_S14_EUlS13_E_NS1_11comp_targetILNS1_3genE4ELNS1_11target_archE910ELNS1_3gpuE8ELNS1_3repE0EEENS1_30default_config_static_selectorELNS0_4arch9wavefront6targetE0EEEvT1_.num_agpr, 0
	.set _ZN7rocprim17ROCPRIM_400000_NS6detail17trampoline_kernelINS0_14default_configENS1_25partition_config_selectorILNS1_17partition_subalgoE6EiNS0_10empty_typeEbEEZZNS1_14partition_implILS5_6ELb0ES3_mN6thrust23THRUST_200600_302600_NS6detail15normal_iteratorINSA_10device_ptrIiEEEEPS6_SG_NS0_5tupleIJSF_S6_EEENSH_IJSG_SG_EEES6_PlJNSB_9not_fun_tI7is_trueIiEEEEEE10hipError_tPvRmT3_T4_T5_T6_T7_T9_mT8_P12ihipStream_tbDpT10_ENKUlT_T0_E_clISt17integral_constantIbLb1EES17_IbLb0EEEEDaS13_S14_EUlS13_E_NS1_11comp_targetILNS1_3genE4ELNS1_11target_archE910ELNS1_3gpuE8ELNS1_3repE0EEENS1_30default_config_static_selectorELNS0_4arch9wavefront6targetE0EEEvT1_.numbered_sgpr, 0
	.set _ZN7rocprim17ROCPRIM_400000_NS6detail17trampoline_kernelINS0_14default_configENS1_25partition_config_selectorILNS1_17partition_subalgoE6EiNS0_10empty_typeEbEEZZNS1_14partition_implILS5_6ELb0ES3_mN6thrust23THRUST_200600_302600_NS6detail15normal_iteratorINSA_10device_ptrIiEEEEPS6_SG_NS0_5tupleIJSF_S6_EEENSH_IJSG_SG_EEES6_PlJNSB_9not_fun_tI7is_trueIiEEEEEE10hipError_tPvRmT3_T4_T5_T6_T7_T9_mT8_P12ihipStream_tbDpT10_ENKUlT_T0_E_clISt17integral_constantIbLb1EES17_IbLb0EEEEDaS13_S14_EUlS13_E_NS1_11comp_targetILNS1_3genE4ELNS1_11target_archE910ELNS1_3gpuE8ELNS1_3repE0EEENS1_30default_config_static_selectorELNS0_4arch9wavefront6targetE0EEEvT1_.num_named_barrier, 0
	.set _ZN7rocprim17ROCPRIM_400000_NS6detail17trampoline_kernelINS0_14default_configENS1_25partition_config_selectorILNS1_17partition_subalgoE6EiNS0_10empty_typeEbEEZZNS1_14partition_implILS5_6ELb0ES3_mN6thrust23THRUST_200600_302600_NS6detail15normal_iteratorINSA_10device_ptrIiEEEEPS6_SG_NS0_5tupleIJSF_S6_EEENSH_IJSG_SG_EEES6_PlJNSB_9not_fun_tI7is_trueIiEEEEEE10hipError_tPvRmT3_T4_T5_T6_T7_T9_mT8_P12ihipStream_tbDpT10_ENKUlT_T0_E_clISt17integral_constantIbLb1EES17_IbLb0EEEEDaS13_S14_EUlS13_E_NS1_11comp_targetILNS1_3genE4ELNS1_11target_archE910ELNS1_3gpuE8ELNS1_3repE0EEENS1_30default_config_static_selectorELNS0_4arch9wavefront6targetE0EEEvT1_.private_seg_size, 0
	.set _ZN7rocprim17ROCPRIM_400000_NS6detail17trampoline_kernelINS0_14default_configENS1_25partition_config_selectorILNS1_17partition_subalgoE6EiNS0_10empty_typeEbEEZZNS1_14partition_implILS5_6ELb0ES3_mN6thrust23THRUST_200600_302600_NS6detail15normal_iteratorINSA_10device_ptrIiEEEEPS6_SG_NS0_5tupleIJSF_S6_EEENSH_IJSG_SG_EEES6_PlJNSB_9not_fun_tI7is_trueIiEEEEEE10hipError_tPvRmT3_T4_T5_T6_T7_T9_mT8_P12ihipStream_tbDpT10_ENKUlT_T0_E_clISt17integral_constantIbLb1EES17_IbLb0EEEEDaS13_S14_EUlS13_E_NS1_11comp_targetILNS1_3genE4ELNS1_11target_archE910ELNS1_3gpuE8ELNS1_3repE0EEENS1_30default_config_static_selectorELNS0_4arch9wavefront6targetE0EEEvT1_.uses_vcc, 0
	.set _ZN7rocprim17ROCPRIM_400000_NS6detail17trampoline_kernelINS0_14default_configENS1_25partition_config_selectorILNS1_17partition_subalgoE6EiNS0_10empty_typeEbEEZZNS1_14partition_implILS5_6ELb0ES3_mN6thrust23THRUST_200600_302600_NS6detail15normal_iteratorINSA_10device_ptrIiEEEEPS6_SG_NS0_5tupleIJSF_S6_EEENSH_IJSG_SG_EEES6_PlJNSB_9not_fun_tI7is_trueIiEEEEEE10hipError_tPvRmT3_T4_T5_T6_T7_T9_mT8_P12ihipStream_tbDpT10_ENKUlT_T0_E_clISt17integral_constantIbLb1EES17_IbLb0EEEEDaS13_S14_EUlS13_E_NS1_11comp_targetILNS1_3genE4ELNS1_11target_archE910ELNS1_3gpuE8ELNS1_3repE0EEENS1_30default_config_static_selectorELNS0_4arch9wavefront6targetE0EEEvT1_.uses_flat_scratch, 0
	.set _ZN7rocprim17ROCPRIM_400000_NS6detail17trampoline_kernelINS0_14default_configENS1_25partition_config_selectorILNS1_17partition_subalgoE6EiNS0_10empty_typeEbEEZZNS1_14partition_implILS5_6ELb0ES3_mN6thrust23THRUST_200600_302600_NS6detail15normal_iteratorINSA_10device_ptrIiEEEEPS6_SG_NS0_5tupleIJSF_S6_EEENSH_IJSG_SG_EEES6_PlJNSB_9not_fun_tI7is_trueIiEEEEEE10hipError_tPvRmT3_T4_T5_T6_T7_T9_mT8_P12ihipStream_tbDpT10_ENKUlT_T0_E_clISt17integral_constantIbLb1EES17_IbLb0EEEEDaS13_S14_EUlS13_E_NS1_11comp_targetILNS1_3genE4ELNS1_11target_archE910ELNS1_3gpuE8ELNS1_3repE0EEENS1_30default_config_static_selectorELNS0_4arch9wavefront6targetE0EEEvT1_.has_dyn_sized_stack, 0
	.set _ZN7rocprim17ROCPRIM_400000_NS6detail17trampoline_kernelINS0_14default_configENS1_25partition_config_selectorILNS1_17partition_subalgoE6EiNS0_10empty_typeEbEEZZNS1_14partition_implILS5_6ELb0ES3_mN6thrust23THRUST_200600_302600_NS6detail15normal_iteratorINSA_10device_ptrIiEEEEPS6_SG_NS0_5tupleIJSF_S6_EEENSH_IJSG_SG_EEES6_PlJNSB_9not_fun_tI7is_trueIiEEEEEE10hipError_tPvRmT3_T4_T5_T6_T7_T9_mT8_P12ihipStream_tbDpT10_ENKUlT_T0_E_clISt17integral_constantIbLb1EES17_IbLb0EEEEDaS13_S14_EUlS13_E_NS1_11comp_targetILNS1_3genE4ELNS1_11target_archE910ELNS1_3gpuE8ELNS1_3repE0EEENS1_30default_config_static_selectorELNS0_4arch9wavefront6targetE0EEEvT1_.has_recursion, 0
	.set _ZN7rocprim17ROCPRIM_400000_NS6detail17trampoline_kernelINS0_14default_configENS1_25partition_config_selectorILNS1_17partition_subalgoE6EiNS0_10empty_typeEbEEZZNS1_14partition_implILS5_6ELb0ES3_mN6thrust23THRUST_200600_302600_NS6detail15normal_iteratorINSA_10device_ptrIiEEEEPS6_SG_NS0_5tupleIJSF_S6_EEENSH_IJSG_SG_EEES6_PlJNSB_9not_fun_tI7is_trueIiEEEEEE10hipError_tPvRmT3_T4_T5_T6_T7_T9_mT8_P12ihipStream_tbDpT10_ENKUlT_T0_E_clISt17integral_constantIbLb1EES17_IbLb0EEEEDaS13_S14_EUlS13_E_NS1_11comp_targetILNS1_3genE4ELNS1_11target_archE910ELNS1_3gpuE8ELNS1_3repE0EEENS1_30default_config_static_selectorELNS0_4arch9wavefront6targetE0EEEvT1_.has_indirect_call, 0
	.section	.AMDGPU.csdata,"",@progbits
; Kernel info:
; codeLenInByte = 0
; TotalNumSgprs: 0
; NumVgprs: 0
; ScratchSize: 0
; MemoryBound: 0
; FloatMode: 240
; IeeeMode: 1
; LDSByteSize: 0 bytes/workgroup (compile time only)
; SGPRBlocks: 0
; VGPRBlocks: 0
; NumSGPRsForWavesPerEU: 1
; NumVGPRsForWavesPerEU: 1
; Occupancy: 16
; WaveLimiterHint : 0
; COMPUTE_PGM_RSRC2:SCRATCH_EN: 0
; COMPUTE_PGM_RSRC2:USER_SGPR: 2
; COMPUTE_PGM_RSRC2:TRAP_HANDLER: 0
; COMPUTE_PGM_RSRC2:TGID_X_EN: 1
; COMPUTE_PGM_RSRC2:TGID_Y_EN: 0
; COMPUTE_PGM_RSRC2:TGID_Z_EN: 0
; COMPUTE_PGM_RSRC2:TIDIG_COMP_CNT: 0
	.section	.text._ZN7rocprim17ROCPRIM_400000_NS6detail17trampoline_kernelINS0_14default_configENS1_25partition_config_selectorILNS1_17partition_subalgoE6EiNS0_10empty_typeEbEEZZNS1_14partition_implILS5_6ELb0ES3_mN6thrust23THRUST_200600_302600_NS6detail15normal_iteratorINSA_10device_ptrIiEEEEPS6_SG_NS0_5tupleIJSF_S6_EEENSH_IJSG_SG_EEES6_PlJNSB_9not_fun_tI7is_trueIiEEEEEE10hipError_tPvRmT3_T4_T5_T6_T7_T9_mT8_P12ihipStream_tbDpT10_ENKUlT_T0_E_clISt17integral_constantIbLb1EES17_IbLb0EEEEDaS13_S14_EUlS13_E_NS1_11comp_targetILNS1_3genE3ELNS1_11target_archE908ELNS1_3gpuE7ELNS1_3repE0EEENS1_30default_config_static_selectorELNS0_4arch9wavefront6targetE0EEEvT1_,"axG",@progbits,_ZN7rocprim17ROCPRIM_400000_NS6detail17trampoline_kernelINS0_14default_configENS1_25partition_config_selectorILNS1_17partition_subalgoE6EiNS0_10empty_typeEbEEZZNS1_14partition_implILS5_6ELb0ES3_mN6thrust23THRUST_200600_302600_NS6detail15normal_iteratorINSA_10device_ptrIiEEEEPS6_SG_NS0_5tupleIJSF_S6_EEENSH_IJSG_SG_EEES6_PlJNSB_9not_fun_tI7is_trueIiEEEEEE10hipError_tPvRmT3_T4_T5_T6_T7_T9_mT8_P12ihipStream_tbDpT10_ENKUlT_T0_E_clISt17integral_constantIbLb1EES17_IbLb0EEEEDaS13_S14_EUlS13_E_NS1_11comp_targetILNS1_3genE3ELNS1_11target_archE908ELNS1_3gpuE7ELNS1_3repE0EEENS1_30default_config_static_selectorELNS0_4arch9wavefront6targetE0EEEvT1_,comdat
	.protected	_ZN7rocprim17ROCPRIM_400000_NS6detail17trampoline_kernelINS0_14default_configENS1_25partition_config_selectorILNS1_17partition_subalgoE6EiNS0_10empty_typeEbEEZZNS1_14partition_implILS5_6ELb0ES3_mN6thrust23THRUST_200600_302600_NS6detail15normal_iteratorINSA_10device_ptrIiEEEEPS6_SG_NS0_5tupleIJSF_S6_EEENSH_IJSG_SG_EEES6_PlJNSB_9not_fun_tI7is_trueIiEEEEEE10hipError_tPvRmT3_T4_T5_T6_T7_T9_mT8_P12ihipStream_tbDpT10_ENKUlT_T0_E_clISt17integral_constantIbLb1EES17_IbLb0EEEEDaS13_S14_EUlS13_E_NS1_11comp_targetILNS1_3genE3ELNS1_11target_archE908ELNS1_3gpuE7ELNS1_3repE0EEENS1_30default_config_static_selectorELNS0_4arch9wavefront6targetE0EEEvT1_ ; -- Begin function _ZN7rocprim17ROCPRIM_400000_NS6detail17trampoline_kernelINS0_14default_configENS1_25partition_config_selectorILNS1_17partition_subalgoE6EiNS0_10empty_typeEbEEZZNS1_14partition_implILS5_6ELb0ES3_mN6thrust23THRUST_200600_302600_NS6detail15normal_iteratorINSA_10device_ptrIiEEEEPS6_SG_NS0_5tupleIJSF_S6_EEENSH_IJSG_SG_EEES6_PlJNSB_9not_fun_tI7is_trueIiEEEEEE10hipError_tPvRmT3_T4_T5_T6_T7_T9_mT8_P12ihipStream_tbDpT10_ENKUlT_T0_E_clISt17integral_constantIbLb1EES17_IbLb0EEEEDaS13_S14_EUlS13_E_NS1_11comp_targetILNS1_3genE3ELNS1_11target_archE908ELNS1_3gpuE7ELNS1_3repE0EEENS1_30default_config_static_selectorELNS0_4arch9wavefront6targetE0EEEvT1_
	.globl	_ZN7rocprim17ROCPRIM_400000_NS6detail17trampoline_kernelINS0_14default_configENS1_25partition_config_selectorILNS1_17partition_subalgoE6EiNS0_10empty_typeEbEEZZNS1_14partition_implILS5_6ELb0ES3_mN6thrust23THRUST_200600_302600_NS6detail15normal_iteratorINSA_10device_ptrIiEEEEPS6_SG_NS0_5tupleIJSF_S6_EEENSH_IJSG_SG_EEES6_PlJNSB_9not_fun_tI7is_trueIiEEEEEE10hipError_tPvRmT3_T4_T5_T6_T7_T9_mT8_P12ihipStream_tbDpT10_ENKUlT_T0_E_clISt17integral_constantIbLb1EES17_IbLb0EEEEDaS13_S14_EUlS13_E_NS1_11comp_targetILNS1_3genE3ELNS1_11target_archE908ELNS1_3gpuE7ELNS1_3repE0EEENS1_30default_config_static_selectorELNS0_4arch9wavefront6targetE0EEEvT1_
	.p2align	8
	.type	_ZN7rocprim17ROCPRIM_400000_NS6detail17trampoline_kernelINS0_14default_configENS1_25partition_config_selectorILNS1_17partition_subalgoE6EiNS0_10empty_typeEbEEZZNS1_14partition_implILS5_6ELb0ES3_mN6thrust23THRUST_200600_302600_NS6detail15normal_iteratorINSA_10device_ptrIiEEEEPS6_SG_NS0_5tupleIJSF_S6_EEENSH_IJSG_SG_EEES6_PlJNSB_9not_fun_tI7is_trueIiEEEEEE10hipError_tPvRmT3_T4_T5_T6_T7_T9_mT8_P12ihipStream_tbDpT10_ENKUlT_T0_E_clISt17integral_constantIbLb1EES17_IbLb0EEEEDaS13_S14_EUlS13_E_NS1_11comp_targetILNS1_3genE3ELNS1_11target_archE908ELNS1_3gpuE7ELNS1_3repE0EEENS1_30default_config_static_selectorELNS0_4arch9wavefront6targetE0EEEvT1_,@function
_ZN7rocprim17ROCPRIM_400000_NS6detail17trampoline_kernelINS0_14default_configENS1_25partition_config_selectorILNS1_17partition_subalgoE6EiNS0_10empty_typeEbEEZZNS1_14partition_implILS5_6ELb0ES3_mN6thrust23THRUST_200600_302600_NS6detail15normal_iteratorINSA_10device_ptrIiEEEEPS6_SG_NS0_5tupleIJSF_S6_EEENSH_IJSG_SG_EEES6_PlJNSB_9not_fun_tI7is_trueIiEEEEEE10hipError_tPvRmT3_T4_T5_T6_T7_T9_mT8_P12ihipStream_tbDpT10_ENKUlT_T0_E_clISt17integral_constantIbLb1EES17_IbLb0EEEEDaS13_S14_EUlS13_E_NS1_11comp_targetILNS1_3genE3ELNS1_11target_archE908ELNS1_3gpuE7ELNS1_3repE0EEENS1_30default_config_static_selectorELNS0_4arch9wavefront6targetE0EEEvT1_: ; @_ZN7rocprim17ROCPRIM_400000_NS6detail17trampoline_kernelINS0_14default_configENS1_25partition_config_selectorILNS1_17partition_subalgoE6EiNS0_10empty_typeEbEEZZNS1_14partition_implILS5_6ELb0ES3_mN6thrust23THRUST_200600_302600_NS6detail15normal_iteratorINSA_10device_ptrIiEEEEPS6_SG_NS0_5tupleIJSF_S6_EEENSH_IJSG_SG_EEES6_PlJNSB_9not_fun_tI7is_trueIiEEEEEE10hipError_tPvRmT3_T4_T5_T6_T7_T9_mT8_P12ihipStream_tbDpT10_ENKUlT_T0_E_clISt17integral_constantIbLb1EES17_IbLb0EEEEDaS13_S14_EUlS13_E_NS1_11comp_targetILNS1_3genE3ELNS1_11target_archE908ELNS1_3gpuE7ELNS1_3repE0EEENS1_30default_config_static_selectorELNS0_4arch9wavefront6targetE0EEEvT1_
; %bb.0:
	.section	.rodata,"a",@progbits
	.p2align	6, 0x0
	.amdhsa_kernel _ZN7rocprim17ROCPRIM_400000_NS6detail17trampoline_kernelINS0_14default_configENS1_25partition_config_selectorILNS1_17partition_subalgoE6EiNS0_10empty_typeEbEEZZNS1_14partition_implILS5_6ELb0ES3_mN6thrust23THRUST_200600_302600_NS6detail15normal_iteratorINSA_10device_ptrIiEEEEPS6_SG_NS0_5tupleIJSF_S6_EEENSH_IJSG_SG_EEES6_PlJNSB_9not_fun_tI7is_trueIiEEEEEE10hipError_tPvRmT3_T4_T5_T6_T7_T9_mT8_P12ihipStream_tbDpT10_ENKUlT_T0_E_clISt17integral_constantIbLb1EES17_IbLb0EEEEDaS13_S14_EUlS13_E_NS1_11comp_targetILNS1_3genE3ELNS1_11target_archE908ELNS1_3gpuE7ELNS1_3repE0EEENS1_30default_config_static_selectorELNS0_4arch9wavefront6targetE0EEEvT1_
		.amdhsa_group_segment_fixed_size 0
		.amdhsa_private_segment_fixed_size 0
		.amdhsa_kernarg_size 112
		.amdhsa_user_sgpr_count 2
		.amdhsa_user_sgpr_dispatch_ptr 0
		.amdhsa_user_sgpr_queue_ptr 0
		.amdhsa_user_sgpr_kernarg_segment_ptr 1
		.amdhsa_user_sgpr_dispatch_id 0
		.amdhsa_user_sgpr_private_segment_size 0
		.amdhsa_wavefront_size32 1
		.amdhsa_uses_dynamic_stack 0
		.amdhsa_enable_private_segment 0
		.amdhsa_system_sgpr_workgroup_id_x 1
		.amdhsa_system_sgpr_workgroup_id_y 0
		.amdhsa_system_sgpr_workgroup_id_z 0
		.amdhsa_system_sgpr_workgroup_info 0
		.amdhsa_system_vgpr_workitem_id 0
		.amdhsa_next_free_vgpr 1
		.amdhsa_next_free_sgpr 1
		.amdhsa_reserve_vcc 0
		.amdhsa_float_round_mode_32 0
		.amdhsa_float_round_mode_16_64 0
		.amdhsa_float_denorm_mode_32 3
		.amdhsa_float_denorm_mode_16_64 3
		.amdhsa_fp16_overflow 0
		.amdhsa_workgroup_processor_mode 1
		.amdhsa_memory_ordered 1
		.amdhsa_forward_progress 1
		.amdhsa_inst_pref_size 0
		.amdhsa_round_robin_scheduling 0
		.amdhsa_exception_fp_ieee_invalid_op 0
		.amdhsa_exception_fp_denorm_src 0
		.amdhsa_exception_fp_ieee_div_zero 0
		.amdhsa_exception_fp_ieee_overflow 0
		.amdhsa_exception_fp_ieee_underflow 0
		.amdhsa_exception_fp_ieee_inexact 0
		.amdhsa_exception_int_div_zero 0
	.end_amdhsa_kernel
	.section	.text._ZN7rocprim17ROCPRIM_400000_NS6detail17trampoline_kernelINS0_14default_configENS1_25partition_config_selectorILNS1_17partition_subalgoE6EiNS0_10empty_typeEbEEZZNS1_14partition_implILS5_6ELb0ES3_mN6thrust23THRUST_200600_302600_NS6detail15normal_iteratorINSA_10device_ptrIiEEEEPS6_SG_NS0_5tupleIJSF_S6_EEENSH_IJSG_SG_EEES6_PlJNSB_9not_fun_tI7is_trueIiEEEEEE10hipError_tPvRmT3_T4_T5_T6_T7_T9_mT8_P12ihipStream_tbDpT10_ENKUlT_T0_E_clISt17integral_constantIbLb1EES17_IbLb0EEEEDaS13_S14_EUlS13_E_NS1_11comp_targetILNS1_3genE3ELNS1_11target_archE908ELNS1_3gpuE7ELNS1_3repE0EEENS1_30default_config_static_selectorELNS0_4arch9wavefront6targetE0EEEvT1_,"axG",@progbits,_ZN7rocprim17ROCPRIM_400000_NS6detail17trampoline_kernelINS0_14default_configENS1_25partition_config_selectorILNS1_17partition_subalgoE6EiNS0_10empty_typeEbEEZZNS1_14partition_implILS5_6ELb0ES3_mN6thrust23THRUST_200600_302600_NS6detail15normal_iteratorINSA_10device_ptrIiEEEEPS6_SG_NS0_5tupleIJSF_S6_EEENSH_IJSG_SG_EEES6_PlJNSB_9not_fun_tI7is_trueIiEEEEEE10hipError_tPvRmT3_T4_T5_T6_T7_T9_mT8_P12ihipStream_tbDpT10_ENKUlT_T0_E_clISt17integral_constantIbLb1EES17_IbLb0EEEEDaS13_S14_EUlS13_E_NS1_11comp_targetILNS1_3genE3ELNS1_11target_archE908ELNS1_3gpuE7ELNS1_3repE0EEENS1_30default_config_static_selectorELNS0_4arch9wavefront6targetE0EEEvT1_,comdat
.Lfunc_end1256:
	.size	_ZN7rocprim17ROCPRIM_400000_NS6detail17trampoline_kernelINS0_14default_configENS1_25partition_config_selectorILNS1_17partition_subalgoE6EiNS0_10empty_typeEbEEZZNS1_14partition_implILS5_6ELb0ES3_mN6thrust23THRUST_200600_302600_NS6detail15normal_iteratorINSA_10device_ptrIiEEEEPS6_SG_NS0_5tupleIJSF_S6_EEENSH_IJSG_SG_EEES6_PlJNSB_9not_fun_tI7is_trueIiEEEEEE10hipError_tPvRmT3_T4_T5_T6_T7_T9_mT8_P12ihipStream_tbDpT10_ENKUlT_T0_E_clISt17integral_constantIbLb1EES17_IbLb0EEEEDaS13_S14_EUlS13_E_NS1_11comp_targetILNS1_3genE3ELNS1_11target_archE908ELNS1_3gpuE7ELNS1_3repE0EEENS1_30default_config_static_selectorELNS0_4arch9wavefront6targetE0EEEvT1_, .Lfunc_end1256-_ZN7rocprim17ROCPRIM_400000_NS6detail17trampoline_kernelINS0_14default_configENS1_25partition_config_selectorILNS1_17partition_subalgoE6EiNS0_10empty_typeEbEEZZNS1_14partition_implILS5_6ELb0ES3_mN6thrust23THRUST_200600_302600_NS6detail15normal_iteratorINSA_10device_ptrIiEEEEPS6_SG_NS0_5tupleIJSF_S6_EEENSH_IJSG_SG_EEES6_PlJNSB_9not_fun_tI7is_trueIiEEEEEE10hipError_tPvRmT3_T4_T5_T6_T7_T9_mT8_P12ihipStream_tbDpT10_ENKUlT_T0_E_clISt17integral_constantIbLb1EES17_IbLb0EEEEDaS13_S14_EUlS13_E_NS1_11comp_targetILNS1_3genE3ELNS1_11target_archE908ELNS1_3gpuE7ELNS1_3repE0EEENS1_30default_config_static_selectorELNS0_4arch9wavefront6targetE0EEEvT1_
                                        ; -- End function
	.set _ZN7rocprim17ROCPRIM_400000_NS6detail17trampoline_kernelINS0_14default_configENS1_25partition_config_selectorILNS1_17partition_subalgoE6EiNS0_10empty_typeEbEEZZNS1_14partition_implILS5_6ELb0ES3_mN6thrust23THRUST_200600_302600_NS6detail15normal_iteratorINSA_10device_ptrIiEEEEPS6_SG_NS0_5tupleIJSF_S6_EEENSH_IJSG_SG_EEES6_PlJNSB_9not_fun_tI7is_trueIiEEEEEE10hipError_tPvRmT3_T4_T5_T6_T7_T9_mT8_P12ihipStream_tbDpT10_ENKUlT_T0_E_clISt17integral_constantIbLb1EES17_IbLb0EEEEDaS13_S14_EUlS13_E_NS1_11comp_targetILNS1_3genE3ELNS1_11target_archE908ELNS1_3gpuE7ELNS1_3repE0EEENS1_30default_config_static_selectorELNS0_4arch9wavefront6targetE0EEEvT1_.num_vgpr, 0
	.set _ZN7rocprim17ROCPRIM_400000_NS6detail17trampoline_kernelINS0_14default_configENS1_25partition_config_selectorILNS1_17partition_subalgoE6EiNS0_10empty_typeEbEEZZNS1_14partition_implILS5_6ELb0ES3_mN6thrust23THRUST_200600_302600_NS6detail15normal_iteratorINSA_10device_ptrIiEEEEPS6_SG_NS0_5tupleIJSF_S6_EEENSH_IJSG_SG_EEES6_PlJNSB_9not_fun_tI7is_trueIiEEEEEE10hipError_tPvRmT3_T4_T5_T6_T7_T9_mT8_P12ihipStream_tbDpT10_ENKUlT_T0_E_clISt17integral_constantIbLb1EES17_IbLb0EEEEDaS13_S14_EUlS13_E_NS1_11comp_targetILNS1_3genE3ELNS1_11target_archE908ELNS1_3gpuE7ELNS1_3repE0EEENS1_30default_config_static_selectorELNS0_4arch9wavefront6targetE0EEEvT1_.num_agpr, 0
	.set _ZN7rocprim17ROCPRIM_400000_NS6detail17trampoline_kernelINS0_14default_configENS1_25partition_config_selectorILNS1_17partition_subalgoE6EiNS0_10empty_typeEbEEZZNS1_14partition_implILS5_6ELb0ES3_mN6thrust23THRUST_200600_302600_NS6detail15normal_iteratorINSA_10device_ptrIiEEEEPS6_SG_NS0_5tupleIJSF_S6_EEENSH_IJSG_SG_EEES6_PlJNSB_9not_fun_tI7is_trueIiEEEEEE10hipError_tPvRmT3_T4_T5_T6_T7_T9_mT8_P12ihipStream_tbDpT10_ENKUlT_T0_E_clISt17integral_constantIbLb1EES17_IbLb0EEEEDaS13_S14_EUlS13_E_NS1_11comp_targetILNS1_3genE3ELNS1_11target_archE908ELNS1_3gpuE7ELNS1_3repE0EEENS1_30default_config_static_selectorELNS0_4arch9wavefront6targetE0EEEvT1_.numbered_sgpr, 0
	.set _ZN7rocprim17ROCPRIM_400000_NS6detail17trampoline_kernelINS0_14default_configENS1_25partition_config_selectorILNS1_17partition_subalgoE6EiNS0_10empty_typeEbEEZZNS1_14partition_implILS5_6ELb0ES3_mN6thrust23THRUST_200600_302600_NS6detail15normal_iteratorINSA_10device_ptrIiEEEEPS6_SG_NS0_5tupleIJSF_S6_EEENSH_IJSG_SG_EEES6_PlJNSB_9not_fun_tI7is_trueIiEEEEEE10hipError_tPvRmT3_T4_T5_T6_T7_T9_mT8_P12ihipStream_tbDpT10_ENKUlT_T0_E_clISt17integral_constantIbLb1EES17_IbLb0EEEEDaS13_S14_EUlS13_E_NS1_11comp_targetILNS1_3genE3ELNS1_11target_archE908ELNS1_3gpuE7ELNS1_3repE0EEENS1_30default_config_static_selectorELNS0_4arch9wavefront6targetE0EEEvT1_.num_named_barrier, 0
	.set _ZN7rocprim17ROCPRIM_400000_NS6detail17trampoline_kernelINS0_14default_configENS1_25partition_config_selectorILNS1_17partition_subalgoE6EiNS0_10empty_typeEbEEZZNS1_14partition_implILS5_6ELb0ES3_mN6thrust23THRUST_200600_302600_NS6detail15normal_iteratorINSA_10device_ptrIiEEEEPS6_SG_NS0_5tupleIJSF_S6_EEENSH_IJSG_SG_EEES6_PlJNSB_9not_fun_tI7is_trueIiEEEEEE10hipError_tPvRmT3_T4_T5_T6_T7_T9_mT8_P12ihipStream_tbDpT10_ENKUlT_T0_E_clISt17integral_constantIbLb1EES17_IbLb0EEEEDaS13_S14_EUlS13_E_NS1_11comp_targetILNS1_3genE3ELNS1_11target_archE908ELNS1_3gpuE7ELNS1_3repE0EEENS1_30default_config_static_selectorELNS0_4arch9wavefront6targetE0EEEvT1_.private_seg_size, 0
	.set _ZN7rocprim17ROCPRIM_400000_NS6detail17trampoline_kernelINS0_14default_configENS1_25partition_config_selectorILNS1_17partition_subalgoE6EiNS0_10empty_typeEbEEZZNS1_14partition_implILS5_6ELb0ES3_mN6thrust23THRUST_200600_302600_NS6detail15normal_iteratorINSA_10device_ptrIiEEEEPS6_SG_NS0_5tupleIJSF_S6_EEENSH_IJSG_SG_EEES6_PlJNSB_9not_fun_tI7is_trueIiEEEEEE10hipError_tPvRmT3_T4_T5_T6_T7_T9_mT8_P12ihipStream_tbDpT10_ENKUlT_T0_E_clISt17integral_constantIbLb1EES17_IbLb0EEEEDaS13_S14_EUlS13_E_NS1_11comp_targetILNS1_3genE3ELNS1_11target_archE908ELNS1_3gpuE7ELNS1_3repE0EEENS1_30default_config_static_selectorELNS0_4arch9wavefront6targetE0EEEvT1_.uses_vcc, 0
	.set _ZN7rocprim17ROCPRIM_400000_NS6detail17trampoline_kernelINS0_14default_configENS1_25partition_config_selectorILNS1_17partition_subalgoE6EiNS0_10empty_typeEbEEZZNS1_14partition_implILS5_6ELb0ES3_mN6thrust23THRUST_200600_302600_NS6detail15normal_iteratorINSA_10device_ptrIiEEEEPS6_SG_NS0_5tupleIJSF_S6_EEENSH_IJSG_SG_EEES6_PlJNSB_9not_fun_tI7is_trueIiEEEEEE10hipError_tPvRmT3_T4_T5_T6_T7_T9_mT8_P12ihipStream_tbDpT10_ENKUlT_T0_E_clISt17integral_constantIbLb1EES17_IbLb0EEEEDaS13_S14_EUlS13_E_NS1_11comp_targetILNS1_3genE3ELNS1_11target_archE908ELNS1_3gpuE7ELNS1_3repE0EEENS1_30default_config_static_selectorELNS0_4arch9wavefront6targetE0EEEvT1_.uses_flat_scratch, 0
	.set _ZN7rocprim17ROCPRIM_400000_NS6detail17trampoline_kernelINS0_14default_configENS1_25partition_config_selectorILNS1_17partition_subalgoE6EiNS0_10empty_typeEbEEZZNS1_14partition_implILS5_6ELb0ES3_mN6thrust23THRUST_200600_302600_NS6detail15normal_iteratorINSA_10device_ptrIiEEEEPS6_SG_NS0_5tupleIJSF_S6_EEENSH_IJSG_SG_EEES6_PlJNSB_9not_fun_tI7is_trueIiEEEEEE10hipError_tPvRmT3_T4_T5_T6_T7_T9_mT8_P12ihipStream_tbDpT10_ENKUlT_T0_E_clISt17integral_constantIbLb1EES17_IbLb0EEEEDaS13_S14_EUlS13_E_NS1_11comp_targetILNS1_3genE3ELNS1_11target_archE908ELNS1_3gpuE7ELNS1_3repE0EEENS1_30default_config_static_selectorELNS0_4arch9wavefront6targetE0EEEvT1_.has_dyn_sized_stack, 0
	.set _ZN7rocprim17ROCPRIM_400000_NS6detail17trampoline_kernelINS0_14default_configENS1_25partition_config_selectorILNS1_17partition_subalgoE6EiNS0_10empty_typeEbEEZZNS1_14partition_implILS5_6ELb0ES3_mN6thrust23THRUST_200600_302600_NS6detail15normal_iteratorINSA_10device_ptrIiEEEEPS6_SG_NS0_5tupleIJSF_S6_EEENSH_IJSG_SG_EEES6_PlJNSB_9not_fun_tI7is_trueIiEEEEEE10hipError_tPvRmT3_T4_T5_T6_T7_T9_mT8_P12ihipStream_tbDpT10_ENKUlT_T0_E_clISt17integral_constantIbLb1EES17_IbLb0EEEEDaS13_S14_EUlS13_E_NS1_11comp_targetILNS1_3genE3ELNS1_11target_archE908ELNS1_3gpuE7ELNS1_3repE0EEENS1_30default_config_static_selectorELNS0_4arch9wavefront6targetE0EEEvT1_.has_recursion, 0
	.set _ZN7rocprim17ROCPRIM_400000_NS6detail17trampoline_kernelINS0_14default_configENS1_25partition_config_selectorILNS1_17partition_subalgoE6EiNS0_10empty_typeEbEEZZNS1_14partition_implILS5_6ELb0ES3_mN6thrust23THRUST_200600_302600_NS6detail15normal_iteratorINSA_10device_ptrIiEEEEPS6_SG_NS0_5tupleIJSF_S6_EEENSH_IJSG_SG_EEES6_PlJNSB_9not_fun_tI7is_trueIiEEEEEE10hipError_tPvRmT3_T4_T5_T6_T7_T9_mT8_P12ihipStream_tbDpT10_ENKUlT_T0_E_clISt17integral_constantIbLb1EES17_IbLb0EEEEDaS13_S14_EUlS13_E_NS1_11comp_targetILNS1_3genE3ELNS1_11target_archE908ELNS1_3gpuE7ELNS1_3repE0EEENS1_30default_config_static_selectorELNS0_4arch9wavefront6targetE0EEEvT1_.has_indirect_call, 0
	.section	.AMDGPU.csdata,"",@progbits
; Kernel info:
; codeLenInByte = 0
; TotalNumSgprs: 0
; NumVgprs: 0
; ScratchSize: 0
; MemoryBound: 0
; FloatMode: 240
; IeeeMode: 1
; LDSByteSize: 0 bytes/workgroup (compile time only)
; SGPRBlocks: 0
; VGPRBlocks: 0
; NumSGPRsForWavesPerEU: 1
; NumVGPRsForWavesPerEU: 1
; Occupancy: 16
; WaveLimiterHint : 0
; COMPUTE_PGM_RSRC2:SCRATCH_EN: 0
; COMPUTE_PGM_RSRC2:USER_SGPR: 2
; COMPUTE_PGM_RSRC2:TRAP_HANDLER: 0
; COMPUTE_PGM_RSRC2:TGID_X_EN: 1
; COMPUTE_PGM_RSRC2:TGID_Y_EN: 0
; COMPUTE_PGM_RSRC2:TGID_Z_EN: 0
; COMPUTE_PGM_RSRC2:TIDIG_COMP_CNT: 0
	.section	.text._ZN7rocprim17ROCPRIM_400000_NS6detail17trampoline_kernelINS0_14default_configENS1_25partition_config_selectorILNS1_17partition_subalgoE6EiNS0_10empty_typeEbEEZZNS1_14partition_implILS5_6ELb0ES3_mN6thrust23THRUST_200600_302600_NS6detail15normal_iteratorINSA_10device_ptrIiEEEEPS6_SG_NS0_5tupleIJSF_S6_EEENSH_IJSG_SG_EEES6_PlJNSB_9not_fun_tI7is_trueIiEEEEEE10hipError_tPvRmT3_T4_T5_T6_T7_T9_mT8_P12ihipStream_tbDpT10_ENKUlT_T0_E_clISt17integral_constantIbLb1EES17_IbLb0EEEEDaS13_S14_EUlS13_E_NS1_11comp_targetILNS1_3genE2ELNS1_11target_archE906ELNS1_3gpuE6ELNS1_3repE0EEENS1_30default_config_static_selectorELNS0_4arch9wavefront6targetE0EEEvT1_,"axG",@progbits,_ZN7rocprim17ROCPRIM_400000_NS6detail17trampoline_kernelINS0_14default_configENS1_25partition_config_selectorILNS1_17partition_subalgoE6EiNS0_10empty_typeEbEEZZNS1_14partition_implILS5_6ELb0ES3_mN6thrust23THRUST_200600_302600_NS6detail15normal_iteratorINSA_10device_ptrIiEEEEPS6_SG_NS0_5tupleIJSF_S6_EEENSH_IJSG_SG_EEES6_PlJNSB_9not_fun_tI7is_trueIiEEEEEE10hipError_tPvRmT3_T4_T5_T6_T7_T9_mT8_P12ihipStream_tbDpT10_ENKUlT_T0_E_clISt17integral_constantIbLb1EES17_IbLb0EEEEDaS13_S14_EUlS13_E_NS1_11comp_targetILNS1_3genE2ELNS1_11target_archE906ELNS1_3gpuE6ELNS1_3repE0EEENS1_30default_config_static_selectorELNS0_4arch9wavefront6targetE0EEEvT1_,comdat
	.protected	_ZN7rocprim17ROCPRIM_400000_NS6detail17trampoline_kernelINS0_14default_configENS1_25partition_config_selectorILNS1_17partition_subalgoE6EiNS0_10empty_typeEbEEZZNS1_14partition_implILS5_6ELb0ES3_mN6thrust23THRUST_200600_302600_NS6detail15normal_iteratorINSA_10device_ptrIiEEEEPS6_SG_NS0_5tupleIJSF_S6_EEENSH_IJSG_SG_EEES6_PlJNSB_9not_fun_tI7is_trueIiEEEEEE10hipError_tPvRmT3_T4_T5_T6_T7_T9_mT8_P12ihipStream_tbDpT10_ENKUlT_T0_E_clISt17integral_constantIbLb1EES17_IbLb0EEEEDaS13_S14_EUlS13_E_NS1_11comp_targetILNS1_3genE2ELNS1_11target_archE906ELNS1_3gpuE6ELNS1_3repE0EEENS1_30default_config_static_selectorELNS0_4arch9wavefront6targetE0EEEvT1_ ; -- Begin function _ZN7rocprim17ROCPRIM_400000_NS6detail17trampoline_kernelINS0_14default_configENS1_25partition_config_selectorILNS1_17partition_subalgoE6EiNS0_10empty_typeEbEEZZNS1_14partition_implILS5_6ELb0ES3_mN6thrust23THRUST_200600_302600_NS6detail15normal_iteratorINSA_10device_ptrIiEEEEPS6_SG_NS0_5tupleIJSF_S6_EEENSH_IJSG_SG_EEES6_PlJNSB_9not_fun_tI7is_trueIiEEEEEE10hipError_tPvRmT3_T4_T5_T6_T7_T9_mT8_P12ihipStream_tbDpT10_ENKUlT_T0_E_clISt17integral_constantIbLb1EES17_IbLb0EEEEDaS13_S14_EUlS13_E_NS1_11comp_targetILNS1_3genE2ELNS1_11target_archE906ELNS1_3gpuE6ELNS1_3repE0EEENS1_30default_config_static_selectorELNS0_4arch9wavefront6targetE0EEEvT1_
	.globl	_ZN7rocprim17ROCPRIM_400000_NS6detail17trampoline_kernelINS0_14default_configENS1_25partition_config_selectorILNS1_17partition_subalgoE6EiNS0_10empty_typeEbEEZZNS1_14partition_implILS5_6ELb0ES3_mN6thrust23THRUST_200600_302600_NS6detail15normal_iteratorINSA_10device_ptrIiEEEEPS6_SG_NS0_5tupleIJSF_S6_EEENSH_IJSG_SG_EEES6_PlJNSB_9not_fun_tI7is_trueIiEEEEEE10hipError_tPvRmT3_T4_T5_T6_T7_T9_mT8_P12ihipStream_tbDpT10_ENKUlT_T0_E_clISt17integral_constantIbLb1EES17_IbLb0EEEEDaS13_S14_EUlS13_E_NS1_11comp_targetILNS1_3genE2ELNS1_11target_archE906ELNS1_3gpuE6ELNS1_3repE0EEENS1_30default_config_static_selectorELNS0_4arch9wavefront6targetE0EEEvT1_
	.p2align	8
	.type	_ZN7rocprim17ROCPRIM_400000_NS6detail17trampoline_kernelINS0_14default_configENS1_25partition_config_selectorILNS1_17partition_subalgoE6EiNS0_10empty_typeEbEEZZNS1_14partition_implILS5_6ELb0ES3_mN6thrust23THRUST_200600_302600_NS6detail15normal_iteratorINSA_10device_ptrIiEEEEPS6_SG_NS0_5tupleIJSF_S6_EEENSH_IJSG_SG_EEES6_PlJNSB_9not_fun_tI7is_trueIiEEEEEE10hipError_tPvRmT3_T4_T5_T6_T7_T9_mT8_P12ihipStream_tbDpT10_ENKUlT_T0_E_clISt17integral_constantIbLb1EES17_IbLb0EEEEDaS13_S14_EUlS13_E_NS1_11comp_targetILNS1_3genE2ELNS1_11target_archE906ELNS1_3gpuE6ELNS1_3repE0EEENS1_30default_config_static_selectorELNS0_4arch9wavefront6targetE0EEEvT1_,@function
_ZN7rocprim17ROCPRIM_400000_NS6detail17trampoline_kernelINS0_14default_configENS1_25partition_config_selectorILNS1_17partition_subalgoE6EiNS0_10empty_typeEbEEZZNS1_14partition_implILS5_6ELb0ES3_mN6thrust23THRUST_200600_302600_NS6detail15normal_iteratorINSA_10device_ptrIiEEEEPS6_SG_NS0_5tupleIJSF_S6_EEENSH_IJSG_SG_EEES6_PlJNSB_9not_fun_tI7is_trueIiEEEEEE10hipError_tPvRmT3_T4_T5_T6_T7_T9_mT8_P12ihipStream_tbDpT10_ENKUlT_T0_E_clISt17integral_constantIbLb1EES17_IbLb0EEEEDaS13_S14_EUlS13_E_NS1_11comp_targetILNS1_3genE2ELNS1_11target_archE906ELNS1_3gpuE6ELNS1_3repE0EEENS1_30default_config_static_selectorELNS0_4arch9wavefront6targetE0EEEvT1_: ; @_ZN7rocprim17ROCPRIM_400000_NS6detail17trampoline_kernelINS0_14default_configENS1_25partition_config_selectorILNS1_17partition_subalgoE6EiNS0_10empty_typeEbEEZZNS1_14partition_implILS5_6ELb0ES3_mN6thrust23THRUST_200600_302600_NS6detail15normal_iteratorINSA_10device_ptrIiEEEEPS6_SG_NS0_5tupleIJSF_S6_EEENSH_IJSG_SG_EEES6_PlJNSB_9not_fun_tI7is_trueIiEEEEEE10hipError_tPvRmT3_T4_T5_T6_T7_T9_mT8_P12ihipStream_tbDpT10_ENKUlT_T0_E_clISt17integral_constantIbLb1EES17_IbLb0EEEEDaS13_S14_EUlS13_E_NS1_11comp_targetILNS1_3genE2ELNS1_11target_archE906ELNS1_3gpuE6ELNS1_3repE0EEENS1_30default_config_static_selectorELNS0_4arch9wavefront6targetE0EEEvT1_
; %bb.0:
	.section	.rodata,"a",@progbits
	.p2align	6, 0x0
	.amdhsa_kernel _ZN7rocprim17ROCPRIM_400000_NS6detail17trampoline_kernelINS0_14default_configENS1_25partition_config_selectorILNS1_17partition_subalgoE6EiNS0_10empty_typeEbEEZZNS1_14partition_implILS5_6ELb0ES3_mN6thrust23THRUST_200600_302600_NS6detail15normal_iteratorINSA_10device_ptrIiEEEEPS6_SG_NS0_5tupleIJSF_S6_EEENSH_IJSG_SG_EEES6_PlJNSB_9not_fun_tI7is_trueIiEEEEEE10hipError_tPvRmT3_T4_T5_T6_T7_T9_mT8_P12ihipStream_tbDpT10_ENKUlT_T0_E_clISt17integral_constantIbLb1EES17_IbLb0EEEEDaS13_S14_EUlS13_E_NS1_11comp_targetILNS1_3genE2ELNS1_11target_archE906ELNS1_3gpuE6ELNS1_3repE0EEENS1_30default_config_static_selectorELNS0_4arch9wavefront6targetE0EEEvT1_
		.amdhsa_group_segment_fixed_size 0
		.amdhsa_private_segment_fixed_size 0
		.amdhsa_kernarg_size 112
		.amdhsa_user_sgpr_count 2
		.amdhsa_user_sgpr_dispatch_ptr 0
		.amdhsa_user_sgpr_queue_ptr 0
		.amdhsa_user_sgpr_kernarg_segment_ptr 1
		.amdhsa_user_sgpr_dispatch_id 0
		.amdhsa_user_sgpr_private_segment_size 0
		.amdhsa_wavefront_size32 1
		.amdhsa_uses_dynamic_stack 0
		.amdhsa_enable_private_segment 0
		.amdhsa_system_sgpr_workgroup_id_x 1
		.amdhsa_system_sgpr_workgroup_id_y 0
		.amdhsa_system_sgpr_workgroup_id_z 0
		.amdhsa_system_sgpr_workgroup_info 0
		.amdhsa_system_vgpr_workitem_id 0
		.amdhsa_next_free_vgpr 1
		.amdhsa_next_free_sgpr 1
		.amdhsa_reserve_vcc 0
		.amdhsa_float_round_mode_32 0
		.amdhsa_float_round_mode_16_64 0
		.amdhsa_float_denorm_mode_32 3
		.amdhsa_float_denorm_mode_16_64 3
		.amdhsa_fp16_overflow 0
		.amdhsa_workgroup_processor_mode 1
		.amdhsa_memory_ordered 1
		.amdhsa_forward_progress 1
		.amdhsa_inst_pref_size 0
		.amdhsa_round_robin_scheduling 0
		.amdhsa_exception_fp_ieee_invalid_op 0
		.amdhsa_exception_fp_denorm_src 0
		.amdhsa_exception_fp_ieee_div_zero 0
		.amdhsa_exception_fp_ieee_overflow 0
		.amdhsa_exception_fp_ieee_underflow 0
		.amdhsa_exception_fp_ieee_inexact 0
		.amdhsa_exception_int_div_zero 0
	.end_amdhsa_kernel
	.section	.text._ZN7rocprim17ROCPRIM_400000_NS6detail17trampoline_kernelINS0_14default_configENS1_25partition_config_selectorILNS1_17partition_subalgoE6EiNS0_10empty_typeEbEEZZNS1_14partition_implILS5_6ELb0ES3_mN6thrust23THRUST_200600_302600_NS6detail15normal_iteratorINSA_10device_ptrIiEEEEPS6_SG_NS0_5tupleIJSF_S6_EEENSH_IJSG_SG_EEES6_PlJNSB_9not_fun_tI7is_trueIiEEEEEE10hipError_tPvRmT3_T4_T5_T6_T7_T9_mT8_P12ihipStream_tbDpT10_ENKUlT_T0_E_clISt17integral_constantIbLb1EES17_IbLb0EEEEDaS13_S14_EUlS13_E_NS1_11comp_targetILNS1_3genE2ELNS1_11target_archE906ELNS1_3gpuE6ELNS1_3repE0EEENS1_30default_config_static_selectorELNS0_4arch9wavefront6targetE0EEEvT1_,"axG",@progbits,_ZN7rocprim17ROCPRIM_400000_NS6detail17trampoline_kernelINS0_14default_configENS1_25partition_config_selectorILNS1_17partition_subalgoE6EiNS0_10empty_typeEbEEZZNS1_14partition_implILS5_6ELb0ES3_mN6thrust23THRUST_200600_302600_NS6detail15normal_iteratorINSA_10device_ptrIiEEEEPS6_SG_NS0_5tupleIJSF_S6_EEENSH_IJSG_SG_EEES6_PlJNSB_9not_fun_tI7is_trueIiEEEEEE10hipError_tPvRmT3_T4_T5_T6_T7_T9_mT8_P12ihipStream_tbDpT10_ENKUlT_T0_E_clISt17integral_constantIbLb1EES17_IbLb0EEEEDaS13_S14_EUlS13_E_NS1_11comp_targetILNS1_3genE2ELNS1_11target_archE906ELNS1_3gpuE6ELNS1_3repE0EEENS1_30default_config_static_selectorELNS0_4arch9wavefront6targetE0EEEvT1_,comdat
.Lfunc_end1257:
	.size	_ZN7rocprim17ROCPRIM_400000_NS6detail17trampoline_kernelINS0_14default_configENS1_25partition_config_selectorILNS1_17partition_subalgoE6EiNS0_10empty_typeEbEEZZNS1_14partition_implILS5_6ELb0ES3_mN6thrust23THRUST_200600_302600_NS6detail15normal_iteratorINSA_10device_ptrIiEEEEPS6_SG_NS0_5tupleIJSF_S6_EEENSH_IJSG_SG_EEES6_PlJNSB_9not_fun_tI7is_trueIiEEEEEE10hipError_tPvRmT3_T4_T5_T6_T7_T9_mT8_P12ihipStream_tbDpT10_ENKUlT_T0_E_clISt17integral_constantIbLb1EES17_IbLb0EEEEDaS13_S14_EUlS13_E_NS1_11comp_targetILNS1_3genE2ELNS1_11target_archE906ELNS1_3gpuE6ELNS1_3repE0EEENS1_30default_config_static_selectorELNS0_4arch9wavefront6targetE0EEEvT1_, .Lfunc_end1257-_ZN7rocprim17ROCPRIM_400000_NS6detail17trampoline_kernelINS0_14default_configENS1_25partition_config_selectorILNS1_17partition_subalgoE6EiNS0_10empty_typeEbEEZZNS1_14partition_implILS5_6ELb0ES3_mN6thrust23THRUST_200600_302600_NS6detail15normal_iteratorINSA_10device_ptrIiEEEEPS6_SG_NS0_5tupleIJSF_S6_EEENSH_IJSG_SG_EEES6_PlJNSB_9not_fun_tI7is_trueIiEEEEEE10hipError_tPvRmT3_T4_T5_T6_T7_T9_mT8_P12ihipStream_tbDpT10_ENKUlT_T0_E_clISt17integral_constantIbLb1EES17_IbLb0EEEEDaS13_S14_EUlS13_E_NS1_11comp_targetILNS1_3genE2ELNS1_11target_archE906ELNS1_3gpuE6ELNS1_3repE0EEENS1_30default_config_static_selectorELNS0_4arch9wavefront6targetE0EEEvT1_
                                        ; -- End function
	.set _ZN7rocprim17ROCPRIM_400000_NS6detail17trampoline_kernelINS0_14default_configENS1_25partition_config_selectorILNS1_17partition_subalgoE6EiNS0_10empty_typeEbEEZZNS1_14partition_implILS5_6ELb0ES3_mN6thrust23THRUST_200600_302600_NS6detail15normal_iteratorINSA_10device_ptrIiEEEEPS6_SG_NS0_5tupleIJSF_S6_EEENSH_IJSG_SG_EEES6_PlJNSB_9not_fun_tI7is_trueIiEEEEEE10hipError_tPvRmT3_T4_T5_T6_T7_T9_mT8_P12ihipStream_tbDpT10_ENKUlT_T0_E_clISt17integral_constantIbLb1EES17_IbLb0EEEEDaS13_S14_EUlS13_E_NS1_11comp_targetILNS1_3genE2ELNS1_11target_archE906ELNS1_3gpuE6ELNS1_3repE0EEENS1_30default_config_static_selectorELNS0_4arch9wavefront6targetE0EEEvT1_.num_vgpr, 0
	.set _ZN7rocprim17ROCPRIM_400000_NS6detail17trampoline_kernelINS0_14default_configENS1_25partition_config_selectorILNS1_17partition_subalgoE6EiNS0_10empty_typeEbEEZZNS1_14partition_implILS5_6ELb0ES3_mN6thrust23THRUST_200600_302600_NS6detail15normal_iteratorINSA_10device_ptrIiEEEEPS6_SG_NS0_5tupleIJSF_S6_EEENSH_IJSG_SG_EEES6_PlJNSB_9not_fun_tI7is_trueIiEEEEEE10hipError_tPvRmT3_T4_T5_T6_T7_T9_mT8_P12ihipStream_tbDpT10_ENKUlT_T0_E_clISt17integral_constantIbLb1EES17_IbLb0EEEEDaS13_S14_EUlS13_E_NS1_11comp_targetILNS1_3genE2ELNS1_11target_archE906ELNS1_3gpuE6ELNS1_3repE0EEENS1_30default_config_static_selectorELNS0_4arch9wavefront6targetE0EEEvT1_.num_agpr, 0
	.set _ZN7rocprim17ROCPRIM_400000_NS6detail17trampoline_kernelINS0_14default_configENS1_25partition_config_selectorILNS1_17partition_subalgoE6EiNS0_10empty_typeEbEEZZNS1_14partition_implILS5_6ELb0ES3_mN6thrust23THRUST_200600_302600_NS6detail15normal_iteratorINSA_10device_ptrIiEEEEPS6_SG_NS0_5tupleIJSF_S6_EEENSH_IJSG_SG_EEES6_PlJNSB_9not_fun_tI7is_trueIiEEEEEE10hipError_tPvRmT3_T4_T5_T6_T7_T9_mT8_P12ihipStream_tbDpT10_ENKUlT_T0_E_clISt17integral_constantIbLb1EES17_IbLb0EEEEDaS13_S14_EUlS13_E_NS1_11comp_targetILNS1_3genE2ELNS1_11target_archE906ELNS1_3gpuE6ELNS1_3repE0EEENS1_30default_config_static_selectorELNS0_4arch9wavefront6targetE0EEEvT1_.numbered_sgpr, 0
	.set _ZN7rocprim17ROCPRIM_400000_NS6detail17trampoline_kernelINS0_14default_configENS1_25partition_config_selectorILNS1_17partition_subalgoE6EiNS0_10empty_typeEbEEZZNS1_14partition_implILS5_6ELb0ES3_mN6thrust23THRUST_200600_302600_NS6detail15normal_iteratorINSA_10device_ptrIiEEEEPS6_SG_NS0_5tupleIJSF_S6_EEENSH_IJSG_SG_EEES6_PlJNSB_9not_fun_tI7is_trueIiEEEEEE10hipError_tPvRmT3_T4_T5_T6_T7_T9_mT8_P12ihipStream_tbDpT10_ENKUlT_T0_E_clISt17integral_constantIbLb1EES17_IbLb0EEEEDaS13_S14_EUlS13_E_NS1_11comp_targetILNS1_3genE2ELNS1_11target_archE906ELNS1_3gpuE6ELNS1_3repE0EEENS1_30default_config_static_selectorELNS0_4arch9wavefront6targetE0EEEvT1_.num_named_barrier, 0
	.set _ZN7rocprim17ROCPRIM_400000_NS6detail17trampoline_kernelINS0_14default_configENS1_25partition_config_selectorILNS1_17partition_subalgoE6EiNS0_10empty_typeEbEEZZNS1_14partition_implILS5_6ELb0ES3_mN6thrust23THRUST_200600_302600_NS6detail15normal_iteratorINSA_10device_ptrIiEEEEPS6_SG_NS0_5tupleIJSF_S6_EEENSH_IJSG_SG_EEES6_PlJNSB_9not_fun_tI7is_trueIiEEEEEE10hipError_tPvRmT3_T4_T5_T6_T7_T9_mT8_P12ihipStream_tbDpT10_ENKUlT_T0_E_clISt17integral_constantIbLb1EES17_IbLb0EEEEDaS13_S14_EUlS13_E_NS1_11comp_targetILNS1_3genE2ELNS1_11target_archE906ELNS1_3gpuE6ELNS1_3repE0EEENS1_30default_config_static_selectorELNS0_4arch9wavefront6targetE0EEEvT1_.private_seg_size, 0
	.set _ZN7rocprim17ROCPRIM_400000_NS6detail17trampoline_kernelINS0_14default_configENS1_25partition_config_selectorILNS1_17partition_subalgoE6EiNS0_10empty_typeEbEEZZNS1_14partition_implILS5_6ELb0ES3_mN6thrust23THRUST_200600_302600_NS6detail15normal_iteratorINSA_10device_ptrIiEEEEPS6_SG_NS0_5tupleIJSF_S6_EEENSH_IJSG_SG_EEES6_PlJNSB_9not_fun_tI7is_trueIiEEEEEE10hipError_tPvRmT3_T4_T5_T6_T7_T9_mT8_P12ihipStream_tbDpT10_ENKUlT_T0_E_clISt17integral_constantIbLb1EES17_IbLb0EEEEDaS13_S14_EUlS13_E_NS1_11comp_targetILNS1_3genE2ELNS1_11target_archE906ELNS1_3gpuE6ELNS1_3repE0EEENS1_30default_config_static_selectorELNS0_4arch9wavefront6targetE0EEEvT1_.uses_vcc, 0
	.set _ZN7rocprim17ROCPRIM_400000_NS6detail17trampoline_kernelINS0_14default_configENS1_25partition_config_selectorILNS1_17partition_subalgoE6EiNS0_10empty_typeEbEEZZNS1_14partition_implILS5_6ELb0ES3_mN6thrust23THRUST_200600_302600_NS6detail15normal_iteratorINSA_10device_ptrIiEEEEPS6_SG_NS0_5tupleIJSF_S6_EEENSH_IJSG_SG_EEES6_PlJNSB_9not_fun_tI7is_trueIiEEEEEE10hipError_tPvRmT3_T4_T5_T6_T7_T9_mT8_P12ihipStream_tbDpT10_ENKUlT_T0_E_clISt17integral_constantIbLb1EES17_IbLb0EEEEDaS13_S14_EUlS13_E_NS1_11comp_targetILNS1_3genE2ELNS1_11target_archE906ELNS1_3gpuE6ELNS1_3repE0EEENS1_30default_config_static_selectorELNS0_4arch9wavefront6targetE0EEEvT1_.uses_flat_scratch, 0
	.set _ZN7rocprim17ROCPRIM_400000_NS6detail17trampoline_kernelINS0_14default_configENS1_25partition_config_selectorILNS1_17partition_subalgoE6EiNS0_10empty_typeEbEEZZNS1_14partition_implILS5_6ELb0ES3_mN6thrust23THRUST_200600_302600_NS6detail15normal_iteratorINSA_10device_ptrIiEEEEPS6_SG_NS0_5tupleIJSF_S6_EEENSH_IJSG_SG_EEES6_PlJNSB_9not_fun_tI7is_trueIiEEEEEE10hipError_tPvRmT3_T4_T5_T6_T7_T9_mT8_P12ihipStream_tbDpT10_ENKUlT_T0_E_clISt17integral_constantIbLb1EES17_IbLb0EEEEDaS13_S14_EUlS13_E_NS1_11comp_targetILNS1_3genE2ELNS1_11target_archE906ELNS1_3gpuE6ELNS1_3repE0EEENS1_30default_config_static_selectorELNS0_4arch9wavefront6targetE0EEEvT1_.has_dyn_sized_stack, 0
	.set _ZN7rocprim17ROCPRIM_400000_NS6detail17trampoline_kernelINS0_14default_configENS1_25partition_config_selectorILNS1_17partition_subalgoE6EiNS0_10empty_typeEbEEZZNS1_14partition_implILS5_6ELb0ES3_mN6thrust23THRUST_200600_302600_NS6detail15normal_iteratorINSA_10device_ptrIiEEEEPS6_SG_NS0_5tupleIJSF_S6_EEENSH_IJSG_SG_EEES6_PlJNSB_9not_fun_tI7is_trueIiEEEEEE10hipError_tPvRmT3_T4_T5_T6_T7_T9_mT8_P12ihipStream_tbDpT10_ENKUlT_T0_E_clISt17integral_constantIbLb1EES17_IbLb0EEEEDaS13_S14_EUlS13_E_NS1_11comp_targetILNS1_3genE2ELNS1_11target_archE906ELNS1_3gpuE6ELNS1_3repE0EEENS1_30default_config_static_selectorELNS0_4arch9wavefront6targetE0EEEvT1_.has_recursion, 0
	.set _ZN7rocprim17ROCPRIM_400000_NS6detail17trampoline_kernelINS0_14default_configENS1_25partition_config_selectorILNS1_17partition_subalgoE6EiNS0_10empty_typeEbEEZZNS1_14partition_implILS5_6ELb0ES3_mN6thrust23THRUST_200600_302600_NS6detail15normal_iteratorINSA_10device_ptrIiEEEEPS6_SG_NS0_5tupleIJSF_S6_EEENSH_IJSG_SG_EEES6_PlJNSB_9not_fun_tI7is_trueIiEEEEEE10hipError_tPvRmT3_T4_T5_T6_T7_T9_mT8_P12ihipStream_tbDpT10_ENKUlT_T0_E_clISt17integral_constantIbLb1EES17_IbLb0EEEEDaS13_S14_EUlS13_E_NS1_11comp_targetILNS1_3genE2ELNS1_11target_archE906ELNS1_3gpuE6ELNS1_3repE0EEENS1_30default_config_static_selectorELNS0_4arch9wavefront6targetE0EEEvT1_.has_indirect_call, 0
	.section	.AMDGPU.csdata,"",@progbits
; Kernel info:
; codeLenInByte = 0
; TotalNumSgprs: 0
; NumVgprs: 0
; ScratchSize: 0
; MemoryBound: 0
; FloatMode: 240
; IeeeMode: 1
; LDSByteSize: 0 bytes/workgroup (compile time only)
; SGPRBlocks: 0
; VGPRBlocks: 0
; NumSGPRsForWavesPerEU: 1
; NumVGPRsForWavesPerEU: 1
; Occupancy: 16
; WaveLimiterHint : 0
; COMPUTE_PGM_RSRC2:SCRATCH_EN: 0
; COMPUTE_PGM_RSRC2:USER_SGPR: 2
; COMPUTE_PGM_RSRC2:TRAP_HANDLER: 0
; COMPUTE_PGM_RSRC2:TGID_X_EN: 1
; COMPUTE_PGM_RSRC2:TGID_Y_EN: 0
; COMPUTE_PGM_RSRC2:TGID_Z_EN: 0
; COMPUTE_PGM_RSRC2:TIDIG_COMP_CNT: 0
	.section	.text._ZN7rocprim17ROCPRIM_400000_NS6detail17trampoline_kernelINS0_14default_configENS1_25partition_config_selectorILNS1_17partition_subalgoE6EiNS0_10empty_typeEbEEZZNS1_14partition_implILS5_6ELb0ES3_mN6thrust23THRUST_200600_302600_NS6detail15normal_iteratorINSA_10device_ptrIiEEEEPS6_SG_NS0_5tupleIJSF_S6_EEENSH_IJSG_SG_EEES6_PlJNSB_9not_fun_tI7is_trueIiEEEEEE10hipError_tPvRmT3_T4_T5_T6_T7_T9_mT8_P12ihipStream_tbDpT10_ENKUlT_T0_E_clISt17integral_constantIbLb1EES17_IbLb0EEEEDaS13_S14_EUlS13_E_NS1_11comp_targetILNS1_3genE10ELNS1_11target_archE1200ELNS1_3gpuE4ELNS1_3repE0EEENS1_30default_config_static_selectorELNS0_4arch9wavefront6targetE0EEEvT1_,"axG",@progbits,_ZN7rocprim17ROCPRIM_400000_NS6detail17trampoline_kernelINS0_14default_configENS1_25partition_config_selectorILNS1_17partition_subalgoE6EiNS0_10empty_typeEbEEZZNS1_14partition_implILS5_6ELb0ES3_mN6thrust23THRUST_200600_302600_NS6detail15normal_iteratorINSA_10device_ptrIiEEEEPS6_SG_NS0_5tupleIJSF_S6_EEENSH_IJSG_SG_EEES6_PlJNSB_9not_fun_tI7is_trueIiEEEEEE10hipError_tPvRmT3_T4_T5_T6_T7_T9_mT8_P12ihipStream_tbDpT10_ENKUlT_T0_E_clISt17integral_constantIbLb1EES17_IbLb0EEEEDaS13_S14_EUlS13_E_NS1_11comp_targetILNS1_3genE10ELNS1_11target_archE1200ELNS1_3gpuE4ELNS1_3repE0EEENS1_30default_config_static_selectorELNS0_4arch9wavefront6targetE0EEEvT1_,comdat
	.protected	_ZN7rocprim17ROCPRIM_400000_NS6detail17trampoline_kernelINS0_14default_configENS1_25partition_config_selectorILNS1_17partition_subalgoE6EiNS0_10empty_typeEbEEZZNS1_14partition_implILS5_6ELb0ES3_mN6thrust23THRUST_200600_302600_NS6detail15normal_iteratorINSA_10device_ptrIiEEEEPS6_SG_NS0_5tupleIJSF_S6_EEENSH_IJSG_SG_EEES6_PlJNSB_9not_fun_tI7is_trueIiEEEEEE10hipError_tPvRmT3_T4_T5_T6_T7_T9_mT8_P12ihipStream_tbDpT10_ENKUlT_T0_E_clISt17integral_constantIbLb1EES17_IbLb0EEEEDaS13_S14_EUlS13_E_NS1_11comp_targetILNS1_3genE10ELNS1_11target_archE1200ELNS1_3gpuE4ELNS1_3repE0EEENS1_30default_config_static_selectorELNS0_4arch9wavefront6targetE0EEEvT1_ ; -- Begin function _ZN7rocprim17ROCPRIM_400000_NS6detail17trampoline_kernelINS0_14default_configENS1_25partition_config_selectorILNS1_17partition_subalgoE6EiNS0_10empty_typeEbEEZZNS1_14partition_implILS5_6ELb0ES3_mN6thrust23THRUST_200600_302600_NS6detail15normal_iteratorINSA_10device_ptrIiEEEEPS6_SG_NS0_5tupleIJSF_S6_EEENSH_IJSG_SG_EEES6_PlJNSB_9not_fun_tI7is_trueIiEEEEEE10hipError_tPvRmT3_T4_T5_T6_T7_T9_mT8_P12ihipStream_tbDpT10_ENKUlT_T0_E_clISt17integral_constantIbLb1EES17_IbLb0EEEEDaS13_S14_EUlS13_E_NS1_11comp_targetILNS1_3genE10ELNS1_11target_archE1200ELNS1_3gpuE4ELNS1_3repE0EEENS1_30default_config_static_selectorELNS0_4arch9wavefront6targetE0EEEvT1_
	.globl	_ZN7rocprim17ROCPRIM_400000_NS6detail17trampoline_kernelINS0_14default_configENS1_25partition_config_selectorILNS1_17partition_subalgoE6EiNS0_10empty_typeEbEEZZNS1_14partition_implILS5_6ELb0ES3_mN6thrust23THRUST_200600_302600_NS6detail15normal_iteratorINSA_10device_ptrIiEEEEPS6_SG_NS0_5tupleIJSF_S6_EEENSH_IJSG_SG_EEES6_PlJNSB_9not_fun_tI7is_trueIiEEEEEE10hipError_tPvRmT3_T4_T5_T6_T7_T9_mT8_P12ihipStream_tbDpT10_ENKUlT_T0_E_clISt17integral_constantIbLb1EES17_IbLb0EEEEDaS13_S14_EUlS13_E_NS1_11comp_targetILNS1_3genE10ELNS1_11target_archE1200ELNS1_3gpuE4ELNS1_3repE0EEENS1_30default_config_static_selectorELNS0_4arch9wavefront6targetE0EEEvT1_
	.p2align	8
	.type	_ZN7rocprim17ROCPRIM_400000_NS6detail17trampoline_kernelINS0_14default_configENS1_25partition_config_selectorILNS1_17partition_subalgoE6EiNS0_10empty_typeEbEEZZNS1_14partition_implILS5_6ELb0ES3_mN6thrust23THRUST_200600_302600_NS6detail15normal_iteratorINSA_10device_ptrIiEEEEPS6_SG_NS0_5tupleIJSF_S6_EEENSH_IJSG_SG_EEES6_PlJNSB_9not_fun_tI7is_trueIiEEEEEE10hipError_tPvRmT3_T4_T5_T6_T7_T9_mT8_P12ihipStream_tbDpT10_ENKUlT_T0_E_clISt17integral_constantIbLb1EES17_IbLb0EEEEDaS13_S14_EUlS13_E_NS1_11comp_targetILNS1_3genE10ELNS1_11target_archE1200ELNS1_3gpuE4ELNS1_3repE0EEENS1_30default_config_static_selectorELNS0_4arch9wavefront6targetE0EEEvT1_,@function
_ZN7rocprim17ROCPRIM_400000_NS6detail17trampoline_kernelINS0_14default_configENS1_25partition_config_selectorILNS1_17partition_subalgoE6EiNS0_10empty_typeEbEEZZNS1_14partition_implILS5_6ELb0ES3_mN6thrust23THRUST_200600_302600_NS6detail15normal_iteratorINSA_10device_ptrIiEEEEPS6_SG_NS0_5tupleIJSF_S6_EEENSH_IJSG_SG_EEES6_PlJNSB_9not_fun_tI7is_trueIiEEEEEE10hipError_tPvRmT3_T4_T5_T6_T7_T9_mT8_P12ihipStream_tbDpT10_ENKUlT_T0_E_clISt17integral_constantIbLb1EES17_IbLb0EEEEDaS13_S14_EUlS13_E_NS1_11comp_targetILNS1_3genE10ELNS1_11target_archE1200ELNS1_3gpuE4ELNS1_3repE0EEENS1_30default_config_static_selectorELNS0_4arch9wavefront6targetE0EEEvT1_: ; @_ZN7rocprim17ROCPRIM_400000_NS6detail17trampoline_kernelINS0_14default_configENS1_25partition_config_selectorILNS1_17partition_subalgoE6EiNS0_10empty_typeEbEEZZNS1_14partition_implILS5_6ELb0ES3_mN6thrust23THRUST_200600_302600_NS6detail15normal_iteratorINSA_10device_ptrIiEEEEPS6_SG_NS0_5tupleIJSF_S6_EEENSH_IJSG_SG_EEES6_PlJNSB_9not_fun_tI7is_trueIiEEEEEE10hipError_tPvRmT3_T4_T5_T6_T7_T9_mT8_P12ihipStream_tbDpT10_ENKUlT_T0_E_clISt17integral_constantIbLb1EES17_IbLb0EEEEDaS13_S14_EUlS13_E_NS1_11comp_targetILNS1_3genE10ELNS1_11target_archE1200ELNS1_3gpuE4ELNS1_3repE0EEENS1_30default_config_static_selectorELNS0_4arch9wavefront6targetE0EEEvT1_
; %bb.0:
	s_endpgm
	.section	.rodata,"a",@progbits
	.p2align	6, 0x0
	.amdhsa_kernel _ZN7rocprim17ROCPRIM_400000_NS6detail17trampoline_kernelINS0_14default_configENS1_25partition_config_selectorILNS1_17partition_subalgoE6EiNS0_10empty_typeEbEEZZNS1_14partition_implILS5_6ELb0ES3_mN6thrust23THRUST_200600_302600_NS6detail15normal_iteratorINSA_10device_ptrIiEEEEPS6_SG_NS0_5tupleIJSF_S6_EEENSH_IJSG_SG_EEES6_PlJNSB_9not_fun_tI7is_trueIiEEEEEE10hipError_tPvRmT3_T4_T5_T6_T7_T9_mT8_P12ihipStream_tbDpT10_ENKUlT_T0_E_clISt17integral_constantIbLb1EES17_IbLb0EEEEDaS13_S14_EUlS13_E_NS1_11comp_targetILNS1_3genE10ELNS1_11target_archE1200ELNS1_3gpuE4ELNS1_3repE0EEENS1_30default_config_static_selectorELNS0_4arch9wavefront6targetE0EEEvT1_
		.amdhsa_group_segment_fixed_size 0
		.amdhsa_private_segment_fixed_size 0
		.amdhsa_kernarg_size 112
		.amdhsa_user_sgpr_count 2
		.amdhsa_user_sgpr_dispatch_ptr 0
		.amdhsa_user_sgpr_queue_ptr 0
		.amdhsa_user_sgpr_kernarg_segment_ptr 1
		.amdhsa_user_sgpr_dispatch_id 0
		.amdhsa_user_sgpr_private_segment_size 0
		.amdhsa_wavefront_size32 1
		.amdhsa_uses_dynamic_stack 0
		.amdhsa_enable_private_segment 0
		.amdhsa_system_sgpr_workgroup_id_x 1
		.amdhsa_system_sgpr_workgroup_id_y 0
		.amdhsa_system_sgpr_workgroup_id_z 0
		.amdhsa_system_sgpr_workgroup_info 0
		.amdhsa_system_vgpr_workitem_id 0
		.amdhsa_next_free_vgpr 1
		.amdhsa_next_free_sgpr 1
		.amdhsa_reserve_vcc 0
		.amdhsa_float_round_mode_32 0
		.amdhsa_float_round_mode_16_64 0
		.amdhsa_float_denorm_mode_32 3
		.amdhsa_float_denorm_mode_16_64 3
		.amdhsa_fp16_overflow 0
		.amdhsa_workgroup_processor_mode 1
		.amdhsa_memory_ordered 1
		.amdhsa_forward_progress 1
		.amdhsa_inst_pref_size 1
		.amdhsa_round_robin_scheduling 0
		.amdhsa_exception_fp_ieee_invalid_op 0
		.amdhsa_exception_fp_denorm_src 0
		.amdhsa_exception_fp_ieee_div_zero 0
		.amdhsa_exception_fp_ieee_overflow 0
		.amdhsa_exception_fp_ieee_underflow 0
		.amdhsa_exception_fp_ieee_inexact 0
		.amdhsa_exception_int_div_zero 0
	.end_amdhsa_kernel
	.section	.text._ZN7rocprim17ROCPRIM_400000_NS6detail17trampoline_kernelINS0_14default_configENS1_25partition_config_selectorILNS1_17partition_subalgoE6EiNS0_10empty_typeEbEEZZNS1_14partition_implILS5_6ELb0ES3_mN6thrust23THRUST_200600_302600_NS6detail15normal_iteratorINSA_10device_ptrIiEEEEPS6_SG_NS0_5tupleIJSF_S6_EEENSH_IJSG_SG_EEES6_PlJNSB_9not_fun_tI7is_trueIiEEEEEE10hipError_tPvRmT3_T4_T5_T6_T7_T9_mT8_P12ihipStream_tbDpT10_ENKUlT_T0_E_clISt17integral_constantIbLb1EES17_IbLb0EEEEDaS13_S14_EUlS13_E_NS1_11comp_targetILNS1_3genE10ELNS1_11target_archE1200ELNS1_3gpuE4ELNS1_3repE0EEENS1_30default_config_static_selectorELNS0_4arch9wavefront6targetE0EEEvT1_,"axG",@progbits,_ZN7rocprim17ROCPRIM_400000_NS6detail17trampoline_kernelINS0_14default_configENS1_25partition_config_selectorILNS1_17partition_subalgoE6EiNS0_10empty_typeEbEEZZNS1_14partition_implILS5_6ELb0ES3_mN6thrust23THRUST_200600_302600_NS6detail15normal_iteratorINSA_10device_ptrIiEEEEPS6_SG_NS0_5tupleIJSF_S6_EEENSH_IJSG_SG_EEES6_PlJNSB_9not_fun_tI7is_trueIiEEEEEE10hipError_tPvRmT3_T4_T5_T6_T7_T9_mT8_P12ihipStream_tbDpT10_ENKUlT_T0_E_clISt17integral_constantIbLb1EES17_IbLb0EEEEDaS13_S14_EUlS13_E_NS1_11comp_targetILNS1_3genE10ELNS1_11target_archE1200ELNS1_3gpuE4ELNS1_3repE0EEENS1_30default_config_static_selectorELNS0_4arch9wavefront6targetE0EEEvT1_,comdat
.Lfunc_end1258:
	.size	_ZN7rocprim17ROCPRIM_400000_NS6detail17trampoline_kernelINS0_14default_configENS1_25partition_config_selectorILNS1_17partition_subalgoE6EiNS0_10empty_typeEbEEZZNS1_14partition_implILS5_6ELb0ES3_mN6thrust23THRUST_200600_302600_NS6detail15normal_iteratorINSA_10device_ptrIiEEEEPS6_SG_NS0_5tupleIJSF_S6_EEENSH_IJSG_SG_EEES6_PlJNSB_9not_fun_tI7is_trueIiEEEEEE10hipError_tPvRmT3_T4_T5_T6_T7_T9_mT8_P12ihipStream_tbDpT10_ENKUlT_T0_E_clISt17integral_constantIbLb1EES17_IbLb0EEEEDaS13_S14_EUlS13_E_NS1_11comp_targetILNS1_3genE10ELNS1_11target_archE1200ELNS1_3gpuE4ELNS1_3repE0EEENS1_30default_config_static_selectorELNS0_4arch9wavefront6targetE0EEEvT1_, .Lfunc_end1258-_ZN7rocprim17ROCPRIM_400000_NS6detail17trampoline_kernelINS0_14default_configENS1_25partition_config_selectorILNS1_17partition_subalgoE6EiNS0_10empty_typeEbEEZZNS1_14partition_implILS5_6ELb0ES3_mN6thrust23THRUST_200600_302600_NS6detail15normal_iteratorINSA_10device_ptrIiEEEEPS6_SG_NS0_5tupleIJSF_S6_EEENSH_IJSG_SG_EEES6_PlJNSB_9not_fun_tI7is_trueIiEEEEEE10hipError_tPvRmT3_T4_T5_T6_T7_T9_mT8_P12ihipStream_tbDpT10_ENKUlT_T0_E_clISt17integral_constantIbLb1EES17_IbLb0EEEEDaS13_S14_EUlS13_E_NS1_11comp_targetILNS1_3genE10ELNS1_11target_archE1200ELNS1_3gpuE4ELNS1_3repE0EEENS1_30default_config_static_selectorELNS0_4arch9wavefront6targetE0EEEvT1_
                                        ; -- End function
	.set _ZN7rocprim17ROCPRIM_400000_NS6detail17trampoline_kernelINS0_14default_configENS1_25partition_config_selectorILNS1_17partition_subalgoE6EiNS0_10empty_typeEbEEZZNS1_14partition_implILS5_6ELb0ES3_mN6thrust23THRUST_200600_302600_NS6detail15normal_iteratorINSA_10device_ptrIiEEEEPS6_SG_NS0_5tupleIJSF_S6_EEENSH_IJSG_SG_EEES6_PlJNSB_9not_fun_tI7is_trueIiEEEEEE10hipError_tPvRmT3_T4_T5_T6_T7_T9_mT8_P12ihipStream_tbDpT10_ENKUlT_T0_E_clISt17integral_constantIbLb1EES17_IbLb0EEEEDaS13_S14_EUlS13_E_NS1_11comp_targetILNS1_3genE10ELNS1_11target_archE1200ELNS1_3gpuE4ELNS1_3repE0EEENS1_30default_config_static_selectorELNS0_4arch9wavefront6targetE0EEEvT1_.num_vgpr, 0
	.set _ZN7rocprim17ROCPRIM_400000_NS6detail17trampoline_kernelINS0_14default_configENS1_25partition_config_selectorILNS1_17partition_subalgoE6EiNS0_10empty_typeEbEEZZNS1_14partition_implILS5_6ELb0ES3_mN6thrust23THRUST_200600_302600_NS6detail15normal_iteratorINSA_10device_ptrIiEEEEPS6_SG_NS0_5tupleIJSF_S6_EEENSH_IJSG_SG_EEES6_PlJNSB_9not_fun_tI7is_trueIiEEEEEE10hipError_tPvRmT3_T4_T5_T6_T7_T9_mT8_P12ihipStream_tbDpT10_ENKUlT_T0_E_clISt17integral_constantIbLb1EES17_IbLb0EEEEDaS13_S14_EUlS13_E_NS1_11comp_targetILNS1_3genE10ELNS1_11target_archE1200ELNS1_3gpuE4ELNS1_3repE0EEENS1_30default_config_static_selectorELNS0_4arch9wavefront6targetE0EEEvT1_.num_agpr, 0
	.set _ZN7rocprim17ROCPRIM_400000_NS6detail17trampoline_kernelINS0_14default_configENS1_25partition_config_selectorILNS1_17partition_subalgoE6EiNS0_10empty_typeEbEEZZNS1_14partition_implILS5_6ELb0ES3_mN6thrust23THRUST_200600_302600_NS6detail15normal_iteratorINSA_10device_ptrIiEEEEPS6_SG_NS0_5tupleIJSF_S6_EEENSH_IJSG_SG_EEES6_PlJNSB_9not_fun_tI7is_trueIiEEEEEE10hipError_tPvRmT3_T4_T5_T6_T7_T9_mT8_P12ihipStream_tbDpT10_ENKUlT_T0_E_clISt17integral_constantIbLb1EES17_IbLb0EEEEDaS13_S14_EUlS13_E_NS1_11comp_targetILNS1_3genE10ELNS1_11target_archE1200ELNS1_3gpuE4ELNS1_3repE0EEENS1_30default_config_static_selectorELNS0_4arch9wavefront6targetE0EEEvT1_.numbered_sgpr, 0
	.set _ZN7rocprim17ROCPRIM_400000_NS6detail17trampoline_kernelINS0_14default_configENS1_25partition_config_selectorILNS1_17partition_subalgoE6EiNS0_10empty_typeEbEEZZNS1_14partition_implILS5_6ELb0ES3_mN6thrust23THRUST_200600_302600_NS6detail15normal_iteratorINSA_10device_ptrIiEEEEPS6_SG_NS0_5tupleIJSF_S6_EEENSH_IJSG_SG_EEES6_PlJNSB_9not_fun_tI7is_trueIiEEEEEE10hipError_tPvRmT3_T4_T5_T6_T7_T9_mT8_P12ihipStream_tbDpT10_ENKUlT_T0_E_clISt17integral_constantIbLb1EES17_IbLb0EEEEDaS13_S14_EUlS13_E_NS1_11comp_targetILNS1_3genE10ELNS1_11target_archE1200ELNS1_3gpuE4ELNS1_3repE0EEENS1_30default_config_static_selectorELNS0_4arch9wavefront6targetE0EEEvT1_.num_named_barrier, 0
	.set _ZN7rocprim17ROCPRIM_400000_NS6detail17trampoline_kernelINS0_14default_configENS1_25partition_config_selectorILNS1_17partition_subalgoE6EiNS0_10empty_typeEbEEZZNS1_14partition_implILS5_6ELb0ES3_mN6thrust23THRUST_200600_302600_NS6detail15normal_iteratorINSA_10device_ptrIiEEEEPS6_SG_NS0_5tupleIJSF_S6_EEENSH_IJSG_SG_EEES6_PlJNSB_9not_fun_tI7is_trueIiEEEEEE10hipError_tPvRmT3_T4_T5_T6_T7_T9_mT8_P12ihipStream_tbDpT10_ENKUlT_T0_E_clISt17integral_constantIbLb1EES17_IbLb0EEEEDaS13_S14_EUlS13_E_NS1_11comp_targetILNS1_3genE10ELNS1_11target_archE1200ELNS1_3gpuE4ELNS1_3repE0EEENS1_30default_config_static_selectorELNS0_4arch9wavefront6targetE0EEEvT1_.private_seg_size, 0
	.set _ZN7rocprim17ROCPRIM_400000_NS6detail17trampoline_kernelINS0_14default_configENS1_25partition_config_selectorILNS1_17partition_subalgoE6EiNS0_10empty_typeEbEEZZNS1_14partition_implILS5_6ELb0ES3_mN6thrust23THRUST_200600_302600_NS6detail15normal_iteratorINSA_10device_ptrIiEEEEPS6_SG_NS0_5tupleIJSF_S6_EEENSH_IJSG_SG_EEES6_PlJNSB_9not_fun_tI7is_trueIiEEEEEE10hipError_tPvRmT3_T4_T5_T6_T7_T9_mT8_P12ihipStream_tbDpT10_ENKUlT_T0_E_clISt17integral_constantIbLb1EES17_IbLb0EEEEDaS13_S14_EUlS13_E_NS1_11comp_targetILNS1_3genE10ELNS1_11target_archE1200ELNS1_3gpuE4ELNS1_3repE0EEENS1_30default_config_static_selectorELNS0_4arch9wavefront6targetE0EEEvT1_.uses_vcc, 0
	.set _ZN7rocprim17ROCPRIM_400000_NS6detail17trampoline_kernelINS0_14default_configENS1_25partition_config_selectorILNS1_17partition_subalgoE6EiNS0_10empty_typeEbEEZZNS1_14partition_implILS5_6ELb0ES3_mN6thrust23THRUST_200600_302600_NS6detail15normal_iteratorINSA_10device_ptrIiEEEEPS6_SG_NS0_5tupleIJSF_S6_EEENSH_IJSG_SG_EEES6_PlJNSB_9not_fun_tI7is_trueIiEEEEEE10hipError_tPvRmT3_T4_T5_T6_T7_T9_mT8_P12ihipStream_tbDpT10_ENKUlT_T0_E_clISt17integral_constantIbLb1EES17_IbLb0EEEEDaS13_S14_EUlS13_E_NS1_11comp_targetILNS1_3genE10ELNS1_11target_archE1200ELNS1_3gpuE4ELNS1_3repE0EEENS1_30default_config_static_selectorELNS0_4arch9wavefront6targetE0EEEvT1_.uses_flat_scratch, 0
	.set _ZN7rocprim17ROCPRIM_400000_NS6detail17trampoline_kernelINS0_14default_configENS1_25partition_config_selectorILNS1_17partition_subalgoE6EiNS0_10empty_typeEbEEZZNS1_14partition_implILS5_6ELb0ES3_mN6thrust23THRUST_200600_302600_NS6detail15normal_iteratorINSA_10device_ptrIiEEEEPS6_SG_NS0_5tupleIJSF_S6_EEENSH_IJSG_SG_EEES6_PlJNSB_9not_fun_tI7is_trueIiEEEEEE10hipError_tPvRmT3_T4_T5_T6_T7_T9_mT8_P12ihipStream_tbDpT10_ENKUlT_T0_E_clISt17integral_constantIbLb1EES17_IbLb0EEEEDaS13_S14_EUlS13_E_NS1_11comp_targetILNS1_3genE10ELNS1_11target_archE1200ELNS1_3gpuE4ELNS1_3repE0EEENS1_30default_config_static_selectorELNS0_4arch9wavefront6targetE0EEEvT1_.has_dyn_sized_stack, 0
	.set _ZN7rocprim17ROCPRIM_400000_NS6detail17trampoline_kernelINS0_14default_configENS1_25partition_config_selectorILNS1_17partition_subalgoE6EiNS0_10empty_typeEbEEZZNS1_14partition_implILS5_6ELb0ES3_mN6thrust23THRUST_200600_302600_NS6detail15normal_iteratorINSA_10device_ptrIiEEEEPS6_SG_NS0_5tupleIJSF_S6_EEENSH_IJSG_SG_EEES6_PlJNSB_9not_fun_tI7is_trueIiEEEEEE10hipError_tPvRmT3_T4_T5_T6_T7_T9_mT8_P12ihipStream_tbDpT10_ENKUlT_T0_E_clISt17integral_constantIbLb1EES17_IbLb0EEEEDaS13_S14_EUlS13_E_NS1_11comp_targetILNS1_3genE10ELNS1_11target_archE1200ELNS1_3gpuE4ELNS1_3repE0EEENS1_30default_config_static_selectorELNS0_4arch9wavefront6targetE0EEEvT1_.has_recursion, 0
	.set _ZN7rocprim17ROCPRIM_400000_NS6detail17trampoline_kernelINS0_14default_configENS1_25partition_config_selectorILNS1_17partition_subalgoE6EiNS0_10empty_typeEbEEZZNS1_14partition_implILS5_6ELb0ES3_mN6thrust23THRUST_200600_302600_NS6detail15normal_iteratorINSA_10device_ptrIiEEEEPS6_SG_NS0_5tupleIJSF_S6_EEENSH_IJSG_SG_EEES6_PlJNSB_9not_fun_tI7is_trueIiEEEEEE10hipError_tPvRmT3_T4_T5_T6_T7_T9_mT8_P12ihipStream_tbDpT10_ENKUlT_T0_E_clISt17integral_constantIbLb1EES17_IbLb0EEEEDaS13_S14_EUlS13_E_NS1_11comp_targetILNS1_3genE10ELNS1_11target_archE1200ELNS1_3gpuE4ELNS1_3repE0EEENS1_30default_config_static_selectorELNS0_4arch9wavefront6targetE0EEEvT1_.has_indirect_call, 0
	.section	.AMDGPU.csdata,"",@progbits
; Kernel info:
; codeLenInByte = 4
; TotalNumSgprs: 0
; NumVgprs: 0
; ScratchSize: 0
; MemoryBound: 0
; FloatMode: 240
; IeeeMode: 1
; LDSByteSize: 0 bytes/workgroup (compile time only)
; SGPRBlocks: 0
; VGPRBlocks: 0
; NumSGPRsForWavesPerEU: 1
; NumVGPRsForWavesPerEU: 1
; Occupancy: 16
; WaveLimiterHint : 0
; COMPUTE_PGM_RSRC2:SCRATCH_EN: 0
; COMPUTE_PGM_RSRC2:USER_SGPR: 2
; COMPUTE_PGM_RSRC2:TRAP_HANDLER: 0
; COMPUTE_PGM_RSRC2:TGID_X_EN: 1
; COMPUTE_PGM_RSRC2:TGID_Y_EN: 0
; COMPUTE_PGM_RSRC2:TGID_Z_EN: 0
; COMPUTE_PGM_RSRC2:TIDIG_COMP_CNT: 0
	.section	.text._ZN7rocprim17ROCPRIM_400000_NS6detail17trampoline_kernelINS0_14default_configENS1_25partition_config_selectorILNS1_17partition_subalgoE6EiNS0_10empty_typeEbEEZZNS1_14partition_implILS5_6ELb0ES3_mN6thrust23THRUST_200600_302600_NS6detail15normal_iteratorINSA_10device_ptrIiEEEEPS6_SG_NS0_5tupleIJSF_S6_EEENSH_IJSG_SG_EEES6_PlJNSB_9not_fun_tI7is_trueIiEEEEEE10hipError_tPvRmT3_T4_T5_T6_T7_T9_mT8_P12ihipStream_tbDpT10_ENKUlT_T0_E_clISt17integral_constantIbLb1EES17_IbLb0EEEEDaS13_S14_EUlS13_E_NS1_11comp_targetILNS1_3genE9ELNS1_11target_archE1100ELNS1_3gpuE3ELNS1_3repE0EEENS1_30default_config_static_selectorELNS0_4arch9wavefront6targetE0EEEvT1_,"axG",@progbits,_ZN7rocprim17ROCPRIM_400000_NS6detail17trampoline_kernelINS0_14default_configENS1_25partition_config_selectorILNS1_17partition_subalgoE6EiNS0_10empty_typeEbEEZZNS1_14partition_implILS5_6ELb0ES3_mN6thrust23THRUST_200600_302600_NS6detail15normal_iteratorINSA_10device_ptrIiEEEEPS6_SG_NS0_5tupleIJSF_S6_EEENSH_IJSG_SG_EEES6_PlJNSB_9not_fun_tI7is_trueIiEEEEEE10hipError_tPvRmT3_T4_T5_T6_T7_T9_mT8_P12ihipStream_tbDpT10_ENKUlT_T0_E_clISt17integral_constantIbLb1EES17_IbLb0EEEEDaS13_S14_EUlS13_E_NS1_11comp_targetILNS1_3genE9ELNS1_11target_archE1100ELNS1_3gpuE3ELNS1_3repE0EEENS1_30default_config_static_selectorELNS0_4arch9wavefront6targetE0EEEvT1_,comdat
	.protected	_ZN7rocprim17ROCPRIM_400000_NS6detail17trampoline_kernelINS0_14default_configENS1_25partition_config_selectorILNS1_17partition_subalgoE6EiNS0_10empty_typeEbEEZZNS1_14partition_implILS5_6ELb0ES3_mN6thrust23THRUST_200600_302600_NS6detail15normal_iteratorINSA_10device_ptrIiEEEEPS6_SG_NS0_5tupleIJSF_S6_EEENSH_IJSG_SG_EEES6_PlJNSB_9not_fun_tI7is_trueIiEEEEEE10hipError_tPvRmT3_T4_T5_T6_T7_T9_mT8_P12ihipStream_tbDpT10_ENKUlT_T0_E_clISt17integral_constantIbLb1EES17_IbLb0EEEEDaS13_S14_EUlS13_E_NS1_11comp_targetILNS1_3genE9ELNS1_11target_archE1100ELNS1_3gpuE3ELNS1_3repE0EEENS1_30default_config_static_selectorELNS0_4arch9wavefront6targetE0EEEvT1_ ; -- Begin function _ZN7rocprim17ROCPRIM_400000_NS6detail17trampoline_kernelINS0_14default_configENS1_25partition_config_selectorILNS1_17partition_subalgoE6EiNS0_10empty_typeEbEEZZNS1_14partition_implILS5_6ELb0ES3_mN6thrust23THRUST_200600_302600_NS6detail15normal_iteratorINSA_10device_ptrIiEEEEPS6_SG_NS0_5tupleIJSF_S6_EEENSH_IJSG_SG_EEES6_PlJNSB_9not_fun_tI7is_trueIiEEEEEE10hipError_tPvRmT3_T4_T5_T6_T7_T9_mT8_P12ihipStream_tbDpT10_ENKUlT_T0_E_clISt17integral_constantIbLb1EES17_IbLb0EEEEDaS13_S14_EUlS13_E_NS1_11comp_targetILNS1_3genE9ELNS1_11target_archE1100ELNS1_3gpuE3ELNS1_3repE0EEENS1_30default_config_static_selectorELNS0_4arch9wavefront6targetE0EEEvT1_
	.globl	_ZN7rocprim17ROCPRIM_400000_NS6detail17trampoline_kernelINS0_14default_configENS1_25partition_config_selectorILNS1_17partition_subalgoE6EiNS0_10empty_typeEbEEZZNS1_14partition_implILS5_6ELb0ES3_mN6thrust23THRUST_200600_302600_NS6detail15normal_iteratorINSA_10device_ptrIiEEEEPS6_SG_NS0_5tupleIJSF_S6_EEENSH_IJSG_SG_EEES6_PlJNSB_9not_fun_tI7is_trueIiEEEEEE10hipError_tPvRmT3_T4_T5_T6_T7_T9_mT8_P12ihipStream_tbDpT10_ENKUlT_T0_E_clISt17integral_constantIbLb1EES17_IbLb0EEEEDaS13_S14_EUlS13_E_NS1_11comp_targetILNS1_3genE9ELNS1_11target_archE1100ELNS1_3gpuE3ELNS1_3repE0EEENS1_30default_config_static_selectorELNS0_4arch9wavefront6targetE0EEEvT1_
	.p2align	8
	.type	_ZN7rocprim17ROCPRIM_400000_NS6detail17trampoline_kernelINS0_14default_configENS1_25partition_config_selectorILNS1_17partition_subalgoE6EiNS0_10empty_typeEbEEZZNS1_14partition_implILS5_6ELb0ES3_mN6thrust23THRUST_200600_302600_NS6detail15normal_iteratorINSA_10device_ptrIiEEEEPS6_SG_NS0_5tupleIJSF_S6_EEENSH_IJSG_SG_EEES6_PlJNSB_9not_fun_tI7is_trueIiEEEEEE10hipError_tPvRmT3_T4_T5_T6_T7_T9_mT8_P12ihipStream_tbDpT10_ENKUlT_T0_E_clISt17integral_constantIbLb1EES17_IbLb0EEEEDaS13_S14_EUlS13_E_NS1_11comp_targetILNS1_3genE9ELNS1_11target_archE1100ELNS1_3gpuE3ELNS1_3repE0EEENS1_30default_config_static_selectorELNS0_4arch9wavefront6targetE0EEEvT1_,@function
_ZN7rocprim17ROCPRIM_400000_NS6detail17trampoline_kernelINS0_14default_configENS1_25partition_config_selectorILNS1_17partition_subalgoE6EiNS0_10empty_typeEbEEZZNS1_14partition_implILS5_6ELb0ES3_mN6thrust23THRUST_200600_302600_NS6detail15normal_iteratorINSA_10device_ptrIiEEEEPS6_SG_NS0_5tupleIJSF_S6_EEENSH_IJSG_SG_EEES6_PlJNSB_9not_fun_tI7is_trueIiEEEEEE10hipError_tPvRmT3_T4_T5_T6_T7_T9_mT8_P12ihipStream_tbDpT10_ENKUlT_T0_E_clISt17integral_constantIbLb1EES17_IbLb0EEEEDaS13_S14_EUlS13_E_NS1_11comp_targetILNS1_3genE9ELNS1_11target_archE1100ELNS1_3gpuE3ELNS1_3repE0EEENS1_30default_config_static_selectorELNS0_4arch9wavefront6targetE0EEEvT1_: ; @_ZN7rocprim17ROCPRIM_400000_NS6detail17trampoline_kernelINS0_14default_configENS1_25partition_config_selectorILNS1_17partition_subalgoE6EiNS0_10empty_typeEbEEZZNS1_14partition_implILS5_6ELb0ES3_mN6thrust23THRUST_200600_302600_NS6detail15normal_iteratorINSA_10device_ptrIiEEEEPS6_SG_NS0_5tupleIJSF_S6_EEENSH_IJSG_SG_EEES6_PlJNSB_9not_fun_tI7is_trueIiEEEEEE10hipError_tPvRmT3_T4_T5_T6_T7_T9_mT8_P12ihipStream_tbDpT10_ENKUlT_T0_E_clISt17integral_constantIbLb1EES17_IbLb0EEEEDaS13_S14_EUlS13_E_NS1_11comp_targetILNS1_3genE9ELNS1_11target_archE1100ELNS1_3gpuE3ELNS1_3repE0EEENS1_30default_config_static_selectorELNS0_4arch9wavefront6targetE0EEEvT1_
; %bb.0:
	.section	.rodata,"a",@progbits
	.p2align	6, 0x0
	.amdhsa_kernel _ZN7rocprim17ROCPRIM_400000_NS6detail17trampoline_kernelINS0_14default_configENS1_25partition_config_selectorILNS1_17partition_subalgoE6EiNS0_10empty_typeEbEEZZNS1_14partition_implILS5_6ELb0ES3_mN6thrust23THRUST_200600_302600_NS6detail15normal_iteratorINSA_10device_ptrIiEEEEPS6_SG_NS0_5tupleIJSF_S6_EEENSH_IJSG_SG_EEES6_PlJNSB_9not_fun_tI7is_trueIiEEEEEE10hipError_tPvRmT3_T4_T5_T6_T7_T9_mT8_P12ihipStream_tbDpT10_ENKUlT_T0_E_clISt17integral_constantIbLb1EES17_IbLb0EEEEDaS13_S14_EUlS13_E_NS1_11comp_targetILNS1_3genE9ELNS1_11target_archE1100ELNS1_3gpuE3ELNS1_3repE0EEENS1_30default_config_static_selectorELNS0_4arch9wavefront6targetE0EEEvT1_
		.amdhsa_group_segment_fixed_size 0
		.amdhsa_private_segment_fixed_size 0
		.amdhsa_kernarg_size 112
		.amdhsa_user_sgpr_count 2
		.amdhsa_user_sgpr_dispatch_ptr 0
		.amdhsa_user_sgpr_queue_ptr 0
		.amdhsa_user_sgpr_kernarg_segment_ptr 1
		.amdhsa_user_sgpr_dispatch_id 0
		.amdhsa_user_sgpr_private_segment_size 0
		.amdhsa_wavefront_size32 1
		.amdhsa_uses_dynamic_stack 0
		.amdhsa_enable_private_segment 0
		.amdhsa_system_sgpr_workgroup_id_x 1
		.amdhsa_system_sgpr_workgroup_id_y 0
		.amdhsa_system_sgpr_workgroup_id_z 0
		.amdhsa_system_sgpr_workgroup_info 0
		.amdhsa_system_vgpr_workitem_id 0
		.amdhsa_next_free_vgpr 1
		.amdhsa_next_free_sgpr 1
		.amdhsa_reserve_vcc 0
		.amdhsa_float_round_mode_32 0
		.amdhsa_float_round_mode_16_64 0
		.amdhsa_float_denorm_mode_32 3
		.amdhsa_float_denorm_mode_16_64 3
		.amdhsa_fp16_overflow 0
		.amdhsa_workgroup_processor_mode 1
		.amdhsa_memory_ordered 1
		.amdhsa_forward_progress 1
		.amdhsa_inst_pref_size 0
		.amdhsa_round_robin_scheduling 0
		.amdhsa_exception_fp_ieee_invalid_op 0
		.amdhsa_exception_fp_denorm_src 0
		.amdhsa_exception_fp_ieee_div_zero 0
		.amdhsa_exception_fp_ieee_overflow 0
		.amdhsa_exception_fp_ieee_underflow 0
		.amdhsa_exception_fp_ieee_inexact 0
		.amdhsa_exception_int_div_zero 0
	.end_amdhsa_kernel
	.section	.text._ZN7rocprim17ROCPRIM_400000_NS6detail17trampoline_kernelINS0_14default_configENS1_25partition_config_selectorILNS1_17partition_subalgoE6EiNS0_10empty_typeEbEEZZNS1_14partition_implILS5_6ELb0ES3_mN6thrust23THRUST_200600_302600_NS6detail15normal_iteratorINSA_10device_ptrIiEEEEPS6_SG_NS0_5tupleIJSF_S6_EEENSH_IJSG_SG_EEES6_PlJNSB_9not_fun_tI7is_trueIiEEEEEE10hipError_tPvRmT3_T4_T5_T6_T7_T9_mT8_P12ihipStream_tbDpT10_ENKUlT_T0_E_clISt17integral_constantIbLb1EES17_IbLb0EEEEDaS13_S14_EUlS13_E_NS1_11comp_targetILNS1_3genE9ELNS1_11target_archE1100ELNS1_3gpuE3ELNS1_3repE0EEENS1_30default_config_static_selectorELNS0_4arch9wavefront6targetE0EEEvT1_,"axG",@progbits,_ZN7rocprim17ROCPRIM_400000_NS6detail17trampoline_kernelINS0_14default_configENS1_25partition_config_selectorILNS1_17partition_subalgoE6EiNS0_10empty_typeEbEEZZNS1_14partition_implILS5_6ELb0ES3_mN6thrust23THRUST_200600_302600_NS6detail15normal_iteratorINSA_10device_ptrIiEEEEPS6_SG_NS0_5tupleIJSF_S6_EEENSH_IJSG_SG_EEES6_PlJNSB_9not_fun_tI7is_trueIiEEEEEE10hipError_tPvRmT3_T4_T5_T6_T7_T9_mT8_P12ihipStream_tbDpT10_ENKUlT_T0_E_clISt17integral_constantIbLb1EES17_IbLb0EEEEDaS13_S14_EUlS13_E_NS1_11comp_targetILNS1_3genE9ELNS1_11target_archE1100ELNS1_3gpuE3ELNS1_3repE0EEENS1_30default_config_static_selectorELNS0_4arch9wavefront6targetE0EEEvT1_,comdat
.Lfunc_end1259:
	.size	_ZN7rocprim17ROCPRIM_400000_NS6detail17trampoline_kernelINS0_14default_configENS1_25partition_config_selectorILNS1_17partition_subalgoE6EiNS0_10empty_typeEbEEZZNS1_14partition_implILS5_6ELb0ES3_mN6thrust23THRUST_200600_302600_NS6detail15normal_iteratorINSA_10device_ptrIiEEEEPS6_SG_NS0_5tupleIJSF_S6_EEENSH_IJSG_SG_EEES6_PlJNSB_9not_fun_tI7is_trueIiEEEEEE10hipError_tPvRmT3_T4_T5_T6_T7_T9_mT8_P12ihipStream_tbDpT10_ENKUlT_T0_E_clISt17integral_constantIbLb1EES17_IbLb0EEEEDaS13_S14_EUlS13_E_NS1_11comp_targetILNS1_3genE9ELNS1_11target_archE1100ELNS1_3gpuE3ELNS1_3repE0EEENS1_30default_config_static_selectorELNS0_4arch9wavefront6targetE0EEEvT1_, .Lfunc_end1259-_ZN7rocprim17ROCPRIM_400000_NS6detail17trampoline_kernelINS0_14default_configENS1_25partition_config_selectorILNS1_17partition_subalgoE6EiNS0_10empty_typeEbEEZZNS1_14partition_implILS5_6ELb0ES3_mN6thrust23THRUST_200600_302600_NS6detail15normal_iteratorINSA_10device_ptrIiEEEEPS6_SG_NS0_5tupleIJSF_S6_EEENSH_IJSG_SG_EEES6_PlJNSB_9not_fun_tI7is_trueIiEEEEEE10hipError_tPvRmT3_T4_T5_T6_T7_T9_mT8_P12ihipStream_tbDpT10_ENKUlT_T0_E_clISt17integral_constantIbLb1EES17_IbLb0EEEEDaS13_S14_EUlS13_E_NS1_11comp_targetILNS1_3genE9ELNS1_11target_archE1100ELNS1_3gpuE3ELNS1_3repE0EEENS1_30default_config_static_selectorELNS0_4arch9wavefront6targetE0EEEvT1_
                                        ; -- End function
	.set _ZN7rocprim17ROCPRIM_400000_NS6detail17trampoline_kernelINS0_14default_configENS1_25partition_config_selectorILNS1_17partition_subalgoE6EiNS0_10empty_typeEbEEZZNS1_14partition_implILS5_6ELb0ES3_mN6thrust23THRUST_200600_302600_NS6detail15normal_iteratorINSA_10device_ptrIiEEEEPS6_SG_NS0_5tupleIJSF_S6_EEENSH_IJSG_SG_EEES6_PlJNSB_9not_fun_tI7is_trueIiEEEEEE10hipError_tPvRmT3_T4_T5_T6_T7_T9_mT8_P12ihipStream_tbDpT10_ENKUlT_T0_E_clISt17integral_constantIbLb1EES17_IbLb0EEEEDaS13_S14_EUlS13_E_NS1_11comp_targetILNS1_3genE9ELNS1_11target_archE1100ELNS1_3gpuE3ELNS1_3repE0EEENS1_30default_config_static_selectorELNS0_4arch9wavefront6targetE0EEEvT1_.num_vgpr, 0
	.set _ZN7rocprim17ROCPRIM_400000_NS6detail17trampoline_kernelINS0_14default_configENS1_25partition_config_selectorILNS1_17partition_subalgoE6EiNS0_10empty_typeEbEEZZNS1_14partition_implILS5_6ELb0ES3_mN6thrust23THRUST_200600_302600_NS6detail15normal_iteratorINSA_10device_ptrIiEEEEPS6_SG_NS0_5tupleIJSF_S6_EEENSH_IJSG_SG_EEES6_PlJNSB_9not_fun_tI7is_trueIiEEEEEE10hipError_tPvRmT3_T4_T5_T6_T7_T9_mT8_P12ihipStream_tbDpT10_ENKUlT_T0_E_clISt17integral_constantIbLb1EES17_IbLb0EEEEDaS13_S14_EUlS13_E_NS1_11comp_targetILNS1_3genE9ELNS1_11target_archE1100ELNS1_3gpuE3ELNS1_3repE0EEENS1_30default_config_static_selectorELNS0_4arch9wavefront6targetE0EEEvT1_.num_agpr, 0
	.set _ZN7rocprim17ROCPRIM_400000_NS6detail17trampoline_kernelINS0_14default_configENS1_25partition_config_selectorILNS1_17partition_subalgoE6EiNS0_10empty_typeEbEEZZNS1_14partition_implILS5_6ELb0ES3_mN6thrust23THRUST_200600_302600_NS6detail15normal_iteratorINSA_10device_ptrIiEEEEPS6_SG_NS0_5tupleIJSF_S6_EEENSH_IJSG_SG_EEES6_PlJNSB_9not_fun_tI7is_trueIiEEEEEE10hipError_tPvRmT3_T4_T5_T6_T7_T9_mT8_P12ihipStream_tbDpT10_ENKUlT_T0_E_clISt17integral_constantIbLb1EES17_IbLb0EEEEDaS13_S14_EUlS13_E_NS1_11comp_targetILNS1_3genE9ELNS1_11target_archE1100ELNS1_3gpuE3ELNS1_3repE0EEENS1_30default_config_static_selectorELNS0_4arch9wavefront6targetE0EEEvT1_.numbered_sgpr, 0
	.set _ZN7rocprim17ROCPRIM_400000_NS6detail17trampoline_kernelINS0_14default_configENS1_25partition_config_selectorILNS1_17partition_subalgoE6EiNS0_10empty_typeEbEEZZNS1_14partition_implILS5_6ELb0ES3_mN6thrust23THRUST_200600_302600_NS6detail15normal_iteratorINSA_10device_ptrIiEEEEPS6_SG_NS0_5tupleIJSF_S6_EEENSH_IJSG_SG_EEES6_PlJNSB_9not_fun_tI7is_trueIiEEEEEE10hipError_tPvRmT3_T4_T5_T6_T7_T9_mT8_P12ihipStream_tbDpT10_ENKUlT_T0_E_clISt17integral_constantIbLb1EES17_IbLb0EEEEDaS13_S14_EUlS13_E_NS1_11comp_targetILNS1_3genE9ELNS1_11target_archE1100ELNS1_3gpuE3ELNS1_3repE0EEENS1_30default_config_static_selectorELNS0_4arch9wavefront6targetE0EEEvT1_.num_named_barrier, 0
	.set _ZN7rocprim17ROCPRIM_400000_NS6detail17trampoline_kernelINS0_14default_configENS1_25partition_config_selectorILNS1_17partition_subalgoE6EiNS0_10empty_typeEbEEZZNS1_14partition_implILS5_6ELb0ES3_mN6thrust23THRUST_200600_302600_NS6detail15normal_iteratorINSA_10device_ptrIiEEEEPS6_SG_NS0_5tupleIJSF_S6_EEENSH_IJSG_SG_EEES6_PlJNSB_9not_fun_tI7is_trueIiEEEEEE10hipError_tPvRmT3_T4_T5_T6_T7_T9_mT8_P12ihipStream_tbDpT10_ENKUlT_T0_E_clISt17integral_constantIbLb1EES17_IbLb0EEEEDaS13_S14_EUlS13_E_NS1_11comp_targetILNS1_3genE9ELNS1_11target_archE1100ELNS1_3gpuE3ELNS1_3repE0EEENS1_30default_config_static_selectorELNS0_4arch9wavefront6targetE0EEEvT1_.private_seg_size, 0
	.set _ZN7rocprim17ROCPRIM_400000_NS6detail17trampoline_kernelINS0_14default_configENS1_25partition_config_selectorILNS1_17partition_subalgoE6EiNS0_10empty_typeEbEEZZNS1_14partition_implILS5_6ELb0ES3_mN6thrust23THRUST_200600_302600_NS6detail15normal_iteratorINSA_10device_ptrIiEEEEPS6_SG_NS0_5tupleIJSF_S6_EEENSH_IJSG_SG_EEES6_PlJNSB_9not_fun_tI7is_trueIiEEEEEE10hipError_tPvRmT3_T4_T5_T6_T7_T9_mT8_P12ihipStream_tbDpT10_ENKUlT_T0_E_clISt17integral_constantIbLb1EES17_IbLb0EEEEDaS13_S14_EUlS13_E_NS1_11comp_targetILNS1_3genE9ELNS1_11target_archE1100ELNS1_3gpuE3ELNS1_3repE0EEENS1_30default_config_static_selectorELNS0_4arch9wavefront6targetE0EEEvT1_.uses_vcc, 0
	.set _ZN7rocprim17ROCPRIM_400000_NS6detail17trampoline_kernelINS0_14default_configENS1_25partition_config_selectorILNS1_17partition_subalgoE6EiNS0_10empty_typeEbEEZZNS1_14partition_implILS5_6ELb0ES3_mN6thrust23THRUST_200600_302600_NS6detail15normal_iteratorINSA_10device_ptrIiEEEEPS6_SG_NS0_5tupleIJSF_S6_EEENSH_IJSG_SG_EEES6_PlJNSB_9not_fun_tI7is_trueIiEEEEEE10hipError_tPvRmT3_T4_T5_T6_T7_T9_mT8_P12ihipStream_tbDpT10_ENKUlT_T0_E_clISt17integral_constantIbLb1EES17_IbLb0EEEEDaS13_S14_EUlS13_E_NS1_11comp_targetILNS1_3genE9ELNS1_11target_archE1100ELNS1_3gpuE3ELNS1_3repE0EEENS1_30default_config_static_selectorELNS0_4arch9wavefront6targetE0EEEvT1_.uses_flat_scratch, 0
	.set _ZN7rocprim17ROCPRIM_400000_NS6detail17trampoline_kernelINS0_14default_configENS1_25partition_config_selectorILNS1_17partition_subalgoE6EiNS0_10empty_typeEbEEZZNS1_14partition_implILS5_6ELb0ES3_mN6thrust23THRUST_200600_302600_NS6detail15normal_iteratorINSA_10device_ptrIiEEEEPS6_SG_NS0_5tupleIJSF_S6_EEENSH_IJSG_SG_EEES6_PlJNSB_9not_fun_tI7is_trueIiEEEEEE10hipError_tPvRmT3_T4_T5_T6_T7_T9_mT8_P12ihipStream_tbDpT10_ENKUlT_T0_E_clISt17integral_constantIbLb1EES17_IbLb0EEEEDaS13_S14_EUlS13_E_NS1_11comp_targetILNS1_3genE9ELNS1_11target_archE1100ELNS1_3gpuE3ELNS1_3repE0EEENS1_30default_config_static_selectorELNS0_4arch9wavefront6targetE0EEEvT1_.has_dyn_sized_stack, 0
	.set _ZN7rocprim17ROCPRIM_400000_NS6detail17trampoline_kernelINS0_14default_configENS1_25partition_config_selectorILNS1_17partition_subalgoE6EiNS0_10empty_typeEbEEZZNS1_14partition_implILS5_6ELb0ES3_mN6thrust23THRUST_200600_302600_NS6detail15normal_iteratorINSA_10device_ptrIiEEEEPS6_SG_NS0_5tupleIJSF_S6_EEENSH_IJSG_SG_EEES6_PlJNSB_9not_fun_tI7is_trueIiEEEEEE10hipError_tPvRmT3_T4_T5_T6_T7_T9_mT8_P12ihipStream_tbDpT10_ENKUlT_T0_E_clISt17integral_constantIbLb1EES17_IbLb0EEEEDaS13_S14_EUlS13_E_NS1_11comp_targetILNS1_3genE9ELNS1_11target_archE1100ELNS1_3gpuE3ELNS1_3repE0EEENS1_30default_config_static_selectorELNS0_4arch9wavefront6targetE0EEEvT1_.has_recursion, 0
	.set _ZN7rocprim17ROCPRIM_400000_NS6detail17trampoline_kernelINS0_14default_configENS1_25partition_config_selectorILNS1_17partition_subalgoE6EiNS0_10empty_typeEbEEZZNS1_14partition_implILS5_6ELb0ES3_mN6thrust23THRUST_200600_302600_NS6detail15normal_iteratorINSA_10device_ptrIiEEEEPS6_SG_NS0_5tupleIJSF_S6_EEENSH_IJSG_SG_EEES6_PlJNSB_9not_fun_tI7is_trueIiEEEEEE10hipError_tPvRmT3_T4_T5_T6_T7_T9_mT8_P12ihipStream_tbDpT10_ENKUlT_T0_E_clISt17integral_constantIbLb1EES17_IbLb0EEEEDaS13_S14_EUlS13_E_NS1_11comp_targetILNS1_3genE9ELNS1_11target_archE1100ELNS1_3gpuE3ELNS1_3repE0EEENS1_30default_config_static_selectorELNS0_4arch9wavefront6targetE0EEEvT1_.has_indirect_call, 0
	.section	.AMDGPU.csdata,"",@progbits
; Kernel info:
; codeLenInByte = 0
; TotalNumSgprs: 0
; NumVgprs: 0
; ScratchSize: 0
; MemoryBound: 0
; FloatMode: 240
; IeeeMode: 1
; LDSByteSize: 0 bytes/workgroup (compile time only)
; SGPRBlocks: 0
; VGPRBlocks: 0
; NumSGPRsForWavesPerEU: 1
; NumVGPRsForWavesPerEU: 1
; Occupancy: 16
; WaveLimiterHint : 0
; COMPUTE_PGM_RSRC2:SCRATCH_EN: 0
; COMPUTE_PGM_RSRC2:USER_SGPR: 2
; COMPUTE_PGM_RSRC2:TRAP_HANDLER: 0
; COMPUTE_PGM_RSRC2:TGID_X_EN: 1
; COMPUTE_PGM_RSRC2:TGID_Y_EN: 0
; COMPUTE_PGM_RSRC2:TGID_Z_EN: 0
; COMPUTE_PGM_RSRC2:TIDIG_COMP_CNT: 0
	.section	.text._ZN7rocprim17ROCPRIM_400000_NS6detail17trampoline_kernelINS0_14default_configENS1_25partition_config_selectorILNS1_17partition_subalgoE6EiNS0_10empty_typeEbEEZZNS1_14partition_implILS5_6ELb0ES3_mN6thrust23THRUST_200600_302600_NS6detail15normal_iteratorINSA_10device_ptrIiEEEEPS6_SG_NS0_5tupleIJSF_S6_EEENSH_IJSG_SG_EEES6_PlJNSB_9not_fun_tI7is_trueIiEEEEEE10hipError_tPvRmT3_T4_T5_T6_T7_T9_mT8_P12ihipStream_tbDpT10_ENKUlT_T0_E_clISt17integral_constantIbLb1EES17_IbLb0EEEEDaS13_S14_EUlS13_E_NS1_11comp_targetILNS1_3genE8ELNS1_11target_archE1030ELNS1_3gpuE2ELNS1_3repE0EEENS1_30default_config_static_selectorELNS0_4arch9wavefront6targetE0EEEvT1_,"axG",@progbits,_ZN7rocprim17ROCPRIM_400000_NS6detail17trampoline_kernelINS0_14default_configENS1_25partition_config_selectorILNS1_17partition_subalgoE6EiNS0_10empty_typeEbEEZZNS1_14partition_implILS5_6ELb0ES3_mN6thrust23THRUST_200600_302600_NS6detail15normal_iteratorINSA_10device_ptrIiEEEEPS6_SG_NS0_5tupleIJSF_S6_EEENSH_IJSG_SG_EEES6_PlJNSB_9not_fun_tI7is_trueIiEEEEEE10hipError_tPvRmT3_T4_T5_T6_T7_T9_mT8_P12ihipStream_tbDpT10_ENKUlT_T0_E_clISt17integral_constantIbLb1EES17_IbLb0EEEEDaS13_S14_EUlS13_E_NS1_11comp_targetILNS1_3genE8ELNS1_11target_archE1030ELNS1_3gpuE2ELNS1_3repE0EEENS1_30default_config_static_selectorELNS0_4arch9wavefront6targetE0EEEvT1_,comdat
	.protected	_ZN7rocprim17ROCPRIM_400000_NS6detail17trampoline_kernelINS0_14default_configENS1_25partition_config_selectorILNS1_17partition_subalgoE6EiNS0_10empty_typeEbEEZZNS1_14partition_implILS5_6ELb0ES3_mN6thrust23THRUST_200600_302600_NS6detail15normal_iteratorINSA_10device_ptrIiEEEEPS6_SG_NS0_5tupleIJSF_S6_EEENSH_IJSG_SG_EEES6_PlJNSB_9not_fun_tI7is_trueIiEEEEEE10hipError_tPvRmT3_T4_T5_T6_T7_T9_mT8_P12ihipStream_tbDpT10_ENKUlT_T0_E_clISt17integral_constantIbLb1EES17_IbLb0EEEEDaS13_S14_EUlS13_E_NS1_11comp_targetILNS1_3genE8ELNS1_11target_archE1030ELNS1_3gpuE2ELNS1_3repE0EEENS1_30default_config_static_selectorELNS0_4arch9wavefront6targetE0EEEvT1_ ; -- Begin function _ZN7rocprim17ROCPRIM_400000_NS6detail17trampoline_kernelINS0_14default_configENS1_25partition_config_selectorILNS1_17partition_subalgoE6EiNS0_10empty_typeEbEEZZNS1_14partition_implILS5_6ELb0ES3_mN6thrust23THRUST_200600_302600_NS6detail15normal_iteratorINSA_10device_ptrIiEEEEPS6_SG_NS0_5tupleIJSF_S6_EEENSH_IJSG_SG_EEES6_PlJNSB_9not_fun_tI7is_trueIiEEEEEE10hipError_tPvRmT3_T4_T5_T6_T7_T9_mT8_P12ihipStream_tbDpT10_ENKUlT_T0_E_clISt17integral_constantIbLb1EES17_IbLb0EEEEDaS13_S14_EUlS13_E_NS1_11comp_targetILNS1_3genE8ELNS1_11target_archE1030ELNS1_3gpuE2ELNS1_3repE0EEENS1_30default_config_static_selectorELNS0_4arch9wavefront6targetE0EEEvT1_
	.globl	_ZN7rocprim17ROCPRIM_400000_NS6detail17trampoline_kernelINS0_14default_configENS1_25partition_config_selectorILNS1_17partition_subalgoE6EiNS0_10empty_typeEbEEZZNS1_14partition_implILS5_6ELb0ES3_mN6thrust23THRUST_200600_302600_NS6detail15normal_iteratorINSA_10device_ptrIiEEEEPS6_SG_NS0_5tupleIJSF_S6_EEENSH_IJSG_SG_EEES6_PlJNSB_9not_fun_tI7is_trueIiEEEEEE10hipError_tPvRmT3_T4_T5_T6_T7_T9_mT8_P12ihipStream_tbDpT10_ENKUlT_T0_E_clISt17integral_constantIbLb1EES17_IbLb0EEEEDaS13_S14_EUlS13_E_NS1_11comp_targetILNS1_3genE8ELNS1_11target_archE1030ELNS1_3gpuE2ELNS1_3repE0EEENS1_30default_config_static_selectorELNS0_4arch9wavefront6targetE0EEEvT1_
	.p2align	8
	.type	_ZN7rocprim17ROCPRIM_400000_NS6detail17trampoline_kernelINS0_14default_configENS1_25partition_config_selectorILNS1_17partition_subalgoE6EiNS0_10empty_typeEbEEZZNS1_14partition_implILS5_6ELb0ES3_mN6thrust23THRUST_200600_302600_NS6detail15normal_iteratorINSA_10device_ptrIiEEEEPS6_SG_NS0_5tupleIJSF_S6_EEENSH_IJSG_SG_EEES6_PlJNSB_9not_fun_tI7is_trueIiEEEEEE10hipError_tPvRmT3_T4_T5_T6_T7_T9_mT8_P12ihipStream_tbDpT10_ENKUlT_T0_E_clISt17integral_constantIbLb1EES17_IbLb0EEEEDaS13_S14_EUlS13_E_NS1_11comp_targetILNS1_3genE8ELNS1_11target_archE1030ELNS1_3gpuE2ELNS1_3repE0EEENS1_30default_config_static_selectorELNS0_4arch9wavefront6targetE0EEEvT1_,@function
_ZN7rocprim17ROCPRIM_400000_NS6detail17trampoline_kernelINS0_14default_configENS1_25partition_config_selectorILNS1_17partition_subalgoE6EiNS0_10empty_typeEbEEZZNS1_14partition_implILS5_6ELb0ES3_mN6thrust23THRUST_200600_302600_NS6detail15normal_iteratorINSA_10device_ptrIiEEEEPS6_SG_NS0_5tupleIJSF_S6_EEENSH_IJSG_SG_EEES6_PlJNSB_9not_fun_tI7is_trueIiEEEEEE10hipError_tPvRmT3_T4_T5_T6_T7_T9_mT8_P12ihipStream_tbDpT10_ENKUlT_T0_E_clISt17integral_constantIbLb1EES17_IbLb0EEEEDaS13_S14_EUlS13_E_NS1_11comp_targetILNS1_3genE8ELNS1_11target_archE1030ELNS1_3gpuE2ELNS1_3repE0EEENS1_30default_config_static_selectorELNS0_4arch9wavefront6targetE0EEEvT1_: ; @_ZN7rocprim17ROCPRIM_400000_NS6detail17trampoline_kernelINS0_14default_configENS1_25partition_config_selectorILNS1_17partition_subalgoE6EiNS0_10empty_typeEbEEZZNS1_14partition_implILS5_6ELb0ES3_mN6thrust23THRUST_200600_302600_NS6detail15normal_iteratorINSA_10device_ptrIiEEEEPS6_SG_NS0_5tupleIJSF_S6_EEENSH_IJSG_SG_EEES6_PlJNSB_9not_fun_tI7is_trueIiEEEEEE10hipError_tPvRmT3_T4_T5_T6_T7_T9_mT8_P12ihipStream_tbDpT10_ENKUlT_T0_E_clISt17integral_constantIbLb1EES17_IbLb0EEEEDaS13_S14_EUlS13_E_NS1_11comp_targetILNS1_3genE8ELNS1_11target_archE1030ELNS1_3gpuE2ELNS1_3repE0EEENS1_30default_config_static_selectorELNS0_4arch9wavefront6targetE0EEEvT1_
; %bb.0:
	.section	.rodata,"a",@progbits
	.p2align	6, 0x0
	.amdhsa_kernel _ZN7rocprim17ROCPRIM_400000_NS6detail17trampoline_kernelINS0_14default_configENS1_25partition_config_selectorILNS1_17partition_subalgoE6EiNS0_10empty_typeEbEEZZNS1_14partition_implILS5_6ELb0ES3_mN6thrust23THRUST_200600_302600_NS6detail15normal_iteratorINSA_10device_ptrIiEEEEPS6_SG_NS0_5tupleIJSF_S6_EEENSH_IJSG_SG_EEES6_PlJNSB_9not_fun_tI7is_trueIiEEEEEE10hipError_tPvRmT3_T4_T5_T6_T7_T9_mT8_P12ihipStream_tbDpT10_ENKUlT_T0_E_clISt17integral_constantIbLb1EES17_IbLb0EEEEDaS13_S14_EUlS13_E_NS1_11comp_targetILNS1_3genE8ELNS1_11target_archE1030ELNS1_3gpuE2ELNS1_3repE0EEENS1_30default_config_static_selectorELNS0_4arch9wavefront6targetE0EEEvT1_
		.amdhsa_group_segment_fixed_size 0
		.amdhsa_private_segment_fixed_size 0
		.amdhsa_kernarg_size 112
		.amdhsa_user_sgpr_count 2
		.amdhsa_user_sgpr_dispatch_ptr 0
		.amdhsa_user_sgpr_queue_ptr 0
		.amdhsa_user_sgpr_kernarg_segment_ptr 1
		.amdhsa_user_sgpr_dispatch_id 0
		.amdhsa_user_sgpr_private_segment_size 0
		.amdhsa_wavefront_size32 1
		.amdhsa_uses_dynamic_stack 0
		.amdhsa_enable_private_segment 0
		.amdhsa_system_sgpr_workgroup_id_x 1
		.amdhsa_system_sgpr_workgroup_id_y 0
		.amdhsa_system_sgpr_workgroup_id_z 0
		.amdhsa_system_sgpr_workgroup_info 0
		.amdhsa_system_vgpr_workitem_id 0
		.amdhsa_next_free_vgpr 1
		.amdhsa_next_free_sgpr 1
		.amdhsa_reserve_vcc 0
		.amdhsa_float_round_mode_32 0
		.amdhsa_float_round_mode_16_64 0
		.amdhsa_float_denorm_mode_32 3
		.amdhsa_float_denorm_mode_16_64 3
		.amdhsa_fp16_overflow 0
		.amdhsa_workgroup_processor_mode 1
		.amdhsa_memory_ordered 1
		.amdhsa_forward_progress 1
		.amdhsa_inst_pref_size 0
		.amdhsa_round_robin_scheduling 0
		.amdhsa_exception_fp_ieee_invalid_op 0
		.amdhsa_exception_fp_denorm_src 0
		.amdhsa_exception_fp_ieee_div_zero 0
		.amdhsa_exception_fp_ieee_overflow 0
		.amdhsa_exception_fp_ieee_underflow 0
		.amdhsa_exception_fp_ieee_inexact 0
		.amdhsa_exception_int_div_zero 0
	.end_amdhsa_kernel
	.section	.text._ZN7rocprim17ROCPRIM_400000_NS6detail17trampoline_kernelINS0_14default_configENS1_25partition_config_selectorILNS1_17partition_subalgoE6EiNS0_10empty_typeEbEEZZNS1_14partition_implILS5_6ELb0ES3_mN6thrust23THRUST_200600_302600_NS6detail15normal_iteratorINSA_10device_ptrIiEEEEPS6_SG_NS0_5tupleIJSF_S6_EEENSH_IJSG_SG_EEES6_PlJNSB_9not_fun_tI7is_trueIiEEEEEE10hipError_tPvRmT3_T4_T5_T6_T7_T9_mT8_P12ihipStream_tbDpT10_ENKUlT_T0_E_clISt17integral_constantIbLb1EES17_IbLb0EEEEDaS13_S14_EUlS13_E_NS1_11comp_targetILNS1_3genE8ELNS1_11target_archE1030ELNS1_3gpuE2ELNS1_3repE0EEENS1_30default_config_static_selectorELNS0_4arch9wavefront6targetE0EEEvT1_,"axG",@progbits,_ZN7rocprim17ROCPRIM_400000_NS6detail17trampoline_kernelINS0_14default_configENS1_25partition_config_selectorILNS1_17partition_subalgoE6EiNS0_10empty_typeEbEEZZNS1_14partition_implILS5_6ELb0ES3_mN6thrust23THRUST_200600_302600_NS6detail15normal_iteratorINSA_10device_ptrIiEEEEPS6_SG_NS0_5tupleIJSF_S6_EEENSH_IJSG_SG_EEES6_PlJNSB_9not_fun_tI7is_trueIiEEEEEE10hipError_tPvRmT3_T4_T5_T6_T7_T9_mT8_P12ihipStream_tbDpT10_ENKUlT_T0_E_clISt17integral_constantIbLb1EES17_IbLb0EEEEDaS13_S14_EUlS13_E_NS1_11comp_targetILNS1_3genE8ELNS1_11target_archE1030ELNS1_3gpuE2ELNS1_3repE0EEENS1_30default_config_static_selectorELNS0_4arch9wavefront6targetE0EEEvT1_,comdat
.Lfunc_end1260:
	.size	_ZN7rocprim17ROCPRIM_400000_NS6detail17trampoline_kernelINS0_14default_configENS1_25partition_config_selectorILNS1_17partition_subalgoE6EiNS0_10empty_typeEbEEZZNS1_14partition_implILS5_6ELb0ES3_mN6thrust23THRUST_200600_302600_NS6detail15normal_iteratorINSA_10device_ptrIiEEEEPS6_SG_NS0_5tupleIJSF_S6_EEENSH_IJSG_SG_EEES6_PlJNSB_9not_fun_tI7is_trueIiEEEEEE10hipError_tPvRmT3_T4_T5_T6_T7_T9_mT8_P12ihipStream_tbDpT10_ENKUlT_T0_E_clISt17integral_constantIbLb1EES17_IbLb0EEEEDaS13_S14_EUlS13_E_NS1_11comp_targetILNS1_3genE8ELNS1_11target_archE1030ELNS1_3gpuE2ELNS1_3repE0EEENS1_30default_config_static_selectorELNS0_4arch9wavefront6targetE0EEEvT1_, .Lfunc_end1260-_ZN7rocprim17ROCPRIM_400000_NS6detail17trampoline_kernelINS0_14default_configENS1_25partition_config_selectorILNS1_17partition_subalgoE6EiNS0_10empty_typeEbEEZZNS1_14partition_implILS5_6ELb0ES3_mN6thrust23THRUST_200600_302600_NS6detail15normal_iteratorINSA_10device_ptrIiEEEEPS6_SG_NS0_5tupleIJSF_S6_EEENSH_IJSG_SG_EEES6_PlJNSB_9not_fun_tI7is_trueIiEEEEEE10hipError_tPvRmT3_T4_T5_T6_T7_T9_mT8_P12ihipStream_tbDpT10_ENKUlT_T0_E_clISt17integral_constantIbLb1EES17_IbLb0EEEEDaS13_S14_EUlS13_E_NS1_11comp_targetILNS1_3genE8ELNS1_11target_archE1030ELNS1_3gpuE2ELNS1_3repE0EEENS1_30default_config_static_selectorELNS0_4arch9wavefront6targetE0EEEvT1_
                                        ; -- End function
	.set _ZN7rocprim17ROCPRIM_400000_NS6detail17trampoline_kernelINS0_14default_configENS1_25partition_config_selectorILNS1_17partition_subalgoE6EiNS0_10empty_typeEbEEZZNS1_14partition_implILS5_6ELb0ES3_mN6thrust23THRUST_200600_302600_NS6detail15normal_iteratorINSA_10device_ptrIiEEEEPS6_SG_NS0_5tupleIJSF_S6_EEENSH_IJSG_SG_EEES6_PlJNSB_9not_fun_tI7is_trueIiEEEEEE10hipError_tPvRmT3_T4_T5_T6_T7_T9_mT8_P12ihipStream_tbDpT10_ENKUlT_T0_E_clISt17integral_constantIbLb1EES17_IbLb0EEEEDaS13_S14_EUlS13_E_NS1_11comp_targetILNS1_3genE8ELNS1_11target_archE1030ELNS1_3gpuE2ELNS1_3repE0EEENS1_30default_config_static_selectorELNS0_4arch9wavefront6targetE0EEEvT1_.num_vgpr, 0
	.set _ZN7rocprim17ROCPRIM_400000_NS6detail17trampoline_kernelINS0_14default_configENS1_25partition_config_selectorILNS1_17partition_subalgoE6EiNS0_10empty_typeEbEEZZNS1_14partition_implILS5_6ELb0ES3_mN6thrust23THRUST_200600_302600_NS6detail15normal_iteratorINSA_10device_ptrIiEEEEPS6_SG_NS0_5tupleIJSF_S6_EEENSH_IJSG_SG_EEES6_PlJNSB_9not_fun_tI7is_trueIiEEEEEE10hipError_tPvRmT3_T4_T5_T6_T7_T9_mT8_P12ihipStream_tbDpT10_ENKUlT_T0_E_clISt17integral_constantIbLb1EES17_IbLb0EEEEDaS13_S14_EUlS13_E_NS1_11comp_targetILNS1_3genE8ELNS1_11target_archE1030ELNS1_3gpuE2ELNS1_3repE0EEENS1_30default_config_static_selectorELNS0_4arch9wavefront6targetE0EEEvT1_.num_agpr, 0
	.set _ZN7rocprim17ROCPRIM_400000_NS6detail17trampoline_kernelINS0_14default_configENS1_25partition_config_selectorILNS1_17partition_subalgoE6EiNS0_10empty_typeEbEEZZNS1_14partition_implILS5_6ELb0ES3_mN6thrust23THRUST_200600_302600_NS6detail15normal_iteratorINSA_10device_ptrIiEEEEPS6_SG_NS0_5tupleIJSF_S6_EEENSH_IJSG_SG_EEES6_PlJNSB_9not_fun_tI7is_trueIiEEEEEE10hipError_tPvRmT3_T4_T5_T6_T7_T9_mT8_P12ihipStream_tbDpT10_ENKUlT_T0_E_clISt17integral_constantIbLb1EES17_IbLb0EEEEDaS13_S14_EUlS13_E_NS1_11comp_targetILNS1_3genE8ELNS1_11target_archE1030ELNS1_3gpuE2ELNS1_3repE0EEENS1_30default_config_static_selectorELNS0_4arch9wavefront6targetE0EEEvT1_.numbered_sgpr, 0
	.set _ZN7rocprim17ROCPRIM_400000_NS6detail17trampoline_kernelINS0_14default_configENS1_25partition_config_selectorILNS1_17partition_subalgoE6EiNS0_10empty_typeEbEEZZNS1_14partition_implILS5_6ELb0ES3_mN6thrust23THRUST_200600_302600_NS6detail15normal_iteratorINSA_10device_ptrIiEEEEPS6_SG_NS0_5tupleIJSF_S6_EEENSH_IJSG_SG_EEES6_PlJNSB_9not_fun_tI7is_trueIiEEEEEE10hipError_tPvRmT3_T4_T5_T6_T7_T9_mT8_P12ihipStream_tbDpT10_ENKUlT_T0_E_clISt17integral_constantIbLb1EES17_IbLb0EEEEDaS13_S14_EUlS13_E_NS1_11comp_targetILNS1_3genE8ELNS1_11target_archE1030ELNS1_3gpuE2ELNS1_3repE0EEENS1_30default_config_static_selectorELNS0_4arch9wavefront6targetE0EEEvT1_.num_named_barrier, 0
	.set _ZN7rocprim17ROCPRIM_400000_NS6detail17trampoline_kernelINS0_14default_configENS1_25partition_config_selectorILNS1_17partition_subalgoE6EiNS0_10empty_typeEbEEZZNS1_14partition_implILS5_6ELb0ES3_mN6thrust23THRUST_200600_302600_NS6detail15normal_iteratorINSA_10device_ptrIiEEEEPS6_SG_NS0_5tupleIJSF_S6_EEENSH_IJSG_SG_EEES6_PlJNSB_9not_fun_tI7is_trueIiEEEEEE10hipError_tPvRmT3_T4_T5_T6_T7_T9_mT8_P12ihipStream_tbDpT10_ENKUlT_T0_E_clISt17integral_constantIbLb1EES17_IbLb0EEEEDaS13_S14_EUlS13_E_NS1_11comp_targetILNS1_3genE8ELNS1_11target_archE1030ELNS1_3gpuE2ELNS1_3repE0EEENS1_30default_config_static_selectorELNS0_4arch9wavefront6targetE0EEEvT1_.private_seg_size, 0
	.set _ZN7rocprim17ROCPRIM_400000_NS6detail17trampoline_kernelINS0_14default_configENS1_25partition_config_selectorILNS1_17partition_subalgoE6EiNS0_10empty_typeEbEEZZNS1_14partition_implILS5_6ELb0ES3_mN6thrust23THRUST_200600_302600_NS6detail15normal_iteratorINSA_10device_ptrIiEEEEPS6_SG_NS0_5tupleIJSF_S6_EEENSH_IJSG_SG_EEES6_PlJNSB_9not_fun_tI7is_trueIiEEEEEE10hipError_tPvRmT3_T4_T5_T6_T7_T9_mT8_P12ihipStream_tbDpT10_ENKUlT_T0_E_clISt17integral_constantIbLb1EES17_IbLb0EEEEDaS13_S14_EUlS13_E_NS1_11comp_targetILNS1_3genE8ELNS1_11target_archE1030ELNS1_3gpuE2ELNS1_3repE0EEENS1_30default_config_static_selectorELNS0_4arch9wavefront6targetE0EEEvT1_.uses_vcc, 0
	.set _ZN7rocprim17ROCPRIM_400000_NS6detail17trampoline_kernelINS0_14default_configENS1_25partition_config_selectorILNS1_17partition_subalgoE6EiNS0_10empty_typeEbEEZZNS1_14partition_implILS5_6ELb0ES3_mN6thrust23THRUST_200600_302600_NS6detail15normal_iteratorINSA_10device_ptrIiEEEEPS6_SG_NS0_5tupleIJSF_S6_EEENSH_IJSG_SG_EEES6_PlJNSB_9not_fun_tI7is_trueIiEEEEEE10hipError_tPvRmT3_T4_T5_T6_T7_T9_mT8_P12ihipStream_tbDpT10_ENKUlT_T0_E_clISt17integral_constantIbLb1EES17_IbLb0EEEEDaS13_S14_EUlS13_E_NS1_11comp_targetILNS1_3genE8ELNS1_11target_archE1030ELNS1_3gpuE2ELNS1_3repE0EEENS1_30default_config_static_selectorELNS0_4arch9wavefront6targetE0EEEvT1_.uses_flat_scratch, 0
	.set _ZN7rocprim17ROCPRIM_400000_NS6detail17trampoline_kernelINS0_14default_configENS1_25partition_config_selectorILNS1_17partition_subalgoE6EiNS0_10empty_typeEbEEZZNS1_14partition_implILS5_6ELb0ES3_mN6thrust23THRUST_200600_302600_NS6detail15normal_iteratorINSA_10device_ptrIiEEEEPS6_SG_NS0_5tupleIJSF_S6_EEENSH_IJSG_SG_EEES6_PlJNSB_9not_fun_tI7is_trueIiEEEEEE10hipError_tPvRmT3_T4_T5_T6_T7_T9_mT8_P12ihipStream_tbDpT10_ENKUlT_T0_E_clISt17integral_constantIbLb1EES17_IbLb0EEEEDaS13_S14_EUlS13_E_NS1_11comp_targetILNS1_3genE8ELNS1_11target_archE1030ELNS1_3gpuE2ELNS1_3repE0EEENS1_30default_config_static_selectorELNS0_4arch9wavefront6targetE0EEEvT1_.has_dyn_sized_stack, 0
	.set _ZN7rocprim17ROCPRIM_400000_NS6detail17trampoline_kernelINS0_14default_configENS1_25partition_config_selectorILNS1_17partition_subalgoE6EiNS0_10empty_typeEbEEZZNS1_14partition_implILS5_6ELb0ES3_mN6thrust23THRUST_200600_302600_NS6detail15normal_iteratorINSA_10device_ptrIiEEEEPS6_SG_NS0_5tupleIJSF_S6_EEENSH_IJSG_SG_EEES6_PlJNSB_9not_fun_tI7is_trueIiEEEEEE10hipError_tPvRmT3_T4_T5_T6_T7_T9_mT8_P12ihipStream_tbDpT10_ENKUlT_T0_E_clISt17integral_constantIbLb1EES17_IbLb0EEEEDaS13_S14_EUlS13_E_NS1_11comp_targetILNS1_3genE8ELNS1_11target_archE1030ELNS1_3gpuE2ELNS1_3repE0EEENS1_30default_config_static_selectorELNS0_4arch9wavefront6targetE0EEEvT1_.has_recursion, 0
	.set _ZN7rocprim17ROCPRIM_400000_NS6detail17trampoline_kernelINS0_14default_configENS1_25partition_config_selectorILNS1_17partition_subalgoE6EiNS0_10empty_typeEbEEZZNS1_14partition_implILS5_6ELb0ES3_mN6thrust23THRUST_200600_302600_NS6detail15normal_iteratorINSA_10device_ptrIiEEEEPS6_SG_NS0_5tupleIJSF_S6_EEENSH_IJSG_SG_EEES6_PlJNSB_9not_fun_tI7is_trueIiEEEEEE10hipError_tPvRmT3_T4_T5_T6_T7_T9_mT8_P12ihipStream_tbDpT10_ENKUlT_T0_E_clISt17integral_constantIbLb1EES17_IbLb0EEEEDaS13_S14_EUlS13_E_NS1_11comp_targetILNS1_3genE8ELNS1_11target_archE1030ELNS1_3gpuE2ELNS1_3repE0EEENS1_30default_config_static_selectorELNS0_4arch9wavefront6targetE0EEEvT1_.has_indirect_call, 0
	.section	.AMDGPU.csdata,"",@progbits
; Kernel info:
; codeLenInByte = 0
; TotalNumSgprs: 0
; NumVgprs: 0
; ScratchSize: 0
; MemoryBound: 0
; FloatMode: 240
; IeeeMode: 1
; LDSByteSize: 0 bytes/workgroup (compile time only)
; SGPRBlocks: 0
; VGPRBlocks: 0
; NumSGPRsForWavesPerEU: 1
; NumVGPRsForWavesPerEU: 1
; Occupancy: 16
; WaveLimiterHint : 0
; COMPUTE_PGM_RSRC2:SCRATCH_EN: 0
; COMPUTE_PGM_RSRC2:USER_SGPR: 2
; COMPUTE_PGM_RSRC2:TRAP_HANDLER: 0
; COMPUTE_PGM_RSRC2:TGID_X_EN: 1
; COMPUTE_PGM_RSRC2:TGID_Y_EN: 0
; COMPUTE_PGM_RSRC2:TGID_Z_EN: 0
; COMPUTE_PGM_RSRC2:TIDIG_COMP_CNT: 0
	.section	.text._ZN7rocprim17ROCPRIM_400000_NS6detail17trampoline_kernelINS0_14default_configENS1_25partition_config_selectorILNS1_17partition_subalgoE6EiNS0_10empty_typeEbEEZZNS1_14partition_implILS5_6ELb0ES3_mN6thrust23THRUST_200600_302600_NS6detail15normal_iteratorINSA_10device_ptrIiEEEEPS6_SG_NS0_5tupleIJSF_S6_EEENSH_IJSG_SG_EEES6_PlJNSB_9not_fun_tI7is_trueIiEEEEEE10hipError_tPvRmT3_T4_T5_T6_T7_T9_mT8_P12ihipStream_tbDpT10_ENKUlT_T0_E_clISt17integral_constantIbLb0EES17_IbLb1EEEEDaS13_S14_EUlS13_E_NS1_11comp_targetILNS1_3genE0ELNS1_11target_archE4294967295ELNS1_3gpuE0ELNS1_3repE0EEENS1_30default_config_static_selectorELNS0_4arch9wavefront6targetE0EEEvT1_,"axG",@progbits,_ZN7rocprim17ROCPRIM_400000_NS6detail17trampoline_kernelINS0_14default_configENS1_25partition_config_selectorILNS1_17partition_subalgoE6EiNS0_10empty_typeEbEEZZNS1_14partition_implILS5_6ELb0ES3_mN6thrust23THRUST_200600_302600_NS6detail15normal_iteratorINSA_10device_ptrIiEEEEPS6_SG_NS0_5tupleIJSF_S6_EEENSH_IJSG_SG_EEES6_PlJNSB_9not_fun_tI7is_trueIiEEEEEE10hipError_tPvRmT3_T4_T5_T6_T7_T9_mT8_P12ihipStream_tbDpT10_ENKUlT_T0_E_clISt17integral_constantIbLb0EES17_IbLb1EEEEDaS13_S14_EUlS13_E_NS1_11comp_targetILNS1_3genE0ELNS1_11target_archE4294967295ELNS1_3gpuE0ELNS1_3repE0EEENS1_30default_config_static_selectorELNS0_4arch9wavefront6targetE0EEEvT1_,comdat
	.protected	_ZN7rocprim17ROCPRIM_400000_NS6detail17trampoline_kernelINS0_14default_configENS1_25partition_config_selectorILNS1_17partition_subalgoE6EiNS0_10empty_typeEbEEZZNS1_14partition_implILS5_6ELb0ES3_mN6thrust23THRUST_200600_302600_NS6detail15normal_iteratorINSA_10device_ptrIiEEEEPS6_SG_NS0_5tupleIJSF_S6_EEENSH_IJSG_SG_EEES6_PlJNSB_9not_fun_tI7is_trueIiEEEEEE10hipError_tPvRmT3_T4_T5_T6_T7_T9_mT8_P12ihipStream_tbDpT10_ENKUlT_T0_E_clISt17integral_constantIbLb0EES17_IbLb1EEEEDaS13_S14_EUlS13_E_NS1_11comp_targetILNS1_3genE0ELNS1_11target_archE4294967295ELNS1_3gpuE0ELNS1_3repE0EEENS1_30default_config_static_selectorELNS0_4arch9wavefront6targetE0EEEvT1_ ; -- Begin function _ZN7rocprim17ROCPRIM_400000_NS6detail17trampoline_kernelINS0_14default_configENS1_25partition_config_selectorILNS1_17partition_subalgoE6EiNS0_10empty_typeEbEEZZNS1_14partition_implILS5_6ELb0ES3_mN6thrust23THRUST_200600_302600_NS6detail15normal_iteratorINSA_10device_ptrIiEEEEPS6_SG_NS0_5tupleIJSF_S6_EEENSH_IJSG_SG_EEES6_PlJNSB_9not_fun_tI7is_trueIiEEEEEE10hipError_tPvRmT3_T4_T5_T6_T7_T9_mT8_P12ihipStream_tbDpT10_ENKUlT_T0_E_clISt17integral_constantIbLb0EES17_IbLb1EEEEDaS13_S14_EUlS13_E_NS1_11comp_targetILNS1_3genE0ELNS1_11target_archE4294967295ELNS1_3gpuE0ELNS1_3repE0EEENS1_30default_config_static_selectorELNS0_4arch9wavefront6targetE0EEEvT1_
	.globl	_ZN7rocprim17ROCPRIM_400000_NS6detail17trampoline_kernelINS0_14default_configENS1_25partition_config_selectorILNS1_17partition_subalgoE6EiNS0_10empty_typeEbEEZZNS1_14partition_implILS5_6ELb0ES3_mN6thrust23THRUST_200600_302600_NS6detail15normal_iteratorINSA_10device_ptrIiEEEEPS6_SG_NS0_5tupleIJSF_S6_EEENSH_IJSG_SG_EEES6_PlJNSB_9not_fun_tI7is_trueIiEEEEEE10hipError_tPvRmT3_T4_T5_T6_T7_T9_mT8_P12ihipStream_tbDpT10_ENKUlT_T0_E_clISt17integral_constantIbLb0EES17_IbLb1EEEEDaS13_S14_EUlS13_E_NS1_11comp_targetILNS1_3genE0ELNS1_11target_archE4294967295ELNS1_3gpuE0ELNS1_3repE0EEENS1_30default_config_static_selectorELNS0_4arch9wavefront6targetE0EEEvT1_
	.p2align	8
	.type	_ZN7rocprim17ROCPRIM_400000_NS6detail17trampoline_kernelINS0_14default_configENS1_25partition_config_selectorILNS1_17partition_subalgoE6EiNS0_10empty_typeEbEEZZNS1_14partition_implILS5_6ELb0ES3_mN6thrust23THRUST_200600_302600_NS6detail15normal_iteratorINSA_10device_ptrIiEEEEPS6_SG_NS0_5tupleIJSF_S6_EEENSH_IJSG_SG_EEES6_PlJNSB_9not_fun_tI7is_trueIiEEEEEE10hipError_tPvRmT3_T4_T5_T6_T7_T9_mT8_P12ihipStream_tbDpT10_ENKUlT_T0_E_clISt17integral_constantIbLb0EES17_IbLb1EEEEDaS13_S14_EUlS13_E_NS1_11comp_targetILNS1_3genE0ELNS1_11target_archE4294967295ELNS1_3gpuE0ELNS1_3repE0EEENS1_30default_config_static_selectorELNS0_4arch9wavefront6targetE0EEEvT1_,@function
_ZN7rocprim17ROCPRIM_400000_NS6detail17trampoline_kernelINS0_14default_configENS1_25partition_config_selectorILNS1_17partition_subalgoE6EiNS0_10empty_typeEbEEZZNS1_14partition_implILS5_6ELb0ES3_mN6thrust23THRUST_200600_302600_NS6detail15normal_iteratorINSA_10device_ptrIiEEEEPS6_SG_NS0_5tupleIJSF_S6_EEENSH_IJSG_SG_EEES6_PlJNSB_9not_fun_tI7is_trueIiEEEEEE10hipError_tPvRmT3_T4_T5_T6_T7_T9_mT8_P12ihipStream_tbDpT10_ENKUlT_T0_E_clISt17integral_constantIbLb0EES17_IbLb1EEEEDaS13_S14_EUlS13_E_NS1_11comp_targetILNS1_3genE0ELNS1_11target_archE4294967295ELNS1_3gpuE0ELNS1_3repE0EEENS1_30default_config_static_selectorELNS0_4arch9wavefront6targetE0EEEvT1_: ; @_ZN7rocprim17ROCPRIM_400000_NS6detail17trampoline_kernelINS0_14default_configENS1_25partition_config_selectorILNS1_17partition_subalgoE6EiNS0_10empty_typeEbEEZZNS1_14partition_implILS5_6ELb0ES3_mN6thrust23THRUST_200600_302600_NS6detail15normal_iteratorINSA_10device_ptrIiEEEEPS6_SG_NS0_5tupleIJSF_S6_EEENSH_IJSG_SG_EEES6_PlJNSB_9not_fun_tI7is_trueIiEEEEEE10hipError_tPvRmT3_T4_T5_T6_T7_T9_mT8_P12ihipStream_tbDpT10_ENKUlT_T0_E_clISt17integral_constantIbLb0EES17_IbLb1EEEEDaS13_S14_EUlS13_E_NS1_11comp_targetILNS1_3genE0ELNS1_11target_archE4294967295ELNS1_3gpuE0ELNS1_3repE0EEENS1_30default_config_static_selectorELNS0_4arch9wavefront6targetE0EEEvT1_
; %bb.0:
	.section	.rodata,"a",@progbits
	.p2align	6, 0x0
	.amdhsa_kernel _ZN7rocprim17ROCPRIM_400000_NS6detail17trampoline_kernelINS0_14default_configENS1_25partition_config_selectorILNS1_17partition_subalgoE6EiNS0_10empty_typeEbEEZZNS1_14partition_implILS5_6ELb0ES3_mN6thrust23THRUST_200600_302600_NS6detail15normal_iteratorINSA_10device_ptrIiEEEEPS6_SG_NS0_5tupleIJSF_S6_EEENSH_IJSG_SG_EEES6_PlJNSB_9not_fun_tI7is_trueIiEEEEEE10hipError_tPvRmT3_T4_T5_T6_T7_T9_mT8_P12ihipStream_tbDpT10_ENKUlT_T0_E_clISt17integral_constantIbLb0EES17_IbLb1EEEEDaS13_S14_EUlS13_E_NS1_11comp_targetILNS1_3genE0ELNS1_11target_archE4294967295ELNS1_3gpuE0ELNS1_3repE0EEENS1_30default_config_static_selectorELNS0_4arch9wavefront6targetE0EEEvT1_
		.amdhsa_group_segment_fixed_size 0
		.amdhsa_private_segment_fixed_size 0
		.amdhsa_kernarg_size 128
		.amdhsa_user_sgpr_count 2
		.amdhsa_user_sgpr_dispatch_ptr 0
		.amdhsa_user_sgpr_queue_ptr 0
		.amdhsa_user_sgpr_kernarg_segment_ptr 1
		.amdhsa_user_sgpr_dispatch_id 0
		.amdhsa_user_sgpr_private_segment_size 0
		.amdhsa_wavefront_size32 1
		.amdhsa_uses_dynamic_stack 0
		.amdhsa_enable_private_segment 0
		.amdhsa_system_sgpr_workgroup_id_x 1
		.amdhsa_system_sgpr_workgroup_id_y 0
		.amdhsa_system_sgpr_workgroup_id_z 0
		.amdhsa_system_sgpr_workgroup_info 0
		.amdhsa_system_vgpr_workitem_id 0
		.amdhsa_next_free_vgpr 1
		.amdhsa_next_free_sgpr 1
		.amdhsa_reserve_vcc 0
		.amdhsa_float_round_mode_32 0
		.amdhsa_float_round_mode_16_64 0
		.amdhsa_float_denorm_mode_32 3
		.amdhsa_float_denorm_mode_16_64 3
		.amdhsa_fp16_overflow 0
		.amdhsa_workgroup_processor_mode 1
		.amdhsa_memory_ordered 1
		.amdhsa_forward_progress 1
		.amdhsa_inst_pref_size 0
		.amdhsa_round_robin_scheduling 0
		.amdhsa_exception_fp_ieee_invalid_op 0
		.amdhsa_exception_fp_denorm_src 0
		.amdhsa_exception_fp_ieee_div_zero 0
		.amdhsa_exception_fp_ieee_overflow 0
		.amdhsa_exception_fp_ieee_underflow 0
		.amdhsa_exception_fp_ieee_inexact 0
		.amdhsa_exception_int_div_zero 0
	.end_amdhsa_kernel
	.section	.text._ZN7rocprim17ROCPRIM_400000_NS6detail17trampoline_kernelINS0_14default_configENS1_25partition_config_selectorILNS1_17partition_subalgoE6EiNS0_10empty_typeEbEEZZNS1_14partition_implILS5_6ELb0ES3_mN6thrust23THRUST_200600_302600_NS6detail15normal_iteratorINSA_10device_ptrIiEEEEPS6_SG_NS0_5tupleIJSF_S6_EEENSH_IJSG_SG_EEES6_PlJNSB_9not_fun_tI7is_trueIiEEEEEE10hipError_tPvRmT3_T4_T5_T6_T7_T9_mT8_P12ihipStream_tbDpT10_ENKUlT_T0_E_clISt17integral_constantIbLb0EES17_IbLb1EEEEDaS13_S14_EUlS13_E_NS1_11comp_targetILNS1_3genE0ELNS1_11target_archE4294967295ELNS1_3gpuE0ELNS1_3repE0EEENS1_30default_config_static_selectorELNS0_4arch9wavefront6targetE0EEEvT1_,"axG",@progbits,_ZN7rocprim17ROCPRIM_400000_NS6detail17trampoline_kernelINS0_14default_configENS1_25partition_config_selectorILNS1_17partition_subalgoE6EiNS0_10empty_typeEbEEZZNS1_14partition_implILS5_6ELb0ES3_mN6thrust23THRUST_200600_302600_NS6detail15normal_iteratorINSA_10device_ptrIiEEEEPS6_SG_NS0_5tupleIJSF_S6_EEENSH_IJSG_SG_EEES6_PlJNSB_9not_fun_tI7is_trueIiEEEEEE10hipError_tPvRmT3_T4_T5_T6_T7_T9_mT8_P12ihipStream_tbDpT10_ENKUlT_T0_E_clISt17integral_constantIbLb0EES17_IbLb1EEEEDaS13_S14_EUlS13_E_NS1_11comp_targetILNS1_3genE0ELNS1_11target_archE4294967295ELNS1_3gpuE0ELNS1_3repE0EEENS1_30default_config_static_selectorELNS0_4arch9wavefront6targetE0EEEvT1_,comdat
.Lfunc_end1261:
	.size	_ZN7rocprim17ROCPRIM_400000_NS6detail17trampoline_kernelINS0_14default_configENS1_25partition_config_selectorILNS1_17partition_subalgoE6EiNS0_10empty_typeEbEEZZNS1_14partition_implILS5_6ELb0ES3_mN6thrust23THRUST_200600_302600_NS6detail15normal_iteratorINSA_10device_ptrIiEEEEPS6_SG_NS0_5tupleIJSF_S6_EEENSH_IJSG_SG_EEES6_PlJNSB_9not_fun_tI7is_trueIiEEEEEE10hipError_tPvRmT3_T4_T5_T6_T7_T9_mT8_P12ihipStream_tbDpT10_ENKUlT_T0_E_clISt17integral_constantIbLb0EES17_IbLb1EEEEDaS13_S14_EUlS13_E_NS1_11comp_targetILNS1_3genE0ELNS1_11target_archE4294967295ELNS1_3gpuE0ELNS1_3repE0EEENS1_30default_config_static_selectorELNS0_4arch9wavefront6targetE0EEEvT1_, .Lfunc_end1261-_ZN7rocprim17ROCPRIM_400000_NS6detail17trampoline_kernelINS0_14default_configENS1_25partition_config_selectorILNS1_17partition_subalgoE6EiNS0_10empty_typeEbEEZZNS1_14partition_implILS5_6ELb0ES3_mN6thrust23THRUST_200600_302600_NS6detail15normal_iteratorINSA_10device_ptrIiEEEEPS6_SG_NS0_5tupleIJSF_S6_EEENSH_IJSG_SG_EEES6_PlJNSB_9not_fun_tI7is_trueIiEEEEEE10hipError_tPvRmT3_T4_T5_T6_T7_T9_mT8_P12ihipStream_tbDpT10_ENKUlT_T0_E_clISt17integral_constantIbLb0EES17_IbLb1EEEEDaS13_S14_EUlS13_E_NS1_11comp_targetILNS1_3genE0ELNS1_11target_archE4294967295ELNS1_3gpuE0ELNS1_3repE0EEENS1_30default_config_static_selectorELNS0_4arch9wavefront6targetE0EEEvT1_
                                        ; -- End function
	.set _ZN7rocprim17ROCPRIM_400000_NS6detail17trampoline_kernelINS0_14default_configENS1_25partition_config_selectorILNS1_17partition_subalgoE6EiNS0_10empty_typeEbEEZZNS1_14partition_implILS5_6ELb0ES3_mN6thrust23THRUST_200600_302600_NS6detail15normal_iteratorINSA_10device_ptrIiEEEEPS6_SG_NS0_5tupleIJSF_S6_EEENSH_IJSG_SG_EEES6_PlJNSB_9not_fun_tI7is_trueIiEEEEEE10hipError_tPvRmT3_T4_T5_T6_T7_T9_mT8_P12ihipStream_tbDpT10_ENKUlT_T0_E_clISt17integral_constantIbLb0EES17_IbLb1EEEEDaS13_S14_EUlS13_E_NS1_11comp_targetILNS1_3genE0ELNS1_11target_archE4294967295ELNS1_3gpuE0ELNS1_3repE0EEENS1_30default_config_static_selectorELNS0_4arch9wavefront6targetE0EEEvT1_.num_vgpr, 0
	.set _ZN7rocprim17ROCPRIM_400000_NS6detail17trampoline_kernelINS0_14default_configENS1_25partition_config_selectorILNS1_17partition_subalgoE6EiNS0_10empty_typeEbEEZZNS1_14partition_implILS5_6ELb0ES3_mN6thrust23THRUST_200600_302600_NS6detail15normal_iteratorINSA_10device_ptrIiEEEEPS6_SG_NS0_5tupleIJSF_S6_EEENSH_IJSG_SG_EEES6_PlJNSB_9not_fun_tI7is_trueIiEEEEEE10hipError_tPvRmT3_T4_T5_T6_T7_T9_mT8_P12ihipStream_tbDpT10_ENKUlT_T0_E_clISt17integral_constantIbLb0EES17_IbLb1EEEEDaS13_S14_EUlS13_E_NS1_11comp_targetILNS1_3genE0ELNS1_11target_archE4294967295ELNS1_3gpuE0ELNS1_3repE0EEENS1_30default_config_static_selectorELNS0_4arch9wavefront6targetE0EEEvT1_.num_agpr, 0
	.set _ZN7rocprim17ROCPRIM_400000_NS6detail17trampoline_kernelINS0_14default_configENS1_25partition_config_selectorILNS1_17partition_subalgoE6EiNS0_10empty_typeEbEEZZNS1_14partition_implILS5_6ELb0ES3_mN6thrust23THRUST_200600_302600_NS6detail15normal_iteratorINSA_10device_ptrIiEEEEPS6_SG_NS0_5tupleIJSF_S6_EEENSH_IJSG_SG_EEES6_PlJNSB_9not_fun_tI7is_trueIiEEEEEE10hipError_tPvRmT3_T4_T5_T6_T7_T9_mT8_P12ihipStream_tbDpT10_ENKUlT_T0_E_clISt17integral_constantIbLb0EES17_IbLb1EEEEDaS13_S14_EUlS13_E_NS1_11comp_targetILNS1_3genE0ELNS1_11target_archE4294967295ELNS1_3gpuE0ELNS1_3repE0EEENS1_30default_config_static_selectorELNS0_4arch9wavefront6targetE0EEEvT1_.numbered_sgpr, 0
	.set _ZN7rocprim17ROCPRIM_400000_NS6detail17trampoline_kernelINS0_14default_configENS1_25partition_config_selectorILNS1_17partition_subalgoE6EiNS0_10empty_typeEbEEZZNS1_14partition_implILS5_6ELb0ES3_mN6thrust23THRUST_200600_302600_NS6detail15normal_iteratorINSA_10device_ptrIiEEEEPS6_SG_NS0_5tupleIJSF_S6_EEENSH_IJSG_SG_EEES6_PlJNSB_9not_fun_tI7is_trueIiEEEEEE10hipError_tPvRmT3_T4_T5_T6_T7_T9_mT8_P12ihipStream_tbDpT10_ENKUlT_T0_E_clISt17integral_constantIbLb0EES17_IbLb1EEEEDaS13_S14_EUlS13_E_NS1_11comp_targetILNS1_3genE0ELNS1_11target_archE4294967295ELNS1_3gpuE0ELNS1_3repE0EEENS1_30default_config_static_selectorELNS0_4arch9wavefront6targetE0EEEvT1_.num_named_barrier, 0
	.set _ZN7rocprim17ROCPRIM_400000_NS6detail17trampoline_kernelINS0_14default_configENS1_25partition_config_selectorILNS1_17partition_subalgoE6EiNS0_10empty_typeEbEEZZNS1_14partition_implILS5_6ELb0ES3_mN6thrust23THRUST_200600_302600_NS6detail15normal_iteratorINSA_10device_ptrIiEEEEPS6_SG_NS0_5tupleIJSF_S6_EEENSH_IJSG_SG_EEES6_PlJNSB_9not_fun_tI7is_trueIiEEEEEE10hipError_tPvRmT3_T4_T5_T6_T7_T9_mT8_P12ihipStream_tbDpT10_ENKUlT_T0_E_clISt17integral_constantIbLb0EES17_IbLb1EEEEDaS13_S14_EUlS13_E_NS1_11comp_targetILNS1_3genE0ELNS1_11target_archE4294967295ELNS1_3gpuE0ELNS1_3repE0EEENS1_30default_config_static_selectorELNS0_4arch9wavefront6targetE0EEEvT1_.private_seg_size, 0
	.set _ZN7rocprim17ROCPRIM_400000_NS6detail17trampoline_kernelINS0_14default_configENS1_25partition_config_selectorILNS1_17partition_subalgoE6EiNS0_10empty_typeEbEEZZNS1_14partition_implILS5_6ELb0ES3_mN6thrust23THRUST_200600_302600_NS6detail15normal_iteratorINSA_10device_ptrIiEEEEPS6_SG_NS0_5tupleIJSF_S6_EEENSH_IJSG_SG_EEES6_PlJNSB_9not_fun_tI7is_trueIiEEEEEE10hipError_tPvRmT3_T4_T5_T6_T7_T9_mT8_P12ihipStream_tbDpT10_ENKUlT_T0_E_clISt17integral_constantIbLb0EES17_IbLb1EEEEDaS13_S14_EUlS13_E_NS1_11comp_targetILNS1_3genE0ELNS1_11target_archE4294967295ELNS1_3gpuE0ELNS1_3repE0EEENS1_30default_config_static_selectorELNS0_4arch9wavefront6targetE0EEEvT1_.uses_vcc, 0
	.set _ZN7rocprim17ROCPRIM_400000_NS6detail17trampoline_kernelINS0_14default_configENS1_25partition_config_selectorILNS1_17partition_subalgoE6EiNS0_10empty_typeEbEEZZNS1_14partition_implILS5_6ELb0ES3_mN6thrust23THRUST_200600_302600_NS6detail15normal_iteratorINSA_10device_ptrIiEEEEPS6_SG_NS0_5tupleIJSF_S6_EEENSH_IJSG_SG_EEES6_PlJNSB_9not_fun_tI7is_trueIiEEEEEE10hipError_tPvRmT3_T4_T5_T6_T7_T9_mT8_P12ihipStream_tbDpT10_ENKUlT_T0_E_clISt17integral_constantIbLb0EES17_IbLb1EEEEDaS13_S14_EUlS13_E_NS1_11comp_targetILNS1_3genE0ELNS1_11target_archE4294967295ELNS1_3gpuE0ELNS1_3repE0EEENS1_30default_config_static_selectorELNS0_4arch9wavefront6targetE0EEEvT1_.uses_flat_scratch, 0
	.set _ZN7rocprim17ROCPRIM_400000_NS6detail17trampoline_kernelINS0_14default_configENS1_25partition_config_selectorILNS1_17partition_subalgoE6EiNS0_10empty_typeEbEEZZNS1_14partition_implILS5_6ELb0ES3_mN6thrust23THRUST_200600_302600_NS6detail15normal_iteratorINSA_10device_ptrIiEEEEPS6_SG_NS0_5tupleIJSF_S6_EEENSH_IJSG_SG_EEES6_PlJNSB_9not_fun_tI7is_trueIiEEEEEE10hipError_tPvRmT3_T4_T5_T6_T7_T9_mT8_P12ihipStream_tbDpT10_ENKUlT_T0_E_clISt17integral_constantIbLb0EES17_IbLb1EEEEDaS13_S14_EUlS13_E_NS1_11comp_targetILNS1_3genE0ELNS1_11target_archE4294967295ELNS1_3gpuE0ELNS1_3repE0EEENS1_30default_config_static_selectorELNS0_4arch9wavefront6targetE0EEEvT1_.has_dyn_sized_stack, 0
	.set _ZN7rocprim17ROCPRIM_400000_NS6detail17trampoline_kernelINS0_14default_configENS1_25partition_config_selectorILNS1_17partition_subalgoE6EiNS0_10empty_typeEbEEZZNS1_14partition_implILS5_6ELb0ES3_mN6thrust23THRUST_200600_302600_NS6detail15normal_iteratorINSA_10device_ptrIiEEEEPS6_SG_NS0_5tupleIJSF_S6_EEENSH_IJSG_SG_EEES6_PlJNSB_9not_fun_tI7is_trueIiEEEEEE10hipError_tPvRmT3_T4_T5_T6_T7_T9_mT8_P12ihipStream_tbDpT10_ENKUlT_T0_E_clISt17integral_constantIbLb0EES17_IbLb1EEEEDaS13_S14_EUlS13_E_NS1_11comp_targetILNS1_3genE0ELNS1_11target_archE4294967295ELNS1_3gpuE0ELNS1_3repE0EEENS1_30default_config_static_selectorELNS0_4arch9wavefront6targetE0EEEvT1_.has_recursion, 0
	.set _ZN7rocprim17ROCPRIM_400000_NS6detail17trampoline_kernelINS0_14default_configENS1_25partition_config_selectorILNS1_17partition_subalgoE6EiNS0_10empty_typeEbEEZZNS1_14partition_implILS5_6ELb0ES3_mN6thrust23THRUST_200600_302600_NS6detail15normal_iteratorINSA_10device_ptrIiEEEEPS6_SG_NS0_5tupleIJSF_S6_EEENSH_IJSG_SG_EEES6_PlJNSB_9not_fun_tI7is_trueIiEEEEEE10hipError_tPvRmT3_T4_T5_T6_T7_T9_mT8_P12ihipStream_tbDpT10_ENKUlT_T0_E_clISt17integral_constantIbLb0EES17_IbLb1EEEEDaS13_S14_EUlS13_E_NS1_11comp_targetILNS1_3genE0ELNS1_11target_archE4294967295ELNS1_3gpuE0ELNS1_3repE0EEENS1_30default_config_static_selectorELNS0_4arch9wavefront6targetE0EEEvT1_.has_indirect_call, 0
	.section	.AMDGPU.csdata,"",@progbits
; Kernel info:
; codeLenInByte = 0
; TotalNumSgprs: 0
; NumVgprs: 0
; ScratchSize: 0
; MemoryBound: 0
; FloatMode: 240
; IeeeMode: 1
; LDSByteSize: 0 bytes/workgroup (compile time only)
; SGPRBlocks: 0
; VGPRBlocks: 0
; NumSGPRsForWavesPerEU: 1
; NumVGPRsForWavesPerEU: 1
; Occupancy: 16
; WaveLimiterHint : 0
; COMPUTE_PGM_RSRC2:SCRATCH_EN: 0
; COMPUTE_PGM_RSRC2:USER_SGPR: 2
; COMPUTE_PGM_RSRC2:TRAP_HANDLER: 0
; COMPUTE_PGM_RSRC2:TGID_X_EN: 1
; COMPUTE_PGM_RSRC2:TGID_Y_EN: 0
; COMPUTE_PGM_RSRC2:TGID_Z_EN: 0
; COMPUTE_PGM_RSRC2:TIDIG_COMP_CNT: 0
	.section	.text._ZN7rocprim17ROCPRIM_400000_NS6detail17trampoline_kernelINS0_14default_configENS1_25partition_config_selectorILNS1_17partition_subalgoE6EiNS0_10empty_typeEbEEZZNS1_14partition_implILS5_6ELb0ES3_mN6thrust23THRUST_200600_302600_NS6detail15normal_iteratorINSA_10device_ptrIiEEEEPS6_SG_NS0_5tupleIJSF_S6_EEENSH_IJSG_SG_EEES6_PlJNSB_9not_fun_tI7is_trueIiEEEEEE10hipError_tPvRmT3_T4_T5_T6_T7_T9_mT8_P12ihipStream_tbDpT10_ENKUlT_T0_E_clISt17integral_constantIbLb0EES17_IbLb1EEEEDaS13_S14_EUlS13_E_NS1_11comp_targetILNS1_3genE5ELNS1_11target_archE942ELNS1_3gpuE9ELNS1_3repE0EEENS1_30default_config_static_selectorELNS0_4arch9wavefront6targetE0EEEvT1_,"axG",@progbits,_ZN7rocprim17ROCPRIM_400000_NS6detail17trampoline_kernelINS0_14default_configENS1_25partition_config_selectorILNS1_17partition_subalgoE6EiNS0_10empty_typeEbEEZZNS1_14partition_implILS5_6ELb0ES3_mN6thrust23THRUST_200600_302600_NS6detail15normal_iteratorINSA_10device_ptrIiEEEEPS6_SG_NS0_5tupleIJSF_S6_EEENSH_IJSG_SG_EEES6_PlJNSB_9not_fun_tI7is_trueIiEEEEEE10hipError_tPvRmT3_T4_T5_T6_T7_T9_mT8_P12ihipStream_tbDpT10_ENKUlT_T0_E_clISt17integral_constantIbLb0EES17_IbLb1EEEEDaS13_S14_EUlS13_E_NS1_11comp_targetILNS1_3genE5ELNS1_11target_archE942ELNS1_3gpuE9ELNS1_3repE0EEENS1_30default_config_static_selectorELNS0_4arch9wavefront6targetE0EEEvT1_,comdat
	.protected	_ZN7rocprim17ROCPRIM_400000_NS6detail17trampoline_kernelINS0_14default_configENS1_25partition_config_selectorILNS1_17partition_subalgoE6EiNS0_10empty_typeEbEEZZNS1_14partition_implILS5_6ELb0ES3_mN6thrust23THRUST_200600_302600_NS6detail15normal_iteratorINSA_10device_ptrIiEEEEPS6_SG_NS0_5tupleIJSF_S6_EEENSH_IJSG_SG_EEES6_PlJNSB_9not_fun_tI7is_trueIiEEEEEE10hipError_tPvRmT3_T4_T5_T6_T7_T9_mT8_P12ihipStream_tbDpT10_ENKUlT_T0_E_clISt17integral_constantIbLb0EES17_IbLb1EEEEDaS13_S14_EUlS13_E_NS1_11comp_targetILNS1_3genE5ELNS1_11target_archE942ELNS1_3gpuE9ELNS1_3repE0EEENS1_30default_config_static_selectorELNS0_4arch9wavefront6targetE0EEEvT1_ ; -- Begin function _ZN7rocprim17ROCPRIM_400000_NS6detail17trampoline_kernelINS0_14default_configENS1_25partition_config_selectorILNS1_17partition_subalgoE6EiNS0_10empty_typeEbEEZZNS1_14partition_implILS5_6ELb0ES3_mN6thrust23THRUST_200600_302600_NS6detail15normal_iteratorINSA_10device_ptrIiEEEEPS6_SG_NS0_5tupleIJSF_S6_EEENSH_IJSG_SG_EEES6_PlJNSB_9not_fun_tI7is_trueIiEEEEEE10hipError_tPvRmT3_T4_T5_T6_T7_T9_mT8_P12ihipStream_tbDpT10_ENKUlT_T0_E_clISt17integral_constantIbLb0EES17_IbLb1EEEEDaS13_S14_EUlS13_E_NS1_11comp_targetILNS1_3genE5ELNS1_11target_archE942ELNS1_3gpuE9ELNS1_3repE0EEENS1_30default_config_static_selectorELNS0_4arch9wavefront6targetE0EEEvT1_
	.globl	_ZN7rocprim17ROCPRIM_400000_NS6detail17trampoline_kernelINS0_14default_configENS1_25partition_config_selectorILNS1_17partition_subalgoE6EiNS0_10empty_typeEbEEZZNS1_14partition_implILS5_6ELb0ES3_mN6thrust23THRUST_200600_302600_NS6detail15normal_iteratorINSA_10device_ptrIiEEEEPS6_SG_NS0_5tupleIJSF_S6_EEENSH_IJSG_SG_EEES6_PlJNSB_9not_fun_tI7is_trueIiEEEEEE10hipError_tPvRmT3_T4_T5_T6_T7_T9_mT8_P12ihipStream_tbDpT10_ENKUlT_T0_E_clISt17integral_constantIbLb0EES17_IbLb1EEEEDaS13_S14_EUlS13_E_NS1_11comp_targetILNS1_3genE5ELNS1_11target_archE942ELNS1_3gpuE9ELNS1_3repE0EEENS1_30default_config_static_selectorELNS0_4arch9wavefront6targetE0EEEvT1_
	.p2align	8
	.type	_ZN7rocprim17ROCPRIM_400000_NS6detail17trampoline_kernelINS0_14default_configENS1_25partition_config_selectorILNS1_17partition_subalgoE6EiNS0_10empty_typeEbEEZZNS1_14partition_implILS5_6ELb0ES3_mN6thrust23THRUST_200600_302600_NS6detail15normal_iteratorINSA_10device_ptrIiEEEEPS6_SG_NS0_5tupleIJSF_S6_EEENSH_IJSG_SG_EEES6_PlJNSB_9not_fun_tI7is_trueIiEEEEEE10hipError_tPvRmT3_T4_T5_T6_T7_T9_mT8_P12ihipStream_tbDpT10_ENKUlT_T0_E_clISt17integral_constantIbLb0EES17_IbLb1EEEEDaS13_S14_EUlS13_E_NS1_11comp_targetILNS1_3genE5ELNS1_11target_archE942ELNS1_3gpuE9ELNS1_3repE0EEENS1_30default_config_static_selectorELNS0_4arch9wavefront6targetE0EEEvT1_,@function
_ZN7rocprim17ROCPRIM_400000_NS6detail17trampoline_kernelINS0_14default_configENS1_25partition_config_selectorILNS1_17partition_subalgoE6EiNS0_10empty_typeEbEEZZNS1_14partition_implILS5_6ELb0ES3_mN6thrust23THRUST_200600_302600_NS6detail15normal_iteratorINSA_10device_ptrIiEEEEPS6_SG_NS0_5tupleIJSF_S6_EEENSH_IJSG_SG_EEES6_PlJNSB_9not_fun_tI7is_trueIiEEEEEE10hipError_tPvRmT3_T4_T5_T6_T7_T9_mT8_P12ihipStream_tbDpT10_ENKUlT_T0_E_clISt17integral_constantIbLb0EES17_IbLb1EEEEDaS13_S14_EUlS13_E_NS1_11comp_targetILNS1_3genE5ELNS1_11target_archE942ELNS1_3gpuE9ELNS1_3repE0EEENS1_30default_config_static_selectorELNS0_4arch9wavefront6targetE0EEEvT1_: ; @_ZN7rocprim17ROCPRIM_400000_NS6detail17trampoline_kernelINS0_14default_configENS1_25partition_config_selectorILNS1_17partition_subalgoE6EiNS0_10empty_typeEbEEZZNS1_14partition_implILS5_6ELb0ES3_mN6thrust23THRUST_200600_302600_NS6detail15normal_iteratorINSA_10device_ptrIiEEEEPS6_SG_NS0_5tupleIJSF_S6_EEENSH_IJSG_SG_EEES6_PlJNSB_9not_fun_tI7is_trueIiEEEEEE10hipError_tPvRmT3_T4_T5_T6_T7_T9_mT8_P12ihipStream_tbDpT10_ENKUlT_T0_E_clISt17integral_constantIbLb0EES17_IbLb1EEEEDaS13_S14_EUlS13_E_NS1_11comp_targetILNS1_3genE5ELNS1_11target_archE942ELNS1_3gpuE9ELNS1_3repE0EEENS1_30default_config_static_selectorELNS0_4arch9wavefront6targetE0EEEvT1_
; %bb.0:
	.section	.rodata,"a",@progbits
	.p2align	6, 0x0
	.amdhsa_kernel _ZN7rocprim17ROCPRIM_400000_NS6detail17trampoline_kernelINS0_14default_configENS1_25partition_config_selectorILNS1_17partition_subalgoE6EiNS0_10empty_typeEbEEZZNS1_14partition_implILS5_6ELb0ES3_mN6thrust23THRUST_200600_302600_NS6detail15normal_iteratorINSA_10device_ptrIiEEEEPS6_SG_NS0_5tupleIJSF_S6_EEENSH_IJSG_SG_EEES6_PlJNSB_9not_fun_tI7is_trueIiEEEEEE10hipError_tPvRmT3_T4_T5_T6_T7_T9_mT8_P12ihipStream_tbDpT10_ENKUlT_T0_E_clISt17integral_constantIbLb0EES17_IbLb1EEEEDaS13_S14_EUlS13_E_NS1_11comp_targetILNS1_3genE5ELNS1_11target_archE942ELNS1_3gpuE9ELNS1_3repE0EEENS1_30default_config_static_selectorELNS0_4arch9wavefront6targetE0EEEvT1_
		.amdhsa_group_segment_fixed_size 0
		.amdhsa_private_segment_fixed_size 0
		.amdhsa_kernarg_size 128
		.amdhsa_user_sgpr_count 2
		.amdhsa_user_sgpr_dispatch_ptr 0
		.amdhsa_user_sgpr_queue_ptr 0
		.amdhsa_user_sgpr_kernarg_segment_ptr 1
		.amdhsa_user_sgpr_dispatch_id 0
		.amdhsa_user_sgpr_private_segment_size 0
		.amdhsa_wavefront_size32 1
		.amdhsa_uses_dynamic_stack 0
		.amdhsa_enable_private_segment 0
		.amdhsa_system_sgpr_workgroup_id_x 1
		.amdhsa_system_sgpr_workgroup_id_y 0
		.amdhsa_system_sgpr_workgroup_id_z 0
		.amdhsa_system_sgpr_workgroup_info 0
		.amdhsa_system_vgpr_workitem_id 0
		.amdhsa_next_free_vgpr 1
		.amdhsa_next_free_sgpr 1
		.amdhsa_reserve_vcc 0
		.amdhsa_float_round_mode_32 0
		.amdhsa_float_round_mode_16_64 0
		.amdhsa_float_denorm_mode_32 3
		.amdhsa_float_denorm_mode_16_64 3
		.amdhsa_fp16_overflow 0
		.amdhsa_workgroup_processor_mode 1
		.amdhsa_memory_ordered 1
		.amdhsa_forward_progress 1
		.amdhsa_inst_pref_size 0
		.amdhsa_round_robin_scheduling 0
		.amdhsa_exception_fp_ieee_invalid_op 0
		.amdhsa_exception_fp_denorm_src 0
		.amdhsa_exception_fp_ieee_div_zero 0
		.amdhsa_exception_fp_ieee_overflow 0
		.amdhsa_exception_fp_ieee_underflow 0
		.amdhsa_exception_fp_ieee_inexact 0
		.amdhsa_exception_int_div_zero 0
	.end_amdhsa_kernel
	.section	.text._ZN7rocprim17ROCPRIM_400000_NS6detail17trampoline_kernelINS0_14default_configENS1_25partition_config_selectorILNS1_17partition_subalgoE6EiNS0_10empty_typeEbEEZZNS1_14partition_implILS5_6ELb0ES3_mN6thrust23THRUST_200600_302600_NS6detail15normal_iteratorINSA_10device_ptrIiEEEEPS6_SG_NS0_5tupleIJSF_S6_EEENSH_IJSG_SG_EEES6_PlJNSB_9not_fun_tI7is_trueIiEEEEEE10hipError_tPvRmT3_T4_T5_T6_T7_T9_mT8_P12ihipStream_tbDpT10_ENKUlT_T0_E_clISt17integral_constantIbLb0EES17_IbLb1EEEEDaS13_S14_EUlS13_E_NS1_11comp_targetILNS1_3genE5ELNS1_11target_archE942ELNS1_3gpuE9ELNS1_3repE0EEENS1_30default_config_static_selectorELNS0_4arch9wavefront6targetE0EEEvT1_,"axG",@progbits,_ZN7rocprim17ROCPRIM_400000_NS6detail17trampoline_kernelINS0_14default_configENS1_25partition_config_selectorILNS1_17partition_subalgoE6EiNS0_10empty_typeEbEEZZNS1_14partition_implILS5_6ELb0ES3_mN6thrust23THRUST_200600_302600_NS6detail15normal_iteratorINSA_10device_ptrIiEEEEPS6_SG_NS0_5tupleIJSF_S6_EEENSH_IJSG_SG_EEES6_PlJNSB_9not_fun_tI7is_trueIiEEEEEE10hipError_tPvRmT3_T4_T5_T6_T7_T9_mT8_P12ihipStream_tbDpT10_ENKUlT_T0_E_clISt17integral_constantIbLb0EES17_IbLb1EEEEDaS13_S14_EUlS13_E_NS1_11comp_targetILNS1_3genE5ELNS1_11target_archE942ELNS1_3gpuE9ELNS1_3repE0EEENS1_30default_config_static_selectorELNS0_4arch9wavefront6targetE0EEEvT1_,comdat
.Lfunc_end1262:
	.size	_ZN7rocprim17ROCPRIM_400000_NS6detail17trampoline_kernelINS0_14default_configENS1_25partition_config_selectorILNS1_17partition_subalgoE6EiNS0_10empty_typeEbEEZZNS1_14partition_implILS5_6ELb0ES3_mN6thrust23THRUST_200600_302600_NS6detail15normal_iteratorINSA_10device_ptrIiEEEEPS6_SG_NS0_5tupleIJSF_S6_EEENSH_IJSG_SG_EEES6_PlJNSB_9not_fun_tI7is_trueIiEEEEEE10hipError_tPvRmT3_T4_T5_T6_T7_T9_mT8_P12ihipStream_tbDpT10_ENKUlT_T0_E_clISt17integral_constantIbLb0EES17_IbLb1EEEEDaS13_S14_EUlS13_E_NS1_11comp_targetILNS1_3genE5ELNS1_11target_archE942ELNS1_3gpuE9ELNS1_3repE0EEENS1_30default_config_static_selectorELNS0_4arch9wavefront6targetE0EEEvT1_, .Lfunc_end1262-_ZN7rocprim17ROCPRIM_400000_NS6detail17trampoline_kernelINS0_14default_configENS1_25partition_config_selectorILNS1_17partition_subalgoE6EiNS0_10empty_typeEbEEZZNS1_14partition_implILS5_6ELb0ES3_mN6thrust23THRUST_200600_302600_NS6detail15normal_iteratorINSA_10device_ptrIiEEEEPS6_SG_NS0_5tupleIJSF_S6_EEENSH_IJSG_SG_EEES6_PlJNSB_9not_fun_tI7is_trueIiEEEEEE10hipError_tPvRmT3_T4_T5_T6_T7_T9_mT8_P12ihipStream_tbDpT10_ENKUlT_T0_E_clISt17integral_constantIbLb0EES17_IbLb1EEEEDaS13_S14_EUlS13_E_NS1_11comp_targetILNS1_3genE5ELNS1_11target_archE942ELNS1_3gpuE9ELNS1_3repE0EEENS1_30default_config_static_selectorELNS0_4arch9wavefront6targetE0EEEvT1_
                                        ; -- End function
	.set _ZN7rocprim17ROCPRIM_400000_NS6detail17trampoline_kernelINS0_14default_configENS1_25partition_config_selectorILNS1_17partition_subalgoE6EiNS0_10empty_typeEbEEZZNS1_14partition_implILS5_6ELb0ES3_mN6thrust23THRUST_200600_302600_NS6detail15normal_iteratorINSA_10device_ptrIiEEEEPS6_SG_NS0_5tupleIJSF_S6_EEENSH_IJSG_SG_EEES6_PlJNSB_9not_fun_tI7is_trueIiEEEEEE10hipError_tPvRmT3_T4_T5_T6_T7_T9_mT8_P12ihipStream_tbDpT10_ENKUlT_T0_E_clISt17integral_constantIbLb0EES17_IbLb1EEEEDaS13_S14_EUlS13_E_NS1_11comp_targetILNS1_3genE5ELNS1_11target_archE942ELNS1_3gpuE9ELNS1_3repE0EEENS1_30default_config_static_selectorELNS0_4arch9wavefront6targetE0EEEvT1_.num_vgpr, 0
	.set _ZN7rocprim17ROCPRIM_400000_NS6detail17trampoline_kernelINS0_14default_configENS1_25partition_config_selectorILNS1_17partition_subalgoE6EiNS0_10empty_typeEbEEZZNS1_14partition_implILS5_6ELb0ES3_mN6thrust23THRUST_200600_302600_NS6detail15normal_iteratorINSA_10device_ptrIiEEEEPS6_SG_NS0_5tupleIJSF_S6_EEENSH_IJSG_SG_EEES6_PlJNSB_9not_fun_tI7is_trueIiEEEEEE10hipError_tPvRmT3_T4_T5_T6_T7_T9_mT8_P12ihipStream_tbDpT10_ENKUlT_T0_E_clISt17integral_constantIbLb0EES17_IbLb1EEEEDaS13_S14_EUlS13_E_NS1_11comp_targetILNS1_3genE5ELNS1_11target_archE942ELNS1_3gpuE9ELNS1_3repE0EEENS1_30default_config_static_selectorELNS0_4arch9wavefront6targetE0EEEvT1_.num_agpr, 0
	.set _ZN7rocprim17ROCPRIM_400000_NS6detail17trampoline_kernelINS0_14default_configENS1_25partition_config_selectorILNS1_17partition_subalgoE6EiNS0_10empty_typeEbEEZZNS1_14partition_implILS5_6ELb0ES3_mN6thrust23THRUST_200600_302600_NS6detail15normal_iteratorINSA_10device_ptrIiEEEEPS6_SG_NS0_5tupleIJSF_S6_EEENSH_IJSG_SG_EEES6_PlJNSB_9not_fun_tI7is_trueIiEEEEEE10hipError_tPvRmT3_T4_T5_T6_T7_T9_mT8_P12ihipStream_tbDpT10_ENKUlT_T0_E_clISt17integral_constantIbLb0EES17_IbLb1EEEEDaS13_S14_EUlS13_E_NS1_11comp_targetILNS1_3genE5ELNS1_11target_archE942ELNS1_3gpuE9ELNS1_3repE0EEENS1_30default_config_static_selectorELNS0_4arch9wavefront6targetE0EEEvT1_.numbered_sgpr, 0
	.set _ZN7rocprim17ROCPRIM_400000_NS6detail17trampoline_kernelINS0_14default_configENS1_25partition_config_selectorILNS1_17partition_subalgoE6EiNS0_10empty_typeEbEEZZNS1_14partition_implILS5_6ELb0ES3_mN6thrust23THRUST_200600_302600_NS6detail15normal_iteratorINSA_10device_ptrIiEEEEPS6_SG_NS0_5tupleIJSF_S6_EEENSH_IJSG_SG_EEES6_PlJNSB_9not_fun_tI7is_trueIiEEEEEE10hipError_tPvRmT3_T4_T5_T6_T7_T9_mT8_P12ihipStream_tbDpT10_ENKUlT_T0_E_clISt17integral_constantIbLb0EES17_IbLb1EEEEDaS13_S14_EUlS13_E_NS1_11comp_targetILNS1_3genE5ELNS1_11target_archE942ELNS1_3gpuE9ELNS1_3repE0EEENS1_30default_config_static_selectorELNS0_4arch9wavefront6targetE0EEEvT1_.num_named_barrier, 0
	.set _ZN7rocprim17ROCPRIM_400000_NS6detail17trampoline_kernelINS0_14default_configENS1_25partition_config_selectorILNS1_17partition_subalgoE6EiNS0_10empty_typeEbEEZZNS1_14partition_implILS5_6ELb0ES3_mN6thrust23THRUST_200600_302600_NS6detail15normal_iteratorINSA_10device_ptrIiEEEEPS6_SG_NS0_5tupleIJSF_S6_EEENSH_IJSG_SG_EEES6_PlJNSB_9not_fun_tI7is_trueIiEEEEEE10hipError_tPvRmT3_T4_T5_T6_T7_T9_mT8_P12ihipStream_tbDpT10_ENKUlT_T0_E_clISt17integral_constantIbLb0EES17_IbLb1EEEEDaS13_S14_EUlS13_E_NS1_11comp_targetILNS1_3genE5ELNS1_11target_archE942ELNS1_3gpuE9ELNS1_3repE0EEENS1_30default_config_static_selectorELNS0_4arch9wavefront6targetE0EEEvT1_.private_seg_size, 0
	.set _ZN7rocprim17ROCPRIM_400000_NS6detail17trampoline_kernelINS0_14default_configENS1_25partition_config_selectorILNS1_17partition_subalgoE6EiNS0_10empty_typeEbEEZZNS1_14partition_implILS5_6ELb0ES3_mN6thrust23THRUST_200600_302600_NS6detail15normal_iteratorINSA_10device_ptrIiEEEEPS6_SG_NS0_5tupleIJSF_S6_EEENSH_IJSG_SG_EEES6_PlJNSB_9not_fun_tI7is_trueIiEEEEEE10hipError_tPvRmT3_T4_T5_T6_T7_T9_mT8_P12ihipStream_tbDpT10_ENKUlT_T0_E_clISt17integral_constantIbLb0EES17_IbLb1EEEEDaS13_S14_EUlS13_E_NS1_11comp_targetILNS1_3genE5ELNS1_11target_archE942ELNS1_3gpuE9ELNS1_3repE0EEENS1_30default_config_static_selectorELNS0_4arch9wavefront6targetE0EEEvT1_.uses_vcc, 0
	.set _ZN7rocprim17ROCPRIM_400000_NS6detail17trampoline_kernelINS0_14default_configENS1_25partition_config_selectorILNS1_17partition_subalgoE6EiNS0_10empty_typeEbEEZZNS1_14partition_implILS5_6ELb0ES3_mN6thrust23THRUST_200600_302600_NS6detail15normal_iteratorINSA_10device_ptrIiEEEEPS6_SG_NS0_5tupleIJSF_S6_EEENSH_IJSG_SG_EEES6_PlJNSB_9not_fun_tI7is_trueIiEEEEEE10hipError_tPvRmT3_T4_T5_T6_T7_T9_mT8_P12ihipStream_tbDpT10_ENKUlT_T0_E_clISt17integral_constantIbLb0EES17_IbLb1EEEEDaS13_S14_EUlS13_E_NS1_11comp_targetILNS1_3genE5ELNS1_11target_archE942ELNS1_3gpuE9ELNS1_3repE0EEENS1_30default_config_static_selectorELNS0_4arch9wavefront6targetE0EEEvT1_.uses_flat_scratch, 0
	.set _ZN7rocprim17ROCPRIM_400000_NS6detail17trampoline_kernelINS0_14default_configENS1_25partition_config_selectorILNS1_17partition_subalgoE6EiNS0_10empty_typeEbEEZZNS1_14partition_implILS5_6ELb0ES3_mN6thrust23THRUST_200600_302600_NS6detail15normal_iteratorINSA_10device_ptrIiEEEEPS6_SG_NS0_5tupleIJSF_S6_EEENSH_IJSG_SG_EEES6_PlJNSB_9not_fun_tI7is_trueIiEEEEEE10hipError_tPvRmT3_T4_T5_T6_T7_T9_mT8_P12ihipStream_tbDpT10_ENKUlT_T0_E_clISt17integral_constantIbLb0EES17_IbLb1EEEEDaS13_S14_EUlS13_E_NS1_11comp_targetILNS1_3genE5ELNS1_11target_archE942ELNS1_3gpuE9ELNS1_3repE0EEENS1_30default_config_static_selectorELNS0_4arch9wavefront6targetE0EEEvT1_.has_dyn_sized_stack, 0
	.set _ZN7rocprim17ROCPRIM_400000_NS6detail17trampoline_kernelINS0_14default_configENS1_25partition_config_selectorILNS1_17partition_subalgoE6EiNS0_10empty_typeEbEEZZNS1_14partition_implILS5_6ELb0ES3_mN6thrust23THRUST_200600_302600_NS6detail15normal_iteratorINSA_10device_ptrIiEEEEPS6_SG_NS0_5tupleIJSF_S6_EEENSH_IJSG_SG_EEES6_PlJNSB_9not_fun_tI7is_trueIiEEEEEE10hipError_tPvRmT3_T4_T5_T6_T7_T9_mT8_P12ihipStream_tbDpT10_ENKUlT_T0_E_clISt17integral_constantIbLb0EES17_IbLb1EEEEDaS13_S14_EUlS13_E_NS1_11comp_targetILNS1_3genE5ELNS1_11target_archE942ELNS1_3gpuE9ELNS1_3repE0EEENS1_30default_config_static_selectorELNS0_4arch9wavefront6targetE0EEEvT1_.has_recursion, 0
	.set _ZN7rocprim17ROCPRIM_400000_NS6detail17trampoline_kernelINS0_14default_configENS1_25partition_config_selectorILNS1_17partition_subalgoE6EiNS0_10empty_typeEbEEZZNS1_14partition_implILS5_6ELb0ES3_mN6thrust23THRUST_200600_302600_NS6detail15normal_iteratorINSA_10device_ptrIiEEEEPS6_SG_NS0_5tupleIJSF_S6_EEENSH_IJSG_SG_EEES6_PlJNSB_9not_fun_tI7is_trueIiEEEEEE10hipError_tPvRmT3_T4_T5_T6_T7_T9_mT8_P12ihipStream_tbDpT10_ENKUlT_T0_E_clISt17integral_constantIbLb0EES17_IbLb1EEEEDaS13_S14_EUlS13_E_NS1_11comp_targetILNS1_3genE5ELNS1_11target_archE942ELNS1_3gpuE9ELNS1_3repE0EEENS1_30default_config_static_selectorELNS0_4arch9wavefront6targetE0EEEvT1_.has_indirect_call, 0
	.section	.AMDGPU.csdata,"",@progbits
; Kernel info:
; codeLenInByte = 0
; TotalNumSgprs: 0
; NumVgprs: 0
; ScratchSize: 0
; MemoryBound: 0
; FloatMode: 240
; IeeeMode: 1
; LDSByteSize: 0 bytes/workgroup (compile time only)
; SGPRBlocks: 0
; VGPRBlocks: 0
; NumSGPRsForWavesPerEU: 1
; NumVGPRsForWavesPerEU: 1
; Occupancy: 16
; WaveLimiterHint : 0
; COMPUTE_PGM_RSRC2:SCRATCH_EN: 0
; COMPUTE_PGM_RSRC2:USER_SGPR: 2
; COMPUTE_PGM_RSRC2:TRAP_HANDLER: 0
; COMPUTE_PGM_RSRC2:TGID_X_EN: 1
; COMPUTE_PGM_RSRC2:TGID_Y_EN: 0
; COMPUTE_PGM_RSRC2:TGID_Z_EN: 0
; COMPUTE_PGM_RSRC2:TIDIG_COMP_CNT: 0
	.section	.text._ZN7rocprim17ROCPRIM_400000_NS6detail17trampoline_kernelINS0_14default_configENS1_25partition_config_selectorILNS1_17partition_subalgoE6EiNS0_10empty_typeEbEEZZNS1_14partition_implILS5_6ELb0ES3_mN6thrust23THRUST_200600_302600_NS6detail15normal_iteratorINSA_10device_ptrIiEEEEPS6_SG_NS0_5tupleIJSF_S6_EEENSH_IJSG_SG_EEES6_PlJNSB_9not_fun_tI7is_trueIiEEEEEE10hipError_tPvRmT3_T4_T5_T6_T7_T9_mT8_P12ihipStream_tbDpT10_ENKUlT_T0_E_clISt17integral_constantIbLb0EES17_IbLb1EEEEDaS13_S14_EUlS13_E_NS1_11comp_targetILNS1_3genE4ELNS1_11target_archE910ELNS1_3gpuE8ELNS1_3repE0EEENS1_30default_config_static_selectorELNS0_4arch9wavefront6targetE0EEEvT1_,"axG",@progbits,_ZN7rocprim17ROCPRIM_400000_NS6detail17trampoline_kernelINS0_14default_configENS1_25partition_config_selectorILNS1_17partition_subalgoE6EiNS0_10empty_typeEbEEZZNS1_14partition_implILS5_6ELb0ES3_mN6thrust23THRUST_200600_302600_NS6detail15normal_iteratorINSA_10device_ptrIiEEEEPS6_SG_NS0_5tupleIJSF_S6_EEENSH_IJSG_SG_EEES6_PlJNSB_9not_fun_tI7is_trueIiEEEEEE10hipError_tPvRmT3_T4_T5_T6_T7_T9_mT8_P12ihipStream_tbDpT10_ENKUlT_T0_E_clISt17integral_constantIbLb0EES17_IbLb1EEEEDaS13_S14_EUlS13_E_NS1_11comp_targetILNS1_3genE4ELNS1_11target_archE910ELNS1_3gpuE8ELNS1_3repE0EEENS1_30default_config_static_selectorELNS0_4arch9wavefront6targetE0EEEvT1_,comdat
	.protected	_ZN7rocprim17ROCPRIM_400000_NS6detail17trampoline_kernelINS0_14default_configENS1_25partition_config_selectorILNS1_17partition_subalgoE6EiNS0_10empty_typeEbEEZZNS1_14partition_implILS5_6ELb0ES3_mN6thrust23THRUST_200600_302600_NS6detail15normal_iteratorINSA_10device_ptrIiEEEEPS6_SG_NS0_5tupleIJSF_S6_EEENSH_IJSG_SG_EEES6_PlJNSB_9not_fun_tI7is_trueIiEEEEEE10hipError_tPvRmT3_T4_T5_T6_T7_T9_mT8_P12ihipStream_tbDpT10_ENKUlT_T0_E_clISt17integral_constantIbLb0EES17_IbLb1EEEEDaS13_S14_EUlS13_E_NS1_11comp_targetILNS1_3genE4ELNS1_11target_archE910ELNS1_3gpuE8ELNS1_3repE0EEENS1_30default_config_static_selectorELNS0_4arch9wavefront6targetE0EEEvT1_ ; -- Begin function _ZN7rocprim17ROCPRIM_400000_NS6detail17trampoline_kernelINS0_14default_configENS1_25partition_config_selectorILNS1_17partition_subalgoE6EiNS0_10empty_typeEbEEZZNS1_14partition_implILS5_6ELb0ES3_mN6thrust23THRUST_200600_302600_NS6detail15normal_iteratorINSA_10device_ptrIiEEEEPS6_SG_NS0_5tupleIJSF_S6_EEENSH_IJSG_SG_EEES6_PlJNSB_9not_fun_tI7is_trueIiEEEEEE10hipError_tPvRmT3_T4_T5_T6_T7_T9_mT8_P12ihipStream_tbDpT10_ENKUlT_T0_E_clISt17integral_constantIbLb0EES17_IbLb1EEEEDaS13_S14_EUlS13_E_NS1_11comp_targetILNS1_3genE4ELNS1_11target_archE910ELNS1_3gpuE8ELNS1_3repE0EEENS1_30default_config_static_selectorELNS0_4arch9wavefront6targetE0EEEvT1_
	.globl	_ZN7rocprim17ROCPRIM_400000_NS6detail17trampoline_kernelINS0_14default_configENS1_25partition_config_selectorILNS1_17partition_subalgoE6EiNS0_10empty_typeEbEEZZNS1_14partition_implILS5_6ELb0ES3_mN6thrust23THRUST_200600_302600_NS6detail15normal_iteratorINSA_10device_ptrIiEEEEPS6_SG_NS0_5tupleIJSF_S6_EEENSH_IJSG_SG_EEES6_PlJNSB_9not_fun_tI7is_trueIiEEEEEE10hipError_tPvRmT3_T4_T5_T6_T7_T9_mT8_P12ihipStream_tbDpT10_ENKUlT_T0_E_clISt17integral_constantIbLb0EES17_IbLb1EEEEDaS13_S14_EUlS13_E_NS1_11comp_targetILNS1_3genE4ELNS1_11target_archE910ELNS1_3gpuE8ELNS1_3repE0EEENS1_30default_config_static_selectorELNS0_4arch9wavefront6targetE0EEEvT1_
	.p2align	8
	.type	_ZN7rocprim17ROCPRIM_400000_NS6detail17trampoline_kernelINS0_14default_configENS1_25partition_config_selectorILNS1_17partition_subalgoE6EiNS0_10empty_typeEbEEZZNS1_14partition_implILS5_6ELb0ES3_mN6thrust23THRUST_200600_302600_NS6detail15normal_iteratorINSA_10device_ptrIiEEEEPS6_SG_NS0_5tupleIJSF_S6_EEENSH_IJSG_SG_EEES6_PlJNSB_9not_fun_tI7is_trueIiEEEEEE10hipError_tPvRmT3_T4_T5_T6_T7_T9_mT8_P12ihipStream_tbDpT10_ENKUlT_T0_E_clISt17integral_constantIbLb0EES17_IbLb1EEEEDaS13_S14_EUlS13_E_NS1_11comp_targetILNS1_3genE4ELNS1_11target_archE910ELNS1_3gpuE8ELNS1_3repE0EEENS1_30default_config_static_selectorELNS0_4arch9wavefront6targetE0EEEvT1_,@function
_ZN7rocprim17ROCPRIM_400000_NS6detail17trampoline_kernelINS0_14default_configENS1_25partition_config_selectorILNS1_17partition_subalgoE6EiNS0_10empty_typeEbEEZZNS1_14partition_implILS5_6ELb0ES3_mN6thrust23THRUST_200600_302600_NS6detail15normal_iteratorINSA_10device_ptrIiEEEEPS6_SG_NS0_5tupleIJSF_S6_EEENSH_IJSG_SG_EEES6_PlJNSB_9not_fun_tI7is_trueIiEEEEEE10hipError_tPvRmT3_T4_T5_T6_T7_T9_mT8_P12ihipStream_tbDpT10_ENKUlT_T0_E_clISt17integral_constantIbLb0EES17_IbLb1EEEEDaS13_S14_EUlS13_E_NS1_11comp_targetILNS1_3genE4ELNS1_11target_archE910ELNS1_3gpuE8ELNS1_3repE0EEENS1_30default_config_static_selectorELNS0_4arch9wavefront6targetE0EEEvT1_: ; @_ZN7rocprim17ROCPRIM_400000_NS6detail17trampoline_kernelINS0_14default_configENS1_25partition_config_selectorILNS1_17partition_subalgoE6EiNS0_10empty_typeEbEEZZNS1_14partition_implILS5_6ELb0ES3_mN6thrust23THRUST_200600_302600_NS6detail15normal_iteratorINSA_10device_ptrIiEEEEPS6_SG_NS0_5tupleIJSF_S6_EEENSH_IJSG_SG_EEES6_PlJNSB_9not_fun_tI7is_trueIiEEEEEE10hipError_tPvRmT3_T4_T5_T6_T7_T9_mT8_P12ihipStream_tbDpT10_ENKUlT_T0_E_clISt17integral_constantIbLb0EES17_IbLb1EEEEDaS13_S14_EUlS13_E_NS1_11comp_targetILNS1_3genE4ELNS1_11target_archE910ELNS1_3gpuE8ELNS1_3repE0EEENS1_30default_config_static_selectorELNS0_4arch9wavefront6targetE0EEEvT1_
; %bb.0:
	.section	.rodata,"a",@progbits
	.p2align	6, 0x0
	.amdhsa_kernel _ZN7rocprim17ROCPRIM_400000_NS6detail17trampoline_kernelINS0_14default_configENS1_25partition_config_selectorILNS1_17partition_subalgoE6EiNS0_10empty_typeEbEEZZNS1_14partition_implILS5_6ELb0ES3_mN6thrust23THRUST_200600_302600_NS6detail15normal_iteratorINSA_10device_ptrIiEEEEPS6_SG_NS0_5tupleIJSF_S6_EEENSH_IJSG_SG_EEES6_PlJNSB_9not_fun_tI7is_trueIiEEEEEE10hipError_tPvRmT3_T4_T5_T6_T7_T9_mT8_P12ihipStream_tbDpT10_ENKUlT_T0_E_clISt17integral_constantIbLb0EES17_IbLb1EEEEDaS13_S14_EUlS13_E_NS1_11comp_targetILNS1_3genE4ELNS1_11target_archE910ELNS1_3gpuE8ELNS1_3repE0EEENS1_30default_config_static_selectorELNS0_4arch9wavefront6targetE0EEEvT1_
		.amdhsa_group_segment_fixed_size 0
		.amdhsa_private_segment_fixed_size 0
		.amdhsa_kernarg_size 128
		.amdhsa_user_sgpr_count 2
		.amdhsa_user_sgpr_dispatch_ptr 0
		.amdhsa_user_sgpr_queue_ptr 0
		.amdhsa_user_sgpr_kernarg_segment_ptr 1
		.amdhsa_user_sgpr_dispatch_id 0
		.amdhsa_user_sgpr_private_segment_size 0
		.amdhsa_wavefront_size32 1
		.amdhsa_uses_dynamic_stack 0
		.amdhsa_enable_private_segment 0
		.amdhsa_system_sgpr_workgroup_id_x 1
		.amdhsa_system_sgpr_workgroup_id_y 0
		.amdhsa_system_sgpr_workgroup_id_z 0
		.amdhsa_system_sgpr_workgroup_info 0
		.amdhsa_system_vgpr_workitem_id 0
		.amdhsa_next_free_vgpr 1
		.amdhsa_next_free_sgpr 1
		.amdhsa_reserve_vcc 0
		.amdhsa_float_round_mode_32 0
		.amdhsa_float_round_mode_16_64 0
		.amdhsa_float_denorm_mode_32 3
		.amdhsa_float_denorm_mode_16_64 3
		.amdhsa_fp16_overflow 0
		.amdhsa_workgroup_processor_mode 1
		.amdhsa_memory_ordered 1
		.amdhsa_forward_progress 1
		.amdhsa_inst_pref_size 0
		.amdhsa_round_robin_scheduling 0
		.amdhsa_exception_fp_ieee_invalid_op 0
		.amdhsa_exception_fp_denorm_src 0
		.amdhsa_exception_fp_ieee_div_zero 0
		.amdhsa_exception_fp_ieee_overflow 0
		.amdhsa_exception_fp_ieee_underflow 0
		.amdhsa_exception_fp_ieee_inexact 0
		.amdhsa_exception_int_div_zero 0
	.end_amdhsa_kernel
	.section	.text._ZN7rocprim17ROCPRIM_400000_NS6detail17trampoline_kernelINS0_14default_configENS1_25partition_config_selectorILNS1_17partition_subalgoE6EiNS0_10empty_typeEbEEZZNS1_14partition_implILS5_6ELb0ES3_mN6thrust23THRUST_200600_302600_NS6detail15normal_iteratorINSA_10device_ptrIiEEEEPS6_SG_NS0_5tupleIJSF_S6_EEENSH_IJSG_SG_EEES6_PlJNSB_9not_fun_tI7is_trueIiEEEEEE10hipError_tPvRmT3_T4_T5_T6_T7_T9_mT8_P12ihipStream_tbDpT10_ENKUlT_T0_E_clISt17integral_constantIbLb0EES17_IbLb1EEEEDaS13_S14_EUlS13_E_NS1_11comp_targetILNS1_3genE4ELNS1_11target_archE910ELNS1_3gpuE8ELNS1_3repE0EEENS1_30default_config_static_selectorELNS0_4arch9wavefront6targetE0EEEvT1_,"axG",@progbits,_ZN7rocprim17ROCPRIM_400000_NS6detail17trampoline_kernelINS0_14default_configENS1_25partition_config_selectorILNS1_17partition_subalgoE6EiNS0_10empty_typeEbEEZZNS1_14partition_implILS5_6ELb0ES3_mN6thrust23THRUST_200600_302600_NS6detail15normal_iteratorINSA_10device_ptrIiEEEEPS6_SG_NS0_5tupleIJSF_S6_EEENSH_IJSG_SG_EEES6_PlJNSB_9not_fun_tI7is_trueIiEEEEEE10hipError_tPvRmT3_T4_T5_T6_T7_T9_mT8_P12ihipStream_tbDpT10_ENKUlT_T0_E_clISt17integral_constantIbLb0EES17_IbLb1EEEEDaS13_S14_EUlS13_E_NS1_11comp_targetILNS1_3genE4ELNS1_11target_archE910ELNS1_3gpuE8ELNS1_3repE0EEENS1_30default_config_static_selectorELNS0_4arch9wavefront6targetE0EEEvT1_,comdat
.Lfunc_end1263:
	.size	_ZN7rocprim17ROCPRIM_400000_NS6detail17trampoline_kernelINS0_14default_configENS1_25partition_config_selectorILNS1_17partition_subalgoE6EiNS0_10empty_typeEbEEZZNS1_14partition_implILS5_6ELb0ES3_mN6thrust23THRUST_200600_302600_NS6detail15normal_iteratorINSA_10device_ptrIiEEEEPS6_SG_NS0_5tupleIJSF_S6_EEENSH_IJSG_SG_EEES6_PlJNSB_9not_fun_tI7is_trueIiEEEEEE10hipError_tPvRmT3_T4_T5_T6_T7_T9_mT8_P12ihipStream_tbDpT10_ENKUlT_T0_E_clISt17integral_constantIbLb0EES17_IbLb1EEEEDaS13_S14_EUlS13_E_NS1_11comp_targetILNS1_3genE4ELNS1_11target_archE910ELNS1_3gpuE8ELNS1_3repE0EEENS1_30default_config_static_selectorELNS0_4arch9wavefront6targetE0EEEvT1_, .Lfunc_end1263-_ZN7rocprim17ROCPRIM_400000_NS6detail17trampoline_kernelINS0_14default_configENS1_25partition_config_selectorILNS1_17partition_subalgoE6EiNS0_10empty_typeEbEEZZNS1_14partition_implILS5_6ELb0ES3_mN6thrust23THRUST_200600_302600_NS6detail15normal_iteratorINSA_10device_ptrIiEEEEPS6_SG_NS0_5tupleIJSF_S6_EEENSH_IJSG_SG_EEES6_PlJNSB_9not_fun_tI7is_trueIiEEEEEE10hipError_tPvRmT3_T4_T5_T6_T7_T9_mT8_P12ihipStream_tbDpT10_ENKUlT_T0_E_clISt17integral_constantIbLb0EES17_IbLb1EEEEDaS13_S14_EUlS13_E_NS1_11comp_targetILNS1_3genE4ELNS1_11target_archE910ELNS1_3gpuE8ELNS1_3repE0EEENS1_30default_config_static_selectorELNS0_4arch9wavefront6targetE0EEEvT1_
                                        ; -- End function
	.set _ZN7rocprim17ROCPRIM_400000_NS6detail17trampoline_kernelINS0_14default_configENS1_25partition_config_selectorILNS1_17partition_subalgoE6EiNS0_10empty_typeEbEEZZNS1_14partition_implILS5_6ELb0ES3_mN6thrust23THRUST_200600_302600_NS6detail15normal_iteratorINSA_10device_ptrIiEEEEPS6_SG_NS0_5tupleIJSF_S6_EEENSH_IJSG_SG_EEES6_PlJNSB_9not_fun_tI7is_trueIiEEEEEE10hipError_tPvRmT3_T4_T5_T6_T7_T9_mT8_P12ihipStream_tbDpT10_ENKUlT_T0_E_clISt17integral_constantIbLb0EES17_IbLb1EEEEDaS13_S14_EUlS13_E_NS1_11comp_targetILNS1_3genE4ELNS1_11target_archE910ELNS1_3gpuE8ELNS1_3repE0EEENS1_30default_config_static_selectorELNS0_4arch9wavefront6targetE0EEEvT1_.num_vgpr, 0
	.set _ZN7rocprim17ROCPRIM_400000_NS6detail17trampoline_kernelINS0_14default_configENS1_25partition_config_selectorILNS1_17partition_subalgoE6EiNS0_10empty_typeEbEEZZNS1_14partition_implILS5_6ELb0ES3_mN6thrust23THRUST_200600_302600_NS6detail15normal_iteratorINSA_10device_ptrIiEEEEPS6_SG_NS0_5tupleIJSF_S6_EEENSH_IJSG_SG_EEES6_PlJNSB_9not_fun_tI7is_trueIiEEEEEE10hipError_tPvRmT3_T4_T5_T6_T7_T9_mT8_P12ihipStream_tbDpT10_ENKUlT_T0_E_clISt17integral_constantIbLb0EES17_IbLb1EEEEDaS13_S14_EUlS13_E_NS1_11comp_targetILNS1_3genE4ELNS1_11target_archE910ELNS1_3gpuE8ELNS1_3repE0EEENS1_30default_config_static_selectorELNS0_4arch9wavefront6targetE0EEEvT1_.num_agpr, 0
	.set _ZN7rocprim17ROCPRIM_400000_NS6detail17trampoline_kernelINS0_14default_configENS1_25partition_config_selectorILNS1_17partition_subalgoE6EiNS0_10empty_typeEbEEZZNS1_14partition_implILS5_6ELb0ES3_mN6thrust23THRUST_200600_302600_NS6detail15normal_iteratorINSA_10device_ptrIiEEEEPS6_SG_NS0_5tupleIJSF_S6_EEENSH_IJSG_SG_EEES6_PlJNSB_9not_fun_tI7is_trueIiEEEEEE10hipError_tPvRmT3_T4_T5_T6_T7_T9_mT8_P12ihipStream_tbDpT10_ENKUlT_T0_E_clISt17integral_constantIbLb0EES17_IbLb1EEEEDaS13_S14_EUlS13_E_NS1_11comp_targetILNS1_3genE4ELNS1_11target_archE910ELNS1_3gpuE8ELNS1_3repE0EEENS1_30default_config_static_selectorELNS0_4arch9wavefront6targetE0EEEvT1_.numbered_sgpr, 0
	.set _ZN7rocprim17ROCPRIM_400000_NS6detail17trampoline_kernelINS0_14default_configENS1_25partition_config_selectorILNS1_17partition_subalgoE6EiNS0_10empty_typeEbEEZZNS1_14partition_implILS5_6ELb0ES3_mN6thrust23THRUST_200600_302600_NS6detail15normal_iteratorINSA_10device_ptrIiEEEEPS6_SG_NS0_5tupleIJSF_S6_EEENSH_IJSG_SG_EEES6_PlJNSB_9not_fun_tI7is_trueIiEEEEEE10hipError_tPvRmT3_T4_T5_T6_T7_T9_mT8_P12ihipStream_tbDpT10_ENKUlT_T0_E_clISt17integral_constantIbLb0EES17_IbLb1EEEEDaS13_S14_EUlS13_E_NS1_11comp_targetILNS1_3genE4ELNS1_11target_archE910ELNS1_3gpuE8ELNS1_3repE0EEENS1_30default_config_static_selectorELNS0_4arch9wavefront6targetE0EEEvT1_.num_named_barrier, 0
	.set _ZN7rocprim17ROCPRIM_400000_NS6detail17trampoline_kernelINS0_14default_configENS1_25partition_config_selectorILNS1_17partition_subalgoE6EiNS0_10empty_typeEbEEZZNS1_14partition_implILS5_6ELb0ES3_mN6thrust23THRUST_200600_302600_NS6detail15normal_iteratorINSA_10device_ptrIiEEEEPS6_SG_NS0_5tupleIJSF_S6_EEENSH_IJSG_SG_EEES6_PlJNSB_9not_fun_tI7is_trueIiEEEEEE10hipError_tPvRmT3_T4_T5_T6_T7_T9_mT8_P12ihipStream_tbDpT10_ENKUlT_T0_E_clISt17integral_constantIbLb0EES17_IbLb1EEEEDaS13_S14_EUlS13_E_NS1_11comp_targetILNS1_3genE4ELNS1_11target_archE910ELNS1_3gpuE8ELNS1_3repE0EEENS1_30default_config_static_selectorELNS0_4arch9wavefront6targetE0EEEvT1_.private_seg_size, 0
	.set _ZN7rocprim17ROCPRIM_400000_NS6detail17trampoline_kernelINS0_14default_configENS1_25partition_config_selectorILNS1_17partition_subalgoE6EiNS0_10empty_typeEbEEZZNS1_14partition_implILS5_6ELb0ES3_mN6thrust23THRUST_200600_302600_NS6detail15normal_iteratorINSA_10device_ptrIiEEEEPS6_SG_NS0_5tupleIJSF_S6_EEENSH_IJSG_SG_EEES6_PlJNSB_9not_fun_tI7is_trueIiEEEEEE10hipError_tPvRmT3_T4_T5_T6_T7_T9_mT8_P12ihipStream_tbDpT10_ENKUlT_T0_E_clISt17integral_constantIbLb0EES17_IbLb1EEEEDaS13_S14_EUlS13_E_NS1_11comp_targetILNS1_3genE4ELNS1_11target_archE910ELNS1_3gpuE8ELNS1_3repE0EEENS1_30default_config_static_selectorELNS0_4arch9wavefront6targetE0EEEvT1_.uses_vcc, 0
	.set _ZN7rocprim17ROCPRIM_400000_NS6detail17trampoline_kernelINS0_14default_configENS1_25partition_config_selectorILNS1_17partition_subalgoE6EiNS0_10empty_typeEbEEZZNS1_14partition_implILS5_6ELb0ES3_mN6thrust23THRUST_200600_302600_NS6detail15normal_iteratorINSA_10device_ptrIiEEEEPS6_SG_NS0_5tupleIJSF_S6_EEENSH_IJSG_SG_EEES6_PlJNSB_9not_fun_tI7is_trueIiEEEEEE10hipError_tPvRmT3_T4_T5_T6_T7_T9_mT8_P12ihipStream_tbDpT10_ENKUlT_T0_E_clISt17integral_constantIbLb0EES17_IbLb1EEEEDaS13_S14_EUlS13_E_NS1_11comp_targetILNS1_3genE4ELNS1_11target_archE910ELNS1_3gpuE8ELNS1_3repE0EEENS1_30default_config_static_selectorELNS0_4arch9wavefront6targetE0EEEvT1_.uses_flat_scratch, 0
	.set _ZN7rocprim17ROCPRIM_400000_NS6detail17trampoline_kernelINS0_14default_configENS1_25partition_config_selectorILNS1_17partition_subalgoE6EiNS0_10empty_typeEbEEZZNS1_14partition_implILS5_6ELb0ES3_mN6thrust23THRUST_200600_302600_NS6detail15normal_iteratorINSA_10device_ptrIiEEEEPS6_SG_NS0_5tupleIJSF_S6_EEENSH_IJSG_SG_EEES6_PlJNSB_9not_fun_tI7is_trueIiEEEEEE10hipError_tPvRmT3_T4_T5_T6_T7_T9_mT8_P12ihipStream_tbDpT10_ENKUlT_T0_E_clISt17integral_constantIbLb0EES17_IbLb1EEEEDaS13_S14_EUlS13_E_NS1_11comp_targetILNS1_3genE4ELNS1_11target_archE910ELNS1_3gpuE8ELNS1_3repE0EEENS1_30default_config_static_selectorELNS0_4arch9wavefront6targetE0EEEvT1_.has_dyn_sized_stack, 0
	.set _ZN7rocprim17ROCPRIM_400000_NS6detail17trampoline_kernelINS0_14default_configENS1_25partition_config_selectorILNS1_17partition_subalgoE6EiNS0_10empty_typeEbEEZZNS1_14partition_implILS5_6ELb0ES3_mN6thrust23THRUST_200600_302600_NS6detail15normal_iteratorINSA_10device_ptrIiEEEEPS6_SG_NS0_5tupleIJSF_S6_EEENSH_IJSG_SG_EEES6_PlJNSB_9not_fun_tI7is_trueIiEEEEEE10hipError_tPvRmT3_T4_T5_T6_T7_T9_mT8_P12ihipStream_tbDpT10_ENKUlT_T0_E_clISt17integral_constantIbLb0EES17_IbLb1EEEEDaS13_S14_EUlS13_E_NS1_11comp_targetILNS1_3genE4ELNS1_11target_archE910ELNS1_3gpuE8ELNS1_3repE0EEENS1_30default_config_static_selectorELNS0_4arch9wavefront6targetE0EEEvT1_.has_recursion, 0
	.set _ZN7rocprim17ROCPRIM_400000_NS6detail17trampoline_kernelINS0_14default_configENS1_25partition_config_selectorILNS1_17partition_subalgoE6EiNS0_10empty_typeEbEEZZNS1_14partition_implILS5_6ELb0ES3_mN6thrust23THRUST_200600_302600_NS6detail15normal_iteratorINSA_10device_ptrIiEEEEPS6_SG_NS0_5tupleIJSF_S6_EEENSH_IJSG_SG_EEES6_PlJNSB_9not_fun_tI7is_trueIiEEEEEE10hipError_tPvRmT3_T4_T5_T6_T7_T9_mT8_P12ihipStream_tbDpT10_ENKUlT_T0_E_clISt17integral_constantIbLb0EES17_IbLb1EEEEDaS13_S14_EUlS13_E_NS1_11comp_targetILNS1_3genE4ELNS1_11target_archE910ELNS1_3gpuE8ELNS1_3repE0EEENS1_30default_config_static_selectorELNS0_4arch9wavefront6targetE0EEEvT1_.has_indirect_call, 0
	.section	.AMDGPU.csdata,"",@progbits
; Kernel info:
; codeLenInByte = 0
; TotalNumSgprs: 0
; NumVgprs: 0
; ScratchSize: 0
; MemoryBound: 0
; FloatMode: 240
; IeeeMode: 1
; LDSByteSize: 0 bytes/workgroup (compile time only)
; SGPRBlocks: 0
; VGPRBlocks: 0
; NumSGPRsForWavesPerEU: 1
; NumVGPRsForWavesPerEU: 1
; Occupancy: 16
; WaveLimiterHint : 0
; COMPUTE_PGM_RSRC2:SCRATCH_EN: 0
; COMPUTE_PGM_RSRC2:USER_SGPR: 2
; COMPUTE_PGM_RSRC2:TRAP_HANDLER: 0
; COMPUTE_PGM_RSRC2:TGID_X_EN: 1
; COMPUTE_PGM_RSRC2:TGID_Y_EN: 0
; COMPUTE_PGM_RSRC2:TGID_Z_EN: 0
; COMPUTE_PGM_RSRC2:TIDIG_COMP_CNT: 0
	.section	.text._ZN7rocprim17ROCPRIM_400000_NS6detail17trampoline_kernelINS0_14default_configENS1_25partition_config_selectorILNS1_17partition_subalgoE6EiNS0_10empty_typeEbEEZZNS1_14partition_implILS5_6ELb0ES3_mN6thrust23THRUST_200600_302600_NS6detail15normal_iteratorINSA_10device_ptrIiEEEEPS6_SG_NS0_5tupleIJSF_S6_EEENSH_IJSG_SG_EEES6_PlJNSB_9not_fun_tI7is_trueIiEEEEEE10hipError_tPvRmT3_T4_T5_T6_T7_T9_mT8_P12ihipStream_tbDpT10_ENKUlT_T0_E_clISt17integral_constantIbLb0EES17_IbLb1EEEEDaS13_S14_EUlS13_E_NS1_11comp_targetILNS1_3genE3ELNS1_11target_archE908ELNS1_3gpuE7ELNS1_3repE0EEENS1_30default_config_static_selectorELNS0_4arch9wavefront6targetE0EEEvT1_,"axG",@progbits,_ZN7rocprim17ROCPRIM_400000_NS6detail17trampoline_kernelINS0_14default_configENS1_25partition_config_selectorILNS1_17partition_subalgoE6EiNS0_10empty_typeEbEEZZNS1_14partition_implILS5_6ELb0ES3_mN6thrust23THRUST_200600_302600_NS6detail15normal_iteratorINSA_10device_ptrIiEEEEPS6_SG_NS0_5tupleIJSF_S6_EEENSH_IJSG_SG_EEES6_PlJNSB_9not_fun_tI7is_trueIiEEEEEE10hipError_tPvRmT3_T4_T5_T6_T7_T9_mT8_P12ihipStream_tbDpT10_ENKUlT_T0_E_clISt17integral_constantIbLb0EES17_IbLb1EEEEDaS13_S14_EUlS13_E_NS1_11comp_targetILNS1_3genE3ELNS1_11target_archE908ELNS1_3gpuE7ELNS1_3repE0EEENS1_30default_config_static_selectorELNS0_4arch9wavefront6targetE0EEEvT1_,comdat
	.protected	_ZN7rocprim17ROCPRIM_400000_NS6detail17trampoline_kernelINS0_14default_configENS1_25partition_config_selectorILNS1_17partition_subalgoE6EiNS0_10empty_typeEbEEZZNS1_14partition_implILS5_6ELb0ES3_mN6thrust23THRUST_200600_302600_NS6detail15normal_iteratorINSA_10device_ptrIiEEEEPS6_SG_NS0_5tupleIJSF_S6_EEENSH_IJSG_SG_EEES6_PlJNSB_9not_fun_tI7is_trueIiEEEEEE10hipError_tPvRmT3_T4_T5_T6_T7_T9_mT8_P12ihipStream_tbDpT10_ENKUlT_T0_E_clISt17integral_constantIbLb0EES17_IbLb1EEEEDaS13_S14_EUlS13_E_NS1_11comp_targetILNS1_3genE3ELNS1_11target_archE908ELNS1_3gpuE7ELNS1_3repE0EEENS1_30default_config_static_selectorELNS0_4arch9wavefront6targetE0EEEvT1_ ; -- Begin function _ZN7rocprim17ROCPRIM_400000_NS6detail17trampoline_kernelINS0_14default_configENS1_25partition_config_selectorILNS1_17partition_subalgoE6EiNS0_10empty_typeEbEEZZNS1_14partition_implILS5_6ELb0ES3_mN6thrust23THRUST_200600_302600_NS6detail15normal_iteratorINSA_10device_ptrIiEEEEPS6_SG_NS0_5tupleIJSF_S6_EEENSH_IJSG_SG_EEES6_PlJNSB_9not_fun_tI7is_trueIiEEEEEE10hipError_tPvRmT3_T4_T5_T6_T7_T9_mT8_P12ihipStream_tbDpT10_ENKUlT_T0_E_clISt17integral_constantIbLb0EES17_IbLb1EEEEDaS13_S14_EUlS13_E_NS1_11comp_targetILNS1_3genE3ELNS1_11target_archE908ELNS1_3gpuE7ELNS1_3repE0EEENS1_30default_config_static_selectorELNS0_4arch9wavefront6targetE0EEEvT1_
	.globl	_ZN7rocprim17ROCPRIM_400000_NS6detail17trampoline_kernelINS0_14default_configENS1_25partition_config_selectorILNS1_17partition_subalgoE6EiNS0_10empty_typeEbEEZZNS1_14partition_implILS5_6ELb0ES3_mN6thrust23THRUST_200600_302600_NS6detail15normal_iteratorINSA_10device_ptrIiEEEEPS6_SG_NS0_5tupleIJSF_S6_EEENSH_IJSG_SG_EEES6_PlJNSB_9not_fun_tI7is_trueIiEEEEEE10hipError_tPvRmT3_T4_T5_T6_T7_T9_mT8_P12ihipStream_tbDpT10_ENKUlT_T0_E_clISt17integral_constantIbLb0EES17_IbLb1EEEEDaS13_S14_EUlS13_E_NS1_11comp_targetILNS1_3genE3ELNS1_11target_archE908ELNS1_3gpuE7ELNS1_3repE0EEENS1_30default_config_static_selectorELNS0_4arch9wavefront6targetE0EEEvT1_
	.p2align	8
	.type	_ZN7rocprim17ROCPRIM_400000_NS6detail17trampoline_kernelINS0_14default_configENS1_25partition_config_selectorILNS1_17partition_subalgoE6EiNS0_10empty_typeEbEEZZNS1_14partition_implILS5_6ELb0ES3_mN6thrust23THRUST_200600_302600_NS6detail15normal_iteratorINSA_10device_ptrIiEEEEPS6_SG_NS0_5tupleIJSF_S6_EEENSH_IJSG_SG_EEES6_PlJNSB_9not_fun_tI7is_trueIiEEEEEE10hipError_tPvRmT3_T4_T5_T6_T7_T9_mT8_P12ihipStream_tbDpT10_ENKUlT_T0_E_clISt17integral_constantIbLb0EES17_IbLb1EEEEDaS13_S14_EUlS13_E_NS1_11comp_targetILNS1_3genE3ELNS1_11target_archE908ELNS1_3gpuE7ELNS1_3repE0EEENS1_30default_config_static_selectorELNS0_4arch9wavefront6targetE0EEEvT1_,@function
_ZN7rocprim17ROCPRIM_400000_NS6detail17trampoline_kernelINS0_14default_configENS1_25partition_config_selectorILNS1_17partition_subalgoE6EiNS0_10empty_typeEbEEZZNS1_14partition_implILS5_6ELb0ES3_mN6thrust23THRUST_200600_302600_NS6detail15normal_iteratorINSA_10device_ptrIiEEEEPS6_SG_NS0_5tupleIJSF_S6_EEENSH_IJSG_SG_EEES6_PlJNSB_9not_fun_tI7is_trueIiEEEEEE10hipError_tPvRmT3_T4_T5_T6_T7_T9_mT8_P12ihipStream_tbDpT10_ENKUlT_T0_E_clISt17integral_constantIbLb0EES17_IbLb1EEEEDaS13_S14_EUlS13_E_NS1_11comp_targetILNS1_3genE3ELNS1_11target_archE908ELNS1_3gpuE7ELNS1_3repE0EEENS1_30default_config_static_selectorELNS0_4arch9wavefront6targetE0EEEvT1_: ; @_ZN7rocprim17ROCPRIM_400000_NS6detail17trampoline_kernelINS0_14default_configENS1_25partition_config_selectorILNS1_17partition_subalgoE6EiNS0_10empty_typeEbEEZZNS1_14partition_implILS5_6ELb0ES3_mN6thrust23THRUST_200600_302600_NS6detail15normal_iteratorINSA_10device_ptrIiEEEEPS6_SG_NS0_5tupleIJSF_S6_EEENSH_IJSG_SG_EEES6_PlJNSB_9not_fun_tI7is_trueIiEEEEEE10hipError_tPvRmT3_T4_T5_T6_T7_T9_mT8_P12ihipStream_tbDpT10_ENKUlT_T0_E_clISt17integral_constantIbLb0EES17_IbLb1EEEEDaS13_S14_EUlS13_E_NS1_11comp_targetILNS1_3genE3ELNS1_11target_archE908ELNS1_3gpuE7ELNS1_3repE0EEENS1_30default_config_static_selectorELNS0_4arch9wavefront6targetE0EEEvT1_
; %bb.0:
	.section	.rodata,"a",@progbits
	.p2align	6, 0x0
	.amdhsa_kernel _ZN7rocprim17ROCPRIM_400000_NS6detail17trampoline_kernelINS0_14default_configENS1_25partition_config_selectorILNS1_17partition_subalgoE6EiNS0_10empty_typeEbEEZZNS1_14partition_implILS5_6ELb0ES3_mN6thrust23THRUST_200600_302600_NS6detail15normal_iteratorINSA_10device_ptrIiEEEEPS6_SG_NS0_5tupleIJSF_S6_EEENSH_IJSG_SG_EEES6_PlJNSB_9not_fun_tI7is_trueIiEEEEEE10hipError_tPvRmT3_T4_T5_T6_T7_T9_mT8_P12ihipStream_tbDpT10_ENKUlT_T0_E_clISt17integral_constantIbLb0EES17_IbLb1EEEEDaS13_S14_EUlS13_E_NS1_11comp_targetILNS1_3genE3ELNS1_11target_archE908ELNS1_3gpuE7ELNS1_3repE0EEENS1_30default_config_static_selectorELNS0_4arch9wavefront6targetE0EEEvT1_
		.amdhsa_group_segment_fixed_size 0
		.amdhsa_private_segment_fixed_size 0
		.amdhsa_kernarg_size 128
		.amdhsa_user_sgpr_count 2
		.amdhsa_user_sgpr_dispatch_ptr 0
		.amdhsa_user_sgpr_queue_ptr 0
		.amdhsa_user_sgpr_kernarg_segment_ptr 1
		.amdhsa_user_sgpr_dispatch_id 0
		.amdhsa_user_sgpr_private_segment_size 0
		.amdhsa_wavefront_size32 1
		.amdhsa_uses_dynamic_stack 0
		.amdhsa_enable_private_segment 0
		.amdhsa_system_sgpr_workgroup_id_x 1
		.amdhsa_system_sgpr_workgroup_id_y 0
		.amdhsa_system_sgpr_workgroup_id_z 0
		.amdhsa_system_sgpr_workgroup_info 0
		.amdhsa_system_vgpr_workitem_id 0
		.amdhsa_next_free_vgpr 1
		.amdhsa_next_free_sgpr 1
		.amdhsa_reserve_vcc 0
		.amdhsa_float_round_mode_32 0
		.amdhsa_float_round_mode_16_64 0
		.amdhsa_float_denorm_mode_32 3
		.amdhsa_float_denorm_mode_16_64 3
		.amdhsa_fp16_overflow 0
		.amdhsa_workgroup_processor_mode 1
		.amdhsa_memory_ordered 1
		.amdhsa_forward_progress 1
		.amdhsa_inst_pref_size 0
		.amdhsa_round_robin_scheduling 0
		.amdhsa_exception_fp_ieee_invalid_op 0
		.amdhsa_exception_fp_denorm_src 0
		.amdhsa_exception_fp_ieee_div_zero 0
		.amdhsa_exception_fp_ieee_overflow 0
		.amdhsa_exception_fp_ieee_underflow 0
		.amdhsa_exception_fp_ieee_inexact 0
		.amdhsa_exception_int_div_zero 0
	.end_amdhsa_kernel
	.section	.text._ZN7rocprim17ROCPRIM_400000_NS6detail17trampoline_kernelINS0_14default_configENS1_25partition_config_selectorILNS1_17partition_subalgoE6EiNS0_10empty_typeEbEEZZNS1_14partition_implILS5_6ELb0ES3_mN6thrust23THRUST_200600_302600_NS6detail15normal_iteratorINSA_10device_ptrIiEEEEPS6_SG_NS0_5tupleIJSF_S6_EEENSH_IJSG_SG_EEES6_PlJNSB_9not_fun_tI7is_trueIiEEEEEE10hipError_tPvRmT3_T4_T5_T6_T7_T9_mT8_P12ihipStream_tbDpT10_ENKUlT_T0_E_clISt17integral_constantIbLb0EES17_IbLb1EEEEDaS13_S14_EUlS13_E_NS1_11comp_targetILNS1_3genE3ELNS1_11target_archE908ELNS1_3gpuE7ELNS1_3repE0EEENS1_30default_config_static_selectorELNS0_4arch9wavefront6targetE0EEEvT1_,"axG",@progbits,_ZN7rocprim17ROCPRIM_400000_NS6detail17trampoline_kernelINS0_14default_configENS1_25partition_config_selectorILNS1_17partition_subalgoE6EiNS0_10empty_typeEbEEZZNS1_14partition_implILS5_6ELb0ES3_mN6thrust23THRUST_200600_302600_NS6detail15normal_iteratorINSA_10device_ptrIiEEEEPS6_SG_NS0_5tupleIJSF_S6_EEENSH_IJSG_SG_EEES6_PlJNSB_9not_fun_tI7is_trueIiEEEEEE10hipError_tPvRmT3_T4_T5_T6_T7_T9_mT8_P12ihipStream_tbDpT10_ENKUlT_T0_E_clISt17integral_constantIbLb0EES17_IbLb1EEEEDaS13_S14_EUlS13_E_NS1_11comp_targetILNS1_3genE3ELNS1_11target_archE908ELNS1_3gpuE7ELNS1_3repE0EEENS1_30default_config_static_selectorELNS0_4arch9wavefront6targetE0EEEvT1_,comdat
.Lfunc_end1264:
	.size	_ZN7rocprim17ROCPRIM_400000_NS6detail17trampoline_kernelINS0_14default_configENS1_25partition_config_selectorILNS1_17partition_subalgoE6EiNS0_10empty_typeEbEEZZNS1_14partition_implILS5_6ELb0ES3_mN6thrust23THRUST_200600_302600_NS6detail15normal_iteratorINSA_10device_ptrIiEEEEPS6_SG_NS0_5tupleIJSF_S6_EEENSH_IJSG_SG_EEES6_PlJNSB_9not_fun_tI7is_trueIiEEEEEE10hipError_tPvRmT3_T4_T5_T6_T7_T9_mT8_P12ihipStream_tbDpT10_ENKUlT_T0_E_clISt17integral_constantIbLb0EES17_IbLb1EEEEDaS13_S14_EUlS13_E_NS1_11comp_targetILNS1_3genE3ELNS1_11target_archE908ELNS1_3gpuE7ELNS1_3repE0EEENS1_30default_config_static_selectorELNS0_4arch9wavefront6targetE0EEEvT1_, .Lfunc_end1264-_ZN7rocprim17ROCPRIM_400000_NS6detail17trampoline_kernelINS0_14default_configENS1_25partition_config_selectorILNS1_17partition_subalgoE6EiNS0_10empty_typeEbEEZZNS1_14partition_implILS5_6ELb0ES3_mN6thrust23THRUST_200600_302600_NS6detail15normal_iteratorINSA_10device_ptrIiEEEEPS6_SG_NS0_5tupleIJSF_S6_EEENSH_IJSG_SG_EEES6_PlJNSB_9not_fun_tI7is_trueIiEEEEEE10hipError_tPvRmT3_T4_T5_T6_T7_T9_mT8_P12ihipStream_tbDpT10_ENKUlT_T0_E_clISt17integral_constantIbLb0EES17_IbLb1EEEEDaS13_S14_EUlS13_E_NS1_11comp_targetILNS1_3genE3ELNS1_11target_archE908ELNS1_3gpuE7ELNS1_3repE0EEENS1_30default_config_static_selectorELNS0_4arch9wavefront6targetE0EEEvT1_
                                        ; -- End function
	.set _ZN7rocprim17ROCPRIM_400000_NS6detail17trampoline_kernelINS0_14default_configENS1_25partition_config_selectorILNS1_17partition_subalgoE6EiNS0_10empty_typeEbEEZZNS1_14partition_implILS5_6ELb0ES3_mN6thrust23THRUST_200600_302600_NS6detail15normal_iteratorINSA_10device_ptrIiEEEEPS6_SG_NS0_5tupleIJSF_S6_EEENSH_IJSG_SG_EEES6_PlJNSB_9not_fun_tI7is_trueIiEEEEEE10hipError_tPvRmT3_T4_T5_T6_T7_T9_mT8_P12ihipStream_tbDpT10_ENKUlT_T0_E_clISt17integral_constantIbLb0EES17_IbLb1EEEEDaS13_S14_EUlS13_E_NS1_11comp_targetILNS1_3genE3ELNS1_11target_archE908ELNS1_3gpuE7ELNS1_3repE0EEENS1_30default_config_static_selectorELNS0_4arch9wavefront6targetE0EEEvT1_.num_vgpr, 0
	.set _ZN7rocprim17ROCPRIM_400000_NS6detail17trampoline_kernelINS0_14default_configENS1_25partition_config_selectorILNS1_17partition_subalgoE6EiNS0_10empty_typeEbEEZZNS1_14partition_implILS5_6ELb0ES3_mN6thrust23THRUST_200600_302600_NS6detail15normal_iteratorINSA_10device_ptrIiEEEEPS6_SG_NS0_5tupleIJSF_S6_EEENSH_IJSG_SG_EEES6_PlJNSB_9not_fun_tI7is_trueIiEEEEEE10hipError_tPvRmT3_T4_T5_T6_T7_T9_mT8_P12ihipStream_tbDpT10_ENKUlT_T0_E_clISt17integral_constantIbLb0EES17_IbLb1EEEEDaS13_S14_EUlS13_E_NS1_11comp_targetILNS1_3genE3ELNS1_11target_archE908ELNS1_3gpuE7ELNS1_3repE0EEENS1_30default_config_static_selectorELNS0_4arch9wavefront6targetE0EEEvT1_.num_agpr, 0
	.set _ZN7rocprim17ROCPRIM_400000_NS6detail17trampoline_kernelINS0_14default_configENS1_25partition_config_selectorILNS1_17partition_subalgoE6EiNS0_10empty_typeEbEEZZNS1_14partition_implILS5_6ELb0ES3_mN6thrust23THRUST_200600_302600_NS6detail15normal_iteratorINSA_10device_ptrIiEEEEPS6_SG_NS0_5tupleIJSF_S6_EEENSH_IJSG_SG_EEES6_PlJNSB_9not_fun_tI7is_trueIiEEEEEE10hipError_tPvRmT3_T4_T5_T6_T7_T9_mT8_P12ihipStream_tbDpT10_ENKUlT_T0_E_clISt17integral_constantIbLb0EES17_IbLb1EEEEDaS13_S14_EUlS13_E_NS1_11comp_targetILNS1_3genE3ELNS1_11target_archE908ELNS1_3gpuE7ELNS1_3repE0EEENS1_30default_config_static_selectorELNS0_4arch9wavefront6targetE0EEEvT1_.numbered_sgpr, 0
	.set _ZN7rocprim17ROCPRIM_400000_NS6detail17trampoline_kernelINS0_14default_configENS1_25partition_config_selectorILNS1_17partition_subalgoE6EiNS0_10empty_typeEbEEZZNS1_14partition_implILS5_6ELb0ES3_mN6thrust23THRUST_200600_302600_NS6detail15normal_iteratorINSA_10device_ptrIiEEEEPS6_SG_NS0_5tupleIJSF_S6_EEENSH_IJSG_SG_EEES6_PlJNSB_9not_fun_tI7is_trueIiEEEEEE10hipError_tPvRmT3_T4_T5_T6_T7_T9_mT8_P12ihipStream_tbDpT10_ENKUlT_T0_E_clISt17integral_constantIbLb0EES17_IbLb1EEEEDaS13_S14_EUlS13_E_NS1_11comp_targetILNS1_3genE3ELNS1_11target_archE908ELNS1_3gpuE7ELNS1_3repE0EEENS1_30default_config_static_selectorELNS0_4arch9wavefront6targetE0EEEvT1_.num_named_barrier, 0
	.set _ZN7rocprim17ROCPRIM_400000_NS6detail17trampoline_kernelINS0_14default_configENS1_25partition_config_selectorILNS1_17partition_subalgoE6EiNS0_10empty_typeEbEEZZNS1_14partition_implILS5_6ELb0ES3_mN6thrust23THRUST_200600_302600_NS6detail15normal_iteratorINSA_10device_ptrIiEEEEPS6_SG_NS0_5tupleIJSF_S6_EEENSH_IJSG_SG_EEES6_PlJNSB_9not_fun_tI7is_trueIiEEEEEE10hipError_tPvRmT3_T4_T5_T6_T7_T9_mT8_P12ihipStream_tbDpT10_ENKUlT_T0_E_clISt17integral_constantIbLb0EES17_IbLb1EEEEDaS13_S14_EUlS13_E_NS1_11comp_targetILNS1_3genE3ELNS1_11target_archE908ELNS1_3gpuE7ELNS1_3repE0EEENS1_30default_config_static_selectorELNS0_4arch9wavefront6targetE0EEEvT1_.private_seg_size, 0
	.set _ZN7rocprim17ROCPRIM_400000_NS6detail17trampoline_kernelINS0_14default_configENS1_25partition_config_selectorILNS1_17partition_subalgoE6EiNS0_10empty_typeEbEEZZNS1_14partition_implILS5_6ELb0ES3_mN6thrust23THRUST_200600_302600_NS6detail15normal_iteratorINSA_10device_ptrIiEEEEPS6_SG_NS0_5tupleIJSF_S6_EEENSH_IJSG_SG_EEES6_PlJNSB_9not_fun_tI7is_trueIiEEEEEE10hipError_tPvRmT3_T4_T5_T6_T7_T9_mT8_P12ihipStream_tbDpT10_ENKUlT_T0_E_clISt17integral_constantIbLb0EES17_IbLb1EEEEDaS13_S14_EUlS13_E_NS1_11comp_targetILNS1_3genE3ELNS1_11target_archE908ELNS1_3gpuE7ELNS1_3repE0EEENS1_30default_config_static_selectorELNS0_4arch9wavefront6targetE0EEEvT1_.uses_vcc, 0
	.set _ZN7rocprim17ROCPRIM_400000_NS6detail17trampoline_kernelINS0_14default_configENS1_25partition_config_selectorILNS1_17partition_subalgoE6EiNS0_10empty_typeEbEEZZNS1_14partition_implILS5_6ELb0ES3_mN6thrust23THRUST_200600_302600_NS6detail15normal_iteratorINSA_10device_ptrIiEEEEPS6_SG_NS0_5tupleIJSF_S6_EEENSH_IJSG_SG_EEES6_PlJNSB_9not_fun_tI7is_trueIiEEEEEE10hipError_tPvRmT3_T4_T5_T6_T7_T9_mT8_P12ihipStream_tbDpT10_ENKUlT_T0_E_clISt17integral_constantIbLb0EES17_IbLb1EEEEDaS13_S14_EUlS13_E_NS1_11comp_targetILNS1_3genE3ELNS1_11target_archE908ELNS1_3gpuE7ELNS1_3repE0EEENS1_30default_config_static_selectorELNS0_4arch9wavefront6targetE0EEEvT1_.uses_flat_scratch, 0
	.set _ZN7rocprim17ROCPRIM_400000_NS6detail17trampoline_kernelINS0_14default_configENS1_25partition_config_selectorILNS1_17partition_subalgoE6EiNS0_10empty_typeEbEEZZNS1_14partition_implILS5_6ELb0ES3_mN6thrust23THRUST_200600_302600_NS6detail15normal_iteratorINSA_10device_ptrIiEEEEPS6_SG_NS0_5tupleIJSF_S6_EEENSH_IJSG_SG_EEES6_PlJNSB_9not_fun_tI7is_trueIiEEEEEE10hipError_tPvRmT3_T4_T5_T6_T7_T9_mT8_P12ihipStream_tbDpT10_ENKUlT_T0_E_clISt17integral_constantIbLb0EES17_IbLb1EEEEDaS13_S14_EUlS13_E_NS1_11comp_targetILNS1_3genE3ELNS1_11target_archE908ELNS1_3gpuE7ELNS1_3repE0EEENS1_30default_config_static_selectorELNS0_4arch9wavefront6targetE0EEEvT1_.has_dyn_sized_stack, 0
	.set _ZN7rocprim17ROCPRIM_400000_NS6detail17trampoline_kernelINS0_14default_configENS1_25partition_config_selectorILNS1_17partition_subalgoE6EiNS0_10empty_typeEbEEZZNS1_14partition_implILS5_6ELb0ES3_mN6thrust23THRUST_200600_302600_NS6detail15normal_iteratorINSA_10device_ptrIiEEEEPS6_SG_NS0_5tupleIJSF_S6_EEENSH_IJSG_SG_EEES6_PlJNSB_9not_fun_tI7is_trueIiEEEEEE10hipError_tPvRmT3_T4_T5_T6_T7_T9_mT8_P12ihipStream_tbDpT10_ENKUlT_T0_E_clISt17integral_constantIbLb0EES17_IbLb1EEEEDaS13_S14_EUlS13_E_NS1_11comp_targetILNS1_3genE3ELNS1_11target_archE908ELNS1_3gpuE7ELNS1_3repE0EEENS1_30default_config_static_selectorELNS0_4arch9wavefront6targetE0EEEvT1_.has_recursion, 0
	.set _ZN7rocprim17ROCPRIM_400000_NS6detail17trampoline_kernelINS0_14default_configENS1_25partition_config_selectorILNS1_17partition_subalgoE6EiNS0_10empty_typeEbEEZZNS1_14partition_implILS5_6ELb0ES3_mN6thrust23THRUST_200600_302600_NS6detail15normal_iteratorINSA_10device_ptrIiEEEEPS6_SG_NS0_5tupleIJSF_S6_EEENSH_IJSG_SG_EEES6_PlJNSB_9not_fun_tI7is_trueIiEEEEEE10hipError_tPvRmT3_T4_T5_T6_T7_T9_mT8_P12ihipStream_tbDpT10_ENKUlT_T0_E_clISt17integral_constantIbLb0EES17_IbLb1EEEEDaS13_S14_EUlS13_E_NS1_11comp_targetILNS1_3genE3ELNS1_11target_archE908ELNS1_3gpuE7ELNS1_3repE0EEENS1_30default_config_static_selectorELNS0_4arch9wavefront6targetE0EEEvT1_.has_indirect_call, 0
	.section	.AMDGPU.csdata,"",@progbits
; Kernel info:
; codeLenInByte = 0
; TotalNumSgprs: 0
; NumVgprs: 0
; ScratchSize: 0
; MemoryBound: 0
; FloatMode: 240
; IeeeMode: 1
; LDSByteSize: 0 bytes/workgroup (compile time only)
; SGPRBlocks: 0
; VGPRBlocks: 0
; NumSGPRsForWavesPerEU: 1
; NumVGPRsForWavesPerEU: 1
; Occupancy: 16
; WaveLimiterHint : 0
; COMPUTE_PGM_RSRC2:SCRATCH_EN: 0
; COMPUTE_PGM_RSRC2:USER_SGPR: 2
; COMPUTE_PGM_RSRC2:TRAP_HANDLER: 0
; COMPUTE_PGM_RSRC2:TGID_X_EN: 1
; COMPUTE_PGM_RSRC2:TGID_Y_EN: 0
; COMPUTE_PGM_RSRC2:TGID_Z_EN: 0
; COMPUTE_PGM_RSRC2:TIDIG_COMP_CNT: 0
	.section	.text._ZN7rocprim17ROCPRIM_400000_NS6detail17trampoline_kernelINS0_14default_configENS1_25partition_config_selectorILNS1_17partition_subalgoE6EiNS0_10empty_typeEbEEZZNS1_14partition_implILS5_6ELb0ES3_mN6thrust23THRUST_200600_302600_NS6detail15normal_iteratorINSA_10device_ptrIiEEEEPS6_SG_NS0_5tupleIJSF_S6_EEENSH_IJSG_SG_EEES6_PlJNSB_9not_fun_tI7is_trueIiEEEEEE10hipError_tPvRmT3_T4_T5_T6_T7_T9_mT8_P12ihipStream_tbDpT10_ENKUlT_T0_E_clISt17integral_constantIbLb0EES17_IbLb1EEEEDaS13_S14_EUlS13_E_NS1_11comp_targetILNS1_3genE2ELNS1_11target_archE906ELNS1_3gpuE6ELNS1_3repE0EEENS1_30default_config_static_selectorELNS0_4arch9wavefront6targetE0EEEvT1_,"axG",@progbits,_ZN7rocprim17ROCPRIM_400000_NS6detail17trampoline_kernelINS0_14default_configENS1_25partition_config_selectorILNS1_17partition_subalgoE6EiNS0_10empty_typeEbEEZZNS1_14partition_implILS5_6ELb0ES3_mN6thrust23THRUST_200600_302600_NS6detail15normal_iteratorINSA_10device_ptrIiEEEEPS6_SG_NS0_5tupleIJSF_S6_EEENSH_IJSG_SG_EEES6_PlJNSB_9not_fun_tI7is_trueIiEEEEEE10hipError_tPvRmT3_T4_T5_T6_T7_T9_mT8_P12ihipStream_tbDpT10_ENKUlT_T0_E_clISt17integral_constantIbLb0EES17_IbLb1EEEEDaS13_S14_EUlS13_E_NS1_11comp_targetILNS1_3genE2ELNS1_11target_archE906ELNS1_3gpuE6ELNS1_3repE0EEENS1_30default_config_static_selectorELNS0_4arch9wavefront6targetE0EEEvT1_,comdat
	.protected	_ZN7rocprim17ROCPRIM_400000_NS6detail17trampoline_kernelINS0_14default_configENS1_25partition_config_selectorILNS1_17partition_subalgoE6EiNS0_10empty_typeEbEEZZNS1_14partition_implILS5_6ELb0ES3_mN6thrust23THRUST_200600_302600_NS6detail15normal_iteratorINSA_10device_ptrIiEEEEPS6_SG_NS0_5tupleIJSF_S6_EEENSH_IJSG_SG_EEES6_PlJNSB_9not_fun_tI7is_trueIiEEEEEE10hipError_tPvRmT3_T4_T5_T6_T7_T9_mT8_P12ihipStream_tbDpT10_ENKUlT_T0_E_clISt17integral_constantIbLb0EES17_IbLb1EEEEDaS13_S14_EUlS13_E_NS1_11comp_targetILNS1_3genE2ELNS1_11target_archE906ELNS1_3gpuE6ELNS1_3repE0EEENS1_30default_config_static_selectorELNS0_4arch9wavefront6targetE0EEEvT1_ ; -- Begin function _ZN7rocprim17ROCPRIM_400000_NS6detail17trampoline_kernelINS0_14default_configENS1_25partition_config_selectorILNS1_17partition_subalgoE6EiNS0_10empty_typeEbEEZZNS1_14partition_implILS5_6ELb0ES3_mN6thrust23THRUST_200600_302600_NS6detail15normal_iteratorINSA_10device_ptrIiEEEEPS6_SG_NS0_5tupleIJSF_S6_EEENSH_IJSG_SG_EEES6_PlJNSB_9not_fun_tI7is_trueIiEEEEEE10hipError_tPvRmT3_T4_T5_T6_T7_T9_mT8_P12ihipStream_tbDpT10_ENKUlT_T0_E_clISt17integral_constantIbLb0EES17_IbLb1EEEEDaS13_S14_EUlS13_E_NS1_11comp_targetILNS1_3genE2ELNS1_11target_archE906ELNS1_3gpuE6ELNS1_3repE0EEENS1_30default_config_static_selectorELNS0_4arch9wavefront6targetE0EEEvT1_
	.globl	_ZN7rocprim17ROCPRIM_400000_NS6detail17trampoline_kernelINS0_14default_configENS1_25partition_config_selectorILNS1_17partition_subalgoE6EiNS0_10empty_typeEbEEZZNS1_14partition_implILS5_6ELb0ES3_mN6thrust23THRUST_200600_302600_NS6detail15normal_iteratorINSA_10device_ptrIiEEEEPS6_SG_NS0_5tupleIJSF_S6_EEENSH_IJSG_SG_EEES6_PlJNSB_9not_fun_tI7is_trueIiEEEEEE10hipError_tPvRmT3_T4_T5_T6_T7_T9_mT8_P12ihipStream_tbDpT10_ENKUlT_T0_E_clISt17integral_constantIbLb0EES17_IbLb1EEEEDaS13_S14_EUlS13_E_NS1_11comp_targetILNS1_3genE2ELNS1_11target_archE906ELNS1_3gpuE6ELNS1_3repE0EEENS1_30default_config_static_selectorELNS0_4arch9wavefront6targetE0EEEvT1_
	.p2align	8
	.type	_ZN7rocprim17ROCPRIM_400000_NS6detail17trampoline_kernelINS0_14default_configENS1_25partition_config_selectorILNS1_17partition_subalgoE6EiNS0_10empty_typeEbEEZZNS1_14partition_implILS5_6ELb0ES3_mN6thrust23THRUST_200600_302600_NS6detail15normal_iteratorINSA_10device_ptrIiEEEEPS6_SG_NS0_5tupleIJSF_S6_EEENSH_IJSG_SG_EEES6_PlJNSB_9not_fun_tI7is_trueIiEEEEEE10hipError_tPvRmT3_T4_T5_T6_T7_T9_mT8_P12ihipStream_tbDpT10_ENKUlT_T0_E_clISt17integral_constantIbLb0EES17_IbLb1EEEEDaS13_S14_EUlS13_E_NS1_11comp_targetILNS1_3genE2ELNS1_11target_archE906ELNS1_3gpuE6ELNS1_3repE0EEENS1_30default_config_static_selectorELNS0_4arch9wavefront6targetE0EEEvT1_,@function
_ZN7rocprim17ROCPRIM_400000_NS6detail17trampoline_kernelINS0_14default_configENS1_25partition_config_selectorILNS1_17partition_subalgoE6EiNS0_10empty_typeEbEEZZNS1_14partition_implILS5_6ELb0ES3_mN6thrust23THRUST_200600_302600_NS6detail15normal_iteratorINSA_10device_ptrIiEEEEPS6_SG_NS0_5tupleIJSF_S6_EEENSH_IJSG_SG_EEES6_PlJNSB_9not_fun_tI7is_trueIiEEEEEE10hipError_tPvRmT3_T4_T5_T6_T7_T9_mT8_P12ihipStream_tbDpT10_ENKUlT_T0_E_clISt17integral_constantIbLb0EES17_IbLb1EEEEDaS13_S14_EUlS13_E_NS1_11comp_targetILNS1_3genE2ELNS1_11target_archE906ELNS1_3gpuE6ELNS1_3repE0EEENS1_30default_config_static_selectorELNS0_4arch9wavefront6targetE0EEEvT1_: ; @_ZN7rocprim17ROCPRIM_400000_NS6detail17trampoline_kernelINS0_14default_configENS1_25partition_config_selectorILNS1_17partition_subalgoE6EiNS0_10empty_typeEbEEZZNS1_14partition_implILS5_6ELb0ES3_mN6thrust23THRUST_200600_302600_NS6detail15normal_iteratorINSA_10device_ptrIiEEEEPS6_SG_NS0_5tupleIJSF_S6_EEENSH_IJSG_SG_EEES6_PlJNSB_9not_fun_tI7is_trueIiEEEEEE10hipError_tPvRmT3_T4_T5_T6_T7_T9_mT8_P12ihipStream_tbDpT10_ENKUlT_T0_E_clISt17integral_constantIbLb0EES17_IbLb1EEEEDaS13_S14_EUlS13_E_NS1_11comp_targetILNS1_3genE2ELNS1_11target_archE906ELNS1_3gpuE6ELNS1_3repE0EEENS1_30default_config_static_selectorELNS0_4arch9wavefront6targetE0EEEvT1_
; %bb.0:
	.section	.rodata,"a",@progbits
	.p2align	6, 0x0
	.amdhsa_kernel _ZN7rocprim17ROCPRIM_400000_NS6detail17trampoline_kernelINS0_14default_configENS1_25partition_config_selectorILNS1_17partition_subalgoE6EiNS0_10empty_typeEbEEZZNS1_14partition_implILS5_6ELb0ES3_mN6thrust23THRUST_200600_302600_NS6detail15normal_iteratorINSA_10device_ptrIiEEEEPS6_SG_NS0_5tupleIJSF_S6_EEENSH_IJSG_SG_EEES6_PlJNSB_9not_fun_tI7is_trueIiEEEEEE10hipError_tPvRmT3_T4_T5_T6_T7_T9_mT8_P12ihipStream_tbDpT10_ENKUlT_T0_E_clISt17integral_constantIbLb0EES17_IbLb1EEEEDaS13_S14_EUlS13_E_NS1_11comp_targetILNS1_3genE2ELNS1_11target_archE906ELNS1_3gpuE6ELNS1_3repE0EEENS1_30default_config_static_selectorELNS0_4arch9wavefront6targetE0EEEvT1_
		.amdhsa_group_segment_fixed_size 0
		.amdhsa_private_segment_fixed_size 0
		.amdhsa_kernarg_size 128
		.amdhsa_user_sgpr_count 2
		.amdhsa_user_sgpr_dispatch_ptr 0
		.amdhsa_user_sgpr_queue_ptr 0
		.amdhsa_user_sgpr_kernarg_segment_ptr 1
		.amdhsa_user_sgpr_dispatch_id 0
		.amdhsa_user_sgpr_private_segment_size 0
		.amdhsa_wavefront_size32 1
		.amdhsa_uses_dynamic_stack 0
		.amdhsa_enable_private_segment 0
		.amdhsa_system_sgpr_workgroup_id_x 1
		.amdhsa_system_sgpr_workgroup_id_y 0
		.amdhsa_system_sgpr_workgroup_id_z 0
		.amdhsa_system_sgpr_workgroup_info 0
		.amdhsa_system_vgpr_workitem_id 0
		.amdhsa_next_free_vgpr 1
		.amdhsa_next_free_sgpr 1
		.amdhsa_reserve_vcc 0
		.amdhsa_float_round_mode_32 0
		.amdhsa_float_round_mode_16_64 0
		.amdhsa_float_denorm_mode_32 3
		.amdhsa_float_denorm_mode_16_64 3
		.amdhsa_fp16_overflow 0
		.amdhsa_workgroup_processor_mode 1
		.amdhsa_memory_ordered 1
		.amdhsa_forward_progress 1
		.amdhsa_inst_pref_size 0
		.amdhsa_round_robin_scheduling 0
		.amdhsa_exception_fp_ieee_invalid_op 0
		.amdhsa_exception_fp_denorm_src 0
		.amdhsa_exception_fp_ieee_div_zero 0
		.amdhsa_exception_fp_ieee_overflow 0
		.amdhsa_exception_fp_ieee_underflow 0
		.amdhsa_exception_fp_ieee_inexact 0
		.amdhsa_exception_int_div_zero 0
	.end_amdhsa_kernel
	.section	.text._ZN7rocprim17ROCPRIM_400000_NS6detail17trampoline_kernelINS0_14default_configENS1_25partition_config_selectorILNS1_17partition_subalgoE6EiNS0_10empty_typeEbEEZZNS1_14partition_implILS5_6ELb0ES3_mN6thrust23THRUST_200600_302600_NS6detail15normal_iteratorINSA_10device_ptrIiEEEEPS6_SG_NS0_5tupleIJSF_S6_EEENSH_IJSG_SG_EEES6_PlJNSB_9not_fun_tI7is_trueIiEEEEEE10hipError_tPvRmT3_T4_T5_T6_T7_T9_mT8_P12ihipStream_tbDpT10_ENKUlT_T0_E_clISt17integral_constantIbLb0EES17_IbLb1EEEEDaS13_S14_EUlS13_E_NS1_11comp_targetILNS1_3genE2ELNS1_11target_archE906ELNS1_3gpuE6ELNS1_3repE0EEENS1_30default_config_static_selectorELNS0_4arch9wavefront6targetE0EEEvT1_,"axG",@progbits,_ZN7rocprim17ROCPRIM_400000_NS6detail17trampoline_kernelINS0_14default_configENS1_25partition_config_selectorILNS1_17partition_subalgoE6EiNS0_10empty_typeEbEEZZNS1_14partition_implILS5_6ELb0ES3_mN6thrust23THRUST_200600_302600_NS6detail15normal_iteratorINSA_10device_ptrIiEEEEPS6_SG_NS0_5tupleIJSF_S6_EEENSH_IJSG_SG_EEES6_PlJNSB_9not_fun_tI7is_trueIiEEEEEE10hipError_tPvRmT3_T4_T5_T6_T7_T9_mT8_P12ihipStream_tbDpT10_ENKUlT_T0_E_clISt17integral_constantIbLb0EES17_IbLb1EEEEDaS13_S14_EUlS13_E_NS1_11comp_targetILNS1_3genE2ELNS1_11target_archE906ELNS1_3gpuE6ELNS1_3repE0EEENS1_30default_config_static_selectorELNS0_4arch9wavefront6targetE0EEEvT1_,comdat
.Lfunc_end1265:
	.size	_ZN7rocprim17ROCPRIM_400000_NS6detail17trampoline_kernelINS0_14default_configENS1_25partition_config_selectorILNS1_17partition_subalgoE6EiNS0_10empty_typeEbEEZZNS1_14partition_implILS5_6ELb0ES3_mN6thrust23THRUST_200600_302600_NS6detail15normal_iteratorINSA_10device_ptrIiEEEEPS6_SG_NS0_5tupleIJSF_S6_EEENSH_IJSG_SG_EEES6_PlJNSB_9not_fun_tI7is_trueIiEEEEEE10hipError_tPvRmT3_T4_T5_T6_T7_T9_mT8_P12ihipStream_tbDpT10_ENKUlT_T0_E_clISt17integral_constantIbLb0EES17_IbLb1EEEEDaS13_S14_EUlS13_E_NS1_11comp_targetILNS1_3genE2ELNS1_11target_archE906ELNS1_3gpuE6ELNS1_3repE0EEENS1_30default_config_static_selectorELNS0_4arch9wavefront6targetE0EEEvT1_, .Lfunc_end1265-_ZN7rocprim17ROCPRIM_400000_NS6detail17trampoline_kernelINS0_14default_configENS1_25partition_config_selectorILNS1_17partition_subalgoE6EiNS0_10empty_typeEbEEZZNS1_14partition_implILS5_6ELb0ES3_mN6thrust23THRUST_200600_302600_NS6detail15normal_iteratorINSA_10device_ptrIiEEEEPS6_SG_NS0_5tupleIJSF_S6_EEENSH_IJSG_SG_EEES6_PlJNSB_9not_fun_tI7is_trueIiEEEEEE10hipError_tPvRmT3_T4_T5_T6_T7_T9_mT8_P12ihipStream_tbDpT10_ENKUlT_T0_E_clISt17integral_constantIbLb0EES17_IbLb1EEEEDaS13_S14_EUlS13_E_NS1_11comp_targetILNS1_3genE2ELNS1_11target_archE906ELNS1_3gpuE6ELNS1_3repE0EEENS1_30default_config_static_selectorELNS0_4arch9wavefront6targetE0EEEvT1_
                                        ; -- End function
	.set _ZN7rocprim17ROCPRIM_400000_NS6detail17trampoline_kernelINS0_14default_configENS1_25partition_config_selectorILNS1_17partition_subalgoE6EiNS0_10empty_typeEbEEZZNS1_14partition_implILS5_6ELb0ES3_mN6thrust23THRUST_200600_302600_NS6detail15normal_iteratorINSA_10device_ptrIiEEEEPS6_SG_NS0_5tupleIJSF_S6_EEENSH_IJSG_SG_EEES6_PlJNSB_9not_fun_tI7is_trueIiEEEEEE10hipError_tPvRmT3_T4_T5_T6_T7_T9_mT8_P12ihipStream_tbDpT10_ENKUlT_T0_E_clISt17integral_constantIbLb0EES17_IbLb1EEEEDaS13_S14_EUlS13_E_NS1_11comp_targetILNS1_3genE2ELNS1_11target_archE906ELNS1_3gpuE6ELNS1_3repE0EEENS1_30default_config_static_selectorELNS0_4arch9wavefront6targetE0EEEvT1_.num_vgpr, 0
	.set _ZN7rocprim17ROCPRIM_400000_NS6detail17trampoline_kernelINS0_14default_configENS1_25partition_config_selectorILNS1_17partition_subalgoE6EiNS0_10empty_typeEbEEZZNS1_14partition_implILS5_6ELb0ES3_mN6thrust23THRUST_200600_302600_NS6detail15normal_iteratorINSA_10device_ptrIiEEEEPS6_SG_NS0_5tupleIJSF_S6_EEENSH_IJSG_SG_EEES6_PlJNSB_9not_fun_tI7is_trueIiEEEEEE10hipError_tPvRmT3_T4_T5_T6_T7_T9_mT8_P12ihipStream_tbDpT10_ENKUlT_T0_E_clISt17integral_constantIbLb0EES17_IbLb1EEEEDaS13_S14_EUlS13_E_NS1_11comp_targetILNS1_3genE2ELNS1_11target_archE906ELNS1_3gpuE6ELNS1_3repE0EEENS1_30default_config_static_selectorELNS0_4arch9wavefront6targetE0EEEvT1_.num_agpr, 0
	.set _ZN7rocprim17ROCPRIM_400000_NS6detail17trampoline_kernelINS0_14default_configENS1_25partition_config_selectorILNS1_17partition_subalgoE6EiNS0_10empty_typeEbEEZZNS1_14partition_implILS5_6ELb0ES3_mN6thrust23THRUST_200600_302600_NS6detail15normal_iteratorINSA_10device_ptrIiEEEEPS6_SG_NS0_5tupleIJSF_S6_EEENSH_IJSG_SG_EEES6_PlJNSB_9not_fun_tI7is_trueIiEEEEEE10hipError_tPvRmT3_T4_T5_T6_T7_T9_mT8_P12ihipStream_tbDpT10_ENKUlT_T0_E_clISt17integral_constantIbLb0EES17_IbLb1EEEEDaS13_S14_EUlS13_E_NS1_11comp_targetILNS1_3genE2ELNS1_11target_archE906ELNS1_3gpuE6ELNS1_3repE0EEENS1_30default_config_static_selectorELNS0_4arch9wavefront6targetE0EEEvT1_.numbered_sgpr, 0
	.set _ZN7rocprim17ROCPRIM_400000_NS6detail17trampoline_kernelINS0_14default_configENS1_25partition_config_selectorILNS1_17partition_subalgoE6EiNS0_10empty_typeEbEEZZNS1_14partition_implILS5_6ELb0ES3_mN6thrust23THRUST_200600_302600_NS6detail15normal_iteratorINSA_10device_ptrIiEEEEPS6_SG_NS0_5tupleIJSF_S6_EEENSH_IJSG_SG_EEES6_PlJNSB_9not_fun_tI7is_trueIiEEEEEE10hipError_tPvRmT3_T4_T5_T6_T7_T9_mT8_P12ihipStream_tbDpT10_ENKUlT_T0_E_clISt17integral_constantIbLb0EES17_IbLb1EEEEDaS13_S14_EUlS13_E_NS1_11comp_targetILNS1_3genE2ELNS1_11target_archE906ELNS1_3gpuE6ELNS1_3repE0EEENS1_30default_config_static_selectorELNS0_4arch9wavefront6targetE0EEEvT1_.num_named_barrier, 0
	.set _ZN7rocprim17ROCPRIM_400000_NS6detail17trampoline_kernelINS0_14default_configENS1_25partition_config_selectorILNS1_17partition_subalgoE6EiNS0_10empty_typeEbEEZZNS1_14partition_implILS5_6ELb0ES3_mN6thrust23THRUST_200600_302600_NS6detail15normal_iteratorINSA_10device_ptrIiEEEEPS6_SG_NS0_5tupleIJSF_S6_EEENSH_IJSG_SG_EEES6_PlJNSB_9not_fun_tI7is_trueIiEEEEEE10hipError_tPvRmT3_T4_T5_T6_T7_T9_mT8_P12ihipStream_tbDpT10_ENKUlT_T0_E_clISt17integral_constantIbLb0EES17_IbLb1EEEEDaS13_S14_EUlS13_E_NS1_11comp_targetILNS1_3genE2ELNS1_11target_archE906ELNS1_3gpuE6ELNS1_3repE0EEENS1_30default_config_static_selectorELNS0_4arch9wavefront6targetE0EEEvT1_.private_seg_size, 0
	.set _ZN7rocprim17ROCPRIM_400000_NS6detail17trampoline_kernelINS0_14default_configENS1_25partition_config_selectorILNS1_17partition_subalgoE6EiNS0_10empty_typeEbEEZZNS1_14partition_implILS5_6ELb0ES3_mN6thrust23THRUST_200600_302600_NS6detail15normal_iteratorINSA_10device_ptrIiEEEEPS6_SG_NS0_5tupleIJSF_S6_EEENSH_IJSG_SG_EEES6_PlJNSB_9not_fun_tI7is_trueIiEEEEEE10hipError_tPvRmT3_T4_T5_T6_T7_T9_mT8_P12ihipStream_tbDpT10_ENKUlT_T0_E_clISt17integral_constantIbLb0EES17_IbLb1EEEEDaS13_S14_EUlS13_E_NS1_11comp_targetILNS1_3genE2ELNS1_11target_archE906ELNS1_3gpuE6ELNS1_3repE0EEENS1_30default_config_static_selectorELNS0_4arch9wavefront6targetE0EEEvT1_.uses_vcc, 0
	.set _ZN7rocprim17ROCPRIM_400000_NS6detail17trampoline_kernelINS0_14default_configENS1_25partition_config_selectorILNS1_17partition_subalgoE6EiNS0_10empty_typeEbEEZZNS1_14partition_implILS5_6ELb0ES3_mN6thrust23THRUST_200600_302600_NS6detail15normal_iteratorINSA_10device_ptrIiEEEEPS6_SG_NS0_5tupleIJSF_S6_EEENSH_IJSG_SG_EEES6_PlJNSB_9not_fun_tI7is_trueIiEEEEEE10hipError_tPvRmT3_T4_T5_T6_T7_T9_mT8_P12ihipStream_tbDpT10_ENKUlT_T0_E_clISt17integral_constantIbLb0EES17_IbLb1EEEEDaS13_S14_EUlS13_E_NS1_11comp_targetILNS1_3genE2ELNS1_11target_archE906ELNS1_3gpuE6ELNS1_3repE0EEENS1_30default_config_static_selectorELNS0_4arch9wavefront6targetE0EEEvT1_.uses_flat_scratch, 0
	.set _ZN7rocprim17ROCPRIM_400000_NS6detail17trampoline_kernelINS0_14default_configENS1_25partition_config_selectorILNS1_17partition_subalgoE6EiNS0_10empty_typeEbEEZZNS1_14partition_implILS5_6ELb0ES3_mN6thrust23THRUST_200600_302600_NS6detail15normal_iteratorINSA_10device_ptrIiEEEEPS6_SG_NS0_5tupleIJSF_S6_EEENSH_IJSG_SG_EEES6_PlJNSB_9not_fun_tI7is_trueIiEEEEEE10hipError_tPvRmT3_T4_T5_T6_T7_T9_mT8_P12ihipStream_tbDpT10_ENKUlT_T0_E_clISt17integral_constantIbLb0EES17_IbLb1EEEEDaS13_S14_EUlS13_E_NS1_11comp_targetILNS1_3genE2ELNS1_11target_archE906ELNS1_3gpuE6ELNS1_3repE0EEENS1_30default_config_static_selectorELNS0_4arch9wavefront6targetE0EEEvT1_.has_dyn_sized_stack, 0
	.set _ZN7rocprim17ROCPRIM_400000_NS6detail17trampoline_kernelINS0_14default_configENS1_25partition_config_selectorILNS1_17partition_subalgoE6EiNS0_10empty_typeEbEEZZNS1_14partition_implILS5_6ELb0ES3_mN6thrust23THRUST_200600_302600_NS6detail15normal_iteratorINSA_10device_ptrIiEEEEPS6_SG_NS0_5tupleIJSF_S6_EEENSH_IJSG_SG_EEES6_PlJNSB_9not_fun_tI7is_trueIiEEEEEE10hipError_tPvRmT3_T4_T5_T6_T7_T9_mT8_P12ihipStream_tbDpT10_ENKUlT_T0_E_clISt17integral_constantIbLb0EES17_IbLb1EEEEDaS13_S14_EUlS13_E_NS1_11comp_targetILNS1_3genE2ELNS1_11target_archE906ELNS1_3gpuE6ELNS1_3repE0EEENS1_30default_config_static_selectorELNS0_4arch9wavefront6targetE0EEEvT1_.has_recursion, 0
	.set _ZN7rocprim17ROCPRIM_400000_NS6detail17trampoline_kernelINS0_14default_configENS1_25partition_config_selectorILNS1_17partition_subalgoE6EiNS0_10empty_typeEbEEZZNS1_14partition_implILS5_6ELb0ES3_mN6thrust23THRUST_200600_302600_NS6detail15normal_iteratorINSA_10device_ptrIiEEEEPS6_SG_NS0_5tupleIJSF_S6_EEENSH_IJSG_SG_EEES6_PlJNSB_9not_fun_tI7is_trueIiEEEEEE10hipError_tPvRmT3_T4_T5_T6_T7_T9_mT8_P12ihipStream_tbDpT10_ENKUlT_T0_E_clISt17integral_constantIbLb0EES17_IbLb1EEEEDaS13_S14_EUlS13_E_NS1_11comp_targetILNS1_3genE2ELNS1_11target_archE906ELNS1_3gpuE6ELNS1_3repE0EEENS1_30default_config_static_selectorELNS0_4arch9wavefront6targetE0EEEvT1_.has_indirect_call, 0
	.section	.AMDGPU.csdata,"",@progbits
; Kernel info:
; codeLenInByte = 0
; TotalNumSgprs: 0
; NumVgprs: 0
; ScratchSize: 0
; MemoryBound: 0
; FloatMode: 240
; IeeeMode: 1
; LDSByteSize: 0 bytes/workgroup (compile time only)
; SGPRBlocks: 0
; VGPRBlocks: 0
; NumSGPRsForWavesPerEU: 1
; NumVGPRsForWavesPerEU: 1
; Occupancy: 16
; WaveLimiterHint : 0
; COMPUTE_PGM_RSRC2:SCRATCH_EN: 0
; COMPUTE_PGM_RSRC2:USER_SGPR: 2
; COMPUTE_PGM_RSRC2:TRAP_HANDLER: 0
; COMPUTE_PGM_RSRC2:TGID_X_EN: 1
; COMPUTE_PGM_RSRC2:TGID_Y_EN: 0
; COMPUTE_PGM_RSRC2:TGID_Z_EN: 0
; COMPUTE_PGM_RSRC2:TIDIG_COMP_CNT: 0
	.section	.text._ZN7rocprim17ROCPRIM_400000_NS6detail17trampoline_kernelINS0_14default_configENS1_25partition_config_selectorILNS1_17partition_subalgoE6EiNS0_10empty_typeEbEEZZNS1_14partition_implILS5_6ELb0ES3_mN6thrust23THRUST_200600_302600_NS6detail15normal_iteratorINSA_10device_ptrIiEEEEPS6_SG_NS0_5tupleIJSF_S6_EEENSH_IJSG_SG_EEES6_PlJNSB_9not_fun_tI7is_trueIiEEEEEE10hipError_tPvRmT3_T4_T5_T6_T7_T9_mT8_P12ihipStream_tbDpT10_ENKUlT_T0_E_clISt17integral_constantIbLb0EES17_IbLb1EEEEDaS13_S14_EUlS13_E_NS1_11comp_targetILNS1_3genE10ELNS1_11target_archE1200ELNS1_3gpuE4ELNS1_3repE0EEENS1_30default_config_static_selectorELNS0_4arch9wavefront6targetE0EEEvT1_,"axG",@progbits,_ZN7rocprim17ROCPRIM_400000_NS6detail17trampoline_kernelINS0_14default_configENS1_25partition_config_selectorILNS1_17partition_subalgoE6EiNS0_10empty_typeEbEEZZNS1_14partition_implILS5_6ELb0ES3_mN6thrust23THRUST_200600_302600_NS6detail15normal_iteratorINSA_10device_ptrIiEEEEPS6_SG_NS0_5tupleIJSF_S6_EEENSH_IJSG_SG_EEES6_PlJNSB_9not_fun_tI7is_trueIiEEEEEE10hipError_tPvRmT3_T4_T5_T6_T7_T9_mT8_P12ihipStream_tbDpT10_ENKUlT_T0_E_clISt17integral_constantIbLb0EES17_IbLb1EEEEDaS13_S14_EUlS13_E_NS1_11comp_targetILNS1_3genE10ELNS1_11target_archE1200ELNS1_3gpuE4ELNS1_3repE0EEENS1_30default_config_static_selectorELNS0_4arch9wavefront6targetE0EEEvT1_,comdat
	.protected	_ZN7rocprim17ROCPRIM_400000_NS6detail17trampoline_kernelINS0_14default_configENS1_25partition_config_selectorILNS1_17partition_subalgoE6EiNS0_10empty_typeEbEEZZNS1_14partition_implILS5_6ELb0ES3_mN6thrust23THRUST_200600_302600_NS6detail15normal_iteratorINSA_10device_ptrIiEEEEPS6_SG_NS0_5tupleIJSF_S6_EEENSH_IJSG_SG_EEES6_PlJNSB_9not_fun_tI7is_trueIiEEEEEE10hipError_tPvRmT3_T4_T5_T6_T7_T9_mT8_P12ihipStream_tbDpT10_ENKUlT_T0_E_clISt17integral_constantIbLb0EES17_IbLb1EEEEDaS13_S14_EUlS13_E_NS1_11comp_targetILNS1_3genE10ELNS1_11target_archE1200ELNS1_3gpuE4ELNS1_3repE0EEENS1_30default_config_static_selectorELNS0_4arch9wavefront6targetE0EEEvT1_ ; -- Begin function _ZN7rocprim17ROCPRIM_400000_NS6detail17trampoline_kernelINS0_14default_configENS1_25partition_config_selectorILNS1_17partition_subalgoE6EiNS0_10empty_typeEbEEZZNS1_14partition_implILS5_6ELb0ES3_mN6thrust23THRUST_200600_302600_NS6detail15normal_iteratorINSA_10device_ptrIiEEEEPS6_SG_NS0_5tupleIJSF_S6_EEENSH_IJSG_SG_EEES6_PlJNSB_9not_fun_tI7is_trueIiEEEEEE10hipError_tPvRmT3_T4_T5_T6_T7_T9_mT8_P12ihipStream_tbDpT10_ENKUlT_T0_E_clISt17integral_constantIbLb0EES17_IbLb1EEEEDaS13_S14_EUlS13_E_NS1_11comp_targetILNS1_3genE10ELNS1_11target_archE1200ELNS1_3gpuE4ELNS1_3repE0EEENS1_30default_config_static_selectorELNS0_4arch9wavefront6targetE0EEEvT1_
	.globl	_ZN7rocprim17ROCPRIM_400000_NS6detail17trampoline_kernelINS0_14default_configENS1_25partition_config_selectorILNS1_17partition_subalgoE6EiNS0_10empty_typeEbEEZZNS1_14partition_implILS5_6ELb0ES3_mN6thrust23THRUST_200600_302600_NS6detail15normal_iteratorINSA_10device_ptrIiEEEEPS6_SG_NS0_5tupleIJSF_S6_EEENSH_IJSG_SG_EEES6_PlJNSB_9not_fun_tI7is_trueIiEEEEEE10hipError_tPvRmT3_T4_T5_T6_T7_T9_mT8_P12ihipStream_tbDpT10_ENKUlT_T0_E_clISt17integral_constantIbLb0EES17_IbLb1EEEEDaS13_S14_EUlS13_E_NS1_11comp_targetILNS1_3genE10ELNS1_11target_archE1200ELNS1_3gpuE4ELNS1_3repE0EEENS1_30default_config_static_selectorELNS0_4arch9wavefront6targetE0EEEvT1_
	.p2align	8
	.type	_ZN7rocprim17ROCPRIM_400000_NS6detail17trampoline_kernelINS0_14default_configENS1_25partition_config_selectorILNS1_17partition_subalgoE6EiNS0_10empty_typeEbEEZZNS1_14partition_implILS5_6ELb0ES3_mN6thrust23THRUST_200600_302600_NS6detail15normal_iteratorINSA_10device_ptrIiEEEEPS6_SG_NS0_5tupleIJSF_S6_EEENSH_IJSG_SG_EEES6_PlJNSB_9not_fun_tI7is_trueIiEEEEEE10hipError_tPvRmT3_T4_T5_T6_T7_T9_mT8_P12ihipStream_tbDpT10_ENKUlT_T0_E_clISt17integral_constantIbLb0EES17_IbLb1EEEEDaS13_S14_EUlS13_E_NS1_11comp_targetILNS1_3genE10ELNS1_11target_archE1200ELNS1_3gpuE4ELNS1_3repE0EEENS1_30default_config_static_selectorELNS0_4arch9wavefront6targetE0EEEvT1_,@function
_ZN7rocprim17ROCPRIM_400000_NS6detail17trampoline_kernelINS0_14default_configENS1_25partition_config_selectorILNS1_17partition_subalgoE6EiNS0_10empty_typeEbEEZZNS1_14partition_implILS5_6ELb0ES3_mN6thrust23THRUST_200600_302600_NS6detail15normal_iteratorINSA_10device_ptrIiEEEEPS6_SG_NS0_5tupleIJSF_S6_EEENSH_IJSG_SG_EEES6_PlJNSB_9not_fun_tI7is_trueIiEEEEEE10hipError_tPvRmT3_T4_T5_T6_T7_T9_mT8_P12ihipStream_tbDpT10_ENKUlT_T0_E_clISt17integral_constantIbLb0EES17_IbLb1EEEEDaS13_S14_EUlS13_E_NS1_11comp_targetILNS1_3genE10ELNS1_11target_archE1200ELNS1_3gpuE4ELNS1_3repE0EEENS1_30default_config_static_selectorELNS0_4arch9wavefront6targetE0EEEvT1_: ; @_ZN7rocprim17ROCPRIM_400000_NS6detail17trampoline_kernelINS0_14default_configENS1_25partition_config_selectorILNS1_17partition_subalgoE6EiNS0_10empty_typeEbEEZZNS1_14partition_implILS5_6ELb0ES3_mN6thrust23THRUST_200600_302600_NS6detail15normal_iteratorINSA_10device_ptrIiEEEEPS6_SG_NS0_5tupleIJSF_S6_EEENSH_IJSG_SG_EEES6_PlJNSB_9not_fun_tI7is_trueIiEEEEEE10hipError_tPvRmT3_T4_T5_T6_T7_T9_mT8_P12ihipStream_tbDpT10_ENKUlT_T0_E_clISt17integral_constantIbLb0EES17_IbLb1EEEEDaS13_S14_EUlS13_E_NS1_11comp_targetILNS1_3genE10ELNS1_11target_archE1200ELNS1_3gpuE4ELNS1_3repE0EEENS1_30default_config_static_selectorELNS0_4arch9wavefront6targetE0EEEvT1_
; %bb.0:
	s_clause 0x3
	s_load_b64 s[12:13], s[0:1], 0x28
	s_load_b128 s[8:11], s[0:1], 0x40
	s_load_b64 s[16:17], s[0:1], 0x50
	s_load_b64 s[14:15], s[0:1], 0x60
	v_cmp_eq_u32_e64 s2, 0, v0
	s_and_saveexec_b32 s3, s2
	s_cbranch_execz .LBB1266_4
; %bb.1:
	s_mov_b32 s5, exec_lo
	s_mov_b32 s4, exec_lo
	v_mbcnt_lo_u32_b32 v1, s5, 0
                                        ; implicit-def: $vgpr2
	s_delay_alu instid0(VALU_DEP_1)
	v_cmpx_eq_u32_e32 0, v1
	s_cbranch_execz .LBB1266_3
; %bb.2:
	s_load_b64 s[6:7], s[0:1], 0x70
	s_bcnt1_i32_b32 s5, s5
	s_wait_alu 0xfffe
	v_dual_mov_b32 v2, 0 :: v_dual_mov_b32 v3, s5
	s_wait_kmcnt 0x0
	global_atomic_add_u32 v2, v2, v3, s[6:7] th:TH_ATOMIC_RETURN scope:SCOPE_DEV
.LBB1266_3:
	s_or_b32 exec_lo, exec_lo, s4
	s_wait_loadcnt 0x0
	v_readfirstlane_b32 s4, v2
	s_wait_alu 0xf1ff
	s_delay_alu instid0(VALU_DEP_1)
	v_dual_mov_b32 v2, 0 :: v_dual_add_nc_u32 v1, s4, v1
	ds_store_b32 v2, v1
.LBB1266_4:
	s_or_b32 exec_lo, exec_lo, s3
	v_mov_b32_e32 v2, 0
	s_clause 0x1
	s_load_b128 s[4:7], s[0:1], 0x8
	s_load_b32 s0, s[0:1], 0x68
	s_wait_dscnt 0x0
	s_barrier_signal -1
	s_barrier_wait -1
	global_inv scope:SCOPE_SE
	ds_load_b32 v1, v2
	s_wait_loadcnt_dscnt 0x0
	s_barrier_signal -1
	s_barrier_wait -1
	global_inv scope:SCOPE_SE
	s_wait_kmcnt 0x0
	global_load_b64 v[9:10], v2, s[10:11]
	s_mov_b32 s1, 0
	v_lshlrev_b32_e32 v8, 2, v0
	s_lshl_b64 s[10:11], s[6:7], 2
	s_add_co_i32 s3, s0, -1
	s_mulk_i32 s0, 0xa80
	s_add_nc_u64 s[4:5], s[4:5], s[10:11]
	s_add_co_i32 s19, s0, s6
	s_add_nc_u64 s[6:7], s[6:7], s[0:1]
	v_readfirstlane_b32 s18, v1
	v_mul_lo_u32 v1, 0xa80, v1
	v_cmp_le_u64_e64 s1, s[16:17], s[6:7]
	s_sub_co_i32 s0, s16, s19
	s_cmp_eq_u32 s18, s3
	s_cselect_b32 s7, -1, 0
	v_lshlrev_b64_e32 v[1:2], 2, v[1:2]
	s_wait_alu 0xfffe
	s_and_b32 s1, s1, s7
	s_delay_alu instid0(SALU_CYCLE_1) | instskip(SKIP_1) | instid1(VALU_DEP_1)
	s_xor_b32 s10, s1, -1
	s_mov_b32 s1, -1
	v_add_co_u32 v11, vcc_lo, s4, v1
	s_delay_alu instid0(VALU_DEP_1)
	v_add_co_ci_u32_e64 v12, null, s5, v2, vcc_lo
	s_and_b32 vcc_lo, exec_lo, s10
	s_wait_alu 0xfffe
	s_cbranch_vccz .LBB1266_6
; %bb.5:
	v_add_co_u32 v1, vcc_lo, v11, v8
	s_wait_alu 0xfffd
	v_add_co_ci_u32_e64 v2, null, 0, v12, vcc_lo
	s_mov_b32 s1, 0
	s_clause 0x6
	flat_load_b32 v3, v[1:2]
	flat_load_b32 v4, v[1:2] offset:1536
	flat_load_b32 v5, v[1:2] offset:3072
	;; [unrolled: 1-line block ×6, first 2 shown]
	s_wait_loadcnt_dscnt 0x505
	ds_store_2addr_stride64_b32 v8, v3, v4 offset1:6
	s_wait_loadcnt_dscnt 0x304
	ds_store_2addr_stride64_b32 v8, v5, v6 offset0:12 offset1:18
	s_wait_loadcnt_dscnt 0x103
	ds_store_2addr_stride64_b32 v8, v7, v13 offset0:24 offset1:30
	s_wait_loadcnt_dscnt 0x3
	ds_store_b32 v8, v1 offset:9216
	s_wait_dscnt 0x0
	s_barrier_signal -1
	s_barrier_wait -1
.LBB1266_6:
	s_and_not1_b32 vcc_lo, exec_lo, s1
	s_add_co_i32 s16, s0, 0xa80
	s_wait_alu 0xfffe
	s_cbranch_vccnz .LBB1266_22
; %bb.7:
	v_mov_b32_e32 v1, 0
	s_mov_b32 s0, exec_lo
	s_delay_alu instid0(VALU_DEP_1)
	v_dual_mov_b32 v2, v1 :: v_dual_mov_b32 v3, v1
	v_dual_mov_b32 v4, v1 :: v_dual_mov_b32 v5, v1
	v_dual_mov_b32 v6, v1 :: v_dual_mov_b32 v7, v1
	v_cmpx_gt_u32_e64 s16, v0
	s_cbranch_execz .LBB1266_9
; %bb.8:
	v_add_co_u32 v2, vcc_lo, v11, v8
	s_wait_alu 0xfffd
	v_add_co_ci_u32_e64 v3, null, 0, v12, vcc_lo
	v_dual_mov_b32 v14, v1 :: v_dual_mov_b32 v15, v1
	v_dual_mov_b32 v16, v1 :: v_dual_mov_b32 v17, v1
	flat_load_b32 v13, v[2:3]
	v_dual_mov_b32 v18, v1 :: v_dual_mov_b32 v19, v1
	s_wait_loadcnt_dscnt 0x0
	v_dual_mov_b32 v1, v13 :: v_dual_mov_b32 v2, v14
	v_dual_mov_b32 v3, v15 :: v_dual_mov_b32 v4, v16
	s_delay_alu instid0(VALU_DEP_3)
	v_dual_mov_b32 v5, v17 :: v_dual_mov_b32 v6, v18
	v_mov_b32_e32 v7, v19
.LBB1266_9:
	s_or_b32 exec_lo, exec_lo, s0
	v_add_nc_u32_e32 v13, 0x180, v0
	s_mov_b32 s0, exec_lo
	s_delay_alu instid0(VALU_DEP_1)
	v_cmpx_gt_u32_e64 s16, v13
	s_cbranch_execz .LBB1266_11
; %bb.10:
	v_add_co_u32 v13, vcc_lo, v11, v8
	s_wait_alu 0xfffd
	v_add_co_ci_u32_e64 v14, null, 0, v12, vcc_lo
	flat_load_b32 v2, v[13:14] offset:1536
.LBB1266_11:
	s_or_b32 exec_lo, exec_lo, s0
	v_add_nc_u32_e32 v13, 0x300, v0
	s_mov_b32 s0, exec_lo
	s_delay_alu instid0(VALU_DEP_1)
	v_cmpx_gt_u32_e64 s16, v13
	s_cbranch_execz .LBB1266_13
; %bb.12:
	v_add_co_u32 v13, vcc_lo, v11, v8
	s_wait_alu 0xfffd
	v_add_co_ci_u32_e64 v14, null, 0, v12, vcc_lo
	flat_load_b32 v3, v[13:14] offset:3072
.LBB1266_13:
	;; [unrolled: 12-line block ×3, first 2 shown]
	s_or_b32 exec_lo, exec_lo, s0
	v_or_b32_e32 v13, 0x600, v0
	s_mov_b32 s0, exec_lo
	s_delay_alu instid0(VALU_DEP_1)
	v_cmpx_gt_u32_e64 s16, v13
	s_cbranch_execz .LBB1266_17
; %bb.16:
	v_add_co_u32 v13, vcc_lo, v11, v8
	s_wait_alu 0xfffd
	v_add_co_ci_u32_e64 v14, null, 0, v12, vcc_lo
	flat_load_b32 v5, v[13:14] offset:6144
.LBB1266_17:
	s_or_b32 exec_lo, exec_lo, s0
	v_add_nc_u32_e32 v13, 0x780, v0
	s_mov_b32 s0, exec_lo
	s_delay_alu instid0(VALU_DEP_1)
	v_cmpx_gt_u32_e64 s16, v13
	s_cbranch_execz .LBB1266_19
; %bb.18:
	v_add_co_u32 v13, vcc_lo, v11, v8
	s_wait_alu 0xfffd
	v_add_co_ci_u32_e64 v14, null, 0, v12, vcc_lo
	flat_load_b32 v6, v[13:14] offset:7680
.LBB1266_19:
	s_or_b32 exec_lo, exec_lo, s0
	v_add_nc_u32_e32 v13, 0x900, v0
	s_mov_b32 s0, exec_lo
	s_delay_alu instid0(VALU_DEP_1)
	v_cmpx_gt_u32_e64 s16, v13
	s_cbranch_execz .LBB1266_21
; %bb.20:
	v_add_co_u32 v11, vcc_lo, v11, v8
	s_wait_alu 0xfffd
	v_add_co_ci_u32_e64 v12, null, 0, v12, vcc_lo
	flat_load_b32 v7, v[11:12] offset:9216
.LBB1266_21:
	s_or_b32 exec_lo, exec_lo, s0
	s_wait_loadcnt_dscnt 0x0
	ds_store_2addr_stride64_b32 v8, v1, v2 offset1:6
	ds_store_2addr_stride64_b32 v8, v3, v4 offset0:12 offset1:18
	ds_store_2addr_stride64_b32 v8, v5, v6 offset0:24 offset1:30
	ds_store_b32 v8, v7 offset:9216
	s_wait_dscnt 0x0
	s_barrier_signal -1
	s_barrier_wait -1
.LBB1266_22:
	v_mul_u32_u24_e32 v1, 7, v0
	s_wait_loadcnt 0x0
	global_inv scope:SCOPE_SE
	s_and_not1_b32 vcc_lo, exec_lo, s10
	v_lshlrev_b32_e32 v32, 2, v1
	ds_load_2addr_b32 v[11:12], v32 offset0:4 offset1:5
	ds_load_b32 v33, v32 offset:24
	ds_load_2addr_b32 v[15:16], v32 offset1:1
	ds_load_2addr_b32 v[13:14], v32 offset0:2 offset1:3
	s_wait_loadcnt_dscnt 0x0
	s_barrier_signal -1
	s_barrier_wait -1
	global_inv scope:SCOPE_SE
	v_cmp_eq_u32_e64 s0, 0, v11
	v_cmp_eq_u32_e64 s1, 0, v12
	;; [unrolled: 1-line block ×7, first 2 shown]
	s_wait_alu 0xfffe
	s_cbranch_vccnz .LBB1266_24
; %bb.23:
	s_wait_alu 0xf1ff
	v_cndmask_b32_e64 v2, 0, 1, s5
	v_cndmask_b32_e64 v3, 0, 1, s6
	;; [unrolled: 1-line block ×5, first 2 shown]
	v_lshlrev_b16 v2, 8, v2
	v_lshlrev_b16 v3, 8, v3
	v_cndmask_b32_e64 v34, 0, 1, s1
	s_delay_alu instid0(VALU_DEP_3) | instskip(NEXT) | instid1(VALU_DEP_3)
	v_or_b32_e32 v2, v4, v2
	v_or_b32_e32 v3, v5, v3
	s_delay_alu instid0(VALU_DEP_2) | instskip(NEXT) | instid1(VALU_DEP_2)
	v_and_b32_e32 v2, 0xffff, v2
	v_lshlrev_b32_e32 v3, 16, v3
	s_delay_alu instid0(VALU_DEP_1)
	v_or_b32_e32 v31, v2, v3
	s_cbranch_execz .LBB1266_25
	s_branch .LBB1266_26
.LBB1266_24:
                                        ; implicit-def: $sgpr11
                                        ; implicit-def: $vgpr34
                                        ; implicit-def: $vgpr35
                                        ; implicit-def: $vgpr31
.LBB1266_25:
	v_add_nc_u32_e32 v2, 1, v1
	v_cmp_eq_u32_e32 vcc_lo, 0, v16
	v_add_nc_u32_e32 v3, 3, v1
	v_cmp_eq_u32_e64 s0, 0, v15
	v_cmp_eq_u32_e64 s3, 0, v14
	v_cmp_gt_u32_e64 s1, s16, v2
	v_add_nc_u32_e32 v2, 2, v1
	v_cmp_gt_u32_e64 s5, s16, v3
	v_cmp_eq_u32_e64 s4, 0, v13
	v_add_nc_u32_e32 v5, 5, v1
	s_and_b32 s1, s1, vcc_lo
	v_cmp_gt_u32_e32 vcc_lo, s16, v1
	s_wait_alu 0xfffe
	v_cndmask_b32_e64 v3, 0, 1, s1
	v_cmp_gt_u32_e64 s1, s16, v2
	s_and_b32 s3, s5, s3
	s_and_b32 s0, vcc_lo, s0
	v_lshlrev_b16 v3, 8, v3
	s_wait_alu 0xfffe
	v_cndmask_b32_e64 v4, 0, 1, s0
	v_cndmask_b32_e64 v2, 0, 1, s3
	s_and_b32 s0, s1, s4
	v_cmp_eq_u32_e32 vcc_lo, 0, v12
	s_wait_alu 0xfffe
	v_cndmask_b32_e64 v6, 0, 1, s0
	v_cmp_gt_u32_e64 s0, s16, v5
	v_or_b32_e32 v3, v4, v3
	v_add_nc_u32_e32 v4, 4, v1
	v_lshlrev_b16 v2, 8, v2
	v_cmp_eq_u32_e64 s1, 0, v11
	s_and_b32 s0, s0, vcc_lo
	v_add_nc_u32_e32 v1, 6, v1
	v_cmp_gt_u32_e32 vcc_lo, s16, v4
	v_or_b32_e32 v2, v6, v2
	s_wait_alu 0xfffe
	v_cndmask_b32_e64 v34, 0, 1, s0
	v_and_b32_e32 v3, 0xffff, v3
	s_and_b32 s0, vcc_lo, s1
	v_cmp_gt_u32_e32 vcc_lo, s16, v1
	s_wait_alu 0xfffe
	v_cndmask_b32_e64 v5, 0, 1, s0
	v_cmp_eq_u32_e64 s0, 0, v33
	v_lshlrev_b32_e32 v2, 16, v2
	v_lshlrev_b16 v4, 8, v34
	s_and_not1_b32 s1, s11, exec_lo
	s_and_b32 s0, vcc_lo, s0
	s_delay_alu instid0(VALU_DEP_2) | instskip(NEXT) | instid1(VALU_DEP_2)
	v_or_b32_e32 v31, v3, v2
	v_or_b32_e32 v35, v5, v4
	s_wait_alu 0xfffe
	s_and_b32 s0, s0, exec_lo
	s_wait_alu 0xfffe
	s_or_b32 s11, s1, s0
.LBB1266_26:
	s_delay_alu instid0(VALU_DEP_1)
	v_dual_mov_b32 v2, 0 :: v_dual_and_b32 v39, 0xff, v31
	v_bfe_u32 v38, v31, 8, 8
	v_cndmask_b32_e64 v1, 0, 1, s11
	v_bfe_u32 v41, v31, 16, 8
	v_lshrrev_b32_e32 v36, 24, v31
	v_and_b32_e32 v40, 0xff, v35
	v_mbcnt_lo_u32_b32 v42, -1, 0
	v_add3_u32 v1, v39, v1, v38
	v_and_b32_e32 v37, 0xff, v34
	s_cmp_lg_u32 s18, 0
	s_mov_b32 s1, -1
	v_and_b32_e32 v43, 15, v42
	v_add_co_u32 v1, s0, v1, v41
	s_wait_alu 0xf1ff
	v_add_co_ci_u32_e64 v3, null, 0, 0, s0
	s_delay_alu instid0(VALU_DEP_3) | instskip(NEXT) | instid1(VALU_DEP_3)
	v_cmp_ne_u32_e64 s0, 0, v43
	v_add_co_u32 v1, vcc_lo, v1, v36
	s_wait_alu 0xfffd
	s_delay_alu instid0(VALU_DEP_3) | instskip(NEXT) | instid1(VALU_DEP_2)
	v_add_co_ci_u32_e64 v3, null, 0, v3, vcc_lo
	v_add_co_u32 v1, vcc_lo, v1, v40
	s_wait_alu 0xfffd
	s_delay_alu instid0(VALU_DEP_2) | instskip(NEXT) | instid1(VALU_DEP_2)
	v_add_co_ci_u32_e64 v3, null, 0, v3, vcc_lo
	v_add_co_u32 v17, vcc_lo, v1, v37
	s_wait_alu 0xfffd
	s_delay_alu instid0(VALU_DEP_2)
	v_add_co_ci_u32_e64 v18, null, 0, v3, vcc_lo
	s_cbranch_scc0 .LBB1266_85
; %bb.27:
	v_mov_b32_e32 v3, v17
	v_mov_b32_dpp v1, v17 row_shr:1 row_mask:0xf bank_mask:0xf
	v_mov_b32_dpp v6, v2 row_shr:1 row_mask:0xf bank_mask:0xf
	v_dual_mov_b32 v5, v17 :: v_dual_mov_b32 v4, v18
	s_and_saveexec_b32 s1, s0
; %bb.28:
	s_delay_alu instid0(VALU_DEP_3) | instskip(SKIP_2) | instid1(VALU_DEP_2)
	v_add_co_u32 v5, vcc_lo, v17, v1
	s_wait_alu 0xfffd
	v_add_co_ci_u32_e64 v2, null, 0, v18, vcc_lo
	v_add_co_u32 v1, vcc_lo, 0, v5
	s_wait_alu 0xfffd
	s_delay_alu instid0(VALU_DEP_2) | instskip(NEXT) | instid1(VALU_DEP_1)
	v_add_co_ci_u32_e64 v2, null, v6, v2, vcc_lo
	v_dual_mov_b32 v4, v2 :: v_dual_mov_b32 v3, v1
; %bb.29:
	s_wait_alu 0xfffe
	s_or_b32 exec_lo, exec_lo, s1
	v_mov_b32_dpp v1, v5 row_shr:2 row_mask:0xf bank_mask:0xf
	v_mov_b32_dpp v6, v2 row_shr:2 row_mask:0xf bank_mask:0xf
	v_cmp_lt_u32_e32 vcc_lo, 1, v43
	s_and_saveexec_b32 s3, vcc_lo
; %bb.30:
	s_delay_alu instid0(VALU_DEP_3) | instskip(SKIP_2) | instid1(VALU_DEP_2)
	v_add_co_u32 v5, s1, v3, v1
	s_wait_alu 0xf1ff
	v_add_co_ci_u32_e64 v2, null, 0, v4, s1
	v_add_co_u32 v1, s1, 0, v5
	s_wait_alu 0xf1ff
	s_delay_alu instid0(VALU_DEP_2) | instskip(NEXT) | instid1(VALU_DEP_1)
	v_add_co_ci_u32_e64 v2, null, v6, v2, s1
	v_dual_mov_b32 v4, v2 :: v_dual_mov_b32 v3, v1
; %bb.31:
	s_wait_alu 0xfffe
	s_or_b32 exec_lo, exec_lo, s3
	v_mov_b32_dpp v1, v5 row_shr:4 row_mask:0xf bank_mask:0xf
	v_mov_b32_dpp v6, v2 row_shr:4 row_mask:0xf bank_mask:0xf
	v_cmp_lt_u32_e64 s1, 3, v43
	s_and_saveexec_b32 s4, s1
; %bb.32:
	v_add_co_u32 v5, s3, v3, v1
	s_wait_alu 0xf1ff
	v_add_co_ci_u32_e64 v2, null, 0, v4, s3
	s_delay_alu instid0(VALU_DEP_2) | instskip(SKIP_1) | instid1(VALU_DEP_2)
	v_add_co_u32 v1, s3, 0, v5
	s_wait_alu 0xf1ff
	v_add_co_ci_u32_e64 v2, null, v6, v2, s3
	s_delay_alu instid0(VALU_DEP_1)
	v_dual_mov_b32 v4, v2 :: v_dual_mov_b32 v3, v1
; %bb.33:
	s_wait_alu 0xfffe
	s_or_b32 exec_lo, exec_lo, s4
	v_mov_b32_dpp v6, v5 row_shr:8 row_mask:0xf bank_mask:0xf
	v_mov_b32_dpp v1, v2 row_shr:8 row_mask:0xf bank_mask:0xf
	v_cmp_lt_u32_e64 s3, 7, v43
	s_and_saveexec_b32 s5, s3
; %bb.34:
	v_add_co_u32 v5, s4, v3, v6
	s_wait_alu 0xf1ff
	v_add_co_ci_u32_e64 v2, null, 0, v4, s4
	s_delay_alu instid0(VALU_DEP_2) | instskip(SKIP_1) | instid1(VALU_DEP_2)
	v_add_co_u32 v3, s4, 0, v5
	s_wait_alu 0xf1ff
	v_add_co_ci_u32_e64 v4, null, v1, v2, s4
	s_delay_alu instid0(VALU_DEP_1)
	v_mov_b32_e32 v2, v4
; %bb.35:
	s_wait_alu 0xfffe
	s_or_b32 exec_lo, exec_lo, s5
	ds_swizzle_b32 v1, v5 offset:swizzle(BROADCAST,32,15)
	ds_swizzle_b32 v6, v2 offset:swizzle(BROADCAST,32,15)
	v_and_b32_e32 v7, 16, v42
	s_mov_b32 s5, exec_lo
	s_delay_alu instid0(VALU_DEP_1)
	v_cmpx_ne_u32_e32 0, v7
	s_cbranch_execz .LBB1266_37
; %bb.36:
	s_wait_dscnt 0x1
	v_add_co_u32 v5, s4, v3, v1
	s_wait_alu 0xf1ff
	v_add_co_ci_u32_e64 v2, null, 0, v4, s4
	s_delay_alu instid0(VALU_DEP_2) | instskip(SKIP_2) | instid1(VALU_DEP_2)
	v_add_co_u32 v1, s4, 0, v5
	s_wait_dscnt 0x0
	s_wait_alu 0xf1ff
	v_add_co_ci_u32_e64 v2, null, v6, v2, s4
	s_delay_alu instid0(VALU_DEP_1)
	v_dual_mov_b32 v4, v2 :: v_dual_mov_b32 v3, v1
.LBB1266_37:
	s_wait_alu 0xfffe
	s_or_b32 exec_lo, exec_lo, s5
	s_wait_dscnt 0x1
	v_and_b32_e32 v1, 0x1e0, v0
	s_mov_b32 s5, exec_lo
	s_delay_alu instid0(VALU_DEP_1) | instskip(SKIP_1) | instid1(VALU_DEP_1)
	v_min_u32_e32 v1, 0x160, v1
	s_wait_dscnt 0x0
	v_or_b32_e32 v6, 31, v1
	v_lshrrev_b32_e32 v1, 5, v0
	s_delay_alu instid0(VALU_DEP_2)
	v_cmpx_eq_u32_e64 v0, v6
; %bb.38:
	s_delay_alu instid0(VALU_DEP_2)
	v_lshlrev_b32_e32 v6, 3, v1
	ds_store_b64 v6, v[3:4]
; %bb.39:
	s_wait_alu 0xfffe
	s_or_b32 exec_lo, exec_lo, s5
	s_delay_alu instid0(SALU_CYCLE_1)
	s_mov_b32 s5, exec_lo
	s_wait_loadcnt_dscnt 0x0
	s_barrier_signal -1
	s_barrier_wait -1
	global_inv scope:SCOPE_SE
	v_cmpx_gt_u32_e32 12, v0
	s_cbranch_execz .LBB1266_49
; %bb.40:
	v_lshlrev_b32_e32 v6, 3, v0
	ds_load_b64 v[3:4], v6
	s_wait_dscnt 0x0
	v_mov_b32_dpp v19, v3 row_shr:1 row_mask:0xf bank_mask:0xf
	v_mov_b32_dpp v8, v4 row_shr:1 row_mask:0xf bank_mask:0xf
	v_mov_b32_e32 v7, v3
	s_and_saveexec_b32 s6, s0
; %bb.41:
	s_delay_alu instid0(VALU_DEP_3) | instskip(SKIP_2) | instid1(VALU_DEP_2)
	v_add_co_u32 v7, s4, v3, v19
	s_wait_alu 0xf1ff
	v_add_co_ci_u32_e64 v4, null, 0, v4, s4
	v_add_co_u32 v3, s4, 0, v7
	s_wait_alu 0xf1ff
	s_delay_alu instid0(VALU_DEP_2)
	v_add_co_ci_u32_e64 v4, null, v8, v4, s4
; %bb.42:
	s_wait_alu 0xfffe
	s_or_b32 exec_lo, exec_lo, s6
	v_mov_b32_dpp v19, v7 row_shr:2 row_mask:0xf bank_mask:0xf
	s_delay_alu instid0(VALU_DEP_2)
	v_mov_b32_dpp v8, v4 row_shr:2 row_mask:0xf bank_mask:0xf
	s_and_saveexec_b32 s4, vcc_lo
; %bb.43:
	s_delay_alu instid0(VALU_DEP_2) | instskip(SKIP_2) | instid1(VALU_DEP_2)
	v_add_co_u32 v7, vcc_lo, v3, v19
	s_wait_alu 0xfffd
	v_add_co_ci_u32_e64 v4, null, 0, v4, vcc_lo
	v_add_co_u32 v3, vcc_lo, 0, v7
	s_wait_alu 0xfffd
	s_delay_alu instid0(VALU_DEP_2)
	v_add_co_ci_u32_e64 v4, null, v8, v4, vcc_lo
; %bb.44:
	s_wait_alu 0xfffe
	s_or_b32 exec_lo, exec_lo, s4
	v_mov_b32_dpp v19, v7 row_shr:4 row_mask:0xf bank_mask:0xf
	s_delay_alu instid0(VALU_DEP_2)
	v_mov_b32_dpp v8, v4 row_shr:4 row_mask:0xf bank_mask:0xf
	s_and_saveexec_b32 s4, s1
; %bb.45:
	s_delay_alu instid0(VALU_DEP_2) | instskip(SKIP_2) | instid1(VALU_DEP_2)
	v_add_co_u32 v7, vcc_lo, v3, v19
	s_wait_alu 0xfffd
	v_add_co_ci_u32_e64 v4, null, 0, v4, vcc_lo
	v_add_co_u32 v3, vcc_lo, 0, v7
	s_wait_alu 0xfffd
	s_delay_alu instid0(VALU_DEP_2)
	v_add_co_ci_u32_e64 v4, null, v8, v4, vcc_lo
; %bb.46:
	s_wait_alu 0xfffe
	s_or_b32 exec_lo, exec_lo, s4
	v_mov_b32_dpp v8, v7 row_shr:8 row_mask:0xf bank_mask:0xf
	s_delay_alu instid0(VALU_DEP_2)
	v_mov_b32_dpp v7, v4 row_shr:8 row_mask:0xf bank_mask:0xf
	s_and_saveexec_b32 s1, s3
; %bb.47:
	s_delay_alu instid0(VALU_DEP_2) | instskip(SKIP_2) | instid1(VALU_DEP_2)
	v_add_co_u32 v3, vcc_lo, v3, v8
	s_wait_alu 0xfffd
	v_add_co_ci_u32_e64 v4, null, 0, v4, vcc_lo
	v_add_co_u32 v3, vcc_lo, v3, 0
	s_wait_alu 0xfffd
	s_delay_alu instid0(VALU_DEP_2)
	v_add_co_ci_u32_e64 v4, null, v4, v7, vcc_lo
; %bb.48:
	s_wait_alu 0xfffe
	s_or_b32 exec_lo, exec_lo, s1
	ds_store_b64 v6, v[3:4]
.LBB1266_49:
	s_wait_alu 0xfffe
	s_or_b32 exec_lo, exec_lo, s5
	s_delay_alu instid0(SALU_CYCLE_1)
	s_mov_b32 s3, exec_lo
	v_cmp_gt_u32_e32 vcc_lo, 32, v0
	s_wait_loadcnt_dscnt 0x0
	s_barrier_signal -1
	s_barrier_wait -1
	global_inv scope:SCOPE_SE
                                        ; implicit-def: $vgpr19_vgpr20
	v_cmpx_lt_u32_e32 31, v0
	s_cbranch_execz .LBB1266_51
; %bb.50:
	v_lshl_add_u32 v1, v1, 3, -8
	ds_load_b64 v[19:20], v1
	s_wait_dscnt 0x0
	v_add_co_u32 v5, s1, v5, v19
	s_wait_alu 0xf1ff
	v_add_co_ci_u32_e64 v2, null, v2, v20, s1
.LBB1266_51:
	s_wait_alu 0xfffe
	s_or_b32 exec_lo, exec_lo, s3
	v_sub_co_u32 v1, s1, v42, 1
	s_delay_alu instid0(VALU_DEP_1) | instskip(SKIP_1) | instid1(VALU_DEP_1)
	v_cmp_gt_i32_e64 s3, 0, v1
	s_wait_alu 0xf1ff
	v_cndmask_b32_e64 v1, v1, v42, s3
	s_delay_alu instid0(VALU_DEP_1)
	v_lshlrev_b32_e32 v1, 2, v1
	ds_bpermute_b32 v25, v1, v5
	ds_bpermute_b32 v26, v1, v2
	s_and_saveexec_b32 s3, vcc_lo
	s_cbranch_execz .LBB1266_90
; %bb.52:
	v_mov_b32_e32 v4, 0
	ds_load_b64 v[1:2], v4 offset:88
	s_and_saveexec_b32 s4, s1
	s_cbranch_execz .LBB1266_54
; %bb.53:
	s_add_co_i32 s16, s18, 32
	s_mov_b32 s17, 0
	s_wait_alu 0xfffe
	s_lshl_b64 s[16:17], s[16:17], 4
	s_wait_alu 0xfffe
	s_add_nc_u64 s[16:17], s[14:15], s[16:17]
	v_mov_b32_e32 v3, 1
	s_wait_alu 0xfffe
	v_dual_mov_b32 v5, s16 :: v_dual_mov_b32 v6, s17
	s_wait_dscnt 0x0
	;;#ASMSTART
	global_store_b128 v[5:6], v[1:4] off scope:SCOPE_DEV	
s_wait_storecnt 0x0
	;;#ASMEND
.LBB1266_54:
	s_wait_alu 0xfffe
	s_or_b32 exec_lo, exec_lo, s4
	v_xad_u32 v21, v42, -1, s18
	s_mov_b32 s5, 0
	s_mov_b32 s4, exec_lo
	s_delay_alu instid0(VALU_DEP_1) | instskip(NEXT) | instid1(VALU_DEP_1)
	v_add_nc_u32_e32 v3, 32, v21
	v_lshlrev_b64_e32 v[3:4], 4, v[3:4]
	s_delay_alu instid0(VALU_DEP_1) | instskip(SKIP_1) | instid1(VALU_DEP_2)
	v_add_co_u32 v3, vcc_lo, s14, v3
	s_wait_alu 0xfffd
	v_add_co_ci_u32_e64 v4, null, s15, v4, vcc_lo
	;;#ASMSTART
	global_load_b128 v[5:8], v[3:4] off scope:SCOPE_DEV	
s_wait_loadcnt 0x0
	;;#ASMEND
	v_and_b32_e32 v8, 0xff, v7
	s_delay_alu instid0(VALU_DEP_1)
	v_cmpx_eq_u16_e32 0, v8
	s_cbranch_execz .LBB1266_57
.LBB1266_55:                            ; =>This Inner Loop Header: Depth=1
	;;#ASMSTART
	global_load_b128 v[5:8], v[3:4] off scope:SCOPE_DEV	
s_wait_loadcnt 0x0
	;;#ASMEND
	v_and_b32_e32 v8, 0xff, v7
	s_delay_alu instid0(VALU_DEP_1)
	v_cmp_ne_u16_e32 vcc_lo, 0, v8
	s_wait_alu 0xfffe
	s_or_b32 s5, vcc_lo, s5
	s_wait_alu 0xfffe
	s_and_not1_b32 exec_lo, exec_lo, s5
	s_cbranch_execnz .LBB1266_55
; %bb.56:
	s_or_b32 exec_lo, exec_lo, s5
.LBB1266_57:
	s_wait_alu 0xfffe
	s_or_b32 exec_lo, exec_lo, s4
	v_cmp_ne_u32_e32 vcc_lo, 31, v42
	v_and_b32_e32 v4, 0xff, v7
	v_lshlrev_b32_e64 v28, v42, -1
	s_mov_b32 s4, exec_lo
	s_wait_alu 0xfffd
	v_add_co_ci_u32_e64 v3, null, 0, v42, vcc_lo
	v_cmp_eq_u16_e32 vcc_lo, 2, v4
	s_delay_alu instid0(VALU_DEP_2)
	v_dual_mov_b32 v4, v5 :: v_dual_lshlrev_b32 v27, 2, v3
	s_wait_alu 0xfffd
	v_and_or_b32 v3, vcc_lo, v28, 0x80000000
	ds_bpermute_b32 v22, v27, v5
	ds_bpermute_b32 v8, v27, v6
	v_ctz_i32_b32_e32 v3, v3
	s_delay_alu instid0(VALU_DEP_1)
	v_cmpx_lt_u32_e64 v42, v3
	s_cbranch_execz .LBB1266_59
; %bb.58:
	s_wait_dscnt 0x1
	v_add_co_u32 v4, vcc_lo, v5, v22
	s_wait_alu 0xfffd
	v_add_co_ci_u32_e64 v6, null, 0, v6, vcc_lo
	s_delay_alu instid0(VALU_DEP_2) | instskip(SKIP_2) | instid1(VALU_DEP_2)
	v_add_co_u32 v5, vcc_lo, 0, v4
	s_wait_dscnt 0x0
	s_wait_alu 0xfffd
	v_add_co_ci_u32_e64 v6, null, v8, v6, vcc_lo
.LBB1266_59:
	s_wait_alu 0xfffe
	s_or_b32 exec_lo, exec_lo, s4
	v_cmp_gt_u32_e32 vcc_lo, 30, v42
	v_add_nc_u32_e32 v30, 2, v42
	s_mov_b32 s4, exec_lo
	s_wait_dscnt 0x0
	s_wait_alu 0xfffd
	v_cndmask_b32_e64 v8, 0, 2, vcc_lo
	s_delay_alu instid0(VALU_DEP_1)
	v_add_lshl_u32 v29, v8, v42, 2
	ds_bpermute_b32 v22, v29, v4
	ds_bpermute_b32 v8, v29, v6
	v_cmpx_le_u32_e64 v30, v3
	s_cbranch_execz .LBB1266_61
; %bb.60:
	s_wait_dscnt 0x1
	v_add_co_u32 v4, vcc_lo, v5, v22
	s_wait_alu 0xfffd
	v_add_co_ci_u32_e64 v6, null, 0, v6, vcc_lo
	s_delay_alu instid0(VALU_DEP_2) | instskip(SKIP_2) | instid1(VALU_DEP_2)
	v_add_co_u32 v5, vcc_lo, 0, v4
	s_wait_dscnt 0x0
	s_wait_alu 0xfffd
	v_add_co_ci_u32_e64 v6, null, v8, v6, vcc_lo
.LBB1266_61:
	s_wait_alu 0xfffe
	s_or_b32 exec_lo, exec_lo, s4
	v_cmp_gt_u32_e32 vcc_lo, 28, v42
	v_add_nc_u32_e32 v45, 4, v42
	s_mov_b32 s4, exec_lo
	s_wait_dscnt 0x0
	s_wait_alu 0xfffd
	v_cndmask_b32_e64 v8, 0, 4, vcc_lo
	s_delay_alu instid0(VALU_DEP_1)
	v_add_lshl_u32 v44, v8, v42, 2
	ds_bpermute_b32 v22, v44, v4
	ds_bpermute_b32 v8, v44, v6
	v_cmpx_le_u32_e64 v45, v3
	;; [unrolled: 25-line block ×3, first 2 shown]
	s_cbranch_execz .LBB1266_65
; %bb.64:
	s_wait_dscnt 0x1
	v_add_co_u32 v4, vcc_lo, v5, v22
	s_wait_alu 0xfffd
	v_add_co_ci_u32_e64 v6, null, 0, v6, vcc_lo
	s_delay_alu instid0(VALU_DEP_2) | instskip(SKIP_2) | instid1(VALU_DEP_2)
	v_add_co_u32 v5, vcc_lo, 0, v4
	s_wait_dscnt 0x0
	s_wait_alu 0xfffd
	v_add_co_ci_u32_e64 v6, null, v8, v6, vcc_lo
.LBB1266_65:
	s_wait_alu 0xfffe
	s_or_b32 exec_lo, exec_lo, s4
	v_lshl_or_b32 v48, v42, 2, 64
	v_add_nc_u32_e32 v49, 16, v42
	s_mov_b32 s4, exec_lo
	s_wait_dscnt 0x0
	ds_bpermute_b32 v8, v48, v4
	ds_bpermute_b32 v4, v48, v6
	v_cmpx_le_u32_e64 v49, v3
	s_cbranch_execz .LBB1266_67
; %bb.66:
	s_wait_dscnt 0x1
	v_add_co_u32 v3, vcc_lo, v5, v8
	s_wait_alu 0xfffd
	v_add_co_ci_u32_e64 v6, null, 0, v6, vcc_lo
	s_delay_alu instid0(VALU_DEP_2) | instskip(SKIP_2) | instid1(VALU_DEP_2)
	v_add_co_u32 v5, vcc_lo, v3, 0
	s_wait_dscnt 0x0
	s_wait_alu 0xfffd
	v_add_co_ci_u32_e64 v6, null, v6, v4, vcc_lo
.LBB1266_67:
	s_wait_alu 0xfffe
	s_or_b32 exec_lo, exec_lo, s4
	v_mov_b32_e32 v22, 0
	s_branch .LBB1266_70
.LBB1266_68:                            ;   in Loop: Header=BB1266_70 Depth=1
	s_wait_alu 0xfffe
	s_or_b32 exec_lo, exec_lo, s4
	v_add_co_u32 v5, vcc_lo, v5, v3
	v_subrev_nc_u32_e32 v21, 32, v21
	s_wait_alu 0xfffd
	v_add_co_ci_u32_e64 v6, null, v6, v4, vcc_lo
	s_mov_b32 s4, 0
.LBB1266_69:                            ;   in Loop: Header=BB1266_70 Depth=1
	s_wait_alu 0xfffe
	s_and_b32 vcc_lo, exec_lo, s4
	s_wait_alu 0xfffe
	s_cbranch_vccnz .LBB1266_86
.LBB1266_70:                            ; =>This Loop Header: Depth=1
                                        ;     Child Loop BB1266_73 Depth 2
	v_and_b32_e32 v3, 0xff, v7
	s_mov_b32 s4, -1
	s_delay_alu instid0(VALU_DEP_1)
	v_cmp_ne_u16_e32 vcc_lo, 2, v3
	s_wait_dscnt 0x0
	v_dual_mov_b32 v3, v5 :: v_dual_mov_b32 v4, v6
                                        ; implicit-def: $vgpr5_vgpr6
	s_cmp_lg_u32 vcc_lo, exec_lo
	s_cbranch_scc1 .LBB1266_69
; %bb.71:                               ;   in Loop: Header=BB1266_70 Depth=1
	v_lshlrev_b64_e32 v[5:6], 4, v[21:22]
	s_mov_b32 s4, exec_lo
	s_delay_alu instid0(VALU_DEP_1) | instskip(SKIP_1) | instid1(VALU_DEP_2)
	v_add_co_u32 v23, vcc_lo, s14, v5
	s_wait_alu 0xfffd
	v_add_co_ci_u32_e64 v24, null, s15, v6, vcc_lo
	;;#ASMSTART
	global_load_b128 v[5:8], v[23:24] off scope:SCOPE_DEV	
s_wait_loadcnt 0x0
	;;#ASMEND
	v_and_b32_e32 v8, 0xff, v7
	s_delay_alu instid0(VALU_DEP_1)
	v_cmpx_eq_u16_e32 0, v8
	s_cbranch_execz .LBB1266_75
; %bb.72:                               ;   in Loop: Header=BB1266_70 Depth=1
	s_mov_b32 s5, 0
.LBB1266_73:                            ;   Parent Loop BB1266_70 Depth=1
                                        ; =>  This Inner Loop Header: Depth=2
	;;#ASMSTART
	global_load_b128 v[5:8], v[23:24] off scope:SCOPE_DEV	
s_wait_loadcnt 0x0
	;;#ASMEND
	v_and_b32_e32 v8, 0xff, v7
	s_delay_alu instid0(VALU_DEP_1)
	v_cmp_ne_u16_e32 vcc_lo, 0, v8
	s_wait_alu 0xfffe
	s_or_b32 s5, vcc_lo, s5
	s_wait_alu 0xfffe
	s_and_not1_b32 exec_lo, exec_lo, s5
	s_cbranch_execnz .LBB1266_73
; %bb.74:                               ;   in Loop: Header=BB1266_70 Depth=1
	s_or_b32 exec_lo, exec_lo, s5
.LBB1266_75:                            ;   in Loop: Header=BB1266_70 Depth=1
	s_wait_alu 0xfffe
	s_or_b32 exec_lo, exec_lo, s4
	v_dual_mov_b32 v23, v5 :: v_dual_and_b32 v8, 0xff, v7
	ds_bpermute_b32 v50, v27, v5
	ds_bpermute_b32 v24, v27, v6
	s_mov_b32 s4, exec_lo
	v_cmp_eq_u16_e32 vcc_lo, 2, v8
	s_wait_alu 0xfffd
	v_and_or_b32 v8, vcc_lo, v28, 0x80000000
	s_delay_alu instid0(VALU_DEP_1) | instskip(NEXT) | instid1(VALU_DEP_1)
	v_ctz_i32_b32_e32 v8, v8
	v_cmpx_lt_u32_e64 v42, v8
	s_cbranch_execz .LBB1266_77
; %bb.76:                               ;   in Loop: Header=BB1266_70 Depth=1
	s_wait_dscnt 0x1
	v_add_co_u32 v23, vcc_lo, v5, v50
	s_wait_alu 0xfffd
	v_add_co_ci_u32_e64 v6, null, 0, v6, vcc_lo
	s_delay_alu instid0(VALU_DEP_2) | instskip(SKIP_2) | instid1(VALU_DEP_2)
	v_add_co_u32 v5, vcc_lo, 0, v23
	s_wait_dscnt 0x0
	s_wait_alu 0xfffd
	v_add_co_ci_u32_e64 v6, null, v24, v6, vcc_lo
.LBB1266_77:                            ;   in Loop: Header=BB1266_70 Depth=1
	s_wait_alu 0xfffe
	s_or_b32 exec_lo, exec_lo, s4
	s_wait_dscnt 0x1
	ds_bpermute_b32 v50, v29, v23
	s_wait_dscnt 0x1
	ds_bpermute_b32 v24, v29, v6
	s_mov_b32 s4, exec_lo
	v_cmpx_le_u32_e64 v30, v8
	s_cbranch_execz .LBB1266_79
; %bb.78:                               ;   in Loop: Header=BB1266_70 Depth=1
	s_wait_dscnt 0x1
	v_add_co_u32 v23, vcc_lo, v5, v50
	s_wait_alu 0xfffd
	v_add_co_ci_u32_e64 v6, null, 0, v6, vcc_lo
	s_delay_alu instid0(VALU_DEP_2) | instskip(SKIP_2) | instid1(VALU_DEP_2)
	v_add_co_u32 v5, vcc_lo, 0, v23
	s_wait_dscnt 0x0
	s_wait_alu 0xfffd
	v_add_co_ci_u32_e64 v6, null, v24, v6, vcc_lo
.LBB1266_79:                            ;   in Loop: Header=BB1266_70 Depth=1
	s_wait_alu 0xfffe
	s_or_b32 exec_lo, exec_lo, s4
	s_wait_dscnt 0x1
	ds_bpermute_b32 v50, v44, v23
	s_wait_dscnt 0x1
	ds_bpermute_b32 v24, v44, v6
	s_mov_b32 s4, exec_lo
	v_cmpx_le_u32_e64 v45, v8
	s_cbranch_execz .LBB1266_81
; %bb.80:                               ;   in Loop: Header=BB1266_70 Depth=1
	s_wait_dscnt 0x1
	v_add_co_u32 v23, vcc_lo, v5, v50
	s_wait_alu 0xfffd
	v_add_co_ci_u32_e64 v6, null, 0, v6, vcc_lo
	s_delay_alu instid0(VALU_DEP_2) | instskip(SKIP_2) | instid1(VALU_DEP_2)
	v_add_co_u32 v5, vcc_lo, 0, v23
	s_wait_dscnt 0x0
	s_wait_alu 0xfffd
	v_add_co_ci_u32_e64 v6, null, v24, v6, vcc_lo
.LBB1266_81:                            ;   in Loop: Header=BB1266_70 Depth=1
	s_wait_alu 0xfffe
	s_or_b32 exec_lo, exec_lo, s4
	s_wait_dscnt 0x1
	ds_bpermute_b32 v50, v46, v23
	s_wait_dscnt 0x1
	ds_bpermute_b32 v24, v46, v6
	s_mov_b32 s4, exec_lo
	v_cmpx_le_u32_e64 v47, v8
	s_cbranch_execz .LBB1266_83
; %bb.82:                               ;   in Loop: Header=BB1266_70 Depth=1
	s_wait_dscnt 0x1
	v_add_co_u32 v23, vcc_lo, v5, v50
	s_wait_alu 0xfffd
	v_add_co_ci_u32_e64 v6, null, 0, v6, vcc_lo
	s_delay_alu instid0(VALU_DEP_2) | instskip(SKIP_2) | instid1(VALU_DEP_2)
	v_add_co_u32 v5, vcc_lo, 0, v23
	s_wait_dscnt 0x0
	s_wait_alu 0xfffd
	v_add_co_ci_u32_e64 v6, null, v24, v6, vcc_lo
.LBB1266_83:                            ;   in Loop: Header=BB1266_70 Depth=1
	s_wait_alu 0xfffe
	s_or_b32 exec_lo, exec_lo, s4
	s_wait_dscnt 0x0
	ds_bpermute_b32 v24, v48, v23
	ds_bpermute_b32 v23, v48, v6
	s_mov_b32 s4, exec_lo
	v_cmpx_le_u32_e64 v49, v8
	s_cbranch_execz .LBB1266_68
; %bb.84:                               ;   in Loop: Header=BB1266_70 Depth=1
	s_wait_dscnt 0x1
	v_add_co_u32 v5, vcc_lo, v5, v24
	s_wait_alu 0xfffd
	v_add_co_ci_u32_e64 v6, null, 0, v6, vcc_lo
	s_delay_alu instid0(VALU_DEP_2) | instskip(SKIP_2) | instid1(VALU_DEP_2)
	v_add_co_u32 v5, vcc_lo, v5, 0
	s_wait_dscnt 0x0
	s_wait_alu 0xfffd
	v_add_co_ci_u32_e64 v6, null, v6, v23, vcc_lo
	s_branch .LBB1266_68
.LBB1266_85:
                                        ; implicit-def: $vgpr19_vgpr20
                                        ; implicit-def: $vgpr6_vgpr7
                                        ; implicit-def: $vgpr21_vgpr22
                                        ; implicit-def: $vgpr23_vgpr24
                                        ; implicit-def: $vgpr25_vgpr26
                                        ; implicit-def: $vgpr27_vgpr28
                                        ; implicit-def: $vgpr29_vgpr30
                                        ; implicit-def: $vgpr4_vgpr5
	s_wait_alu 0xfffe
	s_and_b32 vcc_lo, exec_lo, s1
	s_wait_alu 0xfffe
	s_cbranch_vccnz .LBB1266_91
	s_branch .LBB1266_118
.LBB1266_86:
	s_and_saveexec_b32 s4, s1
	s_cbranch_execz .LBB1266_88
; %bb.87:
	s_add_co_i32 s16, s18, 32
	s_mov_b32 s17, 0
	v_add_co_u32 v5, vcc_lo, v3, v1
	s_wait_alu 0xfffe
	s_lshl_b64 s[16:17], s[16:17], 4
	v_dual_mov_b32 v7, 2 :: v_dual_mov_b32 v8, 0
	s_wait_alu 0xfffe
	s_add_nc_u64 s[16:17], s[14:15], s[16:17]
	s_wait_alu 0xfffd
	v_add_co_ci_u32_e64 v6, null, v4, v2, vcc_lo
	s_wait_alu 0xfffe
	v_dual_mov_b32 v22, s17 :: v_dual_mov_b32 v21, s16
	;;#ASMSTART
	global_store_b128 v[21:22], v[5:8] off scope:SCOPE_DEV	
s_wait_storecnt 0x0
	;;#ASMEND
	ds_store_b128 v8, v[1:4] offset:10752
.LBB1266_88:
	s_wait_alu 0xfffe
	s_or_b32 exec_lo, exec_lo, s4
	s_delay_alu instid0(SALU_CYCLE_1)
	s_and_b32 exec_lo, exec_lo, s2
; %bb.89:
	v_mov_b32_e32 v1, 0
	ds_store_b64 v1, v[3:4] offset:88
.LBB1266_90:
	s_wait_alu 0xfffe
	s_or_b32 exec_lo, exec_lo, s3
	v_mov_b32_e32 v3, 0
	s_wait_loadcnt_dscnt 0x0
	s_barrier_signal -1
	s_barrier_wait -1
	global_inv scope:SCOPE_SE
	ds_load_b64 v[1:2], v3 offset:88
	v_cndmask_b32_e64 v4, v25, v19, s1
	v_cndmask_b32_e64 v5, v26, v20, s1
	s_wait_loadcnt_dscnt 0x0
	s_barrier_signal -1
	s_barrier_wait -1
	v_cndmask_b32_e64 v4, v4, 0, s2
	v_cndmask_b32_e64 v5, v5, 0, s2
	global_inv scope:SCOPE_SE
	v_add_co_u32 v29, vcc_lo, v1, v4
	s_wait_alu 0xfffd
	v_add_co_ci_u32_e64 v30, null, v2, v5, vcc_lo
	ds_load_b128 v[2:5], v3 offset:10752
	v_add_co_u32 v27, vcc_lo, v29, v39
	s_wait_alu 0xfffd
	v_add_co_ci_u32_e64 v28, null, 0, v30, vcc_lo
	s_delay_alu instid0(VALU_DEP_2) | instskip(SKIP_1) | instid1(VALU_DEP_2)
	v_add_co_u32 v25, vcc_lo, v27, v38
	s_wait_alu 0xfffd
	v_add_co_ci_u32_e64 v26, null, 0, v28, vcc_lo
	s_delay_alu instid0(VALU_DEP_2) | instskip(SKIP_1) | instid1(VALU_DEP_2)
	;; [unrolled: 4-line block ×5, first 2 shown]
	v_add_co_u32 v19, vcc_lo, v6, v37
	s_wait_alu 0xfffd
	v_add_co_ci_u32_e64 v20, null, 0, v7, vcc_lo
	s_branch .LBB1266_118
.LBB1266_91:
	s_wait_dscnt 0x0
	v_dual_mov_b32 v2, 0 :: v_dual_mov_b32 v3, v17
	v_mov_b32_dpp v4, v17 row_shr:1 row_mask:0xf bank_mask:0xf
	s_delay_alu instid0(VALU_DEP_2)
	v_mov_b32_dpp v1, v2 row_shr:1 row_mask:0xf bank_mask:0xf
	s_and_saveexec_b32 s1, s0
; %bb.92:
	s_delay_alu instid0(VALU_DEP_2) | instskip(SKIP_2) | instid1(VALU_DEP_2)
	v_add_co_u32 v3, vcc_lo, v17, v4
	s_wait_alu 0xfffd
	v_add_co_ci_u32_e64 v2, null, 0, v18, vcc_lo
	v_add_co_u32 v17, vcc_lo, 0, v3
	s_wait_alu 0xfffd
	s_delay_alu instid0(VALU_DEP_2) | instskip(NEXT) | instid1(VALU_DEP_1)
	v_add_co_ci_u32_e64 v18, null, v1, v2, vcc_lo
	v_mov_b32_e32 v2, v18
; %bb.93:
	s_wait_alu 0xfffe
	s_or_b32 exec_lo, exec_lo, s1
	v_mov_b32_dpp v1, v3 row_shr:2 row_mask:0xf bank_mask:0xf
	s_delay_alu instid0(VALU_DEP_2)
	v_mov_b32_dpp v4, v2 row_shr:2 row_mask:0xf bank_mask:0xf
	v_cmp_lt_u32_e32 vcc_lo, 1, v43
	s_and_saveexec_b32 s3, vcc_lo
; %bb.94:
	s_delay_alu instid0(VALU_DEP_3) | instskip(SKIP_2) | instid1(VALU_DEP_2)
	v_add_co_u32 v3, s1, v17, v1
	s_wait_alu 0xf1ff
	v_add_co_ci_u32_e64 v2, null, 0, v18, s1
	v_add_co_u32 v1, s1, 0, v3
	s_wait_alu 0xf1ff
	s_delay_alu instid0(VALU_DEP_2) | instskip(NEXT) | instid1(VALU_DEP_1)
	v_add_co_ci_u32_e64 v2, null, v4, v2, s1
	v_dual_mov_b32 v18, v2 :: v_dual_mov_b32 v17, v1
; %bb.95:
	s_wait_alu 0xfffe
	s_or_b32 exec_lo, exec_lo, s3
	v_mov_b32_dpp v1, v3 row_shr:4 row_mask:0xf bank_mask:0xf
	v_mov_b32_dpp v4, v2 row_shr:4 row_mask:0xf bank_mask:0xf
	v_cmp_lt_u32_e64 s1, 3, v43
	s_and_saveexec_b32 s4, s1
; %bb.96:
	v_add_co_u32 v3, s3, v17, v1
	s_wait_alu 0xf1ff
	v_add_co_ci_u32_e64 v2, null, 0, v18, s3
	s_delay_alu instid0(VALU_DEP_2) | instskip(SKIP_1) | instid1(VALU_DEP_2)
	v_add_co_u32 v1, s3, 0, v3
	s_wait_alu 0xf1ff
	v_add_co_ci_u32_e64 v2, null, v4, v2, s3
	s_delay_alu instid0(VALU_DEP_1)
	v_dual_mov_b32 v18, v2 :: v_dual_mov_b32 v17, v1
; %bb.97:
	s_wait_alu 0xfffe
	s_or_b32 exec_lo, exec_lo, s4
	v_mov_b32_dpp v4, v3 row_shr:8 row_mask:0xf bank_mask:0xf
	v_mov_b32_dpp v1, v2 row_shr:8 row_mask:0xf bank_mask:0xf
	v_cmp_lt_u32_e64 s3, 7, v43
	s_and_saveexec_b32 s5, s3
; %bb.98:
	v_add_co_u32 v3, s4, v17, v4
	s_wait_alu 0xf1ff
	v_add_co_ci_u32_e64 v2, null, 0, v18, s4
	s_delay_alu instid0(VALU_DEP_2) | instskip(SKIP_1) | instid1(VALU_DEP_2)
	v_add_co_u32 v17, s4, 0, v3
	s_wait_alu 0xf1ff
	v_add_co_ci_u32_e64 v18, null, v1, v2, s4
	s_delay_alu instid0(VALU_DEP_1)
	v_mov_b32_e32 v2, v18
; %bb.99:
	s_wait_alu 0xfffe
	s_or_b32 exec_lo, exec_lo, s5
	ds_swizzle_b32 v3, v3 offset:swizzle(BROADCAST,32,15)
	ds_swizzle_b32 v1, v2 offset:swizzle(BROADCAST,32,15)
	v_and_b32_e32 v2, 16, v42
	s_mov_b32 s5, exec_lo
	s_delay_alu instid0(VALU_DEP_1)
	v_cmpx_ne_u32_e32 0, v2
	s_cbranch_execz .LBB1266_101
; %bb.100:
	s_wait_dscnt 0x1
	v_add_co_u32 v2, s4, v17, v3
	s_wait_alu 0xf1ff
	v_add_co_ci_u32_e64 v3, null, 0, v18, s4
	s_delay_alu instid0(VALU_DEP_2) | instskip(SKIP_2) | instid1(VALU_DEP_2)
	v_add_co_u32 v17, s4, v2, 0
	s_wait_dscnt 0x0
	s_wait_alu 0xf1ff
	v_add_co_ci_u32_e64 v18, null, v3, v1, s4
.LBB1266_101:
	s_wait_alu 0xfffe
	s_or_b32 exec_lo, exec_lo, s5
	s_wait_dscnt 0x0
	v_and_b32_e32 v1, 0x1e0, v0
	v_lshrrev_b32_e32 v3, 5, v0
	s_mov_b32 s5, exec_lo
	s_delay_alu instid0(VALU_DEP_2) | instskip(NEXT) | instid1(VALU_DEP_1)
	v_min_u32_e32 v1, 0x160, v1
	v_or_b32_e32 v1, 31, v1
	s_delay_alu instid0(VALU_DEP_1)
	v_cmpx_eq_u32_e64 v0, v1
; %bb.102:
	v_lshlrev_b32_e32 v1, 3, v3
	ds_store_b64 v1, v[17:18]
; %bb.103:
	s_wait_alu 0xfffe
	s_or_b32 exec_lo, exec_lo, s5
	s_delay_alu instid0(SALU_CYCLE_1)
	s_mov_b32 s5, exec_lo
	s_wait_loadcnt_dscnt 0x0
	s_barrier_signal -1
	s_barrier_wait -1
	global_inv scope:SCOPE_SE
	v_cmpx_gt_u32_e32 12, v0
	s_cbranch_execz .LBB1266_113
; %bb.104:
	v_mad_i32_i24 v1, 0xffffffec, v0, v32
	ds_load_b64 v[1:2], v1
	s_wait_dscnt 0x0
	v_mov_b32_dpp v6, v1 row_shr:1 row_mask:0xf bank_mask:0xf
	v_mov_b32_dpp v5, v2 row_shr:1 row_mask:0xf bank_mask:0xf
	v_mov_b32_e32 v4, v1
	s_and_saveexec_b32 s4, s0
; %bb.105:
	s_delay_alu instid0(VALU_DEP_3) | instskip(SKIP_2) | instid1(VALU_DEP_2)
	v_add_co_u32 v4, s0, v1, v6
	s_wait_alu 0xf1ff
	v_add_co_ci_u32_e64 v2, null, 0, v2, s0
	v_add_co_u32 v1, s0, 0, v4
	s_wait_alu 0xf1ff
	s_delay_alu instid0(VALU_DEP_2)
	v_add_co_ci_u32_e64 v2, null, v5, v2, s0
; %bb.106:
	s_wait_alu 0xfffe
	s_or_b32 exec_lo, exec_lo, s4
	v_mov_b32_dpp v6, v4 row_shr:2 row_mask:0xf bank_mask:0xf
	s_delay_alu instid0(VALU_DEP_2)
	v_mov_b32_dpp v5, v2 row_shr:2 row_mask:0xf bank_mask:0xf
	s_and_saveexec_b32 s0, vcc_lo
; %bb.107:
	s_delay_alu instid0(VALU_DEP_2) | instskip(SKIP_2) | instid1(VALU_DEP_2)
	v_add_co_u32 v4, vcc_lo, v1, v6
	s_wait_alu 0xfffd
	v_add_co_ci_u32_e64 v2, null, 0, v2, vcc_lo
	v_add_co_u32 v1, vcc_lo, 0, v4
	s_wait_alu 0xfffd
	s_delay_alu instid0(VALU_DEP_2)
	v_add_co_ci_u32_e64 v2, null, v5, v2, vcc_lo
; %bb.108:
	s_wait_alu 0xfffe
	s_or_b32 exec_lo, exec_lo, s0
	v_mov_b32_dpp v6, v4 row_shr:4 row_mask:0xf bank_mask:0xf
	s_delay_alu instid0(VALU_DEP_2)
	v_mov_b32_dpp v5, v2 row_shr:4 row_mask:0xf bank_mask:0xf
	s_and_saveexec_b32 s0, s1
; %bb.109:
	s_delay_alu instid0(VALU_DEP_2) | instskip(SKIP_2) | instid1(VALU_DEP_2)
	v_add_co_u32 v4, vcc_lo, v1, v6
	s_wait_alu 0xfffd
	v_add_co_ci_u32_e64 v2, null, 0, v2, vcc_lo
	v_add_co_u32 v1, vcc_lo, 0, v4
	s_wait_alu 0xfffd
	s_delay_alu instid0(VALU_DEP_2)
	v_add_co_ci_u32_e64 v2, null, v5, v2, vcc_lo
; %bb.110:
	s_wait_alu 0xfffe
	s_or_b32 exec_lo, exec_lo, s0
	v_mul_i32_i24_e32 v5, 0xffffffec, v0
	v_mov_b32_dpp v6, v4 row_shr:8 row_mask:0xf bank_mask:0xf
	v_mov_b32_dpp v4, v2 row_shr:8 row_mask:0xf bank_mask:0xf
	s_and_saveexec_b32 s0, s3
; %bb.111:
	s_delay_alu instid0(VALU_DEP_2) | instskip(SKIP_2) | instid1(VALU_DEP_2)
	v_add_co_u32 v1, vcc_lo, v1, v6
	s_wait_alu 0xfffd
	v_add_co_ci_u32_e64 v2, null, 0, v2, vcc_lo
	v_add_co_u32 v1, vcc_lo, v1, 0
	s_wait_alu 0xfffd
	s_delay_alu instid0(VALU_DEP_2)
	v_add_co_ci_u32_e64 v2, null, v2, v4, vcc_lo
; %bb.112:
	s_wait_alu 0xfffe
	s_or_b32 exec_lo, exec_lo, s0
	v_add_nc_u32_e32 v4, v32, v5
	ds_store_b64 v4, v[1:2]
.LBB1266_113:
	s_wait_alu 0xfffe
	s_or_b32 exec_lo, exec_lo, s5
	v_mov_b32_e32 v6, 0
	v_mov_b32_e32 v7, 0
	s_mov_b32 s0, exec_lo
	s_wait_loadcnt_dscnt 0x0
	s_barrier_signal -1
	s_barrier_wait -1
	global_inv scope:SCOPE_SE
	v_cmpx_lt_u32_e32 31, v0
; %bb.114:
	v_lshl_add_u32 v1, v3, 3, -8
	ds_load_b64 v[6:7], v1
; %bb.115:
	s_wait_alu 0xfffe
	s_or_b32 exec_lo, exec_lo, s0
	v_sub_co_u32 v1, vcc_lo, v42, 1
	v_mov_b32_e32 v5, 0
	s_delay_alu instid0(VALU_DEP_2) | instskip(SKIP_1) | instid1(VALU_DEP_1)
	v_cmp_gt_i32_e64 s0, 0, v1
	s_wait_alu 0xf1ff
	v_cndmask_b32_e64 v1, v1, v42, s0
	s_delay_alu instid0(VALU_DEP_1)
	v_lshlrev_b32_e32 v2, 2, v1
	s_wait_dscnt 0x0
	v_add_co_u32 v1, s0, v6, v17
	s_wait_alu 0xf1ff
	v_add_co_ci_u32_e64 v3, null, v7, v18, s0
	ds_bpermute_b32 v1, v2, v1
	ds_bpermute_b32 v8, v2, v3
	ds_load_b64 v[2:3], v5 offset:88
	s_and_saveexec_b32 s0, s2
	s_cbranch_execz .LBB1266_117
; %bb.116:
	s_add_nc_u64 s[4:5], s[14:15], 0x200
	v_mov_b32_e32 v4, 2
	s_wait_alu 0xfffe
	v_dual_mov_b32 v18, s5 :: v_dual_mov_b32 v17, s4
	s_wait_dscnt 0x0
	;;#ASMSTART
	global_store_b128 v[17:18], v[2:5] off scope:SCOPE_DEV	
s_wait_storecnt 0x0
	;;#ASMEND
.LBB1266_117:
	s_wait_alu 0xfffe
	s_or_b32 exec_lo, exec_lo, s0
	s_wait_dscnt 0x1
	s_wait_alu 0xfffd
	v_dual_cndmask_b32 v1, v1, v6 :: v_dual_cndmask_b32 v4, v8, v7
	s_wait_loadcnt_dscnt 0x0
	s_barrier_signal -1
	s_barrier_wait -1
	s_delay_alu instid0(VALU_DEP_1)
	v_cndmask_b32_e64 v29, v1, 0, s2
	v_cndmask_b32_e64 v30, v4, 0, s2
	v_mov_b32_e32 v4, 0
	v_mov_b32_e32 v5, 0
	global_inv scope:SCOPE_SE
	v_add_co_u32 v27, vcc_lo, v29, v39
	s_wait_alu 0xfffd
	v_add_co_ci_u32_e64 v28, null, 0, v30, vcc_lo
	s_delay_alu instid0(VALU_DEP_2) | instskip(SKIP_1) | instid1(VALU_DEP_2)
	v_add_co_u32 v25, vcc_lo, v27, v38
	s_wait_alu 0xfffd
	v_add_co_ci_u32_e64 v26, null, 0, v28, vcc_lo
	s_delay_alu instid0(VALU_DEP_2) | instskip(SKIP_1) | instid1(VALU_DEP_2)
	;; [unrolled: 4-line block ×5, first 2 shown]
	v_add_co_u32 v19, vcc_lo, v6, v37
	s_wait_alu 0xfffd
	v_add_co_ci_u32_e64 v20, null, 0, v7, vcc_lo
.LBB1266_118:
	v_and_b32_e32 v37, 1, v31
	s_wait_dscnt 0x0
	v_cmp_gt_u64_e32 vcc_lo, 0x181, v[2:3]
	v_lshlrev_b64_e32 v[17:18], 2, v[9:10]
	v_lshrrev_b32_e32 v8, 8, v31
	v_lshrrev_b32_e32 v1, 16, v31
	v_cmp_eq_u32_e64 s0, 1, v37
	s_mov_b32 s1, -1
	s_cbranch_vccnz .LBB1266_122
; %bb.119:
	s_wait_alu 0xfffe
	s_and_b32 vcc_lo, exec_lo, s1
	s_wait_alu 0xfffe
	s_cbranch_vccnz .LBB1266_137
.LBB1266_120:
	s_and_b32 s0, s2, s7
	s_wait_alu 0xfffe
	s_and_saveexec_b32 s1, s0
	s_cbranch_execnz .LBB1266_154
.LBB1266_121:
	s_endpgm
.LBB1266_122:
	v_add_co_u32 v31, vcc_lo, v4, v2
	s_wait_alu 0xfffd
	v_add_co_ci_u32_e64 v32, null, v5, v3, vcc_lo
	v_add_co_u32 v38, s1, s12, v17
	s_wait_alu 0xf1fe
	v_add_co_ci_u32_e64 v39, null, s13, v18, s1
	s_delay_alu instid0(VALU_DEP_3)
	v_cmp_lt_u64_e32 vcc_lo, v[29:30], v[31:32]
	s_or_b32 s1, s10, vcc_lo
	s_wait_alu 0xfffe
	s_and_b32 s1, s1, s0
	s_wait_alu 0xfffe
	s_and_saveexec_b32 s0, s1
	s_cbranch_execz .LBB1266_124
; %bb.123:
	v_lshlrev_b64_e32 v[40:41], 2, v[29:30]
	s_delay_alu instid0(VALU_DEP_1) | instskip(SKIP_1) | instid1(VALU_DEP_2)
	v_add_co_u32 v40, vcc_lo, v38, v40
	s_wait_alu 0xfffd
	v_add_co_ci_u32_e64 v41, null, v39, v41, vcc_lo
	global_store_b32 v[40:41], v15, off
.LBB1266_124:
	s_wait_alu 0xfffe
	s_or_b32 exec_lo, exec_lo, s0
	v_and_b32_e32 v30, 1, v8
	v_cmp_lt_u64_e32 vcc_lo, v[27:28], v[31:32]
	s_delay_alu instid0(VALU_DEP_2)
	v_cmp_eq_u32_e64 s0, 1, v30
	s_or_b32 s1, s10, vcc_lo
	s_wait_alu 0xfffe
	s_and_b32 s1, s1, s0
	s_wait_alu 0xfffe
	s_and_saveexec_b32 s0, s1
	s_cbranch_execz .LBB1266_126
; %bb.125:
	v_lshlrev_b64_e32 v[40:41], 2, v[27:28]
	s_delay_alu instid0(VALU_DEP_1) | instskip(SKIP_1) | instid1(VALU_DEP_2)
	v_add_co_u32 v40, vcc_lo, v38, v40
	s_wait_alu 0xfffd
	v_add_co_ci_u32_e64 v41, null, v39, v41, vcc_lo
	global_store_b32 v[40:41], v16, off
.LBB1266_126:
	s_wait_alu 0xfffe
	s_or_b32 exec_lo, exec_lo, s0
	v_and_b32_e32 v28, 1, v1
	v_cmp_lt_u64_e32 vcc_lo, v[25:26], v[31:32]
	s_delay_alu instid0(VALU_DEP_2)
	v_cmp_eq_u32_e64 s0, 1, v28
	;; [unrolled: 20-line block ×5, first 2 shown]
	s_or_b32 s1, s10, vcc_lo
	s_wait_alu 0xfffe
	s_and_b32 s1, s1, s0
	s_wait_alu 0xfffe
	s_and_saveexec_b32 s0, s1
	s_cbranch_execz .LBB1266_134
; %bb.133:
	v_lshlrev_b64_e32 v[40:41], 2, v[6:7]
	s_delay_alu instid0(VALU_DEP_1) | instskip(SKIP_1) | instid1(VALU_DEP_2)
	v_add_co_u32 v40, vcc_lo, v38, v40
	s_wait_alu 0xfffd
	v_add_co_ci_u32_e64 v41, null, v39, v41, vcc_lo
	global_store_b32 v[40:41], v12, off
.LBB1266_134:
	s_wait_alu 0xfffe
	s_or_b32 exec_lo, exec_lo, s0
	v_cmp_lt_u64_e32 vcc_lo, v[19:20], v[31:32]
	s_or_b32 s0, s10, vcc_lo
	s_wait_alu 0xfffe
	s_and_b32 s1, s0, s11
	s_wait_alu 0xfffe
	s_and_saveexec_b32 s0, s1
	s_cbranch_execz .LBB1266_136
; %bb.135:
	v_lshlrev_b64_e32 v[30:31], 2, v[19:20]
	s_delay_alu instid0(VALU_DEP_1) | instskip(SKIP_1) | instid1(VALU_DEP_2)
	v_add_co_u32 v30, vcc_lo, v38, v30
	s_wait_alu 0xfffd
	v_add_co_ci_u32_e64 v31, null, v39, v31, vcc_lo
	global_store_b32 v[30:31], v33, off
.LBB1266_136:
	s_wait_alu 0xfffe
	s_or_b32 exec_lo, exec_lo, s0
	s_branch .LBB1266_120
.LBB1266_137:
	s_mov_b32 s0, exec_lo
	v_cmpx_eq_u32_e32 1, v37
; %bb.138:
	v_sub_nc_u32_e32 v7, v29, v4
	s_delay_alu instid0(VALU_DEP_1)
	v_lshlrev_b32_e32 v7, 2, v7
	ds_store_b32 v7, v15
; %bb.139:
	s_wait_alu 0xfffe
	s_or_b32 exec_lo, exec_lo, s0
	v_and_b32_e32 v7, 1, v8
	s_mov_b32 s0, exec_lo
	s_delay_alu instid0(VALU_DEP_1)
	v_cmpx_eq_u32_e32 1, v7
; %bb.140:
	v_sub_nc_u32_e32 v7, v27, v4
	s_delay_alu instid0(VALU_DEP_1)
	v_lshlrev_b32_e32 v7, 2, v7
	ds_store_b32 v7, v16
; %bb.141:
	s_wait_alu 0xfffe
	s_or_b32 exec_lo, exec_lo, s0
	v_and_b32_e32 v1, 1, v1
	s_mov_b32 s0, exec_lo
	s_delay_alu instid0(VALU_DEP_1)
	;; [unrolled: 12-line block ×5, first 2 shown]
	v_cmpx_eq_u32_e32 1, v1
; %bb.148:
	v_sub_nc_u32_e32 v1, v6, v4
	s_delay_alu instid0(VALU_DEP_1)
	v_lshlrev_b32_e32 v1, 2, v1
	ds_store_b32 v1, v12
; %bb.149:
	s_wait_alu 0xfffe
	s_or_b32 exec_lo, exec_lo, s0
	s_and_saveexec_b32 s0, s11
; %bb.150:
	v_sub_nc_u32_e32 v1, v19, v4
	s_delay_alu instid0(VALU_DEP_1)
	v_lshlrev_b32_e32 v1, 2, v1
	ds_store_b32 v1, v33
; %bb.151:
	s_wait_alu 0xfffe
	s_or_b32 exec_lo, exec_lo, s0
	v_lshlrev_b64_e32 v[11:12], 2, v[4:5]
	v_add_co_u32 v8, vcc_lo, s12, v17
	v_mov_b32_e32 v1, 0
	s_wait_alu 0xfffd
	v_add_co_ci_u32_e64 v13, null, s13, v18, vcc_lo
	s_delay_alu instid0(VALU_DEP_3) | instskip(NEXT) | instid1(VALU_DEP_3)
	v_add_co_u32 v8, vcc_lo, v8, v11
	v_dual_mov_b32 v7, v1 :: v_dual_mov_b32 v6, v0
	s_wait_alu 0xfffd
	s_delay_alu instid0(VALU_DEP_3)
	v_add_co_ci_u32_e64 v11, null, v13, v12, vcc_lo
	v_add_nc_u32_e32 v0, 0x180, v0
	s_mov_b32 s1, 0
	s_wait_storecnt 0x0
	s_wait_loadcnt_dscnt 0x0
	s_barrier_signal -1
	s_barrier_wait -1
	global_inv scope:SCOPE_SE
.LBB1266_152:                           ; =>This Inner Loop Header: Depth=1
	v_lshlrev_b32_e32 v12, 2, v6
	v_cmp_le_u64_e32 vcc_lo, v[2:3], v[0:1]
	ds_load_b32 v14, v12
	v_lshlrev_b64_e32 v[12:13], 2, v[6:7]
	v_dual_mov_b32 v7, v1 :: v_dual_mov_b32 v6, v0
	v_add_nc_u32_e32 v0, 0x180, v0
	s_wait_alu 0xfffe
	s_or_b32 s1, vcc_lo, s1
	s_delay_alu instid0(VALU_DEP_3)
	v_add_co_u32 v12, s0, v8, v12
	s_wait_alu 0xf1ff
	v_add_co_ci_u32_e64 v13, null, v11, v13, s0
	s_wait_dscnt 0x0
	global_store_b32 v[12:13], v14, off
	s_wait_alu 0xfffe
	s_and_not1_b32 exec_lo, exec_lo, s1
	s_cbranch_execnz .LBB1266_152
; %bb.153:
	s_or_b32 exec_lo, exec_lo, s1
	s_and_b32 s0, s2, s7
	s_wait_alu 0xfffe
	s_and_saveexec_b32 s1, s0
	s_cbranch_execz .LBB1266_121
.LBB1266_154:
	v_add_co_u32 v0, vcc_lo, v4, v2
	s_wait_alu 0xfffd
	v_add_co_ci_u32_e64 v1, null, v5, v3, vcc_lo
	v_mov_b32_e32 v2, 0
	s_delay_alu instid0(VALU_DEP_3) | instskip(SKIP_1) | instid1(VALU_DEP_3)
	v_add_co_u32 v0, vcc_lo, v0, v9
	s_wait_alu 0xfffd
	v_add_co_ci_u32_e64 v1, null, v1, v10, vcc_lo
	global_store_b64 v2, v[0:1], s[8:9]
	s_endpgm
	.section	.rodata,"a",@progbits
	.p2align	6, 0x0
	.amdhsa_kernel _ZN7rocprim17ROCPRIM_400000_NS6detail17trampoline_kernelINS0_14default_configENS1_25partition_config_selectorILNS1_17partition_subalgoE6EiNS0_10empty_typeEbEEZZNS1_14partition_implILS5_6ELb0ES3_mN6thrust23THRUST_200600_302600_NS6detail15normal_iteratorINSA_10device_ptrIiEEEEPS6_SG_NS0_5tupleIJSF_S6_EEENSH_IJSG_SG_EEES6_PlJNSB_9not_fun_tI7is_trueIiEEEEEE10hipError_tPvRmT3_T4_T5_T6_T7_T9_mT8_P12ihipStream_tbDpT10_ENKUlT_T0_E_clISt17integral_constantIbLb0EES17_IbLb1EEEEDaS13_S14_EUlS13_E_NS1_11comp_targetILNS1_3genE10ELNS1_11target_archE1200ELNS1_3gpuE4ELNS1_3repE0EEENS1_30default_config_static_selectorELNS0_4arch9wavefront6targetE0EEEvT1_
		.amdhsa_group_segment_fixed_size 10768
		.amdhsa_private_segment_fixed_size 0
		.amdhsa_kernarg_size 128
		.amdhsa_user_sgpr_count 2
		.amdhsa_user_sgpr_dispatch_ptr 0
		.amdhsa_user_sgpr_queue_ptr 0
		.amdhsa_user_sgpr_kernarg_segment_ptr 1
		.amdhsa_user_sgpr_dispatch_id 0
		.amdhsa_user_sgpr_private_segment_size 0
		.amdhsa_wavefront_size32 1
		.amdhsa_uses_dynamic_stack 0
		.amdhsa_enable_private_segment 0
		.amdhsa_system_sgpr_workgroup_id_x 1
		.amdhsa_system_sgpr_workgroup_id_y 0
		.amdhsa_system_sgpr_workgroup_id_z 0
		.amdhsa_system_sgpr_workgroup_info 0
		.amdhsa_system_vgpr_workitem_id 0
		.amdhsa_next_free_vgpr 51
		.amdhsa_next_free_sgpr 20
		.amdhsa_reserve_vcc 1
		.amdhsa_float_round_mode_32 0
		.amdhsa_float_round_mode_16_64 0
		.amdhsa_float_denorm_mode_32 3
		.amdhsa_float_denorm_mode_16_64 3
		.amdhsa_fp16_overflow 0
		.amdhsa_workgroup_processor_mode 1
		.amdhsa_memory_ordered 1
		.amdhsa_forward_progress 1
		.amdhsa_inst_pref_size 60
		.amdhsa_round_robin_scheduling 0
		.amdhsa_exception_fp_ieee_invalid_op 0
		.amdhsa_exception_fp_denorm_src 0
		.amdhsa_exception_fp_ieee_div_zero 0
		.amdhsa_exception_fp_ieee_overflow 0
		.amdhsa_exception_fp_ieee_underflow 0
		.amdhsa_exception_fp_ieee_inexact 0
		.amdhsa_exception_int_div_zero 0
	.end_amdhsa_kernel
	.section	.text._ZN7rocprim17ROCPRIM_400000_NS6detail17trampoline_kernelINS0_14default_configENS1_25partition_config_selectorILNS1_17partition_subalgoE6EiNS0_10empty_typeEbEEZZNS1_14partition_implILS5_6ELb0ES3_mN6thrust23THRUST_200600_302600_NS6detail15normal_iteratorINSA_10device_ptrIiEEEEPS6_SG_NS0_5tupleIJSF_S6_EEENSH_IJSG_SG_EEES6_PlJNSB_9not_fun_tI7is_trueIiEEEEEE10hipError_tPvRmT3_T4_T5_T6_T7_T9_mT8_P12ihipStream_tbDpT10_ENKUlT_T0_E_clISt17integral_constantIbLb0EES17_IbLb1EEEEDaS13_S14_EUlS13_E_NS1_11comp_targetILNS1_3genE10ELNS1_11target_archE1200ELNS1_3gpuE4ELNS1_3repE0EEENS1_30default_config_static_selectorELNS0_4arch9wavefront6targetE0EEEvT1_,"axG",@progbits,_ZN7rocprim17ROCPRIM_400000_NS6detail17trampoline_kernelINS0_14default_configENS1_25partition_config_selectorILNS1_17partition_subalgoE6EiNS0_10empty_typeEbEEZZNS1_14partition_implILS5_6ELb0ES3_mN6thrust23THRUST_200600_302600_NS6detail15normal_iteratorINSA_10device_ptrIiEEEEPS6_SG_NS0_5tupleIJSF_S6_EEENSH_IJSG_SG_EEES6_PlJNSB_9not_fun_tI7is_trueIiEEEEEE10hipError_tPvRmT3_T4_T5_T6_T7_T9_mT8_P12ihipStream_tbDpT10_ENKUlT_T0_E_clISt17integral_constantIbLb0EES17_IbLb1EEEEDaS13_S14_EUlS13_E_NS1_11comp_targetILNS1_3genE10ELNS1_11target_archE1200ELNS1_3gpuE4ELNS1_3repE0EEENS1_30default_config_static_selectorELNS0_4arch9wavefront6targetE0EEEvT1_,comdat
.Lfunc_end1266:
	.size	_ZN7rocprim17ROCPRIM_400000_NS6detail17trampoline_kernelINS0_14default_configENS1_25partition_config_selectorILNS1_17partition_subalgoE6EiNS0_10empty_typeEbEEZZNS1_14partition_implILS5_6ELb0ES3_mN6thrust23THRUST_200600_302600_NS6detail15normal_iteratorINSA_10device_ptrIiEEEEPS6_SG_NS0_5tupleIJSF_S6_EEENSH_IJSG_SG_EEES6_PlJNSB_9not_fun_tI7is_trueIiEEEEEE10hipError_tPvRmT3_T4_T5_T6_T7_T9_mT8_P12ihipStream_tbDpT10_ENKUlT_T0_E_clISt17integral_constantIbLb0EES17_IbLb1EEEEDaS13_S14_EUlS13_E_NS1_11comp_targetILNS1_3genE10ELNS1_11target_archE1200ELNS1_3gpuE4ELNS1_3repE0EEENS1_30default_config_static_selectorELNS0_4arch9wavefront6targetE0EEEvT1_, .Lfunc_end1266-_ZN7rocprim17ROCPRIM_400000_NS6detail17trampoline_kernelINS0_14default_configENS1_25partition_config_selectorILNS1_17partition_subalgoE6EiNS0_10empty_typeEbEEZZNS1_14partition_implILS5_6ELb0ES3_mN6thrust23THRUST_200600_302600_NS6detail15normal_iteratorINSA_10device_ptrIiEEEEPS6_SG_NS0_5tupleIJSF_S6_EEENSH_IJSG_SG_EEES6_PlJNSB_9not_fun_tI7is_trueIiEEEEEE10hipError_tPvRmT3_T4_T5_T6_T7_T9_mT8_P12ihipStream_tbDpT10_ENKUlT_T0_E_clISt17integral_constantIbLb0EES17_IbLb1EEEEDaS13_S14_EUlS13_E_NS1_11comp_targetILNS1_3genE10ELNS1_11target_archE1200ELNS1_3gpuE4ELNS1_3repE0EEENS1_30default_config_static_selectorELNS0_4arch9wavefront6targetE0EEEvT1_
                                        ; -- End function
	.set _ZN7rocprim17ROCPRIM_400000_NS6detail17trampoline_kernelINS0_14default_configENS1_25partition_config_selectorILNS1_17partition_subalgoE6EiNS0_10empty_typeEbEEZZNS1_14partition_implILS5_6ELb0ES3_mN6thrust23THRUST_200600_302600_NS6detail15normal_iteratorINSA_10device_ptrIiEEEEPS6_SG_NS0_5tupleIJSF_S6_EEENSH_IJSG_SG_EEES6_PlJNSB_9not_fun_tI7is_trueIiEEEEEE10hipError_tPvRmT3_T4_T5_T6_T7_T9_mT8_P12ihipStream_tbDpT10_ENKUlT_T0_E_clISt17integral_constantIbLb0EES17_IbLb1EEEEDaS13_S14_EUlS13_E_NS1_11comp_targetILNS1_3genE10ELNS1_11target_archE1200ELNS1_3gpuE4ELNS1_3repE0EEENS1_30default_config_static_selectorELNS0_4arch9wavefront6targetE0EEEvT1_.num_vgpr, 51
	.set _ZN7rocprim17ROCPRIM_400000_NS6detail17trampoline_kernelINS0_14default_configENS1_25partition_config_selectorILNS1_17partition_subalgoE6EiNS0_10empty_typeEbEEZZNS1_14partition_implILS5_6ELb0ES3_mN6thrust23THRUST_200600_302600_NS6detail15normal_iteratorINSA_10device_ptrIiEEEEPS6_SG_NS0_5tupleIJSF_S6_EEENSH_IJSG_SG_EEES6_PlJNSB_9not_fun_tI7is_trueIiEEEEEE10hipError_tPvRmT3_T4_T5_T6_T7_T9_mT8_P12ihipStream_tbDpT10_ENKUlT_T0_E_clISt17integral_constantIbLb0EES17_IbLb1EEEEDaS13_S14_EUlS13_E_NS1_11comp_targetILNS1_3genE10ELNS1_11target_archE1200ELNS1_3gpuE4ELNS1_3repE0EEENS1_30default_config_static_selectorELNS0_4arch9wavefront6targetE0EEEvT1_.num_agpr, 0
	.set _ZN7rocprim17ROCPRIM_400000_NS6detail17trampoline_kernelINS0_14default_configENS1_25partition_config_selectorILNS1_17partition_subalgoE6EiNS0_10empty_typeEbEEZZNS1_14partition_implILS5_6ELb0ES3_mN6thrust23THRUST_200600_302600_NS6detail15normal_iteratorINSA_10device_ptrIiEEEEPS6_SG_NS0_5tupleIJSF_S6_EEENSH_IJSG_SG_EEES6_PlJNSB_9not_fun_tI7is_trueIiEEEEEE10hipError_tPvRmT3_T4_T5_T6_T7_T9_mT8_P12ihipStream_tbDpT10_ENKUlT_T0_E_clISt17integral_constantIbLb0EES17_IbLb1EEEEDaS13_S14_EUlS13_E_NS1_11comp_targetILNS1_3genE10ELNS1_11target_archE1200ELNS1_3gpuE4ELNS1_3repE0EEENS1_30default_config_static_selectorELNS0_4arch9wavefront6targetE0EEEvT1_.numbered_sgpr, 20
	.set _ZN7rocprim17ROCPRIM_400000_NS6detail17trampoline_kernelINS0_14default_configENS1_25partition_config_selectorILNS1_17partition_subalgoE6EiNS0_10empty_typeEbEEZZNS1_14partition_implILS5_6ELb0ES3_mN6thrust23THRUST_200600_302600_NS6detail15normal_iteratorINSA_10device_ptrIiEEEEPS6_SG_NS0_5tupleIJSF_S6_EEENSH_IJSG_SG_EEES6_PlJNSB_9not_fun_tI7is_trueIiEEEEEE10hipError_tPvRmT3_T4_T5_T6_T7_T9_mT8_P12ihipStream_tbDpT10_ENKUlT_T0_E_clISt17integral_constantIbLb0EES17_IbLb1EEEEDaS13_S14_EUlS13_E_NS1_11comp_targetILNS1_3genE10ELNS1_11target_archE1200ELNS1_3gpuE4ELNS1_3repE0EEENS1_30default_config_static_selectorELNS0_4arch9wavefront6targetE0EEEvT1_.num_named_barrier, 0
	.set _ZN7rocprim17ROCPRIM_400000_NS6detail17trampoline_kernelINS0_14default_configENS1_25partition_config_selectorILNS1_17partition_subalgoE6EiNS0_10empty_typeEbEEZZNS1_14partition_implILS5_6ELb0ES3_mN6thrust23THRUST_200600_302600_NS6detail15normal_iteratorINSA_10device_ptrIiEEEEPS6_SG_NS0_5tupleIJSF_S6_EEENSH_IJSG_SG_EEES6_PlJNSB_9not_fun_tI7is_trueIiEEEEEE10hipError_tPvRmT3_T4_T5_T6_T7_T9_mT8_P12ihipStream_tbDpT10_ENKUlT_T0_E_clISt17integral_constantIbLb0EES17_IbLb1EEEEDaS13_S14_EUlS13_E_NS1_11comp_targetILNS1_3genE10ELNS1_11target_archE1200ELNS1_3gpuE4ELNS1_3repE0EEENS1_30default_config_static_selectorELNS0_4arch9wavefront6targetE0EEEvT1_.private_seg_size, 0
	.set _ZN7rocprim17ROCPRIM_400000_NS6detail17trampoline_kernelINS0_14default_configENS1_25partition_config_selectorILNS1_17partition_subalgoE6EiNS0_10empty_typeEbEEZZNS1_14partition_implILS5_6ELb0ES3_mN6thrust23THRUST_200600_302600_NS6detail15normal_iteratorINSA_10device_ptrIiEEEEPS6_SG_NS0_5tupleIJSF_S6_EEENSH_IJSG_SG_EEES6_PlJNSB_9not_fun_tI7is_trueIiEEEEEE10hipError_tPvRmT3_T4_T5_T6_T7_T9_mT8_P12ihipStream_tbDpT10_ENKUlT_T0_E_clISt17integral_constantIbLb0EES17_IbLb1EEEEDaS13_S14_EUlS13_E_NS1_11comp_targetILNS1_3genE10ELNS1_11target_archE1200ELNS1_3gpuE4ELNS1_3repE0EEENS1_30default_config_static_selectorELNS0_4arch9wavefront6targetE0EEEvT1_.uses_vcc, 1
	.set _ZN7rocprim17ROCPRIM_400000_NS6detail17trampoline_kernelINS0_14default_configENS1_25partition_config_selectorILNS1_17partition_subalgoE6EiNS0_10empty_typeEbEEZZNS1_14partition_implILS5_6ELb0ES3_mN6thrust23THRUST_200600_302600_NS6detail15normal_iteratorINSA_10device_ptrIiEEEEPS6_SG_NS0_5tupleIJSF_S6_EEENSH_IJSG_SG_EEES6_PlJNSB_9not_fun_tI7is_trueIiEEEEEE10hipError_tPvRmT3_T4_T5_T6_T7_T9_mT8_P12ihipStream_tbDpT10_ENKUlT_T0_E_clISt17integral_constantIbLb0EES17_IbLb1EEEEDaS13_S14_EUlS13_E_NS1_11comp_targetILNS1_3genE10ELNS1_11target_archE1200ELNS1_3gpuE4ELNS1_3repE0EEENS1_30default_config_static_selectorELNS0_4arch9wavefront6targetE0EEEvT1_.uses_flat_scratch, 1
	.set _ZN7rocprim17ROCPRIM_400000_NS6detail17trampoline_kernelINS0_14default_configENS1_25partition_config_selectorILNS1_17partition_subalgoE6EiNS0_10empty_typeEbEEZZNS1_14partition_implILS5_6ELb0ES3_mN6thrust23THRUST_200600_302600_NS6detail15normal_iteratorINSA_10device_ptrIiEEEEPS6_SG_NS0_5tupleIJSF_S6_EEENSH_IJSG_SG_EEES6_PlJNSB_9not_fun_tI7is_trueIiEEEEEE10hipError_tPvRmT3_T4_T5_T6_T7_T9_mT8_P12ihipStream_tbDpT10_ENKUlT_T0_E_clISt17integral_constantIbLb0EES17_IbLb1EEEEDaS13_S14_EUlS13_E_NS1_11comp_targetILNS1_3genE10ELNS1_11target_archE1200ELNS1_3gpuE4ELNS1_3repE0EEENS1_30default_config_static_selectorELNS0_4arch9wavefront6targetE0EEEvT1_.has_dyn_sized_stack, 0
	.set _ZN7rocprim17ROCPRIM_400000_NS6detail17trampoline_kernelINS0_14default_configENS1_25partition_config_selectorILNS1_17partition_subalgoE6EiNS0_10empty_typeEbEEZZNS1_14partition_implILS5_6ELb0ES3_mN6thrust23THRUST_200600_302600_NS6detail15normal_iteratorINSA_10device_ptrIiEEEEPS6_SG_NS0_5tupleIJSF_S6_EEENSH_IJSG_SG_EEES6_PlJNSB_9not_fun_tI7is_trueIiEEEEEE10hipError_tPvRmT3_T4_T5_T6_T7_T9_mT8_P12ihipStream_tbDpT10_ENKUlT_T0_E_clISt17integral_constantIbLb0EES17_IbLb1EEEEDaS13_S14_EUlS13_E_NS1_11comp_targetILNS1_3genE10ELNS1_11target_archE1200ELNS1_3gpuE4ELNS1_3repE0EEENS1_30default_config_static_selectorELNS0_4arch9wavefront6targetE0EEEvT1_.has_recursion, 0
	.set _ZN7rocprim17ROCPRIM_400000_NS6detail17trampoline_kernelINS0_14default_configENS1_25partition_config_selectorILNS1_17partition_subalgoE6EiNS0_10empty_typeEbEEZZNS1_14partition_implILS5_6ELb0ES3_mN6thrust23THRUST_200600_302600_NS6detail15normal_iteratorINSA_10device_ptrIiEEEEPS6_SG_NS0_5tupleIJSF_S6_EEENSH_IJSG_SG_EEES6_PlJNSB_9not_fun_tI7is_trueIiEEEEEE10hipError_tPvRmT3_T4_T5_T6_T7_T9_mT8_P12ihipStream_tbDpT10_ENKUlT_T0_E_clISt17integral_constantIbLb0EES17_IbLb1EEEEDaS13_S14_EUlS13_E_NS1_11comp_targetILNS1_3genE10ELNS1_11target_archE1200ELNS1_3gpuE4ELNS1_3repE0EEENS1_30default_config_static_selectorELNS0_4arch9wavefront6targetE0EEEvT1_.has_indirect_call, 0
	.section	.AMDGPU.csdata,"",@progbits
; Kernel info:
; codeLenInByte = 7624
; TotalNumSgprs: 22
; NumVgprs: 51
; ScratchSize: 0
; MemoryBound: 0
; FloatMode: 240
; IeeeMode: 1
; LDSByteSize: 10768 bytes/workgroup (compile time only)
; SGPRBlocks: 0
; VGPRBlocks: 6
; NumSGPRsForWavesPerEU: 22
; NumVGPRsForWavesPerEU: 51
; Occupancy: 15
; WaveLimiterHint : 1
; COMPUTE_PGM_RSRC2:SCRATCH_EN: 0
; COMPUTE_PGM_RSRC2:USER_SGPR: 2
; COMPUTE_PGM_RSRC2:TRAP_HANDLER: 0
; COMPUTE_PGM_RSRC2:TGID_X_EN: 1
; COMPUTE_PGM_RSRC2:TGID_Y_EN: 0
; COMPUTE_PGM_RSRC2:TGID_Z_EN: 0
; COMPUTE_PGM_RSRC2:TIDIG_COMP_CNT: 0
	.section	.text._ZN7rocprim17ROCPRIM_400000_NS6detail17trampoline_kernelINS0_14default_configENS1_25partition_config_selectorILNS1_17partition_subalgoE6EiNS0_10empty_typeEbEEZZNS1_14partition_implILS5_6ELb0ES3_mN6thrust23THRUST_200600_302600_NS6detail15normal_iteratorINSA_10device_ptrIiEEEEPS6_SG_NS0_5tupleIJSF_S6_EEENSH_IJSG_SG_EEES6_PlJNSB_9not_fun_tI7is_trueIiEEEEEE10hipError_tPvRmT3_T4_T5_T6_T7_T9_mT8_P12ihipStream_tbDpT10_ENKUlT_T0_E_clISt17integral_constantIbLb0EES17_IbLb1EEEEDaS13_S14_EUlS13_E_NS1_11comp_targetILNS1_3genE9ELNS1_11target_archE1100ELNS1_3gpuE3ELNS1_3repE0EEENS1_30default_config_static_selectorELNS0_4arch9wavefront6targetE0EEEvT1_,"axG",@progbits,_ZN7rocprim17ROCPRIM_400000_NS6detail17trampoline_kernelINS0_14default_configENS1_25partition_config_selectorILNS1_17partition_subalgoE6EiNS0_10empty_typeEbEEZZNS1_14partition_implILS5_6ELb0ES3_mN6thrust23THRUST_200600_302600_NS6detail15normal_iteratorINSA_10device_ptrIiEEEEPS6_SG_NS0_5tupleIJSF_S6_EEENSH_IJSG_SG_EEES6_PlJNSB_9not_fun_tI7is_trueIiEEEEEE10hipError_tPvRmT3_T4_T5_T6_T7_T9_mT8_P12ihipStream_tbDpT10_ENKUlT_T0_E_clISt17integral_constantIbLb0EES17_IbLb1EEEEDaS13_S14_EUlS13_E_NS1_11comp_targetILNS1_3genE9ELNS1_11target_archE1100ELNS1_3gpuE3ELNS1_3repE0EEENS1_30default_config_static_selectorELNS0_4arch9wavefront6targetE0EEEvT1_,comdat
	.protected	_ZN7rocprim17ROCPRIM_400000_NS6detail17trampoline_kernelINS0_14default_configENS1_25partition_config_selectorILNS1_17partition_subalgoE6EiNS0_10empty_typeEbEEZZNS1_14partition_implILS5_6ELb0ES3_mN6thrust23THRUST_200600_302600_NS6detail15normal_iteratorINSA_10device_ptrIiEEEEPS6_SG_NS0_5tupleIJSF_S6_EEENSH_IJSG_SG_EEES6_PlJNSB_9not_fun_tI7is_trueIiEEEEEE10hipError_tPvRmT3_T4_T5_T6_T7_T9_mT8_P12ihipStream_tbDpT10_ENKUlT_T0_E_clISt17integral_constantIbLb0EES17_IbLb1EEEEDaS13_S14_EUlS13_E_NS1_11comp_targetILNS1_3genE9ELNS1_11target_archE1100ELNS1_3gpuE3ELNS1_3repE0EEENS1_30default_config_static_selectorELNS0_4arch9wavefront6targetE0EEEvT1_ ; -- Begin function _ZN7rocprim17ROCPRIM_400000_NS6detail17trampoline_kernelINS0_14default_configENS1_25partition_config_selectorILNS1_17partition_subalgoE6EiNS0_10empty_typeEbEEZZNS1_14partition_implILS5_6ELb0ES3_mN6thrust23THRUST_200600_302600_NS6detail15normal_iteratorINSA_10device_ptrIiEEEEPS6_SG_NS0_5tupleIJSF_S6_EEENSH_IJSG_SG_EEES6_PlJNSB_9not_fun_tI7is_trueIiEEEEEE10hipError_tPvRmT3_T4_T5_T6_T7_T9_mT8_P12ihipStream_tbDpT10_ENKUlT_T0_E_clISt17integral_constantIbLb0EES17_IbLb1EEEEDaS13_S14_EUlS13_E_NS1_11comp_targetILNS1_3genE9ELNS1_11target_archE1100ELNS1_3gpuE3ELNS1_3repE0EEENS1_30default_config_static_selectorELNS0_4arch9wavefront6targetE0EEEvT1_
	.globl	_ZN7rocprim17ROCPRIM_400000_NS6detail17trampoline_kernelINS0_14default_configENS1_25partition_config_selectorILNS1_17partition_subalgoE6EiNS0_10empty_typeEbEEZZNS1_14partition_implILS5_6ELb0ES3_mN6thrust23THRUST_200600_302600_NS6detail15normal_iteratorINSA_10device_ptrIiEEEEPS6_SG_NS0_5tupleIJSF_S6_EEENSH_IJSG_SG_EEES6_PlJNSB_9not_fun_tI7is_trueIiEEEEEE10hipError_tPvRmT3_T4_T5_T6_T7_T9_mT8_P12ihipStream_tbDpT10_ENKUlT_T0_E_clISt17integral_constantIbLb0EES17_IbLb1EEEEDaS13_S14_EUlS13_E_NS1_11comp_targetILNS1_3genE9ELNS1_11target_archE1100ELNS1_3gpuE3ELNS1_3repE0EEENS1_30default_config_static_selectorELNS0_4arch9wavefront6targetE0EEEvT1_
	.p2align	8
	.type	_ZN7rocprim17ROCPRIM_400000_NS6detail17trampoline_kernelINS0_14default_configENS1_25partition_config_selectorILNS1_17partition_subalgoE6EiNS0_10empty_typeEbEEZZNS1_14partition_implILS5_6ELb0ES3_mN6thrust23THRUST_200600_302600_NS6detail15normal_iteratorINSA_10device_ptrIiEEEEPS6_SG_NS0_5tupleIJSF_S6_EEENSH_IJSG_SG_EEES6_PlJNSB_9not_fun_tI7is_trueIiEEEEEE10hipError_tPvRmT3_T4_T5_T6_T7_T9_mT8_P12ihipStream_tbDpT10_ENKUlT_T0_E_clISt17integral_constantIbLb0EES17_IbLb1EEEEDaS13_S14_EUlS13_E_NS1_11comp_targetILNS1_3genE9ELNS1_11target_archE1100ELNS1_3gpuE3ELNS1_3repE0EEENS1_30default_config_static_selectorELNS0_4arch9wavefront6targetE0EEEvT1_,@function
_ZN7rocprim17ROCPRIM_400000_NS6detail17trampoline_kernelINS0_14default_configENS1_25partition_config_selectorILNS1_17partition_subalgoE6EiNS0_10empty_typeEbEEZZNS1_14partition_implILS5_6ELb0ES3_mN6thrust23THRUST_200600_302600_NS6detail15normal_iteratorINSA_10device_ptrIiEEEEPS6_SG_NS0_5tupleIJSF_S6_EEENSH_IJSG_SG_EEES6_PlJNSB_9not_fun_tI7is_trueIiEEEEEE10hipError_tPvRmT3_T4_T5_T6_T7_T9_mT8_P12ihipStream_tbDpT10_ENKUlT_T0_E_clISt17integral_constantIbLb0EES17_IbLb1EEEEDaS13_S14_EUlS13_E_NS1_11comp_targetILNS1_3genE9ELNS1_11target_archE1100ELNS1_3gpuE3ELNS1_3repE0EEENS1_30default_config_static_selectorELNS0_4arch9wavefront6targetE0EEEvT1_: ; @_ZN7rocprim17ROCPRIM_400000_NS6detail17trampoline_kernelINS0_14default_configENS1_25partition_config_selectorILNS1_17partition_subalgoE6EiNS0_10empty_typeEbEEZZNS1_14partition_implILS5_6ELb0ES3_mN6thrust23THRUST_200600_302600_NS6detail15normal_iteratorINSA_10device_ptrIiEEEEPS6_SG_NS0_5tupleIJSF_S6_EEENSH_IJSG_SG_EEES6_PlJNSB_9not_fun_tI7is_trueIiEEEEEE10hipError_tPvRmT3_T4_T5_T6_T7_T9_mT8_P12ihipStream_tbDpT10_ENKUlT_T0_E_clISt17integral_constantIbLb0EES17_IbLb1EEEEDaS13_S14_EUlS13_E_NS1_11comp_targetILNS1_3genE9ELNS1_11target_archE1100ELNS1_3gpuE3ELNS1_3repE0EEENS1_30default_config_static_selectorELNS0_4arch9wavefront6targetE0EEEvT1_
; %bb.0:
	.section	.rodata,"a",@progbits
	.p2align	6, 0x0
	.amdhsa_kernel _ZN7rocprim17ROCPRIM_400000_NS6detail17trampoline_kernelINS0_14default_configENS1_25partition_config_selectorILNS1_17partition_subalgoE6EiNS0_10empty_typeEbEEZZNS1_14partition_implILS5_6ELb0ES3_mN6thrust23THRUST_200600_302600_NS6detail15normal_iteratorINSA_10device_ptrIiEEEEPS6_SG_NS0_5tupleIJSF_S6_EEENSH_IJSG_SG_EEES6_PlJNSB_9not_fun_tI7is_trueIiEEEEEE10hipError_tPvRmT3_T4_T5_T6_T7_T9_mT8_P12ihipStream_tbDpT10_ENKUlT_T0_E_clISt17integral_constantIbLb0EES17_IbLb1EEEEDaS13_S14_EUlS13_E_NS1_11comp_targetILNS1_3genE9ELNS1_11target_archE1100ELNS1_3gpuE3ELNS1_3repE0EEENS1_30default_config_static_selectorELNS0_4arch9wavefront6targetE0EEEvT1_
		.amdhsa_group_segment_fixed_size 0
		.amdhsa_private_segment_fixed_size 0
		.amdhsa_kernarg_size 128
		.amdhsa_user_sgpr_count 2
		.amdhsa_user_sgpr_dispatch_ptr 0
		.amdhsa_user_sgpr_queue_ptr 0
		.amdhsa_user_sgpr_kernarg_segment_ptr 1
		.amdhsa_user_sgpr_dispatch_id 0
		.amdhsa_user_sgpr_private_segment_size 0
		.amdhsa_wavefront_size32 1
		.amdhsa_uses_dynamic_stack 0
		.amdhsa_enable_private_segment 0
		.amdhsa_system_sgpr_workgroup_id_x 1
		.amdhsa_system_sgpr_workgroup_id_y 0
		.amdhsa_system_sgpr_workgroup_id_z 0
		.amdhsa_system_sgpr_workgroup_info 0
		.amdhsa_system_vgpr_workitem_id 0
		.amdhsa_next_free_vgpr 1
		.amdhsa_next_free_sgpr 1
		.amdhsa_reserve_vcc 0
		.amdhsa_float_round_mode_32 0
		.amdhsa_float_round_mode_16_64 0
		.amdhsa_float_denorm_mode_32 3
		.amdhsa_float_denorm_mode_16_64 3
		.amdhsa_fp16_overflow 0
		.amdhsa_workgroup_processor_mode 1
		.amdhsa_memory_ordered 1
		.amdhsa_forward_progress 1
		.amdhsa_inst_pref_size 0
		.amdhsa_round_robin_scheduling 0
		.amdhsa_exception_fp_ieee_invalid_op 0
		.amdhsa_exception_fp_denorm_src 0
		.amdhsa_exception_fp_ieee_div_zero 0
		.amdhsa_exception_fp_ieee_overflow 0
		.amdhsa_exception_fp_ieee_underflow 0
		.amdhsa_exception_fp_ieee_inexact 0
		.amdhsa_exception_int_div_zero 0
	.end_amdhsa_kernel
	.section	.text._ZN7rocprim17ROCPRIM_400000_NS6detail17trampoline_kernelINS0_14default_configENS1_25partition_config_selectorILNS1_17partition_subalgoE6EiNS0_10empty_typeEbEEZZNS1_14partition_implILS5_6ELb0ES3_mN6thrust23THRUST_200600_302600_NS6detail15normal_iteratorINSA_10device_ptrIiEEEEPS6_SG_NS0_5tupleIJSF_S6_EEENSH_IJSG_SG_EEES6_PlJNSB_9not_fun_tI7is_trueIiEEEEEE10hipError_tPvRmT3_T4_T5_T6_T7_T9_mT8_P12ihipStream_tbDpT10_ENKUlT_T0_E_clISt17integral_constantIbLb0EES17_IbLb1EEEEDaS13_S14_EUlS13_E_NS1_11comp_targetILNS1_3genE9ELNS1_11target_archE1100ELNS1_3gpuE3ELNS1_3repE0EEENS1_30default_config_static_selectorELNS0_4arch9wavefront6targetE0EEEvT1_,"axG",@progbits,_ZN7rocprim17ROCPRIM_400000_NS6detail17trampoline_kernelINS0_14default_configENS1_25partition_config_selectorILNS1_17partition_subalgoE6EiNS0_10empty_typeEbEEZZNS1_14partition_implILS5_6ELb0ES3_mN6thrust23THRUST_200600_302600_NS6detail15normal_iteratorINSA_10device_ptrIiEEEEPS6_SG_NS0_5tupleIJSF_S6_EEENSH_IJSG_SG_EEES6_PlJNSB_9not_fun_tI7is_trueIiEEEEEE10hipError_tPvRmT3_T4_T5_T6_T7_T9_mT8_P12ihipStream_tbDpT10_ENKUlT_T0_E_clISt17integral_constantIbLb0EES17_IbLb1EEEEDaS13_S14_EUlS13_E_NS1_11comp_targetILNS1_3genE9ELNS1_11target_archE1100ELNS1_3gpuE3ELNS1_3repE0EEENS1_30default_config_static_selectorELNS0_4arch9wavefront6targetE0EEEvT1_,comdat
.Lfunc_end1267:
	.size	_ZN7rocprim17ROCPRIM_400000_NS6detail17trampoline_kernelINS0_14default_configENS1_25partition_config_selectorILNS1_17partition_subalgoE6EiNS0_10empty_typeEbEEZZNS1_14partition_implILS5_6ELb0ES3_mN6thrust23THRUST_200600_302600_NS6detail15normal_iteratorINSA_10device_ptrIiEEEEPS6_SG_NS0_5tupleIJSF_S6_EEENSH_IJSG_SG_EEES6_PlJNSB_9not_fun_tI7is_trueIiEEEEEE10hipError_tPvRmT3_T4_T5_T6_T7_T9_mT8_P12ihipStream_tbDpT10_ENKUlT_T0_E_clISt17integral_constantIbLb0EES17_IbLb1EEEEDaS13_S14_EUlS13_E_NS1_11comp_targetILNS1_3genE9ELNS1_11target_archE1100ELNS1_3gpuE3ELNS1_3repE0EEENS1_30default_config_static_selectorELNS0_4arch9wavefront6targetE0EEEvT1_, .Lfunc_end1267-_ZN7rocprim17ROCPRIM_400000_NS6detail17trampoline_kernelINS0_14default_configENS1_25partition_config_selectorILNS1_17partition_subalgoE6EiNS0_10empty_typeEbEEZZNS1_14partition_implILS5_6ELb0ES3_mN6thrust23THRUST_200600_302600_NS6detail15normal_iteratorINSA_10device_ptrIiEEEEPS6_SG_NS0_5tupleIJSF_S6_EEENSH_IJSG_SG_EEES6_PlJNSB_9not_fun_tI7is_trueIiEEEEEE10hipError_tPvRmT3_T4_T5_T6_T7_T9_mT8_P12ihipStream_tbDpT10_ENKUlT_T0_E_clISt17integral_constantIbLb0EES17_IbLb1EEEEDaS13_S14_EUlS13_E_NS1_11comp_targetILNS1_3genE9ELNS1_11target_archE1100ELNS1_3gpuE3ELNS1_3repE0EEENS1_30default_config_static_selectorELNS0_4arch9wavefront6targetE0EEEvT1_
                                        ; -- End function
	.set _ZN7rocprim17ROCPRIM_400000_NS6detail17trampoline_kernelINS0_14default_configENS1_25partition_config_selectorILNS1_17partition_subalgoE6EiNS0_10empty_typeEbEEZZNS1_14partition_implILS5_6ELb0ES3_mN6thrust23THRUST_200600_302600_NS6detail15normal_iteratorINSA_10device_ptrIiEEEEPS6_SG_NS0_5tupleIJSF_S6_EEENSH_IJSG_SG_EEES6_PlJNSB_9not_fun_tI7is_trueIiEEEEEE10hipError_tPvRmT3_T4_T5_T6_T7_T9_mT8_P12ihipStream_tbDpT10_ENKUlT_T0_E_clISt17integral_constantIbLb0EES17_IbLb1EEEEDaS13_S14_EUlS13_E_NS1_11comp_targetILNS1_3genE9ELNS1_11target_archE1100ELNS1_3gpuE3ELNS1_3repE0EEENS1_30default_config_static_selectorELNS0_4arch9wavefront6targetE0EEEvT1_.num_vgpr, 0
	.set _ZN7rocprim17ROCPRIM_400000_NS6detail17trampoline_kernelINS0_14default_configENS1_25partition_config_selectorILNS1_17partition_subalgoE6EiNS0_10empty_typeEbEEZZNS1_14partition_implILS5_6ELb0ES3_mN6thrust23THRUST_200600_302600_NS6detail15normal_iteratorINSA_10device_ptrIiEEEEPS6_SG_NS0_5tupleIJSF_S6_EEENSH_IJSG_SG_EEES6_PlJNSB_9not_fun_tI7is_trueIiEEEEEE10hipError_tPvRmT3_T4_T5_T6_T7_T9_mT8_P12ihipStream_tbDpT10_ENKUlT_T0_E_clISt17integral_constantIbLb0EES17_IbLb1EEEEDaS13_S14_EUlS13_E_NS1_11comp_targetILNS1_3genE9ELNS1_11target_archE1100ELNS1_3gpuE3ELNS1_3repE0EEENS1_30default_config_static_selectorELNS0_4arch9wavefront6targetE0EEEvT1_.num_agpr, 0
	.set _ZN7rocprim17ROCPRIM_400000_NS6detail17trampoline_kernelINS0_14default_configENS1_25partition_config_selectorILNS1_17partition_subalgoE6EiNS0_10empty_typeEbEEZZNS1_14partition_implILS5_6ELb0ES3_mN6thrust23THRUST_200600_302600_NS6detail15normal_iteratorINSA_10device_ptrIiEEEEPS6_SG_NS0_5tupleIJSF_S6_EEENSH_IJSG_SG_EEES6_PlJNSB_9not_fun_tI7is_trueIiEEEEEE10hipError_tPvRmT3_T4_T5_T6_T7_T9_mT8_P12ihipStream_tbDpT10_ENKUlT_T0_E_clISt17integral_constantIbLb0EES17_IbLb1EEEEDaS13_S14_EUlS13_E_NS1_11comp_targetILNS1_3genE9ELNS1_11target_archE1100ELNS1_3gpuE3ELNS1_3repE0EEENS1_30default_config_static_selectorELNS0_4arch9wavefront6targetE0EEEvT1_.numbered_sgpr, 0
	.set _ZN7rocprim17ROCPRIM_400000_NS6detail17trampoline_kernelINS0_14default_configENS1_25partition_config_selectorILNS1_17partition_subalgoE6EiNS0_10empty_typeEbEEZZNS1_14partition_implILS5_6ELb0ES3_mN6thrust23THRUST_200600_302600_NS6detail15normal_iteratorINSA_10device_ptrIiEEEEPS6_SG_NS0_5tupleIJSF_S6_EEENSH_IJSG_SG_EEES6_PlJNSB_9not_fun_tI7is_trueIiEEEEEE10hipError_tPvRmT3_T4_T5_T6_T7_T9_mT8_P12ihipStream_tbDpT10_ENKUlT_T0_E_clISt17integral_constantIbLb0EES17_IbLb1EEEEDaS13_S14_EUlS13_E_NS1_11comp_targetILNS1_3genE9ELNS1_11target_archE1100ELNS1_3gpuE3ELNS1_3repE0EEENS1_30default_config_static_selectorELNS0_4arch9wavefront6targetE0EEEvT1_.num_named_barrier, 0
	.set _ZN7rocprim17ROCPRIM_400000_NS6detail17trampoline_kernelINS0_14default_configENS1_25partition_config_selectorILNS1_17partition_subalgoE6EiNS0_10empty_typeEbEEZZNS1_14partition_implILS5_6ELb0ES3_mN6thrust23THRUST_200600_302600_NS6detail15normal_iteratorINSA_10device_ptrIiEEEEPS6_SG_NS0_5tupleIJSF_S6_EEENSH_IJSG_SG_EEES6_PlJNSB_9not_fun_tI7is_trueIiEEEEEE10hipError_tPvRmT3_T4_T5_T6_T7_T9_mT8_P12ihipStream_tbDpT10_ENKUlT_T0_E_clISt17integral_constantIbLb0EES17_IbLb1EEEEDaS13_S14_EUlS13_E_NS1_11comp_targetILNS1_3genE9ELNS1_11target_archE1100ELNS1_3gpuE3ELNS1_3repE0EEENS1_30default_config_static_selectorELNS0_4arch9wavefront6targetE0EEEvT1_.private_seg_size, 0
	.set _ZN7rocprim17ROCPRIM_400000_NS6detail17trampoline_kernelINS0_14default_configENS1_25partition_config_selectorILNS1_17partition_subalgoE6EiNS0_10empty_typeEbEEZZNS1_14partition_implILS5_6ELb0ES3_mN6thrust23THRUST_200600_302600_NS6detail15normal_iteratorINSA_10device_ptrIiEEEEPS6_SG_NS0_5tupleIJSF_S6_EEENSH_IJSG_SG_EEES6_PlJNSB_9not_fun_tI7is_trueIiEEEEEE10hipError_tPvRmT3_T4_T5_T6_T7_T9_mT8_P12ihipStream_tbDpT10_ENKUlT_T0_E_clISt17integral_constantIbLb0EES17_IbLb1EEEEDaS13_S14_EUlS13_E_NS1_11comp_targetILNS1_3genE9ELNS1_11target_archE1100ELNS1_3gpuE3ELNS1_3repE0EEENS1_30default_config_static_selectorELNS0_4arch9wavefront6targetE0EEEvT1_.uses_vcc, 0
	.set _ZN7rocprim17ROCPRIM_400000_NS6detail17trampoline_kernelINS0_14default_configENS1_25partition_config_selectorILNS1_17partition_subalgoE6EiNS0_10empty_typeEbEEZZNS1_14partition_implILS5_6ELb0ES3_mN6thrust23THRUST_200600_302600_NS6detail15normal_iteratorINSA_10device_ptrIiEEEEPS6_SG_NS0_5tupleIJSF_S6_EEENSH_IJSG_SG_EEES6_PlJNSB_9not_fun_tI7is_trueIiEEEEEE10hipError_tPvRmT3_T4_T5_T6_T7_T9_mT8_P12ihipStream_tbDpT10_ENKUlT_T0_E_clISt17integral_constantIbLb0EES17_IbLb1EEEEDaS13_S14_EUlS13_E_NS1_11comp_targetILNS1_3genE9ELNS1_11target_archE1100ELNS1_3gpuE3ELNS1_3repE0EEENS1_30default_config_static_selectorELNS0_4arch9wavefront6targetE0EEEvT1_.uses_flat_scratch, 0
	.set _ZN7rocprim17ROCPRIM_400000_NS6detail17trampoline_kernelINS0_14default_configENS1_25partition_config_selectorILNS1_17partition_subalgoE6EiNS0_10empty_typeEbEEZZNS1_14partition_implILS5_6ELb0ES3_mN6thrust23THRUST_200600_302600_NS6detail15normal_iteratorINSA_10device_ptrIiEEEEPS6_SG_NS0_5tupleIJSF_S6_EEENSH_IJSG_SG_EEES6_PlJNSB_9not_fun_tI7is_trueIiEEEEEE10hipError_tPvRmT3_T4_T5_T6_T7_T9_mT8_P12ihipStream_tbDpT10_ENKUlT_T0_E_clISt17integral_constantIbLb0EES17_IbLb1EEEEDaS13_S14_EUlS13_E_NS1_11comp_targetILNS1_3genE9ELNS1_11target_archE1100ELNS1_3gpuE3ELNS1_3repE0EEENS1_30default_config_static_selectorELNS0_4arch9wavefront6targetE0EEEvT1_.has_dyn_sized_stack, 0
	.set _ZN7rocprim17ROCPRIM_400000_NS6detail17trampoline_kernelINS0_14default_configENS1_25partition_config_selectorILNS1_17partition_subalgoE6EiNS0_10empty_typeEbEEZZNS1_14partition_implILS5_6ELb0ES3_mN6thrust23THRUST_200600_302600_NS6detail15normal_iteratorINSA_10device_ptrIiEEEEPS6_SG_NS0_5tupleIJSF_S6_EEENSH_IJSG_SG_EEES6_PlJNSB_9not_fun_tI7is_trueIiEEEEEE10hipError_tPvRmT3_T4_T5_T6_T7_T9_mT8_P12ihipStream_tbDpT10_ENKUlT_T0_E_clISt17integral_constantIbLb0EES17_IbLb1EEEEDaS13_S14_EUlS13_E_NS1_11comp_targetILNS1_3genE9ELNS1_11target_archE1100ELNS1_3gpuE3ELNS1_3repE0EEENS1_30default_config_static_selectorELNS0_4arch9wavefront6targetE0EEEvT1_.has_recursion, 0
	.set _ZN7rocprim17ROCPRIM_400000_NS6detail17trampoline_kernelINS0_14default_configENS1_25partition_config_selectorILNS1_17partition_subalgoE6EiNS0_10empty_typeEbEEZZNS1_14partition_implILS5_6ELb0ES3_mN6thrust23THRUST_200600_302600_NS6detail15normal_iteratorINSA_10device_ptrIiEEEEPS6_SG_NS0_5tupleIJSF_S6_EEENSH_IJSG_SG_EEES6_PlJNSB_9not_fun_tI7is_trueIiEEEEEE10hipError_tPvRmT3_T4_T5_T6_T7_T9_mT8_P12ihipStream_tbDpT10_ENKUlT_T0_E_clISt17integral_constantIbLb0EES17_IbLb1EEEEDaS13_S14_EUlS13_E_NS1_11comp_targetILNS1_3genE9ELNS1_11target_archE1100ELNS1_3gpuE3ELNS1_3repE0EEENS1_30default_config_static_selectorELNS0_4arch9wavefront6targetE0EEEvT1_.has_indirect_call, 0
	.section	.AMDGPU.csdata,"",@progbits
; Kernel info:
; codeLenInByte = 0
; TotalNumSgprs: 0
; NumVgprs: 0
; ScratchSize: 0
; MemoryBound: 0
; FloatMode: 240
; IeeeMode: 1
; LDSByteSize: 0 bytes/workgroup (compile time only)
; SGPRBlocks: 0
; VGPRBlocks: 0
; NumSGPRsForWavesPerEU: 1
; NumVGPRsForWavesPerEU: 1
; Occupancy: 16
; WaveLimiterHint : 0
; COMPUTE_PGM_RSRC2:SCRATCH_EN: 0
; COMPUTE_PGM_RSRC2:USER_SGPR: 2
; COMPUTE_PGM_RSRC2:TRAP_HANDLER: 0
; COMPUTE_PGM_RSRC2:TGID_X_EN: 1
; COMPUTE_PGM_RSRC2:TGID_Y_EN: 0
; COMPUTE_PGM_RSRC2:TGID_Z_EN: 0
; COMPUTE_PGM_RSRC2:TIDIG_COMP_CNT: 0
	.section	.text._ZN7rocprim17ROCPRIM_400000_NS6detail17trampoline_kernelINS0_14default_configENS1_25partition_config_selectorILNS1_17partition_subalgoE6EiNS0_10empty_typeEbEEZZNS1_14partition_implILS5_6ELb0ES3_mN6thrust23THRUST_200600_302600_NS6detail15normal_iteratorINSA_10device_ptrIiEEEEPS6_SG_NS0_5tupleIJSF_S6_EEENSH_IJSG_SG_EEES6_PlJNSB_9not_fun_tI7is_trueIiEEEEEE10hipError_tPvRmT3_T4_T5_T6_T7_T9_mT8_P12ihipStream_tbDpT10_ENKUlT_T0_E_clISt17integral_constantIbLb0EES17_IbLb1EEEEDaS13_S14_EUlS13_E_NS1_11comp_targetILNS1_3genE8ELNS1_11target_archE1030ELNS1_3gpuE2ELNS1_3repE0EEENS1_30default_config_static_selectorELNS0_4arch9wavefront6targetE0EEEvT1_,"axG",@progbits,_ZN7rocprim17ROCPRIM_400000_NS6detail17trampoline_kernelINS0_14default_configENS1_25partition_config_selectorILNS1_17partition_subalgoE6EiNS0_10empty_typeEbEEZZNS1_14partition_implILS5_6ELb0ES3_mN6thrust23THRUST_200600_302600_NS6detail15normal_iteratorINSA_10device_ptrIiEEEEPS6_SG_NS0_5tupleIJSF_S6_EEENSH_IJSG_SG_EEES6_PlJNSB_9not_fun_tI7is_trueIiEEEEEE10hipError_tPvRmT3_T4_T5_T6_T7_T9_mT8_P12ihipStream_tbDpT10_ENKUlT_T0_E_clISt17integral_constantIbLb0EES17_IbLb1EEEEDaS13_S14_EUlS13_E_NS1_11comp_targetILNS1_3genE8ELNS1_11target_archE1030ELNS1_3gpuE2ELNS1_3repE0EEENS1_30default_config_static_selectorELNS0_4arch9wavefront6targetE0EEEvT1_,comdat
	.protected	_ZN7rocprim17ROCPRIM_400000_NS6detail17trampoline_kernelINS0_14default_configENS1_25partition_config_selectorILNS1_17partition_subalgoE6EiNS0_10empty_typeEbEEZZNS1_14partition_implILS5_6ELb0ES3_mN6thrust23THRUST_200600_302600_NS6detail15normal_iteratorINSA_10device_ptrIiEEEEPS6_SG_NS0_5tupleIJSF_S6_EEENSH_IJSG_SG_EEES6_PlJNSB_9not_fun_tI7is_trueIiEEEEEE10hipError_tPvRmT3_T4_T5_T6_T7_T9_mT8_P12ihipStream_tbDpT10_ENKUlT_T0_E_clISt17integral_constantIbLb0EES17_IbLb1EEEEDaS13_S14_EUlS13_E_NS1_11comp_targetILNS1_3genE8ELNS1_11target_archE1030ELNS1_3gpuE2ELNS1_3repE0EEENS1_30default_config_static_selectorELNS0_4arch9wavefront6targetE0EEEvT1_ ; -- Begin function _ZN7rocprim17ROCPRIM_400000_NS6detail17trampoline_kernelINS0_14default_configENS1_25partition_config_selectorILNS1_17partition_subalgoE6EiNS0_10empty_typeEbEEZZNS1_14partition_implILS5_6ELb0ES3_mN6thrust23THRUST_200600_302600_NS6detail15normal_iteratorINSA_10device_ptrIiEEEEPS6_SG_NS0_5tupleIJSF_S6_EEENSH_IJSG_SG_EEES6_PlJNSB_9not_fun_tI7is_trueIiEEEEEE10hipError_tPvRmT3_T4_T5_T6_T7_T9_mT8_P12ihipStream_tbDpT10_ENKUlT_T0_E_clISt17integral_constantIbLb0EES17_IbLb1EEEEDaS13_S14_EUlS13_E_NS1_11comp_targetILNS1_3genE8ELNS1_11target_archE1030ELNS1_3gpuE2ELNS1_3repE0EEENS1_30default_config_static_selectorELNS0_4arch9wavefront6targetE0EEEvT1_
	.globl	_ZN7rocprim17ROCPRIM_400000_NS6detail17trampoline_kernelINS0_14default_configENS1_25partition_config_selectorILNS1_17partition_subalgoE6EiNS0_10empty_typeEbEEZZNS1_14partition_implILS5_6ELb0ES3_mN6thrust23THRUST_200600_302600_NS6detail15normal_iteratorINSA_10device_ptrIiEEEEPS6_SG_NS0_5tupleIJSF_S6_EEENSH_IJSG_SG_EEES6_PlJNSB_9not_fun_tI7is_trueIiEEEEEE10hipError_tPvRmT3_T4_T5_T6_T7_T9_mT8_P12ihipStream_tbDpT10_ENKUlT_T0_E_clISt17integral_constantIbLb0EES17_IbLb1EEEEDaS13_S14_EUlS13_E_NS1_11comp_targetILNS1_3genE8ELNS1_11target_archE1030ELNS1_3gpuE2ELNS1_3repE0EEENS1_30default_config_static_selectorELNS0_4arch9wavefront6targetE0EEEvT1_
	.p2align	8
	.type	_ZN7rocprim17ROCPRIM_400000_NS6detail17trampoline_kernelINS0_14default_configENS1_25partition_config_selectorILNS1_17partition_subalgoE6EiNS0_10empty_typeEbEEZZNS1_14partition_implILS5_6ELb0ES3_mN6thrust23THRUST_200600_302600_NS6detail15normal_iteratorINSA_10device_ptrIiEEEEPS6_SG_NS0_5tupleIJSF_S6_EEENSH_IJSG_SG_EEES6_PlJNSB_9not_fun_tI7is_trueIiEEEEEE10hipError_tPvRmT3_T4_T5_T6_T7_T9_mT8_P12ihipStream_tbDpT10_ENKUlT_T0_E_clISt17integral_constantIbLb0EES17_IbLb1EEEEDaS13_S14_EUlS13_E_NS1_11comp_targetILNS1_3genE8ELNS1_11target_archE1030ELNS1_3gpuE2ELNS1_3repE0EEENS1_30default_config_static_selectorELNS0_4arch9wavefront6targetE0EEEvT1_,@function
_ZN7rocprim17ROCPRIM_400000_NS6detail17trampoline_kernelINS0_14default_configENS1_25partition_config_selectorILNS1_17partition_subalgoE6EiNS0_10empty_typeEbEEZZNS1_14partition_implILS5_6ELb0ES3_mN6thrust23THRUST_200600_302600_NS6detail15normal_iteratorINSA_10device_ptrIiEEEEPS6_SG_NS0_5tupleIJSF_S6_EEENSH_IJSG_SG_EEES6_PlJNSB_9not_fun_tI7is_trueIiEEEEEE10hipError_tPvRmT3_T4_T5_T6_T7_T9_mT8_P12ihipStream_tbDpT10_ENKUlT_T0_E_clISt17integral_constantIbLb0EES17_IbLb1EEEEDaS13_S14_EUlS13_E_NS1_11comp_targetILNS1_3genE8ELNS1_11target_archE1030ELNS1_3gpuE2ELNS1_3repE0EEENS1_30default_config_static_selectorELNS0_4arch9wavefront6targetE0EEEvT1_: ; @_ZN7rocprim17ROCPRIM_400000_NS6detail17trampoline_kernelINS0_14default_configENS1_25partition_config_selectorILNS1_17partition_subalgoE6EiNS0_10empty_typeEbEEZZNS1_14partition_implILS5_6ELb0ES3_mN6thrust23THRUST_200600_302600_NS6detail15normal_iteratorINSA_10device_ptrIiEEEEPS6_SG_NS0_5tupleIJSF_S6_EEENSH_IJSG_SG_EEES6_PlJNSB_9not_fun_tI7is_trueIiEEEEEE10hipError_tPvRmT3_T4_T5_T6_T7_T9_mT8_P12ihipStream_tbDpT10_ENKUlT_T0_E_clISt17integral_constantIbLb0EES17_IbLb1EEEEDaS13_S14_EUlS13_E_NS1_11comp_targetILNS1_3genE8ELNS1_11target_archE1030ELNS1_3gpuE2ELNS1_3repE0EEENS1_30default_config_static_selectorELNS0_4arch9wavefront6targetE0EEEvT1_
; %bb.0:
	.section	.rodata,"a",@progbits
	.p2align	6, 0x0
	.amdhsa_kernel _ZN7rocprim17ROCPRIM_400000_NS6detail17trampoline_kernelINS0_14default_configENS1_25partition_config_selectorILNS1_17partition_subalgoE6EiNS0_10empty_typeEbEEZZNS1_14partition_implILS5_6ELb0ES3_mN6thrust23THRUST_200600_302600_NS6detail15normal_iteratorINSA_10device_ptrIiEEEEPS6_SG_NS0_5tupleIJSF_S6_EEENSH_IJSG_SG_EEES6_PlJNSB_9not_fun_tI7is_trueIiEEEEEE10hipError_tPvRmT3_T4_T5_T6_T7_T9_mT8_P12ihipStream_tbDpT10_ENKUlT_T0_E_clISt17integral_constantIbLb0EES17_IbLb1EEEEDaS13_S14_EUlS13_E_NS1_11comp_targetILNS1_3genE8ELNS1_11target_archE1030ELNS1_3gpuE2ELNS1_3repE0EEENS1_30default_config_static_selectorELNS0_4arch9wavefront6targetE0EEEvT1_
		.amdhsa_group_segment_fixed_size 0
		.amdhsa_private_segment_fixed_size 0
		.amdhsa_kernarg_size 128
		.amdhsa_user_sgpr_count 2
		.amdhsa_user_sgpr_dispatch_ptr 0
		.amdhsa_user_sgpr_queue_ptr 0
		.amdhsa_user_sgpr_kernarg_segment_ptr 1
		.amdhsa_user_sgpr_dispatch_id 0
		.amdhsa_user_sgpr_private_segment_size 0
		.amdhsa_wavefront_size32 1
		.amdhsa_uses_dynamic_stack 0
		.amdhsa_enable_private_segment 0
		.amdhsa_system_sgpr_workgroup_id_x 1
		.amdhsa_system_sgpr_workgroup_id_y 0
		.amdhsa_system_sgpr_workgroup_id_z 0
		.amdhsa_system_sgpr_workgroup_info 0
		.amdhsa_system_vgpr_workitem_id 0
		.amdhsa_next_free_vgpr 1
		.amdhsa_next_free_sgpr 1
		.amdhsa_reserve_vcc 0
		.amdhsa_float_round_mode_32 0
		.amdhsa_float_round_mode_16_64 0
		.amdhsa_float_denorm_mode_32 3
		.amdhsa_float_denorm_mode_16_64 3
		.amdhsa_fp16_overflow 0
		.amdhsa_workgroup_processor_mode 1
		.amdhsa_memory_ordered 1
		.amdhsa_forward_progress 1
		.amdhsa_inst_pref_size 0
		.amdhsa_round_robin_scheduling 0
		.amdhsa_exception_fp_ieee_invalid_op 0
		.amdhsa_exception_fp_denorm_src 0
		.amdhsa_exception_fp_ieee_div_zero 0
		.amdhsa_exception_fp_ieee_overflow 0
		.amdhsa_exception_fp_ieee_underflow 0
		.amdhsa_exception_fp_ieee_inexact 0
		.amdhsa_exception_int_div_zero 0
	.end_amdhsa_kernel
	.section	.text._ZN7rocprim17ROCPRIM_400000_NS6detail17trampoline_kernelINS0_14default_configENS1_25partition_config_selectorILNS1_17partition_subalgoE6EiNS0_10empty_typeEbEEZZNS1_14partition_implILS5_6ELb0ES3_mN6thrust23THRUST_200600_302600_NS6detail15normal_iteratorINSA_10device_ptrIiEEEEPS6_SG_NS0_5tupleIJSF_S6_EEENSH_IJSG_SG_EEES6_PlJNSB_9not_fun_tI7is_trueIiEEEEEE10hipError_tPvRmT3_T4_T5_T6_T7_T9_mT8_P12ihipStream_tbDpT10_ENKUlT_T0_E_clISt17integral_constantIbLb0EES17_IbLb1EEEEDaS13_S14_EUlS13_E_NS1_11comp_targetILNS1_3genE8ELNS1_11target_archE1030ELNS1_3gpuE2ELNS1_3repE0EEENS1_30default_config_static_selectorELNS0_4arch9wavefront6targetE0EEEvT1_,"axG",@progbits,_ZN7rocprim17ROCPRIM_400000_NS6detail17trampoline_kernelINS0_14default_configENS1_25partition_config_selectorILNS1_17partition_subalgoE6EiNS0_10empty_typeEbEEZZNS1_14partition_implILS5_6ELb0ES3_mN6thrust23THRUST_200600_302600_NS6detail15normal_iteratorINSA_10device_ptrIiEEEEPS6_SG_NS0_5tupleIJSF_S6_EEENSH_IJSG_SG_EEES6_PlJNSB_9not_fun_tI7is_trueIiEEEEEE10hipError_tPvRmT3_T4_T5_T6_T7_T9_mT8_P12ihipStream_tbDpT10_ENKUlT_T0_E_clISt17integral_constantIbLb0EES17_IbLb1EEEEDaS13_S14_EUlS13_E_NS1_11comp_targetILNS1_3genE8ELNS1_11target_archE1030ELNS1_3gpuE2ELNS1_3repE0EEENS1_30default_config_static_selectorELNS0_4arch9wavefront6targetE0EEEvT1_,comdat
.Lfunc_end1268:
	.size	_ZN7rocprim17ROCPRIM_400000_NS6detail17trampoline_kernelINS0_14default_configENS1_25partition_config_selectorILNS1_17partition_subalgoE6EiNS0_10empty_typeEbEEZZNS1_14partition_implILS5_6ELb0ES3_mN6thrust23THRUST_200600_302600_NS6detail15normal_iteratorINSA_10device_ptrIiEEEEPS6_SG_NS0_5tupleIJSF_S6_EEENSH_IJSG_SG_EEES6_PlJNSB_9not_fun_tI7is_trueIiEEEEEE10hipError_tPvRmT3_T4_T5_T6_T7_T9_mT8_P12ihipStream_tbDpT10_ENKUlT_T0_E_clISt17integral_constantIbLb0EES17_IbLb1EEEEDaS13_S14_EUlS13_E_NS1_11comp_targetILNS1_3genE8ELNS1_11target_archE1030ELNS1_3gpuE2ELNS1_3repE0EEENS1_30default_config_static_selectorELNS0_4arch9wavefront6targetE0EEEvT1_, .Lfunc_end1268-_ZN7rocprim17ROCPRIM_400000_NS6detail17trampoline_kernelINS0_14default_configENS1_25partition_config_selectorILNS1_17partition_subalgoE6EiNS0_10empty_typeEbEEZZNS1_14partition_implILS5_6ELb0ES3_mN6thrust23THRUST_200600_302600_NS6detail15normal_iteratorINSA_10device_ptrIiEEEEPS6_SG_NS0_5tupleIJSF_S6_EEENSH_IJSG_SG_EEES6_PlJNSB_9not_fun_tI7is_trueIiEEEEEE10hipError_tPvRmT3_T4_T5_T6_T7_T9_mT8_P12ihipStream_tbDpT10_ENKUlT_T0_E_clISt17integral_constantIbLb0EES17_IbLb1EEEEDaS13_S14_EUlS13_E_NS1_11comp_targetILNS1_3genE8ELNS1_11target_archE1030ELNS1_3gpuE2ELNS1_3repE0EEENS1_30default_config_static_selectorELNS0_4arch9wavefront6targetE0EEEvT1_
                                        ; -- End function
	.set _ZN7rocprim17ROCPRIM_400000_NS6detail17trampoline_kernelINS0_14default_configENS1_25partition_config_selectorILNS1_17partition_subalgoE6EiNS0_10empty_typeEbEEZZNS1_14partition_implILS5_6ELb0ES3_mN6thrust23THRUST_200600_302600_NS6detail15normal_iteratorINSA_10device_ptrIiEEEEPS6_SG_NS0_5tupleIJSF_S6_EEENSH_IJSG_SG_EEES6_PlJNSB_9not_fun_tI7is_trueIiEEEEEE10hipError_tPvRmT3_T4_T5_T6_T7_T9_mT8_P12ihipStream_tbDpT10_ENKUlT_T0_E_clISt17integral_constantIbLb0EES17_IbLb1EEEEDaS13_S14_EUlS13_E_NS1_11comp_targetILNS1_3genE8ELNS1_11target_archE1030ELNS1_3gpuE2ELNS1_3repE0EEENS1_30default_config_static_selectorELNS0_4arch9wavefront6targetE0EEEvT1_.num_vgpr, 0
	.set _ZN7rocprim17ROCPRIM_400000_NS6detail17trampoline_kernelINS0_14default_configENS1_25partition_config_selectorILNS1_17partition_subalgoE6EiNS0_10empty_typeEbEEZZNS1_14partition_implILS5_6ELb0ES3_mN6thrust23THRUST_200600_302600_NS6detail15normal_iteratorINSA_10device_ptrIiEEEEPS6_SG_NS0_5tupleIJSF_S6_EEENSH_IJSG_SG_EEES6_PlJNSB_9not_fun_tI7is_trueIiEEEEEE10hipError_tPvRmT3_T4_T5_T6_T7_T9_mT8_P12ihipStream_tbDpT10_ENKUlT_T0_E_clISt17integral_constantIbLb0EES17_IbLb1EEEEDaS13_S14_EUlS13_E_NS1_11comp_targetILNS1_3genE8ELNS1_11target_archE1030ELNS1_3gpuE2ELNS1_3repE0EEENS1_30default_config_static_selectorELNS0_4arch9wavefront6targetE0EEEvT1_.num_agpr, 0
	.set _ZN7rocprim17ROCPRIM_400000_NS6detail17trampoline_kernelINS0_14default_configENS1_25partition_config_selectorILNS1_17partition_subalgoE6EiNS0_10empty_typeEbEEZZNS1_14partition_implILS5_6ELb0ES3_mN6thrust23THRUST_200600_302600_NS6detail15normal_iteratorINSA_10device_ptrIiEEEEPS6_SG_NS0_5tupleIJSF_S6_EEENSH_IJSG_SG_EEES6_PlJNSB_9not_fun_tI7is_trueIiEEEEEE10hipError_tPvRmT3_T4_T5_T6_T7_T9_mT8_P12ihipStream_tbDpT10_ENKUlT_T0_E_clISt17integral_constantIbLb0EES17_IbLb1EEEEDaS13_S14_EUlS13_E_NS1_11comp_targetILNS1_3genE8ELNS1_11target_archE1030ELNS1_3gpuE2ELNS1_3repE0EEENS1_30default_config_static_selectorELNS0_4arch9wavefront6targetE0EEEvT1_.numbered_sgpr, 0
	.set _ZN7rocprim17ROCPRIM_400000_NS6detail17trampoline_kernelINS0_14default_configENS1_25partition_config_selectorILNS1_17partition_subalgoE6EiNS0_10empty_typeEbEEZZNS1_14partition_implILS5_6ELb0ES3_mN6thrust23THRUST_200600_302600_NS6detail15normal_iteratorINSA_10device_ptrIiEEEEPS6_SG_NS0_5tupleIJSF_S6_EEENSH_IJSG_SG_EEES6_PlJNSB_9not_fun_tI7is_trueIiEEEEEE10hipError_tPvRmT3_T4_T5_T6_T7_T9_mT8_P12ihipStream_tbDpT10_ENKUlT_T0_E_clISt17integral_constantIbLb0EES17_IbLb1EEEEDaS13_S14_EUlS13_E_NS1_11comp_targetILNS1_3genE8ELNS1_11target_archE1030ELNS1_3gpuE2ELNS1_3repE0EEENS1_30default_config_static_selectorELNS0_4arch9wavefront6targetE0EEEvT1_.num_named_barrier, 0
	.set _ZN7rocprim17ROCPRIM_400000_NS6detail17trampoline_kernelINS0_14default_configENS1_25partition_config_selectorILNS1_17partition_subalgoE6EiNS0_10empty_typeEbEEZZNS1_14partition_implILS5_6ELb0ES3_mN6thrust23THRUST_200600_302600_NS6detail15normal_iteratorINSA_10device_ptrIiEEEEPS6_SG_NS0_5tupleIJSF_S6_EEENSH_IJSG_SG_EEES6_PlJNSB_9not_fun_tI7is_trueIiEEEEEE10hipError_tPvRmT3_T4_T5_T6_T7_T9_mT8_P12ihipStream_tbDpT10_ENKUlT_T0_E_clISt17integral_constantIbLb0EES17_IbLb1EEEEDaS13_S14_EUlS13_E_NS1_11comp_targetILNS1_3genE8ELNS1_11target_archE1030ELNS1_3gpuE2ELNS1_3repE0EEENS1_30default_config_static_selectorELNS0_4arch9wavefront6targetE0EEEvT1_.private_seg_size, 0
	.set _ZN7rocprim17ROCPRIM_400000_NS6detail17trampoline_kernelINS0_14default_configENS1_25partition_config_selectorILNS1_17partition_subalgoE6EiNS0_10empty_typeEbEEZZNS1_14partition_implILS5_6ELb0ES3_mN6thrust23THRUST_200600_302600_NS6detail15normal_iteratorINSA_10device_ptrIiEEEEPS6_SG_NS0_5tupleIJSF_S6_EEENSH_IJSG_SG_EEES6_PlJNSB_9not_fun_tI7is_trueIiEEEEEE10hipError_tPvRmT3_T4_T5_T6_T7_T9_mT8_P12ihipStream_tbDpT10_ENKUlT_T0_E_clISt17integral_constantIbLb0EES17_IbLb1EEEEDaS13_S14_EUlS13_E_NS1_11comp_targetILNS1_3genE8ELNS1_11target_archE1030ELNS1_3gpuE2ELNS1_3repE0EEENS1_30default_config_static_selectorELNS0_4arch9wavefront6targetE0EEEvT1_.uses_vcc, 0
	.set _ZN7rocprim17ROCPRIM_400000_NS6detail17trampoline_kernelINS0_14default_configENS1_25partition_config_selectorILNS1_17partition_subalgoE6EiNS0_10empty_typeEbEEZZNS1_14partition_implILS5_6ELb0ES3_mN6thrust23THRUST_200600_302600_NS6detail15normal_iteratorINSA_10device_ptrIiEEEEPS6_SG_NS0_5tupleIJSF_S6_EEENSH_IJSG_SG_EEES6_PlJNSB_9not_fun_tI7is_trueIiEEEEEE10hipError_tPvRmT3_T4_T5_T6_T7_T9_mT8_P12ihipStream_tbDpT10_ENKUlT_T0_E_clISt17integral_constantIbLb0EES17_IbLb1EEEEDaS13_S14_EUlS13_E_NS1_11comp_targetILNS1_3genE8ELNS1_11target_archE1030ELNS1_3gpuE2ELNS1_3repE0EEENS1_30default_config_static_selectorELNS0_4arch9wavefront6targetE0EEEvT1_.uses_flat_scratch, 0
	.set _ZN7rocprim17ROCPRIM_400000_NS6detail17trampoline_kernelINS0_14default_configENS1_25partition_config_selectorILNS1_17partition_subalgoE6EiNS0_10empty_typeEbEEZZNS1_14partition_implILS5_6ELb0ES3_mN6thrust23THRUST_200600_302600_NS6detail15normal_iteratorINSA_10device_ptrIiEEEEPS6_SG_NS0_5tupleIJSF_S6_EEENSH_IJSG_SG_EEES6_PlJNSB_9not_fun_tI7is_trueIiEEEEEE10hipError_tPvRmT3_T4_T5_T6_T7_T9_mT8_P12ihipStream_tbDpT10_ENKUlT_T0_E_clISt17integral_constantIbLb0EES17_IbLb1EEEEDaS13_S14_EUlS13_E_NS1_11comp_targetILNS1_3genE8ELNS1_11target_archE1030ELNS1_3gpuE2ELNS1_3repE0EEENS1_30default_config_static_selectorELNS0_4arch9wavefront6targetE0EEEvT1_.has_dyn_sized_stack, 0
	.set _ZN7rocprim17ROCPRIM_400000_NS6detail17trampoline_kernelINS0_14default_configENS1_25partition_config_selectorILNS1_17partition_subalgoE6EiNS0_10empty_typeEbEEZZNS1_14partition_implILS5_6ELb0ES3_mN6thrust23THRUST_200600_302600_NS6detail15normal_iteratorINSA_10device_ptrIiEEEEPS6_SG_NS0_5tupleIJSF_S6_EEENSH_IJSG_SG_EEES6_PlJNSB_9not_fun_tI7is_trueIiEEEEEE10hipError_tPvRmT3_T4_T5_T6_T7_T9_mT8_P12ihipStream_tbDpT10_ENKUlT_T0_E_clISt17integral_constantIbLb0EES17_IbLb1EEEEDaS13_S14_EUlS13_E_NS1_11comp_targetILNS1_3genE8ELNS1_11target_archE1030ELNS1_3gpuE2ELNS1_3repE0EEENS1_30default_config_static_selectorELNS0_4arch9wavefront6targetE0EEEvT1_.has_recursion, 0
	.set _ZN7rocprim17ROCPRIM_400000_NS6detail17trampoline_kernelINS0_14default_configENS1_25partition_config_selectorILNS1_17partition_subalgoE6EiNS0_10empty_typeEbEEZZNS1_14partition_implILS5_6ELb0ES3_mN6thrust23THRUST_200600_302600_NS6detail15normal_iteratorINSA_10device_ptrIiEEEEPS6_SG_NS0_5tupleIJSF_S6_EEENSH_IJSG_SG_EEES6_PlJNSB_9not_fun_tI7is_trueIiEEEEEE10hipError_tPvRmT3_T4_T5_T6_T7_T9_mT8_P12ihipStream_tbDpT10_ENKUlT_T0_E_clISt17integral_constantIbLb0EES17_IbLb1EEEEDaS13_S14_EUlS13_E_NS1_11comp_targetILNS1_3genE8ELNS1_11target_archE1030ELNS1_3gpuE2ELNS1_3repE0EEENS1_30default_config_static_selectorELNS0_4arch9wavefront6targetE0EEEvT1_.has_indirect_call, 0
	.section	.AMDGPU.csdata,"",@progbits
; Kernel info:
; codeLenInByte = 0
; TotalNumSgprs: 0
; NumVgprs: 0
; ScratchSize: 0
; MemoryBound: 0
; FloatMode: 240
; IeeeMode: 1
; LDSByteSize: 0 bytes/workgroup (compile time only)
; SGPRBlocks: 0
; VGPRBlocks: 0
; NumSGPRsForWavesPerEU: 1
; NumVGPRsForWavesPerEU: 1
; Occupancy: 16
; WaveLimiterHint : 0
; COMPUTE_PGM_RSRC2:SCRATCH_EN: 0
; COMPUTE_PGM_RSRC2:USER_SGPR: 2
; COMPUTE_PGM_RSRC2:TRAP_HANDLER: 0
; COMPUTE_PGM_RSRC2:TGID_X_EN: 1
; COMPUTE_PGM_RSRC2:TGID_Y_EN: 0
; COMPUTE_PGM_RSRC2:TGID_Z_EN: 0
; COMPUTE_PGM_RSRC2:TIDIG_COMP_CNT: 0
	.section	.text._ZN7rocprim17ROCPRIM_400000_NS6detail17trampoline_kernelINS0_14default_configENS1_25partition_config_selectorILNS1_17partition_subalgoE6EsNS0_10empty_typeEbEEZZNS1_14partition_implILS5_6ELb0ES3_mN6thrust23THRUST_200600_302600_NS6detail15normal_iteratorINSA_10device_ptrIsEEEEPS6_SG_NS0_5tupleIJSF_S6_EEENSH_IJSG_SG_EEES6_PlJNSB_9not_fun_tI7is_trueIsEEEEEE10hipError_tPvRmT3_T4_T5_T6_T7_T9_mT8_P12ihipStream_tbDpT10_ENKUlT_T0_E_clISt17integral_constantIbLb0EES18_EEDaS13_S14_EUlS13_E_NS1_11comp_targetILNS1_3genE0ELNS1_11target_archE4294967295ELNS1_3gpuE0ELNS1_3repE0EEENS1_30default_config_static_selectorELNS0_4arch9wavefront6targetE0EEEvT1_,"axG",@progbits,_ZN7rocprim17ROCPRIM_400000_NS6detail17trampoline_kernelINS0_14default_configENS1_25partition_config_selectorILNS1_17partition_subalgoE6EsNS0_10empty_typeEbEEZZNS1_14partition_implILS5_6ELb0ES3_mN6thrust23THRUST_200600_302600_NS6detail15normal_iteratorINSA_10device_ptrIsEEEEPS6_SG_NS0_5tupleIJSF_S6_EEENSH_IJSG_SG_EEES6_PlJNSB_9not_fun_tI7is_trueIsEEEEEE10hipError_tPvRmT3_T4_T5_T6_T7_T9_mT8_P12ihipStream_tbDpT10_ENKUlT_T0_E_clISt17integral_constantIbLb0EES18_EEDaS13_S14_EUlS13_E_NS1_11comp_targetILNS1_3genE0ELNS1_11target_archE4294967295ELNS1_3gpuE0ELNS1_3repE0EEENS1_30default_config_static_selectorELNS0_4arch9wavefront6targetE0EEEvT1_,comdat
	.protected	_ZN7rocprim17ROCPRIM_400000_NS6detail17trampoline_kernelINS0_14default_configENS1_25partition_config_selectorILNS1_17partition_subalgoE6EsNS0_10empty_typeEbEEZZNS1_14partition_implILS5_6ELb0ES3_mN6thrust23THRUST_200600_302600_NS6detail15normal_iteratorINSA_10device_ptrIsEEEEPS6_SG_NS0_5tupleIJSF_S6_EEENSH_IJSG_SG_EEES6_PlJNSB_9not_fun_tI7is_trueIsEEEEEE10hipError_tPvRmT3_T4_T5_T6_T7_T9_mT8_P12ihipStream_tbDpT10_ENKUlT_T0_E_clISt17integral_constantIbLb0EES18_EEDaS13_S14_EUlS13_E_NS1_11comp_targetILNS1_3genE0ELNS1_11target_archE4294967295ELNS1_3gpuE0ELNS1_3repE0EEENS1_30default_config_static_selectorELNS0_4arch9wavefront6targetE0EEEvT1_ ; -- Begin function _ZN7rocprim17ROCPRIM_400000_NS6detail17trampoline_kernelINS0_14default_configENS1_25partition_config_selectorILNS1_17partition_subalgoE6EsNS0_10empty_typeEbEEZZNS1_14partition_implILS5_6ELb0ES3_mN6thrust23THRUST_200600_302600_NS6detail15normal_iteratorINSA_10device_ptrIsEEEEPS6_SG_NS0_5tupleIJSF_S6_EEENSH_IJSG_SG_EEES6_PlJNSB_9not_fun_tI7is_trueIsEEEEEE10hipError_tPvRmT3_T4_T5_T6_T7_T9_mT8_P12ihipStream_tbDpT10_ENKUlT_T0_E_clISt17integral_constantIbLb0EES18_EEDaS13_S14_EUlS13_E_NS1_11comp_targetILNS1_3genE0ELNS1_11target_archE4294967295ELNS1_3gpuE0ELNS1_3repE0EEENS1_30default_config_static_selectorELNS0_4arch9wavefront6targetE0EEEvT1_
	.globl	_ZN7rocprim17ROCPRIM_400000_NS6detail17trampoline_kernelINS0_14default_configENS1_25partition_config_selectorILNS1_17partition_subalgoE6EsNS0_10empty_typeEbEEZZNS1_14partition_implILS5_6ELb0ES3_mN6thrust23THRUST_200600_302600_NS6detail15normal_iteratorINSA_10device_ptrIsEEEEPS6_SG_NS0_5tupleIJSF_S6_EEENSH_IJSG_SG_EEES6_PlJNSB_9not_fun_tI7is_trueIsEEEEEE10hipError_tPvRmT3_T4_T5_T6_T7_T9_mT8_P12ihipStream_tbDpT10_ENKUlT_T0_E_clISt17integral_constantIbLb0EES18_EEDaS13_S14_EUlS13_E_NS1_11comp_targetILNS1_3genE0ELNS1_11target_archE4294967295ELNS1_3gpuE0ELNS1_3repE0EEENS1_30default_config_static_selectorELNS0_4arch9wavefront6targetE0EEEvT1_
	.p2align	8
	.type	_ZN7rocprim17ROCPRIM_400000_NS6detail17trampoline_kernelINS0_14default_configENS1_25partition_config_selectorILNS1_17partition_subalgoE6EsNS0_10empty_typeEbEEZZNS1_14partition_implILS5_6ELb0ES3_mN6thrust23THRUST_200600_302600_NS6detail15normal_iteratorINSA_10device_ptrIsEEEEPS6_SG_NS0_5tupleIJSF_S6_EEENSH_IJSG_SG_EEES6_PlJNSB_9not_fun_tI7is_trueIsEEEEEE10hipError_tPvRmT3_T4_T5_T6_T7_T9_mT8_P12ihipStream_tbDpT10_ENKUlT_T0_E_clISt17integral_constantIbLb0EES18_EEDaS13_S14_EUlS13_E_NS1_11comp_targetILNS1_3genE0ELNS1_11target_archE4294967295ELNS1_3gpuE0ELNS1_3repE0EEENS1_30default_config_static_selectorELNS0_4arch9wavefront6targetE0EEEvT1_,@function
_ZN7rocprim17ROCPRIM_400000_NS6detail17trampoline_kernelINS0_14default_configENS1_25partition_config_selectorILNS1_17partition_subalgoE6EsNS0_10empty_typeEbEEZZNS1_14partition_implILS5_6ELb0ES3_mN6thrust23THRUST_200600_302600_NS6detail15normal_iteratorINSA_10device_ptrIsEEEEPS6_SG_NS0_5tupleIJSF_S6_EEENSH_IJSG_SG_EEES6_PlJNSB_9not_fun_tI7is_trueIsEEEEEE10hipError_tPvRmT3_T4_T5_T6_T7_T9_mT8_P12ihipStream_tbDpT10_ENKUlT_T0_E_clISt17integral_constantIbLb0EES18_EEDaS13_S14_EUlS13_E_NS1_11comp_targetILNS1_3genE0ELNS1_11target_archE4294967295ELNS1_3gpuE0ELNS1_3repE0EEENS1_30default_config_static_selectorELNS0_4arch9wavefront6targetE0EEEvT1_: ; @_ZN7rocprim17ROCPRIM_400000_NS6detail17trampoline_kernelINS0_14default_configENS1_25partition_config_selectorILNS1_17partition_subalgoE6EsNS0_10empty_typeEbEEZZNS1_14partition_implILS5_6ELb0ES3_mN6thrust23THRUST_200600_302600_NS6detail15normal_iteratorINSA_10device_ptrIsEEEEPS6_SG_NS0_5tupleIJSF_S6_EEENSH_IJSG_SG_EEES6_PlJNSB_9not_fun_tI7is_trueIsEEEEEE10hipError_tPvRmT3_T4_T5_T6_T7_T9_mT8_P12ihipStream_tbDpT10_ENKUlT_T0_E_clISt17integral_constantIbLb0EES18_EEDaS13_S14_EUlS13_E_NS1_11comp_targetILNS1_3genE0ELNS1_11target_archE4294967295ELNS1_3gpuE0ELNS1_3repE0EEENS1_30default_config_static_selectorELNS0_4arch9wavefront6targetE0EEEvT1_
; %bb.0:
	.section	.rodata,"a",@progbits
	.p2align	6, 0x0
	.amdhsa_kernel _ZN7rocprim17ROCPRIM_400000_NS6detail17trampoline_kernelINS0_14default_configENS1_25partition_config_selectorILNS1_17partition_subalgoE6EsNS0_10empty_typeEbEEZZNS1_14partition_implILS5_6ELb0ES3_mN6thrust23THRUST_200600_302600_NS6detail15normal_iteratorINSA_10device_ptrIsEEEEPS6_SG_NS0_5tupleIJSF_S6_EEENSH_IJSG_SG_EEES6_PlJNSB_9not_fun_tI7is_trueIsEEEEEE10hipError_tPvRmT3_T4_T5_T6_T7_T9_mT8_P12ihipStream_tbDpT10_ENKUlT_T0_E_clISt17integral_constantIbLb0EES18_EEDaS13_S14_EUlS13_E_NS1_11comp_targetILNS1_3genE0ELNS1_11target_archE4294967295ELNS1_3gpuE0ELNS1_3repE0EEENS1_30default_config_static_selectorELNS0_4arch9wavefront6targetE0EEEvT1_
		.amdhsa_group_segment_fixed_size 0
		.amdhsa_private_segment_fixed_size 0
		.amdhsa_kernarg_size 112
		.amdhsa_user_sgpr_count 2
		.amdhsa_user_sgpr_dispatch_ptr 0
		.amdhsa_user_sgpr_queue_ptr 0
		.amdhsa_user_sgpr_kernarg_segment_ptr 1
		.amdhsa_user_sgpr_dispatch_id 0
		.amdhsa_user_sgpr_private_segment_size 0
		.amdhsa_wavefront_size32 1
		.amdhsa_uses_dynamic_stack 0
		.amdhsa_enable_private_segment 0
		.amdhsa_system_sgpr_workgroup_id_x 1
		.amdhsa_system_sgpr_workgroup_id_y 0
		.amdhsa_system_sgpr_workgroup_id_z 0
		.amdhsa_system_sgpr_workgroup_info 0
		.amdhsa_system_vgpr_workitem_id 0
		.amdhsa_next_free_vgpr 1
		.amdhsa_next_free_sgpr 1
		.amdhsa_reserve_vcc 0
		.amdhsa_float_round_mode_32 0
		.amdhsa_float_round_mode_16_64 0
		.amdhsa_float_denorm_mode_32 3
		.amdhsa_float_denorm_mode_16_64 3
		.amdhsa_fp16_overflow 0
		.amdhsa_workgroup_processor_mode 1
		.amdhsa_memory_ordered 1
		.amdhsa_forward_progress 1
		.amdhsa_inst_pref_size 0
		.amdhsa_round_robin_scheduling 0
		.amdhsa_exception_fp_ieee_invalid_op 0
		.amdhsa_exception_fp_denorm_src 0
		.amdhsa_exception_fp_ieee_div_zero 0
		.amdhsa_exception_fp_ieee_overflow 0
		.amdhsa_exception_fp_ieee_underflow 0
		.amdhsa_exception_fp_ieee_inexact 0
		.amdhsa_exception_int_div_zero 0
	.end_amdhsa_kernel
	.section	.text._ZN7rocprim17ROCPRIM_400000_NS6detail17trampoline_kernelINS0_14default_configENS1_25partition_config_selectorILNS1_17partition_subalgoE6EsNS0_10empty_typeEbEEZZNS1_14partition_implILS5_6ELb0ES3_mN6thrust23THRUST_200600_302600_NS6detail15normal_iteratorINSA_10device_ptrIsEEEEPS6_SG_NS0_5tupleIJSF_S6_EEENSH_IJSG_SG_EEES6_PlJNSB_9not_fun_tI7is_trueIsEEEEEE10hipError_tPvRmT3_T4_T5_T6_T7_T9_mT8_P12ihipStream_tbDpT10_ENKUlT_T0_E_clISt17integral_constantIbLb0EES18_EEDaS13_S14_EUlS13_E_NS1_11comp_targetILNS1_3genE0ELNS1_11target_archE4294967295ELNS1_3gpuE0ELNS1_3repE0EEENS1_30default_config_static_selectorELNS0_4arch9wavefront6targetE0EEEvT1_,"axG",@progbits,_ZN7rocprim17ROCPRIM_400000_NS6detail17trampoline_kernelINS0_14default_configENS1_25partition_config_selectorILNS1_17partition_subalgoE6EsNS0_10empty_typeEbEEZZNS1_14partition_implILS5_6ELb0ES3_mN6thrust23THRUST_200600_302600_NS6detail15normal_iteratorINSA_10device_ptrIsEEEEPS6_SG_NS0_5tupleIJSF_S6_EEENSH_IJSG_SG_EEES6_PlJNSB_9not_fun_tI7is_trueIsEEEEEE10hipError_tPvRmT3_T4_T5_T6_T7_T9_mT8_P12ihipStream_tbDpT10_ENKUlT_T0_E_clISt17integral_constantIbLb0EES18_EEDaS13_S14_EUlS13_E_NS1_11comp_targetILNS1_3genE0ELNS1_11target_archE4294967295ELNS1_3gpuE0ELNS1_3repE0EEENS1_30default_config_static_selectorELNS0_4arch9wavefront6targetE0EEEvT1_,comdat
.Lfunc_end1269:
	.size	_ZN7rocprim17ROCPRIM_400000_NS6detail17trampoline_kernelINS0_14default_configENS1_25partition_config_selectorILNS1_17partition_subalgoE6EsNS0_10empty_typeEbEEZZNS1_14partition_implILS5_6ELb0ES3_mN6thrust23THRUST_200600_302600_NS6detail15normal_iteratorINSA_10device_ptrIsEEEEPS6_SG_NS0_5tupleIJSF_S6_EEENSH_IJSG_SG_EEES6_PlJNSB_9not_fun_tI7is_trueIsEEEEEE10hipError_tPvRmT3_T4_T5_T6_T7_T9_mT8_P12ihipStream_tbDpT10_ENKUlT_T0_E_clISt17integral_constantIbLb0EES18_EEDaS13_S14_EUlS13_E_NS1_11comp_targetILNS1_3genE0ELNS1_11target_archE4294967295ELNS1_3gpuE0ELNS1_3repE0EEENS1_30default_config_static_selectorELNS0_4arch9wavefront6targetE0EEEvT1_, .Lfunc_end1269-_ZN7rocprim17ROCPRIM_400000_NS6detail17trampoline_kernelINS0_14default_configENS1_25partition_config_selectorILNS1_17partition_subalgoE6EsNS0_10empty_typeEbEEZZNS1_14partition_implILS5_6ELb0ES3_mN6thrust23THRUST_200600_302600_NS6detail15normal_iteratorINSA_10device_ptrIsEEEEPS6_SG_NS0_5tupleIJSF_S6_EEENSH_IJSG_SG_EEES6_PlJNSB_9not_fun_tI7is_trueIsEEEEEE10hipError_tPvRmT3_T4_T5_T6_T7_T9_mT8_P12ihipStream_tbDpT10_ENKUlT_T0_E_clISt17integral_constantIbLb0EES18_EEDaS13_S14_EUlS13_E_NS1_11comp_targetILNS1_3genE0ELNS1_11target_archE4294967295ELNS1_3gpuE0ELNS1_3repE0EEENS1_30default_config_static_selectorELNS0_4arch9wavefront6targetE0EEEvT1_
                                        ; -- End function
	.set _ZN7rocprim17ROCPRIM_400000_NS6detail17trampoline_kernelINS0_14default_configENS1_25partition_config_selectorILNS1_17partition_subalgoE6EsNS0_10empty_typeEbEEZZNS1_14partition_implILS5_6ELb0ES3_mN6thrust23THRUST_200600_302600_NS6detail15normal_iteratorINSA_10device_ptrIsEEEEPS6_SG_NS0_5tupleIJSF_S6_EEENSH_IJSG_SG_EEES6_PlJNSB_9not_fun_tI7is_trueIsEEEEEE10hipError_tPvRmT3_T4_T5_T6_T7_T9_mT8_P12ihipStream_tbDpT10_ENKUlT_T0_E_clISt17integral_constantIbLb0EES18_EEDaS13_S14_EUlS13_E_NS1_11comp_targetILNS1_3genE0ELNS1_11target_archE4294967295ELNS1_3gpuE0ELNS1_3repE0EEENS1_30default_config_static_selectorELNS0_4arch9wavefront6targetE0EEEvT1_.num_vgpr, 0
	.set _ZN7rocprim17ROCPRIM_400000_NS6detail17trampoline_kernelINS0_14default_configENS1_25partition_config_selectorILNS1_17partition_subalgoE6EsNS0_10empty_typeEbEEZZNS1_14partition_implILS5_6ELb0ES3_mN6thrust23THRUST_200600_302600_NS6detail15normal_iteratorINSA_10device_ptrIsEEEEPS6_SG_NS0_5tupleIJSF_S6_EEENSH_IJSG_SG_EEES6_PlJNSB_9not_fun_tI7is_trueIsEEEEEE10hipError_tPvRmT3_T4_T5_T6_T7_T9_mT8_P12ihipStream_tbDpT10_ENKUlT_T0_E_clISt17integral_constantIbLb0EES18_EEDaS13_S14_EUlS13_E_NS1_11comp_targetILNS1_3genE0ELNS1_11target_archE4294967295ELNS1_3gpuE0ELNS1_3repE0EEENS1_30default_config_static_selectorELNS0_4arch9wavefront6targetE0EEEvT1_.num_agpr, 0
	.set _ZN7rocprim17ROCPRIM_400000_NS6detail17trampoline_kernelINS0_14default_configENS1_25partition_config_selectorILNS1_17partition_subalgoE6EsNS0_10empty_typeEbEEZZNS1_14partition_implILS5_6ELb0ES3_mN6thrust23THRUST_200600_302600_NS6detail15normal_iteratorINSA_10device_ptrIsEEEEPS6_SG_NS0_5tupleIJSF_S6_EEENSH_IJSG_SG_EEES6_PlJNSB_9not_fun_tI7is_trueIsEEEEEE10hipError_tPvRmT3_T4_T5_T6_T7_T9_mT8_P12ihipStream_tbDpT10_ENKUlT_T0_E_clISt17integral_constantIbLb0EES18_EEDaS13_S14_EUlS13_E_NS1_11comp_targetILNS1_3genE0ELNS1_11target_archE4294967295ELNS1_3gpuE0ELNS1_3repE0EEENS1_30default_config_static_selectorELNS0_4arch9wavefront6targetE0EEEvT1_.numbered_sgpr, 0
	.set _ZN7rocprim17ROCPRIM_400000_NS6detail17trampoline_kernelINS0_14default_configENS1_25partition_config_selectorILNS1_17partition_subalgoE6EsNS0_10empty_typeEbEEZZNS1_14partition_implILS5_6ELb0ES3_mN6thrust23THRUST_200600_302600_NS6detail15normal_iteratorINSA_10device_ptrIsEEEEPS6_SG_NS0_5tupleIJSF_S6_EEENSH_IJSG_SG_EEES6_PlJNSB_9not_fun_tI7is_trueIsEEEEEE10hipError_tPvRmT3_T4_T5_T6_T7_T9_mT8_P12ihipStream_tbDpT10_ENKUlT_T0_E_clISt17integral_constantIbLb0EES18_EEDaS13_S14_EUlS13_E_NS1_11comp_targetILNS1_3genE0ELNS1_11target_archE4294967295ELNS1_3gpuE0ELNS1_3repE0EEENS1_30default_config_static_selectorELNS0_4arch9wavefront6targetE0EEEvT1_.num_named_barrier, 0
	.set _ZN7rocprim17ROCPRIM_400000_NS6detail17trampoline_kernelINS0_14default_configENS1_25partition_config_selectorILNS1_17partition_subalgoE6EsNS0_10empty_typeEbEEZZNS1_14partition_implILS5_6ELb0ES3_mN6thrust23THRUST_200600_302600_NS6detail15normal_iteratorINSA_10device_ptrIsEEEEPS6_SG_NS0_5tupleIJSF_S6_EEENSH_IJSG_SG_EEES6_PlJNSB_9not_fun_tI7is_trueIsEEEEEE10hipError_tPvRmT3_T4_T5_T6_T7_T9_mT8_P12ihipStream_tbDpT10_ENKUlT_T0_E_clISt17integral_constantIbLb0EES18_EEDaS13_S14_EUlS13_E_NS1_11comp_targetILNS1_3genE0ELNS1_11target_archE4294967295ELNS1_3gpuE0ELNS1_3repE0EEENS1_30default_config_static_selectorELNS0_4arch9wavefront6targetE0EEEvT1_.private_seg_size, 0
	.set _ZN7rocprim17ROCPRIM_400000_NS6detail17trampoline_kernelINS0_14default_configENS1_25partition_config_selectorILNS1_17partition_subalgoE6EsNS0_10empty_typeEbEEZZNS1_14partition_implILS5_6ELb0ES3_mN6thrust23THRUST_200600_302600_NS6detail15normal_iteratorINSA_10device_ptrIsEEEEPS6_SG_NS0_5tupleIJSF_S6_EEENSH_IJSG_SG_EEES6_PlJNSB_9not_fun_tI7is_trueIsEEEEEE10hipError_tPvRmT3_T4_T5_T6_T7_T9_mT8_P12ihipStream_tbDpT10_ENKUlT_T0_E_clISt17integral_constantIbLb0EES18_EEDaS13_S14_EUlS13_E_NS1_11comp_targetILNS1_3genE0ELNS1_11target_archE4294967295ELNS1_3gpuE0ELNS1_3repE0EEENS1_30default_config_static_selectorELNS0_4arch9wavefront6targetE0EEEvT1_.uses_vcc, 0
	.set _ZN7rocprim17ROCPRIM_400000_NS6detail17trampoline_kernelINS0_14default_configENS1_25partition_config_selectorILNS1_17partition_subalgoE6EsNS0_10empty_typeEbEEZZNS1_14partition_implILS5_6ELb0ES3_mN6thrust23THRUST_200600_302600_NS6detail15normal_iteratorINSA_10device_ptrIsEEEEPS6_SG_NS0_5tupleIJSF_S6_EEENSH_IJSG_SG_EEES6_PlJNSB_9not_fun_tI7is_trueIsEEEEEE10hipError_tPvRmT3_T4_T5_T6_T7_T9_mT8_P12ihipStream_tbDpT10_ENKUlT_T0_E_clISt17integral_constantIbLb0EES18_EEDaS13_S14_EUlS13_E_NS1_11comp_targetILNS1_3genE0ELNS1_11target_archE4294967295ELNS1_3gpuE0ELNS1_3repE0EEENS1_30default_config_static_selectorELNS0_4arch9wavefront6targetE0EEEvT1_.uses_flat_scratch, 0
	.set _ZN7rocprim17ROCPRIM_400000_NS6detail17trampoline_kernelINS0_14default_configENS1_25partition_config_selectorILNS1_17partition_subalgoE6EsNS0_10empty_typeEbEEZZNS1_14partition_implILS5_6ELb0ES3_mN6thrust23THRUST_200600_302600_NS6detail15normal_iteratorINSA_10device_ptrIsEEEEPS6_SG_NS0_5tupleIJSF_S6_EEENSH_IJSG_SG_EEES6_PlJNSB_9not_fun_tI7is_trueIsEEEEEE10hipError_tPvRmT3_T4_T5_T6_T7_T9_mT8_P12ihipStream_tbDpT10_ENKUlT_T0_E_clISt17integral_constantIbLb0EES18_EEDaS13_S14_EUlS13_E_NS1_11comp_targetILNS1_3genE0ELNS1_11target_archE4294967295ELNS1_3gpuE0ELNS1_3repE0EEENS1_30default_config_static_selectorELNS0_4arch9wavefront6targetE0EEEvT1_.has_dyn_sized_stack, 0
	.set _ZN7rocprim17ROCPRIM_400000_NS6detail17trampoline_kernelINS0_14default_configENS1_25partition_config_selectorILNS1_17partition_subalgoE6EsNS0_10empty_typeEbEEZZNS1_14partition_implILS5_6ELb0ES3_mN6thrust23THRUST_200600_302600_NS6detail15normal_iteratorINSA_10device_ptrIsEEEEPS6_SG_NS0_5tupleIJSF_S6_EEENSH_IJSG_SG_EEES6_PlJNSB_9not_fun_tI7is_trueIsEEEEEE10hipError_tPvRmT3_T4_T5_T6_T7_T9_mT8_P12ihipStream_tbDpT10_ENKUlT_T0_E_clISt17integral_constantIbLb0EES18_EEDaS13_S14_EUlS13_E_NS1_11comp_targetILNS1_3genE0ELNS1_11target_archE4294967295ELNS1_3gpuE0ELNS1_3repE0EEENS1_30default_config_static_selectorELNS0_4arch9wavefront6targetE0EEEvT1_.has_recursion, 0
	.set _ZN7rocprim17ROCPRIM_400000_NS6detail17trampoline_kernelINS0_14default_configENS1_25partition_config_selectorILNS1_17partition_subalgoE6EsNS0_10empty_typeEbEEZZNS1_14partition_implILS5_6ELb0ES3_mN6thrust23THRUST_200600_302600_NS6detail15normal_iteratorINSA_10device_ptrIsEEEEPS6_SG_NS0_5tupleIJSF_S6_EEENSH_IJSG_SG_EEES6_PlJNSB_9not_fun_tI7is_trueIsEEEEEE10hipError_tPvRmT3_T4_T5_T6_T7_T9_mT8_P12ihipStream_tbDpT10_ENKUlT_T0_E_clISt17integral_constantIbLb0EES18_EEDaS13_S14_EUlS13_E_NS1_11comp_targetILNS1_3genE0ELNS1_11target_archE4294967295ELNS1_3gpuE0ELNS1_3repE0EEENS1_30default_config_static_selectorELNS0_4arch9wavefront6targetE0EEEvT1_.has_indirect_call, 0
	.section	.AMDGPU.csdata,"",@progbits
; Kernel info:
; codeLenInByte = 0
; TotalNumSgprs: 0
; NumVgprs: 0
; ScratchSize: 0
; MemoryBound: 0
; FloatMode: 240
; IeeeMode: 1
; LDSByteSize: 0 bytes/workgroup (compile time only)
; SGPRBlocks: 0
; VGPRBlocks: 0
; NumSGPRsForWavesPerEU: 1
; NumVGPRsForWavesPerEU: 1
; Occupancy: 16
; WaveLimiterHint : 0
; COMPUTE_PGM_RSRC2:SCRATCH_EN: 0
; COMPUTE_PGM_RSRC2:USER_SGPR: 2
; COMPUTE_PGM_RSRC2:TRAP_HANDLER: 0
; COMPUTE_PGM_RSRC2:TGID_X_EN: 1
; COMPUTE_PGM_RSRC2:TGID_Y_EN: 0
; COMPUTE_PGM_RSRC2:TGID_Z_EN: 0
; COMPUTE_PGM_RSRC2:TIDIG_COMP_CNT: 0
	.section	.text._ZN7rocprim17ROCPRIM_400000_NS6detail17trampoline_kernelINS0_14default_configENS1_25partition_config_selectorILNS1_17partition_subalgoE6EsNS0_10empty_typeEbEEZZNS1_14partition_implILS5_6ELb0ES3_mN6thrust23THRUST_200600_302600_NS6detail15normal_iteratorINSA_10device_ptrIsEEEEPS6_SG_NS0_5tupleIJSF_S6_EEENSH_IJSG_SG_EEES6_PlJNSB_9not_fun_tI7is_trueIsEEEEEE10hipError_tPvRmT3_T4_T5_T6_T7_T9_mT8_P12ihipStream_tbDpT10_ENKUlT_T0_E_clISt17integral_constantIbLb0EES18_EEDaS13_S14_EUlS13_E_NS1_11comp_targetILNS1_3genE5ELNS1_11target_archE942ELNS1_3gpuE9ELNS1_3repE0EEENS1_30default_config_static_selectorELNS0_4arch9wavefront6targetE0EEEvT1_,"axG",@progbits,_ZN7rocprim17ROCPRIM_400000_NS6detail17trampoline_kernelINS0_14default_configENS1_25partition_config_selectorILNS1_17partition_subalgoE6EsNS0_10empty_typeEbEEZZNS1_14partition_implILS5_6ELb0ES3_mN6thrust23THRUST_200600_302600_NS6detail15normal_iteratorINSA_10device_ptrIsEEEEPS6_SG_NS0_5tupleIJSF_S6_EEENSH_IJSG_SG_EEES6_PlJNSB_9not_fun_tI7is_trueIsEEEEEE10hipError_tPvRmT3_T4_T5_T6_T7_T9_mT8_P12ihipStream_tbDpT10_ENKUlT_T0_E_clISt17integral_constantIbLb0EES18_EEDaS13_S14_EUlS13_E_NS1_11comp_targetILNS1_3genE5ELNS1_11target_archE942ELNS1_3gpuE9ELNS1_3repE0EEENS1_30default_config_static_selectorELNS0_4arch9wavefront6targetE0EEEvT1_,comdat
	.protected	_ZN7rocprim17ROCPRIM_400000_NS6detail17trampoline_kernelINS0_14default_configENS1_25partition_config_selectorILNS1_17partition_subalgoE6EsNS0_10empty_typeEbEEZZNS1_14partition_implILS5_6ELb0ES3_mN6thrust23THRUST_200600_302600_NS6detail15normal_iteratorINSA_10device_ptrIsEEEEPS6_SG_NS0_5tupleIJSF_S6_EEENSH_IJSG_SG_EEES6_PlJNSB_9not_fun_tI7is_trueIsEEEEEE10hipError_tPvRmT3_T4_T5_T6_T7_T9_mT8_P12ihipStream_tbDpT10_ENKUlT_T0_E_clISt17integral_constantIbLb0EES18_EEDaS13_S14_EUlS13_E_NS1_11comp_targetILNS1_3genE5ELNS1_11target_archE942ELNS1_3gpuE9ELNS1_3repE0EEENS1_30default_config_static_selectorELNS0_4arch9wavefront6targetE0EEEvT1_ ; -- Begin function _ZN7rocprim17ROCPRIM_400000_NS6detail17trampoline_kernelINS0_14default_configENS1_25partition_config_selectorILNS1_17partition_subalgoE6EsNS0_10empty_typeEbEEZZNS1_14partition_implILS5_6ELb0ES3_mN6thrust23THRUST_200600_302600_NS6detail15normal_iteratorINSA_10device_ptrIsEEEEPS6_SG_NS0_5tupleIJSF_S6_EEENSH_IJSG_SG_EEES6_PlJNSB_9not_fun_tI7is_trueIsEEEEEE10hipError_tPvRmT3_T4_T5_T6_T7_T9_mT8_P12ihipStream_tbDpT10_ENKUlT_T0_E_clISt17integral_constantIbLb0EES18_EEDaS13_S14_EUlS13_E_NS1_11comp_targetILNS1_3genE5ELNS1_11target_archE942ELNS1_3gpuE9ELNS1_3repE0EEENS1_30default_config_static_selectorELNS0_4arch9wavefront6targetE0EEEvT1_
	.globl	_ZN7rocprim17ROCPRIM_400000_NS6detail17trampoline_kernelINS0_14default_configENS1_25partition_config_selectorILNS1_17partition_subalgoE6EsNS0_10empty_typeEbEEZZNS1_14partition_implILS5_6ELb0ES3_mN6thrust23THRUST_200600_302600_NS6detail15normal_iteratorINSA_10device_ptrIsEEEEPS6_SG_NS0_5tupleIJSF_S6_EEENSH_IJSG_SG_EEES6_PlJNSB_9not_fun_tI7is_trueIsEEEEEE10hipError_tPvRmT3_T4_T5_T6_T7_T9_mT8_P12ihipStream_tbDpT10_ENKUlT_T0_E_clISt17integral_constantIbLb0EES18_EEDaS13_S14_EUlS13_E_NS1_11comp_targetILNS1_3genE5ELNS1_11target_archE942ELNS1_3gpuE9ELNS1_3repE0EEENS1_30default_config_static_selectorELNS0_4arch9wavefront6targetE0EEEvT1_
	.p2align	8
	.type	_ZN7rocprim17ROCPRIM_400000_NS6detail17trampoline_kernelINS0_14default_configENS1_25partition_config_selectorILNS1_17partition_subalgoE6EsNS0_10empty_typeEbEEZZNS1_14partition_implILS5_6ELb0ES3_mN6thrust23THRUST_200600_302600_NS6detail15normal_iteratorINSA_10device_ptrIsEEEEPS6_SG_NS0_5tupleIJSF_S6_EEENSH_IJSG_SG_EEES6_PlJNSB_9not_fun_tI7is_trueIsEEEEEE10hipError_tPvRmT3_T4_T5_T6_T7_T9_mT8_P12ihipStream_tbDpT10_ENKUlT_T0_E_clISt17integral_constantIbLb0EES18_EEDaS13_S14_EUlS13_E_NS1_11comp_targetILNS1_3genE5ELNS1_11target_archE942ELNS1_3gpuE9ELNS1_3repE0EEENS1_30default_config_static_selectorELNS0_4arch9wavefront6targetE0EEEvT1_,@function
_ZN7rocprim17ROCPRIM_400000_NS6detail17trampoline_kernelINS0_14default_configENS1_25partition_config_selectorILNS1_17partition_subalgoE6EsNS0_10empty_typeEbEEZZNS1_14partition_implILS5_6ELb0ES3_mN6thrust23THRUST_200600_302600_NS6detail15normal_iteratorINSA_10device_ptrIsEEEEPS6_SG_NS0_5tupleIJSF_S6_EEENSH_IJSG_SG_EEES6_PlJNSB_9not_fun_tI7is_trueIsEEEEEE10hipError_tPvRmT3_T4_T5_T6_T7_T9_mT8_P12ihipStream_tbDpT10_ENKUlT_T0_E_clISt17integral_constantIbLb0EES18_EEDaS13_S14_EUlS13_E_NS1_11comp_targetILNS1_3genE5ELNS1_11target_archE942ELNS1_3gpuE9ELNS1_3repE0EEENS1_30default_config_static_selectorELNS0_4arch9wavefront6targetE0EEEvT1_: ; @_ZN7rocprim17ROCPRIM_400000_NS6detail17trampoline_kernelINS0_14default_configENS1_25partition_config_selectorILNS1_17partition_subalgoE6EsNS0_10empty_typeEbEEZZNS1_14partition_implILS5_6ELb0ES3_mN6thrust23THRUST_200600_302600_NS6detail15normal_iteratorINSA_10device_ptrIsEEEEPS6_SG_NS0_5tupleIJSF_S6_EEENSH_IJSG_SG_EEES6_PlJNSB_9not_fun_tI7is_trueIsEEEEEE10hipError_tPvRmT3_T4_T5_T6_T7_T9_mT8_P12ihipStream_tbDpT10_ENKUlT_T0_E_clISt17integral_constantIbLb0EES18_EEDaS13_S14_EUlS13_E_NS1_11comp_targetILNS1_3genE5ELNS1_11target_archE942ELNS1_3gpuE9ELNS1_3repE0EEENS1_30default_config_static_selectorELNS0_4arch9wavefront6targetE0EEEvT1_
; %bb.0:
	.section	.rodata,"a",@progbits
	.p2align	6, 0x0
	.amdhsa_kernel _ZN7rocprim17ROCPRIM_400000_NS6detail17trampoline_kernelINS0_14default_configENS1_25partition_config_selectorILNS1_17partition_subalgoE6EsNS0_10empty_typeEbEEZZNS1_14partition_implILS5_6ELb0ES3_mN6thrust23THRUST_200600_302600_NS6detail15normal_iteratorINSA_10device_ptrIsEEEEPS6_SG_NS0_5tupleIJSF_S6_EEENSH_IJSG_SG_EEES6_PlJNSB_9not_fun_tI7is_trueIsEEEEEE10hipError_tPvRmT3_T4_T5_T6_T7_T9_mT8_P12ihipStream_tbDpT10_ENKUlT_T0_E_clISt17integral_constantIbLb0EES18_EEDaS13_S14_EUlS13_E_NS1_11comp_targetILNS1_3genE5ELNS1_11target_archE942ELNS1_3gpuE9ELNS1_3repE0EEENS1_30default_config_static_selectorELNS0_4arch9wavefront6targetE0EEEvT1_
		.amdhsa_group_segment_fixed_size 0
		.amdhsa_private_segment_fixed_size 0
		.amdhsa_kernarg_size 112
		.amdhsa_user_sgpr_count 2
		.amdhsa_user_sgpr_dispatch_ptr 0
		.amdhsa_user_sgpr_queue_ptr 0
		.amdhsa_user_sgpr_kernarg_segment_ptr 1
		.amdhsa_user_sgpr_dispatch_id 0
		.amdhsa_user_sgpr_private_segment_size 0
		.amdhsa_wavefront_size32 1
		.amdhsa_uses_dynamic_stack 0
		.amdhsa_enable_private_segment 0
		.amdhsa_system_sgpr_workgroup_id_x 1
		.amdhsa_system_sgpr_workgroup_id_y 0
		.amdhsa_system_sgpr_workgroup_id_z 0
		.amdhsa_system_sgpr_workgroup_info 0
		.amdhsa_system_vgpr_workitem_id 0
		.amdhsa_next_free_vgpr 1
		.amdhsa_next_free_sgpr 1
		.amdhsa_reserve_vcc 0
		.amdhsa_float_round_mode_32 0
		.amdhsa_float_round_mode_16_64 0
		.amdhsa_float_denorm_mode_32 3
		.amdhsa_float_denorm_mode_16_64 3
		.amdhsa_fp16_overflow 0
		.amdhsa_workgroup_processor_mode 1
		.amdhsa_memory_ordered 1
		.amdhsa_forward_progress 1
		.amdhsa_inst_pref_size 0
		.amdhsa_round_robin_scheduling 0
		.amdhsa_exception_fp_ieee_invalid_op 0
		.amdhsa_exception_fp_denorm_src 0
		.amdhsa_exception_fp_ieee_div_zero 0
		.amdhsa_exception_fp_ieee_overflow 0
		.amdhsa_exception_fp_ieee_underflow 0
		.amdhsa_exception_fp_ieee_inexact 0
		.amdhsa_exception_int_div_zero 0
	.end_amdhsa_kernel
	.section	.text._ZN7rocprim17ROCPRIM_400000_NS6detail17trampoline_kernelINS0_14default_configENS1_25partition_config_selectorILNS1_17partition_subalgoE6EsNS0_10empty_typeEbEEZZNS1_14partition_implILS5_6ELb0ES3_mN6thrust23THRUST_200600_302600_NS6detail15normal_iteratorINSA_10device_ptrIsEEEEPS6_SG_NS0_5tupleIJSF_S6_EEENSH_IJSG_SG_EEES6_PlJNSB_9not_fun_tI7is_trueIsEEEEEE10hipError_tPvRmT3_T4_T5_T6_T7_T9_mT8_P12ihipStream_tbDpT10_ENKUlT_T0_E_clISt17integral_constantIbLb0EES18_EEDaS13_S14_EUlS13_E_NS1_11comp_targetILNS1_3genE5ELNS1_11target_archE942ELNS1_3gpuE9ELNS1_3repE0EEENS1_30default_config_static_selectorELNS0_4arch9wavefront6targetE0EEEvT1_,"axG",@progbits,_ZN7rocprim17ROCPRIM_400000_NS6detail17trampoline_kernelINS0_14default_configENS1_25partition_config_selectorILNS1_17partition_subalgoE6EsNS0_10empty_typeEbEEZZNS1_14partition_implILS5_6ELb0ES3_mN6thrust23THRUST_200600_302600_NS6detail15normal_iteratorINSA_10device_ptrIsEEEEPS6_SG_NS0_5tupleIJSF_S6_EEENSH_IJSG_SG_EEES6_PlJNSB_9not_fun_tI7is_trueIsEEEEEE10hipError_tPvRmT3_T4_T5_T6_T7_T9_mT8_P12ihipStream_tbDpT10_ENKUlT_T0_E_clISt17integral_constantIbLb0EES18_EEDaS13_S14_EUlS13_E_NS1_11comp_targetILNS1_3genE5ELNS1_11target_archE942ELNS1_3gpuE9ELNS1_3repE0EEENS1_30default_config_static_selectorELNS0_4arch9wavefront6targetE0EEEvT1_,comdat
.Lfunc_end1270:
	.size	_ZN7rocprim17ROCPRIM_400000_NS6detail17trampoline_kernelINS0_14default_configENS1_25partition_config_selectorILNS1_17partition_subalgoE6EsNS0_10empty_typeEbEEZZNS1_14partition_implILS5_6ELb0ES3_mN6thrust23THRUST_200600_302600_NS6detail15normal_iteratorINSA_10device_ptrIsEEEEPS6_SG_NS0_5tupleIJSF_S6_EEENSH_IJSG_SG_EEES6_PlJNSB_9not_fun_tI7is_trueIsEEEEEE10hipError_tPvRmT3_T4_T5_T6_T7_T9_mT8_P12ihipStream_tbDpT10_ENKUlT_T0_E_clISt17integral_constantIbLb0EES18_EEDaS13_S14_EUlS13_E_NS1_11comp_targetILNS1_3genE5ELNS1_11target_archE942ELNS1_3gpuE9ELNS1_3repE0EEENS1_30default_config_static_selectorELNS0_4arch9wavefront6targetE0EEEvT1_, .Lfunc_end1270-_ZN7rocprim17ROCPRIM_400000_NS6detail17trampoline_kernelINS0_14default_configENS1_25partition_config_selectorILNS1_17partition_subalgoE6EsNS0_10empty_typeEbEEZZNS1_14partition_implILS5_6ELb0ES3_mN6thrust23THRUST_200600_302600_NS6detail15normal_iteratorINSA_10device_ptrIsEEEEPS6_SG_NS0_5tupleIJSF_S6_EEENSH_IJSG_SG_EEES6_PlJNSB_9not_fun_tI7is_trueIsEEEEEE10hipError_tPvRmT3_T4_T5_T6_T7_T9_mT8_P12ihipStream_tbDpT10_ENKUlT_T0_E_clISt17integral_constantIbLb0EES18_EEDaS13_S14_EUlS13_E_NS1_11comp_targetILNS1_3genE5ELNS1_11target_archE942ELNS1_3gpuE9ELNS1_3repE0EEENS1_30default_config_static_selectorELNS0_4arch9wavefront6targetE0EEEvT1_
                                        ; -- End function
	.set _ZN7rocprim17ROCPRIM_400000_NS6detail17trampoline_kernelINS0_14default_configENS1_25partition_config_selectorILNS1_17partition_subalgoE6EsNS0_10empty_typeEbEEZZNS1_14partition_implILS5_6ELb0ES3_mN6thrust23THRUST_200600_302600_NS6detail15normal_iteratorINSA_10device_ptrIsEEEEPS6_SG_NS0_5tupleIJSF_S6_EEENSH_IJSG_SG_EEES6_PlJNSB_9not_fun_tI7is_trueIsEEEEEE10hipError_tPvRmT3_T4_T5_T6_T7_T9_mT8_P12ihipStream_tbDpT10_ENKUlT_T0_E_clISt17integral_constantIbLb0EES18_EEDaS13_S14_EUlS13_E_NS1_11comp_targetILNS1_3genE5ELNS1_11target_archE942ELNS1_3gpuE9ELNS1_3repE0EEENS1_30default_config_static_selectorELNS0_4arch9wavefront6targetE0EEEvT1_.num_vgpr, 0
	.set _ZN7rocprim17ROCPRIM_400000_NS6detail17trampoline_kernelINS0_14default_configENS1_25partition_config_selectorILNS1_17partition_subalgoE6EsNS0_10empty_typeEbEEZZNS1_14partition_implILS5_6ELb0ES3_mN6thrust23THRUST_200600_302600_NS6detail15normal_iteratorINSA_10device_ptrIsEEEEPS6_SG_NS0_5tupleIJSF_S6_EEENSH_IJSG_SG_EEES6_PlJNSB_9not_fun_tI7is_trueIsEEEEEE10hipError_tPvRmT3_T4_T5_T6_T7_T9_mT8_P12ihipStream_tbDpT10_ENKUlT_T0_E_clISt17integral_constantIbLb0EES18_EEDaS13_S14_EUlS13_E_NS1_11comp_targetILNS1_3genE5ELNS1_11target_archE942ELNS1_3gpuE9ELNS1_3repE0EEENS1_30default_config_static_selectorELNS0_4arch9wavefront6targetE0EEEvT1_.num_agpr, 0
	.set _ZN7rocprim17ROCPRIM_400000_NS6detail17trampoline_kernelINS0_14default_configENS1_25partition_config_selectorILNS1_17partition_subalgoE6EsNS0_10empty_typeEbEEZZNS1_14partition_implILS5_6ELb0ES3_mN6thrust23THRUST_200600_302600_NS6detail15normal_iteratorINSA_10device_ptrIsEEEEPS6_SG_NS0_5tupleIJSF_S6_EEENSH_IJSG_SG_EEES6_PlJNSB_9not_fun_tI7is_trueIsEEEEEE10hipError_tPvRmT3_T4_T5_T6_T7_T9_mT8_P12ihipStream_tbDpT10_ENKUlT_T0_E_clISt17integral_constantIbLb0EES18_EEDaS13_S14_EUlS13_E_NS1_11comp_targetILNS1_3genE5ELNS1_11target_archE942ELNS1_3gpuE9ELNS1_3repE0EEENS1_30default_config_static_selectorELNS0_4arch9wavefront6targetE0EEEvT1_.numbered_sgpr, 0
	.set _ZN7rocprim17ROCPRIM_400000_NS6detail17trampoline_kernelINS0_14default_configENS1_25partition_config_selectorILNS1_17partition_subalgoE6EsNS0_10empty_typeEbEEZZNS1_14partition_implILS5_6ELb0ES3_mN6thrust23THRUST_200600_302600_NS6detail15normal_iteratorINSA_10device_ptrIsEEEEPS6_SG_NS0_5tupleIJSF_S6_EEENSH_IJSG_SG_EEES6_PlJNSB_9not_fun_tI7is_trueIsEEEEEE10hipError_tPvRmT3_T4_T5_T6_T7_T9_mT8_P12ihipStream_tbDpT10_ENKUlT_T0_E_clISt17integral_constantIbLb0EES18_EEDaS13_S14_EUlS13_E_NS1_11comp_targetILNS1_3genE5ELNS1_11target_archE942ELNS1_3gpuE9ELNS1_3repE0EEENS1_30default_config_static_selectorELNS0_4arch9wavefront6targetE0EEEvT1_.num_named_barrier, 0
	.set _ZN7rocprim17ROCPRIM_400000_NS6detail17trampoline_kernelINS0_14default_configENS1_25partition_config_selectorILNS1_17partition_subalgoE6EsNS0_10empty_typeEbEEZZNS1_14partition_implILS5_6ELb0ES3_mN6thrust23THRUST_200600_302600_NS6detail15normal_iteratorINSA_10device_ptrIsEEEEPS6_SG_NS0_5tupleIJSF_S6_EEENSH_IJSG_SG_EEES6_PlJNSB_9not_fun_tI7is_trueIsEEEEEE10hipError_tPvRmT3_T4_T5_T6_T7_T9_mT8_P12ihipStream_tbDpT10_ENKUlT_T0_E_clISt17integral_constantIbLb0EES18_EEDaS13_S14_EUlS13_E_NS1_11comp_targetILNS1_3genE5ELNS1_11target_archE942ELNS1_3gpuE9ELNS1_3repE0EEENS1_30default_config_static_selectorELNS0_4arch9wavefront6targetE0EEEvT1_.private_seg_size, 0
	.set _ZN7rocprim17ROCPRIM_400000_NS6detail17trampoline_kernelINS0_14default_configENS1_25partition_config_selectorILNS1_17partition_subalgoE6EsNS0_10empty_typeEbEEZZNS1_14partition_implILS5_6ELb0ES3_mN6thrust23THRUST_200600_302600_NS6detail15normal_iteratorINSA_10device_ptrIsEEEEPS6_SG_NS0_5tupleIJSF_S6_EEENSH_IJSG_SG_EEES6_PlJNSB_9not_fun_tI7is_trueIsEEEEEE10hipError_tPvRmT3_T4_T5_T6_T7_T9_mT8_P12ihipStream_tbDpT10_ENKUlT_T0_E_clISt17integral_constantIbLb0EES18_EEDaS13_S14_EUlS13_E_NS1_11comp_targetILNS1_3genE5ELNS1_11target_archE942ELNS1_3gpuE9ELNS1_3repE0EEENS1_30default_config_static_selectorELNS0_4arch9wavefront6targetE0EEEvT1_.uses_vcc, 0
	.set _ZN7rocprim17ROCPRIM_400000_NS6detail17trampoline_kernelINS0_14default_configENS1_25partition_config_selectorILNS1_17partition_subalgoE6EsNS0_10empty_typeEbEEZZNS1_14partition_implILS5_6ELb0ES3_mN6thrust23THRUST_200600_302600_NS6detail15normal_iteratorINSA_10device_ptrIsEEEEPS6_SG_NS0_5tupleIJSF_S6_EEENSH_IJSG_SG_EEES6_PlJNSB_9not_fun_tI7is_trueIsEEEEEE10hipError_tPvRmT3_T4_T5_T6_T7_T9_mT8_P12ihipStream_tbDpT10_ENKUlT_T0_E_clISt17integral_constantIbLb0EES18_EEDaS13_S14_EUlS13_E_NS1_11comp_targetILNS1_3genE5ELNS1_11target_archE942ELNS1_3gpuE9ELNS1_3repE0EEENS1_30default_config_static_selectorELNS0_4arch9wavefront6targetE0EEEvT1_.uses_flat_scratch, 0
	.set _ZN7rocprim17ROCPRIM_400000_NS6detail17trampoline_kernelINS0_14default_configENS1_25partition_config_selectorILNS1_17partition_subalgoE6EsNS0_10empty_typeEbEEZZNS1_14partition_implILS5_6ELb0ES3_mN6thrust23THRUST_200600_302600_NS6detail15normal_iteratorINSA_10device_ptrIsEEEEPS6_SG_NS0_5tupleIJSF_S6_EEENSH_IJSG_SG_EEES6_PlJNSB_9not_fun_tI7is_trueIsEEEEEE10hipError_tPvRmT3_T4_T5_T6_T7_T9_mT8_P12ihipStream_tbDpT10_ENKUlT_T0_E_clISt17integral_constantIbLb0EES18_EEDaS13_S14_EUlS13_E_NS1_11comp_targetILNS1_3genE5ELNS1_11target_archE942ELNS1_3gpuE9ELNS1_3repE0EEENS1_30default_config_static_selectorELNS0_4arch9wavefront6targetE0EEEvT1_.has_dyn_sized_stack, 0
	.set _ZN7rocprim17ROCPRIM_400000_NS6detail17trampoline_kernelINS0_14default_configENS1_25partition_config_selectorILNS1_17partition_subalgoE6EsNS0_10empty_typeEbEEZZNS1_14partition_implILS5_6ELb0ES3_mN6thrust23THRUST_200600_302600_NS6detail15normal_iteratorINSA_10device_ptrIsEEEEPS6_SG_NS0_5tupleIJSF_S6_EEENSH_IJSG_SG_EEES6_PlJNSB_9not_fun_tI7is_trueIsEEEEEE10hipError_tPvRmT3_T4_T5_T6_T7_T9_mT8_P12ihipStream_tbDpT10_ENKUlT_T0_E_clISt17integral_constantIbLb0EES18_EEDaS13_S14_EUlS13_E_NS1_11comp_targetILNS1_3genE5ELNS1_11target_archE942ELNS1_3gpuE9ELNS1_3repE0EEENS1_30default_config_static_selectorELNS0_4arch9wavefront6targetE0EEEvT1_.has_recursion, 0
	.set _ZN7rocprim17ROCPRIM_400000_NS6detail17trampoline_kernelINS0_14default_configENS1_25partition_config_selectorILNS1_17partition_subalgoE6EsNS0_10empty_typeEbEEZZNS1_14partition_implILS5_6ELb0ES3_mN6thrust23THRUST_200600_302600_NS6detail15normal_iteratorINSA_10device_ptrIsEEEEPS6_SG_NS0_5tupleIJSF_S6_EEENSH_IJSG_SG_EEES6_PlJNSB_9not_fun_tI7is_trueIsEEEEEE10hipError_tPvRmT3_T4_T5_T6_T7_T9_mT8_P12ihipStream_tbDpT10_ENKUlT_T0_E_clISt17integral_constantIbLb0EES18_EEDaS13_S14_EUlS13_E_NS1_11comp_targetILNS1_3genE5ELNS1_11target_archE942ELNS1_3gpuE9ELNS1_3repE0EEENS1_30default_config_static_selectorELNS0_4arch9wavefront6targetE0EEEvT1_.has_indirect_call, 0
	.section	.AMDGPU.csdata,"",@progbits
; Kernel info:
; codeLenInByte = 0
; TotalNumSgprs: 0
; NumVgprs: 0
; ScratchSize: 0
; MemoryBound: 0
; FloatMode: 240
; IeeeMode: 1
; LDSByteSize: 0 bytes/workgroup (compile time only)
; SGPRBlocks: 0
; VGPRBlocks: 0
; NumSGPRsForWavesPerEU: 1
; NumVGPRsForWavesPerEU: 1
; Occupancy: 16
; WaveLimiterHint : 0
; COMPUTE_PGM_RSRC2:SCRATCH_EN: 0
; COMPUTE_PGM_RSRC2:USER_SGPR: 2
; COMPUTE_PGM_RSRC2:TRAP_HANDLER: 0
; COMPUTE_PGM_RSRC2:TGID_X_EN: 1
; COMPUTE_PGM_RSRC2:TGID_Y_EN: 0
; COMPUTE_PGM_RSRC2:TGID_Z_EN: 0
; COMPUTE_PGM_RSRC2:TIDIG_COMP_CNT: 0
	.section	.text._ZN7rocprim17ROCPRIM_400000_NS6detail17trampoline_kernelINS0_14default_configENS1_25partition_config_selectorILNS1_17partition_subalgoE6EsNS0_10empty_typeEbEEZZNS1_14partition_implILS5_6ELb0ES3_mN6thrust23THRUST_200600_302600_NS6detail15normal_iteratorINSA_10device_ptrIsEEEEPS6_SG_NS0_5tupleIJSF_S6_EEENSH_IJSG_SG_EEES6_PlJNSB_9not_fun_tI7is_trueIsEEEEEE10hipError_tPvRmT3_T4_T5_T6_T7_T9_mT8_P12ihipStream_tbDpT10_ENKUlT_T0_E_clISt17integral_constantIbLb0EES18_EEDaS13_S14_EUlS13_E_NS1_11comp_targetILNS1_3genE4ELNS1_11target_archE910ELNS1_3gpuE8ELNS1_3repE0EEENS1_30default_config_static_selectorELNS0_4arch9wavefront6targetE0EEEvT1_,"axG",@progbits,_ZN7rocprim17ROCPRIM_400000_NS6detail17trampoline_kernelINS0_14default_configENS1_25partition_config_selectorILNS1_17partition_subalgoE6EsNS0_10empty_typeEbEEZZNS1_14partition_implILS5_6ELb0ES3_mN6thrust23THRUST_200600_302600_NS6detail15normal_iteratorINSA_10device_ptrIsEEEEPS6_SG_NS0_5tupleIJSF_S6_EEENSH_IJSG_SG_EEES6_PlJNSB_9not_fun_tI7is_trueIsEEEEEE10hipError_tPvRmT3_T4_T5_T6_T7_T9_mT8_P12ihipStream_tbDpT10_ENKUlT_T0_E_clISt17integral_constantIbLb0EES18_EEDaS13_S14_EUlS13_E_NS1_11comp_targetILNS1_3genE4ELNS1_11target_archE910ELNS1_3gpuE8ELNS1_3repE0EEENS1_30default_config_static_selectorELNS0_4arch9wavefront6targetE0EEEvT1_,comdat
	.protected	_ZN7rocprim17ROCPRIM_400000_NS6detail17trampoline_kernelINS0_14default_configENS1_25partition_config_selectorILNS1_17partition_subalgoE6EsNS0_10empty_typeEbEEZZNS1_14partition_implILS5_6ELb0ES3_mN6thrust23THRUST_200600_302600_NS6detail15normal_iteratorINSA_10device_ptrIsEEEEPS6_SG_NS0_5tupleIJSF_S6_EEENSH_IJSG_SG_EEES6_PlJNSB_9not_fun_tI7is_trueIsEEEEEE10hipError_tPvRmT3_T4_T5_T6_T7_T9_mT8_P12ihipStream_tbDpT10_ENKUlT_T0_E_clISt17integral_constantIbLb0EES18_EEDaS13_S14_EUlS13_E_NS1_11comp_targetILNS1_3genE4ELNS1_11target_archE910ELNS1_3gpuE8ELNS1_3repE0EEENS1_30default_config_static_selectorELNS0_4arch9wavefront6targetE0EEEvT1_ ; -- Begin function _ZN7rocprim17ROCPRIM_400000_NS6detail17trampoline_kernelINS0_14default_configENS1_25partition_config_selectorILNS1_17partition_subalgoE6EsNS0_10empty_typeEbEEZZNS1_14partition_implILS5_6ELb0ES3_mN6thrust23THRUST_200600_302600_NS6detail15normal_iteratorINSA_10device_ptrIsEEEEPS6_SG_NS0_5tupleIJSF_S6_EEENSH_IJSG_SG_EEES6_PlJNSB_9not_fun_tI7is_trueIsEEEEEE10hipError_tPvRmT3_T4_T5_T6_T7_T9_mT8_P12ihipStream_tbDpT10_ENKUlT_T0_E_clISt17integral_constantIbLb0EES18_EEDaS13_S14_EUlS13_E_NS1_11comp_targetILNS1_3genE4ELNS1_11target_archE910ELNS1_3gpuE8ELNS1_3repE0EEENS1_30default_config_static_selectorELNS0_4arch9wavefront6targetE0EEEvT1_
	.globl	_ZN7rocprim17ROCPRIM_400000_NS6detail17trampoline_kernelINS0_14default_configENS1_25partition_config_selectorILNS1_17partition_subalgoE6EsNS0_10empty_typeEbEEZZNS1_14partition_implILS5_6ELb0ES3_mN6thrust23THRUST_200600_302600_NS6detail15normal_iteratorINSA_10device_ptrIsEEEEPS6_SG_NS0_5tupleIJSF_S6_EEENSH_IJSG_SG_EEES6_PlJNSB_9not_fun_tI7is_trueIsEEEEEE10hipError_tPvRmT3_T4_T5_T6_T7_T9_mT8_P12ihipStream_tbDpT10_ENKUlT_T0_E_clISt17integral_constantIbLb0EES18_EEDaS13_S14_EUlS13_E_NS1_11comp_targetILNS1_3genE4ELNS1_11target_archE910ELNS1_3gpuE8ELNS1_3repE0EEENS1_30default_config_static_selectorELNS0_4arch9wavefront6targetE0EEEvT1_
	.p2align	8
	.type	_ZN7rocprim17ROCPRIM_400000_NS6detail17trampoline_kernelINS0_14default_configENS1_25partition_config_selectorILNS1_17partition_subalgoE6EsNS0_10empty_typeEbEEZZNS1_14partition_implILS5_6ELb0ES3_mN6thrust23THRUST_200600_302600_NS6detail15normal_iteratorINSA_10device_ptrIsEEEEPS6_SG_NS0_5tupleIJSF_S6_EEENSH_IJSG_SG_EEES6_PlJNSB_9not_fun_tI7is_trueIsEEEEEE10hipError_tPvRmT3_T4_T5_T6_T7_T9_mT8_P12ihipStream_tbDpT10_ENKUlT_T0_E_clISt17integral_constantIbLb0EES18_EEDaS13_S14_EUlS13_E_NS1_11comp_targetILNS1_3genE4ELNS1_11target_archE910ELNS1_3gpuE8ELNS1_3repE0EEENS1_30default_config_static_selectorELNS0_4arch9wavefront6targetE0EEEvT1_,@function
_ZN7rocprim17ROCPRIM_400000_NS6detail17trampoline_kernelINS0_14default_configENS1_25partition_config_selectorILNS1_17partition_subalgoE6EsNS0_10empty_typeEbEEZZNS1_14partition_implILS5_6ELb0ES3_mN6thrust23THRUST_200600_302600_NS6detail15normal_iteratorINSA_10device_ptrIsEEEEPS6_SG_NS0_5tupleIJSF_S6_EEENSH_IJSG_SG_EEES6_PlJNSB_9not_fun_tI7is_trueIsEEEEEE10hipError_tPvRmT3_T4_T5_T6_T7_T9_mT8_P12ihipStream_tbDpT10_ENKUlT_T0_E_clISt17integral_constantIbLb0EES18_EEDaS13_S14_EUlS13_E_NS1_11comp_targetILNS1_3genE4ELNS1_11target_archE910ELNS1_3gpuE8ELNS1_3repE0EEENS1_30default_config_static_selectorELNS0_4arch9wavefront6targetE0EEEvT1_: ; @_ZN7rocprim17ROCPRIM_400000_NS6detail17trampoline_kernelINS0_14default_configENS1_25partition_config_selectorILNS1_17partition_subalgoE6EsNS0_10empty_typeEbEEZZNS1_14partition_implILS5_6ELb0ES3_mN6thrust23THRUST_200600_302600_NS6detail15normal_iteratorINSA_10device_ptrIsEEEEPS6_SG_NS0_5tupleIJSF_S6_EEENSH_IJSG_SG_EEES6_PlJNSB_9not_fun_tI7is_trueIsEEEEEE10hipError_tPvRmT3_T4_T5_T6_T7_T9_mT8_P12ihipStream_tbDpT10_ENKUlT_T0_E_clISt17integral_constantIbLb0EES18_EEDaS13_S14_EUlS13_E_NS1_11comp_targetILNS1_3genE4ELNS1_11target_archE910ELNS1_3gpuE8ELNS1_3repE0EEENS1_30default_config_static_selectorELNS0_4arch9wavefront6targetE0EEEvT1_
; %bb.0:
	.section	.rodata,"a",@progbits
	.p2align	6, 0x0
	.amdhsa_kernel _ZN7rocprim17ROCPRIM_400000_NS6detail17trampoline_kernelINS0_14default_configENS1_25partition_config_selectorILNS1_17partition_subalgoE6EsNS0_10empty_typeEbEEZZNS1_14partition_implILS5_6ELb0ES3_mN6thrust23THRUST_200600_302600_NS6detail15normal_iteratorINSA_10device_ptrIsEEEEPS6_SG_NS0_5tupleIJSF_S6_EEENSH_IJSG_SG_EEES6_PlJNSB_9not_fun_tI7is_trueIsEEEEEE10hipError_tPvRmT3_T4_T5_T6_T7_T9_mT8_P12ihipStream_tbDpT10_ENKUlT_T0_E_clISt17integral_constantIbLb0EES18_EEDaS13_S14_EUlS13_E_NS1_11comp_targetILNS1_3genE4ELNS1_11target_archE910ELNS1_3gpuE8ELNS1_3repE0EEENS1_30default_config_static_selectorELNS0_4arch9wavefront6targetE0EEEvT1_
		.amdhsa_group_segment_fixed_size 0
		.amdhsa_private_segment_fixed_size 0
		.amdhsa_kernarg_size 112
		.amdhsa_user_sgpr_count 2
		.amdhsa_user_sgpr_dispatch_ptr 0
		.amdhsa_user_sgpr_queue_ptr 0
		.amdhsa_user_sgpr_kernarg_segment_ptr 1
		.amdhsa_user_sgpr_dispatch_id 0
		.amdhsa_user_sgpr_private_segment_size 0
		.amdhsa_wavefront_size32 1
		.amdhsa_uses_dynamic_stack 0
		.amdhsa_enable_private_segment 0
		.amdhsa_system_sgpr_workgroup_id_x 1
		.amdhsa_system_sgpr_workgroup_id_y 0
		.amdhsa_system_sgpr_workgroup_id_z 0
		.amdhsa_system_sgpr_workgroup_info 0
		.amdhsa_system_vgpr_workitem_id 0
		.amdhsa_next_free_vgpr 1
		.amdhsa_next_free_sgpr 1
		.amdhsa_reserve_vcc 0
		.amdhsa_float_round_mode_32 0
		.amdhsa_float_round_mode_16_64 0
		.amdhsa_float_denorm_mode_32 3
		.amdhsa_float_denorm_mode_16_64 3
		.amdhsa_fp16_overflow 0
		.amdhsa_workgroup_processor_mode 1
		.amdhsa_memory_ordered 1
		.amdhsa_forward_progress 1
		.amdhsa_inst_pref_size 0
		.amdhsa_round_robin_scheduling 0
		.amdhsa_exception_fp_ieee_invalid_op 0
		.amdhsa_exception_fp_denorm_src 0
		.amdhsa_exception_fp_ieee_div_zero 0
		.amdhsa_exception_fp_ieee_overflow 0
		.amdhsa_exception_fp_ieee_underflow 0
		.amdhsa_exception_fp_ieee_inexact 0
		.amdhsa_exception_int_div_zero 0
	.end_amdhsa_kernel
	.section	.text._ZN7rocprim17ROCPRIM_400000_NS6detail17trampoline_kernelINS0_14default_configENS1_25partition_config_selectorILNS1_17partition_subalgoE6EsNS0_10empty_typeEbEEZZNS1_14partition_implILS5_6ELb0ES3_mN6thrust23THRUST_200600_302600_NS6detail15normal_iteratorINSA_10device_ptrIsEEEEPS6_SG_NS0_5tupleIJSF_S6_EEENSH_IJSG_SG_EEES6_PlJNSB_9not_fun_tI7is_trueIsEEEEEE10hipError_tPvRmT3_T4_T5_T6_T7_T9_mT8_P12ihipStream_tbDpT10_ENKUlT_T0_E_clISt17integral_constantIbLb0EES18_EEDaS13_S14_EUlS13_E_NS1_11comp_targetILNS1_3genE4ELNS1_11target_archE910ELNS1_3gpuE8ELNS1_3repE0EEENS1_30default_config_static_selectorELNS0_4arch9wavefront6targetE0EEEvT1_,"axG",@progbits,_ZN7rocprim17ROCPRIM_400000_NS6detail17trampoline_kernelINS0_14default_configENS1_25partition_config_selectorILNS1_17partition_subalgoE6EsNS0_10empty_typeEbEEZZNS1_14partition_implILS5_6ELb0ES3_mN6thrust23THRUST_200600_302600_NS6detail15normal_iteratorINSA_10device_ptrIsEEEEPS6_SG_NS0_5tupleIJSF_S6_EEENSH_IJSG_SG_EEES6_PlJNSB_9not_fun_tI7is_trueIsEEEEEE10hipError_tPvRmT3_T4_T5_T6_T7_T9_mT8_P12ihipStream_tbDpT10_ENKUlT_T0_E_clISt17integral_constantIbLb0EES18_EEDaS13_S14_EUlS13_E_NS1_11comp_targetILNS1_3genE4ELNS1_11target_archE910ELNS1_3gpuE8ELNS1_3repE0EEENS1_30default_config_static_selectorELNS0_4arch9wavefront6targetE0EEEvT1_,comdat
.Lfunc_end1271:
	.size	_ZN7rocprim17ROCPRIM_400000_NS6detail17trampoline_kernelINS0_14default_configENS1_25partition_config_selectorILNS1_17partition_subalgoE6EsNS0_10empty_typeEbEEZZNS1_14partition_implILS5_6ELb0ES3_mN6thrust23THRUST_200600_302600_NS6detail15normal_iteratorINSA_10device_ptrIsEEEEPS6_SG_NS0_5tupleIJSF_S6_EEENSH_IJSG_SG_EEES6_PlJNSB_9not_fun_tI7is_trueIsEEEEEE10hipError_tPvRmT3_T4_T5_T6_T7_T9_mT8_P12ihipStream_tbDpT10_ENKUlT_T0_E_clISt17integral_constantIbLb0EES18_EEDaS13_S14_EUlS13_E_NS1_11comp_targetILNS1_3genE4ELNS1_11target_archE910ELNS1_3gpuE8ELNS1_3repE0EEENS1_30default_config_static_selectorELNS0_4arch9wavefront6targetE0EEEvT1_, .Lfunc_end1271-_ZN7rocprim17ROCPRIM_400000_NS6detail17trampoline_kernelINS0_14default_configENS1_25partition_config_selectorILNS1_17partition_subalgoE6EsNS0_10empty_typeEbEEZZNS1_14partition_implILS5_6ELb0ES3_mN6thrust23THRUST_200600_302600_NS6detail15normal_iteratorINSA_10device_ptrIsEEEEPS6_SG_NS0_5tupleIJSF_S6_EEENSH_IJSG_SG_EEES6_PlJNSB_9not_fun_tI7is_trueIsEEEEEE10hipError_tPvRmT3_T4_T5_T6_T7_T9_mT8_P12ihipStream_tbDpT10_ENKUlT_T0_E_clISt17integral_constantIbLb0EES18_EEDaS13_S14_EUlS13_E_NS1_11comp_targetILNS1_3genE4ELNS1_11target_archE910ELNS1_3gpuE8ELNS1_3repE0EEENS1_30default_config_static_selectorELNS0_4arch9wavefront6targetE0EEEvT1_
                                        ; -- End function
	.set _ZN7rocprim17ROCPRIM_400000_NS6detail17trampoline_kernelINS0_14default_configENS1_25partition_config_selectorILNS1_17partition_subalgoE6EsNS0_10empty_typeEbEEZZNS1_14partition_implILS5_6ELb0ES3_mN6thrust23THRUST_200600_302600_NS6detail15normal_iteratorINSA_10device_ptrIsEEEEPS6_SG_NS0_5tupleIJSF_S6_EEENSH_IJSG_SG_EEES6_PlJNSB_9not_fun_tI7is_trueIsEEEEEE10hipError_tPvRmT3_T4_T5_T6_T7_T9_mT8_P12ihipStream_tbDpT10_ENKUlT_T0_E_clISt17integral_constantIbLb0EES18_EEDaS13_S14_EUlS13_E_NS1_11comp_targetILNS1_3genE4ELNS1_11target_archE910ELNS1_3gpuE8ELNS1_3repE0EEENS1_30default_config_static_selectorELNS0_4arch9wavefront6targetE0EEEvT1_.num_vgpr, 0
	.set _ZN7rocprim17ROCPRIM_400000_NS6detail17trampoline_kernelINS0_14default_configENS1_25partition_config_selectorILNS1_17partition_subalgoE6EsNS0_10empty_typeEbEEZZNS1_14partition_implILS5_6ELb0ES3_mN6thrust23THRUST_200600_302600_NS6detail15normal_iteratorINSA_10device_ptrIsEEEEPS6_SG_NS0_5tupleIJSF_S6_EEENSH_IJSG_SG_EEES6_PlJNSB_9not_fun_tI7is_trueIsEEEEEE10hipError_tPvRmT3_T4_T5_T6_T7_T9_mT8_P12ihipStream_tbDpT10_ENKUlT_T0_E_clISt17integral_constantIbLb0EES18_EEDaS13_S14_EUlS13_E_NS1_11comp_targetILNS1_3genE4ELNS1_11target_archE910ELNS1_3gpuE8ELNS1_3repE0EEENS1_30default_config_static_selectorELNS0_4arch9wavefront6targetE0EEEvT1_.num_agpr, 0
	.set _ZN7rocprim17ROCPRIM_400000_NS6detail17trampoline_kernelINS0_14default_configENS1_25partition_config_selectorILNS1_17partition_subalgoE6EsNS0_10empty_typeEbEEZZNS1_14partition_implILS5_6ELb0ES3_mN6thrust23THRUST_200600_302600_NS6detail15normal_iteratorINSA_10device_ptrIsEEEEPS6_SG_NS0_5tupleIJSF_S6_EEENSH_IJSG_SG_EEES6_PlJNSB_9not_fun_tI7is_trueIsEEEEEE10hipError_tPvRmT3_T4_T5_T6_T7_T9_mT8_P12ihipStream_tbDpT10_ENKUlT_T0_E_clISt17integral_constantIbLb0EES18_EEDaS13_S14_EUlS13_E_NS1_11comp_targetILNS1_3genE4ELNS1_11target_archE910ELNS1_3gpuE8ELNS1_3repE0EEENS1_30default_config_static_selectorELNS0_4arch9wavefront6targetE0EEEvT1_.numbered_sgpr, 0
	.set _ZN7rocprim17ROCPRIM_400000_NS6detail17trampoline_kernelINS0_14default_configENS1_25partition_config_selectorILNS1_17partition_subalgoE6EsNS0_10empty_typeEbEEZZNS1_14partition_implILS5_6ELb0ES3_mN6thrust23THRUST_200600_302600_NS6detail15normal_iteratorINSA_10device_ptrIsEEEEPS6_SG_NS0_5tupleIJSF_S6_EEENSH_IJSG_SG_EEES6_PlJNSB_9not_fun_tI7is_trueIsEEEEEE10hipError_tPvRmT3_T4_T5_T6_T7_T9_mT8_P12ihipStream_tbDpT10_ENKUlT_T0_E_clISt17integral_constantIbLb0EES18_EEDaS13_S14_EUlS13_E_NS1_11comp_targetILNS1_3genE4ELNS1_11target_archE910ELNS1_3gpuE8ELNS1_3repE0EEENS1_30default_config_static_selectorELNS0_4arch9wavefront6targetE0EEEvT1_.num_named_barrier, 0
	.set _ZN7rocprim17ROCPRIM_400000_NS6detail17trampoline_kernelINS0_14default_configENS1_25partition_config_selectorILNS1_17partition_subalgoE6EsNS0_10empty_typeEbEEZZNS1_14partition_implILS5_6ELb0ES3_mN6thrust23THRUST_200600_302600_NS6detail15normal_iteratorINSA_10device_ptrIsEEEEPS6_SG_NS0_5tupleIJSF_S6_EEENSH_IJSG_SG_EEES6_PlJNSB_9not_fun_tI7is_trueIsEEEEEE10hipError_tPvRmT3_T4_T5_T6_T7_T9_mT8_P12ihipStream_tbDpT10_ENKUlT_T0_E_clISt17integral_constantIbLb0EES18_EEDaS13_S14_EUlS13_E_NS1_11comp_targetILNS1_3genE4ELNS1_11target_archE910ELNS1_3gpuE8ELNS1_3repE0EEENS1_30default_config_static_selectorELNS0_4arch9wavefront6targetE0EEEvT1_.private_seg_size, 0
	.set _ZN7rocprim17ROCPRIM_400000_NS6detail17trampoline_kernelINS0_14default_configENS1_25partition_config_selectorILNS1_17partition_subalgoE6EsNS0_10empty_typeEbEEZZNS1_14partition_implILS5_6ELb0ES3_mN6thrust23THRUST_200600_302600_NS6detail15normal_iteratorINSA_10device_ptrIsEEEEPS6_SG_NS0_5tupleIJSF_S6_EEENSH_IJSG_SG_EEES6_PlJNSB_9not_fun_tI7is_trueIsEEEEEE10hipError_tPvRmT3_T4_T5_T6_T7_T9_mT8_P12ihipStream_tbDpT10_ENKUlT_T0_E_clISt17integral_constantIbLb0EES18_EEDaS13_S14_EUlS13_E_NS1_11comp_targetILNS1_3genE4ELNS1_11target_archE910ELNS1_3gpuE8ELNS1_3repE0EEENS1_30default_config_static_selectorELNS0_4arch9wavefront6targetE0EEEvT1_.uses_vcc, 0
	.set _ZN7rocprim17ROCPRIM_400000_NS6detail17trampoline_kernelINS0_14default_configENS1_25partition_config_selectorILNS1_17partition_subalgoE6EsNS0_10empty_typeEbEEZZNS1_14partition_implILS5_6ELb0ES3_mN6thrust23THRUST_200600_302600_NS6detail15normal_iteratorINSA_10device_ptrIsEEEEPS6_SG_NS0_5tupleIJSF_S6_EEENSH_IJSG_SG_EEES6_PlJNSB_9not_fun_tI7is_trueIsEEEEEE10hipError_tPvRmT3_T4_T5_T6_T7_T9_mT8_P12ihipStream_tbDpT10_ENKUlT_T0_E_clISt17integral_constantIbLb0EES18_EEDaS13_S14_EUlS13_E_NS1_11comp_targetILNS1_3genE4ELNS1_11target_archE910ELNS1_3gpuE8ELNS1_3repE0EEENS1_30default_config_static_selectorELNS0_4arch9wavefront6targetE0EEEvT1_.uses_flat_scratch, 0
	.set _ZN7rocprim17ROCPRIM_400000_NS6detail17trampoline_kernelINS0_14default_configENS1_25partition_config_selectorILNS1_17partition_subalgoE6EsNS0_10empty_typeEbEEZZNS1_14partition_implILS5_6ELb0ES3_mN6thrust23THRUST_200600_302600_NS6detail15normal_iteratorINSA_10device_ptrIsEEEEPS6_SG_NS0_5tupleIJSF_S6_EEENSH_IJSG_SG_EEES6_PlJNSB_9not_fun_tI7is_trueIsEEEEEE10hipError_tPvRmT3_T4_T5_T6_T7_T9_mT8_P12ihipStream_tbDpT10_ENKUlT_T0_E_clISt17integral_constantIbLb0EES18_EEDaS13_S14_EUlS13_E_NS1_11comp_targetILNS1_3genE4ELNS1_11target_archE910ELNS1_3gpuE8ELNS1_3repE0EEENS1_30default_config_static_selectorELNS0_4arch9wavefront6targetE0EEEvT1_.has_dyn_sized_stack, 0
	.set _ZN7rocprim17ROCPRIM_400000_NS6detail17trampoline_kernelINS0_14default_configENS1_25partition_config_selectorILNS1_17partition_subalgoE6EsNS0_10empty_typeEbEEZZNS1_14partition_implILS5_6ELb0ES3_mN6thrust23THRUST_200600_302600_NS6detail15normal_iteratorINSA_10device_ptrIsEEEEPS6_SG_NS0_5tupleIJSF_S6_EEENSH_IJSG_SG_EEES6_PlJNSB_9not_fun_tI7is_trueIsEEEEEE10hipError_tPvRmT3_T4_T5_T6_T7_T9_mT8_P12ihipStream_tbDpT10_ENKUlT_T0_E_clISt17integral_constantIbLb0EES18_EEDaS13_S14_EUlS13_E_NS1_11comp_targetILNS1_3genE4ELNS1_11target_archE910ELNS1_3gpuE8ELNS1_3repE0EEENS1_30default_config_static_selectorELNS0_4arch9wavefront6targetE0EEEvT1_.has_recursion, 0
	.set _ZN7rocprim17ROCPRIM_400000_NS6detail17trampoline_kernelINS0_14default_configENS1_25partition_config_selectorILNS1_17partition_subalgoE6EsNS0_10empty_typeEbEEZZNS1_14partition_implILS5_6ELb0ES3_mN6thrust23THRUST_200600_302600_NS6detail15normal_iteratorINSA_10device_ptrIsEEEEPS6_SG_NS0_5tupleIJSF_S6_EEENSH_IJSG_SG_EEES6_PlJNSB_9not_fun_tI7is_trueIsEEEEEE10hipError_tPvRmT3_T4_T5_T6_T7_T9_mT8_P12ihipStream_tbDpT10_ENKUlT_T0_E_clISt17integral_constantIbLb0EES18_EEDaS13_S14_EUlS13_E_NS1_11comp_targetILNS1_3genE4ELNS1_11target_archE910ELNS1_3gpuE8ELNS1_3repE0EEENS1_30default_config_static_selectorELNS0_4arch9wavefront6targetE0EEEvT1_.has_indirect_call, 0
	.section	.AMDGPU.csdata,"",@progbits
; Kernel info:
; codeLenInByte = 0
; TotalNumSgprs: 0
; NumVgprs: 0
; ScratchSize: 0
; MemoryBound: 0
; FloatMode: 240
; IeeeMode: 1
; LDSByteSize: 0 bytes/workgroup (compile time only)
; SGPRBlocks: 0
; VGPRBlocks: 0
; NumSGPRsForWavesPerEU: 1
; NumVGPRsForWavesPerEU: 1
; Occupancy: 16
; WaveLimiterHint : 0
; COMPUTE_PGM_RSRC2:SCRATCH_EN: 0
; COMPUTE_PGM_RSRC2:USER_SGPR: 2
; COMPUTE_PGM_RSRC2:TRAP_HANDLER: 0
; COMPUTE_PGM_RSRC2:TGID_X_EN: 1
; COMPUTE_PGM_RSRC2:TGID_Y_EN: 0
; COMPUTE_PGM_RSRC2:TGID_Z_EN: 0
; COMPUTE_PGM_RSRC2:TIDIG_COMP_CNT: 0
	.section	.text._ZN7rocprim17ROCPRIM_400000_NS6detail17trampoline_kernelINS0_14default_configENS1_25partition_config_selectorILNS1_17partition_subalgoE6EsNS0_10empty_typeEbEEZZNS1_14partition_implILS5_6ELb0ES3_mN6thrust23THRUST_200600_302600_NS6detail15normal_iteratorINSA_10device_ptrIsEEEEPS6_SG_NS0_5tupleIJSF_S6_EEENSH_IJSG_SG_EEES6_PlJNSB_9not_fun_tI7is_trueIsEEEEEE10hipError_tPvRmT3_T4_T5_T6_T7_T9_mT8_P12ihipStream_tbDpT10_ENKUlT_T0_E_clISt17integral_constantIbLb0EES18_EEDaS13_S14_EUlS13_E_NS1_11comp_targetILNS1_3genE3ELNS1_11target_archE908ELNS1_3gpuE7ELNS1_3repE0EEENS1_30default_config_static_selectorELNS0_4arch9wavefront6targetE0EEEvT1_,"axG",@progbits,_ZN7rocprim17ROCPRIM_400000_NS6detail17trampoline_kernelINS0_14default_configENS1_25partition_config_selectorILNS1_17partition_subalgoE6EsNS0_10empty_typeEbEEZZNS1_14partition_implILS5_6ELb0ES3_mN6thrust23THRUST_200600_302600_NS6detail15normal_iteratorINSA_10device_ptrIsEEEEPS6_SG_NS0_5tupleIJSF_S6_EEENSH_IJSG_SG_EEES6_PlJNSB_9not_fun_tI7is_trueIsEEEEEE10hipError_tPvRmT3_T4_T5_T6_T7_T9_mT8_P12ihipStream_tbDpT10_ENKUlT_T0_E_clISt17integral_constantIbLb0EES18_EEDaS13_S14_EUlS13_E_NS1_11comp_targetILNS1_3genE3ELNS1_11target_archE908ELNS1_3gpuE7ELNS1_3repE0EEENS1_30default_config_static_selectorELNS0_4arch9wavefront6targetE0EEEvT1_,comdat
	.protected	_ZN7rocprim17ROCPRIM_400000_NS6detail17trampoline_kernelINS0_14default_configENS1_25partition_config_selectorILNS1_17partition_subalgoE6EsNS0_10empty_typeEbEEZZNS1_14partition_implILS5_6ELb0ES3_mN6thrust23THRUST_200600_302600_NS6detail15normal_iteratorINSA_10device_ptrIsEEEEPS6_SG_NS0_5tupleIJSF_S6_EEENSH_IJSG_SG_EEES6_PlJNSB_9not_fun_tI7is_trueIsEEEEEE10hipError_tPvRmT3_T4_T5_T6_T7_T9_mT8_P12ihipStream_tbDpT10_ENKUlT_T0_E_clISt17integral_constantIbLb0EES18_EEDaS13_S14_EUlS13_E_NS1_11comp_targetILNS1_3genE3ELNS1_11target_archE908ELNS1_3gpuE7ELNS1_3repE0EEENS1_30default_config_static_selectorELNS0_4arch9wavefront6targetE0EEEvT1_ ; -- Begin function _ZN7rocprim17ROCPRIM_400000_NS6detail17trampoline_kernelINS0_14default_configENS1_25partition_config_selectorILNS1_17partition_subalgoE6EsNS0_10empty_typeEbEEZZNS1_14partition_implILS5_6ELb0ES3_mN6thrust23THRUST_200600_302600_NS6detail15normal_iteratorINSA_10device_ptrIsEEEEPS6_SG_NS0_5tupleIJSF_S6_EEENSH_IJSG_SG_EEES6_PlJNSB_9not_fun_tI7is_trueIsEEEEEE10hipError_tPvRmT3_T4_T5_T6_T7_T9_mT8_P12ihipStream_tbDpT10_ENKUlT_T0_E_clISt17integral_constantIbLb0EES18_EEDaS13_S14_EUlS13_E_NS1_11comp_targetILNS1_3genE3ELNS1_11target_archE908ELNS1_3gpuE7ELNS1_3repE0EEENS1_30default_config_static_selectorELNS0_4arch9wavefront6targetE0EEEvT1_
	.globl	_ZN7rocprim17ROCPRIM_400000_NS6detail17trampoline_kernelINS0_14default_configENS1_25partition_config_selectorILNS1_17partition_subalgoE6EsNS0_10empty_typeEbEEZZNS1_14partition_implILS5_6ELb0ES3_mN6thrust23THRUST_200600_302600_NS6detail15normal_iteratorINSA_10device_ptrIsEEEEPS6_SG_NS0_5tupleIJSF_S6_EEENSH_IJSG_SG_EEES6_PlJNSB_9not_fun_tI7is_trueIsEEEEEE10hipError_tPvRmT3_T4_T5_T6_T7_T9_mT8_P12ihipStream_tbDpT10_ENKUlT_T0_E_clISt17integral_constantIbLb0EES18_EEDaS13_S14_EUlS13_E_NS1_11comp_targetILNS1_3genE3ELNS1_11target_archE908ELNS1_3gpuE7ELNS1_3repE0EEENS1_30default_config_static_selectorELNS0_4arch9wavefront6targetE0EEEvT1_
	.p2align	8
	.type	_ZN7rocprim17ROCPRIM_400000_NS6detail17trampoline_kernelINS0_14default_configENS1_25partition_config_selectorILNS1_17partition_subalgoE6EsNS0_10empty_typeEbEEZZNS1_14partition_implILS5_6ELb0ES3_mN6thrust23THRUST_200600_302600_NS6detail15normal_iteratorINSA_10device_ptrIsEEEEPS6_SG_NS0_5tupleIJSF_S6_EEENSH_IJSG_SG_EEES6_PlJNSB_9not_fun_tI7is_trueIsEEEEEE10hipError_tPvRmT3_T4_T5_T6_T7_T9_mT8_P12ihipStream_tbDpT10_ENKUlT_T0_E_clISt17integral_constantIbLb0EES18_EEDaS13_S14_EUlS13_E_NS1_11comp_targetILNS1_3genE3ELNS1_11target_archE908ELNS1_3gpuE7ELNS1_3repE0EEENS1_30default_config_static_selectorELNS0_4arch9wavefront6targetE0EEEvT1_,@function
_ZN7rocprim17ROCPRIM_400000_NS6detail17trampoline_kernelINS0_14default_configENS1_25partition_config_selectorILNS1_17partition_subalgoE6EsNS0_10empty_typeEbEEZZNS1_14partition_implILS5_6ELb0ES3_mN6thrust23THRUST_200600_302600_NS6detail15normal_iteratorINSA_10device_ptrIsEEEEPS6_SG_NS0_5tupleIJSF_S6_EEENSH_IJSG_SG_EEES6_PlJNSB_9not_fun_tI7is_trueIsEEEEEE10hipError_tPvRmT3_T4_T5_T6_T7_T9_mT8_P12ihipStream_tbDpT10_ENKUlT_T0_E_clISt17integral_constantIbLb0EES18_EEDaS13_S14_EUlS13_E_NS1_11comp_targetILNS1_3genE3ELNS1_11target_archE908ELNS1_3gpuE7ELNS1_3repE0EEENS1_30default_config_static_selectorELNS0_4arch9wavefront6targetE0EEEvT1_: ; @_ZN7rocprim17ROCPRIM_400000_NS6detail17trampoline_kernelINS0_14default_configENS1_25partition_config_selectorILNS1_17partition_subalgoE6EsNS0_10empty_typeEbEEZZNS1_14partition_implILS5_6ELb0ES3_mN6thrust23THRUST_200600_302600_NS6detail15normal_iteratorINSA_10device_ptrIsEEEEPS6_SG_NS0_5tupleIJSF_S6_EEENSH_IJSG_SG_EEES6_PlJNSB_9not_fun_tI7is_trueIsEEEEEE10hipError_tPvRmT3_T4_T5_T6_T7_T9_mT8_P12ihipStream_tbDpT10_ENKUlT_T0_E_clISt17integral_constantIbLb0EES18_EEDaS13_S14_EUlS13_E_NS1_11comp_targetILNS1_3genE3ELNS1_11target_archE908ELNS1_3gpuE7ELNS1_3repE0EEENS1_30default_config_static_selectorELNS0_4arch9wavefront6targetE0EEEvT1_
; %bb.0:
	.section	.rodata,"a",@progbits
	.p2align	6, 0x0
	.amdhsa_kernel _ZN7rocprim17ROCPRIM_400000_NS6detail17trampoline_kernelINS0_14default_configENS1_25partition_config_selectorILNS1_17partition_subalgoE6EsNS0_10empty_typeEbEEZZNS1_14partition_implILS5_6ELb0ES3_mN6thrust23THRUST_200600_302600_NS6detail15normal_iteratorINSA_10device_ptrIsEEEEPS6_SG_NS0_5tupleIJSF_S6_EEENSH_IJSG_SG_EEES6_PlJNSB_9not_fun_tI7is_trueIsEEEEEE10hipError_tPvRmT3_T4_T5_T6_T7_T9_mT8_P12ihipStream_tbDpT10_ENKUlT_T0_E_clISt17integral_constantIbLb0EES18_EEDaS13_S14_EUlS13_E_NS1_11comp_targetILNS1_3genE3ELNS1_11target_archE908ELNS1_3gpuE7ELNS1_3repE0EEENS1_30default_config_static_selectorELNS0_4arch9wavefront6targetE0EEEvT1_
		.amdhsa_group_segment_fixed_size 0
		.amdhsa_private_segment_fixed_size 0
		.amdhsa_kernarg_size 112
		.amdhsa_user_sgpr_count 2
		.amdhsa_user_sgpr_dispatch_ptr 0
		.amdhsa_user_sgpr_queue_ptr 0
		.amdhsa_user_sgpr_kernarg_segment_ptr 1
		.amdhsa_user_sgpr_dispatch_id 0
		.amdhsa_user_sgpr_private_segment_size 0
		.amdhsa_wavefront_size32 1
		.amdhsa_uses_dynamic_stack 0
		.amdhsa_enable_private_segment 0
		.amdhsa_system_sgpr_workgroup_id_x 1
		.amdhsa_system_sgpr_workgroup_id_y 0
		.amdhsa_system_sgpr_workgroup_id_z 0
		.amdhsa_system_sgpr_workgroup_info 0
		.amdhsa_system_vgpr_workitem_id 0
		.amdhsa_next_free_vgpr 1
		.amdhsa_next_free_sgpr 1
		.amdhsa_reserve_vcc 0
		.amdhsa_float_round_mode_32 0
		.amdhsa_float_round_mode_16_64 0
		.amdhsa_float_denorm_mode_32 3
		.amdhsa_float_denorm_mode_16_64 3
		.amdhsa_fp16_overflow 0
		.amdhsa_workgroup_processor_mode 1
		.amdhsa_memory_ordered 1
		.amdhsa_forward_progress 1
		.amdhsa_inst_pref_size 0
		.amdhsa_round_robin_scheduling 0
		.amdhsa_exception_fp_ieee_invalid_op 0
		.amdhsa_exception_fp_denorm_src 0
		.amdhsa_exception_fp_ieee_div_zero 0
		.amdhsa_exception_fp_ieee_overflow 0
		.amdhsa_exception_fp_ieee_underflow 0
		.amdhsa_exception_fp_ieee_inexact 0
		.amdhsa_exception_int_div_zero 0
	.end_amdhsa_kernel
	.section	.text._ZN7rocprim17ROCPRIM_400000_NS6detail17trampoline_kernelINS0_14default_configENS1_25partition_config_selectorILNS1_17partition_subalgoE6EsNS0_10empty_typeEbEEZZNS1_14partition_implILS5_6ELb0ES3_mN6thrust23THRUST_200600_302600_NS6detail15normal_iteratorINSA_10device_ptrIsEEEEPS6_SG_NS0_5tupleIJSF_S6_EEENSH_IJSG_SG_EEES6_PlJNSB_9not_fun_tI7is_trueIsEEEEEE10hipError_tPvRmT3_T4_T5_T6_T7_T9_mT8_P12ihipStream_tbDpT10_ENKUlT_T0_E_clISt17integral_constantIbLb0EES18_EEDaS13_S14_EUlS13_E_NS1_11comp_targetILNS1_3genE3ELNS1_11target_archE908ELNS1_3gpuE7ELNS1_3repE0EEENS1_30default_config_static_selectorELNS0_4arch9wavefront6targetE0EEEvT1_,"axG",@progbits,_ZN7rocprim17ROCPRIM_400000_NS6detail17trampoline_kernelINS0_14default_configENS1_25partition_config_selectorILNS1_17partition_subalgoE6EsNS0_10empty_typeEbEEZZNS1_14partition_implILS5_6ELb0ES3_mN6thrust23THRUST_200600_302600_NS6detail15normal_iteratorINSA_10device_ptrIsEEEEPS6_SG_NS0_5tupleIJSF_S6_EEENSH_IJSG_SG_EEES6_PlJNSB_9not_fun_tI7is_trueIsEEEEEE10hipError_tPvRmT3_T4_T5_T6_T7_T9_mT8_P12ihipStream_tbDpT10_ENKUlT_T0_E_clISt17integral_constantIbLb0EES18_EEDaS13_S14_EUlS13_E_NS1_11comp_targetILNS1_3genE3ELNS1_11target_archE908ELNS1_3gpuE7ELNS1_3repE0EEENS1_30default_config_static_selectorELNS0_4arch9wavefront6targetE0EEEvT1_,comdat
.Lfunc_end1272:
	.size	_ZN7rocprim17ROCPRIM_400000_NS6detail17trampoline_kernelINS0_14default_configENS1_25partition_config_selectorILNS1_17partition_subalgoE6EsNS0_10empty_typeEbEEZZNS1_14partition_implILS5_6ELb0ES3_mN6thrust23THRUST_200600_302600_NS6detail15normal_iteratorINSA_10device_ptrIsEEEEPS6_SG_NS0_5tupleIJSF_S6_EEENSH_IJSG_SG_EEES6_PlJNSB_9not_fun_tI7is_trueIsEEEEEE10hipError_tPvRmT3_T4_T5_T6_T7_T9_mT8_P12ihipStream_tbDpT10_ENKUlT_T0_E_clISt17integral_constantIbLb0EES18_EEDaS13_S14_EUlS13_E_NS1_11comp_targetILNS1_3genE3ELNS1_11target_archE908ELNS1_3gpuE7ELNS1_3repE0EEENS1_30default_config_static_selectorELNS0_4arch9wavefront6targetE0EEEvT1_, .Lfunc_end1272-_ZN7rocprim17ROCPRIM_400000_NS6detail17trampoline_kernelINS0_14default_configENS1_25partition_config_selectorILNS1_17partition_subalgoE6EsNS0_10empty_typeEbEEZZNS1_14partition_implILS5_6ELb0ES3_mN6thrust23THRUST_200600_302600_NS6detail15normal_iteratorINSA_10device_ptrIsEEEEPS6_SG_NS0_5tupleIJSF_S6_EEENSH_IJSG_SG_EEES6_PlJNSB_9not_fun_tI7is_trueIsEEEEEE10hipError_tPvRmT3_T4_T5_T6_T7_T9_mT8_P12ihipStream_tbDpT10_ENKUlT_T0_E_clISt17integral_constantIbLb0EES18_EEDaS13_S14_EUlS13_E_NS1_11comp_targetILNS1_3genE3ELNS1_11target_archE908ELNS1_3gpuE7ELNS1_3repE0EEENS1_30default_config_static_selectorELNS0_4arch9wavefront6targetE0EEEvT1_
                                        ; -- End function
	.set _ZN7rocprim17ROCPRIM_400000_NS6detail17trampoline_kernelINS0_14default_configENS1_25partition_config_selectorILNS1_17partition_subalgoE6EsNS0_10empty_typeEbEEZZNS1_14partition_implILS5_6ELb0ES3_mN6thrust23THRUST_200600_302600_NS6detail15normal_iteratorINSA_10device_ptrIsEEEEPS6_SG_NS0_5tupleIJSF_S6_EEENSH_IJSG_SG_EEES6_PlJNSB_9not_fun_tI7is_trueIsEEEEEE10hipError_tPvRmT3_T4_T5_T6_T7_T9_mT8_P12ihipStream_tbDpT10_ENKUlT_T0_E_clISt17integral_constantIbLb0EES18_EEDaS13_S14_EUlS13_E_NS1_11comp_targetILNS1_3genE3ELNS1_11target_archE908ELNS1_3gpuE7ELNS1_3repE0EEENS1_30default_config_static_selectorELNS0_4arch9wavefront6targetE0EEEvT1_.num_vgpr, 0
	.set _ZN7rocprim17ROCPRIM_400000_NS6detail17trampoline_kernelINS0_14default_configENS1_25partition_config_selectorILNS1_17partition_subalgoE6EsNS0_10empty_typeEbEEZZNS1_14partition_implILS5_6ELb0ES3_mN6thrust23THRUST_200600_302600_NS6detail15normal_iteratorINSA_10device_ptrIsEEEEPS6_SG_NS0_5tupleIJSF_S6_EEENSH_IJSG_SG_EEES6_PlJNSB_9not_fun_tI7is_trueIsEEEEEE10hipError_tPvRmT3_T4_T5_T6_T7_T9_mT8_P12ihipStream_tbDpT10_ENKUlT_T0_E_clISt17integral_constantIbLb0EES18_EEDaS13_S14_EUlS13_E_NS1_11comp_targetILNS1_3genE3ELNS1_11target_archE908ELNS1_3gpuE7ELNS1_3repE0EEENS1_30default_config_static_selectorELNS0_4arch9wavefront6targetE0EEEvT1_.num_agpr, 0
	.set _ZN7rocprim17ROCPRIM_400000_NS6detail17trampoline_kernelINS0_14default_configENS1_25partition_config_selectorILNS1_17partition_subalgoE6EsNS0_10empty_typeEbEEZZNS1_14partition_implILS5_6ELb0ES3_mN6thrust23THRUST_200600_302600_NS6detail15normal_iteratorINSA_10device_ptrIsEEEEPS6_SG_NS0_5tupleIJSF_S6_EEENSH_IJSG_SG_EEES6_PlJNSB_9not_fun_tI7is_trueIsEEEEEE10hipError_tPvRmT3_T4_T5_T6_T7_T9_mT8_P12ihipStream_tbDpT10_ENKUlT_T0_E_clISt17integral_constantIbLb0EES18_EEDaS13_S14_EUlS13_E_NS1_11comp_targetILNS1_3genE3ELNS1_11target_archE908ELNS1_3gpuE7ELNS1_3repE0EEENS1_30default_config_static_selectorELNS0_4arch9wavefront6targetE0EEEvT1_.numbered_sgpr, 0
	.set _ZN7rocprim17ROCPRIM_400000_NS6detail17trampoline_kernelINS0_14default_configENS1_25partition_config_selectorILNS1_17partition_subalgoE6EsNS0_10empty_typeEbEEZZNS1_14partition_implILS5_6ELb0ES3_mN6thrust23THRUST_200600_302600_NS6detail15normal_iteratorINSA_10device_ptrIsEEEEPS6_SG_NS0_5tupleIJSF_S6_EEENSH_IJSG_SG_EEES6_PlJNSB_9not_fun_tI7is_trueIsEEEEEE10hipError_tPvRmT3_T4_T5_T6_T7_T9_mT8_P12ihipStream_tbDpT10_ENKUlT_T0_E_clISt17integral_constantIbLb0EES18_EEDaS13_S14_EUlS13_E_NS1_11comp_targetILNS1_3genE3ELNS1_11target_archE908ELNS1_3gpuE7ELNS1_3repE0EEENS1_30default_config_static_selectorELNS0_4arch9wavefront6targetE0EEEvT1_.num_named_barrier, 0
	.set _ZN7rocprim17ROCPRIM_400000_NS6detail17trampoline_kernelINS0_14default_configENS1_25partition_config_selectorILNS1_17partition_subalgoE6EsNS0_10empty_typeEbEEZZNS1_14partition_implILS5_6ELb0ES3_mN6thrust23THRUST_200600_302600_NS6detail15normal_iteratorINSA_10device_ptrIsEEEEPS6_SG_NS0_5tupleIJSF_S6_EEENSH_IJSG_SG_EEES6_PlJNSB_9not_fun_tI7is_trueIsEEEEEE10hipError_tPvRmT3_T4_T5_T6_T7_T9_mT8_P12ihipStream_tbDpT10_ENKUlT_T0_E_clISt17integral_constantIbLb0EES18_EEDaS13_S14_EUlS13_E_NS1_11comp_targetILNS1_3genE3ELNS1_11target_archE908ELNS1_3gpuE7ELNS1_3repE0EEENS1_30default_config_static_selectorELNS0_4arch9wavefront6targetE0EEEvT1_.private_seg_size, 0
	.set _ZN7rocprim17ROCPRIM_400000_NS6detail17trampoline_kernelINS0_14default_configENS1_25partition_config_selectorILNS1_17partition_subalgoE6EsNS0_10empty_typeEbEEZZNS1_14partition_implILS5_6ELb0ES3_mN6thrust23THRUST_200600_302600_NS6detail15normal_iteratorINSA_10device_ptrIsEEEEPS6_SG_NS0_5tupleIJSF_S6_EEENSH_IJSG_SG_EEES6_PlJNSB_9not_fun_tI7is_trueIsEEEEEE10hipError_tPvRmT3_T4_T5_T6_T7_T9_mT8_P12ihipStream_tbDpT10_ENKUlT_T0_E_clISt17integral_constantIbLb0EES18_EEDaS13_S14_EUlS13_E_NS1_11comp_targetILNS1_3genE3ELNS1_11target_archE908ELNS1_3gpuE7ELNS1_3repE0EEENS1_30default_config_static_selectorELNS0_4arch9wavefront6targetE0EEEvT1_.uses_vcc, 0
	.set _ZN7rocprim17ROCPRIM_400000_NS6detail17trampoline_kernelINS0_14default_configENS1_25partition_config_selectorILNS1_17partition_subalgoE6EsNS0_10empty_typeEbEEZZNS1_14partition_implILS5_6ELb0ES3_mN6thrust23THRUST_200600_302600_NS6detail15normal_iteratorINSA_10device_ptrIsEEEEPS6_SG_NS0_5tupleIJSF_S6_EEENSH_IJSG_SG_EEES6_PlJNSB_9not_fun_tI7is_trueIsEEEEEE10hipError_tPvRmT3_T4_T5_T6_T7_T9_mT8_P12ihipStream_tbDpT10_ENKUlT_T0_E_clISt17integral_constantIbLb0EES18_EEDaS13_S14_EUlS13_E_NS1_11comp_targetILNS1_3genE3ELNS1_11target_archE908ELNS1_3gpuE7ELNS1_3repE0EEENS1_30default_config_static_selectorELNS0_4arch9wavefront6targetE0EEEvT1_.uses_flat_scratch, 0
	.set _ZN7rocprim17ROCPRIM_400000_NS6detail17trampoline_kernelINS0_14default_configENS1_25partition_config_selectorILNS1_17partition_subalgoE6EsNS0_10empty_typeEbEEZZNS1_14partition_implILS5_6ELb0ES3_mN6thrust23THRUST_200600_302600_NS6detail15normal_iteratorINSA_10device_ptrIsEEEEPS6_SG_NS0_5tupleIJSF_S6_EEENSH_IJSG_SG_EEES6_PlJNSB_9not_fun_tI7is_trueIsEEEEEE10hipError_tPvRmT3_T4_T5_T6_T7_T9_mT8_P12ihipStream_tbDpT10_ENKUlT_T0_E_clISt17integral_constantIbLb0EES18_EEDaS13_S14_EUlS13_E_NS1_11comp_targetILNS1_3genE3ELNS1_11target_archE908ELNS1_3gpuE7ELNS1_3repE0EEENS1_30default_config_static_selectorELNS0_4arch9wavefront6targetE0EEEvT1_.has_dyn_sized_stack, 0
	.set _ZN7rocprim17ROCPRIM_400000_NS6detail17trampoline_kernelINS0_14default_configENS1_25partition_config_selectorILNS1_17partition_subalgoE6EsNS0_10empty_typeEbEEZZNS1_14partition_implILS5_6ELb0ES3_mN6thrust23THRUST_200600_302600_NS6detail15normal_iteratorINSA_10device_ptrIsEEEEPS6_SG_NS0_5tupleIJSF_S6_EEENSH_IJSG_SG_EEES6_PlJNSB_9not_fun_tI7is_trueIsEEEEEE10hipError_tPvRmT3_T4_T5_T6_T7_T9_mT8_P12ihipStream_tbDpT10_ENKUlT_T0_E_clISt17integral_constantIbLb0EES18_EEDaS13_S14_EUlS13_E_NS1_11comp_targetILNS1_3genE3ELNS1_11target_archE908ELNS1_3gpuE7ELNS1_3repE0EEENS1_30default_config_static_selectorELNS0_4arch9wavefront6targetE0EEEvT1_.has_recursion, 0
	.set _ZN7rocprim17ROCPRIM_400000_NS6detail17trampoline_kernelINS0_14default_configENS1_25partition_config_selectorILNS1_17partition_subalgoE6EsNS0_10empty_typeEbEEZZNS1_14partition_implILS5_6ELb0ES3_mN6thrust23THRUST_200600_302600_NS6detail15normal_iteratorINSA_10device_ptrIsEEEEPS6_SG_NS0_5tupleIJSF_S6_EEENSH_IJSG_SG_EEES6_PlJNSB_9not_fun_tI7is_trueIsEEEEEE10hipError_tPvRmT3_T4_T5_T6_T7_T9_mT8_P12ihipStream_tbDpT10_ENKUlT_T0_E_clISt17integral_constantIbLb0EES18_EEDaS13_S14_EUlS13_E_NS1_11comp_targetILNS1_3genE3ELNS1_11target_archE908ELNS1_3gpuE7ELNS1_3repE0EEENS1_30default_config_static_selectorELNS0_4arch9wavefront6targetE0EEEvT1_.has_indirect_call, 0
	.section	.AMDGPU.csdata,"",@progbits
; Kernel info:
; codeLenInByte = 0
; TotalNumSgprs: 0
; NumVgprs: 0
; ScratchSize: 0
; MemoryBound: 0
; FloatMode: 240
; IeeeMode: 1
; LDSByteSize: 0 bytes/workgroup (compile time only)
; SGPRBlocks: 0
; VGPRBlocks: 0
; NumSGPRsForWavesPerEU: 1
; NumVGPRsForWavesPerEU: 1
; Occupancy: 16
; WaveLimiterHint : 0
; COMPUTE_PGM_RSRC2:SCRATCH_EN: 0
; COMPUTE_PGM_RSRC2:USER_SGPR: 2
; COMPUTE_PGM_RSRC2:TRAP_HANDLER: 0
; COMPUTE_PGM_RSRC2:TGID_X_EN: 1
; COMPUTE_PGM_RSRC2:TGID_Y_EN: 0
; COMPUTE_PGM_RSRC2:TGID_Z_EN: 0
; COMPUTE_PGM_RSRC2:TIDIG_COMP_CNT: 0
	.section	.text._ZN7rocprim17ROCPRIM_400000_NS6detail17trampoline_kernelINS0_14default_configENS1_25partition_config_selectorILNS1_17partition_subalgoE6EsNS0_10empty_typeEbEEZZNS1_14partition_implILS5_6ELb0ES3_mN6thrust23THRUST_200600_302600_NS6detail15normal_iteratorINSA_10device_ptrIsEEEEPS6_SG_NS0_5tupleIJSF_S6_EEENSH_IJSG_SG_EEES6_PlJNSB_9not_fun_tI7is_trueIsEEEEEE10hipError_tPvRmT3_T4_T5_T6_T7_T9_mT8_P12ihipStream_tbDpT10_ENKUlT_T0_E_clISt17integral_constantIbLb0EES18_EEDaS13_S14_EUlS13_E_NS1_11comp_targetILNS1_3genE2ELNS1_11target_archE906ELNS1_3gpuE6ELNS1_3repE0EEENS1_30default_config_static_selectorELNS0_4arch9wavefront6targetE0EEEvT1_,"axG",@progbits,_ZN7rocprim17ROCPRIM_400000_NS6detail17trampoline_kernelINS0_14default_configENS1_25partition_config_selectorILNS1_17partition_subalgoE6EsNS0_10empty_typeEbEEZZNS1_14partition_implILS5_6ELb0ES3_mN6thrust23THRUST_200600_302600_NS6detail15normal_iteratorINSA_10device_ptrIsEEEEPS6_SG_NS0_5tupleIJSF_S6_EEENSH_IJSG_SG_EEES6_PlJNSB_9not_fun_tI7is_trueIsEEEEEE10hipError_tPvRmT3_T4_T5_T6_T7_T9_mT8_P12ihipStream_tbDpT10_ENKUlT_T0_E_clISt17integral_constantIbLb0EES18_EEDaS13_S14_EUlS13_E_NS1_11comp_targetILNS1_3genE2ELNS1_11target_archE906ELNS1_3gpuE6ELNS1_3repE0EEENS1_30default_config_static_selectorELNS0_4arch9wavefront6targetE0EEEvT1_,comdat
	.protected	_ZN7rocprim17ROCPRIM_400000_NS6detail17trampoline_kernelINS0_14default_configENS1_25partition_config_selectorILNS1_17partition_subalgoE6EsNS0_10empty_typeEbEEZZNS1_14partition_implILS5_6ELb0ES3_mN6thrust23THRUST_200600_302600_NS6detail15normal_iteratorINSA_10device_ptrIsEEEEPS6_SG_NS0_5tupleIJSF_S6_EEENSH_IJSG_SG_EEES6_PlJNSB_9not_fun_tI7is_trueIsEEEEEE10hipError_tPvRmT3_T4_T5_T6_T7_T9_mT8_P12ihipStream_tbDpT10_ENKUlT_T0_E_clISt17integral_constantIbLb0EES18_EEDaS13_S14_EUlS13_E_NS1_11comp_targetILNS1_3genE2ELNS1_11target_archE906ELNS1_3gpuE6ELNS1_3repE0EEENS1_30default_config_static_selectorELNS0_4arch9wavefront6targetE0EEEvT1_ ; -- Begin function _ZN7rocprim17ROCPRIM_400000_NS6detail17trampoline_kernelINS0_14default_configENS1_25partition_config_selectorILNS1_17partition_subalgoE6EsNS0_10empty_typeEbEEZZNS1_14partition_implILS5_6ELb0ES3_mN6thrust23THRUST_200600_302600_NS6detail15normal_iteratorINSA_10device_ptrIsEEEEPS6_SG_NS0_5tupleIJSF_S6_EEENSH_IJSG_SG_EEES6_PlJNSB_9not_fun_tI7is_trueIsEEEEEE10hipError_tPvRmT3_T4_T5_T6_T7_T9_mT8_P12ihipStream_tbDpT10_ENKUlT_T0_E_clISt17integral_constantIbLb0EES18_EEDaS13_S14_EUlS13_E_NS1_11comp_targetILNS1_3genE2ELNS1_11target_archE906ELNS1_3gpuE6ELNS1_3repE0EEENS1_30default_config_static_selectorELNS0_4arch9wavefront6targetE0EEEvT1_
	.globl	_ZN7rocprim17ROCPRIM_400000_NS6detail17trampoline_kernelINS0_14default_configENS1_25partition_config_selectorILNS1_17partition_subalgoE6EsNS0_10empty_typeEbEEZZNS1_14partition_implILS5_6ELb0ES3_mN6thrust23THRUST_200600_302600_NS6detail15normal_iteratorINSA_10device_ptrIsEEEEPS6_SG_NS0_5tupleIJSF_S6_EEENSH_IJSG_SG_EEES6_PlJNSB_9not_fun_tI7is_trueIsEEEEEE10hipError_tPvRmT3_T4_T5_T6_T7_T9_mT8_P12ihipStream_tbDpT10_ENKUlT_T0_E_clISt17integral_constantIbLb0EES18_EEDaS13_S14_EUlS13_E_NS1_11comp_targetILNS1_3genE2ELNS1_11target_archE906ELNS1_3gpuE6ELNS1_3repE0EEENS1_30default_config_static_selectorELNS0_4arch9wavefront6targetE0EEEvT1_
	.p2align	8
	.type	_ZN7rocprim17ROCPRIM_400000_NS6detail17trampoline_kernelINS0_14default_configENS1_25partition_config_selectorILNS1_17partition_subalgoE6EsNS0_10empty_typeEbEEZZNS1_14partition_implILS5_6ELb0ES3_mN6thrust23THRUST_200600_302600_NS6detail15normal_iteratorINSA_10device_ptrIsEEEEPS6_SG_NS0_5tupleIJSF_S6_EEENSH_IJSG_SG_EEES6_PlJNSB_9not_fun_tI7is_trueIsEEEEEE10hipError_tPvRmT3_T4_T5_T6_T7_T9_mT8_P12ihipStream_tbDpT10_ENKUlT_T0_E_clISt17integral_constantIbLb0EES18_EEDaS13_S14_EUlS13_E_NS1_11comp_targetILNS1_3genE2ELNS1_11target_archE906ELNS1_3gpuE6ELNS1_3repE0EEENS1_30default_config_static_selectorELNS0_4arch9wavefront6targetE0EEEvT1_,@function
_ZN7rocprim17ROCPRIM_400000_NS6detail17trampoline_kernelINS0_14default_configENS1_25partition_config_selectorILNS1_17partition_subalgoE6EsNS0_10empty_typeEbEEZZNS1_14partition_implILS5_6ELb0ES3_mN6thrust23THRUST_200600_302600_NS6detail15normal_iteratorINSA_10device_ptrIsEEEEPS6_SG_NS0_5tupleIJSF_S6_EEENSH_IJSG_SG_EEES6_PlJNSB_9not_fun_tI7is_trueIsEEEEEE10hipError_tPvRmT3_T4_T5_T6_T7_T9_mT8_P12ihipStream_tbDpT10_ENKUlT_T0_E_clISt17integral_constantIbLb0EES18_EEDaS13_S14_EUlS13_E_NS1_11comp_targetILNS1_3genE2ELNS1_11target_archE906ELNS1_3gpuE6ELNS1_3repE0EEENS1_30default_config_static_selectorELNS0_4arch9wavefront6targetE0EEEvT1_: ; @_ZN7rocprim17ROCPRIM_400000_NS6detail17trampoline_kernelINS0_14default_configENS1_25partition_config_selectorILNS1_17partition_subalgoE6EsNS0_10empty_typeEbEEZZNS1_14partition_implILS5_6ELb0ES3_mN6thrust23THRUST_200600_302600_NS6detail15normal_iteratorINSA_10device_ptrIsEEEEPS6_SG_NS0_5tupleIJSF_S6_EEENSH_IJSG_SG_EEES6_PlJNSB_9not_fun_tI7is_trueIsEEEEEE10hipError_tPvRmT3_T4_T5_T6_T7_T9_mT8_P12ihipStream_tbDpT10_ENKUlT_T0_E_clISt17integral_constantIbLb0EES18_EEDaS13_S14_EUlS13_E_NS1_11comp_targetILNS1_3genE2ELNS1_11target_archE906ELNS1_3gpuE6ELNS1_3repE0EEENS1_30default_config_static_selectorELNS0_4arch9wavefront6targetE0EEEvT1_
; %bb.0:
	.section	.rodata,"a",@progbits
	.p2align	6, 0x0
	.amdhsa_kernel _ZN7rocprim17ROCPRIM_400000_NS6detail17trampoline_kernelINS0_14default_configENS1_25partition_config_selectorILNS1_17partition_subalgoE6EsNS0_10empty_typeEbEEZZNS1_14partition_implILS5_6ELb0ES3_mN6thrust23THRUST_200600_302600_NS6detail15normal_iteratorINSA_10device_ptrIsEEEEPS6_SG_NS0_5tupleIJSF_S6_EEENSH_IJSG_SG_EEES6_PlJNSB_9not_fun_tI7is_trueIsEEEEEE10hipError_tPvRmT3_T4_T5_T6_T7_T9_mT8_P12ihipStream_tbDpT10_ENKUlT_T0_E_clISt17integral_constantIbLb0EES18_EEDaS13_S14_EUlS13_E_NS1_11comp_targetILNS1_3genE2ELNS1_11target_archE906ELNS1_3gpuE6ELNS1_3repE0EEENS1_30default_config_static_selectorELNS0_4arch9wavefront6targetE0EEEvT1_
		.amdhsa_group_segment_fixed_size 0
		.amdhsa_private_segment_fixed_size 0
		.amdhsa_kernarg_size 112
		.amdhsa_user_sgpr_count 2
		.amdhsa_user_sgpr_dispatch_ptr 0
		.amdhsa_user_sgpr_queue_ptr 0
		.amdhsa_user_sgpr_kernarg_segment_ptr 1
		.amdhsa_user_sgpr_dispatch_id 0
		.amdhsa_user_sgpr_private_segment_size 0
		.amdhsa_wavefront_size32 1
		.amdhsa_uses_dynamic_stack 0
		.amdhsa_enable_private_segment 0
		.amdhsa_system_sgpr_workgroup_id_x 1
		.amdhsa_system_sgpr_workgroup_id_y 0
		.amdhsa_system_sgpr_workgroup_id_z 0
		.amdhsa_system_sgpr_workgroup_info 0
		.amdhsa_system_vgpr_workitem_id 0
		.amdhsa_next_free_vgpr 1
		.amdhsa_next_free_sgpr 1
		.amdhsa_reserve_vcc 0
		.amdhsa_float_round_mode_32 0
		.amdhsa_float_round_mode_16_64 0
		.amdhsa_float_denorm_mode_32 3
		.amdhsa_float_denorm_mode_16_64 3
		.amdhsa_fp16_overflow 0
		.amdhsa_workgroup_processor_mode 1
		.amdhsa_memory_ordered 1
		.amdhsa_forward_progress 1
		.amdhsa_inst_pref_size 0
		.amdhsa_round_robin_scheduling 0
		.amdhsa_exception_fp_ieee_invalid_op 0
		.amdhsa_exception_fp_denorm_src 0
		.amdhsa_exception_fp_ieee_div_zero 0
		.amdhsa_exception_fp_ieee_overflow 0
		.amdhsa_exception_fp_ieee_underflow 0
		.amdhsa_exception_fp_ieee_inexact 0
		.amdhsa_exception_int_div_zero 0
	.end_amdhsa_kernel
	.section	.text._ZN7rocprim17ROCPRIM_400000_NS6detail17trampoline_kernelINS0_14default_configENS1_25partition_config_selectorILNS1_17partition_subalgoE6EsNS0_10empty_typeEbEEZZNS1_14partition_implILS5_6ELb0ES3_mN6thrust23THRUST_200600_302600_NS6detail15normal_iteratorINSA_10device_ptrIsEEEEPS6_SG_NS0_5tupleIJSF_S6_EEENSH_IJSG_SG_EEES6_PlJNSB_9not_fun_tI7is_trueIsEEEEEE10hipError_tPvRmT3_T4_T5_T6_T7_T9_mT8_P12ihipStream_tbDpT10_ENKUlT_T0_E_clISt17integral_constantIbLb0EES18_EEDaS13_S14_EUlS13_E_NS1_11comp_targetILNS1_3genE2ELNS1_11target_archE906ELNS1_3gpuE6ELNS1_3repE0EEENS1_30default_config_static_selectorELNS0_4arch9wavefront6targetE0EEEvT1_,"axG",@progbits,_ZN7rocprim17ROCPRIM_400000_NS6detail17trampoline_kernelINS0_14default_configENS1_25partition_config_selectorILNS1_17partition_subalgoE6EsNS0_10empty_typeEbEEZZNS1_14partition_implILS5_6ELb0ES3_mN6thrust23THRUST_200600_302600_NS6detail15normal_iteratorINSA_10device_ptrIsEEEEPS6_SG_NS0_5tupleIJSF_S6_EEENSH_IJSG_SG_EEES6_PlJNSB_9not_fun_tI7is_trueIsEEEEEE10hipError_tPvRmT3_T4_T5_T6_T7_T9_mT8_P12ihipStream_tbDpT10_ENKUlT_T0_E_clISt17integral_constantIbLb0EES18_EEDaS13_S14_EUlS13_E_NS1_11comp_targetILNS1_3genE2ELNS1_11target_archE906ELNS1_3gpuE6ELNS1_3repE0EEENS1_30default_config_static_selectorELNS0_4arch9wavefront6targetE0EEEvT1_,comdat
.Lfunc_end1273:
	.size	_ZN7rocprim17ROCPRIM_400000_NS6detail17trampoline_kernelINS0_14default_configENS1_25partition_config_selectorILNS1_17partition_subalgoE6EsNS0_10empty_typeEbEEZZNS1_14partition_implILS5_6ELb0ES3_mN6thrust23THRUST_200600_302600_NS6detail15normal_iteratorINSA_10device_ptrIsEEEEPS6_SG_NS0_5tupleIJSF_S6_EEENSH_IJSG_SG_EEES6_PlJNSB_9not_fun_tI7is_trueIsEEEEEE10hipError_tPvRmT3_T4_T5_T6_T7_T9_mT8_P12ihipStream_tbDpT10_ENKUlT_T0_E_clISt17integral_constantIbLb0EES18_EEDaS13_S14_EUlS13_E_NS1_11comp_targetILNS1_3genE2ELNS1_11target_archE906ELNS1_3gpuE6ELNS1_3repE0EEENS1_30default_config_static_selectorELNS0_4arch9wavefront6targetE0EEEvT1_, .Lfunc_end1273-_ZN7rocprim17ROCPRIM_400000_NS6detail17trampoline_kernelINS0_14default_configENS1_25partition_config_selectorILNS1_17partition_subalgoE6EsNS0_10empty_typeEbEEZZNS1_14partition_implILS5_6ELb0ES3_mN6thrust23THRUST_200600_302600_NS6detail15normal_iteratorINSA_10device_ptrIsEEEEPS6_SG_NS0_5tupleIJSF_S6_EEENSH_IJSG_SG_EEES6_PlJNSB_9not_fun_tI7is_trueIsEEEEEE10hipError_tPvRmT3_T4_T5_T6_T7_T9_mT8_P12ihipStream_tbDpT10_ENKUlT_T0_E_clISt17integral_constantIbLb0EES18_EEDaS13_S14_EUlS13_E_NS1_11comp_targetILNS1_3genE2ELNS1_11target_archE906ELNS1_3gpuE6ELNS1_3repE0EEENS1_30default_config_static_selectorELNS0_4arch9wavefront6targetE0EEEvT1_
                                        ; -- End function
	.set _ZN7rocprim17ROCPRIM_400000_NS6detail17trampoline_kernelINS0_14default_configENS1_25partition_config_selectorILNS1_17partition_subalgoE6EsNS0_10empty_typeEbEEZZNS1_14partition_implILS5_6ELb0ES3_mN6thrust23THRUST_200600_302600_NS6detail15normal_iteratorINSA_10device_ptrIsEEEEPS6_SG_NS0_5tupleIJSF_S6_EEENSH_IJSG_SG_EEES6_PlJNSB_9not_fun_tI7is_trueIsEEEEEE10hipError_tPvRmT3_T4_T5_T6_T7_T9_mT8_P12ihipStream_tbDpT10_ENKUlT_T0_E_clISt17integral_constantIbLb0EES18_EEDaS13_S14_EUlS13_E_NS1_11comp_targetILNS1_3genE2ELNS1_11target_archE906ELNS1_3gpuE6ELNS1_3repE0EEENS1_30default_config_static_selectorELNS0_4arch9wavefront6targetE0EEEvT1_.num_vgpr, 0
	.set _ZN7rocprim17ROCPRIM_400000_NS6detail17trampoline_kernelINS0_14default_configENS1_25partition_config_selectorILNS1_17partition_subalgoE6EsNS0_10empty_typeEbEEZZNS1_14partition_implILS5_6ELb0ES3_mN6thrust23THRUST_200600_302600_NS6detail15normal_iteratorINSA_10device_ptrIsEEEEPS6_SG_NS0_5tupleIJSF_S6_EEENSH_IJSG_SG_EEES6_PlJNSB_9not_fun_tI7is_trueIsEEEEEE10hipError_tPvRmT3_T4_T5_T6_T7_T9_mT8_P12ihipStream_tbDpT10_ENKUlT_T0_E_clISt17integral_constantIbLb0EES18_EEDaS13_S14_EUlS13_E_NS1_11comp_targetILNS1_3genE2ELNS1_11target_archE906ELNS1_3gpuE6ELNS1_3repE0EEENS1_30default_config_static_selectorELNS0_4arch9wavefront6targetE0EEEvT1_.num_agpr, 0
	.set _ZN7rocprim17ROCPRIM_400000_NS6detail17trampoline_kernelINS0_14default_configENS1_25partition_config_selectorILNS1_17partition_subalgoE6EsNS0_10empty_typeEbEEZZNS1_14partition_implILS5_6ELb0ES3_mN6thrust23THRUST_200600_302600_NS6detail15normal_iteratorINSA_10device_ptrIsEEEEPS6_SG_NS0_5tupleIJSF_S6_EEENSH_IJSG_SG_EEES6_PlJNSB_9not_fun_tI7is_trueIsEEEEEE10hipError_tPvRmT3_T4_T5_T6_T7_T9_mT8_P12ihipStream_tbDpT10_ENKUlT_T0_E_clISt17integral_constantIbLb0EES18_EEDaS13_S14_EUlS13_E_NS1_11comp_targetILNS1_3genE2ELNS1_11target_archE906ELNS1_3gpuE6ELNS1_3repE0EEENS1_30default_config_static_selectorELNS0_4arch9wavefront6targetE0EEEvT1_.numbered_sgpr, 0
	.set _ZN7rocprim17ROCPRIM_400000_NS6detail17trampoline_kernelINS0_14default_configENS1_25partition_config_selectorILNS1_17partition_subalgoE6EsNS0_10empty_typeEbEEZZNS1_14partition_implILS5_6ELb0ES3_mN6thrust23THRUST_200600_302600_NS6detail15normal_iteratorINSA_10device_ptrIsEEEEPS6_SG_NS0_5tupleIJSF_S6_EEENSH_IJSG_SG_EEES6_PlJNSB_9not_fun_tI7is_trueIsEEEEEE10hipError_tPvRmT3_T4_T5_T6_T7_T9_mT8_P12ihipStream_tbDpT10_ENKUlT_T0_E_clISt17integral_constantIbLb0EES18_EEDaS13_S14_EUlS13_E_NS1_11comp_targetILNS1_3genE2ELNS1_11target_archE906ELNS1_3gpuE6ELNS1_3repE0EEENS1_30default_config_static_selectorELNS0_4arch9wavefront6targetE0EEEvT1_.num_named_barrier, 0
	.set _ZN7rocprim17ROCPRIM_400000_NS6detail17trampoline_kernelINS0_14default_configENS1_25partition_config_selectorILNS1_17partition_subalgoE6EsNS0_10empty_typeEbEEZZNS1_14partition_implILS5_6ELb0ES3_mN6thrust23THRUST_200600_302600_NS6detail15normal_iteratorINSA_10device_ptrIsEEEEPS6_SG_NS0_5tupleIJSF_S6_EEENSH_IJSG_SG_EEES6_PlJNSB_9not_fun_tI7is_trueIsEEEEEE10hipError_tPvRmT3_T4_T5_T6_T7_T9_mT8_P12ihipStream_tbDpT10_ENKUlT_T0_E_clISt17integral_constantIbLb0EES18_EEDaS13_S14_EUlS13_E_NS1_11comp_targetILNS1_3genE2ELNS1_11target_archE906ELNS1_3gpuE6ELNS1_3repE0EEENS1_30default_config_static_selectorELNS0_4arch9wavefront6targetE0EEEvT1_.private_seg_size, 0
	.set _ZN7rocprim17ROCPRIM_400000_NS6detail17trampoline_kernelINS0_14default_configENS1_25partition_config_selectorILNS1_17partition_subalgoE6EsNS0_10empty_typeEbEEZZNS1_14partition_implILS5_6ELb0ES3_mN6thrust23THRUST_200600_302600_NS6detail15normal_iteratorINSA_10device_ptrIsEEEEPS6_SG_NS0_5tupleIJSF_S6_EEENSH_IJSG_SG_EEES6_PlJNSB_9not_fun_tI7is_trueIsEEEEEE10hipError_tPvRmT3_T4_T5_T6_T7_T9_mT8_P12ihipStream_tbDpT10_ENKUlT_T0_E_clISt17integral_constantIbLb0EES18_EEDaS13_S14_EUlS13_E_NS1_11comp_targetILNS1_3genE2ELNS1_11target_archE906ELNS1_3gpuE6ELNS1_3repE0EEENS1_30default_config_static_selectorELNS0_4arch9wavefront6targetE0EEEvT1_.uses_vcc, 0
	.set _ZN7rocprim17ROCPRIM_400000_NS6detail17trampoline_kernelINS0_14default_configENS1_25partition_config_selectorILNS1_17partition_subalgoE6EsNS0_10empty_typeEbEEZZNS1_14partition_implILS5_6ELb0ES3_mN6thrust23THRUST_200600_302600_NS6detail15normal_iteratorINSA_10device_ptrIsEEEEPS6_SG_NS0_5tupleIJSF_S6_EEENSH_IJSG_SG_EEES6_PlJNSB_9not_fun_tI7is_trueIsEEEEEE10hipError_tPvRmT3_T4_T5_T6_T7_T9_mT8_P12ihipStream_tbDpT10_ENKUlT_T0_E_clISt17integral_constantIbLb0EES18_EEDaS13_S14_EUlS13_E_NS1_11comp_targetILNS1_3genE2ELNS1_11target_archE906ELNS1_3gpuE6ELNS1_3repE0EEENS1_30default_config_static_selectorELNS0_4arch9wavefront6targetE0EEEvT1_.uses_flat_scratch, 0
	.set _ZN7rocprim17ROCPRIM_400000_NS6detail17trampoline_kernelINS0_14default_configENS1_25partition_config_selectorILNS1_17partition_subalgoE6EsNS0_10empty_typeEbEEZZNS1_14partition_implILS5_6ELb0ES3_mN6thrust23THRUST_200600_302600_NS6detail15normal_iteratorINSA_10device_ptrIsEEEEPS6_SG_NS0_5tupleIJSF_S6_EEENSH_IJSG_SG_EEES6_PlJNSB_9not_fun_tI7is_trueIsEEEEEE10hipError_tPvRmT3_T4_T5_T6_T7_T9_mT8_P12ihipStream_tbDpT10_ENKUlT_T0_E_clISt17integral_constantIbLb0EES18_EEDaS13_S14_EUlS13_E_NS1_11comp_targetILNS1_3genE2ELNS1_11target_archE906ELNS1_3gpuE6ELNS1_3repE0EEENS1_30default_config_static_selectorELNS0_4arch9wavefront6targetE0EEEvT1_.has_dyn_sized_stack, 0
	.set _ZN7rocprim17ROCPRIM_400000_NS6detail17trampoline_kernelINS0_14default_configENS1_25partition_config_selectorILNS1_17partition_subalgoE6EsNS0_10empty_typeEbEEZZNS1_14partition_implILS5_6ELb0ES3_mN6thrust23THRUST_200600_302600_NS6detail15normal_iteratorINSA_10device_ptrIsEEEEPS6_SG_NS0_5tupleIJSF_S6_EEENSH_IJSG_SG_EEES6_PlJNSB_9not_fun_tI7is_trueIsEEEEEE10hipError_tPvRmT3_T4_T5_T6_T7_T9_mT8_P12ihipStream_tbDpT10_ENKUlT_T0_E_clISt17integral_constantIbLb0EES18_EEDaS13_S14_EUlS13_E_NS1_11comp_targetILNS1_3genE2ELNS1_11target_archE906ELNS1_3gpuE6ELNS1_3repE0EEENS1_30default_config_static_selectorELNS0_4arch9wavefront6targetE0EEEvT1_.has_recursion, 0
	.set _ZN7rocprim17ROCPRIM_400000_NS6detail17trampoline_kernelINS0_14default_configENS1_25partition_config_selectorILNS1_17partition_subalgoE6EsNS0_10empty_typeEbEEZZNS1_14partition_implILS5_6ELb0ES3_mN6thrust23THRUST_200600_302600_NS6detail15normal_iteratorINSA_10device_ptrIsEEEEPS6_SG_NS0_5tupleIJSF_S6_EEENSH_IJSG_SG_EEES6_PlJNSB_9not_fun_tI7is_trueIsEEEEEE10hipError_tPvRmT3_T4_T5_T6_T7_T9_mT8_P12ihipStream_tbDpT10_ENKUlT_T0_E_clISt17integral_constantIbLb0EES18_EEDaS13_S14_EUlS13_E_NS1_11comp_targetILNS1_3genE2ELNS1_11target_archE906ELNS1_3gpuE6ELNS1_3repE0EEENS1_30default_config_static_selectorELNS0_4arch9wavefront6targetE0EEEvT1_.has_indirect_call, 0
	.section	.AMDGPU.csdata,"",@progbits
; Kernel info:
; codeLenInByte = 0
; TotalNumSgprs: 0
; NumVgprs: 0
; ScratchSize: 0
; MemoryBound: 0
; FloatMode: 240
; IeeeMode: 1
; LDSByteSize: 0 bytes/workgroup (compile time only)
; SGPRBlocks: 0
; VGPRBlocks: 0
; NumSGPRsForWavesPerEU: 1
; NumVGPRsForWavesPerEU: 1
; Occupancy: 16
; WaveLimiterHint : 0
; COMPUTE_PGM_RSRC2:SCRATCH_EN: 0
; COMPUTE_PGM_RSRC2:USER_SGPR: 2
; COMPUTE_PGM_RSRC2:TRAP_HANDLER: 0
; COMPUTE_PGM_RSRC2:TGID_X_EN: 1
; COMPUTE_PGM_RSRC2:TGID_Y_EN: 0
; COMPUTE_PGM_RSRC2:TGID_Z_EN: 0
; COMPUTE_PGM_RSRC2:TIDIG_COMP_CNT: 0
	.section	.text._ZN7rocprim17ROCPRIM_400000_NS6detail17trampoline_kernelINS0_14default_configENS1_25partition_config_selectorILNS1_17partition_subalgoE6EsNS0_10empty_typeEbEEZZNS1_14partition_implILS5_6ELb0ES3_mN6thrust23THRUST_200600_302600_NS6detail15normal_iteratorINSA_10device_ptrIsEEEEPS6_SG_NS0_5tupleIJSF_S6_EEENSH_IJSG_SG_EEES6_PlJNSB_9not_fun_tI7is_trueIsEEEEEE10hipError_tPvRmT3_T4_T5_T6_T7_T9_mT8_P12ihipStream_tbDpT10_ENKUlT_T0_E_clISt17integral_constantIbLb0EES18_EEDaS13_S14_EUlS13_E_NS1_11comp_targetILNS1_3genE10ELNS1_11target_archE1200ELNS1_3gpuE4ELNS1_3repE0EEENS1_30default_config_static_selectorELNS0_4arch9wavefront6targetE0EEEvT1_,"axG",@progbits,_ZN7rocprim17ROCPRIM_400000_NS6detail17trampoline_kernelINS0_14default_configENS1_25partition_config_selectorILNS1_17partition_subalgoE6EsNS0_10empty_typeEbEEZZNS1_14partition_implILS5_6ELb0ES3_mN6thrust23THRUST_200600_302600_NS6detail15normal_iteratorINSA_10device_ptrIsEEEEPS6_SG_NS0_5tupleIJSF_S6_EEENSH_IJSG_SG_EEES6_PlJNSB_9not_fun_tI7is_trueIsEEEEEE10hipError_tPvRmT3_T4_T5_T6_T7_T9_mT8_P12ihipStream_tbDpT10_ENKUlT_T0_E_clISt17integral_constantIbLb0EES18_EEDaS13_S14_EUlS13_E_NS1_11comp_targetILNS1_3genE10ELNS1_11target_archE1200ELNS1_3gpuE4ELNS1_3repE0EEENS1_30default_config_static_selectorELNS0_4arch9wavefront6targetE0EEEvT1_,comdat
	.protected	_ZN7rocprim17ROCPRIM_400000_NS6detail17trampoline_kernelINS0_14default_configENS1_25partition_config_selectorILNS1_17partition_subalgoE6EsNS0_10empty_typeEbEEZZNS1_14partition_implILS5_6ELb0ES3_mN6thrust23THRUST_200600_302600_NS6detail15normal_iteratorINSA_10device_ptrIsEEEEPS6_SG_NS0_5tupleIJSF_S6_EEENSH_IJSG_SG_EEES6_PlJNSB_9not_fun_tI7is_trueIsEEEEEE10hipError_tPvRmT3_T4_T5_T6_T7_T9_mT8_P12ihipStream_tbDpT10_ENKUlT_T0_E_clISt17integral_constantIbLb0EES18_EEDaS13_S14_EUlS13_E_NS1_11comp_targetILNS1_3genE10ELNS1_11target_archE1200ELNS1_3gpuE4ELNS1_3repE0EEENS1_30default_config_static_selectorELNS0_4arch9wavefront6targetE0EEEvT1_ ; -- Begin function _ZN7rocprim17ROCPRIM_400000_NS6detail17trampoline_kernelINS0_14default_configENS1_25partition_config_selectorILNS1_17partition_subalgoE6EsNS0_10empty_typeEbEEZZNS1_14partition_implILS5_6ELb0ES3_mN6thrust23THRUST_200600_302600_NS6detail15normal_iteratorINSA_10device_ptrIsEEEEPS6_SG_NS0_5tupleIJSF_S6_EEENSH_IJSG_SG_EEES6_PlJNSB_9not_fun_tI7is_trueIsEEEEEE10hipError_tPvRmT3_T4_T5_T6_T7_T9_mT8_P12ihipStream_tbDpT10_ENKUlT_T0_E_clISt17integral_constantIbLb0EES18_EEDaS13_S14_EUlS13_E_NS1_11comp_targetILNS1_3genE10ELNS1_11target_archE1200ELNS1_3gpuE4ELNS1_3repE0EEENS1_30default_config_static_selectorELNS0_4arch9wavefront6targetE0EEEvT1_
	.globl	_ZN7rocprim17ROCPRIM_400000_NS6detail17trampoline_kernelINS0_14default_configENS1_25partition_config_selectorILNS1_17partition_subalgoE6EsNS0_10empty_typeEbEEZZNS1_14partition_implILS5_6ELb0ES3_mN6thrust23THRUST_200600_302600_NS6detail15normal_iteratorINSA_10device_ptrIsEEEEPS6_SG_NS0_5tupleIJSF_S6_EEENSH_IJSG_SG_EEES6_PlJNSB_9not_fun_tI7is_trueIsEEEEEE10hipError_tPvRmT3_T4_T5_T6_T7_T9_mT8_P12ihipStream_tbDpT10_ENKUlT_T0_E_clISt17integral_constantIbLb0EES18_EEDaS13_S14_EUlS13_E_NS1_11comp_targetILNS1_3genE10ELNS1_11target_archE1200ELNS1_3gpuE4ELNS1_3repE0EEENS1_30default_config_static_selectorELNS0_4arch9wavefront6targetE0EEEvT1_
	.p2align	8
	.type	_ZN7rocprim17ROCPRIM_400000_NS6detail17trampoline_kernelINS0_14default_configENS1_25partition_config_selectorILNS1_17partition_subalgoE6EsNS0_10empty_typeEbEEZZNS1_14partition_implILS5_6ELb0ES3_mN6thrust23THRUST_200600_302600_NS6detail15normal_iteratorINSA_10device_ptrIsEEEEPS6_SG_NS0_5tupleIJSF_S6_EEENSH_IJSG_SG_EEES6_PlJNSB_9not_fun_tI7is_trueIsEEEEEE10hipError_tPvRmT3_T4_T5_T6_T7_T9_mT8_P12ihipStream_tbDpT10_ENKUlT_T0_E_clISt17integral_constantIbLb0EES18_EEDaS13_S14_EUlS13_E_NS1_11comp_targetILNS1_3genE10ELNS1_11target_archE1200ELNS1_3gpuE4ELNS1_3repE0EEENS1_30default_config_static_selectorELNS0_4arch9wavefront6targetE0EEEvT1_,@function
_ZN7rocprim17ROCPRIM_400000_NS6detail17trampoline_kernelINS0_14default_configENS1_25partition_config_selectorILNS1_17partition_subalgoE6EsNS0_10empty_typeEbEEZZNS1_14partition_implILS5_6ELb0ES3_mN6thrust23THRUST_200600_302600_NS6detail15normal_iteratorINSA_10device_ptrIsEEEEPS6_SG_NS0_5tupleIJSF_S6_EEENSH_IJSG_SG_EEES6_PlJNSB_9not_fun_tI7is_trueIsEEEEEE10hipError_tPvRmT3_T4_T5_T6_T7_T9_mT8_P12ihipStream_tbDpT10_ENKUlT_T0_E_clISt17integral_constantIbLb0EES18_EEDaS13_S14_EUlS13_E_NS1_11comp_targetILNS1_3genE10ELNS1_11target_archE1200ELNS1_3gpuE4ELNS1_3repE0EEENS1_30default_config_static_selectorELNS0_4arch9wavefront6targetE0EEEvT1_: ; @_ZN7rocprim17ROCPRIM_400000_NS6detail17trampoline_kernelINS0_14default_configENS1_25partition_config_selectorILNS1_17partition_subalgoE6EsNS0_10empty_typeEbEEZZNS1_14partition_implILS5_6ELb0ES3_mN6thrust23THRUST_200600_302600_NS6detail15normal_iteratorINSA_10device_ptrIsEEEEPS6_SG_NS0_5tupleIJSF_S6_EEENSH_IJSG_SG_EEES6_PlJNSB_9not_fun_tI7is_trueIsEEEEEE10hipError_tPvRmT3_T4_T5_T6_T7_T9_mT8_P12ihipStream_tbDpT10_ENKUlT_T0_E_clISt17integral_constantIbLb0EES18_EEDaS13_S14_EUlS13_E_NS1_11comp_targetILNS1_3genE10ELNS1_11target_archE1200ELNS1_3gpuE4ELNS1_3repE0EEENS1_30default_config_static_selectorELNS0_4arch9wavefront6targetE0EEEvT1_
; %bb.0:
	s_clause 0x3
	s_load_b128 s[4:7], s[0:1], 0x8
	s_load_b128 s[20:23], s[0:1], 0x40
	s_load_b32 s8, s[0:1], 0x68
	s_load_b64 s[2:3], s[0:1], 0x50
	s_mov_b32 s9, 0
	v_lshlrev_b32_e32 v17, 1, v0
	s_wait_kmcnt 0x0
	s_lshl_b64 s[10:11], s[6:7], 1
	s_load_b64 s[22:23], s[22:23], 0x0
	s_add_co_i32 s12, s8, -1
	s_mulk_i32 s8, 0x1b00
	s_add_nc_u64 s[10:11], s[4:5], s[10:11]
	s_add_nc_u64 s[4:5], s[6:7], s[8:9]
	s_add_co_i32 s6, s8, s6
	v_cmp_le_u64_e64 s3, s[2:3], s[4:5]
	s_sub_co_i32 s26, s2, s6
	s_cmp_eq_u32 ttmp9, s12
	s_mul_i32 s8, ttmp9, 0x1b00
	s_cselect_b32 s19, -1, 0
	s_mov_b32 s4, -1
	s_and_b32 s2, s19, s3
	s_wait_alu 0xfffe
	s_xor_b32 s24, s2, -1
	s_lshl_b64 s[2:3], s[8:9], 1
	s_and_b32 vcc_lo, exec_lo, s24
	s_wait_alu 0xfffe
	s_add_nc_u64 s[2:3], s[10:11], s[2:3]
	s_cbranch_vccz .LBB1274_2
; %bb.1:
	s_wait_alu 0xfffe
	v_add_co_u32 v1, s4, s2, v17
	s_wait_alu 0xf1ff
	v_add_co_ci_u32_e64 v2, null, s3, 0, s4
	s_mov_b32 s4, 0
	s_clause 0x11
	flat_load_u16 v3, v[1:2]
	flat_load_u16 v4, v[1:2] offset:768
	flat_load_u16 v5, v[1:2] offset:1536
	;; [unrolled: 1-line block ×17, first 2 shown]
	s_wait_loadcnt_dscnt 0x1111
	ds_store_b16 v17, v3
	s_wait_loadcnt_dscnt 0x1011
	ds_store_b16 v17, v4 offset:768
	s_wait_loadcnt_dscnt 0xf11
	ds_store_b16 v17, v5 offset:1536
	;; [unrolled: 2-line block ×17, first 2 shown]
	s_wait_dscnt 0x0
	s_barrier_signal -1
	s_barrier_wait -1
.LBB1274_2:
	s_wait_alu 0xfffe
	s_and_not1_b32 vcc_lo, exec_lo, s4
	s_addk_co_i32 s26, 0x1b00
	s_cbranch_vccnz .LBB1274_40
; %bb.3:
	v_mov_b32_e32 v1, 0
	s_mov_b32 s4, exec_lo
	s_delay_alu instid0(VALU_DEP_1)
	v_dual_mov_b32 v2, v1 :: v_dual_mov_b32 v3, v1
	v_dual_mov_b32 v4, v1 :: v_dual_mov_b32 v5, v1
	;; [unrolled: 1-line block ×4, first 2 shown]
	v_cmpx_gt_u32_e64 s26, v0
	s_cbranch_execz .LBB1274_5
; %bb.4:
	v_add_co_u32 v3, s5, s2, v17
	s_wait_alu 0xf1ff
	v_add_co_ci_u32_e64 v4, null, s3, 0, s5
	v_mov_b32_e32 v2, v1
	v_dual_mov_b32 v6, v1 :: v_dual_mov_b32 v7, v1
	v_dual_mov_b32 v5, v1 :: v_dual_mov_b32 v8, v1
	v_mov_b32_e32 v9, v1
	flat_load_d16_b16 v2, v[3:4]
	v_dual_mov_b32 v3, v1 :: v_dual_mov_b32 v4, v1
	v_mov_b32_e32 v10, v1
	s_wait_loadcnt_dscnt 0x0
	v_mov_b32_e32 v1, v2
	s_delay_alu instid0(VALU_DEP_3)
	v_mov_b32_e32 v2, v3
	v_mov_b32_e32 v3, v4
	;; [unrolled: 1-line block ×15, first 2 shown]
.LBB1274_5:
	s_wait_alu 0xfffe
	s_or_b32 exec_lo, exec_lo, s4
	v_add_nc_u32_e32 v10, 0x180, v0
	s_mov_b32 s4, exec_lo
	s_delay_alu instid0(VALU_DEP_1)
	v_cmpx_gt_u32_e64 s26, v10
	s_cbranch_execz .LBB1274_7
; %bb.6:
	v_add_co_u32 v10, s5, s2, v17
	s_wait_alu 0xf1ff
	v_add_co_ci_u32_e64 v11, null, s3, 0, s5
	flat_load_d16_hi_b16 v1, v[10:11] offset:768
.LBB1274_7:
	s_wait_alu 0xfffe
	s_or_b32 exec_lo, exec_lo, s4
	v_add_nc_u32_e32 v10, 0x300, v0
	s_mov_b32 s4, exec_lo
	s_delay_alu instid0(VALU_DEP_1)
	v_cmpx_gt_u32_e64 s26, v10
	s_cbranch_execz .LBB1274_9
; %bb.8:
	v_add_co_u32 v10, s5, s2, v17
	s_wait_alu 0xf1ff
	v_add_co_ci_u32_e64 v11, null, s3, 0, s5
	flat_load_d16_b16 v2, v[10:11] offset:1536
.LBB1274_9:
	s_wait_alu 0xfffe
	s_or_b32 exec_lo, exec_lo, s4
	v_add_nc_u32_e32 v10, 0x480, v0
	s_mov_b32 s4, exec_lo
	s_delay_alu instid0(VALU_DEP_1)
	v_cmpx_gt_u32_e64 s26, v10
	s_cbranch_execz .LBB1274_11
; %bb.10:
	v_add_co_u32 v10, s5, s2, v17
	s_wait_alu 0xf1ff
	v_add_co_ci_u32_e64 v11, null, s3, 0, s5
	s_wait_loadcnt_dscnt 0x0
	flat_load_d16_hi_b16 v2, v[10:11] offset:2304
.LBB1274_11:
	s_wait_alu 0xfffe
	s_or_b32 exec_lo, exec_lo, s4
	v_or_b32_e32 v10, 0x600, v0
	s_mov_b32 s4, exec_lo
	s_delay_alu instid0(VALU_DEP_1)
	v_cmpx_gt_u32_e64 s26, v10
	s_cbranch_execz .LBB1274_13
; %bb.12:
	v_add_co_u32 v10, s5, s2, v17
	s_wait_alu 0xf1ff
	v_add_co_ci_u32_e64 v11, null, s3, 0, s5
	flat_load_d16_b16 v3, v[10:11] offset:3072
.LBB1274_13:
	s_wait_alu 0xfffe
	s_or_b32 exec_lo, exec_lo, s4
	v_add_nc_u32_e32 v10, 0x780, v0
	s_mov_b32 s4, exec_lo
	s_delay_alu instid0(VALU_DEP_1)
	v_cmpx_gt_u32_e64 s26, v10
	s_cbranch_execz .LBB1274_15
; %bb.14:
	v_add_co_u32 v10, s5, s2, v17
	s_wait_alu 0xf1ff
	v_add_co_ci_u32_e64 v11, null, s3, 0, s5
	s_wait_loadcnt_dscnt 0x0
	flat_load_d16_hi_b16 v3, v[10:11] offset:3840
.LBB1274_15:
	s_wait_alu 0xfffe
	s_or_b32 exec_lo, exec_lo, s4
	v_add_nc_u32_e32 v10, 0x900, v0
	s_mov_b32 s4, exec_lo
	s_delay_alu instid0(VALU_DEP_1)
	v_cmpx_gt_u32_e64 s26, v10
	s_cbranch_execz .LBB1274_17
; %bb.16:
	v_add_co_u32 v10, s5, s2, v17
	s_wait_alu 0xf1ff
	v_add_co_ci_u32_e64 v11, null, s3, 0, s5
	flat_load_d16_b16 v4, v[10:11] offset:4608
.LBB1274_17:
	s_wait_alu 0xfffe
	s_or_b32 exec_lo, exec_lo, s4
	v_add_nc_u32_e32 v10, 0xa80, v0
	s_mov_b32 s4, exec_lo
	s_delay_alu instid0(VALU_DEP_1)
	v_cmpx_gt_u32_e64 s26, v10
	s_cbranch_execz .LBB1274_19
; %bb.18:
	v_add_co_u32 v10, s5, s2, v17
	s_wait_alu 0xf1ff
	v_add_co_ci_u32_e64 v11, null, s3, 0, s5
	s_wait_loadcnt_dscnt 0x0
	flat_load_d16_hi_b16 v4, v[10:11] offset:5376
.LBB1274_19:
	s_wait_alu 0xfffe
	s_or_b32 exec_lo, exec_lo, s4
	v_or_b32_e32 v10, 0xc00, v0
	s_mov_b32 s4, exec_lo
	s_delay_alu instid0(VALU_DEP_1)
	v_cmpx_gt_u32_e64 s26, v10
	s_cbranch_execz .LBB1274_21
; %bb.20:
	v_add_co_u32 v10, s5, s2, v17
	s_wait_alu 0xf1ff
	v_add_co_ci_u32_e64 v11, null, s3, 0, s5
	flat_load_d16_b16 v5, v[10:11] offset:6144
.LBB1274_21:
	s_wait_alu 0xfffe
	s_or_b32 exec_lo, exec_lo, s4
	v_add_nc_u32_e32 v10, 0xd80, v0
	s_mov_b32 s4, exec_lo
	s_delay_alu instid0(VALU_DEP_1)
	v_cmpx_gt_u32_e64 s26, v10
	s_cbranch_execz .LBB1274_23
; %bb.22:
	v_add_co_u32 v10, s5, s2, v17
	s_wait_alu 0xf1ff
	v_add_co_ci_u32_e64 v11, null, s3, 0, s5
	s_wait_loadcnt_dscnt 0x0
	flat_load_d16_hi_b16 v5, v[10:11] offset:6912
.LBB1274_23:
	;; [unrolled: 54-line block ×4, first 2 shown]
	s_wait_alu 0xfffe
	s_or_b32 exec_lo, exec_lo, s4
	s_wait_loadcnt_dscnt 0x0
	ds_store_b16 v17, v1
	ds_store_b16_d16_hi v17, v1 offset:768
	ds_store_b16 v17, v2 offset:1536
	ds_store_b16_d16_hi v17, v2 offset:2304
	ds_store_b16 v17, v3 offset:3072
	;; [unrolled: 2-line block ×8, first 2 shown]
	ds_store_b16_d16_hi v17, v9 offset:13056
	s_wait_dscnt 0x0
	s_barrier_signal -1
	s_barrier_wait -1
.LBB1274_40:
	v_mul_u32_u24_e32 v1, 18, v0
	global_inv scope:SCOPE_SE
	s_and_not1_b32 vcc_lo, exec_lo, s24
	v_lshlrev_b32_e32 v2, 1, v1
	ds_load_2addr_b32 v[9:10], v2 offset0:7 offset1:8
	ds_load_b32 v54, v2
	ds_load_2addr_b32 v[15:16], v2 offset0:1 offset1:2
	ds_load_2addr_b32 v[13:14], v2 offset0:3 offset1:4
	;; [unrolled: 1-line block ×3, first 2 shown]
	s_wait_loadcnt_dscnt 0x0
	s_barrier_signal -1
	s_barrier_wait -1
	global_inv scope:SCOPE_SE
	v_alignbit_b32 v53, v10, v9, 16
	v_lshrrev_b32_e32 v10, 16, v10
	v_cmp_eq_u16_e64 s8, 0, v54
	v_lshrrev_b32_e32 v17, 16, v54
	v_cmp_eq_u16_e64 s9, 0, v15
	;; [unrolled: 2-line block ×8, first 2 shown]
	v_cmp_eq_u16_e64 s10, 0, v53
	v_lshrrev_b32_e32 v2, 16, v53
	v_cmp_eq_u16_e64 s25, 0, v10
	s_cbranch_vccnz .LBB1274_42
; %bb.41:
	v_cmp_eq_u16_e32 vcc_lo, 0, v17
	v_cndmask_b32_e64 v25, 0, 1, s10
	v_cndmask_b32_e64 v26, 0, 1, s8
	v_cndmask_b32_e64 v27, 0, 1, s9
	v_cndmask_b32_e64 v28, 0, 1, s7
	v_cndmask_b32_e64 v18, 0, 1, vcc_lo
	v_cmp_eq_u16_e32 vcc_lo, 0, v8
	v_lshlrev_b16 v25, 8, v25
	s_wait_alu 0xf1ff
	v_cndmask_b32_e64 v29, 0, 1, s3
	v_cndmask_b32_e64 v30, 0, 1, s2
	v_lshlrev_b16 v18, 8, v18
	s_wait_alu 0xfffd
	v_cndmask_b32_e64 v19, 0, 1, vcc_lo
	v_cmp_eq_u16_e32 vcc_lo, 0, v7
	v_or_b32_e32 v25, v30, v25
	v_lshrrev_b32_e32 v18, 8, v18
	s_delay_alu instid0(VALU_DEP_4)
	v_lshlrev_b16 v19, 8, v19
	s_wait_alu 0xfffd
	v_cndmask_b32_e64 v20, 0, 1, vcc_lo
	v_cmp_eq_u16_e32 vcc_lo, 0, v6
	v_lshlrev_b32_e32 v25, 16, v25
	v_lshlrev_b16 v18, 8, v18
	v_lshrrev_b32_e32 v19, 8, v19
	v_lshlrev_b16 v20, 8, v20
	s_wait_alu 0xfffd
	v_cndmask_b32_e64 v21, 0, 1, vcc_lo
	v_cmp_eq_u16_e32 vcc_lo, 0, v5
	v_or_b32_e32 v18, v26, v18
	v_lshlrev_b16 v19, 8, v19
	v_lshrrev_b32_e32 v20, 8, v20
	v_lshlrev_b16 v21, 8, v21
	s_wait_alu 0xfffd
	v_cndmask_b32_e64 v22, 0, 1, vcc_lo
	v_cmp_eq_u16_e32 vcc_lo, 0, v3
	v_or_b32_e32 v19, v28, v19
	v_lshlrev_b16 v20, 8, v20
	v_cndmask_b32_e64 v26, 0, 1, s4
	v_lshlrev_b16 v22, 8, v22
	s_wait_alu 0xfffd
	v_cndmask_b32_e64 v23, 0, 1, vcc_lo
	v_cmp_eq_u16_e32 vcc_lo, 0, v4
	v_or_b32_e32 v20, v27, v20
	v_cndmask_b32_e64 v27, 0, 1, s5
	v_lshrrev_b32_e32 v22, 8, v22
	v_lshlrev_b16 v23, 8, v23
	s_wait_alu 0xfffd
	v_cndmask_b32_e64 v24, 0, 1, vcc_lo
	v_cndmask_b32_e64 v28, 0, 1, s6
	v_or_b32_e32 v21, v26, v21
	v_lshlrev_b16 v22, 8, v22
	v_lshrrev_b32_e32 v23, 8, v23
	v_lshlrev_b16 v24, 8, v24
	v_and_b32_e32 v18, 0xffff, v18
	v_lshlrev_b32_e32 v20, 16, v20
	v_or_b32_e32 v22, v27, v22
	v_lshlrev_b16 v23, 8, v23
	v_lshrrev_b32_e32 v24, 8, v24
	v_and_b32_e32 v19, 0xffff, v19
	v_lshlrev_b32_e32 v21, 16, v21
	v_and_b32_e32 v22, 0xffff, v22
	v_or_b32_e32 v23, v28, v23
	v_lshlrev_b16 v24, 8, v24
	v_cmp_eq_u16_e32 vcc_lo, 0, v2
	v_or_b32_e32 v51, v18, v20
	v_or_b32_e32 v59, v19, v21
	v_lshlrev_b32_e32 v23, 16, v23
	v_or_b32_e32 v24, v29, v24
	s_wait_alu 0xfffd
	v_cndmask_b32_e64 v55, 0, 1, vcc_lo
	s_delay_alu instid0(VALU_DEP_3) | instskip(NEXT) | instid1(VALU_DEP_3)
	v_or_b32_e32 v57, v22, v23
	v_and_b32_e32 v24, 0xffff, v24
	s_delay_alu instid0(VALU_DEP_1)
	v_or_b32_e32 v56, v24, v25
	s_cbranch_execz .LBB1274_43
	s_branch .LBB1274_44
.LBB1274_42:
                                        ; implicit-def: $sgpr25
                                        ; implicit-def: $vgpr55
                                        ; implicit-def: $vgpr56
                                        ; implicit-def: $vgpr57
                                        ; implicit-def: $vgpr59
                                        ; implicit-def: $vgpr51
.LBB1274_43:
	v_or_b32_e32 v18, 1, v1
	v_cmp_eq_u16_e32 vcc_lo, 0, v17
	v_add_nc_u32_e32 v20, 3, v1
	v_add_nc_u32_e32 v19, 5, v1
	;; [unrolled: 1-line block ×3, first 2 shown]
	v_cmp_gt_u32_e64 s4, s26, v18
	v_add_nc_u32_e32 v18, 2, v1
	v_cmp_gt_u32_e64 s6, s26, v20
	v_cmp_gt_u32_e64 s8, s26, v19
	v_add_nc_u32_e32 v19, 9, v1
	s_and_b32 s4, s4, vcc_lo
	v_cmp_eq_u16_e32 vcc_lo, 0, v7
	s_wait_alu 0xfffe
	v_cndmask_b32_e64 v21, 0, 1, s4
	v_cmp_eq_u16_e64 s4, 0, v8
	v_cmp_gt_u32_e64 s9, s26, v18
	v_cmp_gt_u32_e64 s10, s26, v19
	s_and_b32 s6, s6, vcc_lo
	v_cmp_gt_u32_e32 vcc_lo, s26, v17
	v_add_nc_u32_e32 v17, 7, v1
	s_and_b32 s4, s8, s4
	s_wait_alu 0xfffe
	v_cndmask_b32_e64 v8, 0, 1, s6
	v_cndmask_b32_e64 v18, 0, 1, s4
	v_cmp_eq_u16_e64 s4, 0, v6
	v_cmp_gt_u32_e64 s6, s26, v17
	v_cmp_eq_u16_e64 s8, 0, v5
	v_add_nc_u32_e32 v17, 8, v1
	v_lshlrev_b16 v7, 8, v21
	v_add_nc_u32_e32 v21, 13, v1
	s_and_b32 s4, s6, s4
	s_and_b32 s6, s10, s8
	v_cmp_gt_u32_e64 s10, s26, v17
	s_wait_alu 0xfffe
	v_cndmask_b32_e64 v19, 0, 1, s6
	v_cmp_eq_u16_e64 s11, 0, v3
	v_lshlrev_b16 v6, 8, v18
	v_add_nc_u32_e32 v18, 6, v1
	v_cmp_eq_u16_e64 s12, 0, v4
	v_lshlrev_b16 v17, 8, v19
	v_add_nc_u32_e32 v19, 11, v1
	v_cmp_gt_u32_e64 s16, s26, v21
	v_cmp_gt_u32_e64 s8, s26, v18
	v_add_nc_u32_e32 v18, 12, v1
	v_add_nc_u32_e32 v4, 15, v1
	v_cmp_gt_u32_e64 s13, s26, v19
	v_lshlrev_b16 v8, 8, v8
	v_cmp_eq_u16_e64 s2, 0, v54
	v_cmp_gt_u32_e64 s3, s26, v1
	v_cmp_eq_u16_e64 s5, 0, v15
	s_and_b32 s11, s13, s11
	v_cmp_gt_u32_e64 s13, s26, v4
	s_wait_alu 0xfffe
	v_cndmask_b32_e64 v3, 0, 1, s11
	s_and_b32 s11, s16, s12
	v_cmp_eq_u16_e64 s12, 0, v53
	s_wait_alu 0xfffe
	v_cndmask_b32_e64 v19, 0, 1, s11
	v_cmp_gt_u32_e64 s11, s26, v18
	v_add_nc_u32_e32 v18, 16, v1
	v_lshrrev_b32_e32 v7, 8, v7
	v_lshrrev_b32_e32 v8, 8, v8
	v_lshlrev_b16 v4, 8, v19
	v_add_nc_u32_e32 v19, 14, v1
	s_and_b32 s2, s3, s2
	v_add_nc_u32_e32 v20, 10, v1
	s_and_b32 s12, s13, s12
	v_cmp_gt_u32_e64 s13, s26, v18
	s_wait_alu 0xfffe
	v_cndmask_b32_e64 v18, 0, 1, s2
	s_and_b32 s2, s9, s5
	v_cmp_gt_u32_e64 s16, s26, v19
	v_lshlrev_b16 v7, 8, v7
	v_lshlrev_b16 v8, 8, v8
	s_wait_alu 0xfffe
	v_cndmask_b32_e64 v19, 0, 1, s2
	v_cndmask_b32_e64 v5, 0, 1, s4
	v_cmp_eq_u16_e64 s4, 0, v13
	v_cmp_gt_u32_e64 s17, s26, v20
	v_cndmask_b32_e64 v20, 0, 1, s12
	v_cmp_eq_u16_e64 s7, 0, v16
	v_cmp_eq_u16_e64 s6, 0, v14
	v_add_nc_u32_e32 v1, 17, v1
	v_or_b32_e32 v7, v18, v7
	v_or_b32_e32 v8, v19, v8
	v_lshrrev_b32_e32 v6, 8, v6
	v_cmp_eq_u16_e64 s14, 0, v11
	v_lshlrev_b16 v5, 8, v5
	v_lshlrev_b16 v3, 8, v3
	v_cmp_eq_u16_e64 s12, 0, v2
	v_lshlrev_b16 v2, 8, v20
	s_and_b32 s3, s8, s4
	v_cmp_eq_u16_e64 s15, 0, v12
	s_and_b32 s2, vcc_lo, s7
	v_cmp_gt_u32_e32 vcc_lo, s26, v1
	v_and_b32_e32 v1, 0xffff, v7
	v_lshlrev_b32_e32 v7, 16, v8
	v_lshrrev_b32_e32 v8, 8, v17
	s_wait_alu 0xfffe
	v_cndmask_b32_e64 v17, 0, 1, s3
	s_and_b32 s3, s10, s6
	v_cmp_eq_u16_e64 s18, 0, v9
	v_lshlrev_b16 v6, 8, v6
	v_cndmask_b32_e64 v20, 0, 1, s2
	s_wait_alu 0xfffe
	v_cndmask_b32_e64 v18, 0, 1, s3
	s_and_b32 s3, s17, s14
	v_lshrrev_b32_e32 v5, 8, v5
	v_lshrrev_b32_e32 v2, 8, v2
	;; [unrolled: 1-line block ×4, first 2 shown]
	s_wait_alu 0xfffe
	v_cndmask_b32_e64 v19, 0, 1, s3
	s_and_b32 s3, s11, s15
	v_or_b32_e32 v6, v20, v6
	s_wait_alu 0xfffe
	v_cndmask_b32_e64 v20, 0, 1, s3
	s_and_b32 s3, s16, s18
	v_lshlrev_b16 v5, 8, v5
	v_lshlrev_b16 v8, 8, v8
	;; [unrolled: 1-line block ×5, first 2 shown]
	s_wait_alu 0xfffe
	v_cndmask_b32_e64 v21, 0, 1, s3
	v_or_b32_e32 v5, v17, v5
	v_or_b32_e32 v8, v18, v8
	;; [unrolled: 1-line block ×5, first 2 shown]
	v_cmp_eq_u16_e64 s2, 0, v10
	v_and_b32_e32 v6, 0xffff, v6
	v_lshlrev_b32_e32 v5, 16, v5
	v_and_b32_e32 v8, 0xffff, v8
	v_lshlrev_b32_e32 v3, 16, v3
	;; [unrolled: 2-line block ×3, first 2 shown]
	s_and_b32 s12, s13, s12
	s_and_b32 s2, vcc_lo, s2
	s_wait_alu 0xfffe
	v_cndmask_b32_e64 v55, 0, 1, s12
	v_or_b32_e32 v51, v1, v7
	v_or_b32_e32 v59, v6, v5
	;; [unrolled: 1-line block ×4, first 2 shown]
	s_and_not1_b32 s3, s25, exec_lo
	s_and_b32 s2, s2, exec_lo
	s_wait_alu 0xfffe
	s_or_b32 s25, s3, s2
.LBB1274_44:
	v_and_b32_e32 v26, 0xff, v51
	v_bfe_u32 v25, v51, 8, 8
	v_cndmask_b32_e64 v1, 0, 1, s25
	v_bfe_u32 v33, v51, 16, 8
	v_lshrrev_b32_e32 v62, 24, v51
	v_and_b32_e32 v32, 0xff, v59
	v_bfe_u32 v31, v59, 8, 8
	v_add3_u32 v1, v26, v1, v25
	v_bfe_u32 v30, v59, 16, 8
	v_lshrrev_b32_e32 v61, 24, v59
	v_dual_mov_b32 v2, 0 :: v_dual_and_b32 v29, 0xff, v57
	s_delay_alu instid0(VALU_DEP_4) | instskip(SKIP_3) | instid1(VALU_DEP_3)
	v_add_co_u32 v1, s2, v1, v33
	s_wait_alu 0xf1ff
	v_add_co_ci_u32_e64 v3, null, 0, 0, s2
	v_bfe_u32 v28, v57, 8, 8
	v_add_co_u32 v1, vcc_lo, v1, v62
	s_wait_alu 0xfffd
	s_delay_alu instid0(VALU_DEP_3) | instskip(SKIP_1) | instid1(VALU_DEP_3)
	v_add_co_ci_u32_e64 v3, null, 0, v3, vcc_lo
	v_bfe_u32 v27, v57, 16, 8
	v_add_co_u32 v1, vcc_lo, v1, v32
	s_wait_alu 0xfffd
	s_delay_alu instid0(VALU_DEP_3) | instskip(SKIP_1) | instid1(VALU_DEP_3)
	v_add_co_ci_u32_e64 v3, null, 0, v3, vcc_lo
	v_lshrrev_b32_e32 v60, 24, v57
	v_add_co_u32 v1, vcc_lo, v1, v31
	s_wait_alu 0xfffd
	s_delay_alu instid0(VALU_DEP_3) | instskip(SKIP_1) | instid1(VALU_DEP_3)
	v_add_co_ci_u32_e64 v3, null, 0, v3, vcc_lo
	v_and_b32_e32 v65, 0xff, v56
	v_add_co_u32 v1, vcc_lo, v1, v30
	s_wait_alu 0xfffd
	s_delay_alu instid0(VALU_DEP_3) | instskip(SKIP_1) | instid1(VALU_DEP_3)
	v_add_co_ci_u32_e64 v3, null, 0, v3, vcc_lo
	v_bfe_u32 v64, v56, 8, 8
	v_add_co_u32 v1, vcc_lo, v1, v61
	s_wait_alu 0xfffd
	s_delay_alu instid0(VALU_DEP_3) | instskip(SKIP_1) | instid1(VALU_DEP_3)
	v_add_co_ci_u32_e64 v3, null, 0, v3, vcc_lo
	v_bfe_u32 v63, v56, 16, 8
	v_add_co_u32 v1, vcc_lo, v1, v29
	s_wait_alu 0xfffd
	s_delay_alu instid0(VALU_DEP_3)
	v_add_co_ci_u32_e64 v3, null, 0, v3, vcc_lo
	s_load_b64 s[6:7], s[0:1], 0x60
	v_add_co_u32 v1, vcc_lo, v1, v28
	s_wait_alu 0xfffd
	v_add_co_ci_u32_e64 v3, null, 0, v3, vcc_lo
	v_lshrrev_b32_e32 v58, 24, v56
	s_delay_alu instid0(VALU_DEP_3) | instskip(SKIP_1) | instid1(VALU_DEP_3)
	v_add_co_u32 v1, vcc_lo, v1, v27
	s_wait_alu 0xfffd
	v_add_co_ci_u32_e64 v3, null, 0, v3, vcc_lo
	v_mbcnt_lo_u32_b32 v34, -1, 0
	s_delay_alu instid0(VALU_DEP_3) | instskip(SKIP_1) | instid1(VALU_DEP_3)
	v_add_co_u32 v1, vcc_lo, v1, v60
	s_wait_alu 0xfffd
	v_add_co_ci_u32_e64 v3, null, 0, v3, vcc_lo
	v_and_b32_e32 v52, 0xff, v55
	s_delay_alu instid0(VALU_DEP_3) | instskip(SKIP_1) | instid1(VALU_DEP_3)
	v_add_co_u32 v1, vcc_lo, v1, v65
	s_wait_alu 0xfffd
	v_add_co_ci_u32_e64 v3, null, 0, v3, vcc_lo
	v_and_b32_e32 v35, 15, v34
	s_delay_alu instid0(VALU_DEP_3) | instskip(SKIP_1) | instid1(VALU_DEP_3)
	v_add_co_u32 v1, vcc_lo, v1, v64
	s_wait_alu 0xfffd
	v_add_co_ci_u32_e64 v3, null, 0, v3, vcc_lo
	s_delay_alu instid0(VALU_DEP_3) | instskip(NEXT) | instid1(VALU_DEP_3)
	v_cmp_ne_u32_e64 s2, 0, v35
	v_add_co_u32 v1, vcc_lo, v1, v63
	s_wait_alu 0xfffd
	s_delay_alu instid0(VALU_DEP_3)
	v_add_co_ci_u32_e64 v3, null, 0, v3, vcc_lo
	s_cmp_lg_u32 ttmp9, 0
	v_add_co_u32 v1, vcc_lo, v1, v58
	s_wait_alu 0xfffd
	v_add_co_ci_u32_e64 v3, null, 0, v3, vcc_lo
	s_mov_b32 s3, -1
	v_add_co_u32 v17, vcc_lo, v1, v52
	s_wait_alu 0xfffd
	v_add_co_ci_u32_e64 v18, null, 0, v3, vcc_lo
	s_cbranch_scc0 .LBB1274_103
; %bb.45:
	v_mov_b32_e32 v3, v17
	v_mov_b32_dpp v1, v17 row_shr:1 row_mask:0xf bank_mask:0xf
	v_mov_b32_dpp v6, v2 row_shr:1 row_mask:0xf bank_mask:0xf
	v_dual_mov_b32 v5, v17 :: v_dual_mov_b32 v4, v18
	s_and_saveexec_b32 s3, s2
; %bb.46:
	s_delay_alu instid0(VALU_DEP_3) | instskip(SKIP_2) | instid1(VALU_DEP_2)
	v_add_co_u32 v5, vcc_lo, v17, v1
	s_wait_alu 0xfffd
	v_add_co_ci_u32_e64 v2, null, 0, v18, vcc_lo
	v_add_co_u32 v1, vcc_lo, 0, v5
	s_wait_alu 0xfffd
	s_delay_alu instid0(VALU_DEP_2) | instskip(NEXT) | instid1(VALU_DEP_1)
	v_add_co_ci_u32_e64 v2, null, v6, v2, vcc_lo
	v_dual_mov_b32 v4, v2 :: v_dual_mov_b32 v3, v1
; %bb.47:
	s_wait_alu 0xfffe
	s_or_b32 exec_lo, exec_lo, s3
	v_mov_b32_dpp v1, v5 row_shr:2 row_mask:0xf bank_mask:0xf
	v_mov_b32_dpp v6, v2 row_shr:2 row_mask:0xf bank_mask:0xf
	v_cmp_lt_u32_e32 vcc_lo, 1, v35
	s_and_saveexec_b32 s4, vcc_lo
; %bb.48:
	s_delay_alu instid0(VALU_DEP_3) | instskip(SKIP_2) | instid1(VALU_DEP_2)
	v_add_co_u32 v5, s3, v3, v1
	s_wait_alu 0xf1ff
	v_add_co_ci_u32_e64 v2, null, 0, v4, s3
	v_add_co_u32 v1, s3, 0, v5
	s_wait_alu 0xf1ff
	s_delay_alu instid0(VALU_DEP_2) | instskip(NEXT) | instid1(VALU_DEP_1)
	v_add_co_ci_u32_e64 v2, null, v6, v2, s3
	v_dual_mov_b32 v4, v2 :: v_dual_mov_b32 v3, v1
; %bb.49:
	s_wait_alu 0xfffe
	s_or_b32 exec_lo, exec_lo, s4
	v_mov_b32_dpp v1, v5 row_shr:4 row_mask:0xf bank_mask:0xf
	v_mov_b32_dpp v6, v2 row_shr:4 row_mask:0xf bank_mask:0xf
	v_cmp_lt_u32_e64 s3, 3, v35
	s_and_saveexec_b32 s5, s3
; %bb.50:
	v_add_co_u32 v5, s4, v3, v1
	s_wait_alu 0xf1ff
	v_add_co_ci_u32_e64 v2, null, 0, v4, s4
	s_delay_alu instid0(VALU_DEP_2) | instskip(SKIP_1) | instid1(VALU_DEP_2)
	v_add_co_u32 v1, s4, 0, v5
	s_wait_alu 0xf1ff
	v_add_co_ci_u32_e64 v2, null, v6, v2, s4
	s_delay_alu instid0(VALU_DEP_1)
	v_dual_mov_b32 v4, v2 :: v_dual_mov_b32 v3, v1
; %bb.51:
	s_wait_alu 0xfffe
	s_or_b32 exec_lo, exec_lo, s5
	v_mov_b32_dpp v6, v5 row_shr:8 row_mask:0xf bank_mask:0xf
	v_mov_b32_dpp v1, v2 row_shr:8 row_mask:0xf bank_mask:0xf
	v_cmp_lt_u32_e64 s4, 7, v35
	s_and_saveexec_b32 s8, s4
; %bb.52:
	v_add_co_u32 v5, s5, v3, v6
	s_wait_alu 0xf1ff
	v_add_co_ci_u32_e64 v2, null, 0, v4, s5
	s_delay_alu instid0(VALU_DEP_2) | instskip(SKIP_1) | instid1(VALU_DEP_2)
	v_add_co_u32 v3, s5, 0, v5
	s_wait_alu 0xf1ff
	v_add_co_ci_u32_e64 v4, null, v1, v2, s5
	s_delay_alu instid0(VALU_DEP_1)
	v_mov_b32_e32 v2, v4
; %bb.53:
	s_wait_alu 0xfffe
	s_or_b32 exec_lo, exec_lo, s8
	ds_swizzle_b32 v1, v5 offset:swizzle(BROADCAST,32,15)
	ds_swizzle_b32 v6, v2 offset:swizzle(BROADCAST,32,15)
	v_and_b32_e32 v7, 16, v34
	s_mov_b32 s8, exec_lo
	s_delay_alu instid0(VALU_DEP_1)
	v_cmpx_ne_u32_e32 0, v7
	s_cbranch_execz .LBB1274_55
; %bb.54:
	s_wait_dscnt 0x1
	v_add_co_u32 v5, s5, v3, v1
	s_wait_alu 0xf1ff
	v_add_co_ci_u32_e64 v2, null, 0, v4, s5
	s_delay_alu instid0(VALU_DEP_2) | instskip(SKIP_2) | instid1(VALU_DEP_2)
	v_add_co_u32 v1, s5, 0, v5
	s_wait_dscnt 0x0
	s_wait_alu 0xf1ff
	v_add_co_ci_u32_e64 v2, null, v6, v2, s5
	s_delay_alu instid0(VALU_DEP_1)
	v_dual_mov_b32 v4, v2 :: v_dual_mov_b32 v3, v1
.LBB1274_55:
	s_wait_alu 0xfffe
	s_or_b32 exec_lo, exec_lo, s8
	s_wait_dscnt 0x1
	v_and_b32_e32 v1, 0x1e0, v0
	s_mov_b32 s8, exec_lo
	s_delay_alu instid0(VALU_DEP_1) | instskip(SKIP_1) | instid1(VALU_DEP_1)
	v_min_u32_e32 v1, 0x160, v1
	s_wait_dscnt 0x0
	v_or_b32_e32 v6, 31, v1
	v_lshrrev_b32_e32 v1, 5, v0
	s_delay_alu instid0(VALU_DEP_2)
	v_cmpx_eq_u32_e64 v0, v6
; %bb.56:
	s_delay_alu instid0(VALU_DEP_2)
	v_lshlrev_b32_e32 v6, 3, v1
	ds_store_b64 v6, v[3:4]
; %bb.57:
	s_wait_alu 0xfffe
	s_or_b32 exec_lo, exec_lo, s8
	s_delay_alu instid0(SALU_CYCLE_1)
	s_mov_b32 s8, exec_lo
	s_wait_loadcnt_dscnt 0x0
	s_barrier_signal -1
	s_barrier_wait -1
	global_inv scope:SCOPE_SE
	v_cmpx_gt_u32_e32 12, v0
	s_cbranch_execz .LBB1274_67
; %bb.58:
	v_lshlrev_b32_e32 v6, 3, v0
	ds_load_b64 v[3:4], v6
	s_wait_dscnt 0x0
	v_mov_b32_dpp v19, v3 row_shr:1 row_mask:0xf bank_mask:0xf
	v_mov_b32_dpp v8, v4 row_shr:1 row_mask:0xf bank_mask:0xf
	v_mov_b32_e32 v7, v3
	s_and_saveexec_b32 s9, s2
; %bb.59:
	s_delay_alu instid0(VALU_DEP_3) | instskip(SKIP_2) | instid1(VALU_DEP_2)
	v_add_co_u32 v7, s5, v3, v19
	s_wait_alu 0xf1ff
	v_add_co_ci_u32_e64 v4, null, 0, v4, s5
	v_add_co_u32 v3, s5, 0, v7
	s_wait_alu 0xf1ff
	s_delay_alu instid0(VALU_DEP_2)
	v_add_co_ci_u32_e64 v4, null, v8, v4, s5
; %bb.60:
	s_wait_alu 0xfffe
	s_or_b32 exec_lo, exec_lo, s9
	v_mov_b32_dpp v19, v7 row_shr:2 row_mask:0xf bank_mask:0xf
	s_delay_alu instid0(VALU_DEP_2)
	v_mov_b32_dpp v8, v4 row_shr:2 row_mask:0xf bank_mask:0xf
	s_and_saveexec_b32 s5, vcc_lo
; %bb.61:
	s_delay_alu instid0(VALU_DEP_2) | instskip(SKIP_2) | instid1(VALU_DEP_2)
	v_add_co_u32 v7, vcc_lo, v3, v19
	s_wait_alu 0xfffd
	v_add_co_ci_u32_e64 v4, null, 0, v4, vcc_lo
	v_add_co_u32 v3, vcc_lo, 0, v7
	s_wait_alu 0xfffd
	s_delay_alu instid0(VALU_DEP_2)
	v_add_co_ci_u32_e64 v4, null, v8, v4, vcc_lo
; %bb.62:
	s_wait_alu 0xfffe
	s_or_b32 exec_lo, exec_lo, s5
	v_mov_b32_dpp v19, v7 row_shr:4 row_mask:0xf bank_mask:0xf
	s_delay_alu instid0(VALU_DEP_2)
	v_mov_b32_dpp v8, v4 row_shr:4 row_mask:0xf bank_mask:0xf
	s_and_saveexec_b32 s5, s3
; %bb.63:
	s_delay_alu instid0(VALU_DEP_2) | instskip(SKIP_2) | instid1(VALU_DEP_2)
	v_add_co_u32 v7, vcc_lo, v3, v19
	s_wait_alu 0xfffd
	v_add_co_ci_u32_e64 v4, null, 0, v4, vcc_lo
	v_add_co_u32 v3, vcc_lo, 0, v7
	s_wait_alu 0xfffd
	s_delay_alu instid0(VALU_DEP_2)
	v_add_co_ci_u32_e64 v4, null, v8, v4, vcc_lo
; %bb.64:
	s_wait_alu 0xfffe
	s_or_b32 exec_lo, exec_lo, s5
	v_mov_b32_dpp v8, v7 row_shr:8 row_mask:0xf bank_mask:0xf
	s_delay_alu instid0(VALU_DEP_2)
	v_mov_b32_dpp v7, v4 row_shr:8 row_mask:0xf bank_mask:0xf
	s_and_saveexec_b32 s3, s4
; %bb.65:
	s_delay_alu instid0(VALU_DEP_2) | instskip(SKIP_2) | instid1(VALU_DEP_2)
	v_add_co_u32 v3, vcc_lo, v3, v8
	s_wait_alu 0xfffd
	v_add_co_ci_u32_e64 v4, null, 0, v4, vcc_lo
	v_add_co_u32 v3, vcc_lo, v3, 0
	s_wait_alu 0xfffd
	s_delay_alu instid0(VALU_DEP_2)
	v_add_co_ci_u32_e64 v4, null, v4, v7, vcc_lo
; %bb.66:
	s_wait_alu 0xfffe
	s_or_b32 exec_lo, exec_lo, s3
	ds_store_b64 v6, v[3:4]
.LBB1274_67:
	s_wait_alu 0xfffe
	s_or_b32 exec_lo, exec_lo, s8
	s_delay_alu instid0(SALU_CYCLE_1)
	s_mov_b32 s4, exec_lo
	v_cmp_gt_u32_e32 vcc_lo, 32, v0
	s_wait_loadcnt_dscnt 0x0
	s_barrier_signal -1
	s_barrier_wait -1
	global_inv scope:SCOPE_SE
                                        ; implicit-def: $vgpr19_vgpr20
	v_cmpx_lt_u32_e32 31, v0
	s_cbranch_execz .LBB1274_69
; %bb.68:
	v_lshl_add_u32 v1, v1, 3, -8
	ds_load_b64 v[19:20], v1
	s_wait_dscnt 0x0
	v_add_co_u32 v5, s3, v5, v19
	s_wait_alu 0xf1ff
	v_add_co_ci_u32_e64 v2, null, v2, v20, s3
.LBB1274_69:
	s_wait_alu 0xfffe
	s_or_b32 exec_lo, exec_lo, s4
	v_sub_co_u32 v1, s3, v34, 1
	s_delay_alu instid0(VALU_DEP_1) | instskip(SKIP_1) | instid1(VALU_DEP_1)
	v_cmp_gt_i32_e64 s4, 0, v1
	s_wait_alu 0xf1ff
	v_cndmask_b32_e64 v1, v1, v34, s4
	s_delay_alu instid0(VALU_DEP_1)
	v_lshlrev_b32_e32 v1, 2, v1
	ds_bpermute_b32 v36, v1, v5
	ds_bpermute_b32 v37, v1, v2
	s_and_saveexec_b32 s4, vcc_lo
	s_cbranch_execz .LBB1274_108
; %bb.70:
	v_mov_b32_e32 v4, 0
	ds_load_b64 v[1:2], v4 offset:88
	s_and_saveexec_b32 s5, s3
	s_cbranch_execz .LBB1274_72
; %bb.71:
	s_add_co_i32 s8, ttmp9, 32
	s_mov_b32 s9, 0
	s_wait_alu 0xfffe
	s_lshl_b64 s[8:9], s[8:9], 4
	s_wait_kmcnt 0x0
	s_wait_alu 0xfffe
	s_add_nc_u64 s[8:9], s[6:7], s[8:9]
	v_mov_b32_e32 v3, 1
	s_wait_alu 0xfffe
	v_dual_mov_b32 v5, s8 :: v_dual_mov_b32 v6, s9
	s_wait_dscnt 0x0
	;;#ASMSTART
	global_store_b128 v[5:6], v[1:4] off scope:SCOPE_DEV	
s_wait_storecnt 0x0
	;;#ASMEND
.LBB1274_72:
	s_wait_alu 0xfffe
	s_or_b32 exec_lo, exec_lo, s5
	v_xad_u32 v21, v34, -1, ttmp9
	s_mov_b32 s8, 0
	s_mov_b32 s5, exec_lo
	s_delay_alu instid0(VALU_DEP_1) | instskip(NEXT) | instid1(VALU_DEP_1)
	v_add_nc_u32_e32 v3, 32, v21
	v_lshlrev_b64_e32 v[3:4], 4, v[3:4]
	s_wait_kmcnt 0x0
	s_delay_alu instid0(VALU_DEP_1) | instskip(SKIP_1) | instid1(VALU_DEP_2)
	v_add_co_u32 v3, vcc_lo, s6, v3
	s_wait_alu 0xfffd
	v_add_co_ci_u32_e64 v4, null, s7, v4, vcc_lo
	;;#ASMSTART
	global_load_b128 v[5:8], v[3:4] off scope:SCOPE_DEV	
s_wait_loadcnt 0x0
	;;#ASMEND
	v_and_b32_e32 v8, 0xff, v7
	s_delay_alu instid0(VALU_DEP_1)
	v_cmpx_eq_u16_e32 0, v8
	s_cbranch_execz .LBB1274_75
.LBB1274_73:                            ; =>This Inner Loop Header: Depth=1
	;;#ASMSTART
	global_load_b128 v[5:8], v[3:4] off scope:SCOPE_DEV	
s_wait_loadcnt 0x0
	;;#ASMEND
	v_and_b32_e32 v8, 0xff, v7
	s_delay_alu instid0(VALU_DEP_1)
	v_cmp_ne_u16_e32 vcc_lo, 0, v8
	s_wait_alu 0xfffe
	s_or_b32 s8, vcc_lo, s8
	s_wait_alu 0xfffe
	s_and_not1_b32 exec_lo, exec_lo, s8
	s_cbranch_execnz .LBB1274_73
; %bb.74:
	s_or_b32 exec_lo, exec_lo, s8
.LBB1274_75:
	s_wait_alu 0xfffe
	s_or_b32 exec_lo, exec_lo, s5
	v_cmp_ne_u32_e32 vcc_lo, 31, v34
	v_and_b32_e32 v4, 0xff, v7
	v_lshlrev_b32_e64 v39, v34, -1
	s_mov_b32 s5, exec_lo
	s_wait_alu 0xfffd
	v_add_co_ci_u32_e64 v3, null, 0, v34, vcc_lo
	v_cmp_eq_u16_e32 vcc_lo, 2, v4
	v_mov_b32_e32 v4, v5
	s_delay_alu instid0(VALU_DEP_3)
	v_lshlrev_b32_e32 v38, 2, v3
	s_wait_alu 0xfffd
	v_and_or_b32 v3, vcc_lo, v39, 0x80000000
	ds_bpermute_b32 v22, v38, v5
	ds_bpermute_b32 v8, v38, v6
	v_ctz_i32_b32_e32 v3, v3
	s_delay_alu instid0(VALU_DEP_1)
	v_cmpx_lt_u32_e64 v34, v3
	s_cbranch_execz .LBB1274_77
; %bb.76:
	s_wait_dscnt 0x1
	v_add_co_u32 v4, vcc_lo, v5, v22
	s_wait_alu 0xfffd
	v_add_co_ci_u32_e64 v6, null, 0, v6, vcc_lo
	s_delay_alu instid0(VALU_DEP_2) | instskip(SKIP_2) | instid1(VALU_DEP_2)
	v_add_co_u32 v5, vcc_lo, 0, v4
	s_wait_dscnt 0x0
	s_wait_alu 0xfffd
	v_add_co_ci_u32_e64 v6, null, v8, v6, vcc_lo
.LBB1274_77:
	s_wait_alu 0xfffe
	s_or_b32 exec_lo, exec_lo, s5
	v_cmp_gt_u32_e32 vcc_lo, 30, v34
	v_add_nc_u32_e32 v41, 2, v34
	s_mov_b32 s5, exec_lo
	s_wait_dscnt 0x0
	s_wait_alu 0xfffd
	v_cndmask_b32_e64 v8, 0, 2, vcc_lo
	s_delay_alu instid0(VALU_DEP_1)
	v_add_lshl_u32 v40, v8, v34, 2
	ds_bpermute_b32 v22, v40, v4
	ds_bpermute_b32 v8, v40, v6
	v_cmpx_le_u32_e64 v41, v3
	s_cbranch_execz .LBB1274_79
; %bb.78:
	s_wait_dscnt 0x1
	v_add_co_u32 v4, vcc_lo, v5, v22
	s_wait_alu 0xfffd
	v_add_co_ci_u32_e64 v6, null, 0, v6, vcc_lo
	s_delay_alu instid0(VALU_DEP_2) | instskip(SKIP_2) | instid1(VALU_DEP_2)
	v_add_co_u32 v5, vcc_lo, 0, v4
	s_wait_dscnt 0x0
	s_wait_alu 0xfffd
	v_add_co_ci_u32_e64 v6, null, v8, v6, vcc_lo
.LBB1274_79:
	s_wait_alu 0xfffe
	s_or_b32 exec_lo, exec_lo, s5
	v_cmp_gt_u32_e32 vcc_lo, 28, v34
	v_add_nc_u32_e32 v43, 4, v34
	s_mov_b32 s5, exec_lo
	s_wait_dscnt 0x0
	s_wait_alu 0xfffd
	v_cndmask_b32_e64 v8, 0, 4, vcc_lo
	s_delay_alu instid0(VALU_DEP_1)
	v_add_lshl_u32 v42, v8, v34, 2
	ds_bpermute_b32 v22, v42, v4
	ds_bpermute_b32 v8, v42, v6
	v_cmpx_le_u32_e64 v43, v3
	;; [unrolled: 25-line block ×3, first 2 shown]
	s_cbranch_execz .LBB1274_83
; %bb.82:
	s_wait_dscnt 0x1
	v_add_co_u32 v4, vcc_lo, v5, v22
	s_wait_alu 0xfffd
	v_add_co_ci_u32_e64 v6, null, 0, v6, vcc_lo
	s_delay_alu instid0(VALU_DEP_2) | instskip(SKIP_2) | instid1(VALU_DEP_2)
	v_add_co_u32 v5, vcc_lo, 0, v4
	s_wait_dscnt 0x0
	s_wait_alu 0xfffd
	v_add_co_ci_u32_e64 v6, null, v8, v6, vcc_lo
.LBB1274_83:
	s_wait_alu 0xfffe
	s_or_b32 exec_lo, exec_lo, s5
	v_lshl_or_b32 v46, v34, 2, 64
	v_add_nc_u32_e32 v47, 16, v34
	s_mov_b32 s5, exec_lo
	s_wait_dscnt 0x0
	ds_bpermute_b32 v8, v46, v4
	ds_bpermute_b32 v4, v46, v6
	v_cmpx_le_u32_e64 v47, v3
	s_cbranch_execz .LBB1274_85
; %bb.84:
	s_wait_dscnt 0x1
	v_add_co_u32 v3, vcc_lo, v5, v8
	s_wait_alu 0xfffd
	v_add_co_ci_u32_e64 v6, null, 0, v6, vcc_lo
	s_delay_alu instid0(VALU_DEP_2) | instskip(SKIP_2) | instid1(VALU_DEP_2)
	v_add_co_u32 v5, vcc_lo, v3, 0
	s_wait_dscnt 0x0
	s_wait_alu 0xfffd
	v_add_co_ci_u32_e64 v6, null, v6, v4, vcc_lo
.LBB1274_85:
	s_wait_alu 0xfffe
	s_or_b32 exec_lo, exec_lo, s5
	v_mov_b32_e32 v22, 0
	s_branch .LBB1274_88
.LBB1274_86:                            ;   in Loop: Header=BB1274_88 Depth=1
	s_wait_alu 0xfffe
	s_or_b32 exec_lo, exec_lo, s5
	v_add_co_u32 v5, vcc_lo, v5, v3
	v_subrev_nc_u32_e32 v21, 32, v21
	s_wait_alu 0xfffd
	v_add_co_ci_u32_e64 v6, null, v6, v4, vcc_lo
	s_mov_b32 s5, 0
.LBB1274_87:                            ;   in Loop: Header=BB1274_88 Depth=1
	s_wait_alu 0xfffe
	s_and_b32 vcc_lo, exec_lo, s5
	s_wait_alu 0xfffe
	s_cbranch_vccnz .LBB1274_104
.LBB1274_88:                            ; =>This Loop Header: Depth=1
                                        ;     Child Loop BB1274_91 Depth 2
	v_and_b32_e32 v3, 0xff, v7
	s_mov_b32 s5, -1
	s_delay_alu instid0(VALU_DEP_1)
	v_cmp_ne_u16_e32 vcc_lo, 2, v3
	s_wait_dscnt 0x0
	v_dual_mov_b32 v3, v5 :: v_dual_mov_b32 v4, v6
                                        ; implicit-def: $vgpr5_vgpr6
	s_cmp_lg_u32 vcc_lo, exec_lo
	s_cbranch_scc1 .LBB1274_87
; %bb.89:                               ;   in Loop: Header=BB1274_88 Depth=1
	v_lshlrev_b64_e32 v[5:6], 4, v[21:22]
	s_mov_b32 s5, exec_lo
	s_delay_alu instid0(VALU_DEP_1) | instskip(SKIP_1) | instid1(VALU_DEP_2)
	v_add_co_u32 v23, vcc_lo, s6, v5
	s_wait_alu 0xfffd
	v_add_co_ci_u32_e64 v24, null, s7, v6, vcc_lo
	;;#ASMSTART
	global_load_b128 v[5:8], v[23:24] off scope:SCOPE_DEV	
s_wait_loadcnt 0x0
	;;#ASMEND
	v_and_b32_e32 v8, 0xff, v7
	s_delay_alu instid0(VALU_DEP_1)
	v_cmpx_eq_u16_e32 0, v8
	s_cbranch_execz .LBB1274_93
; %bb.90:                               ;   in Loop: Header=BB1274_88 Depth=1
	s_mov_b32 s8, 0
.LBB1274_91:                            ;   Parent Loop BB1274_88 Depth=1
                                        ; =>  This Inner Loop Header: Depth=2
	;;#ASMSTART
	global_load_b128 v[5:8], v[23:24] off scope:SCOPE_DEV	
s_wait_loadcnt 0x0
	;;#ASMEND
	v_and_b32_e32 v8, 0xff, v7
	s_delay_alu instid0(VALU_DEP_1)
	v_cmp_ne_u16_e32 vcc_lo, 0, v8
	s_wait_alu 0xfffe
	s_or_b32 s8, vcc_lo, s8
	s_wait_alu 0xfffe
	s_and_not1_b32 exec_lo, exec_lo, s8
	s_cbranch_execnz .LBB1274_91
; %bb.92:                               ;   in Loop: Header=BB1274_88 Depth=1
	s_or_b32 exec_lo, exec_lo, s8
.LBB1274_93:                            ;   in Loop: Header=BB1274_88 Depth=1
	s_wait_alu 0xfffe
	s_or_b32 exec_lo, exec_lo, s5
	v_dual_mov_b32 v23, v5 :: v_dual_and_b32 v8, 0xff, v7
	ds_bpermute_b32 v48, v38, v5
	ds_bpermute_b32 v24, v38, v6
	s_mov_b32 s5, exec_lo
	v_cmp_eq_u16_e32 vcc_lo, 2, v8
	s_wait_alu 0xfffd
	v_and_or_b32 v8, vcc_lo, v39, 0x80000000
	s_delay_alu instid0(VALU_DEP_1) | instskip(NEXT) | instid1(VALU_DEP_1)
	v_ctz_i32_b32_e32 v8, v8
	v_cmpx_lt_u32_e64 v34, v8
	s_cbranch_execz .LBB1274_95
; %bb.94:                               ;   in Loop: Header=BB1274_88 Depth=1
	s_wait_dscnt 0x1
	v_add_co_u32 v23, vcc_lo, v5, v48
	s_wait_alu 0xfffd
	v_add_co_ci_u32_e64 v6, null, 0, v6, vcc_lo
	s_delay_alu instid0(VALU_DEP_2) | instskip(SKIP_2) | instid1(VALU_DEP_2)
	v_add_co_u32 v5, vcc_lo, 0, v23
	s_wait_dscnt 0x0
	s_wait_alu 0xfffd
	v_add_co_ci_u32_e64 v6, null, v24, v6, vcc_lo
.LBB1274_95:                            ;   in Loop: Header=BB1274_88 Depth=1
	s_wait_alu 0xfffe
	s_or_b32 exec_lo, exec_lo, s5
	s_wait_dscnt 0x1
	ds_bpermute_b32 v48, v40, v23
	s_wait_dscnt 0x1
	ds_bpermute_b32 v24, v40, v6
	s_mov_b32 s5, exec_lo
	v_cmpx_le_u32_e64 v41, v8
	s_cbranch_execz .LBB1274_97
; %bb.96:                               ;   in Loop: Header=BB1274_88 Depth=1
	s_wait_dscnt 0x1
	v_add_co_u32 v23, vcc_lo, v5, v48
	s_wait_alu 0xfffd
	v_add_co_ci_u32_e64 v6, null, 0, v6, vcc_lo
	s_delay_alu instid0(VALU_DEP_2) | instskip(SKIP_2) | instid1(VALU_DEP_2)
	v_add_co_u32 v5, vcc_lo, 0, v23
	s_wait_dscnt 0x0
	s_wait_alu 0xfffd
	v_add_co_ci_u32_e64 v6, null, v24, v6, vcc_lo
.LBB1274_97:                            ;   in Loop: Header=BB1274_88 Depth=1
	s_wait_alu 0xfffe
	s_or_b32 exec_lo, exec_lo, s5
	s_wait_dscnt 0x1
	ds_bpermute_b32 v48, v42, v23
	s_wait_dscnt 0x1
	ds_bpermute_b32 v24, v42, v6
	s_mov_b32 s5, exec_lo
	v_cmpx_le_u32_e64 v43, v8
	;; [unrolled: 20-line block ×3, first 2 shown]
	s_cbranch_execz .LBB1274_101
; %bb.100:                              ;   in Loop: Header=BB1274_88 Depth=1
	s_wait_dscnt 0x1
	v_add_co_u32 v23, vcc_lo, v5, v48
	s_wait_alu 0xfffd
	v_add_co_ci_u32_e64 v6, null, 0, v6, vcc_lo
	s_delay_alu instid0(VALU_DEP_2) | instskip(SKIP_2) | instid1(VALU_DEP_2)
	v_add_co_u32 v5, vcc_lo, 0, v23
	s_wait_dscnt 0x0
	s_wait_alu 0xfffd
	v_add_co_ci_u32_e64 v6, null, v24, v6, vcc_lo
.LBB1274_101:                           ;   in Loop: Header=BB1274_88 Depth=1
	s_wait_alu 0xfffe
	s_or_b32 exec_lo, exec_lo, s5
	s_wait_dscnt 0x0
	ds_bpermute_b32 v24, v46, v23
	ds_bpermute_b32 v23, v46, v6
	s_mov_b32 s5, exec_lo
	v_cmpx_le_u32_e64 v47, v8
	s_cbranch_execz .LBB1274_86
; %bb.102:                              ;   in Loop: Header=BB1274_88 Depth=1
	s_wait_dscnt 0x1
	v_add_co_u32 v5, vcc_lo, v5, v24
	s_wait_alu 0xfffd
	v_add_co_ci_u32_e64 v6, null, 0, v6, vcc_lo
	s_delay_alu instid0(VALU_DEP_2) | instskip(SKIP_2) | instid1(VALU_DEP_2)
	v_add_co_u32 v5, vcc_lo, v5, 0
	s_wait_dscnt 0x0
	s_wait_alu 0xfffd
	v_add_co_ci_u32_e64 v6, null, v6, v23, vcc_lo
	s_branch .LBB1274_86
.LBB1274_103:
                                        ; implicit-def: $vgpr4_vgpr5
                                        ; implicit-def: $vgpr39_vgpr40
	s_wait_alu 0xfffe
	s_and_b32 vcc_lo, exec_lo, s3
	s_wait_alu 0xfffe
	s_cbranch_vccnz .LBB1274_109
	s_branch .LBB1274_136
.LBB1274_104:
	s_and_saveexec_b32 s5, s3
	s_cbranch_execz .LBB1274_106
; %bb.105:
	s_add_co_i32 s8, ttmp9, 32
	s_mov_b32 s9, 0
	v_add_co_u32 v5, vcc_lo, v3, v1
	s_wait_alu 0xfffe
	s_lshl_b64 s[8:9], s[8:9], 4
	v_dual_mov_b32 v7, 2 :: v_dual_mov_b32 v8, 0
	s_wait_alu 0xfffe
	s_add_nc_u64 s[8:9], s[6:7], s[8:9]
	s_wait_alu 0xfffd
	v_add_co_ci_u32_e64 v6, null, v4, v2, vcc_lo
	s_wait_alu 0xfffe
	v_dual_mov_b32 v22, s9 :: v_dual_mov_b32 v21, s8
	;;#ASMSTART
	global_store_b128 v[21:22], v[5:8] off scope:SCOPE_DEV	
s_wait_storecnt 0x0
	;;#ASMEND
	ds_store_b128 v8, v[1:4] offset:13824
.LBB1274_106:
	s_wait_alu 0xfffe
	s_or_b32 exec_lo, exec_lo, s5
	v_cmp_eq_u32_e32 vcc_lo, 0, v0
	s_and_b32 exec_lo, exec_lo, vcc_lo
; %bb.107:
	v_mov_b32_e32 v1, 0
	ds_store_b64 v1, v[3:4] offset:88
.LBB1274_108:
	s_wait_alu 0xfffe
	s_or_b32 exec_lo, exec_lo, s4
	s_wait_dscnt 0x0
	v_cndmask_b32_e64 v8, v37, v20, s3
	v_cmp_ne_u32_e32 vcc_lo, 0, v0
	v_mov_b32_e32 v1, 0
	s_wait_loadcnt 0x0
	s_barrier_signal -1
	s_barrier_wait -1
	global_inv scope:SCOPE_SE
	s_wait_alu 0xfffd
	v_cndmask_b32_e32 v8, 0, v8, vcc_lo
	ds_load_b64 v[6:7], v1 offset:88
	s_wait_loadcnt_dscnt 0x0
	s_barrier_signal -1
	s_barrier_wait -1
	global_inv scope:SCOPE_SE
	ds_load_b128 v[2:5], v1 offset:13824
	v_cndmask_b32_e64 v1, v36, v19, s3
	s_delay_alu instid0(VALU_DEP_1) | instskip(NEXT) | instid1(VALU_DEP_1)
	v_cndmask_b32_e32 v1, 0, v1, vcc_lo
	v_add_co_u32 v39, vcc_lo, v6, v1
	s_wait_alu 0xfffd
	v_add_co_ci_u32_e64 v40, null, v7, v8, vcc_lo
	s_branch .LBB1274_136
.LBB1274_109:
	s_wait_dscnt 0x0
	v_dual_mov_b32 v2, 0 :: v_dual_mov_b32 v3, v17
	v_mov_b32_dpp v4, v17 row_shr:1 row_mask:0xf bank_mask:0xf
	s_delay_alu instid0(VALU_DEP_2)
	v_mov_b32_dpp v1, v2 row_shr:1 row_mask:0xf bank_mask:0xf
	s_and_saveexec_b32 s3, s2
; %bb.110:
	s_delay_alu instid0(VALU_DEP_2) | instskip(SKIP_2) | instid1(VALU_DEP_2)
	v_add_co_u32 v3, vcc_lo, v17, v4
	s_wait_alu 0xfffd
	v_add_co_ci_u32_e64 v2, null, 0, v18, vcc_lo
	v_add_co_u32 v17, vcc_lo, 0, v3
	s_wait_alu 0xfffd
	s_delay_alu instid0(VALU_DEP_2) | instskip(NEXT) | instid1(VALU_DEP_1)
	v_add_co_ci_u32_e64 v18, null, v1, v2, vcc_lo
	v_mov_b32_e32 v2, v18
; %bb.111:
	s_wait_alu 0xfffe
	s_or_b32 exec_lo, exec_lo, s3
	v_mov_b32_dpp v1, v3 row_shr:2 row_mask:0xf bank_mask:0xf
	s_delay_alu instid0(VALU_DEP_2)
	v_mov_b32_dpp v4, v2 row_shr:2 row_mask:0xf bank_mask:0xf
	v_cmp_lt_u32_e32 vcc_lo, 1, v35
	s_and_saveexec_b32 s4, vcc_lo
; %bb.112:
	s_delay_alu instid0(VALU_DEP_3) | instskip(SKIP_2) | instid1(VALU_DEP_2)
	v_add_co_u32 v3, s3, v17, v1
	s_wait_alu 0xf1ff
	v_add_co_ci_u32_e64 v2, null, 0, v18, s3
	v_add_co_u32 v1, s3, 0, v3
	s_wait_alu 0xf1ff
	s_delay_alu instid0(VALU_DEP_2) | instskip(NEXT) | instid1(VALU_DEP_1)
	v_add_co_ci_u32_e64 v2, null, v4, v2, s3
	v_dual_mov_b32 v18, v2 :: v_dual_mov_b32 v17, v1
; %bb.113:
	s_wait_alu 0xfffe
	s_or_b32 exec_lo, exec_lo, s4
	v_mov_b32_dpp v1, v3 row_shr:4 row_mask:0xf bank_mask:0xf
	v_mov_b32_dpp v4, v2 row_shr:4 row_mask:0xf bank_mask:0xf
	v_cmp_lt_u32_e64 s3, 3, v35
	s_and_saveexec_b32 s5, s3
; %bb.114:
	v_add_co_u32 v3, s4, v17, v1
	s_wait_alu 0xf1ff
	v_add_co_ci_u32_e64 v2, null, 0, v18, s4
	s_delay_alu instid0(VALU_DEP_2) | instskip(SKIP_1) | instid1(VALU_DEP_2)
	v_add_co_u32 v1, s4, 0, v3
	s_wait_alu 0xf1ff
	v_add_co_ci_u32_e64 v2, null, v4, v2, s4
	s_delay_alu instid0(VALU_DEP_1)
	v_dual_mov_b32 v18, v2 :: v_dual_mov_b32 v17, v1
; %bb.115:
	s_wait_alu 0xfffe
	s_or_b32 exec_lo, exec_lo, s5
	v_mov_b32_dpp v4, v3 row_shr:8 row_mask:0xf bank_mask:0xf
	v_mov_b32_dpp v1, v2 row_shr:8 row_mask:0xf bank_mask:0xf
	v_cmp_lt_u32_e64 s4, 7, v35
	s_and_saveexec_b32 s8, s4
; %bb.116:
	v_add_co_u32 v3, s5, v17, v4
	s_wait_alu 0xf1ff
	v_add_co_ci_u32_e64 v2, null, 0, v18, s5
	s_delay_alu instid0(VALU_DEP_2) | instskip(SKIP_1) | instid1(VALU_DEP_2)
	v_add_co_u32 v17, s5, 0, v3
	s_wait_alu 0xf1ff
	v_add_co_ci_u32_e64 v18, null, v1, v2, s5
	s_delay_alu instid0(VALU_DEP_1)
	v_mov_b32_e32 v2, v18
; %bb.117:
	s_wait_alu 0xfffe
	s_or_b32 exec_lo, exec_lo, s8
	ds_swizzle_b32 v3, v3 offset:swizzle(BROADCAST,32,15)
	ds_swizzle_b32 v1, v2 offset:swizzle(BROADCAST,32,15)
	v_and_b32_e32 v2, 16, v34
	s_mov_b32 s8, exec_lo
	s_delay_alu instid0(VALU_DEP_1)
	v_cmpx_ne_u32_e32 0, v2
	s_cbranch_execz .LBB1274_119
; %bb.118:
	s_wait_dscnt 0x1
	v_add_co_u32 v2, s5, v17, v3
	s_wait_alu 0xf1ff
	v_add_co_ci_u32_e64 v3, null, 0, v18, s5
	s_delay_alu instid0(VALU_DEP_2) | instskip(SKIP_2) | instid1(VALU_DEP_2)
	v_add_co_u32 v17, s5, v2, 0
	s_wait_dscnt 0x0
	s_wait_alu 0xf1ff
	v_add_co_ci_u32_e64 v18, null, v3, v1, s5
.LBB1274_119:
	s_wait_alu 0xfffe
	s_or_b32 exec_lo, exec_lo, s8
	s_wait_dscnt 0x0
	v_and_b32_e32 v1, 0x1e0, v0
	v_lshrrev_b32_e32 v3, 5, v0
	s_mov_b32 s8, exec_lo
	s_delay_alu instid0(VALU_DEP_2) | instskip(NEXT) | instid1(VALU_DEP_1)
	v_min_u32_e32 v1, 0x160, v1
	v_or_b32_e32 v1, 31, v1
	s_delay_alu instid0(VALU_DEP_1)
	v_cmpx_eq_u32_e64 v0, v1
; %bb.120:
	v_lshlrev_b32_e32 v1, 3, v3
	ds_store_b64 v1, v[17:18]
; %bb.121:
	s_wait_alu 0xfffe
	s_or_b32 exec_lo, exec_lo, s8
	s_delay_alu instid0(SALU_CYCLE_1)
	s_mov_b32 s8, exec_lo
	s_wait_loadcnt_dscnt 0x0
	s_barrier_signal -1
	s_barrier_wait -1
	global_inv scope:SCOPE_SE
	v_cmpx_gt_u32_e32 12, v0
	s_cbranch_execz .LBB1274_131
; %bb.122:
	v_lshlrev_b32_e32 v4, 3, v0
	ds_load_b64 v[1:2], v4
	s_wait_dscnt 0x0
	v_mov_b32_dpp v7, v1 row_shr:1 row_mask:0xf bank_mask:0xf
	v_mov_b32_dpp v6, v2 row_shr:1 row_mask:0xf bank_mask:0xf
	v_mov_b32_e32 v5, v1
	s_and_saveexec_b32 s5, s2
; %bb.123:
	s_delay_alu instid0(VALU_DEP_3) | instskip(SKIP_2) | instid1(VALU_DEP_2)
	v_add_co_u32 v5, s2, v1, v7
	s_wait_alu 0xf1ff
	v_add_co_ci_u32_e64 v2, null, 0, v2, s2
	v_add_co_u32 v1, s2, 0, v5
	s_wait_alu 0xf1ff
	s_delay_alu instid0(VALU_DEP_2)
	v_add_co_ci_u32_e64 v2, null, v6, v2, s2
; %bb.124:
	s_wait_alu 0xfffe
	s_or_b32 exec_lo, exec_lo, s5
	v_mov_b32_dpp v7, v5 row_shr:2 row_mask:0xf bank_mask:0xf
	s_delay_alu instid0(VALU_DEP_2)
	v_mov_b32_dpp v6, v2 row_shr:2 row_mask:0xf bank_mask:0xf
	s_and_saveexec_b32 s2, vcc_lo
; %bb.125:
	s_delay_alu instid0(VALU_DEP_2) | instskip(SKIP_2) | instid1(VALU_DEP_2)
	v_add_co_u32 v5, vcc_lo, v1, v7
	s_wait_alu 0xfffd
	v_add_co_ci_u32_e64 v2, null, 0, v2, vcc_lo
	v_add_co_u32 v1, vcc_lo, 0, v5
	s_wait_alu 0xfffd
	s_delay_alu instid0(VALU_DEP_2)
	v_add_co_ci_u32_e64 v2, null, v6, v2, vcc_lo
; %bb.126:
	s_wait_alu 0xfffe
	s_or_b32 exec_lo, exec_lo, s2
	v_mov_b32_dpp v7, v5 row_shr:4 row_mask:0xf bank_mask:0xf
	s_delay_alu instid0(VALU_DEP_2)
	v_mov_b32_dpp v6, v2 row_shr:4 row_mask:0xf bank_mask:0xf
	s_and_saveexec_b32 s2, s3
; %bb.127:
	s_delay_alu instid0(VALU_DEP_2) | instskip(SKIP_2) | instid1(VALU_DEP_2)
	v_add_co_u32 v5, vcc_lo, v1, v7
	s_wait_alu 0xfffd
	v_add_co_ci_u32_e64 v2, null, 0, v2, vcc_lo
	v_add_co_u32 v1, vcc_lo, 0, v5
	s_wait_alu 0xfffd
	s_delay_alu instid0(VALU_DEP_2)
	v_add_co_ci_u32_e64 v2, null, v6, v2, vcc_lo
; %bb.128:
	s_wait_alu 0xfffe
	s_or_b32 exec_lo, exec_lo, s2
	v_mov_b32_dpp v6, v5 row_shr:8 row_mask:0xf bank_mask:0xf
	s_delay_alu instid0(VALU_DEP_2)
	v_mov_b32_dpp v5, v2 row_shr:8 row_mask:0xf bank_mask:0xf
	s_and_saveexec_b32 s2, s4
; %bb.129:
	s_delay_alu instid0(VALU_DEP_2) | instskip(SKIP_2) | instid1(VALU_DEP_2)
	v_add_co_u32 v1, vcc_lo, v1, v6
	s_wait_alu 0xfffd
	v_add_co_ci_u32_e64 v2, null, 0, v2, vcc_lo
	v_add_co_u32 v1, vcc_lo, v1, 0
	s_wait_alu 0xfffd
	s_delay_alu instid0(VALU_DEP_2)
	v_add_co_ci_u32_e64 v2, null, v2, v5, vcc_lo
; %bb.130:
	s_wait_alu 0xfffe
	s_or_b32 exec_lo, exec_lo, s2
	ds_store_b64 v4, v[1:2]
.LBB1274_131:
	s_wait_alu 0xfffe
	s_or_b32 exec_lo, exec_lo, s8
	v_mov_b32_e32 v6, 0
	v_mov_b32_e32 v7, 0
	s_mov_b32 s2, exec_lo
	s_wait_loadcnt_dscnt 0x0
	s_barrier_signal -1
	s_barrier_wait -1
	global_inv scope:SCOPE_SE
	v_cmpx_lt_u32_e32 31, v0
; %bb.132:
	v_lshl_add_u32 v1, v3, 3, -8
	ds_load_b64 v[6:7], v1
; %bb.133:
	s_wait_alu 0xfffe
	s_or_b32 exec_lo, exec_lo, s2
	v_sub_co_u32 v1, vcc_lo, v34, 1
	v_mov_b32_e32 v5, 0
	s_delay_alu instid0(VALU_DEP_2) | instskip(SKIP_1) | instid1(VALU_DEP_1)
	v_cmp_gt_i32_e64 s2, 0, v1
	s_wait_alu 0xf1ff
	v_cndmask_b32_e64 v1, v1, v34, s2
	s_delay_alu instid0(VALU_DEP_1)
	v_lshlrev_b32_e32 v2, 2, v1
	s_wait_dscnt 0x0
	v_add_co_u32 v1, s2, v6, v17
	s_wait_alu 0xf1ff
	v_add_co_ci_u32_e64 v3, null, v7, v18, s2
	v_cmp_eq_u32_e64 s2, 0, v0
	ds_bpermute_b32 v1, v2, v1
	ds_bpermute_b32 v8, v2, v3
	ds_load_b64 v[2:3], v5 offset:88
	s_and_saveexec_b32 s3, s2
	s_cbranch_execz .LBB1274_135
; %bb.134:
	s_wait_kmcnt 0x0
	s_add_nc_u64 s[4:5], s[6:7], 0x200
	v_mov_b32_e32 v4, 2
	s_wait_alu 0xfffe
	v_dual_mov_b32 v18, s5 :: v_dual_mov_b32 v17, s4
	s_wait_dscnt 0x0
	;;#ASMSTART
	global_store_b128 v[17:18], v[2:5] off scope:SCOPE_DEV	
s_wait_storecnt 0x0
	;;#ASMEND
.LBB1274_135:
	s_wait_alu 0xfffe
	s_or_b32 exec_lo, exec_lo, s3
	s_wait_dscnt 0x1
	s_wait_alu 0xfffd
	v_dual_cndmask_b32 v7, v8, v7 :: v_dual_mov_b32 v4, 0
	v_cndmask_b32_e32 v1, v1, v6, vcc_lo
	v_mov_b32_e32 v5, 0
	s_wait_loadcnt_dscnt 0x0
	s_delay_alu instid0(VALU_DEP_3)
	v_cndmask_b32_e64 v40, v7, 0, s2
	s_barrier_signal -1
	v_cndmask_b32_e64 v39, v1, 0, s2
	s_barrier_wait -1
	global_inv scope:SCOPE_SE
.LBB1274_136:
	s_delay_alu instid0(VALU_DEP_2) | instskip(SKIP_1) | instid1(VALU_DEP_2)
	v_add_co_u32 v49, vcc_lo, v39, v26
	s_wait_alu 0xfffd
	v_add_co_ci_u32_e64 v50, null, 0, v40, vcc_lo
	s_load_b64 s[2:3], s[0:1], 0x28
	v_add_co_u32 v47, vcc_lo, v49, v25
	s_wait_alu 0xfffd
	v_add_co_ci_u32_e64 v48, null, 0, v50, vcc_lo
	v_lshrrev_b32_e32 v68, 16, v59
	s_delay_alu instid0(VALU_DEP_3) | instskip(SKIP_1) | instid1(VALU_DEP_3)
	v_add_co_u32 v45, vcc_lo, v47, v33
	s_wait_alu 0xfffd
	v_add_co_ci_u32_e64 v46, null, 0, v48, vcc_lo
	v_lshrrev_b32_e32 v69, 8, v59
	s_delay_alu instid0(VALU_DEP_3) | instskip(SKIP_1) | instid1(VALU_DEP_3)
	;; [unrolled: 5-line block ×8, first 2 shown]
	v_add_co_u32 v29, vcc_lo, v31, v28
	s_wait_alu 0xfffd
	v_add_co_ci_u32_e64 v30, null, 0, v32, vcc_lo
	s_mov_b32 s1, -1
	v_add_co_u32 v27, vcc_lo, v29, v27
	s_wait_alu 0xfffd
	v_add_co_ci_u32_e64 v28, null, 0, v30, vcc_lo
	s_delay_alu instid0(VALU_DEP_2) | instskip(SKIP_1) | instid1(VALU_DEP_2)
	v_add_co_u32 v25, vcc_lo, v27, v60
	s_wait_alu 0xfffd
	v_add_co_ci_u32_e64 v26, null, 0, v28, vcc_lo
	s_delay_alu instid0(VALU_DEP_2) | instskip(SKIP_1) | instid1(VALU_DEP_2)
	;; [unrolled: 4-line block ×3, first 2 shown]
	v_add_co_u32 v19, vcc_lo, v23, v64
	s_wait_alu 0xfffd
	v_add_co_ci_u32_e64 v20, null, 0, v24, vcc_lo
	s_wait_dscnt 0x0
	v_cmp_gt_u64_e32 vcc_lo, 0x181, v[2:3]
	v_add_co_u32 v21, s0, v19, v63
	s_wait_alu 0xf1ff
	v_add_co_ci_u32_e64 v22, null, 0, v20, s0
	v_and_b32_e32 v63, 1, v51
	s_delay_alu instid0(VALU_DEP_3) | instskip(SKIP_1) | instid1(VALU_DEP_3)
	v_add_co_u32 v17, s0, v21, v58
	s_wait_alu 0xf1ff
	v_add_co_ci_u32_e64 v18, null, 0, v22, s0
	s_delay_alu instid0(VALU_DEP_2) | instskip(SKIP_1) | instid1(VALU_DEP_2)
	v_add_co_u32 v6, s0, v17, v52
	s_wait_alu 0xf1ff
	v_add_co_ci_u32_e64 v7, null, 0, v18, s0
	v_cmp_eq_u32_e64 s0, 1, v63
	s_cbranch_vccnz .LBB1274_140
; %bb.137:
	s_wait_alu 0xfffe
	s_and_b32 vcc_lo, exec_lo, s1
	s_wait_alu 0xfffe
	s_cbranch_vccnz .LBB1274_177
.LBB1274_138:
	v_cmp_eq_u32_e32 vcc_lo, 0, v0
	s_and_b32 s0, vcc_lo, s19
	s_wait_alu 0xfffe
	s_and_saveexec_b32 s1, s0
	s_cbranch_execnz .LBB1274_216
.LBB1274_139:
	s_endpgm
.LBB1274_140:
	v_add_co_u32 v51, vcc_lo, v4, v2
	s_wait_alu 0xfffd
	v_add_co_ci_u32_e64 v52, null, v5, v3, vcc_lo
	s_wait_kmcnt 0x0
	s_lshl_b64 s[4:5], s[22:23], 1
	s_wait_alu 0xfffe
	s_add_nc_u64 s[4:5], s[2:3], s[4:5]
	v_cmp_lt_u64_e32 vcc_lo, v[39:40], v[51:52]
	s_or_b32 s1, s24, vcc_lo
	s_wait_alu 0xfffe
	s_and_b32 s1, s1, s0
	s_wait_alu 0xfffe
	s_and_saveexec_b32 s0, s1
	s_cbranch_execz .LBB1274_142
; %bb.141:
	v_lshlrev_b64_e32 v[64:65], 1, v[39:40]
	s_delay_alu instid0(VALU_DEP_1) | instskip(SKIP_1) | instid1(VALU_DEP_2)
	v_add_co_u32 v64, vcc_lo, s4, v64
	s_wait_alu 0xfffd
	v_add_co_ci_u32_e64 v65, null, s5, v65, vcc_lo
	global_store_b16 v[64:65], v54, off
.LBB1274_142:
	s_wait_alu 0xfffe
	s_or_b32 exec_lo, exec_lo, s0
	v_and_b32_e32 v40, 1, v71
	v_cmp_lt_u64_e32 vcc_lo, v[49:50], v[51:52]
	s_delay_alu instid0(VALU_DEP_2)
	v_cmp_eq_u32_e64 s0, 1, v40
	s_or_b32 s1, s24, vcc_lo
	s_wait_alu 0xfffe
	s_and_b32 s1, s1, s0
	s_wait_alu 0xfffe
	s_and_saveexec_b32 s0, s1
	s_cbranch_execz .LBB1274_144
; %bb.143:
	v_lshlrev_b64_e32 v[64:65], 1, v[49:50]
	s_delay_alu instid0(VALU_DEP_1) | instskip(SKIP_1) | instid1(VALU_DEP_2)
	v_add_co_u32 v64, vcc_lo, s4, v64
	s_wait_alu 0xfffd
	v_add_co_ci_u32_e64 v65, null, s5, v65, vcc_lo
	global_store_d16_hi_b16 v[64:65], v54, off
.LBB1274_144:
	s_wait_alu 0xfffe
	s_or_b32 exec_lo, exec_lo, s0
	v_and_b32_e32 v40, 1, v70
	v_cmp_lt_u64_e32 vcc_lo, v[47:48], v[51:52]
	s_delay_alu instid0(VALU_DEP_2)
	v_cmp_eq_u32_e64 s0, 1, v40
	s_or_b32 s1, s24, vcc_lo
	s_wait_alu 0xfffe
	s_and_b32 s1, s1, s0
	s_wait_alu 0xfffe
	s_and_saveexec_b32 s0, s1
	s_cbranch_execz .LBB1274_146
; %bb.145:
	v_lshlrev_b64_e32 v[64:65], 1, v[47:48]
	s_delay_alu instid0(VALU_DEP_1) | instskip(SKIP_1) | instid1(VALU_DEP_2)
	v_add_co_u32 v64, vcc_lo, s4, v64
	s_wait_alu 0xfffd
	v_add_co_ci_u32_e64 v65, null, s5, v65, vcc_lo
	global_store_b16 v[64:65], v15, off
.LBB1274_146:
	s_wait_alu 0xfffe
	s_or_b32 exec_lo, exec_lo, s0
	v_and_b32_e32 v40, 1, v62
	v_cmp_lt_u64_e32 vcc_lo, v[45:46], v[51:52]
	s_delay_alu instid0(VALU_DEP_2)
	v_cmp_eq_u32_e64 s0, 1, v40
	s_or_b32 s1, s24, vcc_lo
	s_wait_alu 0xfffe
	s_and_b32 s1, s1, s0
	s_wait_alu 0xfffe
	s_and_saveexec_b32 s0, s1
	s_cbranch_execz .LBB1274_148
; %bb.147:
	v_lshlrev_b64_e32 v[64:65], 1, v[45:46]
	s_delay_alu instid0(VALU_DEP_1) | instskip(SKIP_1) | instid1(VALU_DEP_2)
	v_add_co_u32 v64, vcc_lo, s4, v64
	s_wait_alu 0xfffd
	v_add_co_ci_u32_e64 v65, null, s5, v65, vcc_lo
	global_store_d16_hi_b16 v[64:65], v15, off
.LBB1274_148:
	s_wait_alu 0xfffe
	s_or_b32 exec_lo, exec_lo, s0
	v_and_b32_e32 v40, 1, v59
	v_cmp_lt_u64_e32 vcc_lo, v[43:44], v[51:52]
	s_delay_alu instid0(VALU_DEP_2)
	v_cmp_eq_u32_e64 s0, 1, v40
	;; [unrolled: 40-line block ×7, first 2 shown]
	s_or_b32 s1, s24, vcc_lo
	s_wait_alu 0xfffe
	s_and_b32 s1, s1, s0
	s_wait_alu 0xfffe
	s_and_saveexec_b32 s0, s1
	s_cbranch_execz .LBB1274_170
; %bb.169:
	v_lshlrev_b64_e32 v[64:65], 1, v[19:20]
	s_delay_alu instid0(VALU_DEP_1) | instskip(SKIP_1) | instid1(VALU_DEP_2)
	v_add_co_u32 v64, vcc_lo, s4, v64
	s_wait_alu 0xfffd
	v_add_co_ci_u32_e64 v65, null, s5, v65, vcc_lo
	global_store_b16 v[64:65], v9, off
.LBB1274_170:
	s_wait_alu 0xfffe
	s_or_b32 exec_lo, exec_lo, s0
	v_and_b32_e32 v20, 1, v58
	v_cmp_lt_u64_e32 vcc_lo, v[21:22], v[51:52]
	s_delay_alu instid0(VALU_DEP_2)
	v_cmp_eq_u32_e64 s0, 1, v20
	s_or_b32 s1, s24, vcc_lo
	s_wait_alu 0xfffe
	s_and_b32 s1, s1, s0
	s_wait_alu 0xfffe
	s_and_saveexec_b32 s0, s1
	s_cbranch_execz .LBB1274_172
; %bb.171:
	v_lshlrev_b64_e32 v[64:65], 1, v[21:22]
	s_delay_alu instid0(VALU_DEP_1) | instskip(SKIP_1) | instid1(VALU_DEP_2)
	v_add_co_u32 v64, vcc_lo, s4, v64
	s_wait_alu 0xfffd
	v_add_co_ci_u32_e64 v65, null, s5, v65, vcc_lo
	global_store_b16 v[64:65], v53, off
.LBB1274_172:
	s_wait_alu 0xfffe
	s_or_b32 exec_lo, exec_lo, s0
	v_and_b32_e32 v20, 1, v55
	v_cmp_lt_u64_e32 vcc_lo, v[17:18], v[51:52]
	s_delay_alu instid0(VALU_DEP_2)
	v_cmp_eq_u32_e64 s0, 1, v20
	s_or_b32 s1, s24, vcc_lo
	s_wait_alu 0xfffe
	s_and_b32 s1, s1, s0
	s_wait_alu 0xfffe
	s_and_saveexec_b32 s0, s1
	s_cbranch_execz .LBB1274_174
; %bb.173:
	v_lshlrev_b64_e32 v[64:65], 1, v[17:18]
	s_delay_alu instid0(VALU_DEP_1) | instskip(SKIP_1) | instid1(VALU_DEP_2)
	v_add_co_u32 v64, vcc_lo, s4, v64
	s_wait_alu 0xfffd
	v_add_co_ci_u32_e64 v65, null, s5, v65, vcc_lo
	global_store_d16_hi_b16 v[64:65], v53, off
.LBB1274_174:
	s_wait_alu 0xfffe
	s_or_b32 exec_lo, exec_lo, s0
	v_cmp_lt_u64_e32 vcc_lo, v[6:7], v[51:52]
	s_or_b32 s0, s24, vcc_lo
	s_wait_alu 0xfffe
	s_and_b32 s1, s0, s25
	s_wait_alu 0xfffe
	s_and_saveexec_b32 s0, s1
	s_cbranch_execz .LBB1274_176
; %bb.175:
	v_lshlrev_b64_e32 v[50:51], 1, v[6:7]
	s_delay_alu instid0(VALU_DEP_1) | instskip(SKIP_1) | instid1(VALU_DEP_2)
	v_add_co_u32 v50, vcc_lo, s4, v50
	s_wait_alu 0xfffd
	v_add_co_ci_u32_e64 v51, null, s5, v51, vcc_lo
	global_store_b16 v[50:51], v10, off
.LBB1274_176:
	s_wait_alu 0xfffe
	s_or_b32 exec_lo, exec_lo, s0
	s_branch .LBB1274_138
.LBB1274_177:
	s_mov_b32 s0, exec_lo
	v_cmpx_eq_u32_e32 1, v63
; %bb.178:
	v_sub_nc_u32_e32 v7, v39, v4
	s_delay_alu instid0(VALU_DEP_1)
	v_lshlrev_b32_e32 v7, 1, v7
	ds_store_b16 v7, v54
; %bb.179:
	s_wait_alu 0xfffe
	s_or_b32 exec_lo, exec_lo, s0
	v_and_b32_e32 v7, 1, v71
	s_mov_b32 s0, exec_lo
	s_delay_alu instid0(VALU_DEP_1)
	v_cmpx_eq_u32_e32 1, v7
; %bb.180:
	v_sub_nc_u32_e32 v7, v49, v4
	s_delay_alu instid0(VALU_DEP_1)
	v_lshlrev_b32_e32 v7, 1, v7
	ds_store_b16_d16_hi v7, v54
; %bb.181:
	s_wait_alu 0xfffe
	s_or_b32 exec_lo, exec_lo, s0
	v_and_b32_e32 v7, 1, v70
	s_mov_b32 s0, exec_lo
	s_delay_alu instid0(VALU_DEP_1)
	v_cmpx_eq_u32_e32 1, v7
; %bb.182:
	v_sub_nc_u32_e32 v7, v47, v4
	s_delay_alu instid0(VALU_DEP_1)
	v_lshlrev_b32_e32 v7, 1, v7
	ds_store_b16 v7, v15
; %bb.183:
	s_wait_alu 0xfffe
	s_or_b32 exec_lo, exec_lo, s0
	v_and_b32_e32 v7, 1, v62
	s_mov_b32 s0, exec_lo
	s_delay_alu instid0(VALU_DEP_1)
	v_cmpx_eq_u32_e32 1, v7
; %bb.184:
	v_sub_nc_u32_e32 v7, v45, v4
	s_delay_alu instid0(VALU_DEP_1)
	v_lshlrev_b32_e32 v7, 1, v7
	ds_store_b16_d16_hi v7, v15
; %bb.185:
	s_wait_alu 0xfffe
	s_or_b32 exec_lo, exec_lo, s0
	v_and_b32_e32 v7, 1, v59
	s_mov_b32 s0, exec_lo
	s_delay_alu instid0(VALU_DEP_1)
	;; [unrolled: 24-line block ×7, first 2 shown]
	v_cmpx_eq_u32_e32 1, v1
; %bb.206:
	v_sub_nc_u32_e32 v1, v19, v4
	s_delay_alu instid0(VALU_DEP_1)
	v_lshlrev_b32_e32 v1, 1, v1
	ds_store_b16 v1, v9
; %bb.207:
	s_wait_alu 0xfffe
	s_or_b32 exec_lo, exec_lo, s0
	v_and_b32_e32 v1, 1, v58
	s_mov_b32 s0, exec_lo
	s_delay_alu instid0(VALU_DEP_1)
	v_cmpx_eq_u32_e32 1, v1
; %bb.208:
	v_sub_nc_u32_e32 v1, v21, v4
	s_delay_alu instid0(VALU_DEP_1)
	v_lshlrev_b32_e32 v1, 1, v1
	ds_store_b16 v1, v53
; %bb.209:
	s_wait_alu 0xfffe
	s_or_b32 exec_lo, exec_lo, s0
	v_and_b32_e32 v1, 1, v55
	s_mov_b32 s0, exec_lo
	s_delay_alu instid0(VALU_DEP_1)
	v_cmpx_eq_u32_e32 1, v1
; %bb.210:
	v_sub_nc_u32_e32 v1, v17, v4
	s_delay_alu instid0(VALU_DEP_1)
	v_lshlrev_b32_e32 v1, 1, v1
	ds_store_b16_d16_hi v1, v53
; %bb.211:
	s_wait_alu 0xfffe
	s_or_b32 exec_lo, exec_lo, s0
	s_and_saveexec_b32 s0, s25
; %bb.212:
	v_sub_nc_u32_e32 v1, v6, v4
	s_delay_alu instid0(VALU_DEP_1)
	v_lshlrev_b32_e32 v1, 1, v1
	ds_store_b16 v1, v10
; %bb.213:
	s_wait_alu 0xfffe
	s_or_b32 exec_lo, exec_lo, s0
	v_dual_mov_b32 v7, 0 :: v_dual_add_nc_u32 v6, 0x180, v0
	v_lshlrev_b64_e32 v[8:9], 1, v[4:5]
	s_wait_kmcnt 0x0
	s_lshl_b64 s[0:1], s[22:23], 1
	s_wait_storecnt 0x0
	s_wait_loadcnt_dscnt 0x0
	v_mov_b32_e32 v1, v7
	s_wait_alu 0xfffe
	s_add_nc_u64 s[0:1], s[2:3], s[0:1]
	s_barrier_signal -1
	s_wait_alu 0xfffe
	v_add_co_u32 v10, vcc_lo, s0, v8
	s_wait_alu 0xfffd
	v_add_co_ci_u32_e64 v11, null, s1, v9, vcc_lo
	v_dual_mov_b32 v9, v1 :: v_dual_mov_b32 v8, v0
	s_mov_b32 s1, 0
	s_barrier_wait -1
	global_inv scope:SCOPE_SE
.LBB1274_214:                           ; =>This Inner Loop Header: Depth=1
	v_lshlrev_b32_e32 v1, 1, v8
	v_lshlrev_b64_e32 v[12:13], 1, v[8:9]
	v_dual_mov_b32 v9, v7 :: v_dual_mov_b32 v8, v6
	v_cmp_le_u64_e32 vcc_lo, v[2:3], v[6:7]
	ds_load_u16 v1, v1
	v_add_nc_u32_e32 v6, 0x180, v6
	v_add_co_u32 v12, s0, v10, v12
	s_wait_alu 0xf1ff
	v_add_co_ci_u32_e64 v13, null, v11, v13, s0
	s_wait_alu 0xfffe
	s_or_b32 s1, vcc_lo, s1
	s_wait_dscnt 0x0
	global_store_b16 v[12:13], v1, off
	s_wait_alu 0xfffe
	s_and_not1_b32 exec_lo, exec_lo, s1
	s_cbranch_execnz .LBB1274_214
; %bb.215:
	s_or_b32 exec_lo, exec_lo, s1
	v_cmp_eq_u32_e32 vcc_lo, 0, v0
	s_and_b32 s0, vcc_lo, s19
	s_wait_alu 0xfffe
	s_and_saveexec_b32 s1, s0
	s_cbranch_execz .LBB1274_139
.LBB1274_216:
	v_add_co_u32 v0, vcc_lo, v4, v2
	s_wait_alu 0xfffd
	v_add_co_ci_u32_e64 v1, null, v5, v3, vcc_lo
	v_mov_b32_e32 v2, 0
	s_wait_kmcnt 0x0
	v_add_co_u32 v0, vcc_lo, v0, s22
	s_wait_alu 0xfffd
	v_add_co_ci_u32_e64 v1, null, s23, v1, vcc_lo
	global_store_b64 v2, v[0:1], s[20:21]
	s_endpgm
	.section	.rodata,"a",@progbits
	.p2align	6, 0x0
	.amdhsa_kernel _ZN7rocprim17ROCPRIM_400000_NS6detail17trampoline_kernelINS0_14default_configENS1_25partition_config_selectorILNS1_17partition_subalgoE6EsNS0_10empty_typeEbEEZZNS1_14partition_implILS5_6ELb0ES3_mN6thrust23THRUST_200600_302600_NS6detail15normal_iteratorINSA_10device_ptrIsEEEEPS6_SG_NS0_5tupleIJSF_S6_EEENSH_IJSG_SG_EEES6_PlJNSB_9not_fun_tI7is_trueIsEEEEEE10hipError_tPvRmT3_T4_T5_T6_T7_T9_mT8_P12ihipStream_tbDpT10_ENKUlT_T0_E_clISt17integral_constantIbLb0EES18_EEDaS13_S14_EUlS13_E_NS1_11comp_targetILNS1_3genE10ELNS1_11target_archE1200ELNS1_3gpuE4ELNS1_3repE0EEENS1_30default_config_static_selectorELNS0_4arch9wavefront6targetE0EEEvT1_
		.amdhsa_group_segment_fixed_size 13840
		.amdhsa_private_segment_fixed_size 0
		.amdhsa_kernarg_size 112
		.amdhsa_user_sgpr_count 2
		.amdhsa_user_sgpr_dispatch_ptr 0
		.amdhsa_user_sgpr_queue_ptr 0
		.amdhsa_user_sgpr_kernarg_segment_ptr 1
		.amdhsa_user_sgpr_dispatch_id 0
		.amdhsa_user_sgpr_private_segment_size 0
		.amdhsa_wavefront_size32 1
		.amdhsa_uses_dynamic_stack 0
		.amdhsa_enable_private_segment 0
		.amdhsa_system_sgpr_workgroup_id_x 1
		.amdhsa_system_sgpr_workgroup_id_y 0
		.amdhsa_system_sgpr_workgroup_id_z 0
		.amdhsa_system_sgpr_workgroup_info 0
		.amdhsa_system_vgpr_workitem_id 0
		.amdhsa_next_free_vgpr 72
		.amdhsa_next_free_sgpr 27
		.amdhsa_reserve_vcc 1
		.amdhsa_float_round_mode_32 0
		.amdhsa_float_round_mode_16_64 0
		.amdhsa_float_denorm_mode_32 3
		.amdhsa_float_denorm_mode_16_64 3
		.amdhsa_fp16_overflow 0
		.amdhsa_workgroup_processor_mode 1
		.amdhsa_memory_ordered 1
		.amdhsa_forward_progress 1
		.amdhsa_inst_pref_size 91
		.amdhsa_round_robin_scheduling 0
		.amdhsa_exception_fp_ieee_invalid_op 0
		.amdhsa_exception_fp_denorm_src 0
		.amdhsa_exception_fp_ieee_div_zero 0
		.amdhsa_exception_fp_ieee_overflow 0
		.amdhsa_exception_fp_ieee_underflow 0
		.amdhsa_exception_fp_ieee_inexact 0
		.amdhsa_exception_int_div_zero 0
	.end_amdhsa_kernel
	.section	.text._ZN7rocprim17ROCPRIM_400000_NS6detail17trampoline_kernelINS0_14default_configENS1_25partition_config_selectorILNS1_17partition_subalgoE6EsNS0_10empty_typeEbEEZZNS1_14partition_implILS5_6ELb0ES3_mN6thrust23THRUST_200600_302600_NS6detail15normal_iteratorINSA_10device_ptrIsEEEEPS6_SG_NS0_5tupleIJSF_S6_EEENSH_IJSG_SG_EEES6_PlJNSB_9not_fun_tI7is_trueIsEEEEEE10hipError_tPvRmT3_T4_T5_T6_T7_T9_mT8_P12ihipStream_tbDpT10_ENKUlT_T0_E_clISt17integral_constantIbLb0EES18_EEDaS13_S14_EUlS13_E_NS1_11comp_targetILNS1_3genE10ELNS1_11target_archE1200ELNS1_3gpuE4ELNS1_3repE0EEENS1_30default_config_static_selectorELNS0_4arch9wavefront6targetE0EEEvT1_,"axG",@progbits,_ZN7rocprim17ROCPRIM_400000_NS6detail17trampoline_kernelINS0_14default_configENS1_25partition_config_selectorILNS1_17partition_subalgoE6EsNS0_10empty_typeEbEEZZNS1_14partition_implILS5_6ELb0ES3_mN6thrust23THRUST_200600_302600_NS6detail15normal_iteratorINSA_10device_ptrIsEEEEPS6_SG_NS0_5tupleIJSF_S6_EEENSH_IJSG_SG_EEES6_PlJNSB_9not_fun_tI7is_trueIsEEEEEE10hipError_tPvRmT3_T4_T5_T6_T7_T9_mT8_P12ihipStream_tbDpT10_ENKUlT_T0_E_clISt17integral_constantIbLb0EES18_EEDaS13_S14_EUlS13_E_NS1_11comp_targetILNS1_3genE10ELNS1_11target_archE1200ELNS1_3gpuE4ELNS1_3repE0EEENS1_30default_config_static_selectorELNS0_4arch9wavefront6targetE0EEEvT1_,comdat
.Lfunc_end1274:
	.size	_ZN7rocprim17ROCPRIM_400000_NS6detail17trampoline_kernelINS0_14default_configENS1_25partition_config_selectorILNS1_17partition_subalgoE6EsNS0_10empty_typeEbEEZZNS1_14partition_implILS5_6ELb0ES3_mN6thrust23THRUST_200600_302600_NS6detail15normal_iteratorINSA_10device_ptrIsEEEEPS6_SG_NS0_5tupleIJSF_S6_EEENSH_IJSG_SG_EEES6_PlJNSB_9not_fun_tI7is_trueIsEEEEEE10hipError_tPvRmT3_T4_T5_T6_T7_T9_mT8_P12ihipStream_tbDpT10_ENKUlT_T0_E_clISt17integral_constantIbLb0EES18_EEDaS13_S14_EUlS13_E_NS1_11comp_targetILNS1_3genE10ELNS1_11target_archE1200ELNS1_3gpuE4ELNS1_3repE0EEENS1_30default_config_static_selectorELNS0_4arch9wavefront6targetE0EEEvT1_, .Lfunc_end1274-_ZN7rocprim17ROCPRIM_400000_NS6detail17trampoline_kernelINS0_14default_configENS1_25partition_config_selectorILNS1_17partition_subalgoE6EsNS0_10empty_typeEbEEZZNS1_14partition_implILS5_6ELb0ES3_mN6thrust23THRUST_200600_302600_NS6detail15normal_iteratorINSA_10device_ptrIsEEEEPS6_SG_NS0_5tupleIJSF_S6_EEENSH_IJSG_SG_EEES6_PlJNSB_9not_fun_tI7is_trueIsEEEEEE10hipError_tPvRmT3_T4_T5_T6_T7_T9_mT8_P12ihipStream_tbDpT10_ENKUlT_T0_E_clISt17integral_constantIbLb0EES18_EEDaS13_S14_EUlS13_E_NS1_11comp_targetILNS1_3genE10ELNS1_11target_archE1200ELNS1_3gpuE4ELNS1_3repE0EEENS1_30default_config_static_selectorELNS0_4arch9wavefront6targetE0EEEvT1_
                                        ; -- End function
	.set _ZN7rocprim17ROCPRIM_400000_NS6detail17trampoline_kernelINS0_14default_configENS1_25partition_config_selectorILNS1_17partition_subalgoE6EsNS0_10empty_typeEbEEZZNS1_14partition_implILS5_6ELb0ES3_mN6thrust23THRUST_200600_302600_NS6detail15normal_iteratorINSA_10device_ptrIsEEEEPS6_SG_NS0_5tupleIJSF_S6_EEENSH_IJSG_SG_EEES6_PlJNSB_9not_fun_tI7is_trueIsEEEEEE10hipError_tPvRmT3_T4_T5_T6_T7_T9_mT8_P12ihipStream_tbDpT10_ENKUlT_T0_E_clISt17integral_constantIbLb0EES18_EEDaS13_S14_EUlS13_E_NS1_11comp_targetILNS1_3genE10ELNS1_11target_archE1200ELNS1_3gpuE4ELNS1_3repE0EEENS1_30default_config_static_selectorELNS0_4arch9wavefront6targetE0EEEvT1_.num_vgpr, 72
	.set _ZN7rocprim17ROCPRIM_400000_NS6detail17trampoline_kernelINS0_14default_configENS1_25partition_config_selectorILNS1_17partition_subalgoE6EsNS0_10empty_typeEbEEZZNS1_14partition_implILS5_6ELb0ES3_mN6thrust23THRUST_200600_302600_NS6detail15normal_iteratorINSA_10device_ptrIsEEEEPS6_SG_NS0_5tupleIJSF_S6_EEENSH_IJSG_SG_EEES6_PlJNSB_9not_fun_tI7is_trueIsEEEEEE10hipError_tPvRmT3_T4_T5_T6_T7_T9_mT8_P12ihipStream_tbDpT10_ENKUlT_T0_E_clISt17integral_constantIbLb0EES18_EEDaS13_S14_EUlS13_E_NS1_11comp_targetILNS1_3genE10ELNS1_11target_archE1200ELNS1_3gpuE4ELNS1_3repE0EEENS1_30default_config_static_selectorELNS0_4arch9wavefront6targetE0EEEvT1_.num_agpr, 0
	.set _ZN7rocprim17ROCPRIM_400000_NS6detail17trampoline_kernelINS0_14default_configENS1_25partition_config_selectorILNS1_17partition_subalgoE6EsNS0_10empty_typeEbEEZZNS1_14partition_implILS5_6ELb0ES3_mN6thrust23THRUST_200600_302600_NS6detail15normal_iteratorINSA_10device_ptrIsEEEEPS6_SG_NS0_5tupleIJSF_S6_EEENSH_IJSG_SG_EEES6_PlJNSB_9not_fun_tI7is_trueIsEEEEEE10hipError_tPvRmT3_T4_T5_T6_T7_T9_mT8_P12ihipStream_tbDpT10_ENKUlT_T0_E_clISt17integral_constantIbLb0EES18_EEDaS13_S14_EUlS13_E_NS1_11comp_targetILNS1_3genE10ELNS1_11target_archE1200ELNS1_3gpuE4ELNS1_3repE0EEENS1_30default_config_static_selectorELNS0_4arch9wavefront6targetE0EEEvT1_.numbered_sgpr, 27
	.set _ZN7rocprim17ROCPRIM_400000_NS6detail17trampoline_kernelINS0_14default_configENS1_25partition_config_selectorILNS1_17partition_subalgoE6EsNS0_10empty_typeEbEEZZNS1_14partition_implILS5_6ELb0ES3_mN6thrust23THRUST_200600_302600_NS6detail15normal_iteratorINSA_10device_ptrIsEEEEPS6_SG_NS0_5tupleIJSF_S6_EEENSH_IJSG_SG_EEES6_PlJNSB_9not_fun_tI7is_trueIsEEEEEE10hipError_tPvRmT3_T4_T5_T6_T7_T9_mT8_P12ihipStream_tbDpT10_ENKUlT_T0_E_clISt17integral_constantIbLb0EES18_EEDaS13_S14_EUlS13_E_NS1_11comp_targetILNS1_3genE10ELNS1_11target_archE1200ELNS1_3gpuE4ELNS1_3repE0EEENS1_30default_config_static_selectorELNS0_4arch9wavefront6targetE0EEEvT1_.num_named_barrier, 0
	.set _ZN7rocprim17ROCPRIM_400000_NS6detail17trampoline_kernelINS0_14default_configENS1_25partition_config_selectorILNS1_17partition_subalgoE6EsNS0_10empty_typeEbEEZZNS1_14partition_implILS5_6ELb0ES3_mN6thrust23THRUST_200600_302600_NS6detail15normal_iteratorINSA_10device_ptrIsEEEEPS6_SG_NS0_5tupleIJSF_S6_EEENSH_IJSG_SG_EEES6_PlJNSB_9not_fun_tI7is_trueIsEEEEEE10hipError_tPvRmT3_T4_T5_T6_T7_T9_mT8_P12ihipStream_tbDpT10_ENKUlT_T0_E_clISt17integral_constantIbLb0EES18_EEDaS13_S14_EUlS13_E_NS1_11comp_targetILNS1_3genE10ELNS1_11target_archE1200ELNS1_3gpuE4ELNS1_3repE0EEENS1_30default_config_static_selectorELNS0_4arch9wavefront6targetE0EEEvT1_.private_seg_size, 0
	.set _ZN7rocprim17ROCPRIM_400000_NS6detail17trampoline_kernelINS0_14default_configENS1_25partition_config_selectorILNS1_17partition_subalgoE6EsNS0_10empty_typeEbEEZZNS1_14partition_implILS5_6ELb0ES3_mN6thrust23THRUST_200600_302600_NS6detail15normal_iteratorINSA_10device_ptrIsEEEEPS6_SG_NS0_5tupleIJSF_S6_EEENSH_IJSG_SG_EEES6_PlJNSB_9not_fun_tI7is_trueIsEEEEEE10hipError_tPvRmT3_T4_T5_T6_T7_T9_mT8_P12ihipStream_tbDpT10_ENKUlT_T0_E_clISt17integral_constantIbLb0EES18_EEDaS13_S14_EUlS13_E_NS1_11comp_targetILNS1_3genE10ELNS1_11target_archE1200ELNS1_3gpuE4ELNS1_3repE0EEENS1_30default_config_static_selectorELNS0_4arch9wavefront6targetE0EEEvT1_.uses_vcc, 1
	.set _ZN7rocprim17ROCPRIM_400000_NS6detail17trampoline_kernelINS0_14default_configENS1_25partition_config_selectorILNS1_17partition_subalgoE6EsNS0_10empty_typeEbEEZZNS1_14partition_implILS5_6ELb0ES3_mN6thrust23THRUST_200600_302600_NS6detail15normal_iteratorINSA_10device_ptrIsEEEEPS6_SG_NS0_5tupleIJSF_S6_EEENSH_IJSG_SG_EEES6_PlJNSB_9not_fun_tI7is_trueIsEEEEEE10hipError_tPvRmT3_T4_T5_T6_T7_T9_mT8_P12ihipStream_tbDpT10_ENKUlT_T0_E_clISt17integral_constantIbLb0EES18_EEDaS13_S14_EUlS13_E_NS1_11comp_targetILNS1_3genE10ELNS1_11target_archE1200ELNS1_3gpuE4ELNS1_3repE0EEENS1_30default_config_static_selectorELNS0_4arch9wavefront6targetE0EEEvT1_.uses_flat_scratch, 1
	.set _ZN7rocprim17ROCPRIM_400000_NS6detail17trampoline_kernelINS0_14default_configENS1_25partition_config_selectorILNS1_17partition_subalgoE6EsNS0_10empty_typeEbEEZZNS1_14partition_implILS5_6ELb0ES3_mN6thrust23THRUST_200600_302600_NS6detail15normal_iteratorINSA_10device_ptrIsEEEEPS6_SG_NS0_5tupleIJSF_S6_EEENSH_IJSG_SG_EEES6_PlJNSB_9not_fun_tI7is_trueIsEEEEEE10hipError_tPvRmT3_T4_T5_T6_T7_T9_mT8_P12ihipStream_tbDpT10_ENKUlT_T0_E_clISt17integral_constantIbLb0EES18_EEDaS13_S14_EUlS13_E_NS1_11comp_targetILNS1_3genE10ELNS1_11target_archE1200ELNS1_3gpuE4ELNS1_3repE0EEENS1_30default_config_static_selectorELNS0_4arch9wavefront6targetE0EEEvT1_.has_dyn_sized_stack, 0
	.set _ZN7rocprim17ROCPRIM_400000_NS6detail17trampoline_kernelINS0_14default_configENS1_25partition_config_selectorILNS1_17partition_subalgoE6EsNS0_10empty_typeEbEEZZNS1_14partition_implILS5_6ELb0ES3_mN6thrust23THRUST_200600_302600_NS6detail15normal_iteratorINSA_10device_ptrIsEEEEPS6_SG_NS0_5tupleIJSF_S6_EEENSH_IJSG_SG_EEES6_PlJNSB_9not_fun_tI7is_trueIsEEEEEE10hipError_tPvRmT3_T4_T5_T6_T7_T9_mT8_P12ihipStream_tbDpT10_ENKUlT_T0_E_clISt17integral_constantIbLb0EES18_EEDaS13_S14_EUlS13_E_NS1_11comp_targetILNS1_3genE10ELNS1_11target_archE1200ELNS1_3gpuE4ELNS1_3repE0EEENS1_30default_config_static_selectorELNS0_4arch9wavefront6targetE0EEEvT1_.has_recursion, 0
	.set _ZN7rocprim17ROCPRIM_400000_NS6detail17trampoline_kernelINS0_14default_configENS1_25partition_config_selectorILNS1_17partition_subalgoE6EsNS0_10empty_typeEbEEZZNS1_14partition_implILS5_6ELb0ES3_mN6thrust23THRUST_200600_302600_NS6detail15normal_iteratorINSA_10device_ptrIsEEEEPS6_SG_NS0_5tupleIJSF_S6_EEENSH_IJSG_SG_EEES6_PlJNSB_9not_fun_tI7is_trueIsEEEEEE10hipError_tPvRmT3_T4_T5_T6_T7_T9_mT8_P12ihipStream_tbDpT10_ENKUlT_T0_E_clISt17integral_constantIbLb0EES18_EEDaS13_S14_EUlS13_E_NS1_11comp_targetILNS1_3genE10ELNS1_11target_archE1200ELNS1_3gpuE4ELNS1_3repE0EEENS1_30default_config_static_selectorELNS0_4arch9wavefront6targetE0EEEvT1_.has_indirect_call, 0
	.section	.AMDGPU.csdata,"",@progbits
; Kernel info:
; codeLenInByte = 11636
; TotalNumSgprs: 29
; NumVgprs: 72
; ScratchSize: 0
; MemoryBound: 0
; FloatMode: 240
; IeeeMode: 1
; LDSByteSize: 13840 bytes/workgroup (compile time only)
; SGPRBlocks: 0
; VGPRBlocks: 8
; NumSGPRsForWavesPerEU: 29
; NumVGPRsForWavesPerEU: 72
; Occupancy: 15
; WaveLimiterHint : 1
; COMPUTE_PGM_RSRC2:SCRATCH_EN: 0
; COMPUTE_PGM_RSRC2:USER_SGPR: 2
; COMPUTE_PGM_RSRC2:TRAP_HANDLER: 0
; COMPUTE_PGM_RSRC2:TGID_X_EN: 1
; COMPUTE_PGM_RSRC2:TGID_Y_EN: 0
; COMPUTE_PGM_RSRC2:TGID_Z_EN: 0
; COMPUTE_PGM_RSRC2:TIDIG_COMP_CNT: 0
	.section	.text._ZN7rocprim17ROCPRIM_400000_NS6detail17trampoline_kernelINS0_14default_configENS1_25partition_config_selectorILNS1_17partition_subalgoE6EsNS0_10empty_typeEbEEZZNS1_14partition_implILS5_6ELb0ES3_mN6thrust23THRUST_200600_302600_NS6detail15normal_iteratorINSA_10device_ptrIsEEEEPS6_SG_NS0_5tupleIJSF_S6_EEENSH_IJSG_SG_EEES6_PlJNSB_9not_fun_tI7is_trueIsEEEEEE10hipError_tPvRmT3_T4_T5_T6_T7_T9_mT8_P12ihipStream_tbDpT10_ENKUlT_T0_E_clISt17integral_constantIbLb0EES18_EEDaS13_S14_EUlS13_E_NS1_11comp_targetILNS1_3genE9ELNS1_11target_archE1100ELNS1_3gpuE3ELNS1_3repE0EEENS1_30default_config_static_selectorELNS0_4arch9wavefront6targetE0EEEvT1_,"axG",@progbits,_ZN7rocprim17ROCPRIM_400000_NS6detail17trampoline_kernelINS0_14default_configENS1_25partition_config_selectorILNS1_17partition_subalgoE6EsNS0_10empty_typeEbEEZZNS1_14partition_implILS5_6ELb0ES3_mN6thrust23THRUST_200600_302600_NS6detail15normal_iteratorINSA_10device_ptrIsEEEEPS6_SG_NS0_5tupleIJSF_S6_EEENSH_IJSG_SG_EEES6_PlJNSB_9not_fun_tI7is_trueIsEEEEEE10hipError_tPvRmT3_T4_T5_T6_T7_T9_mT8_P12ihipStream_tbDpT10_ENKUlT_T0_E_clISt17integral_constantIbLb0EES18_EEDaS13_S14_EUlS13_E_NS1_11comp_targetILNS1_3genE9ELNS1_11target_archE1100ELNS1_3gpuE3ELNS1_3repE0EEENS1_30default_config_static_selectorELNS0_4arch9wavefront6targetE0EEEvT1_,comdat
	.protected	_ZN7rocprim17ROCPRIM_400000_NS6detail17trampoline_kernelINS0_14default_configENS1_25partition_config_selectorILNS1_17partition_subalgoE6EsNS0_10empty_typeEbEEZZNS1_14partition_implILS5_6ELb0ES3_mN6thrust23THRUST_200600_302600_NS6detail15normal_iteratorINSA_10device_ptrIsEEEEPS6_SG_NS0_5tupleIJSF_S6_EEENSH_IJSG_SG_EEES6_PlJNSB_9not_fun_tI7is_trueIsEEEEEE10hipError_tPvRmT3_T4_T5_T6_T7_T9_mT8_P12ihipStream_tbDpT10_ENKUlT_T0_E_clISt17integral_constantIbLb0EES18_EEDaS13_S14_EUlS13_E_NS1_11comp_targetILNS1_3genE9ELNS1_11target_archE1100ELNS1_3gpuE3ELNS1_3repE0EEENS1_30default_config_static_selectorELNS0_4arch9wavefront6targetE0EEEvT1_ ; -- Begin function _ZN7rocprim17ROCPRIM_400000_NS6detail17trampoline_kernelINS0_14default_configENS1_25partition_config_selectorILNS1_17partition_subalgoE6EsNS0_10empty_typeEbEEZZNS1_14partition_implILS5_6ELb0ES3_mN6thrust23THRUST_200600_302600_NS6detail15normal_iteratorINSA_10device_ptrIsEEEEPS6_SG_NS0_5tupleIJSF_S6_EEENSH_IJSG_SG_EEES6_PlJNSB_9not_fun_tI7is_trueIsEEEEEE10hipError_tPvRmT3_T4_T5_T6_T7_T9_mT8_P12ihipStream_tbDpT10_ENKUlT_T0_E_clISt17integral_constantIbLb0EES18_EEDaS13_S14_EUlS13_E_NS1_11comp_targetILNS1_3genE9ELNS1_11target_archE1100ELNS1_3gpuE3ELNS1_3repE0EEENS1_30default_config_static_selectorELNS0_4arch9wavefront6targetE0EEEvT1_
	.globl	_ZN7rocprim17ROCPRIM_400000_NS6detail17trampoline_kernelINS0_14default_configENS1_25partition_config_selectorILNS1_17partition_subalgoE6EsNS0_10empty_typeEbEEZZNS1_14partition_implILS5_6ELb0ES3_mN6thrust23THRUST_200600_302600_NS6detail15normal_iteratorINSA_10device_ptrIsEEEEPS6_SG_NS0_5tupleIJSF_S6_EEENSH_IJSG_SG_EEES6_PlJNSB_9not_fun_tI7is_trueIsEEEEEE10hipError_tPvRmT3_T4_T5_T6_T7_T9_mT8_P12ihipStream_tbDpT10_ENKUlT_T0_E_clISt17integral_constantIbLb0EES18_EEDaS13_S14_EUlS13_E_NS1_11comp_targetILNS1_3genE9ELNS1_11target_archE1100ELNS1_3gpuE3ELNS1_3repE0EEENS1_30default_config_static_selectorELNS0_4arch9wavefront6targetE0EEEvT1_
	.p2align	8
	.type	_ZN7rocprim17ROCPRIM_400000_NS6detail17trampoline_kernelINS0_14default_configENS1_25partition_config_selectorILNS1_17partition_subalgoE6EsNS0_10empty_typeEbEEZZNS1_14partition_implILS5_6ELb0ES3_mN6thrust23THRUST_200600_302600_NS6detail15normal_iteratorINSA_10device_ptrIsEEEEPS6_SG_NS0_5tupleIJSF_S6_EEENSH_IJSG_SG_EEES6_PlJNSB_9not_fun_tI7is_trueIsEEEEEE10hipError_tPvRmT3_T4_T5_T6_T7_T9_mT8_P12ihipStream_tbDpT10_ENKUlT_T0_E_clISt17integral_constantIbLb0EES18_EEDaS13_S14_EUlS13_E_NS1_11comp_targetILNS1_3genE9ELNS1_11target_archE1100ELNS1_3gpuE3ELNS1_3repE0EEENS1_30default_config_static_selectorELNS0_4arch9wavefront6targetE0EEEvT1_,@function
_ZN7rocprim17ROCPRIM_400000_NS6detail17trampoline_kernelINS0_14default_configENS1_25partition_config_selectorILNS1_17partition_subalgoE6EsNS0_10empty_typeEbEEZZNS1_14partition_implILS5_6ELb0ES3_mN6thrust23THRUST_200600_302600_NS6detail15normal_iteratorINSA_10device_ptrIsEEEEPS6_SG_NS0_5tupleIJSF_S6_EEENSH_IJSG_SG_EEES6_PlJNSB_9not_fun_tI7is_trueIsEEEEEE10hipError_tPvRmT3_T4_T5_T6_T7_T9_mT8_P12ihipStream_tbDpT10_ENKUlT_T0_E_clISt17integral_constantIbLb0EES18_EEDaS13_S14_EUlS13_E_NS1_11comp_targetILNS1_3genE9ELNS1_11target_archE1100ELNS1_3gpuE3ELNS1_3repE0EEENS1_30default_config_static_selectorELNS0_4arch9wavefront6targetE0EEEvT1_: ; @_ZN7rocprim17ROCPRIM_400000_NS6detail17trampoline_kernelINS0_14default_configENS1_25partition_config_selectorILNS1_17partition_subalgoE6EsNS0_10empty_typeEbEEZZNS1_14partition_implILS5_6ELb0ES3_mN6thrust23THRUST_200600_302600_NS6detail15normal_iteratorINSA_10device_ptrIsEEEEPS6_SG_NS0_5tupleIJSF_S6_EEENSH_IJSG_SG_EEES6_PlJNSB_9not_fun_tI7is_trueIsEEEEEE10hipError_tPvRmT3_T4_T5_T6_T7_T9_mT8_P12ihipStream_tbDpT10_ENKUlT_T0_E_clISt17integral_constantIbLb0EES18_EEDaS13_S14_EUlS13_E_NS1_11comp_targetILNS1_3genE9ELNS1_11target_archE1100ELNS1_3gpuE3ELNS1_3repE0EEENS1_30default_config_static_selectorELNS0_4arch9wavefront6targetE0EEEvT1_
; %bb.0:
	.section	.rodata,"a",@progbits
	.p2align	6, 0x0
	.amdhsa_kernel _ZN7rocprim17ROCPRIM_400000_NS6detail17trampoline_kernelINS0_14default_configENS1_25partition_config_selectorILNS1_17partition_subalgoE6EsNS0_10empty_typeEbEEZZNS1_14partition_implILS5_6ELb0ES3_mN6thrust23THRUST_200600_302600_NS6detail15normal_iteratorINSA_10device_ptrIsEEEEPS6_SG_NS0_5tupleIJSF_S6_EEENSH_IJSG_SG_EEES6_PlJNSB_9not_fun_tI7is_trueIsEEEEEE10hipError_tPvRmT3_T4_T5_T6_T7_T9_mT8_P12ihipStream_tbDpT10_ENKUlT_T0_E_clISt17integral_constantIbLb0EES18_EEDaS13_S14_EUlS13_E_NS1_11comp_targetILNS1_3genE9ELNS1_11target_archE1100ELNS1_3gpuE3ELNS1_3repE0EEENS1_30default_config_static_selectorELNS0_4arch9wavefront6targetE0EEEvT1_
		.amdhsa_group_segment_fixed_size 0
		.amdhsa_private_segment_fixed_size 0
		.amdhsa_kernarg_size 112
		.amdhsa_user_sgpr_count 2
		.amdhsa_user_sgpr_dispatch_ptr 0
		.amdhsa_user_sgpr_queue_ptr 0
		.amdhsa_user_sgpr_kernarg_segment_ptr 1
		.amdhsa_user_sgpr_dispatch_id 0
		.amdhsa_user_sgpr_private_segment_size 0
		.amdhsa_wavefront_size32 1
		.amdhsa_uses_dynamic_stack 0
		.amdhsa_enable_private_segment 0
		.amdhsa_system_sgpr_workgroup_id_x 1
		.amdhsa_system_sgpr_workgroup_id_y 0
		.amdhsa_system_sgpr_workgroup_id_z 0
		.amdhsa_system_sgpr_workgroup_info 0
		.amdhsa_system_vgpr_workitem_id 0
		.amdhsa_next_free_vgpr 1
		.amdhsa_next_free_sgpr 1
		.amdhsa_reserve_vcc 0
		.amdhsa_float_round_mode_32 0
		.amdhsa_float_round_mode_16_64 0
		.amdhsa_float_denorm_mode_32 3
		.amdhsa_float_denorm_mode_16_64 3
		.amdhsa_fp16_overflow 0
		.amdhsa_workgroup_processor_mode 1
		.amdhsa_memory_ordered 1
		.amdhsa_forward_progress 1
		.amdhsa_inst_pref_size 0
		.amdhsa_round_robin_scheduling 0
		.amdhsa_exception_fp_ieee_invalid_op 0
		.amdhsa_exception_fp_denorm_src 0
		.amdhsa_exception_fp_ieee_div_zero 0
		.amdhsa_exception_fp_ieee_overflow 0
		.amdhsa_exception_fp_ieee_underflow 0
		.amdhsa_exception_fp_ieee_inexact 0
		.amdhsa_exception_int_div_zero 0
	.end_amdhsa_kernel
	.section	.text._ZN7rocprim17ROCPRIM_400000_NS6detail17trampoline_kernelINS0_14default_configENS1_25partition_config_selectorILNS1_17partition_subalgoE6EsNS0_10empty_typeEbEEZZNS1_14partition_implILS5_6ELb0ES3_mN6thrust23THRUST_200600_302600_NS6detail15normal_iteratorINSA_10device_ptrIsEEEEPS6_SG_NS0_5tupleIJSF_S6_EEENSH_IJSG_SG_EEES6_PlJNSB_9not_fun_tI7is_trueIsEEEEEE10hipError_tPvRmT3_T4_T5_T6_T7_T9_mT8_P12ihipStream_tbDpT10_ENKUlT_T0_E_clISt17integral_constantIbLb0EES18_EEDaS13_S14_EUlS13_E_NS1_11comp_targetILNS1_3genE9ELNS1_11target_archE1100ELNS1_3gpuE3ELNS1_3repE0EEENS1_30default_config_static_selectorELNS0_4arch9wavefront6targetE0EEEvT1_,"axG",@progbits,_ZN7rocprim17ROCPRIM_400000_NS6detail17trampoline_kernelINS0_14default_configENS1_25partition_config_selectorILNS1_17partition_subalgoE6EsNS0_10empty_typeEbEEZZNS1_14partition_implILS5_6ELb0ES3_mN6thrust23THRUST_200600_302600_NS6detail15normal_iteratorINSA_10device_ptrIsEEEEPS6_SG_NS0_5tupleIJSF_S6_EEENSH_IJSG_SG_EEES6_PlJNSB_9not_fun_tI7is_trueIsEEEEEE10hipError_tPvRmT3_T4_T5_T6_T7_T9_mT8_P12ihipStream_tbDpT10_ENKUlT_T0_E_clISt17integral_constantIbLb0EES18_EEDaS13_S14_EUlS13_E_NS1_11comp_targetILNS1_3genE9ELNS1_11target_archE1100ELNS1_3gpuE3ELNS1_3repE0EEENS1_30default_config_static_selectorELNS0_4arch9wavefront6targetE0EEEvT1_,comdat
.Lfunc_end1275:
	.size	_ZN7rocprim17ROCPRIM_400000_NS6detail17trampoline_kernelINS0_14default_configENS1_25partition_config_selectorILNS1_17partition_subalgoE6EsNS0_10empty_typeEbEEZZNS1_14partition_implILS5_6ELb0ES3_mN6thrust23THRUST_200600_302600_NS6detail15normal_iteratorINSA_10device_ptrIsEEEEPS6_SG_NS0_5tupleIJSF_S6_EEENSH_IJSG_SG_EEES6_PlJNSB_9not_fun_tI7is_trueIsEEEEEE10hipError_tPvRmT3_T4_T5_T6_T7_T9_mT8_P12ihipStream_tbDpT10_ENKUlT_T0_E_clISt17integral_constantIbLb0EES18_EEDaS13_S14_EUlS13_E_NS1_11comp_targetILNS1_3genE9ELNS1_11target_archE1100ELNS1_3gpuE3ELNS1_3repE0EEENS1_30default_config_static_selectorELNS0_4arch9wavefront6targetE0EEEvT1_, .Lfunc_end1275-_ZN7rocprim17ROCPRIM_400000_NS6detail17trampoline_kernelINS0_14default_configENS1_25partition_config_selectorILNS1_17partition_subalgoE6EsNS0_10empty_typeEbEEZZNS1_14partition_implILS5_6ELb0ES3_mN6thrust23THRUST_200600_302600_NS6detail15normal_iteratorINSA_10device_ptrIsEEEEPS6_SG_NS0_5tupleIJSF_S6_EEENSH_IJSG_SG_EEES6_PlJNSB_9not_fun_tI7is_trueIsEEEEEE10hipError_tPvRmT3_T4_T5_T6_T7_T9_mT8_P12ihipStream_tbDpT10_ENKUlT_T0_E_clISt17integral_constantIbLb0EES18_EEDaS13_S14_EUlS13_E_NS1_11comp_targetILNS1_3genE9ELNS1_11target_archE1100ELNS1_3gpuE3ELNS1_3repE0EEENS1_30default_config_static_selectorELNS0_4arch9wavefront6targetE0EEEvT1_
                                        ; -- End function
	.set _ZN7rocprim17ROCPRIM_400000_NS6detail17trampoline_kernelINS0_14default_configENS1_25partition_config_selectorILNS1_17partition_subalgoE6EsNS0_10empty_typeEbEEZZNS1_14partition_implILS5_6ELb0ES3_mN6thrust23THRUST_200600_302600_NS6detail15normal_iteratorINSA_10device_ptrIsEEEEPS6_SG_NS0_5tupleIJSF_S6_EEENSH_IJSG_SG_EEES6_PlJNSB_9not_fun_tI7is_trueIsEEEEEE10hipError_tPvRmT3_T4_T5_T6_T7_T9_mT8_P12ihipStream_tbDpT10_ENKUlT_T0_E_clISt17integral_constantIbLb0EES18_EEDaS13_S14_EUlS13_E_NS1_11comp_targetILNS1_3genE9ELNS1_11target_archE1100ELNS1_3gpuE3ELNS1_3repE0EEENS1_30default_config_static_selectorELNS0_4arch9wavefront6targetE0EEEvT1_.num_vgpr, 0
	.set _ZN7rocprim17ROCPRIM_400000_NS6detail17trampoline_kernelINS0_14default_configENS1_25partition_config_selectorILNS1_17partition_subalgoE6EsNS0_10empty_typeEbEEZZNS1_14partition_implILS5_6ELb0ES3_mN6thrust23THRUST_200600_302600_NS6detail15normal_iteratorINSA_10device_ptrIsEEEEPS6_SG_NS0_5tupleIJSF_S6_EEENSH_IJSG_SG_EEES6_PlJNSB_9not_fun_tI7is_trueIsEEEEEE10hipError_tPvRmT3_T4_T5_T6_T7_T9_mT8_P12ihipStream_tbDpT10_ENKUlT_T0_E_clISt17integral_constantIbLb0EES18_EEDaS13_S14_EUlS13_E_NS1_11comp_targetILNS1_3genE9ELNS1_11target_archE1100ELNS1_3gpuE3ELNS1_3repE0EEENS1_30default_config_static_selectorELNS0_4arch9wavefront6targetE0EEEvT1_.num_agpr, 0
	.set _ZN7rocprim17ROCPRIM_400000_NS6detail17trampoline_kernelINS0_14default_configENS1_25partition_config_selectorILNS1_17partition_subalgoE6EsNS0_10empty_typeEbEEZZNS1_14partition_implILS5_6ELb0ES3_mN6thrust23THRUST_200600_302600_NS6detail15normal_iteratorINSA_10device_ptrIsEEEEPS6_SG_NS0_5tupleIJSF_S6_EEENSH_IJSG_SG_EEES6_PlJNSB_9not_fun_tI7is_trueIsEEEEEE10hipError_tPvRmT3_T4_T5_T6_T7_T9_mT8_P12ihipStream_tbDpT10_ENKUlT_T0_E_clISt17integral_constantIbLb0EES18_EEDaS13_S14_EUlS13_E_NS1_11comp_targetILNS1_3genE9ELNS1_11target_archE1100ELNS1_3gpuE3ELNS1_3repE0EEENS1_30default_config_static_selectorELNS0_4arch9wavefront6targetE0EEEvT1_.numbered_sgpr, 0
	.set _ZN7rocprim17ROCPRIM_400000_NS6detail17trampoline_kernelINS0_14default_configENS1_25partition_config_selectorILNS1_17partition_subalgoE6EsNS0_10empty_typeEbEEZZNS1_14partition_implILS5_6ELb0ES3_mN6thrust23THRUST_200600_302600_NS6detail15normal_iteratorINSA_10device_ptrIsEEEEPS6_SG_NS0_5tupleIJSF_S6_EEENSH_IJSG_SG_EEES6_PlJNSB_9not_fun_tI7is_trueIsEEEEEE10hipError_tPvRmT3_T4_T5_T6_T7_T9_mT8_P12ihipStream_tbDpT10_ENKUlT_T0_E_clISt17integral_constantIbLb0EES18_EEDaS13_S14_EUlS13_E_NS1_11comp_targetILNS1_3genE9ELNS1_11target_archE1100ELNS1_3gpuE3ELNS1_3repE0EEENS1_30default_config_static_selectorELNS0_4arch9wavefront6targetE0EEEvT1_.num_named_barrier, 0
	.set _ZN7rocprim17ROCPRIM_400000_NS6detail17trampoline_kernelINS0_14default_configENS1_25partition_config_selectorILNS1_17partition_subalgoE6EsNS0_10empty_typeEbEEZZNS1_14partition_implILS5_6ELb0ES3_mN6thrust23THRUST_200600_302600_NS6detail15normal_iteratorINSA_10device_ptrIsEEEEPS6_SG_NS0_5tupleIJSF_S6_EEENSH_IJSG_SG_EEES6_PlJNSB_9not_fun_tI7is_trueIsEEEEEE10hipError_tPvRmT3_T4_T5_T6_T7_T9_mT8_P12ihipStream_tbDpT10_ENKUlT_T0_E_clISt17integral_constantIbLb0EES18_EEDaS13_S14_EUlS13_E_NS1_11comp_targetILNS1_3genE9ELNS1_11target_archE1100ELNS1_3gpuE3ELNS1_3repE0EEENS1_30default_config_static_selectorELNS0_4arch9wavefront6targetE0EEEvT1_.private_seg_size, 0
	.set _ZN7rocprim17ROCPRIM_400000_NS6detail17trampoline_kernelINS0_14default_configENS1_25partition_config_selectorILNS1_17partition_subalgoE6EsNS0_10empty_typeEbEEZZNS1_14partition_implILS5_6ELb0ES3_mN6thrust23THRUST_200600_302600_NS6detail15normal_iteratorINSA_10device_ptrIsEEEEPS6_SG_NS0_5tupleIJSF_S6_EEENSH_IJSG_SG_EEES6_PlJNSB_9not_fun_tI7is_trueIsEEEEEE10hipError_tPvRmT3_T4_T5_T6_T7_T9_mT8_P12ihipStream_tbDpT10_ENKUlT_T0_E_clISt17integral_constantIbLb0EES18_EEDaS13_S14_EUlS13_E_NS1_11comp_targetILNS1_3genE9ELNS1_11target_archE1100ELNS1_3gpuE3ELNS1_3repE0EEENS1_30default_config_static_selectorELNS0_4arch9wavefront6targetE0EEEvT1_.uses_vcc, 0
	.set _ZN7rocprim17ROCPRIM_400000_NS6detail17trampoline_kernelINS0_14default_configENS1_25partition_config_selectorILNS1_17partition_subalgoE6EsNS0_10empty_typeEbEEZZNS1_14partition_implILS5_6ELb0ES3_mN6thrust23THRUST_200600_302600_NS6detail15normal_iteratorINSA_10device_ptrIsEEEEPS6_SG_NS0_5tupleIJSF_S6_EEENSH_IJSG_SG_EEES6_PlJNSB_9not_fun_tI7is_trueIsEEEEEE10hipError_tPvRmT3_T4_T5_T6_T7_T9_mT8_P12ihipStream_tbDpT10_ENKUlT_T0_E_clISt17integral_constantIbLb0EES18_EEDaS13_S14_EUlS13_E_NS1_11comp_targetILNS1_3genE9ELNS1_11target_archE1100ELNS1_3gpuE3ELNS1_3repE0EEENS1_30default_config_static_selectorELNS0_4arch9wavefront6targetE0EEEvT1_.uses_flat_scratch, 0
	.set _ZN7rocprim17ROCPRIM_400000_NS6detail17trampoline_kernelINS0_14default_configENS1_25partition_config_selectorILNS1_17partition_subalgoE6EsNS0_10empty_typeEbEEZZNS1_14partition_implILS5_6ELb0ES3_mN6thrust23THRUST_200600_302600_NS6detail15normal_iteratorINSA_10device_ptrIsEEEEPS6_SG_NS0_5tupleIJSF_S6_EEENSH_IJSG_SG_EEES6_PlJNSB_9not_fun_tI7is_trueIsEEEEEE10hipError_tPvRmT3_T4_T5_T6_T7_T9_mT8_P12ihipStream_tbDpT10_ENKUlT_T0_E_clISt17integral_constantIbLb0EES18_EEDaS13_S14_EUlS13_E_NS1_11comp_targetILNS1_3genE9ELNS1_11target_archE1100ELNS1_3gpuE3ELNS1_3repE0EEENS1_30default_config_static_selectorELNS0_4arch9wavefront6targetE0EEEvT1_.has_dyn_sized_stack, 0
	.set _ZN7rocprim17ROCPRIM_400000_NS6detail17trampoline_kernelINS0_14default_configENS1_25partition_config_selectorILNS1_17partition_subalgoE6EsNS0_10empty_typeEbEEZZNS1_14partition_implILS5_6ELb0ES3_mN6thrust23THRUST_200600_302600_NS6detail15normal_iteratorINSA_10device_ptrIsEEEEPS6_SG_NS0_5tupleIJSF_S6_EEENSH_IJSG_SG_EEES6_PlJNSB_9not_fun_tI7is_trueIsEEEEEE10hipError_tPvRmT3_T4_T5_T6_T7_T9_mT8_P12ihipStream_tbDpT10_ENKUlT_T0_E_clISt17integral_constantIbLb0EES18_EEDaS13_S14_EUlS13_E_NS1_11comp_targetILNS1_3genE9ELNS1_11target_archE1100ELNS1_3gpuE3ELNS1_3repE0EEENS1_30default_config_static_selectorELNS0_4arch9wavefront6targetE0EEEvT1_.has_recursion, 0
	.set _ZN7rocprim17ROCPRIM_400000_NS6detail17trampoline_kernelINS0_14default_configENS1_25partition_config_selectorILNS1_17partition_subalgoE6EsNS0_10empty_typeEbEEZZNS1_14partition_implILS5_6ELb0ES3_mN6thrust23THRUST_200600_302600_NS6detail15normal_iteratorINSA_10device_ptrIsEEEEPS6_SG_NS0_5tupleIJSF_S6_EEENSH_IJSG_SG_EEES6_PlJNSB_9not_fun_tI7is_trueIsEEEEEE10hipError_tPvRmT3_T4_T5_T6_T7_T9_mT8_P12ihipStream_tbDpT10_ENKUlT_T0_E_clISt17integral_constantIbLb0EES18_EEDaS13_S14_EUlS13_E_NS1_11comp_targetILNS1_3genE9ELNS1_11target_archE1100ELNS1_3gpuE3ELNS1_3repE0EEENS1_30default_config_static_selectorELNS0_4arch9wavefront6targetE0EEEvT1_.has_indirect_call, 0
	.section	.AMDGPU.csdata,"",@progbits
; Kernel info:
; codeLenInByte = 0
; TotalNumSgprs: 0
; NumVgprs: 0
; ScratchSize: 0
; MemoryBound: 0
; FloatMode: 240
; IeeeMode: 1
; LDSByteSize: 0 bytes/workgroup (compile time only)
; SGPRBlocks: 0
; VGPRBlocks: 0
; NumSGPRsForWavesPerEU: 1
; NumVGPRsForWavesPerEU: 1
; Occupancy: 16
; WaveLimiterHint : 0
; COMPUTE_PGM_RSRC2:SCRATCH_EN: 0
; COMPUTE_PGM_RSRC2:USER_SGPR: 2
; COMPUTE_PGM_RSRC2:TRAP_HANDLER: 0
; COMPUTE_PGM_RSRC2:TGID_X_EN: 1
; COMPUTE_PGM_RSRC2:TGID_Y_EN: 0
; COMPUTE_PGM_RSRC2:TGID_Z_EN: 0
; COMPUTE_PGM_RSRC2:TIDIG_COMP_CNT: 0
	.section	.text._ZN7rocprim17ROCPRIM_400000_NS6detail17trampoline_kernelINS0_14default_configENS1_25partition_config_selectorILNS1_17partition_subalgoE6EsNS0_10empty_typeEbEEZZNS1_14partition_implILS5_6ELb0ES3_mN6thrust23THRUST_200600_302600_NS6detail15normal_iteratorINSA_10device_ptrIsEEEEPS6_SG_NS0_5tupleIJSF_S6_EEENSH_IJSG_SG_EEES6_PlJNSB_9not_fun_tI7is_trueIsEEEEEE10hipError_tPvRmT3_T4_T5_T6_T7_T9_mT8_P12ihipStream_tbDpT10_ENKUlT_T0_E_clISt17integral_constantIbLb0EES18_EEDaS13_S14_EUlS13_E_NS1_11comp_targetILNS1_3genE8ELNS1_11target_archE1030ELNS1_3gpuE2ELNS1_3repE0EEENS1_30default_config_static_selectorELNS0_4arch9wavefront6targetE0EEEvT1_,"axG",@progbits,_ZN7rocprim17ROCPRIM_400000_NS6detail17trampoline_kernelINS0_14default_configENS1_25partition_config_selectorILNS1_17partition_subalgoE6EsNS0_10empty_typeEbEEZZNS1_14partition_implILS5_6ELb0ES3_mN6thrust23THRUST_200600_302600_NS6detail15normal_iteratorINSA_10device_ptrIsEEEEPS6_SG_NS0_5tupleIJSF_S6_EEENSH_IJSG_SG_EEES6_PlJNSB_9not_fun_tI7is_trueIsEEEEEE10hipError_tPvRmT3_T4_T5_T6_T7_T9_mT8_P12ihipStream_tbDpT10_ENKUlT_T0_E_clISt17integral_constantIbLb0EES18_EEDaS13_S14_EUlS13_E_NS1_11comp_targetILNS1_3genE8ELNS1_11target_archE1030ELNS1_3gpuE2ELNS1_3repE0EEENS1_30default_config_static_selectorELNS0_4arch9wavefront6targetE0EEEvT1_,comdat
	.protected	_ZN7rocprim17ROCPRIM_400000_NS6detail17trampoline_kernelINS0_14default_configENS1_25partition_config_selectorILNS1_17partition_subalgoE6EsNS0_10empty_typeEbEEZZNS1_14partition_implILS5_6ELb0ES3_mN6thrust23THRUST_200600_302600_NS6detail15normal_iteratorINSA_10device_ptrIsEEEEPS6_SG_NS0_5tupleIJSF_S6_EEENSH_IJSG_SG_EEES6_PlJNSB_9not_fun_tI7is_trueIsEEEEEE10hipError_tPvRmT3_T4_T5_T6_T7_T9_mT8_P12ihipStream_tbDpT10_ENKUlT_T0_E_clISt17integral_constantIbLb0EES18_EEDaS13_S14_EUlS13_E_NS1_11comp_targetILNS1_3genE8ELNS1_11target_archE1030ELNS1_3gpuE2ELNS1_3repE0EEENS1_30default_config_static_selectorELNS0_4arch9wavefront6targetE0EEEvT1_ ; -- Begin function _ZN7rocprim17ROCPRIM_400000_NS6detail17trampoline_kernelINS0_14default_configENS1_25partition_config_selectorILNS1_17partition_subalgoE6EsNS0_10empty_typeEbEEZZNS1_14partition_implILS5_6ELb0ES3_mN6thrust23THRUST_200600_302600_NS6detail15normal_iteratorINSA_10device_ptrIsEEEEPS6_SG_NS0_5tupleIJSF_S6_EEENSH_IJSG_SG_EEES6_PlJNSB_9not_fun_tI7is_trueIsEEEEEE10hipError_tPvRmT3_T4_T5_T6_T7_T9_mT8_P12ihipStream_tbDpT10_ENKUlT_T0_E_clISt17integral_constantIbLb0EES18_EEDaS13_S14_EUlS13_E_NS1_11comp_targetILNS1_3genE8ELNS1_11target_archE1030ELNS1_3gpuE2ELNS1_3repE0EEENS1_30default_config_static_selectorELNS0_4arch9wavefront6targetE0EEEvT1_
	.globl	_ZN7rocprim17ROCPRIM_400000_NS6detail17trampoline_kernelINS0_14default_configENS1_25partition_config_selectorILNS1_17partition_subalgoE6EsNS0_10empty_typeEbEEZZNS1_14partition_implILS5_6ELb0ES3_mN6thrust23THRUST_200600_302600_NS6detail15normal_iteratorINSA_10device_ptrIsEEEEPS6_SG_NS0_5tupleIJSF_S6_EEENSH_IJSG_SG_EEES6_PlJNSB_9not_fun_tI7is_trueIsEEEEEE10hipError_tPvRmT3_T4_T5_T6_T7_T9_mT8_P12ihipStream_tbDpT10_ENKUlT_T0_E_clISt17integral_constantIbLb0EES18_EEDaS13_S14_EUlS13_E_NS1_11comp_targetILNS1_3genE8ELNS1_11target_archE1030ELNS1_3gpuE2ELNS1_3repE0EEENS1_30default_config_static_selectorELNS0_4arch9wavefront6targetE0EEEvT1_
	.p2align	8
	.type	_ZN7rocprim17ROCPRIM_400000_NS6detail17trampoline_kernelINS0_14default_configENS1_25partition_config_selectorILNS1_17partition_subalgoE6EsNS0_10empty_typeEbEEZZNS1_14partition_implILS5_6ELb0ES3_mN6thrust23THRUST_200600_302600_NS6detail15normal_iteratorINSA_10device_ptrIsEEEEPS6_SG_NS0_5tupleIJSF_S6_EEENSH_IJSG_SG_EEES6_PlJNSB_9not_fun_tI7is_trueIsEEEEEE10hipError_tPvRmT3_T4_T5_T6_T7_T9_mT8_P12ihipStream_tbDpT10_ENKUlT_T0_E_clISt17integral_constantIbLb0EES18_EEDaS13_S14_EUlS13_E_NS1_11comp_targetILNS1_3genE8ELNS1_11target_archE1030ELNS1_3gpuE2ELNS1_3repE0EEENS1_30default_config_static_selectorELNS0_4arch9wavefront6targetE0EEEvT1_,@function
_ZN7rocprim17ROCPRIM_400000_NS6detail17trampoline_kernelINS0_14default_configENS1_25partition_config_selectorILNS1_17partition_subalgoE6EsNS0_10empty_typeEbEEZZNS1_14partition_implILS5_6ELb0ES3_mN6thrust23THRUST_200600_302600_NS6detail15normal_iteratorINSA_10device_ptrIsEEEEPS6_SG_NS0_5tupleIJSF_S6_EEENSH_IJSG_SG_EEES6_PlJNSB_9not_fun_tI7is_trueIsEEEEEE10hipError_tPvRmT3_T4_T5_T6_T7_T9_mT8_P12ihipStream_tbDpT10_ENKUlT_T0_E_clISt17integral_constantIbLb0EES18_EEDaS13_S14_EUlS13_E_NS1_11comp_targetILNS1_3genE8ELNS1_11target_archE1030ELNS1_3gpuE2ELNS1_3repE0EEENS1_30default_config_static_selectorELNS0_4arch9wavefront6targetE0EEEvT1_: ; @_ZN7rocprim17ROCPRIM_400000_NS6detail17trampoline_kernelINS0_14default_configENS1_25partition_config_selectorILNS1_17partition_subalgoE6EsNS0_10empty_typeEbEEZZNS1_14partition_implILS5_6ELb0ES3_mN6thrust23THRUST_200600_302600_NS6detail15normal_iteratorINSA_10device_ptrIsEEEEPS6_SG_NS0_5tupleIJSF_S6_EEENSH_IJSG_SG_EEES6_PlJNSB_9not_fun_tI7is_trueIsEEEEEE10hipError_tPvRmT3_T4_T5_T6_T7_T9_mT8_P12ihipStream_tbDpT10_ENKUlT_T0_E_clISt17integral_constantIbLb0EES18_EEDaS13_S14_EUlS13_E_NS1_11comp_targetILNS1_3genE8ELNS1_11target_archE1030ELNS1_3gpuE2ELNS1_3repE0EEENS1_30default_config_static_selectorELNS0_4arch9wavefront6targetE0EEEvT1_
; %bb.0:
	.section	.rodata,"a",@progbits
	.p2align	6, 0x0
	.amdhsa_kernel _ZN7rocprim17ROCPRIM_400000_NS6detail17trampoline_kernelINS0_14default_configENS1_25partition_config_selectorILNS1_17partition_subalgoE6EsNS0_10empty_typeEbEEZZNS1_14partition_implILS5_6ELb0ES3_mN6thrust23THRUST_200600_302600_NS6detail15normal_iteratorINSA_10device_ptrIsEEEEPS6_SG_NS0_5tupleIJSF_S6_EEENSH_IJSG_SG_EEES6_PlJNSB_9not_fun_tI7is_trueIsEEEEEE10hipError_tPvRmT3_T4_T5_T6_T7_T9_mT8_P12ihipStream_tbDpT10_ENKUlT_T0_E_clISt17integral_constantIbLb0EES18_EEDaS13_S14_EUlS13_E_NS1_11comp_targetILNS1_3genE8ELNS1_11target_archE1030ELNS1_3gpuE2ELNS1_3repE0EEENS1_30default_config_static_selectorELNS0_4arch9wavefront6targetE0EEEvT1_
		.amdhsa_group_segment_fixed_size 0
		.amdhsa_private_segment_fixed_size 0
		.amdhsa_kernarg_size 112
		.amdhsa_user_sgpr_count 2
		.amdhsa_user_sgpr_dispatch_ptr 0
		.amdhsa_user_sgpr_queue_ptr 0
		.amdhsa_user_sgpr_kernarg_segment_ptr 1
		.amdhsa_user_sgpr_dispatch_id 0
		.amdhsa_user_sgpr_private_segment_size 0
		.amdhsa_wavefront_size32 1
		.amdhsa_uses_dynamic_stack 0
		.amdhsa_enable_private_segment 0
		.amdhsa_system_sgpr_workgroup_id_x 1
		.amdhsa_system_sgpr_workgroup_id_y 0
		.amdhsa_system_sgpr_workgroup_id_z 0
		.amdhsa_system_sgpr_workgroup_info 0
		.amdhsa_system_vgpr_workitem_id 0
		.amdhsa_next_free_vgpr 1
		.amdhsa_next_free_sgpr 1
		.amdhsa_reserve_vcc 0
		.amdhsa_float_round_mode_32 0
		.amdhsa_float_round_mode_16_64 0
		.amdhsa_float_denorm_mode_32 3
		.amdhsa_float_denorm_mode_16_64 3
		.amdhsa_fp16_overflow 0
		.amdhsa_workgroup_processor_mode 1
		.amdhsa_memory_ordered 1
		.amdhsa_forward_progress 1
		.amdhsa_inst_pref_size 0
		.amdhsa_round_robin_scheduling 0
		.amdhsa_exception_fp_ieee_invalid_op 0
		.amdhsa_exception_fp_denorm_src 0
		.amdhsa_exception_fp_ieee_div_zero 0
		.amdhsa_exception_fp_ieee_overflow 0
		.amdhsa_exception_fp_ieee_underflow 0
		.amdhsa_exception_fp_ieee_inexact 0
		.amdhsa_exception_int_div_zero 0
	.end_amdhsa_kernel
	.section	.text._ZN7rocprim17ROCPRIM_400000_NS6detail17trampoline_kernelINS0_14default_configENS1_25partition_config_selectorILNS1_17partition_subalgoE6EsNS0_10empty_typeEbEEZZNS1_14partition_implILS5_6ELb0ES3_mN6thrust23THRUST_200600_302600_NS6detail15normal_iteratorINSA_10device_ptrIsEEEEPS6_SG_NS0_5tupleIJSF_S6_EEENSH_IJSG_SG_EEES6_PlJNSB_9not_fun_tI7is_trueIsEEEEEE10hipError_tPvRmT3_T4_T5_T6_T7_T9_mT8_P12ihipStream_tbDpT10_ENKUlT_T0_E_clISt17integral_constantIbLb0EES18_EEDaS13_S14_EUlS13_E_NS1_11comp_targetILNS1_3genE8ELNS1_11target_archE1030ELNS1_3gpuE2ELNS1_3repE0EEENS1_30default_config_static_selectorELNS0_4arch9wavefront6targetE0EEEvT1_,"axG",@progbits,_ZN7rocprim17ROCPRIM_400000_NS6detail17trampoline_kernelINS0_14default_configENS1_25partition_config_selectorILNS1_17partition_subalgoE6EsNS0_10empty_typeEbEEZZNS1_14partition_implILS5_6ELb0ES3_mN6thrust23THRUST_200600_302600_NS6detail15normal_iteratorINSA_10device_ptrIsEEEEPS6_SG_NS0_5tupleIJSF_S6_EEENSH_IJSG_SG_EEES6_PlJNSB_9not_fun_tI7is_trueIsEEEEEE10hipError_tPvRmT3_T4_T5_T6_T7_T9_mT8_P12ihipStream_tbDpT10_ENKUlT_T0_E_clISt17integral_constantIbLb0EES18_EEDaS13_S14_EUlS13_E_NS1_11comp_targetILNS1_3genE8ELNS1_11target_archE1030ELNS1_3gpuE2ELNS1_3repE0EEENS1_30default_config_static_selectorELNS0_4arch9wavefront6targetE0EEEvT1_,comdat
.Lfunc_end1276:
	.size	_ZN7rocprim17ROCPRIM_400000_NS6detail17trampoline_kernelINS0_14default_configENS1_25partition_config_selectorILNS1_17partition_subalgoE6EsNS0_10empty_typeEbEEZZNS1_14partition_implILS5_6ELb0ES3_mN6thrust23THRUST_200600_302600_NS6detail15normal_iteratorINSA_10device_ptrIsEEEEPS6_SG_NS0_5tupleIJSF_S6_EEENSH_IJSG_SG_EEES6_PlJNSB_9not_fun_tI7is_trueIsEEEEEE10hipError_tPvRmT3_T4_T5_T6_T7_T9_mT8_P12ihipStream_tbDpT10_ENKUlT_T0_E_clISt17integral_constantIbLb0EES18_EEDaS13_S14_EUlS13_E_NS1_11comp_targetILNS1_3genE8ELNS1_11target_archE1030ELNS1_3gpuE2ELNS1_3repE0EEENS1_30default_config_static_selectorELNS0_4arch9wavefront6targetE0EEEvT1_, .Lfunc_end1276-_ZN7rocprim17ROCPRIM_400000_NS6detail17trampoline_kernelINS0_14default_configENS1_25partition_config_selectorILNS1_17partition_subalgoE6EsNS0_10empty_typeEbEEZZNS1_14partition_implILS5_6ELb0ES3_mN6thrust23THRUST_200600_302600_NS6detail15normal_iteratorINSA_10device_ptrIsEEEEPS6_SG_NS0_5tupleIJSF_S6_EEENSH_IJSG_SG_EEES6_PlJNSB_9not_fun_tI7is_trueIsEEEEEE10hipError_tPvRmT3_T4_T5_T6_T7_T9_mT8_P12ihipStream_tbDpT10_ENKUlT_T0_E_clISt17integral_constantIbLb0EES18_EEDaS13_S14_EUlS13_E_NS1_11comp_targetILNS1_3genE8ELNS1_11target_archE1030ELNS1_3gpuE2ELNS1_3repE0EEENS1_30default_config_static_selectorELNS0_4arch9wavefront6targetE0EEEvT1_
                                        ; -- End function
	.set _ZN7rocprim17ROCPRIM_400000_NS6detail17trampoline_kernelINS0_14default_configENS1_25partition_config_selectorILNS1_17partition_subalgoE6EsNS0_10empty_typeEbEEZZNS1_14partition_implILS5_6ELb0ES3_mN6thrust23THRUST_200600_302600_NS6detail15normal_iteratorINSA_10device_ptrIsEEEEPS6_SG_NS0_5tupleIJSF_S6_EEENSH_IJSG_SG_EEES6_PlJNSB_9not_fun_tI7is_trueIsEEEEEE10hipError_tPvRmT3_T4_T5_T6_T7_T9_mT8_P12ihipStream_tbDpT10_ENKUlT_T0_E_clISt17integral_constantIbLb0EES18_EEDaS13_S14_EUlS13_E_NS1_11comp_targetILNS1_3genE8ELNS1_11target_archE1030ELNS1_3gpuE2ELNS1_3repE0EEENS1_30default_config_static_selectorELNS0_4arch9wavefront6targetE0EEEvT1_.num_vgpr, 0
	.set _ZN7rocprim17ROCPRIM_400000_NS6detail17trampoline_kernelINS0_14default_configENS1_25partition_config_selectorILNS1_17partition_subalgoE6EsNS0_10empty_typeEbEEZZNS1_14partition_implILS5_6ELb0ES3_mN6thrust23THRUST_200600_302600_NS6detail15normal_iteratorINSA_10device_ptrIsEEEEPS6_SG_NS0_5tupleIJSF_S6_EEENSH_IJSG_SG_EEES6_PlJNSB_9not_fun_tI7is_trueIsEEEEEE10hipError_tPvRmT3_T4_T5_T6_T7_T9_mT8_P12ihipStream_tbDpT10_ENKUlT_T0_E_clISt17integral_constantIbLb0EES18_EEDaS13_S14_EUlS13_E_NS1_11comp_targetILNS1_3genE8ELNS1_11target_archE1030ELNS1_3gpuE2ELNS1_3repE0EEENS1_30default_config_static_selectorELNS0_4arch9wavefront6targetE0EEEvT1_.num_agpr, 0
	.set _ZN7rocprim17ROCPRIM_400000_NS6detail17trampoline_kernelINS0_14default_configENS1_25partition_config_selectorILNS1_17partition_subalgoE6EsNS0_10empty_typeEbEEZZNS1_14partition_implILS5_6ELb0ES3_mN6thrust23THRUST_200600_302600_NS6detail15normal_iteratorINSA_10device_ptrIsEEEEPS6_SG_NS0_5tupleIJSF_S6_EEENSH_IJSG_SG_EEES6_PlJNSB_9not_fun_tI7is_trueIsEEEEEE10hipError_tPvRmT3_T4_T5_T6_T7_T9_mT8_P12ihipStream_tbDpT10_ENKUlT_T0_E_clISt17integral_constantIbLb0EES18_EEDaS13_S14_EUlS13_E_NS1_11comp_targetILNS1_3genE8ELNS1_11target_archE1030ELNS1_3gpuE2ELNS1_3repE0EEENS1_30default_config_static_selectorELNS0_4arch9wavefront6targetE0EEEvT1_.numbered_sgpr, 0
	.set _ZN7rocprim17ROCPRIM_400000_NS6detail17trampoline_kernelINS0_14default_configENS1_25partition_config_selectorILNS1_17partition_subalgoE6EsNS0_10empty_typeEbEEZZNS1_14partition_implILS5_6ELb0ES3_mN6thrust23THRUST_200600_302600_NS6detail15normal_iteratorINSA_10device_ptrIsEEEEPS6_SG_NS0_5tupleIJSF_S6_EEENSH_IJSG_SG_EEES6_PlJNSB_9not_fun_tI7is_trueIsEEEEEE10hipError_tPvRmT3_T4_T5_T6_T7_T9_mT8_P12ihipStream_tbDpT10_ENKUlT_T0_E_clISt17integral_constantIbLb0EES18_EEDaS13_S14_EUlS13_E_NS1_11comp_targetILNS1_3genE8ELNS1_11target_archE1030ELNS1_3gpuE2ELNS1_3repE0EEENS1_30default_config_static_selectorELNS0_4arch9wavefront6targetE0EEEvT1_.num_named_barrier, 0
	.set _ZN7rocprim17ROCPRIM_400000_NS6detail17trampoline_kernelINS0_14default_configENS1_25partition_config_selectorILNS1_17partition_subalgoE6EsNS0_10empty_typeEbEEZZNS1_14partition_implILS5_6ELb0ES3_mN6thrust23THRUST_200600_302600_NS6detail15normal_iteratorINSA_10device_ptrIsEEEEPS6_SG_NS0_5tupleIJSF_S6_EEENSH_IJSG_SG_EEES6_PlJNSB_9not_fun_tI7is_trueIsEEEEEE10hipError_tPvRmT3_T4_T5_T6_T7_T9_mT8_P12ihipStream_tbDpT10_ENKUlT_T0_E_clISt17integral_constantIbLb0EES18_EEDaS13_S14_EUlS13_E_NS1_11comp_targetILNS1_3genE8ELNS1_11target_archE1030ELNS1_3gpuE2ELNS1_3repE0EEENS1_30default_config_static_selectorELNS0_4arch9wavefront6targetE0EEEvT1_.private_seg_size, 0
	.set _ZN7rocprim17ROCPRIM_400000_NS6detail17trampoline_kernelINS0_14default_configENS1_25partition_config_selectorILNS1_17partition_subalgoE6EsNS0_10empty_typeEbEEZZNS1_14partition_implILS5_6ELb0ES3_mN6thrust23THRUST_200600_302600_NS6detail15normal_iteratorINSA_10device_ptrIsEEEEPS6_SG_NS0_5tupleIJSF_S6_EEENSH_IJSG_SG_EEES6_PlJNSB_9not_fun_tI7is_trueIsEEEEEE10hipError_tPvRmT3_T4_T5_T6_T7_T9_mT8_P12ihipStream_tbDpT10_ENKUlT_T0_E_clISt17integral_constantIbLb0EES18_EEDaS13_S14_EUlS13_E_NS1_11comp_targetILNS1_3genE8ELNS1_11target_archE1030ELNS1_3gpuE2ELNS1_3repE0EEENS1_30default_config_static_selectorELNS0_4arch9wavefront6targetE0EEEvT1_.uses_vcc, 0
	.set _ZN7rocprim17ROCPRIM_400000_NS6detail17trampoline_kernelINS0_14default_configENS1_25partition_config_selectorILNS1_17partition_subalgoE6EsNS0_10empty_typeEbEEZZNS1_14partition_implILS5_6ELb0ES3_mN6thrust23THRUST_200600_302600_NS6detail15normal_iteratorINSA_10device_ptrIsEEEEPS6_SG_NS0_5tupleIJSF_S6_EEENSH_IJSG_SG_EEES6_PlJNSB_9not_fun_tI7is_trueIsEEEEEE10hipError_tPvRmT3_T4_T5_T6_T7_T9_mT8_P12ihipStream_tbDpT10_ENKUlT_T0_E_clISt17integral_constantIbLb0EES18_EEDaS13_S14_EUlS13_E_NS1_11comp_targetILNS1_3genE8ELNS1_11target_archE1030ELNS1_3gpuE2ELNS1_3repE0EEENS1_30default_config_static_selectorELNS0_4arch9wavefront6targetE0EEEvT1_.uses_flat_scratch, 0
	.set _ZN7rocprim17ROCPRIM_400000_NS6detail17trampoline_kernelINS0_14default_configENS1_25partition_config_selectorILNS1_17partition_subalgoE6EsNS0_10empty_typeEbEEZZNS1_14partition_implILS5_6ELb0ES3_mN6thrust23THRUST_200600_302600_NS6detail15normal_iteratorINSA_10device_ptrIsEEEEPS6_SG_NS0_5tupleIJSF_S6_EEENSH_IJSG_SG_EEES6_PlJNSB_9not_fun_tI7is_trueIsEEEEEE10hipError_tPvRmT3_T4_T5_T6_T7_T9_mT8_P12ihipStream_tbDpT10_ENKUlT_T0_E_clISt17integral_constantIbLb0EES18_EEDaS13_S14_EUlS13_E_NS1_11comp_targetILNS1_3genE8ELNS1_11target_archE1030ELNS1_3gpuE2ELNS1_3repE0EEENS1_30default_config_static_selectorELNS0_4arch9wavefront6targetE0EEEvT1_.has_dyn_sized_stack, 0
	.set _ZN7rocprim17ROCPRIM_400000_NS6detail17trampoline_kernelINS0_14default_configENS1_25partition_config_selectorILNS1_17partition_subalgoE6EsNS0_10empty_typeEbEEZZNS1_14partition_implILS5_6ELb0ES3_mN6thrust23THRUST_200600_302600_NS6detail15normal_iteratorINSA_10device_ptrIsEEEEPS6_SG_NS0_5tupleIJSF_S6_EEENSH_IJSG_SG_EEES6_PlJNSB_9not_fun_tI7is_trueIsEEEEEE10hipError_tPvRmT3_T4_T5_T6_T7_T9_mT8_P12ihipStream_tbDpT10_ENKUlT_T0_E_clISt17integral_constantIbLb0EES18_EEDaS13_S14_EUlS13_E_NS1_11comp_targetILNS1_3genE8ELNS1_11target_archE1030ELNS1_3gpuE2ELNS1_3repE0EEENS1_30default_config_static_selectorELNS0_4arch9wavefront6targetE0EEEvT1_.has_recursion, 0
	.set _ZN7rocprim17ROCPRIM_400000_NS6detail17trampoline_kernelINS0_14default_configENS1_25partition_config_selectorILNS1_17partition_subalgoE6EsNS0_10empty_typeEbEEZZNS1_14partition_implILS5_6ELb0ES3_mN6thrust23THRUST_200600_302600_NS6detail15normal_iteratorINSA_10device_ptrIsEEEEPS6_SG_NS0_5tupleIJSF_S6_EEENSH_IJSG_SG_EEES6_PlJNSB_9not_fun_tI7is_trueIsEEEEEE10hipError_tPvRmT3_T4_T5_T6_T7_T9_mT8_P12ihipStream_tbDpT10_ENKUlT_T0_E_clISt17integral_constantIbLb0EES18_EEDaS13_S14_EUlS13_E_NS1_11comp_targetILNS1_3genE8ELNS1_11target_archE1030ELNS1_3gpuE2ELNS1_3repE0EEENS1_30default_config_static_selectorELNS0_4arch9wavefront6targetE0EEEvT1_.has_indirect_call, 0
	.section	.AMDGPU.csdata,"",@progbits
; Kernel info:
; codeLenInByte = 0
; TotalNumSgprs: 0
; NumVgprs: 0
; ScratchSize: 0
; MemoryBound: 0
; FloatMode: 240
; IeeeMode: 1
; LDSByteSize: 0 bytes/workgroup (compile time only)
; SGPRBlocks: 0
; VGPRBlocks: 0
; NumSGPRsForWavesPerEU: 1
; NumVGPRsForWavesPerEU: 1
; Occupancy: 16
; WaveLimiterHint : 0
; COMPUTE_PGM_RSRC2:SCRATCH_EN: 0
; COMPUTE_PGM_RSRC2:USER_SGPR: 2
; COMPUTE_PGM_RSRC2:TRAP_HANDLER: 0
; COMPUTE_PGM_RSRC2:TGID_X_EN: 1
; COMPUTE_PGM_RSRC2:TGID_Y_EN: 0
; COMPUTE_PGM_RSRC2:TGID_Z_EN: 0
; COMPUTE_PGM_RSRC2:TIDIG_COMP_CNT: 0
	.section	.text._ZN7rocprim17ROCPRIM_400000_NS6detail17trampoline_kernelINS0_14default_configENS1_25partition_config_selectorILNS1_17partition_subalgoE6EsNS0_10empty_typeEbEEZZNS1_14partition_implILS5_6ELb0ES3_mN6thrust23THRUST_200600_302600_NS6detail15normal_iteratorINSA_10device_ptrIsEEEEPS6_SG_NS0_5tupleIJSF_S6_EEENSH_IJSG_SG_EEES6_PlJNSB_9not_fun_tI7is_trueIsEEEEEE10hipError_tPvRmT3_T4_T5_T6_T7_T9_mT8_P12ihipStream_tbDpT10_ENKUlT_T0_E_clISt17integral_constantIbLb1EES18_EEDaS13_S14_EUlS13_E_NS1_11comp_targetILNS1_3genE0ELNS1_11target_archE4294967295ELNS1_3gpuE0ELNS1_3repE0EEENS1_30default_config_static_selectorELNS0_4arch9wavefront6targetE0EEEvT1_,"axG",@progbits,_ZN7rocprim17ROCPRIM_400000_NS6detail17trampoline_kernelINS0_14default_configENS1_25partition_config_selectorILNS1_17partition_subalgoE6EsNS0_10empty_typeEbEEZZNS1_14partition_implILS5_6ELb0ES3_mN6thrust23THRUST_200600_302600_NS6detail15normal_iteratorINSA_10device_ptrIsEEEEPS6_SG_NS0_5tupleIJSF_S6_EEENSH_IJSG_SG_EEES6_PlJNSB_9not_fun_tI7is_trueIsEEEEEE10hipError_tPvRmT3_T4_T5_T6_T7_T9_mT8_P12ihipStream_tbDpT10_ENKUlT_T0_E_clISt17integral_constantIbLb1EES18_EEDaS13_S14_EUlS13_E_NS1_11comp_targetILNS1_3genE0ELNS1_11target_archE4294967295ELNS1_3gpuE0ELNS1_3repE0EEENS1_30default_config_static_selectorELNS0_4arch9wavefront6targetE0EEEvT1_,comdat
	.protected	_ZN7rocprim17ROCPRIM_400000_NS6detail17trampoline_kernelINS0_14default_configENS1_25partition_config_selectorILNS1_17partition_subalgoE6EsNS0_10empty_typeEbEEZZNS1_14partition_implILS5_6ELb0ES3_mN6thrust23THRUST_200600_302600_NS6detail15normal_iteratorINSA_10device_ptrIsEEEEPS6_SG_NS0_5tupleIJSF_S6_EEENSH_IJSG_SG_EEES6_PlJNSB_9not_fun_tI7is_trueIsEEEEEE10hipError_tPvRmT3_T4_T5_T6_T7_T9_mT8_P12ihipStream_tbDpT10_ENKUlT_T0_E_clISt17integral_constantIbLb1EES18_EEDaS13_S14_EUlS13_E_NS1_11comp_targetILNS1_3genE0ELNS1_11target_archE4294967295ELNS1_3gpuE0ELNS1_3repE0EEENS1_30default_config_static_selectorELNS0_4arch9wavefront6targetE0EEEvT1_ ; -- Begin function _ZN7rocprim17ROCPRIM_400000_NS6detail17trampoline_kernelINS0_14default_configENS1_25partition_config_selectorILNS1_17partition_subalgoE6EsNS0_10empty_typeEbEEZZNS1_14partition_implILS5_6ELb0ES3_mN6thrust23THRUST_200600_302600_NS6detail15normal_iteratorINSA_10device_ptrIsEEEEPS6_SG_NS0_5tupleIJSF_S6_EEENSH_IJSG_SG_EEES6_PlJNSB_9not_fun_tI7is_trueIsEEEEEE10hipError_tPvRmT3_T4_T5_T6_T7_T9_mT8_P12ihipStream_tbDpT10_ENKUlT_T0_E_clISt17integral_constantIbLb1EES18_EEDaS13_S14_EUlS13_E_NS1_11comp_targetILNS1_3genE0ELNS1_11target_archE4294967295ELNS1_3gpuE0ELNS1_3repE0EEENS1_30default_config_static_selectorELNS0_4arch9wavefront6targetE0EEEvT1_
	.globl	_ZN7rocprim17ROCPRIM_400000_NS6detail17trampoline_kernelINS0_14default_configENS1_25partition_config_selectorILNS1_17partition_subalgoE6EsNS0_10empty_typeEbEEZZNS1_14partition_implILS5_6ELb0ES3_mN6thrust23THRUST_200600_302600_NS6detail15normal_iteratorINSA_10device_ptrIsEEEEPS6_SG_NS0_5tupleIJSF_S6_EEENSH_IJSG_SG_EEES6_PlJNSB_9not_fun_tI7is_trueIsEEEEEE10hipError_tPvRmT3_T4_T5_T6_T7_T9_mT8_P12ihipStream_tbDpT10_ENKUlT_T0_E_clISt17integral_constantIbLb1EES18_EEDaS13_S14_EUlS13_E_NS1_11comp_targetILNS1_3genE0ELNS1_11target_archE4294967295ELNS1_3gpuE0ELNS1_3repE0EEENS1_30default_config_static_selectorELNS0_4arch9wavefront6targetE0EEEvT1_
	.p2align	8
	.type	_ZN7rocprim17ROCPRIM_400000_NS6detail17trampoline_kernelINS0_14default_configENS1_25partition_config_selectorILNS1_17partition_subalgoE6EsNS0_10empty_typeEbEEZZNS1_14partition_implILS5_6ELb0ES3_mN6thrust23THRUST_200600_302600_NS6detail15normal_iteratorINSA_10device_ptrIsEEEEPS6_SG_NS0_5tupleIJSF_S6_EEENSH_IJSG_SG_EEES6_PlJNSB_9not_fun_tI7is_trueIsEEEEEE10hipError_tPvRmT3_T4_T5_T6_T7_T9_mT8_P12ihipStream_tbDpT10_ENKUlT_T0_E_clISt17integral_constantIbLb1EES18_EEDaS13_S14_EUlS13_E_NS1_11comp_targetILNS1_3genE0ELNS1_11target_archE4294967295ELNS1_3gpuE0ELNS1_3repE0EEENS1_30default_config_static_selectorELNS0_4arch9wavefront6targetE0EEEvT1_,@function
_ZN7rocprim17ROCPRIM_400000_NS6detail17trampoline_kernelINS0_14default_configENS1_25partition_config_selectorILNS1_17partition_subalgoE6EsNS0_10empty_typeEbEEZZNS1_14partition_implILS5_6ELb0ES3_mN6thrust23THRUST_200600_302600_NS6detail15normal_iteratorINSA_10device_ptrIsEEEEPS6_SG_NS0_5tupleIJSF_S6_EEENSH_IJSG_SG_EEES6_PlJNSB_9not_fun_tI7is_trueIsEEEEEE10hipError_tPvRmT3_T4_T5_T6_T7_T9_mT8_P12ihipStream_tbDpT10_ENKUlT_T0_E_clISt17integral_constantIbLb1EES18_EEDaS13_S14_EUlS13_E_NS1_11comp_targetILNS1_3genE0ELNS1_11target_archE4294967295ELNS1_3gpuE0ELNS1_3repE0EEENS1_30default_config_static_selectorELNS0_4arch9wavefront6targetE0EEEvT1_: ; @_ZN7rocprim17ROCPRIM_400000_NS6detail17trampoline_kernelINS0_14default_configENS1_25partition_config_selectorILNS1_17partition_subalgoE6EsNS0_10empty_typeEbEEZZNS1_14partition_implILS5_6ELb0ES3_mN6thrust23THRUST_200600_302600_NS6detail15normal_iteratorINSA_10device_ptrIsEEEEPS6_SG_NS0_5tupleIJSF_S6_EEENSH_IJSG_SG_EEES6_PlJNSB_9not_fun_tI7is_trueIsEEEEEE10hipError_tPvRmT3_T4_T5_T6_T7_T9_mT8_P12ihipStream_tbDpT10_ENKUlT_T0_E_clISt17integral_constantIbLb1EES18_EEDaS13_S14_EUlS13_E_NS1_11comp_targetILNS1_3genE0ELNS1_11target_archE4294967295ELNS1_3gpuE0ELNS1_3repE0EEENS1_30default_config_static_selectorELNS0_4arch9wavefront6targetE0EEEvT1_
; %bb.0:
	.section	.rodata,"a",@progbits
	.p2align	6, 0x0
	.amdhsa_kernel _ZN7rocprim17ROCPRIM_400000_NS6detail17trampoline_kernelINS0_14default_configENS1_25partition_config_selectorILNS1_17partition_subalgoE6EsNS0_10empty_typeEbEEZZNS1_14partition_implILS5_6ELb0ES3_mN6thrust23THRUST_200600_302600_NS6detail15normal_iteratorINSA_10device_ptrIsEEEEPS6_SG_NS0_5tupleIJSF_S6_EEENSH_IJSG_SG_EEES6_PlJNSB_9not_fun_tI7is_trueIsEEEEEE10hipError_tPvRmT3_T4_T5_T6_T7_T9_mT8_P12ihipStream_tbDpT10_ENKUlT_T0_E_clISt17integral_constantIbLb1EES18_EEDaS13_S14_EUlS13_E_NS1_11comp_targetILNS1_3genE0ELNS1_11target_archE4294967295ELNS1_3gpuE0ELNS1_3repE0EEENS1_30default_config_static_selectorELNS0_4arch9wavefront6targetE0EEEvT1_
		.amdhsa_group_segment_fixed_size 0
		.amdhsa_private_segment_fixed_size 0
		.amdhsa_kernarg_size 128
		.amdhsa_user_sgpr_count 2
		.amdhsa_user_sgpr_dispatch_ptr 0
		.amdhsa_user_sgpr_queue_ptr 0
		.amdhsa_user_sgpr_kernarg_segment_ptr 1
		.amdhsa_user_sgpr_dispatch_id 0
		.amdhsa_user_sgpr_private_segment_size 0
		.amdhsa_wavefront_size32 1
		.amdhsa_uses_dynamic_stack 0
		.amdhsa_enable_private_segment 0
		.amdhsa_system_sgpr_workgroup_id_x 1
		.amdhsa_system_sgpr_workgroup_id_y 0
		.amdhsa_system_sgpr_workgroup_id_z 0
		.amdhsa_system_sgpr_workgroup_info 0
		.amdhsa_system_vgpr_workitem_id 0
		.amdhsa_next_free_vgpr 1
		.amdhsa_next_free_sgpr 1
		.amdhsa_reserve_vcc 0
		.amdhsa_float_round_mode_32 0
		.amdhsa_float_round_mode_16_64 0
		.amdhsa_float_denorm_mode_32 3
		.amdhsa_float_denorm_mode_16_64 3
		.amdhsa_fp16_overflow 0
		.amdhsa_workgroup_processor_mode 1
		.amdhsa_memory_ordered 1
		.amdhsa_forward_progress 1
		.amdhsa_inst_pref_size 0
		.amdhsa_round_robin_scheduling 0
		.amdhsa_exception_fp_ieee_invalid_op 0
		.amdhsa_exception_fp_denorm_src 0
		.amdhsa_exception_fp_ieee_div_zero 0
		.amdhsa_exception_fp_ieee_overflow 0
		.amdhsa_exception_fp_ieee_underflow 0
		.amdhsa_exception_fp_ieee_inexact 0
		.amdhsa_exception_int_div_zero 0
	.end_amdhsa_kernel
	.section	.text._ZN7rocprim17ROCPRIM_400000_NS6detail17trampoline_kernelINS0_14default_configENS1_25partition_config_selectorILNS1_17partition_subalgoE6EsNS0_10empty_typeEbEEZZNS1_14partition_implILS5_6ELb0ES3_mN6thrust23THRUST_200600_302600_NS6detail15normal_iteratorINSA_10device_ptrIsEEEEPS6_SG_NS0_5tupleIJSF_S6_EEENSH_IJSG_SG_EEES6_PlJNSB_9not_fun_tI7is_trueIsEEEEEE10hipError_tPvRmT3_T4_T5_T6_T7_T9_mT8_P12ihipStream_tbDpT10_ENKUlT_T0_E_clISt17integral_constantIbLb1EES18_EEDaS13_S14_EUlS13_E_NS1_11comp_targetILNS1_3genE0ELNS1_11target_archE4294967295ELNS1_3gpuE0ELNS1_3repE0EEENS1_30default_config_static_selectorELNS0_4arch9wavefront6targetE0EEEvT1_,"axG",@progbits,_ZN7rocprim17ROCPRIM_400000_NS6detail17trampoline_kernelINS0_14default_configENS1_25partition_config_selectorILNS1_17partition_subalgoE6EsNS0_10empty_typeEbEEZZNS1_14partition_implILS5_6ELb0ES3_mN6thrust23THRUST_200600_302600_NS6detail15normal_iteratorINSA_10device_ptrIsEEEEPS6_SG_NS0_5tupleIJSF_S6_EEENSH_IJSG_SG_EEES6_PlJNSB_9not_fun_tI7is_trueIsEEEEEE10hipError_tPvRmT3_T4_T5_T6_T7_T9_mT8_P12ihipStream_tbDpT10_ENKUlT_T0_E_clISt17integral_constantIbLb1EES18_EEDaS13_S14_EUlS13_E_NS1_11comp_targetILNS1_3genE0ELNS1_11target_archE4294967295ELNS1_3gpuE0ELNS1_3repE0EEENS1_30default_config_static_selectorELNS0_4arch9wavefront6targetE0EEEvT1_,comdat
.Lfunc_end1277:
	.size	_ZN7rocprim17ROCPRIM_400000_NS6detail17trampoline_kernelINS0_14default_configENS1_25partition_config_selectorILNS1_17partition_subalgoE6EsNS0_10empty_typeEbEEZZNS1_14partition_implILS5_6ELb0ES3_mN6thrust23THRUST_200600_302600_NS6detail15normal_iteratorINSA_10device_ptrIsEEEEPS6_SG_NS0_5tupleIJSF_S6_EEENSH_IJSG_SG_EEES6_PlJNSB_9not_fun_tI7is_trueIsEEEEEE10hipError_tPvRmT3_T4_T5_T6_T7_T9_mT8_P12ihipStream_tbDpT10_ENKUlT_T0_E_clISt17integral_constantIbLb1EES18_EEDaS13_S14_EUlS13_E_NS1_11comp_targetILNS1_3genE0ELNS1_11target_archE4294967295ELNS1_3gpuE0ELNS1_3repE0EEENS1_30default_config_static_selectorELNS0_4arch9wavefront6targetE0EEEvT1_, .Lfunc_end1277-_ZN7rocprim17ROCPRIM_400000_NS6detail17trampoline_kernelINS0_14default_configENS1_25partition_config_selectorILNS1_17partition_subalgoE6EsNS0_10empty_typeEbEEZZNS1_14partition_implILS5_6ELb0ES3_mN6thrust23THRUST_200600_302600_NS6detail15normal_iteratorINSA_10device_ptrIsEEEEPS6_SG_NS0_5tupleIJSF_S6_EEENSH_IJSG_SG_EEES6_PlJNSB_9not_fun_tI7is_trueIsEEEEEE10hipError_tPvRmT3_T4_T5_T6_T7_T9_mT8_P12ihipStream_tbDpT10_ENKUlT_T0_E_clISt17integral_constantIbLb1EES18_EEDaS13_S14_EUlS13_E_NS1_11comp_targetILNS1_3genE0ELNS1_11target_archE4294967295ELNS1_3gpuE0ELNS1_3repE0EEENS1_30default_config_static_selectorELNS0_4arch9wavefront6targetE0EEEvT1_
                                        ; -- End function
	.set _ZN7rocprim17ROCPRIM_400000_NS6detail17trampoline_kernelINS0_14default_configENS1_25partition_config_selectorILNS1_17partition_subalgoE6EsNS0_10empty_typeEbEEZZNS1_14partition_implILS5_6ELb0ES3_mN6thrust23THRUST_200600_302600_NS6detail15normal_iteratorINSA_10device_ptrIsEEEEPS6_SG_NS0_5tupleIJSF_S6_EEENSH_IJSG_SG_EEES6_PlJNSB_9not_fun_tI7is_trueIsEEEEEE10hipError_tPvRmT3_T4_T5_T6_T7_T9_mT8_P12ihipStream_tbDpT10_ENKUlT_T0_E_clISt17integral_constantIbLb1EES18_EEDaS13_S14_EUlS13_E_NS1_11comp_targetILNS1_3genE0ELNS1_11target_archE4294967295ELNS1_3gpuE0ELNS1_3repE0EEENS1_30default_config_static_selectorELNS0_4arch9wavefront6targetE0EEEvT1_.num_vgpr, 0
	.set _ZN7rocprim17ROCPRIM_400000_NS6detail17trampoline_kernelINS0_14default_configENS1_25partition_config_selectorILNS1_17partition_subalgoE6EsNS0_10empty_typeEbEEZZNS1_14partition_implILS5_6ELb0ES3_mN6thrust23THRUST_200600_302600_NS6detail15normal_iteratorINSA_10device_ptrIsEEEEPS6_SG_NS0_5tupleIJSF_S6_EEENSH_IJSG_SG_EEES6_PlJNSB_9not_fun_tI7is_trueIsEEEEEE10hipError_tPvRmT3_T4_T5_T6_T7_T9_mT8_P12ihipStream_tbDpT10_ENKUlT_T0_E_clISt17integral_constantIbLb1EES18_EEDaS13_S14_EUlS13_E_NS1_11comp_targetILNS1_3genE0ELNS1_11target_archE4294967295ELNS1_3gpuE0ELNS1_3repE0EEENS1_30default_config_static_selectorELNS0_4arch9wavefront6targetE0EEEvT1_.num_agpr, 0
	.set _ZN7rocprim17ROCPRIM_400000_NS6detail17trampoline_kernelINS0_14default_configENS1_25partition_config_selectorILNS1_17partition_subalgoE6EsNS0_10empty_typeEbEEZZNS1_14partition_implILS5_6ELb0ES3_mN6thrust23THRUST_200600_302600_NS6detail15normal_iteratorINSA_10device_ptrIsEEEEPS6_SG_NS0_5tupleIJSF_S6_EEENSH_IJSG_SG_EEES6_PlJNSB_9not_fun_tI7is_trueIsEEEEEE10hipError_tPvRmT3_T4_T5_T6_T7_T9_mT8_P12ihipStream_tbDpT10_ENKUlT_T0_E_clISt17integral_constantIbLb1EES18_EEDaS13_S14_EUlS13_E_NS1_11comp_targetILNS1_3genE0ELNS1_11target_archE4294967295ELNS1_3gpuE0ELNS1_3repE0EEENS1_30default_config_static_selectorELNS0_4arch9wavefront6targetE0EEEvT1_.numbered_sgpr, 0
	.set _ZN7rocprim17ROCPRIM_400000_NS6detail17trampoline_kernelINS0_14default_configENS1_25partition_config_selectorILNS1_17partition_subalgoE6EsNS0_10empty_typeEbEEZZNS1_14partition_implILS5_6ELb0ES3_mN6thrust23THRUST_200600_302600_NS6detail15normal_iteratorINSA_10device_ptrIsEEEEPS6_SG_NS0_5tupleIJSF_S6_EEENSH_IJSG_SG_EEES6_PlJNSB_9not_fun_tI7is_trueIsEEEEEE10hipError_tPvRmT3_T4_T5_T6_T7_T9_mT8_P12ihipStream_tbDpT10_ENKUlT_T0_E_clISt17integral_constantIbLb1EES18_EEDaS13_S14_EUlS13_E_NS1_11comp_targetILNS1_3genE0ELNS1_11target_archE4294967295ELNS1_3gpuE0ELNS1_3repE0EEENS1_30default_config_static_selectorELNS0_4arch9wavefront6targetE0EEEvT1_.num_named_barrier, 0
	.set _ZN7rocprim17ROCPRIM_400000_NS6detail17trampoline_kernelINS0_14default_configENS1_25partition_config_selectorILNS1_17partition_subalgoE6EsNS0_10empty_typeEbEEZZNS1_14partition_implILS5_6ELb0ES3_mN6thrust23THRUST_200600_302600_NS6detail15normal_iteratorINSA_10device_ptrIsEEEEPS6_SG_NS0_5tupleIJSF_S6_EEENSH_IJSG_SG_EEES6_PlJNSB_9not_fun_tI7is_trueIsEEEEEE10hipError_tPvRmT3_T4_T5_T6_T7_T9_mT8_P12ihipStream_tbDpT10_ENKUlT_T0_E_clISt17integral_constantIbLb1EES18_EEDaS13_S14_EUlS13_E_NS1_11comp_targetILNS1_3genE0ELNS1_11target_archE4294967295ELNS1_3gpuE0ELNS1_3repE0EEENS1_30default_config_static_selectorELNS0_4arch9wavefront6targetE0EEEvT1_.private_seg_size, 0
	.set _ZN7rocprim17ROCPRIM_400000_NS6detail17trampoline_kernelINS0_14default_configENS1_25partition_config_selectorILNS1_17partition_subalgoE6EsNS0_10empty_typeEbEEZZNS1_14partition_implILS5_6ELb0ES3_mN6thrust23THRUST_200600_302600_NS6detail15normal_iteratorINSA_10device_ptrIsEEEEPS6_SG_NS0_5tupleIJSF_S6_EEENSH_IJSG_SG_EEES6_PlJNSB_9not_fun_tI7is_trueIsEEEEEE10hipError_tPvRmT3_T4_T5_T6_T7_T9_mT8_P12ihipStream_tbDpT10_ENKUlT_T0_E_clISt17integral_constantIbLb1EES18_EEDaS13_S14_EUlS13_E_NS1_11comp_targetILNS1_3genE0ELNS1_11target_archE4294967295ELNS1_3gpuE0ELNS1_3repE0EEENS1_30default_config_static_selectorELNS0_4arch9wavefront6targetE0EEEvT1_.uses_vcc, 0
	.set _ZN7rocprim17ROCPRIM_400000_NS6detail17trampoline_kernelINS0_14default_configENS1_25partition_config_selectorILNS1_17partition_subalgoE6EsNS0_10empty_typeEbEEZZNS1_14partition_implILS5_6ELb0ES3_mN6thrust23THRUST_200600_302600_NS6detail15normal_iteratorINSA_10device_ptrIsEEEEPS6_SG_NS0_5tupleIJSF_S6_EEENSH_IJSG_SG_EEES6_PlJNSB_9not_fun_tI7is_trueIsEEEEEE10hipError_tPvRmT3_T4_T5_T6_T7_T9_mT8_P12ihipStream_tbDpT10_ENKUlT_T0_E_clISt17integral_constantIbLb1EES18_EEDaS13_S14_EUlS13_E_NS1_11comp_targetILNS1_3genE0ELNS1_11target_archE4294967295ELNS1_3gpuE0ELNS1_3repE0EEENS1_30default_config_static_selectorELNS0_4arch9wavefront6targetE0EEEvT1_.uses_flat_scratch, 0
	.set _ZN7rocprim17ROCPRIM_400000_NS6detail17trampoline_kernelINS0_14default_configENS1_25partition_config_selectorILNS1_17partition_subalgoE6EsNS0_10empty_typeEbEEZZNS1_14partition_implILS5_6ELb0ES3_mN6thrust23THRUST_200600_302600_NS6detail15normal_iteratorINSA_10device_ptrIsEEEEPS6_SG_NS0_5tupleIJSF_S6_EEENSH_IJSG_SG_EEES6_PlJNSB_9not_fun_tI7is_trueIsEEEEEE10hipError_tPvRmT3_T4_T5_T6_T7_T9_mT8_P12ihipStream_tbDpT10_ENKUlT_T0_E_clISt17integral_constantIbLb1EES18_EEDaS13_S14_EUlS13_E_NS1_11comp_targetILNS1_3genE0ELNS1_11target_archE4294967295ELNS1_3gpuE0ELNS1_3repE0EEENS1_30default_config_static_selectorELNS0_4arch9wavefront6targetE0EEEvT1_.has_dyn_sized_stack, 0
	.set _ZN7rocprim17ROCPRIM_400000_NS6detail17trampoline_kernelINS0_14default_configENS1_25partition_config_selectorILNS1_17partition_subalgoE6EsNS0_10empty_typeEbEEZZNS1_14partition_implILS5_6ELb0ES3_mN6thrust23THRUST_200600_302600_NS6detail15normal_iteratorINSA_10device_ptrIsEEEEPS6_SG_NS0_5tupleIJSF_S6_EEENSH_IJSG_SG_EEES6_PlJNSB_9not_fun_tI7is_trueIsEEEEEE10hipError_tPvRmT3_T4_T5_T6_T7_T9_mT8_P12ihipStream_tbDpT10_ENKUlT_T0_E_clISt17integral_constantIbLb1EES18_EEDaS13_S14_EUlS13_E_NS1_11comp_targetILNS1_3genE0ELNS1_11target_archE4294967295ELNS1_3gpuE0ELNS1_3repE0EEENS1_30default_config_static_selectorELNS0_4arch9wavefront6targetE0EEEvT1_.has_recursion, 0
	.set _ZN7rocprim17ROCPRIM_400000_NS6detail17trampoline_kernelINS0_14default_configENS1_25partition_config_selectorILNS1_17partition_subalgoE6EsNS0_10empty_typeEbEEZZNS1_14partition_implILS5_6ELb0ES3_mN6thrust23THRUST_200600_302600_NS6detail15normal_iteratorINSA_10device_ptrIsEEEEPS6_SG_NS0_5tupleIJSF_S6_EEENSH_IJSG_SG_EEES6_PlJNSB_9not_fun_tI7is_trueIsEEEEEE10hipError_tPvRmT3_T4_T5_T6_T7_T9_mT8_P12ihipStream_tbDpT10_ENKUlT_T0_E_clISt17integral_constantIbLb1EES18_EEDaS13_S14_EUlS13_E_NS1_11comp_targetILNS1_3genE0ELNS1_11target_archE4294967295ELNS1_3gpuE0ELNS1_3repE0EEENS1_30default_config_static_selectorELNS0_4arch9wavefront6targetE0EEEvT1_.has_indirect_call, 0
	.section	.AMDGPU.csdata,"",@progbits
; Kernel info:
; codeLenInByte = 0
; TotalNumSgprs: 0
; NumVgprs: 0
; ScratchSize: 0
; MemoryBound: 0
; FloatMode: 240
; IeeeMode: 1
; LDSByteSize: 0 bytes/workgroup (compile time only)
; SGPRBlocks: 0
; VGPRBlocks: 0
; NumSGPRsForWavesPerEU: 1
; NumVGPRsForWavesPerEU: 1
; Occupancy: 16
; WaveLimiterHint : 0
; COMPUTE_PGM_RSRC2:SCRATCH_EN: 0
; COMPUTE_PGM_RSRC2:USER_SGPR: 2
; COMPUTE_PGM_RSRC2:TRAP_HANDLER: 0
; COMPUTE_PGM_RSRC2:TGID_X_EN: 1
; COMPUTE_PGM_RSRC2:TGID_Y_EN: 0
; COMPUTE_PGM_RSRC2:TGID_Z_EN: 0
; COMPUTE_PGM_RSRC2:TIDIG_COMP_CNT: 0
	.section	.text._ZN7rocprim17ROCPRIM_400000_NS6detail17trampoline_kernelINS0_14default_configENS1_25partition_config_selectorILNS1_17partition_subalgoE6EsNS0_10empty_typeEbEEZZNS1_14partition_implILS5_6ELb0ES3_mN6thrust23THRUST_200600_302600_NS6detail15normal_iteratorINSA_10device_ptrIsEEEEPS6_SG_NS0_5tupleIJSF_S6_EEENSH_IJSG_SG_EEES6_PlJNSB_9not_fun_tI7is_trueIsEEEEEE10hipError_tPvRmT3_T4_T5_T6_T7_T9_mT8_P12ihipStream_tbDpT10_ENKUlT_T0_E_clISt17integral_constantIbLb1EES18_EEDaS13_S14_EUlS13_E_NS1_11comp_targetILNS1_3genE5ELNS1_11target_archE942ELNS1_3gpuE9ELNS1_3repE0EEENS1_30default_config_static_selectorELNS0_4arch9wavefront6targetE0EEEvT1_,"axG",@progbits,_ZN7rocprim17ROCPRIM_400000_NS6detail17trampoline_kernelINS0_14default_configENS1_25partition_config_selectorILNS1_17partition_subalgoE6EsNS0_10empty_typeEbEEZZNS1_14partition_implILS5_6ELb0ES3_mN6thrust23THRUST_200600_302600_NS6detail15normal_iteratorINSA_10device_ptrIsEEEEPS6_SG_NS0_5tupleIJSF_S6_EEENSH_IJSG_SG_EEES6_PlJNSB_9not_fun_tI7is_trueIsEEEEEE10hipError_tPvRmT3_T4_T5_T6_T7_T9_mT8_P12ihipStream_tbDpT10_ENKUlT_T0_E_clISt17integral_constantIbLb1EES18_EEDaS13_S14_EUlS13_E_NS1_11comp_targetILNS1_3genE5ELNS1_11target_archE942ELNS1_3gpuE9ELNS1_3repE0EEENS1_30default_config_static_selectorELNS0_4arch9wavefront6targetE0EEEvT1_,comdat
	.protected	_ZN7rocprim17ROCPRIM_400000_NS6detail17trampoline_kernelINS0_14default_configENS1_25partition_config_selectorILNS1_17partition_subalgoE6EsNS0_10empty_typeEbEEZZNS1_14partition_implILS5_6ELb0ES3_mN6thrust23THRUST_200600_302600_NS6detail15normal_iteratorINSA_10device_ptrIsEEEEPS6_SG_NS0_5tupleIJSF_S6_EEENSH_IJSG_SG_EEES6_PlJNSB_9not_fun_tI7is_trueIsEEEEEE10hipError_tPvRmT3_T4_T5_T6_T7_T9_mT8_P12ihipStream_tbDpT10_ENKUlT_T0_E_clISt17integral_constantIbLb1EES18_EEDaS13_S14_EUlS13_E_NS1_11comp_targetILNS1_3genE5ELNS1_11target_archE942ELNS1_3gpuE9ELNS1_3repE0EEENS1_30default_config_static_selectorELNS0_4arch9wavefront6targetE0EEEvT1_ ; -- Begin function _ZN7rocprim17ROCPRIM_400000_NS6detail17trampoline_kernelINS0_14default_configENS1_25partition_config_selectorILNS1_17partition_subalgoE6EsNS0_10empty_typeEbEEZZNS1_14partition_implILS5_6ELb0ES3_mN6thrust23THRUST_200600_302600_NS6detail15normal_iteratorINSA_10device_ptrIsEEEEPS6_SG_NS0_5tupleIJSF_S6_EEENSH_IJSG_SG_EEES6_PlJNSB_9not_fun_tI7is_trueIsEEEEEE10hipError_tPvRmT3_T4_T5_T6_T7_T9_mT8_P12ihipStream_tbDpT10_ENKUlT_T0_E_clISt17integral_constantIbLb1EES18_EEDaS13_S14_EUlS13_E_NS1_11comp_targetILNS1_3genE5ELNS1_11target_archE942ELNS1_3gpuE9ELNS1_3repE0EEENS1_30default_config_static_selectorELNS0_4arch9wavefront6targetE0EEEvT1_
	.globl	_ZN7rocprim17ROCPRIM_400000_NS6detail17trampoline_kernelINS0_14default_configENS1_25partition_config_selectorILNS1_17partition_subalgoE6EsNS0_10empty_typeEbEEZZNS1_14partition_implILS5_6ELb0ES3_mN6thrust23THRUST_200600_302600_NS6detail15normal_iteratorINSA_10device_ptrIsEEEEPS6_SG_NS0_5tupleIJSF_S6_EEENSH_IJSG_SG_EEES6_PlJNSB_9not_fun_tI7is_trueIsEEEEEE10hipError_tPvRmT3_T4_T5_T6_T7_T9_mT8_P12ihipStream_tbDpT10_ENKUlT_T0_E_clISt17integral_constantIbLb1EES18_EEDaS13_S14_EUlS13_E_NS1_11comp_targetILNS1_3genE5ELNS1_11target_archE942ELNS1_3gpuE9ELNS1_3repE0EEENS1_30default_config_static_selectorELNS0_4arch9wavefront6targetE0EEEvT1_
	.p2align	8
	.type	_ZN7rocprim17ROCPRIM_400000_NS6detail17trampoline_kernelINS0_14default_configENS1_25partition_config_selectorILNS1_17partition_subalgoE6EsNS0_10empty_typeEbEEZZNS1_14partition_implILS5_6ELb0ES3_mN6thrust23THRUST_200600_302600_NS6detail15normal_iteratorINSA_10device_ptrIsEEEEPS6_SG_NS0_5tupleIJSF_S6_EEENSH_IJSG_SG_EEES6_PlJNSB_9not_fun_tI7is_trueIsEEEEEE10hipError_tPvRmT3_T4_T5_T6_T7_T9_mT8_P12ihipStream_tbDpT10_ENKUlT_T0_E_clISt17integral_constantIbLb1EES18_EEDaS13_S14_EUlS13_E_NS1_11comp_targetILNS1_3genE5ELNS1_11target_archE942ELNS1_3gpuE9ELNS1_3repE0EEENS1_30default_config_static_selectorELNS0_4arch9wavefront6targetE0EEEvT1_,@function
_ZN7rocprim17ROCPRIM_400000_NS6detail17trampoline_kernelINS0_14default_configENS1_25partition_config_selectorILNS1_17partition_subalgoE6EsNS0_10empty_typeEbEEZZNS1_14partition_implILS5_6ELb0ES3_mN6thrust23THRUST_200600_302600_NS6detail15normal_iteratorINSA_10device_ptrIsEEEEPS6_SG_NS0_5tupleIJSF_S6_EEENSH_IJSG_SG_EEES6_PlJNSB_9not_fun_tI7is_trueIsEEEEEE10hipError_tPvRmT3_T4_T5_T6_T7_T9_mT8_P12ihipStream_tbDpT10_ENKUlT_T0_E_clISt17integral_constantIbLb1EES18_EEDaS13_S14_EUlS13_E_NS1_11comp_targetILNS1_3genE5ELNS1_11target_archE942ELNS1_3gpuE9ELNS1_3repE0EEENS1_30default_config_static_selectorELNS0_4arch9wavefront6targetE0EEEvT1_: ; @_ZN7rocprim17ROCPRIM_400000_NS6detail17trampoline_kernelINS0_14default_configENS1_25partition_config_selectorILNS1_17partition_subalgoE6EsNS0_10empty_typeEbEEZZNS1_14partition_implILS5_6ELb0ES3_mN6thrust23THRUST_200600_302600_NS6detail15normal_iteratorINSA_10device_ptrIsEEEEPS6_SG_NS0_5tupleIJSF_S6_EEENSH_IJSG_SG_EEES6_PlJNSB_9not_fun_tI7is_trueIsEEEEEE10hipError_tPvRmT3_T4_T5_T6_T7_T9_mT8_P12ihipStream_tbDpT10_ENKUlT_T0_E_clISt17integral_constantIbLb1EES18_EEDaS13_S14_EUlS13_E_NS1_11comp_targetILNS1_3genE5ELNS1_11target_archE942ELNS1_3gpuE9ELNS1_3repE0EEENS1_30default_config_static_selectorELNS0_4arch9wavefront6targetE0EEEvT1_
; %bb.0:
	.section	.rodata,"a",@progbits
	.p2align	6, 0x0
	.amdhsa_kernel _ZN7rocprim17ROCPRIM_400000_NS6detail17trampoline_kernelINS0_14default_configENS1_25partition_config_selectorILNS1_17partition_subalgoE6EsNS0_10empty_typeEbEEZZNS1_14partition_implILS5_6ELb0ES3_mN6thrust23THRUST_200600_302600_NS6detail15normal_iteratorINSA_10device_ptrIsEEEEPS6_SG_NS0_5tupleIJSF_S6_EEENSH_IJSG_SG_EEES6_PlJNSB_9not_fun_tI7is_trueIsEEEEEE10hipError_tPvRmT3_T4_T5_T6_T7_T9_mT8_P12ihipStream_tbDpT10_ENKUlT_T0_E_clISt17integral_constantIbLb1EES18_EEDaS13_S14_EUlS13_E_NS1_11comp_targetILNS1_3genE5ELNS1_11target_archE942ELNS1_3gpuE9ELNS1_3repE0EEENS1_30default_config_static_selectorELNS0_4arch9wavefront6targetE0EEEvT1_
		.amdhsa_group_segment_fixed_size 0
		.amdhsa_private_segment_fixed_size 0
		.amdhsa_kernarg_size 128
		.amdhsa_user_sgpr_count 2
		.amdhsa_user_sgpr_dispatch_ptr 0
		.amdhsa_user_sgpr_queue_ptr 0
		.amdhsa_user_sgpr_kernarg_segment_ptr 1
		.amdhsa_user_sgpr_dispatch_id 0
		.amdhsa_user_sgpr_private_segment_size 0
		.amdhsa_wavefront_size32 1
		.amdhsa_uses_dynamic_stack 0
		.amdhsa_enable_private_segment 0
		.amdhsa_system_sgpr_workgroup_id_x 1
		.amdhsa_system_sgpr_workgroup_id_y 0
		.amdhsa_system_sgpr_workgroup_id_z 0
		.amdhsa_system_sgpr_workgroup_info 0
		.amdhsa_system_vgpr_workitem_id 0
		.amdhsa_next_free_vgpr 1
		.amdhsa_next_free_sgpr 1
		.amdhsa_reserve_vcc 0
		.amdhsa_float_round_mode_32 0
		.amdhsa_float_round_mode_16_64 0
		.amdhsa_float_denorm_mode_32 3
		.amdhsa_float_denorm_mode_16_64 3
		.amdhsa_fp16_overflow 0
		.amdhsa_workgroup_processor_mode 1
		.amdhsa_memory_ordered 1
		.amdhsa_forward_progress 1
		.amdhsa_inst_pref_size 0
		.amdhsa_round_robin_scheduling 0
		.amdhsa_exception_fp_ieee_invalid_op 0
		.amdhsa_exception_fp_denorm_src 0
		.amdhsa_exception_fp_ieee_div_zero 0
		.amdhsa_exception_fp_ieee_overflow 0
		.amdhsa_exception_fp_ieee_underflow 0
		.amdhsa_exception_fp_ieee_inexact 0
		.amdhsa_exception_int_div_zero 0
	.end_amdhsa_kernel
	.section	.text._ZN7rocprim17ROCPRIM_400000_NS6detail17trampoline_kernelINS0_14default_configENS1_25partition_config_selectorILNS1_17partition_subalgoE6EsNS0_10empty_typeEbEEZZNS1_14partition_implILS5_6ELb0ES3_mN6thrust23THRUST_200600_302600_NS6detail15normal_iteratorINSA_10device_ptrIsEEEEPS6_SG_NS0_5tupleIJSF_S6_EEENSH_IJSG_SG_EEES6_PlJNSB_9not_fun_tI7is_trueIsEEEEEE10hipError_tPvRmT3_T4_T5_T6_T7_T9_mT8_P12ihipStream_tbDpT10_ENKUlT_T0_E_clISt17integral_constantIbLb1EES18_EEDaS13_S14_EUlS13_E_NS1_11comp_targetILNS1_3genE5ELNS1_11target_archE942ELNS1_3gpuE9ELNS1_3repE0EEENS1_30default_config_static_selectorELNS0_4arch9wavefront6targetE0EEEvT1_,"axG",@progbits,_ZN7rocprim17ROCPRIM_400000_NS6detail17trampoline_kernelINS0_14default_configENS1_25partition_config_selectorILNS1_17partition_subalgoE6EsNS0_10empty_typeEbEEZZNS1_14partition_implILS5_6ELb0ES3_mN6thrust23THRUST_200600_302600_NS6detail15normal_iteratorINSA_10device_ptrIsEEEEPS6_SG_NS0_5tupleIJSF_S6_EEENSH_IJSG_SG_EEES6_PlJNSB_9not_fun_tI7is_trueIsEEEEEE10hipError_tPvRmT3_T4_T5_T6_T7_T9_mT8_P12ihipStream_tbDpT10_ENKUlT_T0_E_clISt17integral_constantIbLb1EES18_EEDaS13_S14_EUlS13_E_NS1_11comp_targetILNS1_3genE5ELNS1_11target_archE942ELNS1_3gpuE9ELNS1_3repE0EEENS1_30default_config_static_selectorELNS0_4arch9wavefront6targetE0EEEvT1_,comdat
.Lfunc_end1278:
	.size	_ZN7rocprim17ROCPRIM_400000_NS6detail17trampoline_kernelINS0_14default_configENS1_25partition_config_selectorILNS1_17partition_subalgoE6EsNS0_10empty_typeEbEEZZNS1_14partition_implILS5_6ELb0ES3_mN6thrust23THRUST_200600_302600_NS6detail15normal_iteratorINSA_10device_ptrIsEEEEPS6_SG_NS0_5tupleIJSF_S6_EEENSH_IJSG_SG_EEES6_PlJNSB_9not_fun_tI7is_trueIsEEEEEE10hipError_tPvRmT3_T4_T5_T6_T7_T9_mT8_P12ihipStream_tbDpT10_ENKUlT_T0_E_clISt17integral_constantIbLb1EES18_EEDaS13_S14_EUlS13_E_NS1_11comp_targetILNS1_3genE5ELNS1_11target_archE942ELNS1_3gpuE9ELNS1_3repE0EEENS1_30default_config_static_selectorELNS0_4arch9wavefront6targetE0EEEvT1_, .Lfunc_end1278-_ZN7rocprim17ROCPRIM_400000_NS6detail17trampoline_kernelINS0_14default_configENS1_25partition_config_selectorILNS1_17partition_subalgoE6EsNS0_10empty_typeEbEEZZNS1_14partition_implILS5_6ELb0ES3_mN6thrust23THRUST_200600_302600_NS6detail15normal_iteratorINSA_10device_ptrIsEEEEPS6_SG_NS0_5tupleIJSF_S6_EEENSH_IJSG_SG_EEES6_PlJNSB_9not_fun_tI7is_trueIsEEEEEE10hipError_tPvRmT3_T4_T5_T6_T7_T9_mT8_P12ihipStream_tbDpT10_ENKUlT_T0_E_clISt17integral_constantIbLb1EES18_EEDaS13_S14_EUlS13_E_NS1_11comp_targetILNS1_3genE5ELNS1_11target_archE942ELNS1_3gpuE9ELNS1_3repE0EEENS1_30default_config_static_selectorELNS0_4arch9wavefront6targetE0EEEvT1_
                                        ; -- End function
	.set _ZN7rocprim17ROCPRIM_400000_NS6detail17trampoline_kernelINS0_14default_configENS1_25partition_config_selectorILNS1_17partition_subalgoE6EsNS0_10empty_typeEbEEZZNS1_14partition_implILS5_6ELb0ES3_mN6thrust23THRUST_200600_302600_NS6detail15normal_iteratorINSA_10device_ptrIsEEEEPS6_SG_NS0_5tupleIJSF_S6_EEENSH_IJSG_SG_EEES6_PlJNSB_9not_fun_tI7is_trueIsEEEEEE10hipError_tPvRmT3_T4_T5_T6_T7_T9_mT8_P12ihipStream_tbDpT10_ENKUlT_T0_E_clISt17integral_constantIbLb1EES18_EEDaS13_S14_EUlS13_E_NS1_11comp_targetILNS1_3genE5ELNS1_11target_archE942ELNS1_3gpuE9ELNS1_3repE0EEENS1_30default_config_static_selectorELNS0_4arch9wavefront6targetE0EEEvT1_.num_vgpr, 0
	.set _ZN7rocprim17ROCPRIM_400000_NS6detail17trampoline_kernelINS0_14default_configENS1_25partition_config_selectorILNS1_17partition_subalgoE6EsNS0_10empty_typeEbEEZZNS1_14partition_implILS5_6ELb0ES3_mN6thrust23THRUST_200600_302600_NS6detail15normal_iteratorINSA_10device_ptrIsEEEEPS6_SG_NS0_5tupleIJSF_S6_EEENSH_IJSG_SG_EEES6_PlJNSB_9not_fun_tI7is_trueIsEEEEEE10hipError_tPvRmT3_T4_T5_T6_T7_T9_mT8_P12ihipStream_tbDpT10_ENKUlT_T0_E_clISt17integral_constantIbLb1EES18_EEDaS13_S14_EUlS13_E_NS1_11comp_targetILNS1_3genE5ELNS1_11target_archE942ELNS1_3gpuE9ELNS1_3repE0EEENS1_30default_config_static_selectorELNS0_4arch9wavefront6targetE0EEEvT1_.num_agpr, 0
	.set _ZN7rocprim17ROCPRIM_400000_NS6detail17trampoline_kernelINS0_14default_configENS1_25partition_config_selectorILNS1_17partition_subalgoE6EsNS0_10empty_typeEbEEZZNS1_14partition_implILS5_6ELb0ES3_mN6thrust23THRUST_200600_302600_NS6detail15normal_iteratorINSA_10device_ptrIsEEEEPS6_SG_NS0_5tupleIJSF_S6_EEENSH_IJSG_SG_EEES6_PlJNSB_9not_fun_tI7is_trueIsEEEEEE10hipError_tPvRmT3_T4_T5_T6_T7_T9_mT8_P12ihipStream_tbDpT10_ENKUlT_T0_E_clISt17integral_constantIbLb1EES18_EEDaS13_S14_EUlS13_E_NS1_11comp_targetILNS1_3genE5ELNS1_11target_archE942ELNS1_3gpuE9ELNS1_3repE0EEENS1_30default_config_static_selectorELNS0_4arch9wavefront6targetE0EEEvT1_.numbered_sgpr, 0
	.set _ZN7rocprim17ROCPRIM_400000_NS6detail17trampoline_kernelINS0_14default_configENS1_25partition_config_selectorILNS1_17partition_subalgoE6EsNS0_10empty_typeEbEEZZNS1_14partition_implILS5_6ELb0ES3_mN6thrust23THRUST_200600_302600_NS6detail15normal_iteratorINSA_10device_ptrIsEEEEPS6_SG_NS0_5tupleIJSF_S6_EEENSH_IJSG_SG_EEES6_PlJNSB_9not_fun_tI7is_trueIsEEEEEE10hipError_tPvRmT3_T4_T5_T6_T7_T9_mT8_P12ihipStream_tbDpT10_ENKUlT_T0_E_clISt17integral_constantIbLb1EES18_EEDaS13_S14_EUlS13_E_NS1_11comp_targetILNS1_3genE5ELNS1_11target_archE942ELNS1_3gpuE9ELNS1_3repE0EEENS1_30default_config_static_selectorELNS0_4arch9wavefront6targetE0EEEvT1_.num_named_barrier, 0
	.set _ZN7rocprim17ROCPRIM_400000_NS6detail17trampoline_kernelINS0_14default_configENS1_25partition_config_selectorILNS1_17partition_subalgoE6EsNS0_10empty_typeEbEEZZNS1_14partition_implILS5_6ELb0ES3_mN6thrust23THRUST_200600_302600_NS6detail15normal_iteratorINSA_10device_ptrIsEEEEPS6_SG_NS0_5tupleIJSF_S6_EEENSH_IJSG_SG_EEES6_PlJNSB_9not_fun_tI7is_trueIsEEEEEE10hipError_tPvRmT3_T4_T5_T6_T7_T9_mT8_P12ihipStream_tbDpT10_ENKUlT_T0_E_clISt17integral_constantIbLb1EES18_EEDaS13_S14_EUlS13_E_NS1_11comp_targetILNS1_3genE5ELNS1_11target_archE942ELNS1_3gpuE9ELNS1_3repE0EEENS1_30default_config_static_selectorELNS0_4arch9wavefront6targetE0EEEvT1_.private_seg_size, 0
	.set _ZN7rocprim17ROCPRIM_400000_NS6detail17trampoline_kernelINS0_14default_configENS1_25partition_config_selectorILNS1_17partition_subalgoE6EsNS0_10empty_typeEbEEZZNS1_14partition_implILS5_6ELb0ES3_mN6thrust23THRUST_200600_302600_NS6detail15normal_iteratorINSA_10device_ptrIsEEEEPS6_SG_NS0_5tupleIJSF_S6_EEENSH_IJSG_SG_EEES6_PlJNSB_9not_fun_tI7is_trueIsEEEEEE10hipError_tPvRmT3_T4_T5_T6_T7_T9_mT8_P12ihipStream_tbDpT10_ENKUlT_T0_E_clISt17integral_constantIbLb1EES18_EEDaS13_S14_EUlS13_E_NS1_11comp_targetILNS1_3genE5ELNS1_11target_archE942ELNS1_3gpuE9ELNS1_3repE0EEENS1_30default_config_static_selectorELNS0_4arch9wavefront6targetE0EEEvT1_.uses_vcc, 0
	.set _ZN7rocprim17ROCPRIM_400000_NS6detail17trampoline_kernelINS0_14default_configENS1_25partition_config_selectorILNS1_17partition_subalgoE6EsNS0_10empty_typeEbEEZZNS1_14partition_implILS5_6ELb0ES3_mN6thrust23THRUST_200600_302600_NS6detail15normal_iteratorINSA_10device_ptrIsEEEEPS6_SG_NS0_5tupleIJSF_S6_EEENSH_IJSG_SG_EEES6_PlJNSB_9not_fun_tI7is_trueIsEEEEEE10hipError_tPvRmT3_T4_T5_T6_T7_T9_mT8_P12ihipStream_tbDpT10_ENKUlT_T0_E_clISt17integral_constantIbLb1EES18_EEDaS13_S14_EUlS13_E_NS1_11comp_targetILNS1_3genE5ELNS1_11target_archE942ELNS1_3gpuE9ELNS1_3repE0EEENS1_30default_config_static_selectorELNS0_4arch9wavefront6targetE0EEEvT1_.uses_flat_scratch, 0
	.set _ZN7rocprim17ROCPRIM_400000_NS6detail17trampoline_kernelINS0_14default_configENS1_25partition_config_selectorILNS1_17partition_subalgoE6EsNS0_10empty_typeEbEEZZNS1_14partition_implILS5_6ELb0ES3_mN6thrust23THRUST_200600_302600_NS6detail15normal_iteratorINSA_10device_ptrIsEEEEPS6_SG_NS0_5tupleIJSF_S6_EEENSH_IJSG_SG_EEES6_PlJNSB_9not_fun_tI7is_trueIsEEEEEE10hipError_tPvRmT3_T4_T5_T6_T7_T9_mT8_P12ihipStream_tbDpT10_ENKUlT_T0_E_clISt17integral_constantIbLb1EES18_EEDaS13_S14_EUlS13_E_NS1_11comp_targetILNS1_3genE5ELNS1_11target_archE942ELNS1_3gpuE9ELNS1_3repE0EEENS1_30default_config_static_selectorELNS0_4arch9wavefront6targetE0EEEvT1_.has_dyn_sized_stack, 0
	.set _ZN7rocprim17ROCPRIM_400000_NS6detail17trampoline_kernelINS0_14default_configENS1_25partition_config_selectorILNS1_17partition_subalgoE6EsNS0_10empty_typeEbEEZZNS1_14partition_implILS5_6ELb0ES3_mN6thrust23THRUST_200600_302600_NS6detail15normal_iteratorINSA_10device_ptrIsEEEEPS6_SG_NS0_5tupleIJSF_S6_EEENSH_IJSG_SG_EEES6_PlJNSB_9not_fun_tI7is_trueIsEEEEEE10hipError_tPvRmT3_T4_T5_T6_T7_T9_mT8_P12ihipStream_tbDpT10_ENKUlT_T0_E_clISt17integral_constantIbLb1EES18_EEDaS13_S14_EUlS13_E_NS1_11comp_targetILNS1_3genE5ELNS1_11target_archE942ELNS1_3gpuE9ELNS1_3repE0EEENS1_30default_config_static_selectorELNS0_4arch9wavefront6targetE0EEEvT1_.has_recursion, 0
	.set _ZN7rocprim17ROCPRIM_400000_NS6detail17trampoline_kernelINS0_14default_configENS1_25partition_config_selectorILNS1_17partition_subalgoE6EsNS0_10empty_typeEbEEZZNS1_14partition_implILS5_6ELb0ES3_mN6thrust23THRUST_200600_302600_NS6detail15normal_iteratorINSA_10device_ptrIsEEEEPS6_SG_NS0_5tupleIJSF_S6_EEENSH_IJSG_SG_EEES6_PlJNSB_9not_fun_tI7is_trueIsEEEEEE10hipError_tPvRmT3_T4_T5_T6_T7_T9_mT8_P12ihipStream_tbDpT10_ENKUlT_T0_E_clISt17integral_constantIbLb1EES18_EEDaS13_S14_EUlS13_E_NS1_11comp_targetILNS1_3genE5ELNS1_11target_archE942ELNS1_3gpuE9ELNS1_3repE0EEENS1_30default_config_static_selectorELNS0_4arch9wavefront6targetE0EEEvT1_.has_indirect_call, 0
	.section	.AMDGPU.csdata,"",@progbits
; Kernel info:
; codeLenInByte = 0
; TotalNumSgprs: 0
; NumVgprs: 0
; ScratchSize: 0
; MemoryBound: 0
; FloatMode: 240
; IeeeMode: 1
; LDSByteSize: 0 bytes/workgroup (compile time only)
; SGPRBlocks: 0
; VGPRBlocks: 0
; NumSGPRsForWavesPerEU: 1
; NumVGPRsForWavesPerEU: 1
; Occupancy: 16
; WaveLimiterHint : 0
; COMPUTE_PGM_RSRC2:SCRATCH_EN: 0
; COMPUTE_PGM_RSRC2:USER_SGPR: 2
; COMPUTE_PGM_RSRC2:TRAP_HANDLER: 0
; COMPUTE_PGM_RSRC2:TGID_X_EN: 1
; COMPUTE_PGM_RSRC2:TGID_Y_EN: 0
; COMPUTE_PGM_RSRC2:TGID_Z_EN: 0
; COMPUTE_PGM_RSRC2:TIDIG_COMP_CNT: 0
	.section	.text._ZN7rocprim17ROCPRIM_400000_NS6detail17trampoline_kernelINS0_14default_configENS1_25partition_config_selectorILNS1_17partition_subalgoE6EsNS0_10empty_typeEbEEZZNS1_14partition_implILS5_6ELb0ES3_mN6thrust23THRUST_200600_302600_NS6detail15normal_iteratorINSA_10device_ptrIsEEEEPS6_SG_NS0_5tupleIJSF_S6_EEENSH_IJSG_SG_EEES6_PlJNSB_9not_fun_tI7is_trueIsEEEEEE10hipError_tPvRmT3_T4_T5_T6_T7_T9_mT8_P12ihipStream_tbDpT10_ENKUlT_T0_E_clISt17integral_constantIbLb1EES18_EEDaS13_S14_EUlS13_E_NS1_11comp_targetILNS1_3genE4ELNS1_11target_archE910ELNS1_3gpuE8ELNS1_3repE0EEENS1_30default_config_static_selectorELNS0_4arch9wavefront6targetE0EEEvT1_,"axG",@progbits,_ZN7rocprim17ROCPRIM_400000_NS6detail17trampoline_kernelINS0_14default_configENS1_25partition_config_selectorILNS1_17partition_subalgoE6EsNS0_10empty_typeEbEEZZNS1_14partition_implILS5_6ELb0ES3_mN6thrust23THRUST_200600_302600_NS6detail15normal_iteratorINSA_10device_ptrIsEEEEPS6_SG_NS0_5tupleIJSF_S6_EEENSH_IJSG_SG_EEES6_PlJNSB_9not_fun_tI7is_trueIsEEEEEE10hipError_tPvRmT3_T4_T5_T6_T7_T9_mT8_P12ihipStream_tbDpT10_ENKUlT_T0_E_clISt17integral_constantIbLb1EES18_EEDaS13_S14_EUlS13_E_NS1_11comp_targetILNS1_3genE4ELNS1_11target_archE910ELNS1_3gpuE8ELNS1_3repE0EEENS1_30default_config_static_selectorELNS0_4arch9wavefront6targetE0EEEvT1_,comdat
	.protected	_ZN7rocprim17ROCPRIM_400000_NS6detail17trampoline_kernelINS0_14default_configENS1_25partition_config_selectorILNS1_17partition_subalgoE6EsNS0_10empty_typeEbEEZZNS1_14partition_implILS5_6ELb0ES3_mN6thrust23THRUST_200600_302600_NS6detail15normal_iteratorINSA_10device_ptrIsEEEEPS6_SG_NS0_5tupleIJSF_S6_EEENSH_IJSG_SG_EEES6_PlJNSB_9not_fun_tI7is_trueIsEEEEEE10hipError_tPvRmT3_T4_T5_T6_T7_T9_mT8_P12ihipStream_tbDpT10_ENKUlT_T0_E_clISt17integral_constantIbLb1EES18_EEDaS13_S14_EUlS13_E_NS1_11comp_targetILNS1_3genE4ELNS1_11target_archE910ELNS1_3gpuE8ELNS1_3repE0EEENS1_30default_config_static_selectorELNS0_4arch9wavefront6targetE0EEEvT1_ ; -- Begin function _ZN7rocprim17ROCPRIM_400000_NS6detail17trampoline_kernelINS0_14default_configENS1_25partition_config_selectorILNS1_17partition_subalgoE6EsNS0_10empty_typeEbEEZZNS1_14partition_implILS5_6ELb0ES3_mN6thrust23THRUST_200600_302600_NS6detail15normal_iteratorINSA_10device_ptrIsEEEEPS6_SG_NS0_5tupleIJSF_S6_EEENSH_IJSG_SG_EEES6_PlJNSB_9not_fun_tI7is_trueIsEEEEEE10hipError_tPvRmT3_T4_T5_T6_T7_T9_mT8_P12ihipStream_tbDpT10_ENKUlT_T0_E_clISt17integral_constantIbLb1EES18_EEDaS13_S14_EUlS13_E_NS1_11comp_targetILNS1_3genE4ELNS1_11target_archE910ELNS1_3gpuE8ELNS1_3repE0EEENS1_30default_config_static_selectorELNS0_4arch9wavefront6targetE0EEEvT1_
	.globl	_ZN7rocprim17ROCPRIM_400000_NS6detail17trampoline_kernelINS0_14default_configENS1_25partition_config_selectorILNS1_17partition_subalgoE6EsNS0_10empty_typeEbEEZZNS1_14partition_implILS5_6ELb0ES3_mN6thrust23THRUST_200600_302600_NS6detail15normal_iteratorINSA_10device_ptrIsEEEEPS6_SG_NS0_5tupleIJSF_S6_EEENSH_IJSG_SG_EEES6_PlJNSB_9not_fun_tI7is_trueIsEEEEEE10hipError_tPvRmT3_T4_T5_T6_T7_T9_mT8_P12ihipStream_tbDpT10_ENKUlT_T0_E_clISt17integral_constantIbLb1EES18_EEDaS13_S14_EUlS13_E_NS1_11comp_targetILNS1_3genE4ELNS1_11target_archE910ELNS1_3gpuE8ELNS1_3repE0EEENS1_30default_config_static_selectorELNS0_4arch9wavefront6targetE0EEEvT1_
	.p2align	8
	.type	_ZN7rocprim17ROCPRIM_400000_NS6detail17trampoline_kernelINS0_14default_configENS1_25partition_config_selectorILNS1_17partition_subalgoE6EsNS0_10empty_typeEbEEZZNS1_14partition_implILS5_6ELb0ES3_mN6thrust23THRUST_200600_302600_NS6detail15normal_iteratorINSA_10device_ptrIsEEEEPS6_SG_NS0_5tupleIJSF_S6_EEENSH_IJSG_SG_EEES6_PlJNSB_9not_fun_tI7is_trueIsEEEEEE10hipError_tPvRmT3_T4_T5_T6_T7_T9_mT8_P12ihipStream_tbDpT10_ENKUlT_T0_E_clISt17integral_constantIbLb1EES18_EEDaS13_S14_EUlS13_E_NS1_11comp_targetILNS1_3genE4ELNS1_11target_archE910ELNS1_3gpuE8ELNS1_3repE0EEENS1_30default_config_static_selectorELNS0_4arch9wavefront6targetE0EEEvT1_,@function
_ZN7rocprim17ROCPRIM_400000_NS6detail17trampoline_kernelINS0_14default_configENS1_25partition_config_selectorILNS1_17partition_subalgoE6EsNS0_10empty_typeEbEEZZNS1_14partition_implILS5_6ELb0ES3_mN6thrust23THRUST_200600_302600_NS6detail15normal_iteratorINSA_10device_ptrIsEEEEPS6_SG_NS0_5tupleIJSF_S6_EEENSH_IJSG_SG_EEES6_PlJNSB_9not_fun_tI7is_trueIsEEEEEE10hipError_tPvRmT3_T4_T5_T6_T7_T9_mT8_P12ihipStream_tbDpT10_ENKUlT_T0_E_clISt17integral_constantIbLb1EES18_EEDaS13_S14_EUlS13_E_NS1_11comp_targetILNS1_3genE4ELNS1_11target_archE910ELNS1_3gpuE8ELNS1_3repE0EEENS1_30default_config_static_selectorELNS0_4arch9wavefront6targetE0EEEvT1_: ; @_ZN7rocprim17ROCPRIM_400000_NS6detail17trampoline_kernelINS0_14default_configENS1_25partition_config_selectorILNS1_17partition_subalgoE6EsNS0_10empty_typeEbEEZZNS1_14partition_implILS5_6ELb0ES3_mN6thrust23THRUST_200600_302600_NS6detail15normal_iteratorINSA_10device_ptrIsEEEEPS6_SG_NS0_5tupleIJSF_S6_EEENSH_IJSG_SG_EEES6_PlJNSB_9not_fun_tI7is_trueIsEEEEEE10hipError_tPvRmT3_T4_T5_T6_T7_T9_mT8_P12ihipStream_tbDpT10_ENKUlT_T0_E_clISt17integral_constantIbLb1EES18_EEDaS13_S14_EUlS13_E_NS1_11comp_targetILNS1_3genE4ELNS1_11target_archE910ELNS1_3gpuE8ELNS1_3repE0EEENS1_30default_config_static_selectorELNS0_4arch9wavefront6targetE0EEEvT1_
; %bb.0:
	.section	.rodata,"a",@progbits
	.p2align	6, 0x0
	.amdhsa_kernel _ZN7rocprim17ROCPRIM_400000_NS6detail17trampoline_kernelINS0_14default_configENS1_25partition_config_selectorILNS1_17partition_subalgoE6EsNS0_10empty_typeEbEEZZNS1_14partition_implILS5_6ELb0ES3_mN6thrust23THRUST_200600_302600_NS6detail15normal_iteratorINSA_10device_ptrIsEEEEPS6_SG_NS0_5tupleIJSF_S6_EEENSH_IJSG_SG_EEES6_PlJNSB_9not_fun_tI7is_trueIsEEEEEE10hipError_tPvRmT3_T4_T5_T6_T7_T9_mT8_P12ihipStream_tbDpT10_ENKUlT_T0_E_clISt17integral_constantIbLb1EES18_EEDaS13_S14_EUlS13_E_NS1_11comp_targetILNS1_3genE4ELNS1_11target_archE910ELNS1_3gpuE8ELNS1_3repE0EEENS1_30default_config_static_selectorELNS0_4arch9wavefront6targetE0EEEvT1_
		.amdhsa_group_segment_fixed_size 0
		.amdhsa_private_segment_fixed_size 0
		.amdhsa_kernarg_size 128
		.amdhsa_user_sgpr_count 2
		.amdhsa_user_sgpr_dispatch_ptr 0
		.amdhsa_user_sgpr_queue_ptr 0
		.amdhsa_user_sgpr_kernarg_segment_ptr 1
		.amdhsa_user_sgpr_dispatch_id 0
		.amdhsa_user_sgpr_private_segment_size 0
		.amdhsa_wavefront_size32 1
		.amdhsa_uses_dynamic_stack 0
		.amdhsa_enable_private_segment 0
		.amdhsa_system_sgpr_workgroup_id_x 1
		.amdhsa_system_sgpr_workgroup_id_y 0
		.amdhsa_system_sgpr_workgroup_id_z 0
		.amdhsa_system_sgpr_workgroup_info 0
		.amdhsa_system_vgpr_workitem_id 0
		.amdhsa_next_free_vgpr 1
		.amdhsa_next_free_sgpr 1
		.amdhsa_reserve_vcc 0
		.amdhsa_float_round_mode_32 0
		.amdhsa_float_round_mode_16_64 0
		.amdhsa_float_denorm_mode_32 3
		.amdhsa_float_denorm_mode_16_64 3
		.amdhsa_fp16_overflow 0
		.amdhsa_workgroup_processor_mode 1
		.amdhsa_memory_ordered 1
		.amdhsa_forward_progress 1
		.amdhsa_inst_pref_size 0
		.amdhsa_round_robin_scheduling 0
		.amdhsa_exception_fp_ieee_invalid_op 0
		.amdhsa_exception_fp_denorm_src 0
		.amdhsa_exception_fp_ieee_div_zero 0
		.amdhsa_exception_fp_ieee_overflow 0
		.amdhsa_exception_fp_ieee_underflow 0
		.amdhsa_exception_fp_ieee_inexact 0
		.amdhsa_exception_int_div_zero 0
	.end_amdhsa_kernel
	.section	.text._ZN7rocprim17ROCPRIM_400000_NS6detail17trampoline_kernelINS0_14default_configENS1_25partition_config_selectorILNS1_17partition_subalgoE6EsNS0_10empty_typeEbEEZZNS1_14partition_implILS5_6ELb0ES3_mN6thrust23THRUST_200600_302600_NS6detail15normal_iteratorINSA_10device_ptrIsEEEEPS6_SG_NS0_5tupleIJSF_S6_EEENSH_IJSG_SG_EEES6_PlJNSB_9not_fun_tI7is_trueIsEEEEEE10hipError_tPvRmT3_T4_T5_T6_T7_T9_mT8_P12ihipStream_tbDpT10_ENKUlT_T0_E_clISt17integral_constantIbLb1EES18_EEDaS13_S14_EUlS13_E_NS1_11comp_targetILNS1_3genE4ELNS1_11target_archE910ELNS1_3gpuE8ELNS1_3repE0EEENS1_30default_config_static_selectorELNS0_4arch9wavefront6targetE0EEEvT1_,"axG",@progbits,_ZN7rocprim17ROCPRIM_400000_NS6detail17trampoline_kernelINS0_14default_configENS1_25partition_config_selectorILNS1_17partition_subalgoE6EsNS0_10empty_typeEbEEZZNS1_14partition_implILS5_6ELb0ES3_mN6thrust23THRUST_200600_302600_NS6detail15normal_iteratorINSA_10device_ptrIsEEEEPS6_SG_NS0_5tupleIJSF_S6_EEENSH_IJSG_SG_EEES6_PlJNSB_9not_fun_tI7is_trueIsEEEEEE10hipError_tPvRmT3_T4_T5_T6_T7_T9_mT8_P12ihipStream_tbDpT10_ENKUlT_T0_E_clISt17integral_constantIbLb1EES18_EEDaS13_S14_EUlS13_E_NS1_11comp_targetILNS1_3genE4ELNS1_11target_archE910ELNS1_3gpuE8ELNS1_3repE0EEENS1_30default_config_static_selectorELNS0_4arch9wavefront6targetE0EEEvT1_,comdat
.Lfunc_end1279:
	.size	_ZN7rocprim17ROCPRIM_400000_NS6detail17trampoline_kernelINS0_14default_configENS1_25partition_config_selectorILNS1_17partition_subalgoE6EsNS0_10empty_typeEbEEZZNS1_14partition_implILS5_6ELb0ES3_mN6thrust23THRUST_200600_302600_NS6detail15normal_iteratorINSA_10device_ptrIsEEEEPS6_SG_NS0_5tupleIJSF_S6_EEENSH_IJSG_SG_EEES6_PlJNSB_9not_fun_tI7is_trueIsEEEEEE10hipError_tPvRmT3_T4_T5_T6_T7_T9_mT8_P12ihipStream_tbDpT10_ENKUlT_T0_E_clISt17integral_constantIbLb1EES18_EEDaS13_S14_EUlS13_E_NS1_11comp_targetILNS1_3genE4ELNS1_11target_archE910ELNS1_3gpuE8ELNS1_3repE0EEENS1_30default_config_static_selectorELNS0_4arch9wavefront6targetE0EEEvT1_, .Lfunc_end1279-_ZN7rocprim17ROCPRIM_400000_NS6detail17trampoline_kernelINS0_14default_configENS1_25partition_config_selectorILNS1_17partition_subalgoE6EsNS0_10empty_typeEbEEZZNS1_14partition_implILS5_6ELb0ES3_mN6thrust23THRUST_200600_302600_NS6detail15normal_iteratorINSA_10device_ptrIsEEEEPS6_SG_NS0_5tupleIJSF_S6_EEENSH_IJSG_SG_EEES6_PlJNSB_9not_fun_tI7is_trueIsEEEEEE10hipError_tPvRmT3_T4_T5_T6_T7_T9_mT8_P12ihipStream_tbDpT10_ENKUlT_T0_E_clISt17integral_constantIbLb1EES18_EEDaS13_S14_EUlS13_E_NS1_11comp_targetILNS1_3genE4ELNS1_11target_archE910ELNS1_3gpuE8ELNS1_3repE0EEENS1_30default_config_static_selectorELNS0_4arch9wavefront6targetE0EEEvT1_
                                        ; -- End function
	.set _ZN7rocprim17ROCPRIM_400000_NS6detail17trampoline_kernelINS0_14default_configENS1_25partition_config_selectorILNS1_17partition_subalgoE6EsNS0_10empty_typeEbEEZZNS1_14partition_implILS5_6ELb0ES3_mN6thrust23THRUST_200600_302600_NS6detail15normal_iteratorINSA_10device_ptrIsEEEEPS6_SG_NS0_5tupleIJSF_S6_EEENSH_IJSG_SG_EEES6_PlJNSB_9not_fun_tI7is_trueIsEEEEEE10hipError_tPvRmT3_T4_T5_T6_T7_T9_mT8_P12ihipStream_tbDpT10_ENKUlT_T0_E_clISt17integral_constantIbLb1EES18_EEDaS13_S14_EUlS13_E_NS1_11comp_targetILNS1_3genE4ELNS1_11target_archE910ELNS1_3gpuE8ELNS1_3repE0EEENS1_30default_config_static_selectorELNS0_4arch9wavefront6targetE0EEEvT1_.num_vgpr, 0
	.set _ZN7rocprim17ROCPRIM_400000_NS6detail17trampoline_kernelINS0_14default_configENS1_25partition_config_selectorILNS1_17partition_subalgoE6EsNS0_10empty_typeEbEEZZNS1_14partition_implILS5_6ELb0ES3_mN6thrust23THRUST_200600_302600_NS6detail15normal_iteratorINSA_10device_ptrIsEEEEPS6_SG_NS0_5tupleIJSF_S6_EEENSH_IJSG_SG_EEES6_PlJNSB_9not_fun_tI7is_trueIsEEEEEE10hipError_tPvRmT3_T4_T5_T6_T7_T9_mT8_P12ihipStream_tbDpT10_ENKUlT_T0_E_clISt17integral_constantIbLb1EES18_EEDaS13_S14_EUlS13_E_NS1_11comp_targetILNS1_3genE4ELNS1_11target_archE910ELNS1_3gpuE8ELNS1_3repE0EEENS1_30default_config_static_selectorELNS0_4arch9wavefront6targetE0EEEvT1_.num_agpr, 0
	.set _ZN7rocprim17ROCPRIM_400000_NS6detail17trampoline_kernelINS0_14default_configENS1_25partition_config_selectorILNS1_17partition_subalgoE6EsNS0_10empty_typeEbEEZZNS1_14partition_implILS5_6ELb0ES3_mN6thrust23THRUST_200600_302600_NS6detail15normal_iteratorINSA_10device_ptrIsEEEEPS6_SG_NS0_5tupleIJSF_S6_EEENSH_IJSG_SG_EEES6_PlJNSB_9not_fun_tI7is_trueIsEEEEEE10hipError_tPvRmT3_T4_T5_T6_T7_T9_mT8_P12ihipStream_tbDpT10_ENKUlT_T0_E_clISt17integral_constantIbLb1EES18_EEDaS13_S14_EUlS13_E_NS1_11comp_targetILNS1_3genE4ELNS1_11target_archE910ELNS1_3gpuE8ELNS1_3repE0EEENS1_30default_config_static_selectorELNS0_4arch9wavefront6targetE0EEEvT1_.numbered_sgpr, 0
	.set _ZN7rocprim17ROCPRIM_400000_NS6detail17trampoline_kernelINS0_14default_configENS1_25partition_config_selectorILNS1_17partition_subalgoE6EsNS0_10empty_typeEbEEZZNS1_14partition_implILS5_6ELb0ES3_mN6thrust23THRUST_200600_302600_NS6detail15normal_iteratorINSA_10device_ptrIsEEEEPS6_SG_NS0_5tupleIJSF_S6_EEENSH_IJSG_SG_EEES6_PlJNSB_9not_fun_tI7is_trueIsEEEEEE10hipError_tPvRmT3_T4_T5_T6_T7_T9_mT8_P12ihipStream_tbDpT10_ENKUlT_T0_E_clISt17integral_constantIbLb1EES18_EEDaS13_S14_EUlS13_E_NS1_11comp_targetILNS1_3genE4ELNS1_11target_archE910ELNS1_3gpuE8ELNS1_3repE0EEENS1_30default_config_static_selectorELNS0_4arch9wavefront6targetE0EEEvT1_.num_named_barrier, 0
	.set _ZN7rocprim17ROCPRIM_400000_NS6detail17trampoline_kernelINS0_14default_configENS1_25partition_config_selectorILNS1_17partition_subalgoE6EsNS0_10empty_typeEbEEZZNS1_14partition_implILS5_6ELb0ES3_mN6thrust23THRUST_200600_302600_NS6detail15normal_iteratorINSA_10device_ptrIsEEEEPS6_SG_NS0_5tupleIJSF_S6_EEENSH_IJSG_SG_EEES6_PlJNSB_9not_fun_tI7is_trueIsEEEEEE10hipError_tPvRmT3_T4_T5_T6_T7_T9_mT8_P12ihipStream_tbDpT10_ENKUlT_T0_E_clISt17integral_constantIbLb1EES18_EEDaS13_S14_EUlS13_E_NS1_11comp_targetILNS1_3genE4ELNS1_11target_archE910ELNS1_3gpuE8ELNS1_3repE0EEENS1_30default_config_static_selectorELNS0_4arch9wavefront6targetE0EEEvT1_.private_seg_size, 0
	.set _ZN7rocprim17ROCPRIM_400000_NS6detail17trampoline_kernelINS0_14default_configENS1_25partition_config_selectorILNS1_17partition_subalgoE6EsNS0_10empty_typeEbEEZZNS1_14partition_implILS5_6ELb0ES3_mN6thrust23THRUST_200600_302600_NS6detail15normal_iteratorINSA_10device_ptrIsEEEEPS6_SG_NS0_5tupleIJSF_S6_EEENSH_IJSG_SG_EEES6_PlJNSB_9not_fun_tI7is_trueIsEEEEEE10hipError_tPvRmT3_T4_T5_T6_T7_T9_mT8_P12ihipStream_tbDpT10_ENKUlT_T0_E_clISt17integral_constantIbLb1EES18_EEDaS13_S14_EUlS13_E_NS1_11comp_targetILNS1_3genE4ELNS1_11target_archE910ELNS1_3gpuE8ELNS1_3repE0EEENS1_30default_config_static_selectorELNS0_4arch9wavefront6targetE0EEEvT1_.uses_vcc, 0
	.set _ZN7rocprim17ROCPRIM_400000_NS6detail17trampoline_kernelINS0_14default_configENS1_25partition_config_selectorILNS1_17partition_subalgoE6EsNS0_10empty_typeEbEEZZNS1_14partition_implILS5_6ELb0ES3_mN6thrust23THRUST_200600_302600_NS6detail15normal_iteratorINSA_10device_ptrIsEEEEPS6_SG_NS0_5tupleIJSF_S6_EEENSH_IJSG_SG_EEES6_PlJNSB_9not_fun_tI7is_trueIsEEEEEE10hipError_tPvRmT3_T4_T5_T6_T7_T9_mT8_P12ihipStream_tbDpT10_ENKUlT_T0_E_clISt17integral_constantIbLb1EES18_EEDaS13_S14_EUlS13_E_NS1_11comp_targetILNS1_3genE4ELNS1_11target_archE910ELNS1_3gpuE8ELNS1_3repE0EEENS1_30default_config_static_selectorELNS0_4arch9wavefront6targetE0EEEvT1_.uses_flat_scratch, 0
	.set _ZN7rocprim17ROCPRIM_400000_NS6detail17trampoline_kernelINS0_14default_configENS1_25partition_config_selectorILNS1_17partition_subalgoE6EsNS0_10empty_typeEbEEZZNS1_14partition_implILS5_6ELb0ES3_mN6thrust23THRUST_200600_302600_NS6detail15normal_iteratorINSA_10device_ptrIsEEEEPS6_SG_NS0_5tupleIJSF_S6_EEENSH_IJSG_SG_EEES6_PlJNSB_9not_fun_tI7is_trueIsEEEEEE10hipError_tPvRmT3_T4_T5_T6_T7_T9_mT8_P12ihipStream_tbDpT10_ENKUlT_T0_E_clISt17integral_constantIbLb1EES18_EEDaS13_S14_EUlS13_E_NS1_11comp_targetILNS1_3genE4ELNS1_11target_archE910ELNS1_3gpuE8ELNS1_3repE0EEENS1_30default_config_static_selectorELNS0_4arch9wavefront6targetE0EEEvT1_.has_dyn_sized_stack, 0
	.set _ZN7rocprim17ROCPRIM_400000_NS6detail17trampoline_kernelINS0_14default_configENS1_25partition_config_selectorILNS1_17partition_subalgoE6EsNS0_10empty_typeEbEEZZNS1_14partition_implILS5_6ELb0ES3_mN6thrust23THRUST_200600_302600_NS6detail15normal_iteratorINSA_10device_ptrIsEEEEPS6_SG_NS0_5tupleIJSF_S6_EEENSH_IJSG_SG_EEES6_PlJNSB_9not_fun_tI7is_trueIsEEEEEE10hipError_tPvRmT3_T4_T5_T6_T7_T9_mT8_P12ihipStream_tbDpT10_ENKUlT_T0_E_clISt17integral_constantIbLb1EES18_EEDaS13_S14_EUlS13_E_NS1_11comp_targetILNS1_3genE4ELNS1_11target_archE910ELNS1_3gpuE8ELNS1_3repE0EEENS1_30default_config_static_selectorELNS0_4arch9wavefront6targetE0EEEvT1_.has_recursion, 0
	.set _ZN7rocprim17ROCPRIM_400000_NS6detail17trampoline_kernelINS0_14default_configENS1_25partition_config_selectorILNS1_17partition_subalgoE6EsNS0_10empty_typeEbEEZZNS1_14partition_implILS5_6ELb0ES3_mN6thrust23THRUST_200600_302600_NS6detail15normal_iteratorINSA_10device_ptrIsEEEEPS6_SG_NS0_5tupleIJSF_S6_EEENSH_IJSG_SG_EEES6_PlJNSB_9not_fun_tI7is_trueIsEEEEEE10hipError_tPvRmT3_T4_T5_T6_T7_T9_mT8_P12ihipStream_tbDpT10_ENKUlT_T0_E_clISt17integral_constantIbLb1EES18_EEDaS13_S14_EUlS13_E_NS1_11comp_targetILNS1_3genE4ELNS1_11target_archE910ELNS1_3gpuE8ELNS1_3repE0EEENS1_30default_config_static_selectorELNS0_4arch9wavefront6targetE0EEEvT1_.has_indirect_call, 0
	.section	.AMDGPU.csdata,"",@progbits
; Kernel info:
; codeLenInByte = 0
; TotalNumSgprs: 0
; NumVgprs: 0
; ScratchSize: 0
; MemoryBound: 0
; FloatMode: 240
; IeeeMode: 1
; LDSByteSize: 0 bytes/workgroup (compile time only)
; SGPRBlocks: 0
; VGPRBlocks: 0
; NumSGPRsForWavesPerEU: 1
; NumVGPRsForWavesPerEU: 1
; Occupancy: 16
; WaveLimiterHint : 0
; COMPUTE_PGM_RSRC2:SCRATCH_EN: 0
; COMPUTE_PGM_RSRC2:USER_SGPR: 2
; COMPUTE_PGM_RSRC2:TRAP_HANDLER: 0
; COMPUTE_PGM_RSRC2:TGID_X_EN: 1
; COMPUTE_PGM_RSRC2:TGID_Y_EN: 0
; COMPUTE_PGM_RSRC2:TGID_Z_EN: 0
; COMPUTE_PGM_RSRC2:TIDIG_COMP_CNT: 0
	.section	.text._ZN7rocprim17ROCPRIM_400000_NS6detail17trampoline_kernelINS0_14default_configENS1_25partition_config_selectorILNS1_17partition_subalgoE6EsNS0_10empty_typeEbEEZZNS1_14partition_implILS5_6ELb0ES3_mN6thrust23THRUST_200600_302600_NS6detail15normal_iteratorINSA_10device_ptrIsEEEEPS6_SG_NS0_5tupleIJSF_S6_EEENSH_IJSG_SG_EEES6_PlJNSB_9not_fun_tI7is_trueIsEEEEEE10hipError_tPvRmT3_T4_T5_T6_T7_T9_mT8_P12ihipStream_tbDpT10_ENKUlT_T0_E_clISt17integral_constantIbLb1EES18_EEDaS13_S14_EUlS13_E_NS1_11comp_targetILNS1_3genE3ELNS1_11target_archE908ELNS1_3gpuE7ELNS1_3repE0EEENS1_30default_config_static_selectorELNS0_4arch9wavefront6targetE0EEEvT1_,"axG",@progbits,_ZN7rocprim17ROCPRIM_400000_NS6detail17trampoline_kernelINS0_14default_configENS1_25partition_config_selectorILNS1_17partition_subalgoE6EsNS0_10empty_typeEbEEZZNS1_14partition_implILS5_6ELb0ES3_mN6thrust23THRUST_200600_302600_NS6detail15normal_iteratorINSA_10device_ptrIsEEEEPS6_SG_NS0_5tupleIJSF_S6_EEENSH_IJSG_SG_EEES6_PlJNSB_9not_fun_tI7is_trueIsEEEEEE10hipError_tPvRmT3_T4_T5_T6_T7_T9_mT8_P12ihipStream_tbDpT10_ENKUlT_T0_E_clISt17integral_constantIbLb1EES18_EEDaS13_S14_EUlS13_E_NS1_11comp_targetILNS1_3genE3ELNS1_11target_archE908ELNS1_3gpuE7ELNS1_3repE0EEENS1_30default_config_static_selectorELNS0_4arch9wavefront6targetE0EEEvT1_,comdat
	.protected	_ZN7rocprim17ROCPRIM_400000_NS6detail17trampoline_kernelINS0_14default_configENS1_25partition_config_selectorILNS1_17partition_subalgoE6EsNS0_10empty_typeEbEEZZNS1_14partition_implILS5_6ELb0ES3_mN6thrust23THRUST_200600_302600_NS6detail15normal_iteratorINSA_10device_ptrIsEEEEPS6_SG_NS0_5tupleIJSF_S6_EEENSH_IJSG_SG_EEES6_PlJNSB_9not_fun_tI7is_trueIsEEEEEE10hipError_tPvRmT3_T4_T5_T6_T7_T9_mT8_P12ihipStream_tbDpT10_ENKUlT_T0_E_clISt17integral_constantIbLb1EES18_EEDaS13_S14_EUlS13_E_NS1_11comp_targetILNS1_3genE3ELNS1_11target_archE908ELNS1_3gpuE7ELNS1_3repE0EEENS1_30default_config_static_selectorELNS0_4arch9wavefront6targetE0EEEvT1_ ; -- Begin function _ZN7rocprim17ROCPRIM_400000_NS6detail17trampoline_kernelINS0_14default_configENS1_25partition_config_selectorILNS1_17partition_subalgoE6EsNS0_10empty_typeEbEEZZNS1_14partition_implILS5_6ELb0ES3_mN6thrust23THRUST_200600_302600_NS6detail15normal_iteratorINSA_10device_ptrIsEEEEPS6_SG_NS0_5tupleIJSF_S6_EEENSH_IJSG_SG_EEES6_PlJNSB_9not_fun_tI7is_trueIsEEEEEE10hipError_tPvRmT3_T4_T5_T6_T7_T9_mT8_P12ihipStream_tbDpT10_ENKUlT_T0_E_clISt17integral_constantIbLb1EES18_EEDaS13_S14_EUlS13_E_NS1_11comp_targetILNS1_3genE3ELNS1_11target_archE908ELNS1_3gpuE7ELNS1_3repE0EEENS1_30default_config_static_selectorELNS0_4arch9wavefront6targetE0EEEvT1_
	.globl	_ZN7rocprim17ROCPRIM_400000_NS6detail17trampoline_kernelINS0_14default_configENS1_25partition_config_selectorILNS1_17partition_subalgoE6EsNS0_10empty_typeEbEEZZNS1_14partition_implILS5_6ELb0ES3_mN6thrust23THRUST_200600_302600_NS6detail15normal_iteratorINSA_10device_ptrIsEEEEPS6_SG_NS0_5tupleIJSF_S6_EEENSH_IJSG_SG_EEES6_PlJNSB_9not_fun_tI7is_trueIsEEEEEE10hipError_tPvRmT3_T4_T5_T6_T7_T9_mT8_P12ihipStream_tbDpT10_ENKUlT_T0_E_clISt17integral_constantIbLb1EES18_EEDaS13_S14_EUlS13_E_NS1_11comp_targetILNS1_3genE3ELNS1_11target_archE908ELNS1_3gpuE7ELNS1_3repE0EEENS1_30default_config_static_selectorELNS0_4arch9wavefront6targetE0EEEvT1_
	.p2align	8
	.type	_ZN7rocprim17ROCPRIM_400000_NS6detail17trampoline_kernelINS0_14default_configENS1_25partition_config_selectorILNS1_17partition_subalgoE6EsNS0_10empty_typeEbEEZZNS1_14partition_implILS5_6ELb0ES3_mN6thrust23THRUST_200600_302600_NS6detail15normal_iteratorINSA_10device_ptrIsEEEEPS6_SG_NS0_5tupleIJSF_S6_EEENSH_IJSG_SG_EEES6_PlJNSB_9not_fun_tI7is_trueIsEEEEEE10hipError_tPvRmT3_T4_T5_T6_T7_T9_mT8_P12ihipStream_tbDpT10_ENKUlT_T0_E_clISt17integral_constantIbLb1EES18_EEDaS13_S14_EUlS13_E_NS1_11comp_targetILNS1_3genE3ELNS1_11target_archE908ELNS1_3gpuE7ELNS1_3repE0EEENS1_30default_config_static_selectorELNS0_4arch9wavefront6targetE0EEEvT1_,@function
_ZN7rocprim17ROCPRIM_400000_NS6detail17trampoline_kernelINS0_14default_configENS1_25partition_config_selectorILNS1_17partition_subalgoE6EsNS0_10empty_typeEbEEZZNS1_14partition_implILS5_6ELb0ES3_mN6thrust23THRUST_200600_302600_NS6detail15normal_iteratorINSA_10device_ptrIsEEEEPS6_SG_NS0_5tupleIJSF_S6_EEENSH_IJSG_SG_EEES6_PlJNSB_9not_fun_tI7is_trueIsEEEEEE10hipError_tPvRmT3_T4_T5_T6_T7_T9_mT8_P12ihipStream_tbDpT10_ENKUlT_T0_E_clISt17integral_constantIbLb1EES18_EEDaS13_S14_EUlS13_E_NS1_11comp_targetILNS1_3genE3ELNS1_11target_archE908ELNS1_3gpuE7ELNS1_3repE0EEENS1_30default_config_static_selectorELNS0_4arch9wavefront6targetE0EEEvT1_: ; @_ZN7rocprim17ROCPRIM_400000_NS6detail17trampoline_kernelINS0_14default_configENS1_25partition_config_selectorILNS1_17partition_subalgoE6EsNS0_10empty_typeEbEEZZNS1_14partition_implILS5_6ELb0ES3_mN6thrust23THRUST_200600_302600_NS6detail15normal_iteratorINSA_10device_ptrIsEEEEPS6_SG_NS0_5tupleIJSF_S6_EEENSH_IJSG_SG_EEES6_PlJNSB_9not_fun_tI7is_trueIsEEEEEE10hipError_tPvRmT3_T4_T5_T6_T7_T9_mT8_P12ihipStream_tbDpT10_ENKUlT_T0_E_clISt17integral_constantIbLb1EES18_EEDaS13_S14_EUlS13_E_NS1_11comp_targetILNS1_3genE3ELNS1_11target_archE908ELNS1_3gpuE7ELNS1_3repE0EEENS1_30default_config_static_selectorELNS0_4arch9wavefront6targetE0EEEvT1_
; %bb.0:
	.section	.rodata,"a",@progbits
	.p2align	6, 0x0
	.amdhsa_kernel _ZN7rocprim17ROCPRIM_400000_NS6detail17trampoline_kernelINS0_14default_configENS1_25partition_config_selectorILNS1_17partition_subalgoE6EsNS0_10empty_typeEbEEZZNS1_14partition_implILS5_6ELb0ES3_mN6thrust23THRUST_200600_302600_NS6detail15normal_iteratorINSA_10device_ptrIsEEEEPS6_SG_NS0_5tupleIJSF_S6_EEENSH_IJSG_SG_EEES6_PlJNSB_9not_fun_tI7is_trueIsEEEEEE10hipError_tPvRmT3_T4_T5_T6_T7_T9_mT8_P12ihipStream_tbDpT10_ENKUlT_T0_E_clISt17integral_constantIbLb1EES18_EEDaS13_S14_EUlS13_E_NS1_11comp_targetILNS1_3genE3ELNS1_11target_archE908ELNS1_3gpuE7ELNS1_3repE0EEENS1_30default_config_static_selectorELNS0_4arch9wavefront6targetE0EEEvT1_
		.amdhsa_group_segment_fixed_size 0
		.amdhsa_private_segment_fixed_size 0
		.amdhsa_kernarg_size 128
		.amdhsa_user_sgpr_count 2
		.amdhsa_user_sgpr_dispatch_ptr 0
		.amdhsa_user_sgpr_queue_ptr 0
		.amdhsa_user_sgpr_kernarg_segment_ptr 1
		.amdhsa_user_sgpr_dispatch_id 0
		.amdhsa_user_sgpr_private_segment_size 0
		.amdhsa_wavefront_size32 1
		.amdhsa_uses_dynamic_stack 0
		.amdhsa_enable_private_segment 0
		.amdhsa_system_sgpr_workgroup_id_x 1
		.amdhsa_system_sgpr_workgroup_id_y 0
		.amdhsa_system_sgpr_workgroup_id_z 0
		.amdhsa_system_sgpr_workgroup_info 0
		.amdhsa_system_vgpr_workitem_id 0
		.amdhsa_next_free_vgpr 1
		.amdhsa_next_free_sgpr 1
		.amdhsa_reserve_vcc 0
		.amdhsa_float_round_mode_32 0
		.amdhsa_float_round_mode_16_64 0
		.amdhsa_float_denorm_mode_32 3
		.amdhsa_float_denorm_mode_16_64 3
		.amdhsa_fp16_overflow 0
		.amdhsa_workgroup_processor_mode 1
		.amdhsa_memory_ordered 1
		.amdhsa_forward_progress 1
		.amdhsa_inst_pref_size 0
		.amdhsa_round_robin_scheduling 0
		.amdhsa_exception_fp_ieee_invalid_op 0
		.amdhsa_exception_fp_denorm_src 0
		.amdhsa_exception_fp_ieee_div_zero 0
		.amdhsa_exception_fp_ieee_overflow 0
		.amdhsa_exception_fp_ieee_underflow 0
		.amdhsa_exception_fp_ieee_inexact 0
		.amdhsa_exception_int_div_zero 0
	.end_amdhsa_kernel
	.section	.text._ZN7rocprim17ROCPRIM_400000_NS6detail17trampoline_kernelINS0_14default_configENS1_25partition_config_selectorILNS1_17partition_subalgoE6EsNS0_10empty_typeEbEEZZNS1_14partition_implILS5_6ELb0ES3_mN6thrust23THRUST_200600_302600_NS6detail15normal_iteratorINSA_10device_ptrIsEEEEPS6_SG_NS0_5tupleIJSF_S6_EEENSH_IJSG_SG_EEES6_PlJNSB_9not_fun_tI7is_trueIsEEEEEE10hipError_tPvRmT3_T4_T5_T6_T7_T9_mT8_P12ihipStream_tbDpT10_ENKUlT_T0_E_clISt17integral_constantIbLb1EES18_EEDaS13_S14_EUlS13_E_NS1_11comp_targetILNS1_3genE3ELNS1_11target_archE908ELNS1_3gpuE7ELNS1_3repE0EEENS1_30default_config_static_selectorELNS0_4arch9wavefront6targetE0EEEvT1_,"axG",@progbits,_ZN7rocprim17ROCPRIM_400000_NS6detail17trampoline_kernelINS0_14default_configENS1_25partition_config_selectorILNS1_17partition_subalgoE6EsNS0_10empty_typeEbEEZZNS1_14partition_implILS5_6ELb0ES3_mN6thrust23THRUST_200600_302600_NS6detail15normal_iteratorINSA_10device_ptrIsEEEEPS6_SG_NS0_5tupleIJSF_S6_EEENSH_IJSG_SG_EEES6_PlJNSB_9not_fun_tI7is_trueIsEEEEEE10hipError_tPvRmT3_T4_T5_T6_T7_T9_mT8_P12ihipStream_tbDpT10_ENKUlT_T0_E_clISt17integral_constantIbLb1EES18_EEDaS13_S14_EUlS13_E_NS1_11comp_targetILNS1_3genE3ELNS1_11target_archE908ELNS1_3gpuE7ELNS1_3repE0EEENS1_30default_config_static_selectorELNS0_4arch9wavefront6targetE0EEEvT1_,comdat
.Lfunc_end1280:
	.size	_ZN7rocprim17ROCPRIM_400000_NS6detail17trampoline_kernelINS0_14default_configENS1_25partition_config_selectorILNS1_17partition_subalgoE6EsNS0_10empty_typeEbEEZZNS1_14partition_implILS5_6ELb0ES3_mN6thrust23THRUST_200600_302600_NS6detail15normal_iteratorINSA_10device_ptrIsEEEEPS6_SG_NS0_5tupleIJSF_S6_EEENSH_IJSG_SG_EEES6_PlJNSB_9not_fun_tI7is_trueIsEEEEEE10hipError_tPvRmT3_T4_T5_T6_T7_T9_mT8_P12ihipStream_tbDpT10_ENKUlT_T0_E_clISt17integral_constantIbLb1EES18_EEDaS13_S14_EUlS13_E_NS1_11comp_targetILNS1_3genE3ELNS1_11target_archE908ELNS1_3gpuE7ELNS1_3repE0EEENS1_30default_config_static_selectorELNS0_4arch9wavefront6targetE0EEEvT1_, .Lfunc_end1280-_ZN7rocprim17ROCPRIM_400000_NS6detail17trampoline_kernelINS0_14default_configENS1_25partition_config_selectorILNS1_17partition_subalgoE6EsNS0_10empty_typeEbEEZZNS1_14partition_implILS5_6ELb0ES3_mN6thrust23THRUST_200600_302600_NS6detail15normal_iteratorINSA_10device_ptrIsEEEEPS6_SG_NS0_5tupleIJSF_S6_EEENSH_IJSG_SG_EEES6_PlJNSB_9not_fun_tI7is_trueIsEEEEEE10hipError_tPvRmT3_T4_T5_T6_T7_T9_mT8_P12ihipStream_tbDpT10_ENKUlT_T0_E_clISt17integral_constantIbLb1EES18_EEDaS13_S14_EUlS13_E_NS1_11comp_targetILNS1_3genE3ELNS1_11target_archE908ELNS1_3gpuE7ELNS1_3repE0EEENS1_30default_config_static_selectorELNS0_4arch9wavefront6targetE0EEEvT1_
                                        ; -- End function
	.set _ZN7rocprim17ROCPRIM_400000_NS6detail17trampoline_kernelINS0_14default_configENS1_25partition_config_selectorILNS1_17partition_subalgoE6EsNS0_10empty_typeEbEEZZNS1_14partition_implILS5_6ELb0ES3_mN6thrust23THRUST_200600_302600_NS6detail15normal_iteratorINSA_10device_ptrIsEEEEPS6_SG_NS0_5tupleIJSF_S6_EEENSH_IJSG_SG_EEES6_PlJNSB_9not_fun_tI7is_trueIsEEEEEE10hipError_tPvRmT3_T4_T5_T6_T7_T9_mT8_P12ihipStream_tbDpT10_ENKUlT_T0_E_clISt17integral_constantIbLb1EES18_EEDaS13_S14_EUlS13_E_NS1_11comp_targetILNS1_3genE3ELNS1_11target_archE908ELNS1_3gpuE7ELNS1_3repE0EEENS1_30default_config_static_selectorELNS0_4arch9wavefront6targetE0EEEvT1_.num_vgpr, 0
	.set _ZN7rocprim17ROCPRIM_400000_NS6detail17trampoline_kernelINS0_14default_configENS1_25partition_config_selectorILNS1_17partition_subalgoE6EsNS0_10empty_typeEbEEZZNS1_14partition_implILS5_6ELb0ES3_mN6thrust23THRUST_200600_302600_NS6detail15normal_iteratorINSA_10device_ptrIsEEEEPS6_SG_NS0_5tupleIJSF_S6_EEENSH_IJSG_SG_EEES6_PlJNSB_9not_fun_tI7is_trueIsEEEEEE10hipError_tPvRmT3_T4_T5_T6_T7_T9_mT8_P12ihipStream_tbDpT10_ENKUlT_T0_E_clISt17integral_constantIbLb1EES18_EEDaS13_S14_EUlS13_E_NS1_11comp_targetILNS1_3genE3ELNS1_11target_archE908ELNS1_3gpuE7ELNS1_3repE0EEENS1_30default_config_static_selectorELNS0_4arch9wavefront6targetE0EEEvT1_.num_agpr, 0
	.set _ZN7rocprim17ROCPRIM_400000_NS6detail17trampoline_kernelINS0_14default_configENS1_25partition_config_selectorILNS1_17partition_subalgoE6EsNS0_10empty_typeEbEEZZNS1_14partition_implILS5_6ELb0ES3_mN6thrust23THRUST_200600_302600_NS6detail15normal_iteratorINSA_10device_ptrIsEEEEPS6_SG_NS0_5tupleIJSF_S6_EEENSH_IJSG_SG_EEES6_PlJNSB_9not_fun_tI7is_trueIsEEEEEE10hipError_tPvRmT3_T4_T5_T6_T7_T9_mT8_P12ihipStream_tbDpT10_ENKUlT_T0_E_clISt17integral_constantIbLb1EES18_EEDaS13_S14_EUlS13_E_NS1_11comp_targetILNS1_3genE3ELNS1_11target_archE908ELNS1_3gpuE7ELNS1_3repE0EEENS1_30default_config_static_selectorELNS0_4arch9wavefront6targetE0EEEvT1_.numbered_sgpr, 0
	.set _ZN7rocprim17ROCPRIM_400000_NS6detail17trampoline_kernelINS0_14default_configENS1_25partition_config_selectorILNS1_17partition_subalgoE6EsNS0_10empty_typeEbEEZZNS1_14partition_implILS5_6ELb0ES3_mN6thrust23THRUST_200600_302600_NS6detail15normal_iteratorINSA_10device_ptrIsEEEEPS6_SG_NS0_5tupleIJSF_S6_EEENSH_IJSG_SG_EEES6_PlJNSB_9not_fun_tI7is_trueIsEEEEEE10hipError_tPvRmT3_T4_T5_T6_T7_T9_mT8_P12ihipStream_tbDpT10_ENKUlT_T0_E_clISt17integral_constantIbLb1EES18_EEDaS13_S14_EUlS13_E_NS1_11comp_targetILNS1_3genE3ELNS1_11target_archE908ELNS1_3gpuE7ELNS1_3repE0EEENS1_30default_config_static_selectorELNS0_4arch9wavefront6targetE0EEEvT1_.num_named_barrier, 0
	.set _ZN7rocprim17ROCPRIM_400000_NS6detail17trampoline_kernelINS0_14default_configENS1_25partition_config_selectorILNS1_17partition_subalgoE6EsNS0_10empty_typeEbEEZZNS1_14partition_implILS5_6ELb0ES3_mN6thrust23THRUST_200600_302600_NS6detail15normal_iteratorINSA_10device_ptrIsEEEEPS6_SG_NS0_5tupleIJSF_S6_EEENSH_IJSG_SG_EEES6_PlJNSB_9not_fun_tI7is_trueIsEEEEEE10hipError_tPvRmT3_T4_T5_T6_T7_T9_mT8_P12ihipStream_tbDpT10_ENKUlT_T0_E_clISt17integral_constantIbLb1EES18_EEDaS13_S14_EUlS13_E_NS1_11comp_targetILNS1_3genE3ELNS1_11target_archE908ELNS1_3gpuE7ELNS1_3repE0EEENS1_30default_config_static_selectorELNS0_4arch9wavefront6targetE0EEEvT1_.private_seg_size, 0
	.set _ZN7rocprim17ROCPRIM_400000_NS6detail17trampoline_kernelINS0_14default_configENS1_25partition_config_selectorILNS1_17partition_subalgoE6EsNS0_10empty_typeEbEEZZNS1_14partition_implILS5_6ELb0ES3_mN6thrust23THRUST_200600_302600_NS6detail15normal_iteratorINSA_10device_ptrIsEEEEPS6_SG_NS0_5tupleIJSF_S6_EEENSH_IJSG_SG_EEES6_PlJNSB_9not_fun_tI7is_trueIsEEEEEE10hipError_tPvRmT3_T4_T5_T6_T7_T9_mT8_P12ihipStream_tbDpT10_ENKUlT_T0_E_clISt17integral_constantIbLb1EES18_EEDaS13_S14_EUlS13_E_NS1_11comp_targetILNS1_3genE3ELNS1_11target_archE908ELNS1_3gpuE7ELNS1_3repE0EEENS1_30default_config_static_selectorELNS0_4arch9wavefront6targetE0EEEvT1_.uses_vcc, 0
	.set _ZN7rocprim17ROCPRIM_400000_NS6detail17trampoline_kernelINS0_14default_configENS1_25partition_config_selectorILNS1_17partition_subalgoE6EsNS0_10empty_typeEbEEZZNS1_14partition_implILS5_6ELb0ES3_mN6thrust23THRUST_200600_302600_NS6detail15normal_iteratorINSA_10device_ptrIsEEEEPS6_SG_NS0_5tupleIJSF_S6_EEENSH_IJSG_SG_EEES6_PlJNSB_9not_fun_tI7is_trueIsEEEEEE10hipError_tPvRmT3_T4_T5_T6_T7_T9_mT8_P12ihipStream_tbDpT10_ENKUlT_T0_E_clISt17integral_constantIbLb1EES18_EEDaS13_S14_EUlS13_E_NS1_11comp_targetILNS1_3genE3ELNS1_11target_archE908ELNS1_3gpuE7ELNS1_3repE0EEENS1_30default_config_static_selectorELNS0_4arch9wavefront6targetE0EEEvT1_.uses_flat_scratch, 0
	.set _ZN7rocprim17ROCPRIM_400000_NS6detail17trampoline_kernelINS0_14default_configENS1_25partition_config_selectorILNS1_17partition_subalgoE6EsNS0_10empty_typeEbEEZZNS1_14partition_implILS5_6ELb0ES3_mN6thrust23THRUST_200600_302600_NS6detail15normal_iteratorINSA_10device_ptrIsEEEEPS6_SG_NS0_5tupleIJSF_S6_EEENSH_IJSG_SG_EEES6_PlJNSB_9not_fun_tI7is_trueIsEEEEEE10hipError_tPvRmT3_T4_T5_T6_T7_T9_mT8_P12ihipStream_tbDpT10_ENKUlT_T0_E_clISt17integral_constantIbLb1EES18_EEDaS13_S14_EUlS13_E_NS1_11comp_targetILNS1_3genE3ELNS1_11target_archE908ELNS1_3gpuE7ELNS1_3repE0EEENS1_30default_config_static_selectorELNS0_4arch9wavefront6targetE0EEEvT1_.has_dyn_sized_stack, 0
	.set _ZN7rocprim17ROCPRIM_400000_NS6detail17trampoline_kernelINS0_14default_configENS1_25partition_config_selectorILNS1_17partition_subalgoE6EsNS0_10empty_typeEbEEZZNS1_14partition_implILS5_6ELb0ES3_mN6thrust23THRUST_200600_302600_NS6detail15normal_iteratorINSA_10device_ptrIsEEEEPS6_SG_NS0_5tupleIJSF_S6_EEENSH_IJSG_SG_EEES6_PlJNSB_9not_fun_tI7is_trueIsEEEEEE10hipError_tPvRmT3_T4_T5_T6_T7_T9_mT8_P12ihipStream_tbDpT10_ENKUlT_T0_E_clISt17integral_constantIbLb1EES18_EEDaS13_S14_EUlS13_E_NS1_11comp_targetILNS1_3genE3ELNS1_11target_archE908ELNS1_3gpuE7ELNS1_3repE0EEENS1_30default_config_static_selectorELNS0_4arch9wavefront6targetE0EEEvT1_.has_recursion, 0
	.set _ZN7rocprim17ROCPRIM_400000_NS6detail17trampoline_kernelINS0_14default_configENS1_25partition_config_selectorILNS1_17partition_subalgoE6EsNS0_10empty_typeEbEEZZNS1_14partition_implILS5_6ELb0ES3_mN6thrust23THRUST_200600_302600_NS6detail15normal_iteratorINSA_10device_ptrIsEEEEPS6_SG_NS0_5tupleIJSF_S6_EEENSH_IJSG_SG_EEES6_PlJNSB_9not_fun_tI7is_trueIsEEEEEE10hipError_tPvRmT3_T4_T5_T6_T7_T9_mT8_P12ihipStream_tbDpT10_ENKUlT_T0_E_clISt17integral_constantIbLb1EES18_EEDaS13_S14_EUlS13_E_NS1_11comp_targetILNS1_3genE3ELNS1_11target_archE908ELNS1_3gpuE7ELNS1_3repE0EEENS1_30default_config_static_selectorELNS0_4arch9wavefront6targetE0EEEvT1_.has_indirect_call, 0
	.section	.AMDGPU.csdata,"",@progbits
; Kernel info:
; codeLenInByte = 0
; TotalNumSgprs: 0
; NumVgprs: 0
; ScratchSize: 0
; MemoryBound: 0
; FloatMode: 240
; IeeeMode: 1
; LDSByteSize: 0 bytes/workgroup (compile time only)
; SGPRBlocks: 0
; VGPRBlocks: 0
; NumSGPRsForWavesPerEU: 1
; NumVGPRsForWavesPerEU: 1
; Occupancy: 16
; WaveLimiterHint : 0
; COMPUTE_PGM_RSRC2:SCRATCH_EN: 0
; COMPUTE_PGM_RSRC2:USER_SGPR: 2
; COMPUTE_PGM_RSRC2:TRAP_HANDLER: 0
; COMPUTE_PGM_RSRC2:TGID_X_EN: 1
; COMPUTE_PGM_RSRC2:TGID_Y_EN: 0
; COMPUTE_PGM_RSRC2:TGID_Z_EN: 0
; COMPUTE_PGM_RSRC2:TIDIG_COMP_CNT: 0
	.section	.text._ZN7rocprim17ROCPRIM_400000_NS6detail17trampoline_kernelINS0_14default_configENS1_25partition_config_selectorILNS1_17partition_subalgoE6EsNS0_10empty_typeEbEEZZNS1_14partition_implILS5_6ELb0ES3_mN6thrust23THRUST_200600_302600_NS6detail15normal_iteratorINSA_10device_ptrIsEEEEPS6_SG_NS0_5tupleIJSF_S6_EEENSH_IJSG_SG_EEES6_PlJNSB_9not_fun_tI7is_trueIsEEEEEE10hipError_tPvRmT3_T4_T5_T6_T7_T9_mT8_P12ihipStream_tbDpT10_ENKUlT_T0_E_clISt17integral_constantIbLb1EES18_EEDaS13_S14_EUlS13_E_NS1_11comp_targetILNS1_3genE2ELNS1_11target_archE906ELNS1_3gpuE6ELNS1_3repE0EEENS1_30default_config_static_selectorELNS0_4arch9wavefront6targetE0EEEvT1_,"axG",@progbits,_ZN7rocprim17ROCPRIM_400000_NS6detail17trampoline_kernelINS0_14default_configENS1_25partition_config_selectorILNS1_17partition_subalgoE6EsNS0_10empty_typeEbEEZZNS1_14partition_implILS5_6ELb0ES3_mN6thrust23THRUST_200600_302600_NS6detail15normal_iteratorINSA_10device_ptrIsEEEEPS6_SG_NS0_5tupleIJSF_S6_EEENSH_IJSG_SG_EEES6_PlJNSB_9not_fun_tI7is_trueIsEEEEEE10hipError_tPvRmT3_T4_T5_T6_T7_T9_mT8_P12ihipStream_tbDpT10_ENKUlT_T0_E_clISt17integral_constantIbLb1EES18_EEDaS13_S14_EUlS13_E_NS1_11comp_targetILNS1_3genE2ELNS1_11target_archE906ELNS1_3gpuE6ELNS1_3repE0EEENS1_30default_config_static_selectorELNS0_4arch9wavefront6targetE0EEEvT1_,comdat
	.protected	_ZN7rocprim17ROCPRIM_400000_NS6detail17trampoline_kernelINS0_14default_configENS1_25partition_config_selectorILNS1_17partition_subalgoE6EsNS0_10empty_typeEbEEZZNS1_14partition_implILS5_6ELb0ES3_mN6thrust23THRUST_200600_302600_NS6detail15normal_iteratorINSA_10device_ptrIsEEEEPS6_SG_NS0_5tupleIJSF_S6_EEENSH_IJSG_SG_EEES6_PlJNSB_9not_fun_tI7is_trueIsEEEEEE10hipError_tPvRmT3_T4_T5_T6_T7_T9_mT8_P12ihipStream_tbDpT10_ENKUlT_T0_E_clISt17integral_constantIbLb1EES18_EEDaS13_S14_EUlS13_E_NS1_11comp_targetILNS1_3genE2ELNS1_11target_archE906ELNS1_3gpuE6ELNS1_3repE0EEENS1_30default_config_static_selectorELNS0_4arch9wavefront6targetE0EEEvT1_ ; -- Begin function _ZN7rocprim17ROCPRIM_400000_NS6detail17trampoline_kernelINS0_14default_configENS1_25partition_config_selectorILNS1_17partition_subalgoE6EsNS0_10empty_typeEbEEZZNS1_14partition_implILS5_6ELb0ES3_mN6thrust23THRUST_200600_302600_NS6detail15normal_iteratorINSA_10device_ptrIsEEEEPS6_SG_NS0_5tupleIJSF_S6_EEENSH_IJSG_SG_EEES6_PlJNSB_9not_fun_tI7is_trueIsEEEEEE10hipError_tPvRmT3_T4_T5_T6_T7_T9_mT8_P12ihipStream_tbDpT10_ENKUlT_T0_E_clISt17integral_constantIbLb1EES18_EEDaS13_S14_EUlS13_E_NS1_11comp_targetILNS1_3genE2ELNS1_11target_archE906ELNS1_3gpuE6ELNS1_3repE0EEENS1_30default_config_static_selectorELNS0_4arch9wavefront6targetE0EEEvT1_
	.globl	_ZN7rocprim17ROCPRIM_400000_NS6detail17trampoline_kernelINS0_14default_configENS1_25partition_config_selectorILNS1_17partition_subalgoE6EsNS0_10empty_typeEbEEZZNS1_14partition_implILS5_6ELb0ES3_mN6thrust23THRUST_200600_302600_NS6detail15normal_iteratorINSA_10device_ptrIsEEEEPS6_SG_NS0_5tupleIJSF_S6_EEENSH_IJSG_SG_EEES6_PlJNSB_9not_fun_tI7is_trueIsEEEEEE10hipError_tPvRmT3_T4_T5_T6_T7_T9_mT8_P12ihipStream_tbDpT10_ENKUlT_T0_E_clISt17integral_constantIbLb1EES18_EEDaS13_S14_EUlS13_E_NS1_11comp_targetILNS1_3genE2ELNS1_11target_archE906ELNS1_3gpuE6ELNS1_3repE0EEENS1_30default_config_static_selectorELNS0_4arch9wavefront6targetE0EEEvT1_
	.p2align	8
	.type	_ZN7rocprim17ROCPRIM_400000_NS6detail17trampoline_kernelINS0_14default_configENS1_25partition_config_selectorILNS1_17partition_subalgoE6EsNS0_10empty_typeEbEEZZNS1_14partition_implILS5_6ELb0ES3_mN6thrust23THRUST_200600_302600_NS6detail15normal_iteratorINSA_10device_ptrIsEEEEPS6_SG_NS0_5tupleIJSF_S6_EEENSH_IJSG_SG_EEES6_PlJNSB_9not_fun_tI7is_trueIsEEEEEE10hipError_tPvRmT3_T4_T5_T6_T7_T9_mT8_P12ihipStream_tbDpT10_ENKUlT_T0_E_clISt17integral_constantIbLb1EES18_EEDaS13_S14_EUlS13_E_NS1_11comp_targetILNS1_3genE2ELNS1_11target_archE906ELNS1_3gpuE6ELNS1_3repE0EEENS1_30default_config_static_selectorELNS0_4arch9wavefront6targetE0EEEvT1_,@function
_ZN7rocprim17ROCPRIM_400000_NS6detail17trampoline_kernelINS0_14default_configENS1_25partition_config_selectorILNS1_17partition_subalgoE6EsNS0_10empty_typeEbEEZZNS1_14partition_implILS5_6ELb0ES3_mN6thrust23THRUST_200600_302600_NS6detail15normal_iteratorINSA_10device_ptrIsEEEEPS6_SG_NS0_5tupleIJSF_S6_EEENSH_IJSG_SG_EEES6_PlJNSB_9not_fun_tI7is_trueIsEEEEEE10hipError_tPvRmT3_T4_T5_T6_T7_T9_mT8_P12ihipStream_tbDpT10_ENKUlT_T0_E_clISt17integral_constantIbLb1EES18_EEDaS13_S14_EUlS13_E_NS1_11comp_targetILNS1_3genE2ELNS1_11target_archE906ELNS1_3gpuE6ELNS1_3repE0EEENS1_30default_config_static_selectorELNS0_4arch9wavefront6targetE0EEEvT1_: ; @_ZN7rocprim17ROCPRIM_400000_NS6detail17trampoline_kernelINS0_14default_configENS1_25partition_config_selectorILNS1_17partition_subalgoE6EsNS0_10empty_typeEbEEZZNS1_14partition_implILS5_6ELb0ES3_mN6thrust23THRUST_200600_302600_NS6detail15normal_iteratorINSA_10device_ptrIsEEEEPS6_SG_NS0_5tupleIJSF_S6_EEENSH_IJSG_SG_EEES6_PlJNSB_9not_fun_tI7is_trueIsEEEEEE10hipError_tPvRmT3_T4_T5_T6_T7_T9_mT8_P12ihipStream_tbDpT10_ENKUlT_T0_E_clISt17integral_constantIbLb1EES18_EEDaS13_S14_EUlS13_E_NS1_11comp_targetILNS1_3genE2ELNS1_11target_archE906ELNS1_3gpuE6ELNS1_3repE0EEENS1_30default_config_static_selectorELNS0_4arch9wavefront6targetE0EEEvT1_
; %bb.0:
	.section	.rodata,"a",@progbits
	.p2align	6, 0x0
	.amdhsa_kernel _ZN7rocprim17ROCPRIM_400000_NS6detail17trampoline_kernelINS0_14default_configENS1_25partition_config_selectorILNS1_17partition_subalgoE6EsNS0_10empty_typeEbEEZZNS1_14partition_implILS5_6ELb0ES3_mN6thrust23THRUST_200600_302600_NS6detail15normal_iteratorINSA_10device_ptrIsEEEEPS6_SG_NS0_5tupleIJSF_S6_EEENSH_IJSG_SG_EEES6_PlJNSB_9not_fun_tI7is_trueIsEEEEEE10hipError_tPvRmT3_T4_T5_T6_T7_T9_mT8_P12ihipStream_tbDpT10_ENKUlT_T0_E_clISt17integral_constantIbLb1EES18_EEDaS13_S14_EUlS13_E_NS1_11comp_targetILNS1_3genE2ELNS1_11target_archE906ELNS1_3gpuE6ELNS1_3repE0EEENS1_30default_config_static_selectorELNS0_4arch9wavefront6targetE0EEEvT1_
		.amdhsa_group_segment_fixed_size 0
		.amdhsa_private_segment_fixed_size 0
		.amdhsa_kernarg_size 128
		.amdhsa_user_sgpr_count 2
		.amdhsa_user_sgpr_dispatch_ptr 0
		.amdhsa_user_sgpr_queue_ptr 0
		.amdhsa_user_sgpr_kernarg_segment_ptr 1
		.amdhsa_user_sgpr_dispatch_id 0
		.amdhsa_user_sgpr_private_segment_size 0
		.amdhsa_wavefront_size32 1
		.amdhsa_uses_dynamic_stack 0
		.amdhsa_enable_private_segment 0
		.amdhsa_system_sgpr_workgroup_id_x 1
		.amdhsa_system_sgpr_workgroup_id_y 0
		.amdhsa_system_sgpr_workgroup_id_z 0
		.amdhsa_system_sgpr_workgroup_info 0
		.amdhsa_system_vgpr_workitem_id 0
		.amdhsa_next_free_vgpr 1
		.amdhsa_next_free_sgpr 1
		.amdhsa_reserve_vcc 0
		.amdhsa_float_round_mode_32 0
		.amdhsa_float_round_mode_16_64 0
		.amdhsa_float_denorm_mode_32 3
		.amdhsa_float_denorm_mode_16_64 3
		.amdhsa_fp16_overflow 0
		.amdhsa_workgroup_processor_mode 1
		.amdhsa_memory_ordered 1
		.amdhsa_forward_progress 1
		.amdhsa_inst_pref_size 0
		.amdhsa_round_robin_scheduling 0
		.amdhsa_exception_fp_ieee_invalid_op 0
		.amdhsa_exception_fp_denorm_src 0
		.amdhsa_exception_fp_ieee_div_zero 0
		.amdhsa_exception_fp_ieee_overflow 0
		.amdhsa_exception_fp_ieee_underflow 0
		.amdhsa_exception_fp_ieee_inexact 0
		.amdhsa_exception_int_div_zero 0
	.end_amdhsa_kernel
	.section	.text._ZN7rocprim17ROCPRIM_400000_NS6detail17trampoline_kernelINS0_14default_configENS1_25partition_config_selectorILNS1_17partition_subalgoE6EsNS0_10empty_typeEbEEZZNS1_14partition_implILS5_6ELb0ES3_mN6thrust23THRUST_200600_302600_NS6detail15normal_iteratorINSA_10device_ptrIsEEEEPS6_SG_NS0_5tupleIJSF_S6_EEENSH_IJSG_SG_EEES6_PlJNSB_9not_fun_tI7is_trueIsEEEEEE10hipError_tPvRmT3_T4_T5_T6_T7_T9_mT8_P12ihipStream_tbDpT10_ENKUlT_T0_E_clISt17integral_constantIbLb1EES18_EEDaS13_S14_EUlS13_E_NS1_11comp_targetILNS1_3genE2ELNS1_11target_archE906ELNS1_3gpuE6ELNS1_3repE0EEENS1_30default_config_static_selectorELNS0_4arch9wavefront6targetE0EEEvT1_,"axG",@progbits,_ZN7rocprim17ROCPRIM_400000_NS6detail17trampoline_kernelINS0_14default_configENS1_25partition_config_selectorILNS1_17partition_subalgoE6EsNS0_10empty_typeEbEEZZNS1_14partition_implILS5_6ELb0ES3_mN6thrust23THRUST_200600_302600_NS6detail15normal_iteratorINSA_10device_ptrIsEEEEPS6_SG_NS0_5tupleIJSF_S6_EEENSH_IJSG_SG_EEES6_PlJNSB_9not_fun_tI7is_trueIsEEEEEE10hipError_tPvRmT3_T4_T5_T6_T7_T9_mT8_P12ihipStream_tbDpT10_ENKUlT_T0_E_clISt17integral_constantIbLb1EES18_EEDaS13_S14_EUlS13_E_NS1_11comp_targetILNS1_3genE2ELNS1_11target_archE906ELNS1_3gpuE6ELNS1_3repE0EEENS1_30default_config_static_selectorELNS0_4arch9wavefront6targetE0EEEvT1_,comdat
.Lfunc_end1281:
	.size	_ZN7rocprim17ROCPRIM_400000_NS6detail17trampoline_kernelINS0_14default_configENS1_25partition_config_selectorILNS1_17partition_subalgoE6EsNS0_10empty_typeEbEEZZNS1_14partition_implILS5_6ELb0ES3_mN6thrust23THRUST_200600_302600_NS6detail15normal_iteratorINSA_10device_ptrIsEEEEPS6_SG_NS0_5tupleIJSF_S6_EEENSH_IJSG_SG_EEES6_PlJNSB_9not_fun_tI7is_trueIsEEEEEE10hipError_tPvRmT3_T4_T5_T6_T7_T9_mT8_P12ihipStream_tbDpT10_ENKUlT_T0_E_clISt17integral_constantIbLb1EES18_EEDaS13_S14_EUlS13_E_NS1_11comp_targetILNS1_3genE2ELNS1_11target_archE906ELNS1_3gpuE6ELNS1_3repE0EEENS1_30default_config_static_selectorELNS0_4arch9wavefront6targetE0EEEvT1_, .Lfunc_end1281-_ZN7rocprim17ROCPRIM_400000_NS6detail17trampoline_kernelINS0_14default_configENS1_25partition_config_selectorILNS1_17partition_subalgoE6EsNS0_10empty_typeEbEEZZNS1_14partition_implILS5_6ELb0ES3_mN6thrust23THRUST_200600_302600_NS6detail15normal_iteratorINSA_10device_ptrIsEEEEPS6_SG_NS0_5tupleIJSF_S6_EEENSH_IJSG_SG_EEES6_PlJNSB_9not_fun_tI7is_trueIsEEEEEE10hipError_tPvRmT3_T4_T5_T6_T7_T9_mT8_P12ihipStream_tbDpT10_ENKUlT_T0_E_clISt17integral_constantIbLb1EES18_EEDaS13_S14_EUlS13_E_NS1_11comp_targetILNS1_3genE2ELNS1_11target_archE906ELNS1_3gpuE6ELNS1_3repE0EEENS1_30default_config_static_selectorELNS0_4arch9wavefront6targetE0EEEvT1_
                                        ; -- End function
	.set _ZN7rocprim17ROCPRIM_400000_NS6detail17trampoline_kernelINS0_14default_configENS1_25partition_config_selectorILNS1_17partition_subalgoE6EsNS0_10empty_typeEbEEZZNS1_14partition_implILS5_6ELb0ES3_mN6thrust23THRUST_200600_302600_NS6detail15normal_iteratorINSA_10device_ptrIsEEEEPS6_SG_NS0_5tupleIJSF_S6_EEENSH_IJSG_SG_EEES6_PlJNSB_9not_fun_tI7is_trueIsEEEEEE10hipError_tPvRmT3_T4_T5_T6_T7_T9_mT8_P12ihipStream_tbDpT10_ENKUlT_T0_E_clISt17integral_constantIbLb1EES18_EEDaS13_S14_EUlS13_E_NS1_11comp_targetILNS1_3genE2ELNS1_11target_archE906ELNS1_3gpuE6ELNS1_3repE0EEENS1_30default_config_static_selectorELNS0_4arch9wavefront6targetE0EEEvT1_.num_vgpr, 0
	.set _ZN7rocprim17ROCPRIM_400000_NS6detail17trampoline_kernelINS0_14default_configENS1_25partition_config_selectorILNS1_17partition_subalgoE6EsNS0_10empty_typeEbEEZZNS1_14partition_implILS5_6ELb0ES3_mN6thrust23THRUST_200600_302600_NS6detail15normal_iteratorINSA_10device_ptrIsEEEEPS6_SG_NS0_5tupleIJSF_S6_EEENSH_IJSG_SG_EEES6_PlJNSB_9not_fun_tI7is_trueIsEEEEEE10hipError_tPvRmT3_T4_T5_T6_T7_T9_mT8_P12ihipStream_tbDpT10_ENKUlT_T0_E_clISt17integral_constantIbLb1EES18_EEDaS13_S14_EUlS13_E_NS1_11comp_targetILNS1_3genE2ELNS1_11target_archE906ELNS1_3gpuE6ELNS1_3repE0EEENS1_30default_config_static_selectorELNS0_4arch9wavefront6targetE0EEEvT1_.num_agpr, 0
	.set _ZN7rocprim17ROCPRIM_400000_NS6detail17trampoline_kernelINS0_14default_configENS1_25partition_config_selectorILNS1_17partition_subalgoE6EsNS0_10empty_typeEbEEZZNS1_14partition_implILS5_6ELb0ES3_mN6thrust23THRUST_200600_302600_NS6detail15normal_iteratorINSA_10device_ptrIsEEEEPS6_SG_NS0_5tupleIJSF_S6_EEENSH_IJSG_SG_EEES6_PlJNSB_9not_fun_tI7is_trueIsEEEEEE10hipError_tPvRmT3_T4_T5_T6_T7_T9_mT8_P12ihipStream_tbDpT10_ENKUlT_T0_E_clISt17integral_constantIbLb1EES18_EEDaS13_S14_EUlS13_E_NS1_11comp_targetILNS1_3genE2ELNS1_11target_archE906ELNS1_3gpuE6ELNS1_3repE0EEENS1_30default_config_static_selectorELNS0_4arch9wavefront6targetE0EEEvT1_.numbered_sgpr, 0
	.set _ZN7rocprim17ROCPRIM_400000_NS6detail17trampoline_kernelINS0_14default_configENS1_25partition_config_selectorILNS1_17partition_subalgoE6EsNS0_10empty_typeEbEEZZNS1_14partition_implILS5_6ELb0ES3_mN6thrust23THRUST_200600_302600_NS6detail15normal_iteratorINSA_10device_ptrIsEEEEPS6_SG_NS0_5tupleIJSF_S6_EEENSH_IJSG_SG_EEES6_PlJNSB_9not_fun_tI7is_trueIsEEEEEE10hipError_tPvRmT3_T4_T5_T6_T7_T9_mT8_P12ihipStream_tbDpT10_ENKUlT_T0_E_clISt17integral_constantIbLb1EES18_EEDaS13_S14_EUlS13_E_NS1_11comp_targetILNS1_3genE2ELNS1_11target_archE906ELNS1_3gpuE6ELNS1_3repE0EEENS1_30default_config_static_selectorELNS0_4arch9wavefront6targetE0EEEvT1_.num_named_barrier, 0
	.set _ZN7rocprim17ROCPRIM_400000_NS6detail17trampoline_kernelINS0_14default_configENS1_25partition_config_selectorILNS1_17partition_subalgoE6EsNS0_10empty_typeEbEEZZNS1_14partition_implILS5_6ELb0ES3_mN6thrust23THRUST_200600_302600_NS6detail15normal_iteratorINSA_10device_ptrIsEEEEPS6_SG_NS0_5tupleIJSF_S6_EEENSH_IJSG_SG_EEES6_PlJNSB_9not_fun_tI7is_trueIsEEEEEE10hipError_tPvRmT3_T4_T5_T6_T7_T9_mT8_P12ihipStream_tbDpT10_ENKUlT_T0_E_clISt17integral_constantIbLb1EES18_EEDaS13_S14_EUlS13_E_NS1_11comp_targetILNS1_3genE2ELNS1_11target_archE906ELNS1_3gpuE6ELNS1_3repE0EEENS1_30default_config_static_selectorELNS0_4arch9wavefront6targetE0EEEvT1_.private_seg_size, 0
	.set _ZN7rocprim17ROCPRIM_400000_NS6detail17trampoline_kernelINS0_14default_configENS1_25partition_config_selectorILNS1_17partition_subalgoE6EsNS0_10empty_typeEbEEZZNS1_14partition_implILS5_6ELb0ES3_mN6thrust23THRUST_200600_302600_NS6detail15normal_iteratorINSA_10device_ptrIsEEEEPS6_SG_NS0_5tupleIJSF_S6_EEENSH_IJSG_SG_EEES6_PlJNSB_9not_fun_tI7is_trueIsEEEEEE10hipError_tPvRmT3_T4_T5_T6_T7_T9_mT8_P12ihipStream_tbDpT10_ENKUlT_T0_E_clISt17integral_constantIbLb1EES18_EEDaS13_S14_EUlS13_E_NS1_11comp_targetILNS1_3genE2ELNS1_11target_archE906ELNS1_3gpuE6ELNS1_3repE0EEENS1_30default_config_static_selectorELNS0_4arch9wavefront6targetE0EEEvT1_.uses_vcc, 0
	.set _ZN7rocprim17ROCPRIM_400000_NS6detail17trampoline_kernelINS0_14default_configENS1_25partition_config_selectorILNS1_17partition_subalgoE6EsNS0_10empty_typeEbEEZZNS1_14partition_implILS5_6ELb0ES3_mN6thrust23THRUST_200600_302600_NS6detail15normal_iteratorINSA_10device_ptrIsEEEEPS6_SG_NS0_5tupleIJSF_S6_EEENSH_IJSG_SG_EEES6_PlJNSB_9not_fun_tI7is_trueIsEEEEEE10hipError_tPvRmT3_T4_T5_T6_T7_T9_mT8_P12ihipStream_tbDpT10_ENKUlT_T0_E_clISt17integral_constantIbLb1EES18_EEDaS13_S14_EUlS13_E_NS1_11comp_targetILNS1_3genE2ELNS1_11target_archE906ELNS1_3gpuE6ELNS1_3repE0EEENS1_30default_config_static_selectorELNS0_4arch9wavefront6targetE0EEEvT1_.uses_flat_scratch, 0
	.set _ZN7rocprim17ROCPRIM_400000_NS6detail17trampoline_kernelINS0_14default_configENS1_25partition_config_selectorILNS1_17partition_subalgoE6EsNS0_10empty_typeEbEEZZNS1_14partition_implILS5_6ELb0ES3_mN6thrust23THRUST_200600_302600_NS6detail15normal_iteratorINSA_10device_ptrIsEEEEPS6_SG_NS0_5tupleIJSF_S6_EEENSH_IJSG_SG_EEES6_PlJNSB_9not_fun_tI7is_trueIsEEEEEE10hipError_tPvRmT3_T4_T5_T6_T7_T9_mT8_P12ihipStream_tbDpT10_ENKUlT_T0_E_clISt17integral_constantIbLb1EES18_EEDaS13_S14_EUlS13_E_NS1_11comp_targetILNS1_3genE2ELNS1_11target_archE906ELNS1_3gpuE6ELNS1_3repE0EEENS1_30default_config_static_selectorELNS0_4arch9wavefront6targetE0EEEvT1_.has_dyn_sized_stack, 0
	.set _ZN7rocprim17ROCPRIM_400000_NS6detail17trampoline_kernelINS0_14default_configENS1_25partition_config_selectorILNS1_17partition_subalgoE6EsNS0_10empty_typeEbEEZZNS1_14partition_implILS5_6ELb0ES3_mN6thrust23THRUST_200600_302600_NS6detail15normal_iteratorINSA_10device_ptrIsEEEEPS6_SG_NS0_5tupleIJSF_S6_EEENSH_IJSG_SG_EEES6_PlJNSB_9not_fun_tI7is_trueIsEEEEEE10hipError_tPvRmT3_T4_T5_T6_T7_T9_mT8_P12ihipStream_tbDpT10_ENKUlT_T0_E_clISt17integral_constantIbLb1EES18_EEDaS13_S14_EUlS13_E_NS1_11comp_targetILNS1_3genE2ELNS1_11target_archE906ELNS1_3gpuE6ELNS1_3repE0EEENS1_30default_config_static_selectorELNS0_4arch9wavefront6targetE0EEEvT1_.has_recursion, 0
	.set _ZN7rocprim17ROCPRIM_400000_NS6detail17trampoline_kernelINS0_14default_configENS1_25partition_config_selectorILNS1_17partition_subalgoE6EsNS0_10empty_typeEbEEZZNS1_14partition_implILS5_6ELb0ES3_mN6thrust23THRUST_200600_302600_NS6detail15normal_iteratorINSA_10device_ptrIsEEEEPS6_SG_NS0_5tupleIJSF_S6_EEENSH_IJSG_SG_EEES6_PlJNSB_9not_fun_tI7is_trueIsEEEEEE10hipError_tPvRmT3_T4_T5_T6_T7_T9_mT8_P12ihipStream_tbDpT10_ENKUlT_T0_E_clISt17integral_constantIbLb1EES18_EEDaS13_S14_EUlS13_E_NS1_11comp_targetILNS1_3genE2ELNS1_11target_archE906ELNS1_3gpuE6ELNS1_3repE0EEENS1_30default_config_static_selectorELNS0_4arch9wavefront6targetE0EEEvT1_.has_indirect_call, 0
	.section	.AMDGPU.csdata,"",@progbits
; Kernel info:
; codeLenInByte = 0
; TotalNumSgprs: 0
; NumVgprs: 0
; ScratchSize: 0
; MemoryBound: 0
; FloatMode: 240
; IeeeMode: 1
; LDSByteSize: 0 bytes/workgroup (compile time only)
; SGPRBlocks: 0
; VGPRBlocks: 0
; NumSGPRsForWavesPerEU: 1
; NumVGPRsForWavesPerEU: 1
; Occupancy: 16
; WaveLimiterHint : 0
; COMPUTE_PGM_RSRC2:SCRATCH_EN: 0
; COMPUTE_PGM_RSRC2:USER_SGPR: 2
; COMPUTE_PGM_RSRC2:TRAP_HANDLER: 0
; COMPUTE_PGM_RSRC2:TGID_X_EN: 1
; COMPUTE_PGM_RSRC2:TGID_Y_EN: 0
; COMPUTE_PGM_RSRC2:TGID_Z_EN: 0
; COMPUTE_PGM_RSRC2:TIDIG_COMP_CNT: 0
	.section	.text._ZN7rocprim17ROCPRIM_400000_NS6detail17trampoline_kernelINS0_14default_configENS1_25partition_config_selectorILNS1_17partition_subalgoE6EsNS0_10empty_typeEbEEZZNS1_14partition_implILS5_6ELb0ES3_mN6thrust23THRUST_200600_302600_NS6detail15normal_iteratorINSA_10device_ptrIsEEEEPS6_SG_NS0_5tupleIJSF_S6_EEENSH_IJSG_SG_EEES6_PlJNSB_9not_fun_tI7is_trueIsEEEEEE10hipError_tPvRmT3_T4_T5_T6_T7_T9_mT8_P12ihipStream_tbDpT10_ENKUlT_T0_E_clISt17integral_constantIbLb1EES18_EEDaS13_S14_EUlS13_E_NS1_11comp_targetILNS1_3genE10ELNS1_11target_archE1200ELNS1_3gpuE4ELNS1_3repE0EEENS1_30default_config_static_selectorELNS0_4arch9wavefront6targetE0EEEvT1_,"axG",@progbits,_ZN7rocprim17ROCPRIM_400000_NS6detail17trampoline_kernelINS0_14default_configENS1_25partition_config_selectorILNS1_17partition_subalgoE6EsNS0_10empty_typeEbEEZZNS1_14partition_implILS5_6ELb0ES3_mN6thrust23THRUST_200600_302600_NS6detail15normal_iteratorINSA_10device_ptrIsEEEEPS6_SG_NS0_5tupleIJSF_S6_EEENSH_IJSG_SG_EEES6_PlJNSB_9not_fun_tI7is_trueIsEEEEEE10hipError_tPvRmT3_T4_T5_T6_T7_T9_mT8_P12ihipStream_tbDpT10_ENKUlT_T0_E_clISt17integral_constantIbLb1EES18_EEDaS13_S14_EUlS13_E_NS1_11comp_targetILNS1_3genE10ELNS1_11target_archE1200ELNS1_3gpuE4ELNS1_3repE0EEENS1_30default_config_static_selectorELNS0_4arch9wavefront6targetE0EEEvT1_,comdat
	.protected	_ZN7rocprim17ROCPRIM_400000_NS6detail17trampoline_kernelINS0_14default_configENS1_25partition_config_selectorILNS1_17partition_subalgoE6EsNS0_10empty_typeEbEEZZNS1_14partition_implILS5_6ELb0ES3_mN6thrust23THRUST_200600_302600_NS6detail15normal_iteratorINSA_10device_ptrIsEEEEPS6_SG_NS0_5tupleIJSF_S6_EEENSH_IJSG_SG_EEES6_PlJNSB_9not_fun_tI7is_trueIsEEEEEE10hipError_tPvRmT3_T4_T5_T6_T7_T9_mT8_P12ihipStream_tbDpT10_ENKUlT_T0_E_clISt17integral_constantIbLb1EES18_EEDaS13_S14_EUlS13_E_NS1_11comp_targetILNS1_3genE10ELNS1_11target_archE1200ELNS1_3gpuE4ELNS1_3repE0EEENS1_30default_config_static_selectorELNS0_4arch9wavefront6targetE0EEEvT1_ ; -- Begin function _ZN7rocprim17ROCPRIM_400000_NS6detail17trampoline_kernelINS0_14default_configENS1_25partition_config_selectorILNS1_17partition_subalgoE6EsNS0_10empty_typeEbEEZZNS1_14partition_implILS5_6ELb0ES3_mN6thrust23THRUST_200600_302600_NS6detail15normal_iteratorINSA_10device_ptrIsEEEEPS6_SG_NS0_5tupleIJSF_S6_EEENSH_IJSG_SG_EEES6_PlJNSB_9not_fun_tI7is_trueIsEEEEEE10hipError_tPvRmT3_T4_T5_T6_T7_T9_mT8_P12ihipStream_tbDpT10_ENKUlT_T0_E_clISt17integral_constantIbLb1EES18_EEDaS13_S14_EUlS13_E_NS1_11comp_targetILNS1_3genE10ELNS1_11target_archE1200ELNS1_3gpuE4ELNS1_3repE0EEENS1_30default_config_static_selectorELNS0_4arch9wavefront6targetE0EEEvT1_
	.globl	_ZN7rocprim17ROCPRIM_400000_NS6detail17trampoline_kernelINS0_14default_configENS1_25partition_config_selectorILNS1_17partition_subalgoE6EsNS0_10empty_typeEbEEZZNS1_14partition_implILS5_6ELb0ES3_mN6thrust23THRUST_200600_302600_NS6detail15normal_iteratorINSA_10device_ptrIsEEEEPS6_SG_NS0_5tupleIJSF_S6_EEENSH_IJSG_SG_EEES6_PlJNSB_9not_fun_tI7is_trueIsEEEEEE10hipError_tPvRmT3_T4_T5_T6_T7_T9_mT8_P12ihipStream_tbDpT10_ENKUlT_T0_E_clISt17integral_constantIbLb1EES18_EEDaS13_S14_EUlS13_E_NS1_11comp_targetILNS1_3genE10ELNS1_11target_archE1200ELNS1_3gpuE4ELNS1_3repE0EEENS1_30default_config_static_selectorELNS0_4arch9wavefront6targetE0EEEvT1_
	.p2align	8
	.type	_ZN7rocprim17ROCPRIM_400000_NS6detail17trampoline_kernelINS0_14default_configENS1_25partition_config_selectorILNS1_17partition_subalgoE6EsNS0_10empty_typeEbEEZZNS1_14partition_implILS5_6ELb0ES3_mN6thrust23THRUST_200600_302600_NS6detail15normal_iteratorINSA_10device_ptrIsEEEEPS6_SG_NS0_5tupleIJSF_S6_EEENSH_IJSG_SG_EEES6_PlJNSB_9not_fun_tI7is_trueIsEEEEEE10hipError_tPvRmT3_T4_T5_T6_T7_T9_mT8_P12ihipStream_tbDpT10_ENKUlT_T0_E_clISt17integral_constantIbLb1EES18_EEDaS13_S14_EUlS13_E_NS1_11comp_targetILNS1_3genE10ELNS1_11target_archE1200ELNS1_3gpuE4ELNS1_3repE0EEENS1_30default_config_static_selectorELNS0_4arch9wavefront6targetE0EEEvT1_,@function
_ZN7rocprim17ROCPRIM_400000_NS6detail17trampoline_kernelINS0_14default_configENS1_25partition_config_selectorILNS1_17partition_subalgoE6EsNS0_10empty_typeEbEEZZNS1_14partition_implILS5_6ELb0ES3_mN6thrust23THRUST_200600_302600_NS6detail15normal_iteratorINSA_10device_ptrIsEEEEPS6_SG_NS0_5tupleIJSF_S6_EEENSH_IJSG_SG_EEES6_PlJNSB_9not_fun_tI7is_trueIsEEEEEE10hipError_tPvRmT3_T4_T5_T6_T7_T9_mT8_P12ihipStream_tbDpT10_ENKUlT_T0_E_clISt17integral_constantIbLb1EES18_EEDaS13_S14_EUlS13_E_NS1_11comp_targetILNS1_3genE10ELNS1_11target_archE1200ELNS1_3gpuE4ELNS1_3repE0EEENS1_30default_config_static_selectorELNS0_4arch9wavefront6targetE0EEEvT1_: ; @_ZN7rocprim17ROCPRIM_400000_NS6detail17trampoline_kernelINS0_14default_configENS1_25partition_config_selectorILNS1_17partition_subalgoE6EsNS0_10empty_typeEbEEZZNS1_14partition_implILS5_6ELb0ES3_mN6thrust23THRUST_200600_302600_NS6detail15normal_iteratorINSA_10device_ptrIsEEEEPS6_SG_NS0_5tupleIJSF_S6_EEENSH_IJSG_SG_EEES6_PlJNSB_9not_fun_tI7is_trueIsEEEEEE10hipError_tPvRmT3_T4_T5_T6_T7_T9_mT8_P12ihipStream_tbDpT10_ENKUlT_T0_E_clISt17integral_constantIbLb1EES18_EEDaS13_S14_EUlS13_E_NS1_11comp_targetILNS1_3genE10ELNS1_11target_archE1200ELNS1_3gpuE4ELNS1_3repE0EEENS1_30default_config_static_selectorELNS0_4arch9wavefront6targetE0EEEvT1_
; %bb.0:
	s_endpgm
	.section	.rodata,"a",@progbits
	.p2align	6, 0x0
	.amdhsa_kernel _ZN7rocprim17ROCPRIM_400000_NS6detail17trampoline_kernelINS0_14default_configENS1_25partition_config_selectorILNS1_17partition_subalgoE6EsNS0_10empty_typeEbEEZZNS1_14partition_implILS5_6ELb0ES3_mN6thrust23THRUST_200600_302600_NS6detail15normal_iteratorINSA_10device_ptrIsEEEEPS6_SG_NS0_5tupleIJSF_S6_EEENSH_IJSG_SG_EEES6_PlJNSB_9not_fun_tI7is_trueIsEEEEEE10hipError_tPvRmT3_T4_T5_T6_T7_T9_mT8_P12ihipStream_tbDpT10_ENKUlT_T0_E_clISt17integral_constantIbLb1EES18_EEDaS13_S14_EUlS13_E_NS1_11comp_targetILNS1_3genE10ELNS1_11target_archE1200ELNS1_3gpuE4ELNS1_3repE0EEENS1_30default_config_static_selectorELNS0_4arch9wavefront6targetE0EEEvT1_
		.amdhsa_group_segment_fixed_size 0
		.amdhsa_private_segment_fixed_size 0
		.amdhsa_kernarg_size 128
		.amdhsa_user_sgpr_count 2
		.amdhsa_user_sgpr_dispatch_ptr 0
		.amdhsa_user_sgpr_queue_ptr 0
		.amdhsa_user_sgpr_kernarg_segment_ptr 1
		.amdhsa_user_sgpr_dispatch_id 0
		.amdhsa_user_sgpr_private_segment_size 0
		.amdhsa_wavefront_size32 1
		.amdhsa_uses_dynamic_stack 0
		.amdhsa_enable_private_segment 0
		.amdhsa_system_sgpr_workgroup_id_x 1
		.amdhsa_system_sgpr_workgroup_id_y 0
		.amdhsa_system_sgpr_workgroup_id_z 0
		.amdhsa_system_sgpr_workgroup_info 0
		.amdhsa_system_vgpr_workitem_id 0
		.amdhsa_next_free_vgpr 1
		.amdhsa_next_free_sgpr 1
		.amdhsa_reserve_vcc 0
		.amdhsa_float_round_mode_32 0
		.amdhsa_float_round_mode_16_64 0
		.amdhsa_float_denorm_mode_32 3
		.amdhsa_float_denorm_mode_16_64 3
		.amdhsa_fp16_overflow 0
		.amdhsa_workgroup_processor_mode 1
		.amdhsa_memory_ordered 1
		.amdhsa_forward_progress 1
		.amdhsa_inst_pref_size 1
		.amdhsa_round_robin_scheduling 0
		.amdhsa_exception_fp_ieee_invalid_op 0
		.amdhsa_exception_fp_denorm_src 0
		.amdhsa_exception_fp_ieee_div_zero 0
		.amdhsa_exception_fp_ieee_overflow 0
		.amdhsa_exception_fp_ieee_underflow 0
		.amdhsa_exception_fp_ieee_inexact 0
		.amdhsa_exception_int_div_zero 0
	.end_amdhsa_kernel
	.section	.text._ZN7rocprim17ROCPRIM_400000_NS6detail17trampoline_kernelINS0_14default_configENS1_25partition_config_selectorILNS1_17partition_subalgoE6EsNS0_10empty_typeEbEEZZNS1_14partition_implILS5_6ELb0ES3_mN6thrust23THRUST_200600_302600_NS6detail15normal_iteratorINSA_10device_ptrIsEEEEPS6_SG_NS0_5tupleIJSF_S6_EEENSH_IJSG_SG_EEES6_PlJNSB_9not_fun_tI7is_trueIsEEEEEE10hipError_tPvRmT3_T4_T5_T6_T7_T9_mT8_P12ihipStream_tbDpT10_ENKUlT_T0_E_clISt17integral_constantIbLb1EES18_EEDaS13_S14_EUlS13_E_NS1_11comp_targetILNS1_3genE10ELNS1_11target_archE1200ELNS1_3gpuE4ELNS1_3repE0EEENS1_30default_config_static_selectorELNS0_4arch9wavefront6targetE0EEEvT1_,"axG",@progbits,_ZN7rocprim17ROCPRIM_400000_NS6detail17trampoline_kernelINS0_14default_configENS1_25partition_config_selectorILNS1_17partition_subalgoE6EsNS0_10empty_typeEbEEZZNS1_14partition_implILS5_6ELb0ES3_mN6thrust23THRUST_200600_302600_NS6detail15normal_iteratorINSA_10device_ptrIsEEEEPS6_SG_NS0_5tupleIJSF_S6_EEENSH_IJSG_SG_EEES6_PlJNSB_9not_fun_tI7is_trueIsEEEEEE10hipError_tPvRmT3_T4_T5_T6_T7_T9_mT8_P12ihipStream_tbDpT10_ENKUlT_T0_E_clISt17integral_constantIbLb1EES18_EEDaS13_S14_EUlS13_E_NS1_11comp_targetILNS1_3genE10ELNS1_11target_archE1200ELNS1_3gpuE4ELNS1_3repE0EEENS1_30default_config_static_selectorELNS0_4arch9wavefront6targetE0EEEvT1_,comdat
.Lfunc_end1282:
	.size	_ZN7rocprim17ROCPRIM_400000_NS6detail17trampoline_kernelINS0_14default_configENS1_25partition_config_selectorILNS1_17partition_subalgoE6EsNS0_10empty_typeEbEEZZNS1_14partition_implILS5_6ELb0ES3_mN6thrust23THRUST_200600_302600_NS6detail15normal_iteratorINSA_10device_ptrIsEEEEPS6_SG_NS0_5tupleIJSF_S6_EEENSH_IJSG_SG_EEES6_PlJNSB_9not_fun_tI7is_trueIsEEEEEE10hipError_tPvRmT3_T4_T5_T6_T7_T9_mT8_P12ihipStream_tbDpT10_ENKUlT_T0_E_clISt17integral_constantIbLb1EES18_EEDaS13_S14_EUlS13_E_NS1_11comp_targetILNS1_3genE10ELNS1_11target_archE1200ELNS1_3gpuE4ELNS1_3repE0EEENS1_30default_config_static_selectorELNS0_4arch9wavefront6targetE0EEEvT1_, .Lfunc_end1282-_ZN7rocprim17ROCPRIM_400000_NS6detail17trampoline_kernelINS0_14default_configENS1_25partition_config_selectorILNS1_17partition_subalgoE6EsNS0_10empty_typeEbEEZZNS1_14partition_implILS5_6ELb0ES3_mN6thrust23THRUST_200600_302600_NS6detail15normal_iteratorINSA_10device_ptrIsEEEEPS6_SG_NS0_5tupleIJSF_S6_EEENSH_IJSG_SG_EEES6_PlJNSB_9not_fun_tI7is_trueIsEEEEEE10hipError_tPvRmT3_T4_T5_T6_T7_T9_mT8_P12ihipStream_tbDpT10_ENKUlT_T0_E_clISt17integral_constantIbLb1EES18_EEDaS13_S14_EUlS13_E_NS1_11comp_targetILNS1_3genE10ELNS1_11target_archE1200ELNS1_3gpuE4ELNS1_3repE0EEENS1_30default_config_static_selectorELNS0_4arch9wavefront6targetE0EEEvT1_
                                        ; -- End function
	.set _ZN7rocprim17ROCPRIM_400000_NS6detail17trampoline_kernelINS0_14default_configENS1_25partition_config_selectorILNS1_17partition_subalgoE6EsNS0_10empty_typeEbEEZZNS1_14partition_implILS5_6ELb0ES3_mN6thrust23THRUST_200600_302600_NS6detail15normal_iteratorINSA_10device_ptrIsEEEEPS6_SG_NS0_5tupleIJSF_S6_EEENSH_IJSG_SG_EEES6_PlJNSB_9not_fun_tI7is_trueIsEEEEEE10hipError_tPvRmT3_T4_T5_T6_T7_T9_mT8_P12ihipStream_tbDpT10_ENKUlT_T0_E_clISt17integral_constantIbLb1EES18_EEDaS13_S14_EUlS13_E_NS1_11comp_targetILNS1_3genE10ELNS1_11target_archE1200ELNS1_3gpuE4ELNS1_3repE0EEENS1_30default_config_static_selectorELNS0_4arch9wavefront6targetE0EEEvT1_.num_vgpr, 0
	.set _ZN7rocprim17ROCPRIM_400000_NS6detail17trampoline_kernelINS0_14default_configENS1_25partition_config_selectorILNS1_17partition_subalgoE6EsNS0_10empty_typeEbEEZZNS1_14partition_implILS5_6ELb0ES3_mN6thrust23THRUST_200600_302600_NS6detail15normal_iteratorINSA_10device_ptrIsEEEEPS6_SG_NS0_5tupleIJSF_S6_EEENSH_IJSG_SG_EEES6_PlJNSB_9not_fun_tI7is_trueIsEEEEEE10hipError_tPvRmT3_T4_T5_T6_T7_T9_mT8_P12ihipStream_tbDpT10_ENKUlT_T0_E_clISt17integral_constantIbLb1EES18_EEDaS13_S14_EUlS13_E_NS1_11comp_targetILNS1_3genE10ELNS1_11target_archE1200ELNS1_3gpuE4ELNS1_3repE0EEENS1_30default_config_static_selectorELNS0_4arch9wavefront6targetE0EEEvT1_.num_agpr, 0
	.set _ZN7rocprim17ROCPRIM_400000_NS6detail17trampoline_kernelINS0_14default_configENS1_25partition_config_selectorILNS1_17partition_subalgoE6EsNS0_10empty_typeEbEEZZNS1_14partition_implILS5_6ELb0ES3_mN6thrust23THRUST_200600_302600_NS6detail15normal_iteratorINSA_10device_ptrIsEEEEPS6_SG_NS0_5tupleIJSF_S6_EEENSH_IJSG_SG_EEES6_PlJNSB_9not_fun_tI7is_trueIsEEEEEE10hipError_tPvRmT3_T4_T5_T6_T7_T9_mT8_P12ihipStream_tbDpT10_ENKUlT_T0_E_clISt17integral_constantIbLb1EES18_EEDaS13_S14_EUlS13_E_NS1_11comp_targetILNS1_3genE10ELNS1_11target_archE1200ELNS1_3gpuE4ELNS1_3repE0EEENS1_30default_config_static_selectorELNS0_4arch9wavefront6targetE0EEEvT1_.numbered_sgpr, 0
	.set _ZN7rocprim17ROCPRIM_400000_NS6detail17trampoline_kernelINS0_14default_configENS1_25partition_config_selectorILNS1_17partition_subalgoE6EsNS0_10empty_typeEbEEZZNS1_14partition_implILS5_6ELb0ES3_mN6thrust23THRUST_200600_302600_NS6detail15normal_iteratorINSA_10device_ptrIsEEEEPS6_SG_NS0_5tupleIJSF_S6_EEENSH_IJSG_SG_EEES6_PlJNSB_9not_fun_tI7is_trueIsEEEEEE10hipError_tPvRmT3_T4_T5_T6_T7_T9_mT8_P12ihipStream_tbDpT10_ENKUlT_T0_E_clISt17integral_constantIbLb1EES18_EEDaS13_S14_EUlS13_E_NS1_11comp_targetILNS1_3genE10ELNS1_11target_archE1200ELNS1_3gpuE4ELNS1_3repE0EEENS1_30default_config_static_selectorELNS0_4arch9wavefront6targetE0EEEvT1_.num_named_barrier, 0
	.set _ZN7rocprim17ROCPRIM_400000_NS6detail17trampoline_kernelINS0_14default_configENS1_25partition_config_selectorILNS1_17partition_subalgoE6EsNS0_10empty_typeEbEEZZNS1_14partition_implILS5_6ELb0ES3_mN6thrust23THRUST_200600_302600_NS6detail15normal_iteratorINSA_10device_ptrIsEEEEPS6_SG_NS0_5tupleIJSF_S6_EEENSH_IJSG_SG_EEES6_PlJNSB_9not_fun_tI7is_trueIsEEEEEE10hipError_tPvRmT3_T4_T5_T6_T7_T9_mT8_P12ihipStream_tbDpT10_ENKUlT_T0_E_clISt17integral_constantIbLb1EES18_EEDaS13_S14_EUlS13_E_NS1_11comp_targetILNS1_3genE10ELNS1_11target_archE1200ELNS1_3gpuE4ELNS1_3repE0EEENS1_30default_config_static_selectorELNS0_4arch9wavefront6targetE0EEEvT1_.private_seg_size, 0
	.set _ZN7rocprim17ROCPRIM_400000_NS6detail17trampoline_kernelINS0_14default_configENS1_25partition_config_selectorILNS1_17partition_subalgoE6EsNS0_10empty_typeEbEEZZNS1_14partition_implILS5_6ELb0ES3_mN6thrust23THRUST_200600_302600_NS6detail15normal_iteratorINSA_10device_ptrIsEEEEPS6_SG_NS0_5tupleIJSF_S6_EEENSH_IJSG_SG_EEES6_PlJNSB_9not_fun_tI7is_trueIsEEEEEE10hipError_tPvRmT3_T4_T5_T6_T7_T9_mT8_P12ihipStream_tbDpT10_ENKUlT_T0_E_clISt17integral_constantIbLb1EES18_EEDaS13_S14_EUlS13_E_NS1_11comp_targetILNS1_3genE10ELNS1_11target_archE1200ELNS1_3gpuE4ELNS1_3repE0EEENS1_30default_config_static_selectorELNS0_4arch9wavefront6targetE0EEEvT1_.uses_vcc, 0
	.set _ZN7rocprim17ROCPRIM_400000_NS6detail17trampoline_kernelINS0_14default_configENS1_25partition_config_selectorILNS1_17partition_subalgoE6EsNS0_10empty_typeEbEEZZNS1_14partition_implILS5_6ELb0ES3_mN6thrust23THRUST_200600_302600_NS6detail15normal_iteratorINSA_10device_ptrIsEEEEPS6_SG_NS0_5tupleIJSF_S6_EEENSH_IJSG_SG_EEES6_PlJNSB_9not_fun_tI7is_trueIsEEEEEE10hipError_tPvRmT3_T4_T5_T6_T7_T9_mT8_P12ihipStream_tbDpT10_ENKUlT_T0_E_clISt17integral_constantIbLb1EES18_EEDaS13_S14_EUlS13_E_NS1_11comp_targetILNS1_3genE10ELNS1_11target_archE1200ELNS1_3gpuE4ELNS1_3repE0EEENS1_30default_config_static_selectorELNS0_4arch9wavefront6targetE0EEEvT1_.uses_flat_scratch, 0
	.set _ZN7rocprim17ROCPRIM_400000_NS6detail17trampoline_kernelINS0_14default_configENS1_25partition_config_selectorILNS1_17partition_subalgoE6EsNS0_10empty_typeEbEEZZNS1_14partition_implILS5_6ELb0ES3_mN6thrust23THRUST_200600_302600_NS6detail15normal_iteratorINSA_10device_ptrIsEEEEPS6_SG_NS0_5tupleIJSF_S6_EEENSH_IJSG_SG_EEES6_PlJNSB_9not_fun_tI7is_trueIsEEEEEE10hipError_tPvRmT3_T4_T5_T6_T7_T9_mT8_P12ihipStream_tbDpT10_ENKUlT_T0_E_clISt17integral_constantIbLb1EES18_EEDaS13_S14_EUlS13_E_NS1_11comp_targetILNS1_3genE10ELNS1_11target_archE1200ELNS1_3gpuE4ELNS1_3repE0EEENS1_30default_config_static_selectorELNS0_4arch9wavefront6targetE0EEEvT1_.has_dyn_sized_stack, 0
	.set _ZN7rocprim17ROCPRIM_400000_NS6detail17trampoline_kernelINS0_14default_configENS1_25partition_config_selectorILNS1_17partition_subalgoE6EsNS0_10empty_typeEbEEZZNS1_14partition_implILS5_6ELb0ES3_mN6thrust23THRUST_200600_302600_NS6detail15normal_iteratorINSA_10device_ptrIsEEEEPS6_SG_NS0_5tupleIJSF_S6_EEENSH_IJSG_SG_EEES6_PlJNSB_9not_fun_tI7is_trueIsEEEEEE10hipError_tPvRmT3_T4_T5_T6_T7_T9_mT8_P12ihipStream_tbDpT10_ENKUlT_T0_E_clISt17integral_constantIbLb1EES18_EEDaS13_S14_EUlS13_E_NS1_11comp_targetILNS1_3genE10ELNS1_11target_archE1200ELNS1_3gpuE4ELNS1_3repE0EEENS1_30default_config_static_selectorELNS0_4arch9wavefront6targetE0EEEvT1_.has_recursion, 0
	.set _ZN7rocprim17ROCPRIM_400000_NS6detail17trampoline_kernelINS0_14default_configENS1_25partition_config_selectorILNS1_17partition_subalgoE6EsNS0_10empty_typeEbEEZZNS1_14partition_implILS5_6ELb0ES3_mN6thrust23THRUST_200600_302600_NS6detail15normal_iteratorINSA_10device_ptrIsEEEEPS6_SG_NS0_5tupleIJSF_S6_EEENSH_IJSG_SG_EEES6_PlJNSB_9not_fun_tI7is_trueIsEEEEEE10hipError_tPvRmT3_T4_T5_T6_T7_T9_mT8_P12ihipStream_tbDpT10_ENKUlT_T0_E_clISt17integral_constantIbLb1EES18_EEDaS13_S14_EUlS13_E_NS1_11comp_targetILNS1_3genE10ELNS1_11target_archE1200ELNS1_3gpuE4ELNS1_3repE0EEENS1_30default_config_static_selectorELNS0_4arch9wavefront6targetE0EEEvT1_.has_indirect_call, 0
	.section	.AMDGPU.csdata,"",@progbits
; Kernel info:
; codeLenInByte = 4
; TotalNumSgprs: 0
; NumVgprs: 0
; ScratchSize: 0
; MemoryBound: 0
; FloatMode: 240
; IeeeMode: 1
; LDSByteSize: 0 bytes/workgroup (compile time only)
; SGPRBlocks: 0
; VGPRBlocks: 0
; NumSGPRsForWavesPerEU: 1
; NumVGPRsForWavesPerEU: 1
; Occupancy: 16
; WaveLimiterHint : 0
; COMPUTE_PGM_RSRC2:SCRATCH_EN: 0
; COMPUTE_PGM_RSRC2:USER_SGPR: 2
; COMPUTE_PGM_RSRC2:TRAP_HANDLER: 0
; COMPUTE_PGM_RSRC2:TGID_X_EN: 1
; COMPUTE_PGM_RSRC2:TGID_Y_EN: 0
; COMPUTE_PGM_RSRC2:TGID_Z_EN: 0
; COMPUTE_PGM_RSRC2:TIDIG_COMP_CNT: 0
	.section	.text._ZN7rocprim17ROCPRIM_400000_NS6detail17trampoline_kernelINS0_14default_configENS1_25partition_config_selectorILNS1_17partition_subalgoE6EsNS0_10empty_typeEbEEZZNS1_14partition_implILS5_6ELb0ES3_mN6thrust23THRUST_200600_302600_NS6detail15normal_iteratorINSA_10device_ptrIsEEEEPS6_SG_NS0_5tupleIJSF_S6_EEENSH_IJSG_SG_EEES6_PlJNSB_9not_fun_tI7is_trueIsEEEEEE10hipError_tPvRmT3_T4_T5_T6_T7_T9_mT8_P12ihipStream_tbDpT10_ENKUlT_T0_E_clISt17integral_constantIbLb1EES18_EEDaS13_S14_EUlS13_E_NS1_11comp_targetILNS1_3genE9ELNS1_11target_archE1100ELNS1_3gpuE3ELNS1_3repE0EEENS1_30default_config_static_selectorELNS0_4arch9wavefront6targetE0EEEvT1_,"axG",@progbits,_ZN7rocprim17ROCPRIM_400000_NS6detail17trampoline_kernelINS0_14default_configENS1_25partition_config_selectorILNS1_17partition_subalgoE6EsNS0_10empty_typeEbEEZZNS1_14partition_implILS5_6ELb0ES3_mN6thrust23THRUST_200600_302600_NS6detail15normal_iteratorINSA_10device_ptrIsEEEEPS6_SG_NS0_5tupleIJSF_S6_EEENSH_IJSG_SG_EEES6_PlJNSB_9not_fun_tI7is_trueIsEEEEEE10hipError_tPvRmT3_T4_T5_T6_T7_T9_mT8_P12ihipStream_tbDpT10_ENKUlT_T0_E_clISt17integral_constantIbLb1EES18_EEDaS13_S14_EUlS13_E_NS1_11comp_targetILNS1_3genE9ELNS1_11target_archE1100ELNS1_3gpuE3ELNS1_3repE0EEENS1_30default_config_static_selectorELNS0_4arch9wavefront6targetE0EEEvT1_,comdat
	.protected	_ZN7rocprim17ROCPRIM_400000_NS6detail17trampoline_kernelINS0_14default_configENS1_25partition_config_selectorILNS1_17partition_subalgoE6EsNS0_10empty_typeEbEEZZNS1_14partition_implILS5_6ELb0ES3_mN6thrust23THRUST_200600_302600_NS6detail15normal_iteratorINSA_10device_ptrIsEEEEPS6_SG_NS0_5tupleIJSF_S6_EEENSH_IJSG_SG_EEES6_PlJNSB_9not_fun_tI7is_trueIsEEEEEE10hipError_tPvRmT3_T4_T5_T6_T7_T9_mT8_P12ihipStream_tbDpT10_ENKUlT_T0_E_clISt17integral_constantIbLb1EES18_EEDaS13_S14_EUlS13_E_NS1_11comp_targetILNS1_3genE9ELNS1_11target_archE1100ELNS1_3gpuE3ELNS1_3repE0EEENS1_30default_config_static_selectorELNS0_4arch9wavefront6targetE0EEEvT1_ ; -- Begin function _ZN7rocprim17ROCPRIM_400000_NS6detail17trampoline_kernelINS0_14default_configENS1_25partition_config_selectorILNS1_17partition_subalgoE6EsNS0_10empty_typeEbEEZZNS1_14partition_implILS5_6ELb0ES3_mN6thrust23THRUST_200600_302600_NS6detail15normal_iteratorINSA_10device_ptrIsEEEEPS6_SG_NS0_5tupleIJSF_S6_EEENSH_IJSG_SG_EEES6_PlJNSB_9not_fun_tI7is_trueIsEEEEEE10hipError_tPvRmT3_T4_T5_T6_T7_T9_mT8_P12ihipStream_tbDpT10_ENKUlT_T0_E_clISt17integral_constantIbLb1EES18_EEDaS13_S14_EUlS13_E_NS1_11comp_targetILNS1_3genE9ELNS1_11target_archE1100ELNS1_3gpuE3ELNS1_3repE0EEENS1_30default_config_static_selectorELNS0_4arch9wavefront6targetE0EEEvT1_
	.globl	_ZN7rocprim17ROCPRIM_400000_NS6detail17trampoline_kernelINS0_14default_configENS1_25partition_config_selectorILNS1_17partition_subalgoE6EsNS0_10empty_typeEbEEZZNS1_14partition_implILS5_6ELb0ES3_mN6thrust23THRUST_200600_302600_NS6detail15normal_iteratorINSA_10device_ptrIsEEEEPS6_SG_NS0_5tupleIJSF_S6_EEENSH_IJSG_SG_EEES6_PlJNSB_9not_fun_tI7is_trueIsEEEEEE10hipError_tPvRmT3_T4_T5_T6_T7_T9_mT8_P12ihipStream_tbDpT10_ENKUlT_T0_E_clISt17integral_constantIbLb1EES18_EEDaS13_S14_EUlS13_E_NS1_11comp_targetILNS1_3genE9ELNS1_11target_archE1100ELNS1_3gpuE3ELNS1_3repE0EEENS1_30default_config_static_selectorELNS0_4arch9wavefront6targetE0EEEvT1_
	.p2align	8
	.type	_ZN7rocprim17ROCPRIM_400000_NS6detail17trampoline_kernelINS0_14default_configENS1_25partition_config_selectorILNS1_17partition_subalgoE6EsNS0_10empty_typeEbEEZZNS1_14partition_implILS5_6ELb0ES3_mN6thrust23THRUST_200600_302600_NS6detail15normal_iteratorINSA_10device_ptrIsEEEEPS6_SG_NS0_5tupleIJSF_S6_EEENSH_IJSG_SG_EEES6_PlJNSB_9not_fun_tI7is_trueIsEEEEEE10hipError_tPvRmT3_T4_T5_T6_T7_T9_mT8_P12ihipStream_tbDpT10_ENKUlT_T0_E_clISt17integral_constantIbLb1EES18_EEDaS13_S14_EUlS13_E_NS1_11comp_targetILNS1_3genE9ELNS1_11target_archE1100ELNS1_3gpuE3ELNS1_3repE0EEENS1_30default_config_static_selectorELNS0_4arch9wavefront6targetE0EEEvT1_,@function
_ZN7rocprim17ROCPRIM_400000_NS6detail17trampoline_kernelINS0_14default_configENS1_25partition_config_selectorILNS1_17partition_subalgoE6EsNS0_10empty_typeEbEEZZNS1_14partition_implILS5_6ELb0ES3_mN6thrust23THRUST_200600_302600_NS6detail15normal_iteratorINSA_10device_ptrIsEEEEPS6_SG_NS0_5tupleIJSF_S6_EEENSH_IJSG_SG_EEES6_PlJNSB_9not_fun_tI7is_trueIsEEEEEE10hipError_tPvRmT3_T4_T5_T6_T7_T9_mT8_P12ihipStream_tbDpT10_ENKUlT_T0_E_clISt17integral_constantIbLb1EES18_EEDaS13_S14_EUlS13_E_NS1_11comp_targetILNS1_3genE9ELNS1_11target_archE1100ELNS1_3gpuE3ELNS1_3repE0EEENS1_30default_config_static_selectorELNS0_4arch9wavefront6targetE0EEEvT1_: ; @_ZN7rocprim17ROCPRIM_400000_NS6detail17trampoline_kernelINS0_14default_configENS1_25partition_config_selectorILNS1_17partition_subalgoE6EsNS0_10empty_typeEbEEZZNS1_14partition_implILS5_6ELb0ES3_mN6thrust23THRUST_200600_302600_NS6detail15normal_iteratorINSA_10device_ptrIsEEEEPS6_SG_NS0_5tupleIJSF_S6_EEENSH_IJSG_SG_EEES6_PlJNSB_9not_fun_tI7is_trueIsEEEEEE10hipError_tPvRmT3_T4_T5_T6_T7_T9_mT8_P12ihipStream_tbDpT10_ENKUlT_T0_E_clISt17integral_constantIbLb1EES18_EEDaS13_S14_EUlS13_E_NS1_11comp_targetILNS1_3genE9ELNS1_11target_archE1100ELNS1_3gpuE3ELNS1_3repE0EEENS1_30default_config_static_selectorELNS0_4arch9wavefront6targetE0EEEvT1_
; %bb.0:
	.section	.rodata,"a",@progbits
	.p2align	6, 0x0
	.amdhsa_kernel _ZN7rocprim17ROCPRIM_400000_NS6detail17trampoline_kernelINS0_14default_configENS1_25partition_config_selectorILNS1_17partition_subalgoE6EsNS0_10empty_typeEbEEZZNS1_14partition_implILS5_6ELb0ES3_mN6thrust23THRUST_200600_302600_NS6detail15normal_iteratorINSA_10device_ptrIsEEEEPS6_SG_NS0_5tupleIJSF_S6_EEENSH_IJSG_SG_EEES6_PlJNSB_9not_fun_tI7is_trueIsEEEEEE10hipError_tPvRmT3_T4_T5_T6_T7_T9_mT8_P12ihipStream_tbDpT10_ENKUlT_T0_E_clISt17integral_constantIbLb1EES18_EEDaS13_S14_EUlS13_E_NS1_11comp_targetILNS1_3genE9ELNS1_11target_archE1100ELNS1_3gpuE3ELNS1_3repE0EEENS1_30default_config_static_selectorELNS0_4arch9wavefront6targetE0EEEvT1_
		.amdhsa_group_segment_fixed_size 0
		.amdhsa_private_segment_fixed_size 0
		.amdhsa_kernarg_size 128
		.amdhsa_user_sgpr_count 2
		.amdhsa_user_sgpr_dispatch_ptr 0
		.amdhsa_user_sgpr_queue_ptr 0
		.amdhsa_user_sgpr_kernarg_segment_ptr 1
		.amdhsa_user_sgpr_dispatch_id 0
		.amdhsa_user_sgpr_private_segment_size 0
		.amdhsa_wavefront_size32 1
		.amdhsa_uses_dynamic_stack 0
		.amdhsa_enable_private_segment 0
		.amdhsa_system_sgpr_workgroup_id_x 1
		.amdhsa_system_sgpr_workgroup_id_y 0
		.amdhsa_system_sgpr_workgroup_id_z 0
		.amdhsa_system_sgpr_workgroup_info 0
		.amdhsa_system_vgpr_workitem_id 0
		.amdhsa_next_free_vgpr 1
		.amdhsa_next_free_sgpr 1
		.amdhsa_reserve_vcc 0
		.amdhsa_float_round_mode_32 0
		.amdhsa_float_round_mode_16_64 0
		.amdhsa_float_denorm_mode_32 3
		.amdhsa_float_denorm_mode_16_64 3
		.amdhsa_fp16_overflow 0
		.amdhsa_workgroup_processor_mode 1
		.amdhsa_memory_ordered 1
		.amdhsa_forward_progress 1
		.amdhsa_inst_pref_size 0
		.amdhsa_round_robin_scheduling 0
		.amdhsa_exception_fp_ieee_invalid_op 0
		.amdhsa_exception_fp_denorm_src 0
		.amdhsa_exception_fp_ieee_div_zero 0
		.amdhsa_exception_fp_ieee_overflow 0
		.amdhsa_exception_fp_ieee_underflow 0
		.amdhsa_exception_fp_ieee_inexact 0
		.amdhsa_exception_int_div_zero 0
	.end_amdhsa_kernel
	.section	.text._ZN7rocprim17ROCPRIM_400000_NS6detail17trampoline_kernelINS0_14default_configENS1_25partition_config_selectorILNS1_17partition_subalgoE6EsNS0_10empty_typeEbEEZZNS1_14partition_implILS5_6ELb0ES3_mN6thrust23THRUST_200600_302600_NS6detail15normal_iteratorINSA_10device_ptrIsEEEEPS6_SG_NS0_5tupleIJSF_S6_EEENSH_IJSG_SG_EEES6_PlJNSB_9not_fun_tI7is_trueIsEEEEEE10hipError_tPvRmT3_T4_T5_T6_T7_T9_mT8_P12ihipStream_tbDpT10_ENKUlT_T0_E_clISt17integral_constantIbLb1EES18_EEDaS13_S14_EUlS13_E_NS1_11comp_targetILNS1_3genE9ELNS1_11target_archE1100ELNS1_3gpuE3ELNS1_3repE0EEENS1_30default_config_static_selectorELNS0_4arch9wavefront6targetE0EEEvT1_,"axG",@progbits,_ZN7rocprim17ROCPRIM_400000_NS6detail17trampoline_kernelINS0_14default_configENS1_25partition_config_selectorILNS1_17partition_subalgoE6EsNS0_10empty_typeEbEEZZNS1_14partition_implILS5_6ELb0ES3_mN6thrust23THRUST_200600_302600_NS6detail15normal_iteratorINSA_10device_ptrIsEEEEPS6_SG_NS0_5tupleIJSF_S6_EEENSH_IJSG_SG_EEES6_PlJNSB_9not_fun_tI7is_trueIsEEEEEE10hipError_tPvRmT3_T4_T5_T6_T7_T9_mT8_P12ihipStream_tbDpT10_ENKUlT_T0_E_clISt17integral_constantIbLb1EES18_EEDaS13_S14_EUlS13_E_NS1_11comp_targetILNS1_3genE9ELNS1_11target_archE1100ELNS1_3gpuE3ELNS1_3repE0EEENS1_30default_config_static_selectorELNS0_4arch9wavefront6targetE0EEEvT1_,comdat
.Lfunc_end1283:
	.size	_ZN7rocprim17ROCPRIM_400000_NS6detail17trampoline_kernelINS0_14default_configENS1_25partition_config_selectorILNS1_17partition_subalgoE6EsNS0_10empty_typeEbEEZZNS1_14partition_implILS5_6ELb0ES3_mN6thrust23THRUST_200600_302600_NS6detail15normal_iteratorINSA_10device_ptrIsEEEEPS6_SG_NS0_5tupleIJSF_S6_EEENSH_IJSG_SG_EEES6_PlJNSB_9not_fun_tI7is_trueIsEEEEEE10hipError_tPvRmT3_T4_T5_T6_T7_T9_mT8_P12ihipStream_tbDpT10_ENKUlT_T0_E_clISt17integral_constantIbLb1EES18_EEDaS13_S14_EUlS13_E_NS1_11comp_targetILNS1_3genE9ELNS1_11target_archE1100ELNS1_3gpuE3ELNS1_3repE0EEENS1_30default_config_static_selectorELNS0_4arch9wavefront6targetE0EEEvT1_, .Lfunc_end1283-_ZN7rocprim17ROCPRIM_400000_NS6detail17trampoline_kernelINS0_14default_configENS1_25partition_config_selectorILNS1_17partition_subalgoE6EsNS0_10empty_typeEbEEZZNS1_14partition_implILS5_6ELb0ES3_mN6thrust23THRUST_200600_302600_NS6detail15normal_iteratorINSA_10device_ptrIsEEEEPS6_SG_NS0_5tupleIJSF_S6_EEENSH_IJSG_SG_EEES6_PlJNSB_9not_fun_tI7is_trueIsEEEEEE10hipError_tPvRmT3_T4_T5_T6_T7_T9_mT8_P12ihipStream_tbDpT10_ENKUlT_T0_E_clISt17integral_constantIbLb1EES18_EEDaS13_S14_EUlS13_E_NS1_11comp_targetILNS1_3genE9ELNS1_11target_archE1100ELNS1_3gpuE3ELNS1_3repE0EEENS1_30default_config_static_selectorELNS0_4arch9wavefront6targetE0EEEvT1_
                                        ; -- End function
	.set _ZN7rocprim17ROCPRIM_400000_NS6detail17trampoline_kernelINS0_14default_configENS1_25partition_config_selectorILNS1_17partition_subalgoE6EsNS0_10empty_typeEbEEZZNS1_14partition_implILS5_6ELb0ES3_mN6thrust23THRUST_200600_302600_NS6detail15normal_iteratorINSA_10device_ptrIsEEEEPS6_SG_NS0_5tupleIJSF_S6_EEENSH_IJSG_SG_EEES6_PlJNSB_9not_fun_tI7is_trueIsEEEEEE10hipError_tPvRmT3_T4_T5_T6_T7_T9_mT8_P12ihipStream_tbDpT10_ENKUlT_T0_E_clISt17integral_constantIbLb1EES18_EEDaS13_S14_EUlS13_E_NS1_11comp_targetILNS1_3genE9ELNS1_11target_archE1100ELNS1_3gpuE3ELNS1_3repE0EEENS1_30default_config_static_selectorELNS0_4arch9wavefront6targetE0EEEvT1_.num_vgpr, 0
	.set _ZN7rocprim17ROCPRIM_400000_NS6detail17trampoline_kernelINS0_14default_configENS1_25partition_config_selectorILNS1_17partition_subalgoE6EsNS0_10empty_typeEbEEZZNS1_14partition_implILS5_6ELb0ES3_mN6thrust23THRUST_200600_302600_NS6detail15normal_iteratorINSA_10device_ptrIsEEEEPS6_SG_NS0_5tupleIJSF_S6_EEENSH_IJSG_SG_EEES6_PlJNSB_9not_fun_tI7is_trueIsEEEEEE10hipError_tPvRmT3_T4_T5_T6_T7_T9_mT8_P12ihipStream_tbDpT10_ENKUlT_T0_E_clISt17integral_constantIbLb1EES18_EEDaS13_S14_EUlS13_E_NS1_11comp_targetILNS1_3genE9ELNS1_11target_archE1100ELNS1_3gpuE3ELNS1_3repE0EEENS1_30default_config_static_selectorELNS0_4arch9wavefront6targetE0EEEvT1_.num_agpr, 0
	.set _ZN7rocprim17ROCPRIM_400000_NS6detail17trampoline_kernelINS0_14default_configENS1_25partition_config_selectorILNS1_17partition_subalgoE6EsNS0_10empty_typeEbEEZZNS1_14partition_implILS5_6ELb0ES3_mN6thrust23THRUST_200600_302600_NS6detail15normal_iteratorINSA_10device_ptrIsEEEEPS6_SG_NS0_5tupleIJSF_S6_EEENSH_IJSG_SG_EEES6_PlJNSB_9not_fun_tI7is_trueIsEEEEEE10hipError_tPvRmT3_T4_T5_T6_T7_T9_mT8_P12ihipStream_tbDpT10_ENKUlT_T0_E_clISt17integral_constantIbLb1EES18_EEDaS13_S14_EUlS13_E_NS1_11comp_targetILNS1_3genE9ELNS1_11target_archE1100ELNS1_3gpuE3ELNS1_3repE0EEENS1_30default_config_static_selectorELNS0_4arch9wavefront6targetE0EEEvT1_.numbered_sgpr, 0
	.set _ZN7rocprim17ROCPRIM_400000_NS6detail17trampoline_kernelINS0_14default_configENS1_25partition_config_selectorILNS1_17partition_subalgoE6EsNS0_10empty_typeEbEEZZNS1_14partition_implILS5_6ELb0ES3_mN6thrust23THRUST_200600_302600_NS6detail15normal_iteratorINSA_10device_ptrIsEEEEPS6_SG_NS0_5tupleIJSF_S6_EEENSH_IJSG_SG_EEES6_PlJNSB_9not_fun_tI7is_trueIsEEEEEE10hipError_tPvRmT3_T4_T5_T6_T7_T9_mT8_P12ihipStream_tbDpT10_ENKUlT_T0_E_clISt17integral_constantIbLb1EES18_EEDaS13_S14_EUlS13_E_NS1_11comp_targetILNS1_3genE9ELNS1_11target_archE1100ELNS1_3gpuE3ELNS1_3repE0EEENS1_30default_config_static_selectorELNS0_4arch9wavefront6targetE0EEEvT1_.num_named_barrier, 0
	.set _ZN7rocprim17ROCPRIM_400000_NS6detail17trampoline_kernelINS0_14default_configENS1_25partition_config_selectorILNS1_17partition_subalgoE6EsNS0_10empty_typeEbEEZZNS1_14partition_implILS5_6ELb0ES3_mN6thrust23THRUST_200600_302600_NS6detail15normal_iteratorINSA_10device_ptrIsEEEEPS6_SG_NS0_5tupleIJSF_S6_EEENSH_IJSG_SG_EEES6_PlJNSB_9not_fun_tI7is_trueIsEEEEEE10hipError_tPvRmT3_T4_T5_T6_T7_T9_mT8_P12ihipStream_tbDpT10_ENKUlT_T0_E_clISt17integral_constantIbLb1EES18_EEDaS13_S14_EUlS13_E_NS1_11comp_targetILNS1_3genE9ELNS1_11target_archE1100ELNS1_3gpuE3ELNS1_3repE0EEENS1_30default_config_static_selectorELNS0_4arch9wavefront6targetE0EEEvT1_.private_seg_size, 0
	.set _ZN7rocprim17ROCPRIM_400000_NS6detail17trampoline_kernelINS0_14default_configENS1_25partition_config_selectorILNS1_17partition_subalgoE6EsNS0_10empty_typeEbEEZZNS1_14partition_implILS5_6ELb0ES3_mN6thrust23THRUST_200600_302600_NS6detail15normal_iteratorINSA_10device_ptrIsEEEEPS6_SG_NS0_5tupleIJSF_S6_EEENSH_IJSG_SG_EEES6_PlJNSB_9not_fun_tI7is_trueIsEEEEEE10hipError_tPvRmT3_T4_T5_T6_T7_T9_mT8_P12ihipStream_tbDpT10_ENKUlT_T0_E_clISt17integral_constantIbLb1EES18_EEDaS13_S14_EUlS13_E_NS1_11comp_targetILNS1_3genE9ELNS1_11target_archE1100ELNS1_3gpuE3ELNS1_3repE0EEENS1_30default_config_static_selectorELNS0_4arch9wavefront6targetE0EEEvT1_.uses_vcc, 0
	.set _ZN7rocprim17ROCPRIM_400000_NS6detail17trampoline_kernelINS0_14default_configENS1_25partition_config_selectorILNS1_17partition_subalgoE6EsNS0_10empty_typeEbEEZZNS1_14partition_implILS5_6ELb0ES3_mN6thrust23THRUST_200600_302600_NS6detail15normal_iteratorINSA_10device_ptrIsEEEEPS6_SG_NS0_5tupleIJSF_S6_EEENSH_IJSG_SG_EEES6_PlJNSB_9not_fun_tI7is_trueIsEEEEEE10hipError_tPvRmT3_T4_T5_T6_T7_T9_mT8_P12ihipStream_tbDpT10_ENKUlT_T0_E_clISt17integral_constantIbLb1EES18_EEDaS13_S14_EUlS13_E_NS1_11comp_targetILNS1_3genE9ELNS1_11target_archE1100ELNS1_3gpuE3ELNS1_3repE0EEENS1_30default_config_static_selectorELNS0_4arch9wavefront6targetE0EEEvT1_.uses_flat_scratch, 0
	.set _ZN7rocprim17ROCPRIM_400000_NS6detail17trampoline_kernelINS0_14default_configENS1_25partition_config_selectorILNS1_17partition_subalgoE6EsNS0_10empty_typeEbEEZZNS1_14partition_implILS5_6ELb0ES3_mN6thrust23THRUST_200600_302600_NS6detail15normal_iteratorINSA_10device_ptrIsEEEEPS6_SG_NS0_5tupleIJSF_S6_EEENSH_IJSG_SG_EEES6_PlJNSB_9not_fun_tI7is_trueIsEEEEEE10hipError_tPvRmT3_T4_T5_T6_T7_T9_mT8_P12ihipStream_tbDpT10_ENKUlT_T0_E_clISt17integral_constantIbLb1EES18_EEDaS13_S14_EUlS13_E_NS1_11comp_targetILNS1_3genE9ELNS1_11target_archE1100ELNS1_3gpuE3ELNS1_3repE0EEENS1_30default_config_static_selectorELNS0_4arch9wavefront6targetE0EEEvT1_.has_dyn_sized_stack, 0
	.set _ZN7rocprim17ROCPRIM_400000_NS6detail17trampoline_kernelINS0_14default_configENS1_25partition_config_selectorILNS1_17partition_subalgoE6EsNS0_10empty_typeEbEEZZNS1_14partition_implILS5_6ELb0ES3_mN6thrust23THRUST_200600_302600_NS6detail15normal_iteratorINSA_10device_ptrIsEEEEPS6_SG_NS0_5tupleIJSF_S6_EEENSH_IJSG_SG_EEES6_PlJNSB_9not_fun_tI7is_trueIsEEEEEE10hipError_tPvRmT3_T4_T5_T6_T7_T9_mT8_P12ihipStream_tbDpT10_ENKUlT_T0_E_clISt17integral_constantIbLb1EES18_EEDaS13_S14_EUlS13_E_NS1_11comp_targetILNS1_3genE9ELNS1_11target_archE1100ELNS1_3gpuE3ELNS1_3repE0EEENS1_30default_config_static_selectorELNS0_4arch9wavefront6targetE0EEEvT1_.has_recursion, 0
	.set _ZN7rocprim17ROCPRIM_400000_NS6detail17trampoline_kernelINS0_14default_configENS1_25partition_config_selectorILNS1_17partition_subalgoE6EsNS0_10empty_typeEbEEZZNS1_14partition_implILS5_6ELb0ES3_mN6thrust23THRUST_200600_302600_NS6detail15normal_iteratorINSA_10device_ptrIsEEEEPS6_SG_NS0_5tupleIJSF_S6_EEENSH_IJSG_SG_EEES6_PlJNSB_9not_fun_tI7is_trueIsEEEEEE10hipError_tPvRmT3_T4_T5_T6_T7_T9_mT8_P12ihipStream_tbDpT10_ENKUlT_T0_E_clISt17integral_constantIbLb1EES18_EEDaS13_S14_EUlS13_E_NS1_11comp_targetILNS1_3genE9ELNS1_11target_archE1100ELNS1_3gpuE3ELNS1_3repE0EEENS1_30default_config_static_selectorELNS0_4arch9wavefront6targetE0EEEvT1_.has_indirect_call, 0
	.section	.AMDGPU.csdata,"",@progbits
; Kernel info:
; codeLenInByte = 0
; TotalNumSgprs: 0
; NumVgprs: 0
; ScratchSize: 0
; MemoryBound: 0
; FloatMode: 240
; IeeeMode: 1
; LDSByteSize: 0 bytes/workgroup (compile time only)
; SGPRBlocks: 0
; VGPRBlocks: 0
; NumSGPRsForWavesPerEU: 1
; NumVGPRsForWavesPerEU: 1
; Occupancy: 16
; WaveLimiterHint : 0
; COMPUTE_PGM_RSRC2:SCRATCH_EN: 0
; COMPUTE_PGM_RSRC2:USER_SGPR: 2
; COMPUTE_PGM_RSRC2:TRAP_HANDLER: 0
; COMPUTE_PGM_RSRC2:TGID_X_EN: 1
; COMPUTE_PGM_RSRC2:TGID_Y_EN: 0
; COMPUTE_PGM_RSRC2:TGID_Z_EN: 0
; COMPUTE_PGM_RSRC2:TIDIG_COMP_CNT: 0
	.section	.text._ZN7rocprim17ROCPRIM_400000_NS6detail17trampoline_kernelINS0_14default_configENS1_25partition_config_selectorILNS1_17partition_subalgoE6EsNS0_10empty_typeEbEEZZNS1_14partition_implILS5_6ELb0ES3_mN6thrust23THRUST_200600_302600_NS6detail15normal_iteratorINSA_10device_ptrIsEEEEPS6_SG_NS0_5tupleIJSF_S6_EEENSH_IJSG_SG_EEES6_PlJNSB_9not_fun_tI7is_trueIsEEEEEE10hipError_tPvRmT3_T4_T5_T6_T7_T9_mT8_P12ihipStream_tbDpT10_ENKUlT_T0_E_clISt17integral_constantIbLb1EES18_EEDaS13_S14_EUlS13_E_NS1_11comp_targetILNS1_3genE8ELNS1_11target_archE1030ELNS1_3gpuE2ELNS1_3repE0EEENS1_30default_config_static_selectorELNS0_4arch9wavefront6targetE0EEEvT1_,"axG",@progbits,_ZN7rocprim17ROCPRIM_400000_NS6detail17trampoline_kernelINS0_14default_configENS1_25partition_config_selectorILNS1_17partition_subalgoE6EsNS0_10empty_typeEbEEZZNS1_14partition_implILS5_6ELb0ES3_mN6thrust23THRUST_200600_302600_NS6detail15normal_iteratorINSA_10device_ptrIsEEEEPS6_SG_NS0_5tupleIJSF_S6_EEENSH_IJSG_SG_EEES6_PlJNSB_9not_fun_tI7is_trueIsEEEEEE10hipError_tPvRmT3_T4_T5_T6_T7_T9_mT8_P12ihipStream_tbDpT10_ENKUlT_T0_E_clISt17integral_constantIbLb1EES18_EEDaS13_S14_EUlS13_E_NS1_11comp_targetILNS1_3genE8ELNS1_11target_archE1030ELNS1_3gpuE2ELNS1_3repE0EEENS1_30default_config_static_selectorELNS0_4arch9wavefront6targetE0EEEvT1_,comdat
	.protected	_ZN7rocprim17ROCPRIM_400000_NS6detail17trampoline_kernelINS0_14default_configENS1_25partition_config_selectorILNS1_17partition_subalgoE6EsNS0_10empty_typeEbEEZZNS1_14partition_implILS5_6ELb0ES3_mN6thrust23THRUST_200600_302600_NS6detail15normal_iteratorINSA_10device_ptrIsEEEEPS6_SG_NS0_5tupleIJSF_S6_EEENSH_IJSG_SG_EEES6_PlJNSB_9not_fun_tI7is_trueIsEEEEEE10hipError_tPvRmT3_T4_T5_T6_T7_T9_mT8_P12ihipStream_tbDpT10_ENKUlT_T0_E_clISt17integral_constantIbLb1EES18_EEDaS13_S14_EUlS13_E_NS1_11comp_targetILNS1_3genE8ELNS1_11target_archE1030ELNS1_3gpuE2ELNS1_3repE0EEENS1_30default_config_static_selectorELNS0_4arch9wavefront6targetE0EEEvT1_ ; -- Begin function _ZN7rocprim17ROCPRIM_400000_NS6detail17trampoline_kernelINS0_14default_configENS1_25partition_config_selectorILNS1_17partition_subalgoE6EsNS0_10empty_typeEbEEZZNS1_14partition_implILS5_6ELb0ES3_mN6thrust23THRUST_200600_302600_NS6detail15normal_iteratorINSA_10device_ptrIsEEEEPS6_SG_NS0_5tupleIJSF_S6_EEENSH_IJSG_SG_EEES6_PlJNSB_9not_fun_tI7is_trueIsEEEEEE10hipError_tPvRmT3_T4_T5_T6_T7_T9_mT8_P12ihipStream_tbDpT10_ENKUlT_T0_E_clISt17integral_constantIbLb1EES18_EEDaS13_S14_EUlS13_E_NS1_11comp_targetILNS1_3genE8ELNS1_11target_archE1030ELNS1_3gpuE2ELNS1_3repE0EEENS1_30default_config_static_selectorELNS0_4arch9wavefront6targetE0EEEvT1_
	.globl	_ZN7rocprim17ROCPRIM_400000_NS6detail17trampoline_kernelINS0_14default_configENS1_25partition_config_selectorILNS1_17partition_subalgoE6EsNS0_10empty_typeEbEEZZNS1_14partition_implILS5_6ELb0ES3_mN6thrust23THRUST_200600_302600_NS6detail15normal_iteratorINSA_10device_ptrIsEEEEPS6_SG_NS0_5tupleIJSF_S6_EEENSH_IJSG_SG_EEES6_PlJNSB_9not_fun_tI7is_trueIsEEEEEE10hipError_tPvRmT3_T4_T5_T6_T7_T9_mT8_P12ihipStream_tbDpT10_ENKUlT_T0_E_clISt17integral_constantIbLb1EES18_EEDaS13_S14_EUlS13_E_NS1_11comp_targetILNS1_3genE8ELNS1_11target_archE1030ELNS1_3gpuE2ELNS1_3repE0EEENS1_30default_config_static_selectorELNS0_4arch9wavefront6targetE0EEEvT1_
	.p2align	8
	.type	_ZN7rocprim17ROCPRIM_400000_NS6detail17trampoline_kernelINS0_14default_configENS1_25partition_config_selectorILNS1_17partition_subalgoE6EsNS0_10empty_typeEbEEZZNS1_14partition_implILS5_6ELb0ES3_mN6thrust23THRUST_200600_302600_NS6detail15normal_iteratorINSA_10device_ptrIsEEEEPS6_SG_NS0_5tupleIJSF_S6_EEENSH_IJSG_SG_EEES6_PlJNSB_9not_fun_tI7is_trueIsEEEEEE10hipError_tPvRmT3_T4_T5_T6_T7_T9_mT8_P12ihipStream_tbDpT10_ENKUlT_T0_E_clISt17integral_constantIbLb1EES18_EEDaS13_S14_EUlS13_E_NS1_11comp_targetILNS1_3genE8ELNS1_11target_archE1030ELNS1_3gpuE2ELNS1_3repE0EEENS1_30default_config_static_selectorELNS0_4arch9wavefront6targetE0EEEvT1_,@function
_ZN7rocprim17ROCPRIM_400000_NS6detail17trampoline_kernelINS0_14default_configENS1_25partition_config_selectorILNS1_17partition_subalgoE6EsNS0_10empty_typeEbEEZZNS1_14partition_implILS5_6ELb0ES3_mN6thrust23THRUST_200600_302600_NS6detail15normal_iteratorINSA_10device_ptrIsEEEEPS6_SG_NS0_5tupleIJSF_S6_EEENSH_IJSG_SG_EEES6_PlJNSB_9not_fun_tI7is_trueIsEEEEEE10hipError_tPvRmT3_T4_T5_T6_T7_T9_mT8_P12ihipStream_tbDpT10_ENKUlT_T0_E_clISt17integral_constantIbLb1EES18_EEDaS13_S14_EUlS13_E_NS1_11comp_targetILNS1_3genE8ELNS1_11target_archE1030ELNS1_3gpuE2ELNS1_3repE0EEENS1_30default_config_static_selectorELNS0_4arch9wavefront6targetE0EEEvT1_: ; @_ZN7rocprim17ROCPRIM_400000_NS6detail17trampoline_kernelINS0_14default_configENS1_25partition_config_selectorILNS1_17partition_subalgoE6EsNS0_10empty_typeEbEEZZNS1_14partition_implILS5_6ELb0ES3_mN6thrust23THRUST_200600_302600_NS6detail15normal_iteratorINSA_10device_ptrIsEEEEPS6_SG_NS0_5tupleIJSF_S6_EEENSH_IJSG_SG_EEES6_PlJNSB_9not_fun_tI7is_trueIsEEEEEE10hipError_tPvRmT3_T4_T5_T6_T7_T9_mT8_P12ihipStream_tbDpT10_ENKUlT_T0_E_clISt17integral_constantIbLb1EES18_EEDaS13_S14_EUlS13_E_NS1_11comp_targetILNS1_3genE8ELNS1_11target_archE1030ELNS1_3gpuE2ELNS1_3repE0EEENS1_30default_config_static_selectorELNS0_4arch9wavefront6targetE0EEEvT1_
; %bb.0:
	.section	.rodata,"a",@progbits
	.p2align	6, 0x0
	.amdhsa_kernel _ZN7rocprim17ROCPRIM_400000_NS6detail17trampoline_kernelINS0_14default_configENS1_25partition_config_selectorILNS1_17partition_subalgoE6EsNS0_10empty_typeEbEEZZNS1_14partition_implILS5_6ELb0ES3_mN6thrust23THRUST_200600_302600_NS6detail15normal_iteratorINSA_10device_ptrIsEEEEPS6_SG_NS0_5tupleIJSF_S6_EEENSH_IJSG_SG_EEES6_PlJNSB_9not_fun_tI7is_trueIsEEEEEE10hipError_tPvRmT3_T4_T5_T6_T7_T9_mT8_P12ihipStream_tbDpT10_ENKUlT_T0_E_clISt17integral_constantIbLb1EES18_EEDaS13_S14_EUlS13_E_NS1_11comp_targetILNS1_3genE8ELNS1_11target_archE1030ELNS1_3gpuE2ELNS1_3repE0EEENS1_30default_config_static_selectorELNS0_4arch9wavefront6targetE0EEEvT1_
		.amdhsa_group_segment_fixed_size 0
		.amdhsa_private_segment_fixed_size 0
		.amdhsa_kernarg_size 128
		.amdhsa_user_sgpr_count 2
		.amdhsa_user_sgpr_dispatch_ptr 0
		.amdhsa_user_sgpr_queue_ptr 0
		.amdhsa_user_sgpr_kernarg_segment_ptr 1
		.amdhsa_user_sgpr_dispatch_id 0
		.amdhsa_user_sgpr_private_segment_size 0
		.amdhsa_wavefront_size32 1
		.amdhsa_uses_dynamic_stack 0
		.amdhsa_enable_private_segment 0
		.amdhsa_system_sgpr_workgroup_id_x 1
		.amdhsa_system_sgpr_workgroup_id_y 0
		.amdhsa_system_sgpr_workgroup_id_z 0
		.amdhsa_system_sgpr_workgroup_info 0
		.amdhsa_system_vgpr_workitem_id 0
		.amdhsa_next_free_vgpr 1
		.amdhsa_next_free_sgpr 1
		.amdhsa_reserve_vcc 0
		.amdhsa_float_round_mode_32 0
		.amdhsa_float_round_mode_16_64 0
		.amdhsa_float_denorm_mode_32 3
		.amdhsa_float_denorm_mode_16_64 3
		.amdhsa_fp16_overflow 0
		.amdhsa_workgroup_processor_mode 1
		.amdhsa_memory_ordered 1
		.amdhsa_forward_progress 1
		.amdhsa_inst_pref_size 0
		.amdhsa_round_robin_scheduling 0
		.amdhsa_exception_fp_ieee_invalid_op 0
		.amdhsa_exception_fp_denorm_src 0
		.amdhsa_exception_fp_ieee_div_zero 0
		.amdhsa_exception_fp_ieee_overflow 0
		.amdhsa_exception_fp_ieee_underflow 0
		.amdhsa_exception_fp_ieee_inexact 0
		.amdhsa_exception_int_div_zero 0
	.end_amdhsa_kernel
	.section	.text._ZN7rocprim17ROCPRIM_400000_NS6detail17trampoline_kernelINS0_14default_configENS1_25partition_config_selectorILNS1_17partition_subalgoE6EsNS0_10empty_typeEbEEZZNS1_14partition_implILS5_6ELb0ES3_mN6thrust23THRUST_200600_302600_NS6detail15normal_iteratorINSA_10device_ptrIsEEEEPS6_SG_NS0_5tupleIJSF_S6_EEENSH_IJSG_SG_EEES6_PlJNSB_9not_fun_tI7is_trueIsEEEEEE10hipError_tPvRmT3_T4_T5_T6_T7_T9_mT8_P12ihipStream_tbDpT10_ENKUlT_T0_E_clISt17integral_constantIbLb1EES18_EEDaS13_S14_EUlS13_E_NS1_11comp_targetILNS1_3genE8ELNS1_11target_archE1030ELNS1_3gpuE2ELNS1_3repE0EEENS1_30default_config_static_selectorELNS0_4arch9wavefront6targetE0EEEvT1_,"axG",@progbits,_ZN7rocprim17ROCPRIM_400000_NS6detail17trampoline_kernelINS0_14default_configENS1_25partition_config_selectorILNS1_17partition_subalgoE6EsNS0_10empty_typeEbEEZZNS1_14partition_implILS5_6ELb0ES3_mN6thrust23THRUST_200600_302600_NS6detail15normal_iteratorINSA_10device_ptrIsEEEEPS6_SG_NS0_5tupleIJSF_S6_EEENSH_IJSG_SG_EEES6_PlJNSB_9not_fun_tI7is_trueIsEEEEEE10hipError_tPvRmT3_T4_T5_T6_T7_T9_mT8_P12ihipStream_tbDpT10_ENKUlT_T0_E_clISt17integral_constantIbLb1EES18_EEDaS13_S14_EUlS13_E_NS1_11comp_targetILNS1_3genE8ELNS1_11target_archE1030ELNS1_3gpuE2ELNS1_3repE0EEENS1_30default_config_static_selectorELNS0_4arch9wavefront6targetE0EEEvT1_,comdat
.Lfunc_end1284:
	.size	_ZN7rocprim17ROCPRIM_400000_NS6detail17trampoline_kernelINS0_14default_configENS1_25partition_config_selectorILNS1_17partition_subalgoE6EsNS0_10empty_typeEbEEZZNS1_14partition_implILS5_6ELb0ES3_mN6thrust23THRUST_200600_302600_NS6detail15normal_iteratorINSA_10device_ptrIsEEEEPS6_SG_NS0_5tupleIJSF_S6_EEENSH_IJSG_SG_EEES6_PlJNSB_9not_fun_tI7is_trueIsEEEEEE10hipError_tPvRmT3_T4_T5_T6_T7_T9_mT8_P12ihipStream_tbDpT10_ENKUlT_T0_E_clISt17integral_constantIbLb1EES18_EEDaS13_S14_EUlS13_E_NS1_11comp_targetILNS1_3genE8ELNS1_11target_archE1030ELNS1_3gpuE2ELNS1_3repE0EEENS1_30default_config_static_selectorELNS0_4arch9wavefront6targetE0EEEvT1_, .Lfunc_end1284-_ZN7rocprim17ROCPRIM_400000_NS6detail17trampoline_kernelINS0_14default_configENS1_25partition_config_selectorILNS1_17partition_subalgoE6EsNS0_10empty_typeEbEEZZNS1_14partition_implILS5_6ELb0ES3_mN6thrust23THRUST_200600_302600_NS6detail15normal_iteratorINSA_10device_ptrIsEEEEPS6_SG_NS0_5tupleIJSF_S6_EEENSH_IJSG_SG_EEES6_PlJNSB_9not_fun_tI7is_trueIsEEEEEE10hipError_tPvRmT3_T4_T5_T6_T7_T9_mT8_P12ihipStream_tbDpT10_ENKUlT_T0_E_clISt17integral_constantIbLb1EES18_EEDaS13_S14_EUlS13_E_NS1_11comp_targetILNS1_3genE8ELNS1_11target_archE1030ELNS1_3gpuE2ELNS1_3repE0EEENS1_30default_config_static_selectorELNS0_4arch9wavefront6targetE0EEEvT1_
                                        ; -- End function
	.set _ZN7rocprim17ROCPRIM_400000_NS6detail17trampoline_kernelINS0_14default_configENS1_25partition_config_selectorILNS1_17partition_subalgoE6EsNS0_10empty_typeEbEEZZNS1_14partition_implILS5_6ELb0ES3_mN6thrust23THRUST_200600_302600_NS6detail15normal_iteratorINSA_10device_ptrIsEEEEPS6_SG_NS0_5tupleIJSF_S6_EEENSH_IJSG_SG_EEES6_PlJNSB_9not_fun_tI7is_trueIsEEEEEE10hipError_tPvRmT3_T4_T5_T6_T7_T9_mT8_P12ihipStream_tbDpT10_ENKUlT_T0_E_clISt17integral_constantIbLb1EES18_EEDaS13_S14_EUlS13_E_NS1_11comp_targetILNS1_3genE8ELNS1_11target_archE1030ELNS1_3gpuE2ELNS1_3repE0EEENS1_30default_config_static_selectorELNS0_4arch9wavefront6targetE0EEEvT1_.num_vgpr, 0
	.set _ZN7rocprim17ROCPRIM_400000_NS6detail17trampoline_kernelINS0_14default_configENS1_25partition_config_selectorILNS1_17partition_subalgoE6EsNS0_10empty_typeEbEEZZNS1_14partition_implILS5_6ELb0ES3_mN6thrust23THRUST_200600_302600_NS6detail15normal_iteratorINSA_10device_ptrIsEEEEPS6_SG_NS0_5tupleIJSF_S6_EEENSH_IJSG_SG_EEES6_PlJNSB_9not_fun_tI7is_trueIsEEEEEE10hipError_tPvRmT3_T4_T5_T6_T7_T9_mT8_P12ihipStream_tbDpT10_ENKUlT_T0_E_clISt17integral_constantIbLb1EES18_EEDaS13_S14_EUlS13_E_NS1_11comp_targetILNS1_3genE8ELNS1_11target_archE1030ELNS1_3gpuE2ELNS1_3repE0EEENS1_30default_config_static_selectorELNS0_4arch9wavefront6targetE0EEEvT1_.num_agpr, 0
	.set _ZN7rocprim17ROCPRIM_400000_NS6detail17trampoline_kernelINS0_14default_configENS1_25partition_config_selectorILNS1_17partition_subalgoE6EsNS0_10empty_typeEbEEZZNS1_14partition_implILS5_6ELb0ES3_mN6thrust23THRUST_200600_302600_NS6detail15normal_iteratorINSA_10device_ptrIsEEEEPS6_SG_NS0_5tupleIJSF_S6_EEENSH_IJSG_SG_EEES6_PlJNSB_9not_fun_tI7is_trueIsEEEEEE10hipError_tPvRmT3_T4_T5_T6_T7_T9_mT8_P12ihipStream_tbDpT10_ENKUlT_T0_E_clISt17integral_constantIbLb1EES18_EEDaS13_S14_EUlS13_E_NS1_11comp_targetILNS1_3genE8ELNS1_11target_archE1030ELNS1_3gpuE2ELNS1_3repE0EEENS1_30default_config_static_selectorELNS0_4arch9wavefront6targetE0EEEvT1_.numbered_sgpr, 0
	.set _ZN7rocprim17ROCPRIM_400000_NS6detail17trampoline_kernelINS0_14default_configENS1_25partition_config_selectorILNS1_17partition_subalgoE6EsNS0_10empty_typeEbEEZZNS1_14partition_implILS5_6ELb0ES3_mN6thrust23THRUST_200600_302600_NS6detail15normal_iteratorINSA_10device_ptrIsEEEEPS6_SG_NS0_5tupleIJSF_S6_EEENSH_IJSG_SG_EEES6_PlJNSB_9not_fun_tI7is_trueIsEEEEEE10hipError_tPvRmT3_T4_T5_T6_T7_T9_mT8_P12ihipStream_tbDpT10_ENKUlT_T0_E_clISt17integral_constantIbLb1EES18_EEDaS13_S14_EUlS13_E_NS1_11comp_targetILNS1_3genE8ELNS1_11target_archE1030ELNS1_3gpuE2ELNS1_3repE0EEENS1_30default_config_static_selectorELNS0_4arch9wavefront6targetE0EEEvT1_.num_named_barrier, 0
	.set _ZN7rocprim17ROCPRIM_400000_NS6detail17trampoline_kernelINS0_14default_configENS1_25partition_config_selectorILNS1_17partition_subalgoE6EsNS0_10empty_typeEbEEZZNS1_14partition_implILS5_6ELb0ES3_mN6thrust23THRUST_200600_302600_NS6detail15normal_iteratorINSA_10device_ptrIsEEEEPS6_SG_NS0_5tupleIJSF_S6_EEENSH_IJSG_SG_EEES6_PlJNSB_9not_fun_tI7is_trueIsEEEEEE10hipError_tPvRmT3_T4_T5_T6_T7_T9_mT8_P12ihipStream_tbDpT10_ENKUlT_T0_E_clISt17integral_constantIbLb1EES18_EEDaS13_S14_EUlS13_E_NS1_11comp_targetILNS1_3genE8ELNS1_11target_archE1030ELNS1_3gpuE2ELNS1_3repE0EEENS1_30default_config_static_selectorELNS0_4arch9wavefront6targetE0EEEvT1_.private_seg_size, 0
	.set _ZN7rocprim17ROCPRIM_400000_NS6detail17trampoline_kernelINS0_14default_configENS1_25partition_config_selectorILNS1_17partition_subalgoE6EsNS0_10empty_typeEbEEZZNS1_14partition_implILS5_6ELb0ES3_mN6thrust23THRUST_200600_302600_NS6detail15normal_iteratorINSA_10device_ptrIsEEEEPS6_SG_NS0_5tupleIJSF_S6_EEENSH_IJSG_SG_EEES6_PlJNSB_9not_fun_tI7is_trueIsEEEEEE10hipError_tPvRmT3_T4_T5_T6_T7_T9_mT8_P12ihipStream_tbDpT10_ENKUlT_T0_E_clISt17integral_constantIbLb1EES18_EEDaS13_S14_EUlS13_E_NS1_11comp_targetILNS1_3genE8ELNS1_11target_archE1030ELNS1_3gpuE2ELNS1_3repE0EEENS1_30default_config_static_selectorELNS0_4arch9wavefront6targetE0EEEvT1_.uses_vcc, 0
	.set _ZN7rocprim17ROCPRIM_400000_NS6detail17trampoline_kernelINS0_14default_configENS1_25partition_config_selectorILNS1_17partition_subalgoE6EsNS0_10empty_typeEbEEZZNS1_14partition_implILS5_6ELb0ES3_mN6thrust23THRUST_200600_302600_NS6detail15normal_iteratorINSA_10device_ptrIsEEEEPS6_SG_NS0_5tupleIJSF_S6_EEENSH_IJSG_SG_EEES6_PlJNSB_9not_fun_tI7is_trueIsEEEEEE10hipError_tPvRmT3_T4_T5_T6_T7_T9_mT8_P12ihipStream_tbDpT10_ENKUlT_T0_E_clISt17integral_constantIbLb1EES18_EEDaS13_S14_EUlS13_E_NS1_11comp_targetILNS1_3genE8ELNS1_11target_archE1030ELNS1_3gpuE2ELNS1_3repE0EEENS1_30default_config_static_selectorELNS0_4arch9wavefront6targetE0EEEvT1_.uses_flat_scratch, 0
	.set _ZN7rocprim17ROCPRIM_400000_NS6detail17trampoline_kernelINS0_14default_configENS1_25partition_config_selectorILNS1_17partition_subalgoE6EsNS0_10empty_typeEbEEZZNS1_14partition_implILS5_6ELb0ES3_mN6thrust23THRUST_200600_302600_NS6detail15normal_iteratorINSA_10device_ptrIsEEEEPS6_SG_NS0_5tupleIJSF_S6_EEENSH_IJSG_SG_EEES6_PlJNSB_9not_fun_tI7is_trueIsEEEEEE10hipError_tPvRmT3_T4_T5_T6_T7_T9_mT8_P12ihipStream_tbDpT10_ENKUlT_T0_E_clISt17integral_constantIbLb1EES18_EEDaS13_S14_EUlS13_E_NS1_11comp_targetILNS1_3genE8ELNS1_11target_archE1030ELNS1_3gpuE2ELNS1_3repE0EEENS1_30default_config_static_selectorELNS0_4arch9wavefront6targetE0EEEvT1_.has_dyn_sized_stack, 0
	.set _ZN7rocprim17ROCPRIM_400000_NS6detail17trampoline_kernelINS0_14default_configENS1_25partition_config_selectorILNS1_17partition_subalgoE6EsNS0_10empty_typeEbEEZZNS1_14partition_implILS5_6ELb0ES3_mN6thrust23THRUST_200600_302600_NS6detail15normal_iteratorINSA_10device_ptrIsEEEEPS6_SG_NS0_5tupleIJSF_S6_EEENSH_IJSG_SG_EEES6_PlJNSB_9not_fun_tI7is_trueIsEEEEEE10hipError_tPvRmT3_T4_T5_T6_T7_T9_mT8_P12ihipStream_tbDpT10_ENKUlT_T0_E_clISt17integral_constantIbLb1EES18_EEDaS13_S14_EUlS13_E_NS1_11comp_targetILNS1_3genE8ELNS1_11target_archE1030ELNS1_3gpuE2ELNS1_3repE0EEENS1_30default_config_static_selectorELNS0_4arch9wavefront6targetE0EEEvT1_.has_recursion, 0
	.set _ZN7rocprim17ROCPRIM_400000_NS6detail17trampoline_kernelINS0_14default_configENS1_25partition_config_selectorILNS1_17partition_subalgoE6EsNS0_10empty_typeEbEEZZNS1_14partition_implILS5_6ELb0ES3_mN6thrust23THRUST_200600_302600_NS6detail15normal_iteratorINSA_10device_ptrIsEEEEPS6_SG_NS0_5tupleIJSF_S6_EEENSH_IJSG_SG_EEES6_PlJNSB_9not_fun_tI7is_trueIsEEEEEE10hipError_tPvRmT3_T4_T5_T6_T7_T9_mT8_P12ihipStream_tbDpT10_ENKUlT_T0_E_clISt17integral_constantIbLb1EES18_EEDaS13_S14_EUlS13_E_NS1_11comp_targetILNS1_3genE8ELNS1_11target_archE1030ELNS1_3gpuE2ELNS1_3repE0EEENS1_30default_config_static_selectorELNS0_4arch9wavefront6targetE0EEEvT1_.has_indirect_call, 0
	.section	.AMDGPU.csdata,"",@progbits
; Kernel info:
; codeLenInByte = 0
; TotalNumSgprs: 0
; NumVgprs: 0
; ScratchSize: 0
; MemoryBound: 0
; FloatMode: 240
; IeeeMode: 1
; LDSByteSize: 0 bytes/workgroup (compile time only)
; SGPRBlocks: 0
; VGPRBlocks: 0
; NumSGPRsForWavesPerEU: 1
; NumVGPRsForWavesPerEU: 1
; Occupancy: 16
; WaveLimiterHint : 0
; COMPUTE_PGM_RSRC2:SCRATCH_EN: 0
; COMPUTE_PGM_RSRC2:USER_SGPR: 2
; COMPUTE_PGM_RSRC2:TRAP_HANDLER: 0
; COMPUTE_PGM_RSRC2:TGID_X_EN: 1
; COMPUTE_PGM_RSRC2:TGID_Y_EN: 0
; COMPUTE_PGM_RSRC2:TGID_Z_EN: 0
; COMPUTE_PGM_RSRC2:TIDIG_COMP_CNT: 0
	.section	.text._ZN7rocprim17ROCPRIM_400000_NS6detail17trampoline_kernelINS0_14default_configENS1_25partition_config_selectorILNS1_17partition_subalgoE6EsNS0_10empty_typeEbEEZZNS1_14partition_implILS5_6ELb0ES3_mN6thrust23THRUST_200600_302600_NS6detail15normal_iteratorINSA_10device_ptrIsEEEEPS6_SG_NS0_5tupleIJSF_S6_EEENSH_IJSG_SG_EEES6_PlJNSB_9not_fun_tI7is_trueIsEEEEEE10hipError_tPvRmT3_T4_T5_T6_T7_T9_mT8_P12ihipStream_tbDpT10_ENKUlT_T0_E_clISt17integral_constantIbLb1EES17_IbLb0EEEEDaS13_S14_EUlS13_E_NS1_11comp_targetILNS1_3genE0ELNS1_11target_archE4294967295ELNS1_3gpuE0ELNS1_3repE0EEENS1_30default_config_static_selectorELNS0_4arch9wavefront6targetE0EEEvT1_,"axG",@progbits,_ZN7rocprim17ROCPRIM_400000_NS6detail17trampoline_kernelINS0_14default_configENS1_25partition_config_selectorILNS1_17partition_subalgoE6EsNS0_10empty_typeEbEEZZNS1_14partition_implILS5_6ELb0ES3_mN6thrust23THRUST_200600_302600_NS6detail15normal_iteratorINSA_10device_ptrIsEEEEPS6_SG_NS0_5tupleIJSF_S6_EEENSH_IJSG_SG_EEES6_PlJNSB_9not_fun_tI7is_trueIsEEEEEE10hipError_tPvRmT3_T4_T5_T6_T7_T9_mT8_P12ihipStream_tbDpT10_ENKUlT_T0_E_clISt17integral_constantIbLb1EES17_IbLb0EEEEDaS13_S14_EUlS13_E_NS1_11comp_targetILNS1_3genE0ELNS1_11target_archE4294967295ELNS1_3gpuE0ELNS1_3repE0EEENS1_30default_config_static_selectorELNS0_4arch9wavefront6targetE0EEEvT1_,comdat
	.protected	_ZN7rocprim17ROCPRIM_400000_NS6detail17trampoline_kernelINS0_14default_configENS1_25partition_config_selectorILNS1_17partition_subalgoE6EsNS0_10empty_typeEbEEZZNS1_14partition_implILS5_6ELb0ES3_mN6thrust23THRUST_200600_302600_NS6detail15normal_iteratorINSA_10device_ptrIsEEEEPS6_SG_NS0_5tupleIJSF_S6_EEENSH_IJSG_SG_EEES6_PlJNSB_9not_fun_tI7is_trueIsEEEEEE10hipError_tPvRmT3_T4_T5_T6_T7_T9_mT8_P12ihipStream_tbDpT10_ENKUlT_T0_E_clISt17integral_constantIbLb1EES17_IbLb0EEEEDaS13_S14_EUlS13_E_NS1_11comp_targetILNS1_3genE0ELNS1_11target_archE4294967295ELNS1_3gpuE0ELNS1_3repE0EEENS1_30default_config_static_selectorELNS0_4arch9wavefront6targetE0EEEvT1_ ; -- Begin function _ZN7rocprim17ROCPRIM_400000_NS6detail17trampoline_kernelINS0_14default_configENS1_25partition_config_selectorILNS1_17partition_subalgoE6EsNS0_10empty_typeEbEEZZNS1_14partition_implILS5_6ELb0ES3_mN6thrust23THRUST_200600_302600_NS6detail15normal_iteratorINSA_10device_ptrIsEEEEPS6_SG_NS0_5tupleIJSF_S6_EEENSH_IJSG_SG_EEES6_PlJNSB_9not_fun_tI7is_trueIsEEEEEE10hipError_tPvRmT3_T4_T5_T6_T7_T9_mT8_P12ihipStream_tbDpT10_ENKUlT_T0_E_clISt17integral_constantIbLb1EES17_IbLb0EEEEDaS13_S14_EUlS13_E_NS1_11comp_targetILNS1_3genE0ELNS1_11target_archE4294967295ELNS1_3gpuE0ELNS1_3repE0EEENS1_30default_config_static_selectorELNS0_4arch9wavefront6targetE0EEEvT1_
	.globl	_ZN7rocprim17ROCPRIM_400000_NS6detail17trampoline_kernelINS0_14default_configENS1_25partition_config_selectorILNS1_17partition_subalgoE6EsNS0_10empty_typeEbEEZZNS1_14partition_implILS5_6ELb0ES3_mN6thrust23THRUST_200600_302600_NS6detail15normal_iteratorINSA_10device_ptrIsEEEEPS6_SG_NS0_5tupleIJSF_S6_EEENSH_IJSG_SG_EEES6_PlJNSB_9not_fun_tI7is_trueIsEEEEEE10hipError_tPvRmT3_T4_T5_T6_T7_T9_mT8_P12ihipStream_tbDpT10_ENKUlT_T0_E_clISt17integral_constantIbLb1EES17_IbLb0EEEEDaS13_S14_EUlS13_E_NS1_11comp_targetILNS1_3genE0ELNS1_11target_archE4294967295ELNS1_3gpuE0ELNS1_3repE0EEENS1_30default_config_static_selectorELNS0_4arch9wavefront6targetE0EEEvT1_
	.p2align	8
	.type	_ZN7rocprim17ROCPRIM_400000_NS6detail17trampoline_kernelINS0_14default_configENS1_25partition_config_selectorILNS1_17partition_subalgoE6EsNS0_10empty_typeEbEEZZNS1_14partition_implILS5_6ELb0ES3_mN6thrust23THRUST_200600_302600_NS6detail15normal_iteratorINSA_10device_ptrIsEEEEPS6_SG_NS0_5tupleIJSF_S6_EEENSH_IJSG_SG_EEES6_PlJNSB_9not_fun_tI7is_trueIsEEEEEE10hipError_tPvRmT3_T4_T5_T6_T7_T9_mT8_P12ihipStream_tbDpT10_ENKUlT_T0_E_clISt17integral_constantIbLb1EES17_IbLb0EEEEDaS13_S14_EUlS13_E_NS1_11comp_targetILNS1_3genE0ELNS1_11target_archE4294967295ELNS1_3gpuE0ELNS1_3repE0EEENS1_30default_config_static_selectorELNS0_4arch9wavefront6targetE0EEEvT1_,@function
_ZN7rocprim17ROCPRIM_400000_NS6detail17trampoline_kernelINS0_14default_configENS1_25partition_config_selectorILNS1_17partition_subalgoE6EsNS0_10empty_typeEbEEZZNS1_14partition_implILS5_6ELb0ES3_mN6thrust23THRUST_200600_302600_NS6detail15normal_iteratorINSA_10device_ptrIsEEEEPS6_SG_NS0_5tupleIJSF_S6_EEENSH_IJSG_SG_EEES6_PlJNSB_9not_fun_tI7is_trueIsEEEEEE10hipError_tPvRmT3_T4_T5_T6_T7_T9_mT8_P12ihipStream_tbDpT10_ENKUlT_T0_E_clISt17integral_constantIbLb1EES17_IbLb0EEEEDaS13_S14_EUlS13_E_NS1_11comp_targetILNS1_3genE0ELNS1_11target_archE4294967295ELNS1_3gpuE0ELNS1_3repE0EEENS1_30default_config_static_selectorELNS0_4arch9wavefront6targetE0EEEvT1_: ; @_ZN7rocprim17ROCPRIM_400000_NS6detail17trampoline_kernelINS0_14default_configENS1_25partition_config_selectorILNS1_17partition_subalgoE6EsNS0_10empty_typeEbEEZZNS1_14partition_implILS5_6ELb0ES3_mN6thrust23THRUST_200600_302600_NS6detail15normal_iteratorINSA_10device_ptrIsEEEEPS6_SG_NS0_5tupleIJSF_S6_EEENSH_IJSG_SG_EEES6_PlJNSB_9not_fun_tI7is_trueIsEEEEEE10hipError_tPvRmT3_T4_T5_T6_T7_T9_mT8_P12ihipStream_tbDpT10_ENKUlT_T0_E_clISt17integral_constantIbLb1EES17_IbLb0EEEEDaS13_S14_EUlS13_E_NS1_11comp_targetILNS1_3genE0ELNS1_11target_archE4294967295ELNS1_3gpuE0ELNS1_3repE0EEENS1_30default_config_static_selectorELNS0_4arch9wavefront6targetE0EEEvT1_
; %bb.0:
	.section	.rodata,"a",@progbits
	.p2align	6, 0x0
	.amdhsa_kernel _ZN7rocprim17ROCPRIM_400000_NS6detail17trampoline_kernelINS0_14default_configENS1_25partition_config_selectorILNS1_17partition_subalgoE6EsNS0_10empty_typeEbEEZZNS1_14partition_implILS5_6ELb0ES3_mN6thrust23THRUST_200600_302600_NS6detail15normal_iteratorINSA_10device_ptrIsEEEEPS6_SG_NS0_5tupleIJSF_S6_EEENSH_IJSG_SG_EEES6_PlJNSB_9not_fun_tI7is_trueIsEEEEEE10hipError_tPvRmT3_T4_T5_T6_T7_T9_mT8_P12ihipStream_tbDpT10_ENKUlT_T0_E_clISt17integral_constantIbLb1EES17_IbLb0EEEEDaS13_S14_EUlS13_E_NS1_11comp_targetILNS1_3genE0ELNS1_11target_archE4294967295ELNS1_3gpuE0ELNS1_3repE0EEENS1_30default_config_static_selectorELNS0_4arch9wavefront6targetE0EEEvT1_
		.amdhsa_group_segment_fixed_size 0
		.amdhsa_private_segment_fixed_size 0
		.amdhsa_kernarg_size 112
		.amdhsa_user_sgpr_count 2
		.amdhsa_user_sgpr_dispatch_ptr 0
		.amdhsa_user_sgpr_queue_ptr 0
		.amdhsa_user_sgpr_kernarg_segment_ptr 1
		.amdhsa_user_sgpr_dispatch_id 0
		.amdhsa_user_sgpr_private_segment_size 0
		.amdhsa_wavefront_size32 1
		.amdhsa_uses_dynamic_stack 0
		.amdhsa_enable_private_segment 0
		.amdhsa_system_sgpr_workgroup_id_x 1
		.amdhsa_system_sgpr_workgroup_id_y 0
		.amdhsa_system_sgpr_workgroup_id_z 0
		.amdhsa_system_sgpr_workgroup_info 0
		.amdhsa_system_vgpr_workitem_id 0
		.amdhsa_next_free_vgpr 1
		.amdhsa_next_free_sgpr 1
		.amdhsa_reserve_vcc 0
		.amdhsa_float_round_mode_32 0
		.amdhsa_float_round_mode_16_64 0
		.amdhsa_float_denorm_mode_32 3
		.amdhsa_float_denorm_mode_16_64 3
		.amdhsa_fp16_overflow 0
		.amdhsa_workgroup_processor_mode 1
		.amdhsa_memory_ordered 1
		.amdhsa_forward_progress 1
		.amdhsa_inst_pref_size 0
		.amdhsa_round_robin_scheduling 0
		.amdhsa_exception_fp_ieee_invalid_op 0
		.amdhsa_exception_fp_denorm_src 0
		.amdhsa_exception_fp_ieee_div_zero 0
		.amdhsa_exception_fp_ieee_overflow 0
		.amdhsa_exception_fp_ieee_underflow 0
		.amdhsa_exception_fp_ieee_inexact 0
		.amdhsa_exception_int_div_zero 0
	.end_amdhsa_kernel
	.section	.text._ZN7rocprim17ROCPRIM_400000_NS6detail17trampoline_kernelINS0_14default_configENS1_25partition_config_selectorILNS1_17partition_subalgoE6EsNS0_10empty_typeEbEEZZNS1_14partition_implILS5_6ELb0ES3_mN6thrust23THRUST_200600_302600_NS6detail15normal_iteratorINSA_10device_ptrIsEEEEPS6_SG_NS0_5tupleIJSF_S6_EEENSH_IJSG_SG_EEES6_PlJNSB_9not_fun_tI7is_trueIsEEEEEE10hipError_tPvRmT3_T4_T5_T6_T7_T9_mT8_P12ihipStream_tbDpT10_ENKUlT_T0_E_clISt17integral_constantIbLb1EES17_IbLb0EEEEDaS13_S14_EUlS13_E_NS1_11comp_targetILNS1_3genE0ELNS1_11target_archE4294967295ELNS1_3gpuE0ELNS1_3repE0EEENS1_30default_config_static_selectorELNS0_4arch9wavefront6targetE0EEEvT1_,"axG",@progbits,_ZN7rocprim17ROCPRIM_400000_NS6detail17trampoline_kernelINS0_14default_configENS1_25partition_config_selectorILNS1_17partition_subalgoE6EsNS0_10empty_typeEbEEZZNS1_14partition_implILS5_6ELb0ES3_mN6thrust23THRUST_200600_302600_NS6detail15normal_iteratorINSA_10device_ptrIsEEEEPS6_SG_NS0_5tupleIJSF_S6_EEENSH_IJSG_SG_EEES6_PlJNSB_9not_fun_tI7is_trueIsEEEEEE10hipError_tPvRmT3_T4_T5_T6_T7_T9_mT8_P12ihipStream_tbDpT10_ENKUlT_T0_E_clISt17integral_constantIbLb1EES17_IbLb0EEEEDaS13_S14_EUlS13_E_NS1_11comp_targetILNS1_3genE0ELNS1_11target_archE4294967295ELNS1_3gpuE0ELNS1_3repE0EEENS1_30default_config_static_selectorELNS0_4arch9wavefront6targetE0EEEvT1_,comdat
.Lfunc_end1285:
	.size	_ZN7rocprim17ROCPRIM_400000_NS6detail17trampoline_kernelINS0_14default_configENS1_25partition_config_selectorILNS1_17partition_subalgoE6EsNS0_10empty_typeEbEEZZNS1_14partition_implILS5_6ELb0ES3_mN6thrust23THRUST_200600_302600_NS6detail15normal_iteratorINSA_10device_ptrIsEEEEPS6_SG_NS0_5tupleIJSF_S6_EEENSH_IJSG_SG_EEES6_PlJNSB_9not_fun_tI7is_trueIsEEEEEE10hipError_tPvRmT3_T4_T5_T6_T7_T9_mT8_P12ihipStream_tbDpT10_ENKUlT_T0_E_clISt17integral_constantIbLb1EES17_IbLb0EEEEDaS13_S14_EUlS13_E_NS1_11comp_targetILNS1_3genE0ELNS1_11target_archE4294967295ELNS1_3gpuE0ELNS1_3repE0EEENS1_30default_config_static_selectorELNS0_4arch9wavefront6targetE0EEEvT1_, .Lfunc_end1285-_ZN7rocprim17ROCPRIM_400000_NS6detail17trampoline_kernelINS0_14default_configENS1_25partition_config_selectorILNS1_17partition_subalgoE6EsNS0_10empty_typeEbEEZZNS1_14partition_implILS5_6ELb0ES3_mN6thrust23THRUST_200600_302600_NS6detail15normal_iteratorINSA_10device_ptrIsEEEEPS6_SG_NS0_5tupleIJSF_S6_EEENSH_IJSG_SG_EEES6_PlJNSB_9not_fun_tI7is_trueIsEEEEEE10hipError_tPvRmT3_T4_T5_T6_T7_T9_mT8_P12ihipStream_tbDpT10_ENKUlT_T0_E_clISt17integral_constantIbLb1EES17_IbLb0EEEEDaS13_S14_EUlS13_E_NS1_11comp_targetILNS1_3genE0ELNS1_11target_archE4294967295ELNS1_3gpuE0ELNS1_3repE0EEENS1_30default_config_static_selectorELNS0_4arch9wavefront6targetE0EEEvT1_
                                        ; -- End function
	.set _ZN7rocprim17ROCPRIM_400000_NS6detail17trampoline_kernelINS0_14default_configENS1_25partition_config_selectorILNS1_17partition_subalgoE6EsNS0_10empty_typeEbEEZZNS1_14partition_implILS5_6ELb0ES3_mN6thrust23THRUST_200600_302600_NS6detail15normal_iteratorINSA_10device_ptrIsEEEEPS6_SG_NS0_5tupleIJSF_S6_EEENSH_IJSG_SG_EEES6_PlJNSB_9not_fun_tI7is_trueIsEEEEEE10hipError_tPvRmT3_T4_T5_T6_T7_T9_mT8_P12ihipStream_tbDpT10_ENKUlT_T0_E_clISt17integral_constantIbLb1EES17_IbLb0EEEEDaS13_S14_EUlS13_E_NS1_11comp_targetILNS1_3genE0ELNS1_11target_archE4294967295ELNS1_3gpuE0ELNS1_3repE0EEENS1_30default_config_static_selectorELNS0_4arch9wavefront6targetE0EEEvT1_.num_vgpr, 0
	.set _ZN7rocprim17ROCPRIM_400000_NS6detail17trampoline_kernelINS0_14default_configENS1_25partition_config_selectorILNS1_17partition_subalgoE6EsNS0_10empty_typeEbEEZZNS1_14partition_implILS5_6ELb0ES3_mN6thrust23THRUST_200600_302600_NS6detail15normal_iteratorINSA_10device_ptrIsEEEEPS6_SG_NS0_5tupleIJSF_S6_EEENSH_IJSG_SG_EEES6_PlJNSB_9not_fun_tI7is_trueIsEEEEEE10hipError_tPvRmT3_T4_T5_T6_T7_T9_mT8_P12ihipStream_tbDpT10_ENKUlT_T0_E_clISt17integral_constantIbLb1EES17_IbLb0EEEEDaS13_S14_EUlS13_E_NS1_11comp_targetILNS1_3genE0ELNS1_11target_archE4294967295ELNS1_3gpuE0ELNS1_3repE0EEENS1_30default_config_static_selectorELNS0_4arch9wavefront6targetE0EEEvT1_.num_agpr, 0
	.set _ZN7rocprim17ROCPRIM_400000_NS6detail17trampoline_kernelINS0_14default_configENS1_25partition_config_selectorILNS1_17partition_subalgoE6EsNS0_10empty_typeEbEEZZNS1_14partition_implILS5_6ELb0ES3_mN6thrust23THRUST_200600_302600_NS6detail15normal_iteratorINSA_10device_ptrIsEEEEPS6_SG_NS0_5tupleIJSF_S6_EEENSH_IJSG_SG_EEES6_PlJNSB_9not_fun_tI7is_trueIsEEEEEE10hipError_tPvRmT3_T4_T5_T6_T7_T9_mT8_P12ihipStream_tbDpT10_ENKUlT_T0_E_clISt17integral_constantIbLb1EES17_IbLb0EEEEDaS13_S14_EUlS13_E_NS1_11comp_targetILNS1_3genE0ELNS1_11target_archE4294967295ELNS1_3gpuE0ELNS1_3repE0EEENS1_30default_config_static_selectorELNS0_4arch9wavefront6targetE0EEEvT1_.numbered_sgpr, 0
	.set _ZN7rocprim17ROCPRIM_400000_NS6detail17trampoline_kernelINS0_14default_configENS1_25partition_config_selectorILNS1_17partition_subalgoE6EsNS0_10empty_typeEbEEZZNS1_14partition_implILS5_6ELb0ES3_mN6thrust23THRUST_200600_302600_NS6detail15normal_iteratorINSA_10device_ptrIsEEEEPS6_SG_NS0_5tupleIJSF_S6_EEENSH_IJSG_SG_EEES6_PlJNSB_9not_fun_tI7is_trueIsEEEEEE10hipError_tPvRmT3_T4_T5_T6_T7_T9_mT8_P12ihipStream_tbDpT10_ENKUlT_T0_E_clISt17integral_constantIbLb1EES17_IbLb0EEEEDaS13_S14_EUlS13_E_NS1_11comp_targetILNS1_3genE0ELNS1_11target_archE4294967295ELNS1_3gpuE0ELNS1_3repE0EEENS1_30default_config_static_selectorELNS0_4arch9wavefront6targetE0EEEvT1_.num_named_barrier, 0
	.set _ZN7rocprim17ROCPRIM_400000_NS6detail17trampoline_kernelINS0_14default_configENS1_25partition_config_selectorILNS1_17partition_subalgoE6EsNS0_10empty_typeEbEEZZNS1_14partition_implILS5_6ELb0ES3_mN6thrust23THRUST_200600_302600_NS6detail15normal_iteratorINSA_10device_ptrIsEEEEPS6_SG_NS0_5tupleIJSF_S6_EEENSH_IJSG_SG_EEES6_PlJNSB_9not_fun_tI7is_trueIsEEEEEE10hipError_tPvRmT3_T4_T5_T6_T7_T9_mT8_P12ihipStream_tbDpT10_ENKUlT_T0_E_clISt17integral_constantIbLb1EES17_IbLb0EEEEDaS13_S14_EUlS13_E_NS1_11comp_targetILNS1_3genE0ELNS1_11target_archE4294967295ELNS1_3gpuE0ELNS1_3repE0EEENS1_30default_config_static_selectorELNS0_4arch9wavefront6targetE0EEEvT1_.private_seg_size, 0
	.set _ZN7rocprim17ROCPRIM_400000_NS6detail17trampoline_kernelINS0_14default_configENS1_25partition_config_selectorILNS1_17partition_subalgoE6EsNS0_10empty_typeEbEEZZNS1_14partition_implILS5_6ELb0ES3_mN6thrust23THRUST_200600_302600_NS6detail15normal_iteratorINSA_10device_ptrIsEEEEPS6_SG_NS0_5tupleIJSF_S6_EEENSH_IJSG_SG_EEES6_PlJNSB_9not_fun_tI7is_trueIsEEEEEE10hipError_tPvRmT3_T4_T5_T6_T7_T9_mT8_P12ihipStream_tbDpT10_ENKUlT_T0_E_clISt17integral_constantIbLb1EES17_IbLb0EEEEDaS13_S14_EUlS13_E_NS1_11comp_targetILNS1_3genE0ELNS1_11target_archE4294967295ELNS1_3gpuE0ELNS1_3repE0EEENS1_30default_config_static_selectorELNS0_4arch9wavefront6targetE0EEEvT1_.uses_vcc, 0
	.set _ZN7rocprim17ROCPRIM_400000_NS6detail17trampoline_kernelINS0_14default_configENS1_25partition_config_selectorILNS1_17partition_subalgoE6EsNS0_10empty_typeEbEEZZNS1_14partition_implILS5_6ELb0ES3_mN6thrust23THRUST_200600_302600_NS6detail15normal_iteratorINSA_10device_ptrIsEEEEPS6_SG_NS0_5tupleIJSF_S6_EEENSH_IJSG_SG_EEES6_PlJNSB_9not_fun_tI7is_trueIsEEEEEE10hipError_tPvRmT3_T4_T5_T6_T7_T9_mT8_P12ihipStream_tbDpT10_ENKUlT_T0_E_clISt17integral_constantIbLb1EES17_IbLb0EEEEDaS13_S14_EUlS13_E_NS1_11comp_targetILNS1_3genE0ELNS1_11target_archE4294967295ELNS1_3gpuE0ELNS1_3repE0EEENS1_30default_config_static_selectorELNS0_4arch9wavefront6targetE0EEEvT1_.uses_flat_scratch, 0
	.set _ZN7rocprim17ROCPRIM_400000_NS6detail17trampoline_kernelINS0_14default_configENS1_25partition_config_selectorILNS1_17partition_subalgoE6EsNS0_10empty_typeEbEEZZNS1_14partition_implILS5_6ELb0ES3_mN6thrust23THRUST_200600_302600_NS6detail15normal_iteratorINSA_10device_ptrIsEEEEPS6_SG_NS0_5tupleIJSF_S6_EEENSH_IJSG_SG_EEES6_PlJNSB_9not_fun_tI7is_trueIsEEEEEE10hipError_tPvRmT3_T4_T5_T6_T7_T9_mT8_P12ihipStream_tbDpT10_ENKUlT_T0_E_clISt17integral_constantIbLb1EES17_IbLb0EEEEDaS13_S14_EUlS13_E_NS1_11comp_targetILNS1_3genE0ELNS1_11target_archE4294967295ELNS1_3gpuE0ELNS1_3repE0EEENS1_30default_config_static_selectorELNS0_4arch9wavefront6targetE0EEEvT1_.has_dyn_sized_stack, 0
	.set _ZN7rocprim17ROCPRIM_400000_NS6detail17trampoline_kernelINS0_14default_configENS1_25partition_config_selectorILNS1_17partition_subalgoE6EsNS0_10empty_typeEbEEZZNS1_14partition_implILS5_6ELb0ES3_mN6thrust23THRUST_200600_302600_NS6detail15normal_iteratorINSA_10device_ptrIsEEEEPS6_SG_NS0_5tupleIJSF_S6_EEENSH_IJSG_SG_EEES6_PlJNSB_9not_fun_tI7is_trueIsEEEEEE10hipError_tPvRmT3_T4_T5_T6_T7_T9_mT8_P12ihipStream_tbDpT10_ENKUlT_T0_E_clISt17integral_constantIbLb1EES17_IbLb0EEEEDaS13_S14_EUlS13_E_NS1_11comp_targetILNS1_3genE0ELNS1_11target_archE4294967295ELNS1_3gpuE0ELNS1_3repE0EEENS1_30default_config_static_selectorELNS0_4arch9wavefront6targetE0EEEvT1_.has_recursion, 0
	.set _ZN7rocprim17ROCPRIM_400000_NS6detail17trampoline_kernelINS0_14default_configENS1_25partition_config_selectorILNS1_17partition_subalgoE6EsNS0_10empty_typeEbEEZZNS1_14partition_implILS5_6ELb0ES3_mN6thrust23THRUST_200600_302600_NS6detail15normal_iteratorINSA_10device_ptrIsEEEEPS6_SG_NS0_5tupleIJSF_S6_EEENSH_IJSG_SG_EEES6_PlJNSB_9not_fun_tI7is_trueIsEEEEEE10hipError_tPvRmT3_T4_T5_T6_T7_T9_mT8_P12ihipStream_tbDpT10_ENKUlT_T0_E_clISt17integral_constantIbLb1EES17_IbLb0EEEEDaS13_S14_EUlS13_E_NS1_11comp_targetILNS1_3genE0ELNS1_11target_archE4294967295ELNS1_3gpuE0ELNS1_3repE0EEENS1_30default_config_static_selectorELNS0_4arch9wavefront6targetE0EEEvT1_.has_indirect_call, 0
	.section	.AMDGPU.csdata,"",@progbits
; Kernel info:
; codeLenInByte = 0
; TotalNumSgprs: 0
; NumVgprs: 0
; ScratchSize: 0
; MemoryBound: 0
; FloatMode: 240
; IeeeMode: 1
; LDSByteSize: 0 bytes/workgroup (compile time only)
; SGPRBlocks: 0
; VGPRBlocks: 0
; NumSGPRsForWavesPerEU: 1
; NumVGPRsForWavesPerEU: 1
; Occupancy: 16
; WaveLimiterHint : 0
; COMPUTE_PGM_RSRC2:SCRATCH_EN: 0
; COMPUTE_PGM_RSRC2:USER_SGPR: 2
; COMPUTE_PGM_RSRC2:TRAP_HANDLER: 0
; COMPUTE_PGM_RSRC2:TGID_X_EN: 1
; COMPUTE_PGM_RSRC2:TGID_Y_EN: 0
; COMPUTE_PGM_RSRC2:TGID_Z_EN: 0
; COMPUTE_PGM_RSRC2:TIDIG_COMP_CNT: 0
	.section	.text._ZN7rocprim17ROCPRIM_400000_NS6detail17trampoline_kernelINS0_14default_configENS1_25partition_config_selectorILNS1_17partition_subalgoE6EsNS0_10empty_typeEbEEZZNS1_14partition_implILS5_6ELb0ES3_mN6thrust23THRUST_200600_302600_NS6detail15normal_iteratorINSA_10device_ptrIsEEEEPS6_SG_NS0_5tupleIJSF_S6_EEENSH_IJSG_SG_EEES6_PlJNSB_9not_fun_tI7is_trueIsEEEEEE10hipError_tPvRmT3_T4_T5_T6_T7_T9_mT8_P12ihipStream_tbDpT10_ENKUlT_T0_E_clISt17integral_constantIbLb1EES17_IbLb0EEEEDaS13_S14_EUlS13_E_NS1_11comp_targetILNS1_3genE5ELNS1_11target_archE942ELNS1_3gpuE9ELNS1_3repE0EEENS1_30default_config_static_selectorELNS0_4arch9wavefront6targetE0EEEvT1_,"axG",@progbits,_ZN7rocprim17ROCPRIM_400000_NS6detail17trampoline_kernelINS0_14default_configENS1_25partition_config_selectorILNS1_17partition_subalgoE6EsNS0_10empty_typeEbEEZZNS1_14partition_implILS5_6ELb0ES3_mN6thrust23THRUST_200600_302600_NS6detail15normal_iteratorINSA_10device_ptrIsEEEEPS6_SG_NS0_5tupleIJSF_S6_EEENSH_IJSG_SG_EEES6_PlJNSB_9not_fun_tI7is_trueIsEEEEEE10hipError_tPvRmT3_T4_T5_T6_T7_T9_mT8_P12ihipStream_tbDpT10_ENKUlT_T0_E_clISt17integral_constantIbLb1EES17_IbLb0EEEEDaS13_S14_EUlS13_E_NS1_11comp_targetILNS1_3genE5ELNS1_11target_archE942ELNS1_3gpuE9ELNS1_3repE0EEENS1_30default_config_static_selectorELNS0_4arch9wavefront6targetE0EEEvT1_,comdat
	.protected	_ZN7rocprim17ROCPRIM_400000_NS6detail17trampoline_kernelINS0_14default_configENS1_25partition_config_selectorILNS1_17partition_subalgoE6EsNS0_10empty_typeEbEEZZNS1_14partition_implILS5_6ELb0ES3_mN6thrust23THRUST_200600_302600_NS6detail15normal_iteratorINSA_10device_ptrIsEEEEPS6_SG_NS0_5tupleIJSF_S6_EEENSH_IJSG_SG_EEES6_PlJNSB_9not_fun_tI7is_trueIsEEEEEE10hipError_tPvRmT3_T4_T5_T6_T7_T9_mT8_P12ihipStream_tbDpT10_ENKUlT_T0_E_clISt17integral_constantIbLb1EES17_IbLb0EEEEDaS13_S14_EUlS13_E_NS1_11comp_targetILNS1_3genE5ELNS1_11target_archE942ELNS1_3gpuE9ELNS1_3repE0EEENS1_30default_config_static_selectorELNS0_4arch9wavefront6targetE0EEEvT1_ ; -- Begin function _ZN7rocprim17ROCPRIM_400000_NS6detail17trampoline_kernelINS0_14default_configENS1_25partition_config_selectorILNS1_17partition_subalgoE6EsNS0_10empty_typeEbEEZZNS1_14partition_implILS5_6ELb0ES3_mN6thrust23THRUST_200600_302600_NS6detail15normal_iteratorINSA_10device_ptrIsEEEEPS6_SG_NS0_5tupleIJSF_S6_EEENSH_IJSG_SG_EEES6_PlJNSB_9not_fun_tI7is_trueIsEEEEEE10hipError_tPvRmT3_T4_T5_T6_T7_T9_mT8_P12ihipStream_tbDpT10_ENKUlT_T0_E_clISt17integral_constantIbLb1EES17_IbLb0EEEEDaS13_S14_EUlS13_E_NS1_11comp_targetILNS1_3genE5ELNS1_11target_archE942ELNS1_3gpuE9ELNS1_3repE0EEENS1_30default_config_static_selectorELNS0_4arch9wavefront6targetE0EEEvT1_
	.globl	_ZN7rocprim17ROCPRIM_400000_NS6detail17trampoline_kernelINS0_14default_configENS1_25partition_config_selectorILNS1_17partition_subalgoE6EsNS0_10empty_typeEbEEZZNS1_14partition_implILS5_6ELb0ES3_mN6thrust23THRUST_200600_302600_NS6detail15normal_iteratorINSA_10device_ptrIsEEEEPS6_SG_NS0_5tupleIJSF_S6_EEENSH_IJSG_SG_EEES6_PlJNSB_9not_fun_tI7is_trueIsEEEEEE10hipError_tPvRmT3_T4_T5_T6_T7_T9_mT8_P12ihipStream_tbDpT10_ENKUlT_T0_E_clISt17integral_constantIbLb1EES17_IbLb0EEEEDaS13_S14_EUlS13_E_NS1_11comp_targetILNS1_3genE5ELNS1_11target_archE942ELNS1_3gpuE9ELNS1_3repE0EEENS1_30default_config_static_selectorELNS0_4arch9wavefront6targetE0EEEvT1_
	.p2align	8
	.type	_ZN7rocprim17ROCPRIM_400000_NS6detail17trampoline_kernelINS0_14default_configENS1_25partition_config_selectorILNS1_17partition_subalgoE6EsNS0_10empty_typeEbEEZZNS1_14partition_implILS5_6ELb0ES3_mN6thrust23THRUST_200600_302600_NS6detail15normal_iteratorINSA_10device_ptrIsEEEEPS6_SG_NS0_5tupleIJSF_S6_EEENSH_IJSG_SG_EEES6_PlJNSB_9not_fun_tI7is_trueIsEEEEEE10hipError_tPvRmT3_T4_T5_T6_T7_T9_mT8_P12ihipStream_tbDpT10_ENKUlT_T0_E_clISt17integral_constantIbLb1EES17_IbLb0EEEEDaS13_S14_EUlS13_E_NS1_11comp_targetILNS1_3genE5ELNS1_11target_archE942ELNS1_3gpuE9ELNS1_3repE0EEENS1_30default_config_static_selectorELNS0_4arch9wavefront6targetE0EEEvT1_,@function
_ZN7rocprim17ROCPRIM_400000_NS6detail17trampoline_kernelINS0_14default_configENS1_25partition_config_selectorILNS1_17partition_subalgoE6EsNS0_10empty_typeEbEEZZNS1_14partition_implILS5_6ELb0ES3_mN6thrust23THRUST_200600_302600_NS6detail15normal_iteratorINSA_10device_ptrIsEEEEPS6_SG_NS0_5tupleIJSF_S6_EEENSH_IJSG_SG_EEES6_PlJNSB_9not_fun_tI7is_trueIsEEEEEE10hipError_tPvRmT3_T4_T5_T6_T7_T9_mT8_P12ihipStream_tbDpT10_ENKUlT_T0_E_clISt17integral_constantIbLb1EES17_IbLb0EEEEDaS13_S14_EUlS13_E_NS1_11comp_targetILNS1_3genE5ELNS1_11target_archE942ELNS1_3gpuE9ELNS1_3repE0EEENS1_30default_config_static_selectorELNS0_4arch9wavefront6targetE0EEEvT1_: ; @_ZN7rocprim17ROCPRIM_400000_NS6detail17trampoline_kernelINS0_14default_configENS1_25partition_config_selectorILNS1_17partition_subalgoE6EsNS0_10empty_typeEbEEZZNS1_14partition_implILS5_6ELb0ES3_mN6thrust23THRUST_200600_302600_NS6detail15normal_iteratorINSA_10device_ptrIsEEEEPS6_SG_NS0_5tupleIJSF_S6_EEENSH_IJSG_SG_EEES6_PlJNSB_9not_fun_tI7is_trueIsEEEEEE10hipError_tPvRmT3_T4_T5_T6_T7_T9_mT8_P12ihipStream_tbDpT10_ENKUlT_T0_E_clISt17integral_constantIbLb1EES17_IbLb0EEEEDaS13_S14_EUlS13_E_NS1_11comp_targetILNS1_3genE5ELNS1_11target_archE942ELNS1_3gpuE9ELNS1_3repE0EEENS1_30default_config_static_selectorELNS0_4arch9wavefront6targetE0EEEvT1_
; %bb.0:
	.section	.rodata,"a",@progbits
	.p2align	6, 0x0
	.amdhsa_kernel _ZN7rocprim17ROCPRIM_400000_NS6detail17trampoline_kernelINS0_14default_configENS1_25partition_config_selectorILNS1_17partition_subalgoE6EsNS0_10empty_typeEbEEZZNS1_14partition_implILS5_6ELb0ES3_mN6thrust23THRUST_200600_302600_NS6detail15normal_iteratorINSA_10device_ptrIsEEEEPS6_SG_NS0_5tupleIJSF_S6_EEENSH_IJSG_SG_EEES6_PlJNSB_9not_fun_tI7is_trueIsEEEEEE10hipError_tPvRmT3_T4_T5_T6_T7_T9_mT8_P12ihipStream_tbDpT10_ENKUlT_T0_E_clISt17integral_constantIbLb1EES17_IbLb0EEEEDaS13_S14_EUlS13_E_NS1_11comp_targetILNS1_3genE5ELNS1_11target_archE942ELNS1_3gpuE9ELNS1_3repE0EEENS1_30default_config_static_selectorELNS0_4arch9wavefront6targetE0EEEvT1_
		.amdhsa_group_segment_fixed_size 0
		.amdhsa_private_segment_fixed_size 0
		.amdhsa_kernarg_size 112
		.amdhsa_user_sgpr_count 2
		.amdhsa_user_sgpr_dispatch_ptr 0
		.amdhsa_user_sgpr_queue_ptr 0
		.amdhsa_user_sgpr_kernarg_segment_ptr 1
		.amdhsa_user_sgpr_dispatch_id 0
		.amdhsa_user_sgpr_private_segment_size 0
		.amdhsa_wavefront_size32 1
		.amdhsa_uses_dynamic_stack 0
		.amdhsa_enable_private_segment 0
		.amdhsa_system_sgpr_workgroup_id_x 1
		.amdhsa_system_sgpr_workgroup_id_y 0
		.amdhsa_system_sgpr_workgroup_id_z 0
		.amdhsa_system_sgpr_workgroup_info 0
		.amdhsa_system_vgpr_workitem_id 0
		.amdhsa_next_free_vgpr 1
		.amdhsa_next_free_sgpr 1
		.amdhsa_reserve_vcc 0
		.amdhsa_float_round_mode_32 0
		.amdhsa_float_round_mode_16_64 0
		.amdhsa_float_denorm_mode_32 3
		.amdhsa_float_denorm_mode_16_64 3
		.amdhsa_fp16_overflow 0
		.amdhsa_workgroup_processor_mode 1
		.amdhsa_memory_ordered 1
		.amdhsa_forward_progress 1
		.amdhsa_inst_pref_size 0
		.amdhsa_round_robin_scheduling 0
		.amdhsa_exception_fp_ieee_invalid_op 0
		.amdhsa_exception_fp_denorm_src 0
		.amdhsa_exception_fp_ieee_div_zero 0
		.amdhsa_exception_fp_ieee_overflow 0
		.amdhsa_exception_fp_ieee_underflow 0
		.amdhsa_exception_fp_ieee_inexact 0
		.amdhsa_exception_int_div_zero 0
	.end_amdhsa_kernel
	.section	.text._ZN7rocprim17ROCPRIM_400000_NS6detail17trampoline_kernelINS0_14default_configENS1_25partition_config_selectorILNS1_17partition_subalgoE6EsNS0_10empty_typeEbEEZZNS1_14partition_implILS5_6ELb0ES3_mN6thrust23THRUST_200600_302600_NS6detail15normal_iteratorINSA_10device_ptrIsEEEEPS6_SG_NS0_5tupleIJSF_S6_EEENSH_IJSG_SG_EEES6_PlJNSB_9not_fun_tI7is_trueIsEEEEEE10hipError_tPvRmT3_T4_T5_T6_T7_T9_mT8_P12ihipStream_tbDpT10_ENKUlT_T0_E_clISt17integral_constantIbLb1EES17_IbLb0EEEEDaS13_S14_EUlS13_E_NS1_11comp_targetILNS1_3genE5ELNS1_11target_archE942ELNS1_3gpuE9ELNS1_3repE0EEENS1_30default_config_static_selectorELNS0_4arch9wavefront6targetE0EEEvT1_,"axG",@progbits,_ZN7rocprim17ROCPRIM_400000_NS6detail17trampoline_kernelINS0_14default_configENS1_25partition_config_selectorILNS1_17partition_subalgoE6EsNS0_10empty_typeEbEEZZNS1_14partition_implILS5_6ELb0ES3_mN6thrust23THRUST_200600_302600_NS6detail15normal_iteratorINSA_10device_ptrIsEEEEPS6_SG_NS0_5tupleIJSF_S6_EEENSH_IJSG_SG_EEES6_PlJNSB_9not_fun_tI7is_trueIsEEEEEE10hipError_tPvRmT3_T4_T5_T6_T7_T9_mT8_P12ihipStream_tbDpT10_ENKUlT_T0_E_clISt17integral_constantIbLb1EES17_IbLb0EEEEDaS13_S14_EUlS13_E_NS1_11comp_targetILNS1_3genE5ELNS1_11target_archE942ELNS1_3gpuE9ELNS1_3repE0EEENS1_30default_config_static_selectorELNS0_4arch9wavefront6targetE0EEEvT1_,comdat
.Lfunc_end1286:
	.size	_ZN7rocprim17ROCPRIM_400000_NS6detail17trampoline_kernelINS0_14default_configENS1_25partition_config_selectorILNS1_17partition_subalgoE6EsNS0_10empty_typeEbEEZZNS1_14partition_implILS5_6ELb0ES3_mN6thrust23THRUST_200600_302600_NS6detail15normal_iteratorINSA_10device_ptrIsEEEEPS6_SG_NS0_5tupleIJSF_S6_EEENSH_IJSG_SG_EEES6_PlJNSB_9not_fun_tI7is_trueIsEEEEEE10hipError_tPvRmT3_T4_T5_T6_T7_T9_mT8_P12ihipStream_tbDpT10_ENKUlT_T0_E_clISt17integral_constantIbLb1EES17_IbLb0EEEEDaS13_S14_EUlS13_E_NS1_11comp_targetILNS1_3genE5ELNS1_11target_archE942ELNS1_3gpuE9ELNS1_3repE0EEENS1_30default_config_static_selectorELNS0_4arch9wavefront6targetE0EEEvT1_, .Lfunc_end1286-_ZN7rocprim17ROCPRIM_400000_NS6detail17trampoline_kernelINS0_14default_configENS1_25partition_config_selectorILNS1_17partition_subalgoE6EsNS0_10empty_typeEbEEZZNS1_14partition_implILS5_6ELb0ES3_mN6thrust23THRUST_200600_302600_NS6detail15normal_iteratorINSA_10device_ptrIsEEEEPS6_SG_NS0_5tupleIJSF_S6_EEENSH_IJSG_SG_EEES6_PlJNSB_9not_fun_tI7is_trueIsEEEEEE10hipError_tPvRmT3_T4_T5_T6_T7_T9_mT8_P12ihipStream_tbDpT10_ENKUlT_T0_E_clISt17integral_constantIbLb1EES17_IbLb0EEEEDaS13_S14_EUlS13_E_NS1_11comp_targetILNS1_3genE5ELNS1_11target_archE942ELNS1_3gpuE9ELNS1_3repE0EEENS1_30default_config_static_selectorELNS0_4arch9wavefront6targetE0EEEvT1_
                                        ; -- End function
	.set _ZN7rocprim17ROCPRIM_400000_NS6detail17trampoline_kernelINS0_14default_configENS1_25partition_config_selectorILNS1_17partition_subalgoE6EsNS0_10empty_typeEbEEZZNS1_14partition_implILS5_6ELb0ES3_mN6thrust23THRUST_200600_302600_NS6detail15normal_iteratorINSA_10device_ptrIsEEEEPS6_SG_NS0_5tupleIJSF_S6_EEENSH_IJSG_SG_EEES6_PlJNSB_9not_fun_tI7is_trueIsEEEEEE10hipError_tPvRmT3_T4_T5_T6_T7_T9_mT8_P12ihipStream_tbDpT10_ENKUlT_T0_E_clISt17integral_constantIbLb1EES17_IbLb0EEEEDaS13_S14_EUlS13_E_NS1_11comp_targetILNS1_3genE5ELNS1_11target_archE942ELNS1_3gpuE9ELNS1_3repE0EEENS1_30default_config_static_selectorELNS0_4arch9wavefront6targetE0EEEvT1_.num_vgpr, 0
	.set _ZN7rocprim17ROCPRIM_400000_NS6detail17trampoline_kernelINS0_14default_configENS1_25partition_config_selectorILNS1_17partition_subalgoE6EsNS0_10empty_typeEbEEZZNS1_14partition_implILS5_6ELb0ES3_mN6thrust23THRUST_200600_302600_NS6detail15normal_iteratorINSA_10device_ptrIsEEEEPS6_SG_NS0_5tupleIJSF_S6_EEENSH_IJSG_SG_EEES6_PlJNSB_9not_fun_tI7is_trueIsEEEEEE10hipError_tPvRmT3_T4_T5_T6_T7_T9_mT8_P12ihipStream_tbDpT10_ENKUlT_T0_E_clISt17integral_constantIbLb1EES17_IbLb0EEEEDaS13_S14_EUlS13_E_NS1_11comp_targetILNS1_3genE5ELNS1_11target_archE942ELNS1_3gpuE9ELNS1_3repE0EEENS1_30default_config_static_selectorELNS0_4arch9wavefront6targetE0EEEvT1_.num_agpr, 0
	.set _ZN7rocprim17ROCPRIM_400000_NS6detail17trampoline_kernelINS0_14default_configENS1_25partition_config_selectorILNS1_17partition_subalgoE6EsNS0_10empty_typeEbEEZZNS1_14partition_implILS5_6ELb0ES3_mN6thrust23THRUST_200600_302600_NS6detail15normal_iteratorINSA_10device_ptrIsEEEEPS6_SG_NS0_5tupleIJSF_S6_EEENSH_IJSG_SG_EEES6_PlJNSB_9not_fun_tI7is_trueIsEEEEEE10hipError_tPvRmT3_T4_T5_T6_T7_T9_mT8_P12ihipStream_tbDpT10_ENKUlT_T0_E_clISt17integral_constantIbLb1EES17_IbLb0EEEEDaS13_S14_EUlS13_E_NS1_11comp_targetILNS1_3genE5ELNS1_11target_archE942ELNS1_3gpuE9ELNS1_3repE0EEENS1_30default_config_static_selectorELNS0_4arch9wavefront6targetE0EEEvT1_.numbered_sgpr, 0
	.set _ZN7rocprim17ROCPRIM_400000_NS6detail17trampoline_kernelINS0_14default_configENS1_25partition_config_selectorILNS1_17partition_subalgoE6EsNS0_10empty_typeEbEEZZNS1_14partition_implILS5_6ELb0ES3_mN6thrust23THRUST_200600_302600_NS6detail15normal_iteratorINSA_10device_ptrIsEEEEPS6_SG_NS0_5tupleIJSF_S6_EEENSH_IJSG_SG_EEES6_PlJNSB_9not_fun_tI7is_trueIsEEEEEE10hipError_tPvRmT3_T4_T5_T6_T7_T9_mT8_P12ihipStream_tbDpT10_ENKUlT_T0_E_clISt17integral_constantIbLb1EES17_IbLb0EEEEDaS13_S14_EUlS13_E_NS1_11comp_targetILNS1_3genE5ELNS1_11target_archE942ELNS1_3gpuE9ELNS1_3repE0EEENS1_30default_config_static_selectorELNS0_4arch9wavefront6targetE0EEEvT1_.num_named_barrier, 0
	.set _ZN7rocprim17ROCPRIM_400000_NS6detail17trampoline_kernelINS0_14default_configENS1_25partition_config_selectorILNS1_17partition_subalgoE6EsNS0_10empty_typeEbEEZZNS1_14partition_implILS5_6ELb0ES3_mN6thrust23THRUST_200600_302600_NS6detail15normal_iteratorINSA_10device_ptrIsEEEEPS6_SG_NS0_5tupleIJSF_S6_EEENSH_IJSG_SG_EEES6_PlJNSB_9not_fun_tI7is_trueIsEEEEEE10hipError_tPvRmT3_T4_T5_T6_T7_T9_mT8_P12ihipStream_tbDpT10_ENKUlT_T0_E_clISt17integral_constantIbLb1EES17_IbLb0EEEEDaS13_S14_EUlS13_E_NS1_11comp_targetILNS1_3genE5ELNS1_11target_archE942ELNS1_3gpuE9ELNS1_3repE0EEENS1_30default_config_static_selectorELNS0_4arch9wavefront6targetE0EEEvT1_.private_seg_size, 0
	.set _ZN7rocprim17ROCPRIM_400000_NS6detail17trampoline_kernelINS0_14default_configENS1_25partition_config_selectorILNS1_17partition_subalgoE6EsNS0_10empty_typeEbEEZZNS1_14partition_implILS5_6ELb0ES3_mN6thrust23THRUST_200600_302600_NS6detail15normal_iteratorINSA_10device_ptrIsEEEEPS6_SG_NS0_5tupleIJSF_S6_EEENSH_IJSG_SG_EEES6_PlJNSB_9not_fun_tI7is_trueIsEEEEEE10hipError_tPvRmT3_T4_T5_T6_T7_T9_mT8_P12ihipStream_tbDpT10_ENKUlT_T0_E_clISt17integral_constantIbLb1EES17_IbLb0EEEEDaS13_S14_EUlS13_E_NS1_11comp_targetILNS1_3genE5ELNS1_11target_archE942ELNS1_3gpuE9ELNS1_3repE0EEENS1_30default_config_static_selectorELNS0_4arch9wavefront6targetE0EEEvT1_.uses_vcc, 0
	.set _ZN7rocprim17ROCPRIM_400000_NS6detail17trampoline_kernelINS0_14default_configENS1_25partition_config_selectorILNS1_17partition_subalgoE6EsNS0_10empty_typeEbEEZZNS1_14partition_implILS5_6ELb0ES3_mN6thrust23THRUST_200600_302600_NS6detail15normal_iteratorINSA_10device_ptrIsEEEEPS6_SG_NS0_5tupleIJSF_S6_EEENSH_IJSG_SG_EEES6_PlJNSB_9not_fun_tI7is_trueIsEEEEEE10hipError_tPvRmT3_T4_T5_T6_T7_T9_mT8_P12ihipStream_tbDpT10_ENKUlT_T0_E_clISt17integral_constantIbLb1EES17_IbLb0EEEEDaS13_S14_EUlS13_E_NS1_11comp_targetILNS1_3genE5ELNS1_11target_archE942ELNS1_3gpuE9ELNS1_3repE0EEENS1_30default_config_static_selectorELNS0_4arch9wavefront6targetE0EEEvT1_.uses_flat_scratch, 0
	.set _ZN7rocprim17ROCPRIM_400000_NS6detail17trampoline_kernelINS0_14default_configENS1_25partition_config_selectorILNS1_17partition_subalgoE6EsNS0_10empty_typeEbEEZZNS1_14partition_implILS5_6ELb0ES3_mN6thrust23THRUST_200600_302600_NS6detail15normal_iteratorINSA_10device_ptrIsEEEEPS6_SG_NS0_5tupleIJSF_S6_EEENSH_IJSG_SG_EEES6_PlJNSB_9not_fun_tI7is_trueIsEEEEEE10hipError_tPvRmT3_T4_T5_T6_T7_T9_mT8_P12ihipStream_tbDpT10_ENKUlT_T0_E_clISt17integral_constantIbLb1EES17_IbLb0EEEEDaS13_S14_EUlS13_E_NS1_11comp_targetILNS1_3genE5ELNS1_11target_archE942ELNS1_3gpuE9ELNS1_3repE0EEENS1_30default_config_static_selectorELNS0_4arch9wavefront6targetE0EEEvT1_.has_dyn_sized_stack, 0
	.set _ZN7rocprim17ROCPRIM_400000_NS6detail17trampoline_kernelINS0_14default_configENS1_25partition_config_selectorILNS1_17partition_subalgoE6EsNS0_10empty_typeEbEEZZNS1_14partition_implILS5_6ELb0ES3_mN6thrust23THRUST_200600_302600_NS6detail15normal_iteratorINSA_10device_ptrIsEEEEPS6_SG_NS0_5tupleIJSF_S6_EEENSH_IJSG_SG_EEES6_PlJNSB_9not_fun_tI7is_trueIsEEEEEE10hipError_tPvRmT3_T4_T5_T6_T7_T9_mT8_P12ihipStream_tbDpT10_ENKUlT_T0_E_clISt17integral_constantIbLb1EES17_IbLb0EEEEDaS13_S14_EUlS13_E_NS1_11comp_targetILNS1_3genE5ELNS1_11target_archE942ELNS1_3gpuE9ELNS1_3repE0EEENS1_30default_config_static_selectorELNS0_4arch9wavefront6targetE0EEEvT1_.has_recursion, 0
	.set _ZN7rocprim17ROCPRIM_400000_NS6detail17trampoline_kernelINS0_14default_configENS1_25partition_config_selectorILNS1_17partition_subalgoE6EsNS0_10empty_typeEbEEZZNS1_14partition_implILS5_6ELb0ES3_mN6thrust23THRUST_200600_302600_NS6detail15normal_iteratorINSA_10device_ptrIsEEEEPS6_SG_NS0_5tupleIJSF_S6_EEENSH_IJSG_SG_EEES6_PlJNSB_9not_fun_tI7is_trueIsEEEEEE10hipError_tPvRmT3_T4_T5_T6_T7_T9_mT8_P12ihipStream_tbDpT10_ENKUlT_T0_E_clISt17integral_constantIbLb1EES17_IbLb0EEEEDaS13_S14_EUlS13_E_NS1_11comp_targetILNS1_3genE5ELNS1_11target_archE942ELNS1_3gpuE9ELNS1_3repE0EEENS1_30default_config_static_selectorELNS0_4arch9wavefront6targetE0EEEvT1_.has_indirect_call, 0
	.section	.AMDGPU.csdata,"",@progbits
; Kernel info:
; codeLenInByte = 0
; TotalNumSgprs: 0
; NumVgprs: 0
; ScratchSize: 0
; MemoryBound: 0
; FloatMode: 240
; IeeeMode: 1
; LDSByteSize: 0 bytes/workgroup (compile time only)
; SGPRBlocks: 0
; VGPRBlocks: 0
; NumSGPRsForWavesPerEU: 1
; NumVGPRsForWavesPerEU: 1
; Occupancy: 16
; WaveLimiterHint : 0
; COMPUTE_PGM_RSRC2:SCRATCH_EN: 0
; COMPUTE_PGM_RSRC2:USER_SGPR: 2
; COMPUTE_PGM_RSRC2:TRAP_HANDLER: 0
; COMPUTE_PGM_RSRC2:TGID_X_EN: 1
; COMPUTE_PGM_RSRC2:TGID_Y_EN: 0
; COMPUTE_PGM_RSRC2:TGID_Z_EN: 0
; COMPUTE_PGM_RSRC2:TIDIG_COMP_CNT: 0
	.section	.text._ZN7rocprim17ROCPRIM_400000_NS6detail17trampoline_kernelINS0_14default_configENS1_25partition_config_selectorILNS1_17partition_subalgoE6EsNS0_10empty_typeEbEEZZNS1_14partition_implILS5_6ELb0ES3_mN6thrust23THRUST_200600_302600_NS6detail15normal_iteratorINSA_10device_ptrIsEEEEPS6_SG_NS0_5tupleIJSF_S6_EEENSH_IJSG_SG_EEES6_PlJNSB_9not_fun_tI7is_trueIsEEEEEE10hipError_tPvRmT3_T4_T5_T6_T7_T9_mT8_P12ihipStream_tbDpT10_ENKUlT_T0_E_clISt17integral_constantIbLb1EES17_IbLb0EEEEDaS13_S14_EUlS13_E_NS1_11comp_targetILNS1_3genE4ELNS1_11target_archE910ELNS1_3gpuE8ELNS1_3repE0EEENS1_30default_config_static_selectorELNS0_4arch9wavefront6targetE0EEEvT1_,"axG",@progbits,_ZN7rocprim17ROCPRIM_400000_NS6detail17trampoline_kernelINS0_14default_configENS1_25partition_config_selectorILNS1_17partition_subalgoE6EsNS0_10empty_typeEbEEZZNS1_14partition_implILS5_6ELb0ES3_mN6thrust23THRUST_200600_302600_NS6detail15normal_iteratorINSA_10device_ptrIsEEEEPS6_SG_NS0_5tupleIJSF_S6_EEENSH_IJSG_SG_EEES6_PlJNSB_9not_fun_tI7is_trueIsEEEEEE10hipError_tPvRmT3_T4_T5_T6_T7_T9_mT8_P12ihipStream_tbDpT10_ENKUlT_T0_E_clISt17integral_constantIbLb1EES17_IbLb0EEEEDaS13_S14_EUlS13_E_NS1_11comp_targetILNS1_3genE4ELNS1_11target_archE910ELNS1_3gpuE8ELNS1_3repE0EEENS1_30default_config_static_selectorELNS0_4arch9wavefront6targetE0EEEvT1_,comdat
	.protected	_ZN7rocprim17ROCPRIM_400000_NS6detail17trampoline_kernelINS0_14default_configENS1_25partition_config_selectorILNS1_17partition_subalgoE6EsNS0_10empty_typeEbEEZZNS1_14partition_implILS5_6ELb0ES3_mN6thrust23THRUST_200600_302600_NS6detail15normal_iteratorINSA_10device_ptrIsEEEEPS6_SG_NS0_5tupleIJSF_S6_EEENSH_IJSG_SG_EEES6_PlJNSB_9not_fun_tI7is_trueIsEEEEEE10hipError_tPvRmT3_T4_T5_T6_T7_T9_mT8_P12ihipStream_tbDpT10_ENKUlT_T0_E_clISt17integral_constantIbLb1EES17_IbLb0EEEEDaS13_S14_EUlS13_E_NS1_11comp_targetILNS1_3genE4ELNS1_11target_archE910ELNS1_3gpuE8ELNS1_3repE0EEENS1_30default_config_static_selectorELNS0_4arch9wavefront6targetE0EEEvT1_ ; -- Begin function _ZN7rocprim17ROCPRIM_400000_NS6detail17trampoline_kernelINS0_14default_configENS1_25partition_config_selectorILNS1_17partition_subalgoE6EsNS0_10empty_typeEbEEZZNS1_14partition_implILS5_6ELb0ES3_mN6thrust23THRUST_200600_302600_NS6detail15normal_iteratorINSA_10device_ptrIsEEEEPS6_SG_NS0_5tupleIJSF_S6_EEENSH_IJSG_SG_EEES6_PlJNSB_9not_fun_tI7is_trueIsEEEEEE10hipError_tPvRmT3_T4_T5_T6_T7_T9_mT8_P12ihipStream_tbDpT10_ENKUlT_T0_E_clISt17integral_constantIbLb1EES17_IbLb0EEEEDaS13_S14_EUlS13_E_NS1_11comp_targetILNS1_3genE4ELNS1_11target_archE910ELNS1_3gpuE8ELNS1_3repE0EEENS1_30default_config_static_selectorELNS0_4arch9wavefront6targetE0EEEvT1_
	.globl	_ZN7rocprim17ROCPRIM_400000_NS6detail17trampoline_kernelINS0_14default_configENS1_25partition_config_selectorILNS1_17partition_subalgoE6EsNS0_10empty_typeEbEEZZNS1_14partition_implILS5_6ELb0ES3_mN6thrust23THRUST_200600_302600_NS6detail15normal_iteratorINSA_10device_ptrIsEEEEPS6_SG_NS0_5tupleIJSF_S6_EEENSH_IJSG_SG_EEES6_PlJNSB_9not_fun_tI7is_trueIsEEEEEE10hipError_tPvRmT3_T4_T5_T6_T7_T9_mT8_P12ihipStream_tbDpT10_ENKUlT_T0_E_clISt17integral_constantIbLb1EES17_IbLb0EEEEDaS13_S14_EUlS13_E_NS1_11comp_targetILNS1_3genE4ELNS1_11target_archE910ELNS1_3gpuE8ELNS1_3repE0EEENS1_30default_config_static_selectorELNS0_4arch9wavefront6targetE0EEEvT1_
	.p2align	8
	.type	_ZN7rocprim17ROCPRIM_400000_NS6detail17trampoline_kernelINS0_14default_configENS1_25partition_config_selectorILNS1_17partition_subalgoE6EsNS0_10empty_typeEbEEZZNS1_14partition_implILS5_6ELb0ES3_mN6thrust23THRUST_200600_302600_NS6detail15normal_iteratorINSA_10device_ptrIsEEEEPS6_SG_NS0_5tupleIJSF_S6_EEENSH_IJSG_SG_EEES6_PlJNSB_9not_fun_tI7is_trueIsEEEEEE10hipError_tPvRmT3_T4_T5_T6_T7_T9_mT8_P12ihipStream_tbDpT10_ENKUlT_T0_E_clISt17integral_constantIbLb1EES17_IbLb0EEEEDaS13_S14_EUlS13_E_NS1_11comp_targetILNS1_3genE4ELNS1_11target_archE910ELNS1_3gpuE8ELNS1_3repE0EEENS1_30default_config_static_selectorELNS0_4arch9wavefront6targetE0EEEvT1_,@function
_ZN7rocprim17ROCPRIM_400000_NS6detail17trampoline_kernelINS0_14default_configENS1_25partition_config_selectorILNS1_17partition_subalgoE6EsNS0_10empty_typeEbEEZZNS1_14partition_implILS5_6ELb0ES3_mN6thrust23THRUST_200600_302600_NS6detail15normal_iteratorINSA_10device_ptrIsEEEEPS6_SG_NS0_5tupleIJSF_S6_EEENSH_IJSG_SG_EEES6_PlJNSB_9not_fun_tI7is_trueIsEEEEEE10hipError_tPvRmT3_T4_T5_T6_T7_T9_mT8_P12ihipStream_tbDpT10_ENKUlT_T0_E_clISt17integral_constantIbLb1EES17_IbLb0EEEEDaS13_S14_EUlS13_E_NS1_11comp_targetILNS1_3genE4ELNS1_11target_archE910ELNS1_3gpuE8ELNS1_3repE0EEENS1_30default_config_static_selectorELNS0_4arch9wavefront6targetE0EEEvT1_: ; @_ZN7rocprim17ROCPRIM_400000_NS6detail17trampoline_kernelINS0_14default_configENS1_25partition_config_selectorILNS1_17partition_subalgoE6EsNS0_10empty_typeEbEEZZNS1_14partition_implILS5_6ELb0ES3_mN6thrust23THRUST_200600_302600_NS6detail15normal_iteratorINSA_10device_ptrIsEEEEPS6_SG_NS0_5tupleIJSF_S6_EEENSH_IJSG_SG_EEES6_PlJNSB_9not_fun_tI7is_trueIsEEEEEE10hipError_tPvRmT3_T4_T5_T6_T7_T9_mT8_P12ihipStream_tbDpT10_ENKUlT_T0_E_clISt17integral_constantIbLb1EES17_IbLb0EEEEDaS13_S14_EUlS13_E_NS1_11comp_targetILNS1_3genE4ELNS1_11target_archE910ELNS1_3gpuE8ELNS1_3repE0EEENS1_30default_config_static_selectorELNS0_4arch9wavefront6targetE0EEEvT1_
; %bb.0:
	.section	.rodata,"a",@progbits
	.p2align	6, 0x0
	.amdhsa_kernel _ZN7rocprim17ROCPRIM_400000_NS6detail17trampoline_kernelINS0_14default_configENS1_25partition_config_selectorILNS1_17partition_subalgoE6EsNS0_10empty_typeEbEEZZNS1_14partition_implILS5_6ELb0ES3_mN6thrust23THRUST_200600_302600_NS6detail15normal_iteratorINSA_10device_ptrIsEEEEPS6_SG_NS0_5tupleIJSF_S6_EEENSH_IJSG_SG_EEES6_PlJNSB_9not_fun_tI7is_trueIsEEEEEE10hipError_tPvRmT3_T4_T5_T6_T7_T9_mT8_P12ihipStream_tbDpT10_ENKUlT_T0_E_clISt17integral_constantIbLb1EES17_IbLb0EEEEDaS13_S14_EUlS13_E_NS1_11comp_targetILNS1_3genE4ELNS1_11target_archE910ELNS1_3gpuE8ELNS1_3repE0EEENS1_30default_config_static_selectorELNS0_4arch9wavefront6targetE0EEEvT1_
		.amdhsa_group_segment_fixed_size 0
		.amdhsa_private_segment_fixed_size 0
		.amdhsa_kernarg_size 112
		.amdhsa_user_sgpr_count 2
		.amdhsa_user_sgpr_dispatch_ptr 0
		.amdhsa_user_sgpr_queue_ptr 0
		.amdhsa_user_sgpr_kernarg_segment_ptr 1
		.amdhsa_user_sgpr_dispatch_id 0
		.amdhsa_user_sgpr_private_segment_size 0
		.amdhsa_wavefront_size32 1
		.amdhsa_uses_dynamic_stack 0
		.amdhsa_enable_private_segment 0
		.amdhsa_system_sgpr_workgroup_id_x 1
		.amdhsa_system_sgpr_workgroup_id_y 0
		.amdhsa_system_sgpr_workgroup_id_z 0
		.amdhsa_system_sgpr_workgroup_info 0
		.amdhsa_system_vgpr_workitem_id 0
		.amdhsa_next_free_vgpr 1
		.amdhsa_next_free_sgpr 1
		.amdhsa_reserve_vcc 0
		.amdhsa_float_round_mode_32 0
		.amdhsa_float_round_mode_16_64 0
		.amdhsa_float_denorm_mode_32 3
		.amdhsa_float_denorm_mode_16_64 3
		.amdhsa_fp16_overflow 0
		.amdhsa_workgroup_processor_mode 1
		.amdhsa_memory_ordered 1
		.amdhsa_forward_progress 1
		.amdhsa_inst_pref_size 0
		.amdhsa_round_robin_scheduling 0
		.amdhsa_exception_fp_ieee_invalid_op 0
		.amdhsa_exception_fp_denorm_src 0
		.amdhsa_exception_fp_ieee_div_zero 0
		.amdhsa_exception_fp_ieee_overflow 0
		.amdhsa_exception_fp_ieee_underflow 0
		.amdhsa_exception_fp_ieee_inexact 0
		.amdhsa_exception_int_div_zero 0
	.end_amdhsa_kernel
	.section	.text._ZN7rocprim17ROCPRIM_400000_NS6detail17trampoline_kernelINS0_14default_configENS1_25partition_config_selectorILNS1_17partition_subalgoE6EsNS0_10empty_typeEbEEZZNS1_14partition_implILS5_6ELb0ES3_mN6thrust23THRUST_200600_302600_NS6detail15normal_iteratorINSA_10device_ptrIsEEEEPS6_SG_NS0_5tupleIJSF_S6_EEENSH_IJSG_SG_EEES6_PlJNSB_9not_fun_tI7is_trueIsEEEEEE10hipError_tPvRmT3_T4_T5_T6_T7_T9_mT8_P12ihipStream_tbDpT10_ENKUlT_T0_E_clISt17integral_constantIbLb1EES17_IbLb0EEEEDaS13_S14_EUlS13_E_NS1_11comp_targetILNS1_3genE4ELNS1_11target_archE910ELNS1_3gpuE8ELNS1_3repE0EEENS1_30default_config_static_selectorELNS0_4arch9wavefront6targetE0EEEvT1_,"axG",@progbits,_ZN7rocprim17ROCPRIM_400000_NS6detail17trampoline_kernelINS0_14default_configENS1_25partition_config_selectorILNS1_17partition_subalgoE6EsNS0_10empty_typeEbEEZZNS1_14partition_implILS5_6ELb0ES3_mN6thrust23THRUST_200600_302600_NS6detail15normal_iteratorINSA_10device_ptrIsEEEEPS6_SG_NS0_5tupleIJSF_S6_EEENSH_IJSG_SG_EEES6_PlJNSB_9not_fun_tI7is_trueIsEEEEEE10hipError_tPvRmT3_T4_T5_T6_T7_T9_mT8_P12ihipStream_tbDpT10_ENKUlT_T0_E_clISt17integral_constantIbLb1EES17_IbLb0EEEEDaS13_S14_EUlS13_E_NS1_11comp_targetILNS1_3genE4ELNS1_11target_archE910ELNS1_3gpuE8ELNS1_3repE0EEENS1_30default_config_static_selectorELNS0_4arch9wavefront6targetE0EEEvT1_,comdat
.Lfunc_end1287:
	.size	_ZN7rocprim17ROCPRIM_400000_NS6detail17trampoline_kernelINS0_14default_configENS1_25partition_config_selectorILNS1_17partition_subalgoE6EsNS0_10empty_typeEbEEZZNS1_14partition_implILS5_6ELb0ES3_mN6thrust23THRUST_200600_302600_NS6detail15normal_iteratorINSA_10device_ptrIsEEEEPS6_SG_NS0_5tupleIJSF_S6_EEENSH_IJSG_SG_EEES6_PlJNSB_9not_fun_tI7is_trueIsEEEEEE10hipError_tPvRmT3_T4_T5_T6_T7_T9_mT8_P12ihipStream_tbDpT10_ENKUlT_T0_E_clISt17integral_constantIbLb1EES17_IbLb0EEEEDaS13_S14_EUlS13_E_NS1_11comp_targetILNS1_3genE4ELNS1_11target_archE910ELNS1_3gpuE8ELNS1_3repE0EEENS1_30default_config_static_selectorELNS0_4arch9wavefront6targetE0EEEvT1_, .Lfunc_end1287-_ZN7rocprim17ROCPRIM_400000_NS6detail17trampoline_kernelINS0_14default_configENS1_25partition_config_selectorILNS1_17partition_subalgoE6EsNS0_10empty_typeEbEEZZNS1_14partition_implILS5_6ELb0ES3_mN6thrust23THRUST_200600_302600_NS6detail15normal_iteratorINSA_10device_ptrIsEEEEPS6_SG_NS0_5tupleIJSF_S6_EEENSH_IJSG_SG_EEES6_PlJNSB_9not_fun_tI7is_trueIsEEEEEE10hipError_tPvRmT3_T4_T5_T6_T7_T9_mT8_P12ihipStream_tbDpT10_ENKUlT_T0_E_clISt17integral_constantIbLb1EES17_IbLb0EEEEDaS13_S14_EUlS13_E_NS1_11comp_targetILNS1_3genE4ELNS1_11target_archE910ELNS1_3gpuE8ELNS1_3repE0EEENS1_30default_config_static_selectorELNS0_4arch9wavefront6targetE0EEEvT1_
                                        ; -- End function
	.set _ZN7rocprim17ROCPRIM_400000_NS6detail17trampoline_kernelINS0_14default_configENS1_25partition_config_selectorILNS1_17partition_subalgoE6EsNS0_10empty_typeEbEEZZNS1_14partition_implILS5_6ELb0ES3_mN6thrust23THRUST_200600_302600_NS6detail15normal_iteratorINSA_10device_ptrIsEEEEPS6_SG_NS0_5tupleIJSF_S6_EEENSH_IJSG_SG_EEES6_PlJNSB_9not_fun_tI7is_trueIsEEEEEE10hipError_tPvRmT3_T4_T5_T6_T7_T9_mT8_P12ihipStream_tbDpT10_ENKUlT_T0_E_clISt17integral_constantIbLb1EES17_IbLb0EEEEDaS13_S14_EUlS13_E_NS1_11comp_targetILNS1_3genE4ELNS1_11target_archE910ELNS1_3gpuE8ELNS1_3repE0EEENS1_30default_config_static_selectorELNS0_4arch9wavefront6targetE0EEEvT1_.num_vgpr, 0
	.set _ZN7rocprim17ROCPRIM_400000_NS6detail17trampoline_kernelINS0_14default_configENS1_25partition_config_selectorILNS1_17partition_subalgoE6EsNS0_10empty_typeEbEEZZNS1_14partition_implILS5_6ELb0ES3_mN6thrust23THRUST_200600_302600_NS6detail15normal_iteratorINSA_10device_ptrIsEEEEPS6_SG_NS0_5tupleIJSF_S6_EEENSH_IJSG_SG_EEES6_PlJNSB_9not_fun_tI7is_trueIsEEEEEE10hipError_tPvRmT3_T4_T5_T6_T7_T9_mT8_P12ihipStream_tbDpT10_ENKUlT_T0_E_clISt17integral_constantIbLb1EES17_IbLb0EEEEDaS13_S14_EUlS13_E_NS1_11comp_targetILNS1_3genE4ELNS1_11target_archE910ELNS1_3gpuE8ELNS1_3repE0EEENS1_30default_config_static_selectorELNS0_4arch9wavefront6targetE0EEEvT1_.num_agpr, 0
	.set _ZN7rocprim17ROCPRIM_400000_NS6detail17trampoline_kernelINS0_14default_configENS1_25partition_config_selectorILNS1_17partition_subalgoE6EsNS0_10empty_typeEbEEZZNS1_14partition_implILS5_6ELb0ES3_mN6thrust23THRUST_200600_302600_NS6detail15normal_iteratorINSA_10device_ptrIsEEEEPS6_SG_NS0_5tupleIJSF_S6_EEENSH_IJSG_SG_EEES6_PlJNSB_9not_fun_tI7is_trueIsEEEEEE10hipError_tPvRmT3_T4_T5_T6_T7_T9_mT8_P12ihipStream_tbDpT10_ENKUlT_T0_E_clISt17integral_constantIbLb1EES17_IbLb0EEEEDaS13_S14_EUlS13_E_NS1_11comp_targetILNS1_3genE4ELNS1_11target_archE910ELNS1_3gpuE8ELNS1_3repE0EEENS1_30default_config_static_selectorELNS0_4arch9wavefront6targetE0EEEvT1_.numbered_sgpr, 0
	.set _ZN7rocprim17ROCPRIM_400000_NS6detail17trampoline_kernelINS0_14default_configENS1_25partition_config_selectorILNS1_17partition_subalgoE6EsNS0_10empty_typeEbEEZZNS1_14partition_implILS5_6ELb0ES3_mN6thrust23THRUST_200600_302600_NS6detail15normal_iteratorINSA_10device_ptrIsEEEEPS6_SG_NS0_5tupleIJSF_S6_EEENSH_IJSG_SG_EEES6_PlJNSB_9not_fun_tI7is_trueIsEEEEEE10hipError_tPvRmT3_T4_T5_T6_T7_T9_mT8_P12ihipStream_tbDpT10_ENKUlT_T0_E_clISt17integral_constantIbLb1EES17_IbLb0EEEEDaS13_S14_EUlS13_E_NS1_11comp_targetILNS1_3genE4ELNS1_11target_archE910ELNS1_3gpuE8ELNS1_3repE0EEENS1_30default_config_static_selectorELNS0_4arch9wavefront6targetE0EEEvT1_.num_named_barrier, 0
	.set _ZN7rocprim17ROCPRIM_400000_NS6detail17trampoline_kernelINS0_14default_configENS1_25partition_config_selectorILNS1_17partition_subalgoE6EsNS0_10empty_typeEbEEZZNS1_14partition_implILS5_6ELb0ES3_mN6thrust23THRUST_200600_302600_NS6detail15normal_iteratorINSA_10device_ptrIsEEEEPS6_SG_NS0_5tupleIJSF_S6_EEENSH_IJSG_SG_EEES6_PlJNSB_9not_fun_tI7is_trueIsEEEEEE10hipError_tPvRmT3_T4_T5_T6_T7_T9_mT8_P12ihipStream_tbDpT10_ENKUlT_T0_E_clISt17integral_constantIbLb1EES17_IbLb0EEEEDaS13_S14_EUlS13_E_NS1_11comp_targetILNS1_3genE4ELNS1_11target_archE910ELNS1_3gpuE8ELNS1_3repE0EEENS1_30default_config_static_selectorELNS0_4arch9wavefront6targetE0EEEvT1_.private_seg_size, 0
	.set _ZN7rocprim17ROCPRIM_400000_NS6detail17trampoline_kernelINS0_14default_configENS1_25partition_config_selectorILNS1_17partition_subalgoE6EsNS0_10empty_typeEbEEZZNS1_14partition_implILS5_6ELb0ES3_mN6thrust23THRUST_200600_302600_NS6detail15normal_iteratorINSA_10device_ptrIsEEEEPS6_SG_NS0_5tupleIJSF_S6_EEENSH_IJSG_SG_EEES6_PlJNSB_9not_fun_tI7is_trueIsEEEEEE10hipError_tPvRmT3_T4_T5_T6_T7_T9_mT8_P12ihipStream_tbDpT10_ENKUlT_T0_E_clISt17integral_constantIbLb1EES17_IbLb0EEEEDaS13_S14_EUlS13_E_NS1_11comp_targetILNS1_3genE4ELNS1_11target_archE910ELNS1_3gpuE8ELNS1_3repE0EEENS1_30default_config_static_selectorELNS0_4arch9wavefront6targetE0EEEvT1_.uses_vcc, 0
	.set _ZN7rocprim17ROCPRIM_400000_NS6detail17trampoline_kernelINS0_14default_configENS1_25partition_config_selectorILNS1_17partition_subalgoE6EsNS0_10empty_typeEbEEZZNS1_14partition_implILS5_6ELb0ES3_mN6thrust23THRUST_200600_302600_NS6detail15normal_iteratorINSA_10device_ptrIsEEEEPS6_SG_NS0_5tupleIJSF_S6_EEENSH_IJSG_SG_EEES6_PlJNSB_9not_fun_tI7is_trueIsEEEEEE10hipError_tPvRmT3_T4_T5_T6_T7_T9_mT8_P12ihipStream_tbDpT10_ENKUlT_T0_E_clISt17integral_constantIbLb1EES17_IbLb0EEEEDaS13_S14_EUlS13_E_NS1_11comp_targetILNS1_3genE4ELNS1_11target_archE910ELNS1_3gpuE8ELNS1_3repE0EEENS1_30default_config_static_selectorELNS0_4arch9wavefront6targetE0EEEvT1_.uses_flat_scratch, 0
	.set _ZN7rocprim17ROCPRIM_400000_NS6detail17trampoline_kernelINS0_14default_configENS1_25partition_config_selectorILNS1_17partition_subalgoE6EsNS0_10empty_typeEbEEZZNS1_14partition_implILS5_6ELb0ES3_mN6thrust23THRUST_200600_302600_NS6detail15normal_iteratorINSA_10device_ptrIsEEEEPS6_SG_NS0_5tupleIJSF_S6_EEENSH_IJSG_SG_EEES6_PlJNSB_9not_fun_tI7is_trueIsEEEEEE10hipError_tPvRmT3_T4_T5_T6_T7_T9_mT8_P12ihipStream_tbDpT10_ENKUlT_T0_E_clISt17integral_constantIbLb1EES17_IbLb0EEEEDaS13_S14_EUlS13_E_NS1_11comp_targetILNS1_3genE4ELNS1_11target_archE910ELNS1_3gpuE8ELNS1_3repE0EEENS1_30default_config_static_selectorELNS0_4arch9wavefront6targetE0EEEvT1_.has_dyn_sized_stack, 0
	.set _ZN7rocprim17ROCPRIM_400000_NS6detail17trampoline_kernelINS0_14default_configENS1_25partition_config_selectorILNS1_17partition_subalgoE6EsNS0_10empty_typeEbEEZZNS1_14partition_implILS5_6ELb0ES3_mN6thrust23THRUST_200600_302600_NS6detail15normal_iteratorINSA_10device_ptrIsEEEEPS6_SG_NS0_5tupleIJSF_S6_EEENSH_IJSG_SG_EEES6_PlJNSB_9not_fun_tI7is_trueIsEEEEEE10hipError_tPvRmT3_T4_T5_T6_T7_T9_mT8_P12ihipStream_tbDpT10_ENKUlT_T0_E_clISt17integral_constantIbLb1EES17_IbLb0EEEEDaS13_S14_EUlS13_E_NS1_11comp_targetILNS1_3genE4ELNS1_11target_archE910ELNS1_3gpuE8ELNS1_3repE0EEENS1_30default_config_static_selectorELNS0_4arch9wavefront6targetE0EEEvT1_.has_recursion, 0
	.set _ZN7rocprim17ROCPRIM_400000_NS6detail17trampoline_kernelINS0_14default_configENS1_25partition_config_selectorILNS1_17partition_subalgoE6EsNS0_10empty_typeEbEEZZNS1_14partition_implILS5_6ELb0ES3_mN6thrust23THRUST_200600_302600_NS6detail15normal_iteratorINSA_10device_ptrIsEEEEPS6_SG_NS0_5tupleIJSF_S6_EEENSH_IJSG_SG_EEES6_PlJNSB_9not_fun_tI7is_trueIsEEEEEE10hipError_tPvRmT3_T4_T5_T6_T7_T9_mT8_P12ihipStream_tbDpT10_ENKUlT_T0_E_clISt17integral_constantIbLb1EES17_IbLb0EEEEDaS13_S14_EUlS13_E_NS1_11comp_targetILNS1_3genE4ELNS1_11target_archE910ELNS1_3gpuE8ELNS1_3repE0EEENS1_30default_config_static_selectorELNS0_4arch9wavefront6targetE0EEEvT1_.has_indirect_call, 0
	.section	.AMDGPU.csdata,"",@progbits
; Kernel info:
; codeLenInByte = 0
; TotalNumSgprs: 0
; NumVgprs: 0
; ScratchSize: 0
; MemoryBound: 0
; FloatMode: 240
; IeeeMode: 1
; LDSByteSize: 0 bytes/workgroup (compile time only)
; SGPRBlocks: 0
; VGPRBlocks: 0
; NumSGPRsForWavesPerEU: 1
; NumVGPRsForWavesPerEU: 1
; Occupancy: 16
; WaveLimiterHint : 0
; COMPUTE_PGM_RSRC2:SCRATCH_EN: 0
; COMPUTE_PGM_RSRC2:USER_SGPR: 2
; COMPUTE_PGM_RSRC2:TRAP_HANDLER: 0
; COMPUTE_PGM_RSRC2:TGID_X_EN: 1
; COMPUTE_PGM_RSRC2:TGID_Y_EN: 0
; COMPUTE_PGM_RSRC2:TGID_Z_EN: 0
; COMPUTE_PGM_RSRC2:TIDIG_COMP_CNT: 0
	.section	.text._ZN7rocprim17ROCPRIM_400000_NS6detail17trampoline_kernelINS0_14default_configENS1_25partition_config_selectorILNS1_17partition_subalgoE6EsNS0_10empty_typeEbEEZZNS1_14partition_implILS5_6ELb0ES3_mN6thrust23THRUST_200600_302600_NS6detail15normal_iteratorINSA_10device_ptrIsEEEEPS6_SG_NS0_5tupleIJSF_S6_EEENSH_IJSG_SG_EEES6_PlJNSB_9not_fun_tI7is_trueIsEEEEEE10hipError_tPvRmT3_T4_T5_T6_T7_T9_mT8_P12ihipStream_tbDpT10_ENKUlT_T0_E_clISt17integral_constantIbLb1EES17_IbLb0EEEEDaS13_S14_EUlS13_E_NS1_11comp_targetILNS1_3genE3ELNS1_11target_archE908ELNS1_3gpuE7ELNS1_3repE0EEENS1_30default_config_static_selectorELNS0_4arch9wavefront6targetE0EEEvT1_,"axG",@progbits,_ZN7rocprim17ROCPRIM_400000_NS6detail17trampoline_kernelINS0_14default_configENS1_25partition_config_selectorILNS1_17partition_subalgoE6EsNS0_10empty_typeEbEEZZNS1_14partition_implILS5_6ELb0ES3_mN6thrust23THRUST_200600_302600_NS6detail15normal_iteratorINSA_10device_ptrIsEEEEPS6_SG_NS0_5tupleIJSF_S6_EEENSH_IJSG_SG_EEES6_PlJNSB_9not_fun_tI7is_trueIsEEEEEE10hipError_tPvRmT3_T4_T5_T6_T7_T9_mT8_P12ihipStream_tbDpT10_ENKUlT_T0_E_clISt17integral_constantIbLb1EES17_IbLb0EEEEDaS13_S14_EUlS13_E_NS1_11comp_targetILNS1_3genE3ELNS1_11target_archE908ELNS1_3gpuE7ELNS1_3repE0EEENS1_30default_config_static_selectorELNS0_4arch9wavefront6targetE0EEEvT1_,comdat
	.protected	_ZN7rocprim17ROCPRIM_400000_NS6detail17trampoline_kernelINS0_14default_configENS1_25partition_config_selectorILNS1_17partition_subalgoE6EsNS0_10empty_typeEbEEZZNS1_14partition_implILS5_6ELb0ES3_mN6thrust23THRUST_200600_302600_NS6detail15normal_iteratorINSA_10device_ptrIsEEEEPS6_SG_NS0_5tupleIJSF_S6_EEENSH_IJSG_SG_EEES6_PlJNSB_9not_fun_tI7is_trueIsEEEEEE10hipError_tPvRmT3_T4_T5_T6_T7_T9_mT8_P12ihipStream_tbDpT10_ENKUlT_T0_E_clISt17integral_constantIbLb1EES17_IbLb0EEEEDaS13_S14_EUlS13_E_NS1_11comp_targetILNS1_3genE3ELNS1_11target_archE908ELNS1_3gpuE7ELNS1_3repE0EEENS1_30default_config_static_selectorELNS0_4arch9wavefront6targetE0EEEvT1_ ; -- Begin function _ZN7rocprim17ROCPRIM_400000_NS6detail17trampoline_kernelINS0_14default_configENS1_25partition_config_selectorILNS1_17partition_subalgoE6EsNS0_10empty_typeEbEEZZNS1_14partition_implILS5_6ELb0ES3_mN6thrust23THRUST_200600_302600_NS6detail15normal_iteratorINSA_10device_ptrIsEEEEPS6_SG_NS0_5tupleIJSF_S6_EEENSH_IJSG_SG_EEES6_PlJNSB_9not_fun_tI7is_trueIsEEEEEE10hipError_tPvRmT3_T4_T5_T6_T7_T9_mT8_P12ihipStream_tbDpT10_ENKUlT_T0_E_clISt17integral_constantIbLb1EES17_IbLb0EEEEDaS13_S14_EUlS13_E_NS1_11comp_targetILNS1_3genE3ELNS1_11target_archE908ELNS1_3gpuE7ELNS1_3repE0EEENS1_30default_config_static_selectorELNS0_4arch9wavefront6targetE0EEEvT1_
	.globl	_ZN7rocprim17ROCPRIM_400000_NS6detail17trampoline_kernelINS0_14default_configENS1_25partition_config_selectorILNS1_17partition_subalgoE6EsNS0_10empty_typeEbEEZZNS1_14partition_implILS5_6ELb0ES3_mN6thrust23THRUST_200600_302600_NS6detail15normal_iteratorINSA_10device_ptrIsEEEEPS6_SG_NS0_5tupleIJSF_S6_EEENSH_IJSG_SG_EEES6_PlJNSB_9not_fun_tI7is_trueIsEEEEEE10hipError_tPvRmT3_T4_T5_T6_T7_T9_mT8_P12ihipStream_tbDpT10_ENKUlT_T0_E_clISt17integral_constantIbLb1EES17_IbLb0EEEEDaS13_S14_EUlS13_E_NS1_11comp_targetILNS1_3genE3ELNS1_11target_archE908ELNS1_3gpuE7ELNS1_3repE0EEENS1_30default_config_static_selectorELNS0_4arch9wavefront6targetE0EEEvT1_
	.p2align	8
	.type	_ZN7rocprim17ROCPRIM_400000_NS6detail17trampoline_kernelINS0_14default_configENS1_25partition_config_selectorILNS1_17partition_subalgoE6EsNS0_10empty_typeEbEEZZNS1_14partition_implILS5_6ELb0ES3_mN6thrust23THRUST_200600_302600_NS6detail15normal_iteratorINSA_10device_ptrIsEEEEPS6_SG_NS0_5tupleIJSF_S6_EEENSH_IJSG_SG_EEES6_PlJNSB_9not_fun_tI7is_trueIsEEEEEE10hipError_tPvRmT3_T4_T5_T6_T7_T9_mT8_P12ihipStream_tbDpT10_ENKUlT_T0_E_clISt17integral_constantIbLb1EES17_IbLb0EEEEDaS13_S14_EUlS13_E_NS1_11comp_targetILNS1_3genE3ELNS1_11target_archE908ELNS1_3gpuE7ELNS1_3repE0EEENS1_30default_config_static_selectorELNS0_4arch9wavefront6targetE0EEEvT1_,@function
_ZN7rocprim17ROCPRIM_400000_NS6detail17trampoline_kernelINS0_14default_configENS1_25partition_config_selectorILNS1_17partition_subalgoE6EsNS0_10empty_typeEbEEZZNS1_14partition_implILS5_6ELb0ES3_mN6thrust23THRUST_200600_302600_NS6detail15normal_iteratorINSA_10device_ptrIsEEEEPS6_SG_NS0_5tupleIJSF_S6_EEENSH_IJSG_SG_EEES6_PlJNSB_9not_fun_tI7is_trueIsEEEEEE10hipError_tPvRmT3_T4_T5_T6_T7_T9_mT8_P12ihipStream_tbDpT10_ENKUlT_T0_E_clISt17integral_constantIbLb1EES17_IbLb0EEEEDaS13_S14_EUlS13_E_NS1_11comp_targetILNS1_3genE3ELNS1_11target_archE908ELNS1_3gpuE7ELNS1_3repE0EEENS1_30default_config_static_selectorELNS0_4arch9wavefront6targetE0EEEvT1_: ; @_ZN7rocprim17ROCPRIM_400000_NS6detail17trampoline_kernelINS0_14default_configENS1_25partition_config_selectorILNS1_17partition_subalgoE6EsNS0_10empty_typeEbEEZZNS1_14partition_implILS5_6ELb0ES3_mN6thrust23THRUST_200600_302600_NS6detail15normal_iteratorINSA_10device_ptrIsEEEEPS6_SG_NS0_5tupleIJSF_S6_EEENSH_IJSG_SG_EEES6_PlJNSB_9not_fun_tI7is_trueIsEEEEEE10hipError_tPvRmT3_T4_T5_T6_T7_T9_mT8_P12ihipStream_tbDpT10_ENKUlT_T0_E_clISt17integral_constantIbLb1EES17_IbLb0EEEEDaS13_S14_EUlS13_E_NS1_11comp_targetILNS1_3genE3ELNS1_11target_archE908ELNS1_3gpuE7ELNS1_3repE0EEENS1_30default_config_static_selectorELNS0_4arch9wavefront6targetE0EEEvT1_
; %bb.0:
	.section	.rodata,"a",@progbits
	.p2align	6, 0x0
	.amdhsa_kernel _ZN7rocprim17ROCPRIM_400000_NS6detail17trampoline_kernelINS0_14default_configENS1_25partition_config_selectorILNS1_17partition_subalgoE6EsNS0_10empty_typeEbEEZZNS1_14partition_implILS5_6ELb0ES3_mN6thrust23THRUST_200600_302600_NS6detail15normal_iteratorINSA_10device_ptrIsEEEEPS6_SG_NS0_5tupleIJSF_S6_EEENSH_IJSG_SG_EEES6_PlJNSB_9not_fun_tI7is_trueIsEEEEEE10hipError_tPvRmT3_T4_T5_T6_T7_T9_mT8_P12ihipStream_tbDpT10_ENKUlT_T0_E_clISt17integral_constantIbLb1EES17_IbLb0EEEEDaS13_S14_EUlS13_E_NS1_11comp_targetILNS1_3genE3ELNS1_11target_archE908ELNS1_3gpuE7ELNS1_3repE0EEENS1_30default_config_static_selectorELNS0_4arch9wavefront6targetE0EEEvT1_
		.amdhsa_group_segment_fixed_size 0
		.amdhsa_private_segment_fixed_size 0
		.amdhsa_kernarg_size 112
		.amdhsa_user_sgpr_count 2
		.amdhsa_user_sgpr_dispatch_ptr 0
		.amdhsa_user_sgpr_queue_ptr 0
		.amdhsa_user_sgpr_kernarg_segment_ptr 1
		.amdhsa_user_sgpr_dispatch_id 0
		.amdhsa_user_sgpr_private_segment_size 0
		.amdhsa_wavefront_size32 1
		.amdhsa_uses_dynamic_stack 0
		.amdhsa_enable_private_segment 0
		.amdhsa_system_sgpr_workgroup_id_x 1
		.amdhsa_system_sgpr_workgroup_id_y 0
		.amdhsa_system_sgpr_workgroup_id_z 0
		.amdhsa_system_sgpr_workgroup_info 0
		.amdhsa_system_vgpr_workitem_id 0
		.amdhsa_next_free_vgpr 1
		.amdhsa_next_free_sgpr 1
		.amdhsa_reserve_vcc 0
		.amdhsa_float_round_mode_32 0
		.amdhsa_float_round_mode_16_64 0
		.amdhsa_float_denorm_mode_32 3
		.amdhsa_float_denorm_mode_16_64 3
		.amdhsa_fp16_overflow 0
		.amdhsa_workgroup_processor_mode 1
		.amdhsa_memory_ordered 1
		.amdhsa_forward_progress 1
		.amdhsa_inst_pref_size 0
		.amdhsa_round_robin_scheduling 0
		.amdhsa_exception_fp_ieee_invalid_op 0
		.amdhsa_exception_fp_denorm_src 0
		.amdhsa_exception_fp_ieee_div_zero 0
		.amdhsa_exception_fp_ieee_overflow 0
		.amdhsa_exception_fp_ieee_underflow 0
		.amdhsa_exception_fp_ieee_inexact 0
		.amdhsa_exception_int_div_zero 0
	.end_amdhsa_kernel
	.section	.text._ZN7rocprim17ROCPRIM_400000_NS6detail17trampoline_kernelINS0_14default_configENS1_25partition_config_selectorILNS1_17partition_subalgoE6EsNS0_10empty_typeEbEEZZNS1_14partition_implILS5_6ELb0ES3_mN6thrust23THRUST_200600_302600_NS6detail15normal_iteratorINSA_10device_ptrIsEEEEPS6_SG_NS0_5tupleIJSF_S6_EEENSH_IJSG_SG_EEES6_PlJNSB_9not_fun_tI7is_trueIsEEEEEE10hipError_tPvRmT3_T4_T5_T6_T7_T9_mT8_P12ihipStream_tbDpT10_ENKUlT_T0_E_clISt17integral_constantIbLb1EES17_IbLb0EEEEDaS13_S14_EUlS13_E_NS1_11comp_targetILNS1_3genE3ELNS1_11target_archE908ELNS1_3gpuE7ELNS1_3repE0EEENS1_30default_config_static_selectorELNS0_4arch9wavefront6targetE0EEEvT1_,"axG",@progbits,_ZN7rocprim17ROCPRIM_400000_NS6detail17trampoline_kernelINS0_14default_configENS1_25partition_config_selectorILNS1_17partition_subalgoE6EsNS0_10empty_typeEbEEZZNS1_14partition_implILS5_6ELb0ES3_mN6thrust23THRUST_200600_302600_NS6detail15normal_iteratorINSA_10device_ptrIsEEEEPS6_SG_NS0_5tupleIJSF_S6_EEENSH_IJSG_SG_EEES6_PlJNSB_9not_fun_tI7is_trueIsEEEEEE10hipError_tPvRmT3_T4_T5_T6_T7_T9_mT8_P12ihipStream_tbDpT10_ENKUlT_T0_E_clISt17integral_constantIbLb1EES17_IbLb0EEEEDaS13_S14_EUlS13_E_NS1_11comp_targetILNS1_3genE3ELNS1_11target_archE908ELNS1_3gpuE7ELNS1_3repE0EEENS1_30default_config_static_selectorELNS0_4arch9wavefront6targetE0EEEvT1_,comdat
.Lfunc_end1288:
	.size	_ZN7rocprim17ROCPRIM_400000_NS6detail17trampoline_kernelINS0_14default_configENS1_25partition_config_selectorILNS1_17partition_subalgoE6EsNS0_10empty_typeEbEEZZNS1_14partition_implILS5_6ELb0ES3_mN6thrust23THRUST_200600_302600_NS6detail15normal_iteratorINSA_10device_ptrIsEEEEPS6_SG_NS0_5tupleIJSF_S6_EEENSH_IJSG_SG_EEES6_PlJNSB_9not_fun_tI7is_trueIsEEEEEE10hipError_tPvRmT3_T4_T5_T6_T7_T9_mT8_P12ihipStream_tbDpT10_ENKUlT_T0_E_clISt17integral_constantIbLb1EES17_IbLb0EEEEDaS13_S14_EUlS13_E_NS1_11comp_targetILNS1_3genE3ELNS1_11target_archE908ELNS1_3gpuE7ELNS1_3repE0EEENS1_30default_config_static_selectorELNS0_4arch9wavefront6targetE0EEEvT1_, .Lfunc_end1288-_ZN7rocprim17ROCPRIM_400000_NS6detail17trampoline_kernelINS0_14default_configENS1_25partition_config_selectorILNS1_17partition_subalgoE6EsNS0_10empty_typeEbEEZZNS1_14partition_implILS5_6ELb0ES3_mN6thrust23THRUST_200600_302600_NS6detail15normal_iteratorINSA_10device_ptrIsEEEEPS6_SG_NS0_5tupleIJSF_S6_EEENSH_IJSG_SG_EEES6_PlJNSB_9not_fun_tI7is_trueIsEEEEEE10hipError_tPvRmT3_T4_T5_T6_T7_T9_mT8_P12ihipStream_tbDpT10_ENKUlT_T0_E_clISt17integral_constantIbLb1EES17_IbLb0EEEEDaS13_S14_EUlS13_E_NS1_11comp_targetILNS1_3genE3ELNS1_11target_archE908ELNS1_3gpuE7ELNS1_3repE0EEENS1_30default_config_static_selectorELNS0_4arch9wavefront6targetE0EEEvT1_
                                        ; -- End function
	.set _ZN7rocprim17ROCPRIM_400000_NS6detail17trampoline_kernelINS0_14default_configENS1_25partition_config_selectorILNS1_17partition_subalgoE6EsNS0_10empty_typeEbEEZZNS1_14partition_implILS5_6ELb0ES3_mN6thrust23THRUST_200600_302600_NS6detail15normal_iteratorINSA_10device_ptrIsEEEEPS6_SG_NS0_5tupleIJSF_S6_EEENSH_IJSG_SG_EEES6_PlJNSB_9not_fun_tI7is_trueIsEEEEEE10hipError_tPvRmT3_T4_T5_T6_T7_T9_mT8_P12ihipStream_tbDpT10_ENKUlT_T0_E_clISt17integral_constantIbLb1EES17_IbLb0EEEEDaS13_S14_EUlS13_E_NS1_11comp_targetILNS1_3genE3ELNS1_11target_archE908ELNS1_3gpuE7ELNS1_3repE0EEENS1_30default_config_static_selectorELNS0_4arch9wavefront6targetE0EEEvT1_.num_vgpr, 0
	.set _ZN7rocprim17ROCPRIM_400000_NS6detail17trampoline_kernelINS0_14default_configENS1_25partition_config_selectorILNS1_17partition_subalgoE6EsNS0_10empty_typeEbEEZZNS1_14partition_implILS5_6ELb0ES3_mN6thrust23THRUST_200600_302600_NS6detail15normal_iteratorINSA_10device_ptrIsEEEEPS6_SG_NS0_5tupleIJSF_S6_EEENSH_IJSG_SG_EEES6_PlJNSB_9not_fun_tI7is_trueIsEEEEEE10hipError_tPvRmT3_T4_T5_T6_T7_T9_mT8_P12ihipStream_tbDpT10_ENKUlT_T0_E_clISt17integral_constantIbLb1EES17_IbLb0EEEEDaS13_S14_EUlS13_E_NS1_11comp_targetILNS1_3genE3ELNS1_11target_archE908ELNS1_3gpuE7ELNS1_3repE0EEENS1_30default_config_static_selectorELNS0_4arch9wavefront6targetE0EEEvT1_.num_agpr, 0
	.set _ZN7rocprim17ROCPRIM_400000_NS6detail17trampoline_kernelINS0_14default_configENS1_25partition_config_selectorILNS1_17partition_subalgoE6EsNS0_10empty_typeEbEEZZNS1_14partition_implILS5_6ELb0ES3_mN6thrust23THRUST_200600_302600_NS6detail15normal_iteratorINSA_10device_ptrIsEEEEPS6_SG_NS0_5tupleIJSF_S6_EEENSH_IJSG_SG_EEES6_PlJNSB_9not_fun_tI7is_trueIsEEEEEE10hipError_tPvRmT3_T4_T5_T6_T7_T9_mT8_P12ihipStream_tbDpT10_ENKUlT_T0_E_clISt17integral_constantIbLb1EES17_IbLb0EEEEDaS13_S14_EUlS13_E_NS1_11comp_targetILNS1_3genE3ELNS1_11target_archE908ELNS1_3gpuE7ELNS1_3repE0EEENS1_30default_config_static_selectorELNS0_4arch9wavefront6targetE0EEEvT1_.numbered_sgpr, 0
	.set _ZN7rocprim17ROCPRIM_400000_NS6detail17trampoline_kernelINS0_14default_configENS1_25partition_config_selectorILNS1_17partition_subalgoE6EsNS0_10empty_typeEbEEZZNS1_14partition_implILS5_6ELb0ES3_mN6thrust23THRUST_200600_302600_NS6detail15normal_iteratorINSA_10device_ptrIsEEEEPS6_SG_NS0_5tupleIJSF_S6_EEENSH_IJSG_SG_EEES6_PlJNSB_9not_fun_tI7is_trueIsEEEEEE10hipError_tPvRmT3_T4_T5_T6_T7_T9_mT8_P12ihipStream_tbDpT10_ENKUlT_T0_E_clISt17integral_constantIbLb1EES17_IbLb0EEEEDaS13_S14_EUlS13_E_NS1_11comp_targetILNS1_3genE3ELNS1_11target_archE908ELNS1_3gpuE7ELNS1_3repE0EEENS1_30default_config_static_selectorELNS0_4arch9wavefront6targetE0EEEvT1_.num_named_barrier, 0
	.set _ZN7rocprim17ROCPRIM_400000_NS6detail17trampoline_kernelINS0_14default_configENS1_25partition_config_selectorILNS1_17partition_subalgoE6EsNS0_10empty_typeEbEEZZNS1_14partition_implILS5_6ELb0ES3_mN6thrust23THRUST_200600_302600_NS6detail15normal_iteratorINSA_10device_ptrIsEEEEPS6_SG_NS0_5tupleIJSF_S6_EEENSH_IJSG_SG_EEES6_PlJNSB_9not_fun_tI7is_trueIsEEEEEE10hipError_tPvRmT3_T4_T5_T6_T7_T9_mT8_P12ihipStream_tbDpT10_ENKUlT_T0_E_clISt17integral_constantIbLb1EES17_IbLb0EEEEDaS13_S14_EUlS13_E_NS1_11comp_targetILNS1_3genE3ELNS1_11target_archE908ELNS1_3gpuE7ELNS1_3repE0EEENS1_30default_config_static_selectorELNS0_4arch9wavefront6targetE0EEEvT1_.private_seg_size, 0
	.set _ZN7rocprim17ROCPRIM_400000_NS6detail17trampoline_kernelINS0_14default_configENS1_25partition_config_selectorILNS1_17partition_subalgoE6EsNS0_10empty_typeEbEEZZNS1_14partition_implILS5_6ELb0ES3_mN6thrust23THRUST_200600_302600_NS6detail15normal_iteratorINSA_10device_ptrIsEEEEPS6_SG_NS0_5tupleIJSF_S6_EEENSH_IJSG_SG_EEES6_PlJNSB_9not_fun_tI7is_trueIsEEEEEE10hipError_tPvRmT3_T4_T5_T6_T7_T9_mT8_P12ihipStream_tbDpT10_ENKUlT_T0_E_clISt17integral_constantIbLb1EES17_IbLb0EEEEDaS13_S14_EUlS13_E_NS1_11comp_targetILNS1_3genE3ELNS1_11target_archE908ELNS1_3gpuE7ELNS1_3repE0EEENS1_30default_config_static_selectorELNS0_4arch9wavefront6targetE0EEEvT1_.uses_vcc, 0
	.set _ZN7rocprim17ROCPRIM_400000_NS6detail17trampoline_kernelINS0_14default_configENS1_25partition_config_selectorILNS1_17partition_subalgoE6EsNS0_10empty_typeEbEEZZNS1_14partition_implILS5_6ELb0ES3_mN6thrust23THRUST_200600_302600_NS6detail15normal_iteratorINSA_10device_ptrIsEEEEPS6_SG_NS0_5tupleIJSF_S6_EEENSH_IJSG_SG_EEES6_PlJNSB_9not_fun_tI7is_trueIsEEEEEE10hipError_tPvRmT3_T4_T5_T6_T7_T9_mT8_P12ihipStream_tbDpT10_ENKUlT_T0_E_clISt17integral_constantIbLb1EES17_IbLb0EEEEDaS13_S14_EUlS13_E_NS1_11comp_targetILNS1_3genE3ELNS1_11target_archE908ELNS1_3gpuE7ELNS1_3repE0EEENS1_30default_config_static_selectorELNS0_4arch9wavefront6targetE0EEEvT1_.uses_flat_scratch, 0
	.set _ZN7rocprim17ROCPRIM_400000_NS6detail17trampoline_kernelINS0_14default_configENS1_25partition_config_selectorILNS1_17partition_subalgoE6EsNS0_10empty_typeEbEEZZNS1_14partition_implILS5_6ELb0ES3_mN6thrust23THRUST_200600_302600_NS6detail15normal_iteratorINSA_10device_ptrIsEEEEPS6_SG_NS0_5tupleIJSF_S6_EEENSH_IJSG_SG_EEES6_PlJNSB_9not_fun_tI7is_trueIsEEEEEE10hipError_tPvRmT3_T4_T5_T6_T7_T9_mT8_P12ihipStream_tbDpT10_ENKUlT_T0_E_clISt17integral_constantIbLb1EES17_IbLb0EEEEDaS13_S14_EUlS13_E_NS1_11comp_targetILNS1_3genE3ELNS1_11target_archE908ELNS1_3gpuE7ELNS1_3repE0EEENS1_30default_config_static_selectorELNS0_4arch9wavefront6targetE0EEEvT1_.has_dyn_sized_stack, 0
	.set _ZN7rocprim17ROCPRIM_400000_NS6detail17trampoline_kernelINS0_14default_configENS1_25partition_config_selectorILNS1_17partition_subalgoE6EsNS0_10empty_typeEbEEZZNS1_14partition_implILS5_6ELb0ES3_mN6thrust23THRUST_200600_302600_NS6detail15normal_iteratorINSA_10device_ptrIsEEEEPS6_SG_NS0_5tupleIJSF_S6_EEENSH_IJSG_SG_EEES6_PlJNSB_9not_fun_tI7is_trueIsEEEEEE10hipError_tPvRmT3_T4_T5_T6_T7_T9_mT8_P12ihipStream_tbDpT10_ENKUlT_T0_E_clISt17integral_constantIbLb1EES17_IbLb0EEEEDaS13_S14_EUlS13_E_NS1_11comp_targetILNS1_3genE3ELNS1_11target_archE908ELNS1_3gpuE7ELNS1_3repE0EEENS1_30default_config_static_selectorELNS0_4arch9wavefront6targetE0EEEvT1_.has_recursion, 0
	.set _ZN7rocprim17ROCPRIM_400000_NS6detail17trampoline_kernelINS0_14default_configENS1_25partition_config_selectorILNS1_17partition_subalgoE6EsNS0_10empty_typeEbEEZZNS1_14partition_implILS5_6ELb0ES3_mN6thrust23THRUST_200600_302600_NS6detail15normal_iteratorINSA_10device_ptrIsEEEEPS6_SG_NS0_5tupleIJSF_S6_EEENSH_IJSG_SG_EEES6_PlJNSB_9not_fun_tI7is_trueIsEEEEEE10hipError_tPvRmT3_T4_T5_T6_T7_T9_mT8_P12ihipStream_tbDpT10_ENKUlT_T0_E_clISt17integral_constantIbLb1EES17_IbLb0EEEEDaS13_S14_EUlS13_E_NS1_11comp_targetILNS1_3genE3ELNS1_11target_archE908ELNS1_3gpuE7ELNS1_3repE0EEENS1_30default_config_static_selectorELNS0_4arch9wavefront6targetE0EEEvT1_.has_indirect_call, 0
	.section	.AMDGPU.csdata,"",@progbits
; Kernel info:
; codeLenInByte = 0
; TotalNumSgprs: 0
; NumVgprs: 0
; ScratchSize: 0
; MemoryBound: 0
; FloatMode: 240
; IeeeMode: 1
; LDSByteSize: 0 bytes/workgroup (compile time only)
; SGPRBlocks: 0
; VGPRBlocks: 0
; NumSGPRsForWavesPerEU: 1
; NumVGPRsForWavesPerEU: 1
; Occupancy: 16
; WaveLimiterHint : 0
; COMPUTE_PGM_RSRC2:SCRATCH_EN: 0
; COMPUTE_PGM_RSRC2:USER_SGPR: 2
; COMPUTE_PGM_RSRC2:TRAP_HANDLER: 0
; COMPUTE_PGM_RSRC2:TGID_X_EN: 1
; COMPUTE_PGM_RSRC2:TGID_Y_EN: 0
; COMPUTE_PGM_RSRC2:TGID_Z_EN: 0
; COMPUTE_PGM_RSRC2:TIDIG_COMP_CNT: 0
	.section	.text._ZN7rocprim17ROCPRIM_400000_NS6detail17trampoline_kernelINS0_14default_configENS1_25partition_config_selectorILNS1_17partition_subalgoE6EsNS0_10empty_typeEbEEZZNS1_14partition_implILS5_6ELb0ES3_mN6thrust23THRUST_200600_302600_NS6detail15normal_iteratorINSA_10device_ptrIsEEEEPS6_SG_NS0_5tupleIJSF_S6_EEENSH_IJSG_SG_EEES6_PlJNSB_9not_fun_tI7is_trueIsEEEEEE10hipError_tPvRmT3_T4_T5_T6_T7_T9_mT8_P12ihipStream_tbDpT10_ENKUlT_T0_E_clISt17integral_constantIbLb1EES17_IbLb0EEEEDaS13_S14_EUlS13_E_NS1_11comp_targetILNS1_3genE2ELNS1_11target_archE906ELNS1_3gpuE6ELNS1_3repE0EEENS1_30default_config_static_selectorELNS0_4arch9wavefront6targetE0EEEvT1_,"axG",@progbits,_ZN7rocprim17ROCPRIM_400000_NS6detail17trampoline_kernelINS0_14default_configENS1_25partition_config_selectorILNS1_17partition_subalgoE6EsNS0_10empty_typeEbEEZZNS1_14partition_implILS5_6ELb0ES3_mN6thrust23THRUST_200600_302600_NS6detail15normal_iteratorINSA_10device_ptrIsEEEEPS6_SG_NS0_5tupleIJSF_S6_EEENSH_IJSG_SG_EEES6_PlJNSB_9not_fun_tI7is_trueIsEEEEEE10hipError_tPvRmT3_T4_T5_T6_T7_T9_mT8_P12ihipStream_tbDpT10_ENKUlT_T0_E_clISt17integral_constantIbLb1EES17_IbLb0EEEEDaS13_S14_EUlS13_E_NS1_11comp_targetILNS1_3genE2ELNS1_11target_archE906ELNS1_3gpuE6ELNS1_3repE0EEENS1_30default_config_static_selectorELNS0_4arch9wavefront6targetE0EEEvT1_,comdat
	.protected	_ZN7rocprim17ROCPRIM_400000_NS6detail17trampoline_kernelINS0_14default_configENS1_25partition_config_selectorILNS1_17partition_subalgoE6EsNS0_10empty_typeEbEEZZNS1_14partition_implILS5_6ELb0ES3_mN6thrust23THRUST_200600_302600_NS6detail15normal_iteratorINSA_10device_ptrIsEEEEPS6_SG_NS0_5tupleIJSF_S6_EEENSH_IJSG_SG_EEES6_PlJNSB_9not_fun_tI7is_trueIsEEEEEE10hipError_tPvRmT3_T4_T5_T6_T7_T9_mT8_P12ihipStream_tbDpT10_ENKUlT_T0_E_clISt17integral_constantIbLb1EES17_IbLb0EEEEDaS13_S14_EUlS13_E_NS1_11comp_targetILNS1_3genE2ELNS1_11target_archE906ELNS1_3gpuE6ELNS1_3repE0EEENS1_30default_config_static_selectorELNS0_4arch9wavefront6targetE0EEEvT1_ ; -- Begin function _ZN7rocprim17ROCPRIM_400000_NS6detail17trampoline_kernelINS0_14default_configENS1_25partition_config_selectorILNS1_17partition_subalgoE6EsNS0_10empty_typeEbEEZZNS1_14partition_implILS5_6ELb0ES3_mN6thrust23THRUST_200600_302600_NS6detail15normal_iteratorINSA_10device_ptrIsEEEEPS6_SG_NS0_5tupleIJSF_S6_EEENSH_IJSG_SG_EEES6_PlJNSB_9not_fun_tI7is_trueIsEEEEEE10hipError_tPvRmT3_T4_T5_T6_T7_T9_mT8_P12ihipStream_tbDpT10_ENKUlT_T0_E_clISt17integral_constantIbLb1EES17_IbLb0EEEEDaS13_S14_EUlS13_E_NS1_11comp_targetILNS1_3genE2ELNS1_11target_archE906ELNS1_3gpuE6ELNS1_3repE0EEENS1_30default_config_static_selectorELNS0_4arch9wavefront6targetE0EEEvT1_
	.globl	_ZN7rocprim17ROCPRIM_400000_NS6detail17trampoline_kernelINS0_14default_configENS1_25partition_config_selectorILNS1_17partition_subalgoE6EsNS0_10empty_typeEbEEZZNS1_14partition_implILS5_6ELb0ES3_mN6thrust23THRUST_200600_302600_NS6detail15normal_iteratorINSA_10device_ptrIsEEEEPS6_SG_NS0_5tupleIJSF_S6_EEENSH_IJSG_SG_EEES6_PlJNSB_9not_fun_tI7is_trueIsEEEEEE10hipError_tPvRmT3_T4_T5_T6_T7_T9_mT8_P12ihipStream_tbDpT10_ENKUlT_T0_E_clISt17integral_constantIbLb1EES17_IbLb0EEEEDaS13_S14_EUlS13_E_NS1_11comp_targetILNS1_3genE2ELNS1_11target_archE906ELNS1_3gpuE6ELNS1_3repE0EEENS1_30default_config_static_selectorELNS0_4arch9wavefront6targetE0EEEvT1_
	.p2align	8
	.type	_ZN7rocprim17ROCPRIM_400000_NS6detail17trampoline_kernelINS0_14default_configENS1_25partition_config_selectorILNS1_17partition_subalgoE6EsNS0_10empty_typeEbEEZZNS1_14partition_implILS5_6ELb0ES3_mN6thrust23THRUST_200600_302600_NS6detail15normal_iteratorINSA_10device_ptrIsEEEEPS6_SG_NS0_5tupleIJSF_S6_EEENSH_IJSG_SG_EEES6_PlJNSB_9not_fun_tI7is_trueIsEEEEEE10hipError_tPvRmT3_T4_T5_T6_T7_T9_mT8_P12ihipStream_tbDpT10_ENKUlT_T0_E_clISt17integral_constantIbLb1EES17_IbLb0EEEEDaS13_S14_EUlS13_E_NS1_11comp_targetILNS1_3genE2ELNS1_11target_archE906ELNS1_3gpuE6ELNS1_3repE0EEENS1_30default_config_static_selectorELNS0_4arch9wavefront6targetE0EEEvT1_,@function
_ZN7rocprim17ROCPRIM_400000_NS6detail17trampoline_kernelINS0_14default_configENS1_25partition_config_selectorILNS1_17partition_subalgoE6EsNS0_10empty_typeEbEEZZNS1_14partition_implILS5_6ELb0ES3_mN6thrust23THRUST_200600_302600_NS6detail15normal_iteratorINSA_10device_ptrIsEEEEPS6_SG_NS0_5tupleIJSF_S6_EEENSH_IJSG_SG_EEES6_PlJNSB_9not_fun_tI7is_trueIsEEEEEE10hipError_tPvRmT3_T4_T5_T6_T7_T9_mT8_P12ihipStream_tbDpT10_ENKUlT_T0_E_clISt17integral_constantIbLb1EES17_IbLb0EEEEDaS13_S14_EUlS13_E_NS1_11comp_targetILNS1_3genE2ELNS1_11target_archE906ELNS1_3gpuE6ELNS1_3repE0EEENS1_30default_config_static_selectorELNS0_4arch9wavefront6targetE0EEEvT1_: ; @_ZN7rocprim17ROCPRIM_400000_NS6detail17trampoline_kernelINS0_14default_configENS1_25partition_config_selectorILNS1_17partition_subalgoE6EsNS0_10empty_typeEbEEZZNS1_14partition_implILS5_6ELb0ES3_mN6thrust23THRUST_200600_302600_NS6detail15normal_iteratorINSA_10device_ptrIsEEEEPS6_SG_NS0_5tupleIJSF_S6_EEENSH_IJSG_SG_EEES6_PlJNSB_9not_fun_tI7is_trueIsEEEEEE10hipError_tPvRmT3_T4_T5_T6_T7_T9_mT8_P12ihipStream_tbDpT10_ENKUlT_T0_E_clISt17integral_constantIbLb1EES17_IbLb0EEEEDaS13_S14_EUlS13_E_NS1_11comp_targetILNS1_3genE2ELNS1_11target_archE906ELNS1_3gpuE6ELNS1_3repE0EEENS1_30default_config_static_selectorELNS0_4arch9wavefront6targetE0EEEvT1_
; %bb.0:
	.section	.rodata,"a",@progbits
	.p2align	6, 0x0
	.amdhsa_kernel _ZN7rocprim17ROCPRIM_400000_NS6detail17trampoline_kernelINS0_14default_configENS1_25partition_config_selectorILNS1_17partition_subalgoE6EsNS0_10empty_typeEbEEZZNS1_14partition_implILS5_6ELb0ES3_mN6thrust23THRUST_200600_302600_NS6detail15normal_iteratorINSA_10device_ptrIsEEEEPS6_SG_NS0_5tupleIJSF_S6_EEENSH_IJSG_SG_EEES6_PlJNSB_9not_fun_tI7is_trueIsEEEEEE10hipError_tPvRmT3_T4_T5_T6_T7_T9_mT8_P12ihipStream_tbDpT10_ENKUlT_T0_E_clISt17integral_constantIbLb1EES17_IbLb0EEEEDaS13_S14_EUlS13_E_NS1_11comp_targetILNS1_3genE2ELNS1_11target_archE906ELNS1_3gpuE6ELNS1_3repE0EEENS1_30default_config_static_selectorELNS0_4arch9wavefront6targetE0EEEvT1_
		.amdhsa_group_segment_fixed_size 0
		.amdhsa_private_segment_fixed_size 0
		.amdhsa_kernarg_size 112
		.amdhsa_user_sgpr_count 2
		.amdhsa_user_sgpr_dispatch_ptr 0
		.amdhsa_user_sgpr_queue_ptr 0
		.amdhsa_user_sgpr_kernarg_segment_ptr 1
		.amdhsa_user_sgpr_dispatch_id 0
		.amdhsa_user_sgpr_private_segment_size 0
		.amdhsa_wavefront_size32 1
		.amdhsa_uses_dynamic_stack 0
		.amdhsa_enable_private_segment 0
		.amdhsa_system_sgpr_workgroup_id_x 1
		.amdhsa_system_sgpr_workgroup_id_y 0
		.amdhsa_system_sgpr_workgroup_id_z 0
		.amdhsa_system_sgpr_workgroup_info 0
		.amdhsa_system_vgpr_workitem_id 0
		.amdhsa_next_free_vgpr 1
		.amdhsa_next_free_sgpr 1
		.amdhsa_reserve_vcc 0
		.amdhsa_float_round_mode_32 0
		.amdhsa_float_round_mode_16_64 0
		.amdhsa_float_denorm_mode_32 3
		.amdhsa_float_denorm_mode_16_64 3
		.amdhsa_fp16_overflow 0
		.amdhsa_workgroup_processor_mode 1
		.amdhsa_memory_ordered 1
		.amdhsa_forward_progress 1
		.amdhsa_inst_pref_size 0
		.amdhsa_round_robin_scheduling 0
		.amdhsa_exception_fp_ieee_invalid_op 0
		.amdhsa_exception_fp_denorm_src 0
		.amdhsa_exception_fp_ieee_div_zero 0
		.amdhsa_exception_fp_ieee_overflow 0
		.amdhsa_exception_fp_ieee_underflow 0
		.amdhsa_exception_fp_ieee_inexact 0
		.amdhsa_exception_int_div_zero 0
	.end_amdhsa_kernel
	.section	.text._ZN7rocprim17ROCPRIM_400000_NS6detail17trampoline_kernelINS0_14default_configENS1_25partition_config_selectorILNS1_17partition_subalgoE6EsNS0_10empty_typeEbEEZZNS1_14partition_implILS5_6ELb0ES3_mN6thrust23THRUST_200600_302600_NS6detail15normal_iteratorINSA_10device_ptrIsEEEEPS6_SG_NS0_5tupleIJSF_S6_EEENSH_IJSG_SG_EEES6_PlJNSB_9not_fun_tI7is_trueIsEEEEEE10hipError_tPvRmT3_T4_T5_T6_T7_T9_mT8_P12ihipStream_tbDpT10_ENKUlT_T0_E_clISt17integral_constantIbLb1EES17_IbLb0EEEEDaS13_S14_EUlS13_E_NS1_11comp_targetILNS1_3genE2ELNS1_11target_archE906ELNS1_3gpuE6ELNS1_3repE0EEENS1_30default_config_static_selectorELNS0_4arch9wavefront6targetE0EEEvT1_,"axG",@progbits,_ZN7rocprim17ROCPRIM_400000_NS6detail17trampoline_kernelINS0_14default_configENS1_25partition_config_selectorILNS1_17partition_subalgoE6EsNS0_10empty_typeEbEEZZNS1_14partition_implILS5_6ELb0ES3_mN6thrust23THRUST_200600_302600_NS6detail15normal_iteratorINSA_10device_ptrIsEEEEPS6_SG_NS0_5tupleIJSF_S6_EEENSH_IJSG_SG_EEES6_PlJNSB_9not_fun_tI7is_trueIsEEEEEE10hipError_tPvRmT3_T4_T5_T6_T7_T9_mT8_P12ihipStream_tbDpT10_ENKUlT_T0_E_clISt17integral_constantIbLb1EES17_IbLb0EEEEDaS13_S14_EUlS13_E_NS1_11comp_targetILNS1_3genE2ELNS1_11target_archE906ELNS1_3gpuE6ELNS1_3repE0EEENS1_30default_config_static_selectorELNS0_4arch9wavefront6targetE0EEEvT1_,comdat
.Lfunc_end1289:
	.size	_ZN7rocprim17ROCPRIM_400000_NS6detail17trampoline_kernelINS0_14default_configENS1_25partition_config_selectorILNS1_17partition_subalgoE6EsNS0_10empty_typeEbEEZZNS1_14partition_implILS5_6ELb0ES3_mN6thrust23THRUST_200600_302600_NS6detail15normal_iteratorINSA_10device_ptrIsEEEEPS6_SG_NS0_5tupleIJSF_S6_EEENSH_IJSG_SG_EEES6_PlJNSB_9not_fun_tI7is_trueIsEEEEEE10hipError_tPvRmT3_T4_T5_T6_T7_T9_mT8_P12ihipStream_tbDpT10_ENKUlT_T0_E_clISt17integral_constantIbLb1EES17_IbLb0EEEEDaS13_S14_EUlS13_E_NS1_11comp_targetILNS1_3genE2ELNS1_11target_archE906ELNS1_3gpuE6ELNS1_3repE0EEENS1_30default_config_static_selectorELNS0_4arch9wavefront6targetE0EEEvT1_, .Lfunc_end1289-_ZN7rocprim17ROCPRIM_400000_NS6detail17trampoline_kernelINS0_14default_configENS1_25partition_config_selectorILNS1_17partition_subalgoE6EsNS0_10empty_typeEbEEZZNS1_14partition_implILS5_6ELb0ES3_mN6thrust23THRUST_200600_302600_NS6detail15normal_iteratorINSA_10device_ptrIsEEEEPS6_SG_NS0_5tupleIJSF_S6_EEENSH_IJSG_SG_EEES6_PlJNSB_9not_fun_tI7is_trueIsEEEEEE10hipError_tPvRmT3_T4_T5_T6_T7_T9_mT8_P12ihipStream_tbDpT10_ENKUlT_T0_E_clISt17integral_constantIbLb1EES17_IbLb0EEEEDaS13_S14_EUlS13_E_NS1_11comp_targetILNS1_3genE2ELNS1_11target_archE906ELNS1_3gpuE6ELNS1_3repE0EEENS1_30default_config_static_selectorELNS0_4arch9wavefront6targetE0EEEvT1_
                                        ; -- End function
	.set _ZN7rocprim17ROCPRIM_400000_NS6detail17trampoline_kernelINS0_14default_configENS1_25partition_config_selectorILNS1_17partition_subalgoE6EsNS0_10empty_typeEbEEZZNS1_14partition_implILS5_6ELb0ES3_mN6thrust23THRUST_200600_302600_NS6detail15normal_iteratorINSA_10device_ptrIsEEEEPS6_SG_NS0_5tupleIJSF_S6_EEENSH_IJSG_SG_EEES6_PlJNSB_9not_fun_tI7is_trueIsEEEEEE10hipError_tPvRmT3_T4_T5_T6_T7_T9_mT8_P12ihipStream_tbDpT10_ENKUlT_T0_E_clISt17integral_constantIbLb1EES17_IbLb0EEEEDaS13_S14_EUlS13_E_NS1_11comp_targetILNS1_3genE2ELNS1_11target_archE906ELNS1_3gpuE6ELNS1_3repE0EEENS1_30default_config_static_selectorELNS0_4arch9wavefront6targetE0EEEvT1_.num_vgpr, 0
	.set _ZN7rocprim17ROCPRIM_400000_NS6detail17trampoline_kernelINS0_14default_configENS1_25partition_config_selectorILNS1_17partition_subalgoE6EsNS0_10empty_typeEbEEZZNS1_14partition_implILS5_6ELb0ES3_mN6thrust23THRUST_200600_302600_NS6detail15normal_iteratorINSA_10device_ptrIsEEEEPS6_SG_NS0_5tupleIJSF_S6_EEENSH_IJSG_SG_EEES6_PlJNSB_9not_fun_tI7is_trueIsEEEEEE10hipError_tPvRmT3_T4_T5_T6_T7_T9_mT8_P12ihipStream_tbDpT10_ENKUlT_T0_E_clISt17integral_constantIbLb1EES17_IbLb0EEEEDaS13_S14_EUlS13_E_NS1_11comp_targetILNS1_3genE2ELNS1_11target_archE906ELNS1_3gpuE6ELNS1_3repE0EEENS1_30default_config_static_selectorELNS0_4arch9wavefront6targetE0EEEvT1_.num_agpr, 0
	.set _ZN7rocprim17ROCPRIM_400000_NS6detail17trampoline_kernelINS0_14default_configENS1_25partition_config_selectorILNS1_17partition_subalgoE6EsNS0_10empty_typeEbEEZZNS1_14partition_implILS5_6ELb0ES3_mN6thrust23THRUST_200600_302600_NS6detail15normal_iteratorINSA_10device_ptrIsEEEEPS6_SG_NS0_5tupleIJSF_S6_EEENSH_IJSG_SG_EEES6_PlJNSB_9not_fun_tI7is_trueIsEEEEEE10hipError_tPvRmT3_T4_T5_T6_T7_T9_mT8_P12ihipStream_tbDpT10_ENKUlT_T0_E_clISt17integral_constantIbLb1EES17_IbLb0EEEEDaS13_S14_EUlS13_E_NS1_11comp_targetILNS1_3genE2ELNS1_11target_archE906ELNS1_3gpuE6ELNS1_3repE0EEENS1_30default_config_static_selectorELNS0_4arch9wavefront6targetE0EEEvT1_.numbered_sgpr, 0
	.set _ZN7rocprim17ROCPRIM_400000_NS6detail17trampoline_kernelINS0_14default_configENS1_25partition_config_selectorILNS1_17partition_subalgoE6EsNS0_10empty_typeEbEEZZNS1_14partition_implILS5_6ELb0ES3_mN6thrust23THRUST_200600_302600_NS6detail15normal_iteratorINSA_10device_ptrIsEEEEPS6_SG_NS0_5tupleIJSF_S6_EEENSH_IJSG_SG_EEES6_PlJNSB_9not_fun_tI7is_trueIsEEEEEE10hipError_tPvRmT3_T4_T5_T6_T7_T9_mT8_P12ihipStream_tbDpT10_ENKUlT_T0_E_clISt17integral_constantIbLb1EES17_IbLb0EEEEDaS13_S14_EUlS13_E_NS1_11comp_targetILNS1_3genE2ELNS1_11target_archE906ELNS1_3gpuE6ELNS1_3repE0EEENS1_30default_config_static_selectorELNS0_4arch9wavefront6targetE0EEEvT1_.num_named_barrier, 0
	.set _ZN7rocprim17ROCPRIM_400000_NS6detail17trampoline_kernelINS0_14default_configENS1_25partition_config_selectorILNS1_17partition_subalgoE6EsNS0_10empty_typeEbEEZZNS1_14partition_implILS5_6ELb0ES3_mN6thrust23THRUST_200600_302600_NS6detail15normal_iteratorINSA_10device_ptrIsEEEEPS6_SG_NS0_5tupleIJSF_S6_EEENSH_IJSG_SG_EEES6_PlJNSB_9not_fun_tI7is_trueIsEEEEEE10hipError_tPvRmT3_T4_T5_T6_T7_T9_mT8_P12ihipStream_tbDpT10_ENKUlT_T0_E_clISt17integral_constantIbLb1EES17_IbLb0EEEEDaS13_S14_EUlS13_E_NS1_11comp_targetILNS1_3genE2ELNS1_11target_archE906ELNS1_3gpuE6ELNS1_3repE0EEENS1_30default_config_static_selectorELNS0_4arch9wavefront6targetE0EEEvT1_.private_seg_size, 0
	.set _ZN7rocprim17ROCPRIM_400000_NS6detail17trampoline_kernelINS0_14default_configENS1_25partition_config_selectorILNS1_17partition_subalgoE6EsNS0_10empty_typeEbEEZZNS1_14partition_implILS5_6ELb0ES3_mN6thrust23THRUST_200600_302600_NS6detail15normal_iteratorINSA_10device_ptrIsEEEEPS6_SG_NS0_5tupleIJSF_S6_EEENSH_IJSG_SG_EEES6_PlJNSB_9not_fun_tI7is_trueIsEEEEEE10hipError_tPvRmT3_T4_T5_T6_T7_T9_mT8_P12ihipStream_tbDpT10_ENKUlT_T0_E_clISt17integral_constantIbLb1EES17_IbLb0EEEEDaS13_S14_EUlS13_E_NS1_11comp_targetILNS1_3genE2ELNS1_11target_archE906ELNS1_3gpuE6ELNS1_3repE0EEENS1_30default_config_static_selectorELNS0_4arch9wavefront6targetE0EEEvT1_.uses_vcc, 0
	.set _ZN7rocprim17ROCPRIM_400000_NS6detail17trampoline_kernelINS0_14default_configENS1_25partition_config_selectorILNS1_17partition_subalgoE6EsNS0_10empty_typeEbEEZZNS1_14partition_implILS5_6ELb0ES3_mN6thrust23THRUST_200600_302600_NS6detail15normal_iteratorINSA_10device_ptrIsEEEEPS6_SG_NS0_5tupleIJSF_S6_EEENSH_IJSG_SG_EEES6_PlJNSB_9not_fun_tI7is_trueIsEEEEEE10hipError_tPvRmT3_T4_T5_T6_T7_T9_mT8_P12ihipStream_tbDpT10_ENKUlT_T0_E_clISt17integral_constantIbLb1EES17_IbLb0EEEEDaS13_S14_EUlS13_E_NS1_11comp_targetILNS1_3genE2ELNS1_11target_archE906ELNS1_3gpuE6ELNS1_3repE0EEENS1_30default_config_static_selectorELNS0_4arch9wavefront6targetE0EEEvT1_.uses_flat_scratch, 0
	.set _ZN7rocprim17ROCPRIM_400000_NS6detail17trampoline_kernelINS0_14default_configENS1_25partition_config_selectorILNS1_17partition_subalgoE6EsNS0_10empty_typeEbEEZZNS1_14partition_implILS5_6ELb0ES3_mN6thrust23THRUST_200600_302600_NS6detail15normal_iteratorINSA_10device_ptrIsEEEEPS6_SG_NS0_5tupleIJSF_S6_EEENSH_IJSG_SG_EEES6_PlJNSB_9not_fun_tI7is_trueIsEEEEEE10hipError_tPvRmT3_T4_T5_T6_T7_T9_mT8_P12ihipStream_tbDpT10_ENKUlT_T0_E_clISt17integral_constantIbLb1EES17_IbLb0EEEEDaS13_S14_EUlS13_E_NS1_11comp_targetILNS1_3genE2ELNS1_11target_archE906ELNS1_3gpuE6ELNS1_3repE0EEENS1_30default_config_static_selectorELNS0_4arch9wavefront6targetE0EEEvT1_.has_dyn_sized_stack, 0
	.set _ZN7rocprim17ROCPRIM_400000_NS6detail17trampoline_kernelINS0_14default_configENS1_25partition_config_selectorILNS1_17partition_subalgoE6EsNS0_10empty_typeEbEEZZNS1_14partition_implILS5_6ELb0ES3_mN6thrust23THRUST_200600_302600_NS6detail15normal_iteratorINSA_10device_ptrIsEEEEPS6_SG_NS0_5tupleIJSF_S6_EEENSH_IJSG_SG_EEES6_PlJNSB_9not_fun_tI7is_trueIsEEEEEE10hipError_tPvRmT3_T4_T5_T6_T7_T9_mT8_P12ihipStream_tbDpT10_ENKUlT_T0_E_clISt17integral_constantIbLb1EES17_IbLb0EEEEDaS13_S14_EUlS13_E_NS1_11comp_targetILNS1_3genE2ELNS1_11target_archE906ELNS1_3gpuE6ELNS1_3repE0EEENS1_30default_config_static_selectorELNS0_4arch9wavefront6targetE0EEEvT1_.has_recursion, 0
	.set _ZN7rocprim17ROCPRIM_400000_NS6detail17trampoline_kernelINS0_14default_configENS1_25partition_config_selectorILNS1_17partition_subalgoE6EsNS0_10empty_typeEbEEZZNS1_14partition_implILS5_6ELb0ES3_mN6thrust23THRUST_200600_302600_NS6detail15normal_iteratorINSA_10device_ptrIsEEEEPS6_SG_NS0_5tupleIJSF_S6_EEENSH_IJSG_SG_EEES6_PlJNSB_9not_fun_tI7is_trueIsEEEEEE10hipError_tPvRmT3_T4_T5_T6_T7_T9_mT8_P12ihipStream_tbDpT10_ENKUlT_T0_E_clISt17integral_constantIbLb1EES17_IbLb0EEEEDaS13_S14_EUlS13_E_NS1_11comp_targetILNS1_3genE2ELNS1_11target_archE906ELNS1_3gpuE6ELNS1_3repE0EEENS1_30default_config_static_selectorELNS0_4arch9wavefront6targetE0EEEvT1_.has_indirect_call, 0
	.section	.AMDGPU.csdata,"",@progbits
; Kernel info:
; codeLenInByte = 0
; TotalNumSgprs: 0
; NumVgprs: 0
; ScratchSize: 0
; MemoryBound: 0
; FloatMode: 240
; IeeeMode: 1
; LDSByteSize: 0 bytes/workgroup (compile time only)
; SGPRBlocks: 0
; VGPRBlocks: 0
; NumSGPRsForWavesPerEU: 1
; NumVGPRsForWavesPerEU: 1
; Occupancy: 16
; WaveLimiterHint : 0
; COMPUTE_PGM_RSRC2:SCRATCH_EN: 0
; COMPUTE_PGM_RSRC2:USER_SGPR: 2
; COMPUTE_PGM_RSRC2:TRAP_HANDLER: 0
; COMPUTE_PGM_RSRC2:TGID_X_EN: 1
; COMPUTE_PGM_RSRC2:TGID_Y_EN: 0
; COMPUTE_PGM_RSRC2:TGID_Z_EN: 0
; COMPUTE_PGM_RSRC2:TIDIG_COMP_CNT: 0
	.section	.text._ZN7rocprim17ROCPRIM_400000_NS6detail17trampoline_kernelINS0_14default_configENS1_25partition_config_selectorILNS1_17partition_subalgoE6EsNS0_10empty_typeEbEEZZNS1_14partition_implILS5_6ELb0ES3_mN6thrust23THRUST_200600_302600_NS6detail15normal_iteratorINSA_10device_ptrIsEEEEPS6_SG_NS0_5tupleIJSF_S6_EEENSH_IJSG_SG_EEES6_PlJNSB_9not_fun_tI7is_trueIsEEEEEE10hipError_tPvRmT3_T4_T5_T6_T7_T9_mT8_P12ihipStream_tbDpT10_ENKUlT_T0_E_clISt17integral_constantIbLb1EES17_IbLb0EEEEDaS13_S14_EUlS13_E_NS1_11comp_targetILNS1_3genE10ELNS1_11target_archE1200ELNS1_3gpuE4ELNS1_3repE0EEENS1_30default_config_static_selectorELNS0_4arch9wavefront6targetE0EEEvT1_,"axG",@progbits,_ZN7rocprim17ROCPRIM_400000_NS6detail17trampoline_kernelINS0_14default_configENS1_25partition_config_selectorILNS1_17partition_subalgoE6EsNS0_10empty_typeEbEEZZNS1_14partition_implILS5_6ELb0ES3_mN6thrust23THRUST_200600_302600_NS6detail15normal_iteratorINSA_10device_ptrIsEEEEPS6_SG_NS0_5tupleIJSF_S6_EEENSH_IJSG_SG_EEES6_PlJNSB_9not_fun_tI7is_trueIsEEEEEE10hipError_tPvRmT3_T4_T5_T6_T7_T9_mT8_P12ihipStream_tbDpT10_ENKUlT_T0_E_clISt17integral_constantIbLb1EES17_IbLb0EEEEDaS13_S14_EUlS13_E_NS1_11comp_targetILNS1_3genE10ELNS1_11target_archE1200ELNS1_3gpuE4ELNS1_3repE0EEENS1_30default_config_static_selectorELNS0_4arch9wavefront6targetE0EEEvT1_,comdat
	.protected	_ZN7rocprim17ROCPRIM_400000_NS6detail17trampoline_kernelINS0_14default_configENS1_25partition_config_selectorILNS1_17partition_subalgoE6EsNS0_10empty_typeEbEEZZNS1_14partition_implILS5_6ELb0ES3_mN6thrust23THRUST_200600_302600_NS6detail15normal_iteratorINSA_10device_ptrIsEEEEPS6_SG_NS0_5tupleIJSF_S6_EEENSH_IJSG_SG_EEES6_PlJNSB_9not_fun_tI7is_trueIsEEEEEE10hipError_tPvRmT3_T4_T5_T6_T7_T9_mT8_P12ihipStream_tbDpT10_ENKUlT_T0_E_clISt17integral_constantIbLb1EES17_IbLb0EEEEDaS13_S14_EUlS13_E_NS1_11comp_targetILNS1_3genE10ELNS1_11target_archE1200ELNS1_3gpuE4ELNS1_3repE0EEENS1_30default_config_static_selectorELNS0_4arch9wavefront6targetE0EEEvT1_ ; -- Begin function _ZN7rocprim17ROCPRIM_400000_NS6detail17trampoline_kernelINS0_14default_configENS1_25partition_config_selectorILNS1_17partition_subalgoE6EsNS0_10empty_typeEbEEZZNS1_14partition_implILS5_6ELb0ES3_mN6thrust23THRUST_200600_302600_NS6detail15normal_iteratorINSA_10device_ptrIsEEEEPS6_SG_NS0_5tupleIJSF_S6_EEENSH_IJSG_SG_EEES6_PlJNSB_9not_fun_tI7is_trueIsEEEEEE10hipError_tPvRmT3_T4_T5_T6_T7_T9_mT8_P12ihipStream_tbDpT10_ENKUlT_T0_E_clISt17integral_constantIbLb1EES17_IbLb0EEEEDaS13_S14_EUlS13_E_NS1_11comp_targetILNS1_3genE10ELNS1_11target_archE1200ELNS1_3gpuE4ELNS1_3repE0EEENS1_30default_config_static_selectorELNS0_4arch9wavefront6targetE0EEEvT1_
	.globl	_ZN7rocprim17ROCPRIM_400000_NS6detail17trampoline_kernelINS0_14default_configENS1_25partition_config_selectorILNS1_17partition_subalgoE6EsNS0_10empty_typeEbEEZZNS1_14partition_implILS5_6ELb0ES3_mN6thrust23THRUST_200600_302600_NS6detail15normal_iteratorINSA_10device_ptrIsEEEEPS6_SG_NS0_5tupleIJSF_S6_EEENSH_IJSG_SG_EEES6_PlJNSB_9not_fun_tI7is_trueIsEEEEEE10hipError_tPvRmT3_T4_T5_T6_T7_T9_mT8_P12ihipStream_tbDpT10_ENKUlT_T0_E_clISt17integral_constantIbLb1EES17_IbLb0EEEEDaS13_S14_EUlS13_E_NS1_11comp_targetILNS1_3genE10ELNS1_11target_archE1200ELNS1_3gpuE4ELNS1_3repE0EEENS1_30default_config_static_selectorELNS0_4arch9wavefront6targetE0EEEvT1_
	.p2align	8
	.type	_ZN7rocprim17ROCPRIM_400000_NS6detail17trampoline_kernelINS0_14default_configENS1_25partition_config_selectorILNS1_17partition_subalgoE6EsNS0_10empty_typeEbEEZZNS1_14partition_implILS5_6ELb0ES3_mN6thrust23THRUST_200600_302600_NS6detail15normal_iteratorINSA_10device_ptrIsEEEEPS6_SG_NS0_5tupleIJSF_S6_EEENSH_IJSG_SG_EEES6_PlJNSB_9not_fun_tI7is_trueIsEEEEEE10hipError_tPvRmT3_T4_T5_T6_T7_T9_mT8_P12ihipStream_tbDpT10_ENKUlT_T0_E_clISt17integral_constantIbLb1EES17_IbLb0EEEEDaS13_S14_EUlS13_E_NS1_11comp_targetILNS1_3genE10ELNS1_11target_archE1200ELNS1_3gpuE4ELNS1_3repE0EEENS1_30default_config_static_selectorELNS0_4arch9wavefront6targetE0EEEvT1_,@function
_ZN7rocprim17ROCPRIM_400000_NS6detail17trampoline_kernelINS0_14default_configENS1_25partition_config_selectorILNS1_17partition_subalgoE6EsNS0_10empty_typeEbEEZZNS1_14partition_implILS5_6ELb0ES3_mN6thrust23THRUST_200600_302600_NS6detail15normal_iteratorINSA_10device_ptrIsEEEEPS6_SG_NS0_5tupleIJSF_S6_EEENSH_IJSG_SG_EEES6_PlJNSB_9not_fun_tI7is_trueIsEEEEEE10hipError_tPvRmT3_T4_T5_T6_T7_T9_mT8_P12ihipStream_tbDpT10_ENKUlT_T0_E_clISt17integral_constantIbLb1EES17_IbLb0EEEEDaS13_S14_EUlS13_E_NS1_11comp_targetILNS1_3genE10ELNS1_11target_archE1200ELNS1_3gpuE4ELNS1_3repE0EEENS1_30default_config_static_selectorELNS0_4arch9wavefront6targetE0EEEvT1_: ; @_ZN7rocprim17ROCPRIM_400000_NS6detail17trampoline_kernelINS0_14default_configENS1_25partition_config_selectorILNS1_17partition_subalgoE6EsNS0_10empty_typeEbEEZZNS1_14partition_implILS5_6ELb0ES3_mN6thrust23THRUST_200600_302600_NS6detail15normal_iteratorINSA_10device_ptrIsEEEEPS6_SG_NS0_5tupleIJSF_S6_EEENSH_IJSG_SG_EEES6_PlJNSB_9not_fun_tI7is_trueIsEEEEEE10hipError_tPvRmT3_T4_T5_T6_T7_T9_mT8_P12ihipStream_tbDpT10_ENKUlT_T0_E_clISt17integral_constantIbLb1EES17_IbLb0EEEEDaS13_S14_EUlS13_E_NS1_11comp_targetILNS1_3genE10ELNS1_11target_archE1200ELNS1_3gpuE4ELNS1_3repE0EEENS1_30default_config_static_selectorELNS0_4arch9wavefront6targetE0EEEvT1_
; %bb.0:
	s_endpgm
	.section	.rodata,"a",@progbits
	.p2align	6, 0x0
	.amdhsa_kernel _ZN7rocprim17ROCPRIM_400000_NS6detail17trampoline_kernelINS0_14default_configENS1_25partition_config_selectorILNS1_17partition_subalgoE6EsNS0_10empty_typeEbEEZZNS1_14partition_implILS5_6ELb0ES3_mN6thrust23THRUST_200600_302600_NS6detail15normal_iteratorINSA_10device_ptrIsEEEEPS6_SG_NS0_5tupleIJSF_S6_EEENSH_IJSG_SG_EEES6_PlJNSB_9not_fun_tI7is_trueIsEEEEEE10hipError_tPvRmT3_T4_T5_T6_T7_T9_mT8_P12ihipStream_tbDpT10_ENKUlT_T0_E_clISt17integral_constantIbLb1EES17_IbLb0EEEEDaS13_S14_EUlS13_E_NS1_11comp_targetILNS1_3genE10ELNS1_11target_archE1200ELNS1_3gpuE4ELNS1_3repE0EEENS1_30default_config_static_selectorELNS0_4arch9wavefront6targetE0EEEvT1_
		.amdhsa_group_segment_fixed_size 0
		.amdhsa_private_segment_fixed_size 0
		.amdhsa_kernarg_size 112
		.amdhsa_user_sgpr_count 2
		.amdhsa_user_sgpr_dispatch_ptr 0
		.amdhsa_user_sgpr_queue_ptr 0
		.amdhsa_user_sgpr_kernarg_segment_ptr 1
		.amdhsa_user_sgpr_dispatch_id 0
		.amdhsa_user_sgpr_private_segment_size 0
		.amdhsa_wavefront_size32 1
		.amdhsa_uses_dynamic_stack 0
		.amdhsa_enable_private_segment 0
		.amdhsa_system_sgpr_workgroup_id_x 1
		.amdhsa_system_sgpr_workgroup_id_y 0
		.amdhsa_system_sgpr_workgroup_id_z 0
		.amdhsa_system_sgpr_workgroup_info 0
		.amdhsa_system_vgpr_workitem_id 0
		.amdhsa_next_free_vgpr 1
		.amdhsa_next_free_sgpr 1
		.amdhsa_reserve_vcc 0
		.amdhsa_float_round_mode_32 0
		.amdhsa_float_round_mode_16_64 0
		.amdhsa_float_denorm_mode_32 3
		.amdhsa_float_denorm_mode_16_64 3
		.amdhsa_fp16_overflow 0
		.amdhsa_workgroup_processor_mode 1
		.amdhsa_memory_ordered 1
		.amdhsa_forward_progress 1
		.amdhsa_inst_pref_size 1
		.amdhsa_round_robin_scheduling 0
		.amdhsa_exception_fp_ieee_invalid_op 0
		.amdhsa_exception_fp_denorm_src 0
		.amdhsa_exception_fp_ieee_div_zero 0
		.amdhsa_exception_fp_ieee_overflow 0
		.amdhsa_exception_fp_ieee_underflow 0
		.amdhsa_exception_fp_ieee_inexact 0
		.amdhsa_exception_int_div_zero 0
	.end_amdhsa_kernel
	.section	.text._ZN7rocprim17ROCPRIM_400000_NS6detail17trampoline_kernelINS0_14default_configENS1_25partition_config_selectorILNS1_17partition_subalgoE6EsNS0_10empty_typeEbEEZZNS1_14partition_implILS5_6ELb0ES3_mN6thrust23THRUST_200600_302600_NS6detail15normal_iteratorINSA_10device_ptrIsEEEEPS6_SG_NS0_5tupleIJSF_S6_EEENSH_IJSG_SG_EEES6_PlJNSB_9not_fun_tI7is_trueIsEEEEEE10hipError_tPvRmT3_T4_T5_T6_T7_T9_mT8_P12ihipStream_tbDpT10_ENKUlT_T0_E_clISt17integral_constantIbLb1EES17_IbLb0EEEEDaS13_S14_EUlS13_E_NS1_11comp_targetILNS1_3genE10ELNS1_11target_archE1200ELNS1_3gpuE4ELNS1_3repE0EEENS1_30default_config_static_selectorELNS0_4arch9wavefront6targetE0EEEvT1_,"axG",@progbits,_ZN7rocprim17ROCPRIM_400000_NS6detail17trampoline_kernelINS0_14default_configENS1_25partition_config_selectorILNS1_17partition_subalgoE6EsNS0_10empty_typeEbEEZZNS1_14partition_implILS5_6ELb0ES3_mN6thrust23THRUST_200600_302600_NS6detail15normal_iteratorINSA_10device_ptrIsEEEEPS6_SG_NS0_5tupleIJSF_S6_EEENSH_IJSG_SG_EEES6_PlJNSB_9not_fun_tI7is_trueIsEEEEEE10hipError_tPvRmT3_T4_T5_T6_T7_T9_mT8_P12ihipStream_tbDpT10_ENKUlT_T0_E_clISt17integral_constantIbLb1EES17_IbLb0EEEEDaS13_S14_EUlS13_E_NS1_11comp_targetILNS1_3genE10ELNS1_11target_archE1200ELNS1_3gpuE4ELNS1_3repE0EEENS1_30default_config_static_selectorELNS0_4arch9wavefront6targetE0EEEvT1_,comdat
.Lfunc_end1290:
	.size	_ZN7rocprim17ROCPRIM_400000_NS6detail17trampoline_kernelINS0_14default_configENS1_25partition_config_selectorILNS1_17partition_subalgoE6EsNS0_10empty_typeEbEEZZNS1_14partition_implILS5_6ELb0ES3_mN6thrust23THRUST_200600_302600_NS6detail15normal_iteratorINSA_10device_ptrIsEEEEPS6_SG_NS0_5tupleIJSF_S6_EEENSH_IJSG_SG_EEES6_PlJNSB_9not_fun_tI7is_trueIsEEEEEE10hipError_tPvRmT3_T4_T5_T6_T7_T9_mT8_P12ihipStream_tbDpT10_ENKUlT_T0_E_clISt17integral_constantIbLb1EES17_IbLb0EEEEDaS13_S14_EUlS13_E_NS1_11comp_targetILNS1_3genE10ELNS1_11target_archE1200ELNS1_3gpuE4ELNS1_3repE0EEENS1_30default_config_static_selectorELNS0_4arch9wavefront6targetE0EEEvT1_, .Lfunc_end1290-_ZN7rocprim17ROCPRIM_400000_NS6detail17trampoline_kernelINS0_14default_configENS1_25partition_config_selectorILNS1_17partition_subalgoE6EsNS0_10empty_typeEbEEZZNS1_14partition_implILS5_6ELb0ES3_mN6thrust23THRUST_200600_302600_NS6detail15normal_iteratorINSA_10device_ptrIsEEEEPS6_SG_NS0_5tupleIJSF_S6_EEENSH_IJSG_SG_EEES6_PlJNSB_9not_fun_tI7is_trueIsEEEEEE10hipError_tPvRmT3_T4_T5_T6_T7_T9_mT8_P12ihipStream_tbDpT10_ENKUlT_T0_E_clISt17integral_constantIbLb1EES17_IbLb0EEEEDaS13_S14_EUlS13_E_NS1_11comp_targetILNS1_3genE10ELNS1_11target_archE1200ELNS1_3gpuE4ELNS1_3repE0EEENS1_30default_config_static_selectorELNS0_4arch9wavefront6targetE0EEEvT1_
                                        ; -- End function
	.set _ZN7rocprim17ROCPRIM_400000_NS6detail17trampoline_kernelINS0_14default_configENS1_25partition_config_selectorILNS1_17partition_subalgoE6EsNS0_10empty_typeEbEEZZNS1_14partition_implILS5_6ELb0ES3_mN6thrust23THRUST_200600_302600_NS6detail15normal_iteratorINSA_10device_ptrIsEEEEPS6_SG_NS0_5tupleIJSF_S6_EEENSH_IJSG_SG_EEES6_PlJNSB_9not_fun_tI7is_trueIsEEEEEE10hipError_tPvRmT3_T4_T5_T6_T7_T9_mT8_P12ihipStream_tbDpT10_ENKUlT_T0_E_clISt17integral_constantIbLb1EES17_IbLb0EEEEDaS13_S14_EUlS13_E_NS1_11comp_targetILNS1_3genE10ELNS1_11target_archE1200ELNS1_3gpuE4ELNS1_3repE0EEENS1_30default_config_static_selectorELNS0_4arch9wavefront6targetE0EEEvT1_.num_vgpr, 0
	.set _ZN7rocprim17ROCPRIM_400000_NS6detail17trampoline_kernelINS0_14default_configENS1_25partition_config_selectorILNS1_17partition_subalgoE6EsNS0_10empty_typeEbEEZZNS1_14partition_implILS5_6ELb0ES3_mN6thrust23THRUST_200600_302600_NS6detail15normal_iteratorINSA_10device_ptrIsEEEEPS6_SG_NS0_5tupleIJSF_S6_EEENSH_IJSG_SG_EEES6_PlJNSB_9not_fun_tI7is_trueIsEEEEEE10hipError_tPvRmT3_T4_T5_T6_T7_T9_mT8_P12ihipStream_tbDpT10_ENKUlT_T0_E_clISt17integral_constantIbLb1EES17_IbLb0EEEEDaS13_S14_EUlS13_E_NS1_11comp_targetILNS1_3genE10ELNS1_11target_archE1200ELNS1_3gpuE4ELNS1_3repE0EEENS1_30default_config_static_selectorELNS0_4arch9wavefront6targetE0EEEvT1_.num_agpr, 0
	.set _ZN7rocprim17ROCPRIM_400000_NS6detail17trampoline_kernelINS0_14default_configENS1_25partition_config_selectorILNS1_17partition_subalgoE6EsNS0_10empty_typeEbEEZZNS1_14partition_implILS5_6ELb0ES3_mN6thrust23THRUST_200600_302600_NS6detail15normal_iteratorINSA_10device_ptrIsEEEEPS6_SG_NS0_5tupleIJSF_S6_EEENSH_IJSG_SG_EEES6_PlJNSB_9not_fun_tI7is_trueIsEEEEEE10hipError_tPvRmT3_T4_T5_T6_T7_T9_mT8_P12ihipStream_tbDpT10_ENKUlT_T0_E_clISt17integral_constantIbLb1EES17_IbLb0EEEEDaS13_S14_EUlS13_E_NS1_11comp_targetILNS1_3genE10ELNS1_11target_archE1200ELNS1_3gpuE4ELNS1_3repE0EEENS1_30default_config_static_selectorELNS0_4arch9wavefront6targetE0EEEvT1_.numbered_sgpr, 0
	.set _ZN7rocprim17ROCPRIM_400000_NS6detail17trampoline_kernelINS0_14default_configENS1_25partition_config_selectorILNS1_17partition_subalgoE6EsNS0_10empty_typeEbEEZZNS1_14partition_implILS5_6ELb0ES3_mN6thrust23THRUST_200600_302600_NS6detail15normal_iteratorINSA_10device_ptrIsEEEEPS6_SG_NS0_5tupleIJSF_S6_EEENSH_IJSG_SG_EEES6_PlJNSB_9not_fun_tI7is_trueIsEEEEEE10hipError_tPvRmT3_T4_T5_T6_T7_T9_mT8_P12ihipStream_tbDpT10_ENKUlT_T0_E_clISt17integral_constantIbLb1EES17_IbLb0EEEEDaS13_S14_EUlS13_E_NS1_11comp_targetILNS1_3genE10ELNS1_11target_archE1200ELNS1_3gpuE4ELNS1_3repE0EEENS1_30default_config_static_selectorELNS0_4arch9wavefront6targetE0EEEvT1_.num_named_barrier, 0
	.set _ZN7rocprim17ROCPRIM_400000_NS6detail17trampoline_kernelINS0_14default_configENS1_25partition_config_selectorILNS1_17partition_subalgoE6EsNS0_10empty_typeEbEEZZNS1_14partition_implILS5_6ELb0ES3_mN6thrust23THRUST_200600_302600_NS6detail15normal_iteratorINSA_10device_ptrIsEEEEPS6_SG_NS0_5tupleIJSF_S6_EEENSH_IJSG_SG_EEES6_PlJNSB_9not_fun_tI7is_trueIsEEEEEE10hipError_tPvRmT3_T4_T5_T6_T7_T9_mT8_P12ihipStream_tbDpT10_ENKUlT_T0_E_clISt17integral_constantIbLb1EES17_IbLb0EEEEDaS13_S14_EUlS13_E_NS1_11comp_targetILNS1_3genE10ELNS1_11target_archE1200ELNS1_3gpuE4ELNS1_3repE0EEENS1_30default_config_static_selectorELNS0_4arch9wavefront6targetE0EEEvT1_.private_seg_size, 0
	.set _ZN7rocprim17ROCPRIM_400000_NS6detail17trampoline_kernelINS0_14default_configENS1_25partition_config_selectorILNS1_17partition_subalgoE6EsNS0_10empty_typeEbEEZZNS1_14partition_implILS5_6ELb0ES3_mN6thrust23THRUST_200600_302600_NS6detail15normal_iteratorINSA_10device_ptrIsEEEEPS6_SG_NS0_5tupleIJSF_S6_EEENSH_IJSG_SG_EEES6_PlJNSB_9not_fun_tI7is_trueIsEEEEEE10hipError_tPvRmT3_T4_T5_T6_T7_T9_mT8_P12ihipStream_tbDpT10_ENKUlT_T0_E_clISt17integral_constantIbLb1EES17_IbLb0EEEEDaS13_S14_EUlS13_E_NS1_11comp_targetILNS1_3genE10ELNS1_11target_archE1200ELNS1_3gpuE4ELNS1_3repE0EEENS1_30default_config_static_selectorELNS0_4arch9wavefront6targetE0EEEvT1_.uses_vcc, 0
	.set _ZN7rocprim17ROCPRIM_400000_NS6detail17trampoline_kernelINS0_14default_configENS1_25partition_config_selectorILNS1_17partition_subalgoE6EsNS0_10empty_typeEbEEZZNS1_14partition_implILS5_6ELb0ES3_mN6thrust23THRUST_200600_302600_NS6detail15normal_iteratorINSA_10device_ptrIsEEEEPS6_SG_NS0_5tupleIJSF_S6_EEENSH_IJSG_SG_EEES6_PlJNSB_9not_fun_tI7is_trueIsEEEEEE10hipError_tPvRmT3_T4_T5_T6_T7_T9_mT8_P12ihipStream_tbDpT10_ENKUlT_T0_E_clISt17integral_constantIbLb1EES17_IbLb0EEEEDaS13_S14_EUlS13_E_NS1_11comp_targetILNS1_3genE10ELNS1_11target_archE1200ELNS1_3gpuE4ELNS1_3repE0EEENS1_30default_config_static_selectorELNS0_4arch9wavefront6targetE0EEEvT1_.uses_flat_scratch, 0
	.set _ZN7rocprim17ROCPRIM_400000_NS6detail17trampoline_kernelINS0_14default_configENS1_25partition_config_selectorILNS1_17partition_subalgoE6EsNS0_10empty_typeEbEEZZNS1_14partition_implILS5_6ELb0ES3_mN6thrust23THRUST_200600_302600_NS6detail15normal_iteratorINSA_10device_ptrIsEEEEPS6_SG_NS0_5tupleIJSF_S6_EEENSH_IJSG_SG_EEES6_PlJNSB_9not_fun_tI7is_trueIsEEEEEE10hipError_tPvRmT3_T4_T5_T6_T7_T9_mT8_P12ihipStream_tbDpT10_ENKUlT_T0_E_clISt17integral_constantIbLb1EES17_IbLb0EEEEDaS13_S14_EUlS13_E_NS1_11comp_targetILNS1_3genE10ELNS1_11target_archE1200ELNS1_3gpuE4ELNS1_3repE0EEENS1_30default_config_static_selectorELNS0_4arch9wavefront6targetE0EEEvT1_.has_dyn_sized_stack, 0
	.set _ZN7rocprim17ROCPRIM_400000_NS6detail17trampoline_kernelINS0_14default_configENS1_25partition_config_selectorILNS1_17partition_subalgoE6EsNS0_10empty_typeEbEEZZNS1_14partition_implILS5_6ELb0ES3_mN6thrust23THRUST_200600_302600_NS6detail15normal_iteratorINSA_10device_ptrIsEEEEPS6_SG_NS0_5tupleIJSF_S6_EEENSH_IJSG_SG_EEES6_PlJNSB_9not_fun_tI7is_trueIsEEEEEE10hipError_tPvRmT3_T4_T5_T6_T7_T9_mT8_P12ihipStream_tbDpT10_ENKUlT_T0_E_clISt17integral_constantIbLb1EES17_IbLb0EEEEDaS13_S14_EUlS13_E_NS1_11comp_targetILNS1_3genE10ELNS1_11target_archE1200ELNS1_3gpuE4ELNS1_3repE0EEENS1_30default_config_static_selectorELNS0_4arch9wavefront6targetE0EEEvT1_.has_recursion, 0
	.set _ZN7rocprim17ROCPRIM_400000_NS6detail17trampoline_kernelINS0_14default_configENS1_25partition_config_selectorILNS1_17partition_subalgoE6EsNS0_10empty_typeEbEEZZNS1_14partition_implILS5_6ELb0ES3_mN6thrust23THRUST_200600_302600_NS6detail15normal_iteratorINSA_10device_ptrIsEEEEPS6_SG_NS0_5tupleIJSF_S6_EEENSH_IJSG_SG_EEES6_PlJNSB_9not_fun_tI7is_trueIsEEEEEE10hipError_tPvRmT3_T4_T5_T6_T7_T9_mT8_P12ihipStream_tbDpT10_ENKUlT_T0_E_clISt17integral_constantIbLb1EES17_IbLb0EEEEDaS13_S14_EUlS13_E_NS1_11comp_targetILNS1_3genE10ELNS1_11target_archE1200ELNS1_3gpuE4ELNS1_3repE0EEENS1_30default_config_static_selectorELNS0_4arch9wavefront6targetE0EEEvT1_.has_indirect_call, 0
	.section	.AMDGPU.csdata,"",@progbits
; Kernel info:
; codeLenInByte = 4
; TotalNumSgprs: 0
; NumVgprs: 0
; ScratchSize: 0
; MemoryBound: 0
; FloatMode: 240
; IeeeMode: 1
; LDSByteSize: 0 bytes/workgroup (compile time only)
; SGPRBlocks: 0
; VGPRBlocks: 0
; NumSGPRsForWavesPerEU: 1
; NumVGPRsForWavesPerEU: 1
; Occupancy: 16
; WaveLimiterHint : 0
; COMPUTE_PGM_RSRC2:SCRATCH_EN: 0
; COMPUTE_PGM_RSRC2:USER_SGPR: 2
; COMPUTE_PGM_RSRC2:TRAP_HANDLER: 0
; COMPUTE_PGM_RSRC2:TGID_X_EN: 1
; COMPUTE_PGM_RSRC2:TGID_Y_EN: 0
; COMPUTE_PGM_RSRC2:TGID_Z_EN: 0
; COMPUTE_PGM_RSRC2:TIDIG_COMP_CNT: 0
	.section	.text._ZN7rocprim17ROCPRIM_400000_NS6detail17trampoline_kernelINS0_14default_configENS1_25partition_config_selectorILNS1_17partition_subalgoE6EsNS0_10empty_typeEbEEZZNS1_14partition_implILS5_6ELb0ES3_mN6thrust23THRUST_200600_302600_NS6detail15normal_iteratorINSA_10device_ptrIsEEEEPS6_SG_NS0_5tupleIJSF_S6_EEENSH_IJSG_SG_EEES6_PlJNSB_9not_fun_tI7is_trueIsEEEEEE10hipError_tPvRmT3_T4_T5_T6_T7_T9_mT8_P12ihipStream_tbDpT10_ENKUlT_T0_E_clISt17integral_constantIbLb1EES17_IbLb0EEEEDaS13_S14_EUlS13_E_NS1_11comp_targetILNS1_3genE9ELNS1_11target_archE1100ELNS1_3gpuE3ELNS1_3repE0EEENS1_30default_config_static_selectorELNS0_4arch9wavefront6targetE0EEEvT1_,"axG",@progbits,_ZN7rocprim17ROCPRIM_400000_NS6detail17trampoline_kernelINS0_14default_configENS1_25partition_config_selectorILNS1_17partition_subalgoE6EsNS0_10empty_typeEbEEZZNS1_14partition_implILS5_6ELb0ES3_mN6thrust23THRUST_200600_302600_NS6detail15normal_iteratorINSA_10device_ptrIsEEEEPS6_SG_NS0_5tupleIJSF_S6_EEENSH_IJSG_SG_EEES6_PlJNSB_9not_fun_tI7is_trueIsEEEEEE10hipError_tPvRmT3_T4_T5_T6_T7_T9_mT8_P12ihipStream_tbDpT10_ENKUlT_T0_E_clISt17integral_constantIbLb1EES17_IbLb0EEEEDaS13_S14_EUlS13_E_NS1_11comp_targetILNS1_3genE9ELNS1_11target_archE1100ELNS1_3gpuE3ELNS1_3repE0EEENS1_30default_config_static_selectorELNS0_4arch9wavefront6targetE0EEEvT1_,comdat
	.protected	_ZN7rocprim17ROCPRIM_400000_NS6detail17trampoline_kernelINS0_14default_configENS1_25partition_config_selectorILNS1_17partition_subalgoE6EsNS0_10empty_typeEbEEZZNS1_14partition_implILS5_6ELb0ES3_mN6thrust23THRUST_200600_302600_NS6detail15normal_iteratorINSA_10device_ptrIsEEEEPS6_SG_NS0_5tupleIJSF_S6_EEENSH_IJSG_SG_EEES6_PlJNSB_9not_fun_tI7is_trueIsEEEEEE10hipError_tPvRmT3_T4_T5_T6_T7_T9_mT8_P12ihipStream_tbDpT10_ENKUlT_T0_E_clISt17integral_constantIbLb1EES17_IbLb0EEEEDaS13_S14_EUlS13_E_NS1_11comp_targetILNS1_3genE9ELNS1_11target_archE1100ELNS1_3gpuE3ELNS1_3repE0EEENS1_30default_config_static_selectorELNS0_4arch9wavefront6targetE0EEEvT1_ ; -- Begin function _ZN7rocprim17ROCPRIM_400000_NS6detail17trampoline_kernelINS0_14default_configENS1_25partition_config_selectorILNS1_17partition_subalgoE6EsNS0_10empty_typeEbEEZZNS1_14partition_implILS5_6ELb0ES3_mN6thrust23THRUST_200600_302600_NS6detail15normal_iteratorINSA_10device_ptrIsEEEEPS6_SG_NS0_5tupleIJSF_S6_EEENSH_IJSG_SG_EEES6_PlJNSB_9not_fun_tI7is_trueIsEEEEEE10hipError_tPvRmT3_T4_T5_T6_T7_T9_mT8_P12ihipStream_tbDpT10_ENKUlT_T0_E_clISt17integral_constantIbLb1EES17_IbLb0EEEEDaS13_S14_EUlS13_E_NS1_11comp_targetILNS1_3genE9ELNS1_11target_archE1100ELNS1_3gpuE3ELNS1_3repE0EEENS1_30default_config_static_selectorELNS0_4arch9wavefront6targetE0EEEvT1_
	.globl	_ZN7rocprim17ROCPRIM_400000_NS6detail17trampoline_kernelINS0_14default_configENS1_25partition_config_selectorILNS1_17partition_subalgoE6EsNS0_10empty_typeEbEEZZNS1_14partition_implILS5_6ELb0ES3_mN6thrust23THRUST_200600_302600_NS6detail15normal_iteratorINSA_10device_ptrIsEEEEPS6_SG_NS0_5tupleIJSF_S6_EEENSH_IJSG_SG_EEES6_PlJNSB_9not_fun_tI7is_trueIsEEEEEE10hipError_tPvRmT3_T4_T5_T6_T7_T9_mT8_P12ihipStream_tbDpT10_ENKUlT_T0_E_clISt17integral_constantIbLb1EES17_IbLb0EEEEDaS13_S14_EUlS13_E_NS1_11comp_targetILNS1_3genE9ELNS1_11target_archE1100ELNS1_3gpuE3ELNS1_3repE0EEENS1_30default_config_static_selectorELNS0_4arch9wavefront6targetE0EEEvT1_
	.p2align	8
	.type	_ZN7rocprim17ROCPRIM_400000_NS6detail17trampoline_kernelINS0_14default_configENS1_25partition_config_selectorILNS1_17partition_subalgoE6EsNS0_10empty_typeEbEEZZNS1_14partition_implILS5_6ELb0ES3_mN6thrust23THRUST_200600_302600_NS6detail15normal_iteratorINSA_10device_ptrIsEEEEPS6_SG_NS0_5tupleIJSF_S6_EEENSH_IJSG_SG_EEES6_PlJNSB_9not_fun_tI7is_trueIsEEEEEE10hipError_tPvRmT3_T4_T5_T6_T7_T9_mT8_P12ihipStream_tbDpT10_ENKUlT_T0_E_clISt17integral_constantIbLb1EES17_IbLb0EEEEDaS13_S14_EUlS13_E_NS1_11comp_targetILNS1_3genE9ELNS1_11target_archE1100ELNS1_3gpuE3ELNS1_3repE0EEENS1_30default_config_static_selectorELNS0_4arch9wavefront6targetE0EEEvT1_,@function
_ZN7rocprim17ROCPRIM_400000_NS6detail17trampoline_kernelINS0_14default_configENS1_25partition_config_selectorILNS1_17partition_subalgoE6EsNS0_10empty_typeEbEEZZNS1_14partition_implILS5_6ELb0ES3_mN6thrust23THRUST_200600_302600_NS6detail15normal_iteratorINSA_10device_ptrIsEEEEPS6_SG_NS0_5tupleIJSF_S6_EEENSH_IJSG_SG_EEES6_PlJNSB_9not_fun_tI7is_trueIsEEEEEE10hipError_tPvRmT3_T4_T5_T6_T7_T9_mT8_P12ihipStream_tbDpT10_ENKUlT_T0_E_clISt17integral_constantIbLb1EES17_IbLb0EEEEDaS13_S14_EUlS13_E_NS1_11comp_targetILNS1_3genE9ELNS1_11target_archE1100ELNS1_3gpuE3ELNS1_3repE0EEENS1_30default_config_static_selectorELNS0_4arch9wavefront6targetE0EEEvT1_: ; @_ZN7rocprim17ROCPRIM_400000_NS6detail17trampoline_kernelINS0_14default_configENS1_25partition_config_selectorILNS1_17partition_subalgoE6EsNS0_10empty_typeEbEEZZNS1_14partition_implILS5_6ELb0ES3_mN6thrust23THRUST_200600_302600_NS6detail15normal_iteratorINSA_10device_ptrIsEEEEPS6_SG_NS0_5tupleIJSF_S6_EEENSH_IJSG_SG_EEES6_PlJNSB_9not_fun_tI7is_trueIsEEEEEE10hipError_tPvRmT3_T4_T5_T6_T7_T9_mT8_P12ihipStream_tbDpT10_ENKUlT_T0_E_clISt17integral_constantIbLb1EES17_IbLb0EEEEDaS13_S14_EUlS13_E_NS1_11comp_targetILNS1_3genE9ELNS1_11target_archE1100ELNS1_3gpuE3ELNS1_3repE0EEENS1_30default_config_static_selectorELNS0_4arch9wavefront6targetE0EEEvT1_
; %bb.0:
	.section	.rodata,"a",@progbits
	.p2align	6, 0x0
	.amdhsa_kernel _ZN7rocprim17ROCPRIM_400000_NS6detail17trampoline_kernelINS0_14default_configENS1_25partition_config_selectorILNS1_17partition_subalgoE6EsNS0_10empty_typeEbEEZZNS1_14partition_implILS5_6ELb0ES3_mN6thrust23THRUST_200600_302600_NS6detail15normal_iteratorINSA_10device_ptrIsEEEEPS6_SG_NS0_5tupleIJSF_S6_EEENSH_IJSG_SG_EEES6_PlJNSB_9not_fun_tI7is_trueIsEEEEEE10hipError_tPvRmT3_T4_T5_T6_T7_T9_mT8_P12ihipStream_tbDpT10_ENKUlT_T0_E_clISt17integral_constantIbLb1EES17_IbLb0EEEEDaS13_S14_EUlS13_E_NS1_11comp_targetILNS1_3genE9ELNS1_11target_archE1100ELNS1_3gpuE3ELNS1_3repE0EEENS1_30default_config_static_selectorELNS0_4arch9wavefront6targetE0EEEvT1_
		.amdhsa_group_segment_fixed_size 0
		.amdhsa_private_segment_fixed_size 0
		.amdhsa_kernarg_size 112
		.amdhsa_user_sgpr_count 2
		.amdhsa_user_sgpr_dispatch_ptr 0
		.amdhsa_user_sgpr_queue_ptr 0
		.amdhsa_user_sgpr_kernarg_segment_ptr 1
		.amdhsa_user_sgpr_dispatch_id 0
		.amdhsa_user_sgpr_private_segment_size 0
		.amdhsa_wavefront_size32 1
		.amdhsa_uses_dynamic_stack 0
		.amdhsa_enable_private_segment 0
		.amdhsa_system_sgpr_workgroup_id_x 1
		.amdhsa_system_sgpr_workgroup_id_y 0
		.amdhsa_system_sgpr_workgroup_id_z 0
		.amdhsa_system_sgpr_workgroup_info 0
		.amdhsa_system_vgpr_workitem_id 0
		.amdhsa_next_free_vgpr 1
		.amdhsa_next_free_sgpr 1
		.amdhsa_reserve_vcc 0
		.amdhsa_float_round_mode_32 0
		.amdhsa_float_round_mode_16_64 0
		.amdhsa_float_denorm_mode_32 3
		.amdhsa_float_denorm_mode_16_64 3
		.amdhsa_fp16_overflow 0
		.amdhsa_workgroup_processor_mode 1
		.amdhsa_memory_ordered 1
		.amdhsa_forward_progress 1
		.amdhsa_inst_pref_size 0
		.amdhsa_round_robin_scheduling 0
		.amdhsa_exception_fp_ieee_invalid_op 0
		.amdhsa_exception_fp_denorm_src 0
		.amdhsa_exception_fp_ieee_div_zero 0
		.amdhsa_exception_fp_ieee_overflow 0
		.amdhsa_exception_fp_ieee_underflow 0
		.amdhsa_exception_fp_ieee_inexact 0
		.amdhsa_exception_int_div_zero 0
	.end_amdhsa_kernel
	.section	.text._ZN7rocprim17ROCPRIM_400000_NS6detail17trampoline_kernelINS0_14default_configENS1_25partition_config_selectorILNS1_17partition_subalgoE6EsNS0_10empty_typeEbEEZZNS1_14partition_implILS5_6ELb0ES3_mN6thrust23THRUST_200600_302600_NS6detail15normal_iteratorINSA_10device_ptrIsEEEEPS6_SG_NS0_5tupleIJSF_S6_EEENSH_IJSG_SG_EEES6_PlJNSB_9not_fun_tI7is_trueIsEEEEEE10hipError_tPvRmT3_T4_T5_T6_T7_T9_mT8_P12ihipStream_tbDpT10_ENKUlT_T0_E_clISt17integral_constantIbLb1EES17_IbLb0EEEEDaS13_S14_EUlS13_E_NS1_11comp_targetILNS1_3genE9ELNS1_11target_archE1100ELNS1_3gpuE3ELNS1_3repE0EEENS1_30default_config_static_selectorELNS0_4arch9wavefront6targetE0EEEvT1_,"axG",@progbits,_ZN7rocprim17ROCPRIM_400000_NS6detail17trampoline_kernelINS0_14default_configENS1_25partition_config_selectorILNS1_17partition_subalgoE6EsNS0_10empty_typeEbEEZZNS1_14partition_implILS5_6ELb0ES3_mN6thrust23THRUST_200600_302600_NS6detail15normal_iteratorINSA_10device_ptrIsEEEEPS6_SG_NS0_5tupleIJSF_S6_EEENSH_IJSG_SG_EEES6_PlJNSB_9not_fun_tI7is_trueIsEEEEEE10hipError_tPvRmT3_T4_T5_T6_T7_T9_mT8_P12ihipStream_tbDpT10_ENKUlT_T0_E_clISt17integral_constantIbLb1EES17_IbLb0EEEEDaS13_S14_EUlS13_E_NS1_11comp_targetILNS1_3genE9ELNS1_11target_archE1100ELNS1_3gpuE3ELNS1_3repE0EEENS1_30default_config_static_selectorELNS0_4arch9wavefront6targetE0EEEvT1_,comdat
.Lfunc_end1291:
	.size	_ZN7rocprim17ROCPRIM_400000_NS6detail17trampoline_kernelINS0_14default_configENS1_25partition_config_selectorILNS1_17partition_subalgoE6EsNS0_10empty_typeEbEEZZNS1_14partition_implILS5_6ELb0ES3_mN6thrust23THRUST_200600_302600_NS6detail15normal_iteratorINSA_10device_ptrIsEEEEPS6_SG_NS0_5tupleIJSF_S6_EEENSH_IJSG_SG_EEES6_PlJNSB_9not_fun_tI7is_trueIsEEEEEE10hipError_tPvRmT3_T4_T5_T6_T7_T9_mT8_P12ihipStream_tbDpT10_ENKUlT_T0_E_clISt17integral_constantIbLb1EES17_IbLb0EEEEDaS13_S14_EUlS13_E_NS1_11comp_targetILNS1_3genE9ELNS1_11target_archE1100ELNS1_3gpuE3ELNS1_3repE0EEENS1_30default_config_static_selectorELNS0_4arch9wavefront6targetE0EEEvT1_, .Lfunc_end1291-_ZN7rocprim17ROCPRIM_400000_NS6detail17trampoline_kernelINS0_14default_configENS1_25partition_config_selectorILNS1_17partition_subalgoE6EsNS0_10empty_typeEbEEZZNS1_14partition_implILS5_6ELb0ES3_mN6thrust23THRUST_200600_302600_NS6detail15normal_iteratorINSA_10device_ptrIsEEEEPS6_SG_NS0_5tupleIJSF_S6_EEENSH_IJSG_SG_EEES6_PlJNSB_9not_fun_tI7is_trueIsEEEEEE10hipError_tPvRmT3_T4_T5_T6_T7_T9_mT8_P12ihipStream_tbDpT10_ENKUlT_T0_E_clISt17integral_constantIbLb1EES17_IbLb0EEEEDaS13_S14_EUlS13_E_NS1_11comp_targetILNS1_3genE9ELNS1_11target_archE1100ELNS1_3gpuE3ELNS1_3repE0EEENS1_30default_config_static_selectorELNS0_4arch9wavefront6targetE0EEEvT1_
                                        ; -- End function
	.set _ZN7rocprim17ROCPRIM_400000_NS6detail17trampoline_kernelINS0_14default_configENS1_25partition_config_selectorILNS1_17partition_subalgoE6EsNS0_10empty_typeEbEEZZNS1_14partition_implILS5_6ELb0ES3_mN6thrust23THRUST_200600_302600_NS6detail15normal_iteratorINSA_10device_ptrIsEEEEPS6_SG_NS0_5tupleIJSF_S6_EEENSH_IJSG_SG_EEES6_PlJNSB_9not_fun_tI7is_trueIsEEEEEE10hipError_tPvRmT3_T4_T5_T6_T7_T9_mT8_P12ihipStream_tbDpT10_ENKUlT_T0_E_clISt17integral_constantIbLb1EES17_IbLb0EEEEDaS13_S14_EUlS13_E_NS1_11comp_targetILNS1_3genE9ELNS1_11target_archE1100ELNS1_3gpuE3ELNS1_3repE0EEENS1_30default_config_static_selectorELNS0_4arch9wavefront6targetE0EEEvT1_.num_vgpr, 0
	.set _ZN7rocprim17ROCPRIM_400000_NS6detail17trampoline_kernelINS0_14default_configENS1_25partition_config_selectorILNS1_17partition_subalgoE6EsNS0_10empty_typeEbEEZZNS1_14partition_implILS5_6ELb0ES3_mN6thrust23THRUST_200600_302600_NS6detail15normal_iteratorINSA_10device_ptrIsEEEEPS6_SG_NS0_5tupleIJSF_S6_EEENSH_IJSG_SG_EEES6_PlJNSB_9not_fun_tI7is_trueIsEEEEEE10hipError_tPvRmT3_T4_T5_T6_T7_T9_mT8_P12ihipStream_tbDpT10_ENKUlT_T0_E_clISt17integral_constantIbLb1EES17_IbLb0EEEEDaS13_S14_EUlS13_E_NS1_11comp_targetILNS1_3genE9ELNS1_11target_archE1100ELNS1_3gpuE3ELNS1_3repE0EEENS1_30default_config_static_selectorELNS0_4arch9wavefront6targetE0EEEvT1_.num_agpr, 0
	.set _ZN7rocprim17ROCPRIM_400000_NS6detail17trampoline_kernelINS0_14default_configENS1_25partition_config_selectorILNS1_17partition_subalgoE6EsNS0_10empty_typeEbEEZZNS1_14partition_implILS5_6ELb0ES3_mN6thrust23THRUST_200600_302600_NS6detail15normal_iteratorINSA_10device_ptrIsEEEEPS6_SG_NS0_5tupleIJSF_S6_EEENSH_IJSG_SG_EEES6_PlJNSB_9not_fun_tI7is_trueIsEEEEEE10hipError_tPvRmT3_T4_T5_T6_T7_T9_mT8_P12ihipStream_tbDpT10_ENKUlT_T0_E_clISt17integral_constantIbLb1EES17_IbLb0EEEEDaS13_S14_EUlS13_E_NS1_11comp_targetILNS1_3genE9ELNS1_11target_archE1100ELNS1_3gpuE3ELNS1_3repE0EEENS1_30default_config_static_selectorELNS0_4arch9wavefront6targetE0EEEvT1_.numbered_sgpr, 0
	.set _ZN7rocprim17ROCPRIM_400000_NS6detail17trampoline_kernelINS0_14default_configENS1_25partition_config_selectorILNS1_17partition_subalgoE6EsNS0_10empty_typeEbEEZZNS1_14partition_implILS5_6ELb0ES3_mN6thrust23THRUST_200600_302600_NS6detail15normal_iteratorINSA_10device_ptrIsEEEEPS6_SG_NS0_5tupleIJSF_S6_EEENSH_IJSG_SG_EEES6_PlJNSB_9not_fun_tI7is_trueIsEEEEEE10hipError_tPvRmT3_T4_T5_T6_T7_T9_mT8_P12ihipStream_tbDpT10_ENKUlT_T0_E_clISt17integral_constantIbLb1EES17_IbLb0EEEEDaS13_S14_EUlS13_E_NS1_11comp_targetILNS1_3genE9ELNS1_11target_archE1100ELNS1_3gpuE3ELNS1_3repE0EEENS1_30default_config_static_selectorELNS0_4arch9wavefront6targetE0EEEvT1_.num_named_barrier, 0
	.set _ZN7rocprim17ROCPRIM_400000_NS6detail17trampoline_kernelINS0_14default_configENS1_25partition_config_selectorILNS1_17partition_subalgoE6EsNS0_10empty_typeEbEEZZNS1_14partition_implILS5_6ELb0ES3_mN6thrust23THRUST_200600_302600_NS6detail15normal_iteratorINSA_10device_ptrIsEEEEPS6_SG_NS0_5tupleIJSF_S6_EEENSH_IJSG_SG_EEES6_PlJNSB_9not_fun_tI7is_trueIsEEEEEE10hipError_tPvRmT3_T4_T5_T6_T7_T9_mT8_P12ihipStream_tbDpT10_ENKUlT_T0_E_clISt17integral_constantIbLb1EES17_IbLb0EEEEDaS13_S14_EUlS13_E_NS1_11comp_targetILNS1_3genE9ELNS1_11target_archE1100ELNS1_3gpuE3ELNS1_3repE0EEENS1_30default_config_static_selectorELNS0_4arch9wavefront6targetE0EEEvT1_.private_seg_size, 0
	.set _ZN7rocprim17ROCPRIM_400000_NS6detail17trampoline_kernelINS0_14default_configENS1_25partition_config_selectorILNS1_17partition_subalgoE6EsNS0_10empty_typeEbEEZZNS1_14partition_implILS5_6ELb0ES3_mN6thrust23THRUST_200600_302600_NS6detail15normal_iteratorINSA_10device_ptrIsEEEEPS6_SG_NS0_5tupleIJSF_S6_EEENSH_IJSG_SG_EEES6_PlJNSB_9not_fun_tI7is_trueIsEEEEEE10hipError_tPvRmT3_T4_T5_T6_T7_T9_mT8_P12ihipStream_tbDpT10_ENKUlT_T0_E_clISt17integral_constantIbLb1EES17_IbLb0EEEEDaS13_S14_EUlS13_E_NS1_11comp_targetILNS1_3genE9ELNS1_11target_archE1100ELNS1_3gpuE3ELNS1_3repE0EEENS1_30default_config_static_selectorELNS0_4arch9wavefront6targetE0EEEvT1_.uses_vcc, 0
	.set _ZN7rocprim17ROCPRIM_400000_NS6detail17trampoline_kernelINS0_14default_configENS1_25partition_config_selectorILNS1_17partition_subalgoE6EsNS0_10empty_typeEbEEZZNS1_14partition_implILS5_6ELb0ES3_mN6thrust23THRUST_200600_302600_NS6detail15normal_iteratorINSA_10device_ptrIsEEEEPS6_SG_NS0_5tupleIJSF_S6_EEENSH_IJSG_SG_EEES6_PlJNSB_9not_fun_tI7is_trueIsEEEEEE10hipError_tPvRmT3_T4_T5_T6_T7_T9_mT8_P12ihipStream_tbDpT10_ENKUlT_T0_E_clISt17integral_constantIbLb1EES17_IbLb0EEEEDaS13_S14_EUlS13_E_NS1_11comp_targetILNS1_3genE9ELNS1_11target_archE1100ELNS1_3gpuE3ELNS1_3repE0EEENS1_30default_config_static_selectorELNS0_4arch9wavefront6targetE0EEEvT1_.uses_flat_scratch, 0
	.set _ZN7rocprim17ROCPRIM_400000_NS6detail17trampoline_kernelINS0_14default_configENS1_25partition_config_selectorILNS1_17partition_subalgoE6EsNS0_10empty_typeEbEEZZNS1_14partition_implILS5_6ELb0ES3_mN6thrust23THRUST_200600_302600_NS6detail15normal_iteratorINSA_10device_ptrIsEEEEPS6_SG_NS0_5tupleIJSF_S6_EEENSH_IJSG_SG_EEES6_PlJNSB_9not_fun_tI7is_trueIsEEEEEE10hipError_tPvRmT3_T4_T5_T6_T7_T9_mT8_P12ihipStream_tbDpT10_ENKUlT_T0_E_clISt17integral_constantIbLb1EES17_IbLb0EEEEDaS13_S14_EUlS13_E_NS1_11comp_targetILNS1_3genE9ELNS1_11target_archE1100ELNS1_3gpuE3ELNS1_3repE0EEENS1_30default_config_static_selectorELNS0_4arch9wavefront6targetE0EEEvT1_.has_dyn_sized_stack, 0
	.set _ZN7rocprim17ROCPRIM_400000_NS6detail17trampoline_kernelINS0_14default_configENS1_25partition_config_selectorILNS1_17partition_subalgoE6EsNS0_10empty_typeEbEEZZNS1_14partition_implILS5_6ELb0ES3_mN6thrust23THRUST_200600_302600_NS6detail15normal_iteratorINSA_10device_ptrIsEEEEPS6_SG_NS0_5tupleIJSF_S6_EEENSH_IJSG_SG_EEES6_PlJNSB_9not_fun_tI7is_trueIsEEEEEE10hipError_tPvRmT3_T4_T5_T6_T7_T9_mT8_P12ihipStream_tbDpT10_ENKUlT_T0_E_clISt17integral_constantIbLb1EES17_IbLb0EEEEDaS13_S14_EUlS13_E_NS1_11comp_targetILNS1_3genE9ELNS1_11target_archE1100ELNS1_3gpuE3ELNS1_3repE0EEENS1_30default_config_static_selectorELNS0_4arch9wavefront6targetE0EEEvT1_.has_recursion, 0
	.set _ZN7rocprim17ROCPRIM_400000_NS6detail17trampoline_kernelINS0_14default_configENS1_25partition_config_selectorILNS1_17partition_subalgoE6EsNS0_10empty_typeEbEEZZNS1_14partition_implILS5_6ELb0ES3_mN6thrust23THRUST_200600_302600_NS6detail15normal_iteratorINSA_10device_ptrIsEEEEPS6_SG_NS0_5tupleIJSF_S6_EEENSH_IJSG_SG_EEES6_PlJNSB_9not_fun_tI7is_trueIsEEEEEE10hipError_tPvRmT3_T4_T5_T6_T7_T9_mT8_P12ihipStream_tbDpT10_ENKUlT_T0_E_clISt17integral_constantIbLb1EES17_IbLb0EEEEDaS13_S14_EUlS13_E_NS1_11comp_targetILNS1_3genE9ELNS1_11target_archE1100ELNS1_3gpuE3ELNS1_3repE0EEENS1_30default_config_static_selectorELNS0_4arch9wavefront6targetE0EEEvT1_.has_indirect_call, 0
	.section	.AMDGPU.csdata,"",@progbits
; Kernel info:
; codeLenInByte = 0
; TotalNumSgprs: 0
; NumVgprs: 0
; ScratchSize: 0
; MemoryBound: 0
; FloatMode: 240
; IeeeMode: 1
; LDSByteSize: 0 bytes/workgroup (compile time only)
; SGPRBlocks: 0
; VGPRBlocks: 0
; NumSGPRsForWavesPerEU: 1
; NumVGPRsForWavesPerEU: 1
; Occupancy: 16
; WaveLimiterHint : 0
; COMPUTE_PGM_RSRC2:SCRATCH_EN: 0
; COMPUTE_PGM_RSRC2:USER_SGPR: 2
; COMPUTE_PGM_RSRC2:TRAP_HANDLER: 0
; COMPUTE_PGM_RSRC2:TGID_X_EN: 1
; COMPUTE_PGM_RSRC2:TGID_Y_EN: 0
; COMPUTE_PGM_RSRC2:TGID_Z_EN: 0
; COMPUTE_PGM_RSRC2:TIDIG_COMP_CNT: 0
	.section	.text._ZN7rocprim17ROCPRIM_400000_NS6detail17trampoline_kernelINS0_14default_configENS1_25partition_config_selectorILNS1_17partition_subalgoE6EsNS0_10empty_typeEbEEZZNS1_14partition_implILS5_6ELb0ES3_mN6thrust23THRUST_200600_302600_NS6detail15normal_iteratorINSA_10device_ptrIsEEEEPS6_SG_NS0_5tupleIJSF_S6_EEENSH_IJSG_SG_EEES6_PlJNSB_9not_fun_tI7is_trueIsEEEEEE10hipError_tPvRmT3_T4_T5_T6_T7_T9_mT8_P12ihipStream_tbDpT10_ENKUlT_T0_E_clISt17integral_constantIbLb1EES17_IbLb0EEEEDaS13_S14_EUlS13_E_NS1_11comp_targetILNS1_3genE8ELNS1_11target_archE1030ELNS1_3gpuE2ELNS1_3repE0EEENS1_30default_config_static_selectorELNS0_4arch9wavefront6targetE0EEEvT1_,"axG",@progbits,_ZN7rocprim17ROCPRIM_400000_NS6detail17trampoline_kernelINS0_14default_configENS1_25partition_config_selectorILNS1_17partition_subalgoE6EsNS0_10empty_typeEbEEZZNS1_14partition_implILS5_6ELb0ES3_mN6thrust23THRUST_200600_302600_NS6detail15normal_iteratorINSA_10device_ptrIsEEEEPS6_SG_NS0_5tupleIJSF_S6_EEENSH_IJSG_SG_EEES6_PlJNSB_9not_fun_tI7is_trueIsEEEEEE10hipError_tPvRmT3_T4_T5_T6_T7_T9_mT8_P12ihipStream_tbDpT10_ENKUlT_T0_E_clISt17integral_constantIbLb1EES17_IbLb0EEEEDaS13_S14_EUlS13_E_NS1_11comp_targetILNS1_3genE8ELNS1_11target_archE1030ELNS1_3gpuE2ELNS1_3repE0EEENS1_30default_config_static_selectorELNS0_4arch9wavefront6targetE0EEEvT1_,comdat
	.protected	_ZN7rocprim17ROCPRIM_400000_NS6detail17trampoline_kernelINS0_14default_configENS1_25partition_config_selectorILNS1_17partition_subalgoE6EsNS0_10empty_typeEbEEZZNS1_14partition_implILS5_6ELb0ES3_mN6thrust23THRUST_200600_302600_NS6detail15normal_iteratorINSA_10device_ptrIsEEEEPS6_SG_NS0_5tupleIJSF_S6_EEENSH_IJSG_SG_EEES6_PlJNSB_9not_fun_tI7is_trueIsEEEEEE10hipError_tPvRmT3_T4_T5_T6_T7_T9_mT8_P12ihipStream_tbDpT10_ENKUlT_T0_E_clISt17integral_constantIbLb1EES17_IbLb0EEEEDaS13_S14_EUlS13_E_NS1_11comp_targetILNS1_3genE8ELNS1_11target_archE1030ELNS1_3gpuE2ELNS1_3repE0EEENS1_30default_config_static_selectorELNS0_4arch9wavefront6targetE0EEEvT1_ ; -- Begin function _ZN7rocprim17ROCPRIM_400000_NS6detail17trampoline_kernelINS0_14default_configENS1_25partition_config_selectorILNS1_17partition_subalgoE6EsNS0_10empty_typeEbEEZZNS1_14partition_implILS5_6ELb0ES3_mN6thrust23THRUST_200600_302600_NS6detail15normal_iteratorINSA_10device_ptrIsEEEEPS6_SG_NS0_5tupleIJSF_S6_EEENSH_IJSG_SG_EEES6_PlJNSB_9not_fun_tI7is_trueIsEEEEEE10hipError_tPvRmT3_T4_T5_T6_T7_T9_mT8_P12ihipStream_tbDpT10_ENKUlT_T0_E_clISt17integral_constantIbLb1EES17_IbLb0EEEEDaS13_S14_EUlS13_E_NS1_11comp_targetILNS1_3genE8ELNS1_11target_archE1030ELNS1_3gpuE2ELNS1_3repE0EEENS1_30default_config_static_selectorELNS0_4arch9wavefront6targetE0EEEvT1_
	.globl	_ZN7rocprim17ROCPRIM_400000_NS6detail17trampoline_kernelINS0_14default_configENS1_25partition_config_selectorILNS1_17partition_subalgoE6EsNS0_10empty_typeEbEEZZNS1_14partition_implILS5_6ELb0ES3_mN6thrust23THRUST_200600_302600_NS6detail15normal_iteratorINSA_10device_ptrIsEEEEPS6_SG_NS0_5tupleIJSF_S6_EEENSH_IJSG_SG_EEES6_PlJNSB_9not_fun_tI7is_trueIsEEEEEE10hipError_tPvRmT3_T4_T5_T6_T7_T9_mT8_P12ihipStream_tbDpT10_ENKUlT_T0_E_clISt17integral_constantIbLb1EES17_IbLb0EEEEDaS13_S14_EUlS13_E_NS1_11comp_targetILNS1_3genE8ELNS1_11target_archE1030ELNS1_3gpuE2ELNS1_3repE0EEENS1_30default_config_static_selectorELNS0_4arch9wavefront6targetE0EEEvT1_
	.p2align	8
	.type	_ZN7rocprim17ROCPRIM_400000_NS6detail17trampoline_kernelINS0_14default_configENS1_25partition_config_selectorILNS1_17partition_subalgoE6EsNS0_10empty_typeEbEEZZNS1_14partition_implILS5_6ELb0ES3_mN6thrust23THRUST_200600_302600_NS6detail15normal_iteratorINSA_10device_ptrIsEEEEPS6_SG_NS0_5tupleIJSF_S6_EEENSH_IJSG_SG_EEES6_PlJNSB_9not_fun_tI7is_trueIsEEEEEE10hipError_tPvRmT3_T4_T5_T6_T7_T9_mT8_P12ihipStream_tbDpT10_ENKUlT_T0_E_clISt17integral_constantIbLb1EES17_IbLb0EEEEDaS13_S14_EUlS13_E_NS1_11comp_targetILNS1_3genE8ELNS1_11target_archE1030ELNS1_3gpuE2ELNS1_3repE0EEENS1_30default_config_static_selectorELNS0_4arch9wavefront6targetE0EEEvT1_,@function
_ZN7rocprim17ROCPRIM_400000_NS6detail17trampoline_kernelINS0_14default_configENS1_25partition_config_selectorILNS1_17partition_subalgoE6EsNS0_10empty_typeEbEEZZNS1_14partition_implILS5_6ELb0ES3_mN6thrust23THRUST_200600_302600_NS6detail15normal_iteratorINSA_10device_ptrIsEEEEPS6_SG_NS0_5tupleIJSF_S6_EEENSH_IJSG_SG_EEES6_PlJNSB_9not_fun_tI7is_trueIsEEEEEE10hipError_tPvRmT3_T4_T5_T6_T7_T9_mT8_P12ihipStream_tbDpT10_ENKUlT_T0_E_clISt17integral_constantIbLb1EES17_IbLb0EEEEDaS13_S14_EUlS13_E_NS1_11comp_targetILNS1_3genE8ELNS1_11target_archE1030ELNS1_3gpuE2ELNS1_3repE0EEENS1_30default_config_static_selectorELNS0_4arch9wavefront6targetE0EEEvT1_: ; @_ZN7rocprim17ROCPRIM_400000_NS6detail17trampoline_kernelINS0_14default_configENS1_25partition_config_selectorILNS1_17partition_subalgoE6EsNS0_10empty_typeEbEEZZNS1_14partition_implILS5_6ELb0ES3_mN6thrust23THRUST_200600_302600_NS6detail15normal_iteratorINSA_10device_ptrIsEEEEPS6_SG_NS0_5tupleIJSF_S6_EEENSH_IJSG_SG_EEES6_PlJNSB_9not_fun_tI7is_trueIsEEEEEE10hipError_tPvRmT3_T4_T5_T6_T7_T9_mT8_P12ihipStream_tbDpT10_ENKUlT_T0_E_clISt17integral_constantIbLb1EES17_IbLb0EEEEDaS13_S14_EUlS13_E_NS1_11comp_targetILNS1_3genE8ELNS1_11target_archE1030ELNS1_3gpuE2ELNS1_3repE0EEENS1_30default_config_static_selectorELNS0_4arch9wavefront6targetE0EEEvT1_
; %bb.0:
	.section	.rodata,"a",@progbits
	.p2align	6, 0x0
	.amdhsa_kernel _ZN7rocprim17ROCPRIM_400000_NS6detail17trampoline_kernelINS0_14default_configENS1_25partition_config_selectorILNS1_17partition_subalgoE6EsNS0_10empty_typeEbEEZZNS1_14partition_implILS5_6ELb0ES3_mN6thrust23THRUST_200600_302600_NS6detail15normal_iteratorINSA_10device_ptrIsEEEEPS6_SG_NS0_5tupleIJSF_S6_EEENSH_IJSG_SG_EEES6_PlJNSB_9not_fun_tI7is_trueIsEEEEEE10hipError_tPvRmT3_T4_T5_T6_T7_T9_mT8_P12ihipStream_tbDpT10_ENKUlT_T0_E_clISt17integral_constantIbLb1EES17_IbLb0EEEEDaS13_S14_EUlS13_E_NS1_11comp_targetILNS1_3genE8ELNS1_11target_archE1030ELNS1_3gpuE2ELNS1_3repE0EEENS1_30default_config_static_selectorELNS0_4arch9wavefront6targetE0EEEvT1_
		.amdhsa_group_segment_fixed_size 0
		.amdhsa_private_segment_fixed_size 0
		.amdhsa_kernarg_size 112
		.amdhsa_user_sgpr_count 2
		.amdhsa_user_sgpr_dispatch_ptr 0
		.amdhsa_user_sgpr_queue_ptr 0
		.amdhsa_user_sgpr_kernarg_segment_ptr 1
		.amdhsa_user_sgpr_dispatch_id 0
		.amdhsa_user_sgpr_private_segment_size 0
		.amdhsa_wavefront_size32 1
		.amdhsa_uses_dynamic_stack 0
		.amdhsa_enable_private_segment 0
		.amdhsa_system_sgpr_workgroup_id_x 1
		.amdhsa_system_sgpr_workgroup_id_y 0
		.amdhsa_system_sgpr_workgroup_id_z 0
		.amdhsa_system_sgpr_workgroup_info 0
		.amdhsa_system_vgpr_workitem_id 0
		.amdhsa_next_free_vgpr 1
		.amdhsa_next_free_sgpr 1
		.amdhsa_reserve_vcc 0
		.amdhsa_float_round_mode_32 0
		.amdhsa_float_round_mode_16_64 0
		.amdhsa_float_denorm_mode_32 3
		.amdhsa_float_denorm_mode_16_64 3
		.amdhsa_fp16_overflow 0
		.amdhsa_workgroup_processor_mode 1
		.amdhsa_memory_ordered 1
		.amdhsa_forward_progress 1
		.amdhsa_inst_pref_size 0
		.amdhsa_round_robin_scheduling 0
		.amdhsa_exception_fp_ieee_invalid_op 0
		.amdhsa_exception_fp_denorm_src 0
		.amdhsa_exception_fp_ieee_div_zero 0
		.amdhsa_exception_fp_ieee_overflow 0
		.amdhsa_exception_fp_ieee_underflow 0
		.amdhsa_exception_fp_ieee_inexact 0
		.amdhsa_exception_int_div_zero 0
	.end_amdhsa_kernel
	.section	.text._ZN7rocprim17ROCPRIM_400000_NS6detail17trampoline_kernelINS0_14default_configENS1_25partition_config_selectorILNS1_17partition_subalgoE6EsNS0_10empty_typeEbEEZZNS1_14partition_implILS5_6ELb0ES3_mN6thrust23THRUST_200600_302600_NS6detail15normal_iteratorINSA_10device_ptrIsEEEEPS6_SG_NS0_5tupleIJSF_S6_EEENSH_IJSG_SG_EEES6_PlJNSB_9not_fun_tI7is_trueIsEEEEEE10hipError_tPvRmT3_T4_T5_T6_T7_T9_mT8_P12ihipStream_tbDpT10_ENKUlT_T0_E_clISt17integral_constantIbLb1EES17_IbLb0EEEEDaS13_S14_EUlS13_E_NS1_11comp_targetILNS1_3genE8ELNS1_11target_archE1030ELNS1_3gpuE2ELNS1_3repE0EEENS1_30default_config_static_selectorELNS0_4arch9wavefront6targetE0EEEvT1_,"axG",@progbits,_ZN7rocprim17ROCPRIM_400000_NS6detail17trampoline_kernelINS0_14default_configENS1_25partition_config_selectorILNS1_17partition_subalgoE6EsNS0_10empty_typeEbEEZZNS1_14partition_implILS5_6ELb0ES3_mN6thrust23THRUST_200600_302600_NS6detail15normal_iteratorINSA_10device_ptrIsEEEEPS6_SG_NS0_5tupleIJSF_S6_EEENSH_IJSG_SG_EEES6_PlJNSB_9not_fun_tI7is_trueIsEEEEEE10hipError_tPvRmT3_T4_T5_T6_T7_T9_mT8_P12ihipStream_tbDpT10_ENKUlT_T0_E_clISt17integral_constantIbLb1EES17_IbLb0EEEEDaS13_S14_EUlS13_E_NS1_11comp_targetILNS1_3genE8ELNS1_11target_archE1030ELNS1_3gpuE2ELNS1_3repE0EEENS1_30default_config_static_selectorELNS0_4arch9wavefront6targetE0EEEvT1_,comdat
.Lfunc_end1292:
	.size	_ZN7rocprim17ROCPRIM_400000_NS6detail17trampoline_kernelINS0_14default_configENS1_25partition_config_selectorILNS1_17partition_subalgoE6EsNS0_10empty_typeEbEEZZNS1_14partition_implILS5_6ELb0ES3_mN6thrust23THRUST_200600_302600_NS6detail15normal_iteratorINSA_10device_ptrIsEEEEPS6_SG_NS0_5tupleIJSF_S6_EEENSH_IJSG_SG_EEES6_PlJNSB_9not_fun_tI7is_trueIsEEEEEE10hipError_tPvRmT3_T4_T5_T6_T7_T9_mT8_P12ihipStream_tbDpT10_ENKUlT_T0_E_clISt17integral_constantIbLb1EES17_IbLb0EEEEDaS13_S14_EUlS13_E_NS1_11comp_targetILNS1_3genE8ELNS1_11target_archE1030ELNS1_3gpuE2ELNS1_3repE0EEENS1_30default_config_static_selectorELNS0_4arch9wavefront6targetE0EEEvT1_, .Lfunc_end1292-_ZN7rocprim17ROCPRIM_400000_NS6detail17trampoline_kernelINS0_14default_configENS1_25partition_config_selectorILNS1_17partition_subalgoE6EsNS0_10empty_typeEbEEZZNS1_14partition_implILS5_6ELb0ES3_mN6thrust23THRUST_200600_302600_NS6detail15normal_iteratorINSA_10device_ptrIsEEEEPS6_SG_NS0_5tupleIJSF_S6_EEENSH_IJSG_SG_EEES6_PlJNSB_9not_fun_tI7is_trueIsEEEEEE10hipError_tPvRmT3_T4_T5_T6_T7_T9_mT8_P12ihipStream_tbDpT10_ENKUlT_T0_E_clISt17integral_constantIbLb1EES17_IbLb0EEEEDaS13_S14_EUlS13_E_NS1_11comp_targetILNS1_3genE8ELNS1_11target_archE1030ELNS1_3gpuE2ELNS1_3repE0EEENS1_30default_config_static_selectorELNS0_4arch9wavefront6targetE0EEEvT1_
                                        ; -- End function
	.set _ZN7rocprim17ROCPRIM_400000_NS6detail17trampoline_kernelINS0_14default_configENS1_25partition_config_selectorILNS1_17partition_subalgoE6EsNS0_10empty_typeEbEEZZNS1_14partition_implILS5_6ELb0ES3_mN6thrust23THRUST_200600_302600_NS6detail15normal_iteratorINSA_10device_ptrIsEEEEPS6_SG_NS0_5tupleIJSF_S6_EEENSH_IJSG_SG_EEES6_PlJNSB_9not_fun_tI7is_trueIsEEEEEE10hipError_tPvRmT3_T4_T5_T6_T7_T9_mT8_P12ihipStream_tbDpT10_ENKUlT_T0_E_clISt17integral_constantIbLb1EES17_IbLb0EEEEDaS13_S14_EUlS13_E_NS1_11comp_targetILNS1_3genE8ELNS1_11target_archE1030ELNS1_3gpuE2ELNS1_3repE0EEENS1_30default_config_static_selectorELNS0_4arch9wavefront6targetE0EEEvT1_.num_vgpr, 0
	.set _ZN7rocprim17ROCPRIM_400000_NS6detail17trampoline_kernelINS0_14default_configENS1_25partition_config_selectorILNS1_17partition_subalgoE6EsNS0_10empty_typeEbEEZZNS1_14partition_implILS5_6ELb0ES3_mN6thrust23THRUST_200600_302600_NS6detail15normal_iteratorINSA_10device_ptrIsEEEEPS6_SG_NS0_5tupleIJSF_S6_EEENSH_IJSG_SG_EEES6_PlJNSB_9not_fun_tI7is_trueIsEEEEEE10hipError_tPvRmT3_T4_T5_T6_T7_T9_mT8_P12ihipStream_tbDpT10_ENKUlT_T0_E_clISt17integral_constantIbLb1EES17_IbLb0EEEEDaS13_S14_EUlS13_E_NS1_11comp_targetILNS1_3genE8ELNS1_11target_archE1030ELNS1_3gpuE2ELNS1_3repE0EEENS1_30default_config_static_selectorELNS0_4arch9wavefront6targetE0EEEvT1_.num_agpr, 0
	.set _ZN7rocprim17ROCPRIM_400000_NS6detail17trampoline_kernelINS0_14default_configENS1_25partition_config_selectorILNS1_17partition_subalgoE6EsNS0_10empty_typeEbEEZZNS1_14partition_implILS5_6ELb0ES3_mN6thrust23THRUST_200600_302600_NS6detail15normal_iteratorINSA_10device_ptrIsEEEEPS6_SG_NS0_5tupleIJSF_S6_EEENSH_IJSG_SG_EEES6_PlJNSB_9not_fun_tI7is_trueIsEEEEEE10hipError_tPvRmT3_T4_T5_T6_T7_T9_mT8_P12ihipStream_tbDpT10_ENKUlT_T0_E_clISt17integral_constantIbLb1EES17_IbLb0EEEEDaS13_S14_EUlS13_E_NS1_11comp_targetILNS1_3genE8ELNS1_11target_archE1030ELNS1_3gpuE2ELNS1_3repE0EEENS1_30default_config_static_selectorELNS0_4arch9wavefront6targetE0EEEvT1_.numbered_sgpr, 0
	.set _ZN7rocprim17ROCPRIM_400000_NS6detail17trampoline_kernelINS0_14default_configENS1_25partition_config_selectorILNS1_17partition_subalgoE6EsNS0_10empty_typeEbEEZZNS1_14partition_implILS5_6ELb0ES3_mN6thrust23THRUST_200600_302600_NS6detail15normal_iteratorINSA_10device_ptrIsEEEEPS6_SG_NS0_5tupleIJSF_S6_EEENSH_IJSG_SG_EEES6_PlJNSB_9not_fun_tI7is_trueIsEEEEEE10hipError_tPvRmT3_T4_T5_T6_T7_T9_mT8_P12ihipStream_tbDpT10_ENKUlT_T0_E_clISt17integral_constantIbLb1EES17_IbLb0EEEEDaS13_S14_EUlS13_E_NS1_11comp_targetILNS1_3genE8ELNS1_11target_archE1030ELNS1_3gpuE2ELNS1_3repE0EEENS1_30default_config_static_selectorELNS0_4arch9wavefront6targetE0EEEvT1_.num_named_barrier, 0
	.set _ZN7rocprim17ROCPRIM_400000_NS6detail17trampoline_kernelINS0_14default_configENS1_25partition_config_selectorILNS1_17partition_subalgoE6EsNS0_10empty_typeEbEEZZNS1_14partition_implILS5_6ELb0ES3_mN6thrust23THRUST_200600_302600_NS6detail15normal_iteratorINSA_10device_ptrIsEEEEPS6_SG_NS0_5tupleIJSF_S6_EEENSH_IJSG_SG_EEES6_PlJNSB_9not_fun_tI7is_trueIsEEEEEE10hipError_tPvRmT3_T4_T5_T6_T7_T9_mT8_P12ihipStream_tbDpT10_ENKUlT_T0_E_clISt17integral_constantIbLb1EES17_IbLb0EEEEDaS13_S14_EUlS13_E_NS1_11comp_targetILNS1_3genE8ELNS1_11target_archE1030ELNS1_3gpuE2ELNS1_3repE0EEENS1_30default_config_static_selectorELNS0_4arch9wavefront6targetE0EEEvT1_.private_seg_size, 0
	.set _ZN7rocprim17ROCPRIM_400000_NS6detail17trampoline_kernelINS0_14default_configENS1_25partition_config_selectorILNS1_17partition_subalgoE6EsNS0_10empty_typeEbEEZZNS1_14partition_implILS5_6ELb0ES3_mN6thrust23THRUST_200600_302600_NS6detail15normal_iteratorINSA_10device_ptrIsEEEEPS6_SG_NS0_5tupleIJSF_S6_EEENSH_IJSG_SG_EEES6_PlJNSB_9not_fun_tI7is_trueIsEEEEEE10hipError_tPvRmT3_T4_T5_T6_T7_T9_mT8_P12ihipStream_tbDpT10_ENKUlT_T0_E_clISt17integral_constantIbLb1EES17_IbLb0EEEEDaS13_S14_EUlS13_E_NS1_11comp_targetILNS1_3genE8ELNS1_11target_archE1030ELNS1_3gpuE2ELNS1_3repE0EEENS1_30default_config_static_selectorELNS0_4arch9wavefront6targetE0EEEvT1_.uses_vcc, 0
	.set _ZN7rocprim17ROCPRIM_400000_NS6detail17trampoline_kernelINS0_14default_configENS1_25partition_config_selectorILNS1_17partition_subalgoE6EsNS0_10empty_typeEbEEZZNS1_14partition_implILS5_6ELb0ES3_mN6thrust23THRUST_200600_302600_NS6detail15normal_iteratorINSA_10device_ptrIsEEEEPS6_SG_NS0_5tupleIJSF_S6_EEENSH_IJSG_SG_EEES6_PlJNSB_9not_fun_tI7is_trueIsEEEEEE10hipError_tPvRmT3_T4_T5_T6_T7_T9_mT8_P12ihipStream_tbDpT10_ENKUlT_T0_E_clISt17integral_constantIbLb1EES17_IbLb0EEEEDaS13_S14_EUlS13_E_NS1_11comp_targetILNS1_3genE8ELNS1_11target_archE1030ELNS1_3gpuE2ELNS1_3repE0EEENS1_30default_config_static_selectorELNS0_4arch9wavefront6targetE0EEEvT1_.uses_flat_scratch, 0
	.set _ZN7rocprim17ROCPRIM_400000_NS6detail17trampoline_kernelINS0_14default_configENS1_25partition_config_selectorILNS1_17partition_subalgoE6EsNS0_10empty_typeEbEEZZNS1_14partition_implILS5_6ELb0ES3_mN6thrust23THRUST_200600_302600_NS6detail15normal_iteratorINSA_10device_ptrIsEEEEPS6_SG_NS0_5tupleIJSF_S6_EEENSH_IJSG_SG_EEES6_PlJNSB_9not_fun_tI7is_trueIsEEEEEE10hipError_tPvRmT3_T4_T5_T6_T7_T9_mT8_P12ihipStream_tbDpT10_ENKUlT_T0_E_clISt17integral_constantIbLb1EES17_IbLb0EEEEDaS13_S14_EUlS13_E_NS1_11comp_targetILNS1_3genE8ELNS1_11target_archE1030ELNS1_3gpuE2ELNS1_3repE0EEENS1_30default_config_static_selectorELNS0_4arch9wavefront6targetE0EEEvT1_.has_dyn_sized_stack, 0
	.set _ZN7rocprim17ROCPRIM_400000_NS6detail17trampoline_kernelINS0_14default_configENS1_25partition_config_selectorILNS1_17partition_subalgoE6EsNS0_10empty_typeEbEEZZNS1_14partition_implILS5_6ELb0ES3_mN6thrust23THRUST_200600_302600_NS6detail15normal_iteratorINSA_10device_ptrIsEEEEPS6_SG_NS0_5tupleIJSF_S6_EEENSH_IJSG_SG_EEES6_PlJNSB_9not_fun_tI7is_trueIsEEEEEE10hipError_tPvRmT3_T4_T5_T6_T7_T9_mT8_P12ihipStream_tbDpT10_ENKUlT_T0_E_clISt17integral_constantIbLb1EES17_IbLb0EEEEDaS13_S14_EUlS13_E_NS1_11comp_targetILNS1_3genE8ELNS1_11target_archE1030ELNS1_3gpuE2ELNS1_3repE0EEENS1_30default_config_static_selectorELNS0_4arch9wavefront6targetE0EEEvT1_.has_recursion, 0
	.set _ZN7rocprim17ROCPRIM_400000_NS6detail17trampoline_kernelINS0_14default_configENS1_25partition_config_selectorILNS1_17partition_subalgoE6EsNS0_10empty_typeEbEEZZNS1_14partition_implILS5_6ELb0ES3_mN6thrust23THRUST_200600_302600_NS6detail15normal_iteratorINSA_10device_ptrIsEEEEPS6_SG_NS0_5tupleIJSF_S6_EEENSH_IJSG_SG_EEES6_PlJNSB_9not_fun_tI7is_trueIsEEEEEE10hipError_tPvRmT3_T4_T5_T6_T7_T9_mT8_P12ihipStream_tbDpT10_ENKUlT_T0_E_clISt17integral_constantIbLb1EES17_IbLb0EEEEDaS13_S14_EUlS13_E_NS1_11comp_targetILNS1_3genE8ELNS1_11target_archE1030ELNS1_3gpuE2ELNS1_3repE0EEENS1_30default_config_static_selectorELNS0_4arch9wavefront6targetE0EEEvT1_.has_indirect_call, 0
	.section	.AMDGPU.csdata,"",@progbits
; Kernel info:
; codeLenInByte = 0
; TotalNumSgprs: 0
; NumVgprs: 0
; ScratchSize: 0
; MemoryBound: 0
; FloatMode: 240
; IeeeMode: 1
; LDSByteSize: 0 bytes/workgroup (compile time only)
; SGPRBlocks: 0
; VGPRBlocks: 0
; NumSGPRsForWavesPerEU: 1
; NumVGPRsForWavesPerEU: 1
; Occupancy: 16
; WaveLimiterHint : 0
; COMPUTE_PGM_RSRC2:SCRATCH_EN: 0
; COMPUTE_PGM_RSRC2:USER_SGPR: 2
; COMPUTE_PGM_RSRC2:TRAP_HANDLER: 0
; COMPUTE_PGM_RSRC2:TGID_X_EN: 1
; COMPUTE_PGM_RSRC2:TGID_Y_EN: 0
; COMPUTE_PGM_RSRC2:TGID_Z_EN: 0
; COMPUTE_PGM_RSRC2:TIDIG_COMP_CNT: 0
	.section	.text._ZN7rocprim17ROCPRIM_400000_NS6detail17trampoline_kernelINS0_14default_configENS1_25partition_config_selectorILNS1_17partition_subalgoE6EsNS0_10empty_typeEbEEZZNS1_14partition_implILS5_6ELb0ES3_mN6thrust23THRUST_200600_302600_NS6detail15normal_iteratorINSA_10device_ptrIsEEEEPS6_SG_NS0_5tupleIJSF_S6_EEENSH_IJSG_SG_EEES6_PlJNSB_9not_fun_tI7is_trueIsEEEEEE10hipError_tPvRmT3_T4_T5_T6_T7_T9_mT8_P12ihipStream_tbDpT10_ENKUlT_T0_E_clISt17integral_constantIbLb0EES17_IbLb1EEEEDaS13_S14_EUlS13_E_NS1_11comp_targetILNS1_3genE0ELNS1_11target_archE4294967295ELNS1_3gpuE0ELNS1_3repE0EEENS1_30default_config_static_selectorELNS0_4arch9wavefront6targetE0EEEvT1_,"axG",@progbits,_ZN7rocprim17ROCPRIM_400000_NS6detail17trampoline_kernelINS0_14default_configENS1_25partition_config_selectorILNS1_17partition_subalgoE6EsNS0_10empty_typeEbEEZZNS1_14partition_implILS5_6ELb0ES3_mN6thrust23THRUST_200600_302600_NS6detail15normal_iteratorINSA_10device_ptrIsEEEEPS6_SG_NS0_5tupleIJSF_S6_EEENSH_IJSG_SG_EEES6_PlJNSB_9not_fun_tI7is_trueIsEEEEEE10hipError_tPvRmT3_T4_T5_T6_T7_T9_mT8_P12ihipStream_tbDpT10_ENKUlT_T0_E_clISt17integral_constantIbLb0EES17_IbLb1EEEEDaS13_S14_EUlS13_E_NS1_11comp_targetILNS1_3genE0ELNS1_11target_archE4294967295ELNS1_3gpuE0ELNS1_3repE0EEENS1_30default_config_static_selectorELNS0_4arch9wavefront6targetE0EEEvT1_,comdat
	.protected	_ZN7rocprim17ROCPRIM_400000_NS6detail17trampoline_kernelINS0_14default_configENS1_25partition_config_selectorILNS1_17partition_subalgoE6EsNS0_10empty_typeEbEEZZNS1_14partition_implILS5_6ELb0ES3_mN6thrust23THRUST_200600_302600_NS6detail15normal_iteratorINSA_10device_ptrIsEEEEPS6_SG_NS0_5tupleIJSF_S6_EEENSH_IJSG_SG_EEES6_PlJNSB_9not_fun_tI7is_trueIsEEEEEE10hipError_tPvRmT3_T4_T5_T6_T7_T9_mT8_P12ihipStream_tbDpT10_ENKUlT_T0_E_clISt17integral_constantIbLb0EES17_IbLb1EEEEDaS13_S14_EUlS13_E_NS1_11comp_targetILNS1_3genE0ELNS1_11target_archE4294967295ELNS1_3gpuE0ELNS1_3repE0EEENS1_30default_config_static_selectorELNS0_4arch9wavefront6targetE0EEEvT1_ ; -- Begin function _ZN7rocprim17ROCPRIM_400000_NS6detail17trampoline_kernelINS0_14default_configENS1_25partition_config_selectorILNS1_17partition_subalgoE6EsNS0_10empty_typeEbEEZZNS1_14partition_implILS5_6ELb0ES3_mN6thrust23THRUST_200600_302600_NS6detail15normal_iteratorINSA_10device_ptrIsEEEEPS6_SG_NS0_5tupleIJSF_S6_EEENSH_IJSG_SG_EEES6_PlJNSB_9not_fun_tI7is_trueIsEEEEEE10hipError_tPvRmT3_T4_T5_T6_T7_T9_mT8_P12ihipStream_tbDpT10_ENKUlT_T0_E_clISt17integral_constantIbLb0EES17_IbLb1EEEEDaS13_S14_EUlS13_E_NS1_11comp_targetILNS1_3genE0ELNS1_11target_archE4294967295ELNS1_3gpuE0ELNS1_3repE0EEENS1_30default_config_static_selectorELNS0_4arch9wavefront6targetE0EEEvT1_
	.globl	_ZN7rocprim17ROCPRIM_400000_NS6detail17trampoline_kernelINS0_14default_configENS1_25partition_config_selectorILNS1_17partition_subalgoE6EsNS0_10empty_typeEbEEZZNS1_14partition_implILS5_6ELb0ES3_mN6thrust23THRUST_200600_302600_NS6detail15normal_iteratorINSA_10device_ptrIsEEEEPS6_SG_NS0_5tupleIJSF_S6_EEENSH_IJSG_SG_EEES6_PlJNSB_9not_fun_tI7is_trueIsEEEEEE10hipError_tPvRmT3_T4_T5_T6_T7_T9_mT8_P12ihipStream_tbDpT10_ENKUlT_T0_E_clISt17integral_constantIbLb0EES17_IbLb1EEEEDaS13_S14_EUlS13_E_NS1_11comp_targetILNS1_3genE0ELNS1_11target_archE4294967295ELNS1_3gpuE0ELNS1_3repE0EEENS1_30default_config_static_selectorELNS0_4arch9wavefront6targetE0EEEvT1_
	.p2align	8
	.type	_ZN7rocprim17ROCPRIM_400000_NS6detail17trampoline_kernelINS0_14default_configENS1_25partition_config_selectorILNS1_17partition_subalgoE6EsNS0_10empty_typeEbEEZZNS1_14partition_implILS5_6ELb0ES3_mN6thrust23THRUST_200600_302600_NS6detail15normal_iteratorINSA_10device_ptrIsEEEEPS6_SG_NS0_5tupleIJSF_S6_EEENSH_IJSG_SG_EEES6_PlJNSB_9not_fun_tI7is_trueIsEEEEEE10hipError_tPvRmT3_T4_T5_T6_T7_T9_mT8_P12ihipStream_tbDpT10_ENKUlT_T0_E_clISt17integral_constantIbLb0EES17_IbLb1EEEEDaS13_S14_EUlS13_E_NS1_11comp_targetILNS1_3genE0ELNS1_11target_archE4294967295ELNS1_3gpuE0ELNS1_3repE0EEENS1_30default_config_static_selectorELNS0_4arch9wavefront6targetE0EEEvT1_,@function
_ZN7rocprim17ROCPRIM_400000_NS6detail17trampoline_kernelINS0_14default_configENS1_25partition_config_selectorILNS1_17partition_subalgoE6EsNS0_10empty_typeEbEEZZNS1_14partition_implILS5_6ELb0ES3_mN6thrust23THRUST_200600_302600_NS6detail15normal_iteratorINSA_10device_ptrIsEEEEPS6_SG_NS0_5tupleIJSF_S6_EEENSH_IJSG_SG_EEES6_PlJNSB_9not_fun_tI7is_trueIsEEEEEE10hipError_tPvRmT3_T4_T5_T6_T7_T9_mT8_P12ihipStream_tbDpT10_ENKUlT_T0_E_clISt17integral_constantIbLb0EES17_IbLb1EEEEDaS13_S14_EUlS13_E_NS1_11comp_targetILNS1_3genE0ELNS1_11target_archE4294967295ELNS1_3gpuE0ELNS1_3repE0EEENS1_30default_config_static_selectorELNS0_4arch9wavefront6targetE0EEEvT1_: ; @_ZN7rocprim17ROCPRIM_400000_NS6detail17trampoline_kernelINS0_14default_configENS1_25partition_config_selectorILNS1_17partition_subalgoE6EsNS0_10empty_typeEbEEZZNS1_14partition_implILS5_6ELb0ES3_mN6thrust23THRUST_200600_302600_NS6detail15normal_iteratorINSA_10device_ptrIsEEEEPS6_SG_NS0_5tupleIJSF_S6_EEENSH_IJSG_SG_EEES6_PlJNSB_9not_fun_tI7is_trueIsEEEEEE10hipError_tPvRmT3_T4_T5_T6_T7_T9_mT8_P12ihipStream_tbDpT10_ENKUlT_T0_E_clISt17integral_constantIbLb0EES17_IbLb1EEEEDaS13_S14_EUlS13_E_NS1_11comp_targetILNS1_3genE0ELNS1_11target_archE4294967295ELNS1_3gpuE0ELNS1_3repE0EEENS1_30default_config_static_selectorELNS0_4arch9wavefront6targetE0EEEvT1_
; %bb.0:
	.section	.rodata,"a",@progbits
	.p2align	6, 0x0
	.amdhsa_kernel _ZN7rocprim17ROCPRIM_400000_NS6detail17trampoline_kernelINS0_14default_configENS1_25partition_config_selectorILNS1_17partition_subalgoE6EsNS0_10empty_typeEbEEZZNS1_14partition_implILS5_6ELb0ES3_mN6thrust23THRUST_200600_302600_NS6detail15normal_iteratorINSA_10device_ptrIsEEEEPS6_SG_NS0_5tupleIJSF_S6_EEENSH_IJSG_SG_EEES6_PlJNSB_9not_fun_tI7is_trueIsEEEEEE10hipError_tPvRmT3_T4_T5_T6_T7_T9_mT8_P12ihipStream_tbDpT10_ENKUlT_T0_E_clISt17integral_constantIbLb0EES17_IbLb1EEEEDaS13_S14_EUlS13_E_NS1_11comp_targetILNS1_3genE0ELNS1_11target_archE4294967295ELNS1_3gpuE0ELNS1_3repE0EEENS1_30default_config_static_selectorELNS0_4arch9wavefront6targetE0EEEvT1_
		.amdhsa_group_segment_fixed_size 0
		.amdhsa_private_segment_fixed_size 0
		.amdhsa_kernarg_size 128
		.amdhsa_user_sgpr_count 2
		.amdhsa_user_sgpr_dispatch_ptr 0
		.amdhsa_user_sgpr_queue_ptr 0
		.amdhsa_user_sgpr_kernarg_segment_ptr 1
		.amdhsa_user_sgpr_dispatch_id 0
		.amdhsa_user_sgpr_private_segment_size 0
		.amdhsa_wavefront_size32 1
		.amdhsa_uses_dynamic_stack 0
		.amdhsa_enable_private_segment 0
		.amdhsa_system_sgpr_workgroup_id_x 1
		.amdhsa_system_sgpr_workgroup_id_y 0
		.amdhsa_system_sgpr_workgroup_id_z 0
		.amdhsa_system_sgpr_workgroup_info 0
		.amdhsa_system_vgpr_workitem_id 0
		.amdhsa_next_free_vgpr 1
		.amdhsa_next_free_sgpr 1
		.amdhsa_reserve_vcc 0
		.amdhsa_float_round_mode_32 0
		.amdhsa_float_round_mode_16_64 0
		.amdhsa_float_denorm_mode_32 3
		.amdhsa_float_denorm_mode_16_64 3
		.amdhsa_fp16_overflow 0
		.amdhsa_workgroup_processor_mode 1
		.amdhsa_memory_ordered 1
		.amdhsa_forward_progress 1
		.amdhsa_inst_pref_size 0
		.amdhsa_round_robin_scheduling 0
		.amdhsa_exception_fp_ieee_invalid_op 0
		.amdhsa_exception_fp_denorm_src 0
		.amdhsa_exception_fp_ieee_div_zero 0
		.amdhsa_exception_fp_ieee_overflow 0
		.amdhsa_exception_fp_ieee_underflow 0
		.amdhsa_exception_fp_ieee_inexact 0
		.amdhsa_exception_int_div_zero 0
	.end_amdhsa_kernel
	.section	.text._ZN7rocprim17ROCPRIM_400000_NS6detail17trampoline_kernelINS0_14default_configENS1_25partition_config_selectorILNS1_17partition_subalgoE6EsNS0_10empty_typeEbEEZZNS1_14partition_implILS5_6ELb0ES3_mN6thrust23THRUST_200600_302600_NS6detail15normal_iteratorINSA_10device_ptrIsEEEEPS6_SG_NS0_5tupleIJSF_S6_EEENSH_IJSG_SG_EEES6_PlJNSB_9not_fun_tI7is_trueIsEEEEEE10hipError_tPvRmT3_T4_T5_T6_T7_T9_mT8_P12ihipStream_tbDpT10_ENKUlT_T0_E_clISt17integral_constantIbLb0EES17_IbLb1EEEEDaS13_S14_EUlS13_E_NS1_11comp_targetILNS1_3genE0ELNS1_11target_archE4294967295ELNS1_3gpuE0ELNS1_3repE0EEENS1_30default_config_static_selectorELNS0_4arch9wavefront6targetE0EEEvT1_,"axG",@progbits,_ZN7rocprim17ROCPRIM_400000_NS6detail17trampoline_kernelINS0_14default_configENS1_25partition_config_selectorILNS1_17partition_subalgoE6EsNS0_10empty_typeEbEEZZNS1_14partition_implILS5_6ELb0ES3_mN6thrust23THRUST_200600_302600_NS6detail15normal_iteratorINSA_10device_ptrIsEEEEPS6_SG_NS0_5tupleIJSF_S6_EEENSH_IJSG_SG_EEES6_PlJNSB_9not_fun_tI7is_trueIsEEEEEE10hipError_tPvRmT3_T4_T5_T6_T7_T9_mT8_P12ihipStream_tbDpT10_ENKUlT_T0_E_clISt17integral_constantIbLb0EES17_IbLb1EEEEDaS13_S14_EUlS13_E_NS1_11comp_targetILNS1_3genE0ELNS1_11target_archE4294967295ELNS1_3gpuE0ELNS1_3repE0EEENS1_30default_config_static_selectorELNS0_4arch9wavefront6targetE0EEEvT1_,comdat
.Lfunc_end1293:
	.size	_ZN7rocprim17ROCPRIM_400000_NS6detail17trampoline_kernelINS0_14default_configENS1_25partition_config_selectorILNS1_17partition_subalgoE6EsNS0_10empty_typeEbEEZZNS1_14partition_implILS5_6ELb0ES3_mN6thrust23THRUST_200600_302600_NS6detail15normal_iteratorINSA_10device_ptrIsEEEEPS6_SG_NS0_5tupleIJSF_S6_EEENSH_IJSG_SG_EEES6_PlJNSB_9not_fun_tI7is_trueIsEEEEEE10hipError_tPvRmT3_T4_T5_T6_T7_T9_mT8_P12ihipStream_tbDpT10_ENKUlT_T0_E_clISt17integral_constantIbLb0EES17_IbLb1EEEEDaS13_S14_EUlS13_E_NS1_11comp_targetILNS1_3genE0ELNS1_11target_archE4294967295ELNS1_3gpuE0ELNS1_3repE0EEENS1_30default_config_static_selectorELNS0_4arch9wavefront6targetE0EEEvT1_, .Lfunc_end1293-_ZN7rocprim17ROCPRIM_400000_NS6detail17trampoline_kernelINS0_14default_configENS1_25partition_config_selectorILNS1_17partition_subalgoE6EsNS0_10empty_typeEbEEZZNS1_14partition_implILS5_6ELb0ES3_mN6thrust23THRUST_200600_302600_NS6detail15normal_iteratorINSA_10device_ptrIsEEEEPS6_SG_NS0_5tupleIJSF_S6_EEENSH_IJSG_SG_EEES6_PlJNSB_9not_fun_tI7is_trueIsEEEEEE10hipError_tPvRmT3_T4_T5_T6_T7_T9_mT8_P12ihipStream_tbDpT10_ENKUlT_T0_E_clISt17integral_constantIbLb0EES17_IbLb1EEEEDaS13_S14_EUlS13_E_NS1_11comp_targetILNS1_3genE0ELNS1_11target_archE4294967295ELNS1_3gpuE0ELNS1_3repE0EEENS1_30default_config_static_selectorELNS0_4arch9wavefront6targetE0EEEvT1_
                                        ; -- End function
	.set _ZN7rocprim17ROCPRIM_400000_NS6detail17trampoline_kernelINS0_14default_configENS1_25partition_config_selectorILNS1_17partition_subalgoE6EsNS0_10empty_typeEbEEZZNS1_14partition_implILS5_6ELb0ES3_mN6thrust23THRUST_200600_302600_NS6detail15normal_iteratorINSA_10device_ptrIsEEEEPS6_SG_NS0_5tupleIJSF_S6_EEENSH_IJSG_SG_EEES6_PlJNSB_9not_fun_tI7is_trueIsEEEEEE10hipError_tPvRmT3_T4_T5_T6_T7_T9_mT8_P12ihipStream_tbDpT10_ENKUlT_T0_E_clISt17integral_constantIbLb0EES17_IbLb1EEEEDaS13_S14_EUlS13_E_NS1_11comp_targetILNS1_3genE0ELNS1_11target_archE4294967295ELNS1_3gpuE0ELNS1_3repE0EEENS1_30default_config_static_selectorELNS0_4arch9wavefront6targetE0EEEvT1_.num_vgpr, 0
	.set _ZN7rocprim17ROCPRIM_400000_NS6detail17trampoline_kernelINS0_14default_configENS1_25partition_config_selectorILNS1_17partition_subalgoE6EsNS0_10empty_typeEbEEZZNS1_14partition_implILS5_6ELb0ES3_mN6thrust23THRUST_200600_302600_NS6detail15normal_iteratorINSA_10device_ptrIsEEEEPS6_SG_NS0_5tupleIJSF_S6_EEENSH_IJSG_SG_EEES6_PlJNSB_9not_fun_tI7is_trueIsEEEEEE10hipError_tPvRmT3_T4_T5_T6_T7_T9_mT8_P12ihipStream_tbDpT10_ENKUlT_T0_E_clISt17integral_constantIbLb0EES17_IbLb1EEEEDaS13_S14_EUlS13_E_NS1_11comp_targetILNS1_3genE0ELNS1_11target_archE4294967295ELNS1_3gpuE0ELNS1_3repE0EEENS1_30default_config_static_selectorELNS0_4arch9wavefront6targetE0EEEvT1_.num_agpr, 0
	.set _ZN7rocprim17ROCPRIM_400000_NS6detail17trampoline_kernelINS0_14default_configENS1_25partition_config_selectorILNS1_17partition_subalgoE6EsNS0_10empty_typeEbEEZZNS1_14partition_implILS5_6ELb0ES3_mN6thrust23THRUST_200600_302600_NS6detail15normal_iteratorINSA_10device_ptrIsEEEEPS6_SG_NS0_5tupleIJSF_S6_EEENSH_IJSG_SG_EEES6_PlJNSB_9not_fun_tI7is_trueIsEEEEEE10hipError_tPvRmT3_T4_T5_T6_T7_T9_mT8_P12ihipStream_tbDpT10_ENKUlT_T0_E_clISt17integral_constantIbLb0EES17_IbLb1EEEEDaS13_S14_EUlS13_E_NS1_11comp_targetILNS1_3genE0ELNS1_11target_archE4294967295ELNS1_3gpuE0ELNS1_3repE0EEENS1_30default_config_static_selectorELNS0_4arch9wavefront6targetE0EEEvT1_.numbered_sgpr, 0
	.set _ZN7rocprim17ROCPRIM_400000_NS6detail17trampoline_kernelINS0_14default_configENS1_25partition_config_selectorILNS1_17partition_subalgoE6EsNS0_10empty_typeEbEEZZNS1_14partition_implILS5_6ELb0ES3_mN6thrust23THRUST_200600_302600_NS6detail15normal_iteratorINSA_10device_ptrIsEEEEPS6_SG_NS0_5tupleIJSF_S6_EEENSH_IJSG_SG_EEES6_PlJNSB_9not_fun_tI7is_trueIsEEEEEE10hipError_tPvRmT3_T4_T5_T6_T7_T9_mT8_P12ihipStream_tbDpT10_ENKUlT_T0_E_clISt17integral_constantIbLb0EES17_IbLb1EEEEDaS13_S14_EUlS13_E_NS1_11comp_targetILNS1_3genE0ELNS1_11target_archE4294967295ELNS1_3gpuE0ELNS1_3repE0EEENS1_30default_config_static_selectorELNS0_4arch9wavefront6targetE0EEEvT1_.num_named_barrier, 0
	.set _ZN7rocprim17ROCPRIM_400000_NS6detail17trampoline_kernelINS0_14default_configENS1_25partition_config_selectorILNS1_17partition_subalgoE6EsNS0_10empty_typeEbEEZZNS1_14partition_implILS5_6ELb0ES3_mN6thrust23THRUST_200600_302600_NS6detail15normal_iteratorINSA_10device_ptrIsEEEEPS6_SG_NS0_5tupleIJSF_S6_EEENSH_IJSG_SG_EEES6_PlJNSB_9not_fun_tI7is_trueIsEEEEEE10hipError_tPvRmT3_T4_T5_T6_T7_T9_mT8_P12ihipStream_tbDpT10_ENKUlT_T0_E_clISt17integral_constantIbLb0EES17_IbLb1EEEEDaS13_S14_EUlS13_E_NS1_11comp_targetILNS1_3genE0ELNS1_11target_archE4294967295ELNS1_3gpuE0ELNS1_3repE0EEENS1_30default_config_static_selectorELNS0_4arch9wavefront6targetE0EEEvT1_.private_seg_size, 0
	.set _ZN7rocprim17ROCPRIM_400000_NS6detail17trampoline_kernelINS0_14default_configENS1_25partition_config_selectorILNS1_17partition_subalgoE6EsNS0_10empty_typeEbEEZZNS1_14partition_implILS5_6ELb0ES3_mN6thrust23THRUST_200600_302600_NS6detail15normal_iteratorINSA_10device_ptrIsEEEEPS6_SG_NS0_5tupleIJSF_S6_EEENSH_IJSG_SG_EEES6_PlJNSB_9not_fun_tI7is_trueIsEEEEEE10hipError_tPvRmT3_T4_T5_T6_T7_T9_mT8_P12ihipStream_tbDpT10_ENKUlT_T0_E_clISt17integral_constantIbLb0EES17_IbLb1EEEEDaS13_S14_EUlS13_E_NS1_11comp_targetILNS1_3genE0ELNS1_11target_archE4294967295ELNS1_3gpuE0ELNS1_3repE0EEENS1_30default_config_static_selectorELNS0_4arch9wavefront6targetE0EEEvT1_.uses_vcc, 0
	.set _ZN7rocprim17ROCPRIM_400000_NS6detail17trampoline_kernelINS0_14default_configENS1_25partition_config_selectorILNS1_17partition_subalgoE6EsNS0_10empty_typeEbEEZZNS1_14partition_implILS5_6ELb0ES3_mN6thrust23THRUST_200600_302600_NS6detail15normal_iteratorINSA_10device_ptrIsEEEEPS6_SG_NS0_5tupleIJSF_S6_EEENSH_IJSG_SG_EEES6_PlJNSB_9not_fun_tI7is_trueIsEEEEEE10hipError_tPvRmT3_T4_T5_T6_T7_T9_mT8_P12ihipStream_tbDpT10_ENKUlT_T0_E_clISt17integral_constantIbLb0EES17_IbLb1EEEEDaS13_S14_EUlS13_E_NS1_11comp_targetILNS1_3genE0ELNS1_11target_archE4294967295ELNS1_3gpuE0ELNS1_3repE0EEENS1_30default_config_static_selectorELNS0_4arch9wavefront6targetE0EEEvT1_.uses_flat_scratch, 0
	.set _ZN7rocprim17ROCPRIM_400000_NS6detail17trampoline_kernelINS0_14default_configENS1_25partition_config_selectorILNS1_17partition_subalgoE6EsNS0_10empty_typeEbEEZZNS1_14partition_implILS5_6ELb0ES3_mN6thrust23THRUST_200600_302600_NS6detail15normal_iteratorINSA_10device_ptrIsEEEEPS6_SG_NS0_5tupleIJSF_S6_EEENSH_IJSG_SG_EEES6_PlJNSB_9not_fun_tI7is_trueIsEEEEEE10hipError_tPvRmT3_T4_T5_T6_T7_T9_mT8_P12ihipStream_tbDpT10_ENKUlT_T0_E_clISt17integral_constantIbLb0EES17_IbLb1EEEEDaS13_S14_EUlS13_E_NS1_11comp_targetILNS1_3genE0ELNS1_11target_archE4294967295ELNS1_3gpuE0ELNS1_3repE0EEENS1_30default_config_static_selectorELNS0_4arch9wavefront6targetE0EEEvT1_.has_dyn_sized_stack, 0
	.set _ZN7rocprim17ROCPRIM_400000_NS6detail17trampoline_kernelINS0_14default_configENS1_25partition_config_selectorILNS1_17partition_subalgoE6EsNS0_10empty_typeEbEEZZNS1_14partition_implILS5_6ELb0ES3_mN6thrust23THRUST_200600_302600_NS6detail15normal_iteratorINSA_10device_ptrIsEEEEPS6_SG_NS0_5tupleIJSF_S6_EEENSH_IJSG_SG_EEES6_PlJNSB_9not_fun_tI7is_trueIsEEEEEE10hipError_tPvRmT3_T4_T5_T6_T7_T9_mT8_P12ihipStream_tbDpT10_ENKUlT_T0_E_clISt17integral_constantIbLb0EES17_IbLb1EEEEDaS13_S14_EUlS13_E_NS1_11comp_targetILNS1_3genE0ELNS1_11target_archE4294967295ELNS1_3gpuE0ELNS1_3repE0EEENS1_30default_config_static_selectorELNS0_4arch9wavefront6targetE0EEEvT1_.has_recursion, 0
	.set _ZN7rocprim17ROCPRIM_400000_NS6detail17trampoline_kernelINS0_14default_configENS1_25partition_config_selectorILNS1_17partition_subalgoE6EsNS0_10empty_typeEbEEZZNS1_14partition_implILS5_6ELb0ES3_mN6thrust23THRUST_200600_302600_NS6detail15normal_iteratorINSA_10device_ptrIsEEEEPS6_SG_NS0_5tupleIJSF_S6_EEENSH_IJSG_SG_EEES6_PlJNSB_9not_fun_tI7is_trueIsEEEEEE10hipError_tPvRmT3_T4_T5_T6_T7_T9_mT8_P12ihipStream_tbDpT10_ENKUlT_T0_E_clISt17integral_constantIbLb0EES17_IbLb1EEEEDaS13_S14_EUlS13_E_NS1_11comp_targetILNS1_3genE0ELNS1_11target_archE4294967295ELNS1_3gpuE0ELNS1_3repE0EEENS1_30default_config_static_selectorELNS0_4arch9wavefront6targetE0EEEvT1_.has_indirect_call, 0
	.section	.AMDGPU.csdata,"",@progbits
; Kernel info:
; codeLenInByte = 0
; TotalNumSgprs: 0
; NumVgprs: 0
; ScratchSize: 0
; MemoryBound: 0
; FloatMode: 240
; IeeeMode: 1
; LDSByteSize: 0 bytes/workgroup (compile time only)
; SGPRBlocks: 0
; VGPRBlocks: 0
; NumSGPRsForWavesPerEU: 1
; NumVGPRsForWavesPerEU: 1
; Occupancy: 16
; WaveLimiterHint : 0
; COMPUTE_PGM_RSRC2:SCRATCH_EN: 0
; COMPUTE_PGM_RSRC2:USER_SGPR: 2
; COMPUTE_PGM_RSRC2:TRAP_HANDLER: 0
; COMPUTE_PGM_RSRC2:TGID_X_EN: 1
; COMPUTE_PGM_RSRC2:TGID_Y_EN: 0
; COMPUTE_PGM_RSRC2:TGID_Z_EN: 0
; COMPUTE_PGM_RSRC2:TIDIG_COMP_CNT: 0
	.section	.text._ZN7rocprim17ROCPRIM_400000_NS6detail17trampoline_kernelINS0_14default_configENS1_25partition_config_selectorILNS1_17partition_subalgoE6EsNS0_10empty_typeEbEEZZNS1_14partition_implILS5_6ELb0ES3_mN6thrust23THRUST_200600_302600_NS6detail15normal_iteratorINSA_10device_ptrIsEEEEPS6_SG_NS0_5tupleIJSF_S6_EEENSH_IJSG_SG_EEES6_PlJNSB_9not_fun_tI7is_trueIsEEEEEE10hipError_tPvRmT3_T4_T5_T6_T7_T9_mT8_P12ihipStream_tbDpT10_ENKUlT_T0_E_clISt17integral_constantIbLb0EES17_IbLb1EEEEDaS13_S14_EUlS13_E_NS1_11comp_targetILNS1_3genE5ELNS1_11target_archE942ELNS1_3gpuE9ELNS1_3repE0EEENS1_30default_config_static_selectorELNS0_4arch9wavefront6targetE0EEEvT1_,"axG",@progbits,_ZN7rocprim17ROCPRIM_400000_NS6detail17trampoline_kernelINS0_14default_configENS1_25partition_config_selectorILNS1_17partition_subalgoE6EsNS0_10empty_typeEbEEZZNS1_14partition_implILS5_6ELb0ES3_mN6thrust23THRUST_200600_302600_NS6detail15normal_iteratorINSA_10device_ptrIsEEEEPS6_SG_NS0_5tupleIJSF_S6_EEENSH_IJSG_SG_EEES6_PlJNSB_9not_fun_tI7is_trueIsEEEEEE10hipError_tPvRmT3_T4_T5_T6_T7_T9_mT8_P12ihipStream_tbDpT10_ENKUlT_T0_E_clISt17integral_constantIbLb0EES17_IbLb1EEEEDaS13_S14_EUlS13_E_NS1_11comp_targetILNS1_3genE5ELNS1_11target_archE942ELNS1_3gpuE9ELNS1_3repE0EEENS1_30default_config_static_selectorELNS0_4arch9wavefront6targetE0EEEvT1_,comdat
	.protected	_ZN7rocprim17ROCPRIM_400000_NS6detail17trampoline_kernelINS0_14default_configENS1_25partition_config_selectorILNS1_17partition_subalgoE6EsNS0_10empty_typeEbEEZZNS1_14partition_implILS5_6ELb0ES3_mN6thrust23THRUST_200600_302600_NS6detail15normal_iteratorINSA_10device_ptrIsEEEEPS6_SG_NS0_5tupleIJSF_S6_EEENSH_IJSG_SG_EEES6_PlJNSB_9not_fun_tI7is_trueIsEEEEEE10hipError_tPvRmT3_T4_T5_T6_T7_T9_mT8_P12ihipStream_tbDpT10_ENKUlT_T0_E_clISt17integral_constantIbLb0EES17_IbLb1EEEEDaS13_S14_EUlS13_E_NS1_11comp_targetILNS1_3genE5ELNS1_11target_archE942ELNS1_3gpuE9ELNS1_3repE0EEENS1_30default_config_static_selectorELNS0_4arch9wavefront6targetE0EEEvT1_ ; -- Begin function _ZN7rocprim17ROCPRIM_400000_NS6detail17trampoline_kernelINS0_14default_configENS1_25partition_config_selectorILNS1_17partition_subalgoE6EsNS0_10empty_typeEbEEZZNS1_14partition_implILS5_6ELb0ES3_mN6thrust23THRUST_200600_302600_NS6detail15normal_iteratorINSA_10device_ptrIsEEEEPS6_SG_NS0_5tupleIJSF_S6_EEENSH_IJSG_SG_EEES6_PlJNSB_9not_fun_tI7is_trueIsEEEEEE10hipError_tPvRmT3_T4_T5_T6_T7_T9_mT8_P12ihipStream_tbDpT10_ENKUlT_T0_E_clISt17integral_constantIbLb0EES17_IbLb1EEEEDaS13_S14_EUlS13_E_NS1_11comp_targetILNS1_3genE5ELNS1_11target_archE942ELNS1_3gpuE9ELNS1_3repE0EEENS1_30default_config_static_selectorELNS0_4arch9wavefront6targetE0EEEvT1_
	.globl	_ZN7rocprim17ROCPRIM_400000_NS6detail17trampoline_kernelINS0_14default_configENS1_25partition_config_selectorILNS1_17partition_subalgoE6EsNS0_10empty_typeEbEEZZNS1_14partition_implILS5_6ELb0ES3_mN6thrust23THRUST_200600_302600_NS6detail15normal_iteratorINSA_10device_ptrIsEEEEPS6_SG_NS0_5tupleIJSF_S6_EEENSH_IJSG_SG_EEES6_PlJNSB_9not_fun_tI7is_trueIsEEEEEE10hipError_tPvRmT3_T4_T5_T6_T7_T9_mT8_P12ihipStream_tbDpT10_ENKUlT_T0_E_clISt17integral_constantIbLb0EES17_IbLb1EEEEDaS13_S14_EUlS13_E_NS1_11comp_targetILNS1_3genE5ELNS1_11target_archE942ELNS1_3gpuE9ELNS1_3repE0EEENS1_30default_config_static_selectorELNS0_4arch9wavefront6targetE0EEEvT1_
	.p2align	8
	.type	_ZN7rocprim17ROCPRIM_400000_NS6detail17trampoline_kernelINS0_14default_configENS1_25partition_config_selectorILNS1_17partition_subalgoE6EsNS0_10empty_typeEbEEZZNS1_14partition_implILS5_6ELb0ES3_mN6thrust23THRUST_200600_302600_NS6detail15normal_iteratorINSA_10device_ptrIsEEEEPS6_SG_NS0_5tupleIJSF_S6_EEENSH_IJSG_SG_EEES6_PlJNSB_9not_fun_tI7is_trueIsEEEEEE10hipError_tPvRmT3_T4_T5_T6_T7_T9_mT8_P12ihipStream_tbDpT10_ENKUlT_T0_E_clISt17integral_constantIbLb0EES17_IbLb1EEEEDaS13_S14_EUlS13_E_NS1_11comp_targetILNS1_3genE5ELNS1_11target_archE942ELNS1_3gpuE9ELNS1_3repE0EEENS1_30default_config_static_selectorELNS0_4arch9wavefront6targetE0EEEvT1_,@function
_ZN7rocprim17ROCPRIM_400000_NS6detail17trampoline_kernelINS0_14default_configENS1_25partition_config_selectorILNS1_17partition_subalgoE6EsNS0_10empty_typeEbEEZZNS1_14partition_implILS5_6ELb0ES3_mN6thrust23THRUST_200600_302600_NS6detail15normal_iteratorINSA_10device_ptrIsEEEEPS6_SG_NS0_5tupleIJSF_S6_EEENSH_IJSG_SG_EEES6_PlJNSB_9not_fun_tI7is_trueIsEEEEEE10hipError_tPvRmT3_T4_T5_T6_T7_T9_mT8_P12ihipStream_tbDpT10_ENKUlT_T0_E_clISt17integral_constantIbLb0EES17_IbLb1EEEEDaS13_S14_EUlS13_E_NS1_11comp_targetILNS1_3genE5ELNS1_11target_archE942ELNS1_3gpuE9ELNS1_3repE0EEENS1_30default_config_static_selectorELNS0_4arch9wavefront6targetE0EEEvT1_: ; @_ZN7rocprim17ROCPRIM_400000_NS6detail17trampoline_kernelINS0_14default_configENS1_25partition_config_selectorILNS1_17partition_subalgoE6EsNS0_10empty_typeEbEEZZNS1_14partition_implILS5_6ELb0ES3_mN6thrust23THRUST_200600_302600_NS6detail15normal_iteratorINSA_10device_ptrIsEEEEPS6_SG_NS0_5tupleIJSF_S6_EEENSH_IJSG_SG_EEES6_PlJNSB_9not_fun_tI7is_trueIsEEEEEE10hipError_tPvRmT3_T4_T5_T6_T7_T9_mT8_P12ihipStream_tbDpT10_ENKUlT_T0_E_clISt17integral_constantIbLb0EES17_IbLb1EEEEDaS13_S14_EUlS13_E_NS1_11comp_targetILNS1_3genE5ELNS1_11target_archE942ELNS1_3gpuE9ELNS1_3repE0EEENS1_30default_config_static_selectorELNS0_4arch9wavefront6targetE0EEEvT1_
; %bb.0:
	.section	.rodata,"a",@progbits
	.p2align	6, 0x0
	.amdhsa_kernel _ZN7rocprim17ROCPRIM_400000_NS6detail17trampoline_kernelINS0_14default_configENS1_25partition_config_selectorILNS1_17partition_subalgoE6EsNS0_10empty_typeEbEEZZNS1_14partition_implILS5_6ELb0ES3_mN6thrust23THRUST_200600_302600_NS6detail15normal_iteratorINSA_10device_ptrIsEEEEPS6_SG_NS0_5tupleIJSF_S6_EEENSH_IJSG_SG_EEES6_PlJNSB_9not_fun_tI7is_trueIsEEEEEE10hipError_tPvRmT3_T4_T5_T6_T7_T9_mT8_P12ihipStream_tbDpT10_ENKUlT_T0_E_clISt17integral_constantIbLb0EES17_IbLb1EEEEDaS13_S14_EUlS13_E_NS1_11comp_targetILNS1_3genE5ELNS1_11target_archE942ELNS1_3gpuE9ELNS1_3repE0EEENS1_30default_config_static_selectorELNS0_4arch9wavefront6targetE0EEEvT1_
		.amdhsa_group_segment_fixed_size 0
		.amdhsa_private_segment_fixed_size 0
		.amdhsa_kernarg_size 128
		.amdhsa_user_sgpr_count 2
		.amdhsa_user_sgpr_dispatch_ptr 0
		.amdhsa_user_sgpr_queue_ptr 0
		.amdhsa_user_sgpr_kernarg_segment_ptr 1
		.amdhsa_user_sgpr_dispatch_id 0
		.amdhsa_user_sgpr_private_segment_size 0
		.amdhsa_wavefront_size32 1
		.amdhsa_uses_dynamic_stack 0
		.amdhsa_enable_private_segment 0
		.amdhsa_system_sgpr_workgroup_id_x 1
		.amdhsa_system_sgpr_workgroup_id_y 0
		.amdhsa_system_sgpr_workgroup_id_z 0
		.amdhsa_system_sgpr_workgroup_info 0
		.amdhsa_system_vgpr_workitem_id 0
		.amdhsa_next_free_vgpr 1
		.amdhsa_next_free_sgpr 1
		.amdhsa_reserve_vcc 0
		.amdhsa_float_round_mode_32 0
		.amdhsa_float_round_mode_16_64 0
		.amdhsa_float_denorm_mode_32 3
		.amdhsa_float_denorm_mode_16_64 3
		.amdhsa_fp16_overflow 0
		.amdhsa_workgroup_processor_mode 1
		.amdhsa_memory_ordered 1
		.amdhsa_forward_progress 1
		.amdhsa_inst_pref_size 0
		.amdhsa_round_robin_scheduling 0
		.amdhsa_exception_fp_ieee_invalid_op 0
		.amdhsa_exception_fp_denorm_src 0
		.amdhsa_exception_fp_ieee_div_zero 0
		.amdhsa_exception_fp_ieee_overflow 0
		.amdhsa_exception_fp_ieee_underflow 0
		.amdhsa_exception_fp_ieee_inexact 0
		.amdhsa_exception_int_div_zero 0
	.end_amdhsa_kernel
	.section	.text._ZN7rocprim17ROCPRIM_400000_NS6detail17trampoline_kernelINS0_14default_configENS1_25partition_config_selectorILNS1_17partition_subalgoE6EsNS0_10empty_typeEbEEZZNS1_14partition_implILS5_6ELb0ES3_mN6thrust23THRUST_200600_302600_NS6detail15normal_iteratorINSA_10device_ptrIsEEEEPS6_SG_NS0_5tupleIJSF_S6_EEENSH_IJSG_SG_EEES6_PlJNSB_9not_fun_tI7is_trueIsEEEEEE10hipError_tPvRmT3_T4_T5_T6_T7_T9_mT8_P12ihipStream_tbDpT10_ENKUlT_T0_E_clISt17integral_constantIbLb0EES17_IbLb1EEEEDaS13_S14_EUlS13_E_NS1_11comp_targetILNS1_3genE5ELNS1_11target_archE942ELNS1_3gpuE9ELNS1_3repE0EEENS1_30default_config_static_selectorELNS0_4arch9wavefront6targetE0EEEvT1_,"axG",@progbits,_ZN7rocprim17ROCPRIM_400000_NS6detail17trampoline_kernelINS0_14default_configENS1_25partition_config_selectorILNS1_17partition_subalgoE6EsNS0_10empty_typeEbEEZZNS1_14partition_implILS5_6ELb0ES3_mN6thrust23THRUST_200600_302600_NS6detail15normal_iteratorINSA_10device_ptrIsEEEEPS6_SG_NS0_5tupleIJSF_S6_EEENSH_IJSG_SG_EEES6_PlJNSB_9not_fun_tI7is_trueIsEEEEEE10hipError_tPvRmT3_T4_T5_T6_T7_T9_mT8_P12ihipStream_tbDpT10_ENKUlT_T0_E_clISt17integral_constantIbLb0EES17_IbLb1EEEEDaS13_S14_EUlS13_E_NS1_11comp_targetILNS1_3genE5ELNS1_11target_archE942ELNS1_3gpuE9ELNS1_3repE0EEENS1_30default_config_static_selectorELNS0_4arch9wavefront6targetE0EEEvT1_,comdat
.Lfunc_end1294:
	.size	_ZN7rocprim17ROCPRIM_400000_NS6detail17trampoline_kernelINS0_14default_configENS1_25partition_config_selectorILNS1_17partition_subalgoE6EsNS0_10empty_typeEbEEZZNS1_14partition_implILS5_6ELb0ES3_mN6thrust23THRUST_200600_302600_NS6detail15normal_iteratorINSA_10device_ptrIsEEEEPS6_SG_NS0_5tupleIJSF_S6_EEENSH_IJSG_SG_EEES6_PlJNSB_9not_fun_tI7is_trueIsEEEEEE10hipError_tPvRmT3_T4_T5_T6_T7_T9_mT8_P12ihipStream_tbDpT10_ENKUlT_T0_E_clISt17integral_constantIbLb0EES17_IbLb1EEEEDaS13_S14_EUlS13_E_NS1_11comp_targetILNS1_3genE5ELNS1_11target_archE942ELNS1_3gpuE9ELNS1_3repE0EEENS1_30default_config_static_selectorELNS0_4arch9wavefront6targetE0EEEvT1_, .Lfunc_end1294-_ZN7rocprim17ROCPRIM_400000_NS6detail17trampoline_kernelINS0_14default_configENS1_25partition_config_selectorILNS1_17partition_subalgoE6EsNS0_10empty_typeEbEEZZNS1_14partition_implILS5_6ELb0ES3_mN6thrust23THRUST_200600_302600_NS6detail15normal_iteratorINSA_10device_ptrIsEEEEPS6_SG_NS0_5tupleIJSF_S6_EEENSH_IJSG_SG_EEES6_PlJNSB_9not_fun_tI7is_trueIsEEEEEE10hipError_tPvRmT3_T4_T5_T6_T7_T9_mT8_P12ihipStream_tbDpT10_ENKUlT_T0_E_clISt17integral_constantIbLb0EES17_IbLb1EEEEDaS13_S14_EUlS13_E_NS1_11comp_targetILNS1_3genE5ELNS1_11target_archE942ELNS1_3gpuE9ELNS1_3repE0EEENS1_30default_config_static_selectorELNS0_4arch9wavefront6targetE0EEEvT1_
                                        ; -- End function
	.set _ZN7rocprim17ROCPRIM_400000_NS6detail17trampoline_kernelINS0_14default_configENS1_25partition_config_selectorILNS1_17partition_subalgoE6EsNS0_10empty_typeEbEEZZNS1_14partition_implILS5_6ELb0ES3_mN6thrust23THRUST_200600_302600_NS6detail15normal_iteratorINSA_10device_ptrIsEEEEPS6_SG_NS0_5tupleIJSF_S6_EEENSH_IJSG_SG_EEES6_PlJNSB_9not_fun_tI7is_trueIsEEEEEE10hipError_tPvRmT3_T4_T5_T6_T7_T9_mT8_P12ihipStream_tbDpT10_ENKUlT_T0_E_clISt17integral_constantIbLb0EES17_IbLb1EEEEDaS13_S14_EUlS13_E_NS1_11comp_targetILNS1_3genE5ELNS1_11target_archE942ELNS1_3gpuE9ELNS1_3repE0EEENS1_30default_config_static_selectorELNS0_4arch9wavefront6targetE0EEEvT1_.num_vgpr, 0
	.set _ZN7rocprim17ROCPRIM_400000_NS6detail17trampoline_kernelINS0_14default_configENS1_25partition_config_selectorILNS1_17partition_subalgoE6EsNS0_10empty_typeEbEEZZNS1_14partition_implILS5_6ELb0ES3_mN6thrust23THRUST_200600_302600_NS6detail15normal_iteratorINSA_10device_ptrIsEEEEPS6_SG_NS0_5tupleIJSF_S6_EEENSH_IJSG_SG_EEES6_PlJNSB_9not_fun_tI7is_trueIsEEEEEE10hipError_tPvRmT3_T4_T5_T6_T7_T9_mT8_P12ihipStream_tbDpT10_ENKUlT_T0_E_clISt17integral_constantIbLb0EES17_IbLb1EEEEDaS13_S14_EUlS13_E_NS1_11comp_targetILNS1_3genE5ELNS1_11target_archE942ELNS1_3gpuE9ELNS1_3repE0EEENS1_30default_config_static_selectorELNS0_4arch9wavefront6targetE0EEEvT1_.num_agpr, 0
	.set _ZN7rocprim17ROCPRIM_400000_NS6detail17trampoline_kernelINS0_14default_configENS1_25partition_config_selectorILNS1_17partition_subalgoE6EsNS0_10empty_typeEbEEZZNS1_14partition_implILS5_6ELb0ES3_mN6thrust23THRUST_200600_302600_NS6detail15normal_iteratorINSA_10device_ptrIsEEEEPS6_SG_NS0_5tupleIJSF_S6_EEENSH_IJSG_SG_EEES6_PlJNSB_9not_fun_tI7is_trueIsEEEEEE10hipError_tPvRmT3_T4_T5_T6_T7_T9_mT8_P12ihipStream_tbDpT10_ENKUlT_T0_E_clISt17integral_constantIbLb0EES17_IbLb1EEEEDaS13_S14_EUlS13_E_NS1_11comp_targetILNS1_3genE5ELNS1_11target_archE942ELNS1_3gpuE9ELNS1_3repE0EEENS1_30default_config_static_selectorELNS0_4arch9wavefront6targetE0EEEvT1_.numbered_sgpr, 0
	.set _ZN7rocprim17ROCPRIM_400000_NS6detail17trampoline_kernelINS0_14default_configENS1_25partition_config_selectorILNS1_17partition_subalgoE6EsNS0_10empty_typeEbEEZZNS1_14partition_implILS5_6ELb0ES3_mN6thrust23THRUST_200600_302600_NS6detail15normal_iteratorINSA_10device_ptrIsEEEEPS6_SG_NS0_5tupleIJSF_S6_EEENSH_IJSG_SG_EEES6_PlJNSB_9not_fun_tI7is_trueIsEEEEEE10hipError_tPvRmT3_T4_T5_T6_T7_T9_mT8_P12ihipStream_tbDpT10_ENKUlT_T0_E_clISt17integral_constantIbLb0EES17_IbLb1EEEEDaS13_S14_EUlS13_E_NS1_11comp_targetILNS1_3genE5ELNS1_11target_archE942ELNS1_3gpuE9ELNS1_3repE0EEENS1_30default_config_static_selectorELNS0_4arch9wavefront6targetE0EEEvT1_.num_named_barrier, 0
	.set _ZN7rocprim17ROCPRIM_400000_NS6detail17trampoline_kernelINS0_14default_configENS1_25partition_config_selectorILNS1_17partition_subalgoE6EsNS0_10empty_typeEbEEZZNS1_14partition_implILS5_6ELb0ES3_mN6thrust23THRUST_200600_302600_NS6detail15normal_iteratorINSA_10device_ptrIsEEEEPS6_SG_NS0_5tupleIJSF_S6_EEENSH_IJSG_SG_EEES6_PlJNSB_9not_fun_tI7is_trueIsEEEEEE10hipError_tPvRmT3_T4_T5_T6_T7_T9_mT8_P12ihipStream_tbDpT10_ENKUlT_T0_E_clISt17integral_constantIbLb0EES17_IbLb1EEEEDaS13_S14_EUlS13_E_NS1_11comp_targetILNS1_3genE5ELNS1_11target_archE942ELNS1_3gpuE9ELNS1_3repE0EEENS1_30default_config_static_selectorELNS0_4arch9wavefront6targetE0EEEvT1_.private_seg_size, 0
	.set _ZN7rocprim17ROCPRIM_400000_NS6detail17trampoline_kernelINS0_14default_configENS1_25partition_config_selectorILNS1_17partition_subalgoE6EsNS0_10empty_typeEbEEZZNS1_14partition_implILS5_6ELb0ES3_mN6thrust23THRUST_200600_302600_NS6detail15normal_iteratorINSA_10device_ptrIsEEEEPS6_SG_NS0_5tupleIJSF_S6_EEENSH_IJSG_SG_EEES6_PlJNSB_9not_fun_tI7is_trueIsEEEEEE10hipError_tPvRmT3_T4_T5_T6_T7_T9_mT8_P12ihipStream_tbDpT10_ENKUlT_T0_E_clISt17integral_constantIbLb0EES17_IbLb1EEEEDaS13_S14_EUlS13_E_NS1_11comp_targetILNS1_3genE5ELNS1_11target_archE942ELNS1_3gpuE9ELNS1_3repE0EEENS1_30default_config_static_selectorELNS0_4arch9wavefront6targetE0EEEvT1_.uses_vcc, 0
	.set _ZN7rocprim17ROCPRIM_400000_NS6detail17trampoline_kernelINS0_14default_configENS1_25partition_config_selectorILNS1_17partition_subalgoE6EsNS0_10empty_typeEbEEZZNS1_14partition_implILS5_6ELb0ES3_mN6thrust23THRUST_200600_302600_NS6detail15normal_iteratorINSA_10device_ptrIsEEEEPS6_SG_NS0_5tupleIJSF_S6_EEENSH_IJSG_SG_EEES6_PlJNSB_9not_fun_tI7is_trueIsEEEEEE10hipError_tPvRmT3_T4_T5_T6_T7_T9_mT8_P12ihipStream_tbDpT10_ENKUlT_T0_E_clISt17integral_constantIbLb0EES17_IbLb1EEEEDaS13_S14_EUlS13_E_NS1_11comp_targetILNS1_3genE5ELNS1_11target_archE942ELNS1_3gpuE9ELNS1_3repE0EEENS1_30default_config_static_selectorELNS0_4arch9wavefront6targetE0EEEvT1_.uses_flat_scratch, 0
	.set _ZN7rocprim17ROCPRIM_400000_NS6detail17trampoline_kernelINS0_14default_configENS1_25partition_config_selectorILNS1_17partition_subalgoE6EsNS0_10empty_typeEbEEZZNS1_14partition_implILS5_6ELb0ES3_mN6thrust23THRUST_200600_302600_NS6detail15normal_iteratorINSA_10device_ptrIsEEEEPS6_SG_NS0_5tupleIJSF_S6_EEENSH_IJSG_SG_EEES6_PlJNSB_9not_fun_tI7is_trueIsEEEEEE10hipError_tPvRmT3_T4_T5_T6_T7_T9_mT8_P12ihipStream_tbDpT10_ENKUlT_T0_E_clISt17integral_constantIbLb0EES17_IbLb1EEEEDaS13_S14_EUlS13_E_NS1_11comp_targetILNS1_3genE5ELNS1_11target_archE942ELNS1_3gpuE9ELNS1_3repE0EEENS1_30default_config_static_selectorELNS0_4arch9wavefront6targetE0EEEvT1_.has_dyn_sized_stack, 0
	.set _ZN7rocprim17ROCPRIM_400000_NS6detail17trampoline_kernelINS0_14default_configENS1_25partition_config_selectorILNS1_17partition_subalgoE6EsNS0_10empty_typeEbEEZZNS1_14partition_implILS5_6ELb0ES3_mN6thrust23THRUST_200600_302600_NS6detail15normal_iteratorINSA_10device_ptrIsEEEEPS6_SG_NS0_5tupleIJSF_S6_EEENSH_IJSG_SG_EEES6_PlJNSB_9not_fun_tI7is_trueIsEEEEEE10hipError_tPvRmT3_T4_T5_T6_T7_T9_mT8_P12ihipStream_tbDpT10_ENKUlT_T0_E_clISt17integral_constantIbLb0EES17_IbLb1EEEEDaS13_S14_EUlS13_E_NS1_11comp_targetILNS1_3genE5ELNS1_11target_archE942ELNS1_3gpuE9ELNS1_3repE0EEENS1_30default_config_static_selectorELNS0_4arch9wavefront6targetE0EEEvT1_.has_recursion, 0
	.set _ZN7rocprim17ROCPRIM_400000_NS6detail17trampoline_kernelINS0_14default_configENS1_25partition_config_selectorILNS1_17partition_subalgoE6EsNS0_10empty_typeEbEEZZNS1_14partition_implILS5_6ELb0ES3_mN6thrust23THRUST_200600_302600_NS6detail15normal_iteratorINSA_10device_ptrIsEEEEPS6_SG_NS0_5tupleIJSF_S6_EEENSH_IJSG_SG_EEES6_PlJNSB_9not_fun_tI7is_trueIsEEEEEE10hipError_tPvRmT3_T4_T5_T6_T7_T9_mT8_P12ihipStream_tbDpT10_ENKUlT_T0_E_clISt17integral_constantIbLb0EES17_IbLb1EEEEDaS13_S14_EUlS13_E_NS1_11comp_targetILNS1_3genE5ELNS1_11target_archE942ELNS1_3gpuE9ELNS1_3repE0EEENS1_30default_config_static_selectorELNS0_4arch9wavefront6targetE0EEEvT1_.has_indirect_call, 0
	.section	.AMDGPU.csdata,"",@progbits
; Kernel info:
; codeLenInByte = 0
; TotalNumSgprs: 0
; NumVgprs: 0
; ScratchSize: 0
; MemoryBound: 0
; FloatMode: 240
; IeeeMode: 1
; LDSByteSize: 0 bytes/workgroup (compile time only)
; SGPRBlocks: 0
; VGPRBlocks: 0
; NumSGPRsForWavesPerEU: 1
; NumVGPRsForWavesPerEU: 1
; Occupancy: 16
; WaveLimiterHint : 0
; COMPUTE_PGM_RSRC2:SCRATCH_EN: 0
; COMPUTE_PGM_RSRC2:USER_SGPR: 2
; COMPUTE_PGM_RSRC2:TRAP_HANDLER: 0
; COMPUTE_PGM_RSRC2:TGID_X_EN: 1
; COMPUTE_PGM_RSRC2:TGID_Y_EN: 0
; COMPUTE_PGM_RSRC2:TGID_Z_EN: 0
; COMPUTE_PGM_RSRC2:TIDIG_COMP_CNT: 0
	.section	.text._ZN7rocprim17ROCPRIM_400000_NS6detail17trampoline_kernelINS0_14default_configENS1_25partition_config_selectorILNS1_17partition_subalgoE6EsNS0_10empty_typeEbEEZZNS1_14partition_implILS5_6ELb0ES3_mN6thrust23THRUST_200600_302600_NS6detail15normal_iteratorINSA_10device_ptrIsEEEEPS6_SG_NS0_5tupleIJSF_S6_EEENSH_IJSG_SG_EEES6_PlJNSB_9not_fun_tI7is_trueIsEEEEEE10hipError_tPvRmT3_T4_T5_T6_T7_T9_mT8_P12ihipStream_tbDpT10_ENKUlT_T0_E_clISt17integral_constantIbLb0EES17_IbLb1EEEEDaS13_S14_EUlS13_E_NS1_11comp_targetILNS1_3genE4ELNS1_11target_archE910ELNS1_3gpuE8ELNS1_3repE0EEENS1_30default_config_static_selectorELNS0_4arch9wavefront6targetE0EEEvT1_,"axG",@progbits,_ZN7rocprim17ROCPRIM_400000_NS6detail17trampoline_kernelINS0_14default_configENS1_25partition_config_selectorILNS1_17partition_subalgoE6EsNS0_10empty_typeEbEEZZNS1_14partition_implILS5_6ELb0ES3_mN6thrust23THRUST_200600_302600_NS6detail15normal_iteratorINSA_10device_ptrIsEEEEPS6_SG_NS0_5tupleIJSF_S6_EEENSH_IJSG_SG_EEES6_PlJNSB_9not_fun_tI7is_trueIsEEEEEE10hipError_tPvRmT3_T4_T5_T6_T7_T9_mT8_P12ihipStream_tbDpT10_ENKUlT_T0_E_clISt17integral_constantIbLb0EES17_IbLb1EEEEDaS13_S14_EUlS13_E_NS1_11comp_targetILNS1_3genE4ELNS1_11target_archE910ELNS1_3gpuE8ELNS1_3repE0EEENS1_30default_config_static_selectorELNS0_4arch9wavefront6targetE0EEEvT1_,comdat
	.protected	_ZN7rocprim17ROCPRIM_400000_NS6detail17trampoline_kernelINS0_14default_configENS1_25partition_config_selectorILNS1_17partition_subalgoE6EsNS0_10empty_typeEbEEZZNS1_14partition_implILS5_6ELb0ES3_mN6thrust23THRUST_200600_302600_NS6detail15normal_iteratorINSA_10device_ptrIsEEEEPS6_SG_NS0_5tupleIJSF_S6_EEENSH_IJSG_SG_EEES6_PlJNSB_9not_fun_tI7is_trueIsEEEEEE10hipError_tPvRmT3_T4_T5_T6_T7_T9_mT8_P12ihipStream_tbDpT10_ENKUlT_T0_E_clISt17integral_constantIbLb0EES17_IbLb1EEEEDaS13_S14_EUlS13_E_NS1_11comp_targetILNS1_3genE4ELNS1_11target_archE910ELNS1_3gpuE8ELNS1_3repE0EEENS1_30default_config_static_selectorELNS0_4arch9wavefront6targetE0EEEvT1_ ; -- Begin function _ZN7rocprim17ROCPRIM_400000_NS6detail17trampoline_kernelINS0_14default_configENS1_25partition_config_selectorILNS1_17partition_subalgoE6EsNS0_10empty_typeEbEEZZNS1_14partition_implILS5_6ELb0ES3_mN6thrust23THRUST_200600_302600_NS6detail15normal_iteratorINSA_10device_ptrIsEEEEPS6_SG_NS0_5tupleIJSF_S6_EEENSH_IJSG_SG_EEES6_PlJNSB_9not_fun_tI7is_trueIsEEEEEE10hipError_tPvRmT3_T4_T5_T6_T7_T9_mT8_P12ihipStream_tbDpT10_ENKUlT_T0_E_clISt17integral_constantIbLb0EES17_IbLb1EEEEDaS13_S14_EUlS13_E_NS1_11comp_targetILNS1_3genE4ELNS1_11target_archE910ELNS1_3gpuE8ELNS1_3repE0EEENS1_30default_config_static_selectorELNS0_4arch9wavefront6targetE0EEEvT1_
	.globl	_ZN7rocprim17ROCPRIM_400000_NS6detail17trampoline_kernelINS0_14default_configENS1_25partition_config_selectorILNS1_17partition_subalgoE6EsNS0_10empty_typeEbEEZZNS1_14partition_implILS5_6ELb0ES3_mN6thrust23THRUST_200600_302600_NS6detail15normal_iteratorINSA_10device_ptrIsEEEEPS6_SG_NS0_5tupleIJSF_S6_EEENSH_IJSG_SG_EEES6_PlJNSB_9not_fun_tI7is_trueIsEEEEEE10hipError_tPvRmT3_T4_T5_T6_T7_T9_mT8_P12ihipStream_tbDpT10_ENKUlT_T0_E_clISt17integral_constantIbLb0EES17_IbLb1EEEEDaS13_S14_EUlS13_E_NS1_11comp_targetILNS1_3genE4ELNS1_11target_archE910ELNS1_3gpuE8ELNS1_3repE0EEENS1_30default_config_static_selectorELNS0_4arch9wavefront6targetE0EEEvT1_
	.p2align	8
	.type	_ZN7rocprim17ROCPRIM_400000_NS6detail17trampoline_kernelINS0_14default_configENS1_25partition_config_selectorILNS1_17partition_subalgoE6EsNS0_10empty_typeEbEEZZNS1_14partition_implILS5_6ELb0ES3_mN6thrust23THRUST_200600_302600_NS6detail15normal_iteratorINSA_10device_ptrIsEEEEPS6_SG_NS0_5tupleIJSF_S6_EEENSH_IJSG_SG_EEES6_PlJNSB_9not_fun_tI7is_trueIsEEEEEE10hipError_tPvRmT3_T4_T5_T6_T7_T9_mT8_P12ihipStream_tbDpT10_ENKUlT_T0_E_clISt17integral_constantIbLb0EES17_IbLb1EEEEDaS13_S14_EUlS13_E_NS1_11comp_targetILNS1_3genE4ELNS1_11target_archE910ELNS1_3gpuE8ELNS1_3repE0EEENS1_30default_config_static_selectorELNS0_4arch9wavefront6targetE0EEEvT1_,@function
_ZN7rocprim17ROCPRIM_400000_NS6detail17trampoline_kernelINS0_14default_configENS1_25partition_config_selectorILNS1_17partition_subalgoE6EsNS0_10empty_typeEbEEZZNS1_14partition_implILS5_6ELb0ES3_mN6thrust23THRUST_200600_302600_NS6detail15normal_iteratorINSA_10device_ptrIsEEEEPS6_SG_NS0_5tupleIJSF_S6_EEENSH_IJSG_SG_EEES6_PlJNSB_9not_fun_tI7is_trueIsEEEEEE10hipError_tPvRmT3_T4_T5_T6_T7_T9_mT8_P12ihipStream_tbDpT10_ENKUlT_T0_E_clISt17integral_constantIbLb0EES17_IbLb1EEEEDaS13_S14_EUlS13_E_NS1_11comp_targetILNS1_3genE4ELNS1_11target_archE910ELNS1_3gpuE8ELNS1_3repE0EEENS1_30default_config_static_selectorELNS0_4arch9wavefront6targetE0EEEvT1_: ; @_ZN7rocprim17ROCPRIM_400000_NS6detail17trampoline_kernelINS0_14default_configENS1_25partition_config_selectorILNS1_17partition_subalgoE6EsNS0_10empty_typeEbEEZZNS1_14partition_implILS5_6ELb0ES3_mN6thrust23THRUST_200600_302600_NS6detail15normal_iteratorINSA_10device_ptrIsEEEEPS6_SG_NS0_5tupleIJSF_S6_EEENSH_IJSG_SG_EEES6_PlJNSB_9not_fun_tI7is_trueIsEEEEEE10hipError_tPvRmT3_T4_T5_T6_T7_T9_mT8_P12ihipStream_tbDpT10_ENKUlT_T0_E_clISt17integral_constantIbLb0EES17_IbLb1EEEEDaS13_S14_EUlS13_E_NS1_11comp_targetILNS1_3genE4ELNS1_11target_archE910ELNS1_3gpuE8ELNS1_3repE0EEENS1_30default_config_static_selectorELNS0_4arch9wavefront6targetE0EEEvT1_
; %bb.0:
	.section	.rodata,"a",@progbits
	.p2align	6, 0x0
	.amdhsa_kernel _ZN7rocprim17ROCPRIM_400000_NS6detail17trampoline_kernelINS0_14default_configENS1_25partition_config_selectorILNS1_17partition_subalgoE6EsNS0_10empty_typeEbEEZZNS1_14partition_implILS5_6ELb0ES3_mN6thrust23THRUST_200600_302600_NS6detail15normal_iteratorINSA_10device_ptrIsEEEEPS6_SG_NS0_5tupleIJSF_S6_EEENSH_IJSG_SG_EEES6_PlJNSB_9not_fun_tI7is_trueIsEEEEEE10hipError_tPvRmT3_T4_T5_T6_T7_T9_mT8_P12ihipStream_tbDpT10_ENKUlT_T0_E_clISt17integral_constantIbLb0EES17_IbLb1EEEEDaS13_S14_EUlS13_E_NS1_11comp_targetILNS1_3genE4ELNS1_11target_archE910ELNS1_3gpuE8ELNS1_3repE0EEENS1_30default_config_static_selectorELNS0_4arch9wavefront6targetE0EEEvT1_
		.amdhsa_group_segment_fixed_size 0
		.amdhsa_private_segment_fixed_size 0
		.amdhsa_kernarg_size 128
		.amdhsa_user_sgpr_count 2
		.amdhsa_user_sgpr_dispatch_ptr 0
		.amdhsa_user_sgpr_queue_ptr 0
		.amdhsa_user_sgpr_kernarg_segment_ptr 1
		.amdhsa_user_sgpr_dispatch_id 0
		.amdhsa_user_sgpr_private_segment_size 0
		.amdhsa_wavefront_size32 1
		.amdhsa_uses_dynamic_stack 0
		.amdhsa_enable_private_segment 0
		.amdhsa_system_sgpr_workgroup_id_x 1
		.amdhsa_system_sgpr_workgroup_id_y 0
		.amdhsa_system_sgpr_workgroup_id_z 0
		.amdhsa_system_sgpr_workgroup_info 0
		.amdhsa_system_vgpr_workitem_id 0
		.amdhsa_next_free_vgpr 1
		.amdhsa_next_free_sgpr 1
		.amdhsa_reserve_vcc 0
		.amdhsa_float_round_mode_32 0
		.amdhsa_float_round_mode_16_64 0
		.amdhsa_float_denorm_mode_32 3
		.amdhsa_float_denorm_mode_16_64 3
		.amdhsa_fp16_overflow 0
		.amdhsa_workgroup_processor_mode 1
		.amdhsa_memory_ordered 1
		.amdhsa_forward_progress 1
		.amdhsa_inst_pref_size 0
		.amdhsa_round_robin_scheduling 0
		.amdhsa_exception_fp_ieee_invalid_op 0
		.amdhsa_exception_fp_denorm_src 0
		.amdhsa_exception_fp_ieee_div_zero 0
		.amdhsa_exception_fp_ieee_overflow 0
		.amdhsa_exception_fp_ieee_underflow 0
		.amdhsa_exception_fp_ieee_inexact 0
		.amdhsa_exception_int_div_zero 0
	.end_amdhsa_kernel
	.section	.text._ZN7rocprim17ROCPRIM_400000_NS6detail17trampoline_kernelINS0_14default_configENS1_25partition_config_selectorILNS1_17partition_subalgoE6EsNS0_10empty_typeEbEEZZNS1_14partition_implILS5_6ELb0ES3_mN6thrust23THRUST_200600_302600_NS6detail15normal_iteratorINSA_10device_ptrIsEEEEPS6_SG_NS0_5tupleIJSF_S6_EEENSH_IJSG_SG_EEES6_PlJNSB_9not_fun_tI7is_trueIsEEEEEE10hipError_tPvRmT3_T4_T5_T6_T7_T9_mT8_P12ihipStream_tbDpT10_ENKUlT_T0_E_clISt17integral_constantIbLb0EES17_IbLb1EEEEDaS13_S14_EUlS13_E_NS1_11comp_targetILNS1_3genE4ELNS1_11target_archE910ELNS1_3gpuE8ELNS1_3repE0EEENS1_30default_config_static_selectorELNS0_4arch9wavefront6targetE0EEEvT1_,"axG",@progbits,_ZN7rocprim17ROCPRIM_400000_NS6detail17trampoline_kernelINS0_14default_configENS1_25partition_config_selectorILNS1_17partition_subalgoE6EsNS0_10empty_typeEbEEZZNS1_14partition_implILS5_6ELb0ES3_mN6thrust23THRUST_200600_302600_NS6detail15normal_iteratorINSA_10device_ptrIsEEEEPS6_SG_NS0_5tupleIJSF_S6_EEENSH_IJSG_SG_EEES6_PlJNSB_9not_fun_tI7is_trueIsEEEEEE10hipError_tPvRmT3_T4_T5_T6_T7_T9_mT8_P12ihipStream_tbDpT10_ENKUlT_T0_E_clISt17integral_constantIbLb0EES17_IbLb1EEEEDaS13_S14_EUlS13_E_NS1_11comp_targetILNS1_3genE4ELNS1_11target_archE910ELNS1_3gpuE8ELNS1_3repE0EEENS1_30default_config_static_selectorELNS0_4arch9wavefront6targetE0EEEvT1_,comdat
.Lfunc_end1295:
	.size	_ZN7rocprim17ROCPRIM_400000_NS6detail17trampoline_kernelINS0_14default_configENS1_25partition_config_selectorILNS1_17partition_subalgoE6EsNS0_10empty_typeEbEEZZNS1_14partition_implILS5_6ELb0ES3_mN6thrust23THRUST_200600_302600_NS6detail15normal_iteratorINSA_10device_ptrIsEEEEPS6_SG_NS0_5tupleIJSF_S6_EEENSH_IJSG_SG_EEES6_PlJNSB_9not_fun_tI7is_trueIsEEEEEE10hipError_tPvRmT3_T4_T5_T6_T7_T9_mT8_P12ihipStream_tbDpT10_ENKUlT_T0_E_clISt17integral_constantIbLb0EES17_IbLb1EEEEDaS13_S14_EUlS13_E_NS1_11comp_targetILNS1_3genE4ELNS1_11target_archE910ELNS1_3gpuE8ELNS1_3repE0EEENS1_30default_config_static_selectorELNS0_4arch9wavefront6targetE0EEEvT1_, .Lfunc_end1295-_ZN7rocprim17ROCPRIM_400000_NS6detail17trampoline_kernelINS0_14default_configENS1_25partition_config_selectorILNS1_17partition_subalgoE6EsNS0_10empty_typeEbEEZZNS1_14partition_implILS5_6ELb0ES3_mN6thrust23THRUST_200600_302600_NS6detail15normal_iteratorINSA_10device_ptrIsEEEEPS6_SG_NS0_5tupleIJSF_S6_EEENSH_IJSG_SG_EEES6_PlJNSB_9not_fun_tI7is_trueIsEEEEEE10hipError_tPvRmT3_T4_T5_T6_T7_T9_mT8_P12ihipStream_tbDpT10_ENKUlT_T0_E_clISt17integral_constantIbLb0EES17_IbLb1EEEEDaS13_S14_EUlS13_E_NS1_11comp_targetILNS1_3genE4ELNS1_11target_archE910ELNS1_3gpuE8ELNS1_3repE0EEENS1_30default_config_static_selectorELNS0_4arch9wavefront6targetE0EEEvT1_
                                        ; -- End function
	.set _ZN7rocprim17ROCPRIM_400000_NS6detail17trampoline_kernelINS0_14default_configENS1_25partition_config_selectorILNS1_17partition_subalgoE6EsNS0_10empty_typeEbEEZZNS1_14partition_implILS5_6ELb0ES3_mN6thrust23THRUST_200600_302600_NS6detail15normal_iteratorINSA_10device_ptrIsEEEEPS6_SG_NS0_5tupleIJSF_S6_EEENSH_IJSG_SG_EEES6_PlJNSB_9not_fun_tI7is_trueIsEEEEEE10hipError_tPvRmT3_T4_T5_T6_T7_T9_mT8_P12ihipStream_tbDpT10_ENKUlT_T0_E_clISt17integral_constantIbLb0EES17_IbLb1EEEEDaS13_S14_EUlS13_E_NS1_11comp_targetILNS1_3genE4ELNS1_11target_archE910ELNS1_3gpuE8ELNS1_3repE0EEENS1_30default_config_static_selectorELNS0_4arch9wavefront6targetE0EEEvT1_.num_vgpr, 0
	.set _ZN7rocprim17ROCPRIM_400000_NS6detail17trampoline_kernelINS0_14default_configENS1_25partition_config_selectorILNS1_17partition_subalgoE6EsNS0_10empty_typeEbEEZZNS1_14partition_implILS5_6ELb0ES3_mN6thrust23THRUST_200600_302600_NS6detail15normal_iteratorINSA_10device_ptrIsEEEEPS6_SG_NS0_5tupleIJSF_S6_EEENSH_IJSG_SG_EEES6_PlJNSB_9not_fun_tI7is_trueIsEEEEEE10hipError_tPvRmT3_T4_T5_T6_T7_T9_mT8_P12ihipStream_tbDpT10_ENKUlT_T0_E_clISt17integral_constantIbLb0EES17_IbLb1EEEEDaS13_S14_EUlS13_E_NS1_11comp_targetILNS1_3genE4ELNS1_11target_archE910ELNS1_3gpuE8ELNS1_3repE0EEENS1_30default_config_static_selectorELNS0_4arch9wavefront6targetE0EEEvT1_.num_agpr, 0
	.set _ZN7rocprim17ROCPRIM_400000_NS6detail17trampoline_kernelINS0_14default_configENS1_25partition_config_selectorILNS1_17partition_subalgoE6EsNS0_10empty_typeEbEEZZNS1_14partition_implILS5_6ELb0ES3_mN6thrust23THRUST_200600_302600_NS6detail15normal_iteratorINSA_10device_ptrIsEEEEPS6_SG_NS0_5tupleIJSF_S6_EEENSH_IJSG_SG_EEES6_PlJNSB_9not_fun_tI7is_trueIsEEEEEE10hipError_tPvRmT3_T4_T5_T6_T7_T9_mT8_P12ihipStream_tbDpT10_ENKUlT_T0_E_clISt17integral_constantIbLb0EES17_IbLb1EEEEDaS13_S14_EUlS13_E_NS1_11comp_targetILNS1_3genE4ELNS1_11target_archE910ELNS1_3gpuE8ELNS1_3repE0EEENS1_30default_config_static_selectorELNS0_4arch9wavefront6targetE0EEEvT1_.numbered_sgpr, 0
	.set _ZN7rocprim17ROCPRIM_400000_NS6detail17trampoline_kernelINS0_14default_configENS1_25partition_config_selectorILNS1_17partition_subalgoE6EsNS0_10empty_typeEbEEZZNS1_14partition_implILS5_6ELb0ES3_mN6thrust23THRUST_200600_302600_NS6detail15normal_iteratorINSA_10device_ptrIsEEEEPS6_SG_NS0_5tupleIJSF_S6_EEENSH_IJSG_SG_EEES6_PlJNSB_9not_fun_tI7is_trueIsEEEEEE10hipError_tPvRmT3_T4_T5_T6_T7_T9_mT8_P12ihipStream_tbDpT10_ENKUlT_T0_E_clISt17integral_constantIbLb0EES17_IbLb1EEEEDaS13_S14_EUlS13_E_NS1_11comp_targetILNS1_3genE4ELNS1_11target_archE910ELNS1_3gpuE8ELNS1_3repE0EEENS1_30default_config_static_selectorELNS0_4arch9wavefront6targetE0EEEvT1_.num_named_barrier, 0
	.set _ZN7rocprim17ROCPRIM_400000_NS6detail17trampoline_kernelINS0_14default_configENS1_25partition_config_selectorILNS1_17partition_subalgoE6EsNS0_10empty_typeEbEEZZNS1_14partition_implILS5_6ELb0ES3_mN6thrust23THRUST_200600_302600_NS6detail15normal_iteratorINSA_10device_ptrIsEEEEPS6_SG_NS0_5tupleIJSF_S6_EEENSH_IJSG_SG_EEES6_PlJNSB_9not_fun_tI7is_trueIsEEEEEE10hipError_tPvRmT3_T4_T5_T6_T7_T9_mT8_P12ihipStream_tbDpT10_ENKUlT_T0_E_clISt17integral_constantIbLb0EES17_IbLb1EEEEDaS13_S14_EUlS13_E_NS1_11comp_targetILNS1_3genE4ELNS1_11target_archE910ELNS1_3gpuE8ELNS1_3repE0EEENS1_30default_config_static_selectorELNS0_4arch9wavefront6targetE0EEEvT1_.private_seg_size, 0
	.set _ZN7rocprim17ROCPRIM_400000_NS6detail17trampoline_kernelINS0_14default_configENS1_25partition_config_selectorILNS1_17partition_subalgoE6EsNS0_10empty_typeEbEEZZNS1_14partition_implILS5_6ELb0ES3_mN6thrust23THRUST_200600_302600_NS6detail15normal_iteratorINSA_10device_ptrIsEEEEPS6_SG_NS0_5tupleIJSF_S6_EEENSH_IJSG_SG_EEES6_PlJNSB_9not_fun_tI7is_trueIsEEEEEE10hipError_tPvRmT3_T4_T5_T6_T7_T9_mT8_P12ihipStream_tbDpT10_ENKUlT_T0_E_clISt17integral_constantIbLb0EES17_IbLb1EEEEDaS13_S14_EUlS13_E_NS1_11comp_targetILNS1_3genE4ELNS1_11target_archE910ELNS1_3gpuE8ELNS1_3repE0EEENS1_30default_config_static_selectorELNS0_4arch9wavefront6targetE0EEEvT1_.uses_vcc, 0
	.set _ZN7rocprim17ROCPRIM_400000_NS6detail17trampoline_kernelINS0_14default_configENS1_25partition_config_selectorILNS1_17partition_subalgoE6EsNS0_10empty_typeEbEEZZNS1_14partition_implILS5_6ELb0ES3_mN6thrust23THRUST_200600_302600_NS6detail15normal_iteratorINSA_10device_ptrIsEEEEPS6_SG_NS0_5tupleIJSF_S6_EEENSH_IJSG_SG_EEES6_PlJNSB_9not_fun_tI7is_trueIsEEEEEE10hipError_tPvRmT3_T4_T5_T6_T7_T9_mT8_P12ihipStream_tbDpT10_ENKUlT_T0_E_clISt17integral_constantIbLb0EES17_IbLb1EEEEDaS13_S14_EUlS13_E_NS1_11comp_targetILNS1_3genE4ELNS1_11target_archE910ELNS1_3gpuE8ELNS1_3repE0EEENS1_30default_config_static_selectorELNS0_4arch9wavefront6targetE0EEEvT1_.uses_flat_scratch, 0
	.set _ZN7rocprim17ROCPRIM_400000_NS6detail17trampoline_kernelINS0_14default_configENS1_25partition_config_selectorILNS1_17partition_subalgoE6EsNS0_10empty_typeEbEEZZNS1_14partition_implILS5_6ELb0ES3_mN6thrust23THRUST_200600_302600_NS6detail15normal_iteratorINSA_10device_ptrIsEEEEPS6_SG_NS0_5tupleIJSF_S6_EEENSH_IJSG_SG_EEES6_PlJNSB_9not_fun_tI7is_trueIsEEEEEE10hipError_tPvRmT3_T4_T5_T6_T7_T9_mT8_P12ihipStream_tbDpT10_ENKUlT_T0_E_clISt17integral_constantIbLb0EES17_IbLb1EEEEDaS13_S14_EUlS13_E_NS1_11comp_targetILNS1_3genE4ELNS1_11target_archE910ELNS1_3gpuE8ELNS1_3repE0EEENS1_30default_config_static_selectorELNS0_4arch9wavefront6targetE0EEEvT1_.has_dyn_sized_stack, 0
	.set _ZN7rocprim17ROCPRIM_400000_NS6detail17trampoline_kernelINS0_14default_configENS1_25partition_config_selectorILNS1_17partition_subalgoE6EsNS0_10empty_typeEbEEZZNS1_14partition_implILS5_6ELb0ES3_mN6thrust23THRUST_200600_302600_NS6detail15normal_iteratorINSA_10device_ptrIsEEEEPS6_SG_NS0_5tupleIJSF_S6_EEENSH_IJSG_SG_EEES6_PlJNSB_9not_fun_tI7is_trueIsEEEEEE10hipError_tPvRmT3_T4_T5_T6_T7_T9_mT8_P12ihipStream_tbDpT10_ENKUlT_T0_E_clISt17integral_constantIbLb0EES17_IbLb1EEEEDaS13_S14_EUlS13_E_NS1_11comp_targetILNS1_3genE4ELNS1_11target_archE910ELNS1_3gpuE8ELNS1_3repE0EEENS1_30default_config_static_selectorELNS0_4arch9wavefront6targetE0EEEvT1_.has_recursion, 0
	.set _ZN7rocprim17ROCPRIM_400000_NS6detail17trampoline_kernelINS0_14default_configENS1_25partition_config_selectorILNS1_17partition_subalgoE6EsNS0_10empty_typeEbEEZZNS1_14partition_implILS5_6ELb0ES3_mN6thrust23THRUST_200600_302600_NS6detail15normal_iteratorINSA_10device_ptrIsEEEEPS6_SG_NS0_5tupleIJSF_S6_EEENSH_IJSG_SG_EEES6_PlJNSB_9not_fun_tI7is_trueIsEEEEEE10hipError_tPvRmT3_T4_T5_T6_T7_T9_mT8_P12ihipStream_tbDpT10_ENKUlT_T0_E_clISt17integral_constantIbLb0EES17_IbLb1EEEEDaS13_S14_EUlS13_E_NS1_11comp_targetILNS1_3genE4ELNS1_11target_archE910ELNS1_3gpuE8ELNS1_3repE0EEENS1_30default_config_static_selectorELNS0_4arch9wavefront6targetE0EEEvT1_.has_indirect_call, 0
	.section	.AMDGPU.csdata,"",@progbits
; Kernel info:
; codeLenInByte = 0
; TotalNumSgprs: 0
; NumVgprs: 0
; ScratchSize: 0
; MemoryBound: 0
; FloatMode: 240
; IeeeMode: 1
; LDSByteSize: 0 bytes/workgroup (compile time only)
; SGPRBlocks: 0
; VGPRBlocks: 0
; NumSGPRsForWavesPerEU: 1
; NumVGPRsForWavesPerEU: 1
; Occupancy: 16
; WaveLimiterHint : 0
; COMPUTE_PGM_RSRC2:SCRATCH_EN: 0
; COMPUTE_PGM_RSRC2:USER_SGPR: 2
; COMPUTE_PGM_RSRC2:TRAP_HANDLER: 0
; COMPUTE_PGM_RSRC2:TGID_X_EN: 1
; COMPUTE_PGM_RSRC2:TGID_Y_EN: 0
; COMPUTE_PGM_RSRC2:TGID_Z_EN: 0
; COMPUTE_PGM_RSRC2:TIDIG_COMP_CNT: 0
	.section	.text._ZN7rocprim17ROCPRIM_400000_NS6detail17trampoline_kernelINS0_14default_configENS1_25partition_config_selectorILNS1_17partition_subalgoE6EsNS0_10empty_typeEbEEZZNS1_14partition_implILS5_6ELb0ES3_mN6thrust23THRUST_200600_302600_NS6detail15normal_iteratorINSA_10device_ptrIsEEEEPS6_SG_NS0_5tupleIJSF_S6_EEENSH_IJSG_SG_EEES6_PlJNSB_9not_fun_tI7is_trueIsEEEEEE10hipError_tPvRmT3_T4_T5_T6_T7_T9_mT8_P12ihipStream_tbDpT10_ENKUlT_T0_E_clISt17integral_constantIbLb0EES17_IbLb1EEEEDaS13_S14_EUlS13_E_NS1_11comp_targetILNS1_3genE3ELNS1_11target_archE908ELNS1_3gpuE7ELNS1_3repE0EEENS1_30default_config_static_selectorELNS0_4arch9wavefront6targetE0EEEvT1_,"axG",@progbits,_ZN7rocprim17ROCPRIM_400000_NS6detail17trampoline_kernelINS0_14default_configENS1_25partition_config_selectorILNS1_17partition_subalgoE6EsNS0_10empty_typeEbEEZZNS1_14partition_implILS5_6ELb0ES3_mN6thrust23THRUST_200600_302600_NS6detail15normal_iteratorINSA_10device_ptrIsEEEEPS6_SG_NS0_5tupleIJSF_S6_EEENSH_IJSG_SG_EEES6_PlJNSB_9not_fun_tI7is_trueIsEEEEEE10hipError_tPvRmT3_T4_T5_T6_T7_T9_mT8_P12ihipStream_tbDpT10_ENKUlT_T0_E_clISt17integral_constantIbLb0EES17_IbLb1EEEEDaS13_S14_EUlS13_E_NS1_11comp_targetILNS1_3genE3ELNS1_11target_archE908ELNS1_3gpuE7ELNS1_3repE0EEENS1_30default_config_static_selectorELNS0_4arch9wavefront6targetE0EEEvT1_,comdat
	.protected	_ZN7rocprim17ROCPRIM_400000_NS6detail17trampoline_kernelINS0_14default_configENS1_25partition_config_selectorILNS1_17partition_subalgoE6EsNS0_10empty_typeEbEEZZNS1_14partition_implILS5_6ELb0ES3_mN6thrust23THRUST_200600_302600_NS6detail15normal_iteratorINSA_10device_ptrIsEEEEPS6_SG_NS0_5tupleIJSF_S6_EEENSH_IJSG_SG_EEES6_PlJNSB_9not_fun_tI7is_trueIsEEEEEE10hipError_tPvRmT3_T4_T5_T6_T7_T9_mT8_P12ihipStream_tbDpT10_ENKUlT_T0_E_clISt17integral_constantIbLb0EES17_IbLb1EEEEDaS13_S14_EUlS13_E_NS1_11comp_targetILNS1_3genE3ELNS1_11target_archE908ELNS1_3gpuE7ELNS1_3repE0EEENS1_30default_config_static_selectorELNS0_4arch9wavefront6targetE0EEEvT1_ ; -- Begin function _ZN7rocprim17ROCPRIM_400000_NS6detail17trampoline_kernelINS0_14default_configENS1_25partition_config_selectorILNS1_17partition_subalgoE6EsNS0_10empty_typeEbEEZZNS1_14partition_implILS5_6ELb0ES3_mN6thrust23THRUST_200600_302600_NS6detail15normal_iteratorINSA_10device_ptrIsEEEEPS6_SG_NS0_5tupleIJSF_S6_EEENSH_IJSG_SG_EEES6_PlJNSB_9not_fun_tI7is_trueIsEEEEEE10hipError_tPvRmT3_T4_T5_T6_T7_T9_mT8_P12ihipStream_tbDpT10_ENKUlT_T0_E_clISt17integral_constantIbLb0EES17_IbLb1EEEEDaS13_S14_EUlS13_E_NS1_11comp_targetILNS1_3genE3ELNS1_11target_archE908ELNS1_3gpuE7ELNS1_3repE0EEENS1_30default_config_static_selectorELNS0_4arch9wavefront6targetE0EEEvT1_
	.globl	_ZN7rocprim17ROCPRIM_400000_NS6detail17trampoline_kernelINS0_14default_configENS1_25partition_config_selectorILNS1_17partition_subalgoE6EsNS0_10empty_typeEbEEZZNS1_14partition_implILS5_6ELb0ES3_mN6thrust23THRUST_200600_302600_NS6detail15normal_iteratorINSA_10device_ptrIsEEEEPS6_SG_NS0_5tupleIJSF_S6_EEENSH_IJSG_SG_EEES6_PlJNSB_9not_fun_tI7is_trueIsEEEEEE10hipError_tPvRmT3_T4_T5_T6_T7_T9_mT8_P12ihipStream_tbDpT10_ENKUlT_T0_E_clISt17integral_constantIbLb0EES17_IbLb1EEEEDaS13_S14_EUlS13_E_NS1_11comp_targetILNS1_3genE3ELNS1_11target_archE908ELNS1_3gpuE7ELNS1_3repE0EEENS1_30default_config_static_selectorELNS0_4arch9wavefront6targetE0EEEvT1_
	.p2align	8
	.type	_ZN7rocprim17ROCPRIM_400000_NS6detail17trampoline_kernelINS0_14default_configENS1_25partition_config_selectorILNS1_17partition_subalgoE6EsNS0_10empty_typeEbEEZZNS1_14partition_implILS5_6ELb0ES3_mN6thrust23THRUST_200600_302600_NS6detail15normal_iteratorINSA_10device_ptrIsEEEEPS6_SG_NS0_5tupleIJSF_S6_EEENSH_IJSG_SG_EEES6_PlJNSB_9not_fun_tI7is_trueIsEEEEEE10hipError_tPvRmT3_T4_T5_T6_T7_T9_mT8_P12ihipStream_tbDpT10_ENKUlT_T0_E_clISt17integral_constantIbLb0EES17_IbLb1EEEEDaS13_S14_EUlS13_E_NS1_11comp_targetILNS1_3genE3ELNS1_11target_archE908ELNS1_3gpuE7ELNS1_3repE0EEENS1_30default_config_static_selectorELNS0_4arch9wavefront6targetE0EEEvT1_,@function
_ZN7rocprim17ROCPRIM_400000_NS6detail17trampoline_kernelINS0_14default_configENS1_25partition_config_selectorILNS1_17partition_subalgoE6EsNS0_10empty_typeEbEEZZNS1_14partition_implILS5_6ELb0ES3_mN6thrust23THRUST_200600_302600_NS6detail15normal_iteratorINSA_10device_ptrIsEEEEPS6_SG_NS0_5tupleIJSF_S6_EEENSH_IJSG_SG_EEES6_PlJNSB_9not_fun_tI7is_trueIsEEEEEE10hipError_tPvRmT3_T4_T5_T6_T7_T9_mT8_P12ihipStream_tbDpT10_ENKUlT_T0_E_clISt17integral_constantIbLb0EES17_IbLb1EEEEDaS13_S14_EUlS13_E_NS1_11comp_targetILNS1_3genE3ELNS1_11target_archE908ELNS1_3gpuE7ELNS1_3repE0EEENS1_30default_config_static_selectorELNS0_4arch9wavefront6targetE0EEEvT1_: ; @_ZN7rocprim17ROCPRIM_400000_NS6detail17trampoline_kernelINS0_14default_configENS1_25partition_config_selectorILNS1_17partition_subalgoE6EsNS0_10empty_typeEbEEZZNS1_14partition_implILS5_6ELb0ES3_mN6thrust23THRUST_200600_302600_NS6detail15normal_iteratorINSA_10device_ptrIsEEEEPS6_SG_NS0_5tupleIJSF_S6_EEENSH_IJSG_SG_EEES6_PlJNSB_9not_fun_tI7is_trueIsEEEEEE10hipError_tPvRmT3_T4_T5_T6_T7_T9_mT8_P12ihipStream_tbDpT10_ENKUlT_T0_E_clISt17integral_constantIbLb0EES17_IbLb1EEEEDaS13_S14_EUlS13_E_NS1_11comp_targetILNS1_3genE3ELNS1_11target_archE908ELNS1_3gpuE7ELNS1_3repE0EEENS1_30default_config_static_selectorELNS0_4arch9wavefront6targetE0EEEvT1_
; %bb.0:
	.section	.rodata,"a",@progbits
	.p2align	6, 0x0
	.amdhsa_kernel _ZN7rocprim17ROCPRIM_400000_NS6detail17trampoline_kernelINS0_14default_configENS1_25partition_config_selectorILNS1_17partition_subalgoE6EsNS0_10empty_typeEbEEZZNS1_14partition_implILS5_6ELb0ES3_mN6thrust23THRUST_200600_302600_NS6detail15normal_iteratorINSA_10device_ptrIsEEEEPS6_SG_NS0_5tupleIJSF_S6_EEENSH_IJSG_SG_EEES6_PlJNSB_9not_fun_tI7is_trueIsEEEEEE10hipError_tPvRmT3_T4_T5_T6_T7_T9_mT8_P12ihipStream_tbDpT10_ENKUlT_T0_E_clISt17integral_constantIbLb0EES17_IbLb1EEEEDaS13_S14_EUlS13_E_NS1_11comp_targetILNS1_3genE3ELNS1_11target_archE908ELNS1_3gpuE7ELNS1_3repE0EEENS1_30default_config_static_selectorELNS0_4arch9wavefront6targetE0EEEvT1_
		.amdhsa_group_segment_fixed_size 0
		.amdhsa_private_segment_fixed_size 0
		.amdhsa_kernarg_size 128
		.amdhsa_user_sgpr_count 2
		.amdhsa_user_sgpr_dispatch_ptr 0
		.amdhsa_user_sgpr_queue_ptr 0
		.amdhsa_user_sgpr_kernarg_segment_ptr 1
		.amdhsa_user_sgpr_dispatch_id 0
		.amdhsa_user_sgpr_private_segment_size 0
		.amdhsa_wavefront_size32 1
		.amdhsa_uses_dynamic_stack 0
		.amdhsa_enable_private_segment 0
		.amdhsa_system_sgpr_workgroup_id_x 1
		.amdhsa_system_sgpr_workgroup_id_y 0
		.amdhsa_system_sgpr_workgroup_id_z 0
		.amdhsa_system_sgpr_workgroup_info 0
		.amdhsa_system_vgpr_workitem_id 0
		.amdhsa_next_free_vgpr 1
		.amdhsa_next_free_sgpr 1
		.amdhsa_reserve_vcc 0
		.amdhsa_float_round_mode_32 0
		.amdhsa_float_round_mode_16_64 0
		.amdhsa_float_denorm_mode_32 3
		.amdhsa_float_denorm_mode_16_64 3
		.amdhsa_fp16_overflow 0
		.amdhsa_workgroup_processor_mode 1
		.amdhsa_memory_ordered 1
		.amdhsa_forward_progress 1
		.amdhsa_inst_pref_size 0
		.amdhsa_round_robin_scheduling 0
		.amdhsa_exception_fp_ieee_invalid_op 0
		.amdhsa_exception_fp_denorm_src 0
		.amdhsa_exception_fp_ieee_div_zero 0
		.amdhsa_exception_fp_ieee_overflow 0
		.amdhsa_exception_fp_ieee_underflow 0
		.amdhsa_exception_fp_ieee_inexact 0
		.amdhsa_exception_int_div_zero 0
	.end_amdhsa_kernel
	.section	.text._ZN7rocprim17ROCPRIM_400000_NS6detail17trampoline_kernelINS0_14default_configENS1_25partition_config_selectorILNS1_17partition_subalgoE6EsNS0_10empty_typeEbEEZZNS1_14partition_implILS5_6ELb0ES3_mN6thrust23THRUST_200600_302600_NS6detail15normal_iteratorINSA_10device_ptrIsEEEEPS6_SG_NS0_5tupleIJSF_S6_EEENSH_IJSG_SG_EEES6_PlJNSB_9not_fun_tI7is_trueIsEEEEEE10hipError_tPvRmT3_T4_T5_T6_T7_T9_mT8_P12ihipStream_tbDpT10_ENKUlT_T0_E_clISt17integral_constantIbLb0EES17_IbLb1EEEEDaS13_S14_EUlS13_E_NS1_11comp_targetILNS1_3genE3ELNS1_11target_archE908ELNS1_3gpuE7ELNS1_3repE0EEENS1_30default_config_static_selectorELNS0_4arch9wavefront6targetE0EEEvT1_,"axG",@progbits,_ZN7rocprim17ROCPRIM_400000_NS6detail17trampoline_kernelINS0_14default_configENS1_25partition_config_selectorILNS1_17partition_subalgoE6EsNS0_10empty_typeEbEEZZNS1_14partition_implILS5_6ELb0ES3_mN6thrust23THRUST_200600_302600_NS6detail15normal_iteratorINSA_10device_ptrIsEEEEPS6_SG_NS0_5tupleIJSF_S6_EEENSH_IJSG_SG_EEES6_PlJNSB_9not_fun_tI7is_trueIsEEEEEE10hipError_tPvRmT3_T4_T5_T6_T7_T9_mT8_P12ihipStream_tbDpT10_ENKUlT_T0_E_clISt17integral_constantIbLb0EES17_IbLb1EEEEDaS13_S14_EUlS13_E_NS1_11comp_targetILNS1_3genE3ELNS1_11target_archE908ELNS1_3gpuE7ELNS1_3repE0EEENS1_30default_config_static_selectorELNS0_4arch9wavefront6targetE0EEEvT1_,comdat
.Lfunc_end1296:
	.size	_ZN7rocprim17ROCPRIM_400000_NS6detail17trampoline_kernelINS0_14default_configENS1_25partition_config_selectorILNS1_17partition_subalgoE6EsNS0_10empty_typeEbEEZZNS1_14partition_implILS5_6ELb0ES3_mN6thrust23THRUST_200600_302600_NS6detail15normal_iteratorINSA_10device_ptrIsEEEEPS6_SG_NS0_5tupleIJSF_S6_EEENSH_IJSG_SG_EEES6_PlJNSB_9not_fun_tI7is_trueIsEEEEEE10hipError_tPvRmT3_T4_T5_T6_T7_T9_mT8_P12ihipStream_tbDpT10_ENKUlT_T0_E_clISt17integral_constantIbLb0EES17_IbLb1EEEEDaS13_S14_EUlS13_E_NS1_11comp_targetILNS1_3genE3ELNS1_11target_archE908ELNS1_3gpuE7ELNS1_3repE0EEENS1_30default_config_static_selectorELNS0_4arch9wavefront6targetE0EEEvT1_, .Lfunc_end1296-_ZN7rocprim17ROCPRIM_400000_NS6detail17trampoline_kernelINS0_14default_configENS1_25partition_config_selectorILNS1_17partition_subalgoE6EsNS0_10empty_typeEbEEZZNS1_14partition_implILS5_6ELb0ES3_mN6thrust23THRUST_200600_302600_NS6detail15normal_iteratorINSA_10device_ptrIsEEEEPS6_SG_NS0_5tupleIJSF_S6_EEENSH_IJSG_SG_EEES6_PlJNSB_9not_fun_tI7is_trueIsEEEEEE10hipError_tPvRmT3_T4_T5_T6_T7_T9_mT8_P12ihipStream_tbDpT10_ENKUlT_T0_E_clISt17integral_constantIbLb0EES17_IbLb1EEEEDaS13_S14_EUlS13_E_NS1_11comp_targetILNS1_3genE3ELNS1_11target_archE908ELNS1_3gpuE7ELNS1_3repE0EEENS1_30default_config_static_selectorELNS0_4arch9wavefront6targetE0EEEvT1_
                                        ; -- End function
	.set _ZN7rocprim17ROCPRIM_400000_NS6detail17trampoline_kernelINS0_14default_configENS1_25partition_config_selectorILNS1_17partition_subalgoE6EsNS0_10empty_typeEbEEZZNS1_14partition_implILS5_6ELb0ES3_mN6thrust23THRUST_200600_302600_NS6detail15normal_iteratorINSA_10device_ptrIsEEEEPS6_SG_NS0_5tupleIJSF_S6_EEENSH_IJSG_SG_EEES6_PlJNSB_9not_fun_tI7is_trueIsEEEEEE10hipError_tPvRmT3_T4_T5_T6_T7_T9_mT8_P12ihipStream_tbDpT10_ENKUlT_T0_E_clISt17integral_constantIbLb0EES17_IbLb1EEEEDaS13_S14_EUlS13_E_NS1_11comp_targetILNS1_3genE3ELNS1_11target_archE908ELNS1_3gpuE7ELNS1_3repE0EEENS1_30default_config_static_selectorELNS0_4arch9wavefront6targetE0EEEvT1_.num_vgpr, 0
	.set _ZN7rocprim17ROCPRIM_400000_NS6detail17trampoline_kernelINS0_14default_configENS1_25partition_config_selectorILNS1_17partition_subalgoE6EsNS0_10empty_typeEbEEZZNS1_14partition_implILS5_6ELb0ES3_mN6thrust23THRUST_200600_302600_NS6detail15normal_iteratorINSA_10device_ptrIsEEEEPS6_SG_NS0_5tupleIJSF_S6_EEENSH_IJSG_SG_EEES6_PlJNSB_9not_fun_tI7is_trueIsEEEEEE10hipError_tPvRmT3_T4_T5_T6_T7_T9_mT8_P12ihipStream_tbDpT10_ENKUlT_T0_E_clISt17integral_constantIbLb0EES17_IbLb1EEEEDaS13_S14_EUlS13_E_NS1_11comp_targetILNS1_3genE3ELNS1_11target_archE908ELNS1_3gpuE7ELNS1_3repE0EEENS1_30default_config_static_selectorELNS0_4arch9wavefront6targetE0EEEvT1_.num_agpr, 0
	.set _ZN7rocprim17ROCPRIM_400000_NS6detail17trampoline_kernelINS0_14default_configENS1_25partition_config_selectorILNS1_17partition_subalgoE6EsNS0_10empty_typeEbEEZZNS1_14partition_implILS5_6ELb0ES3_mN6thrust23THRUST_200600_302600_NS6detail15normal_iteratorINSA_10device_ptrIsEEEEPS6_SG_NS0_5tupleIJSF_S6_EEENSH_IJSG_SG_EEES6_PlJNSB_9not_fun_tI7is_trueIsEEEEEE10hipError_tPvRmT3_T4_T5_T6_T7_T9_mT8_P12ihipStream_tbDpT10_ENKUlT_T0_E_clISt17integral_constantIbLb0EES17_IbLb1EEEEDaS13_S14_EUlS13_E_NS1_11comp_targetILNS1_3genE3ELNS1_11target_archE908ELNS1_3gpuE7ELNS1_3repE0EEENS1_30default_config_static_selectorELNS0_4arch9wavefront6targetE0EEEvT1_.numbered_sgpr, 0
	.set _ZN7rocprim17ROCPRIM_400000_NS6detail17trampoline_kernelINS0_14default_configENS1_25partition_config_selectorILNS1_17partition_subalgoE6EsNS0_10empty_typeEbEEZZNS1_14partition_implILS5_6ELb0ES3_mN6thrust23THRUST_200600_302600_NS6detail15normal_iteratorINSA_10device_ptrIsEEEEPS6_SG_NS0_5tupleIJSF_S6_EEENSH_IJSG_SG_EEES6_PlJNSB_9not_fun_tI7is_trueIsEEEEEE10hipError_tPvRmT3_T4_T5_T6_T7_T9_mT8_P12ihipStream_tbDpT10_ENKUlT_T0_E_clISt17integral_constantIbLb0EES17_IbLb1EEEEDaS13_S14_EUlS13_E_NS1_11comp_targetILNS1_3genE3ELNS1_11target_archE908ELNS1_3gpuE7ELNS1_3repE0EEENS1_30default_config_static_selectorELNS0_4arch9wavefront6targetE0EEEvT1_.num_named_barrier, 0
	.set _ZN7rocprim17ROCPRIM_400000_NS6detail17trampoline_kernelINS0_14default_configENS1_25partition_config_selectorILNS1_17partition_subalgoE6EsNS0_10empty_typeEbEEZZNS1_14partition_implILS5_6ELb0ES3_mN6thrust23THRUST_200600_302600_NS6detail15normal_iteratorINSA_10device_ptrIsEEEEPS6_SG_NS0_5tupleIJSF_S6_EEENSH_IJSG_SG_EEES6_PlJNSB_9not_fun_tI7is_trueIsEEEEEE10hipError_tPvRmT3_T4_T5_T6_T7_T9_mT8_P12ihipStream_tbDpT10_ENKUlT_T0_E_clISt17integral_constantIbLb0EES17_IbLb1EEEEDaS13_S14_EUlS13_E_NS1_11comp_targetILNS1_3genE3ELNS1_11target_archE908ELNS1_3gpuE7ELNS1_3repE0EEENS1_30default_config_static_selectorELNS0_4arch9wavefront6targetE0EEEvT1_.private_seg_size, 0
	.set _ZN7rocprim17ROCPRIM_400000_NS6detail17trampoline_kernelINS0_14default_configENS1_25partition_config_selectorILNS1_17partition_subalgoE6EsNS0_10empty_typeEbEEZZNS1_14partition_implILS5_6ELb0ES3_mN6thrust23THRUST_200600_302600_NS6detail15normal_iteratorINSA_10device_ptrIsEEEEPS6_SG_NS0_5tupleIJSF_S6_EEENSH_IJSG_SG_EEES6_PlJNSB_9not_fun_tI7is_trueIsEEEEEE10hipError_tPvRmT3_T4_T5_T6_T7_T9_mT8_P12ihipStream_tbDpT10_ENKUlT_T0_E_clISt17integral_constantIbLb0EES17_IbLb1EEEEDaS13_S14_EUlS13_E_NS1_11comp_targetILNS1_3genE3ELNS1_11target_archE908ELNS1_3gpuE7ELNS1_3repE0EEENS1_30default_config_static_selectorELNS0_4arch9wavefront6targetE0EEEvT1_.uses_vcc, 0
	.set _ZN7rocprim17ROCPRIM_400000_NS6detail17trampoline_kernelINS0_14default_configENS1_25partition_config_selectorILNS1_17partition_subalgoE6EsNS0_10empty_typeEbEEZZNS1_14partition_implILS5_6ELb0ES3_mN6thrust23THRUST_200600_302600_NS6detail15normal_iteratorINSA_10device_ptrIsEEEEPS6_SG_NS0_5tupleIJSF_S6_EEENSH_IJSG_SG_EEES6_PlJNSB_9not_fun_tI7is_trueIsEEEEEE10hipError_tPvRmT3_T4_T5_T6_T7_T9_mT8_P12ihipStream_tbDpT10_ENKUlT_T0_E_clISt17integral_constantIbLb0EES17_IbLb1EEEEDaS13_S14_EUlS13_E_NS1_11comp_targetILNS1_3genE3ELNS1_11target_archE908ELNS1_3gpuE7ELNS1_3repE0EEENS1_30default_config_static_selectorELNS0_4arch9wavefront6targetE0EEEvT1_.uses_flat_scratch, 0
	.set _ZN7rocprim17ROCPRIM_400000_NS6detail17trampoline_kernelINS0_14default_configENS1_25partition_config_selectorILNS1_17partition_subalgoE6EsNS0_10empty_typeEbEEZZNS1_14partition_implILS5_6ELb0ES3_mN6thrust23THRUST_200600_302600_NS6detail15normal_iteratorINSA_10device_ptrIsEEEEPS6_SG_NS0_5tupleIJSF_S6_EEENSH_IJSG_SG_EEES6_PlJNSB_9not_fun_tI7is_trueIsEEEEEE10hipError_tPvRmT3_T4_T5_T6_T7_T9_mT8_P12ihipStream_tbDpT10_ENKUlT_T0_E_clISt17integral_constantIbLb0EES17_IbLb1EEEEDaS13_S14_EUlS13_E_NS1_11comp_targetILNS1_3genE3ELNS1_11target_archE908ELNS1_3gpuE7ELNS1_3repE0EEENS1_30default_config_static_selectorELNS0_4arch9wavefront6targetE0EEEvT1_.has_dyn_sized_stack, 0
	.set _ZN7rocprim17ROCPRIM_400000_NS6detail17trampoline_kernelINS0_14default_configENS1_25partition_config_selectorILNS1_17partition_subalgoE6EsNS0_10empty_typeEbEEZZNS1_14partition_implILS5_6ELb0ES3_mN6thrust23THRUST_200600_302600_NS6detail15normal_iteratorINSA_10device_ptrIsEEEEPS6_SG_NS0_5tupleIJSF_S6_EEENSH_IJSG_SG_EEES6_PlJNSB_9not_fun_tI7is_trueIsEEEEEE10hipError_tPvRmT3_T4_T5_T6_T7_T9_mT8_P12ihipStream_tbDpT10_ENKUlT_T0_E_clISt17integral_constantIbLb0EES17_IbLb1EEEEDaS13_S14_EUlS13_E_NS1_11comp_targetILNS1_3genE3ELNS1_11target_archE908ELNS1_3gpuE7ELNS1_3repE0EEENS1_30default_config_static_selectorELNS0_4arch9wavefront6targetE0EEEvT1_.has_recursion, 0
	.set _ZN7rocprim17ROCPRIM_400000_NS6detail17trampoline_kernelINS0_14default_configENS1_25partition_config_selectorILNS1_17partition_subalgoE6EsNS0_10empty_typeEbEEZZNS1_14partition_implILS5_6ELb0ES3_mN6thrust23THRUST_200600_302600_NS6detail15normal_iteratorINSA_10device_ptrIsEEEEPS6_SG_NS0_5tupleIJSF_S6_EEENSH_IJSG_SG_EEES6_PlJNSB_9not_fun_tI7is_trueIsEEEEEE10hipError_tPvRmT3_T4_T5_T6_T7_T9_mT8_P12ihipStream_tbDpT10_ENKUlT_T0_E_clISt17integral_constantIbLb0EES17_IbLb1EEEEDaS13_S14_EUlS13_E_NS1_11comp_targetILNS1_3genE3ELNS1_11target_archE908ELNS1_3gpuE7ELNS1_3repE0EEENS1_30default_config_static_selectorELNS0_4arch9wavefront6targetE0EEEvT1_.has_indirect_call, 0
	.section	.AMDGPU.csdata,"",@progbits
; Kernel info:
; codeLenInByte = 0
; TotalNumSgprs: 0
; NumVgprs: 0
; ScratchSize: 0
; MemoryBound: 0
; FloatMode: 240
; IeeeMode: 1
; LDSByteSize: 0 bytes/workgroup (compile time only)
; SGPRBlocks: 0
; VGPRBlocks: 0
; NumSGPRsForWavesPerEU: 1
; NumVGPRsForWavesPerEU: 1
; Occupancy: 16
; WaveLimiterHint : 0
; COMPUTE_PGM_RSRC2:SCRATCH_EN: 0
; COMPUTE_PGM_RSRC2:USER_SGPR: 2
; COMPUTE_PGM_RSRC2:TRAP_HANDLER: 0
; COMPUTE_PGM_RSRC2:TGID_X_EN: 1
; COMPUTE_PGM_RSRC2:TGID_Y_EN: 0
; COMPUTE_PGM_RSRC2:TGID_Z_EN: 0
; COMPUTE_PGM_RSRC2:TIDIG_COMP_CNT: 0
	.section	.text._ZN7rocprim17ROCPRIM_400000_NS6detail17trampoline_kernelINS0_14default_configENS1_25partition_config_selectorILNS1_17partition_subalgoE6EsNS0_10empty_typeEbEEZZNS1_14partition_implILS5_6ELb0ES3_mN6thrust23THRUST_200600_302600_NS6detail15normal_iteratorINSA_10device_ptrIsEEEEPS6_SG_NS0_5tupleIJSF_S6_EEENSH_IJSG_SG_EEES6_PlJNSB_9not_fun_tI7is_trueIsEEEEEE10hipError_tPvRmT3_T4_T5_T6_T7_T9_mT8_P12ihipStream_tbDpT10_ENKUlT_T0_E_clISt17integral_constantIbLb0EES17_IbLb1EEEEDaS13_S14_EUlS13_E_NS1_11comp_targetILNS1_3genE2ELNS1_11target_archE906ELNS1_3gpuE6ELNS1_3repE0EEENS1_30default_config_static_selectorELNS0_4arch9wavefront6targetE0EEEvT1_,"axG",@progbits,_ZN7rocprim17ROCPRIM_400000_NS6detail17trampoline_kernelINS0_14default_configENS1_25partition_config_selectorILNS1_17partition_subalgoE6EsNS0_10empty_typeEbEEZZNS1_14partition_implILS5_6ELb0ES3_mN6thrust23THRUST_200600_302600_NS6detail15normal_iteratorINSA_10device_ptrIsEEEEPS6_SG_NS0_5tupleIJSF_S6_EEENSH_IJSG_SG_EEES6_PlJNSB_9not_fun_tI7is_trueIsEEEEEE10hipError_tPvRmT3_T4_T5_T6_T7_T9_mT8_P12ihipStream_tbDpT10_ENKUlT_T0_E_clISt17integral_constantIbLb0EES17_IbLb1EEEEDaS13_S14_EUlS13_E_NS1_11comp_targetILNS1_3genE2ELNS1_11target_archE906ELNS1_3gpuE6ELNS1_3repE0EEENS1_30default_config_static_selectorELNS0_4arch9wavefront6targetE0EEEvT1_,comdat
	.protected	_ZN7rocprim17ROCPRIM_400000_NS6detail17trampoline_kernelINS0_14default_configENS1_25partition_config_selectorILNS1_17partition_subalgoE6EsNS0_10empty_typeEbEEZZNS1_14partition_implILS5_6ELb0ES3_mN6thrust23THRUST_200600_302600_NS6detail15normal_iteratorINSA_10device_ptrIsEEEEPS6_SG_NS0_5tupleIJSF_S6_EEENSH_IJSG_SG_EEES6_PlJNSB_9not_fun_tI7is_trueIsEEEEEE10hipError_tPvRmT3_T4_T5_T6_T7_T9_mT8_P12ihipStream_tbDpT10_ENKUlT_T0_E_clISt17integral_constantIbLb0EES17_IbLb1EEEEDaS13_S14_EUlS13_E_NS1_11comp_targetILNS1_3genE2ELNS1_11target_archE906ELNS1_3gpuE6ELNS1_3repE0EEENS1_30default_config_static_selectorELNS0_4arch9wavefront6targetE0EEEvT1_ ; -- Begin function _ZN7rocprim17ROCPRIM_400000_NS6detail17trampoline_kernelINS0_14default_configENS1_25partition_config_selectorILNS1_17partition_subalgoE6EsNS0_10empty_typeEbEEZZNS1_14partition_implILS5_6ELb0ES3_mN6thrust23THRUST_200600_302600_NS6detail15normal_iteratorINSA_10device_ptrIsEEEEPS6_SG_NS0_5tupleIJSF_S6_EEENSH_IJSG_SG_EEES6_PlJNSB_9not_fun_tI7is_trueIsEEEEEE10hipError_tPvRmT3_T4_T5_T6_T7_T9_mT8_P12ihipStream_tbDpT10_ENKUlT_T0_E_clISt17integral_constantIbLb0EES17_IbLb1EEEEDaS13_S14_EUlS13_E_NS1_11comp_targetILNS1_3genE2ELNS1_11target_archE906ELNS1_3gpuE6ELNS1_3repE0EEENS1_30default_config_static_selectorELNS0_4arch9wavefront6targetE0EEEvT1_
	.globl	_ZN7rocprim17ROCPRIM_400000_NS6detail17trampoline_kernelINS0_14default_configENS1_25partition_config_selectorILNS1_17partition_subalgoE6EsNS0_10empty_typeEbEEZZNS1_14partition_implILS5_6ELb0ES3_mN6thrust23THRUST_200600_302600_NS6detail15normal_iteratorINSA_10device_ptrIsEEEEPS6_SG_NS0_5tupleIJSF_S6_EEENSH_IJSG_SG_EEES6_PlJNSB_9not_fun_tI7is_trueIsEEEEEE10hipError_tPvRmT3_T4_T5_T6_T7_T9_mT8_P12ihipStream_tbDpT10_ENKUlT_T0_E_clISt17integral_constantIbLb0EES17_IbLb1EEEEDaS13_S14_EUlS13_E_NS1_11comp_targetILNS1_3genE2ELNS1_11target_archE906ELNS1_3gpuE6ELNS1_3repE0EEENS1_30default_config_static_selectorELNS0_4arch9wavefront6targetE0EEEvT1_
	.p2align	8
	.type	_ZN7rocprim17ROCPRIM_400000_NS6detail17trampoline_kernelINS0_14default_configENS1_25partition_config_selectorILNS1_17partition_subalgoE6EsNS0_10empty_typeEbEEZZNS1_14partition_implILS5_6ELb0ES3_mN6thrust23THRUST_200600_302600_NS6detail15normal_iteratorINSA_10device_ptrIsEEEEPS6_SG_NS0_5tupleIJSF_S6_EEENSH_IJSG_SG_EEES6_PlJNSB_9not_fun_tI7is_trueIsEEEEEE10hipError_tPvRmT3_T4_T5_T6_T7_T9_mT8_P12ihipStream_tbDpT10_ENKUlT_T0_E_clISt17integral_constantIbLb0EES17_IbLb1EEEEDaS13_S14_EUlS13_E_NS1_11comp_targetILNS1_3genE2ELNS1_11target_archE906ELNS1_3gpuE6ELNS1_3repE0EEENS1_30default_config_static_selectorELNS0_4arch9wavefront6targetE0EEEvT1_,@function
_ZN7rocprim17ROCPRIM_400000_NS6detail17trampoline_kernelINS0_14default_configENS1_25partition_config_selectorILNS1_17partition_subalgoE6EsNS0_10empty_typeEbEEZZNS1_14partition_implILS5_6ELb0ES3_mN6thrust23THRUST_200600_302600_NS6detail15normal_iteratorINSA_10device_ptrIsEEEEPS6_SG_NS0_5tupleIJSF_S6_EEENSH_IJSG_SG_EEES6_PlJNSB_9not_fun_tI7is_trueIsEEEEEE10hipError_tPvRmT3_T4_T5_T6_T7_T9_mT8_P12ihipStream_tbDpT10_ENKUlT_T0_E_clISt17integral_constantIbLb0EES17_IbLb1EEEEDaS13_S14_EUlS13_E_NS1_11comp_targetILNS1_3genE2ELNS1_11target_archE906ELNS1_3gpuE6ELNS1_3repE0EEENS1_30default_config_static_selectorELNS0_4arch9wavefront6targetE0EEEvT1_: ; @_ZN7rocprim17ROCPRIM_400000_NS6detail17trampoline_kernelINS0_14default_configENS1_25partition_config_selectorILNS1_17partition_subalgoE6EsNS0_10empty_typeEbEEZZNS1_14partition_implILS5_6ELb0ES3_mN6thrust23THRUST_200600_302600_NS6detail15normal_iteratorINSA_10device_ptrIsEEEEPS6_SG_NS0_5tupleIJSF_S6_EEENSH_IJSG_SG_EEES6_PlJNSB_9not_fun_tI7is_trueIsEEEEEE10hipError_tPvRmT3_T4_T5_T6_T7_T9_mT8_P12ihipStream_tbDpT10_ENKUlT_T0_E_clISt17integral_constantIbLb0EES17_IbLb1EEEEDaS13_S14_EUlS13_E_NS1_11comp_targetILNS1_3genE2ELNS1_11target_archE906ELNS1_3gpuE6ELNS1_3repE0EEENS1_30default_config_static_selectorELNS0_4arch9wavefront6targetE0EEEvT1_
; %bb.0:
	.section	.rodata,"a",@progbits
	.p2align	6, 0x0
	.amdhsa_kernel _ZN7rocprim17ROCPRIM_400000_NS6detail17trampoline_kernelINS0_14default_configENS1_25partition_config_selectorILNS1_17partition_subalgoE6EsNS0_10empty_typeEbEEZZNS1_14partition_implILS5_6ELb0ES3_mN6thrust23THRUST_200600_302600_NS6detail15normal_iteratorINSA_10device_ptrIsEEEEPS6_SG_NS0_5tupleIJSF_S6_EEENSH_IJSG_SG_EEES6_PlJNSB_9not_fun_tI7is_trueIsEEEEEE10hipError_tPvRmT3_T4_T5_T6_T7_T9_mT8_P12ihipStream_tbDpT10_ENKUlT_T0_E_clISt17integral_constantIbLb0EES17_IbLb1EEEEDaS13_S14_EUlS13_E_NS1_11comp_targetILNS1_3genE2ELNS1_11target_archE906ELNS1_3gpuE6ELNS1_3repE0EEENS1_30default_config_static_selectorELNS0_4arch9wavefront6targetE0EEEvT1_
		.amdhsa_group_segment_fixed_size 0
		.amdhsa_private_segment_fixed_size 0
		.amdhsa_kernarg_size 128
		.amdhsa_user_sgpr_count 2
		.amdhsa_user_sgpr_dispatch_ptr 0
		.amdhsa_user_sgpr_queue_ptr 0
		.amdhsa_user_sgpr_kernarg_segment_ptr 1
		.amdhsa_user_sgpr_dispatch_id 0
		.amdhsa_user_sgpr_private_segment_size 0
		.amdhsa_wavefront_size32 1
		.amdhsa_uses_dynamic_stack 0
		.amdhsa_enable_private_segment 0
		.amdhsa_system_sgpr_workgroup_id_x 1
		.amdhsa_system_sgpr_workgroup_id_y 0
		.amdhsa_system_sgpr_workgroup_id_z 0
		.amdhsa_system_sgpr_workgroup_info 0
		.amdhsa_system_vgpr_workitem_id 0
		.amdhsa_next_free_vgpr 1
		.amdhsa_next_free_sgpr 1
		.amdhsa_reserve_vcc 0
		.amdhsa_float_round_mode_32 0
		.amdhsa_float_round_mode_16_64 0
		.amdhsa_float_denorm_mode_32 3
		.amdhsa_float_denorm_mode_16_64 3
		.amdhsa_fp16_overflow 0
		.amdhsa_workgroup_processor_mode 1
		.amdhsa_memory_ordered 1
		.amdhsa_forward_progress 1
		.amdhsa_inst_pref_size 0
		.amdhsa_round_robin_scheduling 0
		.amdhsa_exception_fp_ieee_invalid_op 0
		.amdhsa_exception_fp_denorm_src 0
		.amdhsa_exception_fp_ieee_div_zero 0
		.amdhsa_exception_fp_ieee_overflow 0
		.amdhsa_exception_fp_ieee_underflow 0
		.amdhsa_exception_fp_ieee_inexact 0
		.amdhsa_exception_int_div_zero 0
	.end_amdhsa_kernel
	.section	.text._ZN7rocprim17ROCPRIM_400000_NS6detail17trampoline_kernelINS0_14default_configENS1_25partition_config_selectorILNS1_17partition_subalgoE6EsNS0_10empty_typeEbEEZZNS1_14partition_implILS5_6ELb0ES3_mN6thrust23THRUST_200600_302600_NS6detail15normal_iteratorINSA_10device_ptrIsEEEEPS6_SG_NS0_5tupleIJSF_S6_EEENSH_IJSG_SG_EEES6_PlJNSB_9not_fun_tI7is_trueIsEEEEEE10hipError_tPvRmT3_T4_T5_T6_T7_T9_mT8_P12ihipStream_tbDpT10_ENKUlT_T0_E_clISt17integral_constantIbLb0EES17_IbLb1EEEEDaS13_S14_EUlS13_E_NS1_11comp_targetILNS1_3genE2ELNS1_11target_archE906ELNS1_3gpuE6ELNS1_3repE0EEENS1_30default_config_static_selectorELNS0_4arch9wavefront6targetE0EEEvT1_,"axG",@progbits,_ZN7rocprim17ROCPRIM_400000_NS6detail17trampoline_kernelINS0_14default_configENS1_25partition_config_selectorILNS1_17partition_subalgoE6EsNS0_10empty_typeEbEEZZNS1_14partition_implILS5_6ELb0ES3_mN6thrust23THRUST_200600_302600_NS6detail15normal_iteratorINSA_10device_ptrIsEEEEPS6_SG_NS0_5tupleIJSF_S6_EEENSH_IJSG_SG_EEES6_PlJNSB_9not_fun_tI7is_trueIsEEEEEE10hipError_tPvRmT3_T4_T5_T6_T7_T9_mT8_P12ihipStream_tbDpT10_ENKUlT_T0_E_clISt17integral_constantIbLb0EES17_IbLb1EEEEDaS13_S14_EUlS13_E_NS1_11comp_targetILNS1_3genE2ELNS1_11target_archE906ELNS1_3gpuE6ELNS1_3repE0EEENS1_30default_config_static_selectorELNS0_4arch9wavefront6targetE0EEEvT1_,comdat
.Lfunc_end1297:
	.size	_ZN7rocprim17ROCPRIM_400000_NS6detail17trampoline_kernelINS0_14default_configENS1_25partition_config_selectorILNS1_17partition_subalgoE6EsNS0_10empty_typeEbEEZZNS1_14partition_implILS5_6ELb0ES3_mN6thrust23THRUST_200600_302600_NS6detail15normal_iteratorINSA_10device_ptrIsEEEEPS6_SG_NS0_5tupleIJSF_S6_EEENSH_IJSG_SG_EEES6_PlJNSB_9not_fun_tI7is_trueIsEEEEEE10hipError_tPvRmT3_T4_T5_T6_T7_T9_mT8_P12ihipStream_tbDpT10_ENKUlT_T0_E_clISt17integral_constantIbLb0EES17_IbLb1EEEEDaS13_S14_EUlS13_E_NS1_11comp_targetILNS1_3genE2ELNS1_11target_archE906ELNS1_3gpuE6ELNS1_3repE0EEENS1_30default_config_static_selectorELNS0_4arch9wavefront6targetE0EEEvT1_, .Lfunc_end1297-_ZN7rocprim17ROCPRIM_400000_NS6detail17trampoline_kernelINS0_14default_configENS1_25partition_config_selectorILNS1_17partition_subalgoE6EsNS0_10empty_typeEbEEZZNS1_14partition_implILS5_6ELb0ES3_mN6thrust23THRUST_200600_302600_NS6detail15normal_iteratorINSA_10device_ptrIsEEEEPS6_SG_NS0_5tupleIJSF_S6_EEENSH_IJSG_SG_EEES6_PlJNSB_9not_fun_tI7is_trueIsEEEEEE10hipError_tPvRmT3_T4_T5_T6_T7_T9_mT8_P12ihipStream_tbDpT10_ENKUlT_T0_E_clISt17integral_constantIbLb0EES17_IbLb1EEEEDaS13_S14_EUlS13_E_NS1_11comp_targetILNS1_3genE2ELNS1_11target_archE906ELNS1_3gpuE6ELNS1_3repE0EEENS1_30default_config_static_selectorELNS0_4arch9wavefront6targetE0EEEvT1_
                                        ; -- End function
	.set _ZN7rocprim17ROCPRIM_400000_NS6detail17trampoline_kernelINS0_14default_configENS1_25partition_config_selectorILNS1_17partition_subalgoE6EsNS0_10empty_typeEbEEZZNS1_14partition_implILS5_6ELb0ES3_mN6thrust23THRUST_200600_302600_NS6detail15normal_iteratorINSA_10device_ptrIsEEEEPS6_SG_NS0_5tupleIJSF_S6_EEENSH_IJSG_SG_EEES6_PlJNSB_9not_fun_tI7is_trueIsEEEEEE10hipError_tPvRmT3_T4_T5_T6_T7_T9_mT8_P12ihipStream_tbDpT10_ENKUlT_T0_E_clISt17integral_constantIbLb0EES17_IbLb1EEEEDaS13_S14_EUlS13_E_NS1_11comp_targetILNS1_3genE2ELNS1_11target_archE906ELNS1_3gpuE6ELNS1_3repE0EEENS1_30default_config_static_selectorELNS0_4arch9wavefront6targetE0EEEvT1_.num_vgpr, 0
	.set _ZN7rocprim17ROCPRIM_400000_NS6detail17trampoline_kernelINS0_14default_configENS1_25partition_config_selectorILNS1_17partition_subalgoE6EsNS0_10empty_typeEbEEZZNS1_14partition_implILS5_6ELb0ES3_mN6thrust23THRUST_200600_302600_NS6detail15normal_iteratorINSA_10device_ptrIsEEEEPS6_SG_NS0_5tupleIJSF_S6_EEENSH_IJSG_SG_EEES6_PlJNSB_9not_fun_tI7is_trueIsEEEEEE10hipError_tPvRmT3_T4_T5_T6_T7_T9_mT8_P12ihipStream_tbDpT10_ENKUlT_T0_E_clISt17integral_constantIbLb0EES17_IbLb1EEEEDaS13_S14_EUlS13_E_NS1_11comp_targetILNS1_3genE2ELNS1_11target_archE906ELNS1_3gpuE6ELNS1_3repE0EEENS1_30default_config_static_selectorELNS0_4arch9wavefront6targetE0EEEvT1_.num_agpr, 0
	.set _ZN7rocprim17ROCPRIM_400000_NS6detail17trampoline_kernelINS0_14default_configENS1_25partition_config_selectorILNS1_17partition_subalgoE6EsNS0_10empty_typeEbEEZZNS1_14partition_implILS5_6ELb0ES3_mN6thrust23THRUST_200600_302600_NS6detail15normal_iteratorINSA_10device_ptrIsEEEEPS6_SG_NS0_5tupleIJSF_S6_EEENSH_IJSG_SG_EEES6_PlJNSB_9not_fun_tI7is_trueIsEEEEEE10hipError_tPvRmT3_T4_T5_T6_T7_T9_mT8_P12ihipStream_tbDpT10_ENKUlT_T0_E_clISt17integral_constantIbLb0EES17_IbLb1EEEEDaS13_S14_EUlS13_E_NS1_11comp_targetILNS1_3genE2ELNS1_11target_archE906ELNS1_3gpuE6ELNS1_3repE0EEENS1_30default_config_static_selectorELNS0_4arch9wavefront6targetE0EEEvT1_.numbered_sgpr, 0
	.set _ZN7rocprim17ROCPRIM_400000_NS6detail17trampoline_kernelINS0_14default_configENS1_25partition_config_selectorILNS1_17partition_subalgoE6EsNS0_10empty_typeEbEEZZNS1_14partition_implILS5_6ELb0ES3_mN6thrust23THRUST_200600_302600_NS6detail15normal_iteratorINSA_10device_ptrIsEEEEPS6_SG_NS0_5tupleIJSF_S6_EEENSH_IJSG_SG_EEES6_PlJNSB_9not_fun_tI7is_trueIsEEEEEE10hipError_tPvRmT3_T4_T5_T6_T7_T9_mT8_P12ihipStream_tbDpT10_ENKUlT_T0_E_clISt17integral_constantIbLb0EES17_IbLb1EEEEDaS13_S14_EUlS13_E_NS1_11comp_targetILNS1_3genE2ELNS1_11target_archE906ELNS1_3gpuE6ELNS1_3repE0EEENS1_30default_config_static_selectorELNS0_4arch9wavefront6targetE0EEEvT1_.num_named_barrier, 0
	.set _ZN7rocprim17ROCPRIM_400000_NS6detail17trampoline_kernelINS0_14default_configENS1_25partition_config_selectorILNS1_17partition_subalgoE6EsNS0_10empty_typeEbEEZZNS1_14partition_implILS5_6ELb0ES3_mN6thrust23THRUST_200600_302600_NS6detail15normal_iteratorINSA_10device_ptrIsEEEEPS6_SG_NS0_5tupleIJSF_S6_EEENSH_IJSG_SG_EEES6_PlJNSB_9not_fun_tI7is_trueIsEEEEEE10hipError_tPvRmT3_T4_T5_T6_T7_T9_mT8_P12ihipStream_tbDpT10_ENKUlT_T0_E_clISt17integral_constantIbLb0EES17_IbLb1EEEEDaS13_S14_EUlS13_E_NS1_11comp_targetILNS1_3genE2ELNS1_11target_archE906ELNS1_3gpuE6ELNS1_3repE0EEENS1_30default_config_static_selectorELNS0_4arch9wavefront6targetE0EEEvT1_.private_seg_size, 0
	.set _ZN7rocprim17ROCPRIM_400000_NS6detail17trampoline_kernelINS0_14default_configENS1_25partition_config_selectorILNS1_17partition_subalgoE6EsNS0_10empty_typeEbEEZZNS1_14partition_implILS5_6ELb0ES3_mN6thrust23THRUST_200600_302600_NS6detail15normal_iteratorINSA_10device_ptrIsEEEEPS6_SG_NS0_5tupleIJSF_S6_EEENSH_IJSG_SG_EEES6_PlJNSB_9not_fun_tI7is_trueIsEEEEEE10hipError_tPvRmT3_T4_T5_T6_T7_T9_mT8_P12ihipStream_tbDpT10_ENKUlT_T0_E_clISt17integral_constantIbLb0EES17_IbLb1EEEEDaS13_S14_EUlS13_E_NS1_11comp_targetILNS1_3genE2ELNS1_11target_archE906ELNS1_3gpuE6ELNS1_3repE0EEENS1_30default_config_static_selectorELNS0_4arch9wavefront6targetE0EEEvT1_.uses_vcc, 0
	.set _ZN7rocprim17ROCPRIM_400000_NS6detail17trampoline_kernelINS0_14default_configENS1_25partition_config_selectorILNS1_17partition_subalgoE6EsNS0_10empty_typeEbEEZZNS1_14partition_implILS5_6ELb0ES3_mN6thrust23THRUST_200600_302600_NS6detail15normal_iteratorINSA_10device_ptrIsEEEEPS6_SG_NS0_5tupleIJSF_S6_EEENSH_IJSG_SG_EEES6_PlJNSB_9not_fun_tI7is_trueIsEEEEEE10hipError_tPvRmT3_T4_T5_T6_T7_T9_mT8_P12ihipStream_tbDpT10_ENKUlT_T0_E_clISt17integral_constantIbLb0EES17_IbLb1EEEEDaS13_S14_EUlS13_E_NS1_11comp_targetILNS1_3genE2ELNS1_11target_archE906ELNS1_3gpuE6ELNS1_3repE0EEENS1_30default_config_static_selectorELNS0_4arch9wavefront6targetE0EEEvT1_.uses_flat_scratch, 0
	.set _ZN7rocprim17ROCPRIM_400000_NS6detail17trampoline_kernelINS0_14default_configENS1_25partition_config_selectorILNS1_17partition_subalgoE6EsNS0_10empty_typeEbEEZZNS1_14partition_implILS5_6ELb0ES3_mN6thrust23THRUST_200600_302600_NS6detail15normal_iteratorINSA_10device_ptrIsEEEEPS6_SG_NS0_5tupleIJSF_S6_EEENSH_IJSG_SG_EEES6_PlJNSB_9not_fun_tI7is_trueIsEEEEEE10hipError_tPvRmT3_T4_T5_T6_T7_T9_mT8_P12ihipStream_tbDpT10_ENKUlT_T0_E_clISt17integral_constantIbLb0EES17_IbLb1EEEEDaS13_S14_EUlS13_E_NS1_11comp_targetILNS1_3genE2ELNS1_11target_archE906ELNS1_3gpuE6ELNS1_3repE0EEENS1_30default_config_static_selectorELNS0_4arch9wavefront6targetE0EEEvT1_.has_dyn_sized_stack, 0
	.set _ZN7rocprim17ROCPRIM_400000_NS6detail17trampoline_kernelINS0_14default_configENS1_25partition_config_selectorILNS1_17partition_subalgoE6EsNS0_10empty_typeEbEEZZNS1_14partition_implILS5_6ELb0ES3_mN6thrust23THRUST_200600_302600_NS6detail15normal_iteratorINSA_10device_ptrIsEEEEPS6_SG_NS0_5tupleIJSF_S6_EEENSH_IJSG_SG_EEES6_PlJNSB_9not_fun_tI7is_trueIsEEEEEE10hipError_tPvRmT3_T4_T5_T6_T7_T9_mT8_P12ihipStream_tbDpT10_ENKUlT_T0_E_clISt17integral_constantIbLb0EES17_IbLb1EEEEDaS13_S14_EUlS13_E_NS1_11comp_targetILNS1_3genE2ELNS1_11target_archE906ELNS1_3gpuE6ELNS1_3repE0EEENS1_30default_config_static_selectorELNS0_4arch9wavefront6targetE0EEEvT1_.has_recursion, 0
	.set _ZN7rocprim17ROCPRIM_400000_NS6detail17trampoline_kernelINS0_14default_configENS1_25partition_config_selectorILNS1_17partition_subalgoE6EsNS0_10empty_typeEbEEZZNS1_14partition_implILS5_6ELb0ES3_mN6thrust23THRUST_200600_302600_NS6detail15normal_iteratorINSA_10device_ptrIsEEEEPS6_SG_NS0_5tupleIJSF_S6_EEENSH_IJSG_SG_EEES6_PlJNSB_9not_fun_tI7is_trueIsEEEEEE10hipError_tPvRmT3_T4_T5_T6_T7_T9_mT8_P12ihipStream_tbDpT10_ENKUlT_T0_E_clISt17integral_constantIbLb0EES17_IbLb1EEEEDaS13_S14_EUlS13_E_NS1_11comp_targetILNS1_3genE2ELNS1_11target_archE906ELNS1_3gpuE6ELNS1_3repE0EEENS1_30default_config_static_selectorELNS0_4arch9wavefront6targetE0EEEvT1_.has_indirect_call, 0
	.section	.AMDGPU.csdata,"",@progbits
; Kernel info:
; codeLenInByte = 0
; TotalNumSgprs: 0
; NumVgprs: 0
; ScratchSize: 0
; MemoryBound: 0
; FloatMode: 240
; IeeeMode: 1
; LDSByteSize: 0 bytes/workgroup (compile time only)
; SGPRBlocks: 0
; VGPRBlocks: 0
; NumSGPRsForWavesPerEU: 1
; NumVGPRsForWavesPerEU: 1
; Occupancy: 16
; WaveLimiterHint : 0
; COMPUTE_PGM_RSRC2:SCRATCH_EN: 0
; COMPUTE_PGM_RSRC2:USER_SGPR: 2
; COMPUTE_PGM_RSRC2:TRAP_HANDLER: 0
; COMPUTE_PGM_RSRC2:TGID_X_EN: 1
; COMPUTE_PGM_RSRC2:TGID_Y_EN: 0
; COMPUTE_PGM_RSRC2:TGID_Z_EN: 0
; COMPUTE_PGM_RSRC2:TIDIG_COMP_CNT: 0
	.section	.text._ZN7rocprim17ROCPRIM_400000_NS6detail17trampoline_kernelINS0_14default_configENS1_25partition_config_selectorILNS1_17partition_subalgoE6EsNS0_10empty_typeEbEEZZNS1_14partition_implILS5_6ELb0ES3_mN6thrust23THRUST_200600_302600_NS6detail15normal_iteratorINSA_10device_ptrIsEEEEPS6_SG_NS0_5tupleIJSF_S6_EEENSH_IJSG_SG_EEES6_PlJNSB_9not_fun_tI7is_trueIsEEEEEE10hipError_tPvRmT3_T4_T5_T6_T7_T9_mT8_P12ihipStream_tbDpT10_ENKUlT_T0_E_clISt17integral_constantIbLb0EES17_IbLb1EEEEDaS13_S14_EUlS13_E_NS1_11comp_targetILNS1_3genE10ELNS1_11target_archE1200ELNS1_3gpuE4ELNS1_3repE0EEENS1_30default_config_static_selectorELNS0_4arch9wavefront6targetE0EEEvT1_,"axG",@progbits,_ZN7rocprim17ROCPRIM_400000_NS6detail17trampoline_kernelINS0_14default_configENS1_25partition_config_selectorILNS1_17partition_subalgoE6EsNS0_10empty_typeEbEEZZNS1_14partition_implILS5_6ELb0ES3_mN6thrust23THRUST_200600_302600_NS6detail15normal_iteratorINSA_10device_ptrIsEEEEPS6_SG_NS0_5tupleIJSF_S6_EEENSH_IJSG_SG_EEES6_PlJNSB_9not_fun_tI7is_trueIsEEEEEE10hipError_tPvRmT3_T4_T5_T6_T7_T9_mT8_P12ihipStream_tbDpT10_ENKUlT_T0_E_clISt17integral_constantIbLb0EES17_IbLb1EEEEDaS13_S14_EUlS13_E_NS1_11comp_targetILNS1_3genE10ELNS1_11target_archE1200ELNS1_3gpuE4ELNS1_3repE0EEENS1_30default_config_static_selectorELNS0_4arch9wavefront6targetE0EEEvT1_,comdat
	.protected	_ZN7rocprim17ROCPRIM_400000_NS6detail17trampoline_kernelINS0_14default_configENS1_25partition_config_selectorILNS1_17partition_subalgoE6EsNS0_10empty_typeEbEEZZNS1_14partition_implILS5_6ELb0ES3_mN6thrust23THRUST_200600_302600_NS6detail15normal_iteratorINSA_10device_ptrIsEEEEPS6_SG_NS0_5tupleIJSF_S6_EEENSH_IJSG_SG_EEES6_PlJNSB_9not_fun_tI7is_trueIsEEEEEE10hipError_tPvRmT3_T4_T5_T6_T7_T9_mT8_P12ihipStream_tbDpT10_ENKUlT_T0_E_clISt17integral_constantIbLb0EES17_IbLb1EEEEDaS13_S14_EUlS13_E_NS1_11comp_targetILNS1_3genE10ELNS1_11target_archE1200ELNS1_3gpuE4ELNS1_3repE0EEENS1_30default_config_static_selectorELNS0_4arch9wavefront6targetE0EEEvT1_ ; -- Begin function _ZN7rocprim17ROCPRIM_400000_NS6detail17trampoline_kernelINS0_14default_configENS1_25partition_config_selectorILNS1_17partition_subalgoE6EsNS0_10empty_typeEbEEZZNS1_14partition_implILS5_6ELb0ES3_mN6thrust23THRUST_200600_302600_NS6detail15normal_iteratorINSA_10device_ptrIsEEEEPS6_SG_NS0_5tupleIJSF_S6_EEENSH_IJSG_SG_EEES6_PlJNSB_9not_fun_tI7is_trueIsEEEEEE10hipError_tPvRmT3_T4_T5_T6_T7_T9_mT8_P12ihipStream_tbDpT10_ENKUlT_T0_E_clISt17integral_constantIbLb0EES17_IbLb1EEEEDaS13_S14_EUlS13_E_NS1_11comp_targetILNS1_3genE10ELNS1_11target_archE1200ELNS1_3gpuE4ELNS1_3repE0EEENS1_30default_config_static_selectorELNS0_4arch9wavefront6targetE0EEEvT1_
	.globl	_ZN7rocprim17ROCPRIM_400000_NS6detail17trampoline_kernelINS0_14default_configENS1_25partition_config_selectorILNS1_17partition_subalgoE6EsNS0_10empty_typeEbEEZZNS1_14partition_implILS5_6ELb0ES3_mN6thrust23THRUST_200600_302600_NS6detail15normal_iteratorINSA_10device_ptrIsEEEEPS6_SG_NS0_5tupleIJSF_S6_EEENSH_IJSG_SG_EEES6_PlJNSB_9not_fun_tI7is_trueIsEEEEEE10hipError_tPvRmT3_T4_T5_T6_T7_T9_mT8_P12ihipStream_tbDpT10_ENKUlT_T0_E_clISt17integral_constantIbLb0EES17_IbLb1EEEEDaS13_S14_EUlS13_E_NS1_11comp_targetILNS1_3genE10ELNS1_11target_archE1200ELNS1_3gpuE4ELNS1_3repE0EEENS1_30default_config_static_selectorELNS0_4arch9wavefront6targetE0EEEvT1_
	.p2align	8
	.type	_ZN7rocprim17ROCPRIM_400000_NS6detail17trampoline_kernelINS0_14default_configENS1_25partition_config_selectorILNS1_17partition_subalgoE6EsNS0_10empty_typeEbEEZZNS1_14partition_implILS5_6ELb0ES3_mN6thrust23THRUST_200600_302600_NS6detail15normal_iteratorINSA_10device_ptrIsEEEEPS6_SG_NS0_5tupleIJSF_S6_EEENSH_IJSG_SG_EEES6_PlJNSB_9not_fun_tI7is_trueIsEEEEEE10hipError_tPvRmT3_T4_T5_T6_T7_T9_mT8_P12ihipStream_tbDpT10_ENKUlT_T0_E_clISt17integral_constantIbLb0EES17_IbLb1EEEEDaS13_S14_EUlS13_E_NS1_11comp_targetILNS1_3genE10ELNS1_11target_archE1200ELNS1_3gpuE4ELNS1_3repE0EEENS1_30default_config_static_selectorELNS0_4arch9wavefront6targetE0EEEvT1_,@function
_ZN7rocprim17ROCPRIM_400000_NS6detail17trampoline_kernelINS0_14default_configENS1_25partition_config_selectorILNS1_17partition_subalgoE6EsNS0_10empty_typeEbEEZZNS1_14partition_implILS5_6ELb0ES3_mN6thrust23THRUST_200600_302600_NS6detail15normal_iteratorINSA_10device_ptrIsEEEEPS6_SG_NS0_5tupleIJSF_S6_EEENSH_IJSG_SG_EEES6_PlJNSB_9not_fun_tI7is_trueIsEEEEEE10hipError_tPvRmT3_T4_T5_T6_T7_T9_mT8_P12ihipStream_tbDpT10_ENKUlT_T0_E_clISt17integral_constantIbLb0EES17_IbLb1EEEEDaS13_S14_EUlS13_E_NS1_11comp_targetILNS1_3genE10ELNS1_11target_archE1200ELNS1_3gpuE4ELNS1_3repE0EEENS1_30default_config_static_selectorELNS0_4arch9wavefront6targetE0EEEvT1_: ; @_ZN7rocprim17ROCPRIM_400000_NS6detail17trampoline_kernelINS0_14default_configENS1_25partition_config_selectorILNS1_17partition_subalgoE6EsNS0_10empty_typeEbEEZZNS1_14partition_implILS5_6ELb0ES3_mN6thrust23THRUST_200600_302600_NS6detail15normal_iteratorINSA_10device_ptrIsEEEEPS6_SG_NS0_5tupleIJSF_S6_EEENSH_IJSG_SG_EEES6_PlJNSB_9not_fun_tI7is_trueIsEEEEEE10hipError_tPvRmT3_T4_T5_T6_T7_T9_mT8_P12ihipStream_tbDpT10_ENKUlT_T0_E_clISt17integral_constantIbLb0EES17_IbLb1EEEEDaS13_S14_EUlS13_E_NS1_11comp_targetILNS1_3genE10ELNS1_11target_archE1200ELNS1_3gpuE4ELNS1_3repE0EEENS1_30default_config_static_selectorELNS0_4arch9wavefront6targetE0EEEvT1_
; %bb.0:
	s_clause 0x3
	s_load_b64 s[18:19], s[0:1], 0x28
	s_load_b128 s[20:23], s[0:1], 0x40
	s_load_b64 s[8:9], s[0:1], 0x50
	s_load_b64 s[24:25], s[0:1], 0x60
	v_cmp_eq_u32_e64 s2, 0, v0
	s_and_saveexec_b32 s3, s2
	s_cbranch_execz .LBB1298_4
; %bb.1:
	s_mov_b32 s5, exec_lo
	s_mov_b32 s4, exec_lo
	v_mbcnt_lo_u32_b32 v1, s5, 0
                                        ; implicit-def: $vgpr2
	s_delay_alu instid0(VALU_DEP_1)
	v_cmpx_eq_u32_e32 0, v1
	s_cbranch_execz .LBB1298_3
; %bb.2:
	s_load_b64 s[6:7], s[0:1], 0x70
	s_bcnt1_i32_b32 s5, s5
	s_wait_alu 0xfffe
	v_dual_mov_b32 v2, 0 :: v_dual_mov_b32 v3, s5
	s_wait_kmcnt 0x0
	global_atomic_add_u32 v2, v2, v3, s[6:7] th:TH_ATOMIC_RETURN scope:SCOPE_DEV
.LBB1298_3:
	s_or_b32 exec_lo, exec_lo, s4
	s_wait_loadcnt 0x0
	v_readfirstlane_b32 s4, v2
	s_wait_alu 0xf1ff
	s_delay_alu instid0(VALU_DEP_1)
	v_dual_mov_b32 v2, 0 :: v_dual_add_nc_u32 v1, s4, v1
	ds_store_b32 v2, v1
.LBB1298_4:
	s_or_b32 exec_lo, exec_lo, s3
	v_dual_mov_b32 v2, 0 :: v_dual_lshlrev_b32 v19, 1, v0
	s_clause 0x1
	s_load_b128 s[4:7], s[0:1], 0x8
	s_load_b32 s0, s[0:1], 0x68
	s_wait_dscnt 0x0
	s_barrier_signal -1
	s_barrier_wait -1
	global_inv scope:SCOPE_SE
	ds_load_b32 v1, v2
	s_wait_loadcnt_dscnt 0x0
	s_barrier_signal -1
	s_barrier_wait -1
	global_inv scope:SCOPE_SE
	s_wait_kmcnt 0x0
	global_load_b64 v[17:18], v2, s[22:23]
	s_mov_b32 s1, 0
	s_lshl_b64 s[10:11], s[6:7], 1
	s_add_co_i32 s3, s0, -1
	s_mulk_i32 s0, 0x1b00
	s_delay_alu instid0(SALU_CYCLE_1)
	s_add_co_i32 s12, s0, s6
	s_add_nc_u64 s[0:1], s[6:7], s[0:1]
	v_readfirstlane_b32 s27, v1
	v_mul_lo_u32 v1, 0x1b00, v1
	v_cmp_le_u64_e64 s0, s[8:9], s[0:1]
	s_sub_co_i32 s28, s8, s12
	s_cmp_eq_u32 s27, s3
	s_cselect_b32 s22, -1, 0
	v_lshlrev_b64_e32 v[1:2], 1, v[1:2]
	s_and_b32 s3, s0, s22
	s_add_nc_u64 s[0:1], s[4:5], s[10:11]
	s_xor_b32 s23, s3, -1
	s_wait_alu 0xfffe
	s_delay_alu instid0(VALU_DEP_1) | instskip(NEXT) | instid1(VALU_DEP_1)
	v_add_co_u32 v20, vcc_lo, s0, v1
	v_add_co_ci_u32_e64 v21, null, s1, v2, vcc_lo
	s_and_b32 vcc_lo, exec_lo, s23
	s_mov_b32 s0, -1
	s_wait_alu 0xfffe
	s_cbranch_vccz .LBB1298_6
; %bb.5:
	v_add_co_u32 v1, vcc_lo, v20, v19
	s_wait_alu 0xfffd
	v_add_co_ci_u32_e64 v2, null, 0, v21, vcc_lo
	s_mov_b32 s0, 0
	s_clause 0x11
	flat_load_u16 v3, v[1:2]
	flat_load_u16 v4, v[1:2] offset:768
	flat_load_u16 v5, v[1:2] offset:1536
	;; [unrolled: 1-line block ×17, first 2 shown]
	s_wait_loadcnt_dscnt 0x1111
	ds_store_b16 v19, v3
	s_wait_loadcnt_dscnt 0x1011
	ds_store_b16 v19, v4 offset:768
	s_wait_loadcnt_dscnt 0xf11
	ds_store_b16 v19, v5 offset:1536
	;; [unrolled: 2-line block ×17, first 2 shown]
	s_wait_dscnt 0x0
	s_barrier_signal -1
	s_barrier_wait -1
.LBB1298_6:
	s_wait_alu 0xfffe
	s_and_not1_b32 vcc_lo, exec_lo, s0
	s_addk_co_i32 s28, 0x1b00
	s_wait_alu 0xfffe
	s_cbranch_vccnz .LBB1298_44
; %bb.7:
	v_mov_b32_e32 v1, 0
	s_mov_b32 s0, exec_lo
	s_delay_alu instid0(VALU_DEP_1)
	v_dual_mov_b32 v2, v1 :: v_dual_mov_b32 v3, v1
	v_dual_mov_b32 v4, v1 :: v_dual_mov_b32 v5, v1
	;; [unrolled: 1-line block ×4, first 2 shown]
	v_cmpx_gt_u32_e64 s28, v0
	s_cbranch_execz .LBB1298_9
; %bb.8:
	v_add_co_u32 v3, vcc_lo, v20, v19
	s_wait_alu 0xfffd
	v_add_co_ci_u32_e64 v4, null, 0, v21, vcc_lo
	v_mov_b32_e32 v2, v1
	v_dual_mov_b32 v6, v1 :: v_dual_mov_b32 v7, v1
	v_dual_mov_b32 v5, v1 :: v_dual_mov_b32 v8, v1
	v_mov_b32_e32 v9, v1
	flat_load_d16_b16 v2, v[3:4]
	v_dual_mov_b32 v3, v1 :: v_dual_mov_b32 v4, v1
	v_mov_b32_e32 v10, v1
	s_wait_loadcnt_dscnt 0x0
	v_mov_b32_e32 v1, v2
	s_delay_alu instid0(VALU_DEP_3)
	v_mov_b32_e32 v2, v3
	v_mov_b32_e32 v3, v4
	;; [unrolled: 1-line block ×15, first 2 shown]
.LBB1298_9:
	s_wait_alu 0xfffe
	s_or_b32 exec_lo, exec_lo, s0
	v_add_nc_u32_e32 v10, 0x180, v0
	s_mov_b32 s0, exec_lo
	s_delay_alu instid0(VALU_DEP_1)
	v_cmpx_gt_u32_e64 s28, v10
	s_cbranch_execz .LBB1298_11
; %bb.10:
	v_add_co_u32 v10, vcc_lo, v20, v19
	s_wait_alu 0xfffd
	v_add_co_ci_u32_e64 v11, null, 0, v21, vcc_lo
	flat_load_d16_hi_b16 v1, v[10:11] offset:768
.LBB1298_11:
	s_wait_alu 0xfffe
	s_or_b32 exec_lo, exec_lo, s0
	v_add_nc_u32_e32 v10, 0x300, v0
	s_mov_b32 s0, exec_lo
	s_delay_alu instid0(VALU_DEP_1)
	v_cmpx_gt_u32_e64 s28, v10
	s_cbranch_execz .LBB1298_13
; %bb.12:
	v_add_co_u32 v10, vcc_lo, v20, v19
	s_wait_alu 0xfffd
	v_add_co_ci_u32_e64 v11, null, 0, v21, vcc_lo
	flat_load_d16_b16 v2, v[10:11] offset:1536
.LBB1298_13:
	s_wait_alu 0xfffe
	s_or_b32 exec_lo, exec_lo, s0
	v_add_nc_u32_e32 v10, 0x480, v0
	s_mov_b32 s0, exec_lo
	s_delay_alu instid0(VALU_DEP_1)
	v_cmpx_gt_u32_e64 s28, v10
	s_cbranch_execz .LBB1298_15
; %bb.14:
	v_add_co_u32 v10, vcc_lo, v20, v19
	s_wait_alu 0xfffd
	v_add_co_ci_u32_e64 v11, null, 0, v21, vcc_lo
	s_wait_loadcnt_dscnt 0x0
	flat_load_d16_hi_b16 v2, v[10:11] offset:2304
.LBB1298_15:
	s_wait_alu 0xfffe
	s_or_b32 exec_lo, exec_lo, s0
	v_or_b32_e32 v10, 0x600, v0
	s_mov_b32 s0, exec_lo
	s_delay_alu instid0(VALU_DEP_1)
	v_cmpx_gt_u32_e64 s28, v10
	s_cbranch_execz .LBB1298_17
; %bb.16:
	v_add_co_u32 v10, vcc_lo, v20, v19
	s_wait_alu 0xfffd
	v_add_co_ci_u32_e64 v11, null, 0, v21, vcc_lo
	flat_load_d16_b16 v3, v[10:11] offset:3072
.LBB1298_17:
	s_wait_alu 0xfffe
	s_or_b32 exec_lo, exec_lo, s0
	v_add_nc_u32_e32 v10, 0x780, v0
	s_mov_b32 s0, exec_lo
	s_delay_alu instid0(VALU_DEP_1)
	v_cmpx_gt_u32_e64 s28, v10
	s_cbranch_execz .LBB1298_19
; %bb.18:
	v_add_co_u32 v10, vcc_lo, v20, v19
	s_wait_alu 0xfffd
	v_add_co_ci_u32_e64 v11, null, 0, v21, vcc_lo
	s_wait_loadcnt_dscnt 0x0
	flat_load_d16_hi_b16 v3, v[10:11] offset:3840
.LBB1298_19:
	s_wait_alu 0xfffe
	s_or_b32 exec_lo, exec_lo, s0
	v_add_nc_u32_e32 v10, 0x900, v0
	s_mov_b32 s0, exec_lo
	s_delay_alu instid0(VALU_DEP_1)
	v_cmpx_gt_u32_e64 s28, v10
	s_cbranch_execz .LBB1298_21
; %bb.20:
	v_add_co_u32 v10, vcc_lo, v20, v19
	s_wait_alu 0xfffd
	v_add_co_ci_u32_e64 v11, null, 0, v21, vcc_lo
	flat_load_d16_b16 v4, v[10:11] offset:4608
.LBB1298_21:
	s_wait_alu 0xfffe
	s_or_b32 exec_lo, exec_lo, s0
	v_add_nc_u32_e32 v10, 0xa80, v0
	s_mov_b32 s0, exec_lo
	s_delay_alu instid0(VALU_DEP_1)
	v_cmpx_gt_u32_e64 s28, v10
	s_cbranch_execz .LBB1298_23
; %bb.22:
	v_add_co_u32 v10, vcc_lo, v20, v19
	s_wait_alu 0xfffd
	v_add_co_ci_u32_e64 v11, null, 0, v21, vcc_lo
	s_wait_loadcnt_dscnt 0x0
	flat_load_d16_hi_b16 v4, v[10:11] offset:5376
.LBB1298_23:
	s_wait_alu 0xfffe
	s_or_b32 exec_lo, exec_lo, s0
	v_or_b32_e32 v10, 0xc00, v0
	s_mov_b32 s0, exec_lo
	s_delay_alu instid0(VALU_DEP_1)
	v_cmpx_gt_u32_e64 s28, v10
	s_cbranch_execz .LBB1298_25
; %bb.24:
	v_add_co_u32 v10, vcc_lo, v20, v19
	s_wait_alu 0xfffd
	v_add_co_ci_u32_e64 v11, null, 0, v21, vcc_lo
	flat_load_d16_b16 v5, v[10:11] offset:6144
.LBB1298_25:
	s_wait_alu 0xfffe
	s_or_b32 exec_lo, exec_lo, s0
	v_add_nc_u32_e32 v10, 0xd80, v0
	s_mov_b32 s0, exec_lo
	s_delay_alu instid0(VALU_DEP_1)
	v_cmpx_gt_u32_e64 s28, v10
	s_cbranch_execz .LBB1298_27
; %bb.26:
	v_add_co_u32 v10, vcc_lo, v20, v19
	s_wait_alu 0xfffd
	v_add_co_ci_u32_e64 v11, null, 0, v21, vcc_lo
	s_wait_loadcnt_dscnt 0x0
	flat_load_d16_hi_b16 v5, v[10:11] offset:6912
.LBB1298_27:
	;; [unrolled: 54-line block ×4, first 2 shown]
	s_wait_alu 0xfffe
	s_or_b32 exec_lo, exec_lo, s0
	s_wait_loadcnt_dscnt 0x0
	ds_store_b16 v19, v1
	ds_store_b16_d16_hi v19, v1 offset:768
	ds_store_b16 v19, v2 offset:1536
	ds_store_b16_d16_hi v19, v2 offset:2304
	ds_store_b16 v19, v3 offset:3072
	;; [unrolled: 2-line block ×8, first 2 shown]
	ds_store_b16_d16_hi v19, v9 offset:13056
	s_wait_dscnt 0x0
	s_barrier_signal -1
	s_barrier_wait -1
.LBB1298_44:
	v_mul_u32_u24_e32 v1, 18, v0
	s_wait_loadcnt 0x0
	global_inv scope:SCOPE_SE
	s_and_not1_b32 vcc_lo, exec_lo, s23
	v_lshlrev_b32_e32 v2, 1, v1
	ds_load_2addr_b32 v[9:10], v2 offset0:7 offset1:8
	ds_load_b32 v58, v2
	ds_load_2addr_b32 v[15:16], v2 offset0:1 offset1:2
	ds_load_2addr_b32 v[13:14], v2 offset0:3 offset1:4
	;; [unrolled: 1-line block ×3, first 2 shown]
	s_wait_loadcnt_dscnt 0x0
	s_barrier_signal -1
	s_barrier_wait -1
	global_inv scope:SCOPE_SE
	v_alignbit_b32 v57, v10, v9, 16
	v_lshrrev_b32_e32 v10, 16, v10
	v_cmp_eq_u16_e64 s7, 0, v58
	v_lshrrev_b32_e32 v19, 16, v58
	v_cmp_eq_u16_e64 s8, 0, v15
	;; [unrolled: 2-line block ×8, first 2 shown]
	v_cmp_eq_u16_e64 s9, 0, v57
	v_lshrrev_b32_e32 v2, 16, v57
	v_cmp_eq_u16_e64 s26, 0, v10
	s_wait_alu 0xfffe
	s_cbranch_vccnz .LBB1298_46
; %bb.45:
	v_cmp_eq_u16_e32 vcc_lo, 0, v19
	s_wait_alu 0xf1ff
	v_cndmask_b32_e64 v27, 0, 1, s9
	v_cndmask_b32_e64 v28, 0, 1, s7
	;; [unrolled: 1-line block ×4, first 2 shown]
	s_wait_alu 0xfffd
	v_cndmask_b32_e64 v20, 0, 1, vcc_lo
	v_cmp_eq_u16_e32 vcc_lo, 0, v8
	v_lshlrev_b16 v27, 8, v27
	v_cndmask_b32_e64 v31, 0, 1, s1
	v_cndmask_b32_e64 v32, 0, 1, s0
	v_lshlrev_b16 v20, 8, v20
	s_wait_alu 0xfffd
	v_cndmask_b32_e64 v21, 0, 1, vcc_lo
	v_cmp_eq_u16_e32 vcc_lo, 0, v7
	v_or_b32_e32 v27, v32, v27
	v_lshrrev_b32_e32 v20, 8, v20
	s_delay_alu instid0(VALU_DEP_4)
	v_lshlrev_b16 v21, 8, v21
	s_wait_alu 0xfffd
	v_cndmask_b32_e64 v22, 0, 1, vcc_lo
	v_cmp_eq_u16_e32 vcc_lo, 0, v6
	v_lshlrev_b32_e32 v27, 16, v27
	v_lshlrev_b16 v20, 8, v20
	v_lshrrev_b32_e32 v21, 8, v21
	v_lshlrev_b16 v22, 8, v22
	s_wait_alu 0xfffd
	v_cndmask_b32_e64 v23, 0, 1, vcc_lo
	v_cmp_eq_u16_e32 vcc_lo, 0, v5
	v_or_b32_e32 v20, v28, v20
	v_lshlrev_b16 v21, 8, v21
	v_lshrrev_b32_e32 v22, 8, v22
	v_lshlrev_b16 v23, 8, v23
	s_wait_alu 0xfffd
	v_cndmask_b32_e64 v24, 0, 1, vcc_lo
	v_cmp_eq_u16_e32 vcc_lo, 0, v3
	v_or_b32_e32 v21, v30, v21
	v_lshlrev_b16 v22, 8, v22
	v_cndmask_b32_e64 v28, 0, 1, s3
	v_lshlrev_b16 v24, 8, v24
	s_wait_alu 0xfffd
	v_cndmask_b32_e64 v25, 0, 1, vcc_lo
	v_cmp_eq_u16_e32 vcc_lo, 0, v4
	v_or_b32_e32 v22, v29, v22
	v_cndmask_b32_e64 v29, 0, 1, s4
	v_lshrrev_b32_e32 v24, 8, v24
	v_lshlrev_b16 v25, 8, v25
	s_wait_alu 0xfffd
	v_cndmask_b32_e64 v26, 0, 1, vcc_lo
	v_cndmask_b32_e64 v30, 0, 1, s5
	v_or_b32_e32 v23, v28, v23
	v_lshlrev_b16 v24, 8, v24
	v_lshrrev_b32_e32 v25, 8, v25
	v_lshlrev_b16 v26, 8, v26
	v_and_b32_e32 v20, 0xffff, v20
	v_lshlrev_b32_e32 v22, 16, v22
	v_or_b32_e32 v24, v29, v24
	v_lshlrev_b16 v25, 8, v25
	v_lshrrev_b32_e32 v26, 8, v26
	v_and_b32_e32 v21, 0xffff, v21
	v_lshlrev_b32_e32 v23, 16, v23
	v_and_b32_e32 v24, 0xffff, v24
	v_or_b32_e32 v25, v30, v25
	v_lshlrev_b16 v26, 8, v26
	v_cmp_eq_u16_e32 vcc_lo, 0, v2
	v_or_b32_e32 v55, v20, v22
	v_or_b32_e32 v63, v21, v23
	v_lshlrev_b32_e32 v25, 16, v25
	v_or_b32_e32 v26, v31, v26
	s_wait_alu 0xfffd
	v_cndmask_b32_e64 v59, 0, 1, vcc_lo
	s_delay_alu instid0(VALU_DEP_3) | instskip(NEXT) | instid1(VALU_DEP_3)
	v_or_b32_e32 v61, v24, v25
	v_and_b32_e32 v26, 0xffff, v26
	s_delay_alu instid0(VALU_DEP_1)
	v_or_b32_e32 v60, v26, v27
	s_cbranch_execz .LBB1298_47
	s_branch .LBB1298_48
.LBB1298_46:
                                        ; implicit-def: $sgpr26
                                        ; implicit-def: $vgpr59
                                        ; implicit-def: $vgpr60
                                        ; implicit-def: $vgpr61
                                        ; implicit-def: $vgpr63
                                        ; implicit-def: $vgpr55
.LBB1298_47:
	v_or_b32_e32 v20, 1, v1
	v_cmp_eq_u16_e32 vcc_lo, 0, v19
	v_add_nc_u32_e32 v22, 3, v1
	v_add_nc_u32_e32 v21, 5, v1
	;; [unrolled: 1-line block ×3, first 2 shown]
	v_cmp_gt_u32_e64 s3, s28, v20
	v_add_nc_u32_e32 v20, 2, v1
	v_cmp_gt_u32_e64 s5, s28, v22
	v_cmp_gt_u32_e64 s7, s28, v21
	v_add_nc_u32_e32 v21, 9, v1
	s_and_b32 s3, s3, vcc_lo
	v_cmp_eq_u16_e32 vcc_lo, 0, v7
	s_wait_alu 0xfffe
	v_cndmask_b32_e64 v23, 0, 1, s3
	v_cmp_eq_u16_e64 s3, 0, v8
	v_cmp_gt_u32_e64 s8, s28, v20
	v_cmp_gt_u32_e64 s9, s28, v21
	s_and_b32 s5, s5, vcc_lo
	v_cmp_gt_u32_e32 vcc_lo, s28, v19
	v_add_nc_u32_e32 v19, 7, v1
	s_and_b32 s3, s7, s3
	s_wait_alu 0xfffe
	v_cndmask_b32_e64 v8, 0, 1, s5
	v_cndmask_b32_e64 v20, 0, 1, s3
	v_cmp_eq_u16_e64 s3, 0, v6
	v_cmp_gt_u32_e64 s5, s28, v19
	v_cmp_eq_u16_e64 s7, 0, v5
	v_add_nc_u32_e32 v19, 8, v1
	v_lshlrev_b16 v7, 8, v23
	v_add_nc_u32_e32 v23, 13, v1
	s_and_b32 s3, s5, s3
	s_and_b32 s5, s9, s7
	v_cmp_gt_u32_e64 s9, s28, v19
	s_wait_alu 0xfffe
	v_cndmask_b32_e64 v21, 0, 1, s5
	v_cmp_eq_u16_e64 s10, 0, v3
	v_lshlrev_b16 v6, 8, v20
	v_add_nc_u32_e32 v20, 6, v1
	v_cmp_eq_u16_e64 s11, 0, v4
	v_lshlrev_b16 v19, 8, v21
	v_add_nc_u32_e32 v21, 11, v1
	v_cmp_gt_u32_e64 s15, s28, v23
	v_cmp_gt_u32_e64 s7, s28, v20
	v_add_nc_u32_e32 v20, 12, v1
	v_add_nc_u32_e32 v4, 15, v1
	v_cmp_gt_u32_e64 s12, s28, v21
	v_lshlrev_b16 v8, 8, v8
	v_cmp_eq_u16_e64 s0, 0, v58
	v_cmp_gt_u32_e64 s1, s28, v1
	v_cmp_eq_u16_e64 s4, 0, v15
	s_and_b32 s10, s12, s10
	v_cmp_gt_u32_e64 s12, s28, v4
	v_cndmask_b32_e64 v3, 0, 1, s10
	s_and_b32 s10, s15, s11
	v_cmp_eq_u16_e64 s11, 0, v57
	s_wait_alu 0xfffe
	v_cndmask_b32_e64 v21, 0, 1, s10
	v_cmp_gt_u32_e64 s10, s28, v20
	v_add_nc_u32_e32 v20, 16, v1
	v_lshrrev_b32_e32 v7, 8, v7
	v_lshrrev_b32_e32 v8, 8, v8
	v_lshlrev_b16 v4, 8, v21
	v_add_nc_u32_e32 v21, 14, v1
	s_and_b32 s0, s1, s0
	v_add_nc_u32_e32 v22, 10, v1
	s_and_b32 s11, s12, s11
	v_cmp_gt_u32_e64 s12, s28, v20
	s_wait_alu 0xfffe
	v_cndmask_b32_e64 v20, 0, 1, s0
	s_and_b32 s0, s8, s4
	v_cmp_gt_u32_e64 s15, s28, v21
	v_lshlrev_b16 v7, 8, v7
	v_lshlrev_b16 v8, 8, v8
	s_wait_alu 0xfffe
	v_cndmask_b32_e64 v21, 0, 1, s0
	v_cndmask_b32_e64 v5, 0, 1, s3
	v_cmp_eq_u16_e64 s3, 0, v13
	v_cmp_gt_u32_e64 s16, s28, v22
	v_cndmask_b32_e64 v22, 0, 1, s11
	v_cmp_eq_u16_e64 s6, 0, v16
	v_cmp_eq_u16_e64 s5, 0, v14
	v_add_nc_u32_e32 v1, 17, v1
	v_or_b32_e32 v7, v20, v7
	v_or_b32_e32 v8, v21, v8
	v_lshrrev_b32_e32 v6, 8, v6
	v_cmp_eq_u16_e64 s13, 0, v11
	v_lshlrev_b16 v5, 8, v5
	v_lshlrev_b16 v3, 8, v3
	v_cmp_eq_u16_e64 s11, 0, v2
	v_lshlrev_b16 v2, 8, v22
	s_and_b32 s1, s7, s3
	v_cmp_eq_u16_e64 s14, 0, v12
	s_and_b32 s0, vcc_lo, s6
	v_cmp_gt_u32_e32 vcc_lo, s28, v1
	v_and_b32_e32 v1, 0xffff, v7
	v_lshlrev_b32_e32 v7, 16, v8
	v_lshrrev_b32_e32 v8, 8, v19
	s_wait_alu 0xfffe
	v_cndmask_b32_e64 v19, 0, 1, s1
	s_and_b32 s1, s9, s5
	v_cmp_eq_u16_e64 s17, 0, v9
	v_lshlrev_b16 v6, 8, v6
	v_cndmask_b32_e64 v22, 0, 1, s0
	s_wait_alu 0xfffe
	v_cndmask_b32_e64 v20, 0, 1, s1
	s_and_b32 s1, s16, s13
	v_lshrrev_b32_e32 v5, 8, v5
	v_lshrrev_b32_e32 v2, 8, v2
	;; [unrolled: 1-line block ×4, first 2 shown]
	s_wait_alu 0xfffe
	v_cndmask_b32_e64 v21, 0, 1, s1
	s_and_b32 s1, s10, s14
	v_or_b32_e32 v6, v22, v6
	s_wait_alu 0xfffe
	v_cndmask_b32_e64 v22, 0, 1, s1
	s_and_b32 s1, s15, s17
	v_lshlrev_b16 v5, 8, v5
	v_lshlrev_b16 v8, 8, v8
	;; [unrolled: 1-line block ×5, first 2 shown]
	s_wait_alu 0xfffe
	v_cndmask_b32_e64 v23, 0, 1, s1
	v_or_b32_e32 v5, v19, v5
	v_or_b32_e32 v8, v20, v8
	;; [unrolled: 1-line block ×5, first 2 shown]
	v_cmp_eq_u16_e64 s0, 0, v10
	v_and_b32_e32 v6, 0xffff, v6
	v_lshlrev_b32_e32 v5, 16, v5
	v_and_b32_e32 v8, 0xffff, v8
	v_lshlrev_b32_e32 v3, 16, v3
	;; [unrolled: 2-line block ×3, first 2 shown]
	s_and_b32 s11, s12, s11
	s_and_b32 s0, vcc_lo, s0
	s_wait_alu 0xfffe
	v_cndmask_b32_e64 v59, 0, 1, s11
	v_or_b32_e32 v55, v1, v7
	v_or_b32_e32 v63, v6, v5
	;; [unrolled: 1-line block ×4, first 2 shown]
	s_and_not1_b32 s1, s26, exec_lo
	s_and_b32 s0, s0, exec_lo
	s_wait_alu 0xfffe
	s_or_b32 s26, s1, s0
.LBB1298_48:
	v_dual_mov_b32 v2, 0 :: v_dual_and_b32 v29, 0xff, v55
	v_bfe_u32 v28, v55, 8, 8
	v_cndmask_b32_e64 v1, 0, 1, s26
	v_bfe_u32 v36, v55, 16, 8
	v_lshrrev_b32_e32 v66, 24, v55
	v_and_b32_e32 v35, 0xff, v63
	v_bfe_u32 v34, v63, 8, 8
	v_add3_u32 v1, v29, v1, v28
	v_bfe_u32 v33, v63, 16, 8
	v_lshrrev_b32_e32 v65, 24, v63
	v_and_b32_e32 v32, 0xff, v61
	v_bfe_u32 v31, v61, 8, 8
	v_add_co_u32 v1, s0, v1, v36
	s_wait_alu 0xf1ff
	v_add_co_ci_u32_e64 v3, null, 0, 0, s0
	v_bfe_u32 v30, v61, 16, 8
	s_delay_alu instid0(VALU_DEP_3) | instskip(SKIP_1) | instid1(VALU_DEP_3)
	v_add_co_u32 v1, vcc_lo, v1, v66
	s_wait_alu 0xfffd
	v_add_co_ci_u32_e64 v3, null, 0, v3, vcc_lo
	v_lshrrev_b32_e32 v64, 24, v61
	s_delay_alu instid0(VALU_DEP_3) | instskip(SKIP_1) | instid1(VALU_DEP_3)
	v_add_co_u32 v1, vcc_lo, v1, v35
	s_wait_alu 0xfffd
	v_add_co_ci_u32_e64 v3, null, 0, v3, vcc_lo
	v_and_b32_e32 v68, 0xff, v60
	s_delay_alu instid0(VALU_DEP_3) | instskip(SKIP_1) | instid1(VALU_DEP_3)
	v_add_co_u32 v1, vcc_lo, v1, v34
	s_wait_alu 0xfffd
	v_add_co_ci_u32_e64 v3, null, 0, v3, vcc_lo
	v_bfe_u32 v27, v60, 8, 8
	s_delay_alu instid0(VALU_DEP_3) | instskip(SKIP_1) | instid1(VALU_DEP_3)
	v_add_co_u32 v1, vcc_lo, v1, v33
	s_wait_alu 0xfffd
	v_add_co_ci_u32_e64 v3, null, 0, v3, vcc_lo
	v_bfe_u32 v67, v60, 16, 8
	s_delay_alu instid0(VALU_DEP_3) | instskip(SKIP_1) | instid1(VALU_DEP_3)
	v_add_co_u32 v1, vcc_lo, v1, v65
	s_wait_alu 0xfffd
	v_add_co_ci_u32_e64 v3, null, 0, v3, vcc_lo
	v_lshrrev_b32_e32 v62, 24, v60
	s_delay_alu instid0(VALU_DEP_3) | instskip(SKIP_1) | instid1(VALU_DEP_3)
	v_add_co_u32 v1, vcc_lo, v1, v32
	s_wait_alu 0xfffd
	v_add_co_ci_u32_e64 v3, null, 0, v3, vcc_lo
	v_mbcnt_lo_u32_b32 v37, -1, 0
	s_delay_alu instid0(VALU_DEP_3) | instskip(SKIP_1) | instid1(VALU_DEP_3)
	v_add_co_u32 v1, vcc_lo, v1, v31
	s_wait_alu 0xfffd
	v_add_co_ci_u32_e64 v3, null, 0, v3, vcc_lo
	v_and_b32_e32 v56, 0xff, v59
	s_delay_alu instid0(VALU_DEP_3) | instskip(SKIP_1) | instid1(VALU_DEP_3)
	v_add_co_u32 v1, vcc_lo, v1, v30
	s_wait_alu 0xfffd
	v_add_co_ci_u32_e64 v3, null, 0, v3, vcc_lo
	v_and_b32_e32 v38, 15, v37
	s_delay_alu instid0(VALU_DEP_3) | instskip(SKIP_1) | instid1(VALU_DEP_3)
	v_add_co_u32 v1, vcc_lo, v1, v64
	s_wait_alu 0xfffd
	v_add_co_ci_u32_e64 v3, null, 0, v3, vcc_lo
	s_delay_alu instid0(VALU_DEP_3) | instskip(NEXT) | instid1(VALU_DEP_3)
	v_cmp_ne_u32_e64 s0, 0, v38
	v_add_co_u32 v1, vcc_lo, v1, v68
	s_wait_alu 0xfffd
	s_delay_alu instid0(VALU_DEP_3)
	v_add_co_ci_u32_e64 v3, null, 0, v3, vcc_lo
	s_cmp_lg_u32 s27, 0
	v_add_co_u32 v1, vcc_lo, v1, v27
	s_wait_alu 0xfffd
	v_add_co_ci_u32_e64 v3, null, 0, v3, vcc_lo
	s_mov_b32 s1, -1
	v_add_co_u32 v1, vcc_lo, v1, v67
	s_wait_alu 0xfffd
	v_add_co_ci_u32_e64 v3, null, 0, v3, vcc_lo
	s_delay_alu instid0(VALU_DEP_2) | instskip(SKIP_1) | instid1(VALU_DEP_2)
	v_add_co_u32 v1, vcc_lo, v1, v62
	s_wait_alu 0xfffd
	v_add_co_ci_u32_e64 v3, null, 0, v3, vcc_lo
	s_delay_alu instid0(VALU_DEP_2) | instskip(SKIP_1) | instid1(VALU_DEP_2)
	v_add_co_u32 v19, vcc_lo, v1, v56
	s_wait_alu 0xfffd
	v_add_co_ci_u32_e64 v20, null, 0, v3, vcc_lo
	s_cbranch_scc0 .LBB1298_107
; %bb.49:
	v_mov_b32_e32 v3, v19
	v_mov_b32_dpp v1, v19 row_shr:1 row_mask:0xf bank_mask:0xf
	v_mov_b32_dpp v6, v2 row_shr:1 row_mask:0xf bank_mask:0xf
	v_dual_mov_b32 v5, v19 :: v_dual_mov_b32 v4, v20
	s_and_saveexec_b32 s1, s0
; %bb.50:
	s_delay_alu instid0(VALU_DEP_3) | instskip(SKIP_2) | instid1(VALU_DEP_2)
	v_add_co_u32 v5, vcc_lo, v19, v1
	s_wait_alu 0xfffd
	v_add_co_ci_u32_e64 v2, null, 0, v20, vcc_lo
	v_add_co_u32 v1, vcc_lo, 0, v5
	s_wait_alu 0xfffd
	s_delay_alu instid0(VALU_DEP_2) | instskip(NEXT) | instid1(VALU_DEP_1)
	v_add_co_ci_u32_e64 v2, null, v6, v2, vcc_lo
	v_dual_mov_b32 v4, v2 :: v_dual_mov_b32 v3, v1
; %bb.51:
	s_wait_alu 0xfffe
	s_or_b32 exec_lo, exec_lo, s1
	v_mov_b32_dpp v1, v5 row_shr:2 row_mask:0xf bank_mask:0xf
	v_mov_b32_dpp v6, v2 row_shr:2 row_mask:0xf bank_mask:0xf
	v_cmp_lt_u32_e32 vcc_lo, 1, v38
	s_and_saveexec_b32 s3, vcc_lo
; %bb.52:
	s_delay_alu instid0(VALU_DEP_3) | instskip(SKIP_2) | instid1(VALU_DEP_2)
	v_add_co_u32 v5, s1, v3, v1
	s_wait_alu 0xf1ff
	v_add_co_ci_u32_e64 v2, null, 0, v4, s1
	v_add_co_u32 v1, s1, 0, v5
	s_wait_alu 0xf1ff
	s_delay_alu instid0(VALU_DEP_2) | instskip(NEXT) | instid1(VALU_DEP_1)
	v_add_co_ci_u32_e64 v2, null, v6, v2, s1
	v_dual_mov_b32 v4, v2 :: v_dual_mov_b32 v3, v1
; %bb.53:
	s_wait_alu 0xfffe
	s_or_b32 exec_lo, exec_lo, s3
	v_mov_b32_dpp v1, v5 row_shr:4 row_mask:0xf bank_mask:0xf
	v_mov_b32_dpp v6, v2 row_shr:4 row_mask:0xf bank_mask:0xf
	v_cmp_lt_u32_e64 s1, 3, v38
	s_and_saveexec_b32 s4, s1
; %bb.54:
	v_add_co_u32 v5, s3, v3, v1
	s_wait_alu 0xf1ff
	v_add_co_ci_u32_e64 v2, null, 0, v4, s3
	s_delay_alu instid0(VALU_DEP_2) | instskip(SKIP_1) | instid1(VALU_DEP_2)
	v_add_co_u32 v1, s3, 0, v5
	s_wait_alu 0xf1ff
	v_add_co_ci_u32_e64 v2, null, v6, v2, s3
	s_delay_alu instid0(VALU_DEP_1)
	v_dual_mov_b32 v4, v2 :: v_dual_mov_b32 v3, v1
; %bb.55:
	s_wait_alu 0xfffe
	s_or_b32 exec_lo, exec_lo, s4
	v_mov_b32_dpp v6, v5 row_shr:8 row_mask:0xf bank_mask:0xf
	v_mov_b32_dpp v1, v2 row_shr:8 row_mask:0xf bank_mask:0xf
	v_cmp_lt_u32_e64 s3, 7, v38
	s_and_saveexec_b32 s5, s3
; %bb.56:
	v_add_co_u32 v5, s4, v3, v6
	s_wait_alu 0xf1ff
	v_add_co_ci_u32_e64 v2, null, 0, v4, s4
	s_delay_alu instid0(VALU_DEP_2) | instskip(SKIP_1) | instid1(VALU_DEP_2)
	v_add_co_u32 v3, s4, 0, v5
	s_wait_alu 0xf1ff
	v_add_co_ci_u32_e64 v4, null, v1, v2, s4
	s_delay_alu instid0(VALU_DEP_1)
	v_mov_b32_e32 v2, v4
; %bb.57:
	s_wait_alu 0xfffe
	s_or_b32 exec_lo, exec_lo, s5
	ds_swizzle_b32 v1, v5 offset:swizzle(BROADCAST,32,15)
	ds_swizzle_b32 v6, v2 offset:swizzle(BROADCAST,32,15)
	v_and_b32_e32 v7, 16, v37
	s_mov_b32 s5, exec_lo
	s_delay_alu instid0(VALU_DEP_1)
	v_cmpx_ne_u32_e32 0, v7
	s_cbranch_execz .LBB1298_59
; %bb.58:
	s_wait_dscnt 0x1
	v_add_co_u32 v5, s4, v3, v1
	s_wait_alu 0xf1ff
	v_add_co_ci_u32_e64 v2, null, 0, v4, s4
	s_delay_alu instid0(VALU_DEP_2) | instskip(SKIP_2) | instid1(VALU_DEP_2)
	v_add_co_u32 v1, s4, 0, v5
	s_wait_dscnt 0x0
	s_wait_alu 0xf1ff
	v_add_co_ci_u32_e64 v2, null, v6, v2, s4
	s_delay_alu instid0(VALU_DEP_1)
	v_dual_mov_b32 v4, v2 :: v_dual_mov_b32 v3, v1
.LBB1298_59:
	s_wait_alu 0xfffe
	s_or_b32 exec_lo, exec_lo, s5
	s_wait_dscnt 0x1
	v_and_b32_e32 v1, 0x1e0, v0
	s_mov_b32 s5, exec_lo
	s_delay_alu instid0(VALU_DEP_1) | instskip(SKIP_1) | instid1(VALU_DEP_1)
	v_min_u32_e32 v1, 0x160, v1
	s_wait_dscnt 0x0
	v_or_b32_e32 v6, 31, v1
	v_lshrrev_b32_e32 v1, 5, v0
	s_delay_alu instid0(VALU_DEP_2)
	v_cmpx_eq_u32_e64 v0, v6
; %bb.60:
	s_delay_alu instid0(VALU_DEP_2)
	v_lshlrev_b32_e32 v6, 3, v1
	ds_store_b64 v6, v[3:4]
; %bb.61:
	s_wait_alu 0xfffe
	s_or_b32 exec_lo, exec_lo, s5
	s_delay_alu instid0(SALU_CYCLE_1)
	s_mov_b32 s5, exec_lo
	s_wait_loadcnt_dscnt 0x0
	s_barrier_signal -1
	s_barrier_wait -1
	global_inv scope:SCOPE_SE
	v_cmpx_gt_u32_e32 12, v0
	s_cbranch_execz .LBB1298_71
; %bb.62:
	v_lshlrev_b32_e32 v6, 3, v0
	ds_load_b64 v[3:4], v6
	s_wait_dscnt 0x0
	v_mov_b32_dpp v21, v3 row_shr:1 row_mask:0xf bank_mask:0xf
	v_mov_b32_dpp v8, v4 row_shr:1 row_mask:0xf bank_mask:0xf
	v_mov_b32_e32 v7, v3
	s_and_saveexec_b32 s6, s0
; %bb.63:
	s_delay_alu instid0(VALU_DEP_3) | instskip(SKIP_2) | instid1(VALU_DEP_2)
	v_add_co_u32 v7, s4, v3, v21
	s_wait_alu 0xf1ff
	v_add_co_ci_u32_e64 v4, null, 0, v4, s4
	v_add_co_u32 v3, s4, 0, v7
	s_wait_alu 0xf1ff
	s_delay_alu instid0(VALU_DEP_2)
	v_add_co_ci_u32_e64 v4, null, v8, v4, s4
; %bb.64:
	s_wait_alu 0xfffe
	s_or_b32 exec_lo, exec_lo, s6
	v_mov_b32_dpp v21, v7 row_shr:2 row_mask:0xf bank_mask:0xf
	s_delay_alu instid0(VALU_DEP_2)
	v_mov_b32_dpp v8, v4 row_shr:2 row_mask:0xf bank_mask:0xf
	s_and_saveexec_b32 s4, vcc_lo
; %bb.65:
	s_delay_alu instid0(VALU_DEP_2) | instskip(SKIP_2) | instid1(VALU_DEP_2)
	v_add_co_u32 v7, vcc_lo, v3, v21
	s_wait_alu 0xfffd
	v_add_co_ci_u32_e64 v4, null, 0, v4, vcc_lo
	v_add_co_u32 v3, vcc_lo, 0, v7
	s_wait_alu 0xfffd
	s_delay_alu instid0(VALU_DEP_2)
	v_add_co_ci_u32_e64 v4, null, v8, v4, vcc_lo
; %bb.66:
	s_wait_alu 0xfffe
	s_or_b32 exec_lo, exec_lo, s4
	v_mov_b32_dpp v21, v7 row_shr:4 row_mask:0xf bank_mask:0xf
	s_delay_alu instid0(VALU_DEP_2)
	v_mov_b32_dpp v8, v4 row_shr:4 row_mask:0xf bank_mask:0xf
	s_and_saveexec_b32 s4, s1
; %bb.67:
	s_delay_alu instid0(VALU_DEP_2) | instskip(SKIP_2) | instid1(VALU_DEP_2)
	v_add_co_u32 v7, vcc_lo, v3, v21
	s_wait_alu 0xfffd
	v_add_co_ci_u32_e64 v4, null, 0, v4, vcc_lo
	v_add_co_u32 v3, vcc_lo, 0, v7
	s_wait_alu 0xfffd
	s_delay_alu instid0(VALU_DEP_2)
	v_add_co_ci_u32_e64 v4, null, v8, v4, vcc_lo
; %bb.68:
	s_wait_alu 0xfffe
	s_or_b32 exec_lo, exec_lo, s4
	v_mov_b32_dpp v8, v7 row_shr:8 row_mask:0xf bank_mask:0xf
	s_delay_alu instid0(VALU_DEP_2)
	v_mov_b32_dpp v7, v4 row_shr:8 row_mask:0xf bank_mask:0xf
	s_and_saveexec_b32 s1, s3
; %bb.69:
	s_delay_alu instid0(VALU_DEP_2) | instskip(SKIP_2) | instid1(VALU_DEP_2)
	v_add_co_u32 v3, vcc_lo, v3, v8
	s_wait_alu 0xfffd
	v_add_co_ci_u32_e64 v4, null, 0, v4, vcc_lo
	v_add_co_u32 v3, vcc_lo, v3, 0
	s_wait_alu 0xfffd
	s_delay_alu instid0(VALU_DEP_2)
	v_add_co_ci_u32_e64 v4, null, v4, v7, vcc_lo
; %bb.70:
	s_wait_alu 0xfffe
	s_or_b32 exec_lo, exec_lo, s1
	ds_store_b64 v6, v[3:4]
.LBB1298_71:
	s_wait_alu 0xfffe
	s_or_b32 exec_lo, exec_lo, s5
	s_delay_alu instid0(SALU_CYCLE_1)
	s_mov_b32 s3, exec_lo
	v_cmp_gt_u32_e32 vcc_lo, 32, v0
	s_wait_loadcnt_dscnt 0x0
	s_barrier_signal -1
	s_barrier_wait -1
	global_inv scope:SCOPE_SE
                                        ; implicit-def: $vgpr21_vgpr22
	v_cmpx_lt_u32_e32 31, v0
	s_cbranch_execz .LBB1298_73
; %bb.72:
	v_lshl_add_u32 v1, v1, 3, -8
	ds_load_b64 v[21:22], v1
	s_wait_dscnt 0x0
	v_add_co_u32 v5, s1, v5, v21
	s_wait_alu 0xf1ff
	v_add_co_ci_u32_e64 v2, null, v2, v22, s1
.LBB1298_73:
	s_wait_alu 0xfffe
	s_or_b32 exec_lo, exec_lo, s3
	v_sub_co_u32 v1, s1, v37, 1
	s_delay_alu instid0(VALU_DEP_1) | instskip(SKIP_1) | instid1(VALU_DEP_1)
	v_cmp_gt_i32_e64 s3, 0, v1
	s_wait_alu 0xf1ff
	v_cndmask_b32_e64 v1, v1, v37, s3
	s_delay_alu instid0(VALU_DEP_1)
	v_lshlrev_b32_e32 v1, 2, v1
	ds_bpermute_b32 v39, v1, v5
	ds_bpermute_b32 v40, v1, v2
	s_and_saveexec_b32 s3, vcc_lo
	s_cbranch_execz .LBB1298_112
; %bb.74:
	v_mov_b32_e32 v4, 0
	ds_load_b64 v[1:2], v4 offset:88
	s_and_saveexec_b32 s4, s1
	s_cbranch_execz .LBB1298_76
; %bb.75:
	s_add_co_i32 s6, s27, 32
	s_mov_b32 s7, 0
	s_wait_alu 0xfffe
	s_lshl_b64 s[6:7], s[6:7], 4
	s_wait_alu 0xfffe
	s_add_nc_u64 s[6:7], s[24:25], s[6:7]
	v_mov_b32_e32 v3, 1
	s_wait_alu 0xfffe
	v_dual_mov_b32 v5, s6 :: v_dual_mov_b32 v6, s7
	s_wait_dscnt 0x0
	;;#ASMSTART
	global_store_b128 v[5:6], v[1:4] off scope:SCOPE_DEV	
s_wait_storecnt 0x0
	;;#ASMEND
.LBB1298_76:
	s_wait_alu 0xfffe
	s_or_b32 exec_lo, exec_lo, s4
	v_xad_u32 v23, v37, -1, s27
	s_mov_b32 s5, 0
	s_mov_b32 s4, exec_lo
	s_delay_alu instid0(VALU_DEP_1) | instskip(NEXT) | instid1(VALU_DEP_1)
	v_add_nc_u32_e32 v3, 32, v23
	v_lshlrev_b64_e32 v[3:4], 4, v[3:4]
	s_delay_alu instid0(VALU_DEP_1) | instskip(SKIP_1) | instid1(VALU_DEP_2)
	v_add_co_u32 v3, vcc_lo, s24, v3
	s_wait_alu 0xfffd
	v_add_co_ci_u32_e64 v4, null, s25, v4, vcc_lo
	;;#ASMSTART
	global_load_b128 v[5:8], v[3:4] off scope:SCOPE_DEV	
s_wait_loadcnt 0x0
	;;#ASMEND
	v_and_b32_e32 v8, 0xff, v7
	s_delay_alu instid0(VALU_DEP_1)
	v_cmpx_eq_u16_e32 0, v8
	s_cbranch_execz .LBB1298_79
.LBB1298_77:                            ; =>This Inner Loop Header: Depth=1
	;;#ASMSTART
	global_load_b128 v[5:8], v[3:4] off scope:SCOPE_DEV	
s_wait_loadcnt 0x0
	;;#ASMEND
	v_and_b32_e32 v8, 0xff, v7
	s_delay_alu instid0(VALU_DEP_1)
	v_cmp_ne_u16_e32 vcc_lo, 0, v8
	s_wait_alu 0xfffe
	s_or_b32 s5, vcc_lo, s5
	s_wait_alu 0xfffe
	s_and_not1_b32 exec_lo, exec_lo, s5
	s_cbranch_execnz .LBB1298_77
; %bb.78:
	s_or_b32 exec_lo, exec_lo, s5
.LBB1298_79:
	s_wait_alu 0xfffe
	s_or_b32 exec_lo, exec_lo, s4
	v_cmp_ne_u32_e32 vcc_lo, 31, v37
	v_and_b32_e32 v4, 0xff, v7
	v_lshlrev_b32_e64 v42, v37, -1
	s_mov_b32 s4, exec_lo
	s_wait_alu 0xfffd
	v_add_co_ci_u32_e64 v3, null, 0, v37, vcc_lo
	v_cmp_eq_u16_e32 vcc_lo, 2, v4
	s_delay_alu instid0(VALU_DEP_2)
	v_dual_mov_b32 v4, v5 :: v_dual_lshlrev_b32 v41, 2, v3
	s_wait_alu 0xfffd
	v_and_or_b32 v3, vcc_lo, v42, 0x80000000
	ds_bpermute_b32 v24, v41, v5
	ds_bpermute_b32 v8, v41, v6
	v_ctz_i32_b32_e32 v3, v3
	s_delay_alu instid0(VALU_DEP_1)
	v_cmpx_lt_u32_e64 v37, v3
	s_cbranch_execz .LBB1298_81
; %bb.80:
	s_wait_dscnt 0x1
	v_add_co_u32 v4, vcc_lo, v5, v24
	s_wait_alu 0xfffd
	v_add_co_ci_u32_e64 v6, null, 0, v6, vcc_lo
	s_delay_alu instid0(VALU_DEP_2) | instskip(SKIP_2) | instid1(VALU_DEP_2)
	v_add_co_u32 v5, vcc_lo, 0, v4
	s_wait_dscnt 0x0
	s_wait_alu 0xfffd
	v_add_co_ci_u32_e64 v6, null, v8, v6, vcc_lo
.LBB1298_81:
	s_wait_alu 0xfffe
	s_or_b32 exec_lo, exec_lo, s4
	v_cmp_gt_u32_e32 vcc_lo, 30, v37
	v_add_nc_u32_e32 v44, 2, v37
	s_mov_b32 s4, exec_lo
	s_wait_dscnt 0x0
	s_wait_alu 0xfffd
	v_cndmask_b32_e64 v8, 0, 2, vcc_lo
	s_delay_alu instid0(VALU_DEP_1)
	v_add_lshl_u32 v43, v8, v37, 2
	ds_bpermute_b32 v24, v43, v4
	ds_bpermute_b32 v8, v43, v6
	v_cmpx_le_u32_e64 v44, v3
	s_cbranch_execz .LBB1298_83
; %bb.82:
	s_wait_dscnt 0x1
	v_add_co_u32 v4, vcc_lo, v5, v24
	s_wait_alu 0xfffd
	v_add_co_ci_u32_e64 v6, null, 0, v6, vcc_lo
	s_delay_alu instid0(VALU_DEP_2) | instskip(SKIP_2) | instid1(VALU_DEP_2)
	v_add_co_u32 v5, vcc_lo, 0, v4
	s_wait_dscnt 0x0
	s_wait_alu 0xfffd
	v_add_co_ci_u32_e64 v6, null, v8, v6, vcc_lo
.LBB1298_83:
	s_wait_alu 0xfffe
	s_or_b32 exec_lo, exec_lo, s4
	v_cmp_gt_u32_e32 vcc_lo, 28, v37
	v_add_nc_u32_e32 v46, 4, v37
	s_mov_b32 s4, exec_lo
	s_wait_dscnt 0x0
	s_wait_alu 0xfffd
	v_cndmask_b32_e64 v8, 0, 4, vcc_lo
	s_delay_alu instid0(VALU_DEP_1)
	v_add_lshl_u32 v45, v8, v37, 2
	ds_bpermute_b32 v24, v45, v4
	ds_bpermute_b32 v8, v45, v6
	v_cmpx_le_u32_e64 v46, v3
	;; [unrolled: 25-line block ×3, first 2 shown]
	s_cbranch_execz .LBB1298_87
; %bb.86:
	s_wait_dscnt 0x1
	v_add_co_u32 v4, vcc_lo, v5, v24
	s_wait_alu 0xfffd
	v_add_co_ci_u32_e64 v6, null, 0, v6, vcc_lo
	s_delay_alu instid0(VALU_DEP_2) | instskip(SKIP_2) | instid1(VALU_DEP_2)
	v_add_co_u32 v5, vcc_lo, 0, v4
	s_wait_dscnt 0x0
	s_wait_alu 0xfffd
	v_add_co_ci_u32_e64 v6, null, v8, v6, vcc_lo
.LBB1298_87:
	s_wait_alu 0xfffe
	s_or_b32 exec_lo, exec_lo, s4
	v_lshl_or_b32 v49, v37, 2, 64
	v_add_nc_u32_e32 v50, 16, v37
	s_mov_b32 s4, exec_lo
	s_wait_dscnt 0x0
	ds_bpermute_b32 v8, v49, v4
	ds_bpermute_b32 v4, v49, v6
	v_cmpx_le_u32_e64 v50, v3
	s_cbranch_execz .LBB1298_89
; %bb.88:
	s_wait_dscnt 0x1
	v_add_co_u32 v3, vcc_lo, v5, v8
	s_wait_alu 0xfffd
	v_add_co_ci_u32_e64 v6, null, 0, v6, vcc_lo
	s_delay_alu instid0(VALU_DEP_2) | instskip(SKIP_2) | instid1(VALU_DEP_2)
	v_add_co_u32 v5, vcc_lo, v3, 0
	s_wait_dscnt 0x0
	s_wait_alu 0xfffd
	v_add_co_ci_u32_e64 v6, null, v6, v4, vcc_lo
.LBB1298_89:
	s_wait_alu 0xfffe
	s_or_b32 exec_lo, exec_lo, s4
	v_mov_b32_e32 v24, 0
	s_branch .LBB1298_92
.LBB1298_90:                            ;   in Loop: Header=BB1298_92 Depth=1
	s_wait_alu 0xfffe
	s_or_b32 exec_lo, exec_lo, s4
	v_add_co_u32 v5, vcc_lo, v5, v3
	v_subrev_nc_u32_e32 v23, 32, v23
	s_wait_alu 0xfffd
	v_add_co_ci_u32_e64 v6, null, v6, v4, vcc_lo
	s_mov_b32 s4, 0
.LBB1298_91:                            ;   in Loop: Header=BB1298_92 Depth=1
	s_wait_alu 0xfffe
	s_and_b32 vcc_lo, exec_lo, s4
	s_wait_alu 0xfffe
	s_cbranch_vccnz .LBB1298_108
.LBB1298_92:                            ; =>This Loop Header: Depth=1
                                        ;     Child Loop BB1298_95 Depth 2
	v_and_b32_e32 v3, 0xff, v7
	s_mov_b32 s4, -1
	s_delay_alu instid0(VALU_DEP_1)
	v_cmp_ne_u16_e32 vcc_lo, 2, v3
	s_wait_dscnt 0x0
	v_dual_mov_b32 v3, v5 :: v_dual_mov_b32 v4, v6
                                        ; implicit-def: $vgpr5_vgpr6
	s_cmp_lg_u32 vcc_lo, exec_lo
	s_cbranch_scc1 .LBB1298_91
; %bb.93:                               ;   in Loop: Header=BB1298_92 Depth=1
	v_lshlrev_b64_e32 v[5:6], 4, v[23:24]
	s_mov_b32 s4, exec_lo
	s_delay_alu instid0(VALU_DEP_1) | instskip(SKIP_1) | instid1(VALU_DEP_2)
	v_add_co_u32 v25, vcc_lo, s24, v5
	s_wait_alu 0xfffd
	v_add_co_ci_u32_e64 v26, null, s25, v6, vcc_lo
	;;#ASMSTART
	global_load_b128 v[5:8], v[25:26] off scope:SCOPE_DEV	
s_wait_loadcnt 0x0
	;;#ASMEND
	v_and_b32_e32 v8, 0xff, v7
	s_delay_alu instid0(VALU_DEP_1)
	v_cmpx_eq_u16_e32 0, v8
	s_cbranch_execz .LBB1298_97
; %bb.94:                               ;   in Loop: Header=BB1298_92 Depth=1
	s_mov_b32 s5, 0
.LBB1298_95:                            ;   Parent Loop BB1298_92 Depth=1
                                        ; =>  This Inner Loop Header: Depth=2
	;;#ASMSTART
	global_load_b128 v[5:8], v[25:26] off scope:SCOPE_DEV	
s_wait_loadcnt 0x0
	;;#ASMEND
	v_and_b32_e32 v8, 0xff, v7
	s_delay_alu instid0(VALU_DEP_1)
	v_cmp_ne_u16_e32 vcc_lo, 0, v8
	s_wait_alu 0xfffe
	s_or_b32 s5, vcc_lo, s5
	s_wait_alu 0xfffe
	s_and_not1_b32 exec_lo, exec_lo, s5
	s_cbranch_execnz .LBB1298_95
; %bb.96:                               ;   in Loop: Header=BB1298_92 Depth=1
	s_or_b32 exec_lo, exec_lo, s5
.LBB1298_97:                            ;   in Loop: Header=BB1298_92 Depth=1
	s_wait_alu 0xfffe
	s_or_b32 exec_lo, exec_lo, s4
	v_dual_mov_b32 v25, v5 :: v_dual_and_b32 v8, 0xff, v7
	ds_bpermute_b32 v51, v41, v5
	ds_bpermute_b32 v26, v41, v6
	s_mov_b32 s4, exec_lo
	v_cmp_eq_u16_e32 vcc_lo, 2, v8
	s_wait_alu 0xfffd
	v_and_or_b32 v8, vcc_lo, v42, 0x80000000
	s_delay_alu instid0(VALU_DEP_1) | instskip(NEXT) | instid1(VALU_DEP_1)
	v_ctz_i32_b32_e32 v8, v8
	v_cmpx_lt_u32_e64 v37, v8
	s_cbranch_execz .LBB1298_99
; %bb.98:                               ;   in Loop: Header=BB1298_92 Depth=1
	s_wait_dscnt 0x1
	v_add_co_u32 v25, vcc_lo, v5, v51
	s_wait_alu 0xfffd
	v_add_co_ci_u32_e64 v6, null, 0, v6, vcc_lo
	s_delay_alu instid0(VALU_DEP_2) | instskip(SKIP_2) | instid1(VALU_DEP_2)
	v_add_co_u32 v5, vcc_lo, 0, v25
	s_wait_dscnt 0x0
	s_wait_alu 0xfffd
	v_add_co_ci_u32_e64 v6, null, v26, v6, vcc_lo
.LBB1298_99:                            ;   in Loop: Header=BB1298_92 Depth=1
	s_wait_alu 0xfffe
	s_or_b32 exec_lo, exec_lo, s4
	s_wait_dscnt 0x1
	ds_bpermute_b32 v51, v43, v25
	s_wait_dscnt 0x1
	ds_bpermute_b32 v26, v43, v6
	s_mov_b32 s4, exec_lo
	v_cmpx_le_u32_e64 v44, v8
	s_cbranch_execz .LBB1298_101
; %bb.100:                              ;   in Loop: Header=BB1298_92 Depth=1
	s_wait_dscnt 0x1
	v_add_co_u32 v25, vcc_lo, v5, v51
	s_wait_alu 0xfffd
	v_add_co_ci_u32_e64 v6, null, 0, v6, vcc_lo
	s_delay_alu instid0(VALU_DEP_2) | instskip(SKIP_2) | instid1(VALU_DEP_2)
	v_add_co_u32 v5, vcc_lo, 0, v25
	s_wait_dscnt 0x0
	s_wait_alu 0xfffd
	v_add_co_ci_u32_e64 v6, null, v26, v6, vcc_lo
.LBB1298_101:                           ;   in Loop: Header=BB1298_92 Depth=1
	s_wait_alu 0xfffe
	s_or_b32 exec_lo, exec_lo, s4
	s_wait_dscnt 0x1
	ds_bpermute_b32 v51, v45, v25
	s_wait_dscnt 0x1
	ds_bpermute_b32 v26, v45, v6
	s_mov_b32 s4, exec_lo
	v_cmpx_le_u32_e64 v46, v8
	s_cbranch_execz .LBB1298_103
; %bb.102:                              ;   in Loop: Header=BB1298_92 Depth=1
	s_wait_dscnt 0x1
	v_add_co_u32 v25, vcc_lo, v5, v51
	s_wait_alu 0xfffd
	v_add_co_ci_u32_e64 v6, null, 0, v6, vcc_lo
	s_delay_alu instid0(VALU_DEP_2) | instskip(SKIP_2) | instid1(VALU_DEP_2)
	v_add_co_u32 v5, vcc_lo, 0, v25
	s_wait_dscnt 0x0
	s_wait_alu 0xfffd
	v_add_co_ci_u32_e64 v6, null, v26, v6, vcc_lo
.LBB1298_103:                           ;   in Loop: Header=BB1298_92 Depth=1
	;; [unrolled: 20-line block ×3, first 2 shown]
	s_wait_alu 0xfffe
	s_or_b32 exec_lo, exec_lo, s4
	s_wait_dscnt 0x0
	ds_bpermute_b32 v26, v49, v25
	ds_bpermute_b32 v25, v49, v6
	s_mov_b32 s4, exec_lo
	v_cmpx_le_u32_e64 v50, v8
	s_cbranch_execz .LBB1298_90
; %bb.106:                              ;   in Loop: Header=BB1298_92 Depth=1
	s_wait_dscnt 0x1
	v_add_co_u32 v5, vcc_lo, v5, v26
	s_wait_alu 0xfffd
	v_add_co_ci_u32_e64 v6, null, 0, v6, vcc_lo
	s_delay_alu instid0(VALU_DEP_2) | instskip(SKIP_2) | instid1(VALU_DEP_2)
	v_add_co_u32 v5, vcc_lo, v5, 0
	s_wait_dscnt 0x0
	s_wait_alu 0xfffd
	v_add_co_ci_u32_e64 v6, null, v6, v25, vcc_lo
	s_branch .LBB1298_90
.LBB1298_107:
                                        ; implicit-def: $vgpr4_vgpr5
                                        ; implicit-def: $vgpr43_vgpr44
	s_wait_alu 0xfffe
	s_and_b32 vcc_lo, exec_lo, s1
	s_wait_alu 0xfffe
	s_cbranch_vccnz .LBB1298_113
	s_branch .LBB1298_140
.LBB1298_108:
	s_and_saveexec_b32 s4, s1
	s_cbranch_execz .LBB1298_110
; %bb.109:
	s_add_co_i32 s6, s27, 32
	s_mov_b32 s7, 0
	v_add_co_u32 v5, vcc_lo, v3, v1
	s_wait_alu 0xfffe
	s_lshl_b64 s[6:7], s[6:7], 4
	v_dual_mov_b32 v7, 2 :: v_dual_mov_b32 v8, 0
	s_wait_alu 0xfffe
	s_add_nc_u64 s[6:7], s[24:25], s[6:7]
	s_wait_alu 0xfffd
	v_add_co_ci_u32_e64 v6, null, v4, v2, vcc_lo
	s_wait_alu 0xfffe
	v_dual_mov_b32 v24, s7 :: v_dual_mov_b32 v23, s6
	;;#ASMSTART
	global_store_b128 v[23:24], v[5:8] off scope:SCOPE_DEV	
s_wait_storecnt 0x0
	;;#ASMEND
	ds_store_b128 v8, v[1:4] offset:13824
.LBB1298_110:
	s_wait_alu 0xfffe
	s_or_b32 exec_lo, exec_lo, s4
	s_delay_alu instid0(SALU_CYCLE_1)
	s_and_b32 exec_lo, exec_lo, s2
; %bb.111:
	v_mov_b32_e32 v1, 0
	ds_store_b64 v1, v[3:4] offset:88
.LBB1298_112:
	s_wait_alu 0xfffe
	s_or_b32 exec_lo, exec_lo, s3
	v_mov_b32_e32 v1, 0
	s_wait_loadcnt_dscnt 0x0
	s_barrier_signal -1
	s_barrier_wait -1
	global_inv scope:SCOPE_SE
	ds_load_b64 v[6:7], v1 offset:88
	s_wait_loadcnt_dscnt 0x0
	s_barrier_signal -1
	s_barrier_wait -1
	global_inv scope:SCOPE_SE
	ds_load_b128 v[2:5], v1 offset:13824
	v_cndmask_b32_e64 v1, v39, v21, s1
	v_cndmask_b32_e64 v8, v40, v22, s1
	s_delay_alu instid0(VALU_DEP_2) | instskip(NEXT) | instid1(VALU_DEP_2)
	v_cndmask_b32_e64 v1, v1, 0, s2
	v_cndmask_b32_e64 v8, v8, 0, s2
	s_delay_alu instid0(VALU_DEP_2) | instskip(SKIP_1) | instid1(VALU_DEP_2)
	v_add_co_u32 v43, vcc_lo, v6, v1
	s_wait_alu 0xfffd
	v_add_co_ci_u32_e64 v44, null, v7, v8, vcc_lo
	s_branch .LBB1298_140
.LBB1298_113:
	s_wait_dscnt 0x0
	v_dual_mov_b32 v2, 0 :: v_dual_mov_b32 v3, v19
	v_mov_b32_dpp v4, v19 row_shr:1 row_mask:0xf bank_mask:0xf
	s_delay_alu instid0(VALU_DEP_2)
	v_mov_b32_dpp v1, v2 row_shr:1 row_mask:0xf bank_mask:0xf
	s_and_saveexec_b32 s1, s0
; %bb.114:
	s_delay_alu instid0(VALU_DEP_2) | instskip(SKIP_2) | instid1(VALU_DEP_2)
	v_add_co_u32 v3, vcc_lo, v19, v4
	s_wait_alu 0xfffd
	v_add_co_ci_u32_e64 v2, null, 0, v20, vcc_lo
	v_add_co_u32 v19, vcc_lo, 0, v3
	s_wait_alu 0xfffd
	s_delay_alu instid0(VALU_DEP_2) | instskip(NEXT) | instid1(VALU_DEP_1)
	v_add_co_ci_u32_e64 v20, null, v1, v2, vcc_lo
	v_mov_b32_e32 v2, v20
; %bb.115:
	s_wait_alu 0xfffe
	s_or_b32 exec_lo, exec_lo, s1
	v_mov_b32_dpp v1, v3 row_shr:2 row_mask:0xf bank_mask:0xf
	s_delay_alu instid0(VALU_DEP_2)
	v_mov_b32_dpp v4, v2 row_shr:2 row_mask:0xf bank_mask:0xf
	v_cmp_lt_u32_e32 vcc_lo, 1, v38
	s_and_saveexec_b32 s3, vcc_lo
; %bb.116:
	s_delay_alu instid0(VALU_DEP_3) | instskip(SKIP_2) | instid1(VALU_DEP_2)
	v_add_co_u32 v3, s1, v19, v1
	s_wait_alu 0xf1ff
	v_add_co_ci_u32_e64 v2, null, 0, v20, s1
	v_add_co_u32 v1, s1, 0, v3
	s_wait_alu 0xf1ff
	s_delay_alu instid0(VALU_DEP_2) | instskip(NEXT) | instid1(VALU_DEP_1)
	v_add_co_ci_u32_e64 v2, null, v4, v2, s1
	v_dual_mov_b32 v20, v2 :: v_dual_mov_b32 v19, v1
; %bb.117:
	s_wait_alu 0xfffe
	s_or_b32 exec_lo, exec_lo, s3
	v_mov_b32_dpp v1, v3 row_shr:4 row_mask:0xf bank_mask:0xf
	v_mov_b32_dpp v4, v2 row_shr:4 row_mask:0xf bank_mask:0xf
	v_cmp_lt_u32_e64 s1, 3, v38
	s_and_saveexec_b32 s4, s1
; %bb.118:
	v_add_co_u32 v3, s3, v19, v1
	s_wait_alu 0xf1ff
	v_add_co_ci_u32_e64 v2, null, 0, v20, s3
	s_delay_alu instid0(VALU_DEP_2) | instskip(SKIP_1) | instid1(VALU_DEP_2)
	v_add_co_u32 v1, s3, 0, v3
	s_wait_alu 0xf1ff
	v_add_co_ci_u32_e64 v2, null, v4, v2, s3
	s_delay_alu instid0(VALU_DEP_1)
	v_dual_mov_b32 v20, v2 :: v_dual_mov_b32 v19, v1
; %bb.119:
	s_wait_alu 0xfffe
	s_or_b32 exec_lo, exec_lo, s4
	v_mov_b32_dpp v4, v3 row_shr:8 row_mask:0xf bank_mask:0xf
	v_mov_b32_dpp v1, v2 row_shr:8 row_mask:0xf bank_mask:0xf
	v_cmp_lt_u32_e64 s3, 7, v38
	s_and_saveexec_b32 s5, s3
; %bb.120:
	v_add_co_u32 v3, s4, v19, v4
	s_wait_alu 0xf1ff
	v_add_co_ci_u32_e64 v2, null, 0, v20, s4
	s_delay_alu instid0(VALU_DEP_2) | instskip(SKIP_1) | instid1(VALU_DEP_2)
	v_add_co_u32 v19, s4, 0, v3
	s_wait_alu 0xf1ff
	v_add_co_ci_u32_e64 v20, null, v1, v2, s4
	s_delay_alu instid0(VALU_DEP_1)
	v_mov_b32_e32 v2, v20
; %bb.121:
	s_wait_alu 0xfffe
	s_or_b32 exec_lo, exec_lo, s5
	ds_swizzle_b32 v3, v3 offset:swizzle(BROADCAST,32,15)
	ds_swizzle_b32 v1, v2 offset:swizzle(BROADCAST,32,15)
	v_and_b32_e32 v2, 16, v37
	s_mov_b32 s5, exec_lo
	s_delay_alu instid0(VALU_DEP_1)
	v_cmpx_ne_u32_e32 0, v2
	s_cbranch_execz .LBB1298_123
; %bb.122:
	s_wait_dscnt 0x1
	v_add_co_u32 v2, s4, v19, v3
	s_wait_alu 0xf1ff
	v_add_co_ci_u32_e64 v3, null, 0, v20, s4
	s_delay_alu instid0(VALU_DEP_2) | instskip(SKIP_2) | instid1(VALU_DEP_2)
	v_add_co_u32 v19, s4, v2, 0
	s_wait_dscnt 0x0
	s_wait_alu 0xf1ff
	v_add_co_ci_u32_e64 v20, null, v3, v1, s4
.LBB1298_123:
	s_wait_alu 0xfffe
	s_or_b32 exec_lo, exec_lo, s5
	s_wait_dscnt 0x0
	v_and_b32_e32 v1, 0x1e0, v0
	v_lshrrev_b32_e32 v3, 5, v0
	s_mov_b32 s5, exec_lo
	s_delay_alu instid0(VALU_DEP_2) | instskip(NEXT) | instid1(VALU_DEP_1)
	v_min_u32_e32 v1, 0x160, v1
	v_or_b32_e32 v1, 31, v1
	s_delay_alu instid0(VALU_DEP_1)
	v_cmpx_eq_u32_e64 v0, v1
; %bb.124:
	v_lshlrev_b32_e32 v1, 3, v3
	ds_store_b64 v1, v[19:20]
; %bb.125:
	s_wait_alu 0xfffe
	s_or_b32 exec_lo, exec_lo, s5
	s_delay_alu instid0(SALU_CYCLE_1)
	s_mov_b32 s5, exec_lo
	s_wait_loadcnt_dscnt 0x0
	s_barrier_signal -1
	s_barrier_wait -1
	global_inv scope:SCOPE_SE
	v_cmpx_gt_u32_e32 12, v0
	s_cbranch_execz .LBB1298_135
; %bb.126:
	v_lshlrev_b32_e32 v4, 3, v0
	ds_load_b64 v[1:2], v4
	s_wait_dscnt 0x0
	v_mov_b32_dpp v7, v1 row_shr:1 row_mask:0xf bank_mask:0xf
	v_mov_b32_dpp v6, v2 row_shr:1 row_mask:0xf bank_mask:0xf
	v_mov_b32_e32 v5, v1
	s_and_saveexec_b32 s4, s0
; %bb.127:
	s_delay_alu instid0(VALU_DEP_3) | instskip(SKIP_2) | instid1(VALU_DEP_2)
	v_add_co_u32 v5, s0, v1, v7
	s_wait_alu 0xf1ff
	v_add_co_ci_u32_e64 v2, null, 0, v2, s0
	v_add_co_u32 v1, s0, 0, v5
	s_wait_alu 0xf1ff
	s_delay_alu instid0(VALU_DEP_2)
	v_add_co_ci_u32_e64 v2, null, v6, v2, s0
; %bb.128:
	s_wait_alu 0xfffe
	s_or_b32 exec_lo, exec_lo, s4
	v_mov_b32_dpp v7, v5 row_shr:2 row_mask:0xf bank_mask:0xf
	s_delay_alu instid0(VALU_DEP_2)
	v_mov_b32_dpp v6, v2 row_shr:2 row_mask:0xf bank_mask:0xf
	s_and_saveexec_b32 s0, vcc_lo
; %bb.129:
	s_delay_alu instid0(VALU_DEP_2) | instskip(SKIP_2) | instid1(VALU_DEP_2)
	v_add_co_u32 v5, vcc_lo, v1, v7
	s_wait_alu 0xfffd
	v_add_co_ci_u32_e64 v2, null, 0, v2, vcc_lo
	v_add_co_u32 v1, vcc_lo, 0, v5
	s_wait_alu 0xfffd
	s_delay_alu instid0(VALU_DEP_2)
	v_add_co_ci_u32_e64 v2, null, v6, v2, vcc_lo
; %bb.130:
	s_wait_alu 0xfffe
	s_or_b32 exec_lo, exec_lo, s0
	v_mov_b32_dpp v7, v5 row_shr:4 row_mask:0xf bank_mask:0xf
	s_delay_alu instid0(VALU_DEP_2)
	v_mov_b32_dpp v6, v2 row_shr:4 row_mask:0xf bank_mask:0xf
	s_and_saveexec_b32 s0, s1
; %bb.131:
	s_delay_alu instid0(VALU_DEP_2) | instskip(SKIP_2) | instid1(VALU_DEP_2)
	v_add_co_u32 v5, vcc_lo, v1, v7
	s_wait_alu 0xfffd
	v_add_co_ci_u32_e64 v2, null, 0, v2, vcc_lo
	v_add_co_u32 v1, vcc_lo, 0, v5
	s_wait_alu 0xfffd
	s_delay_alu instid0(VALU_DEP_2)
	v_add_co_ci_u32_e64 v2, null, v6, v2, vcc_lo
; %bb.132:
	s_wait_alu 0xfffe
	s_or_b32 exec_lo, exec_lo, s0
	v_mov_b32_dpp v6, v5 row_shr:8 row_mask:0xf bank_mask:0xf
	s_delay_alu instid0(VALU_DEP_2)
	v_mov_b32_dpp v5, v2 row_shr:8 row_mask:0xf bank_mask:0xf
	s_and_saveexec_b32 s0, s3
; %bb.133:
	s_delay_alu instid0(VALU_DEP_2) | instskip(SKIP_2) | instid1(VALU_DEP_2)
	v_add_co_u32 v1, vcc_lo, v1, v6
	s_wait_alu 0xfffd
	v_add_co_ci_u32_e64 v2, null, 0, v2, vcc_lo
	v_add_co_u32 v1, vcc_lo, v1, 0
	s_wait_alu 0xfffd
	s_delay_alu instid0(VALU_DEP_2)
	v_add_co_ci_u32_e64 v2, null, v2, v5, vcc_lo
; %bb.134:
	s_wait_alu 0xfffe
	s_or_b32 exec_lo, exec_lo, s0
	ds_store_b64 v4, v[1:2]
.LBB1298_135:
	s_wait_alu 0xfffe
	s_or_b32 exec_lo, exec_lo, s5
	v_mov_b32_e32 v6, 0
	v_mov_b32_e32 v7, 0
	s_mov_b32 s0, exec_lo
	s_wait_loadcnt_dscnt 0x0
	s_barrier_signal -1
	s_barrier_wait -1
	global_inv scope:SCOPE_SE
	v_cmpx_lt_u32_e32 31, v0
; %bb.136:
	v_lshl_add_u32 v1, v3, 3, -8
	ds_load_b64 v[6:7], v1
; %bb.137:
	s_wait_alu 0xfffe
	s_or_b32 exec_lo, exec_lo, s0
	v_sub_co_u32 v1, vcc_lo, v37, 1
	v_mov_b32_e32 v5, 0
	s_delay_alu instid0(VALU_DEP_2) | instskip(SKIP_1) | instid1(VALU_DEP_1)
	v_cmp_gt_i32_e64 s0, 0, v1
	s_wait_alu 0xf1ff
	v_cndmask_b32_e64 v1, v1, v37, s0
	s_delay_alu instid0(VALU_DEP_1)
	v_lshlrev_b32_e32 v2, 2, v1
	s_wait_dscnt 0x0
	v_add_co_u32 v1, s0, v6, v19
	s_wait_alu 0xf1ff
	v_add_co_ci_u32_e64 v3, null, v7, v20, s0
	ds_bpermute_b32 v1, v2, v1
	ds_bpermute_b32 v8, v2, v3
	ds_load_b64 v[2:3], v5 offset:88
	s_and_saveexec_b32 s0, s2
	s_cbranch_execz .LBB1298_139
; %bb.138:
	s_add_nc_u64 s[4:5], s[24:25], 0x200
	v_mov_b32_e32 v4, 2
	s_wait_alu 0xfffe
	v_dual_mov_b32 v20, s5 :: v_dual_mov_b32 v19, s4
	s_wait_dscnt 0x0
	;;#ASMSTART
	global_store_b128 v[19:20], v[2:5] off scope:SCOPE_DEV	
s_wait_storecnt 0x0
	;;#ASMEND
.LBB1298_139:
	s_wait_alu 0xfffe
	s_or_b32 exec_lo, exec_lo, s0
	s_wait_dscnt 0x1
	s_wait_alu 0xfffd
	v_dual_cndmask_b32 v7, v8, v7 :: v_dual_mov_b32 v4, 0
	v_cndmask_b32_e32 v1, v1, v6, vcc_lo
	v_mov_b32_e32 v5, 0
	s_wait_loadcnt_dscnt 0x0
	s_delay_alu instid0(VALU_DEP_3)
	v_cndmask_b32_e64 v44, v7, 0, s2
	s_barrier_signal -1
	v_cndmask_b32_e64 v43, v1, 0, s2
	s_barrier_wait -1
	global_inv scope:SCOPE_SE
.LBB1298_140:
	s_delay_alu instid0(VALU_DEP_2) | instskip(SKIP_1) | instid1(VALU_DEP_2)
	v_add_co_u32 v53, vcc_lo, v43, v29
	s_wait_alu 0xfffd
	v_add_co_ci_u32_e64 v54, null, 0, v44, vcc_lo
	v_lshlrev_b64_e32 v[6:7], 1, v[17:18]
	s_delay_alu instid0(VALU_DEP_3) | instskip(SKIP_1) | instid1(VALU_DEP_3)
	v_add_co_u32 v51, vcc_lo, v53, v28
	s_wait_alu 0xfffd
	v_add_co_ci_u32_e64 v52, null, 0, v54, vcc_lo
	v_lshrrev_b32_e32 v71, 16, v63
	s_delay_alu instid0(VALU_DEP_3) | instskip(SKIP_1) | instid1(VALU_DEP_3)
	v_add_co_u32 v49, vcc_lo, v51, v36
	s_wait_alu 0xfffd
	v_add_co_ci_u32_e64 v50, null, 0, v52, vcc_lo
	v_lshrrev_b32_e32 v72, 8, v63
	;; [unrolled: 5-line block ×8, first 2 shown]
	s_delay_alu instid0(VALU_DEP_3) | instskip(SKIP_1) | instid1(VALU_DEP_3)
	v_add_co_u32 v33, vcc_lo, v35, v31
	s_wait_alu 0xfffd
	v_add_co_ci_u32_e64 v34, null, 0, v36, vcc_lo
	s_mov_b32 s1, -1
	v_add_co_u32 v31, vcc_lo, v33, v30
	s_wait_alu 0xfffd
	v_add_co_ci_u32_e64 v32, null, 0, v34, vcc_lo
	s_delay_alu instid0(VALU_DEP_2) | instskip(SKIP_1) | instid1(VALU_DEP_2)
	v_add_co_u32 v29, vcc_lo, v31, v64
	s_wait_alu 0xfffd
	v_add_co_ci_u32_e64 v30, null, 0, v32, vcc_lo
	s_delay_alu instid0(VALU_DEP_2) | instskip(SKIP_1) | instid1(VALU_DEP_2)
	v_add_co_u32 v23, vcc_lo, v29, v68
	s_wait_alu 0xfffd
	v_add_co_ci_u32_e64 v24, null, 0, v30, vcc_lo
	v_and_b32_e32 v68, 1, v55
	s_delay_alu instid0(VALU_DEP_3) | instskip(SKIP_1) | instid1(VALU_DEP_3)
	v_add_co_u32 v27, s0, v23, v27
	s_wait_alu 0xf1ff
	v_add_co_ci_u32_e64 v28, null, 0, v24, s0
	s_wait_dscnt 0x0
	v_cmp_gt_u64_e32 vcc_lo, 0x181, v[2:3]
	v_add_co_u32 v25, s0, v27, v67
	s_wait_alu 0xf1ff
	v_add_co_ci_u32_e64 v26, null, 0, v28, s0
	s_and_b32 vcc_lo, exec_lo, vcc_lo
	v_add_co_u32 v21, s0, v25, v62
	s_wait_alu 0xf1ff
	v_add_co_ci_u32_e64 v22, null, 0, v26, s0
	s_delay_alu instid0(VALU_DEP_2) | instskip(SKIP_1) | instid1(VALU_DEP_2)
	v_add_co_u32 v19, s0, v21, v56
	s_wait_alu 0xf1ff
	v_add_co_ci_u32_e64 v20, null, 0, v22, s0
	v_cmp_eq_u32_e64 s0, 1, v68
	s_wait_alu 0xfffe
	s_cbranch_vccnz .LBB1298_144
; %bb.141:
	s_and_b32 vcc_lo, exec_lo, s1
	s_wait_alu 0xfffe
	s_cbranch_vccnz .LBB1298_181
.LBB1298_142:
	s_and_b32 s0, s2, s22
	s_wait_alu 0xfffe
	s_and_saveexec_b32 s1, s0
	s_cbranch_execnz .LBB1298_220
.LBB1298_143:
	s_endpgm
.LBB1298_144:
	v_add_co_u32 v55, vcc_lo, v4, v2
	s_wait_alu 0xfffd
	v_add_co_ci_u32_e64 v56, null, v5, v3, vcc_lo
	v_add_co_u32 v67, s1, s18, v6
	s_wait_alu 0xf1ff
	v_add_co_ci_u32_e64 v75, null, s19, v7, s1
	s_delay_alu instid0(VALU_DEP_3)
	v_cmp_lt_u64_e32 vcc_lo, v[43:44], v[55:56]
	s_or_b32 s1, s23, vcc_lo
	s_wait_alu 0xfffe
	s_and_b32 s1, s1, s0
	s_wait_alu 0xfffe
	s_and_saveexec_b32 s0, s1
	s_cbranch_execz .LBB1298_146
; %bb.145:
	v_lshlrev_b64_e32 v[76:77], 1, v[43:44]
	s_delay_alu instid0(VALU_DEP_1) | instskip(SKIP_1) | instid1(VALU_DEP_2)
	v_add_co_u32 v76, vcc_lo, v67, v76
	s_wait_alu 0xfffd
	v_add_co_ci_u32_e64 v77, null, v75, v77, vcc_lo
	global_store_b16 v[76:77], v58, off
.LBB1298_146:
	s_wait_alu 0xfffe
	s_or_b32 exec_lo, exec_lo, s0
	v_and_b32_e32 v44, 1, v74
	v_cmp_lt_u64_e32 vcc_lo, v[53:54], v[55:56]
	s_delay_alu instid0(VALU_DEP_2)
	v_cmp_eq_u32_e64 s0, 1, v44
	s_or_b32 s1, s23, vcc_lo
	s_wait_alu 0xfffe
	s_and_b32 s1, s1, s0
	s_wait_alu 0xfffe
	s_and_saveexec_b32 s0, s1
	s_cbranch_execz .LBB1298_148
; %bb.147:
	v_lshlrev_b64_e32 v[76:77], 1, v[53:54]
	s_delay_alu instid0(VALU_DEP_1) | instskip(SKIP_1) | instid1(VALU_DEP_2)
	v_add_co_u32 v76, vcc_lo, v67, v76
	s_wait_alu 0xfffd
	v_add_co_ci_u32_e64 v77, null, v75, v77, vcc_lo
	global_store_d16_hi_b16 v[76:77], v58, off
.LBB1298_148:
	s_wait_alu 0xfffe
	s_or_b32 exec_lo, exec_lo, s0
	v_and_b32_e32 v44, 1, v73
	v_cmp_lt_u64_e32 vcc_lo, v[51:52], v[55:56]
	s_delay_alu instid0(VALU_DEP_2)
	v_cmp_eq_u32_e64 s0, 1, v44
	s_or_b32 s1, s23, vcc_lo
	s_wait_alu 0xfffe
	s_and_b32 s1, s1, s0
	s_wait_alu 0xfffe
	s_and_saveexec_b32 s0, s1
	s_cbranch_execz .LBB1298_150
; %bb.149:
	v_lshlrev_b64_e32 v[76:77], 1, v[51:52]
	s_delay_alu instid0(VALU_DEP_1) | instskip(SKIP_1) | instid1(VALU_DEP_2)
	v_add_co_u32 v76, vcc_lo, v67, v76
	s_wait_alu 0xfffd
	v_add_co_ci_u32_e64 v77, null, v75, v77, vcc_lo
	global_store_b16 v[76:77], v15, off
.LBB1298_150:
	s_wait_alu 0xfffe
	s_or_b32 exec_lo, exec_lo, s0
	v_and_b32_e32 v44, 1, v66
	v_cmp_lt_u64_e32 vcc_lo, v[49:50], v[55:56]
	s_delay_alu instid0(VALU_DEP_2)
	v_cmp_eq_u32_e64 s0, 1, v44
	s_or_b32 s1, s23, vcc_lo
	s_wait_alu 0xfffe
	s_and_b32 s1, s1, s0
	s_wait_alu 0xfffe
	s_and_saveexec_b32 s0, s1
	s_cbranch_execz .LBB1298_152
; %bb.151:
	v_lshlrev_b64_e32 v[76:77], 1, v[49:50]
	s_delay_alu instid0(VALU_DEP_1) | instskip(SKIP_1) | instid1(VALU_DEP_2)
	v_add_co_u32 v76, vcc_lo, v67, v76
	s_wait_alu 0xfffd
	v_add_co_ci_u32_e64 v77, null, v75, v77, vcc_lo
	global_store_d16_hi_b16 v[76:77], v15, off
.LBB1298_152:
	s_wait_alu 0xfffe
	s_or_b32 exec_lo, exec_lo, s0
	v_and_b32_e32 v44, 1, v63
	v_cmp_lt_u64_e32 vcc_lo, v[47:48], v[55:56]
	s_delay_alu instid0(VALU_DEP_2)
	v_cmp_eq_u32_e64 s0, 1, v44
	s_or_b32 s1, s23, vcc_lo
	s_wait_alu 0xfffe
	s_and_b32 s1, s1, s0
	s_wait_alu 0xfffe
	s_and_saveexec_b32 s0, s1
	s_cbranch_execz .LBB1298_154
; %bb.153:
	v_lshlrev_b64_e32 v[76:77], 1, v[47:48]
	s_delay_alu instid0(VALU_DEP_1) | instskip(SKIP_1) | instid1(VALU_DEP_2)
	v_add_co_u32 v76, vcc_lo, v67, v76
	s_wait_alu 0xfffd
	v_add_co_ci_u32_e64 v77, null, v75, v77, vcc_lo
	global_store_b16 v[76:77], v16, off
.LBB1298_154:
	s_wait_alu 0xfffe
	s_or_b32 exec_lo, exec_lo, s0
	v_and_b32_e32 v44, 1, v72
	v_cmp_lt_u64_e32 vcc_lo, v[45:46], v[55:56]
	s_delay_alu instid0(VALU_DEP_2)
	v_cmp_eq_u32_e64 s0, 1, v44
	s_or_b32 s1, s23, vcc_lo
	s_wait_alu 0xfffe
	s_and_b32 s1, s1, s0
	s_wait_alu 0xfffe
	s_and_saveexec_b32 s0, s1
	s_cbranch_execz .LBB1298_156
; %bb.155:
	v_lshlrev_b64_e32 v[76:77], 1, v[45:46]
	s_delay_alu instid0(VALU_DEP_1) | instskip(SKIP_1) | instid1(VALU_DEP_2)
	v_add_co_u32 v76, vcc_lo, v67, v76
	s_wait_alu 0xfffd
	v_add_co_ci_u32_e64 v77, null, v75, v77, vcc_lo
	global_store_d16_hi_b16 v[76:77], v16, off
.LBB1298_156:
	s_wait_alu 0xfffe
	s_or_b32 exec_lo, exec_lo, s0
	v_and_b32_e32 v44, 1, v71
	v_cmp_lt_u64_e32 vcc_lo, v[41:42], v[55:56]
	s_delay_alu instid0(VALU_DEP_2)
	v_cmp_eq_u32_e64 s0, 1, v44
	s_or_b32 s1, s23, vcc_lo
	s_wait_alu 0xfffe
	s_and_b32 s1, s1, s0
	s_wait_alu 0xfffe
	s_and_saveexec_b32 s0, s1
	s_cbranch_execz .LBB1298_158
; %bb.157:
	v_lshlrev_b64_e32 v[76:77], 1, v[41:42]
	s_delay_alu instid0(VALU_DEP_1) | instskip(SKIP_1) | instid1(VALU_DEP_2)
	v_add_co_u32 v76, vcc_lo, v67, v76
	s_wait_alu 0xfffd
	v_add_co_ci_u32_e64 v77, null, v75, v77, vcc_lo
	global_store_b16 v[76:77], v13, off
.LBB1298_158:
	s_wait_alu 0xfffe
	s_or_b32 exec_lo, exec_lo, s0
	v_and_b32_e32 v42, 1, v65
	v_cmp_lt_u64_e32 vcc_lo, v[39:40], v[55:56]
	s_delay_alu instid0(VALU_DEP_2)
	v_cmp_eq_u32_e64 s0, 1, v42
	s_or_b32 s1, s23, vcc_lo
	s_wait_alu 0xfffe
	s_and_b32 s1, s1, s0
	s_wait_alu 0xfffe
	s_and_saveexec_b32 s0, s1
	s_cbranch_execz .LBB1298_160
; %bb.159:
	v_lshlrev_b64_e32 v[76:77], 1, v[39:40]
	s_delay_alu instid0(VALU_DEP_1) | instskip(SKIP_1) | instid1(VALU_DEP_2)
	v_add_co_u32 v76, vcc_lo, v67, v76
	s_wait_alu 0xfffd
	v_add_co_ci_u32_e64 v77, null, v75, v77, vcc_lo
	global_store_d16_hi_b16 v[76:77], v13, off
.LBB1298_160:
	s_wait_alu 0xfffe
	s_or_b32 exec_lo, exec_lo, s0
	v_and_b32_e32 v40, 1, v61
	v_cmp_lt_u64_e32 vcc_lo, v[37:38], v[55:56]
	s_delay_alu instid0(VALU_DEP_2)
	v_cmp_eq_u32_e64 s0, 1, v40
	s_or_b32 s1, s23, vcc_lo
	s_wait_alu 0xfffe
	s_and_b32 s1, s1, s0
	s_wait_alu 0xfffe
	s_and_saveexec_b32 s0, s1
	s_cbranch_execz .LBB1298_162
; %bb.161:
	v_lshlrev_b64_e32 v[76:77], 1, v[37:38]
	s_delay_alu instid0(VALU_DEP_1) | instskip(SKIP_1) | instid1(VALU_DEP_2)
	v_add_co_u32 v76, vcc_lo, v67, v76
	s_wait_alu 0xfffd
	v_add_co_ci_u32_e64 v77, null, v75, v77, vcc_lo
	global_store_b16 v[76:77], v14, off
.LBB1298_162:
	s_wait_alu 0xfffe
	s_or_b32 exec_lo, exec_lo, s0
	v_and_b32_e32 v38, 1, v70
	v_cmp_lt_u64_e32 vcc_lo, v[35:36], v[55:56]
	s_delay_alu instid0(VALU_DEP_2)
	v_cmp_eq_u32_e64 s0, 1, v38
	s_or_b32 s1, s23, vcc_lo
	s_wait_alu 0xfffe
	s_and_b32 s1, s1, s0
	s_wait_alu 0xfffe
	s_and_saveexec_b32 s0, s1
	s_cbranch_execz .LBB1298_164
; %bb.163:
	v_lshlrev_b64_e32 v[76:77], 1, v[35:36]
	s_delay_alu instid0(VALU_DEP_1) | instskip(SKIP_1) | instid1(VALU_DEP_2)
	v_add_co_u32 v76, vcc_lo, v67, v76
	s_wait_alu 0xfffd
	v_add_co_ci_u32_e64 v77, null, v75, v77, vcc_lo
	global_store_d16_hi_b16 v[76:77], v14, off
.LBB1298_164:
	s_wait_alu 0xfffe
	s_or_b32 exec_lo, exec_lo, s0
	v_and_b32_e32 v36, 1, v69
	v_cmp_lt_u64_e32 vcc_lo, v[33:34], v[55:56]
	s_delay_alu instid0(VALU_DEP_2)
	v_cmp_eq_u32_e64 s0, 1, v36
	s_or_b32 s1, s23, vcc_lo
	s_wait_alu 0xfffe
	s_and_b32 s1, s1, s0
	s_wait_alu 0xfffe
	s_and_saveexec_b32 s0, s1
	s_cbranch_execz .LBB1298_166
; %bb.165:
	v_lshlrev_b64_e32 v[76:77], 1, v[33:34]
	s_delay_alu instid0(VALU_DEP_1) | instskip(SKIP_1) | instid1(VALU_DEP_2)
	v_add_co_u32 v76, vcc_lo, v67, v76
	s_wait_alu 0xfffd
	v_add_co_ci_u32_e64 v77, null, v75, v77, vcc_lo
	global_store_b16 v[76:77], v11, off
.LBB1298_166:
	s_wait_alu 0xfffe
	s_or_b32 exec_lo, exec_lo, s0
	v_and_b32_e32 v34, 1, v64
	v_cmp_lt_u64_e32 vcc_lo, v[31:32], v[55:56]
	s_delay_alu instid0(VALU_DEP_2)
	v_cmp_eq_u32_e64 s0, 1, v34
	s_or_b32 s1, s23, vcc_lo
	s_wait_alu 0xfffe
	s_and_b32 s1, s1, s0
	s_wait_alu 0xfffe
	s_and_saveexec_b32 s0, s1
	s_cbranch_execz .LBB1298_168
; %bb.167:
	v_lshlrev_b64_e32 v[76:77], 1, v[31:32]
	s_delay_alu instid0(VALU_DEP_1) | instskip(SKIP_1) | instid1(VALU_DEP_2)
	v_add_co_u32 v76, vcc_lo, v67, v76
	s_wait_alu 0xfffd
	v_add_co_ci_u32_e64 v77, null, v75, v77, vcc_lo
	global_store_d16_hi_b16 v[76:77], v11, off
.LBB1298_168:
	s_wait_alu 0xfffe
	s_or_b32 exec_lo, exec_lo, s0
	v_and_b32_e32 v32, 1, v60
	v_cmp_lt_u64_e32 vcc_lo, v[29:30], v[55:56]
	s_delay_alu instid0(VALU_DEP_2)
	v_cmp_eq_u32_e64 s0, 1, v32
	s_or_b32 s1, s23, vcc_lo
	s_wait_alu 0xfffe
	s_and_b32 s1, s1, s0
	s_wait_alu 0xfffe
	s_and_saveexec_b32 s0, s1
	s_cbranch_execz .LBB1298_170
; %bb.169:
	v_lshlrev_b64_e32 v[76:77], 1, v[29:30]
	s_delay_alu instid0(VALU_DEP_1) | instskip(SKIP_1) | instid1(VALU_DEP_2)
	v_add_co_u32 v76, vcc_lo, v67, v76
	s_wait_alu 0xfffd
	v_add_co_ci_u32_e64 v77, null, v75, v77, vcc_lo
	global_store_b16 v[76:77], v12, off
.LBB1298_170:
	s_wait_alu 0xfffe
	s_or_b32 exec_lo, exec_lo, s0
	v_and_b32_e32 v30, 1, v8
	v_cmp_lt_u64_e32 vcc_lo, v[23:24], v[55:56]
	s_delay_alu instid0(VALU_DEP_2)
	v_cmp_eq_u32_e64 s0, 1, v30
	s_or_b32 s1, s23, vcc_lo
	s_wait_alu 0xfffe
	s_and_b32 s1, s1, s0
	s_wait_alu 0xfffe
	s_and_saveexec_b32 s0, s1
	s_cbranch_execz .LBB1298_172
; %bb.171:
	v_lshlrev_b64_e32 v[76:77], 1, v[23:24]
	s_delay_alu instid0(VALU_DEP_1) | instskip(SKIP_1) | instid1(VALU_DEP_2)
	v_add_co_u32 v76, vcc_lo, v67, v76
	s_wait_alu 0xfffd
	v_add_co_ci_u32_e64 v77, null, v75, v77, vcc_lo
	global_store_d16_hi_b16 v[76:77], v12, off
.LBB1298_172:
	s_wait_alu 0xfffe
	s_or_b32 exec_lo, exec_lo, s0
	v_and_b32_e32 v24, 1, v1
	v_cmp_lt_u64_e32 vcc_lo, v[27:28], v[55:56]
	s_delay_alu instid0(VALU_DEP_2)
	v_cmp_eq_u32_e64 s0, 1, v24
	s_or_b32 s1, s23, vcc_lo
	s_wait_alu 0xfffe
	s_and_b32 s1, s1, s0
	s_wait_alu 0xfffe
	s_and_saveexec_b32 s0, s1
	s_cbranch_execz .LBB1298_174
; %bb.173:
	v_lshlrev_b64_e32 v[76:77], 1, v[27:28]
	s_delay_alu instid0(VALU_DEP_1) | instskip(SKIP_1) | instid1(VALU_DEP_2)
	v_add_co_u32 v76, vcc_lo, v67, v76
	s_wait_alu 0xfffd
	v_add_co_ci_u32_e64 v77, null, v75, v77, vcc_lo
	global_store_b16 v[76:77], v9, off
.LBB1298_174:
	s_wait_alu 0xfffe
	s_or_b32 exec_lo, exec_lo, s0
	v_and_b32_e32 v24, 1, v62
	v_cmp_lt_u64_e32 vcc_lo, v[25:26], v[55:56]
	s_delay_alu instid0(VALU_DEP_2)
	v_cmp_eq_u32_e64 s0, 1, v24
	s_or_b32 s1, s23, vcc_lo
	s_wait_alu 0xfffe
	s_and_b32 s1, s1, s0
	s_wait_alu 0xfffe
	s_and_saveexec_b32 s0, s1
	s_cbranch_execz .LBB1298_176
; %bb.175:
	v_lshlrev_b64_e32 v[76:77], 1, v[25:26]
	s_delay_alu instid0(VALU_DEP_1) | instskip(SKIP_1) | instid1(VALU_DEP_2)
	v_add_co_u32 v76, vcc_lo, v67, v76
	s_wait_alu 0xfffd
	v_add_co_ci_u32_e64 v77, null, v75, v77, vcc_lo
	global_store_b16 v[76:77], v57, off
.LBB1298_176:
	s_wait_alu 0xfffe
	s_or_b32 exec_lo, exec_lo, s0
	v_and_b32_e32 v24, 1, v59
	v_cmp_lt_u64_e32 vcc_lo, v[21:22], v[55:56]
	s_delay_alu instid0(VALU_DEP_2)
	v_cmp_eq_u32_e64 s0, 1, v24
	s_or_b32 s1, s23, vcc_lo
	s_wait_alu 0xfffe
	s_and_b32 s1, s1, s0
	s_wait_alu 0xfffe
	s_and_saveexec_b32 s0, s1
	s_cbranch_execz .LBB1298_178
; %bb.177:
	v_lshlrev_b64_e32 v[76:77], 1, v[21:22]
	s_delay_alu instid0(VALU_DEP_1) | instskip(SKIP_1) | instid1(VALU_DEP_2)
	v_add_co_u32 v76, vcc_lo, v67, v76
	s_wait_alu 0xfffd
	v_add_co_ci_u32_e64 v77, null, v75, v77, vcc_lo
	global_store_d16_hi_b16 v[76:77], v57, off
.LBB1298_178:
	s_wait_alu 0xfffe
	s_or_b32 exec_lo, exec_lo, s0
	v_cmp_lt_u64_e32 vcc_lo, v[19:20], v[55:56]
	s_or_b32 s0, s23, vcc_lo
	s_wait_alu 0xfffe
	s_and_b32 s1, s0, s26
	s_wait_alu 0xfffe
	s_and_saveexec_b32 s0, s1
	s_cbranch_execz .LBB1298_180
; %bb.179:
	v_lshlrev_b64_e32 v[54:55], 1, v[19:20]
	s_delay_alu instid0(VALU_DEP_1) | instskip(SKIP_1) | instid1(VALU_DEP_2)
	v_add_co_u32 v54, vcc_lo, v67, v54
	s_wait_alu 0xfffd
	v_add_co_ci_u32_e64 v55, null, v75, v55, vcc_lo
	global_store_b16 v[54:55], v10, off
.LBB1298_180:
	s_wait_alu 0xfffe
	s_or_b32 exec_lo, exec_lo, s0
	s_branch .LBB1298_142
.LBB1298_181:
	s_mov_b32 s0, exec_lo
	v_cmpx_eq_u32_e32 1, v68
; %bb.182:
	v_sub_nc_u32_e32 v20, v43, v4
	s_delay_alu instid0(VALU_DEP_1)
	v_lshlrev_b32_e32 v20, 1, v20
	ds_store_b16 v20, v58
; %bb.183:
	s_wait_alu 0xfffe
	s_or_b32 exec_lo, exec_lo, s0
	v_and_b32_e32 v20, 1, v74
	s_mov_b32 s0, exec_lo
	s_delay_alu instid0(VALU_DEP_1)
	v_cmpx_eq_u32_e32 1, v20
; %bb.184:
	v_sub_nc_u32_e32 v20, v53, v4
	s_delay_alu instid0(VALU_DEP_1)
	v_lshlrev_b32_e32 v20, 1, v20
	ds_store_b16_d16_hi v20, v58
; %bb.185:
	s_wait_alu 0xfffe
	s_or_b32 exec_lo, exec_lo, s0
	v_and_b32_e32 v20, 1, v73
	s_mov_b32 s0, exec_lo
	s_delay_alu instid0(VALU_DEP_1)
	v_cmpx_eq_u32_e32 1, v20
; %bb.186:
	v_sub_nc_u32_e32 v20, v51, v4
	s_delay_alu instid0(VALU_DEP_1)
	v_lshlrev_b32_e32 v20, 1, v20
	ds_store_b16 v20, v15
; %bb.187:
	s_wait_alu 0xfffe
	s_or_b32 exec_lo, exec_lo, s0
	v_and_b32_e32 v20, 1, v66
	s_mov_b32 s0, exec_lo
	s_delay_alu instid0(VALU_DEP_1)
	v_cmpx_eq_u32_e32 1, v20
; %bb.188:
	v_sub_nc_u32_e32 v20, v49, v4
	s_delay_alu instid0(VALU_DEP_1)
	v_lshlrev_b32_e32 v20, 1, v20
	ds_store_b16_d16_hi v20, v15
; %bb.189:
	s_wait_alu 0xfffe
	s_or_b32 exec_lo, exec_lo, s0
	v_and_b32_e32 v15, 1, v63
	s_mov_b32 s0, exec_lo
	s_delay_alu instid0(VALU_DEP_1)
	v_cmpx_eq_u32_e32 1, v15
; %bb.190:
	v_sub_nc_u32_e32 v15, v47, v4
	s_delay_alu instid0(VALU_DEP_1)
	v_lshlrev_b32_e32 v15, 1, v15
	ds_store_b16 v15, v16
; %bb.191:
	s_wait_alu 0xfffe
	s_or_b32 exec_lo, exec_lo, s0
	v_and_b32_e32 v15, 1, v72
	s_mov_b32 s0, exec_lo
	s_delay_alu instid0(VALU_DEP_1)
	v_cmpx_eq_u32_e32 1, v15
; %bb.192:
	v_sub_nc_u32_e32 v15, v45, v4
	s_delay_alu instid0(VALU_DEP_1)
	v_lshlrev_b32_e32 v15, 1, v15
	ds_store_b16_d16_hi v15, v16
; %bb.193:
	s_wait_alu 0xfffe
	s_or_b32 exec_lo, exec_lo, s0
	v_and_b32_e32 v15, 1, v71
	s_mov_b32 s0, exec_lo
	s_delay_alu instid0(VALU_DEP_1)
	v_cmpx_eq_u32_e32 1, v15
; %bb.194:
	v_sub_nc_u32_e32 v15, v41, v4
	s_delay_alu instid0(VALU_DEP_1)
	v_lshlrev_b32_e32 v15, 1, v15
	ds_store_b16 v15, v13
; %bb.195:
	s_wait_alu 0xfffe
	s_or_b32 exec_lo, exec_lo, s0
	v_and_b32_e32 v15, 1, v65
	s_mov_b32 s0, exec_lo
	s_delay_alu instid0(VALU_DEP_1)
	v_cmpx_eq_u32_e32 1, v15
; %bb.196:
	v_sub_nc_u32_e32 v15, v39, v4
	s_delay_alu instid0(VALU_DEP_1)
	v_lshlrev_b32_e32 v15, 1, v15
	ds_store_b16_d16_hi v15, v13
; %bb.197:
	s_wait_alu 0xfffe
	s_or_b32 exec_lo, exec_lo, s0
	v_and_b32_e32 v13, 1, v61
	s_mov_b32 s0, exec_lo
	s_delay_alu instid0(VALU_DEP_1)
	v_cmpx_eq_u32_e32 1, v13
; %bb.198:
	v_sub_nc_u32_e32 v13, v37, v4
	s_delay_alu instid0(VALU_DEP_1)
	v_lshlrev_b32_e32 v13, 1, v13
	ds_store_b16 v13, v14
; %bb.199:
	s_wait_alu 0xfffe
	s_or_b32 exec_lo, exec_lo, s0
	v_and_b32_e32 v13, 1, v70
	s_mov_b32 s0, exec_lo
	s_delay_alu instid0(VALU_DEP_1)
	v_cmpx_eq_u32_e32 1, v13
; %bb.200:
	v_sub_nc_u32_e32 v13, v35, v4
	s_delay_alu instid0(VALU_DEP_1)
	v_lshlrev_b32_e32 v13, 1, v13
	ds_store_b16_d16_hi v13, v14
; %bb.201:
	s_wait_alu 0xfffe
	s_or_b32 exec_lo, exec_lo, s0
	v_and_b32_e32 v13, 1, v69
	s_mov_b32 s0, exec_lo
	s_delay_alu instid0(VALU_DEP_1)
	v_cmpx_eq_u32_e32 1, v13
; %bb.202:
	v_sub_nc_u32_e32 v13, v33, v4
	s_delay_alu instid0(VALU_DEP_1)
	v_lshlrev_b32_e32 v13, 1, v13
	ds_store_b16 v13, v11
; %bb.203:
	s_wait_alu 0xfffe
	s_or_b32 exec_lo, exec_lo, s0
	v_and_b32_e32 v13, 1, v64
	s_mov_b32 s0, exec_lo
	s_delay_alu instid0(VALU_DEP_1)
	v_cmpx_eq_u32_e32 1, v13
; %bb.204:
	v_sub_nc_u32_e32 v13, v31, v4
	s_delay_alu instid0(VALU_DEP_1)
	v_lshlrev_b32_e32 v13, 1, v13
	ds_store_b16_d16_hi v13, v11
; %bb.205:
	s_wait_alu 0xfffe
	s_or_b32 exec_lo, exec_lo, s0
	v_and_b32_e32 v11, 1, v60
	s_mov_b32 s0, exec_lo
	s_delay_alu instid0(VALU_DEP_1)
	v_cmpx_eq_u32_e32 1, v11
; %bb.206:
	v_sub_nc_u32_e32 v11, v29, v4
	s_delay_alu instid0(VALU_DEP_1)
	v_lshlrev_b32_e32 v11, 1, v11
	ds_store_b16 v11, v12
; %bb.207:
	s_wait_alu 0xfffe
	s_or_b32 exec_lo, exec_lo, s0
	v_and_b32_e32 v8, 1, v8
	s_mov_b32 s0, exec_lo
	s_delay_alu instid0(VALU_DEP_1)
	v_cmpx_eq_u32_e32 1, v8
; %bb.208:
	v_sub_nc_u32_e32 v8, v23, v4
	s_delay_alu instid0(VALU_DEP_1)
	v_lshlrev_b32_e32 v8, 1, v8
	ds_store_b16_d16_hi v8, v12
; %bb.209:
	s_wait_alu 0xfffe
	s_or_b32 exec_lo, exec_lo, s0
	v_and_b32_e32 v1, 1, v1
	s_mov_b32 s0, exec_lo
	s_delay_alu instid0(VALU_DEP_1)
	v_cmpx_eq_u32_e32 1, v1
; %bb.210:
	v_sub_nc_u32_e32 v1, v27, v4
	s_delay_alu instid0(VALU_DEP_1)
	v_lshlrev_b32_e32 v1, 1, v1
	ds_store_b16 v1, v9
; %bb.211:
	s_wait_alu 0xfffe
	s_or_b32 exec_lo, exec_lo, s0
	v_and_b32_e32 v1, 1, v62
	s_mov_b32 s0, exec_lo
	s_delay_alu instid0(VALU_DEP_1)
	v_cmpx_eq_u32_e32 1, v1
; %bb.212:
	v_sub_nc_u32_e32 v1, v25, v4
	s_delay_alu instid0(VALU_DEP_1)
	v_lshlrev_b32_e32 v1, 1, v1
	ds_store_b16 v1, v57
; %bb.213:
	s_wait_alu 0xfffe
	s_or_b32 exec_lo, exec_lo, s0
	v_and_b32_e32 v1, 1, v59
	s_mov_b32 s0, exec_lo
	s_delay_alu instid0(VALU_DEP_1)
	v_cmpx_eq_u32_e32 1, v1
; %bb.214:
	v_sub_nc_u32_e32 v1, v21, v4
	s_delay_alu instid0(VALU_DEP_1)
	v_lshlrev_b32_e32 v1, 1, v1
	ds_store_b16_d16_hi v1, v57
; %bb.215:
	s_wait_alu 0xfffe
	s_or_b32 exec_lo, exec_lo, s0
	s_and_saveexec_b32 s0, s26
; %bb.216:
	v_sub_nc_u32_e32 v1, v19, v4
	s_delay_alu instid0(VALU_DEP_1)
	v_lshlrev_b32_e32 v1, 1, v1
	ds_store_b16 v1, v10
; %bb.217:
	s_wait_alu 0xfffe
	s_or_b32 exec_lo, exec_lo, s0
	v_lshlrev_b64_e32 v[8:9], 1, v[4:5]
	v_add_co_u32 v10, vcc_lo, s18, v6
	v_mov_b32_e32 v1, 0
	s_wait_alu 0xfffd
	v_add_co_ci_u32_e64 v11, null, s19, v7, vcc_lo
	s_delay_alu instid0(VALU_DEP_3) | instskip(NEXT) | instid1(VALU_DEP_3)
	v_add_co_u32 v8, vcc_lo, v10, v8
	v_dual_mov_b32 v7, v1 :: v_dual_mov_b32 v6, v0
	s_wait_alu 0xfffd
	s_delay_alu instid0(VALU_DEP_3)
	v_add_co_ci_u32_e64 v9, null, v11, v9, vcc_lo
	v_add_nc_u32_e32 v0, 0x180, v0
	s_mov_b32 s1, 0
	s_wait_storecnt 0x0
	s_wait_loadcnt_dscnt 0x0
	s_barrier_signal -1
	s_barrier_wait -1
	global_inv scope:SCOPE_SE
.LBB1298_218:                           ; =>This Inner Loop Header: Depth=1
	v_lshlrev_b32_e32 v10, 1, v6
	v_cmp_le_u64_e32 vcc_lo, v[2:3], v[0:1]
	ds_load_u16 v12, v10
	v_lshlrev_b64_e32 v[10:11], 1, v[6:7]
	v_dual_mov_b32 v7, v1 :: v_dual_mov_b32 v6, v0
	v_add_nc_u32_e32 v0, 0x180, v0
	s_wait_alu 0xfffe
	s_or_b32 s1, vcc_lo, s1
	s_delay_alu instid0(VALU_DEP_3)
	v_add_co_u32 v10, s0, v8, v10
	s_wait_alu 0xf1ff
	v_add_co_ci_u32_e64 v11, null, v9, v11, s0
	s_wait_dscnt 0x0
	global_store_b16 v[10:11], v12, off
	s_wait_alu 0xfffe
	s_and_not1_b32 exec_lo, exec_lo, s1
	s_cbranch_execnz .LBB1298_218
; %bb.219:
	s_or_b32 exec_lo, exec_lo, s1
	s_and_b32 s0, s2, s22
	s_wait_alu 0xfffe
	s_and_saveexec_b32 s1, s0
	s_cbranch_execz .LBB1298_143
.LBB1298_220:
	v_add_co_u32 v0, vcc_lo, v4, v2
	s_wait_alu 0xfffd
	v_add_co_ci_u32_e64 v1, null, v5, v3, vcc_lo
	v_mov_b32_e32 v2, 0
	s_delay_alu instid0(VALU_DEP_3) | instskip(SKIP_1) | instid1(VALU_DEP_3)
	v_add_co_u32 v0, vcc_lo, v0, v17
	s_wait_alu 0xfffd
	v_add_co_ci_u32_e64 v1, null, v1, v18, vcc_lo
	global_store_b64 v2, v[0:1], s[20:21]
	s_endpgm
	.section	.rodata,"a",@progbits
	.p2align	6, 0x0
	.amdhsa_kernel _ZN7rocprim17ROCPRIM_400000_NS6detail17trampoline_kernelINS0_14default_configENS1_25partition_config_selectorILNS1_17partition_subalgoE6EsNS0_10empty_typeEbEEZZNS1_14partition_implILS5_6ELb0ES3_mN6thrust23THRUST_200600_302600_NS6detail15normal_iteratorINSA_10device_ptrIsEEEEPS6_SG_NS0_5tupleIJSF_S6_EEENSH_IJSG_SG_EEES6_PlJNSB_9not_fun_tI7is_trueIsEEEEEE10hipError_tPvRmT3_T4_T5_T6_T7_T9_mT8_P12ihipStream_tbDpT10_ENKUlT_T0_E_clISt17integral_constantIbLb0EES17_IbLb1EEEEDaS13_S14_EUlS13_E_NS1_11comp_targetILNS1_3genE10ELNS1_11target_archE1200ELNS1_3gpuE4ELNS1_3repE0EEENS1_30default_config_static_selectorELNS0_4arch9wavefront6targetE0EEEvT1_
		.amdhsa_group_segment_fixed_size 13840
		.amdhsa_private_segment_fixed_size 0
		.amdhsa_kernarg_size 128
		.amdhsa_user_sgpr_count 2
		.amdhsa_user_sgpr_dispatch_ptr 0
		.amdhsa_user_sgpr_queue_ptr 0
		.amdhsa_user_sgpr_kernarg_segment_ptr 1
		.amdhsa_user_sgpr_dispatch_id 0
		.amdhsa_user_sgpr_private_segment_size 0
		.amdhsa_wavefront_size32 1
		.amdhsa_uses_dynamic_stack 0
		.amdhsa_enable_private_segment 0
		.amdhsa_system_sgpr_workgroup_id_x 1
		.amdhsa_system_sgpr_workgroup_id_y 0
		.amdhsa_system_sgpr_workgroup_id_z 0
		.amdhsa_system_sgpr_workgroup_info 0
		.amdhsa_system_vgpr_workitem_id 0
		.amdhsa_next_free_vgpr 78
		.amdhsa_next_free_sgpr 29
		.amdhsa_reserve_vcc 1
		.amdhsa_float_round_mode_32 0
		.amdhsa_float_round_mode_16_64 0
		.amdhsa_float_denorm_mode_32 3
		.amdhsa_float_denorm_mode_16_64 3
		.amdhsa_fp16_overflow 0
		.amdhsa_workgroup_processor_mode 1
		.amdhsa_memory_ordered 1
		.amdhsa_forward_progress 1
		.amdhsa_inst_pref_size 93
		.amdhsa_round_robin_scheduling 0
		.amdhsa_exception_fp_ieee_invalid_op 0
		.amdhsa_exception_fp_denorm_src 0
		.amdhsa_exception_fp_ieee_div_zero 0
		.amdhsa_exception_fp_ieee_overflow 0
		.amdhsa_exception_fp_ieee_underflow 0
		.amdhsa_exception_fp_ieee_inexact 0
		.amdhsa_exception_int_div_zero 0
	.end_amdhsa_kernel
	.section	.text._ZN7rocprim17ROCPRIM_400000_NS6detail17trampoline_kernelINS0_14default_configENS1_25partition_config_selectorILNS1_17partition_subalgoE6EsNS0_10empty_typeEbEEZZNS1_14partition_implILS5_6ELb0ES3_mN6thrust23THRUST_200600_302600_NS6detail15normal_iteratorINSA_10device_ptrIsEEEEPS6_SG_NS0_5tupleIJSF_S6_EEENSH_IJSG_SG_EEES6_PlJNSB_9not_fun_tI7is_trueIsEEEEEE10hipError_tPvRmT3_T4_T5_T6_T7_T9_mT8_P12ihipStream_tbDpT10_ENKUlT_T0_E_clISt17integral_constantIbLb0EES17_IbLb1EEEEDaS13_S14_EUlS13_E_NS1_11comp_targetILNS1_3genE10ELNS1_11target_archE1200ELNS1_3gpuE4ELNS1_3repE0EEENS1_30default_config_static_selectorELNS0_4arch9wavefront6targetE0EEEvT1_,"axG",@progbits,_ZN7rocprim17ROCPRIM_400000_NS6detail17trampoline_kernelINS0_14default_configENS1_25partition_config_selectorILNS1_17partition_subalgoE6EsNS0_10empty_typeEbEEZZNS1_14partition_implILS5_6ELb0ES3_mN6thrust23THRUST_200600_302600_NS6detail15normal_iteratorINSA_10device_ptrIsEEEEPS6_SG_NS0_5tupleIJSF_S6_EEENSH_IJSG_SG_EEES6_PlJNSB_9not_fun_tI7is_trueIsEEEEEE10hipError_tPvRmT3_T4_T5_T6_T7_T9_mT8_P12ihipStream_tbDpT10_ENKUlT_T0_E_clISt17integral_constantIbLb0EES17_IbLb1EEEEDaS13_S14_EUlS13_E_NS1_11comp_targetILNS1_3genE10ELNS1_11target_archE1200ELNS1_3gpuE4ELNS1_3repE0EEENS1_30default_config_static_selectorELNS0_4arch9wavefront6targetE0EEEvT1_,comdat
.Lfunc_end1298:
	.size	_ZN7rocprim17ROCPRIM_400000_NS6detail17trampoline_kernelINS0_14default_configENS1_25partition_config_selectorILNS1_17partition_subalgoE6EsNS0_10empty_typeEbEEZZNS1_14partition_implILS5_6ELb0ES3_mN6thrust23THRUST_200600_302600_NS6detail15normal_iteratorINSA_10device_ptrIsEEEEPS6_SG_NS0_5tupleIJSF_S6_EEENSH_IJSG_SG_EEES6_PlJNSB_9not_fun_tI7is_trueIsEEEEEE10hipError_tPvRmT3_T4_T5_T6_T7_T9_mT8_P12ihipStream_tbDpT10_ENKUlT_T0_E_clISt17integral_constantIbLb0EES17_IbLb1EEEEDaS13_S14_EUlS13_E_NS1_11comp_targetILNS1_3genE10ELNS1_11target_archE1200ELNS1_3gpuE4ELNS1_3repE0EEENS1_30default_config_static_selectorELNS0_4arch9wavefront6targetE0EEEvT1_, .Lfunc_end1298-_ZN7rocprim17ROCPRIM_400000_NS6detail17trampoline_kernelINS0_14default_configENS1_25partition_config_selectorILNS1_17partition_subalgoE6EsNS0_10empty_typeEbEEZZNS1_14partition_implILS5_6ELb0ES3_mN6thrust23THRUST_200600_302600_NS6detail15normal_iteratorINSA_10device_ptrIsEEEEPS6_SG_NS0_5tupleIJSF_S6_EEENSH_IJSG_SG_EEES6_PlJNSB_9not_fun_tI7is_trueIsEEEEEE10hipError_tPvRmT3_T4_T5_T6_T7_T9_mT8_P12ihipStream_tbDpT10_ENKUlT_T0_E_clISt17integral_constantIbLb0EES17_IbLb1EEEEDaS13_S14_EUlS13_E_NS1_11comp_targetILNS1_3genE10ELNS1_11target_archE1200ELNS1_3gpuE4ELNS1_3repE0EEENS1_30default_config_static_selectorELNS0_4arch9wavefront6targetE0EEEvT1_
                                        ; -- End function
	.set _ZN7rocprim17ROCPRIM_400000_NS6detail17trampoline_kernelINS0_14default_configENS1_25partition_config_selectorILNS1_17partition_subalgoE6EsNS0_10empty_typeEbEEZZNS1_14partition_implILS5_6ELb0ES3_mN6thrust23THRUST_200600_302600_NS6detail15normal_iteratorINSA_10device_ptrIsEEEEPS6_SG_NS0_5tupleIJSF_S6_EEENSH_IJSG_SG_EEES6_PlJNSB_9not_fun_tI7is_trueIsEEEEEE10hipError_tPvRmT3_T4_T5_T6_T7_T9_mT8_P12ihipStream_tbDpT10_ENKUlT_T0_E_clISt17integral_constantIbLb0EES17_IbLb1EEEEDaS13_S14_EUlS13_E_NS1_11comp_targetILNS1_3genE10ELNS1_11target_archE1200ELNS1_3gpuE4ELNS1_3repE0EEENS1_30default_config_static_selectorELNS0_4arch9wavefront6targetE0EEEvT1_.num_vgpr, 78
	.set _ZN7rocprim17ROCPRIM_400000_NS6detail17trampoline_kernelINS0_14default_configENS1_25partition_config_selectorILNS1_17partition_subalgoE6EsNS0_10empty_typeEbEEZZNS1_14partition_implILS5_6ELb0ES3_mN6thrust23THRUST_200600_302600_NS6detail15normal_iteratorINSA_10device_ptrIsEEEEPS6_SG_NS0_5tupleIJSF_S6_EEENSH_IJSG_SG_EEES6_PlJNSB_9not_fun_tI7is_trueIsEEEEEE10hipError_tPvRmT3_T4_T5_T6_T7_T9_mT8_P12ihipStream_tbDpT10_ENKUlT_T0_E_clISt17integral_constantIbLb0EES17_IbLb1EEEEDaS13_S14_EUlS13_E_NS1_11comp_targetILNS1_3genE10ELNS1_11target_archE1200ELNS1_3gpuE4ELNS1_3repE0EEENS1_30default_config_static_selectorELNS0_4arch9wavefront6targetE0EEEvT1_.num_agpr, 0
	.set _ZN7rocprim17ROCPRIM_400000_NS6detail17trampoline_kernelINS0_14default_configENS1_25partition_config_selectorILNS1_17partition_subalgoE6EsNS0_10empty_typeEbEEZZNS1_14partition_implILS5_6ELb0ES3_mN6thrust23THRUST_200600_302600_NS6detail15normal_iteratorINSA_10device_ptrIsEEEEPS6_SG_NS0_5tupleIJSF_S6_EEENSH_IJSG_SG_EEES6_PlJNSB_9not_fun_tI7is_trueIsEEEEEE10hipError_tPvRmT3_T4_T5_T6_T7_T9_mT8_P12ihipStream_tbDpT10_ENKUlT_T0_E_clISt17integral_constantIbLb0EES17_IbLb1EEEEDaS13_S14_EUlS13_E_NS1_11comp_targetILNS1_3genE10ELNS1_11target_archE1200ELNS1_3gpuE4ELNS1_3repE0EEENS1_30default_config_static_selectorELNS0_4arch9wavefront6targetE0EEEvT1_.numbered_sgpr, 29
	.set _ZN7rocprim17ROCPRIM_400000_NS6detail17trampoline_kernelINS0_14default_configENS1_25partition_config_selectorILNS1_17partition_subalgoE6EsNS0_10empty_typeEbEEZZNS1_14partition_implILS5_6ELb0ES3_mN6thrust23THRUST_200600_302600_NS6detail15normal_iteratorINSA_10device_ptrIsEEEEPS6_SG_NS0_5tupleIJSF_S6_EEENSH_IJSG_SG_EEES6_PlJNSB_9not_fun_tI7is_trueIsEEEEEE10hipError_tPvRmT3_T4_T5_T6_T7_T9_mT8_P12ihipStream_tbDpT10_ENKUlT_T0_E_clISt17integral_constantIbLb0EES17_IbLb1EEEEDaS13_S14_EUlS13_E_NS1_11comp_targetILNS1_3genE10ELNS1_11target_archE1200ELNS1_3gpuE4ELNS1_3repE0EEENS1_30default_config_static_selectorELNS0_4arch9wavefront6targetE0EEEvT1_.num_named_barrier, 0
	.set _ZN7rocprim17ROCPRIM_400000_NS6detail17trampoline_kernelINS0_14default_configENS1_25partition_config_selectorILNS1_17partition_subalgoE6EsNS0_10empty_typeEbEEZZNS1_14partition_implILS5_6ELb0ES3_mN6thrust23THRUST_200600_302600_NS6detail15normal_iteratorINSA_10device_ptrIsEEEEPS6_SG_NS0_5tupleIJSF_S6_EEENSH_IJSG_SG_EEES6_PlJNSB_9not_fun_tI7is_trueIsEEEEEE10hipError_tPvRmT3_T4_T5_T6_T7_T9_mT8_P12ihipStream_tbDpT10_ENKUlT_T0_E_clISt17integral_constantIbLb0EES17_IbLb1EEEEDaS13_S14_EUlS13_E_NS1_11comp_targetILNS1_3genE10ELNS1_11target_archE1200ELNS1_3gpuE4ELNS1_3repE0EEENS1_30default_config_static_selectorELNS0_4arch9wavefront6targetE0EEEvT1_.private_seg_size, 0
	.set _ZN7rocprim17ROCPRIM_400000_NS6detail17trampoline_kernelINS0_14default_configENS1_25partition_config_selectorILNS1_17partition_subalgoE6EsNS0_10empty_typeEbEEZZNS1_14partition_implILS5_6ELb0ES3_mN6thrust23THRUST_200600_302600_NS6detail15normal_iteratorINSA_10device_ptrIsEEEEPS6_SG_NS0_5tupleIJSF_S6_EEENSH_IJSG_SG_EEES6_PlJNSB_9not_fun_tI7is_trueIsEEEEEE10hipError_tPvRmT3_T4_T5_T6_T7_T9_mT8_P12ihipStream_tbDpT10_ENKUlT_T0_E_clISt17integral_constantIbLb0EES17_IbLb1EEEEDaS13_S14_EUlS13_E_NS1_11comp_targetILNS1_3genE10ELNS1_11target_archE1200ELNS1_3gpuE4ELNS1_3repE0EEENS1_30default_config_static_selectorELNS0_4arch9wavefront6targetE0EEEvT1_.uses_vcc, 1
	.set _ZN7rocprim17ROCPRIM_400000_NS6detail17trampoline_kernelINS0_14default_configENS1_25partition_config_selectorILNS1_17partition_subalgoE6EsNS0_10empty_typeEbEEZZNS1_14partition_implILS5_6ELb0ES3_mN6thrust23THRUST_200600_302600_NS6detail15normal_iteratorINSA_10device_ptrIsEEEEPS6_SG_NS0_5tupleIJSF_S6_EEENSH_IJSG_SG_EEES6_PlJNSB_9not_fun_tI7is_trueIsEEEEEE10hipError_tPvRmT3_T4_T5_T6_T7_T9_mT8_P12ihipStream_tbDpT10_ENKUlT_T0_E_clISt17integral_constantIbLb0EES17_IbLb1EEEEDaS13_S14_EUlS13_E_NS1_11comp_targetILNS1_3genE10ELNS1_11target_archE1200ELNS1_3gpuE4ELNS1_3repE0EEENS1_30default_config_static_selectorELNS0_4arch9wavefront6targetE0EEEvT1_.uses_flat_scratch, 1
	.set _ZN7rocprim17ROCPRIM_400000_NS6detail17trampoline_kernelINS0_14default_configENS1_25partition_config_selectorILNS1_17partition_subalgoE6EsNS0_10empty_typeEbEEZZNS1_14partition_implILS5_6ELb0ES3_mN6thrust23THRUST_200600_302600_NS6detail15normal_iteratorINSA_10device_ptrIsEEEEPS6_SG_NS0_5tupleIJSF_S6_EEENSH_IJSG_SG_EEES6_PlJNSB_9not_fun_tI7is_trueIsEEEEEE10hipError_tPvRmT3_T4_T5_T6_T7_T9_mT8_P12ihipStream_tbDpT10_ENKUlT_T0_E_clISt17integral_constantIbLb0EES17_IbLb1EEEEDaS13_S14_EUlS13_E_NS1_11comp_targetILNS1_3genE10ELNS1_11target_archE1200ELNS1_3gpuE4ELNS1_3repE0EEENS1_30default_config_static_selectorELNS0_4arch9wavefront6targetE0EEEvT1_.has_dyn_sized_stack, 0
	.set _ZN7rocprim17ROCPRIM_400000_NS6detail17trampoline_kernelINS0_14default_configENS1_25partition_config_selectorILNS1_17partition_subalgoE6EsNS0_10empty_typeEbEEZZNS1_14partition_implILS5_6ELb0ES3_mN6thrust23THRUST_200600_302600_NS6detail15normal_iteratorINSA_10device_ptrIsEEEEPS6_SG_NS0_5tupleIJSF_S6_EEENSH_IJSG_SG_EEES6_PlJNSB_9not_fun_tI7is_trueIsEEEEEE10hipError_tPvRmT3_T4_T5_T6_T7_T9_mT8_P12ihipStream_tbDpT10_ENKUlT_T0_E_clISt17integral_constantIbLb0EES17_IbLb1EEEEDaS13_S14_EUlS13_E_NS1_11comp_targetILNS1_3genE10ELNS1_11target_archE1200ELNS1_3gpuE4ELNS1_3repE0EEENS1_30default_config_static_selectorELNS0_4arch9wavefront6targetE0EEEvT1_.has_recursion, 0
	.set _ZN7rocprim17ROCPRIM_400000_NS6detail17trampoline_kernelINS0_14default_configENS1_25partition_config_selectorILNS1_17partition_subalgoE6EsNS0_10empty_typeEbEEZZNS1_14partition_implILS5_6ELb0ES3_mN6thrust23THRUST_200600_302600_NS6detail15normal_iteratorINSA_10device_ptrIsEEEEPS6_SG_NS0_5tupleIJSF_S6_EEENSH_IJSG_SG_EEES6_PlJNSB_9not_fun_tI7is_trueIsEEEEEE10hipError_tPvRmT3_T4_T5_T6_T7_T9_mT8_P12ihipStream_tbDpT10_ENKUlT_T0_E_clISt17integral_constantIbLb0EES17_IbLb1EEEEDaS13_S14_EUlS13_E_NS1_11comp_targetILNS1_3genE10ELNS1_11target_archE1200ELNS1_3gpuE4ELNS1_3repE0EEENS1_30default_config_static_selectorELNS0_4arch9wavefront6targetE0EEEvT1_.has_indirect_call, 0
	.section	.AMDGPU.csdata,"",@progbits
; Kernel info:
; codeLenInByte = 11860
; TotalNumSgprs: 31
; NumVgprs: 78
; ScratchSize: 0
; MemoryBound: 0
; FloatMode: 240
; IeeeMode: 1
; LDSByteSize: 13840 bytes/workgroup (compile time only)
; SGPRBlocks: 0
; VGPRBlocks: 9
; NumSGPRsForWavesPerEU: 31
; NumVGPRsForWavesPerEU: 78
; Occupancy: 15
; WaveLimiterHint : 1
; COMPUTE_PGM_RSRC2:SCRATCH_EN: 0
; COMPUTE_PGM_RSRC2:USER_SGPR: 2
; COMPUTE_PGM_RSRC2:TRAP_HANDLER: 0
; COMPUTE_PGM_RSRC2:TGID_X_EN: 1
; COMPUTE_PGM_RSRC2:TGID_Y_EN: 0
; COMPUTE_PGM_RSRC2:TGID_Z_EN: 0
; COMPUTE_PGM_RSRC2:TIDIG_COMP_CNT: 0
	.section	.text._ZN7rocprim17ROCPRIM_400000_NS6detail17trampoline_kernelINS0_14default_configENS1_25partition_config_selectorILNS1_17partition_subalgoE6EsNS0_10empty_typeEbEEZZNS1_14partition_implILS5_6ELb0ES3_mN6thrust23THRUST_200600_302600_NS6detail15normal_iteratorINSA_10device_ptrIsEEEEPS6_SG_NS0_5tupleIJSF_S6_EEENSH_IJSG_SG_EEES6_PlJNSB_9not_fun_tI7is_trueIsEEEEEE10hipError_tPvRmT3_T4_T5_T6_T7_T9_mT8_P12ihipStream_tbDpT10_ENKUlT_T0_E_clISt17integral_constantIbLb0EES17_IbLb1EEEEDaS13_S14_EUlS13_E_NS1_11comp_targetILNS1_3genE9ELNS1_11target_archE1100ELNS1_3gpuE3ELNS1_3repE0EEENS1_30default_config_static_selectorELNS0_4arch9wavefront6targetE0EEEvT1_,"axG",@progbits,_ZN7rocprim17ROCPRIM_400000_NS6detail17trampoline_kernelINS0_14default_configENS1_25partition_config_selectorILNS1_17partition_subalgoE6EsNS0_10empty_typeEbEEZZNS1_14partition_implILS5_6ELb0ES3_mN6thrust23THRUST_200600_302600_NS6detail15normal_iteratorINSA_10device_ptrIsEEEEPS6_SG_NS0_5tupleIJSF_S6_EEENSH_IJSG_SG_EEES6_PlJNSB_9not_fun_tI7is_trueIsEEEEEE10hipError_tPvRmT3_T4_T5_T6_T7_T9_mT8_P12ihipStream_tbDpT10_ENKUlT_T0_E_clISt17integral_constantIbLb0EES17_IbLb1EEEEDaS13_S14_EUlS13_E_NS1_11comp_targetILNS1_3genE9ELNS1_11target_archE1100ELNS1_3gpuE3ELNS1_3repE0EEENS1_30default_config_static_selectorELNS0_4arch9wavefront6targetE0EEEvT1_,comdat
	.protected	_ZN7rocprim17ROCPRIM_400000_NS6detail17trampoline_kernelINS0_14default_configENS1_25partition_config_selectorILNS1_17partition_subalgoE6EsNS0_10empty_typeEbEEZZNS1_14partition_implILS5_6ELb0ES3_mN6thrust23THRUST_200600_302600_NS6detail15normal_iteratorINSA_10device_ptrIsEEEEPS6_SG_NS0_5tupleIJSF_S6_EEENSH_IJSG_SG_EEES6_PlJNSB_9not_fun_tI7is_trueIsEEEEEE10hipError_tPvRmT3_T4_T5_T6_T7_T9_mT8_P12ihipStream_tbDpT10_ENKUlT_T0_E_clISt17integral_constantIbLb0EES17_IbLb1EEEEDaS13_S14_EUlS13_E_NS1_11comp_targetILNS1_3genE9ELNS1_11target_archE1100ELNS1_3gpuE3ELNS1_3repE0EEENS1_30default_config_static_selectorELNS0_4arch9wavefront6targetE0EEEvT1_ ; -- Begin function _ZN7rocprim17ROCPRIM_400000_NS6detail17trampoline_kernelINS0_14default_configENS1_25partition_config_selectorILNS1_17partition_subalgoE6EsNS0_10empty_typeEbEEZZNS1_14partition_implILS5_6ELb0ES3_mN6thrust23THRUST_200600_302600_NS6detail15normal_iteratorINSA_10device_ptrIsEEEEPS6_SG_NS0_5tupleIJSF_S6_EEENSH_IJSG_SG_EEES6_PlJNSB_9not_fun_tI7is_trueIsEEEEEE10hipError_tPvRmT3_T4_T5_T6_T7_T9_mT8_P12ihipStream_tbDpT10_ENKUlT_T0_E_clISt17integral_constantIbLb0EES17_IbLb1EEEEDaS13_S14_EUlS13_E_NS1_11comp_targetILNS1_3genE9ELNS1_11target_archE1100ELNS1_3gpuE3ELNS1_3repE0EEENS1_30default_config_static_selectorELNS0_4arch9wavefront6targetE0EEEvT1_
	.globl	_ZN7rocprim17ROCPRIM_400000_NS6detail17trampoline_kernelINS0_14default_configENS1_25partition_config_selectorILNS1_17partition_subalgoE6EsNS0_10empty_typeEbEEZZNS1_14partition_implILS5_6ELb0ES3_mN6thrust23THRUST_200600_302600_NS6detail15normal_iteratorINSA_10device_ptrIsEEEEPS6_SG_NS0_5tupleIJSF_S6_EEENSH_IJSG_SG_EEES6_PlJNSB_9not_fun_tI7is_trueIsEEEEEE10hipError_tPvRmT3_T4_T5_T6_T7_T9_mT8_P12ihipStream_tbDpT10_ENKUlT_T0_E_clISt17integral_constantIbLb0EES17_IbLb1EEEEDaS13_S14_EUlS13_E_NS1_11comp_targetILNS1_3genE9ELNS1_11target_archE1100ELNS1_3gpuE3ELNS1_3repE0EEENS1_30default_config_static_selectorELNS0_4arch9wavefront6targetE0EEEvT1_
	.p2align	8
	.type	_ZN7rocprim17ROCPRIM_400000_NS6detail17trampoline_kernelINS0_14default_configENS1_25partition_config_selectorILNS1_17partition_subalgoE6EsNS0_10empty_typeEbEEZZNS1_14partition_implILS5_6ELb0ES3_mN6thrust23THRUST_200600_302600_NS6detail15normal_iteratorINSA_10device_ptrIsEEEEPS6_SG_NS0_5tupleIJSF_S6_EEENSH_IJSG_SG_EEES6_PlJNSB_9not_fun_tI7is_trueIsEEEEEE10hipError_tPvRmT3_T4_T5_T6_T7_T9_mT8_P12ihipStream_tbDpT10_ENKUlT_T0_E_clISt17integral_constantIbLb0EES17_IbLb1EEEEDaS13_S14_EUlS13_E_NS1_11comp_targetILNS1_3genE9ELNS1_11target_archE1100ELNS1_3gpuE3ELNS1_3repE0EEENS1_30default_config_static_selectorELNS0_4arch9wavefront6targetE0EEEvT1_,@function
_ZN7rocprim17ROCPRIM_400000_NS6detail17trampoline_kernelINS0_14default_configENS1_25partition_config_selectorILNS1_17partition_subalgoE6EsNS0_10empty_typeEbEEZZNS1_14partition_implILS5_6ELb0ES3_mN6thrust23THRUST_200600_302600_NS6detail15normal_iteratorINSA_10device_ptrIsEEEEPS6_SG_NS0_5tupleIJSF_S6_EEENSH_IJSG_SG_EEES6_PlJNSB_9not_fun_tI7is_trueIsEEEEEE10hipError_tPvRmT3_T4_T5_T6_T7_T9_mT8_P12ihipStream_tbDpT10_ENKUlT_T0_E_clISt17integral_constantIbLb0EES17_IbLb1EEEEDaS13_S14_EUlS13_E_NS1_11comp_targetILNS1_3genE9ELNS1_11target_archE1100ELNS1_3gpuE3ELNS1_3repE0EEENS1_30default_config_static_selectorELNS0_4arch9wavefront6targetE0EEEvT1_: ; @_ZN7rocprim17ROCPRIM_400000_NS6detail17trampoline_kernelINS0_14default_configENS1_25partition_config_selectorILNS1_17partition_subalgoE6EsNS0_10empty_typeEbEEZZNS1_14partition_implILS5_6ELb0ES3_mN6thrust23THRUST_200600_302600_NS6detail15normal_iteratorINSA_10device_ptrIsEEEEPS6_SG_NS0_5tupleIJSF_S6_EEENSH_IJSG_SG_EEES6_PlJNSB_9not_fun_tI7is_trueIsEEEEEE10hipError_tPvRmT3_T4_T5_T6_T7_T9_mT8_P12ihipStream_tbDpT10_ENKUlT_T0_E_clISt17integral_constantIbLb0EES17_IbLb1EEEEDaS13_S14_EUlS13_E_NS1_11comp_targetILNS1_3genE9ELNS1_11target_archE1100ELNS1_3gpuE3ELNS1_3repE0EEENS1_30default_config_static_selectorELNS0_4arch9wavefront6targetE0EEEvT1_
; %bb.0:
	.section	.rodata,"a",@progbits
	.p2align	6, 0x0
	.amdhsa_kernel _ZN7rocprim17ROCPRIM_400000_NS6detail17trampoline_kernelINS0_14default_configENS1_25partition_config_selectorILNS1_17partition_subalgoE6EsNS0_10empty_typeEbEEZZNS1_14partition_implILS5_6ELb0ES3_mN6thrust23THRUST_200600_302600_NS6detail15normal_iteratorINSA_10device_ptrIsEEEEPS6_SG_NS0_5tupleIJSF_S6_EEENSH_IJSG_SG_EEES6_PlJNSB_9not_fun_tI7is_trueIsEEEEEE10hipError_tPvRmT3_T4_T5_T6_T7_T9_mT8_P12ihipStream_tbDpT10_ENKUlT_T0_E_clISt17integral_constantIbLb0EES17_IbLb1EEEEDaS13_S14_EUlS13_E_NS1_11comp_targetILNS1_3genE9ELNS1_11target_archE1100ELNS1_3gpuE3ELNS1_3repE0EEENS1_30default_config_static_selectorELNS0_4arch9wavefront6targetE0EEEvT1_
		.amdhsa_group_segment_fixed_size 0
		.amdhsa_private_segment_fixed_size 0
		.amdhsa_kernarg_size 128
		.amdhsa_user_sgpr_count 2
		.amdhsa_user_sgpr_dispatch_ptr 0
		.amdhsa_user_sgpr_queue_ptr 0
		.amdhsa_user_sgpr_kernarg_segment_ptr 1
		.amdhsa_user_sgpr_dispatch_id 0
		.amdhsa_user_sgpr_private_segment_size 0
		.amdhsa_wavefront_size32 1
		.amdhsa_uses_dynamic_stack 0
		.amdhsa_enable_private_segment 0
		.amdhsa_system_sgpr_workgroup_id_x 1
		.amdhsa_system_sgpr_workgroup_id_y 0
		.amdhsa_system_sgpr_workgroup_id_z 0
		.amdhsa_system_sgpr_workgroup_info 0
		.amdhsa_system_vgpr_workitem_id 0
		.amdhsa_next_free_vgpr 1
		.amdhsa_next_free_sgpr 1
		.amdhsa_reserve_vcc 0
		.amdhsa_float_round_mode_32 0
		.amdhsa_float_round_mode_16_64 0
		.amdhsa_float_denorm_mode_32 3
		.amdhsa_float_denorm_mode_16_64 3
		.amdhsa_fp16_overflow 0
		.amdhsa_workgroup_processor_mode 1
		.amdhsa_memory_ordered 1
		.amdhsa_forward_progress 1
		.amdhsa_inst_pref_size 0
		.amdhsa_round_robin_scheduling 0
		.amdhsa_exception_fp_ieee_invalid_op 0
		.amdhsa_exception_fp_denorm_src 0
		.amdhsa_exception_fp_ieee_div_zero 0
		.amdhsa_exception_fp_ieee_overflow 0
		.amdhsa_exception_fp_ieee_underflow 0
		.amdhsa_exception_fp_ieee_inexact 0
		.amdhsa_exception_int_div_zero 0
	.end_amdhsa_kernel
	.section	.text._ZN7rocprim17ROCPRIM_400000_NS6detail17trampoline_kernelINS0_14default_configENS1_25partition_config_selectorILNS1_17partition_subalgoE6EsNS0_10empty_typeEbEEZZNS1_14partition_implILS5_6ELb0ES3_mN6thrust23THRUST_200600_302600_NS6detail15normal_iteratorINSA_10device_ptrIsEEEEPS6_SG_NS0_5tupleIJSF_S6_EEENSH_IJSG_SG_EEES6_PlJNSB_9not_fun_tI7is_trueIsEEEEEE10hipError_tPvRmT3_T4_T5_T6_T7_T9_mT8_P12ihipStream_tbDpT10_ENKUlT_T0_E_clISt17integral_constantIbLb0EES17_IbLb1EEEEDaS13_S14_EUlS13_E_NS1_11comp_targetILNS1_3genE9ELNS1_11target_archE1100ELNS1_3gpuE3ELNS1_3repE0EEENS1_30default_config_static_selectorELNS0_4arch9wavefront6targetE0EEEvT1_,"axG",@progbits,_ZN7rocprim17ROCPRIM_400000_NS6detail17trampoline_kernelINS0_14default_configENS1_25partition_config_selectorILNS1_17partition_subalgoE6EsNS0_10empty_typeEbEEZZNS1_14partition_implILS5_6ELb0ES3_mN6thrust23THRUST_200600_302600_NS6detail15normal_iteratorINSA_10device_ptrIsEEEEPS6_SG_NS0_5tupleIJSF_S6_EEENSH_IJSG_SG_EEES6_PlJNSB_9not_fun_tI7is_trueIsEEEEEE10hipError_tPvRmT3_T4_T5_T6_T7_T9_mT8_P12ihipStream_tbDpT10_ENKUlT_T0_E_clISt17integral_constantIbLb0EES17_IbLb1EEEEDaS13_S14_EUlS13_E_NS1_11comp_targetILNS1_3genE9ELNS1_11target_archE1100ELNS1_3gpuE3ELNS1_3repE0EEENS1_30default_config_static_selectorELNS0_4arch9wavefront6targetE0EEEvT1_,comdat
.Lfunc_end1299:
	.size	_ZN7rocprim17ROCPRIM_400000_NS6detail17trampoline_kernelINS0_14default_configENS1_25partition_config_selectorILNS1_17partition_subalgoE6EsNS0_10empty_typeEbEEZZNS1_14partition_implILS5_6ELb0ES3_mN6thrust23THRUST_200600_302600_NS6detail15normal_iteratorINSA_10device_ptrIsEEEEPS6_SG_NS0_5tupleIJSF_S6_EEENSH_IJSG_SG_EEES6_PlJNSB_9not_fun_tI7is_trueIsEEEEEE10hipError_tPvRmT3_T4_T5_T6_T7_T9_mT8_P12ihipStream_tbDpT10_ENKUlT_T0_E_clISt17integral_constantIbLb0EES17_IbLb1EEEEDaS13_S14_EUlS13_E_NS1_11comp_targetILNS1_3genE9ELNS1_11target_archE1100ELNS1_3gpuE3ELNS1_3repE0EEENS1_30default_config_static_selectorELNS0_4arch9wavefront6targetE0EEEvT1_, .Lfunc_end1299-_ZN7rocprim17ROCPRIM_400000_NS6detail17trampoline_kernelINS0_14default_configENS1_25partition_config_selectorILNS1_17partition_subalgoE6EsNS0_10empty_typeEbEEZZNS1_14partition_implILS5_6ELb0ES3_mN6thrust23THRUST_200600_302600_NS6detail15normal_iteratorINSA_10device_ptrIsEEEEPS6_SG_NS0_5tupleIJSF_S6_EEENSH_IJSG_SG_EEES6_PlJNSB_9not_fun_tI7is_trueIsEEEEEE10hipError_tPvRmT3_T4_T5_T6_T7_T9_mT8_P12ihipStream_tbDpT10_ENKUlT_T0_E_clISt17integral_constantIbLb0EES17_IbLb1EEEEDaS13_S14_EUlS13_E_NS1_11comp_targetILNS1_3genE9ELNS1_11target_archE1100ELNS1_3gpuE3ELNS1_3repE0EEENS1_30default_config_static_selectorELNS0_4arch9wavefront6targetE0EEEvT1_
                                        ; -- End function
	.set _ZN7rocprim17ROCPRIM_400000_NS6detail17trampoline_kernelINS0_14default_configENS1_25partition_config_selectorILNS1_17partition_subalgoE6EsNS0_10empty_typeEbEEZZNS1_14partition_implILS5_6ELb0ES3_mN6thrust23THRUST_200600_302600_NS6detail15normal_iteratorINSA_10device_ptrIsEEEEPS6_SG_NS0_5tupleIJSF_S6_EEENSH_IJSG_SG_EEES6_PlJNSB_9not_fun_tI7is_trueIsEEEEEE10hipError_tPvRmT3_T4_T5_T6_T7_T9_mT8_P12ihipStream_tbDpT10_ENKUlT_T0_E_clISt17integral_constantIbLb0EES17_IbLb1EEEEDaS13_S14_EUlS13_E_NS1_11comp_targetILNS1_3genE9ELNS1_11target_archE1100ELNS1_3gpuE3ELNS1_3repE0EEENS1_30default_config_static_selectorELNS0_4arch9wavefront6targetE0EEEvT1_.num_vgpr, 0
	.set _ZN7rocprim17ROCPRIM_400000_NS6detail17trampoline_kernelINS0_14default_configENS1_25partition_config_selectorILNS1_17partition_subalgoE6EsNS0_10empty_typeEbEEZZNS1_14partition_implILS5_6ELb0ES3_mN6thrust23THRUST_200600_302600_NS6detail15normal_iteratorINSA_10device_ptrIsEEEEPS6_SG_NS0_5tupleIJSF_S6_EEENSH_IJSG_SG_EEES6_PlJNSB_9not_fun_tI7is_trueIsEEEEEE10hipError_tPvRmT3_T4_T5_T6_T7_T9_mT8_P12ihipStream_tbDpT10_ENKUlT_T0_E_clISt17integral_constantIbLb0EES17_IbLb1EEEEDaS13_S14_EUlS13_E_NS1_11comp_targetILNS1_3genE9ELNS1_11target_archE1100ELNS1_3gpuE3ELNS1_3repE0EEENS1_30default_config_static_selectorELNS0_4arch9wavefront6targetE0EEEvT1_.num_agpr, 0
	.set _ZN7rocprim17ROCPRIM_400000_NS6detail17trampoline_kernelINS0_14default_configENS1_25partition_config_selectorILNS1_17partition_subalgoE6EsNS0_10empty_typeEbEEZZNS1_14partition_implILS5_6ELb0ES3_mN6thrust23THRUST_200600_302600_NS6detail15normal_iteratorINSA_10device_ptrIsEEEEPS6_SG_NS0_5tupleIJSF_S6_EEENSH_IJSG_SG_EEES6_PlJNSB_9not_fun_tI7is_trueIsEEEEEE10hipError_tPvRmT3_T4_T5_T6_T7_T9_mT8_P12ihipStream_tbDpT10_ENKUlT_T0_E_clISt17integral_constantIbLb0EES17_IbLb1EEEEDaS13_S14_EUlS13_E_NS1_11comp_targetILNS1_3genE9ELNS1_11target_archE1100ELNS1_3gpuE3ELNS1_3repE0EEENS1_30default_config_static_selectorELNS0_4arch9wavefront6targetE0EEEvT1_.numbered_sgpr, 0
	.set _ZN7rocprim17ROCPRIM_400000_NS6detail17trampoline_kernelINS0_14default_configENS1_25partition_config_selectorILNS1_17partition_subalgoE6EsNS0_10empty_typeEbEEZZNS1_14partition_implILS5_6ELb0ES3_mN6thrust23THRUST_200600_302600_NS6detail15normal_iteratorINSA_10device_ptrIsEEEEPS6_SG_NS0_5tupleIJSF_S6_EEENSH_IJSG_SG_EEES6_PlJNSB_9not_fun_tI7is_trueIsEEEEEE10hipError_tPvRmT3_T4_T5_T6_T7_T9_mT8_P12ihipStream_tbDpT10_ENKUlT_T0_E_clISt17integral_constantIbLb0EES17_IbLb1EEEEDaS13_S14_EUlS13_E_NS1_11comp_targetILNS1_3genE9ELNS1_11target_archE1100ELNS1_3gpuE3ELNS1_3repE0EEENS1_30default_config_static_selectorELNS0_4arch9wavefront6targetE0EEEvT1_.num_named_barrier, 0
	.set _ZN7rocprim17ROCPRIM_400000_NS6detail17trampoline_kernelINS0_14default_configENS1_25partition_config_selectorILNS1_17partition_subalgoE6EsNS0_10empty_typeEbEEZZNS1_14partition_implILS5_6ELb0ES3_mN6thrust23THRUST_200600_302600_NS6detail15normal_iteratorINSA_10device_ptrIsEEEEPS6_SG_NS0_5tupleIJSF_S6_EEENSH_IJSG_SG_EEES6_PlJNSB_9not_fun_tI7is_trueIsEEEEEE10hipError_tPvRmT3_T4_T5_T6_T7_T9_mT8_P12ihipStream_tbDpT10_ENKUlT_T0_E_clISt17integral_constantIbLb0EES17_IbLb1EEEEDaS13_S14_EUlS13_E_NS1_11comp_targetILNS1_3genE9ELNS1_11target_archE1100ELNS1_3gpuE3ELNS1_3repE0EEENS1_30default_config_static_selectorELNS0_4arch9wavefront6targetE0EEEvT1_.private_seg_size, 0
	.set _ZN7rocprim17ROCPRIM_400000_NS6detail17trampoline_kernelINS0_14default_configENS1_25partition_config_selectorILNS1_17partition_subalgoE6EsNS0_10empty_typeEbEEZZNS1_14partition_implILS5_6ELb0ES3_mN6thrust23THRUST_200600_302600_NS6detail15normal_iteratorINSA_10device_ptrIsEEEEPS6_SG_NS0_5tupleIJSF_S6_EEENSH_IJSG_SG_EEES6_PlJNSB_9not_fun_tI7is_trueIsEEEEEE10hipError_tPvRmT3_T4_T5_T6_T7_T9_mT8_P12ihipStream_tbDpT10_ENKUlT_T0_E_clISt17integral_constantIbLb0EES17_IbLb1EEEEDaS13_S14_EUlS13_E_NS1_11comp_targetILNS1_3genE9ELNS1_11target_archE1100ELNS1_3gpuE3ELNS1_3repE0EEENS1_30default_config_static_selectorELNS0_4arch9wavefront6targetE0EEEvT1_.uses_vcc, 0
	.set _ZN7rocprim17ROCPRIM_400000_NS6detail17trampoline_kernelINS0_14default_configENS1_25partition_config_selectorILNS1_17partition_subalgoE6EsNS0_10empty_typeEbEEZZNS1_14partition_implILS5_6ELb0ES3_mN6thrust23THRUST_200600_302600_NS6detail15normal_iteratorINSA_10device_ptrIsEEEEPS6_SG_NS0_5tupleIJSF_S6_EEENSH_IJSG_SG_EEES6_PlJNSB_9not_fun_tI7is_trueIsEEEEEE10hipError_tPvRmT3_T4_T5_T6_T7_T9_mT8_P12ihipStream_tbDpT10_ENKUlT_T0_E_clISt17integral_constantIbLb0EES17_IbLb1EEEEDaS13_S14_EUlS13_E_NS1_11comp_targetILNS1_3genE9ELNS1_11target_archE1100ELNS1_3gpuE3ELNS1_3repE0EEENS1_30default_config_static_selectorELNS0_4arch9wavefront6targetE0EEEvT1_.uses_flat_scratch, 0
	.set _ZN7rocprim17ROCPRIM_400000_NS6detail17trampoline_kernelINS0_14default_configENS1_25partition_config_selectorILNS1_17partition_subalgoE6EsNS0_10empty_typeEbEEZZNS1_14partition_implILS5_6ELb0ES3_mN6thrust23THRUST_200600_302600_NS6detail15normal_iteratorINSA_10device_ptrIsEEEEPS6_SG_NS0_5tupleIJSF_S6_EEENSH_IJSG_SG_EEES6_PlJNSB_9not_fun_tI7is_trueIsEEEEEE10hipError_tPvRmT3_T4_T5_T6_T7_T9_mT8_P12ihipStream_tbDpT10_ENKUlT_T0_E_clISt17integral_constantIbLb0EES17_IbLb1EEEEDaS13_S14_EUlS13_E_NS1_11comp_targetILNS1_3genE9ELNS1_11target_archE1100ELNS1_3gpuE3ELNS1_3repE0EEENS1_30default_config_static_selectorELNS0_4arch9wavefront6targetE0EEEvT1_.has_dyn_sized_stack, 0
	.set _ZN7rocprim17ROCPRIM_400000_NS6detail17trampoline_kernelINS0_14default_configENS1_25partition_config_selectorILNS1_17partition_subalgoE6EsNS0_10empty_typeEbEEZZNS1_14partition_implILS5_6ELb0ES3_mN6thrust23THRUST_200600_302600_NS6detail15normal_iteratorINSA_10device_ptrIsEEEEPS6_SG_NS0_5tupleIJSF_S6_EEENSH_IJSG_SG_EEES6_PlJNSB_9not_fun_tI7is_trueIsEEEEEE10hipError_tPvRmT3_T4_T5_T6_T7_T9_mT8_P12ihipStream_tbDpT10_ENKUlT_T0_E_clISt17integral_constantIbLb0EES17_IbLb1EEEEDaS13_S14_EUlS13_E_NS1_11comp_targetILNS1_3genE9ELNS1_11target_archE1100ELNS1_3gpuE3ELNS1_3repE0EEENS1_30default_config_static_selectorELNS0_4arch9wavefront6targetE0EEEvT1_.has_recursion, 0
	.set _ZN7rocprim17ROCPRIM_400000_NS6detail17trampoline_kernelINS0_14default_configENS1_25partition_config_selectorILNS1_17partition_subalgoE6EsNS0_10empty_typeEbEEZZNS1_14partition_implILS5_6ELb0ES3_mN6thrust23THRUST_200600_302600_NS6detail15normal_iteratorINSA_10device_ptrIsEEEEPS6_SG_NS0_5tupleIJSF_S6_EEENSH_IJSG_SG_EEES6_PlJNSB_9not_fun_tI7is_trueIsEEEEEE10hipError_tPvRmT3_T4_T5_T6_T7_T9_mT8_P12ihipStream_tbDpT10_ENKUlT_T0_E_clISt17integral_constantIbLb0EES17_IbLb1EEEEDaS13_S14_EUlS13_E_NS1_11comp_targetILNS1_3genE9ELNS1_11target_archE1100ELNS1_3gpuE3ELNS1_3repE0EEENS1_30default_config_static_selectorELNS0_4arch9wavefront6targetE0EEEvT1_.has_indirect_call, 0
	.section	.AMDGPU.csdata,"",@progbits
; Kernel info:
; codeLenInByte = 0
; TotalNumSgprs: 0
; NumVgprs: 0
; ScratchSize: 0
; MemoryBound: 0
; FloatMode: 240
; IeeeMode: 1
; LDSByteSize: 0 bytes/workgroup (compile time only)
; SGPRBlocks: 0
; VGPRBlocks: 0
; NumSGPRsForWavesPerEU: 1
; NumVGPRsForWavesPerEU: 1
; Occupancy: 16
; WaveLimiterHint : 0
; COMPUTE_PGM_RSRC2:SCRATCH_EN: 0
; COMPUTE_PGM_RSRC2:USER_SGPR: 2
; COMPUTE_PGM_RSRC2:TRAP_HANDLER: 0
; COMPUTE_PGM_RSRC2:TGID_X_EN: 1
; COMPUTE_PGM_RSRC2:TGID_Y_EN: 0
; COMPUTE_PGM_RSRC2:TGID_Z_EN: 0
; COMPUTE_PGM_RSRC2:TIDIG_COMP_CNT: 0
	.section	.text._ZN7rocprim17ROCPRIM_400000_NS6detail17trampoline_kernelINS0_14default_configENS1_25partition_config_selectorILNS1_17partition_subalgoE6EsNS0_10empty_typeEbEEZZNS1_14partition_implILS5_6ELb0ES3_mN6thrust23THRUST_200600_302600_NS6detail15normal_iteratorINSA_10device_ptrIsEEEEPS6_SG_NS0_5tupleIJSF_S6_EEENSH_IJSG_SG_EEES6_PlJNSB_9not_fun_tI7is_trueIsEEEEEE10hipError_tPvRmT3_T4_T5_T6_T7_T9_mT8_P12ihipStream_tbDpT10_ENKUlT_T0_E_clISt17integral_constantIbLb0EES17_IbLb1EEEEDaS13_S14_EUlS13_E_NS1_11comp_targetILNS1_3genE8ELNS1_11target_archE1030ELNS1_3gpuE2ELNS1_3repE0EEENS1_30default_config_static_selectorELNS0_4arch9wavefront6targetE0EEEvT1_,"axG",@progbits,_ZN7rocprim17ROCPRIM_400000_NS6detail17trampoline_kernelINS0_14default_configENS1_25partition_config_selectorILNS1_17partition_subalgoE6EsNS0_10empty_typeEbEEZZNS1_14partition_implILS5_6ELb0ES3_mN6thrust23THRUST_200600_302600_NS6detail15normal_iteratorINSA_10device_ptrIsEEEEPS6_SG_NS0_5tupleIJSF_S6_EEENSH_IJSG_SG_EEES6_PlJNSB_9not_fun_tI7is_trueIsEEEEEE10hipError_tPvRmT3_T4_T5_T6_T7_T9_mT8_P12ihipStream_tbDpT10_ENKUlT_T0_E_clISt17integral_constantIbLb0EES17_IbLb1EEEEDaS13_S14_EUlS13_E_NS1_11comp_targetILNS1_3genE8ELNS1_11target_archE1030ELNS1_3gpuE2ELNS1_3repE0EEENS1_30default_config_static_selectorELNS0_4arch9wavefront6targetE0EEEvT1_,comdat
	.protected	_ZN7rocprim17ROCPRIM_400000_NS6detail17trampoline_kernelINS0_14default_configENS1_25partition_config_selectorILNS1_17partition_subalgoE6EsNS0_10empty_typeEbEEZZNS1_14partition_implILS5_6ELb0ES3_mN6thrust23THRUST_200600_302600_NS6detail15normal_iteratorINSA_10device_ptrIsEEEEPS6_SG_NS0_5tupleIJSF_S6_EEENSH_IJSG_SG_EEES6_PlJNSB_9not_fun_tI7is_trueIsEEEEEE10hipError_tPvRmT3_T4_T5_T6_T7_T9_mT8_P12ihipStream_tbDpT10_ENKUlT_T0_E_clISt17integral_constantIbLb0EES17_IbLb1EEEEDaS13_S14_EUlS13_E_NS1_11comp_targetILNS1_3genE8ELNS1_11target_archE1030ELNS1_3gpuE2ELNS1_3repE0EEENS1_30default_config_static_selectorELNS0_4arch9wavefront6targetE0EEEvT1_ ; -- Begin function _ZN7rocprim17ROCPRIM_400000_NS6detail17trampoline_kernelINS0_14default_configENS1_25partition_config_selectorILNS1_17partition_subalgoE6EsNS0_10empty_typeEbEEZZNS1_14partition_implILS5_6ELb0ES3_mN6thrust23THRUST_200600_302600_NS6detail15normal_iteratorINSA_10device_ptrIsEEEEPS6_SG_NS0_5tupleIJSF_S6_EEENSH_IJSG_SG_EEES6_PlJNSB_9not_fun_tI7is_trueIsEEEEEE10hipError_tPvRmT3_T4_T5_T6_T7_T9_mT8_P12ihipStream_tbDpT10_ENKUlT_T0_E_clISt17integral_constantIbLb0EES17_IbLb1EEEEDaS13_S14_EUlS13_E_NS1_11comp_targetILNS1_3genE8ELNS1_11target_archE1030ELNS1_3gpuE2ELNS1_3repE0EEENS1_30default_config_static_selectorELNS0_4arch9wavefront6targetE0EEEvT1_
	.globl	_ZN7rocprim17ROCPRIM_400000_NS6detail17trampoline_kernelINS0_14default_configENS1_25partition_config_selectorILNS1_17partition_subalgoE6EsNS0_10empty_typeEbEEZZNS1_14partition_implILS5_6ELb0ES3_mN6thrust23THRUST_200600_302600_NS6detail15normal_iteratorINSA_10device_ptrIsEEEEPS6_SG_NS0_5tupleIJSF_S6_EEENSH_IJSG_SG_EEES6_PlJNSB_9not_fun_tI7is_trueIsEEEEEE10hipError_tPvRmT3_T4_T5_T6_T7_T9_mT8_P12ihipStream_tbDpT10_ENKUlT_T0_E_clISt17integral_constantIbLb0EES17_IbLb1EEEEDaS13_S14_EUlS13_E_NS1_11comp_targetILNS1_3genE8ELNS1_11target_archE1030ELNS1_3gpuE2ELNS1_3repE0EEENS1_30default_config_static_selectorELNS0_4arch9wavefront6targetE0EEEvT1_
	.p2align	8
	.type	_ZN7rocprim17ROCPRIM_400000_NS6detail17trampoline_kernelINS0_14default_configENS1_25partition_config_selectorILNS1_17partition_subalgoE6EsNS0_10empty_typeEbEEZZNS1_14partition_implILS5_6ELb0ES3_mN6thrust23THRUST_200600_302600_NS6detail15normal_iteratorINSA_10device_ptrIsEEEEPS6_SG_NS0_5tupleIJSF_S6_EEENSH_IJSG_SG_EEES6_PlJNSB_9not_fun_tI7is_trueIsEEEEEE10hipError_tPvRmT3_T4_T5_T6_T7_T9_mT8_P12ihipStream_tbDpT10_ENKUlT_T0_E_clISt17integral_constantIbLb0EES17_IbLb1EEEEDaS13_S14_EUlS13_E_NS1_11comp_targetILNS1_3genE8ELNS1_11target_archE1030ELNS1_3gpuE2ELNS1_3repE0EEENS1_30default_config_static_selectorELNS0_4arch9wavefront6targetE0EEEvT1_,@function
_ZN7rocprim17ROCPRIM_400000_NS6detail17trampoline_kernelINS0_14default_configENS1_25partition_config_selectorILNS1_17partition_subalgoE6EsNS0_10empty_typeEbEEZZNS1_14partition_implILS5_6ELb0ES3_mN6thrust23THRUST_200600_302600_NS6detail15normal_iteratorINSA_10device_ptrIsEEEEPS6_SG_NS0_5tupleIJSF_S6_EEENSH_IJSG_SG_EEES6_PlJNSB_9not_fun_tI7is_trueIsEEEEEE10hipError_tPvRmT3_T4_T5_T6_T7_T9_mT8_P12ihipStream_tbDpT10_ENKUlT_T0_E_clISt17integral_constantIbLb0EES17_IbLb1EEEEDaS13_S14_EUlS13_E_NS1_11comp_targetILNS1_3genE8ELNS1_11target_archE1030ELNS1_3gpuE2ELNS1_3repE0EEENS1_30default_config_static_selectorELNS0_4arch9wavefront6targetE0EEEvT1_: ; @_ZN7rocprim17ROCPRIM_400000_NS6detail17trampoline_kernelINS0_14default_configENS1_25partition_config_selectorILNS1_17partition_subalgoE6EsNS0_10empty_typeEbEEZZNS1_14partition_implILS5_6ELb0ES3_mN6thrust23THRUST_200600_302600_NS6detail15normal_iteratorINSA_10device_ptrIsEEEEPS6_SG_NS0_5tupleIJSF_S6_EEENSH_IJSG_SG_EEES6_PlJNSB_9not_fun_tI7is_trueIsEEEEEE10hipError_tPvRmT3_T4_T5_T6_T7_T9_mT8_P12ihipStream_tbDpT10_ENKUlT_T0_E_clISt17integral_constantIbLb0EES17_IbLb1EEEEDaS13_S14_EUlS13_E_NS1_11comp_targetILNS1_3genE8ELNS1_11target_archE1030ELNS1_3gpuE2ELNS1_3repE0EEENS1_30default_config_static_selectorELNS0_4arch9wavefront6targetE0EEEvT1_
; %bb.0:
	.section	.rodata,"a",@progbits
	.p2align	6, 0x0
	.amdhsa_kernel _ZN7rocprim17ROCPRIM_400000_NS6detail17trampoline_kernelINS0_14default_configENS1_25partition_config_selectorILNS1_17partition_subalgoE6EsNS0_10empty_typeEbEEZZNS1_14partition_implILS5_6ELb0ES3_mN6thrust23THRUST_200600_302600_NS6detail15normal_iteratorINSA_10device_ptrIsEEEEPS6_SG_NS0_5tupleIJSF_S6_EEENSH_IJSG_SG_EEES6_PlJNSB_9not_fun_tI7is_trueIsEEEEEE10hipError_tPvRmT3_T4_T5_T6_T7_T9_mT8_P12ihipStream_tbDpT10_ENKUlT_T0_E_clISt17integral_constantIbLb0EES17_IbLb1EEEEDaS13_S14_EUlS13_E_NS1_11comp_targetILNS1_3genE8ELNS1_11target_archE1030ELNS1_3gpuE2ELNS1_3repE0EEENS1_30default_config_static_selectorELNS0_4arch9wavefront6targetE0EEEvT1_
		.amdhsa_group_segment_fixed_size 0
		.amdhsa_private_segment_fixed_size 0
		.amdhsa_kernarg_size 128
		.amdhsa_user_sgpr_count 2
		.amdhsa_user_sgpr_dispatch_ptr 0
		.amdhsa_user_sgpr_queue_ptr 0
		.amdhsa_user_sgpr_kernarg_segment_ptr 1
		.amdhsa_user_sgpr_dispatch_id 0
		.amdhsa_user_sgpr_private_segment_size 0
		.amdhsa_wavefront_size32 1
		.amdhsa_uses_dynamic_stack 0
		.amdhsa_enable_private_segment 0
		.amdhsa_system_sgpr_workgroup_id_x 1
		.amdhsa_system_sgpr_workgroup_id_y 0
		.amdhsa_system_sgpr_workgroup_id_z 0
		.amdhsa_system_sgpr_workgroup_info 0
		.amdhsa_system_vgpr_workitem_id 0
		.amdhsa_next_free_vgpr 1
		.amdhsa_next_free_sgpr 1
		.amdhsa_reserve_vcc 0
		.amdhsa_float_round_mode_32 0
		.amdhsa_float_round_mode_16_64 0
		.amdhsa_float_denorm_mode_32 3
		.amdhsa_float_denorm_mode_16_64 3
		.amdhsa_fp16_overflow 0
		.amdhsa_workgroup_processor_mode 1
		.amdhsa_memory_ordered 1
		.amdhsa_forward_progress 1
		.amdhsa_inst_pref_size 0
		.amdhsa_round_robin_scheduling 0
		.amdhsa_exception_fp_ieee_invalid_op 0
		.amdhsa_exception_fp_denorm_src 0
		.amdhsa_exception_fp_ieee_div_zero 0
		.amdhsa_exception_fp_ieee_overflow 0
		.amdhsa_exception_fp_ieee_underflow 0
		.amdhsa_exception_fp_ieee_inexact 0
		.amdhsa_exception_int_div_zero 0
	.end_amdhsa_kernel
	.section	.text._ZN7rocprim17ROCPRIM_400000_NS6detail17trampoline_kernelINS0_14default_configENS1_25partition_config_selectorILNS1_17partition_subalgoE6EsNS0_10empty_typeEbEEZZNS1_14partition_implILS5_6ELb0ES3_mN6thrust23THRUST_200600_302600_NS6detail15normal_iteratorINSA_10device_ptrIsEEEEPS6_SG_NS0_5tupleIJSF_S6_EEENSH_IJSG_SG_EEES6_PlJNSB_9not_fun_tI7is_trueIsEEEEEE10hipError_tPvRmT3_T4_T5_T6_T7_T9_mT8_P12ihipStream_tbDpT10_ENKUlT_T0_E_clISt17integral_constantIbLb0EES17_IbLb1EEEEDaS13_S14_EUlS13_E_NS1_11comp_targetILNS1_3genE8ELNS1_11target_archE1030ELNS1_3gpuE2ELNS1_3repE0EEENS1_30default_config_static_selectorELNS0_4arch9wavefront6targetE0EEEvT1_,"axG",@progbits,_ZN7rocprim17ROCPRIM_400000_NS6detail17trampoline_kernelINS0_14default_configENS1_25partition_config_selectorILNS1_17partition_subalgoE6EsNS0_10empty_typeEbEEZZNS1_14partition_implILS5_6ELb0ES3_mN6thrust23THRUST_200600_302600_NS6detail15normal_iteratorINSA_10device_ptrIsEEEEPS6_SG_NS0_5tupleIJSF_S6_EEENSH_IJSG_SG_EEES6_PlJNSB_9not_fun_tI7is_trueIsEEEEEE10hipError_tPvRmT3_T4_T5_T6_T7_T9_mT8_P12ihipStream_tbDpT10_ENKUlT_T0_E_clISt17integral_constantIbLb0EES17_IbLb1EEEEDaS13_S14_EUlS13_E_NS1_11comp_targetILNS1_3genE8ELNS1_11target_archE1030ELNS1_3gpuE2ELNS1_3repE0EEENS1_30default_config_static_selectorELNS0_4arch9wavefront6targetE0EEEvT1_,comdat
.Lfunc_end1300:
	.size	_ZN7rocprim17ROCPRIM_400000_NS6detail17trampoline_kernelINS0_14default_configENS1_25partition_config_selectorILNS1_17partition_subalgoE6EsNS0_10empty_typeEbEEZZNS1_14partition_implILS5_6ELb0ES3_mN6thrust23THRUST_200600_302600_NS6detail15normal_iteratorINSA_10device_ptrIsEEEEPS6_SG_NS0_5tupleIJSF_S6_EEENSH_IJSG_SG_EEES6_PlJNSB_9not_fun_tI7is_trueIsEEEEEE10hipError_tPvRmT3_T4_T5_T6_T7_T9_mT8_P12ihipStream_tbDpT10_ENKUlT_T0_E_clISt17integral_constantIbLb0EES17_IbLb1EEEEDaS13_S14_EUlS13_E_NS1_11comp_targetILNS1_3genE8ELNS1_11target_archE1030ELNS1_3gpuE2ELNS1_3repE0EEENS1_30default_config_static_selectorELNS0_4arch9wavefront6targetE0EEEvT1_, .Lfunc_end1300-_ZN7rocprim17ROCPRIM_400000_NS6detail17trampoline_kernelINS0_14default_configENS1_25partition_config_selectorILNS1_17partition_subalgoE6EsNS0_10empty_typeEbEEZZNS1_14partition_implILS5_6ELb0ES3_mN6thrust23THRUST_200600_302600_NS6detail15normal_iteratorINSA_10device_ptrIsEEEEPS6_SG_NS0_5tupleIJSF_S6_EEENSH_IJSG_SG_EEES6_PlJNSB_9not_fun_tI7is_trueIsEEEEEE10hipError_tPvRmT3_T4_T5_T6_T7_T9_mT8_P12ihipStream_tbDpT10_ENKUlT_T0_E_clISt17integral_constantIbLb0EES17_IbLb1EEEEDaS13_S14_EUlS13_E_NS1_11comp_targetILNS1_3genE8ELNS1_11target_archE1030ELNS1_3gpuE2ELNS1_3repE0EEENS1_30default_config_static_selectorELNS0_4arch9wavefront6targetE0EEEvT1_
                                        ; -- End function
	.set _ZN7rocprim17ROCPRIM_400000_NS6detail17trampoline_kernelINS0_14default_configENS1_25partition_config_selectorILNS1_17partition_subalgoE6EsNS0_10empty_typeEbEEZZNS1_14partition_implILS5_6ELb0ES3_mN6thrust23THRUST_200600_302600_NS6detail15normal_iteratorINSA_10device_ptrIsEEEEPS6_SG_NS0_5tupleIJSF_S6_EEENSH_IJSG_SG_EEES6_PlJNSB_9not_fun_tI7is_trueIsEEEEEE10hipError_tPvRmT3_T4_T5_T6_T7_T9_mT8_P12ihipStream_tbDpT10_ENKUlT_T0_E_clISt17integral_constantIbLb0EES17_IbLb1EEEEDaS13_S14_EUlS13_E_NS1_11comp_targetILNS1_3genE8ELNS1_11target_archE1030ELNS1_3gpuE2ELNS1_3repE0EEENS1_30default_config_static_selectorELNS0_4arch9wavefront6targetE0EEEvT1_.num_vgpr, 0
	.set _ZN7rocprim17ROCPRIM_400000_NS6detail17trampoline_kernelINS0_14default_configENS1_25partition_config_selectorILNS1_17partition_subalgoE6EsNS0_10empty_typeEbEEZZNS1_14partition_implILS5_6ELb0ES3_mN6thrust23THRUST_200600_302600_NS6detail15normal_iteratorINSA_10device_ptrIsEEEEPS6_SG_NS0_5tupleIJSF_S6_EEENSH_IJSG_SG_EEES6_PlJNSB_9not_fun_tI7is_trueIsEEEEEE10hipError_tPvRmT3_T4_T5_T6_T7_T9_mT8_P12ihipStream_tbDpT10_ENKUlT_T0_E_clISt17integral_constantIbLb0EES17_IbLb1EEEEDaS13_S14_EUlS13_E_NS1_11comp_targetILNS1_3genE8ELNS1_11target_archE1030ELNS1_3gpuE2ELNS1_3repE0EEENS1_30default_config_static_selectorELNS0_4arch9wavefront6targetE0EEEvT1_.num_agpr, 0
	.set _ZN7rocprim17ROCPRIM_400000_NS6detail17trampoline_kernelINS0_14default_configENS1_25partition_config_selectorILNS1_17partition_subalgoE6EsNS0_10empty_typeEbEEZZNS1_14partition_implILS5_6ELb0ES3_mN6thrust23THRUST_200600_302600_NS6detail15normal_iteratorINSA_10device_ptrIsEEEEPS6_SG_NS0_5tupleIJSF_S6_EEENSH_IJSG_SG_EEES6_PlJNSB_9not_fun_tI7is_trueIsEEEEEE10hipError_tPvRmT3_T4_T5_T6_T7_T9_mT8_P12ihipStream_tbDpT10_ENKUlT_T0_E_clISt17integral_constantIbLb0EES17_IbLb1EEEEDaS13_S14_EUlS13_E_NS1_11comp_targetILNS1_3genE8ELNS1_11target_archE1030ELNS1_3gpuE2ELNS1_3repE0EEENS1_30default_config_static_selectorELNS0_4arch9wavefront6targetE0EEEvT1_.numbered_sgpr, 0
	.set _ZN7rocprim17ROCPRIM_400000_NS6detail17trampoline_kernelINS0_14default_configENS1_25partition_config_selectorILNS1_17partition_subalgoE6EsNS0_10empty_typeEbEEZZNS1_14partition_implILS5_6ELb0ES3_mN6thrust23THRUST_200600_302600_NS6detail15normal_iteratorINSA_10device_ptrIsEEEEPS6_SG_NS0_5tupleIJSF_S6_EEENSH_IJSG_SG_EEES6_PlJNSB_9not_fun_tI7is_trueIsEEEEEE10hipError_tPvRmT3_T4_T5_T6_T7_T9_mT8_P12ihipStream_tbDpT10_ENKUlT_T0_E_clISt17integral_constantIbLb0EES17_IbLb1EEEEDaS13_S14_EUlS13_E_NS1_11comp_targetILNS1_3genE8ELNS1_11target_archE1030ELNS1_3gpuE2ELNS1_3repE0EEENS1_30default_config_static_selectorELNS0_4arch9wavefront6targetE0EEEvT1_.num_named_barrier, 0
	.set _ZN7rocprim17ROCPRIM_400000_NS6detail17trampoline_kernelINS0_14default_configENS1_25partition_config_selectorILNS1_17partition_subalgoE6EsNS0_10empty_typeEbEEZZNS1_14partition_implILS5_6ELb0ES3_mN6thrust23THRUST_200600_302600_NS6detail15normal_iteratorINSA_10device_ptrIsEEEEPS6_SG_NS0_5tupleIJSF_S6_EEENSH_IJSG_SG_EEES6_PlJNSB_9not_fun_tI7is_trueIsEEEEEE10hipError_tPvRmT3_T4_T5_T6_T7_T9_mT8_P12ihipStream_tbDpT10_ENKUlT_T0_E_clISt17integral_constantIbLb0EES17_IbLb1EEEEDaS13_S14_EUlS13_E_NS1_11comp_targetILNS1_3genE8ELNS1_11target_archE1030ELNS1_3gpuE2ELNS1_3repE0EEENS1_30default_config_static_selectorELNS0_4arch9wavefront6targetE0EEEvT1_.private_seg_size, 0
	.set _ZN7rocprim17ROCPRIM_400000_NS6detail17trampoline_kernelINS0_14default_configENS1_25partition_config_selectorILNS1_17partition_subalgoE6EsNS0_10empty_typeEbEEZZNS1_14partition_implILS5_6ELb0ES3_mN6thrust23THRUST_200600_302600_NS6detail15normal_iteratorINSA_10device_ptrIsEEEEPS6_SG_NS0_5tupleIJSF_S6_EEENSH_IJSG_SG_EEES6_PlJNSB_9not_fun_tI7is_trueIsEEEEEE10hipError_tPvRmT3_T4_T5_T6_T7_T9_mT8_P12ihipStream_tbDpT10_ENKUlT_T0_E_clISt17integral_constantIbLb0EES17_IbLb1EEEEDaS13_S14_EUlS13_E_NS1_11comp_targetILNS1_3genE8ELNS1_11target_archE1030ELNS1_3gpuE2ELNS1_3repE0EEENS1_30default_config_static_selectorELNS0_4arch9wavefront6targetE0EEEvT1_.uses_vcc, 0
	.set _ZN7rocprim17ROCPRIM_400000_NS6detail17trampoline_kernelINS0_14default_configENS1_25partition_config_selectorILNS1_17partition_subalgoE6EsNS0_10empty_typeEbEEZZNS1_14partition_implILS5_6ELb0ES3_mN6thrust23THRUST_200600_302600_NS6detail15normal_iteratorINSA_10device_ptrIsEEEEPS6_SG_NS0_5tupleIJSF_S6_EEENSH_IJSG_SG_EEES6_PlJNSB_9not_fun_tI7is_trueIsEEEEEE10hipError_tPvRmT3_T4_T5_T6_T7_T9_mT8_P12ihipStream_tbDpT10_ENKUlT_T0_E_clISt17integral_constantIbLb0EES17_IbLb1EEEEDaS13_S14_EUlS13_E_NS1_11comp_targetILNS1_3genE8ELNS1_11target_archE1030ELNS1_3gpuE2ELNS1_3repE0EEENS1_30default_config_static_selectorELNS0_4arch9wavefront6targetE0EEEvT1_.uses_flat_scratch, 0
	.set _ZN7rocprim17ROCPRIM_400000_NS6detail17trampoline_kernelINS0_14default_configENS1_25partition_config_selectorILNS1_17partition_subalgoE6EsNS0_10empty_typeEbEEZZNS1_14partition_implILS5_6ELb0ES3_mN6thrust23THRUST_200600_302600_NS6detail15normal_iteratorINSA_10device_ptrIsEEEEPS6_SG_NS0_5tupleIJSF_S6_EEENSH_IJSG_SG_EEES6_PlJNSB_9not_fun_tI7is_trueIsEEEEEE10hipError_tPvRmT3_T4_T5_T6_T7_T9_mT8_P12ihipStream_tbDpT10_ENKUlT_T0_E_clISt17integral_constantIbLb0EES17_IbLb1EEEEDaS13_S14_EUlS13_E_NS1_11comp_targetILNS1_3genE8ELNS1_11target_archE1030ELNS1_3gpuE2ELNS1_3repE0EEENS1_30default_config_static_selectorELNS0_4arch9wavefront6targetE0EEEvT1_.has_dyn_sized_stack, 0
	.set _ZN7rocprim17ROCPRIM_400000_NS6detail17trampoline_kernelINS0_14default_configENS1_25partition_config_selectorILNS1_17partition_subalgoE6EsNS0_10empty_typeEbEEZZNS1_14partition_implILS5_6ELb0ES3_mN6thrust23THRUST_200600_302600_NS6detail15normal_iteratorINSA_10device_ptrIsEEEEPS6_SG_NS0_5tupleIJSF_S6_EEENSH_IJSG_SG_EEES6_PlJNSB_9not_fun_tI7is_trueIsEEEEEE10hipError_tPvRmT3_T4_T5_T6_T7_T9_mT8_P12ihipStream_tbDpT10_ENKUlT_T0_E_clISt17integral_constantIbLb0EES17_IbLb1EEEEDaS13_S14_EUlS13_E_NS1_11comp_targetILNS1_3genE8ELNS1_11target_archE1030ELNS1_3gpuE2ELNS1_3repE0EEENS1_30default_config_static_selectorELNS0_4arch9wavefront6targetE0EEEvT1_.has_recursion, 0
	.set _ZN7rocprim17ROCPRIM_400000_NS6detail17trampoline_kernelINS0_14default_configENS1_25partition_config_selectorILNS1_17partition_subalgoE6EsNS0_10empty_typeEbEEZZNS1_14partition_implILS5_6ELb0ES3_mN6thrust23THRUST_200600_302600_NS6detail15normal_iteratorINSA_10device_ptrIsEEEEPS6_SG_NS0_5tupleIJSF_S6_EEENSH_IJSG_SG_EEES6_PlJNSB_9not_fun_tI7is_trueIsEEEEEE10hipError_tPvRmT3_T4_T5_T6_T7_T9_mT8_P12ihipStream_tbDpT10_ENKUlT_T0_E_clISt17integral_constantIbLb0EES17_IbLb1EEEEDaS13_S14_EUlS13_E_NS1_11comp_targetILNS1_3genE8ELNS1_11target_archE1030ELNS1_3gpuE2ELNS1_3repE0EEENS1_30default_config_static_selectorELNS0_4arch9wavefront6targetE0EEEvT1_.has_indirect_call, 0
	.section	.AMDGPU.csdata,"",@progbits
; Kernel info:
; codeLenInByte = 0
; TotalNumSgprs: 0
; NumVgprs: 0
; ScratchSize: 0
; MemoryBound: 0
; FloatMode: 240
; IeeeMode: 1
; LDSByteSize: 0 bytes/workgroup (compile time only)
; SGPRBlocks: 0
; VGPRBlocks: 0
; NumSGPRsForWavesPerEU: 1
; NumVGPRsForWavesPerEU: 1
; Occupancy: 16
; WaveLimiterHint : 0
; COMPUTE_PGM_RSRC2:SCRATCH_EN: 0
; COMPUTE_PGM_RSRC2:USER_SGPR: 2
; COMPUTE_PGM_RSRC2:TRAP_HANDLER: 0
; COMPUTE_PGM_RSRC2:TGID_X_EN: 1
; COMPUTE_PGM_RSRC2:TGID_Y_EN: 0
; COMPUTE_PGM_RSRC2:TGID_Z_EN: 0
; COMPUTE_PGM_RSRC2:TIDIG_COMP_CNT: 0
	.section	.text._ZN6thrust23THRUST_200600_302600_NS11hip_rocprim14__parallel_for6kernelILj256ENS1_11__transform17unary_transform_fINS0_7pointerIbNS1_3tagENS0_11use_defaultES8_EENS0_10device_ptrIdEENS4_14no_stencil_tagENS0_8identityIbEENS4_21always_true_predicateEEElLj1EEEvT0_T1_SI_,"axG",@progbits,_ZN6thrust23THRUST_200600_302600_NS11hip_rocprim14__parallel_for6kernelILj256ENS1_11__transform17unary_transform_fINS0_7pointerIbNS1_3tagENS0_11use_defaultES8_EENS0_10device_ptrIdEENS4_14no_stencil_tagENS0_8identityIbEENS4_21always_true_predicateEEElLj1EEEvT0_T1_SI_,comdat
	.protected	_ZN6thrust23THRUST_200600_302600_NS11hip_rocprim14__parallel_for6kernelILj256ENS1_11__transform17unary_transform_fINS0_7pointerIbNS1_3tagENS0_11use_defaultES8_EENS0_10device_ptrIdEENS4_14no_stencil_tagENS0_8identityIbEENS4_21always_true_predicateEEElLj1EEEvT0_T1_SI_ ; -- Begin function _ZN6thrust23THRUST_200600_302600_NS11hip_rocprim14__parallel_for6kernelILj256ENS1_11__transform17unary_transform_fINS0_7pointerIbNS1_3tagENS0_11use_defaultES8_EENS0_10device_ptrIdEENS4_14no_stencil_tagENS0_8identityIbEENS4_21always_true_predicateEEElLj1EEEvT0_T1_SI_
	.globl	_ZN6thrust23THRUST_200600_302600_NS11hip_rocprim14__parallel_for6kernelILj256ENS1_11__transform17unary_transform_fINS0_7pointerIbNS1_3tagENS0_11use_defaultES8_EENS0_10device_ptrIdEENS4_14no_stencil_tagENS0_8identityIbEENS4_21always_true_predicateEEElLj1EEEvT0_T1_SI_
	.p2align	8
	.type	_ZN6thrust23THRUST_200600_302600_NS11hip_rocprim14__parallel_for6kernelILj256ENS1_11__transform17unary_transform_fINS0_7pointerIbNS1_3tagENS0_11use_defaultES8_EENS0_10device_ptrIdEENS4_14no_stencil_tagENS0_8identityIbEENS4_21always_true_predicateEEElLj1EEEvT0_T1_SI_,@function
_ZN6thrust23THRUST_200600_302600_NS11hip_rocprim14__parallel_for6kernelILj256ENS1_11__transform17unary_transform_fINS0_7pointerIbNS1_3tagENS0_11use_defaultES8_EENS0_10device_ptrIdEENS4_14no_stencil_tagENS0_8identityIbEENS4_21always_true_predicateEEElLj1EEEvT0_T1_SI_: ; @_ZN6thrust23THRUST_200600_302600_NS11hip_rocprim14__parallel_for6kernelILj256ENS1_11__transform17unary_transform_fINS0_7pointerIbNS1_3tagENS0_11use_defaultES8_EENS0_10device_ptrIdEENS4_14no_stencil_tagENS0_8identityIbEENS4_21always_true_predicateEEElLj1EEEvT0_T1_SI_
; %bb.0:
	s_clause 0x1
	s_load_b128 s[8:11], s[0:1], 0x18
	s_load_b128 s[0:3], s[0:1], 0x0
	s_lshl_b32 s4, ttmp9, 8
	s_mov_b32 s5, 0
	s_wait_kmcnt 0x0
	s_add_nc_u64 s[4:5], s[10:11], s[4:5]
	s_delay_alu instid0(SALU_CYCLE_1) | instskip(NEXT) | instid1(SALU_CYCLE_1)
	s_sub_nc_u64 s[6:7], s[8:9], s[4:5]
	v_cmp_gt_i64_e64 s7, 0x100, s[6:7]
	s_and_b32 s7, s7, exec_lo
	s_cselect_b32 s7, s6, 0x100
	s_mov_b32 s6, -1
	s_wait_alu 0xfffe
	s_cmp_eq_u32 s7, 0x100
	s_cbranch_scc0 .LBB1301_3
; %bb.1:
	s_and_not1_b32 vcc_lo, exec_lo, s6
	s_cbranch_vccz .LBB1301_6
.LBB1301_2:
	s_endpgm
.LBB1301_3:
	s_mov_b32 s6, exec_lo
	v_cmpx_gt_u32_e64 s7, v0
	s_cbranch_execz .LBB1301_5
; %bb.4:
	v_add_co_u32 v1, s7, s4, v0
	s_wait_alu 0xf1ff
	v_add_co_ci_u32_e64 v2, null, s5, 0, s7
	s_delay_alu instid0(VALU_DEP_2) | instskip(NEXT) | instid1(VALU_DEP_1)
	v_add_co_u32 v3, vcc_lo, s0, v1
	v_add_co_ci_u32_e64 v4, null, s1, v2, vcc_lo
	v_lshlrev_b64_e32 v[1:2], 3, v[1:2]
	flat_load_u8 v3, v[3:4]
	s_wait_loadcnt_dscnt 0x0
	v_and_b32_e32 v3, 1, v3
	s_delay_alu instid0(VALU_DEP_1)
	v_cmp_eq_u32_e32 vcc_lo, 1, v3
	s_wait_alu 0xfffd
	v_cndmask_b32_e64 v3, 0, 1, vcc_lo
	v_add_co_u32 v1, vcc_lo, s2, v1
	s_wait_alu 0xfffd
	v_add_co_ci_u32_e64 v2, null, s3, v2, vcc_lo
	s_delay_alu instid0(VALU_DEP_3)
	v_cvt_f64_u32_e32 v[3:4], v3
	flat_store_b64 v[1:2], v[3:4]
.LBB1301_5:
	s_wait_alu 0xfffe
	s_or_b32 exec_lo, exec_lo, s6
	s_cbranch_execnz .LBB1301_2
.LBB1301_6:
	v_add_co_u32 v0, s4, s4, v0
	s_wait_alu 0xf1ff
	v_add_co_ci_u32_e64 v1, null, s5, 0, s4
	s_delay_alu instid0(VALU_DEP_2) | instskip(SKIP_1) | instid1(VALU_DEP_2)
	v_add_co_u32 v2, vcc_lo, s0, v0
	s_wait_alu 0xfffd
	v_add_co_ci_u32_e64 v3, null, s1, v1, vcc_lo
	v_lshlrev_b64_e32 v[0:1], 3, v[0:1]
	flat_load_u8 v2, v[2:3]
	s_wait_loadcnt_dscnt 0x0
	v_and_b32_e32 v2, 1, v2
	s_delay_alu instid0(VALU_DEP_1)
	v_cmp_eq_u32_e32 vcc_lo, 1, v2
	s_wait_alu 0xfffd
	v_cndmask_b32_e64 v2, 0, 1, vcc_lo
	v_add_co_u32 v0, vcc_lo, s2, v0
	s_wait_alu 0xfffd
	v_add_co_ci_u32_e64 v1, null, s3, v1, vcc_lo
	s_delay_alu instid0(VALU_DEP_3)
	v_cvt_f64_u32_e32 v[2:3], v2
	flat_store_b64 v[0:1], v[2:3]
	s_endpgm
	.section	.rodata,"a",@progbits
	.p2align	6, 0x0
	.amdhsa_kernel _ZN6thrust23THRUST_200600_302600_NS11hip_rocprim14__parallel_for6kernelILj256ENS1_11__transform17unary_transform_fINS0_7pointerIbNS1_3tagENS0_11use_defaultES8_EENS0_10device_ptrIdEENS4_14no_stencil_tagENS0_8identityIbEENS4_21always_true_predicateEEElLj1EEEvT0_T1_SI_
		.amdhsa_group_segment_fixed_size 0
		.amdhsa_private_segment_fixed_size 0
		.amdhsa_kernarg_size 40
		.amdhsa_user_sgpr_count 2
		.amdhsa_user_sgpr_dispatch_ptr 0
		.amdhsa_user_sgpr_queue_ptr 0
		.amdhsa_user_sgpr_kernarg_segment_ptr 1
		.amdhsa_user_sgpr_dispatch_id 0
		.amdhsa_user_sgpr_private_segment_size 0
		.amdhsa_wavefront_size32 1
		.amdhsa_uses_dynamic_stack 0
		.amdhsa_enable_private_segment 0
		.amdhsa_system_sgpr_workgroup_id_x 1
		.amdhsa_system_sgpr_workgroup_id_y 0
		.amdhsa_system_sgpr_workgroup_id_z 0
		.amdhsa_system_sgpr_workgroup_info 0
		.amdhsa_system_vgpr_workitem_id 0
		.amdhsa_next_free_vgpr 5
		.amdhsa_next_free_sgpr 12
		.amdhsa_reserve_vcc 1
		.amdhsa_float_round_mode_32 0
		.amdhsa_float_round_mode_16_64 0
		.amdhsa_float_denorm_mode_32 3
		.amdhsa_float_denorm_mode_16_64 3
		.amdhsa_fp16_overflow 0
		.amdhsa_workgroup_processor_mode 1
		.amdhsa_memory_ordered 1
		.amdhsa_forward_progress 1
		.amdhsa_inst_pref_size 3
		.amdhsa_round_robin_scheduling 0
		.amdhsa_exception_fp_ieee_invalid_op 0
		.amdhsa_exception_fp_denorm_src 0
		.amdhsa_exception_fp_ieee_div_zero 0
		.amdhsa_exception_fp_ieee_overflow 0
		.amdhsa_exception_fp_ieee_underflow 0
		.amdhsa_exception_fp_ieee_inexact 0
		.amdhsa_exception_int_div_zero 0
	.end_amdhsa_kernel
	.section	.text._ZN6thrust23THRUST_200600_302600_NS11hip_rocprim14__parallel_for6kernelILj256ENS1_11__transform17unary_transform_fINS0_7pointerIbNS1_3tagENS0_11use_defaultES8_EENS0_10device_ptrIdEENS4_14no_stencil_tagENS0_8identityIbEENS4_21always_true_predicateEEElLj1EEEvT0_T1_SI_,"axG",@progbits,_ZN6thrust23THRUST_200600_302600_NS11hip_rocprim14__parallel_for6kernelILj256ENS1_11__transform17unary_transform_fINS0_7pointerIbNS1_3tagENS0_11use_defaultES8_EENS0_10device_ptrIdEENS4_14no_stencil_tagENS0_8identityIbEENS4_21always_true_predicateEEElLj1EEEvT0_T1_SI_,comdat
.Lfunc_end1301:
	.size	_ZN6thrust23THRUST_200600_302600_NS11hip_rocprim14__parallel_for6kernelILj256ENS1_11__transform17unary_transform_fINS0_7pointerIbNS1_3tagENS0_11use_defaultES8_EENS0_10device_ptrIdEENS4_14no_stencil_tagENS0_8identityIbEENS4_21always_true_predicateEEElLj1EEEvT0_T1_SI_, .Lfunc_end1301-_ZN6thrust23THRUST_200600_302600_NS11hip_rocprim14__parallel_for6kernelILj256ENS1_11__transform17unary_transform_fINS0_7pointerIbNS1_3tagENS0_11use_defaultES8_EENS0_10device_ptrIdEENS4_14no_stencil_tagENS0_8identityIbEENS4_21always_true_predicateEEElLj1EEEvT0_T1_SI_
                                        ; -- End function
	.set _ZN6thrust23THRUST_200600_302600_NS11hip_rocprim14__parallel_for6kernelILj256ENS1_11__transform17unary_transform_fINS0_7pointerIbNS1_3tagENS0_11use_defaultES8_EENS0_10device_ptrIdEENS4_14no_stencil_tagENS0_8identityIbEENS4_21always_true_predicateEEElLj1EEEvT0_T1_SI_.num_vgpr, 5
	.set _ZN6thrust23THRUST_200600_302600_NS11hip_rocprim14__parallel_for6kernelILj256ENS1_11__transform17unary_transform_fINS0_7pointerIbNS1_3tagENS0_11use_defaultES8_EENS0_10device_ptrIdEENS4_14no_stencil_tagENS0_8identityIbEENS4_21always_true_predicateEEElLj1EEEvT0_T1_SI_.num_agpr, 0
	.set _ZN6thrust23THRUST_200600_302600_NS11hip_rocprim14__parallel_for6kernelILj256ENS1_11__transform17unary_transform_fINS0_7pointerIbNS1_3tagENS0_11use_defaultES8_EENS0_10device_ptrIdEENS4_14no_stencil_tagENS0_8identityIbEENS4_21always_true_predicateEEElLj1EEEvT0_T1_SI_.numbered_sgpr, 12
	.set _ZN6thrust23THRUST_200600_302600_NS11hip_rocprim14__parallel_for6kernelILj256ENS1_11__transform17unary_transform_fINS0_7pointerIbNS1_3tagENS0_11use_defaultES8_EENS0_10device_ptrIdEENS4_14no_stencil_tagENS0_8identityIbEENS4_21always_true_predicateEEElLj1EEEvT0_T1_SI_.num_named_barrier, 0
	.set _ZN6thrust23THRUST_200600_302600_NS11hip_rocprim14__parallel_for6kernelILj256ENS1_11__transform17unary_transform_fINS0_7pointerIbNS1_3tagENS0_11use_defaultES8_EENS0_10device_ptrIdEENS4_14no_stencil_tagENS0_8identityIbEENS4_21always_true_predicateEEElLj1EEEvT0_T1_SI_.private_seg_size, 0
	.set _ZN6thrust23THRUST_200600_302600_NS11hip_rocprim14__parallel_for6kernelILj256ENS1_11__transform17unary_transform_fINS0_7pointerIbNS1_3tagENS0_11use_defaultES8_EENS0_10device_ptrIdEENS4_14no_stencil_tagENS0_8identityIbEENS4_21always_true_predicateEEElLj1EEEvT0_T1_SI_.uses_vcc, 1
	.set _ZN6thrust23THRUST_200600_302600_NS11hip_rocprim14__parallel_for6kernelILj256ENS1_11__transform17unary_transform_fINS0_7pointerIbNS1_3tagENS0_11use_defaultES8_EENS0_10device_ptrIdEENS4_14no_stencil_tagENS0_8identityIbEENS4_21always_true_predicateEEElLj1EEEvT0_T1_SI_.uses_flat_scratch, 0
	.set _ZN6thrust23THRUST_200600_302600_NS11hip_rocprim14__parallel_for6kernelILj256ENS1_11__transform17unary_transform_fINS0_7pointerIbNS1_3tagENS0_11use_defaultES8_EENS0_10device_ptrIdEENS4_14no_stencil_tagENS0_8identityIbEENS4_21always_true_predicateEEElLj1EEEvT0_T1_SI_.has_dyn_sized_stack, 0
	.set _ZN6thrust23THRUST_200600_302600_NS11hip_rocprim14__parallel_for6kernelILj256ENS1_11__transform17unary_transform_fINS0_7pointerIbNS1_3tagENS0_11use_defaultES8_EENS0_10device_ptrIdEENS4_14no_stencil_tagENS0_8identityIbEENS4_21always_true_predicateEEElLj1EEEvT0_T1_SI_.has_recursion, 0
	.set _ZN6thrust23THRUST_200600_302600_NS11hip_rocprim14__parallel_for6kernelILj256ENS1_11__transform17unary_transform_fINS0_7pointerIbNS1_3tagENS0_11use_defaultES8_EENS0_10device_ptrIdEENS4_14no_stencil_tagENS0_8identityIbEENS4_21always_true_predicateEEElLj1EEEvT0_T1_SI_.has_indirect_call, 0
	.section	.AMDGPU.csdata,"",@progbits
; Kernel info:
; codeLenInByte = 384
; TotalNumSgprs: 14
; NumVgprs: 5
; ScratchSize: 0
; MemoryBound: 0
; FloatMode: 240
; IeeeMode: 1
; LDSByteSize: 0 bytes/workgroup (compile time only)
; SGPRBlocks: 0
; VGPRBlocks: 0
; NumSGPRsForWavesPerEU: 14
; NumVGPRsForWavesPerEU: 5
; Occupancy: 16
; WaveLimiterHint : 0
; COMPUTE_PGM_RSRC2:SCRATCH_EN: 0
; COMPUTE_PGM_RSRC2:USER_SGPR: 2
; COMPUTE_PGM_RSRC2:TRAP_HANDLER: 0
; COMPUTE_PGM_RSRC2:TGID_X_EN: 1
; COMPUTE_PGM_RSRC2:TGID_Y_EN: 0
; COMPUTE_PGM_RSRC2:TGID_Z_EN: 0
; COMPUTE_PGM_RSRC2:TIDIG_COMP_CNT: 0
	.section	.text._ZN7rocprim17ROCPRIM_400000_NS6detail17trampoline_kernelINS0_14default_configENS1_25partition_config_selectorILNS1_17partition_subalgoE5EdNS0_10empty_typeEbEEZZNS1_14partition_implILS5_5ELb0ES3_mN6thrust23THRUST_200600_302600_NS6detail15normal_iteratorINSA_10device_ptrIdEEEEPS6_NSA_18transform_iteratorINSB_9not_fun_tI7is_trueIdEEESF_NSA_11use_defaultESM_EENS0_5tupleIJSF_S6_EEENSO_IJSG_SG_EEES6_PlJS6_EEE10hipError_tPvRmT3_T4_T5_T6_T7_T9_mT8_P12ihipStream_tbDpT10_ENKUlT_T0_E_clISt17integral_constantIbLb0EES1B_EEDaS16_S17_EUlS16_E_NS1_11comp_targetILNS1_3genE0ELNS1_11target_archE4294967295ELNS1_3gpuE0ELNS1_3repE0EEENS1_30default_config_static_selectorELNS0_4arch9wavefront6targetE0EEEvT1_,"axG",@progbits,_ZN7rocprim17ROCPRIM_400000_NS6detail17trampoline_kernelINS0_14default_configENS1_25partition_config_selectorILNS1_17partition_subalgoE5EdNS0_10empty_typeEbEEZZNS1_14partition_implILS5_5ELb0ES3_mN6thrust23THRUST_200600_302600_NS6detail15normal_iteratorINSA_10device_ptrIdEEEEPS6_NSA_18transform_iteratorINSB_9not_fun_tI7is_trueIdEEESF_NSA_11use_defaultESM_EENS0_5tupleIJSF_S6_EEENSO_IJSG_SG_EEES6_PlJS6_EEE10hipError_tPvRmT3_T4_T5_T6_T7_T9_mT8_P12ihipStream_tbDpT10_ENKUlT_T0_E_clISt17integral_constantIbLb0EES1B_EEDaS16_S17_EUlS16_E_NS1_11comp_targetILNS1_3genE0ELNS1_11target_archE4294967295ELNS1_3gpuE0ELNS1_3repE0EEENS1_30default_config_static_selectorELNS0_4arch9wavefront6targetE0EEEvT1_,comdat
	.protected	_ZN7rocprim17ROCPRIM_400000_NS6detail17trampoline_kernelINS0_14default_configENS1_25partition_config_selectorILNS1_17partition_subalgoE5EdNS0_10empty_typeEbEEZZNS1_14partition_implILS5_5ELb0ES3_mN6thrust23THRUST_200600_302600_NS6detail15normal_iteratorINSA_10device_ptrIdEEEEPS6_NSA_18transform_iteratorINSB_9not_fun_tI7is_trueIdEEESF_NSA_11use_defaultESM_EENS0_5tupleIJSF_S6_EEENSO_IJSG_SG_EEES6_PlJS6_EEE10hipError_tPvRmT3_T4_T5_T6_T7_T9_mT8_P12ihipStream_tbDpT10_ENKUlT_T0_E_clISt17integral_constantIbLb0EES1B_EEDaS16_S17_EUlS16_E_NS1_11comp_targetILNS1_3genE0ELNS1_11target_archE4294967295ELNS1_3gpuE0ELNS1_3repE0EEENS1_30default_config_static_selectorELNS0_4arch9wavefront6targetE0EEEvT1_ ; -- Begin function _ZN7rocprim17ROCPRIM_400000_NS6detail17trampoline_kernelINS0_14default_configENS1_25partition_config_selectorILNS1_17partition_subalgoE5EdNS0_10empty_typeEbEEZZNS1_14partition_implILS5_5ELb0ES3_mN6thrust23THRUST_200600_302600_NS6detail15normal_iteratorINSA_10device_ptrIdEEEEPS6_NSA_18transform_iteratorINSB_9not_fun_tI7is_trueIdEEESF_NSA_11use_defaultESM_EENS0_5tupleIJSF_S6_EEENSO_IJSG_SG_EEES6_PlJS6_EEE10hipError_tPvRmT3_T4_T5_T6_T7_T9_mT8_P12ihipStream_tbDpT10_ENKUlT_T0_E_clISt17integral_constantIbLb0EES1B_EEDaS16_S17_EUlS16_E_NS1_11comp_targetILNS1_3genE0ELNS1_11target_archE4294967295ELNS1_3gpuE0ELNS1_3repE0EEENS1_30default_config_static_selectorELNS0_4arch9wavefront6targetE0EEEvT1_
	.globl	_ZN7rocprim17ROCPRIM_400000_NS6detail17trampoline_kernelINS0_14default_configENS1_25partition_config_selectorILNS1_17partition_subalgoE5EdNS0_10empty_typeEbEEZZNS1_14partition_implILS5_5ELb0ES3_mN6thrust23THRUST_200600_302600_NS6detail15normal_iteratorINSA_10device_ptrIdEEEEPS6_NSA_18transform_iteratorINSB_9not_fun_tI7is_trueIdEEESF_NSA_11use_defaultESM_EENS0_5tupleIJSF_S6_EEENSO_IJSG_SG_EEES6_PlJS6_EEE10hipError_tPvRmT3_T4_T5_T6_T7_T9_mT8_P12ihipStream_tbDpT10_ENKUlT_T0_E_clISt17integral_constantIbLb0EES1B_EEDaS16_S17_EUlS16_E_NS1_11comp_targetILNS1_3genE0ELNS1_11target_archE4294967295ELNS1_3gpuE0ELNS1_3repE0EEENS1_30default_config_static_selectorELNS0_4arch9wavefront6targetE0EEEvT1_
	.p2align	8
	.type	_ZN7rocprim17ROCPRIM_400000_NS6detail17trampoline_kernelINS0_14default_configENS1_25partition_config_selectorILNS1_17partition_subalgoE5EdNS0_10empty_typeEbEEZZNS1_14partition_implILS5_5ELb0ES3_mN6thrust23THRUST_200600_302600_NS6detail15normal_iteratorINSA_10device_ptrIdEEEEPS6_NSA_18transform_iteratorINSB_9not_fun_tI7is_trueIdEEESF_NSA_11use_defaultESM_EENS0_5tupleIJSF_S6_EEENSO_IJSG_SG_EEES6_PlJS6_EEE10hipError_tPvRmT3_T4_T5_T6_T7_T9_mT8_P12ihipStream_tbDpT10_ENKUlT_T0_E_clISt17integral_constantIbLb0EES1B_EEDaS16_S17_EUlS16_E_NS1_11comp_targetILNS1_3genE0ELNS1_11target_archE4294967295ELNS1_3gpuE0ELNS1_3repE0EEENS1_30default_config_static_selectorELNS0_4arch9wavefront6targetE0EEEvT1_,@function
_ZN7rocprim17ROCPRIM_400000_NS6detail17trampoline_kernelINS0_14default_configENS1_25partition_config_selectorILNS1_17partition_subalgoE5EdNS0_10empty_typeEbEEZZNS1_14partition_implILS5_5ELb0ES3_mN6thrust23THRUST_200600_302600_NS6detail15normal_iteratorINSA_10device_ptrIdEEEEPS6_NSA_18transform_iteratorINSB_9not_fun_tI7is_trueIdEEESF_NSA_11use_defaultESM_EENS0_5tupleIJSF_S6_EEENSO_IJSG_SG_EEES6_PlJS6_EEE10hipError_tPvRmT3_T4_T5_T6_T7_T9_mT8_P12ihipStream_tbDpT10_ENKUlT_T0_E_clISt17integral_constantIbLb0EES1B_EEDaS16_S17_EUlS16_E_NS1_11comp_targetILNS1_3genE0ELNS1_11target_archE4294967295ELNS1_3gpuE0ELNS1_3repE0EEENS1_30default_config_static_selectorELNS0_4arch9wavefront6targetE0EEEvT1_: ; @_ZN7rocprim17ROCPRIM_400000_NS6detail17trampoline_kernelINS0_14default_configENS1_25partition_config_selectorILNS1_17partition_subalgoE5EdNS0_10empty_typeEbEEZZNS1_14partition_implILS5_5ELb0ES3_mN6thrust23THRUST_200600_302600_NS6detail15normal_iteratorINSA_10device_ptrIdEEEEPS6_NSA_18transform_iteratorINSB_9not_fun_tI7is_trueIdEEESF_NSA_11use_defaultESM_EENS0_5tupleIJSF_S6_EEENSO_IJSG_SG_EEES6_PlJS6_EEE10hipError_tPvRmT3_T4_T5_T6_T7_T9_mT8_P12ihipStream_tbDpT10_ENKUlT_T0_E_clISt17integral_constantIbLb0EES1B_EEDaS16_S17_EUlS16_E_NS1_11comp_targetILNS1_3genE0ELNS1_11target_archE4294967295ELNS1_3gpuE0ELNS1_3repE0EEENS1_30default_config_static_selectorELNS0_4arch9wavefront6targetE0EEEvT1_
; %bb.0:
	.section	.rodata,"a",@progbits
	.p2align	6, 0x0
	.amdhsa_kernel _ZN7rocprim17ROCPRIM_400000_NS6detail17trampoline_kernelINS0_14default_configENS1_25partition_config_selectorILNS1_17partition_subalgoE5EdNS0_10empty_typeEbEEZZNS1_14partition_implILS5_5ELb0ES3_mN6thrust23THRUST_200600_302600_NS6detail15normal_iteratorINSA_10device_ptrIdEEEEPS6_NSA_18transform_iteratorINSB_9not_fun_tI7is_trueIdEEESF_NSA_11use_defaultESM_EENS0_5tupleIJSF_S6_EEENSO_IJSG_SG_EEES6_PlJS6_EEE10hipError_tPvRmT3_T4_T5_T6_T7_T9_mT8_P12ihipStream_tbDpT10_ENKUlT_T0_E_clISt17integral_constantIbLb0EES1B_EEDaS16_S17_EUlS16_E_NS1_11comp_targetILNS1_3genE0ELNS1_11target_archE4294967295ELNS1_3gpuE0ELNS1_3repE0EEENS1_30default_config_static_selectorELNS0_4arch9wavefront6targetE0EEEvT1_
		.amdhsa_group_segment_fixed_size 0
		.amdhsa_private_segment_fixed_size 0
		.amdhsa_kernarg_size 120
		.amdhsa_user_sgpr_count 2
		.amdhsa_user_sgpr_dispatch_ptr 0
		.amdhsa_user_sgpr_queue_ptr 0
		.amdhsa_user_sgpr_kernarg_segment_ptr 1
		.amdhsa_user_sgpr_dispatch_id 0
		.amdhsa_user_sgpr_private_segment_size 0
		.amdhsa_wavefront_size32 1
		.amdhsa_uses_dynamic_stack 0
		.amdhsa_enable_private_segment 0
		.amdhsa_system_sgpr_workgroup_id_x 1
		.amdhsa_system_sgpr_workgroup_id_y 0
		.amdhsa_system_sgpr_workgroup_id_z 0
		.amdhsa_system_sgpr_workgroup_info 0
		.amdhsa_system_vgpr_workitem_id 0
		.amdhsa_next_free_vgpr 1
		.amdhsa_next_free_sgpr 1
		.amdhsa_reserve_vcc 0
		.amdhsa_float_round_mode_32 0
		.amdhsa_float_round_mode_16_64 0
		.amdhsa_float_denorm_mode_32 3
		.amdhsa_float_denorm_mode_16_64 3
		.amdhsa_fp16_overflow 0
		.amdhsa_workgroup_processor_mode 1
		.amdhsa_memory_ordered 1
		.amdhsa_forward_progress 1
		.amdhsa_inst_pref_size 0
		.amdhsa_round_robin_scheduling 0
		.amdhsa_exception_fp_ieee_invalid_op 0
		.amdhsa_exception_fp_denorm_src 0
		.amdhsa_exception_fp_ieee_div_zero 0
		.amdhsa_exception_fp_ieee_overflow 0
		.amdhsa_exception_fp_ieee_underflow 0
		.amdhsa_exception_fp_ieee_inexact 0
		.amdhsa_exception_int_div_zero 0
	.end_amdhsa_kernel
	.section	.text._ZN7rocprim17ROCPRIM_400000_NS6detail17trampoline_kernelINS0_14default_configENS1_25partition_config_selectorILNS1_17partition_subalgoE5EdNS0_10empty_typeEbEEZZNS1_14partition_implILS5_5ELb0ES3_mN6thrust23THRUST_200600_302600_NS6detail15normal_iteratorINSA_10device_ptrIdEEEEPS6_NSA_18transform_iteratorINSB_9not_fun_tI7is_trueIdEEESF_NSA_11use_defaultESM_EENS0_5tupleIJSF_S6_EEENSO_IJSG_SG_EEES6_PlJS6_EEE10hipError_tPvRmT3_T4_T5_T6_T7_T9_mT8_P12ihipStream_tbDpT10_ENKUlT_T0_E_clISt17integral_constantIbLb0EES1B_EEDaS16_S17_EUlS16_E_NS1_11comp_targetILNS1_3genE0ELNS1_11target_archE4294967295ELNS1_3gpuE0ELNS1_3repE0EEENS1_30default_config_static_selectorELNS0_4arch9wavefront6targetE0EEEvT1_,"axG",@progbits,_ZN7rocprim17ROCPRIM_400000_NS6detail17trampoline_kernelINS0_14default_configENS1_25partition_config_selectorILNS1_17partition_subalgoE5EdNS0_10empty_typeEbEEZZNS1_14partition_implILS5_5ELb0ES3_mN6thrust23THRUST_200600_302600_NS6detail15normal_iteratorINSA_10device_ptrIdEEEEPS6_NSA_18transform_iteratorINSB_9not_fun_tI7is_trueIdEEESF_NSA_11use_defaultESM_EENS0_5tupleIJSF_S6_EEENSO_IJSG_SG_EEES6_PlJS6_EEE10hipError_tPvRmT3_T4_T5_T6_T7_T9_mT8_P12ihipStream_tbDpT10_ENKUlT_T0_E_clISt17integral_constantIbLb0EES1B_EEDaS16_S17_EUlS16_E_NS1_11comp_targetILNS1_3genE0ELNS1_11target_archE4294967295ELNS1_3gpuE0ELNS1_3repE0EEENS1_30default_config_static_selectorELNS0_4arch9wavefront6targetE0EEEvT1_,comdat
.Lfunc_end1302:
	.size	_ZN7rocprim17ROCPRIM_400000_NS6detail17trampoline_kernelINS0_14default_configENS1_25partition_config_selectorILNS1_17partition_subalgoE5EdNS0_10empty_typeEbEEZZNS1_14partition_implILS5_5ELb0ES3_mN6thrust23THRUST_200600_302600_NS6detail15normal_iteratorINSA_10device_ptrIdEEEEPS6_NSA_18transform_iteratorINSB_9not_fun_tI7is_trueIdEEESF_NSA_11use_defaultESM_EENS0_5tupleIJSF_S6_EEENSO_IJSG_SG_EEES6_PlJS6_EEE10hipError_tPvRmT3_T4_T5_T6_T7_T9_mT8_P12ihipStream_tbDpT10_ENKUlT_T0_E_clISt17integral_constantIbLb0EES1B_EEDaS16_S17_EUlS16_E_NS1_11comp_targetILNS1_3genE0ELNS1_11target_archE4294967295ELNS1_3gpuE0ELNS1_3repE0EEENS1_30default_config_static_selectorELNS0_4arch9wavefront6targetE0EEEvT1_, .Lfunc_end1302-_ZN7rocprim17ROCPRIM_400000_NS6detail17trampoline_kernelINS0_14default_configENS1_25partition_config_selectorILNS1_17partition_subalgoE5EdNS0_10empty_typeEbEEZZNS1_14partition_implILS5_5ELb0ES3_mN6thrust23THRUST_200600_302600_NS6detail15normal_iteratorINSA_10device_ptrIdEEEEPS6_NSA_18transform_iteratorINSB_9not_fun_tI7is_trueIdEEESF_NSA_11use_defaultESM_EENS0_5tupleIJSF_S6_EEENSO_IJSG_SG_EEES6_PlJS6_EEE10hipError_tPvRmT3_T4_T5_T6_T7_T9_mT8_P12ihipStream_tbDpT10_ENKUlT_T0_E_clISt17integral_constantIbLb0EES1B_EEDaS16_S17_EUlS16_E_NS1_11comp_targetILNS1_3genE0ELNS1_11target_archE4294967295ELNS1_3gpuE0ELNS1_3repE0EEENS1_30default_config_static_selectorELNS0_4arch9wavefront6targetE0EEEvT1_
                                        ; -- End function
	.set _ZN7rocprim17ROCPRIM_400000_NS6detail17trampoline_kernelINS0_14default_configENS1_25partition_config_selectorILNS1_17partition_subalgoE5EdNS0_10empty_typeEbEEZZNS1_14partition_implILS5_5ELb0ES3_mN6thrust23THRUST_200600_302600_NS6detail15normal_iteratorINSA_10device_ptrIdEEEEPS6_NSA_18transform_iteratorINSB_9not_fun_tI7is_trueIdEEESF_NSA_11use_defaultESM_EENS0_5tupleIJSF_S6_EEENSO_IJSG_SG_EEES6_PlJS6_EEE10hipError_tPvRmT3_T4_T5_T6_T7_T9_mT8_P12ihipStream_tbDpT10_ENKUlT_T0_E_clISt17integral_constantIbLb0EES1B_EEDaS16_S17_EUlS16_E_NS1_11comp_targetILNS1_3genE0ELNS1_11target_archE4294967295ELNS1_3gpuE0ELNS1_3repE0EEENS1_30default_config_static_selectorELNS0_4arch9wavefront6targetE0EEEvT1_.num_vgpr, 0
	.set _ZN7rocprim17ROCPRIM_400000_NS6detail17trampoline_kernelINS0_14default_configENS1_25partition_config_selectorILNS1_17partition_subalgoE5EdNS0_10empty_typeEbEEZZNS1_14partition_implILS5_5ELb0ES3_mN6thrust23THRUST_200600_302600_NS6detail15normal_iteratorINSA_10device_ptrIdEEEEPS6_NSA_18transform_iteratorINSB_9not_fun_tI7is_trueIdEEESF_NSA_11use_defaultESM_EENS0_5tupleIJSF_S6_EEENSO_IJSG_SG_EEES6_PlJS6_EEE10hipError_tPvRmT3_T4_T5_T6_T7_T9_mT8_P12ihipStream_tbDpT10_ENKUlT_T0_E_clISt17integral_constantIbLb0EES1B_EEDaS16_S17_EUlS16_E_NS1_11comp_targetILNS1_3genE0ELNS1_11target_archE4294967295ELNS1_3gpuE0ELNS1_3repE0EEENS1_30default_config_static_selectorELNS0_4arch9wavefront6targetE0EEEvT1_.num_agpr, 0
	.set _ZN7rocprim17ROCPRIM_400000_NS6detail17trampoline_kernelINS0_14default_configENS1_25partition_config_selectorILNS1_17partition_subalgoE5EdNS0_10empty_typeEbEEZZNS1_14partition_implILS5_5ELb0ES3_mN6thrust23THRUST_200600_302600_NS6detail15normal_iteratorINSA_10device_ptrIdEEEEPS6_NSA_18transform_iteratorINSB_9not_fun_tI7is_trueIdEEESF_NSA_11use_defaultESM_EENS0_5tupleIJSF_S6_EEENSO_IJSG_SG_EEES6_PlJS6_EEE10hipError_tPvRmT3_T4_T5_T6_T7_T9_mT8_P12ihipStream_tbDpT10_ENKUlT_T0_E_clISt17integral_constantIbLb0EES1B_EEDaS16_S17_EUlS16_E_NS1_11comp_targetILNS1_3genE0ELNS1_11target_archE4294967295ELNS1_3gpuE0ELNS1_3repE0EEENS1_30default_config_static_selectorELNS0_4arch9wavefront6targetE0EEEvT1_.numbered_sgpr, 0
	.set _ZN7rocprim17ROCPRIM_400000_NS6detail17trampoline_kernelINS0_14default_configENS1_25partition_config_selectorILNS1_17partition_subalgoE5EdNS0_10empty_typeEbEEZZNS1_14partition_implILS5_5ELb0ES3_mN6thrust23THRUST_200600_302600_NS6detail15normal_iteratorINSA_10device_ptrIdEEEEPS6_NSA_18transform_iteratorINSB_9not_fun_tI7is_trueIdEEESF_NSA_11use_defaultESM_EENS0_5tupleIJSF_S6_EEENSO_IJSG_SG_EEES6_PlJS6_EEE10hipError_tPvRmT3_T4_T5_T6_T7_T9_mT8_P12ihipStream_tbDpT10_ENKUlT_T0_E_clISt17integral_constantIbLb0EES1B_EEDaS16_S17_EUlS16_E_NS1_11comp_targetILNS1_3genE0ELNS1_11target_archE4294967295ELNS1_3gpuE0ELNS1_3repE0EEENS1_30default_config_static_selectorELNS0_4arch9wavefront6targetE0EEEvT1_.num_named_barrier, 0
	.set _ZN7rocprim17ROCPRIM_400000_NS6detail17trampoline_kernelINS0_14default_configENS1_25partition_config_selectorILNS1_17partition_subalgoE5EdNS0_10empty_typeEbEEZZNS1_14partition_implILS5_5ELb0ES3_mN6thrust23THRUST_200600_302600_NS6detail15normal_iteratorINSA_10device_ptrIdEEEEPS6_NSA_18transform_iteratorINSB_9not_fun_tI7is_trueIdEEESF_NSA_11use_defaultESM_EENS0_5tupleIJSF_S6_EEENSO_IJSG_SG_EEES6_PlJS6_EEE10hipError_tPvRmT3_T4_T5_T6_T7_T9_mT8_P12ihipStream_tbDpT10_ENKUlT_T0_E_clISt17integral_constantIbLb0EES1B_EEDaS16_S17_EUlS16_E_NS1_11comp_targetILNS1_3genE0ELNS1_11target_archE4294967295ELNS1_3gpuE0ELNS1_3repE0EEENS1_30default_config_static_selectorELNS0_4arch9wavefront6targetE0EEEvT1_.private_seg_size, 0
	.set _ZN7rocprim17ROCPRIM_400000_NS6detail17trampoline_kernelINS0_14default_configENS1_25partition_config_selectorILNS1_17partition_subalgoE5EdNS0_10empty_typeEbEEZZNS1_14partition_implILS5_5ELb0ES3_mN6thrust23THRUST_200600_302600_NS6detail15normal_iteratorINSA_10device_ptrIdEEEEPS6_NSA_18transform_iteratorINSB_9not_fun_tI7is_trueIdEEESF_NSA_11use_defaultESM_EENS0_5tupleIJSF_S6_EEENSO_IJSG_SG_EEES6_PlJS6_EEE10hipError_tPvRmT3_T4_T5_T6_T7_T9_mT8_P12ihipStream_tbDpT10_ENKUlT_T0_E_clISt17integral_constantIbLb0EES1B_EEDaS16_S17_EUlS16_E_NS1_11comp_targetILNS1_3genE0ELNS1_11target_archE4294967295ELNS1_3gpuE0ELNS1_3repE0EEENS1_30default_config_static_selectorELNS0_4arch9wavefront6targetE0EEEvT1_.uses_vcc, 0
	.set _ZN7rocprim17ROCPRIM_400000_NS6detail17trampoline_kernelINS0_14default_configENS1_25partition_config_selectorILNS1_17partition_subalgoE5EdNS0_10empty_typeEbEEZZNS1_14partition_implILS5_5ELb0ES3_mN6thrust23THRUST_200600_302600_NS6detail15normal_iteratorINSA_10device_ptrIdEEEEPS6_NSA_18transform_iteratorINSB_9not_fun_tI7is_trueIdEEESF_NSA_11use_defaultESM_EENS0_5tupleIJSF_S6_EEENSO_IJSG_SG_EEES6_PlJS6_EEE10hipError_tPvRmT3_T4_T5_T6_T7_T9_mT8_P12ihipStream_tbDpT10_ENKUlT_T0_E_clISt17integral_constantIbLb0EES1B_EEDaS16_S17_EUlS16_E_NS1_11comp_targetILNS1_3genE0ELNS1_11target_archE4294967295ELNS1_3gpuE0ELNS1_3repE0EEENS1_30default_config_static_selectorELNS0_4arch9wavefront6targetE0EEEvT1_.uses_flat_scratch, 0
	.set _ZN7rocprim17ROCPRIM_400000_NS6detail17trampoline_kernelINS0_14default_configENS1_25partition_config_selectorILNS1_17partition_subalgoE5EdNS0_10empty_typeEbEEZZNS1_14partition_implILS5_5ELb0ES3_mN6thrust23THRUST_200600_302600_NS6detail15normal_iteratorINSA_10device_ptrIdEEEEPS6_NSA_18transform_iteratorINSB_9not_fun_tI7is_trueIdEEESF_NSA_11use_defaultESM_EENS0_5tupleIJSF_S6_EEENSO_IJSG_SG_EEES6_PlJS6_EEE10hipError_tPvRmT3_T4_T5_T6_T7_T9_mT8_P12ihipStream_tbDpT10_ENKUlT_T0_E_clISt17integral_constantIbLb0EES1B_EEDaS16_S17_EUlS16_E_NS1_11comp_targetILNS1_3genE0ELNS1_11target_archE4294967295ELNS1_3gpuE0ELNS1_3repE0EEENS1_30default_config_static_selectorELNS0_4arch9wavefront6targetE0EEEvT1_.has_dyn_sized_stack, 0
	.set _ZN7rocprim17ROCPRIM_400000_NS6detail17trampoline_kernelINS0_14default_configENS1_25partition_config_selectorILNS1_17partition_subalgoE5EdNS0_10empty_typeEbEEZZNS1_14partition_implILS5_5ELb0ES3_mN6thrust23THRUST_200600_302600_NS6detail15normal_iteratorINSA_10device_ptrIdEEEEPS6_NSA_18transform_iteratorINSB_9not_fun_tI7is_trueIdEEESF_NSA_11use_defaultESM_EENS0_5tupleIJSF_S6_EEENSO_IJSG_SG_EEES6_PlJS6_EEE10hipError_tPvRmT3_T4_T5_T6_T7_T9_mT8_P12ihipStream_tbDpT10_ENKUlT_T0_E_clISt17integral_constantIbLb0EES1B_EEDaS16_S17_EUlS16_E_NS1_11comp_targetILNS1_3genE0ELNS1_11target_archE4294967295ELNS1_3gpuE0ELNS1_3repE0EEENS1_30default_config_static_selectorELNS0_4arch9wavefront6targetE0EEEvT1_.has_recursion, 0
	.set _ZN7rocprim17ROCPRIM_400000_NS6detail17trampoline_kernelINS0_14default_configENS1_25partition_config_selectorILNS1_17partition_subalgoE5EdNS0_10empty_typeEbEEZZNS1_14partition_implILS5_5ELb0ES3_mN6thrust23THRUST_200600_302600_NS6detail15normal_iteratorINSA_10device_ptrIdEEEEPS6_NSA_18transform_iteratorINSB_9not_fun_tI7is_trueIdEEESF_NSA_11use_defaultESM_EENS0_5tupleIJSF_S6_EEENSO_IJSG_SG_EEES6_PlJS6_EEE10hipError_tPvRmT3_T4_T5_T6_T7_T9_mT8_P12ihipStream_tbDpT10_ENKUlT_T0_E_clISt17integral_constantIbLb0EES1B_EEDaS16_S17_EUlS16_E_NS1_11comp_targetILNS1_3genE0ELNS1_11target_archE4294967295ELNS1_3gpuE0ELNS1_3repE0EEENS1_30default_config_static_selectorELNS0_4arch9wavefront6targetE0EEEvT1_.has_indirect_call, 0
	.section	.AMDGPU.csdata,"",@progbits
; Kernel info:
; codeLenInByte = 0
; TotalNumSgprs: 0
; NumVgprs: 0
; ScratchSize: 0
; MemoryBound: 0
; FloatMode: 240
; IeeeMode: 1
; LDSByteSize: 0 bytes/workgroup (compile time only)
; SGPRBlocks: 0
; VGPRBlocks: 0
; NumSGPRsForWavesPerEU: 1
; NumVGPRsForWavesPerEU: 1
; Occupancy: 16
; WaveLimiterHint : 0
; COMPUTE_PGM_RSRC2:SCRATCH_EN: 0
; COMPUTE_PGM_RSRC2:USER_SGPR: 2
; COMPUTE_PGM_RSRC2:TRAP_HANDLER: 0
; COMPUTE_PGM_RSRC2:TGID_X_EN: 1
; COMPUTE_PGM_RSRC2:TGID_Y_EN: 0
; COMPUTE_PGM_RSRC2:TGID_Z_EN: 0
; COMPUTE_PGM_RSRC2:TIDIG_COMP_CNT: 0
	.section	.text._ZN7rocprim17ROCPRIM_400000_NS6detail17trampoline_kernelINS0_14default_configENS1_25partition_config_selectorILNS1_17partition_subalgoE5EdNS0_10empty_typeEbEEZZNS1_14partition_implILS5_5ELb0ES3_mN6thrust23THRUST_200600_302600_NS6detail15normal_iteratorINSA_10device_ptrIdEEEEPS6_NSA_18transform_iteratorINSB_9not_fun_tI7is_trueIdEEESF_NSA_11use_defaultESM_EENS0_5tupleIJSF_S6_EEENSO_IJSG_SG_EEES6_PlJS6_EEE10hipError_tPvRmT3_T4_T5_T6_T7_T9_mT8_P12ihipStream_tbDpT10_ENKUlT_T0_E_clISt17integral_constantIbLb0EES1B_EEDaS16_S17_EUlS16_E_NS1_11comp_targetILNS1_3genE5ELNS1_11target_archE942ELNS1_3gpuE9ELNS1_3repE0EEENS1_30default_config_static_selectorELNS0_4arch9wavefront6targetE0EEEvT1_,"axG",@progbits,_ZN7rocprim17ROCPRIM_400000_NS6detail17trampoline_kernelINS0_14default_configENS1_25partition_config_selectorILNS1_17partition_subalgoE5EdNS0_10empty_typeEbEEZZNS1_14partition_implILS5_5ELb0ES3_mN6thrust23THRUST_200600_302600_NS6detail15normal_iteratorINSA_10device_ptrIdEEEEPS6_NSA_18transform_iteratorINSB_9not_fun_tI7is_trueIdEEESF_NSA_11use_defaultESM_EENS0_5tupleIJSF_S6_EEENSO_IJSG_SG_EEES6_PlJS6_EEE10hipError_tPvRmT3_T4_T5_T6_T7_T9_mT8_P12ihipStream_tbDpT10_ENKUlT_T0_E_clISt17integral_constantIbLb0EES1B_EEDaS16_S17_EUlS16_E_NS1_11comp_targetILNS1_3genE5ELNS1_11target_archE942ELNS1_3gpuE9ELNS1_3repE0EEENS1_30default_config_static_selectorELNS0_4arch9wavefront6targetE0EEEvT1_,comdat
	.protected	_ZN7rocprim17ROCPRIM_400000_NS6detail17trampoline_kernelINS0_14default_configENS1_25partition_config_selectorILNS1_17partition_subalgoE5EdNS0_10empty_typeEbEEZZNS1_14partition_implILS5_5ELb0ES3_mN6thrust23THRUST_200600_302600_NS6detail15normal_iteratorINSA_10device_ptrIdEEEEPS6_NSA_18transform_iteratorINSB_9not_fun_tI7is_trueIdEEESF_NSA_11use_defaultESM_EENS0_5tupleIJSF_S6_EEENSO_IJSG_SG_EEES6_PlJS6_EEE10hipError_tPvRmT3_T4_T5_T6_T7_T9_mT8_P12ihipStream_tbDpT10_ENKUlT_T0_E_clISt17integral_constantIbLb0EES1B_EEDaS16_S17_EUlS16_E_NS1_11comp_targetILNS1_3genE5ELNS1_11target_archE942ELNS1_3gpuE9ELNS1_3repE0EEENS1_30default_config_static_selectorELNS0_4arch9wavefront6targetE0EEEvT1_ ; -- Begin function _ZN7rocprim17ROCPRIM_400000_NS6detail17trampoline_kernelINS0_14default_configENS1_25partition_config_selectorILNS1_17partition_subalgoE5EdNS0_10empty_typeEbEEZZNS1_14partition_implILS5_5ELb0ES3_mN6thrust23THRUST_200600_302600_NS6detail15normal_iteratorINSA_10device_ptrIdEEEEPS6_NSA_18transform_iteratorINSB_9not_fun_tI7is_trueIdEEESF_NSA_11use_defaultESM_EENS0_5tupleIJSF_S6_EEENSO_IJSG_SG_EEES6_PlJS6_EEE10hipError_tPvRmT3_T4_T5_T6_T7_T9_mT8_P12ihipStream_tbDpT10_ENKUlT_T0_E_clISt17integral_constantIbLb0EES1B_EEDaS16_S17_EUlS16_E_NS1_11comp_targetILNS1_3genE5ELNS1_11target_archE942ELNS1_3gpuE9ELNS1_3repE0EEENS1_30default_config_static_selectorELNS0_4arch9wavefront6targetE0EEEvT1_
	.globl	_ZN7rocprim17ROCPRIM_400000_NS6detail17trampoline_kernelINS0_14default_configENS1_25partition_config_selectorILNS1_17partition_subalgoE5EdNS0_10empty_typeEbEEZZNS1_14partition_implILS5_5ELb0ES3_mN6thrust23THRUST_200600_302600_NS6detail15normal_iteratorINSA_10device_ptrIdEEEEPS6_NSA_18transform_iteratorINSB_9not_fun_tI7is_trueIdEEESF_NSA_11use_defaultESM_EENS0_5tupleIJSF_S6_EEENSO_IJSG_SG_EEES6_PlJS6_EEE10hipError_tPvRmT3_T4_T5_T6_T7_T9_mT8_P12ihipStream_tbDpT10_ENKUlT_T0_E_clISt17integral_constantIbLb0EES1B_EEDaS16_S17_EUlS16_E_NS1_11comp_targetILNS1_3genE5ELNS1_11target_archE942ELNS1_3gpuE9ELNS1_3repE0EEENS1_30default_config_static_selectorELNS0_4arch9wavefront6targetE0EEEvT1_
	.p2align	8
	.type	_ZN7rocprim17ROCPRIM_400000_NS6detail17trampoline_kernelINS0_14default_configENS1_25partition_config_selectorILNS1_17partition_subalgoE5EdNS0_10empty_typeEbEEZZNS1_14partition_implILS5_5ELb0ES3_mN6thrust23THRUST_200600_302600_NS6detail15normal_iteratorINSA_10device_ptrIdEEEEPS6_NSA_18transform_iteratorINSB_9not_fun_tI7is_trueIdEEESF_NSA_11use_defaultESM_EENS0_5tupleIJSF_S6_EEENSO_IJSG_SG_EEES6_PlJS6_EEE10hipError_tPvRmT3_T4_T5_T6_T7_T9_mT8_P12ihipStream_tbDpT10_ENKUlT_T0_E_clISt17integral_constantIbLb0EES1B_EEDaS16_S17_EUlS16_E_NS1_11comp_targetILNS1_3genE5ELNS1_11target_archE942ELNS1_3gpuE9ELNS1_3repE0EEENS1_30default_config_static_selectorELNS0_4arch9wavefront6targetE0EEEvT1_,@function
_ZN7rocprim17ROCPRIM_400000_NS6detail17trampoline_kernelINS0_14default_configENS1_25partition_config_selectorILNS1_17partition_subalgoE5EdNS0_10empty_typeEbEEZZNS1_14partition_implILS5_5ELb0ES3_mN6thrust23THRUST_200600_302600_NS6detail15normal_iteratorINSA_10device_ptrIdEEEEPS6_NSA_18transform_iteratorINSB_9not_fun_tI7is_trueIdEEESF_NSA_11use_defaultESM_EENS0_5tupleIJSF_S6_EEENSO_IJSG_SG_EEES6_PlJS6_EEE10hipError_tPvRmT3_T4_T5_T6_T7_T9_mT8_P12ihipStream_tbDpT10_ENKUlT_T0_E_clISt17integral_constantIbLb0EES1B_EEDaS16_S17_EUlS16_E_NS1_11comp_targetILNS1_3genE5ELNS1_11target_archE942ELNS1_3gpuE9ELNS1_3repE0EEENS1_30default_config_static_selectorELNS0_4arch9wavefront6targetE0EEEvT1_: ; @_ZN7rocprim17ROCPRIM_400000_NS6detail17trampoline_kernelINS0_14default_configENS1_25partition_config_selectorILNS1_17partition_subalgoE5EdNS0_10empty_typeEbEEZZNS1_14partition_implILS5_5ELb0ES3_mN6thrust23THRUST_200600_302600_NS6detail15normal_iteratorINSA_10device_ptrIdEEEEPS6_NSA_18transform_iteratorINSB_9not_fun_tI7is_trueIdEEESF_NSA_11use_defaultESM_EENS0_5tupleIJSF_S6_EEENSO_IJSG_SG_EEES6_PlJS6_EEE10hipError_tPvRmT3_T4_T5_T6_T7_T9_mT8_P12ihipStream_tbDpT10_ENKUlT_T0_E_clISt17integral_constantIbLb0EES1B_EEDaS16_S17_EUlS16_E_NS1_11comp_targetILNS1_3genE5ELNS1_11target_archE942ELNS1_3gpuE9ELNS1_3repE0EEENS1_30default_config_static_selectorELNS0_4arch9wavefront6targetE0EEEvT1_
; %bb.0:
	.section	.rodata,"a",@progbits
	.p2align	6, 0x0
	.amdhsa_kernel _ZN7rocprim17ROCPRIM_400000_NS6detail17trampoline_kernelINS0_14default_configENS1_25partition_config_selectorILNS1_17partition_subalgoE5EdNS0_10empty_typeEbEEZZNS1_14partition_implILS5_5ELb0ES3_mN6thrust23THRUST_200600_302600_NS6detail15normal_iteratorINSA_10device_ptrIdEEEEPS6_NSA_18transform_iteratorINSB_9not_fun_tI7is_trueIdEEESF_NSA_11use_defaultESM_EENS0_5tupleIJSF_S6_EEENSO_IJSG_SG_EEES6_PlJS6_EEE10hipError_tPvRmT3_T4_T5_T6_T7_T9_mT8_P12ihipStream_tbDpT10_ENKUlT_T0_E_clISt17integral_constantIbLb0EES1B_EEDaS16_S17_EUlS16_E_NS1_11comp_targetILNS1_3genE5ELNS1_11target_archE942ELNS1_3gpuE9ELNS1_3repE0EEENS1_30default_config_static_selectorELNS0_4arch9wavefront6targetE0EEEvT1_
		.amdhsa_group_segment_fixed_size 0
		.amdhsa_private_segment_fixed_size 0
		.amdhsa_kernarg_size 120
		.amdhsa_user_sgpr_count 2
		.amdhsa_user_sgpr_dispatch_ptr 0
		.amdhsa_user_sgpr_queue_ptr 0
		.amdhsa_user_sgpr_kernarg_segment_ptr 1
		.amdhsa_user_sgpr_dispatch_id 0
		.amdhsa_user_sgpr_private_segment_size 0
		.amdhsa_wavefront_size32 1
		.amdhsa_uses_dynamic_stack 0
		.amdhsa_enable_private_segment 0
		.amdhsa_system_sgpr_workgroup_id_x 1
		.amdhsa_system_sgpr_workgroup_id_y 0
		.amdhsa_system_sgpr_workgroup_id_z 0
		.amdhsa_system_sgpr_workgroup_info 0
		.amdhsa_system_vgpr_workitem_id 0
		.amdhsa_next_free_vgpr 1
		.amdhsa_next_free_sgpr 1
		.amdhsa_reserve_vcc 0
		.amdhsa_float_round_mode_32 0
		.amdhsa_float_round_mode_16_64 0
		.amdhsa_float_denorm_mode_32 3
		.amdhsa_float_denorm_mode_16_64 3
		.amdhsa_fp16_overflow 0
		.amdhsa_workgroup_processor_mode 1
		.amdhsa_memory_ordered 1
		.amdhsa_forward_progress 1
		.amdhsa_inst_pref_size 0
		.amdhsa_round_robin_scheduling 0
		.amdhsa_exception_fp_ieee_invalid_op 0
		.amdhsa_exception_fp_denorm_src 0
		.amdhsa_exception_fp_ieee_div_zero 0
		.amdhsa_exception_fp_ieee_overflow 0
		.amdhsa_exception_fp_ieee_underflow 0
		.amdhsa_exception_fp_ieee_inexact 0
		.amdhsa_exception_int_div_zero 0
	.end_amdhsa_kernel
	.section	.text._ZN7rocprim17ROCPRIM_400000_NS6detail17trampoline_kernelINS0_14default_configENS1_25partition_config_selectorILNS1_17partition_subalgoE5EdNS0_10empty_typeEbEEZZNS1_14partition_implILS5_5ELb0ES3_mN6thrust23THRUST_200600_302600_NS6detail15normal_iteratorINSA_10device_ptrIdEEEEPS6_NSA_18transform_iteratorINSB_9not_fun_tI7is_trueIdEEESF_NSA_11use_defaultESM_EENS0_5tupleIJSF_S6_EEENSO_IJSG_SG_EEES6_PlJS6_EEE10hipError_tPvRmT3_T4_T5_T6_T7_T9_mT8_P12ihipStream_tbDpT10_ENKUlT_T0_E_clISt17integral_constantIbLb0EES1B_EEDaS16_S17_EUlS16_E_NS1_11comp_targetILNS1_3genE5ELNS1_11target_archE942ELNS1_3gpuE9ELNS1_3repE0EEENS1_30default_config_static_selectorELNS0_4arch9wavefront6targetE0EEEvT1_,"axG",@progbits,_ZN7rocprim17ROCPRIM_400000_NS6detail17trampoline_kernelINS0_14default_configENS1_25partition_config_selectorILNS1_17partition_subalgoE5EdNS0_10empty_typeEbEEZZNS1_14partition_implILS5_5ELb0ES3_mN6thrust23THRUST_200600_302600_NS6detail15normal_iteratorINSA_10device_ptrIdEEEEPS6_NSA_18transform_iteratorINSB_9not_fun_tI7is_trueIdEEESF_NSA_11use_defaultESM_EENS0_5tupleIJSF_S6_EEENSO_IJSG_SG_EEES6_PlJS6_EEE10hipError_tPvRmT3_T4_T5_T6_T7_T9_mT8_P12ihipStream_tbDpT10_ENKUlT_T0_E_clISt17integral_constantIbLb0EES1B_EEDaS16_S17_EUlS16_E_NS1_11comp_targetILNS1_3genE5ELNS1_11target_archE942ELNS1_3gpuE9ELNS1_3repE0EEENS1_30default_config_static_selectorELNS0_4arch9wavefront6targetE0EEEvT1_,comdat
.Lfunc_end1303:
	.size	_ZN7rocprim17ROCPRIM_400000_NS6detail17trampoline_kernelINS0_14default_configENS1_25partition_config_selectorILNS1_17partition_subalgoE5EdNS0_10empty_typeEbEEZZNS1_14partition_implILS5_5ELb0ES3_mN6thrust23THRUST_200600_302600_NS6detail15normal_iteratorINSA_10device_ptrIdEEEEPS6_NSA_18transform_iteratorINSB_9not_fun_tI7is_trueIdEEESF_NSA_11use_defaultESM_EENS0_5tupleIJSF_S6_EEENSO_IJSG_SG_EEES6_PlJS6_EEE10hipError_tPvRmT3_T4_T5_T6_T7_T9_mT8_P12ihipStream_tbDpT10_ENKUlT_T0_E_clISt17integral_constantIbLb0EES1B_EEDaS16_S17_EUlS16_E_NS1_11comp_targetILNS1_3genE5ELNS1_11target_archE942ELNS1_3gpuE9ELNS1_3repE0EEENS1_30default_config_static_selectorELNS0_4arch9wavefront6targetE0EEEvT1_, .Lfunc_end1303-_ZN7rocprim17ROCPRIM_400000_NS6detail17trampoline_kernelINS0_14default_configENS1_25partition_config_selectorILNS1_17partition_subalgoE5EdNS0_10empty_typeEbEEZZNS1_14partition_implILS5_5ELb0ES3_mN6thrust23THRUST_200600_302600_NS6detail15normal_iteratorINSA_10device_ptrIdEEEEPS6_NSA_18transform_iteratorINSB_9not_fun_tI7is_trueIdEEESF_NSA_11use_defaultESM_EENS0_5tupleIJSF_S6_EEENSO_IJSG_SG_EEES6_PlJS6_EEE10hipError_tPvRmT3_T4_T5_T6_T7_T9_mT8_P12ihipStream_tbDpT10_ENKUlT_T0_E_clISt17integral_constantIbLb0EES1B_EEDaS16_S17_EUlS16_E_NS1_11comp_targetILNS1_3genE5ELNS1_11target_archE942ELNS1_3gpuE9ELNS1_3repE0EEENS1_30default_config_static_selectorELNS0_4arch9wavefront6targetE0EEEvT1_
                                        ; -- End function
	.set _ZN7rocprim17ROCPRIM_400000_NS6detail17trampoline_kernelINS0_14default_configENS1_25partition_config_selectorILNS1_17partition_subalgoE5EdNS0_10empty_typeEbEEZZNS1_14partition_implILS5_5ELb0ES3_mN6thrust23THRUST_200600_302600_NS6detail15normal_iteratorINSA_10device_ptrIdEEEEPS6_NSA_18transform_iteratorINSB_9not_fun_tI7is_trueIdEEESF_NSA_11use_defaultESM_EENS0_5tupleIJSF_S6_EEENSO_IJSG_SG_EEES6_PlJS6_EEE10hipError_tPvRmT3_T4_T5_T6_T7_T9_mT8_P12ihipStream_tbDpT10_ENKUlT_T0_E_clISt17integral_constantIbLb0EES1B_EEDaS16_S17_EUlS16_E_NS1_11comp_targetILNS1_3genE5ELNS1_11target_archE942ELNS1_3gpuE9ELNS1_3repE0EEENS1_30default_config_static_selectorELNS0_4arch9wavefront6targetE0EEEvT1_.num_vgpr, 0
	.set _ZN7rocprim17ROCPRIM_400000_NS6detail17trampoline_kernelINS0_14default_configENS1_25partition_config_selectorILNS1_17partition_subalgoE5EdNS0_10empty_typeEbEEZZNS1_14partition_implILS5_5ELb0ES3_mN6thrust23THRUST_200600_302600_NS6detail15normal_iteratorINSA_10device_ptrIdEEEEPS6_NSA_18transform_iteratorINSB_9not_fun_tI7is_trueIdEEESF_NSA_11use_defaultESM_EENS0_5tupleIJSF_S6_EEENSO_IJSG_SG_EEES6_PlJS6_EEE10hipError_tPvRmT3_T4_T5_T6_T7_T9_mT8_P12ihipStream_tbDpT10_ENKUlT_T0_E_clISt17integral_constantIbLb0EES1B_EEDaS16_S17_EUlS16_E_NS1_11comp_targetILNS1_3genE5ELNS1_11target_archE942ELNS1_3gpuE9ELNS1_3repE0EEENS1_30default_config_static_selectorELNS0_4arch9wavefront6targetE0EEEvT1_.num_agpr, 0
	.set _ZN7rocprim17ROCPRIM_400000_NS6detail17trampoline_kernelINS0_14default_configENS1_25partition_config_selectorILNS1_17partition_subalgoE5EdNS0_10empty_typeEbEEZZNS1_14partition_implILS5_5ELb0ES3_mN6thrust23THRUST_200600_302600_NS6detail15normal_iteratorINSA_10device_ptrIdEEEEPS6_NSA_18transform_iteratorINSB_9not_fun_tI7is_trueIdEEESF_NSA_11use_defaultESM_EENS0_5tupleIJSF_S6_EEENSO_IJSG_SG_EEES6_PlJS6_EEE10hipError_tPvRmT3_T4_T5_T6_T7_T9_mT8_P12ihipStream_tbDpT10_ENKUlT_T0_E_clISt17integral_constantIbLb0EES1B_EEDaS16_S17_EUlS16_E_NS1_11comp_targetILNS1_3genE5ELNS1_11target_archE942ELNS1_3gpuE9ELNS1_3repE0EEENS1_30default_config_static_selectorELNS0_4arch9wavefront6targetE0EEEvT1_.numbered_sgpr, 0
	.set _ZN7rocprim17ROCPRIM_400000_NS6detail17trampoline_kernelINS0_14default_configENS1_25partition_config_selectorILNS1_17partition_subalgoE5EdNS0_10empty_typeEbEEZZNS1_14partition_implILS5_5ELb0ES3_mN6thrust23THRUST_200600_302600_NS6detail15normal_iteratorINSA_10device_ptrIdEEEEPS6_NSA_18transform_iteratorINSB_9not_fun_tI7is_trueIdEEESF_NSA_11use_defaultESM_EENS0_5tupleIJSF_S6_EEENSO_IJSG_SG_EEES6_PlJS6_EEE10hipError_tPvRmT3_T4_T5_T6_T7_T9_mT8_P12ihipStream_tbDpT10_ENKUlT_T0_E_clISt17integral_constantIbLb0EES1B_EEDaS16_S17_EUlS16_E_NS1_11comp_targetILNS1_3genE5ELNS1_11target_archE942ELNS1_3gpuE9ELNS1_3repE0EEENS1_30default_config_static_selectorELNS0_4arch9wavefront6targetE0EEEvT1_.num_named_barrier, 0
	.set _ZN7rocprim17ROCPRIM_400000_NS6detail17trampoline_kernelINS0_14default_configENS1_25partition_config_selectorILNS1_17partition_subalgoE5EdNS0_10empty_typeEbEEZZNS1_14partition_implILS5_5ELb0ES3_mN6thrust23THRUST_200600_302600_NS6detail15normal_iteratorINSA_10device_ptrIdEEEEPS6_NSA_18transform_iteratorINSB_9not_fun_tI7is_trueIdEEESF_NSA_11use_defaultESM_EENS0_5tupleIJSF_S6_EEENSO_IJSG_SG_EEES6_PlJS6_EEE10hipError_tPvRmT3_T4_T5_T6_T7_T9_mT8_P12ihipStream_tbDpT10_ENKUlT_T0_E_clISt17integral_constantIbLb0EES1B_EEDaS16_S17_EUlS16_E_NS1_11comp_targetILNS1_3genE5ELNS1_11target_archE942ELNS1_3gpuE9ELNS1_3repE0EEENS1_30default_config_static_selectorELNS0_4arch9wavefront6targetE0EEEvT1_.private_seg_size, 0
	.set _ZN7rocprim17ROCPRIM_400000_NS6detail17trampoline_kernelINS0_14default_configENS1_25partition_config_selectorILNS1_17partition_subalgoE5EdNS0_10empty_typeEbEEZZNS1_14partition_implILS5_5ELb0ES3_mN6thrust23THRUST_200600_302600_NS6detail15normal_iteratorINSA_10device_ptrIdEEEEPS6_NSA_18transform_iteratorINSB_9not_fun_tI7is_trueIdEEESF_NSA_11use_defaultESM_EENS0_5tupleIJSF_S6_EEENSO_IJSG_SG_EEES6_PlJS6_EEE10hipError_tPvRmT3_T4_T5_T6_T7_T9_mT8_P12ihipStream_tbDpT10_ENKUlT_T0_E_clISt17integral_constantIbLb0EES1B_EEDaS16_S17_EUlS16_E_NS1_11comp_targetILNS1_3genE5ELNS1_11target_archE942ELNS1_3gpuE9ELNS1_3repE0EEENS1_30default_config_static_selectorELNS0_4arch9wavefront6targetE0EEEvT1_.uses_vcc, 0
	.set _ZN7rocprim17ROCPRIM_400000_NS6detail17trampoline_kernelINS0_14default_configENS1_25partition_config_selectorILNS1_17partition_subalgoE5EdNS0_10empty_typeEbEEZZNS1_14partition_implILS5_5ELb0ES3_mN6thrust23THRUST_200600_302600_NS6detail15normal_iteratorINSA_10device_ptrIdEEEEPS6_NSA_18transform_iteratorINSB_9not_fun_tI7is_trueIdEEESF_NSA_11use_defaultESM_EENS0_5tupleIJSF_S6_EEENSO_IJSG_SG_EEES6_PlJS6_EEE10hipError_tPvRmT3_T4_T5_T6_T7_T9_mT8_P12ihipStream_tbDpT10_ENKUlT_T0_E_clISt17integral_constantIbLb0EES1B_EEDaS16_S17_EUlS16_E_NS1_11comp_targetILNS1_3genE5ELNS1_11target_archE942ELNS1_3gpuE9ELNS1_3repE0EEENS1_30default_config_static_selectorELNS0_4arch9wavefront6targetE0EEEvT1_.uses_flat_scratch, 0
	.set _ZN7rocprim17ROCPRIM_400000_NS6detail17trampoline_kernelINS0_14default_configENS1_25partition_config_selectorILNS1_17partition_subalgoE5EdNS0_10empty_typeEbEEZZNS1_14partition_implILS5_5ELb0ES3_mN6thrust23THRUST_200600_302600_NS6detail15normal_iteratorINSA_10device_ptrIdEEEEPS6_NSA_18transform_iteratorINSB_9not_fun_tI7is_trueIdEEESF_NSA_11use_defaultESM_EENS0_5tupleIJSF_S6_EEENSO_IJSG_SG_EEES6_PlJS6_EEE10hipError_tPvRmT3_T4_T5_T6_T7_T9_mT8_P12ihipStream_tbDpT10_ENKUlT_T0_E_clISt17integral_constantIbLb0EES1B_EEDaS16_S17_EUlS16_E_NS1_11comp_targetILNS1_3genE5ELNS1_11target_archE942ELNS1_3gpuE9ELNS1_3repE0EEENS1_30default_config_static_selectorELNS0_4arch9wavefront6targetE0EEEvT1_.has_dyn_sized_stack, 0
	.set _ZN7rocprim17ROCPRIM_400000_NS6detail17trampoline_kernelINS0_14default_configENS1_25partition_config_selectorILNS1_17partition_subalgoE5EdNS0_10empty_typeEbEEZZNS1_14partition_implILS5_5ELb0ES3_mN6thrust23THRUST_200600_302600_NS6detail15normal_iteratorINSA_10device_ptrIdEEEEPS6_NSA_18transform_iteratorINSB_9not_fun_tI7is_trueIdEEESF_NSA_11use_defaultESM_EENS0_5tupleIJSF_S6_EEENSO_IJSG_SG_EEES6_PlJS6_EEE10hipError_tPvRmT3_T4_T5_T6_T7_T9_mT8_P12ihipStream_tbDpT10_ENKUlT_T0_E_clISt17integral_constantIbLb0EES1B_EEDaS16_S17_EUlS16_E_NS1_11comp_targetILNS1_3genE5ELNS1_11target_archE942ELNS1_3gpuE9ELNS1_3repE0EEENS1_30default_config_static_selectorELNS0_4arch9wavefront6targetE0EEEvT1_.has_recursion, 0
	.set _ZN7rocprim17ROCPRIM_400000_NS6detail17trampoline_kernelINS0_14default_configENS1_25partition_config_selectorILNS1_17partition_subalgoE5EdNS0_10empty_typeEbEEZZNS1_14partition_implILS5_5ELb0ES3_mN6thrust23THRUST_200600_302600_NS6detail15normal_iteratorINSA_10device_ptrIdEEEEPS6_NSA_18transform_iteratorINSB_9not_fun_tI7is_trueIdEEESF_NSA_11use_defaultESM_EENS0_5tupleIJSF_S6_EEENSO_IJSG_SG_EEES6_PlJS6_EEE10hipError_tPvRmT3_T4_T5_T6_T7_T9_mT8_P12ihipStream_tbDpT10_ENKUlT_T0_E_clISt17integral_constantIbLb0EES1B_EEDaS16_S17_EUlS16_E_NS1_11comp_targetILNS1_3genE5ELNS1_11target_archE942ELNS1_3gpuE9ELNS1_3repE0EEENS1_30default_config_static_selectorELNS0_4arch9wavefront6targetE0EEEvT1_.has_indirect_call, 0
	.section	.AMDGPU.csdata,"",@progbits
; Kernel info:
; codeLenInByte = 0
; TotalNumSgprs: 0
; NumVgprs: 0
; ScratchSize: 0
; MemoryBound: 0
; FloatMode: 240
; IeeeMode: 1
; LDSByteSize: 0 bytes/workgroup (compile time only)
; SGPRBlocks: 0
; VGPRBlocks: 0
; NumSGPRsForWavesPerEU: 1
; NumVGPRsForWavesPerEU: 1
; Occupancy: 16
; WaveLimiterHint : 0
; COMPUTE_PGM_RSRC2:SCRATCH_EN: 0
; COMPUTE_PGM_RSRC2:USER_SGPR: 2
; COMPUTE_PGM_RSRC2:TRAP_HANDLER: 0
; COMPUTE_PGM_RSRC2:TGID_X_EN: 1
; COMPUTE_PGM_RSRC2:TGID_Y_EN: 0
; COMPUTE_PGM_RSRC2:TGID_Z_EN: 0
; COMPUTE_PGM_RSRC2:TIDIG_COMP_CNT: 0
	.section	.text._ZN7rocprim17ROCPRIM_400000_NS6detail17trampoline_kernelINS0_14default_configENS1_25partition_config_selectorILNS1_17partition_subalgoE5EdNS0_10empty_typeEbEEZZNS1_14partition_implILS5_5ELb0ES3_mN6thrust23THRUST_200600_302600_NS6detail15normal_iteratorINSA_10device_ptrIdEEEEPS6_NSA_18transform_iteratorINSB_9not_fun_tI7is_trueIdEEESF_NSA_11use_defaultESM_EENS0_5tupleIJSF_S6_EEENSO_IJSG_SG_EEES6_PlJS6_EEE10hipError_tPvRmT3_T4_T5_T6_T7_T9_mT8_P12ihipStream_tbDpT10_ENKUlT_T0_E_clISt17integral_constantIbLb0EES1B_EEDaS16_S17_EUlS16_E_NS1_11comp_targetILNS1_3genE4ELNS1_11target_archE910ELNS1_3gpuE8ELNS1_3repE0EEENS1_30default_config_static_selectorELNS0_4arch9wavefront6targetE0EEEvT1_,"axG",@progbits,_ZN7rocprim17ROCPRIM_400000_NS6detail17trampoline_kernelINS0_14default_configENS1_25partition_config_selectorILNS1_17partition_subalgoE5EdNS0_10empty_typeEbEEZZNS1_14partition_implILS5_5ELb0ES3_mN6thrust23THRUST_200600_302600_NS6detail15normal_iteratorINSA_10device_ptrIdEEEEPS6_NSA_18transform_iteratorINSB_9not_fun_tI7is_trueIdEEESF_NSA_11use_defaultESM_EENS0_5tupleIJSF_S6_EEENSO_IJSG_SG_EEES6_PlJS6_EEE10hipError_tPvRmT3_T4_T5_T6_T7_T9_mT8_P12ihipStream_tbDpT10_ENKUlT_T0_E_clISt17integral_constantIbLb0EES1B_EEDaS16_S17_EUlS16_E_NS1_11comp_targetILNS1_3genE4ELNS1_11target_archE910ELNS1_3gpuE8ELNS1_3repE0EEENS1_30default_config_static_selectorELNS0_4arch9wavefront6targetE0EEEvT1_,comdat
	.protected	_ZN7rocprim17ROCPRIM_400000_NS6detail17trampoline_kernelINS0_14default_configENS1_25partition_config_selectorILNS1_17partition_subalgoE5EdNS0_10empty_typeEbEEZZNS1_14partition_implILS5_5ELb0ES3_mN6thrust23THRUST_200600_302600_NS6detail15normal_iteratorINSA_10device_ptrIdEEEEPS6_NSA_18transform_iteratorINSB_9not_fun_tI7is_trueIdEEESF_NSA_11use_defaultESM_EENS0_5tupleIJSF_S6_EEENSO_IJSG_SG_EEES6_PlJS6_EEE10hipError_tPvRmT3_T4_T5_T6_T7_T9_mT8_P12ihipStream_tbDpT10_ENKUlT_T0_E_clISt17integral_constantIbLb0EES1B_EEDaS16_S17_EUlS16_E_NS1_11comp_targetILNS1_3genE4ELNS1_11target_archE910ELNS1_3gpuE8ELNS1_3repE0EEENS1_30default_config_static_selectorELNS0_4arch9wavefront6targetE0EEEvT1_ ; -- Begin function _ZN7rocprim17ROCPRIM_400000_NS6detail17trampoline_kernelINS0_14default_configENS1_25partition_config_selectorILNS1_17partition_subalgoE5EdNS0_10empty_typeEbEEZZNS1_14partition_implILS5_5ELb0ES3_mN6thrust23THRUST_200600_302600_NS6detail15normal_iteratorINSA_10device_ptrIdEEEEPS6_NSA_18transform_iteratorINSB_9not_fun_tI7is_trueIdEEESF_NSA_11use_defaultESM_EENS0_5tupleIJSF_S6_EEENSO_IJSG_SG_EEES6_PlJS6_EEE10hipError_tPvRmT3_T4_T5_T6_T7_T9_mT8_P12ihipStream_tbDpT10_ENKUlT_T0_E_clISt17integral_constantIbLb0EES1B_EEDaS16_S17_EUlS16_E_NS1_11comp_targetILNS1_3genE4ELNS1_11target_archE910ELNS1_3gpuE8ELNS1_3repE0EEENS1_30default_config_static_selectorELNS0_4arch9wavefront6targetE0EEEvT1_
	.globl	_ZN7rocprim17ROCPRIM_400000_NS6detail17trampoline_kernelINS0_14default_configENS1_25partition_config_selectorILNS1_17partition_subalgoE5EdNS0_10empty_typeEbEEZZNS1_14partition_implILS5_5ELb0ES3_mN6thrust23THRUST_200600_302600_NS6detail15normal_iteratorINSA_10device_ptrIdEEEEPS6_NSA_18transform_iteratorINSB_9not_fun_tI7is_trueIdEEESF_NSA_11use_defaultESM_EENS0_5tupleIJSF_S6_EEENSO_IJSG_SG_EEES6_PlJS6_EEE10hipError_tPvRmT3_T4_T5_T6_T7_T9_mT8_P12ihipStream_tbDpT10_ENKUlT_T0_E_clISt17integral_constantIbLb0EES1B_EEDaS16_S17_EUlS16_E_NS1_11comp_targetILNS1_3genE4ELNS1_11target_archE910ELNS1_3gpuE8ELNS1_3repE0EEENS1_30default_config_static_selectorELNS0_4arch9wavefront6targetE0EEEvT1_
	.p2align	8
	.type	_ZN7rocprim17ROCPRIM_400000_NS6detail17trampoline_kernelINS0_14default_configENS1_25partition_config_selectorILNS1_17partition_subalgoE5EdNS0_10empty_typeEbEEZZNS1_14partition_implILS5_5ELb0ES3_mN6thrust23THRUST_200600_302600_NS6detail15normal_iteratorINSA_10device_ptrIdEEEEPS6_NSA_18transform_iteratorINSB_9not_fun_tI7is_trueIdEEESF_NSA_11use_defaultESM_EENS0_5tupleIJSF_S6_EEENSO_IJSG_SG_EEES6_PlJS6_EEE10hipError_tPvRmT3_T4_T5_T6_T7_T9_mT8_P12ihipStream_tbDpT10_ENKUlT_T0_E_clISt17integral_constantIbLb0EES1B_EEDaS16_S17_EUlS16_E_NS1_11comp_targetILNS1_3genE4ELNS1_11target_archE910ELNS1_3gpuE8ELNS1_3repE0EEENS1_30default_config_static_selectorELNS0_4arch9wavefront6targetE0EEEvT1_,@function
_ZN7rocprim17ROCPRIM_400000_NS6detail17trampoline_kernelINS0_14default_configENS1_25partition_config_selectorILNS1_17partition_subalgoE5EdNS0_10empty_typeEbEEZZNS1_14partition_implILS5_5ELb0ES3_mN6thrust23THRUST_200600_302600_NS6detail15normal_iteratorINSA_10device_ptrIdEEEEPS6_NSA_18transform_iteratorINSB_9not_fun_tI7is_trueIdEEESF_NSA_11use_defaultESM_EENS0_5tupleIJSF_S6_EEENSO_IJSG_SG_EEES6_PlJS6_EEE10hipError_tPvRmT3_T4_T5_T6_T7_T9_mT8_P12ihipStream_tbDpT10_ENKUlT_T0_E_clISt17integral_constantIbLb0EES1B_EEDaS16_S17_EUlS16_E_NS1_11comp_targetILNS1_3genE4ELNS1_11target_archE910ELNS1_3gpuE8ELNS1_3repE0EEENS1_30default_config_static_selectorELNS0_4arch9wavefront6targetE0EEEvT1_: ; @_ZN7rocprim17ROCPRIM_400000_NS6detail17trampoline_kernelINS0_14default_configENS1_25partition_config_selectorILNS1_17partition_subalgoE5EdNS0_10empty_typeEbEEZZNS1_14partition_implILS5_5ELb0ES3_mN6thrust23THRUST_200600_302600_NS6detail15normal_iteratorINSA_10device_ptrIdEEEEPS6_NSA_18transform_iteratorINSB_9not_fun_tI7is_trueIdEEESF_NSA_11use_defaultESM_EENS0_5tupleIJSF_S6_EEENSO_IJSG_SG_EEES6_PlJS6_EEE10hipError_tPvRmT3_T4_T5_T6_T7_T9_mT8_P12ihipStream_tbDpT10_ENKUlT_T0_E_clISt17integral_constantIbLb0EES1B_EEDaS16_S17_EUlS16_E_NS1_11comp_targetILNS1_3genE4ELNS1_11target_archE910ELNS1_3gpuE8ELNS1_3repE0EEENS1_30default_config_static_selectorELNS0_4arch9wavefront6targetE0EEEvT1_
; %bb.0:
	.section	.rodata,"a",@progbits
	.p2align	6, 0x0
	.amdhsa_kernel _ZN7rocprim17ROCPRIM_400000_NS6detail17trampoline_kernelINS0_14default_configENS1_25partition_config_selectorILNS1_17partition_subalgoE5EdNS0_10empty_typeEbEEZZNS1_14partition_implILS5_5ELb0ES3_mN6thrust23THRUST_200600_302600_NS6detail15normal_iteratorINSA_10device_ptrIdEEEEPS6_NSA_18transform_iteratorINSB_9not_fun_tI7is_trueIdEEESF_NSA_11use_defaultESM_EENS0_5tupleIJSF_S6_EEENSO_IJSG_SG_EEES6_PlJS6_EEE10hipError_tPvRmT3_T4_T5_T6_T7_T9_mT8_P12ihipStream_tbDpT10_ENKUlT_T0_E_clISt17integral_constantIbLb0EES1B_EEDaS16_S17_EUlS16_E_NS1_11comp_targetILNS1_3genE4ELNS1_11target_archE910ELNS1_3gpuE8ELNS1_3repE0EEENS1_30default_config_static_selectorELNS0_4arch9wavefront6targetE0EEEvT1_
		.amdhsa_group_segment_fixed_size 0
		.amdhsa_private_segment_fixed_size 0
		.amdhsa_kernarg_size 120
		.amdhsa_user_sgpr_count 2
		.amdhsa_user_sgpr_dispatch_ptr 0
		.amdhsa_user_sgpr_queue_ptr 0
		.amdhsa_user_sgpr_kernarg_segment_ptr 1
		.amdhsa_user_sgpr_dispatch_id 0
		.amdhsa_user_sgpr_private_segment_size 0
		.amdhsa_wavefront_size32 1
		.amdhsa_uses_dynamic_stack 0
		.amdhsa_enable_private_segment 0
		.amdhsa_system_sgpr_workgroup_id_x 1
		.amdhsa_system_sgpr_workgroup_id_y 0
		.amdhsa_system_sgpr_workgroup_id_z 0
		.amdhsa_system_sgpr_workgroup_info 0
		.amdhsa_system_vgpr_workitem_id 0
		.amdhsa_next_free_vgpr 1
		.amdhsa_next_free_sgpr 1
		.amdhsa_reserve_vcc 0
		.amdhsa_float_round_mode_32 0
		.amdhsa_float_round_mode_16_64 0
		.amdhsa_float_denorm_mode_32 3
		.amdhsa_float_denorm_mode_16_64 3
		.amdhsa_fp16_overflow 0
		.amdhsa_workgroup_processor_mode 1
		.amdhsa_memory_ordered 1
		.amdhsa_forward_progress 1
		.amdhsa_inst_pref_size 0
		.amdhsa_round_robin_scheduling 0
		.amdhsa_exception_fp_ieee_invalid_op 0
		.amdhsa_exception_fp_denorm_src 0
		.amdhsa_exception_fp_ieee_div_zero 0
		.amdhsa_exception_fp_ieee_overflow 0
		.amdhsa_exception_fp_ieee_underflow 0
		.amdhsa_exception_fp_ieee_inexact 0
		.amdhsa_exception_int_div_zero 0
	.end_amdhsa_kernel
	.section	.text._ZN7rocprim17ROCPRIM_400000_NS6detail17trampoline_kernelINS0_14default_configENS1_25partition_config_selectorILNS1_17partition_subalgoE5EdNS0_10empty_typeEbEEZZNS1_14partition_implILS5_5ELb0ES3_mN6thrust23THRUST_200600_302600_NS6detail15normal_iteratorINSA_10device_ptrIdEEEEPS6_NSA_18transform_iteratorINSB_9not_fun_tI7is_trueIdEEESF_NSA_11use_defaultESM_EENS0_5tupleIJSF_S6_EEENSO_IJSG_SG_EEES6_PlJS6_EEE10hipError_tPvRmT3_T4_T5_T6_T7_T9_mT8_P12ihipStream_tbDpT10_ENKUlT_T0_E_clISt17integral_constantIbLb0EES1B_EEDaS16_S17_EUlS16_E_NS1_11comp_targetILNS1_3genE4ELNS1_11target_archE910ELNS1_3gpuE8ELNS1_3repE0EEENS1_30default_config_static_selectorELNS0_4arch9wavefront6targetE0EEEvT1_,"axG",@progbits,_ZN7rocprim17ROCPRIM_400000_NS6detail17trampoline_kernelINS0_14default_configENS1_25partition_config_selectorILNS1_17partition_subalgoE5EdNS0_10empty_typeEbEEZZNS1_14partition_implILS5_5ELb0ES3_mN6thrust23THRUST_200600_302600_NS6detail15normal_iteratorINSA_10device_ptrIdEEEEPS6_NSA_18transform_iteratorINSB_9not_fun_tI7is_trueIdEEESF_NSA_11use_defaultESM_EENS0_5tupleIJSF_S6_EEENSO_IJSG_SG_EEES6_PlJS6_EEE10hipError_tPvRmT3_T4_T5_T6_T7_T9_mT8_P12ihipStream_tbDpT10_ENKUlT_T0_E_clISt17integral_constantIbLb0EES1B_EEDaS16_S17_EUlS16_E_NS1_11comp_targetILNS1_3genE4ELNS1_11target_archE910ELNS1_3gpuE8ELNS1_3repE0EEENS1_30default_config_static_selectorELNS0_4arch9wavefront6targetE0EEEvT1_,comdat
.Lfunc_end1304:
	.size	_ZN7rocprim17ROCPRIM_400000_NS6detail17trampoline_kernelINS0_14default_configENS1_25partition_config_selectorILNS1_17partition_subalgoE5EdNS0_10empty_typeEbEEZZNS1_14partition_implILS5_5ELb0ES3_mN6thrust23THRUST_200600_302600_NS6detail15normal_iteratorINSA_10device_ptrIdEEEEPS6_NSA_18transform_iteratorINSB_9not_fun_tI7is_trueIdEEESF_NSA_11use_defaultESM_EENS0_5tupleIJSF_S6_EEENSO_IJSG_SG_EEES6_PlJS6_EEE10hipError_tPvRmT3_T4_T5_T6_T7_T9_mT8_P12ihipStream_tbDpT10_ENKUlT_T0_E_clISt17integral_constantIbLb0EES1B_EEDaS16_S17_EUlS16_E_NS1_11comp_targetILNS1_3genE4ELNS1_11target_archE910ELNS1_3gpuE8ELNS1_3repE0EEENS1_30default_config_static_selectorELNS0_4arch9wavefront6targetE0EEEvT1_, .Lfunc_end1304-_ZN7rocprim17ROCPRIM_400000_NS6detail17trampoline_kernelINS0_14default_configENS1_25partition_config_selectorILNS1_17partition_subalgoE5EdNS0_10empty_typeEbEEZZNS1_14partition_implILS5_5ELb0ES3_mN6thrust23THRUST_200600_302600_NS6detail15normal_iteratorINSA_10device_ptrIdEEEEPS6_NSA_18transform_iteratorINSB_9not_fun_tI7is_trueIdEEESF_NSA_11use_defaultESM_EENS0_5tupleIJSF_S6_EEENSO_IJSG_SG_EEES6_PlJS6_EEE10hipError_tPvRmT3_T4_T5_T6_T7_T9_mT8_P12ihipStream_tbDpT10_ENKUlT_T0_E_clISt17integral_constantIbLb0EES1B_EEDaS16_S17_EUlS16_E_NS1_11comp_targetILNS1_3genE4ELNS1_11target_archE910ELNS1_3gpuE8ELNS1_3repE0EEENS1_30default_config_static_selectorELNS0_4arch9wavefront6targetE0EEEvT1_
                                        ; -- End function
	.set _ZN7rocprim17ROCPRIM_400000_NS6detail17trampoline_kernelINS0_14default_configENS1_25partition_config_selectorILNS1_17partition_subalgoE5EdNS0_10empty_typeEbEEZZNS1_14partition_implILS5_5ELb0ES3_mN6thrust23THRUST_200600_302600_NS6detail15normal_iteratorINSA_10device_ptrIdEEEEPS6_NSA_18transform_iteratorINSB_9not_fun_tI7is_trueIdEEESF_NSA_11use_defaultESM_EENS0_5tupleIJSF_S6_EEENSO_IJSG_SG_EEES6_PlJS6_EEE10hipError_tPvRmT3_T4_T5_T6_T7_T9_mT8_P12ihipStream_tbDpT10_ENKUlT_T0_E_clISt17integral_constantIbLb0EES1B_EEDaS16_S17_EUlS16_E_NS1_11comp_targetILNS1_3genE4ELNS1_11target_archE910ELNS1_3gpuE8ELNS1_3repE0EEENS1_30default_config_static_selectorELNS0_4arch9wavefront6targetE0EEEvT1_.num_vgpr, 0
	.set _ZN7rocprim17ROCPRIM_400000_NS6detail17trampoline_kernelINS0_14default_configENS1_25partition_config_selectorILNS1_17partition_subalgoE5EdNS0_10empty_typeEbEEZZNS1_14partition_implILS5_5ELb0ES3_mN6thrust23THRUST_200600_302600_NS6detail15normal_iteratorINSA_10device_ptrIdEEEEPS6_NSA_18transform_iteratorINSB_9not_fun_tI7is_trueIdEEESF_NSA_11use_defaultESM_EENS0_5tupleIJSF_S6_EEENSO_IJSG_SG_EEES6_PlJS6_EEE10hipError_tPvRmT3_T4_T5_T6_T7_T9_mT8_P12ihipStream_tbDpT10_ENKUlT_T0_E_clISt17integral_constantIbLb0EES1B_EEDaS16_S17_EUlS16_E_NS1_11comp_targetILNS1_3genE4ELNS1_11target_archE910ELNS1_3gpuE8ELNS1_3repE0EEENS1_30default_config_static_selectorELNS0_4arch9wavefront6targetE0EEEvT1_.num_agpr, 0
	.set _ZN7rocprim17ROCPRIM_400000_NS6detail17trampoline_kernelINS0_14default_configENS1_25partition_config_selectorILNS1_17partition_subalgoE5EdNS0_10empty_typeEbEEZZNS1_14partition_implILS5_5ELb0ES3_mN6thrust23THRUST_200600_302600_NS6detail15normal_iteratorINSA_10device_ptrIdEEEEPS6_NSA_18transform_iteratorINSB_9not_fun_tI7is_trueIdEEESF_NSA_11use_defaultESM_EENS0_5tupleIJSF_S6_EEENSO_IJSG_SG_EEES6_PlJS6_EEE10hipError_tPvRmT3_T4_T5_T6_T7_T9_mT8_P12ihipStream_tbDpT10_ENKUlT_T0_E_clISt17integral_constantIbLb0EES1B_EEDaS16_S17_EUlS16_E_NS1_11comp_targetILNS1_3genE4ELNS1_11target_archE910ELNS1_3gpuE8ELNS1_3repE0EEENS1_30default_config_static_selectorELNS0_4arch9wavefront6targetE0EEEvT1_.numbered_sgpr, 0
	.set _ZN7rocprim17ROCPRIM_400000_NS6detail17trampoline_kernelINS0_14default_configENS1_25partition_config_selectorILNS1_17partition_subalgoE5EdNS0_10empty_typeEbEEZZNS1_14partition_implILS5_5ELb0ES3_mN6thrust23THRUST_200600_302600_NS6detail15normal_iteratorINSA_10device_ptrIdEEEEPS6_NSA_18transform_iteratorINSB_9not_fun_tI7is_trueIdEEESF_NSA_11use_defaultESM_EENS0_5tupleIJSF_S6_EEENSO_IJSG_SG_EEES6_PlJS6_EEE10hipError_tPvRmT3_T4_T5_T6_T7_T9_mT8_P12ihipStream_tbDpT10_ENKUlT_T0_E_clISt17integral_constantIbLb0EES1B_EEDaS16_S17_EUlS16_E_NS1_11comp_targetILNS1_3genE4ELNS1_11target_archE910ELNS1_3gpuE8ELNS1_3repE0EEENS1_30default_config_static_selectorELNS0_4arch9wavefront6targetE0EEEvT1_.num_named_barrier, 0
	.set _ZN7rocprim17ROCPRIM_400000_NS6detail17trampoline_kernelINS0_14default_configENS1_25partition_config_selectorILNS1_17partition_subalgoE5EdNS0_10empty_typeEbEEZZNS1_14partition_implILS5_5ELb0ES3_mN6thrust23THRUST_200600_302600_NS6detail15normal_iteratorINSA_10device_ptrIdEEEEPS6_NSA_18transform_iteratorINSB_9not_fun_tI7is_trueIdEEESF_NSA_11use_defaultESM_EENS0_5tupleIJSF_S6_EEENSO_IJSG_SG_EEES6_PlJS6_EEE10hipError_tPvRmT3_T4_T5_T6_T7_T9_mT8_P12ihipStream_tbDpT10_ENKUlT_T0_E_clISt17integral_constantIbLb0EES1B_EEDaS16_S17_EUlS16_E_NS1_11comp_targetILNS1_3genE4ELNS1_11target_archE910ELNS1_3gpuE8ELNS1_3repE0EEENS1_30default_config_static_selectorELNS0_4arch9wavefront6targetE0EEEvT1_.private_seg_size, 0
	.set _ZN7rocprim17ROCPRIM_400000_NS6detail17trampoline_kernelINS0_14default_configENS1_25partition_config_selectorILNS1_17partition_subalgoE5EdNS0_10empty_typeEbEEZZNS1_14partition_implILS5_5ELb0ES3_mN6thrust23THRUST_200600_302600_NS6detail15normal_iteratorINSA_10device_ptrIdEEEEPS6_NSA_18transform_iteratorINSB_9not_fun_tI7is_trueIdEEESF_NSA_11use_defaultESM_EENS0_5tupleIJSF_S6_EEENSO_IJSG_SG_EEES6_PlJS6_EEE10hipError_tPvRmT3_T4_T5_T6_T7_T9_mT8_P12ihipStream_tbDpT10_ENKUlT_T0_E_clISt17integral_constantIbLb0EES1B_EEDaS16_S17_EUlS16_E_NS1_11comp_targetILNS1_3genE4ELNS1_11target_archE910ELNS1_3gpuE8ELNS1_3repE0EEENS1_30default_config_static_selectorELNS0_4arch9wavefront6targetE0EEEvT1_.uses_vcc, 0
	.set _ZN7rocprim17ROCPRIM_400000_NS6detail17trampoline_kernelINS0_14default_configENS1_25partition_config_selectorILNS1_17partition_subalgoE5EdNS0_10empty_typeEbEEZZNS1_14partition_implILS5_5ELb0ES3_mN6thrust23THRUST_200600_302600_NS6detail15normal_iteratorINSA_10device_ptrIdEEEEPS6_NSA_18transform_iteratorINSB_9not_fun_tI7is_trueIdEEESF_NSA_11use_defaultESM_EENS0_5tupleIJSF_S6_EEENSO_IJSG_SG_EEES6_PlJS6_EEE10hipError_tPvRmT3_T4_T5_T6_T7_T9_mT8_P12ihipStream_tbDpT10_ENKUlT_T0_E_clISt17integral_constantIbLb0EES1B_EEDaS16_S17_EUlS16_E_NS1_11comp_targetILNS1_3genE4ELNS1_11target_archE910ELNS1_3gpuE8ELNS1_3repE0EEENS1_30default_config_static_selectorELNS0_4arch9wavefront6targetE0EEEvT1_.uses_flat_scratch, 0
	.set _ZN7rocprim17ROCPRIM_400000_NS6detail17trampoline_kernelINS0_14default_configENS1_25partition_config_selectorILNS1_17partition_subalgoE5EdNS0_10empty_typeEbEEZZNS1_14partition_implILS5_5ELb0ES3_mN6thrust23THRUST_200600_302600_NS6detail15normal_iteratorINSA_10device_ptrIdEEEEPS6_NSA_18transform_iteratorINSB_9not_fun_tI7is_trueIdEEESF_NSA_11use_defaultESM_EENS0_5tupleIJSF_S6_EEENSO_IJSG_SG_EEES6_PlJS6_EEE10hipError_tPvRmT3_T4_T5_T6_T7_T9_mT8_P12ihipStream_tbDpT10_ENKUlT_T0_E_clISt17integral_constantIbLb0EES1B_EEDaS16_S17_EUlS16_E_NS1_11comp_targetILNS1_3genE4ELNS1_11target_archE910ELNS1_3gpuE8ELNS1_3repE0EEENS1_30default_config_static_selectorELNS0_4arch9wavefront6targetE0EEEvT1_.has_dyn_sized_stack, 0
	.set _ZN7rocprim17ROCPRIM_400000_NS6detail17trampoline_kernelINS0_14default_configENS1_25partition_config_selectorILNS1_17partition_subalgoE5EdNS0_10empty_typeEbEEZZNS1_14partition_implILS5_5ELb0ES3_mN6thrust23THRUST_200600_302600_NS6detail15normal_iteratorINSA_10device_ptrIdEEEEPS6_NSA_18transform_iteratorINSB_9not_fun_tI7is_trueIdEEESF_NSA_11use_defaultESM_EENS0_5tupleIJSF_S6_EEENSO_IJSG_SG_EEES6_PlJS6_EEE10hipError_tPvRmT3_T4_T5_T6_T7_T9_mT8_P12ihipStream_tbDpT10_ENKUlT_T0_E_clISt17integral_constantIbLb0EES1B_EEDaS16_S17_EUlS16_E_NS1_11comp_targetILNS1_3genE4ELNS1_11target_archE910ELNS1_3gpuE8ELNS1_3repE0EEENS1_30default_config_static_selectorELNS0_4arch9wavefront6targetE0EEEvT1_.has_recursion, 0
	.set _ZN7rocprim17ROCPRIM_400000_NS6detail17trampoline_kernelINS0_14default_configENS1_25partition_config_selectorILNS1_17partition_subalgoE5EdNS0_10empty_typeEbEEZZNS1_14partition_implILS5_5ELb0ES3_mN6thrust23THRUST_200600_302600_NS6detail15normal_iteratorINSA_10device_ptrIdEEEEPS6_NSA_18transform_iteratorINSB_9not_fun_tI7is_trueIdEEESF_NSA_11use_defaultESM_EENS0_5tupleIJSF_S6_EEENSO_IJSG_SG_EEES6_PlJS6_EEE10hipError_tPvRmT3_T4_T5_T6_T7_T9_mT8_P12ihipStream_tbDpT10_ENKUlT_T0_E_clISt17integral_constantIbLb0EES1B_EEDaS16_S17_EUlS16_E_NS1_11comp_targetILNS1_3genE4ELNS1_11target_archE910ELNS1_3gpuE8ELNS1_3repE0EEENS1_30default_config_static_selectorELNS0_4arch9wavefront6targetE0EEEvT1_.has_indirect_call, 0
	.section	.AMDGPU.csdata,"",@progbits
; Kernel info:
; codeLenInByte = 0
; TotalNumSgprs: 0
; NumVgprs: 0
; ScratchSize: 0
; MemoryBound: 0
; FloatMode: 240
; IeeeMode: 1
; LDSByteSize: 0 bytes/workgroup (compile time only)
; SGPRBlocks: 0
; VGPRBlocks: 0
; NumSGPRsForWavesPerEU: 1
; NumVGPRsForWavesPerEU: 1
; Occupancy: 16
; WaveLimiterHint : 0
; COMPUTE_PGM_RSRC2:SCRATCH_EN: 0
; COMPUTE_PGM_RSRC2:USER_SGPR: 2
; COMPUTE_PGM_RSRC2:TRAP_HANDLER: 0
; COMPUTE_PGM_RSRC2:TGID_X_EN: 1
; COMPUTE_PGM_RSRC2:TGID_Y_EN: 0
; COMPUTE_PGM_RSRC2:TGID_Z_EN: 0
; COMPUTE_PGM_RSRC2:TIDIG_COMP_CNT: 0
	.section	.text._ZN7rocprim17ROCPRIM_400000_NS6detail17trampoline_kernelINS0_14default_configENS1_25partition_config_selectorILNS1_17partition_subalgoE5EdNS0_10empty_typeEbEEZZNS1_14partition_implILS5_5ELb0ES3_mN6thrust23THRUST_200600_302600_NS6detail15normal_iteratorINSA_10device_ptrIdEEEEPS6_NSA_18transform_iteratorINSB_9not_fun_tI7is_trueIdEEESF_NSA_11use_defaultESM_EENS0_5tupleIJSF_S6_EEENSO_IJSG_SG_EEES6_PlJS6_EEE10hipError_tPvRmT3_T4_T5_T6_T7_T9_mT8_P12ihipStream_tbDpT10_ENKUlT_T0_E_clISt17integral_constantIbLb0EES1B_EEDaS16_S17_EUlS16_E_NS1_11comp_targetILNS1_3genE3ELNS1_11target_archE908ELNS1_3gpuE7ELNS1_3repE0EEENS1_30default_config_static_selectorELNS0_4arch9wavefront6targetE0EEEvT1_,"axG",@progbits,_ZN7rocprim17ROCPRIM_400000_NS6detail17trampoline_kernelINS0_14default_configENS1_25partition_config_selectorILNS1_17partition_subalgoE5EdNS0_10empty_typeEbEEZZNS1_14partition_implILS5_5ELb0ES3_mN6thrust23THRUST_200600_302600_NS6detail15normal_iteratorINSA_10device_ptrIdEEEEPS6_NSA_18transform_iteratorINSB_9not_fun_tI7is_trueIdEEESF_NSA_11use_defaultESM_EENS0_5tupleIJSF_S6_EEENSO_IJSG_SG_EEES6_PlJS6_EEE10hipError_tPvRmT3_T4_T5_T6_T7_T9_mT8_P12ihipStream_tbDpT10_ENKUlT_T0_E_clISt17integral_constantIbLb0EES1B_EEDaS16_S17_EUlS16_E_NS1_11comp_targetILNS1_3genE3ELNS1_11target_archE908ELNS1_3gpuE7ELNS1_3repE0EEENS1_30default_config_static_selectorELNS0_4arch9wavefront6targetE0EEEvT1_,comdat
	.protected	_ZN7rocprim17ROCPRIM_400000_NS6detail17trampoline_kernelINS0_14default_configENS1_25partition_config_selectorILNS1_17partition_subalgoE5EdNS0_10empty_typeEbEEZZNS1_14partition_implILS5_5ELb0ES3_mN6thrust23THRUST_200600_302600_NS6detail15normal_iteratorINSA_10device_ptrIdEEEEPS6_NSA_18transform_iteratorINSB_9not_fun_tI7is_trueIdEEESF_NSA_11use_defaultESM_EENS0_5tupleIJSF_S6_EEENSO_IJSG_SG_EEES6_PlJS6_EEE10hipError_tPvRmT3_T4_T5_T6_T7_T9_mT8_P12ihipStream_tbDpT10_ENKUlT_T0_E_clISt17integral_constantIbLb0EES1B_EEDaS16_S17_EUlS16_E_NS1_11comp_targetILNS1_3genE3ELNS1_11target_archE908ELNS1_3gpuE7ELNS1_3repE0EEENS1_30default_config_static_selectorELNS0_4arch9wavefront6targetE0EEEvT1_ ; -- Begin function _ZN7rocprim17ROCPRIM_400000_NS6detail17trampoline_kernelINS0_14default_configENS1_25partition_config_selectorILNS1_17partition_subalgoE5EdNS0_10empty_typeEbEEZZNS1_14partition_implILS5_5ELb0ES3_mN6thrust23THRUST_200600_302600_NS6detail15normal_iteratorINSA_10device_ptrIdEEEEPS6_NSA_18transform_iteratorINSB_9not_fun_tI7is_trueIdEEESF_NSA_11use_defaultESM_EENS0_5tupleIJSF_S6_EEENSO_IJSG_SG_EEES6_PlJS6_EEE10hipError_tPvRmT3_T4_T5_T6_T7_T9_mT8_P12ihipStream_tbDpT10_ENKUlT_T0_E_clISt17integral_constantIbLb0EES1B_EEDaS16_S17_EUlS16_E_NS1_11comp_targetILNS1_3genE3ELNS1_11target_archE908ELNS1_3gpuE7ELNS1_3repE0EEENS1_30default_config_static_selectorELNS0_4arch9wavefront6targetE0EEEvT1_
	.globl	_ZN7rocprim17ROCPRIM_400000_NS6detail17trampoline_kernelINS0_14default_configENS1_25partition_config_selectorILNS1_17partition_subalgoE5EdNS0_10empty_typeEbEEZZNS1_14partition_implILS5_5ELb0ES3_mN6thrust23THRUST_200600_302600_NS6detail15normal_iteratorINSA_10device_ptrIdEEEEPS6_NSA_18transform_iteratorINSB_9not_fun_tI7is_trueIdEEESF_NSA_11use_defaultESM_EENS0_5tupleIJSF_S6_EEENSO_IJSG_SG_EEES6_PlJS6_EEE10hipError_tPvRmT3_T4_T5_T6_T7_T9_mT8_P12ihipStream_tbDpT10_ENKUlT_T0_E_clISt17integral_constantIbLb0EES1B_EEDaS16_S17_EUlS16_E_NS1_11comp_targetILNS1_3genE3ELNS1_11target_archE908ELNS1_3gpuE7ELNS1_3repE0EEENS1_30default_config_static_selectorELNS0_4arch9wavefront6targetE0EEEvT1_
	.p2align	8
	.type	_ZN7rocprim17ROCPRIM_400000_NS6detail17trampoline_kernelINS0_14default_configENS1_25partition_config_selectorILNS1_17partition_subalgoE5EdNS0_10empty_typeEbEEZZNS1_14partition_implILS5_5ELb0ES3_mN6thrust23THRUST_200600_302600_NS6detail15normal_iteratorINSA_10device_ptrIdEEEEPS6_NSA_18transform_iteratorINSB_9not_fun_tI7is_trueIdEEESF_NSA_11use_defaultESM_EENS0_5tupleIJSF_S6_EEENSO_IJSG_SG_EEES6_PlJS6_EEE10hipError_tPvRmT3_T4_T5_T6_T7_T9_mT8_P12ihipStream_tbDpT10_ENKUlT_T0_E_clISt17integral_constantIbLb0EES1B_EEDaS16_S17_EUlS16_E_NS1_11comp_targetILNS1_3genE3ELNS1_11target_archE908ELNS1_3gpuE7ELNS1_3repE0EEENS1_30default_config_static_selectorELNS0_4arch9wavefront6targetE0EEEvT1_,@function
_ZN7rocprim17ROCPRIM_400000_NS6detail17trampoline_kernelINS0_14default_configENS1_25partition_config_selectorILNS1_17partition_subalgoE5EdNS0_10empty_typeEbEEZZNS1_14partition_implILS5_5ELb0ES3_mN6thrust23THRUST_200600_302600_NS6detail15normal_iteratorINSA_10device_ptrIdEEEEPS6_NSA_18transform_iteratorINSB_9not_fun_tI7is_trueIdEEESF_NSA_11use_defaultESM_EENS0_5tupleIJSF_S6_EEENSO_IJSG_SG_EEES6_PlJS6_EEE10hipError_tPvRmT3_T4_T5_T6_T7_T9_mT8_P12ihipStream_tbDpT10_ENKUlT_T0_E_clISt17integral_constantIbLb0EES1B_EEDaS16_S17_EUlS16_E_NS1_11comp_targetILNS1_3genE3ELNS1_11target_archE908ELNS1_3gpuE7ELNS1_3repE0EEENS1_30default_config_static_selectorELNS0_4arch9wavefront6targetE0EEEvT1_: ; @_ZN7rocprim17ROCPRIM_400000_NS6detail17trampoline_kernelINS0_14default_configENS1_25partition_config_selectorILNS1_17partition_subalgoE5EdNS0_10empty_typeEbEEZZNS1_14partition_implILS5_5ELb0ES3_mN6thrust23THRUST_200600_302600_NS6detail15normal_iteratorINSA_10device_ptrIdEEEEPS6_NSA_18transform_iteratorINSB_9not_fun_tI7is_trueIdEEESF_NSA_11use_defaultESM_EENS0_5tupleIJSF_S6_EEENSO_IJSG_SG_EEES6_PlJS6_EEE10hipError_tPvRmT3_T4_T5_T6_T7_T9_mT8_P12ihipStream_tbDpT10_ENKUlT_T0_E_clISt17integral_constantIbLb0EES1B_EEDaS16_S17_EUlS16_E_NS1_11comp_targetILNS1_3genE3ELNS1_11target_archE908ELNS1_3gpuE7ELNS1_3repE0EEENS1_30default_config_static_selectorELNS0_4arch9wavefront6targetE0EEEvT1_
; %bb.0:
	.section	.rodata,"a",@progbits
	.p2align	6, 0x0
	.amdhsa_kernel _ZN7rocprim17ROCPRIM_400000_NS6detail17trampoline_kernelINS0_14default_configENS1_25partition_config_selectorILNS1_17partition_subalgoE5EdNS0_10empty_typeEbEEZZNS1_14partition_implILS5_5ELb0ES3_mN6thrust23THRUST_200600_302600_NS6detail15normal_iteratorINSA_10device_ptrIdEEEEPS6_NSA_18transform_iteratorINSB_9not_fun_tI7is_trueIdEEESF_NSA_11use_defaultESM_EENS0_5tupleIJSF_S6_EEENSO_IJSG_SG_EEES6_PlJS6_EEE10hipError_tPvRmT3_T4_T5_T6_T7_T9_mT8_P12ihipStream_tbDpT10_ENKUlT_T0_E_clISt17integral_constantIbLb0EES1B_EEDaS16_S17_EUlS16_E_NS1_11comp_targetILNS1_3genE3ELNS1_11target_archE908ELNS1_3gpuE7ELNS1_3repE0EEENS1_30default_config_static_selectorELNS0_4arch9wavefront6targetE0EEEvT1_
		.amdhsa_group_segment_fixed_size 0
		.amdhsa_private_segment_fixed_size 0
		.amdhsa_kernarg_size 120
		.amdhsa_user_sgpr_count 2
		.amdhsa_user_sgpr_dispatch_ptr 0
		.amdhsa_user_sgpr_queue_ptr 0
		.amdhsa_user_sgpr_kernarg_segment_ptr 1
		.amdhsa_user_sgpr_dispatch_id 0
		.amdhsa_user_sgpr_private_segment_size 0
		.amdhsa_wavefront_size32 1
		.amdhsa_uses_dynamic_stack 0
		.amdhsa_enable_private_segment 0
		.amdhsa_system_sgpr_workgroup_id_x 1
		.amdhsa_system_sgpr_workgroup_id_y 0
		.amdhsa_system_sgpr_workgroup_id_z 0
		.amdhsa_system_sgpr_workgroup_info 0
		.amdhsa_system_vgpr_workitem_id 0
		.amdhsa_next_free_vgpr 1
		.amdhsa_next_free_sgpr 1
		.amdhsa_reserve_vcc 0
		.amdhsa_float_round_mode_32 0
		.amdhsa_float_round_mode_16_64 0
		.amdhsa_float_denorm_mode_32 3
		.amdhsa_float_denorm_mode_16_64 3
		.amdhsa_fp16_overflow 0
		.amdhsa_workgroup_processor_mode 1
		.amdhsa_memory_ordered 1
		.amdhsa_forward_progress 1
		.amdhsa_inst_pref_size 0
		.amdhsa_round_robin_scheduling 0
		.amdhsa_exception_fp_ieee_invalid_op 0
		.amdhsa_exception_fp_denorm_src 0
		.amdhsa_exception_fp_ieee_div_zero 0
		.amdhsa_exception_fp_ieee_overflow 0
		.amdhsa_exception_fp_ieee_underflow 0
		.amdhsa_exception_fp_ieee_inexact 0
		.amdhsa_exception_int_div_zero 0
	.end_amdhsa_kernel
	.section	.text._ZN7rocprim17ROCPRIM_400000_NS6detail17trampoline_kernelINS0_14default_configENS1_25partition_config_selectorILNS1_17partition_subalgoE5EdNS0_10empty_typeEbEEZZNS1_14partition_implILS5_5ELb0ES3_mN6thrust23THRUST_200600_302600_NS6detail15normal_iteratorINSA_10device_ptrIdEEEEPS6_NSA_18transform_iteratorINSB_9not_fun_tI7is_trueIdEEESF_NSA_11use_defaultESM_EENS0_5tupleIJSF_S6_EEENSO_IJSG_SG_EEES6_PlJS6_EEE10hipError_tPvRmT3_T4_T5_T6_T7_T9_mT8_P12ihipStream_tbDpT10_ENKUlT_T0_E_clISt17integral_constantIbLb0EES1B_EEDaS16_S17_EUlS16_E_NS1_11comp_targetILNS1_3genE3ELNS1_11target_archE908ELNS1_3gpuE7ELNS1_3repE0EEENS1_30default_config_static_selectorELNS0_4arch9wavefront6targetE0EEEvT1_,"axG",@progbits,_ZN7rocprim17ROCPRIM_400000_NS6detail17trampoline_kernelINS0_14default_configENS1_25partition_config_selectorILNS1_17partition_subalgoE5EdNS0_10empty_typeEbEEZZNS1_14partition_implILS5_5ELb0ES3_mN6thrust23THRUST_200600_302600_NS6detail15normal_iteratorINSA_10device_ptrIdEEEEPS6_NSA_18transform_iteratorINSB_9not_fun_tI7is_trueIdEEESF_NSA_11use_defaultESM_EENS0_5tupleIJSF_S6_EEENSO_IJSG_SG_EEES6_PlJS6_EEE10hipError_tPvRmT3_T4_T5_T6_T7_T9_mT8_P12ihipStream_tbDpT10_ENKUlT_T0_E_clISt17integral_constantIbLb0EES1B_EEDaS16_S17_EUlS16_E_NS1_11comp_targetILNS1_3genE3ELNS1_11target_archE908ELNS1_3gpuE7ELNS1_3repE0EEENS1_30default_config_static_selectorELNS0_4arch9wavefront6targetE0EEEvT1_,comdat
.Lfunc_end1305:
	.size	_ZN7rocprim17ROCPRIM_400000_NS6detail17trampoline_kernelINS0_14default_configENS1_25partition_config_selectorILNS1_17partition_subalgoE5EdNS0_10empty_typeEbEEZZNS1_14partition_implILS5_5ELb0ES3_mN6thrust23THRUST_200600_302600_NS6detail15normal_iteratorINSA_10device_ptrIdEEEEPS6_NSA_18transform_iteratorINSB_9not_fun_tI7is_trueIdEEESF_NSA_11use_defaultESM_EENS0_5tupleIJSF_S6_EEENSO_IJSG_SG_EEES6_PlJS6_EEE10hipError_tPvRmT3_T4_T5_T6_T7_T9_mT8_P12ihipStream_tbDpT10_ENKUlT_T0_E_clISt17integral_constantIbLb0EES1B_EEDaS16_S17_EUlS16_E_NS1_11comp_targetILNS1_3genE3ELNS1_11target_archE908ELNS1_3gpuE7ELNS1_3repE0EEENS1_30default_config_static_selectorELNS0_4arch9wavefront6targetE0EEEvT1_, .Lfunc_end1305-_ZN7rocprim17ROCPRIM_400000_NS6detail17trampoline_kernelINS0_14default_configENS1_25partition_config_selectorILNS1_17partition_subalgoE5EdNS0_10empty_typeEbEEZZNS1_14partition_implILS5_5ELb0ES3_mN6thrust23THRUST_200600_302600_NS6detail15normal_iteratorINSA_10device_ptrIdEEEEPS6_NSA_18transform_iteratorINSB_9not_fun_tI7is_trueIdEEESF_NSA_11use_defaultESM_EENS0_5tupleIJSF_S6_EEENSO_IJSG_SG_EEES6_PlJS6_EEE10hipError_tPvRmT3_T4_T5_T6_T7_T9_mT8_P12ihipStream_tbDpT10_ENKUlT_T0_E_clISt17integral_constantIbLb0EES1B_EEDaS16_S17_EUlS16_E_NS1_11comp_targetILNS1_3genE3ELNS1_11target_archE908ELNS1_3gpuE7ELNS1_3repE0EEENS1_30default_config_static_selectorELNS0_4arch9wavefront6targetE0EEEvT1_
                                        ; -- End function
	.set _ZN7rocprim17ROCPRIM_400000_NS6detail17trampoline_kernelINS0_14default_configENS1_25partition_config_selectorILNS1_17partition_subalgoE5EdNS0_10empty_typeEbEEZZNS1_14partition_implILS5_5ELb0ES3_mN6thrust23THRUST_200600_302600_NS6detail15normal_iteratorINSA_10device_ptrIdEEEEPS6_NSA_18transform_iteratorINSB_9not_fun_tI7is_trueIdEEESF_NSA_11use_defaultESM_EENS0_5tupleIJSF_S6_EEENSO_IJSG_SG_EEES6_PlJS6_EEE10hipError_tPvRmT3_T4_T5_T6_T7_T9_mT8_P12ihipStream_tbDpT10_ENKUlT_T0_E_clISt17integral_constantIbLb0EES1B_EEDaS16_S17_EUlS16_E_NS1_11comp_targetILNS1_3genE3ELNS1_11target_archE908ELNS1_3gpuE7ELNS1_3repE0EEENS1_30default_config_static_selectorELNS0_4arch9wavefront6targetE0EEEvT1_.num_vgpr, 0
	.set _ZN7rocprim17ROCPRIM_400000_NS6detail17trampoline_kernelINS0_14default_configENS1_25partition_config_selectorILNS1_17partition_subalgoE5EdNS0_10empty_typeEbEEZZNS1_14partition_implILS5_5ELb0ES3_mN6thrust23THRUST_200600_302600_NS6detail15normal_iteratorINSA_10device_ptrIdEEEEPS6_NSA_18transform_iteratorINSB_9not_fun_tI7is_trueIdEEESF_NSA_11use_defaultESM_EENS0_5tupleIJSF_S6_EEENSO_IJSG_SG_EEES6_PlJS6_EEE10hipError_tPvRmT3_T4_T5_T6_T7_T9_mT8_P12ihipStream_tbDpT10_ENKUlT_T0_E_clISt17integral_constantIbLb0EES1B_EEDaS16_S17_EUlS16_E_NS1_11comp_targetILNS1_3genE3ELNS1_11target_archE908ELNS1_3gpuE7ELNS1_3repE0EEENS1_30default_config_static_selectorELNS0_4arch9wavefront6targetE0EEEvT1_.num_agpr, 0
	.set _ZN7rocprim17ROCPRIM_400000_NS6detail17trampoline_kernelINS0_14default_configENS1_25partition_config_selectorILNS1_17partition_subalgoE5EdNS0_10empty_typeEbEEZZNS1_14partition_implILS5_5ELb0ES3_mN6thrust23THRUST_200600_302600_NS6detail15normal_iteratorINSA_10device_ptrIdEEEEPS6_NSA_18transform_iteratorINSB_9not_fun_tI7is_trueIdEEESF_NSA_11use_defaultESM_EENS0_5tupleIJSF_S6_EEENSO_IJSG_SG_EEES6_PlJS6_EEE10hipError_tPvRmT3_T4_T5_T6_T7_T9_mT8_P12ihipStream_tbDpT10_ENKUlT_T0_E_clISt17integral_constantIbLb0EES1B_EEDaS16_S17_EUlS16_E_NS1_11comp_targetILNS1_3genE3ELNS1_11target_archE908ELNS1_3gpuE7ELNS1_3repE0EEENS1_30default_config_static_selectorELNS0_4arch9wavefront6targetE0EEEvT1_.numbered_sgpr, 0
	.set _ZN7rocprim17ROCPRIM_400000_NS6detail17trampoline_kernelINS0_14default_configENS1_25partition_config_selectorILNS1_17partition_subalgoE5EdNS0_10empty_typeEbEEZZNS1_14partition_implILS5_5ELb0ES3_mN6thrust23THRUST_200600_302600_NS6detail15normal_iteratorINSA_10device_ptrIdEEEEPS6_NSA_18transform_iteratorINSB_9not_fun_tI7is_trueIdEEESF_NSA_11use_defaultESM_EENS0_5tupleIJSF_S6_EEENSO_IJSG_SG_EEES6_PlJS6_EEE10hipError_tPvRmT3_T4_T5_T6_T7_T9_mT8_P12ihipStream_tbDpT10_ENKUlT_T0_E_clISt17integral_constantIbLb0EES1B_EEDaS16_S17_EUlS16_E_NS1_11comp_targetILNS1_3genE3ELNS1_11target_archE908ELNS1_3gpuE7ELNS1_3repE0EEENS1_30default_config_static_selectorELNS0_4arch9wavefront6targetE0EEEvT1_.num_named_barrier, 0
	.set _ZN7rocprim17ROCPRIM_400000_NS6detail17trampoline_kernelINS0_14default_configENS1_25partition_config_selectorILNS1_17partition_subalgoE5EdNS0_10empty_typeEbEEZZNS1_14partition_implILS5_5ELb0ES3_mN6thrust23THRUST_200600_302600_NS6detail15normal_iteratorINSA_10device_ptrIdEEEEPS6_NSA_18transform_iteratorINSB_9not_fun_tI7is_trueIdEEESF_NSA_11use_defaultESM_EENS0_5tupleIJSF_S6_EEENSO_IJSG_SG_EEES6_PlJS6_EEE10hipError_tPvRmT3_T4_T5_T6_T7_T9_mT8_P12ihipStream_tbDpT10_ENKUlT_T0_E_clISt17integral_constantIbLb0EES1B_EEDaS16_S17_EUlS16_E_NS1_11comp_targetILNS1_3genE3ELNS1_11target_archE908ELNS1_3gpuE7ELNS1_3repE0EEENS1_30default_config_static_selectorELNS0_4arch9wavefront6targetE0EEEvT1_.private_seg_size, 0
	.set _ZN7rocprim17ROCPRIM_400000_NS6detail17trampoline_kernelINS0_14default_configENS1_25partition_config_selectorILNS1_17partition_subalgoE5EdNS0_10empty_typeEbEEZZNS1_14partition_implILS5_5ELb0ES3_mN6thrust23THRUST_200600_302600_NS6detail15normal_iteratorINSA_10device_ptrIdEEEEPS6_NSA_18transform_iteratorINSB_9not_fun_tI7is_trueIdEEESF_NSA_11use_defaultESM_EENS0_5tupleIJSF_S6_EEENSO_IJSG_SG_EEES6_PlJS6_EEE10hipError_tPvRmT3_T4_T5_T6_T7_T9_mT8_P12ihipStream_tbDpT10_ENKUlT_T0_E_clISt17integral_constantIbLb0EES1B_EEDaS16_S17_EUlS16_E_NS1_11comp_targetILNS1_3genE3ELNS1_11target_archE908ELNS1_3gpuE7ELNS1_3repE0EEENS1_30default_config_static_selectorELNS0_4arch9wavefront6targetE0EEEvT1_.uses_vcc, 0
	.set _ZN7rocprim17ROCPRIM_400000_NS6detail17trampoline_kernelINS0_14default_configENS1_25partition_config_selectorILNS1_17partition_subalgoE5EdNS0_10empty_typeEbEEZZNS1_14partition_implILS5_5ELb0ES3_mN6thrust23THRUST_200600_302600_NS6detail15normal_iteratorINSA_10device_ptrIdEEEEPS6_NSA_18transform_iteratorINSB_9not_fun_tI7is_trueIdEEESF_NSA_11use_defaultESM_EENS0_5tupleIJSF_S6_EEENSO_IJSG_SG_EEES6_PlJS6_EEE10hipError_tPvRmT3_T4_T5_T6_T7_T9_mT8_P12ihipStream_tbDpT10_ENKUlT_T0_E_clISt17integral_constantIbLb0EES1B_EEDaS16_S17_EUlS16_E_NS1_11comp_targetILNS1_3genE3ELNS1_11target_archE908ELNS1_3gpuE7ELNS1_3repE0EEENS1_30default_config_static_selectorELNS0_4arch9wavefront6targetE0EEEvT1_.uses_flat_scratch, 0
	.set _ZN7rocprim17ROCPRIM_400000_NS6detail17trampoline_kernelINS0_14default_configENS1_25partition_config_selectorILNS1_17partition_subalgoE5EdNS0_10empty_typeEbEEZZNS1_14partition_implILS5_5ELb0ES3_mN6thrust23THRUST_200600_302600_NS6detail15normal_iteratorINSA_10device_ptrIdEEEEPS6_NSA_18transform_iteratorINSB_9not_fun_tI7is_trueIdEEESF_NSA_11use_defaultESM_EENS0_5tupleIJSF_S6_EEENSO_IJSG_SG_EEES6_PlJS6_EEE10hipError_tPvRmT3_T4_T5_T6_T7_T9_mT8_P12ihipStream_tbDpT10_ENKUlT_T0_E_clISt17integral_constantIbLb0EES1B_EEDaS16_S17_EUlS16_E_NS1_11comp_targetILNS1_3genE3ELNS1_11target_archE908ELNS1_3gpuE7ELNS1_3repE0EEENS1_30default_config_static_selectorELNS0_4arch9wavefront6targetE0EEEvT1_.has_dyn_sized_stack, 0
	.set _ZN7rocprim17ROCPRIM_400000_NS6detail17trampoline_kernelINS0_14default_configENS1_25partition_config_selectorILNS1_17partition_subalgoE5EdNS0_10empty_typeEbEEZZNS1_14partition_implILS5_5ELb0ES3_mN6thrust23THRUST_200600_302600_NS6detail15normal_iteratorINSA_10device_ptrIdEEEEPS6_NSA_18transform_iteratorINSB_9not_fun_tI7is_trueIdEEESF_NSA_11use_defaultESM_EENS0_5tupleIJSF_S6_EEENSO_IJSG_SG_EEES6_PlJS6_EEE10hipError_tPvRmT3_T4_T5_T6_T7_T9_mT8_P12ihipStream_tbDpT10_ENKUlT_T0_E_clISt17integral_constantIbLb0EES1B_EEDaS16_S17_EUlS16_E_NS1_11comp_targetILNS1_3genE3ELNS1_11target_archE908ELNS1_3gpuE7ELNS1_3repE0EEENS1_30default_config_static_selectorELNS0_4arch9wavefront6targetE0EEEvT1_.has_recursion, 0
	.set _ZN7rocprim17ROCPRIM_400000_NS6detail17trampoline_kernelINS0_14default_configENS1_25partition_config_selectorILNS1_17partition_subalgoE5EdNS0_10empty_typeEbEEZZNS1_14partition_implILS5_5ELb0ES3_mN6thrust23THRUST_200600_302600_NS6detail15normal_iteratorINSA_10device_ptrIdEEEEPS6_NSA_18transform_iteratorINSB_9not_fun_tI7is_trueIdEEESF_NSA_11use_defaultESM_EENS0_5tupleIJSF_S6_EEENSO_IJSG_SG_EEES6_PlJS6_EEE10hipError_tPvRmT3_T4_T5_T6_T7_T9_mT8_P12ihipStream_tbDpT10_ENKUlT_T0_E_clISt17integral_constantIbLb0EES1B_EEDaS16_S17_EUlS16_E_NS1_11comp_targetILNS1_3genE3ELNS1_11target_archE908ELNS1_3gpuE7ELNS1_3repE0EEENS1_30default_config_static_selectorELNS0_4arch9wavefront6targetE0EEEvT1_.has_indirect_call, 0
	.section	.AMDGPU.csdata,"",@progbits
; Kernel info:
; codeLenInByte = 0
; TotalNumSgprs: 0
; NumVgprs: 0
; ScratchSize: 0
; MemoryBound: 0
; FloatMode: 240
; IeeeMode: 1
; LDSByteSize: 0 bytes/workgroup (compile time only)
; SGPRBlocks: 0
; VGPRBlocks: 0
; NumSGPRsForWavesPerEU: 1
; NumVGPRsForWavesPerEU: 1
; Occupancy: 16
; WaveLimiterHint : 0
; COMPUTE_PGM_RSRC2:SCRATCH_EN: 0
; COMPUTE_PGM_RSRC2:USER_SGPR: 2
; COMPUTE_PGM_RSRC2:TRAP_HANDLER: 0
; COMPUTE_PGM_RSRC2:TGID_X_EN: 1
; COMPUTE_PGM_RSRC2:TGID_Y_EN: 0
; COMPUTE_PGM_RSRC2:TGID_Z_EN: 0
; COMPUTE_PGM_RSRC2:TIDIG_COMP_CNT: 0
	.section	.text._ZN7rocprim17ROCPRIM_400000_NS6detail17trampoline_kernelINS0_14default_configENS1_25partition_config_selectorILNS1_17partition_subalgoE5EdNS0_10empty_typeEbEEZZNS1_14partition_implILS5_5ELb0ES3_mN6thrust23THRUST_200600_302600_NS6detail15normal_iteratorINSA_10device_ptrIdEEEEPS6_NSA_18transform_iteratorINSB_9not_fun_tI7is_trueIdEEESF_NSA_11use_defaultESM_EENS0_5tupleIJSF_S6_EEENSO_IJSG_SG_EEES6_PlJS6_EEE10hipError_tPvRmT3_T4_T5_T6_T7_T9_mT8_P12ihipStream_tbDpT10_ENKUlT_T0_E_clISt17integral_constantIbLb0EES1B_EEDaS16_S17_EUlS16_E_NS1_11comp_targetILNS1_3genE2ELNS1_11target_archE906ELNS1_3gpuE6ELNS1_3repE0EEENS1_30default_config_static_selectorELNS0_4arch9wavefront6targetE0EEEvT1_,"axG",@progbits,_ZN7rocprim17ROCPRIM_400000_NS6detail17trampoline_kernelINS0_14default_configENS1_25partition_config_selectorILNS1_17partition_subalgoE5EdNS0_10empty_typeEbEEZZNS1_14partition_implILS5_5ELb0ES3_mN6thrust23THRUST_200600_302600_NS6detail15normal_iteratorINSA_10device_ptrIdEEEEPS6_NSA_18transform_iteratorINSB_9not_fun_tI7is_trueIdEEESF_NSA_11use_defaultESM_EENS0_5tupleIJSF_S6_EEENSO_IJSG_SG_EEES6_PlJS6_EEE10hipError_tPvRmT3_T4_T5_T6_T7_T9_mT8_P12ihipStream_tbDpT10_ENKUlT_T0_E_clISt17integral_constantIbLb0EES1B_EEDaS16_S17_EUlS16_E_NS1_11comp_targetILNS1_3genE2ELNS1_11target_archE906ELNS1_3gpuE6ELNS1_3repE0EEENS1_30default_config_static_selectorELNS0_4arch9wavefront6targetE0EEEvT1_,comdat
	.protected	_ZN7rocprim17ROCPRIM_400000_NS6detail17trampoline_kernelINS0_14default_configENS1_25partition_config_selectorILNS1_17partition_subalgoE5EdNS0_10empty_typeEbEEZZNS1_14partition_implILS5_5ELb0ES3_mN6thrust23THRUST_200600_302600_NS6detail15normal_iteratorINSA_10device_ptrIdEEEEPS6_NSA_18transform_iteratorINSB_9not_fun_tI7is_trueIdEEESF_NSA_11use_defaultESM_EENS0_5tupleIJSF_S6_EEENSO_IJSG_SG_EEES6_PlJS6_EEE10hipError_tPvRmT3_T4_T5_T6_T7_T9_mT8_P12ihipStream_tbDpT10_ENKUlT_T0_E_clISt17integral_constantIbLb0EES1B_EEDaS16_S17_EUlS16_E_NS1_11comp_targetILNS1_3genE2ELNS1_11target_archE906ELNS1_3gpuE6ELNS1_3repE0EEENS1_30default_config_static_selectorELNS0_4arch9wavefront6targetE0EEEvT1_ ; -- Begin function _ZN7rocprim17ROCPRIM_400000_NS6detail17trampoline_kernelINS0_14default_configENS1_25partition_config_selectorILNS1_17partition_subalgoE5EdNS0_10empty_typeEbEEZZNS1_14partition_implILS5_5ELb0ES3_mN6thrust23THRUST_200600_302600_NS6detail15normal_iteratorINSA_10device_ptrIdEEEEPS6_NSA_18transform_iteratorINSB_9not_fun_tI7is_trueIdEEESF_NSA_11use_defaultESM_EENS0_5tupleIJSF_S6_EEENSO_IJSG_SG_EEES6_PlJS6_EEE10hipError_tPvRmT3_T4_T5_T6_T7_T9_mT8_P12ihipStream_tbDpT10_ENKUlT_T0_E_clISt17integral_constantIbLb0EES1B_EEDaS16_S17_EUlS16_E_NS1_11comp_targetILNS1_3genE2ELNS1_11target_archE906ELNS1_3gpuE6ELNS1_3repE0EEENS1_30default_config_static_selectorELNS0_4arch9wavefront6targetE0EEEvT1_
	.globl	_ZN7rocprim17ROCPRIM_400000_NS6detail17trampoline_kernelINS0_14default_configENS1_25partition_config_selectorILNS1_17partition_subalgoE5EdNS0_10empty_typeEbEEZZNS1_14partition_implILS5_5ELb0ES3_mN6thrust23THRUST_200600_302600_NS6detail15normal_iteratorINSA_10device_ptrIdEEEEPS6_NSA_18transform_iteratorINSB_9not_fun_tI7is_trueIdEEESF_NSA_11use_defaultESM_EENS0_5tupleIJSF_S6_EEENSO_IJSG_SG_EEES6_PlJS6_EEE10hipError_tPvRmT3_T4_T5_T6_T7_T9_mT8_P12ihipStream_tbDpT10_ENKUlT_T0_E_clISt17integral_constantIbLb0EES1B_EEDaS16_S17_EUlS16_E_NS1_11comp_targetILNS1_3genE2ELNS1_11target_archE906ELNS1_3gpuE6ELNS1_3repE0EEENS1_30default_config_static_selectorELNS0_4arch9wavefront6targetE0EEEvT1_
	.p2align	8
	.type	_ZN7rocprim17ROCPRIM_400000_NS6detail17trampoline_kernelINS0_14default_configENS1_25partition_config_selectorILNS1_17partition_subalgoE5EdNS0_10empty_typeEbEEZZNS1_14partition_implILS5_5ELb0ES3_mN6thrust23THRUST_200600_302600_NS6detail15normal_iteratorINSA_10device_ptrIdEEEEPS6_NSA_18transform_iteratorINSB_9not_fun_tI7is_trueIdEEESF_NSA_11use_defaultESM_EENS0_5tupleIJSF_S6_EEENSO_IJSG_SG_EEES6_PlJS6_EEE10hipError_tPvRmT3_T4_T5_T6_T7_T9_mT8_P12ihipStream_tbDpT10_ENKUlT_T0_E_clISt17integral_constantIbLb0EES1B_EEDaS16_S17_EUlS16_E_NS1_11comp_targetILNS1_3genE2ELNS1_11target_archE906ELNS1_3gpuE6ELNS1_3repE0EEENS1_30default_config_static_selectorELNS0_4arch9wavefront6targetE0EEEvT1_,@function
_ZN7rocprim17ROCPRIM_400000_NS6detail17trampoline_kernelINS0_14default_configENS1_25partition_config_selectorILNS1_17partition_subalgoE5EdNS0_10empty_typeEbEEZZNS1_14partition_implILS5_5ELb0ES3_mN6thrust23THRUST_200600_302600_NS6detail15normal_iteratorINSA_10device_ptrIdEEEEPS6_NSA_18transform_iteratorINSB_9not_fun_tI7is_trueIdEEESF_NSA_11use_defaultESM_EENS0_5tupleIJSF_S6_EEENSO_IJSG_SG_EEES6_PlJS6_EEE10hipError_tPvRmT3_T4_T5_T6_T7_T9_mT8_P12ihipStream_tbDpT10_ENKUlT_T0_E_clISt17integral_constantIbLb0EES1B_EEDaS16_S17_EUlS16_E_NS1_11comp_targetILNS1_3genE2ELNS1_11target_archE906ELNS1_3gpuE6ELNS1_3repE0EEENS1_30default_config_static_selectorELNS0_4arch9wavefront6targetE0EEEvT1_: ; @_ZN7rocprim17ROCPRIM_400000_NS6detail17trampoline_kernelINS0_14default_configENS1_25partition_config_selectorILNS1_17partition_subalgoE5EdNS0_10empty_typeEbEEZZNS1_14partition_implILS5_5ELb0ES3_mN6thrust23THRUST_200600_302600_NS6detail15normal_iteratorINSA_10device_ptrIdEEEEPS6_NSA_18transform_iteratorINSB_9not_fun_tI7is_trueIdEEESF_NSA_11use_defaultESM_EENS0_5tupleIJSF_S6_EEENSO_IJSG_SG_EEES6_PlJS6_EEE10hipError_tPvRmT3_T4_T5_T6_T7_T9_mT8_P12ihipStream_tbDpT10_ENKUlT_T0_E_clISt17integral_constantIbLb0EES1B_EEDaS16_S17_EUlS16_E_NS1_11comp_targetILNS1_3genE2ELNS1_11target_archE906ELNS1_3gpuE6ELNS1_3repE0EEENS1_30default_config_static_selectorELNS0_4arch9wavefront6targetE0EEEvT1_
; %bb.0:
	.section	.rodata,"a",@progbits
	.p2align	6, 0x0
	.amdhsa_kernel _ZN7rocprim17ROCPRIM_400000_NS6detail17trampoline_kernelINS0_14default_configENS1_25partition_config_selectorILNS1_17partition_subalgoE5EdNS0_10empty_typeEbEEZZNS1_14partition_implILS5_5ELb0ES3_mN6thrust23THRUST_200600_302600_NS6detail15normal_iteratorINSA_10device_ptrIdEEEEPS6_NSA_18transform_iteratorINSB_9not_fun_tI7is_trueIdEEESF_NSA_11use_defaultESM_EENS0_5tupleIJSF_S6_EEENSO_IJSG_SG_EEES6_PlJS6_EEE10hipError_tPvRmT3_T4_T5_T6_T7_T9_mT8_P12ihipStream_tbDpT10_ENKUlT_T0_E_clISt17integral_constantIbLb0EES1B_EEDaS16_S17_EUlS16_E_NS1_11comp_targetILNS1_3genE2ELNS1_11target_archE906ELNS1_3gpuE6ELNS1_3repE0EEENS1_30default_config_static_selectorELNS0_4arch9wavefront6targetE0EEEvT1_
		.amdhsa_group_segment_fixed_size 0
		.amdhsa_private_segment_fixed_size 0
		.amdhsa_kernarg_size 120
		.amdhsa_user_sgpr_count 2
		.amdhsa_user_sgpr_dispatch_ptr 0
		.amdhsa_user_sgpr_queue_ptr 0
		.amdhsa_user_sgpr_kernarg_segment_ptr 1
		.amdhsa_user_sgpr_dispatch_id 0
		.amdhsa_user_sgpr_private_segment_size 0
		.amdhsa_wavefront_size32 1
		.amdhsa_uses_dynamic_stack 0
		.amdhsa_enable_private_segment 0
		.amdhsa_system_sgpr_workgroup_id_x 1
		.amdhsa_system_sgpr_workgroup_id_y 0
		.amdhsa_system_sgpr_workgroup_id_z 0
		.amdhsa_system_sgpr_workgroup_info 0
		.amdhsa_system_vgpr_workitem_id 0
		.amdhsa_next_free_vgpr 1
		.amdhsa_next_free_sgpr 1
		.amdhsa_reserve_vcc 0
		.amdhsa_float_round_mode_32 0
		.amdhsa_float_round_mode_16_64 0
		.amdhsa_float_denorm_mode_32 3
		.amdhsa_float_denorm_mode_16_64 3
		.amdhsa_fp16_overflow 0
		.amdhsa_workgroup_processor_mode 1
		.amdhsa_memory_ordered 1
		.amdhsa_forward_progress 1
		.amdhsa_inst_pref_size 0
		.amdhsa_round_robin_scheduling 0
		.amdhsa_exception_fp_ieee_invalid_op 0
		.amdhsa_exception_fp_denorm_src 0
		.amdhsa_exception_fp_ieee_div_zero 0
		.amdhsa_exception_fp_ieee_overflow 0
		.amdhsa_exception_fp_ieee_underflow 0
		.amdhsa_exception_fp_ieee_inexact 0
		.amdhsa_exception_int_div_zero 0
	.end_amdhsa_kernel
	.section	.text._ZN7rocprim17ROCPRIM_400000_NS6detail17trampoline_kernelINS0_14default_configENS1_25partition_config_selectorILNS1_17partition_subalgoE5EdNS0_10empty_typeEbEEZZNS1_14partition_implILS5_5ELb0ES3_mN6thrust23THRUST_200600_302600_NS6detail15normal_iteratorINSA_10device_ptrIdEEEEPS6_NSA_18transform_iteratorINSB_9not_fun_tI7is_trueIdEEESF_NSA_11use_defaultESM_EENS0_5tupleIJSF_S6_EEENSO_IJSG_SG_EEES6_PlJS6_EEE10hipError_tPvRmT3_T4_T5_T6_T7_T9_mT8_P12ihipStream_tbDpT10_ENKUlT_T0_E_clISt17integral_constantIbLb0EES1B_EEDaS16_S17_EUlS16_E_NS1_11comp_targetILNS1_3genE2ELNS1_11target_archE906ELNS1_3gpuE6ELNS1_3repE0EEENS1_30default_config_static_selectorELNS0_4arch9wavefront6targetE0EEEvT1_,"axG",@progbits,_ZN7rocprim17ROCPRIM_400000_NS6detail17trampoline_kernelINS0_14default_configENS1_25partition_config_selectorILNS1_17partition_subalgoE5EdNS0_10empty_typeEbEEZZNS1_14partition_implILS5_5ELb0ES3_mN6thrust23THRUST_200600_302600_NS6detail15normal_iteratorINSA_10device_ptrIdEEEEPS6_NSA_18transform_iteratorINSB_9not_fun_tI7is_trueIdEEESF_NSA_11use_defaultESM_EENS0_5tupleIJSF_S6_EEENSO_IJSG_SG_EEES6_PlJS6_EEE10hipError_tPvRmT3_T4_T5_T6_T7_T9_mT8_P12ihipStream_tbDpT10_ENKUlT_T0_E_clISt17integral_constantIbLb0EES1B_EEDaS16_S17_EUlS16_E_NS1_11comp_targetILNS1_3genE2ELNS1_11target_archE906ELNS1_3gpuE6ELNS1_3repE0EEENS1_30default_config_static_selectorELNS0_4arch9wavefront6targetE0EEEvT1_,comdat
.Lfunc_end1306:
	.size	_ZN7rocprim17ROCPRIM_400000_NS6detail17trampoline_kernelINS0_14default_configENS1_25partition_config_selectorILNS1_17partition_subalgoE5EdNS0_10empty_typeEbEEZZNS1_14partition_implILS5_5ELb0ES3_mN6thrust23THRUST_200600_302600_NS6detail15normal_iteratorINSA_10device_ptrIdEEEEPS6_NSA_18transform_iteratorINSB_9not_fun_tI7is_trueIdEEESF_NSA_11use_defaultESM_EENS0_5tupleIJSF_S6_EEENSO_IJSG_SG_EEES6_PlJS6_EEE10hipError_tPvRmT3_T4_T5_T6_T7_T9_mT8_P12ihipStream_tbDpT10_ENKUlT_T0_E_clISt17integral_constantIbLb0EES1B_EEDaS16_S17_EUlS16_E_NS1_11comp_targetILNS1_3genE2ELNS1_11target_archE906ELNS1_3gpuE6ELNS1_3repE0EEENS1_30default_config_static_selectorELNS0_4arch9wavefront6targetE0EEEvT1_, .Lfunc_end1306-_ZN7rocprim17ROCPRIM_400000_NS6detail17trampoline_kernelINS0_14default_configENS1_25partition_config_selectorILNS1_17partition_subalgoE5EdNS0_10empty_typeEbEEZZNS1_14partition_implILS5_5ELb0ES3_mN6thrust23THRUST_200600_302600_NS6detail15normal_iteratorINSA_10device_ptrIdEEEEPS6_NSA_18transform_iteratorINSB_9not_fun_tI7is_trueIdEEESF_NSA_11use_defaultESM_EENS0_5tupleIJSF_S6_EEENSO_IJSG_SG_EEES6_PlJS6_EEE10hipError_tPvRmT3_T4_T5_T6_T7_T9_mT8_P12ihipStream_tbDpT10_ENKUlT_T0_E_clISt17integral_constantIbLb0EES1B_EEDaS16_S17_EUlS16_E_NS1_11comp_targetILNS1_3genE2ELNS1_11target_archE906ELNS1_3gpuE6ELNS1_3repE0EEENS1_30default_config_static_selectorELNS0_4arch9wavefront6targetE0EEEvT1_
                                        ; -- End function
	.set _ZN7rocprim17ROCPRIM_400000_NS6detail17trampoline_kernelINS0_14default_configENS1_25partition_config_selectorILNS1_17partition_subalgoE5EdNS0_10empty_typeEbEEZZNS1_14partition_implILS5_5ELb0ES3_mN6thrust23THRUST_200600_302600_NS6detail15normal_iteratorINSA_10device_ptrIdEEEEPS6_NSA_18transform_iteratorINSB_9not_fun_tI7is_trueIdEEESF_NSA_11use_defaultESM_EENS0_5tupleIJSF_S6_EEENSO_IJSG_SG_EEES6_PlJS6_EEE10hipError_tPvRmT3_T4_T5_T6_T7_T9_mT8_P12ihipStream_tbDpT10_ENKUlT_T0_E_clISt17integral_constantIbLb0EES1B_EEDaS16_S17_EUlS16_E_NS1_11comp_targetILNS1_3genE2ELNS1_11target_archE906ELNS1_3gpuE6ELNS1_3repE0EEENS1_30default_config_static_selectorELNS0_4arch9wavefront6targetE0EEEvT1_.num_vgpr, 0
	.set _ZN7rocprim17ROCPRIM_400000_NS6detail17trampoline_kernelINS0_14default_configENS1_25partition_config_selectorILNS1_17partition_subalgoE5EdNS0_10empty_typeEbEEZZNS1_14partition_implILS5_5ELb0ES3_mN6thrust23THRUST_200600_302600_NS6detail15normal_iteratorINSA_10device_ptrIdEEEEPS6_NSA_18transform_iteratorINSB_9not_fun_tI7is_trueIdEEESF_NSA_11use_defaultESM_EENS0_5tupleIJSF_S6_EEENSO_IJSG_SG_EEES6_PlJS6_EEE10hipError_tPvRmT3_T4_T5_T6_T7_T9_mT8_P12ihipStream_tbDpT10_ENKUlT_T0_E_clISt17integral_constantIbLb0EES1B_EEDaS16_S17_EUlS16_E_NS1_11comp_targetILNS1_3genE2ELNS1_11target_archE906ELNS1_3gpuE6ELNS1_3repE0EEENS1_30default_config_static_selectorELNS0_4arch9wavefront6targetE0EEEvT1_.num_agpr, 0
	.set _ZN7rocprim17ROCPRIM_400000_NS6detail17trampoline_kernelINS0_14default_configENS1_25partition_config_selectorILNS1_17partition_subalgoE5EdNS0_10empty_typeEbEEZZNS1_14partition_implILS5_5ELb0ES3_mN6thrust23THRUST_200600_302600_NS6detail15normal_iteratorINSA_10device_ptrIdEEEEPS6_NSA_18transform_iteratorINSB_9not_fun_tI7is_trueIdEEESF_NSA_11use_defaultESM_EENS0_5tupleIJSF_S6_EEENSO_IJSG_SG_EEES6_PlJS6_EEE10hipError_tPvRmT3_T4_T5_T6_T7_T9_mT8_P12ihipStream_tbDpT10_ENKUlT_T0_E_clISt17integral_constantIbLb0EES1B_EEDaS16_S17_EUlS16_E_NS1_11comp_targetILNS1_3genE2ELNS1_11target_archE906ELNS1_3gpuE6ELNS1_3repE0EEENS1_30default_config_static_selectorELNS0_4arch9wavefront6targetE0EEEvT1_.numbered_sgpr, 0
	.set _ZN7rocprim17ROCPRIM_400000_NS6detail17trampoline_kernelINS0_14default_configENS1_25partition_config_selectorILNS1_17partition_subalgoE5EdNS0_10empty_typeEbEEZZNS1_14partition_implILS5_5ELb0ES3_mN6thrust23THRUST_200600_302600_NS6detail15normal_iteratorINSA_10device_ptrIdEEEEPS6_NSA_18transform_iteratorINSB_9not_fun_tI7is_trueIdEEESF_NSA_11use_defaultESM_EENS0_5tupleIJSF_S6_EEENSO_IJSG_SG_EEES6_PlJS6_EEE10hipError_tPvRmT3_T4_T5_T6_T7_T9_mT8_P12ihipStream_tbDpT10_ENKUlT_T0_E_clISt17integral_constantIbLb0EES1B_EEDaS16_S17_EUlS16_E_NS1_11comp_targetILNS1_3genE2ELNS1_11target_archE906ELNS1_3gpuE6ELNS1_3repE0EEENS1_30default_config_static_selectorELNS0_4arch9wavefront6targetE0EEEvT1_.num_named_barrier, 0
	.set _ZN7rocprim17ROCPRIM_400000_NS6detail17trampoline_kernelINS0_14default_configENS1_25partition_config_selectorILNS1_17partition_subalgoE5EdNS0_10empty_typeEbEEZZNS1_14partition_implILS5_5ELb0ES3_mN6thrust23THRUST_200600_302600_NS6detail15normal_iteratorINSA_10device_ptrIdEEEEPS6_NSA_18transform_iteratorINSB_9not_fun_tI7is_trueIdEEESF_NSA_11use_defaultESM_EENS0_5tupleIJSF_S6_EEENSO_IJSG_SG_EEES6_PlJS6_EEE10hipError_tPvRmT3_T4_T5_T6_T7_T9_mT8_P12ihipStream_tbDpT10_ENKUlT_T0_E_clISt17integral_constantIbLb0EES1B_EEDaS16_S17_EUlS16_E_NS1_11comp_targetILNS1_3genE2ELNS1_11target_archE906ELNS1_3gpuE6ELNS1_3repE0EEENS1_30default_config_static_selectorELNS0_4arch9wavefront6targetE0EEEvT1_.private_seg_size, 0
	.set _ZN7rocprim17ROCPRIM_400000_NS6detail17trampoline_kernelINS0_14default_configENS1_25partition_config_selectorILNS1_17partition_subalgoE5EdNS0_10empty_typeEbEEZZNS1_14partition_implILS5_5ELb0ES3_mN6thrust23THRUST_200600_302600_NS6detail15normal_iteratorINSA_10device_ptrIdEEEEPS6_NSA_18transform_iteratorINSB_9not_fun_tI7is_trueIdEEESF_NSA_11use_defaultESM_EENS0_5tupleIJSF_S6_EEENSO_IJSG_SG_EEES6_PlJS6_EEE10hipError_tPvRmT3_T4_T5_T6_T7_T9_mT8_P12ihipStream_tbDpT10_ENKUlT_T0_E_clISt17integral_constantIbLb0EES1B_EEDaS16_S17_EUlS16_E_NS1_11comp_targetILNS1_3genE2ELNS1_11target_archE906ELNS1_3gpuE6ELNS1_3repE0EEENS1_30default_config_static_selectorELNS0_4arch9wavefront6targetE0EEEvT1_.uses_vcc, 0
	.set _ZN7rocprim17ROCPRIM_400000_NS6detail17trampoline_kernelINS0_14default_configENS1_25partition_config_selectorILNS1_17partition_subalgoE5EdNS0_10empty_typeEbEEZZNS1_14partition_implILS5_5ELb0ES3_mN6thrust23THRUST_200600_302600_NS6detail15normal_iteratorINSA_10device_ptrIdEEEEPS6_NSA_18transform_iteratorINSB_9not_fun_tI7is_trueIdEEESF_NSA_11use_defaultESM_EENS0_5tupleIJSF_S6_EEENSO_IJSG_SG_EEES6_PlJS6_EEE10hipError_tPvRmT3_T4_T5_T6_T7_T9_mT8_P12ihipStream_tbDpT10_ENKUlT_T0_E_clISt17integral_constantIbLb0EES1B_EEDaS16_S17_EUlS16_E_NS1_11comp_targetILNS1_3genE2ELNS1_11target_archE906ELNS1_3gpuE6ELNS1_3repE0EEENS1_30default_config_static_selectorELNS0_4arch9wavefront6targetE0EEEvT1_.uses_flat_scratch, 0
	.set _ZN7rocprim17ROCPRIM_400000_NS6detail17trampoline_kernelINS0_14default_configENS1_25partition_config_selectorILNS1_17partition_subalgoE5EdNS0_10empty_typeEbEEZZNS1_14partition_implILS5_5ELb0ES3_mN6thrust23THRUST_200600_302600_NS6detail15normal_iteratorINSA_10device_ptrIdEEEEPS6_NSA_18transform_iteratorINSB_9not_fun_tI7is_trueIdEEESF_NSA_11use_defaultESM_EENS0_5tupleIJSF_S6_EEENSO_IJSG_SG_EEES6_PlJS6_EEE10hipError_tPvRmT3_T4_T5_T6_T7_T9_mT8_P12ihipStream_tbDpT10_ENKUlT_T0_E_clISt17integral_constantIbLb0EES1B_EEDaS16_S17_EUlS16_E_NS1_11comp_targetILNS1_3genE2ELNS1_11target_archE906ELNS1_3gpuE6ELNS1_3repE0EEENS1_30default_config_static_selectorELNS0_4arch9wavefront6targetE0EEEvT1_.has_dyn_sized_stack, 0
	.set _ZN7rocprim17ROCPRIM_400000_NS6detail17trampoline_kernelINS0_14default_configENS1_25partition_config_selectorILNS1_17partition_subalgoE5EdNS0_10empty_typeEbEEZZNS1_14partition_implILS5_5ELb0ES3_mN6thrust23THRUST_200600_302600_NS6detail15normal_iteratorINSA_10device_ptrIdEEEEPS6_NSA_18transform_iteratorINSB_9not_fun_tI7is_trueIdEEESF_NSA_11use_defaultESM_EENS0_5tupleIJSF_S6_EEENSO_IJSG_SG_EEES6_PlJS6_EEE10hipError_tPvRmT3_T4_T5_T6_T7_T9_mT8_P12ihipStream_tbDpT10_ENKUlT_T0_E_clISt17integral_constantIbLb0EES1B_EEDaS16_S17_EUlS16_E_NS1_11comp_targetILNS1_3genE2ELNS1_11target_archE906ELNS1_3gpuE6ELNS1_3repE0EEENS1_30default_config_static_selectorELNS0_4arch9wavefront6targetE0EEEvT1_.has_recursion, 0
	.set _ZN7rocprim17ROCPRIM_400000_NS6detail17trampoline_kernelINS0_14default_configENS1_25partition_config_selectorILNS1_17partition_subalgoE5EdNS0_10empty_typeEbEEZZNS1_14partition_implILS5_5ELb0ES3_mN6thrust23THRUST_200600_302600_NS6detail15normal_iteratorINSA_10device_ptrIdEEEEPS6_NSA_18transform_iteratorINSB_9not_fun_tI7is_trueIdEEESF_NSA_11use_defaultESM_EENS0_5tupleIJSF_S6_EEENSO_IJSG_SG_EEES6_PlJS6_EEE10hipError_tPvRmT3_T4_T5_T6_T7_T9_mT8_P12ihipStream_tbDpT10_ENKUlT_T0_E_clISt17integral_constantIbLb0EES1B_EEDaS16_S17_EUlS16_E_NS1_11comp_targetILNS1_3genE2ELNS1_11target_archE906ELNS1_3gpuE6ELNS1_3repE0EEENS1_30default_config_static_selectorELNS0_4arch9wavefront6targetE0EEEvT1_.has_indirect_call, 0
	.section	.AMDGPU.csdata,"",@progbits
; Kernel info:
; codeLenInByte = 0
; TotalNumSgprs: 0
; NumVgprs: 0
; ScratchSize: 0
; MemoryBound: 0
; FloatMode: 240
; IeeeMode: 1
; LDSByteSize: 0 bytes/workgroup (compile time only)
; SGPRBlocks: 0
; VGPRBlocks: 0
; NumSGPRsForWavesPerEU: 1
; NumVGPRsForWavesPerEU: 1
; Occupancy: 16
; WaveLimiterHint : 0
; COMPUTE_PGM_RSRC2:SCRATCH_EN: 0
; COMPUTE_PGM_RSRC2:USER_SGPR: 2
; COMPUTE_PGM_RSRC2:TRAP_HANDLER: 0
; COMPUTE_PGM_RSRC2:TGID_X_EN: 1
; COMPUTE_PGM_RSRC2:TGID_Y_EN: 0
; COMPUTE_PGM_RSRC2:TGID_Z_EN: 0
; COMPUTE_PGM_RSRC2:TIDIG_COMP_CNT: 0
	.section	.text._ZN7rocprim17ROCPRIM_400000_NS6detail17trampoline_kernelINS0_14default_configENS1_25partition_config_selectorILNS1_17partition_subalgoE5EdNS0_10empty_typeEbEEZZNS1_14partition_implILS5_5ELb0ES3_mN6thrust23THRUST_200600_302600_NS6detail15normal_iteratorINSA_10device_ptrIdEEEEPS6_NSA_18transform_iteratorINSB_9not_fun_tI7is_trueIdEEESF_NSA_11use_defaultESM_EENS0_5tupleIJSF_S6_EEENSO_IJSG_SG_EEES6_PlJS6_EEE10hipError_tPvRmT3_T4_T5_T6_T7_T9_mT8_P12ihipStream_tbDpT10_ENKUlT_T0_E_clISt17integral_constantIbLb0EES1B_EEDaS16_S17_EUlS16_E_NS1_11comp_targetILNS1_3genE10ELNS1_11target_archE1200ELNS1_3gpuE4ELNS1_3repE0EEENS1_30default_config_static_selectorELNS0_4arch9wavefront6targetE0EEEvT1_,"axG",@progbits,_ZN7rocprim17ROCPRIM_400000_NS6detail17trampoline_kernelINS0_14default_configENS1_25partition_config_selectorILNS1_17partition_subalgoE5EdNS0_10empty_typeEbEEZZNS1_14partition_implILS5_5ELb0ES3_mN6thrust23THRUST_200600_302600_NS6detail15normal_iteratorINSA_10device_ptrIdEEEEPS6_NSA_18transform_iteratorINSB_9not_fun_tI7is_trueIdEEESF_NSA_11use_defaultESM_EENS0_5tupleIJSF_S6_EEENSO_IJSG_SG_EEES6_PlJS6_EEE10hipError_tPvRmT3_T4_T5_T6_T7_T9_mT8_P12ihipStream_tbDpT10_ENKUlT_T0_E_clISt17integral_constantIbLb0EES1B_EEDaS16_S17_EUlS16_E_NS1_11comp_targetILNS1_3genE10ELNS1_11target_archE1200ELNS1_3gpuE4ELNS1_3repE0EEENS1_30default_config_static_selectorELNS0_4arch9wavefront6targetE0EEEvT1_,comdat
	.protected	_ZN7rocprim17ROCPRIM_400000_NS6detail17trampoline_kernelINS0_14default_configENS1_25partition_config_selectorILNS1_17partition_subalgoE5EdNS0_10empty_typeEbEEZZNS1_14partition_implILS5_5ELb0ES3_mN6thrust23THRUST_200600_302600_NS6detail15normal_iteratorINSA_10device_ptrIdEEEEPS6_NSA_18transform_iteratorINSB_9not_fun_tI7is_trueIdEEESF_NSA_11use_defaultESM_EENS0_5tupleIJSF_S6_EEENSO_IJSG_SG_EEES6_PlJS6_EEE10hipError_tPvRmT3_T4_T5_T6_T7_T9_mT8_P12ihipStream_tbDpT10_ENKUlT_T0_E_clISt17integral_constantIbLb0EES1B_EEDaS16_S17_EUlS16_E_NS1_11comp_targetILNS1_3genE10ELNS1_11target_archE1200ELNS1_3gpuE4ELNS1_3repE0EEENS1_30default_config_static_selectorELNS0_4arch9wavefront6targetE0EEEvT1_ ; -- Begin function _ZN7rocprim17ROCPRIM_400000_NS6detail17trampoline_kernelINS0_14default_configENS1_25partition_config_selectorILNS1_17partition_subalgoE5EdNS0_10empty_typeEbEEZZNS1_14partition_implILS5_5ELb0ES3_mN6thrust23THRUST_200600_302600_NS6detail15normal_iteratorINSA_10device_ptrIdEEEEPS6_NSA_18transform_iteratorINSB_9not_fun_tI7is_trueIdEEESF_NSA_11use_defaultESM_EENS0_5tupleIJSF_S6_EEENSO_IJSG_SG_EEES6_PlJS6_EEE10hipError_tPvRmT3_T4_T5_T6_T7_T9_mT8_P12ihipStream_tbDpT10_ENKUlT_T0_E_clISt17integral_constantIbLb0EES1B_EEDaS16_S17_EUlS16_E_NS1_11comp_targetILNS1_3genE10ELNS1_11target_archE1200ELNS1_3gpuE4ELNS1_3repE0EEENS1_30default_config_static_selectorELNS0_4arch9wavefront6targetE0EEEvT1_
	.globl	_ZN7rocprim17ROCPRIM_400000_NS6detail17trampoline_kernelINS0_14default_configENS1_25partition_config_selectorILNS1_17partition_subalgoE5EdNS0_10empty_typeEbEEZZNS1_14partition_implILS5_5ELb0ES3_mN6thrust23THRUST_200600_302600_NS6detail15normal_iteratorINSA_10device_ptrIdEEEEPS6_NSA_18transform_iteratorINSB_9not_fun_tI7is_trueIdEEESF_NSA_11use_defaultESM_EENS0_5tupleIJSF_S6_EEENSO_IJSG_SG_EEES6_PlJS6_EEE10hipError_tPvRmT3_T4_T5_T6_T7_T9_mT8_P12ihipStream_tbDpT10_ENKUlT_T0_E_clISt17integral_constantIbLb0EES1B_EEDaS16_S17_EUlS16_E_NS1_11comp_targetILNS1_3genE10ELNS1_11target_archE1200ELNS1_3gpuE4ELNS1_3repE0EEENS1_30default_config_static_selectorELNS0_4arch9wavefront6targetE0EEEvT1_
	.p2align	8
	.type	_ZN7rocprim17ROCPRIM_400000_NS6detail17trampoline_kernelINS0_14default_configENS1_25partition_config_selectorILNS1_17partition_subalgoE5EdNS0_10empty_typeEbEEZZNS1_14partition_implILS5_5ELb0ES3_mN6thrust23THRUST_200600_302600_NS6detail15normal_iteratorINSA_10device_ptrIdEEEEPS6_NSA_18transform_iteratorINSB_9not_fun_tI7is_trueIdEEESF_NSA_11use_defaultESM_EENS0_5tupleIJSF_S6_EEENSO_IJSG_SG_EEES6_PlJS6_EEE10hipError_tPvRmT3_T4_T5_T6_T7_T9_mT8_P12ihipStream_tbDpT10_ENKUlT_T0_E_clISt17integral_constantIbLb0EES1B_EEDaS16_S17_EUlS16_E_NS1_11comp_targetILNS1_3genE10ELNS1_11target_archE1200ELNS1_3gpuE4ELNS1_3repE0EEENS1_30default_config_static_selectorELNS0_4arch9wavefront6targetE0EEEvT1_,@function
_ZN7rocprim17ROCPRIM_400000_NS6detail17trampoline_kernelINS0_14default_configENS1_25partition_config_selectorILNS1_17partition_subalgoE5EdNS0_10empty_typeEbEEZZNS1_14partition_implILS5_5ELb0ES3_mN6thrust23THRUST_200600_302600_NS6detail15normal_iteratorINSA_10device_ptrIdEEEEPS6_NSA_18transform_iteratorINSB_9not_fun_tI7is_trueIdEEESF_NSA_11use_defaultESM_EENS0_5tupleIJSF_S6_EEENSO_IJSG_SG_EEES6_PlJS6_EEE10hipError_tPvRmT3_T4_T5_T6_T7_T9_mT8_P12ihipStream_tbDpT10_ENKUlT_T0_E_clISt17integral_constantIbLb0EES1B_EEDaS16_S17_EUlS16_E_NS1_11comp_targetILNS1_3genE10ELNS1_11target_archE1200ELNS1_3gpuE4ELNS1_3repE0EEENS1_30default_config_static_selectorELNS0_4arch9wavefront6targetE0EEEvT1_: ; @_ZN7rocprim17ROCPRIM_400000_NS6detail17trampoline_kernelINS0_14default_configENS1_25partition_config_selectorILNS1_17partition_subalgoE5EdNS0_10empty_typeEbEEZZNS1_14partition_implILS5_5ELb0ES3_mN6thrust23THRUST_200600_302600_NS6detail15normal_iteratorINSA_10device_ptrIdEEEEPS6_NSA_18transform_iteratorINSB_9not_fun_tI7is_trueIdEEESF_NSA_11use_defaultESM_EENS0_5tupleIJSF_S6_EEENSO_IJSG_SG_EEES6_PlJS6_EEE10hipError_tPvRmT3_T4_T5_T6_T7_T9_mT8_P12ihipStream_tbDpT10_ENKUlT_T0_E_clISt17integral_constantIbLb0EES1B_EEDaS16_S17_EUlS16_E_NS1_11comp_targetILNS1_3genE10ELNS1_11target_archE1200ELNS1_3gpuE4ELNS1_3repE0EEENS1_30default_config_static_selectorELNS0_4arch9wavefront6targetE0EEEvT1_
; %bb.0:
	s_clause 0x3
	s_load_b128 s[12:15], s[0:1], 0x8
	s_load_b128 s[8:11], s[0:1], 0x48
	s_load_b32 s16, s[0:1], 0x70
	s_load_b64 s[2:3], s[0:1], 0x58
	s_mov_b32 s17, 0
	s_wait_kmcnt 0x0
	s_lshl_b64 s[4:5], s[14:15], 3
	s_load_b64 s[6:7], s[10:11], 0x0
	s_add_co_i32 s19, s16, -1
	s_mulk_i32 s16, 0x500
	s_add_nc_u64 s[12:13], s[12:13], s[4:5]
	s_add_co_i32 s18, s16, s14
	s_add_nc_u64 s[10:11], s[14:15], s[16:17]
	s_sub_co_i32 s18, s2, s18
	v_cmp_le_u64_e64 s2, s[2:3], s[10:11]
	s_addk_co_i32 s18, 0x500
	s_cmp_eq_u32 ttmp9, s19
	s_mul_i32 s10, ttmp9, 0x500
	s_cselect_b32 s16, -1, 0
	s_mov_b32 s11, s17
	s_and_b32 s2, s16, s2
	s_wait_alu 0xfffe
	s_lshl_b64 s[10:11], s[10:11], 3
	s_xor_b32 s17, s2, -1
	s_mov_b32 s3, -1
	s_and_b32 vcc_lo, exec_lo, s17
	s_wait_alu 0xfffe
	s_add_nc_u64 s[14:15], s[12:13], s[10:11]
	s_cbranch_vccz .LBB1307_2
; %bb.1:
	v_lshlrev_b32_e32 v11, 3, v0
	s_mov_b32 s3, 0
	s_delay_alu instid0(VALU_DEP_1)
	v_add_co_u32 v1, s2, s14, v11
	s_wait_alu 0xf1ff
	v_add_co_ci_u32_e64 v2, null, s15, 0, s2
	s_clause 0x4
	flat_load_b64 v[3:4], v[1:2]
	flat_load_b64 v[5:6], v[1:2] offset:2048
	flat_load_b64 v[7:8], v[1:2] offset:4096
	;; [unrolled: 1-line block ×4, first 2 shown]
	s_wait_loadcnt_dscnt 0x303
	ds_store_2addr_stride64_b64 v11, v[3:4], v[5:6] offset1:4
	s_wait_loadcnt_dscnt 0x102
	ds_store_2addr_stride64_b64 v11, v[7:8], v[9:10] offset0:8 offset1:12
	s_wait_loadcnt_dscnt 0x2
	ds_store_b64 v11, v[1:2] offset:8192
	s_wait_dscnt 0x0
	s_barrier_signal -1
	s_barrier_wait -1
.LBB1307_2:
	s_load_b64 s[12:13], s[0:1], 0x20
	v_cmp_gt_u32_e64 s2, s18, v0
	s_and_not1_b32 vcc_lo, exec_lo, s3
	s_cbranch_vccnz .LBB1307_14
; %bb.3:
	v_mov_b32_e32 v1, 0
	s_delay_alu instid0(VALU_DEP_1)
	v_dual_mov_b32 v2, v1 :: v_dual_mov_b32 v3, v1
	v_dual_mov_b32 v4, v1 :: v_dual_mov_b32 v5, v1
	;; [unrolled: 1-line block ×4, first 2 shown]
	v_mov_b32_e32 v10, v1
	s_and_saveexec_b32 s3, s2
	s_cbranch_execz .LBB1307_5
; %bb.4:
	v_dual_mov_b32 v5, v1 :: v_dual_lshlrev_b32 v2, 3, v0
	v_dual_mov_b32 v4, v1 :: v_dual_mov_b32 v7, v1
	v_dual_mov_b32 v6, v1 :: v_dual_mov_b32 v9, v1
	s_delay_alu instid0(VALU_DEP_3)
	v_add_co_u32 v2, s2, s14, v2
	s_wait_alu 0xf1ff
	v_add_co_ci_u32_e64 v3, null, s15, 0, s2
	v_dual_mov_b32 v8, v1 :: v_dual_mov_b32 v11, v1
	v_mov_b32_e32 v10, v1
	flat_load_b64 v[2:3], v[2:3]
	s_wait_loadcnt_dscnt 0x0
	v_mov_b32_e32 v1, v2
	v_mov_b32_e32 v2, v3
	v_mov_b32_e32 v3, v4
	v_mov_b32_e32 v4, v5
	v_mov_b32_e32 v5, v6
	v_mov_b32_e32 v6, v7
	v_mov_b32_e32 v7, v8
	v_mov_b32_e32 v8, v9
	v_mov_b32_e32 v9, v10
	v_mov_b32_e32 v10, v11
	v_mov_b32_e32 v11, v12
	v_mov_b32_e32 v12, v13
	v_mov_b32_e32 v13, v14
	v_mov_b32_e32 v14, v15
	v_mov_b32_e32 v15, v16
	v_mov_b32_e32 v16, v17
.LBB1307_5:
	s_wait_alu 0xfffe
	s_or_b32 exec_lo, exec_lo, s3
	v_or_b32_e32 v11, 0x100, v0
	s_mov_b32 s2, exec_lo
	s_delay_alu instid0(VALU_DEP_1)
	v_cmpx_gt_u32_e64 s18, v11
	s_cbranch_execz .LBB1307_7
; %bb.6:
	v_lshlrev_b32_e32 v3, 3, v0
	s_delay_alu instid0(VALU_DEP_1)
	v_add_co_u32 v3, s3, s14, v3
	s_wait_alu 0xf1ff
	v_add_co_ci_u32_e64 v4, null, s15, 0, s3
	flat_load_b64 v[3:4], v[3:4] offset:2048
.LBB1307_7:
	s_wait_alu 0xfffe
	s_or_b32 exec_lo, exec_lo, s2
	v_or_b32_e32 v11, 0x200, v0
	s_mov_b32 s2, exec_lo
	s_delay_alu instid0(VALU_DEP_1)
	v_cmpx_gt_u32_e64 s18, v11
	s_cbranch_execz .LBB1307_9
; %bb.8:
	v_lshlrev_b32_e32 v5, 3, v0
	s_delay_alu instid0(VALU_DEP_1)
	v_add_co_u32 v5, s3, s14, v5
	s_wait_alu 0xf1ff
	v_add_co_ci_u32_e64 v6, null, s15, 0, s3
	flat_load_b64 v[5:6], v[5:6] offset:4096
.LBB1307_9:
	s_wait_alu 0xfffe
	s_or_b32 exec_lo, exec_lo, s2
	v_or_b32_e32 v11, 0x300, v0
	s_mov_b32 s2, exec_lo
	s_delay_alu instid0(VALU_DEP_1)
	v_cmpx_gt_u32_e64 s18, v11
	s_cbranch_execz .LBB1307_11
; %bb.10:
	v_lshlrev_b32_e32 v7, 3, v0
	s_delay_alu instid0(VALU_DEP_1)
	v_add_co_u32 v7, s3, s14, v7
	s_wait_alu 0xf1ff
	v_add_co_ci_u32_e64 v8, null, s15, 0, s3
	flat_load_b64 v[7:8], v[7:8] offset:6144
.LBB1307_11:
	s_wait_alu 0xfffe
	s_or_b32 exec_lo, exec_lo, s2
	v_or_b32_e32 v11, 0x400, v0
	s_mov_b32 s2, exec_lo
	s_delay_alu instid0(VALU_DEP_1)
	v_cmpx_gt_u32_e64 s18, v11
	s_cbranch_execz .LBB1307_13
; %bb.12:
	v_lshlrev_b32_e32 v9, 3, v0
	s_delay_alu instid0(VALU_DEP_1)
	v_add_co_u32 v9, s3, s14, v9
	s_wait_alu 0xf1ff
	v_add_co_ci_u32_e64 v10, null, s15, 0, s3
	flat_load_b64 v[9:10], v[9:10] offset:8192
.LBB1307_13:
	s_wait_alu 0xfffe
	s_or_b32 exec_lo, exec_lo, s2
	v_lshlrev_b32_e32 v11, 3, v0
	s_wait_loadcnt_dscnt 0x0
	ds_store_2addr_stride64_b64 v11, v[1:2], v[3:4] offset1:4
	ds_store_2addr_stride64_b64 v11, v[5:6], v[7:8] offset0:8 offset1:12
	ds_store_b64 v11, v[9:10] offset:8192
	s_wait_dscnt 0x0
	s_barrier_signal -1
	s_barrier_wait -1
.LBB1307_14:
	v_mul_u32_u24_e32 v1, 5, v0
	global_inv scope:SCOPE_SE
	s_wait_kmcnt 0x0
	s_add_nc_u64 s[2:3], s[12:13], s[4:5]
	s_and_b32 vcc_lo, exec_lo, s17
	s_wait_alu 0xfffe
	s_add_nc_u64 s[2:3], s[2:3], s[10:11]
	v_lshlrev_b32_e32 v9, 3, v1
	s_mov_b32 s4, -1
	ds_load_2addr_b64 v[5:8], v9 offset1:1
	ds_load_2addr_b64 v[1:4], v9 offset0:2 offset1:3
	ds_load_b64 v[17:18], v9 offset:32
	s_wait_loadcnt_dscnt 0x0
	s_barrier_signal -1
	s_barrier_wait -1
	global_inv scope:SCOPE_SE
	s_cbranch_vccz .LBB1307_16
; %bb.15:
	v_lshlrev_b32_e32 v16, 3, v0
	s_mov_b32 s4, 0
	s_clause 0x4
	global_load_b64 v[10:11], v16, s[2:3]
	global_load_b64 v[12:13], v16, s[2:3] offset:2048
	global_load_b64 v[14:15], v16, s[2:3] offset:4096
	;; [unrolled: 1-line block ×4, first 2 shown]
	s_wait_loadcnt 0x4
	v_cmp_eq_f64_e32 vcc_lo, 0, v[10:11]
	v_cndmask_b32_e64 v10, 0, 1, vcc_lo
	s_wait_loadcnt 0x3
	v_cmp_eq_f64_e32 vcc_lo, 0, v[12:13]
	s_wait_alu 0xfffd
	v_cndmask_b32_e64 v11, 0, 1, vcc_lo
	s_wait_loadcnt 0x2
	v_cmp_eq_f64_e32 vcc_lo, 0, v[14:15]
	s_wait_alu 0xfffd
	;; [unrolled: 4-line block ×4, first 2 shown]
	v_cndmask_b32_e64 v14, 0, 1, vcc_lo
	ds_store_b8 v0, v10
	ds_store_b8 v0, v11 offset:256
	ds_store_b8 v0, v12 offset:512
	;; [unrolled: 1-line block ×4, first 2 shown]
	s_wait_dscnt 0x0
	s_barrier_signal -1
	s_barrier_wait -1
.LBB1307_16:
	s_and_not1_b32 vcc_lo, exec_lo, s4
	s_wait_alu 0xfffe
	s_cbranch_vccnz .LBB1307_28
; %bb.17:
	v_mov_b32_e32 v12, 0
	s_mov_b32 s5, 0
	s_mov_b32 s4, exec_lo
	s_delay_alu instid0(VALU_DEP_1)
	v_dual_mov_b32 v10, v12 :: v_dual_mov_b32 v11, v12
	v_cmpx_gt_u32_e64 s18, v0
	s_cbranch_execz .LBB1307_19
; %bb.18:
	v_lshlrev_b32_e32 v10, 3, v0
	global_load_b64 v[10:11], v10, s[2:3]
	s_wait_loadcnt 0x0
	v_cmp_eq_f64_e32 vcc_lo, 0, v[10:11]
	v_mov_b32_e32 v10, s5
	s_wait_alu 0xfffd
	v_cndmask_b32_e64 v12, 0, 1, vcc_lo
	s_delay_alu instid0(VALU_DEP_1)
	v_mov_b32_e32 v11, v12
.LBB1307_19:
	s_or_b32 exec_lo, exec_lo, s4
	v_or_b32_e32 v13, 0x100, v0
	s_mov_b32 s4, exec_lo
	s_delay_alu instid0(VALU_DEP_1)
	v_cmpx_gt_u32_e64 s18, v13
	s_cbranch_execz .LBB1307_21
; %bb.20:
	v_lshlrev_b32_e32 v13, 3, v0
	v_lshrrev_b32_e32 v15, 24, v12
	v_lshrrev_b32_e32 v16, 16, v12
	v_and_b32_e32 v12, 0xff, v12
	v_and_b32_e32 v10, 0xff, v10
	global_load_b64 v[13:14], v13, s[2:3] offset:2048
	s_wait_loadcnt 0x0
	v_cmp_eq_f64_e32 vcc_lo, 0, v[13:14]
	v_lshlrev_b16 v14, 8, v15
	v_and_b32_e32 v15, 0xff, v16
	s_delay_alu instid0(VALU_DEP_1) | instskip(SKIP_2) | instid1(VALU_DEP_1)
	v_or_b32_e32 v14, v15, v14
	s_wait_alu 0xfffd
	v_cndmask_b32_e64 v13, 0, 1, vcc_lo
	v_lshlrev_b16 v13, 8, v13
	s_delay_alu instid0(VALU_DEP_1) | instskip(SKIP_1) | instid1(VALU_DEP_2)
	v_or_b32_e32 v12, v12, v13
	v_lshlrev_b32_e32 v13, 16, v14
	v_and_b32_e32 v12, 0xffff, v12
	s_delay_alu instid0(VALU_DEP_1)
	v_or_b32_e32 v12, v12, v13
.LBB1307_21:
	s_wait_alu 0xfffe
	s_or_b32 exec_lo, exec_lo, s4
	v_or_b32_e32 v13, 0x200, v0
	s_mov_b32 s4, exec_lo
	s_delay_alu instid0(VALU_DEP_1)
	v_cmpx_gt_u32_e64 s18, v13
	s_cbranch_execz .LBB1307_23
; %bb.22:
	v_lshlrev_b32_e32 v13, 3, v0
	v_lshrrev_b32_e32 v15, 24, v12
	v_perm_b32 v12, v12, v12, 0xc0c0104
	v_and_b32_e32 v10, 0xff, v10
	global_load_b64 v[13:14], v13, s[2:3] offset:4096
	v_lshlrev_b16 v15, 8, v15
	s_wait_loadcnt 0x0
	v_cmp_eq_f64_e32 vcc_lo, 0, v[13:14]
	s_wait_alu 0xfffd
	v_cndmask_b32_e64 v13, 0, 1, vcc_lo
	s_delay_alu instid0(VALU_DEP_1) | instskip(NEXT) | instid1(VALU_DEP_1)
	v_or_b32_e32 v13, v13, v15
	v_lshlrev_b32_e32 v13, 16, v13
	s_delay_alu instid0(VALU_DEP_1)
	v_or_b32_e32 v12, v12, v13
.LBB1307_23:
	s_wait_alu 0xfffe
	s_or_b32 exec_lo, exec_lo, s4
	v_or_b32_e32 v13, 0x300, v0
	s_mov_b32 s4, exec_lo
	s_delay_alu instid0(VALU_DEP_1)
	v_cmpx_gt_u32_e64 s18, v13
	s_cbranch_execz .LBB1307_25
; %bb.24:
	v_lshlrev_b32_e32 v13, 3, v0
	v_lshrrev_b32_e32 v15, 16, v12
	v_perm_b32 v12, v12, v12, 0xc0c0104
	v_and_b32_e32 v10, 0xff, v10
	global_load_b64 v[13:14], v13, s[2:3] offset:6144
	s_wait_loadcnt 0x0
	v_cmp_eq_f64_e32 vcc_lo, 0, v[13:14]
	v_and_b32_e32 v14, 0xff, v15
	s_wait_alu 0xfffd
	v_cndmask_b32_e64 v13, 0, 1, vcc_lo
	s_delay_alu instid0(VALU_DEP_1) | instskip(NEXT) | instid1(VALU_DEP_1)
	v_lshlrev_b16 v13, 8, v13
	v_or_b32_e32 v13, v14, v13
	s_delay_alu instid0(VALU_DEP_1) | instskip(NEXT) | instid1(VALU_DEP_1)
	v_lshlrev_b32_e32 v13, 16, v13
	v_or_b32_e32 v12, v12, v13
.LBB1307_25:
	s_wait_alu 0xfffe
	s_or_b32 exec_lo, exec_lo, s4
	v_or_b32_e32 v13, 0x400, v0
	s_mov_b32 s4, exec_lo
	s_delay_alu instid0(VALU_DEP_1)
	v_cmpx_gt_u32_e64 s18, v13
	s_cbranch_execz .LBB1307_27
; %bb.26:
	v_lshlrev_b32_e32 v10, 3, v0
	v_perm_b32 v12, v12, v12, 0x3020104
	global_load_b64 v[13:14], v10, s[2:3] offset:8192
	s_wait_loadcnt 0x0
	v_cmp_eq_f64_e32 vcc_lo, 0, v[13:14]
	s_wait_alu 0xfffd
	v_cndmask_b32_e64 v10, 0, 1, vcc_lo
.LBB1307_27:
	s_wait_alu 0xfffe
	s_or_b32 exec_lo, exec_lo, s4
	v_lshrrev_b32_e32 v13, 8, v12
	v_lshrrev_b32_e32 v14, 24, v12
	ds_store_b8 v0, v11
	ds_store_b8 v0, v13 offset:256
	ds_store_b8_d16_hi v0, v12 offset:512
	ds_store_b8 v0, v14 offset:768
	ds_store_b8 v0, v10 offset:1024
	s_wait_loadcnt_dscnt 0x0
	s_barrier_signal -1
	s_barrier_wait -1
.LBB1307_28:
	v_mad_i32_i24 v33, 0xffffffdd, v0, v9
	s_wait_loadcnt 0x0
	global_inv scope:SCOPE_SE
	s_load_b64 s[10:11], s[0:1], 0x68
	v_mbcnt_lo_u32_b32 v32, -1, 0
	s_cmp_lg_u32 ttmp9, 0
	ds_load_u8 v9, v33
	ds_load_u8 v10, v33 offset:1
	ds_load_u8 v11, v33 offset:2
	;; [unrolled: 1-line block ×4, first 2 shown]
	s_mov_b32 s3, -1
	s_wait_loadcnt_dscnt 0x0
	v_and_b32_e32 v34, 15, v32
	s_barrier_signal -1
	s_barrier_wait -1
	global_inv scope:SCOPE_SE
	v_and_b32_e32 v31, 1, v9
	v_and_b32_e32 v30, 1, v10
	v_dual_mov_b32 v10, 0 :: v_dual_and_b32 v29, 1, v11
	v_and_b32_e32 v27, 1, v12
	v_and_b32_e32 v28, 1, v13
	s_delay_alu instid0(VALU_DEP_3) | instskip(NEXT) | instid1(VALU_DEP_1)
	v_add3_u32 v9, v30, v31, v29
	v_add_co_u32 v9, s2, v9, v27
	s_wait_alu 0xf1ff
	v_add_co_ci_u32_e64 v11, null, 0, 0, s2
	v_cmp_ne_u32_e64 s2, 0, v34
	s_delay_alu instid0(VALU_DEP_3) | instskip(SKIP_1) | instid1(VALU_DEP_3)
	v_add_co_u32 v19, vcc_lo, v9, v28
	s_wait_alu 0xfffd
	v_add_co_ci_u32_e64 v20, null, 0, v11, vcc_lo
	s_cbranch_scc0 .LBB1307_85
; %bb.29:
	v_mov_b32_e32 v11, v19
	v_mov_b32_dpp v9, v19 row_shr:1 row_mask:0xf bank_mask:0xf
	v_mov_b32_dpp v14, v10 row_shr:1 row_mask:0xf bank_mask:0xf
	v_dual_mov_b32 v13, v19 :: v_dual_mov_b32 v12, v20
	s_and_saveexec_b32 s3, s2
; %bb.30:
	s_delay_alu instid0(VALU_DEP_3) | instskip(SKIP_2) | instid1(VALU_DEP_2)
	v_add_co_u32 v13, vcc_lo, v19, v9
	s_wait_alu 0xfffd
	v_add_co_ci_u32_e64 v10, null, 0, v20, vcc_lo
	v_add_co_u32 v9, vcc_lo, 0, v13
	s_wait_alu 0xfffd
	s_delay_alu instid0(VALU_DEP_2) | instskip(NEXT) | instid1(VALU_DEP_1)
	v_add_co_ci_u32_e64 v10, null, v14, v10, vcc_lo
	v_dual_mov_b32 v12, v10 :: v_dual_mov_b32 v11, v9
; %bb.31:
	s_wait_alu 0xfffe
	s_or_b32 exec_lo, exec_lo, s3
	v_mov_b32_dpp v9, v13 row_shr:2 row_mask:0xf bank_mask:0xf
	v_mov_b32_dpp v14, v10 row_shr:2 row_mask:0xf bank_mask:0xf
	s_mov_b32 s3, exec_lo
	v_cmpx_lt_u32_e32 1, v34
; %bb.32:
	s_delay_alu instid0(VALU_DEP_3) | instskip(SKIP_2) | instid1(VALU_DEP_2)
	v_add_co_u32 v13, vcc_lo, v11, v9
	s_wait_alu 0xfffd
	v_add_co_ci_u32_e64 v10, null, 0, v12, vcc_lo
	v_add_co_u32 v9, vcc_lo, 0, v13
	s_wait_alu 0xfffd
	s_delay_alu instid0(VALU_DEP_2) | instskip(NEXT) | instid1(VALU_DEP_1)
	v_add_co_ci_u32_e64 v10, null, v14, v10, vcc_lo
	v_dual_mov_b32 v12, v10 :: v_dual_mov_b32 v11, v9
; %bb.33:
	s_wait_alu 0xfffe
	s_or_b32 exec_lo, exec_lo, s3
	v_mov_b32_dpp v9, v13 row_shr:4 row_mask:0xf bank_mask:0xf
	v_mov_b32_dpp v14, v10 row_shr:4 row_mask:0xf bank_mask:0xf
	s_mov_b32 s3, exec_lo
	v_cmpx_lt_u32_e32 3, v34
	;; [unrolled: 17-line block ×3, first 2 shown]
; %bb.36:
	s_delay_alu instid0(VALU_DEP_3) | instskip(SKIP_2) | instid1(VALU_DEP_2)
	v_add_co_u32 v13, vcc_lo, v11, v14
	s_wait_alu 0xfffd
	v_add_co_ci_u32_e64 v10, null, 0, v12, vcc_lo
	v_add_co_u32 v11, vcc_lo, 0, v13
	s_wait_alu 0xfffd
	s_delay_alu instid0(VALU_DEP_2) | instskip(NEXT) | instid1(VALU_DEP_1)
	v_add_co_ci_u32_e64 v12, null, v9, v10, vcc_lo
	v_mov_b32_e32 v10, v12
; %bb.37:
	s_wait_alu 0xfffe
	s_or_b32 exec_lo, exec_lo, s3
	ds_swizzle_b32 v9, v13 offset:swizzle(BROADCAST,32,15)
	ds_swizzle_b32 v14, v10 offset:swizzle(BROADCAST,32,15)
	v_and_b32_e32 v15, 16, v32
	s_mov_b32 s3, exec_lo
	s_delay_alu instid0(VALU_DEP_1)
	v_cmpx_ne_u32_e32 0, v15
	s_cbranch_execz .LBB1307_39
; %bb.38:
	s_wait_dscnt 0x1
	v_add_co_u32 v13, vcc_lo, v11, v9
	s_wait_alu 0xfffd
	v_add_co_ci_u32_e64 v10, null, 0, v12, vcc_lo
	s_delay_alu instid0(VALU_DEP_2) | instskip(SKIP_2) | instid1(VALU_DEP_2)
	v_add_co_u32 v9, vcc_lo, 0, v13
	s_wait_dscnt 0x0
	s_wait_alu 0xfffd
	v_add_co_ci_u32_e64 v10, null, v14, v10, vcc_lo
	s_delay_alu instid0(VALU_DEP_1)
	v_dual_mov_b32 v12, v10 :: v_dual_mov_b32 v11, v9
.LBB1307_39:
	s_wait_alu 0xfffe
	s_or_b32 exec_lo, exec_lo, s3
	s_wait_dscnt 0x0
	v_or_b32_e32 v14, 31, v0
	v_lshrrev_b32_e32 v9, 5, v0
	s_mov_b32 s3, exec_lo
	s_delay_alu instid0(VALU_DEP_2)
	v_cmpx_eq_u32_e64 v0, v14
; %bb.40:
	s_delay_alu instid0(VALU_DEP_2)
	v_lshlrev_b32_e32 v14, 3, v9
	ds_store_b64 v14, v[11:12]
; %bb.41:
	s_wait_alu 0xfffe
	s_or_b32 exec_lo, exec_lo, s3
	s_delay_alu instid0(SALU_CYCLE_1)
	s_mov_b32 s3, exec_lo
	s_wait_loadcnt_dscnt 0x0
	s_barrier_signal -1
	s_barrier_wait -1
	global_inv scope:SCOPE_SE
	v_cmpx_gt_u32_e32 8, v0
	s_cbranch_execz .LBB1307_49
; %bb.42:
	v_lshlrev_b32_e32 v14, 3, v0
	s_mov_b32 s4, exec_lo
	ds_load_b64 v[11:12], v14
	s_wait_dscnt 0x0
	v_dual_mov_b32 v16, v11 :: v_dual_and_b32 v15, 7, v32
	v_mov_b32_dpp v22, v11 row_shr:1 row_mask:0xf bank_mask:0xf
	v_mov_b32_dpp v21, v12 row_shr:1 row_mask:0xf bank_mask:0xf
	s_delay_alu instid0(VALU_DEP_3)
	v_cmpx_ne_u32_e32 0, v15
; %bb.43:
	s_delay_alu instid0(VALU_DEP_3) | instskip(SKIP_2) | instid1(VALU_DEP_2)
	v_add_co_u32 v16, vcc_lo, v11, v22
	s_wait_alu 0xfffd
	v_add_co_ci_u32_e64 v12, null, 0, v12, vcc_lo
	v_add_co_u32 v11, vcc_lo, 0, v16
	s_wait_alu 0xfffd
	s_delay_alu instid0(VALU_DEP_2)
	v_add_co_ci_u32_e64 v12, null, v21, v12, vcc_lo
; %bb.44:
	s_wait_alu 0xfffe
	s_or_b32 exec_lo, exec_lo, s4
	v_mov_b32_dpp v22, v16 row_shr:2 row_mask:0xf bank_mask:0xf
	s_delay_alu instid0(VALU_DEP_2)
	v_mov_b32_dpp v21, v12 row_shr:2 row_mask:0xf bank_mask:0xf
	s_mov_b32 s4, exec_lo
	v_cmpx_lt_u32_e32 1, v15
; %bb.45:
	s_delay_alu instid0(VALU_DEP_3) | instskip(SKIP_2) | instid1(VALU_DEP_2)
	v_add_co_u32 v16, vcc_lo, v11, v22
	s_wait_alu 0xfffd
	v_add_co_ci_u32_e64 v12, null, 0, v12, vcc_lo
	v_add_co_u32 v11, vcc_lo, 0, v16
	s_wait_alu 0xfffd
	s_delay_alu instid0(VALU_DEP_2)
	v_add_co_ci_u32_e64 v12, null, v21, v12, vcc_lo
; %bb.46:
	s_wait_alu 0xfffe
	s_or_b32 exec_lo, exec_lo, s4
	v_mov_b32_dpp v21, v16 row_shr:4 row_mask:0xf bank_mask:0xf
	s_delay_alu instid0(VALU_DEP_2)
	v_mov_b32_dpp v16, v12 row_shr:4 row_mask:0xf bank_mask:0xf
	s_mov_b32 s4, exec_lo
	v_cmpx_lt_u32_e32 3, v15
; %bb.47:
	s_delay_alu instid0(VALU_DEP_3) | instskip(SKIP_2) | instid1(VALU_DEP_2)
	v_add_co_u32 v11, vcc_lo, v11, v21
	s_wait_alu 0xfffd
	v_add_co_ci_u32_e64 v12, null, 0, v12, vcc_lo
	v_add_co_u32 v11, vcc_lo, v11, 0
	s_wait_alu 0xfffd
	s_delay_alu instid0(VALU_DEP_2)
	v_add_co_ci_u32_e64 v12, null, v12, v16, vcc_lo
; %bb.48:
	s_wait_alu 0xfffe
	s_or_b32 exec_lo, exec_lo, s4
	ds_store_b64 v14, v[11:12]
.LBB1307_49:
	s_wait_alu 0xfffe
	s_or_b32 exec_lo, exec_lo, s3
	s_delay_alu instid0(SALU_CYCLE_1)
	s_mov_b32 s4, exec_lo
	v_cmp_gt_u32_e32 vcc_lo, 32, v0
	s_wait_loadcnt_dscnt 0x0
	s_barrier_signal -1
	s_barrier_wait -1
	global_inv scope:SCOPE_SE
                                        ; implicit-def: $vgpr21_vgpr22
	v_cmpx_lt_u32_e32 31, v0
	s_cbranch_execz .LBB1307_51
; %bb.50:
	v_lshl_add_u32 v9, v9, 3, -8
	ds_load_b64 v[21:22], v9
	s_wait_dscnt 0x0
	v_add_co_u32 v13, s3, v13, v21
	s_wait_alu 0xf1ff
	v_add_co_ci_u32_e64 v10, null, v10, v22, s3
.LBB1307_51:
	s_wait_alu 0xfffe
	s_or_b32 exec_lo, exec_lo, s4
	v_sub_co_u32 v9, s3, v32, 1
	s_delay_alu instid0(VALU_DEP_1) | instskip(SKIP_1) | instid1(VALU_DEP_1)
	v_cmp_gt_i32_e64 s4, 0, v9
	s_wait_alu 0xf1ff
	v_cndmask_b32_e64 v9, v9, v32, s4
	s_delay_alu instid0(VALU_DEP_1)
	v_lshlrev_b32_e32 v9, 2, v9
	ds_bpermute_b32 v35, v9, v13
	ds_bpermute_b32 v36, v9, v10
	s_and_saveexec_b32 s4, vcc_lo
	s_cbranch_execz .LBB1307_90
; %bb.52:
	v_mov_b32_e32 v12, 0
	ds_load_b64 v[9:10], v12 offset:56
	s_and_saveexec_b32 s5, s3
	s_cbranch_execz .LBB1307_54
; %bb.53:
	s_add_co_i32 s12, ttmp9, 32
	s_mov_b32 s13, 0
	s_delay_alu instid0(SALU_CYCLE_1) | instskip(SKIP_2) | instid1(SALU_CYCLE_1)
	s_lshl_b64 s[12:13], s[12:13], 4
	s_wait_kmcnt 0x0
	s_add_nc_u64 s[12:13], s[10:11], s[12:13]
	v_dual_mov_b32 v11, 1 :: v_dual_mov_b32 v14, s13
	v_mov_b32_e32 v13, s12
	s_wait_dscnt 0x0
	;;#ASMSTART
	global_store_b128 v[13:14], v[9:12] off scope:SCOPE_DEV	
s_wait_storecnt 0x0
	;;#ASMEND
.LBB1307_54:
	s_wait_alu 0xfffe
	s_or_b32 exec_lo, exec_lo, s5
	v_xad_u32 v23, v32, -1, ttmp9
	s_mov_b32 s12, 0
	s_mov_b32 s5, exec_lo
	s_delay_alu instid0(VALU_DEP_1) | instskip(NEXT) | instid1(VALU_DEP_1)
	v_add_nc_u32_e32 v11, 32, v23
	v_lshlrev_b64_e32 v[11:12], 4, v[11:12]
	s_wait_kmcnt 0x0
	s_delay_alu instid0(VALU_DEP_1) | instskip(SKIP_1) | instid1(VALU_DEP_2)
	v_add_co_u32 v11, vcc_lo, s10, v11
	s_wait_alu 0xfffd
	v_add_co_ci_u32_e64 v12, null, s11, v12, vcc_lo
	;;#ASMSTART
	global_load_b128 v[13:16], v[11:12] off scope:SCOPE_DEV	
s_wait_loadcnt 0x0
	;;#ASMEND
	v_and_b32_e32 v16, 0xff, v15
	s_delay_alu instid0(VALU_DEP_1)
	v_cmpx_eq_u16_e32 0, v16
	s_cbranch_execz .LBB1307_57
.LBB1307_55:                            ; =>This Inner Loop Header: Depth=1
	;;#ASMSTART
	global_load_b128 v[13:16], v[11:12] off scope:SCOPE_DEV	
s_wait_loadcnt 0x0
	;;#ASMEND
	v_and_b32_e32 v16, 0xff, v15
	s_delay_alu instid0(VALU_DEP_1)
	v_cmp_ne_u16_e32 vcc_lo, 0, v16
	s_wait_alu 0xfffe
	s_or_b32 s12, vcc_lo, s12
	s_wait_alu 0xfffe
	s_and_not1_b32 exec_lo, exec_lo, s12
	s_cbranch_execnz .LBB1307_55
; %bb.56:
	s_or_b32 exec_lo, exec_lo, s12
.LBB1307_57:
	s_wait_alu 0xfffe
	s_or_b32 exec_lo, exec_lo, s5
	v_cmp_ne_u32_e32 vcc_lo, 31, v32
	v_and_b32_e32 v12, 0xff, v15
	v_lshlrev_b32_e64 v38, v32, -1
	s_mov_b32 s5, exec_lo
	s_wait_alu 0xfffd
	v_add_co_ci_u32_e64 v11, null, 0, v32, vcc_lo
	v_cmp_eq_u16_e32 vcc_lo, 2, v12
	s_delay_alu instid0(VALU_DEP_2)
	v_dual_mov_b32 v12, v13 :: v_dual_lshlrev_b32 v37, 2, v11
	s_wait_alu 0xfffd
	v_and_or_b32 v11, vcc_lo, v38, 0x80000000
	ds_bpermute_b32 v24, v37, v13
	ds_bpermute_b32 v16, v37, v14
	v_ctz_i32_b32_e32 v11, v11
	s_delay_alu instid0(VALU_DEP_1)
	v_cmpx_lt_u32_e64 v32, v11
	s_cbranch_execz .LBB1307_59
; %bb.58:
	s_wait_dscnt 0x1
	v_add_co_u32 v12, vcc_lo, v13, v24
	s_wait_alu 0xfffd
	v_add_co_ci_u32_e64 v14, null, 0, v14, vcc_lo
	s_delay_alu instid0(VALU_DEP_2) | instskip(SKIP_2) | instid1(VALU_DEP_2)
	v_add_co_u32 v13, vcc_lo, 0, v12
	s_wait_dscnt 0x0
	s_wait_alu 0xfffd
	v_add_co_ci_u32_e64 v14, null, v16, v14, vcc_lo
.LBB1307_59:
	s_wait_alu 0xfffe
	s_or_b32 exec_lo, exec_lo, s5
	v_cmp_gt_u32_e32 vcc_lo, 30, v32
	v_add_nc_u32_e32 v40, 2, v32
	s_mov_b32 s5, exec_lo
	s_wait_dscnt 0x0
	s_wait_alu 0xfffd
	v_cndmask_b32_e64 v16, 0, 2, vcc_lo
	s_delay_alu instid0(VALU_DEP_1)
	v_add_lshl_u32 v39, v16, v32, 2
	ds_bpermute_b32 v24, v39, v12
	ds_bpermute_b32 v16, v39, v14
	v_cmpx_le_u32_e64 v40, v11
	s_cbranch_execz .LBB1307_61
; %bb.60:
	s_wait_dscnt 0x1
	v_add_co_u32 v12, vcc_lo, v13, v24
	s_wait_alu 0xfffd
	v_add_co_ci_u32_e64 v14, null, 0, v14, vcc_lo
	s_delay_alu instid0(VALU_DEP_2) | instskip(SKIP_2) | instid1(VALU_DEP_2)
	v_add_co_u32 v13, vcc_lo, 0, v12
	s_wait_dscnt 0x0
	s_wait_alu 0xfffd
	v_add_co_ci_u32_e64 v14, null, v16, v14, vcc_lo
.LBB1307_61:
	s_wait_alu 0xfffe
	s_or_b32 exec_lo, exec_lo, s5
	v_cmp_gt_u32_e32 vcc_lo, 28, v32
	v_add_nc_u32_e32 v42, 4, v32
	s_mov_b32 s5, exec_lo
	s_wait_dscnt 0x0
	s_wait_alu 0xfffd
	v_cndmask_b32_e64 v16, 0, 4, vcc_lo
	s_delay_alu instid0(VALU_DEP_1)
	v_add_lshl_u32 v41, v16, v32, 2
	ds_bpermute_b32 v24, v41, v12
	ds_bpermute_b32 v16, v41, v14
	v_cmpx_le_u32_e64 v42, v11
	;; [unrolled: 25-line block ×3, first 2 shown]
	s_cbranch_execz .LBB1307_65
; %bb.64:
	s_wait_dscnt 0x1
	v_add_co_u32 v12, vcc_lo, v13, v24
	s_wait_alu 0xfffd
	v_add_co_ci_u32_e64 v14, null, 0, v14, vcc_lo
	s_delay_alu instid0(VALU_DEP_2) | instskip(SKIP_2) | instid1(VALU_DEP_2)
	v_add_co_u32 v13, vcc_lo, 0, v12
	s_wait_dscnt 0x0
	s_wait_alu 0xfffd
	v_add_co_ci_u32_e64 v14, null, v16, v14, vcc_lo
.LBB1307_65:
	s_wait_alu 0xfffe
	s_or_b32 exec_lo, exec_lo, s5
	v_lshl_or_b32 v45, v32, 2, 64
	v_add_nc_u32_e32 v46, 16, v32
	s_mov_b32 s5, exec_lo
	s_wait_dscnt 0x0
	ds_bpermute_b32 v16, v45, v12
	ds_bpermute_b32 v12, v45, v14
	v_cmpx_le_u32_e64 v46, v11
	s_cbranch_execz .LBB1307_67
; %bb.66:
	s_wait_dscnt 0x1
	v_add_co_u32 v11, vcc_lo, v13, v16
	s_wait_alu 0xfffd
	v_add_co_ci_u32_e64 v14, null, 0, v14, vcc_lo
	s_delay_alu instid0(VALU_DEP_2) | instskip(SKIP_2) | instid1(VALU_DEP_2)
	v_add_co_u32 v13, vcc_lo, v11, 0
	s_wait_dscnt 0x0
	s_wait_alu 0xfffd
	v_add_co_ci_u32_e64 v14, null, v14, v12, vcc_lo
.LBB1307_67:
	s_wait_alu 0xfffe
	s_or_b32 exec_lo, exec_lo, s5
	v_mov_b32_e32 v24, 0
	s_branch .LBB1307_70
.LBB1307_68:                            ;   in Loop: Header=BB1307_70 Depth=1
	s_wait_alu 0xfffe
	s_or_b32 exec_lo, exec_lo, s5
	v_add_co_u32 v13, vcc_lo, v13, v11
	v_subrev_nc_u32_e32 v23, 32, v23
	s_wait_alu 0xfffd
	v_add_co_ci_u32_e64 v14, null, v14, v12, vcc_lo
	s_mov_b32 s5, 0
.LBB1307_69:                            ;   in Loop: Header=BB1307_70 Depth=1
	s_wait_alu 0xfffe
	s_and_b32 vcc_lo, exec_lo, s5
	s_wait_alu 0xfffe
	s_cbranch_vccnz .LBB1307_86
.LBB1307_70:                            ; =>This Loop Header: Depth=1
                                        ;     Child Loop BB1307_73 Depth 2
	v_and_b32_e32 v11, 0xff, v15
	s_mov_b32 s5, -1
	s_delay_alu instid0(VALU_DEP_1)
	v_cmp_ne_u16_e32 vcc_lo, 2, v11
	s_wait_dscnt 0x0
	v_dual_mov_b32 v11, v13 :: v_dual_mov_b32 v12, v14
                                        ; implicit-def: $vgpr13_vgpr14
	s_cmp_lg_u32 vcc_lo, exec_lo
	s_cbranch_scc1 .LBB1307_69
; %bb.71:                               ;   in Loop: Header=BB1307_70 Depth=1
	v_lshlrev_b64_e32 v[13:14], 4, v[23:24]
	s_mov_b32 s5, exec_lo
	s_delay_alu instid0(VALU_DEP_1) | instskip(SKIP_1) | instid1(VALU_DEP_2)
	v_add_co_u32 v25, vcc_lo, s10, v13
	s_wait_alu 0xfffd
	v_add_co_ci_u32_e64 v26, null, s11, v14, vcc_lo
	;;#ASMSTART
	global_load_b128 v[13:16], v[25:26] off scope:SCOPE_DEV	
s_wait_loadcnt 0x0
	;;#ASMEND
	v_and_b32_e32 v16, 0xff, v15
	s_delay_alu instid0(VALU_DEP_1)
	v_cmpx_eq_u16_e32 0, v16
	s_cbranch_execz .LBB1307_75
; %bb.72:                               ;   in Loop: Header=BB1307_70 Depth=1
	s_mov_b32 s12, 0
.LBB1307_73:                            ;   Parent Loop BB1307_70 Depth=1
                                        ; =>  This Inner Loop Header: Depth=2
	;;#ASMSTART
	global_load_b128 v[13:16], v[25:26] off scope:SCOPE_DEV	
s_wait_loadcnt 0x0
	;;#ASMEND
	v_and_b32_e32 v16, 0xff, v15
	s_delay_alu instid0(VALU_DEP_1)
	v_cmp_ne_u16_e32 vcc_lo, 0, v16
	s_wait_alu 0xfffe
	s_or_b32 s12, vcc_lo, s12
	s_wait_alu 0xfffe
	s_and_not1_b32 exec_lo, exec_lo, s12
	s_cbranch_execnz .LBB1307_73
; %bb.74:                               ;   in Loop: Header=BB1307_70 Depth=1
	s_or_b32 exec_lo, exec_lo, s12
.LBB1307_75:                            ;   in Loop: Header=BB1307_70 Depth=1
	s_wait_alu 0xfffe
	s_or_b32 exec_lo, exec_lo, s5
	v_dual_mov_b32 v25, v13 :: v_dual_and_b32 v16, 0xff, v15
	ds_bpermute_b32 v47, v37, v13
	ds_bpermute_b32 v26, v37, v14
	s_mov_b32 s5, exec_lo
	v_cmp_eq_u16_e32 vcc_lo, 2, v16
	s_wait_alu 0xfffd
	v_and_or_b32 v16, vcc_lo, v38, 0x80000000
	s_delay_alu instid0(VALU_DEP_1) | instskip(NEXT) | instid1(VALU_DEP_1)
	v_ctz_i32_b32_e32 v16, v16
	v_cmpx_lt_u32_e64 v32, v16
	s_cbranch_execz .LBB1307_77
; %bb.76:                               ;   in Loop: Header=BB1307_70 Depth=1
	s_wait_dscnt 0x1
	v_add_co_u32 v25, vcc_lo, v13, v47
	s_wait_alu 0xfffd
	v_add_co_ci_u32_e64 v14, null, 0, v14, vcc_lo
	s_delay_alu instid0(VALU_DEP_2) | instskip(SKIP_2) | instid1(VALU_DEP_2)
	v_add_co_u32 v13, vcc_lo, 0, v25
	s_wait_dscnt 0x0
	s_wait_alu 0xfffd
	v_add_co_ci_u32_e64 v14, null, v26, v14, vcc_lo
.LBB1307_77:                            ;   in Loop: Header=BB1307_70 Depth=1
	s_wait_alu 0xfffe
	s_or_b32 exec_lo, exec_lo, s5
	s_wait_dscnt 0x1
	ds_bpermute_b32 v47, v39, v25
	s_wait_dscnt 0x1
	ds_bpermute_b32 v26, v39, v14
	s_mov_b32 s5, exec_lo
	v_cmpx_le_u32_e64 v40, v16
	s_cbranch_execz .LBB1307_79
; %bb.78:                               ;   in Loop: Header=BB1307_70 Depth=1
	s_wait_dscnt 0x1
	v_add_co_u32 v25, vcc_lo, v13, v47
	s_wait_alu 0xfffd
	v_add_co_ci_u32_e64 v14, null, 0, v14, vcc_lo
	s_delay_alu instid0(VALU_DEP_2) | instskip(SKIP_2) | instid1(VALU_DEP_2)
	v_add_co_u32 v13, vcc_lo, 0, v25
	s_wait_dscnt 0x0
	s_wait_alu 0xfffd
	v_add_co_ci_u32_e64 v14, null, v26, v14, vcc_lo
.LBB1307_79:                            ;   in Loop: Header=BB1307_70 Depth=1
	s_wait_alu 0xfffe
	s_or_b32 exec_lo, exec_lo, s5
	s_wait_dscnt 0x1
	ds_bpermute_b32 v47, v41, v25
	s_wait_dscnt 0x1
	ds_bpermute_b32 v26, v41, v14
	s_mov_b32 s5, exec_lo
	v_cmpx_le_u32_e64 v42, v16
	;; [unrolled: 20-line block ×3, first 2 shown]
	s_cbranch_execz .LBB1307_83
; %bb.82:                               ;   in Loop: Header=BB1307_70 Depth=1
	s_wait_dscnt 0x1
	v_add_co_u32 v25, vcc_lo, v13, v47
	s_wait_alu 0xfffd
	v_add_co_ci_u32_e64 v14, null, 0, v14, vcc_lo
	s_delay_alu instid0(VALU_DEP_2) | instskip(SKIP_2) | instid1(VALU_DEP_2)
	v_add_co_u32 v13, vcc_lo, 0, v25
	s_wait_dscnt 0x0
	s_wait_alu 0xfffd
	v_add_co_ci_u32_e64 v14, null, v26, v14, vcc_lo
.LBB1307_83:                            ;   in Loop: Header=BB1307_70 Depth=1
	s_wait_alu 0xfffe
	s_or_b32 exec_lo, exec_lo, s5
	s_wait_dscnt 0x0
	ds_bpermute_b32 v26, v45, v25
	ds_bpermute_b32 v25, v45, v14
	s_mov_b32 s5, exec_lo
	v_cmpx_le_u32_e64 v46, v16
	s_cbranch_execz .LBB1307_68
; %bb.84:                               ;   in Loop: Header=BB1307_70 Depth=1
	s_wait_dscnt 0x1
	v_add_co_u32 v13, vcc_lo, v13, v26
	s_wait_alu 0xfffd
	v_add_co_ci_u32_e64 v14, null, 0, v14, vcc_lo
	s_delay_alu instid0(VALU_DEP_2) | instskip(SKIP_2) | instid1(VALU_DEP_2)
	v_add_co_u32 v13, vcc_lo, v13, 0
	s_wait_dscnt 0x0
	s_wait_alu 0xfffd
	v_add_co_ci_u32_e64 v14, null, v14, v25, vcc_lo
	s_branch .LBB1307_68
.LBB1307_85:
                                        ; implicit-def: $vgpr15_vgpr16
                                        ; implicit-def: $vgpr13_vgpr14
                                        ; implicit-def: $vgpr21_vgpr22
                                        ; implicit-def: $vgpr23_vgpr24
                                        ; implicit-def: $vgpr25_vgpr26
                                        ; implicit-def: $vgpr11_vgpr12
	s_load_b64 s[4:5], s[0:1], 0x30
	s_and_b32 vcc_lo, exec_lo, s3
	s_wait_alu 0xfffe
	s_cbranch_vccnz .LBB1307_91
	s_branch .LBB1307_116
.LBB1307_86:
	s_and_saveexec_b32 s5, s3
	s_cbranch_execz .LBB1307_88
; %bb.87:
	s_add_co_i32 s12, ttmp9, 32
	s_mov_b32 s13, 0
	v_add_co_u32 v13, vcc_lo, v11, v9
	s_wait_alu 0xfffe
	s_lshl_b64 s[12:13], s[12:13], 4
	v_dual_mov_b32 v15, 2 :: v_dual_mov_b32 v16, 0
	s_wait_alu 0xfffe
	s_add_nc_u64 s[12:13], s[10:11], s[12:13]
	s_wait_alu 0xfffd
	v_add_co_ci_u32_e64 v14, null, v12, v10, vcc_lo
	s_wait_alu 0xfffe
	v_dual_mov_b32 v24, s13 :: v_dual_mov_b32 v23, s12
	;;#ASMSTART
	global_store_b128 v[23:24], v[13:16] off scope:SCOPE_DEV	
s_wait_storecnt 0x0
	;;#ASMEND
	ds_store_b128 v16, v[9:12] offset:10240
.LBB1307_88:
	s_wait_alu 0xfffe
	s_or_b32 exec_lo, exec_lo, s5
	v_cmp_eq_u32_e32 vcc_lo, 0, v0
	s_and_b32 exec_lo, exec_lo, vcc_lo
; %bb.89:
	v_mov_b32_e32 v9, 0
	ds_store_b64 v9, v[11:12] offset:56
.LBB1307_90:
	s_wait_alu 0xfffe
	s_or_b32 exec_lo, exec_lo, s4
	s_wait_dscnt 0x1
	v_cndmask_b32_e64 v12, v35, v21, s3
	v_cmp_ne_u32_e32 vcc_lo, 0, v0
	v_mov_b32_e32 v11, 0
	s_wait_loadcnt_dscnt 0x0
	s_barrier_signal -1
	s_barrier_wait -1
	global_inv scope:SCOPE_SE
	s_wait_alu 0xfffd
	v_cndmask_b32_e32 v12, 0, v12, vcc_lo
	ds_load_b64 v[9:10], v11 offset:56
	v_cndmask_b32_e64 v13, v36, v22, s3
	s_wait_loadcnt_dscnt 0x0
	s_barrier_signal -1
	s_barrier_wait -1
	global_inv scope:SCOPE_SE
	v_cndmask_b32_e32 v13, 0, v13, vcc_lo
	v_add_co_u32 v25, vcc_lo, v9, v12
	s_wait_alu 0xfffd
	s_delay_alu instid0(VALU_DEP_2) | instskip(SKIP_4) | instid1(VALU_DEP_2)
	v_add_co_ci_u32_e64 v26, null, v10, v13, vcc_lo
	ds_load_b128 v[9:12], v11 offset:10240
	v_add_co_u32 v23, vcc_lo, v25, v31
	s_wait_alu 0xfffd
	v_add_co_ci_u32_e64 v24, null, 0, v26, vcc_lo
	v_add_co_u32 v21, vcc_lo, v23, v30
	s_wait_alu 0xfffd
	s_delay_alu instid0(VALU_DEP_2) | instskip(NEXT) | instid1(VALU_DEP_2)
	v_add_co_ci_u32_e64 v22, null, 0, v24, vcc_lo
	v_add_co_u32 v13, vcc_lo, v21, v29
	s_wait_alu 0xfffd
	s_delay_alu instid0(VALU_DEP_2) | instskip(NEXT) | instid1(VALU_DEP_2)
	v_add_co_ci_u32_e64 v14, null, 0, v22, vcc_lo
	v_add_co_u32 v15, vcc_lo, v13, v27
	s_wait_alu 0xfffd
	s_delay_alu instid0(VALU_DEP_2)
	v_add_co_ci_u32_e64 v16, null, 0, v14, vcc_lo
	s_load_b64 s[4:5], s[0:1], 0x30
	s_branch .LBB1307_116
.LBB1307_91:
	s_wait_dscnt 0x0
	v_dual_mov_b32 v10, 0 :: v_dual_mov_b32 v11, v19
	v_mov_b32_dpp v12, v19 row_shr:1 row_mask:0xf bank_mask:0xf
	s_delay_alu instid0(VALU_DEP_2)
	v_mov_b32_dpp v9, v10 row_shr:1 row_mask:0xf bank_mask:0xf
	s_and_saveexec_b32 s0, s2
; %bb.92:
	s_delay_alu instid0(VALU_DEP_2) | instskip(SKIP_2) | instid1(VALU_DEP_2)
	v_add_co_u32 v11, vcc_lo, v19, v12
	s_wait_alu 0xfffd
	v_add_co_ci_u32_e64 v10, null, 0, v20, vcc_lo
	v_add_co_u32 v19, vcc_lo, 0, v11
	s_wait_alu 0xfffd
	s_delay_alu instid0(VALU_DEP_2) | instskip(NEXT) | instid1(VALU_DEP_1)
	v_add_co_ci_u32_e64 v20, null, v9, v10, vcc_lo
	v_mov_b32_e32 v10, v20
; %bb.93:
	s_or_b32 exec_lo, exec_lo, s0
	v_mov_b32_dpp v9, v11 row_shr:2 row_mask:0xf bank_mask:0xf
	s_delay_alu instid0(VALU_DEP_2)
	v_mov_b32_dpp v12, v10 row_shr:2 row_mask:0xf bank_mask:0xf
	s_mov_b32 s0, exec_lo
	v_cmpx_lt_u32_e32 1, v34
; %bb.94:
	s_delay_alu instid0(VALU_DEP_3) | instskip(SKIP_2) | instid1(VALU_DEP_2)
	v_add_co_u32 v11, vcc_lo, v19, v9
	s_wait_alu 0xfffd
	v_add_co_ci_u32_e64 v10, null, 0, v20, vcc_lo
	v_add_co_u32 v9, vcc_lo, 0, v11
	s_wait_alu 0xfffd
	s_delay_alu instid0(VALU_DEP_2) | instskip(NEXT) | instid1(VALU_DEP_1)
	v_add_co_ci_u32_e64 v10, null, v12, v10, vcc_lo
	v_dual_mov_b32 v20, v10 :: v_dual_mov_b32 v19, v9
; %bb.95:
	s_or_b32 exec_lo, exec_lo, s0
	v_mov_b32_dpp v9, v11 row_shr:4 row_mask:0xf bank_mask:0xf
	v_mov_b32_dpp v12, v10 row_shr:4 row_mask:0xf bank_mask:0xf
	s_mov_b32 s0, exec_lo
	v_cmpx_lt_u32_e32 3, v34
; %bb.96:
	s_delay_alu instid0(VALU_DEP_3) | instskip(SKIP_2) | instid1(VALU_DEP_2)
	v_add_co_u32 v11, vcc_lo, v19, v9
	s_wait_alu 0xfffd
	v_add_co_ci_u32_e64 v10, null, 0, v20, vcc_lo
	v_add_co_u32 v9, vcc_lo, 0, v11
	s_wait_alu 0xfffd
	s_delay_alu instid0(VALU_DEP_2) | instskip(NEXT) | instid1(VALU_DEP_1)
	v_add_co_ci_u32_e64 v10, null, v12, v10, vcc_lo
	v_dual_mov_b32 v20, v10 :: v_dual_mov_b32 v19, v9
; %bb.97:
	s_or_b32 exec_lo, exec_lo, s0
	v_mov_b32_dpp v12, v11 row_shr:8 row_mask:0xf bank_mask:0xf
	v_mov_b32_dpp v9, v10 row_shr:8 row_mask:0xf bank_mask:0xf
	s_mov_b32 s0, exec_lo
	v_cmpx_lt_u32_e32 7, v34
; %bb.98:
	s_delay_alu instid0(VALU_DEP_3) | instskip(SKIP_2) | instid1(VALU_DEP_2)
	v_add_co_u32 v11, vcc_lo, v19, v12
	s_wait_alu 0xfffd
	v_add_co_ci_u32_e64 v10, null, 0, v20, vcc_lo
	v_add_co_u32 v19, vcc_lo, 0, v11
	s_wait_alu 0xfffd
	s_delay_alu instid0(VALU_DEP_2) | instskip(NEXT) | instid1(VALU_DEP_1)
	v_add_co_ci_u32_e64 v20, null, v9, v10, vcc_lo
	v_mov_b32_e32 v10, v20
; %bb.99:
	s_or_b32 exec_lo, exec_lo, s0
	ds_swizzle_b32 v11, v11 offset:swizzle(BROADCAST,32,15)
	ds_swizzle_b32 v9, v10 offset:swizzle(BROADCAST,32,15)
	v_and_b32_e32 v10, 16, v32
	s_mov_b32 s0, exec_lo
	s_delay_alu instid0(VALU_DEP_1)
	v_cmpx_ne_u32_e32 0, v10
	s_cbranch_execz .LBB1307_101
; %bb.100:
	s_wait_dscnt 0x1
	v_add_co_u32 v10, vcc_lo, v19, v11
	s_wait_alu 0xfffd
	v_add_co_ci_u32_e64 v11, null, 0, v20, vcc_lo
	s_delay_alu instid0(VALU_DEP_2) | instskip(SKIP_2) | instid1(VALU_DEP_2)
	v_add_co_u32 v19, vcc_lo, v10, 0
	s_wait_dscnt 0x0
	s_wait_alu 0xfffd
	v_add_co_ci_u32_e64 v20, null, v11, v9, vcc_lo
.LBB1307_101:
	s_or_b32 exec_lo, exec_lo, s0
	s_wait_dscnt 0x0
	v_or_b32_e32 v9, 31, v0
	v_lshrrev_b32_e32 v11, 5, v0
	s_mov_b32 s0, exec_lo
	s_delay_alu instid0(VALU_DEP_2)
	v_cmpx_eq_u32_e64 v0, v9
; %bb.102:
	s_delay_alu instid0(VALU_DEP_2)
	v_lshlrev_b32_e32 v9, 3, v11
	ds_store_b64 v9, v[19:20]
; %bb.103:
	s_or_b32 exec_lo, exec_lo, s0
	s_delay_alu instid0(SALU_CYCLE_1)
	s_mov_b32 s0, exec_lo
	s_wait_loadcnt_dscnt 0x0
	s_barrier_signal -1
	s_barrier_wait -1
	global_inv scope:SCOPE_SE
	v_cmpx_gt_u32_e32 8, v0
	s_cbranch_execz .LBB1307_111
; %bb.104:
	v_mad_u32_u24 v9, v0, 3, v33
	s_mov_b32 s1, exec_lo
	ds_load_b64 v[9:10], v9
	s_wait_dscnt 0x0
	v_dual_mov_b32 v13, v9 :: v_dual_and_b32 v12, 7, v32
	v_mov_b32_dpp v15, v9 row_shr:1 row_mask:0xf bank_mask:0xf
	v_mov_b32_dpp v14, v10 row_shr:1 row_mask:0xf bank_mask:0xf
	s_delay_alu instid0(VALU_DEP_3)
	v_cmpx_ne_u32_e32 0, v12
; %bb.105:
	s_delay_alu instid0(VALU_DEP_3) | instskip(SKIP_2) | instid1(VALU_DEP_2)
	v_add_co_u32 v13, vcc_lo, v9, v15
	s_wait_alu 0xfffd
	v_add_co_ci_u32_e64 v10, null, 0, v10, vcc_lo
	v_add_co_u32 v9, vcc_lo, 0, v13
	s_wait_alu 0xfffd
	s_delay_alu instid0(VALU_DEP_2)
	v_add_co_ci_u32_e64 v10, null, v14, v10, vcc_lo
; %bb.106:
	s_or_b32 exec_lo, exec_lo, s1
	v_mov_b32_dpp v15, v13 row_shr:2 row_mask:0xf bank_mask:0xf
	s_delay_alu instid0(VALU_DEP_2)
	v_mov_b32_dpp v14, v10 row_shr:2 row_mask:0xf bank_mask:0xf
	s_mov_b32 s1, exec_lo
	v_cmpx_lt_u32_e32 1, v12
; %bb.107:
	s_delay_alu instid0(VALU_DEP_3) | instskip(SKIP_2) | instid1(VALU_DEP_2)
	v_add_co_u32 v13, vcc_lo, v9, v15
	s_wait_alu 0xfffd
	v_add_co_ci_u32_e64 v10, null, 0, v10, vcc_lo
	v_add_co_u32 v9, vcc_lo, 0, v13
	s_wait_alu 0xfffd
	s_delay_alu instid0(VALU_DEP_2)
	v_add_co_ci_u32_e64 v10, null, v14, v10, vcc_lo
; %bb.108:
	s_or_b32 exec_lo, exec_lo, s1
	v_mul_u32_u24_e32 v14, 3, v0
	v_mov_b32_dpp v15, v13 row_shr:4 row_mask:0xf bank_mask:0xf
	s_delay_alu instid0(VALU_DEP_3)
	v_mov_b32_dpp v13, v10 row_shr:4 row_mask:0xf bank_mask:0xf
	s_mov_b32 s1, exec_lo
	v_cmpx_lt_u32_e32 3, v12
; %bb.109:
	s_delay_alu instid0(VALU_DEP_3) | instskip(SKIP_2) | instid1(VALU_DEP_2)
	v_add_co_u32 v9, vcc_lo, v9, v15
	s_wait_alu 0xfffd
	v_add_co_ci_u32_e64 v10, null, 0, v10, vcc_lo
	v_add_co_u32 v9, vcc_lo, v9, 0
	s_wait_alu 0xfffd
	s_delay_alu instid0(VALU_DEP_2)
	v_add_co_ci_u32_e64 v10, null, v10, v13, vcc_lo
; %bb.110:
	s_or_b32 exec_lo, exec_lo, s1
	v_add_nc_u32_e32 v12, v33, v14
	ds_store_b64 v12, v[9:10]
.LBB1307_111:
	s_or_b32 exec_lo, exec_lo, s0
	v_mov_b32_e32 v13, 0
	v_mov_b32_e32 v14, 0
	s_mov_b32 s0, exec_lo
	s_wait_loadcnt_dscnt 0x0
	s_barrier_signal -1
	s_barrier_wait -1
	global_inv scope:SCOPE_SE
	v_cmpx_lt_u32_e32 31, v0
; %bb.112:
	v_lshl_add_u32 v9, v11, 3, -8
	ds_load_b64 v[13:14], v9
; %bb.113:
	s_or_b32 exec_lo, exec_lo, s0
	v_sub_co_u32 v9, vcc_lo, v32, 1
	v_mov_b32_e32 v12, 0
	s_delay_alu instid0(VALU_DEP_2) | instskip(NEXT) | instid1(VALU_DEP_1)
	v_cmp_gt_i32_e64 s0, 0, v9
	v_cndmask_b32_e64 v9, v9, v32, s0
	s_wait_dscnt 0x0
	v_add_co_u32 v10, s0, v13, v19
	s_wait_alu 0xf1ff
	v_add_co_ci_u32_e64 v11, null, v14, v20, s0
	v_lshlrev_b32_e32 v9, 2, v9
	v_cmp_eq_u32_e64 s0, 0, v0
	ds_bpermute_b32 v15, v9, v10
	ds_bpermute_b32 v16, v9, v11
	ds_load_b64 v[9:10], v12 offset:56
	s_and_saveexec_b32 s1, s0
	s_cbranch_execz .LBB1307_115
; %bb.114:
	s_wait_kmcnt 0x0
	s_add_nc_u64 s[2:3], s[10:11], 0x200
	s_wait_alu 0xfffe
	v_dual_mov_b32 v11, 2 :: v_dual_mov_b32 v20, s3
	v_mov_b32_e32 v19, s2
	s_wait_dscnt 0x0
	;;#ASMSTART
	global_store_b128 v[19:20], v[9:12] off scope:SCOPE_DEV	
s_wait_storecnt 0x0
	;;#ASMEND
.LBB1307_115:
	s_wait_alu 0xfffe
	s_or_b32 exec_lo, exec_lo, s1
	s_wait_dscnt 0x1
	s_wait_alu 0xfffd
	v_dual_cndmask_b32 v11, v15, v13 :: v_dual_cndmask_b32 v12, v16, v14
	s_wait_loadcnt_dscnt 0x0
	s_barrier_signal -1
	s_barrier_wait -1
	s_delay_alu instid0(VALU_DEP_1)
	v_cndmask_b32_e64 v25, v11, 0, s0
	v_cndmask_b32_e64 v26, v12, 0, s0
	v_mov_b32_e32 v11, 0
	v_mov_b32_e32 v12, 0
	global_inv scope:SCOPE_SE
	v_add_co_u32 v23, vcc_lo, v25, v31
	s_wait_alu 0xfffd
	v_add_co_ci_u32_e64 v24, null, 0, v26, vcc_lo
	s_delay_alu instid0(VALU_DEP_2) | instskip(SKIP_1) | instid1(VALU_DEP_2)
	v_add_co_u32 v21, vcc_lo, v23, v30
	s_wait_alu 0xfffd
	v_add_co_ci_u32_e64 v22, null, 0, v24, vcc_lo
	s_delay_alu instid0(VALU_DEP_2) | instskip(SKIP_1) | instid1(VALU_DEP_2)
	;; [unrolled: 4-line block ×3, first 2 shown]
	v_add_co_u32 v15, vcc_lo, v13, v27
	s_wait_alu 0xfffd
	v_add_co_ci_u32_e64 v16, null, 0, v14, vcc_lo
.LBB1307_116:
	s_wait_dscnt 0x0
	v_cmp_gt_u64_e32 vcc_lo, 0x101, v[9:10]
	v_cmp_eq_u32_e64 s0, 1, v31
	s_mov_b32 s1, -1
	s_cbranch_vccnz .LBB1307_120
; %bb.117:
	s_wait_alu 0xfffe
	s_and_b32 vcc_lo, exec_lo, s1
	s_wait_alu 0xfffe
	s_cbranch_vccnz .LBB1307_131
.LBB1307_118:
	v_cmp_eq_u32_e32 vcc_lo, 0, v0
	s_and_b32 s0, vcc_lo, s16
	s_wait_alu 0xfffe
	s_and_saveexec_b32 s1, s0
	s_cbranch_execnz .LBB1307_144
.LBB1307_119:
	s_endpgm
.LBB1307_120:
	v_add_co_u32 v19, vcc_lo, v11, v9
	s_wait_alu 0xfffd
	v_add_co_ci_u32_e64 v20, null, v12, v10, vcc_lo
	s_lshl_b64 s[2:3], s[6:7], 3
	s_wait_kmcnt 0x0
	s_wait_alu 0xfffe
	s_add_nc_u64 s[2:3], s[4:5], s[2:3]
	v_cmp_lt_u64_e32 vcc_lo, v[25:26], v[19:20]
	s_or_b32 s1, s17, vcc_lo
	s_wait_alu 0xfffe
	s_and_b32 s1, s1, s0
	s_wait_alu 0xfffe
	s_and_saveexec_b32 s0, s1
	s_cbranch_execz .LBB1307_122
; %bb.121:
	v_lshlrev_b64_e32 v[32:33], 3, v[25:26]
	s_delay_alu instid0(VALU_DEP_1) | instskip(SKIP_1) | instid1(VALU_DEP_2)
	v_add_co_u32 v32, vcc_lo, s2, v32
	s_wait_alu 0xfffd
	v_add_co_ci_u32_e64 v33, null, s3, v33, vcc_lo
	global_store_b64 v[32:33], v[5:6], off
.LBB1307_122:
	s_wait_alu 0xfffe
	s_or_b32 exec_lo, exec_lo, s0
	v_cmp_lt_u64_e32 vcc_lo, v[23:24], v[19:20]
	v_cmp_eq_u32_e64 s0, 1, v30
	s_or_b32 s1, s17, vcc_lo
	s_wait_alu 0xfffe
	s_and_b32 s1, s1, s0
	s_wait_alu 0xfffe
	s_and_saveexec_b32 s0, s1
	s_cbranch_execz .LBB1307_124
; %bb.123:
	v_lshlrev_b64_e32 v[32:33], 3, v[23:24]
	s_delay_alu instid0(VALU_DEP_1) | instskip(SKIP_1) | instid1(VALU_DEP_2)
	v_add_co_u32 v32, vcc_lo, s2, v32
	s_wait_alu 0xfffd
	v_add_co_ci_u32_e64 v33, null, s3, v33, vcc_lo
	global_store_b64 v[32:33], v[7:8], off
.LBB1307_124:
	s_wait_alu 0xfffe
	s_or_b32 exec_lo, exec_lo, s0
	v_cmp_lt_u64_e32 vcc_lo, v[21:22], v[19:20]
	v_cmp_eq_u32_e64 s0, 1, v29
	;; [unrolled: 18-line block ×4, first 2 shown]
	s_or_b32 s1, s17, vcc_lo
	s_wait_alu 0xfffe
	s_and_b32 s1, s1, s0
	s_wait_alu 0xfffe
	s_and_saveexec_b32 s0, s1
	s_cbranch_execz .LBB1307_130
; %bb.129:
	v_lshlrev_b64_e32 v[19:20], 3, v[15:16]
	s_delay_alu instid0(VALU_DEP_1) | instskip(SKIP_1) | instid1(VALU_DEP_2)
	v_add_co_u32 v19, vcc_lo, s2, v19
	s_wait_alu 0xfffd
	v_add_co_ci_u32_e64 v20, null, s3, v20, vcc_lo
	global_store_b64 v[19:20], v[17:18], off
.LBB1307_130:
	s_wait_alu 0xfffe
	s_or_b32 exec_lo, exec_lo, s0
	s_branch .LBB1307_118
.LBB1307_131:
	s_mov_b32 s0, exec_lo
	v_cmpx_eq_u32_e32 1, v31
; %bb.132:
	v_sub_nc_u32_e32 v14, v25, v11
	s_delay_alu instid0(VALU_DEP_1)
	v_lshlrev_b32_e32 v14, 3, v14
	ds_store_b64 v14, v[5:6]
; %bb.133:
	s_wait_alu 0xfffe
	s_or_b32 exec_lo, exec_lo, s0
	s_delay_alu instid0(SALU_CYCLE_1)
	s_mov_b32 s0, exec_lo
	v_cmpx_eq_u32_e32 1, v30
; %bb.134:
	v_sub_nc_u32_e32 v5, v23, v11
	s_delay_alu instid0(VALU_DEP_1)
	v_lshlrev_b32_e32 v5, 3, v5
	ds_store_b64 v5, v[7:8]
; %bb.135:
	s_wait_alu 0xfffe
	s_or_b32 exec_lo, exec_lo, s0
	s_delay_alu instid0(SALU_CYCLE_1)
	;; [unrolled: 11-line block ×4, first 2 shown]
	s_mov_b32 s0, exec_lo
	v_cmpx_eq_u32_e32 1, v28
; %bb.140:
	v_sub_nc_u32_e32 v1, v15, v11
	s_delay_alu instid0(VALU_DEP_1)
	v_lshlrev_b32_e32 v1, 3, v1
	ds_store_b64 v1, v[17:18]
; %bb.141:
	s_wait_alu 0xfffe
	s_or_b32 exec_lo, exec_lo, s0
	v_lshlrev_b64_e32 v[1:2], 3, v[11:12]
	v_mov_b32_e32 v3, 0
	s_lshl_b64 s[0:1], s[6:7], 3
	s_wait_storecnt 0x0
	s_wait_loadcnt_dscnt 0x0
	s_barrier_signal -1
	s_barrier_wait -1
	s_wait_kmcnt 0x0
	v_add_co_u32 v4, vcc_lo, s4, v1
	v_mov_b32_e32 v1, v3
	s_wait_alu 0xfffd
	v_add_co_ci_u32_e64 v2, null, s5, v2, vcc_lo
	s_wait_alu 0xfffe
	v_add_co_u32 v6, vcc_lo, v4, s0
	v_mov_b32_e32 v5, v1
	s_wait_alu 0xfffd
	v_add_co_ci_u32_e64 v7, null, s1, v2, vcc_lo
	v_or_b32_e32 v2, 0x100, v0
	v_mov_b32_e32 v4, v0
	s_mov_b32 s1, 0
	global_inv scope:SCOPE_SE
.LBB1307_142:                           ; =>This Inner Loop Header: Depth=1
	v_lshlrev_b32_e32 v1, 3, v4
	v_lshlrev_b64_e32 v[15:16], 3, v[4:5]
	v_dual_mov_b32 v5, v3 :: v_dual_mov_b32 v4, v2
	v_cmp_le_u64_e32 vcc_lo, v[9:10], v[2:3]
	ds_load_b64 v[13:14], v1
	v_add_nc_u32_e32 v2, 0x100, v2
	v_add_co_u32 v15, s0, v6, v15
	s_wait_alu 0xf1ff
	v_add_co_ci_u32_e64 v16, null, v7, v16, s0
	s_wait_alu 0xfffe
	s_or_b32 s1, vcc_lo, s1
	s_wait_dscnt 0x0
	global_store_b64 v[15:16], v[13:14], off
	s_wait_alu 0xfffe
	s_and_not1_b32 exec_lo, exec_lo, s1
	s_cbranch_execnz .LBB1307_142
; %bb.143:
	s_or_b32 exec_lo, exec_lo, s1
	v_cmp_eq_u32_e32 vcc_lo, 0, v0
	s_and_b32 s0, vcc_lo, s16
	s_wait_alu 0xfffe
	s_and_saveexec_b32 s1, s0
	s_cbranch_execz .LBB1307_119
.LBB1307_144:
	v_add_co_u32 v0, vcc_lo, v11, v9
	s_wait_alu 0xfffd
	v_add_co_ci_u32_e64 v1, null, v12, v10, vcc_lo
	v_mov_b32_e32 v2, 0
	s_delay_alu instid0(VALU_DEP_3) | instskip(SKIP_1) | instid1(VALU_DEP_3)
	v_add_co_u32 v0, vcc_lo, v0, s6
	s_wait_alu 0xfffd
	v_add_co_ci_u32_e64 v1, null, s7, v1, vcc_lo
	global_store_b64 v2, v[0:1], s[8:9]
	s_endpgm
	.section	.rodata,"a",@progbits
	.p2align	6, 0x0
	.amdhsa_kernel _ZN7rocprim17ROCPRIM_400000_NS6detail17trampoline_kernelINS0_14default_configENS1_25partition_config_selectorILNS1_17partition_subalgoE5EdNS0_10empty_typeEbEEZZNS1_14partition_implILS5_5ELb0ES3_mN6thrust23THRUST_200600_302600_NS6detail15normal_iteratorINSA_10device_ptrIdEEEEPS6_NSA_18transform_iteratorINSB_9not_fun_tI7is_trueIdEEESF_NSA_11use_defaultESM_EENS0_5tupleIJSF_S6_EEENSO_IJSG_SG_EEES6_PlJS6_EEE10hipError_tPvRmT3_T4_T5_T6_T7_T9_mT8_P12ihipStream_tbDpT10_ENKUlT_T0_E_clISt17integral_constantIbLb0EES1B_EEDaS16_S17_EUlS16_E_NS1_11comp_targetILNS1_3genE10ELNS1_11target_archE1200ELNS1_3gpuE4ELNS1_3repE0EEENS1_30default_config_static_selectorELNS0_4arch9wavefront6targetE0EEEvT1_
		.amdhsa_group_segment_fixed_size 10256
		.amdhsa_private_segment_fixed_size 0
		.amdhsa_kernarg_size 120
		.amdhsa_user_sgpr_count 2
		.amdhsa_user_sgpr_dispatch_ptr 0
		.amdhsa_user_sgpr_queue_ptr 0
		.amdhsa_user_sgpr_kernarg_segment_ptr 1
		.amdhsa_user_sgpr_dispatch_id 0
		.amdhsa_user_sgpr_private_segment_size 0
		.amdhsa_wavefront_size32 1
		.amdhsa_uses_dynamic_stack 0
		.amdhsa_enable_private_segment 0
		.amdhsa_system_sgpr_workgroup_id_x 1
		.amdhsa_system_sgpr_workgroup_id_y 0
		.amdhsa_system_sgpr_workgroup_id_z 0
		.amdhsa_system_sgpr_workgroup_info 0
		.amdhsa_system_vgpr_workitem_id 0
		.amdhsa_next_free_vgpr 48
		.amdhsa_next_free_sgpr 20
		.amdhsa_reserve_vcc 1
		.amdhsa_float_round_mode_32 0
		.amdhsa_float_round_mode_16_64 0
		.amdhsa_float_denorm_mode_32 3
		.amdhsa_float_denorm_mode_16_64 3
		.amdhsa_fp16_overflow 0
		.amdhsa_workgroup_processor_mode 1
		.amdhsa_memory_ordered 1
		.amdhsa_forward_progress 1
		.amdhsa_inst_pref_size 57
		.amdhsa_round_robin_scheduling 0
		.amdhsa_exception_fp_ieee_invalid_op 0
		.amdhsa_exception_fp_denorm_src 0
		.amdhsa_exception_fp_ieee_div_zero 0
		.amdhsa_exception_fp_ieee_overflow 0
		.amdhsa_exception_fp_ieee_underflow 0
		.amdhsa_exception_fp_ieee_inexact 0
		.amdhsa_exception_int_div_zero 0
	.end_amdhsa_kernel
	.section	.text._ZN7rocprim17ROCPRIM_400000_NS6detail17trampoline_kernelINS0_14default_configENS1_25partition_config_selectorILNS1_17partition_subalgoE5EdNS0_10empty_typeEbEEZZNS1_14partition_implILS5_5ELb0ES3_mN6thrust23THRUST_200600_302600_NS6detail15normal_iteratorINSA_10device_ptrIdEEEEPS6_NSA_18transform_iteratorINSB_9not_fun_tI7is_trueIdEEESF_NSA_11use_defaultESM_EENS0_5tupleIJSF_S6_EEENSO_IJSG_SG_EEES6_PlJS6_EEE10hipError_tPvRmT3_T4_T5_T6_T7_T9_mT8_P12ihipStream_tbDpT10_ENKUlT_T0_E_clISt17integral_constantIbLb0EES1B_EEDaS16_S17_EUlS16_E_NS1_11comp_targetILNS1_3genE10ELNS1_11target_archE1200ELNS1_3gpuE4ELNS1_3repE0EEENS1_30default_config_static_selectorELNS0_4arch9wavefront6targetE0EEEvT1_,"axG",@progbits,_ZN7rocprim17ROCPRIM_400000_NS6detail17trampoline_kernelINS0_14default_configENS1_25partition_config_selectorILNS1_17partition_subalgoE5EdNS0_10empty_typeEbEEZZNS1_14partition_implILS5_5ELb0ES3_mN6thrust23THRUST_200600_302600_NS6detail15normal_iteratorINSA_10device_ptrIdEEEEPS6_NSA_18transform_iteratorINSB_9not_fun_tI7is_trueIdEEESF_NSA_11use_defaultESM_EENS0_5tupleIJSF_S6_EEENSO_IJSG_SG_EEES6_PlJS6_EEE10hipError_tPvRmT3_T4_T5_T6_T7_T9_mT8_P12ihipStream_tbDpT10_ENKUlT_T0_E_clISt17integral_constantIbLb0EES1B_EEDaS16_S17_EUlS16_E_NS1_11comp_targetILNS1_3genE10ELNS1_11target_archE1200ELNS1_3gpuE4ELNS1_3repE0EEENS1_30default_config_static_selectorELNS0_4arch9wavefront6targetE0EEEvT1_,comdat
.Lfunc_end1307:
	.size	_ZN7rocprim17ROCPRIM_400000_NS6detail17trampoline_kernelINS0_14default_configENS1_25partition_config_selectorILNS1_17partition_subalgoE5EdNS0_10empty_typeEbEEZZNS1_14partition_implILS5_5ELb0ES3_mN6thrust23THRUST_200600_302600_NS6detail15normal_iteratorINSA_10device_ptrIdEEEEPS6_NSA_18transform_iteratorINSB_9not_fun_tI7is_trueIdEEESF_NSA_11use_defaultESM_EENS0_5tupleIJSF_S6_EEENSO_IJSG_SG_EEES6_PlJS6_EEE10hipError_tPvRmT3_T4_T5_T6_T7_T9_mT8_P12ihipStream_tbDpT10_ENKUlT_T0_E_clISt17integral_constantIbLb0EES1B_EEDaS16_S17_EUlS16_E_NS1_11comp_targetILNS1_3genE10ELNS1_11target_archE1200ELNS1_3gpuE4ELNS1_3repE0EEENS1_30default_config_static_selectorELNS0_4arch9wavefront6targetE0EEEvT1_, .Lfunc_end1307-_ZN7rocprim17ROCPRIM_400000_NS6detail17trampoline_kernelINS0_14default_configENS1_25partition_config_selectorILNS1_17partition_subalgoE5EdNS0_10empty_typeEbEEZZNS1_14partition_implILS5_5ELb0ES3_mN6thrust23THRUST_200600_302600_NS6detail15normal_iteratorINSA_10device_ptrIdEEEEPS6_NSA_18transform_iteratorINSB_9not_fun_tI7is_trueIdEEESF_NSA_11use_defaultESM_EENS0_5tupleIJSF_S6_EEENSO_IJSG_SG_EEES6_PlJS6_EEE10hipError_tPvRmT3_T4_T5_T6_T7_T9_mT8_P12ihipStream_tbDpT10_ENKUlT_T0_E_clISt17integral_constantIbLb0EES1B_EEDaS16_S17_EUlS16_E_NS1_11comp_targetILNS1_3genE10ELNS1_11target_archE1200ELNS1_3gpuE4ELNS1_3repE0EEENS1_30default_config_static_selectorELNS0_4arch9wavefront6targetE0EEEvT1_
                                        ; -- End function
	.set _ZN7rocprim17ROCPRIM_400000_NS6detail17trampoline_kernelINS0_14default_configENS1_25partition_config_selectorILNS1_17partition_subalgoE5EdNS0_10empty_typeEbEEZZNS1_14partition_implILS5_5ELb0ES3_mN6thrust23THRUST_200600_302600_NS6detail15normal_iteratorINSA_10device_ptrIdEEEEPS6_NSA_18transform_iteratorINSB_9not_fun_tI7is_trueIdEEESF_NSA_11use_defaultESM_EENS0_5tupleIJSF_S6_EEENSO_IJSG_SG_EEES6_PlJS6_EEE10hipError_tPvRmT3_T4_T5_T6_T7_T9_mT8_P12ihipStream_tbDpT10_ENKUlT_T0_E_clISt17integral_constantIbLb0EES1B_EEDaS16_S17_EUlS16_E_NS1_11comp_targetILNS1_3genE10ELNS1_11target_archE1200ELNS1_3gpuE4ELNS1_3repE0EEENS1_30default_config_static_selectorELNS0_4arch9wavefront6targetE0EEEvT1_.num_vgpr, 48
	.set _ZN7rocprim17ROCPRIM_400000_NS6detail17trampoline_kernelINS0_14default_configENS1_25partition_config_selectorILNS1_17partition_subalgoE5EdNS0_10empty_typeEbEEZZNS1_14partition_implILS5_5ELb0ES3_mN6thrust23THRUST_200600_302600_NS6detail15normal_iteratorINSA_10device_ptrIdEEEEPS6_NSA_18transform_iteratorINSB_9not_fun_tI7is_trueIdEEESF_NSA_11use_defaultESM_EENS0_5tupleIJSF_S6_EEENSO_IJSG_SG_EEES6_PlJS6_EEE10hipError_tPvRmT3_T4_T5_T6_T7_T9_mT8_P12ihipStream_tbDpT10_ENKUlT_T0_E_clISt17integral_constantIbLb0EES1B_EEDaS16_S17_EUlS16_E_NS1_11comp_targetILNS1_3genE10ELNS1_11target_archE1200ELNS1_3gpuE4ELNS1_3repE0EEENS1_30default_config_static_selectorELNS0_4arch9wavefront6targetE0EEEvT1_.num_agpr, 0
	.set _ZN7rocprim17ROCPRIM_400000_NS6detail17trampoline_kernelINS0_14default_configENS1_25partition_config_selectorILNS1_17partition_subalgoE5EdNS0_10empty_typeEbEEZZNS1_14partition_implILS5_5ELb0ES3_mN6thrust23THRUST_200600_302600_NS6detail15normal_iteratorINSA_10device_ptrIdEEEEPS6_NSA_18transform_iteratorINSB_9not_fun_tI7is_trueIdEEESF_NSA_11use_defaultESM_EENS0_5tupleIJSF_S6_EEENSO_IJSG_SG_EEES6_PlJS6_EEE10hipError_tPvRmT3_T4_T5_T6_T7_T9_mT8_P12ihipStream_tbDpT10_ENKUlT_T0_E_clISt17integral_constantIbLb0EES1B_EEDaS16_S17_EUlS16_E_NS1_11comp_targetILNS1_3genE10ELNS1_11target_archE1200ELNS1_3gpuE4ELNS1_3repE0EEENS1_30default_config_static_selectorELNS0_4arch9wavefront6targetE0EEEvT1_.numbered_sgpr, 20
	.set _ZN7rocprim17ROCPRIM_400000_NS6detail17trampoline_kernelINS0_14default_configENS1_25partition_config_selectorILNS1_17partition_subalgoE5EdNS0_10empty_typeEbEEZZNS1_14partition_implILS5_5ELb0ES3_mN6thrust23THRUST_200600_302600_NS6detail15normal_iteratorINSA_10device_ptrIdEEEEPS6_NSA_18transform_iteratorINSB_9not_fun_tI7is_trueIdEEESF_NSA_11use_defaultESM_EENS0_5tupleIJSF_S6_EEENSO_IJSG_SG_EEES6_PlJS6_EEE10hipError_tPvRmT3_T4_T5_T6_T7_T9_mT8_P12ihipStream_tbDpT10_ENKUlT_T0_E_clISt17integral_constantIbLb0EES1B_EEDaS16_S17_EUlS16_E_NS1_11comp_targetILNS1_3genE10ELNS1_11target_archE1200ELNS1_3gpuE4ELNS1_3repE0EEENS1_30default_config_static_selectorELNS0_4arch9wavefront6targetE0EEEvT1_.num_named_barrier, 0
	.set _ZN7rocprim17ROCPRIM_400000_NS6detail17trampoline_kernelINS0_14default_configENS1_25partition_config_selectorILNS1_17partition_subalgoE5EdNS0_10empty_typeEbEEZZNS1_14partition_implILS5_5ELb0ES3_mN6thrust23THRUST_200600_302600_NS6detail15normal_iteratorINSA_10device_ptrIdEEEEPS6_NSA_18transform_iteratorINSB_9not_fun_tI7is_trueIdEEESF_NSA_11use_defaultESM_EENS0_5tupleIJSF_S6_EEENSO_IJSG_SG_EEES6_PlJS6_EEE10hipError_tPvRmT3_T4_T5_T6_T7_T9_mT8_P12ihipStream_tbDpT10_ENKUlT_T0_E_clISt17integral_constantIbLb0EES1B_EEDaS16_S17_EUlS16_E_NS1_11comp_targetILNS1_3genE10ELNS1_11target_archE1200ELNS1_3gpuE4ELNS1_3repE0EEENS1_30default_config_static_selectorELNS0_4arch9wavefront6targetE0EEEvT1_.private_seg_size, 0
	.set _ZN7rocprim17ROCPRIM_400000_NS6detail17trampoline_kernelINS0_14default_configENS1_25partition_config_selectorILNS1_17partition_subalgoE5EdNS0_10empty_typeEbEEZZNS1_14partition_implILS5_5ELb0ES3_mN6thrust23THRUST_200600_302600_NS6detail15normal_iteratorINSA_10device_ptrIdEEEEPS6_NSA_18transform_iteratorINSB_9not_fun_tI7is_trueIdEEESF_NSA_11use_defaultESM_EENS0_5tupleIJSF_S6_EEENSO_IJSG_SG_EEES6_PlJS6_EEE10hipError_tPvRmT3_T4_T5_T6_T7_T9_mT8_P12ihipStream_tbDpT10_ENKUlT_T0_E_clISt17integral_constantIbLb0EES1B_EEDaS16_S17_EUlS16_E_NS1_11comp_targetILNS1_3genE10ELNS1_11target_archE1200ELNS1_3gpuE4ELNS1_3repE0EEENS1_30default_config_static_selectorELNS0_4arch9wavefront6targetE0EEEvT1_.uses_vcc, 1
	.set _ZN7rocprim17ROCPRIM_400000_NS6detail17trampoline_kernelINS0_14default_configENS1_25partition_config_selectorILNS1_17partition_subalgoE5EdNS0_10empty_typeEbEEZZNS1_14partition_implILS5_5ELb0ES3_mN6thrust23THRUST_200600_302600_NS6detail15normal_iteratorINSA_10device_ptrIdEEEEPS6_NSA_18transform_iteratorINSB_9not_fun_tI7is_trueIdEEESF_NSA_11use_defaultESM_EENS0_5tupleIJSF_S6_EEENSO_IJSG_SG_EEES6_PlJS6_EEE10hipError_tPvRmT3_T4_T5_T6_T7_T9_mT8_P12ihipStream_tbDpT10_ENKUlT_T0_E_clISt17integral_constantIbLb0EES1B_EEDaS16_S17_EUlS16_E_NS1_11comp_targetILNS1_3genE10ELNS1_11target_archE1200ELNS1_3gpuE4ELNS1_3repE0EEENS1_30default_config_static_selectorELNS0_4arch9wavefront6targetE0EEEvT1_.uses_flat_scratch, 1
	.set _ZN7rocprim17ROCPRIM_400000_NS6detail17trampoline_kernelINS0_14default_configENS1_25partition_config_selectorILNS1_17partition_subalgoE5EdNS0_10empty_typeEbEEZZNS1_14partition_implILS5_5ELb0ES3_mN6thrust23THRUST_200600_302600_NS6detail15normal_iteratorINSA_10device_ptrIdEEEEPS6_NSA_18transform_iteratorINSB_9not_fun_tI7is_trueIdEEESF_NSA_11use_defaultESM_EENS0_5tupleIJSF_S6_EEENSO_IJSG_SG_EEES6_PlJS6_EEE10hipError_tPvRmT3_T4_T5_T6_T7_T9_mT8_P12ihipStream_tbDpT10_ENKUlT_T0_E_clISt17integral_constantIbLb0EES1B_EEDaS16_S17_EUlS16_E_NS1_11comp_targetILNS1_3genE10ELNS1_11target_archE1200ELNS1_3gpuE4ELNS1_3repE0EEENS1_30default_config_static_selectorELNS0_4arch9wavefront6targetE0EEEvT1_.has_dyn_sized_stack, 0
	.set _ZN7rocprim17ROCPRIM_400000_NS6detail17trampoline_kernelINS0_14default_configENS1_25partition_config_selectorILNS1_17partition_subalgoE5EdNS0_10empty_typeEbEEZZNS1_14partition_implILS5_5ELb0ES3_mN6thrust23THRUST_200600_302600_NS6detail15normal_iteratorINSA_10device_ptrIdEEEEPS6_NSA_18transform_iteratorINSB_9not_fun_tI7is_trueIdEEESF_NSA_11use_defaultESM_EENS0_5tupleIJSF_S6_EEENSO_IJSG_SG_EEES6_PlJS6_EEE10hipError_tPvRmT3_T4_T5_T6_T7_T9_mT8_P12ihipStream_tbDpT10_ENKUlT_T0_E_clISt17integral_constantIbLb0EES1B_EEDaS16_S17_EUlS16_E_NS1_11comp_targetILNS1_3genE10ELNS1_11target_archE1200ELNS1_3gpuE4ELNS1_3repE0EEENS1_30default_config_static_selectorELNS0_4arch9wavefront6targetE0EEEvT1_.has_recursion, 0
	.set _ZN7rocprim17ROCPRIM_400000_NS6detail17trampoline_kernelINS0_14default_configENS1_25partition_config_selectorILNS1_17partition_subalgoE5EdNS0_10empty_typeEbEEZZNS1_14partition_implILS5_5ELb0ES3_mN6thrust23THRUST_200600_302600_NS6detail15normal_iteratorINSA_10device_ptrIdEEEEPS6_NSA_18transform_iteratorINSB_9not_fun_tI7is_trueIdEEESF_NSA_11use_defaultESM_EENS0_5tupleIJSF_S6_EEENSO_IJSG_SG_EEES6_PlJS6_EEE10hipError_tPvRmT3_T4_T5_T6_T7_T9_mT8_P12ihipStream_tbDpT10_ENKUlT_T0_E_clISt17integral_constantIbLb0EES1B_EEDaS16_S17_EUlS16_E_NS1_11comp_targetILNS1_3genE10ELNS1_11target_archE1200ELNS1_3gpuE4ELNS1_3repE0EEENS1_30default_config_static_selectorELNS0_4arch9wavefront6targetE0EEEvT1_.has_indirect_call, 0
	.section	.AMDGPU.csdata,"",@progbits
; Kernel info:
; codeLenInByte = 7180
; TotalNumSgprs: 22
; NumVgprs: 48
; ScratchSize: 0
; MemoryBound: 0
; FloatMode: 240
; IeeeMode: 1
; LDSByteSize: 10256 bytes/workgroup (compile time only)
; SGPRBlocks: 0
; VGPRBlocks: 5
; NumSGPRsForWavesPerEU: 22
; NumVGPRsForWavesPerEU: 48
; Occupancy: 16
; WaveLimiterHint : 1
; COMPUTE_PGM_RSRC2:SCRATCH_EN: 0
; COMPUTE_PGM_RSRC2:USER_SGPR: 2
; COMPUTE_PGM_RSRC2:TRAP_HANDLER: 0
; COMPUTE_PGM_RSRC2:TGID_X_EN: 1
; COMPUTE_PGM_RSRC2:TGID_Y_EN: 0
; COMPUTE_PGM_RSRC2:TGID_Z_EN: 0
; COMPUTE_PGM_RSRC2:TIDIG_COMP_CNT: 0
	.section	.text._ZN7rocprim17ROCPRIM_400000_NS6detail17trampoline_kernelINS0_14default_configENS1_25partition_config_selectorILNS1_17partition_subalgoE5EdNS0_10empty_typeEbEEZZNS1_14partition_implILS5_5ELb0ES3_mN6thrust23THRUST_200600_302600_NS6detail15normal_iteratorINSA_10device_ptrIdEEEEPS6_NSA_18transform_iteratorINSB_9not_fun_tI7is_trueIdEEESF_NSA_11use_defaultESM_EENS0_5tupleIJSF_S6_EEENSO_IJSG_SG_EEES6_PlJS6_EEE10hipError_tPvRmT3_T4_T5_T6_T7_T9_mT8_P12ihipStream_tbDpT10_ENKUlT_T0_E_clISt17integral_constantIbLb0EES1B_EEDaS16_S17_EUlS16_E_NS1_11comp_targetILNS1_3genE9ELNS1_11target_archE1100ELNS1_3gpuE3ELNS1_3repE0EEENS1_30default_config_static_selectorELNS0_4arch9wavefront6targetE0EEEvT1_,"axG",@progbits,_ZN7rocprim17ROCPRIM_400000_NS6detail17trampoline_kernelINS0_14default_configENS1_25partition_config_selectorILNS1_17partition_subalgoE5EdNS0_10empty_typeEbEEZZNS1_14partition_implILS5_5ELb0ES3_mN6thrust23THRUST_200600_302600_NS6detail15normal_iteratorINSA_10device_ptrIdEEEEPS6_NSA_18transform_iteratorINSB_9not_fun_tI7is_trueIdEEESF_NSA_11use_defaultESM_EENS0_5tupleIJSF_S6_EEENSO_IJSG_SG_EEES6_PlJS6_EEE10hipError_tPvRmT3_T4_T5_T6_T7_T9_mT8_P12ihipStream_tbDpT10_ENKUlT_T0_E_clISt17integral_constantIbLb0EES1B_EEDaS16_S17_EUlS16_E_NS1_11comp_targetILNS1_3genE9ELNS1_11target_archE1100ELNS1_3gpuE3ELNS1_3repE0EEENS1_30default_config_static_selectorELNS0_4arch9wavefront6targetE0EEEvT1_,comdat
	.protected	_ZN7rocprim17ROCPRIM_400000_NS6detail17trampoline_kernelINS0_14default_configENS1_25partition_config_selectorILNS1_17partition_subalgoE5EdNS0_10empty_typeEbEEZZNS1_14partition_implILS5_5ELb0ES3_mN6thrust23THRUST_200600_302600_NS6detail15normal_iteratorINSA_10device_ptrIdEEEEPS6_NSA_18transform_iteratorINSB_9not_fun_tI7is_trueIdEEESF_NSA_11use_defaultESM_EENS0_5tupleIJSF_S6_EEENSO_IJSG_SG_EEES6_PlJS6_EEE10hipError_tPvRmT3_T4_T5_T6_T7_T9_mT8_P12ihipStream_tbDpT10_ENKUlT_T0_E_clISt17integral_constantIbLb0EES1B_EEDaS16_S17_EUlS16_E_NS1_11comp_targetILNS1_3genE9ELNS1_11target_archE1100ELNS1_3gpuE3ELNS1_3repE0EEENS1_30default_config_static_selectorELNS0_4arch9wavefront6targetE0EEEvT1_ ; -- Begin function _ZN7rocprim17ROCPRIM_400000_NS6detail17trampoline_kernelINS0_14default_configENS1_25partition_config_selectorILNS1_17partition_subalgoE5EdNS0_10empty_typeEbEEZZNS1_14partition_implILS5_5ELb0ES3_mN6thrust23THRUST_200600_302600_NS6detail15normal_iteratorINSA_10device_ptrIdEEEEPS6_NSA_18transform_iteratorINSB_9not_fun_tI7is_trueIdEEESF_NSA_11use_defaultESM_EENS0_5tupleIJSF_S6_EEENSO_IJSG_SG_EEES6_PlJS6_EEE10hipError_tPvRmT3_T4_T5_T6_T7_T9_mT8_P12ihipStream_tbDpT10_ENKUlT_T0_E_clISt17integral_constantIbLb0EES1B_EEDaS16_S17_EUlS16_E_NS1_11comp_targetILNS1_3genE9ELNS1_11target_archE1100ELNS1_3gpuE3ELNS1_3repE0EEENS1_30default_config_static_selectorELNS0_4arch9wavefront6targetE0EEEvT1_
	.globl	_ZN7rocprim17ROCPRIM_400000_NS6detail17trampoline_kernelINS0_14default_configENS1_25partition_config_selectorILNS1_17partition_subalgoE5EdNS0_10empty_typeEbEEZZNS1_14partition_implILS5_5ELb0ES3_mN6thrust23THRUST_200600_302600_NS6detail15normal_iteratorINSA_10device_ptrIdEEEEPS6_NSA_18transform_iteratorINSB_9not_fun_tI7is_trueIdEEESF_NSA_11use_defaultESM_EENS0_5tupleIJSF_S6_EEENSO_IJSG_SG_EEES6_PlJS6_EEE10hipError_tPvRmT3_T4_T5_T6_T7_T9_mT8_P12ihipStream_tbDpT10_ENKUlT_T0_E_clISt17integral_constantIbLb0EES1B_EEDaS16_S17_EUlS16_E_NS1_11comp_targetILNS1_3genE9ELNS1_11target_archE1100ELNS1_3gpuE3ELNS1_3repE0EEENS1_30default_config_static_selectorELNS0_4arch9wavefront6targetE0EEEvT1_
	.p2align	8
	.type	_ZN7rocprim17ROCPRIM_400000_NS6detail17trampoline_kernelINS0_14default_configENS1_25partition_config_selectorILNS1_17partition_subalgoE5EdNS0_10empty_typeEbEEZZNS1_14partition_implILS5_5ELb0ES3_mN6thrust23THRUST_200600_302600_NS6detail15normal_iteratorINSA_10device_ptrIdEEEEPS6_NSA_18transform_iteratorINSB_9not_fun_tI7is_trueIdEEESF_NSA_11use_defaultESM_EENS0_5tupleIJSF_S6_EEENSO_IJSG_SG_EEES6_PlJS6_EEE10hipError_tPvRmT3_T4_T5_T6_T7_T9_mT8_P12ihipStream_tbDpT10_ENKUlT_T0_E_clISt17integral_constantIbLb0EES1B_EEDaS16_S17_EUlS16_E_NS1_11comp_targetILNS1_3genE9ELNS1_11target_archE1100ELNS1_3gpuE3ELNS1_3repE0EEENS1_30default_config_static_selectorELNS0_4arch9wavefront6targetE0EEEvT1_,@function
_ZN7rocprim17ROCPRIM_400000_NS6detail17trampoline_kernelINS0_14default_configENS1_25partition_config_selectorILNS1_17partition_subalgoE5EdNS0_10empty_typeEbEEZZNS1_14partition_implILS5_5ELb0ES3_mN6thrust23THRUST_200600_302600_NS6detail15normal_iteratorINSA_10device_ptrIdEEEEPS6_NSA_18transform_iteratorINSB_9not_fun_tI7is_trueIdEEESF_NSA_11use_defaultESM_EENS0_5tupleIJSF_S6_EEENSO_IJSG_SG_EEES6_PlJS6_EEE10hipError_tPvRmT3_T4_T5_T6_T7_T9_mT8_P12ihipStream_tbDpT10_ENKUlT_T0_E_clISt17integral_constantIbLb0EES1B_EEDaS16_S17_EUlS16_E_NS1_11comp_targetILNS1_3genE9ELNS1_11target_archE1100ELNS1_3gpuE3ELNS1_3repE0EEENS1_30default_config_static_selectorELNS0_4arch9wavefront6targetE0EEEvT1_: ; @_ZN7rocprim17ROCPRIM_400000_NS6detail17trampoline_kernelINS0_14default_configENS1_25partition_config_selectorILNS1_17partition_subalgoE5EdNS0_10empty_typeEbEEZZNS1_14partition_implILS5_5ELb0ES3_mN6thrust23THRUST_200600_302600_NS6detail15normal_iteratorINSA_10device_ptrIdEEEEPS6_NSA_18transform_iteratorINSB_9not_fun_tI7is_trueIdEEESF_NSA_11use_defaultESM_EENS0_5tupleIJSF_S6_EEENSO_IJSG_SG_EEES6_PlJS6_EEE10hipError_tPvRmT3_T4_T5_T6_T7_T9_mT8_P12ihipStream_tbDpT10_ENKUlT_T0_E_clISt17integral_constantIbLb0EES1B_EEDaS16_S17_EUlS16_E_NS1_11comp_targetILNS1_3genE9ELNS1_11target_archE1100ELNS1_3gpuE3ELNS1_3repE0EEENS1_30default_config_static_selectorELNS0_4arch9wavefront6targetE0EEEvT1_
; %bb.0:
	.section	.rodata,"a",@progbits
	.p2align	6, 0x0
	.amdhsa_kernel _ZN7rocprim17ROCPRIM_400000_NS6detail17trampoline_kernelINS0_14default_configENS1_25partition_config_selectorILNS1_17partition_subalgoE5EdNS0_10empty_typeEbEEZZNS1_14partition_implILS5_5ELb0ES3_mN6thrust23THRUST_200600_302600_NS6detail15normal_iteratorINSA_10device_ptrIdEEEEPS6_NSA_18transform_iteratorINSB_9not_fun_tI7is_trueIdEEESF_NSA_11use_defaultESM_EENS0_5tupleIJSF_S6_EEENSO_IJSG_SG_EEES6_PlJS6_EEE10hipError_tPvRmT3_T4_T5_T6_T7_T9_mT8_P12ihipStream_tbDpT10_ENKUlT_T0_E_clISt17integral_constantIbLb0EES1B_EEDaS16_S17_EUlS16_E_NS1_11comp_targetILNS1_3genE9ELNS1_11target_archE1100ELNS1_3gpuE3ELNS1_3repE0EEENS1_30default_config_static_selectorELNS0_4arch9wavefront6targetE0EEEvT1_
		.amdhsa_group_segment_fixed_size 0
		.amdhsa_private_segment_fixed_size 0
		.amdhsa_kernarg_size 120
		.amdhsa_user_sgpr_count 2
		.amdhsa_user_sgpr_dispatch_ptr 0
		.amdhsa_user_sgpr_queue_ptr 0
		.amdhsa_user_sgpr_kernarg_segment_ptr 1
		.amdhsa_user_sgpr_dispatch_id 0
		.amdhsa_user_sgpr_private_segment_size 0
		.amdhsa_wavefront_size32 1
		.amdhsa_uses_dynamic_stack 0
		.amdhsa_enable_private_segment 0
		.amdhsa_system_sgpr_workgroup_id_x 1
		.amdhsa_system_sgpr_workgroup_id_y 0
		.amdhsa_system_sgpr_workgroup_id_z 0
		.amdhsa_system_sgpr_workgroup_info 0
		.amdhsa_system_vgpr_workitem_id 0
		.amdhsa_next_free_vgpr 1
		.amdhsa_next_free_sgpr 1
		.amdhsa_reserve_vcc 0
		.amdhsa_float_round_mode_32 0
		.amdhsa_float_round_mode_16_64 0
		.amdhsa_float_denorm_mode_32 3
		.amdhsa_float_denorm_mode_16_64 3
		.amdhsa_fp16_overflow 0
		.amdhsa_workgroup_processor_mode 1
		.amdhsa_memory_ordered 1
		.amdhsa_forward_progress 1
		.amdhsa_inst_pref_size 0
		.amdhsa_round_robin_scheduling 0
		.amdhsa_exception_fp_ieee_invalid_op 0
		.amdhsa_exception_fp_denorm_src 0
		.amdhsa_exception_fp_ieee_div_zero 0
		.amdhsa_exception_fp_ieee_overflow 0
		.amdhsa_exception_fp_ieee_underflow 0
		.amdhsa_exception_fp_ieee_inexact 0
		.amdhsa_exception_int_div_zero 0
	.end_amdhsa_kernel
	.section	.text._ZN7rocprim17ROCPRIM_400000_NS6detail17trampoline_kernelINS0_14default_configENS1_25partition_config_selectorILNS1_17partition_subalgoE5EdNS0_10empty_typeEbEEZZNS1_14partition_implILS5_5ELb0ES3_mN6thrust23THRUST_200600_302600_NS6detail15normal_iteratorINSA_10device_ptrIdEEEEPS6_NSA_18transform_iteratorINSB_9not_fun_tI7is_trueIdEEESF_NSA_11use_defaultESM_EENS0_5tupleIJSF_S6_EEENSO_IJSG_SG_EEES6_PlJS6_EEE10hipError_tPvRmT3_T4_T5_T6_T7_T9_mT8_P12ihipStream_tbDpT10_ENKUlT_T0_E_clISt17integral_constantIbLb0EES1B_EEDaS16_S17_EUlS16_E_NS1_11comp_targetILNS1_3genE9ELNS1_11target_archE1100ELNS1_3gpuE3ELNS1_3repE0EEENS1_30default_config_static_selectorELNS0_4arch9wavefront6targetE0EEEvT1_,"axG",@progbits,_ZN7rocprim17ROCPRIM_400000_NS6detail17trampoline_kernelINS0_14default_configENS1_25partition_config_selectorILNS1_17partition_subalgoE5EdNS0_10empty_typeEbEEZZNS1_14partition_implILS5_5ELb0ES3_mN6thrust23THRUST_200600_302600_NS6detail15normal_iteratorINSA_10device_ptrIdEEEEPS6_NSA_18transform_iteratorINSB_9not_fun_tI7is_trueIdEEESF_NSA_11use_defaultESM_EENS0_5tupleIJSF_S6_EEENSO_IJSG_SG_EEES6_PlJS6_EEE10hipError_tPvRmT3_T4_T5_T6_T7_T9_mT8_P12ihipStream_tbDpT10_ENKUlT_T0_E_clISt17integral_constantIbLb0EES1B_EEDaS16_S17_EUlS16_E_NS1_11comp_targetILNS1_3genE9ELNS1_11target_archE1100ELNS1_3gpuE3ELNS1_3repE0EEENS1_30default_config_static_selectorELNS0_4arch9wavefront6targetE0EEEvT1_,comdat
.Lfunc_end1308:
	.size	_ZN7rocprim17ROCPRIM_400000_NS6detail17trampoline_kernelINS0_14default_configENS1_25partition_config_selectorILNS1_17partition_subalgoE5EdNS0_10empty_typeEbEEZZNS1_14partition_implILS5_5ELb0ES3_mN6thrust23THRUST_200600_302600_NS6detail15normal_iteratorINSA_10device_ptrIdEEEEPS6_NSA_18transform_iteratorINSB_9not_fun_tI7is_trueIdEEESF_NSA_11use_defaultESM_EENS0_5tupleIJSF_S6_EEENSO_IJSG_SG_EEES6_PlJS6_EEE10hipError_tPvRmT3_T4_T5_T6_T7_T9_mT8_P12ihipStream_tbDpT10_ENKUlT_T0_E_clISt17integral_constantIbLb0EES1B_EEDaS16_S17_EUlS16_E_NS1_11comp_targetILNS1_3genE9ELNS1_11target_archE1100ELNS1_3gpuE3ELNS1_3repE0EEENS1_30default_config_static_selectorELNS0_4arch9wavefront6targetE0EEEvT1_, .Lfunc_end1308-_ZN7rocprim17ROCPRIM_400000_NS6detail17trampoline_kernelINS0_14default_configENS1_25partition_config_selectorILNS1_17partition_subalgoE5EdNS0_10empty_typeEbEEZZNS1_14partition_implILS5_5ELb0ES3_mN6thrust23THRUST_200600_302600_NS6detail15normal_iteratorINSA_10device_ptrIdEEEEPS6_NSA_18transform_iteratorINSB_9not_fun_tI7is_trueIdEEESF_NSA_11use_defaultESM_EENS0_5tupleIJSF_S6_EEENSO_IJSG_SG_EEES6_PlJS6_EEE10hipError_tPvRmT3_T4_T5_T6_T7_T9_mT8_P12ihipStream_tbDpT10_ENKUlT_T0_E_clISt17integral_constantIbLb0EES1B_EEDaS16_S17_EUlS16_E_NS1_11comp_targetILNS1_3genE9ELNS1_11target_archE1100ELNS1_3gpuE3ELNS1_3repE0EEENS1_30default_config_static_selectorELNS0_4arch9wavefront6targetE0EEEvT1_
                                        ; -- End function
	.set _ZN7rocprim17ROCPRIM_400000_NS6detail17trampoline_kernelINS0_14default_configENS1_25partition_config_selectorILNS1_17partition_subalgoE5EdNS0_10empty_typeEbEEZZNS1_14partition_implILS5_5ELb0ES3_mN6thrust23THRUST_200600_302600_NS6detail15normal_iteratorINSA_10device_ptrIdEEEEPS6_NSA_18transform_iteratorINSB_9not_fun_tI7is_trueIdEEESF_NSA_11use_defaultESM_EENS0_5tupleIJSF_S6_EEENSO_IJSG_SG_EEES6_PlJS6_EEE10hipError_tPvRmT3_T4_T5_T6_T7_T9_mT8_P12ihipStream_tbDpT10_ENKUlT_T0_E_clISt17integral_constantIbLb0EES1B_EEDaS16_S17_EUlS16_E_NS1_11comp_targetILNS1_3genE9ELNS1_11target_archE1100ELNS1_3gpuE3ELNS1_3repE0EEENS1_30default_config_static_selectorELNS0_4arch9wavefront6targetE0EEEvT1_.num_vgpr, 0
	.set _ZN7rocprim17ROCPRIM_400000_NS6detail17trampoline_kernelINS0_14default_configENS1_25partition_config_selectorILNS1_17partition_subalgoE5EdNS0_10empty_typeEbEEZZNS1_14partition_implILS5_5ELb0ES3_mN6thrust23THRUST_200600_302600_NS6detail15normal_iteratorINSA_10device_ptrIdEEEEPS6_NSA_18transform_iteratorINSB_9not_fun_tI7is_trueIdEEESF_NSA_11use_defaultESM_EENS0_5tupleIJSF_S6_EEENSO_IJSG_SG_EEES6_PlJS6_EEE10hipError_tPvRmT3_T4_T5_T6_T7_T9_mT8_P12ihipStream_tbDpT10_ENKUlT_T0_E_clISt17integral_constantIbLb0EES1B_EEDaS16_S17_EUlS16_E_NS1_11comp_targetILNS1_3genE9ELNS1_11target_archE1100ELNS1_3gpuE3ELNS1_3repE0EEENS1_30default_config_static_selectorELNS0_4arch9wavefront6targetE0EEEvT1_.num_agpr, 0
	.set _ZN7rocprim17ROCPRIM_400000_NS6detail17trampoline_kernelINS0_14default_configENS1_25partition_config_selectorILNS1_17partition_subalgoE5EdNS0_10empty_typeEbEEZZNS1_14partition_implILS5_5ELb0ES3_mN6thrust23THRUST_200600_302600_NS6detail15normal_iteratorINSA_10device_ptrIdEEEEPS6_NSA_18transform_iteratorINSB_9not_fun_tI7is_trueIdEEESF_NSA_11use_defaultESM_EENS0_5tupleIJSF_S6_EEENSO_IJSG_SG_EEES6_PlJS6_EEE10hipError_tPvRmT3_T4_T5_T6_T7_T9_mT8_P12ihipStream_tbDpT10_ENKUlT_T0_E_clISt17integral_constantIbLb0EES1B_EEDaS16_S17_EUlS16_E_NS1_11comp_targetILNS1_3genE9ELNS1_11target_archE1100ELNS1_3gpuE3ELNS1_3repE0EEENS1_30default_config_static_selectorELNS0_4arch9wavefront6targetE0EEEvT1_.numbered_sgpr, 0
	.set _ZN7rocprim17ROCPRIM_400000_NS6detail17trampoline_kernelINS0_14default_configENS1_25partition_config_selectorILNS1_17partition_subalgoE5EdNS0_10empty_typeEbEEZZNS1_14partition_implILS5_5ELb0ES3_mN6thrust23THRUST_200600_302600_NS6detail15normal_iteratorINSA_10device_ptrIdEEEEPS6_NSA_18transform_iteratorINSB_9not_fun_tI7is_trueIdEEESF_NSA_11use_defaultESM_EENS0_5tupleIJSF_S6_EEENSO_IJSG_SG_EEES6_PlJS6_EEE10hipError_tPvRmT3_T4_T5_T6_T7_T9_mT8_P12ihipStream_tbDpT10_ENKUlT_T0_E_clISt17integral_constantIbLb0EES1B_EEDaS16_S17_EUlS16_E_NS1_11comp_targetILNS1_3genE9ELNS1_11target_archE1100ELNS1_3gpuE3ELNS1_3repE0EEENS1_30default_config_static_selectorELNS0_4arch9wavefront6targetE0EEEvT1_.num_named_barrier, 0
	.set _ZN7rocprim17ROCPRIM_400000_NS6detail17trampoline_kernelINS0_14default_configENS1_25partition_config_selectorILNS1_17partition_subalgoE5EdNS0_10empty_typeEbEEZZNS1_14partition_implILS5_5ELb0ES3_mN6thrust23THRUST_200600_302600_NS6detail15normal_iteratorINSA_10device_ptrIdEEEEPS6_NSA_18transform_iteratorINSB_9not_fun_tI7is_trueIdEEESF_NSA_11use_defaultESM_EENS0_5tupleIJSF_S6_EEENSO_IJSG_SG_EEES6_PlJS6_EEE10hipError_tPvRmT3_T4_T5_T6_T7_T9_mT8_P12ihipStream_tbDpT10_ENKUlT_T0_E_clISt17integral_constantIbLb0EES1B_EEDaS16_S17_EUlS16_E_NS1_11comp_targetILNS1_3genE9ELNS1_11target_archE1100ELNS1_3gpuE3ELNS1_3repE0EEENS1_30default_config_static_selectorELNS0_4arch9wavefront6targetE0EEEvT1_.private_seg_size, 0
	.set _ZN7rocprim17ROCPRIM_400000_NS6detail17trampoline_kernelINS0_14default_configENS1_25partition_config_selectorILNS1_17partition_subalgoE5EdNS0_10empty_typeEbEEZZNS1_14partition_implILS5_5ELb0ES3_mN6thrust23THRUST_200600_302600_NS6detail15normal_iteratorINSA_10device_ptrIdEEEEPS6_NSA_18transform_iteratorINSB_9not_fun_tI7is_trueIdEEESF_NSA_11use_defaultESM_EENS0_5tupleIJSF_S6_EEENSO_IJSG_SG_EEES6_PlJS6_EEE10hipError_tPvRmT3_T4_T5_T6_T7_T9_mT8_P12ihipStream_tbDpT10_ENKUlT_T0_E_clISt17integral_constantIbLb0EES1B_EEDaS16_S17_EUlS16_E_NS1_11comp_targetILNS1_3genE9ELNS1_11target_archE1100ELNS1_3gpuE3ELNS1_3repE0EEENS1_30default_config_static_selectorELNS0_4arch9wavefront6targetE0EEEvT1_.uses_vcc, 0
	.set _ZN7rocprim17ROCPRIM_400000_NS6detail17trampoline_kernelINS0_14default_configENS1_25partition_config_selectorILNS1_17partition_subalgoE5EdNS0_10empty_typeEbEEZZNS1_14partition_implILS5_5ELb0ES3_mN6thrust23THRUST_200600_302600_NS6detail15normal_iteratorINSA_10device_ptrIdEEEEPS6_NSA_18transform_iteratorINSB_9not_fun_tI7is_trueIdEEESF_NSA_11use_defaultESM_EENS0_5tupleIJSF_S6_EEENSO_IJSG_SG_EEES6_PlJS6_EEE10hipError_tPvRmT3_T4_T5_T6_T7_T9_mT8_P12ihipStream_tbDpT10_ENKUlT_T0_E_clISt17integral_constantIbLb0EES1B_EEDaS16_S17_EUlS16_E_NS1_11comp_targetILNS1_3genE9ELNS1_11target_archE1100ELNS1_3gpuE3ELNS1_3repE0EEENS1_30default_config_static_selectorELNS0_4arch9wavefront6targetE0EEEvT1_.uses_flat_scratch, 0
	.set _ZN7rocprim17ROCPRIM_400000_NS6detail17trampoline_kernelINS0_14default_configENS1_25partition_config_selectorILNS1_17partition_subalgoE5EdNS0_10empty_typeEbEEZZNS1_14partition_implILS5_5ELb0ES3_mN6thrust23THRUST_200600_302600_NS6detail15normal_iteratorINSA_10device_ptrIdEEEEPS6_NSA_18transform_iteratorINSB_9not_fun_tI7is_trueIdEEESF_NSA_11use_defaultESM_EENS0_5tupleIJSF_S6_EEENSO_IJSG_SG_EEES6_PlJS6_EEE10hipError_tPvRmT3_T4_T5_T6_T7_T9_mT8_P12ihipStream_tbDpT10_ENKUlT_T0_E_clISt17integral_constantIbLb0EES1B_EEDaS16_S17_EUlS16_E_NS1_11comp_targetILNS1_3genE9ELNS1_11target_archE1100ELNS1_3gpuE3ELNS1_3repE0EEENS1_30default_config_static_selectorELNS0_4arch9wavefront6targetE0EEEvT1_.has_dyn_sized_stack, 0
	.set _ZN7rocprim17ROCPRIM_400000_NS6detail17trampoline_kernelINS0_14default_configENS1_25partition_config_selectorILNS1_17partition_subalgoE5EdNS0_10empty_typeEbEEZZNS1_14partition_implILS5_5ELb0ES3_mN6thrust23THRUST_200600_302600_NS6detail15normal_iteratorINSA_10device_ptrIdEEEEPS6_NSA_18transform_iteratorINSB_9not_fun_tI7is_trueIdEEESF_NSA_11use_defaultESM_EENS0_5tupleIJSF_S6_EEENSO_IJSG_SG_EEES6_PlJS6_EEE10hipError_tPvRmT3_T4_T5_T6_T7_T9_mT8_P12ihipStream_tbDpT10_ENKUlT_T0_E_clISt17integral_constantIbLb0EES1B_EEDaS16_S17_EUlS16_E_NS1_11comp_targetILNS1_3genE9ELNS1_11target_archE1100ELNS1_3gpuE3ELNS1_3repE0EEENS1_30default_config_static_selectorELNS0_4arch9wavefront6targetE0EEEvT1_.has_recursion, 0
	.set _ZN7rocprim17ROCPRIM_400000_NS6detail17trampoline_kernelINS0_14default_configENS1_25partition_config_selectorILNS1_17partition_subalgoE5EdNS0_10empty_typeEbEEZZNS1_14partition_implILS5_5ELb0ES3_mN6thrust23THRUST_200600_302600_NS6detail15normal_iteratorINSA_10device_ptrIdEEEEPS6_NSA_18transform_iteratorINSB_9not_fun_tI7is_trueIdEEESF_NSA_11use_defaultESM_EENS0_5tupleIJSF_S6_EEENSO_IJSG_SG_EEES6_PlJS6_EEE10hipError_tPvRmT3_T4_T5_T6_T7_T9_mT8_P12ihipStream_tbDpT10_ENKUlT_T0_E_clISt17integral_constantIbLb0EES1B_EEDaS16_S17_EUlS16_E_NS1_11comp_targetILNS1_3genE9ELNS1_11target_archE1100ELNS1_3gpuE3ELNS1_3repE0EEENS1_30default_config_static_selectorELNS0_4arch9wavefront6targetE0EEEvT1_.has_indirect_call, 0
	.section	.AMDGPU.csdata,"",@progbits
; Kernel info:
; codeLenInByte = 0
; TotalNumSgprs: 0
; NumVgprs: 0
; ScratchSize: 0
; MemoryBound: 0
; FloatMode: 240
; IeeeMode: 1
; LDSByteSize: 0 bytes/workgroup (compile time only)
; SGPRBlocks: 0
; VGPRBlocks: 0
; NumSGPRsForWavesPerEU: 1
; NumVGPRsForWavesPerEU: 1
; Occupancy: 16
; WaveLimiterHint : 0
; COMPUTE_PGM_RSRC2:SCRATCH_EN: 0
; COMPUTE_PGM_RSRC2:USER_SGPR: 2
; COMPUTE_PGM_RSRC2:TRAP_HANDLER: 0
; COMPUTE_PGM_RSRC2:TGID_X_EN: 1
; COMPUTE_PGM_RSRC2:TGID_Y_EN: 0
; COMPUTE_PGM_RSRC2:TGID_Z_EN: 0
; COMPUTE_PGM_RSRC2:TIDIG_COMP_CNT: 0
	.section	.text._ZN7rocprim17ROCPRIM_400000_NS6detail17trampoline_kernelINS0_14default_configENS1_25partition_config_selectorILNS1_17partition_subalgoE5EdNS0_10empty_typeEbEEZZNS1_14partition_implILS5_5ELb0ES3_mN6thrust23THRUST_200600_302600_NS6detail15normal_iteratorINSA_10device_ptrIdEEEEPS6_NSA_18transform_iteratorINSB_9not_fun_tI7is_trueIdEEESF_NSA_11use_defaultESM_EENS0_5tupleIJSF_S6_EEENSO_IJSG_SG_EEES6_PlJS6_EEE10hipError_tPvRmT3_T4_T5_T6_T7_T9_mT8_P12ihipStream_tbDpT10_ENKUlT_T0_E_clISt17integral_constantIbLb0EES1B_EEDaS16_S17_EUlS16_E_NS1_11comp_targetILNS1_3genE8ELNS1_11target_archE1030ELNS1_3gpuE2ELNS1_3repE0EEENS1_30default_config_static_selectorELNS0_4arch9wavefront6targetE0EEEvT1_,"axG",@progbits,_ZN7rocprim17ROCPRIM_400000_NS6detail17trampoline_kernelINS0_14default_configENS1_25partition_config_selectorILNS1_17partition_subalgoE5EdNS0_10empty_typeEbEEZZNS1_14partition_implILS5_5ELb0ES3_mN6thrust23THRUST_200600_302600_NS6detail15normal_iteratorINSA_10device_ptrIdEEEEPS6_NSA_18transform_iteratorINSB_9not_fun_tI7is_trueIdEEESF_NSA_11use_defaultESM_EENS0_5tupleIJSF_S6_EEENSO_IJSG_SG_EEES6_PlJS6_EEE10hipError_tPvRmT3_T4_T5_T6_T7_T9_mT8_P12ihipStream_tbDpT10_ENKUlT_T0_E_clISt17integral_constantIbLb0EES1B_EEDaS16_S17_EUlS16_E_NS1_11comp_targetILNS1_3genE8ELNS1_11target_archE1030ELNS1_3gpuE2ELNS1_3repE0EEENS1_30default_config_static_selectorELNS0_4arch9wavefront6targetE0EEEvT1_,comdat
	.protected	_ZN7rocprim17ROCPRIM_400000_NS6detail17trampoline_kernelINS0_14default_configENS1_25partition_config_selectorILNS1_17partition_subalgoE5EdNS0_10empty_typeEbEEZZNS1_14partition_implILS5_5ELb0ES3_mN6thrust23THRUST_200600_302600_NS6detail15normal_iteratorINSA_10device_ptrIdEEEEPS6_NSA_18transform_iteratorINSB_9not_fun_tI7is_trueIdEEESF_NSA_11use_defaultESM_EENS0_5tupleIJSF_S6_EEENSO_IJSG_SG_EEES6_PlJS6_EEE10hipError_tPvRmT3_T4_T5_T6_T7_T9_mT8_P12ihipStream_tbDpT10_ENKUlT_T0_E_clISt17integral_constantIbLb0EES1B_EEDaS16_S17_EUlS16_E_NS1_11comp_targetILNS1_3genE8ELNS1_11target_archE1030ELNS1_3gpuE2ELNS1_3repE0EEENS1_30default_config_static_selectorELNS0_4arch9wavefront6targetE0EEEvT1_ ; -- Begin function _ZN7rocprim17ROCPRIM_400000_NS6detail17trampoline_kernelINS0_14default_configENS1_25partition_config_selectorILNS1_17partition_subalgoE5EdNS0_10empty_typeEbEEZZNS1_14partition_implILS5_5ELb0ES3_mN6thrust23THRUST_200600_302600_NS6detail15normal_iteratorINSA_10device_ptrIdEEEEPS6_NSA_18transform_iteratorINSB_9not_fun_tI7is_trueIdEEESF_NSA_11use_defaultESM_EENS0_5tupleIJSF_S6_EEENSO_IJSG_SG_EEES6_PlJS6_EEE10hipError_tPvRmT3_T4_T5_T6_T7_T9_mT8_P12ihipStream_tbDpT10_ENKUlT_T0_E_clISt17integral_constantIbLb0EES1B_EEDaS16_S17_EUlS16_E_NS1_11comp_targetILNS1_3genE8ELNS1_11target_archE1030ELNS1_3gpuE2ELNS1_3repE0EEENS1_30default_config_static_selectorELNS0_4arch9wavefront6targetE0EEEvT1_
	.globl	_ZN7rocprim17ROCPRIM_400000_NS6detail17trampoline_kernelINS0_14default_configENS1_25partition_config_selectorILNS1_17partition_subalgoE5EdNS0_10empty_typeEbEEZZNS1_14partition_implILS5_5ELb0ES3_mN6thrust23THRUST_200600_302600_NS6detail15normal_iteratorINSA_10device_ptrIdEEEEPS6_NSA_18transform_iteratorINSB_9not_fun_tI7is_trueIdEEESF_NSA_11use_defaultESM_EENS0_5tupleIJSF_S6_EEENSO_IJSG_SG_EEES6_PlJS6_EEE10hipError_tPvRmT3_T4_T5_T6_T7_T9_mT8_P12ihipStream_tbDpT10_ENKUlT_T0_E_clISt17integral_constantIbLb0EES1B_EEDaS16_S17_EUlS16_E_NS1_11comp_targetILNS1_3genE8ELNS1_11target_archE1030ELNS1_3gpuE2ELNS1_3repE0EEENS1_30default_config_static_selectorELNS0_4arch9wavefront6targetE0EEEvT1_
	.p2align	8
	.type	_ZN7rocprim17ROCPRIM_400000_NS6detail17trampoline_kernelINS0_14default_configENS1_25partition_config_selectorILNS1_17partition_subalgoE5EdNS0_10empty_typeEbEEZZNS1_14partition_implILS5_5ELb0ES3_mN6thrust23THRUST_200600_302600_NS6detail15normal_iteratorINSA_10device_ptrIdEEEEPS6_NSA_18transform_iteratorINSB_9not_fun_tI7is_trueIdEEESF_NSA_11use_defaultESM_EENS0_5tupleIJSF_S6_EEENSO_IJSG_SG_EEES6_PlJS6_EEE10hipError_tPvRmT3_T4_T5_T6_T7_T9_mT8_P12ihipStream_tbDpT10_ENKUlT_T0_E_clISt17integral_constantIbLb0EES1B_EEDaS16_S17_EUlS16_E_NS1_11comp_targetILNS1_3genE8ELNS1_11target_archE1030ELNS1_3gpuE2ELNS1_3repE0EEENS1_30default_config_static_selectorELNS0_4arch9wavefront6targetE0EEEvT1_,@function
_ZN7rocprim17ROCPRIM_400000_NS6detail17trampoline_kernelINS0_14default_configENS1_25partition_config_selectorILNS1_17partition_subalgoE5EdNS0_10empty_typeEbEEZZNS1_14partition_implILS5_5ELb0ES3_mN6thrust23THRUST_200600_302600_NS6detail15normal_iteratorINSA_10device_ptrIdEEEEPS6_NSA_18transform_iteratorINSB_9not_fun_tI7is_trueIdEEESF_NSA_11use_defaultESM_EENS0_5tupleIJSF_S6_EEENSO_IJSG_SG_EEES6_PlJS6_EEE10hipError_tPvRmT3_T4_T5_T6_T7_T9_mT8_P12ihipStream_tbDpT10_ENKUlT_T0_E_clISt17integral_constantIbLb0EES1B_EEDaS16_S17_EUlS16_E_NS1_11comp_targetILNS1_3genE8ELNS1_11target_archE1030ELNS1_3gpuE2ELNS1_3repE0EEENS1_30default_config_static_selectorELNS0_4arch9wavefront6targetE0EEEvT1_: ; @_ZN7rocprim17ROCPRIM_400000_NS6detail17trampoline_kernelINS0_14default_configENS1_25partition_config_selectorILNS1_17partition_subalgoE5EdNS0_10empty_typeEbEEZZNS1_14partition_implILS5_5ELb0ES3_mN6thrust23THRUST_200600_302600_NS6detail15normal_iteratorINSA_10device_ptrIdEEEEPS6_NSA_18transform_iteratorINSB_9not_fun_tI7is_trueIdEEESF_NSA_11use_defaultESM_EENS0_5tupleIJSF_S6_EEENSO_IJSG_SG_EEES6_PlJS6_EEE10hipError_tPvRmT3_T4_T5_T6_T7_T9_mT8_P12ihipStream_tbDpT10_ENKUlT_T0_E_clISt17integral_constantIbLb0EES1B_EEDaS16_S17_EUlS16_E_NS1_11comp_targetILNS1_3genE8ELNS1_11target_archE1030ELNS1_3gpuE2ELNS1_3repE0EEENS1_30default_config_static_selectorELNS0_4arch9wavefront6targetE0EEEvT1_
; %bb.0:
	.section	.rodata,"a",@progbits
	.p2align	6, 0x0
	.amdhsa_kernel _ZN7rocprim17ROCPRIM_400000_NS6detail17trampoline_kernelINS0_14default_configENS1_25partition_config_selectorILNS1_17partition_subalgoE5EdNS0_10empty_typeEbEEZZNS1_14partition_implILS5_5ELb0ES3_mN6thrust23THRUST_200600_302600_NS6detail15normal_iteratorINSA_10device_ptrIdEEEEPS6_NSA_18transform_iteratorINSB_9not_fun_tI7is_trueIdEEESF_NSA_11use_defaultESM_EENS0_5tupleIJSF_S6_EEENSO_IJSG_SG_EEES6_PlJS6_EEE10hipError_tPvRmT3_T4_T5_T6_T7_T9_mT8_P12ihipStream_tbDpT10_ENKUlT_T0_E_clISt17integral_constantIbLb0EES1B_EEDaS16_S17_EUlS16_E_NS1_11comp_targetILNS1_3genE8ELNS1_11target_archE1030ELNS1_3gpuE2ELNS1_3repE0EEENS1_30default_config_static_selectorELNS0_4arch9wavefront6targetE0EEEvT1_
		.amdhsa_group_segment_fixed_size 0
		.amdhsa_private_segment_fixed_size 0
		.amdhsa_kernarg_size 120
		.amdhsa_user_sgpr_count 2
		.amdhsa_user_sgpr_dispatch_ptr 0
		.amdhsa_user_sgpr_queue_ptr 0
		.amdhsa_user_sgpr_kernarg_segment_ptr 1
		.amdhsa_user_sgpr_dispatch_id 0
		.amdhsa_user_sgpr_private_segment_size 0
		.amdhsa_wavefront_size32 1
		.amdhsa_uses_dynamic_stack 0
		.amdhsa_enable_private_segment 0
		.amdhsa_system_sgpr_workgroup_id_x 1
		.amdhsa_system_sgpr_workgroup_id_y 0
		.amdhsa_system_sgpr_workgroup_id_z 0
		.amdhsa_system_sgpr_workgroup_info 0
		.amdhsa_system_vgpr_workitem_id 0
		.amdhsa_next_free_vgpr 1
		.amdhsa_next_free_sgpr 1
		.amdhsa_reserve_vcc 0
		.amdhsa_float_round_mode_32 0
		.amdhsa_float_round_mode_16_64 0
		.amdhsa_float_denorm_mode_32 3
		.amdhsa_float_denorm_mode_16_64 3
		.amdhsa_fp16_overflow 0
		.amdhsa_workgroup_processor_mode 1
		.amdhsa_memory_ordered 1
		.amdhsa_forward_progress 1
		.amdhsa_inst_pref_size 0
		.amdhsa_round_robin_scheduling 0
		.amdhsa_exception_fp_ieee_invalid_op 0
		.amdhsa_exception_fp_denorm_src 0
		.amdhsa_exception_fp_ieee_div_zero 0
		.amdhsa_exception_fp_ieee_overflow 0
		.amdhsa_exception_fp_ieee_underflow 0
		.amdhsa_exception_fp_ieee_inexact 0
		.amdhsa_exception_int_div_zero 0
	.end_amdhsa_kernel
	.section	.text._ZN7rocprim17ROCPRIM_400000_NS6detail17trampoline_kernelINS0_14default_configENS1_25partition_config_selectorILNS1_17partition_subalgoE5EdNS0_10empty_typeEbEEZZNS1_14partition_implILS5_5ELb0ES3_mN6thrust23THRUST_200600_302600_NS6detail15normal_iteratorINSA_10device_ptrIdEEEEPS6_NSA_18transform_iteratorINSB_9not_fun_tI7is_trueIdEEESF_NSA_11use_defaultESM_EENS0_5tupleIJSF_S6_EEENSO_IJSG_SG_EEES6_PlJS6_EEE10hipError_tPvRmT3_T4_T5_T6_T7_T9_mT8_P12ihipStream_tbDpT10_ENKUlT_T0_E_clISt17integral_constantIbLb0EES1B_EEDaS16_S17_EUlS16_E_NS1_11comp_targetILNS1_3genE8ELNS1_11target_archE1030ELNS1_3gpuE2ELNS1_3repE0EEENS1_30default_config_static_selectorELNS0_4arch9wavefront6targetE0EEEvT1_,"axG",@progbits,_ZN7rocprim17ROCPRIM_400000_NS6detail17trampoline_kernelINS0_14default_configENS1_25partition_config_selectorILNS1_17partition_subalgoE5EdNS0_10empty_typeEbEEZZNS1_14partition_implILS5_5ELb0ES3_mN6thrust23THRUST_200600_302600_NS6detail15normal_iteratorINSA_10device_ptrIdEEEEPS6_NSA_18transform_iteratorINSB_9not_fun_tI7is_trueIdEEESF_NSA_11use_defaultESM_EENS0_5tupleIJSF_S6_EEENSO_IJSG_SG_EEES6_PlJS6_EEE10hipError_tPvRmT3_T4_T5_T6_T7_T9_mT8_P12ihipStream_tbDpT10_ENKUlT_T0_E_clISt17integral_constantIbLb0EES1B_EEDaS16_S17_EUlS16_E_NS1_11comp_targetILNS1_3genE8ELNS1_11target_archE1030ELNS1_3gpuE2ELNS1_3repE0EEENS1_30default_config_static_selectorELNS0_4arch9wavefront6targetE0EEEvT1_,comdat
.Lfunc_end1309:
	.size	_ZN7rocprim17ROCPRIM_400000_NS6detail17trampoline_kernelINS0_14default_configENS1_25partition_config_selectorILNS1_17partition_subalgoE5EdNS0_10empty_typeEbEEZZNS1_14partition_implILS5_5ELb0ES3_mN6thrust23THRUST_200600_302600_NS6detail15normal_iteratorINSA_10device_ptrIdEEEEPS6_NSA_18transform_iteratorINSB_9not_fun_tI7is_trueIdEEESF_NSA_11use_defaultESM_EENS0_5tupleIJSF_S6_EEENSO_IJSG_SG_EEES6_PlJS6_EEE10hipError_tPvRmT3_T4_T5_T6_T7_T9_mT8_P12ihipStream_tbDpT10_ENKUlT_T0_E_clISt17integral_constantIbLb0EES1B_EEDaS16_S17_EUlS16_E_NS1_11comp_targetILNS1_3genE8ELNS1_11target_archE1030ELNS1_3gpuE2ELNS1_3repE0EEENS1_30default_config_static_selectorELNS0_4arch9wavefront6targetE0EEEvT1_, .Lfunc_end1309-_ZN7rocprim17ROCPRIM_400000_NS6detail17trampoline_kernelINS0_14default_configENS1_25partition_config_selectorILNS1_17partition_subalgoE5EdNS0_10empty_typeEbEEZZNS1_14partition_implILS5_5ELb0ES3_mN6thrust23THRUST_200600_302600_NS6detail15normal_iteratorINSA_10device_ptrIdEEEEPS6_NSA_18transform_iteratorINSB_9not_fun_tI7is_trueIdEEESF_NSA_11use_defaultESM_EENS0_5tupleIJSF_S6_EEENSO_IJSG_SG_EEES6_PlJS6_EEE10hipError_tPvRmT3_T4_T5_T6_T7_T9_mT8_P12ihipStream_tbDpT10_ENKUlT_T0_E_clISt17integral_constantIbLb0EES1B_EEDaS16_S17_EUlS16_E_NS1_11comp_targetILNS1_3genE8ELNS1_11target_archE1030ELNS1_3gpuE2ELNS1_3repE0EEENS1_30default_config_static_selectorELNS0_4arch9wavefront6targetE0EEEvT1_
                                        ; -- End function
	.set _ZN7rocprim17ROCPRIM_400000_NS6detail17trampoline_kernelINS0_14default_configENS1_25partition_config_selectorILNS1_17partition_subalgoE5EdNS0_10empty_typeEbEEZZNS1_14partition_implILS5_5ELb0ES3_mN6thrust23THRUST_200600_302600_NS6detail15normal_iteratorINSA_10device_ptrIdEEEEPS6_NSA_18transform_iteratorINSB_9not_fun_tI7is_trueIdEEESF_NSA_11use_defaultESM_EENS0_5tupleIJSF_S6_EEENSO_IJSG_SG_EEES6_PlJS6_EEE10hipError_tPvRmT3_T4_T5_T6_T7_T9_mT8_P12ihipStream_tbDpT10_ENKUlT_T0_E_clISt17integral_constantIbLb0EES1B_EEDaS16_S17_EUlS16_E_NS1_11comp_targetILNS1_3genE8ELNS1_11target_archE1030ELNS1_3gpuE2ELNS1_3repE0EEENS1_30default_config_static_selectorELNS0_4arch9wavefront6targetE0EEEvT1_.num_vgpr, 0
	.set _ZN7rocprim17ROCPRIM_400000_NS6detail17trampoline_kernelINS0_14default_configENS1_25partition_config_selectorILNS1_17partition_subalgoE5EdNS0_10empty_typeEbEEZZNS1_14partition_implILS5_5ELb0ES3_mN6thrust23THRUST_200600_302600_NS6detail15normal_iteratorINSA_10device_ptrIdEEEEPS6_NSA_18transform_iteratorINSB_9not_fun_tI7is_trueIdEEESF_NSA_11use_defaultESM_EENS0_5tupleIJSF_S6_EEENSO_IJSG_SG_EEES6_PlJS6_EEE10hipError_tPvRmT3_T4_T5_T6_T7_T9_mT8_P12ihipStream_tbDpT10_ENKUlT_T0_E_clISt17integral_constantIbLb0EES1B_EEDaS16_S17_EUlS16_E_NS1_11comp_targetILNS1_3genE8ELNS1_11target_archE1030ELNS1_3gpuE2ELNS1_3repE0EEENS1_30default_config_static_selectorELNS0_4arch9wavefront6targetE0EEEvT1_.num_agpr, 0
	.set _ZN7rocprim17ROCPRIM_400000_NS6detail17trampoline_kernelINS0_14default_configENS1_25partition_config_selectorILNS1_17partition_subalgoE5EdNS0_10empty_typeEbEEZZNS1_14partition_implILS5_5ELb0ES3_mN6thrust23THRUST_200600_302600_NS6detail15normal_iteratorINSA_10device_ptrIdEEEEPS6_NSA_18transform_iteratorINSB_9not_fun_tI7is_trueIdEEESF_NSA_11use_defaultESM_EENS0_5tupleIJSF_S6_EEENSO_IJSG_SG_EEES6_PlJS6_EEE10hipError_tPvRmT3_T4_T5_T6_T7_T9_mT8_P12ihipStream_tbDpT10_ENKUlT_T0_E_clISt17integral_constantIbLb0EES1B_EEDaS16_S17_EUlS16_E_NS1_11comp_targetILNS1_3genE8ELNS1_11target_archE1030ELNS1_3gpuE2ELNS1_3repE0EEENS1_30default_config_static_selectorELNS0_4arch9wavefront6targetE0EEEvT1_.numbered_sgpr, 0
	.set _ZN7rocprim17ROCPRIM_400000_NS6detail17trampoline_kernelINS0_14default_configENS1_25partition_config_selectorILNS1_17partition_subalgoE5EdNS0_10empty_typeEbEEZZNS1_14partition_implILS5_5ELb0ES3_mN6thrust23THRUST_200600_302600_NS6detail15normal_iteratorINSA_10device_ptrIdEEEEPS6_NSA_18transform_iteratorINSB_9not_fun_tI7is_trueIdEEESF_NSA_11use_defaultESM_EENS0_5tupleIJSF_S6_EEENSO_IJSG_SG_EEES6_PlJS6_EEE10hipError_tPvRmT3_T4_T5_T6_T7_T9_mT8_P12ihipStream_tbDpT10_ENKUlT_T0_E_clISt17integral_constantIbLb0EES1B_EEDaS16_S17_EUlS16_E_NS1_11comp_targetILNS1_3genE8ELNS1_11target_archE1030ELNS1_3gpuE2ELNS1_3repE0EEENS1_30default_config_static_selectorELNS0_4arch9wavefront6targetE0EEEvT1_.num_named_barrier, 0
	.set _ZN7rocprim17ROCPRIM_400000_NS6detail17trampoline_kernelINS0_14default_configENS1_25partition_config_selectorILNS1_17partition_subalgoE5EdNS0_10empty_typeEbEEZZNS1_14partition_implILS5_5ELb0ES3_mN6thrust23THRUST_200600_302600_NS6detail15normal_iteratorINSA_10device_ptrIdEEEEPS6_NSA_18transform_iteratorINSB_9not_fun_tI7is_trueIdEEESF_NSA_11use_defaultESM_EENS0_5tupleIJSF_S6_EEENSO_IJSG_SG_EEES6_PlJS6_EEE10hipError_tPvRmT3_T4_T5_T6_T7_T9_mT8_P12ihipStream_tbDpT10_ENKUlT_T0_E_clISt17integral_constantIbLb0EES1B_EEDaS16_S17_EUlS16_E_NS1_11comp_targetILNS1_3genE8ELNS1_11target_archE1030ELNS1_3gpuE2ELNS1_3repE0EEENS1_30default_config_static_selectorELNS0_4arch9wavefront6targetE0EEEvT1_.private_seg_size, 0
	.set _ZN7rocprim17ROCPRIM_400000_NS6detail17trampoline_kernelINS0_14default_configENS1_25partition_config_selectorILNS1_17partition_subalgoE5EdNS0_10empty_typeEbEEZZNS1_14partition_implILS5_5ELb0ES3_mN6thrust23THRUST_200600_302600_NS6detail15normal_iteratorINSA_10device_ptrIdEEEEPS6_NSA_18transform_iteratorINSB_9not_fun_tI7is_trueIdEEESF_NSA_11use_defaultESM_EENS0_5tupleIJSF_S6_EEENSO_IJSG_SG_EEES6_PlJS6_EEE10hipError_tPvRmT3_T4_T5_T6_T7_T9_mT8_P12ihipStream_tbDpT10_ENKUlT_T0_E_clISt17integral_constantIbLb0EES1B_EEDaS16_S17_EUlS16_E_NS1_11comp_targetILNS1_3genE8ELNS1_11target_archE1030ELNS1_3gpuE2ELNS1_3repE0EEENS1_30default_config_static_selectorELNS0_4arch9wavefront6targetE0EEEvT1_.uses_vcc, 0
	.set _ZN7rocprim17ROCPRIM_400000_NS6detail17trampoline_kernelINS0_14default_configENS1_25partition_config_selectorILNS1_17partition_subalgoE5EdNS0_10empty_typeEbEEZZNS1_14partition_implILS5_5ELb0ES3_mN6thrust23THRUST_200600_302600_NS6detail15normal_iteratorINSA_10device_ptrIdEEEEPS6_NSA_18transform_iteratorINSB_9not_fun_tI7is_trueIdEEESF_NSA_11use_defaultESM_EENS0_5tupleIJSF_S6_EEENSO_IJSG_SG_EEES6_PlJS6_EEE10hipError_tPvRmT3_T4_T5_T6_T7_T9_mT8_P12ihipStream_tbDpT10_ENKUlT_T0_E_clISt17integral_constantIbLb0EES1B_EEDaS16_S17_EUlS16_E_NS1_11comp_targetILNS1_3genE8ELNS1_11target_archE1030ELNS1_3gpuE2ELNS1_3repE0EEENS1_30default_config_static_selectorELNS0_4arch9wavefront6targetE0EEEvT1_.uses_flat_scratch, 0
	.set _ZN7rocprim17ROCPRIM_400000_NS6detail17trampoline_kernelINS0_14default_configENS1_25partition_config_selectorILNS1_17partition_subalgoE5EdNS0_10empty_typeEbEEZZNS1_14partition_implILS5_5ELb0ES3_mN6thrust23THRUST_200600_302600_NS6detail15normal_iteratorINSA_10device_ptrIdEEEEPS6_NSA_18transform_iteratorINSB_9not_fun_tI7is_trueIdEEESF_NSA_11use_defaultESM_EENS0_5tupleIJSF_S6_EEENSO_IJSG_SG_EEES6_PlJS6_EEE10hipError_tPvRmT3_T4_T5_T6_T7_T9_mT8_P12ihipStream_tbDpT10_ENKUlT_T0_E_clISt17integral_constantIbLb0EES1B_EEDaS16_S17_EUlS16_E_NS1_11comp_targetILNS1_3genE8ELNS1_11target_archE1030ELNS1_3gpuE2ELNS1_3repE0EEENS1_30default_config_static_selectorELNS0_4arch9wavefront6targetE0EEEvT1_.has_dyn_sized_stack, 0
	.set _ZN7rocprim17ROCPRIM_400000_NS6detail17trampoline_kernelINS0_14default_configENS1_25partition_config_selectorILNS1_17partition_subalgoE5EdNS0_10empty_typeEbEEZZNS1_14partition_implILS5_5ELb0ES3_mN6thrust23THRUST_200600_302600_NS6detail15normal_iteratorINSA_10device_ptrIdEEEEPS6_NSA_18transform_iteratorINSB_9not_fun_tI7is_trueIdEEESF_NSA_11use_defaultESM_EENS0_5tupleIJSF_S6_EEENSO_IJSG_SG_EEES6_PlJS6_EEE10hipError_tPvRmT3_T4_T5_T6_T7_T9_mT8_P12ihipStream_tbDpT10_ENKUlT_T0_E_clISt17integral_constantIbLb0EES1B_EEDaS16_S17_EUlS16_E_NS1_11comp_targetILNS1_3genE8ELNS1_11target_archE1030ELNS1_3gpuE2ELNS1_3repE0EEENS1_30default_config_static_selectorELNS0_4arch9wavefront6targetE0EEEvT1_.has_recursion, 0
	.set _ZN7rocprim17ROCPRIM_400000_NS6detail17trampoline_kernelINS0_14default_configENS1_25partition_config_selectorILNS1_17partition_subalgoE5EdNS0_10empty_typeEbEEZZNS1_14partition_implILS5_5ELb0ES3_mN6thrust23THRUST_200600_302600_NS6detail15normal_iteratorINSA_10device_ptrIdEEEEPS6_NSA_18transform_iteratorINSB_9not_fun_tI7is_trueIdEEESF_NSA_11use_defaultESM_EENS0_5tupleIJSF_S6_EEENSO_IJSG_SG_EEES6_PlJS6_EEE10hipError_tPvRmT3_T4_T5_T6_T7_T9_mT8_P12ihipStream_tbDpT10_ENKUlT_T0_E_clISt17integral_constantIbLb0EES1B_EEDaS16_S17_EUlS16_E_NS1_11comp_targetILNS1_3genE8ELNS1_11target_archE1030ELNS1_3gpuE2ELNS1_3repE0EEENS1_30default_config_static_selectorELNS0_4arch9wavefront6targetE0EEEvT1_.has_indirect_call, 0
	.section	.AMDGPU.csdata,"",@progbits
; Kernel info:
; codeLenInByte = 0
; TotalNumSgprs: 0
; NumVgprs: 0
; ScratchSize: 0
; MemoryBound: 0
; FloatMode: 240
; IeeeMode: 1
; LDSByteSize: 0 bytes/workgroup (compile time only)
; SGPRBlocks: 0
; VGPRBlocks: 0
; NumSGPRsForWavesPerEU: 1
; NumVGPRsForWavesPerEU: 1
; Occupancy: 16
; WaveLimiterHint : 0
; COMPUTE_PGM_RSRC2:SCRATCH_EN: 0
; COMPUTE_PGM_RSRC2:USER_SGPR: 2
; COMPUTE_PGM_RSRC2:TRAP_HANDLER: 0
; COMPUTE_PGM_RSRC2:TGID_X_EN: 1
; COMPUTE_PGM_RSRC2:TGID_Y_EN: 0
; COMPUTE_PGM_RSRC2:TGID_Z_EN: 0
; COMPUTE_PGM_RSRC2:TIDIG_COMP_CNT: 0
	.section	.text._ZN7rocprim17ROCPRIM_400000_NS6detail17trampoline_kernelINS0_14default_configENS1_25partition_config_selectorILNS1_17partition_subalgoE5EdNS0_10empty_typeEbEEZZNS1_14partition_implILS5_5ELb0ES3_mN6thrust23THRUST_200600_302600_NS6detail15normal_iteratorINSA_10device_ptrIdEEEEPS6_NSA_18transform_iteratorINSB_9not_fun_tI7is_trueIdEEESF_NSA_11use_defaultESM_EENS0_5tupleIJSF_S6_EEENSO_IJSG_SG_EEES6_PlJS6_EEE10hipError_tPvRmT3_T4_T5_T6_T7_T9_mT8_P12ihipStream_tbDpT10_ENKUlT_T0_E_clISt17integral_constantIbLb1EES1B_EEDaS16_S17_EUlS16_E_NS1_11comp_targetILNS1_3genE0ELNS1_11target_archE4294967295ELNS1_3gpuE0ELNS1_3repE0EEENS1_30default_config_static_selectorELNS0_4arch9wavefront6targetE0EEEvT1_,"axG",@progbits,_ZN7rocprim17ROCPRIM_400000_NS6detail17trampoline_kernelINS0_14default_configENS1_25partition_config_selectorILNS1_17partition_subalgoE5EdNS0_10empty_typeEbEEZZNS1_14partition_implILS5_5ELb0ES3_mN6thrust23THRUST_200600_302600_NS6detail15normal_iteratorINSA_10device_ptrIdEEEEPS6_NSA_18transform_iteratorINSB_9not_fun_tI7is_trueIdEEESF_NSA_11use_defaultESM_EENS0_5tupleIJSF_S6_EEENSO_IJSG_SG_EEES6_PlJS6_EEE10hipError_tPvRmT3_T4_T5_T6_T7_T9_mT8_P12ihipStream_tbDpT10_ENKUlT_T0_E_clISt17integral_constantIbLb1EES1B_EEDaS16_S17_EUlS16_E_NS1_11comp_targetILNS1_3genE0ELNS1_11target_archE4294967295ELNS1_3gpuE0ELNS1_3repE0EEENS1_30default_config_static_selectorELNS0_4arch9wavefront6targetE0EEEvT1_,comdat
	.protected	_ZN7rocprim17ROCPRIM_400000_NS6detail17trampoline_kernelINS0_14default_configENS1_25partition_config_selectorILNS1_17partition_subalgoE5EdNS0_10empty_typeEbEEZZNS1_14partition_implILS5_5ELb0ES3_mN6thrust23THRUST_200600_302600_NS6detail15normal_iteratorINSA_10device_ptrIdEEEEPS6_NSA_18transform_iteratorINSB_9not_fun_tI7is_trueIdEEESF_NSA_11use_defaultESM_EENS0_5tupleIJSF_S6_EEENSO_IJSG_SG_EEES6_PlJS6_EEE10hipError_tPvRmT3_T4_T5_T6_T7_T9_mT8_P12ihipStream_tbDpT10_ENKUlT_T0_E_clISt17integral_constantIbLb1EES1B_EEDaS16_S17_EUlS16_E_NS1_11comp_targetILNS1_3genE0ELNS1_11target_archE4294967295ELNS1_3gpuE0ELNS1_3repE0EEENS1_30default_config_static_selectorELNS0_4arch9wavefront6targetE0EEEvT1_ ; -- Begin function _ZN7rocprim17ROCPRIM_400000_NS6detail17trampoline_kernelINS0_14default_configENS1_25partition_config_selectorILNS1_17partition_subalgoE5EdNS0_10empty_typeEbEEZZNS1_14partition_implILS5_5ELb0ES3_mN6thrust23THRUST_200600_302600_NS6detail15normal_iteratorINSA_10device_ptrIdEEEEPS6_NSA_18transform_iteratorINSB_9not_fun_tI7is_trueIdEEESF_NSA_11use_defaultESM_EENS0_5tupleIJSF_S6_EEENSO_IJSG_SG_EEES6_PlJS6_EEE10hipError_tPvRmT3_T4_T5_T6_T7_T9_mT8_P12ihipStream_tbDpT10_ENKUlT_T0_E_clISt17integral_constantIbLb1EES1B_EEDaS16_S17_EUlS16_E_NS1_11comp_targetILNS1_3genE0ELNS1_11target_archE4294967295ELNS1_3gpuE0ELNS1_3repE0EEENS1_30default_config_static_selectorELNS0_4arch9wavefront6targetE0EEEvT1_
	.globl	_ZN7rocprim17ROCPRIM_400000_NS6detail17trampoline_kernelINS0_14default_configENS1_25partition_config_selectorILNS1_17partition_subalgoE5EdNS0_10empty_typeEbEEZZNS1_14partition_implILS5_5ELb0ES3_mN6thrust23THRUST_200600_302600_NS6detail15normal_iteratorINSA_10device_ptrIdEEEEPS6_NSA_18transform_iteratorINSB_9not_fun_tI7is_trueIdEEESF_NSA_11use_defaultESM_EENS0_5tupleIJSF_S6_EEENSO_IJSG_SG_EEES6_PlJS6_EEE10hipError_tPvRmT3_T4_T5_T6_T7_T9_mT8_P12ihipStream_tbDpT10_ENKUlT_T0_E_clISt17integral_constantIbLb1EES1B_EEDaS16_S17_EUlS16_E_NS1_11comp_targetILNS1_3genE0ELNS1_11target_archE4294967295ELNS1_3gpuE0ELNS1_3repE0EEENS1_30default_config_static_selectorELNS0_4arch9wavefront6targetE0EEEvT1_
	.p2align	8
	.type	_ZN7rocprim17ROCPRIM_400000_NS6detail17trampoline_kernelINS0_14default_configENS1_25partition_config_selectorILNS1_17partition_subalgoE5EdNS0_10empty_typeEbEEZZNS1_14partition_implILS5_5ELb0ES3_mN6thrust23THRUST_200600_302600_NS6detail15normal_iteratorINSA_10device_ptrIdEEEEPS6_NSA_18transform_iteratorINSB_9not_fun_tI7is_trueIdEEESF_NSA_11use_defaultESM_EENS0_5tupleIJSF_S6_EEENSO_IJSG_SG_EEES6_PlJS6_EEE10hipError_tPvRmT3_T4_T5_T6_T7_T9_mT8_P12ihipStream_tbDpT10_ENKUlT_T0_E_clISt17integral_constantIbLb1EES1B_EEDaS16_S17_EUlS16_E_NS1_11comp_targetILNS1_3genE0ELNS1_11target_archE4294967295ELNS1_3gpuE0ELNS1_3repE0EEENS1_30default_config_static_selectorELNS0_4arch9wavefront6targetE0EEEvT1_,@function
_ZN7rocprim17ROCPRIM_400000_NS6detail17trampoline_kernelINS0_14default_configENS1_25partition_config_selectorILNS1_17partition_subalgoE5EdNS0_10empty_typeEbEEZZNS1_14partition_implILS5_5ELb0ES3_mN6thrust23THRUST_200600_302600_NS6detail15normal_iteratorINSA_10device_ptrIdEEEEPS6_NSA_18transform_iteratorINSB_9not_fun_tI7is_trueIdEEESF_NSA_11use_defaultESM_EENS0_5tupleIJSF_S6_EEENSO_IJSG_SG_EEES6_PlJS6_EEE10hipError_tPvRmT3_T4_T5_T6_T7_T9_mT8_P12ihipStream_tbDpT10_ENKUlT_T0_E_clISt17integral_constantIbLb1EES1B_EEDaS16_S17_EUlS16_E_NS1_11comp_targetILNS1_3genE0ELNS1_11target_archE4294967295ELNS1_3gpuE0ELNS1_3repE0EEENS1_30default_config_static_selectorELNS0_4arch9wavefront6targetE0EEEvT1_: ; @_ZN7rocprim17ROCPRIM_400000_NS6detail17trampoline_kernelINS0_14default_configENS1_25partition_config_selectorILNS1_17partition_subalgoE5EdNS0_10empty_typeEbEEZZNS1_14partition_implILS5_5ELb0ES3_mN6thrust23THRUST_200600_302600_NS6detail15normal_iteratorINSA_10device_ptrIdEEEEPS6_NSA_18transform_iteratorINSB_9not_fun_tI7is_trueIdEEESF_NSA_11use_defaultESM_EENS0_5tupleIJSF_S6_EEENSO_IJSG_SG_EEES6_PlJS6_EEE10hipError_tPvRmT3_T4_T5_T6_T7_T9_mT8_P12ihipStream_tbDpT10_ENKUlT_T0_E_clISt17integral_constantIbLb1EES1B_EEDaS16_S17_EUlS16_E_NS1_11comp_targetILNS1_3genE0ELNS1_11target_archE4294967295ELNS1_3gpuE0ELNS1_3repE0EEENS1_30default_config_static_selectorELNS0_4arch9wavefront6targetE0EEEvT1_
; %bb.0:
	.section	.rodata,"a",@progbits
	.p2align	6, 0x0
	.amdhsa_kernel _ZN7rocprim17ROCPRIM_400000_NS6detail17trampoline_kernelINS0_14default_configENS1_25partition_config_selectorILNS1_17partition_subalgoE5EdNS0_10empty_typeEbEEZZNS1_14partition_implILS5_5ELb0ES3_mN6thrust23THRUST_200600_302600_NS6detail15normal_iteratorINSA_10device_ptrIdEEEEPS6_NSA_18transform_iteratorINSB_9not_fun_tI7is_trueIdEEESF_NSA_11use_defaultESM_EENS0_5tupleIJSF_S6_EEENSO_IJSG_SG_EEES6_PlJS6_EEE10hipError_tPvRmT3_T4_T5_T6_T7_T9_mT8_P12ihipStream_tbDpT10_ENKUlT_T0_E_clISt17integral_constantIbLb1EES1B_EEDaS16_S17_EUlS16_E_NS1_11comp_targetILNS1_3genE0ELNS1_11target_archE4294967295ELNS1_3gpuE0ELNS1_3repE0EEENS1_30default_config_static_selectorELNS0_4arch9wavefront6targetE0EEEvT1_
		.amdhsa_group_segment_fixed_size 0
		.amdhsa_private_segment_fixed_size 0
		.amdhsa_kernarg_size 136
		.amdhsa_user_sgpr_count 2
		.amdhsa_user_sgpr_dispatch_ptr 0
		.amdhsa_user_sgpr_queue_ptr 0
		.amdhsa_user_sgpr_kernarg_segment_ptr 1
		.amdhsa_user_sgpr_dispatch_id 0
		.amdhsa_user_sgpr_private_segment_size 0
		.amdhsa_wavefront_size32 1
		.amdhsa_uses_dynamic_stack 0
		.amdhsa_enable_private_segment 0
		.amdhsa_system_sgpr_workgroup_id_x 1
		.amdhsa_system_sgpr_workgroup_id_y 0
		.amdhsa_system_sgpr_workgroup_id_z 0
		.amdhsa_system_sgpr_workgroup_info 0
		.amdhsa_system_vgpr_workitem_id 0
		.amdhsa_next_free_vgpr 1
		.amdhsa_next_free_sgpr 1
		.amdhsa_reserve_vcc 0
		.amdhsa_float_round_mode_32 0
		.amdhsa_float_round_mode_16_64 0
		.amdhsa_float_denorm_mode_32 3
		.amdhsa_float_denorm_mode_16_64 3
		.amdhsa_fp16_overflow 0
		.amdhsa_workgroup_processor_mode 1
		.amdhsa_memory_ordered 1
		.amdhsa_forward_progress 1
		.amdhsa_inst_pref_size 0
		.amdhsa_round_robin_scheduling 0
		.amdhsa_exception_fp_ieee_invalid_op 0
		.amdhsa_exception_fp_denorm_src 0
		.amdhsa_exception_fp_ieee_div_zero 0
		.amdhsa_exception_fp_ieee_overflow 0
		.amdhsa_exception_fp_ieee_underflow 0
		.amdhsa_exception_fp_ieee_inexact 0
		.amdhsa_exception_int_div_zero 0
	.end_amdhsa_kernel
	.section	.text._ZN7rocprim17ROCPRIM_400000_NS6detail17trampoline_kernelINS0_14default_configENS1_25partition_config_selectorILNS1_17partition_subalgoE5EdNS0_10empty_typeEbEEZZNS1_14partition_implILS5_5ELb0ES3_mN6thrust23THRUST_200600_302600_NS6detail15normal_iteratorINSA_10device_ptrIdEEEEPS6_NSA_18transform_iteratorINSB_9not_fun_tI7is_trueIdEEESF_NSA_11use_defaultESM_EENS0_5tupleIJSF_S6_EEENSO_IJSG_SG_EEES6_PlJS6_EEE10hipError_tPvRmT3_T4_T5_T6_T7_T9_mT8_P12ihipStream_tbDpT10_ENKUlT_T0_E_clISt17integral_constantIbLb1EES1B_EEDaS16_S17_EUlS16_E_NS1_11comp_targetILNS1_3genE0ELNS1_11target_archE4294967295ELNS1_3gpuE0ELNS1_3repE0EEENS1_30default_config_static_selectorELNS0_4arch9wavefront6targetE0EEEvT1_,"axG",@progbits,_ZN7rocprim17ROCPRIM_400000_NS6detail17trampoline_kernelINS0_14default_configENS1_25partition_config_selectorILNS1_17partition_subalgoE5EdNS0_10empty_typeEbEEZZNS1_14partition_implILS5_5ELb0ES3_mN6thrust23THRUST_200600_302600_NS6detail15normal_iteratorINSA_10device_ptrIdEEEEPS6_NSA_18transform_iteratorINSB_9not_fun_tI7is_trueIdEEESF_NSA_11use_defaultESM_EENS0_5tupleIJSF_S6_EEENSO_IJSG_SG_EEES6_PlJS6_EEE10hipError_tPvRmT3_T4_T5_T6_T7_T9_mT8_P12ihipStream_tbDpT10_ENKUlT_T0_E_clISt17integral_constantIbLb1EES1B_EEDaS16_S17_EUlS16_E_NS1_11comp_targetILNS1_3genE0ELNS1_11target_archE4294967295ELNS1_3gpuE0ELNS1_3repE0EEENS1_30default_config_static_selectorELNS0_4arch9wavefront6targetE0EEEvT1_,comdat
.Lfunc_end1310:
	.size	_ZN7rocprim17ROCPRIM_400000_NS6detail17trampoline_kernelINS0_14default_configENS1_25partition_config_selectorILNS1_17partition_subalgoE5EdNS0_10empty_typeEbEEZZNS1_14partition_implILS5_5ELb0ES3_mN6thrust23THRUST_200600_302600_NS6detail15normal_iteratorINSA_10device_ptrIdEEEEPS6_NSA_18transform_iteratorINSB_9not_fun_tI7is_trueIdEEESF_NSA_11use_defaultESM_EENS0_5tupleIJSF_S6_EEENSO_IJSG_SG_EEES6_PlJS6_EEE10hipError_tPvRmT3_T4_T5_T6_T7_T9_mT8_P12ihipStream_tbDpT10_ENKUlT_T0_E_clISt17integral_constantIbLb1EES1B_EEDaS16_S17_EUlS16_E_NS1_11comp_targetILNS1_3genE0ELNS1_11target_archE4294967295ELNS1_3gpuE0ELNS1_3repE0EEENS1_30default_config_static_selectorELNS0_4arch9wavefront6targetE0EEEvT1_, .Lfunc_end1310-_ZN7rocprim17ROCPRIM_400000_NS6detail17trampoline_kernelINS0_14default_configENS1_25partition_config_selectorILNS1_17partition_subalgoE5EdNS0_10empty_typeEbEEZZNS1_14partition_implILS5_5ELb0ES3_mN6thrust23THRUST_200600_302600_NS6detail15normal_iteratorINSA_10device_ptrIdEEEEPS6_NSA_18transform_iteratorINSB_9not_fun_tI7is_trueIdEEESF_NSA_11use_defaultESM_EENS0_5tupleIJSF_S6_EEENSO_IJSG_SG_EEES6_PlJS6_EEE10hipError_tPvRmT3_T4_T5_T6_T7_T9_mT8_P12ihipStream_tbDpT10_ENKUlT_T0_E_clISt17integral_constantIbLb1EES1B_EEDaS16_S17_EUlS16_E_NS1_11comp_targetILNS1_3genE0ELNS1_11target_archE4294967295ELNS1_3gpuE0ELNS1_3repE0EEENS1_30default_config_static_selectorELNS0_4arch9wavefront6targetE0EEEvT1_
                                        ; -- End function
	.set _ZN7rocprim17ROCPRIM_400000_NS6detail17trampoline_kernelINS0_14default_configENS1_25partition_config_selectorILNS1_17partition_subalgoE5EdNS0_10empty_typeEbEEZZNS1_14partition_implILS5_5ELb0ES3_mN6thrust23THRUST_200600_302600_NS6detail15normal_iteratorINSA_10device_ptrIdEEEEPS6_NSA_18transform_iteratorINSB_9not_fun_tI7is_trueIdEEESF_NSA_11use_defaultESM_EENS0_5tupleIJSF_S6_EEENSO_IJSG_SG_EEES6_PlJS6_EEE10hipError_tPvRmT3_T4_T5_T6_T7_T9_mT8_P12ihipStream_tbDpT10_ENKUlT_T0_E_clISt17integral_constantIbLb1EES1B_EEDaS16_S17_EUlS16_E_NS1_11comp_targetILNS1_3genE0ELNS1_11target_archE4294967295ELNS1_3gpuE0ELNS1_3repE0EEENS1_30default_config_static_selectorELNS0_4arch9wavefront6targetE0EEEvT1_.num_vgpr, 0
	.set _ZN7rocprim17ROCPRIM_400000_NS6detail17trampoline_kernelINS0_14default_configENS1_25partition_config_selectorILNS1_17partition_subalgoE5EdNS0_10empty_typeEbEEZZNS1_14partition_implILS5_5ELb0ES3_mN6thrust23THRUST_200600_302600_NS6detail15normal_iteratorINSA_10device_ptrIdEEEEPS6_NSA_18transform_iteratorINSB_9not_fun_tI7is_trueIdEEESF_NSA_11use_defaultESM_EENS0_5tupleIJSF_S6_EEENSO_IJSG_SG_EEES6_PlJS6_EEE10hipError_tPvRmT3_T4_T5_T6_T7_T9_mT8_P12ihipStream_tbDpT10_ENKUlT_T0_E_clISt17integral_constantIbLb1EES1B_EEDaS16_S17_EUlS16_E_NS1_11comp_targetILNS1_3genE0ELNS1_11target_archE4294967295ELNS1_3gpuE0ELNS1_3repE0EEENS1_30default_config_static_selectorELNS0_4arch9wavefront6targetE0EEEvT1_.num_agpr, 0
	.set _ZN7rocprim17ROCPRIM_400000_NS6detail17trampoline_kernelINS0_14default_configENS1_25partition_config_selectorILNS1_17partition_subalgoE5EdNS0_10empty_typeEbEEZZNS1_14partition_implILS5_5ELb0ES3_mN6thrust23THRUST_200600_302600_NS6detail15normal_iteratorINSA_10device_ptrIdEEEEPS6_NSA_18transform_iteratorINSB_9not_fun_tI7is_trueIdEEESF_NSA_11use_defaultESM_EENS0_5tupleIJSF_S6_EEENSO_IJSG_SG_EEES6_PlJS6_EEE10hipError_tPvRmT3_T4_T5_T6_T7_T9_mT8_P12ihipStream_tbDpT10_ENKUlT_T0_E_clISt17integral_constantIbLb1EES1B_EEDaS16_S17_EUlS16_E_NS1_11comp_targetILNS1_3genE0ELNS1_11target_archE4294967295ELNS1_3gpuE0ELNS1_3repE0EEENS1_30default_config_static_selectorELNS0_4arch9wavefront6targetE0EEEvT1_.numbered_sgpr, 0
	.set _ZN7rocprim17ROCPRIM_400000_NS6detail17trampoline_kernelINS0_14default_configENS1_25partition_config_selectorILNS1_17partition_subalgoE5EdNS0_10empty_typeEbEEZZNS1_14partition_implILS5_5ELb0ES3_mN6thrust23THRUST_200600_302600_NS6detail15normal_iteratorINSA_10device_ptrIdEEEEPS6_NSA_18transform_iteratorINSB_9not_fun_tI7is_trueIdEEESF_NSA_11use_defaultESM_EENS0_5tupleIJSF_S6_EEENSO_IJSG_SG_EEES6_PlJS6_EEE10hipError_tPvRmT3_T4_T5_T6_T7_T9_mT8_P12ihipStream_tbDpT10_ENKUlT_T0_E_clISt17integral_constantIbLb1EES1B_EEDaS16_S17_EUlS16_E_NS1_11comp_targetILNS1_3genE0ELNS1_11target_archE4294967295ELNS1_3gpuE0ELNS1_3repE0EEENS1_30default_config_static_selectorELNS0_4arch9wavefront6targetE0EEEvT1_.num_named_barrier, 0
	.set _ZN7rocprim17ROCPRIM_400000_NS6detail17trampoline_kernelINS0_14default_configENS1_25partition_config_selectorILNS1_17partition_subalgoE5EdNS0_10empty_typeEbEEZZNS1_14partition_implILS5_5ELb0ES3_mN6thrust23THRUST_200600_302600_NS6detail15normal_iteratorINSA_10device_ptrIdEEEEPS6_NSA_18transform_iteratorINSB_9not_fun_tI7is_trueIdEEESF_NSA_11use_defaultESM_EENS0_5tupleIJSF_S6_EEENSO_IJSG_SG_EEES6_PlJS6_EEE10hipError_tPvRmT3_T4_T5_T6_T7_T9_mT8_P12ihipStream_tbDpT10_ENKUlT_T0_E_clISt17integral_constantIbLb1EES1B_EEDaS16_S17_EUlS16_E_NS1_11comp_targetILNS1_3genE0ELNS1_11target_archE4294967295ELNS1_3gpuE0ELNS1_3repE0EEENS1_30default_config_static_selectorELNS0_4arch9wavefront6targetE0EEEvT1_.private_seg_size, 0
	.set _ZN7rocprim17ROCPRIM_400000_NS6detail17trampoline_kernelINS0_14default_configENS1_25partition_config_selectorILNS1_17partition_subalgoE5EdNS0_10empty_typeEbEEZZNS1_14partition_implILS5_5ELb0ES3_mN6thrust23THRUST_200600_302600_NS6detail15normal_iteratorINSA_10device_ptrIdEEEEPS6_NSA_18transform_iteratorINSB_9not_fun_tI7is_trueIdEEESF_NSA_11use_defaultESM_EENS0_5tupleIJSF_S6_EEENSO_IJSG_SG_EEES6_PlJS6_EEE10hipError_tPvRmT3_T4_T5_T6_T7_T9_mT8_P12ihipStream_tbDpT10_ENKUlT_T0_E_clISt17integral_constantIbLb1EES1B_EEDaS16_S17_EUlS16_E_NS1_11comp_targetILNS1_3genE0ELNS1_11target_archE4294967295ELNS1_3gpuE0ELNS1_3repE0EEENS1_30default_config_static_selectorELNS0_4arch9wavefront6targetE0EEEvT1_.uses_vcc, 0
	.set _ZN7rocprim17ROCPRIM_400000_NS6detail17trampoline_kernelINS0_14default_configENS1_25partition_config_selectorILNS1_17partition_subalgoE5EdNS0_10empty_typeEbEEZZNS1_14partition_implILS5_5ELb0ES3_mN6thrust23THRUST_200600_302600_NS6detail15normal_iteratorINSA_10device_ptrIdEEEEPS6_NSA_18transform_iteratorINSB_9not_fun_tI7is_trueIdEEESF_NSA_11use_defaultESM_EENS0_5tupleIJSF_S6_EEENSO_IJSG_SG_EEES6_PlJS6_EEE10hipError_tPvRmT3_T4_T5_T6_T7_T9_mT8_P12ihipStream_tbDpT10_ENKUlT_T0_E_clISt17integral_constantIbLb1EES1B_EEDaS16_S17_EUlS16_E_NS1_11comp_targetILNS1_3genE0ELNS1_11target_archE4294967295ELNS1_3gpuE0ELNS1_3repE0EEENS1_30default_config_static_selectorELNS0_4arch9wavefront6targetE0EEEvT1_.uses_flat_scratch, 0
	.set _ZN7rocprim17ROCPRIM_400000_NS6detail17trampoline_kernelINS0_14default_configENS1_25partition_config_selectorILNS1_17partition_subalgoE5EdNS0_10empty_typeEbEEZZNS1_14partition_implILS5_5ELb0ES3_mN6thrust23THRUST_200600_302600_NS6detail15normal_iteratorINSA_10device_ptrIdEEEEPS6_NSA_18transform_iteratorINSB_9not_fun_tI7is_trueIdEEESF_NSA_11use_defaultESM_EENS0_5tupleIJSF_S6_EEENSO_IJSG_SG_EEES6_PlJS6_EEE10hipError_tPvRmT3_T4_T5_T6_T7_T9_mT8_P12ihipStream_tbDpT10_ENKUlT_T0_E_clISt17integral_constantIbLb1EES1B_EEDaS16_S17_EUlS16_E_NS1_11comp_targetILNS1_3genE0ELNS1_11target_archE4294967295ELNS1_3gpuE0ELNS1_3repE0EEENS1_30default_config_static_selectorELNS0_4arch9wavefront6targetE0EEEvT1_.has_dyn_sized_stack, 0
	.set _ZN7rocprim17ROCPRIM_400000_NS6detail17trampoline_kernelINS0_14default_configENS1_25partition_config_selectorILNS1_17partition_subalgoE5EdNS0_10empty_typeEbEEZZNS1_14partition_implILS5_5ELb0ES3_mN6thrust23THRUST_200600_302600_NS6detail15normal_iteratorINSA_10device_ptrIdEEEEPS6_NSA_18transform_iteratorINSB_9not_fun_tI7is_trueIdEEESF_NSA_11use_defaultESM_EENS0_5tupleIJSF_S6_EEENSO_IJSG_SG_EEES6_PlJS6_EEE10hipError_tPvRmT3_T4_T5_T6_T7_T9_mT8_P12ihipStream_tbDpT10_ENKUlT_T0_E_clISt17integral_constantIbLb1EES1B_EEDaS16_S17_EUlS16_E_NS1_11comp_targetILNS1_3genE0ELNS1_11target_archE4294967295ELNS1_3gpuE0ELNS1_3repE0EEENS1_30default_config_static_selectorELNS0_4arch9wavefront6targetE0EEEvT1_.has_recursion, 0
	.set _ZN7rocprim17ROCPRIM_400000_NS6detail17trampoline_kernelINS0_14default_configENS1_25partition_config_selectorILNS1_17partition_subalgoE5EdNS0_10empty_typeEbEEZZNS1_14partition_implILS5_5ELb0ES3_mN6thrust23THRUST_200600_302600_NS6detail15normal_iteratorINSA_10device_ptrIdEEEEPS6_NSA_18transform_iteratorINSB_9not_fun_tI7is_trueIdEEESF_NSA_11use_defaultESM_EENS0_5tupleIJSF_S6_EEENSO_IJSG_SG_EEES6_PlJS6_EEE10hipError_tPvRmT3_T4_T5_T6_T7_T9_mT8_P12ihipStream_tbDpT10_ENKUlT_T0_E_clISt17integral_constantIbLb1EES1B_EEDaS16_S17_EUlS16_E_NS1_11comp_targetILNS1_3genE0ELNS1_11target_archE4294967295ELNS1_3gpuE0ELNS1_3repE0EEENS1_30default_config_static_selectorELNS0_4arch9wavefront6targetE0EEEvT1_.has_indirect_call, 0
	.section	.AMDGPU.csdata,"",@progbits
; Kernel info:
; codeLenInByte = 0
; TotalNumSgprs: 0
; NumVgprs: 0
; ScratchSize: 0
; MemoryBound: 0
; FloatMode: 240
; IeeeMode: 1
; LDSByteSize: 0 bytes/workgroup (compile time only)
; SGPRBlocks: 0
; VGPRBlocks: 0
; NumSGPRsForWavesPerEU: 1
; NumVGPRsForWavesPerEU: 1
; Occupancy: 16
; WaveLimiterHint : 0
; COMPUTE_PGM_RSRC2:SCRATCH_EN: 0
; COMPUTE_PGM_RSRC2:USER_SGPR: 2
; COMPUTE_PGM_RSRC2:TRAP_HANDLER: 0
; COMPUTE_PGM_RSRC2:TGID_X_EN: 1
; COMPUTE_PGM_RSRC2:TGID_Y_EN: 0
; COMPUTE_PGM_RSRC2:TGID_Z_EN: 0
; COMPUTE_PGM_RSRC2:TIDIG_COMP_CNT: 0
	.section	.text._ZN7rocprim17ROCPRIM_400000_NS6detail17trampoline_kernelINS0_14default_configENS1_25partition_config_selectorILNS1_17partition_subalgoE5EdNS0_10empty_typeEbEEZZNS1_14partition_implILS5_5ELb0ES3_mN6thrust23THRUST_200600_302600_NS6detail15normal_iteratorINSA_10device_ptrIdEEEEPS6_NSA_18transform_iteratorINSB_9not_fun_tI7is_trueIdEEESF_NSA_11use_defaultESM_EENS0_5tupleIJSF_S6_EEENSO_IJSG_SG_EEES6_PlJS6_EEE10hipError_tPvRmT3_T4_T5_T6_T7_T9_mT8_P12ihipStream_tbDpT10_ENKUlT_T0_E_clISt17integral_constantIbLb1EES1B_EEDaS16_S17_EUlS16_E_NS1_11comp_targetILNS1_3genE5ELNS1_11target_archE942ELNS1_3gpuE9ELNS1_3repE0EEENS1_30default_config_static_selectorELNS0_4arch9wavefront6targetE0EEEvT1_,"axG",@progbits,_ZN7rocprim17ROCPRIM_400000_NS6detail17trampoline_kernelINS0_14default_configENS1_25partition_config_selectorILNS1_17partition_subalgoE5EdNS0_10empty_typeEbEEZZNS1_14partition_implILS5_5ELb0ES3_mN6thrust23THRUST_200600_302600_NS6detail15normal_iteratorINSA_10device_ptrIdEEEEPS6_NSA_18transform_iteratorINSB_9not_fun_tI7is_trueIdEEESF_NSA_11use_defaultESM_EENS0_5tupleIJSF_S6_EEENSO_IJSG_SG_EEES6_PlJS6_EEE10hipError_tPvRmT3_T4_T5_T6_T7_T9_mT8_P12ihipStream_tbDpT10_ENKUlT_T0_E_clISt17integral_constantIbLb1EES1B_EEDaS16_S17_EUlS16_E_NS1_11comp_targetILNS1_3genE5ELNS1_11target_archE942ELNS1_3gpuE9ELNS1_3repE0EEENS1_30default_config_static_selectorELNS0_4arch9wavefront6targetE0EEEvT1_,comdat
	.protected	_ZN7rocprim17ROCPRIM_400000_NS6detail17trampoline_kernelINS0_14default_configENS1_25partition_config_selectorILNS1_17partition_subalgoE5EdNS0_10empty_typeEbEEZZNS1_14partition_implILS5_5ELb0ES3_mN6thrust23THRUST_200600_302600_NS6detail15normal_iteratorINSA_10device_ptrIdEEEEPS6_NSA_18transform_iteratorINSB_9not_fun_tI7is_trueIdEEESF_NSA_11use_defaultESM_EENS0_5tupleIJSF_S6_EEENSO_IJSG_SG_EEES6_PlJS6_EEE10hipError_tPvRmT3_T4_T5_T6_T7_T9_mT8_P12ihipStream_tbDpT10_ENKUlT_T0_E_clISt17integral_constantIbLb1EES1B_EEDaS16_S17_EUlS16_E_NS1_11comp_targetILNS1_3genE5ELNS1_11target_archE942ELNS1_3gpuE9ELNS1_3repE0EEENS1_30default_config_static_selectorELNS0_4arch9wavefront6targetE0EEEvT1_ ; -- Begin function _ZN7rocprim17ROCPRIM_400000_NS6detail17trampoline_kernelINS0_14default_configENS1_25partition_config_selectorILNS1_17partition_subalgoE5EdNS0_10empty_typeEbEEZZNS1_14partition_implILS5_5ELb0ES3_mN6thrust23THRUST_200600_302600_NS6detail15normal_iteratorINSA_10device_ptrIdEEEEPS6_NSA_18transform_iteratorINSB_9not_fun_tI7is_trueIdEEESF_NSA_11use_defaultESM_EENS0_5tupleIJSF_S6_EEENSO_IJSG_SG_EEES6_PlJS6_EEE10hipError_tPvRmT3_T4_T5_T6_T7_T9_mT8_P12ihipStream_tbDpT10_ENKUlT_T0_E_clISt17integral_constantIbLb1EES1B_EEDaS16_S17_EUlS16_E_NS1_11comp_targetILNS1_3genE5ELNS1_11target_archE942ELNS1_3gpuE9ELNS1_3repE0EEENS1_30default_config_static_selectorELNS0_4arch9wavefront6targetE0EEEvT1_
	.globl	_ZN7rocprim17ROCPRIM_400000_NS6detail17trampoline_kernelINS0_14default_configENS1_25partition_config_selectorILNS1_17partition_subalgoE5EdNS0_10empty_typeEbEEZZNS1_14partition_implILS5_5ELb0ES3_mN6thrust23THRUST_200600_302600_NS6detail15normal_iteratorINSA_10device_ptrIdEEEEPS6_NSA_18transform_iteratorINSB_9not_fun_tI7is_trueIdEEESF_NSA_11use_defaultESM_EENS0_5tupleIJSF_S6_EEENSO_IJSG_SG_EEES6_PlJS6_EEE10hipError_tPvRmT3_T4_T5_T6_T7_T9_mT8_P12ihipStream_tbDpT10_ENKUlT_T0_E_clISt17integral_constantIbLb1EES1B_EEDaS16_S17_EUlS16_E_NS1_11comp_targetILNS1_3genE5ELNS1_11target_archE942ELNS1_3gpuE9ELNS1_3repE0EEENS1_30default_config_static_selectorELNS0_4arch9wavefront6targetE0EEEvT1_
	.p2align	8
	.type	_ZN7rocprim17ROCPRIM_400000_NS6detail17trampoline_kernelINS0_14default_configENS1_25partition_config_selectorILNS1_17partition_subalgoE5EdNS0_10empty_typeEbEEZZNS1_14partition_implILS5_5ELb0ES3_mN6thrust23THRUST_200600_302600_NS6detail15normal_iteratorINSA_10device_ptrIdEEEEPS6_NSA_18transform_iteratorINSB_9not_fun_tI7is_trueIdEEESF_NSA_11use_defaultESM_EENS0_5tupleIJSF_S6_EEENSO_IJSG_SG_EEES6_PlJS6_EEE10hipError_tPvRmT3_T4_T5_T6_T7_T9_mT8_P12ihipStream_tbDpT10_ENKUlT_T0_E_clISt17integral_constantIbLb1EES1B_EEDaS16_S17_EUlS16_E_NS1_11comp_targetILNS1_3genE5ELNS1_11target_archE942ELNS1_3gpuE9ELNS1_3repE0EEENS1_30default_config_static_selectorELNS0_4arch9wavefront6targetE0EEEvT1_,@function
_ZN7rocprim17ROCPRIM_400000_NS6detail17trampoline_kernelINS0_14default_configENS1_25partition_config_selectorILNS1_17partition_subalgoE5EdNS0_10empty_typeEbEEZZNS1_14partition_implILS5_5ELb0ES3_mN6thrust23THRUST_200600_302600_NS6detail15normal_iteratorINSA_10device_ptrIdEEEEPS6_NSA_18transform_iteratorINSB_9not_fun_tI7is_trueIdEEESF_NSA_11use_defaultESM_EENS0_5tupleIJSF_S6_EEENSO_IJSG_SG_EEES6_PlJS6_EEE10hipError_tPvRmT3_T4_T5_T6_T7_T9_mT8_P12ihipStream_tbDpT10_ENKUlT_T0_E_clISt17integral_constantIbLb1EES1B_EEDaS16_S17_EUlS16_E_NS1_11comp_targetILNS1_3genE5ELNS1_11target_archE942ELNS1_3gpuE9ELNS1_3repE0EEENS1_30default_config_static_selectorELNS0_4arch9wavefront6targetE0EEEvT1_: ; @_ZN7rocprim17ROCPRIM_400000_NS6detail17trampoline_kernelINS0_14default_configENS1_25partition_config_selectorILNS1_17partition_subalgoE5EdNS0_10empty_typeEbEEZZNS1_14partition_implILS5_5ELb0ES3_mN6thrust23THRUST_200600_302600_NS6detail15normal_iteratorINSA_10device_ptrIdEEEEPS6_NSA_18transform_iteratorINSB_9not_fun_tI7is_trueIdEEESF_NSA_11use_defaultESM_EENS0_5tupleIJSF_S6_EEENSO_IJSG_SG_EEES6_PlJS6_EEE10hipError_tPvRmT3_T4_T5_T6_T7_T9_mT8_P12ihipStream_tbDpT10_ENKUlT_T0_E_clISt17integral_constantIbLb1EES1B_EEDaS16_S17_EUlS16_E_NS1_11comp_targetILNS1_3genE5ELNS1_11target_archE942ELNS1_3gpuE9ELNS1_3repE0EEENS1_30default_config_static_selectorELNS0_4arch9wavefront6targetE0EEEvT1_
; %bb.0:
	.section	.rodata,"a",@progbits
	.p2align	6, 0x0
	.amdhsa_kernel _ZN7rocprim17ROCPRIM_400000_NS6detail17trampoline_kernelINS0_14default_configENS1_25partition_config_selectorILNS1_17partition_subalgoE5EdNS0_10empty_typeEbEEZZNS1_14partition_implILS5_5ELb0ES3_mN6thrust23THRUST_200600_302600_NS6detail15normal_iteratorINSA_10device_ptrIdEEEEPS6_NSA_18transform_iteratorINSB_9not_fun_tI7is_trueIdEEESF_NSA_11use_defaultESM_EENS0_5tupleIJSF_S6_EEENSO_IJSG_SG_EEES6_PlJS6_EEE10hipError_tPvRmT3_T4_T5_T6_T7_T9_mT8_P12ihipStream_tbDpT10_ENKUlT_T0_E_clISt17integral_constantIbLb1EES1B_EEDaS16_S17_EUlS16_E_NS1_11comp_targetILNS1_3genE5ELNS1_11target_archE942ELNS1_3gpuE9ELNS1_3repE0EEENS1_30default_config_static_selectorELNS0_4arch9wavefront6targetE0EEEvT1_
		.amdhsa_group_segment_fixed_size 0
		.amdhsa_private_segment_fixed_size 0
		.amdhsa_kernarg_size 136
		.amdhsa_user_sgpr_count 2
		.amdhsa_user_sgpr_dispatch_ptr 0
		.amdhsa_user_sgpr_queue_ptr 0
		.amdhsa_user_sgpr_kernarg_segment_ptr 1
		.amdhsa_user_sgpr_dispatch_id 0
		.amdhsa_user_sgpr_private_segment_size 0
		.amdhsa_wavefront_size32 1
		.amdhsa_uses_dynamic_stack 0
		.amdhsa_enable_private_segment 0
		.amdhsa_system_sgpr_workgroup_id_x 1
		.amdhsa_system_sgpr_workgroup_id_y 0
		.amdhsa_system_sgpr_workgroup_id_z 0
		.amdhsa_system_sgpr_workgroup_info 0
		.amdhsa_system_vgpr_workitem_id 0
		.amdhsa_next_free_vgpr 1
		.amdhsa_next_free_sgpr 1
		.amdhsa_reserve_vcc 0
		.amdhsa_float_round_mode_32 0
		.amdhsa_float_round_mode_16_64 0
		.amdhsa_float_denorm_mode_32 3
		.amdhsa_float_denorm_mode_16_64 3
		.amdhsa_fp16_overflow 0
		.amdhsa_workgroup_processor_mode 1
		.amdhsa_memory_ordered 1
		.amdhsa_forward_progress 1
		.amdhsa_inst_pref_size 0
		.amdhsa_round_robin_scheduling 0
		.amdhsa_exception_fp_ieee_invalid_op 0
		.amdhsa_exception_fp_denorm_src 0
		.amdhsa_exception_fp_ieee_div_zero 0
		.amdhsa_exception_fp_ieee_overflow 0
		.amdhsa_exception_fp_ieee_underflow 0
		.amdhsa_exception_fp_ieee_inexact 0
		.amdhsa_exception_int_div_zero 0
	.end_amdhsa_kernel
	.section	.text._ZN7rocprim17ROCPRIM_400000_NS6detail17trampoline_kernelINS0_14default_configENS1_25partition_config_selectorILNS1_17partition_subalgoE5EdNS0_10empty_typeEbEEZZNS1_14partition_implILS5_5ELb0ES3_mN6thrust23THRUST_200600_302600_NS6detail15normal_iteratorINSA_10device_ptrIdEEEEPS6_NSA_18transform_iteratorINSB_9not_fun_tI7is_trueIdEEESF_NSA_11use_defaultESM_EENS0_5tupleIJSF_S6_EEENSO_IJSG_SG_EEES6_PlJS6_EEE10hipError_tPvRmT3_T4_T5_T6_T7_T9_mT8_P12ihipStream_tbDpT10_ENKUlT_T0_E_clISt17integral_constantIbLb1EES1B_EEDaS16_S17_EUlS16_E_NS1_11comp_targetILNS1_3genE5ELNS1_11target_archE942ELNS1_3gpuE9ELNS1_3repE0EEENS1_30default_config_static_selectorELNS0_4arch9wavefront6targetE0EEEvT1_,"axG",@progbits,_ZN7rocprim17ROCPRIM_400000_NS6detail17trampoline_kernelINS0_14default_configENS1_25partition_config_selectorILNS1_17partition_subalgoE5EdNS0_10empty_typeEbEEZZNS1_14partition_implILS5_5ELb0ES3_mN6thrust23THRUST_200600_302600_NS6detail15normal_iteratorINSA_10device_ptrIdEEEEPS6_NSA_18transform_iteratorINSB_9not_fun_tI7is_trueIdEEESF_NSA_11use_defaultESM_EENS0_5tupleIJSF_S6_EEENSO_IJSG_SG_EEES6_PlJS6_EEE10hipError_tPvRmT3_T4_T5_T6_T7_T9_mT8_P12ihipStream_tbDpT10_ENKUlT_T0_E_clISt17integral_constantIbLb1EES1B_EEDaS16_S17_EUlS16_E_NS1_11comp_targetILNS1_3genE5ELNS1_11target_archE942ELNS1_3gpuE9ELNS1_3repE0EEENS1_30default_config_static_selectorELNS0_4arch9wavefront6targetE0EEEvT1_,comdat
.Lfunc_end1311:
	.size	_ZN7rocprim17ROCPRIM_400000_NS6detail17trampoline_kernelINS0_14default_configENS1_25partition_config_selectorILNS1_17partition_subalgoE5EdNS0_10empty_typeEbEEZZNS1_14partition_implILS5_5ELb0ES3_mN6thrust23THRUST_200600_302600_NS6detail15normal_iteratorINSA_10device_ptrIdEEEEPS6_NSA_18transform_iteratorINSB_9not_fun_tI7is_trueIdEEESF_NSA_11use_defaultESM_EENS0_5tupleIJSF_S6_EEENSO_IJSG_SG_EEES6_PlJS6_EEE10hipError_tPvRmT3_T4_T5_T6_T7_T9_mT8_P12ihipStream_tbDpT10_ENKUlT_T0_E_clISt17integral_constantIbLb1EES1B_EEDaS16_S17_EUlS16_E_NS1_11comp_targetILNS1_3genE5ELNS1_11target_archE942ELNS1_3gpuE9ELNS1_3repE0EEENS1_30default_config_static_selectorELNS0_4arch9wavefront6targetE0EEEvT1_, .Lfunc_end1311-_ZN7rocprim17ROCPRIM_400000_NS6detail17trampoline_kernelINS0_14default_configENS1_25partition_config_selectorILNS1_17partition_subalgoE5EdNS0_10empty_typeEbEEZZNS1_14partition_implILS5_5ELb0ES3_mN6thrust23THRUST_200600_302600_NS6detail15normal_iteratorINSA_10device_ptrIdEEEEPS6_NSA_18transform_iteratorINSB_9not_fun_tI7is_trueIdEEESF_NSA_11use_defaultESM_EENS0_5tupleIJSF_S6_EEENSO_IJSG_SG_EEES6_PlJS6_EEE10hipError_tPvRmT3_T4_T5_T6_T7_T9_mT8_P12ihipStream_tbDpT10_ENKUlT_T0_E_clISt17integral_constantIbLb1EES1B_EEDaS16_S17_EUlS16_E_NS1_11comp_targetILNS1_3genE5ELNS1_11target_archE942ELNS1_3gpuE9ELNS1_3repE0EEENS1_30default_config_static_selectorELNS0_4arch9wavefront6targetE0EEEvT1_
                                        ; -- End function
	.set _ZN7rocprim17ROCPRIM_400000_NS6detail17trampoline_kernelINS0_14default_configENS1_25partition_config_selectorILNS1_17partition_subalgoE5EdNS0_10empty_typeEbEEZZNS1_14partition_implILS5_5ELb0ES3_mN6thrust23THRUST_200600_302600_NS6detail15normal_iteratorINSA_10device_ptrIdEEEEPS6_NSA_18transform_iteratorINSB_9not_fun_tI7is_trueIdEEESF_NSA_11use_defaultESM_EENS0_5tupleIJSF_S6_EEENSO_IJSG_SG_EEES6_PlJS6_EEE10hipError_tPvRmT3_T4_T5_T6_T7_T9_mT8_P12ihipStream_tbDpT10_ENKUlT_T0_E_clISt17integral_constantIbLb1EES1B_EEDaS16_S17_EUlS16_E_NS1_11comp_targetILNS1_3genE5ELNS1_11target_archE942ELNS1_3gpuE9ELNS1_3repE0EEENS1_30default_config_static_selectorELNS0_4arch9wavefront6targetE0EEEvT1_.num_vgpr, 0
	.set _ZN7rocprim17ROCPRIM_400000_NS6detail17trampoline_kernelINS0_14default_configENS1_25partition_config_selectorILNS1_17partition_subalgoE5EdNS0_10empty_typeEbEEZZNS1_14partition_implILS5_5ELb0ES3_mN6thrust23THRUST_200600_302600_NS6detail15normal_iteratorINSA_10device_ptrIdEEEEPS6_NSA_18transform_iteratorINSB_9not_fun_tI7is_trueIdEEESF_NSA_11use_defaultESM_EENS0_5tupleIJSF_S6_EEENSO_IJSG_SG_EEES6_PlJS6_EEE10hipError_tPvRmT3_T4_T5_T6_T7_T9_mT8_P12ihipStream_tbDpT10_ENKUlT_T0_E_clISt17integral_constantIbLb1EES1B_EEDaS16_S17_EUlS16_E_NS1_11comp_targetILNS1_3genE5ELNS1_11target_archE942ELNS1_3gpuE9ELNS1_3repE0EEENS1_30default_config_static_selectorELNS0_4arch9wavefront6targetE0EEEvT1_.num_agpr, 0
	.set _ZN7rocprim17ROCPRIM_400000_NS6detail17trampoline_kernelINS0_14default_configENS1_25partition_config_selectorILNS1_17partition_subalgoE5EdNS0_10empty_typeEbEEZZNS1_14partition_implILS5_5ELb0ES3_mN6thrust23THRUST_200600_302600_NS6detail15normal_iteratorINSA_10device_ptrIdEEEEPS6_NSA_18transform_iteratorINSB_9not_fun_tI7is_trueIdEEESF_NSA_11use_defaultESM_EENS0_5tupleIJSF_S6_EEENSO_IJSG_SG_EEES6_PlJS6_EEE10hipError_tPvRmT3_T4_T5_T6_T7_T9_mT8_P12ihipStream_tbDpT10_ENKUlT_T0_E_clISt17integral_constantIbLb1EES1B_EEDaS16_S17_EUlS16_E_NS1_11comp_targetILNS1_3genE5ELNS1_11target_archE942ELNS1_3gpuE9ELNS1_3repE0EEENS1_30default_config_static_selectorELNS0_4arch9wavefront6targetE0EEEvT1_.numbered_sgpr, 0
	.set _ZN7rocprim17ROCPRIM_400000_NS6detail17trampoline_kernelINS0_14default_configENS1_25partition_config_selectorILNS1_17partition_subalgoE5EdNS0_10empty_typeEbEEZZNS1_14partition_implILS5_5ELb0ES3_mN6thrust23THRUST_200600_302600_NS6detail15normal_iteratorINSA_10device_ptrIdEEEEPS6_NSA_18transform_iteratorINSB_9not_fun_tI7is_trueIdEEESF_NSA_11use_defaultESM_EENS0_5tupleIJSF_S6_EEENSO_IJSG_SG_EEES6_PlJS6_EEE10hipError_tPvRmT3_T4_T5_T6_T7_T9_mT8_P12ihipStream_tbDpT10_ENKUlT_T0_E_clISt17integral_constantIbLb1EES1B_EEDaS16_S17_EUlS16_E_NS1_11comp_targetILNS1_3genE5ELNS1_11target_archE942ELNS1_3gpuE9ELNS1_3repE0EEENS1_30default_config_static_selectorELNS0_4arch9wavefront6targetE0EEEvT1_.num_named_barrier, 0
	.set _ZN7rocprim17ROCPRIM_400000_NS6detail17trampoline_kernelINS0_14default_configENS1_25partition_config_selectorILNS1_17partition_subalgoE5EdNS0_10empty_typeEbEEZZNS1_14partition_implILS5_5ELb0ES3_mN6thrust23THRUST_200600_302600_NS6detail15normal_iteratorINSA_10device_ptrIdEEEEPS6_NSA_18transform_iteratorINSB_9not_fun_tI7is_trueIdEEESF_NSA_11use_defaultESM_EENS0_5tupleIJSF_S6_EEENSO_IJSG_SG_EEES6_PlJS6_EEE10hipError_tPvRmT3_T4_T5_T6_T7_T9_mT8_P12ihipStream_tbDpT10_ENKUlT_T0_E_clISt17integral_constantIbLb1EES1B_EEDaS16_S17_EUlS16_E_NS1_11comp_targetILNS1_3genE5ELNS1_11target_archE942ELNS1_3gpuE9ELNS1_3repE0EEENS1_30default_config_static_selectorELNS0_4arch9wavefront6targetE0EEEvT1_.private_seg_size, 0
	.set _ZN7rocprim17ROCPRIM_400000_NS6detail17trampoline_kernelINS0_14default_configENS1_25partition_config_selectorILNS1_17partition_subalgoE5EdNS0_10empty_typeEbEEZZNS1_14partition_implILS5_5ELb0ES3_mN6thrust23THRUST_200600_302600_NS6detail15normal_iteratorINSA_10device_ptrIdEEEEPS6_NSA_18transform_iteratorINSB_9not_fun_tI7is_trueIdEEESF_NSA_11use_defaultESM_EENS0_5tupleIJSF_S6_EEENSO_IJSG_SG_EEES6_PlJS6_EEE10hipError_tPvRmT3_T4_T5_T6_T7_T9_mT8_P12ihipStream_tbDpT10_ENKUlT_T0_E_clISt17integral_constantIbLb1EES1B_EEDaS16_S17_EUlS16_E_NS1_11comp_targetILNS1_3genE5ELNS1_11target_archE942ELNS1_3gpuE9ELNS1_3repE0EEENS1_30default_config_static_selectorELNS0_4arch9wavefront6targetE0EEEvT1_.uses_vcc, 0
	.set _ZN7rocprim17ROCPRIM_400000_NS6detail17trampoline_kernelINS0_14default_configENS1_25partition_config_selectorILNS1_17partition_subalgoE5EdNS0_10empty_typeEbEEZZNS1_14partition_implILS5_5ELb0ES3_mN6thrust23THRUST_200600_302600_NS6detail15normal_iteratorINSA_10device_ptrIdEEEEPS6_NSA_18transform_iteratorINSB_9not_fun_tI7is_trueIdEEESF_NSA_11use_defaultESM_EENS0_5tupleIJSF_S6_EEENSO_IJSG_SG_EEES6_PlJS6_EEE10hipError_tPvRmT3_T4_T5_T6_T7_T9_mT8_P12ihipStream_tbDpT10_ENKUlT_T0_E_clISt17integral_constantIbLb1EES1B_EEDaS16_S17_EUlS16_E_NS1_11comp_targetILNS1_3genE5ELNS1_11target_archE942ELNS1_3gpuE9ELNS1_3repE0EEENS1_30default_config_static_selectorELNS0_4arch9wavefront6targetE0EEEvT1_.uses_flat_scratch, 0
	.set _ZN7rocprim17ROCPRIM_400000_NS6detail17trampoline_kernelINS0_14default_configENS1_25partition_config_selectorILNS1_17partition_subalgoE5EdNS0_10empty_typeEbEEZZNS1_14partition_implILS5_5ELb0ES3_mN6thrust23THRUST_200600_302600_NS6detail15normal_iteratorINSA_10device_ptrIdEEEEPS6_NSA_18transform_iteratorINSB_9not_fun_tI7is_trueIdEEESF_NSA_11use_defaultESM_EENS0_5tupleIJSF_S6_EEENSO_IJSG_SG_EEES6_PlJS6_EEE10hipError_tPvRmT3_T4_T5_T6_T7_T9_mT8_P12ihipStream_tbDpT10_ENKUlT_T0_E_clISt17integral_constantIbLb1EES1B_EEDaS16_S17_EUlS16_E_NS1_11comp_targetILNS1_3genE5ELNS1_11target_archE942ELNS1_3gpuE9ELNS1_3repE0EEENS1_30default_config_static_selectorELNS0_4arch9wavefront6targetE0EEEvT1_.has_dyn_sized_stack, 0
	.set _ZN7rocprim17ROCPRIM_400000_NS6detail17trampoline_kernelINS0_14default_configENS1_25partition_config_selectorILNS1_17partition_subalgoE5EdNS0_10empty_typeEbEEZZNS1_14partition_implILS5_5ELb0ES3_mN6thrust23THRUST_200600_302600_NS6detail15normal_iteratorINSA_10device_ptrIdEEEEPS6_NSA_18transform_iteratorINSB_9not_fun_tI7is_trueIdEEESF_NSA_11use_defaultESM_EENS0_5tupleIJSF_S6_EEENSO_IJSG_SG_EEES6_PlJS6_EEE10hipError_tPvRmT3_T4_T5_T6_T7_T9_mT8_P12ihipStream_tbDpT10_ENKUlT_T0_E_clISt17integral_constantIbLb1EES1B_EEDaS16_S17_EUlS16_E_NS1_11comp_targetILNS1_3genE5ELNS1_11target_archE942ELNS1_3gpuE9ELNS1_3repE0EEENS1_30default_config_static_selectorELNS0_4arch9wavefront6targetE0EEEvT1_.has_recursion, 0
	.set _ZN7rocprim17ROCPRIM_400000_NS6detail17trampoline_kernelINS0_14default_configENS1_25partition_config_selectorILNS1_17partition_subalgoE5EdNS0_10empty_typeEbEEZZNS1_14partition_implILS5_5ELb0ES3_mN6thrust23THRUST_200600_302600_NS6detail15normal_iteratorINSA_10device_ptrIdEEEEPS6_NSA_18transform_iteratorINSB_9not_fun_tI7is_trueIdEEESF_NSA_11use_defaultESM_EENS0_5tupleIJSF_S6_EEENSO_IJSG_SG_EEES6_PlJS6_EEE10hipError_tPvRmT3_T4_T5_T6_T7_T9_mT8_P12ihipStream_tbDpT10_ENKUlT_T0_E_clISt17integral_constantIbLb1EES1B_EEDaS16_S17_EUlS16_E_NS1_11comp_targetILNS1_3genE5ELNS1_11target_archE942ELNS1_3gpuE9ELNS1_3repE0EEENS1_30default_config_static_selectorELNS0_4arch9wavefront6targetE0EEEvT1_.has_indirect_call, 0
	.section	.AMDGPU.csdata,"",@progbits
; Kernel info:
; codeLenInByte = 0
; TotalNumSgprs: 0
; NumVgprs: 0
; ScratchSize: 0
; MemoryBound: 0
; FloatMode: 240
; IeeeMode: 1
; LDSByteSize: 0 bytes/workgroup (compile time only)
; SGPRBlocks: 0
; VGPRBlocks: 0
; NumSGPRsForWavesPerEU: 1
; NumVGPRsForWavesPerEU: 1
; Occupancy: 16
; WaveLimiterHint : 0
; COMPUTE_PGM_RSRC2:SCRATCH_EN: 0
; COMPUTE_PGM_RSRC2:USER_SGPR: 2
; COMPUTE_PGM_RSRC2:TRAP_HANDLER: 0
; COMPUTE_PGM_RSRC2:TGID_X_EN: 1
; COMPUTE_PGM_RSRC2:TGID_Y_EN: 0
; COMPUTE_PGM_RSRC2:TGID_Z_EN: 0
; COMPUTE_PGM_RSRC2:TIDIG_COMP_CNT: 0
	.section	.text._ZN7rocprim17ROCPRIM_400000_NS6detail17trampoline_kernelINS0_14default_configENS1_25partition_config_selectorILNS1_17partition_subalgoE5EdNS0_10empty_typeEbEEZZNS1_14partition_implILS5_5ELb0ES3_mN6thrust23THRUST_200600_302600_NS6detail15normal_iteratorINSA_10device_ptrIdEEEEPS6_NSA_18transform_iteratorINSB_9not_fun_tI7is_trueIdEEESF_NSA_11use_defaultESM_EENS0_5tupleIJSF_S6_EEENSO_IJSG_SG_EEES6_PlJS6_EEE10hipError_tPvRmT3_T4_T5_T6_T7_T9_mT8_P12ihipStream_tbDpT10_ENKUlT_T0_E_clISt17integral_constantIbLb1EES1B_EEDaS16_S17_EUlS16_E_NS1_11comp_targetILNS1_3genE4ELNS1_11target_archE910ELNS1_3gpuE8ELNS1_3repE0EEENS1_30default_config_static_selectorELNS0_4arch9wavefront6targetE0EEEvT1_,"axG",@progbits,_ZN7rocprim17ROCPRIM_400000_NS6detail17trampoline_kernelINS0_14default_configENS1_25partition_config_selectorILNS1_17partition_subalgoE5EdNS0_10empty_typeEbEEZZNS1_14partition_implILS5_5ELb0ES3_mN6thrust23THRUST_200600_302600_NS6detail15normal_iteratorINSA_10device_ptrIdEEEEPS6_NSA_18transform_iteratorINSB_9not_fun_tI7is_trueIdEEESF_NSA_11use_defaultESM_EENS0_5tupleIJSF_S6_EEENSO_IJSG_SG_EEES6_PlJS6_EEE10hipError_tPvRmT3_T4_T5_T6_T7_T9_mT8_P12ihipStream_tbDpT10_ENKUlT_T0_E_clISt17integral_constantIbLb1EES1B_EEDaS16_S17_EUlS16_E_NS1_11comp_targetILNS1_3genE4ELNS1_11target_archE910ELNS1_3gpuE8ELNS1_3repE0EEENS1_30default_config_static_selectorELNS0_4arch9wavefront6targetE0EEEvT1_,comdat
	.protected	_ZN7rocprim17ROCPRIM_400000_NS6detail17trampoline_kernelINS0_14default_configENS1_25partition_config_selectorILNS1_17partition_subalgoE5EdNS0_10empty_typeEbEEZZNS1_14partition_implILS5_5ELb0ES3_mN6thrust23THRUST_200600_302600_NS6detail15normal_iteratorINSA_10device_ptrIdEEEEPS6_NSA_18transform_iteratorINSB_9not_fun_tI7is_trueIdEEESF_NSA_11use_defaultESM_EENS0_5tupleIJSF_S6_EEENSO_IJSG_SG_EEES6_PlJS6_EEE10hipError_tPvRmT3_T4_T5_T6_T7_T9_mT8_P12ihipStream_tbDpT10_ENKUlT_T0_E_clISt17integral_constantIbLb1EES1B_EEDaS16_S17_EUlS16_E_NS1_11comp_targetILNS1_3genE4ELNS1_11target_archE910ELNS1_3gpuE8ELNS1_3repE0EEENS1_30default_config_static_selectorELNS0_4arch9wavefront6targetE0EEEvT1_ ; -- Begin function _ZN7rocprim17ROCPRIM_400000_NS6detail17trampoline_kernelINS0_14default_configENS1_25partition_config_selectorILNS1_17partition_subalgoE5EdNS0_10empty_typeEbEEZZNS1_14partition_implILS5_5ELb0ES3_mN6thrust23THRUST_200600_302600_NS6detail15normal_iteratorINSA_10device_ptrIdEEEEPS6_NSA_18transform_iteratorINSB_9not_fun_tI7is_trueIdEEESF_NSA_11use_defaultESM_EENS0_5tupleIJSF_S6_EEENSO_IJSG_SG_EEES6_PlJS6_EEE10hipError_tPvRmT3_T4_T5_T6_T7_T9_mT8_P12ihipStream_tbDpT10_ENKUlT_T0_E_clISt17integral_constantIbLb1EES1B_EEDaS16_S17_EUlS16_E_NS1_11comp_targetILNS1_3genE4ELNS1_11target_archE910ELNS1_3gpuE8ELNS1_3repE0EEENS1_30default_config_static_selectorELNS0_4arch9wavefront6targetE0EEEvT1_
	.globl	_ZN7rocprim17ROCPRIM_400000_NS6detail17trampoline_kernelINS0_14default_configENS1_25partition_config_selectorILNS1_17partition_subalgoE5EdNS0_10empty_typeEbEEZZNS1_14partition_implILS5_5ELb0ES3_mN6thrust23THRUST_200600_302600_NS6detail15normal_iteratorINSA_10device_ptrIdEEEEPS6_NSA_18transform_iteratorINSB_9not_fun_tI7is_trueIdEEESF_NSA_11use_defaultESM_EENS0_5tupleIJSF_S6_EEENSO_IJSG_SG_EEES6_PlJS6_EEE10hipError_tPvRmT3_T4_T5_T6_T7_T9_mT8_P12ihipStream_tbDpT10_ENKUlT_T0_E_clISt17integral_constantIbLb1EES1B_EEDaS16_S17_EUlS16_E_NS1_11comp_targetILNS1_3genE4ELNS1_11target_archE910ELNS1_3gpuE8ELNS1_3repE0EEENS1_30default_config_static_selectorELNS0_4arch9wavefront6targetE0EEEvT1_
	.p2align	8
	.type	_ZN7rocprim17ROCPRIM_400000_NS6detail17trampoline_kernelINS0_14default_configENS1_25partition_config_selectorILNS1_17partition_subalgoE5EdNS0_10empty_typeEbEEZZNS1_14partition_implILS5_5ELb0ES3_mN6thrust23THRUST_200600_302600_NS6detail15normal_iteratorINSA_10device_ptrIdEEEEPS6_NSA_18transform_iteratorINSB_9not_fun_tI7is_trueIdEEESF_NSA_11use_defaultESM_EENS0_5tupleIJSF_S6_EEENSO_IJSG_SG_EEES6_PlJS6_EEE10hipError_tPvRmT3_T4_T5_T6_T7_T9_mT8_P12ihipStream_tbDpT10_ENKUlT_T0_E_clISt17integral_constantIbLb1EES1B_EEDaS16_S17_EUlS16_E_NS1_11comp_targetILNS1_3genE4ELNS1_11target_archE910ELNS1_3gpuE8ELNS1_3repE0EEENS1_30default_config_static_selectorELNS0_4arch9wavefront6targetE0EEEvT1_,@function
_ZN7rocprim17ROCPRIM_400000_NS6detail17trampoline_kernelINS0_14default_configENS1_25partition_config_selectorILNS1_17partition_subalgoE5EdNS0_10empty_typeEbEEZZNS1_14partition_implILS5_5ELb0ES3_mN6thrust23THRUST_200600_302600_NS6detail15normal_iteratorINSA_10device_ptrIdEEEEPS6_NSA_18transform_iteratorINSB_9not_fun_tI7is_trueIdEEESF_NSA_11use_defaultESM_EENS0_5tupleIJSF_S6_EEENSO_IJSG_SG_EEES6_PlJS6_EEE10hipError_tPvRmT3_T4_T5_T6_T7_T9_mT8_P12ihipStream_tbDpT10_ENKUlT_T0_E_clISt17integral_constantIbLb1EES1B_EEDaS16_S17_EUlS16_E_NS1_11comp_targetILNS1_3genE4ELNS1_11target_archE910ELNS1_3gpuE8ELNS1_3repE0EEENS1_30default_config_static_selectorELNS0_4arch9wavefront6targetE0EEEvT1_: ; @_ZN7rocprim17ROCPRIM_400000_NS6detail17trampoline_kernelINS0_14default_configENS1_25partition_config_selectorILNS1_17partition_subalgoE5EdNS0_10empty_typeEbEEZZNS1_14partition_implILS5_5ELb0ES3_mN6thrust23THRUST_200600_302600_NS6detail15normal_iteratorINSA_10device_ptrIdEEEEPS6_NSA_18transform_iteratorINSB_9not_fun_tI7is_trueIdEEESF_NSA_11use_defaultESM_EENS0_5tupleIJSF_S6_EEENSO_IJSG_SG_EEES6_PlJS6_EEE10hipError_tPvRmT3_T4_T5_T6_T7_T9_mT8_P12ihipStream_tbDpT10_ENKUlT_T0_E_clISt17integral_constantIbLb1EES1B_EEDaS16_S17_EUlS16_E_NS1_11comp_targetILNS1_3genE4ELNS1_11target_archE910ELNS1_3gpuE8ELNS1_3repE0EEENS1_30default_config_static_selectorELNS0_4arch9wavefront6targetE0EEEvT1_
; %bb.0:
	.section	.rodata,"a",@progbits
	.p2align	6, 0x0
	.amdhsa_kernel _ZN7rocprim17ROCPRIM_400000_NS6detail17trampoline_kernelINS0_14default_configENS1_25partition_config_selectorILNS1_17partition_subalgoE5EdNS0_10empty_typeEbEEZZNS1_14partition_implILS5_5ELb0ES3_mN6thrust23THRUST_200600_302600_NS6detail15normal_iteratorINSA_10device_ptrIdEEEEPS6_NSA_18transform_iteratorINSB_9not_fun_tI7is_trueIdEEESF_NSA_11use_defaultESM_EENS0_5tupleIJSF_S6_EEENSO_IJSG_SG_EEES6_PlJS6_EEE10hipError_tPvRmT3_T4_T5_T6_T7_T9_mT8_P12ihipStream_tbDpT10_ENKUlT_T0_E_clISt17integral_constantIbLb1EES1B_EEDaS16_S17_EUlS16_E_NS1_11comp_targetILNS1_3genE4ELNS1_11target_archE910ELNS1_3gpuE8ELNS1_3repE0EEENS1_30default_config_static_selectorELNS0_4arch9wavefront6targetE0EEEvT1_
		.amdhsa_group_segment_fixed_size 0
		.amdhsa_private_segment_fixed_size 0
		.amdhsa_kernarg_size 136
		.amdhsa_user_sgpr_count 2
		.amdhsa_user_sgpr_dispatch_ptr 0
		.amdhsa_user_sgpr_queue_ptr 0
		.amdhsa_user_sgpr_kernarg_segment_ptr 1
		.amdhsa_user_sgpr_dispatch_id 0
		.amdhsa_user_sgpr_private_segment_size 0
		.amdhsa_wavefront_size32 1
		.amdhsa_uses_dynamic_stack 0
		.amdhsa_enable_private_segment 0
		.amdhsa_system_sgpr_workgroup_id_x 1
		.amdhsa_system_sgpr_workgroup_id_y 0
		.amdhsa_system_sgpr_workgroup_id_z 0
		.amdhsa_system_sgpr_workgroup_info 0
		.amdhsa_system_vgpr_workitem_id 0
		.amdhsa_next_free_vgpr 1
		.amdhsa_next_free_sgpr 1
		.amdhsa_reserve_vcc 0
		.amdhsa_float_round_mode_32 0
		.amdhsa_float_round_mode_16_64 0
		.amdhsa_float_denorm_mode_32 3
		.amdhsa_float_denorm_mode_16_64 3
		.amdhsa_fp16_overflow 0
		.amdhsa_workgroup_processor_mode 1
		.amdhsa_memory_ordered 1
		.amdhsa_forward_progress 1
		.amdhsa_inst_pref_size 0
		.amdhsa_round_robin_scheduling 0
		.amdhsa_exception_fp_ieee_invalid_op 0
		.amdhsa_exception_fp_denorm_src 0
		.amdhsa_exception_fp_ieee_div_zero 0
		.amdhsa_exception_fp_ieee_overflow 0
		.amdhsa_exception_fp_ieee_underflow 0
		.amdhsa_exception_fp_ieee_inexact 0
		.amdhsa_exception_int_div_zero 0
	.end_amdhsa_kernel
	.section	.text._ZN7rocprim17ROCPRIM_400000_NS6detail17trampoline_kernelINS0_14default_configENS1_25partition_config_selectorILNS1_17partition_subalgoE5EdNS0_10empty_typeEbEEZZNS1_14partition_implILS5_5ELb0ES3_mN6thrust23THRUST_200600_302600_NS6detail15normal_iteratorINSA_10device_ptrIdEEEEPS6_NSA_18transform_iteratorINSB_9not_fun_tI7is_trueIdEEESF_NSA_11use_defaultESM_EENS0_5tupleIJSF_S6_EEENSO_IJSG_SG_EEES6_PlJS6_EEE10hipError_tPvRmT3_T4_T5_T6_T7_T9_mT8_P12ihipStream_tbDpT10_ENKUlT_T0_E_clISt17integral_constantIbLb1EES1B_EEDaS16_S17_EUlS16_E_NS1_11comp_targetILNS1_3genE4ELNS1_11target_archE910ELNS1_3gpuE8ELNS1_3repE0EEENS1_30default_config_static_selectorELNS0_4arch9wavefront6targetE0EEEvT1_,"axG",@progbits,_ZN7rocprim17ROCPRIM_400000_NS6detail17trampoline_kernelINS0_14default_configENS1_25partition_config_selectorILNS1_17partition_subalgoE5EdNS0_10empty_typeEbEEZZNS1_14partition_implILS5_5ELb0ES3_mN6thrust23THRUST_200600_302600_NS6detail15normal_iteratorINSA_10device_ptrIdEEEEPS6_NSA_18transform_iteratorINSB_9not_fun_tI7is_trueIdEEESF_NSA_11use_defaultESM_EENS0_5tupleIJSF_S6_EEENSO_IJSG_SG_EEES6_PlJS6_EEE10hipError_tPvRmT3_T4_T5_T6_T7_T9_mT8_P12ihipStream_tbDpT10_ENKUlT_T0_E_clISt17integral_constantIbLb1EES1B_EEDaS16_S17_EUlS16_E_NS1_11comp_targetILNS1_3genE4ELNS1_11target_archE910ELNS1_3gpuE8ELNS1_3repE0EEENS1_30default_config_static_selectorELNS0_4arch9wavefront6targetE0EEEvT1_,comdat
.Lfunc_end1312:
	.size	_ZN7rocprim17ROCPRIM_400000_NS6detail17trampoline_kernelINS0_14default_configENS1_25partition_config_selectorILNS1_17partition_subalgoE5EdNS0_10empty_typeEbEEZZNS1_14partition_implILS5_5ELb0ES3_mN6thrust23THRUST_200600_302600_NS6detail15normal_iteratorINSA_10device_ptrIdEEEEPS6_NSA_18transform_iteratorINSB_9not_fun_tI7is_trueIdEEESF_NSA_11use_defaultESM_EENS0_5tupleIJSF_S6_EEENSO_IJSG_SG_EEES6_PlJS6_EEE10hipError_tPvRmT3_T4_T5_T6_T7_T9_mT8_P12ihipStream_tbDpT10_ENKUlT_T0_E_clISt17integral_constantIbLb1EES1B_EEDaS16_S17_EUlS16_E_NS1_11comp_targetILNS1_3genE4ELNS1_11target_archE910ELNS1_3gpuE8ELNS1_3repE0EEENS1_30default_config_static_selectorELNS0_4arch9wavefront6targetE0EEEvT1_, .Lfunc_end1312-_ZN7rocprim17ROCPRIM_400000_NS6detail17trampoline_kernelINS0_14default_configENS1_25partition_config_selectorILNS1_17partition_subalgoE5EdNS0_10empty_typeEbEEZZNS1_14partition_implILS5_5ELb0ES3_mN6thrust23THRUST_200600_302600_NS6detail15normal_iteratorINSA_10device_ptrIdEEEEPS6_NSA_18transform_iteratorINSB_9not_fun_tI7is_trueIdEEESF_NSA_11use_defaultESM_EENS0_5tupleIJSF_S6_EEENSO_IJSG_SG_EEES6_PlJS6_EEE10hipError_tPvRmT3_T4_T5_T6_T7_T9_mT8_P12ihipStream_tbDpT10_ENKUlT_T0_E_clISt17integral_constantIbLb1EES1B_EEDaS16_S17_EUlS16_E_NS1_11comp_targetILNS1_3genE4ELNS1_11target_archE910ELNS1_3gpuE8ELNS1_3repE0EEENS1_30default_config_static_selectorELNS0_4arch9wavefront6targetE0EEEvT1_
                                        ; -- End function
	.set _ZN7rocprim17ROCPRIM_400000_NS6detail17trampoline_kernelINS0_14default_configENS1_25partition_config_selectorILNS1_17partition_subalgoE5EdNS0_10empty_typeEbEEZZNS1_14partition_implILS5_5ELb0ES3_mN6thrust23THRUST_200600_302600_NS6detail15normal_iteratorINSA_10device_ptrIdEEEEPS6_NSA_18transform_iteratorINSB_9not_fun_tI7is_trueIdEEESF_NSA_11use_defaultESM_EENS0_5tupleIJSF_S6_EEENSO_IJSG_SG_EEES6_PlJS6_EEE10hipError_tPvRmT3_T4_T5_T6_T7_T9_mT8_P12ihipStream_tbDpT10_ENKUlT_T0_E_clISt17integral_constantIbLb1EES1B_EEDaS16_S17_EUlS16_E_NS1_11comp_targetILNS1_3genE4ELNS1_11target_archE910ELNS1_3gpuE8ELNS1_3repE0EEENS1_30default_config_static_selectorELNS0_4arch9wavefront6targetE0EEEvT1_.num_vgpr, 0
	.set _ZN7rocprim17ROCPRIM_400000_NS6detail17trampoline_kernelINS0_14default_configENS1_25partition_config_selectorILNS1_17partition_subalgoE5EdNS0_10empty_typeEbEEZZNS1_14partition_implILS5_5ELb0ES3_mN6thrust23THRUST_200600_302600_NS6detail15normal_iteratorINSA_10device_ptrIdEEEEPS6_NSA_18transform_iteratorINSB_9not_fun_tI7is_trueIdEEESF_NSA_11use_defaultESM_EENS0_5tupleIJSF_S6_EEENSO_IJSG_SG_EEES6_PlJS6_EEE10hipError_tPvRmT3_T4_T5_T6_T7_T9_mT8_P12ihipStream_tbDpT10_ENKUlT_T0_E_clISt17integral_constantIbLb1EES1B_EEDaS16_S17_EUlS16_E_NS1_11comp_targetILNS1_3genE4ELNS1_11target_archE910ELNS1_3gpuE8ELNS1_3repE0EEENS1_30default_config_static_selectorELNS0_4arch9wavefront6targetE0EEEvT1_.num_agpr, 0
	.set _ZN7rocprim17ROCPRIM_400000_NS6detail17trampoline_kernelINS0_14default_configENS1_25partition_config_selectorILNS1_17partition_subalgoE5EdNS0_10empty_typeEbEEZZNS1_14partition_implILS5_5ELb0ES3_mN6thrust23THRUST_200600_302600_NS6detail15normal_iteratorINSA_10device_ptrIdEEEEPS6_NSA_18transform_iteratorINSB_9not_fun_tI7is_trueIdEEESF_NSA_11use_defaultESM_EENS0_5tupleIJSF_S6_EEENSO_IJSG_SG_EEES6_PlJS6_EEE10hipError_tPvRmT3_T4_T5_T6_T7_T9_mT8_P12ihipStream_tbDpT10_ENKUlT_T0_E_clISt17integral_constantIbLb1EES1B_EEDaS16_S17_EUlS16_E_NS1_11comp_targetILNS1_3genE4ELNS1_11target_archE910ELNS1_3gpuE8ELNS1_3repE0EEENS1_30default_config_static_selectorELNS0_4arch9wavefront6targetE0EEEvT1_.numbered_sgpr, 0
	.set _ZN7rocprim17ROCPRIM_400000_NS6detail17trampoline_kernelINS0_14default_configENS1_25partition_config_selectorILNS1_17partition_subalgoE5EdNS0_10empty_typeEbEEZZNS1_14partition_implILS5_5ELb0ES3_mN6thrust23THRUST_200600_302600_NS6detail15normal_iteratorINSA_10device_ptrIdEEEEPS6_NSA_18transform_iteratorINSB_9not_fun_tI7is_trueIdEEESF_NSA_11use_defaultESM_EENS0_5tupleIJSF_S6_EEENSO_IJSG_SG_EEES6_PlJS6_EEE10hipError_tPvRmT3_T4_T5_T6_T7_T9_mT8_P12ihipStream_tbDpT10_ENKUlT_T0_E_clISt17integral_constantIbLb1EES1B_EEDaS16_S17_EUlS16_E_NS1_11comp_targetILNS1_3genE4ELNS1_11target_archE910ELNS1_3gpuE8ELNS1_3repE0EEENS1_30default_config_static_selectorELNS0_4arch9wavefront6targetE0EEEvT1_.num_named_barrier, 0
	.set _ZN7rocprim17ROCPRIM_400000_NS6detail17trampoline_kernelINS0_14default_configENS1_25partition_config_selectorILNS1_17partition_subalgoE5EdNS0_10empty_typeEbEEZZNS1_14partition_implILS5_5ELb0ES3_mN6thrust23THRUST_200600_302600_NS6detail15normal_iteratorINSA_10device_ptrIdEEEEPS6_NSA_18transform_iteratorINSB_9not_fun_tI7is_trueIdEEESF_NSA_11use_defaultESM_EENS0_5tupleIJSF_S6_EEENSO_IJSG_SG_EEES6_PlJS6_EEE10hipError_tPvRmT3_T4_T5_T6_T7_T9_mT8_P12ihipStream_tbDpT10_ENKUlT_T0_E_clISt17integral_constantIbLb1EES1B_EEDaS16_S17_EUlS16_E_NS1_11comp_targetILNS1_3genE4ELNS1_11target_archE910ELNS1_3gpuE8ELNS1_3repE0EEENS1_30default_config_static_selectorELNS0_4arch9wavefront6targetE0EEEvT1_.private_seg_size, 0
	.set _ZN7rocprim17ROCPRIM_400000_NS6detail17trampoline_kernelINS0_14default_configENS1_25partition_config_selectorILNS1_17partition_subalgoE5EdNS0_10empty_typeEbEEZZNS1_14partition_implILS5_5ELb0ES3_mN6thrust23THRUST_200600_302600_NS6detail15normal_iteratorINSA_10device_ptrIdEEEEPS6_NSA_18transform_iteratorINSB_9not_fun_tI7is_trueIdEEESF_NSA_11use_defaultESM_EENS0_5tupleIJSF_S6_EEENSO_IJSG_SG_EEES6_PlJS6_EEE10hipError_tPvRmT3_T4_T5_T6_T7_T9_mT8_P12ihipStream_tbDpT10_ENKUlT_T0_E_clISt17integral_constantIbLb1EES1B_EEDaS16_S17_EUlS16_E_NS1_11comp_targetILNS1_3genE4ELNS1_11target_archE910ELNS1_3gpuE8ELNS1_3repE0EEENS1_30default_config_static_selectorELNS0_4arch9wavefront6targetE0EEEvT1_.uses_vcc, 0
	.set _ZN7rocprim17ROCPRIM_400000_NS6detail17trampoline_kernelINS0_14default_configENS1_25partition_config_selectorILNS1_17partition_subalgoE5EdNS0_10empty_typeEbEEZZNS1_14partition_implILS5_5ELb0ES3_mN6thrust23THRUST_200600_302600_NS6detail15normal_iteratorINSA_10device_ptrIdEEEEPS6_NSA_18transform_iteratorINSB_9not_fun_tI7is_trueIdEEESF_NSA_11use_defaultESM_EENS0_5tupleIJSF_S6_EEENSO_IJSG_SG_EEES6_PlJS6_EEE10hipError_tPvRmT3_T4_T5_T6_T7_T9_mT8_P12ihipStream_tbDpT10_ENKUlT_T0_E_clISt17integral_constantIbLb1EES1B_EEDaS16_S17_EUlS16_E_NS1_11comp_targetILNS1_3genE4ELNS1_11target_archE910ELNS1_3gpuE8ELNS1_3repE0EEENS1_30default_config_static_selectorELNS0_4arch9wavefront6targetE0EEEvT1_.uses_flat_scratch, 0
	.set _ZN7rocprim17ROCPRIM_400000_NS6detail17trampoline_kernelINS0_14default_configENS1_25partition_config_selectorILNS1_17partition_subalgoE5EdNS0_10empty_typeEbEEZZNS1_14partition_implILS5_5ELb0ES3_mN6thrust23THRUST_200600_302600_NS6detail15normal_iteratorINSA_10device_ptrIdEEEEPS6_NSA_18transform_iteratorINSB_9not_fun_tI7is_trueIdEEESF_NSA_11use_defaultESM_EENS0_5tupleIJSF_S6_EEENSO_IJSG_SG_EEES6_PlJS6_EEE10hipError_tPvRmT3_T4_T5_T6_T7_T9_mT8_P12ihipStream_tbDpT10_ENKUlT_T0_E_clISt17integral_constantIbLb1EES1B_EEDaS16_S17_EUlS16_E_NS1_11comp_targetILNS1_3genE4ELNS1_11target_archE910ELNS1_3gpuE8ELNS1_3repE0EEENS1_30default_config_static_selectorELNS0_4arch9wavefront6targetE0EEEvT1_.has_dyn_sized_stack, 0
	.set _ZN7rocprim17ROCPRIM_400000_NS6detail17trampoline_kernelINS0_14default_configENS1_25partition_config_selectorILNS1_17partition_subalgoE5EdNS0_10empty_typeEbEEZZNS1_14partition_implILS5_5ELb0ES3_mN6thrust23THRUST_200600_302600_NS6detail15normal_iteratorINSA_10device_ptrIdEEEEPS6_NSA_18transform_iteratorINSB_9not_fun_tI7is_trueIdEEESF_NSA_11use_defaultESM_EENS0_5tupleIJSF_S6_EEENSO_IJSG_SG_EEES6_PlJS6_EEE10hipError_tPvRmT3_T4_T5_T6_T7_T9_mT8_P12ihipStream_tbDpT10_ENKUlT_T0_E_clISt17integral_constantIbLb1EES1B_EEDaS16_S17_EUlS16_E_NS1_11comp_targetILNS1_3genE4ELNS1_11target_archE910ELNS1_3gpuE8ELNS1_3repE0EEENS1_30default_config_static_selectorELNS0_4arch9wavefront6targetE0EEEvT1_.has_recursion, 0
	.set _ZN7rocprim17ROCPRIM_400000_NS6detail17trampoline_kernelINS0_14default_configENS1_25partition_config_selectorILNS1_17partition_subalgoE5EdNS0_10empty_typeEbEEZZNS1_14partition_implILS5_5ELb0ES3_mN6thrust23THRUST_200600_302600_NS6detail15normal_iteratorINSA_10device_ptrIdEEEEPS6_NSA_18transform_iteratorINSB_9not_fun_tI7is_trueIdEEESF_NSA_11use_defaultESM_EENS0_5tupleIJSF_S6_EEENSO_IJSG_SG_EEES6_PlJS6_EEE10hipError_tPvRmT3_T4_T5_T6_T7_T9_mT8_P12ihipStream_tbDpT10_ENKUlT_T0_E_clISt17integral_constantIbLb1EES1B_EEDaS16_S17_EUlS16_E_NS1_11comp_targetILNS1_3genE4ELNS1_11target_archE910ELNS1_3gpuE8ELNS1_3repE0EEENS1_30default_config_static_selectorELNS0_4arch9wavefront6targetE0EEEvT1_.has_indirect_call, 0
	.section	.AMDGPU.csdata,"",@progbits
; Kernel info:
; codeLenInByte = 0
; TotalNumSgprs: 0
; NumVgprs: 0
; ScratchSize: 0
; MemoryBound: 0
; FloatMode: 240
; IeeeMode: 1
; LDSByteSize: 0 bytes/workgroup (compile time only)
; SGPRBlocks: 0
; VGPRBlocks: 0
; NumSGPRsForWavesPerEU: 1
; NumVGPRsForWavesPerEU: 1
; Occupancy: 16
; WaveLimiterHint : 0
; COMPUTE_PGM_RSRC2:SCRATCH_EN: 0
; COMPUTE_PGM_RSRC2:USER_SGPR: 2
; COMPUTE_PGM_RSRC2:TRAP_HANDLER: 0
; COMPUTE_PGM_RSRC2:TGID_X_EN: 1
; COMPUTE_PGM_RSRC2:TGID_Y_EN: 0
; COMPUTE_PGM_RSRC2:TGID_Z_EN: 0
; COMPUTE_PGM_RSRC2:TIDIG_COMP_CNT: 0
	.section	.text._ZN7rocprim17ROCPRIM_400000_NS6detail17trampoline_kernelINS0_14default_configENS1_25partition_config_selectorILNS1_17partition_subalgoE5EdNS0_10empty_typeEbEEZZNS1_14partition_implILS5_5ELb0ES3_mN6thrust23THRUST_200600_302600_NS6detail15normal_iteratorINSA_10device_ptrIdEEEEPS6_NSA_18transform_iteratorINSB_9not_fun_tI7is_trueIdEEESF_NSA_11use_defaultESM_EENS0_5tupleIJSF_S6_EEENSO_IJSG_SG_EEES6_PlJS6_EEE10hipError_tPvRmT3_T4_T5_T6_T7_T9_mT8_P12ihipStream_tbDpT10_ENKUlT_T0_E_clISt17integral_constantIbLb1EES1B_EEDaS16_S17_EUlS16_E_NS1_11comp_targetILNS1_3genE3ELNS1_11target_archE908ELNS1_3gpuE7ELNS1_3repE0EEENS1_30default_config_static_selectorELNS0_4arch9wavefront6targetE0EEEvT1_,"axG",@progbits,_ZN7rocprim17ROCPRIM_400000_NS6detail17trampoline_kernelINS0_14default_configENS1_25partition_config_selectorILNS1_17partition_subalgoE5EdNS0_10empty_typeEbEEZZNS1_14partition_implILS5_5ELb0ES3_mN6thrust23THRUST_200600_302600_NS6detail15normal_iteratorINSA_10device_ptrIdEEEEPS6_NSA_18transform_iteratorINSB_9not_fun_tI7is_trueIdEEESF_NSA_11use_defaultESM_EENS0_5tupleIJSF_S6_EEENSO_IJSG_SG_EEES6_PlJS6_EEE10hipError_tPvRmT3_T4_T5_T6_T7_T9_mT8_P12ihipStream_tbDpT10_ENKUlT_T0_E_clISt17integral_constantIbLb1EES1B_EEDaS16_S17_EUlS16_E_NS1_11comp_targetILNS1_3genE3ELNS1_11target_archE908ELNS1_3gpuE7ELNS1_3repE0EEENS1_30default_config_static_selectorELNS0_4arch9wavefront6targetE0EEEvT1_,comdat
	.protected	_ZN7rocprim17ROCPRIM_400000_NS6detail17trampoline_kernelINS0_14default_configENS1_25partition_config_selectorILNS1_17partition_subalgoE5EdNS0_10empty_typeEbEEZZNS1_14partition_implILS5_5ELb0ES3_mN6thrust23THRUST_200600_302600_NS6detail15normal_iteratorINSA_10device_ptrIdEEEEPS6_NSA_18transform_iteratorINSB_9not_fun_tI7is_trueIdEEESF_NSA_11use_defaultESM_EENS0_5tupleIJSF_S6_EEENSO_IJSG_SG_EEES6_PlJS6_EEE10hipError_tPvRmT3_T4_T5_T6_T7_T9_mT8_P12ihipStream_tbDpT10_ENKUlT_T0_E_clISt17integral_constantIbLb1EES1B_EEDaS16_S17_EUlS16_E_NS1_11comp_targetILNS1_3genE3ELNS1_11target_archE908ELNS1_3gpuE7ELNS1_3repE0EEENS1_30default_config_static_selectorELNS0_4arch9wavefront6targetE0EEEvT1_ ; -- Begin function _ZN7rocprim17ROCPRIM_400000_NS6detail17trampoline_kernelINS0_14default_configENS1_25partition_config_selectorILNS1_17partition_subalgoE5EdNS0_10empty_typeEbEEZZNS1_14partition_implILS5_5ELb0ES3_mN6thrust23THRUST_200600_302600_NS6detail15normal_iteratorINSA_10device_ptrIdEEEEPS6_NSA_18transform_iteratorINSB_9not_fun_tI7is_trueIdEEESF_NSA_11use_defaultESM_EENS0_5tupleIJSF_S6_EEENSO_IJSG_SG_EEES6_PlJS6_EEE10hipError_tPvRmT3_T4_T5_T6_T7_T9_mT8_P12ihipStream_tbDpT10_ENKUlT_T0_E_clISt17integral_constantIbLb1EES1B_EEDaS16_S17_EUlS16_E_NS1_11comp_targetILNS1_3genE3ELNS1_11target_archE908ELNS1_3gpuE7ELNS1_3repE0EEENS1_30default_config_static_selectorELNS0_4arch9wavefront6targetE0EEEvT1_
	.globl	_ZN7rocprim17ROCPRIM_400000_NS6detail17trampoline_kernelINS0_14default_configENS1_25partition_config_selectorILNS1_17partition_subalgoE5EdNS0_10empty_typeEbEEZZNS1_14partition_implILS5_5ELb0ES3_mN6thrust23THRUST_200600_302600_NS6detail15normal_iteratorINSA_10device_ptrIdEEEEPS6_NSA_18transform_iteratorINSB_9not_fun_tI7is_trueIdEEESF_NSA_11use_defaultESM_EENS0_5tupleIJSF_S6_EEENSO_IJSG_SG_EEES6_PlJS6_EEE10hipError_tPvRmT3_T4_T5_T6_T7_T9_mT8_P12ihipStream_tbDpT10_ENKUlT_T0_E_clISt17integral_constantIbLb1EES1B_EEDaS16_S17_EUlS16_E_NS1_11comp_targetILNS1_3genE3ELNS1_11target_archE908ELNS1_3gpuE7ELNS1_3repE0EEENS1_30default_config_static_selectorELNS0_4arch9wavefront6targetE0EEEvT1_
	.p2align	8
	.type	_ZN7rocprim17ROCPRIM_400000_NS6detail17trampoline_kernelINS0_14default_configENS1_25partition_config_selectorILNS1_17partition_subalgoE5EdNS0_10empty_typeEbEEZZNS1_14partition_implILS5_5ELb0ES3_mN6thrust23THRUST_200600_302600_NS6detail15normal_iteratorINSA_10device_ptrIdEEEEPS6_NSA_18transform_iteratorINSB_9not_fun_tI7is_trueIdEEESF_NSA_11use_defaultESM_EENS0_5tupleIJSF_S6_EEENSO_IJSG_SG_EEES6_PlJS6_EEE10hipError_tPvRmT3_T4_T5_T6_T7_T9_mT8_P12ihipStream_tbDpT10_ENKUlT_T0_E_clISt17integral_constantIbLb1EES1B_EEDaS16_S17_EUlS16_E_NS1_11comp_targetILNS1_3genE3ELNS1_11target_archE908ELNS1_3gpuE7ELNS1_3repE0EEENS1_30default_config_static_selectorELNS0_4arch9wavefront6targetE0EEEvT1_,@function
_ZN7rocprim17ROCPRIM_400000_NS6detail17trampoline_kernelINS0_14default_configENS1_25partition_config_selectorILNS1_17partition_subalgoE5EdNS0_10empty_typeEbEEZZNS1_14partition_implILS5_5ELb0ES3_mN6thrust23THRUST_200600_302600_NS6detail15normal_iteratorINSA_10device_ptrIdEEEEPS6_NSA_18transform_iteratorINSB_9not_fun_tI7is_trueIdEEESF_NSA_11use_defaultESM_EENS0_5tupleIJSF_S6_EEENSO_IJSG_SG_EEES6_PlJS6_EEE10hipError_tPvRmT3_T4_T5_T6_T7_T9_mT8_P12ihipStream_tbDpT10_ENKUlT_T0_E_clISt17integral_constantIbLb1EES1B_EEDaS16_S17_EUlS16_E_NS1_11comp_targetILNS1_3genE3ELNS1_11target_archE908ELNS1_3gpuE7ELNS1_3repE0EEENS1_30default_config_static_selectorELNS0_4arch9wavefront6targetE0EEEvT1_: ; @_ZN7rocprim17ROCPRIM_400000_NS6detail17trampoline_kernelINS0_14default_configENS1_25partition_config_selectorILNS1_17partition_subalgoE5EdNS0_10empty_typeEbEEZZNS1_14partition_implILS5_5ELb0ES3_mN6thrust23THRUST_200600_302600_NS6detail15normal_iteratorINSA_10device_ptrIdEEEEPS6_NSA_18transform_iteratorINSB_9not_fun_tI7is_trueIdEEESF_NSA_11use_defaultESM_EENS0_5tupleIJSF_S6_EEENSO_IJSG_SG_EEES6_PlJS6_EEE10hipError_tPvRmT3_T4_T5_T6_T7_T9_mT8_P12ihipStream_tbDpT10_ENKUlT_T0_E_clISt17integral_constantIbLb1EES1B_EEDaS16_S17_EUlS16_E_NS1_11comp_targetILNS1_3genE3ELNS1_11target_archE908ELNS1_3gpuE7ELNS1_3repE0EEENS1_30default_config_static_selectorELNS0_4arch9wavefront6targetE0EEEvT1_
; %bb.0:
	.section	.rodata,"a",@progbits
	.p2align	6, 0x0
	.amdhsa_kernel _ZN7rocprim17ROCPRIM_400000_NS6detail17trampoline_kernelINS0_14default_configENS1_25partition_config_selectorILNS1_17partition_subalgoE5EdNS0_10empty_typeEbEEZZNS1_14partition_implILS5_5ELb0ES3_mN6thrust23THRUST_200600_302600_NS6detail15normal_iteratorINSA_10device_ptrIdEEEEPS6_NSA_18transform_iteratorINSB_9not_fun_tI7is_trueIdEEESF_NSA_11use_defaultESM_EENS0_5tupleIJSF_S6_EEENSO_IJSG_SG_EEES6_PlJS6_EEE10hipError_tPvRmT3_T4_T5_T6_T7_T9_mT8_P12ihipStream_tbDpT10_ENKUlT_T0_E_clISt17integral_constantIbLb1EES1B_EEDaS16_S17_EUlS16_E_NS1_11comp_targetILNS1_3genE3ELNS1_11target_archE908ELNS1_3gpuE7ELNS1_3repE0EEENS1_30default_config_static_selectorELNS0_4arch9wavefront6targetE0EEEvT1_
		.amdhsa_group_segment_fixed_size 0
		.amdhsa_private_segment_fixed_size 0
		.amdhsa_kernarg_size 136
		.amdhsa_user_sgpr_count 2
		.amdhsa_user_sgpr_dispatch_ptr 0
		.amdhsa_user_sgpr_queue_ptr 0
		.amdhsa_user_sgpr_kernarg_segment_ptr 1
		.amdhsa_user_sgpr_dispatch_id 0
		.amdhsa_user_sgpr_private_segment_size 0
		.amdhsa_wavefront_size32 1
		.amdhsa_uses_dynamic_stack 0
		.amdhsa_enable_private_segment 0
		.amdhsa_system_sgpr_workgroup_id_x 1
		.amdhsa_system_sgpr_workgroup_id_y 0
		.amdhsa_system_sgpr_workgroup_id_z 0
		.amdhsa_system_sgpr_workgroup_info 0
		.amdhsa_system_vgpr_workitem_id 0
		.amdhsa_next_free_vgpr 1
		.amdhsa_next_free_sgpr 1
		.amdhsa_reserve_vcc 0
		.amdhsa_float_round_mode_32 0
		.amdhsa_float_round_mode_16_64 0
		.amdhsa_float_denorm_mode_32 3
		.amdhsa_float_denorm_mode_16_64 3
		.amdhsa_fp16_overflow 0
		.amdhsa_workgroup_processor_mode 1
		.amdhsa_memory_ordered 1
		.amdhsa_forward_progress 1
		.amdhsa_inst_pref_size 0
		.amdhsa_round_robin_scheduling 0
		.amdhsa_exception_fp_ieee_invalid_op 0
		.amdhsa_exception_fp_denorm_src 0
		.amdhsa_exception_fp_ieee_div_zero 0
		.amdhsa_exception_fp_ieee_overflow 0
		.amdhsa_exception_fp_ieee_underflow 0
		.amdhsa_exception_fp_ieee_inexact 0
		.amdhsa_exception_int_div_zero 0
	.end_amdhsa_kernel
	.section	.text._ZN7rocprim17ROCPRIM_400000_NS6detail17trampoline_kernelINS0_14default_configENS1_25partition_config_selectorILNS1_17partition_subalgoE5EdNS0_10empty_typeEbEEZZNS1_14partition_implILS5_5ELb0ES3_mN6thrust23THRUST_200600_302600_NS6detail15normal_iteratorINSA_10device_ptrIdEEEEPS6_NSA_18transform_iteratorINSB_9not_fun_tI7is_trueIdEEESF_NSA_11use_defaultESM_EENS0_5tupleIJSF_S6_EEENSO_IJSG_SG_EEES6_PlJS6_EEE10hipError_tPvRmT3_T4_T5_T6_T7_T9_mT8_P12ihipStream_tbDpT10_ENKUlT_T0_E_clISt17integral_constantIbLb1EES1B_EEDaS16_S17_EUlS16_E_NS1_11comp_targetILNS1_3genE3ELNS1_11target_archE908ELNS1_3gpuE7ELNS1_3repE0EEENS1_30default_config_static_selectorELNS0_4arch9wavefront6targetE0EEEvT1_,"axG",@progbits,_ZN7rocprim17ROCPRIM_400000_NS6detail17trampoline_kernelINS0_14default_configENS1_25partition_config_selectorILNS1_17partition_subalgoE5EdNS0_10empty_typeEbEEZZNS1_14partition_implILS5_5ELb0ES3_mN6thrust23THRUST_200600_302600_NS6detail15normal_iteratorINSA_10device_ptrIdEEEEPS6_NSA_18transform_iteratorINSB_9not_fun_tI7is_trueIdEEESF_NSA_11use_defaultESM_EENS0_5tupleIJSF_S6_EEENSO_IJSG_SG_EEES6_PlJS6_EEE10hipError_tPvRmT3_T4_T5_T6_T7_T9_mT8_P12ihipStream_tbDpT10_ENKUlT_T0_E_clISt17integral_constantIbLb1EES1B_EEDaS16_S17_EUlS16_E_NS1_11comp_targetILNS1_3genE3ELNS1_11target_archE908ELNS1_3gpuE7ELNS1_3repE0EEENS1_30default_config_static_selectorELNS0_4arch9wavefront6targetE0EEEvT1_,comdat
.Lfunc_end1313:
	.size	_ZN7rocprim17ROCPRIM_400000_NS6detail17trampoline_kernelINS0_14default_configENS1_25partition_config_selectorILNS1_17partition_subalgoE5EdNS0_10empty_typeEbEEZZNS1_14partition_implILS5_5ELb0ES3_mN6thrust23THRUST_200600_302600_NS6detail15normal_iteratorINSA_10device_ptrIdEEEEPS6_NSA_18transform_iteratorINSB_9not_fun_tI7is_trueIdEEESF_NSA_11use_defaultESM_EENS0_5tupleIJSF_S6_EEENSO_IJSG_SG_EEES6_PlJS6_EEE10hipError_tPvRmT3_T4_T5_T6_T7_T9_mT8_P12ihipStream_tbDpT10_ENKUlT_T0_E_clISt17integral_constantIbLb1EES1B_EEDaS16_S17_EUlS16_E_NS1_11comp_targetILNS1_3genE3ELNS1_11target_archE908ELNS1_3gpuE7ELNS1_3repE0EEENS1_30default_config_static_selectorELNS0_4arch9wavefront6targetE0EEEvT1_, .Lfunc_end1313-_ZN7rocprim17ROCPRIM_400000_NS6detail17trampoline_kernelINS0_14default_configENS1_25partition_config_selectorILNS1_17partition_subalgoE5EdNS0_10empty_typeEbEEZZNS1_14partition_implILS5_5ELb0ES3_mN6thrust23THRUST_200600_302600_NS6detail15normal_iteratorINSA_10device_ptrIdEEEEPS6_NSA_18transform_iteratorINSB_9not_fun_tI7is_trueIdEEESF_NSA_11use_defaultESM_EENS0_5tupleIJSF_S6_EEENSO_IJSG_SG_EEES6_PlJS6_EEE10hipError_tPvRmT3_T4_T5_T6_T7_T9_mT8_P12ihipStream_tbDpT10_ENKUlT_T0_E_clISt17integral_constantIbLb1EES1B_EEDaS16_S17_EUlS16_E_NS1_11comp_targetILNS1_3genE3ELNS1_11target_archE908ELNS1_3gpuE7ELNS1_3repE0EEENS1_30default_config_static_selectorELNS0_4arch9wavefront6targetE0EEEvT1_
                                        ; -- End function
	.set _ZN7rocprim17ROCPRIM_400000_NS6detail17trampoline_kernelINS0_14default_configENS1_25partition_config_selectorILNS1_17partition_subalgoE5EdNS0_10empty_typeEbEEZZNS1_14partition_implILS5_5ELb0ES3_mN6thrust23THRUST_200600_302600_NS6detail15normal_iteratorINSA_10device_ptrIdEEEEPS6_NSA_18transform_iteratorINSB_9not_fun_tI7is_trueIdEEESF_NSA_11use_defaultESM_EENS0_5tupleIJSF_S6_EEENSO_IJSG_SG_EEES6_PlJS6_EEE10hipError_tPvRmT3_T4_T5_T6_T7_T9_mT8_P12ihipStream_tbDpT10_ENKUlT_T0_E_clISt17integral_constantIbLb1EES1B_EEDaS16_S17_EUlS16_E_NS1_11comp_targetILNS1_3genE3ELNS1_11target_archE908ELNS1_3gpuE7ELNS1_3repE0EEENS1_30default_config_static_selectorELNS0_4arch9wavefront6targetE0EEEvT1_.num_vgpr, 0
	.set _ZN7rocprim17ROCPRIM_400000_NS6detail17trampoline_kernelINS0_14default_configENS1_25partition_config_selectorILNS1_17partition_subalgoE5EdNS0_10empty_typeEbEEZZNS1_14partition_implILS5_5ELb0ES3_mN6thrust23THRUST_200600_302600_NS6detail15normal_iteratorINSA_10device_ptrIdEEEEPS6_NSA_18transform_iteratorINSB_9not_fun_tI7is_trueIdEEESF_NSA_11use_defaultESM_EENS0_5tupleIJSF_S6_EEENSO_IJSG_SG_EEES6_PlJS6_EEE10hipError_tPvRmT3_T4_T5_T6_T7_T9_mT8_P12ihipStream_tbDpT10_ENKUlT_T0_E_clISt17integral_constantIbLb1EES1B_EEDaS16_S17_EUlS16_E_NS1_11comp_targetILNS1_3genE3ELNS1_11target_archE908ELNS1_3gpuE7ELNS1_3repE0EEENS1_30default_config_static_selectorELNS0_4arch9wavefront6targetE0EEEvT1_.num_agpr, 0
	.set _ZN7rocprim17ROCPRIM_400000_NS6detail17trampoline_kernelINS0_14default_configENS1_25partition_config_selectorILNS1_17partition_subalgoE5EdNS0_10empty_typeEbEEZZNS1_14partition_implILS5_5ELb0ES3_mN6thrust23THRUST_200600_302600_NS6detail15normal_iteratorINSA_10device_ptrIdEEEEPS6_NSA_18transform_iteratorINSB_9not_fun_tI7is_trueIdEEESF_NSA_11use_defaultESM_EENS0_5tupleIJSF_S6_EEENSO_IJSG_SG_EEES6_PlJS6_EEE10hipError_tPvRmT3_T4_T5_T6_T7_T9_mT8_P12ihipStream_tbDpT10_ENKUlT_T0_E_clISt17integral_constantIbLb1EES1B_EEDaS16_S17_EUlS16_E_NS1_11comp_targetILNS1_3genE3ELNS1_11target_archE908ELNS1_3gpuE7ELNS1_3repE0EEENS1_30default_config_static_selectorELNS0_4arch9wavefront6targetE0EEEvT1_.numbered_sgpr, 0
	.set _ZN7rocprim17ROCPRIM_400000_NS6detail17trampoline_kernelINS0_14default_configENS1_25partition_config_selectorILNS1_17partition_subalgoE5EdNS0_10empty_typeEbEEZZNS1_14partition_implILS5_5ELb0ES3_mN6thrust23THRUST_200600_302600_NS6detail15normal_iteratorINSA_10device_ptrIdEEEEPS6_NSA_18transform_iteratorINSB_9not_fun_tI7is_trueIdEEESF_NSA_11use_defaultESM_EENS0_5tupleIJSF_S6_EEENSO_IJSG_SG_EEES6_PlJS6_EEE10hipError_tPvRmT3_T4_T5_T6_T7_T9_mT8_P12ihipStream_tbDpT10_ENKUlT_T0_E_clISt17integral_constantIbLb1EES1B_EEDaS16_S17_EUlS16_E_NS1_11comp_targetILNS1_3genE3ELNS1_11target_archE908ELNS1_3gpuE7ELNS1_3repE0EEENS1_30default_config_static_selectorELNS0_4arch9wavefront6targetE0EEEvT1_.num_named_barrier, 0
	.set _ZN7rocprim17ROCPRIM_400000_NS6detail17trampoline_kernelINS0_14default_configENS1_25partition_config_selectorILNS1_17partition_subalgoE5EdNS0_10empty_typeEbEEZZNS1_14partition_implILS5_5ELb0ES3_mN6thrust23THRUST_200600_302600_NS6detail15normal_iteratorINSA_10device_ptrIdEEEEPS6_NSA_18transform_iteratorINSB_9not_fun_tI7is_trueIdEEESF_NSA_11use_defaultESM_EENS0_5tupleIJSF_S6_EEENSO_IJSG_SG_EEES6_PlJS6_EEE10hipError_tPvRmT3_T4_T5_T6_T7_T9_mT8_P12ihipStream_tbDpT10_ENKUlT_T0_E_clISt17integral_constantIbLb1EES1B_EEDaS16_S17_EUlS16_E_NS1_11comp_targetILNS1_3genE3ELNS1_11target_archE908ELNS1_3gpuE7ELNS1_3repE0EEENS1_30default_config_static_selectorELNS0_4arch9wavefront6targetE0EEEvT1_.private_seg_size, 0
	.set _ZN7rocprim17ROCPRIM_400000_NS6detail17trampoline_kernelINS0_14default_configENS1_25partition_config_selectorILNS1_17partition_subalgoE5EdNS0_10empty_typeEbEEZZNS1_14partition_implILS5_5ELb0ES3_mN6thrust23THRUST_200600_302600_NS6detail15normal_iteratorINSA_10device_ptrIdEEEEPS6_NSA_18transform_iteratorINSB_9not_fun_tI7is_trueIdEEESF_NSA_11use_defaultESM_EENS0_5tupleIJSF_S6_EEENSO_IJSG_SG_EEES6_PlJS6_EEE10hipError_tPvRmT3_T4_T5_T6_T7_T9_mT8_P12ihipStream_tbDpT10_ENKUlT_T0_E_clISt17integral_constantIbLb1EES1B_EEDaS16_S17_EUlS16_E_NS1_11comp_targetILNS1_3genE3ELNS1_11target_archE908ELNS1_3gpuE7ELNS1_3repE0EEENS1_30default_config_static_selectorELNS0_4arch9wavefront6targetE0EEEvT1_.uses_vcc, 0
	.set _ZN7rocprim17ROCPRIM_400000_NS6detail17trampoline_kernelINS0_14default_configENS1_25partition_config_selectorILNS1_17partition_subalgoE5EdNS0_10empty_typeEbEEZZNS1_14partition_implILS5_5ELb0ES3_mN6thrust23THRUST_200600_302600_NS6detail15normal_iteratorINSA_10device_ptrIdEEEEPS6_NSA_18transform_iteratorINSB_9not_fun_tI7is_trueIdEEESF_NSA_11use_defaultESM_EENS0_5tupleIJSF_S6_EEENSO_IJSG_SG_EEES6_PlJS6_EEE10hipError_tPvRmT3_T4_T5_T6_T7_T9_mT8_P12ihipStream_tbDpT10_ENKUlT_T0_E_clISt17integral_constantIbLb1EES1B_EEDaS16_S17_EUlS16_E_NS1_11comp_targetILNS1_3genE3ELNS1_11target_archE908ELNS1_3gpuE7ELNS1_3repE0EEENS1_30default_config_static_selectorELNS0_4arch9wavefront6targetE0EEEvT1_.uses_flat_scratch, 0
	.set _ZN7rocprim17ROCPRIM_400000_NS6detail17trampoline_kernelINS0_14default_configENS1_25partition_config_selectorILNS1_17partition_subalgoE5EdNS0_10empty_typeEbEEZZNS1_14partition_implILS5_5ELb0ES3_mN6thrust23THRUST_200600_302600_NS6detail15normal_iteratorINSA_10device_ptrIdEEEEPS6_NSA_18transform_iteratorINSB_9not_fun_tI7is_trueIdEEESF_NSA_11use_defaultESM_EENS0_5tupleIJSF_S6_EEENSO_IJSG_SG_EEES6_PlJS6_EEE10hipError_tPvRmT3_T4_T5_T6_T7_T9_mT8_P12ihipStream_tbDpT10_ENKUlT_T0_E_clISt17integral_constantIbLb1EES1B_EEDaS16_S17_EUlS16_E_NS1_11comp_targetILNS1_3genE3ELNS1_11target_archE908ELNS1_3gpuE7ELNS1_3repE0EEENS1_30default_config_static_selectorELNS0_4arch9wavefront6targetE0EEEvT1_.has_dyn_sized_stack, 0
	.set _ZN7rocprim17ROCPRIM_400000_NS6detail17trampoline_kernelINS0_14default_configENS1_25partition_config_selectorILNS1_17partition_subalgoE5EdNS0_10empty_typeEbEEZZNS1_14partition_implILS5_5ELb0ES3_mN6thrust23THRUST_200600_302600_NS6detail15normal_iteratorINSA_10device_ptrIdEEEEPS6_NSA_18transform_iteratorINSB_9not_fun_tI7is_trueIdEEESF_NSA_11use_defaultESM_EENS0_5tupleIJSF_S6_EEENSO_IJSG_SG_EEES6_PlJS6_EEE10hipError_tPvRmT3_T4_T5_T6_T7_T9_mT8_P12ihipStream_tbDpT10_ENKUlT_T0_E_clISt17integral_constantIbLb1EES1B_EEDaS16_S17_EUlS16_E_NS1_11comp_targetILNS1_3genE3ELNS1_11target_archE908ELNS1_3gpuE7ELNS1_3repE0EEENS1_30default_config_static_selectorELNS0_4arch9wavefront6targetE0EEEvT1_.has_recursion, 0
	.set _ZN7rocprim17ROCPRIM_400000_NS6detail17trampoline_kernelINS0_14default_configENS1_25partition_config_selectorILNS1_17partition_subalgoE5EdNS0_10empty_typeEbEEZZNS1_14partition_implILS5_5ELb0ES3_mN6thrust23THRUST_200600_302600_NS6detail15normal_iteratorINSA_10device_ptrIdEEEEPS6_NSA_18transform_iteratorINSB_9not_fun_tI7is_trueIdEEESF_NSA_11use_defaultESM_EENS0_5tupleIJSF_S6_EEENSO_IJSG_SG_EEES6_PlJS6_EEE10hipError_tPvRmT3_T4_T5_T6_T7_T9_mT8_P12ihipStream_tbDpT10_ENKUlT_T0_E_clISt17integral_constantIbLb1EES1B_EEDaS16_S17_EUlS16_E_NS1_11comp_targetILNS1_3genE3ELNS1_11target_archE908ELNS1_3gpuE7ELNS1_3repE0EEENS1_30default_config_static_selectorELNS0_4arch9wavefront6targetE0EEEvT1_.has_indirect_call, 0
	.section	.AMDGPU.csdata,"",@progbits
; Kernel info:
; codeLenInByte = 0
; TotalNumSgprs: 0
; NumVgprs: 0
; ScratchSize: 0
; MemoryBound: 0
; FloatMode: 240
; IeeeMode: 1
; LDSByteSize: 0 bytes/workgroup (compile time only)
; SGPRBlocks: 0
; VGPRBlocks: 0
; NumSGPRsForWavesPerEU: 1
; NumVGPRsForWavesPerEU: 1
; Occupancy: 16
; WaveLimiterHint : 0
; COMPUTE_PGM_RSRC2:SCRATCH_EN: 0
; COMPUTE_PGM_RSRC2:USER_SGPR: 2
; COMPUTE_PGM_RSRC2:TRAP_HANDLER: 0
; COMPUTE_PGM_RSRC2:TGID_X_EN: 1
; COMPUTE_PGM_RSRC2:TGID_Y_EN: 0
; COMPUTE_PGM_RSRC2:TGID_Z_EN: 0
; COMPUTE_PGM_RSRC2:TIDIG_COMP_CNT: 0
	.section	.text._ZN7rocprim17ROCPRIM_400000_NS6detail17trampoline_kernelINS0_14default_configENS1_25partition_config_selectorILNS1_17partition_subalgoE5EdNS0_10empty_typeEbEEZZNS1_14partition_implILS5_5ELb0ES3_mN6thrust23THRUST_200600_302600_NS6detail15normal_iteratorINSA_10device_ptrIdEEEEPS6_NSA_18transform_iteratorINSB_9not_fun_tI7is_trueIdEEESF_NSA_11use_defaultESM_EENS0_5tupleIJSF_S6_EEENSO_IJSG_SG_EEES6_PlJS6_EEE10hipError_tPvRmT3_T4_T5_T6_T7_T9_mT8_P12ihipStream_tbDpT10_ENKUlT_T0_E_clISt17integral_constantIbLb1EES1B_EEDaS16_S17_EUlS16_E_NS1_11comp_targetILNS1_3genE2ELNS1_11target_archE906ELNS1_3gpuE6ELNS1_3repE0EEENS1_30default_config_static_selectorELNS0_4arch9wavefront6targetE0EEEvT1_,"axG",@progbits,_ZN7rocprim17ROCPRIM_400000_NS6detail17trampoline_kernelINS0_14default_configENS1_25partition_config_selectorILNS1_17partition_subalgoE5EdNS0_10empty_typeEbEEZZNS1_14partition_implILS5_5ELb0ES3_mN6thrust23THRUST_200600_302600_NS6detail15normal_iteratorINSA_10device_ptrIdEEEEPS6_NSA_18transform_iteratorINSB_9not_fun_tI7is_trueIdEEESF_NSA_11use_defaultESM_EENS0_5tupleIJSF_S6_EEENSO_IJSG_SG_EEES6_PlJS6_EEE10hipError_tPvRmT3_T4_T5_T6_T7_T9_mT8_P12ihipStream_tbDpT10_ENKUlT_T0_E_clISt17integral_constantIbLb1EES1B_EEDaS16_S17_EUlS16_E_NS1_11comp_targetILNS1_3genE2ELNS1_11target_archE906ELNS1_3gpuE6ELNS1_3repE0EEENS1_30default_config_static_selectorELNS0_4arch9wavefront6targetE0EEEvT1_,comdat
	.protected	_ZN7rocprim17ROCPRIM_400000_NS6detail17trampoline_kernelINS0_14default_configENS1_25partition_config_selectorILNS1_17partition_subalgoE5EdNS0_10empty_typeEbEEZZNS1_14partition_implILS5_5ELb0ES3_mN6thrust23THRUST_200600_302600_NS6detail15normal_iteratorINSA_10device_ptrIdEEEEPS6_NSA_18transform_iteratorINSB_9not_fun_tI7is_trueIdEEESF_NSA_11use_defaultESM_EENS0_5tupleIJSF_S6_EEENSO_IJSG_SG_EEES6_PlJS6_EEE10hipError_tPvRmT3_T4_T5_T6_T7_T9_mT8_P12ihipStream_tbDpT10_ENKUlT_T0_E_clISt17integral_constantIbLb1EES1B_EEDaS16_S17_EUlS16_E_NS1_11comp_targetILNS1_3genE2ELNS1_11target_archE906ELNS1_3gpuE6ELNS1_3repE0EEENS1_30default_config_static_selectorELNS0_4arch9wavefront6targetE0EEEvT1_ ; -- Begin function _ZN7rocprim17ROCPRIM_400000_NS6detail17trampoline_kernelINS0_14default_configENS1_25partition_config_selectorILNS1_17partition_subalgoE5EdNS0_10empty_typeEbEEZZNS1_14partition_implILS5_5ELb0ES3_mN6thrust23THRUST_200600_302600_NS6detail15normal_iteratorINSA_10device_ptrIdEEEEPS6_NSA_18transform_iteratorINSB_9not_fun_tI7is_trueIdEEESF_NSA_11use_defaultESM_EENS0_5tupleIJSF_S6_EEENSO_IJSG_SG_EEES6_PlJS6_EEE10hipError_tPvRmT3_T4_T5_T6_T7_T9_mT8_P12ihipStream_tbDpT10_ENKUlT_T0_E_clISt17integral_constantIbLb1EES1B_EEDaS16_S17_EUlS16_E_NS1_11comp_targetILNS1_3genE2ELNS1_11target_archE906ELNS1_3gpuE6ELNS1_3repE0EEENS1_30default_config_static_selectorELNS0_4arch9wavefront6targetE0EEEvT1_
	.globl	_ZN7rocprim17ROCPRIM_400000_NS6detail17trampoline_kernelINS0_14default_configENS1_25partition_config_selectorILNS1_17partition_subalgoE5EdNS0_10empty_typeEbEEZZNS1_14partition_implILS5_5ELb0ES3_mN6thrust23THRUST_200600_302600_NS6detail15normal_iteratorINSA_10device_ptrIdEEEEPS6_NSA_18transform_iteratorINSB_9not_fun_tI7is_trueIdEEESF_NSA_11use_defaultESM_EENS0_5tupleIJSF_S6_EEENSO_IJSG_SG_EEES6_PlJS6_EEE10hipError_tPvRmT3_T4_T5_T6_T7_T9_mT8_P12ihipStream_tbDpT10_ENKUlT_T0_E_clISt17integral_constantIbLb1EES1B_EEDaS16_S17_EUlS16_E_NS1_11comp_targetILNS1_3genE2ELNS1_11target_archE906ELNS1_3gpuE6ELNS1_3repE0EEENS1_30default_config_static_selectorELNS0_4arch9wavefront6targetE0EEEvT1_
	.p2align	8
	.type	_ZN7rocprim17ROCPRIM_400000_NS6detail17trampoline_kernelINS0_14default_configENS1_25partition_config_selectorILNS1_17partition_subalgoE5EdNS0_10empty_typeEbEEZZNS1_14partition_implILS5_5ELb0ES3_mN6thrust23THRUST_200600_302600_NS6detail15normal_iteratorINSA_10device_ptrIdEEEEPS6_NSA_18transform_iteratorINSB_9not_fun_tI7is_trueIdEEESF_NSA_11use_defaultESM_EENS0_5tupleIJSF_S6_EEENSO_IJSG_SG_EEES6_PlJS6_EEE10hipError_tPvRmT3_T4_T5_T6_T7_T9_mT8_P12ihipStream_tbDpT10_ENKUlT_T0_E_clISt17integral_constantIbLb1EES1B_EEDaS16_S17_EUlS16_E_NS1_11comp_targetILNS1_3genE2ELNS1_11target_archE906ELNS1_3gpuE6ELNS1_3repE0EEENS1_30default_config_static_selectorELNS0_4arch9wavefront6targetE0EEEvT1_,@function
_ZN7rocprim17ROCPRIM_400000_NS6detail17trampoline_kernelINS0_14default_configENS1_25partition_config_selectorILNS1_17partition_subalgoE5EdNS0_10empty_typeEbEEZZNS1_14partition_implILS5_5ELb0ES3_mN6thrust23THRUST_200600_302600_NS6detail15normal_iteratorINSA_10device_ptrIdEEEEPS6_NSA_18transform_iteratorINSB_9not_fun_tI7is_trueIdEEESF_NSA_11use_defaultESM_EENS0_5tupleIJSF_S6_EEENSO_IJSG_SG_EEES6_PlJS6_EEE10hipError_tPvRmT3_T4_T5_T6_T7_T9_mT8_P12ihipStream_tbDpT10_ENKUlT_T0_E_clISt17integral_constantIbLb1EES1B_EEDaS16_S17_EUlS16_E_NS1_11comp_targetILNS1_3genE2ELNS1_11target_archE906ELNS1_3gpuE6ELNS1_3repE0EEENS1_30default_config_static_selectorELNS0_4arch9wavefront6targetE0EEEvT1_: ; @_ZN7rocprim17ROCPRIM_400000_NS6detail17trampoline_kernelINS0_14default_configENS1_25partition_config_selectorILNS1_17partition_subalgoE5EdNS0_10empty_typeEbEEZZNS1_14partition_implILS5_5ELb0ES3_mN6thrust23THRUST_200600_302600_NS6detail15normal_iteratorINSA_10device_ptrIdEEEEPS6_NSA_18transform_iteratorINSB_9not_fun_tI7is_trueIdEEESF_NSA_11use_defaultESM_EENS0_5tupleIJSF_S6_EEENSO_IJSG_SG_EEES6_PlJS6_EEE10hipError_tPvRmT3_T4_T5_T6_T7_T9_mT8_P12ihipStream_tbDpT10_ENKUlT_T0_E_clISt17integral_constantIbLb1EES1B_EEDaS16_S17_EUlS16_E_NS1_11comp_targetILNS1_3genE2ELNS1_11target_archE906ELNS1_3gpuE6ELNS1_3repE0EEENS1_30default_config_static_selectorELNS0_4arch9wavefront6targetE0EEEvT1_
; %bb.0:
	.section	.rodata,"a",@progbits
	.p2align	6, 0x0
	.amdhsa_kernel _ZN7rocprim17ROCPRIM_400000_NS6detail17trampoline_kernelINS0_14default_configENS1_25partition_config_selectorILNS1_17partition_subalgoE5EdNS0_10empty_typeEbEEZZNS1_14partition_implILS5_5ELb0ES3_mN6thrust23THRUST_200600_302600_NS6detail15normal_iteratorINSA_10device_ptrIdEEEEPS6_NSA_18transform_iteratorINSB_9not_fun_tI7is_trueIdEEESF_NSA_11use_defaultESM_EENS0_5tupleIJSF_S6_EEENSO_IJSG_SG_EEES6_PlJS6_EEE10hipError_tPvRmT3_T4_T5_T6_T7_T9_mT8_P12ihipStream_tbDpT10_ENKUlT_T0_E_clISt17integral_constantIbLb1EES1B_EEDaS16_S17_EUlS16_E_NS1_11comp_targetILNS1_3genE2ELNS1_11target_archE906ELNS1_3gpuE6ELNS1_3repE0EEENS1_30default_config_static_selectorELNS0_4arch9wavefront6targetE0EEEvT1_
		.amdhsa_group_segment_fixed_size 0
		.amdhsa_private_segment_fixed_size 0
		.amdhsa_kernarg_size 136
		.amdhsa_user_sgpr_count 2
		.amdhsa_user_sgpr_dispatch_ptr 0
		.amdhsa_user_sgpr_queue_ptr 0
		.amdhsa_user_sgpr_kernarg_segment_ptr 1
		.amdhsa_user_sgpr_dispatch_id 0
		.amdhsa_user_sgpr_private_segment_size 0
		.amdhsa_wavefront_size32 1
		.amdhsa_uses_dynamic_stack 0
		.amdhsa_enable_private_segment 0
		.amdhsa_system_sgpr_workgroup_id_x 1
		.amdhsa_system_sgpr_workgroup_id_y 0
		.amdhsa_system_sgpr_workgroup_id_z 0
		.amdhsa_system_sgpr_workgroup_info 0
		.amdhsa_system_vgpr_workitem_id 0
		.amdhsa_next_free_vgpr 1
		.amdhsa_next_free_sgpr 1
		.amdhsa_reserve_vcc 0
		.amdhsa_float_round_mode_32 0
		.amdhsa_float_round_mode_16_64 0
		.amdhsa_float_denorm_mode_32 3
		.amdhsa_float_denorm_mode_16_64 3
		.amdhsa_fp16_overflow 0
		.amdhsa_workgroup_processor_mode 1
		.amdhsa_memory_ordered 1
		.amdhsa_forward_progress 1
		.amdhsa_inst_pref_size 0
		.amdhsa_round_robin_scheduling 0
		.amdhsa_exception_fp_ieee_invalid_op 0
		.amdhsa_exception_fp_denorm_src 0
		.amdhsa_exception_fp_ieee_div_zero 0
		.amdhsa_exception_fp_ieee_overflow 0
		.amdhsa_exception_fp_ieee_underflow 0
		.amdhsa_exception_fp_ieee_inexact 0
		.amdhsa_exception_int_div_zero 0
	.end_amdhsa_kernel
	.section	.text._ZN7rocprim17ROCPRIM_400000_NS6detail17trampoline_kernelINS0_14default_configENS1_25partition_config_selectorILNS1_17partition_subalgoE5EdNS0_10empty_typeEbEEZZNS1_14partition_implILS5_5ELb0ES3_mN6thrust23THRUST_200600_302600_NS6detail15normal_iteratorINSA_10device_ptrIdEEEEPS6_NSA_18transform_iteratorINSB_9not_fun_tI7is_trueIdEEESF_NSA_11use_defaultESM_EENS0_5tupleIJSF_S6_EEENSO_IJSG_SG_EEES6_PlJS6_EEE10hipError_tPvRmT3_T4_T5_T6_T7_T9_mT8_P12ihipStream_tbDpT10_ENKUlT_T0_E_clISt17integral_constantIbLb1EES1B_EEDaS16_S17_EUlS16_E_NS1_11comp_targetILNS1_3genE2ELNS1_11target_archE906ELNS1_3gpuE6ELNS1_3repE0EEENS1_30default_config_static_selectorELNS0_4arch9wavefront6targetE0EEEvT1_,"axG",@progbits,_ZN7rocprim17ROCPRIM_400000_NS6detail17trampoline_kernelINS0_14default_configENS1_25partition_config_selectorILNS1_17partition_subalgoE5EdNS0_10empty_typeEbEEZZNS1_14partition_implILS5_5ELb0ES3_mN6thrust23THRUST_200600_302600_NS6detail15normal_iteratorINSA_10device_ptrIdEEEEPS6_NSA_18transform_iteratorINSB_9not_fun_tI7is_trueIdEEESF_NSA_11use_defaultESM_EENS0_5tupleIJSF_S6_EEENSO_IJSG_SG_EEES6_PlJS6_EEE10hipError_tPvRmT3_T4_T5_T6_T7_T9_mT8_P12ihipStream_tbDpT10_ENKUlT_T0_E_clISt17integral_constantIbLb1EES1B_EEDaS16_S17_EUlS16_E_NS1_11comp_targetILNS1_3genE2ELNS1_11target_archE906ELNS1_3gpuE6ELNS1_3repE0EEENS1_30default_config_static_selectorELNS0_4arch9wavefront6targetE0EEEvT1_,comdat
.Lfunc_end1314:
	.size	_ZN7rocprim17ROCPRIM_400000_NS6detail17trampoline_kernelINS0_14default_configENS1_25partition_config_selectorILNS1_17partition_subalgoE5EdNS0_10empty_typeEbEEZZNS1_14partition_implILS5_5ELb0ES3_mN6thrust23THRUST_200600_302600_NS6detail15normal_iteratorINSA_10device_ptrIdEEEEPS6_NSA_18transform_iteratorINSB_9not_fun_tI7is_trueIdEEESF_NSA_11use_defaultESM_EENS0_5tupleIJSF_S6_EEENSO_IJSG_SG_EEES6_PlJS6_EEE10hipError_tPvRmT3_T4_T5_T6_T7_T9_mT8_P12ihipStream_tbDpT10_ENKUlT_T0_E_clISt17integral_constantIbLb1EES1B_EEDaS16_S17_EUlS16_E_NS1_11comp_targetILNS1_3genE2ELNS1_11target_archE906ELNS1_3gpuE6ELNS1_3repE0EEENS1_30default_config_static_selectorELNS0_4arch9wavefront6targetE0EEEvT1_, .Lfunc_end1314-_ZN7rocprim17ROCPRIM_400000_NS6detail17trampoline_kernelINS0_14default_configENS1_25partition_config_selectorILNS1_17partition_subalgoE5EdNS0_10empty_typeEbEEZZNS1_14partition_implILS5_5ELb0ES3_mN6thrust23THRUST_200600_302600_NS6detail15normal_iteratorINSA_10device_ptrIdEEEEPS6_NSA_18transform_iteratorINSB_9not_fun_tI7is_trueIdEEESF_NSA_11use_defaultESM_EENS0_5tupleIJSF_S6_EEENSO_IJSG_SG_EEES6_PlJS6_EEE10hipError_tPvRmT3_T4_T5_T6_T7_T9_mT8_P12ihipStream_tbDpT10_ENKUlT_T0_E_clISt17integral_constantIbLb1EES1B_EEDaS16_S17_EUlS16_E_NS1_11comp_targetILNS1_3genE2ELNS1_11target_archE906ELNS1_3gpuE6ELNS1_3repE0EEENS1_30default_config_static_selectorELNS0_4arch9wavefront6targetE0EEEvT1_
                                        ; -- End function
	.set _ZN7rocprim17ROCPRIM_400000_NS6detail17trampoline_kernelINS0_14default_configENS1_25partition_config_selectorILNS1_17partition_subalgoE5EdNS0_10empty_typeEbEEZZNS1_14partition_implILS5_5ELb0ES3_mN6thrust23THRUST_200600_302600_NS6detail15normal_iteratorINSA_10device_ptrIdEEEEPS6_NSA_18transform_iteratorINSB_9not_fun_tI7is_trueIdEEESF_NSA_11use_defaultESM_EENS0_5tupleIJSF_S6_EEENSO_IJSG_SG_EEES6_PlJS6_EEE10hipError_tPvRmT3_T4_T5_T6_T7_T9_mT8_P12ihipStream_tbDpT10_ENKUlT_T0_E_clISt17integral_constantIbLb1EES1B_EEDaS16_S17_EUlS16_E_NS1_11comp_targetILNS1_3genE2ELNS1_11target_archE906ELNS1_3gpuE6ELNS1_3repE0EEENS1_30default_config_static_selectorELNS0_4arch9wavefront6targetE0EEEvT1_.num_vgpr, 0
	.set _ZN7rocprim17ROCPRIM_400000_NS6detail17trampoline_kernelINS0_14default_configENS1_25partition_config_selectorILNS1_17partition_subalgoE5EdNS0_10empty_typeEbEEZZNS1_14partition_implILS5_5ELb0ES3_mN6thrust23THRUST_200600_302600_NS6detail15normal_iteratorINSA_10device_ptrIdEEEEPS6_NSA_18transform_iteratorINSB_9not_fun_tI7is_trueIdEEESF_NSA_11use_defaultESM_EENS0_5tupleIJSF_S6_EEENSO_IJSG_SG_EEES6_PlJS6_EEE10hipError_tPvRmT3_T4_T5_T6_T7_T9_mT8_P12ihipStream_tbDpT10_ENKUlT_T0_E_clISt17integral_constantIbLb1EES1B_EEDaS16_S17_EUlS16_E_NS1_11comp_targetILNS1_3genE2ELNS1_11target_archE906ELNS1_3gpuE6ELNS1_3repE0EEENS1_30default_config_static_selectorELNS0_4arch9wavefront6targetE0EEEvT1_.num_agpr, 0
	.set _ZN7rocprim17ROCPRIM_400000_NS6detail17trampoline_kernelINS0_14default_configENS1_25partition_config_selectorILNS1_17partition_subalgoE5EdNS0_10empty_typeEbEEZZNS1_14partition_implILS5_5ELb0ES3_mN6thrust23THRUST_200600_302600_NS6detail15normal_iteratorINSA_10device_ptrIdEEEEPS6_NSA_18transform_iteratorINSB_9not_fun_tI7is_trueIdEEESF_NSA_11use_defaultESM_EENS0_5tupleIJSF_S6_EEENSO_IJSG_SG_EEES6_PlJS6_EEE10hipError_tPvRmT3_T4_T5_T6_T7_T9_mT8_P12ihipStream_tbDpT10_ENKUlT_T0_E_clISt17integral_constantIbLb1EES1B_EEDaS16_S17_EUlS16_E_NS1_11comp_targetILNS1_3genE2ELNS1_11target_archE906ELNS1_3gpuE6ELNS1_3repE0EEENS1_30default_config_static_selectorELNS0_4arch9wavefront6targetE0EEEvT1_.numbered_sgpr, 0
	.set _ZN7rocprim17ROCPRIM_400000_NS6detail17trampoline_kernelINS0_14default_configENS1_25partition_config_selectorILNS1_17partition_subalgoE5EdNS0_10empty_typeEbEEZZNS1_14partition_implILS5_5ELb0ES3_mN6thrust23THRUST_200600_302600_NS6detail15normal_iteratorINSA_10device_ptrIdEEEEPS6_NSA_18transform_iteratorINSB_9not_fun_tI7is_trueIdEEESF_NSA_11use_defaultESM_EENS0_5tupleIJSF_S6_EEENSO_IJSG_SG_EEES6_PlJS6_EEE10hipError_tPvRmT3_T4_T5_T6_T7_T9_mT8_P12ihipStream_tbDpT10_ENKUlT_T0_E_clISt17integral_constantIbLb1EES1B_EEDaS16_S17_EUlS16_E_NS1_11comp_targetILNS1_3genE2ELNS1_11target_archE906ELNS1_3gpuE6ELNS1_3repE0EEENS1_30default_config_static_selectorELNS0_4arch9wavefront6targetE0EEEvT1_.num_named_barrier, 0
	.set _ZN7rocprim17ROCPRIM_400000_NS6detail17trampoline_kernelINS0_14default_configENS1_25partition_config_selectorILNS1_17partition_subalgoE5EdNS0_10empty_typeEbEEZZNS1_14partition_implILS5_5ELb0ES3_mN6thrust23THRUST_200600_302600_NS6detail15normal_iteratorINSA_10device_ptrIdEEEEPS6_NSA_18transform_iteratorINSB_9not_fun_tI7is_trueIdEEESF_NSA_11use_defaultESM_EENS0_5tupleIJSF_S6_EEENSO_IJSG_SG_EEES6_PlJS6_EEE10hipError_tPvRmT3_T4_T5_T6_T7_T9_mT8_P12ihipStream_tbDpT10_ENKUlT_T0_E_clISt17integral_constantIbLb1EES1B_EEDaS16_S17_EUlS16_E_NS1_11comp_targetILNS1_3genE2ELNS1_11target_archE906ELNS1_3gpuE6ELNS1_3repE0EEENS1_30default_config_static_selectorELNS0_4arch9wavefront6targetE0EEEvT1_.private_seg_size, 0
	.set _ZN7rocprim17ROCPRIM_400000_NS6detail17trampoline_kernelINS0_14default_configENS1_25partition_config_selectorILNS1_17partition_subalgoE5EdNS0_10empty_typeEbEEZZNS1_14partition_implILS5_5ELb0ES3_mN6thrust23THRUST_200600_302600_NS6detail15normal_iteratorINSA_10device_ptrIdEEEEPS6_NSA_18transform_iteratorINSB_9not_fun_tI7is_trueIdEEESF_NSA_11use_defaultESM_EENS0_5tupleIJSF_S6_EEENSO_IJSG_SG_EEES6_PlJS6_EEE10hipError_tPvRmT3_T4_T5_T6_T7_T9_mT8_P12ihipStream_tbDpT10_ENKUlT_T0_E_clISt17integral_constantIbLb1EES1B_EEDaS16_S17_EUlS16_E_NS1_11comp_targetILNS1_3genE2ELNS1_11target_archE906ELNS1_3gpuE6ELNS1_3repE0EEENS1_30default_config_static_selectorELNS0_4arch9wavefront6targetE0EEEvT1_.uses_vcc, 0
	.set _ZN7rocprim17ROCPRIM_400000_NS6detail17trampoline_kernelINS0_14default_configENS1_25partition_config_selectorILNS1_17partition_subalgoE5EdNS0_10empty_typeEbEEZZNS1_14partition_implILS5_5ELb0ES3_mN6thrust23THRUST_200600_302600_NS6detail15normal_iteratorINSA_10device_ptrIdEEEEPS6_NSA_18transform_iteratorINSB_9not_fun_tI7is_trueIdEEESF_NSA_11use_defaultESM_EENS0_5tupleIJSF_S6_EEENSO_IJSG_SG_EEES6_PlJS6_EEE10hipError_tPvRmT3_T4_T5_T6_T7_T9_mT8_P12ihipStream_tbDpT10_ENKUlT_T0_E_clISt17integral_constantIbLb1EES1B_EEDaS16_S17_EUlS16_E_NS1_11comp_targetILNS1_3genE2ELNS1_11target_archE906ELNS1_3gpuE6ELNS1_3repE0EEENS1_30default_config_static_selectorELNS0_4arch9wavefront6targetE0EEEvT1_.uses_flat_scratch, 0
	.set _ZN7rocprim17ROCPRIM_400000_NS6detail17trampoline_kernelINS0_14default_configENS1_25partition_config_selectorILNS1_17partition_subalgoE5EdNS0_10empty_typeEbEEZZNS1_14partition_implILS5_5ELb0ES3_mN6thrust23THRUST_200600_302600_NS6detail15normal_iteratorINSA_10device_ptrIdEEEEPS6_NSA_18transform_iteratorINSB_9not_fun_tI7is_trueIdEEESF_NSA_11use_defaultESM_EENS0_5tupleIJSF_S6_EEENSO_IJSG_SG_EEES6_PlJS6_EEE10hipError_tPvRmT3_T4_T5_T6_T7_T9_mT8_P12ihipStream_tbDpT10_ENKUlT_T0_E_clISt17integral_constantIbLb1EES1B_EEDaS16_S17_EUlS16_E_NS1_11comp_targetILNS1_3genE2ELNS1_11target_archE906ELNS1_3gpuE6ELNS1_3repE0EEENS1_30default_config_static_selectorELNS0_4arch9wavefront6targetE0EEEvT1_.has_dyn_sized_stack, 0
	.set _ZN7rocprim17ROCPRIM_400000_NS6detail17trampoline_kernelINS0_14default_configENS1_25partition_config_selectorILNS1_17partition_subalgoE5EdNS0_10empty_typeEbEEZZNS1_14partition_implILS5_5ELb0ES3_mN6thrust23THRUST_200600_302600_NS6detail15normal_iteratorINSA_10device_ptrIdEEEEPS6_NSA_18transform_iteratorINSB_9not_fun_tI7is_trueIdEEESF_NSA_11use_defaultESM_EENS0_5tupleIJSF_S6_EEENSO_IJSG_SG_EEES6_PlJS6_EEE10hipError_tPvRmT3_T4_T5_T6_T7_T9_mT8_P12ihipStream_tbDpT10_ENKUlT_T0_E_clISt17integral_constantIbLb1EES1B_EEDaS16_S17_EUlS16_E_NS1_11comp_targetILNS1_3genE2ELNS1_11target_archE906ELNS1_3gpuE6ELNS1_3repE0EEENS1_30default_config_static_selectorELNS0_4arch9wavefront6targetE0EEEvT1_.has_recursion, 0
	.set _ZN7rocprim17ROCPRIM_400000_NS6detail17trampoline_kernelINS0_14default_configENS1_25partition_config_selectorILNS1_17partition_subalgoE5EdNS0_10empty_typeEbEEZZNS1_14partition_implILS5_5ELb0ES3_mN6thrust23THRUST_200600_302600_NS6detail15normal_iteratorINSA_10device_ptrIdEEEEPS6_NSA_18transform_iteratorINSB_9not_fun_tI7is_trueIdEEESF_NSA_11use_defaultESM_EENS0_5tupleIJSF_S6_EEENSO_IJSG_SG_EEES6_PlJS6_EEE10hipError_tPvRmT3_T4_T5_T6_T7_T9_mT8_P12ihipStream_tbDpT10_ENKUlT_T0_E_clISt17integral_constantIbLb1EES1B_EEDaS16_S17_EUlS16_E_NS1_11comp_targetILNS1_3genE2ELNS1_11target_archE906ELNS1_3gpuE6ELNS1_3repE0EEENS1_30default_config_static_selectorELNS0_4arch9wavefront6targetE0EEEvT1_.has_indirect_call, 0
	.section	.AMDGPU.csdata,"",@progbits
; Kernel info:
; codeLenInByte = 0
; TotalNumSgprs: 0
; NumVgprs: 0
; ScratchSize: 0
; MemoryBound: 0
; FloatMode: 240
; IeeeMode: 1
; LDSByteSize: 0 bytes/workgroup (compile time only)
; SGPRBlocks: 0
; VGPRBlocks: 0
; NumSGPRsForWavesPerEU: 1
; NumVGPRsForWavesPerEU: 1
; Occupancy: 16
; WaveLimiterHint : 0
; COMPUTE_PGM_RSRC2:SCRATCH_EN: 0
; COMPUTE_PGM_RSRC2:USER_SGPR: 2
; COMPUTE_PGM_RSRC2:TRAP_HANDLER: 0
; COMPUTE_PGM_RSRC2:TGID_X_EN: 1
; COMPUTE_PGM_RSRC2:TGID_Y_EN: 0
; COMPUTE_PGM_RSRC2:TGID_Z_EN: 0
; COMPUTE_PGM_RSRC2:TIDIG_COMP_CNT: 0
	.section	.text._ZN7rocprim17ROCPRIM_400000_NS6detail17trampoline_kernelINS0_14default_configENS1_25partition_config_selectorILNS1_17partition_subalgoE5EdNS0_10empty_typeEbEEZZNS1_14partition_implILS5_5ELb0ES3_mN6thrust23THRUST_200600_302600_NS6detail15normal_iteratorINSA_10device_ptrIdEEEEPS6_NSA_18transform_iteratorINSB_9not_fun_tI7is_trueIdEEESF_NSA_11use_defaultESM_EENS0_5tupleIJSF_S6_EEENSO_IJSG_SG_EEES6_PlJS6_EEE10hipError_tPvRmT3_T4_T5_T6_T7_T9_mT8_P12ihipStream_tbDpT10_ENKUlT_T0_E_clISt17integral_constantIbLb1EES1B_EEDaS16_S17_EUlS16_E_NS1_11comp_targetILNS1_3genE10ELNS1_11target_archE1200ELNS1_3gpuE4ELNS1_3repE0EEENS1_30default_config_static_selectorELNS0_4arch9wavefront6targetE0EEEvT1_,"axG",@progbits,_ZN7rocprim17ROCPRIM_400000_NS6detail17trampoline_kernelINS0_14default_configENS1_25partition_config_selectorILNS1_17partition_subalgoE5EdNS0_10empty_typeEbEEZZNS1_14partition_implILS5_5ELb0ES3_mN6thrust23THRUST_200600_302600_NS6detail15normal_iteratorINSA_10device_ptrIdEEEEPS6_NSA_18transform_iteratorINSB_9not_fun_tI7is_trueIdEEESF_NSA_11use_defaultESM_EENS0_5tupleIJSF_S6_EEENSO_IJSG_SG_EEES6_PlJS6_EEE10hipError_tPvRmT3_T4_T5_T6_T7_T9_mT8_P12ihipStream_tbDpT10_ENKUlT_T0_E_clISt17integral_constantIbLb1EES1B_EEDaS16_S17_EUlS16_E_NS1_11comp_targetILNS1_3genE10ELNS1_11target_archE1200ELNS1_3gpuE4ELNS1_3repE0EEENS1_30default_config_static_selectorELNS0_4arch9wavefront6targetE0EEEvT1_,comdat
	.protected	_ZN7rocprim17ROCPRIM_400000_NS6detail17trampoline_kernelINS0_14default_configENS1_25partition_config_selectorILNS1_17partition_subalgoE5EdNS0_10empty_typeEbEEZZNS1_14partition_implILS5_5ELb0ES3_mN6thrust23THRUST_200600_302600_NS6detail15normal_iteratorINSA_10device_ptrIdEEEEPS6_NSA_18transform_iteratorINSB_9not_fun_tI7is_trueIdEEESF_NSA_11use_defaultESM_EENS0_5tupleIJSF_S6_EEENSO_IJSG_SG_EEES6_PlJS6_EEE10hipError_tPvRmT3_T4_T5_T6_T7_T9_mT8_P12ihipStream_tbDpT10_ENKUlT_T0_E_clISt17integral_constantIbLb1EES1B_EEDaS16_S17_EUlS16_E_NS1_11comp_targetILNS1_3genE10ELNS1_11target_archE1200ELNS1_3gpuE4ELNS1_3repE0EEENS1_30default_config_static_selectorELNS0_4arch9wavefront6targetE0EEEvT1_ ; -- Begin function _ZN7rocprim17ROCPRIM_400000_NS6detail17trampoline_kernelINS0_14default_configENS1_25partition_config_selectorILNS1_17partition_subalgoE5EdNS0_10empty_typeEbEEZZNS1_14partition_implILS5_5ELb0ES3_mN6thrust23THRUST_200600_302600_NS6detail15normal_iteratorINSA_10device_ptrIdEEEEPS6_NSA_18transform_iteratorINSB_9not_fun_tI7is_trueIdEEESF_NSA_11use_defaultESM_EENS0_5tupleIJSF_S6_EEENSO_IJSG_SG_EEES6_PlJS6_EEE10hipError_tPvRmT3_T4_T5_T6_T7_T9_mT8_P12ihipStream_tbDpT10_ENKUlT_T0_E_clISt17integral_constantIbLb1EES1B_EEDaS16_S17_EUlS16_E_NS1_11comp_targetILNS1_3genE10ELNS1_11target_archE1200ELNS1_3gpuE4ELNS1_3repE0EEENS1_30default_config_static_selectorELNS0_4arch9wavefront6targetE0EEEvT1_
	.globl	_ZN7rocprim17ROCPRIM_400000_NS6detail17trampoline_kernelINS0_14default_configENS1_25partition_config_selectorILNS1_17partition_subalgoE5EdNS0_10empty_typeEbEEZZNS1_14partition_implILS5_5ELb0ES3_mN6thrust23THRUST_200600_302600_NS6detail15normal_iteratorINSA_10device_ptrIdEEEEPS6_NSA_18transform_iteratorINSB_9not_fun_tI7is_trueIdEEESF_NSA_11use_defaultESM_EENS0_5tupleIJSF_S6_EEENSO_IJSG_SG_EEES6_PlJS6_EEE10hipError_tPvRmT3_T4_T5_T6_T7_T9_mT8_P12ihipStream_tbDpT10_ENKUlT_T0_E_clISt17integral_constantIbLb1EES1B_EEDaS16_S17_EUlS16_E_NS1_11comp_targetILNS1_3genE10ELNS1_11target_archE1200ELNS1_3gpuE4ELNS1_3repE0EEENS1_30default_config_static_selectorELNS0_4arch9wavefront6targetE0EEEvT1_
	.p2align	8
	.type	_ZN7rocprim17ROCPRIM_400000_NS6detail17trampoline_kernelINS0_14default_configENS1_25partition_config_selectorILNS1_17partition_subalgoE5EdNS0_10empty_typeEbEEZZNS1_14partition_implILS5_5ELb0ES3_mN6thrust23THRUST_200600_302600_NS6detail15normal_iteratorINSA_10device_ptrIdEEEEPS6_NSA_18transform_iteratorINSB_9not_fun_tI7is_trueIdEEESF_NSA_11use_defaultESM_EENS0_5tupleIJSF_S6_EEENSO_IJSG_SG_EEES6_PlJS6_EEE10hipError_tPvRmT3_T4_T5_T6_T7_T9_mT8_P12ihipStream_tbDpT10_ENKUlT_T0_E_clISt17integral_constantIbLb1EES1B_EEDaS16_S17_EUlS16_E_NS1_11comp_targetILNS1_3genE10ELNS1_11target_archE1200ELNS1_3gpuE4ELNS1_3repE0EEENS1_30default_config_static_selectorELNS0_4arch9wavefront6targetE0EEEvT1_,@function
_ZN7rocprim17ROCPRIM_400000_NS6detail17trampoline_kernelINS0_14default_configENS1_25partition_config_selectorILNS1_17partition_subalgoE5EdNS0_10empty_typeEbEEZZNS1_14partition_implILS5_5ELb0ES3_mN6thrust23THRUST_200600_302600_NS6detail15normal_iteratorINSA_10device_ptrIdEEEEPS6_NSA_18transform_iteratorINSB_9not_fun_tI7is_trueIdEEESF_NSA_11use_defaultESM_EENS0_5tupleIJSF_S6_EEENSO_IJSG_SG_EEES6_PlJS6_EEE10hipError_tPvRmT3_T4_T5_T6_T7_T9_mT8_P12ihipStream_tbDpT10_ENKUlT_T0_E_clISt17integral_constantIbLb1EES1B_EEDaS16_S17_EUlS16_E_NS1_11comp_targetILNS1_3genE10ELNS1_11target_archE1200ELNS1_3gpuE4ELNS1_3repE0EEENS1_30default_config_static_selectorELNS0_4arch9wavefront6targetE0EEEvT1_: ; @_ZN7rocprim17ROCPRIM_400000_NS6detail17trampoline_kernelINS0_14default_configENS1_25partition_config_selectorILNS1_17partition_subalgoE5EdNS0_10empty_typeEbEEZZNS1_14partition_implILS5_5ELb0ES3_mN6thrust23THRUST_200600_302600_NS6detail15normal_iteratorINSA_10device_ptrIdEEEEPS6_NSA_18transform_iteratorINSB_9not_fun_tI7is_trueIdEEESF_NSA_11use_defaultESM_EENS0_5tupleIJSF_S6_EEENSO_IJSG_SG_EEES6_PlJS6_EEE10hipError_tPvRmT3_T4_T5_T6_T7_T9_mT8_P12ihipStream_tbDpT10_ENKUlT_T0_E_clISt17integral_constantIbLb1EES1B_EEDaS16_S17_EUlS16_E_NS1_11comp_targetILNS1_3genE10ELNS1_11target_archE1200ELNS1_3gpuE4ELNS1_3repE0EEENS1_30default_config_static_selectorELNS0_4arch9wavefront6targetE0EEEvT1_
; %bb.0:
	s_endpgm
	.section	.rodata,"a",@progbits
	.p2align	6, 0x0
	.amdhsa_kernel _ZN7rocprim17ROCPRIM_400000_NS6detail17trampoline_kernelINS0_14default_configENS1_25partition_config_selectorILNS1_17partition_subalgoE5EdNS0_10empty_typeEbEEZZNS1_14partition_implILS5_5ELb0ES3_mN6thrust23THRUST_200600_302600_NS6detail15normal_iteratorINSA_10device_ptrIdEEEEPS6_NSA_18transform_iteratorINSB_9not_fun_tI7is_trueIdEEESF_NSA_11use_defaultESM_EENS0_5tupleIJSF_S6_EEENSO_IJSG_SG_EEES6_PlJS6_EEE10hipError_tPvRmT3_T4_T5_T6_T7_T9_mT8_P12ihipStream_tbDpT10_ENKUlT_T0_E_clISt17integral_constantIbLb1EES1B_EEDaS16_S17_EUlS16_E_NS1_11comp_targetILNS1_3genE10ELNS1_11target_archE1200ELNS1_3gpuE4ELNS1_3repE0EEENS1_30default_config_static_selectorELNS0_4arch9wavefront6targetE0EEEvT1_
		.amdhsa_group_segment_fixed_size 0
		.amdhsa_private_segment_fixed_size 0
		.amdhsa_kernarg_size 136
		.amdhsa_user_sgpr_count 2
		.amdhsa_user_sgpr_dispatch_ptr 0
		.amdhsa_user_sgpr_queue_ptr 0
		.amdhsa_user_sgpr_kernarg_segment_ptr 1
		.amdhsa_user_sgpr_dispatch_id 0
		.amdhsa_user_sgpr_private_segment_size 0
		.amdhsa_wavefront_size32 1
		.amdhsa_uses_dynamic_stack 0
		.amdhsa_enable_private_segment 0
		.amdhsa_system_sgpr_workgroup_id_x 1
		.amdhsa_system_sgpr_workgroup_id_y 0
		.amdhsa_system_sgpr_workgroup_id_z 0
		.amdhsa_system_sgpr_workgroup_info 0
		.amdhsa_system_vgpr_workitem_id 0
		.amdhsa_next_free_vgpr 1
		.amdhsa_next_free_sgpr 1
		.amdhsa_reserve_vcc 0
		.amdhsa_float_round_mode_32 0
		.amdhsa_float_round_mode_16_64 0
		.amdhsa_float_denorm_mode_32 3
		.amdhsa_float_denorm_mode_16_64 3
		.amdhsa_fp16_overflow 0
		.amdhsa_workgroup_processor_mode 1
		.amdhsa_memory_ordered 1
		.amdhsa_forward_progress 1
		.amdhsa_inst_pref_size 1
		.amdhsa_round_robin_scheduling 0
		.amdhsa_exception_fp_ieee_invalid_op 0
		.amdhsa_exception_fp_denorm_src 0
		.amdhsa_exception_fp_ieee_div_zero 0
		.amdhsa_exception_fp_ieee_overflow 0
		.amdhsa_exception_fp_ieee_underflow 0
		.amdhsa_exception_fp_ieee_inexact 0
		.amdhsa_exception_int_div_zero 0
	.end_amdhsa_kernel
	.section	.text._ZN7rocprim17ROCPRIM_400000_NS6detail17trampoline_kernelINS0_14default_configENS1_25partition_config_selectorILNS1_17partition_subalgoE5EdNS0_10empty_typeEbEEZZNS1_14partition_implILS5_5ELb0ES3_mN6thrust23THRUST_200600_302600_NS6detail15normal_iteratorINSA_10device_ptrIdEEEEPS6_NSA_18transform_iteratorINSB_9not_fun_tI7is_trueIdEEESF_NSA_11use_defaultESM_EENS0_5tupleIJSF_S6_EEENSO_IJSG_SG_EEES6_PlJS6_EEE10hipError_tPvRmT3_T4_T5_T6_T7_T9_mT8_P12ihipStream_tbDpT10_ENKUlT_T0_E_clISt17integral_constantIbLb1EES1B_EEDaS16_S17_EUlS16_E_NS1_11comp_targetILNS1_3genE10ELNS1_11target_archE1200ELNS1_3gpuE4ELNS1_3repE0EEENS1_30default_config_static_selectorELNS0_4arch9wavefront6targetE0EEEvT1_,"axG",@progbits,_ZN7rocprim17ROCPRIM_400000_NS6detail17trampoline_kernelINS0_14default_configENS1_25partition_config_selectorILNS1_17partition_subalgoE5EdNS0_10empty_typeEbEEZZNS1_14partition_implILS5_5ELb0ES3_mN6thrust23THRUST_200600_302600_NS6detail15normal_iteratorINSA_10device_ptrIdEEEEPS6_NSA_18transform_iteratorINSB_9not_fun_tI7is_trueIdEEESF_NSA_11use_defaultESM_EENS0_5tupleIJSF_S6_EEENSO_IJSG_SG_EEES6_PlJS6_EEE10hipError_tPvRmT3_T4_T5_T6_T7_T9_mT8_P12ihipStream_tbDpT10_ENKUlT_T0_E_clISt17integral_constantIbLb1EES1B_EEDaS16_S17_EUlS16_E_NS1_11comp_targetILNS1_3genE10ELNS1_11target_archE1200ELNS1_3gpuE4ELNS1_3repE0EEENS1_30default_config_static_selectorELNS0_4arch9wavefront6targetE0EEEvT1_,comdat
.Lfunc_end1315:
	.size	_ZN7rocprim17ROCPRIM_400000_NS6detail17trampoline_kernelINS0_14default_configENS1_25partition_config_selectorILNS1_17partition_subalgoE5EdNS0_10empty_typeEbEEZZNS1_14partition_implILS5_5ELb0ES3_mN6thrust23THRUST_200600_302600_NS6detail15normal_iteratorINSA_10device_ptrIdEEEEPS6_NSA_18transform_iteratorINSB_9not_fun_tI7is_trueIdEEESF_NSA_11use_defaultESM_EENS0_5tupleIJSF_S6_EEENSO_IJSG_SG_EEES6_PlJS6_EEE10hipError_tPvRmT3_T4_T5_T6_T7_T9_mT8_P12ihipStream_tbDpT10_ENKUlT_T0_E_clISt17integral_constantIbLb1EES1B_EEDaS16_S17_EUlS16_E_NS1_11comp_targetILNS1_3genE10ELNS1_11target_archE1200ELNS1_3gpuE4ELNS1_3repE0EEENS1_30default_config_static_selectorELNS0_4arch9wavefront6targetE0EEEvT1_, .Lfunc_end1315-_ZN7rocprim17ROCPRIM_400000_NS6detail17trampoline_kernelINS0_14default_configENS1_25partition_config_selectorILNS1_17partition_subalgoE5EdNS0_10empty_typeEbEEZZNS1_14partition_implILS5_5ELb0ES3_mN6thrust23THRUST_200600_302600_NS6detail15normal_iteratorINSA_10device_ptrIdEEEEPS6_NSA_18transform_iteratorINSB_9not_fun_tI7is_trueIdEEESF_NSA_11use_defaultESM_EENS0_5tupleIJSF_S6_EEENSO_IJSG_SG_EEES6_PlJS6_EEE10hipError_tPvRmT3_T4_T5_T6_T7_T9_mT8_P12ihipStream_tbDpT10_ENKUlT_T0_E_clISt17integral_constantIbLb1EES1B_EEDaS16_S17_EUlS16_E_NS1_11comp_targetILNS1_3genE10ELNS1_11target_archE1200ELNS1_3gpuE4ELNS1_3repE0EEENS1_30default_config_static_selectorELNS0_4arch9wavefront6targetE0EEEvT1_
                                        ; -- End function
	.set _ZN7rocprim17ROCPRIM_400000_NS6detail17trampoline_kernelINS0_14default_configENS1_25partition_config_selectorILNS1_17partition_subalgoE5EdNS0_10empty_typeEbEEZZNS1_14partition_implILS5_5ELb0ES3_mN6thrust23THRUST_200600_302600_NS6detail15normal_iteratorINSA_10device_ptrIdEEEEPS6_NSA_18transform_iteratorINSB_9not_fun_tI7is_trueIdEEESF_NSA_11use_defaultESM_EENS0_5tupleIJSF_S6_EEENSO_IJSG_SG_EEES6_PlJS6_EEE10hipError_tPvRmT3_T4_T5_T6_T7_T9_mT8_P12ihipStream_tbDpT10_ENKUlT_T0_E_clISt17integral_constantIbLb1EES1B_EEDaS16_S17_EUlS16_E_NS1_11comp_targetILNS1_3genE10ELNS1_11target_archE1200ELNS1_3gpuE4ELNS1_3repE0EEENS1_30default_config_static_selectorELNS0_4arch9wavefront6targetE0EEEvT1_.num_vgpr, 0
	.set _ZN7rocprim17ROCPRIM_400000_NS6detail17trampoline_kernelINS0_14default_configENS1_25partition_config_selectorILNS1_17partition_subalgoE5EdNS0_10empty_typeEbEEZZNS1_14partition_implILS5_5ELb0ES3_mN6thrust23THRUST_200600_302600_NS6detail15normal_iteratorINSA_10device_ptrIdEEEEPS6_NSA_18transform_iteratorINSB_9not_fun_tI7is_trueIdEEESF_NSA_11use_defaultESM_EENS0_5tupleIJSF_S6_EEENSO_IJSG_SG_EEES6_PlJS6_EEE10hipError_tPvRmT3_T4_T5_T6_T7_T9_mT8_P12ihipStream_tbDpT10_ENKUlT_T0_E_clISt17integral_constantIbLb1EES1B_EEDaS16_S17_EUlS16_E_NS1_11comp_targetILNS1_3genE10ELNS1_11target_archE1200ELNS1_3gpuE4ELNS1_3repE0EEENS1_30default_config_static_selectorELNS0_4arch9wavefront6targetE0EEEvT1_.num_agpr, 0
	.set _ZN7rocprim17ROCPRIM_400000_NS6detail17trampoline_kernelINS0_14default_configENS1_25partition_config_selectorILNS1_17partition_subalgoE5EdNS0_10empty_typeEbEEZZNS1_14partition_implILS5_5ELb0ES3_mN6thrust23THRUST_200600_302600_NS6detail15normal_iteratorINSA_10device_ptrIdEEEEPS6_NSA_18transform_iteratorINSB_9not_fun_tI7is_trueIdEEESF_NSA_11use_defaultESM_EENS0_5tupleIJSF_S6_EEENSO_IJSG_SG_EEES6_PlJS6_EEE10hipError_tPvRmT3_T4_T5_T6_T7_T9_mT8_P12ihipStream_tbDpT10_ENKUlT_T0_E_clISt17integral_constantIbLb1EES1B_EEDaS16_S17_EUlS16_E_NS1_11comp_targetILNS1_3genE10ELNS1_11target_archE1200ELNS1_3gpuE4ELNS1_3repE0EEENS1_30default_config_static_selectorELNS0_4arch9wavefront6targetE0EEEvT1_.numbered_sgpr, 0
	.set _ZN7rocprim17ROCPRIM_400000_NS6detail17trampoline_kernelINS0_14default_configENS1_25partition_config_selectorILNS1_17partition_subalgoE5EdNS0_10empty_typeEbEEZZNS1_14partition_implILS5_5ELb0ES3_mN6thrust23THRUST_200600_302600_NS6detail15normal_iteratorINSA_10device_ptrIdEEEEPS6_NSA_18transform_iteratorINSB_9not_fun_tI7is_trueIdEEESF_NSA_11use_defaultESM_EENS0_5tupleIJSF_S6_EEENSO_IJSG_SG_EEES6_PlJS6_EEE10hipError_tPvRmT3_T4_T5_T6_T7_T9_mT8_P12ihipStream_tbDpT10_ENKUlT_T0_E_clISt17integral_constantIbLb1EES1B_EEDaS16_S17_EUlS16_E_NS1_11comp_targetILNS1_3genE10ELNS1_11target_archE1200ELNS1_3gpuE4ELNS1_3repE0EEENS1_30default_config_static_selectorELNS0_4arch9wavefront6targetE0EEEvT1_.num_named_barrier, 0
	.set _ZN7rocprim17ROCPRIM_400000_NS6detail17trampoline_kernelINS0_14default_configENS1_25partition_config_selectorILNS1_17partition_subalgoE5EdNS0_10empty_typeEbEEZZNS1_14partition_implILS5_5ELb0ES3_mN6thrust23THRUST_200600_302600_NS6detail15normal_iteratorINSA_10device_ptrIdEEEEPS6_NSA_18transform_iteratorINSB_9not_fun_tI7is_trueIdEEESF_NSA_11use_defaultESM_EENS0_5tupleIJSF_S6_EEENSO_IJSG_SG_EEES6_PlJS6_EEE10hipError_tPvRmT3_T4_T5_T6_T7_T9_mT8_P12ihipStream_tbDpT10_ENKUlT_T0_E_clISt17integral_constantIbLb1EES1B_EEDaS16_S17_EUlS16_E_NS1_11comp_targetILNS1_3genE10ELNS1_11target_archE1200ELNS1_3gpuE4ELNS1_3repE0EEENS1_30default_config_static_selectorELNS0_4arch9wavefront6targetE0EEEvT1_.private_seg_size, 0
	.set _ZN7rocprim17ROCPRIM_400000_NS6detail17trampoline_kernelINS0_14default_configENS1_25partition_config_selectorILNS1_17partition_subalgoE5EdNS0_10empty_typeEbEEZZNS1_14partition_implILS5_5ELb0ES3_mN6thrust23THRUST_200600_302600_NS6detail15normal_iteratorINSA_10device_ptrIdEEEEPS6_NSA_18transform_iteratorINSB_9not_fun_tI7is_trueIdEEESF_NSA_11use_defaultESM_EENS0_5tupleIJSF_S6_EEENSO_IJSG_SG_EEES6_PlJS6_EEE10hipError_tPvRmT3_T4_T5_T6_T7_T9_mT8_P12ihipStream_tbDpT10_ENKUlT_T0_E_clISt17integral_constantIbLb1EES1B_EEDaS16_S17_EUlS16_E_NS1_11comp_targetILNS1_3genE10ELNS1_11target_archE1200ELNS1_3gpuE4ELNS1_3repE0EEENS1_30default_config_static_selectorELNS0_4arch9wavefront6targetE0EEEvT1_.uses_vcc, 0
	.set _ZN7rocprim17ROCPRIM_400000_NS6detail17trampoline_kernelINS0_14default_configENS1_25partition_config_selectorILNS1_17partition_subalgoE5EdNS0_10empty_typeEbEEZZNS1_14partition_implILS5_5ELb0ES3_mN6thrust23THRUST_200600_302600_NS6detail15normal_iteratorINSA_10device_ptrIdEEEEPS6_NSA_18transform_iteratorINSB_9not_fun_tI7is_trueIdEEESF_NSA_11use_defaultESM_EENS0_5tupleIJSF_S6_EEENSO_IJSG_SG_EEES6_PlJS6_EEE10hipError_tPvRmT3_T4_T5_T6_T7_T9_mT8_P12ihipStream_tbDpT10_ENKUlT_T0_E_clISt17integral_constantIbLb1EES1B_EEDaS16_S17_EUlS16_E_NS1_11comp_targetILNS1_3genE10ELNS1_11target_archE1200ELNS1_3gpuE4ELNS1_3repE0EEENS1_30default_config_static_selectorELNS0_4arch9wavefront6targetE0EEEvT1_.uses_flat_scratch, 0
	.set _ZN7rocprim17ROCPRIM_400000_NS6detail17trampoline_kernelINS0_14default_configENS1_25partition_config_selectorILNS1_17partition_subalgoE5EdNS0_10empty_typeEbEEZZNS1_14partition_implILS5_5ELb0ES3_mN6thrust23THRUST_200600_302600_NS6detail15normal_iteratorINSA_10device_ptrIdEEEEPS6_NSA_18transform_iteratorINSB_9not_fun_tI7is_trueIdEEESF_NSA_11use_defaultESM_EENS0_5tupleIJSF_S6_EEENSO_IJSG_SG_EEES6_PlJS6_EEE10hipError_tPvRmT3_T4_T5_T6_T7_T9_mT8_P12ihipStream_tbDpT10_ENKUlT_T0_E_clISt17integral_constantIbLb1EES1B_EEDaS16_S17_EUlS16_E_NS1_11comp_targetILNS1_3genE10ELNS1_11target_archE1200ELNS1_3gpuE4ELNS1_3repE0EEENS1_30default_config_static_selectorELNS0_4arch9wavefront6targetE0EEEvT1_.has_dyn_sized_stack, 0
	.set _ZN7rocprim17ROCPRIM_400000_NS6detail17trampoline_kernelINS0_14default_configENS1_25partition_config_selectorILNS1_17partition_subalgoE5EdNS0_10empty_typeEbEEZZNS1_14partition_implILS5_5ELb0ES3_mN6thrust23THRUST_200600_302600_NS6detail15normal_iteratorINSA_10device_ptrIdEEEEPS6_NSA_18transform_iteratorINSB_9not_fun_tI7is_trueIdEEESF_NSA_11use_defaultESM_EENS0_5tupleIJSF_S6_EEENSO_IJSG_SG_EEES6_PlJS6_EEE10hipError_tPvRmT3_T4_T5_T6_T7_T9_mT8_P12ihipStream_tbDpT10_ENKUlT_T0_E_clISt17integral_constantIbLb1EES1B_EEDaS16_S17_EUlS16_E_NS1_11comp_targetILNS1_3genE10ELNS1_11target_archE1200ELNS1_3gpuE4ELNS1_3repE0EEENS1_30default_config_static_selectorELNS0_4arch9wavefront6targetE0EEEvT1_.has_recursion, 0
	.set _ZN7rocprim17ROCPRIM_400000_NS6detail17trampoline_kernelINS0_14default_configENS1_25partition_config_selectorILNS1_17partition_subalgoE5EdNS0_10empty_typeEbEEZZNS1_14partition_implILS5_5ELb0ES3_mN6thrust23THRUST_200600_302600_NS6detail15normal_iteratorINSA_10device_ptrIdEEEEPS6_NSA_18transform_iteratorINSB_9not_fun_tI7is_trueIdEEESF_NSA_11use_defaultESM_EENS0_5tupleIJSF_S6_EEENSO_IJSG_SG_EEES6_PlJS6_EEE10hipError_tPvRmT3_T4_T5_T6_T7_T9_mT8_P12ihipStream_tbDpT10_ENKUlT_T0_E_clISt17integral_constantIbLb1EES1B_EEDaS16_S17_EUlS16_E_NS1_11comp_targetILNS1_3genE10ELNS1_11target_archE1200ELNS1_3gpuE4ELNS1_3repE0EEENS1_30default_config_static_selectorELNS0_4arch9wavefront6targetE0EEEvT1_.has_indirect_call, 0
	.section	.AMDGPU.csdata,"",@progbits
; Kernel info:
; codeLenInByte = 4
; TotalNumSgprs: 0
; NumVgprs: 0
; ScratchSize: 0
; MemoryBound: 0
; FloatMode: 240
; IeeeMode: 1
; LDSByteSize: 0 bytes/workgroup (compile time only)
; SGPRBlocks: 0
; VGPRBlocks: 0
; NumSGPRsForWavesPerEU: 1
; NumVGPRsForWavesPerEU: 1
; Occupancy: 16
; WaveLimiterHint : 0
; COMPUTE_PGM_RSRC2:SCRATCH_EN: 0
; COMPUTE_PGM_RSRC2:USER_SGPR: 2
; COMPUTE_PGM_RSRC2:TRAP_HANDLER: 0
; COMPUTE_PGM_RSRC2:TGID_X_EN: 1
; COMPUTE_PGM_RSRC2:TGID_Y_EN: 0
; COMPUTE_PGM_RSRC2:TGID_Z_EN: 0
; COMPUTE_PGM_RSRC2:TIDIG_COMP_CNT: 0
	.section	.text._ZN7rocprim17ROCPRIM_400000_NS6detail17trampoline_kernelINS0_14default_configENS1_25partition_config_selectorILNS1_17partition_subalgoE5EdNS0_10empty_typeEbEEZZNS1_14partition_implILS5_5ELb0ES3_mN6thrust23THRUST_200600_302600_NS6detail15normal_iteratorINSA_10device_ptrIdEEEEPS6_NSA_18transform_iteratorINSB_9not_fun_tI7is_trueIdEEESF_NSA_11use_defaultESM_EENS0_5tupleIJSF_S6_EEENSO_IJSG_SG_EEES6_PlJS6_EEE10hipError_tPvRmT3_T4_T5_T6_T7_T9_mT8_P12ihipStream_tbDpT10_ENKUlT_T0_E_clISt17integral_constantIbLb1EES1B_EEDaS16_S17_EUlS16_E_NS1_11comp_targetILNS1_3genE9ELNS1_11target_archE1100ELNS1_3gpuE3ELNS1_3repE0EEENS1_30default_config_static_selectorELNS0_4arch9wavefront6targetE0EEEvT1_,"axG",@progbits,_ZN7rocprim17ROCPRIM_400000_NS6detail17trampoline_kernelINS0_14default_configENS1_25partition_config_selectorILNS1_17partition_subalgoE5EdNS0_10empty_typeEbEEZZNS1_14partition_implILS5_5ELb0ES3_mN6thrust23THRUST_200600_302600_NS6detail15normal_iteratorINSA_10device_ptrIdEEEEPS6_NSA_18transform_iteratorINSB_9not_fun_tI7is_trueIdEEESF_NSA_11use_defaultESM_EENS0_5tupleIJSF_S6_EEENSO_IJSG_SG_EEES6_PlJS6_EEE10hipError_tPvRmT3_T4_T5_T6_T7_T9_mT8_P12ihipStream_tbDpT10_ENKUlT_T0_E_clISt17integral_constantIbLb1EES1B_EEDaS16_S17_EUlS16_E_NS1_11comp_targetILNS1_3genE9ELNS1_11target_archE1100ELNS1_3gpuE3ELNS1_3repE0EEENS1_30default_config_static_selectorELNS0_4arch9wavefront6targetE0EEEvT1_,comdat
	.protected	_ZN7rocprim17ROCPRIM_400000_NS6detail17trampoline_kernelINS0_14default_configENS1_25partition_config_selectorILNS1_17partition_subalgoE5EdNS0_10empty_typeEbEEZZNS1_14partition_implILS5_5ELb0ES3_mN6thrust23THRUST_200600_302600_NS6detail15normal_iteratorINSA_10device_ptrIdEEEEPS6_NSA_18transform_iteratorINSB_9not_fun_tI7is_trueIdEEESF_NSA_11use_defaultESM_EENS0_5tupleIJSF_S6_EEENSO_IJSG_SG_EEES6_PlJS6_EEE10hipError_tPvRmT3_T4_T5_T6_T7_T9_mT8_P12ihipStream_tbDpT10_ENKUlT_T0_E_clISt17integral_constantIbLb1EES1B_EEDaS16_S17_EUlS16_E_NS1_11comp_targetILNS1_3genE9ELNS1_11target_archE1100ELNS1_3gpuE3ELNS1_3repE0EEENS1_30default_config_static_selectorELNS0_4arch9wavefront6targetE0EEEvT1_ ; -- Begin function _ZN7rocprim17ROCPRIM_400000_NS6detail17trampoline_kernelINS0_14default_configENS1_25partition_config_selectorILNS1_17partition_subalgoE5EdNS0_10empty_typeEbEEZZNS1_14partition_implILS5_5ELb0ES3_mN6thrust23THRUST_200600_302600_NS6detail15normal_iteratorINSA_10device_ptrIdEEEEPS6_NSA_18transform_iteratorINSB_9not_fun_tI7is_trueIdEEESF_NSA_11use_defaultESM_EENS0_5tupleIJSF_S6_EEENSO_IJSG_SG_EEES6_PlJS6_EEE10hipError_tPvRmT3_T4_T5_T6_T7_T9_mT8_P12ihipStream_tbDpT10_ENKUlT_T0_E_clISt17integral_constantIbLb1EES1B_EEDaS16_S17_EUlS16_E_NS1_11comp_targetILNS1_3genE9ELNS1_11target_archE1100ELNS1_3gpuE3ELNS1_3repE0EEENS1_30default_config_static_selectorELNS0_4arch9wavefront6targetE0EEEvT1_
	.globl	_ZN7rocprim17ROCPRIM_400000_NS6detail17trampoline_kernelINS0_14default_configENS1_25partition_config_selectorILNS1_17partition_subalgoE5EdNS0_10empty_typeEbEEZZNS1_14partition_implILS5_5ELb0ES3_mN6thrust23THRUST_200600_302600_NS6detail15normal_iteratorINSA_10device_ptrIdEEEEPS6_NSA_18transform_iteratorINSB_9not_fun_tI7is_trueIdEEESF_NSA_11use_defaultESM_EENS0_5tupleIJSF_S6_EEENSO_IJSG_SG_EEES6_PlJS6_EEE10hipError_tPvRmT3_T4_T5_T6_T7_T9_mT8_P12ihipStream_tbDpT10_ENKUlT_T0_E_clISt17integral_constantIbLb1EES1B_EEDaS16_S17_EUlS16_E_NS1_11comp_targetILNS1_3genE9ELNS1_11target_archE1100ELNS1_3gpuE3ELNS1_3repE0EEENS1_30default_config_static_selectorELNS0_4arch9wavefront6targetE0EEEvT1_
	.p2align	8
	.type	_ZN7rocprim17ROCPRIM_400000_NS6detail17trampoline_kernelINS0_14default_configENS1_25partition_config_selectorILNS1_17partition_subalgoE5EdNS0_10empty_typeEbEEZZNS1_14partition_implILS5_5ELb0ES3_mN6thrust23THRUST_200600_302600_NS6detail15normal_iteratorINSA_10device_ptrIdEEEEPS6_NSA_18transform_iteratorINSB_9not_fun_tI7is_trueIdEEESF_NSA_11use_defaultESM_EENS0_5tupleIJSF_S6_EEENSO_IJSG_SG_EEES6_PlJS6_EEE10hipError_tPvRmT3_T4_T5_T6_T7_T9_mT8_P12ihipStream_tbDpT10_ENKUlT_T0_E_clISt17integral_constantIbLb1EES1B_EEDaS16_S17_EUlS16_E_NS1_11comp_targetILNS1_3genE9ELNS1_11target_archE1100ELNS1_3gpuE3ELNS1_3repE0EEENS1_30default_config_static_selectorELNS0_4arch9wavefront6targetE0EEEvT1_,@function
_ZN7rocprim17ROCPRIM_400000_NS6detail17trampoline_kernelINS0_14default_configENS1_25partition_config_selectorILNS1_17partition_subalgoE5EdNS0_10empty_typeEbEEZZNS1_14partition_implILS5_5ELb0ES3_mN6thrust23THRUST_200600_302600_NS6detail15normal_iteratorINSA_10device_ptrIdEEEEPS6_NSA_18transform_iteratorINSB_9not_fun_tI7is_trueIdEEESF_NSA_11use_defaultESM_EENS0_5tupleIJSF_S6_EEENSO_IJSG_SG_EEES6_PlJS6_EEE10hipError_tPvRmT3_T4_T5_T6_T7_T9_mT8_P12ihipStream_tbDpT10_ENKUlT_T0_E_clISt17integral_constantIbLb1EES1B_EEDaS16_S17_EUlS16_E_NS1_11comp_targetILNS1_3genE9ELNS1_11target_archE1100ELNS1_3gpuE3ELNS1_3repE0EEENS1_30default_config_static_selectorELNS0_4arch9wavefront6targetE0EEEvT1_: ; @_ZN7rocprim17ROCPRIM_400000_NS6detail17trampoline_kernelINS0_14default_configENS1_25partition_config_selectorILNS1_17partition_subalgoE5EdNS0_10empty_typeEbEEZZNS1_14partition_implILS5_5ELb0ES3_mN6thrust23THRUST_200600_302600_NS6detail15normal_iteratorINSA_10device_ptrIdEEEEPS6_NSA_18transform_iteratorINSB_9not_fun_tI7is_trueIdEEESF_NSA_11use_defaultESM_EENS0_5tupleIJSF_S6_EEENSO_IJSG_SG_EEES6_PlJS6_EEE10hipError_tPvRmT3_T4_T5_T6_T7_T9_mT8_P12ihipStream_tbDpT10_ENKUlT_T0_E_clISt17integral_constantIbLb1EES1B_EEDaS16_S17_EUlS16_E_NS1_11comp_targetILNS1_3genE9ELNS1_11target_archE1100ELNS1_3gpuE3ELNS1_3repE0EEENS1_30default_config_static_selectorELNS0_4arch9wavefront6targetE0EEEvT1_
; %bb.0:
	.section	.rodata,"a",@progbits
	.p2align	6, 0x0
	.amdhsa_kernel _ZN7rocprim17ROCPRIM_400000_NS6detail17trampoline_kernelINS0_14default_configENS1_25partition_config_selectorILNS1_17partition_subalgoE5EdNS0_10empty_typeEbEEZZNS1_14partition_implILS5_5ELb0ES3_mN6thrust23THRUST_200600_302600_NS6detail15normal_iteratorINSA_10device_ptrIdEEEEPS6_NSA_18transform_iteratorINSB_9not_fun_tI7is_trueIdEEESF_NSA_11use_defaultESM_EENS0_5tupleIJSF_S6_EEENSO_IJSG_SG_EEES6_PlJS6_EEE10hipError_tPvRmT3_T4_T5_T6_T7_T9_mT8_P12ihipStream_tbDpT10_ENKUlT_T0_E_clISt17integral_constantIbLb1EES1B_EEDaS16_S17_EUlS16_E_NS1_11comp_targetILNS1_3genE9ELNS1_11target_archE1100ELNS1_3gpuE3ELNS1_3repE0EEENS1_30default_config_static_selectorELNS0_4arch9wavefront6targetE0EEEvT1_
		.amdhsa_group_segment_fixed_size 0
		.amdhsa_private_segment_fixed_size 0
		.amdhsa_kernarg_size 136
		.amdhsa_user_sgpr_count 2
		.amdhsa_user_sgpr_dispatch_ptr 0
		.amdhsa_user_sgpr_queue_ptr 0
		.amdhsa_user_sgpr_kernarg_segment_ptr 1
		.amdhsa_user_sgpr_dispatch_id 0
		.amdhsa_user_sgpr_private_segment_size 0
		.amdhsa_wavefront_size32 1
		.amdhsa_uses_dynamic_stack 0
		.amdhsa_enable_private_segment 0
		.amdhsa_system_sgpr_workgroup_id_x 1
		.amdhsa_system_sgpr_workgroup_id_y 0
		.amdhsa_system_sgpr_workgroup_id_z 0
		.amdhsa_system_sgpr_workgroup_info 0
		.amdhsa_system_vgpr_workitem_id 0
		.amdhsa_next_free_vgpr 1
		.amdhsa_next_free_sgpr 1
		.amdhsa_reserve_vcc 0
		.amdhsa_float_round_mode_32 0
		.amdhsa_float_round_mode_16_64 0
		.amdhsa_float_denorm_mode_32 3
		.amdhsa_float_denorm_mode_16_64 3
		.amdhsa_fp16_overflow 0
		.amdhsa_workgroup_processor_mode 1
		.amdhsa_memory_ordered 1
		.amdhsa_forward_progress 1
		.amdhsa_inst_pref_size 0
		.amdhsa_round_robin_scheduling 0
		.amdhsa_exception_fp_ieee_invalid_op 0
		.amdhsa_exception_fp_denorm_src 0
		.amdhsa_exception_fp_ieee_div_zero 0
		.amdhsa_exception_fp_ieee_overflow 0
		.amdhsa_exception_fp_ieee_underflow 0
		.amdhsa_exception_fp_ieee_inexact 0
		.amdhsa_exception_int_div_zero 0
	.end_amdhsa_kernel
	.section	.text._ZN7rocprim17ROCPRIM_400000_NS6detail17trampoline_kernelINS0_14default_configENS1_25partition_config_selectorILNS1_17partition_subalgoE5EdNS0_10empty_typeEbEEZZNS1_14partition_implILS5_5ELb0ES3_mN6thrust23THRUST_200600_302600_NS6detail15normal_iteratorINSA_10device_ptrIdEEEEPS6_NSA_18transform_iteratorINSB_9not_fun_tI7is_trueIdEEESF_NSA_11use_defaultESM_EENS0_5tupleIJSF_S6_EEENSO_IJSG_SG_EEES6_PlJS6_EEE10hipError_tPvRmT3_T4_T5_T6_T7_T9_mT8_P12ihipStream_tbDpT10_ENKUlT_T0_E_clISt17integral_constantIbLb1EES1B_EEDaS16_S17_EUlS16_E_NS1_11comp_targetILNS1_3genE9ELNS1_11target_archE1100ELNS1_3gpuE3ELNS1_3repE0EEENS1_30default_config_static_selectorELNS0_4arch9wavefront6targetE0EEEvT1_,"axG",@progbits,_ZN7rocprim17ROCPRIM_400000_NS6detail17trampoline_kernelINS0_14default_configENS1_25partition_config_selectorILNS1_17partition_subalgoE5EdNS0_10empty_typeEbEEZZNS1_14partition_implILS5_5ELb0ES3_mN6thrust23THRUST_200600_302600_NS6detail15normal_iteratorINSA_10device_ptrIdEEEEPS6_NSA_18transform_iteratorINSB_9not_fun_tI7is_trueIdEEESF_NSA_11use_defaultESM_EENS0_5tupleIJSF_S6_EEENSO_IJSG_SG_EEES6_PlJS6_EEE10hipError_tPvRmT3_T4_T5_T6_T7_T9_mT8_P12ihipStream_tbDpT10_ENKUlT_T0_E_clISt17integral_constantIbLb1EES1B_EEDaS16_S17_EUlS16_E_NS1_11comp_targetILNS1_3genE9ELNS1_11target_archE1100ELNS1_3gpuE3ELNS1_3repE0EEENS1_30default_config_static_selectorELNS0_4arch9wavefront6targetE0EEEvT1_,comdat
.Lfunc_end1316:
	.size	_ZN7rocprim17ROCPRIM_400000_NS6detail17trampoline_kernelINS0_14default_configENS1_25partition_config_selectorILNS1_17partition_subalgoE5EdNS0_10empty_typeEbEEZZNS1_14partition_implILS5_5ELb0ES3_mN6thrust23THRUST_200600_302600_NS6detail15normal_iteratorINSA_10device_ptrIdEEEEPS6_NSA_18transform_iteratorINSB_9not_fun_tI7is_trueIdEEESF_NSA_11use_defaultESM_EENS0_5tupleIJSF_S6_EEENSO_IJSG_SG_EEES6_PlJS6_EEE10hipError_tPvRmT3_T4_T5_T6_T7_T9_mT8_P12ihipStream_tbDpT10_ENKUlT_T0_E_clISt17integral_constantIbLb1EES1B_EEDaS16_S17_EUlS16_E_NS1_11comp_targetILNS1_3genE9ELNS1_11target_archE1100ELNS1_3gpuE3ELNS1_3repE0EEENS1_30default_config_static_selectorELNS0_4arch9wavefront6targetE0EEEvT1_, .Lfunc_end1316-_ZN7rocprim17ROCPRIM_400000_NS6detail17trampoline_kernelINS0_14default_configENS1_25partition_config_selectorILNS1_17partition_subalgoE5EdNS0_10empty_typeEbEEZZNS1_14partition_implILS5_5ELb0ES3_mN6thrust23THRUST_200600_302600_NS6detail15normal_iteratorINSA_10device_ptrIdEEEEPS6_NSA_18transform_iteratorINSB_9not_fun_tI7is_trueIdEEESF_NSA_11use_defaultESM_EENS0_5tupleIJSF_S6_EEENSO_IJSG_SG_EEES6_PlJS6_EEE10hipError_tPvRmT3_T4_T5_T6_T7_T9_mT8_P12ihipStream_tbDpT10_ENKUlT_T0_E_clISt17integral_constantIbLb1EES1B_EEDaS16_S17_EUlS16_E_NS1_11comp_targetILNS1_3genE9ELNS1_11target_archE1100ELNS1_3gpuE3ELNS1_3repE0EEENS1_30default_config_static_selectorELNS0_4arch9wavefront6targetE0EEEvT1_
                                        ; -- End function
	.set _ZN7rocprim17ROCPRIM_400000_NS6detail17trampoline_kernelINS0_14default_configENS1_25partition_config_selectorILNS1_17partition_subalgoE5EdNS0_10empty_typeEbEEZZNS1_14partition_implILS5_5ELb0ES3_mN6thrust23THRUST_200600_302600_NS6detail15normal_iteratorINSA_10device_ptrIdEEEEPS6_NSA_18transform_iteratorINSB_9not_fun_tI7is_trueIdEEESF_NSA_11use_defaultESM_EENS0_5tupleIJSF_S6_EEENSO_IJSG_SG_EEES6_PlJS6_EEE10hipError_tPvRmT3_T4_T5_T6_T7_T9_mT8_P12ihipStream_tbDpT10_ENKUlT_T0_E_clISt17integral_constantIbLb1EES1B_EEDaS16_S17_EUlS16_E_NS1_11comp_targetILNS1_3genE9ELNS1_11target_archE1100ELNS1_3gpuE3ELNS1_3repE0EEENS1_30default_config_static_selectorELNS0_4arch9wavefront6targetE0EEEvT1_.num_vgpr, 0
	.set _ZN7rocprim17ROCPRIM_400000_NS6detail17trampoline_kernelINS0_14default_configENS1_25partition_config_selectorILNS1_17partition_subalgoE5EdNS0_10empty_typeEbEEZZNS1_14partition_implILS5_5ELb0ES3_mN6thrust23THRUST_200600_302600_NS6detail15normal_iteratorINSA_10device_ptrIdEEEEPS6_NSA_18transform_iteratorINSB_9not_fun_tI7is_trueIdEEESF_NSA_11use_defaultESM_EENS0_5tupleIJSF_S6_EEENSO_IJSG_SG_EEES6_PlJS6_EEE10hipError_tPvRmT3_T4_T5_T6_T7_T9_mT8_P12ihipStream_tbDpT10_ENKUlT_T0_E_clISt17integral_constantIbLb1EES1B_EEDaS16_S17_EUlS16_E_NS1_11comp_targetILNS1_3genE9ELNS1_11target_archE1100ELNS1_3gpuE3ELNS1_3repE0EEENS1_30default_config_static_selectorELNS0_4arch9wavefront6targetE0EEEvT1_.num_agpr, 0
	.set _ZN7rocprim17ROCPRIM_400000_NS6detail17trampoline_kernelINS0_14default_configENS1_25partition_config_selectorILNS1_17partition_subalgoE5EdNS0_10empty_typeEbEEZZNS1_14partition_implILS5_5ELb0ES3_mN6thrust23THRUST_200600_302600_NS6detail15normal_iteratorINSA_10device_ptrIdEEEEPS6_NSA_18transform_iteratorINSB_9not_fun_tI7is_trueIdEEESF_NSA_11use_defaultESM_EENS0_5tupleIJSF_S6_EEENSO_IJSG_SG_EEES6_PlJS6_EEE10hipError_tPvRmT3_T4_T5_T6_T7_T9_mT8_P12ihipStream_tbDpT10_ENKUlT_T0_E_clISt17integral_constantIbLb1EES1B_EEDaS16_S17_EUlS16_E_NS1_11comp_targetILNS1_3genE9ELNS1_11target_archE1100ELNS1_3gpuE3ELNS1_3repE0EEENS1_30default_config_static_selectorELNS0_4arch9wavefront6targetE0EEEvT1_.numbered_sgpr, 0
	.set _ZN7rocprim17ROCPRIM_400000_NS6detail17trampoline_kernelINS0_14default_configENS1_25partition_config_selectorILNS1_17partition_subalgoE5EdNS0_10empty_typeEbEEZZNS1_14partition_implILS5_5ELb0ES3_mN6thrust23THRUST_200600_302600_NS6detail15normal_iteratorINSA_10device_ptrIdEEEEPS6_NSA_18transform_iteratorINSB_9not_fun_tI7is_trueIdEEESF_NSA_11use_defaultESM_EENS0_5tupleIJSF_S6_EEENSO_IJSG_SG_EEES6_PlJS6_EEE10hipError_tPvRmT3_T4_T5_T6_T7_T9_mT8_P12ihipStream_tbDpT10_ENKUlT_T0_E_clISt17integral_constantIbLb1EES1B_EEDaS16_S17_EUlS16_E_NS1_11comp_targetILNS1_3genE9ELNS1_11target_archE1100ELNS1_3gpuE3ELNS1_3repE0EEENS1_30default_config_static_selectorELNS0_4arch9wavefront6targetE0EEEvT1_.num_named_barrier, 0
	.set _ZN7rocprim17ROCPRIM_400000_NS6detail17trampoline_kernelINS0_14default_configENS1_25partition_config_selectorILNS1_17partition_subalgoE5EdNS0_10empty_typeEbEEZZNS1_14partition_implILS5_5ELb0ES3_mN6thrust23THRUST_200600_302600_NS6detail15normal_iteratorINSA_10device_ptrIdEEEEPS6_NSA_18transform_iteratorINSB_9not_fun_tI7is_trueIdEEESF_NSA_11use_defaultESM_EENS0_5tupleIJSF_S6_EEENSO_IJSG_SG_EEES6_PlJS6_EEE10hipError_tPvRmT3_T4_T5_T6_T7_T9_mT8_P12ihipStream_tbDpT10_ENKUlT_T0_E_clISt17integral_constantIbLb1EES1B_EEDaS16_S17_EUlS16_E_NS1_11comp_targetILNS1_3genE9ELNS1_11target_archE1100ELNS1_3gpuE3ELNS1_3repE0EEENS1_30default_config_static_selectorELNS0_4arch9wavefront6targetE0EEEvT1_.private_seg_size, 0
	.set _ZN7rocprim17ROCPRIM_400000_NS6detail17trampoline_kernelINS0_14default_configENS1_25partition_config_selectorILNS1_17partition_subalgoE5EdNS0_10empty_typeEbEEZZNS1_14partition_implILS5_5ELb0ES3_mN6thrust23THRUST_200600_302600_NS6detail15normal_iteratorINSA_10device_ptrIdEEEEPS6_NSA_18transform_iteratorINSB_9not_fun_tI7is_trueIdEEESF_NSA_11use_defaultESM_EENS0_5tupleIJSF_S6_EEENSO_IJSG_SG_EEES6_PlJS6_EEE10hipError_tPvRmT3_T4_T5_T6_T7_T9_mT8_P12ihipStream_tbDpT10_ENKUlT_T0_E_clISt17integral_constantIbLb1EES1B_EEDaS16_S17_EUlS16_E_NS1_11comp_targetILNS1_3genE9ELNS1_11target_archE1100ELNS1_3gpuE3ELNS1_3repE0EEENS1_30default_config_static_selectorELNS0_4arch9wavefront6targetE0EEEvT1_.uses_vcc, 0
	.set _ZN7rocprim17ROCPRIM_400000_NS6detail17trampoline_kernelINS0_14default_configENS1_25partition_config_selectorILNS1_17partition_subalgoE5EdNS0_10empty_typeEbEEZZNS1_14partition_implILS5_5ELb0ES3_mN6thrust23THRUST_200600_302600_NS6detail15normal_iteratorINSA_10device_ptrIdEEEEPS6_NSA_18transform_iteratorINSB_9not_fun_tI7is_trueIdEEESF_NSA_11use_defaultESM_EENS0_5tupleIJSF_S6_EEENSO_IJSG_SG_EEES6_PlJS6_EEE10hipError_tPvRmT3_T4_T5_T6_T7_T9_mT8_P12ihipStream_tbDpT10_ENKUlT_T0_E_clISt17integral_constantIbLb1EES1B_EEDaS16_S17_EUlS16_E_NS1_11comp_targetILNS1_3genE9ELNS1_11target_archE1100ELNS1_3gpuE3ELNS1_3repE0EEENS1_30default_config_static_selectorELNS0_4arch9wavefront6targetE0EEEvT1_.uses_flat_scratch, 0
	.set _ZN7rocprim17ROCPRIM_400000_NS6detail17trampoline_kernelINS0_14default_configENS1_25partition_config_selectorILNS1_17partition_subalgoE5EdNS0_10empty_typeEbEEZZNS1_14partition_implILS5_5ELb0ES3_mN6thrust23THRUST_200600_302600_NS6detail15normal_iteratorINSA_10device_ptrIdEEEEPS6_NSA_18transform_iteratorINSB_9not_fun_tI7is_trueIdEEESF_NSA_11use_defaultESM_EENS0_5tupleIJSF_S6_EEENSO_IJSG_SG_EEES6_PlJS6_EEE10hipError_tPvRmT3_T4_T5_T6_T7_T9_mT8_P12ihipStream_tbDpT10_ENKUlT_T0_E_clISt17integral_constantIbLb1EES1B_EEDaS16_S17_EUlS16_E_NS1_11comp_targetILNS1_3genE9ELNS1_11target_archE1100ELNS1_3gpuE3ELNS1_3repE0EEENS1_30default_config_static_selectorELNS0_4arch9wavefront6targetE0EEEvT1_.has_dyn_sized_stack, 0
	.set _ZN7rocprim17ROCPRIM_400000_NS6detail17trampoline_kernelINS0_14default_configENS1_25partition_config_selectorILNS1_17partition_subalgoE5EdNS0_10empty_typeEbEEZZNS1_14partition_implILS5_5ELb0ES3_mN6thrust23THRUST_200600_302600_NS6detail15normal_iteratorINSA_10device_ptrIdEEEEPS6_NSA_18transform_iteratorINSB_9not_fun_tI7is_trueIdEEESF_NSA_11use_defaultESM_EENS0_5tupleIJSF_S6_EEENSO_IJSG_SG_EEES6_PlJS6_EEE10hipError_tPvRmT3_T4_T5_T6_T7_T9_mT8_P12ihipStream_tbDpT10_ENKUlT_T0_E_clISt17integral_constantIbLb1EES1B_EEDaS16_S17_EUlS16_E_NS1_11comp_targetILNS1_3genE9ELNS1_11target_archE1100ELNS1_3gpuE3ELNS1_3repE0EEENS1_30default_config_static_selectorELNS0_4arch9wavefront6targetE0EEEvT1_.has_recursion, 0
	.set _ZN7rocprim17ROCPRIM_400000_NS6detail17trampoline_kernelINS0_14default_configENS1_25partition_config_selectorILNS1_17partition_subalgoE5EdNS0_10empty_typeEbEEZZNS1_14partition_implILS5_5ELb0ES3_mN6thrust23THRUST_200600_302600_NS6detail15normal_iteratorINSA_10device_ptrIdEEEEPS6_NSA_18transform_iteratorINSB_9not_fun_tI7is_trueIdEEESF_NSA_11use_defaultESM_EENS0_5tupleIJSF_S6_EEENSO_IJSG_SG_EEES6_PlJS6_EEE10hipError_tPvRmT3_T4_T5_T6_T7_T9_mT8_P12ihipStream_tbDpT10_ENKUlT_T0_E_clISt17integral_constantIbLb1EES1B_EEDaS16_S17_EUlS16_E_NS1_11comp_targetILNS1_3genE9ELNS1_11target_archE1100ELNS1_3gpuE3ELNS1_3repE0EEENS1_30default_config_static_selectorELNS0_4arch9wavefront6targetE0EEEvT1_.has_indirect_call, 0
	.section	.AMDGPU.csdata,"",@progbits
; Kernel info:
; codeLenInByte = 0
; TotalNumSgprs: 0
; NumVgprs: 0
; ScratchSize: 0
; MemoryBound: 0
; FloatMode: 240
; IeeeMode: 1
; LDSByteSize: 0 bytes/workgroup (compile time only)
; SGPRBlocks: 0
; VGPRBlocks: 0
; NumSGPRsForWavesPerEU: 1
; NumVGPRsForWavesPerEU: 1
; Occupancy: 16
; WaveLimiterHint : 0
; COMPUTE_PGM_RSRC2:SCRATCH_EN: 0
; COMPUTE_PGM_RSRC2:USER_SGPR: 2
; COMPUTE_PGM_RSRC2:TRAP_HANDLER: 0
; COMPUTE_PGM_RSRC2:TGID_X_EN: 1
; COMPUTE_PGM_RSRC2:TGID_Y_EN: 0
; COMPUTE_PGM_RSRC2:TGID_Z_EN: 0
; COMPUTE_PGM_RSRC2:TIDIG_COMP_CNT: 0
	.section	.text._ZN7rocprim17ROCPRIM_400000_NS6detail17trampoline_kernelINS0_14default_configENS1_25partition_config_selectorILNS1_17partition_subalgoE5EdNS0_10empty_typeEbEEZZNS1_14partition_implILS5_5ELb0ES3_mN6thrust23THRUST_200600_302600_NS6detail15normal_iteratorINSA_10device_ptrIdEEEEPS6_NSA_18transform_iteratorINSB_9not_fun_tI7is_trueIdEEESF_NSA_11use_defaultESM_EENS0_5tupleIJSF_S6_EEENSO_IJSG_SG_EEES6_PlJS6_EEE10hipError_tPvRmT3_T4_T5_T6_T7_T9_mT8_P12ihipStream_tbDpT10_ENKUlT_T0_E_clISt17integral_constantIbLb1EES1B_EEDaS16_S17_EUlS16_E_NS1_11comp_targetILNS1_3genE8ELNS1_11target_archE1030ELNS1_3gpuE2ELNS1_3repE0EEENS1_30default_config_static_selectorELNS0_4arch9wavefront6targetE0EEEvT1_,"axG",@progbits,_ZN7rocprim17ROCPRIM_400000_NS6detail17trampoline_kernelINS0_14default_configENS1_25partition_config_selectorILNS1_17partition_subalgoE5EdNS0_10empty_typeEbEEZZNS1_14partition_implILS5_5ELb0ES3_mN6thrust23THRUST_200600_302600_NS6detail15normal_iteratorINSA_10device_ptrIdEEEEPS6_NSA_18transform_iteratorINSB_9not_fun_tI7is_trueIdEEESF_NSA_11use_defaultESM_EENS0_5tupleIJSF_S6_EEENSO_IJSG_SG_EEES6_PlJS6_EEE10hipError_tPvRmT3_T4_T5_T6_T7_T9_mT8_P12ihipStream_tbDpT10_ENKUlT_T0_E_clISt17integral_constantIbLb1EES1B_EEDaS16_S17_EUlS16_E_NS1_11comp_targetILNS1_3genE8ELNS1_11target_archE1030ELNS1_3gpuE2ELNS1_3repE0EEENS1_30default_config_static_selectorELNS0_4arch9wavefront6targetE0EEEvT1_,comdat
	.protected	_ZN7rocprim17ROCPRIM_400000_NS6detail17trampoline_kernelINS0_14default_configENS1_25partition_config_selectorILNS1_17partition_subalgoE5EdNS0_10empty_typeEbEEZZNS1_14partition_implILS5_5ELb0ES3_mN6thrust23THRUST_200600_302600_NS6detail15normal_iteratorINSA_10device_ptrIdEEEEPS6_NSA_18transform_iteratorINSB_9not_fun_tI7is_trueIdEEESF_NSA_11use_defaultESM_EENS0_5tupleIJSF_S6_EEENSO_IJSG_SG_EEES6_PlJS6_EEE10hipError_tPvRmT3_T4_T5_T6_T7_T9_mT8_P12ihipStream_tbDpT10_ENKUlT_T0_E_clISt17integral_constantIbLb1EES1B_EEDaS16_S17_EUlS16_E_NS1_11comp_targetILNS1_3genE8ELNS1_11target_archE1030ELNS1_3gpuE2ELNS1_3repE0EEENS1_30default_config_static_selectorELNS0_4arch9wavefront6targetE0EEEvT1_ ; -- Begin function _ZN7rocprim17ROCPRIM_400000_NS6detail17trampoline_kernelINS0_14default_configENS1_25partition_config_selectorILNS1_17partition_subalgoE5EdNS0_10empty_typeEbEEZZNS1_14partition_implILS5_5ELb0ES3_mN6thrust23THRUST_200600_302600_NS6detail15normal_iteratorINSA_10device_ptrIdEEEEPS6_NSA_18transform_iteratorINSB_9not_fun_tI7is_trueIdEEESF_NSA_11use_defaultESM_EENS0_5tupleIJSF_S6_EEENSO_IJSG_SG_EEES6_PlJS6_EEE10hipError_tPvRmT3_T4_T5_T6_T7_T9_mT8_P12ihipStream_tbDpT10_ENKUlT_T0_E_clISt17integral_constantIbLb1EES1B_EEDaS16_S17_EUlS16_E_NS1_11comp_targetILNS1_3genE8ELNS1_11target_archE1030ELNS1_3gpuE2ELNS1_3repE0EEENS1_30default_config_static_selectorELNS0_4arch9wavefront6targetE0EEEvT1_
	.globl	_ZN7rocprim17ROCPRIM_400000_NS6detail17trampoline_kernelINS0_14default_configENS1_25partition_config_selectorILNS1_17partition_subalgoE5EdNS0_10empty_typeEbEEZZNS1_14partition_implILS5_5ELb0ES3_mN6thrust23THRUST_200600_302600_NS6detail15normal_iteratorINSA_10device_ptrIdEEEEPS6_NSA_18transform_iteratorINSB_9not_fun_tI7is_trueIdEEESF_NSA_11use_defaultESM_EENS0_5tupleIJSF_S6_EEENSO_IJSG_SG_EEES6_PlJS6_EEE10hipError_tPvRmT3_T4_T5_T6_T7_T9_mT8_P12ihipStream_tbDpT10_ENKUlT_T0_E_clISt17integral_constantIbLb1EES1B_EEDaS16_S17_EUlS16_E_NS1_11comp_targetILNS1_3genE8ELNS1_11target_archE1030ELNS1_3gpuE2ELNS1_3repE0EEENS1_30default_config_static_selectorELNS0_4arch9wavefront6targetE0EEEvT1_
	.p2align	8
	.type	_ZN7rocprim17ROCPRIM_400000_NS6detail17trampoline_kernelINS0_14default_configENS1_25partition_config_selectorILNS1_17partition_subalgoE5EdNS0_10empty_typeEbEEZZNS1_14partition_implILS5_5ELb0ES3_mN6thrust23THRUST_200600_302600_NS6detail15normal_iteratorINSA_10device_ptrIdEEEEPS6_NSA_18transform_iteratorINSB_9not_fun_tI7is_trueIdEEESF_NSA_11use_defaultESM_EENS0_5tupleIJSF_S6_EEENSO_IJSG_SG_EEES6_PlJS6_EEE10hipError_tPvRmT3_T4_T5_T6_T7_T9_mT8_P12ihipStream_tbDpT10_ENKUlT_T0_E_clISt17integral_constantIbLb1EES1B_EEDaS16_S17_EUlS16_E_NS1_11comp_targetILNS1_3genE8ELNS1_11target_archE1030ELNS1_3gpuE2ELNS1_3repE0EEENS1_30default_config_static_selectorELNS0_4arch9wavefront6targetE0EEEvT1_,@function
_ZN7rocprim17ROCPRIM_400000_NS6detail17trampoline_kernelINS0_14default_configENS1_25partition_config_selectorILNS1_17partition_subalgoE5EdNS0_10empty_typeEbEEZZNS1_14partition_implILS5_5ELb0ES3_mN6thrust23THRUST_200600_302600_NS6detail15normal_iteratorINSA_10device_ptrIdEEEEPS6_NSA_18transform_iteratorINSB_9not_fun_tI7is_trueIdEEESF_NSA_11use_defaultESM_EENS0_5tupleIJSF_S6_EEENSO_IJSG_SG_EEES6_PlJS6_EEE10hipError_tPvRmT3_T4_T5_T6_T7_T9_mT8_P12ihipStream_tbDpT10_ENKUlT_T0_E_clISt17integral_constantIbLb1EES1B_EEDaS16_S17_EUlS16_E_NS1_11comp_targetILNS1_3genE8ELNS1_11target_archE1030ELNS1_3gpuE2ELNS1_3repE0EEENS1_30default_config_static_selectorELNS0_4arch9wavefront6targetE0EEEvT1_: ; @_ZN7rocprim17ROCPRIM_400000_NS6detail17trampoline_kernelINS0_14default_configENS1_25partition_config_selectorILNS1_17partition_subalgoE5EdNS0_10empty_typeEbEEZZNS1_14partition_implILS5_5ELb0ES3_mN6thrust23THRUST_200600_302600_NS6detail15normal_iteratorINSA_10device_ptrIdEEEEPS6_NSA_18transform_iteratorINSB_9not_fun_tI7is_trueIdEEESF_NSA_11use_defaultESM_EENS0_5tupleIJSF_S6_EEENSO_IJSG_SG_EEES6_PlJS6_EEE10hipError_tPvRmT3_T4_T5_T6_T7_T9_mT8_P12ihipStream_tbDpT10_ENKUlT_T0_E_clISt17integral_constantIbLb1EES1B_EEDaS16_S17_EUlS16_E_NS1_11comp_targetILNS1_3genE8ELNS1_11target_archE1030ELNS1_3gpuE2ELNS1_3repE0EEENS1_30default_config_static_selectorELNS0_4arch9wavefront6targetE0EEEvT1_
; %bb.0:
	.section	.rodata,"a",@progbits
	.p2align	6, 0x0
	.amdhsa_kernel _ZN7rocprim17ROCPRIM_400000_NS6detail17trampoline_kernelINS0_14default_configENS1_25partition_config_selectorILNS1_17partition_subalgoE5EdNS0_10empty_typeEbEEZZNS1_14partition_implILS5_5ELb0ES3_mN6thrust23THRUST_200600_302600_NS6detail15normal_iteratorINSA_10device_ptrIdEEEEPS6_NSA_18transform_iteratorINSB_9not_fun_tI7is_trueIdEEESF_NSA_11use_defaultESM_EENS0_5tupleIJSF_S6_EEENSO_IJSG_SG_EEES6_PlJS6_EEE10hipError_tPvRmT3_T4_T5_T6_T7_T9_mT8_P12ihipStream_tbDpT10_ENKUlT_T0_E_clISt17integral_constantIbLb1EES1B_EEDaS16_S17_EUlS16_E_NS1_11comp_targetILNS1_3genE8ELNS1_11target_archE1030ELNS1_3gpuE2ELNS1_3repE0EEENS1_30default_config_static_selectorELNS0_4arch9wavefront6targetE0EEEvT1_
		.amdhsa_group_segment_fixed_size 0
		.amdhsa_private_segment_fixed_size 0
		.amdhsa_kernarg_size 136
		.amdhsa_user_sgpr_count 2
		.amdhsa_user_sgpr_dispatch_ptr 0
		.amdhsa_user_sgpr_queue_ptr 0
		.amdhsa_user_sgpr_kernarg_segment_ptr 1
		.amdhsa_user_sgpr_dispatch_id 0
		.amdhsa_user_sgpr_private_segment_size 0
		.amdhsa_wavefront_size32 1
		.amdhsa_uses_dynamic_stack 0
		.amdhsa_enable_private_segment 0
		.amdhsa_system_sgpr_workgroup_id_x 1
		.amdhsa_system_sgpr_workgroup_id_y 0
		.amdhsa_system_sgpr_workgroup_id_z 0
		.amdhsa_system_sgpr_workgroup_info 0
		.amdhsa_system_vgpr_workitem_id 0
		.amdhsa_next_free_vgpr 1
		.amdhsa_next_free_sgpr 1
		.amdhsa_reserve_vcc 0
		.amdhsa_float_round_mode_32 0
		.amdhsa_float_round_mode_16_64 0
		.amdhsa_float_denorm_mode_32 3
		.amdhsa_float_denorm_mode_16_64 3
		.amdhsa_fp16_overflow 0
		.amdhsa_workgroup_processor_mode 1
		.amdhsa_memory_ordered 1
		.amdhsa_forward_progress 1
		.amdhsa_inst_pref_size 0
		.amdhsa_round_robin_scheduling 0
		.amdhsa_exception_fp_ieee_invalid_op 0
		.amdhsa_exception_fp_denorm_src 0
		.amdhsa_exception_fp_ieee_div_zero 0
		.amdhsa_exception_fp_ieee_overflow 0
		.amdhsa_exception_fp_ieee_underflow 0
		.amdhsa_exception_fp_ieee_inexact 0
		.amdhsa_exception_int_div_zero 0
	.end_amdhsa_kernel
	.section	.text._ZN7rocprim17ROCPRIM_400000_NS6detail17trampoline_kernelINS0_14default_configENS1_25partition_config_selectorILNS1_17partition_subalgoE5EdNS0_10empty_typeEbEEZZNS1_14partition_implILS5_5ELb0ES3_mN6thrust23THRUST_200600_302600_NS6detail15normal_iteratorINSA_10device_ptrIdEEEEPS6_NSA_18transform_iteratorINSB_9not_fun_tI7is_trueIdEEESF_NSA_11use_defaultESM_EENS0_5tupleIJSF_S6_EEENSO_IJSG_SG_EEES6_PlJS6_EEE10hipError_tPvRmT3_T4_T5_T6_T7_T9_mT8_P12ihipStream_tbDpT10_ENKUlT_T0_E_clISt17integral_constantIbLb1EES1B_EEDaS16_S17_EUlS16_E_NS1_11comp_targetILNS1_3genE8ELNS1_11target_archE1030ELNS1_3gpuE2ELNS1_3repE0EEENS1_30default_config_static_selectorELNS0_4arch9wavefront6targetE0EEEvT1_,"axG",@progbits,_ZN7rocprim17ROCPRIM_400000_NS6detail17trampoline_kernelINS0_14default_configENS1_25partition_config_selectorILNS1_17partition_subalgoE5EdNS0_10empty_typeEbEEZZNS1_14partition_implILS5_5ELb0ES3_mN6thrust23THRUST_200600_302600_NS6detail15normal_iteratorINSA_10device_ptrIdEEEEPS6_NSA_18transform_iteratorINSB_9not_fun_tI7is_trueIdEEESF_NSA_11use_defaultESM_EENS0_5tupleIJSF_S6_EEENSO_IJSG_SG_EEES6_PlJS6_EEE10hipError_tPvRmT3_T4_T5_T6_T7_T9_mT8_P12ihipStream_tbDpT10_ENKUlT_T0_E_clISt17integral_constantIbLb1EES1B_EEDaS16_S17_EUlS16_E_NS1_11comp_targetILNS1_3genE8ELNS1_11target_archE1030ELNS1_3gpuE2ELNS1_3repE0EEENS1_30default_config_static_selectorELNS0_4arch9wavefront6targetE0EEEvT1_,comdat
.Lfunc_end1317:
	.size	_ZN7rocprim17ROCPRIM_400000_NS6detail17trampoline_kernelINS0_14default_configENS1_25partition_config_selectorILNS1_17partition_subalgoE5EdNS0_10empty_typeEbEEZZNS1_14partition_implILS5_5ELb0ES3_mN6thrust23THRUST_200600_302600_NS6detail15normal_iteratorINSA_10device_ptrIdEEEEPS6_NSA_18transform_iteratorINSB_9not_fun_tI7is_trueIdEEESF_NSA_11use_defaultESM_EENS0_5tupleIJSF_S6_EEENSO_IJSG_SG_EEES6_PlJS6_EEE10hipError_tPvRmT3_T4_T5_T6_T7_T9_mT8_P12ihipStream_tbDpT10_ENKUlT_T0_E_clISt17integral_constantIbLb1EES1B_EEDaS16_S17_EUlS16_E_NS1_11comp_targetILNS1_3genE8ELNS1_11target_archE1030ELNS1_3gpuE2ELNS1_3repE0EEENS1_30default_config_static_selectorELNS0_4arch9wavefront6targetE0EEEvT1_, .Lfunc_end1317-_ZN7rocprim17ROCPRIM_400000_NS6detail17trampoline_kernelINS0_14default_configENS1_25partition_config_selectorILNS1_17partition_subalgoE5EdNS0_10empty_typeEbEEZZNS1_14partition_implILS5_5ELb0ES3_mN6thrust23THRUST_200600_302600_NS6detail15normal_iteratorINSA_10device_ptrIdEEEEPS6_NSA_18transform_iteratorINSB_9not_fun_tI7is_trueIdEEESF_NSA_11use_defaultESM_EENS0_5tupleIJSF_S6_EEENSO_IJSG_SG_EEES6_PlJS6_EEE10hipError_tPvRmT3_T4_T5_T6_T7_T9_mT8_P12ihipStream_tbDpT10_ENKUlT_T0_E_clISt17integral_constantIbLb1EES1B_EEDaS16_S17_EUlS16_E_NS1_11comp_targetILNS1_3genE8ELNS1_11target_archE1030ELNS1_3gpuE2ELNS1_3repE0EEENS1_30default_config_static_selectorELNS0_4arch9wavefront6targetE0EEEvT1_
                                        ; -- End function
	.set _ZN7rocprim17ROCPRIM_400000_NS6detail17trampoline_kernelINS0_14default_configENS1_25partition_config_selectorILNS1_17partition_subalgoE5EdNS0_10empty_typeEbEEZZNS1_14partition_implILS5_5ELb0ES3_mN6thrust23THRUST_200600_302600_NS6detail15normal_iteratorINSA_10device_ptrIdEEEEPS6_NSA_18transform_iteratorINSB_9not_fun_tI7is_trueIdEEESF_NSA_11use_defaultESM_EENS0_5tupleIJSF_S6_EEENSO_IJSG_SG_EEES6_PlJS6_EEE10hipError_tPvRmT3_T4_T5_T6_T7_T9_mT8_P12ihipStream_tbDpT10_ENKUlT_T0_E_clISt17integral_constantIbLb1EES1B_EEDaS16_S17_EUlS16_E_NS1_11comp_targetILNS1_3genE8ELNS1_11target_archE1030ELNS1_3gpuE2ELNS1_3repE0EEENS1_30default_config_static_selectorELNS0_4arch9wavefront6targetE0EEEvT1_.num_vgpr, 0
	.set _ZN7rocprim17ROCPRIM_400000_NS6detail17trampoline_kernelINS0_14default_configENS1_25partition_config_selectorILNS1_17partition_subalgoE5EdNS0_10empty_typeEbEEZZNS1_14partition_implILS5_5ELb0ES3_mN6thrust23THRUST_200600_302600_NS6detail15normal_iteratorINSA_10device_ptrIdEEEEPS6_NSA_18transform_iteratorINSB_9not_fun_tI7is_trueIdEEESF_NSA_11use_defaultESM_EENS0_5tupleIJSF_S6_EEENSO_IJSG_SG_EEES6_PlJS6_EEE10hipError_tPvRmT3_T4_T5_T6_T7_T9_mT8_P12ihipStream_tbDpT10_ENKUlT_T0_E_clISt17integral_constantIbLb1EES1B_EEDaS16_S17_EUlS16_E_NS1_11comp_targetILNS1_3genE8ELNS1_11target_archE1030ELNS1_3gpuE2ELNS1_3repE0EEENS1_30default_config_static_selectorELNS0_4arch9wavefront6targetE0EEEvT1_.num_agpr, 0
	.set _ZN7rocprim17ROCPRIM_400000_NS6detail17trampoline_kernelINS0_14default_configENS1_25partition_config_selectorILNS1_17partition_subalgoE5EdNS0_10empty_typeEbEEZZNS1_14partition_implILS5_5ELb0ES3_mN6thrust23THRUST_200600_302600_NS6detail15normal_iteratorINSA_10device_ptrIdEEEEPS6_NSA_18transform_iteratorINSB_9not_fun_tI7is_trueIdEEESF_NSA_11use_defaultESM_EENS0_5tupleIJSF_S6_EEENSO_IJSG_SG_EEES6_PlJS6_EEE10hipError_tPvRmT3_T4_T5_T6_T7_T9_mT8_P12ihipStream_tbDpT10_ENKUlT_T0_E_clISt17integral_constantIbLb1EES1B_EEDaS16_S17_EUlS16_E_NS1_11comp_targetILNS1_3genE8ELNS1_11target_archE1030ELNS1_3gpuE2ELNS1_3repE0EEENS1_30default_config_static_selectorELNS0_4arch9wavefront6targetE0EEEvT1_.numbered_sgpr, 0
	.set _ZN7rocprim17ROCPRIM_400000_NS6detail17trampoline_kernelINS0_14default_configENS1_25partition_config_selectorILNS1_17partition_subalgoE5EdNS0_10empty_typeEbEEZZNS1_14partition_implILS5_5ELb0ES3_mN6thrust23THRUST_200600_302600_NS6detail15normal_iteratorINSA_10device_ptrIdEEEEPS6_NSA_18transform_iteratorINSB_9not_fun_tI7is_trueIdEEESF_NSA_11use_defaultESM_EENS0_5tupleIJSF_S6_EEENSO_IJSG_SG_EEES6_PlJS6_EEE10hipError_tPvRmT3_T4_T5_T6_T7_T9_mT8_P12ihipStream_tbDpT10_ENKUlT_T0_E_clISt17integral_constantIbLb1EES1B_EEDaS16_S17_EUlS16_E_NS1_11comp_targetILNS1_3genE8ELNS1_11target_archE1030ELNS1_3gpuE2ELNS1_3repE0EEENS1_30default_config_static_selectorELNS0_4arch9wavefront6targetE0EEEvT1_.num_named_barrier, 0
	.set _ZN7rocprim17ROCPRIM_400000_NS6detail17trampoline_kernelINS0_14default_configENS1_25partition_config_selectorILNS1_17partition_subalgoE5EdNS0_10empty_typeEbEEZZNS1_14partition_implILS5_5ELb0ES3_mN6thrust23THRUST_200600_302600_NS6detail15normal_iteratorINSA_10device_ptrIdEEEEPS6_NSA_18transform_iteratorINSB_9not_fun_tI7is_trueIdEEESF_NSA_11use_defaultESM_EENS0_5tupleIJSF_S6_EEENSO_IJSG_SG_EEES6_PlJS6_EEE10hipError_tPvRmT3_T4_T5_T6_T7_T9_mT8_P12ihipStream_tbDpT10_ENKUlT_T0_E_clISt17integral_constantIbLb1EES1B_EEDaS16_S17_EUlS16_E_NS1_11comp_targetILNS1_3genE8ELNS1_11target_archE1030ELNS1_3gpuE2ELNS1_3repE0EEENS1_30default_config_static_selectorELNS0_4arch9wavefront6targetE0EEEvT1_.private_seg_size, 0
	.set _ZN7rocprim17ROCPRIM_400000_NS6detail17trampoline_kernelINS0_14default_configENS1_25partition_config_selectorILNS1_17partition_subalgoE5EdNS0_10empty_typeEbEEZZNS1_14partition_implILS5_5ELb0ES3_mN6thrust23THRUST_200600_302600_NS6detail15normal_iteratorINSA_10device_ptrIdEEEEPS6_NSA_18transform_iteratorINSB_9not_fun_tI7is_trueIdEEESF_NSA_11use_defaultESM_EENS0_5tupleIJSF_S6_EEENSO_IJSG_SG_EEES6_PlJS6_EEE10hipError_tPvRmT3_T4_T5_T6_T7_T9_mT8_P12ihipStream_tbDpT10_ENKUlT_T0_E_clISt17integral_constantIbLb1EES1B_EEDaS16_S17_EUlS16_E_NS1_11comp_targetILNS1_3genE8ELNS1_11target_archE1030ELNS1_3gpuE2ELNS1_3repE0EEENS1_30default_config_static_selectorELNS0_4arch9wavefront6targetE0EEEvT1_.uses_vcc, 0
	.set _ZN7rocprim17ROCPRIM_400000_NS6detail17trampoline_kernelINS0_14default_configENS1_25partition_config_selectorILNS1_17partition_subalgoE5EdNS0_10empty_typeEbEEZZNS1_14partition_implILS5_5ELb0ES3_mN6thrust23THRUST_200600_302600_NS6detail15normal_iteratorINSA_10device_ptrIdEEEEPS6_NSA_18transform_iteratorINSB_9not_fun_tI7is_trueIdEEESF_NSA_11use_defaultESM_EENS0_5tupleIJSF_S6_EEENSO_IJSG_SG_EEES6_PlJS6_EEE10hipError_tPvRmT3_T4_T5_T6_T7_T9_mT8_P12ihipStream_tbDpT10_ENKUlT_T0_E_clISt17integral_constantIbLb1EES1B_EEDaS16_S17_EUlS16_E_NS1_11comp_targetILNS1_3genE8ELNS1_11target_archE1030ELNS1_3gpuE2ELNS1_3repE0EEENS1_30default_config_static_selectorELNS0_4arch9wavefront6targetE0EEEvT1_.uses_flat_scratch, 0
	.set _ZN7rocprim17ROCPRIM_400000_NS6detail17trampoline_kernelINS0_14default_configENS1_25partition_config_selectorILNS1_17partition_subalgoE5EdNS0_10empty_typeEbEEZZNS1_14partition_implILS5_5ELb0ES3_mN6thrust23THRUST_200600_302600_NS6detail15normal_iteratorINSA_10device_ptrIdEEEEPS6_NSA_18transform_iteratorINSB_9not_fun_tI7is_trueIdEEESF_NSA_11use_defaultESM_EENS0_5tupleIJSF_S6_EEENSO_IJSG_SG_EEES6_PlJS6_EEE10hipError_tPvRmT3_T4_T5_T6_T7_T9_mT8_P12ihipStream_tbDpT10_ENKUlT_T0_E_clISt17integral_constantIbLb1EES1B_EEDaS16_S17_EUlS16_E_NS1_11comp_targetILNS1_3genE8ELNS1_11target_archE1030ELNS1_3gpuE2ELNS1_3repE0EEENS1_30default_config_static_selectorELNS0_4arch9wavefront6targetE0EEEvT1_.has_dyn_sized_stack, 0
	.set _ZN7rocprim17ROCPRIM_400000_NS6detail17trampoline_kernelINS0_14default_configENS1_25partition_config_selectorILNS1_17partition_subalgoE5EdNS0_10empty_typeEbEEZZNS1_14partition_implILS5_5ELb0ES3_mN6thrust23THRUST_200600_302600_NS6detail15normal_iteratorINSA_10device_ptrIdEEEEPS6_NSA_18transform_iteratorINSB_9not_fun_tI7is_trueIdEEESF_NSA_11use_defaultESM_EENS0_5tupleIJSF_S6_EEENSO_IJSG_SG_EEES6_PlJS6_EEE10hipError_tPvRmT3_T4_T5_T6_T7_T9_mT8_P12ihipStream_tbDpT10_ENKUlT_T0_E_clISt17integral_constantIbLb1EES1B_EEDaS16_S17_EUlS16_E_NS1_11comp_targetILNS1_3genE8ELNS1_11target_archE1030ELNS1_3gpuE2ELNS1_3repE0EEENS1_30default_config_static_selectorELNS0_4arch9wavefront6targetE0EEEvT1_.has_recursion, 0
	.set _ZN7rocprim17ROCPRIM_400000_NS6detail17trampoline_kernelINS0_14default_configENS1_25partition_config_selectorILNS1_17partition_subalgoE5EdNS0_10empty_typeEbEEZZNS1_14partition_implILS5_5ELb0ES3_mN6thrust23THRUST_200600_302600_NS6detail15normal_iteratorINSA_10device_ptrIdEEEEPS6_NSA_18transform_iteratorINSB_9not_fun_tI7is_trueIdEEESF_NSA_11use_defaultESM_EENS0_5tupleIJSF_S6_EEENSO_IJSG_SG_EEES6_PlJS6_EEE10hipError_tPvRmT3_T4_T5_T6_T7_T9_mT8_P12ihipStream_tbDpT10_ENKUlT_T0_E_clISt17integral_constantIbLb1EES1B_EEDaS16_S17_EUlS16_E_NS1_11comp_targetILNS1_3genE8ELNS1_11target_archE1030ELNS1_3gpuE2ELNS1_3repE0EEENS1_30default_config_static_selectorELNS0_4arch9wavefront6targetE0EEEvT1_.has_indirect_call, 0
	.section	.AMDGPU.csdata,"",@progbits
; Kernel info:
; codeLenInByte = 0
; TotalNumSgprs: 0
; NumVgprs: 0
; ScratchSize: 0
; MemoryBound: 0
; FloatMode: 240
; IeeeMode: 1
; LDSByteSize: 0 bytes/workgroup (compile time only)
; SGPRBlocks: 0
; VGPRBlocks: 0
; NumSGPRsForWavesPerEU: 1
; NumVGPRsForWavesPerEU: 1
; Occupancy: 16
; WaveLimiterHint : 0
; COMPUTE_PGM_RSRC2:SCRATCH_EN: 0
; COMPUTE_PGM_RSRC2:USER_SGPR: 2
; COMPUTE_PGM_RSRC2:TRAP_HANDLER: 0
; COMPUTE_PGM_RSRC2:TGID_X_EN: 1
; COMPUTE_PGM_RSRC2:TGID_Y_EN: 0
; COMPUTE_PGM_RSRC2:TGID_Z_EN: 0
; COMPUTE_PGM_RSRC2:TIDIG_COMP_CNT: 0
	.section	.text._ZN7rocprim17ROCPRIM_400000_NS6detail17trampoline_kernelINS0_14default_configENS1_25partition_config_selectorILNS1_17partition_subalgoE5EdNS0_10empty_typeEbEEZZNS1_14partition_implILS5_5ELb0ES3_mN6thrust23THRUST_200600_302600_NS6detail15normal_iteratorINSA_10device_ptrIdEEEEPS6_NSA_18transform_iteratorINSB_9not_fun_tI7is_trueIdEEESF_NSA_11use_defaultESM_EENS0_5tupleIJSF_S6_EEENSO_IJSG_SG_EEES6_PlJS6_EEE10hipError_tPvRmT3_T4_T5_T6_T7_T9_mT8_P12ihipStream_tbDpT10_ENKUlT_T0_E_clISt17integral_constantIbLb1EES1A_IbLb0EEEEDaS16_S17_EUlS16_E_NS1_11comp_targetILNS1_3genE0ELNS1_11target_archE4294967295ELNS1_3gpuE0ELNS1_3repE0EEENS1_30default_config_static_selectorELNS0_4arch9wavefront6targetE0EEEvT1_,"axG",@progbits,_ZN7rocprim17ROCPRIM_400000_NS6detail17trampoline_kernelINS0_14default_configENS1_25partition_config_selectorILNS1_17partition_subalgoE5EdNS0_10empty_typeEbEEZZNS1_14partition_implILS5_5ELb0ES3_mN6thrust23THRUST_200600_302600_NS6detail15normal_iteratorINSA_10device_ptrIdEEEEPS6_NSA_18transform_iteratorINSB_9not_fun_tI7is_trueIdEEESF_NSA_11use_defaultESM_EENS0_5tupleIJSF_S6_EEENSO_IJSG_SG_EEES6_PlJS6_EEE10hipError_tPvRmT3_T4_T5_T6_T7_T9_mT8_P12ihipStream_tbDpT10_ENKUlT_T0_E_clISt17integral_constantIbLb1EES1A_IbLb0EEEEDaS16_S17_EUlS16_E_NS1_11comp_targetILNS1_3genE0ELNS1_11target_archE4294967295ELNS1_3gpuE0ELNS1_3repE0EEENS1_30default_config_static_selectorELNS0_4arch9wavefront6targetE0EEEvT1_,comdat
	.protected	_ZN7rocprim17ROCPRIM_400000_NS6detail17trampoline_kernelINS0_14default_configENS1_25partition_config_selectorILNS1_17partition_subalgoE5EdNS0_10empty_typeEbEEZZNS1_14partition_implILS5_5ELb0ES3_mN6thrust23THRUST_200600_302600_NS6detail15normal_iteratorINSA_10device_ptrIdEEEEPS6_NSA_18transform_iteratorINSB_9not_fun_tI7is_trueIdEEESF_NSA_11use_defaultESM_EENS0_5tupleIJSF_S6_EEENSO_IJSG_SG_EEES6_PlJS6_EEE10hipError_tPvRmT3_T4_T5_T6_T7_T9_mT8_P12ihipStream_tbDpT10_ENKUlT_T0_E_clISt17integral_constantIbLb1EES1A_IbLb0EEEEDaS16_S17_EUlS16_E_NS1_11comp_targetILNS1_3genE0ELNS1_11target_archE4294967295ELNS1_3gpuE0ELNS1_3repE0EEENS1_30default_config_static_selectorELNS0_4arch9wavefront6targetE0EEEvT1_ ; -- Begin function _ZN7rocprim17ROCPRIM_400000_NS6detail17trampoline_kernelINS0_14default_configENS1_25partition_config_selectorILNS1_17partition_subalgoE5EdNS0_10empty_typeEbEEZZNS1_14partition_implILS5_5ELb0ES3_mN6thrust23THRUST_200600_302600_NS6detail15normal_iteratorINSA_10device_ptrIdEEEEPS6_NSA_18transform_iteratorINSB_9not_fun_tI7is_trueIdEEESF_NSA_11use_defaultESM_EENS0_5tupleIJSF_S6_EEENSO_IJSG_SG_EEES6_PlJS6_EEE10hipError_tPvRmT3_T4_T5_T6_T7_T9_mT8_P12ihipStream_tbDpT10_ENKUlT_T0_E_clISt17integral_constantIbLb1EES1A_IbLb0EEEEDaS16_S17_EUlS16_E_NS1_11comp_targetILNS1_3genE0ELNS1_11target_archE4294967295ELNS1_3gpuE0ELNS1_3repE0EEENS1_30default_config_static_selectorELNS0_4arch9wavefront6targetE0EEEvT1_
	.globl	_ZN7rocprim17ROCPRIM_400000_NS6detail17trampoline_kernelINS0_14default_configENS1_25partition_config_selectorILNS1_17partition_subalgoE5EdNS0_10empty_typeEbEEZZNS1_14partition_implILS5_5ELb0ES3_mN6thrust23THRUST_200600_302600_NS6detail15normal_iteratorINSA_10device_ptrIdEEEEPS6_NSA_18transform_iteratorINSB_9not_fun_tI7is_trueIdEEESF_NSA_11use_defaultESM_EENS0_5tupleIJSF_S6_EEENSO_IJSG_SG_EEES6_PlJS6_EEE10hipError_tPvRmT3_T4_T5_T6_T7_T9_mT8_P12ihipStream_tbDpT10_ENKUlT_T0_E_clISt17integral_constantIbLb1EES1A_IbLb0EEEEDaS16_S17_EUlS16_E_NS1_11comp_targetILNS1_3genE0ELNS1_11target_archE4294967295ELNS1_3gpuE0ELNS1_3repE0EEENS1_30default_config_static_selectorELNS0_4arch9wavefront6targetE0EEEvT1_
	.p2align	8
	.type	_ZN7rocprim17ROCPRIM_400000_NS6detail17trampoline_kernelINS0_14default_configENS1_25partition_config_selectorILNS1_17partition_subalgoE5EdNS0_10empty_typeEbEEZZNS1_14partition_implILS5_5ELb0ES3_mN6thrust23THRUST_200600_302600_NS6detail15normal_iteratorINSA_10device_ptrIdEEEEPS6_NSA_18transform_iteratorINSB_9not_fun_tI7is_trueIdEEESF_NSA_11use_defaultESM_EENS0_5tupleIJSF_S6_EEENSO_IJSG_SG_EEES6_PlJS6_EEE10hipError_tPvRmT3_T4_T5_T6_T7_T9_mT8_P12ihipStream_tbDpT10_ENKUlT_T0_E_clISt17integral_constantIbLb1EES1A_IbLb0EEEEDaS16_S17_EUlS16_E_NS1_11comp_targetILNS1_3genE0ELNS1_11target_archE4294967295ELNS1_3gpuE0ELNS1_3repE0EEENS1_30default_config_static_selectorELNS0_4arch9wavefront6targetE0EEEvT1_,@function
_ZN7rocprim17ROCPRIM_400000_NS6detail17trampoline_kernelINS0_14default_configENS1_25partition_config_selectorILNS1_17partition_subalgoE5EdNS0_10empty_typeEbEEZZNS1_14partition_implILS5_5ELb0ES3_mN6thrust23THRUST_200600_302600_NS6detail15normal_iteratorINSA_10device_ptrIdEEEEPS6_NSA_18transform_iteratorINSB_9not_fun_tI7is_trueIdEEESF_NSA_11use_defaultESM_EENS0_5tupleIJSF_S6_EEENSO_IJSG_SG_EEES6_PlJS6_EEE10hipError_tPvRmT3_T4_T5_T6_T7_T9_mT8_P12ihipStream_tbDpT10_ENKUlT_T0_E_clISt17integral_constantIbLb1EES1A_IbLb0EEEEDaS16_S17_EUlS16_E_NS1_11comp_targetILNS1_3genE0ELNS1_11target_archE4294967295ELNS1_3gpuE0ELNS1_3repE0EEENS1_30default_config_static_selectorELNS0_4arch9wavefront6targetE0EEEvT1_: ; @_ZN7rocprim17ROCPRIM_400000_NS6detail17trampoline_kernelINS0_14default_configENS1_25partition_config_selectorILNS1_17partition_subalgoE5EdNS0_10empty_typeEbEEZZNS1_14partition_implILS5_5ELb0ES3_mN6thrust23THRUST_200600_302600_NS6detail15normal_iteratorINSA_10device_ptrIdEEEEPS6_NSA_18transform_iteratorINSB_9not_fun_tI7is_trueIdEEESF_NSA_11use_defaultESM_EENS0_5tupleIJSF_S6_EEENSO_IJSG_SG_EEES6_PlJS6_EEE10hipError_tPvRmT3_T4_T5_T6_T7_T9_mT8_P12ihipStream_tbDpT10_ENKUlT_T0_E_clISt17integral_constantIbLb1EES1A_IbLb0EEEEDaS16_S17_EUlS16_E_NS1_11comp_targetILNS1_3genE0ELNS1_11target_archE4294967295ELNS1_3gpuE0ELNS1_3repE0EEENS1_30default_config_static_selectorELNS0_4arch9wavefront6targetE0EEEvT1_
; %bb.0:
	.section	.rodata,"a",@progbits
	.p2align	6, 0x0
	.amdhsa_kernel _ZN7rocprim17ROCPRIM_400000_NS6detail17trampoline_kernelINS0_14default_configENS1_25partition_config_selectorILNS1_17partition_subalgoE5EdNS0_10empty_typeEbEEZZNS1_14partition_implILS5_5ELb0ES3_mN6thrust23THRUST_200600_302600_NS6detail15normal_iteratorINSA_10device_ptrIdEEEEPS6_NSA_18transform_iteratorINSB_9not_fun_tI7is_trueIdEEESF_NSA_11use_defaultESM_EENS0_5tupleIJSF_S6_EEENSO_IJSG_SG_EEES6_PlJS6_EEE10hipError_tPvRmT3_T4_T5_T6_T7_T9_mT8_P12ihipStream_tbDpT10_ENKUlT_T0_E_clISt17integral_constantIbLb1EES1A_IbLb0EEEEDaS16_S17_EUlS16_E_NS1_11comp_targetILNS1_3genE0ELNS1_11target_archE4294967295ELNS1_3gpuE0ELNS1_3repE0EEENS1_30default_config_static_selectorELNS0_4arch9wavefront6targetE0EEEvT1_
		.amdhsa_group_segment_fixed_size 0
		.amdhsa_private_segment_fixed_size 0
		.amdhsa_kernarg_size 120
		.amdhsa_user_sgpr_count 2
		.amdhsa_user_sgpr_dispatch_ptr 0
		.amdhsa_user_sgpr_queue_ptr 0
		.amdhsa_user_sgpr_kernarg_segment_ptr 1
		.amdhsa_user_sgpr_dispatch_id 0
		.amdhsa_user_sgpr_private_segment_size 0
		.amdhsa_wavefront_size32 1
		.amdhsa_uses_dynamic_stack 0
		.amdhsa_enable_private_segment 0
		.amdhsa_system_sgpr_workgroup_id_x 1
		.amdhsa_system_sgpr_workgroup_id_y 0
		.amdhsa_system_sgpr_workgroup_id_z 0
		.amdhsa_system_sgpr_workgroup_info 0
		.amdhsa_system_vgpr_workitem_id 0
		.amdhsa_next_free_vgpr 1
		.amdhsa_next_free_sgpr 1
		.amdhsa_reserve_vcc 0
		.amdhsa_float_round_mode_32 0
		.amdhsa_float_round_mode_16_64 0
		.amdhsa_float_denorm_mode_32 3
		.amdhsa_float_denorm_mode_16_64 3
		.amdhsa_fp16_overflow 0
		.amdhsa_workgroup_processor_mode 1
		.amdhsa_memory_ordered 1
		.amdhsa_forward_progress 1
		.amdhsa_inst_pref_size 0
		.amdhsa_round_robin_scheduling 0
		.amdhsa_exception_fp_ieee_invalid_op 0
		.amdhsa_exception_fp_denorm_src 0
		.amdhsa_exception_fp_ieee_div_zero 0
		.amdhsa_exception_fp_ieee_overflow 0
		.amdhsa_exception_fp_ieee_underflow 0
		.amdhsa_exception_fp_ieee_inexact 0
		.amdhsa_exception_int_div_zero 0
	.end_amdhsa_kernel
	.section	.text._ZN7rocprim17ROCPRIM_400000_NS6detail17trampoline_kernelINS0_14default_configENS1_25partition_config_selectorILNS1_17partition_subalgoE5EdNS0_10empty_typeEbEEZZNS1_14partition_implILS5_5ELb0ES3_mN6thrust23THRUST_200600_302600_NS6detail15normal_iteratorINSA_10device_ptrIdEEEEPS6_NSA_18transform_iteratorINSB_9not_fun_tI7is_trueIdEEESF_NSA_11use_defaultESM_EENS0_5tupleIJSF_S6_EEENSO_IJSG_SG_EEES6_PlJS6_EEE10hipError_tPvRmT3_T4_T5_T6_T7_T9_mT8_P12ihipStream_tbDpT10_ENKUlT_T0_E_clISt17integral_constantIbLb1EES1A_IbLb0EEEEDaS16_S17_EUlS16_E_NS1_11comp_targetILNS1_3genE0ELNS1_11target_archE4294967295ELNS1_3gpuE0ELNS1_3repE0EEENS1_30default_config_static_selectorELNS0_4arch9wavefront6targetE0EEEvT1_,"axG",@progbits,_ZN7rocprim17ROCPRIM_400000_NS6detail17trampoline_kernelINS0_14default_configENS1_25partition_config_selectorILNS1_17partition_subalgoE5EdNS0_10empty_typeEbEEZZNS1_14partition_implILS5_5ELb0ES3_mN6thrust23THRUST_200600_302600_NS6detail15normal_iteratorINSA_10device_ptrIdEEEEPS6_NSA_18transform_iteratorINSB_9not_fun_tI7is_trueIdEEESF_NSA_11use_defaultESM_EENS0_5tupleIJSF_S6_EEENSO_IJSG_SG_EEES6_PlJS6_EEE10hipError_tPvRmT3_T4_T5_T6_T7_T9_mT8_P12ihipStream_tbDpT10_ENKUlT_T0_E_clISt17integral_constantIbLb1EES1A_IbLb0EEEEDaS16_S17_EUlS16_E_NS1_11comp_targetILNS1_3genE0ELNS1_11target_archE4294967295ELNS1_3gpuE0ELNS1_3repE0EEENS1_30default_config_static_selectorELNS0_4arch9wavefront6targetE0EEEvT1_,comdat
.Lfunc_end1318:
	.size	_ZN7rocprim17ROCPRIM_400000_NS6detail17trampoline_kernelINS0_14default_configENS1_25partition_config_selectorILNS1_17partition_subalgoE5EdNS0_10empty_typeEbEEZZNS1_14partition_implILS5_5ELb0ES3_mN6thrust23THRUST_200600_302600_NS6detail15normal_iteratorINSA_10device_ptrIdEEEEPS6_NSA_18transform_iteratorINSB_9not_fun_tI7is_trueIdEEESF_NSA_11use_defaultESM_EENS0_5tupleIJSF_S6_EEENSO_IJSG_SG_EEES6_PlJS6_EEE10hipError_tPvRmT3_T4_T5_T6_T7_T9_mT8_P12ihipStream_tbDpT10_ENKUlT_T0_E_clISt17integral_constantIbLb1EES1A_IbLb0EEEEDaS16_S17_EUlS16_E_NS1_11comp_targetILNS1_3genE0ELNS1_11target_archE4294967295ELNS1_3gpuE0ELNS1_3repE0EEENS1_30default_config_static_selectorELNS0_4arch9wavefront6targetE0EEEvT1_, .Lfunc_end1318-_ZN7rocprim17ROCPRIM_400000_NS6detail17trampoline_kernelINS0_14default_configENS1_25partition_config_selectorILNS1_17partition_subalgoE5EdNS0_10empty_typeEbEEZZNS1_14partition_implILS5_5ELb0ES3_mN6thrust23THRUST_200600_302600_NS6detail15normal_iteratorINSA_10device_ptrIdEEEEPS6_NSA_18transform_iteratorINSB_9not_fun_tI7is_trueIdEEESF_NSA_11use_defaultESM_EENS0_5tupleIJSF_S6_EEENSO_IJSG_SG_EEES6_PlJS6_EEE10hipError_tPvRmT3_T4_T5_T6_T7_T9_mT8_P12ihipStream_tbDpT10_ENKUlT_T0_E_clISt17integral_constantIbLb1EES1A_IbLb0EEEEDaS16_S17_EUlS16_E_NS1_11comp_targetILNS1_3genE0ELNS1_11target_archE4294967295ELNS1_3gpuE0ELNS1_3repE0EEENS1_30default_config_static_selectorELNS0_4arch9wavefront6targetE0EEEvT1_
                                        ; -- End function
	.set _ZN7rocprim17ROCPRIM_400000_NS6detail17trampoline_kernelINS0_14default_configENS1_25partition_config_selectorILNS1_17partition_subalgoE5EdNS0_10empty_typeEbEEZZNS1_14partition_implILS5_5ELb0ES3_mN6thrust23THRUST_200600_302600_NS6detail15normal_iteratorINSA_10device_ptrIdEEEEPS6_NSA_18transform_iteratorINSB_9not_fun_tI7is_trueIdEEESF_NSA_11use_defaultESM_EENS0_5tupleIJSF_S6_EEENSO_IJSG_SG_EEES6_PlJS6_EEE10hipError_tPvRmT3_T4_T5_T6_T7_T9_mT8_P12ihipStream_tbDpT10_ENKUlT_T0_E_clISt17integral_constantIbLb1EES1A_IbLb0EEEEDaS16_S17_EUlS16_E_NS1_11comp_targetILNS1_3genE0ELNS1_11target_archE4294967295ELNS1_3gpuE0ELNS1_3repE0EEENS1_30default_config_static_selectorELNS0_4arch9wavefront6targetE0EEEvT1_.num_vgpr, 0
	.set _ZN7rocprim17ROCPRIM_400000_NS6detail17trampoline_kernelINS0_14default_configENS1_25partition_config_selectorILNS1_17partition_subalgoE5EdNS0_10empty_typeEbEEZZNS1_14partition_implILS5_5ELb0ES3_mN6thrust23THRUST_200600_302600_NS6detail15normal_iteratorINSA_10device_ptrIdEEEEPS6_NSA_18transform_iteratorINSB_9not_fun_tI7is_trueIdEEESF_NSA_11use_defaultESM_EENS0_5tupleIJSF_S6_EEENSO_IJSG_SG_EEES6_PlJS6_EEE10hipError_tPvRmT3_T4_T5_T6_T7_T9_mT8_P12ihipStream_tbDpT10_ENKUlT_T0_E_clISt17integral_constantIbLb1EES1A_IbLb0EEEEDaS16_S17_EUlS16_E_NS1_11comp_targetILNS1_3genE0ELNS1_11target_archE4294967295ELNS1_3gpuE0ELNS1_3repE0EEENS1_30default_config_static_selectorELNS0_4arch9wavefront6targetE0EEEvT1_.num_agpr, 0
	.set _ZN7rocprim17ROCPRIM_400000_NS6detail17trampoline_kernelINS0_14default_configENS1_25partition_config_selectorILNS1_17partition_subalgoE5EdNS0_10empty_typeEbEEZZNS1_14partition_implILS5_5ELb0ES3_mN6thrust23THRUST_200600_302600_NS6detail15normal_iteratorINSA_10device_ptrIdEEEEPS6_NSA_18transform_iteratorINSB_9not_fun_tI7is_trueIdEEESF_NSA_11use_defaultESM_EENS0_5tupleIJSF_S6_EEENSO_IJSG_SG_EEES6_PlJS6_EEE10hipError_tPvRmT3_T4_T5_T6_T7_T9_mT8_P12ihipStream_tbDpT10_ENKUlT_T0_E_clISt17integral_constantIbLb1EES1A_IbLb0EEEEDaS16_S17_EUlS16_E_NS1_11comp_targetILNS1_3genE0ELNS1_11target_archE4294967295ELNS1_3gpuE0ELNS1_3repE0EEENS1_30default_config_static_selectorELNS0_4arch9wavefront6targetE0EEEvT1_.numbered_sgpr, 0
	.set _ZN7rocprim17ROCPRIM_400000_NS6detail17trampoline_kernelINS0_14default_configENS1_25partition_config_selectorILNS1_17partition_subalgoE5EdNS0_10empty_typeEbEEZZNS1_14partition_implILS5_5ELb0ES3_mN6thrust23THRUST_200600_302600_NS6detail15normal_iteratorINSA_10device_ptrIdEEEEPS6_NSA_18transform_iteratorINSB_9not_fun_tI7is_trueIdEEESF_NSA_11use_defaultESM_EENS0_5tupleIJSF_S6_EEENSO_IJSG_SG_EEES6_PlJS6_EEE10hipError_tPvRmT3_T4_T5_T6_T7_T9_mT8_P12ihipStream_tbDpT10_ENKUlT_T0_E_clISt17integral_constantIbLb1EES1A_IbLb0EEEEDaS16_S17_EUlS16_E_NS1_11comp_targetILNS1_3genE0ELNS1_11target_archE4294967295ELNS1_3gpuE0ELNS1_3repE0EEENS1_30default_config_static_selectorELNS0_4arch9wavefront6targetE0EEEvT1_.num_named_barrier, 0
	.set _ZN7rocprim17ROCPRIM_400000_NS6detail17trampoline_kernelINS0_14default_configENS1_25partition_config_selectorILNS1_17partition_subalgoE5EdNS0_10empty_typeEbEEZZNS1_14partition_implILS5_5ELb0ES3_mN6thrust23THRUST_200600_302600_NS6detail15normal_iteratorINSA_10device_ptrIdEEEEPS6_NSA_18transform_iteratorINSB_9not_fun_tI7is_trueIdEEESF_NSA_11use_defaultESM_EENS0_5tupleIJSF_S6_EEENSO_IJSG_SG_EEES6_PlJS6_EEE10hipError_tPvRmT3_T4_T5_T6_T7_T9_mT8_P12ihipStream_tbDpT10_ENKUlT_T0_E_clISt17integral_constantIbLb1EES1A_IbLb0EEEEDaS16_S17_EUlS16_E_NS1_11comp_targetILNS1_3genE0ELNS1_11target_archE4294967295ELNS1_3gpuE0ELNS1_3repE0EEENS1_30default_config_static_selectorELNS0_4arch9wavefront6targetE0EEEvT1_.private_seg_size, 0
	.set _ZN7rocprim17ROCPRIM_400000_NS6detail17trampoline_kernelINS0_14default_configENS1_25partition_config_selectorILNS1_17partition_subalgoE5EdNS0_10empty_typeEbEEZZNS1_14partition_implILS5_5ELb0ES3_mN6thrust23THRUST_200600_302600_NS6detail15normal_iteratorINSA_10device_ptrIdEEEEPS6_NSA_18transform_iteratorINSB_9not_fun_tI7is_trueIdEEESF_NSA_11use_defaultESM_EENS0_5tupleIJSF_S6_EEENSO_IJSG_SG_EEES6_PlJS6_EEE10hipError_tPvRmT3_T4_T5_T6_T7_T9_mT8_P12ihipStream_tbDpT10_ENKUlT_T0_E_clISt17integral_constantIbLb1EES1A_IbLb0EEEEDaS16_S17_EUlS16_E_NS1_11comp_targetILNS1_3genE0ELNS1_11target_archE4294967295ELNS1_3gpuE0ELNS1_3repE0EEENS1_30default_config_static_selectorELNS0_4arch9wavefront6targetE0EEEvT1_.uses_vcc, 0
	.set _ZN7rocprim17ROCPRIM_400000_NS6detail17trampoline_kernelINS0_14default_configENS1_25partition_config_selectorILNS1_17partition_subalgoE5EdNS0_10empty_typeEbEEZZNS1_14partition_implILS5_5ELb0ES3_mN6thrust23THRUST_200600_302600_NS6detail15normal_iteratorINSA_10device_ptrIdEEEEPS6_NSA_18transform_iteratorINSB_9not_fun_tI7is_trueIdEEESF_NSA_11use_defaultESM_EENS0_5tupleIJSF_S6_EEENSO_IJSG_SG_EEES6_PlJS6_EEE10hipError_tPvRmT3_T4_T5_T6_T7_T9_mT8_P12ihipStream_tbDpT10_ENKUlT_T0_E_clISt17integral_constantIbLb1EES1A_IbLb0EEEEDaS16_S17_EUlS16_E_NS1_11comp_targetILNS1_3genE0ELNS1_11target_archE4294967295ELNS1_3gpuE0ELNS1_3repE0EEENS1_30default_config_static_selectorELNS0_4arch9wavefront6targetE0EEEvT1_.uses_flat_scratch, 0
	.set _ZN7rocprim17ROCPRIM_400000_NS6detail17trampoline_kernelINS0_14default_configENS1_25partition_config_selectorILNS1_17partition_subalgoE5EdNS0_10empty_typeEbEEZZNS1_14partition_implILS5_5ELb0ES3_mN6thrust23THRUST_200600_302600_NS6detail15normal_iteratorINSA_10device_ptrIdEEEEPS6_NSA_18transform_iteratorINSB_9not_fun_tI7is_trueIdEEESF_NSA_11use_defaultESM_EENS0_5tupleIJSF_S6_EEENSO_IJSG_SG_EEES6_PlJS6_EEE10hipError_tPvRmT3_T4_T5_T6_T7_T9_mT8_P12ihipStream_tbDpT10_ENKUlT_T0_E_clISt17integral_constantIbLb1EES1A_IbLb0EEEEDaS16_S17_EUlS16_E_NS1_11comp_targetILNS1_3genE0ELNS1_11target_archE4294967295ELNS1_3gpuE0ELNS1_3repE0EEENS1_30default_config_static_selectorELNS0_4arch9wavefront6targetE0EEEvT1_.has_dyn_sized_stack, 0
	.set _ZN7rocprim17ROCPRIM_400000_NS6detail17trampoline_kernelINS0_14default_configENS1_25partition_config_selectorILNS1_17partition_subalgoE5EdNS0_10empty_typeEbEEZZNS1_14partition_implILS5_5ELb0ES3_mN6thrust23THRUST_200600_302600_NS6detail15normal_iteratorINSA_10device_ptrIdEEEEPS6_NSA_18transform_iteratorINSB_9not_fun_tI7is_trueIdEEESF_NSA_11use_defaultESM_EENS0_5tupleIJSF_S6_EEENSO_IJSG_SG_EEES6_PlJS6_EEE10hipError_tPvRmT3_T4_T5_T6_T7_T9_mT8_P12ihipStream_tbDpT10_ENKUlT_T0_E_clISt17integral_constantIbLb1EES1A_IbLb0EEEEDaS16_S17_EUlS16_E_NS1_11comp_targetILNS1_3genE0ELNS1_11target_archE4294967295ELNS1_3gpuE0ELNS1_3repE0EEENS1_30default_config_static_selectorELNS0_4arch9wavefront6targetE0EEEvT1_.has_recursion, 0
	.set _ZN7rocprim17ROCPRIM_400000_NS6detail17trampoline_kernelINS0_14default_configENS1_25partition_config_selectorILNS1_17partition_subalgoE5EdNS0_10empty_typeEbEEZZNS1_14partition_implILS5_5ELb0ES3_mN6thrust23THRUST_200600_302600_NS6detail15normal_iteratorINSA_10device_ptrIdEEEEPS6_NSA_18transform_iteratorINSB_9not_fun_tI7is_trueIdEEESF_NSA_11use_defaultESM_EENS0_5tupleIJSF_S6_EEENSO_IJSG_SG_EEES6_PlJS6_EEE10hipError_tPvRmT3_T4_T5_T6_T7_T9_mT8_P12ihipStream_tbDpT10_ENKUlT_T0_E_clISt17integral_constantIbLb1EES1A_IbLb0EEEEDaS16_S17_EUlS16_E_NS1_11comp_targetILNS1_3genE0ELNS1_11target_archE4294967295ELNS1_3gpuE0ELNS1_3repE0EEENS1_30default_config_static_selectorELNS0_4arch9wavefront6targetE0EEEvT1_.has_indirect_call, 0
	.section	.AMDGPU.csdata,"",@progbits
; Kernel info:
; codeLenInByte = 0
; TotalNumSgprs: 0
; NumVgprs: 0
; ScratchSize: 0
; MemoryBound: 0
; FloatMode: 240
; IeeeMode: 1
; LDSByteSize: 0 bytes/workgroup (compile time only)
; SGPRBlocks: 0
; VGPRBlocks: 0
; NumSGPRsForWavesPerEU: 1
; NumVGPRsForWavesPerEU: 1
; Occupancy: 16
; WaveLimiterHint : 0
; COMPUTE_PGM_RSRC2:SCRATCH_EN: 0
; COMPUTE_PGM_RSRC2:USER_SGPR: 2
; COMPUTE_PGM_RSRC2:TRAP_HANDLER: 0
; COMPUTE_PGM_RSRC2:TGID_X_EN: 1
; COMPUTE_PGM_RSRC2:TGID_Y_EN: 0
; COMPUTE_PGM_RSRC2:TGID_Z_EN: 0
; COMPUTE_PGM_RSRC2:TIDIG_COMP_CNT: 0
	.section	.text._ZN7rocprim17ROCPRIM_400000_NS6detail17trampoline_kernelINS0_14default_configENS1_25partition_config_selectorILNS1_17partition_subalgoE5EdNS0_10empty_typeEbEEZZNS1_14partition_implILS5_5ELb0ES3_mN6thrust23THRUST_200600_302600_NS6detail15normal_iteratorINSA_10device_ptrIdEEEEPS6_NSA_18transform_iteratorINSB_9not_fun_tI7is_trueIdEEESF_NSA_11use_defaultESM_EENS0_5tupleIJSF_S6_EEENSO_IJSG_SG_EEES6_PlJS6_EEE10hipError_tPvRmT3_T4_T5_T6_T7_T9_mT8_P12ihipStream_tbDpT10_ENKUlT_T0_E_clISt17integral_constantIbLb1EES1A_IbLb0EEEEDaS16_S17_EUlS16_E_NS1_11comp_targetILNS1_3genE5ELNS1_11target_archE942ELNS1_3gpuE9ELNS1_3repE0EEENS1_30default_config_static_selectorELNS0_4arch9wavefront6targetE0EEEvT1_,"axG",@progbits,_ZN7rocprim17ROCPRIM_400000_NS6detail17trampoline_kernelINS0_14default_configENS1_25partition_config_selectorILNS1_17partition_subalgoE5EdNS0_10empty_typeEbEEZZNS1_14partition_implILS5_5ELb0ES3_mN6thrust23THRUST_200600_302600_NS6detail15normal_iteratorINSA_10device_ptrIdEEEEPS6_NSA_18transform_iteratorINSB_9not_fun_tI7is_trueIdEEESF_NSA_11use_defaultESM_EENS0_5tupleIJSF_S6_EEENSO_IJSG_SG_EEES6_PlJS6_EEE10hipError_tPvRmT3_T4_T5_T6_T7_T9_mT8_P12ihipStream_tbDpT10_ENKUlT_T0_E_clISt17integral_constantIbLb1EES1A_IbLb0EEEEDaS16_S17_EUlS16_E_NS1_11comp_targetILNS1_3genE5ELNS1_11target_archE942ELNS1_3gpuE9ELNS1_3repE0EEENS1_30default_config_static_selectorELNS0_4arch9wavefront6targetE0EEEvT1_,comdat
	.protected	_ZN7rocprim17ROCPRIM_400000_NS6detail17trampoline_kernelINS0_14default_configENS1_25partition_config_selectorILNS1_17partition_subalgoE5EdNS0_10empty_typeEbEEZZNS1_14partition_implILS5_5ELb0ES3_mN6thrust23THRUST_200600_302600_NS6detail15normal_iteratorINSA_10device_ptrIdEEEEPS6_NSA_18transform_iteratorINSB_9not_fun_tI7is_trueIdEEESF_NSA_11use_defaultESM_EENS0_5tupleIJSF_S6_EEENSO_IJSG_SG_EEES6_PlJS6_EEE10hipError_tPvRmT3_T4_T5_T6_T7_T9_mT8_P12ihipStream_tbDpT10_ENKUlT_T0_E_clISt17integral_constantIbLb1EES1A_IbLb0EEEEDaS16_S17_EUlS16_E_NS1_11comp_targetILNS1_3genE5ELNS1_11target_archE942ELNS1_3gpuE9ELNS1_3repE0EEENS1_30default_config_static_selectorELNS0_4arch9wavefront6targetE0EEEvT1_ ; -- Begin function _ZN7rocprim17ROCPRIM_400000_NS6detail17trampoline_kernelINS0_14default_configENS1_25partition_config_selectorILNS1_17partition_subalgoE5EdNS0_10empty_typeEbEEZZNS1_14partition_implILS5_5ELb0ES3_mN6thrust23THRUST_200600_302600_NS6detail15normal_iteratorINSA_10device_ptrIdEEEEPS6_NSA_18transform_iteratorINSB_9not_fun_tI7is_trueIdEEESF_NSA_11use_defaultESM_EENS0_5tupleIJSF_S6_EEENSO_IJSG_SG_EEES6_PlJS6_EEE10hipError_tPvRmT3_T4_T5_T6_T7_T9_mT8_P12ihipStream_tbDpT10_ENKUlT_T0_E_clISt17integral_constantIbLb1EES1A_IbLb0EEEEDaS16_S17_EUlS16_E_NS1_11comp_targetILNS1_3genE5ELNS1_11target_archE942ELNS1_3gpuE9ELNS1_3repE0EEENS1_30default_config_static_selectorELNS0_4arch9wavefront6targetE0EEEvT1_
	.globl	_ZN7rocprim17ROCPRIM_400000_NS6detail17trampoline_kernelINS0_14default_configENS1_25partition_config_selectorILNS1_17partition_subalgoE5EdNS0_10empty_typeEbEEZZNS1_14partition_implILS5_5ELb0ES3_mN6thrust23THRUST_200600_302600_NS6detail15normal_iteratorINSA_10device_ptrIdEEEEPS6_NSA_18transform_iteratorINSB_9not_fun_tI7is_trueIdEEESF_NSA_11use_defaultESM_EENS0_5tupleIJSF_S6_EEENSO_IJSG_SG_EEES6_PlJS6_EEE10hipError_tPvRmT3_T4_T5_T6_T7_T9_mT8_P12ihipStream_tbDpT10_ENKUlT_T0_E_clISt17integral_constantIbLb1EES1A_IbLb0EEEEDaS16_S17_EUlS16_E_NS1_11comp_targetILNS1_3genE5ELNS1_11target_archE942ELNS1_3gpuE9ELNS1_3repE0EEENS1_30default_config_static_selectorELNS0_4arch9wavefront6targetE0EEEvT1_
	.p2align	8
	.type	_ZN7rocprim17ROCPRIM_400000_NS6detail17trampoline_kernelINS0_14default_configENS1_25partition_config_selectorILNS1_17partition_subalgoE5EdNS0_10empty_typeEbEEZZNS1_14partition_implILS5_5ELb0ES3_mN6thrust23THRUST_200600_302600_NS6detail15normal_iteratorINSA_10device_ptrIdEEEEPS6_NSA_18transform_iteratorINSB_9not_fun_tI7is_trueIdEEESF_NSA_11use_defaultESM_EENS0_5tupleIJSF_S6_EEENSO_IJSG_SG_EEES6_PlJS6_EEE10hipError_tPvRmT3_T4_T5_T6_T7_T9_mT8_P12ihipStream_tbDpT10_ENKUlT_T0_E_clISt17integral_constantIbLb1EES1A_IbLb0EEEEDaS16_S17_EUlS16_E_NS1_11comp_targetILNS1_3genE5ELNS1_11target_archE942ELNS1_3gpuE9ELNS1_3repE0EEENS1_30default_config_static_selectorELNS0_4arch9wavefront6targetE0EEEvT1_,@function
_ZN7rocprim17ROCPRIM_400000_NS6detail17trampoline_kernelINS0_14default_configENS1_25partition_config_selectorILNS1_17partition_subalgoE5EdNS0_10empty_typeEbEEZZNS1_14partition_implILS5_5ELb0ES3_mN6thrust23THRUST_200600_302600_NS6detail15normal_iteratorINSA_10device_ptrIdEEEEPS6_NSA_18transform_iteratorINSB_9not_fun_tI7is_trueIdEEESF_NSA_11use_defaultESM_EENS0_5tupleIJSF_S6_EEENSO_IJSG_SG_EEES6_PlJS6_EEE10hipError_tPvRmT3_T4_T5_T6_T7_T9_mT8_P12ihipStream_tbDpT10_ENKUlT_T0_E_clISt17integral_constantIbLb1EES1A_IbLb0EEEEDaS16_S17_EUlS16_E_NS1_11comp_targetILNS1_3genE5ELNS1_11target_archE942ELNS1_3gpuE9ELNS1_3repE0EEENS1_30default_config_static_selectorELNS0_4arch9wavefront6targetE0EEEvT1_: ; @_ZN7rocprim17ROCPRIM_400000_NS6detail17trampoline_kernelINS0_14default_configENS1_25partition_config_selectorILNS1_17partition_subalgoE5EdNS0_10empty_typeEbEEZZNS1_14partition_implILS5_5ELb0ES3_mN6thrust23THRUST_200600_302600_NS6detail15normal_iteratorINSA_10device_ptrIdEEEEPS6_NSA_18transform_iteratorINSB_9not_fun_tI7is_trueIdEEESF_NSA_11use_defaultESM_EENS0_5tupleIJSF_S6_EEENSO_IJSG_SG_EEES6_PlJS6_EEE10hipError_tPvRmT3_T4_T5_T6_T7_T9_mT8_P12ihipStream_tbDpT10_ENKUlT_T0_E_clISt17integral_constantIbLb1EES1A_IbLb0EEEEDaS16_S17_EUlS16_E_NS1_11comp_targetILNS1_3genE5ELNS1_11target_archE942ELNS1_3gpuE9ELNS1_3repE0EEENS1_30default_config_static_selectorELNS0_4arch9wavefront6targetE0EEEvT1_
; %bb.0:
	.section	.rodata,"a",@progbits
	.p2align	6, 0x0
	.amdhsa_kernel _ZN7rocprim17ROCPRIM_400000_NS6detail17trampoline_kernelINS0_14default_configENS1_25partition_config_selectorILNS1_17partition_subalgoE5EdNS0_10empty_typeEbEEZZNS1_14partition_implILS5_5ELb0ES3_mN6thrust23THRUST_200600_302600_NS6detail15normal_iteratorINSA_10device_ptrIdEEEEPS6_NSA_18transform_iteratorINSB_9not_fun_tI7is_trueIdEEESF_NSA_11use_defaultESM_EENS0_5tupleIJSF_S6_EEENSO_IJSG_SG_EEES6_PlJS6_EEE10hipError_tPvRmT3_T4_T5_T6_T7_T9_mT8_P12ihipStream_tbDpT10_ENKUlT_T0_E_clISt17integral_constantIbLb1EES1A_IbLb0EEEEDaS16_S17_EUlS16_E_NS1_11comp_targetILNS1_3genE5ELNS1_11target_archE942ELNS1_3gpuE9ELNS1_3repE0EEENS1_30default_config_static_selectorELNS0_4arch9wavefront6targetE0EEEvT1_
		.amdhsa_group_segment_fixed_size 0
		.amdhsa_private_segment_fixed_size 0
		.amdhsa_kernarg_size 120
		.amdhsa_user_sgpr_count 2
		.amdhsa_user_sgpr_dispatch_ptr 0
		.amdhsa_user_sgpr_queue_ptr 0
		.amdhsa_user_sgpr_kernarg_segment_ptr 1
		.amdhsa_user_sgpr_dispatch_id 0
		.amdhsa_user_sgpr_private_segment_size 0
		.amdhsa_wavefront_size32 1
		.amdhsa_uses_dynamic_stack 0
		.amdhsa_enable_private_segment 0
		.amdhsa_system_sgpr_workgroup_id_x 1
		.amdhsa_system_sgpr_workgroup_id_y 0
		.amdhsa_system_sgpr_workgroup_id_z 0
		.amdhsa_system_sgpr_workgroup_info 0
		.amdhsa_system_vgpr_workitem_id 0
		.amdhsa_next_free_vgpr 1
		.amdhsa_next_free_sgpr 1
		.amdhsa_reserve_vcc 0
		.amdhsa_float_round_mode_32 0
		.amdhsa_float_round_mode_16_64 0
		.amdhsa_float_denorm_mode_32 3
		.amdhsa_float_denorm_mode_16_64 3
		.amdhsa_fp16_overflow 0
		.amdhsa_workgroup_processor_mode 1
		.amdhsa_memory_ordered 1
		.amdhsa_forward_progress 1
		.amdhsa_inst_pref_size 0
		.amdhsa_round_robin_scheduling 0
		.amdhsa_exception_fp_ieee_invalid_op 0
		.amdhsa_exception_fp_denorm_src 0
		.amdhsa_exception_fp_ieee_div_zero 0
		.amdhsa_exception_fp_ieee_overflow 0
		.amdhsa_exception_fp_ieee_underflow 0
		.amdhsa_exception_fp_ieee_inexact 0
		.amdhsa_exception_int_div_zero 0
	.end_amdhsa_kernel
	.section	.text._ZN7rocprim17ROCPRIM_400000_NS6detail17trampoline_kernelINS0_14default_configENS1_25partition_config_selectorILNS1_17partition_subalgoE5EdNS0_10empty_typeEbEEZZNS1_14partition_implILS5_5ELb0ES3_mN6thrust23THRUST_200600_302600_NS6detail15normal_iteratorINSA_10device_ptrIdEEEEPS6_NSA_18transform_iteratorINSB_9not_fun_tI7is_trueIdEEESF_NSA_11use_defaultESM_EENS0_5tupleIJSF_S6_EEENSO_IJSG_SG_EEES6_PlJS6_EEE10hipError_tPvRmT3_T4_T5_T6_T7_T9_mT8_P12ihipStream_tbDpT10_ENKUlT_T0_E_clISt17integral_constantIbLb1EES1A_IbLb0EEEEDaS16_S17_EUlS16_E_NS1_11comp_targetILNS1_3genE5ELNS1_11target_archE942ELNS1_3gpuE9ELNS1_3repE0EEENS1_30default_config_static_selectorELNS0_4arch9wavefront6targetE0EEEvT1_,"axG",@progbits,_ZN7rocprim17ROCPRIM_400000_NS6detail17trampoline_kernelINS0_14default_configENS1_25partition_config_selectorILNS1_17partition_subalgoE5EdNS0_10empty_typeEbEEZZNS1_14partition_implILS5_5ELb0ES3_mN6thrust23THRUST_200600_302600_NS6detail15normal_iteratorINSA_10device_ptrIdEEEEPS6_NSA_18transform_iteratorINSB_9not_fun_tI7is_trueIdEEESF_NSA_11use_defaultESM_EENS0_5tupleIJSF_S6_EEENSO_IJSG_SG_EEES6_PlJS6_EEE10hipError_tPvRmT3_T4_T5_T6_T7_T9_mT8_P12ihipStream_tbDpT10_ENKUlT_T0_E_clISt17integral_constantIbLb1EES1A_IbLb0EEEEDaS16_S17_EUlS16_E_NS1_11comp_targetILNS1_3genE5ELNS1_11target_archE942ELNS1_3gpuE9ELNS1_3repE0EEENS1_30default_config_static_selectorELNS0_4arch9wavefront6targetE0EEEvT1_,comdat
.Lfunc_end1319:
	.size	_ZN7rocprim17ROCPRIM_400000_NS6detail17trampoline_kernelINS0_14default_configENS1_25partition_config_selectorILNS1_17partition_subalgoE5EdNS0_10empty_typeEbEEZZNS1_14partition_implILS5_5ELb0ES3_mN6thrust23THRUST_200600_302600_NS6detail15normal_iteratorINSA_10device_ptrIdEEEEPS6_NSA_18transform_iteratorINSB_9not_fun_tI7is_trueIdEEESF_NSA_11use_defaultESM_EENS0_5tupleIJSF_S6_EEENSO_IJSG_SG_EEES6_PlJS6_EEE10hipError_tPvRmT3_T4_T5_T6_T7_T9_mT8_P12ihipStream_tbDpT10_ENKUlT_T0_E_clISt17integral_constantIbLb1EES1A_IbLb0EEEEDaS16_S17_EUlS16_E_NS1_11comp_targetILNS1_3genE5ELNS1_11target_archE942ELNS1_3gpuE9ELNS1_3repE0EEENS1_30default_config_static_selectorELNS0_4arch9wavefront6targetE0EEEvT1_, .Lfunc_end1319-_ZN7rocprim17ROCPRIM_400000_NS6detail17trampoline_kernelINS0_14default_configENS1_25partition_config_selectorILNS1_17partition_subalgoE5EdNS0_10empty_typeEbEEZZNS1_14partition_implILS5_5ELb0ES3_mN6thrust23THRUST_200600_302600_NS6detail15normal_iteratorINSA_10device_ptrIdEEEEPS6_NSA_18transform_iteratorINSB_9not_fun_tI7is_trueIdEEESF_NSA_11use_defaultESM_EENS0_5tupleIJSF_S6_EEENSO_IJSG_SG_EEES6_PlJS6_EEE10hipError_tPvRmT3_T4_T5_T6_T7_T9_mT8_P12ihipStream_tbDpT10_ENKUlT_T0_E_clISt17integral_constantIbLb1EES1A_IbLb0EEEEDaS16_S17_EUlS16_E_NS1_11comp_targetILNS1_3genE5ELNS1_11target_archE942ELNS1_3gpuE9ELNS1_3repE0EEENS1_30default_config_static_selectorELNS0_4arch9wavefront6targetE0EEEvT1_
                                        ; -- End function
	.set _ZN7rocprim17ROCPRIM_400000_NS6detail17trampoline_kernelINS0_14default_configENS1_25partition_config_selectorILNS1_17partition_subalgoE5EdNS0_10empty_typeEbEEZZNS1_14partition_implILS5_5ELb0ES3_mN6thrust23THRUST_200600_302600_NS6detail15normal_iteratorINSA_10device_ptrIdEEEEPS6_NSA_18transform_iteratorINSB_9not_fun_tI7is_trueIdEEESF_NSA_11use_defaultESM_EENS0_5tupleIJSF_S6_EEENSO_IJSG_SG_EEES6_PlJS6_EEE10hipError_tPvRmT3_T4_T5_T6_T7_T9_mT8_P12ihipStream_tbDpT10_ENKUlT_T0_E_clISt17integral_constantIbLb1EES1A_IbLb0EEEEDaS16_S17_EUlS16_E_NS1_11comp_targetILNS1_3genE5ELNS1_11target_archE942ELNS1_3gpuE9ELNS1_3repE0EEENS1_30default_config_static_selectorELNS0_4arch9wavefront6targetE0EEEvT1_.num_vgpr, 0
	.set _ZN7rocprim17ROCPRIM_400000_NS6detail17trampoline_kernelINS0_14default_configENS1_25partition_config_selectorILNS1_17partition_subalgoE5EdNS0_10empty_typeEbEEZZNS1_14partition_implILS5_5ELb0ES3_mN6thrust23THRUST_200600_302600_NS6detail15normal_iteratorINSA_10device_ptrIdEEEEPS6_NSA_18transform_iteratorINSB_9not_fun_tI7is_trueIdEEESF_NSA_11use_defaultESM_EENS0_5tupleIJSF_S6_EEENSO_IJSG_SG_EEES6_PlJS6_EEE10hipError_tPvRmT3_T4_T5_T6_T7_T9_mT8_P12ihipStream_tbDpT10_ENKUlT_T0_E_clISt17integral_constantIbLb1EES1A_IbLb0EEEEDaS16_S17_EUlS16_E_NS1_11comp_targetILNS1_3genE5ELNS1_11target_archE942ELNS1_3gpuE9ELNS1_3repE0EEENS1_30default_config_static_selectorELNS0_4arch9wavefront6targetE0EEEvT1_.num_agpr, 0
	.set _ZN7rocprim17ROCPRIM_400000_NS6detail17trampoline_kernelINS0_14default_configENS1_25partition_config_selectorILNS1_17partition_subalgoE5EdNS0_10empty_typeEbEEZZNS1_14partition_implILS5_5ELb0ES3_mN6thrust23THRUST_200600_302600_NS6detail15normal_iteratorINSA_10device_ptrIdEEEEPS6_NSA_18transform_iteratorINSB_9not_fun_tI7is_trueIdEEESF_NSA_11use_defaultESM_EENS0_5tupleIJSF_S6_EEENSO_IJSG_SG_EEES6_PlJS6_EEE10hipError_tPvRmT3_T4_T5_T6_T7_T9_mT8_P12ihipStream_tbDpT10_ENKUlT_T0_E_clISt17integral_constantIbLb1EES1A_IbLb0EEEEDaS16_S17_EUlS16_E_NS1_11comp_targetILNS1_3genE5ELNS1_11target_archE942ELNS1_3gpuE9ELNS1_3repE0EEENS1_30default_config_static_selectorELNS0_4arch9wavefront6targetE0EEEvT1_.numbered_sgpr, 0
	.set _ZN7rocprim17ROCPRIM_400000_NS6detail17trampoline_kernelINS0_14default_configENS1_25partition_config_selectorILNS1_17partition_subalgoE5EdNS0_10empty_typeEbEEZZNS1_14partition_implILS5_5ELb0ES3_mN6thrust23THRUST_200600_302600_NS6detail15normal_iteratorINSA_10device_ptrIdEEEEPS6_NSA_18transform_iteratorINSB_9not_fun_tI7is_trueIdEEESF_NSA_11use_defaultESM_EENS0_5tupleIJSF_S6_EEENSO_IJSG_SG_EEES6_PlJS6_EEE10hipError_tPvRmT3_T4_T5_T6_T7_T9_mT8_P12ihipStream_tbDpT10_ENKUlT_T0_E_clISt17integral_constantIbLb1EES1A_IbLb0EEEEDaS16_S17_EUlS16_E_NS1_11comp_targetILNS1_3genE5ELNS1_11target_archE942ELNS1_3gpuE9ELNS1_3repE0EEENS1_30default_config_static_selectorELNS0_4arch9wavefront6targetE0EEEvT1_.num_named_barrier, 0
	.set _ZN7rocprim17ROCPRIM_400000_NS6detail17trampoline_kernelINS0_14default_configENS1_25partition_config_selectorILNS1_17partition_subalgoE5EdNS0_10empty_typeEbEEZZNS1_14partition_implILS5_5ELb0ES3_mN6thrust23THRUST_200600_302600_NS6detail15normal_iteratorINSA_10device_ptrIdEEEEPS6_NSA_18transform_iteratorINSB_9not_fun_tI7is_trueIdEEESF_NSA_11use_defaultESM_EENS0_5tupleIJSF_S6_EEENSO_IJSG_SG_EEES6_PlJS6_EEE10hipError_tPvRmT3_T4_T5_T6_T7_T9_mT8_P12ihipStream_tbDpT10_ENKUlT_T0_E_clISt17integral_constantIbLb1EES1A_IbLb0EEEEDaS16_S17_EUlS16_E_NS1_11comp_targetILNS1_3genE5ELNS1_11target_archE942ELNS1_3gpuE9ELNS1_3repE0EEENS1_30default_config_static_selectorELNS0_4arch9wavefront6targetE0EEEvT1_.private_seg_size, 0
	.set _ZN7rocprim17ROCPRIM_400000_NS6detail17trampoline_kernelINS0_14default_configENS1_25partition_config_selectorILNS1_17partition_subalgoE5EdNS0_10empty_typeEbEEZZNS1_14partition_implILS5_5ELb0ES3_mN6thrust23THRUST_200600_302600_NS6detail15normal_iteratorINSA_10device_ptrIdEEEEPS6_NSA_18transform_iteratorINSB_9not_fun_tI7is_trueIdEEESF_NSA_11use_defaultESM_EENS0_5tupleIJSF_S6_EEENSO_IJSG_SG_EEES6_PlJS6_EEE10hipError_tPvRmT3_T4_T5_T6_T7_T9_mT8_P12ihipStream_tbDpT10_ENKUlT_T0_E_clISt17integral_constantIbLb1EES1A_IbLb0EEEEDaS16_S17_EUlS16_E_NS1_11comp_targetILNS1_3genE5ELNS1_11target_archE942ELNS1_3gpuE9ELNS1_3repE0EEENS1_30default_config_static_selectorELNS0_4arch9wavefront6targetE0EEEvT1_.uses_vcc, 0
	.set _ZN7rocprim17ROCPRIM_400000_NS6detail17trampoline_kernelINS0_14default_configENS1_25partition_config_selectorILNS1_17partition_subalgoE5EdNS0_10empty_typeEbEEZZNS1_14partition_implILS5_5ELb0ES3_mN6thrust23THRUST_200600_302600_NS6detail15normal_iteratorINSA_10device_ptrIdEEEEPS6_NSA_18transform_iteratorINSB_9not_fun_tI7is_trueIdEEESF_NSA_11use_defaultESM_EENS0_5tupleIJSF_S6_EEENSO_IJSG_SG_EEES6_PlJS6_EEE10hipError_tPvRmT3_T4_T5_T6_T7_T9_mT8_P12ihipStream_tbDpT10_ENKUlT_T0_E_clISt17integral_constantIbLb1EES1A_IbLb0EEEEDaS16_S17_EUlS16_E_NS1_11comp_targetILNS1_3genE5ELNS1_11target_archE942ELNS1_3gpuE9ELNS1_3repE0EEENS1_30default_config_static_selectorELNS0_4arch9wavefront6targetE0EEEvT1_.uses_flat_scratch, 0
	.set _ZN7rocprim17ROCPRIM_400000_NS6detail17trampoline_kernelINS0_14default_configENS1_25partition_config_selectorILNS1_17partition_subalgoE5EdNS0_10empty_typeEbEEZZNS1_14partition_implILS5_5ELb0ES3_mN6thrust23THRUST_200600_302600_NS6detail15normal_iteratorINSA_10device_ptrIdEEEEPS6_NSA_18transform_iteratorINSB_9not_fun_tI7is_trueIdEEESF_NSA_11use_defaultESM_EENS0_5tupleIJSF_S6_EEENSO_IJSG_SG_EEES6_PlJS6_EEE10hipError_tPvRmT3_T4_T5_T6_T7_T9_mT8_P12ihipStream_tbDpT10_ENKUlT_T0_E_clISt17integral_constantIbLb1EES1A_IbLb0EEEEDaS16_S17_EUlS16_E_NS1_11comp_targetILNS1_3genE5ELNS1_11target_archE942ELNS1_3gpuE9ELNS1_3repE0EEENS1_30default_config_static_selectorELNS0_4arch9wavefront6targetE0EEEvT1_.has_dyn_sized_stack, 0
	.set _ZN7rocprim17ROCPRIM_400000_NS6detail17trampoline_kernelINS0_14default_configENS1_25partition_config_selectorILNS1_17partition_subalgoE5EdNS0_10empty_typeEbEEZZNS1_14partition_implILS5_5ELb0ES3_mN6thrust23THRUST_200600_302600_NS6detail15normal_iteratorINSA_10device_ptrIdEEEEPS6_NSA_18transform_iteratorINSB_9not_fun_tI7is_trueIdEEESF_NSA_11use_defaultESM_EENS0_5tupleIJSF_S6_EEENSO_IJSG_SG_EEES6_PlJS6_EEE10hipError_tPvRmT3_T4_T5_T6_T7_T9_mT8_P12ihipStream_tbDpT10_ENKUlT_T0_E_clISt17integral_constantIbLb1EES1A_IbLb0EEEEDaS16_S17_EUlS16_E_NS1_11comp_targetILNS1_3genE5ELNS1_11target_archE942ELNS1_3gpuE9ELNS1_3repE0EEENS1_30default_config_static_selectorELNS0_4arch9wavefront6targetE0EEEvT1_.has_recursion, 0
	.set _ZN7rocprim17ROCPRIM_400000_NS6detail17trampoline_kernelINS0_14default_configENS1_25partition_config_selectorILNS1_17partition_subalgoE5EdNS0_10empty_typeEbEEZZNS1_14partition_implILS5_5ELb0ES3_mN6thrust23THRUST_200600_302600_NS6detail15normal_iteratorINSA_10device_ptrIdEEEEPS6_NSA_18transform_iteratorINSB_9not_fun_tI7is_trueIdEEESF_NSA_11use_defaultESM_EENS0_5tupleIJSF_S6_EEENSO_IJSG_SG_EEES6_PlJS6_EEE10hipError_tPvRmT3_T4_T5_T6_T7_T9_mT8_P12ihipStream_tbDpT10_ENKUlT_T0_E_clISt17integral_constantIbLb1EES1A_IbLb0EEEEDaS16_S17_EUlS16_E_NS1_11comp_targetILNS1_3genE5ELNS1_11target_archE942ELNS1_3gpuE9ELNS1_3repE0EEENS1_30default_config_static_selectorELNS0_4arch9wavefront6targetE0EEEvT1_.has_indirect_call, 0
	.section	.AMDGPU.csdata,"",@progbits
; Kernel info:
; codeLenInByte = 0
; TotalNumSgprs: 0
; NumVgprs: 0
; ScratchSize: 0
; MemoryBound: 0
; FloatMode: 240
; IeeeMode: 1
; LDSByteSize: 0 bytes/workgroup (compile time only)
; SGPRBlocks: 0
; VGPRBlocks: 0
; NumSGPRsForWavesPerEU: 1
; NumVGPRsForWavesPerEU: 1
; Occupancy: 16
; WaveLimiterHint : 0
; COMPUTE_PGM_RSRC2:SCRATCH_EN: 0
; COMPUTE_PGM_RSRC2:USER_SGPR: 2
; COMPUTE_PGM_RSRC2:TRAP_HANDLER: 0
; COMPUTE_PGM_RSRC2:TGID_X_EN: 1
; COMPUTE_PGM_RSRC2:TGID_Y_EN: 0
; COMPUTE_PGM_RSRC2:TGID_Z_EN: 0
; COMPUTE_PGM_RSRC2:TIDIG_COMP_CNT: 0
	.section	.text._ZN7rocprim17ROCPRIM_400000_NS6detail17trampoline_kernelINS0_14default_configENS1_25partition_config_selectorILNS1_17partition_subalgoE5EdNS0_10empty_typeEbEEZZNS1_14partition_implILS5_5ELb0ES3_mN6thrust23THRUST_200600_302600_NS6detail15normal_iteratorINSA_10device_ptrIdEEEEPS6_NSA_18transform_iteratorINSB_9not_fun_tI7is_trueIdEEESF_NSA_11use_defaultESM_EENS0_5tupleIJSF_S6_EEENSO_IJSG_SG_EEES6_PlJS6_EEE10hipError_tPvRmT3_T4_T5_T6_T7_T9_mT8_P12ihipStream_tbDpT10_ENKUlT_T0_E_clISt17integral_constantIbLb1EES1A_IbLb0EEEEDaS16_S17_EUlS16_E_NS1_11comp_targetILNS1_3genE4ELNS1_11target_archE910ELNS1_3gpuE8ELNS1_3repE0EEENS1_30default_config_static_selectorELNS0_4arch9wavefront6targetE0EEEvT1_,"axG",@progbits,_ZN7rocprim17ROCPRIM_400000_NS6detail17trampoline_kernelINS0_14default_configENS1_25partition_config_selectorILNS1_17partition_subalgoE5EdNS0_10empty_typeEbEEZZNS1_14partition_implILS5_5ELb0ES3_mN6thrust23THRUST_200600_302600_NS6detail15normal_iteratorINSA_10device_ptrIdEEEEPS6_NSA_18transform_iteratorINSB_9not_fun_tI7is_trueIdEEESF_NSA_11use_defaultESM_EENS0_5tupleIJSF_S6_EEENSO_IJSG_SG_EEES6_PlJS6_EEE10hipError_tPvRmT3_T4_T5_T6_T7_T9_mT8_P12ihipStream_tbDpT10_ENKUlT_T0_E_clISt17integral_constantIbLb1EES1A_IbLb0EEEEDaS16_S17_EUlS16_E_NS1_11comp_targetILNS1_3genE4ELNS1_11target_archE910ELNS1_3gpuE8ELNS1_3repE0EEENS1_30default_config_static_selectorELNS0_4arch9wavefront6targetE0EEEvT1_,comdat
	.protected	_ZN7rocprim17ROCPRIM_400000_NS6detail17trampoline_kernelINS0_14default_configENS1_25partition_config_selectorILNS1_17partition_subalgoE5EdNS0_10empty_typeEbEEZZNS1_14partition_implILS5_5ELb0ES3_mN6thrust23THRUST_200600_302600_NS6detail15normal_iteratorINSA_10device_ptrIdEEEEPS6_NSA_18transform_iteratorINSB_9not_fun_tI7is_trueIdEEESF_NSA_11use_defaultESM_EENS0_5tupleIJSF_S6_EEENSO_IJSG_SG_EEES6_PlJS6_EEE10hipError_tPvRmT3_T4_T5_T6_T7_T9_mT8_P12ihipStream_tbDpT10_ENKUlT_T0_E_clISt17integral_constantIbLb1EES1A_IbLb0EEEEDaS16_S17_EUlS16_E_NS1_11comp_targetILNS1_3genE4ELNS1_11target_archE910ELNS1_3gpuE8ELNS1_3repE0EEENS1_30default_config_static_selectorELNS0_4arch9wavefront6targetE0EEEvT1_ ; -- Begin function _ZN7rocprim17ROCPRIM_400000_NS6detail17trampoline_kernelINS0_14default_configENS1_25partition_config_selectorILNS1_17partition_subalgoE5EdNS0_10empty_typeEbEEZZNS1_14partition_implILS5_5ELb0ES3_mN6thrust23THRUST_200600_302600_NS6detail15normal_iteratorINSA_10device_ptrIdEEEEPS6_NSA_18transform_iteratorINSB_9not_fun_tI7is_trueIdEEESF_NSA_11use_defaultESM_EENS0_5tupleIJSF_S6_EEENSO_IJSG_SG_EEES6_PlJS6_EEE10hipError_tPvRmT3_T4_T5_T6_T7_T9_mT8_P12ihipStream_tbDpT10_ENKUlT_T0_E_clISt17integral_constantIbLb1EES1A_IbLb0EEEEDaS16_S17_EUlS16_E_NS1_11comp_targetILNS1_3genE4ELNS1_11target_archE910ELNS1_3gpuE8ELNS1_3repE0EEENS1_30default_config_static_selectorELNS0_4arch9wavefront6targetE0EEEvT1_
	.globl	_ZN7rocprim17ROCPRIM_400000_NS6detail17trampoline_kernelINS0_14default_configENS1_25partition_config_selectorILNS1_17partition_subalgoE5EdNS0_10empty_typeEbEEZZNS1_14partition_implILS5_5ELb0ES3_mN6thrust23THRUST_200600_302600_NS6detail15normal_iteratorINSA_10device_ptrIdEEEEPS6_NSA_18transform_iteratorINSB_9not_fun_tI7is_trueIdEEESF_NSA_11use_defaultESM_EENS0_5tupleIJSF_S6_EEENSO_IJSG_SG_EEES6_PlJS6_EEE10hipError_tPvRmT3_T4_T5_T6_T7_T9_mT8_P12ihipStream_tbDpT10_ENKUlT_T0_E_clISt17integral_constantIbLb1EES1A_IbLb0EEEEDaS16_S17_EUlS16_E_NS1_11comp_targetILNS1_3genE4ELNS1_11target_archE910ELNS1_3gpuE8ELNS1_3repE0EEENS1_30default_config_static_selectorELNS0_4arch9wavefront6targetE0EEEvT1_
	.p2align	8
	.type	_ZN7rocprim17ROCPRIM_400000_NS6detail17trampoline_kernelINS0_14default_configENS1_25partition_config_selectorILNS1_17partition_subalgoE5EdNS0_10empty_typeEbEEZZNS1_14partition_implILS5_5ELb0ES3_mN6thrust23THRUST_200600_302600_NS6detail15normal_iteratorINSA_10device_ptrIdEEEEPS6_NSA_18transform_iteratorINSB_9not_fun_tI7is_trueIdEEESF_NSA_11use_defaultESM_EENS0_5tupleIJSF_S6_EEENSO_IJSG_SG_EEES6_PlJS6_EEE10hipError_tPvRmT3_T4_T5_T6_T7_T9_mT8_P12ihipStream_tbDpT10_ENKUlT_T0_E_clISt17integral_constantIbLb1EES1A_IbLb0EEEEDaS16_S17_EUlS16_E_NS1_11comp_targetILNS1_3genE4ELNS1_11target_archE910ELNS1_3gpuE8ELNS1_3repE0EEENS1_30default_config_static_selectorELNS0_4arch9wavefront6targetE0EEEvT1_,@function
_ZN7rocprim17ROCPRIM_400000_NS6detail17trampoline_kernelINS0_14default_configENS1_25partition_config_selectorILNS1_17partition_subalgoE5EdNS0_10empty_typeEbEEZZNS1_14partition_implILS5_5ELb0ES3_mN6thrust23THRUST_200600_302600_NS6detail15normal_iteratorINSA_10device_ptrIdEEEEPS6_NSA_18transform_iteratorINSB_9not_fun_tI7is_trueIdEEESF_NSA_11use_defaultESM_EENS0_5tupleIJSF_S6_EEENSO_IJSG_SG_EEES6_PlJS6_EEE10hipError_tPvRmT3_T4_T5_T6_T7_T9_mT8_P12ihipStream_tbDpT10_ENKUlT_T0_E_clISt17integral_constantIbLb1EES1A_IbLb0EEEEDaS16_S17_EUlS16_E_NS1_11comp_targetILNS1_3genE4ELNS1_11target_archE910ELNS1_3gpuE8ELNS1_3repE0EEENS1_30default_config_static_selectorELNS0_4arch9wavefront6targetE0EEEvT1_: ; @_ZN7rocprim17ROCPRIM_400000_NS6detail17trampoline_kernelINS0_14default_configENS1_25partition_config_selectorILNS1_17partition_subalgoE5EdNS0_10empty_typeEbEEZZNS1_14partition_implILS5_5ELb0ES3_mN6thrust23THRUST_200600_302600_NS6detail15normal_iteratorINSA_10device_ptrIdEEEEPS6_NSA_18transform_iteratorINSB_9not_fun_tI7is_trueIdEEESF_NSA_11use_defaultESM_EENS0_5tupleIJSF_S6_EEENSO_IJSG_SG_EEES6_PlJS6_EEE10hipError_tPvRmT3_T4_T5_T6_T7_T9_mT8_P12ihipStream_tbDpT10_ENKUlT_T0_E_clISt17integral_constantIbLb1EES1A_IbLb0EEEEDaS16_S17_EUlS16_E_NS1_11comp_targetILNS1_3genE4ELNS1_11target_archE910ELNS1_3gpuE8ELNS1_3repE0EEENS1_30default_config_static_selectorELNS0_4arch9wavefront6targetE0EEEvT1_
; %bb.0:
	.section	.rodata,"a",@progbits
	.p2align	6, 0x0
	.amdhsa_kernel _ZN7rocprim17ROCPRIM_400000_NS6detail17trampoline_kernelINS0_14default_configENS1_25partition_config_selectorILNS1_17partition_subalgoE5EdNS0_10empty_typeEbEEZZNS1_14partition_implILS5_5ELb0ES3_mN6thrust23THRUST_200600_302600_NS6detail15normal_iteratorINSA_10device_ptrIdEEEEPS6_NSA_18transform_iteratorINSB_9not_fun_tI7is_trueIdEEESF_NSA_11use_defaultESM_EENS0_5tupleIJSF_S6_EEENSO_IJSG_SG_EEES6_PlJS6_EEE10hipError_tPvRmT3_T4_T5_T6_T7_T9_mT8_P12ihipStream_tbDpT10_ENKUlT_T0_E_clISt17integral_constantIbLb1EES1A_IbLb0EEEEDaS16_S17_EUlS16_E_NS1_11comp_targetILNS1_3genE4ELNS1_11target_archE910ELNS1_3gpuE8ELNS1_3repE0EEENS1_30default_config_static_selectorELNS0_4arch9wavefront6targetE0EEEvT1_
		.amdhsa_group_segment_fixed_size 0
		.amdhsa_private_segment_fixed_size 0
		.amdhsa_kernarg_size 120
		.amdhsa_user_sgpr_count 2
		.amdhsa_user_sgpr_dispatch_ptr 0
		.amdhsa_user_sgpr_queue_ptr 0
		.amdhsa_user_sgpr_kernarg_segment_ptr 1
		.amdhsa_user_sgpr_dispatch_id 0
		.amdhsa_user_sgpr_private_segment_size 0
		.amdhsa_wavefront_size32 1
		.amdhsa_uses_dynamic_stack 0
		.amdhsa_enable_private_segment 0
		.amdhsa_system_sgpr_workgroup_id_x 1
		.amdhsa_system_sgpr_workgroup_id_y 0
		.amdhsa_system_sgpr_workgroup_id_z 0
		.amdhsa_system_sgpr_workgroup_info 0
		.amdhsa_system_vgpr_workitem_id 0
		.amdhsa_next_free_vgpr 1
		.amdhsa_next_free_sgpr 1
		.amdhsa_reserve_vcc 0
		.amdhsa_float_round_mode_32 0
		.amdhsa_float_round_mode_16_64 0
		.amdhsa_float_denorm_mode_32 3
		.amdhsa_float_denorm_mode_16_64 3
		.amdhsa_fp16_overflow 0
		.amdhsa_workgroup_processor_mode 1
		.amdhsa_memory_ordered 1
		.amdhsa_forward_progress 1
		.amdhsa_inst_pref_size 0
		.amdhsa_round_robin_scheduling 0
		.amdhsa_exception_fp_ieee_invalid_op 0
		.amdhsa_exception_fp_denorm_src 0
		.amdhsa_exception_fp_ieee_div_zero 0
		.amdhsa_exception_fp_ieee_overflow 0
		.amdhsa_exception_fp_ieee_underflow 0
		.amdhsa_exception_fp_ieee_inexact 0
		.amdhsa_exception_int_div_zero 0
	.end_amdhsa_kernel
	.section	.text._ZN7rocprim17ROCPRIM_400000_NS6detail17trampoline_kernelINS0_14default_configENS1_25partition_config_selectorILNS1_17partition_subalgoE5EdNS0_10empty_typeEbEEZZNS1_14partition_implILS5_5ELb0ES3_mN6thrust23THRUST_200600_302600_NS6detail15normal_iteratorINSA_10device_ptrIdEEEEPS6_NSA_18transform_iteratorINSB_9not_fun_tI7is_trueIdEEESF_NSA_11use_defaultESM_EENS0_5tupleIJSF_S6_EEENSO_IJSG_SG_EEES6_PlJS6_EEE10hipError_tPvRmT3_T4_T5_T6_T7_T9_mT8_P12ihipStream_tbDpT10_ENKUlT_T0_E_clISt17integral_constantIbLb1EES1A_IbLb0EEEEDaS16_S17_EUlS16_E_NS1_11comp_targetILNS1_3genE4ELNS1_11target_archE910ELNS1_3gpuE8ELNS1_3repE0EEENS1_30default_config_static_selectorELNS0_4arch9wavefront6targetE0EEEvT1_,"axG",@progbits,_ZN7rocprim17ROCPRIM_400000_NS6detail17trampoline_kernelINS0_14default_configENS1_25partition_config_selectorILNS1_17partition_subalgoE5EdNS0_10empty_typeEbEEZZNS1_14partition_implILS5_5ELb0ES3_mN6thrust23THRUST_200600_302600_NS6detail15normal_iteratorINSA_10device_ptrIdEEEEPS6_NSA_18transform_iteratorINSB_9not_fun_tI7is_trueIdEEESF_NSA_11use_defaultESM_EENS0_5tupleIJSF_S6_EEENSO_IJSG_SG_EEES6_PlJS6_EEE10hipError_tPvRmT3_T4_T5_T6_T7_T9_mT8_P12ihipStream_tbDpT10_ENKUlT_T0_E_clISt17integral_constantIbLb1EES1A_IbLb0EEEEDaS16_S17_EUlS16_E_NS1_11comp_targetILNS1_3genE4ELNS1_11target_archE910ELNS1_3gpuE8ELNS1_3repE0EEENS1_30default_config_static_selectorELNS0_4arch9wavefront6targetE0EEEvT1_,comdat
.Lfunc_end1320:
	.size	_ZN7rocprim17ROCPRIM_400000_NS6detail17trampoline_kernelINS0_14default_configENS1_25partition_config_selectorILNS1_17partition_subalgoE5EdNS0_10empty_typeEbEEZZNS1_14partition_implILS5_5ELb0ES3_mN6thrust23THRUST_200600_302600_NS6detail15normal_iteratorINSA_10device_ptrIdEEEEPS6_NSA_18transform_iteratorINSB_9not_fun_tI7is_trueIdEEESF_NSA_11use_defaultESM_EENS0_5tupleIJSF_S6_EEENSO_IJSG_SG_EEES6_PlJS6_EEE10hipError_tPvRmT3_T4_T5_T6_T7_T9_mT8_P12ihipStream_tbDpT10_ENKUlT_T0_E_clISt17integral_constantIbLb1EES1A_IbLb0EEEEDaS16_S17_EUlS16_E_NS1_11comp_targetILNS1_3genE4ELNS1_11target_archE910ELNS1_3gpuE8ELNS1_3repE0EEENS1_30default_config_static_selectorELNS0_4arch9wavefront6targetE0EEEvT1_, .Lfunc_end1320-_ZN7rocprim17ROCPRIM_400000_NS6detail17trampoline_kernelINS0_14default_configENS1_25partition_config_selectorILNS1_17partition_subalgoE5EdNS0_10empty_typeEbEEZZNS1_14partition_implILS5_5ELb0ES3_mN6thrust23THRUST_200600_302600_NS6detail15normal_iteratorINSA_10device_ptrIdEEEEPS6_NSA_18transform_iteratorINSB_9not_fun_tI7is_trueIdEEESF_NSA_11use_defaultESM_EENS0_5tupleIJSF_S6_EEENSO_IJSG_SG_EEES6_PlJS6_EEE10hipError_tPvRmT3_T4_T5_T6_T7_T9_mT8_P12ihipStream_tbDpT10_ENKUlT_T0_E_clISt17integral_constantIbLb1EES1A_IbLb0EEEEDaS16_S17_EUlS16_E_NS1_11comp_targetILNS1_3genE4ELNS1_11target_archE910ELNS1_3gpuE8ELNS1_3repE0EEENS1_30default_config_static_selectorELNS0_4arch9wavefront6targetE0EEEvT1_
                                        ; -- End function
	.set _ZN7rocprim17ROCPRIM_400000_NS6detail17trampoline_kernelINS0_14default_configENS1_25partition_config_selectorILNS1_17partition_subalgoE5EdNS0_10empty_typeEbEEZZNS1_14partition_implILS5_5ELb0ES3_mN6thrust23THRUST_200600_302600_NS6detail15normal_iteratorINSA_10device_ptrIdEEEEPS6_NSA_18transform_iteratorINSB_9not_fun_tI7is_trueIdEEESF_NSA_11use_defaultESM_EENS0_5tupleIJSF_S6_EEENSO_IJSG_SG_EEES6_PlJS6_EEE10hipError_tPvRmT3_T4_T5_T6_T7_T9_mT8_P12ihipStream_tbDpT10_ENKUlT_T0_E_clISt17integral_constantIbLb1EES1A_IbLb0EEEEDaS16_S17_EUlS16_E_NS1_11comp_targetILNS1_3genE4ELNS1_11target_archE910ELNS1_3gpuE8ELNS1_3repE0EEENS1_30default_config_static_selectorELNS0_4arch9wavefront6targetE0EEEvT1_.num_vgpr, 0
	.set _ZN7rocprim17ROCPRIM_400000_NS6detail17trampoline_kernelINS0_14default_configENS1_25partition_config_selectorILNS1_17partition_subalgoE5EdNS0_10empty_typeEbEEZZNS1_14partition_implILS5_5ELb0ES3_mN6thrust23THRUST_200600_302600_NS6detail15normal_iteratorINSA_10device_ptrIdEEEEPS6_NSA_18transform_iteratorINSB_9not_fun_tI7is_trueIdEEESF_NSA_11use_defaultESM_EENS0_5tupleIJSF_S6_EEENSO_IJSG_SG_EEES6_PlJS6_EEE10hipError_tPvRmT3_T4_T5_T6_T7_T9_mT8_P12ihipStream_tbDpT10_ENKUlT_T0_E_clISt17integral_constantIbLb1EES1A_IbLb0EEEEDaS16_S17_EUlS16_E_NS1_11comp_targetILNS1_3genE4ELNS1_11target_archE910ELNS1_3gpuE8ELNS1_3repE0EEENS1_30default_config_static_selectorELNS0_4arch9wavefront6targetE0EEEvT1_.num_agpr, 0
	.set _ZN7rocprim17ROCPRIM_400000_NS6detail17trampoline_kernelINS0_14default_configENS1_25partition_config_selectorILNS1_17partition_subalgoE5EdNS0_10empty_typeEbEEZZNS1_14partition_implILS5_5ELb0ES3_mN6thrust23THRUST_200600_302600_NS6detail15normal_iteratorINSA_10device_ptrIdEEEEPS6_NSA_18transform_iteratorINSB_9not_fun_tI7is_trueIdEEESF_NSA_11use_defaultESM_EENS0_5tupleIJSF_S6_EEENSO_IJSG_SG_EEES6_PlJS6_EEE10hipError_tPvRmT3_T4_T5_T6_T7_T9_mT8_P12ihipStream_tbDpT10_ENKUlT_T0_E_clISt17integral_constantIbLb1EES1A_IbLb0EEEEDaS16_S17_EUlS16_E_NS1_11comp_targetILNS1_3genE4ELNS1_11target_archE910ELNS1_3gpuE8ELNS1_3repE0EEENS1_30default_config_static_selectorELNS0_4arch9wavefront6targetE0EEEvT1_.numbered_sgpr, 0
	.set _ZN7rocprim17ROCPRIM_400000_NS6detail17trampoline_kernelINS0_14default_configENS1_25partition_config_selectorILNS1_17partition_subalgoE5EdNS0_10empty_typeEbEEZZNS1_14partition_implILS5_5ELb0ES3_mN6thrust23THRUST_200600_302600_NS6detail15normal_iteratorINSA_10device_ptrIdEEEEPS6_NSA_18transform_iteratorINSB_9not_fun_tI7is_trueIdEEESF_NSA_11use_defaultESM_EENS0_5tupleIJSF_S6_EEENSO_IJSG_SG_EEES6_PlJS6_EEE10hipError_tPvRmT3_T4_T5_T6_T7_T9_mT8_P12ihipStream_tbDpT10_ENKUlT_T0_E_clISt17integral_constantIbLb1EES1A_IbLb0EEEEDaS16_S17_EUlS16_E_NS1_11comp_targetILNS1_3genE4ELNS1_11target_archE910ELNS1_3gpuE8ELNS1_3repE0EEENS1_30default_config_static_selectorELNS0_4arch9wavefront6targetE0EEEvT1_.num_named_barrier, 0
	.set _ZN7rocprim17ROCPRIM_400000_NS6detail17trampoline_kernelINS0_14default_configENS1_25partition_config_selectorILNS1_17partition_subalgoE5EdNS0_10empty_typeEbEEZZNS1_14partition_implILS5_5ELb0ES3_mN6thrust23THRUST_200600_302600_NS6detail15normal_iteratorINSA_10device_ptrIdEEEEPS6_NSA_18transform_iteratorINSB_9not_fun_tI7is_trueIdEEESF_NSA_11use_defaultESM_EENS0_5tupleIJSF_S6_EEENSO_IJSG_SG_EEES6_PlJS6_EEE10hipError_tPvRmT3_T4_T5_T6_T7_T9_mT8_P12ihipStream_tbDpT10_ENKUlT_T0_E_clISt17integral_constantIbLb1EES1A_IbLb0EEEEDaS16_S17_EUlS16_E_NS1_11comp_targetILNS1_3genE4ELNS1_11target_archE910ELNS1_3gpuE8ELNS1_3repE0EEENS1_30default_config_static_selectorELNS0_4arch9wavefront6targetE0EEEvT1_.private_seg_size, 0
	.set _ZN7rocprim17ROCPRIM_400000_NS6detail17trampoline_kernelINS0_14default_configENS1_25partition_config_selectorILNS1_17partition_subalgoE5EdNS0_10empty_typeEbEEZZNS1_14partition_implILS5_5ELb0ES3_mN6thrust23THRUST_200600_302600_NS6detail15normal_iteratorINSA_10device_ptrIdEEEEPS6_NSA_18transform_iteratorINSB_9not_fun_tI7is_trueIdEEESF_NSA_11use_defaultESM_EENS0_5tupleIJSF_S6_EEENSO_IJSG_SG_EEES6_PlJS6_EEE10hipError_tPvRmT3_T4_T5_T6_T7_T9_mT8_P12ihipStream_tbDpT10_ENKUlT_T0_E_clISt17integral_constantIbLb1EES1A_IbLb0EEEEDaS16_S17_EUlS16_E_NS1_11comp_targetILNS1_3genE4ELNS1_11target_archE910ELNS1_3gpuE8ELNS1_3repE0EEENS1_30default_config_static_selectorELNS0_4arch9wavefront6targetE0EEEvT1_.uses_vcc, 0
	.set _ZN7rocprim17ROCPRIM_400000_NS6detail17trampoline_kernelINS0_14default_configENS1_25partition_config_selectorILNS1_17partition_subalgoE5EdNS0_10empty_typeEbEEZZNS1_14partition_implILS5_5ELb0ES3_mN6thrust23THRUST_200600_302600_NS6detail15normal_iteratorINSA_10device_ptrIdEEEEPS6_NSA_18transform_iteratorINSB_9not_fun_tI7is_trueIdEEESF_NSA_11use_defaultESM_EENS0_5tupleIJSF_S6_EEENSO_IJSG_SG_EEES6_PlJS6_EEE10hipError_tPvRmT3_T4_T5_T6_T7_T9_mT8_P12ihipStream_tbDpT10_ENKUlT_T0_E_clISt17integral_constantIbLb1EES1A_IbLb0EEEEDaS16_S17_EUlS16_E_NS1_11comp_targetILNS1_3genE4ELNS1_11target_archE910ELNS1_3gpuE8ELNS1_3repE0EEENS1_30default_config_static_selectorELNS0_4arch9wavefront6targetE0EEEvT1_.uses_flat_scratch, 0
	.set _ZN7rocprim17ROCPRIM_400000_NS6detail17trampoline_kernelINS0_14default_configENS1_25partition_config_selectorILNS1_17partition_subalgoE5EdNS0_10empty_typeEbEEZZNS1_14partition_implILS5_5ELb0ES3_mN6thrust23THRUST_200600_302600_NS6detail15normal_iteratorINSA_10device_ptrIdEEEEPS6_NSA_18transform_iteratorINSB_9not_fun_tI7is_trueIdEEESF_NSA_11use_defaultESM_EENS0_5tupleIJSF_S6_EEENSO_IJSG_SG_EEES6_PlJS6_EEE10hipError_tPvRmT3_T4_T5_T6_T7_T9_mT8_P12ihipStream_tbDpT10_ENKUlT_T0_E_clISt17integral_constantIbLb1EES1A_IbLb0EEEEDaS16_S17_EUlS16_E_NS1_11comp_targetILNS1_3genE4ELNS1_11target_archE910ELNS1_3gpuE8ELNS1_3repE0EEENS1_30default_config_static_selectorELNS0_4arch9wavefront6targetE0EEEvT1_.has_dyn_sized_stack, 0
	.set _ZN7rocprim17ROCPRIM_400000_NS6detail17trampoline_kernelINS0_14default_configENS1_25partition_config_selectorILNS1_17partition_subalgoE5EdNS0_10empty_typeEbEEZZNS1_14partition_implILS5_5ELb0ES3_mN6thrust23THRUST_200600_302600_NS6detail15normal_iteratorINSA_10device_ptrIdEEEEPS6_NSA_18transform_iteratorINSB_9not_fun_tI7is_trueIdEEESF_NSA_11use_defaultESM_EENS0_5tupleIJSF_S6_EEENSO_IJSG_SG_EEES6_PlJS6_EEE10hipError_tPvRmT3_T4_T5_T6_T7_T9_mT8_P12ihipStream_tbDpT10_ENKUlT_T0_E_clISt17integral_constantIbLb1EES1A_IbLb0EEEEDaS16_S17_EUlS16_E_NS1_11comp_targetILNS1_3genE4ELNS1_11target_archE910ELNS1_3gpuE8ELNS1_3repE0EEENS1_30default_config_static_selectorELNS0_4arch9wavefront6targetE0EEEvT1_.has_recursion, 0
	.set _ZN7rocprim17ROCPRIM_400000_NS6detail17trampoline_kernelINS0_14default_configENS1_25partition_config_selectorILNS1_17partition_subalgoE5EdNS0_10empty_typeEbEEZZNS1_14partition_implILS5_5ELb0ES3_mN6thrust23THRUST_200600_302600_NS6detail15normal_iteratorINSA_10device_ptrIdEEEEPS6_NSA_18transform_iteratorINSB_9not_fun_tI7is_trueIdEEESF_NSA_11use_defaultESM_EENS0_5tupleIJSF_S6_EEENSO_IJSG_SG_EEES6_PlJS6_EEE10hipError_tPvRmT3_T4_T5_T6_T7_T9_mT8_P12ihipStream_tbDpT10_ENKUlT_T0_E_clISt17integral_constantIbLb1EES1A_IbLb0EEEEDaS16_S17_EUlS16_E_NS1_11comp_targetILNS1_3genE4ELNS1_11target_archE910ELNS1_3gpuE8ELNS1_3repE0EEENS1_30default_config_static_selectorELNS0_4arch9wavefront6targetE0EEEvT1_.has_indirect_call, 0
	.section	.AMDGPU.csdata,"",@progbits
; Kernel info:
; codeLenInByte = 0
; TotalNumSgprs: 0
; NumVgprs: 0
; ScratchSize: 0
; MemoryBound: 0
; FloatMode: 240
; IeeeMode: 1
; LDSByteSize: 0 bytes/workgroup (compile time only)
; SGPRBlocks: 0
; VGPRBlocks: 0
; NumSGPRsForWavesPerEU: 1
; NumVGPRsForWavesPerEU: 1
; Occupancy: 16
; WaveLimiterHint : 0
; COMPUTE_PGM_RSRC2:SCRATCH_EN: 0
; COMPUTE_PGM_RSRC2:USER_SGPR: 2
; COMPUTE_PGM_RSRC2:TRAP_HANDLER: 0
; COMPUTE_PGM_RSRC2:TGID_X_EN: 1
; COMPUTE_PGM_RSRC2:TGID_Y_EN: 0
; COMPUTE_PGM_RSRC2:TGID_Z_EN: 0
; COMPUTE_PGM_RSRC2:TIDIG_COMP_CNT: 0
	.section	.text._ZN7rocprim17ROCPRIM_400000_NS6detail17trampoline_kernelINS0_14default_configENS1_25partition_config_selectorILNS1_17partition_subalgoE5EdNS0_10empty_typeEbEEZZNS1_14partition_implILS5_5ELb0ES3_mN6thrust23THRUST_200600_302600_NS6detail15normal_iteratorINSA_10device_ptrIdEEEEPS6_NSA_18transform_iteratorINSB_9not_fun_tI7is_trueIdEEESF_NSA_11use_defaultESM_EENS0_5tupleIJSF_S6_EEENSO_IJSG_SG_EEES6_PlJS6_EEE10hipError_tPvRmT3_T4_T5_T6_T7_T9_mT8_P12ihipStream_tbDpT10_ENKUlT_T0_E_clISt17integral_constantIbLb1EES1A_IbLb0EEEEDaS16_S17_EUlS16_E_NS1_11comp_targetILNS1_3genE3ELNS1_11target_archE908ELNS1_3gpuE7ELNS1_3repE0EEENS1_30default_config_static_selectorELNS0_4arch9wavefront6targetE0EEEvT1_,"axG",@progbits,_ZN7rocprim17ROCPRIM_400000_NS6detail17trampoline_kernelINS0_14default_configENS1_25partition_config_selectorILNS1_17partition_subalgoE5EdNS0_10empty_typeEbEEZZNS1_14partition_implILS5_5ELb0ES3_mN6thrust23THRUST_200600_302600_NS6detail15normal_iteratorINSA_10device_ptrIdEEEEPS6_NSA_18transform_iteratorINSB_9not_fun_tI7is_trueIdEEESF_NSA_11use_defaultESM_EENS0_5tupleIJSF_S6_EEENSO_IJSG_SG_EEES6_PlJS6_EEE10hipError_tPvRmT3_T4_T5_T6_T7_T9_mT8_P12ihipStream_tbDpT10_ENKUlT_T0_E_clISt17integral_constantIbLb1EES1A_IbLb0EEEEDaS16_S17_EUlS16_E_NS1_11comp_targetILNS1_3genE3ELNS1_11target_archE908ELNS1_3gpuE7ELNS1_3repE0EEENS1_30default_config_static_selectorELNS0_4arch9wavefront6targetE0EEEvT1_,comdat
	.protected	_ZN7rocprim17ROCPRIM_400000_NS6detail17trampoline_kernelINS0_14default_configENS1_25partition_config_selectorILNS1_17partition_subalgoE5EdNS0_10empty_typeEbEEZZNS1_14partition_implILS5_5ELb0ES3_mN6thrust23THRUST_200600_302600_NS6detail15normal_iteratorINSA_10device_ptrIdEEEEPS6_NSA_18transform_iteratorINSB_9not_fun_tI7is_trueIdEEESF_NSA_11use_defaultESM_EENS0_5tupleIJSF_S6_EEENSO_IJSG_SG_EEES6_PlJS6_EEE10hipError_tPvRmT3_T4_T5_T6_T7_T9_mT8_P12ihipStream_tbDpT10_ENKUlT_T0_E_clISt17integral_constantIbLb1EES1A_IbLb0EEEEDaS16_S17_EUlS16_E_NS1_11comp_targetILNS1_3genE3ELNS1_11target_archE908ELNS1_3gpuE7ELNS1_3repE0EEENS1_30default_config_static_selectorELNS0_4arch9wavefront6targetE0EEEvT1_ ; -- Begin function _ZN7rocprim17ROCPRIM_400000_NS6detail17trampoline_kernelINS0_14default_configENS1_25partition_config_selectorILNS1_17partition_subalgoE5EdNS0_10empty_typeEbEEZZNS1_14partition_implILS5_5ELb0ES3_mN6thrust23THRUST_200600_302600_NS6detail15normal_iteratorINSA_10device_ptrIdEEEEPS6_NSA_18transform_iteratorINSB_9not_fun_tI7is_trueIdEEESF_NSA_11use_defaultESM_EENS0_5tupleIJSF_S6_EEENSO_IJSG_SG_EEES6_PlJS6_EEE10hipError_tPvRmT3_T4_T5_T6_T7_T9_mT8_P12ihipStream_tbDpT10_ENKUlT_T0_E_clISt17integral_constantIbLb1EES1A_IbLb0EEEEDaS16_S17_EUlS16_E_NS1_11comp_targetILNS1_3genE3ELNS1_11target_archE908ELNS1_3gpuE7ELNS1_3repE0EEENS1_30default_config_static_selectorELNS0_4arch9wavefront6targetE0EEEvT1_
	.globl	_ZN7rocprim17ROCPRIM_400000_NS6detail17trampoline_kernelINS0_14default_configENS1_25partition_config_selectorILNS1_17partition_subalgoE5EdNS0_10empty_typeEbEEZZNS1_14partition_implILS5_5ELb0ES3_mN6thrust23THRUST_200600_302600_NS6detail15normal_iteratorINSA_10device_ptrIdEEEEPS6_NSA_18transform_iteratorINSB_9not_fun_tI7is_trueIdEEESF_NSA_11use_defaultESM_EENS0_5tupleIJSF_S6_EEENSO_IJSG_SG_EEES6_PlJS6_EEE10hipError_tPvRmT3_T4_T5_T6_T7_T9_mT8_P12ihipStream_tbDpT10_ENKUlT_T0_E_clISt17integral_constantIbLb1EES1A_IbLb0EEEEDaS16_S17_EUlS16_E_NS1_11comp_targetILNS1_3genE3ELNS1_11target_archE908ELNS1_3gpuE7ELNS1_3repE0EEENS1_30default_config_static_selectorELNS0_4arch9wavefront6targetE0EEEvT1_
	.p2align	8
	.type	_ZN7rocprim17ROCPRIM_400000_NS6detail17trampoline_kernelINS0_14default_configENS1_25partition_config_selectorILNS1_17partition_subalgoE5EdNS0_10empty_typeEbEEZZNS1_14partition_implILS5_5ELb0ES3_mN6thrust23THRUST_200600_302600_NS6detail15normal_iteratorINSA_10device_ptrIdEEEEPS6_NSA_18transform_iteratorINSB_9not_fun_tI7is_trueIdEEESF_NSA_11use_defaultESM_EENS0_5tupleIJSF_S6_EEENSO_IJSG_SG_EEES6_PlJS6_EEE10hipError_tPvRmT3_T4_T5_T6_T7_T9_mT8_P12ihipStream_tbDpT10_ENKUlT_T0_E_clISt17integral_constantIbLb1EES1A_IbLb0EEEEDaS16_S17_EUlS16_E_NS1_11comp_targetILNS1_3genE3ELNS1_11target_archE908ELNS1_3gpuE7ELNS1_3repE0EEENS1_30default_config_static_selectorELNS0_4arch9wavefront6targetE0EEEvT1_,@function
_ZN7rocprim17ROCPRIM_400000_NS6detail17trampoline_kernelINS0_14default_configENS1_25partition_config_selectorILNS1_17partition_subalgoE5EdNS0_10empty_typeEbEEZZNS1_14partition_implILS5_5ELb0ES3_mN6thrust23THRUST_200600_302600_NS6detail15normal_iteratorINSA_10device_ptrIdEEEEPS6_NSA_18transform_iteratorINSB_9not_fun_tI7is_trueIdEEESF_NSA_11use_defaultESM_EENS0_5tupleIJSF_S6_EEENSO_IJSG_SG_EEES6_PlJS6_EEE10hipError_tPvRmT3_T4_T5_T6_T7_T9_mT8_P12ihipStream_tbDpT10_ENKUlT_T0_E_clISt17integral_constantIbLb1EES1A_IbLb0EEEEDaS16_S17_EUlS16_E_NS1_11comp_targetILNS1_3genE3ELNS1_11target_archE908ELNS1_3gpuE7ELNS1_3repE0EEENS1_30default_config_static_selectorELNS0_4arch9wavefront6targetE0EEEvT1_: ; @_ZN7rocprim17ROCPRIM_400000_NS6detail17trampoline_kernelINS0_14default_configENS1_25partition_config_selectorILNS1_17partition_subalgoE5EdNS0_10empty_typeEbEEZZNS1_14partition_implILS5_5ELb0ES3_mN6thrust23THRUST_200600_302600_NS6detail15normal_iteratorINSA_10device_ptrIdEEEEPS6_NSA_18transform_iteratorINSB_9not_fun_tI7is_trueIdEEESF_NSA_11use_defaultESM_EENS0_5tupleIJSF_S6_EEENSO_IJSG_SG_EEES6_PlJS6_EEE10hipError_tPvRmT3_T4_T5_T6_T7_T9_mT8_P12ihipStream_tbDpT10_ENKUlT_T0_E_clISt17integral_constantIbLb1EES1A_IbLb0EEEEDaS16_S17_EUlS16_E_NS1_11comp_targetILNS1_3genE3ELNS1_11target_archE908ELNS1_3gpuE7ELNS1_3repE0EEENS1_30default_config_static_selectorELNS0_4arch9wavefront6targetE0EEEvT1_
; %bb.0:
	.section	.rodata,"a",@progbits
	.p2align	6, 0x0
	.amdhsa_kernel _ZN7rocprim17ROCPRIM_400000_NS6detail17trampoline_kernelINS0_14default_configENS1_25partition_config_selectorILNS1_17partition_subalgoE5EdNS0_10empty_typeEbEEZZNS1_14partition_implILS5_5ELb0ES3_mN6thrust23THRUST_200600_302600_NS6detail15normal_iteratorINSA_10device_ptrIdEEEEPS6_NSA_18transform_iteratorINSB_9not_fun_tI7is_trueIdEEESF_NSA_11use_defaultESM_EENS0_5tupleIJSF_S6_EEENSO_IJSG_SG_EEES6_PlJS6_EEE10hipError_tPvRmT3_T4_T5_T6_T7_T9_mT8_P12ihipStream_tbDpT10_ENKUlT_T0_E_clISt17integral_constantIbLb1EES1A_IbLb0EEEEDaS16_S17_EUlS16_E_NS1_11comp_targetILNS1_3genE3ELNS1_11target_archE908ELNS1_3gpuE7ELNS1_3repE0EEENS1_30default_config_static_selectorELNS0_4arch9wavefront6targetE0EEEvT1_
		.amdhsa_group_segment_fixed_size 0
		.amdhsa_private_segment_fixed_size 0
		.amdhsa_kernarg_size 120
		.amdhsa_user_sgpr_count 2
		.amdhsa_user_sgpr_dispatch_ptr 0
		.amdhsa_user_sgpr_queue_ptr 0
		.amdhsa_user_sgpr_kernarg_segment_ptr 1
		.amdhsa_user_sgpr_dispatch_id 0
		.amdhsa_user_sgpr_private_segment_size 0
		.amdhsa_wavefront_size32 1
		.amdhsa_uses_dynamic_stack 0
		.amdhsa_enable_private_segment 0
		.amdhsa_system_sgpr_workgroup_id_x 1
		.amdhsa_system_sgpr_workgroup_id_y 0
		.amdhsa_system_sgpr_workgroup_id_z 0
		.amdhsa_system_sgpr_workgroup_info 0
		.amdhsa_system_vgpr_workitem_id 0
		.amdhsa_next_free_vgpr 1
		.amdhsa_next_free_sgpr 1
		.amdhsa_reserve_vcc 0
		.amdhsa_float_round_mode_32 0
		.amdhsa_float_round_mode_16_64 0
		.amdhsa_float_denorm_mode_32 3
		.amdhsa_float_denorm_mode_16_64 3
		.amdhsa_fp16_overflow 0
		.amdhsa_workgroup_processor_mode 1
		.amdhsa_memory_ordered 1
		.amdhsa_forward_progress 1
		.amdhsa_inst_pref_size 0
		.amdhsa_round_robin_scheduling 0
		.amdhsa_exception_fp_ieee_invalid_op 0
		.amdhsa_exception_fp_denorm_src 0
		.amdhsa_exception_fp_ieee_div_zero 0
		.amdhsa_exception_fp_ieee_overflow 0
		.amdhsa_exception_fp_ieee_underflow 0
		.amdhsa_exception_fp_ieee_inexact 0
		.amdhsa_exception_int_div_zero 0
	.end_amdhsa_kernel
	.section	.text._ZN7rocprim17ROCPRIM_400000_NS6detail17trampoline_kernelINS0_14default_configENS1_25partition_config_selectorILNS1_17partition_subalgoE5EdNS0_10empty_typeEbEEZZNS1_14partition_implILS5_5ELb0ES3_mN6thrust23THRUST_200600_302600_NS6detail15normal_iteratorINSA_10device_ptrIdEEEEPS6_NSA_18transform_iteratorINSB_9not_fun_tI7is_trueIdEEESF_NSA_11use_defaultESM_EENS0_5tupleIJSF_S6_EEENSO_IJSG_SG_EEES6_PlJS6_EEE10hipError_tPvRmT3_T4_T5_T6_T7_T9_mT8_P12ihipStream_tbDpT10_ENKUlT_T0_E_clISt17integral_constantIbLb1EES1A_IbLb0EEEEDaS16_S17_EUlS16_E_NS1_11comp_targetILNS1_3genE3ELNS1_11target_archE908ELNS1_3gpuE7ELNS1_3repE0EEENS1_30default_config_static_selectorELNS0_4arch9wavefront6targetE0EEEvT1_,"axG",@progbits,_ZN7rocprim17ROCPRIM_400000_NS6detail17trampoline_kernelINS0_14default_configENS1_25partition_config_selectorILNS1_17partition_subalgoE5EdNS0_10empty_typeEbEEZZNS1_14partition_implILS5_5ELb0ES3_mN6thrust23THRUST_200600_302600_NS6detail15normal_iteratorINSA_10device_ptrIdEEEEPS6_NSA_18transform_iteratorINSB_9not_fun_tI7is_trueIdEEESF_NSA_11use_defaultESM_EENS0_5tupleIJSF_S6_EEENSO_IJSG_SG_EEES6_PlJS6_EEE10hipError_tPvRmT3_T4_T5_T6_T7_T9_mT8_P12ihipStream_tbDpT10_ENKUlT_T0_E_clISt17integral_constantIbLb1EES1A_IbLb0EEEEDaS16_S17_EUlS16_E_NS1_11comp_targetILNS1_3genE3ELNS1_11target_archE908ELNS1_3gpuE7ELNS1_3repE0EEENS1_30default_config_static_selectorELNS0_4arch9wavefront6targetE0EEEvT1_,comdat
.Lfunc_end1321:
	.size	_ZN7rocprim17ROCPRIM_400000_NS6detail17trampoline_kernelINS0_14default_configENS1_25partition_config_selectorILNS1_17partition_subalgoE5EdNS0_10empty_typeEbEEZZNS1_14partition_implILS5_5ELb0ES3_mN6thrust23THRUST_200600_302600_NS6detail15normal_iteratorINSA_10device_ptrIdEEEEPS6_NSA_18transform_iteratorINSB_9not_fun_tI7is_trueIdEEESF_NSA_11use_defaultESM_EENS0_5tupleIJSF_S6_EEENSO_IJSG_SG_EEES6_PlJS6_EEE10hipError_tPvRmT3_T4_T5_T6_T7_T9_mT8_P12ihipStream_tbDpT10_ENKUlT_T0_E_clISt17integral_constantIbLb1EES1A_IbLb0EEEEDaS16_S17_EUlS16_E_NS1_11comp_targetILNS1_3genE3ELNS1_11target_archE908ELNS1_3gpuE7ELNS1_3repE0EEENS1_30default_config_static_selectorELNS0_4arch9wavefront6targetE0EEEvT1_, .Lfunc_end1321-_ZN7rocprim17ROCPRIM_400000_NS6detail17trampoline_kernelINS0_14default_configENS1_25partition_config_selectorILNS1_17partition_subalgoE5EdNS0_10empty_typeEbEEZZNS1_14partition_implILS5_5ELb0ES3_mN6thrust23THRUST_200600_302600_NS6detail15normal_iteratorINSA_10device_ptrIdEEEEPS6_NSA_18transform_iteratorINSB_9not_fun_tI7is_trueIdEEESF_NSA_11use_defaultESM_EENS0_5tupleIJSF_S6_EEENSO_IJSG_SG_EEES6_PlJS6_EEE10hipError_tPvRmT3_T4_T5_T6_T7_T9_mT8_P12ihipStream_tbDpT10_ENKUlT_T0_E_clISt17integral_constantIbLb1EES1A_IbLb0EEEEDaS16_S17_EUlS16_E_NS1_11comp_targetILNS1_3genE3ELNS1_11target_archE908ELNS1_3gpuE7ELNS1_3repE0EEENS1_30default_config_static_selectorELNS0_4arch9wavefront6targetE0EEEvT1_
                                        ; -- End function
	.set _ZN7rocprim17ROCPRIM_400000_NS6detail17trampoline_kernelINS0_14default_configENS1_25partition_config_selectorILNS1_17partition_subalgoE5EdNS0_10empty_typeEbEEZZNS1_14partition_implILS5_5ELb0ES3_mN6thrust23THRUST_200600_302600_NS6detail15normal_iteratorINSA_10device_ptrIdEEEEPS6_NSA_18transform_iteratorINSB_9not_fun_tI7is_trueIdEEESF_NSA_11use_defaultESM_EENS0_5tupleIJSF_S6_EEENSO_IJSG_SG_EEES6_PlJS6_EEE10hipError_tPvRmT3_T4_T5_T6_T7_T9_mT8_P12ihipStream_tbDpT10_ENKUlT_T0_E_clISt17integral_constantIbLb1EES1A_IbLb0EEEEDaS16_S17_EUlS16_E_NS1_11comp_targetILNS1_3genE3ELNS1_11target_archE908ELNS1_3gpuE7ELNS1_3repE0EEENS1_30default_config_static_selectorELNS0_4arch9wavefront6targetE0EEEvT1_.num_vgpr, 0
	.set _ZN7rocprim17ROCPRIM_400000_NS6detail17trampoline_kernelINS0_14default_configENS1_25partition_config_selectorILNS1_17partition_subalgoE5EdNS0_10empty_typeEbEEZZNS1_14partition_implILS5_5ELb0ES3_mN6thrust23THRUST_200600_302600_NS6detail15normal_iteratorINSA_10device_ptrIdEEEEPS6_NSA_18transform_iteratorINSB_9not_fun_tI7is_trueIdEEESF_NSA_11use_defaultESM_EENS0_5tupleIJSF_S6_EEENSO_IJSG_SG_EEES6_PlJS6_EEE10hipError_tPvRmT3_T4_T5_T6_T7_T9_mT8_P12ihipStream_tbDpT10_ENKUlT_T0_E_clISt17integral_constantIbLb1EES1A_IbLb0EEEEDaS16_S17_EUlS16_E_NS1_11comp_targetILNS1_3genE3ELNS1_11target_archE908ELNS1_3gpuE7ELNS1_3repE0EEENS1_30default_config_static_selectorELNS0_4arch9wavefront6targetE0EEEvT1_.num_agpr, 0
	.set _ZN7rocprim17ROCPRIM_400000_NS6detail17trampoline_kernelINS0_14default_configENS1_25partition_config_selectorILNS1_17partition_subalgoE5EdNS0_10empty_typeEbEEZZNS1_14partition_implILS5_5ELb0ES3_mN6thrust23THRUST_200600_302600_NS6detail15normal_iteratorINSA_10device_ptrIdEEEEPS6_NSA_18transform_iteratorINSB_9not_fun_tI7is_trueIdEEESF_NSA_11use_defaultESM_EENS0_5tupleIJSF_S6_EEENSO_IJSG_SG_EEES6_PlJS6_EEE10hipError_tPvRmT3_T4_T5_T6_T7_T9_mT8_P12ihipStream_tbDpT10_ENKUlT_T0_E_clISt17integral_constantIbLb1EES1A_IbLb0EEEEDaS16_S17_EUlS16_E_NS1_11comp_targetILNS1_3genE3ELNS1_11target_archE908ELNS1_3gpuE7ELNS1_3repE0EEENS1_30default_config_static_selectorELNS0_4arch9wavefront6targetE0EEEvT1_.numbered_sgpr, 0
	.set _ZN7rocprim17ROCPRIM_400000_NS6detail17trampoline_kernelINS0_14default_configENS1_25partition_config_selectorILNS1_17partition_subalgoE5EdNS0_10empty_typeEbEEZZNS1_14partition_implILS5_5ELb0ES3_mN6thrust23THRUST_200600_302600_NS6detail15normal_iteratorINSA_10device_ptrIdEEEEPS6_NSA_18transform_iteratorINSB_9not_fun_tI7is_trueIdEEESF_NSA_11use_defaultESM_EENS0_5tupleIJSF_S6_EEENSO_IJSG_SG_EEES6_PlJS6_EEE10hipError_tPvRmT3_T4_T5_T6_T7_T9_mT8_P12ihipStream_tbDpT10_ENKUlT_T0_E_clISt17integral_constantIbLb1EES1A_IbLb0EEEEDaS16_S17_EUlS16_E_NS1_11comp_targetILNS1_3genE3ELNS1_11target_archE908ELNS1_3gpuE7ELNS1_3repE0EEENS1_30default_config_static_selectorELNS0_4arch9wavefront6targetE0EEEvT1_.num_named_barrier, 0
	.set _ZN7rocprim17ROCPRIM_400000_NS6detail17trampoline_kernelINS0_14default_configENS1_25partition_config_selectorILNS1_17partition_subalgoE5EdNS0_10empty_typeEbEEZZNS1_14partition_implILS5_5ELb0ES3_mN6thrust23THRUST_200600_302600_NS6detail15normal_iteratorINSA_10device_ptrIdEEEEPS6_NSA_18transform_iteratorINSB_9not_fun_tI7is_trueIdEEESF_NSA_11use_defaultESM_EENS0_5tupleIJSF_S6_EEENSO_IJSG_SG_EEES6_PlJS6_EEE10hipError_tPvRmT3_T4_T5_T6_T7_T9_mT8_P12ihipStream_tbDpT10_ENKUlT_T0_E_clISt17integral_constantIbLb1EES1A_IbLb0EEEEDaS16_S17_EUlS16_E_NS1_11comp_targetILNS1_3genE3ELNS1_11target_archE908ELNS1_3gpuE7ELNS1_3repE0EEENS1_30default_config_static_selectorELNS0_4arch9wavefront6targetE0EEEvT1_.private_seg_size, 0
	.set _ZN7rocprim17ROCPRIM_400000_NS6detail17trampoline_kernelINS0_14default_configENS1_25partition_config_selectorILNS1_17partition_subalgoE5EdNS0_10empty_typeEbEEZZNS1_14partition_implILS5_5ELb0ES3_mN6thrust23THRUST_200600_302600_NS6detail15normal_iteratorINSA_10device_ptrIdEEEEPS6_NSA_18transform_iteratorINSB_9not_fun_tI7is_trueIdEEESF_NSA_11use_defaultESM_EENS0_5tupleIJSF_S6_EEENSO_IJSG_SG_EEES6_PlJS6_EEE10hipError_tPvRmT3_T4_T5_T6_T7_T9_mT8_P12ihipStream_tbDpT10_ENKUlT_T0_E_clISt17integral_constantIbLb1EES1A_IbLb0EEEEDaS16_S17_EUlS16_E_NS1_11comp_targetILNS1_3genE3ELNS1_11target_archE908ELNS1_3gpuE7ELNS1_3repE0EEENS1_30default_config_static_selectorELNS0_4arch9wavefront6targetE0EEEvT1_.uses_vcc, 0
	.set _ZN7rocprim17ROCPRIM_400000_NS6detail17trampoline_kernelINS0_14default_configENS1_25partition_config_selectorILNS1_17partition_subalgoE5EdNS0_10empty_typeEbEEZZNS1_14partition_implILS5_5ELb0ES3_mN6thrust23THRUST_200600_302600_NS6detail15normal_iteratorINSA_10device_ptrIdEEEEPS6_NSA_18transform_iteratorINSB_9not_fun_tI7is_trueIdEEESF_NSA_11use_defaultESM_EENS0_5tupleIJSF_S6_EEENSO_IJSG_SG_EEES6_PlJS6_EEE10hipError_tPvRmT3_T4_T5_T6_T7_T9_mT8_P12ihipStream_tbDpT10_ENKUlT_T0_E_clISt17integral_constantIbLb1EES1A_IbLb0EEEEDaS16_S17_EUlS16_E_NS1_11comp_targetILNS1_3genE3ELNS1_11target_archE908ELNS1_3gpuE7ELNS1_3repE0EEENS1_30default_config_static_selectorELNS0_4arch9wavefront6targetE0EEEvT1_.uses_flat_scratch, 0
	.set _ZN7rocprim17ROCPRIM_400000_NS6detail17trampoline_kernelINS0_14default_configENS1_25partition_config_selectorILNS1_17partition_subalgoE5EdNS0_10empty_typeEbEEZZNS1_14partition_implILS5_5ELb0ES3_mN6thrust23THRUST_200600_302600_NS6detail15normal_iteratorINSA_10device_ptrIdEEEEPS6_NSA_18transform_iteratorINSB_9not_fun_tI7is_trueIdEEESF_NSA_11use_defaultESM_EENS0_5tupleIJSF_S6_EEENSO_IJSG_SG_EEES6_PlJS6_EEE10hipError_tPvRmT3_T4_T5_T6_T7_T9_mT8_P12ihipStream_tbDpT10_ENKUlT_T0_E_clISt17integral_constantIbLb1EES1A_IbLb0EEEEDaS16_S17_EUlS16_E_NS1_11comp_targetILNS1_3genE3ELNS1_11target_archE908ELNS1_3gpuE7ELNS1_3repE0EEENS1_30default_config_static_selectorELNS0_4arch9wavefront6targetE0EEEvT1_.has_dyn_sized_stack, 0
	.set _ZN7rocprim17ROCPRIM_400000_NS6detail17trampoline_kernelINS0_14default_configENS1_25partition_config_selectorILNS1_17partition_subalgoE5EdNS0_10empty_typeEbEEZZNS1_14partition_implILS5_5ELb0ES3_mN6thrust23THRUST_200600_302600_NS6detail15normal_iteratorINSA_10device_ptrIdEEEEPS6_NSA_18transform_iteratorINSB_9not_fun_tI7is_trueIdEEESF_NSA_11use_defaultESM_EENS0_5tupleIJSF_S6_EEENSO_IJSG_SG_EEES6_PlJS6_EEE10hipError_tPvRmT3_T4_T5_T6_T7_T9_mT8_P12ihipStream_tbDpT10_ENKUlT_T0_E_clISt17integral_constantIbLb1EES1A_IbLb0EEEEDaS16_S17_EUlS16_E_NS1_11comp_targetILNS1_3genE3ELNS1_11target_archE908ELNS1_3gpuE7ELNS1_3repE0EEENS1_30default_config_static_selectorELNS0_4arch9wavefront6targetE0EEEvT1_.has_recursion, 0
	.set _ZN7rocprim17ROCPRIM_400000_NS6detail17trampoline_kernelINS0_14default_configENS1_25partition_config_selectorILNS1_17partition_subalgoE5EdNS0_10empty_typeEbEEZZNS1_14partition_implILS5_5ELb0ES3_mN6thrust23THRUST_200600_302600_NS6detail15normal_iteratorINSA_10device_ptrIdEEEEPS6_NSA_18transform_iteratorINSB_9not_fun_tI7is_trueIdEEESF_NSA_11use_defaultESM_EENS0_5tupleIJSF_S6_EEENSO_IJSG_SG_EEES6_PlJS6_EEE10hipError_tPvRmT3_T4_T5_T6_T7_T9_mT8_P12ihipStream_tbDpT10_ENKUlT_T0_E_clISt17integral_constantIbLb1EES1A_IbLb0EEEEDaS16_S17_EUlS16_E_NS1_11comp_targetILNS1_3genE3ELNS1_11target_archE908ELNS1_3gpuE7ELNS1_3repE0EEENS1_30default_config_static_selectorELNS0_4arch9wavefront6targetE0EEEvT1_.has_indirect_call, 0
	.section	.AMDGPU.csdata,"",@progbits
; Kernel info:
; codeLenInByte = 0
; TotalNumSgprs: 0
; NumVgprs: 0
; ScratchSize: 0
; MemoryBound: 0
; FloatMode: 240
; IeeeMode: 1
; LDSByteSize: 0 bytes/workgroup (compile time only)
; SGPRBlocks: 0
; VGPRBlocks: 0
; NumSGPRsForWavesPerEU: 1
; NumVGPRsForWavesPerEU: 1
; Occupancy: 16
; WaveLimiterHint : 0
; COMPUTE_PGM_RSRC2:SCRATCH_EN: 0
; COMPUTE_PGM_RSRC2:USER_SGPR: 2
; COMPUTE_PGM_RSRC2:TRAP_HANDLER: 0
; COMPUTE_PGM_RSRC2:TGID_X_EN: 1
; COMPUTE_PGM_RSRC2:TGID_Y_EN: 0
; COMPUTE_PGM_RSRC2:TGID_Z_EN: 0
; COMPUTE_PGM_RSRC2:TIDIG_COMP_CNT: 0
	.section	.text._ZN7rocprim17ROCPRIM_400000_NS6detail17trampoline_kernelINS0_14default_configENS1_25partition_config_selectorILNS1_17partition_subalgoE5EdNS0_10empty_typeEbEEZZNS1_14partition_implILS5_5ELb0ES3_mN6thrust23THRUST_200600_302600_NS6detail15normal_iteratorINSA_10device_ptrIdEEEEPS6_NSA_18transform_iteratorINSB_9not_fun_tI7is_trueIdEEESF_NSA_11use_defaultESM_EENS0_5tupleIJSF_S6_EEENSO_IJSG_SG_EEES6_PlJS6_EEE10hipError_tPvRmT3_T4_T5_T6_T7_T9_mT8_P12ihipStream_tbDpT10_ENKUlT_T0_E_clISt17integral_constantIbLb1EES1A_IbLb0EEEEDaS16_S17_EUlS16_E_NS1_11comp_targetILNS1_3genE2ELNS1_11target_archE906ELNS1_3gpuE6ELNS1_3repE0EEENS1_30default_config_static_selectorELNS0_4arch9wavefront6targetE0EEEvT1_,"axG",@progbits,_ZN7rocprim17ROCPRIM_400000_NS6detail17trampoline_kernelINS0_14default_configENS1_25partition_config_selectorILNS1_17partition_subalgoE5EdNS0_10empty_typeEbEEZZNS1_14partition_implILS5_5ELb0ES3_mN6thrust23THRUST_200600_302600_NS6detail15normal_iteratorINSA_10device_ptrIdEEEEPS6_NSA_18transform_iteratorINSB_9not_fun_tI7is_trueIdEEESF_NSA_11use_defaultESM_EENS0_5tupleIJSF_S6_EEENSO_IJSG_SG_EEES6_PlJS6_EEE10hipError_tPvRmT3_T4_T5_T6_T7_T9_mT8_P12ihipStream_tbDpT10_ENKUlT_T0_E_clISt17integral_constantIbLb1EES1A_IbLb0EEEEDaS16_S17_EUlS16_E_NS1_11comp_targetILNS1_3genE2ELNS1_11target_archE906ELNS1_3gpuE6ELNS1_3repE0EEENS1_30default_config_static_selectorELNS0_4arch9wavefront6targetE0EEEvT1_,comdat
	.protected	_ZN7rocprim17ROCPRIM_400000_NS6detail17trampoline_kernelINS0_14default_configENS1_25partition_config_selectorILNS1_17partition_subalgoE5EdNS0_10empty_typeEbEEZZNS1_14partition_implILS5_5ELb0ES3_mN6thrust23THRUST_200600_302600_NS6detail15normal_iteratorINSA_10device_ptrIdEEEEPS6_NSA_18transform_iteratorINSB_9not_fun_tI7is_trueIdEEESF_NSA_11use_defaultESM_EENS0_5tupleIJSF_S6_EEENSO_IJSG_SG_EEES6_PlJS6_EEE10hipError_tPvRmT3_T4_T5_T6_T7_T9_mT8_P12ihipStream_tbDpT10_ENKUlT_T0_E_clISt17integral_constantIbLb1EES1A_IbLb0EEEEDaS16_S17_EUlS16_E_NS1_11comp_targetILNS1_3genE2ELNS1_11target_archE906ELNS1_3gpuE6ELNS1_3repE0EEENS1_30default_config_static_selectorELNS0_4arch9wavefront6targetE0EEEvT1_ ; -- Begin function _ZN7rocprim17ROCPRIM_400000_NS6detail17trampoline_kernelINS0_14default_configENS1_25partition_config_selectorILNS1_17partition_subalgoE5EdNS0_10empty_typeEbEEZZNS1_14partition_implILS5_5ELb0ES3_mN6thrust23THRUST_200600_302600_NS6detail15normal_iteratorINSA_10device_ptrIdEEEEPS6_NSA_18transform_iteratorINSB_9not_fun_tI7is_trueIdEEESF_NSA_11use_defaultESM_EENS0_5tupleIJSF_S6_EEENSO_IJSG_SG_EEES6_PlJS6_EEE10hipError_tPvRmT3_T4_T5_T6_T7_T9_mT8_P12ihipStream_tbDpT10_ENKUlT_T0_E_clISt17integral_constantIbLb1EES1A_IbLb0EEEEDaS16_S17_EUlS16_E_NS1_11comp_targetILNS1_3genE2ELNS1_11target_archE906ELNS1_3gpuE6ELNS1_3repE0EEENS1_30default_config_static_selectorELNS0_4arch9wavefront6targetE0EEEvT1_
	.globl	_ZN7rocprim17ROCPRIM_400000_NS6detail17trampoline_kernelINS0_14default_configENS1_25partition_config_selectorILNS1_17partition_subalgoE5EdNS0_10empty_typeEbEEZZNS1_14partition_implILS5_5ELb0ES3_mN6thrust23THRUST_200600_302600_NS6detail15normal_iteratorINSA_10device_ptrIdEEEEPS6_NSA_18transform_iteratorINSB_9not_fun_tI7is_trueIdEEESF_NSA_11use_defaultESM_EENS0_5tupleIJSF_S6_EEENSO_IJSG_SG_EEES6_PlJS6_EEE10hipError_tPvRmT3_T4_T5_T6_T7_T9_mT8_P12ihipStream_tbDpT10_ENKUlT_T0_E_clISt17integral_constantIbLb1EES1A_IbLb0EEEEDaS16_S17_EUlS16_E_NS1_11comp_targetILNS1_3genE2ELNS1_11target_archE906ELNS1_3gpuE6ELNS1_3repE0EEENS1_30default_config_static_selectorELNS0_4arch9wavefront6targetE0EEEvT1_
	.p2align	8
	.type	_ZN7rocprim17ROCPRIM_400000_NS6detail17trampoline_kernelINS0_14default_configENS1_25partition_config_selectorILNS1_17partition_subalgoE5EdNS0_10empty_typeEbEEZZNS1_14partition_implILS5_5ELb0ES3_mN6thrust23THRUST_200600_302600_NS6detail15normal_iteratorINSA_10device_ptrIdEEEEPS6_NSA_18transform_iteratorINSB_9not_fun_tI7is_trueIdEEESF_NSA_11use_defaultESM_EENS0_5tupleIJSF_S6_EEENSO_IJSG_SG_EEES6_PlJS6_EEE10hipError_tPvRmT3_T4_T5_T6_T7_T9_mT8_P12ihipStream_tbDpT10_ENKUlT_T0_E_clISt17integral_constantIbLb1EES1A_IbLb0EEEEDaS16_S17_EUlS16_E_NS1_11comp_targetILNS1_3genE2ELNS1_11target_archE906ELNS1_3gpuE6ELNS1_3repE0EEENS1_30default_config_static_selectorELNS0_4arch9wavefront6targetE0EEEvT1_,@function
_ZN7rocprim17ROCPRIM_400000_NS6detail17trampoline_kernelINS0_14default_configENS1_25partition_config_selectorILNS1_17partition_subalgoE5EdNS0_10empty_typeEbEEZZNS1_14partition_implILS5_5ELb0ES3_mN6thrust23THRUST_200600_302600_NS6detail15normal_iteratorINSA_10device_ptrIdEEEEPS6_NSA_18transform_iteratorINSB_9not_fun_tI7is_trueIdEEESF_NSA_11use_defaultESM_EENS0_5tupleIJSF_S6_EEENSO_IJSG_SG_EEES6_PlJS6_EEE10hipError_tPvRmT3_T4_T5_T6_T7_T9_mT8_P12ihipStream_tbDpT10_ENKUlT_T0_E_clISt17integral_constantIbLb1EES1A_IbLb0EEEEDaS16_S17_EUlS16_E_NS1_11comp_targetILNS1_3genE2ELNS1_11target_archE906ELNS1_3gpuE6ELNS1_3repE0EEENS1_30default_config_static_selectorELNS0_4arch9wavefront6targetE0EEEvT1_: ; @_ZN7rocprim17ROCPRIM_400000_NS6detail17trampoline_kernelINS0_14default_configENS1_25partition_config_selectorILNS1_17partition_subalgoE5EdNS0_10empty_typeEbEEZZNS1_14partition_implILS5_5ELb0ES3_mN6thrust23THRUST_200600_302600_NS6detail15normal_iteratorINSA_10device_ptrIdEEEEPS6_NSA_18transform_iteratorINSB_9not_fun_tI7is_trueIdEEESF_NSA_11use_defaultESM_EENS0_5tupleIJSF_S6_EEENSO_IJSG_SG_EEES6_PlJS6_EEE10hipError_tPvRmT3_T4_T5_T6_T7_T9_mT8_P12ihipStream_tbDpT10_ENKUlT_T0_E_clISt17integral_constantIbLb1EES1A_IbLb0EEEEDaS16_S17_EUlS16_E_NS1_11comp_targetILNS1_3genE2ELNS1_11target_archE906ELNS1_3gpuE6ELNS1_3repE0EEENS1_30default_config_static_selectorELNS0_4arch9wavefront6targetE0EEEvT1_
; %bb.0:
	.section	.rodata,"a",@progbits
	.p2align	6, 0x0
	.amdhsa_kernel _ZN7rocprim17ROCPRIM_400000_NS6detail17trampoline_kernelINS0_14default_configENS1_25partition_config_selectorILNS1_17partition_subalgoE5EdNS0_10empty_typeEbEEZZNS1_14partition_implILS5_5ELb0ES3_mN6thrust23THRUST_200600_302600_NS6detail15normal_iteratorINSA_10device_ptrIdEEEEPS6_NSA_18transform_iteratorINSB_9not_fun_tI7is_trueIdEEESF_NSA_11use_defaultESM_EENS0_5tupleIJSF_S6_EEENSO_IJSG_SG_EEES6_PlJS6_EEE10hipError_tPvRmT3_T4_T5_T6_T7_T9_mT8_P12ihipStream_tbDpT10_ENKUlT_T0_E_clISt17integral_constantIbLb1EES1A_IbLb0EEEEDaS16_S17_EUlS16_E_NS1_11comp_targetILNS1_3genE2ELNS1_11target_archE906ELNS1_3gpuE6ELNS1_3repE0EEENS1_30default_config_static_selectorELNS0_4arch9wavefront6targetE0EEEvT1_
		.amdhsa_group_segment_fixed_size 0
		.amdhsa_private_segment_fixed_size 0
		.amdhsa_kernarg_size 120
		.amdhsa_user_sgpr_count 2
		.amdhsa_user_sgpr_dispatch_ptr 0
		.amdhsa_user_sgpr_queue_ptr 0
		.amdhsa_user_sgpr_kernarg_segment_ptr 1
		.amdhsa_user_sgpr_dispatch_id 0
		.amdhsa_user_sgpr_private_segment_size 0
		.amdhsa_wavefront_size32 1
		.amdhsa_uses_dynamic_stack 0
		.amdhsa_enable_private_segment 0
		.amdhsa_system_sgpr_workgroup_id_x 1
		.amdhsa_system_sgpr_workgroup_id_y 0
		.amdhsa_system_sgpr_workgroup_id_z 0
		.amdhsa_system_sgpr_workgroup_info 0
		.amdhsa_system_vgpr_workitem_id 0
		.amdhsa_next_free_vgpr 1
		.amdhsa_next_free_sgpr 1
		.amdhsa_reserve_vcc 0
		.amdhsa_float_round_mode_32 0
		.amdhsa_float_round_mode_16_64 0
		.amdhsa_float_denorm_mode_32 3
		.amdhsa_float_denorm_mode_16_64 3
		.amdhsa_fp16_overflow 0
		.amdhsa_workgroup_processor_mode 1
		.amdhsa_memory_ordered 1
		.amdhsa_forward_progress 1
		.amdhsa_inst_pref_size 0
		.amdhsa_round_robin_scheduling 0
		.amdhsa_exception_fp_ieee_invalid_op 0
		.amdhsa_exception_fp_denorm_src 0
		.amdhsa_exception_fp_ieee_div_zero 0
		.amdhsa_exception_fp_ieee_overflow 0
		.amdhsa_exception_fp_ieee_underflow 0
		.amdhsa_exception_fp_ieee_inexact 0
		.amdhsa_exception_int_div_zero 0
	.end_amdhsa_kernel
	.section	.text._ZN7rocprim17ROCPRIM_400000_NS6detail17trampoline_kernelINS0_14default_configENS1_25partition_config_selectorILNS1_17partition_subalgoE5EdNS0_10empty_typeEbEEZZNS1_14partition_implILS5_5ELb0ES3_mN6thrust23THRUST_200600_302600_NS6detail15normal_iteratorINSA_10device_ptrIdEEEEPS6_NSA_18transform_iteratorINSB_9not_fun_tI7is_trueIdEEESF_NSA_11use_defaultESM_EENS0_5tupleIJSF_S6_EEENSO_IJSG_SG_EEES6_PlJS6_EEE10hipError_tPvRmT3_T4_T5_T6_T7_T9_mT8_P12ihipStream_tbDpT10_ENKUlT_T0_E_clISt17integral_constantIbLb1EES1A_IbLb0EEEEDaS16_S17_EUlS16_E_NS1_11comp_targetILNS1_3genE2ELNS1_11target_archE906ELNS1_3gpuE6ELNS1_3repE0EEENS1_30default_config_static_selectorELNS0_4arch9wavefront6targetE0EEEvT1_,"axG",@progbits,_ZN7rocprim17ROCPRIM_400000_NS6detail17trampoline_kernelINS0_14default_configENS1_25partition_config_selectorILNS1_17partition_subalgoE5EdNS0_10empty_typeEbEEZZNS1_14partition_implILS5_5ELb0ES3_mN6thrust23THRUST_200600_302600_NS6detail15normal_iteratorINSA_10device_ptrIdEEEEPS6_NSA_18transform_iteratorINSB_9not_fun_tI7is_trueIdEEESF_NSA_11use_defaultESM_EENS0_5tupleIJSF_S6_EEENSO_IJSG_SG_EEES6_PlJS6_EEE10hipError_tPvRmT3_T4_T5_T6_T7_T9_mT8_P12ihipStream_tbDpT10_ENKUlT_T0_E_clISt17integral_constantIbLb1EES1A_IbLb0EEEEDaS16_S17_EUlS16_E_NS1_11comp_targetILNS1_3genE2ELNS1_11target_archE906ELNS1_3gpuE6ELNS1_3repE0EEENS1_30default_config_static_selectorELNS0_4arch9wavefront6targetE0EEEvT1_,comdat
.Lfunc_end1322:
	.size	_ZN7rocprim17ROCPRIM_400000_NS6detail17trampoline_kernelINS0_14default_configENS1_25partition_config_selectorILNS1_17partition_subalgoE5EdNS0_10empty_typeEbEEZZNS1_14partition_implILS5_5ELb0ES3_mN6thrust23THRUST_200600_302600_NS6detail15normal_iteratorINSA_10device_ptrIdEEEEPS6_NSA_18transform_iteratorINSB_9not_fun_tI7is_trueIdEEESF_NSA_11use_defaultESM_EENS0_5tupleIJSF_S6_EEENSO_IJSG_SG_EEES6_PlJS6_EEE10hipError_tPvRmT3_T4_T5_T6_T7_T9_mT8_P12ihipStream_tbDpT10_ENKUlT_T0_E_clISt17integral_constantIbLb1EES1A_IbLb0EEEEDaS16_S17_EUlS16_E_NS1_11comp_targetILNS1_3genE2ELNS1_11target_archE906ELNS1_3gpuE6ELNS1_3repE0EEENS1_30default_config_static_selectorELNS0_4arch9wavefront6targetE0EEEvT1_, .Lfunc_end1322-_ZN7rocprim17ROCPRIM_400000_NS6detail17trampoline_kernelINS0_14default_configENS1_25partition_config_selectorILNS1_17partition_subalgoE5EdNS0_10empty_typeEbEEZZNS1_14partition_implILS5_5ELb0ES3_mN6thrust23THRUST_200600_302600_NS6detail15normal_iteratorINSA_10device_ptrIdEEEEPS6_NSA_18transform_iteratorINSB_9not_fun_tI7is_trueIdEEESF_NSA_11use_defaultESM_EENS0_5tupleIJSF_S6_EEENSO_IJSG_SG_EEES6_PlJS6_EEE10hipError_tPvRmT3_T4_T5_T6_T7_T9_mT8_P12ihipStream_tbDpT10_ENKUlT_T0_E_clISt17integral_constantIbLb1EES1A_IbLb0EEEEDaS16_S17_EUlS16_E_NS1_11comp_targetILNS1_3genE2ELNS1_11target_archE906ELNS1_3gpuE6ELNS1_3repE0EEENS1_30default_config_static_selectorELNS0_4arch9wavefront6targetE0EEEvT1_
                                        ; -- End function
	.set _ZN7rocprim17ROCPRIM_400000_NS6detail17trampoline_kernelINS0_14default_configENS1_25partition_config_selectorILNS1_17partition_subalgoE5EdNS0_10empty_typeEbEEZZNS1_14partition_implILS5_5ELb0ES3_mN6thrust23THRUST_200600_302600_NS6detail15normal_iteratorINSA_10device_ptrIdEEEEPS6_NSA_18transform_iteratorINSB_9not_fun_tI7is_trueIdEEESF_NSA_11use_defaultESM_EENS0_5tupleIJSF_S6_EEENSO_IJSG_SG_EEES6_PlJS6_EEE10hipError_tPvRmT3_T4_T5_T6_T7_T9_mT8_P12ihipStream_tbDpT10_ENKUlT_T0_E_clISt17integral_constantIbLb1EES1A_IbLb0EEEEDaS16_S17_EUlS16_E_NS1_11comp_targetILNS1_3genE2ELNS1_11target_archE906ELNS1_3gpuE6ELNS1_3repE0EEENS1_30default_config_static_selectorELNS0_4arch9wavefront6targetE0EEEvT1_.num_vgpr, 0
	.set _ZN7rocprim17ROCPRIM_400000_NS6detail17trampoline_kernelINS0_14default_configENS1_25partition_config_selectorILNS1_17partition_subalgoE5EdNS0_10empty_typeEbEEZZNS1_14partition_implILS5_5ELb0ES3_mN6thrust23THRUST_200600_302600_NS6detail15normal_iteratorINSA_10device_ptrIdEEEEPS6_NSA_18transform_iteratorINSB_9not_fun_tI7is_trueIdEEESF_NSA_11use_defaultESM_EENS0_5tupleIJSF_S6_EEENSO_IJSG_SG_EEES6_PlJS6_EEE10hipError_tPvRmT3_T4_T5_T6_T7_T9_mT8_P12ihipStream_tbDpT10_ENKUlT_T0_E_clISt17integral_constantIbLb1EES1A_IbLb0EEEEDaS16_S17_EUlS16_E_NS1_11comp_targetILNS1_3genE2ELNS1_11target_archE906ELNS1_3gpuE6ELNS1_3repE0EEENS1_30default_config_static_selectorELNS0_4arch9wavefront6targetE0EEEvT1_.num_agpr, 0
	.set _ZN7rocprim17ROCPRIM_400000_NS6detail17trampoline_kernelINS0_14default_configENS1_25partition_config_selectorILNS1_17partition_subalgoE5EdNS0_10empty_typeEbEEZZNS1_14partition_implILS5_5ELb0ES3_mN6thrust23THRUST_200600_302600_NS6detail15normal_iteratorINSA_10device_ptrIdEEEEPS6_NSA_18transform_iteratorINSB_9not_fun_tI7is_trueIdEEESF_NSA_11use_defaultESM_EENS0_5tupleIJSF_S6_EEENSO_IJSG_SG_EEES6_PlJS6_EEE10hipError_tPvRmT3_T4_T5_T6_T7_T9_mT8_P12ihipStream_tbDpT10_ENKUlT_T0_E_clISt17integral_constantIbLb1EES1A_IbLb0EEEEDaS16_S17_EUlS16_E_NS1_11comp_targetILNS1_3genE2ELNS1_11target_archE906ELNS1_3gpuE6ELNS1_3repE0EEENS1_30default_config_static_selectorELNS0_4arch9wavefront6targetE0EEEvT1_.numbered_sgpr, 0
	.set _ZN7rocprim17ROCPRIM_400000_NS6detail17trampoline_kernelINS0_14default_configENS1_25partition_config_selectorILNS1_17partition_subalgoE5EdNS0_10empty_typeEbEEZZNS1_14partition_implILS5_5ELb0ES3_mN6thrust23THRUST_200600_302600_NS6detail15normal_iteratorINSA_10device_ptrIdEEEEPS6_NSA_18transform_iteratorINSB_9not_fun_tI7is_trueIdEEESF_NSA_11use_defaultESM_EENS0_5tupleIJSF_S6_EEENSO_IJSG_SG_EEES6_PlJS6_EEE10hipError_tPvRmT3_T4_T5_T6_T7_T9_mT8_P12ihipStream_tbDpT10_ENKUlT_T0_E_clISt17integral_constantIbLb1EES1A_IbLb0EEEEDaS16_S17_EUlS16_E_NS1_11comp_targetILNS1_3genE2ELNS1_11target_archE906ELNS1_3gpuE6ELNS1_3repE0EEENS1_30default_config_static_selectorELNS0_4arch9wavefront6targetE0EEEvT1_.num_named_barrier, 0
	.set _ZN7rocprim17ROCPRIM_400000_NS6detail17trampoline_kernelINS0_14default_configENS1_25partition_config_selectorILNS1_17partition_subalgoE5EdNS0_10empty_typeEbEEZZNS1_14partition_implILS5_5ELb0ES3_mN6thrust23THRUST_200600_302600_NS6detail15normal_iteratorINSA_10device_ptrIdEEEEPS6_NSA_18transform_iteratorINSB_9not_fun_tI7is_trueIdEEESF_NSA_11use_defaultESM_EENS0_5tupleIJSF_S6_EEENSO_IJSG_SG_EEES6_PlJS6_EEE10hipError_tPvRmT3_T4_T5_T6_T7_T9_mT8_P12ihipStream_tbDpT10_ENKUlT_T0_E_clISt17integral_constantIbLb1EES1A_IbLb0EEEEDaS16_S17_EUlS16_E_NS1_11comp_targetILNS1_3genE2ELNS1_11target_archE906ELNS1_3gpuE6ELNS1_3repE0EEENS1_30default_config_static_selectorELNS0_4arch9wavefront6targetE0EEEvT1_.private_seg_size, 0
	.set _ZN7rocprim17ROCPRIM_400000_NS6detail17trampoline_kernelINS0_14default_configENS1_25partition_config_selectorILNS1_17partition_subalgoE5EdNS0_10empty_typeEbEEZZNS1_14partition_implILS5_5ELb0ES3_mN6thrust23THRUST_200600_302600_NS6detail15normal_iteratorINSA_10device_ptrIdEEEEPS6_NSA_18transform_iteratorINSB_9not_fun_tI7is_trueIdEEESF_NSA_11use_defaultESM_EENS0_5tupleIJSF_S6_EEENSO_IJSG_SG_EEES6_PlJS6_EEE10hipError_tPvRmT3_T4_T5_T6_T7_T9_mT8_P12ihipStream_tbDpT10_ENKUlT_T0_E_clISt17integral_constantIbLb1EES1A_IbLb0EEEEDaS16_S17_EUlS16_E_NS1_11comp_targetILNS1_3genE2ELNS1_11target_archE906ELNS1_3gpuE6ELNS1_3repE0EEENS1_30default_config_static_selectorELNS0_4arch9wavefront6targetE0EEEvT1_.uses_vcc, 0
	.set _ZN7rocprim17ROCPRIM_400000_NS6detail17trampoline_kernelINS0_14default_configENS1_25partition_config_selectorILNS1_17partition_subalgoE5EdNS0_10empty_typeEbEEZZNS1_14partition_implILS5_5ELb0ES3_mN6thrust23THRUST_200600_302600_NS6detail15normal_iteratorINSA_10device_ptrIdEEEEPS6_NSA_18transform_iteratorINSB_9not_fun_tI7is_trueIdEEESF_NSA_11use_defaultESM_EENS0_5tupleIJSF_S6_EEENSO_IJSG_SG_EEES6_PlJS6_EEE10hipError_tPvRmT3_T4_T5_T6_T7_T9_mT8_P12ihipStream_tbDpT10_ENKUlT_T0_E_clISt17integral_constantIbLb1EES1A_IbLb0EEEEDaS16_S17_EUlS16_E_NS1_11comp_targetILNS1_3genE2ELNS1_11target_archE906ELNS1_3gpuE6ELNS1_3repE0EEENS1_30default_config_static_selectorELNS0_4arch9wavefront6targetE0EEEvT1_.uses_flat_scratch, 0
	.set _ZN7rocprim17ROCPRIM_400000_NS6detail17trampoline_kernelINS0_14default_configENS1_25partition_config_selectorILNS1_17partition_subalgoE5EdNS0_10empty_typeEbEEZZNS1_14partition_implILS5_5ELb0ES3_mN6thrust23THRUST_200600_302600_NS6detail15normal_iteratorINSA_10device_ptrIdEEEEPS6_NSA_18transform_iteratorINSB_9not_fun_tI7is_trueIdEEESF_NSA_11use_defaultESM_EENS0_5tupleIJSF_S6_EEENSO_IJSG_SG_EEES6_PlJS6_EEE10hipError_tPvRmT3_T4_T5_T6_T7_T9_mT8_P12ihipStream_tbDpT10_ENKUlT_T0_E_clISt17integral_constantIbLb1EES1A_IbLb0EEEEDaS16_S17_EUlS16_E_NS1_11comp_targetILNS1_3genE2ELNS1_11target_archE906ELNS1_3gpuE6ELNS1_3repE0EEENS1_30default_config_static_selectorELNS0_4arch9wavefront6targetE0EEEvT1_.has_dyn_sized_stack, 0
	.set _ZN7rocprim17ROCPRIM_400000_NS6detail17trampoline_kernelINS0_14default_configENS1_25partition_config_selectorILNS1_17partition_subalgoE5EdNS0_10empty_typeEbEEZZNS1_14partition_implILS5_5ELb0ES3_mN6thrust23THRUST_200600_302600_NS6detail15normal_iteratorINSA_10device_ptrIdEEEEPS6_NSA_18transform_iteratorINSB_9not_fun_tI7is_trueIdEEESF_NSA_11use_defaultESM_EENS0_5tupleIJSF_S6_EEENSO_IJSG_SG_EEES6_PlJS6_EEE10hipError_tPvRmT3_T4_T5_T6_T7_T9_mT8_P12ihipStream_tbDpT10_ENKUlT_T0_E_clISt17integral_constantIbLb1EES1A_IbLb0EEEEDaS16_S17_EUlS16_E_NS1_11comp_targetILNS1_3genE2ELNS1_11target_archE906ELNS1_3gpuE6ELNS1_3repE0EEENS1_30default_config_static_selectorELNS0_4arch9wavefront6targetE0EEEvT1_.has_recursion, 0
	.set _ZN7rocprim17ROCPRIM_400000_NS6detail17trampoline_kernelINS0_14default_configENS1_25partition_config_selectorILNS1_17partition_subalgoE5EdNS0_10empty_typeEbEEZZNS1_14partition_implILS5_5ELb0ES3_mN6thrust23THRUST_200600_302600_NS6detail15normal_iteratorINSA_10device_ptrIdEEEEPS6_NSA_18transform_iteratorINSB_9not_fun_tI7is_trueIdEEESF_NSA_11use_defaultESM_EENS0_5tupleIJSF_S6_EEENSO_IJSG_SG_EEES6_PlJS6_EEE10hipError_tPvRmT3_T4_T5_T6_T7_T9_mT8_P12ihipStream_tbDpT10_ENKUlT_T0_E_clISt17integral_constantIbLb1EES1A_IbLb0EEEEDaS16_S17_EUlS16_E_NS1_11comp_targetILNS1_3genE2ELNS1_11target_archE906ELNS1_3gpuE6ELNS1_3repE0EEENS1_30default_config_static_selectorELNS0_4arch9wavefront6targetE0EEEvT1_.has_indirect_call, 0
	.section	.AMDGPU.csdata,"",@progbits
; Kernel info:
; codeLenInByte = 0
; TotalNumSgprs: 0
; NumVgprs: 0
; ScratchSize: 0
; MemoryBound: 0
; FloatMode: 240
; IeeeMode: 1
; LDSByteSize: 0 bytes/workgroup (compile time only)
; SGPRBlocks: 0
; VGPRBlocks: 0
; NumSGPRsForWavesPerEU: 1
; NumVGPRsForWavesPerEU: 1
; Occupancy: 16
; WaveLimiterHint : 0
; COMPUTE_PGM_RSRC2:SCRATCH_EN: 0
; COMPUTE_PGM_RSRC2:USER_SGPR: 2
; COMPUTE_PGM_RSRC2:TRAP_HANDLER: 0
; COMPUTE_PGM_RSRC2:TGID_X_EN: 1
; COMPUTE_PGM_RSRC2:TGID_Y_EN: 0
; COMPUTE_PGM_RSRC2:TGID_Z_EN: 0
; COMPUTE_PGM_RSRC2:TIDIG_COMP_CNT: 0
	.section	.text._ZN7rocprim17ROCPRIM_400000_NS6detail17trampoline_kernelINS0_14default_configENS1_25partition_config_selectorILNS1_17partition_subalgoE5EdNS0_10empty_typeEbEEZZNS1_14partition_implILS5_5ELb0ES3_mN6thrust23THRUST_200600_302600_NS6detail15normal_iteratorINSA_10device_ptrIdEEEEPS6_NSA_18transform_iteratorINSB_9not_fun_tI7is_trueIdEEESF_NSA_11use_defaultESM_EENS0_5tupleIJSF_S6_EEENSO_IJSG_SG_EEES6_PlJS6_EEE10hipError_tPvRmT3_T4_T5_T6_T7_T9_mT8_P12ihipStream_tbDpT10_ENKUlT_T0_E_clISt17integral_constantIbLb1EES1A_IbLb0EEEEDaS16_S17_EUlS16_E_NS1_11comp_targetILNS1_3genE10ELNS1_11target_archE1200ELNS1_3gpuE4ELNS1_3repE0EEENS1_30default_config_static_selectorELNS0_4arch9wavefront6targetE0EEEvT1_,"axG",@progbits,_ZN7rocprim17ROCPRIM_400000_NS6detail17trampoline_kernelINS0_14default_configENS1_25partition_config_selectorILNS1_17partition_subalgoE5EdNS0_10empty_typeEbEEZZNS1_14partition_implILS5_5ELb0ES3_mN6thrust23THRUST_200600_302600_NS6detail15normal_iteratorINSA_10device_ptrIdEEEEPS6_NSA_18transform_iteratorINSB_9not_fun_tI7is_trueIdEEESF_NSA_11use_defaultESM_EENS0_5tupleIJSF_S6_EEENSO_IJSG_SG_EEES6_PlJS6_EEE10hipError_tPvRmT3_T4_T5_T6_T7_T9_mT8_P12ihipStream_tbDpT10_ENKUlT_T0_E_clISt17integral_constantIbLb1EES1A_IbLb0EEEEDaS16_S17_EUlS16_E_NS1_11comp_targetILNS1_3genE10ELNS1_11target_archE1200ELNS1_3gpuE4ELNS1_3repE0EEENS1_30default_config_static_selectorELNS0_4arch9wavefront6targetE0EEEvT1_,comdat
	.protected	_ZN7rocprim17ROCPRIM_400000_NS6detail17trampoline_kernelINS0_14default_configENS1_25partition_config_selectorILNS1_17partition_subalgoE5EdNS0_10empty_typeEbEEZZNS1_14partition_implILS5_5ELb0ES3_mN6thrust23THRUST_200600_302600_NS6detail15normal_iteratorINSA_10device_ptrIdEEEEPS6_NSA_18transform_iteratorINSB_9not_fun_tI7is_trueIdEEESF_NSA_11use_defaultESM_EENS0_5tupleIJSF_S6_EEENSO_IJSG_SG_EEES6_PlJS6_EEE10hipError_tPvRmT3_T4_T5_T6_T7_T9_mT8_P12ihipStream_tbDpT10_ENKUlT_T0_E_clISt17integral_constantIbLb1EES1A_IbLb0EEEEDaS16_S17_EUlS16_E_NS1_11comp_targetILNS1_3genE10ELNS1_11target_archE1200ELNS1_3gpuE4ELNS1_3repE0EEENS1_30default_config_static_selectorELNS0_4arch9wavefront6targetE0EEEvT1_ ; -- Begin function _ZN7rocprim17ROCPRIM_400000_NS6detail17trampoline_kernelINS0_14default_configENS1_25partition_config_selectorILNS1_17partition_subalgoE5EdNS0_10empty_typeEbEEZZNS1_14partition_implILS5_5ELb0ES3_mN6thrust23THRUST_200600_302600_NS6detail15normal_iteratorINSA_10device_ptrIdEEEEPS6_NSA_18transform_iteratorINSB_9not_fun_tI7is_trueIdEEESF_NSA_11use_defaultESM_EENS0_5tupleIJSF_S6_EEENSO_IJSG_SG_EEES6_PlJS6_EEE10hipError_tPvRmT3_T4_T5_T6_T7_T9_mT8_P12ihipStream_tbDpT10_ENKUlT_T0_E_clISt17integral_constantIbLb1EES1A_IbLb0EEEEDaS16_S17_EUlS16_E_NS1_11comp_targetILNS1_3genE10ELNS1_11target_archE1200ELNS1_3gpuE4ELNS1_3repE0EEENS1_30default_config_static_selectorELNS0_4arch9wavefront6targetE0EEEvT1_
	.globl	_ZN7rocprim17ROCPRIM_400000_NS6detail17trampoline_kernelINS0_14default_configENS1_25partition_config_selectorILNS1_17partition_subalgoE5EdNS0_10empty_typeEbEEZZNS1_14partition_implILS5_5ELb0ES3_mN6thrust23THRUST_200600_302600_NS6detail15normal_iteratorINSA_10device_ptrIdEEEEPS6_NSA_18transform_iteratorINSB_9not_fun_tI7is_trueIdEEESF_NSA_11use_defaultESM_EENS0_5tupleIJSF_S6_EEENSO_IJSG_SG_EEES6_PlJS6_EEE10hipError_tPvRmT3_T4_T5_T6_T7_T9_mT8_P12ihipStream_tbDpT10_ENKUlT_T0_E_clISt17integral_constantIbLb1EES1A_IbLb0EEEEDaS16_S17_EUlS16_E_NS1_11comp_targetILNS1_3genE10ELNS1_11target_archE1200ELNS1_3gpuE4ELNS1_3repE0EEENS1_30default_config_static_selectorELNS0_4arch9wavefront6targetE0EEEvT1_
	.p2align	8
	.type	_ZN7rocprim17ROCPRIM_400000_NS6detail17trampoline_kernelINS0_14default_configENS1_25partition_config_selectorILNS1_17partition_subalgoE5EdNS0_10empty_typeEbEEZZNS1_14partition_implILS5_5ELb0ES3_mN6thrust23THRUST_200600_302600_NS6detail15normal_iteratorINSA_10device_ptrIdEEEEPS6_NSA_18transform_iteratorINSB_9not_fun_tI7is_trueIdEEESF_NSA_11use_defaultESM_EENS0_5tupleIJSF_S6_EEENSO_IJSG_SG_EEES6_PlJS6_EEE10hipError_tPvRmT3_T4_T5_T6_T7_T9_mT8_P12ihipStream_tbDpT10_ENKUlT_T0_E_clISt17integral_constantIbLb1EES1A_IbLb0EEEEDaS16_S17_EUlS16_E_NS1_11comp_targetILNS1_3genE10ELNS1_11target_archE1200ELNS1_3gpuE4ELNS1_3repE0EEENS1_30default_config_static_selectorELNS0_4arch9wavefront6targetE0EEEvT1_,@function
_ZN7rocprim17ROCPRIM_400000_NS6detail17trampoline_kernelINS0_14default_configENS1_25partition_config_selectorILNS1_17partition_subalgoE5EdNS0_10empty_typeEbEEZZNS1_14partition_implILS5_5ELb0ES3_mN6thrust23THRUST_200600_302600_NS6detail15normal_iteratorINSA_10device_ptrIdEEEEPS6_NSA_18transform_iteratorINSB_9not_fun_tI7is_trueIdEEESF_NSA_11use_defaultESM_EENS0_5tupleIJSF_S6_EEENSO_IJSG_SG_EEES6_PlJS6_EEE10hipError_tPvRmT3_T4_T5_T6_T7_T9_mT8_P12ihipStream_tbDpT10_ENKUlT_T0_E_clISt17integral_constantIbLb1EES1A_IbLb0EEEEDaS16_S17_EUlS16_E_NS1_11comp_targetILNS1_3genE10ELNS1_11target_archE1200ELNS1_3gpuE4ELNS1_3repE0EEENS1_30default_config_static_selectorELNS0_4arch9wavefront6targetE0EEEvT1_: ; @_ZN7rocprim17ROCPRIM_400000_NS6detail17trampoline_kernelINS0_14default_configENS1_25partition_config_selectorILNS1_17partition_subalgoE5EdNS0_10empty_typeEbEEZZNS1_14partition_implILS5_5ELb0ES3_mN6thrust23THRUST_200600_302600_NS6detail15normal_iteratorINSA_10device_ptrIdEEEEPS6_NSA_18transform_iteratorINSB_9not_fun_tI7is_trueIdEEESF_NSA_11use_defaultESM_EENS0_5tupleIJSF_S6_EEENSO_IJSG_SG_EEES6_PlJS6_EEE10hipError_tPvRmT3_T4_T5_T6_T7_T9_mT8_P12ihipStream_tbDpT10_ENKUlT_T0_E_clISt17integral_constantIbLb1EES1A_IbLb0EEEEDaS16_S17_EUlS16_E_NS1_11comp_targetILNS1_3genE10ELNS1_11target_archE1200ELNS1_3gpuE4ELNS1_3repE0EEENS1_30default_config_static_selectorELNS0_4arch9wavefront6targetE0EEEvT1_
; %bb.0:
	s_endpgm
	.section	.rodata,"a",@progbits
	.p2align	6, 0x0
	.amdhsa_kernel _ZN7rocprim17ROCPRIM_400000_NS6detail17trampoline_kernelINS0_14default_configENS1_25partition_config_selectorILNS1_17partition_subalgoE5EdNS0_10empty_typeEbEEZZNS1_14partition_implILS5_5ELb0ES3_mN6thrust23THRUST_200600_302600_NS6detail15normal_iteratorINSA_10device_ptrIdEEEEPS6_NSA_18transform_iteratorINSB_9not_fun_tI7is_trueIdEEESF_NSA_11use_defaultESM_EENS0_5tupleIJSF_S6_EEENSO_IJSG_SG_EEES6_PlJS6_EEE10hipError_tPvRmT3_T4_T5_T6_T7_T9_mT8_P12ihipStream_tbDpT10_ENKUlT_T0_E_clISt17integral_constantIbLb1EES1A_IbLb0EEEEDaS16_S17_EUlS16_E_NS1_11comp_targetILNS1_3genE10ELNS1_11target_archE1200ELNS1_3gpuE4ELNS1_3repE0EEENS1_30default_config_static_selectorELNS0_4arch9wavefront6targetE0EEEvT1_
		.amdhsa_group_segment_fixed_size 0
		.amdhsa_private_segment_fixed_size 0
		.amdhsa_kernarg_size 120
		.amdhsa_user_sgpr_count 2
		.amdhsa_user_sgpr_dispatch_ptr 0
		.amdhsa_user_sgpr_queue_ptr 0
		.amdhsa_user_sgpr_kernarg_segment_ptr 1
		.amdhsa_user_sgpr_dispatch_id 0
		.amdhsa_user_sgpr_private_segment_size 0
		.amdhsa_wavefront_size32 1
		.amdhsa_uses_dynamic_stack 0
		.amdhsa_enable_private_segment 0
		.amdhsa_system_sgpr_workgroup_id_x 1
		.amdhsa_system_sgpr_workgroup_id_y 0
		.amdhsa_system_sgpr_workgroup_id_z 0
		.amdhsa_system_sgpr_workgroup_info 0
		.amdhsa_system_vgpr_workitem_id 0
		.amdhsa_next_free_vgpr 1
		.amdhsa_next_free_sgpr 1
		.amdhsa_reserve_vcc 0
		.amdhsa_float_round_mode_32 0
		.amdhsa_float_round_mode_16_64 0
		.amdhsa_float_denorm_mode_32 3
		.amdhsa_float_denorm_mode_16_64 3
		.amdhsa_fp16_overflow 0
		.amdhsa_workgroup_processor_mode 1
		.amdhsa_memory_ordered 1
		.amdhsa_forward_progress 1
		.amdhsa_inst_pref_size 1
		.amdhsa_round_robin_scheduling 0
		.amdhsa_exception_fp_ieee_invalid_op 0
		.amdhsa_exception_fp_denorm_src 0
		.amdhsa_exception_fp_ieee_div_zero 0
		.amdhsa_exception_fp_ieee_overflow 0
		.amdhsa_exception_fp_ieee_underflow 0
		.amdhsa_exception_fp_ieee_inexact 0
		.amdhsa_exception_int_div_zero 0
	.end_amdhsa_kernel
	.section	.text._ZN7rocprim17ROCPRIM_400000_NS6detail17trampoline_kernelINS0_14default_configENS1_25partition_config_selectorILNS1_17partition_subalgoE5EdNS0_10empty_typeEbEEZZNS1_14partition_implILS5_5ELb0ES3_mN6thrust23THRUST_200600_302600_NS6detail15normal_iteratorINSA_10device_ptrIdEEEEPS6_NSA_18transform_iteratorINSB_9not_fun_tI7is_trueIdEEESF_NSA_11use_defaultESM_EENS0_5tupleIJSF_S6_EEENSO_IJSG_SG_EEES6_PlJS6_EEE10hipError_tPvRmT3_T4_T5_T6_T7_T9_mT8_P12ihipStream_tbDpT10_ENKUlT_T0_E_clISt17integral_constantIbLb1EES1A_IbLb0EEEEDaS16_S17_EUlS16_E_NS1_11comp_targetILNS1_3genE10ELNS1_11target_archE1200ELNS1_3gpuE4ELNS1_3repE0EEENS1_30default_config_static_selectorELNS0_4arch9wavefront6targetE0EEEvT1_,"axG",@progbits,_ZN7rocprim17ROCPRIM_400000_NS6detail17trampoline_kernelINS0_14default_configENS1_25partition_config_selectorILNS1_17partition_subalgoE5EdNS0_10empty_typeEbEEZZNS1_14partition_implILS5_5ELb0ES3_mN6thrust23THRUST_200600_302600_NS6detail15normal_iteratorINSA_10device_ptrIdEEEEPS6_NSA_18transform_iteratorINSB_9not_fun_tI7is_trueIdEEESF_NSA_11use_defaultESM_EENS0_5tupleIJSF_S6_EEENSO_IJSG_SG_EEES6_PlJS6_EEE10hipError_tPvRmT3_T4_T5_T6_T7_T9_mT8_P12ihipStream_tbDpT10_ENKUlT_T0_E_clISt17integral_constantIbLb1EES1A_IbLb0EEEEDaS16_S17_EUlS16_E_NS1_11comp_targetILNS1_3genE10ELNS1_11target_archE1200ELNS1_3gpuE4ELNS1_3repE0EEENS1_30default_config_static_selectorELNS0_4arch9wavefront6targetE0EEEvT1_,comdat
.Lfunc_end1323:
	.size	_ZN7rocprim17ROCPRIM_400000_NS6detail17trampoline_kernelINS0_14default_configENS1_25partition_config_selectorILNS1_17partition_subalgoE5EdNS0_10empty_typeEbEEZZNS1_14partition_implILS5_5ELb0ES3_mN6thrust23THRUST_200600_302600_NS6detail15normal_iteratorINSA_10device_ptrIdEEEEPS6_NSA_18transform_iteratorINSB_9not_fun_tI7is_trueIdEEESF_NSA_11use_defaultESM_EENS0_5tupleIJSF_S6_EEENSO_IJSG_SG_EEES6_PlJS6_EEE10hipError_tPvRmT3_T4_T5_T6_T7_T9_mT8_P12ihipStream_tbDpT10_ENKUlT_T0_E_clISt17integral_constantIbLb1EES1A_IbLb0EEEEDaS16_S17_EUlS16_E_NS1_11comp_targetILNS1_3genE10ELNS1_11target_archE1200ELNS1_3gpuE4ELNS1_3repE0EEENS1_30default_config_static_selectorELNS0_4arch9wavefront6targetE0EEEvT1_, .Lfunc_end1323-_ZN7rocprim17ROCPRIM_400000_NS6detail17trampoline_kernelINS0_14default_configENS1_25partition_config_selectorILNS1_17partition_subalgoE5EdNS0_10empty_typeEbEEZZNS1_14partition_implILS5_5ELb0ES3_mN6thrust23THRUST_200600_302600_NS6detail15normal_iteratorINSA_10device_ptrIdEEEEPS6_NSA_18transform_iteratorINSB_9not_fun_tI7is_trueIdEEESF_NSA_11use_defaultESM_EENS0_5tupleIJSF_S6_EEENSO_IJSG_SG_EEES6_PlJS6_EEE10hipError_tPvRmT3_T4_T5_T6_T7_T9_mT8_P12ihipStream_tbDpT10_ENKUlT_T0_E_clISt17integral_constantIbLb1EES1A_IbLb0EEEEDaS16_S17_EUlS16_E_NS1_11comp_targetILNS1_3genE10ELNS1_11target_archE1200ELNS1_3gpuE4ELNS1_3repE0EEENS1_30default_config_static_selectorELNS0_4arch9wavefront6targetE0EEEvT1_
                                        ; -- End function
	.set _ZN7rocprim17ROCPRIM_400000_NS6detail17trampoline_kernelINS0_14default_configENS1_25partition_config_selectorILNS1_17partition_subalgoE5EdNS0_10empty_typeEbEEZZNS1_14partition_implILS5_5ELb0ES3_mN6thrust23THRUST_200600_302600_NS6detail15normal_iteratorINSA_10device_ptrIdEEEEPS6_NSA_18transform_iteratorINSB_9not_fun_tI7is_trueIdEEESF_NSA_11use_defaultESM_EENS0_5tupleIJSF_S6_EEENSO_IJSG_SG_EEES6_PlJS6_EEE10hipError_tPvRmT3_T4_T5_T6_T7_T9_mT8_P12ihipStream_tbDpT10_ENKUlT_T0_E_clISt17integral_constantIbLb1EES1A_IbLb0EEEEDaS16_S17_EUlS16_E_NS1_11comp_targetILNS1_3genE10ELNS1_11target_archE1200ELNS1_3gpuE4ELNS1_3repE0EEENS1_30default_config_static_selectorELNS0_4arch9wavefront6targetE0EEEvT1_.num_vgpr, 0
	.set _ZN7rocprim17ROCPRIM_400000_NS6detail17trampoline_kernelINS0_14default_configENS1_25partition_config_selectorILNS1_17partition_subalgoE5EdNS0_10empty_typeEbEEZZNS1_14partition_implILS5_5ELb0ES3_mN6thrust23THRUST_200600_302600_NS6detail15normal_iteratorINSA_10device_ptrIdEEEEPS6_NSA_18transform_iteratorINSB_9not_fun_tI7is_trueIdEEESF_NSA_11use_defaultESM_EENS0_5tupleIJSF_S6_EEENSO_IJSG_SG_EEES6_PlJS6_EEE10hipError_tPvRmT3_T4_T5_T6_T7_T9_mT8_P12ihipStream_tbDpT10_ENKUlT_T0_E_clISt17integral_constantIbLb1EES1A_IbLb0EEEEDaS16_S17_EUlS16_E_NS1_11comp_targetILNS1_3genE10ELNS1_11target_archE1200ELNS1_3gpuE4ELNS1_3repE0EEENS1_30default_config_static_selectorELNS0_4arch9wavefront6targetE0EEEvT1_.num_agpr, 0
	.set _ZN7rocprim17ROCPRIM_400000_NS6detail17trampoline_kernelINS0_14default_configENS1_25partition_config_selectorILNS1_17partition_subalgoE5EdNS0_10empty_typeEbEEZZNS1_14partition_implILS5_5ELb0ES3_mN6thrust23THRUST_200600_302600_NS6detail15normal_iteratorINSA_10device_ptrIdEEEEPS6_NSA_18transform_iteratorINSB_9not_fun_tI7is_trueIdEEESF_NSA_11use_defaultESM_EENS0_5tupleIJSF_S6_EEENSO_IJSG_SG_EEES6_PlJS6_EEE10hipError_tPvRmT3_T4_T5_T6_T7_T9_mT8_P12ihipStream_tbDpT10_ENKUlT_T0_E_clISt17integral_constantIbLb1EES1A_IbLb0EEEEDaS16_S17_EUlS16_E_NS1_11comp_targetILNS1_3genE10ELNS1_11target_archE1200ELNS1_3gpuE4ELNS1_3repE0EEENS1_30default_config_static_selectorELNS0_4arch9wavefront6targetE0EEEvT1_.numbered_sgpr, 0
	.set _ZN7rocprim17ROCPRIM_400000_NS6detail17trampoline_kernelINS0_14default_configENS1_25partition_config_selectorILNS1_17partition_subalgoE5EdNS0_10empty_typeEbEEZZNS1_14partition_implILS5_5ELb0ES3_mN6thrust23THRUST_200600_302600_NS6detail15normal_iteratorINSA_10device_ptrIdEEEEPS6_NSA_18transform_iteratorINSB_9not_fun_tI7is_trueIdEEESF_NSA_11use_defaultESM_EENS0_5tupleIJSF_S6_EEENSO_IJSG_SG_EEES6_PlJS6_EEE10hipError_tPvRmT3_T4_T5_T6_T7_T9_mT8_P12ihipStream_tbDpT10_ENKUlT_T0_E_clISt17integral_constantIbLb1EES1A_IbLb0EEEEDaS16_S17_EUlS16_E_NS1_11comp_targetILNS1_3genE10ELNS1_11target_archE1200ELNS1_3gpuE4ELNS1_3repE0EEENS1_30default_config_static_selectorELNS0_4arch9wavefront6targetE0EEEvT1_.num_named_barrier, 0
	.set _ZN7rocprim17ROCPRIM_400000_NS6detail17trampoline_kernelINS0_14default_configENS1_25partition_config_selectorILNS1_17partition_subalgoE5EdNS0_10empty_typeEbEEZZNS1_14partition_implILS5_5ELb0ES3_mN6thrust23THRUST_200600_302600_NS6detail15normal_iteratorINSA_10device_ptrIdEEEEPS6_NSA_18transform_iteratorINSB_9not_fun_tI7is_trueIdEEESF_NSA_11use_defaultESM_EENS0_5tupleIJSF_S6_EEENSO_IJSG_SG_EEES6_PlJS6_EEE10hipError_tPvRmT3_T4_T5_T6_T7_T9_mT8_P12ihipStream_tbDpT10_ENKUlT_T0_E_clISt17integral_constantIbLb1EES1A_IbLb0EEEEDaS16_S17_EUlS16_E_NS1_11comp_targetILNS1_3genE10ELNS1_11target_archE1200ELNS1_3gpuE4ELNS1_3repE0EEENS1_30default_config_static_selectorELNS0_4arch9wavefront6targetE0EEEvT1_.private_seg_size, 0
	.set _ZN7rocprim17ROCPRIM_400000_NS6detail17trampoline_kernelINS0_14default_configENS1_25partition_config_selectorILNS1_17partition_subalgoE5EdNS0_10empty_typeEbEEZZNS1_14partition_implILS5_5ELb0ES3_mN6thrust23THRUST_200600_302600_NS6detail15normal_iteratorINSA_10device_ptrIdEEEEPS6_NSA_18transform_iteratorINSB_9not_fun_tI7is_trueIdEEESF_NSA_11use_defaultESM_EENS0_5tupleIJSF_S6_EEENSO_IJSG_SG_EEES6_PlJS6_EEE10hipError_tPvRmT3_T4_T5_T6_T7_T9_mT8_P12ihipStream_tbDpT10_ENKUlT_T0_E_clISt17integral_constantIbLb1EES1A_IbLb0EEEEDaS16_S17_EUlS16_E_NS1_11comp_targetILNS1_3genE10ELNS1_11target_archE1200ELNS1_3gpuE4ELNS1_3repE0EEENS1_30default_config_static_selectorELNS0_4arch9wavefront6targetE0EEEvT1_.uses_vcc, 0
	.set _ZN7rocprim17ROCPRIM_400000_NS6detail17trampoline_kernelINS0_14default_configENS1_25partition_config_selectorILNS1_17partition_subalgoE5EdNS0_10empty_typeEbEEZZNS1_14partition_implILS5_5ELb0ES3_mN6thrust23THRUST_200600_302600_NS6detail15normal_iteratorINSA_10device_ptrIdEEEEPS6_NSA_18transform_iteratorINSB_9not_fun_tI7is_trueIdEEESF_NSA_11use_defaultESM_EENS0_5tupleIJSF_S6_EEENSO_IJSG_SG_EEES6_PlJS6_EEE10hipError_tPvRmT3_T4_T5_T6_T7_T9_mT8_P12ihipStream_tbDpT10_ENKUlT_T0_E_clISt17integral_constantIbLb1EES1A_IbLb0EEEEDaS16_S17_EUlS16_E_NS1_11comp_targetILNS1_3genE10ELNS1_11target_archE1200ELNS1_3gpuE4ELNS1_3repE0EEENS1_30default_config_static_selectorELNS0_4arch9wavefront6targetE0EEEvT1_.uses_flat_scratch, 0
	.set _ZN7rocprim17ROCPRIM_400000_NS6detail17trampoline_kernelINS0_14default_configENS1_25partition_config_selectorILNS1_17partition_subalgoE5EdNS0_10empty_typeEbEEZZNS1_14partition_implILS5_5ELb0ES3_mN6thrust23THRUST_200600_302600_NS6detail15normal_iteratorINSA_10device_ptrIdEEEEPS6_NSA_18transform_iteratorINSB_9not_fun_tI7is_trueIdEEESF_NSA_11use_defaultESM_EENS0_5tupleIJSF_S6_EEENSO_IJSG_SG_EEES6_PlJS6_EEE10hipError_tPvRmT3_T4_T5_T6_T7_T9_mT8_P12ihipStream_tbDpT10_ENKUlT_T0_E_clISt17integral_constantIbLb1EES1A_IbLb0EEEEDaS16_S17_EUlS16_E_NS1_11comp_targetILNS1_3genE10ELNS1_11target_archE1200ELNS1_3gpuE4ELNS1_3repE0EEENS1_30default_config_static_selectorELNS0_4arch9wavefront6targetE0EEEvT1_.has_dyn_sized_stack, 0
	.set _ZN7rocprim17ROCPRIM_400000_NS6detail17trampoline_kernelINS0_14default_configENS1_25partition_config_selectorILNS1_17partition_subalgoE5EdNS0_10empty_typeEbEEZZNS1_14partition_implILS5_5ELb0ES3_mN6thrust23THRUST_200600_302600_NS6detail15normal_iteratorINSA_10device_ptrIdEEEEPS6_NSA_18transform_iteratorINSB_9not_fun_tI7is_trueIdEEESF_NSA_11use_defaultESM_EENS0_5tupleIJSF_S6_EEENSO_IJSG_SG_EEES6_PlJS6_EEE10hipError_tPvRmT3_T4_T5_T6_T7_T9_mT8_P12ihipStream_tbDpT10_ENKUlT_T0_E_clISt17integral_constantIbLb1EES1A_IbLb0EEEEDaS16_S17_EUlS16_E_NS1_11comp_targetILNS1_3genE10ELNS1_11target_archE1200ELNS1_3gpuE4ELNS1_3repE0EEENS1_30default_config_static_selectorELNS0_4arch9wavefront6targetE0EEEvT1_.has_recursion, 0
	.set _ZN7rocprim17ROCPRIM_400000_NS6detail17trampoline_kernelINS0_14default_configENS1_25partition_config_selectorILNS1_17partition_subalgoE5EdNS0_10empty_typeEbEEZZNS1_14partition_implILS5_5ELb0ES3_mN6thrust23THRUST_200600_302600_NS6detail15normal_iteratorINSA_10device_ptrIdEEEEPS6_NSA_18transform_iteratorINSB_9not_fun_tI7is_trueIdEEESF_NSA_11use_defaultESM_EENS0_5tupleIJSF_S6_EEENSO_IJSG_SG_EEES6_PlJS6_EEE10hipError_tPvRmT3_T4_T5_T6_T7_T9_mT8_P12ihipStream_tbDpT10_ENKUlT_T0_E_clISt17integral_constantIbLb1EES1A_IbLb0EEEEDaS16_S17_EUlS16_E_NS1_11comp_targetILNS1_3genE10ELNS1_11target_archE1200ELNS1_3gpuE4ELNS1_3repE0EEENS1_30default_config_static_selectorELNS0_4arch9wavefront6targetE0EEEvT1_.has_indirect_call, 0
	.section	.AMDGPU.csdata,"",@progbits
; Kernel info:
; codeLenInByte = 4
; TotalNumSgprs: 0
; NumVgprs: 0
; ScratchSize: 0
; MemoryBound: 0
; FloatMode: 240
; IeeeMode: 1
; LDSByteSize: 0 bytes/workgroup (compile time only)
; SGPRBlocks: 0
; VGPRBlocks: 0
; NumSGPRsForWavesPerEU: 1
; NumVGPRsForWavesPerEU: 1
; Occupancy: 16
; WaveLimiterHint : 0
; COMPUTE_PGM_RSRC2:SCRATCH_EN: 0
; COMPUTE_PGM_RSRC2:USER_SGPR: 2
; COMPUTE_PGM_RSRC2:TRAP_HANDLER: 0
; COMPUTE_PGM_RSRC2:TGID_X_EN: 1
; COMPUTE_PGM_RSRC2:TGID_Y_EN: 0
; COMPUTE_PGM_RSRC2:TGID_Z_EN: 0
; COMPUTE_PGM_RSRC2:TIDIG_COMP_CNT: 0
	.section	.text._ZN7rocprim17ROCPRIM_400000_NS6detail17trampoline_kernelINS0_14default_configENS1_25partition_config_selectorILNS1_17partition_subalgoE5EdNS0_10empty_typeEbEEZZNS1_14partition_implILS5_5ELb0ES3_mN6thrust23THRUST_200600_302600_NS6detail15normal_iteratorINSA_10device_ptrIdEEEEPS6_NSA_18transform_iteratorINSB_9not_fun_tI7is_trueIdEEESF_NSA_11use_defaultESM_EENS0_5tupleIJSF_S6_EEENSO_IJSG_SG_EEES6_PlJS6_EEE10hipError_tPvRmT3_T4_T5_T6_T7_T9_mT8_P12ihipStream_tbDpT10_ENKUlT_T0_E_clISt17integral_constantIbLb1EES1A_IbLb0EEEEDaS16_S17_EUlS16_E_NS1_11comp_targetILNS1_3genE9ELNS1_11target_archE1100ELNS1_3gpuE3ELNS1_3repE0EEENS1_30default_config_static_selectorELNS0_4arch9wavefront6targetE0EEEvT1_,"axG",@progbits,_ZN7rocprim17ROCPRIM_400000_NS6detail17trampoline_kernelINS0_14default_configENS1_25partition_config_selectorILNS1_17partition_subalgoE5EdNS0_10empty_typeEbEEZZNS1_14partition_implILS5_5ELb0ES3_mN6thrust23THRUST_200600_302600_NS6detail15normal_iteratorINSA_10device_ptrIdEEEEPS6_NSA_18transform_iteratorINSB_9not_fun_tI7is_trueIdEEESF_NSA_11use_defaultESM_EENS0_5tupleIJSF_S6_EEENSO_IJSG_SG_EEES6_PlJS6_EEE10hipError_tPvRmT3_T4_T5_T6_T7_T9_mT8_P12ihipStream_tbDpT10_ENKUlT_T0_E_clISt17integral_constantIbLb1EES1A_IbLb0EEEEDaS16_S17_EUlS16_E_NS1_11comp_targetILNS1_3genE9ELNS1_11target_archE1100ELNS1_3gpuE3ELNS1_3repE0EEENS1_30default_config_static_selectorELNS0_4arch9wavefront6targetE0EEEvT1_,comdat
	.protected	_ZN7rocprim17ROCPRIM_400000_NS6detail17trampoline_kernelINS0_14default_configENS1_25partition_config_selectorILNS1_17partition_subalgoE5EdNS0_10empty_typeEbEEZZNS1_14partition_implILS5_5ELb0ES3_mN6thrust23THRUST_200600_302600_NS6detail15normal_iteratorINSA_10device_ptrIdEEEEPS6_NSA_18transform_iteratorINSB_9not_fun_tI7is_trueIdEEESF_NSA_11use_defaultESM_EENS0_5tupleIJSF_S6_EEENSO_IJSG_SG_EEES6_PlJS6_EEE10hipError_tPvRmT3_T4_T5_T6_T7_T9_mT8_P12ihipStream_tbDpT10_ENKUlT_T0_E_clISt17integral_constantIbLb1EES1A_IbLb0EEEEDaS16_S17_EUlS16_E_NS1_11comp_targetILNS1_3genE9ELNS1_11target_archE1100ELNS1_3gpuE3ELNS1_3repE0EEENS1_30default_config_static_selectorELNS0_4arch9wavefront6targetE0EEEvT1_ ; -- Begin function _ZN7rocprim17ROCPRIM_400000_NS6detail17trampoline_kernelINS0_14default_configENS1_25partition_config_selectorILNS1_17partition_subalgoE5EdNS0_10empty_typeEbEEZZNS1_14partition_implILS5_5ELb0ES3_mN6thrust23THRUST_200600_302600_NS6detail15normal_iteratorINSA_10device_ptrIdEEEEPS6_NSA_18transform_iteratorINSB_9not_fun_tI7is_trueIdEEESF_NSA_11use_defaultESM_EENS0_5tupleIJSF_S6_EEENSO_IJSG_SG_EEES6_PlJS6_EEE10hipError_tPvRmT3_T4_T5_T6_T7_T9_mT8_P12ihipStream_tbDpT10_ENKUlT_T0_E_clISt17integral_constantIbLb1EES1A_IbLb0EEEEDaS16_S17_EUlS16_E_NS1_11comp_targetILNS1_3genE9ELNS1_11target_archE1100ELNS1_3gpuE3ELNS1_3repE0EEENS1_30default_config_static_selectorELNS0_4arch9wavefront6targetE0EEEvT1_
	.globl	_ZN7rocprim17ROCPRIM_400000_NS6detail17trampoline_kernelINS0_14default_configENS1_25partition_config_selectorILNS1_17partition_subalgoE5EdNS0_10empty_typeEbEEZZNS1_14partition_implILS5_5ELb0ES3_mN6thrust23THRUST_200600_302600_NS6detail15normal_iteratorINSA_10device_ptrIdEEEEPS6_NSA_18transform_iteratorINSB_9not_fun_tI7is_trueIdEEESF_NSA_11use_defaultESM_EENS0_5tupleIJSF_S6_EEENSO_IJSG_SG_EEES6_PlJS6_EEE10hipError_tPvRmT3_T4_T5_T6_T7_T9_mT8_P12ihipStream_tbDpT10_ENKUlT_T0_E_clISt17integral_constantIbLb1EES1A_IbLb0EEEEDaS16_S17_EUlS16_E_NS1_11comp_targetILNS1_3genE9ELNS1_11target_archE1100ELNS1_3gpuE3ELNS1_3repE0EEENS1_30default_config_static_selectorELNS0_4arch9wavefront6targetE0EEEvT1_
	.p2align	8
	.type	_ZN7rocprim17ROCPRIM_400000_NS6detail17trampoline_kernelINS0_14default_configENS1_25partition_config_selectorILNS1_17partition_subalgoE5EdNS0_10empty_typeEbEEZZNS1_14partition_implILS5_5ELb0ES3_mN6thrust23THRUST_200600_302600_NS6detail15normal_iteratorINSA_10device_ptrIdEEEEPS6_NSA_18transform_iteratorINSB_9not_fun_tI7is_trueIdEEESF_NSA_11use_defaultESM_EENS0_5tupleIJSF_S6_EEENSO_IJSG_SG_EEES6_PlJS6_EEE10hipError_tPvRmT3_T4_T5_T6_T7_T9_mT8_P12ihipStream_tbDpT10_ENKUlT_T0_E_clISt17integral_constantIbLb1EES1A_IbLb0EEEEDaS16_S17_EUlS16_E_NS1_11comp_targetILNS1_3genE9ELNS1_11target_archE1100ELNS1_3gpuE3ELNS1_3repE0EEENS1_30default_config_static_selectorELNS0_4arch9wavefront6targetE0EEEvT1_,@function
_ZN7rocprim17ROCPRIM_400000_NS6detail17trampoline_kernelINS0_14default_configENS1_25partition_config_selectorILNS1_17partition_subalgoE5EdNS0_10empty_typeEbEEZZNS1_14partition_implILS5_5ELb0ES3_mN6thrust23THRUST_200600_302600_NS6detail15normal_iteratorINSA_10device_ptrIdEEEEPS6_NSA_18transform_iteratorINSB_9not_fun_tI7is_trueIdEEESF_NSA_11use_defaultESM_EENS0_5tupleIJSF_S6_EEENSO_IJSG_SG_EEES6_PlJS6_EEE10hipError_tPvRmT3_T4_T5_T6_T7_T9_mT8_P12ihipStream_tbDpT10_ENKUlT_T0_E_clISt17integral_constantIbLb1EES1A_IbLb0EEEEDaS16_S17_EUlS16_E_NS1_11comp_targetILNS1_3genE9ELNS1_11target_archE1100ELNS1_3gpuE3ELNS1_3repE0EEENS1_30default_config_static_selectorELNS0_4arch9wavefront6targetE0EEEvT1_: ; @_ZN7rocprim17ROCPRIM_400000_NS6detail17trampoline_kernelINS0_14default_configENS1_25partition_config_selectorILNS1_17partition_subalgoE5EdNS0_10empty_typeEbEEZZNS1_14partition_implILS5_5ELb0ES3_mN6thrust23THRUST_200600_302600_NS6detail15normal_iteratorINSA_10device_ptrIdEEEEPS6_NSA_18transform_iteratorINSB_9not_fun_tI7is_trueIdEEESF_NSA_11use_defaultESM_EENS0_5tupleIJSF_S6_EEENSO_IJSG_SG_EEES6_PlJS6_EEE10hipError_tPvRmT3_T4_T5_T6_T7_T9_mT8_P12ihipStream_tbDpT10_ENKUlT_T0_E_clISt17integral_constantIbLb1EES1A_IbLb0EEEEDaS16_S17_EUlS16_E_NS1_11comp_targetILNS1_3genE9ELNS1_11target_archE1100ELNS1_3gpuE3ELNS1_3repE0EEENS1_30default_config_static_selectorELNS0_4arch9wavefront6targetE0EEEvT1_
; %bb.0:
	.section	.rodata,"a",@progbits
	.p2align	6, 0x0
	.amdhsa_kernel _ZN7rocprim17ROCPRIM_400000_NS6detail17trampoline_kernelINS0_14default_configENS1_25partition_config_selectorILNS1_17partition_subalgoE5EdNS0_10empty_typeEbEEZZNS1_14partition_implILS5_5ELb0ES3_mN6thrust23THRUST_200600_302600_NS6detail15normal_iteratorINSA_10device_ptrIdEEEEPS6_NSA_18transform_iteratorINSB_9not_fun_tI7is_trueIdEEESF_NSA_11use_defaultESM_EENS0_5tupleIJSF_S6_EEENSO_IJSG_SG_EEES6_PlJS6_EEE10hipError_tPvRmT3_T4_T5_T6_T7_T9_mT8_P12ihipStream_tbDpT10_ENKUlT_T0_E_clISt17integral_constantIbLb1EES1A_IbLb0EEEEDaS16_S17_EUlS16_E_NS1_11comp_targetILNS1_3genE9ELNS1_11target_archE1100ELNS1_3gpuE3ELNS1_3repE0EEENS1_30default_config_static_selectorELNS0_4arch9wavefront6targetE0EEEvT1_
		.amdhsa_group_segment_fixed_size 0
		.amdhsa_private_segment_fixed_size 0
		.amdhsa_kernarg_size 120
		.amdhsa_user_sgpr_count 2
		.amdhsa_user_sgpr_dispatch_ptr 0
		.amdhsa_user_sgpr_queue_ptr 0
		.amdhsa_user_sgpr_kernarg_segment_ptr 1
		.amdhsa_user_sgpr_dispatch_id 0
		.amdhsa_user_sgpr_private_segment_size 0
		.amdhsa_wavefront_size32 1
		.amdhsa_uses_dynamic_stack 0
		.amdhsa_enable_private_segment 0
		.amdhsa_system_sgpr_workgroup_id_x 1
		.amdhsa_system_sgpr_workgroup_id_y 0
		.amdhsa_system_sgpr_workgroup_id_z 0
		.amdhsa_system_sgpr_workgroup_info 0
		.amdhsa_system_vgpr_workitem_id 0
		.amdhsa_next_free_vgpr 1
		.amdhsa_next_free_sgpr 1
		.amdhsa_reserve_vcc 0
		.amdhsa_float_round_mode_32 0
		.amdhsa_float_round_mode_16_64 0
		.amdhsa_float_denorm_mode_32 3
		.amdhsa_float_denorm_mode_16_64 3
		.amdhsa_fp16_overflow 0
		.amdhsa_workgroup_processor_mode 1
		.amdhsa_memory_ordered 1
		.amdhsa_forward_progress 1
		.amdhsa_inst_pref_size 0
		.amdhsa_round_robin_scheduling 0
		.amdhsa_exception_fp_ieee_invalid_op 0
		.amdhsa_exception_fp_denorm_src 0
		.amdhsa_exception_fp_ieee_div_zero 0
		.amdhsa_exception_fp_ieee_overflow 0
		.amdhsa_exception_fp_ieee_underflow 0
		.amdhsa_exception_fp_ieee_inexact 0
		.amdhsa_exception_int_div_zero 0
	.end_amdhsa_kernel
	.section	.text._ZN7rocprim17ROCPRIM_400000_NS6detail17trampoline_kernelINS0_14default_configENS1_25partition_config_selectorILNS1_17partition_subalgoE5EdNS0_10empty_typeEbEEZZNS1_14partition_implILS5_5ELb0ES3_mN6thrust23THRUST_200600_302600_NS6detail15normal_iteratorINSA_10device_ptrIdEEEEPS6_NSA_18transform_iteratorINSB_9not_fun_tI7is_trueIdEEESF_NSA_11use_defaultESM_EENS0_5tupleIJSF_S6_EEENSO_IJSG_SG_EEES6_PlJS6_EEE10hipError_tPvRmT3_T4_T5_T6_T7_T9_mT8_P12ihipStream_tbDpT10_ENKUlT_T0_E_clISt17integral_constantIbLb1EES1A_IbLb0EEEEDaS16_S17_EUlS16_E_NS1_11comp_targetILNS1_3genE9ELNS1_11target_archE1100ELNS1_3gpuE3ELNS1_3repE0EEENS1_30default_config_static_selectorELNS0_4arch9wavefront6targetE0EEEvT1_,"axG",@progbits,_ZN7rocprim17ROCPRIM_400000_NS6detail17trampoline_kernelINS0_14default_configENS1_25partition_config_selectorILNS1_17partition_subalgoE5EdNS0_10empty_typeEbEEZZNS1_14partition_implILS5_5ELb0ES3_mN6thrust23THRUST_200600_302600_NS6detail15normal_iteratorINSA_10device_ptrIdEEEEPS6_NSA_18transform_iteratorINSB_9not_fun_tI7is_trueIdEEESF_NSA_11use_defaultESM_EENS0_5tupleIJSF_S6_EEENSO_IJSG_SG_EEES6_PlJS6_EEE10hipError_tPvRmT3_T4_T5_T6_T7_T9_mT8_P12ihipStream_tbDpT10_ENKUlT_T0_E_clISt17integral_constantIbLb1EES1A_IbLb0EEEEDaS16_S17_EUlS16_E_NS1_11comp_targetILNS1_3genE9ELNS1_11target_archE1100ELNS1_3gpuE3ELNS1_3repE0EEENS1_30default_config_static_selectorELNS0_4arch9wavefront6targetE0EEEvT1_,comdat
.Lfunc_end1324:
	.size	_ZN7rocprim17ROCPRIM_400000_NS6detail17trampoline_kernelINS0_14default_configENS1_25partition_config_selectorILNS1_17partition_subalgoE5EdNS0_10empty_typeEbEEZZNS1_14partition_implILS5_5ELb0ES3_mN6thrust23THRUST_200600_302600_NS6detail15normal_iteratorINSA_10device_ptrIdEEEEPS6_NSA_18transform_iteratorINSB_9not_fun_tI7is_trueIdEEESF_NSA_11use_defaultESM_EENS0_5tupleIJSF_S6_EEENSO_IJSG_SG_EEES6_PlJS6_EEE10hipError_tPvRmT3_T4_T5_T6_T7_T9_mT8_P12ihipStream_tbDpT10_ENKUlT_T0_E_clISt17integral_constantIbLb1EES1A_IbLb0EEEEDaS16_S17_EUlS16_E_NS1_11comp_targetILNS1_3genE9ELNS1_11target_archE1100ELNS1_3gpuE3ELNS1_3repE0EEENS1_30default_config_static_selectorELNS0_4arch9wavefront6targetE0EEEvT1_, .Lfunc_end1324-_ZN7rocprim17ROCPRIM_400000_NS6detail17trampoline_kernelINS0_14default_configENS1_25partition_config_selectorILNS1_17partition_subalgoE5EdNS0_10empty_typeEbEEZZNS1_14partition_implILS5_5ELb0ES3_mN6thrust23THRUST_200600_302600_NS6detail15normal_iteratorINSA_10device_ptrIdEEEEPS6_NSA_18transform_iteratorINSB_9not_fun_tI7is_trueIdEEESF_NSA_11use_defaultESM_EENS0_5tupleIJSF_S6_EEENSO_IJSG_SG_EEES6_PlJS6_EEE10hipError_tPvRmT3_T4_T5_T6_T7_T9_mT8_P12ihipStream_tbDpT10_ENKUlT_T0_E_clISt17integral_constantIbLb1EES1A_IbLb0EEEEDaS16_S17_EUlS16_E_NS1_11comp_targetILNS1_3genE9ELNS1_11target_archE1100ELNS1_3gpuE3ELNS1_3repE0EEENS1_30default_config_static_selectorELNS0_4arch9wavefront6targetE0EEEvT1_
                                        ; -- End function
	.set _ZN7rocprim17ROCPRIM_400000_NS6detail17trampoline_kernelINS0_14default_configENS1_25partition_config_selectorILNS1_17partition_subalgoE5EdNS0_10empty_typeEbEEZZNS1_14partition_implILS5_5ELb0ES3_mN6thrust23THRUST_200600_302600_NS6detail15normal_iteratorINSA_10device_ptrIdEEEEPS6_NSA_18transform_iteratorINSB_9not_fun_tI7is_trueIdEEESF_NSA_11use_defaultESM_EENS0_5tupleIJSF_S6_EEENSO_IJSG_SG_EEES6_PlJS6_EEE10hipError_tPvRmT3_T4_T5_T6_T7_T9_mT8_P12ihipStream_tbDpT10_ENKUlT_T0_E_clISt17integral_constantIbLb1EES1A_IbLb0EEEEDaS16_S17_EUlS16_E_NS1_11comp_targetILNS1_3genE9ELNS1_11target_archE1100ELNS1_3gpuE3ELNS1_3repE0EEENS1_30default_config_static_selectorELNS0_4arch9wavefront6targetE0EEEvT1_.num_vgpr, 0
	.set _ZN7rocprim17ROCPRIM_400000_NS6detail17trampoline_kernelINS0_14default_configENS1_25partition_config_selectorILNS1_17partition_subalgoE5EdNS0_10empty_typeEbEEZZNS1_14partition_implILS5_5ELb0ES3_mN6thrust23THRUST_200600_302600_NS6detail15normal_iteratorINSA_10device_ptrIdEEEEPS6_NSA_18transform_iteratorINSB_9not_fun_tI7is_trueIdEEESF_NSA_11use_defaultESM_EENS0_5tupleIJSF_S6_EEENSO_IJSG_SG_EEES6_PlJS6_EEE10hipError_tPvRmT3_T4_T5_T6_T7_T9_mT8_P12ihipStream_tbDpT10_ENKUlT_T0_E_clISt17integral_constantIbLb1EES1A_IbLb0EEEEDaS16_S17_EUlS16_E_NS1_11comp_targetILNS1_3genE9ELNS1_11target_archE1100ELNS1_3gpuE3ELNS1_3repE0EEENS1_30default_config_static_selectorELNS0_4arch9wavefront6targetE0EEEvT1_.num_agpr, 0
	.set _ZN7rocprim17ROCPRIM_400000_NS6detail17trampoline_kernelINS0_14default_configENS1_25partition_config_selectorILNS1_17partition_subalgoE5EdNS0_10empty_typeEbEEZZNS1_14partition_implILS5_5ELb0ES3_mN6thrust23THRUST_200600_302600_NS6detail15normal_iteratorINSA_10device_ptrIdEEEEPS6_NSA_18transform_iteratorINSB_9not_fun_tI7is_trueIdEEESF_NSA_11use_defaultESM_EENS0_5tupleIJSF_S6_EEENSO_IJSG_SG_EEES6_PlJS6_EEE10hipError_tPvRmT3_T4_T5_T6_T7_T9_mT8_P12ihipStream_tbDpT10_ENKUlT_T0_E_clISt17integral_constantIbLb1EES1A_IbLb0EEEEDaS16_S17_EUlS16_E_NS1_11comp_targetILNS1_3genE9ELNS1_11target_archE1100ELNS1_3gpuE3ELNS1_3repE0EEENS1_30default_config_static_selectorELNS0_4arch9wavefront6targetE0EEEvT1_.numbered_sgpr, 0
	.set _ZN7rocprim17ROCPRIM_400000_NS6detail17trampoline_kernelINS0_14default_configENS1_25partition_config_selectorILNS1_17partition_subalgoE5EdNS0_10empty_typeEbEEZZNS1_14partition_implILS5_5ELb0ES3_mN6thrust23THRUST_200600_302600_NS6detail15normal_iteratorINSA_10device_ptrIdEEEEPS6_NSA_18transform_iteratorINSB_9not_fun_tI7is_trueIdEEESF_NSA_11use_defaultESM_EENS0_5tupleIJSF_S6_EEENSO_IJSG_SG_EEES6_PlJS6_EEE10hipError_tPvRmT3_T4_T5_T6_T7_T9_mT8_P12ihipStream_tbDpT10_ENKUlT_T0_E_clISt17integral_constantIbLb1EES1A_IbLb0EEEEDaS16_S17_EUlS16_E_NS1_11comp_targetILNS1_3genE9ELNS1_11target_archE1100ELNS1_3gpuE3ELNS1_3repE0EEENS1_30default_config_static_selectorELNS0_4arch9wavefront6targetE0EEEvT1_.num_named_barrier, 0
	.set _ZN7rocprim17ROCPRIM_400000_NS6detail17trampoline_kernelINS0_14default_configENS1_25partition_config_selectorILNS1_17partition_subalgoE5EdNS0_10empty_typeEbEEZZNS1_14partition_implILS5_5ELb0ES3_mN6thrust23THRUST_200600_302600_NS6detail15normal_iteratorINSA_10device_ptrIdEEEEPS6_NSA_18transform_iteratorINSB_9not_fun_tI7is_trueIdEEESF_NSA_11use_defaultESM_EENS0_5tupleIJSF_S6_EEENSO_IJSG_SG_EEES6_PlJS6_EEE10hipError_tPvRmT3_T4_T5_T6_T7_T9_mT8_P12ihipStream_tbDpT10_ENKUlT_T0_E_clISt17integral_constantIbLb1EES1A_IbLb0EEEEDaS16_S17_EUlS16_E_NS1_11comp_targetILNS1_3genE9ELNS1_11target_archE1100ELNS1_3gpuE3ELNS1_3repE0EEENS1_30default_config_static_selectorELNS0_4arch9wavefront6targetE0EEEvT1_.private_seg_size, 0
	.set _ZN7rocprim17ROCPRIM_400000_NS6detail17trampoline_kernelINS0_14default_configENS1_25partition_config_selectorILNS1_17partition_subalgoE5EdNS0_10empty_typeEbEEZZNS1_14partition_implILS5_5ELb0ES3_mN6thrust23THRUST_200600_302600_NS6detail15normal_iteratorINSA_10device_ptrIdEEEEPS6_NSA_18transform_iteratorINSB_9not_fun_tI7is_trueIdEEESF_NSA_11use_defaultESM_EENS0_5tupleIJSF_S6_EEENSO_IJSG_SG_EEES6_PlJS6_EEE10hipError_tPvRmT3_T4_T5_T6_T7_T9_mT8_P12ihipStream_tbDpT10_ENKUlT_T0_E_clISt17integral_constantIbLb1EES1A_IbLb0EEEEDaS16_S17_EUlS16_E_NS1_11comp_targetILNS1_3genE9ELNS1_11target_archE1100ELNS1_3gpuE3ELNS1_3repE0EEENS1_30default_config_static_selectorELNS0_4arch9wavefront6targetE0EEEvT1_.uses_vcc, 0
	.set _ZN7rocprim17ROCPRIM_400000_NS6detail17trampoline_kernelINS0_14default_configENS1_25partition_config_selectorILNS1_17partition_subalgoE5EdNS0_10empty_typeEbEEZZNS1_14partition_implILS5_5ELb0ES3_mN6thrust23THRUST_200600_302600_NS6detail15normal_iteratorINSA_10device_ptrIdEEEEPS6_NSA_18transform_iteratorINSB_9not_fun_tI7is_trueIdEEESF_NSA_11use_defaultESM_EENS0_5tupleIJSF_S6_EEENSO_IJSG_SG_EEES6_PlJS6_EEE10hipError_tPvRmT3_T4_T5_T6_T7_T9_mT8_P12ihipStream_tbDpT10_ENKUlT_T0_E_clISt17integral_constantIbLb1EES1A_IbLb0EEEEDaS16_S17_EUlS16_E_NS1_11comp_targetILNS1_3genE9ELNS1_11target_archE1100ELNS1_3gpuE3ELNS1_3repE0EEENS1_30default_config_static_selectorELNS0_4arch9wavefront6targetE0EEEvT1_.uses_flat_scratch, 0
	.set _ZN7rocprim17ROCPRIM_400000_NS6detail17trampoline_kernelINS0_14default_configENS1_25partition_config_selectorILNS1_17partition_subalgoE5EdNS0_10empty_typeEbEEZZNS1_14partition_implILS5_5ELb0ES3_mN6thrust23THRUST_200600_302600_NS6detail15normal_iteratorINSA_10device_ptrIdEEEEPS6_NSA_18transform_iteratorINSB_9not_fun_tI7is_trueIdEEESF_NSA_11use_defaultESM_EENS0_5tupleIJSF_S6_EEENSO_IJSG_SG_EEES6_PlJS6_EEE10hipError_tPvRmT3_T4_T5_T6_T7_T9_mT8_P12ihipStream_tbDpT10_ENKUlT_T0_E_clISt17integral_constantIbLb1EES1A_IbLb0EEEEDaS16_S17_EUlS16_E_NS1_11comp_targetILNS1_3genE9ELNS1_11target_archE1100ELNS1_3gpuE3ELNS1_3repE0EEENS1_30default_config_static_selectorELNS0_4arch9wavefront6targetE0EEEvT1_.has_dyn_sized_stack, 0
	.set _ZN7rocprim17ROCPRIM_400000_NS6detail17trampoline_kernelINS0_14default_configENS1_25partition_config_selectorILNS1_17partition_subalgoE5EdNS0_10empty_typeEbEEZZNS1_14partition_implILS5_5ELb0ES3_mN6thrust23THRUST_200600_302600_NS6detail15normal_iteratorINSA_10device_ptrIdEEEEPS6_NSA_18transform_iteratorINSB_9not_fun_tI7is_trueIdEEESF_NSA_11use_defaultESM_EENS0_5tupleIJSF_S6_EEENSO_IJSG_SG_EEES6_PlJS6_EEE10hipError_tPvRmT3_T4_T5_T6_T7_T9_mT8_P12ihipStream_tbDpT10_ENKUlT_T0_E_clISt17integral_constantIbLb1EES1A_IbLb0EEEEDaS16_S17_EUlS16_E_NS1_11comp_targetILNS1_3genE9ELNS1_11target_archE1100ELNS1_3gpuE3ELNS1_3repE0EEENS1_30default_config_static_selectorELNS0_4arch9wavefront6targetE0EEEvT1_.has_recursion, 0
	.set _ZN7rocprim17ROCPRIM_400000_NS6detail17trampoline_kernelINS0_14default_configENS1_25partition_config_selectorILNS1_17partition_subalgoE5EdNS0_10empty_typeEbEEZZNS1_14partition_implILS5_5ELb0ES3_mN6thrust23THRUST_200600_302600_NS6detail15normal_iteratorINSA_10device_ptrIdEEEEPS6_NSA_18transform_iteratorINSB_9not_fun_tI7is_trueIdEEESF_NSA_11use_defaultESM_EENS0_5tupleIJSF_S6_EEENSO_IJSG_SG_EEES6_PlJS6_EEE10hipError_tPvRmT3_T4_T5_T6_T7_T9_mT8_P12ihipStream_tbDpT10_ENKUlT_T0_E_clISt17integral_constantIbLb1EES1A_IbLb0EEEEDaS16_S17_EUlS16_E_NS1_11comp_targetILNS1_3genE9ELNS1_11target_archE1100ELNS1_3gpuE3ELNS1_3repE0EEENS1_30default_config_static_selectorELNS0_4arch9wavefront6targetE0EEEvT1_.has_indirect_call, 0
	.section	.AMDGPU.csdata,"",@progbits
; Kernel info:
; codeLenInByte = 0
; TotalNumSgprs: 0
; NumVgprs: 0
; ScratchSize: 0
; MemoryBound: 0
; FloatMode: 240
; IeeeMode: 1
; LDSByteSize: 0 bytes/workgroup (compile time only)
; SGPRBlocks: 0
; VGPRBlocks: 0
; NumSGPRsForWavesPerEU: 1
; NumVGPRsForWavesPerEU: 1
; Occupancy: 16
; WaveLimiterHint : 0
; COMPUTE_PGM_RSRC2:SCRATCH_EN: 0
; COMPUTE_PGM_RSRC2:USER_SGPR: 2
; COMPUTE_PGM_RSRC2:TRAP_HANDLER: 0
; COMPUTE_PGM_RSRC2:TGID_X_EN: 1
; COMPUTE_PGM_RSRC2:TGID_Y_EN: 0
; COMPUTE_PGM_RSRC2:TGID_Z_EN: 0
; COMPUTE_PGM_RSRC2:TIDIG_COMP_CNT: 0
	.section	.text._ZN7rocprim17ROCPRIM_400000_NS6detail17trampoline_kernelINS0_14default_configENS1_25partition_config_selectorILNS1_17partition_subalgoE5EdNS0_10empty_typeEbEEZZNS1_14partition_implILS5_5ELb0ES3_mN6thrust23THRUST_200600_302600_NS6detail15normal_iteratorINSA_10device_ptrIdEEEEPS6_NSA_18transform_iteratorINSB_9not_fun_tI7is_trueIdEEESF_NSA_11use_defaultESM_EENS0_5tupleIJSF_S6_EEENSO_IJSG_SG_EEES6_PlJS6_EEE10hipError_tPvRmT3_T4_T5_T6_T7_T9_mT8_P12ihipStream_tbDpT10_ENKUlT_T0_E_clISt17integral_constantIbLb1EES1A_IbLb0EEEEDaS16_S17_EUlS16_E_NS1_11comp_targetILNS1_3genE8ELNS1_11target_archE1030ELNS1_3gpuE2ELNS1_3repE0EEENS1_30default_config_static_selectorELNS0_4arch9wavefront6targetE0EEEvT1_,"axG",@progbits,_ZN7rocprim17ROCPRIM_400000_NS6detail17trampoline_kernelINS0_14default_configENS1_25partition_config_selectorILNS1_17partition_subalgoE5EdNS0_10empty_typeEbEEZZNS1_14partition_implILS5_5ELb0ES3_mN6thrust23THRUST_200600_302600_NS6detail15normal_iteratorINSA_10device_ptrIdEEEEPS6_NSA_18transform_iteratorINSB_9not_fun_tI7is_trueIdEEESF_NSA_11use_defaultESM_EENS0_5tupleIJSF_S6_EEENSO_IJSG_SG_EEES6_PlJS6_EEE10hipError_tPvRmT3_T4_T5_T6_T7_T9_mT8_P12ihipStream_tbDpT10_ENKUlT_T0_E_clISt17integral_constantIbLb1EES1A_IbLb0EEEEDaS16_S17_EUlS16_E_NS1_11comp_targetILNS1_3genE8ELNS1_11target_archE1030ELNS1_3gpuE2ELNS1_3repE0EEENS1_30default_config_static_selectorELNS0_4arch9wavefront6targetE0EEEvT1_,comdat
	.protected	_ZN7rocprim17ROCPRIM_400000_NS6detail17trampoline_kernelINS0_14default_configENS1_25partition_config_selectorILNS1_17partition_subalgoE5EdNS0_10empty_typeEbEEZZNS1_14partition_implILS5_5ELb0ES3_mN6thrust23THRUST_200600_302600_NS6detail15normal_iteratorINSA_10device_ptrIdEEEEPS6_NSA_18transform_iteratorINSB_9not_fun_tI7is_trueIdEEESF_NSA_11use_defaultESM_EENS0_5tupleIJSF_S6_EEENSO_IJSG_SG_EEES6_PlJS6_EEE10hipError_tPvRmT3_T4_T5_T6_T7_T9_mT8_P12ihipStream_tbDpT10_ENKUlT_T0_E_clISt17integral_constantIbLb1EES1A_IbLb0EEEEDaS16_S17_EUlS16_E_NS1_11comp_targetILNS1_3genE8ELNS1_11target_archE1030ELNS1_3gpuE2ELNS1_3repE0EEENS1_30default_config_static_selectorELNS0_4arch9wavefront6targetE0EEEvT1_ ; -- Begin function _ZN7rocprim17ROCPRIM_400000_NS6detail17trampoline_kernelINS0_14default_configENS1_25partition_config_selectorILNS1_17partition_subalgoE5EdNS0_10empty_typeEbEEZZNS1_14partition_implILS5_5ELb0ES3_mN6thrust23THRUST_200600_302600_NS6detail15normal_iteratorINSA_10device_ptrIdEEEEPS6_NSA_18transform_iteratorINSB_9not_fun_tI7is_trueIdEEESF_NSA_11use_defaultESM_EENS0_5tupleIJSF_S6_EEENSO_IJSG_SG_EEES6_PlJS6_EEE10hipError_tPvRmT3_T4_T5_T6_T7_T9_mT8_P12ihipStream_tbDpT10_ENKUlT_T0_E_clISt17integral_constantIbLb1EES1A_IbLb0EEEEDaS16_S17_EUlS16_E_NS1_11comp_targetILNS1_3genE8ELNS1_11target_archE1030ELNS1_3gpuE2ELNS1_3repE0EEENS1_30default_config_static_selectorELNS0_4arch9wavefront6targetE0EEEvT1_
	.globl	_ZN7rocprim17ROCPRIM_400000_NS6detail17trampoline_kernelINS0_14default_configENS1_25partition_config_selectorILNS1_17partition_subalgoE5EdNS0_10empty_typeEbEEZZNS1_14partition_implILS5_5ELb0ES3_mN6thrust23THRUST_200600_302600_NS6detail15normal_iteratorINSA_10device_ptrIdEEEEPS6_NSA_18transform_iteratorINSB_9not_fun_tI7is_trueIdEEESF_NSA_11use_defaultESM_EENS0_5tupleIJSF_S6_EEENSO_IJSG_SG_EEES6_PlJS6_EEE10hipError_tPvRmT3_T4_T5_T6_T7_T9_mT8_P12ihipStream_tbDpT10_ENKUlT_T0_E_clISt17integral_constantIbLb1EES1A_IbLb0EEEEDaS16_S17_EUlS16_E_NS1_11comp_targetILNS1_3genE8ELNS1_11target_archE1030ELNS1_3gpuE2ELNS1_3repE0EEENS1_30default_config_static_selectorELNS0_4arch9wavefront6targetE0EEEvT1_
	.p2align	8
	.type	_ZN7rocprim17ROCPRIM_400000_NS6detail17trampoline_kernelINS0_14default_configENS1_25partition_config_selectorILNS1_17partition_subalgoE5EdNS0_10empty_typeEbEEZZNS1_14partition_implILS5_5ELb0ES3_mN6thrust23THRUST_200600_302600_NS6detail15normal_iteratorINSA_10device_ptrIdEEEEPS6_NSA_18transform_iteratorINSB_9not_fun_tI7is_trueIdEEESF_NSA_11use_defaultESM_EENS0_5tupleIJSF_S6_EEENSO_IJSG_SG_EEES6_PlJS6_EEE10hipError_tPvRmT3_T4_T5_T6_T7_T9_mT8_P12ihipStream_tbDpT10_ENKUlT_T0_E_clISt17integral_constantIbLb1EES1A_IbLb0EEEEDaS16_S17_EUlS16_E_NS1_11comp_targetILNS1_3genE8ELNS1_11target_archE1030ELNS1_3gpuE2ELNS1_3repE0EEENS1_30default_config_static_selectorELNS0_4arch9wavefront6targetE0EEEvT1_,@function
_ZN7rocprim17ROCPRIM_400000_NS6detail17trampoline_kernelINS0_14default_configENS1_25partition_config_selectorILNS1_17partition_subalgoE5EdNS0_10empty_typeEbEEZZNS1_14partition_implILS5_5ELb0ES3_mN6thrust23THRUST_200600_302600_NS6detail15normal_iteratorINSA_10device_ptrIdEEEEPS6_NSA_18transform_iteratorINSB_9not_fun_tI7is_trueIdEEESF_NSA_11use_defaultESM_EENS0_5tupleIJSF_S6_EEENSO_IJSG_SG_EEES6_PlJS6_EEE10hipError_tPvRmT3_T4_T5_T6_T7_T9_mT8_P12ihipStream_tbDpT10_ENKUlT_T0_E_clISt17integral_constantIbLb1EES1A_IbLb0EEEEDaS16_S17_EUlS16_E_NS1_11comp_targetILNS1_3genE8ELNS1_11target_archE1030ELNS1_3gpuE2ELNS1_3repE0EEENS1_30default_config_static_selectorELNS0_4arch9wavefront6targetE0EEEvT1_: ; @_ZN7rocprim17ROCPRIM_400000_NS6detail17trampoline_kernelINS0_14default_configENS1_25partition_config_selectorILNS1_17partition_subalgoE5EdNS0_10empty_typeEbEEZZNS1_14partition_implILS5_5ELb0ES3_mN6thrust23THRUST_200600_302600_NS6detail15normal_iteratorINSA_10device_ptrIdEEEEPS6_NSA_18transform_iteratorINSB_9not_fun_tI7is_trueIdEEESF_NSA_11use_defaultESM_EENS0_5tupleIJSF_S6_EEENSO_IJSG_SG_EEES6_PlJS6_EEE10hipError_tPvRmT3_T4_T5_T6_T7_T9_mT8_P12ihipStream_tbDpT10_ENKUlT_T0_E_clISt17integral_constantIbLb1EES1A_IbLb0EEEEDaS16_S17_EUlS16_E_NS1_11comp_targetILNS1_3genE8ELNS1_11target_archE1030ELNS1_3gpuE2ELNS1_3repE0EEENS1_30default_config_static_selectorELNS0_4arch9wavefront6targetE0EEEvT1_
; %bb.0:
	.section	.rodata,"a",@progbits
	.p2align	6, 0x0
	.amdhsa_kernel _ZN7rocprim17ROCPRIM_400000_NS6detail17trampoline_kernelINS0_14default_configENS1_25partition_config_selectorILNS1_17partition_subalgoE5EdNS0_10empty_typeEbEEZZNS1_14partition_implILS5_5ELb0ES3_mN6thrust23THRUST_200600_302600_NS6detail15normal_iteratorINSA_10device_ptrIdEEEEPS6_NSA_18transform_iteratorINSB_9not_fun_tI7is_trueIdEEESF_NSA_11use_defaultESM_EENS0_5tupleIJSF_S6_EEENSO_IJSG_SG_EEES6_PlJS6_EEE10hipError_tPvRmT3_T4_T5_T6_T7_T9_mT8_P12ihipStream_tbDpT10_ENKUlT_T0_E_clISt17integral_constantIbLb1EES1A_IbLb0EEEEDaS16_S17_EUlS16_E_NS1_11comp_targetILNS1_3genE8ELNS1_11target_archE1030ELNS1_3gpuE2ELNS1_3repE0EEENS1_30default_config_static_selectorELNS0_4arch9wavefront6targetE0EEEvT1_
		.amdhsa_group_segment_fixed_size 0
		.amdhsa_private_segment_fixed_size 0
		.amdhsa_kernarg_size 120
		.amdhsa_user_sgpr_count 2
		.amdhsa_user_sgpr_dispatch_ptr 0
		.amdhsa_user_sgpr_queue_ptr 0
		.amdhsa_user_sgpr_kernarg_segment_ptr 1
		.amdhsa_user_sgpr_dispatch_id 0
		.amdhsa_user_sgpr_private_segment_size 0
		.amdhsa_wavefront_size32 1
		.amdhsa_uses_dynamic_stack 0
		.amdhsa_enable_private_segment 0
		.amdhsa_system_sgpr_workgroup_id_x 1
		.amdhsa_system_sgpr_workgroup_id_y 0
		.amdhsa_system_sgpr_workgroup_id_z 0
		.amdhsa_system_sgpr_workgroup_info 0
		.amdhsa_system_vgpr_workitem_id 0
		.amdhsa_next_free_vgpr 1
		.amdhsa_next_free_sgpr 1
		.amdhsa_reserve_vcc 0
		.amdhsa_float_round_mode_32 0
		.amdhsa_float_round_mode_16_64 0
		.amdhsa_float_denorm_mode_32 3
		.amdhsa_float_denorm_mode_16_64 3
		.amdhsa_fp16_overflow 0
		.amdhsa_workgroup_processor_mode 1
		.amdhsa_memory_ordered 1
		.amdhsa_forward_progress 1
		.amdhsa_inst_pref_size 0
		.amdhsa_round_robin_scheduling 0
		.amdhsa_exception_fp_ieee_invalid_op 0
		.amdhsa_exception_fp_denorm_src 0
		.amdhsa_exception_fp_ieee_div_zero 0
		.amdhsa_exception_fp_ieee_overflow 0
		.amdhsa_exception_fp_ieee_underflow 0
		.amdhsa_exception_fp_ieee_inexact 0
		.amdhsa_exception_int_div_zero 0
	.end_amdhsa_kernel
	.section	.text._ZN7rocprim17ROCPRIM_400000_NS6detail17trampoline_kernelINS0_14default_configENS1_25partition_config_selectorILNS1_17partition_subalgoE5EdNS0_10empty_typeEbEEZZNS1_14partition_implILS5_5ELb0ES3_mN6thrust23THRUST_200600_302600_NS6detail15normal_iteratorINSA_10device_ptrIdEEEEPS6_NSA_18transform_iteratorINSB_9not_fun_tI7is_trueIdEEESF_NSA_11use_defaultESM_EENS0_5tupleIJSF_S6_EEENSO_IJSG_SG_EEES6_PlJS6_EEE10hipError_tPvRmT3_T4_T5_T6_T7_T9_mT8_P12ihipStream_tbDpT10_ENKUlT_T0_E_clISt17integral_constantIbLb1EES1A_IbLb0EEEEDaS16_S17_EUlS16_E_NS1_11comp_targetILNS1_3genE8ELNS1_11target_archE1030ELNS1_3gpuE2ELNS1_3repE0EEENS1_30default_config_static_selectorELNS0_4arch9wavefront6targetE0EEEvT1_,"axG",@progbits,_ZN7rocprim17ROCPRIM_400000_NS6detail17trampoline_kernelINS0_14default_configENS1_25partition_config_selectorILNS1_17partition_subalgoE5EdNS0_10empty_typeEbEEZZNS1_14partition_implILS5_5ELb0ES3_mN6thrust23THRUST_200600_302600_NS6detail15normal_iteratorINSA_10device_ptrIdEEEEPS6_NSA_18transform_iteratorINSB_9not_fun_tI7is_trueIdEEESF_NSA_11use_defaultESM_EENS0_5tupleIJSF_S6_EEENSO_IJSG_SG_EEES6_PlJS6_EEE10hipError_tPvRmT3_T4_T5_T6_T7_T9_mT8_P12ihipStream_tbDpT10_ENKUlT_T0_E_clISt17integral_constantIbLb1EES1A_IbLb0EEEEDaS16_S17_EUlS16_E_NS1_11comp_targetILNS1_3genE8ELNS1_11target_archE1030ELNS1_3gpuE2ELNS1_3repE0EEENS1_30default_config_static_selectorELNS0_4arch9wavefront6targetE0EEEvT1_,comdat
.Lfunc_end1325:
	.size	_ZN7rocprim17ROCPRIM_400000_NS6detail17trampoline_kernelINS0_14default_configENS1_25partition_config_selectorILNS1_17partition_subalgoE5EdNS0_10empty_typeEbEEZZNS1_14partition_implILS5_5ELb0ES3_mN6thrust23THRUST_200600_302600_NS6detail15normal_iteratorINSA_10device_ptrIdEEEEPS6_NSA_18transform_iteratorINSB_9not_fun_tI7is_trueIdEEESF_NSA_11use_defaultESM_EENS0_5tupleIJSF_S6_EEENSO_IJSG_SG_EEES6_PlJS6_EEE10hipError_tPvRmT3_T4_T5_T6_T7_T9_mT8_P12ihipStream_tbDpT10_ENKUlT_T0_E_clISt17integral_constantIbLb1EES1A_IbLb0EEEEDaS16_S17_EUlS16_E_NS1_11comp_targetILNS1_3genE8ELNS1_11target_archE1030ELNS1_3gpuE2ELNS1_3repE0EEENS1_30default_config_static_selectorELNS0_4arch9wavefront6targetE0EEEvT1_, .Lfunc_end1325-_ZN7rocprim17ROCPRIM_400000_NS6detail17trampoline_kernelINS0_14default_configENS1_25partition_config_selectorILNS1_17partition_subalgoE5EdNS0_10empty_typeEbEEZZNS1_14partition_implILS5_5ELb0ES3_mN6thrust23THRUST_200600_302600_NS6detail15normal_iteratorINSA_10device_ptrIdEEEEPS6_NSA_18transform_iteratorINSB_9not_fun_tI7is_trueIdEEESF_NSA_11use_defaultESM_EENS0_5tupleIJSF_S6_EEENSO_IJSG_SG_EEES6_PlJS6_EEE10hipError_tPvRmT3_T4_T5_T6_T7_T9_mT8_P12ihipStream_tbDpT10_ENKUlT_T0_E_clISt17integral_constantIbLb1EES1A_IbLb0EEEEDaS16_S17_EUlS16_E_NS1_11comp_targetILNS1_3genE8ELNS1_11target_archE1030ELNS1_3gpuE2ELNS1_3repE0EEENS1_30default_config_static_selectorELNS0_4arch9wavefront6targetE0EEEvT1_
                                        ; -- End function
	.set _ZN7rocprim17ROCPRIM_400000_NS6detail17trampoline_kernelINS0_14default_configENS1_25partition_config_selectorILNS1_17partition_subalgoE5EdNS0_10empty_typeEbEEZZNS1_14partition_implILS5_5ELb0ES3_mN6thrust23THRUST_200600_302600_NS6detail15normal_iteratorINSA_10device_ptrIdEEEEPS6_NSA_18transform_iteratorINSB_9not_fun_tI7is_trueIdEEESF_NSA_11use_defaultESM_EENS0_5tupleIJSF_S6_EEENSO_IJSG_SG_EEES6_PlJS6_EEE10hipError_tPvRmT3_T4_T5_T6_T7_T9_mT8_P12ihipStream_tbDpT10_ENKUlT_T0_E_clISt17integral_constantIbLb1EES1A_IbLb0EEEEDaS16_S17_EUlS16_E_NS1_11comp_targetILNS1_3genE8ELNS1_11target_archE1030ELNS1_3gpuE2ELNS1_3repE0EEENS1_30default_config_static_selectorELNS0_4arch9wavefront6targetE0EEEvT1_.num_vgpr, 0
	.set _ZN7rocprim17ROCPRIM_400000_NS6detail17trampoline_kernelINS0_14default_configENS1_25partition_config_selectorILNS1_17partition_subalgoE5EdNS0_10empty_typeEbEEZZNS1_14partition_implILS5_5ELb0ES3_mN6thrust23THRUST_200600_302600_NS6detail15normal_iteratorINSA_10device_ptrIdEEEEPS6_NSA_18transform_iteratorINSB_9not_fun_tI7is_trueIdEEESF_NSA_11use_defaultESM_EENS0_5tupleIJSF_S6_EEENSO_IJSG_SG_EEES6_PlJS6_EEE10hipError_tPvRmT3_T4_T5_T6_T7_T9_mT8_P12ihipStream_tbDpT10_ENKUlT_T0_E_clISt17integral_constantIbLb1EES1A_IbLb0EEEEDaS16_S17_EUlS16_E_NS1_11comp_targetILNS1_3genE8ELNS1_11target_archE1030ELNS1_3gpuE2ELNS1_3repE0EEENS1_30default_config_static_selectorELNS0_4arch9wavefront6targetE0EEEvT1_.num_agpr, 0
	.set _ZN7rocprim17ROCPRIM_400000_NS6detail17trampoline_kernelINS0_14default_configENS1_25partition_config_selectorILNS1_17partition_subalgoE5EdNS0_10empty_typeEbEEZZNS1_14partition_implILS5_5ELb0ES3_mN6thrust23THRUST_200600_302600_NS6detail15normal_iteratorINSA_10device_ptrIdEEEEPS6_NSA_18transform_iteratorINSB_9not_fun_tI7is_trueIdEEESF_NSA_11use_defaultESM_EENS0_5tupleIJSF_S6_EEENSO_IJSG_SG_EEES6_PlJS6_EEE10hipError_tPvRmT3_T4_T5_T6_T7_T9_mT8_P12ihipStream_tbDpT10_ENKUlT_T0_E_clISt17integral_constantIbLb1EES1A_IbLb0EEEEDaS16_S17_EUlS16_E_NS1_11comp_targetILNS1_3genE8ELNS1_11target_archE1030ELNS1_3gpuE2ELNS1_3repE0EEENS1_30default_config_static_selectorELNS0_4arch9wavefront6targetE0EEEvT1_.numbered_sgpr, 0
	.set _ZN7rocprim17ROCPRIM_400000_NS6detail17trampoline_kernelINS0_14default_configENS1_25partition_config_selectorILNS1_17partition_subalgoE5EdNS0_10empty_typeEbEEZZNS1_14partition_implILS5_5ELb0ES3_mN6thrust23THRUST_200600_302600_NS6detail15normal_iteratorINSA_10device_ptrIdEEEEPS6_NSA_18transform_iteratorINSB_9not_fun_tI7is_trueIdEEESF_NSA_11use_defaultESM_EENS0_5tupleIJSF_S6_EEENSO_IJSG_SG_EEES6_PlJS6_EEE10hipError_tPvRmT3_T4_T5_T6_T7_T9_mT8_P12ihipStream_tbDpT10_ENKUlT_T0_E_clISt17integral_constantIbLb1EES1A_IbLb0EEEEDaS16_S17_EUlS16_E_NS1_11comp_targetILNS1_3genE8ELNS1_11target_archE1030ELNS1_3gpuE2ELNS1_3repE0EEENS1_30default_config_static_selectorELNS0_4arch9wavefront6targetE0EEEvT1_.num_named_barrier, 0
	.set _ZN7rocprim17ROCPRIM_400000_NS6detail17trampoline_kernelINS0_14default_configENS1_25partition_config_selectorILNS1_17partition_subalgoE5EdNS0_10empty_typeEbEEZZNS1_14partition_implILS5_5ELb0ES3_mN6thrust23THRUST_200600_302600_NS6detail15normal_iteratorINSA_10device_ptrIdEEEEPS6_NSA_18transform_iteratorINSB_9not_fun_tI7is_trueIdEEESF_NSA_11use_defaultESM_EENS0_5tupleIJSF_S6_EEENSO_IJSG_SG_EEES6_PlJS6_EEE10hipError_tPvRmT3_T4_T5_T6_T7_T9_mT8_P12ihipStream_tbDpT10_ENKUlT_T0_E_clISt17integral_constantIbLb1EES1A_IbLb0EEEEDaS16_S17_EUlS16_E_NS1_11comp_targetILNS1_3genE8ELNS1_11target_archE1030ELNS1_3gpuE2ELNS1_3repE0EEENS1_30default_config_static_selectorELNS0_4arch9wavefront6targetE0EEEvT1_.private_seg_size, 0
	.set _ZN7rocprim17ROCPRIM_400000_NS6detail17trampoline_kernelINS0_14default_configENS1_25partition_config_selectorILNS1_17partition_subalgoE5EdNS0_10empty_typeEbEEZZNS1_14partition_implILS5_5ELb0ES3_mN6thrust23THRUST_200600_302600_NS6detail15normal_iteratorINSA_10device_ptrIdEEEEPS6_NSA_18transform_iteratorINSB_9not_fun_tI7is_trueIdEEESF_NSA_11use_defaultESM_EENS0_5tupleIJSF_S6_EEENSO_IJSG_SG_EEES6_PlJS6_EEE10hipError_tPvRmT3_T4_T5_T6_T7_T9_mT8_P12ihipStream_tbDpT10_ENKUlT_T0_E_clISt17integral_constantIbLb1EES1A_IbLb0EEEEDaS16_S17_EUlS16_E_NS1_11comp_targetILNS1_3genE8ELNS1_11target_archE1030ELNS1_3gpuE2ELNS1_3repE0EEENS1_30default_config_static_selectorELNS0_4arch9wavefront6targetE0EEEvT1_.uses_vcc, 0
	.set _ZN7rocprim17ROCPRIM_400000_NS6detail17trampoline_kernelINS0_14default_configENS1_25partition_config_selectorILNS1_17partition_subalgoE5EdNS0_10empty_typeEbEEZZNS1_14partition_implILS5_5ELb0ES3_mN6thrust23THRUST_200600_302600_NS6detail15normal_iteratorINSA_10device_ptrIdEEEEPS6_NSA_18transform_iteratorINSB_9not_fun_tI7is_trueIdEEESF_NSA_11use_defaultESM_EENS0_5tupleIJSF_S6_EEENSO_IJSG_SG_EEES6_PlJS6_EEE10hipError_tPvRmT3_T4_T5_T6_T7_T9_mT8_P12ihipStream_tbDpT10_ENKUlT_T0_E_clISt17integral_constantIbLb1EES1A_IbLb0EEEEDaS16_S17_EUlS16_E_NS1_11comp_targetILNS1_3genE8ELNS1_11target_archE1030ELNS1_3gpuE2ELNS1_3repE0EEENS1_30default_config_static_selectorELNS0_4arch9wavefront6targetE0EEEvT1_.uses_flat_scratch, 0
	.set _ZN7rocprim17ROCPRIM_400000_NS6detail17trampoline_kernelINS0_14default_configENS1_25partition_config_selectorILNS1_17partition_subalgoE5EdNS0_10empty_typeEbEEZZNS1_14partition_implILS5_5ELb0ES3_mN6thrust23THRUST_200600_302600_NS6detail15normal_iteratorINSA_10device_ptrIdEEEEPS6_NSA_18transform_iteratorINSB_9not_fun_tI7is_trueIdEEESF_NSA_11use_defaultESM_EENS0_5tupleIJSF_S6_EEENSO_IJSG_SG_EEES6_PlJS6_EEE10hipError_tPvRmT3_T4_T5_T6_T7_T9_mT8_P12ihipStream_tbDpT10_ENKUlT_T0_E_clISt17integral_constantIbLb1EES1A_IbLb0EEEEDaS16_S17_EUlS16_E_NS1_11comp_targetILNS1_3genE8ELNS1_11target_archE1030ELNS1_3gpuE2ELNS1_3repE0EEENS1_30default_config_static_selectorELNS0_4arch9wavefront6targetE0EEEvT1_.has_dyn_sized_stack, 0
	.set _ZN7rocprim17ROCPRIM_400000_NS6detail17trampoline_kernelINS0_14default_configENS1_25partition_config_selectorILNS1_17partition_subalgoE5EdNS0_10empty_typeEbEEZZNS1_14partition_implILS5_5ELb0ES3_mN6thrust23THRUST_200600_302600_NS6detail15normal_iteratorINSA_10device_ptrIdEEEEPS6_NSA_18transform_iteratorINSB_9not_fun_tI7is_trueIdEEESF_NSA_11use_defaultESM_EENS0_5tupleIJSF_S6_EEENSO_IJSG_SG_EEES6_PlJS6_EEE10hipError_tPvRmT3_T4_T5_T6_T7_T9_mT8_P12ihipStream_tbDpT10_ENKUlT_T0_E_clISt17integral_constantIbLb1EES1A_IbLb0EEEEDaS16_S17_EUlS16_E_NS1_11comp_targetILNS1_3genE8ELNS1_11target_archE1030ELNS1_3gpuE2ELNS1_3repE0EEENS1_30default_config_static_selectorELNS0_4arch9wavefront6targetE0EEEvT1_.has_recursion, 0
	.set _ZN7rocprim17ROCPRIM_400000_NS6detail17trampoline_kernelINS0_14default_configENS1_25partition_config_selectorILNS1_17partition_subalgoE5EdNS0_10empty_typeEbEEZZNS1_14partition_implILS5_5ELb0ES3_mN6thrust23THRUST_200600_302600_NS6detail15normal_iteratorINSA_10device_ptrIdEEEEPS6_NSA_18transform_iteratorINSB_9not_fun_tI7is_trueIdEEESF_NSA_11use_defaultESM_EENS0_5tupleIJSF_S6_EEENSO_IJSG_SG_EEES6_PlJS6_EEE10hipError_tPvRmT3_T4_T5_T6_T7_T9_mT8_P12ihipStream_tbDpT10_ENKUlT_T0_E_clISt17integral_constantIbLb1EES1A_IbLb0EEEEDaS16_S17_EUlS16_E_NS1_11comp_targetILNS1_3genE8ELNS1_11target_archE1030ELNS1_3gpuE2ELNS1_3repE0EEENS1_30default_config_static_selectorELNS0_4arch9wavefront6targetE0EEEvT1_.has_indirect_call, 0
	.section	.AMDGPU.csdata,"",@progbits
; Kernel info:
; codeLenInByte = 0
; TotalNumSgprs: 0
; NumVgprs: 0
; ScratchSize: 0
; MemoryBound: 0
; FloatMode: 240
; IeeeMode: 1
; LDSByteSize: 0 bytes/workgroup (compile time only)
; SGPRBlocks: 0
; VGPRBlocks: 0
; NumSGPRsForWavesPerEU: 1
; NumVGPRsForWavesPerEU: 1
; Occupancy: 16
; WaveLimiterHint : 0
; COMPUTE_PGM_RSRC2:SCRATCH_EN: 0
; COMPUTE_PGM_RSRC2:USER_SGPR: 2
; COMPUTE_PGM_RSRC2:TRAP_HANDLER: 0
; COMPUTE_PGM_RSRC2:TGID_X_EN: 1
; COMPUTE_PGM_RSRC2:TGID_Y_EN: 0
; COMPUTE_PGM_RSRC2:TGID_Z_EN: 0
; COMPUTE_PGM_RSRC2:TIDIG_COMP_CNT: 0
	.section	.text._ZN7rocprim17ROCPRIM_400000_NS6detail17trampoline_kernelINS0_14default_configENS1_25partition_config_selectorILNS1_17partition_subalgoE5EdNS0_10empty_typeEbEEZZNS1_14partition_implILS5_5ELb0ES3_mN6thrust23THRUST_200600_302600_NS6detail15normal_iteratorINSA_10device_ptrIdEEEEPS6_NSA_18transform_iteratorINSB_9not_fun_tI7is_trueIdEEESF_NSA_11use_defaultESM_EENS0_5tupleIJSF_S6_EEENSO_IJSG_SG_EEES6_PlJS6_EEE10hipError_tPvRmT3_T4_T5_T6_T7_T9_mT8_P12ihipStream_tbDpT10_ENKUlT_T0_E_clISt17integral_constantIbLb0EES1A_IbLb1EEEEDaS16_S17_EUlS16_E_NS1_11comp_targetILNS1_3genE0ELNS1_11target_archE4294967295ELNS1_3gpuE0ELNS1_3repE0EEENS1_30default_config_static_selectorELNS0_4arch9wavefront6targetE0EEEvT1_,"axG",@progbits,_ZN7rocprim17ROCPRIM_400000_NS6detail17trampoline_kernelINS0_14default_configENS1_25partition_config_selectorILNS1_17partition_subalgoE5EdNS0_10empty_typeEbEEZZNS1_14partition_implILS5_5ELb0ES3_mN6thrust23THRUST_200600_302600_NS6detail15normal_iteratorINSA_10device_ptrIdEEEEPS6_NSA_18transform_iteratorINSB_9not_fun_tI7is_trueIdEEESF_NSA_11use_defaultESM_EENS0_5tupleIJSF_S6_EEENSO_IJSG_SG_EEES6_PlJS6_EEE10hipError_tPvRmT3_T4_T5_T6_T7_T9_mT8_P12ihipStream_tbDpT10_ENKUlT_T0_E_clISt17integral_constantIbLb0EES1A_IbLb1EEEEDaS16_S17_EUlS16_E_NS1_11comp_targetILNS1_3genE0ELNS1_11target_archE4294967295ELNS1_3gpuE0ELNS1_3repE0EEENS1_30default_config_static_selectorELNS0_4arch9wavefront6targetE0EEEvT1_,comdat
	.protected	_ZN7rocprim17ROCPRIM_400000_NS6detail17trampoline_kernelINS0_14default_configENS1_25partition_config_selectorILNS1_17partition_subalgoE5EdNS0_10empty_typeEbEEZZNS1_14partition_implILS5_5ELb0ES3_mN6thrust23THRUST_200600_302600_NS6detail15normal_iteratorINSA_10device_ptrIdEEEEPS6_NSA_18transform_iteratorINSB_9not_fun_tI7is_trueIdEEESF_NSA_11use_defaultESM_EENS0_5tupleIJSF_S6_EEENSO_IJSG_SG_EEES6_PlJS6_EEE10hipError_tPvRmT3_T4_T5_T6_T7_T9_mT8_P12ihipStream_tbDpT10_ENKUlT_T0_E_clISt17integral_constantIbLb0EES1A_IbLb1EEEEDaS16_S17_EUlS16_E_NS1_11comp_targetILNS1_3genE0ELNS1_11target_archE4294967295ELNS1_3gpuE0ELNS1_3repE0EEENS1_30default_config_static_selectorELNS0_4arch9wavefront6targetE0EEEvT1_ ; -- Begin function _ZN7rocprim17ROCPRIM_400000_NS6detail17trampoline_kernelINS0_14default_configENS1_25partition_config_selectorILNS1_17partition_subalgoE5EdNS0_10empty_typeEbEEZZNS1_14partition_implILS5_5ELb0ES3_mN6thrust23THRUST_200600_302600_NS6detail15normal_iteratorINSA_10device_ptrIdEEEEPS6_NSA_18transform_iteratorINSB_9not_fun_tI7is_trueIdEEESF_NSA_11use_defaultESM_EENS0_5tupleIJSF_S6_EEENSO_IJSG_SG_EEES6_PlJS6_EEE10hipError_tPvRmT3_T4_T5_T6_T7_T9_mT8_P12ihipStream_tbDpT10_ENKUlT_T0_E_clISt17integral_constantIbLb0EES1A_IbLb1EEEEDaS16_S17_EUlS16_E_NS1_11comp_targetILNS1_3genE0ELNS1_11target_archE4294967295ELNS1_3gpuE0ELNS1_3repE0EEENS1_30default_config_static_selectorELNS0_4arch9wavefront6targetE0EEEvT1_
	.globl	_ZN7rocprim17ROCPRIM_400000_NS6detail17trampoline_kernelINS0_14default_configENS1_25partition_config_selectorILNS1_17partition_subalgoE5EdNS0_10empty_typeEbEEZZNS1_14partition_implILS5_5ELb0ES3_mN6thrust23THRUST_200600_302600_NS6detail15normal_iteratorINSA_10device_ptrIdEEEEPS6_NSA_18transform_iteratorINSB_9not_fun_tI7is_trueIdEEESF_NSA_11use_defaultESM_EENS0_5tupleIJSF_S6_EEENSO_IJSG_SG_EEES6_PlJS6_EEE10hipError_tPvRmT3_T4_T5_T6_T7_T9_mT8_P12ihipStream_tbDpT10_ENKUlT_T0_E_clISt17integral_constantIbLb0EES1A_IbLb1EEEEDaS16_S17_EUlS16_E_NS1_11comp_targetILNS1_3genE0ELNS1_11target_archE4294967295ELNS1_3gpuE0ELNS1_3repE0EEENS1_30default_config_static_selectorELNS0_4arch9wavefront6targetE0EEEvT1_
	.p2align	8
	.type	_ZN7rocprim17ROCPRIM_400000_NS6detail17trampoline_kernelINS0_14default_configENS1_25partition_config_selectorILNS1_17partition_subalgoE5EdNS0_10empty_typeEbEEZZNS1_14partition_implILS5_5ELb0ES3_mN6thrust23THRUST_200600_302600_NS6detail15normal_iteratorINSA_10device_ptrIdEEEEPS6_NSA_18transform_iteratorINSB_9not_fun_tI7is_trueIdEEESF_NSA_11use_defaultESM_EENS0_5tupleIJSF_S6_EEENSO_IJSG_SG_EEES6_PlJS6_EEE10hipError_tPvRmT3_T4_T5_T6_T7_T9_mT8_P12ihipStream_tbDpT10_ENKUlT_T0_E_clISt17integral_constantIbLb0EES1A_IbLb1EEEEDaS16_S17_EUlS16_E_NS1_11comp_targetILNS1_3genE0ELNS1_11target_archE4294967295ELNS1_3gpuE0ELNS1_3repE0EEENS1_30default_config_static_selectorELNS0_4arch9wavefront6targetE0EEEvT1_,@function
_ZN7rocprim17ROCPRIM_400000_NS6detail17trampoline_kernelINS0_14default_configENS1_25partition_config_selectorILNS1_17partition_subalgoE5EdNS0_10empty_typeEbEEZZNS1_14partition_implILS5_5ELb0ES3_mN6thrust23THRUST_200600_302600_NS6detail15normal_iteratorINSA_10device_ptrIdEEEEPS6_NSA_18transform_iteratorINSB_9not_fun_tI7is_trueIdEEESF_NSA_11use_defaultESM_EENS0_5tupleIJSF_S6_EEENSO_IJSG_SG_EEES6_PlJS6_EEE10hipError_tPvRmT3_T4_T5_T6_T7_T9_mT8_P12ihipStream_tbDpT10_ENKUlT_T0_E_clISt17integral_constantIbLb0EES1A_IbLb1EEEEDaS16_S17_EUlS16_E_NS1_11comp_targetILNS1_3genE0ELNS1_11target_archE4294967295ELNS1_3gpuE0ELNS1_3repE0EEENS1_30default_config_static_selectorELNS0_4arch9wavefront6targetE0EEEvT1_: ; @_ZN7rocprim17ROCPRIM_400000_NS6detail17trampoline_kernelINS0_14default_configENS1_25partition_config_selectorILNS1_17partition_subalgoE5EdNS0_10empty_typeEbEEZZNS1_14partition_implILS5_5ELb0ES3_mN6thrust23THRUST_200600_302600_NS6detail15normal_iteratorINSA_10device_ptrIdEEEEPS6_NSA_18transform_iteratorINSB_9not_fun_tI7is_trueIdEEESF_NSA_11use_defaultESM_EENS0_5tupleIJSF_S6_EEENSO_IJSG_SG_EEES6_PlJS6_EEE10hipError_tPvRmT3_T4_T5_T6_T7_T9_mT8_P12ihipStream_tbDpT10_ENKUlT_T0_E_clISt17integral_constantIbLb0EES1A_IbLb1EEEEDaS16_S17_EUlS16_E_NS1_11comp_targetILNS1_3genE0ELNS1_11target_archE4294967295ELNS1_3gpuE0ELNS1_3repE0EEENS1_30default_config_static_selectorELNS0_4arch9wavefront6targetE0EEEvT1_
; %bb.0:
	.section	.rodata,"a",@progbits
	.p2align	6, 0x0
	.amdhsa_kernel _ZN7rocprim17ROCPRIM_400000_NS6detail17trampoline_kernelINS0_14default_configENS1_25partition_config_selectorILNS1_17partition_subalgoE5EdNS0_10empty_typeEbEEZZNS1_14partition_implILS5_5ELb0ES3_mN6thrust23THRUST_200600_302600_NS6detail15normal_iteratorINSA_10device_ptrIdEEEEPS6_NSA_18transform_iteratorINSB_9not_fun_tI7is_trueIdEEESF_NSA_11use_defaultESM_EENS0_5tupleIJSF_S6_EEENSO_IJSG_SG_EEES6_PlJS6_EEE10hipError_tPvRmT3_T4_T5_T6_T7_T9_mT8_P12ihipStream_tbDpT10_ENKUlT_T0_E_clISt17integral_constantIbLb0EES1A_IbLb1EEEEDaS16_S17_EUlS16_E_NS1_11comp_targetILNS1_3genE0ELNS1_11target_archE4294967295ELNS1_3gpuE0ELNS1_3repE0EEENS1_30default_config_static_selectorELNS0_4arch9wavefront6targetE0EEEvT1_
		.amdhsa_group_segment_fixed_size 0
		.amdhsa_private_segment_fixed_size 0
		.amdhsa_kernarg_size 136
		.amdhsa_user_sgpr_count 2
		.amdhsa_user_sgpr_dispatch_ptr 0
		.amdhsa_user_sgpr_queue_ptr 0
		.amdhsa_user_sgpr_kernarg_segment_ptr 1
		.amdhsa_user_sgpr_dispatch_id 0
		.amdhsa_user_sgpr_private_segment_size 0
		.amdhsa_wavefront_size32 1
		.amdhsa_uses_dynamic_stack 0
		.amdhsa_enable_private_segment 0
		.amdhsa_system_sgpr_workgroup_id_x 1
		.amdhsa_system_sgpr_workgroup_id_y 0
		.amdhsa_system_sgpr_workgroup_id_z 0
		.amdhsa_system_sgpr_workgroup_info 0
		.amdhsa_system_vgpr_workitem_id 0
		.amdhsa_next_free_vgpr 1
		.amdhsa_next_free_sgpr 1
		.amdhsa_reserve_vcc 0
		.amdhsa_float_round_mode_32 0
		.amdhsa_float_round_mode_16_64 0
		.amdhsa_float_denorm_mode_32 3
		.amdhsa_float_denorm_mode_16_64 3
		.amdhsa_fp16_overflow 0
		.amdhsa_workgroup_processor_mode 1
		.amdhsa_memory_ordered 1
		.amdhsa_forward_progress 1
		.amdhsa_inst_pref_size 0
		.amdhsa_round_robin_scheduling 0
		.amdhsa_exception_fp_ieee_invalid_op 0
		.amdhsa_exception_fp_denorm_src 0
		.amdhsa_exception_fp_ieee_div_zero 0
		.amdhsa_exception_fp_ieee_overflow 0
		.amdhsa_exception_fp_ieee_underflow 0
		.amdhsa_exception_fp_ieee_inexact 0
		.amdhsa_exception_int_div_zero 0
	.end_amdhsa_kernel
	.section	.text._ZN7rocprim17ROCPRIM_400000_NS6detail17trampoline_kernelINS0_14default_configENS1_25partition_config_selectorILNS1_17partition_subalgoE5EdNS0_10empty_typeEbEEZZNS1_14partition_implILS5_5ELb0ES3_mN6thrust23THRUST_200600_302600_NS6detail15normal_iteratorINSA_10device_ptrIdEEEEPS6_NSA_18transform_iteratorINSB_9not_fun_tI7is_trueIdEEESF_NSA_11use_defaultESM_EENS0_5tupleIJSF_S6_EEENSO_IJSG_SG_EEES6_PlJS6_EEE10hipError_tPvRmT3_T4_T5_T6_T7_T9_mT8_P12ihipStream_tbDpT10_ENKUlT_T0_E_clISt17integral_constantIbLb0EES1A_IbLb1EEEEDaS16_S17_EUlS16_E_NS1_11comp_targetILNS1_3genE0ELNS1_11target_archE4294967295ELNS1_3gpuE0ELNS1_3repE0EEENS1_30default_config_static_selectorELNS0_4arch9wavefront6targetE0EEEvT1_,"axG",@progbits,_ZN7rocprim17ROCPRIM_400000_NS6detail17trampoline_kernelINS0_14default_configENS1_25partition_config_selectorILNS1_17partition_subalgoE5EdNS0_10empty_typeEbEEZZNS1_14partition_implILS5_5ELb0ES3_mN6thrust23THRUST_200600_302600_NS6detail15normal_iteratorINSA_10device_ptrIdEEEEPS6_NSA_18transform_iteratorINSB_9not_fun_tI7is_trueIdEEESF_NSA_11use_defaultESM_EENS0_5tupleIJSF_S6_EEENSO_IJSG_SG_EEES6_PlJS6_EEE10hipError_tPvRmT3_T4_T5_T6_T7_T9_mT8_P12ihipStream_tbDpT10_ENKUlT_T0_E_clISt17integral_constantIbLb0EES1A_IbLb1EEEEDaS16_S17_EUlS16_E_NS1_11comp_targetILNS1_3genE0ELNS1_11target_archE4294967295ELNS1_3gpuE0ELNS1_3repE0EEENS1_30default_config_static_selectorELNS0_4arch9wavefront6targetE0EEEvT1_,comdat
.Lfunc_end1326:
	.size	_ZN7rocprim17ROCPRIM_400000_NS6detail17trampoline_kernelINS0_14default_configENS1_25partition_config_selectorILNS1_17partition_subalgoE5EdNS0_10empty_typeEbEEZZNS1_14partition_implILS5_5ELb0ES3_mN6thrust23THRUST_200600_302600_NS6detail15normal_iteratorINSA_10device_ptrIdEEEEPS6_NSA_18transform_iteratorINSB_9not_fun_tI7is_trueIdEEESF_NSA_11use_defaultESM_EENS0_5tupleIJSF_S6_EEENSO_IJSG_SG_EEES6_PlJS6_EEE10hipError_tPvRmT3_T4_T5_T6_T7_T9_mT8_P12ihipStream_tbDpT10_ENKUlT_T0_E_clISt17integral_constantIbLb0EES1A_IbLb1EEEEDaS16_S17_EUlS16_E_NS1_11comp_targetILNS1_3genE0ELNS1_11target_archE4294967295ELNS1_3gpuE0ELNS1_3repE0EEENS1_30default_config_static_selectorELNS0_4arch9wavefront6targetE0EEEvT1_, .Lfunc_end1326-_ZN7rocprim17ROCPRIM_400000_NS6detail17trampoline_kernelINS0_14default_configENS1_25partition_config_selectorILNS1_17partition_subalgoE5EdNS0_10empty_typeEbEEZZNS1_14partition_implILS5_5ELb0ES3_mN6thrust23THRUST_200600_302600_NS6detail15normal_iteratorINSA_10device_ptrIdEEEEPS6_NSA_18transform_iteratorINSB_9not_fun_tI7is_trueIdEEESF_NSA_11use_defaultESM_EENS0_5tupleIJSF_S6_EEENSO_IJSG_SG_EEES6_PlJS6_EEE10hipError_tPvRmT3_T4_T5_T6_T7_T9_mT8_P12ihipStream_tbDpT10_ENKUlT_T0_E_clISt17integral_constantIbLb0EES1A_IbLb1EEEEDaS16_S17_EUlS16_E_NS1_11comp_targetILNS1_3genE0ELNS1_11target_archE4294967295ELNS1_3gpuE0ELNS1_3repE0EEENS1_30default_config_static_selectorELNS0_4arch9wavefront6targetE0EEEvT1_
                                        ; -- End function
	.set _ZN7rocprim17ROCPRIM_400000_NS6detail17trampoline_kernelINS0_14default_configENS1_25partition_config_selectorILNS1_17partition_subalgoE5EdNS0_10empty_typeEbEEZZNS1_14partition_implILS5_5ELb0ES3_mN6thrust23THRUST_200600_302600_NS6detail15normal_iteratorINSA_10device_ptrIdEEEEPS6_NSA_18transform_iteratorINSB_9not_fun_tI7is_trueIdEEESF_NSA_11use_defaultESM_EENS0_5tupleIJSF_S6_EEENSO_IJSG_SG_EEES6_PlJS6_EEE10hipError_tPvRmT3_T4_T5_T6_T7_T9_mT8_P12ihipStream_tbDpT10_ENKUlT_T0_E_clISt17integral_constantIbLb0EES1A_IbLb1EEEEDaS16_S17_EUlS16_E_NS1_11comp_targetILNS1_3genE0ELNS1_11target_archE4294967295ELNS1_3gpuE0ELNS1_3repE0EEENS1_30default_config_static_selectorELNS0_4arch9wavefront6targetE0EEEvT1_.num_vgpr, 0
	.set _ZN7rocprim17ROCPRIM_400000_NS6detail17trampoline_kernelINS0_14default_configENS1_25partition_config_selectorILNS1_17partition_subalgoE5EdNS0_10empty_typeEbEEZZNS1_14partition_implILS5_5ELb0ES3_mN6thrust23THRUST_200600_302600_NS6detail15normal_iteratorINSA_10device_ptrIdEEEEPS6_NSA_18transform_iteratorINSB_9not_fun_tI7is_trueIdEEESF_NSA_11use_defaultESM_EENS0_5tupleIJSF_S6_EEENSO_IJSG_SG_EEES6_PlJS6_EEE10hipError_tPvRmT3_T4_T5_T6_T7_T9_mT8_P12ihipStream_tbDpT10_ENKUlT_T0_E_clISt17integral_constantIbLb0EES1A_IbLb1EEEEDaS16_S17_EUlS16_E_NS1_11comp_targetILNS1_3genE0ELNS1_11target_archE4294967295ELNS1_3gpuE0ELNS1_3repE0EEENS1_30default_config_static_selectorELNS0_4arch9wavefront6targetE0EEEvT1_.num_agpr, 0
	.set _ZN7rocprim17ROCPRIM_400000_NS6detail17trampoline_kernelINS0_14default_configENS1_25partition_config_selectorILNS1_17partition_subalgoE5EdNS0_10empty_typeEbEEZZNS1_14partition_implILS5_5ELb0ES3_mN6thrust23THRUST_200600_302600_NS6detail15normal_iteratorINSA_10device_ptrIdEEEEPS6_NSA_18transform_iteratorINSB_9not_fun_tI7is_trueIdEEESF_NSA_11use_defaultESM_EENS0_5tupleIJSF_S6_EEENSO_IJSG_SG_EEES6_PlJS6_EEE10hipError_tPvRmT3_T4_T5_T6_T7_T9_mT8_P12ihipStream_tbDpT10_ENKUlT_T0_E_clISt17integral_constantIbLb0EES1A_IbLb1EEEEDaS16_S17_EUlS16_E_NS1_11comp_targetILNS1_3genE0ELNS1_11target_archE4294967295ELNS1_3gpuE0ELNS1_3repE0EEENS1_30default_config_static_selectorELNS0_4arch9wavefront6targetE0EEEvT1_.numbered_sgpr, 0
	.set _ZN7rocprim17ROCPRIM_400000_NS6detail17trampoline_kernelINS0_14default_configENS1_25partition_config_selectorILNS1_17partition_subalgoE5EdNS0_10empty_typeEbEEZZNS1_14partition_implILS5_5ELb0ES3_mN6thrust23THRUST_200600_302600_NS6detail15normal_iteratorINSA_10device_ptrIdEEEEPS6_NSA_18transform_iteratorINSB_9not_fun_tI7is_trueIdEEESF_NSA_11use_defaultESM_EENS0_5tupleIJSF_S6_EEENSO_IJSG_SG_EEES6_PlJS6_EEE10hipError_tPvRmT3_T4_T5_T6_T7_T9_mT8_P12ihipStream_tbDpT10_ENKUlT_T0_E_clISt17integral_constantIbLb0EES1A_IbLb1EEEEDaS16_S17_EUlS16_E_NS1_11comp_targetILNS1_3genE0ELNS1_11target_archE4294967295ELNS1_3gpuE0ELNS1_3repE0EEENS1_30default_config_static_selectorELNS0_4arch9wavefront6targetE0EEEvT1_.num_named_barrier, 0
	.set _ZN7rocprim17ROCPRIM_400000_NS6detail17trampoline_kernelINS0_14default_configENS1_25partition_config_selectorILNS1_17partition_subalgoE5EdNS0_10empty_typeEbEEZZNS1_14partition_implILS5_5ELb0ES3_mN6thrust23THRUST_200600_302600_NS6detail15normal_iteratorINSA_10device_ptrIdEEEEPS6_NSA_18transform_iteratorINSB_9not_fun_tI7is_trueIdEEESF_NSA_11use_defaultESM_EENS0_5tupleIJSF_S6_EEENSO_IJSG_SG_EEES6_PlJS6_EEE10hipError_tPvRmT3_T4_T5_T6_T7_T9_mT8_P12ihipStream_tbDpT10_ENKUlT_T0_E_clISt17integral_constantIbLb0EES1A_IbLb1EEEEDaS16_S17_EUlS16_E_NS1_11comp_targetILNS1_3genE0ELNS1_11target_archE4294967295ELNS1_3gpuE0ELNS1_3repE0EEENS1_30default_config_static_selectorELNS0_4arch9wavefront6targetE0EEEvT1_.private_seg_size, 0
	.set _ZN7rocprim17ROCPRIM_400000_NS6detail17trampoline_kernelINS0_14default_configENS1_25partition_config_selectorILNS1_17partition_subalgoE5EdNS0_10empty_typeEbEEZZNS1_14partition_implILS5_5ELb0ES3_mN6thrust23THRUST_200600_302600_NS6detail15normal_iteratorINSA_10device_ptrIdEEEEPS6_NSA_18transform_iteratorINSB_9not_fun_tI7is_trueIdEEESF_NSA_11use_defaultESM_EENS0_5tupleIJSF_S6_EEENSO_IJSG_SG_EEES6_PlJS6_EEE10hipError_tPvRmT3_T4_T5_T6_T7_T9_mT8_P12ihipStream_tbDpT10_ENKUlT_T0_E_clISt17integral_constantIbLb0EES1A_IbLb1EEEEDaS16_S17_EUlS16_E_NS1_11comp_targetILNS1_3genE0ELNS1_11target_archE4294967295ELNS1_3gpuE0ELNS1_3repE0EEENS1_30default_config_static_selectorELNS0_4arch9wavefront6targetE0EEEvT1_.uses_vcc, 0
	.set _ZN7rocprim17ROCPRIM_400000_NS6detail17trampoline_kernelINS0_14default_configENS1_25partition_config_selectorILNS1_17partition_subalgoE5EdNS0_10empty_typeEbEEZZNS1_14partition_implILS5_5ELb0ES3_mN6thrust23THRUST_200600_302600_NS6detail15normal_iteratorINSA_10device_ptrIdEEEEPS6_NSA_18transform_iteratorINSB_9not_fun_tI7is_trueIdEEESF_NSA_11use_defaultESM_EENS0_5tupleIJSF_S6_EEENSO_IJSG_SG_EEES6_PlJS6_EEE10hipError_tPvRmT3_T4_T5_T6_T7_T9_mT8_P12ihipStream_tbDpT10_ENKUlT_T0_E_clISt17integral_constantIbLb0EES1A_IbLb1EEEEDaS16_S17_EUlS16_E_NS1_11comp_targetILNS1_3genE0ELNS1_11target_archE4294967295ELNS1_3gpuE0ELNS1_3repE0EEENS1_30default_config_static_selectorELNS0_4arch9wavefront6targetE0EEEvT1_.uses_flat_scratch, 0
	.set _ZN7rocprim17ROCPRIM_400000_NS6detail17trampoline_kernelINS0_14default_configENS1_25partition_config_selectorILNS1_17partition_subalgoE5EdNS0_10empty_typeEbEEZZNS1_14partition_implILS5_5ELb0ES3_mN6thrust23THRUST_200600_302600_NS6detail15normal_iteratorINSA_10device_ptrIdEEEEPS6_NSA_18transform_iteratorINSB_9not_fun_tI7is_trueIdEEESF_NSA_11use_defaultESM_EENS0_5tupleIJSF_S6_EEENSO_IJSG_SG_EEES6_PlJS6_EEE10hipError_tPvRmT3_T4_T5_T6_T7_T9_mT8_P12ihipStream_tbDpT10_ENKUlT_T0_E_clISt17integral_constantIbLb0EES1A_IbLb1EEEEDaS16_S17_EUlS16_E_NS1_11comp_targetILNS1_3genE0ELNS1_11target_archE4294967295ELNS1_3gpuE0ELNS1_3repE0EEENS1_30default_config_static_selectorELNS0_4arch9wavefront6targetE0EEEvT1_.has_dyn_sized_stack, 0
	.set _ZN7rocprim17ROCPRIM_400000_NS6detail17trampoline_kernelINS0_14default_configENS1_25partition_config_selectorILNS1_17partition_subalgoE5EdNS0_10empty_typeEbEEZZNS1_14partition_implILS5_5ELb0ES3_mN6thrust23THRUST_200600_302600_NS6detail15normal_iteratorINSA_10device_ptrIdEEEEPS6_NSA_18transform_iteratorINSB_9not_fun_tI7is_trueIdEEESF_NSA_11use_defaultESM_EENS0_5tupleIJSF_S6_EEENSO_IJSG_SG_EEES6_PlJS6_EEE10hipError_tPvRmT3_T4_T5_T6_T7_T9_mT8_P12ihipStream_tbDpT10_ENKUlT_T0_E_clISt17integral_constantIbLb0EES1A_IbLb1EEEEDaS16_S17_EUlS16_E_NS1_11comp_targetILNS1_3genE0ELNS1_11target_archE4294967295ELNS1_3gpuE0ELNS1_3repE0EEENS1_30default_config_static_selectorELNS0_4arch9wavefront6targetE0EEEvT1_.has_recursion, 0
	.set _ZN7rocprim17ROCPRIM_400000_NS6detail17trampoline_kernelINS0_14default_configENS1_25partition_config_selectorILNS1_17partition_subalgoE5EdNS0_10empty_typeEbEEZZNS1_14partition_implILS5_5ELb0ES3_mN6thrust23THRUST_200600_302600_NS6detail15normal_iteratorINSA_10device_ptrIdEEEEPS6_NSA_18transform_iteratorINSB_9not_fun_tI7is_trueIdEEESF_NSA_11use_defaultESM_EENS0_5tupleIJSF_S6_EEENSO_IJSG_SG_EEES6_PlJS6_EEE10hipError_tPvRmT3_T4_T5_T6_T7_T9_mT8_P12ihipStream_tbDpT10_ENKUlT_T0_E_clISt17integral_constantIbLb0EES1A_IbLb1EEEEDaS16_S17_EUlS16_E_NS1_11comp_targetILNS1_3genE0ELNS1_11target_archE4294967295ELNS1_3gpuE0ELNS1_3repE0EEENS1_30default_config_static_selectorELNS0_4arch9wavefront6targetE0EEEvT1_.has_indirect_call, 0
	.section	.AMDGPU.csdata,"",@progbits
; Kernel info:
; codeLenInByte = 0
; TotalNumSgprs: 0
; NumVgprs: 0
; ScratchSize: 0
; MemoryBound: 0
; FloatMode: 240
; IeeeMode: 1
; LDSByteSize: 0 bytes/workgroup (compile time only)
; SGPRBlocks: 0
; VGPRBlocks: 0
; NumSGPRsForWavesPerEU: 1
; NumVGPRsForWavesPerEU: 1
; Occupancy: 16
; WaveLimiterHint : 0
; COMPUTE_PGM_RSRC2:SCRATCH_EN: 0
; COMPUTE_PGM_RSRC2:USER_SGPR: 2
; COMPUTE_PGM_RSRC2:TRAP_HANDLER: 0
; COMPUTE_PGM_RSRC2:TGID_X_EN: 1
; COMPUTE_PGM_RSRC2:TGID_Y_EN: 0
; COMPUTE_PGM_RSRC2:TGID_Z_EN: 0
; COMPUTE_PGM_RSRC2:TIDIG_COMP_CNT: 0
	.section	.text._ZN7rocprim17ROCPRIM_400000_NS6detail17trampoline_kernelINS0_14default_configENS1_25partition_config_selectorILNS1_17partition_subalgoE5EdNS0_10empty_typeEbEEZZNS1_14partition_implILS5_5ELb0ES3_mN6thrust23THRUST_200600_302600_NS6detail15normal_iteratorINSA_10device_ptrIdEEEEPS6_NSA_18transform_iteratorINSB_9not_fun_tI7is_trueIdEEESF_NSA_11use_defaultESM_EENS0_5tupleIJSF_S6_EEENSO_IJSG_SG_EEES6_PlJS6_EEE10hipError_tPvRmT3_T4_T5_T6_T7_T9_mT8_P12ihipStream_tbDpT10_ENKUlT_T0_E_clISt17integral_constantIbLb0EES1A_IbLb1EEEEDaS16_S17_EUlS16_E_NS1_11comp_targetILNS1_3genE5ELNS1_11target_archE942ELNS1_3gpuE9ELNS1_3repE0EEENS1_30default_config_static_selectorELNS0_4arch9wavefront6targetE0EEEvT1_,"axG",@progbits,_ZN7rocprim17ROCPRIM_400000_NS6detail17trampoline_kernelINS0_14default_configENS1_25partition_config_selectorILNS1_17partition_subalgoE5EdNS0_10empty_typeEbEEZZNS1_14partition_implILS5_5ELb0ES3_mN6thrust23THRUST_200600_302600_NS6detail15normal_iteratorINSA_10device_ptrIdEEEEPS6_NSA_18transform_iteratorINSB_9not_fun_tI7is_trueIdEEESF_NSA_11use_defaultESM_EENS0_5tupleIJSF_S6_EEENSO_IJSG_SG_EEES6_PlJS6_EEE10hipError_tPvRmT3_T4_T5_T6_T7_T9_mT8_P12ihipStream_tbDpT10_ENKUlT_T0_E_clISt17integral_constantIbLb0EES1A_IbLb1EEEEDaS16_S17_EUlS16_E_NS1_11comp_targetILNS1_3genE5ELNS1_11target_archE942ELNS1_3gpuE9ELNS1_3repE0EEENS1_30default_config_static_selectorELNS0_4arch9wavefront6targetE0EEEvT1_,comdat
	.protected	_ZN7rocprim17ROCPRIM_400000_NS6detail17trampoline_kernelINS0_14default_configENS1_25partition_config_selectorILNS1_17partition_subalgoE5EdNS0_10empty_typeEbEEZZNS1_14partition_implILS5_5ELb0ES3_mN6thrust23THRUST_200600_302600_NS6detail15normal_iteratorINSA_10device_ptrIdEEEEPS6_NSA_18transform_iteratorINSB_9not_fun_tI7is_trueIdEEESF_NSA_11use_defaultESM_EENS0_5tupleIJSF_S6_EEENSO_IJSG_SG_EEES6_PlJS6_EEE10hipError_tPvRmT3_T4_T5_T6_T7_T9_mT8_P12ihipStream_tbDpT10_ENKUlT_T0_E_clISt17integral_constantIbLb0EES1A_IbLb1EEEEDaS16_S17_EUlS16_E_NS1_11comp_targetILNS1_3genE5ELNS1_11target_archE942ELNS1_3gpuE9ELNS1_3repE0EEENS1_30default_config_static_selectorELNS0_4arch9wavefront6targetE0EEEvT1_ ; -- Begin function _ZN7rocprim17ROCPRIM_400000_NS6detail17trampoline_kernelINS0_14default_configENS1_25partition_config_selectorILNS1_17partition_subalgoE5EdNS0_10empty_typeEbEEZZNS1_14partition_implILS5_5ELb0ES3_mN6thrust23THRUST_200600_302600_NS6detail15normal_iteratorINSA_10device_ptrIdEEEEPS6_NSA_18transform_iteratorINSB_9not_fun_tI7is_trueIdEEESF_NSA_11use_defaultESM_EENS0_5tupleIJSF_S6_EEENSO_IJSG_SG_EEES6_PlJS6_EEE10hipError_tPvRmT3_T4_T5_T6_T7_T9_mT8_P12ihipStream_tbDpT10_ENKUlT_T0_E_clISt17integral_constantIbLb0EES1A_IbLb1EEEEDaS16_S17_EUlS16_E_NS1_11comp_targetILNS1_3genE5ELNS1_11target_archE942ELNS1_3gpuE9ELNS1_3repE0EEENS1_30default_config_static_selectorELNS0_4arch9wavefront6targetE0EEEvT1_
	.globl	_ZN7rocprim17ROCPRIM_400000_NS6detail17trampoline_kernelINS0_14default_configENS1_25partition_config_selectorILNS1_17partition_subalgoE5EdNS0_10empty_typeEbEEZZNS1_14partition_implILS5_5ELb0ES3_mN6thrust23THRUST_200600_302600_NS6detail15normal_iteratorINSA_10device_ptrIdEEEEPS6_NSA_18transform_iteratorINSB_9not_fun_tI7is_trueIdEEESF_NSA_11use_defaultESM_EENS0_5tupleIJSF_S6_EEENSO_IJSG_SG_EEES6_PlJS6_EEE10hipError_tPvRmT3_T4_T5_T6_T7_T9_mT8_P12ihipStream_tbDpT10_ENKUlT_T0_E_clISt17integral_constantIbLb0EES1A_IbLb1EEEEDaS16_S17_EUlS16_E_NS1_11comp_targetILNS1_3genE5ELNS1_11target_archE942ELNS1_3gpuE9ELNS1_3repE0EEENS1_30default_config_static_selectorELNS0_4arch9wavefront6targetE0EEEvT1_
	.p2align	8
	.type	_ZN7rocprim17ROCPRIM_400000_NS6detail17trampoline_kernelINS0_14default_configENS1_25partition_config_selectorILNS1_17partition_subalgoE5EdNS0_10empty_typeEbEEZZNS1_14partition_implILS5_5ELb0ES3_mN6thrust23THRUST_200600_302600_NS6detail15normal_iteratorINSA_10device_ptrIdEEEEPS6_NSA_18transform_iteratorINSB_9not_fun_tI7is_trueIdEEESF_NSA_11use_defaultESM_EENS0_5tupleIJSF_S6_EEENSO_IJSG_SG_EEES6_PlJS6_EEE10hipError_tPvRmT3_T4_T5_T6_T7_T9_mT8_P12ihipStream_tbDpT10_ENKUlT_T0_E_clISt17integral_constantIbLb0EES1A_IbLb1EEEEDaS16_S17_EUlS16_E_NS1_11comp_targetILNS1_3genE5ELNS1_11target_archE942ELNS1_3gpuE9ELNS1_3repE0EEENS1_30default_config_static_selectorELNS0_4arch9wavefront6targetE0EEEvT1_,@function
_ZN7rocprim17ROCPRIM_400000_NS6detail17trampoline_kernelINS0_14default_configENS1_25partition_config_selectorILNS1_17partition_subalgoE5EdNS0_10empty_typeEbEEZZNS1_14partition_implILS5_5ELb0ES3_mN6thrust23THRUST_200600_302600_NS6detail15normal_iteratorINSA_10device_ptrIdEEEEPS6_NSA_18transform_iteratorINSB_9not_fun_tI7is_trueIdEEESF_NSA_11use_defaultESM_EENS0_5tupleIJSF_S6_EEENSO_IJSG_SG_EEES6_PlJS6_EEE10hipError_tPvRmT3_T4_T5_T6_T7_T9_mT8_P12ihipStream_tbDpT10_ENKUlT_T0_E_clISt17integral_constantIbLb0EES1A_IbLb1EEEEDaS16_S17_EUlS16_E_NS1_11comp_targetILNS1_3genE5ELNS1_11target_archE942ELNS1_3gpuE9ELNS1_3repE0EEENS1_30default_config_static_selectorELNS0_4arch9wavefront6targetE0EEEvT1_: ; @_ZN7rocprim17ROCPRIM_400000_NS6detail17trampoline_kernelINS0_14default_configENS1_25partition_config_selectorILNS1_17partition_subalgoE5EdNS0_10empty_typeEbEEZZNS1_14partition_implILS5_5ELb0ES3_mN6thrust23THRUST_200600_302600_NS6detail15normal_iteratorINSA_10device_ptrIdEEEEPS6_NSA_18transform_iteratorINSB_9not_fun_tI7is_trueIdEEESF_NSA_11use_defaultESM_EENS0_5tupleIJSF_S6_EEENSO_IJSG_SG_EEES6_PlJS6_EEE10hipError_tPvRmT3_T4_T5_T6_T7_T9_mT8_P12ihipStream_tbDpT10_ENKUlT_T0_E_clISt17integral_constantIbLb0EES1A_IbLb1EEEEDaS16_S17_EUlS16_E_NS1_11comp_targetILNS1_3genE5ELNS1_11target_archE942ELNS1_3gpuE9ELNS1_3repE0EEENS1_30default_config_static_selectorELNS0_4arch9wavefront6targetE0EEEvT1_
; %bb.0:
	.section	.rodata,"a",@progbits
	.p2align	6, 0x0
	.amdhsa_kernel _ZN7rocprim17ROCPRIM_400000_NS6detail17trampoline_kernelINS0_14default_configENS1_25partition_config_selectorILNS1_17partition_subalgoE5EdNS0_10empty_typeEbEEZZNS1_14partition_implILS5_5ELb0ES3_mN6thrust23THRUST_200600_302600_NS6detail15normal_iteratorINSA_10device_ptrIdEEEEPS6_NSA_18transform_iteratorINSB_9not_fun_tI7is_trueIdEEESF_NSA_11use_defaultESM_EENS0_5tupleIJSF_S6_EEENSO_IJSG_SG_EEES6_PlJS6_EEE10hipError_tPvRmT3_T4_T5_T6_T7_T9_mT8_P12ihipStream_tbDpT10_ENKUlT_T0_E_clISt17integral_constantIbLb0EES1A_IbLb1EEEEDaS16_S17_EUlS16_E_NS1_11comp_targetILNS1_3genE5ELNS1_11target_archE942ELNS1_3gpuE9ELNS1_3repE0EEENS1_30default_config_static_selectorELNS0_4arch9wavefront6targetE0EEEvT1_
		.amdhsa_group_segment_fixed_size 0
		.amdhsa_private_segment_fixed_size 0
		.amdhsa_kernarg_size 136
		.amdhsa_user_sgpr_count 2
		.amdhsa_user_sgpr_dispatch_ptr 0
		.amdhsa_user_sgpr_queue_ptr 0
		.amdhsa_user_sgpr_kernarg_segment_ptr 1
		.amdhsa_user_sgpr_dispatch_id 0
		.amdhsa_user_sgpr_private_segment_size 0
		.amdhsa_wavefront_size32 1
		.amdhsa_uses_dynamic_stack 0
		.amdhsa_enable_private_segment 0
		.amdhsa_system_sgpr_workgroup_id_x 1
		.amdhsa_system_sgpr_workgroup_id_y 0
		.amdhsa_system_sgpr_workgroup_id_z 0
		.amdhsa_system_sgpr_workgroup_info 0
		.amdhsa_system_vgpr_workitem_id 0
		.amdhsa_next_free_vgpr 1
		.amdhsa_next_free_sgpr 1
		.amdhsa_reserve_vcc 0
		.amdhsa_float_round_mode_32 0
		.amdhsa_float_round_mode_16_64 0
		.amdhsa_float_denorm_mode_32 3
		.amdhsa_float_denorm_mode_16_64 3
		.amdhsa_fp16_overflow 0
		.amdhsa_workgroup_processor_mode 1
		.amdhsa_memory_ordered 1
		.amdhsa_forward_progress 1
		.amdhsa_inst_pref_size 0
		.amdhsa_round_robin_scheduling 0
		.amdhsa_exception_fp_ieee_invalid_op 0
		.amdhsa_exception_fp_denorm_src 0
		.amdhsa_exception_fp_ieee_div_zero 0
		.amdhsa_exception_fp_ieee_overflow 0
		.amdhsa_exception_fp_ieee_underflow 0
		.amdhsa_exception_fp_ieee_inexact 0
		.amdhsa_exception_int_div_zero 0
	.end_amdhsa_kernel
	.section	.text._ZN7rocprim17ROCPRIM_400000_NS6detail17trampoline_kernelINS0_14default_configENS1_25partition_config_selectorILNS1_17partition_subalgoE5EdNS0_10empty_typeEbEEZZNS1_14partition_implILS5_5ELb0ES3_mN6thrust23THRUST_200600_302600_NS6detail15normal_iteratorINSA_10device_ptrIdEEEEPS6_NSA_18transform_iteratorINSB_9not_fun_tI7is_trueIdEEESF_NSA_11use_defaultESM_EENS0_5tupleIJSF_S6_EEENSO_IJSG_SG_EEES6_PlJS6_EEE10hipError_tPvRmT3_T4_T5_T6_T7_T9_mT8_P12ihipStream_tbDpT10_ENKUlT_T0_E_clISt17integral_constantIbLb0EES1A_IbLb1EEEEDaS16_S17_EUlS16_E_NS1_11comp_targetILNS1_3genE5ELNS1_11target_archE942ELNS1_3gpuE9ELNS1_3repE0EEENS1_30default_config_static_selectorELNS0_4arch9wavefront6targetE0EEEvT1_,"axG",@progbits,_ZN7rocprim17ROCPRIM_400000_NS6detail17trampoline_kernelINS0_14default_configENS1_25partition_config_selectorILNS1_17partition_subalgoE5EdNS0_10empty_typeEbEEZZNS1_14partition_implILS5_5ELb0ES3_mN6thrust23THRUST_200600_302600_NS6detail15normal_iteratorINSA_10device_ptrIdEEEEPS6_NSA_18transform_iteratorINSB_9not_fun_tI7is_trueIdEEESF_NSA_11use_defaultESM_EENS0_5tupleIJSF_S6_EEENSO_IJSG_SG_EEES6_PlJS6_EEE10hipError_tPvRmT3_T4_T5_T6_T7_T9_mT8_P12ihipStream_tbDpT10_ENKUlT_T0_E_clISt17integral_constantIbLb0EES1A_IbLb1EEEEDaS16_S17_EUlS16_E_NS1_11comp_targetILNS1_3genE5ELNS1_11target_archE942ELNS1_3gpuE9ELNS1_3repE0EEENS1_30default_config_static_selectorELNS0_4arch9wavefront6targetE0EEEvT1_,comdat
.Lfunc_end1327:
	.size	_ZN7rocprim17ROCPRIM_400000_NS6detail17trampoline_kernelINS0_14default_configENS1_25partition_config_selectorILNS1_17partition_subalgoE5EdNS0_10empty_typeEbEEZZNS1_14partition_implILS5_5ELb0ES3_mN6thrust23THRUST_200600_302600_NS6detail15normal_iteratorINSA_10device_ptrIdEEEEPS6_NSA_18transform_iteratorINSB_9not_fun_tI7is_trueIdEEESF_NSA_11use_defaultESM_EENS0_5tupleIJSF_S6_EEENSO_IJSG_SG_EEES6_PlJS6_EEE10hipError_tPvRmT3_T4_T5_T6_T7_T9_mT8_P12ihipStream_tbDpT10_ENKUlT_T0_E_clISt17integral_constantIbLb0EES1A_IbLb1EEEEDaS16_S17_EUlS16_E_NS1_11comp_targetILNS1_3genE5ELNS1_11target_archE942ELNS1_3gpuE9ELNS1_3repE0EEENS1_30default_config_static_selectorELNS0_4arch9wavefront6targetE0EEEvT1_, .Lfunc_end1327-_ZN7rocprim17ROCPRIM_400000_NS6detail17trampoline_kernelINS0_14default_configENS1_25partition_config_selectorILNS1_17partition_subalgoE5EdNS0_10empty_typeEbEEZZNS1_14partition_implILS5_5ELb0ES3_mN6thrust23THRUST_200600_302600_NS6detail15normal_iteratorINSA_10device_ptrIdEEEEPS6_NSA_18transform_iteratorINSB_9not_fun_tI7is_trueIdEEESF_NSA_11use_defaultESM_EENS0_5tupleIJSF_S6_EEENSO_IJSG_SG_EEES6_PlJS6_EEE10hipError_tPvRmT3_T4_T5_T6_T7_T9_mT8_P12ihipStream_tbDpT10_ENKUlT_T0_E_clISt17integral_constantIbLb0EES1A_IbLb1EEEEDaS16_S17_EUlS16_E_NS1_11comp_targetILNS1_3genE5ELNS1_11target_archE942ELNS1_3gpuE9ELNS1_3repE0EEENS1_30default_config_static_selectorELNS0_4arch9wavefront6targetE0EEEvT1_
                                        ; -- End function
	.set _ZN7rocprim17ROCPRIM_400000_NS6detail17trampoline_kernelINS0_14default_configENS1_25partition_config_selectorILNS1_17partition_subalgoE5EdNS0_10empty_typeEbEEZZNS1_14partition_implILS5_5ELb0ES3_mN6thrust23THRUST_200600_302600_NS6detail15normal_iteratorINSA_10device_ptrIdEEEEPS6_NSA_18transform_iteratorINSB_9not_fun_tI7is_trueIdEEESF_NSA_11use_defaultESM_EENS0_5tupleIJSF_S6_EEENSO_IJSG_SG_EEES6_PlJS6_EEE10hipError_tPvRmT3_T4_T5_T6_T7_T9_mT8_P12ihipStream_tbDpT10_ENKUlT_T0_E_clISt17integral_constantIbLb0EES1A_IbLb1EEEEDaS16_S17_EUlS16_E_NS1_11comp_targetILNS1_3genE5ELNS1_11target_archE942ELNS1_3gpuE9ELNS1_3repE0EEENS1_30default_config_static_selectorELNS0_4arch9wavefront6targetE0EEEvT1_.num_vgpr, 0
	.set _ZN7rocprim17ROCPRIM_400000_NS6detail17trampoline_kernelINS0_14default_configENS1_25partition_config_selectorILNS1_17partition_subalgoE5EdNS0_10empty_typeEbEEZZNS1_14partition_implILS5_5ELb0ES3_mN6thrust23THRUST_200600_302600_NS6detail15normal_iteratorINSA_10device_ptrIdEEEEPS6_NSA_18transform_iteratorINSB_9not_fun_tI7is_trueIdEEESF_NSA_11use_defaultESM_EENS0_5tupleIJSF_S6_EEENSO_IJSG_SG_EEES6_PlJS6_EEE10hipError_tPvRmT3_T4_T5_T6_T7_T9_mT8_P12ihipStream_tbDpT10_ENKUlT_T0_E_clISt17integral_constantIbLb0EES1A_IbLb1EEEEDaS16_S17_EUlS16_E_NS1_11comp_targetILNS1_3genE5ELNS1_11target_archE942ELNS1_3gpuE9ELNS1_3repE0EEENS1_30default_config_static_selectorELNS0_4arch9wavefront6targetE0EEEvT1_.num_agpr, 0
	.set _ZN7rocprim17ROCPRIM_400000_NS6detail17trampoline_kernelINS0_14default_configENS1_25partition_config_selectorILNS1_17partition_subalgoE5EdNS0_10empty_typeEbEEZZNS1_14partition_implILS5_5ELb0ES3_mN6thrust23THRUST_200600_302600_NS6detail15normal_iteratorINSA_10device_ptrIdEEEEPS6_NSA_18transform_iteratorINSB_9not_fun_tI7is_trueIdEEESF_NSA_11use_defaultESM_EENS0_5tupleIJSF_S6_EEENSO_IJSG_SG_EEES6_PlJS6_EEE10hipError_tPvRmT3_T4_T5_T6_T7_T9_mT8_P12ihipStream_tbDpT10_ENKUlT_T0_E_clISt17integral_constantIbLb0EES1A_IbLb1EEEEDaS16_S17_EUlS16_E_NS1_11comp_targetILNS1_3genE5ELNS1_11target_archE942ELNS1_3gpuE9ELNS1_3repE0EEENS1_30default_config_static_selectorELNS0_4arch9wavefront6targetE0EEEvT1_.numbered_sgpr, 0
	.set _ZN7rocprim17ROCPRIM_400000_NS6detail17trampoline_kernelINS0_14default_configENS1_25partition_config_selectorILNS1_17partition_subalgoE5EdNS0_10empty_typeEbEEZZNS1_14partition_implILS5_5ELb0ES3_mN6thrust23THRUST_200600_302600_NS6detail15normal_iteratorINSA_10device_ptrIdEEEEPS6_NSA_18transform_iteratorINSB_9not_fun_tI7is_trueIdEEESF_NSA_11use_defaultESM_EENS0_5tupleIJSF_S6_EEENSO_IJSG_SG_EEES6_PlJS6_EEE10hipError_tPvRmT3_T4_T5_T6_T7_T9_mT8_P12ihipStream_tbDpT10_ENKUlT_T0_E_clISt17integral_constantIbLb0EES1A_IbLb1EEEEDaS16_S17_EUlS16_E_NS1_11comp_targetILNS1_3genE5ELNS1_11target_archE942ELNS1_3gpuE9ELNS1_3repE0EEENS1_30default_config_static_selectorELNS0_4arch9wavefront6targetE0EEEvT1_.num_named_barrier, 0
	.set _ZN7rocprim17ROCPRIM_400000_NS6detail17trampoline_kernelINS0_14default_configENS1_25partition_config_selectorILNS1_17partition_subalgoE5EdNS0_10empty_typeEbEEZZNS1_14partition_implILS5_5ELb0ES3_mN6thrust23THRUST_200600_302600_NS6detail15normal_iteratorINSA_10device_ptrIdEEEEPS6_NSA_18transform_iteratorINSB_9not_fun_tI7is_trueIdEEESF_NSA_11use_defaultESM_EENS0_5tupleIJSF_S6_EEENSO_IJSG_SG_EEES6_PlJS6_EEE10hipError_tPvRmT3_T4_T5_T6_T7_T9_mT8_P12ihipStream_tbDpT10_ENKUlT_T0_E_clISt17integral_constantIbLb0EES1A_IbLb1EEEEDaS16_S17_EUlS16_E_NS1_11comp_targetILNS1_3genE5ELNS1_11target_archE942ELNS1_3gpuE9ELNS1_3repE0EEENS1_30default_config_static_selectorELNS0_4arch9wavefront6targetE0EEEvT1_.private_seg_size, 0
	.set _ZN7rocprim17ROCPRIM_400000_NS6detail17trampoline_kernelINS0_14default_configENS1_25partition_config_selectorILNS1_17partition_subalgoE5EdNS0_10empty_typeEbEEZZNS1_14partition_implILS5_5ELb0ES3_mN6thrust23THRUST_200600_302600_NS6detail15normal_iteratorINSA_10device_ptrIdEEEEPS6_NSA_18transform_iteratorINSB_9not_fun_tI7is_trueIdEEESF_NSA_11use_defaultESM_EENS0_5tupleIJSF_S6_EEENSO_IJSG_SG_EEES6_PlJS6_EEE10hipError_tPvRmT3_T4_T5_T6_T7_T9_mT8_P12ihipStream_tbDpT10_ENKUlT_T0_E_clISt17integral_constantIbLb0EES1A_IbLb1EEEEDaS16_S17_EUlS16_E_NS1_11comp_targetILNS1_3genE5ELNS1_11target_archE942ELNS1_3gpuE9ELNS1_3repE0EEENS1_30default_config_static_selectorELNS0_4arch9wavefront6targetE0EEEvT1_.uses_vcc, 0
	.set _ZN7rocprim17ROCPRIM_400000_NS6detail17trampoline_kernelINS0_14default_configENS1_25partition_config_selectorILNS1_17partition_subalgoE5EdNS0_10empty_typeEbEEZZNS1_14partition_implILS5_5ELb0ES3_mN6thrust23THRUST_200600_302600_NS6detail15normal_iteratorINSA_10device_ptrIdEEEEPS6_NSA_18transform_iteratorINSB_9not_fun_tI7is_trueIdEEESF_NSA_11use_defaultESM_EENS0_5tupleIJSF_S6_EEENSO_IJSG_SG_EEES6_PlJS6_EEE10hipError_tPvRmT3_T4_T5_T6_T7_T9_mT8_P12ihipStream_tbDpT10_ENKUlT_T0_E_clISt17integral_constantIbLb0EES1A_IbLb1EEEEDaS16_S17_EUlS16_E_NS1_11comp_targetILNS1_3genE5ELNS1_11target_archE942ELNS1_3gpuE9ELNS1_3repE0EEENS1_30default_config_static_selectorELNS0_4arch9wavefront6targetE0EEEvT1_.uses_flat_scratch, 0
	.set _ZN7rocprim17ROCPRIM_400000_NS6detail17trampoline_kernelINS0_14default_configENS1_25partition_config_selectorILNS1_17partition_subalgoE5EdNS0_10empty_typeEbEEZZNS1_14partition_implILS5_5ELb0ES3_mN6thrust23THRUST_200600_302600_NS6detail15normal_iteratorINSA_10device_ptrIdEEEEPS6_NSA_18transform_iteratorINSB_9not_fun_tI7is_trueIdEEESF_NSA_11use_defaultESM_EENS0_5tupleIJSF_S6_EEENSO_IJSG_SG_EEES6_PlJS6_EEE10hipError_tPvRmT3_T4_T5_T6_T7_T9_mT8_P12ihipStream_tbDpT10_ENKUlT_T0_E_clISt17integral_constantIbLb0EES1A_IbLb1EEEEDaS16_S17_EUlS16_E_NS1_11comp_targetILNS1_3genE5ELNS1_11target_archE942ELNS1_3gpuE9ELNS1_3repE0EEENS1_30default_config_static_selectorELNS0_4arch9wavefront6targetE0EEEvT1_.has_dyn_sized_stack, 0
	.set _ZN7rocprim17ROCPRIM_400000_NS6detail17trampoline_kernelINS0_14default_configENS1_25partition_config_selectorILNS1_17partition_subalgoE5EdNS0_10empty_typeEbEEZZNS1_14partition_implILS5_5ELb0ES3_mN6thrust23THRUST_200600_302600_NS6detail15normal_iteratorINSA_10device_ptrIdEEEEPS6_NSA_18transform_iteratorINSB_9not_fun_tI7is_trueIdEEESF_NSA_11use_defaultESM_EENS0_5tupleIJSF_S6_EEENSO_IJSG_SG_EEES6_PlJS6_EEE10hipError_tPvRmT3_T4_T5_T6_T7_T9_mT8_P12ihipStream_tbDpT10_ENKUlT_T0_E_clISt17integral_constantIbLb0EES1A_IbLb1EEEEDaS16_S17_EUlS16_E_NS1_11comp_targetILNS1_3genE5ELNS1_11target_archE942ELNS1_3gpuE9ELNS1_3repE0EEENS1_30default_config_static_selectorELNS0_4arch9wavefront6targetE0EEEvT1_.has_recursion, 0
	.set _ZN7rocprim17ROCPRIM_400000_NS6detail17trampoline_kernelINS0_14default_configENS1_25partition_config_selectorILNS1_17partition_subalgoE5EdNS0_10empty_typeEbEEZZNS1_14partition_implILS5_5ELb0ES3_mN6thrust23THRUST_200600_302600_NS6detail15normal_iteratorINSA_10device_ptrIdEEEEPS6_NSA_18transform_iteratorINSB_9not_fun_tI7is_trueIdEEESF_NSA_11use_defaultESM_EENS0_5tupleIJSF_S6_EEENSO_IJSG_SG_EEES6_PlJS6_EEE10hipError_tPvRmT3_T4_T5_T6_T7_T9_mT8_P12ihipStream_tbDpT10_ENKUlT_T0_E_clISt17integral_constantIbLb0EES1A_IbLb1EEEEDaS16_S17_EUlS16_E_NS1_11comp_targetILNS1_3genE5ELNS1_11target_archE942ELNS1_3gpuE9ELNS1_3repE0EEENS1_30default_config_static_selectorELNS0_4arch9wavefront6targetE0EEEvT1_.has_indirect_call, 0
	.section	.AMDGPU.csdata,"",@progbits
; Kernel info:
; codeLenInByte = 0
; TotalNumSgprs: 0
; NumVgprs: 0
; ScratchSize: 0
; MemoryBound: 0
; FloatMode: 240
; IeeeMode: 1
; LDSByteSize: 0 bytes/workgroup (compile time only)
; SGPRBlocks: 0
; VGPRBlocks: 0
; NumSGPRsForWavesPerEU: 1
; NumVGPRsForWavesPerEU: 1
; Occupancy: 16
; WaveLimiterHint : 0
; COMPUTE_PGM_RSRC2:SCRATCH_EN: 0
; COMPUTE_PGM_RSRC2:USER_SGPR: 2
; COMPUTE_PGM_RSRC2:TRAP_HANDLER: 0
; COMPUTE_PGM_RSRC2:TGID_X_EN: 1
; COMPUTE_PGM_RSRC2:TGID_Y_EN: 0
; COMPUTE_PGM_RSRC2:TGID_Z_EN: 0
; COMPUTE_PGM_RSRC2:TIDIG_COMP_CNT: 0
	.section	.text._ZN7rocprim17ROCPRIM_400000_NS6detail17trampoline_kernelINS0_14default_configENS1_25partition_config_selectorILNS1_17partition_subalgoE5EdNS0_10empty_typeEbEEZZNS1_14partition_implILS5_5ELb0ES3_mN6thrust23THRUST_200600_302600_NS6detail15normal_iteratorINSA_10device_ptrIdEEEEPS6_NSA_18transform_iteratorINSB_9not_fun_tI7is_trueIdEEESF_NSA_11use_defaultESM_EENS0_5tupleIJSF_S6_EEENSO_IJSG_SG_EEES6_PlJS6_EEE10hipError_tPvRmT3_T4_T5_T6_T7_T9_mT8_P12ihipStream_tbDpT10_ENKUlT_T0_E_clISt17integral_constantIbLb0EES1A_IbLb1EEEEDaS16_S17_EUlS16_E_NS1_11comp_targetILNS1_3genE4ELNS1_11target_archE910ELNS1_3gpuE8ELNS1_3repE0EEENS1_30default_config_static_selectorELNS0_4arch9wavefront6targetE0EEEvT1_,"axG",@progbits,_ZN7rocprim17ROCPRIM_400000_NS6detail17trampoline_kernelINS0_14default_configENS1_25partition_config_selectorILNS1_17partition_subalgoE5EdNS0_10empty_typeEbEEZZNS1_14partition_implILS5_5ELb0ES3_mN6thrust23THRUST_200600_302600_NS6detail15normal_iteratorINSA_10device_ptrIdEEEEPS6_NSA_18transform_iteratorINSB_9not_fun_tI7is_trueIdEEESF_NSA_11use_defaultESM_EENS0_5tupleIJSF_S6_EEENSO_IJSG_SG_EEES6_PlJS6_EEE10hipError_tPvRmT3_T4_T5_T6_T7_T9_mT8_P12ihipStream_tbDpT10_ENKUlT_T0_E_clISt17integral_constantIbLb0EES1A_IbLb1EEEEDaS16_S17_EUlS16_E_NS1_11comp_targetILNS1_3genE4ELNS1_11target_archE910ELNS1_3gpuE8ELNS1_3repE0EEENS1_30default_config_static_selectorELNS0_4arch9wavefront6targetE0EEEvT1_,comdat
	.protected	_ZN7rocprim17ROCPRIM_400000_NS6detail17trampoline_kernelINS0_14default_configENS1_25partition_config_selectorILNS1_17partition_subalgoE5EdNS0_10empty_typeEbEEZZNS1_14partition_implILS5_5ELb0ES3_mN6thrust23THRUST_200600_302600_NS6detail15normal_iteratorINSA_10device_ptrIdEEEEPS6_NSA_18transform_iteratorINSB_9not_fun_tI7is_trueIdEEESF_NSA_11use_defaultESM_EENS0_5tupleIJSF_S6_EEENSO_IJSG_SG_EEES6_PlJS6_EEE10hipError_tPvRmT3_T4_T5_T6_T7_T9_mT8_P12ihipStream_tbDpT10_ENKUlT_T0_E_clISt17integral_constantIbLb0EES1A_IbLb1EEEEDaS16_S17_EUlS16_E_NS1_11comp_targetILNS1_3genE4ELNS1_11target_archE910ELNS1_3gpuE8ELNS1_3repE0EEENS1_30default_config_static_selectorELNS0_4arch9wavefront6targetE0EEEvT1_ ; -- Begin function _ZN7rocprim17ROCPRIM_400000_NS6detail17trampoline_kernelINS0_14default_configENS1_25partition_config_selectorILNS1_17partition_subalgoE5EdNS0_10empty_typeEbEEZZNS1_14partition_implILS5_5ELb0ES3_mN6thrust23THRUST_200600_302600_NS6detail15normal_iteratorINSA_10device_ptrIdEEEEPS6_NSA_18transform_iteratorINSB_9not_fun_tI7is_trueIdEEESF_NSA_11use_defaultESM_EENS0_5tupleIJSF_S6_EEENSO_IJSG_SG_EEES6_PlJS6_EEE10hipError_tPvRmT3_T4_T5_T6_T7_T9_mT8_P12ihipStream_tbDpT10_ENKUlT_T0_E_clISt17integral_constantIbLb0EES1A_IbLb1EEEEDaS16_S17_EUlS16_E_NS1_11comp_targetILNS1_3genE4ELNS1_11target_archE910ELNS1_3gpuE8ELNS1_3repE0EEENS1_30default_config_static_selectorELNS0_4arch9wavefront6targetE0EEEvT1_
	.globl	_ZN7rocprim17ROCPRIM_400000_NS6detail17trampoline_kernelINS0_14default_configENS1_25partition_config_selectorILNS1_17partition_subalgoE5EdNS0_10empty_typeEbEEZZNS1_14partition_implILS5_5ELb0ES3_mN6thrust23THRUST_200600_302600_NS6detail15normal_iteratorINSA_10device_ptrIdEEEEPS6_NSA_18transform_iteratorINSB_9not_fun_tI7is_trueIdEEESF_NSA_11use_defaultESM_EENS0_5tupleIJSF_S6_EEENSO_IJSG_SG_EEES6_PlJS6_EEE10hipError_tPvRmT3_T4_T5_T6_T7_T9_mT8_P12ihipStream_tbDpT10_ENKUlT_T0_E_clISt17integral_constantIbLb0EES1A_IbLb1EEEEDaS16_S17_EUlS16_E_NS1_11comp_targetILNS1_3genE4ELNS1_11target_archE910ELNS1_3gpuE8ELNS1_3repE0EEENS1_30default_config_static_selectorELNS0_4arch9wavefront6targetE0EEEvT1_
	.p2align	8
	.type	_ZN7rocprim17ROCPRIM_400000_NS6detail17trampoline_kernelINS0_14default_configENS1_25partition_config_selectorILNS1_17partition_subalgoE5EdNS0_10empty_typeEbEEZZNS1_14partition_implILS5_5ELb0ES3_mN6thrust23THRUST_200600_302600_NS6detail15normal_iteratorINSA_10device_ptrIdEEEEPS6_NSA_18transform_iteratorINSB_9not_fun_tI7is_trueIdEEESF_NSA_11use_defaultESM_EENS0_5tupleIJSF_S6_EEENSO_IJSG_SG_EEES6_PlJS6_EEE10hipError_tPvRmT3_T4_T5_T6_T7_T9_mT8_P12ihipStream_tbDpT10_ENKUlT_T0_E_clISt17integral_constantIbLb0EES1A_IbLb1EEEEDaS16_S17_EUlS16_E_NS1_11comp_targetILNS1_3genE4ELNS1_11target_archE910ELNS1_3gpuE8ELNS1_3repE0EEENS1_30default_config_static_selectorELNS0_4arch9wavefront6targetE0EEEvT1_,@function
_ZN7rocprim17ROCPRIM_400000_NS6detail17trampoline_kernelINS0_14default_configENS1_25partition_config_selectorILNS1_17partition_subalgoE5EdNS0_10empty_typeEbEEZZNS1_14partition_implILS5_5ELb0ES3_mN6thrust23THRUST_200600_302600_NS6detail15normal_iteratorINSA_10device_ptrIdEEEEPS6_NSA_18transform_iteratorINSB_9not_fun_tI7is_trueIdEEESF_NSA_11use_defaultESM_EENS0_5tupleIJSF_S6_EEENSO_IJSG_SG_EEES6_PlJS6_EEE10hipError_tPvRmT3_T4_T5_T6_T7_T9_mT8_P12ihipStream_tbDpT10_ENKUlT_T0_E_clISt17integral_constantIbLb0EES1A_IbLb1EEEEDaS16_S17_EUlS16_E_NS1_11comp_targetILNS1_3genE4ELNS1_11target_archE910ELNS1_3gpuE8ELNS1_3repE0EEENS1_30default_config_static_selectorELNS0_4arch9wavefront6targetE0EEEvT1_: ; @_ZN7rocprim17ROCPRIM_400000_NS6detail17trampoline_kernelINS0_14default_configENS1_25partition_config_selectorILNS1_17partition_subalgoE5EdNS0_10empty_typeEbEEZZNS1_14partition_implILS5_5ELb0ES3_mN6thrust23THRUST_200600_302600_NS6detail15normal_iteratorINSA_10device_ptrIdEEEEPS6_NSA_18transform_iteratorINSB_9not_fun_tI7is_trueIdEEESF_NSA_11use_defaultESM_EENS0_5tupleIJSF_S6_EEENSO_IJSG_SG_EEES6_PlJS6_EEE10hipError_tPvRmT3_T4_T5_T6_T7_T9_mT8_P12ihipStream_tbDpT10_ENKUlT_T0_E_clISt17integral_constantIbLb0EES1A_IbLb1EEEEDaS16_S17_EUlS16_E_NS1_11comp_targetILNS1_3genE4ELNS1_11target_archE910ELNS1_3gpuE8ELNS1_3repE0EEENS1_30default_config_static_selectorELNS0_4arch9wavefront6targetE0EEEvT1_
; %bb.0:
	.section	.rodata,"a",@progbits
	.p2align	6, 0x0
	.amdhsa_kernel _ZN7rocprim17ROCPRIM_400000_NS6detail17trampoline_kernelINS0_14default_configENS1_25partition_config_selectorILNS1_17partition_subalgoE5EdNS0_10empty_typeEbEEZZNS1_14partition_implILS5_5ELb0ES3_mN6thrust23THRUST_200600_302600_NS6detail15normal_iteratorINSA_10device_ptrIdEEEEPS6_NSA_18transform_iteratorINSB_9not_fun_tI7is_trueIdEEESF_NSA_11use_defaultESM_EENS0_5tupleIJSF_S6_EEENSO_IJSG_SG_EEES6_PlJS6_EEE10hipError_tPvRmT3_T4_T5_T6_T7_T9_mT8_P12ihipStream_tbDpT10_ENKUlT_T0_E_clISt17integral_constantIbLb0EES1A_IbLb1EEEEDaS16_S17_EUlS16_E_NS1_11comp_targetILNS1_3genE4ELNS1_11target_archE910ELNS1_3gpuE8ELNS1_3repE0EEENS1_30default_config_static_selectorELNS0_4arch9wavefront6targetE0EEEvT1_
		.amdhsa_group_segment_fixed_size 0
		.amdhsa_private_segment_fixed_size 0
		.amdhsa_kernarg_size 136
		.amdhsa_user_sgpr_count 2
		.amdhsa_user_sgpr_dispatch_ptr 0
		.amdhsa_user_sgpr_queue_ptr 0
		.amdhsa_user_sgpr_kernarg_segment_ptr 1
		.amdhsa_user_sgpr_dispatch_id 0
		.amdhsa_user_sgpr_private_segment_size 0
		.amdhsa_wavefront_size32 1
		.amdhsa_uses_dynamic_stack 0
		.amdhsa_enable_private_segment 0
		.amdhsa_system_sgpr_workgroup_id_x 1
		.amdhsa_system_sgpr_workgroup_id_y 0
		.amdhsa_system_sgpr_workgroup_id_z 0
		.amdhsa_system_sgpr_workgroup_info 0
		.amdhsa_system_vgpr_workitem_id 0
		.amdhsa_next_free_vgpr 1
		.amdhsa_next_free_sgpr 1
		.amdhsa_reserve_vcc 0
		.amdhsa_float_round_mode_32 0
		.amdhsa_float_round_mode_16_64 0
		.amdhsa_float_denorm_mode_32 3
		.amdhsa_float_denorm_mode_16_64 3
		.amdhsa_fp16_overflow 0
		.amdhsa_workgroup_processor_mode 1
		.amdhsa_memory_ordered 1
		.amdhsa_forward_progress 1
		.amdhsa_inst_pref_size 0
		.amdhsa_round_robin_scheduling 0
		.amdhsa_exception_fp_ieee_invalid_op 0
		.amdhsa_exception_fp_denorm_src 0
		.amdhsa_exception_fp_ieee_div_zero 0
		.amdhsa_exception_fp_ieee_overflow 0
		.amdhsa_exception_fp_ieee_underflow 0
		.amdhsa_exception_fp_ieee_inexact 0
		.amdhsa_exception_int_div_zero 0
	.end_amdhsa_kernel
	.section	.text._ZN7rocprim17ROCPRIM_400000_NS6detail17trampoline_kernelINS0_14default_configENS1_25partition_config_selectorILNS1_17partition_subalgoE5EdNS0_10empty_typeEbEEZZNS1_14partition_implILS5_5ELb0ES3_mN6thrust23THRUST_200600_302600_NS6detail15normal_iteratorINSA_10device_ptrIdEEEEPS6_NSA_18transform_iteratorINSB_9not_fun_tI7is_trueIdEEESF_NSA_11use_defaultESM_EENS0_5tupleIJSF_S6_EEENSO_IJSG_SG_EEES6_PlJS6_EEE10hipError_tPvRmT3_T4_T5_T6_T7_T9_mT8_P12ihipStream_tbDpT10_ENKUlT_T0_E_clISt17integral_constantIbLb0EES1A_IbLb1EEEEDaS16_S17_EUlS16_E_NS1_11comp_targetILNS1_3genE4ELNS1_11target_archE910ELNS1_3gpuE8ELNS1_3repE0EEENS1_30default_config_static_selectorELNS0_4arch9wavefront6targetE0EEEvT1_,"axG",@progbits,_ZN7rocprim17ROCPRIM_400000_NS6detail17trampoline_kernelINS0_14default_configENS1_25partition_config_selectorILNS1_17partition_subalgoE5EdNS0_10empty_typeEbEEZZNS1_14partition_implILS5_5ELb0ES3_mN6thrust23THRUST_200600_302600_NS6detail15normal_iteratorINSA_10device_ptrIdEEEEPS6_NSA_18transform_iteratorINSB_9not_fun_tI7is_trueIdEEESF_NSA_11use_defaultESM_EENS0_5tupleIJSF_S6_EEENSO_IJSG_SG_EEES6_PlJS6_EEE10hipError_tPvRmT3_T4_T5_T6_T7_T9_mT8_P12ihipStream_tbDpT10_ENKUlT_T0_E_clISt17integral_constantIbLb0EES1A_IbLb1EEEEDaS16_S17_EUlS16_E_NS1_11comp_targetILNS1_3genE4ELNS1_11target_archE910ELNS1_3gpuE8ELNS1_3repE0EEENS1_30default_config_static_selectorELNS0_4arch9wavefront6targetE0EEEvT1_,comdat
.Lfunc_end1328:
	.size	_ZN7rocprim17ROCPRIM_400000_NS6detail17trampoline_kernelINS0_14default_configENS1_25partition_config_selectorILNS1_17partition_subalgoE5EdNS0_10empty_typeEbEEZZNS1_14partition_implILS5_5ELb0ES3_mN6thrust23THRUST_200600_302600_NS6detail15normal_iteratorINSA_10device_ptrIdEEEEPS6_NSA_18transform_iteratorINSB_9not_fun_tI7is_trueIdEEESF_NSA_11use_defaultESM_EENS0_5tupleIJSF_S6_EEENSO_IJSG_SG_EEES6_PlJS6_EEE10hipError_tPvRmT3_T4_T5_T6_T7_T9_mT8_P12ihipStream_tbDpT10_ENKUlT_T0_E_clISt17integral_constantIbLb0EES1A_IbLb1EEEEDaS16_S17_EUlS16_E_NS1_11comp_targetILNS1_3genE4ELNS1_11target_archE910ELNS1_3gpuE8ELNS1_3repE0EEENS1_30default_config_static_selectorELNS0_4arch9wavefront6targetE0EEEvT1_, .Lfunc_end1328-_ZN7rocprim17ROCPRIM_400000_NS6detail17trampoline_kernelINS0_14default_configENS1_25partition_config_selectorILNS1_17partition_subalgoE5EdNS0_10empty_typeEbEEZZNS1_14partition_implILS5_5ELb0ES3_mN6thrust23THRUST_200600_302600_NS6detail15normal_iteratorINSA_10device_ptrIdEEEEPS6_NSA_18transform_iteratorINSB_9not_fun_tI7is_trueIdEEESF_NSA_11use_defaultESM_EENS0_5tupleIJSF_S6_EEENSO_IJSG_SG_EEES6_PlJS6_EEE10hipError_tPvRmT3_T4_T5_T6_T7_T9_mT8_P12ihipStream_tbDpT10_ENKUlT_T0_E_clISt17integral_constantIbLb0EES1A_IbLb1EEEEDaS16_S17_EUlS16_E_NS1_11comp_targetILNS1_3genE4ELNS1_11target_archE910ELNS1_3gpuE8ELNS1_3repE0EEENS1_30default_config_static_selectorELNS0_4arch9wavefront6targetE0EEEvT1_
                                        ; -- End function
	.set _ZN7rocprim17ROCPRIM_400000_NS6detail17trampoline_kernelINS0_14default_configENS1_25partition_config_selectorILNS1_17partition_subalgoE5EdNS0_10empty_typeEbEEZZNS1_14partition_implILS5_5ELb0ES3_mN6thrust23THRUST_200600_302600_NS6detail15normal_iteratorINSA_10device_ptrIdEEEEPS6_NSA_18transform_iteratorINSB_9not_fun_tI7is_trueIdEEESF_NSA_11use_defaultESM_EENS0_5tupleIJSF_S6_EEENSO_IJSG_SG_EEES6_PlJS6_EEE10hipError_tPvRmT3_T4_T5_T6_T7_T9_mT8_P12ihipStream_tbDpT10_ENKUlT_T0_E_clISt17integral_constantIbLb0EES1A_IbLb1EEEEDaS16_S17_EUlS16_E_NS1_11comp_targetILNS1_3genE4ELNS1_11target_archE910ELNS1_3gpuE8ELNS1_3repE0EEENS1_30default_config_static_selectorELNS0_4arch9wavefront6targetE0EEEvT1_.num_vgpr, 0
	.set _ZN7rocprim17ROCPRIM_400000_NS6detail17trampoline_kernelINS0_14default_configENS1_25partition_config_selectorILNS1_17partition_subalgoE5EdNS0_10empty_typeEbEEZZNS1_14partition_implILS5_5ELb0ES3_mN6thrust23THRUST_200600_302600_NS6detail15normal_iteratorINSA_10device_ptrIdEEEEPS6_NSA_18transform_iteratorINSB_9not_fun_tI7is_trueIdEEESF_NSA_11use_defaultESM_EENS0_5tupleIJSF_S6_EEENSO_IJSG_SG_EEES6_PlJS6_EEE10hipError_tPvRmT3_T4_T5_T6_T7_T9_mT8_P12ihipStream_tbDpT10_ENKUlT_T0_E_clISt17integral_constantIbLb0EES1A_IbLb1EEEEDaS16_S17_EUlS16_E_NS1_11comp_targetILNS1_3genE4ELNS1_11target_archE910ELNS1_3gpuE8ELNS1_3repE0EEENS1_30default_config_static_selectorELNS0_4arch9wavefront6targetE0EEEvT1_.num_agpr, 0
	.set _ZN7rocprim17ROCPRIM_400000_NS6detail17trampoline_kernelINS0_14default_configENS1_25partition_config_selectorILNS1_17partition_subalgoE5EdNS0_10empty_typeEbEEZZNS1_14partition_implILS5_5ELb0ES3_mN6thrust23THRUST_200600_302600_NS6detail15normal_iteratorINSA_10device_ptrIdEEEEPS6_NSA_18transform_iteratorINSB_9not_fun_tI7is_trueIdEEESF_NSA_11use_defaultESM_EENS0_5tupleIJSF_S6_EEENSO_IJSG_SG_EEES6_PlJS6_EEE10hipError_tPvRmT3_T4_T5_T6_T7_T9_mT8_P12ihipStream_tbDpT10_ENKUlT_T0_E_clISt17integral_constantIbLb0EES1A_IbLb1EEEEDaS16_S17_EUlS16_E_NS1_11comp_targetILNS1_3genE4ELNS1_11target_archE910ELNS1_3gpuE8ELNS1_3repE0EEENS1_30default_config_static_selectorELNS0_4arch9wavefront6targetE0EEEvT1_.numbered_sgpr, 0
	.set _ZN7rocprim17ROCPRIM_400000_NS6detail17trampoline_kernelINS0_14default_configENS1_25partition_config_selectorILNS1_17partition_subalgoE5EdNS0_10empty_typeEbEEZZNS1_14partition_implILS5_5ELb0ES3_mN6thrust23THRUST_200600_302600_NS6detail15normal_iteratorINSA_10device_ptrIdEEEEPS6_NSA_18transform_iteratorINSB_9not_fun_tI7is_trueIdEEESF_NSA_11use_defaultESM_EENS0_5tupleIJSF_S6_EEENSO_IJSG_SG_EEES6_PlJS6_EEE10hipError_tPvRmT3_T4_T5_T6_T7_T9_mT8_P12ihipStream_tbDpT10_ENKUlT_T0_E_clISt17integral_constantIbLb0EES1A_IbLb1EEEEDaS16_S17_EUlS16_E_NS1_11comp_targetILNS1_3genE4ELNS1_11target_archE910ELNS1_3gpuE8ELNS1_3repE0EEENS1_30default_config_static_selectorELNS0_4arch9wavefront6targetE0EEEvT1_.num_named_barrier, 0
	.set _ZN7rocprim17ROCPRIM_400000_NS6detail17trampoline_kernelINS0_14default_configENS1_25partition_config_selectorILNS1_17partition_subalgoE5EdNS0_10empty_typeEbEEZZNS1_14partition_implILS5_5ELb0ES3_mN6thrust23THRUST_200600_302600_NS6detail15normal_iteratorINSA_10device_ptrIdEEEEPS6_NSA_18transform_iteratorINSB_9not_fun_tI7is_trueIdEEESF_NSA_11use_defaultESM_EENS0_5tupleIJSF_S6_EEENSO_IJSG_SG_EEES6_PlJS6_EEE10hipError_tPvRmT3_T4_T5_T6_T7_T9_mT8_P12ihipStream_tbDpT10_ENKUlT_T0_E_clISt17integral_constantIbLb0EES1A_IbLb1EEEEDaS16_S17_EUlS16_E_NS1_11comp_targetILNS1_3genE4ELNS1_11target_archE910ELNS1_3gpuE8ELNS1_3repE0EEENS1_30default_config_static_selectorELNS0_4arch9wavefront6targetE0EEEvT1_.private_seg_size, 0
	.set _ZN7rocprim17ROCPRIM_400000_NS6detail17trampoline_kernelINS0_14default_configENS1_25partition_config_selectorILNS1_17partition_subalgoE5EdNS0_10empty_typeEbEEZZNS1_14partition_implILS5_5ELb0ES3_mN6thrust23THRUST_200600_302600_NS6detail15normal_iteratorINSA_10device_ptrIdEEEEPS6_NSA_18transform_iteratorINSB_9not_fun_tI7is_trueIdEEESF_NSA_11use_defaultESM_EENS0_5tupleIJSF_S6_EEENSO_IJSG_SG_EEES6_PlJS6_EEE10hipError_tPvRmT3_T4_T5_T6_T7_T9_mT8_P12ihipStream_tbDpT10_ENKUlT_T0_E_clISt17integral_constantIbLb0EES1A_IbLb1EEEEDaS16_S17_EUlS16_E_NS1_11comp_targetILNS1_3genE4ELNS1_11target_archE910ELNS1_3gpuE8ELNS1_3repE0EEENS1_30default_config_static_selectorELNS0_4arch9wavefront6targetE0EEEvT1_.uses_vcc, 0
	.set _ZN7rocprim17ROCPRIM_400000_NS6detail17trampoline_kernelINS0_14default_configENS1_25partition_config_selectorILNS1_17partition_subalgoE5EdNS0_10empty_typeEbEEZZNS1_14partition_implILS5_5ELb0ES3_mN6thrust23THRUST_200600_302600_NS6detail15normal_iteratorINSA_10device_ptrIdEEEEPS6_NSA_18transform_iteratorINSB_9not_fun_tI7is_trueIdEEESF_NSA_11use_defaultESM_EENS0_5tupleIJSF_S6_EEENSO_IJSG_SG_EEES6_PlJS6_EEE10hipError_tPvRmT3_T4_T5_T6_T7_T9_mT8_P12ihipStream_tbDpT10_ENKUlT_T0_E_clISt17integral_constantIbLb0EES1A_IbLb1EEEEDaS16_S17_EUlS16_E_NS1_11comp_targetILNS1_3genE4ELNS1_11target_archE910ELNS1_3gpuE8ELNS1_3repE0EEENS1_30default_config_static_selectorELNS0_4arch9wavefront6targetE0EEEvT1_.uses_flat_scratch, 0
	.set _ZN7rocprim17ROCPRIM_400000_NS6detail17trampoline_kernelINS0_14default_configENS1_25partition_config_selectorILNS1_17partition_subalgoE5EdNS0_10empty_typeEbEEZZNS1_14partition_implILS5_5ELb0ES3_mN6thrust23THRUST_200600_302600_NS6detail15normal_iteratorINSA_10device_ptrIdEEEEPS6_NSA_18transform_iteratorINSB_9not_fun_tI7is_trueIdEEESF_NSA_11use_defaultESM_EENS0_5tupleIJSF_S6_EEENSO_IJSG_SG_EEES6_PlJS6_EEE10hipError_tPvRmT3_T4_T5_T6_T7_T9_mT8_P12ihipStream_tbDpT10_ENKUlT_T0_E_clISt17integral_constantIbLb0EES1A_IbLb1EEEEDaS16_S17_EUlS16_E_NS1_11comp_targetILNS1_3genE4ELNS1_11target_archE910ELNS1_3gpuE8ELNS1_3repE0EEENS1_30default_config_static_selectorELNS0_4arch9wavefront6targetE0EEEvT1_.has_dyn_sized_stack, 0
	.set _ZN7rocprim17ROCPRIM_400000_NS6detail17trampoline_kernelINS0_14default_configENS1_25partition_config_selectorILNS1_17partition_subalgoE5EdNS0_10empty_typeEbEEZZNS1_14partition_implILS5_5ELb0ES3_mN6thrust23THRUST_200600_302600_NS6detail15normal_iteratorINSA_10device_ptrIdEEEEPS6_NSA_18transform_iteratorINSB_9not_fun_tI7is_trueIdEEESF_NSA_11use_defaultESM_EENS0_5tupleIJSF_S6_EEENSO_IJSG_SG_EEES6_PlJS6_EEE10hipError_tPvRmT3_T4_T5_T6_T7_T9_mT8_P12ihipStream_tbDpT10_ENKUlT_T0_E_clISt17integral_constantIbLb0EES1A_IbLb1EEEEDaS16_S17_EUlS16_E_NS1_11comp_targetILNS1_3genE4ELNS1_11target_archE910ELNS1_3gpuE8ELNS1_3repE0EEENS1_30default_config_static_selectorELNS0_4arch9wavefront6targetE0EEEvT1_.has_recursion, 0
	.set _ZN7rocprim17ROCPRIM_400000_NS6detail17trampoline_kernelINS0_14default_configENS1_25partition_config_selectorILNS1_17partition_subalgoE5EdNS0_10empty_typeEbEEZZNS1_14partition_implILS5_5ELb0ES3_mN6thrust23THRUST_200600_302600_NS6detail15normal_iteratorINSA_10device_ptrIdEEEEPS6_NSA_18transform_iteratorINSB_9not_fun_tI7is_trueIdEEESF_NSA_11use_defaultESM_EENS0_5tupleIJSF_S6_EEENSO_IJSG_SG_EEES6_PlJS6_EEE10hipError_tPvRmT3_T4_T5_T6_T7_T9_mT8_P12ihipStream_tbDpT10_ENKUlT_T0_E_clISt17integral_constantIbLb0EES1A_IbLb1EEEEDaS16_S17_EUlS16_E_NS1_11comp_targetILNS1_3genE4ELNS1_11target_archE910ELNS1_3gpuE8ELNS1_3repE0EEENS1_30default_config_static_selectorELNS0_4arch9wavefront6targetE0EEEvT1_.has_indirect_call, 0
	.section	.AMDGPU.csdata,"",@progbits
; Kernel info:
; codeLenInByte = 0
; TotalNumSgprs: 0
; NumVgprs: 0
; ScratchSize: 0
; MemoryBound: 0
; FloatMode: 240
; IeeeMode: 1
; LDSByteSize: 0 bytes/workgroup (compile time only)
; SGPRBlocks: 0
; VGPRBlocks: 0
; NumSGPRsForWavesPerEU: 1
; NumVGPRsForWavesPerEU: 1
; Occupancy: 16
; WaveLimiterHint : 0
; COMPUTE_PGM_RSRC2:SCRATCH_EN: 0
; COMPUTE_PGM_RSRC2:USER_SGPR: 2
; COMPUTE_PGM_RSRC2:TRAP_HANDLER: 0
; COMPUTE_PGM_RSRC2:TGID_X_EN: 1
; COMPUTE_PGM_RSRC2:TGID_Y_EN: 0
; COMPUTE_PGM_RSRC2:TGID_Z_EN: 0
; COMPUTE_PGM_RSRC2:TIDIG_COMP_CNT: 0
	.section	.text._ZN7rocprim17ROCPRIM_400000_NS6detail17trampoline_kernelINS0_14default_configENS1_25partition_config_selectorILNS1_17partition_subalgoE5EdNS0_10empty_typeEbEEZZNS1_14partition_implILS5_5ELb0ES3_mN6thrust23THRUST_200600_302600_NS6detail15normal_iteratorINSA_10device_ptrIdEEEEPS6_NSA_18transform_iteratorINSB_9not_fun_tI7is_trueIdEEESF_NSA_11use_defaultESM_EENS0_5tupleIJSF_S6_EEENSO_IJSG_SG_EEES6_PlJS6_EEE10hipError_tPvRmT3_T4_T5_T6_T7_T9_mT8_P12ihipStream_tbDpT10_ENKUlT_T0_E_clISt17integral_constantIbLb0EES1A_IbLb1EEEEDaS16_S17_EUlS16_E_NS1_11comp_targetILNS1_3genE3ELNS1_11target_archE908ELNS1_3gpuE7ELNS1_3repE0EEENS1_30default_config_static_selectorELNS0_4arch9wavefront6targetE0EEEvT1_,"axG",@progbits,_ZN7rocprim17ROCPRIM_400000_NS6detail17trampoline_kernelINS0_14default_configENS1_25partition_config_selectorILNS1_17partition_subalgoE5EdNS0_10empty_typeEbEEZZNS1_14partition_implILS5_5ELb0ES3_mN6thrust23THRUST_200600_302600_NS6detail15normal_iteratorINSA_10device_ptrIdEEEEPS6_NSA_18transform_iteratorINSB_9not_fun_tI7is_trueIdEEESF_NSA_11use_defaultESM_EENS0_5tupleIJSF_S6_EEENSO_IJSG_SG_EEES6_PlJS6_EEE10hipError_tPvRmT3_T4_T5_T6_T7_T9_mT8_P12ihipStream_tbDpT10_ENKUlT_T0_E_clISt17integral_constantIbLb0EES1A_IbLb1EEEEDaS16_S17_EUlS16_E_NS1_11comp_targetILNS1_3genE3ELNS1_11target_archE908ELNS1_3gpuE7ELNS1_3repE0EEENS1_30default_config_static_selectorELNS0_4arch9wavefront6targetE0EEEvT1_,comdat
	.protected	_ZN7rocprim17ROCPRIM_400000_NS6detail17trampoline_kernelINS0_14default_configENS1_25partition_config_selectorILNS1_17partition_subalgoE5EdNS0_10empty_typeEbEEZZNS1_14partition_implILS5_5ELb0ES3_mN6thrust23THRUST_200600_302600_NS6detail15normal_iteratorINSA_10device_ptrIdEEEEPS6_NSA_18transform_iteratorINSB_9not_fun_tI7is_trueIdEEESF_NSA_11use_defaultESM_EENS0_5tupleIJSF_S6_EEENSO_IJSG_SG_EEES6_PlJS6_EEE10hipError_tPvRmT3_T4_T5_T6_T7_T9_mT8_P12ihipStream_tbDpT10_ENKUlT_T0_E_clISt17integral_constantIbLb0EES1A_IbLb1EEEEDaS16_S17_EUlS16_E_NS1_11comp_targetILNS1_3genE3ELNS1_11target_archE908ELNS1_3gpuE7ELNS1_3repE0EEENS1_30default_config_static_selectorELNS0_4arch9wavefront6targetE0EEEvT1_ ; -- Begin function _ZN7rocprim17ROCPRIM_400000_NS6detail17trampoline_kernelINS0_14default_configENS1_25partition_config_selectorILNS1_17partition_subalgoE5EdNS0_10empty_typeEbEEZZNS1_14partition_implILS5_5ELb0ES3_mN6thrust23THRUST_200600_302600_NS6detail15normal_iteratorINSA_10device_ptrIdEEEEPS6_NSA_18transform_iteratorINSB_9not_fun_tI7is_trueIdEEESF_NSA_11use_defaultESM_EENS0_5tupleIJSF_S6_EEENSO_IJSG_SG_EEES6_PlJS6_EEE10hipError_tPvRmT3_T4_T5_T6_T7_T9_mT8_P12ihipStream_tbDpT10_ENKUlT_T0_E_clISt17integral_constantIbLb0EES1A_IbLb1EEEEDaS16_S17_EUlS16_E_NS1_11comp_targetILNS1_3genE3ELNS1_11target_archE908ELNS1_3gpuE7ELNS1_3repE0EEENS1_30default_config_static_selectorELNS0_4arch9wavefront6targetE0EEEvT1_
	.globl	_ZN7rocprim17ROCPRIM_400000_NS6detail17trampoline_kernelINS0_14default_configENS1_25partition_config_selectorILNS1_17partition_subalgoE5EdNS0_10empty_typeEbEEZZNS1_14partition_implILS5_5ELb0ES3_mN6thrust23THRUST_200600_302600_NS6detail15normal_iteratorINSA_10device_ptrIdEEEEPS6_NSA_18transform_iteratorINSB_9not_fun_tI7is_trueIdEEESF_NSA_11use_defaultESM_EENS0_5tupleIJSF_S6_EEENSO_IJSG_SG_EEES6_PlJS6_EEE10hipError_tPvRmT3_T4_T5_T6_T7_T9_mT8_P12ihipStream_tbDpT10_ENKUlT_T0_E_clISt17integral_constantIbLb0EES1A_IbLb1EEEEDaS16_S17_EUlS16_E_NS1_11comp_targetILNS1_3genE3ELNS1_11target_archE908ELNS1_3gpuE7ELNS1_3repE0EEENS1_30default_config_static_selectorELNS0_4arch9wavefront6targetE0EEEvT1_
	.p2align	8
	.type	_ZN7rocprim17ROCPRIM_400000_NS6detail17trampoline_kernelINS0_14default_configENS1_25partition_config_selectorILNS1_17partition_subalgoE5EdNS0_10empty_typeEbEEZZNS1_14partition_implILS5_5ELb0ES3_mN6thrust23THRUST_200600_302600_NS6detail15normal_iteratorINSA_10device_ptrIdEEEEPS6_NSA_18transform_iteratorINSB_9not_fun_tI7is_trueIdEEESF_NSA_11use_defaultESM_EENS0_5tupleIJSF_S6_EEENSO_IJSG_SG_EEES6_PlJS6_EEE10hipError_tPvRmT3_T4_T5_T6_T7_T9_mT8_P12ihipStream_tbDpT10_ENKUlT_T0_E_clISt17integral_constantIbLb0EES1A_IbLb1EEEEDaS16_S17_EUlS16_E_NS1_11comp_targetILNS1_3genE3ELNS1_11target_archE908ELNS1_3gpuE7ELNS1_3repE0EEENS1_30default_config_static_selectorELNS0_4arch9wavefront6targetE0EEEvT1_,@function
_ZN7rocprim17ROCPRIM_400000_NS6detail17trampoline_kernelINS0_14default_configENS1_25partition_config_selectorILNS1_17partition_subalgoE5EdNS0_10empty_typeEbEEZZNS1_14partition_implILS5_5ELb0ES3_mN6thrust23THRUST_200600_302600_NS6detail15normal_iteratorINSA_10device_ptrIdEEEEPS6_NSA_18transform_iteratorINSB_9not_fun_tI7is_trueIdEEESF_NSA_11use_defaultESM_EENS0_5tupleIJSF_S6_EEENSO_IJSG_SG_EEES6_PlJS6_EEE10hipError_tPvRmT3_T4_T5_T6_T7_T9_mT8_P12ihipStream_tbDpT10_ENKUlT_T0_E_clISt17integral_constantIbLb0EES1A_IbLb1EEEEDaS16_S17_EUlS16_E_NS1_11comp_targetILNS1_3genE3ELNS1_11target_archE908ELNS1_3gpuE7ELNS1_3repE0EEENS1_30default_config_static_selectorELNS0_4arch9wavefront6targetE0EEEvT1_: ; @_ZN7rocprim17ROCPRIM_400000_NS6detail17trampoline_kernelINS0_14default_configENS1_25partition_config_selectorILNS1_17partition_subalgoE5EdNS0_10empty_typeEbEEZZNS1_14partition_implILS5_5ELb0ES3_mN6thrust23THRUST_200600_302600_NS6detail15normal_iteratorINSA_10device_ptrIdEEEEPS6_NSA_18transform_iteratorINSB_9not_fun_tI7is_trueIdEEESF_NSA_11use_defaultESM_EENS0_5tupleIJSF_S6_EEENSO_IJSG_SG_EEES6_PlJS6_EEE10hipError_tPvRmT3_T4_T5_T6_T7_T9_mT8_P12ihipStream_tbDpT10_ENKUlT_T0_E_clISt17integral_constantIbLb0EES1A_IbLb1EEEEDaS16_S17_EUlS16_E_NS1_11comp_targetILNS1_3genE3ELNS1_11target_archE908ELNS1_3gpuE7ELNS1_3repE0EEENS1_30default_config_static_selectorELNS0_4arch9wavefront6targetE0EEEvT1_
; %bb.0:
	.section	.rodata,"a",@progbits
	.p2align	6, 0x0
	.amdhsa_kernel _ZN7rocprim17ROCPRIM_400000_NS6detail17trampoline_kernelINS0_14default_configENS1_25partition_config_selectorILNS1_17partition_subalgoE5EdNS0_10empty_typeEbEEZZNS1_14partition_implILS5_5ELb0ES3_mN6thrust23THRUST_200600_302600_NS6detail15normal_iteratorINSA_10device_ptrIdEEEEPS6_NSA_18transform_iteratorINSB_9not_fun_tI7is_trueIdEEESF_NSA_11use_defaultESM_EENS0_5tupleIJSF_S6_EEENSO_IJSG_SG_EEES6_PlJS6_EEE10hipError_tPvRmT3_T4_T5_T6_T7_T9_mT8_P12ihipStream_tbDpT10_ENKUlT_T0_E_clISt17integral_constantIbLb0EES1A_IbLb1EEEEDaS16_S17_EUlS16_E_NS1_11comp_targetILNS1_3genE3ELNS1_11target_archE908ELNS1_3gpuE7ELNS1_3repE0EEENS1_30default_config_static_selectorELNS0_4arch9wavefront6targetE0EEEvT1_
		.amdhsa_group_segment_fixed_size 0
		.amdhsa_private_segment_fixed_size 0
		.amdhsa_kernarg_size 136
		.amdhsa_user_sgpr_count 2
		.amdhsa_user_sgpr_dispatch_ptr 0
		.amdhsa_user_sgpr_queue_ptr 0
		.amdhsa_user_sgpr_kernarg_segment_ptr 1
		.amdhsa_user_sgpr_dispatch_id 0
		.amdhsa_user_sgpr_private_segment_size 0
		.amdhsa_wavefront_size32 1
		.amdhsa_uses_dynamic_stack 0
		.amdhsa_enable_private_segment 0
		.amdhsa_system_sgpr_workgroup_id_x 1
		.amdhsa_system_sgpr_workgroup_id_y 0
		.amdhsa_system_sgpr_workgroup_id_z 0
		.amdhsa_system_sgpr_workgroup_info 0
		.amdhsa_system_vgpr_workitem_id 0
		.amdhsa_next_free_vgpr 1
		.amdhsa_next_free_sgpr 1
		.amdhsa_reserve_vcc 0
		.amdhsa_float_round_mode_32 0
		.amdhsa_float_round_mode_16_64 0
		.amdhsa_float_denorm_mode_32 3
		.amdhsa_float_denorm_mode_16_64 3
		.amdhsa_fp16_overflow 0
		.amdhsa_workgroup_processor_mode 1
		.amdhsa_memory_ordered 1
		.amdhsa_forward_progress 1
		.amdhsa_inst_pref_size 0
		.amdhsa_round_robin_scheduling 0
		.amdhsa_exception_fp_ieee_invalid_op 0
		.amdhsa_exception_fp_denorm_src 0
		.amdhsa_exception_fp_ieee_div_zero 0
		.amdhsa_exception_fp_ieee_overflow 0
		.amdhsa_exception_fp_ieee_underflow 0
		.amdhsa_exception_fp_ieee_inexact 0
		.amdhsa_exception_int_div_zero 0
	.end_amdhsa_kernel
	.section	.text._ZN7rocprim17ROCPRIM_400000_NS6detail17trampoline_kernelINS0_14default_configENS1_25partition_config_selectorILNS1_17partition_subalgoE5EdNS0_10empty_typeEbEEZZNS1_14partition_implILS5_5ELb0ES3_mN6thrust23THRUST_200600_302600_NS6detail15normal_iteratorINSA_10device_ptrIdEEEEPS6_NSA_18transform_iteratorINSB_9not_fun_tI7is_trueIdEEESF_NSA_11use_defaultESM_EENS0_5tupleIJSF_S6_EEENSO_IJSG_SG_EEES6_PlJS6_EEE10hipError_tPvRmT3_T4_T5_T6_T7_T9_mT8_P12ihipStream_tbDpT10_ENKUlT_T0_E_clISt17integral_constantIbLb0EES1A_IbLb1EEEEDaS16_S17_EUlS16_E_NS1_11comp_targetILNS1_3genE3ELNS1_11target_archE908ELNS1_3gpuE7ELNS1_3repE0EEENS1_30default_config_static_selectorELNS0_4arch9wavefront6targetE0EEEvT1_,"axG",@progbits,_ZN7rocprim17ROCPRIM_400000_NS6detail17trampoline_kernelINS0_14default_configENS1_25partition_config_selectorILNS1_17partition_subalgoE5EdNS0_10empty_typeEbEEZZNS1_14partition_implILS5_5ELb0ES3_mN6thrust23THRUST_200600_302600_NS6detail15normal_iteratorINSA_10device_ptrIdEEEEPS6_NSA_18transform_iteratorINSB_9not_fun_tI7is_trueIdEEESF_NSA_11use_defaultESM_EENS0_5tupleIJSF_S6_EEENSO_IJSG_SG_EEES6_PlJS6_EEE10hipError_tPvRmT3_T4_T5_T6_T7_T9_mT8_P12ihipStream_tbDpT10_ENKUlT_T0_E_clISt17integral_constantIbLb0EES1A_IbLb1EEEEDaS16_S17_EUlS16_E_NS1_11comp_targetILNS1_3genE3ELNS1_11target_archE908ELNS1_3gpuE7ELNS1_3repE0EEENS1_30default_config_static_selectorELNS0_4arch9wavefront6targetE0EEEvT1_,comdat
.Lfunc_end1329:
	.size	_ZN7rocprim17ROCPRIM_400000_NS6detail17trampoline_kernelINS0_14default_configENS1_25partition_config_selectorILNS1_17partition_subalgoE5EdNS0_10empty_typeEbEEZZNS1_14partition_implILS5_5ELb0ES3_mN6thrust23THRUST_200600_302600_NS6detail15normal_iteratorINSA_10device_ptrIdEEEEPS6_NSA_18transform_iteratorINSB_9not_fun_tI7is_trueIdEEESF_NSA_11use_defaultESM_EENS0_5tupleIJSF_S6_EEENSO_IJSG_SG_EEES6_PlJS6_EEE10hipError_tPvRmT3_T4_T5_T6_T7_T9_mT8_P12ihipStream_tbDpT10_ENKUlT_T0_E_clISt17integral_constantIbLb0EES1A_IbLb1EEEEDaS16_S17_EUlS16_E_NS1_11comp_targetILNS1_3genE3ELNS1_11target_archE908ELNS1_3gpuE7ELNS1_3repE0EEENS1_30default_config_static_selectorELNS0_4arch9wavefront6targetE0EEEvT1_, .Lfunc_end1329-_ZN7rocprim17ROCPRIM_400000_NS6detail17trampoline_kernelINS0_14default_configENS1_25partition_config_selectorILNS1_17partition_subalgoE5EdNS0_10empty_typeEbEEZZNS1_14partition_implILS5_5ELb0ES3_mN6thrust23THRUST_200600_302600_NS6detail15normal_iteratorINSA_10device_ptrIdEEEEPS6_NSA_18transform_iteratorINSB_9not_fun_tI7is_trueIdEEESF_NSA_11use_defaultESM_EENS0_5tupleIJSF_S6_EEENSO_IJSG_SG_EEES6_PlJS6_EEE10hipError_tPvRmT3_T4_T5_T6_T7_T9_mT8_P12ihipStream_tbDpT10_ENKUlT_T0_E_clISt17integral_constantIbLb0EES1A_IbLb1EEEEDaS16_S17_EUlS16_E_NS1_11comp_targetILNS1_3genE3ELNS1_11target_archE908ELNS1_3gpuE7ELNS1_3repE0EEENS1_30default_config_static_selectorELNS0_4arch9wavefront6targetE0EEEvT1_
                                        ; -- End function
	.set _ZN7rocprim17ROCPRIM_400000_NS6detail17trampoline_kernelINS0_14default_configENS1_25partition_config_selectorILNS1_17partition_subalgoE5EdNS0_10empty_typeEbEEZZNS1_14partition_implILS5_5ELb0ES3_mN6thrust23THRUST_200600_302600_NS6detail15normal_iteratorINSA_10device_ptrIdEEEEPS6_NSA_18transform_iteratorINSB_9not_fun_tI7is_trueIdEEESF_NSA_11use_defaultESM_EENS0_5tupleIJSF_S6_EEENSO_IJSG_SG_EEES6_PlJS6_EEE10hipError_tPvRmT3_T4_T5_T6_T7_T9_mT8_P12ihipStream_tbDpT10_ENKUlT_T0_E_clISt17integral_constantIbLb0EES1A_IbLb1EEEEDaS16_S17_EUlS16_E_NS1_11comp_targetILNS1_3genE3ELNS1_11target_archE908ELNS1_3gpuE7ELNS1_3repE0EEENS1_30default_config_static_selectorELNS0_4arch9wavefront6targetE0EEEvT1_.num_vgpr, 0
	.set _ZN7rocprim17ROCPRIM_400000_NS6detail17trampoline_kernelINS0_14default_configENS1_25partition_config_selectorILNS1_17partition_subalgoE5EdNS0_10empty_typeEbEEZZNS1_14partition_implILS5_5ELb0ES3_mN6thrust23THRUST_200600_302600_NS6detail15normal_iteratorINSA_10device_ptrIdEEEEPS6_NSA_18transform_iteratorINSB_9not_fun_tI7is_trueIdEEESF_NSA_11use_defaultESM_EENS0_5tupleIJSF_S6_EEENSO_IJSG_SG_EEES6_PlJS6_EEE10hipError_tPvRmT3_T4_T5_T6_T7_T9_mT8_P12ihipStream_tbDpT10_ENKUlT_T0_E_clISt17integral_constantIbLb0EES1A_IbLb1EEEEDaS16_S17_EUlS16_E_NS1_11comp_targetILNS1_3genE3ELNS1_11target_archE908ELNS1_3gpuE7ELNS1_3repE0EEENS1_30default_config_static_selectorELNS0_4arch9wavefront6targetE0EEEvT1_.num_agpr, 0
	.set _ZN7rocprim17ROCPRIM_400000_NS6detail17trampoline_kernelINS0_14default_configENS1_25partition_config_selectorILNS1_17partition_subalgoE5EdNS0_10empty_typeEbEEZZNS1_14partition_implILS5_5ELb0ES3_mN6thrust23THRUST_200600_302600_NS6detail15normal_iteratorINSA_10device_ptrIdEEEEPS6_NSA_18transform_iteratorINSB_9not_fun_tI7is_trueIdEEESF_NSA_11use_defaultESM_EENS0_5tupleIJSF_S6_EEENSO_IJSG_SG_EEES6_PlJS6_EEE10hipError_tPvRmT3_T4_T5_T6_T7_T9_mT8_P12ihipStream_tbDpT10_ENKUlT_T0_E_clISt17integral_constantIbLb0EES1A_IbLb1EEEEDaS16_S17_EUlS16_E_NS1_11comp_targetILNS1_3genE3ELNS1_11target_archE908ELNS1_3gpuE7ELNS1_3repE0EEENS1_30default_config_static_selectorELNS0_4arch9wavefront6targetE0EEEvT1_.numbered_sgpr, 0
	.set _ZN7rocprim17ROCPRIM_400000_NS6detail17trampoline_kernelINS0_14default_configENS1_25partition_config_selectorILNS1_17partition_subalgoE5EdNS0_10empty_typeEbEEZZNS1_14partition_implILS5_5ELb0ES3_mN6thrust23THRUST_200600_302600_NS6detail15normal_iteratorINSA_10device_ptrIdEEEEPS6_NSA_18transform_iteratorINSB_9not_fun_tI7is_trueIdEEESF_NSA_11use_defaultESM_EENS0_5tupleIJSF_S6_EEENSO_IJSG_SG_EEES6_PlJS6_EEE10hipError_tPvRmT3_T4_T5_T6_T7_T9_mT8_P12ihipStream_tbDpT10_ENKUlT_T0_E_clISt17integral_constantIbLb0EES1A_IbLb1EEEEDaS16_S17_EUlS16_E_NS1_11comp_targetILNS1_3genE3ELNS1_11target_archE908ELNS1_3gpuE7ELNS1_3repE0EEENS1_30default_config_static_selectorELNS0_4arch9wavefront6targetE0EEEvT1_.num_named_barrier, 0
	.set _ZN7rocprim17ROCPRIM_400000_NS6detail17trampoline_kernelINS0_14default_configENS1_25partition_config_selectorILNS1_17partition_subalgoE5EdNS0_10empty_typeEbEEZZNS1_14partition_implILS5_5ELb0ES3_mN6thrust23THRUST_200600_302600_NS6detail15normal_iteratorINSA_10device_ptrIdEEEEPS6_NSA_18transform_iteratorINSB_9not_fun_tI7is_trueIdEEESF_NSA_11use_defaultESM_EENS0_5tupleIJSF_S6_EEENSO_IJSG_SG_EEES6_PlJS6_EEE10hipError_tPvRmT3_T4_T5_T6_T7_T9_mT8_P12ihipStream_tbDpT10_ENKUlT_T0_E_clISt17integral_constantIbLb0EES1A_IbLb1EEEEDaS16_S17_EUlS16_E_NS1_11comp_targetILNS1_3genE3ELNS1_11target_archE908ELNS1_3gpuE7ELNS1_3repE0EEENS1_30default_config_static_selectorELNS0_4arch9wavefront6targetE0EEEvT1_.private_seg_size, 0
	.set _ZN7rocprim17ROCPRIM_400000_NS6detail17trampoline_kernelINS0_14default_configENS1_25partition_config_selectorILNS1_17partition_subalgoE5EdNS0_10empty_typeEbEEZZNS1_14partition_implILS5_5ELb0ES3_mN6thrust23THRUST_200600_302600_NS6detail15normal_iteratorINSA_10device_ptrIdEEEEPS6_NSA_18transform_iteratorINSB_9not_fun_tI7is_trueIdEEESF_NSA_11use_defaultESM_EENS0_5tupleIJSF_S6_EEENSO_IJSG_SG_EEES6_PlJS6_EEE10hipError_tPvRmT3_T4_T5_T6_T7_T9_mT8_P12ihipStream_tbDpT10_ENKUlT_T0_E_clISt17integral_constantIbLb0EES1A_IbLb1EEEEDaS16_S17_EUlS16_E_NS1_11comp_targetILNS1_3genE3ELNS1_11target_archE908ELNS1_3gpuE7ELNS1_3repE0EEENS1_30default_config_static_selectorELNS0_4arch9wavefront6targetE0EEEvT1_.uses_vcc, 0
	.set _ZN7rocprim17ROCPRIM_400000_NS6detail17trampoline_kernelINS0_14default_configENS1_25partition_config_selectorILNS1_17partition_subalgoE5EdNS0_10empty_typeEbEEZZNS1_14partition_implILS5_5ELb0ES3_mN6thrust23THRUST_200600_302600_NS6detail15normal_iteratorINSA_10device_ptrIdEEEEPS6_NSA_18transform_iteratorINSB_9not_fun_tI7is_trueIdEEESF_NSA_11use_defaultESM_EENS0_5tupleIJSF_S6_EEENSO_IJSG_SG_EEES6_PlJS6_EEE10hipError_tPvRmT3_T4_T5_T6_T7_T9_mT8_P12ihipStream_tbDpT10_ENKUlT_T0_E_clISt17integral_constantIbLb0EES1A_IbLb1EEEEDaS16_S17_EUlS16_E_NS1_11comp_targetILNS1_3genE3ELNS1_11target_archE908ELNS1_3gpuE7ELNS1_3repE0EEENS1_30default_config_static_selectorELNS0_4arch9wavefront6targetE0EEEvT1_.uses_flat_scratch, 0
	.set _ZN7rocprim17ROCPRIM_400000_NS6detail17trampoline_kernelINS0_14default_configENS1_25partition_config_selectorILNS1_17partition_subalgoE5EdNS0_10empty_typeEbEEZZNS1_14partition_implILS5_5ELb0ES3_mN6thrust23THRUST_200600_302600_NS6detail15normal_iteratorINSA_10device_ptrIdEEEEPS6_NSA_18transform_iteratorINSB_9not_fun_tI7is_trueIdEEESF_NSA_11use_defaultESM_EENS0_5tupleIJSF_S6_EEENSO_IJSG_SG_EEES6_PlJS6_EEE10hipError_tPvRmT3_T4_T5_T6_T7_T9_mT8_P12ihipStream_tbDpT10_ENKUlT_T0_E_clISt17integral_constantIbLb0EES1A_IbLb1EEEEDaS16_S17_EUlS16_E_NS1_11comp_targetILNS1_3genE3ELNS1_11target_archE908ELNS1_3gpuE7ELNS1_3repE0EEENS1_30default_config_static_selectorELNS0_4arch9wavefront6targetE0EEEvT1_.has_dyn_sized_stack, 0
	.set _ZN7rocprim17ROCPRIM_400000_NS6detail17trampoline_kernelINS0_14default_configENS1_25partition_config_selectorILNS1_17partition_subalgoE5EdNS0_10empty_typeEbEEZZNS1_14partition_implILS5_5ELb0ES3_mN6thrust23THRUST_200600_302600_NS6detail15normal_iteratorINSA_10device_ptrIdEEEEPS6_NSA_18transform_iteratorINSB_9not_fun_tI7is_trueIdEEESF_NSA_11use_defaultESM_EENS0_5tupleIJSF_S6_EEENSO_IJSG_SG_EEES6_PlJS6_EEE10hipError_tPvRmT3_T4_T5_T6_T7_T9_mT8_P12ihipStream_tbDpT10_ENKUlT_T0_E_clISt17integral_constantIbLb0EES1A_IbLb1EEEEDaS16_S17_EUlS16_E_NS1_11comp_targetILNS1_3genE3ELNS1_11target_archE908ELNS1_3gpuE7ELNS1_3repE0EEENS1_30default_config_static_selectorELNS0_4arch9wavefront6targetE0EEEvT1_.has_recursion, 0
	.set _ZN7rocprim17ROCPRIM_400000_NS6detail17trampoline_kernelINS0_14default_configENS1_25partition_config_selectorILNS1_17partition_subalgoE5EdNS0_10empty_typeEbEEZZNS1_14partition_implILS5_5ELb0ES3_mN6thrust23THRUST_200600_302600_NS6detail15normal_iteratorINSA_10device_ptrIdEEEEPS6_NSA_18transform_iteratorINSB_9not_fun_tI7is_trueIdEEESF_NSA_11use_defaultESM_EENS0_5tupleIJSF_S6_EEENSO_IJSG_SG_EEES6_PlJS6_EEE10hipError_tPvRmT3_T4_T5_T6_T7_T9_mT8_P12ihipStream_tbDpT10_ENKUlT_T0_E_clISt17integral_constantIbLb0EES1A_IbLb1EEEEDaS16_S17_EUlS16_E_NS1_11comp_targetILNS1_3genE3ELNS1_11target_archE908ELNS1_3gpuE7ELNS1_3repE0EEENS1_30default_config_static_selectorELNS0_4arch9wavefront6targetE0EEEvT1_.has_indirect_call, 0
	.section	.AMDGPU.csdata,"",@progbits
; Kernel info:
; codeLenInByte = 0
; TotalNumSgprs: 0
; NumVgprs: 0
; ScratchSize: 0
; MemoryBound: 0
; FloatMode: 240
; IeeeMode: 1
; LDSByteSize: 0 bytes/workgroup (compile time only)
; SGPRBlocks: 0
; VGPRBlocks: 0
; NumSGPRsForWavesPerEU: 1
; NumVGPRsForWavesPerEU: 1
; Occupancy: 16
; WaveLimiterHint : 0
; COMPUTE_PGM_RSRC2:SCRATCH_EN: 0
; COMPUTE_PGM_RSRC2:USER_SGPR: 2
; COMPUTE_PGM_RSRC2:TRAP_HANDLER: 0
; COMPUTE_PGM_RSRC2:TGID_X_EN: 1
; COMPUTE_PGM_RSRC2:TGID_Y_EN: 0
; COMPUTE_PGM_RSRC2:TGID_Z_EN: 0
; COMPUTE_PGM_RSRC2:TIDIG_COMP_CNT: 0
	.section	.text._ZN7rocprim17ROCPRIM_400000_NS6detail17trampoline_kernelINS0_14default_configENS1_25partition_config_selectorILNS1_17partition_subalgoE5EdNS0_10empty_typeEbEEZZNS1_14partition_implILS5_5ELb0ES3_mN6thrust23THRUST_200600_302600_NS6detail15normal_iteratorINSA_10device_ptrIdEEEEPS6_NSA_18transform_iteratorINSB_9not_fun_tI7is_trueIdEEESF_NSA_11use_defaultESM_EENS0_5tupleIJSF_S6_EEENSO_IJSG_SG_EEES6_PlJS6_EEE10hipError_tPvRmT3_T4_T5_T6_T7_T9_mT8_P12ihipStream_tbDpT10_ENKUlT_T0_E_clISt17integral_constantIbLb0EES1A_IbLb1EEEEDaS16_S17_EUlS16_E_NS1_11comp_targetILNS1_3genE2ELNS1_11target_archE906ELNS1_3gpuE6ELNS1_3repE0EEENS1_30default_config_static_selectorELNS0_4arch9wavefront6targetE0EEEvT1_,"axG",@progbits,_ZN7rocprim17ROCPRIM_400000_NS6detail17trampoline_kernelINS0_14default_configENS1_25partition_config_selectorILNS1_17partition_subalgoE5EdNS0_10empty_typeEbEEZZNS1_14partition_implILS5_5ELb0ES3_mN6thrust23THRUST_200600_302600_NS6detail15normal_iteratorINSA_10device_ptrIdEEEEPS6_NSA_18transform_iteratorINSB_9not_fun_tI7is_trueIdEEESF_NSA_11use_defaultESM_EENS0_5tupleIJSF_S6_EEENSO_IJSG_SG_EEES6_PlJS6_EEE10hipError_tPvRmT3_T4_T5_T6_T7_T9_mT8_P12ihipStream_tbDpT10_ENKUlT_T0_E_clISt17integral_constantIbLb0EES1A_IbLb1EEEEDaS16_S17_EUlS16_E_NS1_11comp_targetILNS1_3genE2ELNS1_11target_archE906ELNS1_3gpuE6ELNS1_3repE0EEENS1_30default_config_static_selectorELNS0_4arch9wavefront6targetE0EEEvT1_,comdat
	.protected	_ZN7rocprim17ROCPRIM_400000_NS6detail17trampoline_kernelINS0_14default_configENS1_25partition_config_selectorILNS1_17partition_subalgoE5EdNS0_10empty_typeEbEEZZNS1_14partition_implILS5_5ELb0ES3_mN6thrust23THRUST_200600_302600_NS6detail15normal_iteratorINSA_10device_ptrIdEEEEPS6_NSA_18transform_iteratorINSB_9not_fun_tI7is_trueIdEEESF_NSA_11use_defaultESM_EENS0_5tupleIJSF_S6_EEENSO_IJSG_SG_EEES6_PlJS6_EEE10hipError_tPvRmT3_T4_T5_T6_T7_T9_mT8_P12ihipStream_tbDpT10_ENKUlT_T0_E_clISt17integral_constantIbLb0EES1A_IbLb1EEEEDaS16_S17_EUlS16_E_NS1_11comp_targetILNS1_3genE2ELNS1_11target_archE906ELNS1_3gpuE6ELNS1_3repE0EEENS1_30default_config_static_selectorELNS0_4arch9wavefront6targetE0EEEvT1_ ; -- Begin function _ZN7rocprim17ROCPRIM_400000_NS6detail17trampoline_kernelINS0_14default_configENS1_25partition_config_selectorILNS1_17partition_subalgoE5EdNS0_10empty_typeEbEEZZNS1_14partition_implILS5_5ELb0ES3_mN6thrust23THRUST_200600_302600_NS6detail15normal_iteratorINSA_10device_ptrIdEEEEPS6_NSA_18transform_iteratorINSB_9not_fun_tI7is_trueIdEEESF_NSA_11use_defaultESM_EENS0_5tupleIJSF_S6_EEENSO_IJSG_SG_EEES6_PlJS6_EEE10hipError_tPvRmT3_T4_T5_T6_T7_T9_mT8_P12ihipStream_tbDpT10_ENKUlT_T0_E_clISt17integral_constantIbLb0EES1A_IbLb1EEEEDaS16_S17_EUlS16_E_NS1_11comp_targetILNS1_3genE2ELNS1_11target_archE906ELNS1_3gpuE6ELNS1_3repE0EEENS1_30default_config_static_selectorELNS0_4arch9wavefront6targetE0EEEvT1_
	.globl	_ZN7rocprim17ROCPRIM_400000_NS6detail17trampoline_kernelINS0_14default_configENS1_25partition_config_selectorILNS1_17partition_subalgoE5EdNS0_10empty_typeEbEEZZNS1_14partition_implILS5_5ELb0ES3_mN6thrust23THRUST_200600_302600_NS6detail15normal_iteratorINSA_10device_ptrIdEEEEPS6_NSA_18transform_iteratorINSB_9not_fun_tI7is_trueIdEEESF_NSA_11use_defaultESM_EENS0_5tupleIJSF_S6_EEENSO_IJSG_SG_EEES6_PlJS6_EEE10hipError_tPvRmT3_T4_T5_T6_T7_T9_mT8_P12ihipStream_tbDpT10_ENKUlT_T0_E_clISt17integral_constantIbLb0EES1A_IbLb1EEEEDaS16_S17_EUlS16_E_NS1_11comp_targetILNS1_3genE2ELNS1_11target_archE906ELNS1_3gpuE6ELNS1_3repE0EEENS1_30default_config_static_selectorELNS0_4arch9wavefront6targetE0EEEvT1_
	.p2align	8
	.type	_ZN7rocprim17ROCPRIM_400000_NS6detail17trampoline_kernelINS0_14default_configENS1_25partition_config_selectorILNS1_17partition_subalgoE5EdNS0_10empty_typeEbEEZZNS1_14partition_implILS5_5ELb0ES3_mN6thrust23THRUST_200600_302600_NS6detail15normal_iteratorINSA_10device_ptrIdEEEEPS6_NSA_18transform_iteratorINSB_9not_fun_tI7is_trueIdEEESF_NSA_11use_defaultESM_EENS0_5tupleIJSF_S6_EEENSO_IJSG_SG_EEES6_PlJS6_EEE10hipError_tPvRmT3_T4_T5_T6_T7_T9_mT8_P12ihipStream_tbDpT10_ENKUlT_T0_E_clISt17integral_constantIbLb0EES1A_IbLb1EEEEDaS16_S17_EUlS16_E_NS1_11comp_targetILNS1_3genE2ELNS1_11target_archE906ELNS1_3gpuE6ELNS1_3repE0EEENS1_30default_config_static_selectorELNS0_4arch9wavefront6targetE0EEEvT1_,@function
_ZN7rocprim17ROCPRIM_400000_NS6detail17trampoline_kernelINS0_14default_configENS1_25partition_config_selectorILNS1_17partition_subalgoE5EdNS0_10empty_typeEbEEZZNS1_14partition_implILS5_5ELb0ES3_mN6thrust23THRUST_200600_302600_NS6detail15normal_iteratorINSA_10device_ptrIdEEEEPS6_NSA_18transform_iteratorINSB_9not_fun_tI7is_trueIdEEESF_NSA_11use_defaultESM_EENS0_5tupleIJSF_S6_EEENSO_IJSG_SG_EEES6_PlJS6_EEE10hipError_tPvRmT3_T4_T5_T6_T7_T9_mT8_P12ihipStream_tbDpT10_ENKUlT_T0_E_clISt17integral_constantIbLb0EES1A_IbLb1EEEEDaS16_S17_EUlS16_E_NS1_11comp_targetILNS1_3genE2ELNS1_11target_archE906ELNS1_3gpuE6ELNS1_3repE0EEENS1_30default_config_static_selectorELNS0_4arch9wavefront6targetE0EEEvT1_: ; @_ZN7rocprim17ROCPRIM_400000_NS6detail17trampoline_kernelINS0_14default_configENS1_25partition_config_selectorILNS1_17partition_subalgoE5EdNS0_10empty_typeEbEEZZNS1_14partition_implILS5_5ELb0ES3_mN6thrust23THRUST_200600_302600_NS6detail15normal_iteratorINSA_10device_ptrIdEEEEPS6_NSA_18transform_iteratorINSB_9not_fun_tI7is_trueIdEEESF_NSA_11use_defaultESM_EENS0_5tupleIJSF_S6_EEENSO_IJSG_SG_EEES6_PlJS6_EEE10hipError_tPvRmT3_T4_T5_T6_T7_T9_mT8_P12ihipStream_tbDpT10_ENKUlT_T0_E_clISt17integral_constantIbLb0EES1A_IbLb1EEEEDaS16_S17_EUlS16_E_NS1_11comp_targetILNS1_3genE2ELNS1_11target_archE906ELNS1_3gpuE6ELNS1_3repE0EEENS1_30default_config_static_selectorELNS0_4arch9wavefront6targetE0EEEvT1_
; %bb.0:
	.section	.rodata,"a",@progbits
	.p2align	6, 0x0
	.amdhsa_kernel _ZN7rocprim17ROCPRIM_400000_NS6detail17trampoline_kernelINS0_14default_configENS1_25partition_config_selectorILNS1_17partition_subalgoE5EdNS0_10empty_typeEbEEZZNS1_14partition_implILS5_5ELb0ES3_mN6thrust23THRUST_200600_302600_NS6detail15normal_iteratorINSA_10device_ptrIdEEEEPS6_NSA_18transform_iteratorINSB_9not_fun_tI7is_trueIdEEESF_NSA_11use_defaultESM_EENS0_5tupleIJSF_S6_EEENSO_IJSG_SG_EEES6_PlJS6_EEE10hipError_tPvRmT3_T4_T5_T6_T7_T9_mT8_P12ihipStream_tbDpT10_ENKUlT_T0_E_clISt17integral_constantIbLb0EES1A_IbLb1EEEEDaS16_S17_EUlS16_E_NS1_11comp_targetILNS1_3genE2ELNS1_11target_archE906ELNS1_3gpuE6ELNS1_3repE0EEENS1_30default_config_static_selectorELNS0_4arch9wavefront6targetE0EEEvT1_
		.amdhsa_group_segment_fixed_size 0
		.amdhsa_private_segment_fixed_size 0
		.amdhsa_kernarg_size 136
		.amdhsa_user_sgpr_count 2
		.amdhsa_user_sgpr_dispatch_ptr 0
		.amdhsa_user_sgpr_queue_ptr 0
		.amdhsa_user_sgpr_kernarg_segment_ptr 1
		.amdhsa_user_sgpr_dispatch_id 0
		.amdhsa_user_sgpr_private_segment_size 0
		.amdhsa_wavefront_size32 1
		.amdhsa_uses_dynamic_stack 0
		.amdhsa_enable_private_segment 0
		.amdhsa_system_sgpr_workgroup_id_x 1
		.amdhsa_system_sgpr_workgroup_id_y 0
		.amdhsa_system_sgpr_workgroup_id_z 0
		.amdhsa_system_sgpr_workgroup_info 0
		.amdhsa_system_vgpr_workitem_id 0
		.amdhsa_next_free_vgpr 1
		.amdhsa_next_free_sgpr 1
		.amdhsa_reserve_vcc 0
		.amdhsa_float_round_mode_32 0
		.amdhsa_float_round_mode_16_64 0
		.amdhsa_float_denorm_mode_32 3
		.amdhsa_float_denorm_mode_16_64 3
		.amdhsa_fp16_overflow 0
		.amdhsa_workgroup_processor_mode 1
		.amdhsa_memory_ordered 1
		.amdhsa_forward_progress 1
		.amdhsa_inst_pref_size 0
		.amdhsa_round_robin_scheduling 0
		.amdhsa_exception_fp_ieee_invalid_op 0
		.amdhsa_exception_fp_denorm_src 0
		.amdhsa_exception_fp_ieee_div_zero 0
		.amdhsa_exception_fp_ieee_overflow 0
		.amdhsa_exception_fp_ieee_underflow 0
		.amdhsa_exception_fp_ieee_inexact 0
		.amdhsa_exception_int_div_zero 0
	.end_amdhsa_kernel
	.section	.text._ZN7rocprim17ROCPRIM_400000_NS6detail17trampoline_kernelINS0_14default_configENS1_25partition_config_selectorILNS1_17partition_subalgoE5EdNS0_10empty_typeEbEEZZNS1_14partition_implILS5_5ELb0ES3_mN6thrust23THRUST_200600_302600_NS6detail15normal_iteratorINSA_10device_ptrIdEEEEPS6_NSA_18transform_iteratorINSB_9not_fun_tI7is_trueIdEEESF_NSA_11use_defaultESM_EENS0_5tupleIJSF_S6_EEENSO_IJSG_SG_EEES6_PlJS6_EEE10hipError_tPvRmT3_T4_T5_T6_T7_T9_mT8_P12ihipStream_tbDpT10_ENKUlT_T0_E_clISt17integral_constantIbLb0EES1A_IbLb1EEEEDaS16_S17_EUlS16_E_NS1_11comp_targetILNS1_3genE2ELNS1_11target_archE906ELNS1_3gpuE6ELNS1_3repE0EEENS1_30default_config_static_selectorELNS0_4arch9wavefront6targetE0EEEvT1_,"axG",@progbits,_ZN7rocprim17ROCPRIM_400000_NS6detail17trampoline_kernelINS0_14default_configENS1_25partition_config_selectorILNS1_17partition_subalgoE5EdNS0_10empty_typeEbEEZZNS1_14partition_implILS5_5ELb0ES3_mN6thrust23THRUST_200600_302600_NS6detail15normal_iteratorINSA_10device_ptrIdEEEEPS6_NSA_18transform_iteratorINSB_9not_fun_tI7is_trueIdEEESF_NSA_11use_defaultESM_EENS0_5tupleIJSF_S6_EEENSO_IJSG_SG_EEES6_PlJS6_EEE10hipError_tPvRmT3_T4_T5_T6_T7_T9_mT8_P12ihipStream_tbDpT10_ENKUlT_T0_E_clISt17integral_constantIbLb0EES1A_IbLb1EEEEDaS16_S17_EUlS16_E_NS1_11comp_targetILNS1_3genE2ELNS1_11target_archE906ELNS1_3gpuE6ELNS1_3repE0EEENS1_30default_config_static_selectorELNS0_4arch9wavefront6targetE0EEEvT1_,comdat
.Lfunc_end1330:
	.size	_ZN7rocprim17ROCPRIM_400000_NS6detail17trampoline_kernelINS0_14default_configENS1_25partition_config_selectorILNS1_17partition_subalgoE5EdNS0_10empty_typeEbEEZZNS1_14partition_implILS5_5ELb0ES3_mN6thrust23THRUST_200600_302600_NS6detail15normal_iteratorINSA_10device_ptrIdEEEEPS6_NSA_18transform_iteratorINSB_9not_fun_tI7is_trueIdEEESF_NSA_11use_defaultESM_EENS0_5tupleIJSF_S6_EEENSO_IJSG_SG_EEES6_PlJS6_EEE10hipError_tPvRmT3_T4_T5_T6_T7_T9_mT8_P12ihipStream_tbDpT10_ENKUlT_T0_E_clISt17integral_constantIbLb0EES1A_IbLb1EEEEDaS16_S17_EUlS16_E_NS1_11comp_targetILNS1_3genE2ELNS1_11target_archE906ELNS1_3gpuE6ELNS1_3repE0EEENS1_30default_config_static_selectorELNS0_4arch9wavefront6targetE0EEEvT1_, .Lfunc_end1330-_ZN7rocprim17ROCPRIM_400000_NS6detail17trampoline_kernelINS0_14default_configENS1_25partition_config_selectorILNS1_17partition_subalgoE5EdNS0_10empty_typeEbEEZZNS1_14partition_implILS5_5ELb0ES3_mN6thrust23THRUST_200600_302600_NS6detail15normal_iteratorINSA_10device_ptrIdEEEEPS6_NSA_18transform_iteratorINSB_9not_fun_tI7is_trueIdEEESF_NSA_11use_defaultESM_EENS0_5tupleIJSF_S6_EEENSO_IJSG_SG_EEES6_PlJS6_EEE10hipError_tPvRmT3_T4_T5_T6_T7_T9_mT8_P12ihipStream_tbDpT10_ENKUlT_T0_E_clISt17integral_constantIbLb0EES1A_IbLb1EEEEDaS16_S17_EUlS16_E_NS1_11comp_targetILNS1_3genE2ELNS1_11target_archE906ELNS1_3gpuE6ELNS1_3repE0EEENS1_30default_config_static_selectorELNS0_4arch9wavefront6targetE0EEEvT1_
                                        ; -- End function
	.set _ZN7rocprim17ROCPRIM_400000_NS6detail17trampoline_kernelINS0_14default_configENS1_25partition_config_selectorILNS1_17partition_subalgoE5EdNS0_10empty_typeEbEEZZNS1_14partition_implILS5_5ELb0ES3_mN6thrust23THRUST_200600_302600_NS6detail15normal_iteratorINSA_10device_ptrIdEEEEPS6_NSA_18transform_iteratorINSB_9not_fun_tI7is_trueIdEEESF_NSA_11use_defaultESM_EENS0_5tupleIJSF_S6_EEENSO_IJSG_SG_EEES6_PlJS6_EEE10hipError_tPvRmT3_T4_T5_T6_T7_T9_mT8_P12ihipStream_tbDpT10_ENKUlT_T0_E_clISt17integral_constantIbLb0EES1A_IbLb1EEEEDaS16_S17_EUlS16_E_NS1_11comp_targetILNS1_3genE2ELNS1_11target_archE906ELNS1_3gpuE6ELNS1_3repE0EEENS1_30default_config_static_selectorELNS0_4arch9wavefront6targetE0EEEvT1_.num_vgpr, 0
	.set _ZN7rocprim17ROCPRIM_400000_NS6detail17trampoline_kernelINS0_14default_configENS1_25partition_config_selectorILNS1_17partition_subalgoE5EdNS0_10empty_typeEbEEZZNS1_14partition_implILS5_5ELb0ES3_mN6thrust23THRUST_200600_302600_NS6detail15normal_iteratorINSA_10device_ptrIdEEEEPS6_NSA_18transform_iteratorINSB_9not_fun_tI7is_trueIdEEESF_NSA_11use_defaultESM_EENS0_5tupleIJSF_S6_EEENSO_IJSG_SG_EEES6_PlJS6_EEE10hipError_tPvRmT3_T4_T5_T6_T7_T9_mT8_P12ihipStream_tbDpT10_ENKUlT_T0_E_clISt17integral_constantIbLb0EES1A_IbLb1EEEEDaS16_S17_EUlS16_E_NS1_11comp_targetILNS1_3genE2ELNS1_11target_archE906ELNS1_3gpuE6ELNS1_3repE0EEENS1_30default_config_static_selectorELNS0_4arch9wavefront6targetE0EEEvT1_.num_agpr, 0
	.set _ZN7rocprim17ROCPRIM_400000_NS6detail17trampoline_kernelINS0_14default_configENS1_25partition_config_selectorILNS1_17partition_subalgoE5EdNS0_10empty_typeEbEEZZNS1_14partition_implILS5_5ELb0ES3_mN6thrust23THRUST_200600_302600_NS6detail15normal_iteratorINSA_10device_ptrIdEEEEPS6_NSA_18transform_iteratorINSB_9not_fun_tI7is_trueIdEEESF_NSA_11use_defaultESM_EENS0_5tupleIJSF_S6_EEENSO_IJSG_SG_EEES6_PlJS6_EEE10hipError_tPvRmT3_T4_T5_T6_T7_T9_mT8_P12ihipStream_tbDpT10_ENKUlT_T0_E_clISt17integral_constantIbLb0EES1A_IbLb1EEEEDaS16_S17_EUlS16_E_NS1_11comp_targetILNS1_3genE2ELNS1_11target_archE906ELNS1_3gpuE6ELNS1_3repE0EEENS1_30default_config_static_selectorELNS0_4arch9wavefront6targetE0EEEvT1_.numbered_sgpr, 0
	.set _ZN7rocprim17ROCPRIM_400000_NS6detail17trampoline_kernelINS0_14default_configENS1_25partition_config_selectorILNS1_17partition_subalgoE5EdNS0_10empty_typeEbEEZZNS1_14partition_implILS5_5ELb0ES3_mN6thrust23THRUST_200600_302600_NS6detail15normal_iteratorINSA_10device_ptrIdEEEEPS6_NSA_18transform_iteratorINSB_9not_fun_tI7is_trueIdEEESF_NSA_11use_defaultESM_EENS0_5tupleIJSF_S6_EEENSO_IJSG_SG_EEES6_PlJS6_EEE10hipError_tPvRmT3_T4_T5_T6_T7_T9_mT8_P12ihipStream_tbDpT10_ENKUlT_T0_E_clISt17integral_constantIbLb0EES1A_IbLb1EEEEDaS16_S17_EUlS16_E_NS1_11comp_targetILNS1_3genE2ELNS1_11target_archE906ELNS1_3gpuE6ELNS1_3repE0EEENS1_30default_config_static_selectorELNS0_4arch9wavefront6targetE0EEEvT1_.num_named_barrier, 0
	.set _ZN7rocprim17ROCPRIM_400000_NS6detail17trampoline_kernelINS0_14default_configENS1_25partition_config_selectorILNS1_17partition_subalgoE5EdNS0_10empty_typeEbEEZZNS1_14partition_implILS5_5ELb0ES3_mN6thrust23THRUST_200600_302600_NS6detail15normal_iteratorINSA_10device_ptrIdEEEEPS6_NSA_18transform_iteratorINSB_9not_fun_tI7is_trueIdEEESF_NSA_11use_defaultESM_EENS0_5tupleIJSF_S6_EEENSO_IJSG_SG_EEES6_PlJS6_EEE10hipError_tPvRmT3_T4_T5_T6_T7_T9_mT8_P12ihipStream_tbDpT10_ENKUlT_T0_E_clISt17integral_constantIbLb0EES1A_IbLb1EEEEDaS16_S17_EUlS16_E_NS1_11comp_targetILNS1_3genE2ELNS1_11target_archE906ELNS1_3gpuE6ELNS1_3repE0EEENS1_30default_config_static_selectorELNS0_4arch9wavefront6targetE0EEEvT1_.private_seg_size, 0
	.set _ZN7rocprim17ROCPRIM_400000_NS6detail17trampoline_kernelINS0_14default_configENS1_25partition_config_selectorILNS1_17partition_subalgoE5EdNS0_10empty_typeEbEEZZNS1_14partition_implILS5_5ELb0ES3_mN6thrust23THRUST_200600_302600_NS6detail15normal_iteratorINSA_10device_ptrIdEEEEPS6_NSA_18transform_iteratorINSB_9not_fun_tI7is_trueIdEEESF_NSA_11use_defaultESM_EENS0_5tupleIJSF_S6_EEENSO_IJSG_SG_EEES6_PlJS6_EEE10hipError_tPvRmT3_T4_T5_T6_T7_T9_mT8_P12ihipStream_tbDpT10_ENKUlT_T0_E_clISt17integral_constantIbLb0EES1A_IbLb1EEEEDaS16_S17_EUlS16_E_NS1_11comp_targetILNS1_3genE2ELNS1_11target_archE906ELNS1_3gpuE6ELNS1_3repE0EEENS1_30default_config_static_selectorELNS0_4arch9wavefront6targetE0EEEvT1_.uses_vcc, 0
	.set _ZN7rocprim17ROCPRIM_400000_NS6detail17trampoline_kernelINS0_14default_configENS1_25partition_config_selectorILNS1_17partition_subalgoE5EdNS0_10empty_typeEbEEZZNS1_14partition_implILS5_5ELb0ES3_mN6thrust23THRUST_200600_302600_NS6detail15normal_iteratorINSA_10device_ptrIdEEEEPS6_NSA_18transform_iteratorINSB_9not_fun_tI7is_trueIdEEESF_NSA_11use_defaultESM_EENS0_5tupleIJSF_S6_EEENSO_IJSG_SG_EEES6_PlJS6_EEE10hipError_tPvRmT3_T4_T5_T6_T7_T9_mT8_P12ihipStream_tbDpT10_ENKUlT_T0_E_clISt17integral_constantIbLb0EES1A_IbLb1EEEEDaS16_S17_EUlS16_E_NS1_11comp_targetILNS1_3genE2ELNS1_11target_archE906ELNS1_3gpuE6ELNS1_3repE0EEENS1_30default_config_static_selectorELNS0_4arch9wavefront6targetE0EEEvT1_.uses_flat_scratch, 0
	.set _ZN7rocprim17ROCPRIM_400000_NS6detail17trampoline_kernelINS0_14default_configENS1_25partition_config_selectorILNS1_17partition_subalgoE5EdNS0_10empty_typeEbEEZZNS1_14partition_implILS5_5ELb0ES3_mN6thrust23THRUST_200600_302600_NS6detail15normal_iteratorINSA_10device_ptrIdEEEEPS6_NSA_18transform_iteratorINSB_9not_fun_tI7is_trueIdEEESF_NSA_11use_defaultESM_EENS0_5tupleIJSF_S6_EEENSO_IJSG_SG_EEES6_PlJS6_EEE10hipError_tPvRmT3_T4_T5_T6_T7_T9_mT8_P12ihipStream_tbDpT10_ENKUlT_T0_E_clISt17integral_constantIbLb0EES1A_IbLb1EEEEDaS16_S17_EUlS16_E_NS1_11comp_targetILNS1_3genE2ELNS1_11target_archE906ELNS1_3gpuE6ELNS1_3repE0EEENS1_30default_config_static_selectorELNS0_4arch9wavefront6targetE0EEEvT1_.has_dyn_sized_stack, 0
	.set _ZN7rocprim17ROCPRIM_400000_NS6detail17trampoline_kernelINS0_14default_configENS1_25partition_config_selectorILNS1_17partition_subalgoE5EdNS0_10empty_typeEbEEZZNS1_14partition_implILS5_5ELb0ES3_mN6thrust23THRUST_200600_302600_NS6detail15normal_iteratorINSA_10device_ptrIdEEEEPS6_NSA_18transform_iteratorINSB_9not_fun_tI7is_trueIdEEESF_NSA_11use_defaultESM_EENS0_5tupleIJSF_S6_EEENSO_IJSG_SG_EEES6_PlJS6_EEE10hipError_tPvRmT3_T4_T5_T6_T7_T9_mT8_P12ihipStream_tbDpT10_ENKUlT_T0_E_clISt17integral_constantIbLb0EES1A_IbLb1EEEEDaS16_S17_EUlS16_E_NS1_11comp_targetILNS1_3genE2ELNS1_11target_archE906ELNS1_3gpuE6ELNS1_3repE0EEENS1_30default_config_static_selectorELNS0_4arch9wavefront6targetE0EEEvT1_.has_recursion, 0
	.set _ZN7rocprim17ROCPRIM_400000_NS6detail17trampoline_kernelINS0_14default_configENS1_25partition_config_selectorILNS1_17partition_subalgoE5EdNS0_10empty_typeEbEEZZNS1_14partition_implILS5_5ELb0ES3_mN6thrust23THRUST_200600_302600_NS6detail15normal_iteratorINSA_10device_ptrIdEEEEPS6_NSA_18transform_iteratorINSB_9not_fun_tI7is_trueIdEEESF_NSA_11use_defaultESM_EENS0_5tupleIJSF_S6_EEENSO_IJSG_SG_EEES6_PlJS6_EEE10hipError_tPvRmT3_T4_T5_T6_T7_T9_mT8_P12ihipStream_tbDpT10_ENKUlT_T0_E_clISt17integral_constantIbLb0EES1A_IbLb1EEEEDaS16_S17_EUlS16_E_NS1_11comp_targetILNS1_3genE2ELNS1_11target_archE906ELNS1_3gpuE6ELNS1_3repE0EEENS1_30default_config_static_selectorELNS0_4arch9wavefront6targetE0EEEvT1_.has_indirect_call, 0
	.section	.AMDGPU.csdata,"",@progbits
; Kernel info:
; codeLenInByte = 0
; TotalNumSgprs: 0
; NumVgprs: 0
; ScratchSize: 0
; MemoryBound: 0
; FloatMode: 240
; IeeeMode: 1
; LDSByteSize: 0 bytes/workgroup (compile time only)
; SGPRBlocks: 0
; VGPRBlocks: 0
; NumSGPRsForWavesPerEU: 1
; NumVGPRsForWavesPerEU: 1
; Occupancy: 16
; WaveLimiterHint : 0
; COMPUTE_PGM_RSRC2:SCRATCH_EN: 0
; COMPUTE_PGM_RSRC2:USER_SGPR: 2
; COMPUTE_PGM_RSRC2:TRAP_HANDLER: 0
; COMPUTE_PGM_RSRC2:TGID_X_EN: 1
; COMPUTE_PGM_RSRC2:TGID_Y_EN: 0
; COMPUTE_PGM_RSRC2:TGID_Z_EN: 0
; COMPUTE_PGM_RSRC2:TIDIG_COMP_CNT: 0
	.section	.text._ZN7rocprim17ROCPRIM_400000_NS6detail17trampoline_kernelINS0_14default_configENS1_25partition_config_selectorILNS1_17partition_subalgoE5EdNS0_10empty_typeEbEEZZNS1_14partition_implILS5_5ELb0ES3_mN6thrust23THRUST_200600_302600_NS6detail15normal_iteratorINSA_10device_ptrIdEEEEPS6_NSA_18transform_iteratorINSB_9not_fun_tI7is_trueIdEEESF_NSA_11use_defaultESM_EENS0_5tupleIJSF_S6_EEENSO_IJSG_SG_EEES6_PlJS6_EEE10hipError_tPvRmT3_T4_T5_T6_T7_T9_mT8_P12ihipStream_tbDpT10_ENKUlT_T0_E_clISt17integral_constantIbLb0EES1A_IbLb1EEEEDaS16_S17_EUlS16_E_NS1_11comp_targetILNS1_3genE10ELNS1_11target_archE1200ELNS1_3gpuE4ELNS1_3repE0EEENS1_30default_config_static_selectorELNS0_4arch9wavefront6targetE0EEEvT1_,"axG",@progbits,_ZN7rocprim17ROCPRIM_400000_NS6detail17trampoline_kernelINS0_14default_configENS1_25partition_config_selectorILNS1_17partition_subalgoE5EdNS0_10empty_typeEbEEZZNS1_14partition_implILS5_5ELb0ES3_mN6thrust23THRUST_200600_302600_NS6detail15normal_iteratorINSA_10device_ptrIdEEEEPS6_NSA_18transform_iteratorINSB_9not_fun_tI7is_trueIdEEESF_NSA_11use_defaultESM_EENS0_5tupleIJSF_S6_EEENSO_IJSG_SG_EEES6_PlJS6_EEE10hipError_tPvRmT3_T4_T5_T6_T7_T9_mT8_P12ihipStream_tbDpT10_ENKUlT_T0_E_clISt17integral_constantIbLb0EES1A_IbLb1EEEEDaS16_S17_EUlS16_E_NS1_11comp_targetILNS1_3genE10ELNS1_11target_archE1200ELNS1_3gpuE4ELNS1_3repE0EEENS1_30default_config_static_selectorELNS0_4arch9wavefront6targetE0EEEvT1_,comdat
	.protected	_ZN7rocprim17ROCPRIM_400000_NS6detail17trampoline_kernelINS0_14default_configENS1_25partition_config_selectorILNS1_17partition_subalgoE5EdNS0_10empty_typeEbEEZZNS1_14partition_implILS5_5ELb0ES3_mN6thrust23THRUST_200600_302600_NS6detail15normal_iteratorINSA_10device_ptrIdEEEEPS6_NSA_18transform_iteratorINSB_9not_fun_tI7is_trueIdEEESF_NSA_11use_defaultESM_EENS0_5tupleIJSF_S6_EEENSO_IJSG_SG_EEES6_PlJS6_EEE10hipError_tPvRmT3_T4_T5_T6_T7_T9_mT8_P12ihipStream_tbDpT10_ENKUlT_T0_E_clISt17integral_constantIbLb0EES1A_IbLb1EEEEDaS16_S17_EUlS16_E_NS1_11comp_targetILNS1_3genE10ELNS1_11target_archE1200ELNS1_3gpuE4ELNS1_3repE0EEENS1_30default_config_static_selectorELNS0_4arch9wavefront6targetE0EEEvT1_ ; -- Begin function _ZN7rocprim17ROCPRIM_400000_NS6detail17trampoline_kernelINS0_14default_configENS1_25partition_config_selectorILNS1_17partition_subalgoE5EdNS0_10empty_typeEbEEZZNS1_14partition_implILS5_5ELb0ES3_mN6thrust23THRUST_200600_302600_NS6detail15normal_iteratorINSA_10device_ptrIdEEEEPS6_NSA_18transform_iteratorINSB_9not_fun_tI7is_trueIdEEESF_NSA_11use_defaultESM_EENS0_5tupleIJSF_S6_EEENSO_IJSG_SG_EEES6_PlJS6_EEE10hipError_tPvRmT3_T4_T5_T6_T7_T9_mT8_P12ihipStream_tbDpT10_ENKUlT_T0_E_clISt17integral_constantIbLb0EES1A_IbLb1EEEEDaS16_S17_EUlS16_E_NS1_11comp_targetILNS1_3genE10ELNS1_11target_archE1200ELNS1_3gpuE4ELNS1_3repE0EEENS1_30default_config_static_selectorELNS0_4arch9wavefront6targetE0EEEvT1_
	.globl	_ZN7rocprim17ROCPRIM_400000_NS6detail17trampoline_kernelINS0_14default_configENS1_25partition_config_selectorILNS1_17partition_subalgoE5EdNS0_10empty_typeEbEEZZNS1_14partition_implILS5_5ELb0ES3_mN6thrust23THRUST_200600_302600_NS6detail15normal_iteratorINSA_10device_ptrIdEEEEPS6_NSA_18transform_iteratorINSB_9not_fun_tI7is_trueIdEEESF_NSA_11use_defaultESM_EENS0_5tupleIJSF_S6_EEENSO_IJSG_SG_EEES6_PlJS6_EEE10hipError_tPvRmT3_T4_T5_T6_T7_T9_mT8_P12ihipStream_tbDpT10_ENKUlT_T0_E_clISt17integral_constantIbLb0EES1A_IbLb1EEEEDaS16_S17_EUlS16_E_NS1_11comp_targetILNS1_3genE10ELNS1_11target_archE1200ELNS1_3gpuE4ELNS1_3repE0EEENS1_30default_config_static_selectorELNS0_4arch9wavefront6targetE0EEEvT1_
	.p2align	8
	.type	_ZN7rocprim17ROCPRIM_400000_NS6detail17trampoline_kernelINS0_14default_configENS1_25partition_config_selectorILNS1_17partition_subalgoE5EdNS0_10empty_typeEbEEZZNS1_14partition_implILS5_5ELb0ES3_mN6thrust23THRUST_200600_302600_NS6detail15normal_iteratorINSA_10device_ptrIdEEEEPS6_NSA_18transform_iteratorINSB_9not_fun_tI7is_trueIdEEESF_NSA_11use_defaultESM_EENS0_5tupleIJSF_S6_EEENSO_IJSG_SG_EEES6_PlJS6_EEE10hipError_tPvRmT3_T4_T5_T6_T7_T9_mT8_P12ihipStream_tbDpT10_ENKUlT_T0_E_clISt17integral_constantIbLb0EES1A_IbLb1EEEEDaS16_S17_EUlS16_E_NS1_11comp_targetILNS1_3genE10ELNS1_11target_archE1200ELNS1_3gpuE4ELNS1_3repE0EEENS1_30default_config_static_selectorELNS0_4arch9wavefront6targetE0EEEvT1_,@function
_ZN7rocprim17ROCPRIM_400000_NS6detail17trampoline_kernelINS0_14default_configENS1_25partition_config_selectorILNS1_17partition_subalgoE5EdNS0_10empty_typeEbEEZZNS1_14partition_implILS5_5ELb0ES3_mN6thrust23THRUST_200600_302600_NS6detail15normal_iteratorINSA_10device_ptrIdEEEEPS6_NSA_18transform_iteratorINSB_9not_fun_tI7is_trueIdEEESF_NSA_11use_defaultESM_EENS0_5tupleIJSF_S6_EEENSO_IJSG_SG_EEES6_PlJS6_EEE10hipError_tPvRmT3_T4_T5_T6_T7_T9_mT8_P12ihipStream_tbDpT10_ENKUlT_T0_E_clISt17integral_constantIbLb0EES1A_IbLb1EEEEDaS16_S17_EUlS16_E_NS1_11comp_targetILNS1_3genE10ELNS1_11target_archE1200ELNS1_3gpuE4ELNS1_3repE0EEENS1_30default_config_static_selectorELNS0_4arch9wavefront6targetE0EEEvT1_: ; @_ZN7rocprim17ROCPRIM_400000_NS6detail17trampoline_kernelINS0_14default_configENS1_25partition_config_selectorILNS1_17partition_subalgoE5EdNS0_10empty_typeEbEEZZNS1_14partition_implILS5_5ELb0ES3_mN6thrust23THRUST_200600_302600_NS6detail15normal_iteratorINSA_10device_ptrIdEEEEPS6_NSA_18transform_iteratorINSB_9not_fun_tI7is_trueIdEEESF_NSA_11use_defaultESM_EENS0_5tupleIJSF_S6_EEENSO_IJSG_SG_EEES6_PlJS6_EEE10hipError_tPvRmT3_T4_T5_T6_T7_T9_mT8_P12ihipStream_tbDpT10_ENKUlT_T0_E_clISt17integral_constantIbLb0EES1A_IbLb1EEEEDaS16_S17_EUlS16_E_NS1_11comp_targetILNS1_3genE10ELNS1_11target_archE1200ELNS1_3gpuE4ELNS1_3repE0EEENS1_30default_config_static_selectorELNS0_4arch9wavefront6targetE0EEEvT1_
; %bb.0:
	s_clause 0x3
	s_load_b64 s[12:13], s[0:1], 0x30
	s_load_b128 s[4:7], s[0:1], 0x48
	s_load_b64 s[18:19], s[0:1], 0x58
	s_load_b64 s[14:15], s[0:1], 0x68
	v_cmp_eq_u32_e64 s2, 0, v0
	s_and_saveexec_b32 s3, s2
	s_cbranch_execz .LBB1331_4
; %bb.1:
	s_mov_b32 s9, exec_lo
	s_mov_b32 s8, exec_lo
	v_mbcnt_lo_u32_b32 v1, s9, 0
                                        ; implicit-def: $vgpr2
	s_delay_alu instid0(VALU_DEP_1)
	v_cmpx_eq_u32_e32 0, v1
	s_cbranch_execz .LBB1331_3
; %bb.2:
	s_load_b64 s[10:11], s[0:1], 0x78
	s_bcnt1_i32_b32 s9, s9
	s_wait_alu 0xfffe
	v_dual_mov_b32 v2, 0 :: v_dual_mov_b32 v3, s9
	s_wait_kmcnt 0x0
	global_atomic_add_u32 v2, v2, v3, s[10:11] th:TH_ATOMIC_RETURN scope:SCOPE_DEV
.LBB1331_3:
	s_or_b32 exec_lo, exec_lo, s8
	s_wait_loadcnt 0x0
	v_readfirstlane_b32 s8, v2
	s_wait_alu 0xf1ff
	s_delay_alu instid0(VALU_DEP_1)
	v_dual_mov_b32 v2, 0 :: v_dual_add_nc_u32 v1, s8, v1
	ds_store_b32 v2, v1
.LBB1331_4:
	s_or_b32 exec_lo, exec_lo, s3
	v_mov_b32_e32 v1, 0
	s_clause 0x2
	s_load_b128 s[8:11], s[0:1], 0x8
	s_load_b64 s[16:17], s[0:1], 0x20
	s_load_b32 s0, s[0:1], 0x70
	s_wait_dscnt 0x0
	s_barrier_signal -1
	s_barrier_wait -1
	global_inv scope:SCOPE_SE
	ds_load_b32 v2, v1
	s_wait_loadcnt_dscnt 0x0
	s_barrier_signal -1
	s_barrier_wait -1
	global_inv scope:SCOPE_SE
	s_wait_kmcnt 0x0
	global_load_b64 v[17:18], v1, s[6:7]
	s_lshl_b64 s[6:7], s[10:11], 3
	s_delay_alu instid0(SALU_CYCLE_1)
	s_add_nc_u64 s[22:23], s[8:9], s[6:7]
	s_mul_i32 s8, s0, 0x500
	s_mov_b32 s9, 0
	s_wait_alu 0xfffe
	s_add_co_i32 s3, s8, s10
	s_add_co_i32 s21, s0, -1
	v_readfirstlane_b32 s20, v2
	s_add_nc_u64 s[0:1], s[10:11], s[8:9]
	s_sub_co_i32 s3, s18, s3
	v_cmp_le_u64_e64 s0, s[18:19], s[0:1]
	s_addk_co_i32 s3, 0x500
	s_cmp_eq_u32 s20, s21
	s_mul_i32 s8, s20, 0x500
	s_cselect_b32 s18, -1, 0
	s_wait_alu 0xfffe
	s_lshl_b64 s[8:9], s[8:9], 3
	s_and_b32 s0, s0, s18
	s_mov_b32 s1, -1
	s_wait_alu 0xfffe
	s_xor_b32 s19, s0, -1
	s_add_nc_u64 s[10:11], s[22:23], s[8:9]
	s_wait_alu 0xfffe
	s_and_b32 vcc_lo, exec_lo, s19
	s_cbranch_vccz .LBB1331_6
; %bb.5:
	v_lshlrev_b32_e32 v11, 3, v0
	s_mov_b32 s1, 0
	s_delay_alu instid0(VALU_DEP_1)
	v_add_co_u32 v1, s0, s10, v11
	s_wait_alu 0xf1ff
	v_add_co_ci_u32_e64 v2, null, s11, 0, s0
	s_clause 0x4
	flat_load_b64 v[3:4], v[1:2]
	flat_load_b64 v[5:6], v[1:2] offset:2048
	flat_load_b64 v[7:8], v[1:2] offset:4096
	flat_load_b64 v[9:10], v[1:2] offset:6144
	flat_load_b64 v[1:2], v[1:2] offset:8192
	s_wait_loadcnt_dscnt 0x303
	ds_store_2addr_stride64_b64 v11, v[3:4], v[5:6] offset1:4
	s_wait_loadcnt_dscnt 0x102
	ds_store_2addr_stride64_b64 v11, v[7:8], v[9:10] offset0:8 offset1:12
	s_wait_loadcnt_dscnt 0x2
	ds_store_b64 v11, v[1:2] offset:8192
	s_wait_dscnt 0x0
	s_barrier_signal -1
	s_barrier_wait -1
.LBB1331_6:
	v_cmp_gt_u32_e64 s0, s3, v0
	s_wait_alu 0xfffe
	s_and_not1_b32 vcc_lo, exec_lo, s1
	s_cbranch_vccnz .LBB1331_18
; %bb.7:
	v_mov_b32_e32 v1, 0
	s_delay_alu instid0(VALU_DEP_1)
	v_dual_mov_b32 v2, v1 :: v_dual_mov_b32 v3, v1
	v_dual_mov_b32 v4, v1 :: v_dual_mov_b32 v5, v1
	;; [unrolled: 1-line block ×4, first 2 shown]
	v_mov_b32_e32 v10, v1
	s_and_saveexec_b32 s1, s0
	s_cbranch_execz .LBB1331_9
; %bb.8:
	v_dual_mov_b32 v5, v1 :: v_dual_lshlrev_b32 v2, 3, v0
	v_dual_mov_b32 v4, v1 :: v_dual_mov_b32 v7, v1
	v_dual_mov_b32 v6, v1 :: v_dual_mov_b32 v9, v1
	s_delay_alu instid0(VALU_DEP_3)
	v_add_co_u32 v2, s0, s10, v2
	s_wait_alu 0xf1ff
	v_add_co_ci_u32_e64 v3, null, s11, 0, s0
	v_dual_mov_b32 v8, v1 :: v_dual_mov_b32 v11, v1
	v_mov_b32_e32 v10, v1
	flat_load_b64 v[2:3], v[2:3]
	s_wait_loadcnt_dscnt 0x0
	v_mov_b32_e32 v1, v2
	v_mov_b32_e32 v2, v3
	;; [unrolled: 1-line block ×16, first 2 shown]
.LBB1331_9:
	s_wait_alu 0xfffe
	s_or_b32 exec_lo, exec_lo, s1
	v_or_b32_e32 v11, 0x100, v0
	s_mov_b32 s0, exec_lo
	s_delay_alu instid0(VALU_DEP_1)
	v_cmpx_gt_u32_e64 s3, v11
	s_cbranch_execz .LBB1331_11
; %bb.10:
	v_lshlrev_b32_e32 v3, 3, v0
	s_delay_alu instid0(VALU_DEP_1)
	v_add_co_u32 v3, s1, s10, v3
	s_wait_alu 0xf1ff
	v_add_co_ci_u32_e64 v4, null, s11, 0, s1
	flat_load_b64 v[3:4], v[3:4] offset:2048
.LBB1331_11:
	s_wait_alu 0xfffe
	s_or_b32 exec_lo, exec_lo, s0
	v_or_b32_e32 v11, 0x200, v0
	s_mov_b32 s0, exec_lo
	s_delay_alu instid0(VALU_DEP_1)
	v_cmpx_gt_u32_e64 s3, v11
	s_cbranch_execz .LBB1331_13
; %bb.12:
	v_lshlrev_b32_e32 v5, 3, v0
	s_delay_alu instid0(VALU_DEP_1)
	v_add_co_u32 v5, s1, s10, v5
	s_wait_alu 0xf1ff
	v_add_co_ci_u32_e64 v6, null, s11, 0, s1
	flat_load_b64 v[5:6], v[5:6] offset:4096
.LBB1331_13:
	;; [unrolled: 15-line block ×4, first 2 shown]
	s_wait_alu 0xfffe
	s_or_b32 exec_lo, exec_lo, s0
	v_lshlrev_b32_e32 v11, 3, v0
	s_wait_loadcnt_dscnt 0x0
	ds_store_2addr_stride64_b64 v11, v[1:2], v[3:4] offset1:4
	ds_store_2addr_stride64_b64 v11, v[5:6], v[7:8] offset0:8 offset1:12
	ds_store_b64 v11, v[9:10] offset:8192
	s_wait_dscnt 0x0
	s_barrier_signal -1
	s_barrier_wait -1
.LBB1331_18:
	v_mul_u32_u24_e32 v1, 5, v0
	s_wait_loadcnt 0x0
	global_inv scope:SCOPE_SE
	s_add_nc_u64 s[0:1], s[16:17], s[6:7]
	s_and_b32 vcc_lo, exec_lo, s19
	s_wait_alu 0xfffe
	s_add_nc_u64 s[0:1], s[0:1], s[8:9]
	v_lshlrev_b32_e32 v9, 3, v1
	s_mov_b32 s6, -1
	ds_load_2addr_b64 v[5:8], v9 offset1:1
	ds_load_2addr_b64 v[1:4], v9 offset0:2 offset1:3
	ds_load_b64 v[19:20], v9 offset:32
	s_wait_loadcnt_dscnt 0x0
	s_barrier_signal -1
	s_barrier_wait -1
	global_inv scope:SCOPE_SE
	s_cbranch_vccz .LBB1331_20
; %bb.19:
	v_lshlrev_b32_e32 v16, 3, v0
	s_mov_b32 s6, 0
	s_clause 0x4
	global_load_b64 v[10:11], v16, s[0:1]
	global_load_b64 v[12:13], v16, s[0:1] offset:2048
	global_load_b64 v[14:15], v16, s[0:1] offset:4096
	;; [unrolled: 1-line block ×4, first 2 shown]
	s_wait_loadcnt 0x4
	v_cmp_eq_f64_e32 vcc_lo, 0, v[10:11]
	v_cndmask_b32_e64 v10, 0, 1, vcc_lo
	s_wait_loadcnt 0x3
	v_cmp_eq_f64_e32 vcc_lo, 0, v[12:13]
	s_wait_alu 0xfffd
	v_cndmask_b32_e64 v11, 0, 1, vcc_lo
	s_wait_loadcnt 0x2
	v_cmp_eq_f64_e32 vcc_lo, 0, v[14:15]
	s_wait_alu 0xfffd
	;; [unrolled: 4-line block ×4, first 2 shown]
	v_cndmask_b32_e64 v14, 0, 1, vcc_lo
	ds_store_b8 v0, v10
	ds_store_b8 v0, v11 offset:256
	ds_store_b8 v0, v12 offset:512
	;; [unrolled: 1-line block ×4, first 2 shown]
	s_wait_dscnt 0x0
	s_barrier_signal -1
	s_barrier_wait -1
.LBB1331_20:
	s_and_not1_b32 vcc_lo, exec_lo, s6
	s_wait_alu 0xfffe
	s_cbranch_vccnz .LBB1331_32
; %bb.21:
	v_mov_b32_e32 v12, 0
	s_mov_b32 s7, 0
	s_mov_b32 s6, exec_lo
	s_delay_alu instid0(VALU_DEP_1)
	v_dual_mov_b32 v10, v12 :: v_dual_mov_b32 v11, v12
	v_cmpx_gt_u32_e64 s3, v0
	s_cbranch_execz .LBB1331_23
; %bb.22:
	v_lshlrev_b32_e32 v10, 3, v0
	global_load_b64 v[10:11], v10, s[0:1]
	s_wait_loadcnt 0x0
	v_cmp_eq_f64_e32 vcc_lo, 0, v[10:11]
	v_mov_b32_e32 v10, s7
	s_wait_alu 0xfffd
	v_cndmask_b32_e64 v12, 0, 1, vcc_lo
	s_delay_alu instid0(VALU_DEP_1)
	v_mov_b32_e32 v11, v12
.LBB1331_23:
	s_or_b32 exec_lo, exec_lo, s6
	v_or_b32_e32 v13, 0x100, v0
	s_mov_b32 s6, exec_lo
	s_delay_alu instid0(VALU_DEP_1)
	v_cmpx_gt_u32_e64 s3, v13
	s_cbranch_execz .LBB1331_25
; %bb.24:
	v_lshlrev_b32_e32 v13, 3, v0
	v_lshrrev_b32_e32 v15, 24, v12
	v_lshrrev_b32_e32 v16, 16, v12
	v_and_b32_e32 v12, 0xff, v12
	v_and_b32_e32 v10, 0xff, v10
	global_load_b64 v[13:14], v13, s[0:1] offset:2048
	s_wait_loadcnt 0x0
	v_cmp_eq_f64_e32 vcc_lo, 0, v[13:14]
	v_lshlrev_b16 v14, 8, v15
	v_and_b32_e32 v15, 0xff, v16
	s_delay_alu instid0(VALU_DEP_1) | instskip(SKIP_2) | instid1(VALU_DEP_1)
	v_or_b32_e32 v14, v15, v14
	s_wait_alu 0xfffd
	v_cndmask_b32_e64 v13, 0, 1, vcc_lo
	v_lshlrev_b16 v13, 8, v13
	s_delay_alu instid0(VALU_DEP_1) | instskip(SKIP_1) | instid1(VALU_DEP_2)
	v_or_b32_e32 v12, v12, v13
	v_lshlrev_b32_e32 v13, 16, v14
	v_and_b32_e32 v12, 0xffff, v12
	s_delay_alu instid0(VALU_DEP_1)
	v_or_b32_e32 v12, v12, v13
.LBB1331_25:
	s_wait_alu 0xfffe
	s_or_b32 exec_lo, exec_lo, s6
	v_or_b32_e32 v13, 0x200, v0
	s_mov_b32 s6, exec_lo
	s_delay_alu instid0(VALU_DEP_1)
	v_cmpx_gt_u32_e64 s3, v13
	s_cbranch_execz .LBB1331_27
; %bb.26:
	v_lshlrev_b32_e32 v13, 3, v0
	v_lshrrev_b32_e32 v15, 24, v12
	v_perm_b32 v12, v12, v12, 0xc0c0104
	v_and_b32_e32 v10, 0xff, v10
	global_load_b64 v[13:14], v13, s[0:1] offset:4096
	v_lshlrev_b16 v15, 8, v15
	s_wait_loadcnt 0x0
	v_cmp_eq_f64_e32 vcc_lo, 0, v[13:14]
	s_wait_alu 0xfffd
	v_cndmask_b32_e64 v13, 0, 1, vcc_lo
	s_delay_alu instid0(VALU_DEP_1) | instskip(NEXT) | instid1(VALU_DEP_1)
	v_or_b32_e32 v13, v13, v15
	v_lshlrev_b32_e32 v13, 16, v13
	s_delay_alu instid0(VALU_DEP_1)
	v_or_b32_e32 v12, v12, v13
.LBB1331_27:
	s_wait_alu 0xfffe
	s_or_b32 exec_lo, exec_lo, s6
	v_or_b32_e32 v13, 0x300, v0
	s_mov_b32 s6, exec_lo
	s_delay_alu instid0(VALU_DEP_1)
	v_cmpx_gt_u32_e64 s3, v13
	s_cbranch_execz .LBB1331_29
; %bb.28:
	v_lshlrev_b32_e32 v13, 3, v0
	v_lshrrev_b32_e32 v15, 16, v12
	v_perm_b32 v12, v12, v12, 0xc0c0104
	v_and_b32_e32 v10, 0xff, v10
	global_load_b64 v[13:14], v13, s[0:1] offset:6144
	s_wait_loadcnt 0x0
	v_cmp_eq_f64_e32 vcc_lo, 0, v[13:14]
	v_and_b32_e32 v14, 0xff, v15
	s_wait_alu 0xfffd
	v_cndmask_b32_e64 v13, 0, 1, vcc_lo
	s_delay_alu instid0(VALU_DEP_1) | instskip(NEXT) | instid1(VALU_DEP_1)
	v_lshlrev_b16 v13, 8, v13
	v_or_b32_e32 v13, v14, v13
	s_delay_alu instid0(VALU_DEP_1) | instskip(NEXT) | instid1(VALU_DEP_1)
	v_lshlrev_b32_e32 v13, 16, v13
	v_or_b32_e32 v12, v12, v13
.LBB1331_29:
	s_wait_alu 0xfffe
	s_or_b32 exec_lo, exec_lo, s6
	v_or_b32_e32 v13, 0x400, v0
	s_delay_alu instid0(VALU_DEP_1)
	v_cmp_gt_u32_e32 vcc_lo, s3, v13
	s_and_saveexec_b32 s3, vcc_lo
	s_cbranch_execz .LBB1331_31
; %bb.30:
	v_lshlrev_b32_e32 v10, 3, v0
	v_perm_b32 v12, v12, v12, 0x3020104
	global_load_b64 v[13:14], v10, s[0:1] offset:8192
	s_wait_loadcnt 0x0
	v_cmp_eq_f64_e32 vcc_lo, 0, v[13:14]
	s_wait_alu 0xfffd
	v_cndmask_b32_e64 v10, 0, 1, vcc_lo
.LBB1331_31:
	s_wait_alu 0xfffe
	s_or_b32 exec_lo, exec_lo, s3
	v_lshrrev_b32_e32 v13, 8, v12
	v_lshrrev_b32_e32 v14, 24, v12
	ds_store_b8 v0, v11
	ds_store_b8 v0, v13 offset:256
	ds_store_b8_d16_hi v0, v12 offset:512
	ds_store_b8 v0, v14 offset:768
	ds_store_b8 v0, v10 offset:1024
	s_wait_loadcnt_dscnt 0x0
	s_barrier_signal -1
	s_barrier_wait -1
.LBB1331_32:
	v_mad_i32_i24 v30, 0xffffffdd, v0, v9
	s_wait_loadcnt 0x0
	global_inv scope:SCOPE_SE
	v_mbcnt_lo_u32_b32 v29, -1, 0
	s_cmp_lg_u32 s20, 0
	s_mov_b32 s1, -1
	ds_load_u8 v9, v30
	ds_load_u8 v10, v30 offset:1
	ds_load_u8 v11, v30 offset:2
	;; [unrolled: 1-line block ×4, first 2 shown]
	s_wait_loadcnt_dscnt 0x0
	v_and_b32_e32 v36, 15, v29
	s_barrier_signal -1
	s_barrier_wait -1
	global_inv scope:SCOPE_SE
	v_and_b32_e32 v35, 1, v9
	v_and_b32_e32 v34, 1, v10
	v_dual_mov_b32 v10, 0 :: v_dual_and_b32 v33, 1, v11
	v_and_b32_e32 v31, 1, v12
	v_and_b32_e32 v32, 1, v13
	s_delay_alu instid0(VALU_DEP_3) | instskip(NEXT) | instid1(VALU_DEP_1)
	v_add3_u32 v9, v34, v35, v33
	v_add_co_u32 v9, s0, v9, v31
	s_wait_alu 0xf1ff
	v_add_co_ci_u32_e64 v11, null, 0, 0, s0
	v_cmp_ne_u32_e64 s0, 0, v36
	s_delay_alu instid0(VALU_DEP_3) | instskip(SKIP_1) | instid1(VALU_DEP_3)
	v_add_co_u32 v21, vcc_lo, v9, v32
	s_wait_alu 0xfffd
	v_add_co_ci_u32_e64 v22, null, 0, v11, vcc_lo
	s_cbranch_scc0 .LBB1331_89
; %bb.33:
	v_mov_b32_e32 v11, v21
	v_mov_b32_dpp v9, v21 row_shr:1 row_mask:0xf bank_mask:0xf
	v_mov_b32_dpp v14, v10 row_shr:1 row_mask:0xf bank_mask:0xf
	v_dual_mov_b32 v13, v21 :: v_dual_mov_b32 v12, v22
	s_and_saveexec_b32 s1, s0
; %bb.34:
	s_delay_alu instid0(VALU_DEP_3) | instskip(SKIP_2) | instid1(VALU_DEP_2)
	v_add_co_u32 v13, vcc_lo, v21, v9
	s_wait_alu 0xfffd
	v_add_co_ci_u32_e64 v10, null, 0, v22, vcc_lo
	v_add_co_u32 v9, vcc_lo, 0, v13
	s_wait_alu 0xfffd
	s_delay_alu instid0(VALU_DEP_2) | instskip(NEXT) | instid1(VALU_DEP_1)
	v_add_co_ci_u32_e64 v10, null, v14, v10, vcc_lo
	v_dual_mov_b32 v12, v10 :: v_dual_mov_b32 v11, v9
; %bb.35:
	s_wait_alu 0xfffe
	s_or_b32 exec_lo, exec_lo, s1
	v_mov_b32_dpp v9, v13 row_shr:2 row_mask:0xf bank_mask:0xf
	v_mov_b32_dpp v14, v10 row_shr:2 row_mask:0xf bank_mask:0xf
	s_mov_b32 s1, exec_lo
	v_cmpx_lt_u32_e32 1, v36
; %bb.36:
	s_delay_alu instid0(VALU_DEP_3) | instskip(SKIP_2) | instid1(VALU_DEP_2)
	v_add_co_u32 v13, vcc_lo, v11, v9
	s_wait_alu 0xfffd
	v_add_co_ci_u32_e64 v10, null, 0, v12, vcc_lo
	v_add_co_u32 v9, vcc_lo, 0, v13
	s_wait_alu 0xfffd
	s_delay_alu instid0(VALU_DEP_2) | instskip(NEXT) | instid1(VALU_DEP_1)
	v_add_co_ci_u32_e64 v10, null, v14, v10, vcc_lo
	v_dual_mov_b32 v12, v10 :: v_dual_mov_b32 v11, v9
; %bb.37:
	s_wait_alu 0xfffe
	s_or_b32 exec_lo, exec_lo, s1
	v_mov_b32_dpp v9, v13 row_shr:4 row_mask:0xf bank_mask:0xf
	v_mov_b32_dpp v14, v10 row_shr:4 row_mask:0xf bank_mask:0xf
	s_mov_b32 s1, exec_lo
	v_cmpx_lt_u32_e32 3, v36
	;; [unrolled: 17-line block ×3, first 2 shown]
; %bb.40:
	s_delay_alu instid0(VALU_DEP_3) | instskip(SKIP_2) | instid1(VALU_DEP_2)
	v_add_co_u32 v13, vcc_lo, v11, v14
	s_wait_alu 0xfffd
	v_add_co_ci_u32_e64 v10, null, 0, v12, vcc_lo
	v_add_co_u32 v11, vcc_lo, 0, v13
	s_wait_alu 0xfffd
	s_delay_alu instid0(VALU_DEP_2) | instskip(NEXT) | instid1(VALU_DEP_1)
	v_add_co_ci_u32_e64 v12, null, v9, v10, vcc_lo
	v_mov_b32_e32 v10, v12
; %bb.41:
	s_wait_alu 0xfffe
	s_or_b32 exec_lo, exec_lo, s1
	ds_swizzle_b32 v9, v13 offset:swizzle(BROADCAST,32,15)
	ds_swizzle_b32 v14, v10 offset:swizzle(BROADCAST,32,15)
	v_and_b32_e32 v15, 16, v29
	s_mov_b32 s1, exec_lo
	s_delay_alu instid0(VALU_DEP_1)
	v_cmpx_ne_u32_e32 0, v15
	s_cbranch_execz .LBB1331_43
; %bb.42:
	s_wait_dscnt 0x1
	v_add_co_u32 v13, vcc_lo, v11, v9
	s_wait_alu 0xfffd
	v_add_co_ci_u32_e64 v10, null, 0, v12, vcc_lo
	s_delay_alu instid0(VALU_DEP_2) | instskip(SKIP_2) | instid1(VALU_DEP_2)
	v_add_co_u32 v9, vcc_lo, 0, v13
	s_wait_dscnt 0x0
	s_wait_alu 0xfffd
	v_add_co_ci_u32_e64 v10, null, v14, v10, vcc_lo
	s_delay_alu instid0(VALU_DEP_1)
	v_dual_mov_b32 v12, v10 :: v_dual_mov_b32 v11, v9
.LBB1331_43:
	s_wait_alu 0xfffe
	s_or_b32 exec_lo, exec_lo, s1
	s_wait_dscnt 0x0
	v_or_b32_e32 v14, 31, v0
	v_lshrrev_b32_e32 v9, 5, v0
	s_mov_b32 s1, exec_lo
	s_delay_alu instid0(VALU_DEP_2)
	v_cmpx_eq_u32_e64 v0, v14
; %bb.44:
	s_delay_alu instid0(VALU_DEP_2)
	v_lshlrev_b32_e32 v14, 3, v9
	ds_store_b64 v14, v[11:12]
; %bb.45:
	s_wait_alu 0xfffe
	s_or_b32 exec_lo, exec_lo, s1
	s_delay_alu instid0(SALU_CYCLE_1)
	s_mov_b32 s1, exec_lo
	s_wait_loadcnt_dscnt 0x0
	s_barrier_signal -1
	s_barrier_wait -1
	global_inv scope:SCOPE_SE
	v_cmpx_gt_u32_e32 8, v0
	s_cbranch_execz .LBB1331_53
; %bb.46:
	v_lshlrev_b32_e32 v14, 3, v0
	s_mov_b32 s3, exec_lo
	ds_load_b64 v[11:12], v14
	s_wait_dscnt 0x0
	v_dual_mov_b32 v16, v11 :: v_dual_and_b32 v15, 7, v29
	v_mov_b32_dpp v24, v11 row_shr:1 row_mask:0xf bank_mask:0xf
	v_mov_b32_dpp v23, v12 row_shr:1 row_mask:0xf bank_mask:0xf
	s_delay_alu instid0(VALU_DEP_3)
	v_cmpx_ne_u32_e32 0, v15
; %bb.47:
	s_delay_alu instid0(VALU_DEP_3) | instskip(SKIP_2) | instid1(VALU_DEP_2)
	v_add_co_u32 v16, vcc_lo, v11, v24
	s_wait_alu 0xfffd
	v_add_co_ci_u32_e64 v12, null, 0, v12, vcc_lo
	v_add_co_u32 v11, vcc_lo, 0, v16
	s_wait_alu 0xfffd
	s_delay_alu instid0(VALU_DEP_2)
	v_add_co_ci_u32_e64 v12, null, v23, v12, vcc_lo
; %bb.48:
	s_wait_alu 0xfffe
	s_or_b32 exec_lo, exec_lo, s3
	v_mov_b32_dpp v24, v16 row_shr:2 row_mask:0xf bank_mask:0xf
	s_delay_alu instid0(VALU_DEP_2)
	v_mov_b32_dpp v23, v12 row_shr:2 row_mask:0xf bank_mask:0xf
	s_mov_b32 s3, exec_lo
	v_cmpx_lt_u32_e32 1, v15
; %bb.49:
	s_delay_alu instid0(VALU_DEP_3) | instskip(SKIP_2) | instid1(VALU_DEP_2)
	v_add_co_u32 v16, vcc_lo, v11, v24
	s_wait_alu 0xfffd
	v_add_co_ci_u32_e64 v12, null, 0, v12, vcc_lo
	v_add_co_u32 v11, vcc_lo, 0, v16
	s_wait_alu 0xfffd
	s_delay_alu instid0(VALU_DEP_2)
	v_add_co_ci_u32_e64 v12, null, v23, v12, vcc_lo
; %bb.50:
	s_wait_alu 0xfffe
	s_or_b32 exec_lo, exec_lo, s3
	v_mov_b32_dpp v23, v16 row_shr:4 row_mask:0xf bank_mask:0xf
	s_delay_alu instid0(VALU_DEP_2)
	v_mov_b32_dpp v16, v12 row_shr:4 row_mask:0xf bank_mask:0xf
	s_mov_b32 s3, exec_lo
	v_cmpx_lt_u32_e32 3, v15
; %bb.51:
	s_delay_alu instid0(VALU_DEP_3) | instskip(SKIP_2) | instid1(VALU_DEP_2)
	v_add_co_u32 v11, vcc_lo, v11, v23
	s_wait_alu 0xfffd
	v_add_co_ci_u32_e64 v12, null, 0, v12, vcc_lo
	v_add_co_u32 v11, vcc_lo, v11, 0
	s_wait_alu 0xfffd
	s_delay_alu instid0(VALU_DEP_2)
	v_add_co_ci_u32_e64 v12, null, v12, v16, vcc_lo
; %bb.52:
	s_wait_alu 0xfffe
	s_or_b32 exec_lo, exec_lo, s3
	ds_store_b64 v14, v[11:12]
.LBB1331_53:
	s_wait_alu 0xfffe
	s_or_b32 exec_lo, exec_lo, s1
	s_delay_alu instid0(SALU_CYCLE_1)
	s_mov_b32 s3, exec_lo
	v_cmp_gt_u32_e32 vcc_lo, 32, v0
	s_wait_loadcnt_dscnt 0x0
	s_barrier_signal -1
	s_barrier_wait -1
	global_inv scope:SCOPE_SE
                                        ; implicit-def: $vgpr23_vgpr24
	v_cmpx_lt_u32_e32 31, v0
	s_cbranch_execz .LBB1331_55
; %bb.54:
	v_lshl_add_u32 v9, v9, 3, -8
	ds_load_b64 v[23:24], v9
	s_wait_dscnt 0x0
	v_add_co_u32 v13, s1, v13, v23
	s_wait_alu 0xf1ff
	v_add_co_ci_u32_e64 v10, null, v10, v24, s1
.LBB1331_55:
	s_wait_alu 0xfffe
	s_or_b32 exec_lo, exec_lo, s3
	v_sub_co_u32 v9, s1, v29, 1
	s_delay_alu instid0(VALU_DEP_1) | instskip(SKIP_1) | instid1(VALU_DEP_1)
	v_cmp_gt_i32_e64 s3, 0, v9
	s_wait_alu 0xf1ff
	v_cndmask_b32_e64 v9, v9, v29, s3
	s_delay_alu instid0(VALU_DEP_1)
	v_lshlrev_b32_e32 v9, 2, v9
	ds_bpermute_b32 v37, v9, v13
	ds_bpermute_b32 v38, v9, v10
	s_and_saveexec_b32 s3, vcc_lo
	s_cbranch_execz .LBB1331_94
; %bb.56:
	v_mov_b32_e32 v12, 0
	ds_load_b64 v[9:10], v12 offset:56
	s_and_saveexec_b32 s6, s1
	s_cbranch_execz .LBB1331_58
; %bb.57:
	s_add_co_i32 s8, s20, 32
	s_mov_b32 s9, 0
	s_wait_alu 0xfffe
	s_lshl_b64 s[8:9], s[8:9], 4
	s_wait_alu 0xfffe
	s_add_nc_u64 s[8:9], s[14:15], s[8:9]
	s_wait_alu 0xfffe
	v_dual_mov_b32 v11, 1 :: v_dual_mov_b32 v14, s9
	v_mov_b32_e32 v13, s8
	s_wait_dscnt 0x0
	;;#ASMSTART
	global_store_b128 v[13:14], v[9:12] off scope:SCOPE_DEV	
s_wait_storecnt 0x0
	;;#ASMEND
.LBB1331_58:
	s_wait_alu 0xfffe
	s_or_b32 exec_lo, exec_lo, s6
	v_xad_u32 v25, v29, -1, s20
	s_mov_b32 s7, 0
	s_mov_b32 s6, exec_lo
	s_delay_alu instid0(VALU_DEP_1) | instskip(NEXT) | instid1(VALU_DEP_1)
	v_add_nc_u32_e32 v11, 32, v25
	v_lshlrev_b64_e32 v[11:12], 4, v[11:12]
	s_delay_alu instid0(VALU_DEP_1) | instskip(SKIP_1) | instid1(VALU_DEP_2)
	v_add_co_u32 v11, vcc_lo, s14, v11
	s_wait_alu 0xfffd
	v_add_co_ci_u32_e64 v12, null, s15, v12, vcc_lo
	;;#ASMSTART
	global_load_b128 v[13:16], v[11:12] off scope:SCOPE_DEV	
s_wait_loadcnt 0x0
	;;#ASMEND
	v_and_b32_e32 v16, 0xff, v15
	s_delay_alu instid0(VALU_DEP_1)
	v_cmpx_eq_u16_e32 0, v16
	s_cbranch_execz .LBB1331_61
.LBB1331_59:                            ; =>This Inner Loop Header: Depth=1
	;;#ASMSTART
	global_load_b128 v[13:16], v[11:12] off scope:SCOPE_DEV	
s_wait_loadcnt 0x0
	;;#ASMEND
	v_and_b32_e32 v16, 0xff, v15
	s_delay_alu instid0(VALU_DEP_1)
	v_cmp_ne_u16_e32 vcc_lo, 0, v16
	s_wait_alu 0xfffe
	s_or_b32 s7, vcc_lo, s7
	s_wait_alu 0xfffe
	s_and_not1_b32 exec_lo, exec_lo, s7
	s_cbranch_execnz .LBB1331_59
; %bb.60:
	s_or_b32 exec_lo, exec_lo, s7
.LBB1331_61:
	s_wait_alu 0xfffe
	s_or_b32 exec_lo, exec_lo, s6
	v_cmp_ne_u32_e32 vcc_lo, 31, v29
	v_and_b32_e32 v12, 0xff, v15
	v_lshlrev_b32_e64 v40, v29, -1
	s_mov_b32 s6, exec_lo
	s_wait_alu 0xfffd
	v_add_co_ci_u32_e64 v11, null, 0, v29, vcc_lo
	v_cmp_eq_u16_e32 vcc_lo, 2, v12
	s_delay_alu instid0(VALU_DEP_2)
	v_dual_mov_b32 v12, v13 :: v_dual_lshlrev_b32 v39, 2, v11
	s_wait_alu 0xfffd
	v_and_or_b32 v11, vcc_lo, v40, 0x80000000
	ds_bpermute_b32 v26, v39, v13
	ds_bpermute_b32 v16, v39, v14
	v_ctz_i32_b32_e32 v11, v11
	s_delay_alu instid0(VALU_DEP_1)
	v_cmpx_lt_u32_e64 v29, v11
	s_cbranch_execz .LBB1331_63
; %bb.62:
	s_wait_dscnt 0x1
	v_add_co_u32 v12, vcc_lo, v13, v26
	s_wait_alu 0xfffd
	v_add_co_ci_u32_e64 v14, null, 0, v14, vcc_lo
	s_delay_alu instid0(VALU_DEP_2) | instskip(SKIP_2) | instid1(VALU_DEP_2)
	v_add_co_u32 v13, vcc_lo, 0, v12
	s_wait_dscnt 0x0
	s_wait_alu 0xfffd
	v_add_co_ci_u32_e64 v14, null, v16, v14, vcc_lo
.LBB1331_63:
	s_wait_alu 0xfffe
	s_or_b32 exec_lo, exec_lo, s6
	v_cmp_gt_u32_e32 vcc_lo, 30, v29
	v_add_nc_u32_e32 v42, 2, v29
	s_mov_b32 s6, exec_lo
	s_wait_dscnt 0x0
	s_wait_alu 0xfffd
	v_cndmask_b32_e64 v16, 0, 2, vcc_lo
	s_delay_alu instid0(VALU_DEP_1)
	v_add_lshl_u32 v41, v16, v29, 2
	ds_bpermute_b32 v26, v41, v12
	ds_bpermute_b32 v16, v41, v14
	v_cmpx_le_u32_e64 v42, v11
	s_cbranch_execz .LBB1331_65
; %bb.64:
	s_wait_dscnt 0x1
	v_add_co_u32 v12, vcc_lo, v13, v26
	s_wait_alu 0xfffd
	v_add_co_ci_u32_e64 v14, null, 0, v14, vcc_lo
	s_delay_alu instid0(VALU_DEP_2) | instskip(SKIP_2) | instid1(VALU_DEP_2)
	v_add_co_u32 v13, vcc_lo, 0, v12
	s_wait_dscnt 0x0
	s_wait_alu 0xfffd
	v_add_co_ci_u32_e64 v14, null, v16, v14, vcc_lo
.LBB1331_65:
	s_wait_alu 0xfffe
	s_or_b32 exec_lo, exec_lo, s6
	v_cmp_gt_u32_e32 vcc_lo, 28, v29
	v_add_nc_u32_e32 v44, 4, v29
	s_mov_b32 s6, exec_lo
	s_wait_dscnt 0x0
	s_wait_alu 0xfffd
	v_cndmask_b32_e64 v16, 0, 4, vcc_lo
	s_delay_alu instid0(VALU_DEP_1)
	v_add_lshl_u32 v43, v16, v29, 2
	ds_bpermute_b32 v26, v43, v12
	ds_bpermute_b32 v16, v43, v14
	v_cmpx_le_u32_e64 v44, v11
	;; [unrolled: 25-line block ×3, first 2 shown]
	s_cbranch_execz .LBB1331_69
; %bb.68:
	s_wait_dscnt 0x1
	v_add_co_u32 v12, vcc_lo, v13, v26
	s_wait_alu 0xfffd
	v_add_co_ci_u32_e64 v14, null, 0, v14, vcc_lo
	s_delay_alu instid0(VALU_DEP_2) | instskip(SKIP_2) | instid1(VALU_DEP_2)
	v_add_co_u32 v13, vcc_lo, 0, v12
	s_wait_dscnt 0x0
	s_wait_alu 0xfffd
	v_add_co_ci_u32_e64 v14, null, v16, v14, vcc_lo
.LBB1331_69:
	s_wait_alu 0xfffe
	s_or_b32 exec_lo, exec_lo, s6
	v_lshl_or_b32 v47, v29, 2, 64
	v_add_nc_u32_e32 v48, 16, v29
	s_mov_b32 s6, exec_lo
	s_wait_dscnt 0x0
	ds_bpermute_b32 v16, v47, v12
	ds_bpermute_b32 v12, v47, v14
	v_cmpx_le_u32_e64 v48, v11
	s_cbranch_execz .LBB1331_71
; %bb.70:
	s_wait_dscnt 0x1
	v_add_co_u32 v11, vcc_lo, v13, v16
	s_wait_alu 0xfffd
	v_add_co_ci_u32_e64 v14, null, 0, v14, vcc_lo
	s_delay_alu instid0(VALU_DEP_2) | instskip(SKIP_2) | instid1(VALU_DEP_2)
	v_add_co_u32 v13, vcc_lo, v11, 0
	s_wait_dscnt 0x0
	s_wait_alu 0xfffd
	v_add_co_ci_u32_e64 v14, null, v14, v12, vcc_lo
.LBB1331_71:
	s_wait_alu 0xfffe
	s_or_b32 exec_lo, exec_lo, s6
	v_mov_b32_e32 v26, 0
	s_branch .LBB1331_74
.LBB1331_72:                            ;   in Loop: Header=BB1331_74 Depth=1
	s_wait_alu 0xfffe
	s_or_b32 exec_lo, exec_lo, s6
	v_add_co_u32 v13, vcc_lo, v13, v11
	v_subrev_nc_u32_e32 v25, 32, v25
	s_wait_alu 0xfffd
	v_add_co_ci_u32_e64 v14, null, v14, v12, vcc_lo
	s_mov_b32 s6, 0
.LBB1331_73:                            ;   in Loop: Header=BB1331_74 Depth=1
	s_wait_alu 0xfffe
	s_and_b32 vcc_lo, exec_lo, s6
	s_wait_alu 0xfffe
	s_cbranch_vccnz .LBB1331_90
.LBB1331_74:                            ; =>This Loop Header: Depth=1
                                        ;     Child Loop BB1331_77 Depth 2
	v_and_b32_e32 v11, 0xff, v15
	s_mov_b32 s6, -1
	s_delay_alu instid0(VALU_DEP_1)
	v_cmp_ne_u16_e32 vcc_lo, 2, v11
	s_wait_dscnt 0x0
	v_dual_mov_b32 v11, v13 :: v_dual_mov_b32 v12, v14
                                        ; implicit-def: $vgpr13_vgpr14
	s_cmp_lg_u32 vcc_lo, exec_lo
	s_cbranch_scc1 .LBB1331_73
; %bb.75:                               ;   in Loop: Header=BB1331_74 Depth=1
	v_lshlrev_b64_e32 v[13:14], 4, v[25:26]
	s_mov_b32 s6, exec_lo
	s_delay_alu instid0(VALU_DEP_1) | instskip(SKIP_1) | instid1(VALU_DEP_2)
	v_add_co_u32 v27, vcc_lo, s14, v13
	s_wait_alu 0xfffd
	v_add_co_ci_u32_e64 v28, null, s15, v14, vcc_lo
	;;#ASMSTART
	global_load_b128 v[13:16], v[27:28] off scope:SCOPE_DEV	
s_wait_loadcnt 0x0
	;;#ASMEND
	v_and_b32_e32 v16, 0xff, v15
	s_delay_alu instid0(VALU_DEP_1)
	v_cmpx_eq_u16_e32 0, v16
	s_cbranch_execz .LBB1331_79
; %bb.76:                               ;   in Loop: Header=BB1331_74 Depth=1
	s_mov_b32 s7, 0
.LBB1331_77:                            ;   Parent Loop BB1331_74 Depth=1
                                        ; =>  This Inner Loop Header: Depth=2
	;;#ASMSTART
	global_load_b128 v[13:16], v[27:28] off scope:SCOPE_DEV	
s_wait_loadcnt 0x0
	;;#ASMEND
	v_and_b32_e32 v16, 0xff, v15
	s_delay_alu instid0(VALU_DEP_1)
	v_cmp_ne_u16_e32 vcc_lo, 0, v16
	s_wait_alu 0xfffe
	s_or_b32 s7, vcc_lo, s7
	s_wait_alu 0xfffe
	s_and_not1_b32 exec_lo, exec_lo, s7
	s_cbranch_execnz .LBB1331_77
; %bb.78:                               ;   in Loop: Header=BB1331_74 Depth=1
	s_or_b32 exec_lo, exec_lo, s7
.LBB1331_79:                            ;   in Loop: Header=BB1331_74 Depth=1
	s_wait_alu 0xfffe
	s_or_b32 exec_lo, exec_lo, s6
	v_dual_mov_b32 v27, v13 :: v_dual_and_b32 v16, 0xff, v15
	ds_bpermute_b32 v49, v39, v13
	ds_bpermute_b32 v28, v39, v14
	s_mov_b32 s6, exec_lo
	v_cmp_eq_u16_e32 vcc_lo, 2, v16
	s_wait_alu 0xfffd
	v_and_or_b32 v16, vcc_lo, v40, 0x80000000
	s_delay_alu instid0(VALU_DEP_1) | instskip(NEXT) | instid1(VALU_DEP_1)
	v_ctz_i32_b32_e32 v16, v16
	v_cmpx_lt_u32_e64 v29, v16
	s_cbranch_execz .LBB1331_81
; %bb.80:                               ;   in Loop: Header=BB1331_74 Depth=1
	s_wait_dscnt 0x1
	v_add_co_u32 v27, vcc_lo, v13, v49
	s_wait_alu 0xfffd
	v_add_co_ci_u32_e64 v14, null, 0, v14, vcc_lo
	s_delay_alu instid0(VALU_DEP_2) | instskip(SKIP_2) | instid1(VALU_DEP_2)
	v_add_co_u32 v13, vcc_lo, 0, v27
	s_wait_dscnt 0x0
	s_wait_alu 0xfffd
	v_add_co_ci_u32_e64 v14, null, v28, v14, vcc_lo
.LBB1331_81:                            ;   in Loop: Header=BB1331_74 Depth=1
	s_wait_alu 0xfffe
	s_or_b32 exec_lo, exec_lo, s6
	s_wait_dscnt 0x1
	ds_bpermute_b32 v49, v41, v27
	s_wait_dscnt 0x1
	ds_bpermute_b32 v28, v41, v14
	s_mov_b32 s6, exec_lo
	v_cmpx_le_u32_e64 v42, v16
	s_cbranch_execz .LBB1331_83
; %bb.82:                               ;   in Loop: Header=BB1331_74 Depth=1
	s_wait_dscnt 0x1
	v_add_co_u32 v27, vcc_lo, v13, v49
	s_wait_alu 0xfffd
	v_add_co_ci_u32_e64 v14, null, 0, v14, vcc_lo
	s_delay_alu instid0(VALU_DEP_2) | instskip(SKIP_2) | instid1(VALU_DEP_2)
	v_add_co_u32 v13, vcc_lo, 0, v27
	s_wait_dscnt 0x0
	s_wait_alu 0xfffd
	v_add_co_ci_u32_e64 v14, null, v28, v14, vcc_lo
.LBB1331_83:                            ;   in Loop: Header=BB1331_74 Depth=1
	s_wait_alu 0xfffe
	s_or_b32 exec_lo, exec_lo, s6
	s_wait_dscnt 0x1
	ds_bpermute_b32 v49, v43, v27
	s_wait_dscnt 0x1
	ds_bpermute_b32 v28, v43, v14
	s_mov_b32 s6, exec_lo
	v_cmpx_le_u32_e64 v44, v16
	;; [unrolled: 20-line block ×3, first 2 shown]
	s_cbranch_execz .LBB1331_87
; %bb.86:                               ;   in Loop: Header=BB1331_74 Depth=1
	s_wait_dscnt 0x1
	v_add_co_u32 v27, vcc_lo, v13, v49
	s_wait_alu 0xfffd
	v_add_co_ci_u32_e64 v14, null, 0, v14, vcc_lo
	s_delay_alu instid0(VALU_DEP_2) | instskip(SKIP_2) | instid1(VALU_DEP_2)
	v_add_co_u32 v13, vcc_lo, 0, v27
	s_wait_dscnt 0x0
	s_wait_alu 0xfffd
	v_add_co_ci_u32_e64 v14, null, v28, v14, vcc_lo
.LBB1331_87:                            ;   in Loop: Header=BB1331_74 Depth=1
	s_wait_alu 0xfffe
	s_or_b32 exec_lo, exec_lo, s6
	s_wait_dscnt 0x0
	ds_bpermute_b32 v28, v47, v27
	ds_bpermute_b32 v27, v47, v14
	s_mov_b32 s6, exec_lo
	v_cmpx_le_u32_e64 v48, v16
	s_cbranch_execz .LBB1331_72
; %bb.88:                               ;   in Loop: Header=BB1331_74 Depth=1
	s_wait_dscnt 0x1
	v_add_co_u32 v13, vcc_lo, v13, v28
	s_wait_alu 0xfffd
	v_add_co_ci_u32_e64 v14, null, 0, v14, vcc_lo
	s_delay_alu instid0(VALU_DEP_2) | instskip(SKIP_2) | instid1(VALU_DEP_2)
	v_add_co_u32 v13, vcc_lo, v13, 0
	s_wait_dscnt 0x0
	s_wait_alu 0xfffd
	v_add_co_ci_u32_e64 v14, null, v14, v27, vcc_lo
	s_branch .LBB1331_72
.LBB1331_89:
                                        ; implicit-def: $vgpr15_vgpr16
                                        ; implicit-def: $vgpr13_vgpr14
                                        ; implicit-def: $vgpr23_vgpr24
                                        ; implicit-def: $vgpr25_vgpr26
                                        ; implicit-def: $vgpr27_vgpr28
                                        ; implicit-def: $vgpr11_vgpr12
	s_wait_alu 0xfffe
	s_and_b32 vcc_lo, exec_lo, s1
	s_wait_alu 0xfffe
	s_cbranch_vccnz .LBB1331_95
	s_branch .LBB1331_120
.LBB1331_90:
	s_and_saveexec_b32 s6, s1
	s_cbranch_execz .LBB1331_92
; %bb.91:
	s_add_co_i32 s8, s20, 32
	s_mov_b32 s9, 0
	v_add_co_u32 v13, vcc_lo, v11, v9
	s_wait_alu 0xfffe
	s_lshl_b64 s[8:9], s[8:9], 4
	v_dual_mov_b32 v15, 2 :: v_dual_mov_b32 v16, 0
	s_wait_alu 0xfffe
	s_add_nc_u64 s[8:9], s[14:15], s[8:9]
	s_wait_alu 0xfffd
	v_add_co_ci_u32_e64 v14, null, v12, v10, vcc_lo
	s_wait_alu 0xfffe
	v_dual_mov_b32 v26, s9 :: v_dual_mov_b32 v25, s8
	;;#ASMSTART
	global_store_b128 v[25:26], v[13:16] off scope:SCOPE_DEV	
s_wait_storecnt 0x0
	;;#ASMEND
	ds_store_b128 v16, v[9:12] offset:10240
.LBB1331_92:
	s_wait_alu 0xfffe
	s_or_b32 exec_lo, exec_lo, s6
	s_delay_alu instid0(SALU_CYCLE_1)
	s_and_b32 exec_lo, exec_lo, s2
; %bb.93:
	v_mov_b32_e32 v9, 0
	ds_store_b64 v9, v[11:12] offset:56
.LBB1331_94:
	s_wait_alu 0xfffe
	s_or_b32 exec_lo, exec_lo, s3
	v_mov_b32_e32 v11, 0
	s_wait_loadcnt_dscnt 0x0
	s_barrier_signal -1
	s_barrier_wait -1
	global_inv scope:SCOPE_SE
	ds_load_b64 v[9:10], v11 offset:56
	v_cndmask_b32_e64 v13, v37, v23, s1
	v_cndmask_b32_e64 v12, v38, v24, s1
	s_wait_loadcnt_dscnt 0x0
	s_barrier_signal -1
	s_barrier_wait -1
	v_cndmask_b32_e64 v13, v13, 0, s2
	v_cndmask_b32_e64 v12, v12, 0, s2
	global_inv scope:SCOPE_SE
	v_add_co_u32 v27, vcc_lo, v9, v13
	s_wait_alu 0xfffd
	v_add_co_ci_u32_e64 v28, null, v10, v12, vcc_lo
	ds_load_b128 v[9:12], v11 offset:10240
	v_add_co_u32 v25, vcc_lo, v27, v35
	s_wait_alu 0xfffd
	v_add_co_ci_u32_e64 v26, null, 0, v28, vcc_lo
	s_delay_alu instid0(VALU_DEP_2) | instskip(SKIP_1) | instid1(VALU_DEP_2)
	v_add_co_u32 v23, vcc_lo, v25, v34
	s_wait_alu 0xfffd
	v_add_co_ci_u32_e64 v24, null, 0, v26, vcc_lo
	s_delay_alu instid0(VALU_DEP_2) | instskip(SKIP_1) | instid1(VALU_DEP_2)
	;; [unrolled: 4-line block ×3, first 2 shown]
	v_add_co_u32 v15, vcc_lo, v13, v31
	s_wait_alu 0xfffd
	v_add_co_ci_u32_e64 v16, null, 0, v14, vcc_lo
	s_branch .LBB1331_120
.LBB1331_95:
	s_wait_dscnt 0x0
	v_dual_mov_b32 v10, 0 :: v_dual_mov_b32 v11, v21
	v_mov_b32_dpp v12, v21 row_shr:1 row_mask:0xf bank_mask:0xf
	s_delay_alu instid0(VALU_DEP_2)
	v_mov_b32_dpp v9, v10 row_shr:1 row_mask:0xf bank_mask:0xf
	s_and_saveexec_b32 s1, s0
; %bb.96:
	s_delay_alu instid0(VALU_DEP_2) | instskip(SKIP_2) | instid1(VALU_DEP_2)
	v_add_co_u32 v11, vcc_lo, v21, v12
	s_wait_alu 0xfffd
	v_add_co_ci_u32_e64 v10, null, 0, v22, vcc_lo
	v_add_co_u32 v21, vcc_lo, 0, v11
	s_wait_alu 0xfffd
	s_delay_alu instid0(VALU_DEP_2) | instskip(NEXT) | instid1(VALU_DEP_1)
	v_add_co_ci_u32_e64 v22, null, v9, v10, vcc_lo
	v_mov_b32_e32 v10, v22
; %bb.97:
	s_wait_alu 0xfffe
	s_or_b32 exec_lo, exec_lo, s1
	v_mov_b32_dpp v9, v11 row_shr:2 row_mask:0xf bank_mask:0xf
	s_delay_alu instid0(VALU_DEP_2)
	v_mov_b32_dpp v12, v10 row_shr:2 row_mask:0xf bank_mask:0xf
	s_mov_b32 s0, exec_lo
	v_cmpx_lt_u32_e32 1, v36
; %bb.98:
	s_delay_alu instid0(VALU_DEP_3) | instskip(SKIP_2) | instid1(VALU_DEP_2)
	v_add_co_u32 v11, vcc_lo, v21, v9
	s_wait_alu 0xfffd
	v_add_co_ci_u32_e64 v10, null, 0, v22, vcc_lo
	v_add_co_u32 v9, vcc_lo, 0, v11
	s_wait_alu 0xfffd
	s_delay_alu instid0(VALU_DEP_2) | instskip(NEXT) | instid1(VALU_DEP_1)
	v_add_co_ci_u32_e64 v10, null, v12, v10, vcc_lo
	v_dual_mov_b32 v22, v10 :: v_dual_mov_b32 v21, v9
; %bb.99:
	s_wait_alu 0xfffe
	s_or_b32 exec_lo, exec_lo, s0
	v_mov_b32_dpp v9, v11 row_shr:4 row_mask:0xf bank_mask:0xf
	v_mov_b32_dpp v12, v10 row_shr:4 row_mask:0xf bank_mask:0xf
	s_mov_b32 s0, exec_lo
	v_cmpx_lt_u32_e32 3, v36
; %bb.100:
	s_delay_alu instid0(VALU_DEP_3) | instskip(SKIP_2) | instid1(VALU_DEP_2)
	v_add_co_u32 v11, vcc_lo, v21, v9
	s_wait_alu 0xfffd
	v_add_co_ci_u32_e64 v10, null, 0, v22, vcc_lo
	v_add_co_u32 v9, vcc_lo, 0, v11
	s_wait_alu 0xfffd
	s_delay_alu instid0(VALU_DEP_2) | instskip(NEXT) | instid1(VALU_DEP_1)
	v_add_co_ci_u32_e64 v10, null, v12, v10, vcc_lo
	v_dual_mov_b32 v22, v10 :: v_dual_mov_b32 v21, v9
; %bb.101:
	s_wait_alu 0xfffe
	s_or_b32 exec_lo, exec_lo, s0
	v_mov_b32_dpp v12, v11 row_shr:8 row_mask:0xf bank_mask:0xf
	v_mov_b32_dpp v9, v10 row_shr:8 row_mask:0xf bank_mask:0xf
	s_mov_b32 s0, exec_lo
	v_cmpx_lt_u32_e32 7, v36
; %bb.102:
	s_delay_alu instid0(VALU_DEP_3) | instskip(SKIP_2) | instid1(VALU_DEP_2)
	v_add_co_u32 v11, vcc_lo, v21, v12
	s_wait_alu 0xfffd
	v_add_co_ci_u32_e64 v10, null, 0, v22, vcc_lo
	v_add_co_u32 v21, vcc_lo, 0, v11
	s_wait_alu 0xfffd
	s_delay_alu instid0(VALU_DEP_2) | instskip(NEXT) | instid1(VALU_DEP_1)
	v_add_co_ci_u32_e64 v22, null, v9, v10, vcc_lo
	v_mov_b32_e32 v10, v22
; %bb.103:
	s_wait_alu 0xfffe
	s_or_b32 exec_lo, exec_lo, s0
	ds_swizzle_b32 v11, v11 offset:swizzle(BROADCAST,32,15)
	ds_swizzle_b32 v9, v10 offset:swizzle(BROADCAST,32,15)
	v_and_b32_e32 v10, 16, v29
	s_mov_b32 s0, exec_lo
	s_delay_alu instid0(VALU_DEP_1)
	v_cmpx_ne_u32_e32 0, v10
	s_cbranch_execz .LBB1331_105
; %bb.104:
	s_wait_dscnt 0x1
	v_add_co_u32 v10, vcc_lo, v21, v11
	s_wait_alu 0xfffd
	v_add_co_ci_u32_e64 v11, null, 0, v22, vcc_lo
	s_delay_alu instid0(VALU_DEP_2) | instskip(SKIP_2) | instid1(VALU_DEP_2)
	v_add_co_u32 v21, vcc_lo, v10, 0
	s_wait_dscnt 0x0
	s_wait_alu 0xfffd
	v_add_co_ci_u32_e64 v22, null, v11, v9, vcc_lo
.LBB1331_105:
	s_wait_alu 0xfffe
	s_or_b32 exec_lo, exec_lo, s0
	s_wait_dscnt 0x0
	v_or_b32_e32 v9, 31, v0
	v_lshrrev_b32_e32 v11, 5, v0
	s_mov_b32 s0, exec_lo
	s_delay_alu instid0(VALU_DEP_2)
	v_cmpx_eq_u32_e64 v0, v9
; %bb.106:
	s_delay_alu instid0(VALU_DEP_2)
	v_lshlrev_b32_e32 v9, 3, v11
	ds_store_b64 v9, v[21:22]
; %bb.107:
	s_wait_alu 0xfffe
	s_or_b32 exec_lo, exec_lo, s0
	s_delay_alu instid0(SALU_CYCLE_1)
	s_mov_b32 s0, exec_lo
	s_wait_loadcnt_dscnt 0x0
	s_barrier_signal -1
	s_barrier_wait -1
	global_inv scope:SCOPE_SE
	v_cmpx_gt_u32_e32 8, v0
	s_cbranch_execz .LBB1331_115
; %bb.108:
	v_mad_u32_u24 v9, v0, 3, v30
	s_mov_b32 s1, exec_lo
	ds_load_b64 v[9:10], v9
	s_wait_dscnt 0x0
	v_dual_mov_b32 v13, v9 :: v_dual_and_b32 v12, 7, v29
	v_mov_b32_dpp v15, v9 row_shr:1 row_mask:0xf bank_mask:0xf
	v_mov_b32_dpp v14, v10 row_shr:1 row_mask:0xf bank_mask:0xf
	s_delay_alu instid0(VALU_DEP_3)
	v_cmpx_ne_u32_e32 0, v12
; %bb.109:
	s_delay_alu instid0(VALU_DEP_3) | instskip(SKIP_2) | instid1(VALU_DEP_2)
	v_add_co_u32 v13, vcc_lo, v9, v15
	s_wait_alu 0xfffd
	v_add_co_ci_u32_e64 v10, null, 0, v10, vcc_lo
	v_add_co_u32 v9, vcc_lo, 0, v13
	s_wait_alu 0xfffd
	s_delay_alu instid0(VALU_DEP_2)
	v_add_co_ci_u32_e64 v10, null, v14, v10, vcc_lo
; %bb.110:
	s_wait_alu 0xfffe
	s_or_b32 exec_lo, exec_lo, s1
	v_mov_b32_dpp v15, v13 row_shr:2 row_mask:0xf bank_mask:0xf
	s_delay_alu instid0(VALU_DEP_2)
	v_mov_b32_dpp v14, v10 row_shr:2 row_mask:0xf bank_mask:0xf
	s_mov_b32 s1, exec_lo
	v_cmpx_lt_u32_e32 1, v12
; %bb.111:
	s_delay_alu instid0(VALU_DEP_3) | instskip(SKIP_2) | instid1(VALU_DEP_2)
	v_add_co_u32 v13, vcc_lo, v9, v15
	s_wait_alu 0xfffd
	v_add_co_ci_u32_e64 v10, null, 0, v10, vcc_lo
	v_add_co_u32 v9, vcc_lo, 0, v13
	s_wait_alu 0xfffd
	s_delay_alu instid0(VALU_DEP_2)
	v_add_co_ci_u32_e64 v10, null, v14, v10, vcc_lo
; %bb.112:
	s_wait_alu 0xfffe
	s_or_b32 exec_lo, exec_lo, s1
	v_mul_u32_u24_e32 v14, 3, v0
	v_mov_b32_dpp v15, v13 row_shr:4 row_mask:0xf bank_mask:0xf
	v_mov_b32_dpp v13, v10 row_shr:4 row_mask:0xf bank_mask:0xf
	s_mov_b32 s1, exec_lo
	v_cmpx_lt_u32_e32 3, v12
; %bb.113:
	s_delay_alu instid0(VALU_DEP_3) | instskip(SKIP_2) | instid1(VALU_DEP_2)
	v_add_co_u32 v9, vcc_lo, v9, v15
	s_wait_alu 0xfffd
	v_add_co_ci_u32_e64 v10, null, 0, v10, vcc_lo
	v_add_co_u32 v9, vcc_lo, v9, 0
	s_wait_alu 0xfffd
	s_delay_alu instid0(VALU_DEP_2)
	v_add_co_ci_u32_e64 v10, null, v10, v13, vcc_lo
; %bb.114:
	s_wait_alu 0xfffe
	s_or_b32 exec_lo, exec_lo, s1
	v_add_nc_u32_e32 v12, v30, v14
	ds_store_b64 v12, v[9:10]
.LBB1331_115:
	s_wait_alu 0xfffe
	s_or_b32 exec_lo, exec_lo, s0
	v_mov_b32_e32 v13, 0
	v_mov_b32_e32 v14, 0
	s_mov_b32 s0, exec_lo
	s_wait_loadcnt_dscnt 0x0
	s_barrier_signal -1
	s_barrier_wait -1
	global_inv scope:SCOPE_SE
	v_cmpx_lt_u32_e32 31, v0
; %bb.116:
	v_lshl_add_u32 v9, v11, 3, -8
	ds_load_b64 v[13:14], v9
; %bb.117:
	s_wait_alu 0xfffe
	s_or_b32 exec_lo, exec_lo, s0
	v_sub_co_u32 v9, vcc_lo, v29, 1
	v_mov_b32_e32 v12, 0
	s_delay_alu instid0(VALU_DEP_2) | instskip(SKIP_1) | instid1(VALU_DEP_1)
	v_cmp_gt_i32_e64 s0, 0, v9
	s_wait_alu 0xf1ff
	v_cndmask_b32_e64 v9, v9, v29, s0
	s_wait_dscnt 0x0
	v_add_co_u32 v10, s0, v13, v21
	s_wait_alu 0xf1ff
	v_add_co_ci_u32_e64 v11, null, v14, v22, s0
	v_lshlrev_b32_e32 v9, 2, v9
	ds_bpermute_b32 v15, v9, v10
	ds_bpermute_b32 v16, v9, v11
	ds_load_b64 v[9:10], v12 offset:56
	s_and_saveexec_b32 s0, s2
	s_cbranch_execz .LBB1331_119
; %bb.118:
	s_add_nc_u64 s[6:7], s[14:15], 0x200
	s_wait_alu 0xfffe
	v_dual_mov_b32 v11, 2 :: v_dual_mov_b32 v22, s7
	v_mov_b32_e32 v21, s6
	s_wait_dscnt 0x0
	;;#ASMSTART
	global_store_b128 v[21:22], v[9:12] off scope:SCOPE_DEV	
s_wait_storecnt 0x0
	;;#ASMEND
.LBB1331_119:
	s_wait_alu 0xfffe
	s_or_b32 exec_lo, exec_lo, s0
	s_wait_dscnt 0x1
	s_wait_alu 0xfffd
	v_dual_cndmask_b32 v11, v15, v13 :: v_dual_cndmask_b32 v12, v16, v14
	s_wait_loadcnt_dscnt 0x0
	s_barrier_signal -1
	s_barrier_wait -1
	s_delay_alu instid0(VALU_DEP_1)
	v_cndmask_b32_e64 v27, v11, 0, s2
	v_cndmask_b32_e64 v28, v12, 0, s2
	v_mov_b32_e32 v11, 0
	v_mov_b32_e32 v12, 0
	global_inv scope:SCOPE_SE
	v_add_co_u32 v25, vcc_lo, v27, v35
	s_wait_alu 0xfffd
	v_add_co_ci_u32_e64 v26, null, 0, v28, vcc_lo
	s_delay_alu instid0(VALU_DEP_2) | instskip(SKIP_1) | instid1(VALU_DEP_2)
	v_add_co_u32 v23, vcc_lo, v25, v34
	s_wait_alu 0xfffd
	v_add_co_ci_u32_e64 v24, null, 0, v26, vcc_lo
	s_delay_alu instid0(VALU_DEP_2) | instskip(SKIP_1) | instid1(VALU_DEP_2)
	;; [unrolled: 4-line block ×3, first 2 shown]
	v_add_co_u32 v15, vcc_lo, v13, v31
	s_wait_alu 0xfffd
	v_add_co_ci_u32_e64 v16, null, 0, v14, vcc_lo
.LBB1331_120:
	s_wait_dscnt 0x0
	v_cmp_gt_u64_e32 vcc_lo, 0x101, v[9:10]
	v_lshlrev_b64_e32 v[21:22], 3, v[17:18]
	v_cmp_eq_u32_e64 s0, 1, v35
	s_mov_b32 s1, -1
	s_cbranch_vccnz .LBB1331_124
; %bb.121:
	s_wait_alu 0xfffe
	s_and_b32 vcc_lo, exec_lo, s1
	s_wait_alu 0xfffe
	s_cbranch_vccnz .LBB1331_135
.LBB1331_122:
	s_and_b32 s0, s2, s18
	s_wait_alu 0xfffe
	s_and_saveexec_b32 s1, s0
	s_cbranch_execnz .LBB1331_148
.LBB1331_123:
	s_endpgm
.LBB1331_124:
	v_add_co_u32 v29, vcc_lo, v11, v9
	s_wait_alu 0xfffd
	v_add_co_ci_u32_e64 v30, null, v12, v10, vcc_lo
	v_add_co_u32 v36, s1, s12, v21
	s_wait_alu 0xf1fe
	v_add_co_ci_u32_e64 v37, null, s13, v22, s1
	s_delay_alu instid0(VALU_DEP_3)
	v_cmp_lt_u64_e32 vcc_lo, v[27:28], v[29:30]
	s_or_b32 s1, s19, vcc_lo
	s_wait_alu 0xfffe
	s_and_b32 s1, s1, s0
	s_wait_alu 0xfffe
	s_and_saveexec_b32 s0, s1
	s_cbranch_execz .LBB1331_126
; %bb.125:
	v_lshlrev_b64_e32 v[38:39], 3, v[27:28]
	s_delay_alu instid0(VALU_DEP_1) | instskip(SKIP_1) | instid1(VALU_DEP_2)
	v_add_co_u32 v38, vcc_lo, v36, v38
	s_wait_alu 0xfffd
	v_add_co_ci_u32_e64 v39, null, v37, v39, vcc_lo
	global_store_b64 v[38:39], v[5:6], off
.LBB1331_126:
	s_wait_alu 0xfffe
	s_or_b32 exec_lo, exec_lo, s0
	v_cmp_lt_u64_e32 vcc_lo, v[25:26], v[29:30]
	v_cmp_eq_u32_e64 s0, 1, v34
	s_or_b32 s1, s19, vcc_lo
	s_wait_alu 0xfffe
	s_and_b32 s1, s1, s0
	s_wait_alu 0xfffe
	s_and_saveexec_b32 s0, s1
	s_cbranch_execz .LBB1331_128
; %bb.127:
	v_lshlrev_b64_e32 v[38:39], 3, v[25:26]
	s_delay_alu instid0(VALU_DEP_1) | instskip(SKIP_1) | instid1(VALU_DEP_2)
	v_add_co_u32 v38, vcc_lo, v36, v38
	s_wait_alu 0xfffd
	v_add_co_ci_u32_e64 v39, null, v37, v39, vcc_lo
	global_store_b64 v[38:39], v[7:8], off
.LBB1331_128:
	s_wait_alu 0xfffe
	s_or_b32 exec_lo, exec_lo, s0
	v_cmp_lt_u64_e32 vcc_lo, v[23:24], v[29:30]
	v_cmp_eq_u32_e64 s0, 1, v33
	;; [unrolled: 18-line block ×4, first 2 shown]
	s_or_b32 s1, s19, vcc_lo
	s_wait_alu 0xfffe
	s_and_b32 s1, s1, s0
	s_wait_alu 0xfffe
	s_and_saveexec_b32 s0, s1
	s_cbranch_execz .LBB1331_134
; %bb.133:
	v_lshlrev_b64_e32 v[28:29], 3, v[15:16]
	s_delay_alu instid0(VALU_DEP_1) | instskip(SKIP_1) | instid1(VALU_DEP_2)
	v_add_co_u32 v28, vcc_lo, v36, v28
	s_wait_alu 0xfffd
	v_add_co_ci_u32_e64 v29, null, v37, v29, vcc_lo
	global_store_b64 v[28:29], v[19:20], off
.LBB1331_134:
	s_wait_alu 0xfffe
	s_or_b32 exec_lo, exec_lo, s0
	s_branch .LBB1331_122
.LBB1331_135:
	s_mov_b32 s0, exec_lo
	v_cmpx_eq_u32_e32 1, v35
; %bb.136:
	v_sub_nc_u32_e32 v14, v27, v11
	s_delay_alu instid0(VALU_DEP_1)
	v_lshlrev_b32_e32 v14, 3, v14
	ds_store_b64 v14, v[5:6]
; %bb.137:
	s_wait_alu 0xfffe
	s_or_b32 exec_lo, exec_lo, s0
	s_delay_alu instid0(SALU_CYCLE_1)
	s_mov_b32 s0, exec_lo
	v_cmpx_eq_u32_e32 1, v34
; %bb.138:
	v_sub_nc_u32_e32 v5, v25, v11
	s_delay_alu instid0(VALU_DEP_1)
	v_lshlrev_b32_e32 v5, 3, v5
	ds_store_b64 v5, v[7:8]
; %bb.139:
	s_wait_alu 0xfffe
	s_or_b32 exec_lo, exec_lo, s0
	s_delay_alu instid0(SALU_CYCLE_1)
	;; [unrolled: 11-line block ×4, first 2 shown]
	s_mov_b32 s0, exec_lo
	v_cmpx_eq_u32_e32 1, v32
; %bb.144:
	v_sub_nc_u32_e32 v1, v15, v11
	s_delay_alu instid0(VALU_DEP_1)
	v_lshlrev_b32_e32 v1, 3, v1
	ds_store_b64 v1, v[19:20]
; %bb.145:
	s_wait_alu 0xfffe
	s_or_b32 exec_lo, exec_lo, s0
	v_lshlrev_b64_e32 v[2:3], 3, v[11:12]
	v_mov_b32_e32 v1, 0
	s_mov_b32 s1, 0
	s_wait_storecnt 0x0
	s_wait_loadcnt_dscnt 0x0
	s_barrier_signal -1
	s_barrier_wait -1
	v_add_co_u32 v4, vcc_lo, s12, v2
	s_wait_alu 0xfffd
	v_add_co_ci_u32_e64 v5, null, s13, v3, vcc_lo
	v_dual_mov_b32 v3, v1 :: v_dual_mov_b32 v2, v0
	s_delay_alu instid0(VALU_DEP_3) | instskip(SKIP_1) | instid1(VALU_DEP_3)
	v_add_co_u32 v4, vcc_lo, v4, v21
	s_wait_alu 0xfffd
	v_add_co_ci_u32_e64 v5, null, v5, v22, vcc_lo
	v_or_b32_e32 v0, 0x100, v0
	global_inv scope:SCOPE_SE
.LBB1331_146:                           ; =>This Inner Loop Header: Depth=1
	v_lshlrev_b32_e32 v6, 3, v2
	v_lshlrev_b64_e32 v[13:14], 3, v[2:3]
	v_mov_b32_e32 v3, v1
	v_cmp_le_u64_e32 vcc_lo, v[9:10], v[0:1]
	v_mov_b32_e32 v2, v0
	ds_load_b64 v[6:7], v6
	v_add_nc_u32_e32 v0, 0x100, v0
	v_add_co_u32 v13, s0, v4, v13
	s_wait_alu 0xf1ff
	v_add_co_ci_u32_e64 v14, null, v5, v14, s0
	s_wait_alu 0xfffe
	s_or_b32 s1, vcc_lo, s1
	s_wait_dscnt 0x0
	global_store_b64 v[13:14], v[6:7], off
	s_wait_alu 0xfffe
	s_and_not1_b32 exec_lo, exec_lo, s1
	s_cbranch_execnz .LBB1331_146
; %bb.147:
	s_or_b32 exec_lo, exec_lo, s1
	s_and_b32 s0, s2, s18
	s_wait_alu 0xfffe
	s_and_saveexec_b32 s1, s0
	s_cbranch_execz .LBB1331_123
.LBB1331_148:
	v_add_co_u32 v0, vcc_lo, v11, v9
	s_wait_alu 0xfffd
	v_add_co_ci_u32_e64 v1, null, v12, v10, vcc_lo
	v_mov_b32_e32 v2, 0
	s_delay_alu instid0(VALU_DEP_3) | instskip(SKIP_1) | instid1(VALU_DEP_3)
	v_add_co_u32 v0, vcc_lo, v0, v17
	s_wait_alu 0xfffd
	v_add_co_ci_u32_e64 v1, null, v1, v18, vcc_lo
	global_store_b64 v2, v[0:1], s[4:5]
	s_endpgm
	.section	.rodata,"a",@progbits
	.p2align	6, 0x0
	.amdhsa_kernel _ZN7rocprim17ROCPRIM_400000_NS6detail17trampoline_kernelINS0_14default_configENS1_25partition_config_selectorILNS1_17partition_subalgoE5EdNS0_10empty_typeEbEEZZNS1_14partition_implILS5_5ELb0ES3_mN6thrust23THRUST_200600_302600_NS6detail15normal_iteratorINSA_10device_ptrIdEEEEPS6_NSA_18transform_iteratorINSB_9not_fun_tI7is_trueIdEEESF_NSA_11use_defaultESM_EENS0_5tupleIJSF_S6_EEENSO_IJSG_SG_EEES6_PlJS6_EEE10hipError_tPvRmT3_T4_T5_T6_T7_T9_mT8_P12ihipStream_tbDpT10_ENKUlT_T0_E_clISt17integral_constantIbLb0EES1A_IbLb1EEEEDaS16_S17_EUlS16_E_NS1_11comp_targetILNS1_3genE10ELNS1_11target_archE1200ELNS1_3gpuE4ELNS1_3repE0EEENS1_30default_config_static_selectorELNS0_4arch9wavefront6targetE0EEEvT1_
		.amdhsa_group_segment_fixed_size 10256
		.amdhsa_private_segment_fixed_size 0
		.amdhsa_kernarg_size 136
		.amdhsa_user_sgpr_count 2
		.amdhsa_user_sgpr_dispatch_ptr 0
		.amdhsa_user_sgpr_queue_ptr 0
		.amdhsa_user_sgpr_kernarg_segment_ptr 1
		.amdhsa_user_sgpr_dispatch_id 0
		.amdhsa_user_sgpr_private_segment_size 0
		.amdhsa_wavefront_size32 1
		.amdhsa_uses_dynamic_stack 0
		.amdhsa_enable_private_segment 0
		.amdhsa_system_sgpr_workgroup_id_x 1
		.amdhsa_system_sgpr_workgroup_id_y 0
		.amdhsa_system_sgpr_workgroup_id_z 0
		.amdhsa_system_sgpr_workgroup_info 0
		.amdhsa_system_vgpr_workitem_id 0
		.amdhsa_next_free_vgpr 50
		.amdhsa_next_free_sgpr 24
		.amdhsa_reserve_vcc 1
		.amdhsa_float_round_mode_32 0
		.amdhsa_float_round_mode_16_64 0
		.amdhsa_float_denorm_mode_32 3
		.amdhsa_float_denorm_mode_16_64 3
		.amdhsa_fp16_overflow 0
		.amdhsa_workgroup_processor_mode 1
		.amdhsa_memory_ordered 1
		.amdhsa_forward_progress 1
		.amdhsa_inst_pref_size 58
		.amdhsa_round_robin_scheduling 0
		.amdhsa_exception_fp_ieee_invalid_op 0
		.amdhsa_exception_fp_denorm_src 0
		.amdhsa_exception_fp_ieee_div_zero 0
		.amdhsa_exception_fp_ieee_overflow 0
		.amdhsa_exception_fp_ieee_underflow 0
		.amdhsa_exception_fp_ieee_inexact 0
		.amdhsa_exception_int_div_zero 0
	.end_amdhsa_kernel
	.section	.text._ZN7rocprim17ROCPRIM_400000_NS6detail17trampoline_kernelINS0_14default_configENS1_25partition_config_selectorILNS1_17partition_subalgoE5EdNS0_10empty_typeEbEEZZNS1_14partition_implILS5_5ELb0ES3_mN6thrust23THRUST_200600_302600_NS6detail15normal_iteratorINSA_10device_ptrIdEEEEPS6_NSA_18transform_iteratorINSB_9not_fun_tI7is_trueIdEEESF_NSA_11use_defaultESM_EENS0_5tupleIJSF_S6_EEENSO_IJSG_SG_EEES6_PlJS6_EEE10hipError_tPvRmT3_T4_T5_T6_T7_T9_mT8_P12ihipStream_tbDpT10_ENKUlT_T0_E_clISt17integral_constantIbLb0EES1A_IbLb1EEEEDaS16_S17_EUlS16_E_NS1_11comp_targetILNS1_3genE10ELNS1_11target_archE1200ELNS1_3gpuE4ELNS1_3repE0EEENS1_30default_config_static_selectorELNS0_4arch9wavefront6targetE0EEEvT1_,"axG",@progbits,_ZN7rocprim17ROCPRIM_400000_NS6detail17trampoline_kernelINS0_14default_configENS1_25partition_config_selectorILNS1_17partition_subalgoE5EdNS0_10empty_typeEbEEZZNS1_14partition_implILS5_5ELb0ES3_mN6thrust23THRUST_200600_302600_NS6detail15normal_iteratorINSA_10device_ptrIdEEEEPS6_NSA_18transform_iteratorINSB_9not_fun_tI7is_trueIdEEESF_NSA_11use_defaultESM_EENS0_5tupleIJSF_S6_EEENSO_IJSG_SG_EEES6_PlJS6_EEE10hipError_tPvRmT3_T4_T5_T6_T7_T9_mT8_P12ihipStream_tbDpT10_ENKUlT_T0_E_clISt17integral_constantIbLb0EES1A_IbLb1EEEEDaS16_S17_EUlS16_E_NS1_11comp_targetILNS1_3genE10ELNS1_11target_archE1200ELNS1_3gpuE4ELNS1_3repE0EEENS1_30default_config_static_selectorELNS0_4arch9wavefront6targetE0EEEvT1_,comdat
.Lfunc_end1331:
	.size	_ZN7rocprim17ROCPRIM_400000_NS6detail17trampoline_kernelINS0_14default_configENS1_25partition_config_selectorILNS1_17partition_subalgoE5EdNS0_10empty_typeEbEEZZNS1_14partition_implILS5_5ELb0ES3_mN6thrust23THRUST_200600_302600_NS6detail15normal_iteratorINSA_10device_ptrIdEEEEPS6_NSA_18transform_iteratorINSB_9not_fun_tI7is_trueIdEEESF_NSA_11use_defaultESM_EENS0_5tupleIJSF_S6_EEENSO_IJSG_SG_EEES6_PlJS6_EEE10hipError_tPvRmT3_T4_T5_T6_T7_T9_mT8_P12ihipStream_tbDpT10_ENKUlT_T0_E_clISt17integral_constantIbLb0EES1A_IbLb1EEEEDaS16_S17_EUlS16_E_NS1_11comp_targetILNS1_3genE10ELNS1_11target_archE1200ELNS1_3gpuE4ELNS1_3repE0EEENS1_30default_config_static_selectorELNS0_4arch9wavefront6targetE0EEEvT1_, .Lfunc_end1331-_ZN7rocprim17ROCPRIM_400000_NS6detail17trampoline_kernelINS0_14default_configENS1_25partition_config_selectorILNS1_17partition_subalgoE5EdNS0_10empty_typeEbEEZZNS1_14partition_implILS5_5ELb0ES3_mN6thrust23THRUST_200600_302600_NS6detail15normal_iteratorINSA_10device_ptrIdEEEEPS6_NSA_18transform_iteratorINSB_9not_fun_tI7is_trueIdEEESF_NSA_11use_defaultESM_EENS0_5tupleIJSF_S6_EEENSO_IJSG_SG_EEES6_PlJS6_EEE10hipError_tPvRmT3_T4_T5_T6_T7_T9_mT8_P12ihipStream_tbDpT10_ENKUlT_T0_E_clISt17integral_constantIbLb0EES1A_IbLb1EEEEDaS16_S17_EUlS16_E_NS1_11comp_targetILNS1_3genE10ELNS1_11target_archE1200ELNS1_3gpuE4ELNS1_3repE0EEENS1_30default_config_static_selectorELNS0_4arch9wavefront6targetE0EEEvT1_
                                        ; -- End function
	.set _ZN7rocprim17ROCPRIM_400000_NS6detail17trampoline_kernelINS0_14default_configENS1_25partition_config_selectorILNS1_17partition_subalgoE5EdNS0_10empty_typeEbEEZZNS1_14partition_implILS5_5ELb0ES3_mN6thrust23THRUST_200600_302600_NS6detail15normal_iteratorINSA_10device_ptrIdEEEEPS6_NSA_18transform_iteratorINSB_9not_fun_tI7is_trueIdEEESF_NSA_11use_defaultESM_EENS0_5tupleIJSF_S6_EEENSO_IJSG_SG_EEES6_PlJS6_EEE10hipError_tPvRmT3_T4_T5_T6_T7_T9_mT8_P12ihipStream_tbDpT10_ENKUlT_T0_E_clISt17integral_constantIbLb0EES1A_IbLb1EEEEDaS16_S17_EUlS16_E_NS1_11comp_targetILNS1_3genE10ELNS1_11target_archE1200ELNS1_3gpuE4ELNS1_3repE0EEENS1_30default_config_static_selectorELNS0_4arch9wavefront6targetE0EEEvT1_.num_vgpr, 50
	.set _ZN7rocprim17ROCPRIM_400000_NS6detail17trampoline_kernelINS0_14default_configENS1_25partition_config_selectorILNS1_17partition_subalgoE5EdNS0_10empty_typeEbEEZZNS1_14partition_implILS5_5ELb0ES3_mN6thrust23THRUST_200600_302600_NS6detail15normal_iteratorINSA_10device_ptrIdEEEEPS6_NSA_18transform_iteratorINSB_9not_fun_tI7is_trueIdEEESF_NSA_11use_defaultESM_EENS0_5tupleIJSF_S6_EEENSO_IJSG_SG_EEES6_PlJS6_EEE10hipError_tPvRmT3_T4_T5_T6_T7_T9_mT8_P12ihipStream_tbDpT10_ENKUlT_T0_E_clISt17integral_constantIbLb0EES1A_IbLb1EEEEDaS16_S17_EUlS16_E_NS1_11comp_targetILNS1_3genE10ELNS1_11target_archE1200ELNS1_3gpuE4ELNS1_3repE0EEENS1_30default_config_static_selectorELNS0_4arch9wavefront6targetE0EEEvT1_.num_agpr, 0
	.set _ZN7rocprim17ROCPRIM_400000_NS6detail17trampoline_kernelINS0_14default_configENS1_25partition_config_selectorILNS1_17partition_subalgoE5EdNS0_10empty_typeEbEEZZNS1_14partition_implILS5_5ELb0ES3_mN6thrust23THRUST_200600_302600_NS6detail15normal_iteratorINSA_10device_ptrIdEEEEPS6_NSA_18transform_iteratorINSB_9not_fun_tI7is_trueIdEEESF_NSA_11use_defaultESM_EENS0_5tupleIJSF_S6_EEENSO_IJSG_SG_EEES6_PlJS6_EEE10hipError_tPvRmT3_T4_T5_T6_T7_T9_mT8_P12ihipStream_tbDpT10_ENKUlT_T0_E_clISt17integral_constantIbLb0EES1A_IbLb1EEEEDaS16_S17_EUlS16_E_NS1_11comp_targetILNS1_3genE10ELNS1_11target_archE1200ELNS1_3gpuE4ELNS1_3repE0EEENS1_30default_config_static_selectorELNS0_4arch9wavefront6targetE0EEEvT1_.numbered_sgpr, 24
	.set _ZN7rocprim17ROCPRIM_400000_NS6detail17trampoline_kernelINS0_14default_configENS1_25partition_config_selectorILNS1_17partition_subalgoE5EdNS0_10empty_typeEbEEZZNS1_14partition_implILS5_5ELb0ES3_mN6thrust23THRUST_200600_302600_NS6detail15normal_iteratorINSA_10device_ptrIdEEEEPS6_NSA_18transform_iteratorINSB_9not_fun_tI7is_trueIdEEESF_NSA_11use_defaultESM_EENS0_5tupleIJSF_S6_EEENSO_IJSG_SG_EEES6_PlJS6_EEE10hipError_tPvRmT3_T4_T5_T6_T7_T9_mT8_P12ihipStream_tbDpT10_ENKUlT_T0_E_clISt17integral_constantIbLb0EES1A_IbLb1EEEEDaS16_S17_EUlS16_E_NS1_11comp_targetILNS1_3genE10ELNS1_11target_archE1200ELNS1_3gpuE4ELNS1_3repE0EEENS1_30default_config_static_selectorELNS0_4arch9wavefront6targetE0EEEvT1_.num_named_barrier, 0
	.set _ZN7rocprim17ROCPRIM_400000_NS6detail17trampoline_kernelINS0_14default_configENS1_25partition_config_selectorILNS1_17partition_subalgoE5EdNS0_10empty_typeEbEEZZNS1_14partition_implILS5_5ELb0ES3_mN6thrust23THRUST_200600_302600_NS6detail15normal_iteratorINSA_10device_ptrIdEEEEPS6_NSA_18transform_iteratorINSB_9not_fun_tI7is_trueIdEEESF_NSA_11use_defaultESM_EENS0_5tupleIJSF_S6_EEENSO_IJSG_SG_EEES6_PlJS6_EEE10hipError_tPvRmT3_T4_T5_T6_T7_T9_mT8_P12ihipStream_tbDpT10_ENKUlT_T0_E_clISt17integral_constantIbLb0EES1A_IbLb1EEEEDaS16_S17_EUlS16_E_NS1_11comp_targetILNS1_3genE10ELNS1_11target_archE1200ELNS1_3gpuE4ELNS1_3repE0EEENS1_30default_config_static_selectorELNS0_4arch9wavefront6targetE0EEEvT1_.private_seg_size, 0
	.set _ZN7rocprim17ROCPRIM_400000_NS6detail17trampoline_kernelINS0_14default_configENS1_25partition_config_selectorILNS1_17partition_subalgoE5EdNS0_10empty_typeEbEEZZNS1_14partition_implILS5_5ELb0ES3_mN6thrust23THRUST_200600_302600_NS6detail15normal_iteratorINSA_10device_ptrIdEEEEPS6_NSA_18transform_iteratorINSB_9not_fun_tI7is_trueIdEEESF_NSA_11use_defaultESM_EENS0_5tupleIJSF_S6_EEENSO_IJSG_SG_EEES6_PlJS6_EEE10hipError_tPvRmT3_T4_T5_T6_T7_T9_mT8_P12ihipStream_tbDpT10_ENKUlT_T0_E_clISt17integral_constantIbLb0EES1A_IbLb1EEEEDaS16_S17_EUlS16_E_NS1_11comp_targetILNS1_3genE10ELNS1_11target_archE1200ELNS1_3gpuE4ELNS1_3repE0EEENS1_30default_config_static_selectorELNS0_4arch9wavefront6targetE0EEEvT1_.uses_vcc, 1
	.set _ZN7rocprim17ROCPRIM_400000_NS6detail17trampoline_kernelINS0_14default_configENS1_25partition_config_selectorILNS1_17partition_subalgoE5EdNS0_10empty_typeEbEEZZNS1_14partition_implILS5_5ELb0ES3_mN6thrust23THRUST_200600_302600_NS6detail15normal_iteratorINSA_10device_ptrIdEEEEPS6_NSA_18transform_iteratorINSB_9not_fun_tI7is_trueIdEEESF_NSA_11use_defaultESM_EENS0_5tupleIJSF_S6_EEENSO_IJSG_SG_EEES6_PlJS6_EEE10hipError_tPvRmT3_T4_T5_T6_T7_T9_mT8_P12ihipStream_tbDpT10_ENKUlT_T0_E_clISt17integral_constantIbLb0EES1A_IbLb1EEEEDaS16_S17_EUlS16_E_NS1_11comp_targetILNS1_3genE10ELNS1_11target_archE1200ELNS1_3gpuE4ELNS1_3repE0EEENS1_30default_config_static_selectorELNS0_4arch9wavefront6targetE0EEEvT1_.uses_flat_scratch, 1
	.set _ZN7rocprim17ROCPRIM_400000_NS6detail17trampoline_kernelINS0_14default_configENS1_25partition_config_selectorILNS1_17partition_subalgoE5EdNS0_10empty_typeEbEEZZNS1_14partition_implILS5_5ELb0ES3_mN6thrust23THRUST_200600_302600_NS6detail15normal_iteratorINSA_10device_ptrIdEEEEPS6_NSA_18transform_iteratorINSB_9not_fun_tI7is_trueIdEEESF_NSA_11use_defaultESM_EENS0_5tupleIJSF_S6_EEENSO_IJSG_SG_EEES6_PlJS6_EEE10hipError_tPvRmT3_T4_T5_T6_T7_T9_mT8_P12ihipStream_tbDpT10_ENKUlT_T0_E_clISt17integral_constantIbLb0EES1A_IbLb1EEEEDaS16_S17_EUlS16_E_NS1_11comp_targetILNS1_3genE10ELNS1_11target_archE1200ELNS1_3gpuE4ELNS1_3repE0EEENS1_30default_config_static_selectorELNS0_4arch9wavefront6targetE0EEEvT1_.has_dyn_sized_stack, 0
	.set _ZN7rocprim17ROCPRIM_400000_NS6detail17trampoline_kernelINS0_14default_configENS1_25partition_config_selectorILNS1_17partition_subalgoE5EdNS0_10empty_typeEbEEZZNS1_14partition_implILS5_5ELb0ES3_mN6thrust23THRUST_200600_302600_NS6detail15normal_iteratorINSA_10device_ptrIdEEEEPS6_NSA_18transform_iteratorINSB_9not_fun_tI7is_trueIdEEESF_NSA_11use_defaultESM_EENS0_5tupleIJSF_S6_EEENSO_IJSG_SG_EEES6_PlJS6_EEE10hipError_tPvRmT3_T4_T5_T6_T7_T9_mT8_P12ihipStream_tbDpT10_ENKUlT_T0_E_clISt17integral_constantIbLb0EES1A_IbLb1EEEEDaS16_S17_EUlS16_E_NS1_11comp_targetILNS1_3genE10ELNS1_11target_archE1200ELNS1_3gpuE4ELNS1_3repE0EEENS1_30default_config_static_selectorELNS0_4arch9wavefront6targetE0EEEvT1_.has_recursion, 0
	.set _ZN7rocprim17ROCPRIM_400000_NS6detail17trampoline_kernelINS0_14default_configENS1_25partition_config_selectorILNS1_17partition_subalgoE5EdNS0_10empty_typeEbEEZZNS1_14partition_implILS5_5ELb0ES3_mN6thrust23THRUST_200600_302600_NS6detail15normal_iteratorINSA_10device_ptrIdEEEEPS6_NSA_18transform_iteratorINSB_9not_fun_tI7is_trueIdEEESF_NSA_11use_defaultESM_EENS0_5tupleIJSF_S6_EEENSO_IJSG_SG_EEES6_PlJS6_EEE10hipError_tPvRmT3_T4_T5_T6_T7_T9_mT8_P12ihipStream_tbDpT10_ENKUlT_T0_E_clISt17integral_constantIbLb0EES1A_IbLb1EEEEDaS16_S17_EUlS16_E_NS1_11comp_targetILNS1_3genE10ELNS1_11target_archE1200ELNS1_3gpuE4ELNS1_3repE0EEENS1_30default_config_static_selectorELNS0_4arch9wavefront6targetE0EEEvT1_.has_indirect_call, 0
	.section	.AMDGPU.csdata,"",@progbits
; Kernel info:
; codeLenInByte = 7400
; TotalNumSgprs: 26
; NumVgprs: 50
; ScratchSize: 0
; MemoryBound: 0
; FloatMode: 240
; IeeeMode: 1
; LDSByteSize: 10256 bytes/workgroup (compile time only)
; SGPRBlocks: 0
; VGPRBlocks: 6
; NumSGPRsForWavesPerEU: 26
; NumVGPRsForWavesPerEU: 50
; Occupancy: 16
; WaveLimiterHint : 1
; COMPUTE_PGM_RSRC2:SCRATCH_EN: 0
; COMPUTE_PGM_RSRC2:USER_SGPR: 2
; COMPUTE_PGM_RSRC2:TRAP_HANDLER: 0
; COMPUTE_PGM_RSRC2:TGID_X_EN: 1
; COMPUTE_PGM_RSRC2:TGID_Y_EN: 0
; COMPUTE_PGM_RSRC2:TGID_Z_EN: 0
; COMPUTE_PGM_RSRC2:TIDIG_COMP_CNT: 0
	.section	.text._ZN7rocprim17ROCPRIM_400000_NS6detail17trampoline_kernelINS0_14default_configENS1_25partition_config_selectorILNS1_17partition_subalgoE5EdNS0_10empty_typeEbEEZZNS1_14partition_implILS5_5ELb0ES3_mN6thrust23THRUST_200600_302600_NS6detail15normal_iteratorINSA_10device_ptrIdEEEEPS6_NSA_18transform_iteratorINSB_9not_fun_tI7is_trueIdEEESF_NSA_11use_defaultESM_EENS0_5tupleIJSF_S6_EEENSO_IJSG_SG_EEES6_PlJS6_EEE10hipError_tPvRmT3_T4_T5_T6_T7_T9_mT8_P12ihipStream_tbDpT10_ENKUlT_T0_E_clISt17integral_constantIbLb0EES1A_IbLb1EEEEDaS16_S17_EUlS16_E_NS1_11comp_targetILNS1_3genE9ELNS1_11target_archE1100ELNS1_3gpuE3ELNS1_3repE0EEENS1_30default_config_static_selectorELNS0_4arch9wavefront6targetE0EEEvT1_,"axG",@progbits,_ZN7rocprim17ROCPRIM_400000_NS6detail17trampoline_kernelINS0_14default_configENS1_25partition_config_selectorILNS1_17partition_subalgoE5EdNS0_10empty_typeEbEEZZNS1_14partition_implILS5_5ELb0ES3_mN6thrust23THRUST_200600_302600_NS6detail15normal_iteratorINSA_10device_ptrIdEEEEPS6_NSA_18transform_iteratorINSB_9not_fun_tI7is_trueIdEEESF_NSA_11use_defaultESM_EENS0_5tupleIJSF_S6_EEENSO_IJSG_SG_EEES6_PlJS6_EEE10hipError_tPvRmT3_T4_T5_T6_T7_T9_mT8_P12ihipStream_tbDpT10_ENKUlT_T0_E_clISt17integral_constantIbLb0EES1A_IbLb1EEEEDaS16_S17_EUlS16_E_NS1_11comp_targetILNS1_3genE9ELNS1_11target_archE1100ELNS1_3gpuE3ELNS1_3repE0EEENS1_30default_config_static_selectorELNS0_4arch9wavefront6targetE0EEEvT1_,comdat
	.protected	_ZN7rocprim17ROCPRIM_400000_NS6detail17trampoline_kernelINS0_14default_configENS1_25partition_config_selectorILNS1_17partition_subalgoE5EdNS0_10empty_typeEbEEZZNS1_14partition_implILS5_5ELb0ES3_mN6thrust23THRUST_200600_302600_NS6detail15normal_iteratorINSA_10device_ptrIdEEEEPS6_NSA_18transform_iteratorINSB_9not_fun_tI7is_trueIdEEESF_NSA_11use_defaultESM_EENS0_5tupleIJSF_S6_EEENSO_IJSG_SG_EEES6_PlJS6_EEE10hipError_tPvRmT3_T4_T5_T6_T7_T9_mT8_P12ihipStream_tbDpT10_ENKUlT_T0_E_clISt17integral_constantIbLb0EES1A_IbLb1EEEEDaS16_S17_EUlS16_E_NS1_11comp_targetILNS1_3genE9ELNS1_11target_archE1100ELNS1_3gpuE3ELNS1_3repE0EEENS1_30default_config_static_selectorELNS0_4arch9wavefront6targetE0EEEvT1_ ; -- Begin function _ZN7rocprim17ROCPRIM_400000_NS6detail17trampoline_kernelINS0_14default_configENS1_25partition_config_selectorILNS1_17partition_subalgoE5EdNS0_10empty_typeEbEEZZNS1_14partition_implILS5_5ELb0ES3_mN6thrust23THRUST_200600_302600_NS6detail15normal_iteratorINSA_10device_ptrIdEEEEPS6_NSA_18transform_iteratorINSB_9not_fun_tI7is_trueIdEEESF_NSA_11use_defaultESM_EENS0_5tupleIJSF_S6_EEENSO_IJSG_SG_EEES6_PlJS6_EEE10hipError_tPvRmT3_T4_T5_T6_T7_T9_mT8_P12ihipStream_tbDpT10_ENKUlT_T0_E_clISt17integral_constantIbLb0EES1A_IbLb1EEEEDaS16_S17_EUlS16_E_NS1_11comp_targetILNS1_3genE9ELNS1_11target_archE1100ELNS1_3gpuE3ELNS1_3repE0EEENS1_30default_config_static_selectorELNS0_4arch9wavefront6targetE0EEEvT1_
	.globl	_ZN7rocprim17ROCPRIM_400000_NS6detail17trampoline_kernelINS0_14default_configENS1_25partition_config_selectorILNS1_17partition_subalgoE5EdNS0_10empty_typeEbEEZZNS1_14partition_implILS5_5ELb0ES3_mN6thrust23THRUST_200600_302600_NS6detail15normal_iteratorINSA_10device_ptrIdEEEEPS6_NSA_18transform_iteratorINSB_9not_fun_tI7is_trueIdEEESF_NSA_11use_defaultESM_EENS0_5tupleIJSF_S6_EEENSO_IJSG_SG_EEES6_PlJS6_EEE10hipError_tPvRmT3_T4_T5_T6_T7_T9_mT8_P12ihipStream_tbDpT10_ENKUlT_T0_E_clISt17integral_constantIbLb0EES1A_IbLb1EEEEDaS16_S17_EUlS16_E_NS1_11comp_targetILNS1_3genE9ELNS1_11target_archE1100ELNS1_3gpuE3ELNS1_3repE0EEENS1_30default_config_static_selectorELNS0_4arch9wavefront6targetE0EEEvT1_
	.p2align	8
	.type	_ZN7rocprim17ROCPRIM_400000_NS6detail17trampoline_kernelINS0_14default_configENS1_25partition_config_selectorILNS1_17partition_subalgoE5EdNS0_10empty_typeEbEEZZNS1_14partition_implILS5_5ELb0ES3_mN6thrust23THRUST_200600_302600_NS6detail15normal_iteratorINSA_10device_ptrIdEEEEPS6_NSA_18transform_iteratorINSB_9not_fun_tI7is_trueIdEEESF_NSA_11use_defaultESM_EENS0_5tupleIJSF_S6_EEENSO_IJSG_SG_EEES6_PlJS6_EEE10hipError_tPvRmT3_T4_T5_T6_T7_T9_mT8_P12ihipStream_tbDpT10_ENKUlT_T0_E_clISt17integral_constantIbLb0EES1A_IbLb1EEEEDaS16_S17_EUlS16_E_NS1_11comp_targetILNS1_3genE9ELNS1_11target_archE1100ELNS1_3gpuE3ELNS1_3repE0EEENS1_30default_config_static_selectorELNS0_4arch9wavefront6targetE0EEEvT1_,@function
_ZN7rocprim17ROCPRIM_400000_NS6detail17trampoline_kernelINS0_14default_configENS1_25partition_config_selectorILNS1_17partition_subalgoE5EdNS0_10empty_typeEbEEZZNS1_14partition_implILS5_5ELb0ES3_mN6thrust23THRUST_200600_302600_NS6detail15normal_iteratorINSA_10device_ptrIdEEEEPS6_NSA_18transform_iteratorINSB_9not_fun_tI7is_trueIdEEESF_NSA_11use_defaultESM_EENS0_5tupleIJSF_S6_EEENSO_IJSG_SG_EEES6_PlJS6_EEE10hipError_tPvRmT3_T4_T5_T6_T7_T9_mT8_P12ihipStream_tbDpT10_ENKUlT_T0_E_clISt17integral_constantIbLb0EES1A_IbLb1EEEEDaS16_S17_EUlS16_E_NS1_11comp_targetILNS1_3genE9ELNS1_11target_archE1100ELNS1_3gpuE3ELNS1_3repE0EEENS1_30default_config_static_selectorELNS0_4arch9wavefront6targetE0EEEvT1_: ; @_ZN7rocprim17ROCPRIM_400000_NS6detail17trampoline_kernelINS0_14default_configENS1_25partition_config_selectorILNS1_17partition_subalgoE5EdNS0_10empty_typeEbEEZZNS1_14partition_implILS5_5ELb0ES3_mN6thrust23THRUST_200600_302600_NS6detail15normal_iteratorINSA_10device_ptrIdEEEEPS6_NSA_18transform_iteratorINSB_9not_fun_tI7is_trueIdEEESF_NSA_11use_defaultESM_EENS0_5tupleIJSF_S6_EEENSO_IJSG_SG_EEES6_PlJS6_EEE10hipError_tPvRmT3_T4_T5_T6_T7_T9_mT8_P12ihipStream_tbDpT10_ENKUlT_T0_E_clISt17integral_constantIbLb0EES1A_IbLb1EEEEDaS16_S17_EUlS16_E_NS1_11comp_targetILNS1_3genE9ELNS1_11target_archE1100ELNS1_3gpuE3ELNS1_3repE0EEENS1_30default_config_static_selectorELNS0_4arch9wavefront6targetE0EEEvT1_
; %bb.0:
	.section	.rodata,"a",@progbits
	.p2align	6, 0x0
	.amdhsa_kernel _ZN7rocprim17ROCPRIM_400000_NS6detail17trampoline_kernelINS0_14default_configENS1_25partition_config_selectorILNS1_17partition_subalgoE5EdNS0_10empty_typeEbEEZZNS1_14partition_implILS5_5ELb0ES3_mN6thrust23THRUST_200600_302600_NS6detail15normal_iteratorINSA_10device_ptrIdEEEEPS6_NSA_18transform_iteratorINSB_9not_fun_tI7is_trueIdEEESF_NSA_11use_defaultESM_EENS0_5tupleIJSF_S6_EEENSO_IJSG_SG_EEES6_PlJS6_EEE10hipError_tPvRmT3_T4_T5_T6_T7_T9_mT8_P12ihipStream_tbDpT10_ENKUlT_T0_E_clISt17integral_constantIbLb0EES1A_IbLb1EEEEDaS16_S17_EUlS16_E_NS1_11comp_targetILNS1_3genE9ELNS1_11target_archE1100ELNS1_3gpuE3ELNS1_3repE0EEENS1_30default_config_static_selectorELNS0_4arch9wavefront6targetE0EEEvT1_
		.amdhsa_group_segment_fixed_size 0
		.amdhsa_private_segment_fixed_size 0
		.amdhsa_kernarg_size 136
		.amdhsa_user_sgpr_count 2
		.amdhsa_user_sgpr_dispatch_ptr 0
		.amdhsa_user_sgpr_queue_ptr 0
		.amdhsa_user_sgpr_kernarg_segment_ptr 1
		.amdhsa_user_sgpr_dispatch_id 0
		.amdhsa_user_sgpr_private_segment_size 0
		.amdhsa_wavefront_size32 1
		.amdhsa_uses_dynamic_stack 0
		.amdhsa_enable_private_segment 0
		.amdhsa_system_sgpr_workgroup_id_x 1
		.amdhsa_system_sgpr_workgroup_id_y 0
		.amdhsa_system_sgpr_workgroup_id_z 0
		.amdhsa_system_sgpr_workgroup_info 0
		.amdhsa_system_vgpr_workitem_id 0
		.amdhsa_next_free_vgpr 1
		.amdhsa_next_free_sgpr 1
		.amdhsa_reserve_vcc 0
		.amdhsa_float_round_mode_32 0
		.amdhsa_float_round_mode_16_64 0
		.amdhsa_float_denorm_mode_32 3
		.amdhsa_float_denorm_mode_16_64 3
		.amdhsa_fp16_overflow 0
		.amdhsa_workgroup_processor_mode 1
		.amdhsa_memory_ordered 1
		.amdhsa_forward_progress 1
		.amdhsa_inst_pref_size 0
		.amdhsa_round_robin_scheduling 0
		.amdhsa_exception_fp_ieee_invalid_op 0
		.amdhsa_exception_fp_denorm_src 0
		.amdhsa_exception_fp_ieee_div_zero 0
		.amdhsa_exception_fp_ieee_overflow 0
		.amdhsa_exception_fp_ieee_underflow 0
		.amdhsa_exception_fp_ieee_inexact 0
		.amdhsa_exception_int_div_zero 0
	.end_amdhsa_kernel
	.section	.text._ZN7rocprim17ROCPRIM_400000_NS6detail17trampoline_kernelINS0_14default_configENS1_25partition_config_selectorILNS1_17partition_subalgoE5EdNS0_10empty_typeEbEEZZNS1_14partition_implILS5_5ELb0ES3_mN6thrust23THRUST_200600_302600_NS6detail15normal_iteratorINSA_10device_ptrIdEEEEPS6_NSA_18transform_iteratorINSB_9not_fun_tI7is_trueIdEEESF_NSA_11use_defaultESM_EENS0_5tupleIJSF_S6_EEENSO_IJSG_SG_EEES6_PlJS6_EEE10hipError_tPvRmT3_T4_T5_T6_T7_T9_mT8_P12ihipStream_tbDpT10_ENKUlT_T0_E_clISt17integral_constantIbLb0EES1A_IbLb1EEEEDaS16_S17_EUlS16_E_NS1_11comp_targetILNS1_3genE9ELNS1_11target_archE1100ELNS1_3gpuE3ELNS1_3repE0EEENS1_30default_config_static_selectorELNS0_4arch9wavefront6targetE0EEEvT1_,"axG",@progbits,_ZN7rocprim17ROCPRIM_400000_NS6detail17trampoline_kernelINS0_14default_configENS1_25partition_config_selectorILNS1_17partition_subalgoE5EdNS0_10empty_typeEbEEZZNS1_14partition_implILS5_5ELb0ES3_mN6thrust23THRUST_200600_302600_NS6detail15normal_iteratorINSA_10device_ptrIdEEEEPS6_NSA_18transform_iteratorINSB_9not_fun_tI7is_trueIdEEESF_NSA_11use_defaultESM_EENS0_5tupleIJSF_S6_EEENSO_IJSG_SG_EEES6_PlJS6_EEE10hipError_tPvRmT3_T4_T5_T6_T7_T9_mT8_P12ihipStream_tbDpT10_ENKUlT_T0_E_clISt17integral_constantIbLb0EES1A_IbLb1EEEEDaS16_S17_EUlS16_E_NS1_11comp_targetILNS1_3genE9ELNS1_11target_archE1100ELNS1_3gpuE3ELNS1_3repE0EEENS1_30default_config_static_selectorELNS0_4arch9wavefront6targetE0EEEvT1_,comdat
.Lfunc_end1332:
	.size	_ZN7rocprim17ROCPRIM_400000_NS6detail17trampoline_kernelINS0_14default_configENS1_25partition_config_selectorILNS1_17partition_subalgoE5EdNS0_10empty_typeEbEEZZNS1_14partition_implILS5_5ELb0ES3_mN6thrust23THRUST_200600_302600_NS6detail15normal_iteratorINSA_10device_ptrIdEEEEPS6_NSA_18transform_iteratorINSB_9not_fun_tI7is_trueIdEEESF_NSA_11use_defaultESM_EENS0_5tupleIJSF_S6_EEENSO_IJSG_SG_EEES6_PlJS6_EEE10hipError_tPvRmT3_T4_T5_T6_T7_T9_mT8_P12ihipStream_tbDpT10_ENKUlT_T0_E_clISt17integral_constantIbLb0EES1A_IbLb1EEEEDaS16_S17_EUlS16_E_NS1_11comp_targetILNS1_3genE9ELNS1_11target_archE1100ELNS1_3gpuE3ELNS1_3repE0EEENS1_30default_config_static_selectorELNS0_4arch9wavefront6targetE0EEEvT1_, .Lfunc_end1332-_ZN7rocprim17ROCPRIM_400000_NS6detail17trampoline_kernelINS0_14default_configENS1_25partition_config_selectorILNS1_17partition_subalgoE5EdNS0_10empty_typeEbEEZZNS1_14partition_implILS5_5ELb0ES3_mN6thrust23THRUST_200600_302600_NS6detail15normal_iteratorINSA_10device_ptrIdEEEEPS6_NSA_18transform_iteratorINSB_9not_fun_tI7is_trueIdEEESF_NSA_11use_defaultESM_EENS0_5tupleIJSF_S6_EEENSO_IJSG_SG_EEES6_PlJS6_EEE10hipError_tPvRmT3_T4_T5_T6_T7_T9_mT8_P12ihipStream_tbDpT10_ENKUlT_T0_E_clISt17integral_constantIbLb0EES1A_IbLb1EEEEDaS16_S17_EUlS16_E_NS1_11comp_targetILNS1_3genE9ELNS1_11target_archE1100ELNS1_3gpuE3ELNS1_3repE0EEENS1_30default_config_static_selectorELNS0_4arch9wavefront6targetE0EEEvT1_
                                        ; -- End function
	.set _ZN7rocprim17ROCPRIM_400000_NS6detail17trampoline_kernelINS0_14default_configENS1_25partition_config_selectorILNS1_17partition_subalgoE5EdNS0_10empty_typeEbEEZZNS1_14partition_implILS5_5ELb0ES3_mN6thrust23THRUST_200600_302600_NS6detail15normal_iteratorINSA_10device_ptrIdEEEEPS6_NSA_18transform_iteratorINSB_9not_fun_tI7is_trueIdEEESF_NSA_11use_defaultESM_EENS0_5tupleIJSF_S6_EEENSO_IJSG_SG_EEES6_PlJS6_EEE10hipError_tPvRmT3_T4_T5_T6_T7_T9_mT8_P12ihipStream_tbDpT10_ENKUlT_T0_E_clISt17integral_constantIbLb0EES1A_IbLb1EEEEDaS16_S17_EUlS16_E_NS1_11comp_targetILNS1_3genE9ELNS1_11target_archE1100ELNS1_3gpuE3ELNS1_3repE0EEENS1_30default_config_static_selectorELNS0_4arch9wavefront6targetE0EEEvT1_.num_vgpr, 0
	.set _ZN7rocprim17ROCPRIM_400000_NS6detail17trampoline_kernelINS0_14default_configENS1_25partition_config_selectorILNS1_17partition_subalgoE5EdNS0_10empty_typeEbEEZZNS1_14partition_implILS5_5ELb0ES3_mN6thrust23THRUST_200600_302600_NS6detail15normal_iteratorINSA_10device_ptrIdEEEEPS6_NSA_18transform_iteratorINSB_9not_fun_tI7is_trueIdEEESF_NSA_11use_defaultESM_EENS0_5tupleIJSF_S6_EEENSO_IJSG_SG_EEES6_PlJS6_EEE10hipError_tPvRmT3_T4_T5_T6_T7_T9_mT8_P12ihipStream_tbDpT10_ENKUlT_T0_E_clISt17integral_constantIbLb0EES1A_IbLb1EEEEDaS16_S17_EUlS16_E_NS1_11comp_targetILNS1_3genE9ELNS1_11target_archE1100ELNS1_3gpuE3ELNS1_3repE0EEENS1_30default_config_static_selectorELNS0_4arch9wavefront6targetE0EEEvT1_.num_agpr, 0
	.set _ZN7rocprim17ROCPRIM_400000_NS6detail17trampoline_kernelINS0_14default_configENS1_25partition_config_selectorILNS1_17partition_subalgoE5EdNS0_10empty_typeEbEEZZNS1_14partition_implILS5_5ELb0ES3_mN6thrust23THRUST_200600_302600_NS6detail15normal_iteratorINSA_10device_ptrIdEEEEPS6_NSA_18transform_iteratorINSB_9not_fun_tI7is_trueIdEEESF_NSA_11use_defaultESM_EENS0_5tupleIJSF_S6_EEENSO_IJSG_SG_EEES6_PlJS6_EEE10hipError_tPvRmT3_T4_T5_T6_T7_T9_mT8_P12ihipStream_tbDpT10_ENKUlT_T0_E_clISt17integral_constantIbLb0EES1A_IbLb1EEEEDaS16_S17_EUlS16_E_NS1_11comp_targetILNS1_3genE9ELNS1_11target_archE1100ELNS1_3gpuE3ELNS1_3repE0EEENS1_30default_config_static_selectorELNS0_4arch9wavefront6targetE0EEEvT1_.numbered_sgpr, 0
	.set _ZN7rocprim17ROCPRIM_400000_NS6detail17trampoline_kernelINS0_14default_configENS1_25partition_config_selectorILNS1_17partition_subalgoE5EdNS0_10empty_typeEbEEZZNS1_14partition_implILS5_5ELb0ES3_mN6thrust23THRUST_200600_302600_NS6detail15normal_iteratorINSA_10device_ptrIdEEEEPS6_NSA_18transform_iteratorINSB_9not_fun_tI7is_trueIdEEESF_NSA_11use_defaultESM_EENS0_5tupleIJSF_S6_EEENSO_IJSG_SG_EEES6_PlJS6_EEE10hipError_tPvRmT3_T4_T5_T6_T7_T9_mT8_P12ihipStream_tbDpT10_ENKUlT_T0_E_clISt17integral_constantIbLb0EES1A_IbLb1EEEEDaS16_S17_EUlS16_E_NS1_11comp_targetILNS1_3genE9ELNS1_11target_archE1100ELNS1_3gpuE3ELNS1_3repE0EEENS1_30default_config_static_selectorELNS0_4arch9wavefront6targetE0EEEvT1_.num_named_barrier, 0
	.set _ZN7rocprim17ROCPRIM_400000_NS6detail17trampoline_kernelINS0_14default_configENS1_25partition_config_selectorILNS1_17partition_subalgoE5EdNS0_10empty_typeEbEEZZNS1_14partition_implILS5_5ELb0ES3_mN6thrust23THRUST_200600_302600_NS6detail15normal_iteratorINSA_10device_ptrIdEEEEPS6_NSA_18transform_iteratorINSB_9not_fun_tI7is_trueIdEEESF_NSA_11use_defaultESM_EENS0_5tupleIJSF_S6_EEENSO_IJSG_SG_EEES6_PlJS6_EEE10hipError_tPvRmT3_T4_T5_T6_T7_T9_mT8_P12ihipStream_tbDpT10_ENKUlT_T0_E_clISt17integral_constantIbLb0EES1A_IbLb1EEEEDaS16_S17_EUlS16_E_NS1_11comp_targetILNS1_3genE9ELNS1_11target_archE1100ELNS1_3gpuE3ELNS1_3repE0EEENS1_30default_config_static_selectorELNS0_4arch9wavefront6targetE0EEEvT1_.private_seg_size, 0
	.set _ZN7rocprim17ROCPRIM_400000_NS6detail17trampoline_kernelINS0_14default_configENS1_25partition_config_selectorILNS1_17partition_subalgoE5EdNS0_10empty_typeEbEEZZNS1_14partition_implILS5_5ELb0ES3_mN6thrust23THRUST_200600_302600_NS6detail15normal_iteratorINSA_10device_ptrIdEEEEPS6_NSA_18transform_iteratorINSB_9not_fun_tI7is_trueIdEEESF_NSA_11use_defaultESM_EENS0_5tupleIJSF_S6_EEENSO_IJSG_SG_EEES6_PlJS6_EEE10hipError_tPvRmT3_T4_T5_T6_T7_T9_mT8_P12ihipStream_tbDpT10_ENKUlT_T0_E_clISt17integral_constantIbLb0EES1A_IbLb1EEEEDaS16_S17_EUlS16_E_NS1_11comp_targetILNS1_3genE9ELNS1_11target_archE1100ELNS1_3gpuE3ELNS1_3repE0EEENS1_30default_config_static_selectorELNS0_4arch9wavefront6targetE0EEEvT1_.uses_vcc, 0
	.set _ZN7rocprim17ROCPRIM_400000_NS6detail17trampoline_kernelINS0_14default_configENS1_25partition_config_selectorILNS1_17partition_subalgoE5EdNS0_10empty_typeEbEEZZNS1_14partition_implILS5_5ELb0ES3_mN6thrust23THRUST_200600_302600_NS6detail15normal_iteratorINSA_10device_ptrIdEEEEPS6_NSA_18transform_iteratorINSB_9not_fun_tI7is_trueIdEEESF_NSA_11use_defaultESM_EENS0_5tupleIJSF_S6_EEENSO_IJSG_SG_EEES6_PlJS6_EEE10hipError_tPvRmT3_T4_T5_T6_T7_T9_mT8_P12ihipStream_tbDpT10_ENKUlT_T0_E_clISt17integral_constantIbLb0EES1A_IbLb1EEEEDaS16_S17_EUlS16_E_NS1_11comp_targetILNS1_3genE9ELNS1_11target_archE1100ELNS1_3gpuE3ELNS1_3repE0EEENS1_30default_config_static_selectorELNS0_4arch9wavefront6targetE0EEEvT1_.uses_flat_scratch, 0
	.set _ZN7rocprim17ROCPRIM_400000_NS6detail17trampoline_kernelINS0_14default_configENS1_25partition_config_selectorILNS1_17partition_subalgoE5EdNS0_10empty_typeEbEEZZNS1_14partition_implILS5_5ELb0ES3_mN6thrust23THRUST_200600_302600_NS6detail15normal_iteratorINSA_10device_ptrIdEEEEPS6_NSA_18transform_iteratorINSB_9not_fun_tI7is_trueIdEEESF_NSA_11use_defaultESM_EENS0_5tupleIJSF_S6_EEENSO_IJSG_SG_EEES6_PlJS6_EEE10hipError_tPvRmT3_T4_T5_T6_T7_T9_mT8_P12ihipStream_tbDpT10_ENKUlT_T0_E_clISt17integral_constantIbLb0EES1A_IbLb1EEEEDaS16_S17_EUlS16_E_NS1_11comp_targetILNS1_3genE9ELNS1_11target_archE1100ELNS1_3gpuE3ELNS1_3repE0EEENS1_30default_config_static_selectorELNS0_4arch9wavefront6targetE0EEEvT1_.has_dyn_sized_stack, 0
	.set _ZN7rocprim17ROCPRIM_400000_NS6detail17trampoline_kernelINS0_14default_configENS1_25partition_config_selectorILNS1_17partition_subalgoE5EdNS0_10empty_typeEbEEZZNS1_14partition_implILS5_5ELb0ES3_mN6thrust23THRUST_200600_302600_NS6detail15normal_iteratorINSA_10device_ptrIdEEEEPS6_NSA_18transform_iteratorINSB_9not_fun_tI7is_trueIdEEESF_NSA_11use_defaultESM_EENS0_5tupleIJSF_S6_EEENSO_IJSG_SG_EEES6_PlJS6_EEE10hipError_tPvRmT3_T4_T5_T6_T7_T9_mT8_P12ihipStream_tbDpT10_ENKUlT_T0_E_clISt17integral_constantIbLb0EES1A_IbLb1EEEEDaS16_S17_EUlS16_E_NS1_11comp_targetILNS1_3genE9ELNS1_11target_archE1100ELNS1_3gpuE3ELNS1_3repE0EEENS1_30default_config_static_selectorELNS0_4arch9wavefront6targetE0EEEvT1_.has_recursion, 0
	.set _ZN7rocprim17ROCPRIM_400000_NS6detail17trampoline_kernelINS0_14default_configENS1_25partition_config_selectorILNS1_17partition_subalgoE5EdNS0_10empty_typeEbEEZZNS1_14partition_implILS5_5ELb0ES3_mN6thrust23THRUST_200600_302600_NS6detail15normal_iteratorINSA_10device_ptrIdEEEEPS6_NSA_18transform_iteratorINSB_9not_fun_tI7is_trueIdEEESF_NSA_11use_defaultESM_EENS0_5tupleIJSF_S6_EEENSO_IJSG_SG_EEES6_PlJS6_EEE10hipError_tPvRmT3_T4_T5_T6_T7_T9_mT8_P12ihipStream_tbDpT10_ENKUlT_T0_E_clISt17integral_constantIbLb0EES1A_IbLb1EEEEDaS16_S17_EUlS16_E_NS1_11comp_targetILNS1_3genE9ELNS1_11target_archE1100ELNS1_3gpuE3ELNS1_3repE0EEENS1_30default_config_static_selectorELNS0_4arch9wavefront6targetE0EEEvT1_.has_indirect_call, 0
	.section	.AMDGPU.csdata,"",@progbits
; Kernel info:
; codeLenInByte = 0
; TotalNumSgprs: 0
; NumVgprs: 0
; ScratchSize: 0
; MemoryBound: 0
; FloatMode: 240
; IeeeMode: 1
; LDSByteSize: 0 bytes/workgroup (compile time only)
; SGPRBlocks: 0
; VGPRBlocks: 0
; NumSGPRsForWavesPerEU: 1
; NumVGPRsForWavesPerEU: 1
; Occupancy: 16
; WaveLimiterHint : 0
; COMPUTE_PGM_RSRC2:SCRATCH_EN: 0
; COMPUTE_PGM_RSRC2:USER_SGPR: 2
; COMPUTE_PGM_RSRC2:TRAP_HANDLER: 0
; COMPUTE_PGM_RSRC2:TGID_X_EN: 1
; COMPUTE_PGM_RSRC2:TGID_Y_EN: 0
; COMPUTE_PGM_RSRC2:TGID_Z_EN: 0
; COMPUTE_PGM_RSRC2:TIDIG_COMP_CNT: 0
	.section	.text._ZN7rocprim17ROCPRIM_400000_NS6detail17trampoline_kernelINS0_14default_configENS1_25partition_config_selectorILNS1_17partition_subalgoE5EdNS0_10empty_typeEbEEZZNS1_14partition_implILS5_5ELb0ES3_mN6thrust23THRUST_200600_302600_NS6detail15normal_iteratorINSA_10device_ptrIdEEEEPS6_NSA_18transform_iteratorINSB_9not_fun_tI7is_trueIdEEESF_NSA_11use_defaultESM_EENS0_5tupleIJSF_S6_EEENSO_IJSG_SG_EEES6_PlJS6_EEE10hipError_tPvRmT3_T4_T5_T6_T7_T9_mT8_P12ihipStream_tbDpT10_ENKUlT_T0_E_clISt17integral_constantIbLb0EES1A_IbLb1EEEEDaS16_S17_EUlS16_E_NS1_11comp_targetILNS1_3genE8ELNS1_11target_archE1030ELNS1_3gpuE2ELNS1_3repE0EEENS1_30default_config_static_selectorELNS0_4arch9wavefront6targetE0EEEvT1_,"axG",@progbits,_ZN7rocprim17ROCPRIM_400000_NS6detail17trampoline_kernelINS0_14default_configENS1_25partition_config_selectorILNS1_17partition_subalgoE5EdNS0_10empty_typeEbEEZZNS1_14partition_implILS5_5ELb0ES3_mN6thrust23THRUST_200600_302600_NS6detail15normal_iteratorINSA_10device_ptrIdEEEEPS6_NSA_18transform_iteratorINSB_9not_fun_tI7is_trueIdEEESF_NSA_11use_defaultESM_EENS0_5tupleIJSF_S6_EEENSO_IJSG_SG_EEES6_PlJS6_EEE10hipError_tPvRmT3_T4_T5_T6_T7_T9_mT8_P12ihipStream_tbDpT10_ENKUlT_T0_E_clISt17integral_constantIbLb0EES1A_IbLb1EEEEDaS16_S17_EUlS16_E_NS1_11comp_targetILNS1_3genE8ELNS1_11target_archE1030ELNS1_3gpuE2ELNS1_3repE0EEENS1_30default_config_static_selectorELNS0_4arch9wavefront6targetE0EEEvT1_,comdat
	.protected	_ZN7rocprim17ROCPRIM_400000_NS6detail17trampoline_kernelINS0_14default_configENS1_25partition_config_selectorILNS1_17partition_subalgoE5EdNS0_10empty_typeEbEEZZNS1_14partition_implILS5_5ELb0ES3_mN6thrust23THRUST_200600_302600_NS6detail15normal_iteratorINSA_10device_ptrIdEEEEPS6_NSA_18transform_iteratorINSB_9not_fun_tI7is_trueIdEEESF_NSA_11use_defaultESM_EENS0_5tupleIJSF_S6_EEENSO_IJSG_SG_EEES6_PlJS6_EEE10hipError_tPvRmT3_T4_T5_T6_T7_T9_mT8_P12ihipStream_tbDpT10_ENKUlT_T0_E_clISt17integral_constantIbLb0EES1A_IbLb1EEEEDaS16_S17_EUlS16_E_NS1_11comp_targetILNS1_3genE8ELNS1_11target_archE1030ELNS1_3gpuE2ELNS1_3repE0EEENS1_30default_config_static_selectorELNS0_4arch9wavefront6targetE0EEEvT1_ ; -- Begin function _ZN7rocprim17ROCPRIM_400000_NS6detail17trampoline_kernelINS0_14default_configENS1_25partition_config_selectorILNS1_17partition_subalgoE5EdNS0_10empty_typeEbEEZZNS1_14partition_implILS5_5ELb0ES3_mN6thrust23THRUST_200600_302600_NS6detail15normal_iteratorINSA_10device_ptrIdEEEEPS6_NSA_18transform_iteratorINSB_9not_fun_tI7is_trueIdEEESF_NSA_11use_defaultESM_EENS0_5tupleIJSF_S6_EEENSO_IJSG_SG_EEES6_PlJS6_EEE10hipError_tPvRmT3_T4_T5_T6_T7_T9_mT8_P12ihipStream_tbDpT10_ENKUlT_T0_E_clISt17integral_constantIbLb0EES1A_IbLb1EEEEDaS16_S17_EUlS16_E_NS1_11comp_targetILNS1_3genE8ELNS1_11target_archE1030ELNS1_3gpuE2ELNS1_3repE0EEENS1_30default_config_static_selectorELNS0_4arch9wavefront6targetE0EEEvT1_
	.globl	_ZN7rocprim17ROCPRIM_400000_NS6detail17trampoline_kernelINS0_14default_configENS1_25partition_config_selectorILNS1_17partition_subalgoE5EdNS0_10empty_typeEbEEZZNS1_14partition_implILS5_5ELb0ES3_mN6thrust23THRUST_200600_302600_NS6detail15normal_iteratorINSA_10device_ptrIdEEEEPS6_NSA_18transform_iteratorINSB_9not_fun_tI7is_trueIdEEESF_NSA_11use_defaultESM_EENS0_5tupleIJSF_S6_EEENSO_IJSG_SG_EEES6_PlJS6_EEE10hipError_tPvRmT3_T4_T5_T6_T7_T9_mT8_P12ihipStream_tbDpT10_ENKUlT_T0_E_clISt17integral_constantIbLb0EES1A_IbLb1EEEEDaS16_S17_EUlS16_E_NS1_11comp_targetILNS1_3genE8ELNS1_11target_archE1030ELNS1_3gpuE2ELNS1_3repE0EEENS1_30default_config_static_selectorELNS0_4arch9wavefront6targetE0EEEvT1_
	.p2align	8
	.type	_ZN7rocprim17ROCPRIM_400000_NS6detail17trampoline_kernelINS0_14default_configENS1_25partition_config_selectorILNS1_17partition_subalgoE5EdNS0_10empty_typeEbEEZZNS1_14partition_implILS5_5ELb0ES3_mN6thrust23THRUST_200600_302600_NS6detail15normal_iteratorINSA_10device_ptrIdEEEEPS6_NSA_18transform_iteratorINSB_9not_fun_tI7is_trueIdEEESF_NSA_11use_defaultESM_EENS0_5tupleIJSF_S6_EEENSO_IJSG_SG_EEES6_PlJS6_EEE10hipError_tPvRmT3_T4_T5_T6_T7_T9_mT8_P12ihipStream_tbDpT10_ENKUlT_T0_E_clISt17integral_constantIbLb0EES1A_IbLb1EEEEDaS16_S17_EUlS16_E_NS1_11comp_targetILNS1_3genE8ELNS1_11target_archE1030ELNS1_3gpuE2ELNS1_3repE0EEENS1_30default_config_static_selectorELNS0_4arch9wavefront6targetE0EEEvT1_,@function
_ZN7rocprim17ROCPRIM_400000_NS6detail17trampoline_kernelINS0_14default_configENS1_25partition_config_selectorILNS1_17partition_subalgoE5EdNS0_10empty_typeEbEEZZNS1_14partition_implILS5_5ELb0ES3_mN6thrust23THRUST_200600_302600_NS6detail15normal_iteratorINSA_10device_ptrIdEEEEPS6_NSA_18transform_iteratorINSB_9not_fun_tI7is_trueIdEEESF_NSA_11use_defaultESM_EENS0_5tupleIJSF_S6_EEENSO_IJSG_SG_EEES6_PlJS6_EEE10hipError_tPvRmT3_T4_T5_T6_T7_T9_mT8_P12ihipStream_tbDpT10_ENKUlT_T0_E_clISt17integral_constantIbLb0EES1A_IbLb1EEEEDaS16_S17_EUlS16_E_NS1_11comp_targetILNS1_3genE8ELNS1_11target_archE1030ELNS1_3gpuE2ELNS1_3repE0EEENS1_30default_config_static_selectorELNS0_4arch9wavefront6targetE0EEEvT1_: ; @_ZN7rocprim17ROCPRIM_400000_NS6detail17trampoline_kernelINS0_14default_configENS1_25partition_config_selectorILNS1_17partition_subalgoE5EdNS0_10empty_typeEbEEZZNS1_14partition_implILS5_5ELb0ES3_mN6thrust23THRUST_200600_302600_NS6detail15normal_iteratorINSA_10device_ptrIdEEEEPS6_NSA_18transform_iteratorINSB_9not_fun_tI7is_trueIdEEESF_NSA_11use_defaultESM_EENS0_5tupleIJSF_S6_EEENSO_IJSG_SG_EEES6_PlJS6_EEE10hipError_tPvRmT3_T4_T5_T6_T7_T9_mT8_P12ihipStream_tbDpT10_ENKUlT_T0_E_clISt17integral_constantIbLb0EES1A_IbLb1EEEEDaS16_S17_EUlS16_E_NS1_11comp_targetILNS1_3genE8ELNS1_11target_archE1030ELNS1_3gpuE2ELNS1_3repE0EEENS1_30default_config_static_selectorELNS0_4arch9wavefront6targetE0EEEvT1_
; %bb.0:
	.section	.rodata,"a",@progbits
	.p2align	6, 0x0
	.amdhsa_kernel _ZN7rocprim17ROCPRIM_400000_NS6detail17trampoline_kernelINS0_14default_configENS1_25partition_config_selectorILNS1_17partition_subalgoE5EdNS0_10empty_typeEbEEZZNS1_14partition_implILS5_5ELb0ES3_mN6thrust23THRUST_200600_302600_NS6detail15normal_iteratorINSA_10device_ptrIdEEEEPS6_NSA_18transform_iteratorINSB_9not_fun_tI7is_trueIdEEESF_NSA_11use_defaultESM_EENS0_5tupleIJSF_S6_EEENSO_IJSG_SG_EEES6_PlJS6_EEE10hipError_tPvRmT3_T4_T5_T6_T7_T9_mT8_P12ihipStream_tbDpT10_ENKUlT_T0_E_clISt17integral_constantIbLb0EES1A_IbLb1EEEEDaS16_S17_EUlS16_E_NS1_11comp_targetILNS1_3genE8ELNS1_11target_archE1030ELNS1_3gpuE2ELNS1_3repE0EEENS1_30default_config_static_selectorELNS0_4arch9wavefront6targetE0EEEvT1_
		.amdhsa_group_segment_fixed_size 0
		.amdhsa_private_segment_fixed_size 0
		.amdhsa_kernarg_size 136
		.amdhsa_user_sgpr_count 2
		.amdhsa_user_sgpr_dispatch_ptr 0
		.amdhsa_user_sgpr_queue_ptr 0
		.amdhsa_user_sgpr_kernarg_segment_ptr 1
		.amdhsa_user_sgpr_dispatch_id 0
		.amdhsa_user_sgpr_private_segment_size 0
		.amdhsa_wavefront_size32 1
		.amdhsa_uses_dynamic_stack 0
		.amdhsa_enable_private_segment 0
		.amdhsa_system_sgpr_workgroup_id_x 1
		.amdhsa_system_sgpr_workgroup_id_y 0
		.amdhsa_system_sgpr_workgroup_id_z 0
		.amdhsa_system_sgpr_workgroup_info 0
		.amdhsa_system_vgpr_workitem_id 0
		.amdhsa_next_free_vgpr 1
		.amdhsa_next_free_sgpr 1
		.amdhsa_reserve_vcc 0
		.amdhsa_float_round_mode_32 0
		.amdhsa_float_round_mode_16_64 0
		.amdhsa_float_denorm_mode_32 3
		.amdhsa_float_denorm_mode_16_64 3
		.amdhsa_fp16_overflow 0
		.amdhsa_workgroup_processor_mode 1
		.amdhsa_memory_ordered 1
		.amdhsa_forward_progress 1
		.amdhsa_inst_pref_size 0
		.amdhsa_round_robin_scheduling 0
		.amdhsa_exception_fp_ieee_invalid_op 0
		.amdhsa_exception_fp_denorm_src 0
		.amdhsa_exception_fp_ieee_div_zero 0
		.amdhsa_exception_fp_ieee_overflow 0
		.amdhsa_exception_fp_ieee_underflow 0
		.amdhsa_exception_fp_ieee_inexact 0
		.amdhsa_exception_int_div_zero 0
	.end_amdhsa_kernel
	.section	.text._ZN7rocprim17ROCPRIM_400000_NS6detail17trampoline_kernelINS0_14default_configENS1_25partition_config_selectorILNS1_17partition_subalgoE5EdNS0_10empty_typeEbEEZZNS1_14partition_implILS5_5ELb0ES3_mN6thrust23THRUST_200600_302600_NS6detail15normal_iteratorINSA_10device_ptrIdEEEEPS6_NSA_18transform_iteratorINSB_9not_fun_tI7is_trueIdEEESF_NSA_11use_defaultESM_EENS0_5tupleIJSF_S6_EEENSO_IJSG_SG_EEES6_PlJS6_EEE10hipError_tPvRmT3_T4_T5_T6_T7_T9_mT8_P12ihipStream_tbDpT10_ENKUlT_T0_E_clISt17integral_constantIbLb0EES1A_IbLb1EEEEDaS16_S17_EUlS16_E_NS1_11comp_targetILNS1_3genE8ELNS1_11target_archE1030ELNS1_3gpuE2ELNS1_3repE0EEENS1_30default_config_static_selectorELNS0_4arch9wavefront6targetE0EEEvT1_,"axG",@progbits,_ZN7rocprim17ROCPRIM_400000_NS6detail17trampoline_kernelINS0_14default_configENS1_25partition_config_selectorILNS1_17partition_subalgoE5EdNS0_10empty_typeEbEEZZNS1_14partition_implILS5_5ELb0ES3_mN6thrust23THRUST_200600_302600_NS6detail15normal_iteratorINSA_10device_ptrIdEEEEPS6_NSA_18transform_iteratorINSB_9not_fun_tI7is_trueIdEEESF_NSA_11use_defaultESM_EENS0_5tupleIJSF_S6_EEENSO_IJSG_SG_EEES6_PlJS6_EEE10hipError_tPvRmT3_T4_T5_T6_T7_T9_mT8_P12ihipStream_tbDpT10_ENKUlT_T0_E_clISt17integral_constantIbLb0EES1A_IbLb1EEEEDaS16_S17_EUlS16_E_NS1_11comp_targetILNS1_3genE8ELNS1_11target_archE1030ELNS1_3gpuE2ELNS1_3repE0EEENS1_30default_config_static_selectorELNS0_4arch9wavefront6targetE0EEEvT1_,comdat
.Lfunc_end1333:
	.size	_ZN7rocprim17ROCPRIM_400000_NS6detail17trampoline_kernelINS0_14default_configENS1_25partition_config_selectorILNS1_17partition_subalgoE5EdNS0_10empty_typeEbEEZZNS1_14partition_implILS5_5ELb0ES3_mN6thrust23THRUST_200600_302600_NS6detail15normal_iteratorINSA_10device_ptrIdEEEEPS6_NSA_18transform_iteratorINSB_9not_fun_tI7is_trueIdEEESF_NSA_11use_defaultESM_EENS0_5tupleIJSF_S6_EEENSO_IJSG_SG_EEES6_PlJS6_EEE10hipError_tPvRmT3_T4_T5_T6_T7_T9_mT8_P12ihipStream_tbDpT10_ENKUlT_T0_E_clISt17integral_constantIbLb0EES1A_IbLb1EEEEDaS16_S17_EUlS16_E_NS1_11comp_targetILNS1_3genE8ELNS1_11target_archE1030ELNS1_3gpuE2ELNS1_3repE0EEENS1_30default_config_static_selectorELNS0_4arch9wavefront6targetE0EEEvT1_, .Lfunc_end1333-_ZN7rocprim17ROCPRIM_400000_NS6detail17trampoline_kernelINS0_14default_configENS1_25partition_config_selectorILNS1_17partition_subalgoE5EdNS0_10empty_typeEbEEZZNS1_14partition_implILS5_5ELb0ES3_mN6thrust23THRUST_200600_302600_NS6detail15normal_iteratorINSA_10device_ptrIdEEEEPS6_NSA_18transform_iteratorINSB_9not_fun_tI7is_trueIdEEESF_NSA_11use_defaultESM_EENS0_5tupleIJSF_S6_EEENSO_IJSG_SG_EEES6_PlJS6_EEE10hipError_tPvRmT3_T4_T5_T6_T7_T9_mT8_P12ihipStream_tbDpT10_ENKUlT_T0_E_clISt17integral_constantIbLb0EES1A_IbLb1EEEEDaS16_S17_EUlS16_E_NS1_11comp_targetILNS1_3genE8ELNS1_11target_archE1030ELNS1_3gpuE2ELNS1_3repE0EEENS1_30default_config_static_selectorELNS0_4arch9wavefront6targetE0EEEvT1_
                                        ; -- End function
	.set _ZN7rocprim17ROCPRIM_400000_NS6detail17trampoline_kernelINS0_14default_configENS1_25partition_config_selectorILNS1_17partition_subalgoE5EdNS0_10empty_typeEbEEZZNS1_14partition_implILS5_5ELb0ES3_mN6thrust23THRUST_200600_302600_NS6detail15normal_iteratorINSA_10device_ptrIdEEEEPS6_NSA_18transform_iteratorINSB_9not_fun_tI7is_trueIdEEESF_NSA_11use_defaultESM_EENS0_5tupleIJSF_S6_EEENSO_IJSG_SG_EEES6_PlJS6_EEE10hipError_tPvRmT3_T4_T5_T6_T7_T9_mT8_P12ihipStream_tbDpT10_ENKUlT_T0_E_clISt17integral_constantIbLb0EES1A_IbLb1EEEEDaS16_S17_EUlS16_E_NS1_11comp_targetILNS1_3genE8ELNS1_11target_archE1030ELNS1_3gpuE2ELNS1_3repE0EEENS1_30default_config_static_selectorELNS0_4arch9wavefront6targetE0EEEvT1_.num_vgpr, 0
	.set _ZN7rocprim17ROCPRIM_400000_NS6detail17trampoline_kernelINS0_14default_configENS1_25partition_config_selectorILNS1_17partition_subalgoE5EdNS0_10empty_typeEbEEZZNS1_14partition_implILS5_5ELb0ES3_mN6thrust23THRUST_200600_302600_NS6detail15normal_iteratorINSA_10device_ptrIdEEEEPS6_NSA_18transform_iteratorINSB_9not_fun_tI7is_trueIdEEESF_NSA_11use_defaultESM_EENS0_5tupleIJSF_S6_EEENSO_IJSG_SG_EEES6_PlJS6_EEE10hipError_tPvRmT3_T4_T5_T6_T7_T9_mT8_P12ihipStream_tbDpT10_ENKUlT_T0_E_clISt17integral_constantIbLb0EES1A_IbLb1EEEEDaS16_S17_EUlS16_E_NS1_11comp_targetILNS1_3genE8ELNS1_11target_archE1030ELNS1_3gpuE2ELNS1_3repE0EEENS1_30default_config_static_selectorELNS0_4arch9wavefront6targetE0EEEvT1_.num_agpr, 0
	.set _ZN7rocprim17ROCPRIM_400000_NS6detail17trampoline_kernelINS0_14default_configENS1_25partition_config_selectorILNS1_17partition_subalgoE5EdNS0_10empty_typeEbEEZZNS1_14partition_implILS5_5ELb0ES3_mN6thrust23THRUST_200600_302600_NS6detail15normal_iteratorINSA_10device_ptrIdEEEEPS6_NSA_18transform_iteratorINSB_9not_fun_tI7is_trueIdEEESF_NSA_11use_defaultESM_EENS0_5tupleIJSF_S6_EEENSO_IJSG_SG_EEES6_PlJS6_EEE10hipError_tPvRmT3_T4_T5_T6_T7_T9_mT8_P12ihipStream_tbDpT10_ENKUlT_T0_E_clISt17integral_constantIbLb0EES1A_IbLb1EEEEDaS16_S17_EUlS16_E_NS1_11comp_targetILNS1_3genE8ELNS1_11target_archE1030ELNS1_3gpuE2ELNS1_3repE0EEENS1_30default_config_static_selectorELNS0_4arch9wavefront6targetE0EEEvT1_.numbered_sgpr, 0
	.set _ZN7rocprim17ROCPRIM_400000_NS6detail17trampoline_kernelINS0_14default_configENS1_25partition_config_selectorILNS1_17partition_subalgoE5EdNS0_10empty_typeEbEEZZNS1_14partition_implILS5_5ELb0ES3_mN6thrust23THRUST_200600_302600_NS6detail15normal_iteratorINSA_10device_ptrIdEEEEPS6_NSA_18transform_iteratorINSB_9not_fun_tI7is_trueIdEEESF_NSA_11use_defaultESM_EENS0_5tupleIJSF_S6_EEENSO_IJSG_SG_EEES6_PlJS6_EEE10hipError_tPvRmT3_T4_T5_T6_T7_T9_mT8_P12ihipStream_tbDpT10_ENKUlT_T0_E_clISt17integral_constantIbLb0EES1A_IbLb1EEEEDaS16_S17_EUlS16_E_NS1_11comp_targetILNS1_3genE8ELNS1_11target_archE1030ELNS1_3gpuE2ELNS1_3repE0EEENS1_30default_config_static_selectorELNS0_4arch9wavefront6targetE0EEEvT1_.num_named_barrier, 0
	.set _ZN7rocprim17ROCPRIM_400000_NS6detail17trampoline_kernelINS0_14default_configENS1_25partition_config_selectorILNS1_17partition_subalgoE5EdNS0_10empty_typeEbEEZZNS1_14partition_implILS5_5ELb0ES3_mN6thrust23THRUST_200600_302600_NS6detail15normal_iteratorINSA_10device_ptrIdEEEEPS6_NSA_18transform_iteratorINSB_9not_fun_tI7is_trueIdEEESF_NSA_11use_defaultESM_EENS0_5tupleIJSF_S6_EEENSO_IJSG_SG_EEES6_PlJS6_EEE10hipError_tPvRmT3_T4_T5_T6_T7_T9_mT8_P12ihipStream_tbDpT10_ENKUlT_T0_E_clISt17integral_constantIbLb0EES1A_IbLb1EEEEDaS16_S17_EUlS16_E_NS1_11comp_targetILNS1_3genE8ELNS1_11target_archE1030ELNS1_3gpuE2ELNS1_3repE0EEENS1_30default_config_static_selectorELNS0_4arch9wavefront6targetE0EEEvT1_.private_seg_size, 0
	.set _ZN7rocprim17ROCPRIM_400000_NS6detail17trampoline_kernelINS0_14default_configENS1_25partition_config_selectorILNS1_17partition_subalgoE5EdNS0_10empty_typeEbEEZZNS1_14partition_implILS5_5ELb0ES3_mN6thrust23THRUST_200600_302600_NS6detail15normal_iteratorINSA_10device_ptrIdEEEEPS6_NSA_18transform_iteratorINSB_9not_fun_tI7is_trueIdEEESF_NSA_11use_defaultESM_EENS0_5tupleIJSF_S6_EEENSO_IJSG_SG_EEES6_PlJS6_EEE10hipError_tPvRmT3_T4_T5_T6_T7_T9_mT8_P12ihipStream_tbDpT10_ENKUlT_T0_E_clISt17integral_constantIbLb0EES1A_IbLb1EEEEDaS16_S17_EUlS16_E_NS1_11comp_targetILNS1_3genE8ELNS1_11target_archE1030ELNS1_3gpuE2ELNS1_3repE0EEENS1_30default_config_static_selectorELNS0_4arch9wavefront6targetE0EEEvT1_.uses_vcc, 0
	.set _ZN7rocprim17ROCPRIM_400000_NS6detail17trampoline_kernelINS0_14default_configENS1_25partition_config_selectorILNS1_17partition_subalgoE5EdNS0_10empty_typeEbEEZZNS1_14partition_implILS5_5ELb0ES3_mN6thrust23THRUST_200600_302600_NS6detail15normal_iteratorINSA_10device_ptrIdEEEEPS6_NSA_18transform_iteratorINSB_9not_fun_tI7is_trueIdEEESF_NSA_11use_defaultESM_EENS0_5tupleIJSF_S6_EEENSO_IJSG_SG_EEES6_PlJS6_EEE10hipError_tPvRmT3_T4_T5_T6_T7_T9_mT8_P12ihipStream_tbDpT10_ENKUlT_T0_E_clISt17integral_constantIbLb0EES1A_IbLb1EEEEDaS16_S17_EUlS16_E_NS1_11comp_targetILNS1_3genE8ELNS1_11target_archE1030ELNS1_3gpuE2ELNS1_3repE0EEENS1_30default_config_static_selectorELNS0_4arch9wavefront6targetE0EEEvT1_.uses_flat_scratch, 0
	.set _ZN7rocprim17ROCPRIM_400000_NS6detail17trampoline_kernelINS0_14default_configENS1_25partition_config_selectorILNS1_17partition_subalgoE5EdNS0_10empty_typeEbEEZZNS1_14partition_implILS5_5ELb0ES3_mN6thrust23THRUST_200600_302600_NS6detail15normal_iteratorINSA_10device_ptrIdEEEEPS6_NSA_18transform_iteratorINSB_9not_fun_tI7is_trueIdEEESF_NSA_11use_defaultESM_EENS0_5tupleIJSF_S6_EEENSO_IJSG_SG_EEES6_PlJS6_EEE10hipError_tPvRmT3_T4_T5_T6_T7_T9_mT8_P12ihipStream_tbDpT10_ENKUlT_T0_E_clISt17integral_constantIbLb0EES1A_IbLb1EEEEDaS16_S17_EUlS16_E_NS1_11comp_targetILNS1_3genE8ELNS1_11target_archE1030ELNS1_3gpuE2ELNS1_3repE0EEENS1_30default_config_static_selectorELNS0_4arch9wavefront6targetE0EEEvT1_.has_dyn_sized_stack, 0
	.set _ZN7rocprim17ROCPRIM_400000_NS6detail17trampoline_kernelINS0_14default_configENS1_25partition_config_selectorILNS1_17partition_subalgoE5EdNS0_10empty_typeEbEEZZNS1_14partition_implILS5_5ELb0ES3_mN6thrust23THRUST_200600_302600_NS6detail15normal_iteratorINSA_10device_ptrIdEEEEPS6_NSA_18transform_iteratorINSB_9not_fun_tI7is_trueIdEEESF_NSA_11use_defaultESM_EENS0_5tupleIJSF_S6_EEENSO_IJSG_SG_EEES6_PlJS6_EEE10hipError_tPvRmT3_T4_T5_T6_T7_T9_mT8_P12ihipStream_tbDpT10_ENKUlT_T0_E_clISt17integral_constantIbLb0EES1A_IbLb1EEEEDaS16_S17_EUlS16_E_NS1_11comp_targetILNS1_3genE8ELNS1_11target_archE1030ELNS1_3gpuE2ELNS1_3repE0EEENS1_30default_config_static_selectorELNS0_4arch9wavefront6targetE0EEEvT1_.has_recursion, 0
	.set _ZN7rocprim17ROCPRIM_400000_NS6detail17trampoline_kernelINS0_14default_configENS1_25partition_config_selectorILNS1_17partition_subalgoE5EdNS0_10empty_typeEbEEZZNS1_14partition_implILS5_5ELb0ES3_mN6thrust23THRUST_200600_302600_NS6detail15normal_iteratorINSA_10device_ptrIdEEEEPS6_NSA_18transform_iteratorINSB_9not_fun_tI7is_trueIdEEESF_NSA_11use_defaultESM_EENS0_5tupleIJSF_S6_EEENSO_IJSG_SG_EEES6_PlJS6_EEE10hipError_tPvRmT3_T4_T5_T6_T7_T9_mT8_P12ihipStream_tbDpT10_ENKUlT_T0_E_clISt17integral_constantIbLb0EES1A_IbLb1EEEEDaS16_S17_EUlS16_E_NS1_11comp_targetILNS1_3genE8ELNS1_11target_archE1030ELNS1_3gpuE2ELNS1_3repE0EEENS1_30default_config_static_selectorELNS0_4arch9wavefront6targetE0EEEvT1_.has_indirect_call, 0
	.section	.AMDGPU.csdata,"",@progbits
; Kernel info:
; codeLenInByte = 0
; TotalNumSgprs: 0
; NumVgprs: 0
; ScratchSize: 0
; MemoryBound: 0
; FloatMode: 240
; IeeeMode: 1
; LDSByteSize: 0 bytes/workgroup (compile time only)
; SGPRBlocks: 0
; VGPRBlocks: 0
; NumSGPRsForWavesPerEU: 1
; NumVGPRsForWavesPerEU: 1
; Occupancy: 16
; WaveLimiterHint : 0
; COMPUTE_PGM_RSRC2:SCRATCH_EN: 0
; COMPUTE_PGM_RSRC2:USER_SGPR: 2
; COMPUTE_PGM_RSRC2:TRAP_HANDLER: 0
; COMPUTE_PGM_RSRC2:TGID_X_EN: 1
; COMPUTE_PGM_RSRC2:TGID_Y_EN: 0
; COMPUTE_PGM_RSRC2:TGID_Z_EN: 0
; COMPUTE_PGM_RSRC2:TIDIG_COMP_CNT: 0
	.section	.text._ZN6thrust23THRUST_200600_302600_NS11hip_rocprim14__parallel_for6kernelILj256ENS1_11__transform17unary_transform_fINS0_7pointerIbNS1_3tagENS0_11use_defaultES8_EENS0_10device_ptrIfEENS4_14no_stencil_tagENS0_8identityIbEENS4_21always_true_predicateEEElLj1EEEvT0_T1_SI_,"axG",@progbits,_ZN6thrust23THRUST_200600_302600_NS11hip_rocprim14__parallel_for6kernelILj256ENS1_11__transform17unary_transform_fINS0_7pointerIbNS1_3tagENS0_11use_defaultES8_EENS0_10device_ptrIfEENS4_14no_stencil_tagENS0_8identityIbEENS4_21always_true_predicateEEElLj1EEEvT0_T1_SI_,comdat
	.protected	_ZN6thrust23THRUST_200600_302600_NS11hip_rocprim14__parallel_for6kernelILj256ENS1_11__transform17unary_transform_fINS0_7pointerIbNS1_3tagENS0_11use_defaultES8_EENS0_10device_ptrIfEENS4_14no_stencil_tagENS0_8identityIbEENS4_21always_true_predicateEEElLj1EEEvT0_T1_SI_ ; -- Begin function _ZN6thrust23THRUST_200600_302600_NS11hip_rocprim14__parallel_for6kernelILj256ENS1_11__transform17unary_transform_fINS0_7pointerIbNS1_3tagENS0_11use_defaultES8_EENS0_10device_ptrIfEENS4_14no_stencil_tagENS0_8identityIbEENS4_21always_true_predicateEEElLj1EEEvT0_T1_SI_
	.globl	_ZN6thrust23THRUST_200600_302600_NS11hip_rocprim14__parallel_for6kernelILj256ENS1_11__transform17unary_transform_fINS0_7pointerIbNS1_3tagENS0_11use_defaultES8_EENS0_10device_ptrIfEENS4_14no_stencil_tagENS0_8identityIbEENS4_21always_true_predicateEEElLj1EEEvT0_T1_SI_
	.p2align	8
	.type	_ZN6thrust23THRUST_200600_302600_NS11hip_rocprim14__parallel_for6kernelILj256ENS1_11__transform17unary_transform_fINS0_7pointerIbNS1_3tagENS0_11use_defaultES8_EENS0_10device_ptrIfEENS4_14no_stencil_tagENS0_8identityIbEENS4_21always_true_predicateEEElLj1EEEvT0_T1_SI_,@function
_ZN6thrust23THRUST_200600_302600_NS11hip_rocprim14__parallel_for6kernelILj256ENS1_11__transform17unary_transform_fINS0_7pointerIbNS1_3tagENS0_11use_defaultES8_EENS0_10device_ptrIfEENS4_14no_stencil_tagENS0_8identityIbEENS4_21always_true_predicateEEElLj1EEEvT0_T1_SI_: ; @_ZN6thrust23THRUST_200600_302600_NS11hip_rocprim14__parallel_for6kernelILj256ENS1_11__transform17unary_transform_fINS0_7pointerIbNS1_3tagENS0_11use_defaultES8_EENS0_10device_ptrIfEENS4_14no_stencil_tagENS0_8identityIbEENS4_21always_true_predicateEEElLj1EEEvT0_T1_SI_
; %bb.0:
	s_clause 0x1
	s_load_b128 s[8:11], s[0:1], 0x18
	s_load_b128 s[0:3], s[0:1], 0x0
	s_lshl_b32 s4, ttmp9, 8
	s_mov_b32 s5, 0
	s_wait_kmcnt 0x0
	s_add_nc_u64 s[4:5], s[10:11], s[4:5]
	s_delay_alu instid0(SALU_CYCLE_1) | instskip(NEXT) | instid1(SALU_CYCLE_1)
	s_sub_nc_u64 s[6:7], s[8:9], s[4:5]
	v_cmp_gt_i64_e64 s7, 0x100, s[6:7]
	s_and_b32 s7, s7, exec_lo
	s_cselect_b32 s7, s6, 0x100
	s_mov_b32 s6, -1
	s_wait_alu 0xfffe
	s_cmp_eq_u32 s7, 0x100
	s_cbranch_scc0 .LBB1334_3
; %bb.1:
	s_and_not1_b32 vcc_lo, exec_lo, s6
	s_cbranch_vccz .LBB1334_6
.LBB1334_2:
	s_endpgm
.LBB1334_3:
	s_mov_b32 s6, exec_lo
	v_cmpx_gt_u32_e64 s7, v0
	s_cbranch_execz .LBB1334_5
; %bb.4:
	v_add_co_u32 v1, s7, s4, v0
	s_wait_alu 0xf1ff
	v_add_co_ci_u32_e64 v2, null, s5, 0, s7
	s_delay_alu instid0(VALU_DEP_2) | instskip(NEXT) | instid1(VALU_DEP_1)
	v_add_co_u32 v3, vcc_lo, s0, v1
	v_add_co_ci_u32_e64 v4, null, s1, v2, vcc_lo
	v_lshlrev_b64_e32 v[1:2], 2, v[1:2]
	flat_load_u8 v3, v[3:4]
	v_add_co_u32 v1, vcc_lo, s2, v1
	s_wait_alu 0xfffd
	v_add_co_ci_u32_e64 v2, null, s3, v2, vcc_lo
	s_wait_loadcnt_dscnt 0x0
	v_and_b32_e32 v3, 1, v3
	s_delay_alu instid0(VALU_DEP_1)
	v_cmp_eq_u32_e32 vcc_lo, 1, v3
	s_wait_alu 0xfffd
	v_cndmask_b32_e64 v3, 0, 1.0, vcc_lo
	flat_store_b32 v[1:2], v3
.LBB1334_5:
	s_wait_alu 0xfffe
	s_or_b32 exec_lo, exec_lo, s6
	s_cbranch_execnz .LBB1334_2
.LBB1334_6:
	v_add_co_u32 v0, s4, s4, v0
	s_wait_alu 0xf1ff
	v_add_co_ci_u32_e64 v1, null, s5, 0, s4
	s_delay_alu instid0(VALU_DEP_2) | instskip(SKIP_1) | instid1(VALU_DEP_2)
	v_add_co_u32 v2, vcc_lo, s0, v0
	s_wait_alu 0xfffd
	v_add_co_ci_u32_e64 v3, null, s1, v1, vcc_lo
	v_lshlrev_b64_e32 v[0:1], 2, v[0:1]
	flat_load_u8 v2, v[2:3]
	s_wait_loadcnt_dscnt 0x0
	v_and_b32_e32 v2, 1, v2
	s_delay_alu instid0(VALU_DEP_1)
	v_cmp_eq_u32_e32 vcc_lo, 1, v2
	s_wait_alu 0xfffd
	v_cndmask_b32_e64 v2, 0, 1.0, vcc_lo
	v_add_co_u32 v0, vcc_lo, s2, v0
	s_wait_alu 0xfffd
	v_add_co_ci_u32_e64 v1, null, s3, v1, vcc_lo
	flat_store_b32 v[0:1], v2
	s_endpgm
	.section	.rodata,"a",@progbits
	.p2align	6, 0x0
	.amdhsa_kernel _ZN6thrust23THRUST_200600_302600_NS11hip_rocprim14__parallel_for6kernelILj256ENS1_11__transform17unary_transform_fINS0_7pointerIbNS1_3tagENS0_11use_defaultES8_EENS0_10device_ptrIfEENS4_14no_stencil_tagENS0_8identityIbEENS4_21always_true_predicateEEElLj1EEEvT0_T1_SI_
		.amdhsa_group_segment_fixed_size 0
		.amdhsa_private_segment_fixed_size 0
		.amdhsa_kernarg_size 40
		.amdhsa_user_sgpr_count 2
		.amdhsa_user_sgpr_dispatch_ptr 0
		.amdhsa_user_sgpr_queue_ptr 0
		.amdhsa_user_sgpr_kernarg_segment_ptr 1
		.amdhsa_user_sgpr_dispatch_id 0
		.amdhsa_user_sgpr_private_segment_size 0
		.amdhsa_wavefront_size32 1
		.amdhsa_uses_dynamic_stack 0
		.amdhsa_enable_private_segment 0
		.amdhsa_system_sgpr_workgroup_id_x 1
		.amdhsa_system_sgpr_workgroup_id_y 0
		.amdhsa_system_sgpr_workgroup_id_z 0
		.amdhsa_system_sgpr_workgroup_info 0
		.amdhsa_system_vgpr_workitem_id 0
		.amdhsa_next_free_vgpr 5
		.amdhsa_next_free_sgpr 12
		.amdhsa_reserve_vcc 1
		.amdhsa_float_round_mode_32 0
		.amdhsa_float_round_mode_16_64 0
		.amdhsa_float_denorm_mode_32 3
		.amdhsa_float_denorm_mode_16_64 3
		.amdhsa_fp16_overflow 0
		.amdhsa_workgroup_processor_mode 1
		.amdhsa_memory_ordered 1
		.amdhsa_forward_progress 1
		.amdhsa_inst_pref_size 3
		.amdhsa_round_robin_scheduling 0
		.amdhsa_exception_fp_ieee_invalid_op 0
		.amdhsa_exception_fp_denorm_src 0
		.amdhsa_exception_fp_ieee_div_zero 0
		.amdhsa_exception_fp_ieee_overflow 0
		.amdhsa_exception_fp_ieee_underflow 0
		.amdhsa_exception_fp_ieee_inexact 0
		.amdhsa_exception_int_div_zero 0
	.end_amdhsa_kernel
	.section	.text._ZN6thrust23THRUST_200600_302600_NS11hip_rocprim14__parallel_for6kernelILj256ENS1_11__transform17unary_transform_fINS0_7pointerIbNS1_3tagENS0_11use_defaultES8_EENS0_10device_ptrIfEENS4_14no_stencil_tagENS0_8identityIbEENS4_21always_true_predicateEEElLj1EEEvT0_T1_SI_,"axG",@progbits,_ZN6thrust23THRUST_200600_302600_NS11hip_rocprim14__parallel_for6kernelILj256ENS1_11__transform17unary_transform_fINS0_7pointerIbNS1_3tagENS0_11use_defaultES8_EENS0_10device_ptrIfEENS4_14no_stencil_tagENS0_8identityIbEENS4_21always_true_predicateEEElLj1EEEvT0_T1_SI_,comdat
.Lfunc_end1334:
	.size	_ZN6thrust23THRUST_200600_302600_NS11hip_rocprim14__parallel_for6kernelILj256ENS1_11__transform17unary_transform_fINS0_7pointerIbNS1_3tagENS0_11use_defaultES8_EENS0_10device_ptrIfEENS4_14no_stencil_tagENS0_8identityIbEENS4_21always_true_predicateEEElLj1EEEvT0_T1_SI_, .Lfunc_end1334-_ZN6thrust23THRUST_200600_302600_NS11hip_rocprim14__parallel_for6kernelILj256ENS1_11__transform17unary_transform_fINS0_7pointerIbNS1_3tagENS0_11use_defaultES8_EENS0_10device_ptrIfEENS4_14no_stencil_tagENS0_8identityIbEENS4_21always_true_predicateEEElLj1EEEvT0_T1_SI_
                                        ; -- End function
	.set _ZN6thrust23THRUST_200600_302600_NS11hip_rocprim14__parallel_for6kernelILj256ENS1_11__transform17unary_transform_fINS0_7pointerIbNS1_3tagENS0_11use_defaultES8_EENS0_10device_ptrIfEENS4_14no_stencil_tagENS0_8identityIbEENS4_21always_true_predicateEEElLj1EEEvT0_T1_SI_.num_vgpr, 5
	.set _ZN6thrust23THRUST_200600_302600_NS11hip_rocprim14__parallel_for6kernelILj256ENS1_11__transform17unary_transform_fINS0_7pointerIbNS1_3tagENS0_11use_defaultES8_EENS0_10device_ptrIfEENS4_14no_stencil_tagENS0_8identityIbEENS4_21always_true_predicateEEElLj1EEEvT0_T1_SI_.num_agpr, 0
	.set _ZN6thrust23THRUST_200600_302600_NS11hip_rocprim14__parallel_for6kernelILj256ENS1_11__transform17unary_transform_fINS0_7pointerIbNS1_3tagENS0_11use_defaultES8_EENS0_10device_ptrIfEENS4_14no_stencil_tagENS0_8identityIbEENS4_21always_true_predicateEEElLj1EEEvT0_T1_SI_.numbered_sgpr, 12
	.set _ZN6thrust23THRUST_200600_302600_NS11hip_rocprim14__parallel_for6kernelILj256ENS1_11__transform17unary_transform_fINS0_7pointerIbNS1_3tagENS0_11use_defaultES8_EENS0_10device_ptrIfEENS4_14no_stencil_tagENS0_8identityIbEENS4_21always_true_predicateEEElLj1EEEvT0_T1_SI_.num_named_barrier, 0
	.set _ZN6thrust23THRUST_200600_302600_NS11hip_rocprim14__parallel_for6kernelILj256ENS1_11__transform17unary_transform_fINS0_7pointerIbNS1_3tagENS0_11use_defaultES8_EENS0_10device_ptrIfEENS4_14no_stencil_tagENS0_8identityIbEENS4_21always_true_predicateEEElLj1EEEvT0_T1_SI_.private_seg_size, 0
	.set _ZN6thrust23THRUST_200600_302600_NS11hip_rocprim14__parallel_for6kernelILj256ENS1_11__transform17unary_transform_fINS0_7pointerIbNS1_3tagENS0_11use_defaultES8_EENS0_10device_ptrIfEENS4_14no_stencil_tagENS0_8identityIbEENS4_21always_true_predicateEEElLj1EEEvT0_T1_SI_.uses_vcc, 1
	.set _ZN6thrust23THRUST_200600_302600_NS11hip_rocprim14__parallel_for6kernelILj256ENS1_11__transform17unary_transform_fINS0_7pointerIbNS1_3tagENS0_11use_defaultES8_EENS0_10device_ptrIfEENS4_14no_stencil_tagENS0_8identityIbEENS4_21always_true_predicateEEElLj1EEEvT0_T1_SI_.uses_flat_scratch, 0
	.set _ZN6thrust23THRUST_200600_302600_NS11hip_rocprim14__parallel_for6kernelILj256ENS1_11__transform17unary_transform_fINS0_7pointerIbNS1_3tagENS0_11use_defaultES8_EENS0_10device_ptrIfEENS4_14no_stencil_tagENS0_8identityIbEENS4_21always_true_predicateEEElLj1EEEvT0_T1_SI_.has_dyn_sized_stack, 0
	.set _ZN6thrust23THRUST_200600_302600_NS11hip_rocprim14__parallel_for6kernelILj256ENS1_11__transform17unary_transform_fINS0_7pointerIbNS1_3tagENS0_11use_defaultES8_EENS0_10device_ptrIfEENS4_14no_stencil_tagENS0_8identityIbEENS4_21always_true_predicateEEElLj1EEEvT0_T1_SI_.has_recursion, 0
	.set _ZN6thrust23THRUST_200600_302600_NS11hip_rocprim14__parallel_for6kernelILj256ENS1_11__transform17unary_transform_fINS0_7pointerIbNS1_3tagENS0_11use_defaultES8_EENS0_10device_ptrIfEENS4_14no_stencil_tagENS0_8identityIbEENS4_21always_true_predicateEEElLj1EEEvT0_T1_SI_.has_indirect_call, 0
	.section	.AMDGPU.csdata,"",@progbits
; Kernel info:
; codeLenInByte = 368
; TotalNumSgprs: 14
; NumVgprs: 5
; ScratchSize: 0
; MemoryBound: 0
; FloatMode: 240
; IeeeMode: 1
; LDSByteSize: 0 bytes/workgroup (compile time only)
; SGPRBlocks: 0
; VGPRBlocks: 0
; NumSGPRsForWavesPerEU: 14
; NumVGPRsForWavesPerEU: 5
; Occupancy: 16
; WaveLimiterHint : 0
; COMPUTE_PGM_RSRC2:SCRATCH_EN: 0
; COMPUTE_PGM_RSRC2:USER_SGPR: 2
; COMPUTE_PGM_RSRC2:TRAP_HANDLER: 0
; COMPUTE_PGM_RSRC2:TGID_X_EN: 1
; COMPUTE_PGM_RSRC2:TGID_Y_EN: 0
; COMPUTE_PGM_RSRC2:TGID_Z_EN: 0
; COMPUTE_PGM_RSRC2:TIDIG_COMP_CNT: 0
	.section	.text._ZN7rocprim17ROCPRIM_400000_NS6detail17trampoline_kernelINS0_14default_configENS1_25partition_config_selectorILNS1_17partition_subalgoE5EfNS0_10empty_typeEbEEZZNS1_14partition_implILS5_5ELb0ES3_mN6thrust23THRUST_200600_302600_NS6detail15normal_iteratorINSA_10device_ptrIfEEEEPS6_NSA_18transform_iteratorINSB_9not_fun_tI7is_trueIfEEESF_NSA_11use_defaultESM_EENS0_5tupleIJSF_S6_EEENSO_IJSG_SG_EEES6_PlJS6_EEE10hipError_tPvRmT3_T4_T5_T6_T7_T9_mT8_P12ihipStream_tbDpT10_ENKUlT_T0_E_clISt17integral_constantIbLb0EES1B_EEDaS16_S17_EUlS16_E_NS1_11comp_targetILNS1_3genE0ELNS1_11target_archE4294967295ELNS1_3gpuE0ELNS1_3repE0EEENS1_30default_config_static_selectorELNS0_4arch9wavefront6targetE0EEEvT1_,"axG",@progbits,_ZN7rocprim17ROCPRIM_400000_NS6detail17trampoline_kernelINS0_14default_configENS1_25partition_config_selectorILNS1_17partition_subalgoE5EfNS0_10empty_typeEbEEZZNS1_14partition_implILS5_5ELb0ES3_mN6thrust23THRUST_200600_302600_NS6detail15normal_iteratorINSA_10device_ptrIfEEEEPS6_NSA_18transform_iteratorINSB_9not_fun_tI7is_trueIfEEESF_NSA_11use_defaultESM_EENS0_5tupleIJSF_S6_EEENSO_IJSG_SG_EEES6_PlJS6_EEE10hipError_tPvRmT3_T4_T5_T6_T7_T9_mT8_P12ihipStream_tbDpT10_ENKUlT_T0_E_clISt17integral_constantIbLb0EES1B_EEDaS16_S17_EUlS16_E_NS1_11comp_targetILNS1_3genE0ELNS1_11target_archE4294967295ELNS1_3gpuE0ELNS1_3repE0EEENS1_30default_config_static_selectorELNS0_4arch9wavefront6targetE0EEEvT1_,comdat
	.protected	_ZN7rocprim17ROCPRIM_400000_NS6detail17trampoline_kernelINS0_14default_configENS1_25partition_config_selectorILNS1_17partition_subalgoE5EfNS0_10empty_typeEbEEZZNS1_14partition_implILS5_5ELb0ES3_mN6thrust23THRUST_200600_302600_NS6detail15normal_iteratorINSA_10device_ptrIfEEEEPS6_NSA_18transform_iteratorINSB_9not_fun_tI7is_trueIfEEESF_NSA_11use_defaultESM_EENS0_5tupleIJSF_S6_EEENSO_IJSG_SG_EEES6_PlJS6_EEE10hipError_tPvRmT3_T4_T5_T6_T7_T9_mT8_P12ihipStream_tbDpT10_ENKUlT_T0_E_clISt17integral_constantIbLb0EES1B_EEDaS16_S17_EUlS16_E_NS1_11comp_targetILNS1_3genE0ELNS1_11target_archE4294967295ELNS1_3gpuE0ELNS1_3repE0EEENS1_30default_config_static_selectorELNS0_4arch9wavefront6targetE0EEEvT1_ ; -- Begin function _ZN7rocprim17ROCPRIM_400000_NS6detail17trampoline_kernelINS0_14default_configENS1_25partition_config_selectorILNS1_17partition_subalgoE5EfNS0_10empty_typeEbEEZZNS1_14partition_implILS5_5ELb0ES3_mN6thrust23THRUST_200600_302600_NS6detail15normal_iteratorINSA_10device_ptrIfEEEEPS6_NSA_18transform_iteratorINSB_9not_fun_tI7is_trueIfEEESF_NSA_11use_defaultESM_EENS0_5tupleIJSF_S6_EEENSO_IJSG_SG_EEES6_PlJS6_EEE10hipError_tPvRmT3_T4_T5_T6_T7_T9_mT8_P12ihipStream_tbDpT10_ENKUlT_T0_E_clISt17integral_constantIbLb0EES1B_EEDaS16_S17_EUlS16_E_NS1_11comp_targetILNS1_3genE0ELNS1_11target_archE4294967295ELNS1_3gpuE0ELNS1_3repE0EEENS1_30default_config_static_selectorELNS0_4arch9wavefront6targetE0EEEvT1_
	.globl	_ZN7rocprim17ROCPRIM_400000_NS6detail17trampoline_kernelINS0_14default_configENS1_25partition_config_selectorILNS1_17partition_subalgoE5EfNS0_10empty_typeEbEEZZNS1_14partition_implILS5_5ELb0ES3_mN6thrust23THRUST_200600_302600_NS6detail15normal_iteratorINSA_10device_ptrIfEEEEPS6_NSA_18transform_iteratorINSB_9not_fun_tI7is_trueIfEEESF_NSA_11use_defaultESM_EENS0_5tupleIJSF_S6_EEENSO_IJSG_SG_EEES6_PlJS6_EEE10hipError_tPvRmT3_T4_T5_T6_T7_T9_mT8_P12ihipStream_tbDpT10_ENKUlT_T0_E_clISt17integral_constantIbLb0EES1B_EEDaS16_S17_EUlS16_E_NS1_11comp_targetILNS1_3genE0ELNS1_11target_archE4294967295ELNS1_3gpuE0ELNS1_3repE0EEENS1_30default_config_static_selectorELNS0_4arch9wavefront6targetE0EEEvT1_
	.p2align	8
	.type	_ZN7rocprim17ROCPRIM_400000_NS6detail17trampoline_kernelINS0_14default_configENS1_25partition_config_selectorILNS1_17partition_subalgoE5EfNS0_10empty_typeEbEEZZNS1_14partition_implILS5_5ELb0ES3_mN6thrust23THRUST_200600_302600_NS6detail15normal_iteratorINSA_10device_ptrIfEEEEPS6_NSA_18transform_iteratorINSB_9not_fun_tI7is_trueIfEEESF_NSA_11use_defaultESM_EENS0_5tupleIJSF_S6_EEENSO_IJSG_SG_EEES6_PlJS6_EEE10hipError_tPvRmT3_T4_T5_T6_T7_T9_mT8_P12ihipStream_tbDpT10_ENKUlT_T0_E_clISt17integral_constantIbLb0EES1B_EEDaS16_S17_EUlS16_E_NS1_11comp_targetILNS1_3genE0ELNS1_11target_archE4294967295ELNS1_3gpuE0ELNS1_3repE0EEENS1_30default_config_static_selectorELNS0_4arch9wavefront6targetE0EEEvT1_,@function
_ZN7rocprim17ROCPRIM_400000_NS6detail17trampoline_kernelINS0_14default_configENS1_25partition_config_selectorILNS1_17partition_subalgoE5EfNS0_10empty_typeEbEEZZNS1_14partition_implILS5_5ELb0ES3_mN6thrust23THRUST_200600_302600_NS6detail15normal_iteratorINSA_10device_ptrIfEEEEPS6_NSA_18transform_iteratorINSB_9not_fun_tI7is_trueIfEEESF_NSA_11use_defaultESM_EENS0_5tupleIJSF_S6_EEENSO_IJSG_SG_EEES6_PlJS6_EEE10hipError_tPvRmT3_T4_T5_T6_T7_T9_mT8_P12ihipStream_tbDpT10_ENKUlT_T0_E_clISt17integral_constantIbLb0EES1B_EEDaS16_S17_EUlS16_E_NS1_11comp_targetILNS1_3genE0ELNS1_11target_archE4294967295ELNS1_3gpuE0ELNS1_3repE0EEENS1_30default_config_static_selectorELNS0_4arch9wavefront6targetE0EEEvT1_: ; @_ZN7rocprim17ROCPRIM_400000_NS6detail17trampoline_kernelINS0_14default_configENS1_25partition_config_selectorILNS1_17partition_subalgoE5EfNS0_10empty_typeEbEEZZNS1_14partition_implILS5_5ELb0ES3_mN6thrust23THRUST_200600_302600_NS6detail15normal_iteratorINSA_10device_ptrIfEEEEPS6_NSA_18transform_iteratorINSB_9not_fun_tI7is_trueIfEEESF_NSA_11use_defaultESM_EENS0_5tupleIJSF_S6_EEENSO_IJSG_SG_EEES6_PlJS6_EEE10hipError_tPvRmT3_T4_T5_T6_T7_T9_mT8_P12ihipStream_tbDpT10_ENKUlT_T0_E_clISt17integral_constantIbLb0EES1B_EEDaS16_S17_EUlS16_E_NS1_11comp_targetILNS1_3genE0ELNS1_11target_archE4294967295ELNS1_3gpuE0ELNS1_3repE0EEENS1_30default_config_static_selectorELNS0_4arch9wavefront6targetE0EEEvT1_
; %bb.0:
	.section	.rodata,"a",@progbits
	.p2align	6, 0x0
	.amdhsa_kernel _ZN7rocprim17ROCPRIM_400000_NS6detail17trampoline_kernelINS0_14default_configENS1_25partition_config_selectorILNS1_17partition_subalgoE5EfNS0_10empty_typeEbEEZZNS1_14partition_implILS5_5ELb0ES3_mN6thrust23THRUST_200600_302600_NS6detail15normal_iteratorINSA_10device_ptrIfEEEEPS6_NSA_18transform_iteratorINSB_9not_fun_tI7is_trueIfEEESF_NSA_11use_defaultESM_EENS0_5tupleIJSF_S6_EEENSO_IJSG_SG_EEES6_PlJS6_EEE10hipError_tPvRmT3_T4_T5_T6_T7_T9_mT8_P12ihipStream_tbDpT10_ENKUlT_T0_E_clISt17integral_constantIbLb0EES1B_EEDaS16_S17_EUlS16_E_NS1_11comp_targetILNS1_3genE0ELNS1_11target_archE4294967295ELNS1_3gpuE0ELNS1_3repE0EEENS1_30default_config_static_selectorELNS0_4arch9wavefront6targetE0EEEvT1_
		.amdhsa_group_segment_fixed_size 0
		.amdhsa_private_segment_fixed_size 0
		.amdhsa_kernarg_size 120
		.amdhsa_user_sgpr_count 2
		.amdhsa_user_sgpr_dispatch_ptr 0
		.amdhsa_user_sgpr_queue_ptr 0
		.amdhsa_user_sgpr_kernarg_segment_ptr 1
		.amdhsa_user_sgpr_dispatch_id 0
		.amdhsa_user_sgpr_private_segment_size 0
		.amdhsa_wavefront_size32 1
		.amdhsa_uses_dynamic_stack 0
		.amdhsa_enable_private_segment 0
		.amdhsa_system_sgpr_workgroup_id_x 1
		.amdhsa_system_sgpr_workgroup_id_y 0
		.amdhsa_system_sgpr_workgroup_id_z 0
		.amdhsa_system_sgpr_workgroup_info 0
		.amdhsa_system_vgpr_workitem_id 0
		.amdhsa_next_free_vgpr 1
		.amdhsa_next_free_sgpr 1
		.amdhsa_reserve_vcc 0
		.amdhsa_float_round_mode_32 0
		.amdhsa_float_round_mode_16_64 0
		.amdhsa_float_denorm_mode_32 3
		.amdhsa_float_denorm_mode_16_64 3
		.amdhsa_fp16_overflow 0
		.amdhsa_workgroup_processor_mode 1
		.amdhsa_memory_ordered 1
		.amdhsa_forward_progress 1
		.amdhsa_inst_pref_size 0
		.amdhsa_round_robin_scheduling 0
		.amdhsa_exception_fp_ieee_invalid_op 0
		.amdhsa_exception_fp_denorm_src 0
		.amdhsa_exception_fp_ieee_div_zero 0
		.amdhsa_exception_fp_ieee_overflow 0
		.amdhsa_exception_fp_ieee_underflow 0
		.amdhsa_exception_fp_ieee_inexact 0
		.amdhsa_exception_int_div_zero 0
	.end_amdhsa_kernel
	.section	.text._ZN7rocprim17ROCPRIM_400000_NS6detail17trampoline_kernelINS0_14default_configENS1_25partition_config_selectorILNS1_17partition_subalgoE5EfNS0_10empty_typeEbEEZZNS1_14partition_implILS5_5ELb0ES3_mN6thrust23THRUST_200600_302600_NS6detail15normal_iteratorINSA_10device_ptrIfEEEEPS6_NSA_18transform_iteratorINSB_9not_fun_tI7is_trueIfEEESF_NSA_11use_defaultESM_EENS0_5tupleIJSF_S6_EEENSO_IJSG_SG_EEES6_PlJS6_EEE10hipError_tPvRmT3_T4_T5_T6_T7_T9_mT8_P12ihipStream_tbDpT10_ENKUlT_T0_E_clISt17integral_constantIbLb0EES1B_EEDaS16_S17_EUlS16_E_NS1_11comp_targetILNS1_3genE0ELNS1_11target_archE4294967295ELNS1_3gpuE0ELNS1_3repE0EEENS1_30default_config_static_selectorELNS0_4arch9wavefront6targetE0EEEvT1_,"axG",@progbits,_ZN7rocprim17ROCPRIM_400000_NS6detail17trampoline_kernelINS0_14default_configENS1_25partition_config_selectorILNS1_17partition_subalgoE5EfNS0_10empty_typeEbEEZZNS1_14partition_implILS5_5ELb0ES3_mN6thrust23THRUST_200600_302600_NS6detail15normal_iteratorINSA_10device_ptrIfEEEEPS6_NSA_18transform_iteratorINSB_9not_fun_tI7is_trueIfEEESF_NSA_11use_defaultESM_EENS0_5tupleIJSF_S6_EEENSO_IJSG_SG_EEES6_PlJS6_EEE10hipError_tPvRmT3_T4_T5_T6_T7_T9_mT8_P12ihipStream_tbDpT10_ENKUlT_T0_E_clISt17integral_constantIbLb0EES1B_EEDaS16_S17_EUlS16_E_NS1_11comp_targetILNS1_3genE0ELNS1_11target_archE4294967295ELNS1_3gpuE0ELNS1_3repE0EEENS1_30default_config_static_selectorELNS0_4arch9wavefront6targetE0EEEvT1_,comdat
.Lfunc_end1335:
	.size	_ZN7rocprim17ROCPRIM_400000_NS6detail17trampoline_kernelINS0_14default_configENS1_25partition_config_selectorILNS1_17partition_subalgoE5EfNS0_10empty_typeEbEEZZNS1_14partition_implILS5_5ELb0ES3_mN6thrust23THRUST_200600_302600_NS6detail15normal_iteratorINSA_10device_ptrIfEEEEPS6_NSA_18transform_iteratorINSB_9not_fun_tI7is_trueIfEEESF_NSA_11use_defaultESM_EENS0_5tupleIJSF_S6_EEENSO_IJSG_SG_EEES6_PlJS6_EEE10hipError_tPvRmT3_T4_T5_T6_T7_T9_mT8_P12ihipStream_tbDpT10_ENKUlT_T0_E_clISt17integral_constantIbLb0EES1B_EEDaS16_S17_EUlS16_E_NS1_11comp_targetILNS1_3genE0ELNS1_11target_archE4294967295ELNS1_3gpuE0ELNS1_3repE0EEENS1_30default_config_static_selectorELNS0_4arch9wavefront6targetE0EEEvT1_, .Lfunc_end1335-_ZN7rocprim17ROCPRIM_400000_NS6detail17trampoline_kernelINS0_14default_configENS1_25partition_config_selectorILNS1_17partition_subalgoE5EfNS0_10empty_typeEbEEZZNS1_14partition_implILS5_5ELb0ES3_mN6thrust23THRUST_200600_302600_NS6detail15normal_iteratorINSA_10device_ptrIfEEEEPS6_NSA_18transform_iteratorINSB_9not_fun_tI7is_trueIfEEESF_NSA_11use_defaultESM_EENS0_5tupleIJSF_S6_EEENSO_IJSG_SG_EEES6_PlJS6_EEE10hipError_tPvRmT3_T4_T5_T6_T7_T9_mT8_P12ihipStream_tbDpT10_ENKUlT_T0_E_clISt17integral_constantIbLb0EES1B_EEDaS16_S17_EUlS16_E_NS1_11comp_targetILNS1_3genE0ELNS1_11target_archE4294967295ELNS1_3gpuE0ELNS1_3repE0EEENS1_30default_config_static_selectorELNS0_4arch9wavefront6targetE0EEEvT1_
                                        ; -- End function
	.set _ZN7rocprim17ROCPRIM_400000_NS6detail17trampoline_kernelINS0_14default_configENS1_25partition_config_selectorILNS1_17partition_subalgoE5EfNS0_10empty_typeEbEEZZNS1_14partition_implILS5_5ELb0ES3_mN6thrust23THRUST_200600_302600_NS6detail15normal_iteratorINSA_10device_ptrIfEEEEPS6_NSA_18transform_iteratorINSB_9not_fun_tI7is_trueIfEEESF_NSA_11use_defaultESM_EENS0_5tupleIJSF_S6_EEENSO_IJSG_SG_EEES6_PlJS6_EEE10hipError_tPvRmT3_T4_T5_T6_T7_T9_mT8_P12ihipStream_tbDpT10_ENKUlT_T0_E_clISt17integral_constantIbLb0EES1B_EEDaS16_S17_EUlS16_E_NS1_11comp_targetILNS1_3genE0ELNS1_11target_archE4294967295ELNS1_3gpuE0ELNS1_3repE0EEENS1_30default_config_static_selectorELNS0_4arch9wavefront6targetE0EEEvT1_.num_vgpr, 0
	.set _ZN7rocprim17ROCPRIM_400000_NS6detail17trampoline_kernelINS0_14default_configENS1_25partition_config_selectorILNS1_17partition_subalgoE5EfNS0_10empty_typeEbEEZZNS1_14partition_implILS5_5ELb0ES3_mN6thrust23THRUST_200600_302600_NS6detail15normal_iteratorINSA_10device_ptrIfEEEEPS6_NSA_18transform_iteratorINSB_9not_fun_tI7is_trueIfEEESF_NSA_11use_defaultESM_EENS0_5tupleIJSF_S6_EEENSO_IJSG_SG_EEES6_PlJS6_EEE10hipError_tPvRmT3_T4_T5_T6_T7_T9_mT8_P12ihipStream_tbDpT10_ENKUlT_T0_E_clISt17integral_constantIbLb0EES1B_EEDaS16_S17_EUlS16_E_NS1_11comp_targetILNS1_3genE0ELNS1_11target_archE4294967295ELNS1_3gpuE0ELNS1_3repE0EEENS1_30default_config_static_selectorELNS0_4arch9wavefront6targetE0EEEvT1_.num_agpr, 0
	.set _ZN7rocprim17ROCPRIM_400000_NS6detail17trampoline_kernelINS0_14default_configENS1_25partition_config_selectorILNS1_17partition_subalgoE5EfNS0_10empty_typeEbEEZZNS1_14partition_implILS5_5ELb0ES3_mN6thrust23THRUST_200600_302600_NS6detail15normal_iteratorINSA_10device_ptrIfEEEEPS6_NSA_18transform_iteratorINSB_9not_fun_tI7is_trueIfEEESF_NSA_11use_defaultESM_EENS0_5tupleIJSF_S6_EEENSO_IJSG_SG_EEES6_PlJS6_EEE10hipError_tPvRmT3_T4_T5_T6_T7_T9_mT8_P12ihipStream_tbDpT10_ENKUlT_T0_E_clISt17integral_constantIbLb0EES1B_EEDaS16_S17_EUlS16_E_NS1_11comp_targetILNS1_3genE0ELNS1_11target_archE4294967295ELNS1_3gpuE0ELNS1_3repE0EEENS1_30default_config_static_selectorELNS0_4arch9wavefront6targetE0EEEvT1_.numbered_sgpr, 0
	.set _ZN7rocprim17ROCPRIM_400000_NS6detail17trampoline_kernelINS0_14default_configENS1_25partition_config_selectorILNS1_17partition_subalgoE5EfNS0_10empty_typeEbEEZZNS1_14partition_implILS5_5ELb0ES3_mN6thrust23THRUST_200600_302600_NS6detail15normal_iteratorINSA_10device_ptrIfEEEEPS6_NSA_18transform_iteratorINSB_9not_fun_tI7is_trueIfEEESF_NSA_11use_defaultESM_EENS0_5tupleIJSF_S6_EEENSO_IJSG_SG_EEES6_PlJS6_EEE10hipError_tPvRmT3_T4_T5_T6_T7_T9_mT8_P12ihipStream_tbDpT10_ENKUlT_T0_E_clISt17integral_constantIbLb0EES1B_EEDaS16_S17_EUlS16_E_NS1_11comp_targetILNS1_3genE0ELNS1_11target_archE4294967295ELNS1_3gpuE0ELNS1_3repE0EEENS1_30default_config_static_selectorELNS0_4arch9wavefront6targetE0EEEvT1_.num_named_barrier, 0
	.set _ZN7rocprim17ROCPRIM_400000_NS6detail17trampoline_kernelINS0_14default_configENS1_25partition_config_selectorILNS1_17partition_subalgoE5EfNS0_10empty_typeEbEEZZNS1_14partition_implILS5_5ELb0ES3_mN6thrust23THRUST_200600_302600_NS6detail15normal_iteratorINSA_10device_ptrIfEEEEPS6_NSA_18transform_iteratorINSB_9not_fun_tI7is_trueIfEEESF_NSA_11use_defaultESM_EENS0_5tupleIJSF_S6_EEENSO_IJSG_SG_EEES6_PlJS6_EEE10hipError_tPvRmT3_T4_T5_T6_T7_T9_mT8_P12ihipStream_tbDpT10_ENKUlT_T0_E_clISt17integral_constantIbLb0EES1B_EEDaS16_S17_EUlS16_E_NS1_11comp_targetILNS1_3genE0ELNS1_11target_archE4294967295ELNS1_3gpuE0ELNS1_3repE0EEENS1_30default_config_static_selectorELNS0_4arch9wavefront6targetE0EEEvT1_.private_seg_size, 0
	.set _ZN7rocprim17ROCPRIM_400000_NS6detail17trampoline_kernelINS0_14default_configENS1_25partition_config_selectorILNS1_17partition_subalgoE5EfNS0_10empty_typeEbEEZZNS1_14partition_implILS5_5ELb0ES3_mN6thrust23THRUST_200600_302600_NS6detail15normal_iteratorINSA_10device_ptrIfEEEEPS6_NSA_18transform_iteratorINSB_9not_fun_tI7is_trueIfEEESF_NSA_11use_defaultESM_EENS0_5tupleIJSF_S6_EEENSO_IJSG_SG_EEES6_PlJS6_EEE10hipError_tPvRmT3_T4_T5_T6_T7_T9_mT8_P12ihipStream_tbDpT10_ENKUlT_T0_E_clISt17integral_constantIbLb0EES1B_EEDaS16_S17_EUlS16_E_NS1_11comp_targetILNS1_3genE0ELNS1_11target_archE4294967295ELNS1_3gpuE0ELNS1_3repE0EEENS1_30default_config_static_selectorELNS0_4arch9wavefront6targetE0EEEvT1_.uses_vcc, 0
	.set _ZN7rocprim17ROCPRIM_400000_NS6detail17trampoline_kernelINS0_14default_configENS1_25partition_config_selectorILNS1_17partition_subalgoE5EfNS0_10empty_typeEbEEZZNS1_14partition_implILS5_5ELb0ES3_mN6thrust23THRUST_200600_302600_NS6detail15normal_iteratorINSA_10device_ptrIfEEEEPS6_NSA_18transform_iteratorINSB_9not_fun_tI7is_trueIfEEESF_NSA_11use_defaultESM_EENS0_5tupleIJSF_S6_EEENSO_IJSG_SG_EEES6_PlJS6_EEE10hipError_tPvRmT3_T4_T5_T6_T7_T9_mT8_P12ihipStream_tbDpT10_ENKUlT_T0_E_clISt17integral_constantIbLb0EES1B_EEDaS16_S17_EUlS16_E_NS1_11comp_targetILNS1_3genE0ELNS1_11target_archE4294967295ELNS1_3gpuE0ELNS1_3repE0EEENS1_30default_config_static_selectorELNS0_4arch9wavefront6targetE0EEEvT1_.uses_flat_scratch, 0
	.set _ZN7rocprim17ROCPRIM_400000_NS6detail17trampoline_kernelINS0_14default_configENS1_25partition_config_selectorILNS1_17partition_subalgoE5EfNS0_10empty_typeEbEEZZNS1_14partition_implILS5_5ELb0ES3_mN6thrust23THRUST_200600_302600_NS6detail15normal_iteratorINSA_10device_ptrIfEEEEPS6_NSA_18transform_iteratorINSB_9not_fun_tI7is_trueIfEEESF_NSA_11use_defaultESM_EENS0_5tupleIJSF_S6_EEENSO_IJSG_SG_EEES6_PlJS6_EEE10hipError_tPvRmT3_T4_T5_T6_T7_T9_mT8_P12ihipStream_tbDpT10_ENKUlT_T0_E_clISt17integral_constantIbLb0EES1B_EEDaS16_S17_EUlS16_E_NS1_11comp_targetILNS1_3genE0ELNS1_11target_archE4294967295ELNS1_3gpuE0ELNS1_3repE0EEENS1_30default_config_static_selectorELNS0_4arch9wavefront6targetE0EEEvT1_.has_dyn_sized_stack, 0
	.set _ZN7rocprim17ROCPRIM_400000_NS6detail17trampoline_kernelINS0_14default_configENS1_25partition_config_selectorILNS1_17partition_subalgoE5EfNS0_10empty_typeEbEEZZNS1_14partition_implILS5_5ELb0ES3_mN6thrust23THRUST_200600_302600_NS6detail15normal_iteratorINSA_10device_ptrIfEEEEPS6_NSA_18transform_iteratorINSB_9not_fun_tI7is_trueIfEEESF_NSA_11use_defaultESM_EENS0_5tupleIJSF_S6_EEENSO_IJSG_SG_EEES6_PlJS6_EEE10hipError_tPvRmT3_T4_T5_T6_T7_T9_mT8_P12ihipStream_tbDpT10_ENKUlT_T0_E_clISt17integral_constantIbLb0EES1B_EEDaS16_S17_EUlS16_E_NS1_11comp_targetILNS1_3genE0ELNS1_11target_archE4294967295ELNS1_3gpuE0ELNS1_3repE0EEENS1_30default_config_static_selectorELNS0_4arch9wavefront6targetE0EEEvT1_.has_recursion, 0
	.set _ZN7rocprim17ROCPRIM_400000_NS6detail17trampoline_kernelINS0_14default_configENS1_25partition_config_selectorILNS1_17partition_subalgoE5EfNS0_10empty_typeEbEEZZNS1_14partition_implILS5_5ELb0ES3_mN6thrust23THRUST_200600_302600_NS6detail15normal_iteratorINSA_10device_ptrIfEEEEPS6_NSA_18transform_iteratorINSB_9not_fun_tI7is_trueIfEEESF_NSA_11use_defaultESM_EENS0_5tupleIJSF_S6_EEENSO_IJSG_SG_EEES6_PlJS6_EEE10hipError_tPvRmT3_T4_T5_T6_T7_T9_mT8_P12ihipStream_tbDpT10_ENKUlT_T0_E_clISt17integral_constantIbLb0EES1B_EEDaS16_S17_EUlS16_E_NS1_11comp_targetILNS1_3genE0ELNS1_11target_archE4294967295ELNS1_3gpuE0ELNS1_3repE0EEENS1_30default_config_static_selectorELNS0_4arch9wavefront6targetE0EEEvT1_.has_indirect_call, 0
	.section	.AMDGPU.csdata,"",@progbits
; Kernel info:
; codeLenInByte = 0
; TotalNumSgprs: 0
; NumVgprs: 0
; ScratchSize: 0
; MemoryBound: 0
; FloatMode: 240
; IeeeMode: 1
; LDSByteSize: 0 bytes/workgroup (compile time only)
; SGPRBlocks: 0
; VGPRBlocks: 0
; NumSGPRsForWavesPerEU: 1
; NumVGPRsForWavesPerEU: 1
; Occupancy: 16
; WaveLimiterHint : 0
; COMPUTE_PGM_RSRC2:SCRATCH_EN: 0
; COMPUTE_PGM_RSRC2:USER_SGPR: 2
; COMPUTE_PGM_RSRC2:TRAP_HANDLER: 0
; COMPUTE_PGM_RSRC2:TGID_X_EN: 1
; COMPUTE_PGM_RSRC2:TGID_Y_EN: 0
; COMPUTE_PGM_RSRC2:TGID_Z_EN: 0
; COMPUTE_PGM_RSRC2:TIDIG_COMP_CNT: 0
	.section	.text._ZN7rocprim17ROCPRIM_400000_NS6detail17trampoline_kernelINS0_14default_configENS1_25partition_config_selectorILNS1_17partition_subalgoE5EfNS0_10empty_typeEbEEZZNS1_14partition_implILS5_5ELb0ES3_mN6thrust23THRUST_200600_302600_NS6detail15normal_iteratorINSA_10device_ptrIfEEEEPS6_NSA_18transform_iteratorINSB_9not_fun_tI7is_trueIfEEESF_NSA_11use_defaultESM_EENS0_5tupleIJSF_S6_EEENSO_IJSG_SG_EEES6_PlJS6_EEE10hipError_tPvRmT3_T4_T5_T6_T7_T9_mT8_P12ihipStream_tbDpT10_ENKUlT_T0_E_clISt17integral_constantIbLb0EES1B_EEDaS16_S17_EUlS16_E_NS1_11comp_targetILNS1_3genE5ELNS1_11target_archE942ELNS1_3gpuE9ELNS1_3repE0EEENS1_30default_config_static_selectorELNS0_4arch9wavefront6targetE0EEEvT1_,"axG",@progbits,_ZN7rocprim17ROCPRIM_400000_NS6detail17trampoline_kernelINS0_14default_configENS1_25partition_config_selectorILNS1_17partition_subalgoE5EfNS0_10empty_typeEbEEZZNS1_14partition_implILS5_5ELb0ES3_mN6thrust23THRUST_200600_302600_NS6detail15normal_iteratorINSA_10device_ptrIfEEEEPS6_NSA_18transform_iteratorINSB_9not_fun_tI7is_trueIfEEESF_NSA_11use_defaultESM_EENS0_5tupleIJSF_S6_EEENSO_IJSG_SG_EEES6_PlJS6_EEE10hipError_tPvRmT3_T4_T5_T6_T7_T9_mT8_P12ihipStream_tbDpT10_ENKUlT_T0_E_clISt17integral_constantIbLb0EES1B_EEDaS16_S17_EUlS16_E_NS1_11comp_targetILNS1_3genE5ELNS1_11target_archE942ELNS1_3gpuE9ELNS1_3repE0EEENS1_30default_config_static_selectorELNS0_4arch9wavefront6targetE0EEEvT1_,comdat
	.protected	_ZN7rocprim17ROCPRIM_400000_NS6detail17trampoline_kernelINS0_14default_configENS1_25partition_config_selectorILNS1_17partition_subalgoE5EfNS0_10empty_typeEbEEZZNS1_14partition_implILS5_5ELb0ES3_mN6thrust23THRUST_200600_302600_NS6detail15normal_iteratorINSA_10device_ptrIfEEEEPS6_NSA_18transform_iteratorINSB_9not_fun_tI7is_trueIfEEESF_NSA_11use_defaultESM_EENS0_5tupleIJSF_S6_EEENSO_IJSG_SG_EEES6_PlJS6_EEE10hipError_tPvRmT3_T4_T5_T6_T7_T9_mT8_P12ihipStream_tbDpT10_ENKUlT_T0_E_clISt17integral_constantIbLb0EES1B_EEDaS16_S17_EUlS16_E_NS1_11comp_targetILNS1_3genE5ELNS1_11target_archE942ELNS1_3gpuE9ELNS1_3repE0EEENS1_30default_config_static_selectorELNS0_4arch9wavefront6targetE0EEEvT1_ ; -- Begin function _ZN7rocprim17ROCPRIM_400000_NS6detail17trampoline_kernelINS0_14default_configENS1_25partition_config_selectorILNS1_17partition_subalgoE5EfNS0_10empty_typeEbEEZZNS1_14partition_implILS5_5ELb0ES3_mN6thrust23THRUST_200600_302600_NS6detail15normal_iteratorINSA_10device_ptrIfEEEEPS6_NSA_18transform_iteratorINSB_9not_fun_tI7is_trueIfEEESF_NSA_11use_defaultESM_EENS0_5tupleIJSF_S6_EEENSO_IJSG_SG_EEES6_PlJS6_EEE10hipError_tPvRmT3_T4_T5_T6_T7_T9_mT8_P12ihipStream_tbDpT10_ENKUlT_T0_E_clISt17integral_constantIbLb0EES1B_EEDaS16_S17_EUlS16_E_NS1_11comp_targetILNS1_3genE5ELNS1_11target_archE942ELNS1_3gpuE9ELNS1_3repE0EEENS1_30default_config_static_selectorELNS0_4arch9wavefront6targetE0EEEvT1_
	.globl	_ZN7rocprim17ROCPRIM_400000_NS6detail17trampoline_kernelINS0_14default_configENS1_25partition_config_selectorILNS1_17partition_subalgoE5EfNS0_10empty_typeEbEEZZNS1_14partition_implILS5_5ELb0ES3_mN6thrust23THRUST_200600_302600_NS6detail15normal_iteratorINSA_10device_ptrIfEEEEPS6_NSA_18transform_iteratorINSB_9not_fun_tI7is_trueIfEEESF_NSA_11use_defaultESM_EENS0_5tupleIJSF_S6_EEENSO_IJSG_SG_EEES6_PlJS6_EEE10hipError_tPvRmT3_T4_T5_T6_T7_T9_mT8_P12ihipStream_tbDpT10_ENKUlT_T0_E_clISt17integral_constantIbLb0EES1B_EEDaS16_S17_EUlS16_E_NS1_11comp_targetILNS1_3genE5ELNS1_11target_archE942ELNS1_3gpuE9ELNS1_3repE0EEENS1_30default_config_static_selectorELNS0_4arch9wavefront6targetE0EEEvT1_
	.p2align	8
	.type	_ZN7rocprim17ROCPRIM_400000_NS6detail17trampoline_kernelINS0_14default_configENS1_25partition_config_selectorILNS1_17partition_subalgoE5EfNS0_10empty_typeEbEEZZNS1_14partition_implILS5_5ELb0ES3_mN6thrust23THRUST_200600_302600_NS6detail15normal_iteratorINSA_10device_ptrIfEEEEPS6_NSA_18transform_iteratorINSB_9not_fun_tI7is_trueIfEEESF_NSA_11use_defaultESM_EENS0_5tupleIJSF_S6_EEENSO_IJSG_SG_EEES6_PlJS6_EEE10hipError_tPvRmT3_T4_T5_T6_T7_T9_mT8_P12ihipStream_tbDpT10_ENKUlT_T0_E_clISt17integral_constantIbLb0EES1B_EEDaS16_S17_EUlS16_E_NS1_11comp_targetILNS1_3genE5ELNS1_11target_archE942ELNS1_3gpuE9ELNS1_3repE0EEENS1_30default_config_static_selectorELNS0_4arch9wavefront6targetE0EEEvT1_,@function
_ZN7rocprim17ROCPRIM_400000_NS6detail17trampoline_kernelINS0_14default_configENS1_25partition_config_selectorILNS1_17partition_subalgoE5EfNS0_10empty_typeEbEEZZNS1_14partition_implILS5_5ELb0ES3_mN6thrust23THRUST_200600_302600_NS6detail15normal_iteratorINSA_10device_ptrIfEEEEPS6_NSA_18transform_iteratorINSB_9not_fun_tI7is_trueIfEEESF_NSA_11use_defaultESM_EENS0_5tupleIJSF_S6_EEENSO_IJSG_SG_EEES6_PlJS6_EEE10hipError_tPvRmT3_T4_T5_T6_T7_T9_mT8_P12ihipStream_tbDpT10_ENKUlT_T0_E_clISt17integral_constantIbLb0EES1B_EEDaS16_S17_EUlS16_E_NS1_11comp_targetILNS1_3genE5ELNS1_11target_archE942ELNS1_3gpuE9ELNS1_3repE0EEENS1_30default_config_static_selectorELNS0_4arch9wavefront6targetE0EEEvT1_: ; @_ZN7rocprim17ROCPRIM_400000_NS6detail17trampoline_kernelINS0_14default_configENS1_25partition_config_selectorILNS1_17partition_subalgoE5EfNS0_10empty_typeEbEEZZNS1_14partition_implILS5_5ELb0ES3_mN6thrust23THRUST_200600_302600_NS6detail15normal_iteratorINSA_10device_ptrIfEEEEPS6_NSA_18transform_iteratorINSB_9not_fun_tI7is_trueIfEEESF_NSA_11use_defaultESM_EENS0_5tupleIJSF_S6_EEENSO_IJSG_SG_EEES6_PlJS6_EEE10hipError_tPvRmT3_T4_T5_T6_T7_T9_mT8_P12ihipStream_tbDpT10_ENKUlT_T0_E_clISt17integral_constantIbLb0EES1B_EEDaS16_S17_EUlS16_E_NS1_11comp_targetILNS1_3genE5ELNS1_11target_archE942ELNS1_3gpuE9ELNS1_3repE0EEENS1_30default_config_static_selectorELNS0_4arch9wavefront6targetE0EEEvT1_
; %bb.0:
	.section	.rodata,"a",@progbits
	.p2align	6, 0x0
	.amdhsa_kernel _ZN7rocprim17ROCPRIM_400000_NS6detail17trampoline_kernelINS0_14default_configENS1_25partition_config_selectorILNS1_17partition_subalgoE5EfNS0_10empty_typeEbEEZZNS1_14partition_implILS5_5ELb0ES3_mN6thrust23THRUST_200600_302600_NS6detail15normal_iteratorINSA_10device_ptrIfEEEEPS6_NSA_18transform_iteratorINSB_9not_fun_tI7is_trueIfEEESF_NSA_11use_defaultESM_EENS0_5tupleIJSF_S6_EEENSO_IJSG_SG_EEES6_PlJS6_EEE10hipError_tPvRmT3_T4_T5_T6_T7_T9_mT8_P12ihipStream_tbDpT10_ENKUlT_T0_E_clISt17integral_constantIbLb0EES1B_EEDaS16_S17_EUlS16_E_NS1_11comp_targetILNS1_3genE5ELNS1_11target_archE942ELNS1_3gpuE9ELNS1_3repE0EEENS1_30default_config_static_selectorELNS0_4arch9wavefront6targetE0EEEvT1_
		.amdhsa_group_segment_fixed_size 0
		.amdhsa_private_segment_fixed_size 0
		.amdhsa_kernarg_size 120
		.amdhsa_user_sgpr_count 2
		.amdhsa_user_sgpr_dispatch_ptr 0
		.amdhsa_user_sgpr_queue_ptr 0
		.amdhsa_user_sgpr_kernarg_segment_ptr 1
		.amdhsa_user_sgpr_dispatch_id 0
		.amdhsa_user_sgpr_private_segment_size 0
		.amdhsa_wavefront_size32 1
		.amdhsa_uses_dynamic_stack 0
		.amdhsa_enable_private_segment 0
		.amdhsa_system_sgpr_workgroup_id_x 1
		.amdhsa_system_sgpr_workgroup_id_y 0
		.amdhsa_system_sgpr_workgroup_id_z 0
		.amdhsa_system_sgpr_workgroup_info 0
		.amdhsa_system_vgpr_workitem_id 0
		.amdhsa_next_free_vgpr 1
		.amdhsa_next_free_sgpr 1
		.amdhsa_reserve_vcc 0
		.amdhsa_float_round_mode_32 0
		.amdhsa_float_round_mode_16_64 0
		.amdhsa_float_denorm_mode_32 3
		.amdhsa_float_denorm_mode_16_64 3
		.amdhsa_fp16_overflow 0
		.amdhsa_workgroup_processor_mode 1
		.amdhsa_memory_ordered 1
		.amdhsa_forward_progress 1
		.amdhsa_inst_pref_size 0
		.amdhsa_round_robin_scheduling 0
		.amdhsa_exception_fp_ieee_invalid_op 0
		.amdhsa_exception_fp_denorm_src 0
		.amdhsa_exception_fp_ieee_div_zero 0
		.amdhsa_exception_fp_ieee_overflow 0
		.amdhsa_exception_fp_ieee_underflow 0
		.amdhsa_exception_fp_ieee_inexact 0
		.amdhsa_exception_int_div_zero 0
	.end_amdhsa_kernel
	.section	.text._ZN7rocprim17ROCPRIM_400000_NS6detail17trampoline_kernelINS0_14default_configENS1_25partition_config_selectorILNS1_17partition_subalgoE5EfNS0_10empty_typeEbEEZZNS1_14partition_implILS5_5ELb0ES3_mN6thrust23THRUST_200600_302600_NS6detail15normal_iteratorINSA_10device_ptrIfEEEEPS6_NSA_18transform_iteratorINSB_9not_fun_tI7is_trueIfEEESF_NSA_11use_defaultESM_EENS0_5tupleIJSF_S6_EEENSO_IJSG_SG_EEES6_PlJS6_EEE10hipError_tPvRmT3_T4_T5_T6_T7_T9_mT8_P12ihipStream_tbDpT10_ENKUlT_T0_E_clISt17integral_constantIbLb0EES1B_EEDaS16_S17_EUlS16_E_NS1_11comp_targetILNS1_3genE5ELNS1_11target_archE942ELNS1_3gpuE9ELNS1_3repE0EEENS1_30default_config_static_selectorELNS0_4arch9wavefront6targetE0EEEvT1_,"axG",@progbits,_ZN7rocprim17ROCPRIM_400000_NS6detail17trampoline_kernelINS0_14default_configENS1_25partition_config_selectorILNS1_17partition_subalgoE5EfNS0_10empty_typeEbEEZZNS1_14partition_implILS5_5ELb0ES3_mN6thrust23THRUST_200600_302600_NS6detail15normal_iteratorINSA_10device_ptrIfEEEEPS6_NSA_18transform_iteratorINSB_9not_fun_tI7is_trueIfEEESF_NSA_11use_defaultESM_EENS0_5tupleIJSF_S6_EEENSO_IJSG_SG_EEES6_PlJS6_EEE10hipError_tPvRmT3_T4_T5_T6_T7_T9_mT8_P12ihipStream_tbDpT10_ENKUlT_T0_E_clISt17integral_constantIbLb0EES1B_EEDaS16_S17_EUlS16_E_NS1_11comp_targetILNS1_3genE5ELNS1_11target_archE942ELNS1_3gpuE9ELNS1_3repE0EEENS1_30default_config_static_selectorELNS0_4arch9wavefront6targetE0EEEvT1_,comdat
.Lfunc_end1336:
	.size	_ZN7rocprim17ROCPRIM_400000_NS6detail17trampoline_kernelINS0_14default_configENS1_25partition_config_selectorILNS1_17partition_subalgoE5EfNS0_10empty_typeEbEEZZNS1_14partition_implILS5_5ELb0ES3_mN6thrust23THRUST_200600_302600_NS6detail15normal_iteratorINSA_10device_ptrIfEEEEPS6_NSA_18transform_iteratorINSB_9not_fun_tI7is_trueIfEEESF_NSA_11use_defaultESM_EENS0_5tupleIJSF_S6_EEENSO_IJSG_SG_EEES6_PlJS6_EEE10hipError_tPvRmT3_T4_T5_T6_T7_T9_mT8_P12ihipStream_tbDpT10_ENKUlT_T0_E_clISt17integral_constantIbLb0EES1B_EEDaS16_S17_EUlS16_E_NS1_11comp_targetILNS1_3genE5ELNS1_11target_archE942ELNS1_3gpuE9ELNS1_3repE0EEENS1_30default_config_static_selectorELNS0_4arch9wavefront6targetE0EEEvT1_, .Lfunc_end1336-_ZN7rocprim17ROCPRIM_400000_NS6detail17trampoline_kernelINS0_14default_configENS1_25partition_config_selectorILNS1_17partition_subalgoE5EfNS0_10empty_typeEbEEZZNS1_14partition_implILS5_5ELb0ES3_mN6thrust23THRUST_200600_302600_NS6detail15normal_iteratorINSA_10device_ptrIfEEEEPS6_NSA_18transform_iteratorINSB_9not_fun_tI7is_trueIfEEESF_NSA_11use_defaultESM_EENS0_5tupleIJSF_S6_EEENSO_IJSG_SG_EEES6_PlJS6_EEE10hipError_tPvRmT3_T4_T5_T6_T7_T9_mT8_P12ihipStream_tbDpT10_ENKUlT_T0_E_clISt17integral_constantIbLb0EES1B_EEDaS16_S17_EUlS16_E_NS1_11comp_targetILNS1_3genE5ELNS1_11target_archE942ELNS1_3gpuE9ELNS1_3repE0EEENS1_30default_config_static_selectorELNS0_4arch9wavefront6targetE0EEEvT1_
                                        ; -- End function
	.set _ZN7rocprim17ROCPRIM_400000_NS6detail17trampoline_kernelINS0_14default_configENS1_25partition_config_selectorILNS1_17partition_subalgoE5EfNS0_10empty_typeEbEEZZNS1_14partition_implILS5_5ELb0ES3_mN6thrust23THRUST_200600_302600_NS6detail15normal_iteratorINSA_10device_ptrIfEEEEPS6_NSA_18transform_iteratorINSB_9not_fun_tI7is_trueIfEEESF_NSA_11use_defaultESM_EENS0_5tupleIJSF_S6_EEENSO_IJSG_SG_EEES6_PlJS6_EEE10hipError_tPvRmT3_T4_T5_T6_T7_T9_mT8_P12ihipStream_tbDpT10_ENKUlT_T0_E_clISt17integral_constantIbLb0EES1B_EEDaS16_S17_EUlS16_E_NS1_11comp_targetILNS1_3genE5ELNS1_11target_archE942ELNS1_3gpuE9ELNS1_3repE0EEENS1_30default_config_static_selectorELNS0_4arch9wavefront6targetE0EEEvT1_.num_vgpr, 0
	.set _ZN7rocprim17ROCPRIM_400000_NS6detail17trampoline_kernelINS0_14default_configENS1_25partition_config_selectorILNS1_17partition_subalgoE5EfNS0_10empty_typeEbEEZZNS1_14partition_implILS5_5ELb0ES3_mN6thrust23THRUST_200600_302600_NS6detail15normal_iteratorINSA_10device_ptrIfEEEEPS6_NSA_18transform_iteratorINSB_9not_fun_tI7is_trueIfEEESF_NSA_11use_defaultESM_EENS0_5tupleIJSF_S6_EEENSO_IJSG_SG_EEES6_PlJS6_EEE10hipError_tPvRmT3_T4_T5_T6_T7_T9_mT8_P12ihipStream_tbDpT10_ENKUlT_T0_E_clISt17integral_constantIbLb0EES1B_EEDaS16_S17_EUlS16_E_NS1_11comp_targetILNS1_3genE5ELNS1_11target_archE942ELNS1_3gpuE9ELNS1_3repE0EEENS1_30default_config_static_selectorELNS0_4arch9wavefront6targetE0EEEvT1_.num_agpr, 0
	.set _ZN7rocprim17ROCPRIM_400000_NS6detail17trampoline_kernelINS0_14default_configENS1_25partition_config_selectorILNS1_17partition_subalgoE5EfNS0_10empty_typeEbEEZZNS1_14partition_implILS5_5ELb0ES3_mN6thrust23THRUST_200600_302600_NS6detail15normal_iteratorINSA_10device_ptrIfEEEEPS6_NSA_18transform_iteratorINSB_9not_fun_tI7is_trueIfEEESF_NSA_11use_defaultESM_EENS0_5tupleIJSF_S6_EEENSO_IJSG_SG_EEES6_PlJS6_EEE10hipError_tPvRmT3_T4_T5_T6_T7_T9_mT8_P12ihipStream_tbDpT10_ENKUlT_T0_E_clISt17integral_constantIbLb0EES1B_EEDaS16_S17_EUlS16_E_NS1_11comp_targetILNS1_3genE5ELNS1_11target_archE942ELNS1_3gpuE9ELNS1_3repE0EEENS1_30default_config_static_selectorELNS0_4arch9wavefront6targetE0EEEvT1_.numbered_sgpr, 0
	.set _ZN7rocprim17ROCPRIM_400000_NS6detail17trampoline_kernelINS0_14default_configENS1_25partition_config_selectorILNS1_17partition_subalgoE5EfNS0_10empty_typeEbEEZZNS1_14partition_implILS5_5ELb0ES3_mN6thrust23THRUST_200600_302600_NS6detail15normal_iteratorINSA_10device_ptrIfEEEEPS6_NSA_18transform_iteratorINSB_9not_fun_tI7is_trueIfEEESF_NSA_11use_defaultESM_EENS0_5tupleIJSF_S6_EEENSO_IJSG_SG_EEES6_PlJS6_EEE10hipError_tPvRmT3_T4_T5_T6_T7_T9_mT8_P12ihipStream_tbDpT10_ENKUlT_T0_E_clISt17integral_constantIbLb0EES1B_EEDaS16_S17_EUlS16_E_NS1_11comp_targetILNS1_3genE5ELNS1_11target_archE942ELNS1_3gpuE9ELNS1_3repE0EEENS1_30default_config_static_selectorELNS0_4arch9wavefront6targetE0EEEvT1_.num_named_barrier, 0
	.set _ZN7rocprim17ROCPRIM_400000_NS6detail17trampoline_kernelINS0_14default_configENS1_25partition_config_selectorILNS1_17partition_subalgoE5EfNS0_10empty_typeEbEEZZNS1_14partition_implILS5_5ELb0ES3_mN6thrust23THRUST_200600_302600_NS6detail15normal_iteratorINSA_10device_ptrIfEEEEPS6_NSA_18transform_iteratorINSB_9not_fun_tI7is_trueIfEEESF_NSA_11use_defaultESM_EENS0_5tupleIJSF_S6_EEENSO_IJSG_SG_EEES6_PlJS6_EEE10hipError_tPvRmT3_T4_T5_T6_T7_T9_mT8_P12ihipStream_tbDpT10_ENKUlT_T0_E_clISt17integral_constantIbLb0EES1B_EEDaS16_S17_EUlS16_E_NS1_11comp_targetILNS1_3genE5ELNS1_11target_archE942ELNS1_3gpuE9ELNS1_3repE0EEENS1_30default_config_static_selectorELNS0_4arch9wavefront6targetE0EEEvT1_.private_seg_size, 0
	.set _ZN7rocprim17ROCPRIM_400000_NS6detail17trampoline_kernelINS0_14default_configENS1_25partition_config_selectorILNS1_17partition_subalgoE5EfNS0_10empty_typeEbEEZZNS1_14partition_implILS5_5ELb0ES3_mN6thrust23THRUST_200600_302600_NS6detail15normal_iteratorINSA_10device_ptrIfEEEEPS6_NSA_18transform_iteratorINSB_9not_fun_tI7is_trueIfEEESF_NSA_11use_defaultESM_EENS0_5tupleIJSF_S6_EEENSO_IJSG_SG_EEES6_PlJS6_EEE10hipError_tPvRmT3_T4_T5_T6_T7_T9_mT8_P12ihipStream_tbDpT10_ENKUlT_T0_E_clISt17integral_constantIbLb0EES1B_EEDaS16_S17_EUlS16_E_NS1_11comp_targetILNS1_3genE5ELNS1_11target_archE942ELNS1_3gpuE9ELNS1_3repE0EEENS1_30default_config_static_selectorELNS0_4arch9wavefront6targetE0EEEvT1_.uses_vcc, 0
	.set _ZN7rocprim17ROCPRIM_400000_NS6detail17trampoline_kernelINS0_14default_configENS1_25partition_config_selectorILNS1_17partition_subalgoE5EfNS0_10empty_typeEbEEZZNS1_14partition_implILS5_5ELb0ES3_mN6thrust23THRUST_200600_302600_NS6detail15normal_iteratorINSA_10device_ptrIfEEEEPS6_NSA_18transform_iteratorINSB_9not_fun_tI7is_trueIfEEESF_NSA_11use_defaultESM_EENS0_5tupleIJSF_S6_EEENSO_IJSG_SG_EEES6_PlJS6_EEE10hipError_tPvRmT3_T4_T5_T6_T7_T9_mT8_P12ihipStream_tbDpT10_ENKUlT_T0_E_clISt17integral_constantIbLb0EES1B_EEDaS16_S17_EUlS16_E_NS1_11comp_targetILNS1_3genE5ELNS1_11target_archE942ELNS1_3gpuE9ELNS1_3repE0EEENS1_30default_config_static_selectorELNS0_4arch9wavefront6targetE0EEEvT1_.uses_flat_scratch, 0
	.set _ZN7rocprim17ROCPRIM_400000_NS6detail17trampoline_kernelINS0_14default_configENS1_25partition_config_selectorILNS1_17partition_subalgoE5EfNS0_10empty_typeEbEEZZNS1_14partition_implILS5_5ELb0ES3_mN6thrust23THRUST_200600_302600_NS6detail15normal_iteratorINSA_10device_ptrIfEEEEPS6_NSA_18transform_iteratorINSB_9not_fun_tI7is_trueIfEEESF_NSA_11use_defaultESM_EENS0_5tupleIJSF_S6_EEENSO_IJSG_SG_EEES6_PlJS6_EEE10hipError_tPvRmT3_T4_T5_T6_T7_T9_mT8_P12ihipStream_tbDpT10_ENKUlT_T0_E_clISt17integral_constantIbLb0EES1B_EEDaS16_S17_EUlS16_E_NS1_11comp_targetILNS1_3genE5ELNS1_11target_archE942ELNS1_3gpuE9ELNS1_3repE0EEENS1_30default_config_static_selectorELNS0_4arch9wavefront6targetE0EEEvT1_.has_dyn_sized_stack, 0
	.set _ZN7rocprim17ROCPRIM_400000_NS6detail17trampoline_kernelINS0_14default_configENS1_25partition_config_selectorILNS1_17partition_subalgoE5EfNS0_10empty_typeEbEEZZNS1_14partition_implILS5_5ELb0ES3_mN6thrust23THRUST_200600_302600_NS6detail15normal_iteratorINSA_10device_ptrIfEEEEPS6_NSA_18transform_iteratorINSB_9not_fun_tI7is_trueIfEEESF_NSA_11use_defaultESM_EENS0_5tupleIJSF_S6_EEENSO_IJSG_SG_EEES6_PlJS6_EEE10hipError_tPvRmT3_T4_T5_T6_T7_T9_mT8_P12ihipStream_tbDpT10_ENKUlT_T0_E_clISt17integral_constantIbLb0EES1B_EEDaS16_S17_EUlS16_E_NS1_11comp_targetILNS1_3genE5ELNS1_11target_archE942ELNS1_3gpuE9ELNS1_3repE0EEENS1_30default_config_static_selectorELNS0_4arch9wavefront6targetE0EEEvT1_.has_recursion, 0
	.set _ZN7rocprim17ROCPRIM_400000_NS6detail17trampoline_kernelINS0_14default_configENS1_25partition_config_selectorILNS1_17partition_subalgoE5EfNS0_10empty_typeEbEEZZNS1_14partition_implILS5_5ELb0ES3_mN6thrust23THRUST_200600_302600_NS6detail15normal_iteratorINSA_10device_ptrIfEEEEPS6_NSA_18transform_iteratorINSB_9not_fun_tI7is_trueIfEEESF_NSA_11use_defaultESM_EENS0_5tupleIJSF_S6_EEENSO_IJSG_SG_EEES6_PlJS6_EEE10hipError_tPvRmT3_T4_T5_T6_T7_T9_mT8_P12ihipStream_tbDpT10_ENKUlT_T0_E_clISt17integral_constantIbLb0EES1B_EEDaS16_S17_EUlS16_E_NS1_11comp_targetILNS1_3genE5ELNS1_11target_archE942ELNS1_3gpuE9ELNS1_3repE0EEENS1_30default_config_static_selectorELNS0_4arch9wavefront6targetE0EEEvT1_.has_indirect_call, 0
	.section	.AMDGPU.csdata,"",@progbits
; Kernel info:
; codeLenInByte = 0
; TotalNumSgprs: 0
; NumVgprs: 0
; ScratchSize: 0
; MemoryBound: 0
; FloatMode: 240
; IeeeMode: 1
; LDSByteSize: 0 bytes/workgroup (compile time only)
; SGPRBlocks: 0
; VGPRBlocks: 0
; NumSGPRsForWavesPerEU: 1
; NumVGPRsForWavesPerEU: 1
; Occupancy: 16
; WaveLimiterHint : 0
; COMPUTE_PGM_RSRC2:SCRATCH_EN: 0
; COMPUTE_PGM_RSRC2:USER_SGPR: 2
; COMPUTE_PGM_RSRC2:TRAP_HANDLER: 0
; COMPUTE_PGM_RSRC2:TGID_X_EN: 1
; COMPUTE_PGM_RSRC2:TGID_Y_EN: 0
; COMPUTE_PGM_RSRC2:TGID_Z_EN: 0
; COMPUTE_PGM_RSRC2:TIDIG_COMP_CNT: 0
	.section	.text._ZN7rocprim17ROCPRIM_400000_NS6detail17trampoline_kernelINS0_14default_configENS1_25partition_config_selectorILNS1_17partition_subalgoE5EfNS0_10empty_typeEbEEZZNS1_14partition_implILS5_5ELb0ES3_mN6thrust23THRUST_200600_302600_NS6detail15normal_iteratorINSA_10device_ptrIfEEEEPS6_NSA_18transform_iteratorINSB_9not_fun_tI7is_trueIfEEESF_NSA_11use_defaultESM_EENS0_5tupleIJSF_S6_EEENSO_IJSG_SG_EEES6_PlJS6_EEE10hipError_tPvRmT3_T4_T5_T6_T7_T9_mT8_P12ihipStream_tbDpT10_ENKUlT_T0_E_clISt17integral_constantIbLb0EES1B_EEDaS16_S17_EUlS16_E_NS1_11comp_targetILNS1_3genE4ELNS1_11target_archE910ELNS1_3gpuE8ELNS1_3repE0EEENS1_30default_config_static_selectorELNS0_4arch9wavefront6targetE0EEEvT1_,"axG",@progbits,_ZN7rocprim17ROCPRIM_400000_NS6detail17trampoline_kernelINS0_14default_configENS1_25partition_config_selectorILNS1_17partition_subalgoE5EfNS0_10empty_typeEbEEZZNS1_14partition_implILS5_5ELb0ES3_mN6thrust23THRUST_200600_302600_NS6detail15normal_iteratorINSA_10device_ptrIfEEEEPS6_NSA_18transform_iteratorINSB_9not_fun_tI7is_trueIfEEESF_NSA_11use_defaultESM_EENS0_5tupleIJSF_S6_EEENSO_IJSG_SG_EEES6_PlJS6_EEE10hipError_tPvRmT3_T4_T5_T6_T7_T9_mT8_P12ihipStream_tbDpT10_ENKUlT_T0_E_clISt17integral_constantIbLb0EES1B_EEDaS16_S17_EUlS16_E_NS1_11comp_targetILNS1_3genE4ELNS1_11target_archE910ELNS1_3gpuE8ELNS1_3repE0EEENS1_30default_config_static_selectorELNS0_4arch9wavefront6targetE0EEEvT1_,comdat
	.protected	_ZN7rocprim17ROCPRIM_400000_NS6detail17trampoline_kernelINS0_14default_configENS1_25partition_config_selectorILNS1_17partition_subalgoE5EfNS0_10empty_typeEbEEZZNS1_14partition_implILS5_5ELb0ES3_mN6thrust23THRUST_200600_302600_NS6detail15normal_iteratorINSA_10device_ptrIfEEEEPS6_NSA_18transform_iteratorINSB_9not_fun_tI7is_trueIfEEESF_NSA_11use_defaultESM_EENS0_5tupleIJSF_S6_EEENSO_IJSG_SG_EEES6_PlJS6_EEE10hipError_tPvRmT3_T4_T5_T6_T7_T9_mT8_P12ihipStream_tbDpT10_ENKUlT_T0_E_clISt17integral_constantIbLb0EES1B_EEDaS16_S17_EUlS16_E_NS1_11comp_targetILNS1_3genE4ELNS1_11target_archE910ELNS1_3gpuE8ELNS1_3repE0EEENS1_30default_config_static_selectorELNS0_4arch9wavefront6targetE0EEEvT1_ ; -- Begin function _ZN7rocprim17ROCPRIM_400000_NS6detail17trampoline_kernelINS0_14default_configENS1_25partition_config_selectorILNS1_17partition_subalgoE5EfNS0_10empty_typeEbEEZZNS1_14partition_implILS5_5ELb0ES3_mN6thrust23THRUST_200600_302600_NS6detail15normal_iteratorINSA_10device_ptrIfEEEEPS6_NSA_18transform_iteratorINSB_9not_fun_tI7is_trueIfEEESF_NSA_11use_defaultESM_EENS0_5tupleIJSF_S6_EEENSO_IJSG_SG_EEES6_PlJS6_EEE10hipError_tPvRmT3_T4_T5_T6_T7_T9_mT8_P12ihipStream_tbDpT10_ENKUlT_T0_E_clISt17integral_constantIbLb0EES1B_EEDaS16_S17_EUlS16_E_NS1_11comp_targetILNS1_3genE4ELNS1_11target_archE910ELNS1_3gpuE8ELNS1_3repE0EEENS1_30default_config_static_selectorELNS0_4arch9wavefront6targetE0EEEvT1_
	.globl	_ZN7rocprim17ROCPRIM_400000_NS6detail17trampoline_kernelINS0_14default_configENS1_25partition_config_selectorILNS1_17partition_subalgoE5EfNS0_10empty_typeEbEEZZNS1_14partition_implILS5_5ELb0ES3_mN6thrust23THRUST_200600_302600_NS6detail15normal_iteratorINSA_10device_ptrIfEEEEPS6_NSA_18transform_iteratorINSB_9not_fun_tI7is_trueIfEEESF_NSA_11use_defaultESM_EENS0_5tupleIJSF_S6_EEENSO_IJSG_SG_EEES6_PlJS6_EEE10hipError_tPvRmT3_T4_T5_T6_T7_T9_mT8_P12ihipStream_tbDpT10_ENKUlT_T0_E_clISt17integral_constantIbLb0EES1B_EEDaS16_S17_EUlS16_E_NS1_11comp_targetILNS1_3genE4ELNS1_11target_archE910ELNS1_3gpuE8ELNS1_3repE0EEENS1_30default_config_static_selectorELNS0_4arch9wavefront6targetE0EEEvT1_
	.p2align	8
	.type	_ZN7rocprim17ROCPRIM_400000_NS6detail17trampoline_kernelINS0_14default_configENS1_25partition_config_selectorILNS1_17partition_subalgoE5EfNS0_10empty_typeEbEEZZNS1_14partition_implILS5_5ELb0ES3_mN6thrust23THRUST_200600_302600_NS6detail15normal_iteratorINSA_10device_ptrIfEEEEPS6_NSA_18transform_iteratorINSB_9not_fun_tI7is_trueIfEEESF_NSA_11use_defaultESM_EENS0_5tupleIJSF_S6_EEENSO_IJSG_SG_EEES6_PlJS6_EEE10hipError_tPvRmT3_T4_T5_T6_T7_T9_mT8_P12ihipStream_tbDpT10_ENKUlT_T0_E_clISt17integral_constantIbLb0EES1B_EEDaS16_S17_EUlS16_E_NS1_11comp_targetILNS1_3genE4ELNS1_11target_archE910ELNS1_3gpuE8ELNS1_3repE0EEENS1_30default_config_static_selectorELNS0_4arch9wavefront6targetE0EEEvT1_,@function
_ZN7rocprim17ROCPRIM_400000_NS6detail17trampoline_kernelINS0_14default_configENS1_25partition_config_selectorILNS1_17partition_subalgoE5EfNS0_10empty_typeEbEEZZNS1_14partition_implILS5_5ELb0ES3_mN6thrust23THRUST_200600_302600_NS6detail15normal_iteratorINSA_10device_ptrIfEEEEPS6_NSA_18transform_iteratorINSB_9not_fun_tI7is_trueIfEEESF_NSA_11use_defaultESM_EENS0_5tupleIJSF_S6_EEENSO_IJSG_SG_EEES6_PlJS6_EEE10hipError_tPvRmT3_T4_T5_T6_T7_T9_mT8_P12ihipStream_tbDpT10_ENKUlT_T0_E_clISt17integral_constantIbLb0EES1B_EEDaS16_S17_EUlS16_E_NS1_11comp_targetILNS1_3genE4ELNS1_11target_archE910ELNS1_3gpuE8ELNS1_3repE0EEENS1_30default_config_static_selectorELNS0_4arch9wavefront6targetE0EEEvT1_: ; @_ZN7rocprim17ROCPRIM_400000_NS6detail17trampoline_kernelINS0_14default_configENS1_25partition_config_selectorILNS1_17partition_subalgoE5EfNS0_10empty_typeEbEEZZNS1_14partition_implILS5_5ELb0ES3_mN6thrust23THRUST_200600_302600_NS6detail15normal_iteratorINSA_10device_ptrIfEEEEPS6_NSA_18transform_iteratorINSB_9not_fun_tI7is_trueIfEEESF_NSA_11use_defaultESM_EENS0_5tupleIJSF_S6_EEENSO_IJSG_SG_EEES6_PlJS6_EEE10hipError_tPvRmT3_T4_T5_T6_T7_T9_mT8_P12ihipStream_tbDpT10_ENKUlT_T0_E_clISt17integral_constantIbLb0EES1B_EEDaS16_S17_EUlS16_E_NS1_11comp_targetILNS1_3genE4ELNS1_11target_archE910ELNS1_3gpuE8ELNS1_3repE0EEENS1_30default_config_static_selectorELNS0_4arch9wavefront6targetE0EEEvT1_
; %bb.0:
	.section	.rodata,"a",@progbits
	.p2align	6, 0x0
	.amdhsa_kernel _ZN7rocprim17ROCPRIM_400000_NS6detail17trampoline_kernelINS0_14default_configENS1_25partition_config_selectorILNS1_17partition_subalgoE5EfNS0_10empty_typeEbEEZZNS1_14partition_implILS5_5ELb0ES3_mN6thrust23THRUST_200600_302600_NS6detail15normal_iteratorINSA_10device_ptrIfEEEEPS6_NSA_18transform_iteratorINSB_9not_fun_tI7is_trueIfEEESF_NSA_11use_defaultESM_EENS0_5tupleIJSF_S6_EEENSO_IJSG_SG_EEES6_PlJS6_EEE10hipError_tPvRmT3_T4_T5_T6_T7_T9_mT8_P12ihipStream_tbDpT10_ENKUlT_T0_E_clISt17integral_constantIbLb0EES1B_EEDaS16_S17_EUlS16_E_NS1_11comp_targetILNS1_3genE4ELNS1_11target_archE910ELNS1_3gpuE8ELNS1_3repE0EEENS1_30default_config_static_selectorELNS0_4arch9wavefront6targetE0EEEvT1_
		.amdhsa_group_segment_fixed_size 0
		.amdhsa_private_segment_fixed_size 0
		.amdhsa_kernarg_size 120
		.amdhsa_user_sgpr_count 2
		.amdhsa_user_sgpr_dispatch_ptr 0
		.amdhsa_user_sgpr_queue_ptr 0
		.amdhsa_user_sgpr_kernarg_segment_ptr 1
		.amdhsa_user_sgpr_dispatch_id 0
		.amdhsa_user_sgpr_private_segment_size 0
		.amdhsa_wavefront_size32 1
		.amdhsa_uses_dynamic_stack 0
		.amdhsa_enable_private_segment 0
		.amdhsa_system_sgpr_workgroup_id_x 1
		.amdhsa_system_sgpr_workgroup_id_y 0
		.amdhsa_system_sgpr_workgroup_id_z 0
		.amdhsa_system_sgpr_workgroup_info 0
		.amdhsa_system_vgpr_workitem_id 0
		.amdhsa_next_free_vgpr 1
		.amdhsa_next_free_sgpr 1
		.amdhsa_reserve_vcc 0
		.amdhsa_float_round_mode_32 0
		.amdhsa_float_round_mode_16_64 0
		.amdhsa_float_denorm_mode_32 3
		.amdhsa_float_denorm_mode_16_64 3
		.amdhsa_fp16_overflow 0
		.amdhsa_workgroup_processor_mode 1
		.amdhsa_memory_ordered 1
		.amdhsa_forward_progress 1
		.amdhsa_inst_pref_size 0
		.amdhsa_round_robin_scheduling 0
		.amdhsa_exception_fp_ieee_invalid_op 0
		.amdhsa_exception_fp_denorm_src 0
		.amdhsa_exception_fp_ieee_div_zero 0
		.amdhsa_exception_fp_ieee_overflow 0
		.amdhsa_exception_fp_ieee_underflow 0
		.amdhsa_exception_fp_ieee_inexact 0
		.amdhsa_exception_int_div_zero 0
	.end_amdhsa_kernel
	.section	.text._ZN7rocprim17ROCPRIM_400000_NS6detail17trampoline_kernelINS0_14default_configENS1_25partition_config_selectorILNS1_17partition_subalgoE5EfNS0_10empty_typeEbEEZZNS1_14partition_implILS5_5ELb0ES3_mN6thrust23THRUST_200600_302600_NS6detail15normal_iteratorINSA_10device_ptrIfEEEEPS6_NSA_18transform_iteratorINSB_9not_fun_tI7is_trueIfEEESF_NSA_11use_defaultESM_EENS0_5tupleIJSF_S6_EEENSO_IJSG_SG_EEES6_PlJS6_EEE10hipError_tPvRmT3_T4_T5_T6_T7_T9_mT8_P12ihipStream_tbDpT10_ENKUlT_T0_E_clISt17integral_constantIbLb0EES1B_EEDaS16_S17_EUlS16_E_NS1_11comp_targetILNS1_3genE4ELNS1_11target_archE910ELNS1_3gpuE8ELNS1_3repE0EEENS1_30default_config_static_selectorELNS0_4arch9wavefront6targetE0EEEvT1_,"axG",@progbits,_ZN7rocprim17ROCPRIM_400000_NS6detail17trampoline_kernelINS0_14default_configENS1_25partition_config_selectorILNS1_17partition_subalgoE5EfNS0_10empty_typeEbEEZZNS1_14partition_implILS5_5ELb0ES3_mN6thrust23THRUST_200600_302600_NS6detail15normal_iteratorINSA_10device_ptrIfEEEEPS6_NSA_18transform_iteratorINSB_9not_fun_tI7is_trueIfEEESF_NSA_11use_defaultESM_EENS0_5tupleIJSF_S6_EEENSO_IJSG_SG_EEES6_PlJS6_EEE10hipError_tPvRmT3_T4_T5_T6_T7_T9_mT8_P12ihipStream_tbDpT10_ENKUlT_T0_E_clISt17integral_constantIbLb0EES1B_EEDaS16_S17_EUlS16_E_NS1_11comp_targetILNS1_3genE4ELNS1_11target_archE910ELNS1_3gpuE8ELNS1_3repE0EEENS1_30default_config_static_selectorELNS0_4arch9wavefront6targetE0EEEvT1_,comdat
.Lfunc_end1337:
	.size	_ZN7rocprim17ROCPRIM_400000_NS6detail17trampoline_kernelINS0_14default_configENS1_25partition_config_selectorILNS1_17partition_subalgoE5EfNS0_10empty_typeEbEEZZNS1_14partition_implILS5_5ELb0ES3_mN6thrust23THRUST_200600_302600_NS6detail15normal_iteratorINSA_10device_ptrIfEEEEPS6_NSA_18transform_iteratorINSB_9not_fun_tI7is_trueIfEEESF_NSA_11use_defaultESM_EENS0_5tupleIJSF_S6_EEENSO_IJSG_SG_EEES6_PlJS6_EEE10hipError_tPvRmT3_T4_T5_T6_T7_T9_mT8_P12ihipStream_tbDpT10_ENKUlT_T0_E_clISt17integral_constantIbLb0EES1B_EEDaS16_S17_EUlS16_E_NS1_11comp_targetILNS1_3genE4ELNS1_11target_archE910ELNS1_3gpuE8ELNS1_3repE0EEENS1_30default_config_static_selectorELNS0_4arch9wavefront6targetE0EEEvT1_, .Lfunc_end1337-_ZN7rocprim17ROCPRIM_400000_NS6detail17trampoline_kernelINS0_14default_configENS1_25partition_config_selectorILNS1_17partition_subalgoE5EfNS0_10empty_typeEbEEZZNS1_14partition_implILS5_5ELb0ES3_mN6thrust23THRUST_200600_302600_NS6detail15normal_iteratorINSA_10device_ptrIfEEEEPS6_NSA_18transform_iteratorINSB_9not_fun_tI7is_trueIfEEESF_NSA_11use_defaultESM_EENS0_5tupleIJSF_S6_EEENSO_IJSG_SG_EEES6_PlJS6_EEE10hipError_tPvRmT3_T4_T5_T6_T7_T9_mT8_P12ihipStream_tbDpT10_ENKUlT_T0_E_clISt17integral_constantIbLb0EES1B_EEDaS16_S17_EUlS16_E_NS1_11comp_targetILNS1_3genE4ELNS1_11target_archE910ELNS1_3gpuE8ELNS1_3repE0EEENS1_30default_config_static_selectorELNS0_4arch9wavefront6targetE0EEEvT1_
                                        ; -- End function
	.set _ZN7rocprim17ROCPRIM_400000_NS6detail17trampoline_kernelINS0_14default_configENS1_25partition_config_selectorILNS1_17partition_subalgoE5EfNS0_10empty_typeEbEEZZNS1_14partition_implILS5_5ELb0ES3_mN6thrust23THRUST_200600_302600_NS6detail15normal_iteratorINSA_10device_ptrIfEEEEPS6_NSA_18transform_iteratorINSB_9not_fun_tI7is_trueIfEEESF_NSA_11use_defaultESM_EENS0_5tupleIJSF_S6_EEENSO_IJSG_SG_EEES6_PlJS6_EEE10hipError_tPvRmT3_T4_T5_T6_T7_T9_mT8_P12ihipStream_tbDpT10_ENKUlT_T0_E_clISt17integral_constantIbLb0EES1B_EEDaS16_S17_EUlS16_E_NS1_11comp_targetILNS1_3genE4ELNS1_11target_archE910ELNS1_3gpuE8ELNS1_3repE0EEENS1_30default_config_static_selectorELNS0_4arch9wavefront6targetE0EEEvT1_.num_vgpr, 0
	.set _ZN7rocprim17ROCPRIM_400000_NS6detail17trampoline_kernelINS0_14default_configENS1_25partition_config_selectorILNS1_17partition_subalgoE5EfNS0_10empty_typeEbEEZZNS1_14partition_implILS5_5ELb0ES3_mN6thrust23THRUST_200600_302600_NS6detail15normal_iteratorINSA_10device_ptrIfEEEEPS6_NSA_18transform_iteratorINSB_9not_fun_tI7is_trueIfEEESF_NSA_11use_defaultESM_EENS0_5tupleIJSF_S6_EEENSO_IJSG_SG_EEES6_PlJS6_EEE10hipError_tPvRmT3_T4_T5_T6_T7_T9_mT8_P12ihipStream_tbDpT10_ENKUlT_T0_E_clISt17integral_constantIbLb0EES1B_EEDaS16_S17_EUlS16_E_NS1_11comp_targetILNS1_3genE4ELNS1_11target_archE910ELNS1_3gpuE8ELNS1_3repE0EEENS1_30default_config_static_selectorELNS0_4arch9wavefront6targetE0EEEvT1_.num_agpr, 0
	.set _ZN7rocprim17ROCPRIM_400000_NS6detail17trampoline_kernelINS0_14default_configENS1_25partition_config_selectorILNS1_17partition_subalgoE5EfNS0_10empty_typeEbEEZZNS1_14partition_implILS5_5ELb0ES3_mN6thrust23THRUST_200600_302600_NS6detail15normal_iteratorINSA_10device_ptrIfEEEEPS6_NSA_18transform_iteratorINSB_9not_fun_tI7is_trueIfEEESF_NSA_11use_defaultESM_EENS0_5tupleIJSF_S6_EEENSO_IJSG_SG_EEES6_PlJS6_EEE10hipError_tPvRmT3_T4_T5_T6_T7_T9_mT8_P12ihipStream_tbDpT10_ENKUlT_T0_E_clISt17integral_constantIbLb0EES1B_EEDaS16_S17_EUlS16_E_NS1_11comp_targetILNS1_3genE4ELNS1_11target_archE910ELNS1_3gpuE8ELNS1_3repE0EEENS1_30default_config_static_selectorELNS0_4arch9wavefront6targetE0EEEvT1_.numbered_sgpr, 0
	.set _ZN7rocprim17ROCPRIM_400000_NS6detail17trampoline_kernelINS0_14default_configENS1_25partition_config_selectorILNS1_17partition_subalgoE5EfNS0_10empty_typeEbEEZZNS1_14partition_implILS5_5ELb0ES3_mN6thrust23THRUST_200600_302600_NS6detail15normal_iteratorINSA_10device_ptrIfEEEEPS6_NSA_18transform_iteratorINSB_9not_fun_tI7is_trueIfEEESF_NSA_11use_defaultESM_EENS0_5tupleIJSF_S6_EEENSO_IJSG_SG_EEES6_PlJS6_EEE10hipError_tPvRmT3_T4_T5_T6_T7_T9_mT8_P12ihipStream_tbDpT10_ENKUlT_T0_E_clISt17integral_constantIbLb0EES1B_EEDaS16_S17_EUlS16_E_NS1_11comp_targetILNS1_3genE4ELNS1_11target_archE910ELNS1_3gpuE8ELNS1_3repE0EEENS1_30default_config_static_selectorELNS0_4arch9wavefront6targetE0EEEvT1_.num_named_barrier, 0
	.set _ZN7rocprim17ROCPRIM_400000_NS6detail17trampoline_kernelINS0_14default_configENS1_25partition_config_selectorILNS1_17partition_subalgoE5EfNS0_10empty_typeEbEEZZNS1_14partition_implILS5_5ELb0ES3_mN6thrust23THRUST_200600_302600_NS6detail15normal_iteratorINSA_10device_ptrIfEEEEPS6_NSA_18transform_iteratorINSB_9not_fun_tI7is_trueIfEEESF_NSA_11use_defaultESM_EENS0_5tupleIJSF_S6_EEENSO_IJSG_SG_EEES6_PlJS6_EEE10hipError_tPvRmT3_T4_T5_T6_T7_T9_mT8_P12ihipStream_tbDpT10_ENKUlT_T0_E_clISt17integral_constantIbLb0EES1B_EEDaS16_S17_EUlS16_E_NS1_11comp_targetILNS1_3genE4ELNS1_11target_archE910ELNS1_3gpuE8ELNS1_3repE0EEENS1_30default_config_static_selectorELNS0_4arch9wavefront6targetE0EEEvT1_.private_seg_size, 0
	.set _ZN7rocprim17ROCPRIM_400000_NS6detail17trampoline_kernelINS0_14default_configENS1_25partition_config_selectorILNS1_17partition_subalgoE5EfNS0_10empty_typeEbEEZZNS1_14partition_implILS5_5ELb0ES3_mN6thrust23THRUST_200600_302600_NS6detail15normal_iteratorINSA_10device_ptrIfEEEEPS6_NSA_18transform_iteratorINSB_9not_fun_tI7is_trueIfEEESF_NSA_11use_defaultESM_EENS0_5tupleIJSF_S6_EEENSO_IJSG_SG_EEES6_PlJS6_EEE10hipError_tPvRmT3_T4_T5_T6_T7_T9_mT8_P12ihipStream_tbDpT10_ENKUlT_T0_E_clISt17integral_constantIbLb0EES1B_EEDaS16_S17_EUlS16_E_NS1_11comp_targetILNS1_3genE4ELNS1_11target_archE910ELNS1_3gpuE8ELNS1_3repE0EEENS1_30default_config_static_selectorELNS0_4arch9wavefront6targetE0EEEvT1_.uses_vcc, 0
	.set _ZN7rocprim17ROCPRIM_400000_NS6detail17trampoline_kernelINS0_14default_configENS1_25partition_config_selectorILNS1_17partition_subalgoE5EfNS0_10empty_typeEbEEZZNS1_14partition_implILS5_5ELb0ES3_mN6thrust23THRUST_200600_302600_NS6detail15normal_iteratorINSA_10device_ptrIfEEEEPS6_NSA_18transform_iteratorINSB_9not_fun_tI7is_trueIfEEESF_NSA_11use_defaultESM_EENS0_5tupleIJSF_S6_EEENSO_IJSG_SG_EEES6_PlJS6_EEE10hipError_tPvRmT3_T4_T5_T6_T7_T9_mT8_P12ihipStream_tbDpT10_ENKUlT_T0_E_clISt17integral_constantIbLb0EES1B_EEDaS16_S17_EUlS16_E_NS1_11comp_targetILNS1_3genE4ELNS1_11target_archE910ELNS1_3gpuE8ELNS1_3repE0EEENS1_30default_config_static_selectorELNS0_4arch9wavefront6targetE0EEEvT1_.uses_flat_scratch, 0
	.set _ZN7rocprim17ROCPRIM_400000_NS6detail17trampoline_kernelINS0_14default_configENS1_25partition_config_selectorILNS1_17partition_subalgoE5EfNS0_10empty_typeEbEEZZNS1_14partition_implILS5_5ELb0ES3_mN6thrust23THRUST_200600_302600_NS6detail15normal_iteratorINSA_10device_ptrIfEEEEPS6_NSA_18transform_iteratorINSB_9not_fun_tI7is_trueIfEEESF_NSA_11use_defaultESM_EENS0_5tupleIJSF_S6_EEENSO_IJSG_SG_EEES6_PlJS6_EEE10hipError_tPvRmT3_T4_T5_T6_T7_T9_mT8_P12ihipStream_tbDpT10_ENKUlT_T0_E_clISt17integral_constantIbLb0EES1B_EEDaS16_S17_EUlS16_E_NS1_11comp_targetILNS1_3genE4ELNS1_11target_archE910ELNS1_3gpuE8ELNS1_3repE0EEENS1_30default_config_static_selectorELNS0_4arch9wavefront6targetE0EEEvT1_.has_dyn_sized_stack, 0
	.set _ZN7rocprim17ROCPRIM_400000_NS6detail17trampoline_kernelINS0_14default_configENS1_25partition_config_selectorILNS1_17partition_subalgoE5EfNS0_10empty_typeEbEEZZNS1_14partition_implILS5_5ELb0ES3_mN6thrust23THRUST_200600_302600_NS6detail15normal_iteratorINSA_10device_ptrIfEEEEPS6_NSA_18transform_iteratorINSB_9not_fun_tI7is_trueIfEEESF_NSA_11use_defaultESM_EENS0_5tupleIJSF_S6_EEENSO_IJSG_SG_EEES6_PlJS6_EEE10hipError_tPvRmT3_T4_T5_T6_T7_T9_mT8_P12ihipStream_tbDpT10_ENKUlT_T0_E_clISt17integral_constantIbLb0EES1B_EEDaS16_S17_EUlS16_E_NS1_11comp_targetILNS1_3genE4ELNS1_11target_archE910ELNS1_3gpuE8ELNS1_3repE0EEENS1_30default_config_static_selectorELNS0_4arch9wavefront6targetE0EEEvT1_.has_recursion, 0
	.set _ZN7rocprim17ROCPRIM_400000_NS6detail17trampoline_kernelINS0_14default_configENS1_25partition_config_selectorILNS1_17partition_subalgoE5EfNS0_10empty_typeEbEEZZNS1_14partition_implILS5_5ELb0ES3_mN6thrust23THRUST_200600_302600_NS6detail15normal_iteratorINSA_10device_ptrIfEEEEPS6_NSA_18transform_iteratorINSB_9not_fun_tI7is_trueIfEEESF_NSA_11use_defaultESM_EENS0_5tupleIJSF_S6_EEENSO_IJSG_SG_EEES6_PlJS6_EEE10hipError_tPvRmT3_T4_T5_T6_T7_T9_mT8_P12ihipStream_tbDpT10_ENKUlT_T0_E_clISt17integral_constantIbLb0EES1B_EEDaS16_S17_EUlS16_E_NS1_11comp_targetILNS1_3genE4ELNS1_11target_archE910ELNS1_3gpuE8ELNS1_3repE0EEENS1_30default_config_static_selectorELNS0_4arch9wavefront6targetE0EEEvT1_.has_indirect_call, 0
	.section	.AMDGPU.csdata,"",@progbits
; Kernel info:
; codeLenInByte = 0
; TotalNumSgprs: 0
; NumVgprs: 0
; ScratchSize: 0
; MemoryBound: 0
; FloatMode: 240
; IeeeMode: 1
; LDSByteSize: 0 bytes/workgroup (compile time only)
; SGPRBlocks: 0
; VGPRBlocks: 0
; NumSGPRsForWavesPerEU: 1
; NumVGPRsForWavesPerEU: 1
; Occupancy: 16
; WaveLimiterHint : 0
; COMPUTE_PGM_RSRC2:SCRATCH_EN: 0
; COMPUTE_PGM_RSRC2:USER_SGPR: 2
; COMPUTE_PGM_RSRC2:TRAP_HANDLER: 0
; COMPUTE_PGM_RSRC2:TGID_X_EN: 1
; COMPUTE_PGM_RSRC2:TGID_Y_EN: 0
; COMPUTE_PGM_RSRC2:TGID_Z_EN: 0
; COMPUTE_PGM_RSRC2:TIDIG_COMP_CNT: 0
	.section	.text._ZN7rocprim17ROCPRIM_400000_NS6detail17trampoline_kernelINS0_14default_configENS1_25partition_config_selectorILNS1_17partition_subalgoE5EfNS0_10empty_typeEbEEZZNS1_14partition_implILS5_5ELb0ES3_mN6thrust23THRUST_200600_302600_NS6detail15normal_iteratorINSA_10device_ptrIfEEEEPS6_NSA_18transform_iteratorINSB_9not_fun_tI7is_trueIfEEESF_NSA_11use_defaultESM_EENS0_5tupleIJSF_S6_EEENSO_IJSG_SG_EEES6_PlJS6_EEE10hipError_tPvRmT3_T4_T5_T6_T7_T9_mT8_P12ihipStream_tbDpT10_ENKUlT_T0_E_clISt17integral_constantIbLb0EES1B_EEDaS16_S17_EUlS16_E_NS1_11comp_targetILNS1_3genE3ELNS1_11target_archE908ELNS1_3gpuE7ELNS1_3repE0EEENS1_30default_config_static_selectorELNS0_4arch9wavefront6targetE0EEEvT1_,"axG",@progbits,_ZN7rocprim17ROCPRIM_400000_NS6detail17trampoline_kernelINS0_14default_configENS1_25partition_config_selectorILNS1_17partition_subalgoE5EfNS0_10empty_typeEbEEZZNS1_14partition_implILS5_5ELb0ES3_mN6thrust23THRUST_200600_302600_NS6detail15normal_iteratorINSA_10device_ptrIfEEEEPS6_NSA_18transform_iteratorINSB_9not_fun_tI7is_trueIfEEESF_NSA_11use_defaultESM_EENS0_5tupleIJSF_S6_EEENSO_IJSG_SG_EEES6_PlJS6_EEE10hipError_tPvRmT3_T4_T5_T6_T7_T9_mT8_P12ihipStream_tbDpT10_ENKUlT_T0_E_clISt17integral_constantIbLb0EES1B_EEDaS16_S17_EUlS16_E_NS1_11comp_targetILNS1_3genE3ELNS1_11target_archE908ELNS1_3gpuE7ELNS1_3repE0EEENS1_30default_config_static_selectorELNS0_4arch9wavefront6targetE0EEEvT1_,comdat
	.protected	_ZN7rocprim17ROCPRIM_400000_NS6detail17trampoline_kernelINS0_14default_configENS1_25partition_config_selectorILNS1_17partition_subalgoE5EfNS0_10empty_typeEbEEZZNS1_14partition_implILS5_5ELb0ES3_mN6thrust23THRUST_200600_302600_NS6detail15normal_iteratorINSA_10device_ptrIfEEEEPS6_NSA_18transform_iteratorINSB_9not_fun_tI7is_trueIfEEESF_NSA_11use_defaultESM_EENS0_5tupleIJSF_S6_EEENSO_IJSG_SG_EEES6_PlJS6_EEE10hipError_tPvRmT3_T4_T5_T6_T7_T9_mT8_P12ihipStream_tbDpT10_ENKUlT_T0_E_clISt17integral_constantIbLb0EES1B_EEDaS16_S17_EUlS16_E_NS1_11comp_targetILNS1_3genE3ELNS1_11target_archE908ELNS1_3gpuE7ELNS1_3repE0EEENS1_30default_config_static_selectorELNS0_4arch9wavefront6targetE0EEEvT1_ ; -- Begin function _ZN7rocprim17ROCPRIM_400000_NS6detail17trampoline_kernelINS0_14default_configENS1_25partition_config_selectorILNS1_17partition_subalgoE5EfNS0_10empty_typeEbEEZZNS1_14partition_implILS5_5ELb0ES3_mN6thrust23THRUST_200600_302600_NS6detail15normal_iteratorINSA_10device_ptrIfEEEEPS6_NSA_18transform_iteratorINSB_9not_fun_tI7is_trueIfEEESF_NSA_11use_defaultESM_EENS0_5tupleIJSF_S6_EEENSO_IJSG_SG_EEES6_PlJS6_EEE10hipError_tPvRmT3_T4_T5_T6_T7_T9_mT8_P12ihipStream_tbDpT10_ENKUlT_T0_E_clISt17integral_constantIbLb0EES1B_EEDaS16_S17_EUlS16_E_NS1_11comp_targetILNS1_3genE3ELNS1_11target_archE908ELNS1_3gpuE7ELNS1_3repE0EEENS1_30default_config_static_selectorELNS0_4arch9wavefront6targetE0EEEvT1_
	.globl	_ZN7rocprim17ROCPRIM_400000_NS6detail17trampoline_kernelINS0_14default_configENS1_25partition_config_selectorILNS1_17partition_subalgoE5EfNS0_10empty_typeEbEEZZNS1_14partition_implILS5_5ELb0ES3_mN6thrust23THRUST_200600_302600_NS6detail15normal_iteratorINSA_10device_ptrIfEEEEPS6_NSA_18transform_iteratorINSB_9not_fun_tI7is_trueIfEEESF_NSA_11use_defaultESM_EENS0_5tupleIJSF_S6_EEENSO_IJSG_SG_EEES6_PlJS6_EEE10hipError_tPvRmT3_T4_T5_T6_T7_T9_mT8_P12ihipStream_tbDpT10_ENKUlT_T0_E_clISt17integral_constantIbLb0EES1B_EEDaS16_S17_EUlS16_E_NS1_11comp_targetILNS1_3genE3ELNS1_11target_archE908ELNS1_3gpuE7ELNS1_3repE0EEENS1_30default_config_static_selectorELNS0_4arch9wavefront6targetE0EEEvT1_
	.p2align	8
	.type	_ZN7rocprim17ROCPRIM_400000_NS6detail17trampoline_kernelINS0_14default_configENS1_25partition_config_selectorILNS1_17partition_subalgoE5EfNS0_10empty_typeEbEEZZNS1_14partition_implILS5_5ELb0ES3_mN6thrust23THRUST_200600_302600_NS6detail15normal_iteratorINSA_10device_ptrIfEEEEPS6_NSA_18transform_iteratorINSB_9not_fun_tI7is_trueIfEEESF_NSA_11use_defaultESM_EENS0_5tupleIJSF_S6_EEENSO_IJSG_SG_EEES6_PlJS6_EEE10hipError_tPvRmT3_T4_T5_T6_T7_T9_mT8_P12ihipStream_tbDpT10_ENKUlT_T0_E_clISt17integral_constantIbLb0EES1B_EEDaS16_S17_EUlS16_E_NS1_11comp_targetILNS1_3genE3ELNS1_11target_archE908ELNS1_3gpuE7ELNS1_3repE0EEENS1_30default_config_static_selectorELNS0_4arch9wavefront6targetE0EEEvT1_,@function
_ZN7rocprim17ROCPRIM_400000_NS6detail17trampoline_kernelINS0_14default_configENS1_25partition_config_selectorILNS1_17partition_subalgoE5EfNS0_10empty_typeEbEEZZNS1_14partition_implILS5_5ELb0ES3_mN6thrust23THRUST_200600_302600_NS6detail15normal_iteratorINSA_10device_ptrIfEEEEPS6_NSA_18transform_iteratorINSB_9not_fun_tI7is_trueIfEEESF_NSA_11use_defaultESM_EENS0_5tupleIJSF_S6_EEENSO_IJSG_SG_EEES6_PlJS6_EEE10hipError_tPvRmT3_T4_T5_T6_T7_T9_mT8_P12ihipStream_tbDpT10_ENKUlT_T0_E_clISt17integral_constantIbLb0EES1B_EEDaS16_S17_EUlS16_E_NS1_11comp_targetILNS1_3genE3ELNS1_11target_archE908ELNS1_3gpuE7ELNS1_3repE0EEENS1_30default_config_static_selectorELNS0_4arch9wavefront6targetE0EEEvT1_: ; @_ZN7rocprim17ROCPRIM_400000_NS6detail17trampoline_kernelINS0_14default_configENS1_25partition_config_selectorILNS1_17partition_subalgoE5EfNS0_10empty_typeEbEEZZNS1_14partition_implILS5_5ELb0ES3_mN6thrust23THRUST_200600_302600_NS6detail15normal_iteratorINSA_10device_ptrIfEEEEPS6_NSA_18transform_iteratorINSB_9not_fun_tI7is_trueIfEEESF_NSA_11use_defaultESM_EENS0_5tupleIJSF_S6_EEENSO_IJSG_SG_EEES6_PlJS6_EEE10hipError_tPvRmT3_T4_T5_T6_T7_T9_mT8_P12ihipStream_tbDpT10_ENKUlT_T0_E_clISt17integral_constantIbLb0EES1B_EEDaS16_S17_EUlS16_E_NS1_11comp_targetILNS1_3genE3ELNS1_11target_archE908ELNS1_3gpuE7ELNS1_3repE0EEENS1_30default_config_static_selectorELNS0_4arch9wavefront6targetE0EEEvT1_
; %bb.0:
	.section	.rodata,"a",@progbits
	.p2align	6, 0x0
	.amdhsa_kernel _ZN7rocprim17ROCPRIM_400000_NS6detail17trampoline_kernelINS0_14default_configENS1_25partition_config_selectorILNS1_17partition_subalgoE5EfNS0_10empty_typeEbEEZZNS1_14partition_implILS5_5ELb0ES3_mN6thrust23THRUST_200600_302600_NS6detail15normal_iteratorINSA_10device_ptrIfEEEEPS6_NSA_18transform_iteratorINSB_9not_fun_tI7is_trueIfEEESF_NSA_11use_defaultESM_EENS0_5tupleIJSF_S6_EEENSO_IJSG_SG_EEES6_PlJS6_EEE10hipError_tPvRmT3_T4_T5_T6_T7_T9_mT8_P12ihipStream_tbDpT10_ENKUlT_T0_E_clISt17integral_constantIbLb0EES1B_EEDaS16_S17_EUlS16_E_NS1_11comp_targetILNS1_3genE3ELNS1_11target_archE908ELNS1_3gpuE7ELNS1_3repE0EEENS1_30default_config_static_selectorELNS0_4arch9wavefront6targetE0EEEvT1_
		.amdhsa_group_segment_fixed_size 0
		.amdhsa_private_segment_fixed_size 0
		.amdhsa_kernarg_size 120
		.amdhsa_user_sgpr_count 2
		.amdhsa_user_sgpr_dispatch_ptr 0
		.amdhsa_user_sgpr_queue_ptr 0
		.amdhsa_user_sgpr_kernarg_segment_ptr 1
		.amdhsa_user_sgpr_dispatch_id 0
		.amdhsa_user_sgpr_private_segment_size 0
		.amdhsa_wavefront_size32 1
		.amdhsa_uses_dynamic_stack 0
		.amdhsa_enable_private_segment 0
		.amdhsa_system_sgpr_workgroup_id_x 1
		.amdhsa_system_sgpr_workgroup_id_y 0
		.amdhsa_system_sgpr_workgroup_id_z 0
		.amdhsa_system_sgpr_workgroup_info 0
		.amdhsa_system_vgpr_workitem_id 0
		.amdhsa_next_free_vgpr 1
		.amdhsa_next_free_sgpr 1
		.amdhsa_reserve_vcc 0
		.amdhsa_float_round_mode_32 0
		.amdhsa_float_round_mode_16_64 0
		.amdhsa_float_denorm_mode_32 3
		.amdhsa_float_denorm_mode_16_64 3
		.amdhsa_fp16_overflow 0
		.amdhsa_workgroup_processor_mode 1
		.amdhsa_memory_ordered 1
		.amdhsa_forward_progress 1
		.amdhsa_inst_pref_size 0
		.amdhsa_round_robin_scheduling 0
		.amdhsa_exception_fp_ieee_invalid_op 0
		.amdhsa_exception_fp_denorm_src 0
		.amdhsa_exception_fp_ieee_div_zero 0
		.amdhsa_exception_fp_ieee_overflow 0
		.amdhsa_exception_fp_ieee_underflow 0
		.amdhsa_exception_fp_ieee_inexact 0
		.amdhsa_exception_int_div_zero 0
	.end_amdhsa_kernel
	.section	.text._ZN7rocprim17ROCPRIM_400000_NS6detail17trampoline_kernelINS0_14default_configENS1_25partition_config_selectorILNS1_17partition_subalgoE5EfNS0_10empty_typeEbEEZZNS1_14partition_implILS5_5ELb0ES3_mN6thrust23THRUST_200600_302600_NS6detail15normal_iteratorINSA_10device_ptrIfEEEEPS6_NSA_18transform_iteratorINSB_9not_fun_tI7is_trueIfEEESF_NSA_11use_defaultESM_EENS0_5tupleIJSF_S6_EEENSO_IJSG_SG_EEES6_PlJS6_EEE10hipError_tPvRmT3_T4_T5_T6_T7_T9_mT8_P12ihipStream_tbDpT10_ENKUlT_T0_E_clISt17integral_constantIbLb0EES1B_EEDaS16_S17_EUlS16_E_NS1_11comp_targetILNS1_3genE3ELNS1_11target_archE908ELNS1_3gpuE7ELNS1_3repE0EEENS1_30default_config_static_selectorELNS0_4arch9wavefront6targetE0EEEvT1_,"axG",@progbits,_ZN7rocprim17ROCPRIM_400000_NS6detail17trampoline_kernelINS0_14default_configENS1_25partition_config_selectorILNS1_17partition_subalgoE5EfNS0_10empty_typeEbEEZZNS1_14partition_implILS5_5ELb0ES3_mN6thrust23THRUST_200600_302600_NS6detail15normal_iteratorINSA_10device_ptrIfEEEEPS6_NSA_18transform_iteratorINSB_9not_fun_tI7is_trueIfEEESF_NSA_11use_defaultESM_EENS0_5tupleIJSF_S6_EEENSO_IJSG_SG_EEES6_PlJS6_EEE10hipError_tPvRmT3_T4_T5_T6_T7_T9_mT8_P12ihipStream_tbDpT10_ENKUlT_T0_E_clISt17integral_constantIbLb0EES1B_EEDaS16_S17_EUlS16_E_NS1_11comp_targetILNS1_3genE3ELNS1_11target_archE908ELNS1_3gpuE7ELNS1_3repE0EEENS1_30default_config_static_selectorELNS0_4arch9wavefront6targetE0EEEvT1_,comdat
.Lfunc_end1338:
	.size	_ZN7rocprim17ROCPRIM_400000_NS6detail17trampoline_kernelINS0_14default_configENS1_25partition_config_selectorILNS1_17partition_subalgoE5EfNS0_10empty_typeEbEEZZNS1_14partition_implILS5_5ELb0ES3_mN6thrust23THRUST_200600_302600_NS6detail15normal_iteratorINSA_10device_ptrIfEEEEPS6_NSA_18transform_iteratorINSB_9not_fun_tI7is_trueIfEEESF_NSA_11use_defaultESM_EENS0_5tupleIJSF_S6_EEENSO_IJSG_SG_EEES6_PlJS6_EEE10hipError_tPvRmT3_T4_T5_T6_T7_T9_mT8_P12ihipStream_tbDpT10_ENKUlT_T0_E_clISt17integral_constantIbLb0EES1B_EEDaS16_S17_EUlS16_E_NS1_11comp_targetILNS1_3genE3ELNS1_11target_archE908ELNS1_3gpuE7ELNS1_3repE0EEENS1_30default_config_static_selectorELNS0_4arch9wavefront6targetE0EEEvT1_, .Lfunc_end1338-_ZN7rocprim17ROCPRIM_400000_NS6detail17trampoline_kernelINS0_14default_configENS1_25partition_config_selectorILNS1_17partition_subalgoE5EfNS0_10empty_typeEbEEZZNS1_14partition_implILS5_5ELb0ES3_mN6thrust23THRUST_200600_302600_NS6detail15normal_iteratorINSA_10device_ptrIfEEEEPS6_NSA_18transform_iteratorINSB_9not_fun_tI7is_trueIfEEESF_NSA_11use_defaultESM_EENS0_5tupleIJSF_S6_EEENSO_IJSG_SG_EEES6_PlJS6_EEE10hipError_tPvRmT3_T4_T5_T6_T7_T9_mT8_P12ihipStream_tbDpT10_ENKUlT_T0_E_clISt17integral_constantIbLb0EES1B_EEDaS16_S17_EUlS16_E_NS1_11comp_targetILNS1_3genE3ELNS1_11target_archE908ELNS1_3gpuE7ELNS1_3repE0EEENS1_30default_config_static_selectorELNS0_4arch9wavefront6targetE0EEEvT1_
                                        ; -- End function
	.set _ZN7rocprim17ROCPRIM_400000_NS6detail17trampoline_kernelINS0_14default_configENS1_25partition_config_selectorILNS1_17partition_subalgoE5EfNS0_10empty_typeEbEEZZNS1_14partition_implILS5_5ELb0ES3_mN6thrust23THRUST_200600_302600_NS6detail15normal_iteratorINSA_10device_ptrIfEEEEPS6_NSA_18transform_iteratorINSB_9not_fun_tI7is_trueIfEEESF_NSA_11use_defaultESM_EENS0_5tupleIJSF_S6_EEENSO_IJSG_SG_EEES6_PlJS6_EEE10hipError_tPvRmT3_T4_T5_T6_T7_T9_mT8_P12ihipStream_tbDpT10_ENKUlT_T0_E_clISt17integral_constantIbLb0EES1B_EEDaS16_S17_EUlS16_E_NS1_11comp_targetILNS1_3genE3ELNS1_11target_archE908ELNS1_3gpuE7ELNS1_3repE0EEENS1_30default_config_static_selectorELNS0_4arch9wavefront6targetE0EEEvT1_.num_vgpr, 0
	.set _ZN7rocprim17ROCPRIM_400000_NS6detail17trampoline_kernelINS0_14default_configENS1_25partition_config_selectorILNS1_17partition_subalgoE5EfNS0_10empty_typeEbEEZZNS1_14partition_implILS5_5ELb0ES3_mN6thrust23THRUST_200600_302600_NS6detail15normal_iteratorINSA_10device_ptrIfEEEEPS6_NSA_18transform_iteratorINSB_9not_fun_tI7is_trueIfEEESF_NSA_11use_defaultESM_EENS0_5tupleIJSF_S6_EEENSO_IJSG_SG_EEES6_PlJS6_EEE10hipError_tPvRmT3_T4_T5_T6_T7_T9_mT8_P12ihipStream_tbDpT10_ENKUlT_T0_E_clISt17integral_constantIbLb0EES1B_EEDaS16_S17_EUlS16_E_NS1_11comp_targetILNS1_3genE3ELNS1_11target_archE908ELNS1_3gpuE7ELNS1_3repE0EEENS1_30default_config_static_selectorELNS0_4arch9wavefront6targetE0EEEvT1_.num_agpr, 0
	.set _ZN7rocprim17ROCPRIM_400000_NS6detail17trampoline_kernelINS0_14default_configENS1_25partition_config_selectorILNS1_17partition_subalgoE5EfNS0_10empty_typeEbEEZZNS1_14partition_implILS5_5ELb0ES3_mN6thrust23THRUST_200600_302600_NS6detail15normal_iteratorINSA_10device_ptrIfEEEEPS6_NSA_18transform_iteratorINSB_9not_fun_tI7is_trueIfEEESF_NSA_11use_defaultESM_EENS0_5tupleIJSF_S6_EEENSO_IJSG_SG_EEES6_PlJS6_EEE10hipError_tPvRmT3_T4_T5_T6_T7_T9_mT8_P12ihipStream_tbDpT10_ENKUlT_T0_E_clISt17integral_constantIbLb0EES1B_EEDaS16_S17_EUlS16_E_NS1_11comp_targetILNS1_3genE3ELNS1_11target_archE908ELNS1_3gpuE7ELNS1_3repE0EEENS1_30default_config_static_selectorELNS0_4arch9wavefront6targetE0EEEvT1_.numbered_sgpr, 0
	.set _ZN7rocprim17ROCPRIM_400000_NS6detail17trampoline_kernelINS0_14default_configENS1_25partition_config_selectorILNS1_17partition_subalgoE5EfNS0_10empty_typeEbEEZZNS1_14partition_implILS5_5ELb0ES3_mN6thrust23THRUST_200600_302600_NS6detail15normal_iteratorINSA_10device_ptrIfEEEEPS6_NSA_18transform_iteratorINSB_9not_fun_tI7is_trueIfEEESF_NSA_11use_defaultESM_EENS0_5tupleIJSF_S6_EEENSO_IJSG_SG_EEES6_PlJS6_EEE10hipError_tPvRmT3_T4_T5_T6_T7_T9_mT8_P12ihipStream_tbDpT10_ENKUlT_T0_E_clISt17integral_constantIbLb0EES1B_EEDaS16_S17_EUlS16_E_NS1_11comp_targetILNS1_3genE3ELNS1_11target_archE908ELNS1_3gpuE7ELNS1_3repE0EEENS1_30default_config_static_selectorELNS0_4arch9wavefront6targetE0EEEvT1_.num_named_barrier, 0
	.set _ZN7rocprim17ROCPRIM_400000_NS6detail17trampoline_kernelINS0_14default_configENS1_25partition_config_selectorILNS1_17partition_subalgoE5EfNS0_10empty_typeEbEEZZNS1_14partition_implILS5_5ELb0ES3_mN6thrust23THRUST_200600_302600_NS6detail15normal_iteratorINSA_10device_ptrIfEEEEPS6_NSA_18transform_iteratorINSB_9not_fun_tI7is_trueIfEEESF_NSA_11use_defaultESM_EENS0_5tupleIJSF_S6_EEENSO_IJSG_SG_EEES6_PlJS6_EEE10hipError_tPvRmT3_T4_T5_T6_T7_T9_mT8_P12ihipStream_tbDpT10_ENKUlT_T0_E_clISt17integral_constantIbLb0EES1B_EEDaS16_S17_EUlS16_E_NS1_11comp_targetILNS1_3genE3ELNS1_11target_archE908ELNS1_3gpuE7ELNS1_3repE0EEENS1_30default_config_static_selectorELNS0_4arch9wavefront6targetE0EEEvT1_.private_seg_size, 0
	.set _ZN7rocprim17ROCPRIM_400000_NS6detail17trampoline_kernelINS0_14default_configENS1_25partition_config_selectorILNS1_17partition_subalgoE5EfNS0_10empty_typeEbEEZZNS1_14partition_implILS5_5ELb0ES3_mN6thrust23THRUST_200600_302600_NS6detail15normal_iteratorINSA_10device_ptrIfEEEEPS6_NSA_18transform_iteratorINSB_9not_fun_tI7is_trueIfEEESF_NSA_11use_defaultESM_EENS0_5tupleIJSF_S6_EEENSO_IJSG_SG_EEES6_PlJS6_EEE10hipError_tPvRmT3_T4_T5_T6_T7_T9_mT8_P12ihipStream_tbDpT10_ENKUlT_T0_E_clISt17integral_constantIbLb0EES1B_EEDaS16_S17_EUlS16_E_NS1_11comp_targetILNS1_3genE3ELNS1_11target_archE908ELNS1_3gpuE7ELNS1_3repE0EEENS1_30default_config_static_selectorELNS0_4arch9wavefront6targetE0EEEvT1_.uses_vcc, 0
	.set _ZN7rocprim17ROCPRIM_400000_NS6detail17trampoline_kernelINS0_14default_configENS1_25partition_config_selectorILNS1_17partition_subalgoE5EfNS0_10empty_typeEbEEZZNS1_14partition_implILS5_5ELb0ES3_mN6thrust23THRUST_200600_302600_NS6detail15normal_iteratorINSA_10device_ptrIfEEEEPS6_NSA_18transform_iteratorINSB_9not_fun_tI7is_trueIfEEESF_NSA_11use_defaultESM_EENS0_5tupleIJSF_S6_EEENSO_IJSG_SG_EEES6_PlJS6_EEE10hipError_tPvRmT3_T4_T5_T6_T7_T9_mT8_P12ihipStream_tbDpT10_ENKUlT_T0_E_clISt17integral_constantIbLb0EES1B_EEDaS16_S17_EUlS16_E_NS1_11comp_targetILNS1_3genE3ELNS1_11target_archE908ELNS1_3gpuE7ELNS1_3repE0EEENS1_30default_config_static_selectorELNS0_4arch9wavefront6targetE0EEEvT1_.uses_flat_scratch, 0
	.set _ZN7rocprim17ROCPRIM_400000_NS6detail17trampoline_kernelINS0_14default_configENS1_25partition_config_selectorILNS1_17partition_subalgoE5EfNS0_10empty_typeEbEEZZNS1_14partition_implILS5_5ELb0ES3_mN6thrust23THRUST_200600_302600_NS6detail15normal_iteratorINSA_10device_ptrIfEEEEPS6_NSA_18transform_iteratorINSB_9not_fun_tI7is_trueIfEEESF_NSA_11use_defaultESM_EENS0_5tupleIJSF_S6_EEENSO_IJSG_SG_EEES6_PlJS6_EEE10hipError_tPvRmT3_T4_T5_T6_T7_T9_mT8_P12ihipStream_tbDpT10_ENKUlT_T0_E_clISt17integral_constantIbLb0EES1B_EEDaS16_S17_EUlS16_E_NS1_11comp_targetILNS1_3genE3ELNS1_11target_archE908ELNS1_3gpuE7ELNS1_3repE0EEENS1_30default_config_static_selectorELNS0_4arch9wavefront6targetE0EEEvT1_.has_dyn_sized_stack, 0
	.set _ZN7rocprim17ROCPRIM_400000_NS6detail17trampoline_kernelINS0_14default_configENS1_25partition_config_selectorILNS1_17partition_subalgoE5EfNS0_10empty_typeEbEEZZNS1_14partition_implILS5_5ELb0ES3_mN6thrust23THRUST_200600_302600_NS6detail15normal_iteratorINSA_10device_ptrIfEEEEPS6_NSA_18transform_iteratorINSB_9not_fun_tI7is_trueIfEEESF_NSA_11use_defaultESM_EENS0_5tupleIJSF_S6_EEENSO_IJSG_SG_EEES6_PlJS6_EEE10hipError_tPvRmT3_T4_T5_T6_T7_T9_mT8_P12ihipStream_tbDpT10_ENKUlT_T0_E_clISt17integral_constantIbLb0EES1B_EEDaS16_S17_EUlS16_E_NS1_11comp_targetILNS1_3genE3ELNS1_11target_archE908ELNS1_3gpuE7ELNS1_3repE0EEENS1_30default_config_static_selectorELNS0_4arch9wavefront6targetE0EEEvT1_.has_recursion, 0
	.set _ZN7rocprim17ROCPRIM_400000_NS6detail17trampoline_kernelINS0_14default_configENS1_25partition_config_selectorILNS1_17partition_subalgoE5EfNS0_10empty_typeEbEEZZNS1_14partition_implILS5_5ELb0ES3_mN6thrust23THRUST_200600_302600_NS6detail15normal_iteratorINSA_10device_ptrIfEEEEPS6_NSA_18transform_iteratorINSB_9not_fun_tI7is_trueIfEEESF_NSA_11use_defaultESM_EENS0_5tupleIJSF_S6_EEENSO_IJSG_SG_EEES6_PlJS6_EEE10hipError_tPvRmT3_T4_T5_T6_T7_T9_mT8_P12ihipStream_tbDpT10_ENKUlT_T0_E_clISt17integral_constantIbLb0EES1B_EEDaS16_S17_EUlS16_E_NS1_11comp_targetILNS1_3genE3ELNS1_11target_archE908ELNS1_3gpuE7ELNS1_3repE0EEENS1_30default_config_static_selectorELNS0_4arch9wavefront6targetE0EEEvT1_.has_indirect_call, 0
	.section	.AMDGPU.csdata,"",@progbits
; Kernel info:
; codeLenInByte = 0
; TotalNumSgprs: 0
; NumVgprs: 0
; ScratchSize: 0
; MemoryBound: 0
; FloatMode: 240
; IeeeMode: 1
; LDSByteSize: 0 bytes/workgroup (compile time only)
; SGPRBlocks: 0
; VGPRBlocks: 0
; NumSGPRsForWavesPerEU: 1
; NumVGPRsForWavesPerEU: 1
; Occupancy: 16
; WaveLimiterHint : 0
; COMPUTE_PGM_RSRC2:SCRATCH_EN: 0
; COMPUTE_PGM_RSRC2:USER_SGPR: 2
; COMPUTE_PGM_RSRC2:TRAP_HANDLER: 0
; COMPUTE_PGM_RSRC2:TGID_X_EN: 1
; COMPUTE_PGM_RSRC2:TGID_Y_EN: 0
; COMPUTE_PGM_RSRC2:TGID_Z_EN: 0
; COMPUTE_PGM_RSRC2:TIDIG_COMP_CNT: 0
	.section	.text._ZN7rocprim17ROCPRIM_400000_NS6detail17trampoline_kernelINS0_14default_configENS1_25partition_config_selectorILNS1_17partition_subalgoE5EfNS0_10empty_typeEbEEZZNS1_14partition_implILS5_5ELb0ES3_mN6thrust23THRUST_200600_302600_NS6detail15normal_iteratorINSA_10device_ptrIfEEEEPS6_NSA_18transform_iteratorINSB_9not_fun_tI7is_trueIfEEESF_NSA_11use_defaultESM_EENS0_5tupleIJSF_S6_EEENSO_IJSG_SG_EEES6_PlJS6_EEE10hipError_tPvRmT3_T4_T5_T6_T7_T9_mT8_P12ihipStream_tbDpT10_ENKUlT_T0_E_clISt17integral_constantIbLb0EES1B_EEDaS16_S17_EUlS16_E_NS1_11comp_targetILNS1_3genE2ELNS1_11target_archE906ELNS1_3gpuE6ELNS1_3repE0EEENS1_30default_config_static_selectorELNS0_4arch9wavefront6targetE0EEEvT1_,"axG",@progbits,_ZN7rocprim17ROCPRIM_400000_NS6detail17trampoline_kernelINS0_14default_configENS1_25partition_config_selectorILNS1_17partition_subalgoE5EfNS0_10empty_typeEbEEZZNS1_14partition_implILS5_5ELb0ES3_mN6thrust23THRUST_200600_302600_NS6detail15normal_iteratorINSA_10device_ptrIfEEEEPS6_NSA_18transform_iteratorINSB_9not_fun_tI7is_trueIfEEESF_NSA_11use_defaultESM_EENS0_5tupleIJSF_S6_EEENSO_IJSG_SG_EEES6_PlJS6_EEE10hipError_tPvRmT3_T4_T5_T6_T7_T9_mT8_P12ihipStream_tbDpT10_ENKUlT_T0_E_clISt17integral_constantIbLb0EES1B_EEDaS16_S17_EUlS16_E_NS1_11comp_targetILNS1_3genE2ELNS1_11target_archE906ELNS1_3gpuE6ELNS1_3repE0EEENS1_30default_config_static_selectorELNS0_4arch9wavefront6targetE0EEEvT1_,comdat
	.protected	_ZN7rocprim17ROCPRIM_400000_NS6detail17trampoline_kernelINS0_14default_configENS1_25partition_config_selectorILNS1_17partition_subalgoE5EfNS0_10empty_typeEbEEZZNS1_14partition_implILS5_5ELb0ES3_mN6thrust23THRUST_200600_302600_NS6detail15normal_iteratorINSA_10device_ptrIfEEEEPS6_NSA_18transform_iteratorINSB_9not_fun_tI7is_trueIfEEESF_NSA_11use_defaultESM_EENS0_5tupleIJSF_S6_EEENSO_IJSG_SG_EEES6_PlJS6_EEE10hipError_tPvRmT3_T4_T5_T6_T7_T9_mT8_P12ihipStream_tbDpT10_ENKUlT_T0_E_clISt17integral_constantIbLb0EES1B_EEDaS16_S17_EUlS16_E_NS1_11comp_targetILNS1_3genE2ELNS1_11target_archE906ELNS1_3gpuE6ELNS1_3repE0EEENS1_30default_config_static_selectorELNS0_4arch9wavefront6targetE0EEEvT1_ ; -- Begin function _ZN7rocprim17ROCPRIM_400000_NS6detail17trampoline_kernelINS0_14default_configENS1_25partition_config_selectorILNS1_17partition_subalgoE5EfNS0_10empty_typeEbEEZZNS1_14partition_implILS5_5ELb0ES3_mN6thrust23THRUST_200600_302600_NS6detail15normal_iteratorINSA_10device_ptrIfEEEEPS6_NSA_18transform_iteratorINSB_9not_fun_tI7is_trueIfEEESF_NSA_11use_defaultESM_EENS0_5tupleIJSF_S6_EEENSO_IJSG_SG_EEES6_PlJS6_EEE10hipError_tPvRmT3_T4_T5_T6_T7_T9_mT8_P12ihipStream_tbDpT10_ENKUlT_T0_E_clISt17integral_constantIbLb0EES1B_EEDaS16_S17_EUlS16_E_NS1_11comp_targetILNS1_3genE2ELNS1_11target_archE906ELNS1_3gpuE6ELNS1_3repE0EEENS1_30default_config_static_selectorELNS0_4arch9wavefront6targetE0EEEvT1_
	.globl	_ZN7rocprim17ROCPRIM_400000_NS6detail17trampoline_kernelINS0_14default_configENS1_25partition_config_selectorILNS1_17partition_subalgoE5EfNS0_10empty_typeEbEEZZNS1_14partition_implILS5_5ELb0ES3_mN6thrust23THRUST_200600_302600_NS6detail15normal_iteratorINSA_10device_ptrIfEEEEPS6_NSA_18transform_iteratorINSB_9not_fun_tI7is_trueIfEEESF_NSA_11use_defaultESM_EENS0_5tupleIJSF_S6_EEENSO_IJSG_SG_EEES6_PlJS6_EEE10hipError_tPvRmT3_T4_T5_T6_T7_T9_mT8_P12ihipStream_tbDpT10_ENKUlT_T0_E_clISt17integral_constantIbLb0EES1B_EEDaS16_S17_EUlS16_E_NS1_11comp_targetILNS1_3genE2ELNS1_11target_archE906ELNS1_3gpuE6ELNS1_3repE0EEENS1_30default_config_static_selectorELNS0_4arch9wavefront6targetE0EEEvT1_
	.p2align	8
	.type	_ZN7rocprim17ROCPRIM_400000_NS6detail17trampoline_kernelINS0_14default_configENS1_25partition_config_selectorILNS1_17partition_subalgoE5EfNS0_10empty_typeEbEEZZNS1_14partition_implILS5_5ELb0ES3_mN6thrust23THRUST_200600_302600_NS6detail15normal_iteratorINSA_10device_ptrIfEEEEPS6_NSA_18transform_iteratorINSB_9not_fun_tI7is_trueIfEEESF_NSA_11use_defaultESM_EENS0_5tupleIJSF_S6_EEENSO_IJSG_SG_EEES6_PlJS6_EEE10hipError_tPvRmT3_T4_T5_T6_T7_T9_mT8_P12ihipStream_tbDpT10_ENKUlT_T0_E_clISt17integral_constantIbLb0EES1B_EEDaS16_S17_EUlS16_E_NS1_11comp_targetILNS1_3genE2ELNS1_11target_archE906ELNS1_3gpuE6ELNS1_3repE0EEENS1_30default_config_static_selectorELNS0_4arch9wavefront6targetE0EEEvT1_,@function
_ZN7rocprim17ROCPRIM_400000_NS6detail17trampoline_kernelINS0_14default_configENS1_25partition_config_selectorILNS1_17partition_subalgoE5EfNS0_10empty_typeEbEEZZNS1_14partition_implILS5_5ELb0ES3_mN6thrust23THRUST_200600_302600_NS6detail15normal_iteratorINSA_10device_ptrIfEEEEPS6_NSA_18transform_iteratorINSB_9not_fun_tI7is_trueIfEEESF_NSA_11use_defaultESM_EENS0_5tupleIJSF_S6_EEENSO_IJSG_SG_EEES6_PlJS6_EEE10hipError_tPvRmT3_T4_T5_T6_T7_T9_mT8_P12ihipStream_tbDpT10_ENKUlT_T0_E_clISt17integral_constantIbLb0EES1B_EEDaS16_S17_EUlS16_E_NS1_11comp_targetILNS1_3genE2ELNS1_11target_archE906ELNS1_3gpuE6ELNS1_3repE0EEENS1_30default_config_static_selectorELNS0_4arch9wavefront6targetE0EEEvT1_: ; @_ZN7rocprim17ROCPRIM_400000_NS6detail17trampoline_kernelINS0_14default_configENS1_25partition_config_selectorILNS1_17partition_subalgoE5EfNS0_10empty_typeEbEEZZNS1_14partition_implILS5_5ELb0ES3_mN6thrust23THRUST_200600_302600_NS6detail15normal_iteratorINSA_10device_ptrIfEEEEPS6_NSA_18transform_iteratorINSB_9not_fun_tI7is_trueIfEEESF_NSA_11use_defaultESM_EENS0_5tupleIJSF_S6_EEENSO_IJSG_SG_EEES6_PlJS6_EEE10hipError_tPvRmT3_T4_T5_T6_T7_T9_mT8_P12ihipStream_tbDpT10_ENKUlT_T0_E_clISt17integral_constantIbLb0EES1B_EEDaS16_S17_EUlS16_E_NS1_11comp_targetILNS1_3genE2ELNS1_11target_archE906ELNS1_3gpuE6ELNS1_3repE0EEENS1_30default_config_static_selectorELNS0_4arch9wavefront6targetE0EEEvT1_
; %bb.0:
	.section	.rodata,"a",@progbits
	.p2align	6, 0x0
	.amdhsa_kernel _ZN7rocprim17ROCPRIM_400000_NS6detail17trampoline_kernelINS0_14default_configENS1_25partition_config_selectorILNS1_17partition_subalgoE5EfNS0_10empty_typeEbEEZZNS1_14partition_implILS5_5ELb0ES3_mN6thrust23THRUST_200600_302600_NS6detail15normal_iteratorINSA_10device_ptrIfEEEEPS6_NSA_18transform_iteratorINSB_9not_fun_tI7is_trueIfEEESF_NSA_11use_defaultESM_EENS0_5tupleIJSF_S6_EEENSO_IJSG_SG_EEES6_PlJS6_EEE10hipError_tPvRmT3_T4_T5_T6_T7_T9_mT8_P12ihipStream_tbDpT10_ENKUlT_T0_E_clISt17integral_constantIbLb0EES1B_EEDaS16_S17_EUlS16_E_NS1_11comp_targetILNS1_3genE2ELNS1_11target_archE906ELNS1_3gpuE6ELNS1_3repE0EEENS1_30default_config_static_selectorELNS0_4arch9wavefront6targetE0EEEvT1_
		.amdhsa_group_segment_fixed_size 0
		.amdhsa_private_segment_fixed_size 0
		.amdhsa_kernarg_size 120
		.amdhsa_user_sgpr_count 2
		.amdhsa_user_sgpr_dispatch_ptr 0
		.amdhsa_user_sgpr_queue_ptr 0
		.amdhsa_user_sgpr_kernarg_segment_ptr 1
		.amdhsa_user_sgpr_dispatch_id 0
		.amdhsa_user_sgpr_private_segment_size 0
		.amdhsa_wavefront_size32 1
		.amdhsa_uses_dynamic_stack 0
		.amdhsa_enable_private_segment 0
		.amdhsa_system_sgpr_workgroup_id_x 1
		.amdhsa_system_sgpr_workgroup_id_y 0
		.amdhsa_system_sgpr_workgroup_id_z 0
		.amdhsa_system_sgpr_workgroup_info 0
		.amdhsa_system_vgpr_workitem_id 0
		.amdhsa_next_free_vgpr 1
		.amdhsa_next_free_sgpr 1
		.amdhsa_reserve_vcc 0
		.amdhsa_float_round_mode_32 0
		.amdhsa_float_round_mode_16_64 0
		.amdhsa_float_denorm_mode_32 3
		.amdhsa_float_denorm_mode_16_64 3
		.amdhsa_fp16_overflow 0
		.amdhsa_workgroup_processor_mode 1
		.amdhsa_memory_ordered 1
		.amdhsa_forward_progress 1
		.amdhsa_inst_pref_size 0
		.amdhsa_round_robin_scheduling 0
		.amdhsa_exception_fp_ieee_invalid_op 0
		.amdhsa_exception_fp_denorm_src 0
		.amdhsa_exception_fp_ieee_div_zero 0
		.amdhsa_exception_fp_ieee_overflow 0
		.amdhsa_exception_fp_ieee_underflow 0
		.amdhsa_exception_fp_ieee_inexact 0
		.amdhsa_exception_int_div_zero 0
	.end_amdhsa_kernel
	.section	.text._ZN7rocprim17ROCPRIM_400000_NS6detail17trampoline_kernelINS0_14default_configENS1_25partition_config_selectorILNS1_17partition_subalgoE5EfNS0_10empty_typeEbEEZZNS1_14partition_implILS5_5ELb0ES3_mN6thrust23THRUST_200600_302600_NS6detail15normal_iteratorINSA_10device_ptrIfEEEEPS6_NSA_18transform_iteratorINSB_9not_fun_tI7is_trueIfEEESF_NSA_11use_defaultESM_EENS0_5tupleIJSF_S6_EEENSO_IJSG_SG_EEES6_PlJS6_EEE10hipError_tPvRmT3_T4_T5_T6_T7_T9_mT8_P12ihipStream_tbDpT10_ENKUlT_T0_E_clISt17integral_constantIbLb0EES1B_EEDaS16_S17_EUlS16_E_NS1_11comp_targetILNS1_3genE2ELNS1_11target_archE906ELNS1_3gpuE6ELNS1_3repE0EEENS1_30default_config_static_selectorELNS0_4arch9wavefront6targetE0EEEvT1_,"axG",@progbits,_ZN7rocprim17ROCPRIM_400000_NS6detail17trampoline_kernelINS0_14default_configENS1_25partition_config_selectorILNS1_17partition_subalgoE5EfNS0_10empty_typeEbEEZZNS1_14partition_implILS5_5ELb0ES3_mN6thrust23THRUST_200600_302600_NS6detail15normal_iteratorINSA_10device_ptrIfEEEEPS6_NSA_18transform_iteratorINSB_9not_fun_tI7is_trueIfEEESF_NSA_11use_defaultESM_EENS0_5tupleIJSF_S6_EEENSO_IJSG_SG_EEES6_PlJS6_EEE10hipError_tPvRmT3_T4_T5_T6_T7_T9_mT8_P12ihipStream_tbDpT10_ENKUlT_T0_E_clISt17integral_constantIbLb0EES1B_EEDaS16_S17_EUlS16_E_NS1_11comp_targetILNS1_3genE2ELNS1_11target_archE906ELNS1_3gpuE6ELNS1_3repE0EEENS1_30default_config_static_selectorELNS0_4arch9wavefront6targetE0EEEvT1_,comdat
.Lfunc_end1339:
	.size	_ZN7rocprim17ROCPRIM_400000_NS6detail17trampoline_kernelINS0_14default_configENS1_25partition_config_selectorILNS1_17partition_subalgoE5EfNS0_10empty_typeEbEEZZNS1_14partition_implILS5_5ELb0ES3_mN6thrust23THRUST_200600_302600_NS6detail15normal_iteratorINSA_10device_ptrIfEEEEPS6_NSA_18transform_iteratorINSB_9not_fun_tI7is_trueIfEEESF_NSA_11use_defaultESM_EENS0_5tupleIJSF_S6_EEENSO_IJSG_SG_EEES6_PlJS6_EEE10hipError_tPvRmT3_T4_T5_T6_T7_T9_mT8_P12ihipStream_tbDpT10_ENKUlT_T0_E_clISt17integral_constantIbLb0EES1B_EEDaS16_S17_EUlS16_E_NS1_11comp_targetILNS1_3genE2ELNS1_11target_archE906ELNS1_3gpuE6ELNS1_3repE0EEENS1_30default_config_static_selectorELNS0_4arch9wavefront6targetE0EEEvT1_, .Lfunc_end1339-_ZN7rocprim17ROCPRIM_400000_NS6detail17trampoline_kernelINS0_14default_configENS1_25partition_config_selectorILNS1_17partition_subalgoE5EfNS0_10empty_typeEbEEZZNS1_14partition_implILS5_5ELb0ES3_mN6thrust23THRUST_200600_302600_NS6detail15normal_iteratorINSA_10device_ptrIfEEEEPS6_NSA_18transform_iteratorINSB_9not_fun_tI7is_trueIfEEESF_NSA_11use_defaultESM_EENS0_5tupleIJSF_S6_EEENSO_IJSG_SG_EEES6_PlJS6_EEE10hipError_tPvRmT3_T4_T5_T6_T7_T9_mT8_P12ihipStream_tbDpT10_ENKUlT_T0_E_clISt17integral_constantIbLb0EES1B_EEDaS16_S17_EUlS16_E_NS1_11comp_targetILNS1_3genE2ELNS1_11target_archE906ELNS1_3gpuE6ELNS1_3repE0EEENS1_30default_config_static_selectorELNS0_4arch9wavefront6targetE0EEEvT1_
                                        ; -- End function
	.set _ZN7rocprim17ROCPRIM_400000_NS6detail17trampoline_kernelINS0_14default_configENS1_25partition_config_selectorILNS1_17partition_subalgoE5EfNS0_10empty_typeEbEEZZNS1_14partition_implILS5_5ELb0ES3_mN6thrust23THRUST_200600_302600_NS6detail15normal_iteratorINSA_10device_ptrIfEEEEPS6_NSA_18transform_iteratorINSB_9not_fun_tI7is_trueIfEEESF_NSA_11use_defaultESM_EENS0_5tupleIJSF_S6_EEENSO_IJSG_SG_EEES6_PlJS6_EEE10hipError_tPvRmT3_T4_T5_T6_T7_T9_mT8_P12ihipStream_tbDpT10_ENKUlT_T0_E_clISt17integral_constantIbLb0EES1B_EEDaS16_S17_EUlS16_E_NS1_11comp_targetILNS1_3genE2ELNS1_11target_archE906ELNS1_3gpuE6ELNS1_3repE0EEENS1_30default_config_static_selectorELNS0_4arch9wavefront6targetE0EEEvT1_.num_vgpr, 0
	.set _ZN7rocprim17ROCPRIM_400000_NS6detail17trampoline_kernelINS0_14default_configENS1_25partition_config_selectorILNS1_17partition_subalgoE5EfNS0_10empty_typeEbEEZZNS1_14partition_implILS5_5ELb0ES3_mN6thrust23THRUST_200600_302600_NS6detail15normal_iteratorINSA_10device_ptrIfEEEEPS6_NSA_18transform_iteratorINSB_9not_fun_tI7is_trueIfEEESF_NSA_11use_defaultESM_EENS0_5tupleIJSF_S6_EEENSO_IJSG_SG_EEES6_PlJS6_EEE10hipError_tPvRmT3_T4_T5_T6_T7_T9_mT8_P12ihipStream_tbDpT10_ENKUlT_T0_E_clISt17integral_constantIbLb0EES1B_EEDaS16_S17_EUlS16_E_NS1_11comp_targetILNS1_3genE2ELNS1_11target_archE906ELNS1_3gpuE6ELNS1_3repE0EEENS1_30default_config_static_selectorELNS0_4arch9wavefront6targetE0EEEvT1_.num_agpr, 0
	.set _ZN7rocprim17ROCPRIM_400000_NS6detail17trampoline_kernelINS0_14default_configENS1_25partition_config_selectorILNS1_17partition_subalgoE5EfNS0_10empty_typeEbEEZZNS1_14partition_implILS5_5ELb0ES3_mN6thrust23THRUST_200600_302600_NS6detail15normal_iteratorINSA_10device_ptrIfEEEEPS6_NSA_18transform_iteratorINSB_9not_fun_tI7is_trueIfEEESF_NSA_11use_defaultESM_EENS0_5tupleIJSF_S6_EEENSO_IJSG_SG_EEES6_PlJS6_EEE10hipError_tPvRmT3_T4_T5_T6_T7_T9_mT8_P12ihipStream_tbDpT10_ENKUlT_T0_E_clISt17integral_constantIbLb0EES1B_EEDaS16_S17_EUlS16_E_NS1_11comp_targetILNS1_3genE2ELNS1_11target_archE906ELNS1_3gpuE6ELNS1_3repE0EEENS1_30default_config_static_selectorELNS0_4arch9wavefront6targetE0EEEvT1_.numbered_sgpr, 0
	.set _ZN7rocprim17ROCPRIM_400000_NS6detail17trampoline_kernelINS0_14default_configENS1_25partition_config_selectorILNS1_17partition_subalgoE5EfNS0_10empty_typeEbEEZZNS1_14partition_implILS5_5ELb0ES3_mN6thrust23THRUST_200600_302600_NS6detail15normal_iteratorINSA_10device_ptrIfEEEEPS6_NSA_18transform_iteratorINSB_9not_fun_tI7is_trueIfEEESF_NSA_11use_defaultESM_EENS0_5tupleIJSF_S6_EEENSO_IJSG_SG_EEES6_PlJS6_EEE10hipError_tPvRmT3_T4_T5_T6_T7_T9_mT8_P12ihipStream_tbDpT10_ENKUlT_T0_E_clISt17integral_constantIbLb0EES1B_EEDaS16_S17_EUlS16_E_NS1_11comp_targetILNS1_3genE2ELNS1_11target_archE906ELNS1_3gpuE6ELNS1_3repE0EEENS1_30default_config_static_selectorELNS0_4arch9wavefront6targetE0EEEvT1_.num_named_barrier, 0
	.set _ZN7rocprim17ROCPRIM_400000_NS6detail17trampoline_kernelINS0_14default_configENS1_25partition_config_selectorILNS1_17partition_subalgoE5EfNS0_10empty_typeEbEEZZNS1_14partition_implILS5_5ELb0ES3_mN6thrust23THRUST_200600_302600_NS6detail15normal_iteratorINSA_10device_ptrIfEEEEPS6_NSA_18transform_iteratorINSB_9not_fun_tI7is_trueIfEEESF_NSA_11use_defaultESM_EENS0_5tupleIJSF_S6_EEENSO_IJSG_SG_EEES6_PlJS6_EEE10hipError_tPvRmT3_T4_T5_T6_T7_T9_mT8_P12ihipStream_tbDpT10_ENKUlT_T0_E_clISt17integral_constantIbLb0EES1B_EEDaS16_S17_EUlS16_E_NS1_11comp_targetILNS1_3genE2ELNS1_11target_archE906ELNS1_3gpuE6ELNS1_3repE0EEENS1_30default_config_static_selectorELNS0_4arch9wavefront6targetE0EEEvT1_.private_seg_size, 0
	.set _ZN7rocprim17ROCPRIM_400000_NS6detail17trampoline_kernelINS0_14default_configENS1_25partition_config_selectorILNS1_17partition_subalgoE5EfNS0_10empty_typeEbEEZZNS1_14partition_implILS5_5ELb0ES3_mN6thrust23THRUST_200600_302600_NS6detail15normal_iteratorINSA_10device_ptrIfEEEEPS6_NSA_18transform_iteratorINSB_9not_fun_tI7is_trueIfEEESF_NSA_11use_defaultESM_EENS0_5tupleIJSF_S6_EEENSO_IJSG_SG_EEES6_PlJS6_EEE10hipError_tPvRmT3_T4_T5_T6_T7_T9_mT8_P12ihipStream_tbDpT10_ENKUlT_T0_E_clISt17integral_constantIbLb0EES1B_EEDaS16_S17_EUlS16_E_NS1_11comp_targetILNS1_3genE2ELNS1_11target_archE906ELNS1_3gpuE6ELNS1_3repE0EEENS1_30default_config_static_selectorELNS0_4arch9wavefront6targetE0EEEvT1_.uses_vcc, 0
	.set _ZN7rocprim17ROCPRIM_400000_NS6detail17trampoline_kernelINS0_14default_configENS1_25partition_config_selectorILNS1_17partition_subalgoE5EfNS0_10empty_typeEbEEZZNS1_14partition_implILS5_5ELb0ES3_mN6thrust23THRUST_200600_302600_NS6detail15normal_iteratorINSA_10device_ptrIfEEEEPS6_NSA_18transform_iteratorINSB_9not_fun_tI7is_trueIfEEESF_NSA_11use_defaultESM_EENS0_5tupleIJSF_S6_EEENSO_IJSG_SG_EEES6_PlJS6_EEE10hipError_tPvRmT3_T4_T5_T6_T7_T9_mT8_P12ihipStream_tbDpT10_ENKUlT_T0_E_clISt17integral_constantIbLb0EES1B_EEDaS16_S17_EUlS16_E_NS1_11comp_targetILNS1_3genE2ELNS1_11target_archE906ELNS1_3gpuE6ELNS1_3repE0EEENS1_30default_config_static_selectorELNS0_4arch9wavefront6targetE0EEEvT1_.uses_flat_scratch, 0
	.set _ZN7rocprim17ROCPRIM_400000_NS6detail17trampoline_kernelINS0_14default_configENS1_25partition_config_selectorILNS1_17partition_subalgoE5EfNS0_10empty_typeEbEEZZNS1_14partition_implILS5_5ELb0ES3_mN6thrust23THRUST_200600_302600_NS6detail15normal_iteratorINSA_10device_ptrIfEEEEPS6_NSA_18transform_iteratorINSB_9not_fun_tI7is_trueIfEEESF_NSA_11use_defaultESM_EENS0_5tupleIJSF_S6_EEENSO_IJSG_SG_EEES6_PlJS6_EEE10hipError_tPvRmT3_T4_T5_T6_T7_T9_mT8_P12ihipStream_tbDpT10_ENKUlT_T0_E_clISt17integral_constantIbLb0EES1B_EEDaS16_S17_EUlS16_E_NS1_11comp_targetILNS1_3genE2ELNS1_11target_archE906ELNS1_3gpuE6ELNS1_3repE0EEENS1_30default_config_static_selectorELNS0_4arch9wavefront6targetE0EEEvT1_.has_dyn_sized_stack, 0
	.set _ZN7rocprim17ROCPRIM_400000_NS6detail17trampoline_kernelINS0_14default_configENS1_25partition_config_selectorILNS1_17partition_subalgoE5EfNS0_10empty_typeEbEEZZNS1_14partition_implILS5_5ELb0ES3_mN6thrust23THRUST_200600_302600_NS6detail15normal_iteratorINSA_10device_ptrIfEEEEPS6_NSA_18transform_iteratorINSB_9not_fun_tI7is_trueIfEEESF_NSA_11use_defaultESM_EENS0_5tupleIJSF_S6_EEENSO_IJSG_SG_EEES6_PlJS6_EEE10hipError_tPvRmT3_T4_T5_T6_T7_T9_mT8_P12ihipStream_tbDpT10_ENKUlT_T0_E_clISt17integral_constantIbLb0EES1B_EEDaS16_S17_EUlS16_E_NS1_11comp_targetILNS1_3genE2ELNS1_11target_archE906ELNS1_3gpuE6ELNS1_3repE0EEENS1_30default_config_static_selectorELNS0_4arch9wavefront6targetE0EEEvT1_.has_recursion, 0
	.set _ZN7rocprim17ROCPRIM_400000_NS6detail17trampoline_kernelINS0_14default_configENS1_25partition_config_selectorILNS1_17partition_subalgoE5EfNS0_10empty_typeEbEEZZNS1_14partition_implILS5_5ELb0ES3_mN6thrust23THRUST_200600_302600_NS6detail15normal_iteratorINSA_10device_ptrIfEEEEPS6_NSA_18transform_iteratorINSB_9not_fun_tI7is_trueIfEEESF_NSA_11use_defaultESM_EENS0_5tupleIJSF_S6_EEENSO_IJSG_SG_EEES6_PlJS6_EEE10hipError_tPvRmT3_T4_T5_T6_T7_T9_mT8_P12ihipStream_tbDpT10_ENKUlT_T0_E_clISt17integral_constantIbLb0EES1B_EEDaS16_S17_EUlS16_E_NS1_11comp_targetILNS1_3genE2ELNS1_11target_archE906ELNS1_3gpuE6ELNS1_3repE0EEENS1_30default_config_static_selectorELNS0_4arch9wavefront6targetE0EEEvT1_.has_indirect_call, 0
	.section	.AMDGPU.csdata,"",@progbits
; Kernel info:
; codeLenInByte = 0
; TotalNumSgprs: 0
; NumVgprs: 0
; ScratchSize: 0
; MemoryBound: 0
; FloatMode: 240
; IeeeMode: 1
; LDSByteSize: 0 bytes/workgroup (compile time only)
; SGPRBlocks: 0
; VGPRBlocks: 0
; NumSGPRsForWavesPerEU: 1
; NumVGPRsForWavesPerEU: 1
; Occupancy: 16
; WaveLimiterHint : 0
; COMPUTE_PGM_RSRC2:SCRATCH_EN: 0
; COMPUTE_PGM_RSRC2:USER_SGPR: 2
; COMPUTE_PGM_RSRC2:TRAP_HANDLER: 0
; COMPUTE_PGM_RSRC2:TGID_X_EN: 1
; COMPUTE_PGM_RSRC2:TGID_Y_EN: 0
; COMPUTE_PGM_RSRC2:TGID_Z_EN: 0
; COMPUTE_PGM_RSRC2:TIDIG_COMP_CNT: 0
	.section	.text._ZN7rocprim17ROCPRIM_400000_NS6detail17trampoline_kernelINS0_14default_configENS1_25partition_config_selectorILNS1_17partition_subalgoE5EfNS0_10empty_typeEbEEZZNS1_14partition_implILS5_5ELb0ES3_mN6thrust23THRUST_200600_302600_NS6detail15normal_iteratorINSA_10device_ptrIfEEEEPS6_NSA_18transform_iteratorINSB_9not_fun_tI7is_trueIfEEESF_NSA_11use_defaultESM_EENS0_5tupleIJSF_S6_EEENSO_IJSG_SG_EEES6_PlJS6_EEE10hipError_tPvRmT3_T4_T5_T6_T7_T9_mT8_P12ihipStream_tbDpT10_ENKUlT_T0_E_clISt17integral_constantIbLb0EES1B_EEDaS16_S17_EUlS16_E_NS1_11comp_targetILNS1_3genE10ELNS1_11target_archE1200ELNS1_3gpuE4ELNS1_3repE0EEENS1_30default_config_static_selectorELNS0_4arch9wavefront6targetE0EEEvT1_,"axG",@progbits,_ZN7rocprim17ROCPRIM_400000_NS6detail17trampoline_kernelINS0_14default_configENS1_25partition_config_selectorILNS1_17partition_subalgoE5EfNS0_10empty_typeEbEEZZNS1_14partition_implILS5_5ELb0ES3_mN6thrust23THRUST_200600_302600_NS6detail15normal_iteratorINSA_10device_ptrIfEEEEPS6_NSA_18transform_iteratorINSB_9not_fun_tI7is_trueIfEEESF_NSA_11use_defaultESM_EENS0_5tupleIJSF_S6_EEENSO_IJSG_SG_EEES6_PlJS6_EEE10hipError_tPvRmT3_T4_T5_T6_T7_T9_mT8_P12ihipStream_tbDpT10_ENKUlT_T0_E_clISt17integral_constantIbLb0EES1B_EEDaS16_S17_EUlS16_E_NS1_11comp_targetILNS1_3genE10ELNS1_11target_archE1200ELNS1_3gpuE4ELNS1_3repE0EEENS1_30default_config_static_selectorELNS0_4arch9wavefront6targetE0EEEvT1_,comdat
	.protected	_ZN7rocprim17ROCPRIM_400000_NS6detail17trampoline_kernelINS0_14default_configENS1_25partition_config_selectorILNS1_17partition_subalgoE5EfNS0_10empty_typeEbEEZZNS1_14partition_implILS5_5ELb0ES3_mN6thrust23THRUST_200600_302600_NS6detail15normal_iteratorINSA_10device_ptrIfEEEEPS6_NSA_18transform_iteratorINSB_9not_fun_tI7is_trueIfEEESF_NSA_11use_defaultESM_EENS0_5tupleIJSF_S6_EEENSO_IJSG_SG_EEES6_PlJS6_EEE10hipError_tPvRmT3_T4_T5_T6_T7_T9_mT8_P12ihipStream_tbDpT10_ENKUlT_T0_E_clISt17integral_constantIbLb0EES1B_EEDaS16_S17_EUlS16_E_NS1_11comp_targetILNS1_3genE10ELNS1_11target_archE1200ELNS1_3gpuE4ELNS1_3repE0EEENS1_30default_config_static_selectorELNS0_4arch9wavefront6targetE0EEEvT1_ ; -- Begin function _ZN7rocprim17ROCPRIM_400000_NS6detail17trampoline_kernelINS0_14default_configENS1_25partition_config_selectorILNS1_17partition_subalgoE5EfNS0_10empty_typeEbEEZZNS1_14partition_implILS5_5ELb0ES3_mN6thrust23THRUST_200600_302600_NS6detail15normal_iteratorINSA_10device_ptrIfEEEEPS6_NSA_18transform_iteratorINSB_9not_fun_tI7is_trueIfEEESF_NSA_11use_defaultESM_EENS0_5tupleIJSF_S6_EEENSO_IJSG_SG_EEES6_PlJS6_EEE10hipError_tPvRmT3_T4_T5_T6_T7_T9_mT8_P12ihipStream_tbDpT10_ENKUlT_T0_E_clISt17integral_constantIbLb0EES1B_EEDaS16_S17_EUlS16_E_NS1_11comp_targetILNS1_3genE10ELNS1_11target_archE1200ELNS1_3gpuE4ELNS1_3repE0EEENS1_30default_config_static_selectorELNS0_4arch9wavefront6targetE0EEEvT1_
	.globl	_ZN7rocprim17ROCPRIM_400000_NS6detail17trampoline_kernelINS0_14default_configENS1_25partition_config_selectorILNS1_17partition_subalgoE5EfNS0_10empty_typeEbEEZZNS1_14partition_implILS5_5ELb0ES3_mN6thrust23THRUST_200600_302600_NS6detail15normal_iteratorINSA_10device_ptrIfEEEEPS6_NSA_18transform_iteratorINSB_9not_fun_tI7is_trueIfEEESF_NSA_11use_defaultESM_EENS0_5tupleIJSF_S6_EEENSO_IJSG_SG_EEES6_PlJS6_EEE10hipError_tPvRmT3_T4_T5_T6_T7_T9_mT8_P12ihipStream_tbDpT10_ENKUlT_T0_E_clISt17integral_constantIbLb0EES1B_EEDaS16_S17_EUlS16_E_NS1_11comp_targetILNS1_3genE10ELNS1_11target_archE1200ELNS1_3gpuE4ELNS1_3repE0EEENS1_30default_config_static_selectorELNS0_4arch9wavefront6targetE0EEEvT1_
	.p2align	8
	.type	_ZN7rocprim17ROCPRIM_400000_NS6detail17trampoline_kernelINS0_14default_configENS1_25partition_config_selectorILNS1_17partition_subalgoE5EfNS0_10empty_typeEbEEZZNS1_14partition_implILS5_5ELb0ES3_mN6thrust23THRUST_200600_302600_NS6detail15normal_iteratorINSA_10device_ptrIfEEEEPS6_NSA_18transform_iteratorINSB_9not_fun_tI7is_trueIfEEESF_NSA_11use_defaultESM_EENS0_5tupleIJSF_S6_EEENSO_IJSG_SG_EEES6_PlJS6_EEE10hipError_tPvRmT3_T4_T5_T6_T7_T9_mT8_P12ihipStream_tbDpT10_ENKUlT_T0_E_clISt17integral_constantIbLb0EES1B_EEDaS16_S17_EUlS16_E_NS1_11comp_targetILNS1_3genE10ELNS1_11target_archE1200ELNS1_3gpuE4ELNS1_3repE0EEENS1_30default_config_static_selectorELNS0_4arch9wavefront6targetE0EEEvT1_,@function
_ZN7rocprim17ROCPRIM_400000_NS6detail17trampoline_kernelINS0_14default_configENS1_25partition_config_selectorILNS1_17partition_subalgoE5EfNS0_10empty_typeEbEEZZNS1_14partition_implILS5_5ELb0ES3_mN6thrust23THRUST_200600_302600_NS6detail15normal_iteratorINSA_10device_ptrIfEEEEPS6_NSA_18transform_iteratorINSB_9not_fun_tI7is_trueIfEEESF_NSA_11use_defaultESM_EENS0_5tupleIJSF_S6_EEENSO_IJSG_SG_EEES6_PlJS6_EEE10hipError_tPvRmT3_T4_T5_T6_T7_T9_mT8_P12ihipStream_tbDpT10_ENKUlT_T0_E_clISt17integral_constantIbLb0EES1B_EEDaS16_S17_EUlS16_E_NS1_11comp_targetILNS1_3genE10ELNS1_11target_archE1200ELNS1_3gpuE4ELNS1_3repE0EEENS1_30default_config_static_selectorELNS0_4arch9wavefront6targetE0EEEvT1_: ; @_ZN7rocprim17ROCPRIM_400000_NS6detail17trampoline_kernelINS0_14default_configENS1_25partition_config_selectorILNS1_17partition_subalgoE5EfNS0_10empty_typeEbEEZZNS1_14partition_implILS5_5ELb0ES3_mN6thrust23THRUST_200600_302600_NS6detail15normal_iteratorINSA_10device_ptrIfEEEEPS6_NSA_18transform_iteratorINSB_9not_fun_tI7is_trueIfEEESF_NSA_11use_defaultESM_EENS0_5tupleIJSF_S6_EEENSO_IJSG_SG_EEES6_PlJS6_EEE10hipError_tPvRmT3_T4_T5_T6_T7_T9_mT8_P12ihipStream_tbDpT10_ENKUlT_T0_E_clISt17integral_constantIbLb0EES1B_EEDaS16_S17_EUlS16_E_NS1_11comp_targetILNS1_3genE10ELNS1_11target_archE1200ELNS1_3gpuE4ELNS1_3repE0EEENS1_30default_config_static_selectorELNS0_4arch9wavefront6targetE0EEEvT1_
; %bb.0:
	s_clause 0x3
	s_load_b128 s[12:15], s[0:1], 0x8
	s_load_b128 s[8:11], s[0:1], 0x48
	s_load_b32 s18, s[0:1], 0x70
	s_load_b64 s[2:3], s[0:1], 0x58
	s_mov_b32 s17, 0
	s_mul_i32 s20, ttmp9, 0xa80
	s_mov_b32 s21, s17
	v_lshlrev_b32_e32 v8, 2, v0
	s_wait_kmcnt 0x0
	s_lshl_b64 s[4:5], s[14:15], 2
	s_load_b64 s[6:7], s[10:11], 0x0
	s_mul_i32 s16, s18, 0xa80
	s_add_co_i32 s19, s18, -1
	s_add_co_i32 s18, s16, s14
	s_add_nc_u64 s[10:11], s[14:15], s[16:17]
	s_sub_co_i32 s18, s2, s18
	v_cmp_le_u64_e64 s2, s[2:3], s[10:11]
	s_addk_co_i32 s18, 0xa80
	s_cmp_eq_u32 ttmp9, s19
	s_add_nc_u64 s[12:13], s[12:13], s[4:5]
	s_cselect_b32 s16, -1, 0
	s_lshl_b64 s[10:11], s[20:21], 2
	s_and_b32 s2, s16, s2
	s_mov_b32 s3, -1
	s_wait_alu 0xfffe
	s_xor_b32 s17, s2, -1
	s_add_nc_u64 s[12:13], s[12:13], s[10:11]
	s_and_b32 vcc_lo, exec_lo, s17
	s_cbranch_vccz .LBB1340_2
; %bb.1:
	v_add_co_u32 v1, s2, s12, v8
	s_wait_alu 0xf1ff
	v_add_co_ci_u32_e64 v2, null, s13, 0, s2
	s_mov_b32 s3, 0
	s_clause 0x6
	flat_load_b32 v3, v[1:2]
	flat_load_b32 v4, v[1:2] offset:1536
	flat_load_b32 v5, v[1:2] offset:3072
	;; [unrolled: 1-line block ×6, first 2 shown]
	s_wait_loadcnt_dscnt 0x505
	ds_store_2addr_stride64_b32 v8, v3, v4 offset1:6
	s_wait_loadcnt_dscnt 0x304
	ds_store_2addr_stride64_b32 v8, v5, v6 offset0:12 offset1:18
	s_wait_loadcnt_dscnt 0x103
	ds_store_2addr_stride64_b32 v8, v7, v9 offset0:24 offset1:30
	s_wait_loadcnt_dscnt 0x3
	ds_store_b32 v8, v1 offset:9216
	s_wait_dscnt 0x0
	s_barrier_signal -1
	s_barrier_wait -1
.LBB1340_2:
	s_load_b64 s[14:15], s[0:1], 0x20
	v_cmp_gt_u32_e64 s2, s18, v0
	s_and_not1_b32 vcc_lo, exec_lo, s3
	s_cbranch_vccnz .LBB1340_18
; %bb.3:
	v_mov_b32_e32 v1, 0
	s_delay_alu instid0(VALU_DEP_1)
	v_dual_mov_b32 v2, v1 :: v_dual_mov_b32 v3, v1
	v_dual_mov_b32 v4, v1 :: v_dual_mov_b32 v5, v1
	;; [unrolled: 1-line block ×3, first 2 shown]
	s_and_saveexec_b32 s3, s2
	s_cbranch_execz .LBB1340_5
; %bb.4:
	v_add_co_u32 v2, s2, s12, v8
	s_wait_alu 0xf1ff
	v_add_co_ci_u32_e64 v3, null, s13, 0, s2
	v_dual_mov_b32 v10, v1 :: v_dual_mov_b32 v11, v1
	v_dual_mov_b32 v12, v1 :: v_dual_mov_b32 v13, v1
	flat_load_b32 v9, v[2:3]
	v_dual_mov_b32 v14, v1 :: v_dual_mov_b32 v15, v1
	s_wait_loadcnt_dscnt 0x0
	v_dual_mov_b32 v1, v9 :: v_dual_mov_b32 v2, v10
	v_dual_mov_b32 v3, v11 :: v_dual_mov_b32 v4, v12
	s_delay_alu instid0(VALU_DEP_3)
	v_dual_mov_b32 v5, v13 :: v_dual_mov_b32 v6, v14
	v_mov_b32_e32 v7, v15
.LBB1340_5:
	s_wait_alu 0xfffe
	s_or_b32 exec_lo, exec_lo, s3
	v_add_nc_u32_e32 v9, 0x180, v0
	s_mov_b32 s2, exec_lo
	s_delay_alu instid0(VALU_DEP_1)
	v_cmpx_gt_u32_e64 s18, v9
	s_cbranch_execz .LBB1340_7
; %bb.6:
	v_add_co_u32 v9, s3, s12, v8
	s_wait_alu 0xf1ff
	v_add_co_ci_u32_e64 v10, null, s13, 0, s3
	flat_load_b32 v2, v[9:10] offset:1536
.LBB1340_7:
	s_wait_alu 0xfffe
	s_or_b32 exec_lo, exec_lo, s2
	v_add_nc_u32_e32 v9, 0x300, v0
	s_mov_b32 s2, exec_lo
	s_delay_alu instid0(VALU_DEP_1)
	v_cmpx_gt_u32_e64 s18, v9
	s_cbranch_execz .LBB1340_9
; %bb.8:
	v_add_co_u32 v9, s3, s12, v8
	s_wait_alu 0xf1ff
	v_add_co_ci_u32_e64 v10, null, s13, 0, s3
	flat_load_b32 v3, v[9:10] offset:3072
.LBB1340_9:
	;; [unrolled: 13-line block ×3, first 2 shown]
	s_wait_alu 0xfffe
	s_or_b32 exec_lo, exec_lo, s2
	v_or_b32_e32 v9, 0x600, v0
	s_mov_b32 s2, exec_lo
	s_delay_alu instid0(VALU_DEP_1)
	v_cmpx_gt_u32_e64 s18, v9
	s_cbranch_execz .LBB1340_13
; %bb.12:
	v_add_co_u32 v9, s3, s12, v8
	s_wait_alu 0xf1ff
	v_add_co_ci_u32_e64 v10, null, s13, 0, s3
	flat_load_b32 v5, v[9:10] offset:6144
.LBB1340_13:
	s_wait_alu 0xfffe
	s_or_b32 exec_lo, exec_lo, s2
	v_add_nc_u32_e32 v9, 0x780, v0
	s_mov_b32 s2, exec_lo
	s_delay_alu instid0(VALU_DEP_1)
	v_cmpx_gt_u32_e64 s18, v9
	s_cbranch_execz .LBB1340_15
; %bb.14:
	v_add_co_u32 v9, s3, s12, v8
	s_wait_alu 0xf1ff
	v_add_co_ci_u32_e64 v10, null, s13, 0, s3
	flat_load_b32 v6, v[9:10] offset:7680
.LBB1340_15:
	s_wait_alu 0xfffe
	s_or_b32 exec_lo, exec_lo, s2
	v_add_nc_u32_e32 v9, 0x900, v0
	s_mov_b32 s2, exec_lo
	s_delay_alu instid0(VALU_DEP_1)
	v_cmpx_gt_u32_e64 s18, v9
	s_cbranch_execz .LBB1340_17
; %bb.16:
	v_add_co_u32 v9, s3, s12, v8
	s_wait_alu 0xf1ff
	v_add_co_ci_u32_e64 v10, null, s13, 0, s3
	flat_load_b32 v7, v[9:10] offset:9216
.LBB1340_17:
	s_wait_alu 0xfffe
	s_or_b32 exec_lo, exec_lo, s2
	s_wait_loadcnt_dscnt 0x0
	ds_store_2addr_stride64_b32 v8, v1, v2 offset1:6
	ds_store_2addr_stride64_b32 v8, v3, v4 offset0:12 offset1:18
	ds_store_2addr_stride64_b32 v8, v5, v6 offset0:24 offset1:30
	ds_store_b32 v8, v7 offset:9216
	s_wait_dscnt 0x0
	s_barrier_signal -1
	s_barrier_wait -1
.LBB1340_18:
	v_mul_u32_u24_e32 v1, 7, v0
	global_inv scope:SCOPE_SE
	s_wait_kmcnt 0x0
	s_add_nc_u64 s[2:3], s[14:15], s[4:5]
	s_and_b32 vcc_lo, exec_lo, s17
	s_wait_alu 0xfffe
	s_add_nc_u64 s[2:3], s[2:3], s[10:11]
	v_lshlrev_b32_e32 v1, 2, v1
	s_mov_b32 s4, -1
	ds_load_2addr_b32 v[13:14], v1 offset1:1
	ds_load_2addr_b32 v[11:12], v1 offset0:2 offset1:3
	ds_load_2addr_b32 v[9:10], v1 offset0:4 offset1:5
	ds_load_b32 v29, v1 offset:24
	s_wait_loadcnt_dscnt 0x0
	s_barrier_signal -1
	s_barrier_wait -1
	global_inv scope:SCOPE_SE
	s_cbranch_vccz .LBB1340_20
; %bb.19:
	s_clause 0x6
	global_load_b32 v2, v8, s[2:3]
	global_load_b32 v3, v8, s[2:3] offset:1536
	global_load_b32 v4, v8, s[2:3] offset:3072
	;; [unrolled: 1-line block ×6, first 2 shown]
	s_mov_b32 s4, 0
	s_wait_loadcnt 0x6
	v_cmp_eq_f32_e32 vcc_lo, 0, v2
	v_cndmask_b32_e64 v2, 0, 1, vcc_lo
	s_wait_loadcnt 0x5
	v_cmp_eq_f32_e32 vcc_lo, 0, v3
	s_wait_alu 0xfffd
	v_cndmask_b32_e64 v3, 0, 1, vcc_lo
	s_wait_loadcnt 0x4
	v_cmp_eq_f32_e32 vcc_lo, 0, v4
	s_wait_alu 0xfffd
	;; [unrolled: 4-line block ×6, first 2 shown]
	v_cndmask_b32_e64 v15, 0, 1, vcc_lo
	ds_store_b8 v0, v2
	ds_store_b8 v0, v3 offset:384
	ds_store_b8 v0, v4 offset:768
	;; [unrolled: 1-line block ×6, first 2 shown]
	s_wait_dscnt 0x0
	s_barrier_signal -1
	s_barrier_wait -1
.LBB1340_20:
	s_and_not1_b32 vcc_lo, exec_lo, s4
	s_wait_alu 0xfffe
	s_cbranch_vccnz .LBB1340_36
; %bb.21:
	v_mov_b32_e32 v2, 0
	s_mov_b32 s5, 0
	s_mov_b32 s4, exec_lo
	s_delay_alu instid0(VALU_DEP_1)
	v_dual_mov_b32 v4, v2 :: v_dual_mov_b32 v3, v2
	v_cmpx_gt_u32_e64 s18, v0
	s_cbranch_execz .LBB1340_23
; %bb.22:
	global_load_b32 v2, v8, s[2:3]
	s_wait_loadcnt 0x0
	v_cmp_eq_f32_e32 vcc_lo, 0, v2
	s_wait_alu 0xfffd
	v_cndmask_b32_e64 v2, 0, 1, vcc_lo
	s_delay_alu instid0(VALU_DEP_1)
	v_dual_mov_b32 v4, s5 :: v_dual_mov_b32 v3, v2
.LBB1340_23:
	s_or_b32 exec_lo, exec_lo, s4
	v_add_nc_u32_e32 v5, 0x180, v0
	s_mov_b32 s4, exec_lo
	s_delay_alu instid0(VALU_DEP_1)
	v_cmpx_gt_u32_e64 s18, v5
	s_cbranch_execz .LBB1340_25
; %bb.24:
	global_load_b32 v5, v8, s[2:3] offset:1536
	v_lshrrev_b32_e32 v6, 8, v4
	v_and_b32_e32 v7, 0xff, v4
	v_and_b32_e32 v15, 0xff, v2
	v_bfe_u32 v4, v4, 16, 8
	s_delay_alu instid0(VALU_DEP_4) | instskip(NEXT) | instid1(VALU_DEP_1)
	v_lshlrev_b16 v6, 8, v6
	v_or_b32_e32 v6, v7, v6
	v_lshrrev_b32_e32 v7, 16, v2
	s_delay_alu instid0(VALU_DEP_2) | instskip(NEXT) | instid1(VALU_DEP_2)
	v_and_b32_e32 v6, 0xffff, v6
	v_perm_b32 v2, v7, v2, 0xc0c0304
	s_delay_alu instid0(VALU_DEP_2) | instskip(SKIP_4) | instid1(VALU_DEP_1)
	v_lshl_or_b32 v4, v4, 16, v6
	s_wait_loadcnt 0x0
	v_cmp_eq_f32_e32 vcc_lo, 0, v5
	s_wait_alu 0xfffd
	v_cndmask_b32_e64 v5, 0, 1, vcc_lo
	v_lshlrev_b16 v5, 8, v5
	s_delay_alu instid0(VALU_DEP_1) | instskip(NEXT) | instid1(VALU_DEP_1)
	v_or_b32_e32 v5, v15, v5
	v_and_b32_e32 v5, 0xffff, v5
	s_delay_alu instid0(VALU_DEP_1)
	v_lshl_or_b32 v2, v2, 16, v5
.LBB1340_25:
	s_wait_alu 0xfffe
	s_or_b32 exec_lo, exec_lo, s4
	v_add_nc_u32_e32 v5, 0x300, v0
	s_mov_b32 s4, exec_lo
	s_delay_alu instid0(VALU_DEP_1)
	v_cmpx_gt_u32_e64 s18, v5
	s_cbranch_execz .LBB1340_27
; %bb.26:
	global_load_b32 v5, v8, s[2:3] offset:3072
	v_lshrrev_b32_e32 v6, 8, v4
	v_lshrrev_b32_e32 v7, 24, v2
	v_and_b32_e32 v15, 0xff, v4
	v_bfe_u32 v4, v4, 16, 8
	v_perm_b32 v2, v2, v2, 0xc0c0104
	v_lshlrev_b16 v6, 8, v6
	v_lshlrev_b16 v7, 8, v7
	s_delay_alu instid0(VALU_DEP_2) | instskip(NEXT) | instid1(VALU_DEP_1)
	v_or_b32_e32 v6, v15, v6
	v_and_b32_e32 v6, 0xffff, v6
	s_delay_alu instid0(VALU_DEP_1) | instskip(SKIP_4) | instid1(VALU_DEP_1)
	v_lshl_or_b32 v4, v4, 16, v6
	s_wait_loadcnt 0x0
	v_cmp_eq_f32_e32 vcc_lo, 0, v5
	s_wait_alu 0xfffd
	v_cndmask_b32_e64 v5, 0, 1, vcc_lo
	v_or_b32_e32 v5, v5, v7
	s_delay_alu instid0(VALU_DEP_1) | instskip(NEXT) | instid1(VALU_DEP_1)
	v_lshlrev_b32_e32 v5, 16, v5
	v_or_b32_e32 v2, v2, v5
.LBB1340_27:
	s_wait_alu 0xfffe
	s_or_b32 exec_lo, exec_lo, s4
	v_add_nc_u32_e32 v5, 0x480, v0
	s_mov_b32 s4, exec_lo
	s_delay_alu instid0(VALU_DEP_1)
	v_cmpx_gt_u32_e64 s18, v5
	s_cbranch_execz .LBB1340_29
; %bb.28:
	global_load_b32 v5, v8, s[2:3] offset:4608
	v_lshrrev_b32_e32 v6, 8, v4
	v_lshrrev_b32_e32 v7, 16, v2
	v_and_b32_e32 v15, 0xff, v4
	v_bfe_u32 v4, v4, 16, 8
	v_perm_b32 v2, v2, v2, 0xc0c0104
	v_lshlrev_b16 v6, 8, v6
	v_and_b32_e32 v7, 0xff, v7
	s_delay_alu instid0(VALU_DEP_2) | instskip(NEXT) | instid1(VALU_DEP_1)
	v_or_b32_e32 v6, v15, v6
	v_and_b32_e32 v6, 0xffff, v6
	s_delay_alu instid0(VALU_DEP_1) | instskip(SKIP_4) | instid1(VALU_DEP_1)
	v_lshl_or_b32 v4, v4, 16, v6
	s_wait_loadcnt 0x0
	v_cmp_eq_f32_e32 vcc_lo, 0, v5
	s_wait_alu 0xfffd
	v_cndmask_b32_e64 v5, 0, 1, vcc_lo
	v_lshlrev_b16 v5, 8, v5
	s_delay_alu instid0(VALU_DEP_1) | instskip(NEXT) | instid1(VALU_DEP_1)
	v_or_b32_e32 v5, v7, v5
	v_lshlrev_b32_e32 v5, 16, v5
	s_delay_alu instid0(VALU_DEP_1)
	v_or_b32_e32 v2, v2, v5
.LBB1340_29:
	s_wait_alu 0xfffe
	s_or_b32 exec_lo, exec_lo, s4
	v_or_b32_e32 v5, 0x600, v0
	s_mov_b32 s4, exec_lo
	s_delay_alu instid0(VALU_DEP_1)
	v_cmpx_gt_u32_e64 s18, v5
	s_cbranch_execz .LBB1340_31
; %bb.30:
	global_load_b32 v5, v8, s[2:3] offset:6144
	v_lshrrev_b32_e32 v6, 8, v4
	v_bfe_u32 v4, v4, 16, 8
	v_perm_b32 v2, v2, v2, 0x3020104
	s_delay_alu instid0(VALU_DEP_3) | instskip(SKIP_4) | instid1(VALU_DEP_1)
	v_lshlrev_b16 v6, 8, v6
	s_wait_loadcnt 0x0
	v_cmp_eq_f32_e32 vcc_lo, 0, v5
	s_wait_alu 0xfffd
	v_cndmask_b32_e64 v5, 0, 1, vcc_lo
	v_or_b32_e32 v5, v5, v6
	s_delay_alu instid0(VALU_DEP_1) | instskip(NEXT) | instid1(VALU_DEP_1)
	v_and_b32_e32 v5, 0xffff, v5
	v_lshl_or_b32 v4, v4, 16, v5
.LBB1340_31:
	s_wait_alu 0xfffe
	s_or_b32 exec_lo, exec_lo, s4
	v_add_nc_u32_e32 v5, 0x780, v0
	s_mov_b32 s4, exec_lo
	s_delay_alu instid0(VALU_DEP_1)
	v_cmpx_gt_u32_e64 s18, v5
	s_cbranch_execz .LBB1340_33
; %bb.32:
	global_load_b32 v5, v8, s[2:3] offset:7680
	v_and_b32_e32 v6, 0xff, v4
	v_bfe_u32 v4, v4, 16, 8
	v_perm_b32 v2, v2, v2, 0x3020104
	s_wait_loadcnt 0x0
	v_cmp_eq_f32_e32 vcc_lo, 0, v5
	s_wait_alu 0xfffd
	v_cndmask_b32_e64 v5, 0, 1, vcc_lo
	s_delay_alu instid0(VALU_DEP_1) | instskip(NEXT) | instid1(VALU_DEP_1)
	v_lshlrev_b16 v5, 8, v5
	v_or_b32_e32 v5, v6, v5
	s_delay_alu instid0(VALU_DEP_1) | instskip(NEXT) | instid1(VALU_DEP_1)
	v_and_b32_e32 v5, 0xffff, v5
	v_lshl_or_b32 v4, v4, 16, v5
.LBB1340_33:
	s_wait_alu 0xfffe
	s_or_b32 exec_lo, exec_lo, s4
	v_add_nc_u32_e32 v5, 0x900, v0
	s_mov_b32 s4, exec_lo
	s_delay_alu instid0(VALU_DEP_1)
	v_cmpx_gt_u32_e64 s18, v5
	s_cbranch_execz .LBB1340_35
; %bb.34:
	global_load_b32 v5, v8, s[2:3] offset:9216
	v_lshrrev_b32_e32 v6, 8, v4
	v_and_b32_e32 v4, 0xff, v4
	v_perm_b32 v2, v2, v2, 0x3020104
	s_delay_alu instid0(VALU_DEP_3) | instskip(NEXT) | instid1(VALU_DEP_1)
	v_lshlrev_b16 v6, 8, v6
	v_or_b32_e32 v4, v4, v6
	s_delay_alu instid0(VALU_DEP_1) | instskip(SKIP_4) | instid1(VALU_DEP_1)
	v_and_b32_e32 v4, 0xffff, v4
	s_wait_loadcnt 0x0
	v_cmp_eq_f32_e32 vcc_lo, 0, v5
	s_wait_alu 0xfffd
	v_cndmask_b32_e64 v5, 0, 1, vcc_lo
	v_lshl_or_b32 v4, v5, 16, v4
.LBB1340_35:
	s_wait_alu 0xfffe
	s_or_b32 exec_lo, exec_lo, s4
	v_lshrrev_b32_e32 v5, 8, v2
	v_lshrrev_b32_e32 v6, 24, v2
	;; [unrolled: 1-line block ×3, first 2 shown]
	ds_store_b8 v0, v3
	ds_store_b8 v0, v5 offset:384
	ds_store_b8_d16_hi v0, v2 offset:768
	ds_store_b8 v0, v6 offset:1152
	ds_store_b8 v0, v4 offset:1536
	;; [unrolled: 1-line block ×3, first 2 shown]
	ds_store_b8_d16_hi v0, v4 offset:2304
	s_wait_loadcnt_dscnt 0x0
	s_barrier_signal -1
	s_barrier_wait -1
.LBB1340_36:
	v_mad_i32_i24 v38, 0xffffffeb, v0, v1
	s_wait_loadcnt 0x0
	global_inv scope:SCOPE_SE
	s_load_b64 s[10:11], s[0:1], 0x68
	v_mbcnt_lo_u32_b32 v37, -1, 0
	s_cmp_lg_u32 ttmp9, 0
	ds_load_u8 v1, v38
	ds_load_u8 v2, v38 offset:1
	ds_load_u8 v3, v38 offset:2
	;; [unrolled: 1-line block ×6, first 2 shown]
	s_mov_b32 s3, -1
	s_wait_loadcnt_dscnt 0x0
	v_and_b32_e32 v39, 15, v37
	s_barrier_signal -1
	s_barrier_wait -1
	global_inv scope:SCOPE_SE
	v_and_b32_e32 v36, 1, v1
	v_dual_mov_b32 v2, 0 :: v_dual_and_b32 v35, 1, v2
	v_and_b32_e32 v33, 1, v3
	v_and_b32_e32 v32, 1, v4
	;; [unrolled: 1-line block ×5, first 2 shown]
	v_add3_u32 v1, v35, v36, v33
	s_delay_alu instid0(VALU_DEP_1) | instskip(SKIP_3) | instid1(VALU_DEP_3)
	v_add_co_u32 v1, s2, v1, v32
	s_wait_alu 0xf1ff
	v_add_co_ci_u32_e64 v3, null, 0, 0, s2
	v_cmp_ne_u32_e64 s2, 0, v39
	v_add_co_u32 v1, vcc_lo, v1, v34
	s_wait_alu 0xfffd
	s_delay_alu instid0(VALU_DEP_3) | instskip(NEXT) | instid1(VALU_DEP_2)
	v_add_co_ci_u32_e64 v3, null, 0, v3, vcc_lo
	v_add_co_u32 v1, vcc_lo, v1, v31
	s_wait_alu 0xfffd
	s_delay_alu instid0(VALU_DEP_2) | instskip(NEXT) | instid1(VALU_DEP_2)
	v_add_co_ci_u32_e64 v3, null, 0, v3, vcc_lo
	v_add_co_u32 v15, vcc_lo, v1, v30
	s_wait_alu 0xfffd
	s_delay_alu instid0(VALU_DEP_2)
	v_add_co_ci_u32_e64 v16, null, 0, v3, vcc_lo
	s_cbranch_scc0 .LBB1340_95
; %bb.37:
	v_mov_b32_e32 v3, v15
	v_mov_b32_dpp v1, v15 row_shr:1 row_mask:0xf bank_mask:0xf
	v_mov_b32_dpp v6, v2 row_shr:1 row_mask:0xf bank_mask:0xf
	v_dual_mov_b32 v5, v15 :: v_dual_mov_b32 v4, v16
	s_and_saveexec_b32 s3, s2
; %bb.38:
	s_delay_alu instid0(VALU_DEP_3) | instskip(SKIP_2) | instid1(VALU_DEP_2)
	v_add_co_u32 v5, vcc_lo, v15, v1
	s_wait_alu 0xfffd
	v_add_co_ci_u32_e64 v2, null, 0, v16, vcc_lo
	v_add_co_u32 v1, vcc_lo, 0, v5
	s_wait_alu 0xfffd
	s_delay_alu instid0(VALU_DEP_2) | instskip(NEXT) | instid1(VALU_DEP_1)
	v_add_co_ci_u32_e64 v2, null, v6, v2, vcc_lo
	v_dual_mov_b32 v4, v2 :: v_dual_mov_b32 v3, v1
; %bb.39:
	s_wait_alu 0xfffe
	s_or_b32 exec_lo, exec_lo, s3
	v_mov_b32_dpp v1, v5 row_shr:2 row_mask:0xf bank_mask:0xf
	v_mov_b32_dpp v6, v2 row_shr:2 row_mask:0xf bank_mask:0xf
	v_cmp_lt_u32_e32 vcc_lo, 1, v39
	s_and_saveexec_b32 s4, vcc_lo
; %bb.40:
	s_delay_alu instid0(VALU_DEP_3) | instskip(SKIP_2) | instid1(VALU_DEP_2)
	v_add_co_u32 v5, s3, v3, v1
	s_wait_alu 0xf1ff
	v_add_co_ci_u32_e64 v2, null, 0, v4, s3
	v_add_co_u32 v1, s3, 0, v5
	s_wait_alu 0xf1ff
	s_delay_alu instid0(VALU_DEP_2) | instskip(NEXT) | instid1(VALU_DEP_1)
	v_add_co_ci_u32_e64 v2, null, v6, v2, s3
	v_dual_mov_b32 v4, v2 :: v_dual_mov_b32 v3, v1
; %bb.41:
	s_wait_alu 0xfffe
	s_or_b32 exec_lo, exec_lo, s4
	v_mov_b32_dpp v1, v5 row_shr:4 row_mask:0xf bank_mask:0xf
	v_mov_b32_dpp v6, v2 row_shr:4 row_mask:0xf bank_mask:0xf
	v_cmp_lt_u32_e64 s3, 3, v39
	s_and_saveexec_b32 s5, s3
; %bb.42:
	v_add_co_u32 v5, s4, v3, v1
	s_wait_alu 0xf1ff
	v_add_co_ci_u32_e64 v2, null, 0, v4, s4
	s_delay_alu instid0(VALU_DEP_2) | instskip(SKIP_1) | instid1(VALU_DEP_2)
	v_add_co_u32 v1, s4, 0, v5
	s_wait_alu 0xf1ff
	v_add_co_ci_u32_e64 v2, null, v6, v2, s4
	s_delay_alu instid0(VALU_DEP_1)
	v_dual_mov_b32 v4, v2 :: v_dual_mov_b32 v3, v1
; %bb.43:
	s_wait_alu 0xfffe
	s_or_b32 exec_lo, exec_lo, s5
	v_mov_b32_dpp v6, v5 row_shr:8 row_mask:0xf bank_mask:0xf
	v_mov_b32_dpp v1, v2 row_shr:8 row_mask:0xf bank_mask:0xf
	v_cmp_lt_u32_e64 s4, 7, v39
	s_and_saveexec_b32 s12, s4
; %bb.44:
	v_add_co_u32 v5, s5, v3, v6
	s_wait_alu 0xf1ff
	v_add_co_ci_u32_e64 v2, null, 0, v4, s5
	s_delay_alu instid0(VALU_DEP_2) | instskip(SKIP_1) | instid1(VALU_DEP_2)
	v_add_co_u32 v3, s5, 0, v5
	s_wait_alu 0xf1ff
	v_add_co_ci_u32_e64 v4, null, v1, v2, s5
	s_delay_alu instid0(VALU_DEP_1)
	v_mov_b32_e32 v2, v4
; %bb.45:
	s_wait_alu 0xfffe
	s_or_b32 exec_lo, exec_lo, s12
	ds_swizzle_b32 v1, v5 offset:swizzle(BROADCAST,32,15)
	ds_swizzle_b32 v6, v2 offset:swizzle(BROADCAST,32,15)
	v_and_b32_e32 v7, 16, v37
	s_mov_b32 s12, exec_lo
	s_delay_alu instid0(VALU_DEP_1)
	v_cmpx_ne_u32_e32 0, v7
	s_cbranch_execz .LBB1340_47
; %bb.46:
	s_wait_dscnt 0x1
	v_add_co_u32 v5, s5, v3, v1
	s_wait_alu 0xf1ff
	v_add_co_ci_u32_e64 v2, null, 0, v4, s5
	s_delay_alu instid0(VALU_DEP_2) | instskip(SKIP_2) | instid1(VALU_DEP_2)
	v_add_co_u32 v1, s5, 0, v5
	s_wait_dscnt 0x0
	s_wait_alu 0xf1ff
	v_add_co_ci_u32_e64 v2, null, v6, v2, s5
	s_delay_alu instid0(VALU_DEP_1)
	v_dual_mov_b32 v4, v2 :: v_dual_mov_b32 v3, v1
.LBB1340_47:
	s_wait_alu 0xfffe
	s_or_b32 exec_lo, exec_lo, s12
	s_wait_dscnt 0x1
	v_and_b32_e32 v1, 0x1e0, v0
	s_mov_b32 s12, exec_lo
	s_delay_alu instid0(VALU_DEP_1) | instskip(SKIP_1) | instid1(VALU_DEP_1)
	v_min_u32_e32 v1, 0x160, v1
	s_wait_dscnt 0x0
	v_or_b32_e32 v6, 31, v1
	v_lshrrev_b32_e32 v1, 5, v0
	s_delay_alu instid0(VALU_DEP_2)
	v_cmpx_eq_u32_e64 v0, v6
; %bb.48:
	s_delay_alu instid0(VALU_DEP_2)
	v_lshlrev_b32_e32 v6, 3, v1
	ds_store_b64 v6, v[3:4]
; %bb.49:
	s_wait_alu 0xfffe
	s_or_b32 exec_lo, exec_lo, s12
	s_delay_alu instid0(SALU_CYCLE_1)
	s_mov_b32 s12, exec_lo
	s_wait_loadcnt_dscnt 0x0
	s_barrier_signal -1
	s_barrier_wait -1
	global_inv scope:SCOPE_SE
	v_cmpx_gt_u32_e32 12, v0
	s_cbranch_execz .LBB1340_59
; %bb.50:
	v_lshlrev_b32_e32 v6, 3, v0
	ds_load_b64 v[3:4], v6
	s_wait_dscnt 0x0
	v_mov_b32_dpp v17, v3 row_shr:1 row_mask:0xf bank_mask:0xf
	v_mov_b32_dpp v8, v4 row_shr:1 row_mask:0xf bank_mask:0xf
	v_mov_b32_e32 v7, v3
	s_and_saveexec_b32 s13, s2
; %bb.51:
	s_delay_alu instid0(VALU_DEP_3) | instskip(SKIP_2) | instid1(VALU_DEP_2)
	v_add_co_u32 v7, s5, v3, v17
	s_wait_alu 0xf1ff
	v_add_co_ci_u32_e64 v4, null, 0, v4, s5
	v_add_co_u32 v3, s5, 0, v7
	s_wait_alu 0xf1ff
	s_delay_alu instid0(VALU_DEP_2)
	v_add_co_ci_u32_e64 v4, null, v8, v4, s5
; %bb.52:
	s_wait_alu 0xfffe
	s_or_b32 exec_lo, exec_lo, s13
	v_mov_b32_dpp v17, v7 row_shr:2 row_mask:0xf bank_mask:0xf
	s_delay_alu instid0(VALU_DEP_2)
	v_mov_b32_dpp v8, v4 row_shr:2 row_mask:0xf bank_mask:0xf
	s_and_saveexec_b32 s5, vcc_lo
; %bb.53:
	s_delay_alu instid0(VALU_DEP_2) | instskip(SKIP_2) | instid1(VALU_DEP_2)
	v_add_co_u32 v7, vcc_lo, v3, v17
	s_wait_alu 0xfffd
	v_add_co_ci_u32_e64 v4, null, 0, v4, vcc_lo
	v_add_co_u32 v3, vcc_lo, 0, v7
	s_wait_alu 0xfffd
	s_delay_alu instid0(VALU_DEP_2)
	v_add_co_ci_u32_e64 v4, null, v8, v4, vcc_lo
; %bb.54:
	s_wait_alu 0xfffe
	s_or_b32 exec_lo, exec_lo, s5
	v_mov_b32_dpp v17, v7 row_shr:4 row_mask:0xf bank_mask:0xf
	s_delay_alu instid0(VALU_DEP_2)
	v_mov_b32_dpp v8, v4 row_shr:4 row_mask:0xf bank_mask:0xf
	s_and_saveexec_b32 s5, s3
; %bb.55:
	s_delay_alu instid0(VALU_DEP_2) | instskip(SKIP_2) | instid1(VALU_DEP_2)
	v_add_co_u32 v7, vcc_lo, v3, v17
	s_wait_alu 0xfffd
	v_add_co_ci_u32_e64 v4, null, 0, v4, vcc_lo
	v_add_co_u32 v3, vcc_lo, 0, v7
	s_wait_alu 0xfffd
	s_delay_alu instid0(VALU_DEP_2)
	v_add_co_ci_u32_e64 v4, null, v8, v4, vcc_lo
; %bb.56:
	s_wait_alu 0xfffe
	s_or_b32 exec_lo, exec_lo, s5
	v_mov_b32_dpp v8, v7 row_shr:8 row_mask:0xf bank_mask:0xf
	s_delay_alu instid0(VALU_DEP_2)
	v_mov_b32_dpp v7, v4 row_shr:8 row_mask:0xf bank_mask:0xf
	s_and_saveexec_b32 s3, s4
; %bb.57:
	s_delay_alu instid0(VALU_DEP_2) | instskip(SKIP_2) | instid1(VALU_DEP_2)
	v_add_co_u32 v3, vcc_lo, v3, v8
	s_wait_alu 0xfffd
	v_add_co_ci_u32_e64 v4, null, 0, v4, vcc_lo
	v_add_co_u32 v3, vcc_lo, v3, 0
	s_wait_alu 0xfffd
	s_delay_alu instid0(VALU_DEP_2)
	v_add_co_ci_u32_e64 v4, null, v4, v7, vcc_lo
; %bb.58:
	s_wait_alu 0xfffe
	s_or_b32 exec_lo, exec_lo, s3
	ds_store_b64 v6, v[3:4]
.LBB1340_59:
	s_wait_alu 0xfffe
	s_or_b32 exec_lo, exec_lo, s12
	s_delay_alu instid0(SALU_CYCLE_1)
	s_mov_b32 s4, exec_lo
	v_cmp_gt_u32_e32 vcc_lo, 32, v0
	s_wait_loadcnt_dscnt 0x0
	s_barrier_signal -1
	s_barrier_wait -1
	global_inv scope:SCOPE_SE
                                        ; implicit-def: $vgpr17_vgpr18
	v_cmpx_lt_u32_e32 31, v0
	s_cbranch_execz .LBB1340_61
; %bb.60:
	v_lshl_add_u32 v1, v1, 3, -8
	ds_load_b64 v[17:18], v1
	s_wait_dscnt 0x0
	v_add_co_u32 v5, s3, v5, v17
	s_wait_alu 0xf1ff
	v_add_co_ci_u32_e64 v2, null, v2, v18, s3
.LBB1340_61:
	s_wait_alu 0xfffe
	s_or_b32 exec_lo, exec_lo, s4
	v_sub_co_u32 v1, s3, v37, 1
	s_delay_alu instid0(VALU_DEP_1) | instskip(SKIP_1) | instid1(VALU_DEP_1)
	v_cmp_gt_i32_e64 s4, 0, v1
	s_wait_alu 0xf1ff
	v_cndmask_b32_e64 v1, v1, v37, s4
	s_delay_alu instid0(VALU_DEP_1)
	v_lshlrev_b32_e32 v1, 2, v1
	ds_bpermute_b32 v23, v1, v5
	ds_bpermute_b32 v24, v1, v2
	s_and_saveexec_b32 s4, vcc_lo
	s_cbranch_execz .LBB1340_100
; %bb.62:
	v_mov_b32_e32 v4, 0
	ds_load_b64 v[1:2], v4 offset:88
	s_and_saveexec_b32 s5, s3
	s_cbranch_execz .LBB1340_64
; %bb.63:
	s_add_co_i32 s12, ttmp9, 32
	s_mov_b32 s13, 0
	s_wait_alu 0xfffe
	s_lshl_b64 s[12:13], s[12:13], 4
	s_wait_kmcnt 0x0
	s_wait_alu 0xfffe
	s_add_nc_u64 s[12:13], s[10:11], s[12:13]
	v_mov_b32_e32 v3, 1
	s_wait_alu 0xfffe
	v_dual_mov_b32 v5, s12 :: v_dual_mov_b32 v6, s13
	s_wait_dscnt 0x0
	;;#ASMSTART
	global_store_b128 v[5:6], v[1:4] off scope:SCOPE_DEV	
s_wait_storecnt 0x0
	;;#ASMEND
.LBB1340_64:
	s_wait_alu 0xfffe
	s_or_b32 exec_lo, exec_lo, s5
	v_xad_u32 v19, v37, -1, ttmp9
	s_mov_b32 s12, 0
	s_mov_b32 s5, exec_lo
	s_delay_alu instid0(VALU_DEP_1) | instskip(NEXT) | instid1(VALU_DEP_1)
	v_add_nc_u32_e32 v3, 32, v19
	v_lshlrev_b64_e32 v[3:4], 4, v[3:4]
	s_wait_kmcnt 0x0
	s_delay_alu instid0(VALU_DEP_1) | instskip(SKIP_1) | instid1(VALU_DEP_2)
	v_add_co_u32 v3, vcc_lo, s10, v3
	s_wait_alu 0xfffd
	v_add_co_ci_u32_e64 v4, null, s11, v4, vcc_lo
	;;#ASMSTART
	global_load_b128 v[5:8], v[3:4] off scope:SCOPE_DEV	
s_wait_loadcnt 0x0
	;;#ASMEND
	v_and_b32_e32 v8, 0xff, v7
	s_delay_alu instid0(VALU_DEP_1)
	v_cmpx_eq_u16_e32 0, v8
	s_cbranch_execz .LBB1340_67
.LBB1340_65:                            ; =>This Inner Loop Header: Depth=1
	;;#ASMSTART
	global_load_b128 v[5:8], v[3:4] off scope:SCOPE_DEV	
s_wait_loadcnt 0x0
	;;#ASMEND
	v_and_b32_e32 v8, 0xff, v7
	s_delay_alu instid0(VALU_DEP_1)
	v_cmp_ne_u16_e32 vcc_lo, 0, v8
	s_wait_alu 0xfffe
	s_or_b32 s12, vcc_lo, s12
	s_wait_alu 0xfffe
	s_and_not1_b32 exec_lo, exec_lo, s12
	s_cbranch_execnz .LBB1340_65
; %bb.66:
	s_or_b32 exec_lo, exec_lo, s12
.LBB1340_67:
	s_wait_alu 0xfffe
	s_or_b32 exec_lo, exec_lo, s5
	v_cmp_ne_u32_e32 vcc_lo, 31, v37
	v_and_b32_e32 v4, 0xff, v7
	v_lshlrev_b32_e64 v26, v37, -1
	s_mov_b32 s5, exec_lo
	s_wait_alu 0xfffd
	v_add_co_ci_u32_e64 v3, null, 0, v37, vcc_lo
	v_cmp_eq_u16_e32 vcc_lo, 2, v4
	s_delay_alu instid0(VALU_DEP_2)
	v_dual_mov_b32 v4, v5 :: v_dual_lshlrev_b32 v25, 2, v3
	s_wait_alu 0xfffd
	v_and_or_b32 v3, vcc_lo, v26, 0x80000000
	ds_bpermute_b32 v20, v25, v5
	ds_bpermute_b32 v8, v25, v6
	v_ctz_i32_b32_e32 v3, v3
	s_delay_alu instid0(VALU_DEP_1)
	v_cmpx_lt_u32_e64 v37, v3
	s_cbranch_execz .LBB1340_69
; %bb.68:
	s_wait_dscnt 0x1
	v_add_co_u32 v4, vcc_lo, v5, v20
	s_wait_alu 0xfffd
	v_add_co_ci_u32_e64 v6, null, 0, v6, vcc_lo
	s_delay_alu instid0(VALU_DEP_2) | instskip(SKIP_2) | instid1(VALU_DEP_2)
	v_add_co_u32 v5, vcc_lo, 0, v4
	s_wait_dscnt 0x0
	s_wait_alu 0xfffd
	v_add_co_ci_u32_e64 v6, null, v8, v6, vcc_lo
.LBB1340_69:
	s_wait_alu 0xfffe
	s_or_b32 exec_lo, exec_lo, s5
	v_cmp_gt_u32_e32 vcc_lo, 30, v37
	v_add_nc_u32_e32 v28, 2, v37
	s_mov_b32 s5, exec_lo
	s_wait_dscnt 0x0
	s_wait_alu 0xfffd
	v_cndmask_b32_e64 v8, 0, 2, vcc_lo
	s_delay_alu instid0(VALU_DEP_1)
	v_add_lshl_u32 v27, v8, v37, 2
	ds_bpermute_b32 v20, v27, v4
	ds_bpermute_b32 v8, v27, v6
	v_cmpx_le_u32_e64 v28, v3
	s_cbranch_execz .LBB1340_71
; %bb.70:
	s_wait_dscnt 0x1
	v_add_co_u32 v4, vcc_lo, v5, v20
	s_wait_alu 0xfffd
	v_add_co_ci_u32_e64 v6, null, 0, v6, vcc_lo
	s_delay_alu instid0(VALU_DEP_2) | instskip(SKIP_2) | instid1(VALU_DEP_2)
	v_add_co_u32 v5, vcc_lo, 0, v4
	s_wait_dscnt 0x0
	s_wait_alu 0xfffd
	v_add_co_ci_u32_e64 v6, null, v8, v6, vcc_lo
.LBB1340_71:
	s_wait_alu 0xfffe
	s_or_b32 exec_lo, exec_lo, s5
	v_cmp_gt_u32_e32 vcc_lo, 28, v37
	v_add_nc_u32_e32 v41, 4, v37
	s_mov_b32 s5, exec_lo
	s_wait_dscnt 0x0
	s_wait_alu 0xfffd
	v_cndmask_b32_e64 v8, 0, 4, vcc_lo
	s_delay_alu instid0(VALU_DEP_1)
	v_add_lshl_u32 v40, v8, v37, 2
	ds_bpermute_b32 v20, v40, v4
	ds_bpermute_b32 v8, v40, v6
	v_cmpx_le_u32_e64 v41, v3
	;; [unrolled: 25-line block ×3, first 2 shown]
	s_cbranch_execz .LBB1340_75
; %bb.74:
	s_wait_dscnt 0x1
	v_add_co_u32 v4, vcc_lo, v5, v20
	s_wait_alu 0xfffd
	v_add_co_ci_u32_e64 v6, null, 0, v6, vcc_lo
	s_delay_alu instid0(VALU_DEP_2) | instskip(SKIP_2) | instid1(VALU_DEP_2)
	v_add_co_u32 v5, vcc_lo, 0, v4
	s_wait_dscnt 0x0
	s_wait_alu 0xfffd
	v_add_co_ci_u32_e64 v6, null, v8, v6, vcc_lo
.LBB1340_75:
	s_wait_alu 0xfffe
	s_or_b32 exec_lo, exec_lo, s5
	v_lshl_or_b32 v44, v37, 2, 64
	v_add_nc_u32_e32 v45, 16, v37
	s_mov_b32 s5, exec_lo
	s_wait_dscnt 0x0
	ds_bpermute_b32 v8, v44, v4
	ds_bpermute_b32 v4, v44, v6
	v_cmpx_le_u32_e64 v45, v3
	s_cbranch_execz .LBB1340_77
; %bb.76:
	s_wait_dscnt 0x1
	v_add_co_u32 v3, vcc_lo, v5, v8
	s_wait_alu 0xfffd
	v_add_co_ci_u32_e64 v6, null, 0, v6, vcc_lo
	s_delay_alu instid0(VALU_DEP_2) | instskip(SKIP_2) | instid1(VALU_DEP_2)
	v_add_co_u32 v5, vcc_lo, v3, 0
	s_wait_dscnt 0x0
	s_wait_alu 0xfffd
	v_add_co_ci_u32_e64 v6, null, v6, v4, vcc_lo
.LBB1340_77:
	s_wait_alu 0xfffe
	s_or_b32 exec_lo, exec_lo, s5
	v_mov_b32_e32 v20, 0
	s_branch .LBB1340_80
.LBB1340_78:                            ;   in Loop: Header=BB1340_80 Depth=1
	s_wait_alu 0xfffe
	s_or_b32 exec_lo, exec_lo, s5
	v_add_co_u32 v5, vcc_lo, v5, v3
	v_subrev_nc_u32_e32 v19, 32, v19
	s_wait_alu 0xfffd
	v_add_co_ci_u32_e64 v6, null, v6, v4, vcc_lo
	s_mov_b32 s5, 0
.LBB1340_79:                            ;   in Loop: Header=BB1340_80 Depth=1
	s_wait_alu 0xfffe
	s_and_b32 vcc_lo, exec_lo, s5
	s_wait_alu 0xfffe
	s_cbranch_vccnz .LBB1340_96
.LBB1340_80:                            ; =>This Loop Header: Depth=1
                                        ;     Child Loop BB1340_83 Depth 2
	v_and_b32_e32 v3, 0xff, v7
	s_mov_b32 s5, -1
	s_delay_alu instid0(VALU_DEP_1)
	v_cmp_ne_u16_e32 vcc_lo, 2, v3
	s_wait_dscnt 0x0
	v_dual_mov_b32 v3, v5 :: v_dual_mov_b32 v4, v6
                                        ; implicit-def: $vgpr5_vgpr6
	s_cmp_lg_u32 vcc_lo, exec_lo
	s_cbranch_scc1 .LBB1340_79
; %bb.81:                               ;   in Loop: Header=BB1340_80 Depth=1
	v_lshlrev_b64_e32 v[5:6], 4, v[19:20]
	s_mov_b32 s5, exec_lo
	s_delay_alu instid0(VALU_DEP_1) | instskip(SKIP_1) | instid1(VALU_DEP_2)
	v_add_co_u32 v21, vcc_lo, s10, v5
	s_wait_alu 0xfffd
	v_add_co_ci_u32_e64 v22, null, s11, v6, vcc_lo
	;;#ASMSTART
	global_load_b128 v[5:8], v[21:22] off scope:SCOPE_DEV	
s_wait_loadcnt 0x0
	;;#ASMEND
	v_and_b32_e32 v8, 0xff, v7
	s_delay_alu instid0(VALU_DEP_1)
	v_cmpx_eq_u16_e32 0, v8
	s_cbranch_execz .LBB1340_85
; %bb.82:                               ;   in Loop: Header=BB1340_80 Depth=1
	s_mov_b32 s12, 0
.LBB1340_83:                            ;   Parent Loop BB1340_80 Depth=1
                                        ; =>  This Inner Loop Header: Depth=2
	;;#ASMSTART
	global_load_b128 v[5:8], v[21:22] off scope:SCOPE_DEV	
s_wait_loadcnt 0x0
	;;#ASMEND
	v_and_b32_e32 v8, 0xff, v7
	s_delay_alu instid0(VALU_DEP_1)
	v_cmp_ne_u16_e32 vcc_lo, 0, v8
	s_wait_alu 0xfffe
	s_or_b32 s12, vcc_lo, s12
	s_wait_alu 0xfffe
	s_and_not1_b32 exec_lo, exec_lo, s12
	s_cbranch_execnz .LBB1340_83
; %bb.84:                               ;   in Loop: Header=BB1340_80 Depth=1
	s_or_b32 exec_lo, exec_lo, s12
.LBB1340_85:                            ;   in Loop: Header=BB1340_80 Depth=1
	s_wait_alu 0xfffe
	s_or_b32 exec_lo, exec_lo, s5
	v_dual_mov_b32 v21, v5 :: v_dual_and_b32 v8, 0xff, v7
	ds_bpermute_b32 v46, v25, v5
	ds_bpermute_b32 v22, v25, v6
	s_mov_b32 s5, exec_lo
	v_cmp_eq_u16_e32 vcc_lo, 2, v8
	s_wait_alu 0xfffd
	v_and_or_b32 v8, vcc_lo, v26, 0x80000000
	s_delay_alu instid0(VALU_DEP_1) | instskip(NEXT) | instid1(VALU_DEP_1)
	v_ctz_i32_b32_e32 v8, v8
	v_cmpx_lt_u32_e64 v37, v8
	s_cbranch_execz .LBB1340_87
; %bb.86:                               ;   in Loop: Header=BB1340_80 Depth=1
	s_wait_dscnt 0x1
	v_add_co_u32 v21, vcc_lo, v5, v46
	s_wait_alu 0xfffd
	v_add_co_ci_u32_e64 v6, null, 0, v6, vcc_lo
	s_delay_alu instid0(VALU_DEP_2) | instskip(SKIP_2) | instid1(VALU_DEP_2)
	v_add_co_u32 v5, vcc_lo, 0, v21
	s_wait_dscnt 0x0
	s_wait_alu 0xfffd
	v_add_co_ci_u32_e64 v6, null, v22, v6, vcc_lo
.LBB1340_87:                            ;   in Loop: Header=BB1340_80 Depth=1
	s_wait_alu 0xfffe
	s_or_b32 exec_lo, exec_lo, s5
	s_wait_dscnt 0x1
	ds_bpermute_b32 v46, v27, v21
	s_wait_dscnt 0x1
	ds_bpermute_b32 v22, v27, v6
	s_mov_b32 s5, exec_lo
	v_cmpx_le_u32_e64 v28, v8
	s_cbranch_execz .LBB1340_89
; %bb.88:                               ;   in Loop: Header=BB1340_80 Depth=1
	s_wait_dscnt 0x1
	v_add_co_u32 v21, vcc_lo, v5, v46
	s_wait_alu 0xfffd
	v_add_co_ci_u32_e64 v6, null, 0, v6, vcc_lo
	s_delay_alu instid0(VALU_DEP_2) | instskip(SKIP_2) | instid1(VALU_DEP_2)
	v_add_co_u32 v5, vcc_lo, 0, v21
	s_wait_dscnt 0x0
	s_wait_alu 0xfffd
	v_add_co_ci_u32_e64 v6, null, v22, v6, vcc_lo
.LBB1340_89:                            ;   in Loop: Header=BB1340_80 Depth=1
	s_wait_alu 0xfffe
	s_or_b32 exec_lo, exec_lo, s5
	s_wait_dscnt 0x1
	ds_bpermute_b32 v46, v40, v21
	s_wait_dscnt 0x1
	ds_bpermute_b32 v22, v40, v6
	s_mov_b32 s5, exec_lo
	v_cmpx_le_u32_e64 v41, v8
	;; [unrolled: 20-line block ×3, first 2 shown]
	s_cbranch_execz .LBB1340_93
; %bb.92:                               ;   in Loop: Header=BB1340_80 Depth=1
	s_wait_dscnt 0x1
	v_add_co_u32 v21, vcc_lo, v5, v46
	s_wait_alu 0xfffd
	v_add_co_ci_u32_e64 v6, null, 0, v6, vcc_lo
	s_delay_alu instid0(VALU_DEP_2) | instskip(SKIP_2) | instid1(VALU_DEP_2)
	v_add_co_u32 v5, vcc_lo, 0, v21
	s_wait_dscnt 0x0
	s_wait_alu 0xfffd
	v_add_co_ci_u32_e64 v6, null, v22, v6, vcc_lo
.LBB1340_93:                            ;   in Loop: Header=BB1340_80 Depth=1
	s_wait_alu 0xfffe
	s_or_b32 exec_lo, exec_lo, s5
	s_wait_dscnt 0x0
	ds_bpermute_b32 v22, v44, v21
	ds_bpermute_b32 v21, v44, v6
	s_mov_b32 s5, exec_lo
	v_cmpx_le_u32_e64 v45, v8
	s_cbranch_execz .LBB1340_78
; %bb.94:                               ;   in Loop: Header=BB1340_80 Depth=1
	s_wait_dscnt 0x1
	v_add_co_u32 v5, vcc_lo, v5, v22
	s_wait_alu 0xfffd
	v_add_co_ci_u32_e64 v6, null, 0, v6, vcc_lo
	s_delay_alu instid0(VALU_DEP_2) | instskip(SKIP_2) | instid1(VALU_DEP_2)
	v_add_co_u32 v5, vcc_lo, v5, 0
	s_wait_dscnt 0x0
	s_wait_alu 0xfffd
	v_add_co_ci_u32_e64 v6, null, v6, v21, vcc_lo
	s_branch .LBB1340_78
.LBB1340_95:
                                        ; implicit-def: $vgpr17_vgpr18
                                        ; implicit-def: $vgpr6_vgpr7
                                        ; implicit-def: $vgpr19_vgpr20
                                        ; implicit-def: $vgpr21_vgpr22
                                        ; implicit-def: $vgpr23_vgpr24
                                        ; implicit-def: $vgpr25_vgpr26
                                        ; implicit-def: $vgpr27_vgpr28
                                        ; implicit-def: $vgpr4_vgpr5
	s_load_b64 s[4:5], s[0:1], 0x30
	s_and_b32 vcc_lo, exec_lo, s3
	s_wait_alu 0xfffe
	s_cbranch_vccnz .LBB1340_101
	s_branch .LBB1340_128
.LBB1340_96:
	s_and_saveexec_b32 s5, s3
	s_cbranch_execz .LBB1340_98
; %bb.97:
	s_add_co_i32 s12, ttmp9, 32
	s_mov_b32 s13, 0
	v_add_co_u32 v5, vcc_lo, v3, v1
	s_wait_alu 0xfffe
	s_lshl_b64 s[12:13], s[12:13], 4
	v_dual_mov_b32 v7, 2 :: v_dual_mov_b32 v8, 0
	s_wait_alu 0xfffe
	s_add_nc_u64 s[12:13], s[10:11], s[12:13]
	s_wait_alu 0xfffd
	v_add_co_ci_u32_e64 v6, null, v4, v2, vcc_lo
	s_wait_alu 0xfffe
	v_dual_mov_b32 v20, s13 :: v_dual_mov_b32 v19, s12
	;;#ASMSTART
	global_store_b128 v[19:20], v[5:8] off scope:SCOPE_DEV	
s_wait_storecnt 0x0
	;;#ASMEND
	ds_store_b128 v8, v[1:4] offset:10752
.LBB1340_98:
	s_wait_alu 0xfffe
	s_or_b32 exec_lo, exec_lo, s5
	v_cmp_eq_u32_e32 vcc_lo, 0, v0
	s_and_b32 exec_lo, exec_lo, vcc_lo
; %bb.99:
	v_mov_b32_e32 v1, 0
	ds_store_b64 v1, v[3:4] offset:88
.LBB1340_100:
	s_wait_alu 0xfffe
	s_or_b32 exec_lo, exec_lo, s4
	s_wait_dscnt 0x1
	v_cndmask_b32_e64 v4, v23, v17, s3
	v_cmp_ne_u32_e32 vcc_lo, 0, v0
	v_mov_b32_e32 v3, 0
	s_wait_loadcnt_dscnt 0x0
	s_barrier_signal -1
	s_barrier_wait -1
	global_inv scope:SCOPE_SE
	s_wait_alu 0xfffd
	v_cndmask_b32_e32 v4, 0, v4, vcc_lo
	ds_load_b64 v[1:2], v3 offset:88
	v_cndmask_b32_e64 v5, v24, v18, s3
	s_wait_loadcnt_dscnt 0x0
	s_barrier_signal -1
	s_barrier_wait -1
	global_inv scope:SCOPE_SE
	v_cndmask_b32_e32 v5, 0, v5, vcc_lo
	v_add_co_u32 v27, vcc_lo, v1, v4
	s_wait_alu 0xfffd
	s_delay_alu instid0(VALU_DEP_2) | instskip(SKIP_4) | instid1(VALU_DEP_2)
	v_add_co_ci_u32_e64 v28, null, v2, v5, vcc_lo
	ds_load_b128 v[2:5], v3 offset:10752
	v_add_co_u32 v25, vcc_lo, v27, v36
	s_wait_alu 0xfffd
	v_add_co_ci_u32_e64 v26, null, 0, v28, vcc_lo
	v_add_co_u32 v23, vcc_lo, v25, v35
	s_wait_alu 0xfffd
	s_delay_alu instid0(VALU_DEP_2) | instskip(NEXT) | instid1(VALU_DEP_2)
	v_add_co_ci_u32_e64 v24, null, 0, v26, vcc_lo
	v_add_co_u32 v21, vcc_lo, v23, v33
	s_wait_alu 0xfffd
	s_delay_alu instid0(VALU_DEP_2) | instskip(NEXT) | instid1(VALU_DEP_2)
	;; [unrolled: 4-line block ×4, first 2 shown]
	v_add_co_ci_u32_e64 v7, null, 0, v20, vcc_lo
	v_add_co_u32 v17, vcc_lo, v6, v31
	s_wait_alu 0xfffd
	s_delay_alu instid0(VALU_DEP_2)
	v_add_co_ci_u32_e64 v18, null, 0, v7, vcc_lo
	s_load_b64 s[4:5], s[0:1], 0x30
	s_branch .LBB1340_128
.LBB1340_101:
	s_wait_dscnt 0x0
	v_dual_mov_b32 v2, 0 :: v_dual_mov_b32 v3, v15
	v_mov_b32_dpp v4, v15 row_shr:1 row_mask:0xf bank_mask:0xf
	s_delay_alu instid0(VALU_DEP_2)
	v_mov_b32_dpp v1, v2 row_shr:1 row_mask:0xf bank_mask:0xf
	s_and_saveexec_b32 s0, s2
; %bb.102:
	s_delay_alu instid0(VALU_DEP_2) | instskip(SKIP_2) | instid1(VALU_DEP_2)
	v_add_co_u32 v3, vcc_lo, v15, v4
	s_wait_alu 0xfffd
	v_add_co_ci_u32_e64 v2, null, 0, v16, vcc_lo
	v_add_co_u32 v15, vcc_lo, 0, v3
	s_wait_alu 0xfffd
	s_delay_alu instid0(VALU_DEP_2) | instskip(NEXT) | instid1(VALU_DEP_1)
	v_add_co_ci_u32_e64 v16, null, v1, v2, vcc_lo
	v_mov_b32_e32 v2, v16
; %bb.103:
	s_or_b32 exec_lo, exec_lo, s0
	v_mov_b32_dpp v1, v3 row_shr:2 row_mask:0xf bank_mask:0xf
	s_delay_alu instid0(VALU_DEP_2)
	v_mov_b32_dpp v4, v2 row_shr:2 row_mask:0xf bank_mask:0xf
	v_cmp_lt_u32_e32 vcc_lo, 1, v39
	s_and_saveexec_b32 s1, vcc_lo
; %bb.104:
	s_delay_alu instid0(VALU_DEP_3) | instskip(NEXT) | instid1(VALU_DEP_1)
	v_add_co_u32 v3, s0, v15, v1
	v_add_co_ci_u32_e64 v2, null, 0, v16, s0
	s_delay_alu instid0(VALU_DEP_2) | instskip(SKIP_1) | instid1(VALU_DEP_2)
	v_add_co_u32 v1, s0, 0, v3
	s_wait_alu 0xf1ff
	v_add_co_ci_u32_e64 v2, null, v4, v2, s0
	s_delay_alu instid0(VALU_DEP_1)
	v_dual_mov_b32 v16, v2 :: v_dual_mov_b32 v15, v1
; %bb.105:
	s_or_b32 exec_lo, exec_lo, s1
	v_mov_b32_dpp v1, v3 row_shr:4 row_mask:0xf bank_mask:0xf
	v_mov_b32_dpp v4, v2 row_shr:4 row_mask:0xf bank_mask:0xf
	v_cmp_lt_u32_e64 s0, 3, v39
	s_and_saveexec_b32 s3, s0
; %bb.106:
	v_add_co_u32 v3, s1, v15, v1
	s_wait_alu 0xf1ff
	v_add_co_ci_u32_e64 v2, null, 0, v16, s1
	s_delay_alu instid0(VALU_DEP_2) | instskip(SKIP_1) | instid1(VALU_DEP_2)
	v_add_co_u32 v1, s1, 0, v3
	s_wait_alu 0xf1ff
	v_add_co_ci_u32_e64 v2, null, v4, v2, s1
	s_delay_alu instid0(VALU_DEP_1)
	v_dual_mov_b32 v16, v2 :: v_dual_mov_b32 v15, v1
; %bb.107:
	s_wait_alu 0xfffe
	s_or_b32 exec_lo, exec_lo, s3
	v_mov_b32_dpp v4, v3 row_shr:8 row_mask:0xf bank_mask:0xf
	v_mov_b32_dpp v1, v2 row_shr:8 row_mask:0xf bank_mask:0xf
	v_cmp_lt_u32_e64 s1, 7, v39
	s_and_saveexec_b32 s12, s1
; %bb.108:
	v_add_co_u32 v3, s3, v15, v4
	s_wait_alu 0xf1ff
	v_add_co_ci_u32_e64 v2, null, 0, v16, s3
	s_delay_alu instid0(VALU_DEP_2) | instskip(SKIP_1) | instid1(VALU_DEP_2)
	v_add_co_u32 v15, s3, 0, v3
	s_wait_alu 0xf1ff
	v_add_co_ci_u32_e64 v16, null, v1, v2, s3
	s_delay_alu instid0(VALU_DEP_1)
	v_mov_b32_e32 v2, v16
; %bb.109:
	s_wait_alu 0xfffe
	s_or_b32 exec_lo, exec_lo, s12
	ds_swizzle_b32 v3, v3 offset:swizzle(BROADCAST,32,15)
	ds_swizzle_b32 v1, v2 offset:swizzle(BROADCAST,32,15)
	v_and_b32_e32 v2, 16, v37
	s_mov_b32 s12, exec_lo
	s_delay_alu instid0(VALU_DEP_1)
	v_cmpx_ne_u32_e32 0, v2
	s_cbranch_execz .LBB1340_111
; %bb.110:
	s_wait_dscnt 0x1
	v_add_co_u32 v2, s3, v15, v3
	s_wait_alu 0xf1ff
	v_add_co_ci_u32_e64 v3, null, 0, v16, s3
	s_delay_alu instid0(VALU_DEP_2) | instskip(SKIP_2) | instid1(VALU_DEP_2)
	v_add_co_u32 v15, s3, v2, 0
	s_wait_dscnt 0x0
	s_wait_alu 0xf1ff
	v_add_co_ci_u32_e64 v16, null, v3, v1, s3
.LBB1340_111:
	s_wait_alu 0xfffe
	s_or_b32 exec_lo, exec_lo, s12
	s_wait_dscnt 0x0
	v_and_b32_e32 v1, 0x1e0, v0
	v_lshrrev_b32_e32 v3, 5, v0
	s_mov_b32 s12, exec_lo
	s_delay_alu instid0(VALU_DEP_2) | instskip(NEXT) | instid1(VALU_DEP_1)
	v_min_u32_e32 v1, 0x160, v1
	v_or_b32_e32 v1, 31, v1
	s_delay_alu instid0(VALU_DEP_1)
	v_cmpx_eq_u32_e64 v0, v1
; %bb.112:
	v_lshlrev_b32_e32 v1, 3, v3
	ds_store_b64 v1, v[15:16]
; %bb.113:
	s_wait_alu 0xfffe
	s_or_b32 exec_lo, exec_lo, s12
	s_delay_alu instid0(SALU_CYCLE_1)
	s_mov_b32 s12, exec_lo
	s_wait_loadcnt_dscnt 0x0
	s_barrier_signal -1
	s_barrier_wait -1
	global_inv scope:SCOPE_SE
	v_cmpx_gt_u32_e32 12, v0
	s_cbranch_execz .LBB1340_123
; %bb.114:
	v_add_nc_u32_e32 v4, v38, v0
	ds_load_b64 v[1:2], v4
	s_wait_dscnt 0x0
	v_mov_b32_dpp v7, v1 row_shr:1 row_mask:0xf bank_mask:0xf
	v_mov_b32_dpp v6, v2 row_shr:1 row_mask:0xf bank_mask:0xf
	v_mov_b32_e32 v5, v1
	s_and_saveexec_b32 s3, s2
; %bb.115:
	s_delay_alu instid0(VALU_DEP_3) | instskip(SKIP_2) | instid1(VALU_DEP_2)
	v_add_co_u32 v5, s2, v1, v7
	s_wait_alu 0xf1ff
	v_add_co_ci_u32_e64 v2, null, 0, v2, s2
	v_add_co_u32 v1, s2, 0, v5
	s_wait_alu 0xf1ff
	s_delay_alu instid0(VALU_DEP_2)
	v_add_co_ci_u32_e64 v2, null, v6, v2, s2
; %bb.116:
	s_wait_alu 0xfffe
	s_or_b32 exec_lo, exec_lo, s3
	v_mov_b32_dpp v7, v5 row_shr:2 row_mask:0xf bank_mask:0xf
	s_delay_alu instid0(VALU_DEP_2)
	v_mov_b32_dpp v6, v2 row_shr:2 row_mask:0xf bank_mask:0xf
	s_and_saveexec_b32 s2, vcc_lo
; %bb.117:
	s_delay_alu instid0(VALU_DEP_2) | instskip(SKIP_2) | instid1(VALU_DEP_2)
	v_add_co_u32 v5, vcc_lo, v1, v7
	s_wait_alu 0xfffd
	v_add_co_ci_u32_e64 v2, null, 0, v2, vcc_lo
	v_add_co_u32 v1, vcc_lo, 0, v5
	s_wait_alu 0xfffd
	s_delay_alu instid0(VALU_DEP_2)
	v_add_co_ci_u32_e64 v2, null, v6, v2, vcc_lo
; %bb.118:
	s_wait_alu 0xfffe
	s_or_b32 exec_lo, exec_lo, s2
	v_mov_b32_dpp v7, v5 row_shr:4 row_mask:0xf bank_mask:0xf
	s_delay_alu instid0(VALU_DEP_2)
	v_mov_b32_dpp v6, v2 row_shr:4 row_mask:0xf bank_mask:0xf
	s_and_saveexec_b32 s2, s0
; %bb.119:
	s_delay_alu instid0(VALU_DEP_2) | instskip(SKIP_2) | instid1(VALU_DEP_2)
	v_add_co_u32 v5, vcc_lo, v1, v7
	s_wait_alu 0xfffd
	v_add_co_ci_u32_e64 v2, null, 0, v2, vcc_lo
	v_add_co_u32 v1, vcc_lo, 0, v5
	s_wait_alu 0xfffd
	s_delay_alu instid0(VALU_DEP_2)
	v_add_co_ci_u32_e64 v2, null, v6, v2, vcc_lo
; %bb.120:
	s_wait_alu 0xfffe
	s_or_b32 exec_lo, exec_lo, s2
	v_mov_b32_dpp v6, v5 row_shr:8 row_mask:0xf bank_mask:0xf
	s_delay_alu instid0(VALU_DEP_2)
	v_mov_b32_dpp v5, v2 row_shr:8 row_mask:0xf bank_mask:0xf
	s_and_saveexec_b32 s0, s1
; %bb.121:
	s_delay_alu instid0(VALU_DEP_2) | instskip(SKIP_2) | instid1(VALU_DEP_2)
	v_add_co_u32 v1, vcc_lo, v1, v6
	s_wait_alu 0xfffd
	v_add_co_ci_u32_e64 v2, null, 0, v2, vcc_lo
	v_add_co_u32 v1, vcc_lo, v1, 0
	s_wait_alu 0xfffd
	s_delay_alu instid0(VALU_DEP_2)
	v_add_co_ci_u32_e64 v2, null, v2, v5, vcc_lo
; %bb.122:
	s_wait_alu 0xfffe
	s_or_b32 exec_lo, exec_lo, s0
	ds_store_b64 v4, v[1:2]
.LBB1340_123:
	s_wait_alu 0xfffe
	s_or_b32 exec_lo, exec_lo, s12
	v_mov_b32_e32 v6, 0
	v_mov_b32_e32 v7, 0
	s_mov_b32 s0, exec_lo
	s_wait_loadcnt_dscnt 0x0
	s_barrier_signal -1
	s_barrier_wait -1
	global_inv scope:SCOPE_SE
	v_cmpx_lt_u32_e32 31, v0
; %bb.124:
	v_lshl_add_u32 v1, v3, 3, -8
	ds_load_b64 v[6:7], v1
; %bb.125:
	s_wait_alu 0xfffe
	s_or_b32 exec_lo, exec_lo, s0
	v_sub_co_u32 v1, vcc_lo, v37, 1
	v_mov_b32_e32 v5, 0
	s_delay_alu instid0(VALU_DEP_2) | instskip(SKIP_1) | instid1(VALU_DEP_1)
	v_cmp_gt_i32_e64 s0, 0, v1
	s_wait_alu 0xf1ff
	v_cndmask_b32_e64 v1, v1, v37, s0
	s_delay_alu instid0(VALU_DEP_1)
	v_lshlrev_b32_e32 v2, 2, v1
	s_wait_dscnt 0x0
	v_add_co_u32 v1, s0, v6, v15
	s_wait_alu 0xf1ff
	v_add_co_ci_u32_e64 v3, null, v7, v16, s0
	v_cmp_eq_u32_e64 s0, 0, v0
	ds_bpermute_b32 v1, v2, v1
	ds_bpermute_b32 v8, v2, v3
	ds_load_b64 v[2:3], v5 offset:88
	s_and_saveexec_b32 s1, s0
	s_cbranch_execz .LBB1340_127
; %bb.126:
	s_wait_kmcnt 0x0
	s_add_nc_u64 s[2:3], s[10:11], 0x200
	v_mov_b32_e32 v4, 2
	s_wait_alu 0xfffe
	v_dual_mov_b32 v16, s3 :: v_dual_mov_b32 v15, s2
	s_wait_dscnt 0x0
	;;#ASMSTART
	global_store_b128 v[15:16], v[2:5] off scope:SCOPE_DEV	
s_wait_storecnt 0x0
	;;#ASMEND
.LBB1340_127:
	s_wait_alu 0xfffe
	s_or_b32 exec_lo, exec_lo, s1
	s_wait_dscnt 0x1
	s_wait_alu 0xfffd
	v_dual_cndmask_b32 v1, v1, v6 :: v_dual_cndmask_b32 v4, v8, v7
	s_wait_loadcnt_dscnt 0x0
	s_barrier_signal -1
	s_barrier_wait -1
	s_delay_alu instid0(VALU_DEP_1)
	v_cndmask_b32_e64 v27, v1, 0, s0
	v_cndmask_b32_e64 v28, v4, 0, s0
	v_mov_b32_e32 v4, 0
	v_mov_b32_e32 v5, 0
	global_inv scope:SCOPE_SE
	v_add_co_u32 v25, vcc_lo, v27, v36
	s_wait_alu 0xfffd
	v_add_co_ci_u32_e64 v26, null, 0, v28, vcc_lo
	s_delay_alu instid0(VALU_DEP_2) | instskip(SKIP_1) | instid1(VALU_DEP_2)
	v_add_co_u32 v23, vcc_lo, v25, v35
	s_wait_alu 0xfffd
	v_add_co_ci_u32_e64 v24, null, 0, v26, vcc_lo
	s_delay_alu instid0(VALU_DEP_2) | instskip(SKIP_1) | instid1(VALU_DEP_2)
	v_add_co_u32 v21, vcc_lo, v23, v33
	s_wait_alu 0xfffd
	v_add_co_ci_u32_e64 v22, null, 0, v24, vcc_lo
	s_delay_alu instid0(VALU_DEP_2) | instskip(SKIP_1) | instid1(VALU_DEP_2)
	v_add_co_u32 v19, vcc_lo, v21, v32
	s_wait_alu 0xfffd
	v_add_co_ci_u32_e64 v20, null, 0, v22, vcc_lo
	s_delay_alu instid0(VALU_DEP_2) | instskip(SKIP_1) | instid1(VALU_DEP_2)
	v_add_co_u32 v6, vcc_lo, v19, v34
	s_wait_alu 0xfffd
	v_add_co_ci_u32_e64 v7, null, 0, v20, vcc_lo
	s_delay_alu instid0(VALU_DEP_2) | instskip(SKIP_1) | instid1(VALU_DEP_2)
	v_add_co_u32 v17, vcc_lo, v6, v31
	s_wait_alu 0xfffd
	v_add_co_ci_u32_e64 v18, null, 0, v7, vcc_lo
.LBB1340_128:
	s_wait_dscnt 0x0
	v_cmp_gt_u64_e32 vcc_lo, 0x181, v[2:3]
	v_cmp_eq_u32_e64 s0, 1, v36
	s_mov_b32 s1, -1
	s_cbranch_vccnz .LBB1340_132
; %bb.129:
	s_wait_alu 0xfffe
	s_and_b32 vcc_lo, exec_lo, s1
	s_wait_alu 0xfffe
	s_cbranch_vccnz .LBB1340_147
.LBB1340_130:
	v_cmp_eq_u32_e32 vcc_lo, 0, v0
	s_and_b32 s0, vcc_lo, s16
	s_wait_alu 0xfffe
	s_and_saveexec_b32 s1, s0
	s_cbranch_execnz .LBB1340_164
.LBB1340_131:
	s_endpgm
.LBB1340_132:
	v_add_co_u32 v15, vcc_lo, v4, v2
	s_wait_alu 0xfffd
	v_add_co_ci_u32_e64 v16, null, v5, v3, vcc_lo
	s_lshl_b64 s[2:3], s[6:7], 2
	s_wait_kmcnt 0x0
	s_wait_alu 0xfffe
	s_add_nc_u64 s[2:3], s[4:5], s[2:3]
	v_cmp_lt_u64_e32 vcc_lo, v[27:28], v[15:16]
	s_or_b32 s1, s17, vcc_lo
	s_wait_alu 0xfffe
	s_and_b32 s1, s1, s0
	s_wait_alu 0xfffe
	s_and_saveexec_b32 s0, s1
	s_cbranch_execz .LBB1340_134
; %bb.133:
	v_lshlrev_b64_e32 v[37:38], 2, v[27:28]
	s_delay_alu instid0(VALU_DEP_1) | instskip(SKIP_1) | instid1(VALU_DEP_2)
	v_add_co_u32 v37, vcc_lo, s2, v37
	s_wait_alu 0xfffd
	v_add_co_ci_u32_e64 v38, null, s3, v38, vcc_lo
	global_store_b32 v[37:38], v13, off
.LBB1340_134:
	s_wait_alu 0xfffe
	s_or_b32 exec_lo, exec_lo, s0
	v_cmp_lt_u64_e32 vcc_lo, v[25:26], v[15:16]
	v_cmp_eq_u32_e64 s0, 1, v35
	s_or_b32 s1, s17, vcc_lo
	s_wait_alu 0xfffe
	s_and_b32 s1, s1, s0
	s_wait_alu 0xfffe
	s_and_saveexec_b32 s0, s1
	s_cbranch_execz .LBB1340_136
; %bb.135:
	v_lshlrev_b64_e32 v[37:38], 2, v[25:26]
	s_delay_alu instid0(VALU_DEP_1) | instskip(SKIP_1) | instid1(VALU_DEP_2)
	v_add_co_u32 v37, vcc_lo, s2, v37
	s_wait_alu 0xfffd
	v_add_co_ci_u32_e64 v38, null, s3, v38, vcc_lo
	global_store_b32 v[37:38], v14, off
.LBB1340_136:
	s_wait_alu 0xfffe
	s_or_b32 exec_lo, exec_lo, s0
	v_cmp_lt_u64_e32 vcc_lo, v[23:24], v[15:16]
	v_cmp_eq_u32_e64 s0, 1, v33
	;; [unrolled: 18-line block ×6, first 2 shown]
	s_or_b32 s1, s17, vcc_lo
	s_wait_alu 0xfffe
	s_and_b32 s1, s1, s0
	s_wait_alu 0xfffe
	s_and_saveexec_b32 s0, s1
	s_cbranch_execz .LBB1340_146
; %bb.145:
	v_lshlrev_b64_e32 v[7:8], 2, v[17:18]
	s_delay_alu instid0(VALU_DEP_1) | instskip(SKIP_1) | instid1(VALU_DEP_2)
	v_add_co_u32 v7, vcc_lo, s2, v7
	s_wait_alu 0xfffd
	v_add_co_ci_u32_e64 v8, null, s3, v8, vcc_lo
	global_store_b32 v[7:8], v29, off
.LBB1340_146:
	s_wait_alu 0xfffe
	s_or_b32 exec_lo, exec_lo, s0
	s_branch .LBB1340_130
.LBB1340_147:
	s_mov_b32 s0, exec_lo
	v_cmpx_eq_u32_e32 1, v36
; %bb.148:
	v_sub_nc_u32_e32 v1, v27, v4
	s_delay_alu instid0(VALU_DEP_1)
	v_lshlrev_b32_e32 v1, 2, v1
	ds_store_b32 v1, v13
; %bb.149:
	s_wait_alu 0xfffe
	s_or_b32 exec_lo, exec_lo, s0
	s_delay_alu instid0(SALU_CYCLE_1)
	s_mov_b32 s0, exec_lo
	v_cmpx_eq_u32_e32 1, v35
; %bb.150:
	v_sub_nc_u32_e32 v1, v25, v4
	s_delay_alu instid0(VALU_DEP_1)
	v_lshlrev_b32_e32 v1, 2, v1
	ds_store_b32 v1, v14
; %bb.151:
	s_wait_alu 0xfffe
	s_or_b32 exec_lo, exec_lo, s0
	s_delay_alu instid0(SALU_CYCLE_1)
	;; [unrolled: 11-line block ×6, first 2 shown]
	s_mov_b32 s0, exec_lo
	v_cmpx_eq_u32_e32 1, v30
; %bb.160:
	v_sub_nc_u32_e32 v1, v17, v4
	s_delay_alu instid0(VALU_DEP_1)
	v_lshlrev_b32_e32 v1, 2, v1
	ds_store_b32 v1, v29
; %bb.161:
	s_wait_alu 0xfffe
	s_or_b32 exec_lo, exec_lo, s0
	v_lshlrev_b64_e32 v[8:9], 2, v[4:5]
	v_mov_b32_e32 v7, 0
	s_lshl_b64 s[0:1], s[6:7], 2
	s_wait_storecnt 0x0
	s_wait_loadcnt_dscnt 0x0
	s_barrier_signal -1
	s_barrier_wait -1
	s_wait_kmcnt 0x0
	v_add_co_u32 v6, vcc_lo, s4, v8
	s_wait_alu 0xfffd
	v_add_co_ci_u32_e64 v8, null, s5, v9, vcc_lo
	global_inv scope:SCOPE_SE
	s_wait_alu 0xfffe
	v_add_co_u32 v10, vcc_lo, v6, s0
	v_dual_mov_b32 v1, v7 :: v_dual_add_nc_u32 v6, 0x180, v0
	s_wait_alu 0xfffd
	v_add_co_ci_u32_e64 v11, null, s1, v8, vcc_lo
	s_mov_b32 s1, 0
	v_dual_mov_b32 v9, v1 :: v_dual_mov_b32 v8, v0
.LBB1340_162:                           ; =>This Inner Loop Header: Depth=1
	s_delay_alu instid0(VALU_DEP_1) | instskip(NEXT) | instid1(VALU_DEP_2)
	v_lshlrev_b32_e32 v1, 2, v8
	v_lshlrev_b64_e32 v[12:13], 2, v[8:9]
	v_dual_mov_b32 v9, v7 :: v_dual_mov_b32 v8, v6
	v_cmp_le_u64_e32 vcc_lo, v[2:3], v[6:7]
	ds_load_b32 v1, v1
	v_add_nc_u32_e32 v6, 0x180, v6
	v_add_co_u32 v12, s0, v10, v12
	s_wait_alu 0xf1ff
	v_add_co_ci_u32_e64 v13, null, v11, v13, s0
	s_wait_alu 0xfffe
	s_or_b32 s1, vcc_lo, s1
	s_wait_dscnt 0x0
	global_store_b32 v[12:13], v1, off
	s_wait_alu 0xfffe
	s_and_not1_b32 exec_lo, exec_lo, s1
	s_cbranch_execnz .LBB1340_162
; %bb.163:
	s_or_b32 exec_lo, exec_lo, s1
	v_cmp_eq_u32_e32 vcc_lo, 0, v0
	s_and_b32 s0, vcc_lo, s16
	s_wait_alu 0xfffe
	s_and_saveexec_b32 s1, s0
	s_cbranch_execz .LBB1340_131
.LBB1340_164:
	v_add_co_u32 v0, vcc_lo, v4, v2
	s_wait_alu 0xfffd
	v_add_co_ci_u32_e64 v1, null, v5, v3, vcc_lo
	v_mov_b32_e32 v2, 0
	s_delay_alu instid0(VALU_DEP_3) | instskip(SKIP_1) | instid1(VALU_DEP_3)
	v_add_co_u32 v0, vcc_lo, v0, s6
	s_wait_alu 0xfffd
	v_add_co_ci_u32_e64 v1, null, s7, v1, vcc_lo
	global_store_b64 v2, v[0:1], s[8:9]
	s_endpgm
	.section	.rodata,"a",@progbits
	.p2align	6, 0x0
	.amdhsa_kernel _ZN7rocprim17ROCPRIM_400000_NS6detail17trampoline_kernelINS0_14default_configENS1_25partition_config_selectorILNS1_17partition_subalgoE5EfNS0_10empty_typeEbEEZZNS1_14partition_implILS5_5ELb0ES3_mN6thrust23THRUST_200600_302600_NS6detail15normal_iteratorINSA_10device_ptrIfEEEEPS6_NSA_18transform_iteratorINSB_9not_fun_tI7is_trueIfEEESF_NSA_11use_defaultESM_EENS0_5tupleIJSF_S6_EEENSO_IJSG_SG_EEES6_PlJS6_EEE10hipError_tPvRmT3_T4_T5_T6_T7_T9_mT8_P12ihipStream_tbDpT10_ENKUlT_T0_E_clISt17integral_constantIbLb0EES1B_EEDaS16_S17_EUlS16_E_NS1_11comp_targetILNS1_3genE10ELNS1_11target_archE1200ELNS1_3gpuE4ELNS1_3repE0EEENS1_30default_config_static_selectorELNS0_4arch9wavefront6targetE0EEEvT1_
		.amdhsa_group_segment_fixed_size 10768
		.amdhsa_private_segment_fixed_size 0
		.amdhsa_kernarg_size 120
		.amdhsa_user_sgpr_count 2
		.amdhsa_user_sgpr_dispatch_ptr 0
		.amdhsa_user_sgpr_queue_ptr 0
		.amdhsa_user_sgpr_kernarg_segment_ptr 1
		.amdhsa_user_sgpr_dispatch_id 0
		.amdhsa_user_sgpr_private_segment_size 0
		.amdhsa_wavefront_size32 1
		.amdhsa_uses_dynamic_stack 0
		.amdhsa_enable_private_segment 0
		.amdhsa_system_sgpr_workgroup_id_x 1
		.amdhsa_system_sgpr_workgroup_id_y 0
		.amdhsa_system_sgpr_workgroup_id_z 0
		.amdhsa_system_sgpr_workgroup_info 0
		.amdhsa_system_vgpr_workitem_id 0
		.amdhsa_next_free_vgpr 47
		.amdhsa_next_free_sgpr 22
		.amdhsa_reserve_vcc 1
		.amdhsa_float_round_mode_32 0
		.amdhsa_float_round_mode_16_64 0
		.amdhsa_float_denorm_mode_32 3
		.amdhsa_float_denorm_mode_16_64 3
		.amdhsa_fp16_overflow 0
		.amdhsa_workgroup_processor_mode 1
		.amdhsa_memory_ordered 1
		.amdhsa_forward_progress 1
		.amdhsa_inst_pref_size 66
		.amdhsa_round_robin_scheduling 0
		.amdhsa_exception_fp_ieee_invalid_op 0
		.amdhsa_exception_fp_denorm_src 0
		.amdhsa_exception_fp_ieee_div_zero 0
		.amdhsa_exception_fp_ieee_overflow 0
		.amdhsa_exception_fp_ieee_underflow 0
		.amdhsa_exception_fp_ieee_inexact 0
		.amdhsa_exception_int_div_zero 0
	.end_amdhsa_kernel
	.section	.text._ZN7rocprim17ROCPRIM_400000_NS6detail17trampoline_kernelINS0_14default_configENS1_25partition_config_selectorILNS1_17partition_subalgoE5EfNS0_10empty_typeEbEEZZNS1_14partition_implILS5_5ELb0ES3_mN6thrust23THRUST_200600_302600_NS6detail15normal_iteratorINSA_10device_ptrIfEEEEPS6_NSA_18transform_iteratorINSB_9not_fun_tI7is_trueIfEEESF_NSA_11use_defaultESM_EENS0_5tupleIJSF_S6_EEENSO_IJSG_SG_EEES6_PlJS6_EEE10hipError_tPvRmT3_T4_T5_T6_T7_T9_mT8_P12ihipStream_tbDpT10_ENKUlT_T0_E_clISt17integral_constantIbLb0EES1B_EEDaS16_S17_EUlS16_E_NS1_11comp_targetILNS1_3genE10ELNS1_11target_archE1200ELNS1_3gpuE4ELNS1_3repE0EEENS1_30default_config_static_selectorELNS0_4arch9wavefront6targetE0EEEvT1_,"axG",@progbits,_ZN7rocprim17ROCPRIM_400000_NS6detail17trampoline_kernelINS0_14default_configENS1_25partition_config_selectorILNS1_17partition_subalgoE5EfNS0_10empty_typeEbEEZZNS1_14partition_implILS5_5ELb0ES3_mN6thrust23THRUST_200600_302600_NS6detail15normal_iteratorINSA_10device_ptrIfEEEEPS6_NSA_18transform_iteratorINSB_9not_fun_tI7is_trueIfEEESF_NSA_11use_defaultESM_EENS0_5tupleIJSF_S6_EEENSO_IJSG_SG_EEES6_PlJS6_EEE10hipError_tPvRmT3_T4_T5_T6_T7_T9_mT8_P12ihipStream_tbDpT10_ENKUlT_T0_E_clISt17integral_constantIbLb0EES1B_EEDaS16_S17_EUlS16_E_NS1_11comp_targetILNS1_3genE10ELNS1_11target_archE1200ELNS1_3gpuE4ELNS1_3repE0EEENS1_30default_config_static_selectorELNS0_4arch9wavefront6targetE0EEEvT1_,comdat
.Lfunc_end1340:
	.size	_ZN7rocprim17ROCPRIM_400000_NS6detail17trampoline_kernelINS0_14default_configENS1_25partition_config_selectorILNS1_17partition_subalgoE5EfNS0_10empty_typeEbEEZZNS1_14partition_implILS5_5ELb0ES3_mN6thrust23THRUST_200600_302600_NS6detail15normal_iteratorINSA_10device_ptrIfEEEEPS6_NSA_18transform_iteratorINSB_9not_fun_tI7is_trueIfEEESF_NSA_11use_defaultESM_EENS0_5tupleIJSF_S6_EEENSO_IJSG_SG_EEES6_PlJS6_EEE10hipError_tPvRmT3_T4_T5_T6_T7_T9_mT8_P12ihipStream_tbDpT10_ENKUlT_T0_E_clISt17integral_constantIbLb0EES1B_EEDaS16_S17_EUlS16_E_NS1_11comp_targetILNS1_3genE10ELNS1_11target_archE1200ELNS1_3gpuE4ELNS1_3repE0EEENS1_30default_config_static_selectorELNS0_4arch9wavefront6targetE0EEEvT1_, .Lfunc_end1340-_ZN7rocprim17ROCPRIM_400000_NS6detail17trampoline_kernelINS0_14default_configENS1_25partition_config_selectorILNS1_17partition_subalgoE5EfNS0_10empty_typeEbEEZZNS1_14partition_implILS5_5ELb0ES3_mN6thrust23THRUST_200600_302600_NS6detail15normal_iteratorINSA_10device_ptrIfEEEEPS6_NSA_18transform_iteratorINSB_9not_fun_tI7is_trueIfEEESF_NSA_11use_defaultESM_EENS0_5tupleIJSF_S6_EEENSO_IJSG_SG_EEES6_PlJS6_EEE10hipError_tPvRmT3_T4_T5_T6_T7_T9_mT8_P12ihipStream_tbDpT10_ENKUlT_T0_E_clISt17integral_constantIbLb0EES1B_EEDaS16_S17_EUlS16_E_NS1_11comp_targetILNS1_3genE10ELNS1_11target_archE1200ELNS1_3gpuE4ELNS1_3repE0EEENS1_30default_config_static_selectorELNS0_4arch9wavefront6targetE0EEEvT1_
                                        ; -- End function
	.set _ZN7rocprim17ROCPRIM_400000_NS6detail17trampoline_kernelINS0_14default_configENS1_25partition_config_selectorILNS1_17partition_subalgoE5EfNS0_10empty_typeEbEEZZNS1_14partition_implILS5_5ELb0ES3_mN6thrust23THRUST_200600_302600_NS6detail15normal_iteratorINSA_10device_ptrIfEEEEPS6_NSA_18transform_iteratorINSB_9not_fun_tI7is_trueIfEEESF_NSA_11use_defaultESM_EENS0_5tupleIJSF_S6_EEENSO_IJSG_SG_EEES6_PlJS6_EEE10hipError_tPvRmT3_T4_T5_T6_T7_T9_mT8_P12ihipStream_tbDpT10_ENKUlT_T0_E_clISt17integral_constantIbLb0EES1B_EEDaS16_S17_EUlS16_E_NS1_11comp_targetILNS1_3genE10ELNS1_11target_archE1200ELNS1_3gpuE4ELNS1_3repE0EEENS1_30default_config_static_selectorELNS0_4arch9wavefront6targetE0EEEvT1_.num_vgpr, 47
	.set _ZN7rocprim17ROCPRIM_400000_NS6detail17trampoline_kernelINS0_14default_configENS1_25partition_config_selectorILNS1_17partition_subalgoE5EfNS0_10empty_typeEbEEZZNS1_14partition_implILS5_5ELb0ES3_mN6thrust23THRUST_200600_302600_NS6detail15normal_iteratorINSA_10device_ptrIfEEEEPS6_NSA_18transform_iteratorINSB_9not_fun_tI7is_trueIfEEESF_NSA_11use_defaultESM_EENS0_5tupleIJSF_S6_EEENSO_IJSG_SG_EEES6_PlJS6_EEE10hipError_tPvRmT3_T4_T5_T6_T7_T9_mT8_P12ihipStream_tbDpT10_ENKUlT_T0_E_clISt17integral_constantIbLb0EES1B_EEDaS16_S17_EUlS16_E_NS1_11comp_targetILNS1_3genE10ELNS1_11target_archE1200ELNS1_3gpuE4ELNS1_3repE0EEENS1_30default_config_static_selectorELNS0_4arch9wavefront6targetE0EEEvT1_.num_agpr, 0
	.set _ZN7rocprim17ROCPRIM_400000_NS6detail17trampoline_kernelINS0_14default_configENS1_25partition_config_selectorILNS1_17partition_subalgoE5EfNS0_10empty_typeEbEEZZNS1_14partition_implILS5_5ELb0ES3_mN6thrust23THRUST_200600_302600_NS6detail15normal_iteratorINSA_10device_ptrIfEEEEPS6_NSA_18transform_iteratorINSB_9not_fun_tI7is_trueIfEEESF_NSA_11use_defaultESM_EENS0_5tupleIJSF_S6_EEENSO_IJSG_SG_EEES6_PlJS6_EEE10hipError_tPvRmT3_T4_T5_T6_T7_T9_mT8_P12ihipStream_tbDpT10_ENKUlT_T0_E_clISt17integral_constantIbLb0EES1B_EEDaS16_S17_EUlS16_E_NS1_11comp_targetILNS1_3genE10ELNS1_11target_archE1200ELNS1_3gpuE4ELNS1_3repE0EEENS1_30default_config_static_selectorELNS0_4arch9wavefront6targetE0EEEvT1_.numbered_sgpr, 22
	.set _ZN7rocprim17ROCPRIM_400000_NS6detail17trampoline_kernelINS0_14default_configENS1_25partition_config_selectorILNS1_17partition_subalgoE5EfNS0_10empty_typeEbEEZZNS1_14partition_implILS5_5ELb0ES3_mN6thrust23THRUST_200600_302600_NS6detail15normal_iteratorINSA_10device_ptrIfEEEEPS6_NSA_18transform_iteratorINSB_9not_fun_tI7is_trueIfEEESF_NSA_11use_defaultESM_EENS0_5tupleIJSF_S6_EEENSO_IJSG_SG_EEES6_PlJS6_EEE10hipError_tPvRmT3_T4_T5_T6_T7_T9_mT8_P12ihipStream_tbDpT10_ENKUlT_T0_E_clISt17integral_constantIbLb0EES1B_EEDaS16_S17_EUlS16_E_NS1_11comp_targetILNS1_3genE10ELNS1_11target_archE1200ELNS1_3gpuE4ELNS1_3repE0EEENS1_30default_config_static_selectorELNS0_4arch9wavefront6targetE0EEEvT1_.num_named_barrier, 0
	.set _ZN7rocprim17ROCPRIM_400000_NS6detail17trampoline_kernelINS0_14default_configENS1_25partition_config_selectorILNS1_17partition_subalgoE5EfNS0_10empty_typeEbEEZZNS1_14partition_implILS5_5ELb0ES3_mN6thrust23THRUST_200600_302600_NS6detail15normal_iteratorINSA_10device_ptrIfEEEEPS6_NSA_18transform_iteratorINSB_9not_fun_tI7is_trueIfEEESF_NSA_11use_defaultESM_EENS0_5tupleIJSF_S6_EEENSO_IJSG_SG_EEES6_PlJS6_EEE10hipError_tPvRmT3_T4_T5_T6_T7_T9_mT8_P12ihipStream_tbDpT10_ENKUlT_T0_E_clISt17integral_constantIbLb0EES1B_EEDaS16_S17_EUlS16_E_NS1_11comp_targetILNS1_3genE10ELNS1_11target_archE1200ELNS1_3gpuE4ELNS1_3repE0EEENS1_30default_config_static_selectorELNS0_4arch9wavefront6targetE0EEEvT1_.private_seg_size, 0
	.set _ZN7rocprim17ROCPRIM_400000_NS6detail17trampoline_kernelINS0_14default_configENS1_25partition_config_selectorILNS1_17partition_subalgoE5EfNS0_10empty_typeEbEEZZNS1_14partition_implILS5_5ELb0ES3_mN6thrust23THRUST_200600_302600_NS6detail15normal_iteratorINSA_10device_ptrIfEEEEPS6_NSA_18transform_iteratorINSB_9not_fun_tI7is_trueIfEEESF_NSA_11use_defaultESM_EENS0_5tupleIJSF_S6_EEENSO_IJSG_SG_EEES6_PlJS6_EEE10hipError_tPvRmT3_T4_T5_T6_T7_T9_mT8_P12ihipStream_tbDpT10_ENKUlT_T0_E_clISt17integral_constantIbLb0EES1B_EEDaS16_S17_EUlS16_E_NS1_11comp_targetILNS1_3genE10ELNS1_11target_archE1200ELNS1_3gpuE4ELNS1_3repE0EEENS1_30default_config_static_selectorELNS0_4arch9wavefront6targetE0EEEvT1_.uses_vcc, 1
	.set _ZN7rocprim17ROCPRIM_400000_NS6detail17trampoline_kernelINS0_14default_configENS1_25partition_config_selectorILNS1_17partition_subalgoE5EfNS0_10empty_typeEbEEZZNS1_14partition_implILS5_5ELb0ES3_mN6thrust23THRUST_200600_302600_NS6detail15normal_iteratorINSA_10device_ptrIfEEEEPS6_NSA_18transform_iteratorINSB_9not_fun_tI7is_trueIfEEESF_NSA_11use_defaultESM_EENS0_5tupleIJSF_S6_EEENSO_IJSG_SG_EEES6_PlJS6_EEE10hipError_tPvRmT3_T4_T5_T6_T7_T9_mT8_P12ihipStream_tbDpT10_ENKUlT_T0_E_clISt17integral_constantIbLb0EES1B_EEDaS16_S17_EUlS16_E_NS1_11comp_targetILNS1_3genE10ELNS1_11target_archE1200ELNS1_3gpuE4ELNS1_3repE0EEENS1_30default_config_static_selectorELNS0_4arch9wavefront6targetE0EEEvT1_.uses_flat_scratch, 1
	.set _ZN7rocprim17ROCPRIM_400000_NS6detail17trampoline_kernelINS0_14default_configENS1_25partition_config_selectorILNS1_17partition_subalgoE5EfNS0_10empty_typeEbEEZZNS1_14partition_implILS5_5ELb0ES3_mN6thrust23THRUST_200600_302600_NS6detail15normal_iteratorINSA_10device_ptrIfEEEEPS6_NSA_18transform_iteratorINSB_9not_fun_tI7is_trueIfEEESF_NSA_11use_defaultESM_EENS0_5tupleIJSF_S6_EEENSO_IJSG_SG_EEES6_PlJS6_EEE10hipError_tPvRmT3_T4_T5_T6_T7_T9_mT8_P12ihipStream_tbDpT10_ENKUlT_T0_E_clISt17integral_constantIbLb0EES1B_EEDaS16_S17_EUlS16_E_NS1_11comp_targetILNS1_3genE10ELNS1_11target_archE1200ELNS1_3gpuE4ELNS1_3repE0EEENS1_30default_config_static_selectorELNS0_4arch9wavefront6targetE0EEEvT1_.has_dyn_sized_stack, 0
	.set _ZN7rocprim17ROCPRIM_400000_NS6detail17trampoline_kernelINS0_14default_configENS1_25partition_config_selectorILNS1_17partition_subalgoE5EfNS0_10empty_typeEbEEZZNS1_14partition_implILS5_5ELb0ES3_mN6thrust23THRUST_200600_302600_NS6detail15normal_iteratorINSA_10device_ptrIfEEEEPS6_NSA_18transform_iteratorINSB_9not_fun_tI7is_trueIfEEESF_NSA_11use_defaultESM_EENS0_5tupleIJSF_S6_EEENSO_IJSG_SG_EEES6_PlJS6_EEE10hipError_tPvRmT3_T4_T5_T6_T7_T9_mT8_P12ihipStream_tbDpT10_ENKUlT_T0_E_clISt17integral_constantIbLb0EES1B_EEDaS16_S17_EUlS16_E_NS1_11comp_targetILNS1_3genE10ELNS1_11target_archE1200ELNS1_3gpuE4ELNS1_3repE0EEENS1_30default_config_static_selectorELNS0_4arch9wavefront6targetE0EEEvT1_.has_recursion, 0
	.set _ZN7rocprim17ROCPRIM_400000_NS6detail17trampoline_kernelINS0_14default_configENS1_25partition_config_selectorILNS1_17partition_subalgoE5EfNS0_10empty_typeEbEEZZNS1_14partition_implILS5_5ELb0ES3_mN6thrust23THRUST_200600_302600_NS6detail15normal_iteratorINSA_10device_ptrIfEEEEPS6_NSA_18transform_iteratorINSB_9not_fun_tI7is_trueIfEEESF_NSA_11use_defaultESM_EENS0_5tupleIJSF_S6_EEENSO_IJSG_SG_EEES6_PlJS6_EEE10hipError_tPvRmT3_T4_T5_T6_T7_T9_mT8_P12ihipStream_tbDpT10_ENKUlT_T0_E_clISt17integral_constantIbLb0EES1B_EEDaS16_S17_EUlS16_E_NS1_11comp_targetILNS1_3genE10ELNS1_11target_archE1200ELNS1_3gpuE4ELNS1_3repE0EEENS1_30default_config_static_selectorELNS0_4arch9wavefront6targetE0EEEvT1_.has_indirect_call, 0
	.section	.AMDGPU.csdata,"",@progbits
; Kernel info:
; codeLenInByte = 8416
; TotalNumSgprs: 24
; NumVgprs: 47
; ScratchSize: 0
; MemoryBound: 0
; FloatMode: 240
; IeeeMode: 1
; LDSByteSize: 10768 bytes/workgroup (compile time only)
; SGPRBlocks: 0
; VGPRBlocks: 5
; NumSGPRsForWavesPerEU: 24
; NumVGPRsForWavesPerEU: 47
; Occupancy: 15
; WaveLimiterHint : 1
; COMPUTE_PGM_RSRC2:SCRATCH_EN: 0
; COMPUTE_PGM_RSRC2:USER_SGPR: 2
; COMPUTE_PGM_RSRC2:TRAP_HANDLER: 0
; COMPUTE_PGM_RSRC2:TGID_X_EN: 1
; COMPUTE_PGM_RSRC2:TGID_Y_EN: 0
; COMPUTE_PGM_RSRC2:TGID_Z_EN: 0
; COMPUTE_PGM_RSRC2:TIDIG_COMP_CNT: 0
	.section	.text._ZN7rocprim17ROCPRIM_400000_NS6detail17trampoline_kernelINS0_14default_configENS1_25partition_config_selectorILNS1_17partition_subalgoE5EfNS0_10empty_typeEbEEZZNS1_14partition_implILS5_5ELb0ES3_mN6thrust23THRUST_200600_302600_NS6detail15normal_iteratorINSA_10device_ptrIfEEEEPS6_NSA_18transform_iteratorINSB_9not_fun_tI7is_trueIfEEESF_NSA_11use_defaultESM_EENS0_5tupleIJSF_S6_EEENSO_IJSG_SG_EEES6_PlJS6_EEE10hipError_tPvRmT3_T4_T5_T6_T7_T9_mT8_P12ihipStream_tbDpT10_ENKUlT_T0_E_clISt17integral_constantIbLb0EES1B_EEDaS16_S17_EUlS16_E_NS1_11comp_targetILNS1_3genE9ELNS1_11target_archE1100ELNS1_3gpuE3ELNS1_3repE0EEENS1_30default_config_static_selectorELNS0_4arch9wavefront6targetE0EEEvT1_,"axG",@progbits,_ZN7rocprim17ROCPRIM_400000_NS6detail17trampoline_kernelINS0_14default_configENS1_25partition_config_selectorILNS1_17partition_subalgoE5EfNS0_10empty_typeEbEEZZNS1_14partition_implILS5_5ELb0ES3_mN6thrust23THRUST_200600_302600_NS6detail15normal_iteratorINSA_10device_ptrIfEEEEPS6_NSA_18transform_iteratorINSB_9not_fun_tI7is_trueIfEEESF_NSA_11use_defaultESM_EENS0_5tupleIJSF_S6_EEENSO_IJSG_SG_EEES6_PlJS6_EEE10hipError_tPvRmT3_T4_T5_T6_T7_T9_mT8_P12ihipStream_tbDpT10_ENKUlT_T0_E_clISt17integral_constantIbLb0EES1B_EEDaS16_S17_EUlS16_E_NS1_11comp_targetILNS1_3genE9ELNS1_11target_archE1100ELNS1_3gpuE3ELNS1_3repE0EEENS1_30default_config_static_selectorELNS0_4arch9wavefront6targetE0EEEvT1_,comdat
	.protected	_ZN7rocprim17ROCPRIM_400000_NS6detail17trampoline_kernelINS0_14default_configENS1_25partition_config_selectorILNS1_17partition_subalgoE5EfNS0_10empty_typeEbEEZZNS1_14partition_implILS5_5ELb0ES3_mN6thrust23THRUST_200600_302600_NS6detail15normal_iteratorINSA_10device_ptrIfEEEEPS6_NSA_18transform_iteratorINSB_9not_fun_tI7is_trueIfEEESF_NSA_11use_defaultESM_EENS0_5tupleIJSF_S6_EEENSO_IJSG_SG_EEES6_PlJS6_EEE10hipError_tPvRmT3_T4_T5_T6_T7_T9_mT8_P12ihipStream_tbDpT10_ENKUlT_T0_E_clISt17integral_constantIbLb0EES1B_EEDaS16_S17_EUlS16_E_NS1_11comp_targetILNS1_3genE9ELNS1_11target_archE1100ELNS1_3gpuE3ELNS1_3repE0EEENS1_30default_config_static_selectorELNS0_4arch9wavefront6targetE0EEEvT1_ ; -- Begin function _ZN7rocprim17ROCPRIM_400000_NS6detail17trampoline_kernelINS0_14default_configENS1_25partition_config_selectorILNS1_17partition_subalgoE5EfNS0_10empty_typeEbEEZZNS1_14partition_implILS5_5ELb0ES3_mN6thrust23THRUST_200600_302600_NS6detail15normal_iteratorINSA_10device_ptrIfEEEEPS6_NSA_18transform_iteratorINSB_9not_fun_tI7is_trueIfEEESF_NSA_11use_defaultESM_EENS0_5tupleIJSF_S6_EEENSO_IJSG_SG_EEES6_PlJS6_EEE10hipError_tPvRmT3_T4_T5_T6_T7_T9_mT8_P12ihipStream_tbDpT10_ENKUlT_T0_E_clISt17integral_constantIbLb0EES1B_EEDaS16_S17_EUlS16_E_NS1_11comp_targetILNS1_3genE9ELNS1_11target_archE1100ELNS1_3gpuE3ELNS1_3repE0EEENS1_30default_config_static_selectorELNS0_4arch9wavefront6targetE0EEEvT1_
	.globl	_ZN7rocprim17ROCPRIM_400000_NS6detail17trampoline_kernelINS0_14default_configENS1_25partition_config_selectorILNS1_17partition_subalgoE5EfNS0_10empty_typeEbEEZZNS1_14partition_implILS5_5ELb0ES3_mN6thrust23THRUST_200600_302600_NS6detail15normal_iteratorINSA_10device_ptrIfEEEEPS6_NSA_18transform_iteratorINSB_9not_fun_tI7is_trueIfEEESF_NSA_11use_defaultESM_EENS0_5tupleIJSF_S6_EEENSO_IJSG_SG_EEES6_PlJS6_EEE10hipError_tPvRmT3_T4_T5_T6_T7_T9_mT8_P12ihipStream_tbDpT10_ENKUlT_T0_E_clISt17integral_constantIbLb0EES1B_EEDaS16_S17_EUlS16_E_NS1_11comp_targetILNS1_3genE9ELNS1_11target_archE1100ELNS1_3gpuE3ELNS1_3repE0EEENS1_30default_config_static_selectorELNS0_4arch9wavefront6targetE0EEEvT1_
	.p2align	8
	.type	_ZN7rocprim17ROCPRIM_400000_NS6detail17trampoline_kernelINS0_14default_configENS1_25partition_config_selectorILNS1_17partition_subalgoE5EfNS0_10empty_typeEbEEZZNS1_14partition_implILS5_5ELb0ES3_mN6thrust23THRUST_200600_302600_NS6detail15normal_iteratorINSA_10device_ptrIfEEEEPS6_NSA_18transform_iteratorINSB_9not_fun_tI7is_trueIfEEESF_NSA_11use_defaultESM_EENS0_5tupleIJSF_S6_EEENSO_IJSG_SG_EEES6_PlJS6_EEE10hipError_tPvRmT3_T4_T5_T6_T7_T9_mT8_P12ihipStream_tbDpT10_ENKUlT_T0_E_clISt17integral_constantIbLb0EES1B_EEDaS16_S17_EUlS16_E_NS1_11comp_targetILNS1_3genE9ELNS1_11target_archE1100ELNS1_3gpuE3ELNS1_3repE0EEENS1_30default_config_static_selectorELNS0_4arch9wavefront6targetE0EEEvT1_,@function
_ZN7rocprim17ROCPRIM_400000_NS6detail17trampoline_kernelINS0_14default_configENS1_25partition_config_selectorILNS1_17partition_subalgoE5EfNS0_10empty_typeEbEEZZNS1_14partition_implILS5_5ELb0ES3_mN6thrust23THRUST_200600_302600_NS6detail15normal_iteratorINSA_10device_ptrIfEEEEPS6_NSA_18transform_iteratorINSB_9not_fun_tI7is_trueIfEEESF_NSA_11use_defaultESM_EENS0_5tupleIJSF_S6_EEENSO_IJSG_SG_EEES6_PlJS6_EEE10hipError_tPvRmT3_T4_T5_T6_T7_T9_mT8_P12ihipStream_tbDpT10_ENKUlT_T0_E_clISt17integral_constantIbLb0EES1B_EEDaS16_S17_EUlS16_E_NS1_11comp_targetILNS1_3genE9ELNS1_11target_archE1100ELNS1_3gpuE3ELNS1_3repE0EEENS1_30default_config_static_selectorELNS0_4arch9wavefront6targetE0EEEvT1_: ; @_ZN7rocprim17ROCPRIM_400000_NS6detail17trampoline_kernelINS0_14default_configENS1_25partition_config_selectorILNS1_17partition_subalgoE5EfNS0_10empty_typeEbEEZZNS1_14partition_implILS5_5ELb0ES3_mN6thrust23THRUST_200600_302600_NS6detail15normal_iteratorINSA_10device_ptrIfEEEEPS6_NSA_18transform_iteratorINSB_9not_fun_tI7is_trueIfEEESF_NSA_11use_defaultESM_EENS0_5tupleIJSF_S6_EEENSO_IJSG_SG_EEES6_PlJS6_EEE10hipError_tPvRmT3_T4_T5_T6_T7_T9_mT8_P12ihipStream_tbDpT10_ENKUlT_T0_E_clISt17integral_constantIbLb0EES1B_EEDaS16_S17_EUlS16_E_NS1_11comp_targetILNS1_3genE9ELNS1_11target_archE1100ELNS1_3gpuE3ELNS1_3repE0EEENS1_30default_config_static_selectorELNS0_4arch9wavefront6targetE0EEEvT1_
; %bb.0:
	.section	.rodata,"a",@progbits
	.p2align	6, 0x0
	.amdhsa_kernel _ZN7rocprim17ROCPRIM_400000_NS6detail17trampoline_kernelINS0_14default_configENS1_25partition_config_selectorILNS1_17partition_subalgoE5EfNS0_10empty_typeEbEEZZNS1_14partition_implILS5_5ELb0ES3_mN6thrust23THRUST_200600_302600_NS6detail15normal_iteratorINSA_10device_ptrIfEEEEPS6_NSA_18transform_iteratorINSB_9not_fun_tI7is_trueIfEEESF_NSA_11use_defaultESM_EENS0_5tupleIJSF_S6_EEENSO_IJSG_SG_EEES6_PlJS6_EEE10hipError_tPvRmT3_T4_T5_T6_T7_T9_mT8_P12ihipStream_tbDpT10_ENKUlT_T0_E_clISt17integral_constantIbLb0EES1B_EEDaS16_S17_EUlS16_E_NS1_11comp_targetILNS1_3genE9ELNS1_11target_archE1100ELNS1_3gpuE3ELNS1_3repE0EEENS1_30default_config_static_selectorELNS0_4arch9wavefront6targetE0EEEvT1_
		.amdhsa_group_segment_fixed_size 0
		.amdhsa_private_segment_fixed_size 0
		.amdhsa_kernarg_size 120
		.amdhsa_user_sgpr_count 2
		.amdhsa_user_sgpr_dispatch_ptr 0
		.amdhsa_user_sgpr_queue_ptr 0
		.amdhsa_user_sgpr_kernarg_segment_ptr 1
		.amdhsa_user_sgpr_dispatch_id 0
		.amdhsa_user_sgpr_private_segment_size 0
		.amdhsa_wavefront_size32 1
		.amdhsa_uses_dynamic_stack 0
		.amdhsa_enable_private_segment 0
		.amdhsa_system_sgpr_workgroup_id_x 1
		.amdhsa_system_sgpr_workgroup_id_y 0
		.amdhsa_system_sgpr_workgroup_id_z 0
		.amdhsa_system_sgpr_workgroup_info 0
		.amdhsa_system_vgpr_workitem_id 0
		.amdhsa_next_free_vgpr 1
		.amdhsa_next_free_sgpr 1
		.amdhsa_reserve_vcc 0
		.amdhsa_float_round_mode_32 0
		.amdhsa_float_round_mode_16_64 0
		.amdhsa_float_denorm_mode_32 3
		.amdhsa_float_denorm_mode_16_64 3
		.amdhsa_fp16_overflow 0
		.amdhsa_workgroup_processor_mode 1
		.amdhsa_memory_ordered 1
		.amdhsa_forward_progress 1
		.amdhsa_inst_pref_size 0
		.amdhsa_round_robin_scheduling 0
		.amdhsa_exception_fp_ieee_invalid_op 0
		.amdhsa_exception_fp_denorm_src 0
		.amdhsa_exception_fp_ieee_div_zero 0
		.amdhsa_exception_fp_ieee_overflow 0
		.amdhsa_exception_fp_ieee_underflow 0
		.amdhsa_exception_fp_ieee_inexact 0
		.amdhsa_exception_int_div_zero 0
	.end_amdhsa_kernel
	.section	.text._ZN7rocprim17ROCPRIM_400000_NS6detail17trampoline_kernelINS0_14default_configENS1_25partition_config_selectorILNS1_17partition_subalgoE5EfNS0_10empty_typeEbEEZZNS1_14partition_implILS5_5ELb0ES3_mN6thrust23THRUST_200600_302600_NS6detail15normal_iteratorINSA_10device_ptrIfEEEEPS6_NSA_18transform_iteratorINSB_9not_fun_tI7is_trueIfEEESF_NSA_11use_defaultESM_EENS0_5tupleIJSF_S6_EEENSO_IJSG_SG_EEES6_PlJS6_EEE10hipError_tPvRmT3_T4_T5_T6_T7_T9_mT8_P12ihipStream_tbDpT10_ENKUlT_T0_E_clISt17integral_constantIbLb0EES1B_EEDaS16_S17_EUlS16_E_NS1_11comp_targetILNS1_3genE9ELNS1_11target_archE1100ELNS1_3gpuE3ELNS1_3repE0EEENS1_30default_config_static_selectorELNS0_4arch9wavefront6targetE0EEEvT1_,"axG",@progbits,_ZN7rocprim17ROCPRIM_400000_NS6detail17trampoline_kernelINS0_14default_configENS1_25partition_config_selectorILNS1_17partition_subalgoE5EfNS0_10empty_typeEbEEZZNS1_14partition_implILS5_5ELb0ES3_mN6thrust23THRUST_200600_302600_NS6detail15normal_iteratorINSA_10device_ptrIfEEEEPS6_NSA_18transform_iteratorINSB_9not_fun_tI7is_trueIfEEESF_NSA_11use_defaultESM_EENS0_5tupleIJSF_S6_EEENSO_IJSG_SG_EEES6_PlJS6_EEE10hipError_tPvRmT3_T4_T5_T6_T7_T9_mT8_P12ihipStream_tbDpT10_ENKUlT_T0_E_clISt17integral_constantIbLb0EES1B_EEDaS16_S17_EUlS16_E_NS1_11comp_targetILNS1_3genE9ELNS1_11target_archE1100ELNS1_3gpuE3ELNS1_3repE0EEENS1_30default_config_static_selectorELNS0_4arch9wavefront6targetE0EEEvT1_,comdat
.Lfunc_end1341:
	.size	_ZN7rocprim17ROCPRIM_400000_NS6detail17trampoline_kernelINS0_14default_configENS1_25partition_config_selectorILNS1_17partition_subalgoE5EfNS0_10empty_typeEbEEZZNS1_14partition_implILS5_5ELb0ES3_mN6thrust23THRUST_200600_302600_NS6detail15normal_iteratorINSA_10device_ptrIfEEEEPS6_NSA_18transform_iteratorINSB_9not_fun_tI7is_trueIfEEESF_NSA_11use_defaultESM_EENS0_5tupleIJSF_S6_EEENSO_IJSG_SG_EEES6_PlJS6_EEE10hipError_tPvRmT3_T4_T5_T6_T7_T9_mT8_P12ihipStream_tbDpT10_ENKUlT_T0_E_clISt17integral_constantIbLb0EES1B_EEDaS16_S17_EUlS16_E_NS1_11comp_targetILNS1_3genE9ELNS1_11target_archE1100ELNS1_3gpuE3ELNS1_3repE0EEENS1_30default_config_static_selectorELNS0_4arch9wavefront6targetE0EEEvT1_, .Lfunc_end1341-_ZN7rocprim17ROCPRIM_400000_NS6detail17trampoline_kernelINS0_14default_configENS1_25partition_config_selectorILNS1_17partition_subalgoE5EfNS0_10empty_typeEbEEZZNS1_14partition_implILS5_5ELb0ES3_mN6thrust23THRUST_200600_302600_NS6detail15normal_iteratorINSA_10device_ptrIfEEEEPS6_NSA_18transform_iteratorINSB_9not_fun_tI7is_trueIfEEESF_NSA_11use_defaultESM_EENS0_5tupleIJSF_S6_EEENSO_IJSG_SG_EEES6_PlJS6_EEE10hipError_tPvRmT3_T4_T5_T6_T7_T9_mT8_P12ihipStream_tbDpT10_ENKUlT_T0_E_clISt17integral_constantIbLb0EES1B_EEDaS16_S17_EUlS16_E_NS1_11comp_targetILNS1_3genE9ELNS1_11target_archE1100ELNS1_3gpuE3ELNS1_3repE0EEENS1_30default_config_static_selectorELNS0_4arch9wavefront6targetE0EEEvT1_
                                        ; -- End function
	.set _ZN7rocprim17ROCPRIM_400000_NS6detail17trampoline_kernelINS0_14default_configENS1_25partition_config_selectorILNS1_17partition_subalgoE5EfNS0_10empty_typeEbEEZZNS1_14partition_implILS5_5ELb0ES3_mN6thrust23THRUST_200600_302600_NS6detail15normal_iteratorINSA_10device_ptrIfEEEEPS6_NSA_18transform_iteratorINSB_9not_fun_tI7is_trueIfEEESF_NSA_11use_defaultESM_EENS0_5tupleIJSF_S6_EEENSO_IJSG_SG_EEES6_PlJS6_EEE10hipError_tPvRmT3_T4_T5_T6_T7_T9_mT8_P12ihipStream_tbDpT10_ENKUlT_T0_E_clISt17integral_constantIbLb0EES1B_EEDaS16_S17_EUlS16_E_NS1_11comp_targetILNS1_3genE9ELNS1_11target_archE1100ELNS1_3gpuE3ELNS1_3repE0EEENS1_30default_config_static_selectorELNS0_4arch9wavefront6targetE0EEEvT1_.num_vgpr, 0
	.set _ZN7rocprim17ROCPRIM_400000_NS6detail17trampoline_kernelINS0_14default_configENS1_25partition_config_selectorILNS1_17partition_subalgoE5EfNS0_10empty_typeEbEEZZNS1_14partition_implILS5_5ELb0ES3_mN6thrust23THRUST_200600_302600_NS6detail15normal_iteratorINSA_10device_ptrIfEEEEPS6_NSA_18transform_iteratorINSB_9not_fun_tI7is_trueIfEEESF_NSA_11use_defaultESM_EENS0_5tupleIJSF_S6_EEENSO_IJSG_SG_EEES6_PlJS6_EEE10hipError_tPvRmT3_T4_T5_T6_T7_T9_mT8_P12ihipStream_tbDpT10_ENKUlT_T0_E_clISt17integral_constantIbLb0EES1B_EEDaS16_S17_EUlS16_E_NS1_11comp_targetILNS1_3genE9ELNS1_11target_archE1100ELNS1_3gpuE3ELNS1_3repE0EEENS1_30default_config_static_selectorELNS0_4arch9wavefront6targetE0EEEvT1_.num_agpr, 0
	.set _ZN7rocprim17ROCPRIM_400000_NS6detail17trampoline_kernelINS0_14default_configENS1_25partition_config_selectorILNS1_17partition_subalgoE5EfNS0_10empty_typeEbEEZZNS1_14partition_implILS5_5ELb0ES3_mN6thrust23THRUST_200600_302600_NS6detail15normal_iteratorINSA_10device_ptrIfEEEEPS6_NSA_18transform_iteratorINSB_9not_fun_tI7is_trueIfEEESF_NSA_11use_defaultESM_EENS0_5tupleIJSF_S6_EEENSO_IJSG_SG_EEES6_PlJS6_EEE10hipError_tPvRmT3_T4_T5_T6_T7_T9_mT8_P12ihipStream_tbDpT10_ENKUlT_T0_E_clISt17integral_constantIbLb0EES1B_EEDaS16_S17_EUlS16_E_NS1_11comp_targetILNS1_3genE9ELNS1_11target_archE1100ELNS1_3gpuE3ELNS1_3repE0EEENS1_30default_config_static_selectorELNS0_4arch9wavefront6targetE0EEEvT1_.numbered_sgpr, 0
	.set _ZN7rocprim17ROCPRIM_400000_NS6detail17trampoline_kernelINS0_14default_configENS1_25partition_config_selectorILNS1_17partition_subalgoE5EfNS0_10empty_typeEbEEZZNS1_14partition_implILS5_5ELb0ES3_mN6thrust23THRUST_200600_302600_NS6detail15normal_iteratorINSA_10device_ptrIfEEEEPS6_NSA_18transform_iteratorINSB_9not_fun_tI7is_trueIfEEESF_NSA_11use_defaultESM_EENS0_5tupleIJSF_S6_EEENSO_IJSG_SG_EEES6_PlJS6_EEE10hipError_tPvRmT3_T4_T5_T6_T7_T9_mT8_P12ihipStream_tbDpT10_ENKUlT_T0_E_clISt17integral_constantIbLb0EES1B_EEDaS16_S17_EUlS16_E_NS1_11comp_targetILNS1_3genE9ELNS1_11target_archE1100ELNS1_3gpuE3ELNS1_3repE0EEENS1_30default_config_static_selectorELNS0_4arch9wavefront6targetE0EEEvT1_.num_named_barrier, 0
	.set _ZN7rocprim17ROCPRIM_400000_NS6detail17trampoline_kernelINS0_14default_configENS1_25partition_config_selectorILNS1_17partition_subalgoE5EfNS0_10empty_typeEbEEZZNS1_14partition_implILS5_5ELb0ES3_mN6thrust23THRUST_200600_302600_NS6detail15normal_iteratorINSA_10device_ptrIfEEEEPS6_NSA_18transform_iteratorINSB_9not_fun_tI7is_trueIfEEESF_NSA_11use_defaultESM_EENS0_5tupleIJSF_S6_EEENSO_IJSG_SG_EEES6_PlJS6_EEE10hipError_tPvRmT3_T4_T5_T6_T7_T9_mT8_P12ihipStream_tbDpT10_ENKUlT_T0_E_clISt17integral_constantIbLb0EES1B_EEDaS16_S17_EUlS16_E_NS1_11comp_targetILNS1_3genE9ELNS1_11target_archE1100ELNS1_3gpuE3ELNS1_3repE0EEENS1_30default_config_static_selectorELNS0_4arch9wavefront6targetE0EEEvT1_.private_seg_size, 0
	.set _ZN7rocprim17ROCPRIM_400000_NS6detail17trampoline_kernelINS0_14default_configENS1_25partition_config_selectorILNS1_17partition_subalgoE5EfNS0_10empty_typeEbEEZZNS1_14partition_implILS5_5ELb0ES3_mN6thrust23THRUST_200600_302600_NS6detail15normal_iteratorINSA_10device_ptrIfEEEEPS6_NSA_18transform_iteratorINSB_9not_fun_tI7is_trueIfEEESF_NSA_11use_defaultESM_EENS0_5tupleIJSF_S6_EEENSO_IJSG_SG_EEES6_PlJS6_EEE10hipError_tPvRmT3_T4_T5_T6_T7_T9_mT8_P12ihipStream_tbDpT10_ENKUlT_T0_E_clISt17integral_constantIbLb0EES1B_EEDaS16_S17_EUlS16_E_NS1_11comp_targetILNS1_3genE9ELNS1_11target_archE1100ELNS1_3gpuE3ELNS1_3repE0EEENS1_30default_config_static_selectorELNS0_4arch9wavefront6targetE0EEEvT1_.uses_vcc, 0
	.set _ZN7rocprim17ROCPRIM_400000_NS6detail17trampoline_kernelINS0_14default_configENS1_25partition_config_selectorILNS1_17partition_subalgoE5EfNS0_10empty_typeEbEEZZNS1_14partition_implILS5_5ELb0ES3_mN6thrust23THRUST_200600_302600_NS6detail15normal_iteratorINSA_10device_ptrIfEEEEPS6_NSA_18transform_iteratorINSB_9not_fun_tI7is_trueIfEEESF_NSA_11use_defaultESM_EENS0_5tupleIJSF_S6_EEENSO_IJSG_SG_EEES6_PlJS6_EEE10hipError_tPvRmT3_T4_T5_T6_T7_T9_mT8_P12ihipStream_tbDpT10_ENKUlT_T0_E_clISt17integral_constantIbLb0EES1B_EEDaS16_S17_EUlS16_E_NS1_11comp_targetILNS1_3genE9ELNS1_11target_archE1100ELNS1_3gpuE3ELNS1_3repE0EEENS1_30default_config_static_selectorELNS0_4arch9wavefront6targetE0EEEvT1_.uses_flat_scratch, 0
	.set _ZN7rocprim17ROCPRIM_400000_NS6detail17trampoline_kernelINS0_14default_configENS1_25partition_config_selectorILNS1_17partition_subalgoE5EfNS0_10empty_typeEbEEZZNS1_14partition_implILS5_5ELb0ES3_mN6thrust23THRUST_200600_302600_NS6detail15normal_iteratorINSA_10device_ptrIfEEEEPS6_NSA_18transform_iteratorINSB_9not_fun_tI7is_trueIfEEESF_NSA_11use_defaultESM_EENS0_5tupleIJSF_S6_EEENSO_IJSG_SG_EEES6_PlJS6_EEE10hipError_tPvRmT3_T4_T5_T6_T7_T9_mT8_P12ihipStream_tbDpT10_ENKUlT_T0_E_clISt17integral_constantIbLb0EES1B_EEDaS16_S17_EUlS16_E_NS1_11comp_targetILNS1_3genE9ELNS1_11target_archE1100ELNS1_3gpuE3ELNS1_3repE0EEENS1_30default_config_static_selectorELNS0_4arch9wavefront6targetE0EEEvT1_.has_dyn_sized_stack, 0
	.set _ZN7rocprim17ROCPRIM_400000_NS6detail17trampoline_kernelINS0_14default_configENS1_25partition_config_selectorILNS1_17partition_subalgoE5EfNS0_10empty_typeEbEEZZNS1_14partition_implILS5_5ELb0ES3_mN6thrust23THRUST_200600_302600_NS6detail15normal_iteratorINSA_10device_ptrIfEEEEPS6_NSA_18transform_iteratorINSB_9not_fun_tI7is_trueIfEEESF_NSA_11use_defaultESM_EENS0_5tupleIJSF_S6_EEENSO_IJSG_SG_EEES6_PlJS6_EEE10hipError_tPvRmT3_T4_T5_T6_T7_T9_mT8_P12ihipStream_tbDpT10_ENKUlT_T0_E_clISt17integral_constantIbLb0EES1B_EEDaS16_S17_EUlS16_E_NS1_11comp_targetILNS1_3genE9ELNS1_11target_archE1100ELNS1_3gpuE3ELNS1_3repE0EEENS1_30default_config_static_selectorELNS0_4arch9wavefront6targetE0EEEvT1_.has_recursion, 0
	.set _ZN7rocprim17ROCPRIM_400000_NS6detail17trampoline_kernelINS0_14default_configENS1_25partition_config_selectorILNS1_17partition_subalgoE5EfNS0_10empty_typeEbEEZZNS1_14partition_implILS5_5ELb0ES3_mN6thrust23THRUST_200600_302600_NS6detail15normal_iteratorINSA_10device_ptrIfEEEEPS6_NSA_18transform_iteratorINSB_9not_fun_tI7is_trueIfEEESF_NSA_11use_defaultESM_EENS0_5tupleIJSF_S6_EEENSO_IJSG_SG_EEES6_PlJS6_EEE10hipError_tPvRmT3_T4_T5_T6_T7_T9_mT8_P12ihipStream_tbDpT10_ENKUlT_T0_E_clISt17integral_constantIbLb0EES1B_EEDaS16_S17_EUlS16_E_NS1_11comp_targetILNS1_3genE9ELNS1_11target_archE1100ELNS1_3gpuE3ELNS1_3repE0EEENS1_30default_config_static_selectorELNS0_4arch9wavefront6targetE0EEEvT1_.has_indirect_call, 0
	.section	.AMDGPU.csdata,"",@progbits
; Kernel info:
; codeLenInByte = 0
; TotalNumSgprs: 0
; NumVgprs: 0
; ScratchSize: 0
; MemoryBound: 0
; FloatMode: 240
; IeeeMode: 1
; LDSByteSize: 0 bytes/workgroup (compile time only)
; SGPRBlocks: 0
; VGPRBlocks: 0
; NumSGPRsForWavesPerEU: 1
; NumVGPRsForWavesPerEU: 1
; Occupancy: 16
; WaveLimiterHint : 0
; COMPUTE_PGM_RSRC2:SCRATCH_EN: 0
; COMPUTE_PGM_RSRC2:USER_SGPR: 2
; COMPUTE_PGM_RSRC2:TRAP_HANDLER: 0
; COMPUTE_PGM_RSRC2:TGID_X_EN: 1
; COMPUTE_PGM_RSRC2:TGID_Y_EN: 0
; COMPUTE_PGM_RSRC2:TGID_Z_EN: 0
; COMPUTE_PGM_RSRC2:TIDIG_COMP_CNT: 0
	.section	.text._ZN7rocprim17ROCPRIM_400000_NS6detail17trampoline_kernelINS0_14default_configENS1_25partition_config_selectorILNS1_17partition_subalgoE5EfNS0_10empty_typeEbEEZZNS1_14partition_implILS5_5ELb0ES3_mN6thrust23THRUST_200600_302600_NS6detail15normal_iteratorINSA_10device_ptrIfEEEEPS6_NSA_18transform_iteratorINSB_9not_fun_tI7is_trueIfEEESF_NSA_11use_defaultESM_EENS0_5tupleIJSF_S6_EEENSO_IJSG_SG_EEES6_PlJS6_EEE10hipError_tPvRmT3_T4_T5_T6_T7_T9_mT8_P12ihipStream_tbDpT10_ENKUlT_T0_E_clISt17integral_constantIbLb0EES1B_EEDaS16_S17_EUlS16_E_NS1_11comp_targetILNS1_3genE8ELNS1_11target_archE1030ELNS1_3gpuE2ELNS1_3repE0EEENS1_30default_config_static_selectorELNS0_4arch9wavefront6targetE0EEEvT1_,"axG",@progbits,_ZN7rocprim17ROCPRIM_400000_NS6detail17trampoline_kernelINS0_14default_configENS1_25partition_config_selectorILNS1_17partition_subalgoE5EfNS0_10empty_typeEbEEZZNS1_14partition_implILS5_5ELb0ES3_mN6thrust23THRUST_200600_302600_NS6detail15normal_iteratorINSA_10device_ptrIfEEEEPS6_NSA_18transform_iteratorINSB_9not_fun_tI7is_trueIfEEESF_NSA_11use_defaultESM_EENS0_5tupleIJSF_S6_EEENSO_IJSG_SG_EEES6_PlJS6_EEE10hipError_tPvRmT3_T4_T5_T6_T7_T9_mT8_P12ihipStream_tbDpT10_ENKUlT_T0_E_clISt17integral_constantIbLb0EES1B_EEDaS16_S17_EUlS16_E_NS1_11comp_targetILNS1_3genE8ELNS1_11target_archE1030ELNS1_3gpuE2ELNS1_3repE0EEENS1_30default_config_static_selectorELNS0_4arch9wavefront6targetE0EEEvT1_,comdat
	.protected	_ZN7rocprim17ROCPRIM_400000_NS6detail17trampoline_kernelINS0_14default_configENS1_25partition_config_selectorILNS1_17partition_subalgoE5EfNS0_10empty_typeEbEEZZNS1_14partition_implILS5_5ELb0ES3_mN6thrust23THRUST_200600_302600_NS6detail15normal_iteratorINSA_10device_ptrIfEEEEPS6_NSA_18transform_iteratorINSB_9not_fun_tI7is_trueIfEEESF_NSA_11use_defaultESM_EENS0_5tupleIJSF_S6_EEENSO_IJSG_SG_EEES6_PlJS6_EEE10hipError_tPvRmT3_T4_T5_T6_T7_T9_mT8_P12ihipStream_tbDpT10_ENKUlT_T0_E_clISt17integral_constantIbLb0EES1B_EEDaS16_S17_EUlS16_E_NS1_11comp_targetILNS1_3genE8ELNS1_11target_archE1030ELNS1_3gpuE2ELNS1_3repE0EEENS1_30default_config_static_selectorELNS0_4arch9wavefront6targetE0EEEvT1_ ; -- Begin function _ZN7rocprim17ROCPRIM_400000_NS6detail17trampoline_kernelINS0_14default_configENS1_25partition_config_selectorILNS1_17partition_subalgoE5EfNS0_10empty_typeEbEEZZNS1_14partition_implILS5_5ELb0ES3_mN6thrust23THRUST_200600_302600_NS6detail15normal_iteratorINSA_10device_ptrIfEEEEPS6_NSA_18transform_iteratorINSB_9not_fun_tI7is_trueIfEEESF_NSA_11use_defaultESM_EENS0_5tupleIJSF_S6_EEENSO_IJSG_SG_EEES6_PlJS6_EEE10hipError_tPvRmT3_T4_T5_T6_T7_T9_mT8_P12ihipStream_tbDpT10_ENKUlT_T0_E_clISt17integral_constantIbLb0EES1B_EEDaS16_S17_EUlS16_E_NS1_11comp_targetILNS1_3genE8ELNS1_11target_archE1030ELNS1_3gpuE2ELNS1_3repE0EEENS1_30default_config_static_selectorELNS0_4arch9wavefront6targetE0EEEvT1_
	.globl	_ZN7rocprim17ROCPRIM_400000_NS6detail17trampoline_kernelINS0_14default_configENS1_25partition_config_selectorILNS1_17partition_subalgoE5EfNS0_10empty_typeEbEEZZNS1_14partition_implILS5_5ELb0ES3_mN6thrust23THRUST_200600_302600_NS6detail15normal_iteratorINSA_10device_ptrIfEEEEPS6_NSA_18transform_iteratorINSB_9not_fun_tI7is_trueIfEEESF_NSA_11use_defaultESM_EENS0_5tupleIJSF_S6_EEENSO_IJSG_SG_EEES6_PlJS6_EEE10hipError_tPvRmT3_T4_T5_T6_T7_T9_mT8_P12ihipStream_tbDpT10_ENKUlT_T0_E_clISt17integral_constantIbLb0EES1B_EEDaS16_S17_EUlS16_E_NS1_11comp_targetILNS1_3genE8ELNS1_11target_archE1030ELNS1_3gpuE2ELNS1_3repE0EEENS1_30default_config_static_selectorELNS0_4arch9wavefront6targetE0EEEvT1_
	.p2align	8
	.type	_ZN7rocprim17ROCPRIM_400000_NS6detail17trampoline_kernelINS0_14default_configENS1_25partition_config_selectorILNS1_17partition_subalgoE5EfNS0_10empty_typeEbEEZZNS1_14partition_implILS5_5ELb0ES3_mN6thrust23THRUST_200600_302600_NS6detail15normal_iteratorINSA_10device_ptrIfEEEEPS6_NSA_18transform_iteratorINSB_9not_fun_tI7is_trueIfEEESF_NSA_11use_defaultESM_EENS0_5tupleIJSF_S6_EEENSO_IJSG_SG_EEES6_PlJS6_EEE10hipError_tPvRmT3_T4_T5_T6_T7_T9_mT8_P12ihipStream_tbDpT10_ENKUlT_T0_E_clISt17integral_constantIbLb0EES1B_EEDaS16_S17_EUlS16_E_NS1_11comp_targetILNS1_3genE8ELNS1_11target_archE1030ELNS1_3gpuE2ELNS1_3repE0EEENS1_30default_config_static_selectorELNS0_4arch9wavefront6targetE0EEEvT1_,@function
_ZN7rocprim17ROCPRIM_400000_NS6detail17trampoline_kernelINS0_14default_configENS1_25partition_config_selectorILNS1_17partition_subalgoE5EfNS0_10empty_typeEbEEZZNS1_14partition_implILS5_5ELb0ES3_mN6thrust23THRUST_200600_302600_NS6detail15normal_iteratorINSA_10device_ptrIfEEEEPS6_NSA_18transform_iteratorINSB_9not_fun_tI7is_trueIfEEESF_NSA_11use_defaultESM_EENS0_5tupleIJSF_S6_EEENSO_IJSG_SG_EEES6_PlJS6_EEE10hipError_tPvRmT3_T4_T5_T6_T7_T9_mT8_P12ihipStream_tbDpT10_ENKUlT_T0_E_clISt17integral_constantIbLb0EES1B_EEDaS16_S17_EUlS16_E_NS1_11comp_targetILNS1_3genE8ELNS1_11target_archE1030ELNS1_3gpuE2ELNS1_3repE0EEENS1_30default_config_static_selectorELNS0_4arch9wavefront6targetE0EEEvT1_: ; @_ZN7rocprim17ROCPRIM_400000_NS6detail17trampoline_kernelINS0_14default_configENS1_25partition_config_selectorILNS1_17partition_subalgoE5EfNS0_10empty_typeEbEEZZNS1_14partition_implILS5_5ELb0ES3_mN6thrust23THRUST_200600_302600_NS6detail15normal_iteratorINSA_10device_ptrIfEEEEPS6_NSA_18transform_iteratorINSB_9not_fun_tI7is_trueIfEEESF_NSA_11use_defaultESM_EENS0_5tupleIJSF_S6_EEENSO_IJSG_SG_EEES6_PlJS6_EEE10hipError_tPvRmT3_T4_T5_T6_T7_T9_mT8_P12ihipStream_tbDpT10_ENKUlT_T0_E_clISt17integral_constantIbLb0EES1B_EEDaS16_S17_EUlS16_E_NS1_11comp_targetILNS1_3genE8ELNS1_11target_archE1030ELNS1_3gpuE2ELNS1_3repE0EEENS1_30default_config_static_selectorELNS0_4arch9wavefront6targetE0EEEvT1_
; %bb.0:
	.section	.rodata,"a",@progbits
	.p2align	6, 0x0
	.amdhsa_kernel _ZN7rocprim17ROCPRIM_400000_NS6detail17trampoline_kernelINS0_14default_configENS1_25partition_config_selectorILNS1_17partition_subalgoE5EfNS0_10empty_typeEbEEZZNS1_14partition_implILS5_5ELb0ES3_mN6thrust23THRUST_200600_302600_NS6detail15normal_iteratorINSA_10device_ptrIfEEEEPS6_NSA_18transform_iteratorINSB_9not_fun_tI7is_trueIfEEESF_NSA_11use_defaultESM_EENS0_5tupleIJSF_S6_EEENSO_IJSG_SG_EEES6_PlJS6_EEE10hipError_tPvRmT3_T4_T5_T6_T7_T9_mT8_P12ihipStream_tbDpT10_ENKUlT_T0_E_clISt17integral_constantIbLb0EES1B_EEDaS16_S17_EUlS16_E_NS1_11comp_targetILNS1_3genE8ELNS1_11target_archE1030ELNS1_3gpuE2ELNS1_3repE0EEENS1_30default_config_static_selectorELNS0_4arch9wavefront6targetE0EEEvT1_
		.amdhsa_group_segment_fixed_size 0
		.amdhsa_private_segment_fixed_size 0
		.amdhsa_kernarg_size 120
		.amdhsa_user_sgpr_count 2
		.amdhsa_user_sgpr_dispatch_ptr 0
		.amdhsa_user_sgpr_queue_ptr 0
		.amdhsa_user_sgpr_kernarg_segment_ptr 1
		.amdhsa_user_sgpr_dispatch_id 0
		.amdhsa_user_sgpr_private_segment_size 0
		.amdhsa_wavefront_size32 1
		.amdhsa_uses_dynamic_stack 0
		.amdhsa_enable_private_segment 0
		.amdhsa_system_sgpr_workgroup_id_x 1
		.amdhsa_system_sgpr_workgroup_id_y 0
		.amdhsa_system_sgpr_workgroup_id_z 0
		.amdhsa_system_sgpr_workgroup_info 0
		.amdhsa_system_vgpr_workitem_id 0
		.amdhsa_next_free_vgpr 1
		.amdhsa_next_free_sgpr 1
		.amdhsa_reserve_vcc 0
		.amdhsa_float_round_mode_32 0
		.amdhsa_float_round_mode_16_64 0
		.amdhsa_float_denorm_mode_32 3
		.amdhsa_float_denorm_mode_16_64 3
		.amdhsa_fp16_overflow 0
		.amdhsa_workgroup_processor_mode 1
		.amdhsa_memory_ordered 1
		.amdhsa_forward_progress 1
		.amdhsa_inst_pref_size 0
		.amdhsa_round_robin_scheduling 0
		.amdhsa_exception_fp_ieee_invalid_op 0
		.amdhsa_exception_fp_denorm_src 0
		.amdhsa_exception_fp_ieee_div_zero 0
		.amdhsa_exception_fp_ieee_overflow 0
		.amdhsa_exception_fp_ieee_underflow 0
		.amdhsa_exception_fp_ieee_inexact 0
		.amdhsa_exception_int_div_zero 0
	.end_amdhsa_kernel
	.section	.text._ZN7rocprim17ROCPRIM_400000_NS6detail17trampoline_kernelINS0_14default_configENS1_25partition_config_selectorILNS1_17partition_subalgoE5EfNS0_10empty_typeEbEEZZNS1_14partition_implILS5_5ELb0ES3_mN6thrust23THRUST_200600_302600_NS6detail15normal_iteratorINSA_10device_ptrIfEEEEPS6_NSA_18transform_iteratorINSB_9not_fun_tI7is_trueIfEEESF_NSA_11use_defaultESM_EENS0_5tupleIJSF_S6_EEENSO_IJSG_SG_EEES6_PlJS6_EEE10hipError_tPvRmT3_T4_T5_T6_T7_T9_mT8_P12ihipStream_tbDpT10_ENKUlT_T0_E_clISt17integral_constantIbLb0EES1B_EEDaS16_S17_EUlS16_E_NS1_11comp_targetILNS1_3genE8ELNS1_11target_archE1030ELNS1_3gpuE2ELNS1_3repE0EEENS1_30default_config_static_selectorELNS0_4arch9wavefront6targetE0EEEvT1_,"axG",@progbits,_ZN7rocprim17ROCPRIM_400000_NS6detail17trampoline_kernelINS0_14default_configENS1_25partition_config_selectorILNS1_17partition_subalgoE5EfNS0_10empty_typeEbEEZZNS1_14partition_implILS5_5ELb0ES3_mN6thrust23THRUST_200600_302600_NS6detail15normal_iteratorINSA_10device_ptrIfEEEEPS6_NSA_18transform_iteratorINSB_9not_fun_tI7is_trueIfEEESF_NSA_11use_defaultESM_EENS0_5tupleIJSF_S6_EEENSO_IJSG_SG_EEES6_PlJS6_EEE10hipError_tPvRmT3_T4_T5_T6_T7_T9_mT8_P12ihipStream_tbDpT10_ENKUlT_T0_E_clISt17integral_constantIbLb0EES1B_EEDaS16_S17_EUlS16_E_NS1_11comp_targetILNS1_3genE8ELNS1_11target_archE1030ELNS1_3gpuE2ELNS1_3repE0EEENS1_30default_config_static_selectorELNS0_4arch9wavefront6targetE0EEEvT1_,comdat
.Lfunc_end1342:
	.size	_ZN7rocprim17ROCPRIM_400000_NS6detail17trampoline_kernelINS0_14default_configENS1_25partition_config_selectorILNS1_17partition_subalgoE5EfNS0_10empty_typeEbEEZZNS1_14partition_implILS5_5ELb0ES3_mN6thrust23THRUST_200600_302600_NS6detail15normal_iteratorINSA_10device_ptrIfEEEEPS6_NSA_18transform_iteratorINSB_9not_fun_tI7is_trueIfEEESF_NSA_11use_defaultESM_EENS0_5tupleIJSF_S6_EEENSO_IJSG_SG_EEES6_PlJS6_EEE10hipError_tPvRmT3_T4_T5_T6_T7_T9_mT8_P12ihipStream_tbDpT10_ENKUlT_T0_E_clISt17integral_constantIbLb0EES1B_EEDaS16_S17_EUlS16_E_NS1_11comp_targetILNS1_3genE8ELNS1_11target_archE1030ELNS1_3gpuE2ELNS1_3repE0EEENS1_30default_config_static_selectorELNS0_4arch9wavefront6targetE0EEEvT1_, .Lfunc_end1342-_ZN7rocprim17ROCPRIM_400000_NS6detail17trampoline_kernelINS0_14default_configENS1_25partition_config_selectorILNS1_17partition_subalgoE5EfNS0_10empty_typeEbEEZZNS1_14partition_implILS5_5ELb0ES3_mN6thrust23THRUST_200600_302600_NS6detail15normal_iteratorINSA_10device_ptrIfEEEEPS6_NSA_18transform_iteratorINSB_9not_fun_tI7is_trueIfEEESF_NSA_11use_defaultESM_EENS0_5tupleIJSF_S6_EEENSO_IJSG_SG_EEES6_PlJS6_EEE10hipError_tPvRmT3_T4_T5_T6_T7_T9_mT8_P12ihipStream_tbDpT10_ENKUlT_T0_E_clISt17integral_constantIbLb0EES1B_EEDaS16_S17_EUlS16_E_NS1_11comp_targetILNS1_3genE8ELNS1_11target_archE1030ELNS1_3gpuE2ELNS1_3repE0EEENS1_30default_config_static_selectorELNS0_4arch9wavefront6targetE0EEEvT1_
                                        ; -- End function
	.set _ZN7rocprim17ROCPRIM_400000_NS6detail17trampoline_kernelINS0_14default_configENS1_25partition_config_selectorILNS1_17partition_subalgoE5EfNS0_10empty_typeEbEEZZNS1_14partition_implILS5_5ELb0ES3_mN6thrust23THRUST_200600_302600_NS6detail15normal_iteratorINSA_10device_ptrIfEEEEPS6_NSA_18transform_iteratorINSB_9not_fun_tI7is_trueIfEEESF_NSA_11use_defaultESM_EENS0_5tupleIJSF_S6_EEENSO_IJSG_SG_EEES6_PlJS6_EEE10hipError_tPvRmT3_T4_T5_T6_T7_T9_mT8_P12ihipStream_tbDpT10_ENKUlT_T0_E_clISt17integral_constantIbLb0EES1B_EEDaS16_S17_EUlS16_E_NS1_11comp_targetILNS1_3genE8ELNS1_11target_archE1030ELNS1_3gpuE2ELNS1_3repE0EEENS1_30default_config_static_selectorELNS0_4arch9wavefront6targetE0EEEvT1_.num_vgpr, 0
	.set _ZN7rocprim17ROCPRIM_400000_NS6detail17trampoline_kernelINS0_14default_configENS1_25partition_config_selectorILNS1_17partition_subalgoE5EfNS0_10empty_typeEbEEZZNS1_14partition_implILS5_5ELb0ES3_mN6thrust23THRUST_200600_302600_NS6detail15normal_iteratorINSA_10device_ptrIfEEEEPS6_NSA_18transform_iteratorINSB_9not_fun_tI7is_trueIfEEESF_NSA_11use_defaultESM_EENS0_5tupleIJSF_S6_EEENSO_IJSG_SG_EEES6_PlJS6_EEE10hipError_tPvRmT3_T4_T5_T6_T7_T9_mT8_P12ihipStream_tbDpT10_ENKUlT_T0_E_clISt17integral_constantIbLb0EES1B_EEDaS16_S17_EUlS16_E_NS1_11comp_targetILNS1_3genE8ELNS1_11target_archE1030ELNS1_3gpuE2ELNS1_3repE0EEENS1_30default_config_static_selectorELNS0_4arch9wavefront6targetE0EEEvT1_.num_agpr, 0
	.set _ZN7rocprim17ROCPRIM_400000_NS6detail17trampoline_kernelINS0_14default_configENS1_25partition_config_selectorILNS1_17partition_subalgoE5EfNS0_10empty_typeEbEEZZNS1_14partition_implILS5_5ELb0ES3_mN6thrust23THRUST_200600_302600_NS6detail15normal_iteratorINSA_10device_ptrIfEEEEPS6_NSA_18transform_iteratorINSB_9not_fun_tI7is_trueIfEEESF_NSA_11use_defaultESM_EENS0_5tupleIJSF_S6_EEENSO_IJSG_SG_EEES6_PlJS6_EEE10hipError_tPvRmT3_T4_T5_T6_T7_T9_mT8_P12ihipStream_tbDpT10_ENKUlT_T0_E_clISt17integral_constantIbLb0EES1B_EEDaS16_S17_EUlS16_E_NS1_11comp_targetILNS1_3genE8ELNS1_11target_archE1030ELNS1_3gpuE2ELNS1_3repE0EEENS1_30default_config_static_selectorELNS0_4arch9wavefront6targetE0EEEvT1_.numbered_sgpr, 0
	.set _ZN7rocprim17ROCPRIM_400000_NS6detail17trampoline_kernelINS0_14default_configENS1_25partition_config_selectorILNS1_17partition_subalgoE5EfNS0_10empty_typeEbEEZZNS1_14partition_implILS5_5ELb0ES3_mN6thrust23THRUST_200600_302600_NS6detail15normal_iteratorINSA_10device_ptrIfEEEEPS6_NSA_18transform_iteratorINSB_9not_fun_tI7is_trueIfEEESF_NSA_11use_defaultESM_EENS0_5tupleIJSF_S6_EEENSO_IJSG_SG_EEES6_PlJS6_EEE10hipError_tPvRmT3_T4_T5_T6_T7_T9_mT8_P12ihipStream_tbDpT10_ENKUlT_T0_E_clISt17integral_constantIbLb0EES1B_EEDaS16_S17_EUlS16_E_NS1_11comp_targetILNS1_3genE8ELNS1_11target_archE1030ELNS1_3gpuE2ELNS1_3repE0EEENS1_30default_config_static_selectorELNS0_4arch9wavefront6targetE0EEEvT1_.num_named_barrier, 0
	.set _ZN7rocprim17ROCPRIM_400000_NS6detail17trampoline_kernelINS0_14default_configENS1_25partition_config_selectorILNS1_17partition_subalgoE5EfNS0_10empty_typeEbEEZZNS1_14partition_implILS5_5ELb0ES3_mN6thrust23THRUST_200600_302600_NS6detail15normal_iteratorINSA_10device_ptrIfEEEEPS6_NSA_18transform_iteratorINSB_9not_fun_tI7is_trueIfEEESF_NSA_11use_defaultESM_EENS0_5tupleIJSF_S6_EEENSO_IJSG_SG_EEES6_PlJS6_EEE10hipError_tPvRmT3_T4_T5_T6_T7_T9_mT8_P12ihipStream_tbDpT10_ENKUlT_T0_E_clISt17integral_constantIbLb0EES1B_EEDaS16_S17_EUlS16_E_NS1_11comp_targetILNS1_3genE8ELNS1_11target_archE1030ELNS1_3gpuE2ELNS1_3repE0EEENS1_30default_config_static_selectorELNS0_4arch9wavefront6targetE0EEEvT1_.private_seg_size, 0
	.set _ZN7rocprim17ROCPRIM_400000_NS6detail17trampoline_kernelINS0_14default_configENS1_25partition_config_selectorILNS1_17partition_subalgoE5EfNS0_10empty_typeEbEEZZNS1_14partition_implILS5_5ELb0ES3_mN6thrust23THRUST_200600_302600_NS6detail15normal_iteratorINSA_10device_ptrIfEEEEPS6_NSA_18transform_iteratorINSB_9not_fun_tI7is_trueIfEEESF_NSA_11use_defaultESM_EENS0_5tupleIJSF_S6_EEENSO_IJSG_SG_EEES6_PlJS6_EEE10hipError_tPvRmT3_T4_T5_T6_T7_T9_mT8_P12ihipStream_tbDpT10_ENKUlT_T0_E_clISt17integral_constantIbLb0EES1B_EEDaS16_S17_EUlS16_E_NS1_11comp_targetILNS1_3genE8ELNS1_11target_archE1030ELNS1_3gpuE2ELNS1_3repE0EEENS1_30default_config_static_selectorELNS0_4arch9wavefront6targetE0EEEvT1_.uses_vcc, 0
	.set _ZN7rocprim17ROCPRIM_400000_NS6detail17trampoline_kernelINS0_14default_configENS1_25partition_config_selectorILNS1_17partition_subalgoE5EfNS0_10empty_typeEbEEZZNS1_14partition_implILS5_5ELb0ES3_mN6thrust23THRUST_200600_302600_NS6detail15normal_iteratorINSA_10device_ptrIfEEEEPS6_NSA_18transform_iteratorINSB_9not_fun_tI7is_trueIfEEESF_NSA_11use_defaultESM_EENS0_5tupleIJSF_S6_EEENSO_IJSG_SG_EEES6_PlJS6_EEE10hipError_tPvRmT3_T4_T5_T6_T7_T9_mT8_P12ihipStream_tbDpT10_ENKUlT_T0_E_clISt17integral_constantIbLb0EES1B_EEDaS16_S17_EUlS16_E_NS1_11comp_targetILNS1_3genE8ELNS1_11target_archE1030ELNS1_3gpuE2ELNS1_3repE0EEENS1_30default_config_static_selectorELNS0_4arch9wavefront6targetE0EEEvT1_.uses_flat_scratch, 0
	.set _ZN7rocprim17ROCPRIM_400000_NS6detail17trampoline_kernelINS0_14default_configENS1_25partition_config_selectorILNS1_17partition_subalgoE5EfNS0_10empty_typeEbEEZZNS1_14partition_implILS5_5ELb0ES3_mN6thrust23THRUST_200600_302600_NS6detail15normal_iteratorINSA_10device_ptrIfEEEEPS6_NSA_18transform_iteratorINSB_9not_fun_tI7is_trueIfEEESF_NSA_11use_defaultESM_EENS0_5tupleIJSF_S6_EEENSO_IJSG_SG_EEES6_PlJS6_EEE10hipError_tPvRmT3_T4_T5_T6_T7_T9_mT8_P12ihipStream_tbDpT10_ENKUlT_T0_E_clISt17integral_constantIbLb0EES1B_EEDaS16_S17_EUlS16_E_NS1_11comp_targetILNS1_3genE8ELNS1_11target_archE1030ELNS1_3gpuE2ELNS1_3repE0EEENS1_30default_config_static_selectorELNS0_4arch9wavefront6targetE0EEEvT1_.has_dyn_sized_stack, 0
	.set _ZN7rocprim17ROCPRIM_400000_NS6detail17trampoline_kernelINS0_14default_configENS1_25partition_config_selectorILNS1_17partition_subalgoE5EfNS0_10empty_typeEbEEZZNS1_14partition_implILS5_5ELb0ES3_mN6thrust23THRUST_200600_302600_NS6detail15normal_iteratorINSA_10device_ptrIfEEEEPS6_NSA_18transform_iteratorINSB_9not_fun_tI7is_trueIfEEESF_NSA_11use_defaultESM_EENS0_5tupleIJSF_S6_EEENSO_IJSG_SG_EEES6_PlJS6_EEE10hipError_tPvRmT3_T4_T5_T6_T7_T9_mT8_P12ihipStream_tbDpT10_ENKUlT_T0_E_clISt17integral_constantIbLb0EES1B_EEDaS16_S17_EUlS16_E_NS1_11comp_targetILNS1_3genE8ELNS1_11target_archE1030ELNS1_3gpuE2ELNS1_3repE0EEENS1_30default_config_static_selectorELNS0_4arch9wavefront6targetE0EEEvT1_.has_recursion, 0
	.set _ZN7rocprim17ROCPRIM_400000_NS6detail17trampoline_kernelINS0_14default_configENS1_25partition_config_selectorILNS1_17partition_subalgoE5EfNS0_10empty_typeEbEEZZNS1_14partition_implILS5_5ELb0ES3_mN6thrust23THRUST_200600_302600_NS6detail15normal_iteratorINSA_10device_ptrIfEEEEPS6_NSA_18transform_iteratorINSB_9not_fun_tI7is_trueIfEEESF_NSA_11use_defaultESM_EENS0_5tupleIJSF_S6_EEENSO_IJSG_SG_EEES6_PlJS6_EEE10hipError_tPvRmT3_T4_T5_T6_T7_T9_mT8_P12ihipStream_tbDpT10_ENKUlT_T0_E_clISt17integral_constantIbLb0EES1B_EEDaS16_S17_EUlS16_E_NS1_11comp_targetILNS1_3genE8ELNS1_11target_archE1030ELNS1_3gpuE2ELNS1_3repE0EEENS1_30default_config_static_selectorELNS0_4arch9wavefront6targetE0EEEvT1_.has_indirect_call, 0
	.section	.AMDGPU.csdata,"",@progbits
; Kernel info:
; codeLenInByte = 0
; TotalNumSgprs: 0
; NumVgprs: 0
; ScratchSize: 0
; MemoryBound: 0
; FloatMode: 240
; IeeeMode: 1
; LDSByteSize: 0 bytes/workgroup (compile time only)
; SGPRBlocks: 0
; VGPRBlocks: 0
; NumSGPRsForWavesPerEU: 1
; NumVGPRsForWavesPerEU: 1
; Occupancy: 16
; WaveLimiterHint : 0
; COMPUTE_PGM_RSRC2:SCRATCH_EN: 0
; COMPUTE_PGM_RSRC2:USER_SGPR: 2
; COMPUTE_PGM_RSRC2:TRAP_HANDLER: 0
; COMPUTE_PGM_RSRC2:TGID_X_EN: 1
; COMPUTE_PGM_RSRC2:TGID_Y_EN: 0
; COMPUTE_PGM_RSRC2:TGID_Z_EN: 0
; COMPUTE_PGM_RSRC2:TIDIG_COMP_CNT: 0
	.section	.text._ZN7rocprim17ROCPRIM_400000_NS6detail17trampoline_kernelINS0_14default_configENS1_25partition_config_selectorILNS1_17partition_subalgoE5EfNS0_10empty_typeEbEEZZNS1_14partition_implILS5_5ELb0ES3_mN6thrust23THRUST_200600_302600_NS6detail15normal_iteratorINSA_10device_ptrIfEEEEPS6_NSA_18transform_iteratorINSB_9not_fun_tI7is_trueIfEEESF_NSA_11use_defaultESM_EENS0_5tupleIJSF_S6_EEENSO_IJSG_SG_EEES6_PlJS6_EEE10hipError_tPvRmT3_T4_T5_T6_T7_T9_mT8_P12ihipStream_tbDpT10_ENKUlT_T0_E_clISt17integral_constantIbLb1EES1B_EEDaS16_S17_EUlS16_E_NS1_11comp_targetILNS1_3genE0ELNS1_11target_archE4294967295ELNS1_3gpuE0ELNS1_3repE0EEENS1_30default_config_static_selectorELNS0_4arch9wavefront6targetE0EEEvT1_,"axG",@progbits,_ZN7rocprim17ROCPRIM_400000_NS6detail17trampoline_kernelINS0_14default_configENS1_25partition_config_selectorILNS1_17partition_subalgoE5EfNS0_10empty_typeEbEEZZNS1_14partition_implILS5_5ELb0ES3_mN6thrust23THRUST_200600_302600_NS6detail15normal_iteratorINSA_10device_ptrIfEEEEPS6_NSA_18transform_iteratorINSB_9not_fun_tI7is_trueIfEEESF_NSA_11use_defaultESM_EENS0_5tupleIJSF_S6_EEENSO_IJSG_SG_EEES6_PlJS6_EEE10hipError_tPvRmT3_T4_T5_T6_T7_T9_mT8_P12ihipStream_tbDpT10_ENKUlT_T0_E_clISt17integral_constantIbLb1EES1B_EEDaS16_S17_EUlS16_E_NS1_11comp_targetILNS1_3genE0ELNS1_11target_archE4294967295ELNS1_3gpuE0ELNS1_3repE0EEENS1_30default_config_static_selectorELNS0_4arch9wavefront6targetE0EEEvT1_,comdat
	.protected	_ZN7rocprim17ROCPRIM_400000_NS6detail17trampoline_kernelINS0_14default_configENS1_25partition_config_selectorILNS1_17partition_subalgoE5EfNS0_10empty_typeEbEEZZNS1_14partition_implILS5_5ELb0ES3_mN6thrust23THRUST_200600_302600_NS6detail15normal_iteratorINSA_10device_ptrIfEEEEPS6_NSA_18transform_iteratorINSB_9not_fun_tI7is_trueIfEEESF_NSA_11use_defaultESM_EENS0_5tupleIJSF_S6_EEENSO_IJSG_SG_EEES6_PlJS6_EEE10hipError_tPvRmT3_T4_T5_T6_T7_T9_mT8_P12ihipStream_tbDpT10_ENKUlT_T0_E_clISt17integral_constantIbLb1EES1B_EEDaS16_S17_EUlS16_E_NS1_11comp_targetILNS1_3genE0ELNS1_11target_archE4294967295ELNS1_3gpuE0ELNS1_3repE0EEENS1_30default_config_static_selectorELNS0_4arch9wavefront6targetE0EEEvT1_ ; -- Begin function _ZN7rocprim17ROCPRIM_400000_NS6detail17trampoline_kernelINS0_14default_configENS1_25partition_config_selectorILNS1_17partition_subalgoE5EfNS0_10empty_typeEbEEZZNS1_14partition_implILS5_5ELb0ES3_mN6thrust23THRUST_200600_302600_NS6detail15normal_iteratorINSA_10device_ptrIfEEEEPS6_NSA_18transform_iteratorINSB_9not_fun_tI7is_trueIfEEESF_NSA_11use_defaultESM_EENS0_5tupleIJSF_S6_EEENSO_IJSG_SG_EEES6_PlJS6_EEE10hipError_tPvRmT3_T4_T5_T6_T7_T9_mT8_P12ihipStream_tbDpT10_ENKUlT_T0_E_clISt17integral_constantIbLb1EES1B_EEDaS16_S17_EUlS16_E_NS1_11comp_targetILNS1_3genE0ELNS1_11target_archE4294967295ELNS1_3gpuE0ELNS1_3repE0EEENS1_30default_config_static_selectorELNS0_4arch9wavefront6targetE0EEEvT1_
	.globl	_ZN7rocprim17ROCPRIM_400000_NS6detail17trampoline_kernelINS0_14default_configENS1_25partition_config_selectorILNS1_17partition_subalgoE5EfNS0_10empty_typeEbEEZZNS1_14partition_implILS5_5ELb0ES3_mN6thrust23THRUST_200600_302600_NS6detail15normal_iteratorINSA_10device_ptrIfEEEEPS6_NSA_18transform_iteratorINSB_9not_fun_tI7is_trueIfEEESF_NSA_11use_defaultESM_EENS0_5tupleIJSF_S6_EEENSO_IJSG_SG_EEES6_PlJS6_EEE10hipError_tPvRmT3_T4_T5_T6_T7_T9_mT8_P12ihipStream_tbDpT10_ENKUlT_T0_E_clISt17integral_constantIbLb1EES1B_EEDaS16_S17_EUlS16_E_NS1_11comp_targetILNS1_3genE0ELNS1_11target_archE4294967295ELNS1_3gpuE0ELNS1_3repE0EEENS1_30default_config_static_selectorELNS0_4arch9wavefront6targetE0EEEvT1_
	.p2align	8
	.type	_ZN7rocprim17ROCPRIM_400000_NS6detail17trampoline_kernelINS0_14default_configENS1_25partition_config_selectorILNS1_17partition_subalgoE5EfNS0_10empty_typeEbEEZZNS1_14partition_implILS5_5ELb0ES3_mN6thrust23THRUST_200600_302600_NS6detail15normal_iteratorINSA_10device_ptrIfEEEEPS6_NSA_18transform_iteratorINSB_9not_fun_tI7is_trueIfEEESF_NSA_11use_defaultESM_EENS0_5tupleIJSF_S6_EEENSO_IJSG_SG_EEES6_PlJS6_EEE10hipError_tPvRmT3_T4_T5_T6_T7_T9_mT8_P12ihipStream_tbDpT10_ENKUlT_T0_E_clISt17integral_constantIbLb1EES1B_EEDaS16_S17_EUlS16_E_NS1_11comp_targetILNS1_3genE0ELNS1_11target_archE4294967295ELNS1_3gpuE0ELNS1_3repE0EEENS1_30default_config_static_selectorELNS0_4arch9wavefront6targetE0EEEvT1_,@function
_ZN7rocprim17ROCPRIM_400000_NS6detail17trampoline_kernelINS0_14default_configENS1_25partition_config_selectorILNS1_17partition_subalgoE5EfNS0_10empty_typeEbEEZZNS1_14partition_implILS5_5ELb0ES3_mN6thrust23THRUST_200600_302600_NS6detail15normal_iteratorINSA_10device_ptrIfEEEEPS6_NSA_18transform_iteratorINSB_9not_fun_tI7is_trueIfEEESF_NSA_11use_defaultESM_EENS0_5tupleIJSF_S6_EEENSO_IJSG_SG_EEES6_PlJS6_EEE10hipError_tPvRmT3_T4_T5_T6_T7_T9_mT8_P12ihipStream_tbDpT10_ENKUlT_T0_E_clISt17integral_constantIbLb1EES1B_EEDaS16_S17_EUlS16_E_NS1_11comp_targetILNS1_3genE0ELNS1_11target_archE4294967295ELNS1_3gpuE0ELNS1_3repE0EEENS1_30default_config_static_selectorELNS0_4arch9wavefront6targetE0EEEvT1_: ; @_ZN7rocprim17ROCPRIM_400000_NS6detail17trampoline_kernelINS0_14default_configENS1_25partition_config_selectorILNS1_17partition_subalgoE5EfNS0_10empty_typeEbEEZZNS1_14partition_implILS5_5ELb0ES3_mN6thrust23THRUST_200600_302600_NS6detail15normal_iteratorINSA_10device_ptrIfEEEEPS6_NSA_18transform_iteratorINSB_9not_fun_tI7is_trueIfEEESF_NSA_11use_defaultESM_EENS0_5tupleIJSF_S6_EEENSO_IJSG_SG_EEES6_PlJS6_EEE10hipError_tPvRmT3_T4_T5_T6_T7_T9_mT8_P12ihipStream_tbDpT10_ENKUlT_T0_E_clISt17integral_constantIbLb1EES1B_EEDaS16_S17_EUlS16_E_NS1_11comp_targetILNS1_3genE0ELNS1_11target_archE4294967295ELNS1_3gpuE0ELNS1_3repE0EEENS1_30default_config_static_selectorELNS0_4arch9wavefront6targetE0EEEvT1_
; %bb.0:
	.section	.rodata,"a",@progbits
	.p2align	6, 0x0
	.amdhsa_kernel _ZN7rocprim17ROCPRIM_400000_NS6detail17trampoline_kernelINS0_14default_configENS1_25partition_config_selectorILNS1_17partition_subalgoE5EfNS0_10empty_typeEbEEZZNS1_14partition_implILS5_5ELb0ES3_mN6thrust23THRUST_200600_302600_NS6detail15normal_iteratorINSA_10device_ptrIfEEEEPS6_NSA_18transform_iteratorINSB_9not_fun_tI7is_trueIfEEESF_NSA_11use_defaultESM_EENS0_5tupleIJSF_S6_EEENSO_IJSG_SG_EEES6_PlJS6_EEE10hipError_tPvRmT3_T4_T5_T6_T7_T9_mT8_P12ihipStream_tbDpT10_ENKUlT_T0_E_clISt17integral_constantIbLb1EES1B_EEDaS16_S17_EUlS16_E_NS1_11comp_targetILNS1_3genE0ELNS1_11target_archE4294967295ELNS1_3gpuE0ELNS1_3repE0EEENS1_30default_config_static_selectorELNS0_4arch9wavefront6targetE0EEEvT1_
		.amdhsa_group_segment_fixed_size 0
		.amdhsa_private_segment_fixed_size 0
		.amdhsa_kernarg_size 136
		.amdhsa_user_sgpr_count 2
		.amdhsa_user_sgpr_dispatch_ptr 0
		.amdhsa_user_sgpr_queue_ptr 0
		.amdhsa_user_sgpr_kernarg_segment_ptr 1
		.amdhsa_user_sgpr_dispatch_id 0
		.amdhsa_user_sgpr_private_segment_size 0
		.amdhsa_wavefront_size32 1
		.amdhsa_uses_dynamic_stack 0
		.amdhsa_enable_private_segment 0
		.amdhsa_system_sgpr_workgroup_id_x 1
		.amdhsa_system_sgpr_workgroup_id_y 0
		.amdhsa_system_sgpr_workgroup_id_z 0
		.amdhsa_system_sgpr_workgroup_info 0
		.amdhsa_system_vgpr_workitem_id 0
		.amdhsa_next_free_vgpr 1
		.amdhsa_next_free_sgpr 1
		.amdhsa_reserve_vcc 0
		.amdhsa_float_round_mode_32 0
		.amdhsa_float_round_mode_16_64 0
		.amdhsa_float_denorm_mode_32 3
		.amdhsa_float_denorm_mode_16_64 3
		.amdhsa_fp16_overflow 0
		.amdhsa_workgroup_processor_mode 1
		.amdhsa_memory_ordered 1
		.amdhsa_forward_progress 1
		.amdhsa_inst_pref_size 0
		.amdhsa_round_robin_scheduling 0
		.amdhsa_exception_fp_ieee_invalid_op 0
		.amdhsa_exception_fp_denorm_src 0
		.amdhsa_exception_fp_ieee_div_zero 0
		.amdhsa_exception_fp_ieee_overflow 0
		.amdhsa_exception_fp_ieee_underflow 0
		.amdhsa_exception_fp_ieee_inexact 0
		.amdhsa_exception_int_div_zero 0
	.end_amdhsa_kernel
	.section	.text._ZN7rocprim17ROCPRIM_400000_NS6detail17trampoline_kernelINS0_14default_configENS1_25partition_config_selectorILNS1_17partition_subalgoE5EfNS0_10empty_typeEbEEZZNS1_14partition_implILS5_5ELb0ES3_mN6thrust23THRUST_200600_302600_NS6detail15normal_iteratorINSA_10device_ptrIfEEEEPS6_NSA_18transform_iteratorINSB_9not_fun_tI7is_trueIfEEESF_NSA_11use_defaultESM_EENS0_5tupleIJSF_S6_EEENSO_IJSG_SG_EEES6_PlJS6_EEE10hipError_tPvRmT3_T4_T5_T6_T7_T9_mT8_P12ihipStream_tbDpT10_ENKUlT_T0_E_clISt17integral_constantIbLb1EES1B_EEDaS16_S17_EUlS16_E_NS1_11comp_targetILNS1_3genE0ELNS1_11target_archE4294967295ELNS1_3gpuE0ELNS1_3repE0EEENS1_30default_config_static_selectorELNS0_4arch9wavefront6targetE0EEEvT1_,"axG",@progbits,_ZN7rocprim17ROCPRIM_400000_NS6detail17trampoline_kernelINS0_14default_configENS1_25partition_config_selectorILNS1_17partition_subalgoE5EfNS0_10empty_typeEbEEZZNS1_14partition_implILS5_5ELb0ES3_mN6thrust23THRUST_200600_302600_NS6detail15normal_iteratorINSA_10device_ptrIfEEEEPS6_NSA_18transform_iteratorINSB_9not_fun_tI7is_trueIfEEESF_NSA_11use_defaultESM_EENS0_5tupleIJSF_S6_EEENSO_IJSG_SG_EEES6_PlJS6_EEE10hipError_tPvRmT3_T4_T5_T6_T7_T9_mT8_P12ihipStream_tbDpT10_ENKUlT_T0_E_clISt17integral_constantIbLb1EES1B_EEDaS16_S17_EUlS16_E_NS1_11comp_targetILNS1_3genE0ELNS1_11target_archE4294967295ELNS1_3gpuE0ELNS1_3repE0EEENS1_30default_config_static_selectorELNS0_4arch9wavefront6targetE0EEEvT1_,comdat
.Lfunc_end1343:
	.size	_ZN7rocprim17ROCPRIM_400000_NS6detail17trampoline_kernelINS0_14default_configENS1_25partition_config_selectorILNS1_17partition_subalgoE5EfNS0_10empty_typeEbEEZZNS1_14partition_implILS5_5ELb0ES3_mN6thrust23THRUST_200600_302600_NS6detail15normal_iteratorINSA_10device_ptrIfEEEEPS6_NSA_18transform_iteratorINSB_9not_fun_tI7is_trueIfEEESF_NSA_11use_defaultESM_EENS0_5tupleIJSF_S6_EEENSO_IJSG_SG_EEES6_PlJS6_EEE10hipError_tPvRmT3_T4_T5_T6_T7_T9_mT8_P12ihipStream_tbDpT10_ENKUlT_T0_E_clISt17integral_constantIbLb1EES1B_EEDaS16_S17_EUlS16_E_NS1_11comp_targetILNS1_3genE0ELNS1_11target_archE4294967295ELNS1_3gpuE0ELNS1_3repE0EEENS1_30default_config_static_selectorELNS0_4arch9wavefront6targetE0EEEvT1_, .Lfunc_end1343-_ZN7rocprim17ROCPRIM_400000_NS6detail17trampoline_kernelINS0_14default_configENS1_25partition_config_selectorILNS1_17partition_subalgoE5EfNS0_10empty_typeEbEEZZNS1_14partition_implILS5_5ELb0ES3_mN6thrust23THRUST_200600_302600_NS6detail15normal_iteratorINSA_10device_ptrIfEEEEPS6_NSA_18transform_iteratorINSB_9not_fun_tI7is_trueIfEEESF_NSA_11use_defaultESM_EENS0_5tupleIJSF_S6_EEENSO_IJSG_SG_EEES6_PlJS6_EEE10hipError_tPvRmT3_T4_T5_T6_T7_T9_mT8_P12ihipStream_tbDpT10_ENKUlT_T0_E_clISt17integral_constantIbLb1EES1B_EEDaS16_S17_EUlS16_E_NS1_11comp_targetILNS1_3genE0ELNS1_11target_archE4294967295ELNS1_3gpuE0ELNS1_3repE0EEENS1_30default_config_static_selectorELNS0_4arch9wavefront6targetE0EEEvT1_
                                        ; -- End function
	.set _ZN7rocprim17ROCPRIM_400000_NS6detail17trampoline_kernelINS0_14default_configENS1_25partition_config_selectorILNS1_17partition_subalgoE5EfNS0_10empty_typeEbEEZZNS1_14partition_implILS5_5ELb0ES3_mN6thrust23THRUST_200600_302600_NS6detail15normal_iteratorINSA_10device_ptrIfEEEEPS6_NSA_18transform_iteratorINSB_9not_fun_tI7is_trueIfEEESF_NSA_11use_defaultESM_EENS0_5tupleIJSF_S6_EEENSO_IJSG_SG_EEES6_PlJS6_EEE10hipError_tPvRmT3_T4_T5_T6_T7_T9_mT8_P12ihipStream_tbDpT10_ENKUlT_T0_E_clISt17integral_constantIbLb1EES1B_EEDaS16_S17_EUlS16_E_NS1_11comp_targetILNS1_3genE0ELNS1_11target_archE4294967295ELNS1_3gpuE0ELNS1_3repE0EEENS1_30default_config_static_selectorELNS0_4arch9wavefront6targetE0EEEvT1_.num_vgpr, 0
	.set _ZN7rocprim17ROCPRIM_400000_NS6detail17trampoline_kernelINS0_14default_configENS1_25partition_config_selectorILNS1_17partition_subalgoE5EfNS0_10empty_typeEbEEZZNS1_14partition_implILS5_5ELb0ES3_mN6thrust23THRUST_200600_302600_NS6detail15normal_iteratorINSA_10device_ptrIfEEEEPS6_NSA_18transform_iteratorINSB_9not_fun_tI7is_trueIfEEESF_NSA_11use_defaultESM_EENS0_5tupleIJSF_S6_EEENSO_IJSG_SG_EEES6_PlJS6_EEE10hipError_tPvRmT3_T4_T5_T6_T7_T9_mT8_P12ihipStream_tbDpT10_ENKUlT_T0_E_clISt17integral_constantIbLb1EES1B_EEDaS16_S17_EUlS16_E_NS1_11comp_targetILNS1_3genE0ELNS1_11target_archE4294967295ELNS1_3gpuE0ELNS1_3repE0EEENS1_30default_config_static_selectorELNS0_4arch9wavefront6targetE0EEEvT1_.num_agpr, 0
	.set _ZN7rocprim17ROCPRIM_400000_NS6detail17trampoline_kernelINS0_14default_configENS1_25partition_config_selectorILNS1_17partition_subalgoE5EfNS0_10empty_typeEbEEZZNS1_14partition_implILS5_5ELb0ES3_mN6thrust23THRUST_200600_302600_NS6detail15normal_iteratorINSA_10device_ptrIfEEEEPS6_NSA_18transform_iteratorINSB_9not_fun_tI7is_trueIfEEESF_NSA_11use_defaultESM_EENS0_5tupleIJSF_S6_EEENSO_IJSG_SG_EEES6_PlJS6_EEE10hipError_tPvRmT3_T4_T5_T6_T7_T9_mT8_P12ihipStream_tbDpT10_ENKUlT_T0_E_clISt17integral_constantIbLb1EES1B_EEDaS16_S17_EUlS16_E_NS1_11comp_targetILNS1_3genE0ELNS1_11target_archE4294967295ELNS1_3gpuE0ELNS1_3repE0EEENS1_30default_config_static_selectorELNS0_4arch9wavefront6targetE0EEEvT1_.numbered_sgpr, 0
	.set _ZN7rocprim17ROCPRIM_400000_NS6detail17trampoline_kernelINS0_14default_configENS1_25partition_config_selectorILNS1_17partition_subalgoE5EfNS0_10empty_typeEbEEZZNS1_14partition_implILS5_5ELb0ES3_mN6thrust23THRUST_200600_302600_NS6detail15normal_iteratorINSA_10device_ptrIfEEEEPS6_NSA_18transform_iteratorINSB_9not_fun_tI7is_trueIfEEESF_NSA_11use_defaultESM_EENS0_5tupleIJSF_S6_EEENSO_IJSG_SG_EEES6_PlJS6_EEE10hipError_tPvRmT3_T4_T5_T6_T7_T9_mT8_P12ihipStream_tbDpT10_ENKUlT_T0_E_clISt17integral_constantIbLb1EES1B_EEDaS16_S17_EUlS16_E_NS1_11comp_targetILNS1_3genE0ELNS1_11target_archE4294967295ELNS1_3gpuE0ELNS1_3repE0EEENS1_30default_config_static_selectorELNS0_4arch9wavefront6targetE0EEEvT1_.num_named_barrier, 0
	.set _ZN7rocprim17ROCPRIM_400000_NS6detail17trampoline_kernelINS0_14default_configENS1_25partition_config_selectorILNS1_17partition_subalgoE5EfNS0_10empty_typeEbEEZZNS1_14partition_implILS5_5ELb0ES3_mN6thrust23THRUST_200600_302600_NS6detail15normal_iteratorINSA_10device_ptrIfEEEEPS6_NSA_18transform_iteratorINSB_9not_fun_tI7is_trueIfEEESF_NSA_11use_defaultESM_EENS0_5tupleIJSF_S6_EEENSO_IJSG_SG_EEES6_PlJS6_EEE10hipError_tPvRmT3_T4_T5_T6_T7_T9_mT8_P12ihipStream_tbDpT10_ENKUlT_T0_E_clISt17integral_constantIbLb1EES1B_EEDaS16_S17_EUlS16_E_NS1_11comp_targetILNS1_3genE0ELNS1_11target_archE4294967295ELNS1_3gpuE0ELNS1_3repE0EEENS1_30default_config_static_selectorELNS0_4arch9wavefront6targetE0EEEvT1_.private_seg_size, 0
	.set _ZN7rocprim17ROCPRIM_400000_NS6detail17trampoline_kernelINS0_14default_configENS1_25partition_config_selectorILNS1_17partition_subalgoE5EfNS0_10empty_typeEbEEZZNS1_14partition_implILS5_5ELb0ES3_mN6thrust23THRUST_200600_302600_NS6detail15normal_iteratorINSA_10device_ptrIfEEEEPS6_NSA_18transform_iteratorINSB_9not_fun_tI7is_trueIfEEESF_NSA_11use_defaultESM_EENS0_5tupleIJSF_S6_EEENSO_IJSG_SG_EEES6_PlJS6_EEE10hipError_tPvRmT3_T4_T5_T6_T7_T9_mT8_P12ihipStream_tbDpT10_ENKUlT_T0_E_clISt17integral_constantIbLb1EES1B_EEDaS16_S17_EUlS16_E_NS1_11comp_targetILNS1_3genE0ELNS1_11target_archE4294967295ELNS1_3gpuE0ELNS1_3repE0EEENS1_30default_config_static_selectorELNS0_4arch9wavefront6targetE0EEEvT1_.uses_vcc, 0
	.set _ZN7rocprim17ROCPRIM_400000_NS6detail17trampoline_kernelINS0_14default_configENS1_25partition_config_selectorILNS1_17partition_subalgoE5EfNS0_10empty_typeEbEEZZNS1_14partition_implILS5_5ELb0ES3_mN6thrust23THRUST_200600_302600_NS6detail15normal_iteratorINSA_10device_ptrIfEEEEPS6_NSA_18transform_iteratorINSB_9not_fun_tI7is_trueIfEEESF_NSA_11use_defaultESM_EENS0_5tupleIJSF_S6_EEENSO_IJSG_SG_EEES6_PlJS6_EEE10hipError_tPvRmT3_T4_T5_T6_T7_T9_mT8_P12ihipStream_tbDpT10_ENKUlT_T0_E_clISt17integral_constantIbLb1EES1B_EEDaS16_S17_EUlS16_E_NS1_11comp_targetILNS1_3genE0ELNS1_11target_archE4294967295ELNS1_3gpuE0ELNS1_3repE0EEENS1_30default_config_static_selectorELNS0_4arch9wavefront6targetE0EEEvT1_.uses_flat_scratch, 0
	.set _ZN7rocprim17ROCPRIM_400000_NS6detail17trampoline_kernelINS0_14default_configENS1_25partition_config_selectorILNS1_17partition_subalgoE5EfNS0_10empty_typeEbEEZZNS1_14partition_implILS5_5ELb0ES3_mN6thrust23THRUST_200600_302600_NS6detail15normal_iteratorINSA_10device_ptrIfEEEEPS6_NSA_18transform_iteratorINSB_9not_fun_tI7is_trueIfEEESF_NSA_11use_defaultESM_EENS0_5tupleIJSF_S6_EEENSO_IJSG_SG_EEES6_PlJS6_EEE10hipError_tPvRmT3_T4_T5_T6_T7_T9_mT8_P12ihipStream_tbDpT10_ENKUlT_T0_E_clISt17integral_constantIbLb1EES1B_EEDaS16_S17_EUlS16_E_NS1_11comp_targetILNS1_3genE0ELNS1_11target_archE4294967295ELNS1_3gpuE0ELNS1_3repE0EEENS1_30default_config_static_selectorELNS0_4arch9wavefront6targetE0EEEvT1_.has_dyn_sized_stack, 0
	.set _ZN7rocprim17ROCPRIM_400000_NS6detail17trampoline_kernelINS0_14default_configENS1_25partition_config_selectorILNS1_17partition_subalgoE5EfNS0_10empty_typeEbEEZZNS1_14partition_implILS5_5ELb0ES3_mN6thrust23THRUST_200600_302600_NS6detail15normal_iteratorINSA_10device_ptrIfEEEEPS6_NSA_18transform_iteratorINSB_9not_fun_tI7is_trueIfEEESF_NSA_11use_defaultESM_EENS0_5tupleIJSF_S6_EEENSO_IJSG_SG_EEES6_PlJS6_EEE10hipError_tPvRmT3_T4_T5_T6_T7_T9_mT8_P12ihipStream_tbDpT10_ENKUlT_T0_E_clISt17integral_constantIbLb1EES1B_EEDaS16_S17_EUlS16_E_NS1_11comp_targetILNS1_3genE0ELNS1_11target_archE4294967295ELNS1_3gpuE0ELNS1_3repE0EEENS1_30default_config_static_selectorELNS0_4arch9wavefront6targetE0EEEvT1_.has_recursion, 0
	.set _ZN7rocprim17ROCPRIM_400000_NS6detail17trampoline_kernelINS0_14default_configENS1_25partition_config_selectorILNS1_17partition_subalgoE5EfNS0_10empty_typeEbEEZZNS1_14partition_implILS5_5ELb0ES3_mN6thrust23THRUST_200600_302600_NS6detail15normal_iteratorINSA_10device_ptrIfEEEEPS6_NSA_18transform_iteratorINSB_9not_fun_tI7is_trueIfEEESF_NSA_11use_defaultESM_EENS0_5tupleIJSF_S6_EEENSO_IJSG_SG_EEES6_PlJS6_EEE10hipError_tPvRmT3_T4_T5_T6_T7_T9_mT8_P12ihipStream_tbDpT10_ENKUlT_T0_E_clISt17integral_constantIbLb1EES1B_EEDaS16_S17_EUlS16_E_NS1_11comp_targetILNS1_3genE0ELNS1_11target_archE4294967295ELNS1_3gpuE0ELNS1_3repE0EEENS1_30default_config_static_selectorELNS0_4arch9wavefront6targetE0EEEvT1_.has_indirect_call, 0
	.section	.AMDGPU.csdata,"",@progbits
; Kernel info:
; codeLenInByte = 0
; TotalNumSgprs: 0
; NumVgprs: 0
; ScratchSize: 0
; MemoryBound: 0
; FloatMode: 240
; IeeeMode: 1
; LDSByteSize: 0 bytes/workgroup (compile time only)
; SGPRBlocks: 0
; VGPRBlocks: 0
; NumSGPRsForWavesPerEU: 1
; NumVGPRsForWavesPerEU: 1
; Occupancy: 16
; WaveLimiterHint : 0
; COMPUTE_PGM_RSRC2:SCRATCH_EN: 0
; COMPUTE_PGM_RSRC2:USER_SGPR: 2
; COMPUTE_PGM_RSRC2:TRAP_HANDLER: 0
; COMPUTE_PGM_RSRC2:TGID_X_EN: 1
; COMPUTE_PGM_RSRC2:TGID_Y_EN: 0
; COMPUTE_PGM_RSRC2:TGID_Z_EN: 0
; COMPUTE_PGM_RSRC2:TIDIG_COMP_CNT: 0
	.section	.text._ZN7rocprim17ROCPRIM_400000_NS6detail17trampoline_kernelINS0_14default_configENS1_25partition_config_selectorILNS1_17partition_subalgoE5EfNS0_10empty_typeEbEEZZNS1_14partition_implILS5_5ELb0ES3_mN6thrust23THRUST_200600_302600_NS6detail15normal_iteratorINSA_10device_ptrIfEEEEPS6_NSA_18transform_iteratorINSB_9not_fun_tI7is_trueIfEEESF_NSA_11use_defaultESM_EENS0_5tupleIJSF_S6_EEENSO_IJSG_SG_EEES6_PlJS6_EEE10hipError_tPvRmT3_T4_T5_T6_T7_T9_mT8_P12ihipStream_tbDpT10_ENKUlT_T0_E_clISt17integral_constantIbLb1EES1B_EEDaS16_S17_EUlS16_E_NS1_11comp_targetILNS1_3genE5ELNS1_11target_archE942ELNS1_3gpuE9ELNS1_3repE0EEENS1_30default_config_static_selectorELNS0_4arch9wavefront6targetE0EEEvT1_,"axG",@progbits,_ZN7rocprim17ROCPRIM_400000_NS6detail17trampoline_kernelINS0_14default_configENS1_25partition_config_selectorILNS1_17partition_subalgoE5EfNS0_10empty_typeEbEEZZNS1_14partition_implILS5_5ELb0ES3_mN6thrust23THRUST_200600_302600_NS6detail15normal_iteratorINSA_10device_ptrIfEEEEPS6_NSA_18transform_iteratorINSB_9not_fun_tI7is_trueIfEEESF_NSA_11use_defaultESM_EENS0_5tupleIJSF_S6_EEENSO_IJSG_SG_EEES6_PlJS6_EEE10hipError_tPvRmT3_T4_T5_T6_T7_T9_mT8_P12ihipStream_tbDpT10_ENKUlT_T0_E_clISt17integral_constantIbLb1EES1B_EEDaS16_S17_EUlS16_E_NS1_11comp_targetILNS1_3genE5ELNS1_11target_archE942ELNS1_3gpuE9ELNS1_3repE0EEENS1_30default_config_static_selectorELNS0_4arch9wavefront6targetE0EEEvT1_,comdat
	.protected	_ZN7rocprim17ROCPRIM_400000_NS6detail17trampoline_kernelINS0_14default_configENS1_25partition_config_selectorILNS1_17partition_subalgoE5EfNS0_10empty_typeEbEEZZNS1_14partition_implILS5_5ELb0ES3_mN6thrust23THRUST_200600_302600_NS6detail15normal_iteratorINSA_10device_ptrIfEEEEPS6_NSA_18transform_iteratorINSB_9not_fun_tI7is_trueIfEEESF_NSA_11use_defaultESM_EENS0_5tupleIJSF_S6_EEENSO_IJSG_SG_EEES6_PlJS6_EEE10hipError_tPvRmT3_T4_T5_T6_T7_T9_mT8_P12ihipStream_tbDpT10_ENKUlT_T0_E_clISt17integral_constantIbLb1EES1B_EEDaS16_S17_EUlS16_E_NS1_11comp_targetILNS1_3genE5ELNS1_11target_archE942ELNS1_3gpuE9ELNS1_3repE0EEENS1_30default_config_static_selectorELNS0_4arch9wavefront6targetE0EEEvT1_ ; -- Begin function _ZN7rocprim17ROCPRIM_400000_NS6detail17trampoline_kernelINS0_14default_configENS1_25partition_config_selectorILNS1_17partition_subalgoE5EfNS0_10empty_typeEbEEZZNS1_14partition_implILS5_5ELb0ES3_mN6thrust23THRUST_200600_302600_NS6detail15normal_iteratorINSA_10device_ptrIfEEEEPS6_NSA_18transform_iteratorINSB_9not_fun_tI7is_trueIfEEESF_NSA_11use_defaultESM_EENS0_5tupleIJSF_S6_EEENSO_IJSG_SG_EEES6_PlJS6_EEE10hipError_tPvRmT3_T4_T5_T6_T7_T9_mT8_P12ihipStream_tbDpT10_ENKUlT_T0_E_clISt17integral_constantIbLb1EES1B_EEDaS16_S17_EUlS16_E_NS1_11comp_targetILNS1_3genE5ELNS1_11target_archE942ELNS1_3gpuE9ELNS1_3repE0EEENS1_30default_config_static_selectorELNS0_4arch9wavefront6targetE0EEEvT1_
	.globl	_ZN7rocprim17ROCPRIM_400000_NS6detail17trampoline_kernelINS0_14default_configENS1_25partition_config_selectorILNS1_17partition_subalgoE5EfNS0_10empty_typeEbEEZZNS1_14partition_implILS5_5ELb0ES3_mN6thrust23THRUST_200600_302600_NS6detail15normal_iteratorINSA_10device_ptrIfEEEEPS6_NSA_18transform_iteratorINSB_9not_fun_tI7is_trueIfEEESF_NSA_11use_defaultESM_EENS0_5tupleIJSF_S6_EEENSO_IJSG_SG_EEES6_PlJS6_EEE10hipError_tPvRmT3_T4_T5_T6_T7_T9_mT8_P12ihipStream_tbDpT10_ENKUlT_T0_E_clISt17integral_constantIbLb1EES1B_EEDaS16_S17_EUlS16_E_NS1_11comp_targetILNS1_3genE5ELNS1_11target_archE942ELNS1_3gpuE9ELNS1_3repE0EEENS1_30default_config_static_selectorELNS0_4arch9wavefront6targetE0EEEvT1_
	.p2align	8
	.type	_ZN7rocprim17ROCPRIM_400000_NS6detail17trampoline_kernelINS0_14default_configENS1_25partition_config_selectorILNS1_17partition_subalgoE5EfNS0_10empty_typeEbEEZZNS1_14partition_implILS5_5ELb0ES3_mN6thrust23THRUST_200600_302600_NS6detail15normal_iteratorINSA_10device_ptrIfEEEEPS6_NSA_18transform_iteratorINSB_9not_fun_tI7is_trueIfEEESF_NSA_11use_defaultESM_EENS0_5tupleIJSF_S6_EEENSO_IJSG_SG_EEES6_PlJS6_EEE10hipError_tPvRmT3_T4_T5_T6_T7_T9_mT8_P12ihipStream_tbDpT10_ENKUlT_T0_E_clISt17integral_constantIbLb1EES1B_EEDaS16_S17_EUlS16_E_NS1_11comp_targetILNS1_3genE5ELNS1_11target_archE942ELNS1_3gpuE9ELNS1_3repE0EEENS1_30default_config_static_selectorELNS0_4arch9wavefront6targetE0EEEvT1_,@function
_ZN7rocprim17ROCPRIM_400000_NS6detail17trampoline_kernelINS0_14default_configENS1_25partition_config_selectorILNS1_17partition_subalgoE5EfNS0_10empty_typeEbEEZZNS1_14partition_implILS5_5ELb0ES3_mN6thrust23THRUST_200600_302600_NS6detail15normal_iteratorINSA_10device_ptrIfEEEEPS6_NSA_18transform_iteratorINSB_9not_fun_tI7is_trueIfEEESF_NSA_11use_defaultESM_EENS0_5tupleIJSF_S6_EEENSO_IJSG_SG_EEES6_PlJS6_EEE10hipError_tPvRmT3_T4_T5_T6_T7_T9_mT8_P12ihipStream_tbDpT10_ENKUlT_T0_E_clISt17integral_constantIbLb1EES1B_EEDaS16_S17_EUlS16_E_NS1_11comp_targetILNS1_3genE5ELNS1_11target_archE942ELNS1_3gpuE9ELNS1_3repE0EEENS1_30default_config_static_selectorELNS0_4arch9wavefront6targetE0EEEvT1_: ; @_ZN7rocprim17ROCPRIM_400000_NS6detail17trampoline_kernelINS0_14default_configENS1_25partition_config_selectorILNS1_17partition_subalgoE5EfNS0_10empty_typeEbEEZZNS1_14partition_implILS5_5ELb0ES3_mN6thrust23THRUST_200600_302600_NS6detail15normal_iteratorINSA_10device_ptrIfEEEEPS6_NSA_18transform_iteratorINSB_9not_fun_tI7is_trueIfEEESF_NSA_11use_defaultESM_EENS0_5tupleIJSF_S6_EEENSO_IJSG_SG_EEES6_PlJS6_EEE10hipError_tPvRmT3_T4_T5_T6_T7_T9_mT8_P12ihipStream_tbDpT10_ENKUlT_T0_E_clISt17integral_constantIbLb1EES1B_EEDaS16_S17_EUlS16_E_NS1_11comp_targetILNS1_3genE5ELNS1_11target_archE942ELNS1_3gpuE9ELNS1_3repE0EEENS1_30default_config_static_selectorELNS0_4arch9wavefront6targetE0EEEvT1_
; %bb.0:
	.section	.rodata,"a",@progbits
	.p2align	6, 0x0
	.amdhsa_kernel _ZN7rocprim17ROCPRIM_400000_NS6detail17trampoline_kernelINS0_14default_configENS1_25partition_config_selectorILNS1_17partition_subalgoE5EfNS0_10empty_typeEbEEZZNS1_14partition_implILS5_5ELb0ES3_mN6thrust23THRUST_200600_302600_NS6detail15normal_iteratorINSA_10device_ptrIfEEEEPS6_NSA_18transform_iteratorINSB_9not_fun_tI7is_trueIfEEESF_NSA_11use_defaultESM_EENS0_5tupleIJSF_S6_EEENSO_IJSG_SG_EEES6_PlJS6_EEE10hipError_tPvRmT3_T4_T5_T6_T7_T9_mT8_P12ihipStream_tbDpT10_ENKUlT_T0_E_clISt17integral_constantIbLb1EES1B_EEDaS16_S17_EUlS16_E_NS1_11comp_targetILNS1_3genE5ELNS1_11target_archE942ELNS1_3gpuE9ELNS1_3repE0EEENS1_30default_config_static_selectorELNS0_4arch9wavefront6targetE0EEEvT1_
		.amdhsa_group_segment_fixed_size 0
		.amdhsa_private_segment_fixed_size 0
		.amdhsa_kernarg_size 136
		.amdhsa_user_sgpr_count 2
		.amdhsa_user_sgpr_dispatch_ptr 0
		.amdhsa_user_sgpr_queue_ptr 0
		.amdhsa_user_sgpr_kernarg_segment_ptr 1
		.amdhsa_user_sgpr_dispatch_id 0
		.amdhsa_user_sgpr_private_segment_size 0
		.amdhsa_wavefront_size32 1
		.amdhsa_uses_dynamic_stack 0
		.amdhsa_enable_private_segment 0
		.amdhsa_system_sgpr_workgroup_id_x 1
		.amdhsa_system_sgpr_workgroup_id_y 0
		.amdhsa_system_sgpr_workgroup_id_z 0
		.amdhsa_system_sgpr_workgroup_info 0
		.amdhsa_system_vgpr_workitem_id 0
		.amdhsa_next_free_vgpr 1
		.amdhsa_next_free_sgpr 1
		.amdhsa_reserve_vcc 0
		.amdhsa_float_round_mode_32 0
		.amdhsa_float_round_mode_16_64 0
		.amdhsa_float_denorm_mode_32 3
		.amdhsa_float_denorm_mode_16_64 3
		.amdhsa_fp16_overflow 0
		.amdhsa_workgroup_processor_mode 1
		.amdhsa_memory_ordered 1
		.amdhsa_forward_progress 1
		.amdhsa_inst_pref_size 0
		.amdhsa_round_robin_scheduling 0
		.amdhsa_exception_fp_ieee_invalid_op 0
		.amdhsa_exception_fp_denorm_src 0
		.amdhsa_exception_fp_ieee_div_zero 0
		.amdhsa_exception_fp_ieee_overflow 0
		.amdhsa_exception_fp_ieee_underflow 0
		.amdhsa_exception_fp_ieee_inexact 0
		.amdhsa_exception_int_div_zero 0
	.end_amdhsa_kernel
	.section	.text._ZN7rocprim17ROCPRIM_400000_NS6detail17trampoline_kernelINS0_14default_configENS1_25partition_config_selectorILNS1_17partition_subalgoE5EfNS0_10empty_typeEbEEZZNS1_14partition_implILS5_5ELb0ES3_mN6thrust23THRUST_200600_302600_NS6detail15normal_iteratorINSA_10device_ptrIfEEEEPS6_NSA_18transform_iteratorINSB_9not_fun_tI7is_trueIfEEESF_NSA_11use_defaultESM_EENS0_5tupleIJSF_S6_EEENSO_IJSG_SG_EEES6_PlJS6_EEE10hipError_tPvRmT3_T4_T5_T6_T7_T9_mT8_P12ihipStream_tbDpT10_ENKUlT_T0_E_clISt17integral_constantIbLb1EES1B_EEDaS16_S17_EUlS16_E_NS1_11comp_targetILNS1_3genE5ELNS1_11target_archE942ELNS1_3gpuE9ELNS1_3repE0EEENS1_30default_config_static_selectorELNS0_4arch9wavefront6targetE0EEEvT1_,"axG",@progbits,_ZN7rocprim17ROCPRIM_400000_NS6detail17trampoline_kernelINS0_14default_configENS1_25partition_config_selectorILNS1_17partition_subalgoE5EfNS0_10empty_typeEbEEZZNS1_14partition_implILS5_5ELb0ES3_mN6thrust23THRUST_200600_302600_NS6detail15normal_iteratorINSA_10device_ptrIfEEEEPS6_NSA_18transform_iteratorINSB_9not_fun_tI7is_trueIfEEESF_NSA_11use_defaultESM_EENS0_5tupleIJSF_S6_EEENSO_IJSG_SG_EEES6_PlJS6_EEE10hipError_tPvRmT3_T4_T5_T6_T7_T9_mT8_P12ihipStream_tbDpT10_ENKUlT_T0_E_clISt17integral_constantIbLb1EES1B_EEDaS16_S17_EUlS16_E_NS1_11comp_targetILNS1_3genE5ELNS1_11target_archE942ELNS1_3gpuE9ELNS1_3repE0EEENS1_30default_config_static_selectorELNS0_4arch9wavefront6targetE0EEEvT1_,comdat
.Lfunc_end1344:
	.size	_ZN7rocprim17ROCPRIM_400000_NS6detail17trampoline_kernelINS0_14default_configENS1_25partition_config_selectorILNS1_17partition_subalgoE5EfNS0_10empty_typeEbEEZZNS1_14partition_implILS5_5ELb0ES3_mN6thrust23THRUST_200600_302600_NS6detail15normal_iteratorINSA_10device_ptrIfEEEEPS6_NSA_18transform_iteratorINSB_9not_fun_tI7is_trueIfEEESF_NSA_11use_defaultESM_EENS0_5tupleIJSF_S6_EEENSO_IJSG_SG_EEES6_PlJS6_EEE10hipError_tPvRmT3_T4_T5_T6_T7_T9_mT8_P12ihipStream_tbDpT10_ENKUlT_T0_E_clISt17integral_constantIbLb1EES1B_EEDaS16_S17_EUlS16_E_NS1_11comp_targetILNS1_3genE5ELNS1_11target_archE942ELNS1_3gpuE9ELNS1_3repE0EEENS1_30default_config_static_selectorELNS0_4arch9wavefront6targetE0EEEvT1_, .Lfunc_end1344-_ZN7rocprim17ROCPRIM_400000_NS6detail17trampoline_kernelINS0_14default_configENS1_25partition_config_selectorILNS1_17partition_subalgoE5EfNS0_10empty_typeEbEEZZNS1_14partition_implILS5_5ELb0ES3_mN6thrust23THRUST_200600_302600_NS6detail15normal_iteratorINSA_10device_ptrIfEEEEPS6_NSA_18transform_iteratorINSB_9not_fun_tI7is_trueIfEEESF_NSA_11use_defaultESM_EENS0_5tupleIJSF_S6_EEENSO_IJSG_SG_EEES6_PlJS6_EEE10hipError_tPvRmT3_T4_T5_T6_T7_T9_mT8_P12ihipStream_tbDpT10_ENKUlT_T0_E_clISt17integral_constantIbLb1EES1B_EEDaS16_S17_EUlS16_E_NS1_11comp_targetILNS1_3genE5ELNS1_11target_archE942ELNS1_3gpuE9ELNS1_3repE0EEENS1_30default_config_static_selectorELNS0_4arch9wavefront6targetE0EEEvT1_
                                        ; -- End function
	.set _ZN7rocprim17ROCPRIM_400000_NS6detail17trampoline_kernelINS0_14default_configENS1_25partition_config_selectorILNS1_17partition_subalgoE5EfNS0_10empty_typeEbEEZZNS1_14partition_implILS5_5ELb0ES3_mN6thrust23THRUST_200600_302600_NS6detail15normal_iteratorINSA_10device_ptrIfEEEEPS6_NSA_18transform_iteratorINSB_9not_fun_tI7is_trueIfEEESF_NSA_11use_defaultESM_EENS0_5tupleIJSF_S6_EEENSO_IJSG_SG_EEES6_PlJS6_EEE10hipError_tPvRmT3_T4_T5_T6_T7_T9_mT8_P12ihipStream_tbDpT10_ENKUlT_T0_E_clISt17integral_constantIbLb1EES1B_EEDaS16_S17_EUlS16_E_NS1_11comp_targetILNS1_3genE5ELNS1_11target_archE942ELNS1_3gpuE9ELNS1_3repE0EEENS1_30default_config_static_selectorELNS0_4arch9wavefront6targetE0EEEvT1_.num_vgpr, 0
	.set _ZN7rocprim17ROCPRIM_400000_NS6detail17trampoline_kernelINS0_14default_configENS1_25partition_config_selectorILNS1_17partition_subalgoE5EfNS0_10empty_typeEbEEZZNS1_14partition_implILS5_5ELb0ES3_mN6thrust23THRUST_200600_302600_NS6detail15normal_iteratorINSA_10device_ptrIfEEEEPS6_NSA_18transform_iteratorINSB_9not_fun_tI7is_trueIfEEESF_NSA_11use_defaultESM_EENS0_5tupleIJSF_S6_EEENSO_IJSG_SG_EEES6_PlJS6_EEE10hipError_tPvRmT3_T4_T5_T6_T7_T9_mT8_P12ihipStream_tbDpT10_ENKUlT_T0_E_clISt17integral_constantIbLb1EES1B_EEDaS16_S17_EUlS16_E_NS1_11comp_targetILNS1_3genE5ELNS1_11target_archE942ELNS1_3gpuE9ELNS1_3repE0EEENS1_30default_config_static_selectorELNS0_4arch9wavefront6targetE0EEEvT1_.num_agpr, 0
	.set _ZN7rocprim17ROCPRIM_400000_NS6detail17trampoline_kernelINS0_14default_configENS1_25partition_config_selectorILNS1_17partition_subalgoE5EfNS0_10empty_typeEbEEZZNS1_14partition_implILS5_5ELb0ES3_mN6thrust23THRUST_200600_302600_NS6detail15normal_iteratorINSA_10device_ptrIfEEEEPS6_NSA_18transform_iteratorINSB_9not_fun_tI7is_trueIfEEESF_NSA_11use_defaultESM_EENS0_5tupleIJSF_S6_EEENSO_IJSG_SG_EEES6_PlJS6_EEE10hipError_tPvRmT3_T4_T5_T6_T7_T9_mT8_P12ihipStream_tbDpT10_ENKUlT_T0_E_clISt17integral_constantIbLb1EES1B_EEDaS16_S17_EUlS16_E_NS1_11comp_targetILNS1_3genE5ELNS1_11target_archE942ELNS1_3gpuE9ELNS1_3repE0EEENS1_30default_config_static_selectorELNS0_4arch9wavefront6targetE0EEEvT1_.numbered_sgpr, 0
	.set _ZN7rocprim17ROCPRIM_400000_NS6detail17trampoline_kernelINS0_14default_configENS1_25partition_config_selectorILNS1_17partition_subalgoE5EfNS0_10empty_typeEbEEZZNS1_14partition_implILS5_5ELb0ES3_mN6thrust23THRUST_200600_302600_NS6detail15normal_iteratorINSA_10device_ptrIfEEEEPS6_NSA_18transform_iteratorINSB_9not_fun_tI7is_trueIfEEESF_NSA_11use_defaultESM_EENS0_5tupleIJSF_S6_EEENSO_IJSG_SG_EEES6_PlJS6_EEE10hipError_tPvRmT3_T4_T5_T6_T7_T9_mT8_P12ihipStream_tbDpT10_ENKUlT_T0_E_clISt17integral_constantIbLb1EES1B_EEDaS16_S17_EUlS16_E_NS1_11comp_targetILNS1_3genE5ELNS1_11target_archE942ELNS1_3gpuE9ELNS1_3repE0EEENS1_30default_config_static_selectorELNS0_4arch9wavefront6targetE0EEEvT1_.num_named_barrier, 0
	.set _ZN7rocprim17ROCPRIM_400000_NS6detail17trampoline_kernelINS0_14default_configENS1_25partition_config_selectorILNS1_17partition_subalgoE5EfNS0_10empty_typeEbEEZZNS1_14partition_implILS5_5ELb0ES3_mN6thrust23THRUST_200600_302600_NS6detail15normal_iteratorINSA_10device_ptrIfEEEEPS6_NSA_18transform_iteratorINSB_9not_fun_tI7is_trueIfEEESF_NSA_11use_defaultESM_EENS0_5tupleIJSF_S6_EEENSO_IJSG_SG_EEES6_PlJS6_EEE10hipError_tPvRmT3_T4_T5_T6_T7_T9_mT8_P12ihipStream_tbDpT10_ENKUlT_T0_E_clISt17integral_constantIbLb1EES1B_EEDaS16_S17_EUlS16_E_NS1_11comp_targetILNS1_3genE5ELNS1_11target_archE942ELNS1_3gpuE9ELNS1_3repE0EEENS1_30default_config_static_selectorELNS0_4arch9wavefront6targetE0EEEvT1_.private_seg_size, 0
	.set _ZN7rocprim17ROCPRIM_400000_NS6detail17trampoline_kernelINS0_14default_configENS1_25partition_config_selectorILNS1_17partition_subalgoE5EfNS0_10empty_typeEbEEZZNS1_14partition_implILS5_5ELb0ES3_mN6thrust23THRUST_200600_302600_NS6detail15normal_iteratorINSA_10device_ptrIfEEEEPS6_NSA_18transform_iteratorINSB_9not_fun_tI7is_trueIfEEESF_NSA_11use_defaultESM_EENS0_5tupleIJSF_S6_EEENSO_IJSG_SG_EEES6_PlJS6_EEE10hipError_tPvRmT3_T4_T5_T6_T7_T9_mT8_P12ihipStream_tbDpT10_ENKUlT_T0_E_clISt17integral_constantIbLb1EES1B_EEDaS16_S17_EUlS16_E_NS1_11comp_targetILNS1_3genE5ELNS1_11target_archE942ELNS1_3gpuE9ELNS1_3repE0EEENS1_30default_config_static_selectorELNS0_4arch9wavefront6targetE0EEEvT1_.uses_vcc, 0
	.set _ZN7rocprim17ROCPRIM_400000_NS6detail17trampoline_kernelINS0_14default_configENS1_25partition_config_selectorILNS1_17partition_subalgoE5EfNS0_10empty_typeEbEEZZNS1_14partition_implILS5_5ELb0ES3_mN6thrust23THRUST_200600_302600_NS6detail15normal_iteratorINSA_10device_ptrIfEEEEPS6_NSA_18transform_iteratorINSB_9not_fun_tI7is_trueIfEEESF_NSA_11use_defaultESM_EENS0_5tupleIJSF_S6_EEENSO_IJSG_SG_EEES6_PlJS6_EEE10hipError_tPvRmT3_T4_T5_T6_T7_T9_mT8_P12ihipStream_tbDpT10_ENKUlT_T0_E_clISt17integral_constantIbLb1EES1B_EEDaS16_S17_EUlS16_E_NS1_11comp_targetILNS1_3genE5ELNS1_11target_archE942ELNS1_3gpuE9ELNS1_3repE0EEENS1_30default_config_static_selectorELNS0_4arch9wavefront6targetE0EEEvT1_.uses_flat_scratch, 0
	.set _ZN7rocprim17ROCPRIM_400000_NS6detail17trampoline_kernelINS0_14default_configENS1_25partition_config_selectorILNS1_17partition_subalgoE5EfNS0_10empty_typeEbEEZZNS1_14partition_implILS5_5ELb0ES3_mN6thrust23THRUST_200600_302600_NS6detail15normal_iteratorINSA_10device_ptrIfEEEEPS6_NSA_18transform_iteratorINSB_9not_fun_tI7is_trueIfEEESF_NSA_11use_defaultESM_EENS0_5tupleIJSF_S6_EEENSO_IJSG_SG_EEES6_PlJS6_EEE10hipError_tPvRmT3_T4_T5_T6_T7_T9_mT8_P12ihipStream_tbDpT10_ENKUlT_T0_E_clISt17integral_constantIbLb1EES1B_EEDaS16_S17_EUlS16_E_NS1_11comp_targetILNS1_3genE5ELNS1_11target_archE942ELNS1_3gpuE9ELNS1_3repE0EEENS1_30default_config_static_selectorELNS0_4arch9wavefront6targetE0EEEvT1_.has_dyn_sized_stack, 0
	.set _ZN7rocprim17ROCPRIM_400000_NS6detail17trampoline_kernelINS0_14default_configENS1_25partition_config_selectorILNS1_17partition_subalgoE5EfNS0_10empty_typeEbEEZZNS1_14partition_implILS5_5ELb0ES3_mN6thrust23THRUST_200600_302600_NS6detail15normal_iteratorINSA_10device_ptrIfEEEEPS6_NSA_18transform_iteratorINSB_9not_fun_tI7is_trueIfEEESF_NSA_11use_defaultESM_EENS0_5tupleIJSF_S6_EEENSO_IJSG_SG_EEES6_PlJS6_EEE10hipError_tPvRmT3_T4_T5_T6_T7_T9_mT8_P12ihipStream_tbDpT10_ENKUlT_T0_E_clISt17integral_constantIbLb1EES1B_EEDaS16_S17_EUlS16_E_NS1_11comp_targetILNS1_3genE5ELNS1_11target_archE942ELNS1_3gpuE9ELNS1_3repE0EEENS1_30default_config_static_selectorELNS0_4arch9wavefront6targetE0EEEvT1_.has_recursion, 0
	.set _ZN7rocprim17ROCPRIM_400000_NS6detail17trampoline_kernelINS0_14default_configENS1_25partition_config_selectorILNS1_17partition_subalgoE5EfNS0_10empty_typeEbEEZZNS1_14partition_implILS5_5ELb0ES3_mN6thrust23THRUST_200600_302600_NS6detail15normal_iteratorINSA_10device_ptrIfEEEEPS6_NSA_18transform_iteratorINSB_9not_fun_tI7is_trueIfEEESF_NSA_11use_defaultESM_EENS0_5tupleIJSF_S6_EEENSO_IJSG_SG_EEES6_PlJS6_EEE10hipError_tPvRmT3_T4_T5_T6_T7_T9_mT8_P12ihipStream_tbDpT10_ENKUlT_T0_E_clISt17integral_constantIbLb1EES1B_EEDaS16_S17_EUlS16_E_NS1_11comp_targetILNS1_3genE5ELNS1_11target_archE942ELNS1_3gpuE9ELNS1_3repE0EEENS1_30default_config_static_selectorELNS0_4arch9wavefront6targetE0EEEvT1_.has_indirect_call, 0
	.section	.AMDGPU.csdata,"",@progbits
; Kernel info:
; codeLenInByte = 0
; TotalNumSgprs: 0
; NumVgprs: 0
; ScratchSize: 0
; MemoryBound: 0
; FloatMode: 240
; IeeeMode: 1
; LDSByteSize: 0 bytes/workgroup (compile time only)
; SGPRBlocks: 0
; VGPRBlocks: 0
; NumSGPRsForWavesPerEU: 1
; NumVGPRsForWavesPerEU: 1
; Occupancy: 16
; WaveLimiterHint : 0
; COMPUTE_PGM_RSRC2:SCRATCH_EN: 0
; COMPUTE_PGM_RSRC2:USER_SGPR: 2
; COMPUTE_PGM_RSRC2:TRAP_HANDLER: 0
; COMPUTE_PGM_RSRC2:TGID_X_EN: 1
; COMPUTE_PGM_RSRC2:TGID_Y_EN: 0
; COMPUTE_PGM_RSRC2:TGID_Z_EN: 0
; COMPUTE_PGM_RSRC2:TIDIG_COMP_CNT: 0
	.section	.text._ZN7rocprim17ROCPRIM_400000_NS6detail17trampoline_kernelINS0_14default_configENS1_25partition_config_selectorILNS1_17partition_subalgoE5EfNS0_10empty_typeEbEEZZNS1_14partition_implILS5_5ELb0ES3_mN6thrust23THRUST_200600_302600_NS6detail15normal_iteratorINSA_10device_ptrIfEEEEPS6_NSA_18transform_iteratorINSB_9not_fun_tI7is_trueIfEEESF_NSA_11use_defaultESM_EENS0_5tupleIJSF_S6_EEENSO_IJSG_SG_EEES6_PlJS6_EEE10hipError_tPvRmT3_T4_T5_T6_T7_T9_mT8_P12ihipStream_tbDpT10_ENKUlT_T0_E_clISt17integral_constantIbLb1EES1B_EEDaS16_S17_EUlS16_E_NS1_11comp_targetILNS1_3genE4ELNS1_11target_archE910ELNS1_3gpuE8ELNS1_3repE0EEENS1_30default_config_static_selectorELNS0_4arch9wavefront6targetE0EEEvT1_,"axG",@progbits,_ZN7rocprim17ROCPRIM_400000_NS6detail17trampoline_kernelINS0_14default_configENS1_25partition_config_selectorILNS1_17partition_subalgoE5EfNS0_10empty_typeEbEEZZNS1_14partition_implILS5_5ELb0ES3_mN6thrust23THRUST_200600_302600_NS6detail15normal_iteratorINSA_10device_ptrIfEEEEPS6_NSA_18transform_iteratorINSB_9not_fun_tI7is_trueIfEEESF_NSA_11use_defaultESM_EENS0_5tupleIJSF_S6_EEENSO_IJSG_SG_EEES6_PlJS6_EEE10hipError_tPvRmT3_T4_T5_T6_T7_T9_mT8_P12ihipStream_tbDpT10_ENKUlT_T0_E_clISt17integral_constantIbLb1EES1B_EEDaS16_S17_EUlS16_E_NS1_11comp_targetILNS1_3genE4ELNS1_11target_archE910ELNS1_3gpuE8ELNS1_3repE0EEENS1_30default_config_static_selectorELNS0_4arch9wavefront6targetE0EEEvT1_,comdat
	.protected	_ZN7rocprim17ROCPRIM_400000_NS6detail17trampoline_kernelINS0_14default_configENS1_25partition_config_selectorILNS1_17partition_subalgoE5EfNS0_10empty_typeEbEEZZNS1_14partition_implILS5_5ELb0ES3_mN6thrust23THRUST_200600_302600_NS6detail15normal_iteratorINSA_10device_ptrIfEEEEPS6_NSA_18transform_iteratorINSB_9not_fun_tI7is_trueIfEEESF_NSA_11use_defaultESM_EENS0_5tupleIJSF_S6_EEENSO_IJSG_SG_EEES6_PlJS6_EEE10hipError_tPvRmT3_T4_T5_T6_T7_T9_mT8_P12ihipStream_tbDpT10_ENKUlT_T0_E_clISt17integral_constantIbLb1EES1B_EEDaS16_S17_EUlS16_E_NS1_11comp_targetILNS1_3genE4ELNS1_11target_archE910ELNS1_3gpuE8ELNS1_3repE0EEENS1_30default_config_static_selectorELNS0_4arch9wavefront6targetE0EEEvT1_ ; -- Begin function _ZN7rocprim17ROCPRIM_400000_NS6detail17trampoline_kernelINS0_14default_configENS1_25partition_config_selectorILNS1_17partition_subalgoE5EfNS0_10empty_typeEbEEZZNS1_14partition_implILS5_5ELb0ES3_mN6thrust23THRUST_200600_302600_NS6detail15normal_iteratorINSA_10device_ptrIfEEEEPS6_NSA_18transform_iteratorINSB_9not_fun_tI7is_trueIfEEESF_NSA_11use_defaultESM_EENS0_5tupleIJSF_S6_EEENSO_IJSG_SG_EEES6_PlJS6_EEE10hipError_tPvRmT3_T4_T5_T6_T7_T9_mT8_P12ihipStream_tbDpT10_ENKUlT_T0_E_clISt17integral_constantIbLb1EES1B_EEDaS16_S17_EUlS16_E_NS1_11comp_targetILNS1_3genE4ELNS1_11target_archE910ELNS1_3gpuE8ELNS1_3repE0EEENS1_30default_config_static_selectorELNS0_4arch9wavefront6targetE0EEEvT1_
	.globl	_ZN7rocprim17ROCPRIM_400000_NS6detail17trampoline_kernelINS0_14default_configENS1_25partition_config_selectorILNS1_17partition_subalgoE5EfNS0_10empty_typeEbEEZZNS1_14partition_implILS5_5ELb0ES3_mN6thrust23THRUST_200600_302600_NS6detail15normal_iteratorINSA_10device_ptrIfEEEEPS6_NSA_18transform_iteratorINSB_9not_fun_tI7is_trueIfEEESF_NSA_11use_defaultESM_EENS0_5tupleIJSF_S6_EEENSO_IJSG_SG_EEES6_PlJS6_EEE10hipError_tPvRmT3_T4_T5_T6_T7_T9_mT8_P12ihipStream_tbDpT10_ENKUlT_T0_E_clISt17integral_constantIbLb1EES1B_EEDaS16_S17_EUlS16_E_NS1_11comp_targetILNS1_3genE4ELNS1_11target_archE910ELNS1_3gpuE8ELNS1_3repE0EEENS1_30default_config_static_selectorELNS0_4arch9wavefront6targetE0EEEvT1_
	.p2align	8
	.type	_ZN7rocprim17ROCPRIM_400000_NS6detail17trampoline_kernelINS0_14default_configENS1_25partition_config_selectorILNS1_17partition_subalgoE5EfNS0_10empty_typeEbEEZZNS1_14partition_implILS5_5ELb0ES3_mN6thrust23THRUST_200600_302600_NS6detail15normal_iteratorINSA_10device_ptrIfEEEEPS6_NSA_18transform_iteratorINSB_9not_fun_tI7is_trueIfEEESF_NSA_11use_defaultESM_EENS0_5tupleIJSF_S6_EEENSO_IJSG_SG_EEES6_PlJS6_EEE10hipError_tPvRmT3_T4_T5_T6_T7_T9_mT8_P12ihipStream_tbDpT10_ENKUlT_T0_E_clISt17integral_constantIbLb1EES1B_EEDaS16_S17_EUlS16_E_NS1_11comp_targetILNS1_3genE4ELNS1_11target_archE910ELNS1_3gpuE8ELNS1_3repE0EEENS1_30default_config_static_selectorELNS0_4arch9wavefront6targetE0EEEvT1_,@function
_ZN7rocprim17ROCPRIM_400000_NS6detail17trampoline_kernelINS0_14default_configENS1_25partition_config_selectorILNS1_17partition_subalgoE5EfNS0_10empty_typeEbEEZZNS1_14partition_implILS5_5ELb0ES3_mN6thrust23THRUST_200600_302600_NS6detail15normal_iteratorINSA_10device_ptrIfEEEEPS6_NSA_18transform_iteratorINSB_9not_fun_tI7is_trueIfEEESF_NSA_11use_defaultESM_EENS0_5tupleIJSF_S6_EEENSO_IJSG_SG_EEES6_PlJS6_EEE10hipError_tPvRmT3_T4_T5_T6_T7_T9_mT8_P12ihipStream_tbDpT10_ENKUlT_T0_E_clISt17integral_constantIbLb1EES1B_EEDaS16_S17_EUlS16_E_NS1_11comp_targetILNS1_3genE4ELNS1_11target_archE910ELNS1_3gpuE8ELNS1_3repE0EEENS1_30default_config_static_selectorELNS0_4arch9wavefront6targetE0EEEvT1_: ; @_ZN7rocprim17ROCPRIM_400000_NS6detail17trampoline_kernelINS0_14default_configENS1_25partition_config_selectorILNS1_17partition_subalgoE5EfNS0_10empty_typeEbEEZZNS1_14partition_implILS5_5ELb0ES3_mN6thrust23THRUST_200600_302600_NS6detail15normal_iteratorINSA_10device_ptrIfEEEEPS6_NSA_18transform_iteratorINSB_9not_fun_tI7is_trueIfEEESF_NSA_11use_defaultESM_EENS0_5tupleIJSF_S6_EEENSO_IJSG_SG_EEES6_PlJS6_EEE10hipError_tPvRmT3_T4_T5_T6_T7_T9_mT8_P12ihipStream_tbDpT10_ENKUlT_T0_E_clISt17integral_constantIbLb1EES1B_EEDaS16_S17_EUlS16_E_NS1_11comp_targetILNS1_3genE4ELNS1_11target_archE910ELNS1_3gpuE8ELNS1_3repE0EEENS1_30default_config_static_selectorELNS0_4arch9wavefront6targetE0EEEvT1_
; %bb.0:
	.section	.rodata,"a",@progbits
	.p2align	6, 0x0
	.amdhsa_kernel _ZN7rocprim17ROCPRIM_400000_NS6detail17trampoline_kernelINS0_14default_configENS1_25partition_config_selectorILNS1_17partition_subalgoE5EfNS0_10empty_typeEbEEZZNS1_14partition_implILS5_5ELb0ES3_mN6thrust23THRUST_200600_302600_NS6detail15normal_iteratorINSA_10device_ptrIfEEEEPS6_NSA_18transform_iteratorINSB_9not_fun_tI7is_trueIfEEESF_NSA_11use_defaultESM_EENS0_5tupleIJSF_S6_EEENSO_IJSG_SG_EEES6_PlJS6_EEE10hipError_tPvRmT3_T4_T5_T6_T7_T9_mT8_P12ihipStream_tbDpT10_ENKUlT_T0_E_clISt17integral_constantIbLb1EES1B_EEDaS16_S17_EUlS16_E_NS1_11comp_targetILNS1_3genE4ELNS1_11target_archE910ELNS1_3gpuE8ELNS1_3repE0EEENS1_30default_config_static_selectorELNS0_4arch9wavefront6targetE0EEEvT1_
		.amdhsa_group_segment_fixed_size 0
		.amdhsa_private_segment_fixed_size 0
		.amdhsa_kernarg_size 136
		.amdhsa_user_sgpr_count 2
		.amdhsa_user_sgpr_dispatch_ptr 0
		.amdhsa_user_sgpr_queue_ptr 0
		.amdhsa_user_sgpr_kernarg_segment_ptr 1
		.amdhsa_user_sgpr_dispatch_id 0
		.amdhsa_user_sgpr_private_segment_size 0
		.amdhsa_wavefront_size32 1
		.amdhsa_uses_dynamic_stack 0
		.amdhsa_enable_private_segment 0
		.amdhsa_system_sgpr_workgroup_id_x 1
		.amdhsa_system_sgpr_workgroup_id_y 0
		.amdhsa_system_sgpr_workgroup_id_z 0
		.amdhsa_system_sgpr_workgroup_info 0
		.amdhsa_system_vgpr_workitem_id 0
		.amdhsa_next_free_vgpr 1
		.amdhsa_next_free_sgpr 1
		.amdhsa_reserve_vcc 0
		.amdhsa_float_round_mode_32 0
		.amdhsa_float_round_mode_16_64 0
		.amdhsa_float_denorm_mode_32 3
		.amdhsa_float_denorm_mode_16_64 3
		.amdhsa_fp16_overflow 0
		.amdhsa_workgroup_processor_mode 1
		.amdhsa_memory_ordered 1
		.amdhsa_forward_progress 1
		.amdhsa_inst_pref_size 0
		.amdhsa_round_robin_scheduling 0
		.amdhsa_exception_fp_ieee_invalid_op 0
		.amdhsa_exception_fp_denorm_src 0
		.amdhsa_exception_fp_ieee_div_zero 0
		.amdhsa_exception_fp_ieee_overflow 0
		.amdhsa_exception_fp_ieee_underflow 0
		.amdhsa_exception_fp_ieee_inexact 0
		.amdhsa_exception_int_div_zero 0
	.end_amdhsa_kernel
	.section	.text._ZN7rocprim17ROCPRIM_400000_NS6detail17trampoline_kernelINS0_14default_configENS1_25partition_config_selectorILNS1_17partition_subalgoE5EfNS0_10empty_typeEbEEZZNS1_14partition_implILS5_5ELb0ES3_mN6thrust23THRUST_200600_302600_NS6detail15normal_iteratorINSA_10device_ptrIfEEEEPS6_NSA_18transform_iteratorINSB_9not_fun_tI7is_trueIfEEESF_NSA_11use_defaultESM_EENS0_5tupleIJSF_S6_EEENSO_IJSG_SG_EEES6_PlJS6_EEE10hipError_tPvRmT3_T4_T5_T6_T7_T9_mT8_P12ihipStream_tbDpT10_ENKUlT_T0_E_clISt17integral_constantIbLb1EES1B_EEDaS16_S17_EUlS16_E_NS1_11comp_targetILNS1_3genE4ELNS1_11target_archE910ELNS1_3gpuE8ELNS1_3repE0EEENS1_30default_config_static_selectorELNS0_4arch9wavefront6targetE0EEEvT1_,"axG",@progbits,_ZN7rocprim17ROCPRIM_400000_NS6detail17trampoline_kernelINS0_14default_configENS1_25partition_config_selectorILNS1_17partition_subalgoE5EfNS0_10empty_typeEbEEZZNS1_14partition_implILS5_5ELb0ES3_mN6thrust23THRUST_200600_302600_NS6detail15normal_iteratorINSA_10device_ptrIfEEEEPS6_NSA_18transform_iteratorINSB_9not_fun_tI7is_trueIfEEESF_NSA_11use_defaultESM_EENS0_5tupleIJSF_S6_EEENSO_IJSG_SG_EEES6_PlJS6_EEE10hipError_tPvRmT3_T4_T5_T6_T7_T9_mT8_P12ihipStream_tbDpT10_ENKUlT_T0_E_clISt17integral_constantIbLb1EES1B_EEDaS16_S17_EUlS16_E_NS1_11comp_targetILNS1_3genE4ELNS1_11target_archE910ELNS1_3gpuE8ELNS1_3repE0EEENS1_30default_config_static_selectorELNS0_4arch9wavefront6targetE0EEEvT1_,comdat
.Lfunc_end1345:
	.size	_ZN7rocprim17ROCPRIM_400000_NS6detail17trampoline_kernelINS0_14default_configENS1_25partition_config_selectorILNS1_17partition_subalgoE5EfNS0_10empty_typeEbEEZZNS1_14partition_implILS5_5ELb0ES3_mN6thrust23THRUST_200600_302600_NS6detail15normal_iteratorINSA_10device_ptrIfEEEEPS6_NSA_18transform_iteratorINSB_9not_fun_tI7is_trueIfEEESF_NSA_11use_defaultESM_EENS0_5tupleIJSF_S6_EEENSO_IJSG_SG_EEES6_PlJS6_EEE10hipError_tPvRmT3_T4_T5_T6_T7_T9_mT8_P12ihipStream_tbDpT10_ENKUlT_T0_E_clISt17integral_constantIbLb1EES1B_EEDaS16_S17_EUlS16_E_NS1_11comp_targetILNS1_3genE4ELNS1_11target_archE910ELNS1_3gpuE8ELNS1_3repE0EEENS1_30default_config_static_selectorELNS0_4arch9wavefront6targetE0EEEvT1_, .Lfunc_end1345-_ZN7rocprim17ROCPRIM_400000_NS6detail17trampoline_kernelINS0_14default_configENS1_25partition_config_selectorILNS1_17partition_subalgoE5EfNS0_10empty_typeEbEEZZNS1_14partition_implILS5_5ELb0ES3_mN6thrust23THRUST_200600_302600_NS6detail15normal_iteratorINSA_10device_ptrIfEEEEPS6_NSA_18transform_iteratorINSB_9not_fun_tI7is_trueIfEEESF_NSA_11use_defaultESM_EENS0_5tupleIJSF_S6_EEENSO_IJSG_SG_EEES6_PlJS6_EEE10hipError_tPvRmT3_T4_T5_T6_T7_T9_mT8_P12ihipStream_tbDpT10_ENKUlT_T0_E_clISt17integral_constantIbLb1EES1B_EEDaS16_S17_EUlS16_E_NS1_11comp_targetILNS1_3genE4ELNS1_11target_archE910ELNS1_3gpuE8ELNS1_3repE0EEENS1_30default_config_static_selectorELNS0_4arch9wavefront6targetE0EEEvT1_
                                        ; -- End function
	.set _ZN7rocprim17ROCPRIM_400000_NS6detail17trampoline_kernelINS0_14default_configENS1_25partition_config_selectorILNS1_17partition_subalgoE5EfNS0_10empty_typeEbEEZZNS1_14partition_implILS5_5ELb0ES3_mN6thrust23THRUST_200600_302600_NS6detail15normal_iteratorINSA_10device_ptrIfEEEEPS6_NSA_18transform_iteratorINSB_9not_fun_tI7is_trueIfEEESF_NSA_11use_defaultESM_EENS0_5tupleIJSF_S6_EEENSO_IJSG_SG_EEES6_PlJS6_EEE10hipError_tPvRmT3_T4_T5_T6_T7_T9_mT8_P12ihipStream_tbDpT10_ENKUlT_T0_E_clISt17integral_constantIbLb1EES1B_EEDaS16_S17_EUlS16_E_NS1_11comp_targetILNS1_3genE4ELNS1_11target_archE910ELNS1_3gpuE8ELNS1_3repE0EEENS1_30default_config_static_selectorELNS0_4arch9wavefront6targetE0EEEvT1_.num_vgpr, 0
	.set _ZN7rocprim17ROCPRIM_400000_NS6detail17trampoline_kernelINS0_14default_configENS1_25partition_config_selectorILNS1_17partition_subalgoE5EfNS0_10empty_typeEbEEZZNS1_14partition_implILS5_5ELb0ES3_mN6thrust23THRUST_200600_302600_NS6detail15normal_iteratorINSA_10device_ptrIfEEEEPS6_NSA_18transform_iteratorINSB_9not_fun_tI7is_trueIfEEESF_NSA_11use_defaultESM_EENS0_5tupleIJSF_S6_EEENSO_IJSG_SG_EEES6_PlJS6_EEE10hipError_tPvRmT3_T4_T5_T6_T7_T9_mT8_P12ihipStream_tbDpT10_ENKUlT_T0_E_clISt17integral_constantIbLb1EES1B_EEDaS16_S17_EUlS16_E_NS1_11comp_targetILNS1_3genE4ELNS1_11target_archE910ELNS1_3gpuE8ELNS1_3repE0EEENS1_30default_config_static_selectorELNS0_4arch9wavefront6targetE0EEEvT1_.num_agpr, 0
	.set _ZN7rocprim17ROCPRIM_400000_NS6detail17trampoline_kernelINS0_14default_configENS1_25partition_config_selectorILNS1_17partition_subalgoE5EfNS0_10empty_typeEbEEZZNS1_14partition_implILS5_5ELb0ES3_mN6thrust23THRUST_200600_302600_NS6detail15normal_iteratorINSA_10device_ptrIfEEEEPS6_NSA_18transform_iteratorINSB_9not_fun_tI7is_trueIfEEESF_NSA_11use_defaultESM_EENS0_5tupleIJSF_S6_EEENSO_IJSG_SG_EEES6_PlJS6_EEE10hipError_tPvRmT3_T4_T5_T6_T7_T9_mT8_P12ihipStream_tbDpT10_ENKUlT_T0_E_clISt17integral_constantIbLb1EES1B_EEDaS16_S17_EUlS16_E_NS1_11comp_targetILNS1_3genE4ELNS1_11target_archE910ELNS1_3gpuE8ELNS1_3repE0EEENS1_30default_config_static_selectorELNS0_4arch9wavefront6targetE0EEEvT1_.numbered_sgpr, 0
	.set _ZN7rocprim17ROCPRIM_400000_NS6detail17trampoline_kernelINS0_14default_configENS1_25partition_config_selectorILNS1_17partition_subalgoE5EfNS0_10empty_typeEbEEZZNS1_14partition_implILS5_5ELb0ES3_mN6thrust23THRUST_200600_302600_NS6detail15normal_iteratorINSA_10device_ptrIfEEEEPS6_NSA_18transform_iteratorINSB_9not_fun_tI7is_trueIfEEESF_NSA_11use_defaultESM_EENS0_5tupleIJSF_S6_EEENSO_IJSG_SG_EEES6_PlJS6_EEE10hipError_tPvRmT3_T4_T5_T6_T7_T9_mT8_P12ihipStream_tbDpT10_ENKUlT_T0_E_clISt17integral_constantIbLb1EES1B_EEDaS16_S17_EUlS16_E_NS1_11comp_targetILNS1_3genE4ELNS1_11target_archE910ELNS1_3gpuE8ELNS1_3repE0EEENS1_30default_config_static_selectorELNS0_4arch9wavefront6targetE0EEEvT1_.num_named_barrier, 0
	.set _ZN7rocprim17ROCPRIM_400000_NS6detail17trampoline_kernelINS0_14default_configENS1_25partition_config_selectorILNS1_17partition_subalgoE5EfNS0_10empty_typeEbEEZZNS1_14partition_implILS5_5ELb0ES3_mN6thrust23THRUST_200600_302600_NS6detail15normal_iteratorINSA_10device_ptrIfEEEEPS6_NSA_18transform_iteratorINSB_9not_fun_tI7is_trueIfEEESF_NSA_11use_defaultESM_EENS0_5tupleIJSF_S6_EEENSO_IJSG_SG_EEES6_PlJS6_EEE10hipError_tPvRmT3_T4_T5_T6_T7_T9_mT8_P12ihipStream_tbDpT10_ENKUlT_T0_E_clISt17integral_constantIbLb1EES1B_EEDaS16_S17_EUlS16_E_NS1_11comp_targetILNS1_3genE4ELNS1_11target_archE910ELNS1_3gpuE8ELNS1_3repE0EEENS1_30default_config_static_selectorELNS0_4arch9wavefront6targetE0EEEvT1_.private_seg_size, 0
	.set _ZN7rocprim17ROCPRIM_400000_NS6detail17trampoline_kernelINS0_14default_configENS1_25partition_config_selectorILNS1_17partition_subalgoE5EfNS0_10empty_typeEbEEZZNS1_14partition_implILS5_5ELb0ES3_mN6thrust23THRUST_200600_302600_NS6detail15normal_iteratorINSA_10device_ptrIfEEEEPS6_NSA_18transform_iteratorINSB_9not_fun_tI7is_trueIfEEESF_NSA_11use_defaultESM_EENS0_5tupleIJSF_S6_EEENSO_IJSG_SG_EEES6_PlJS6_EEE10hipError_tPvRmT3_T4_T5_T6_T7_T9_mT8_P12ihipStream_tbDpT10_ENKUlT_T0_E_clISt17integral_constantIbLb1EES1B_EEDaS16_S17_EUlS16_E_NS1_11comp_targetILNS1_3genE4ELNS1_11target_archE910ELNS1_3gpuE8ELNS1_3repE0EEENS1_30default_config_static_selectorELNS0_4arch9wavefront6targetE0EEEvT1_.uses_vcc, 0
	.set _ZN7rocprim17ROCPRIM_400000_NS6detail17trampoline_kernelINS0_14default_configENS1_25partition_config_selectorILNS1_17partition_subalgoE5EfNS0_10empty_typeEbEEZZNS1_14partition_implILS5_5ELb0ES3_mN6thrust23THRUST_200600_302600_NS6detail15normal_iteratorINSA_10device_ptrIfEEEEPS6_NSA_18transform_iteratorINSB_9not_fun_tI7is_trueIfEEESF_NSA_11use_defaultESM_EENS0_5tupleIJSF_S6_EEENSO_IJSG_SG_EEES6_PlJS6_EEE10hipError_tPvRmT3_T4_T5_T6_T7_T9_mT8_P12ihipStream_tbDpT10_ENKUlT_T0_E_clISt17integral_constantIbLb1EES1B_EEDaS16_S17_EUlS16_E_NS1_11comp_targetILNS1_3genE4ELNS1_11target_archE910ELNS1_3gpuE8ELNS1_3repE0EEENS1_30default_config_static_selectorELNS0_4arch9wavefront6targetE0EEEvT1_.uses_flat_scratch, 0
	.set _ZN7rocprim17ROCPRIM_400000_NS6detail17trampoline_kernelINS0_14default_configENS1_25partition_config_selectorILNS1_17partition_subalgoE5EfNS0_10empty_typeEbEEZZNS1_14partition_implILS5_5ELb0ES3_mN6thrust23THRUST_200600_302600_NS6detail15normal_iteratorINSA_10device_ptrIfEEEEPS6_NSA_18transform_iteratorINSB_9not_fun_tI7is_trueIfEEESF_NSA_11use_defaultESM_EENS0_5tupleIJSF_S6_EEENSO_IJSG_SG_EEES6_PlJS6_EEE10hipError_tPvRmT3_T4_T5_T6_T7_T9_mT8_P12ihipStream_tbDpT10_ENKUlT_T0_E_clISt17integral_constantIbLb1EES1B_EEDaS16_S17_EUlS16_E_NS1_11comp_targetILNS1_3genE4ELNS1_11target_archE910ELNS1_3gpuE8ELNS1_3repE0EEENS1_30default_config_static_selectorELNS0_4arch9wavefront6targetE0EEEvT1_.has_dyn_sized_stack, 0
	.set _ZN7rocprim17ROCPRIM_400000_NS6detail17trampoline_kernelINS0_14default_configENS1_25partition_config_selectorILNS1_17partition_subalgoE5EfNS0_10empty_typeEbEEZZNS1_14partition_implILS5_5ELb0ES3_mN6thrust23THRUST_200600_302600_NS6detail15normal_iteratorINSA_10device_ptrIfEEEEPS6_NSA_18transform_iteratorINSB_9not_fun_tI7is_trueIfEEESF_NSA_11use_defaultESM_EENS0_5tupleIJSF_S6_EEENSO_IJSG_SG_EEES6_PlJS6_EEE10hipError_tPvRmT3_T4_T5_T6_T7_T9_mT8_P12ihipStream_tbDpT10_ENKUlT_T0_E_clISt17integral_constantIbLb1EES1B_EEDaS16_S17_EUlS16_E_NS1_11comp_targetILNS1_3genE4ELNS1_11target_archE910ELNS1_3gpuE8ELNS1_3repE0EEENS1_30default_config_static_selectorELNS0_4arch9wavefront6targetE0EEEvT1_.has_recursion, 0
	.set _ZN7rocprim17ROCPRIM_400000_NS6detail17trampoline_kernelINS0_14default_configENS1_25partition_config_selectorILNS1_17partition_subalgoE5EfNS0_10empty_typeEbEEZZNS1_14partition_implILS5_5ELb0ES3_mN6thrust23THRUST_200600_302600_NS6detail15normal_iteratorINSA_10device_ptrIfEEEEPS6_NSA_18transform_iteratorINSB_9not_fun_tI7is_trueIfEEESF_NSA_11use_defaultESM_EENS0_5tupleIJSF_S6_EEENSO_IJSG_SG_EEES6_PlJS6_EEE10hipError_tPvRmT3_T4_T5_T6_T7_T9_mT8_P12ihipStream_tbDpT10_ENKUlT_T0_E_clISt17integral_constantIbLb1EES1B_EEDaS16_S17_EUlS16_E_NS1_11comp_targetILNS1_3genE4ELNS1_11target_archE910ELNS1_3gpuE8ELNS1_3repE0EEENS1_30default_config_static_selectorELNS0_4arch9wavefront6targetE0EEEvT1_.has_indirect_call, 0
	.section	.AMDGPU.csdata,"",@progbits
; Kernel info:
; codeLenInByte = 0
; TotalNumSgprs: 0
; NumVgprs: 0
; ScratchSize: 0
; MemoryBound: 0
; FloatMode: 240
; IeeeMode: 1
; LDSByteSize: 0 bytes/workgroup (compile time only)
; SGPRBlocks: 0
; VGPRBlocks: 0
; NumSGPRsForWavesPerEU: 1
; NumVGPRsForWavesPerEU: 1
; Occupancy: 16
; WaveLimiterHint : 0
; COMPUTE_PGM_RSRC2:SCRATCH_EN: 0
; COMPUTE_PGM_RSRC2:USER_SGPR: 2
; COMPUTE_PGM_RSRC2:TRAP_HANDLER: 0
; COMPUTE_PGM_RSRC2:TGID_X_EN: 1
; COMPUTE_PGM_RSRC2:TGID_Y_EN: 0
; COMPUTE_PGM_RSRC2:TGID_Z_EN: 0
; COMPUTE_PGM_RSRC2:TIDIG_COMP_CNT: 0
	.section	.text._ZN7rocprim17ROCPRIM_400000_NS6detail17trampoline_kernelINS0_14default_configENS1_25partition_config_selectorILNS1_17partition_subalgoE5EfNS0_10empty_typeEbEEZZNS1_14partition_implILS5_5ELb0ES3_mN6thrust23THRUST_200600_302600_NS6detail15normal_iteratorINSA_10device_ptrIfEEEEPS6_NSA_18transform_iteratorINSB_9not_fun_tI7is_trueIfEEESF_NSA_11use_defaultESM_EENS0_5tupleIJSF_S6_EEENSO_IJSG_SG_EEES6_PlJS6_EEE10hipError_tPvRmT3_T4_T5_T6_T7_T9_mT8_P12ihipStream_tbDpT10_ENKUlT_T0_E_clISt17integral_constantIbLb1EES1B_EEDaS16_S17_EUlS16_E_NS1_11comp_targetILNS1_3genE3ELNS1_11target_archE908ELNS1_3gpuE7ELNS1_3repE0EEENS1_30default_config_static_selectorELNS0_4arch9wavefront6targetE0EEEvT1_,"axG",@progbits,_ZN7rocprim17ROCPRIM_400000_NS6detail17trampoline_kernelINS0_14default_configENS1_25partition_config_selectorILNS1_17partition_subalgoE5EfNS0_10empty_typeEbEEZZNS1_14partition_implILS5_5ELb0ES3_mN6thrust23THRUST_200600_302600_NS6detail15normal_iteratorINSA_10device_ptrIfEEEEPS6_NSA_18transform_iteratorINSB_9not_fun_tI7is_trueIfEEESF_NSA_11use_defaultESM_EENS0_5tupleIJSF_S6_EEENSO_IJSG_SG_EEES6_PlJS6_EEE10hipError_tPvRmT3_T4_T5_T6_T7_T9_mT8_P12ihipStream_tbDpT10_ENKUlT_T0_E_clISt17integral_constantIbLb1EES1B_EEDaS16_S17_EUlS16_E_NS1_11comp_targetILNS1_3genE3ELNS1_11target_archE908ELNS1_3gpuE7ELNS1_3repE0EEENS1_30default_config_static_selectorELNS0_4arch9wavefront6targetE0EEEvT1_,comdat
	.protected	_ZN7rocprim17ROCPRIM_400000_NS6detail17trampoline_kernelINS0_14default_configENS1_25partition_config_selectorILNS1_17partition_subalgoE5EfNS0_10empty_typeEbEEZZNS1_14partition_implILS5_5ELb0ES3_mN6thrust23THRUST_200600_302600_NS6detail15normal_iteratorINSA_10device_ptrIfEEEEPS6_NSA_18transform_iteratorINSB_9not_fun_tI7is_trueIfEEESF_NSA_11use_defaultESM_EENS0_5tupleIJSF_S6_EEENSO_IJSG_SG_EEES6_PlJS6_EEE10hipError_tPvRmT3_T4_T5_T6_T7_T9_mT8_P12ihipStream_tbDpT10_ENKUlT_T0_E_clISt17integral_constantIbLb1EES1B_EEDaS16_S17_EUlS16_E_NS1_11comp_targetILNS1_3genE3ELNS1_11target_archE908ELNS1_3gpuE7ELNS1_3repE0EEENS1_30default_config_static_selectorELNS0_4arch9wavefront6targetE0EEEvT1_ ; -- Begin function _ZN7rocprim17ROCPRIM_400000_NS6detail17trampoline_kernelINS0_14default_configENS1_25partition_config_selectorILNS1_17partition_subalgoE5EfNS0_10empty_typeEbEEZZNS1_14partition_implILS5_5ELb0ES3_mN6thrust23THRUST_200600_302600_NS6detail15normal_iteratorINSA_10device_ptrIfEEEEPS6_NSA_18transform_iteratorINSB_9not_fun_tI7is_trueIfEEESF_NSA_11use_defaultESM_EENS0_5tupleIJSF_S6_EEENSO_IJSG_SG_EEES6_PlJS6_EEE10hipError_tPvRmT3_T4_T5_T6_T7_T9_mT8_P12ihipStream_tbDpT10_ENKUlT_T0_E_clISt17integral_constantIbLb1EES1B_EEDaS16_S17_EUlS16_E_NS1_11comp_targetILNS1_3genE3ELNS1_11target_archE908ELNS1_3gpuE7ELNS1_3repE0EEENS1_30default_config_static_selectorELNS0_4arch9wavefront6targetE0EEEvT1_
	.globl	_ZN7rocprim17ROCPRIM_400000_NS6detail17trampoline_kernelINS0_14default_configENS1_25partition_config_selectorILNS1_17partition_subalgoE5EfNS0_10empty_typeEbEEZZNS1_14partition_implILS5_5ELb0ES3_mN6thrust23THRUST_200600_302600_NS6detail15normal_iteratorINSA_10device_ptrIfEEEEPS6_NSA_18transform_iteratorINSB_9not_fun_tI7is_trueIfEEESF_NSA_11use_defaultESM_EENS0_5tupleIJSF_S6_EEENSO_IJSG_SG_EEES6_PlJS6_EEE10hipError_tPvRmT3_T4_T5_T6_T7_T9_mT8_P12ihipStream_tbDpT10_ENKUlT_T0_E_clISt17integral_constantIbLb1EES1B_EEDaS16_S17_EUlS16_E_NS1_11comp_targetILNS1_3genE3ELNS1_11target_archE908ELNS1_3gpuE7ELNS1_3repE0EEENS1_30default_config_static_selectorELNS0_4arch9wavefront6targetE0EEEvT1_
	.p2align	8
	.type	_ZN7rocprim17ROCPRIM_400000_NS6detail17trampoline_kernelINS0_14default_configENS1_25partition_config_selectorILNS1_17partition_subalgoE5EfNS0_10empty_typeEbEEZZNS1_14partition_implILS5_5ELb0ES3_mN6thrust23THRUST_200600_302600_NS6detail15normal_iteratorINSA_10device_ptrIfEEEEPS6_NSA_18transform_iteratorINSB_9not_fun_tI7is_trueIfEEESF_NSA_11use_defaultESM_EENS0_5tupleIJSF_S6_EEENSO_IJSG_SG_EEES6_PlJS6_EEE10hipError_tPvRmT3_T4_T5_T6_T7_T9_mT8_P12ihipStream_tbDpT10_ENKUlT_T0_E_clISt17integral_constantIbLb1EES1B_EEDaS16_S17_EUlS16_E_NS1_11comp_targetILNS1_3genE3ELNS1_11target_archE908ELNS1_3gpuE7ELNS1_3repE0EEENS1_30default_config_static_selectorELNS0_4arch9wavefront6targetE0EEEvT1_,@function
_ZN7rocprim17ROCPRIM_400000_NS6detail17trampoline_kernelINS0_14default_configENS1_25partition_config_selectorILNS1_17partition_subalgoE5EfNS0_10empty_typeEbEEZZNS1_14partition_implILS5_5ELb0ES3_mN6thrust23THRUST_200600_302600_NS6detail15normal_iteratorINSA_10device_ptrIfEEEEPS6_NSA_18transform_iteratorINSB_9not_fun_tI7is_trueIfEEESF_NSA_11use_defaultESM_EENS0_5tupleIJSF_S6_EEENSO_IJSG_SG_EEES6_PlJS6_EEE10hipError_tPvRmT3_T4_T5_T6_T7_T9_mT8_P12ihipStream_tbDpT10_ENKUlT_T0_E_clISt17integral_constantIbLb1EES1B_EEDaS16_S17_EUlS16_E_NS1_11comp_targetILNS1_3genE3ELNS1_11target_archE908ELNS1_3gpuE7ELNS1_3repE0EEENS1_30default_config_static_selectorELNS0_4arch9wavefront6targetE0EEEvT1_: ; @_ZN7rocprim17ROCPRIM_400000_NS6detail17trampoline_kernelINS0_14default_configENS1_25partition_config_selectorILNS1_17partition_subalgoE5EfNS0_10empty_typeEbEEZZNS1_14partition_implILS5_5ELb0ES3_mN6thrust23THRUST_200600_302600_NS6detail15normal_iteratorINSA_10device_ptrIfEEEEPS6_NSA_18transform_iteratorINSB_9not_fun_tI7is_trueIfEEESF_NSA_11use_defaultESM_EENS0_5tupleIJSF_S6_EEENSO_IJSG_SG_EEES6_PlJS6_EEE10hipError_tPvRmT3_T4_T5_T6_T7_T9_mT8_P12ihipStream_tbDpT10_ENKUlT_T0_E_clISt17integral_constantIbLb1EES1B_EEDaS16_S17_EUlS16_E_NS1_11comp_targetILNS1_3genE3ELNS1_11target_archE908ELNS1_3gpuE7ELNS1_3repE0EEENS1_30default_config_static_selectorELNS0_4arch9wavefront6targetE0EEEvT1_
; %bb.0:
	.section	.rodata,"a",@progbits
	.p2align	6, 0x0
	.amdhsa_kernel _ZN7rocprim17ROCPRIM_400000_NS6detail17trampoline_kernelINS0_14default_configENS1_25partition_config_selectorILNS1_17partition_subalgoE5EfNS0_10empty_typeEbEEZZNS1_14partition_implILS5_5ELb0ES3_mN6thrust23THRUST_200600_302600_NS6detail15normal_iteratorINSA_10device_ptrIfEEEEPS6_NSA_18transform_iteratorINSB_9not_fun_tI7is_trueIfEEESF_NSA_11use_defaultESM_EENS0_5tupleIJSF_S6_EEENSO_IJSG_SG_EEES6_PlJS6_EEE10hipError_tPvRmT3_T4_T5_T6_T7_T9_mT8_P12ihipStream_tbDpT10_ENKUlT_T0_E_clISt17integral_constantIbLb1EES1B_EEDaS16_S17_EUlS16_E_NS1_11comp_targetILNS1_3genE3ELNS1_11target_archE908ELNS1_3gpuE7ELNS1_3repE0EEENS1_30default_config_static_selectorELNS0_4arch9wavefront6targetE0EEEvT1_
		.amdhsa_group_segment_fixed_size 0
		.amdhsa_private_segment_fixed_size 0
		.amdhsa_kernarg_size 136
		.amdhsa_user_sgpr_count 2
		.amdhsa_user_sgpr_dispatch_ptr 0
		.amdhsa_user_sgpr_queue_ptr 0
		.amdhsa_user_sgpr_kernarg_segment_ptr 1
		.amdhsa_user_sgpr_dispatch_id 0
		.amdhsa_user_sgpr_private_segment_size 0
		.amdhsa_wavefront_size32 1
		.amdhsa_uses_dynamic_stack 0
		.amdhsa_enable_private_segment 0
		.amdhsa_system_sgpr_workgroup_id_x 1
		.amdhsa_system_sgpr_workgroup_id_y 0
		.amdhsa_system_sgpr_workgroup_id_z 0
		.amdhsa_system_sgpr_workgroup_info 0
		.amdhsa_system_vgpr_workitem_id 0
		.amdhsa_next_free_vgpr 1
		.amdhsa_next_free_sgpr 1
		.amdhsa_reserve_vcc 0
		.amdhsa_float_round_mode_32 0
		.amdhsa_float_round_mode_16_64 0
		.amdhsa_float_denorm_mode_32 3
		.amdhsa_float_denorm_mode_16_64 3
		.amdhsa_fp16_overflow 0
		.amdhsa_workgroup_processor_mode 1
		.amdhsa_memory_ordered 1
		.amdhsa_forward_progress 1
		.amdhsa_inst_pref_size 0
		.amdhsa_round_robin_scheduling 0
		.amdhsa_exception_fp_ieee_invalid_op 0
		.amdhsa_exception_fp_denorm_src 0
		.amdhsa_exception_fp_ieee_div_zero 0
		.amdhsa_exception_fp_ieee_overflow 0
		.amdhsa_exception_fp_ieee_underflow 0
		.amdhsa_exception_fp_ieee_inexact 0
		.amdhsa_exception_int_div_zero 0
	.end_amdhsa_kernel
	.section	.text._ZN7rocprim17ROCPRIM_400000_NS6detail17trampoline_kernelINS0_14default_configENS1_25partition_config_selectorILNS1_17partition_subalgoE5EfNS0_10empty_typeEbEEZZNS1_14partition_implILS5_5ELb0ES3_mN6thrust23THRUST_200600_302600_NS6detail15normal_iteratorINSA_10device_ptrIfEEEEPS6_NSA_18transform_iteratorINSB_9not_fun_tI7is_trueIfEEESF_NSA_11use_defaultESM_EENS0_5tupleIJSF_S6_EEENSO_IJSG_SG_EEES6_PlJS6_EEE10hipError_tPvRmT3_T4_T5_T6_T7_T9_mT8_P12ihipStream_tbDpT10_ENKUlT_T0_E_clISt17integral_constantIbLb1EES1B_EEDaS16_S17_EUlS16_E_NS1_11comp_targetILNS1_3genE3ELNS1_11target_archE908ELNS1_3gpuE7ELNS1_3repE0EEENS1_30default_config_static_selectorELNS0_4arch9wavefront6targetE0EEEvT1_,"axG",@progbits,_ZN7rocprim17ROCPRIM_400000_NS6detail17trampoline_kernelINS0_14default_configENS1_25partition_config_selectorILNS1_17partition_subalgoE5EfNS0_10empty_typeEbEEZZNS1_14partition_implILS5_5ELb0ES3_mN6thrust23THRUST_200600_302600_NS6detail15normal_iteratorINSA_10device_ptrIfEEEEPS6_NSA_18transform_iteratorINSB_9not_fun_tI7is_trueIfEEESF_NSA_11use_defaultESM_EENS0_5tupleIJSF_S6_EEENSO_IJSG_SG_EEES6_PlJS6_EEE10hipError_tPvRmT3_T4_T5_T6_T7_T9_mT8_P12ihipStream_tbDpT10_ENKUlT_T0_E_clISt17integral_constantIbLb1EES1B_EEDaS16_S17_EUlS16_E_NS1_11comp_targetILNS1_3genE3ELNS1_11target_archE908ELNS1_3gpuE7ELNS1_3repE0EEENS1_30default_config_static_selectorELNS0_4arch9wavefront6targetE0EEEvT1_,comdat
.Lfunc_end1346:
	.size	_ZN7rocprim17ROCPRIM_400000_NS6detail17trampoline_kernelINS0_14default_configENS1_25partition_config_selectorILNS1_17partition_subalgoE5EfNS0_10empty_typeEbEEZZNS1_14partition_implILS5_5ELb0ES3_mN6thrust23THRUST_200600_302600_NS6detail15normal_iteratorINSA_10device_ptrIfEEEEPS6_NSA_18transform_iteratorINSB_9not_fun_tI7is_trueIfEEESF_NSA_11use_defaultESM_EENS0_5tupleIJSF_S6_EEENSO_IJSG_SG_EEES6_PlJS6_EEE10hipError_tPvRmT3_T4_T5_T6_T7_T9_mT8_P12ihipStream_tbDpT10_ENKUlT_T0_E_clISt17integral_constantIbLb1EES1B_EEDaS16_S17_EUlS16_E_NS1_11comp_targetILNS1_3genE3ELNS1_11target_archE908ELNS1_3gpuE7ELNS1_3repE0EEENS1_30default_config_static_selectorELNS0_4arch9wavefront6targetE0EEEvT1_, .Lfunc_end1346-_ZN7rocprim17ROCPRIM_400000_NS6detail17trampoline_kernelINS0_14default_configENS1_25partition_config_selectorILNS1_17partition_subalgoE5EfNS0_10empty_typeEbEEZZNS1_14partition_implILS5_5ELb0ES3_mN6thrust23THRUST_200600_302600_NS6detail15normal_iteratorINSA_10device_ptrIfEEEEPS6_NSA_18transform_iteratorINSB_9not_fun_tI7is_trueIfEEESF_NSA_11use_defaultESM_EENS0_5tupleIJSF_S6_EEENSO_IJSG_SG_EEES6_PlJS6_EEE10hipError_tPvRmT3_T4_T5_T6_T7_T9_mT8_P12ihipStream_tbDpT10_ENKUlT_T0_E_clISt17integral_constantIbLb1EES1B_EEDaS16_S17_EUlS16_E_NS1_11comp_targetILNS1_3genE3ELNS1_11target_archE908ELNS1_3gpuE7ELNS1_3repE0EEENS1_30default_config_static_selectorELNS0_4arch9wavefront6targetE0EEEvT1_
                                        ; -- End function
	.set _ZN7rocprim17ROCPRIM_400000_NS6detail17trampoline_kernelINS0_14default_configENS1_25partition_config_selectorILNS1_17partition_subalgoE5EfNS0_10empty_typeEbEEZZNS1_14partition_implILS5_5ELb0ES3_mN6thrust23THRUST_200600_302600_NS6detail15normal_iteratorINSA_10device_ptrIfEEEEPS6_NSA_18transform_iteratorINSB_9not_fun_tI7is_trueIfEEESF_NSA_11use_defaultESM_EENS0_5tupleIJSF_S6_EEENSO_IJSG_SG_EEES6_PlJS6_EEE10hipError_tPvRmT3_T4_T5_T6_T7_T9_mT8_P12ihipStream_tbDpT10_ENKUlT_T0_E_clISt17integral_constantIbLb1EES1B_EEDaS16_S17_EUlS16_E_NS1_11comp_targetILNS1_3genE3ELNS1_11target_archE908ELNS1_3gpuE7ELNS1_3repE0EEENS1_30default_config_static_selectorELNS0_4arch9wavefront6targetE0EEEvT1_.num_vgpr, 0
	.set _ZN7rocprim17ROCPRIM_400000_NS6detail17trampoline_kernelINS0_14default_configENS1_25partition_config_selectorILNS1_17partition_subalgoE5EfNS0_10empty_typeEbEEZZNS1_14partition_implILS5_5ELb0ES3_mN6thrust23THRUST_200600_302600_NS6detail15normal_iteratorINSA_10device_ptrIfEEEEPS6_NSA_18transform_iteratorINSB_9not_fun_tI7is_trueIfEEESF_NSA_11use_defaultESM_EENS0_5tupleIJSF_S6_EEENSO_IJSG_SG_EEES6_PlJS6_EEE10hipError_tPvRmT3_T4_T5_T6_T7_T9_mT8_P12ihipStream_tbDpT10_ENKUlT_T0_E_clISt17integral_constantIbLb1EES1B_EEDaS16_S17_EUlS16_E_NS1_11comp_targetILNS1_3genE3ELNS1_11target_archE908ELNS1_3gpuE7ELNS1_3repE0EEENS1_30default_config_static_selectorELNS0_4arch9wavefront6targetE0EEEvT1_.num_agpr, 0
	.set _ZN7rocprim17ROCPRIM_400000_NS6detail17trampoline_kernelINS0_14default_configENS1_25partition_config_selectorILNS1_17partition_subalgoE5EfNS0_10empty_typeEbEEZZNS1_14partition_implILS5_5ELb0ES3_mN6thrust23THRUST_200600_302600_NS6detail15normal_iteratorINSA_10device_ptrIfEEEEPS6_NSA_18transform_iteratorINSB_9not_fun_tI7is_trueIfEEESF_NSA_11use_defaultESM_EENS0_5tupleIJSF_S6_EEENSO_IJSG_SG_EEES6_PlJS6_EEE10hipError_tPvRmT3_T4_T5_T6_T7_T9_mT8_P12ihipStream_tbDpT10_ENKUlT_T0_E_clISt17integral_constantIbLb1EES1B_EEDaS16_S17_EUlS16_E_NS1_11comp_targetILNS1_3genE3ELNS1_11target_archE908ELNS1_3gpuE7ELNS1_3repE0EEENS1_30default_config_static_selectorELNS0_4arch9wavefront6targetE0EEEvT1_.numbered_sgpr, 0
	.set _ZN7rocprim17ROCPRIM_400000_NS6detail17trampoline_kernelINS0_14default_configENS1_25partition_config_selectorILNS1_17partition_subalgoE5EfNS0_10empty_typeEbEEZZNS1_14partition_implILS5_5ELb0ES3_mN6thrust23THRUST_200600_302600_NS6detail15normal_iteratorINSA_10device_ptrIfEEEEPS6_NSA_18transform_iteratorINSB_9not_fun_tI7is_trueIfEEESF_NSA_11use_defaultESM_EENS0_5tupleIJSF_S6_EEENSO_IJSG_SG_EEES6_PlJS6_EEE10hipError_tPvRmT3_T4_T5_T6_T7_T9_mT8_P12ihipStream_tbDpT10_ENKUlT_T0_E_clISt17integral_constantIbLb1EES1B_EEDaS16_S17_EUlS16_E_NS1_11comp_targetILNS1_3genE3ELNS1_11target_archE908ELNS1_3gpuE7ELNS1_3repE0EEENS1_30default_config_static_selectorELNS0_4arch9wavefront6targetE0EEEvT1_.num_named_barrier, 0
	.set _ZN7rocprim17ROCPRIM_400000_NS6detail17trampoline_kernelINS0_14default_configENS1_25partition_config_selectorILNS1_17partition_subalgoE5EfNS0_10empty_typeEbEEZZNS1_14partition_implILS5_5ELb0ES3_mN6thrust23THRUST_200600_302600_NS6detail15normal_iteratorINSA_10device_ptrIfEEEEPS6_NSA_18transform_iteratorINSB_9not_fun_tI7is_trueIfEEESF_NSA_11use_defaultESM_EENS0_5tupleIJSF_S6_EEENSO_IJSG_SG_EEES6_PlJS6_EEE10hipError_tPvRmT3_T4_T5_T6_T7_T9_mT8_P12ihipStream_tbDpT10_ENKUlT_T0_E_clISt17integral_constantIbLb1EES1B_EEDaS16_S17_EUlS16_E_NS1_11comp_targetILNS1_3genE3ELNS1_11target_archE908ELNS1_3gpuE7ELNS1_3repE0EEENS1_30default_config_static_selectorELNS0_4arch9wavefront6targetE0EEEvT1_.private_seg_size, 0
	.set _ZN7rocprim17ROCPRIM_400000_NS6detail17trampoline_kernelINS0_14default_configENS1_25partition_config_selectorILNS1_17partition_subalgoE5EfNS0_10empty_typeEbEEZZNS1_14partition_implILS5_5ELb0ES3_mN6thrust23THRUST_200600_302600_NS6detail15normal_iteratorINSA_10device_ptrIfEEEEPS6_NSA_18transform_iteratorINSB_9not_fun_tI7is_trueIfEEESF_NSA_11use_defaultESM_EENS0_5tupleIJSF_S6_EEENSO_IJSG_SG_EEES6_PlJS6_EEE10hipError_tPvRmT3_T4_T5_T6_T7_T9_mT8_P12ihipStream_tbDpT10_ENKUlT_T0_E_clISt17integral_constantIbLb1EES1B_EEDaS16_S17_EUlS16_E_NS1_11comp_targetILNS1_3genE3ELNS1_11target_archE908ELNS1_3gpuE7ELNS1_3repE0EEENS1_30default_config_static_selectorELNS0_4arch9wavefront6targetE0EEEvT1_.uses_vcc, 0
	.set _ZN7rocprim17ROCPRIM_400000_NS6detail17trampoline_kernelINS0_14default_configENS1_25partition_config_selectorILNS1_17partition_subalgoE5EfNS0_10empty_typeEbEEZZNS1_14partition_implILS5_5ELb0ES3_mN6thrust23THRUST_200600_302600_NS6detail15normal_iteratorINSA_10device_ptrIfEEEEPS6_NSA_18transform_iteratorINSB_9not_fun_tI7is_trueIfEEESF_NSA_11use_defaultESM_EENS0_5tupleIJSF_S6_EEENSO_IJSG_SG_EEES6_PlJS6_EEE10hipError_tPvRmT3_T4_T5_T6_T7_T9_mT8_P12ihipStream_tbDpT10_ENKUlT_T0_E_clISt17integral_constantIbLb1EES1B_EEDaS16_S17_EUlS16_E_NS1_11comp_targetILNS1_3genE3ELNS1_11target_archE908ELNS1_3gpuE7ELNS1_3repE0EEENS1_30default_config_static_selectorELNS0_4arch9wavefront6targetE0EEEvT1_.uses_flat_scratch, 0
	.set _ZN7rocprim17ROCPRIM_400000_NS6detail17trampoline_kernelINS0_14default_configENS1_25partition_config_selectorILNS1_17partition_subalgoE5EfNS0_10empty_typeEbEEZZNS1_14partition_implILS5_5ELb0ES3_mN6thrust23THRUST_200600_302600_NS6detail15normal_iteratorINSA_10device_ptrIfEEEEPS6_NSA_18transform_iteratorINSB_9not_fun_tI7is_trueIfEEESF_NSA_11use_defaultESM_EENS0_5tupleIJSF_S6_EEENSO_IJSG_SG_EEES6_PlJS6_EEE10hipError_tPvRmT3_T4_T5_T6_T7_T9_mT8_P12ihipStream_tbDpT10_ENKUlT_T0_E_clISt17integral_constantIbLb1EES1B_EEDaS16_S17_EUlS16_E_NS1_11comp_targetILNS1_3genE3ELNS1_11target_archE908ELNS1_3gpuE7ELNS1_3repE0EEENS1_30default_config_static_selectorELNS0_4arch9wavefront6targetE0EEEvT1_.has_dyn_sized_stack, 0
	.set _ZN7rocprim17ROCPRIM_400000_NS6detail17trampoline_kernelINS0_14default_configENS1_25partition_config_selectorILNS1_17partition_subalgoE5EfNS0_10empty_typeEbEEZZNS1_14partition_implILS5_5ELb0ES3_mN6thrust23THRUST_200600_302600_NS6detail15normal_iteratorINSA_10device_ptrIfEEEEPS6_NSA_18transform_iteratorINSB_9not_fun_tI7is_trueIfEEESF_NSA_11use_defaultESM_EENS0_5tupleIJSF_S6_EEENSO_IJSG_SG_EEES6_PlJS6_EEE10hipError_tPvRmT3_T4_T5_T6_T7_T9_mT8_P12ihipStream_tbDpT10_ENKUlT_T0_E_clISt17integral_constantIbLb1EES1B_EEDaS16_S17_EUlS16_E_NS1_11comp_targetILNS1_3genE3ELNS1_11target_archE908ELNS1_3gpuE7ELNS1_3repE0EEENS1_30default_config_static_selectorELNS0_4arch9wavefront6targetE0EEEvT1_.has_recursion, 0
	.set _ZN7rocprim17ROCPRIM_400000_NS6detail17trampoline_kernelINS0_14default_configENS1_25partition_config_selectorILNS1_17partition_subalgoE5EfNS0_10empty_typeEbEEZZNS1_14partition_implILS5_5ELb0ES3_mN6thrust23THRUST_200600_302600_NS6detail15normal_iteratorINSA_10device_ptrIfEEEEPS6_NSA_18transform_iteratorINSB_9not_fun_tI7is_trueIfEEESF_NSA_11use_defaultESM_EENS0_5tupleIJSF_S6_EEENSO_IJSG_SG_EEES6_PlJS6_EEE10hipError_tPvRmT3_T4_T5_T6_T7_T9_mT8_P12ihipStream_tbDpT10_ENKUlT_T0_E_clISt17integral_constantIbLb1EES1B_EEDaS16_S17_EUlS16_E_NS1_11comp_targetILNS1_3genE3ELNS1_11target_archE908ELNS1_3gpuE7ELNS1_3repE0EEENS1_30default_config_static_selectorELNS0_4arch9wavefront6targetE0EEEvT1_.has_indirect_call, 0
	.section	.AMDGPU.csdata,"",@progbits
; Kernel info:
; codeLenInByte = 0
; TotalNumSgprs: 0
; NumVgprs: 0
; ScratchSize: 0
; MemoryBound: 0
; FloatMode: 240
; IeeeMode: 1
; LDSByteSize: 0 bytes/workgroup (compile time only)
; SGPRBlocks: 0
; VGPRBlocks: 0
; NumSGPRsForWavesPerEU: 1
; NumVGPRsForWavesPerEU: 1
; Occupancy: 16
; WaveLimiterHint : 0
; COMPUTE_PGM_RSRC2:SCRATCH_EN: 0
; COMPUTE_PGM_RSRC2:USER_SGPR: 2
; COMPUTE_PGM_RSRC2:TRAP_HANDLER: 0
; COMPUTE_PGM_RSRC2:TGID_X_EN: 1
; COMPUTE_PGM_RSRC2:TGID_Y_EN: 0
; COMPUTE_PGM_RSRC2:TGID_Z_EN: 0
; COMPUTE_PGM_RSRC2:TIDIG_COMP_CNT: 0
	.section	.text._ZN7rocprim17ROCPRIM_400000_NS6detail17trampoline_kernelINS0_14default_configENS1_25partition_config_selectorILNS1_17partition_subalgoE5EfNS0_10empty_typeEbEEZZNS1_14partition_implILS5_5ELb0ES3_mN6thrust23THRUST_200600_302600_NS6detail15normal_iteratorINSA_10device_ptrIfEEEEPS6_NSA_18transform_iteratorINSB_9not_fun_tI7is_trueIfEEESF_NSA_11use_defaultESM_EENS0_5tupleIJSF_S6_EEENSO_IJSG_SG_EEES6_PlJS6_EEE10hipError_tPvRmT3_T4_T5_T6_T7_T9_mT8_P12ihipStream_tbDpT10_ENKUlT_T0_E_clISt17integral_constantIbLb1EES1B_EEDaS16_S17_EUlS16_E_NS1_11comp_targetILNS1_3genE2ELNS1_11target_archE906ELNS1_3gpuE6ELNS1_3repE0EEENS1_30default_config_static_selectorELNS0_4arch9wavefront6targetE0EEEvT1_,"axG",@progbits,_ZN7rocprim17ROCPRIM_400000_NS6detail17trampoline_kernelINS0_14default_configENS1_25partition_config_selectorILNS1_17partition_subalgoE5EfNS0_10empty_typeEbEEZZNS1_14partition_implILS5_5ELb0ES3_mN6thrust23THRUST_200600_302600_NS6detail15normal_iteratorINSA_10device_ptrIfEEEEPS6_NSA_18transform_iteratorINSB_9not_fun_tI7is_trueIfEEESF_NSA_11use_defaultESM_EENS0_5tupleIJSF_S6_EEENSO_IJSG_SG_EEES6_PlJS6_EEE10hipError_tPvRmT3_T4_T5_T6_T7_T9_mT8_P12ihipStream_tbDpT10_ENKUlT_T0_E_clISt17integral_constantIbLb1EES1B_EEDaS16_S17_EUlS16_E_NS1_11comp_targetILNS1_3genE2ELNS1_11target_archE906ELNS1_3gpuE6ELNS1_3repE0EEENS1_30default_config_static_selectorELNS0_4arch9wavefront6targetE0EEEvT1_,comdat
	.protected	_ZN7rocprim17ROCPRIM_400000_NS6detail17trampoline_kernelINS0_14default_configENS1_25partition_config_selectorILNS1_17partition_subalgoE5EfNS0_10empty_typeEbEEZZNS1_14partition_implILS5_5ELb0ES3_mN6thrust23THRUST_200600_302600_NS6detail15normal_iteratorINSA_10device_ptrIfEEEEPS6_NSA_18transform_iteratorINSB_9not_fun_tI7is_trueIfEEESF_NSA_11use_defaultESM_EENS0_5tupleIJSF_S6_EEENSO_IJSG_SG_EEES6_PlJS6_EEE10hipError_tPvRmT3_T4_T5_T6_T7_T9_mT8_P12ihipStream_tbDpT10_ENKUlT_T0_E_clISt17integral_constantIbLb1EES1B_EEDaS16_S17_EUlS16_E_NS1_11comp_targetILNS1_3genE2ELNS1_11target_archE906ELNS1_3gpuE6ELNS1_3repE0EEENS1_30default_config_static_selectorELNS0_4arch9wavefront6targetE0EEEvT1_ ; -- Begin function _ZN7rocprim17ROCPRIM_400000_NS6detail17trampoline_kernelINS0_14default_configENS1_25partition_config_selectorILNS1_17partition_subalgoE5EfNS0_10empty_typeEbEEZZNS1_14partition_implILS5_5ELb0ES3_mN6thrust23THRUST_200600_302600_NS6detail15normal_iteratorINSA_10device_ptrIfEEEEPS6_NSA_18transform_iteratorINSB_9not_fun_tI7is_trueIfEEESF_NSA_11use_defaultESM_EENS0_5tupleIJSF_S6_EEENSO_IJSG_SG_EEES6_PlJS6_EEE10hipError_tPvRmT3_T4_T5_T6_T7_T9_mT8_P12ihipStream_tbDpT10_ENKUlT_T0_E_clISt17integral_constantIbLb1EES1B_EEDaS16_S17_EUlS16_E_NS1_11comp_targetILNS1_3genE2ELNS1_11target_archE906ELNS1_3gpuE6ELNS1_3repE0EEENS1_30default_config_static_selectorELNS0_4arch9wavefront6targetE0EEEvT1_
	.globl	_ZN7rocprim17ROCPRIM_400000_NS6detail17trampoline_kernelINS0_14default_configENS1_25partition_config_selectorILNS1_17partition_subalgoE5EfNS0_10empty_typeEbEEZZNS1_14partition_implILS5_5ELb0ES3_mN6thrust23THRUST_200600_302600_NS6detail15normal_iteratorINSA_10device_ptrIfEEEEPS6_NSA_18transform_iteratorINSB_9not_fun_tI7is_trueIfEEESF_NSA_11use_defaultESM_EENS0_5tupleIJSF_S6_EEENSO_IJSG_SG_EEES6_PlJS6_EEE10hipError_tPvRmT3_T4_T5_T6_T7_T9_mT8_P12ihipStream_tbDpT10_ENKUlT_T0_E_clISt17integral_constantIbLb1EES1B_EEDaS16_S17_EUlS16_E_NS1_11comp_targetILNS1_3genE2ELNS1_11target_archE906ELNS1_3gpuE6ELNS1_3repE0EEENS1_30default_config_static_selectorELNS0_4arch9wavefront6targetE0EEEvT1_
	.p2align	8
	.type	_ZN7rocprim17ROCPRIM_400000_NS6detail17trampoline_kernelINS0_14default_configENS1_25partition_config_selectorILNS1_17partition_subalgoE5EfNS0_10empty_typeEbEEZZNS1_14partition_implILS5_5ELb0ES3_mN6thrust23THRUST_200600_302600_NS6detail15normal_iteratorINSA_10device_ptrIfEEEEPS6_NSA_18transform_iteratorINSB_9not_fun_tI7is_trueIfEEESF_NSA_11use_defaultESM_EENS0_5tupleIJSF_S6_EEENSO_IJSG_SG_EEES6_PlJS6_EEE10hipError_tPvRmT3_T4_T5_T6_T7_T9_mT8_P12ihipStream_tbDpT10_ENKUlT_T0_E_clISt17integral_constantIbLb1EES1B_EEDaS16_S17_EUlS16_E_NS1_11comp_targetILNS1_3genE2ELNS1_11target_archE906ELNS1_3gpuE6ELNS1_3repE0EEENS1_30default_config_static_selectorELNS0_4arch9wavefront6targetE0EEEvT1_,@function
_ZN7rocprim17ROCPRIM_400000_NS6detail17trampoline_kernelINS0_14default_configENS1_25partition_config_selectorILNS1_17partition_subalgoE5EfNS0_10empty_typeEbEEZZNS1_14partition_implILS5_5ELb0ES3_mN6thrust23THRUST_200600_302600_NS6detail15normal_iteratorINSA_10device_ptrIfEEEEPS6_NSA_18transform_iteratorINSB_9not_fun_tI7is_trueIfEEESF_NSA_11use_defaultESM_EENS0_5tupleIJSF_S6_EEENSO_IJSG_SG_EEES6_PlJS6_EEE10hipError_tPvRmT3_T4_T5_T6_T7_T9_mT8_P12ihipStream_tbDpT10_ENKUlT_T0_E_clISt17integral_constantIbLb1EES1B_EEDaS16_S17_EUlS16_E_NS1_11comp_targetILNS1_3genE2ELNS1_11target_archE906ELNS1_3gpuE6ELNS1_3repE0EEENS1_30default_config_static_selectorELNS0_4arch9wavefront6targetE0EEEvT1_: ; @_ZN7rocprim17ROCPRIM_400000_NS6detail17trampoline_kernelINS0_14default_configENS1_25partition_config_selectorILNS1_17partition_subalgoE5EfNS0_10empty_typeEbEEZZNS1_14partition_implILS5_5ELb0ES3_mN6thrust23THRUST_200600_302600_NS6detail15normal_iteratorINSA_10device_ptrIfEEEEPS6_NSA_18transform_iteratorINSB_9not_fun_tI7is_trueIfEEESF_NSA_11use_defaultESM_EENS0_5tupleIJSF_S6_EEENSO_IJSG_SG_EEES6_PlJS6_EEE10hipError_tPvRmT3_T4_T5_T6_T7_T9_mT8_P12ihipStream_tbDpT10_ENKUlT_T0_E_clISt17integral_constantIbLb1EES1B_EEDaS16_S17_EUlS16_E_NS1_11comp_targetILNS1_3genE2ELNS1_11target_archE906ELNS1_3gpuE6ELNS1_3repE0EEENS1_30default_config_static_selectorELNS0_4arch9wavefront6targetE0EEEvT1_
; %bb.0:
	.section	.rodata,"a",@progbits
	.p2align	6, 0x0
	.amdhsa_kernel _ZN7rocprim17ROCPRIM_400000_NS6detail17trampoline_kernelINS0_14default_configENS1_25partition_config_selectorILNS1_17partition_subalgoE5EfNS0_10empty_typeEbEEZZNS1_14partition_implILS5_5ELb0ES3_mN6thrust23THRUST_200600_302600_NS6detail15normal_iteratorINSA_10device_ptrIfEEEEPS6_NSA_18transform_iteratorINSB_9not_fun_tI7is_trueIfEEESF_NSA_11use_defaultESM_EENS0_5tupleIJSF_S6_EEENSO_IJSG_SG_EEES6_PlJS6_EEE10hipError_tPvRmT3_T4_T5_T6_T7_T9_mT8_P12ihipStream_tbDpT10_ENKUlT_T0_E_clISt17integral_constantIbLb1EES1B_EEDaS16_S17_EUlS16_E_NS1_11comp_targetILNS1_3genE2ELNS1_11target_archE906ELNS1_3gpuE6ELNS1_3repE0EEENS1_30default_config_static_selectorELNS0_4arch9wavefront6targetE0EEEvT1_
		.amdhsa_group_segment_fixed_size 0
		.amdhsa_private_segment_fixed_size 0
		.amdhsa_kernarg_size 136
		.amdhsa_user_sgpr_count 2
		.amdhsa_user_sgpr_dispatch_ptr 0
		.amdhsa_user_sgpr_queue_ptr 0
		.amdhsa_user_sgpr_kernarg_segment_ptr 1
		.amdhsa_user_sgpr_dispatch_id 0
		.amdhsa_user_sgpr_private_segment_size 0
		.amdhsa_wavefront_size32 1
		.amdhsa_uses_dynamic_stack 0
		.amdhsa_enable_private_segment 0
		.amdhsa_system_sgpr_workgroup_id_x 1
		.amdhsa_system_sgpr_workgroup_id_y 0
		.amdhsa_system_sgpr_workgroup_id_z 0
		.amdhsa_system_sgpr_workgroup_info 0
		.amdhsa_system_vgpr_workitem_id 0
		.amdhsa_next_free_vgpr 1
		.amdhsa_next_free_sgpr 1
		.amdhsa_reserve_vcc 0
		.amdhsa_float_round_mode_32 0
		.amdhsa_float_round_mode_16_64 0
		.amdhsa_float_denorm_mode_32 3
		.amdhsa_float_denorm_mode_16_64 3
		.amdhsa_fp16_overflow 0
		.amdhsa_workgroup_processor_mode 1
		.amdhsa_memory_ordered 1
		.amdhsa_forward_progress 1
		.amdhsa_inst_pref_size 0
		.amdhsa_round_robin_scheduling 0
		.amdhsa_exception_fp_ieee_invalid_op 0
		.amdhsa_exception_fp_denorm_src 0
		.amdhsa_exception_fp_ieee_div_zero 0
		.amdhsa_exception_fp_ieee_overflow 0
		.amdhsa_exception_fp_ieee_underflow 0
		.amdhsa_exception_fp_ieee_inexact 0
		.amdhsa_exception_int_div_zero 0
	.end_amdhsa_kernel
	.section	.text._ZN7rocprim17ROCPRIM_400000_NS6detail17trampoline_kernelINS0_14default_configENS1_25partition_config_selectorILNS1_17partition_subalgoE5EfNS0_10empty_typeEbEEZZNS1_14partition_implILS5_5ELb0ES3_mN6thrust23THRUST_200600_302600_NS6detail15normal_iteratorINSA_10device_ptrIfEEEEPS6_NSA_18transform_iteratorINSB_9not_fun_tI7is_trueIfEEESF_NSA_11use_defaultESM_EENS0_5tupleIJSF_S6_EEENSO_IJSG_SG_EEES6_PlJS6_EEE10hipError_tPvRmT3_T4_T5_T6_T7_T9_mT8_P12ihipStream_tbDpT10_ENKUlT_T0_E_clISt17integral_constantIbLb1EES1B_EEDaS16_S17_EUlS16_E_NS1_11comp_targetILNS1_3genE2ELNS1_11target_archE906ELNS1_3gpuE6ELNS1_3repE0EEENS1_30default_config_static_selectorELNS0_4arch9wavefront6targetE0EEEvT1_,"axG",@progbits,_ZN7rocprim17ROCPRIM_400000_NS6detail17trampoline_kernelINS0_14default_configENS1_25partition_config_selectorILNS1_17partition_subalgoE5EfNS0_10empty_typeEbEEZZNS1_14partition_implILS5_5ELb0ES3_mN6thrust23THRUST_200600_302600_NS6detail15normal_iteratorINSA_10device_ptrIfEEEEPS6_NSA_18transform_iteratorINSB_9not_fun_tI7is_trueIfEEESF_NSA_11use_defaultESM_EENS0_5tupleIJSF_S6_EEENSO_IJSG_SG_EEES6_PlJS6_EEE10hipError_tPvRmT3_T4_T5_T6_T7_T9_mT8_P12ihipStream_tbDpT10_ENKUlT_T0_E_clISt17integral_constantIbLb1EES1B_EEDaS16_S17_EUlS16_E_NS1_11comp_targetILNS1_3genE2ELNS1_11target_archE906ELNS1_3gpuE6ELNS1_3repE0EEENS1_30default_config_static_selectorELNS0_4arch9wavefront6targetE0EEEvT1_,comdat
.Lfunc_end1347:
	.size	_ZN7rocprim17ROCPRIM_400000_NS6detail17trampoline_kernelINS0_14default_configENS1_25partition_config_selectorILNS1_17partition_subalgoE5EfNS0_10empty_typeEbEEZZNS1_14partition_implILS5_5ELb0ES3_mN6thrust23THRUST_200600_302600_NS6detail15normal_iteratorINSA_10device_ptrIfEEEEPS6_NSA_18transform_iteratorINSB_9not_fun_tI7is_trueIfEEESF_NSA_11use_defaultESM_EENS0_5tupleIJSF_S6_EEENSO_IJSG_SG_EEES6_PlJS6_EEE10hipError_tPvRmT3_T4_T5_T6_T7_T9_mT8_P12ihipStream_tbDpT10_ENKUlT_T0_E_clISt17integral_constantIbLb1EES1B_EEDaS16_S17_EUlS16_E_NS1_11comp_targetILNS1_3genE2ELNS1_11target_archE906ELNS1_3gpuE6ELNS1_3repE0EEENS1_30default_config_static_selectorELNS0_4arch9wavefront6targetE0EEEvT1_, .Lfunc_end1347-_ZN7rocprim17ROCPRIM_400000_NS6detail17trampoline_kernelINS0_14default_configENS1_25partition_config_selectorILNS1_17partition_subalgoE5EfNS0_10empty_typeEbEEZZNS1_14partition_implILS5_5ELb0ES3_mN6thrust23THRUST_200600_302600_NS6detail15normal_iteratorINSA_10device_ptrIfEEEEPS6_NSA_18transform_iteratorINSB_9not_fun_tI7is_trueIfEEESF_NSA_11use_defaultESM_EENS0_5tupleIJSF_S6_EEENSO_IJSG_SG_EEES6_PlJS6_EEE10hipError_tPvRmT3_T4_T5_T6_T7_T9_mT8_P12ihipStream_tbDpT10_ENKUlT_T0_E_clISt17integral_constantIbLb1EES1B_EEDaS16_S17_EUlS16_E_NS1_11comp_targetILNS1_3genE2ELNS1_11target_archE906ELNS1_3gpuE6ELNS1_3repE0EEENS1_30default_config_static_selectorELNS0_4arch9wavefront6targetE0EEEvT1_
                                        ; -- End function
	.set _ZN7rocprim17ROCPRIM_400000_NS6detail17trampoline_kernelINS0_14default_configENS1_25partition_config_selectorILNS1_17partition_subalgoE5EfNS0_10empty_typeEbEEZZNS1_14partition_implILS5_5ELb0ES3_mN6thrust23THRUST_200600_302600_NS6detail15normal_iteratorINSA_10device_ptrIfEEEEPS6_NSA_18transform_iteratorINSB_9not_fun_tI7is_trueIfEEESF_NSA_11use_defaultESM_EENS0_5tupleIJSF_S6_EEENSO_IJSG_SG_EEES6_PlJS6_EEE10hipError_tPvRmT3_T4_T5_T6_T7_T9_mT8_P12ihipStream_tbDpT10_ENKUlT_T0_E_clISt17integral_constantIbLb1EES1B_EEDaS16_S17_EUlS16_E_NS1_11comp_targetILNS1_3genE2ELNS1_11target_archE906ELNS1_3gpuE6ELNS1_3repE0EEENS1_30default_config_static_selectorELNS0_4arch9wavefront6targetE0EEEvT1_.num_vgpr, 0
	.set _ZN7rocprim17ROCPRIM_400000_NS6detail17trampoline_kernelINS0_14default_configENS1_25partition_config_selectorILNS1_17partition_subalgoE5EfNS0_10empty_typeEbEEZZNS1_14partition_implILS5_5ELb0ES3_mN6thrust23THRUST_200600_302600_NS6detail15normal_iteratorINSA_10device_ptrIfEEEEPS6_NSA_18transform_iteratorINSB_9not_fun_tI7is_trueIfEEESF_NSA_11use_defaultESM_EENS0_5tupleIJSF_S6_EEENSO_IJSG_SG_EEES6_PlJS6_EEE10hipError_tPvRmT3_T4_T5_T6_T7_T9_mT8_P12ihipStream_tbDpT10_ENKUlT_T0_E_clISt17integral_constantIbLb1EES1B_EEDaS16_S17_EUlS16_E_NS1_11comp_targetILNS1_3genE2ELNS1_11target_archE906ELNS1_3gpuE6ELNS1_3repE0EEENS1_30default_config_static_selectorELNS0_4arch9wavefront6targetE0EEEvT1_.num_agpr, 0
	.set _ZN7rocprim17ROCPRIM_400000_NS6detail17trampoline_kernelINS0_14default_configENS1_25partition_config_selectorILNS1_17partition_subalgoE5EfNS0_10empty_typeEbEEZZNS1_14partition_implILS5_5ELb0ES3_mN6thrust23THRUST_200600_302600_NS6detail15normal_iteratorINSA_10device_ptrIfEEEEPS6_NSA_18transform_iteratorINSB_9not_fun_tI7is_trueIfEEESF_NSA_11use_defaultESM_EENS0_5tupleIJSF_S6_EEENSO_IJSG_SG_EEES6_PlJS6_EEE10hipError_tPvRmT3_T4_T5_T6_T7_T9_mT8_P12ihipStream_tbDpT10_ENKUlT_T0_E_clISt17integral_constantIbLb1EES1B_EEDaS16_S17_EUlS16_E_NS1_11comp_targetILNS1_3genE2ELNS1_11target_archE906ELNS1_3gpuE6ELNS1_3repE0EEENS1_30default_config_static_selectorELNS0_4arch9wavefront6targetE0EEEvT1_.numbered_sgpr, 0
	.set _ZN7rocprim17ROCPRIM_400000_NS6detail17trampoline_kernelINS0_14default_configENS1_25partition_config_selectorILNS1_17partition_subalgoE5EfNS0_10empty_typeEbEEZZNS1_14partition_implILS5_5ELb0ES3_mN6thrust23THRUST_200600_302600_NS6detail15normal_iteratorINSA_10device_ptrIfEEEEPS6_NSA_18transform_iteratorINSB_9not_fun_tI7is_trueIfEEESF_NSA_11use_defaultESM_EENS0_5tupleIJSF_S6_EEENSO_IJSG_SG_EEES6_PlJS6_EEE10hipError_tPvRmT3_T4_T5_T6_T7_T9_mT8_P12ihipStream_tbDpT10_ENKUlT_T0_E_clISt17integral_constantIbLb1EES1B_EEDaS16_S17_EUlS16_E_NS1_11comp_targetILNS1_3genE2ELNS1_11target_archE906ELNS1_3gpuE6ELNS1_3repE0EEENS1_30default_config_static_selectorELNS0_4arch9wavefront6targetE0EEEvT1_.num_named_barrier, 0
	.set _ZN7rocprim17ROCPRIM_400000_NS6detail17trampoline_kernelINS0_14default_configENS1_25partition_config_selectorILNS1_17partition_subalgoE5EfNS0_10empty_typeEbEEZZNS1_14partition_implILS5_5ELb0ES3_mN6thrust23THRUST_200600_302600_NS6detail15normal_iteratorINSA_10device_ptrIfEEEEPS6_NSA_18transform_iteratorINSB_9not_fun_tI7is_trueIfEEESF_NSA_11use_defaultESM_EENS0_5tupleIJSF_S6_EEENSO_IJSG_SG_EEES6_PlJS6_EEE10hipError_tPvRmT3_T4_T5_T6_T7_T9_mT8_P12ihipStream_tbDpT10_ENKUlT_T0_E_clISt17integral_constantIbLb1EES1B_EEDaS16_S17_EUlS16_E_NS1_11comp_targetILNS1_3genE2ELNS1_11target_archE906ELNS1_3gpuE6ELNS1_3repE0EEENS1_30default_config_static_selectorELNS0_4arch9wavefront6targetE0EEEvT1_.private_seg_size, 0
	.set _ZN7rocprim17ROCPRIM_400000_NS6detail17trampoline_kernelINS0_14default_configENS1_25partition_config_selectorILNS1_17partition_subalgoE5EfNS0_10empty_typeEbEEZZNS1_14partition_implILS5_5ELb0ES3_mN6thrust23THRUST_200600_302600_NS6detail15normal_iteratorINSA_10device_ptrIfEEEEPS6_NSA_18transform_iteratorINSB_9not_fun_tI7is_trueIfEEESF_NSA_11use_defaultESM_EENS0_5tupleIJSF_S6_EEENSO_IJSG_SG_EEES6_PlJS6_EEE10hipError_tPvRmT3_T4_T5_T6_T7_T9_mT8_P12ihipStream_tbDpT10_ENKUlT_T0_E_clISt17integral_constantIbLb1EES1B_EEDaS16_S17_EUlS16_E_NS1_11comp_targetILNS1_3genE2ELNS1_11target_archE906ELNS1_3gpuE6ELNS1_3repE0EEENS1_30default_config_static_selectorELNS0_4arch9wavefront6targetE0EEEvT1_.uses_vcc, 0
	.set _ZN7rocprim17ROCPRIM_400000_NS6detail17trampoline_kernelINS0_14default_configENS1_25partition_config_selectorILNS1_17partition_subalgoE5EfNS0_10empty_typeEbEEZZNS1_14partition_implILS5_5ELb0ES3_mN6thrust23THRUST_200600_302600_NS6detail15normal_iteratorINSA_10device_ptrIfEEEEPS6_NSA_18transform_iteratorINSB_9not_fun_tI7is_trueIfEEESF_NSA_11use_defaultESM_EENS0_5tupleIJSF_S6_EEENSO_IJSG_SG_EEES6_PlJS6_EEE10hipError_tPvRmT3_T4_T5_T6_T7_T9_mT8_P12ihipStream_tbDpT10_ENKUlT_T0_E_clISt17integral_constantIbLb1EES1B_EEDaS16_S17_EUlS16_E_NS1_11comp_targetILNS1_3genE2ELNS1_11target_archE906ELNS1_3gpuE6ELNS1_3repE0EEENS1_30default_config_static_selectorELNS0_4arch9wavefront6targetE0EEEvT1_.uses_flat_scratch, 0
	.set _ZN7rocprim17ROCPRIM_400000_NS6detail17trampoline_kernelINS0_14default_configENS1_25partition_config_selectorILNS1_17partition_subalgoE5EfNS0_10empty_typeEbEEZZNS1_14partition_implILS5_5ELb0ES3_mN6thrust23THRUST_200600_302600_NS6detail15normal_iteratorINSA_10device_ptrIfEEEEPS6_NSA_18transform_iteratorINSB_9not_fun_tI7is_trueIfEEESF_NSA_11use_defaultESM_EENS0_5tupleIJSF_S6_EEENSO_IJSG_SG_EEES6_PlJS6_EEE10hipError_tPvRmT3_T4_T5_T6_T7_T9_mT8_P12ihipStream_tbDpT10_ENKUlT_T0_E_clISt17integral_constantIbLb1EES1B_EEDaS16_S17_EUlS16_E_NS1_11comp_targetILNS1_3genE2ELNS1_11target_archE906ELNS1_3gpuE6ELNS1_3repE0EEENS1_30default_config_static_selectorELNS0_4arch9wavefront6targetE0EEEvT1_.has_dyn_sized_stack, 0
	.set _ZN7rocprim17ROCPRIM_400000_NS6detail17trampoline_kernelINS0_14default_configENS1_25partition_config_selectorILNS1_17partition_subalgoE5EfNS0_10empty_typeEbEEZZNS1_14partition_implILS5_5ELb0ES3_mN6thrust23THRUST_200600_302600_NS6detail15normal_iteratorINSA_10device_ptrIfEEEEPS6_NSA_18transform_iteratorINSB_9not_fun_tI7is_trueIfEEESF_NSA_11use_defaultESM_EENS0_5tupleIJSF_S6_EEENSO_IJSG_SG_EEES6_PlJS6_EEE10hipError_tPvRmT3_T4_T5_T6_T7_T9_mT8_P12ihipStream_tbDpT10_ENKUlT_T0_E_clISt17integral_constantIbLb1EES1B_EEDaS16_S17_EUlS16_E_NS1_11comp_targetILNS1_3genE2ELNS1_11target_archE906ELNS1_3gpuE6ELNS1_3repE0EEENS1_30default_config_static_selectorELNS0_4arch9wavefront6targetE0EEEvT1_.has_recursion, 0
	.set _ZN7rocprim17ROCPRIM_400000_NS6detail17trampoline_kernelINS0_14default_configENS1_25partition_config_selectorILNS1_17partition_subalgoE5EfNS0_10empty_typeEbEEZZNS1_14partition_implILS5_5ELb0ES3_mN6thrust23THRUST_200600_302600_NS6detail15normal_iteratorINSA_10device_ptrIfEEEEPS6_NSA_18transform_iteratorINSB_9not_fun_tI7is_trueIfEEESF_NSA_11use_defaultESM_EENS0_5tupleIJSF_S6_EEENSO_IJSG_SG_EEES6_PlJS6_EEE10hipError_tPvRmT3_T4_T5_T6_T7_T9_mT8_P12ihipStream_tbDpT10_ENKUlT_T0_E_clISt17integral_constantIbLb1EES1B_EEDaS16_S17_EUlS16_E_NS1_11comp_targetILNS1_3genE2ELNS1_11target_archE906ELNS1_3gpuE6ELNS1_3repE0EEENS1_30default_config_static_selectorELNS0_4arch9wavefront6targetE0EEEvT1_.has_indirect_call, 0
	.section	.AMDGPU.csdata,"",@progbits
; Kernel info:
; codeLenInByte = 0
; TotalNumSgprs: 0
; NumVgprs: 0
; ScratchSize: 0
; MemoryBound: 0
; FloatMode: 240
; IeeeMode: 1
; LDSByteSize: 0 bytes/workgroup (compile time only)
; SGPRBlocks: 0
; VGPRBlocks: 0
; NumSGPRsForWavesPerEU: 1
; NumVGPRsForWavesPerEU: 1
; Occupancy: 16
; WaveLimiterHint : 0
; COMPUTE_PGM_RSRC2:SCRATCH_EN: 0
; COMPUTE_PGM_RSRC2:USER_SGPR: 2
; COMPUTE_PGM_RSRC2:TRAP_HANDLER: 0
; COMPUTE_PGM_RSRC2:TGID_X_EN: 1
; COMPUTE_PGM_RSRC2:TGID_Y_EN: 0
; COMPUTE_PGM_RSRC2:TGID_Z_EN: 0
; COMPUTE_PGM_RSRC2:TIDIG_COMP_CNT: 0
	.section	.text._ZN7rocprim17ROCPRIM_400000_NS6detail17trampoline_kernelINS0_14default_configENS1_25partition_config_selectorILNS1_17partition_subalgoE5EfNS0_10empty_typeEbEEZZNS1_14partition_implILS5_5ELb0ES3_mN6thrust23THRUST_200600_302600_NS6detail15normal_iteratorINSA_10device_ptrIfEEEEPS6_NSA_18transform_iteratorINSB_9not_fun_tI7is_trueIfEEESF_NSA_11use_defaultESM_EENS0_5tupleIJSF_S6_EEENSO_IJSG_SG_EEES6_PlJS6_EEE10hipError_tPvRmT3_T4_T5_T6_T7_T9_mT8_P12ihipStream_tbDpT10_ENKUlT_T0_E_clISt17integral_constantIbLb1EES1B_EEDaS16_S17_EUlS16_E_NS1_11comp_targetILNS1_3genE10ELNS1_11target_archE1200ELNS1_3gpuE4ELNS1_3repE0EEENS1_30default_config_static_selectorELNS0_4arch9wavefront6targetE0EEEvT1_,"axG",@progbits,_ZN7rocprim17ROCPRIM_400000_NS6detail17trampoline_kernelINS0_14default_configENS1_25partition_config_selectorILNS1_17partition_subalgoE5EfNS0_10empty_typeEbEEZZNS1_14partition_implILS5_5ELb0ES3_mN6thrust23THRUST_200600_302600_NS6detail15normal_iteratorINSA_10device_ptrIfEEEEPS6_NSA_18transform_iteratorINSB_9not_fun_tI7is_trueIfEEESF_NSA_11use_defaultESM_EENS0_5tupleIJSF_S6_EEENSO_IJSG_SG_EEES6_PlJS6_EEE10hipError_tPvRmT3_T4_T5_T6_T7_T9_mT8_P12ihipStream_tbDpT10_ENKUlT_T0_E_clISt17integral_constantIbLb1EES1B_EEDaS16_S17_EUlS16_E_NS1_11comp_targetILNS1_3genE10ELNS1_11target_archE1200ELNS1_3gpuE4ELNS1_3repE0EEENS1_30default_config_static_selectorELNS0_4arch9wavefront6targetE0EEEvT1_,comdat
	.protected	_ZN7rocprim17ROCPRIM_400000_NS6detail17trampoline_kernelINS0_14default_configENS1_25partition_config_selectorILNS1_17partition_subalgoE5EfNS0_10empty_typeEbEEZZNS1_14partition_implILS5_5ELb0ES3_mN6thrust23THRUST_200600_302600_NS6detail15normal_iteratorINSA_10device_ptrIfEEEEPS6_NSA_18transform_iteratorINSB_9not_fun_tI7is_trueIfEEESF_NSA_11use_defaultESM_EENS0_5tupleIJSF_S6_EEENSO_IJSG_SG_EEES6_PlJS6_EEE10hipError_tPvRmT3_T4_T5_T6_T7_T9_mT8_P12ihipStream_tbDpT10_ENKUlT_T0_E_clISt17integral_constantIbLb1EES1B_EEDaS16_S17_EUlS16_E_NS1_11comp_targetILNS1_3genE10ELNS1_11target_archE1200ELNS1_3gpuE4ELNS1_3repE0EEENS1_30default_config_static_selectorELNS0_4arch9wavefront6targetE0EEEvT1_ ; -- Begin function _ZN7rocprim17ROCPRIM_400000_NS6detail17trampoline_kernelINS0_14default_configENS1_25partition_config_selectorILNS1_17partition_subalgoE5EfNS0_10empty_typeEbEEZZNS1_14partition_implILS5_5ELb0ES3_mN6thrust23THRUST_200600_302600_NS6detail15normal_iteratorINSA_10device_ptrIfEEEEPS6_NSA_18transform_iteratorINSB_9not_fun_tI7is_trueIfEEESF_NSA_11use_defaultESM_EENS0_5tupleIJSF_S6_EEENSO_IJSG_SG_EEES6_PlJS6_EEE10hipError_tPvRmT3_T4_T5_T6_T7_T9_mT8_P12ihipStream_tbDpT10_ENKUlT_T0_E_clISt17integral_constantIbLb1EES1B_EEDaS16_S17_EUlS16_E_NS1_11comp_targetILNS1_3genE10ELNS1_11target_archE1200ELNS1_3gpuE4ELNS1_3repE0EEENS1_30default_config_static_selectorELNS0_4arch9wavefront6targetE0EEEvT1_
	.globl	_ZN7rocprim17ROCPRIM_400000_NS6detail17trampoline_kernelINS0_14default_configENS1_25partition_config_selectorILNS1_17partition_subalgoE5EfNS0_10empty_typeEbEEZZNS1_14partition_implILS5_5ELb0ES3_mN6thrust23THRUST_200600_302600_NS6detail15normal_iteratorINSA_10device_ptrIfEEEEPS6_NSA_18transform_iteratorINSB_9not_fun_tI7is_trueIfEEESF_NSA_11use_defaultESM_EENS0_5tupleIJSF_S6_EEENSO_IJSG_SG_EEES6_PlJS6_EEE10hipError_tPvRmT3_T4_T5_T6_T7_T9_mT8_P12ihipStream_tbDpT10_ENKUlT_T0_E_clISt17integral_constantIbLb1EES1B_EEDaS16_S17_EUlS16_E_NS1_11comp_targetILNS1_3genE10ELNS1_11target_archE1200ELNS1_3gpuE4ELNS1_3repE0EEENS1_30default_config_static_selectorELNS0_4arch9wavefront6targetE0EEEvT1_
	.p2align	8
	.type	_ZN7rocprim17ROCPRIM_400000_NS6detail17trampoline_kernelINS0_14default_configENS1_25partition_config_selectorILNS1_17partition_subalgoE5EfNS0_10empty_typeEbEEZZNS1_14partition_implILS5_5ELb0ES3_mN6thrust23THRUST_200600_302600_NS6detail15normal_iteratorINSA_10device_ptrIfEEEEPS6_NSA_18transform_iteratorINSB_9not_fun_tI7is_trueIfEEESF_NSA_11use_defaultESM_EENS0_5tupleIJSF_S6_EEENSO_IJSG_SG_EEES6_PlJS6_EEE10hipError_tPvRmT3_T4_T5_T6_T7_T9_mT8_P12ihipStream_tbDpT10_ENKUlT_T0_E_clISt17integral_constantIbLb1EES1B_EEDaS16_S17_EUlS16_E_NS1_11comp_targetILNS1_3genE10ELNS1_11target_archE1200ELNS1_3gpuE4ELNS1_3repE0EEENS1_30default_config_static_selectorELNS0_4arch9wavefront6targetE0EEEvT1_,@function
_ZN7rocprim17ROCPRIM_400000_NS6detail17trampoline_kernelINS0_14default_configENS1_25partition_config_selectorILNS1_17partition_subalgoE5EfNS0_10empty_typeEbEEZZNS1_14partition_implILS5_5ELb0ES3_mN6thrust23THRUST_200600_302600_NS6detail15normal_iteratorINSA_10device_ptrIfEEEEPS6_NSA_18transform_iteratorINSB_9not_fun_tI7is_trueIfEEESF_NSA_11use_defaultESM_EENS0_5tupleIJSF_S6_EEENSO_IJSG_SG_EEES6_PlJS6_EEE10hipError_tPvRmT3_T4_T5_T6_T7_T9_mT8_P12ihipStream_tbDpT10_ENKUlT_T0_E_clISt17integral_constantIbLb1EES1B_EEDaS16_S17_EUlS16_E_NS1_11comp_targetILNS1_3genE10ELNS1_11target_archE1200ELNS1_3gpuE4ELNS1_3repE0EEENS1_30default_config_static_selectorELNS0_4arch9wavefront6targetE0EEEvT1_: ; @_ZN7rocprim17ROCPRIM_400000_NS6detail17trampoline_kernelINS0_14default_configENS1_25partition_config_selectorILNS1_17partition_subalgoE5EfNS0_10empty_typeEbEEZZNS1_14partition_implILS5_5ELb0ES3_mN6thrust23THRUST_200600_302600_NS6detail15normal_iteratorINSA_10device_ptrIfEEEEPS6_NSA_18transform_iteratorINSB_9not_fun_tI7is_trueIfEEESF_NSA_11use_defaultESM_EENS0_5tupleIJSF_S6_EEENSO_IJSG_SG_EEES6_PlJS6_EEE10hipError_tPvRmT3_T4_T5_T6_T7_T9_mT8_P12ihipStream_tbDpT10_ENKUlT_T0_E_clISt17integral_constantIbLb1EES1B_EEDaS16_S17_EUlS16_E_NS1_11comp_targetILNS1_3genE10ELNS1_11target_archE1200ELNS1_3gpuE4ELNS1_3repE0EEENS1_30default_config_static_selectorELNS0_4arch9wavefront6targetE0EEEvT1_
; %bb.0:
	s_endpgm
	.section	.rodata,"a",@progbits
	.p2align	6, 0x0
	.amdhsa_kernel _ZN7rocprim17ROCPRIM_400000_NS6detail17trampoline_kernelINS0_14default_configENS1_25partition_config_selectorILNS1_17partition_subalgoE5EfNS0_10empty_typeEbEEZZNS1_14partition_implILS5_5ELb0ES3_mN6thrust23THRUST_200600_302600_NS6detail15normal_iteratorINSA_10device_ptrIfEEEEPS6_NSA_18transform_iteratorINSB_9not_fun_tI7is_trueIfEEESF_NSA_11use_defaultESM_EENS0_5tupleIJSF_S6_EEENSO_IJSG_SG_EEES6_PlJS6_EEE10hipError_tPvRmT3_T4_T5_T6_T7_T9_mT8_P12ihipStream_tbDpT10_ENKUlT_T0_E_clISt17integral_constantIbLb1EES1B_EEDaS16_S17_EUlS16_E_NS1_11comp_targetILNS1_3genE10ELNS1_11target_archE1200ELNS1_3gpuE4ELNS1_3repE0EEENS1_30default_config_static_selectorELNS0_4arch9wavefront6targetE0EEEvT1_
		.amdhsa_group_segment_fixed_size 0
		.amdhsa_private_segment_fixed_size 0
		.amdhsa_kernarg_size 136
		.amdhsa_user_sgpr_count 2
		.amdhsa_user_sgpr_dispatch_ptr 0
		.amdhsa_user_sgpr_queue_ptr 0
		.amdhsa_user_sgpr_kernarg_segment_ptr 1
		.amdhsa_user_sgpr_dispatch_id 0
		.amdhsa_user_sgpr_private_segment_size 0
		.amdhsa_wavefront_size32 1
		.amdhsa_uses_dynamic_stack 0
		.amdhsa_enable_private_segment 0
		.amdhsa_system_sgpr_workgroup_id_x 1
		.amdhsa_system_sgpr_workgroup_id_y 0
		.amdhsa_system_sgpr_workgroup_id_z 0
		.amdhsa_system_sgpr_workgroup_info 0
		.amdhsa_system_vgpr_workitem_id 0
		.amdhsa_next_free_vgpr 1
		.amdhsa_next_free_sgpr 1
		.amdhsa_reserve_vcc 0
		.amdhsa_float_round_mode_32 0
		.amdhsa_float_round_mode_16_64 0
		.amdhsa_float_denorm_mode_32 3
		.amdhsa_float_denorm_mode_16_64 3
		.amdhsa_fp16_overflow 0
		.amdhsa_workgroup_processor_mode 1
		.amdhsa_memory_ordered 1
		.amdhsa_forward_progress 1
		.amdhsa_inst_pref_size 1
		.amdhsa_round_robin_scheduling 0
		.amdhsa_exception_fp_ieee_invalid_op 0
		.amdhsa_exception_fp_denorm_src 0
		.amdhsa_exception_fp_ieee_div_zero 0
		.amdhsa_exception_fp_ieee_overflow 0
		.amdhsa_exception_fp_ieee_underflow 0
		.amdhsa_exception_fp_ieee_inexact 0
		.amdhsa_exception_int_div_zero 0
	.end_amdhsa_kernel
	.section	.text._ZN7rocprim17ROCPRIM_400000_NS6detail17trampoline_kernelINS0_14default_configENS1_25partition_config_selectorILNS1_17partition_subalgoE5EfNS0_10empty_typeEbEEZZNS1_14partition_implILS5_5ELb0ES3_mN6thrust23THRUST_200600_302600_NS6detail15normal_iteratorINSA_10device_ptrIfEEEEPS6_NSA_18transform_iteratorINSB_9not_fun_tI7is_trueIfEEESF_NSA_11use_defaultESM_EENS0_5tupleIJSF_S6_EEENSO_IJSG_SG_EEES6_PlJS6_EEE10hipError_tPvRmT3_T4_T5_T6_T7_T9_mT8_P12ihipStream_tbDpT10_ENKUlT_T0_E_clISt17integral_constantIbLb1EES1B_EEDaS16_S17_EUlS16_E_NS1_11comp_targetILNS1_3genE10ELNS1_11target_archE1200ELNS1_3gpuE4ELNS1_3repE0EEENS1_30default_config_static_selectorELNS0_4arch9wavefront6targetE0EEEvT1_,"axG",@progbits,_ZN7rocprim17ROCPRIM_400000_NS6detail17trampoline_kernelINS0_14default_configENS1_25partition_config_selectorILNS1_17partition_subalgoE5EfNS0_10empty_typeEbEEZZNS1_14partition_implILS5_5ELb0ES3_mN6thrust23THRUST_200600_302600_NS6detail15normal_iteratorINSA_10device_ptrIfEEEEPS6_NSA_18transform_iteratorINSB_9not_fun_tI7is_trueIfEEESF_NSA_11use_defaultESM_EENS0_5tupleIJSF_S6_EEENSO_IJSG_SG_EEES6_PlJS6_EEE10hipError_tPvRmT3_T4_T5_T6_T7_T9_mT8_P12ihipStream_tbDpT10_ENKUlT_T0_E_clISt17integral_constantIbLb1EES1B_EEDaS16_S17_EUlS16_E_NS1_11comp_targetILNS1_3genE10ELNS1_11target_archE1200ELNS1_3gpuE4ELNS1_3repE0EEENS1_30default_config_static_selectorELNS0_4arch9wavefront6targetE0EEEvT1_,comdat
.Lfunc_end1348:
	.size	_ZN7rocprim17ROCPRIM_400000_NS6detail17trampoline_kernelINS0_14default_configENS1_25partition_config_selectorILNS1_17partition_subalgoE5EfNS0_10empty_typeEbEEZZNS1_14partition_implILS5_5ELb0ES3_mN6thrust23THRUST_200600_302600_NS6detail15normal_iteratorINSA_10device_ptrIfEEEEPS6_NSA_18transform_iteratorINSB_9not_fun_tI7is_trueIfEEESF_NSA_11use_defaultESM_EENS0_5tupleIJSF_S6_EEENSO_IJSG_SG_EEES6_PlJS6_EEE10hipError_tPvRmT3_T4_T5_T6_T7_T9_mT8_P12ihipStream_tbDpT10_ENKUlT_T0_E_clISt17integral_constantIbLb1EES1B_EEDaS16_S17_EUlS16_E_NS1_11comp_targetILNS1_3genE10ELNS1_11target_archE1200ELNS1_3gpuE4ELNS1_3repE0EEENS1_30default_config_static_selectorELNS0_4arch9wavefront6targetE0EEEvT1_, .Lfunc_end1348-_ZN7rocprim17ROCPRIM_400000_NS6detail17trampoline_kernelINS0_14default_configENS1_25partition_config_selectorILNS1_17partition_subalgoE5EfNS0_10empty_typeEbEEZZNS1_14partition_implILS5_5ELb0ES3_mN6thrust23THRUST_200600_302600_NS6detail15normal_iteratorINSA_10device_ptrIfEEEEPS6_NSA_18transform_iteratorINSB_9not_fun_tI7is_trueIfEEESF_NSA_11use_defaultESM_EENS0_5tupleIJSF_S6_EEENSO_IJSG_SG_EEES6_PlJS6_EEE10hipError_tPvRmT3_T4_T5_T6_T7_T9_mT8_P12ihipStream_tbDpT10_ENKUlT_T0_E_clISt17integral_constantIbLb1EES1B_EEDaS16_S17_EUlS16_E_NS1_11comp_targetILNS1_3genE10ELNS1_11target_archE1200ELNS1_3gpuE4ELNS1_3repE0EEENS1_30default_config_static_selectorELNS0_4arch9wavefront6targetE0EEEvT1_
                                        ; -- End function
	.set _ZN7rocprim17ROCPRIM_400000_NS6detail17trampoline_kernelINS0_14default_configENS1_25partition_config_selectorILNS1_17partition_subalgoE5EfNS0_10empty_typeEbEEZZNS1_14partition_implILS5_5ELb0ES3_mN6thrust23THRUST_200600_302600_NS6detail15normal_iteratorINSA_10device_ptrIfEEEEPS6_NSA_18transform_iteratorINSB_9not_fun_tI7is_trueIfEEESF_NSA_11use_defaultESM_EENS0_5tupleIJSF_S6_EEENSO_IJSG_SG_EEES6_PlJS6_EEE10hipError_tPvRmT3_T4_T5_T6_T7_T9_mT8_P12ihipStream_tbDpT10_ENKUlT_T0_E_clISt17integral_constantIbLb1EES1B_EEDaS16_S17_EUlS16_E_NS1_11comp_targetILNS1_3genE10ELNS1_11target_archE1200ELNS1_3gpuE4ELNS1_3repE0EEENS1_30default_config_static_selectorELNS0_4arch9wavefront6targetE0EEEvT1_.num_vgpr, 0
	.set _ZN7rocprim17ROCPRIM_400000_NS6detail17trampoline_kernelINS0_14default_configENS1_25partition_config_selectorILNS1_17partition_subalgoE5EfNS0_10empty_typeEbEEZZNS1_14partition_implILS5_5ELb0ES3_mN6thrust23THRUST_200600_302600_NS6detail15normal_iteratorINSA_10device_ptrIfEEEEPS6_NSA_18transform_iteratorINSB_9not_fun_tI7is_trueIfEEESF_NSA_11use_defaultESM_EENS0_5tupleIJSF_S6_EEENSO_IJSG_SG_EEES6_PlJS6_EEE10hipError_tPvRmT3_T4_T5_T6_T7_T9_mT8_P12ihipStream_tbDpT10_ENKUlT_T0_E_clISt17integral_constantIbLb1EES1B_EEDaS16_S17_EUlS16_E_NS1_11comp_targetILNS1_3genE10ELNS1_11target_archE1200ELNS1_3gpuE4ELNS1_3repE0EEENS1_30default_config_static_selectorELNS0_4arch9wavefront6targetE0EEEvT1_.num_agpr, 0
	.set _ZN7rocprim17ROCPRIM_400000_NS6detail17trampoline_kernelINS0_14default_configENS1_25partition_config_selectorILNS1_17partition_subalgoE5EfNS0_10empty_typeEbEEZZNS1_14partition_implILS5_5ELb0ES3_mN6thrust23THRUST_200600_302600_NS6detail15normal_iteratorINSA_10device_ptrIfEEEEPS6_NSA_18transform_iteratorINSB_9not_fun_tI7is_trueIfEEESF_NSA_11use_defaultESM_EENS0_5tupleIJSF_S6_EEENSO_IJSG_SG_EEES6_PlJS6_EEE10hipError_tPvRmT3_T4_T5_T6_T7_T9_mT8_P12ihipStream_tbDpT10_ENKUlT_T0_E_clISt17integral_constantIbLb1EES1B_EEDaS16_S17_EUlS16_E_NS1_11comp_targetILNS1_3genE10ELNS1_11target_archE1200ELNS1_3gpuE4ELNS1_3repE0EEENS1_30default_config_static_selectorELNS0_4arch9wavefront6targetE0EEEvT1_.numbered_sgpr, 0
	.set _ZN7rocprim17ROCPRIM_400000_NS6detail17trampoline_kernelINS0_14default_configENS1_25partition_config_selectorILNS1_17partition_subalgoE5EfNS0_10empty_typeEbEEZZNS1_14partition_implILS5_5ELb0ES3_mN6thrust23THRUST_200600_302600_NS6detail15normal_iteratorINSA_10device_ptrIfEEEEPS6_NSA_18transform_iteratorINSB_9not_fun_tI7is_trueIfEEESF_NSA_11use_defaultESM_EENS0_5tupleIJSF_S6_EEENSO_IJSG_SG_EEES6_PlJS6_EEE10hipError_tPvRmT3_T4_T5_T6_T7_T9_mT8_P12ihipStream_tbDpT10_ENKUlT_T0_E_clISt17integral_constantIbLb1EES1B_EEDaS16_S17_EUlS16_E_NS1_11comp_targetILNS1_3genE10ELNS1_11target_archE1200ELNS1_3gpuE4ELNS1_3repE0EEENS1_30default_config_static_selectorELNS0_4arch9wavefront6targetE0EEEvT1_.num_named_barrier, 0
	.set _ZN7rocprim17ROCPRIM_400000_NS6detail17trampoline_kernelINS0_14default_configENS1_25partition_config_selectorILNS1_17partition_subalgoE5EfNS0_10empty_typeEbEEZZNS1_14partition_implILS5_5ELb0ES3_mN6thrust23THRUST_200600_302600_NS6detail15normal_iteratorINSA_10device_ptrIfEEEEPS6_NSA_18transform_iteratorINSB_9not_fun_tI7is_trueIfEEESF_NSA_11use_defaultESM_EENS0_5tupleIJSF_S6_EEENSO_IJSG_SG_EEES6_PlJS6_EEE10hipError_tPvRmT3_T4_T5_T6_T7_T9_mT8_P12ihipStream_tbDpT10_ENKUlT_T0_E_clISt17integral_constantIbLb1EES1B_EEDaS16_S17_EUlS16_E_NS1_11comp_targetILNS1_3genE10ELNS1_11target_archE1200ELNS1_3gpuE4ELNS1_3repE0EEENS1_30default_config_static_selectorELNS0_4arch9wavefront6targetE0EEEvT1_.private_seg_size, 0
	.set _ZN7rocprim17ROCPRIM_400000_NS6detail17trampoline_kernelINS0_14default_configENS1_25partition_config_selectorILNS1_17partition_subalgoE5EfNS0_10empty_typeEbEEZZNS1_14partition_implILS5_5ELb0ES3_mN6thrust23THRUST_200600_302600_NS6detail15normal_iteratorINSA_10device_ptrIfEEEEPS6_NSA_18transform_iteratorINSB_9not_fun_tI7is_trueIfEEESF_NSA_11use_defaultESM_EENS0_5tupleIJSF_S6_EEENSO_IJSG_SG_EEES6_PlJS6_EEE10hipError_tPvRmT3_T4_T5_T6_T7_T9_mT8_P12ihipStream_tbDpT10_ENKUlT_T0_E_clISt17integral_constantIbLb1EES1B_EEDaS16_S17_EUlS16_E_NS1_11comp_targetILNS1_3genE10ELNS1_11target_archE1200ELNS1_3gpuE4ELNS1_3repE0EEENS1_30default_config_static_selectorELNS0_4arch9wavefront6targetE0EEEvT1_.uses_vcc, 0
	.set _ZN7rocprim17ROCPRIM_400000_NS6detail17trampoline_kernelINS0_14default_configENS1_25partition_config_selectorILNS1_17partition_subalgoE5EfNS0_10empty_typeEbEEZZNS1_14partition_implILS5_5ELb0ES3_mN6thrust23THRUST_200600_302600_NS6detail15normal_iteratorINSA_10device_ptrIfEEEEPS6_NSA_18transform_iteratorINSB_9not_fun_tI7is_trueIfEEESF_NSA_11use_defaultESM_EENS0_5tupleIJSF_S6_EEENSO_IJSG_SG_EEES6_PlJS6_EEE10hipError_tPvRmT3_T4_T5_T6_T7_T9_mT8_P12ihipStream_tbDpT10_ENKUlT_T0_E_clISt17integral_constantIbLb1EES1B_EEDaS16_S17_EUlS16_E_NS1_11comp_targetILNS1_3genE10ELNS1_11target_archE1200ELNS1_3gpuE4ELNS1_3repE0EEENS1_30default_config_static_selectorELNS0_4arch9wavefront6targetE0EEEvT1_.uses_flat_scratch, 0
	.set _ZN7rocprim17ROCPRIM_400000_NS6detail17trampoline_kernelINS0_14default_configENS1_25partition_config_selectorILNS1_17partition_subalgoE5EfNS0_10empty_typeEbEEZZNS1_14partition_implILS5_5ELb0ES3_mN6thrust23THRUST_200600_302600_NS6detail15normal_iteratorINSA_10device_ptrIfEEEEPS6_NSA_18transform_iteratorINSB_9not_fun_tI7is_trueIfEEESF_NSA_11use_defaultESM_EENS0_5tupleIJSF_S6_EEENSO_IJSG_SG_EEES6_PlJS6_EEE10hipError_tPvRmT3_T4_T5_T6_T7_T9_mT8_P12ihipStream_tbDpT10_ENKUlT_T0_E_clISt17integral_constantIbLb1EES1B_EEDaS16_S17_EUlS16_E_NS1_11comp_targetILNS1_3genE10ELNS1_11target_archE1200ELNS1_3gpuE4ELNS1_3repE0EEENS1_30default_config_static_selectorELNS0_4arch9wavefront6targetE0EEEvT1_.has_dyn_sized_stack, 0
	.set _ZN7rocprim17ROCPRIM_400000_NS6detail17trampoline_kernelINS0_14default_configENS1_25partition_config_selectorILNS1_17partition_subalgoE5EfNS0_10empty_typeEbEEZZNS1_14partition_implILS5_5ELb0ES3_mN6thrust23THRUST_200600_302600_NS6detail15normal_iteratorINSA_10device_ptrIfEEEEPS6_NSA_18transform_iteratorINSB_9not_fun_tI7is_trueIfEEESF_NSA_11use_defaultESM_EENS0_5tupleIJSF_S6_EEENSO_IJSG_SG_EEES6_PlJS6_EEE10hipError_tPvRmT3_T4_T5_T6_T7_T9_mT8_P12ihipStream_tbDpT10_ENKUlT_T0_E_clISt17integral_constantIbLb1EES1B_EEDaS16_S17_EUlS16_E_NS1_11comp_targetILNS1_3genE10ELNS1_11target_archE1200ELNS1_3gpuE4ELNS1_3repE0EEENS1_30default_config_static_selectorELNS0_4arch9wavefront6targetE0EEEvT1_.has_recursion, 0
	.set _ZN7rocprim17ROCPRIM_400000_NS6detail17trampoline_kernelINS0_14default_configENS1_25partition_config_selectorILNS1_17partition_subalgoE5EfNS0_10empty_typeEbEEZZNS1_14partition_implILS5_5ELb0ES3_mN6thrust23THRUST_200600_302600_NS6detail15normal_iteratorINSA_10device_ptrIfEEEEPS6_NSA_18transform_iteratorINSB_9not_fun_tI7is_trueIfEEESF_NSA_11use_defaultESM_EENS0_5tupleIJSF_S6_EEENSO_IJSG_SG_EEES6_PlJS6_EEE10hipError_tPvRmT3_T4_T5_T6_T7_T9_mT8_P12ihipStream_tbDpT10_ENKUlT_T0_E_clISt17integral_constantIbLb1EES1B_EEDaS16_S17_EUlS16_E_NS1_11comp_targetILNS1_3genE10ELNS1_11target_archE1200ELNS1_3gpuE4ELNS1_3repE0EEENS1_30default_config_static_selectorELNS0_4arch9wavefront6targetE0EEEvT1_.has_indirect_call, 0
	.section	.AMDGPU.csdata,"",@progbits
; Kernel info:
; codeLenInByte = 4
; TotalNumSgprs: 0
; NumVgprs: 0
; ScratchSize: 0
; MemoryBound: 0
; FloatMode: 240
; IeeeMode: 1
; LDSByteSize: 0 bytes/workgroup (compile time only)
; SGPRBlocks: 0
; VGPRBlocks: 0
; NumSGPRsForWavesPerEU: 1
; NumVGPRsForWavesPerEU: 1
; Occupancy: 16
; WaveLimiterHint : 0
; COMPUTE_PGM_RSRC2:SCRATCH_EN: 0
; COMPUTE_PGM_RSRC2:USER_SGPR: 2
; COMPUTE_PGM_RSRC2:TRAP_HANDLER: 0
; COMPUTE_PGM_RSRC2:TGID_X_EN: 1
; COMPUTE_PGM_RSRC2:TGID_Y_EN: 0
; COMPUTE_PGM_RSRC2:TGID_Z_EN: 0
; COMPUTE_PGM_RSRC2:TIDIG_COMP_CNT: 0
	.section	.text._ZN7rocprim17ROCPRIM_400000_NS6detail17trampoline_kernelINS0_14default_configENS1_25partition_config_selectorILNS1_17partition_subalgoE5EfNS0_10empty_typeEbEEZZNS1_14partition_implILS5_5ELb0ES3_mN6thrust23THRUST_200600_302600_NS6detail15normal_iteratorINSA_10device_ptrIfEEEEPS6_NSA_18transform_iteratorINSB_9not_fun_tI7is_trueIfEEESF_NSA_11use_defaultESM_EENS0_5tupleIJSF_S6_EEENSO_IJSG_SG_EEES6_PlJS6_EEE10hipError_tPvRmT3_T4_T5_T6_T7_T9_mT8_P12ihipStream_tbDpT10_ENKUlT_T0_E_clISt17integral_constantIbLb1EES1B_EEDaS16_S17_EUlS16_E_NS1_11comp_targetILNS1_3genE9ELNS1_11target_archE1100ELNS1_3gpuE3ELNS1_3repE0EEENS1_30default_config_static_selectorELNS0_4arch9wavefront6targetE0EEEvT1_,"axG",@progbits,_ZN7rocprim17ROCPRIM_400000_NS6detail17trampoline_kernelINS0_14default_configENS1_25partition_config_selectorILNS1_17partition_subalgoE5EfNS0_10empty_typeEbEEZZNS1_14partition_implILS5_5ELb0ES3_mN6thrust23THRUST_200600_302600_NS6detail15normal_iteratorINSA_10device_ptrIfEEEEPS6_NSA_18transform_iteratorINSB_9not_fun_tI7is_trueIfEEESF_NSA_11use_defaultESM_EENS0_5tupleIJSF_S6_EEENSO_IJSG_SG_EEES6_PlJS6_EEE10hipError_tPvRmT3_T4_T5_T6_T7_T9_mT8_P12ihipStream_tbDpT10_ENKUlT_T0_E_clISt17integral_constantIbLb1EES1B_EEDaS16_S17_EUlS16_E_NS1_11comp_targetILNS1_3genE9ELNS1_11target_archE1100ELNS1_3gpuE3ELNS1_3repE0EEENS1_30default_config_static_selectorELNS0_4arch9wavefront6targetE0EEEvT1_,comdat
	.protected	_ZN7rocprim17ROCPRIM_400000_NS6detail17trampoline_kernelINS0_14default_configENS1_25partition_config_selectorILNS1_17partition_subalgoE5EfNS0_10empty_typeEbEEZZNS1_14partition_implILS5_5ELb0ES3_mN6thrust23THRUST_200600_302600_NS6detail15normal_iteratorINSA_10device_ptrIfEEEEPS6_NSA_18transform_iteratorINSB_9not_fun_tI7is_trueIfEEESF_NSA_11use_defaultESM_EENS0_5tupleIJSF_S6_EEENSO_IJSG_SG_EEES6_PlJS6_EEE10hipError_tPvRmT3_T4_T5_T6_T7_T9_mT8_P12ihipStream_tbDpT10_ENKUlT_T0_E_clISt17integral_constantIbLb1EES1B_EEDaS16_S17_EUlS16_E_NS1_11comp_targetILNS1_3genE9ELNS1_11target_archE1100ELNS1_3gpuE3ELNS1_3repE0EEENS1_30default_config_static_selectorELNS0_4arch9wavefront6targetE0EEEvT1_ ; -- Begin function _ZN7rocprim17ROCPRIM_400000_NS6detail17trampoline_kernelINS0_14default_configENS1_25partition_config_selectorILNS1_17partition_subalgoE5EfNS0_10empty_typeEbEEZZNS1_14partition_implILS5_5ELb0ES3_mN6thrust23THRUST_200600_302600_NS6detail15normal_iteratorINSA_10device_ptrIfEEEEPS6_NSA_18transform_iteratorINSB_9not_fun_tI7is_trueIfEEESF_NSA_11use_defaultESM_EENS0_5tupleIJSF_S6_EEENSO_IJSG_SG_EEES6_PlJS6_EEE10hipError_tPvRmT3_T4_T5_T6_T7_T9_mT8_P12ihipStream_tbDpT10_ENKUlT_T0_E_clISt17integral_constantIbLb1EES1B_EEDaS16_S17_EUlS16_E_NS1_11comp_targetILNS1_3genE9ELNS1_11target_archE1100ELNS1_3gpuE3ELNS1_3repE0EEENS1_30default_config_static_selectorELNS0_4arch9wavefront6targetE0EEEvT1_
	.globl	_ZN7rocprim17ROCPRIM_400000_NS6detail17trampoline_kernelINS0_14default_configENS1_25partition_config_selectorILNS1_17partition_subalgoE5EfNS0_10empty_typeEbEEZZNS1_14partition_implILS5_5ELb0ES3_mN6thrust23THRUST_200600_302600_NS6detail15normal_iteratorINSA_10device_ptrIfEEEEPS6_NSA_18transform_iteratorINSB_9not_fun_tI7is_trueIfEEESF_NSA_11use_defaultESM_EENS0_5tupleIJSF_S6_EEENSO_IJSG_SG_EEES6_PlJS6_EEE10hipError_tPvRmT3_T4_T5_T6_T7_T9_mT8_P12ihipStream_tbDpT10_ENKUlT_T0_E_clISt17integral_constantIbLb1EES1B_EEDaS16_S17_EUlS16_E_NS1_11comp_targetILNS1_3genE9ELNS1_11target_archE1100ELNS1_3gpuE3ELNS1_3repE0EEENS1_30default_config_static_selectorELNS0_4arch9wavefront6targetE0EEEvT1_
	.p2align	8
	.type	_ZN7rocprim17ROCPRIM_400000_NS6detail17trampoline_kernelINS0_14default_configENS1_25partition_config_selectorILNS1_17partition_subalgoE5EfNS0_10empty_typeEbEEZZNS1_14partition_implILS5_5ELb0ES3_mN6thrust23THRUST_200600_302600_NS6detail15normal_iteratorINSA_10device_ptrIfEEEEPS6_NSA_18transform_iteratorINSB_9not_fun_tI7is_trueIfEEESF_NSA_11use_defaultESM_EENS0_5tupleIJSF_S6_EEENSO_IJSG_SG_EEES6_PlJS6_EEE10hipError_tPvRmT3_T4_T5_T6_T7_T9_mT8_P12ihipStream_tbDpT10_ENKUlT_T0_E_clISt17integral_constantIbLb1EES1B_EEDaS16_S17_EUlS16_E_NS1_11comp_targetILNS1_3genE9ELNS1_11target_archE1100ELNS1_3gpuE3ELNS1_3repE0EEENS1_30default_config_static_selectorELNS0_4arch9wavefront6targetE0EEEvT1_,@function
_ZN7rocprim17ROCPRIM_400000_NS6detail17trampoline_kernelINS0_14default_configENS1_25partition_config_selectorILNS1_17partition_subalgoE5EfNS0_10empty_typeEbEEZZNS1_14partition_implILS5_5ELb0ES3_mN6thrust23THRUST_200600_302600_NS6detail15normal_iteratorINSA_10device_ptrIfEEEEPS6_NSA_18transform_iteratorINSB_9not_fun_tI7is_trueIfEEESF_NSA_11use_defaultESM_EENS0_5tupleIJSF_S6_EEENSO_IJSG_SG_EEES6_PlJS6_EEE10hipError_tPvRmT3_T4_T5_T6_T7_T9_mT8_P12ihipStream_tbDpT10_ENKUlT_T0_E_clISt17integral_constantIbLb1EES1B_EEDaS16_S17_EUlS16_E_NS1_11comp_targetILNS1_3genE9ELNS1_11target_archE1100ELNS1_3gpuE3ELNS1_3repE0EEENS1_30default_config_static_selectorELNS0_4arch9wavefront6targetE0EEEvT1_: ; @_ZN7rocprim17ROCPRIM_400000_NS6detail17trampoline_kernelINS0_14default_configENS1_25partition_config_selectorILNS1_17partition_subalgoE5EfNS0_10empty_typeEbEEZZNS1_14partition_implILS5_5ELb0ES3_mN6thrust23THRUST_200600_302600_NS6detail15normal_iteratorINSA_10device_ptrIfEEEEPS6_NSA_18transform_iteratorINSB_9not_fun_tI7is_trueIfEEESF_NSA_11use_defaultESM_EENS0_5tupleIJSF_S6_EEENSO_IJSG_SG_EEES6_PlJS6_EEE10hipError_tPvRmT3_T4_T5_T6_T7_T9_mT8_P12ihipStream_tbDpT10_ENKUlT_T0_E_clISt17integral_constantIbLb1EES1B_EEDaS16_S17_EUlS16_E_NS1_11comp_targetILNS1_3genE9ELNS1_11target_archE1100ELNS1_3gpuE3ELNS1_3repE0EEENS1_30default_config_static_selectorELNS0_4arch9wavefront6targetE0EEEvT1_
; %bb.0:
	.section	.rodata,"a",@progbits
	.p2align	6, 0x0
	.amdhsa_kernel _ZN7rocprim17ROCPRIM_400000_NS6detail17trampoline_kernelINS0_14default_configENS1_25partition_config_selectorILNS1_17partition_subalgoE5EfNS0_10empty_typeEbEEZZNS1_14partition_implILS5_5ELb0ES3_mN6thrust23THRUST_200600_302600_NS6detail15normal_iteratorINSA_10device_ptrIfEEEEPS6_NSA_18transform_iteratorINSB_9not_fun_tI7is_trueIfEEESF_NSA_11use_defaultESM_EENS0_5tupleIJSF_S6_EEENSO_IJSG_SG_EEES6_PlJS6_EEE10hipError_tPvRmT3_T4_T5_T6_T7_T9_mT8_P12ihipStream_tbDpT10_ENKUlT_T0_E_clISt17integral_constantIbLb1EES1B_EEDaS16_S17_EUlS16_E_NS1_11comp_targetILNS1_3genE9ELNS1_11target_archE1100ELNS1_3gpuE3ELNS1_3repE0EEENS1_30default_config_static_selectorELNS0_4arch9wavefront6targetE0EEEvT1_
		.amdhsa_group_segment_fixed_size 0
		.amdhsa_private_segment_fixed_size 0
		.amdhsa_kernarg_size 136
		.amdhsa_user_sgpr_count 2
		.amdhsa_user_sgpr_dispatch_ptr 0
		.amdhsa_user_sgpr_queue_ptr 0
		.amdhsa_user_sgpr_kernarg_segment_ptr 1
		.amdhsa_user_sgpr_dispatch_id 0
		.amdhsa_user_sgpr_private_segment_size 0
		.amdhsa_wavefront_size32 1
		.amdhsa_uses_dynamic_stack 0
		.amdhsa_enable_private_segment 0
		.amdhsa_system_sgpr_workgroup_id_x 1
		.amdhsa_system_sgpr_workgroup_id_y 0
		.amdhsa_system_sgpr_workgroup_id_z 0
		.amdhsa_system_sgpr_workgroup_info 0
		.amdhsa_system_vgpr_workitem_id 0
		.amdhsa_next_free_vgpr 1
		.amdhsa_next_free_sgpr 1
		.amdhsa_reserve_vcc 0
		.amdhsa_float_round_mode_32 0
		.amdhsa_float_round_mode_16_64 0
		.amdhsa_float_denorm_mode_32 3
		.amdhsa_float_denorm_mode_16_64 3
		.amdhsa_fp16_overflow 0
		.amdhsa_workgroup_processor_mode 1
		.amdhsa_memory_ordered 1
		.amdhsa_forward_progress 1
		.amdhsa_inst_pref_size 0
		.amdhsa_round_robin_scheduling 0
		.amdhsa_exception_fp_ieee_invalid_op 0
		.amdhsa_exception_fp_denorm_src 0
		.amdhsa_exception_fp_ieee_div_zero 0
		.amdhsa_exception_fp_ieee_overflow 0
		.amdhsa_exception_fp_ieee_underflow 0
		.amdhsa_exception_fp_ieee_inexact 0
		.amdhsa_exception_int_div_zero 0
	.end_amdhsa_kernel
	.section	.text._ZN7rocprim17ROCPRIM_400000_NS6detail17trampoline_kernelINS0_14default_configENS1_25partition_config_selectorILNS1_17partition_subalgoE5EfNS0_10empty_typeEbEEZZNS1_14partition_implILS5_5ELb0ES3_mN6thrust23THRUST_200600_302600_NS6detail15normal_iteratorINSA_10device_ptrIfEEEEPS6_NSA_18transform_iteratorINSB_9not_fun_tI7is_trueIfEEESF_NSA_11use_defaultESM_EENS0_5tupleIJSF_S6_EEENSO_IJSG_SG_EEES6_PlJS6_EEE10hipError_tPvRmT3_T4_T5_T6_T7_T9_mT8_P12ihipStream_tbDpT10_ENKUlT_T0_E_clISt17integral_constantIbLb1EES1B_EEDaS16_S17_EUlS16_E_NS1_11comp_targetILNS1_3genE9ELNS1_11target_archE1100ELNS1_3gpuE3ELNS1_3repE0EEENS1_30default_config_static_selectorELNS0_4arch9wavefront6targetE0EEEvT1_,"axG",@progbits,_ZN7rocprim17ROCPRIM_400000_NS6detail17trampoline_kernelINS0_14default_configENS1_25partition_config_selectorILNS1_17partition_subalgoE5EfNS0_10empty_typeEbEEZZNS1_14partition_implILS5_5ELb0ES3_mN6thrust23THRUST_200600_302600_NS6detail15normal_iteratorINSA_10device_ptrIfEEEEPS6_NSA_18transform_iteratorINSB_9not_fun_tI7is_trueIfEEESF_NSA_11use_defaultESM_EENS0_5tupleIJSF_S6_EEENSO_IJSG_SG_EEES6_PlJS6_EEE10hipError_tPvRmT3_T4_T5_T6_T7_T9_mT8_P12ihipStream_tbDpT10_ENKUlT_T0_E_clISt17integral_constantIbLb1EES1B_EEDaS16_S17_EUlS16_E_NS1_11comp_targetILNS1_3genE9ELNS1_11target_archE1100ELNS1_3gpuE3ELNS1_3repE0EEENS1_30default_config_static_selectorELNS0_4arch9wavefront6targetE0EEEvT1_,comdat
.Lfunc_end1349:
	.size	_ZN7rocprim17ROCPRIM_400000_NS6detail17trampoline_kernelINS0_14default_configENS1_25partition_config_selectorILNS1_17partition_subalgoE5EfNS0_10empty_typeEbEEZZNS1_14partition_implILS5_5ELb0ES3_mN6thrust23THRUST_200600_302600_NS6detail15normal_iteratorINSA_10device_ptrIfEEEEPS6_NSA_18transform_iteratorINSB_9not_fun_tI7is_trueIfEEESF_NSA_11use_defaultESM_EENS0_5tupleIJSF_S6_EEENSO_IJSG_SG_EEES6_PlJS6_EEE10hipError_tPvRmT3_T4_T5_T6_T7_T9_mT8_P12ihipStream_tbDpT10_ENKUlT_T0_E_clISt17integral_constantIbLb1EES1B_EEDaS16_S17_EUlS16_E_NS1_11comp_targetILNS1_3genE9ELNS1_11target_archE1100ELNS1_3gpuE3ELNS1_3repE0EEENS1_30default_config_static_selectorELNS0_4arch9wavefront6targetE0EEEvT1_, .Lfunc_end1349-_ZN7rocprim17ROCPRIM_400000_NS6detail17trampoline_kernelINS0_14default_configENS1_25partition_config_selectorILNS1_17partition_subalgoE5EfNS0_10empty_typeEbEEZZNS1_14partition_implILS5_5ELb0ES3_mN6thrust23THRUST_200600_302600_NS6detail15normal_iteratorINSA_10device_ptrIfEEEEPS6_NSA_18transform_iteratorINSB_9not_fun_tI7is_trueIfEEESF_NSA_11use_defaultESM_EENS0_5tupleIJSF_S6_EEENSO_IJSG_SG_EEES6_PlJS6_EEE10hipError_tPvRmT3_T4_T5_T6_T7_T9_mT8_P12ihipStream_tbDpT10_ENKUlT_T0_E_clISt17integral_constantIbLb1EES1B_EEDaS16_S17_EUlS16_E_NS1_11comp_targetILNS1_3genE9ELNS1_11target_archE1100ELNS1_3gpuE3ELNS1_3repE0EEENS1_30default_config_static_selectorELNS0_4arch9wavefront6targetE0EEEvT1_
                                        ; -- End function
	.set _ZN7rocprim17ROCPRIM_400000_NS6detail17trampoline_kernelINS0_14default_configENS1_25partition_config_selectorILNS1_17partition_subalgoE5EfNS0_10empty_typeEbEEZZNS1_14partition_implILS5_5ELb0ES3_mN6thrust23THRUST_200600_302600_NS6detail15normal_iteratorINSA_10device_ptrIfEEEEPS6_NSA_18transform_iteratorINSB_9not_fun_tI7is_trueIfEEESF_NSA_11use_defaultESM_EENS0_5tupleIJSF_S6_EEENSO_IJSG_SG_EEES6_PlJS6_EEE10hipError_tPvRmT3_T4_T5_T6_T7_T9_mT8_P12ihipStream_tbDpT10_ENKUlT_T0_E_clISt17integral_constantIbLb1EES1B_EEDaS16_S17_EUlS16_E_NS1_11comp_targetILNS1_3genE9ELNS1_11target_archE1100ELNS1_3gpuE3ELNS1_3repE0EEENS1_30default_config_static_selectorELNS0_4arch9wavefront6targetE0EEEvT1_.num_vgpr, 0
	.set _ZN7rocprim17ROCPRIM_400000_NS6detail17trampoline_kernelINS0_14default_configENS1_25partition_config_selectorILNS1_17partition_subalgoE5EfNS0_10empty_typeEbEEZZNS1_14partition_implILS5_5ELb0ES3_mN6thrust23THRUST_200600_302600_NS6detail15normal_iteratorINSA_10device_ptrIfEEEEPS6_NSA_18transform_iteratorINSB_9not_fun_tI7is_trueIfEEESF_NSA_11use_defaultESM_EENS0_5tupleIJSF_S6_EEENSO_IJSG_SG_EEES6_PlJS6_EEE10hipError_tPvRmT3_T4_T5_T6_T7_T9_mT8_P12ihipStream_tbDpT10_ENKUlT_T0_E_clISt17integral_constantIbLb1EES1B_EEDaS16_S17_EUlS16_E_NS1_11comp_targetILNS1_3genE9ELNS1_11target_archE1100ELNS1_3gpuE3ELNS1_3repE0EEENS1_30default_config_static_selectorELNS0_4arch9wavefront6targetE0EEEvT1_.num_agpr, 0
	.set _ZN7rocprim17ROCPRIM_400000_NS6detail17trampoline_kernelINS0_14default_configENS1_25partition_config_selectorILNS1_17partition_subalgoE5EfNS0_10empty_typeEbEEZZNS1_14partition_implILS5_5ELb0ES3_mN6thrust23THRUST_200600_302600_NS6detail15normal_iteratorINSA_10device_ptrIfEEEEPS6_NSA_18transform_iteratorINSB_9not_fun_tI7is_trueIfEEESF_NSA_11use_defaultESM_EENS0_5tupleIJSF_S6_EEENSO_IJSG_SG_EEES6_PlJS6_EEE10hipError_tPvRmT3_T4_T5_T6_T7_T9_mT8_P12ihipStream_tbDpT10_ENKUlT_T0_E_clISt17integral_constantIbLb1EES1B_EEDaS16_S17_EUlS16_E_NS1_11comp_targetILNS1_3genE9ELNS1_11target_archE1100ELNS1_3gpuE3ELNS1_3repE0EEENS1_30default_config_static_selectorELNS0_4arch9wavefront6targetE0EEEvT1_.numbered_sgpr, 0
	.set _ZN7rocprim17ROCPRIM_400000_NS6detail17trampoline_kernelINS0_14default_configENS1_25partition_config_selectorILNS1_17partition_subalgoE5EfNS0_10empty_typeEbEEZZNS1_14partition_implILS5_5ELb0ES3_mN6thrust23THRUST_200600_302600_NS6detail15normal_iteratorINSA_10device_ptrIfEEEEPS6_NSA_18transform_iteratorINSB_9not_fun_tI7is_trueIfEEESF_NSA_11use_defaultESM_EENS0_5tupleIJSF_S6_EEENSO_IJSG_SG_EEES6_PlJS6_EEE10hipError_tPvRmT3_T4_T5_T6_T7_T9_mT8_P12ihipStream_tbDpT10_ENKUlT_T0_E_clISt17integral_constantIbLb1EES1B_EEDaS16_S17_EUlS16_E_NS1_11comp_targetILNS1_3genE9ELNS1_11target_archE1100ELNS1_3gpuE3ELNS1_3repE0EEENS1_30default_config_static_selectorELNS0_4arch9wavefront6targetE0EEEvT1_.num_named_barrier, 0
	.set _ZN7rocprim17ROCPRIM_400000_NS6detail17trampoline_kernelINS0_14default_configENS1_25partition_config_selectorILNS1_17partition_subalgoE5EfNS0_10empty_typeEbEEZZNS1_14partition_implILS5_5ELb0ES3_mN6thrust23THRUST_200600_302600_NS6detail15normal_iteratorINSA_10device_ptrIfEEEEPS6_NSA_18transform_iteratorINSB_9not_fun_tI7is_trueIfEEESF_NSA_11use_defaultESM_EENS0_5tupleIJSF_S6_EEENSO_IJSG_SG_EEES6_PlJS6_EEE10hipError_tPvRmT3_T4_T5_T6_T7_T9_mT8_P12ihipStream_tbDpT10_ENKUlT_T0_E_clISt17integral_constantIbLb1EES1B_EEDaS16_S17_EUlS16_E_NS1_11comp_targetILNS1_3genE9ELNS1_11target_archE1100ELNS1_3gpuE3ELNS1_3repE0EEENS1_30default_config_static_selectorELNS0_4arch9wavefront6targetE0EEEvT1_.private_seg_size, 0
	.set _ZN7rocprim17ROCPRIM_400000_NS6detail17trampoline_kernelINS0_14default_configENS1_25partition_config_selectorILNS1_17partition_subalgoE5EfNS0_10empty_typeEbEEZZNS1_14partition_implILS5_5ELb0ES3_mN6thrust23THRUST_200600_302600_NS6detail15normal_iteratorINSA_10device_ptrIfEEEEPS6_NSA_18transform_iteratorINSB_9not_fun_tI7is_trueIfEEESF_NSA_11use_defaultESM_EENS0_5tupleIJSF_S6_EEENSO_IJSG_SG_EEES6_PlJS6_EEE10hipError_tPvRmT3_T4_T5_T6_T7_T9_mT8_P12ihipStream_tbDpT10_ENKUlT_T0_E_clISt17integral_constantIbLb1EES1B_EEDaS16_S17_EUlS16_E_NS1_11comp_targetILNS1_3genE9ELNS1_11target_archE1100ELNS1_3gpuE3ELNS1_3repE0EEENS1_30default_config_static_selectorELNS0_4arch9wavefront6targetE0EEEvT1_.uses_vcc, 0
	.set _ZN7rocprim17ROCPRIM_400000_NS6detail17trampoline_kernelINS0_14default_configENS1_25partition_config_selectorILNS1_17partition_subalgoE5EfNS0_10empty_typeEbEEZZNS1_14partition_implILS5_5ELb0ES3_mN6thrust23THRUST_200600_302600_NS6detail15normal_iteratorINSA_10device_ptrIfEEEEPS6_NSA_18transform_iteratorINSB_9not_fun_tI7is_trueIfEEESF_NSA_11use_defaultESM_EENS0_5tupleIJSF_S6_EEENSO_IJSG_SG_EEES6_PlJS6_EEE10hipError_tPvRmT3_T4_T5_T6_T7_T9_mT8_P12ihipStream_tbDpT10_ENKUlT_T0_E_clISt17integral_constantIbLb1EES1B_EEDaS16_S17_EUlS16_E_NS1_11comp_targetILNS1_3genE9ELNS1_11target_archE1100ELNS1_3gpuE3ELNS1_3repE0EEENS1_30default_config_static_selectorELNS0_4arch9wavefront6targetE0EEEvT1_.uses_flat_scratch, 0
	.set _ZN7rocprim17ROCPRIM_400000_NS6detail17trampoline_kernelINS0_14default_configENS1_25partition_config_selectorILNS1_17partition_subalgoE5EfNS0_10empty_typeEbEEZZNS1_14partition_implILS5_5ELb0ES3_mN6thrust23THRUST_200600_302600_NS6detail15normal_iteratorINSA_10device_ptrIfEEEEPS6_NSA_18transform_iteratorINSB_9not_fun_tI7is_trueIfEEESF_NSA_11use_defaultESM_EENS0_5tupleIJSF_S6_EEENSO_IJSG_SG_EEES6_PlJS6_EEE10hipError_tPvRmT3_T4_T5_T6_T7_T9_mT8_P12ihipStream_tbDpT10_ENKUlT_T0_E_clISt17integral_constantIbLb1EES1B_EEDaS16_S17_EUlS16_E_NS1_11comp_targetILNS1_3genE9ELNS1_11target_archE1100ELNS1_3gpuE3ELNS1_3repE0EEENS1_30default_config_static_selectorELNS0_4arch9wavefront6targetE0EEEvT1_.has_dyn_sized_stack, 0
	.set _ZN7rocprim17ROCPRIM_400000_NS6detail17trampoline_kernelINS0_14default_configENS1_25partition_config_selectorILNS1_17partition_subalgoE5EfNS0_10empty_typeEbEEZZNS1_14partition_implILS5_5ELb0ES3_mN6thrust23THRUST_200600_302600_NS6detail15normal_iteratorINSA_10device_ptrIfEEEEPS6_NSA_18transform_iteratorINSB_9not_fun_tI7is_trueIfEEESF_NSA_11use_defaultESM_EENS0_5tupleIJSF_S6_EEENSO_IJSG_SG_EEES6_PlJS6_EEE10hipError_tPvRmT3_T4_T5_T6_T7_T9_mT8_P12ihipStream_tbDpT10_ENKUlT_T0_E_clISt17integral_constantIbLb1EES1B_EEDaS16_S17_EUlS16_E_NS1_11comp_targetILNS1_3genE9ELNS1_11target_archE1100ELNS1_3gpuE3ELNS1_3repE0EEENS1_30default_config_static_selectorELNS0_4arch9wavefront6targetE0EEEvT1_.has_recursion, 0
	.set _ZN7rocprim17ROCPRIM_400000_NS6detail17trampoline_kernelINS0_14default_configENS1_25partition_config_selectorILNS1_17partition_subalgoE5EfNS0_10empty_typeEbEEZZNS1_14partition_implILS5_5ELb0ES3_mN6thrust23THRUST_200600_302600_NS6detail15normal_iteratorINSA_10device_ptrIfEEEEPS6_NSA_18transform_iteratorINSB_9not_fun_tI7is_trueIfEEESF_NSA_11use_defaultESM_EENS0_5tupleIJSF_S6_EEENSO_IJSG_SG_EEES6_PlJS6_EEE10hipError_tPvRmT3_T4_T5_T6_T7_T9_mT8_P12ihipStream_tbDpT10_ENKUlT_T0_E_clISt17integral_constantIbLb1EES1B_EEDaS16_S17_EUlS16_E_NS1_11comp_targetILNS1_3genE9ELNS1_11target_archE1100ELNS1_3gpuE3ELNS1_3repE0EEENS1_30default_config_static_selectorELNS0_4arch9wavefront6targetE0EEEvT1_.has_indirect_call, 0
	.section	.AMDGPU.csdata,"",@progbits
; Kernel info:
; codeLenInByte = 0
; TotalNumSgprs: 0
; NumVgprs: 0
; ScratchSize: 0
; MemoryBound: 0
; FloatMode: 240
; IeeeMode: 1
; LDSByteSize: 0 bytes/workgroup (compile time only)
; SGPRBlocks: 0
; VGPRBlocks: 0
; NumSGPRsForWavesPerEU: 1
; NumVGPRsForWavesPerEU: 1
; Occupancy: 16
; WaveLimiterHint : 0
; COMPUTE_PGM_RSRC2:SCRATCH_EN: 0
; COMPUTE_PGM_RSRC2:USER_SGPR: 2
; COMPUTE_PGM_RSRC2:TRAP_HANDLER: 0
; COMPUTE_PGM_RSRC2:TGID_X_EN: 1
; COMPUTE_PGM_RSRC2:TGID_Y_EN: 0
; COMPUTE_PGM_RSRC2:TGID_Z_EN: 0
; COMPUTE_PGM_RSRC2:TIDIG_COMP_CNT: 0
	.section	.text._ZN7rocprim17ROCPRIM_400000_NS6detail17trampoline_kernelINS0_14default_configENS1_25partition_config_selectorILNS1_17partition_subalgoE5EfNS0_10empty_typeEbEEZZNS1_14partition_implILS5_5ELb0ES3_mN6thrust23THRUST_200600_302600_NS6detail15normal_iteratorINSA_10device_ptrIfEEEEPS6_NSA_18transform_iteratorINSB_9not_fun_tI7is_trueIfEEESF_NSA_11use_defaultESM_EENS0_5tupleIJSF_S6_EEENSO_IJSG_SG_EEES6_PlJS6_EEE10hipError_tPvRmT3_T4_T5_T6_T7_T9_mT8_P12ihipStream_tbDpT10_ENKUlT_T0_E_clISt17integral_constantIbLb1EES1B_EEDaS16_S17_EUlS16_E_NS1_11comp_targetILNS1_3genE8ELNS1_11target_archE1030ELNS1_3gpuE2ELNS1_3repE0EEENS1_30default_config_static_selectorELNS0_4arch9wavefront6targetE0EEEvT1_,"axG",@progbits,_ZN7rocprim17ROCPRIM_400000_NS6detail17trampoline_kernelINS0_14default_configENS1_25partition_config_selectorILNS1_17partition_subalgoE5EfNS0_10empty_typeEbEEZZNS1_14partition_implILS5_5ELb0ES3_mN6thrust23THRUST_200600_302600_NS6detail15normal_iteratorINSA_10device_ptrIfEEEEPS6_NSA_18transform_iteratorINSB_9not_fun_tI7is_trueIfEEESF_NSA_11use_defaultESM_EENS0_5tupleIJSF_S6_EEENSO_IJSG_SG_EEES6_PlJS6_EEE10hipError_tPvRmT3_T4_T5_T6_T7_T9_mT8_P12ihipStream_tbDpT10_ENKUlT_T0_E_clISt17integral_constantIbLb1EES1B_EEDaS16_S17_EUlS16_E_NS1_11comp_targetILNS1_3genE8ELNS1_11target_archE1030ELNS1_3gpuE2ELNS1_3repE0EEENS1_30default_config_static_selectorELNS0_4arch9wavefront6targetE0EEEvT1_,comdat
	.protected	_ZN7rocprim17ROCPRIM_400000_NS6detail17trampoline_kernelINS0_14default_configENS1_25partition_config_selectorILNS1_17partition_subalgoE5EfNS0_10empty_typeEbEEZZNS1_14partition_implILS5_5ELb0ES3_mN6thrust23THRUST_200600_302600_NS6detail15normal_iteratorINSA_10device_ptrIfEEEEPS6_NSA_18transform_iteratorINSB_9not_fun_tI7is_trueIfEEESF_NSA_11use_defaultESM_EENS0_5tupleIJSF_S6_EEENSO_IJSG_SG_EEES6_PlJS6_EEE10hipError_tPvRmT3_T4_T5_T6_T7_T9_mT8_P12ihipStream_tbDpT10_ENKUlT_T0_E_clISt17integral_constantIbLb1EES1B_EEDaS16_S17_EUlS16_E_NS1_11comp_targetILNS1_3genE8ELNS1_11target_archE1030ELNS1_3gpuE2ELNS1_3repE0EEENS1_30default_config_static_selectorELNS0_4arch9wavefront6targetE0EEEvT1_ ; -- Begin function _ZN7rocprim17ROCPRIM_400000_NS6detail17trampoline_kernelINS0_14default_configENS1_25partition_config_selectorILNS1_17partition_subalgoE5EfNS0_10empty_typeEbEEZZNS1_14partition_implILS5_5ELb0ES3_mN6thrust23THRUST_200600_302600_NS6detail15normal_iteratorINSA_10device_ptrIfEEEEPS6_NSA_18transform_iteratorINSB_9not_fun_tI7is_trueIfEEESF_NSA_11use_defaultESM_EENS0_5tupleIJSF_S6_EEENSO_IJSG_SG_EEES6_PlJS6_EEE10hipError_tPvRmT3_T4_T5_T6_T7_T9_mT8_P12ihipStream_tbDpT10_ENKUlT_T0_E_clISt17integral_constantIbLb1EES1B_EEDaS16_S17_EUlS16_E_NS1_11comp_targetILNS1_3genE8ELNS1_11target_archE1030ELNS1_3gpuE2ELNS1_3repE0EEENS1_30default_config_static_selectorELNS0_4arch9wavefront6targetE0EEEvT1_
	.globl	_ZN7rocprim17ROCPRIM_400000_NS6detail17trampoline_kernelINS0_14default_configENS1_25partition_config_selectorILNS1_17partition_subalgoE5EfNS0_10empty_typeEbEEZZNS1_14partition_implILS5_5ELb0ES3_mN6thrust23THRUST_200600_302600_NS6detail15normal_iteratorINSA_10device_ptrIfEEEEPS6_NSA_18transform_iteratorINSB_9not_fun_tI7is_trueIfEEESF_NSA_11use_defaultESM_EENS0_5tupleIJSF_S6_EEENSO_IJSG_SG_EEES6_PlJS6_EEE10hipError_tPvRmT3_T4_T5_T6_T7_T9_mT8_P12ihipStream_tbDpT10_ENKUlT_T0_E_clISt17integral_constantIbLb1EES1B_EEDaS16_S17_EUlS16_E_NS1_11comp_targetILNS1_3genE8ELNS1_11target_archE1030ELNS1_3gpuE2ELNS1_3repE0EEENS1_30default_config_static_selectorELNS0_4arch9wavefront6targetE0EEEvT1_
	.p2align	8
	.type	_ZN7rocprim17ROCPRIM_400000_NS6detail17trampoline_kernelINS0_14default_configENS1_25partition_config_selectorILNS1_17partition_subalgoE5EfNS0_10empty_typeEbEEZZNS1_14partition_implILS5_5ELb0ES3_mN6thrust23THRUST_200600_302600_NS6detail15normal_iteratorINSA_10device_ptrIfEEEEPS6_NSA_18transform_iteratorINSB_9not_fun_tI7is_trueIfEEESF_NSA_11use_defaultESM_EENS0_5tupleIJSF_S6_EEENSO_IJSG_SG_EEES6_PlJS6_EEE10hipError_tPvRmT3_T4_T5_T6_T7_T9_mT8_P12ihipStream_tbDpT10_ENKUlT_T0_E_clISt17integral_constantIbLb1EES1B_EEDaS16_S17_EUlS16_E_NS1_11comp_targetILNS1_3genE8ELNS1_11target_archE1030ELNS1_3gpuE2ELNS1_3repE0EEENS1_30default_config_static_selectorELNS0_4arch9wavefront6targetE0EEEvT1_,@function
_ZN7rocprim17ROCPRIM_400000_NS6detail17trampoline_kernelINS0_14default_configENS1_25partition_config_selectorILNS1_17partition_subalgoE5EfNS0_10empty_typeEbEEZZNS1_14partition_implILS5_5ELb0ES3_mN6thrust23THRUST_200600_302600_NS6detail15normal_iteratorINSA_10device_ptrIfEEEEPS6_NSA_18transform_iteratorINSB_9not_fun_tI7is_trueIfEEESF_NSA_11use_defaultESM_EENS0_5tupleIJSF_S6_EEENSO_IJSG_SG_EEES6_PlJS6_EEE10hipError_tPvRmT3_T4_T5_T6_T7_T9_mT8_P12ihipStream_tbDpT10_ENKUlT_T0_E_clISt17integral_constantIbLb1EES1B_EEDaS16_S17_EUlS16_E_NS1_11comp_targetILNS1_3genE8ELNS1_11target_archE1030ELNS1_3gpuE2ELNS1_3repE0EEENS1_30default_config_static_selectorELNS0_4arch9wavefront6targetE0EEEvT1_: ; @_ZN7rocprim17ROCPRIM_400000_NS6detail17trampoline_kernelINS0_14default_configENS1_25partition_config_selectorILNS1_17partition_subalgoE5EfNS0_10empty_typeEbEEZZNS1_14partition_implILS5_5ELb0ES3_mN6thrust23THRUST_200600_302600_NS6detail15normal_iteratorINSA_10device_ptrIfEEEEPS6_NSA_18transform_iteratorINSB_9not_fun_tI7is_trueIfEEESF_NSA_11use_defaultESM_EENS0_5tupleIJSF_S6_EEENSO_IJSG_SG_EEES6_PlJS6_EEE10hipError_tPvRmT3_T4_T5_T6_T7_T9_mT8_P12ihipStream_tbDpT10_ENKUlT_T0_E_clISt17integral_constantIbLb1EES1B_EEDaS16_S17_EUlS16_E_NS1_11comp_targetILNS1_3genE8ELNS1_11target_archE1030ELNS1_3gpuE2ELNS1_3repE0EEENS1_30default_config_static_selectorELNS0_4arch9wavefront6targetE0EEEvT1_
; %bb.0:
	.section	.rodata,"a",@progbits
	.p2align	6, 0x0
	.amdhsa_kernel _ZN7rocprim17ROCPRIM_400000_NS6detail17trampoline_kernelINS0_14default_configENS1_25partition_config_selectorILNS1_17partition_subalgoE5EfNS0_10empty_typeEbEEZZNS1_14partition_implILS5_5ELb0ES3_mN6thrust23THRUST_200600_302600_NS6detail15normal_iteratorINSA_10device_ptrIfEEEEPS6_NSA_18transform_iteratorINSB_9not_fun_tI7is_trueIfEEESF_NSA_11use_defaultESM_EENS0_5tupleIJSF_S6_EEENSO_IJSG_SG_EEES6_PlJS6_EEE10hipError_tPvRmT3_T4_T5_T6_T7_T9_mT8_P12ihipStream_tbDpT10_ENKUlT_T0_E_clISt17integral_constantIbLb1EES1B_EEDaS16_S17_EUlS16_E_NS1_11comp_targetILNS1_3genE8ELNS1_11target_archE1030ELNS1_3gpuE2ELNS1_3repE0EEENS1_30default_config_static_selectorELNS0_4arch9wavefront6targetE0EEEvT1_
		.amdhsa_group_segment_fixed_size 0
		.amdhsa_private_segment_fixed_size 0
		.amdhsa_kernarg_size 136
		.amdhsa_user_sgpr_count 2
		.amdhsa_user_sgpr_dispatch_ptr 0
		.amdhsa_user_sgpr_queue_ptr 0
		.amdhsa_user_sgpr_kernarg_segment_ptr 1
		.amdhsa_user_sgpr_dispatch_id 0
		.amdhsa_user_sgpr_private_segment_size 0
		.amdhsa_wavefront_size32 1
		.amdhsa_uses_dynamic_stack 0
		.amdhsa_enable_private_segment 0
		.amdhsa_system_sgpr_workgroup_id_x 1
		.amdhsa_system_sgpr_workgroup_id_y 0
		.amdhsa_system_sgpr_workgroup_id_z 0
		.amdhsa_system_sgpr_workgroup_info 0
		.amdhsa_system_vgpr_workitem_id 0
		.amdhsa_next_free_vgpr 1
		.amdhsa_next_free_sgpr 1
		.amdhsa_reserve_vcc 0
		.amdhsa_float_round_mode_32 0
		.amdhsa_float_round_mode_16_64 0
		.amdhsa_float_denorm_mode_32 3
		.amdhsa_float_denorm_mode_16_64 3
		.amdhsa_fp16_overflow 0
		.amdhsa_workgroup_processor_mode 1
		.amdhsa_memory_ordered 1
		.amdhsa_forward_progress 1
		.amdhsa_inst_pref_size 0
		.amdhsa_round_robin_scheduling 0
		.amdhsa_exception_fp_ieee_invalid_op 0
		.amdhsa_exception_fp_denorm_src 0
		.amdhsa_exception_fp_ieee_div_zero 0
		.amdhsa_exception_fp_ieee_overflow 0
		.amdhsa_exception_fp_ieee_underflow 0
		.amdhsa_exception_fp_ieee_inexact 0
		.amdhsa_exception_int_div_zero 0
	.end_amdhsa_kernel
	.section	.text._ZN7rocprim17ROCPRIM_400000_NS6detail17trampoline_kernelINS0_14default_configENS1_25partition_config_selectorILNS1_17partition_subalgoE5EfNS0_10empty_typeEbEEZZNS1_14partition_implILS5_5ELb0ES3_mN6thrust23THRUST_200600_302600_NS6detail15normal_iteratorINSA_10device_ptrIfEEEEPS6_NSA_18transform_iteratorINSB_9not_fun_tI7is_trueIfEEESF_NSA_11use_defaultESM_EENS0_5tupleIJSF_S6_EEENSO_IJSG_SG_EEES6_PlJS6_EEE10hipError_tPvRmT3_T4_T5_T6_T7_T9_mT8_P12ihipStream_tbDpT10_ENKUlT_T0_E_clISt17integral_constantIbLb1EES1B_EEDaS16_S17_EUlS16_E_NS1_11comp_targetILNS1_3genE8ELNS1_11target_archE1030ELNS1_3gpuE2ELNS1_3repE0EEENS1_30default_config_static_selectorELNS0_4arch9wavefront6targetE0EEEvT1_,"axG",@progbits,_ZN7rocprim17ROCPRIM_400000_NS6detail17trampoline_kernelINS0_14default_configENS1_25partition_config_selectorILNS1_17partition_subalgoE5EfNS0_10empty_typeEbEEZZNS1_14partition_implILS5_5ELb0ES3_mN6thrust23THRUST_200600_302600_NS6detail15normal_iteratorINSA_10device_ptrIfEEEEPS6_NSA_18transform_iteratorINSB_9not_fun_tI7is_trueIfEEESF_NSA_11use_defaultESM_EENS0_5tupleIJSF_S6_EEENSO_IJSG_SG_EEES6_PlJS6_EEE10hipError_tPvRmT3_T4_T5_T6_T7_T9_mT8_P12ihipStream_tbDpT10_ENKUlT_T0_E_clISt17integral_constantIbLb1EES1B_EEDaS16_S17_EUlS16_E_NS1_11comp_targetILNS1_3genE8ELNS1_11target_archE1030ELNS1_3gpuE2ELNS1_3repE0EEENS1_30default_config_static_selectorELNS0_4arch9wavefront6targetE0EEEvT1_,comdat
.Lfunc_end1350:
	.size	_ZN7rocprim17ROCPRIM_400000_NS6detail17trampoline_kernelINS0_14default_configENS1_25partition_config_selectorILNS1_17partition_subalgoE5EfNS0_10empty_typeEbEEZZNS1_14partition_implILS5_5ELb0ES3_mN6thrust23THRUST_200600_302600_NS6detail15normal_iteratorINSA_10device_ptrIfEEEEPS6_NSA_18transform_iteratorINSB_9not_fun_tI7is_trueIfEEESF_NSA_11use_defaultESM_EENS0_5tupleIJSF_S6_EEENSO_IJSG_SG_EEES6_PlJS6_EEE10hipError_tPvRmT3_T4_T5_T6_T7_T9_mT8_P12ihipStream_tbDpT10_ENKUlT_T0_E_clISt17integral_constantIbLb1EES1B_EEDaS16_S17_EUlS16_E_NS1_11comp_targetILNS1_3genE8ELNS1_11target_archE1030ELNS1_3gpuE2ELNS1_3repE0EEENS1_30default_config_static_selectorELNS0_4arch9wavefront6targetE0EEEvT1_, .Lfunc_end1350-_ZN7rocprim17ROCPRIM_400000_NS6detail17trampoline_kernelINS0_14default_configENS1_25partition_config_selectorILNS1_17partition_subalgoE5EfNS0_10empty_typeEbEEZZNS1_14partition_implILS5_5ELb0ES3_mN6thrust23THRUST_200600_302600_NS6detail15normal_iteratorINSA_10device_ptrIfEEEEPS6_NSA_18transform_iteratorINSB_9not_fun_tI7is_trueIfEEESF_NSA_11use_defaultESM_EENS0_5tupleIJSF_S6_EEENSO_IJSG_SG_EEES6_PlJS6_EEE10hipError_tPvRmT3_T4_T5_T6_T7_T9_mT8_P12ihipStream_tbDpT10_ENKUlT_T0_E_clISt17integral_constantIbLb1EES1B_EEDaS16_S17_EUlS16_E_NS1_11comp_targetILNS1_3genE8ELNS1_11target_archE1030ELNS1_3gpuE2ELNS1_3repE0EEENS1_30default_config_static_selectorELNS0_4arch9wavefront6targetE0EEEvT1_
                                        ; -- End function
	.set _ZN7rocprim17ROCPRIM_400000_NS6detail17trampoline_kernelINS0_14default_configENS1_25partition_config_selectorILNS1_17partition_subalgoE5EfNS0_10empty_typeEbEEZZNS1_14partition_implILS5_5ELb0ES3_mN6thrust23THRUST_200600_302600_NS6detail15normal_iteratorINSA_10device_ptrIfEEEEPS6_NSA_18transform_iteratorINSB_9not_fun_tI7is_trueIfEEESF_NSA_11use_defaultESM_EENS0_5tupleIJSF_S6_EEENSO_IJSG_SG_EEES6_PlJS6_EEE10hipError_tPvRmT3_T4_T5_T6_T7_T9_mT8_P12ihipStream_tbDpT10_ENKUlT_T0_E_clISt17integral_constantIbLb1EES1B_EEDaS16_S17_EUlS16_E_NS1_11comp_targetILNS1_3genE8ELNS1_11target_archE1030ELNS1_3gpuE2ELNS1_3repE0EEENS1_30default_config_static_selectorELNS0_4arch9wavefront6targetE0EEEvT1_.num_vgpr, 0
	.set _ZN7rocprim17ROCPRIM_400000_NS6detail17trampoline_kernelINS0_14default_configENS1_25partition_config_selectorILNS1_17partition_subalgoE5EfNS0_10empty_typeEbEEZZNS1_14partition_implILS5_5ELb0ES3_mN6thrust23THRUST_200600_302600_NS6detail15normal_iteratorINSA_10device_ptrIfEEEEPS6_NSA_18transform_iteratorINSB_9not_fun_tI7is_trueIfEEESF_NSA_11use_defaultESM_EENS0_5tupleIJSF_S6_EEENSO_IJSG_SG_EEES6_PlJS6_EEE10hipError_tPvRmT3_T4_T5_T6_T7_T9_mT8_P12ihipStream_tbDpT10_ENKUlT_T0_E_clISt17integral_constantIbLb1EES1B_EEDaS16_S17_EUlS16_E_NS1_11comp_targetILNS1_3genE8ELNS1_11target_archE1030ELNS1_3gpuE2ELNS1_3repE0EEENS1_30default_config_static_selectorELNS0_4arch9wavefront6targetE0EEEvT1_.num_agpr, 0
	.set _ZN7rocprim17ROCPRIM_400000_NS6detail17trampoline_kernelINS0_14default_configENS1_25partition_config_selectorILNS1_17partition_subalgoE5EfNS0_10empty_typeEbEEZZNS1_14partition_implILS5_5ELb0ES3_mN6thrust23THRUST_200600_302600_NS6detail15normal_iteratorINSA_10device_ptrIfEEEEPS6_NSA_18transform_iteratorINSB_9not_fun_tI7is_trueIfEEESF_NSA_11use_defaultESM_EENS0_5tupleIJSF_S6_EEENSO_IJSG_SG_EEES6_PlJS6_EEE10hipError_tPvRmT3_T4_T5_T6_T7_T9_mT8_P12ihipStream_tbDpT10_ENKUlT_T0_E_clISt17integral_constantIbLb1EES1B_EEDaS16_S17_EUlS16_E_NS1_11comp_targetILNS1_3genE8ELNS1_11target_archE1030ELNS1_3gpuE2ELNS1_3repE0EEENS1_30default_config_static_selectorELNS0_4arch9wavefront6targetE0EEEvT1_.numbered_sgpr, 0
	.set _ZN7rocprim17ROCPRIM_400000_NS6detail17trampoline_kernelINS0_14default_configENS1_25partition_config_selectorILNS1_17partition_subalgoE5EfNS0_10empty_typeEbEEZZNS1_14partition_implILS5_5ELb0ES3_mN6thrust23THRUST_200600_302600_NS6detail15normal_iteratorINSA_10device_ptrIfEEEEPS6_NSA_18transform_iteratorINSB_9not_fun_tI7is_trueIfEEESF_NSA_11use_defaultESM_EENS0_5tupleIJSF_S6_EEENSO_IJSG_SG_EEES6_PlJS6_EEE10hipError_tPvRmT3_T4_T5_T6_T7_T9_mT8_P12ihipStream_tbDpT10_ENKUlT_T0_E_clISt17integral_constantIbLb1EES1B_EEDaS16_S17_EUlS16_E_NS1_11comp_targetILNS1_3genE8ELNS1_11target_archE1030ELNS1_3gpuE2ELNS1_3repE0EEENS1_30default_config_static_selectorELNS0_4arch9wavefront6targetE0EEEvT1_.num_named_barrier, 0
	.set _ZN7rocprim17ROCPRIM_400000_NS6detail17trampoline_kernelINS0_14default_configENS1_25partition_config_selectorILNS1_17partition_subalgoE5EfNS0_10empty_typeEbEEZZNS1_14partition_implILS5_5ELb0ES3_mN6thrust23THRUST_200600_302600_NS6detail15normal_iteratorINSA_10device_ptrIfEEEEPS6_NSA_18transform_iteratorINSB_9not_fun_tI7is_trueIfEEESF_NSA_11use_defaultESM_EENS0_5tupleIJSF_S6_EEENSO_IJSG_SG_EEES6_PlJS6_EEE10hipError_tPvRmT3_T4_T5_T6_T7_T9_mT8_P12ihipStream_tbDpT10_ENKUlT_T0_E_clISt17integral_constantIbLb1EES1B_EEDaS16_S17_EUlS16_E_NS1_11comp_targetILNS1_3genE8ELNS1_11target_archE1030ELNS1_3gpuE2ELNS1_3repE0EEENS1_30default_config_static_selectorELNS0_4arch9wavefront6targetE0EEEvT1_.private_seg_size, 0
	.set _ZN7rocprim17ROCPRIM_400000_NS6detail17trampoline_kernelINS0_14default_configENS1_25partition_config_selectorILNS1_17partition_subalgoE5EfNS0_10empty_typeEbEEZZNS1_14partition_implILS5_5ELb0ES3_mN6thrust23THRUST_200600_302600_NS6detail15normal_iteratorINSA_10device_ptrIfEEEEPS6_NSA_18transform_iteratorINSB_9not_fun_tI7is_trueIfEEESF_NSA_11use_defaultESM_EENS0_5tupleIJSF_S6_EEENSO_IJSG_SG_EEES6_PlJS6_EEE10hipError_tPvRmT3_T4_T5_T6_T7_T9_mT8_P12ihipStream_tbDpT10_ENKUlT_T0_E_clISt17integral_constantIbLb1EES1B_EEDaS16_S17_EUlS16_E_NS1_11comp_targetILNS1_3genE8ELNS1_11target_archE1030ELNS1_3gpuE2ELNS1_3repE0EEENS1_30default_config_static_selectorELNS0_4arch9wavefront6targetE0EEEvT1_.uses_vcc, 0
	.set _ZN7rocprim17ROCPRIM_400000_NS6detail17trampoline_kernelINS0_14default_configENS1_25partition_config_selectorILNS1_17partition_subalgoE5EfNS0_10empty_typeEbEEZZNS1_14partition_implILS5_5ELb0ES3_mN6thrust23THRUST_200600_302600_NS6detail15normal_iteratorINSA_10device_ptrIfEEEEPS6_NSA_18transform_iteratorINSB_9not_fun_tI7is_trueIfEEESF_NSA_11use_defaultESM_EENS0_5tupleIJSF_S6_EEENSO_IJSG_SG_EEES6_PlJS6_EEE10hipError_tPvRmT3_T4_T5_T6_T7_T9_mT8_P12ihipStream_tbDpT10_ENKUlT_T0_E_clISt17integral_constantIbLb1EES1B_EEDaS16_S17_EUlS16_E_NS1_11comp_targetILNS1_3genE8ELNS1_11target_archE1030ELNS1_3gpuE2ELNS1_3repE0EEENS1_30default_config_static_selectorELNS0_4arch9wavefront6targetE0EEEvT1_.uses_flat_scratch, 0
	.set _ZN7rocprim17ROCPRIM_400000_NS6detail17trampoline_kernelINS0_14default_configENS1_25partition_config_selectorILNS1_17partition_subalgoE5EfNS0_10empty_typeEbEEZZNS1_14partition_implILS5_5ELb0ES3_mN6thrust23THRUST_200600_302600_NS6detail15normal_iteratorINSA_10device_ptrIfEEEEPS6_NSA_18transform_iteratorINSB_9not_fun_tI7is_trueIfEEESF_NSA_11use_defaultESM_EENS0_5tupleIJSF_S6_EEENSO_IJSG_SG_EEES6_PlJS6_EEE10hipError_tPvRmT3_T4_T5_T6_T7_T9_mT8_P12ihipStream_tbDpT10_ENKUlT_T0_E_clISt17integral_constantIbLb1EES1B_EEDaS16_S17_EUlS16_E_NS1_11comp_targetILNS1_3genE8ELNS1_11target_archE1030ELNS1_3gpuE2ELNS1_3repE0EEENS1_30default_config_static_selectorELNS0_4arch9wavefront6targetE0EEEvT1_.has_dyn_sized_stack, 0
	.set _ZN7rocprim17ROCPRIM_400000_NS6detail17trampoline_kernelINS0_14default_configENS1_25partition_config_selectorILNS1_17partition_subalgoE5EfNS0_10empty_typeEbEEZZNS1_14partition_implILS5_5ELb0ES3_mN6thrust23THRUST_200600_302600_NS6detail15normal_iteratorINSA_10device_ptrIfEEEEPS6_NSA_18transform_iteratorINSB_9not_fun_tI7is_trueIfEEESF_NSA_11use_defaultESM_EENS0_5tupleIJSF_S6_EEENSO_IJSG_SG_EEES6_PlJS6_EEE10hipError_tPvRmT3_T4_T5_T6_T7_T9_mT8_P12ihipStream_tbDpT10_ENKUlT_T0_E_clISt17integral_constantIbLb1EES1B_EEDaS16_S17_EUlS16_E_NS1_11comp_targetILNS1_3genE8ELNS1_11target_archE1030ELNS1_3gpuE2ELNS1_3repE0EEENS1_30default_config_static_selectorELNS0_4arch9wavefront6targetE0EEEvT1_.has_recursion, 0
	.set _ZN7rocprim17ROCPRIM_400000_NS6detail17trampoline_kernelINS0_14default_configENS1_25partition_config_selectorILNS1_17partition_subalgoE5EfNS0_10empty_typeEbEEZZNS1_14partition_implILS5_5ELb0ES3_mN6thrust23THRUST_200600_302600_NS6detail15normal_iteratorINSA_10device_ptrIfEEEEPS6_NSA_18transform_iteratorINSB_9not_fun_tI7is_trueIfEEESF_NSA_11use_defaultESM_EENS0_5tupleIJSF_S6_EEENSO_IJSG_SG_EEES6_PlJS6_EEE10hipError_tPvRmT3_T4_T5_T6_T7_T9_mT8_P12ihipStream_tbDpT10_ENKUlT_T0_E_clISt17integral_constantIbLb1EES1B_EEDaS16_S17_EUlS16_E_NS1_11comp_targetILNS1_3genE8ELNS1_11target_archE1030ELNS1_3gpuE2ELNS1_3repE0EEENS1_30default_config_static_selectorELNS0_4arch9wavefront6targetE0EEEvT1_.has_indirect_call, 0
	.section	.AMDGPU.csdata,"",@progbits
; Kernel info:
; codeLenInByte = 0
; TotalNumSgprs: 0
; NumVgprs: 0
; ScratchSize: 0
; MemoryBound: 0
; FloatMode: 240
; IeeeMode: 1
; LDSByteSize: 0 bytes/workgroup (compile time only)
; SGPRBlocks: 0
; VGPRBlocks: 0
; NumSGPRsForWavesPerEU: 1
; NumVGPRsForWavesPerEU: 1
; Occupancy: 16
; WaveLimiterHint : 0
; COMPUTE_PGM_RSRC2:SCRATCH_EN: 0
; COMPUTE_PGM_RSRC2:USER_SGPR: 2
; COMPUTE_PGM_RSRC2:TRAP_HANDLER: 0
; COMPUTE_PGM_RSRC2:TGID_X_EN: 1
; COMPUTE_PGM_RSRC2:TGID_Y_EN: 0
; COMPUTE_PGM_RSRC2:TGID_Z_EN: 0
; COMPUTE_PGM_RSRC2:TIDIG_COMP_CNT: 0
	.section	.text._ZN7rocprim17ROCPRIM_400000_NS6detail17trampoline_kernelINS0_14default_configENS1_25partition_config_selectorILNS1_17partition_subalgoE5EfNS0_10empty_typeEbEEZZNS1_14partition_implILS5_5ELb0ES3_mN6thrust23THRUST_200600_302600_NS6detail15normal_iteratorINSA_10device_ptrIfEEEEPS6_NSA_18transform_iteratorINSB_9not_fun_tI7is_trueIfEEESF_NSA_11use_defaultESM_EENS0_5tupleIJSF_S6_EEENSO_IJSG_SG_EEES6_PlJS6_EEE10hipError_tPvRmT3_T4_T5_T6_T7_T9_mT8_P12ihipStream_tbDpT10_ENKUlT_T0_E_clISt17integral_constantIbLb1EES1A_IbLb0EEEEDaS16_S17_EUlS16_E_NS1_11comp_targetILNS1_3genE0ELNS1_11target_archE4294967295ELNS1_3gpuE0ELNS1_3repE0EEENS1_30default_config_static_selectorELNS0_4arch9wavefront6targetE0EEEvT1_,"axG",@progbits,_ZN7rocprim17ROCPRIM_400000_NS6detail17trampoline_kernelINS0_14default_configENS1_25partition_config_selectorILNS1_17partition_subalgoE5EfNS0_10empty_typeEbEEZZNS1_14partition_implILS5_5ELb0ES3_mN6thrust23THRUST_200600_302600_NS6detail15normal_iteratorINSA_10device_ptrIfEEEEPS6_NSA_18transform_iteratorINSB_9not_fun_tI7is_trueIfEEESF_NSA_11use_defaultESM_EENS0_5tupleIJSF_S6_EEENSO_IJSG_SG_EEES6_PlJS6_EEE10hipError_tPvRmT3_T4_T5_T6_T7_T9_mT8_P12ihipStream_tbDpT10_ENKUlT_T0_E_clISt17integral_constantIbLb1EES1A_IbLb0EEEEDaS16_S17_EUlS16_E_NS1_11comp_targetILNS1_3genE0ELNS1_11target_archE4294967295ELNS1_3gpuE0ELNS1_3repE0EEENS1_30default_config_static_selectorELNS0_4arch9wavefront6targetE0EEEvT1_,comdat
	.protected	_ZN7rocprim17ROCPRIM_400000_NS6detail17trampoline_kernelINS0_14default_configENS1_25partition_config_selectorILNS1_17partition_subalgoE5EfNS0_10empty_typeEbEEZZNS1_14partition_implILS5_5ELb0ES3_mN6thrust23THRUST_200600_302600_NS6detail15normal_iteratorINSA_10device_ptrIfEEEEPS6_NSA_18transform_iteratorINSB_9not_fun_tI7is_trueIfEEESF_NSA_11use_defaultESM_EENS0_5tupleIJSF_S6_EEENSO_IJSG_SG_EEES6_PlJS6_EEE10hipError_tPvRmT3_T4_T5_T6_T7_T9_mT8_P12ihipStream_tbDpT10_ENKUlT_T0_E_clISt17integral_constantIbLb1EES1A_IbLb0EEEEDaS16_S17_EUlS16_E_NS1_11comp_targetILNS1_3genE0ELNS1_11target_archE4294967295ELNS1_3gpuE0ELNS1_3repE0EEENS1_30default_config_static_selectorELNS0_4arch9wavefront6targetE0EEEvT1_ ; -- Begin function _ZN7rocprim17ROCPRIM_400000_NS6detail17trampoline_kernelINS0_14default_configENS1_25partition_config_selectorILNS1_17partition_subalgoE5EfNS0_10empty_typeEbEEZZNS1_14partition_implILS5_5ELb0ES3_mN6thrust23THRUST_200600_302600_NS6detail15normal_iteratorINSA_10device_ptrIfEEEEPS6_NSA_18transform_iteratorINSB_9not_fun_tI7is_trueIfEEESF_NSA_11use_defaultESM_EENS0_5tupleIJSF_S6_EEENSO_IJSG_SG_EEES6_PlJS6_EEE10hipError_tPvRmT3_T4_T5_T6_T7_T9_mT8_P12ihipStream_tbDpT10_ENKUlT_T0_E_clISt17integral_constantIbLb1EES1A_IbLb0EEEEDaS16_S17_EUlS16_E_NS1_11comp_targetILNS1_3genE0ELNS1_11target_archE4294967295ELNS1_3gpuE0ELNS1_3repE0EEENS1_30default_config_static_selectorELNS0_4arch9wavefront6targetE0EEEvT1_
	.globl	_ZN7rocprim17ROCPRIM_400000_NS6detail17trampoline_kernelINS0_14default_configENS1_25partition_config_selectorILNS1_17partition_subalgoE5EfNS0_10empty_typeEbEEZZNS1_14partition_implILS5_5ELb0ES3_mN6thrust23THRUST_200600_302600_NS6detail15normal_iteratorINSA_10device_ptrIfEEEEPS6_NSA_18transform_iteratorINSB_9not_fun_tI7is_trueIfEEESF_NSA_11use_defaultESM_EENS0_5tupleIJSF_S6_EEENSO_IJSG_SG_EEES6_PlJS6_EEE10hipError_tPvRmT3_T4_T5_T6_T7_T9_mT8_P12ihipStream_tbDpT10_ENKUlT_T0_E_clISt17integral_constantIbLb1EES1A_IbLb0EEEEDaS16_S17_EUlS16_E_NS1_11comp_targetILNS1_3genE0ELNS1_11target_archE4294967295ELNS1_3gpuE0ELNS1_3repE0EEENS1_30default_config_static_selectorELNS0_4arch9wavefront6targetE0EEEvT1_
	.p2align	8
	.type	_ZN7rocprim17ROCPRIM_400000_NS6detail17trampoline_kernelINS0_14default_configENS1_25partition_config_selectorILNS1_17partition_subalgoE5EfNS0_10empty_typeEbEEZZNS1_14partition_implILS5_5ELb0ES3_mN6thrust23THRUST_200600_302600_NS6detail15normal_iteratorINSA_10device_ptrIfEEEEPS6_NSA_18transform_iteratorINSB_9not_fun_tI7is_trueIfEEESF_NSA_11use_defaultESM_EENS0_5tupleIJSF_S6_EEENSO_IJSG_SG_EEES6_PlJS6_EEE10hipError_tPvRmT3_T4_T5_T6_T7_T9_mT8_P12ihipStream_tbDpT10_ENKUlT_T0_E_clISt17integral_constantIbLb1EES1A_IbLb0EEEEDaS16_S17_EUlS16_E_NS1_11comp_targetILNS1_3genE0ELNS1_11target_archE4294967295ELNS1_3gpuE0ELNS1_3repE0EEENS1_30default_config_static_selectorELNS0_4arch9wavefront6targetE0EEEvT1_,@function
_ZN7rocprim17ROCPRIM_400000_NS6detail17trampoline_kernelINS0_14default_configENS1_25partition_config_selectorILNS1_17partition_subalgoE5EfNS0_10empty_typeEbEEZZNS1_14partition_implILS5_5ELb0ES3_mN6thrust23THRUST_200600_302600_NS6detail15normal_iteratorINSA_10device_ptrIfEEEEPS6_NSA_18transform_iteratorINSB_9not_fun_tI7is_trueIfEEESF_NSA_11use_defaultESM_EENS0_5tupleIJSF_S6_EEENSO_IJSG_SG_EEES6_PlJS6_EEE10hipError_tPvRmT3_T4_T5_T6_T7_T9_mT8_P12ihipStream_tbDpT10_ENKUlT_T0_E_clISt17integral_constantIbLb1EES1A_IbLb0EEEEDaS16_S17_EUlS16_E_NS1_11comp_targetILNS1_3genE0ELNS1_11target_archE4294967295ELNS1_3gpuE0ELNS1_3repE0EEENS1_30default_config_static_selectorELNS0_4arch9wavefront6targetE0EEEvT1_: ; @_ZN7rocprim17ROCPRIM_400000_NS6detail17trampoline_kernelINS0_14default_configENS1_25partition_config_selectorILNS1_17partition_subalgoE5EfNS0_10empty_typeEbEEZZNS1_14partition_implILS5_5ELb0ES3_mN6thrust23THRUST_200600_302600_NS6detail15normal_iteratorINSA_10device_ptrIfEEEEPS6_NSA_18transform_iteratorINSB_9not_fun_tI7is_trueIfEEESF_NSA_11use_defaultESM_EENS0_5tupleIJSF_S6_EEENSO_IJSG_SG_EEES6_PlJS6_EEE10hipError_tPvRmT3_T4_T5_T6_T7_T9_mT8_P12ihipStream_tbDpT10_ENKUlT_T0_E_clISt17integral_constantIbLb1EES1A_IbLb0EEEEDaS16_S17_EUlS16_E_NS1_11comp_targetILNS1_3genE0ELNS1_11target_archE4294967295ELNS1_3gpuE0ELNS1_3repE0EEENS1_30default_config_static_selectorELNS0_4arch9wavefront6targetE0EEEvT1_
; %bb.0:
	.section	.rodata,"a",@progbits
	.p2align	6, 0x0
	.amdhsa_kernel _ZN7rocprim17ROCPRIM_400000_NS6detail17trampoline_kernelINS0_14default_configENS1_25partition_config_selectorILNS1_17partition_subalgoE5EfNS0_10empty_typeEbEEZZNS1_14partition_implILS5_5ELb0ES3_mN6thrust23THRUST_200600_302600_NS6detail15normal_iteratorINSA_10device_ptrIfEEEEPS6_NSA_18transform_iteratorINSB_9not_fun_tI7is_trueIfEEESF_NSA_11use_defaultESM_EENS0_5tupleIJSF_S6_EEENSO_IJSG_SG_EEES6_PlJS6_EEE10hipError_tPvRmT3_T4_T5_T6_T7_T9_mT8_P12ihipStream_tbDpT10_ENKUlT_T0_E_clISt17integral_constantIbLb1EES1A_IbLb0EEEEDaS16_S17_EUlS16_E_NS1_11comp_targetILNS1_3genE0ELNS1_11target_archE4294967295ELNS1_3gpuE0ELNS1_3repE0EEENS1_30default_config_static_selectorELNS0_4arch9wavefront6targetE0EEEvT1_
		.amdhsa_group_segment_fixed_size 0
		.amdhsa_private_segment_fixed_size 0
		.amdhsa_kernarg_size 120
		.amdhsa_user_sgpr_count 2
		.amdhsa_user_sgpr_dispatch_ptr 0
		.amdhsa_user_sgpr_queue_ptr 0
		.amdhsa_user_sgpr_kernarg_segment_ptr 1
		.amdhsa_user_sgpr_dispatch_id 0
		.amdhsa_user_sgpr_private_segment_size 0
		.amdhsa_wavefront_size32 1
		.amdhsa_uses_dynamic_stack 0
		.amdhsa_enable_private_segment 0
		.amdhsa_system_sgpr_workgroup_id_x 1
		.amdhsa_system_sgpr_workgroup_id_y 0
		.amdhsa_system_sgpr_workgroup_id_z 0
		.amdhsa_system_sgpr_workgroup_info 0
		.amdhsa_system_vgpr_workitem_id 0
		.amdhsa_next_free_vgpr 1
		.amdhsa_next_free_sgpr 1
		.amdhsa_reserve_vcc 0
		.amdhsa_float_round_mode_32 0
		.amdhsa_float_round_mode_16_64 0
		.amdhsa_float_denorm_mode_32 3
		.amdhsa_float_denorm_mode_16_64 3
		.amdhsa_fp16_overflow 0
		.amdhsa_workgroup_processor_mode 1
		.amdhsa_memory_ordered 1
		.amdhsa_forward_progress 1
		.amdhsa_inst_pref_size 0
		.amdhsa_round_robin_scheduling 0
		.amdhsa_exception_fp_ieee_invalid_op 0
		.amdhsa_exception_fp_denorm_src 0
		.amdhsa_exception_fp_ieee_div_zero 0
		.amdhsa_exception_fp_ieee_overflow 0
		.amdhsa_exception_fp_ieee_underflow 0
		.amdhsa_exception_fp_ieee_inexact 0
		.amdhsa_exception_int_div_zero 0
	.end_amdhsa_kernel
	.section	.text._ZN7rocprim17ROCPRIM_400000_NS6detail17trampoline_kernelINS0_14default_configENS1_25partition_config_selectorILNS1_17partition_subalgoE5EfNS0_10empty_typeEbEEZZNS1_14partition_implILS5_5ELb0ES3_mN6thrust23THRUST_200600_302600_NS6detail15normal_iteratorINSA_10device_ptrIfEEEEPS6_NSA_18transform_iteratorINSB_9not_fun_tI7is_trueIfEEESF_NSA_11use_defaultESM_EENS0_5tupleIJSF_S6_EEENSO_IJSG_SG_EEES6_PlJS6_EEE10hipError_tPvRmT3_T4_T5_T6_T7_T9_mT8_P12ihipStream_tbDpT10_ENKUlT_T0_E_clISt17integral_constantIbLb1EES1A_IbLb0EEEEDaS16_S17_EUlS16_E_NS1_11comp_targetILNS1_3genE0ELNS1_11target_archE4294967295ELNS1_3gpuE0ELNS1_3repE0EEENS1_30default_config_static_selectorELNS0_4arch9wavefront6targetE0EEEvT1_,"axG",@progbits,_ZN7rocprim17ROCPRIM_400000_NS6detail17trampoline_kernelINS0_14default_configENS1_25partition_config_selectorILNS1_17partition_subalgoE5EfNS0_10empty_typeEbEEZZNS1_14partition_implILS5_5ELb0ES3_mN6thrust23THRUST_200600_302600_NS6detail15normal_iteratorINSA_10device_ptrIfEEEEPS6_NSA_18transform_iteratorINSB_9not_fun_tI7is_trueIfEEESF_NSA_11use_defaultESM_EENS0_5tupleIJSF_S6_EEENSO_IJSG_SG_EEES6_PlJS6_EEE10hipError_tPvRmT3_T4_T5_T6_T7_T9_mT8_P12ihipStream_tbDpT10_ENKUlT_T0_E_clISt17integral_constantIbLb1EES1A_IbLb0EEEEDaS16_S17_EUlS16_E_NS1_11comp_targetILNS1_3genE0ELNS1_11target_archE4294967295ELNS1_3gpuE0ELNS1_3repE0EEENS1_30default_config_static_selectorELNS0_4arch9wavefront6targetE0EEEvT1_,comdat
.Lfunc_end1351:
	.size	_ZN7rocprim17ROCPRIM_400000_NS6detail17trampoline_kernelINS0_14default_configENS1_25partition_config_selectorILNS1_17partition_subalgoE5EfNS0_10empty_typeEbEEZZNS1_14partition_implILS5_5ELb0ES3_mN6thrust23THRUST_200600_302600_NS6detail15normal_iteratorINSA_10device_ptrIfEEEEPS6_NSA_18transform_iteratorINSB_9not_fun_tI7is_trueIfEEESF_NSA_11use_defaultESM_EENS0_5tupleIJSF_S6_EEENSO_IJSG_SG_EEES6_PlJS6_EEE10hipError_tPvRmT3_T4_T5_T6_T7_T9_mT8_P12ihipStream_tbDpT10_ENKUlT_T0_E_clISt17integral_constantIbLb1EES1A_IbLb0EEEEDaS16_S17_EUlS16_E_NS1_11comp_targetILNS1_3genE0ELNS1_11target_archE4294967295ELNS1_3gpuE0ELNS1_3repE0EEENS1_30default_config_static_selectorELNS0_4arch9wavefront6targetE0EEEvT1_, .Lfunc_end1351-_ZN7rocprim17ROCPRIM_400000_NS6detail17trampoline_kernelINS0_14default_configENS1_25partition_config_selectorILNS1_17partition_subalgoE5EfNS0_10empty_typeEbEEZZNS1_14partition_implILS5_5ELb0ES3_mN6thrust23THRUST_200600_302600_NS6detail15normal_iteratorINSA_10device_ptrIfEEEEPS6_NSA_18transform_iteratorINSB_9not_fun_tI7is_trueIfEEESF_NSA_11use_defaultESM_EENS0_5tupleIJSF_S6_EEENSO_IJSG_SG_EEES6_PlJS6_EEE10hipError_tPvRmT3_T4_T5_T6_T7_T9_mT8_P12ihipStream_tbDpT10_ENKUlT_T0_E_clISt17integral_constantIbLb1EES1A_IbLb0EEEEDaS16_S17_EUlS16_E_NS1_11comp_targetILNS1_3genE0ELNS1_11target_archE4294967295ELNS1_3gpuE0ELNS1_3repE0EEENS1_30default_config_static_selectorELNS0_4arch9wavefront6targetE0EEEvT1_
                                        ; -- End function
	.set _ZN7rocprim17ROCPRIM_400000_NS6detail17trampoline_kernelINS0_14default_configENS1_25partition_config_selectorILNS1_17partition_subalgoE5EfNS0_10empty_typeEbEEZZNS1_14partition_implILS5_5ELb0ES3_mN6thrust23THRUST_200600_302600_NS6detail15normal_iteratorINSA_10device_ptrIfEEEEPS6_NSA_18transform_iteratorINSB_9not_fun_tI7is_trueIfEEESF_NSA_11use_defaultESM_EENS0_5tupleIJSF_S6_EEENSO_IJSG_SG_EEES6_PlJS6_EEE10hipError_tPvRmT3_T4_T5_T6_T7_T9_mT8_P12ihipStream_tbDpT10_ENKUlT_T0_E_clISt17integral_constantIbLb1EES1A_IbLb0EEEEDaS16_S17_EUlS16_E_NS1_11comp_targetILNS1_3genE0ELNS1_11target_archE4294967295ELNS1_3gpuE0ELNS1_3repE0EEENS1_30default_config_static_selectorELNS0_4arch9wavefront6targetE0EEEvT1_.num_vgpr, 0
	.set _ZN7rocprim17ROCPRIM_400000_NS6detail17trampoline_kernelINS0_14default_configENS1_25partition_config_selectorILNS1_17partition_subalgoE5EfNS0_10empty_typeEbEEZZNS1_14partition_implILS5_5ELb0ES3_mN6thrust23THRUST_200600_302600_NS6detail15normal_iteratorINSA_10device_ptrIfEEEEPS6_NSA_18transform_iteratorINSB_9not_fun_tI7is_trueIfEEESF_NSA_11use_defaultESM_EENS0_5tupleIJSF_S6_EEENSO_IJSG_SG_EEES6_PlJS6_EEE10hipError_tPvRmT3_T4_T5_T6_T7_T9_mT8_P12ihipStream_tbDpT10_ENKUlT_T0_E_clISt17integral_constantIbLb1EES1A_IbLb0EEEEDaS16_S17_EUlS16_E_NS1_11comp_targetILNS1_3genE0ELNS1_11target_archE4294967295ELNS1_3gpuE0ELNS1_3repE0EEENS1_30default_config_static_selectorELNS0_4arch9wavefront6targetE0EEEvT1_.num_agpr, 0
	.set _ZN7rocprim17ROCPRIM_400000_NS6detail17trampoline_kernelINS0_14default_configENS1_25partition_config_selectorILNS1_17partition_subalgoE5EfNS0_10empty_typeEbEEZZNS1_14partition_implILS5_5ELb0ES3_mN6thrust23THRUST_200600_302600_NS6detail15normal_iteratorINSA_10device_ptrIfEEEEPS6_NSA_18transform_iteratorINSB_9not_fun_tI7is_trueIfEEESF_NSA_11use_defaultESM_EENS0_5tupleIJSF_S6_EEENSO_IJSG_SG_EEES6_PlJS6_EEE10hipError_tPvRmT3_T4_T5_T6_T7_T9_mT8_P12ihipStream_tbDpT10_ENKUlT_T0_E_clISt17integral_constantIbLb1EES1A_IbLb0EEEEDaS16_S17_EUlS16_E_NS1_11comp_targetILNS1_3genE0ELNS1_11target_archE4294967295ELNS1_3gpuE0ELNS1_3repE0EEENS1_30default_config_static_selectorELNS0_4arch9wavefront6targetE0EEEvT1_.numbered_sgpr, 0
	.set _ZN7rocprim17ROCPRIM_400000_NS6detail17trampoline_kernelINS0_14default_configENS1_25partition_config_selectorILNS1_17partition_subalgoE5EfNS0_10empty_typeEbEEZZNS1_14partition_implILS5_5ELb0ES3_mN6thrust23THRUST_200600_302600_NS6detail15normal_iteratorINSA_10device_ptrIfEEEEPS6_NSA_18transform_iteratorINSB_9not_fun_tI7is_trueIfEEESF_NSA_11use_defaultESM_EENS0_5tupleIJSF_S6_EEENSO_IJSG_SG_EEES6_PlJS6_EEE10hipError_tPvRmT3_T4_T5_T6_T7_T9_mT8_P12ihipStream_tbDpT10_ENKUlT_T0_E_clISt17integral_constantIbLb1EES1A_IbLb0EEEEDaS16_S17_EUlS16_E_NS1_11comp_targetILNS1_3genE0ELNS1_11target_archE4294967295ELNS1_3gpuE0ELNS1_3repE0EEENS1_30default_config_static_selectorELNS0_4arch9wavefront6targetE0EEEvT1_.num_named_barrier, 0
	.set _ZN7rocprim17ROCPRIM_400000_NS6detail17trampoline_kernelINS0_14default_configENS1_25partition_config_selectorILNS1_17partition_subalgoE5EfNS0_10empty_typeEbEEZZNS1_14partition_implILS5_5ELb0ES3_mN6thrust23THRUST_200600_302600_NS6detail15normal_iteratorINSA_10device_ptrIfEEEEPS6_NSA_18transform_iteratorINSB_9not_fun_tI7is_trueIfEEESF_NSA_11use_defaultESM_EENS0_5tupleIJSF_S6_EEENSO_IJSG_SG_EEES6_PlJS6_EEE10hipError_tPvRmT3_T4_T5_T6_T7_T9_mT8_P12ihipStream_tbDpT10_ENKUlT_T0_E_clISt17integral_constantIbLb1EES1A_IbLb0EEEEDaS16_S17_EUlS16_E_NS1_11comp_targetILNS1_3genE0ELNS1_11target_archE4294967295ELNS1_3gpuE0ELNS1_3repE0EEENS1_30default_config_static_selectorELNS0_4arch9wavefront6targetE0EEEvT1_.private_seg_size, 0
	.set _ZN7rocprim17ROCPRIM_400000_NS6detail17trampoline_kernelINS0_14default_configENS1_25partition_config_selectorILNS1_17partition_subalgoE5EfNS0_10empty_typeEbEEZZNS1_14partition_implILS5_5ELb0ES3_mN6thrust23THRUST_200600_302600_NS6detail15normal_iteratorINSA_10device_ptrIfEEEEPS6_NSA_18transform_iteratorINSB_9not_fun_tI7is_trueIfEEESF_NSA_11use_defaultESM_EENS0_5tupleIJSF_S6_EEENSO_IJSG_SG_EEES6_PlJS6_EEE10hipError_tPvRmT3_T4_T5_T6_T7_T9_mT8_P12ihipStream_tbDpT10_ENKUlT_T0_E_clISt17integral_constantIbLb1EES1A_IbLb0EEEEDaS16_S17_EUlS16_E_NS1_11comp_targetILNS1_3genE0ELNS1_11target_archE4294967295ELNS1_3gpuE0ELNS1_3repE0EEENS1_30default_config_static_selectorELNS0_4arch9wavefront6targetE0EEEvT1_.uses_vcc, 0
	.set _ZN7rocprim17ROCPRIM_400000_NS6detail17trampoline_kernelINS0_14default_configENS1_25partition_config_selectorILNS1_17partition_subalgoE5EfNS0_10empty_typeEbEEZZNS1_14partition_implILS5_5ELb0ES3_mN6thrust23THRUST_200600_302600_NS6detail15normal_iteratorINSA_10device_ptrIfEEEEPS6_NSA_18transform_iteratorINSB_9not_fun_tI7is_trueIfEEESF_NSA_11use_defaultESM_EENS0_5tupleIJSF_S6_EEENSO_IJSG_SG_EEES6_PlJS6_EEE10hipError_tPvRmT3_T4_T5_T6_T7_T9_mT8_P12ihipStream_tbDpT10_ENKUlT_T0_E_clISt17integral_constantIbLb1EES1A_IbLb0EEEEDaS16_S17_EUlS16_E_NS1_11comp_targetILNS1_3genE0ELNS1_11target_archE4294967295ELNS1_3gpuE0ELNS1_3repE0EEENS1_30default_config_static_selectorELNS0_4arch9wavefront6targetE0EEEvT1_.uses_flat_scratch, 0
	.set _ZN7rocprim17ROCPRIM_400000_NS6detail17trampoline_kernelINS0_14default_configENS1_25partition_config_selectorILNS1_17partition_subalgoE5EfNS0_10empty_typeEbEEZZNS1_14partition_implILS5_5ELb0ES3_mN6thrust23THRUST_200600_302600_NS6detail15normal_iteratorINSA_10device_ptrIfEEEEPS6_NSA_18transform_iteratorINSB_9not_fun_tI7is_trueIfEEESF_NSA_11use_defaultESM_EENS0_5tupleIJSF_S6_EEENSO_IJSG_SG_EEES6_PlJS6_EEE10hipError_tPvRmT3_T4_T5_T6_T7_T9_mT8_P12ihipStream_tbDpT10_ENKUlT_T0_E_clISt17integral_constantIbLb1EES1A_IbLb0EEEEDaS16_S17_EUlS16_E_NS1_11comp_targetILNS1_3genE0ELNS1_11target_archE4294967295ELNS1_3gpuE0ELNS1_3repE0EEENS1_30default_config_static_selectorELNS0_4arch9wavefront6targetE0EEEvT1_.has_dyn_sized_stack, 0
	.set _ZN7rocprim17ROCPRIM_400000_NS6detail17trampoline_kernelINS0_14default_configENS1_25partition_config_selectorILNS1_17partition_subalgoE5EfNS0_10empty_typeEbEEZZNS1_14partition_implILS5_5ELb0ES3_mN6thrust23THRUST_200600_302600_NS6detail15normal_iteratorINSA_10device_ptrIfEEEEPS6_NSA_18transform_iteratorINSB_9not_fun_tI7is_trueIfEEESF_NSA_11use_defaultESM_EENS0_5tupleIJSF_S6_EEENSO_IJSG_SG_EEES6_PlJS6_EEE10hipError_tPvRmT3_T4_T5_T6_T7_T9_mT8_P12ihipStream_tbDpT10_ENKUlT_T0_E_clISt17integral_constantIbLb1EES1A_IbLb0EEEEDaS16_S17_EUlS16_E_NS1_11comp_targetILNS1_3genE0ELNS1_11target_archE4294967295ELNS1_3gpuE0ELNS1_3repE0EEENS1_30default_config_static_selectorELNS0_4arch9wavefront6targetE0EEEvT1_.has_recursion, 0
	.set _ZN7rocprim17ROCPRIM_400000_NS6detail17trampoline_kernelINS0_14default_configENS1_25partition_config_selectorILNS1_17partition_subalgoE5EfNS0_10empty_typeEbEEZZNS1_14partition_implILS5_5ELb0ES3_mN6thrust23THRUST_200600_302600_NS6detail15normal_iteratorINSA_10device_ptrIfEEEEPS6_NSA_18transform_iteratorINSB_9not_fun_tI7is_trueIfEEESF_NSA_11use_defaultESM_EENS0_5tupleIJSF_S6_EEENSO_IJSG_SG_EEES6_PlJS6_EEE10hipError_tPvRmT3_T4_T5_T6_T7_T9_mT8_P12ihipStream_tbDpT10_ENKUlT_T0_E_clISt17integral_constantIbLb1EES1A_IbLb0EEEEDaS16_S17_EUlS16_E_NS1_11comp_targetILNS1_3genE0ELNS1_11target_archE4294967295ELNS1_3gpuE0ELNS1_3repE0EEENS1_30default_config_static_selectorELNS0_4arch9wavefront6targetE0EEEvT1_.has_indirect_call, 0
	.section	.AMDGPU.csdata,"",@progbits
; Kernel info:
; codeLenInByte = 0
; TotalNumSgprs: 0
; NumVgprs: 0
; ScratchSize: 0
; MemoryBound: 0
; FloatMode: 240
; IeeeMode: 1
; LDSByteSize: 0 bytes/workgroup (compile time only)
; SGPRBlocks: 0
; VGPRBlocks: 0
; NumSGPRsForWavesPerEU: 1
; NumVGPRsForWavesPerEU: 1
; Occupancy: 16
; WaveLimiterHint : 0
; COMPUTE_PGM_RSRC2:SCRATCH_EN: 0
; COMPUTE_PGM_RSRC2:USER_SGPR: 2
; COMPUTE_PGM_RSRC2:TRAP_HANDLER: 0
; COMPUTE_PGM_RSRC2:TGID_X_EN: 1
; COMPUTE_PGM_RSRC2:TGID_Y_EN: 0
; COMPUTE_PGM_RSRC2:TGID_Z_EN: 0
; COMPUTE_PGM_RSRC2:TIDIG_COMP_CNT: 0
	.section	.text._ZN7rocprim17ROCPRIM_400000_NS6detail17trampoline_kernelINS0_14default_configENS1_25partition_config_selectorILNS1_17partition_subalgoE5EfNS0_10empty_typeEbEEZZNS1_14partition_implILS5_5ELb0ES3_mN6thrust23THRUST_200600_302600_NS6detail15normal_iteratorINSA_10device_ptrIfEEEEPS6_NSA_18transform_iteratorINSB_9not_fun_tI7is_trueIfEEESF_NSA_11use_defaultESM_EENS0_5tupleIJSF_S6_EEENSO_IJSG_SG_EEES6_PlJS6_EEE10hipError_tPvRmT3_T4_T5_T6_T7_T9_mT8_P12ihipStream_tbDpT10_ENKUlT_T0_E_clISt17integral_constantIbLb1EES1A_IbLb0EEEEDaS16_S17_EUlS16_E_NS1_11comp_targetILNS1_3genE5ELNS1_11target_archE942ELNS1_3gpuE9ELNS1_3repE0EEENS1_30default_config_static_selectorELNS0_4arch9wavefront6targetE0EEEvT1_,"axG",@progbits,_ZN7rocprim17ROCPRIM_400000_NS6detail17trampoline_kernelINS0_14default_configENS1_25partition_config_selectorILNS1_17partition_subalgoE5EfNS0_10empty_typeEbEEZZNS1_14partition_implILS5_5ELb0ES3_mN6thrust23THRUST_200600_302600_NS6detail15normal_iteratorINSA_10device_ptrIfEEEEPS6_NSA_18transform_iteratorINSB_9not_fun_tI7is_trueIfEEESF_NSA_11use_defaultESM_EENS0_5tupleIJSF_S6_EEENSO_IJSG_SG_EEES6_PlJS6_EEE10hipError_tPvRmT3_T4_T5_T6_T7_T9_mT8_P12ihipStream_tbDpT10_ENKUlT_T0_E_clISt17integral_constantIbLb1EES1A_IbLb0EEEEDaS16_S17_EUlS16_E_NS1_11comp_targetILNS1_3genE5ELNS1_11target_archE942ELNS1_3gpuE9ELNS1_3repE0EEENS1_30default_config_static_selectorELNS0_4arch9wavefront6targetE0EEEvT1_,comdat
	.protected	_ZN7rocprim17ROCPRIM_400000_NS6detail17trampoline_kernelINS0_14default_configENS1_25partition_config_selectorILNS1_17partition_subalgoE5EfNS0_10empty_typeEbEEZZNS1_14partition_implILS5_5ELb0ES3_mN6thrust23THRUST_200600_302600_NS6detail15normal_iteratorINSA_10device_ptrIfEEEEPS6_NSA_18transform_iteratorINSB_9not_fun_tI7is_trueIfEEESF_NSA_11use_defaultESM_EENS0_5tupleIJSF_S6_EEENSO_IJSG_SG_EEES6_PlJS6_EEE10hipError_tPvRmT3_T4_T5_T6_T7_T9_mT8_P12ihipStream_tbDpT10_ENKUlT_T0_E_clISt17integral_constantIbLb1EES1A_IbLb0EEEEDaS16_S17_EUlS16_E_NS1_11comp_targetILNS1_3genE5ELNS1_11target_archE942ELNS1_3gpuE9ELNS1_3repE0EEENS1_30default_config_static_selectorELNS0_4arch9wavefront6targetE0EEEvT1_ ; -- Begin function _ZN7rocprim17ROCPRIM_400000_NS6detail17trampoline_kernelINS0_14default_configENS1_25partition_config_selectorILNS1_17partition_subalgoE5EfNS0_10empty_typeEbEEZZNS1_14partition_implILS5_5ELb0ES3_mN6thrust23THRUST_200600_302600_NS6detail15normal_iteratorINSA_10device_ptrIfEEEEPS6_NSA_18transform_iteratorINSB_9not_fun_tI7is_trueIfEEESF_NSA_11use_defaultESM_EENS0_5tupleIJSF_S6_EEENSO_IJSG_SG_EEES6_PlJS6_EEE10hipError_tPvRmT3_T4_T5_T6_T7_T9_mT8_P12ihipStream_tbDpT10_ENKUlT_T0_E_clISt17integral_constantIbLb1EES1A_IbLb0EEEEDaS16_S17_EUlS16_E_NS1_11comp_targetILNS1_3genE5ELNS1_11target_archE942ELNS1_3gpuE9ELNS1_3repE0EEENS1_30default_config_static_selectorELNS0_4arch9wavefront6targetE0EEEvT1_
	.globl	_ZN7rocprim17ROCPRIM_400000_NS6detail17trampoline_kernelINS0_14default_configENS1_25partition_config_selectorILNS1_17partition_subalgoE5EfNS0_10empty_typeEbEEZZNS1_14partition_implILS5_5ELb0ES3_mN6thrust23THRUST_200600_302600_NS6detail15normal_iteratorINSA_10device_ptrIfEEEEPS6_NSA_18transform_iteratorINSB_9not_fun_tI7is_trueIfEEESF_NSA_11use_defaultESM_EENS0_5tupleIJSF_S6_EEENSO_IJSG_SG_EEES6_PlJS6_EEE10hipError_tPvRmT3_T4_T5_T6_T7_T9_mT8_P12ihipStream_tbDpT10_ENKUlT_T0_E_clISt17integral_constantIbLb1EES1A_IbLb0EEEEDaS16_S17_EUlS16_E_NS1_11comp_targetILNS1_3genE5ELNS1_11target_archE942ELNS1_3gpuE9ELNS1_3repE0EEENS1_30default_config_static_selectorELNS0_4arch9wavefront6targetE0EEEvT1_
	.p2align	8
	.type	_ZN7rocprim17ROCPRIM_400000_NS6detail17trampoline_kernelINS0_14default_configENS1_25partition_config_selectorILNS1_17partition_subalgoE5EfNS0_10empty_typeEbEEZZNS1_14partition_implILS5_5ELb0ES3_mN6thrust23THRUST_200600_302600_NS6detail15normal_iteratorINSA_10device_ptrIfEEEEPS6_NSA_18transform_iteratorINSB_9not_fun_tI7is_trueIfEEESF_NSA_11use_defaultESM_EENS0_5tupleIJSF_S6_EEENSO_IJSG_SG_EEES6_PlJS6_EEE10hipError_tPvRmT3_T4_T5_T6_T7_T9_mT8_P12ihipStream_tbDpT10_ENKUlT_T0_E_clISt17integral_constantIbLb1EES1A_IbLb0EEEEDaS16_S17_EUlS16_E_NS1_11comp_targetILNS1_3genE5ELNS1_11target_archE942ELNS1_3gpuE9ELNS1_3repE0EEENS1_30default_config_static_selectorELNS0_4arch9wavefront6targetE0EEEvT1_,@function
_ZN7rocprim17ROCPRIM_400000_NS6detail17trampoline_kernelINS0_14default_configENS1_25partition_config_selectorILNS1_17partition_subalgoE5EfNS0_10empty_typeEbEEZZNS1_14partition_implILS5_5ELb0ES3_mN6thrust23THRUST_200600_302600_NS6detail15normal_iteratorINSA_10device_ptrIfEEEEPS6_NSA_18transform_iteratorINSB_9not_fun_tI7is_trueIfEEESF_NSA_11use_defaultESM_EENS0_5tupleIJSF_S6_EEENSO_IJSG_SG_EEES6_PlJS6_EEE10hipError_tPvRmT3_T4_T5_T6_T7_T9_mT8_P12ihipStream_tbDpT10_ENKUlT_T0_E_clISt17integral_constantIbLb1EES1A_IbLb0EEEEDaS16_S17_EUlS16_E_NS1_11comp_targetILNS1_3genE5ELNS1_11target_archE942ELNS1_3gpuE9ELNS1_3repE0EEENS1_30default_config_static_selectorELNS0_4arch9wavefront6targetE0EEEvT1_: ; @_ZN7rocprim17ROCPRIM_400000_NS6detail17trampoline_kernelINS0_14default_configENS1_25partition_config_selectorILNS1_17partition_subalgoE5EfNS0_10empty_typeEbEEZZNS1_14partition_implILS5_5ELb0ES3_mN6thrust23THRUST_200600_302600_NS6detail15normal_iteratorINSA_10device_ptrIfEEEEPS6_NSA_18transform_iteratorINSB_9not_fun_tI7is_trueIfEEESF_NSA_11use_defaultESM_EENS0_5tupleIJSF_S6_EEENSO_IJSG_SG_EEES6_PlJS6_EEE10hipError_tPvRmT3_T4_T5_T6_T7_T9_mT8_P12ihipStream_tbDpT10_ENKUlT_T0_E_clISt17integral_constantIbLb1EES1A_IbLb0EEEEDaS16_S17_EUlS16_E_NS1_11comp_targetILNS1_3genE5ELNS1_11target_archE942ELNS1_3gpuE9ELNS1_3repE0EEENS1_30default_config_static_selectorELNS0_4arch9wavefront6targetE0EEEvT1_
; %bb.0:
	.section	.rodata,"a",@progbits
	.p2align	6, 0x0
	.amdhsa_kernel _ZN7rocprim17ROCPRIM_400000_NS6detail17trampoline_kernelINS0_14default_configENS1_25partition_config_selectorILNS1_17partition_subalgoE5EfNS0_10empty_typeEbEEZZNS1_14partition_implILS5_5ELb0ES3_mN6thrust23THRUST_200600_302600_NS6detail15normal_iteratorINSA_10device_ptrIfEEEEPS6_NSA_18transform_iteratorINSB_9not_fun_tI7is_trueIfEEESF_NSA_11use_defaultESM_EENS0_5tupleIJSF_S6_EEENSO_IJSG_SG_EEES6_PlJS6_EEE10hipError_tPvRmT3_T4_T5_T6_T7_T9_mT8_P12ihipStream_tbDpT10_ENKUlT_T0_E_clISt17integral_constantIbLb1EES1A_IbLb0EEEEDaS16_S17_EUlS16_E_NS1_11comp_targetILNS1_3genE5ELNS1_11target_archE942ELNS1_3gpuE9ELNS1_3repE0EEENS1_30default_config_static_selectorELNS0_4arch9wavefront6targetE0EEEvT1_
		.amdhsa_group_segment_fixed_size 0
		.amdhsa_private_segment_fixed_size 0
		.amdhsa_kernarg_size 120
		.amdhsa_user_sgpr_count 2
		.amdhsa_user_sgpr_dispatch_ptr 0
		.amdhsa_user_sgpr_queue_ptr 0
		.amdhsa_user_sgpr_kernarg_segment_ptr 1
		.amdhsa_user_sgpr_dispatch_id 0
		.amdhsa_user_sgpr_private_segment_size 0
		.amdhsa_wavefront_size32 1
		.amdhsa_uses_dynamic_stack 0
		.amdhsa_enable_private_segment 0
		.amdhsa_system_sgpr_workgroup_id_x 1
		.amdhsa_system_sgpr_workgroup_id_y 0
		.amdhsa_system_sgpr_workgroup_id_z 0
		.amdhsa_system_sgpr_workgroup_info 0
		.amdhsa_system_vgpr_workitem_id 0
		.amdhsa_next_free_vgpr 1
		.amdhsa_next_free_sgpr 1
		.amdhsa_reserve_vcc 0
		.amdhsa_float_round_mode_32 0
		.amdhsa_float_round_mode_16_64 0
		.amdhsa_float_denorm_mode_32 3
		.amdhsa_float_denorm_mode_16_64 3
		.amdhsa_fp16_overflow 0
		.amdhsa_workgroup_processor_mode 1
		.amdhsa_memory_ordered 1
		.amdhsa_forward_progress 1
		.amdhsa_inst_pref_size 0
		.amdhsa_round_robin_scheduling 0
		.amdhsa_exception_fp_ieee_invalid_op 0
		.amdhsa_exception_fp_denorm_src 0
		.amdhsa_exception_fp_ieee_div_zero 0
		.amdhsa_exception_fp_ieee_overflow 0
		.amdhsa_exception_fp_ieee_underflow 0
		.amdhsa_exception_fp_ieee_inexact 0
		.amdhsa_exception_int_div_zero 0
	.end_amdhsa_kernel
	.section	.text._ZN7rocprim17ROCPRIM_400000_NS6detail17trampoline_kernelINS0_14default_configENS1_25partition_config_selectorILNS1_17partition_subalgoE5EfNS0_10empty_typeEbEEZZNS1_14partition_implILS5_5ELb0ES3_mN6thrust23THRUST_200600_302600_NS6detail15normal_iteratorINSA_10device_ptrIfEEEEPS6_NSA_18transform_iteratorINSB_9not_fun_tI7is_trueIfEEESF_NSA_11use_defaultESM_EENS0_5tupleIJSF_S6_EEENSO_IJSG_SG_EEES6_PlJS6_EEE10hipError_tPvRmT3_T4_T5_T6_T7_T9_mT8_P12ihipStream_tbDpT10_ENKUlT_T0_E_clISt17integral_constantIbLb1EES1A_IbLb0EEEEDaS16_S17_EUlS16_E_NS1_11comp_targetILNS1_3genE5ELNS1_11target_archE942ELNS1_3gpuE9ELNS1_3repE0EEENS1_30default_config_static_selectorELNS0_4arch9wavefront6targetE0EEEvT1_,"axG",@progbits,_ZN7rocprim17ROCPRIM_400000_NS6detail17trampoline_kernelINS0_14default_configENS1_25partition_config_selectorILNS1_17partition_subalgoE5EfNS0_10empty_typeEbEEZZNS1_14partition_implILS5_5ELb0ES3_mN6thrust23THRUST_200600_302600_NS6detail15normal_iteratorINSA_10device_ptrIfEEEEPS6_NSA_18transform_iteratorINSB_9not_fun_tI7is_trueIfEEESF_NSA_11use_defaultESM_EENS0_5tupleIJSF_S6_EEENSO_IJSG_SG_EEES6_PlJS6_EEE10hipError_tPvRmT3_T4_T5_T6_T7_T9_mT8_P12ihipStream_tbDpT10_ENKUlT_T0_E_clISt17integral_constantIbLb1EES1A_IbLb0EEEEDaS16_S17_EUlS16_E_NS1_11comp_targetILNS1_3genE5ELNS1_11target_archE942ELNS1_3gpuE9ELNS1_3repE0EEENS1_30default_config_static_selectorELNS0_4arch9wavefront6targetE0EEEvT1_,comdat
.Lfunc_end1352:
	.size	_ZN7rocprim17ROCPRIM_400000_NS6detail17trampoline_kernelINS0_14default_configENS1_25partition_config_selectorILNS1_17partition_subalgoE5EfNS0_10empty_typeEbEEZZNS1_14partition_implILS5_5ELb0ES3_mN6thrust23THRUST_200600_302600_NS6detail15normal_iteratorINSA_10device_ptrIfEEEEPS6_NSA_18transform_iteratorINSB_9not_fun_tI7is_trueIfEEESF_NSA_11use_defaultESM_EENS0_5tupleIJSF_S6_EEENSO_IJSG_SG_EEES6_PlJS6_EEE10hipError_tPvRmT3_T4_T5_T6_T7_T9_mT8_P12ihipStream_tbDpT10_ENKUlT_T0_E_clISt17integral_constantIbLb1EES1A_IbLb0EEEEDaS16_S17_EUlS16_E_NS1_11comp_targetILNS1_3genE5ELNS1_11target_archE942ELNS1_3gpuE9ELNS1_3repE0EEENS1_30default_config_static_selectorELNS0_4arch9wavefront6targetE0EEEvT1_, .Lfunc_end1352-_ZN7rocprim17ROCPRIM_400000_NS6detail17trampoline_kernelINS0_14default_configENS1_25partition_config_selectorILNS1_17partition_subalgoE5EfNS0_10empty_typeEbEEZZNS1_14partition_implILS5_5ELb0ES3_mN6thrust23THRUST_200600_302600_NS6detail15normal_iteratorINSA_10device_ptrIfEEEEPS6_NSA_18transform_iteratorINSB_9not_fun_tI7is_trueIfEEESF_NSA_11use_defaultESM_EENS0_5tupleIJSF_S6_EEENSO_IJSG_SG_EEES6_PlJS6_EEE10hipError_tPvRmT3_T4_T5_T6_T7_T9_mT8_P12ihipStream_tbDpT10_ENKUlT_T0_E_clISt17integral_constantIbLb1EES1A_IbLb0EEEEDaS16_S17_EUlS16_E_NS1_11comp_targetILNS1_3genE5ELNS1_11target_archE942ELNS1_3gpuE9ELNS1_3repE0EEENS1_30default_config_static_selectorELNS0_4arch9wavefront6targetE0EEEvT1_
                                        ; -- End function
	.set _ZN7rocprim17ROCPRIM_400000_NS6detail17trampoline_kernelINS0_14default_configENS1_25partition_config_selectorILNS1_17partition_subalgoE5EfNS0_10empty_typeEbEEZZNS1_14partition_implILS5_5ELb0ES3_mN6thrust23THRUST_200600_302600_NS6detail15normal_iteratorINSA_10device_ptrIfEEEEPS6_NSA_18transform_iteratorINSB_9not_fun_tI7is_trueIfEEESF_NSA_11use_defaultESM_EENS0_5tupleIJSF_S6_EEENSO_IJSG_SG_EEES6_PlJS6_EEE10hipError_tPvRmT3_T4_T5_T6_T7_T9_mT8_P12ihipStream_tbDpT10_ENKUlT_T0_E_clISt17integral_constantIbLb1EES1A_IbLb0EEEEDaS16_S17_EUlS16_E_NS1_11comp_targetILNS1_3genE5ELNS1_11target_archE942ELNS1_3gpuE9ELNS1_3repE0EEENS1_30default_config_static_selectorELNS0_4arch9wavefront6targetE0EEEvT1_.num_vgpr, 0
	.set _ZN7rocprim17ROCPRIM_400000_NS6detail17trampoline_kernelINS0_14default_configENS1_25partition_config_selectorILNS1_17partition_subalgoE5EfNS0_10empty_typeEbEEZZNS1_14partition_implILS5_5ELb0ES3_mN6thrust23THRUST_200600_302600_NS6detail15normal_iteratorINSA_10device_ptrIfEEEEPS6_NSA_18transform_iteratorINSB_9not_fun_tI7is_trueIfEEESF_NSA_11use_defaultESM_EENS0_5tupleIJSF_S6_EEENSO_IJSG_SG_EEES6_PlJS6_EEE10hipError_tPvRmT3_T4_T5_T6_T7_T9_mT8_P12ihipStream_tbDpT10_ENKUlT_T0_E_clISt17integral_constantIbLb1EES1A_IbLb0EEEEDaS16_S17_EUlS16_E_NS1_11comp_targetILNS1_3genE5ELNS1_11target_archE942ELNS1_3gpuE9ELNS1_3repE0EEENS1_30default_config_static_selectorELNS0_4arch9wavefront6targetE0EEEvT1_.num_agpr, 0
	.set _ZN7rocprim17ROCPRIM_400000_NS6detail17trampoline_kernelINS0_14default_configENS1_25partition_config_selectorILNS1_17partition_subalgoE5EfNS0_10empty_typeEbEEZZNS1_14partition_implILS5_5ELb0ES3_mN6thrust23THRUST_200600_302600_NS6detail15normal_iteratorINSA_10device_ptrIfEEEEPS6_NSA_18transform_iteratorINSB_9not_fun_tI7is_trueIfEEESF_NSA_11use_defaultESM_EENS0_5tupleIJSF_S6_EEENSO_IJSG_SG_EEES6_PlJS6_EEE10hipError_tPvRmT3_T4_T5_T6_T7_T9_mT8_P12ihipStream_tbDpT10_ENKUlT_T0_E_clISt17integral_constantIbLb1EES1A_IbLb0EEEEDaS16_S17_EUlS16_E_NS1_11comp_targetILNS1_3genE5ELNS1_11target_archE942ELNS1_3gpuE9ELNS1_3repE0EEENS1_30default_config_static_selectorELNS0_4arch9wavefront6targetE0EEEvT1_.numbered_sgpr, 0
	.set _ZN7rocprim17ROCPRIM_400000_NS6detail17trampoline_kernelINS0_14default_configENS1_25partition_config_selectorILNS1_17partition_subalgoE5EfNS0_10empty_typeEbEEZZNS1_14partition_implILS5_5ELb0ES3_mN6thrust23THRUST_200600_302600_NS6detail15normal_iteratorINSA_10device_ptrIfEEEEPS6_NSA_18transform_iteratorINSB_9not_fun_tI7is_trueIfEEESF_NSA_11use_defaultESM_EENS0_5tupleIJSF_S6_EEENSO_IJSG_SG_EEES6_PlJS6_EEE10hipError_tPvRmT3_T4_T5_T6_T7_T9_mT8_P12ihipStream_tbDpT10_ENKUlT_T0_E_clISt17integral_constantIbLb1EES1A_IbLb0EEEEDaS16_S17_EUlS16_E_NS1_11comp_targetILNS1_3genE5ELNS1_11target_archE942ELNS1_3gpuE9ELNS1_3repE0EEENS1_30default_config_static_selectorELNS0_4arch9wavefront6targetE0EEEvT1_.num_named_barrier, 0
	.set _ZN7rocprim17ROCPRIM_400000_NS6detail17trampoline_kernelINS0_14default_configENS1_25partition_config_selectorILNS1_17partition_subalgoE5EfNS0_10empty_typeEbEEZZNS1_14partition_implILS5_5ELb0ES3_mN6thrust23THRUST_200600_302600_NS6detail15normal_iteratorINSA_10device_ptrIfEEEEPS6_NSA_18transform_iteratorINSB_9not_fun_tI7is_trueIfEEESF_NSA_11use_defaultESM_EENS0_5tupleIJSF_S6_EEENSO_IJSG_SG_EEES6_PlJS6_EEE10hipError_tPvRmT3_T4_T5_T6_T7_T9_mT8_P12ihipStream_tbDpT10_ENKUlT_T0_E_clISt17integral_constantIbLb1EES1A_IbLb0EEEEDaS16_S17_EUlS16_E_NS1_11comp_targetILNS1_3genE5ELNS1_11target_archE942ELNS1_3gpuE9ELNS1_3repE0EEENS1_30default_config_static_selectorELNS0_4arch9wavefront6targetE0EEEvT1_.private_seg_size, 0
	.set _ZN7rocprim17ROCPRIM_400000_NS6detail17trampoline_kernelINS0_14default_configENS1_25partition_config_selectorILNS1_17partition_subalgoE5EfNS0_10empty_typeEbEEZZNS1_14partition_implILS5_5ELb0ES3_mN6thrust23THRUST_200600_302600_NS6detail15normal_iteratorINSA_10device_ptrIfEEEEPS6_NSA_18transform_iteratorINSB_9not_fun_tI7is_trueIfEEESF_NSA_11use_defaultESM_EENS0_5tupleIJSF_S6_EEENSO_IJSG_SG_EEES6_PlJS6_EEE10hipError_tPvRmT3_T4_T5_T6_T7_T9_mT8_P12ihipStream_tbDpT10_ENKUlT_T0_E_clISt17integral_constantIbLb1EES1A_IbLb0EEEEDaS16_S17_EUlS16_E_NS1_11comp_targetILNS1_3genE5ELNS1_11target_archE942ELNS1_3gpuE9ELNS1_3repE0EEENS1_30default_config_static_selectorELNS0_4arch9wavefront6targetE0EEEvT1_.uses_vcc, 0
	.set _ZN7rocprim17ROCPRIM_400000_NS6detail17trampoline_kernelINS0_14default_configENS1_25partition_config_selectorILNS1_17partition_subalgoE5EfNS0_10empty_typeEbEEZZNS1_14partition_implILS5_5ELb0ES3_mN6thrust23THRUST_200600_302600_NS6detail15normal_iteratorINSA_10device_ptrIfEEEEPS6_NSA_18transform_iteratorINSB_9not_fun_tI7is_trueIfEEESF_NSA_11use_defaultESM_EENS0_5tupleIJSF_S6_EEENSO_IJSG_SG_EEES6_PlJS6_EEE10hipError_tPvRmT3_T4_T5_T6_T7_T9_mT8_P12ihipStream_tbDpT10_ENKUlT_T0_E_clISt17integral_constantIbLb1EES1A_IbLb0EEEEDaS16_S17_EUlS16_E_NS1_11comp_targetILNS1_3genE5ELNS1_11target_archE942ELNS1_3gpuE9ELNS1_3repE0EEENS1_30default_config_static_selectorELNS0_4arch9wavefront6targetE0EEEvT1_.uses_flat_scratch, 0
	.set _ZN7rocprim17ROCPRIM_400000_NS6detail17trampoline_kernelINS0_14default_configENS1_25partition_config_selectorILNS1_17partition_subalgoE5EfNS0_10empty_typeEbEEZZNS1_14partition_implILS5_5ELb0ES3_mN6thrust23THRUST_200600_302600_NS6detail15normal_iteratorINSA_10device_ptrIfEEEEPS6_NSA_18transform_iteratorINSB_9not_fun_tI7is_trueIfEEESF_NSA_11use_defaultESM_EENS0_5tupleIJSF_S6_EEENSO_IJSG_SG_EEES6_PlJS6_EEE10hipError_tPvRmT3_T4_T5_T6_T7_T9_mT8_P12ihipStream_tbDpT10_ENKUlT_T0_E_clISt17integral_constantIbLb1EES1A_IbLb0EEEEDaS16_S17_EUlS16_E_NS1_11comp_targetILNS1_3genE5ELNS1_11target_archE942ELNS1_3gpuE9ELNS1_3repE0EEENS1_30default_config_static_selectorELNS0_4arch9wavefront6targetE0EEEvT1_.has_dyn_sized_stack, 0
	.set _ZN7rocprim17ROCPRIM_400000_NS6detail17trampoline_kernelINS0_14default_configENS1_25partition_config_selectorILNS1_17partition_subalgoE5EfNS0_10empty_typeEbEEZZNS1_14partition_implILS5_5ELb0ES3_mN6thrust23THRUST_200600_302600_NS6detail15normal_iteratorINSA_10device_ptrIfEEEEPS6_NSA_18transform_iteratorINSB_9not_fun_tI7is_trueIfEEESF_NSA_11use_defaultESM_EENS0_5tupleIJSF_S6_EEENSO_IJSG_SG_EEES6_PlJS6_EEE10hipError_tPvRmT3_T4_T5_T6_T7_T9_mT8_P12ihipStream_tbDpT10_ENKUlT_T0_E_clISt17integral_constantIbLb1EES1A_IbLb0EEEEDaS16_S17_EUlS16_E_NS1_11comp_targetILNS1_3genE5ELNS1_11target_archE942ELNS1_3gpuE9ELNS1_3repE0EEENS1_30default_config_static_selectorELNS0_4arch9wavefront6targetE0EEEvT1_.has_recursion, 0
	.set _ZN7rocprim17ROCPRIM_400000_NS6detail17trampoline_kernelINS0_14default_configENS1_25partition_config_selectorILNS1_17partition_subalgoE5EfNS0_10empty_typeEbEEZZNS1_14partition_implILS5_5ELb0ES3_mN6thrust23THRUST_200600_302600_NS6detail15normal_iteratorINSA_10device_ptrIfEEEEPS6_NSA_18transform_iteratorINSB_9not_fun_tI7is_trueIfEEESF_NSA_11use_defaultESM_EENS0_5tupleIJSF_S6_EEENSO_IJSG_SG_EEES6_PlJS6_EEE10hipError_tPvRmT3_T4_T5_T6_T7_T9_mT8_P12ihipStream_tbDpT10_ENKUlT_T0_E_clISt17integral_constantIbLb1EES1A_IbLb0EEEEDaS16_S17_EUlS16_E_NS1_11comp_targetILNS1_3genE5ELNS1_11target_archE942ELNS1_3gpuE9ELNS1_3repE0EEENS1_30default_config_static_selectorELNS0_4arch9wavefront6targetE0EEEvT1_.has_indirect_call, 0
	.section	.AMDGPU.csdata,"",@progbits
; Kernel info:
; codeLenInByte = 0
; TotalNumSgprs: 0
; NumVgprs: 0
; ScratchSize: 0
; MemoryBound: 0
; FloatMode: 240
; IeeeMode: 1
; LDSByteSize: 0 bytes/workgroup (compile time only)
; SGPRBlocks: 0
; VGPRBlocks: 0
; NumSGPRsForWavesPerEU: 1
; NumVGPRsForWavesPerEU: 1
; Occupancy: 16
; WaveLimiterHint : 0
; COMPUTE_PGM_RSRC2:SCRATCH_EN: 0
; COMPUTE_PGM_RSRC2:USER_SGPR: 2
; COMPUTE_PGM_RSRC2:TRAP_HANDLER: 0
; COMPUTE_PGM_RSRC2:TGID_X_EN: 1
; COMPUTE_PGM_RSRC2:TGID_Y_EN: 0
; COMPUTE_PGM_RSRC2:TGID_Z_EN: 0
; COMPUTE_PGM_RSRC2:TIDIG_COMP_CNT: 0
	.section	.text._ZN7rocprim17ROCPRIM_400000_NS6detail17trampoline_kernelINS0_14default_configENS1_25partition_config_selectorILNS1_17partition_subalgoE5EfNS0_10empty_typeEbEEZZNS1_14partition_implILS5_5ELb0ES3_mN6thrust23THRUST_200600_302600_NS6detail15normal_iteratorINSA_10device_ptrIfEEEEPS6_NSA_18transform_iteratorINSB_9not_fun_tI7is_trueIfEEESF_NSA_11use_defaultESM_EENS0_5tupleIJSF_S6_EEENSO_IJSG_SG_EEES6_PlJS6_EEE10hipError_tPvRmT3_T4_T5_T6_T7_T9_mT8_P12ihipStream_tbDpT10_ENKUlT_T0_E_clISt17integral_constantIbLb1EES1A_IbLb0EEEEDaS16_S17_EUlS16_E_NS1_11comp_targetILNS1_3genE4ELNS1_11target_archE910ELNS1_3gpuE8ELNS1_3repE0EEENS1_30default_config_static_selectorELNS0_4arch9wavefront6targetE0EEEvT1_,"axG",@progbits,_ZN7rocprim17ROCPRIM_400000_NS6detail17trampoline_kernelINS0_14default_configENS1_25partition_config_selectorILNS1_17partition_subalgoE5EfNS0_10empty_typeEbEEZZNS1_14partition_implILS5_5ELb0ES3_mN6thrust23THRUST_200600_302600_NS6detail15normal_iteratorINSA_10device_ptrIfEEEEPS6_NSA_18transform_iteratorINSB_9not_fun_tI7is_trueIfEEESF_NSA_11use_defaultESM_EENS0_5tupleIJSF_S6_EEENSO_IJSG_SG_EEES6_PlJS6_EEE10hipError_tPvRmT3_T4_T5_T6_T7_T9_mT8_P12ihipStream_tbDpT10_ENKUlT_T0_E_clISt17integral_constantIbLb1EES1A_IbLb0EEEEDaS16_S17_EUlS16_E_NS1_11comp_targetILNS1_3genE4ELNS1_11target_archE910ELNS1_3gpuE8ELNS1_3repE0EEENS1_30default_config_static_selectorELNS0_4arch9wavefront6targetE0EEEvT1_,comdat
	.protected	_ZN7rocprim17ROCPRIM_400000_NS6detail17trampoline_kernelINS0_14default_configENS1_25partition_config_selectorILNS1_17partition_subalgoE5EfNS0_10empty_typeEbEEZZNS1_14partition_implILS5_5ELb0ES3_mN6thrust23THRUST_200600_302600_NS6detail15normal_iteratorINSA_10device_ptrIfEEEEPS6_NSA_18transform_iteratorINSB_9not_fun_tI7is_trueIfEEESF_NSA_11use_defaultESM_EENS0_5tupleIJSF_S6_EEENSO_IJSG_SG_EEES6_PlJS6_EEE10hipError_tPvRmT3_T4_T5_T6_T7_T9_mT8_P12ihipStream_tbDpT10_ENKUlT_T0_E_clISt17integral_constantIbLb1EES1A_IbLb0EEEEDaS16_S17_EUlS16_E_NS1_11comp_targetILNS1_3genE4ELNS1_11target_archE910ELNS1_3gpuE8ELNS1_3repE0EEENS1_30default_config_static_selectorELNS0_4arch9wavefront6targetE0EEEvT1_ ; -- Begin function _ZN7rocprim17ROCPRIM_400000_NS6detail17trampoline_kernelINS0_14default_configENS1_25partition_config_selectorILNS1_17partition_subalgoE5EfNS0_10empty_typeEbEEZZNS1_14partition_implILS5_5ELb0ES3_mN6thrust23THRUST_200600_302600_NS6detail15normal_iteratorINSA_10device_ptrIfEEEEPS6_NSA_18transform_iteratorINSB_9not_fun_tI7is_trueIfEEESF_NSA_11use_defaultESM_EENS0_5tupleIJSF_S6_EEENSO_IJSG_SG_EEES6_PlJS6_EEE10hipError_tPvRmT3_T4_T5_T6_T7_T9_mT8_P12ihipStream_tbDpT10_ENKUlT_T0_E_clISt17integral_constantIbLb1EES1A_IbLb0EEEEDaS16_S17_EUlS16_E_NS1_11comp_targetILNS1_3genE4ELNS1_11target_archE910ELNS1_3gpuE8ELNS1_3repE0EEENS1_30default_config_static_selectorELNS0_4arch9wavefront6targetE0EEEvT1_
	.globl	_ZN7rocprim17ROCPRIM_400000_NS6detail17trampoline_kernelINS0_14default_configENS1_25partition_config_selectorILNS1_17partition_subalgoE5EfNS0_10empty_typeEbEEZZNS1_14partition_implILS5_5ELb0ES3_mN6thrust23THRUST_200600_302600_NS6detail15normal_iteratorINSA_10device_ptrIfEEEEPS6_NSA_18transform_iteratorINSB_9not_fun_tI7is_trueIfEEESF_NSA_11use_defaultESM_EENS0_5tupleIJSF_S6_EEENSO_IJSG_SG_EEES6_PlJS6_EEE10hipError_tPvRmT3_T4_T5_T6_T7_T9_mT8_P12ihipStream_tbDpT10_ENKUlT_T0_E_clISt17integral_constantIbLb1EES1A_IbLb0EEEEDaS16_S17_EUlS16_E_NS1_11comp_targetILNS1_3genE4ELNS1_11target_archE910ELNS1_3gpuE8ELNS1_3repE0EEENS1_30default_config_static_selectorELNS0_4arch9wavefront6targetE0EEEvT1_
	.p2align	8
	.type	_ZN7rocprim17ROCPRIM_400000_NS6detail17trampoline_kernelINS0_14default_configENS1_25partition_config_selectorILNS1_17partition_subalgoE5EfNS0_10empty_typeEbEEZZNS1_14partition_implILS5_5ELb0ES3_mN6thrust23THRUST_200600_302600_NS6detail15normal_iteratorINSA_10device_ptrIfEEEEPS6_NSA_18transform_iteratorINSB_9not_fun_tI7is_trueIfEEESF_NSA_11use_defaultESM_EENS0_5tupleIJSF_S6_EEENSO_IJSG_SG_EEES6_PlJS6_EEE10hipError_tPvRmT3_T4_T5_T6_T7_T9_mT8_P12ihipStream_tbDpT10_ENKUlT_T0_E_clISt17integral_constantIbLb1EES1A_IbLb0EEEEDaS16_S17_EUlS16_E_NS1_11comp_targetILNS1_3genE4ELNS1_11target_archE910ELNS1_3gpuE8ELNS1_3repE0EEENS1_30default_config_static_selectorELNS0_4arch9wavefront6targetE0EEEvT1_,@function
_ZN7rocprim17ROCPRIM_400000_NS6detail17trampoline_kernelINS0_14default_configENS1_25partition_config_selectorILNS1_17partition_subalgoE5EfNS0_10empty_typeEbEEZZNS1_14partition_implILS5_5ELb0ES3_mN6thrust23THRUST_200600_302600_NS6detail15normal_iteratorINSA_10device_ptrIfEEEEPS6_NSA_18transform_iteratorINSB_9not_fun_tI7is_trueIfEEESF_NSA_11use_defaultESM_EENS0_5tupleIJSF_S6_EEENSO_IJSG_SG_EEES6_PlJS6_EEE10hipError_tPvRmT3_T4_T5_T6_T7_T9_mT8_P12ihipStream_tbDpT10_ENKUlT_T0_E_clISt17integral_constantIbLb1EES1A_IbLb0EEEEDaS16_S17_EUlS16_E_NS1_11comp_targetILNS1_3genE4ELNS1_11target_archE910ELNS1_3gpuE8ELNS1_3repE0EEENS1_30default_config_static_selectorELNS0_4arch9wavefront6targetE0EEEvT1_: ; @_ZN7rocprim17ROCPRIM_400000_NS6detail17trampoline_kernelINS0_14default_configENS1_25partition_config_selectorILNS1_17partition_subalgoE5EfNS0_10empty_typeEbEEZZNS1_14partition_implILS5_5ELb0ES3_mN6thrust23THRUST_200600_302600_NS6detail15normal_iteratorINSA_10device_ptrIfEEEEPS6_NSA_18transform_iteratorINSB_9not_fun_tI7is_trueIfEEESF_NSA_11use_defaultESM_EENS0_5tupleIJSF_S6_EEENSO_IJSG_SG_EEES6_PlJS6_EEE10hipError_tPvRmT3_T4_T5_T6_T7_T9_mT8_P12ihipStream_tbDpT10_ENKUlT_T0_E_clISt17integral_constantIbLb1EES1A_IbLb0EEEEDaS16_S17_EUlS16_E_NS1_11comp_targetILNS1_3genE4ELNS1_11target_archE910ELNS1_3gpuE8ELNS1_3repE0EEENS1_30default_config_static_selectorELNS0_4arch9wavefront6targetE0EEEvT1_
; %bb.0:
	.section	.rodata,"a",@progbits
	.p2align	6, 0x0
	.amdhsa_kernel _ZN7rocprim17ROCPRIM_400000_NS6detail17trampoline_kernelINS0_14default_configENS1_25partition_config_selectorILNS1_17partition_subalgoE5EfNS0_10empty_typeEbEEZZNS1_14partition_implILS5_5ELb0ES3_mN6thrust23THRUST_200600_302600_NS6detail15normal_iteratorINSA_10device_ptrIfEEEEPS6_NSA_18transform_iteratorINSB_9not_fun_tI7is_trueIfEEESF_NSA_11use_defaultESM_EENS0_5tupleIJSF_S6_EEENSO_IJSG_SG_EEES6_PlJS6_EEE10hipError_tPvRmT3_T4_T5_T6_T7_T9_mT8_P12ihipStream_tbDpT10_ENKUlT_T0_E_clISt17integral_constantIbLb1EES1A_IbLb0EEEEDaS16_S17_EUlS16_E_NS1_11comp_targetILNS1_3genE4ELNS1_11target_archE910ELNS1_3gpuE8ELNS1_3repE0EEENS1_30default_config_static_selectorELNS0_4arch9wavefront6targetE0EEEvT1_
		.amdhsa_group_segment_fixed_size 0
		.amdhsa_private_segment_fixed_size 0
		.amdhsa_kernarg_size 120
		.amdhsa_user_sgpr_count 2
		.amdhsa_user_sgpr_dispatch_ptr 0
		.amdhsa_user_sgpr_queue_ptr 0
		.amdhsa_user_sgpr_kernarg_segment_ptr 1
		.amdhsa_user_sgpr_dispatch_id 0
		.amdhsa_user_sgpr_private_segment_size 0
		.amdhsa_wavefront_size32 1
		.amdhsa_uses_dynamic_stack 0
		.amdhsa_enable_private_segment 0
		.amdhsa_system_sgpr_workgroup_id_x 1
		.amdhsa_system_sgpr_workgroup_id_y 0
		.amdhsa_system_sgpr_workgroup_id_z 0
		.amdhsa_system_sgpr_workgroup_info 0
		.amdhsa_system_vgpr_workitem_id 0
		.amdhsa_next_free_vgpr 1
		.amdhsa_next_free_sgpr 1
		.amdhsa_reserve_vcc 0
		.amdhsa_float_round_mode_32 0
		.amdhsa_float_round_mode_16_64 0
		.amdhsa_float_denorm_mode_32 3
		.amdhsa_float_denorm_mode_16_64 3
		.amdhsa_fp16_overflow 0
		.amdhsa_workgroup_processor_mode 1
		.amdhsa_memory_ordered 1
		.amdhsa_forward_progress 1
		.amdhsa_inst_pref_size 0
		.amdhsa_round_robin_scheduling 0
		.amdhsa_exception_fp_ieee_invalid_op 0
		.amdhsa_exception_fp_denorm_src 0
		.amdhsa_exception_fp_ieee_div_zero 0
		.amdhsa_exception_fp_ieee_overflow 0
		.amdhsa_exception_fp_ieee_underflow 0
		.amdhsa_exception_fp_ieee_inexact 0
		.amdhsa_exception_int_div_zero 0
	.end_amdhsa_kernel
	.section	.text._ZN7rocprim17ROCPRIM_400000_NS6detail17trampoline_kernelINS0_14default_configENS1_25partition_config_selectorILNS1_17partition_subalgoE5EfNS0_10empty_typeEbEEZZNS1_14partition_implILS5_5ELb0ES3_mN6thrust23THRUST_200600_302600_NS6detail15normal_iteratorINSA_10device_ptrIfEEEEPS6_NSA_18transform_iteratorINSB_9not_fun_tI7is_trueIfEEESF_NSA_11use_defaultESM_EENS0_5tupleIJSF_S6_EEENSO_IJSG_SG_EEES6_PlJS6_EEE10hipError_tPvRmT3_T4_T5_T6_T7_T9_mT8_P12ihipStream_tbDpT10_ENKUlT_T0_E_clISt17integral_constantIbLb1EES1A_IbLb0EEEEDaS16_S17_EUlS16_E_NS1_11comp_targetILNS1_3genE4ELNS1_11target_archE910ELNS1_3gpuE8ELNS1_3repE0EEENS1_30default_config_static_selectorELNS0_4arch9wavefront6targetE0EEEvT1_,"axG",@progbits,_ZN7rocprim17ROCPRIM_400000_NS6detail17trampoline_kernelINS0_14default_configENS1_25partition_config_selectorILNS1_17partition_subalgoE5EfNS0_10empty_typeEbEEZZNS1_14partition_implILS5_5ELb0ES3_mN6thrust23THRUST_200600_302600_NS6detail15normal_iteratorINSA_10device_ptrIfEEEEPS6_NSA_18transform_iteratorINSB_9not_fun_tI7is_trueIfEEESF_NSA_11use_defaultESM_EENS0_5tupleIJSF_S6_EEENSO_IJSG_SG_EEES6_PlJS6_EEE10hipError_tPvRmT3_T4_T5_T6_T7_T9_mT8_P12ihipStream_tbDpT10_ENKUlT_T0_E_clISt17integral_constantIbLb1EES1A_IbLb0EEEEDaS16_S17_EUlS16_E_NS1_11comp_targetILNS1_3genE4ELNS1_11target_archE910ELNS1_3gpuE8ELNS1_3repE0EEENS1_30default_config_static_selectorELNS0_4arch9wavefront6targetE0EEEvT1_,comdat
.Lfunc_end1353:
	.size	_ZN7rocprim17ROCPRIM_400000_NS6detail17trampoline_kernelINS0_14default_configENS1_25partition_config_selectorILNS1_17partition_subalgoE5EfNS0_10empty_typeEbEEZZNS1_14partition_implILS5_5ELb0ES3_mN6thrust23THRUST_200600_302600_NS6detail15normal_iteratorINSA_10device_ptrIfEEEEPS6_NSA_18transform_iteratorINSB_9not_fun_tI7is_trueIfEEESF_NSA_11use_defaultESM_EENS0_5tupleIJSF_S6_EEENSO_IJSG_SG_EEES6_PlJS6_EEE10hipError_tPvRmT3_T4_T5_T6_T7_T9_mT8_P12ihipStream_tbDpT10_ENKUlT_T0_E_clISt17integral_constantIbLb1EES1A_IbLb0EEEEDaS16_S17_EUlS16_E_NS1_11comp_targetILNS1_3genE4ELNS1_11target_archE910ELNS1_3gpuE8ELNS1_3repE0EEENS1_30default_config_static_selectorELNS0_4arch9wavefront6targetE0EEEvT1_, .Lfunc_end1353-_ZN7rocprim17ROCPRIM_400000_NS6detail17trampoline_kernelINS0_14default_configENS1_25partition_config_selectorILNS1_17partition_subalgoE5EfNS0_10empty_typeEbEEZZNS1_14partition_implILS5_5ELb0ES3_mN6thrust23THRUST_200600_302600_NS6detail15normal_iteratorINSA_10device_ptrIfEEEEPS6_NSA_18transform_iteratorINSB_9not_fun_tI7is_trueIfEEESF_NSA_11use_defaultESM_EENS0_5tupleIJSF_S6_EEENSO_IJSG_SG_EEES6_PlJS6_EEE10hipError_tPvRmT3_T4_T5_T6_T7_T9_mT8_P12ihipStream_tbDpT10_ENKUlT_T0_E_clISt17integral_constantIbLb1EES1A_IbLb0EEEEDaS16_S17_EUlS16_E_NS1_11comp_targetILNS1_3genE4ELNS1_11target_archE910ELNS1_3gpuE8ELNS1_3repE0EEENS1_30default_config_static_selectorELNS0_4arch9wavefront6targetE0EEEvT1_
                                        ; -- End function
	.set _ZN7rocprim17ROCPRIM_400000_NS6detail17trampoline_kernelINS0_14default_configENS1_25partition_config_selectorILNS1_17partition_subalgoE5EfNS0_10empty_typeEbEEZZNS1_14partition_implILS5_5ELb0ES3_mN6thrust23THRUST_200600_302600_NS6detail15normal_iteratorINSA_10device_ptrIfEEEEPS6_NSA_18transform_iteratorINSB_9not_fun_tI7is_trueIfEEESF_NSA_11use_defaultESM_EENS0_5tupleIJSF_S6_EEENSO_IJSG_SG_EEES6_PlJS6_EEE10hipError_tPvRmT3_T4_T5_T6_T7_T9_mT8_P12ihipStream_tbDpT10_ENKUlT_T0_E_clISt17integral_constantIbLb1EES1A_IbLb0EEEEDaS16_S17_EUlS16_E_NS1_11comp_targetILNS1_3genE4ELNS1_11target_archE910ELNS1_3gpuE8ELNS1_3repE0EEENS1_30default_config_static_selectorELNS0_4arch9wavefront6targetE0EEEvT1_.num_vgpr, 0
	.set _ZN7rocprim17ROCPRIM_400000_NS6detail17trampoline_kernelINS0_14default_configENS1_25partition_config_selectorILNS1_17partition_subalgoE5EfNS0_10empty_typeEbEEZZNS1_14partition_implILS5_5ELb0ES3_mN6thrust23THRUST_200600_302600_NS6detail15normal_iteratorINSA_10device_ptrIfEEEEPS6_NSA_18transform_iteratorINSB_9not_fun_tI7is_trueIfEEESF_NSA_11use_defaultESM_EENS0_5tupleIJSF_S6_EEENSO_IJSG_SG_EEES6_PlJS6_EEE10hipError_tPvRmT3_T4_T5_T6_T7_T9_mT8_P12ihipStream_tbDpT10_ENKUlT_T0_E_clISt17integral_constantIbLb1EES1A_IbLb0EEEEDaS16_S17_EUlS16_E_NS1_11comp_targetILNS1_3genE4ELNS1_11target_archE910ELNS1_3gpuE8ELNS1_3repE0EEENS1_30default_config_static_selectorELNS0_4arch9wavefront6targetE0EEEvT1_.num_agpr, 0
	.set _ZN7rocprim17ROCPRIM_400000_NS6detail17trampoline_kernelINS0_14default_configENS1_25partition_config_selectorILNS1_17partition_subalgoE5EfNS0_10empty_typeEbEEZZNS1_14partition_implILS5_5ELb0ES3_mN6thrust23THRUST_200600_302600_NS6detail15normal_iteratorINSA_10device_ptrIfEEEEPS6_NSA_18transform_iteratorINSB_9not_fun_tI7is_trueIfEEESF_NSA_11use_defaultESM_EENS0_5tupleIJSF_S6_EEENSO_IJSG_SG_EEES6_PlJS6_EEE10hipError_tPvRmT3_T4_T5_T6_T7_T9_mT8_P12ihipStream_tbDpT10_ENKUlT_T0_E_clISt17integral_constantIbLb1EES1A_IbLb0EEEEDaS16_S17_EUlS16_E_NS1_11comp_targetILNS1_3genE4ELNS1_11target_archE910ELNS1_3gpuE8ELNS1_3repE0EEENS1_30default_config_static_selectorELNS0_4arch9wavefront6targetE0EEEvT1_.numbered_sgpr, 0
	.set _ZN7rocprim17ROCPRIM_400000_NS6detail17trampoline_kernelINS0_14default_configENS1_25partition_config_selectorILNS1_17partition_subalgoE5EfNS0_10empty_typeEbEEZZNS1_14partition_implILS5_5ELb0ES3_mN6thrust23THRUST_200600_302600_NS6detail15normal_iteratorINSA_10device_ptrIfEEEEPS6_NSA_18transform_iteratorINSB_9not_fun_tI7is_trueIfEEESF_NSA_11use_defaultESM_EENS0_5tupleIJSF_S6_EEENSO_IJSG_SG_EEES6_PlJS6_EEE10hipError_tPvRmT3_T4_T5_T6_T7_T9_mT8_P12ihipStream_tbDpT10_ENKUlT_T0_E_clISt17integral_constantIbLb1EES1A_IbLb0EEEEDaS16_S17_EUlS16_E_NS1_11comp_targetILNS1_3genE4ELNS1_11target_archE910ELNS1_3gpuE8ELNS1_3repE0EEENS1_30default_config_static_selectorELNS0_4arch9wavefront6targetE0EEEvT1_.num_named_barrier, 0
	.set _ZN7rocprim17ROCPRIM_400000_NS6detail17trampoline_kernelINS0_14default_configENS1_25partition_config_selectorILNS1_17partition_subalgoE5EfNS0_10empty_typeEbEEZZNS1_14partition_implILS5_5ELb0ES3_mN6thrust23THRUST_200600_302600_NS6detail15normal_iteratorINSA_10device_ptrIfEEEEPS6_NSA_18transform_iteratorINSB_9not_fun_tI7is_trueIfEEESF_NSA_11use_defaultESM_EENS0_5tupleIJSF_S6_EEENSO_IJSG_SG_EEES6_PlJS6_EEE10hipError_tPvRmT3_T4_T5_T6_T7_T9_mT8_P12ihipStream_tbDpT10_ENKUlT_T0_E_clISt17integral_constantIbLb1EES1A_IbLb0EEEEDaS16_S17_EUlS16_E_NS1_11comp_targetILNS1_3genE4ELNS1_11target_archE910ELNS1_3gpuE8ELNS1_3repE0EEENS1_30default_config_static_selectorELNS0_4arch9wavefront6targetE0EEEvT1_.private_seg_size, 0
	.set _ZN7rocprim17ROCPRIM_400000_NS6detail17trampoline_kernelINS0_14default_configENS1_25partition_config_selectorILNS1_17partition_subalgoE5EfNS0_10empty_typeEbEEZZNS1_14partition_implILS5_5ELb0ES3_mN6thrust23THRUST_200600_302600_NS6detail15normal_iteratorINSA_10device_ptrIfEEEEPS6_NSA_18transform_iteratorINSB_9not_fun_tI7is_trueIfEEESF_NSA_11use_defaultESM_EENS0_5tupleIJSF_S6_EEENSO_IJSG_SG_EEES6_PlJS6_EEE10hipError_tPvRmT3_T4_T5_T6_T7_T9_mT8_P12ihipStream_tbDpT10_ENKUlT_T0_E_clISt17integral_constantIbLb1EES1A_IbLb0EEEEDaS16_S17_EUlS16_E_NS1_11comp_targetILNS1_3genE4ELNS1_11target_archE910ELNS1_3gpuE8ELNS1_3repE0EEENS1_30default_config_static_selectorELNS0_4arch9wavefront6targetE0EEEvT1_.uses_vcc, 0
	.set _ZN7rocprim17ROCPRIM_400000_NS6detail17trampoline_kernelINS0_14default_configENS1_25partition_config_selectorILNS1_17partition_subalgoE5EfNS0_10empty_typeEbEEZZNS1_14partition_implILS5_5ELb0ES3_mN6thrust23THRUST_200600_302600_NS6detail15normal_iteratorINSA_10device_ptrIfEEEEPS6_NSA_18transform_iteratorINSB_9not_fun_tI7is_trueIfEEESF_NSA_11use_defaultESM_EENS0_5tupleIJSF_S6_EEENSO_IJSG_SG_EEES6_PlJS6_EEE10hipError_tPvRmT3_T4_T5_T6_T7_T9_mT8_P12ihipStream_tbDpT10_ENKUlT_T0_E_clISt17integral_constantIbLb1EES1A_IbLb0EEEEDaS16_S17_EUlS16_E_NS1_11comp_targetILNS1_3genE4ELNS1_11target_archE910ELNS1_3gpuE8ELNS1_3repE0EEENS1_30default_config_static_selectorELNS0_4arch9wavefront6targetE0EEEvT1_.uses_flat_scratch, 0
	.set _ZN7rocprim17ROCPRIM_400000_NS6detail17trampoline_kernelINS0_14default_configENS1_25partition_config_selectorILNS1_17partition_subalgoE5EfNS0_10empty_typeEbEEZZNS1_14partition_implILS5_5ELb0ES3_mN6thrust23THRUST_200600_302600_NS6detail15normal_iteratorINSA_10device_ptrIfEEEEPS6_NSA_18transform_iteratorINSB_9not_fun_tI7is_trueIfEEESF_NSA_11use_defaultESM_EENS0_5tupleIJSF_S6_EEENSO_IJSG_SG_EEES6_PlJS6_EEE10hipError_tPvRmT3_T4_T5_T6_T7_T9_mT8_P12ihipStream_tbDpT10_ENKUlT_T0_E_clISt17integral_constantIbLb1EES1A_IbLb0EEEEDaS16_S17_EUlS16_E_NS1_11comp_targetILNS1_3genE4ELNS1_11target_archE910ELNS1_3gpuE8ELNS1_3repE0EEENS1_30default_config_static_selectorELNS0_4arch9wavefront6targetE0EEEvT1_.has_dyn_sized_stack, 0
	.set _ZN7rocprim17ROCPRIM_400000_NS6detail17trampoline_kernelINS0_14default_configENS1_25partition_config_selectorILNS1_17partition_subalgoE5EfNS0_10empty_typeEbEEZZNS1_14partition_implILS5_5ELb0ES3_mN6thrust23THRUST_200600_302600_NS6detail15normal_iteratorINSA_10device_ptrIfEEEEPS6_NSA_18transform_iteratorINSB_9not_fun_tI7is_trueIfEEESF_NSA_11use_defaultESM_EENS0_5tupleIJSF_S6_EEENSO_IJSG_SG_EEES6_PlJS6_EEE10hipError_tPvRmT3_T4_T5_T6_T7_T9_mT8_P12ihipStream_tbDpT10_ENKUlT_T0_E_clISt17integral_constantIbLb1EES1A_IbLb0EEEEDaS16_S17_EUlS16_E_NS1_11comp_targetILNS1_3genE4ELNS1_11target_archE910ELNS1_3gpuE8ELNS1_3repE0EEENS1_30default_config_static_selectorELNS0_4arch9wavefront6targetE0EEEvT1_.has_recursion, 0
	.set _ZN7rocprim17ROCPRIM_400000_NS6detail17trampoline_kernelINS0_14default_configENS1_25partition_config_selectorILNS1_17partition_subalgoE5EfNS0_10empty_typeEbEEZZNS1_14partition_implILS5_5ELb0ES3_mN6thrust23THRUST_200600_302600_NS6detail15normal_iteratorINSA_10device_ptrIfEEEEPS6_NSA_18transform_iteratorINSB_9not_fun_tI7is_trueIfEEESF_NSA_11use_defaultESM_EENS0_5tupleIJSF_S6_EEENSO_IJSG_SG_EEES6_PlJS6_EEE10hipError_tPvRmT3_T4_T5_T6_T7_T9_mT8_P12ihipStream_tbDpT10_ENKUlT_T0_E_clISt17integral_constantIbLb1EES1A_IbLb0EEEEDaS16_S17_EUlS16_E_NS1_11comp_targetILNS1_3genE4ELNS1_11target_archE910ELNS1_3gpuE8ELNS1_3repE0EEENS1_30default_config_static_selectorELNS0_4arch9wavefront6targetE0EEEvT1_.has_indirect_call, 0
	.section	.AMDGPU.csdata,"",@progbits
; Kernel info:
; codeLenInByte = 0
; TotalNumSgprs: 0
; NumVgprs: 0
; ScratchSize: 0
; MemoryBound: 0
; FloatMode: 240
; IeeeMode: 1
; LDSByteSize: 0 bytes/workgroup (compile time only)
; SGPRBlocks: 0
; VGPRBlocks: 0
; NumSGPRsForWavesPerEU: 1
; NumVGPRsForWavesPerEU: 1
; Occupancy: 16
; WaveLimiterHint : 0
; COMPUTE_PGM_RSRC2:SCRATCH_EN: 0
; COMPUTE_PGM_RSRC2:USER_SGPR: 2
; COMPUTE_PGM_RSRC2:TRAP_HANDLER: 0
; COMPUTE_PGM_RSRC2:TGID_X_EN: 1
; COMPUTE_PGM_RSRC2:TGID_Y_EN: 0
; COMPUTE_PGM_RSRC2:TGID_Z_EN: 0
; COMPUTE_PGM_RSRC2:TIDIG_COMP_CNT: 0
	.section	.text._ZN7rocprim17ROCPRIM_400000_NS6detail17trampoline_kernelINS0_14default_configENS1_25partition_config_selectorILNS1_17partition_subalgoE5EfNS0_10empty_typeEbEEZZNS1_14partition_implILS5_5ELb0ES3_mN6thrust23THRUST_200600_302600_NS6detail15normal_iteratorINSA_10device_ptrIfEEEEPS6_NSA_18transform_iteratorINSB_9not_fun_tI7is_trueIfEEESF_NSA_11use_defaultESM_EENS0_5tupleIJSF_S6_EEENSO_IJSG_SG_EEES6_PlJS6_EEE10hipError_tPvRmT3_T4_T5_T6_T7_T9_mT8_P12ihipStream_tbDpT10_ENKUlT_T0_E_clISt17integral_constantIbLb1EES1A_IbLb0EEEEDaS16_S17_EUlS16_E_NS1_11comp_targetILNS1_3genE3ELNS1_11target_archE908ELNS1_3gpuE7ELNS1_3repE0EEENS1_30default_config_static_selectorELNS0_4arch9wavefront6targetE0EEEvT1_,"axG",@progbits,_ZN7rocprim17ROCPRIM_400000_NS6detail17trampoline_kernelINS0_14default_configENS1_25partition_config_selectorILNS1_17partition_subalgoE5EfNS0_10empty_typeEbEEZZNS1_14partition_implILS5_5ELb0ES3_mN6thrust23THRUST_200600_302600_NS6detail15normal_iteratorINSA_10device_ptrIfEEEEPS6_NSA_18transform_iteratorINSB_9not_fun_tI7is_trueIfEEESF_NSA_11use_defaultESM_EENS0_5tupleIJSF_S6_EEENSO_IJSG_SG_EEES6_PlJS6_EEE10hipError_tPvRmT3_T4_T5_T6_T7_T9_mT8_P12ihipStream_tbDpT10_ENKUlT_T0_E_clISt17integral_constantIbLb1EES1A_IbLb0EEEEDaS16_S17_EUlS16_E_NS1_11comp_targetILNS1_3genE3ELNS1_11target_archE908ELNS1_3gpuE7ELNS1_3repE0EEENS1_30default_config_static_selectorELNS0_4arch9wavefront6targetE0EEEvT1_,comdat
	.protected	_ZN7rocprim17ROCPRIM_400000_NS6detail17trampoline_kernelINS0_14default_configENS1_25partition_config_selectorILNS1_17partition_subalgoE5EfNS0_10empty_typeEbEEZZNS1_14partition_implILS5_5ELb0ES3_mN6thrust23THRUST_200600_302600_NS6detail15normal_iteratorINSA_10device_ptrIfEEEEPS6_NSA_18transform_iteratorINSB_9not_fun_tI7is_trueIfEEESF_NSA_11use_defaultESM_EENS0_5tupleIJSF_S6_EEENSO_IJSG_SG_EEES6_PlJS6_EEE10hipError_tPvRmT3_T4_T5_T6_T7_T9_mT8_P12ihipStream_tbDpT10_ENKUlT_T0_E_clISt17integral_constantIbLb1EES1A_IbLb0EEEEDaS16_S17_EUlS16_E_NS1_11comp_targetILNS1_3genE3ELNS1_11target_archE908ELNS1_3gpuE7ELNS1_3repE0EEENS1_30default_config_static_selectorELNS0_4arch9wavefront6targetE0EEEvT1_ ; -- Begin function _ZN7rocprim17ROCPRIM_400000_NS6detail17trampoline_kernelINS0_14default_configENS1_25partition_config_selectorILNS1_17partition_subalgoE5EfNS0_10empty_typeEbEEZZNS1_14partition_implILS5_5ELb0ES3_mN6thrust23THRUST_200600_302600_NS6detail15normal_iteratorINSA_10device_ptrIfEEEEPS6_NSA_18transform_iteratorINSB_9not_fun_tI7is_trueIfEEESF_NSA_11use_defaultESM_EENS0_5tupleIJSF_S6_EEENSO_IJSG_SG_EEES6_PlJS6_EEE10hipError_tPvRmT3_T4_T5_T6_T7_T9_mT8_P12ihipStream_tbDpT10_ENKUlT_T0_E_clISt17integral_constantIbLb1EES1A_IbLb0EEEEDaS16_S17_EUlS16_E_NS1_11comp_targetILNS1_3genE3ELNS1_11target_archE908ELNS1_3gpuE7ELNS1_3repE0EEENS1_30default_config_static_selectorELNS0_4arch9wavefront6targetE0EEEvT1_
	.globl	_ZN7rocprim17ROCPRIM_400000_NS6detail17trampoline_kernelINS0_14default_configENS1_25partition_config_selectorILNS1_17partition_subalgoE5EfNS0_10empty_typeEbEEZZNS1_14partition_implILS5_5ELb0ES3_mN6thrust23THRUST_200600_302600_NS6detail15normal_iteratorINSA_10device_ptrIfEEEEPS6_NSA_18transform_iteratorINSB_9not_fun_tI7is_trueIfEEESF_NSA_11use_defaultESM_EENS0_5tupleIJSF_S6_EEENSO_IJSG_SG_EEES6_PlJS6_EEE10hipError_tPvRmT3_T4_T5_T6_T7_T9_mT8_P12ihipStream_tbDpT10_ENKUlT_T0_E_clISt17integral_constantIbLb1EES1A_IbLb0EEEEDaS16_S17_EUlS16_E_NS1_11comp_targetILNS1_3genE3ELNS1_11target_archE908ELNS1_3gpuE7ELNS1_3repE0EEENS1_30default_config_static_selectorELNS0_4arch9wavefront6targetE0EEEvT1_
	.p2align	8
	.type	_ZN7rocprim17ROCPRIM_400000_NS6detail17trampoline_kernelINS0_14default_configENS1_25partition_config_selectorILNS1_17partition_subalgoE5EfNS0_10empty_typeEbEEZZNS1_14partition_implILS5_5ELb0ES3_mN6thrust23THRUST_200600_302600_NS6detail15normal_iteratorINSA_10device_ptrIfEEEEPS6_NSA_18transform_iteratorINSB_9not_fun_tI7is_trueIfEEESF_NSA_11use_defaultESM_EENS0_5tupleIJSF_S6_EEENSO_IJSG_SG_EEES6_PlJS6_EEE10hipError_tPvRmT3_T4_T5_T6_T7_T9_mT8_P12ihipStream_tbDpT10_ENKUlT_T0_E_clISt17integral_constantIbLb1EES1A_IbLb0EEEEDaS16_S17_EUlS16_E_NS1_11comp_targetILNS1_3genE3ELNS1_11target_archE908ELNS1_3gpuE7ELNS1_3repE0EEENS1_30default_config_static_selectorELNS0_4arch9wavefront6targetE0EEEvT1_,@function
_ZN7rocprim17ROCPRIM_400000_NS6detail17trampoline_kernelINS0_14default_configENS1_25partition_config_selectorILNS1_17partition_subalgoE5EfNS0_10empty_typeEbEEZZNS1_14partition_implILS5_5ELb0ES3_mN6thrust23THRUST_200600_302600_NS6detail15normal_iteratorINSA_10device_ptrIfEEEEPS6_NSA_18transform_iteratorINSB_9not_fun_tI7is_trueIfEEESF_NSA_11use_defaultESM_EENS0_5tupleIJSF_S6_EEENSO_IJSG_SG_EEES6_PlJS6_EEE10hipError_tPvRmT3_T4_T5_T6_T7_T9_mT8_P12ihipStream_tbDpT10_ENKUlT_T0_E_clISt17integral_constantIbLb1EES1A_IbLb0EEEEDaS16_S17_EUlS16_E_NS1_11comp_targetILNS1_3genE3ELNS1_11target_archE908ELNS1_3gpuE7ELNS1_3repE0EEENS1_30default_config_static_selectorELNS0_4arch9wavefront6targetE0EEEvT1_: ; @_ZN7rocprim17ROCPRIM_400000_NS6detail17trampoline_kernelINS0_14default_configENS1_25partition_config_selectorILNS1_17partition_subalgoE5EfNS0_10empty_typeEbEEZZNS1_14partition_implILS5_5ELb0ES3_mN6thrust23THRUST_200600_302600_NS6detail15normal_iteratorINSA_10device_ptrIfEEEEPS6_NSA_18transform_iteratorINSB_9not_fun_tI7is_trueIfEEESF_NSA_11use_defaultESM_EENS0_5tupleIJSF_S6_EEENSO_IJSG_SG_EEES6_PlJS6_EEE10hipError_tPvRmT3_T4_T5_T6_T7_T9_mT8_P12ihipStream_tbDpT10_ENKUlT_T0_E_clISt17integral_constantIbLb1EES1A_IbLb0EEEEDaS16_S17_EUlS16_E_NS1_11comp_targetILNS1_3genE3ELNS1_11target_archE908ELNS1_3gpuE7ELNS1_3repE0EEENS1_30default_config_static_selectorELNS0_4arch9wavefront6targetE0EEEvT1_
; %bb.0:
	.section	.rodata,"a",@progbits
	.p2align	6, 0x0
	.amdhsa_kernel _ZN7rocprim17ROCPRIM_400000_NS6detail17trampoline_kernelINS0_14default_configENS1_25partition_config_selectorILNS1_17partition_subalgoE5EfNS0_10empty_typeEbEEZZNS1_14partition_implILS5_5ELb0ES3_mN6thrust23THRUST_200600_302600_NS6detail15normal_iteratorINSA_10device_ptrIfEEEEPS6_NSA_18transform_iteratorINSB_9not_fun_tI7is_trueIfEEESF_NSA_11use_defaultESM_EENS0_5tupleIJSF_S6_EEENSO_IJSG_SG_EEES6_PlJS6_EEE10hipError_tPvRmT3_T4_T5_T6_T7_T9_mT8_P12ihipStream_tbDpT10_ENKUlT_T0_E_clISt17integral_constantIbLb1EES1A_IbLb0EEEEDaS16_S17_EUlS16_E_NS1_11comp_targetILNS1_3genE3ELNS1_11target_archE908ELNS1_3gpuE7ELNS1_3repE0EEENS1_30default_config_static_selectorELNS0_4arch9wavefront6targetE0EEEvT1_
		.amdhsa_group_segment_fixed_size 0
		.amdhsa_private_segment_fixed_size 0
		.amdhsa_kernarg_size 120
		.amdhsa_user_sgpr_count 2
		.amdhsa_user_sgpr_dispatch_ptr 0
		.amdhsa_user_sgpr_queue_ptr 0
		.amdhsa_user_sgpr_kernarg_segment_ptr 1
		.amdhsa_user_sgpr_dispatch_id 0
		.amdhsa_user_sgpr_private_segment_size 0
		.amdhsa_wavefront_size32 1
		.amdhsa_uses_dynamic_stack 0
		.amdhsa_enable_private_segment 0
		.amdhsa_system_sgpr_workgroup_id_x 1
		.amdhsa_system_sgpr_workgroup_id_y 0
		.amdhsa_system_sgpr_workgroup_id_z 0
		.amdhsa_system_sgpr_workgroup_info 0
		.amdhsa_system_vgpr_workitem_id 0
		.amdhsa_next_free_vgpr 1
		.amdhsa_next_free_sgpr 1
		.amdhsa_reserve_vcc 0
		.amdhsa_float_round_mode_32 0
		.amdhsa_float_round_mode_16_64 0
		.amdhsa_float_denorm_mode_32 3
		.amdhsa_float_denorm_mode_16_64 3
		.amdhsa_fp16_overflow 0
		.amdhsa_workgroup_processor_mode 1
		.amdhsa_memory_ordered 1
		.amdhsa_forward_progress 1
		.amdhsa_inst_pref_size 0
		.amdhsa_round_robin_scheduling 0
		.amdhsa_exception_fp_ieee_invalid_op 0
		.amdhsa_exception_fp_denorm_src 0
		.amdhsa_exception_fp_ieee_div_zero 0
		.amdhsa_exception_fp_ieee_overflow 0
		.amdhsa_exception_fp_ieee_underflow 0
		.amdhsa_exception_fp_ieee_inexact 0
		.amdhsa_exception_int_div_zero 0
	.end_amdhsa_kernel
	.section	.text._ZN7rocprim17ROCPRIM_400000_NS6detail17trampoline_kernelINS0_14default_configENS1_25partition_config_selectorILNS1_17partition_subalgoE5EfNS0_10empty_typeEbEEZZNS1_14partition_implILS5_5ELb0ES3_mN6thrust23THRUST_200600_302600_NS6detail15normal_iteratorINSA_10device_ptrIfEEEEPS6_NSA_18transform_iteratorINSB_9not_fun_tI7is_trueIfEEESF_NSA_11use_defaultESM_EENS0_5tupleIJSF_S6_EEENSO_IJSG_SG_EEES6_PlJS6_EEE10hipError_tPvRmT3_T4_T5_T6_T7_T9_mT8_P12ihipStream_tbDpT10_ENKUlT_T0_E_clISt17integral_constantIbLb1EES1A_IbLb0EEEEDaS16_S17_EUlS16_E_NS1_11comp_targetILNS1_3genE3ELNS1_11target_archE908ELNS1_3gpuE7ELNS1_3repE0EEENS1_30default_config_static_selectorELNS0_4arch9wavefront6targetE0EEEvT1_,"axG",@progbits,_ZN7rocprim17ROCPRIM_400000_NS6detail17trampoline_kernelINS0_14default_configENS1_25partition_config_selectorILNS1_17partition_subalgoE5EfNS0_10empty_typeEbEEZZNS1_14partition_implILS5_5ELb0ES3_mN6thrust23THRUST_200600_302600_NS6detail15normal_iteratorINSA_10device_ptrIfEEEEPS6_NSA_18transform_iteratorINSB_9not_fun_tI7is_trueIfEEESF_NSA_11use_defaultESM_EENS0_5tupleIJSF_S6_EEENSO_IJSG_SG_EEES6_PlJS6_EEE10hipError_tPvRmT3_T4_T5_T6_T7_T9_mT8_P12ihipStream_tbDpT10_ENKUlT_T0_E_clISt17integral_constantIbLb1EES1A_IbLb0EEEEDaS16_S17_EUlS16_E_NS1_11comp_targetILNS1_3genE3ELNS1_11target_archE908ELNS1_3gpuE7ELNS1_3repE0EEENS1_30default_config_static_selectorELNS0_4arch9wavefront6targetE0EEEvT1_,comdat
.Lfunc_end1354:
	.size	_ZN7rocprim17ROCPRIM_400000_NS6detail17trampoline_kernelINS0_14default_configENS1_25partition_config_selectorILNS1_17partition_subalgoE5EfNS0_10empty_typeEbEEZZNS1_14partition_implILS5_5ELb0ES3_mN6thrust23THRUST_200600_302600_NS6detail15normal_iteratorINSA_10device_ptrIfEEEEPS6_NSA_18transform_iteratorINSB_9not_fun_tI7is_trueIfEEESF_NSA_11use_defaultESM_EENS0_5tupleIJSF_S6_EEENSO_IJSG_SG_EEES6_PlJS6_EEE10hipError_tPvRmT3_T4_T5_T6_T7_T9_mT8_P12ihipStream_tbDpT10_ENKUlT_T0_E_clISt17integral_constantIbLb1EES1A_IbLb0EEEEDaS16_S17_EUlS16_E_NS1_11comp_targetILNS1_3genE3ELNS1_11target_archE908ELNS1_3gpuE7ELNS1_3repE0EEENS1_30default_config_static_selectorELNS0_4arch9wavefront6targetE0EEEvT1_, .Lfunc_end1354-_ZN7rocprim17ROCPRIM_400000_NS6detail17trampoline_kernelINS0_14default_configENS1_25partition_config_selectorILNS1_17partition_subalgoE5EfNS0_10empty_typeEbEEZZNS1_14partition_implILS5_5ELb0ES3_mN6thrust23THRUST_200600_302600_NS6detail15normal_iteratorINSA_10device_ptrIfEEEEPS6_NSA_18transform_iteratorINSB_9not_fun_tI7is_trueIfEEESF_NSA_11use_defaultESM_EENS0_5tupleIJSF_S6_EEENSO_IJSG_SG_EEES6_PlJS6_EEE10hipError_tPvRmT3_T4_T5_T6_T7_T9_mT8_P12ihipStream_tbDpT10_ENKUlT_T0_E_clISt17integral_constantIbLb1EES1A_IbLb0EEEEDaS16_S17_EUlS16_E_NS1_11comp_targetILNS1_3genE3ELNS1_11target_archE908ELNS1_3gpuE7ELNS1_3repE0EEENS1_30default_config_static_selectorELNS0_4arch9wavefront6targetE0EEEvT1_
                                        ; -- End function
	.set _ZN7rocprim17ROCPRIM_400000_NS6detail17trampoline_kernelINS0_14default_configENS1_25partition_config_selectorILNS1_17partition_subalgoE5EfNS0_10empty_typeEbEEZZNS1_14partition_implILS5_5ELb0ES3_mN6thrust23THRUST_200600_302600_NS6detail15normal_iteratorINSA_10device_ptrIfEEEEPS6_NSA_18transform_iteratorINSB_9not_fun_tI7is_trueIfEEESF_NSA_11use_defaultESM_EENS0_5tupleIJSF_S6_EEENSO_IJSG_SG_EEES6_PlJS6_EEE10hipError_tPvRmT3_T4_T5_T6_T7_T9_mT8_P12ihipStream_tbDpT10_ENKUlT_T0_E_clISt17integral_constantIbLb1EES1A_IbLb0EEEEDaS16_S17_EUlS16_E_NS1_11comp_targetILNS1_3genE3ELNS1_11target_archE908ELNS1_3gpuE7ELNS1_3repE0EEENS1_30default_config_static_selectorELNS0_4arch9wavefront6targetE0EEEvT1_.num_vgpr, 0
	.set _ZN7rocprim17ROCPRIM_400000_NS6detail17trampoline_kernelINS0_14default_configENS1_25partition_config_selectorILNS1_17partition_subalgoE5EfNS0_10empty_typeEbEEZZNS1_14partition_implILS5_5ELb0ES3_mN6thrust23THRUST_200600_302600_NS6detail15normal_iteratorINSA_10device_ptrIfEEEEPS6_NSA_18transform_iteratorINSB_9not_fun_tI7is_trueIfEEESF_NSA_11use_defaultESM_EENS0_5tupleIJSF_S6_EEENSO_IJSG_SG_EEES6_PlJS6_EEE10hipError_tPvRmT3_T4_T5_T6_T7_T9_mT8_P12ihipStream_tbDpT10_ENKUlT_T0_E_clISt17integral_constantIbLb1EES1A_IbLb0EEEEDaS16_S17_EUlS16_E_NS1_11comp_targetILNS1_3genE3ELNS1_11target_archE908ELNS1_3gpuE7ELNS1_3repE0EEENS1_30default_config_static_selectorELNS0_4arch9wavefront6targetE0EEEvT1_.num_agpr, 0
	.set _ZN7rocprim17ROCPRIM_400000_NS6detail17trampoline_kernelINS0_14default_configENS1_25partition_config_selectorILNS1_17partition_subalgoE5EfNS0_10empty_typeEbEEZZNS1_14partition_implILS5_5ELb0ES3_mN6thrust23THRUST_200600_302600_NS6detail15normal_iteratorINSA_10device_ptrIfEEEEPS6_NSA_18transform_iteratorINSB_9not_fun_tI7is_trueIfEEESF_NSA_11use_defaultESM_EENS0_5tupleIJSF_S6_EEENSO_IJSG_SG_EEES6_PlJS6_EEE10hipError_tPvRmT3_T4_T5_T6_T7_T9_mT8_P12ihipStream_tbDpT10_ENKUlT_T0_E_clISt17integral_constantIbLb1EES1A_IbLb0EEEEDaS16_S17_EUlS16_E_NS1_11comp_targetILNS1_3genE3ELNS1_11target_archE908ELNS1_3gpuE7ELNS1_3repE0EEENS1_30default_config_static_selectorELNS0_4arch9wavefront6targetE0EEEvT1_.numbered_sgpr, 0
	.set _ZN7rocprim17ROCPRIM_400000_NS6detail17trampoline_kernelINS0_14default_configENS1_25partition_config_selectorILNS1_17partition_subalgoE5EfNS0_10empty_typeEbEEZZNS1_14partition_implILS5_5ELb0ES3_mN6thrust23THRUST_200600_302600_NS6detail15normal_iteratorINSA_10device_ptrIfEEEEPS6_NSA_18transform_iteratorINSB_9not_fun_tI7is_trueIfEEESF_NSA_11use_defaultESM_EENS0_5tupleIJSF_S6_EEENSO_IJSG_SG_EEES6_PlJS6_EEE10hipError_tPvRmT3_T4_T5_T6_T7_T9_mT8_P12ihipStream_tbDpT10_ENKUlT_T0_E_clISt17integral_constantIbLb1EES1A_IbLb0EEEEDaS16_S17_EUlS16_E_NS1_11comp_targetILNS1_3genE3ELNS1_11target_archE908ELNS1_3gpuE7ELNS1_3repE0EEENS1_30default_config_static_selectorELNS0_4arch9wavefront6targetE0EEEvT1_.num_named_barrier, 0
	.set _ZN7rocprim17ROCPRIM_400000_NS6detail17trampoline_kernelINS0_14default_configENS1_25partition_config_selectorILNS1_17partition_subalgoE5EfNS0_10empty_typeEbEEZZNS1_14partition_implILS5_5ELb0ES3_mN6thrust23THRUST_200600_302600_NS6detail15normal_iteratorINSA_10device_ptrIfEEEEPS6_NSA_18transform_iteratorINSB_9not_fun_tI7is_trueIfEEESF_NSA_11use_defaultESM_EENS0_5tupleIJSF_S6_EEENSO_IJSG_SG_EEES6_PlJS6_EEE10hipError_tPvRmT3_T4_T5_T6_T7_T9_mT8_P12ihipStream_tbDpT10_ENKUlT_T0_E_clISt17integral_constantIbLb1EES1A_IbLb0EEEEDaS16_S17_EUlS16_E_NS1_11comp_targetILNS1_3genE3ELNS1_11target_archE908ELNS1_3gpuE7ELNS1_3repE0EEENS1_30default_config_static_selectorELNS0_4arch9wavefront6targetE0EEEvT1_.private_seg_size, 0
	.set _ZN7rocprim17ROCPRIM_400000_NS6detail17trampoline_kernelINS0_14default_configENS1_25partition_config_selectorILNS1_17partition_subalgoE5EfNS0_10empty_typeEbEEZZNS1_14partition_implILS5_5ELb0ES3_mN6thrust23THRUST_200600_302600_NS6detail15normal_iteratorINSA_10device_ptrIfEEEEPS6_NSA_18transform_iteratorINSB_9not_fun_tI7is_trueIfEEESF_NSA_11use_defaultESM_EENS0_5tupleIJSF_S6_EEENSO_IJSG_SG_EEES6_PlJS6_EEE10hipError_tPvRmT3_T4_T5_T6_T7_T9_mT8_P12ihipStream_tbDpT10_ENKUlT_T0_E_clISt17integral_constantIbLb1EES1A_IbLb0EEEEDaS16_S17_EUlS16_E_NS1_11comp_targetILNS1_3genE3ELNS1_11target_archE908ELNS1_3gpuE7ELNS1_3repE0EEENS1_30default_config_static_selectorELNS0_4arch9wavefront6targetE0EEEvT1_.uses_vcc, 0
	.set _ZN7rocprim17ROCPRIM_400000_NS6detail17trampoline_kernelINS0_14default_configENS1_25partition_config_selectorILNS1_17partition_subalgoE5EfNS0_10empty_typeEbEEZZNS1_14partition_implILS5_5ELb0ES3_mN6thrust23THRUST_200600_302600_NS6detail15normal_iteratorINSA_10device_ptrIfEEEEPS6_NSA_18transform_iteratorINSB_9not_fun_tI7is_trueIfEEESF_NSA_11use_defaultESM_EENS0_5tupleIJSF_S6_EEENSO_IJSG_SG_EEES6_PlJS6_EEE10hipError_tPvRmT3_T4_T5_T6_T7_T9_mT8_P12ihipStream_tbDpT10_ENKUlT_T0_E_clISt17integral_constantIbLb1EES1A_IbLb0EEEEDaS16_S17_EUlS16_E_NS1_11comp_targetILNS1_3genE3ELNS1_11target_archE908ELNS1_3gpuE7ELNS1_3repE0EEENS1_30default_config_static_selectorELNS0_4arch9wavefront6targetE0EEEvT1_.uses_flat_scratch, 0
	.set _ZN7rocprim17ROCPRIM_400000_NS6detail17trampoline_kernelINS0_14default_configENS1_25partition_config_selectorILNS1_17partition_subalgoE5EfNS0_10empty_typeEbEEZZNS1_14partition_implILS5_5ELb0ES3_mN6thrust23THRUST_200600_302600_NS6detail15normal_iteratorINSA_10device_ptrIfEEEEPS6_NSA_18transform_iteratorINSB_9not_fun_tI7is_trueIfEEESF_NSA_11use_defaultESM_EENS0_5tupleIJSF_S6_EEENSO_IJSG_SG_EEES6_PlJS6_EEE10hipError_tPvRmT3_T4_T5_T6_T7_T9_mT8_P12ihipStream_tbDpT10_ENKUlT_T0_E_clISt17integral_constantIbLb1EES1A_IbLb0EEEEDaS16_S17_EUlS16_E_NS1_11comp_targetILNS1_3genE3ELNS1_11target_archE908ELNS1_3gpuE7ELNS1_3repE0EEENS1_30default_config_static_selectorELNS0_4arch9wavefront6targetE0EEEvT1_.has_dyn_sized_stack, 0
	.set _ZN7rocprim17ROCPRIM_400000_NS6detail17trampoline_kernelINS0_14default_configENS1_25partition_config_selectorILNS1_17partition_subalgoE5EfNS0_10empty_typeEbEEZZNS1_14partition_implILS5_5ELb0ES3_mN6thrust23THRUST_200600_302600_NS6detail15normal_iteratorINSA_10device_ptrIfEEEEPS6_NSA_18transform_iteratorINSB_9not_fun_tI7is_trueIfEEESF_NSA_11use_defaultESM_EENS0_5tupleIJSF_S6_EEENSO_IJSG_SG_EEES6_PlJS6_EEE10hipError_tPvRmT3_T4_T5_T6_T7_T9_mT8_P12ihipStream_tbDpT10_ENKUlT_T0_E_clISt17integral_constantIbLb1EES1A_IbLb0EEEEDaS16_S17_EUlS16_E_NS1_11comp_targetILNS1_3genE3ELNS1_11target_archE908ELNS1_3gpuE7ELNS1_3repE0EEENS1_30default_config_static_selectorELNS0_4arch9wavefront6targetE0EEEvT1_.has_recursion, 0
	.set _ZN7rocprim17ROCPRIM_400000_NS6detail17trampoline_kernelINS0_14default_configENS1_25partition_config_selectorILNS1_17partition_subalgoE5EfNS0_10empty_typeEbEEZZNS1_14partition_implILS5_5ELb0ES3_mN6thrust23THRUST_200600_302600_NS6detail15normal_iteratorINSA_10device_ptrIfEEEEPS6_NSA_18transform_iteratorINSB_9not_fun_tI7is_trueIfEEESF_NSA_11use_defaultESM_EENS0_5tupleIJSF_S6_EEENSO_IJSG_SG_EEES6_PlJS6_EEE10hipError_tPvRmT3_T4_T5_T6_T7_T9_mT8_P12ihipStream_tbDpT10_ENKUlT_T0_E_clISt17integral_constantIbLb1EES1A_IbLb0EEEEDaS16_S17_EUlS16_E_NS1_11comp_targetILNS1_3genE3ELNS1_11target_archE908ELNS1_3gpuE7ELNS1_3repE0EEENS1_30default_config_static_selectorELNS0_4arch9wavefront6targetE0EEEvT1_.has_indirect_call, 0
	.section	.AMDGPU.csdata,"",@progbits
; Kernel info:
; codeLenInByte = 0
; TotalNumSgprs: 0
; NumVgprs: 0
; ScratchSize: 0
; MemoryBound: 0
; FloatMode: 240
; IeeeMode: 1
; LDSByteSize: 0 bytes/workgroup (compile time only)
; SGPRBlocks: 0
; VGPRBlocks: 0
; NumSGPRsForWavesPerEU: 1
; NumVGPRsForWavesPerEU: 1
; Occupancy: 16
; WaveLimiterHint : 0
; COMPUTE_PGM_RSRC2:SCRATCH_EN: 0
; COMPUTE_PGM_RSRC2:USER_SGPR: 2
; COMPUTE_PGM_RSRC2:TRAP_HANDLER: 0
; COMPUTE_PGM_RSRC2:TGID_X_EN: 1
; COMPUTE_PGM_RSRC2:TGID_Y_EN: 0
; COMPUTE_PGM_RSRC2:TGID_Z_EN: 0
; COMPUTE_PGM_RSRC2:TIDIG_COMP_CNT: 0
	.section	.text._ZN7rocprim17ROCPRIM_400000_NS6detail17trampoline_kernelINS0_14default_configENS1_25partition_config_selectorILNS1_17partition_subalgoE5EfNS0_10empty_typeEbEEZZNS1_14partition_implILS5_5ELb0ES3_mN6thrust23THRUST_200600_302600_NS6detail15normal_iteratorINSA_10device_ptrIfEEEEPS6_NSA_18transform_iteratorINSB_9not_fun_tI7is_trueIfEEESF_NSA_11use_defaultESM_EENS0_5tupleIJSF_S6_EEENSO_IJSG_SG_EEES6_PlJS6_EEE10hipError_tPvRmT3_T4_T5_T6_T7_T9_mT8_P12ihipStream_tbDpT10_ENKUlT_T0_E_clISt17integral_constantIbLb1EES1A_IbLb0EEEEDaS16_S17_EUlS16_E_NS1_11comp_targetILNS1_3genE2ELNS1_11target_archE906ELNS1_3gpuE6ELNS1_3repE0EEENS1_30default_config_static_selectorELNS0_4arch9wavefront6targetE0EEEvT1_,"axG",@progbits,_ZN7rocprim17ROCPRIM_400000_NS6detail17trampoline_kernelINS0_14default_configENS1_25partition_config_selectorILNS1_17partition_subalgoE5EfNS0_10empty_typeEbEEZZNS1_14partition_implILS5_5ELb0ES3_mN6thrust23THRUST_200600_302600_NS6detail15normal_iteratorINSA_10device_ptrIfEEEEPS6_NSA_18transform_iteratorINSB_9not_fun_tI7is_trueIfEEESF_NSA_11use_defaultESM_EENS0_5tupleIJSF_S6_EEENSO_IJSG_SG_EEES6_PlJS6_EEE10hipError_tPvRmT3_T4_T5_T6_T7_T9_mT8_P12ihipStream_tbDpT10_ENKUlT_T0_E_clISt17integral_constantIbLb1EES1A_IbLb0EEEEDaS16_S17_EUlS16_E_NS1_11comp_targetILNS1_3genE2ELNS1_11target_archE906ELNS1_3gpuE6ELNS1_3repE0EEENS1_30default_config_static_selectorELNS0_4arch9wavefront6targetE0EEEvT1_,comdat
	.protected	_ZN7rocprim17ROCPRIM_400000_NS6detail17trampoline_kernelINS0_14default_configENS1_25partition_config_selectorILNS1_17partition_subalgoE5EfNS0_10empty_typeEbEEZZNS1_14partition_implILS5_5ELb0ES3_mN6thrust23THRUST_200600_302600_NS6detail15normal_iteratorINSA_10device_ptrIfEEEEPS6_NSA_18transform_iteratorINSB_9not_fun_tI7is_trueIfEEESF_NSA_11use_defaultESM_EENS0_5tupleIJSF_S6_EEENSO_IJSG_SG_EEES6_PlJS6_EEE10hipError_tPvRmT3_T4_T5_T6_T7_T9_mT8_P12ihipStream_tbDpT10_ENKUlT_T0_E_clISt17integral_constantIbLb1EES1A_IbLb0EEEEDaS16_S17_EUlS16_E_NS1_11comp_targetILNS1_3genE2ELNS1_11target_archE906ELNS1_3gpuE6ELNS1_3repE0EEENS1_30default_config_static_selectorELNS0_4arch9wavefront6targetE0EEEvT1_ ; -- Begin function _ZN7rocprim17ROCPRIM_400000_NS6detail17trampoline_kernelINS0_14default_configENS1_25partition_config_selectorILNS1_17partition_subalgoE5EfNS0_10empty_typeEbEEZZNS1_14partition_implILS5_5ELb0ES3_mN6thrust23THRUST_200600_302600_NS6detail15normal_iteratorINSA_10device_ptrIfEEEEPS6_NSA_18transform_iteratorINSB_9not_fun_tI7is_trueIfEEESF_NSA_11use_defaultESM_EENS0_5tupleIJSF_S6_EEENSO_IJSG_SG_EEES6_PlJS6_EEE10hipError_tPvRmT3_T4_T5_T6_T7_T9_mT8_P12ihipStream_tbDpT10_ENKUlT_T0_E_clISt17integral_constantIbLb1EES1A_IbLb0EEEEDaS16_S17_EUlS16_E_NS1_11comp_targetILNS1_3genE2ELNS1_11target_archE906ELNS1_3gpuE6ELNS1_3repE0EEENS1_30default_config_static_selectorELNS0_4arch9wavefront6targetE0EEEvT1_
	.globl	_ZN7rocprim17ROCPRIM_400000_NS6detail17trampoline_kernelINS0_14default_configENS1_25partition_config_selectorILNS1_17partition_subalgoE5EfNS0_10empty_typeEbEEZZNS1_14partition_implILS5_5ELb0ES3_mN6thrust23THRUST_200600_302600_NS6detail15normal_iteratorINSA_10device_ptrIfEEEEPS6_NSA_18transform_iteratorINSB_9not_fun_tI7is_trueIfEEESF_NSA_11use_defaultESM_EENS0_5tupleIJSF_S6_EEENSO_IJSG_SG_EEES6_PlJS6_EEE10hipError_tPvRmT3_T4_T5_T6_T7_T9_mT8_P12ihipStream_tbDpT10_ENKUlT_T0_E_clISt17integral_constantIbLb1EES1A_IbLb0EEEEDaS16_S17_EUlS16_E_NS1_11comp_targetILNS1_3genE2ELNS1_11target_archE906ELNS1_3gpuE6ELNS1_3repE0EEENS1_30default_config_static_selectorELNS0_4arch9wavefront6targetE0EEEvT1_
	.p2align	8
	.type	_ZN7rocprim17ROCPRIM_400000_NS6detail17trampoline_kernelINS0_14default_configENS1_25partition_config_selectorILNS1_17partition_subalgoE5EfNS0_10empty_typeEbEEZZNS1_14partition_implILS5_5ELb0ES3_mN6thrust23THRUST_200600_302600_NS6detail15normal_iteratorINSA_10device_ptrIfEEEEPS6_NSA_18transform_iteratorINSB_9not_fun_tI7is_trueIfEEESF_NSA_11use_defaultESM_EENS0_5tupleIJSF_S6_EEENSO_IJSG_SG_EEES6_PlJS6_EEE10hipError_tPvRmT3_T4_T5_T6_T7_T9_mT8_P12ihipStream_tbDpT10_ENKUlT_T0_E_clISt17integral_constantIbLb1EES1A_IbLb0EEEEDaS16_S17_EUlS16_E_NS1_11comp_targetILNS1_3genE2ELNS1_11target_archE906ELNS1_3gpuE6ELNS1_3repE0EEENS1_30default_config_static_selectorELNS0_4arch9wavefront6targetE0EEEvT1_,@function
_ZN7rocprim17ROCPRIM_400000_NS6detail17trampoline_kernelINS0_14default_configENS1_25partition_config_selectorILNS1_17partition_subalgoE5EfNS0_10empty_typeEbEEZZNS1_14partition_implILS5_5ELb0ES3_mN6thrust23THRUST_200600_302600_NS6detail15normal_iteratorINSA_10device_ptrIfEEEEPS6_NSA_18transform_iteratorINSB_9not_fun_tI7is_trueIfEEESF_NSA_11use_defaultESM_EENS0_5tupleIJSF_S6_EEENSO_IJSG_SG_EEES6_PlJS6_EEE10hipError_tPvRmT3_T4_T5_T6_T7_T9_mT8_P12ihipStream_tbDpT10_ENKUlT_T0_E_clISt17integral_constantIbLb1EES1A_IbLb0EEEEDaS16_S17_EUlS16_E_NS1_11comp_targetILNS1_3genE2ELNS1_11target_archE906ELNS1_3gpuE6ELNS1_3repE0EEENS1_30default_config_static_selectorELNS0_4arch9wavefront6targetE0EEEvT1_: ; @_ZN7rocprim17ROCPRIM_400000_NS6detail17trampoline_kernelINS0_14default_configENS1_25partition_config_selectorILNS1_17partition_subalgoE5EfNS0_10empty_typeEbEEZZNS1_14partition_implILS5_5ELb0ES3_mN6thrust23THRUST_200600_302600_NS6detail15normal_iteratorINSA_10device_ptrIfEEEEPS6_NSA_18transform_iteratorINSB_9not_fun_tI7is_trueIfEEESF_NSA_11use_defaultESM_EENS0_5tupleIJSF_S6_EEENSO_IJSG_SG_EEES6_PlJS6_EEE10hipError_tPvRmT3_T4_T5_T6_T7_T9_mT8_P12ihipStream_tbDpT10_ENKUlT_T0_E_clISt17integral_constantIbLb1EES1A_IbLb0EEEEDaS16_S17_EUlS16_E_NS1_11comp_targetILNS1_3genE2ELNS1_11target_archE906ELNS1_3gpuE6ELNS1_3repE0EEENS1_30default_config_static_selectorELNS0_4arch9wavefront6targetE0EEEvT1_
; %bb.0:
	.section	.rodata,"a",@progbits
	.p2align	6, 0x0
	.amdhsa_kernel _ZN7rocprim17ROCPRIM_400000_NS6detail17trampoline_kernelINS0_14default_configENS1_25partition_config_selectorILNS1_17partition_subalgoE5EfNS0_10empty_typeEbEEZZNS1_14partition_implILS5_5ELb0ES3_mN6thrust23THRUST_200600_302600_NS6detail15normal_iteratorINSA_10device_ptrIfEEEEPS6_NSA_18transform_iteratorINSB_9not_fun_tI7is_trueIfEEESF_NSA_11use_defaultESM_EENS0_5tupleIJSF_S6_EEENSO_IJSG_SG_EEES6_PlJS6_EEE10hipError_tPvRmT3_T4_T5_T6_T7_T9_mT8_P12ihipStream_tbDpT10_ENKUlT_T0_E_clISt17integral_constantIbLb1EES1A_IbLb0EEEEDaS16_S17_EUlS16_E_NS1_11comp_targetILNS1_3genE2ELNS1_11target_archE906ELNS1_3gpuE6ELNS1_3repE0EEENS1_30default_config_static_selectorELNS0_4arch9wavefront6targetE0EEEvT1_
		.amdhsa_group_segment_fixed_size 0
		.amdhsa_private_segment_fixed_size 0
		.amdhsa_kernarg_size 120
		.amdhsa_user_sgpr_count 2
		.amdhsa_user_sgpr_dispatch_ptr 0
		.amdhsa_user_sgpr_queue_ptr 0
		.amdhsa_user_sgpr_kernarg_segment_ptr 1
		.amdhsa_user_sgpr_dispatch_id 0
		.amdhsa_user_sgpr_private_segment_size 0
		.amdhsa_wavefront_size32 1
		.amdhsa_uses_dynamic_stack 0
		.amdhsa_enable_private_segment 0
		.amdhsa_system_sgpr_workgroup_id_x 1
		.amdhsa_system_sgpr_workgroup_id_y 0
		.amdhsa_system_sgpr_workgroup_id_z 0
		.amdhsa_system_sgpr_workgroup_info 0
		.amdhsa_system_vgpr_workitem_id 0
		.amdhsa_next_free_vgpr 1
		.amdhsa_next_free_sgpr 1
		.amdhsa_reserve_vcc 0
		.amdhsa_float_round_mode_32 0
		.amdhsa_float_round_mode_16_64 0
		.amdhsa_float_denorm_mode_32 3
		.amdhsa_float_denorm_mode_16_64 3
		.amdhsa_fp16_overflow 0
		.amdhsa_workgroup_processor_mode 1
		.amdhsa_memory_ordered 1
		.amdhsa_forward_progress 1
		.amdhsa_inst_pref_size 0
		.amdhsa_round_robin_scheduling 0
		.amdhsa_exception_fp_ieee_invalid_op 0
		.amdhsa_exception_fp_denorm_src 0
		.amdhsa_exception_fp_ieee_div_zero 0
		.amdhsa_exception_fp_ieee_overflow 0
		.amdhsa_exception_fp_ieee_underflow 0
		.amdhsa_exception_fp_ieee_inexact 0
		.amdhsa_exception_int_div_zero 0
	.end_amdhsa_kernel
	.section	.text._ZN7rocprim17ROCPRIM_400000_NS6detail17trampoline_kernelINS0_14default_configENS1_25partition_config_selectorILNS1_17partition_subalgoE5EfNS0_10empty_typeEbEEZZNS1_14partition_implILS5_5ELb0ES3_mN6thrust23THRUST_200600_302600_NS6detail15normal_iteratorINSA_10device_ptrIfEEEEPS6_NSA_18transform_iteratorINSB_9not_fun_tI7is_trueIfEEESF_NSA_11use_defaultESM_EENS0_5tupleIJSF_S6_EEENSO_IJSG_SG_EEES6_PlJS6_EEE10hipError_tPvRmT3_T4_T5_T6_T7_T9_mT8_P12ihipStream_tbDpT10_ENKUlT_T0_E_clISt17integral_constantIbLb1EES1A_IbLb0EEEEDaS16_S17_EUlS16_E_NS1_11comp_targetILNS1_3genE2ELNS1_11target_archE906ELNS1_3gpuE6ELNS1_3repE0EEENS1_30default_config_static_selectorELNS0_4arch9wavefront6targetE0EEEvT1_,"axG",@progbits,_ZN7rocprim17ROCPRIM_400000_NS6detail17trampoline_kernelINS0_14default_configENS1_25partition_config_selectorILNS1_17partition_subalgoE5EfNS0_10empty_typeEbEEZZNS1_14partition_implILS5_5ELb0ES3_mN6thrust23THRUST_200600_302600_NS6detail15normal_iteratorINSA_10device_ptrIfEEEEPS6_NSA_18transform_iteratorINSB_9not_fun_tI7is_trueIfEEESF_NSA_11use_defaultESM_EENS0_5tupleIJSF_S6_EEENSO_IJSG_SG_EEES6_PlJS6_EEE10hipError_tPvRmT3_T4_T5_T6_T7_T9_mT8_P12ihipStream_tbDpT10_ENKUlT_T0_E_clISt17integral_constantIbLb1EES1A_IbLb0EEEEDaS16_S17_EUlS16_E_NS1_11comp_targetILNS1_3genE2ELNS1_11target_archE906ELNS1_3gpuE6ELNS1_3repE0EEENS1_30default_config_static_selectorELNS0_4arch9wavefront6targetE0EEEvT1_,comdat
.Lfunc_end1355:
	.size	_ZN7rocprim17ROCPRIM_400000_NS6detail17trampoline_kernelINS0_14default_configENS1_25partition_config_selectorILNS1_17partition_subalgoE5EfNS0_10empty_typeEbEEZZNS1_14partition_implILS5_5ELb0ES3_mN6thrust23THRUST_200600_302600_NS6detail15normal_iteratorINSA_10device_ptrIfEEEEPS6_NSA_18transform_iteratorINSB_9not_fun_tI7is_trueIfEEESF_NSA_11use_defaultESM_EENS0_5tupleIJSF_S6_EEENSO_IJSG_SG_EEES6_PlJS6_EEE10hipError_tPvRmT3_T4_T5_T6_T7_T9_mT8_P12ihipStream_tbDpT10_ENKUlT_T0_E_clISt17integral_constantIbLb1EES1A_IbLb0EEEEDaS16_S17_EUlS16_E_NS1_11comp_targetILNS1_3genE2ELNS1_11target_archE906ELNS1_3gpuE6ELNS1_3repE0EEENS1_30default_config_static_selectorELNS0_4arch9wavefront6targetE0EEEvT1_, .Lfunc_end1355-_ZN7rocprim17ROCPRIM_400000_NS6detail17trampoline_kernelINS0_14default_configENS1_25partition_config_selectorILNS1_17partition_subalgoE5EfNS0_10empty_typeEbEEZZNS1_14partition_implILS5_5ELb0ES3_mN6thrust23THRUST_200600_302600_NS6detail15normal_iteratorINSA_10device_ptrIfEEEEPS6_NSA_18transform_iteratorINSB_9not_fun_tI7is_trueIfEEESF_NSA_11use_defaultESM_EENS0_5tupleIJSF_S6_EEENSO_IJSG_SG_EEES6_PlJS6_EEE10hipError_tPvRmT3_T4_T5_T6_T7_T9_mT8_P12ihipStream_tbDpT10_ENKUlT_T0_E_clISt17integral_constantIbLb1EES1A_IbLb0EEEEDaS16_S17_EUlS16_E_NS1_11comp_targetILNS1_3genE2ELNS1_11target_archE906ELNS1_3gpuE6ELNS1_3repE0EEENS1_30default_config_static_selectorELNS0_4arch9wavefront6targetE0EEEvT1_
                                        ; -- End function
	.set _ZN7rocprim17ROCPRIM_400000_NS6detail17trampoline_kernelINS0_14default_configENS1_25partition_config_selectorILNS1_17partition_subalgoE5EfNS0_10empty_typeEbEEZZNS1_14partition_implILS5_5ELb0ES3_mN6thrust23THRUST_200600_302600_NS6detail15normal_iteratorINSA_10device_ptrIfEEEEPS6_NSA_18transform_iteratorINSB_9not_fun_tI7is_trueIfEEESF_NSA_11use_defaultESM_EENS0_5tupleIJSF_S6_EEENSO_IJSG_SG_EEES6_PlJS6_EEE10hipError_tPvRmT3_T4_T5_T6_T7_T9_mT8_P12ihipStream_tbDpT10_ENKUlT_T0_E_clISt17integral_constantIbLb1EES1A_IbLb0EEEEDaS16_S17_EUlS16_E_NS1_11comp_targetILNS1_3genE2ELNS1_11target_archE906ELNS1_3gpuE6ELNS1_3repE0EEENS1_30default_config_static_selectorELNS0_4arch9wavefront6targetE0EEEvT1_.num_vgpr, 0
	.set _ZN7rocprim17ROCPRIM_400000_NS6detail17trampoline_kernelINS0_14default_configENS1_25partition_config_selectorILNS1_17partition_subalgoE5EfNS0_10empty_typeEbEEZZNS1_14partition_implILS5_5ELb0ES3_mN6thrust23THRUST_200600_302600_NS6detail15normal_iteratorINSA_10device_ptrIfEEEEPS6_NSA_18transform_iteratorINSB_9not_fun_tI7is_trueIfEEESF_NSA_11use_defaultESM_EENS0_5tupleIJSF_S6_EEENSO_IJSG_SG_EEES6_PlJS6_EEE10hipError_tPvRmT3_T4_T5_T6_T7_T9_mT8_P12ihipStream_tbDpT10_ENKUlT_T0_E_clISt17integral_constantIbLb1EES1A_IbLb0EEEEDaS16_S17_EUlS16_E_NS1_11comp_targetILNS1_3genE2ELNS1_11target_archE906ELNS1_3gpuE6ELNS1_3repE0EEENS1_30default_config_static_selectorELNS0_4arch9wavefront6targetE0EEEvT1_.num_agpr, 0
	.set _ZN7rocprim17ROCPRIM_400000_NS6detail17trampoline_kernelINS0_14default_configENS1_25partition_config_selectorILNS1_17partition_subalgoE5EfNS0_10empty_typeEbEEZZNS1_14partition_implILS5_5ELb0ES3_mN6thrust23THRUST_200600_302600_NS6detail15normal_iteratorINSA_10device_ptrIfEEEEPS6_NSA_18transform_iteratorINSB_9not_fun_tI7is_trueIfEEESF_NSA_11use_defaultESM_EENS0_5tupleIJSF_S6_EEENSO_IJSG_SG_EEES6_PlJS6_EEE10hipError_tPvRmT3_T4_T5_T6_T7_T9_mT8_P12ihipStream_tbDpT10_ENKUlT_T0_E_clISt17integral_constantIbLb1EES1A_IbLb0EEEEDaS16_S17_EUlS16_E_NS1_11comp_targetILNS1_3genE2ELNS1_11target_archE906ELNS1_3gpuE6ELNS1_3repE0EEENS1_30default_config_static_selectorELNS0_4arch9wavefront6targetE0EEEvT1_.numbered_sgpr, 0
	.set _ZN7rocprim17ROCPRIM_400000_NS6detail17trampoline_kernelINS0_14default_configENS1_25partition_config_selectorILNS1_17partition_subalgoE5EfNS0_10empty_typeEbEEZZNS1_14partition_implILS5_5ELb0ES3_mN6thrust23THRUST_200600_302600_NS6detail15normal_iteratorINSA_10device_ptrIfEEEEPS6_NSA_18transform_iteratorINSB_9not_fun_tI7is_trueIfEEESF_NSA_11use_defaultESM_EENS0_5tupleIJSF_S6_EEENSO_IJSG_SG_EEES6_PlJS6_EEE10hipError_tPvRmT3_T4_T5_T6_T7_T9_mT8_P12ihipStream_tbDpT10_ENKUlT_T0_E_clISt17integral_constantIbLb1EES1A_IbLb0EEEEDaS16_S17_EUlS16_E_NS1_11comp_targetILNS1_3genE2ELNS1_11target_archE906ELNS1_3gpuE6ELNS1_3repE0EEENS1_30default_config_static_selectorELNS0_4arch9wavefront6targetE0EEEvT1_.num_named_barrier, 0
	.set _ZN7rocprim17ROCPRIM_400000_NS6detail17trampoline_kernelINS0_14default_configENS1_25partition_config_selectorILNS1_17partition_subalgoE5EfNS0_10empty_typeEbEEZZNS1_14partition_implILS5_5ELb0ES3_mN6thrust23THRUST_200600_302600_NS6detail15normal_iteratorINSA_10device_ptrIfEEEEPS6_NSA_18transform_iteratorINSB_9not_fun_tI7is_trueIfEEESF_NSA_11use_defaultESM_EENS0_5tupleIJSF_S6_EEENSO_IJSG_SG_EEES6_PlJS6_EEE10hipError_tPvRmT3_T4_T5_T6_T7_T9_mT8_P12ihipStream_tbDpT10_ENKUlT_T0_E_clISt17integral_constantIbLb1EES1A_IbLb0EEEEDaS16_S17_EUlS16_E_NS1_11comp_targetILNS1_3genE2ELNS1_11target_archE906ELNS1_3gpuE6ELNS1_3repE0EEENS1_30default_config_static_selectorELNS0_4arch9wavefront6targetE0EEEvT1_.private_seg_size, 0
	.set _ZN7rocprim17ROCPRIM_400000_NS6detail17trampoline_kernelINS0_14default_configENS1_25partition_config_selectorILNS1_17partition_subalgoE5EfNS0_10empty_typeEbEEZZNS1_14partition_implILS5_5ELb0ES3_mN6thrust23THRUST_200600_302600_NS6detail15normal_iteratorINSA_10device_ptrIfEEEEPS6_NSA_18transform_iteratorINSB_9not_fun_tI7is_trueIfEEESF_NSA_11use_defaultESM_EENS0_5tupleIJSF_S6_EEENSO_IJSG_SG_EEES6_PlJS6_EEE10hipError_tPvRmT3_T4_T5_T6_T7_T9_mT8_P12ihipStream_tbDpT10_ENKUlT_T0_E_clISt17integral_constantIbLb1EES1A_IbLb0EEEEDaS16_S17_EUlS16_E_NS1_11comp_targetILNS1_3genE2ELNS1_11target_archE906ELNS1_3gpuE6ELNS1_3repE0EEENS1_30default_config_static_selectorELNS0_4arch9wavefront6targetE0EEEvT1_.uses_vcc, 0
	.set _ZN7rocprim17ROCPRIM_400000_NS6detail17trampoline_kernelINS0_14default_configENS1_25partition_config_selectorILNS1_17partition_subalgoE5EfNS0_10empty_typeEbEEZZNS1_14partition_implILS5_5ELb0ES3_mN6thrust23THRUST_200600_302600_NS6detail15normal_iteratorINSA_10device_ptrIfEEEEPS6_NSA_18transform_iteratorINSB_9not_fun_tI7is_trueIfEEESF_NSA_11use_defaultESM_EENS0_5tupleIJSF_S6_EEENSO_IJSG_SG_EEES6_PlJS6_EEE10hipError_tPvRmT3_T4_T5_T6_T7_T9_mT8_P12ihipStream_tbDpT10_ENKUlT_T0_E_clISt17integral_constantIbLb1EES1A_IbLb0EEEEDaS16_S17_EUlS16_E_NS1_11comp_targetILNS1_3genE2ELNS1_11target_archE906ELNS1_3gpuE6ELNS1_3repE0EEENS1_30default_config_static_selectorELNS0_4arch9wavefront6targetE0EEEvT1_.uses_flat_scratch, 0
	.set _ZN7rocprim17ROCPRIM_400000_NS6detail17trampoline_kernelINS0_14default_configENS1_25partition_config_selectorILNS1_17partition_subalgoE5EfNS0_10empty_typeEbEEZZNS1_14partition_implILS5_5ELb0ES3_mN6thrust23THRUST_200600_302600_NS6detail15normal_iteratorINSA_10device_ptrIfEEEEPS6_NSA_18transform_iteratorINSB_9not_fun_tI7is_trueIfEEESF_NSA_11use_defaultESM_EENS0_5tupleIJSF_S6_EEENSO_IJSG_SG_EEES6_PlJS6_EEE10hipError_tPvRmT3_T4_T5_T6_T7_T9_mT8_P12ihipStream_tbDpT10_ENKUlT_T0_E_clISt17integral_constantIbLb1EES1A_IbLb0EEEEDaS16_S17_EUlS16_E_NS1_11comp_targetILNS1_3genE2ELNS1_11target_archE906ELNS1_3gpuE6ELNS1_3repE0EEENS1_30default_config_static_selectorELNS0_4arch9wavefront6targetE0EEEvT1_.has_dyn_sized_stack, 0
	.set _ZN7rocprim17ROCPRIM_400000_NS6detail17trampoline_kernelINS0_14default_configENS1_25partition_config_selectorILNS1_17partition_subalgoE5EfNS0_10empty_typeEbEEZZNS1_14partition_implILS5_5ELb0ES3_mN6thrust23THRUST_200600_302600_NS6detail15normal_iteratorINSA_10device_ptrIfEEEEPS6_NSA_18transform_iteratorINSB_9not_fun_tI7is_trueIfEEESF_NSA_11use_defaultESM_EENS0_5tupleIJSF_S6_EEENSO_IJSG_SG_EEES6_PlJS6_EEE10hipError_tPvRmT3_T4_T5_T6_T7_T9_mT8_P12ihipStream_tbDpT10_ENKUlT_T0_E_clISt17integral_constantIbLb1EES1A_IbLb0EEEEDaS16_S17_EUlS16_E_NS1_11comp_targetILNS1_3genE2ELNS1_11target_archE906ELNS1_3gpuE6ELNS1_3repE0EEENS1_30default_config_static_selectorELNS0_4arch9wavefront6targetE0EEEvT1_.has_recursion, 0
	.set _ZN7rocprim17ROCPRIM_400000_NS6detail17trampoline_kernelINS0_14default_configENS1_25partition_config_selectorILNS1_17partition_subalgoE5EfNS0_10empty_typeEbEEZZNS1_14partition_implILS5_5ELb0ES3_mN6thrust23THRUST_200600_302600_NS6detail15normal_iteratorINSA_10device_ptrIfEEEEPS6_NSA_18transform_iteratorINSB_9not_fun_tI7is_trueIfEEESF_NSA_11use_defaultESM_EENS0_5tupleIJSF_S6_EEENSO_IJSG_SG_EEES6_PlJS6_EEE10hipError_tPvRmT3_T4_T5_T6_T7_T9_mT8_P12ihipStream_tbDpT10_ENKUlT_T0_E_clISt17integral_constantIbLb1EES1A_IbLb0EEEEDaS16_S17_EUlS16_E_NS1_11comp_targetILNS1_3genE2ELNS1_11target_archE906ELNS1_3gpuE6ELNS1_3repE0EEENS1_30default_config_static_selectorELNS0_4arch9wavefront6targetE0EEEvT1_.has_indirect_call, 0
	.section	.AMDGPU.csdata,"",@progbits
; Kernel info:
; codeLenInByte = 0
; TotalNumSgprs: 0
; NumVgprs: 0
; ScratchSize: 0
; MemoryBound: 0
; FloatMode: 240
; IeeeMode: 1
; LDSByteSize: 0 bytes/workgroup (compile time only)
; SGPRBlocks: 0
; VGPRBlocks: 0
; NumSGPRsForWavesPerEU: 1
; NumVGPRsForWavesPerEU: 1
; Occupancy: 16
; WaveLimiterHint : 0
; COMPUTE_PGM_RSRC2:SCRATCH_EN: 0
; COMPUTE_PGM_RSRC2:USER_SGPR: 2
; COMPUTE_PGM_RSRC2:TRAP_HANDLER: 0
; COMPUTE_PGM_RSRC2:TGID_X_EN: 1
; COMPUTE_PGM_RSRC2:TGID_Y_EN: 0
; COMPUTE_PGM_RSRC2:TGID_Z_EN: 0
; COMPUTE_PGM_RSRC2:TIDIG_COMP_CNT: 0
	.section	.text._ZN7rocprim17ROCPRIM_400000_NS6detail17trampoline_kernelINS0_14default_configENS1_25partition_config_selectorILNS1_17partition_subalgoE5EfNS0_10empty_typeEbEEZZNS1_14partition_implILS5_5ELb0ES3_mN6thrust23THRUST_200600_302600_NS6detail15normal_iteratorINSA_10device_ptrIfEEEEPS6_NSA_18transform_iteratorINSB_9not_fun_tI7is_trueIfEEESF_NSA_11use_defaultESM_EENS0_5tupleIJSF_S6_EEENSO_IJSG_SG_EEES6_PlJS6_EEE10hipError_tPvRmT3_T4_T5_T6_T7_T9_mT8_P12ihipStream_tbDpT10_ENKUlT_T0_E_clISt17integral_constantIbLb1EES1A_IbLb0EEEEDaS16_S17_EUlS16_E_NS1_11comp_targetILNS1_3genE10ELNS1_11target_archE1200ELNS1_3gpuE4ELNS1_3repE0EEENS1_30default_config_static_selectorELNS0_4arch9wavefront6targetE0EEEvT1_,"axG",@progbits,_ZN7rocprim17ROCPRIM_400000_NS6detail17trampoline_kernelINS0_14default_configENS1_25partition_config_selectorILNS1_17partition_subalgoE5EfNS0_10empty_typeEbEEZZNS1_14partition_implILS5_5ELb0ES3_mN6thrust23THRUST_200600_302600_NS6detail15normal_iteratorINSA_10device_ptrIfEEEEPS6_NSA_18transform_iteratorINSB_9not_fun_tI7is_trueIfEEESF_NSA_11use_defaultESM_EENS0_5tupleIJSF_S6_EEENSO_IJSG_SG_EEES6_PlJS6_EEE10hipError_tPvRmT3_T4_T5_T6_T7_T9_mT8_P12ihipStream_tbDpT10_ENKUlT_T0_E_clISt17integral_constantIbLb1EES1A_IbLb0EEEEDaS16_S17_EUlS16_E_NS1_11comp_targetILNS1_3genE10ELNS1_11target_archE1200ELNS1_3gpuE4ELNS1_3repE0EEENS1_30default_config_static_selectorELNS0_4arch9wavefront6targetE0EEEvT1_,comdat
	.protected	_ZN7rocprim17ROCPRIM_400000_NS6detail17trampoline_kernelINS0_14default_configENS1_25partition_config_selectorILNS1_17partition_subalgoE5EfNS0_10empty_typeEbEEZZNS1_14partition_implILS5_5ELb0ES3_mN6thrust23THRUST_200600_302600_NS6detail15normal_iteratorINSA_10device_ptrIfEEEEPS6_NSA_18transform_iteratorINSB_9not_fun_tI7is_trueIfEEESF_NSA_11use_defaultESM_EENS0_5tupleIJSF_S6_EEENSO_IJSG_SG_EEES6_PlJS6_EEE10hipError_tPvRmT3_T4_T5_T6_T7_T9_mT8_P12ihipStream_tbDpT10_ENKUlT_T0_E_clISt17integral_constantIbLb1EES1A_IbLb0EEEEDaS16_S17_EUlS16_E_NS1_11comp_targetILNS1_3genE10ELNS1_11target_archE1200ELNS1_3gpuE4ELNS1_3repE0EEENS1_30default_config_static_selectorELNS0_4arch9wavefront6targetE0EEEvT1_ ; -- Begin function _ZN7rocprim17ROCPRIM_400000_NS6detail17trampoline_kernelINS0_14default_configENS1_25partition_config_selectorILNS1_17partition_subalgoE5EfNS0_10empty_typeEbEEZZNS1_14partition_implILS5_5ELb0ES3_mN6thrust23THRUST_200600_302600_NS6detail15normal_iteratorINSA_10device_ptrIfEEEEPS6_NSA_18transform_iteratorINSB_9not_fun_tI7is_trueIfEEESF_NSA_11use_defaultESM_EENS0_5tupleIJSF_S6_EEENSO_IJSG_SG_EEES6_PlJS6_EEE10hipError_tPvRmT3_T4_T5_T6_T7_T9_mT8_P12ihipStream_tbDpT10_ENKUlT_T0_E_clISt17integral_constantIbLb1EES1A_IbLb0EEEEDaS16_S17_EUlS16_E_NS1_11comp_targetILNS1_3genE10ELNS1_11target_archE1200ELNS1_3gpuE4ELNS1_3repE0EEENS1_30default_config_static_selectorELNS0_4arch9wavefront6targetE0EEEvT1_
	.globl	_ZN7rocprim17ROCPRIM_400000_NS6detail17trampoline_kernelINS0_14default_configENS1_25partition_config_selectorILNS1_17partition_subalgoE5EfNS0_10empty_typeEbEEZZNS1_14partition_implILS5_5ELb0ES3_mN6thrust23THRUST_200600_302600_NS6detail15normal_iteratorINSA_10device_ptrIfEEEEPS6_NSA_18transform_iteratorINSB_9not_fun_tI7is_trueIfEEESF_NSA_11use_defaultESM_EENS0_5tupleIJSF_S6_EEENSO_IJSG_SG_EEES6_PlJS6_EEE10hipError_tPvRmT3_T4_T5_T6_T7_T9_mT8_P12ihipStream_tbDpT10_ENKUlT_T0_E_clISt17integral_constantIbLb1EES1A_IbLb0EEEEDaS16_S17_EUlS16_E_NS1_11comp_targetILNS1_3genE10ELNS1_11target_archE1200ELNS1_3gpuE4ELNS1_3repE0EEENS1_30default_config_static_selectorELNS0_4arch9wavefront6targetE0EEEvT1_
	.p2align	8
	.type	_ZN7rocprim17ROCPRIM_400000_NS6detail17trampoline_kernelINS0_14default_configENS1_25partition_config_selectorILNS1_17partition_subalgoE5EfNS0_10empty_typeEbEEZZNS1_14partition_implILS5_5ELb0ES3_mN6thrust23THRUST_200600_302600_NS6detail15normal_iteratorINSA_10device_ptrIfEEEEPS6_NSA_18transform_iteratorINSB_9not_fun_tI7is_trueIfEEESF_NSA_11use_defaultESM_EENS0_5tupleIJSF_S6_EEENSO_IJSG_SG_EEES6_PlJS6_EEE10hipError_tPvRmT3_T4_T5_T6_T7_T9_mT8_P12ihipStream_tbDpT10_ENKUlT_T0_E_clISt17integral_constantIbLb1EES1A_IbLb0EEEEDaS16_S17_EUlS16_E_NS1_11comp_targetILNS1_3genE10ELNS1_11target_archE1200ELNS1_3gpuE4ELNS1_3repE0EEENS1_30default_config_static_selectorELNS0_4arch9wavefront6targetE0EEEvT1_,@function
_ZN7rocprim17ROCPRIM_400000_NS6detail17trampoline_kernelINS0_14default_configENS1_25partition_config_selectorILNS1_17partition_subalgoE5EfNS0_10empty_typeEbEEZZNS1_14partition_implILS5_5ELb0ES3_mN6thrust23THRUST_200600_302600_NS6detail15normal_iteratorINSA_10device_ptrIfEEEEPS6_NSA_18transform_iteratorINSB_9not_fun_tI7is_trueIfEEESF_NSA_11use_defaultESM_EENS0_5tupleIJSF_S6_EEENSO_IJSG_SG_EEES6_PlJS6_EEE10hipError_tPvRmT3_T4_T5_T6_T7_T9_mT8_P12ihipStream_tbDpT10_ENKUlT_T0_E_clISt17integral_constantIbLb1EES1A_IbLb0EEEEDaS16_S17_EUlS16_E_NS1_11comp_targetILNS1_3genE10ELNS1_11target_archE1200ELNS1_3gpuE4ELNS1_3repE0EEENS1_30default_config_static_selectorELNS0_4arch9wavefront6targetE0EEEvT1_: ; @_ZN7rocprim17ROCPRIM_400000_NS6detail17trampoline_kernelINS0_14default_configENS1_25partition_config_selectorILNS1_17partition_subalgoE5EfNS0_10empty_typeEbEEZZNS1_14partition_implILS5_5ELb0ES3_mN6thrust23THRUST_200600_302600_NS6detail15normal_iteratorINSA_10device_ptrIfEEEEPS6_NSA_18transform_iteratorINSB_9not_fun_tI7is_trueIfEEESF_NSA_11use_defaultESM_EENS0_5tupleIJSF_S6_EEENSO_IJSG_SG_EEES6_PlJS6_EEE10hipError_tPvRmT3_T4_T5_T6_T7_T9_mT8_P12ihipStream_tbDpT10_ENKUlT_T0_E_clISt17integral_constantIbLb1EES1A_IbLb0EEEEDaS16_S17_EUlS16_E_NS1_11comp_targetILNS1_3genE10ELNS1_11target_archE1200ELNS1_3gpuE4ELNS1_3repE0EEENS1_30default_config_static_selectorELNS0_4arch9wavefront6targetE0EEEvT1_
; %bb.0:
	s_endpgm
	.section	.rodata,"a",@progbits
	.p2align	6, 0x0
	.amdhsa_kernel _ZN7rocprim17ROCPRIM_400000_NS6detail17trampoline_kernelINS0_14default_configENS1_25partition_config_selectorILNS1_17partition_subalgoE5EfNS0_10empty_typeEbEEZZNS1_14partition_implILS5_5ELb0ES3_mN6thrust23THRUST_200600_302600_NS6detail15normal_iteratorINSA_10device_ptrIfEEEEPS6_NSA_18transform_iteratorINSB_9not_fun_tI7is_trueIfEEESF_NSA_11use_defaultESM_EENS0_5tupleIJSF_S6_EEENSO_IJSG_SG_EEES6_PlJS6_EEE10hipError_tPvRmT3_T4_T5_T6_T7_T9_mT8_P12ihipStream_tbDpT10_ENKUlT_T0_E_clISt17integral_constantIbLb1EES1A_IbLb0EEEEDaS16_S17_EUlS16_E_NS1_11comp_targetILNS1_3genE10ELNS1_11target_archE1200ELNS1_3gpuE4ELNS1_3repE0EEENS1_30default_config_static_selectorELNS0_4arch9wavefront6targetE0EEEvT1_
		.amdhsa_group_segment_fixed_size 0
		.amdhsa_private_segment_fixed_size 0
		.amdhsa_kernarg_size 120
		.amdhsa_user_sgpr_count 2
		.amdhsa_user_sgpr_dispatch_ptr 0
		.amdhsa_user_sgpr_queue_ptr 0
		.amdhsa_user_sgpr_kernarg_segment_ptr 1
		.amdhsa_user_sgpr_dispatch_id 0
		.amdhsa_user_sgpr_private_segment_size 0
		.amdhsa_wavefront_size32 1
		.amdhsa_uses_dynamic_stack 0
		.amdhsa_enable_private_segment 0
		.amdhsa_system_sgpr_workgroup_id_x 1
		.amdhsa_system_sgpr_workgroup_id_y 0
		.amdhsa_system_sgpr_workgroup_id_z 0
		.amdhsa_system_sgpr_workgroup_info 0
		.amdhsa_system_vgpr_workitem_id 0
		.amdhsa_next_free_vgpr 1
		.amdhsa_next_free_sgpr 1
		.amdhsa_reserve_vcc 0
		.amdhsa_float_round_mode_32 0
		.amdhsa_float_round_mode_16_64 0
		.amdhsa_float_denorm_mode_32 3
		.amdhsa_float_denorm_mode_16_64 3
		.amdhsa_fp16_overflow 0
		.amdhsa_workgroup_processor_mode 1
		.amdhsa_memory_ordered 1
		.amdhsa_forward_progress 1
		.amdhsa_inst_pref_size 1
		.amdhsa_round_robin_scheduling 0
		.amdhsa_exception_fp_ieee_invalid_op 0
		.amdhsa_exception_fp_denorm_src 0
		.amdhsa_exception_fp_ieee_div_zero 0
		.amdhsa_exception_fp_ieee_overflow 0
		.amdhsa_exception_fp_ieee_underflow 0
		.amdhsa_exception_fp_ieee_inexact 0
		.amdhsa_exception_int_div_zero 0
	.end_amdhsa_kernel
	.section	.text._ZN7rocprim17ROCPRIM_400000_NS6detail17trampoline_kernelINS0_14default_configENS1_25partition_config_selectorILNS1_17partition_subalgoE5EfNS0_10empty_typeEbEEZZNS1_14partition_implILS5_5ELb0ES3_mN6thrust23THRUST_200600_302600_NS6detail15normal_iteratorINSA_10device_ptrIfEEEEPS6_NSA_18transform_iteratorINSB_9not_fun_tI7is_trueIfEEESF_NSA_11use_defaultESM_EENS0_5tupleIJSF_S6_EEENSO_IJSG_SG_EEES6_PlJS6_EEE10hipError_tPvRmT3_T4_T5_T6_T7_T9_mT8_P12ihipStream_tbDpT10_ENKUlT_T0_E_clISt17integral_constantIbLb1EES1A_IbLb0EEEEDaS16_S17_EUlS16_E_NS1_11comp_targetILNS1_3genE10ELNS1_11target_archE1200ELNS1_3gpuE4ELNS1_3repE0EEENS1_30default_config_static_selectorELNS0_4arch9wavefront6targetE0EEEvT1_,"axG",@progbits,_ZN7rocprim17ROCPRIM_400000_NS6detail17trampoline_kernelINS0_14default_configENS1_25partition_config_selectorILNS1_17partition_subalgoE5EfNS0_10empty_typeEbEEZZNS1_14partition_implILS5_5ELb0ES3_mN6thrust23THRUST_200600_302600_NS6detail15normal_iteratorINSA_10device_ptrIfEEEEPS6_NSA_18transform_iteratorINSB_9not_fun_tI7is_trueIfEEESF_NSA_11use_defaultESM_EENS0_5tupleIJSF_S6_EEENSO_IJSG_SG_EEES6_PlJS6_EEE10hipError_tPvRmT3_T4_T5_T6_T7_T9_mT8_P12ihipStream_tbDpT10_ENKUlT_T0_E_clISt17integral_constantIbLb1EES1A_IbLb0EEEEDaS16_S17_EUlS16_E_NS1_11comp_targetILNS1_3genE10ELNS1_11target_archE1200ELNS1_3gpuE4ELNS1_3repE0EEENS1_30default_config_static_selectorELNS0_4arch9wavefront6targetE0EEEvT1_,comdat
.Lfunc_end1356:
	.size	_ZN7rocprim17ROCPRIM_400000_NS6detail17trampoline_kernelINS0_14default_configENS1_25partition_config_selectorILNS1_17partition_subalgoE5EfNS0_10empty_typeEbEEZZNS1_14partition_implILS5_5ELb0ES3_mN6thrust23THRUST_200600_302600_NS6detail15normal_iteratorINSA_10device_ptrIfEEEEPS6_NSA_18transform_iteratorINSB_9not_fun_tI7is_trueIfEEESF_NSA_11use_defaultESM_EENS0_5tupleIJSF_S6_EEENSO_IJSG_SG_EEES6_PlJS6_EEE10hipError_tPvRmT3_T4_T5_T6_T7_T9_mT8_P12ihipStream_tbDpT10_ENKUlT_T0_E_clISt17integral_constantIbLb1EES1A_IbLb0EEEEDaS16_S17_EUlS16_E_NS1_11comp_targetILNS1_3genE10ELNS1_11target_archE1200ELNS1_3gpuE4ELNS1_3repE0EEENS1_30default_config_static_selectorELNS0_4arch9wavefront6targetE0EEEvT1_, .Lfunc_end1356-_ZN7rocprim17ROCPRIM_400000_NS6detail17trampoline_kernelINS0_14default_configENS1_25partition_config_selectorILNS1_17partition_subalgoE5EfNS0_10empty_typeEbEEZZNS1_14partition_implILS5_5ELb0ES3_mN6thrust23THRUST_200600_302600_NS6detail15normal_iteratorINSA_10device_ptrIfEEEEPS6_NSA_18transform_iteratorINSB_9not_fun_tI7is_trueIfEEESF_NSA_11use_defaultESM_EENS0_5tupleIJSF_S6_EEENSO_IJSG_SG_EEES6_PlJS6_EEE10hipError_tPvRmT3_T4_T5_T6_T7_T9_mT8_P12ihipStream_tbDpT10_ENKUlT_T0_E_clISt17integral_constantIbLb1EES1A_IbLb0EEEEDaS16_S17_EUlS16_E_NS1_11comp_targetILNS1_3genE10ELNS1_11target_archE1200ELNS1_3gpuE4ELNS1_3repE0EEENS1_30default_config_static_selectorELNS0_4arch9wavefront6targetE0EEEvT1_
                                        ; -- End function
	.set _ZN7rocprim17ROCPRIM_400000_NS6detail17trampoline_kernelINS0_14default_configENS1_25partition_config_selectorILNS1_17partition_subalgoE5EfNS0_10empty_typeEbEEZZNS1_14partition_implILS5_5ELb0ES3_mN6thrust23THRUST_200600_302600_NS6detail15normal_iteratorINSA_10device_ptrIfEEEEPS6_NSA_18transform_iteratorINSB_9not_fun_tI7is_trueIfEEESF_NSA_11use_defaultESM_EENS0_5tupleIJSF_S6_EEENSO_IJSG_SG_EEES6_PlJS6_EEE10hipError_tPvRmT3_T4_T5_T6_T7_T9_mT8_P12ihipStream_tbDpT10_ENKUlT_T0_E_clISt17integral_constantIbLb1EES1A_IbLb0EEEEDaS16_S17_EUlS16_E_NS1_11comp_targetILNS1_3genE10ELNS1_11target_archE1200ELNS1_3gpuE4ELNS1_3repE0EEENS1_30default_config_static_selectorELNS0_4arch9wavefront6targetE0EEEvT1_.num_vgpr, 0
	.set _ZN7rocprim17ROCPRIM_400000_NS6detail17trampoline_kernelINS0_14default_configENS1_25partition_config_selectorILNS1_17partition_subalgoE5EfNS0_10empty_typeEbEEZZNS1_14partition_implILS5_5ELb0ES3_mN6thrust23THRUST_200600_302600_NS6detail15normal_iteratorINSA_10device_ptrIfEEEEPS6_NSA_18transform_iteratorINSB_9not_fun_tI7is_trueIfEEESF_NSA_11use_defaultESM_EENS0_5tupleIJSF_S6_EEENSO_IJSG_SG_EEES6_PlJS6_EEE10hipError_tPvRmT3_T4_T5_T6_T7_T9_mT8_P12ihipStream_tbDpT10_ENKUlT_T0_E_clISt17integral_constantIbLb1EES1A_IbLb0EEEEDaS16_S17_EUlS16_E_NS1_11comp_targetILNS1_3genE10ELNS1_11target_archE1200ELNS1_3gpuE4ELNS1_3repE0EEENS1_30default_config_static_selectorELNS0_4arch9wavefront6targetE0EEEvT1_.num_agpr, 0
	.set _ZN7rocprim17ROCPRIM_400000_NS6detail17trampoline_kernelINS0_14default_configENS1_25partition_config_selectorILNS1_17partition_subalgoE5EfNS0_10empty_typeEbEEZZNS1_14partition_implILS5_5ELb0ES3_mN6thrust23THRUST_200600_302600_NS6detail15normal_iteratorINSA_10device_ptrIfEEEEPS6_NSA_18transform_iteratorINSB_9not_fun_tI7is_trueIfEEESF_NSA_11use_defaultESM_EENS0_5tupleIJSF_S6_EEENSO_IJSG_SG_EEES6_PlJS6_EEE10hipError_tPvRmT3_T4_T5_T6_T7_T9_mT8_P12ihipStream_tbDpT10_ENKUlT_T0_E_clISt17integral_constantIbLb1EES1A_IbLb0EEEEDaS16_S17_EUlS16_E_NS1_11comp_targetILNS1_3genE10ELNS1_11target_archE1200ELNS1_3gpuE4ELNS1_3repE0EEENS1_30default_config_static_selectorELNS0_4arch9wavefront6targetE0EEEvT1_.numbered_sgpr, 0
	.set _ZN7rocprim17ROCPRIM_400000_NS6detail17trampoline_kernelINS0_14default_configENS1_25partition_config_selectorILNS1_17partition_subalgoE5EfNS0_10empty_typeEbEEZZNS1_14partition_implILS5_5ELb0ES3_mN6thrust23THRUST_200600_302600_NS6detail15normal_iteratorINSA_10device_ptrIfEEEEPS6_NSA_18transform_iteratorINSB_9not_fun_tI7is_trueIfEEESF_NSA_11use_defaultESM_EENS0_5tupleIJSF_S6_EEENSO_IJSG_SG_EEES6_PlJS6_EEE10hipError_tPvRmT3_T4_T5_T6_T7_T9_mT8_P12ihipStream_tbDpT10_ENKUlT_T0_E_clISt17integral_constantIbLb1EES1A_IbLb0EEEEDaS16_S17_EUlS16_E_NS1_11comp_targetILNS1_3genE10ELNS1_11target_archE1200ELNS1_3gpuE4ELNS1_3repE0EEENS1_30default_config_static_selectorELNS0_4arch9wavefront6targetE0EEEvT1_.num_named_barrier, 0
	.set _ZN7rocprim17ROCPRIM_400000_NS6detail17trampoline_kernelINS0_14default_configENS1_25partition_config_selectorILNS1_17partition_subalgoE5EfNS0_10empty_typeEbEEZZNS1_14partition_implILS5_5ELb0ES3_mN6thrust23THRUST_200600_302600_NS6detail15normal_iteratorINSA_10device_ptrIfEEEEPS6_NSA_18transform_iteratorINSB_9not_fun_tI7is_trueIfEEESF_NSA_11use_defaultESM_EENS0_5tupleIJSF_S6_EEENSO_IJSG_SG_EEES6_PlJS6_EEE10hipError_tPvRmT3_T4_T5_T6_T7_T9_mT8_P12ihipStream_tbDpT10_ENKUlT_T0_E_clISt17integral_constantIbLb1EES1A_IbLb0EEEEDaS16_S17_EUlS16_E_NS1_11comp_targetILNS1_3genE10ELNS1_11target_archE1200ELNS1_3gpuE4ELNS1_3repE0EEENS1_30default_config_static_selectorELNS0_4arch9wavefront6targetE0EEEvT1_.private_seg_size, 0
	.set _ZN7rocprim17ROCPRIM_400000_NS6detail17trampoline_kernelINS0_14default_configENS1_25partition_config_selectorILNS1_17partition_subalgoE5EfNS0_10empty_typeEbEEZZNS1_14partition_implILS5_5ELb0ES3_mN6thrust23THRUST_200600_302600_NS6detail15normal_iteratorINSA_10device_ptrIfEEEEPS6_NSA_18transform_iteratorINSB_9not_fun_tI7is_trueIfEEESF_NSA_11use_defaultESM_EENS0_5tupleIJSF_S6_EEENSO_IJSG_SG_EEES6_PlJS6_EEE10hipError_tPvRmT3_T4_T5_T6_T7_T9_mT8_P12ihipStream_tbDpT10_ENKUlT_T0_E_clISt17integral_constantIbLb1EES1A_IbLb0EEEEDaS16_S17_EUlS16_E_NS1_11comp_targetILNS1_3genE10ELNS1_11target_archE1200ELNS1_3gpuE4ELNS1_3repE0EEENS1_30default_config_static_selectorELNS0_4arch9wavefront6targetE0EEEvT1_.uses_vcc, 0
	.set _ZN7rocprim17ROCPRIM_400000_NS6detail17trampoline_kernelINS0_14default_configENS1_25partition_config_selectorILNS1_17partition_subalgoE5EfNS0_10empty_typeEbEEZZNS1_14partition_implILS5_5ELb0ES3_mN6thrust23THRUST_200600_302600_NS6detail15normal_iteratorINSA_10device_ptrIfEEEEPS6_NSA_18transform_iteratorINSB_9not_fun_tI7is_trueIfEEESF_NSA_11use_defaultESM_EENS0_5tupleIJSF_S6_EEENSO_IJSG_SG_EEES6_PlJS6_EEE10hipError_tPvRmT3_T4_T5_T6_T7_T9_mT8_P12ihipStream_tbDpT10_ENKUlT_T0_E_clISt17integral_constantIbLb1EES1A_IbLb0EEEEDaS16_S17_EUlS16_E_NS1_11comp_targetILNS1_3genE10ELNS1_11target_archE1200ELNS1_3gpuE4ELNS1_3repE0EEENS1_30default_config_static_selectorELNS0_4arch9wavefront6targetE0EEEvT1_.uses_flat_scratch, 0
	.set _ZN7rocprim17ROCPRIM_400000_NS6detail17trampoline_kernelINS0_14default_configENS1_25partition_config_selectorILNS1_17partition_subalgoE5EfNS0_10empty_typeEbEEZZNS1_14partition_implILS5_5ELb0ES3_mN6thrust23THRUST_200600_302600_NS6detail15normal_iteratorINSA_10device_ptrIfEEEEPS6_NSA_18transform_iteratorINSB_9not_fun_tI7is_trueIfEEESF_NSA_11use_defaultESM_EENS0_5tupleIJSF_S6_EEENSO_IJSG_SG_EEES6_PlJS6_EEE10hipError_tPvRmT3_T4_T5_T6_T7_T9_mT8_P12ihipStream_tbDpT10_ENKUlT_T0_E_clISt17integral_constantIbLb1EES1A_IbLb0EEEEDaS16_S17_EUlS16_E_NS1_11comp_targetILNS1_3genE10ELNS1_11target_archE1200ELNS1_3gpuE4ELNS1_3repE0EEENS1_30default_config_static_selectorELNS0_4arch9wavefront6targetE0EEEvT1_.has_dyn_sized_stack, 0
	.set _ZN7rocprim17ROCPRIM_400000_NS6detail17trampoline_kernelINS0_14default_configENS1_25partition_config_selectorILNS1_17partition_subalgoE5EfNS0_10empty_typeEbEEZZNS1_14partition_implILS5_5ELb0ES3_mN6thrust23THRUST_200600_302600_NS6detail15normal_iteratorINSA_10device_ptrIfEEEEPS6_NSA_18transform_iteratorINSB_9not_fun_tI7is_trueIfEEESF_NSA_11use_defaultESM_EENS0_5tupleIJSF_S6_EEENSO_IJSG_SG_EEES6_PlJS6_EEE10hipError_tPvRmT3_T4_T5_T6_T7_T9_mT8_P12ihipStream_tbDpT10_ENKUlT_T0_E_clISt17integral_constantIbLb1EES1A_IbLb0EEEEDaS16_S17_EUlS16_E_NS1_11comp_targetILNS1_3genE10ELNS1_11target_archE1200ELNS1_3gpuE4ELNS1_3repE0EEENS1_30default_config_static_selectorELNS0_4arch9wavefront6targetE0EEEvT1_.has_recursion, 0
	.set _ZN7rocprim17ROCPRIM_400000_NS6detail17trampoline_kernelINS0_14default_configENS1_25partition_config_selectorILNS1_17partition_subalgoE5EfNS0_10empty_typeEbEEZZNS1_14partition_implILS5_5ELb0ES3_mN6thrust23THRUST_200600_302600_NS6detail15normal_iteratorINSA_10device_ptrIfEEEEPS6_NSA_18transform_iteratorINSB_9not_fun_tI7is_trueIfEEESF_NSA_11use_defaultESM_EENS0_5tupleIJSF_S6_EEENSO_IJSG_SG_EEES6_PlJS6_EEE10hipError_tPvRmT3_T4_T5_T6_T7_T9_mT8_P12ihipStream_tbDpT10_ENKUlT_T0_E_clISt17integral_constantIbLb1EES1A_IbLb0EEEEDaS16_S17_EUlS16_E_NS1_11comp_targetILNS1_3genE10ELNS1_11target_archE1200ELNS1_3gpuE4ELNS1_3repE0EEENS1_30default_config_static_selectorELNS0_4arch9wavefront6targetE0EEEvT1_.has_indirect_call, 0
	.section	.AMDGPU.csdata,"",@progbits
; Kernel info:
; codeLenInByte = 4
; TotalNumSgprs: 0
; NumVgprs: 0
; ScratchSize: 0
; MemoryBound: 0
; FloatMode: 240
; IeeeMode: 1
; LDSByteSize: 0 bytes/workgroup (compile time only)
; SGPRBlocks: 0
; VGPRBlocks: 0
; NumSGPRsForWavesPerEU: 1
; NumVGPRsForWavesPerEU: 1
; Occupancy: 16
; WaveLimiterHint : 0
; COMPUTE_PGM_RSRC2:SCRATCH_EN: 0
; COMPUTE_PGM_RSRC2:USER_SGPR: 2
; COMPUTE_PGM_RSRC2:TRAP_HANDLER: 0
; COMPUTE_PGM_RSRC2:TGID_X_EN: 1
; COMPUTE_PGM_RSRC2:TGID_Y_EN: 0
; COMPUTE_PGM_RSRC2:TGID_Z_EN: 0
; COMPUTE_PGM_RSRC2:TIDIG_COMP_CNT: 0
	.section	.text._ZN7rocprim17ROCPRIM_400000_NS6detail17trampoline_kernelINS0_14default_configENS1_25partition_config_selectorILNS1_17partition_subalgoE5EfNS0_10empty_typeEbEEZZNS1_14partition_implILS5_5ELb0ES3_mN6thrust23THRUST_200600_302600_NS6detail15normal_iteratorINSA_10device_ptrIfEEEEPS6_NSA_18transform_iteratorINSB_9not_fun_tI7is_trueIfEEESF_NSA_11use_defaultESM_EENS0_5tupleIJSF_S6_EEENSO_IJSG_SG_EEES6_PlJS6_EEE10hipError_tPvRmT3_T4_T5_T6_T7_T9_mT8_P12ihipStream_tbDpT10_ENKUlT_T0_E_clISt17integral_constantIbLb1EES1A_IbLb0EEEEDaS16_S17_EUlS16_E_NS1_11comp_targetILNS1_3genE9ELNS1_11target_archE1100ELNS1_3gpuE3ELNS1_3repE0EEENS1_30default_config_static_selectorELNS0_4arch9wavefront6targetE0EEEvT1_,"axG",@progbits,_ZN7rocprim17ROCPRIM_400000_NS6detail17trampoline_kernelINS0_14default_configENS1_25partition_config_selectorILNS1_17partition_subalgoE5EfNS0_10empty_typeEbEEZZNS1_14partition_implILS5_5ELb0ES3_mN6thrust23THRUST_200600_302600_NS6detail15normal_iteratorINSA_10device_ptrIfEEEEPS6_NSA_18transform_iteratorINSB_9not_fun_tI7is_trueIfEEESF_NSA_11use_defaultESM_EENS0_5tupleIJSF_S6_EEENSO_IJSG_SG_EEES6_PlJS6_EEE10hipError_tPvRmT3_T4_T5_T6_T7_T9_mT8_P12ihipStream_tbDpT10_ENKUlT_T0_E_clISt17integral_constantIbLb1EES1A_IbLb0EEEEDaS16_S17_EUlS16_E_NS1_11comp_targetILNS1_3genE9ELNS1_11target_archE1100ELNS1_3gpuE3ELNS1_3repE0EEENS1_30default_config_static_selectorELNS0_4arch9wavefront6targetE0EEEvT1_,comdat
	.protected	_ZN7rocprim17ROCPRIM_400000_NS6detail17trampoline_kernelINS0_14default_configENS1_25partition_config_selectorILNS1_17partition_subalgoE5EfNS0_10empty_typeEbEEZZNS1_14partition_implILS5_5ELb0ES3_mN6thrust23THRUST_200600_302600_NS6detail15normal_iteratorINSA_10device_ptrIfEEEEPS6_NSA_18transform_iteratorINSB_9not_fun_tI7is_trueIfEEESF_NSA_11use_defaultESM_EENS0_5tupleIJSF_S6_EEENSO_IJSG_SG_EEES6_PlJS6_EEE10hipError_tPvRmT3_T4_T5_T6_T7_T9_mT8_P12ihipStream_tbDpT10_ENKUlT_T0_E_clISt17integral_constantIbLb1EES1A_IbLb0EEEEDaS16_S17_EUlS16_E_NS1_11comp_targetILNS1_3genE9ELNS1_11target_archE1100ELNS1_3gpuE3ELNS1_3repE0EEENS1_30default_config_static_selectorELNS0_4arch9wavefront6targetE0EEEvT1_ ; -- Begin function _ZN7rocprim17ROCPRIM_400000_NS6detail17trampoline_kernelINS0_14default_configENS1_25partition_config_selectorILNS1_17partition_subalgoE5EfNS0_10empty_typeEbEEZZNS1_14partition_implILS5_5ELb0ES3_mN6thrust23THRUST_200600_302600_NS6detail15normal_iteratorINSA_10device_ptrIfEEEEPS6_NSA_18transform_iteratorINSB_9not_fun_tI7is_trueIfEEESF_NSA_11use_defaultESM_EENS0_5tupleIJSF_S6_EEENSO_IJSG_SG_EEES6_PlJS6_EEE10hipError_tPvRmT3_T4_T5_T6_T7_T9_mT8_P12ihipStream_tbDpT10_ENKUlT_T0_E_clISt17integral_constantIbLb1EES1A_IbLb0EEEEDaS16_S17_EUlS16_E_NS1_11comp_targetILNS1_3genE9ELNS1_11target_archE1100ELNS1_3gpuE3ELNS1_3repE0EEENS1_30default_config_static_selectorELNS0_4arch9wavefront6targetE0EEEvT1_
	.globl	_ZN7rocprim17ROCPRIM_400000_NS6detail17trampoline_kernelINS0_14default_configENS1_25partition_config_selectorILNS1_17partition_subalgoE5EfNS0_10empty_typeEbEEZZNS1_14partition_implILS5_5ELb0ES3_mN6thrust23THRUST_200600_302600_NS6detail15normal_iteratorINSA_10device_ptrIfEEEEPS6_NSA_18transform_iteratorINSB_9not_fun_tI7is_trueIfEEESF_NSA_11use_defaultESM_EENS0_5tupleIJSF_S6_EEENSO_IJSG_SG_EEES6_PlJS6_EEE10hipError_tPvRmT3_T4_T5_T6_T7_T9_mT8_P12ihipStream_tbDpT10_ENKUlT_T0_E_clISt17integral_constantIbLb1EES1A_IbLb0EEEEDaS16_S17_EUlS16_E_NS1_11comp_targetILNS1_3genE9ELNS1_11target_archE1100ELNS1_3gpuE3ELNS1_3repE0EEENS1_30default_config_static_selectorELNS0_4arch9wavefront6targetE0EEEvT1_
	.p2align	8
	.type	_ZN7rocprim17ROCPRIM_400000_NS6detail17trampoline_kernelINS0_14default_configENS1_25partition_config_selectorILNS1_17partition_subalgoE5EfNS0_10empty_typeEbEEZZNS1_14partition_implILS5_5ELb0ES3_mN6thrust23THRUST_200600_302600_NS6detail15normal_iteratorINSA_10device_ptrIfEEEEPS6_NSA_18transform_iteratorINSB_9not_fun_tI7is_trueIfEEESF_NSA_11use_defaultESM_EENS0_5tupleIJSF_S6_EEENSO_IJSG_SG_EEES6_PlJS6_EEE10hipError_tPvRmT3_T4_T5_T6_T7_T9_mT8_P12ihipStream_tbDpT10_ENKUlT_T0_E_clISt17integral_constantIbLb1EES1A_IbLb0EEEEDaS16_S17_EUlS16_E_NS1_11comp_targetILNS1_3genE9ELNS1_11target_archE1100ELNS1_3gpuE3ELNS1_3repE0EEENS1_30default_config_static_selectorELNS0_4arch9wavefront6targetE0EEEvT1_,@function
_ZN7rocprim17ROCPRIM_400000_NS6detail17trampoline_kernelINS0_14default_configENS1_25partition_config_selectorILNS1_17partition_subalgoE5EfNS0_10empty_typeEbEEZZNS1_14partition_implILS5_5ELb0ES3_mN6thrust23THRUST_200600_302600_NS6detail15normal_iteratorINSA_10device_ptrIfEEEEPS6_NSA_18transform_iteratorINSB_9not_fun_tI7is_trueIfEEESF_NSA_11use_defaultESM_EENS0_5tupleIJSF_S6_EEENSO_IJSG_SG_EEES6_PlJS6_EEE10hipError_tPvRmT3_T4_T5_T6_T7_T9_mT8_P12ihipStream_tbDpT10_ENKUlT_T0_E_clISt17integral_constantIbLb1EES1A_IbLb0EEEEDaS16_S17_EUlS16_E_NS1_11comp_targetILNS1_3genE9ELNS1_11target_archE1100ELNS1_3gpuE3ELNS1_3repE0EEENS1_30default_config_static_selectorELNS0_4arch9wavefront6targetE0EEEvT1_: ; @_ZN7rocprim17ROCPRIM_400000_NS6detail17trampoline_kernelINS0_14default_configENS1_25partition_config_selectorILNS1_17partition_subalgoE5EfNS0_10empty_typeEbEEZZNS1_14partition_implILS5_5ELb0ES3_mN6thrust23THRUST_200600_302600_NS6detail15normal_iteratorINSA_10device_ptrIfEEEEPS6_NSA_18transform_iteratorINSB_9not_fun_tI7is_trueIfEEESF_NSA_11use_defaultESM_EENS0_5tupleIJSF_S6_EEENSO_IJSG_SG_EEES6_PlJS6_EEE10hipError_tPvRmT3_T4_T5_T6_T7_T9_mT8_P12ihipStream_tbDpT10_ENKUlT_T0_E_clISt17integral_constantIbLb1EES1A_IbLb0EEEEDaS16_S17_EUlS16_E_NS1_11comp_targetILNS1_3genE9ELNS1_11target_archE1100ELNS1_3gpuE3ELNS1_3repE0EEENS1_30default_config_static_selectorELNS0_4arch9wavefront6targetE0EEEvT1_
; %bb.0:
	.section	.rodata,"a",@progbits
	.p2align	6, 0x0
	.amdhsa_kernel _ZN7rocprim17ROCPRIM_400000_NS6detail17trampoline_kernelINS0_14default_configENS1_25partition_config_selectorILNS1_17partition_subalgoE5EfNS0_10empty_typeEbEEZZNS1_14partition_implILS5_5ELb0ES3_mN6thrust23THRUST_200600_302600_NS6detail15normal_iteratorINSA_10device_ptrIfEEEEPS6_NSA_18transform_iteratorINSB_9not_fun_tI7is_trueIfEEESF_NSA_11use_defaultESM_EENS0_5tupleIJSF_S6_EEENSO_IJSG_SG_EEES6_PlJS6_EEE10hipError_tPvRmT3_T4_T5_T6_T7_T9_mT8_P12ihipStream_tbDpT10_ENKUlT_T0_E_clISt17integral_constantIbLb1EES1A_IbLb0EEEEDaS16_S17_EUlS16_E_NS1_11comp_targetILNS1_3genE9ELNS1_11target_archE1100ELNS1_3gpuE3ELNS1_3repE0EEENS1_30default_config_static_selectorELNS0_4arch9wavefront6targetE0EEEvT1_
		.amdhsa_group_segment_fixed_size 0
		.amdhsa_private_segment_fixed_size 0
		.amdhsa_kernarg_size 120
		.amdhsa_user_sgpr_count 2
		.amdhsa_user_sgpr_dispatch_ptr 0
		.amdhsa_user_sgpr_queue_ptr 0
		.amdhsa_user_sgpr_kernarg_segment_ptr 1
		.amdhsa_user_sgpr_dispatch_id 0
		.amdhsa_user_sgpr_private_segment_size 0
		.amdhsa_wavefront_size32 1
		.amdhsa_uses_dynamic_stack 0
		.amdhsa_enable_private_segment 0
		.amdhsa_system_sgpr_workgroup_id_x 1
		.amdhsa_system_sgpr_workgroup_id_y 0
		.amdhsa_system_sgpr_workgroup_id_z 0
		.amdhsa_system_sgpr_workgroup_info 0
		.amdhsa_system_vgpr_workitem_id 0
		.amdhsa_next_free_vgpr 1
		.amdhsa_next_free_sgpr 1
		.amdhsa_reserve_vcc 0
		.amdhsa_float_round_mode_32 0
		.amdhsa_float_round_mode_16_64 0
		.amdhsa_float_denorm_mode_32 3
		.amdhsa_float_denorm_mode_16_64 3
		.amdhsa_fp16_overflow 0
		.amdhsa_workgroup_processor_mode 1
		.amdhsa_memory_ordered 1
		.amdhsa_forward_progress 1
		.amdhsa_inst_pref_size 0
		.amdhsa_round_robin_scheduling 0
		.amdhsa_exception_fp_ieee_invalid_op 0
		.amdhsa_exception_fp_denorm_src 0
		.amdhsa_exception_fp_ieee_div_zero 0
		.amdhsa_exception_fp_ieee_overflow 0
		.amdhsa_exception_fp_ieee_underflow 0
		.amdhsa_exception_fp_ieee_inexact 0
		.amdhsa_exception_int_div_zero 0
	.end_amdhsa_kernel
	.section	.text._ZN7rocprim17ROCPRIM_400000_NS6detail17trampoline_kernelINS0_14default_configENS1_25partition_config_selectorILNS1_17partition_subalgoE5EfNS0_10empty_typeEbEEZZNS1_14partition_implILS5_5ELb0ES3_mN6thrust23THRUST_200600_302600_NS6detail15normal_iteratorINSA_10device_ptrIfEEEEPS6_NSA_18transform_iteratorINSB_9not_fun_tI7is_trueIfEEESF_NSA_11use_defaultESM_EENS0_5tupleIJSF_S6_EEENSO_IJSG_SG_EEES6_PlJS6_EEE10hipError_tPvRmT3_T4_T5_T6_T7_T9_mT8_P12ihipStream_tbDpT10_ENKUlT_T0_E_clISt17integral_constantIbLb1EES1A_IbLb0EEEEDaS16_S17_EUlS16_E_NS1_11comp_targetILNS1_3genE9ELNS1_11target_archE1100ELNS1_3gpuE3ELNS1_3repE0EEENS1_30default_config_static_selectorELNS0_4arch9wavefront6targetE0EEEvT1_,"axG",@progbits,_ZN7rocprim17ROCPRIM_400000_NS6detail17trampoline_kernelINS0_14default_configENS1_25partition_config_selectorILNS1_17partition_subalgoE5EfNS0_10empty_typeEbEEZZNS1_14partition_implILS5_5ELb0ES3_mN6thrust23THRUST_200600_302600_NS6detail15normal_iteratorINSA_10device_ptrIfEEEEPS6_NSA_18transform_iteratorINSB_9not_fun_tI7is_trueIfEEESF_NSA_11use_defaultESM_EENS0_5tupleIJSF_S6_EEENSO_IJSG_SG_EEES6_PlJS6_EEE10hipError_tPvRmT3_T4_T5_T6_T7_T9_mT8_P12ihipStream_tbDpT10_ENKUlT_T0_E_clISt17integral_constantIbLb1EES1A_IbLb0EEEEDaS16_S17_EUlS16_E_NS1_11comp_targetILNS1_3genE9ELNS1_11target_archE1100ELNS1_3gpuE3ELNS1_3repE0EEENS1_30default_config_static_selectorELNS0_4arch9wavefront6targetE0EEEvT1_,comdat
.Lfunc_end1357:
	.size	_ZN7rocprim17ROCPRIM_400000_NS6detail17trampoline_kernelINS0_14default_configENS1_25partition_config_selectorILNS1_17partition_subalgoE5EfNS0_10empty_typeEbEEZZNS1_14partition_implILS5_5ELb0ES3_mN6thrust23THRUST_200600_302600_NS6detail15normal_iteratorINSA_10device_ptrIfEEEEPS6_NSA_18transform_iteratorINSB_9not_fun_tI7is_trueIfEEESF_NSA_11use_defaultESM_EENS0_5tupleIJSF_S6_EEENSO_IJSG_SG_EEES6_PlJS6_EEE10hipError_tPvRmT3_T4_T5_T6_T7_T9_mT8_P12ihipStream_tbDpT10_ENKUlT_T0_E_clISt17integral_constantIbLb1EES1A_IbLb0EEEEDaS16_S17_EUlS16_E_NS1_11comp_targetILNS1_3genE9ELNS1_11target_archE1100ELNS1_3gpuE3ELNS1_3repE0EEENS1_30default_config_static_selectorELNS0_4arch9wavefront6targetE0EEEvT1_, .Lfunc_end1357-_ZN7rocprim17ROCPRIM_400000_NS6detail17trampoline_kernelINS0_14default_configENS1_25partition_config_selectorILNS1_17partition_subalgoE5EfNS0_10empty_typeEbEEZZNS1_14partition_implILS5_5ELb0ES3_mN6thrust23THRUST_200600_302600_NS6detail15normal_iteratorINSA_10device_ptrIfEEEEPS6_NSA_18transform_iteratorINSB_9not_fun_tI7is_trueIfEEESF_NSA_11use_defaultESM_EENS0_5tupleIJSF_S6_EEENSO_IJSG_SG_EEES6_PlJS6_EEE10hipError_tPvRmT3_T4_T5_T6_T7_T9_mT8_P12ihipStream_tbDpT10_ENKUlT_T0_E_clISt17integral_constantIbLb1EES1A_IbLb0EEEEDaS16_S17_EUlS16_E_NS1_11comp_targetILNS1_3genE9ELNS1_11target_archE1100ELNS1_3gpuE3ELNS1_3repE0EEENS1_30default_config_static_selectorELNS0_4arch9wavefront6targetE0EEEvT1_
                                        ; -- End function
	.set _ZN7rocprim17ROCPRIM_400000_NS6detail17trampoline_kernelINS0_14default_configENS1_25partition_config_selectorILNS1_17partition_subalgoE5EfNS0_10empty_typeEbEEZZNS1_14partition_implILS5_5ELb0ES3_mN6thrust23THRUST_200600_302600_NS6detail15normal_iteratorINSA_10device_ptrIfEEEEPS6_NSA_18transform_iteratorINSB_9not_fun_tI7is_trueIfEEESF_NSA_11use_defaultESM_EENS0_5tupleIJSF_S6_EEENSO_IJSG_SG_EEES6_PlJS6_EEE10hipError_tPvRmT3_T4_T5_T6_T7_T9_mT8_P12ihipStream_tbDpT10_ENKUlT_T0_E_clISt17integral_constantIbLb1EES1A_IbLb0EEEEDaS16_S17_EUlS16_E_NS1_11comp_targetILNS1_3genE9ELNS1_11target_archE1100ELNS1_3gpuE3ELNS1_3repE0EEENS1_30default_config_static_selectorELNS0_4arch9wavefront6targetE0EEEvT1_.num_vgpr, 0
	.set _ZN7rocprim17ROCPRIM_400000_NS6detail17trampoline_kernelINS0_14default_configENS1_25partition_config_selectorILNS1_17partition_subalgoE5EfNS0_10empty_typeEbEEZZNS1_14partition_implILS5_5ELb0ES3_mN6thrust23THRUST_200600_302600_NS6detail15normal_iteratorINSA_10device_ptrIfEEEEPS6_NSA_18transform_iteratorINSB_9not_fun_tI7is_trueIfEEESF_NSA_11use_defaultESM_EENS0_5tupleIJSF_S6_EEENSO_IJSG_SG_EEES6_PlJS6_EEE10hipError_tPvRmT3_T4_T5_T6_T7_T9_mT8_P12ihipStream_tbDpT10_ENKUlT_T0_E_clISt17integral_constantIbLb1EES1A_IbLb0EEEEDaS16_S17_EUlS16_E_NS1_11comp_targetILNS1_3genE9ELNS1_11target_archE1100ELNS1_3gpuE3ELNS1_3repE0EEENS1_30default_config_static_selectorELNS0_4arch9wavefront6targetE0EEEvT1_.num_agpr, 0
	.set _ZN7rocprim17ROCPRIM_400000_NS6detail17trampoline_kernelINS0_14default_configENS1_25partition_config_selectorILNS1_17partition_subalgoE5EfNS0_10empty_typeEbEEZZNS1_14partition_implILS5_5ELb0ES3_mN6thrust23THRUST_200600_302600_NS6detail15normal_iteratorINSA_10device_ptrIfEEEEPS6_NSA_18transform_iteratorINSB_9not_fun_tI7is_trueIfEEESF_NSA_11use_defaultESM_EENS0_5tupleIJSF_S6_EEENSO_IJSG_SG_EEES6_PlJS6_EEE10hipError_tPvRmT3_T4_T5_T6_T7_T9_mT8_P12ihipStream_tbDpT10_ENKUlT_T0_E_clISt17integral_constantIbLb1EES1A_IbLb0EEEEDaS16_S17_EUlS16_E_NS1_11comp_targetILNS1_3genE9ELNS1_11target_archE1100ELNS1_3gpuE3ELNS1_3repE0EEENS1_30default_config_static_selectorELNS0_4arch9wavefront6targetE0EEEvT1_.numbered_sgpr, 0
	.set _ZN7rocprim17ROCPRIM_400000_NS6detail17trampoline_kernelINS0_14default_configENS1_25partition_config_selectorILNS1_17partition_subalgoE5EfNS0_10empty_typeEbEEZZNS1_14partition_implILS5_5ELb0ES3_mN6thrust23THRUST_200600_302600_NS6detail15normal_iteratorINSA_10device_ptrIfEEEEPS6_NSA_18transform_iteratorINSB_9not_fun_tI7is_trueIfEEESF_NSA_11use_defaultESM_EENS0_5tupleIJSF_S6_EEENSO_IJSG_SG_EEES6_PlJS6_EEE10hipError_tPvRmT3_T4_T5_T6_T7_T9_mT8_P12ihipStream_tbDpT10_ENKUlT_T0_E_clISt17integral_constantIbLb1EES1A_IbLb0EEEEDaS16_S17_EUlS16_E_NS1_11comp_targetILNS1_3genE9ELNS1_11target_archE1100ELNS1_3gpuE3ELNS1_3repE0EEENS1_30default_config_static_selectorELNS0_4arch9wavefront6targetE0EEEvT1_.num_named_barrier, 0
	.set _ZN7rocprim17ROCPRIM_400000_NS6detail17trampoline_kernelINS0_14default_configENS1_25partition_config_selectorILNS1_17partition_subalgoE5EfNS0_10empty_typeEbEEZZNS1_14partition_implILS5_5ELb0ES3_mN6thrust23THRUST_200600_302600_NS6detail15normal_iteratorINSA_10device_ptrIfEEEEPS6_NSA_18transform_iteratorINSB_9not_fun_tI7is_trueIfEEESF_NSA_11use_defaultESM_EENS0_5tupleIJSF_S6_EEENSO_IJSG_SG_EEES6_PlJS6_EEE10hipError_tPvRmT3_T4_T5_T6_T7_T9_mT8_P12ihipStream_tbDpT10_ENKUlT_T0_E_clISt17integral_constantIbLb1EES1A_IbLb0EEEEDaS16_S17_EUlS16_E_NS1_11comp_targetILNS1_3genE9ELNS1_11target_archE1100ELNS1_3gpuE3ELNS1_3repE0EEENS1_30default_config_static_selectorELNS0_4arch9wavefront6targetE0EEEvT1_.private_seg_size, 0
	.set _ZN7rocprim17ROCPRIM_400000_NS6detail17trampoline_kernelINS0_14default_configENS1_25partition_config_selectorILNS1_17partition_subalgoE5EfNS0_10empty_typeEbEEZZNS1_14partition_implILS5_5ELb0ES3_mN6thrust23THRUST_200600_302600_NS6detail15normal_iteratorINSA_10device_ptrIfEEEEPS6_NSA_18transform_iteratorINSB_9not_fun_tI7is_trueIfEEESF_NSA_11use_defaultESM_EENS0_5tupleIJSF_S6_EEENSO_IJSG_SG_EEES6_PlJS6_EEE10hipError_tPvRmT3_T4_T5_T6_T7_T9_mT8_P12ihipStream_tbDpT10_ENKUlT_T0_E_clISt17integral_constantIbLb1EES1A_IbLb0EEEEDaS16_S17_EUlS16_E_NS1_11comp_targetILNS1_3genE9ELNS1_11target_archE1100ELNS1_3gpuE3ELNS1_3repE0EEENS1_30default_config_static_selectorELNS0_4arch9wavefront6targetE0EEEvT1_.uses_vcc, 0
	.set _ZN7rocprim17ROCPRIM_400000_NS6detail17trampoline_kernelINS0_14default_configENS1_25partition_config_selectorILNS1_17partition_subalgoE5EfNS0_10empty_typeEbEEZZNS1_14partition_implILS5_5ELb0ES3_mN6thrust23THRUST_200600_302600_NS6detail15normal_iteratorINSA_10device_ptrIfEEEEPS6_NSA_18transform_iteratorINSB_9not_fun_tI7is_trueIfEEESF_NSA_11use_defaultESM_EENS0_5tupleIJSF_S6_EEENSO_IJSG_SG_EEES6_PlJS6_EEE10hipError_tPvRmT3_T4_T5_T6_T7_T9_mT8_P12ihipStream_tbDpT10_ENKUlT_T0_E_clISt17integral_constantIbLb1EES1A_IbLb0EEEEDaS16_S17_EUlS16_E_NS1_11comp_targetILNS1_3genE9ELNS1_11target_archE1100ELNS1_3gpuE3ELNS1_3repE0EEENS1_30default_config_static_selectorELNS0_4arch9wavefront6targetE0EEEvT1_.uses_flat_scratch, 0
	.set _ZN7rocprim17ROCPRIM_400000_NS6detail17trampoline_kernelINS0_14default_configENS1_25partition_config_selectorILNS1_17partition_subalgoE5EfNS0_10empty_typeEbEEZZNS1_14partition_implILS5_5ELb0ES3_mN6thrust23THRUST_200600_302600_NS6detail15normal_iteratorINSA_10device_ptrIfEEEEPS6_NSA_18transform_iteratorINSB_9not_fun_tI7is_trueIfEEESF_NSA_11use_defaultESM_EENS0_5tupleIJSF_S6_EEENSO_IJSG_SG_EEES6_PlJS6_EEE10hipError_tPvRmT3_T4_T5_T6_T7_T9_mT8_P12ihipStream_tbDpT10_ENKUlT_T0_E_clISt17integral_constantIbLb1EES1A_IbLb0EEEEDaS16_S17_EUlS16_E_NS1_11comp_targetILNS1_3genE9ELNS1_11target_archE1100ELNS1_3gpuE3ELNS1_3repE0EEENS1_30default_config_static_selectorELNS0_4arch9wavefront6targetE0EEEvT1_.has_dyn_sized_stack, 0
	.set _ZN7rocprim17ROCPRIM_400000_NS6detail17trampoline_kernelINS0_14default_configENS1_25partition_config_selectorILNS1_17partition_subalgoE5EfNS0_10empty_typeEbEEZZNS1_14partition_implILS5_5ELb0ES3_mN6thrust23THRUST_200600_302600_NS6detail15normal_iteratorINSA_10device_ptrIfEEEEPS6_NSA_18transform_iteratorINSB_9not_fun_tI7is_trueIfEEESF_NSA_11use_defaultESM_EENS0_5tupleIJSF_S6_EEENSO_IJSG_SG_EEES6_PlJS6_EEE10hipError_tPvRmT3_T4_T5_T6_T7_T9_mT8_P12ihipStream_tbDpT10_ENKUlT_T0_E_clISt17integral_constantIbLb1EES1A_IbLb0EEEEDaS16_S17_EUlS16_E_NS1_11comp_targetILNS1_3genE9ELNS1_11target_archE1100ELNS1_3gpuE3ELNS1_3repE0EEENS1_30default_config_static_selectorELNS0_4arch9wavefront6targetE0EEEvT1_.has_recursion, 0
	.set _ZN7rocprim17ROCPRIM_400000_NS6detail17trampoline_kernelINS0_14default_configENS1_25partition_config_selectorILNS1_17partition_subalgoE5EfNS0_10empty_typeEbEEZZNS1_14partition_implILS5_5ELb0ES3_mN6thrust23THRUST_200600_302600_NS6detail15normal_iteratorINSA_10device_ptrIfEEEEPS6_NSA_18transform_iteratorINSB_9not_fun_tI7is_trueIfEEESF_NSA_11use_defaultESM_EENS0_5tupleIJSF_S6_EEENSO_IJSG_SG_EEES6_PlJS6_EEE10hipError_tPvRmT3_T4_T5_T6_T7_T9_mT8_P12ihipStream_tbDpT10_ENKUlT_T0_E_clISt17integral_constantIbLb1EES1A_IbLb0EEEEDaS16_S17_EUlS16_E_NS1_11comp_targetILNS1_3genE9ELNS1_11target_archE1100ELNS1_3gpuE3ELNS1_3repE0EEENS1_30default_config_static_selectorELNS0_4arch9wavefront6targetE0EEEvT1_.has_indirect_call, 0
	.section	.AMDGPU.csdata,"",@progbits
; Kernel info:
; codeLenInByte = 0
; TotalNumSgprs: 0
; NumVgprs: 0
; ScratchSize: 0
; MemoryBound: 0
; FloatMode: 240
; IeeeMode: 1
; LDSByteSize: 0 bytes/workgroup (compile time only)
; SGPRBlocks: 0
; VGPRBlocks: 0
; NumSGPRsForWavesPerEU: 1
; NumVGPRsForWavesPerEU: 1
; Occupancy: 16
; WaveLimiterHint : 0
; COMPUTE_PGM_RSRC2:SCRATCH_EN: 0
; COMPUTE_PGM_RSRC2:USER_SGPR: 2
; COMPUTE_PGM_RSRC2:TRAP_HANDLER: 0
; COMPUTE_PGM_RSRC2:TGID_X_EN: 1
; COMPUTE_PGM_RSRC2:TGID_Y_EN: 0
; COMPUTE_PGM_RSRC2:TGID_Z_EN: 0
; COMPUTE_PGM_RSRC2:TIDIG_COMP_CNT: 0
	.section	.text._ZN7rocprim17ROCPRIM_400000_NS6detail17trampoline_kernelINS0_14default_configENS1_25partition_config_selectorILNS1_17partition_subalgoE5EfNS0_10empty_typeEbEEZZNS1_14partition_implILS5_5ELb0ES3_mN6thrust23THRUST_200600_302600_NS6detail15normal_iteratorINSA_10device_ptrIfEEEEPS6_NSA_18transform_iteratorINSB_9not_fun_tI7is_trueIfEEESF_NSA_11use_defaultESM_EENS0_5tupleIJSF_S6_EEENSO_IJSG_SG_EEES6_PlJS6_EEE10hipError_tPvRmT3_T4_T5_T6_T7_T9_mT8_P12ihipStream_tbDpT10_ENKUlT_T0_E_clISt17integral_constantIbLb1EES1A_IbLb0EEEEDaS16_S17_EUlS16_E_NS1_11comp_targetILNS1_3genE8ELNS1_11target_archE1030ELNS1_3gpuE2ELNS1_3repE0EEENS1_30default_config_static_selectorELNS0_4arch9wavefront6targetE0EEEvT1_,"axG",@progbits,_ZN7rocprim17ROCPRIM_400000_NS6detail17trampoline_kernelINS0_14default_configENS1_25partition_config_selectorILNS1_17partition_subalgoE5EfNS0_10empty_typeEbEEZZNS1_14partition_implILS5_5ELb0ES3_mN6thrust23THRUST_200600_302600_NS6detail15normal_iteratorINSA_10device_ptrIfEEEEPS6_NSA_18transform_iteratorINSB_9not_fun_tI7is_trueIfEEESF_NSA_11use_defaultESM_EENS0_5tupleIJSF_S6_EEENSO_IJSG_SG_EEES6_PlJS6_EEE10hipError_tPvRmT3_T4_T5_T6_T7_T9_mT8_P12ihipStream_tbDpT10_ENKUlT_T0_E_clISt17integral_constantIbLb1EES1A_IbLb0EEEEDaS16_S17_EUlS16_E_NS1_11comp_targetILNS1_3genE8ELNS1_11target_archE1030ELNS1_3gpuE2ELNS1_3repE0EEENS1_30default_config_static_selectorELNS0_4arch9wavefront6targetE0EEEvT1_,comdat
	.protected	_ZN7rocprim17ROCPRIM_400000_NS6detail17trampoline_kernelINS0_14default_configENS1_25partition_config_selectorILNS1_17partition_subalgoE5EfNS0_10empty_typeEbEEZZNS1_14partition_implILS5_5ELb0ES3_mN6thrust23THRUST_200600_302600_NS6detail15normal_iteratorINSA_10device_ptrIfEEEEPS6_NSA_18transform_iteratorINSB_9not_fun_tI7is_trueIfEEESF_NSA_11use_defaultESM_EENS0_5tupleIJSF_S6_EEENSO_IJSG_SG_EEES6_PlJS6_EEE10hipError_tPvRmT3_T4_T5_T6_T7_T9_mT8_P12ihipStream_tbDpT10_ENKUlT_T0_E_clISt17integral_constantIbLb1EES1A_IbLb0EEEEDaS16_S17_EUlS16_E_NS1_11comp_targetILNS1_3genE8ELNS1_11target_archE1030ELNS1_3gpuE2ELNS1_3repE0EEENS1_30default_config_static_selectorELNS0_4arch9wavefront6targetE0EEEvT1_ ; -- Begin function _ZN7rocprim17ROCPRIM_400000_NS6detail17trampoline_kernelINS0_14default_configENS1_25partition_config_selectorILNS1_17partition_subalgoE5EfNS0_10empty_typeEbEEZZNS1_14partition_implILS5_5ELb0ES3_mN6thrust23THRUST_200600_302600_NS6detail15normal_iteratorINSA_10device_ptrIfEEEEPS6_NSA_18transform_iteratorINSB_9not_fun_tI7is_trueIfEEESF_NSA_11use_defaultESM_EENS0_5tupleIJSF_S6_EEENSO_IJSG_SG_EEES6_PlJS6_EEE10hipError_tPvRmT3_T4_T5_T6_T7_T9_mT8_P12ihipStream_tbDpT10_ENKUlT_T0_E_clISt17integral_constantIbLb1EES1A_IbLb0EEEEDaS16_S17_EUlS16_E_NS1_11comp_targetILNS1_3genE8ELNS1_11target_archE1030ELNS1_3gpuE2ELNS1_3repE0EEENS1_30default_config_static_selectorELNS0_4arch9wavefront6targetE0EEEvT1_
	.globl	_ZN7rocprim17ROCPRIM_400000_NS6detail17trampoline_kernelINS0_14default_configENS1_25partition_config_selectorILNS1_17partition_subalgoE5EfNS0_10empty_typeEbEEZZNS1_14partition_implILS5_5ELb0ES3_mN6thrust23THRUST_200600_302600_NS6detail15normal_iteratorINSA_10device_ptrIfEEEEPS6_NSA_18transform_iteratorINSB_9not_fun_tI7is_trueIfEEESF_NSA_11use_defaultESM_EENS0_5tupleIJSF_S6_EEENSO_IJSG_SG_EEES6_PlJS6_EEE10hipError_tPvRmT3_T4_T5_T6_T7_T9_mT8_P12ihipStream_tbDpT10_ENKUlT_T0_E_clISt17integral_constantIbLb1EES1A_IbLb0EEEEDaS16_S17_EUlS16_E_NS1_11comp_targetILNS1_3genE8ELNS1_11target_archE1030ELNS1_3gpuE2ELNS1_3repE0EEENS1_30default_config_static_selectorELNS0_4arch9wavefront6targetE0EEEvT1_
	.p2align	8
	.type	_ZN7rocprim17ROCPRIM_400000_NS6detail17trampoline_kernelINS0_14default_configENS1_25partition_config_selectorILNS1_17partition_subalgoE5EfNS0_10empty_typeEbEEZZNS1_14partition_implILS5_5ELb0ES3_mN6thrust23THRUST_200600_302600_NS6detail15normal_iteratorINSA_10device_ptrIfEEEEPS6_NSA_18transform_iteratorINSB_9not_fun_tI7is_trueIfEEESF_NSA_11use_defaultESM_EENS0_5tupleIJSF_S6_EEENSO_IJSG_SG_EEES6_PlJS6_EEE10hipError_tPvRmT3_T4_T5_T6_T7_T9_mT8_P12ihipStream_tbDpT10_ENKUlT_T0_E_clISt17integral_constantIbLb1EES1A_IbLb0EEEEDaS16_S17_EUlS16_E_NS1_11comp_targetILNS1_3genE8ELNS1_11target_archE1030ELNS1_3gpuE2ELNS1_3repE0EEENS1_30default_config_static_selectorELNS0_4arch9wavefront6targetE0EEEvT1_,@function
_ZN7rocprim17ROCPRIM_400000_NS6detail17trampoline_kernelINS0_14default_configENS1_25partition_config_selectorILNS1_17partition_subalgoE5EfNS0_10empty_typeEbEEZZNS1_14partition_implILS5_5ELb0ES3_mN6thrust23THRUST_200600_302600_NS6detail15normal_iteratorINSA_10device_ptrIfEEEEPS6_NSA_18transform_iteratorINSB_9not_fun_tI7is_trueIfEEESF_NSA_11use_defaultESM_EENS0_5tupleIJSF_S6_EEENSO_IJSG_SG_EEES6_PlJS6_EEE10hipError_tPvRmT3_T4_T5_T6_T7_T9_mT8_P12ihipStream_tbDpT10_ENKUlT_T0_E_clISt17integral_constantIbLb1EES1A_IbLb0EEEEDaS16_S17_EUlS16_E_NS1_11comp_targetILNS1_3genE8ELNS1_11target_archE1030ELNS1_3gpuE2ELNS1_3repE0EEENS1_30default_config_static_selectorELNS0_4arch9wavefront6targetE0EEEvT1_: ; @_ZN7rocprim17ROCPRIM_400000_NS6detail17trampoline_kernelINS0_14default_configENS1_25partition_config_selectorILNS1_17partition_subalgoE5EfNS0_10empty_typeEbEEZZNS1_14partition_implILS5_5ELb0ES3_mN6thrust23THRUST_200600_302600_NS6detail15normal_iteratorINSA_10device_ptrIfEEEEPS6_NSA_18transform_iteratorINSB_9not_fun_tI7is_trueIfEEESF_NSA_11use_defaultESM_EENS0_5tupleIJSF_S6_EEENSO_IJSG_SG_EEES6_PlJS6_EEE10hipError_tPvRmT3_T4_T5_T6_T7_T9_mT8_P12ihipStream_tbDpT10_ENKUlT_T0_E_clISt17integral_constantIbLb1EES1A_IbLb0EEEEDaS16_S17_EUlS16_E_NS1_11comp_targetILNS1_3genE8ELNS1_11target_archE1030ELNS1_3gpuE2ELNS1_3repE0EEENS1_30default_config_static_selectorELNS0_4arch9wavefront6targetE0EEEvT1_
; %bb.0:
	.section	.rodata,"a",@progbits
	.p2align	6, 0x0
	.amdhsa_kernel _ZN7rocprim17ROCPRIM_400000_NS6detail17trampoline_kernelINS0_14default_configENS1_25partition_config_selectorILNS1_17partition_subalgoE5EfNS0_10empty_typeEbEEZZNS1_14partition_implILS5_5ELb0ES3_mN6thrust23THRUST_200600_302600_NS6detail15normal_iteratorINSA_10device_ptrIfEEEEPS6_NSA_18transform_iteratorINSB_9not_fun_tI7is_trueIfEEESF_NSA_11use_defaultESM_EENS0_5tupleIJSF_S6_EEENSO_IJSG_SG_EEES6_PlJS6_EEE10hipError_tPvRmT3_T4_T5_T6_T7_T9_mT8_P12ihipStream_tbDpT10_ENKUlT_T0_E_clISt17integral_constantIbLb1EES1A_IbLb0EEEEDaS16_S17_EUlS16_E_NS1_11comp_targetILNS1_3genE8ELNS1_11target_archE1030ELNS1_3gpuE2ELNS1_3repE0EEENS1_30default_config_static_selectorELNS0_4arch9wavefront6targetE0EEEvT1_
		.amdhsa_group_segment_fixed_size 0
		.amdhsa_private_segment_fixed_size 0
		.amdhsa_kernarg_size 120
		.amdhsa_user_sgpr_count 2
		.amdhsa_user_sgpr_dispatch_ptr 0
		.amdhsa_user_sgpr_queue_ptr 0
		.amdhsa_user_sgpr_kernarg_segment_ptr 1
		.amdhsa_user_sgpr_dispatch_id 0
		.amdhsa_user_sgpr_private_segment_size 0
		.amdhsa_wavefront_size32 1
		.amdhsa_uses_dynamic_stack 0
		.amdhsa_enable_private_segment 0
		.amdhsa_system_sgpr_workgroup_id_x 1
		.amdhsa_system_sgpr_workgroup_id_y 0
		.amdhsa_system_sgpr_workgroup_id_z 0
		.amdhsa_system_sgpr_workgroup_info 0
		.amdhsa_system_vgpr_workitem_id 0
		.amdhsa_next_free_vgpr 1
		.amdhsa_next_free_sgpr 1
		.amdhsa_reserve_vcc 0
		.amdhsa_float_round_mode_32 0
		.amdhsa_float_round_mode_16_64 0
		.amdhsa_float_denorm_mode_32 3
		.amdhsa_float_denorm_mode_16_64 3
		.amdhsa_fp16_overflow 0
		.amdhsa_workgroup_processor_mode 1
		.amdhsa_memory_ordered 1
		.amdhsa_forward_progress 1
		.amdhsa_inst_pref_size 0
		.amdhsa_round_robin_scheduling 0
		.amdhsa_exception_fp_ieee_invalid_op 0
		.amdhsa_exception_fp_denorm_src 0
		.amdhsa_exception_fp_ieee_div_zero 0
		.amdhsa_exception_fp_ieee_overflow 0
		.amdhsa_exception_fp_ieee_underflow 0
		.amdhsa_exception_fp_ieee_inexact 0
		.amdhsa_exception_int_div_zero 0
	.end_amdhsa_kernel
	.section	.text._ZN7rocprim17ROCPRIM_400000_NS6detail17trampoline_kernelINS0_14default_configENS1_25partition_config_selectorILNS1_17partition_subalgoE5EfNS0_10empty_typeEbEEZZNS1_14partition_implILS5_5ELb0ES3_mN6thrust23THRUST_200600_302600_NS6detail15normal_iteratorINSA_10device_ptrIfEEEEPS6_NSA_18transform_iteratorINSB_9not_fun_tI7is_trueIfEEESF_NSA_11use_defaultESM_EENS0_5tupleIJSF_S6_EEENSO_IJSG_SG_EEES6_PlJS6_EEE10hipError_tPvRmT3_T4_T5_T6_T7_T9_mT8_P12ihipStream_tbDpT10_ENKUlT_T0_E_clISt17integral_constantIbLb1EES1A_IbLb0EEEEDaS16_S17_EUlS16_E_NS1_11comp_targetILNS1_3genE8ELNS1_11target_archE1030ELNS1_3gpuE2ELNS1_3repE0EEENS1_30default_config_static_selectorELNS0_4arch9wavefront6targetE0EEEvT1_,"axG",@progbits,_ZN7rocprim17ROCPRIM_400000_NS6detail17trampoline_kernelINS0_14default_configENS1_25partition_config_selectorILNS1_17partition_subalgoE5EfNS0_10empty_typeEbEEZZNS1_14partition_implILS5_5ELb0ES3_mN6thrust23THRUST_200600_302600_NS6detail15normal_iteratorINSA_10device_ptrIfEEEEPS6_NSA_18transform_iteratorINSB_9not_fun_tI7is_trueIfEEESF_NSA_11use_defaultESM_EENS0_5tupleIJSF_S6_EEENSO_IJSG_SG_EEES6_PlJS6_EEE10hipError_tPvRmT3_T4_T5_T6_T7_T9_mT8_P12ihipStream_tbDpT10_ENKUlT_T0_E_clISt17integral_constantIbLb1EES1A_IbLb0EEEEDaS16_S17_EUlS16_E_NS1_11comp_targetILNS1_3genE8ELNS1_11target_archE1030ELNS1_3gpuE2ELNS1_3repE0EEENS1_30default_config_static_selectorELNS0_4arch9wavefront6targetE0EEEvT1_,comdat
.Lfunc_end1358:
	.size	_ZN7rocprim17ROCPRIM_400000_NS6detail17trampoline_kernelINS0_14default_configENS1_25partition_config_selectorILNS1_17partition_subalgoE5EfNS0_10empty_typeEbEEZZNS1_14partition_implILS5_5ELb0ES3_mN6thrust23THRUST_200600_302600_NS6detail15normal_iteratorINSA_10device_ptrIfEEEEPS6_NSA_18transform_iteratorINSB_9not_fun_tI7is_trueIfEEESF_NSA_11use_defaultESM_EENS0_5tupleIJSF_S6_EEENSO_IJSG_SG_EEES6_PlJS6_EEE10hipError_tPvRmT3_T4_T5_T6_T7_T9_mT8_P12ihipStream_tbDpT10_ENKUlT_T0_E_clISt17integral_constantIbLb1EES1A_IbLb0EEEEDaS16_S17_EUlS16_E_NS1_11comp_targetILNS1_3genE8ELNS1_11target_archE1030ELNS1_3gpuE2ELNS1_3repE0EEENS1_30default_config_static_selectorELNS0_4arch9wavefront6targetE0EEEvT1_, .Lfunc_end1358-_ZN7rocprim17ROCPRIM_400000_NS6detail17trampoline_kernelINS0_14default_configENS1_25partition_config_selectorILNS1_17partition_subalgoE5EfNS0_10empty_typeEbEEZZNS1_14partition_implILS5_5ELb0ES3_mN6thrust23THRUST_200600_302600_NS6detail15normal_iteratorINSA_10device_ptrIfEEEEPS6_NSA_18transform_iteratorINSB_9not_fun_tI7is_trueIfEEESF_NSA_11use_defaultESM_EENS0_5tupleIJSF_S6_EEENSO_IJSG_SG_EEES6_PlJS6_EEE10hipError_tPvRmT3_T4_T5_T6_T7_T9_mT8_P12ihipStream_tbDpT10_ENKUlT_T0_E_clISt17integral_constantIbLb1EES1A_IbLb0EEEEDaS16_S17_EUlS16_E_NS1_11comp_targetILNS1_3genE8ELNS1_11target_archE1030ELNS1_3gpuE2ELNS1_3repE0EEENS1_30default_config_static_selectorELNS0_4arch9wavefront6targetE0EEEvT1_
                                        ; -- End function
	.set _ZN7rocprim17ROCPRIM_400000_NS6detail17trampoline_kernelINS0_14default_configENS1_25partition_config_selectorILNS1_17partition_subalgoE5EfNS0_10empty_typeEbEEZZNS1_14partition_implILS5_5ELb0ES3_mN6thrust23THRUST_200600_302600_NS6detail15normal_iteratorINSA_10device_ptrIfEEEEPS6_NSA_18transform_iteratorINSB_9not_fun_tI7is_trueIfEEESF_NSA_11use_defaultESM_EENS0_5tupleIJSF_S6_EEENSO_IJSG_SG_EEES6_PlJS6_EEE10hipError_tPvRmT3_T4_T5_T6_T7_T9_mT8_P12ihipStream_tbDpT10_ENKUlT_T0_E_clISt17integral_constantIbLb1EES1A_IbLb0EEEEDaS16_S17_EUlS16_E_NS1_11comp_targetILNS1_3genE8ELNS1_11target_archE1030ELNS1_3gpuE2ELNS1_3repE0EEENS1_30default_config_static_selectorELNS0_4arch9wavefront6targetE0EEEvT1_.num_vgpr, 0
	.set _ZN7rocprim17ROCPRIM_400000_NS6detail17trampoline_kernelINS0_14default_configENS1_25partition_config_selectorILNS1_17partition_subalgoE5EfNS0_10empty_typeEbEEZZNS1_14partition_implILS5_5ELb0ES3_mN6thrust23THRUST_200600_302600_NS6detail15normal_iteratorINSA_10device_ptrIfEEEEPS6_NSA_18transform_iteratorINSB_9not_fun_tI7is_trueIfEEESF_NSA_11use_defaultESM_EENS0_5tupleIJSF_S6_EEENSO_IJSG_SG_EEES6_PlJS6_EEE10hipError_tPvRmT3_T4_T5_T6_T7_T9_mT8_P12ihipStream_tbDpT10_ENKUlT_T0_E_clISt17integral_constantIbLb1EES1A_IbLb0EEEEDaS16_S17_EUlS16_E_NS1_11comp_targetILNS1_3genE8ELNS1_11target_archE1030ELNS1_3gpuE2ELNS1_3repE0EEENS1_30default_config_static_selectorELNS0_4arch9wavefront6targetE0EEEvT1_.num_agpr, 0
	.set _ZN7rocprim17ROCPRIM_400000_NS6detail17trampoline_kernelINS0_14default_configENS1_25partition_config_selectorILNS1_17partition_subalgoE5EfNS0_10empty_typeEbEEZZNS1_14partition_implILS5_5ELb0ES3_mN6thrust23THRUST_200600_302600_NS6detail15normal_iteratorINSA_10device_ptrIfEEEEPS6_NSA_18transform_iteratorINSB_9not_fun_tI7is_trueIfEEESF_NSA_11use_defaultESM_EENS0_5tupleIJSF_S6_EEENSO_IJSG_SG_EEES6_PlJS6_EEE10hipError_tPvRmT3_T4_T5_T6_T7_T9_mT8_P12ihipStream_tbDpT10_ENKUlT_T0_E_clISt17integral_constantIbLb1EES1A_IbLb0EEEEDaS16_S17_EUlS16_E_NS1_11comp_targetILNS1_3genE8ELNS1_11target_archE1030ELNS1_3gpuE2ELNS1_3repE0EEENS1_30default_config_static_selectorELNS0_4arch9wavefront6targetE0EEEvT1_.numbered_sgpr, 0
	.set _ZN7rocprim17ROCPRIM_400000_NS6detail17trampoline_kernelINS0_14default_configENS1_25partition_config_selectorILNS1_17partition_subalgoE5EfNS0_10empty_typeEbEEZZNS1_14partition_implILS5_5ELb0ES3_mN6thrust23THRUST_200600_302600_NS6detail15normal_iteratorINSA_10device_ptrIfEEEEPS6_NSA_18transform_iteratorINSB_9not_fun_tI7is_trueIfEEESF_NSA_11use_defaultESM_EENS0_5tupleIJSF_S6_EEENSO_IJSG_SG_EEES6_PlJS6_EEE10hipError_tPvRmT3_T4_T5_T6_T7_T9_mT8_P12ihipStream_tbDpT10_ENKUlT_T0_E_clISt17integral_constantIbLb1EES1A_IbLb0EEEEDaS16_S17_EUlS16_E_NS1_11comp_targetILNS1_3genE8ELNS1_11target_archE1030ELNS1_3gpuE2ELNS1_3repE0EEENS1_30default_config_static_selectorELNS0_4arch9wavefront6targetE0EEEvT1_.num_named_barrier, 0
	.set _ZN7rocprim17ROCPRIM_400000_NS6detail17trampoline_kernelINS0_14default_configENS1_25partition_config_selectorILNS1_17partition_subalgoE5EfNS0_10empty_typeEbEEZZNS1_14partition_implILS5_5ELb0ES3_mN6thrust23THRUST_200600_302600_NS6detail15normal_iteratorINSA_10device_ptrIfEEEEPS6_NSA_18transform_iteratorINSB_9not_fun_tI7is_trueIfEEESF_NSA_11use_defaultESM_EENS0_5tupleIJSF_S6_EEENSO_IJSG_SG_EEES6_PlJS6_EEE10hipError_tPvRmT3_T4_T5_T6_T7_T9_mT8_P12ihipStream_tbDpT10_ENKUlT_T0_E_clISt17integral_constantIbLb1EES1A_IbLb0EEEEDaS16_S17_EUlS16_E_NS1_11comp_targetILNS1_3genE8ELNS1_11target_archE1030ELNS1_3gpuE2ELNS1_3repE0EEENS1_30default_config_static_selectorELNS0_4arch9wavefront6targetE0EEEvT1_.private_seg_size, 0
	.set _ZN7rocprim17ROCPRIM_400000_NS6detail17trampoline_kernelINS0_14default_configENS1_25partition_config_selectorILNS1_17partition_subalgoE5EfNS0_10empty_typeEbEEZZNS1_14partition_implILS5_5ELb0ES3_mN6thrust23THRUST_200600_302600_NS6detail15normal_iteratorINSA_10device_ptrIfEEEEPS6_NSA_18transform_iteratorINSB_9not_fun_tI7is_trueIfEEESF_NSA_11use_defaultESM_EENS0_5tupleIJSF_S6_EEENSO_IJSG_SG_EEES6_PlJS6_EEE10hipError_tPvRmT3_T4_T5_T6_T7_T9_mT8_P12ihipStream_tbDpT10_ENKUlT_T0_E_clISt17integral_constantIbLb1EES1A_IbLb0EEEEDaS16_S17_EUlS16_E_NS1_11comp_targetILNS1_3genE8ELNS1_11target_archE1030ELNS1_3gpuE2ELNS1_3repE0EEENS1_30default_config_static_selectorELNS0_4arch9wavefront6targetE0EEEvT1_.uses_vcc, 0
	.set _ZN7rocprim17ROCPRIM_400000_NS6detail17trampoline_kernelINS0_14default_configENS1_25partition_config_selectorILNS1_17partition_subalgoE5EfNS0_10empty_typeEbEEZZNS1_14partition_implILS5_5ELb0ES3_mN6thrust23THRUST_200600_302600_NS6detail15normal_iteratorINSA_10device_ptrIfEEEEPS6_NSA_18transform_iteratorINSB_9not_fun_tI7is_trueIfEEESF_NSA_11use_defaultESM_EENS0_5tupleIJSF_S6_EEENSO_IJSG_SG_EEES6_PlJS6_EEE10hipError_tPvRmT3_T4_T5_T6_T7_T9_mT8_P12ihipStream_tbDpT10_ENKUlT_T0_E_clISt17integral_constantIbLb1EES1A_IbLb0EEEEDaS16_S17_EUlS16_E_NS1_11comp_targetILNS1_3genE8ELNS1_11target_archE1030ELNS1_3gpuE2ELNS1_3repE0EEENS1_30default_config_static_selectorELNS0_4arch9wavefront6targetE0EEEvT1_.uses_flat_scratch, 0
	.set _ZN7rocprim17ROCPRIM_400000_NS6detail17trampoline_kernelINS0_14default_configENS1_25partition_config_selectorILNS1_17partition_subalgoE5EfNS0_10empty_typeEbEEZZNS1_14partition_implILS5_5ELb0ES3_mN6thrust23THRUST_200600_302600_NS6detail15normal_iteratorINSA_10device_ptrIfEEEEPS6_NSA_18transform_iteratorINSB_9not_fun_tI7is_trueIfEEESF_NSA_11use_defaultESM_EENS0_5tupleIJSF_S6_EEENSO_IJSG_SG_EEES6_PlJS6_EEE10hipError_tPvRmT3_T4_T5_T6_T7_T9_mT8_P12ihipStream_tbDpT10_ENKUlT_T0_E_clISt17integral_constantIbLb1EES1A_IbLb0EEEEDaS16_S17_EUlS16_E_NS1_11comp_targetILNS1_3genE8ELNS1_11target_archE1030ELNS1_3gpuE2ELNS1_3repE0EEENS1_30default_config_static_selectorELNS0_4arch9wavefront6targetE0EEEvT1_.has_dyn_sized_stack, 0
	.set _ZN7rocprim17ROCPRIM_400000_NS6detail17trampoline_kernelINS0_14default_configENS1_25partition_config_selectorILNS1_17partition_subalgoE5EfNS0_10empty_typeEbEEZZNS1_14partition_implILS5_5ELb0ES3_mN6thrust23THRUST_200600_302600_NS6detail15normal_iteratorINSA_10device_ptrIfEEEEPS6_NSA_18transform_iteratorINSB_9not_fun_tI7is_trueIfEEESF_NSA_11use_defaultESM_EENS0_5tupleIJSF_S6_EEENSO_IJSG_SG_EEES6_PlJS6_EEE10hipError_tPvRmT3_T4_T5_T6_T7_T9_mT8_P12ihipStream_tbDpT10_ENKUlT_T0_E_clISt17integral_constantIbLb1EES1A_IbLb0EEEEDaS16_S17_EUlS16_E_NS1_11comp_targetILNS1_3genE8ELNS1_11target_archE1030ELNS1_3gpuE2ELNS1_3repE0EEENS1_30default_config_static_selectorELNS0_4arch9wavefront6targetE0EEEvT1_.has_recursion, 0
	.set _ZN7rocprim17ROCPRIM_400000_NS6detail17trampoline_kernelINS0_14default_configENS1_25partition_config_selectorILNS1_17partition_subalgoE5EfNS0_10empty_typeEbEEZZNS1_14partition_implILS5_5ELb0ES3_mN6thrust23THRUST_200600_302600_NS6detail15normal_iteratorINSA_10device_ptrIfEEEEPS6_NSA_18transform_iteratorINSB_9not_fun_tI7is_trueIfEEESF_NSA_11use_defaultESM_EENS0_5tupleIJSF_S6_EEENSO_IJSG_SG_EEES6_PlJS6_EEE10hipError_tPvRmT3_T4_T5_T6_T7_T9_mT8_P12ihipStream_tbDpT10_ENKUlT_T0_E_clISt17integral_constantIbLb1EES1A_IbLb0EEEEDaS16_S17_EUlS16_E_NS1_11comp_targetILNS1_3genE8ELNS1_11target_archE1030ELNS1_3gpuE2ELNS1_3repE0EEENS1_30default_config_static_selectorELNS0_4arch9wavefront6targetE0EEEvT1_.has_indirect_call, 0
	.section	.AMDGPU.csdata,"",@progbits
; Kernel info:
; codeLenInByte = 0
; TotalNumSgprs: 0
; NumVgprs: 0
; ScratchSize: 0
; MemoryBound: 0
; FloatMode: 240
; IeeeMode: 1
; LDSByteSize: 0 bytes/workgroup (compile time only)
; SGPRBlocks: 0
; VGPRBlocks: 0
; NumSGPRsForWavesPerEU: 1
; NumVGPRsForWavesPerEU: 1
; Occupancy: 16
; WaveLimiterHint : 0
; COMPUTE_PGM_RSRC2:SCRATCH_EN: 0
; COMPUTE_PGM_RSRC2:USER_SGPR: 2
; COMPUTE_PGM_RSRC2:TRAP_HANDLER: 0
; COMPUTE_PGM_RSRC2:TGID_X_EN: 1
; COMPUTE_PGM_RSRC2:TGID_Y_EN: 0
; COMPUTE_PGM_RSRC2:TGID_Z_EN: 0
; COMPUTE_PGM_RSRC2:TIDIG_COMP_CNT: 0
	.section	.text._ZN7rocprim17ROCPRIM_400000_NS6detail17trampoline_kernelINS0_14default_configENS1_25partition_config_selectorILNS1_17partition_subalgoE5EfNS0_10empty_typeEbEEZZNS1_14partition_implILS5_5ELb0ES3_mN6thrust23THRUST_200600_302600_NS6detail15normal_iteratorINSA_10device_ptrIfEEEEPS6_NSA_18transform_iteratorINSB_9not_fun_tI7is_trueIfEEESF_NSA_11use_defaultESM_EENS0_5tupleIJSF_S6_EEENSO_IJSG_SG_EEES6_PlJS6_EEE10hipError_tPvRmT3_T4_T5_T6_T7_T9_mT8_P12ihipStream_tbDpT10_ENKUlT_T0_E_clISt17integral_constantIbLb0EES1A_IbLb1EEEEDaS16_S17_EUlS16_E_NS1_11comp_targetILNS1_3genE0ELNS1_11target_archE4294967295ELNS1_3gpuE0ELNS1_3repE0EEENS1_30default_config_static_selectorELNS0_4arch9wavefront6targetE0EEEvT1_,"axG",@progbits,_ZN7rocprim17ROCPRIM_400000_NS6detail17trampoline_kernelINS0_14default_configENS1_25partition_config_selectorILNS1_17partition_subalgoE5EfNS0_10empty_typeEbEEZZNS1_14partition_implILS5_5ELb0ES3_mN6thrust23THRUST_200600_302600_NS6detail15normal_iteratorINSA_10device_ptrIfEEEEPS6_NSA_18transform_iteratorINSB_9not_fun_tI7is_trueIfEEESF_NSA_11use_defaultESM_EENS0_5tupleIJSF_S6_EEENSO_IJSG_SG_EEES6_PlJS6_EEE10hipError_tPvRmT3_T4_T5_T6_T7_T9_mT8_P12ihipStream_tbDpT10_ENKUlT_T0_E_clISt17integral_constantIbLb0EES1A_IbLb1EEEEDaS16_S17_EUlS16_E_NS1_11comp_targetILNS1_3genE0ELNS1_11target_archE4294967295ELNS1_3gpuE0ELNS1_3repE0EEENS1_30default_config_static_selectorELNS0_4arch9wavefront6targetE0EEEvT1_,comdat
	.protected	_ZN7rocprim17ROCPRIM_400000_NS6detail17trampoline_kernelINS0_14default_configENS1_25partition_config_selectorILNS1_17partition_subalgoE5EfNS0_10empty_typeEbEEZZNS1_14partition_implILS5_5ELb0ES3_mN6thrust23THRUST_200600_302600_NS6detail15normal_iteratorINSA_10device_ptrIfEEEEPS6_NSA_18transform_iteratorINSB_9not_fun_tI7is_trueIfEEESF_NSA_11use_defaultESM_EENS0_5tupleIJSF_S6_EEENSO_IJSG_SG_EEES6_PlJS6_EEE10hipError_tPvRmT3_T4_T5_T6_T7_T9_mT8_P12ihipStream_tbDpT10_ENKUlT_T0_E_clISt17integral_constantIbLb0EES1A_IbLb1EEEEDaS16_S17_EUlS16_E_NS1_11comp_targetILNS1_3genE0ELNS1_11target_archE4294967295ELNS1_3gpuE0ELNS1_3repE0EEENS1_30default_config_static_selectorELNS0_4arch9wavefront6targetE0EEEvT1_ ; -- Begin function _ZN7rocprim17ROCPRIM_400000_NS6detail17trampoline_kernelINS0_14default_configENS1_25partition_config_selectorILNS1_17partition_subalgoE5EfNS0_10empty_typeEbEEZZNS1_14partition_implILS5_5ELb0ES3_mN6thrust23THRUST_200600_302600_NS6detail15normal_iteratorINSA_10device_ptrIfEEEEPS6_NSA_18transform_iteratorINSB_9not_fun_tI7is_trueIfEEESF_NSA_11use_defaultESM_EENS0_5tupleIJSF_S6_EEENSO_IJSG_SG_EEES6_PlJS6_EEE10hipError_tPvRmT3_T4_T5_T6_T7_T9_mT8_P12ihipStream_tbDpT10_ENKUlT_T0_E_clISt17integral_constantIbLb0EES1A_IbLb1EEEEDaS16_S17_EUlS16_E_NS1_11comp_targetILNS1_3genE0ELNS1_11target_archE4294967295ELNS1_3gpuE0ELNS1_3repE0EEENS1_30default_config_static_selectorELNS0_4arch9wavefront6targetE0EEEvT1_
	.globl	_ZN7rocprim17ROCPRIM_400000_NS6detail17trampoline_kernelINS0_14default_configENS1_25partition_config_selectorILNS1_17partition_subalgoE5EfNS0_10empty_typeEbEEZZNS1_14partition_implILS5_5ELb0ES3_mN6thrust23THRUST_200600_302600_NS6detail15normal_iteratorINSA_10device_ptrIfEEEEPS6_NSA_18transform_iteratorINSB_9not_fun_tI7is_trueIfEEESF_NSA_11use_defaultESM_EENS0_5tupleIJSF_S6_EEENSO_IJSG_SG_EEES6_PlJS6_EEE10hipError_tPvRmT3_T4_T5_T6_T7_T9_mT8_P12ihipStream_tbDpT10_ENKUlT_T0_E_clISt17integral_constantIbLb0EES1A_IbLb1EEEEDaS16_S17_EUlS16_E_NS1_11comp_targetILNS1_3genE0ELNS1_11target_archE4294967295ELNS1_3gpuE0ELNS1_3repE0EEENS1_30default_config_static_selectorELNS0_4arch9wavefront6targetE0EEEvT1_
	.p2align	8
	.type	_ZN7rocprim17ROCPRIM_400000_NS6detail17trampoline_kernelINS0_14default_configENS1_25partition_config_selectorILNS1_17partition_subalgoE5EfNS0_10empty_typeEbEEZZNS1_14partition_implILS5_5ELb0ES3_mN6thrust23THRUST_200600_302600_NS6detail15normal_iteratorINSA_10device_ptrIfEEEEPS6_NSA_18transform_iteratorINSB_9not_fun_tI7is_trueIfEEESF_NSA_11use_defaultESM_EENS0_5tupleIJSF_S6_EEENSO_IJSG_SG_EEES6_PlJS6_EEE10hipError_tPvRmT3_T4_T5_T6_T7_T9_mT8_P12ihipStream_tbDpT10_ENKUlT_T0_E_clISt17integral_constantIbLb0EES1A_IbLb1EEEEDaS16_S17_EUlS16_E_NS1_11comp_targetILNS1_3genE0ELNS1_11target_archE4294967295ELNS1_3gpuE0ELNS1_3repE0EEENS1_30default_config_static_selectorELNS0_4arch9wavefront6targetE0EEEvT1_,@function
_ZN7rocprim17ROCPRIM_400000_NS6detail17trampoline_kernelINS0_14default_configENS1_25partition_config_selectorILNS1_17partition_subalgoE5EfNS0_10empty_typeEbEEZZNS1_14partition_implILS5_5ELb0ES3_mN6thrust23THRUST_200600_302600_NS6detail15normal_iteratorINSA_10device_ptrIfEEEEPS6_NSA_18transform_iteratorINSB_9not_fun_tI7is_trueIfEEESF_NSA_11use_defaultESM_EENS0_5tupleIJSF_S6_EEENSO_IJSG_SG_EEES6_PlJS6_EEE10hipError_tPvRmT3_T4_T5_T6_T7_T9_mT8_P12ihipStream_tbDpT10_ENKUlT_T0_E_clISt17integral_constantIbLb0EES1A_IbLb1EEEEDaS16_S17_EUlS16_E_NS1_11comp_targetILNS1_3genE0ELNS1_11target_archE4294967295ELNS1_3gpuE0ELNS1_3repE0EEENS1_30default_config_static_selectorELNS0_4arch9wavefront6targetE0EEEvT1_: ; @_ZN7rocprim17ROCPRIM_400000_NS6detail17trampoline_kernelINS0_14default_configENS1_25partition_config_selectorILNS1_17partition_subalgoE5EfNS0_10empty_typeEbEEZZNS1_14partition_implILS5_5ELb0ES3_mN6thrust23THRUST_200600_302600_NS6detail15normal_iteratorINSA_10device_ptrIfEEEEPS6_NSA_18transform_iteratorINSB_9not_fun_tI7is_trueIfEEESF_NSA_11use_defaultESM_EENS0_5tupleIJSF_S6_EEENSO_IJSG_SG_EEES6_PlJS6_EEE10hipError_tPvRmT3_T4_T5_T6_T7_T9_mT8_P12ihipStream_tbDpT10_ENKUlT_T0_E_clISt17integral_constantIbLb0EES1A_IbLb1EEEEDaS16_S17_EUlS16_E_NS1_11comp_targetILNS1_3genE0ELNS1_11target_archE4294967295ELNS1_3gpuE0ELNS1_3repE0EEENS1_30default_config_static_selectorELNS0_4arch9wavefront6targetE0EEEvT1_
; %bb.0:
	.section	.rodata,"a",@progbits
	.p2align	6, 0x0
	.amdhsa_kernel _ZN7rocprim17ROCPRIM_400000_NS6detail17trampoline_kernelINS0_14default_configENS1_25partition_config_selectorILNS1_17partition_subalgoE5EfNS0_10empty_typeEbEEZZNS1_14partition_implILS5_5ELb0ES3_mN6thrust23THRUST_200600_302600_NS6detail15normal_iteratorINSA_10device_ptrIfEEEEPS6_NSA_18transform_iteratorINSB_9not_fun_tI7is_trueIfEEESF_NSA_11use_defaultESM_EENS0_5tupleIJSF_S6_EEENSO_IJSG_SG_EEES6_PlJS6_EEE10hipError_tPvRmT3_T4_T5_T6_T7_T9_mT8_P12ihipStream_tbDpT10_ENKUlT_T0_E_clISt17integral_constantIbLb0EES1A_IbLb1EEEEDaS16_S17_EUlS16_E_NS1_11comp_targetILNS1_3genE0ELNS1_11target_archE4294967295ELNS1_3gpuE0ELNS1_3repE0EEENS1_30default_config_static_selectorELNS0_4arch9wavefront6targetE0EEEvT1_
		.amdhsa_group_segment_fixed_size 0
		.amdhsa_private_segment_fixed_size 0
		.amdhsa_kernarg_size 136
		.amdhsa_user_sgpr_count 2
		.amdhsa_user_sgpr_dispatch_ptr 0
		.amdhsa_user_sgpr_queue_ptr 0
		.amdhsa_user_sgpr_kernarg_segment_ptr 1
		.amdhsa_user_sgpr_dispatch_id 0
		.amdhsa_user_sgpr_private_segment_size 0
		.amdhsa_wavefront_size32 1
		.amdhsa_uses_dynamic_stack 0
		.amdhsa_enable_private_segment 0
		.amdhsa_system_sgpr_workgroup_id_x 1
		.amdhsa_system_sgpr_workgroup_id_y 0
		.amdhsa_system_sgpr_workgroup_id_z 0
		.amdhsa_system_sgpr_workgroup_info 0
		.amdhsa_system_vgpr_workitem_id 0
		.amdhsa_next_free_vgpr 1
		.amdhsa_next_free_sgpr 1
		.amdhsa_reserve_vcc 0
		.amdhsa_float_round_mode_32 0
		.amdhsa_float_round_mode_16_64 0
		.amdhsa_float_denorm_mode_32 3
		.amdhsa_float_denorm_mode_16_64 3
		.amdhsa_fp16_overflow 0
		.amdhsa_workgroup_processor_mode 1
		.amdhsa_memory_ordered 1
		.amdhsa_forward_progress 1
		.amdhsa_inst_pref_size 0
		.amdhsa_round_robin_scheduling 0
		.amdhsa_exception_fp_ieee_invalid_op 0
		.amdhsa_exception_fp_denorm_src 0
		.amdhsa_exception_fp_ieee_div_zero 0
		.amdhsa_exception_fp_ieee_overflow 0
		.amdhsa_exception_fp_ieee_underflow 0
		.amdhsa_exception_fp_ieee_inexact 0
		.amdhsa_exception_int_div_zero 0
	.end_amdhsa_kernel
	.section	.text._ZN7rocprim17ROCPRIM_400000_NS6detail17trampoline_kernelINS0_14default_configENS1_25partition_config_selectorILNS1_17partition_subalgoE5EfNS0_10empty_typeEbEEZZNS1_14partition_implILS5_5ELb0ES3_mN6thrust23THRUST_200600_302600_NS6detail15normal_iteratorINSA_10device_ptrIfEEEEPS6_NSA_18transform_iteratorINSB_9not_fun_tI7is_trueIfEEESF_NSA_11use_defaultESM_EENS0_5tupleIJSF_S6_EEENSO_IJSG_SG_EEES6_PlJS6_EEE10hipError_tPvRmT3_T4_T5_T6_T7_T9_mT8_P12ihipStream_tbDpT10_ENKUlT_T0_E_clISt17integral_constantIbLb0EES1A_IbLb1EEEEDaS16_S17_EUlS16_E_NS1_11comp_targetILNS1_3genE0ELNS1_11target_archE4294967295ELNS1_3gpuE0ELNS1_3repE0EEENS1_30default_config_static_selectorELNS0_4arch9wavefront6targetE0EEEvT1_,"axG",@progbits,_ZN7rocprim17ROCPRIM_400000_NS6detail17trampoline_kernelINS0_14default_configENS1_25partition_config_selectorILNS1_17partition_subalgoE5EfNS0_10empty_typeEbEEZZNS1_14partition_implILS5_5ELb0ES3_mN6thrust23THRUST_200600_302600_NS6detail15normal_iteratorINSA_10device_ptrIfEEEEPS6_NSA_18transform_iteratorINSB_9not_fun_tI7is_trueIfEEESF_NSA_11use_defaultESM_EENS0_5tupleIJSF_S6_EEENSO_IJSG_SG_EEES6_PlJS6_EEE10hipError_tPvRmT3_T4_T5_T6_T7_T9_mT8_P12ihipStream_tbDpT10_ENKUlT_T0_E_clISt17integral_constantIbLb0EES1A_IbLb1EEEEDaS16_S17_EUlS16_E_NS1_11comp_targetILNS1_3genE0ELNS1_11target_archE4294967295ELNS1_3gpuE0ELNS1_3repE0EEENS1_30default_config_static_selectorELNS0_4arch9wavefront6targetE0EEEvT1_,comdat
.Lfunc_end1359:
	.size	_ZN7rocprim17ROCPRIM_400000_NS6detail17trampoline_kernelINS0_14default_configENS1_25partition_config_selectorILNS1_17partition_subalgoE5EfNS0_10empty_typeEbEEZZNS1_14partition_implILS5_5ELb0ES3_mN6thrust23THRUST_200600_302600_NS6detail15normal_iteratorINSA_10device_ptrIfEEEEPS6_NSA_18transform_iteratorINSB_9not_fun_tI7is_trueIfEEESF_NSA_11use_defaultESM_EENS0_5tupleIJSF_S6_EEENSO_IJSG_SG_EEES6_PlJS6_EEE10hipError_tPvRmT3_T4_T5_T6_T7_T9_mT8_P12ihipStream_tbDpT10_ENKUlT_T0_E_clISt17integral_constantIbLb0EES1A_IbLb1EEEEDaS16_S17_EUlS16_E_NS1_11comp_targetILNS1_3genE0ELNS1_11target_archE4294967295ELNS1_3gpuE0ELNS1_3repE0EEENS1_30default_config_static_selectorELNS0_4arch9wavefront6targetE0EEEvT1_, .Lfunc_end1359-_ZN7rocprim17ROCPRIM_400000_NS6detail17trampoline_kernelINS0_14default_configENS1_25partition_config_selectorILNS1_17partition_subalgoE5EfNS0_10empty_typeEbEEZZNS1_14partition_implILS5_5ELb0ES3_mN6thrust23THRUST_200600_302600_NS6detail15normal_iteratorINSA_10device_ptrIfEEEEPS6_NSA_18transform_iteratorINSB_9not_fun_tI7is_trueIfEEESF_NSA_11use_defaultESM_EENS0_5tupleIJSF_S6_EEENSO_IJSG_SG_EEES6_PlJS6_EEE10hipError_tPvRmT3_T4_T5_T6_T7_T9_mT8_P12ihipStream_tbDpT10_ENKUlT_T0_E_clISt17integral_constantIbLb0EES1A_IbLb1EEEEDaS16_S17_EUlS16_E_NS1_11comp_targetILNS1_3genE0ELNS1_11target_archE4294967295ELNS1_3gpuE0ELNS1_3repE0EEENS1_30default_config_static_selectorELNS0_4arch9wavefront6targetE0EEEvT1_
                                        ; -- End function
	.set _ZN7rocprim17ROCPRIM_400000_NS6detail17trampoline_kernelINS0_14default_configENS1_25partition_config_selectorILNS1_17partition_subalgoE5EfNS0_10empty_typeEbEEZZNS1_14partition_implILS5_5ELb0ES3_mN6thrust23THRUST_200600_302600_NS6detail15normal_iteratorINSA_10device_ptrIfEEEEPS6_NSA_18transform_iteratorINSB_9not_fun_tI7is_trueIfEEESF_NSA_11use_defaultESM_EENS0_5tupleIJSF_S6_EEENSO_IJSG_SG_EEES6_PlJS6_EEE10hipError_tPvRmT3_T4_T5_T6_T7_T9_mT8_P12ihipStream_tbDpT10_ENKUlT_T0_E_clISt17integral_constantIbLb0EES1A_IbLb1EEEEDaS16_S17_EUlS16_E_NS1_11comp_targetILNS1_3genE0ELNS1_11target_archE4294967295ELNS1_3gpuE0ELNS1_3repE0EEENS1_30default_config_static_selectorELNS0_4arch9wavefront6targetE0EEEvT1_.num_vgpr, 0
	.set _ZN7rocprim17ROCPRIM_400000_NS6detail17trampoline_kernelINS0_14default_configENS1_25partition_config_selectorILNS1_17partition_subalgoE5EfNS0_10empty_typeEbEEZZNS1_14partition_implILS5_5ELb0ES3_mN6thrust23THRUST_200600_302600_NS6detail15normal_iteratorINSA_10device_ptrIfEEEEPS6_NSA_18transform_iteratorINSB_9not_fun_tI7is_trueIfEEESF_NSA_11use_defaultESM_EENS0_5tupleIJSF_S6_EEENSO_IJSG_SG_EEES6_PlJS6_EEE10hipError_tPvRmT3_T4_T5_T6_T7_T9_mT8_P12ihipStream_tbDpT10_ENKUlT_T0_E_clISt17integral_constantIbLb0EES1A_IbLb1EEEEDaS16_S17_EUlS16_E_NS1_11comp_targetILNS1_3genE0ELNS1_11target_archE4294967295ELNS1_3gpuE0ELNS1_3repE0EEENS1_30default_config_static_selectorELNS0_4arch9wavefront6targetE0EEEvT1_.num_agpr, 0
	.set _ZN7rocprim17ROCPRIM_400000_NS6detail17trampoline_kernelINS0_14default_configENS1_25partition_config_selectorILNS1_17partition_subalgoE5EfNS0_10empty_typeEbEEZZNS1_14partition_implILS5_5ELb0ES3_mN6thrust23THRUST_200600_302600_NS6detail15normal_iteratorINSA_10device_ptrIfEEEEPS6_NSA_18transform_iteratorINSB_9not_fun_tI7is_trueIfEEESF_NSA_11use_defaultESM_EENS0_5tupleIJSF_S6_EEENSO_IJSG_SG_EEES6_PlJS6_EEE10hipError_tPvRmT3_T4_T5_T6_T7_T9_mT8_P12ihipStream_tbDpT10_ENKUlT_T0_E_clISt17integral_constantIbLb0EES1A_IbLb1EEEEDaS16_S17_EUlS16_E_NS1_11comp_targetILNS1_3genE0ELNS1_11target_archE4294967295ELNS1_3gpuE0ELNS1_3repE0EEENS1_30default_config_static_selectorELNS0_4arch9wavefront6targetE0EEEvT1_.numbered_sgpr, 0
	.set _ZN7rocprim17ROCPRIM_400000_NS6detail17trampoline_kernelINS0_14default_configENS1_25partition_config_selectorILNS1_17partition_subalgoE5EfNS0_10empty_typeEbEEZZNS1_14partition_implILS5_5ELb0ES3_mN6thrust23THRUST_200600_302600_NS6detail15normal_iteratorINSA_10device_ptrIfEEEEPS6_NSA_18transform_iteratorINSB_9not_fun_tI7is_trueIfEEESF_NSA_11use_defaultESM_EENS0_5tupleIJSF_S6_EEENSO_IJSG_SG_EEES6_PlJS6_EEE10hipError_tPvRmT3_T4_T5_T6_T7_T9_mT8_P12ihipStream_tbDpT10_ENKUlT_T0_E_clISt17integral_constantIbLb0EES1A_IbLb1EEEEDaS16_S17_EUlS16_E_NS1_11comp_targetILNS1_3genE0ELNS1_11target_archE4294967295ELNS1_3gpuE0ELNS1_3repE0EEENS1_30default_config_static_selectorELNS0_4arch9wavefront6targetE0EEEvT1_.num_named_barrier, 0
	.set _ZN7rocprim17ROCPRIM_400000_NS6detail17trampoline_kernelINS0_14default_configENS1_25partition_config_selectorILNS1_17partition_subalgoE5EfNS0_10empty_typeEbEEZZNS1_14partition_implILS5_5ELb0ES3_mN6thrust23THRUST_200600_302600_NS6detail15normal_iteratorINSA_10device_ptrIfEEEEPS6_NSA_18transform_iteratorINSB_9not_fun_tI7is_trueIfEEESF_NSA_11use_defaultESM_EENS0_5tupleIJSF_S6_EEENSO_IJSG_SG_EEES6_PlJS6_EEE10hipError_tPvRmT3_T4_T5_T6_T7_T9_mT8_P12ihipStream_tbDpT10_ENKUlT_T0_E_clISt17integral_constantIbLb0EES1A_IbLb1EEEEDaS16_S17_EUlS16_E_NS1_11comp_targetILNS1_3genE0ELNS1_11target_archE4294967295ELNS1_3gpuE0ELNS1_3repE0EEENS1_30default_config_static_selectorELNS0_4arch9wavefront6targetE0EEEvT1_.private_seg_size, 0
	.set _ZN7rocprim17ROCPRIM_400000_NS6detail17trampoline_kernelINS0_14default_configENS1_25partition_config_selectorILNS1_17partition_subalgoE5EfNS0_10empty_typeEbEEZZNS1_14partition_implILS5_5ELb0ES3_mN6thrust23THRUST_200600_302600_NS6detail15normal_iteratorINSA_10device_ptrIfEEEEPS6_NSA_18transform_iteratorINSB_9not_fun_tI7is_trueIfEEESF_NSA_11use_defaultESM_EENS0_5tupleIJSF_S6_EEENSO_IJSG_SG_EEES6_PlJS6_EEE10hipError_tPvRmT3_T4_T5_T6_T7_T9_mT8_P12ihipStream_tbDpT10_ENKUlT_T0_E_clISt17integral_constantIbLb0EES1A_IbLb1EEEEDaS16_S17_EUlS16_E_NS1_11comp_targetILNS1_3genE0ELNS1_11target_archE4294967295ELNS1_3gpuE0ELNS1_3repE0EEENS1_30default_config_static_selectorELNS0_4arch9wavefront6targetE0EEEvT1_.uses_vcc, 0
	.set _ZN7rocprim17ROCPRIM_400000_NS6detail17trampoline_kernelINS0_14default_configENS1_25partition_config_selectorILNS1_17partition_subalgoE5EfNS0_10empty_typeEbEEZZNS1_14partition_implILS5_5ELb0ES3_mN6thrust23THRUST_200600_302600_NS6detail15normal_iteratorINSA_10device_ptrIfEEEEPS6_NSA_18transform_iteratorINSB_9not_fun_tI7is_trueIfEEESF_NSA_11use_defaultESM_EENS0_5tupleIJSF_S6_EEENSO_IJSG_SG_EEES6_PlJS6_EEE10hipError_tPvRmT3_T4_T5_T6_T7_T9_mT8_P12ihipStream_tbDpT10_ENKUlT_T0_E_clISt17integral_constantIbLb0EES1A_IbLb1EEEEDaS16_S17_EUlS16_E_NS1_11comp_targetILNS1_3genE0ELNS1_11target_archE4294967295ELNS1_3gpuE0ELNS1_3repE0EEENS1_30default_config_static_selectorELNS0_4arch9wavefront6targetE0EEEvT1_.uses_flat_scratch, 0
	.set _ZN7rocprim17ROCPRIM_400000_NS6detail17trampoline_kernelINS0_14default_configENS1_25partition_config_selectorILNS1_17partition_subalgoE5EfNS0_10empty_typeEbEEZZNS1_14partition_implILS5_5ELb0ES3_mN6thrust23THRUST_200600_302600_NS6detail15normal_iteratorINSA_10device_ptrIfEEEEPS6_NSA_18transform_iteratorINSB_9not_fun_tI7is_trueIfEEESF_NSA_11use_defaultESM_EENS0_5tupleIJSF_S6_EEENSO_IJSG_SG_EEES6_PlJS6_EEE10hipError_tPvRmT3_T4_T5_T6_T7_T9_mT8_P12ihipStream_tbDpT10_ENKUlT_T0_E_clISt17integral_constantIbLb0EES1A_IbLb1EEEEDaS16_S17_EUlS16_E_NS1_11comp_targetILNS1_3genE0ELNS1_11target_archE4294967295ELNS1_3gpuE0ELNS1_3repE0EEENS1_30default_config_static_selectorELNS0_4arch9wavefront6targetE0EEEvT1_.has_dyn_sized_stack, 0
	.set _ZN7rocprim17ROCPRIM_400000_NS6detail17trampoline_kernelINS0_14default_configENS1_25partition_config_selectorILNS1_17partition_subalgoE5EfNS0_10empty_typeEbEEZZNS1_14partition_implILS5_5ELb0ES3_mN6thrust23THRUST_200600_302600_NS6detail15normal_iteratorINSA_10device_ptrIfEEEEPS6_NSA_18transform_iteratorINSB_9not_fun_tI7is_trueIfEEESF_NSA_11use_defaultESM_EENS0_5tupleIJSF_S6_EEENSO_IJSG_SG_EEES6_PlJS6_EEE10hipError_tPvRmT3_T4_T5_T6_T7_T9_mT8_P12ihipStream_tbDpT10_ENKUlT_T0_E_clISt17integral_constantIbLb0EES1A_IbLb1EEEEDaS16_S17_EUlS16_E_NS1_11comp_targetILNS1_3genE0ELNS1_11target_archE4294967295ELNS1_3gpuE0ELNS1_3repE0EEENS1_30default_config_static_selectorELNS0_4arch9wavefront6targetE0EEEvT1_.has_recursion, 0
	.set _ZN7rocprim17ROCPRIM_400000_NS6detail17trampoline_kernelINS0_14default_configENS1_25partition_config_selectorILNS1_17partition_subalgoE5EfNS0_10empty_typeEbEEZZNS1_14partition_implILS5_5ELb0ES3_mN6thrust23THRUST_200600_302600_NS6detail15normal_iteratorINSA_10device_ptrIfEEEEPS6_NSA_18transform_iteratorINSB_9not_fun_tI7is_trueIfEEESF_NSA_11use_defaultESM_EENS0_5tupleIJSF_S6_EEENSO_IJSG_SG_EEES6_PlJS6_EEE10hipError_tPvRmT3_T4_T5_T6_T7_T9_mT8_P12ihipStream_tbDpT10_ENKUlT_T0_E_clISt17integral_constantIbLb0EES1A_IbLb1EEEEDaS16_S17_EUlS16_E_NS1_11comp_targetILNS1_3genE0ELNS1_11target_archE4294967295ELNS1_3gpuE0ELNS1_3repE0EEENS1_30default_config_static_selectorELNS0_4arch9wavefront6targetE0EEEvT1_.has_indirect_call, 0
	.section	.AMDGPU.csdata,"",@progbits
; Kernel info:
; codeLenInByte = 0
; TotalNumSgprs: 0
; NumVgprs: 0
; ScratchSize: 0
; MemoryBound: 0
; FloatMode: 240
; IeeeMode: 1
; LDSByteSize: 0 bytes/workgroup (compile time only)
; SGPRBlocks: 0
; VGPRBlocks: 0
; NumSGPRsForWavesPerEU: 1
; NumVGPRsForWavesPerEU: 1
; Occupancy: 16
; WaveLimiterHint : 0
; COMPUTE_PGM_RSRC2:SCRATCH_EN: 0
; COMPUTE_PGM_RSRC2:USER_SGPR: 2
; COMPUTE_PGM_RSRC2:TRAP_HANDLER: 0
; COMPUTE_PGM_RSRC2:TGID_X_EN: 1
; COMPUTE_PGM_RSRC2:TGID_Y_EN: 0
; COMPUTE_PGM_RSRC2:TGID_Z_EN: 0
; COMPUTE_PGM_RSRC2:TIDIG_COMP_CNT: 0
	.section	.text._ZN7rocprim17ROCPRIM_400000_NS6detail17trampoline_kernelINS0_14default_configENS1_25partition_config_selectorILNS1_17partition_subalgoE5EfNS0_10empty_typeEbEEZZNS1_14partition_implILS5_5ELb0ES3_mN6thrust23THRUST_200600_302600_NS6detail15normal_iteratorINSA_10device_ptrIfEEEEPS6_NSA_18transform_iteratorINSB_9not_fun_tI7is_trueIfEEESF_NSA_11use_defaultESM_EENS0_5tupleIJSF_S6_EEENSO_IJSG_SG_EEES6_PlJS6_EEE10hipError_tPvRmT3_T4_T5_T6_T7_T9_mT8_P12ihipStream_tbDpT10_ENKUlT_T0_E_clISt17integral_constantIbLb0EES1A_IbLb1EEEEDaS16_S17_EUlS16_E_NS1_11comp_targetILNS1_3genE5ELNS1_11target_archE942ELNS1_3gpuE9ELNS1_3repE0EEENS1_30default_config_static_selectorELNS0_4arch9wavefront6targetE0EEEvT1_,"axG",@progbits,_ZN7rocprim17ROCPRIM_400000_NS6detail17trampoline_kernelINS0_14default_configENS1_25partition_config_selectorILNS1_17partition_subalgoE5EfNS0_10empty_typeEbEEZZNS1_14partition_implILS5_5ELb0ES3_mN6thrust23THRUST_200600_302600_NS6detail15normal_iteratorINSA_10device_ptrIfEEEEPS6_NSA_18transform_iteratorINSB_9not_fun_tI7is_trueIfEEESF_NSA_11use_defaultESM_EENS0_5tupleIJSF_S6_EEENSO_IJSG_SG_EEES6_PlJS6_EEE10hipError_tPvRmT3_T4_T5_T6_T7_T9_mT8_P12ihipStream_tbDpT10_ENKUlT_T0_E_clISt17integral_constantIbLb0EES1A_IbLb1EEEEDaS16_S17_EUlS16_E_NS1_11comp_targetILNS1_3genE5ELNS1_11target_archE942ELNS1_3gpuE9ELNS1_3repE0EEENS1_30default_config_static_selectorELNS0_4arch9wavefront6targetE0EEEvT1_,comdat
	.protected	_ZN7rocprim17ROCPRIM_400000_NS6detail17trampoline_kernelINS0_14default_configENS1_25partition_config_selectorILNS1_17partition_subalgoE5EfNS0_10empty_typeEbEEZZNS1_14partition_implILS5_5ELb0ES3_mN6thrust23THRUST_200600_302600_NS6detail15normal_iteratorINSA_10device_ptrIfEEEEPS6_NSA_18transform_iteratorINSB_9not_fun_tI7is_trueIfEEESF_NSA_11use_defaultESM_EENS0_5tupleIJSF_S6_EEENSO_IJSG_SG_EEES6_PlJS6_EEE10hipError_tPvRmT3_T4_T5_T6_T7_T9_mT8_P12ihipStream_tbDpT10_ENKUlT_T0_E_clISt17integral_constantIbLb0EES1A_IbLb1EEEEDaS16_S17_EUlS16_E_NS1_11comp_targetILNS1_3genE5ELNS1_11target_archE942ELNS1_3gpuE9ELNS1_3repE0EEENS1_30default_config_static_selectorELNS0_4arch9wavefront6targetE0EEEvT1_ ; -- Begin function _ZN7rocprim17ROCPRIM_400000_NS6detail17trampoline_kernelINS0_14default_configENS1_25partition_config_selectorILNS1_17partition_subalgoE5EfNS0_10empty_typeEbEEZZNS1_14partition_implILS5_5ELb0ES3_mN6thrust23THRUST_200600_302600_NS6detail15normal_iteratorINSA_10device_ptrIfEEEEPS6_NSA_18transform_iteratorINSB_9not_fun_tI7is_trueIfEEESF_NSA_11use_defaultESM_EENS0_5tupleIJSF_S6_EEENSO_IJSG_SG_EEES6_PlJS6_EEE10hipError_tPvRmT3_T4_T5_T6_T7_T9_mT8_P12ihipStream_tbDpT10_ENKUlT_T0_E_clISt17integral_constantIbLb0EES1A_IbLb1EEEEDaS16_S17_EUlS16_E_NS1_11comp_targetILNS1_3genE5ELNS1_11target_archE942ELNS1_3gpuE9ELNS1_3repE0EEENS1_30default_config_static_selectorELNS0_4arch9wavefront6targetE0EEEvT1_
	.globl	_ZN7rocprim17ROCPRIM_400000_NS6detail17trampoline_kernelINS0_14default_configENS1_25partition_config_selectorILNS1_17partition_subalgoE5EfNS0_10empty_typeEbEEZZNS1_14partition_implILS5_5ELb0ES3_mN6thrust23THRUST_200600_302600_NS6detail15normal_iteratorINSA_10device_ptrIfEEEEPS6_NSA_18transform_iteratorINSB_9not_fun_tI7is_trueIfEEESF_NSA_11use_defaultESM_EENS0_5tupleIJSF_S6_EEENSO_IJSG_SG_EEES6_PlJS6_EEE10hipError_tPvRmT3_T4_T5_T6_T7_T9_mT8_P12ihipStream_tbDpT10_ENKUlT_T0_E_clISt17integral_constantIbLb0EES1A_IbLb1EEEEDaS16_S17_EUlS16_E_NS1_11comp_targetILNS1_3genE5ELNS1_11target_archE942ELNS1_3gpuE9ELNS1_3repE0EEENS1_30default_config_static_selectorELNS0_4arch9wavefront6targetE0EEEvT1_
	.p2align	8
	.type	_ZN7rocprim17ROCPRIM_400000_NS6detail17trampoline_kernelINS0_14default_configENS1_25partition_config_selectorILNS1_17partition_subalgoE5EfNS0_10empty_typeEbEEZZNS1_14partition_implILS5_5ELb0ES3_mN6thrust23THRUST_200600_302600_NS6detail15normal_iteratorINSA_10device_ptrIfEEEEPS6_NSA_18transform_iteratorINSB_9not_fun_tI7is_trueIfEEESF_NSA_11use_defaultESM_EENS0_5tupleIJSF_S6_EEENSO_IJSG_SG_EEES6_PlJS6_EEE10hipError_tPvRmT3_T4_T5_T6_T7_T9_mT8_P12ihipStream_tbDpT10_ENKUlT_T0_E_clISt17integral_constantIbLb0EES1A_IbLb1EEEEDaS16_S17_EUlS16_E_NS1_11comp_targetILNS1_3genE5ELNS1_11target_archE942ELNS1_3gpuE9ELNS1_3repE0EEENS1_30default_config_static_selectorELNS0_4arch9wavefront6targetE0EEEvT1_,@function
_ZN7rocprim17ROCPRIM_400000_NS6detail17trampoline_kernelINS0_14default_configENS1_25partition_config_selectorILNS1_17partition_subalgoE5EfNS0_10empty_typeEbEEZZNS1_14partition_implILS5_5ELb0ES3_mN6thrust23THRUST_200600_302600_NS6detail15normal_iteratorINSA_10device_ptrIfEEEEPS6_NSA_18transform_iteratorINSB_9not_fun_tI7is_trueIfEEESF_NSA_11use_defaultESM_EENS0_5tupleIJSF_S6_EEENSO_IJSG_SG_EEES6_PlJS6_EEE10hipError_tPvRmT3_T4_T5_T6_T7_T9_mT8_P12ihipStream_tbDpT10_ENKUlT_T0_E_clISt17integral_constantIbLb0EES1A_IbLb1EEEEDaS16_S17_EUlS16_E_NS1_11comp_targetILNS1_3genE5ELNS1_11target_archE942ELNS1_3gpuE9ELNS1_3repE0EEENS1_30default_config_static_selectorELNS0_4arch9wavefront6targetE0EEEvT1_: ; @_ZN7rocprim17ROCPRIM_400000_NS6detail17trampoline_kernelINS0_14default_configENS1_25partition_config_selectorILNS1_17partition_subalgoE5EfNS0_10empty_typeEbEEZZNS1_14partition_implILS5_5ELb0ES3_mN6thrust23THRUST_200600_302600_NS6detail15normal_iteratorINSA_10device_ptrIfEEEEPS6_NSA_18transform_iteratorINSB_9not_fun_tI7is_trueIfEEESF_NSA_11use_defaultESM_EENS0_5tupleIJSF_S6_EEENSO_IJSG_SG_EEES6_PlJS6_EEE10hipError_tPvRmT3_T4_T5_T6_T7_T9_mT8_P12ihipStream_tbDpT10_ENKUlT_T0_E_clISt17integral_constantIbLb0EES1A_IbLb1EEEEDaS16_S17_EUlS16_E_NS1_11comp_targetILNS1_3genE5ELNS1_11target_archE942ELNS1_3gpuE9ELNS1_3repE0EEENS1_30default_config_static_selectorELNS0_4arch9wavefront6targetE0EEEvT1_
; %bb.0:
	.section	.rodata,"a",@progbits
	.p2align	6, 0x0
	.amdhsa_kernel _ZN7rocprim17ROCPRIM_400000_NS6detail17trampoline_kernelINS0_14default_configENS1_25partition_config_selectorILNS1_17partition_subalgoE5EfNS0_10empty_typeEbEEZZNS1_14partition_implILS5_5ELb0ES3_mN6thrust23THRUST_200600_302600_NS6detail15normal_iteratorINSA_10device_ptrIfEEEEPS6_NSA_18transform_iteratorINSB_9not_fun_tI7is_trueIfEEESF_NSA_11use_defaultESM_EENS0_5tupleIJSF_S6_EEENSO_IJSG_SG_EEES6_PlJS6_EEE10hipError_tPvRmT3_T4_T5_T6_T7_T9_mT8_P12ihipStream_tbDpT10_ENKUlT_T0_E_clISt17integral_constantIbLb0EES1A_IbLb1EEEEDaS16_S17_EUlS16_E_NS1_11comp_targetILNS1_3genE5ELNS1_11target_archE942ELNS1_3gpuE9ELNS1_3repE0EEENS1_30default_config_static_selectorELNS0_4arch9wavefront6targetE0EEEvT1_
		.amdhsa_group_segment_fixed_size 0
		.amdhsa_private_segment_fixed_size 0
		.amdhsa_kernarg_size 136
		.amdhsa_user_sgpr_count 2
		.amdhsa_user_sgpr_dispatch_ptr 0
		.amdhsa_user_sgpr_queue_ptr 0
		.amdhsa_user_sgpr_kernarg_segment_ptr 1
		.amdhsa_user_sgpr_dispatch_id 0
		.amdhsa_user_sgpr_private_segment_size 0
		.amdhsa_wavefront_size32 1
		.amdhsa_uses_dynamic_stack 0
		.amdhsa_enable_private_segment 0
		.amdhsa_system_sgpr_workgroup_id_x 1
		.amdhsa_system_sgpr_workgroup_id_y 0
		.amdhsa_system_sgpr_workgroup_id_z 0
		.amdhsa_system_sgpr_workgroup_info 0
		.amdhsa_system_vgpr_workitem_id 0
		.amdhsa_next_free_vgpr 1
		.amdhsa_next_free_sgpr 1
		.amdhsa_reserve_vcc 0
		.amdhsa_float_round_mode_32 0
		.amdhsa_float_round_mode_16_64 0
		.amdhsa_float_denorm_mode_32 3
		.amdhsa_float_denorm_mode_16_64 3
		.amdhsa_fp16_overflow 0
		.amdhsa_workgroup_processor_mode 1
		.amdhsa_memory_ordered 1
		.amdhsa_forward_progress 1
		.amdhsa_inst_pref_size 0
		.amdhsa_round_robin_scheduling 0
		.amdhsa_exception_fp_ieee_invalid_op 0
		.amdhsa_exception_fp_denorm_src 0
		.amdhsa_exception_fp_ieee_div_zero 0
		.amdhsa_exception_fp_ieee_overflow 0
		.amdhsa_exception_fp_ieee_underflow 0
		.amdhsa_exception_fp_ieee_inexact 0
		.amdhsa_exception_int_div_zero 0
	.end_amdhsa_kernel
	.section	.text._ZN7rocprim17ROCPRIM_400000_NS6detail17trampoline_kernelINS0_14default_configENS1_25partition_config_selectorILNS1_17partition_subalgoE5EfNS0_10empty_typeEbEEZZNS1_14partition_implILS5_5ELb0ES3_mN6thrust23THRUST_200600_302600_NS6detail15normal_iteratorINSA_10device_ptrIfEEEEPS6_NSA_18transform_iteratorINSB_9not_fun_tI7is_trueIfEEESF_NSA_11use_defaultESM_EENS0_5tupleIJSF_S6_EEENSO_IJSG_SG_EEES6_PlJS6_EEE10hipError_tPvRmT3_T4_T5_T6_T7_T9_mT8_P12ihipStream_tbDpT10_ENKUlT_T0_E_clISt17integral_constantIbLb0EES1A_IbLb1EEEEDaS16_S17_EUlS16_E_NS1_11comp_targetILNS1_3genE5ELNS1_11target_archE942ELNS1_3gpuE9ELNS1_3repE0EEENS1_30default_config_static_selectorELNS0_4arch9wavefront6targetE0EEEvT1_,"axG",@progbits,_ZN7rocprim17ROCPRIM_400000_NS6detail17trampoline_kernelINS0_14default_configENS1_25partition_config_selectorILNS1_17partition_subalgoE5EfNS0_10empty_typeEbEEZZNS1_14partition_implILS5_5ELb0ES3_mN6thrust23THRUST_200600_302600_NS6detail15normal_iteratorINSA_10device_ptrIfEEEEPS6_NSA_18transform_iteratorINSB_9not_fun_tI7is_trueIfEEESF_NSA_11use_defaultESM_EENS0_5tupleIJSF_S6_EEENSO_IJSG_SG_EEES6_PlJS6_EEE10hipError_tPvRmT3_T4_T5_T6_T7_T9_mT8_P12ihipStream_tbDpT10_ENKUlT_T0_E_clISt17integral_constantIbLb0EES1A_IbLb1EEEEDaS16_S17_EUlS16_E_NS1_11comp_targetILNS1_3genE5ELNS1_11target_archE942ELNS1_3gpuE9ELNS1_3repE0EEENS1_30default_config_static_selectorELNS0_4arch9wavefront6targetE0EEEvT1_,comdat
.Lfunc_end1360:
	.size	_ZN7rocprim17ROCPRIM_400000_NS6detail17trampoline_kernelINS0_14default_configENS1_25partition_config_selectorILNS1_17partition_subalgoE5EfNS0_10empty_typeEbEEZZNS1_14partition_implILS5_5ELb0ES3_mN6thrust23THRUST_200600_302600_NS6detail15normal_iteratorINSA_10device_ptrIfEEEEPS6_NSA_18transform_iteratorINSB_9not_fun_tI7is_trueIfEEESF_NSA_11use_defaultESM_EENS0_5tupleIJSF_S6_EEENSO_IJSG_SG_EEES6_PlJS6_EEE10hipError_tPvRmT3_T4_T5_T6_T7_T9_mT8_P12ihipStream_tbDpT10_ENKUlT_T0_E_clISt17integral_constantIbLb0EES1A_IbLb1EEEEDaS16_S17_EUlS16_E_NS1_11comp_targetILNS1_3genE5ELNS1_11target_archE942ELNS1_3gpuE9ELNS1_3repE0EEENS1_30default_config_static_selectorELNS0_4arch9wavefront6targetE0EEEvT1_, .Lfunc_end1360-_ZN7rocprim17ROCPRIM_400000_NS6detail17trampoline_kernelINS0_14default_configENS1_25partition_config_selectorILNS1_17partition_subalgoE5EfNS0_10empty_typeEbEEZZNS1_14partition_implILS5_5ELb0ES3_mN6thrust23THRUST_200600_302600_NS6detail15normal_iteratorINSA_10device_ptrIfEEEEPS6_NSA_18transform_iteratorINSB_9not_fun_tI7is_trueIfEEESF_NSA_11use_defaultESM_EENS0_5tupleIJSF_S6_EEENSO_IJSG_SG_EEES6_PlJS6_EEE10hipError_tPvRmT3_T4_T5_T6_T7_T9_mT8_P12ihipStream_tbDpT10_ENKUlT_T0_E_clISt17integral_constantIbLb0EES1A_IbLb1EEEEDaS16_S17_EUlS16_E_NS1_11comp_targetILNS1_3genE5ELNS1_11target_archE942ELNS1_3gpuE9ELNS1_3repE0EEENS1_30default_config_static_selectorELNS0_4arch9wavefront6targetE0EEEvT1_
                                        ; -- End function
	.set _ZN7rocprim17ROCPRIM_400000_NS6detail17trampoline_kernelINS0_14default_configENS1_25partition_config_selectorILNS1_17partition_subalgoE5EfNS0_10empty_typeEbEEZZNS1_14partition_implILS5_5ELb0ES3_mN6thrust23THRUST_200600_302600_NS6detail15normal_iteratorINSA_10device_ptrIfEEEEPS6_NSA_18transform_iteratorINSB_9not_fun_tI7is_trueIfEEESF_NSA_11use_defaultESM_EENS0_5tupleIJSF_S6_EEENSO_IJSG_SG_EEES6_PlJS6_EEE10hipError_tPvRmT3_T4_T5_T6_T7_T9_mT8_P12ihipStream_tbDpT10_ENKUlT_T0_E_clISt17integral_constantIbLb0EES1A_IbLb1EEEEDaS16_S17_EUlS16_E_NS1_11comp_targetILNS1_3genE5ELNS1_11target_archE942ELNS1_3gpuE9ELNS1_3repE0EEENS1_30default_config_static_selectorELNS0_4arch9wavefront6targetE0EEEvT1_.num_vgpr, 0
	.set _ZN7rocprim17ROCPRIM_400000_NS6detail17trampoline_kernelINS0_14default_configENS1_25partition_config_selectorILNS1_17partition_subalgoE5EfNS0_10empty_typeEbEEZZNS1_14partition_implILS5_5ELb0ES3_mN6thrust23THRUST_200600_302600_NS6detail15normal_iteratorINSA_10device_ptrIfEEEEPS6_NSA_18transform_iteratorINSB_9not_fun_tI7is_trueIfEEESF_NSA_11use_defaultESM_EENS0_5tupleIJSF_S6_EEENSO_IJSG_SG_EEES6_PlJS6_EEE10hipError_tPvRmT3_T4_T5_T6_T7_T9_mT8_P12ihipStream_tbDpT10_ENKUlT_T0_E_clISt17integral_constantIbLb0EES1A_IbLb1EEEEDaS16_S17_EUlS16_E_NS1_11comp_targetILNS1_3genE5ELNS1_11target_archE942ELNS1_3gpuE9ELNS1_3repE0EEENS1_30default_config_static_selectorELNS0_4arch9wavefront6targetE0EEEvT1_.num_agpr, 0
	.set _ZN7rocprim17ROCPRIM_400000_NS6detail17trampoline_kernelINS0_14default_configENS1_25partition_config_selectorILNS1_17partition_subalgoE5EfNS0_10empty_typeEbEEZZNS1_14partition_implILS5_5ELb0ES3_mN6thrust23THRUST_200600_302600_NS6detail15normal_iteratorINSA_10device_ptrIfEEEEPS6_NSA_18transform_iteratorINSB_9not_fun_tI7is_trueIfEEESF_NSA_11use_defaultESM_EENS0_5tupleIJSF_S6_EEENSO_IJSG_SG_EEES6_PlJS6_EEE10hipError_tPvRmT3_T4_T5_T6_T7_T9_mT8_P12ihipStream_tbDpT10_ENKUlT_T0_E_clISt17integral_constantIbLb0EES1A_IbLb1EEEEDaS16_S17_EUlS16_E_NS1_11comp_targetILNS1_3genE5ELNS1_11target_archE942ELNS1_3gpuE9ELNS1_3repE0EEENS1_30default_config_static_selectorELNS0_4arch9wavefront6targetE0EEEvT1_.numbered_sgpr, 0
	.set _ZN7rocprim17ROCPRIM_400000_NS6detail17trampoline_kernelINS0_14default_configENS1_25partition_config_selectorILNS1_17partition_subalgoE5EfNS0_10empty_typeEbEEZZNS1_14partition_implILS5_5ELb0ES3_mN6thrust23THRUST_200600_302600_NS6detail15normal_iteratorINSA_10device_ptrIfEEEEPS6_NSA_18transform_iteratorINSB_9not_fun_tI7is_trueIfEEESF_NSA_11use_defaultESM_EENS0_5tupleIJSF_S6_EEENSO_IJSG_SG_EEES6_PlJS6_EEE10hipError_tPvRmT3_T4_T5_T6_T7_T9_mT8_P12ihipStream_tbDpT10_ENKUlT_T0_E_clISt17integral_constantIbLb0EES1A_IbLb1EEEEDaS16_S17_EUlS16_E_NS1_11comp_targetILNS1_3genE5ELNS1_11target_archE942ELNS1_3gpuE9ELNS1_3repE0EEENS1_30default_config_static_selectorELNS0_4arch9wavefront6targetE0EEEvT1_.num_named_barrier, 0
	.set _ZN7rocprim17ROCPRIM_400000_NS6detail17trampoline_kernelINS0_14default_configENS1_25partition_config_selectorILNS1_17partition_subalgoE5EfNS0_10empty_typeEbEEZZNS1_14partition_implILS5_5ELb0ES3_mN6thrust23THRUST_200600_302600_NS6detail15normal_iteratorINSA_10device_ptrIfEEEEPS6_NSA_18transform_iteratorINSB_9not_fun_tI7is_trueIfEEESF_NSA_11use_defaultESM_EENS0_5tupleIJSF_S6_EEENSO_IJSG_SG_EEES6_PlJS6_EEE10hipError_tPvRmT3_T4_T5_T6_T7_T9_mT8_P12ihipStream_tbDpT10_ENKUlT_T0_E_clISt17integral_constantIbLb0EES1A_IbLb1EEEEDaS16_S17_EUlS16_E_NS1_11comp_targetILNS1_3genE5ELNS1_11target_archE942ELNS1_3gpuE9ELNS1_3repE0EEENS1_30default_config_static_selectorELNS0_4arch9wavefront6targetE0EEEvT1_.private_seg_size, 0
	.set _ZN7rocprim17ROCPRIM_400000_NS6detail17trampoline_kernelINS0_14default_configENS1_25partition_config_selectorILNS1_17partition_subalgoE5EfNS0_10empty_typeEbEEZZNS1_14partition_implILS5_5ELb0ES3_mN6thrust23THRUST_200600_302600_NS6detail15normal_iteratorINSA_10device_ptrIfEEEEPS6_NSA_18transform_iteratorINSB_9not_fun_tI7is_trueIfEEESF_NSA_11use_defaultESM_EENS0_5tupleIJSF_S6_EEENSO_IJSG_SG_EEES6_PlJS6_EEE10hipError_tPvRmT3_T4_T5_T6_T7_T9_mT8_P12ihipStream_tbDpT10_ENKUlT_T0_E_clISt17integral_constantIbLb0EES1A_IbLb1EEEEDaS16_S17_EUlS16_E_NS1_11comp_targetILNS1_3genE5ELNS1_11target_archE942ELNS1_3gpuE9ELNS1_3repE0EEENS1_30default_config_static_selectorELNS0_4arch9wavefront6targetE0EEEvT1_.uses_vcc, 0
	.set _ZN7rocprim17ROCPRIM_400000_NS6detail17trampoline_kernelINS0_14default_configENS1_25partition_config_selectorILNS1_17partition_subalgoE5EfNS0_10empty_typeEbEEZZNS1_14partition_implILS5_5ELb0ES3_mN6thrust23THRUST_200600_302600_NS6detail15normal_iteratorINSA_10device_ptrIfEEEEPS6_NSA_18transform_iteratorINSB_9not_fun_tI7is_trueIfEEESF_NSA_11use_defaultESM_EENS0_5tupleIJSF_S6_EEENSO_IJSG_SG_EEES6_PlJS6_EEE10hipError_tPvRmT3_T4_T5_T6_T7_T9_mT8_P12ihipStream_tbDpT10_ENKUlT_T0_E_clISt17integral_constantIbLb0EES1A_IbLb1EEEEDaS16_S17_EUlS16_E_NS1_11comp_targetILNS1_3genE5ELNS1_11target_archE942ELNS1_3gpuE9ELNS1_3repE0EEENS1_30default_config_static_selectorELNS0_4arch9wavefront6targetE0EEEvT1_.uses_flat_scratch, 0
	.set _ZN7rocprim17ROCPRIM_400000_NS6detail17trampoline_kernelINS0_14default_configENS1_25partition_config_selectorILNS1_17partition_subalgoE5EfNS0_10empty_typeEbEEZZNS1_14partition_implILS5_5ELb0ES3_mN6thrust23THRUST_200600_302600_NS6detail15normal_iteratorINSA_10device_ptrIfEEEEPS6_NSA_18transform_iteratorINSB_9not_fun_tI7is_trueIfEEESF_NSA_11use_defaultESM_EENS0_5tupleIJSF_S6_EEENSO_IJSG_SG_EEES6_PlJS6_EEE10hipError_tPvRmT3_T4_T5_T6_T7_T9_mT8_P12ihipStream_tbDpT10_ENKUlT_T0_E_clISt17integral_constantIbLb0EES1A_IbLb1EEEEDaS16_S17_EUlS16_E_NS1_11comp_targetILNS1_3genE5ELNS1_11target_archE942ELNS1_3gpuE9ELNS1_3repE0EEENS1_30default_config_static_selectorELNS0_4arch9wavefront6targetE0EEEvT1_.has_dyn_sized_stack, 0
	.set _ZN7rocprim17ROCPRIM_400000_NS6detail17trampoline_kernelINS0_14default_configENS1_25partition_config_selectorILNS1_17partition_subalgoE5EfNS0_10empty_typeEbEEZZNS1_14partition_implILS5_5ELb0ES3_mN6thrust23THRUST_200600_302600_NS6detail15normal_iteratorINSA_10device_ptrIfEEEEPS6_NSA_18transform_iteratorINSB_9not_fun_tI7is_trueIfEEESF_NSA_11use_defaultESM_EENS0_5tupleIJSF_S6_EEENSO_IJSG_SG_EEES6_PlJS6_EEE10hipError_tPvRmT3_T4_T5_T6_T7_T9_mT8_P12ihipStream_tbDpT10_ENKUlT_T0_E_clISt17integral_constantIbLb0EES1A_IbLb1EEEEDaS16_S17_EUlS16_E_NS1_11comp_targetILNS1_3genE5ELNS1_11target_archE942ELNS1_3gpuE9ELNS1_3repE0EEENS1_30default_config_static_selectorELNS0_4arch9wavefront6targetE0EEEvT1_.has_recursion, 0
	.set _ZN7rocprim17ROCPRIM_400000_NS6detail17trampoline_kernelINS0_14default_configENS1_25partition_config_selectorILNS1_17partition_subalgoE5EfNS0_10empty_typeEbEEZZNS1_14partition_implILS5_5ELb0ES3_mN6thrust23THRUST_200600_302600_NS6detail15normal_iteratorINSA_10device_ptrIfEEEEPS6_NSA_18transform_iteratorINSB_9not_fun_tI7is_trueIfEEESF_NSA_11use_defaultESM_EENS0_5tupleIJSF_S6_EEENSO_IJSG_SG_EEES6_PlJS6_EEE10hipError_tPvRmT3_T4_T5_T6_T7_T9_mT8_P12ihipStream_tbDpT10_ENKUlT_T0_E_clISt17integral_constantIbLb0EES1A_IbLb1EEEEDaS16_S17_EUlS16_E_NS1_11comp_targetILNS1_3genE5ELNS1_11target_archE942ELNS1_3gpuE9ELNS1_3repE0EEENS1_30default_config_static_selectorELNS0_4arch9wavefront6targetE0EEEvT1_.has_indirect_call, 0
	.section	.AMDGPU.csdata,"",@progbits
; Kernel info:
; codeLenInByte = 0
; TotalNumSgprs: 0
; NumVgprs: 0
; ScratchSize: 0
; MemoryBound: 0
; FloatMode: 240
; IeeeMode: 1
; LDSByteSize: 0 bytes/workgroup (compile time only)
; SGPRBlocks: 0
; VGPRBlocks: 0
; NumSGPRsForWavesPerEU: 1
; NumVGPRsForWavesPerEU: 1
; Occupancy: 16
; WaveLimiterHint : 0
; COMPUTE_PGM_RSRC2:SCRATCH_EN: 0
; COMPUTE_PGM_RSRC2:USER_SGPR: 2
; COMPUTE_PGM_RSRC2:TRAP_HANDLER: 0
; COMPUTE_PGM_RSRC2:TGID_X_EN: 1
; COMPUTE_PGM_RSRC2:TGID_Y_EN: 0
; COMPUTE_PGM_RSRC2:TGID_Z_EN: 0
; COMPUTE_PGM_RSRC2:TIDIG_COMP_CNT: 0
	.section	.text._ZN7rocprim17ROCPRIM_400000_NS6detail17trampoline_kernelINS0_14default_configENS1_25partition_config_selectorILNS1_17partition_subalgoE5EfNS0_10empty_typeEbEEZZNS1_14partition_implILS5_5ELb0ES3_mN6thrust23THRUST_200600_302600_NS6detail15normal_iteratorINSA_10device_ptrIfEEEEPS6_NSA_18transform_iteratorINSB_9not_fun_tI7is_trueIfEEESF_NSA_11use_defaultESM_EENS0_5tupleIJSF_S6_EEENSO_IJSG_SG_EEES6_PlJS6_EEE10hipError_tPvRmT3_T4_T5_T6_T7_T9_mT8_P12ihipStream_tbDpT10_ENKUlT_T0_E_clISt17integral_constantIbLb0EES1A_IbLb1EEEEDaS16_S17_EUlS16_E_NS1_11comp_targetILNS1_3genE4ELNS1_11target_archE910ELNS1_3gpuE8ELNS1_3repE0EEENS1_30default_config_static_selectorELNS0_4arch9wavefront6targetE0EEEvT1_,"axG",@progbits,_ZN7rocprim17ROCPRIM_400000_NS6detail17trampoline_kernelINS0_14default_configENS1_25partition_config_selectorILNS1_17partition_subalgoE5EfNS0_10empty_typeEbEEZZNS1_14partition_implILS5_5ELb0ES3_mN6thrust23THRUST_200600_302600_NS6detail15normal_iteratorINSA_10device_ptrIfEEEEPS6_NSA_18transform_iteratorINSB_9not_fun_tI7is_trueIfEEESF_NSA_11use_defaultESM_EENS0_5tupleIJSF_S6_EEENSO_IJSG_SG_EEES6_PlJS6_EEE10hipError_tPvRmT3_T4_T5_T6_T7_T9_mT8_P12ihipStream_tbDpT10_ENKUlT_T0_E_clISt17integral_constantIbLb0EES1A_IbLb1EEEEDaS16_S17_EUlS16_E_NS1_11comp_targetILNS1_3genE4ELNS1_11target_archE910ELNS1_3gpuE8ELNS1_3repE0EEENS1_30default_config_static_selectorELNS0_4arch9wavefront6targetE0EEEvT1_,comdat
	.protected	_ZN7rocprim17ROCPRIM_400000_NS6detail17trampoline_kernelINS0_14default_configENS1_25partition_config_selectorILNS1_17partition_subalgoE5EfNS0_10empty_typeEbEEZZNS1_14partition_implILS5_5ELb0ES3_mN6thrust23THRUST_200600_302600_NS6detail15normal_iteratorINSA_10device_ptrIfEEEEPS6_NSA_18transform_iteratorINSB_9not_fun_tI7is_trueIfEEESF_NSA_11use_defaultESM_EENS0_5tupleIJSF_S6_EEENSO_IJSG_SG_EEES6_PlJS6_EEE10hipError_tPvRmT3_T4_T5_T6_T7_T9_mT8_P12ihipStream_tbDpT10_ENKUlT_T0_E_clISt17integral_constantIbLb0EES1A_IbLb1EEEEDaS16_S17_EUlS16_E_NS1_11comp_targetILNS1_3genE4ELNS1_11target_archE910ELNS1_3gpuE8ELNS1_3repE0EEENS1_30default_config_static_selectorELNS0_4arch9wavefront6targetE0EEEvT1_ ; -- Begin function _ZN7rocprim17ROCPRIM_400000_NS6detail17trampoline_kernelINS0_14default_configENS1_25partition_config_selectorILNS1_17partition_subalgoE5EfNS0_10empty_typeEbEEZZNS1_14partition_implILS5_5ELb0ES3_mN6thrust23THRUST_200600_302600_NS6detail15normal_iteratorINSA_10device_ptrIfEEEEPS6_NSA_18transform_iteratorINSB_9not_fun_tI7is_trueIfEEESF_NSA_11use_defaultESM_EENS0_5tupleIJSF_S6_EEENSO_IJSG_SG_EEES6_PlJS6_EEE10hipError_tPvRmT3_T4_T5_T6_T7_T9_mT8_P12ihipStream_tbDpT10_ENKUlT_T0_E_clISt17integral_constantIbLb0EES1A_IbLb1EEEEDaS16_S17_EUlS16_E_NS1_11comp_targetILNS1_3genE4ELNS1_11target_archE910ELNS1_3gpuE8ELNS1_3repE0EEENS1_30default_config_static_selectorELNS0_4arch9wavefront6targetE0EEEvT1_
	.globl	_ZN7rocprim17ROCPRIM_400000_NS6detail17trampoline_kernelINS0_14default_configENS1_25partition_config_selectorILNS1_17partition_subalgoE5EfNS0_10empty_typeEbEEZZNS1_14partition_implILS5_5ELb0ES3_mN6thrust23THRUST_200600_302600_NS6detail15normal_iteratorINSA_10device_ptrIfEEEEPS6_NSA_18transform_iteratorINSB_9not_fun_tI7is_trueIfEEESF_NSA_11use_defaultESM_EENS0_5tupleIJSF_S6_EEENSO_IJSG_SG_EEES6_PlJS6_EEE10hipError_tPvRmT3_T4_T5_T6_T7_T9_mT8_P12ihipStream_tbDpT10_ENKUlT_T0_E_clISt17integral_constantIbLb0EES1A_IbLb1EEEEDaS16_S17_EUlS16_E_NS1_11comp_targetILNS1_3genE4ELNS1_11target_archE910ELNS1_3gpuE8ELNS1_3repE0EEENS1_30default_config_static_selectorELNS0_4arch9wavefront6targetE0EEEvT1_
	.p2align	8
	.type	_ZN7rocprim17ROCPRIM_400000_NS6detail17trampoline_kernelINS0_14default_configENS1_25partition_config_selectorILNS1_17partition_subalgoE5EfNS0_10empty_typeEbEEZZNS1_14partition_implILS5_5ELb0ES3_mN6thrust23THRUST_200600_302600_NS6detail15normal_iteratorINSA_10device_ptrIfEEEEPS6_NSA_18transform_iteratorINSB_9not_fun_tI7is_trueIfEEESF_NSA_11use_defaultESM_EENS0_5tupleIJSF_S6_EEENSO_IJSG_SG_EEES6_PlJS6_EEE10hipError_tPvRmT3_T4_T5_T6_T7_T9_mT8_P12ihipStream_tbDpT10_ENKUlT_T0_E_clISt17integral_constantIbLb0EES1A_IbLb1EEEEDaS16_S17_EUlS16_E_NS1_11comp_targetILNS1_3genE4ELNS1_11target_archE910ELNS1_3gpuE8ELNS1_3repE0EEENS1_30default_config_static_selectorELNS0_4arch9wavefront6targetE0EEEvT1_,@function
_ZN7rocprim17ROCPRIM_400000_NS6detail17trampoline_kernelINS0_14default_configENS1_25partition_config_selectorILNS1_17partition_subalgoE5EfNS0_10empty_typeEbEEZZNS1_14partition_implILS5_5ELb0ES3_mN6thrust23THRUST_200600_302600_NS6detail15normal_iteratorINSA_10device_ptrIfEEEEPS6_NSA_18transform_iteratorINSB_9not_fun_tI7is_trueIfEEESF_NSA_11use_defaultESM_EENS0_5tupleIJSF_S6_EEENSO_IJSG_SG_EEES6_PlJS6_EEE10hipError_tPvRmT3_T4_T5_T6_T7_T9_mT8_P12ihipStream_tbDpT10_ENKUlT_T0_E_clISt17integral_constantIbLb0EES1A_IbLb1EEEEDaS16_S17_EUlS16_E_NS1_11comp_targetILNS1_3genE4ELNS1_11target_archE910ELNS1_3gpuE8ELNS1_3repE0EEENS1_30default_config_static_selectorELNS0_4arch9wavefront6targetE0EEEvT1_: ; @_ZN7rocprim17ROCPRIM_400000_NS6detail17trampoline_kernelINS0_14default_configENS1_25partition_config_selectorILNS1_17partition_subalgoE5EfNS0_10empty_typeEbEEZZNS1_14partition_implILS5_5ELb0ES3_mN6thrust23THRUST_200600_302600_NS6detail15normal_iteratorINSA_10device_ptrIfEEEEPS6_NSA_18transform_iteratorINSB_9not_fun_tI7is_trueIfEEESF_NSA_11use_defaultESM_EENS0_5tupleIJSF_S6_EEENSO_IJSG_SG_EEES6_PlJS6_EEE10hipError_tPvRmT3_T4_T5_T6_T7_T9_mT8_P12ihipStream_tbDpT10_ENKUlT_T0_E_clISt17integral_constantIbLb0EES1A_IbLb1EEEEDaS16_S17_EUlS16_E_NS1_11comp_targetILNS1_3genE4ELNS1_11target_archE910ELNS1_3gpuE8ELNS1_3repE0EEENS1_30default_config_static_selectorELNS0_4arch9wavefront6targetE0EEEvT1_
; %bb.0:
	.section	.rodata,"a",@progbits
	.p2align	6, 0x0
	.amdhsa_kernel _ZN7rocprim17ROCPRIM_400000_NS6detail17trampoline_kernelINS0_14default_configENS1_25partition_config_selectorILNS1_17partition_subalgoE5EfNS0_10empty_typeEbEEZZNS1_14partition_implILS5_5ELb0ES3_mN6thrust23THRUST_200600_302600_NS6detail15normal_iteratorINSA_10device_ptrIfEEEEPS6_NSA_18transform_iteratorINSB_9not_fun_tI7is_trueIfEEESF_NSA_11use_defaultESM_EENS0_5tupleIJSF_S6_EEENSO_IJSG_SG_EEES6_PlJS6_EEE10hipError_tPvRmT3_T4_T5_T6_T7_T9_mT8_P12ihipStream_tbDpT10_ENKUlT_T0_E_clISt17integral_constantIbLb0EES1A_IbLb1EEEEDaS16_S17_EUlS16_E_NS1_11comp_targetILNS1_3genE4ELNS1_11target_archE910ELNS1_3gpuE8ELNS1_3repE0EEENS1_30default_config_static_selectorELNS0_4arch9wavefront6targetE0EEEvT1_
		.amdhsa_group_segment_fixed_size 0
		.amdhsa_private_segment_fixed_size 0
		.amdhsa_kernarg_size 136
		.amdhsa_user_sgpr_count 2
		.amdhsa_user_sgpr_dispatch_ptr 0
		.amdhsa_user_sgpr_queue_ptr 0
		.amdhsa_user_sgpr_kernarg_segment_ptr 1
		.amdhsa_user_sgpr_dispatch_id 0
		.amdhsa_user_sgpr_private_segment_size 0
		.amdhsa_wavefront_size32 1
		.amdhsa_uses_dynamic_stack 0
		.amdhsa_enable_private_segment 0
		.amdhsa_system_sgpr_workgroup_id_x 1
		.amdhsa_system_sgpr_workgroup_id_y 0
		.amdhsa_system_sgpr_workgroup_id_z 0
		.amdhsa_system_sgpr_workgroup_info 0
		.amdhsa_system_vgpr_workitem_id 0
		.amdhsa_next_free_vgpr 1
		.amdhsa_next_free_sgpr 1
		.amdhsa_reserve_vcc 0
		.amdhsa_float_round_mode_32 0
		.amdhsa_float_round_mode_16_64 0
		.amdhsa_float_denorm_mode_32 3
		.amdhsa_float_denorm_mode_16_64 3
		.amdhsa_fp16_overflow 0
		.amdhsa_workgroup_processor_mode 1
		.amdhsa_memory_ordered 1
		.amdhsa_forward_progress 1
		.amdhsa_inst_pref_size 0
		.amdhsa_round_robin_scheduling 0
		.amdhsa_exception_fp_ieee_invalid_op 0
		.amdhsa_exception_fp_denorm_src 0
		.amdhsa_exception_fp_ieee_div_zero 0
		.amdhsa_exception_fp_ieee_overflow 0
		.amdhsa_exception_fp_ieee_underflow 0
		.amdhsa_exception_fp_ieee_inexact 0
		.amdhsa_exception_int_div_zero 0
	.end_amdhsa_kernel
	.section	.text._ZN7rocprim17ROCPRIM_400000_NS6detail17trampoline_kernelINS0_14default_configENS1_25partition_config_selectorILNS1_17partition_subalgoE5EfNS0_10empty_typeEbEEZZNS1_14partition_implILS5_5ELb0ES3_mN6thrust23THRUST_200600_302600_NS6detail15normal_iteratorINSA_10device_ptrIfEEEEPS6_NSA_18transform_iteratorINSB_9not_fun_tI7is_trueIfEEESF_NSA_11use_defaultESM_EENS0_5tupleIJSF_S6_EEENSO_IJSG_SG_EEES6_PlJS6_EEE10hipError_tPvRmT3_T4_T5_T6_T7_T9_mT8_P12ihipStream_tbDpT10_ENKUlT_T0_E_clISt17integral_constantIbLb0EES1A_IbLb1EEEEDaS16_S17_EUlS16_E_NS1_11comp_targetILNS1_3genE4ELNS1_11target_archE910ELNS1_3gpuE8ELNS1_3repE0EEENS1_30default_config_static_selectorELNS0_4arch9wavefront6targetE0EEEvT1_,"axG",@progbits,_ZN7rocprim17ROCPRIM_400000_NS6detail17trampoline_kernelINS0_14default_configENS1_25partition_config_selectorILNS1_17partition_subalgoE5EfNS0_10empty_typeEbEEZZNS1_14partition_implILS5_5ELb0ES3_mN6thrust23THRUST_200600_302600_NS6detail15normal_iteratorINSA_10device_ptrIfEEEEPS6_NSA_18transform_iteratorINSB_9not_fun_tI7is_trueIfEEESF_NSA_11use_defaultESM_EENS0_5tupleIJSF_S6_EEENSO_IJSG_SG_EEES6_PlJS6_EEE10hipError_tPvRmT3_T4_T5_T6_T7_T9_mT8_P12ihipStream_tbDpT10_ENKUlT_T0_E_clISt17integral_constantIbLb0EES1A_IbLb1EEEEDaS16_S17_EUlS16_E_NS1_11comp_targetILNS1_3genE4ELNS1_11target_archE910ELNS1_3gpuE8ELNS1_3repE0EEENS1_30default_config_static_selectorELNS0_4arch9wavefront6targetE0EEEvT1_,comdat
.Lfunc_end1361:
	.size	_ZN7rocprim17ROCPRIM_400000_NS6detail17trampoline_kernelINS0_14default_configENS1_25partition_config_selectorILNS1_17partition_subalgoE5EfNS0_10empty_typeEbEEZZNS1_14partition_implILS5_5ELb0ES3_mN6thrust23THRUST_200600_302600_NS6detail15normal_iteratorINSA_10device_ptrIfEEEEPS6_NSA_18transform_iteratorINSB_9not_fun_tI7is_trueIfEEESF_NSA_11use_defaultESM_EENS0_5tupleIJSF_S6_EEENSO_IJSG_SG_EEES6_PlJS6_EEE10hipError_tPvRmT3_T4_T5_T6_T7_T9_mT8_P12ihipStream_tbDpT10_ENKUlT_T0_E_clISt17integral_constantIbLb0EES1A_IbLb1EEEEDaS16_S17_EUlS16_E_NS1_11comp_targetILNS1_3genE4ELNS1_11target_archE910ELNS1_3gpuE8ELNS1_3repE0EEENS1_30default_config_static_selectorELNS0_4arch9wavefront6targetE0EEEvT1_, .Lfunc_end1361-_ZN7rocprim17ROCPRIM_400000_NS6detail17trampoline_kernelINS0_14default_configENS1_25partition_config_selectorILNS1_17partition_subalgoE5EfNS0_10empty_typeEbEEZZNS1_14partition_implILS5_5ELb0ES3_mN6thrust23THRUST_200600_302600_NS6detail15normal_iteratorINSA_10device_ptrIfEEEEPS6_NSA_18transform_iteratorINSB_9not_fun_tI7is_trueIfEEESF_NSA_11use_defaultESM_EENS0_5tupleIJSF_S6_EEENSO_IJSG_SG_EEES6_PlJS6_EEE10hipError_tPvRmT3_T4_T5_T6_T7_T9_mT8_P12ihipStream_tbDpT10_ENKUlT_T0_E_clISt17integral_constantIbLb0EES1A_IbLb1EEEEDaS16_S17_EUlS16_E_NS1_11comp_targetILNS1_3genE4ELNS1_11target_archE910ELNS1_3gpuE8ELNS1_3repE0EEENS1_30default_config_static_selectorELNS0_4arch9wavefront6targetE0EEEvT1_
                                        ; -- End function
	.set _ZN7rocprim17ROCPRIM_400000_NS6detail17trampoline_kernelINS0_14default_configENS1_25partition_config_selectorILNS1_17partition_subalgoE5EfNS0_10empty_typeEbEEZZNS1_14partition_implILS5_5ELb0ES3_mN6thrust23THRUST_200600_302600_NS6detail15normal_iteratorINSA_10device_ptrIfEEEEPS6_NSA_18transform_iteratorINSB_9not_fun_tI7is_trueIfEEESF_NSA_11use_defaultESM_EENS0_5tupleIJSF_S6_EEENSO_IJSG_SG_EEES6_PlJS6_EEE10hipError_tPvRmT3_T4_T5_T6_T7_T9_mT8_P12ihipStream_tbDpT10_ENKUlT_T0_E_clISt17integral_constantIbLb0EES1A_IbLb1EEEEDaS16_S17_EUlS16_E_NS1_11comp_targetILNS1_3genE4ELNS1_11target_archE910ELNS1_3gpuE8ELNS1_3repE0EEENS1_30default_config_static_selectorELNS0_4arch9wavefront6targetE0EEEvT1_.num_vgpr, 0
	.set _ZN7rocprim17ROCPRIM_400000_NS6detail17trampoline_kernelINS0_14default_configENS1_25partition_config_selectorILNS1_17partition_subalgoE5EfNS0_10empty_typeEbEEZZNS1_14partition_implILS5_5ELb0ES3_mN6thrust23THRUST_200600_302600_NS6detail15normal_iteratorINSA_10device_ptrIfEEEEPS6_NSA_18transform_iteratorINSB_9not_fun_tI7is_trueIfEEESF_NSA_11use_defaultESM_EENS0_5tupleIJSF_S6_EEENSO_IJSG_SG_EEES6_PlJS6_EEE10hipError_tPvRmT3_T4_T5_T6_T7_T9_mT8_P12ihipStream_tbDpT10_ENKUlT_T0_E_clISt17integral_constantIbLb0EES1A_IbLb1EEEEDaS16_S17_EUlS16_E_NS1_11comp_targetILNS1_3genE4ELNS1_11target_archE910ELNS1_3gpuE8ELNS1_3repE0EEENS1_30default_config_static_selectorELNS0_4arch9wavefront6targetE0EEEvT1_.num_agpr, 0
	.set _ZN7rocprim17ROCPRIM_400000_NS6detail17trampoline_kernelINS0_14default_configENS1_25partition_config_selectorILNS1_17partition_subalgoE5EfNS0_10empty_typeEbEEZZNS1_14partition_implILS5_5ELb0ES3_mN6thrust23THRUST_200600_302600_NS6detail15normal_iteratorINSA_10device_ptrIfEEEEPS6_NSA_18transform_iteratorINSB_9not_fun_tI7is_trueIfEEESF_NSA_11use_defaultESM_EENS0_5tupleIJSF_S6_EEENSO_IJSG_SG_EEES6_PlJS6_EEE10hipError_tPvRmT3_T4_T5_T6_T7_T9_mT8_P12ihipStream_tbDpT10_ENKUlT_T0_E_clISt17integral_constantIbLb0EES1A_IbLb1EEEEDaS16_S17_EUlS16_E_NS1_11comp_targetILNS1_3genE4ELNS1_11target_archE910ELNS1_3gpuE8ELNS1_3repE0EEENS1_30default_config_static_selectorELNS0_4arch9wavefront6targetE0EEEvT1_.numbered_sgpr, 0
	.set _ZN7rocprim17ROCPRIM_400000_NS6detail17trampoline_kernelINS0_14default_configENS1_25partition_config_selectorILNS1_17partition_subalgoE5EfNS0_10empty_typeEbEEZZNS1_14partition_implILS5_5ELb0ES3_mN6thrust23THRUST_200600_302600_NS6detail15normal_iteratorINSA_10device_ptrIfEEEEPS6_NSA_18transform_iteratorINSB_9not_fun_tI7is_trueIfEEESF_NSA_11use_defaultESM_EENS0_5tupleIJSF_S6_EEENSO_IJSG_SG_EEES6_PlJS6_EEE10hipError_tPvRmT3_T4_T5_T6_T7_T9_mT8_P12ihipStream_tbDpT10_ENKUlT_T0_E_clISt17integral_constantIbLb0EES1A_IbLb1EEEEDaS16_S17_EUlS16_E_NS1_11comp_targetILNS1_3genE4ELNS1_11target_archE910ELNS1_3gpuE8ELNS1_3repE0EEENS1_30default_config_static_selectorELNS0_4arch9wavefront6targetE0EEEvT1_.num_named_barrier, 0
	.set _ZN7rocprim17ROCPRIM_400000_NS6detail17trampoline_kernelINS0_14default_configENS1_25partition_config_selectorILNS1_17partition_subalgoE5EfNS0_10empty_typeEbEEZZNS1_14partition_implILS5_5ELb0ES3_mN6thrust23THRUST_200600_302600_NS6detail15normal_iteratorINSA_10device_ptrIfEEEEPS6_NSA_18transform_iteratorINSB_9not_fun_tI7is_trueIfEEESF_NSA_11use_defaultESM_EENS0_5tupleIJSF_S6_EEENSO_IJSG_SG_EEES6_PlJS6_EEE10hipError_tPvRmT3_T4_T5_T6_T7_T9_mT8_P12ihipStream_tbDpT10_ENKUlT_T0_E_clISt17integral_constantIbLb0EES1A_IbLb1EEEEDaS16_S17_EUlS16_E_NS1_11comp_targetILNS1_3genE4ELNS1_11target_archE910ELNS1_3gpuE8ELNS1_3repE0EEENS1_30default_config_static_selectorELNS0_4arch9wavefront6targetE0EEEvT1_.private_seg_size, 0
	.set _ZN7rocprim17ROCPRIM_400000_NS6detail17trampoline_kernelINS0_14default_configENS1_25partition_config_selectorILNS1_17partition_subalgoE5EfNS0_10empty_typeEbEEZZNS1_14partition_implILS5_5ELb0ES3_mN6thrust23THRUST_200600_302600_NS6detail15normal_iteratorINSA_10device_ptrIfEEEEPS6_NSA_18transform_iteratorINSB_9not_fun_tI7is_trueIfEEESF_NSA_11use_defaultESM_EENS0_5tupleIJSF_S6_EEENSO_IJSG_SG_EEES6_PlJS6_EEE10hipError_tPvRmT3_T4_T5_T6_T7_T9_mT8_P12ihipStream_tbDpT10_ENKUlT_T0_E_clISt17integral_constantIbLb0EES1A_IbLb1EEEEDaS16_S17_EUlS16_E_NS1_11comp_targetILNS1_3genE4ELNS1_11target_archE910ELNS1_3gpuE8ELNS1_3repE0EEENS1_30default_config_static_selectorELNS0_4arch9wavefront6targetE0EEEvT1_.uses_vcc, 0
	.set _ZN7rocprim17ROCPRIM_400000_NS6detail17trampoline_kernelINS0_14default_configENS1_25partition_config_selectorILNS1_17partition_subalgoE5EfNS0_10empty_typeEbEEZZNS1_14partition_implILS5_5ELb0ES3_mN6thrust23THRUST_200600_302600_NS6detail15normal_iteratorINSA_10device_ptrIfEEEEPS6_NSA_18transform_iteratorINSB_9not_fun_tI7is_trueIfEEESF_NSA_11use_defaultESM_EENS0_5tupleIJSF_S6_EEENSO_IJSG_SG_EEES6_PlJS6_EEE10hipError_tPvRmT3_T4_T5_T6_T7_T9_mT8_P12ihipStream_tbDpT10_ENKUlT_T0_E_clISt17integral_constantIbLb0EES1A_IbLb1EEEEDaS16_S17_EUlS16_E_NS1_11comp_targetILNS1_3genE4ELNS1_11target_archE910ELNS1_3gpuE8ELNS1_3repE0EEENS1_30default_config_static_selectorELNS0_4arch9wavefront6targetE0EEEvT1_.uses_flat_scratch, 0
	.set _ZN7rocprim17ROCPRIM_400000_NS6detail17trampoline_kernelINS0_14default_configENS1_25partition_config_selectorILNS1_17partition_subalgoE5EfNS0_10empty_typeEbEEZZNS1_14partition_implILS5_5ELb0ES3_mN6thrust23THRUST_200600_302600_NS6detail15normal_iteratorINSA_10device_ptrIfEEEEPS6_NSA_18transform_iteratorINSB_9not_fun_tI7is_trueIfEEESF_NSA_11use_defaultESM_EENS0_5tupleIJSF_S6_EEENSO_IJSG_SG_EEES6_PlJS6_EEE10hipError_tPvRmT3_T4_T5_T6_T7_T9_mT8_P12ihipStream_tbDpT10_ENKUlT_T0_E_clISt17integral_constantIbLb0EES1A_IbLb1EEEEDaS16_S17_EUlS16_E_NS1_11comp_targetILNS1_3genE4ELNS1_11target_archE910ELNS1_3gpuE8ELNS1_3repE0EEENS1_30default_config_static_selectorELNS0_4arch9wavefront6targetE0EEEvT1_.has_dyn_sized_stack, 0
	.set _ZN7rocprim17ROCPRIM_400000_NS6detail17trampoline_kernelINS0_14default_configENS1_25partition_config_selectorILNS1_17partition_subalgoE5EfNS0_10empty_typeEbEEZZNS1_14partition_implILS5_5ELb0ES3_mN6thrust23THRUST_200600_302600_NS6detail15normal_iteratorINSA_10device_ptrIfEEEEPS6_NSA_18transform_iteratorINSB_9not_fun_tI7is_trueIfEEESF_NSA_11use_defaultESM_EENS0_5tupleIJSF_S6_EEENSO_IJSG_SG_EEES6_PlJS6_EEE10hipError_tPvRmT3_T4_T5_T6_T7_T9_mT8_P12ihipStream_tbDpT10_ENKUlT_T0_E_clISt17integral_constantIbLb0EES1A_IbLb1EEEEDaS16_S17_EUlS16_E_NS1_11comp_targetILNS1_3genE4ELNS1_11target_archE910ELNS1_3gpuE8ELNS1_3repE0EEENS1_30default_config_static_selectorELNS0_4arch9wavefront6targetE0EEEvT1_.has_recursion, 0
	.set _ZN7rocprim17ROCPRIM_400000_NS6detail17trampoline_kernelINS0_14default_configENS1_25partition_config_selectorILNS1_17partition_subalgoE5EfNS0_10empty_typeEbEEZZNS1_14partition_implILS5_5ELb0ES3_mN6thrust23THRUST_200600_302600_NS6detail15normal_iteratorINSA_10device_ptrIfEEEEPS6_NSA_18transform_iteratorINSB_9not_fun_tI7is_trueIfEEESF_NSA_11use_defaultESM_EENS0_5tupleIJSF_S6_EEENSO_IJSG_SG_EEES6_PlJS6_EEE10hipError_tPvRmT3_T4_T5_T6_T7_T9_mT8_P12ihipStream_tbDpT10_ENKUlT_T0_E_clISt17integral_constantIbLb0EES1A_IbLb1EEEEDaS16_S17_EUlS16_E_NS1_11comp_targetILNS1_3genE4ELNS1_11target_archE910ELNS1_3gpuE8ELNS1_3repE0EEENS1_30default_config_static_selectorELNS0_4arch9wavefront6targetE0EEEvT1_.has_indirect_call, 0
	.section	.AMDGPU.csdata,"",@progbits
; Kernel info:
; codeLenInByte = 0
; TotalNumSgprs: 0
; NumVgprs: 0
; ScratchSize: 0
; MemoryBound: 0
; FloatMode: 240
; IeeeMode: 1
; LDSByteSize: 0 bytes/workgroup (compile time only)
; SGPRBlocks: 0
; VGPRBlocks: 0
; NumSGPRsForWavesPerEU: 1
; NumVGPRsForWavesPerEU: 1
; Occupancy: 16
; WaveLimiterHint : 0
; COMPUTE_PGM_RSRC2:SCRATCH_EN: 0
; COMPUTE_PGM_RSRC2:USER_SGPR: 2
; COMPUTE_PGM_RSRC2:TRAP_HANDLER: 0
; COMPUTE_PGM_RSRC2:TGID_X_EN: 1
; COMPUTE_PGM_RSRC2:TGID_Y_EN: 0
; COMPUTE_PGM_RSRC2:TGID_Z_EN: 0
; COMPUTE_PGM_RSRC2:TIDIG_COMP_CNT: 0
	.section	.text._ZN7rocprim17ROCPRIM_400000_NS6detail17trampoline_kernelINS0_14default_configENS1_25partition_config_selectorILNS1_17partition_subalgoE5EfNS0_10empty_typeEbEEZZNS1_14partition_implILS5_5ELb0ES3_mN6thrust23THRUST_200600_302600_NS6detail15normal_iteratorINSA_10device_ptrIfEEEEPS6_NSA_18transform_iteratorINSB_9not_fun_tI7is_trueIfEEESF_NSA_11use_defaultESM_EENS0_5tupleIJSF_S6_EEENSO_IJSG_SG_EEES6_PlJS6_EEE10hipError_tPvRmT3_T4_T5_T6_T7_T9_mT8_P12ihipStream_tbDpT10_ENKUlT_T0_E_clISt17integral_constantIbLb0EES1A_IbLb1EEEEDaS16_S17_EUlS16_E_NS1_11comp_targetILNS1_3genE3ELNS1_11target_archE908ELNS1_3gpuE7ELNS1_3repE0EEENS1_30default_config_static_selectorELNS0_4arch9wavefront6targetE0EEEvT1_,"axG",@progbits,_ZN7rocprim17ROCPRIM_400000_NS6detail17trampoline_kernelINS0_14default_configENS1_25partition_config_selectorILNS1_17partition_subalgoE5EfNS0_10empty_typeEbEEZZNS1_14partition_implILS5_5ELb0ES3_mN6thrust23THRUST_200600_302600_NS6detail15normal_iteratorINSA_10device_ptrIfEEEEPS6_NSA_18transform_iteratorINSB_9not_fun_tI7is_trueIfEEESF_NSA_11use_defaultESM_EENS0_5tupleIJSF_S6_EEENSO_IJSG_SG_EEES6_PlJS6_EEE10hipError_tPvRmT3_T4_T5_T6_T7_T9_mT8_P12ihipStream_tbDpT10_ENKUlT_T0_E_clISt17integral_constantIbLb0EES1A_IbLb1EEEEDaS16_S17_EUlS16_E_NS1_11comp_targetILNS1_3genE3ELNS1_11target_archE908ELNS1_3gpuE7ELNS1_3repE0EEENS1_30default_config_static_selectorELNS0_4arch9wavefront6targetE0EEEvT1_,comdat
	.protected	_ZN7rocprim17ROCPRIM_400000_NS6detail17trampoline_kernelINS0_14default_configENS1_25partition_config_selectorILNS1_17partition_subalgoE5EfNS0_10empty_typeEbEEZZNS1_14partition_implILS5_5ELb0ES3_mN6thrust23THRUST_200600_302600_NS6detail15normal_iteratorINSA_10device_ptrIfEEEEPS6_NSA_18transform_iteratorINSB_9not_fun_tI7is_trueIfEEESF_NSA_11use_defaultESM_EENS0_5tupleIJSF_S6_EEENSO_IJSG_SG_EEES6_PlJS6_EEE10hipError_tPvRmT3_T4_T5_T6_T7_T9_mT8_P12ihipStream_tbDpT10_ENKUlT_T0_E_clISt17integral_constantIbLb0EES1A_IbLb1EEEEDaS16_S17_EUlS16_E_NS1_11comp_targetILNS1_3genE3ELNS1_11target_archE908ELNS1_3gpuE7ELNS1_3repE0EEENS1_30default_config_static_selectorELNS0_4arch9wavefront6targetE0EEEvT1_ ; -- Begin function _ZN7rocprim17ROCPRIM_400000_NS6detail17trampoline_kernelINS0_14default_configENS1_25partition_config_selectorILNS1_17partition_subalgoE5EfNS0_10empty_typeEbEEZZNS1_14partition_implILS5_5ELb0ES3_mN6thrust23THRUST_200600_302600_NS6detail15normal_iteratorINSA_10device_ptrIfEEEEPS6_NSA_18transform_iteratorINSB_9not_fun_tI7is_trueIfEEESF_NSA_11use_defaultESM_EENS0_5tupleIJSF_S6_EEENSO_IJSG_SG_EEES6_PlJS6_EEE10hipError_tPvRmT3_T4_T5_T6_T7_T9_mT8_P12ihipStream_tbDpT10_ENKUlT_T0_E_clISt17integral_constantIbLb0EES1A_IbLb1EEEEDaS16_S17_EUlS16_E_NS1_11comp_targetILNS1_3genE3ELNS1_11target_archE908ELNS1_3gpuE7ELNS1_3repE0EEENS1_30default_config_static_selectorELNS0_4arch9wavefront6targetE0EEEvT1_
	.globl	_ZN7rocprim17ROCPRIM_400000_NS6detail17trampoline_kernelINS0_14default_configENS1_25partition_config_selectorILNS1_17partition_subalgoE5EfNS0_10empty_typeEbEEZZNS1_14partition_implILS5_5ELb0ES3_mN6thrust23THRUST_200600_302600_NS6detail15normal_iteratorINSA_10device_ptrIfEEEEPS6_NSA_18transform_iteratorINSB_9not_fun_tI7is_trueIfEEESF_NSA_11use_defaultESM_EENS0_5tupleIJSF_S6_EEENSO_IJSG_SG_EEES6_PlJS6_EEE10hipError_tPvRmT3_T4_T5_T6_T7_T9_mT8_P12ihipStream_tbDpT10_ENKUlT_T0_E_clISt17integral_constantIbLb0EES1A_IbLb1EEEEDaS16_S17_EUlS16_E_NS1_11comp_targetILNS1_3genE3ELNS1_11target_archE908ELNS1_3gpuE7ELNS1_3repE0EEENS1_30default_config_static_selectorELNS0_4arch9wavefront6targetE0EEEvT1_
	.p2align	8
	.type	_ZN7rocprim17ROCPRIM_400000_NS6detail17trampoline_kernelINS0_14default_configENS1_25partition_config_selectorILNS1_17partition_subalgoE5EfNS0_10empty_typeEbEEZZNS1_14partition_implILS5_5ELb0ES3_mN6thrust23THRUST_200600_302600_NS6detail15normal_iteratorINSA_10device_ptrIfEEEEPS6_NSA_18transform_iteratorINSB_9not_fun_tI7is_trueIfEEESF_NSA_11use_defaultESM_EENS0_5tupleIJSF_S6_EEENSO_IJSG_SG_EEES6_PlJS6_EEE10hipError_tPvRmT3_T4_T5_T6_T7_T9_mT8_P12ihipStream_tbDpT10_ENKUlT_T0_E_clISt17integral_constantIbLb0EES1A_IbLb1EEEEDaS16_S17_EUlS16_E_NS1_11comp_targetILNS1_3genE3ELNS1_11target_archE908ELNS1_3gpuE7ELNS1_3repE0EEENS1_30default_config_static_selectorELNS0_4arch9wavefront6targetE0EEEvT1_,@function
_ZN7rocprim17ROCPRIM_400000_NS6detail17trampoline_kernelINS0_14default_configENS1_25partition_config_selectorILNS1_17partition_subalgoE5EfNS0_10empty_typeEbEEZZNS1_14partition_implILS5_5ELb0ES3_mN6thrust23THRUST_200600_302600_NS6detail15normal_iteratorINSA_10device_ptrIfEEEEPS6_NSA_18transform_iteratorINSB_9not_fun_tI7is_trueIfEEESF_NSA_11use_defaultESM_EENS0_5tupleIJSF_S6_EEENSO_IJSG_SG_EEES6_PlJS6_EEE10hipError_tPvRmT3_T4_T5_T6_T7_T9_mT8_P12ihipStream_tbDpT10_ENKUlT_T0_E_clISt17integral_constantIbLb0EES1A_IbLb1EEEEDaS16_S17_EUlS16_E_NS1_11comp_targetILNS1_3genE3ELNS1_11target_archE908ELNS1_3gpuE7ELNS1_3repE0EEENS1_30default_config_static_selectorELNS0_4arch9wavefront6targetE0EEEvT1_: ; @_ZN7rocprim17ROCPRIM_400000_NS6detail17trampoline_kernelINS0_14default_configENS1_25partition_config_selectorILNS1_17partition_subalgoE5EfNS0_10empty_typeEbEEZZNS1_14partition_implILS5_5ELb0ES3_mN6thrust23THRUST_200600_302600_NS6detail15normal_iteratorINSA_10device_ptrIfEEEEPS6_NSA_18transform_iteratorINSB_9not_fun_tI7is_trueIfEEESF_NSA_11use_defaultESM_EENS0_5tupleIJSF_S6_EEENSO_IJSG_SG_EEES6_PlJS6_EEE10hipError_tPvRmT3_T4_T5_T6_T7_T9_mT8_P12ihipStream_tbDpT10_ENKUlT_T0_E_clISt17integral_constantIbLb0EES1A_IbLb1EEEEDaS16_S17_EUlS16_E_NS1_11comp_targetILNS1_3genE3ELNS1_11target_archE908ELNS1_3gpuE7ELNS1_3repE0EEENS1_30default_config_static_selectorELNS0_4arch9wavefront6targetE0EEEvT1_
; %bb.0:
	.section	.rodata,"a",@progbits
	.p2align	6, 0x0
	.amdhsa_kernel _ZN7rocprim17ROCPRIM_400000_NS6detail17trampoline_kernelINS0_14default_configENS1_25partition_config_selectorILNS1_17partition_subalgoE5EfNS0_10empty_typeEbEEZZNS1_14partition_implILS5_5ELb0ES3_mN6thrust23THRUST_200600_302600_NS6detail15normal_iteratorINSA_10device_ptrIfEEEEPS6_NSA_18transform_iteratorINSB_9not_fun_tI7is_trueIfEEESF_NSA_11use_defaultESM_EENS0_5tupleIJSF_S6_EEENSO_IJSG_SG_EEES6_PlJS6_EEE10hipError_tPvRmT3_T4_T5_T6_T7_T9_mT8_P12ihipStream_tbDpT10_ENKUlT_T0_E_clISt17integral_constantIbLb0EES1A_IbLb1EEEEDaS16_S17_EUlS16_E_NS1_11comp_targetILNS1_3genE3ELNS1_11target_archE908ELNS1_3gpuE7ELNS1_3repE0EEENS1_30default_config_static_selectorELNS0_4arch9wavefront6targetE0EEEvT1_
		.amdhsa_group_segment_fixed_size 0
		.amdhsa_private_segment_fixed_size 0
		.amdhsa_kernarg_size 136
		.amdhsa_user_sgpr_count 2
		.amdhsa_user_sgpr_dispatch_ptr 0
		.amdhsa_user_sgpr_queue_ptr 0
		.amdhsa_user_sgpr_kernarg_segment_ptr 1
		.amdhsa_user_sgpr_dispatch_id 0
		.amdhsa_user_sgpr_private_segment_size 0
		.amdhsa_wavefront_size32 1
		.amdhsa_uses_dynamic_stack 0
		.amdhsa_enable_private_segment 0
		.amdhsa_system_sgpr_workgroup_id_x 1
		.amdhsa_system_sgpr_workgroup_id_y 0
		.amdhsa_system_sgpr_workgroup_id_z 0
		.amdhsa_system_sgpr_workgroup_info 0
		.amdhsa_system_vgpr_workitem_id 0
		.amdhsa_next_free_vgpr 1
		.amdhsa_next_free_sgpr 1
		.amdhsa_reserve_vcc 0
		.amdhsa_float_round_mode_32 0
		.amdhsa_float_round_mode_16_64 0
		.amdhsa_float_denorm_mode_32 3
		.amdhsa_float_denorm_mode_16_64 3
		.amdhsa_fp16_overflow 0
		.amdhsa_workgroup_processor_mode 1
		.amdhsa_memory_ordered 1
		.amdhsa_forward_progress 1
		.amdhsa_inst_pref_size 0
		.amdhsa_round_robin_scheduling 0
		.amdhsa_exception_fp_ieee_invalid_op 0
		.amdhsa_exception_fp_denorm_src 0
		.amdhsa_exception_fp_ieee_div_zero 0
		.amdhsa_exception_fp_ieee_overflow 0
		.amdhsa_exception_fp_ieee_underflow 0
		.amdhsa_exception_fp_ieee_inexact 0
		.amdhsa_exception_int_div_zero 0
	.end_amdhsa_kernel
	.section	.text._ZN7rocprim17ROCPRIM_400000_NS6detail17trampoline_kernelINS0_14default_configENS1_25partition_config_selectorILNS1_17partition_subalgoE5EfNS0_10empty_typeEbEEZZNS1_14partition_implILS5_5ELb0ES3_mN6thrust23THRUST_200600_302600_NS6detail15normal_iteratorINSA_10device_ptrIfEEEEPS6_NSA_18transform_iteratorINSB_9not_fun_tI7is_trueIfEEESF_NSA_11use_defaultESM_EENS0_5tupleIJSF_S6_EEENSO_IJSG_SG_EEES6_PlJS6_EEE10hipError_tPvRmT3_T4_T5_T6_T7_T9_mT8_P12ihipStream_tbDpT10_ENKUlT_T0_E_clISt17integral_constantIbLb0EES1A_IbLb1EEEEDaS16_S17_EUlS16_E_NS1_11comp_targetILNS1_3genE3ELNS1_11target_archE908ELNS1_3gpuE7ELNS1_3repE0EEENS1_30default_config_static_selectorELNS0_4arch9wavefront6targetE0EEEvT1_,"axG",@progbits,_ZN7rocprim17ROCPRIM_400000_NS6detail17trampoline_kernelINS0_14default_configENS1_25partition_config_selectorILNS1_17partition_subalgoE5EfNS0_10empty_typeEbEEZZNS1_14partition_implILS5_5ELb0ES3_mN6thrust23THRUST_200600_302600_NS6detail15normal_iteratorINSA_10device_ptrIfEEEEPS6_NSA_18transform_iteratorINSB_9not_fun_tI7is_trueIfEEESF_NSA_11use_defaultESM_EENS0_5tupleIJSF_S6_EEENSO_IJSG_SG_EEES6_PlJS6_EEE10hipError_tPvRmT3_T4_T5_T6_T7_T9_mT8_P12ihipStream_tbDpT10_ENKUlT_T0_E_clISt17integral_constantIbLb0EES1A_IbLb1EEEEDaS16_S17_EUlS16_E_NS1_11comp_targetILNS1_3genE3ELNS1_11target_archE908ELNS1_3gpuE7ELNS1_3repE0EEENS1_30default_config_static_selectorELNS0_4arch9wavefront6targetE0EEEvT1_,comdat
.Lfunc_end1362:
	.size	_ZN7rocprim17ROCPRIM_400000_NS6detail17trampoline_kernelINS0_14default_configENS1_25partition_config_selectorILNS1_17partition_subalgoE5EfNS0_10empty_typeEbEEZZNS1_14partition_implILS5_5ELb0ES3_mN6thrust23THRUST_200600_302600_NS6detail15normal_iteratorINSA_10device_ptrIfEEEEPS6_NSA_18transform_iteratorINSB_9not_fun_tI7is_trueIfEEESF_NSA_11use_defaultESM_EENS0_5tupleIJSF_S6_EEENSO_IJSG_SG_EEES6_PlJS6_EEE10hipError_tPvRmT3_T4_T5_T6_T7_T9_mT8_P12ihipStream_tbDpT10_ENKUlT_T0_E_clISt17integral_constantIbLb0EES1A_IbLb1EEEEDaS16_S17_EUlS16_E_NS1_11comp_targetILNS1_3genE3ELNS1_11target_archE908ELNS1_3gpuE7ELNS1_3repE0EEENS1_30default_config_static_selectorELNS0_4arch9wavefront6targetE0EEEvT1_, .Lfunc_end1362-_ZN7rocprim17ROCPRIM_400000_NS6detail17trampoline_kernelINS0_14default_configENS1_25partition_config_selectorILNS1_17partition_subalgoE5EfNS0_10empty_typeEbEEZZNS1_14partition_implILS5_5ELb0ES3_mN6thrust23THRUST_200600_302600_NS6detail15normal_iteratorINSA_10device_ptrIfEEEEPS6_NSA_18transform_iteratorINSB_9not_fun_tI7is_trueIfEEESF_NSA_11use_defaultESM_EENS0_5tupleIJSF_S6_EEENSO_IJSG_SG_EEES6_PlJS6_EEE10hipError_tPvRmT3_T4_T5_T6_T7_T9_mT8_P12ihipStream_tbDpT10_ENKUlT_T0_E_clISt17integral_constantIbLb0EES1A_IbLb1EEEEDaS16_S17_EUlS16_E_NS1_11comp_targetILNS1_3genE3ELNS1_11target_archE908ELNS1_3gpuE7ELNS1_3repE0EEENS1_30default_config_static_selectorELNS0_4arch9wavefront6targetE0EEEvT1_
                                        ; -- End function
	.set _ZN7rocprim17ROCPRIM_400000_NS6detail17trampoline_kernelINS0_14default_configENS1_25partition_config_selectorILNS1_17partition_subalgoE5EfNS0_10empty_typeEbEEZZNS1_14partition_implILS5_5ELb0ES3_mN6thrust23THRUST_200600_302600_NS6detail15normal_iteratorINSA_10device_ptrIfEEEEPS6_NSA_18transform_iteratorINSB_9not_fun_tI7is_trueIfEEESF_NSA_11use_defaultESM_EENS0_5tupleIJSF_S6_EEENSO_IJSG_SG_EEES6_PlJS6_EEE10hipError_tPvRmT3_T4_T5_T6_T7_T9_mT8_P12ihipStream_tbDpT10_ENKUlT_T0_E_clISt17integral_constantIbLb0EES1A_IbLb1EEEEDaS16_S17_EUlS16_E_NS1_11comp_targetILNS1_3genE3ELNS1_11target_archE908ELNS1_3gpuE7ELNS1_3repE0EEENS1_30default_config_static_selectorELNS0_4arch9wavefront6targetE0EEEvT1_.num_vgpr, 0
	.set _ZN7rocprim17ROCPRIM_400000_NS6detail17trampoline_kernelINS0_14default_configENS1_25partition_config_selectorILNS1_17partition_subalgoE5EfNS0_10empty_typeEbEEZZNS1_14partition_implILS5_5ELb0ES3_mN6thrust23THRUST_200600_302600_NS6detail15normal_iteratorINSA_10device_ptrIfEEEEPS6_NSA_18transform_iteratorINSB_9not_fun_tI7is_trueIfEEESF_NSA_11use_defaultESM_EENS0_5tupleIJSF_S6_EEENSO_IJSG_SG_EEES6_PlJS6_EEE10hipError_tPvRmT3_T4_T5_T6_T7_T9_mT8_P12ihipStream_tbDpT10_ENKUlT_T0_E_clISt17integral_constantIbLb0EES1A_IbLb1EEEEDaS16_S17_EUlS16_E_NS1_11comp_targetILNS1_3genE3ELNS1_11target_archE908ELNS1_3gpuE7ELNS1_3repE0EEENS1_30default_config_static_selectorELNS0_4arch9wavefront6targetE0EEEvT1_.num_agpr, 0
	.set _ZN7rocprim17ROCPRIM_400000_NS6detail17trampoline_kernelINS0_14default_configENS1_25partition_config_selectorILNS1_17partition_subalgoE5EfNS0_10empty_typeEbEEZZNS1_14partition_implILS5_5ELb0ES3_mN6thrust23THRUST_200600_302600_NS6detail15normal_iteratorINSA_10device_ptrIfEEEEPS6_NSA_18transform_iteratorINSB_9not_fun_tI7is_trueIfEEESF_NSA_11use_defaultESM_EENS0_5tupleIJSF_S6_EEENSO_IJSG_SG_EEES6_PlJS6_EEE10hipError_tPvRmT3_T4_T5_T6_T7_T9_mT8_P12ihipStream_tbDpT10_ENKUlT_T0_E_clISt17integral_constantIbLb0EES1A_IbLb1EEEEDaS16_S17_EUlS16_E_NS1_11comp_targetILNS1_3genE3ELNS1_11target_archE908ELNS1_3gpuE7ELNS1_3repE0EEENS1_30default_config_static_selectorELNS0_4arch9wavefront6targetE0EEEvT1_.numbered_sgpr, 0
	.set _ZN7rocprim17ROCPRIM_400000_NS6detail17trampoline_kernelINS0_14default_configENS1_25partition_config_selectorILNS1_17partition_subalgoE5EfNS0_10empty_typeEbEEZZNS1_14partition_implILS5_5ELb0ES3_mN6thrust23THRUST_200600_302600_NS6detail15normal_iteratorINSA_10device_ptrIfEEEEPS6_NSA_18transform_iteratorINSB_9not_fun_tI7is_trueIfEEESF_NSA_11use_defaultESM_EENS0_5tupleIJSF_S6_EEENSO_IJSG_SG_EEES6_PlJS6_EEE10hipError_tPvRmT3_T4_T5_T6_T7_T9_mT8_P12ihipStream_tbDpT10_ENKUlT_T0_E_clISt17integral_constantIbLb0EES1A_IbLb1EEEEDaS16_S17_EUlS16_E_NS1_11comp_targetILNS1_3genE3ELNS1_11target_archE908ELNS1_3gpuE7ELNS1_3repE0EEENS1_30default_config_static_selectorELNS0_4arch9wavefront6targetE0EEEvT1_.num_named_barrier, 0
	.set _ZN7rocprim17ROCPRIM_400000_NS6detail17trampoline_kernelINS0_14default_configENS1_25partition_config_selectorILNS1_17partition_subalgoE5EfNS0_10empty_typeEbEEZZNS1_14partition_implILS5_5ELb0ES3_mN6thrust23THRUST_200600_302600_NS6detail15normal_iteratorINSA_10device_ptrIfEEEEPS6_NSA_18transform_iteratorINSB_9not_fun_tI7is_trueIfEEESF_NSA_11use_defaultESM_EENS0_5tupleIJSF_S6_EEENSO_IJSG_SG_EEES6_PlJS6_EEE10hipError_tPvRmT3_T4_T5_T6_T7_T9_mT8_P12ihipStream_tbDpT10_ENKUlT_T0_E_clISt17integral_constantIbLb0EES1A_IbLb1EEEEDaS16_S17_EUlS16_E_NS1_11comp_targetILNS1_3genE3ELNS1_11target_archE908ELNS1_3gpuE7ELNS1_3repE0EEENS1_30default_config_static_selectorELNS0_4arch9wavefront6targetE0EEEvT1_.private_seg_size, 0
	.set _ZN7rocprim17ROCPRIM_400000_NS6detail17trampoline_kernelINS0_14default_configENS1_25partition_config_selectorILNS1_17partition_subalgoE5EfNS0_10empty_typeEbEEZZNS1_14partition_implILS5_5ELb0ES3_mN6thrust23THRUST_200600_302600_NS6detail15normal_iteratorINSA_10device_ptrIfEEEEPS6_NSA_18transform_iteratorINSB_9not_fun_tI7is_trueIfEEESF_NSA_11use_defaultESM_EENS0_5tupleIJSF_S6_EEENSO_IJSG_SG_EEES6_PlJS6_EEE10hipError_tPvRmT3_T4_T5_T6_T7_T9_mT8_P12ihipStream_tbDpT10_ENKUlT_T0_E_clISt17integral_constantIbLb0EES1A_IbLb1EEEEDaS16_S17_EUlS16_E_NS1_11comp_targetILNS1_3genE3ELNS1_11target_archE908ELNS1_3gpuE7ELNS1_3repE0EEENS1_30default_config_static_selectorELNS0_4arch9wavefront6targetE0EEEvT1_.uses_vcc, 0
	.set _ZN7rocprim17ROCPRIM_400000_NS6detail17trampoline_kernelINS0_14default_configENS1_25partition_config_selectorILNS1_17partition_subalgoE5EfNS0_10empty_typeEbEEZZNS1_14partition_implILS5_5ELb0ES3_mN6thrust23THRUST_200600_302600_NS6detail15normal_iteratorINSA_10device_ptrIfEEEEPS6_NSA_18transform_iteratorINSB_9not_fun_tI7is_trueIfEEESF_NSA_11use_defaultESM_EENS0_5tupleIJSF_S6_EEENSO_IJSG_SG_EEES6_PlJS6_EEE10hipError_tPvRmT3_T4_T5_T6_T7_T9_mT8_P12ihipStream_tbDpT10_ENKUlT_T0_E_clISt17integral_constantIbLb0EES1A_IbLb1EEEEDaS16_S17_EUlS16_E_NS1_11comp_targetILNS1_3genE3ELNS1_11target_archE908ELNS1_3gpuE7ELNS1_3repE0EEENS1_30default_config_static_selectorELNS0_4arch9wavefront6targetE0EEEvT1_.uses_flat_scratch, 0
	.set _ZN7rocprim17ROCPRIM_400000_NS6detail17trampoline_kernelINS0_14default_configENS1_25partition_config_selectorILNS1_17partition_subalgoE5EfNS0_10empty_typeEbEEZZNS1_14partition_implILS5_5ELb0ES3_mN6thrust23THRUST_200600_302600_NS6detail15normal_iteratorINSA_10device_ptrIfEEEEPS6_NSA_18transform_iteratorINSB_9not_fun_tI7is_trueIfEEESF_NSA_11use_defaultESM_EENS0_5tupleIJSF_S6_EEENSO_IJSG_SG_EEES6_PlJS6_EEE10hipError_tPvRmT3_T4_T5_T6_T7_T9_mT8_P12ihipStream_tbDpT10_ENKUlT_T0_E_clISt17integral_constantIbLb0EES1A_IbLb1EEEEDaS16_S17_EUlS16_E_NS1_11comp_targetILNS1_3genE3ELNS1_11target_archE908ELNS1_3gpuE7ELNS1_3repE0EEENS1_30default_config_static_selectorELNS0_4arch9wavefront6targetE0EEEvT1_.has_dyn_sized_stack, 0
	.set _ZN7rocprim17ROCPRIM_400000_NS6detail17trampoline_kernelINS0_14default_configENS1_25partition_config_selectorILNS1_17partition_subalgoE5EfNS0_10empty_typeEbEEZZNS1_14partition_implILS5_5ELb0ES3_mN6thrust23THRUST_200600_302600_NS6detail15normal_iteratorINSA_10device_ptrIfEEEEPS6_NSA_18transform_iteratorINSB_9not_fun_tI7is_trueIfEEESF_NSA_11use_defaultESM_EENS0_5tupleIJSF_S6_EEENSO_IJSG_SG_EEES6_PlJS6_EEE10hipError_tPvRmT3_T4_T5_T6_T7_T9_mT8_P12ihipStream_tbDpT10_ENKUlT_T0_E_clISt17integral_constantIbLb0EES1A_IbLb1EEEEDaS16_S17_EUlS16_E_NS1_11comp_targetILNS1_3genE3ELNS1_11target_archE908ELNS1_3gpuE7ELNS1_3repE0EEENS1_30default_config_static_selectorELNS0_4arch9wavefront6targetE0EEEvT1_.has_recursion, 0
	.set _ZN7rocprim17ROCPRIM_400000_NS6detail17trampoline_kernelINS0_14default_configENS1_25partition_config_selectorILNS1_17partition_subalgoE5EfNS0_10empty_typeEbEEZZNS1_14partition_implILS5_5ELb0ES3_mN6thrust23THRUST_200600_302600_NS6detail15normal_iteratorINSA_10device_ptrIfEEEEPS6_NSA_18transform_iteratorINSB_9not_fun_tI7is_trueIfEEESF_NSA_11use_defaultESM_EENS0_5tupleIJSF_S6_EEENSO_IJSG_SG_EEES6_PlJS6_EEE10hipError_tPvRmT3_T4_T5_T6_T7_T9_mT8_P12ihipStream_tbDpT10_ENKUlT_T0_E_clISt17integral_constantIbLb0EES1A_IbLb1EEEEDaS16_S17_EUlS16_E_NS1_11comp_targetILNS1_3genE3ELNS1_11target_archE908ELNS1_3gpuE7ELNS1_3repE0EEENS1_30default_config_static_selectorELNS0_4arch9wavefront6targetE0EEEvT1_.has_indirect_call, 0
	.section	.AMDGPU.csdata,"",@progbits
; Kernel info:
; codeLenInByte = 0
; TotalNumSgprs: 0
; NumVgprs: 0
; ScratchSize: 0
; MemoryBound: 0
; FloatMode: 240
; IeeeMode: 1
; LDSByteSize: 0 bytes/workgroup (compile time only)
; SGPRBlocks: 0
; VGPRBlocks: 0
; NumSGPRsForWavesPerEU: 1
; NumVGPRsForWavesPerEU: 1
; Occupancy: 16
; WaveLimiterHint : 0
; COMPUTE_PGM_RSRC2:SCRATCH_EN: 0
; COMPUTE_PGM_RSRC2:USER_SGPR: 2
; COMPUTE_PGM_RSRC2:TRAP_HANDLER: 0
; COMPUTE_PGM_RSRC2:TGID_X_EN: 1
; COMPUTE_PGM_RSRC2:TGID_Y_EN: 0
; COMPUTE_PGM_RSRC2:TGID_Z_EN: 0
; COMPUTE_PGM_RSRC2:TIDIG_COMP_CNT: 0
	.section	.text._ZN7rocprim17ROCPRIM_400000_NS6detail17trampoline_kernelINS0_14default_configENS1_25partition_config_selectorILNS1_17partition_subalgoE5EfNS0_10empty_typeEbEEZZNS1_14partition_implILS5_5ELb0ES3_mN6thrust23THRUST_200600_302600_NS6detail15normal_iteratorINSA_10device_ptrIfEEEEPS6_NSA_18transform_iteratorINSB_9not_fun_tI7is_trueIfEEESF_NSA_11use_defaultESM_EENS0_5tupleIJSF_S6_EEENSO_IJSG_SG_EEES6_PlJS6_EEE10hipError_tPvRmT3_T4_T5_T6_T7_T9_mT8_P12ihipStream_tbDpT10_ENKUlT_T0_E_clISt17integral_constantIbLb0EES1A_IbLb1EEEEDaS16_S17_EUlS16_E_NS1_11comp_targetILNS1_3genE2ELNS1_11target_archE906ELNS1_3gpuE6ELNS1_3repE0EEENS1_30default_config_static_selectorELNS0_4arch9wavefront6targetE0EEEvT1_,"axG",@progbits,_ZN7rocprim17ROCPRIM_400000_NS6detail17trampoline_kernelINS0_14default_configENS1_25partition_config_selectorILNS1_17partition_subalgoE5EfNS0_10empty_typeEbEEZZNS1_14partition_implILS5_5ELb0ES3_mN6thrust23THRUST_200600_302600_NS6detail15normal_iteratorINSA_10device_ptrIfEEEEPS6_NSA_18transform_iteratorINSB_9not_fun_tI7is_trueIfEEESF_NSA_11use_defaultESM_EENS0_5tupleIJSF_S6_EEENSO_IJSG_SG_EEES6_PlJS6_EEE10hipError_tPvRmT3_T4_T5_T6_T7_T9_mT8_P12ihipStream_tbDpT10_ENKUlT_T0_E_clISt17integral_constantIbLb0EES1A_IbLb1EEEEDaS16_S17_EUlS16_E_NS1_11comp_targetILNS1_3genE2ELNS1_11target_archE906ELNS1_3gpuE6ELNS1_3repE0EEENS1_30default_config_static_selectorELNS0_4arch9wavefront6targetE0EEEvT1_,comdat
	.protected	_ZN7rocprim17ROCPRIM_400000_NS6detail17trampoline_kernelINS0_14default_configENS1_25partition_config_selectorILNS1_17partition_subalgoE5EfNS0_10empty_typeEbEEZZNS1_14partition_implILS5_5ELb0ES3_mN6thrust23THRUST_200600_302600_NS6detail15normal_iteratorINSA_10device_ptrIfEEEEPS6_NSA_18transform_iteratorINSB_9not_fun_tI7is_trueIfEEESF_NSA_11use_defaultESM_EENS0_5tupleIJSF_S6_EEENSO_IJSG_SG_EEES6_PlJS6_EEE10hipError_tPvRmT3_T4_T5_T6_T7_T9_mT8_P12ihipStream_tbDpT10_ENKUlT_T0_E_clISt17integral_constantIbLb0EES1A_IbLb1EEEEDaS16_S17_EUlS16_E_NS1_11comp_targetILNS1_3genE2ELNS1_11target_archE906ELNS1_3gpuE6ELNS1_3repE0EEENS1_30default_config_static_selectorELNS0_4arch9wavefront6targetE0EEEvT1_ ; -- Begin function _ZN7rocprim17ROCPRIM_400000_NS6detail17trampoline_kernelINS0_14default_configENS1_25partition_config_selectorILNS1_17partition_subalgoE5EfNS0_10empty_typeEbEEZZNS1_14partition_implILS5_5ELb0ES3_mN6thrust23THRUST_200600_302600_NS6detail15normal_iteratorINSA_10device_ptrIfEEEEPS6_NSA_18transform_iteratorINSB_9not_fun_tI7is_trueIfEEESF_NSA_11use_defaultESM_EENS0_5tupleIJSF_S6_EEENSO_IJSG_SG_EEES6_PlJS6_EEE10hipError_tPvRmT3_T4_T5_T6_T7_T9_mT8_P12ihipStream_tbDpT10_ENKUlT_T0_E_clISt17integral_constantIbLb0EES1A_IbLb1EEEEDaS16_S17_EUlS16_E_NS1_11comp_targetILNS1_3genE2ELNS1_11target_archE906ELNS1_3gpuE6ELNS1_3repE0EEENS1_30default_config_static_selectorELNS0_4arch9wavefront6targetE0EEEvT1_
	.globl	_ZN7rocprim17ROCPRIM_400000_NS6detail17trampoline_kernelINS0_14default_configENS1_25partition_config_selectorILNS1_17partition_subalgoE5EfNS0_10empty_typeEbEEZZNS1_14partition_implILS5_5ELb0ES3_mN6thrust23THRUST_200600_302600_NS6detail15normal_iteratorINSA_10device_ptrIfEEEEPS6_NSA_18transform_iteratorINSB_9not_fun_tI7is_trueIfEEESF_NSA_11use_defaultESM_EENS0_5tupleIJSF_S6_EEENSO_IJSG_SG_EEES6_PlJS6_EEE10hipError_tPvRmT3_T4_T5_T6_T7_T9_mT8_P12ihipStream_tbDpT10_ENKUlT_T0_E_clISt17integral_constantIbLb0EES1A_IbLb1EEEEDaS16_S17_EUlS16_E_NS1_11comp_targetILNS1_3genE2ELNS1_11target_archE906ELNS1_3gpuE6ELNS1_3repE0EEENS1_30default_config_static_selectorELNS0_4arch9wavefront6targetE0EEEvT1_
	.p2align	8
	.type	_ZN7rocprim17ROCPRIM_400000_NS6detail17trampoline_kernelINS0_14default_configENS1_25partition_config_selectorILNS1_17partition_subalgoE5EfNS0_10empty_typeEbEEZZNS1_14partition_implILS5_5ELb0ES3_mN6thrust23THRUST_200600_302600_NS6detail15normal_iteratorINSA_10device_ptrIfEEEEPS6_NSA_18transform_iteratorINSB_9not_fun_tI7is_trueIfEEESF_NSA_11use_defaultESM_EENS0_5tupleIJSF_S6_EEENSO_IJSG_SG_EEES6_PlJS6_EEE10hipError_tPvRmT3_T4_T5_T6_T7_T9_mT8_P12ihipStream_tbDpT10_ENKUlT_T0_E_clISt17integral_constantIbLb0EES1A_IbLb1EEEEDaS16_S17_EUlS16_E_NS1_11comp_targetILNS1_3genE2ELNS1_11target_archE906ELNS1_3gpuE6ELNS1_3repE0EEENS1_30default_config_static_selectorELNS0_4arch9wavefront6targetE0EEEvT1_,@function
_ZN7rocprim17ROCPRIM_400000_NS6detail17trampoline_kernelINS0_14default_configENS1_25partition_config_selectorILNS1_17partition_subalgoE5EfNS0_10empty_typeEbEEZZNS1_14partition_implILS5_5ELb0ES3_mN6thrust23THRUST_200600_302600_NS6detail15normal_iteratorINSA_10device_ptrIfEEEEPS6_NSA_18transform_iteratorINSB_9not_fun_tI7is_trueIfEEESF_NSA_11use_defaultESM_EENS0_5tupleIJSF_S6_EEENSO_IJSG_SG_EEES6_PlJS6_EEE10hipError_tPvRmT3_T4_T5_T6_T7_T9_mT8_P12ihipStream_tbDpT10_ENKUlT_T0_E_clISt17integral_constantIbLb0EES1A_IbLb1EEEEDaS16_S17_EUlS16_E_NS1_11comp_targetILNS1_3genE2ELNS1_11target_archE906ELNS1_3gpuE6ELNS1_3repE0EEENS1_30default_config_static_selectorELNS0_4arch9wavefront6targetE0EEEvT1_: ; @_ZN7rocprim17ROCPRIM_400000_NS6detail17trampoline_kernelINS0_14default_configENS1_25partition_config_selectorILNS1_17partition_subalgoE5EfNS0_10empty_typeEbEEZZNS1_14partition_implILS5_5ELb0ES3_mN6thrust23THRUST_200600_302600_NS6detail15normal_iteratorINSA_10device_ptrIfEEEEPS6_NSA_18transform_iteratorINSB_9not_fun_tI7is_trueIfEEESF_NSA_11use_defaultESM_EENS0_5tupleIJSF_S6_EEENSO_IJSG_SG_EEES6_PlJS6_EEE10hipError_tPvRmT3_T4_T5_T6_T7_T9_mT8_P12ihipStream_tbDpT10_ENKUlT_T0_E_clISt17integral_constantIbLb0EES1A_IbLb1EEEEDaS16_S17_EUlS16_E_NS1_11comp_targetILNS1_3genE2ELNS1_11target_archE906ELNS1_3gpuE6ELNS1_3repE0EEENS1_30default_config_static_selectorELNS0_4arch9wavefront6targetE0EEEvT1_
; %bb.0:
	.section	.rodata,"a",@progbits
	.p2align	6, 0x0
	.amdhsa_kernel _ZN7rocprim17ROCPRIM_400000_NS6detail17trampoline_kernelINS0_14default_configENS1_25partition_config_selectorILNS1_17partition_subalgoE5EfNS0_10empty_typeEbEEZZNS1_14partition_implILS5_5ELb0ES3_mN6thrust23THRUST_200600_302600_NS6detail15normal_iteratorINSA_10device_ptrIfEEEEPS6_NSA_18transform_iteratorINSB_9not_fun_tI7is_trueIfEEESF_NSA_11use_defaultESM_EENS0_5tupleIJSF_S6_EEENSO_IJSG_SG_EEES6_PlJS6_EEE10hipError_tPvRmT3_T4_T5_T6_T7_T9_mT8_P12ihipStream_tbDpT10_ENKUlT_T0_E_clISt17integral_constantIbLb0EES1A_IbLb1EEEEDaS16_S17_EUlS16_E_NS1_11comp_targetILNS1_3genE2ELNS1_11target_archE906ELNS1_3gpuE6ELNS1_3repE0EEENS1_30default_config_static_selectorELNS0_4arch9wavefront6targetE0EEEvT1_
		.amdhsa_group_segment_fixed_size 0
		.amdhsa_private_segment_fixed_size 0
		.amdhsa_kernarg_size 136
		.amdhsa_user_sgpr_count 2
		.amdhsa_user_sgpr_dispatch_ptr 0
		.amdhsa_user_sgpr_queue_ptr 0
		.amdhsa_user_sgpr_kernarg_segment_ptr 1
		.amdhsa_user_sgpr_dispatch_id 0
		.amdhsa_user_sgpr_private_segment_size 0
		.amdhsa_wavefront_size32 1
		.amdhsa_uses_dynamic_stack 0
		.amdhsa_enable_private_segment 0
		.amdhsa_system_sgpr_workgroup_id_x 1
		.amdhsa_system_sgpr_workgroup_id_y 0
		.amdhsa_system_sgpr_workgroup_id_z 0
		.amdhsa_system_sgpr_workgroup_info 0
		.amdhsa_system_vgpr_workitem_id 0
		.amdhsa_next_free_vgpr 1
		.amdhsa_next_free_sgpr 1
		.amdhsa_reserve_vcc 0
		.amdhsa_float_round_mode_32 0
		.amdhsa_float_round_mode_16_64 0
		.amdhsa_float_denorm_mode_32 3
		.amdhsa_float_denorm_mode_16_64 3
		.amdhsa_fp16_overflow 0
		.amdhsa_workgroup_processor_mode 1
		.amdhsa_memory_ordered 1
		.amdhsa_forward_progress 1
		.amdhsa_inst_pref_size 0
		.amdhsa_round_robin_scheduling 0
		.amdhsa_exception_fp_ieee_invalid_op 0
		.amdhsa_exception_fp_denorm_src 0
		.amdhsa_exception_fp_ieee_div_zero 0
		.amdhsa_exception_fp_ieee_overflow 0
		.amdhsa_exception_fp_ieee_underflow 0
		.amdhsa_exception_fp_ieee_inexact 0
		.amdhsa_exception_int_div_zero 0
	.end_amdhsa_kernel
	.section	.text._ZN7rocprim17ROCPRIM_400000_NS6detail17trampoline_kernelINS0_14default_configENS1_25partition_config_selectorILNS1_17partition_subalgoE5EfNS0_10empty_typeEbEEZZNS1_14partition_implILS5_5ELb0ES3_mN6thrust23THRUST_200600_302600_NS6detail15normal_iteratorINSA_10device_ptrIfEEEEPS6_NSA_18transform_iteratorINSB_9not_fun_tI7is_trueIfEEESF_NSA_11use_defaultESM_EENS0_5tupleIJSF_S6_EEENSO_IJSG_SG_EEES6_PlJS6_EEE10hipError_tPvRmT3_T4_T5_T6_T7_T9_mT8_P12ihipStream_tbDpT10_ENKUlT_T0_E_clISt17integral_constantIbLb0EES1A_IbLb1EEEEDaS16_S17_EUlS16_E_NS1_11comp_targetILNS1_3genE2ELNS1_11target_archE906ELNS1_3gpuE6ELNS1_3repE0EEENS1_30default_config_static_selectorELNS0_4arch9wavefront6targetE0EEEvT1_,"axG",@progbits,_ZN7rocprim17ROCPRIM_400000_NS6detail17trampoline_kernelINS0_14default_configENS1_25partition_config_selectorILNS1_17partition_subalgoE5EfNS0_10empty_typeEbEEZZNS1_14partition_implILS5_5ELb0ES3_mN6thrust23THRUST_200600_302600_NS6detail15normal_iteratorINSA_10device_ptrIfEEEEPS6_NSA_18transform_iteratorINSB_9not_fun_tI7is_trueIfEEESF_NSA_11use_defaultESM_EENS0_5tupleIJSF_S6_EEENSO_IJSG_SG_EEES6_PlJS6_EEE10hipError_tPvRmT3_T4_T5_T6_T7_T9_mT8_P12ihipStream_tbDpT10_ENKUlT_T0_E_clISt17integral_constantIbLb0EES1A_IbLb1EEEEDaS16_S17_EUlS16_E_NS1_11comp_targetILNS1_3genE2ELNS1_11target_archE906ELNS1_3gpuE6ELNS1_3repE0EEENS1_30default_config_static_selectorELNS0_4arch9wavefront6targetE0EEEvT1_,comdat
.Lfunc_end1363:
	.size	_ZN7rocprim17ROCPRIM_400000_NS6detail17trampoline_kernelINS0_14default_configENS1_25partition_config_selectorILNS1_17partition_subalgoE5EfNS0_10empty_typeEbEEZZNS1_14partition_implILS5_5ELb0ES3_mN6thrust23THRUST_200600_302600_NS6detail15normal_iteratorINSA_10device_ptrIfEEEEPS6_NSA_18transform_iteratorINSB_9not_fun_tI7is_trueIfEEESF_NSA_11use_defaultESM_EENS0_5tupleIJSF_S6_EEENSO_IJSG_SG_EEES6_PlJS6_EEE10hipError_tPvRmT3_T4_T5_T6_T7_T9_mT8_P12ihipStream_tbDpT10_ENKUlT_T0_E_clISt17integral_constantIbLb0EES1A_IbLb1EEEEDaS16_S17_EUlS16_E_NS1_11comp_targetILNS1_3genE2ELNS1_11target_archE906ELNS1_3gpuE6ELNS1_3repE0EEENS1_30default_config_static_selectorELNS0_4arch9wavefront6targetE0EEEvT1_, .Lfunc_end1363-_ZN7rocprim17ROCPRIM_400000_NS6detail17trampoline_kernelINS0_14default_configENS1_25partition_config_selectorILNS1_17partition_subalgoE5EfNS0_10empty_typeEbEEZZNS1_14partition_implILS5_5ELb0ES3_mN6thrust23THRUST_200600_302600_NS6detail15normal_iteratorINSA_10device_ptrIfEEEEPS6_NSA_18transform_iteratorINSB_9not_fun_tI7is_trueIfEEESF_NSA_11use_defaultESM_EENS0_5tupleIJSF_S6_EEENSO_IJSG_SG_EEES6_PlJS6_EEE10hipError_tPvRmT3_T4_T5_T6_T7_T9_mT8_P12ihipStream_tbDpT10_ENKUlT_T0_E_clISt17integral_constantIbLb0EES1A_IbLb1EEEEDaS16_S17_EUlS16_E_NS1_11comp_targetILNS1_3genE2ELNS1_11target_archE906ELNS1_3gpuE6ELNS1_3repE0EEENS1_30default_config_static_selectorELNS0_4arch9wavefront6targetE0EEEvT1_
                                        ; -- End function
	.set _ZN7rocprim17ROCPRIM_400000_NS6detail17trampoline_kernelINS0_14default_configENS1_25partition_config_selectorILNS1_17partition_subalgoE5EfNS0_10empty_typeEbEEZZNS1_14partition_implILS5_5ELb0ES3_mN6thrust23THRUST_200600_302600_NS6detail15normal_iteratorINSA_10device_ptrIfEEEEPS6_NSA_18transform_iteratorINSB_9not_fun_tI7is_trueIfEEESF_NSA_11use_defaultESM_EENS0_5tupleIJSF_S6_EEENSO_IJSG_SG_EEES6_PlJS6_EEE10hipError_tPvRmT3_T4_T5_T6_T7_T9_mT8_P12ihipStream_tbDpT10_ENKUlT_T0_E_clISt17integral_constantIbLb0EES1A_IbLb1EEEEDaS16_S17_EUlS16_E_NS1_11comp_targetILNS1_3genE2ELNS1_11target_archE906ELNS1_3gpuE6ELNS1_3repE0EEENS1_30default_config_static_selectorELNS0_4arch9wavefront6targetE0EEEvT1_.num_vgpr, 0
	.set _ZN7rocprim17ROCPRIM_400000_NS6detail17trampoline_kernelINS0_14default_configENS1_25partition_config_selectorILNS1_17partition_subalgoE5EfNS0_10empty_typeEbEEZZNS1_14partition_implILS5_5ELb0ES3_mN6thrust23THRUST_200600_302600_NS6detail15normal_iteratorINSA_10device_ptrIfEEEEPS6_NSA_18transform_iteratorINSB_9not_fun_tI7is_trueIfEEESF_NSA_11use_defaultESM_EENS0_5tupleIJSF_S6_EEENSO_IJSG_SG_EEES6_PlJS6_EEE10hipError_tPvRmT3_T4_T5_T6_T7_T9_mT8_P12ihipStream_tbDpT10_ENKUlT_T0_E_clISt17integral_constantIbLb0EES1A_IbLb1EEEEDaS16_S17_EUlS16_E_NS1_11comp_targetILNS1_3genE2ELNS1_11target_archE906ELNS1_3gpuE6ELNS1_3repE0EEENS1_30default_config_static_selectorELNS0_4arch9wavefront6targetE0EEEvT1_.num_agpr, 0
	.set _ZN7rocprim17ROCPRIM_400000_NS6detail17trampoline_kernelINS0_14default_configENS1_25partition_config_selectorILNS1_17partition_subalgoE5EfNS0_10empty_typeEbEEZZNS1_14partition_implILS5_5ELb0ES3_mN6thrust23THRUST_200600_302600_NS6detail15normal_iteratorINSA_10device_ptrIfEEEEPS6_NSA_18transform_iteratorINSB_9not_fun_tI7is_trueIfEEESF_NSA_11use_defaultESM_EENS0_5tupleIJSF_S6_EEENSO_IJSG_SG_EEES6_PlJS6_EEE10hipError_tPvRmT3_T4_T5_T6_T7_T9_mT8_P12ihipStream_tbDpT10_ENKUlT_T0_E_clISt17integral_constantIbLb0EES1A_IbLb1EEEEDaS16_S17_EUlS16_E_NS1_11comp_targetILNS1_3genE2ELNS1_11target_archE906ELNS1_3gpuE6ELNS1_3repE0EEENS1_30default_config_static_selectorELNS0_4arch9wavefront6targetE0EEEvT1_.numbered_sgpr, 0
	.set _ZN7rocprim17ROCPRIM_400000_NS6detail17trampoline_kernelINS0_14default_configENS1_25partition_config_selectorILNS1_17partition_subalgoE5EfNS0_10empty_typeEbEEZZNS1_14partition_implILS5_5ELb0ES3_mN6thrust23THRUST_200600_302600_NS6detail15normal_iteratorINSA_10device_ptrIfEEEEPS6_NSA_18transform_iteratorINSB_9not_fun_tI7is_trueIfEEESF_NSA_11use_defaultESM_EENS0_5tupleIJSF_S6_EEENSO_IJSG_SG_EEES6_PlJS6_EEE10hipError_tPvRmT3_T4_T5_T6_T7_T9_mT8_P12ihipStream_tbDpT10_ENKUlT_T0_E_clISt17integral_constantIbLb0EES1A_IbLb1EEEEDaS16_S17_EUlS16_E_NS1_11comp_targetILNS1_3genE2ELNS1_11target_archE906ELNS1_3gpuE6ELNS1_3repE0EEENS1_30default_config_static_selectorELNS0_4arch9wavefront6targetE0EEEvT1_.num_named_barrier, 0
	.set _ZN7rocprim17ROCPRIM_400000_NS6detail17trampoline_kernelINS0_14default_configENS1_25partition_config_selectorILNS1_17partition_subalgoE5EfNS0_10empty_typeEbEEZZNS1_14partition_implILS5_5ELb0ES3_mN6thrust23THRUST_200600_302600_NS6detail15normal_iteratorINSA_10device_ptrIfEEEEPS6_NSA_18transform_iteratorINSB_9not_fun_tI7is_trueIfEEESF_NSA_11use_defaultESM_EENS0_5tupleIJSF_S6_EEENSO_IJSG_SG_EEES6_PlJS6_EEE10hipError_tPvRmT3_T4_T5_T6_T7_T9_mT8_P12ihipStream_tbDpT10_ENKUlT_T0_E_clISt17integral_constantIbLb0EES1A_IbLb1EEEEDaS16_S17_EUlS16_E_NS1_11comp_targetILNS1_3genE2ELNS1_11target_archE906ELNS1_3gpuE6ELNS1_3repE0EEENS1_30default_config_static_selectorELNS0_4arch9wavefront6targetE0EEEvT1_.private_seg_size, 0
	.set _ZN7rocprim17ROCPRIM_400000_NS6detail17trampoline_kernelINS0_14default_configENS1_25partition_config_selectorILNS1_17partition_subalgoE5EfNS0_10empty_typeEbEEZZNS1_14partition_implILS5_5ELb0ES3_mN6thrust23THRUST_200600_302600_NS6detail15normal_iteratorINSA_10device_ptrIfEEEEPS6_NSA_18transform_iteratorINSB_9not_fun_tI7is_trueIfEEESF_NSA_11use_defaultESM_EENS0_5tupleIJSF_S6_EEENSO_IJSG_SG_EEES6_PlJS6_EEE10hipError_tPvRmT3_T4_T5_T6_T7_T9_mT8_P12ihipStream_tbDpT10_ENKUlT_T0_E_clISt17integral_constantIbLb0EES1A_IbLb1EEEEDaS16_S17_EUlS16_E_NS1_11comp_targetILNS1_3genE2ELNS1_11target_archE906ELNS1_3gpuE6ELNS1_3repE0EEENS1_30default_config_static_selectorELNS0_4arch9wavefront6targetE0EEEvT1_.uses_vcc, 0
	.set _ZN7rocprim17ROCPRIM_400000_NS6detail17trampoline_kernelINS0_14default_configENS1_25partition_config_selectorILNS1_17partition_subalgoE5EfNS0_10empty_typeEbEEZZNS1_14partition_implILS5_5ELb0ES3_mN6thrust23THRUST_200600_302600_NS6detail15normal_iteratorINSA_10device_ptrIfEEEEPS6_NSA_18transform_iteratorINSB_9not_fun_tI7is_trueIfEEESF_NSA_11use_defaultESM_EENS0_5tupleIJSF_S6_EEENSO_IJSG_SG_EEES6_PlJS6_EEE10hipError_tPvRmT3_T4_T5_T6_T7_T9_mT8_P12ihipStream_tbDpT10_ENKUlT_T0_E_clISt17integral_constantIbLb0EES1A_IbLb1EEEEDaS16_S17_EUlS16_E_NS1_11comp_targetILNS1_3genE2ELNS1_11target_archE906ELNS1_3gpuE6ELNS1_3repE0EEENS1_30default_config_static_selectorELNS0_4arch9wavefront6targetE0EEEvT1_.uses_flat_scratch, 0
	.set _ZN7rocprim17ROCPRIM_400000_NS6detail17trampoline_kernelINS0_14default_configENS1_25partition_config_selectorILNS1_17partition_subalgoE5EfNS0_10empty_typeEbEEZZNS1_14partition_implILS5_5ELb0ES3_mN6thrust23THRUST_200600_302600_NS6detail15normal_iteratorINSA_10device_ptrIfEEEEPS6_NSA_18transform_iteratorINSB_9not_fun_tI7is_trueIfEEESF_NSA_11use_defaultESM_EENS0_5tupleIJSF_S6_EEENSO_IJSG_SG_EEES6_PlJS6_EEE10hipError_tPvRmT3_T4_T5_T6_T7_T9_mT8_P12ihipStream_tbDpT10_ENKUlT_T0_E_clISt17integral_constantIbLb0EES1A_IbLb1EEEEDaS16_S17_EUlS16_E_NS1_11comp_targetILNS1_3genE2ELNS1_11target_archE906ELNS1_3gpuE6ELNS1_3repE0EEENS1_30default_config_static_selectorELNS0_4arch9wavefront6targetE0EEEvT1_.has_dyn_sized_stack, 0
	.set _ZN7rocprim17ROCPRIM_400000_NS6detail17trampoline_kernelINS0_14default_configENS1_25partition_config_selectorILNS1_17partition_subalgoE5EfNS0_10empty_typeEbEEZZNS1_14partition_implILS5_5ELb0ES3_mN6thrust23THRUST_200600_302600_NS6detail15normal_iteratorINSA_10device_ptrIfEEEEPS6_NSA_18transform_iteratorINSB_9not_fun_tI7is_trueIfEEESF_NSA_11use_defaultESM_EENS0_5tupleIJSF_S6_EEENSO_IJSG_SG_EEES6_PlJS6_EEE10hipError_tPvRmT3_T4_T5_T6_T7_T9_mT8_P12ihipStream_tbDpT10_ENKUlT_T0_E_clISt17integral_constantIbLb0EES1A_IbLb1EEEEDaS16_S17_EUlS16_E_NS1_11comp_targetILNS1_3genE2ELNS1_11target_archE906ELNS1_3gpuE6ELNS1_3repE0EEENS1_30default_config_static_selectorELNS0_4arch9wavefront6targetE0EEEvT1_.has_recursion, 0
	.set _ZN7rocprim17ROCPRIM_400000_NS6detail17trampoline_kernelINS0_14default_configENS1_25partition_config_selectorILNS1_17partition_subalgoE5EfNS0_10empty_typeEbEEZZNS1_14partition_implILS5_5ELb0ES3_mN6thrust23THRUST_200600_302600_NS6detail15normal_iteratorINSA_10device_ptrIfEEEEPS6_NSA_18transform_iteratorINSB_9not_fun_tI7is_trueIfEEESF_NSA_11use_defaultESM_EENS0_5tupleIJSF_S6_EEENSO_IJSG_SG_EEES6_PlJS6_EEE10hipError_tPvRmT3_T4_T5_T6_T7_T9_mT8_P12ihipStream_tbDpT10_ENKUlT_T0_E_clISt17integral_constantIbLb0EES1A_IbLb1EEEEDaS16_S17_EUlS16_E_NS1_11comp_targetILNS1_3genE2ELNS1_11target_archE906ELNS1_3gpuE6ELNS1_3repE0EEENS1_30default_config_static_selectorELNS0_4arch9wavefront6targetE0EEEvT1_.has_indirect_call, 0
	.section	.AMDGPU.csdata,"",@progbits
; Kernel info:
; codeLenInByte = 0
; TotalNumSgprs: 0
; NumVgprs: 0
; ScratchSize: 0
; MemoryBound: 0
; FloatMode: 240
; IeeeMode: 1
; LDSByteSize: 0 bytes/workgroup (compile time only)
; SGPRBlocks: 0
; VGPRBlocks: 0
; NumSGPRsForWavesPerEU: 1
; NumVGPRsForWavesPerEU: 1
; Occupancy: 16
; WaveLimiterHint : 0
; COMPUTE_PGM_RSRC2:SCRATCH_EN: 0
; COMPUTE_PGM_RSRC2:USER_SGPR: 2
; COMPUTE_PGM_RSRC2:TRAP_HANDLER: 0
; COMPUTE_PGM_RSRC2:TGID_X_EN: 1
; COMPUTE_PGM_RSRC2:TGID_Y_EN: 0
; COMPUTE_PGM_RSRC2:TGID_Z_EN: 0
; COMPUTE_PGM_RSRC2:TIDIG_COMP_CNT: 0
	.section	.text._ZN7rocprim17ROCPRIM_400000_NS6detail17trampoline_kernelINS0_14default_configENS1_25partition_config_selectorILNS1_17partition_subalgoE5EfNS0_10empty_typeEbEEZZNS1_14partition_implILS5_5ELb0ES3_mN6thrust23THRUST_200600_302600_NS6detail15normal_iteratorINSA_10device_ptrIfEEEEPS6_NSA_18transform_iteratorINSB_9not_fun_tI7is_trueIfEEESF_NSA_11use_defaultESM_EENS0_5tupleIJSF_S6_EEENSO_IJSG_SG_EEES6_PlJS6_EEE10hipError_tPvRmT3_T4_T5_T6_T7_T9_mT8_P12ihipStream_tbDpT10_ENKUlT_T0_E_clISt17integral_constantIbLb0EES1A_IbLb1EEEEDaS16_S17_EUlS16_E_NS1_11comp_targetILNS1_3genE10ELNS1_11target_archE1200ELNS1_3gpuE4ELNS1_3repE0EEENS1_30default_config_static_selectorELNS0_4arch9wavefront6targetE0EEEvT1_,"axG",@progbits,_ZN7rocprim17ROCPRIM_400000_NS6detail17trampoline_kernelINS0_14default_configENS1_25partition_config_selectorILNS1_17partition_subalgoE5EfNS0_10empty_typeEbEEZZNS1_14partition_implILS5_5ELb0ES3_mN6thrust23THRUST_200600_302600_NS6detail15normal_iteratorINSA_10device_ptrIfEEEEPS6_NSA_18transform_iteratorINSB_9not_fun_tI7is_trueIfEEESF_NSA_11use_defaultESM_EENS0_5tupleIJSF_S6_EEENSO_IJSG_SG_EEES6_PlJS6_EEE10hipError_tPvRmT3_T4_T5_T6_T7_T9_mT8_P12ihipStream_tbDpT10_ENKUlT_T0_E_clISt17integral_constantIbLb0EES1A_IbLb1EEEEDaS16_S17_EUlS16_E_NS1_11comp_targetILNS1_3genE10ELNS1_11target_archE1200ELNS1_3gpuE4ELNS1_3repE0EEENS1_30default_config_static_selectorELNS0_4arch9wavefront6targetE0EEEvT1_,comdat
	.protected	_ZN7rocprim17ROCPRIM_400000_NS6detail17trampoline_kernelINS0_14default_configENS1_25partition_config_selectorILNS1_17partition_subalgoE5EfNS0_10empty_typeEbEEZZNS1_14partition_implILS5_5ELb0ES3_mN6thrust23THRUST_200600_302600_NS6detail15normal_iteratorINSA_10device_ptrIfEEEEPS6_NSA_18transform_iteratorINSB_9not_fun_tI7is_trueIfEEESF_NSA_11use_defaultESM_EENS0_5tupleIJSF_S6_EEENSO_IJSG_SG_EEES6_PlJS6_EEE10hipError_tPvRmT3_T4_T5_T6_T7_T9_mT8_P12ihipStream_tbDpT10_ENKUlT_T0_E_clISt17integral_constantIbLb0EES1A_IbLb1EEEEDaS16_S17_EUlS16_E_NS1_11comp_targetILNS1_3genE10ELNS1_11target_archE1200ELNS1_3gpuE4ELNS1_3repE0EEENS1_30default_config_static_selectorELNS0_4arch9wavefront6targetE0EEEvT1_ ; -- Begin function _ZN7rocprim17ROCPRIM_400000_NS6detail17trampoline_kernelINS0_14default_configENS1_25partition_config_selectorILNS1_17partition_subalgoE5EfNS0_10empty_typeEbEEZZNS1_14partition_implILS5_5ELb0ES3_mN6thrust23THRUST_200600_302600_NS6detail15normal_iteratorINSA_10device_ptrIfEEEEPS6_NSA_18transform_iteratorINSB_9not_fun_tI7is_trueIfEEESF_NSA_11use_defaultESM_EENS0_5tupleIJSF_S6_EEENSO_IJSG_SG_EEES6_PlJS6_EEE10hipError_tPvRmT3_T4_T5_T6_T7_T9_mT8_P12ihipStream_tbDpT10_ENKUlT_T0_E_clISt17integral_constantIbLb0EES1A_IbLb1EEEEDaS16_S17_EUlS16_E_NS1_11comp_targetILNS1_3genE10ELNS1_11target_archE1200ELNS1_3gpuE4ELNS1_3repE0EEENS1_30default_config_static_selectorELNS0_4arch9wavefront6targetE0EEEvT1_
	.globl	_ZN7rocprim17ROCPRIM_400000_NS6detail17trampoline_kernelINS0_14default_configENS1_25partition_config_selectorILNS1_17partition_subalgoE5EfNS0_10empty_typeEbEEZZNS1_14partition_implILS5_5ELb0ES3_mN6thrust23THRUST_200600_302600_NS6detail15normal_iteratorINSA_10device_ptrIfEEEEPS6_NSA_18transform_iteratorINSB_9not_fun_tI7is_trueIfEEESF_NSA_11use_defaultESM_EENS0_5tupleIJSF_S6_EEENSO_IJSG_SG_EEES6_PlJS6_EEE10hipError_tPvRmT3_T4_T5_T6_T7_T9_mT8_P12ihipStream_tbDpT10_ENKUlT_T0_E_clISt17integral_constantIbLb0EES1A_IbLb1EEEEDaS16_S17_EUlS16_E_NS1_11comp_targetILNS1_3genE10ELNS1_11target_archE1200ELNS1_3gpuE4ELNS1_3repE0EEENS1_30default_config_static_selectorELNS0_4arch9wavefront6targetE0EEEvT1_
	.p2align	8
	.type	_ZN7rocprim17ROCPRIM_400000_NS6detail17trampoline_kernelINS0_14default_configENS1_25partition_config_selectorILNS1_17partition_subalgoE5EfNS0_10empty_typeEbEEZZNS1_14partition_implILS5_5ELb0ES3_mN6thrust23THRUST_200600_302600_NS6detail15normal_iteratorINSA_10device_ptrIfEEEEPS6_NSA_18transform_iteratorINSB_9not_fun_tI7is_trueIfEEESF_NSA_11use_defaultESM_EENS0_5tupleIJSF_S6_EEENSO_IJSG_SG_EEES6_PlJS6_EEE10hipError_tPvRmT3_T4_T5_T6_T7_T9_mT8_P12ihipStream_tbDpT10_ENKUlT_T0_E_clISt17integral_constantIbLb0EES1A_IbLb1EEEEDaS16_S17_EUlS16_E_NS1_11comp_targetILNS1_3genE10ELNS1_11target_archE1200ELNS1_3gpuE4ELNS1_3repE0EEENS1_30default_config_static_selectorELNS0_4arch9wavefront6targetE0EEEvT1_,@function
_ZN7rocprim17ROCPRIM_400000_NS6detail17trampoline_kernelINS0_14default_configENS1_25partition_config_selectorILNS1_17partition_subalgoE5EfNS0_10empty_typeEbEEZZNS1_14partition_implILS5_5ELb0ES3_mN6thrust23THRUST_200600_302600_NS6detail15normal_iteratorINSA_10device_ptrIfEEEEPS6_NSA_18transform_iteratorINSB_9not_fun_tI7is_trueIfEEESF_NSA_11use_defaultESM_EENS0_5tupleIJSF_S6_EEENSO_IJSG_SG_EEES6_PlJS6_EEE10hipError_tPvRmT3_T4_T5_T6_T7_T9_mT8_P12ihipStream_tbDpT10_ENKUlT_T0_E_clISt17integral_constantIbLb0EES1A_IbLb1EEEEDaS16_S17_EUlS16_E_NS1_11comp_targetILNS1_3genE10ELNS1_11target_archE1200ELNS1_3gpuE4ELNS1_3repE0EEENS1_30default_config_static_selectorELNS0_4arch9wavefront6targetE0EEEvT1_: ; @_ZN7rocprim17ROCPRIM_400000_NS6detail17trampoline_kernelINS0_14default_configENS1_25partition_config_selectorILNS1_17partition_subalgoE5EfNS0_10empty_typeEbEEZZNS1_14partition_implILS5_5ELb0ES3_mN6thrust23THRUST_200600_302600_NS6detail15normal_iteratorINSA_10device_ptrIfEEEEPS6_NSA_18transform_iteratorINSB_9not_fun_tI7is_trueIfEEESF_NSA_11use_defaultESM_EENS0_5tupleIJSF_S6_EEENSO_IJSG_SG_EEES6_PlJS6_EEE10hipError_tPvRmT3_T4_T5_T6_T7_T9_mT8_P12ihipStream_tbDpT10_ENKUlT_T0_E_clISt17integral_constantIbLb0EES1A_IbLb1EEEEDaS16_S17_EUlS16_E_NS1_11comp_targetILNS1_3genE10ELNS1_11target_archE1200ELNS1_3gpuE4ELNS1_3repE0EEENS1_30default_config_static_selectorELNS0_4arch9wavefront6targetE0EEEvT1_
; %bb.0:
	s_clause 0x3
	s_load_b64 s[12:13], s[0:1], 0x30
	s_load_b128 s[8:11], s[0:1], 0x48
	s_load_b64 s[18:19], s[0:1], 0x58
	s_load_b64 s[14:15], s[0:1], 0x68
	v_cmp_eq_u32_e64 s2, 0, v0
	s_and_saveexec_b32 s3, s2
	s_cbranch_execz .LBB1364_4
; %bb.1:
	s_mov_b32 s5, exec_lo
	s_mov_b32 s4, exec_lo
	v_mbcnt_lo_u32_b32 v1, s5, 0
                                        ; implicit-def: $vgpr2
	s_delay_alu instid0(VALU_DEP_1)
	v_cmpx_eq_u32_e32 0, v1
	s_cbranch_execz .LBB1364_3
; %bb.2:
	s_load_b64 s[6:7], s[0:1], 0x78
	s_bcnt1_i32_b32 s5, s5
	s_wait_alu 0xfffe
	v_dual_mov_b32 v2, 0 :: v_dual_mov_b32 v3, s5
	s_wait_kmcnt 0x0
	global_atomic_add_u32 v2, v2, v3, s[6:7] th:TH_ATOMIC_RETURN scope:SCOPE_DEV
.LBB1364_3:
	s_or_b32 exec_lo, exec_lo, s4
	s_wait_loadcnt 0x0
	v_readfirstlane_b32 s4, v2
	s_wait_alu 0xf1ff
	s_delay_alu instid0(VALU_DEP_1)
	v_dual_mov_b32 v2, 0 :: v_dual_add_nc_u32 v1, s4, v1
	ds_store_b32 v2, v1
.LBB1364_4:
	s_or_b32 exec_lo, exec_lo, s3
	v_dual_mov_b32 v1, 0 :: v_dual_lshlrev_b32 v8, 2, v0
	s_clause 0x2
	s_load_b128 s[4:7], s[0:1], 0x8
	s_load_b64 s[16:17], s[0:1], 0x20
	s_load_b32 s0, s[0:1], 0x70
	s_wait_dscnt 0x0
	s_barrier_signal -1
	s_barrier_wait -1
	global_inv scope:SCOPE_SE
	ds_load_b32 v2, v1
	s_wait_loadcnt_dscnt 0x0
	s_barrier_signal -1
	s_barrier_wait -1
	global_inv scope:SCOPE_SE
	s_wait_kmcnt 0x0
	global_load_b64 v[9:10], v1, s[10:11]
	s_lshl_b64 s[10:11], s[6:7], 2
	s_delay_alu instid0(SALU_CYCLE_1)
	s_add_nc_u64 s[22:23], s[4:5], s[10:11]
	s_mul_i32 s4, s0, 0xa80
	s_mov_b32 s5, 0
	s_wait_alu 0xfffe
	s_add_co_i32 s3, s4, s6
	s_add_co_i32 s21, s0, -1
	v_readfirstlane_b32 s20, v2
	s_add_nc_u64 s[0:1], s[6:7], s[4:5]
	s_sub_co_i32 s3, s18, s3
	v_cmp_le_u64_e64 s0, s[18:19], s[0:1]
	s_addk_co_i32 s3, 0xa80
	s_cmp_eq_u32 s20, s21
	s_mul_i32 s4, s20, 0xa80
	s_cselect_b32 s18, -1, 0
	s_wait_alu 0xfffe
	s_lshl_b64 s[4:5], s[4:5], 2
	s_and_b32 s0, s0, s18
	s_mov_b32 s1, -1
	s_wait_alu 0xfffe
	s_xor_b32 s19, s0, -1
	s_add_nc_u64 s[6:7], s[22:23], s[4:5]
	s_wait_alu 0xfffe
	s_and_b32 vcc_lo, exec_lo, s19
	s_cbranch_vccz .LBB1364_6
; %bb.5:
	v_add_co_u32 v1, s0, s6, v8
	s_wait_alu 0xf1ff
	v_add_co_ci_u32_e64 v2, null, s7, 0, s0
	s_mov_b32 s1, 0
	s_clause 0x6
	flat_load_b32 v3, v[1:2]
	flat_load_b32 v4, v[1:2] offset:1536
	flat_load_b32 v5, v[1:2] offset:3072
	;; [unrolled: 1-line block ×6, first 2 shown]
	s_wait_loadcnt_dscnt 0x505
	ds_store_2addr_stride64_b32 v8, v3, v4 offset1:6
	s_wait_loadcnt_dscnt 0x304
	ds_store_2addr_stride64_b32 v8, v5, v6 offset0:12 offset1:18
	s_wait_loadcnt_dscnt 0x103
	ds_store_2addr_stride64_b32 v8, v7, v11 offset0:24 offset1:30
	s_wait_loadcnt_dscnt 0x3
	ds_store_b32 v8, v1 offset:9216
	s_wait_dscnt 0x0
	s_barrier_signal -1
	s_barrier_wait -1
.LBB1364_6:
	v_cmp_gt_u32_e64 s0, s3, v0
	s_wait_alu 0xfffe
	s_and_not1_b32 vcc_lo, exec_lo, s1
	s_cbranch_vccnz .LBB1364_22
; %bb.7:
	v_mov_b32_e32 v1, 0
	s_delay_alu instid0(VALU_DEP_1)
	v_dual_mov_b32 v2, v1 :: v_dual_mov_b32 v3, v1
	v_dual_mov_b32 v4, v1 :: v_dual_mov_b32 v5, v1
	;; [unrolled: 1-line block ×3, first 2 shown]
	s_and_saveexec_b32 s1, s0
	s_cbranch_execz .LBB1364_9
; %bb.8:
	v_add_co_u32 v2, s0, s6, v8
	s_wait_alu 0xf1ff
	v_add_co_ci_u32_e64 v3, null, s7, 0, s0
	v_dual_mov_b32 v12, v1 :: v_dual_mov_b32 v13, v1
	v_dual_mov_b32 v14, v1 :: v_dual_mov_b32 v15, v1
	flat_load_b32 v11, v[2:3]
	v_dual_mov_b32 v16, v1 :: v_dual_mov_b32 v17, v1
	s_wait_loadcnt_dscnt 0x0
	v_dual_mov_b32 v1, v11 :: v_dual_mov_b32 v2, v12
	v_dual_mov_b32 v3, v13 :: v_dual_mov_b32 v4, v14
	s_delay_alu instid0(VALU_DEP_3)
	v_dual_mov_b32 v5, v15 :: v_dual_mov_b32 v6, v16
	v_mov_b32_e32 v7, v17
.LBB1364_9:
	s_wait_alu 0xfffe
	s_or_b32 exec_lo, exec_lo, s1
	v_add_nc_u32_e32 v11, 0x180, v0
	s_mov_b32 s0, exec_lo
	s_delay_alu instid0(VALU_DEP_1)
	v_cmpx_gt_u32_e64 s3, v11
	s_cbranch_execz .LBB1364_11
; %bb.10:
	v_add_co_u32 v11, s1, s6, v8
	s_wait_alu 0xf1ff
	v_add_co_ci_u32_e64 v12, null, s7, 0, s1
	flat_load_b32 v2, v[11:12] offset:1536
.LBB1364_11:
	s_wait_alu 0xfffe
	s_or_b32 exec_lo, exec_lo, s0
	v_add_nc_u32_e32 v11, 0x300, v0
	s_mov_b32 s0, exec_lo
	s_delay_alu instid0(VALU_DEP_1)
	v_cmpx_gt_u32_e64 s3, v11
	s_cbranch_execz .LBB1364_13
; %bb.12:
	v_add_co_u32 v11, s1, s6, v8
	s_wait_alu 0xf1ff
	v_add_co_ci_u32_e64 v12, null, s7, 0, s1
	flat_load_b32 v3, v[11:12] offset:3072
.LBB1364_13:
	;; [unrolled: 13-line block ×3, first 2 shown]
	s_wait_alu 0xfffe
	s_or_b32 exec_lo, exec_lo, s0
	v_or_b32_e32 v11, 0x600, v0
	s_mov_b32 s0, exec_lo
	s_delay_alu instid0(VALU_DEP_1)
	v_cmpx_gt_u32_e64 s3, v11
	s_cbranch_execz .LBB1364_17
; %bb.16:
	v_add_co_u32 v11, s1, s6, v8
	s_wait_alu 0xf1ff
	v_add_co_ci_u32_e64 v12, null, s7, 0, s1
	flat_load_b32 v5, v[11:12] offset:6144
.LBB1364_17:
	s_wait_alu 0xfffe
	s_or_b32 exec_lo, exec_lo, s0
	v_add_nc_u32_e32 v11, 0x780, v0
	s_mov_b32 s0, exec_lo
	s_delay_alu instid0(VALU_DEP_1)
	v_cmpx_gt_u32_e64 s3, v11
	s_cbranch_execz .LBB1364_19
; %bb.18:
	v_add_co_u32 v11, s1, s6, v8
	s_wait_alu 0xf1ff
	v_add_co_ci_u32_e64 v12, null, s7, 0, s1
	flat_load_b32 v6, v[11:12] offset:7680
.LBB1364_19:
	s_wait_alu 0xfffe
	s_or_b32 exec_lo, exec_lo, s0
	v_add_nc_u32_e32 v11, 0x900, v0
	s_mov_b32 s0, exec_lo
	s_delay_alu instid0(VALU_DEP_1)
	v_cmpx_gt_u32_e64 s3, v11
	s_cbranch_execz .LBB1364_21
; %bb.20:
	v_add_co_u32 v11, s1, s6, v8
	s_wait_alu 0xf1ff
	v_add_co_ci_u32_e64 v12, null, s7, 0, s1
	flat_load_b32 v7, v[11:12] offset:9216
.LBB1364_21:
	s_wait_alu 0xfffe
	s_or_b32 exec_lo, exec_lo, s0
	s_wait_loadcnt_dscnt 0x0
	ds_store_2addr_stride64_b32 v8, v1, v2 offset1:6
	ds_store_2addr_stride64_b32 v8, v3, v4 offset0:12 offset1:18
	ds_store_2addr_stride64_b32 v8, v5, v6 offset0:24 offset1:30
	ds_store_b32 v8, v7 offset:9216
	s_wait_dscnt 0x0
	s_barrier_signal -1
	s_barrier_wait -1
.LBB1364_22:
	v_mul_u32_u24_e32 v1, 7, v0
	s_wait_loadcnt 0x0
	global_inv scope:SCOPE_SE
	s_add_nc_u64 s[0:1], s[16:17], s[10:11]
	s_and_b32 vcc_lo, exec_lo, s19
	s_wait_alu 0xfffe
	s_add_nc_u64 s[0:1], s[0:1], s[4:5]
	v_lshlrev_b32_e32 v1, 2, v1
	s_mov_b32 s4, -1
	ds_load_2addr_b32 v[15:16], v1 offset1:1
	ds_load_2addr_b32 v[13:14], v1 offset0:2 offset1:3
	ds_load_2addr_b32 v[11:12], v1 offset0:4 offset1:5
	ds_load_b32 v33, v1 offset:24
	s_wait_loadcnt_dscnt 0x0
	s_barrier_signal -1
	s_barrier_wait -1
	global_inv scope:SCOPE_SE
	s_cbranch_vccz .LBB1364_24
; %bb.23:
	s_clause 0x6
	global_load_b32 v2, v8, s[0:1]
	global_load_b32 v3, v8, s[0:1] offset:1536
	global_load_b32 v4, v8, s[0:1] offset:3072
	;; [unrolled: 1-line block ×6, first 2 shown]
	s_mov_b32 s4, 0
	s_wait_loadcnt 0x6
	v_cmp_eq_f32_e32 vcc_lo, 0, v2
	v_cndmask_b32_e64 v2, 0, 1, vcc_lo
	s_wait_loadcnt 0x5
	v_cmp_eq_f32_e32 vcc_lo, 0, v3
	s_wait_alu 0xfffd
	v_cndmask_b32_e64 v3, 0, 1, vcc_lo
	s_wait_loadcnt 0x4
	v_cmp_eq_f32_e32 vcc_lo, 0, v4
	s_wait_alu 0xfffd
	v_cndmask_b32_e64 v4, 0, 1, vcc_lo
	s_wait_loadcnt 0x3
	v_cmp_eq_f32_e32 vcc_lo, 0, v5
	s_wait_alu 0xfffd
	v_cndmask_b32_e64 v5, 0, 1, vcc_lo
	s_wait_loadcnt 0x2
	v_cmp_eq_f32_e32 vcc_lo, 0, v6
	s_wait_alu 0xfffd
	v_cndmask_b32_e64 v6, 0, 1, vcc_lo
	s_wait_loadcnt 0x1
	v_cmp_eq_f32_e32 vcc_lo, 0, v7
	s_wait_alu 0xfffd
	v_cndmask_b32_e64 v7, 0, 1, vcc_lo
	s_wait_loadcnt 0x0
	v_cmp_eq_f32_e32 vcc_lo, 0, v17
	s_wait_alu 0xfffd
	v_cndmask_b32_e64 v17, 0, 1, vcc_lo
	ds_store_b8 v0, v2
	ds_store_b8 v0, v3 offset:384
	ds_store_b8 v0, v4 offset:768
	;; [unrolled: 1-line block ×6, first 2 shown]
	s_wait_dscnt 0x0
	s_barrier_signal -1
	s_barrier_wait -1
.LBB1364_24:
	s_wait_alu 0xfffe
	s_and_not1_b32 vcc_lo, exec_lo, s4
	s_wait_alu 0xfffe
	s_cbranch_vccnz .LBB1364_40
; %bb.25:
	v_mov_b32_e32 v2, 0
	s_mov_b32 s5, 0
	s_mov_b32 s4, exec_lo
	s_delay_alu instid0(VALU_DEP_1)
	v_dual_mov_b32 v4, v2 :: v_dual_mov_b32 v3, v2
	v_cmpx_gt_u32_e64 s3, v0
	s_cbranch_execz .LBB1364_27
; %bb.26:
	global_load_b32 v2, v8, s[0:1]
	s_wait_loadcnt 0x0
	v_cmp_eq_f32_e32 vcc_lo, 0, v2
	s_wait_alu 0xfffd
	v_cndmask_b32_e64 v2, 0, 1, vcc_lo
	s_wait_alu 0xfffe
	s_delay_alu instid0(VALU_DEP_1)
	v_dual_mov_b32 v4, s5 :: v_dual_mov_b32 v3, v2
.LBB1364_27:
	s_wait_alu 0xfffe
	s_or_b32 exec_lo, exec_lo, s4
	v_add_nc_u32_e32 v5, 0x180, v0
	s_mov_b32 s4, exec_lo
	s_delay_alu instid0(VALU_DEP_1)
	v_cmpx_gt_u32_e64 s3, v5
	s_cbranch_execz .LBB1364_29
; %bb.28:
	global_load_b32 v5, v8, s[0:1] offset:1536
	v_lshrrev_b32_e32 v6, 8, v4
	v_and_b32_e32 v7, 0xff, v4
	v_and_b32_e32 v17, 0xff, v2
	v_bfe_u32 v4, v4, 16, 8
	s_delay_alu instid0(VALU_DEP_4) | instskip(NEXT) | instid1(VALU_DEP_1)
	v_lshlrev_b16 v6, 8, v6
	v_or_b32_e32 v6, v7, v6
	v_lshrrev_b32_e32 v7, 16, v2
	s_delay_alu instid0(VALU_DEP_2) | instskip(NEXT) | instid1(VALU_DEP_2)
	v_and_b32_e32 v6, 0xffff, v6
	v_perm_b32 v2, v7, v2, 0xc0c0304
	s_delay_alu instid0(VALU_DEP_2) | instskip(SKIP_4) | instid1(VALU_DEP_1)
	v_lshl_or_b32 v4, v4, 16, v6
	s_wait_loadcnt 0x0
	v_cmp_eq_f32_e32 vcc_lo, 0, v5
	s_wait_alu 0xfffd
	v_cndmask_b32_e64 v5, 0, 1, vcc_lo
	v_lshlrev_b16 v5, 8, v5
	s_delay_alu instid0(VALU_DEP_1) | instskip(NEXT) | instid1(VALU_DEP_1)
	v_or_b32_e32 v5, v17, v5
	v_and_b32_e32 v5, 0xffff, v5
	s_delay_alu instid0(VALU_DEP_1)
	v_lshl_or_b32 v2, v2, 16, v5
.LBB1364_29:
	s_wait_alu 0xfffe
	s_or_b32 exec_lo, exec_lo, s4
	v_add_nc_u32_e32 v5, 0x300, v0
	s_mov_b32 s4, exec_lo
	s_delay_alu instid0(VALU_DEP_1)
	v_cmpx_gt_u32_e64 s3, v5
	s_cbranch_execz .LBB1364_31
; %bb.30:
	global_load_b32 v5, v8, s[0:1] offset:3072
	v_lshrrev_b32_e32 v6, 8, v4
	v_lshrrev_b32_e32 v7, 24, v2
	v_and_b32_e32 v17, 0xff, v4
	v_bfe_u32 v4, v4, 16, 8
	v_perm_b32 v2, v2, v2, 0xc0c0104
	v_lshlrev_b16 v6, 8, v6
	v_lshlrev_b16 v7, 8, v7
	s_delay_alu instid0(VALU_DEP_2) | instskip(NEXT) | instid1(VALU_DEP_1)
	v_or_b32_e32 v6, v17, v6
	v_and_b32_e32 v6, 0xffff, v6
	s_delay_alu instid0(VALU_DEP_1) | instskip(SKIP_4) | instid1(VALU_DEP_1)
	v_lshl_or_b32 v4, v4, 16, v6
	s_wait_loadcnt 0x0
	v_cmp_eq_f32_e32 vcc_lo, 0, v5
	s_wait_alu 0xfffd
	v_cndmask_b32_e64 v5, 0, 1, vcc_lo
	v_or_b32_e32 v5, v5, v7
	s_delay_alu instid0(VALU_DEP_1) | instskip(NEXT) | instid1(VALU_DEP_1)
	v_lshlrev_b32_e32 v5, 16, v5
	v_or_b32_e32 v2, v2, v5
.LBB1364_31:
	s_wait_alu 0xfffe
	s_or_b32 exec_lo, exec_lo, s4
	v_add_nc_u32_e32 v5, 0x480, v0
	s_mov_b32 s4, exec_lo
	s_delay_alu instid0(VALU_DEP_1)
	v_cmpx_gt_u32_e64 s3, v5
	s_cbranch_execz .LBB1364_33
; %bb.32:
	global_load_b32 v5, v8, s[0:1] offset:4608
	v_lshrrev_b32_e32 v6, 8, v4
	v_lshrrev_b32_e32 v7, 16, v2
	v_and_b32_e32 v17, 0xff, v4
	v_bfe_u32 v4, v4, 16, 8
	v_perm_b32 v2, v2, v2, 0xc0c0104
	v_lshlrev_b16 v6, 8, v6
	v_and_b32_e32 v7, 0xff, v7
	s_delay_alu instid0(VALU_DEP_2) | instskip(NEXT) | instid1(VALU_DEP_1)
	v_or_b32_e32 v6, v17, v6
	v_and_b32_e32 v6, 0xffff, v6
	s_delay_alu instid0(VALU_DEP_1) | instskip(SKIP_4) | instid1(VALU_DEP_1)
	v_lshl_or_b32 v4, v4, 16, v6
	s_wait_loadcnt 0x0
	v_cmp_eq_f32_e32 vcc_lo, 0, v5
	s_wait_alu 0xfffd
	v_cndmask_b32_e64 v5, 0, 1, vcc_lo
	v_lshlrev_b16 v5, 8, v5
	s_delay_alu instid0(VALU_DEP_1) | instskip(NEXT) | instid1(VALU_DEP_1)
	v_or_b32_e32 v5, v7, v5
	v_lshlrev_b32_e32 v5, 16, v5
	s_delay_alu instid0(VALU_DEP_1)
	v_or_b32_e32 v2, v2, v5
.LBB1364_33:
	s_wait_alu 0xfffe
	s_or_b32 exec_lo, exec_lo, s4
	v_or_b32_e32 v5, 0x600, v0
	s_mov_b32 s4, exec_lo
	s_delay_alu instid0(VALU_DEP_1)
	v_cmpx_gt_u32_e64 s3, v5
	s_cbranch_execz .LBB1364_35
; %bb.34:
	global_load_b32 v5, v8, s[0:1] offset:6144
	v_lshrrev_b32_e32 v6, 8, v4
	v_bfe_u32 v4, v4, 16, 8
	v_perm_b32 v2, v2, v2, 0x3020104
	s_delay_alu instid0(VALU_DEP_3) | instskip(SKIP_4) | instid1(VALU_DEP_1)
	v_lshlrev_b16 v6, 8, v6
	s_wait_loadcnt 0x0
	v_cmp_eq_f32_e32 vcc_lo, 0, v5
	s_wait_alu 0xfffd
	v_cndmask_b32_e64 v5, 0, 1, vcc_lo
	v_or_b32_e32 v5, v5, v6
	s_delay_alu instid0(VALU_DEP_1) | instskip(NEXT) | instid1(VALU_DEP_1)
	v_and_b32_e32 v5, 0xffff, v5
	v_lshl_or_b32 v4, v4, 16, v5
.LBB1364_35:
	s_wait_alu 0xfffe
	s_or_b32 exec_lo, exec_lo, s4
	v_add_nc_u32_e32 v5, 0x780, v0
	s_mov_b32 s4, exec_lo
	s_delay_alu instid0(VALU_DEP_1)
	v_cmpx_gt_u32_e64 s3, v5
	s_cbranch_execz .LBB1364_37
; %bb.36:
	global_load_b32 v5, v8, s[0:1] offset:7680
	v_and_b32_e32 v6, 0xff, v4
	v_bfe_u32 v4, v4, 16, 8
	v_perm_b32 v2, v2, v2, 0x3020104
	s_wait_loadcnt 0x0
	v_cmp_eq_f32_e32 vcc_lo, 0, v5
	s_wait_alu 0xfffd
	v_cndmask_b32_e64 v5, 0, 1, vcc_lo
	s_delay_alu instid0(VALU_DEP_1) | instskip(NEXT) | instid1(VALU_DEP_1)
	v_lshlrev_b16 v5, 8, v5
	v_or_b32_e32 v5, v6, v5
	s_delay_alu instid0(VALU_DEP_1) | instskip(NEXT) | instid1(VALU_DEP_1)
	v_and_b32_e32 v5, 0xffff, v5
	v_lshl_or_b32 v4, v4, 16, v5
.LBB1364_37:
	s_wait_alu 0xfffe
	s_or_b32 exec_lo, exec_lo, s4
	v_add_nc_u32_e32 v5, 0x900, v0
	s_delay_alu instid0(VALU_DEP_1)
	v_cmp_gt_u32_e32 vcc_lo, s3, v5
	s_and_saveexec_b32 s3, vcc_lo
	s_cbranch_execz .LBB1364_39
; %bb.38:
	global_load_b32 v5, v8, s[0:1] offset:9216
	v_lshrrev_b32_e32 v6, 8, v4
	v_and_b32_e32 v4, 0xff, v4
	v_perm_b32 v2, v2, v2, 0x3020104
	s_delay_alu instid0(VALU_DEP_3) | instskip(NEXT) | instid1(VALU_DEP_1)
	v_lshlrev_b16 v6, 8, v6
	v_or_b32_e32 v4, v4, v6
	s_delay_alu instid0(VALU_DEP_1) | instskip(SKIP_4) | instid1(VALU_DEP_1)
	v_and_b32_e32 v4, 0xffff, v4
	s_wait_loadcnt 0x0
	v_cmp_eq_f32_e32 vcc_lo, 0, v5
	s_wait_alu 0xfffd
	v_cndmask_b32_e64 v5, 0, 1, vcc_lo
	v_lshl_or_b32 v4, v5, 16, v4
.LBB1364_39:
	s_wait_alu 0xfffe
	s_or_b32 exec_lo, exec_lo, s3
	v_lshrrev_b32_e32 v5, 8, v2
	v_lshrrev_b32_e32 v6, 24, v2
	;; [unrolled: 1-line block ×3, first 2 shown]
	ds_store_b8 v0, v3
	ds_store_b8 v0, v5 offset:384
	ds_store_b8_d16_hi v0, v2 offset:768
	ds_store_b8 v0, v6 offset:1152
	ds_store_b8 v0, v4 offset:1536
	;; [unrolled: 1-line block ×3, first 2 shown]
	ds_store_b8_d16_hi v0, v4 offset:2304
	s_wait_loadcnt_dscnt 0x0
	s_barrier_signal -1
	s_barrier_wait -1
.LBB1364_40:
	v_mad_i32_i24 v32, 0xffffffeb, v0, v1
	s_wait_loadcnt 0x0
	global_inv scope:SCOPE_SE
	v_mbcnt_lo_u32_b32 v31, -1, 0
	s_cmp_lg_u32 s20, 0
	s_mov_b32 s1, -1
	ds_load_u8 v1, v32
	ds_load_u8 v2, v32 offset:1
	ds_load_u8 v3, v32 offset:2
	;; [unrolled: 1-line block ×6, first 2 shown]
	s_wait_loadcnt_dscnt 0x0
	v_and_b32_e32 v41, 15, v31
	s_barrier_signal -1
	s_barrier_wait -1
	global_inv scope:SCOPE_SE
	v_and_b32_e32 v40, 1, v1
	v_dual_mov_b32 v2, 0 :: v_dual_and_b32 v39, 1, v2
	v_and_b32_e32 v37, 1, v3
	v_and_b32_e32 v36, 1, v4
	;; [unrolled: 1-line block ×5, first 2 shown]
	v_add3_u32 v1, v39, v40, v37
	s_delay_alu instid0(VALU_DEP_1) | instskip(SKIP_3) | instid1(VALU_DEP_3)
	v_add_co_u32 v1, s0, v1, v36
	s_wait_alu 0xf1ff
	v_add_co_ci_u32_e64 v3, null, 0, 0, s0
	v_cmp_ne_u32_e64 s0, 0, v41
	v_add_co_u32 v1, vcc_lo, v1, v38
	s_wait_alu 0xfffd
	s_delay_alu instid0(VALU_DEP_3) | instskip(NEXT) | instid1(VALU_DEP_2)
	v_add_co_ci_u32_e64 v3, null, 0, v3, vcc_lo
	v_add_co_u32 v1, vcc_lo, v1, v35
	s_wait_alu 0xfffd
	s_delay_alu instid0(VALU_DEP_2) | instskip(NEXT) | instid1(VALU_DEP_2)
	v_add_co_ci_u32_e64 v3, null, 0, v3, vcc_lo
	v_add_co_u32 v17, vcc_lo, v1, v34
	s_wait_alu 0xfffd
	s_delay_alu instid0(VALU_DEP_2)
	v_add_co_ci_u32_e64 v18, null, 0, v3, vcc_lo
	s_cbranch_scc0 .LBB1364_99
; %bb.41:
	v_mov_b32_e32 v3, v17
	v_mov_b32_dpp v1, v17 row_shr:1 row_mask:0xf bank_mask:0xf
	v_mov_b32_dpp v6, v2 row_shr:1 row_mask:0xf bank_mask:0xf
	v_dual_mov_b32 v5, v17 :: v_dual_mov_b32 v4, v18
	s_and_saveexec_b32 s1, s0
; %bb.42:
	s_delay_alu instid0(VALU_DEP_3) | instskip(SKIP_2) | instid1(VALU_DEP_2)
	v_add_co_u32 v5, vcc_lo, v17, v1
	s_wait_alu 0xfffd
	v_add_co_ci_u32_e64 v2, null, 0, v18, vcc_lo
	v_add_co_u32 v1, vcc_lo, 0, v5
	s_wait_alu 0xfffd
	s_delay_alu instid0(VALU_DEP_2) | instskip(NEXT) | instid1(VALU_DEP_1)
	v_add_co_ci_u32_e64 v2, null, v6, v2, vcc_lo
	v_dual_mov_b32 v4, v2 :: v_dual_mov_b32 v3, v1
; %bb.43:
	s_wait_alu 0xfffe
	s_or_b32 exec_lo, exec_lo, s1
	v_mov_b32_dpp v1, v5 row_shr:2 row_mask:0xf bank_mask:0xf
	v_mov_b32_dpp v6, v2 row_shr:2 row_mask:0xf bank_mask:0xf
	v_cmp_lt_u32_e32 vcc_lo, 1, v41
	s_and_saveexec_b32 s3, vcc_lo
; %bb.44:
	s_delay_alu instid0(VALU_DEP_3) | instskip(SKIP_2) | instid1(VALU_DEP_2)
	v_add_co_u32 v5, s1, v3, v1
	s_wait_alu 0xf1ff
	v_add_co_ci_u32_e64 v2, null, 0, v4, s1
	v_add_co_u32 v1, s1, 0, v5
	s_wait_alu 0xf1ff
	s_delay_alu instid0(VALU_DEP_2) | instskip(NEXT) | instid1(VALU_DEP_1)
	v_add_co_ci_u32_e64 v2, null, v6, v2, s1
	v_dual_mov_b32 v4, v2 :: v_dual_mov_b32 v3, v1
; %bb.45:
	s_wait_alu 0xfffe
	s_or_b32 exec_lo, exec_lo, s3
	v_mov_b32_dpp v1, v5 row_shr:4 row_mask:0xf bank_mask:0xf
	v_mov_b32_dpp v6, v2 row_shr:4 row_mask:0xf bank_mask:0xf
	v_cmp_lt_u32_e64 s1, 3, v41
	s_and_saveexec_b32 s4, s1
; %bb.46:
	v_add_co_u32 v5, s3, v3, v1
	s_wait_alu 0xf1ff
	v_add_co_ci_u32_e64 v2, null, 0, v4, s3
	s_delay_alu instid0(VALU_DEP_2) | instskip(SKIP_1) | instid1(VALU_DEP_2)
	v_add_co_u32 v1, s3, 0, v5
	s_wait_alu 0xf1ff
	v_add_co_ci_u32_e64 v2, null, v6, v2, s3
	s_delay_alu instid0(VALU_DEP_1)
	v_dual_mov_b32 v4, v2 :: v_dual_mov_b32 v3, v1
; %bb.47:
	s_wait_alu 0xfffe
	s_or_b32 exec_lo, exec_lo, s4
	v_mov_b32_dpp v6, v5 row_shr:8 row_mask:0xf bank_mask:0xf
	v_mov_b32_dpp v1, v2 row_shr:8 row_mask:0xf bank_mask:0xf
	v_cmp_lt_u32_e64 s3, 7, v41
	s_and_saveexec_b32 s5, s3
; %bb.48:
	v_add_co_u32 v5, s4, v3, v6
	s_wait_alu 0xf1ff
	v_add_co_ci_u32_e64 v2, null, 0, v4, s4
	s_delay_alu instid0(VALU_DEP_2) | instskip(SKIP_1) | instid1(VALU_DEP_2)
	v_add_co_u32 v3, s4, 0, v5
	s_wait_alu 0xf1ff
	v_add_co_ci_u32_e64 v4, null, v1, v2, s4
	s_delay_alu instid0(VALU_DEP_1)
	v_mov_b32_e32 v2, v4
; %bb.49:
	s_wait_alu 0xfffe
	s_or_b32 exec_lo, exec_lo, s5
	ds_swizzle_b32 v1, v5 offset:swizzle(BROADCAST,32,15)
	ds_swizzle_b32 v6, v2 offset:swizzle(BROADCAST,32,15)
	v_and_b32_e32 v7, 16, v31
	s_mov_b32 s5, exec_lo
	s_delay_alu instid0(VALU_DEP_1)
	v_cmpx_ne_u32_e32 0, v7
	s_cbranch_execz .LBB1364_51
; %bb.50:
	s_wait_dscnt 0x1
	v_add_co_u32 v5, s4, v3, v1
	s_wait_alu 0xf1ff
	v_add_co_ci_u32_e64 v2, null, 0, v4, s4
	s_delay_alu instid0(VALU_DEP_2) | instskip(SKIP_2) | instid1(VALU_DEP_2)
	v_add_co_u32 v1, s4, 0, v5
	s_wait_dscnt 0x0
	s_wait_alu 0xf1ff
	v_add_co_ci_u32_e64 v2, null, v6, v2, s4
	s_delay_alu instid0(VALU_DEP_1)
	v_dual_mov_b32 v4, v2 :: v_dual_mov_b32 v3, v1
.LBB1364_51:
	s_wait_alu 0xfffe
	s_or_b32 exec_lo, exec_lo, s5
	s_wait_dscnt 0x1
	v_and_b32_e32 v1, 0x1e0, v0
	s_mov_b32 s5, exec_lo
	s_delay_alu instid0(VALU_DEP_1) | instskip(SKIP_1) | instid1(VALU_DEP_1)
	v_min_u32_e32 v1, 0x160, v1
	s_wait_dscnt 0x0
	v_or_b32_e32 v6, 31, v1
	v_lshrrev_b32_e32 v1, 5, v0
	s_delay_alu instid0(VALU_DEP_2)
	v_cmpx_eq_u32_e64 v0, v6
; %bb.52:
	s_delay_alu instid0(VALU_DEP_2)
	v_lshlrev_b32_e32 v6, 3, v1
	ds_store_b64 v6, v[3:4]
; %bb.53:
	s_wait_alu 0xfffe
	s_or_b32 exec_lo, exec_lo, s5
	s_delay_alu instid0(SALU_CYCLE_1)
	s_mov_b32 s5, exec_lo
	s_wait_loadcnt_dscnt 0x0
	s_barrier_signal -1
	s_barrier_wait -1
	global_inv scope:SCOPE_SE
	v_cmpx_gt_u32_e32 12, v0
	s_cbranch_execz .LBB1364_63
; %bb.54:
	v_lshlrev_b32_e32 v6, 3, v0
	ds_load_b64 v[3:4], v6
	s_wait_dscnt 0x0
	v_mov_b32_dpp v19, v3 row_shr:1 row_mask:0xf bank_mask:0xf
	v_mov_b32_dpp v8, v4 row_shr:1 row_mask:0xf bank_mask:0xf
	v_mov_b32_e32 v7, v3
	s_and_saveexec_b32 s6, s0
; %bb.55:
	s_delay_alu instid0(VALU_DEP_3) | instskip(SKIP_2) | instid1(VALU_DEP_2)
	v_add_co_u32 v7, s4, v3, v19
	s_wait_alu 0xf1ff
	v_add_co_ci_u32_e64 v4, null, 0, v4, s4
	v_add_co_u32 v3, s4, 0, v7
	s_wait_alu 0xf1ff
	s_delay_alu instid0(VALU_DEP_2)
	v_add_co_ci_u32_e64 v4, null, v8, v4, s4
; %bb.56:
	s_wait_alu 0xfffe
	s_or_b32 exec_lo, exec_lo, s6
	v_mov_b32_dpp v19, v7 row_shr:2 row_mask:0xf bank_mask:0xf
	s_delay_alu instid0(VALU_DEP_2)
	v_mov_b32_dpp v8, v4 row_shr:2 row_mask:0xf bank_mask:0xf
	s_and_saveexec_b32 s4, vcc_lo
; %bb.57:
	s_delay_alu instid0(VALU_DEP_2) | instskip(SKIP_2) | instid1(VALU_DEP_2)
	v_add_co_u32 v7, vcc_lo, v3, v19
	s_wait_alu 0xfffd
	v_add_co_ci_u32_e64 v4, null, 0, v4, vcc_lo
	v_add_co_u32 v3, vcc_lo, 0, v7
	s_wait_alu 0xfffd
	s_delay_alu instid0(VALU_DEP_2)
	v_add_co_ci_u32_e64 v4, null, v8, v4, vcc_lo
; %bb.58:
	s_wait_alu 0xfffe
	s_or_b32 exec_lo, exec_lo, s4
	v_mov_b32_dpp v19, v7 row_shr:4 row_mask:0xf bank_mask:0xf
	s_delay_alu instid0(VALU_DEP_2)
	v_mov_b32_dpp v8, v4 row_shr:4 row_mask:0xf bank_mask:0xf
	s_and_saveexec_b32 s4, s1
; %bb.59:
	s_delay_alu instid0(VALU_DEP_2) | instskip(SKIP_2) | instid1(VALU_DEP_2)
	v_add_co_u32 v7, vcc_lo, v3, v19
	s_wait_alu 0xfffd
	v_add_co_ci_u32_e64 v4, null, 0, v4, vcc_lo
	v_add_co_u32 v3, vcc_lo, 0, v7
	s_wait_alu 0xfffd
	s_delay_alu instid0(VALU_DEP_2)
	v_add_co_ci_u32_e64 v4, null, v8, v4, vcc_lo
; %bb.60:
	s_wait_alu 0xfffe
	s_or_b32 exec_lo, exec_lo, s4
	v_mov_b32_dpp v8, v7 row_shr:8 row_mask:0xf bank_mask:0xf
	s_delay_alu instid0(VALU_DEP_2)
	v_mov_b32_dpp v7, v4 row_shr:8 row_mask:0xf bank_mask:0xf
	s_and_saveexec_b32 s1, s3
; %bb.61:
	s_delay_alu instid0(VALU_DEP_2) | instskip(SKIP_2) | instid1(VALU_DEP_2)
	v_add_co_u32 v3, vcc_lo, v3, v8
	s_wait_alu 0xfffd
	v_add_co_ci_u32_e64 v4, null, 0, v4, vcc_lo
	v_add_co_u32 v3, vcc_lo, v3, 0
	s_wait_alu 0xfffd
	s_delay_alu instid0(VALU_DEP_2)
	v_add_co_ci_u32_e64 v4, null, v4, v7, vcc_lo
; %bb.62:
	s_wait_alu 0xfffe
	s_or_b32 exec_lo, exec_lo, s1
	ds_store_b64 v6, v[3:4]
.LBB1364_63:
	s_wait_alu 0xfffe
	s_or_b32 exec_lo, exec_lo, s5
	s_delay_alu instid0(SALU_CYCLE_1)
	s_mov_b32 s3, exec_lo
	v_cmp_gt_u32_e32 vcc_lo, 32, v0
	s_wait_loadcnt_dscnt 0x0
	s_barrier_signal -1
	s_barrier_wait -1
	global_inv scope:SCOPE_SE
                                        ; implicit-def: $vgpr19_vgpr20
	v_cmpx_lt_u32_e32 31, v0
	s_cbranch_execz .LBB1364_65
; %bb.64:
	v_lshl_add_u32 v1, v1, 3, -8
	ds_load_b64 v[19:20], v1
	s_wait_dscnt 0x0
	v_add_co_u32 v5, s1, v5, v19
	s_wait_alu 0xf1ff
	v_add_co_ci_u32_e64 v2, null, v2, v20, s1
.LBB1364_65:
	s_wait_alu 0xfffe
	s_or_b32 exec_lo, exec_lo, s3
	v_sub_co_u32 v1, s1, v31, 1
	s_delay_alu instid0(VALU_DEP_1) | instskip(SKIP_1) | instid1(VALU_DEP_1)
	v_cmp_gt_i32_e64 s3, 0, v1
	s_wait_alu 0xf1ff
	v_cndmask_b32_e64 v1, v1, v31, s3
	s_delay_alu instid0(VALU_DEP_1)
	v_lshlrev_b32_e32 v1, 2, v1
	ds_bpermute_b32 v25, v1, v5
	ds_bpermute_b32 v26, v1, v2
	s_and_saveexec_b32 s3, vcc_lo
	s_cbranch_execz .LBB1364_104
; %bb.66:
	v_mov_b32_e32 v4, 0
	ds_load_b64 v[1:2], v4 offset:88
	s_and_saveexec_b32 s4, s1
	s_cbranch_execz .LBB1364_68
; %bb.67:
	s_add_co_i32 s6, s20, 32
	s_mov_b32 s7, 0
	s_wait_alu 0xfffe
	s_lshl_b64 s[6:7], s[6:7], 4
	s_wait_alu 0xfffe
	s_add_nc_u64 s[6:7], s[14:15], s[6:7]
	v_mov_b32_e32 v3, 1
	s_wait_alu 0xfffe
	v_dual_mov_b32 v5, s6 :: v_dual_mov_b32 v6, s7
	s_wait_dscnt 0x0
	;;#ASMSTART
	global_store_b128 v[5:6], v[1:4] off scope:SCOPE_DEV	
s_wait_storecnt 0x0
	;;#ASMEND
.LBB1364_68:
	s_wait_alu 0xfffe
	s_or_b32 exec_lo, exec_lo, s4
	v_xad_u32 v21, v31, -1, s20
	s_mov_b32 s5, 0
	s_mov_b32 s4, exec_lo
	s_delay_alu instid0(VALU_DEP_1) | instskip(NEXT) | instid1(VALU_DEP_1)
	v_add_nc_u32_e32 v3, 32, v21
	v_lshlrev_b64_e32 v[3:4], 4, v[3:4]
	s_delay_alu instid0(VALU_DEP_1) | instskip(SKIP_1) | instid1(VALU_DEP_2)
	v_add_co_u32 v3, vcc_lo, s14, v3
	s_wait_alu 0xfffd
	v_add_co_ci_u32_e64 v4, null, s15, v4, vcc_lo
	;;#ASMSTART
	global_load_b128 v[5:8], v[3:4] off scope:SCOPE_DEV	
s_wait_loadcnt 0x0
	;;#ASMEND
	v_and_b32_e32 v8, 0xff, v7
	s_delay_alu instid0(VALU_DEP_1)
	v_cmpx_eq_u16_e32 0, v8
	s_cbranch_execz .LBB1364_71
.LBB1364_69:                            ; =>This Inner Loop Header: Depth=1
	;;#ASMSTART
	global_load_b128 v[5:8], v[3:4] off scope:SCOPE_DEV	
s_wait_loadcnt 0x0
	;;#ASMEND
	v_and_b32_e32 v8, 0xff, v7
	s_delay_alu instid0(VALU_DEP_1)
	v_cmp_ne_u16_e32 vcc_lo, 0, v8
	s_wait_alu 0xfffe
	s_or_b32 s5, vcc_lo, s5
	s_wait_alu 0xfffe
	s_and_not1_b32 exec_lo, exec_lo, s5
	s_cbranch_execnz .LBB1364_69
; %bb.70:
	s_or_b32 exec_lo, exec_lo, s5
.LBB1364_71:
	s_wait_alu 0xfffe
	s_or_b32 exec_lo, exec_lo, s4
	v_cmp_ne_u32_e32 vcc_lo, 31, v31
	v_and_b32_e32 v4, 0xff, v7
	v_lshlrev_b32_e64 v28, v31, -1
	s_mov_b32 s4, exec_lo
	s_wait_alu 0xfffd
	v_add_co_ci_u32_e64 v3, null, 0, v31, vcc_lo
	v_cmp_eq_u16_e32 vcc_lo, 2, v4
	s_delay_alu instid0(VALU_DEP_2)
	v_dual_mov_b32 v4, v5 :: v_dual_lshlrev_b32 v27, 2, v3
	s_wait_alu 0xfffd
	v_and_or_b32 v3, vcc_lo, v28, 0x80000000
	ds_bpermute_b32 v22, v27, v5
	ds_bpermute_b32 v8, v27, v6
	v_ctz_i32_b32_e32 v3, v3
	s_delay_alu instid0(VALU_DEP_1)
	v_cmpx_lt_u32_e64 v31, v3
	s_cbranch_execz .LBB1364_73
; %bb.72:
	s_wait_dscnt 0x1
	v_add_co_u32 v4, vcc_lo, v5, v22
	s_wait_alu 0xfffd
	v_add_co_ci_u32_e64 v6, null, 0, v6, vcc_lo
	s_delay_alu instid0(VALU_DEP_2) | instskip(SKIP_2) | instid1(VALU_DEP_2)
	v_add_co_u32 v5, vcc_lo, 0, v4
	s_wait_dscnt 0x0
	s_wait_alu 0xfffd
	v_add_co_ci_u32_e64 v6, null, v8, v6, vcc_lo
.LBB1364_73:
	s_wait_alu 0xfffe
	s_or_b32 exec_lo, exec_lo, s4
	v_cmp_gt_u32_e32 vcc_lo, 30, v31
	v_add_nc_u32_e32 v30, 2, v31
	s_mov_b32 s4, exec_lo
	s_wait_dscnt 0x0
	s_wait_alu 0xfffd
	v_cndmask_b32_e64 v8, 0, 2, vcc_lo
	s_delay_alu instid0(VALU_DEP_1)
	v_add_lshl_u32 v29, v8, v31, 2
	ds_bpermute_b32 v22, v29, v4
	ds_bpermute_b32 v8, v29, v6
	v_cmpx_le_u32_e64 v30, v3
	s_cbranch_execz .LBB1364_75
; %bb.74:
	s_wait_dscnt 0x1
	v_add_co_u32 v4, vcc_lo, v5, v22
	s_wait_alu 0xfffd
	v_add_co_ci_u32_e64 v6, null, 0, v6, vcc_lo
	s_delay_alu instid0(VALU_DEP_2) | instskip(SKIP_2) | instid1(VALU_DEP_2)
	v_add_co_u32 v5, vcc_lo, 0, v4
	s_wait_dscnt 0x0
	s_wait_alu 0xfffd
	v_add_co_ci_u32_e64 v6, null, v8, v6, vcc_lo
.LBB1364_75:
	s_wait_alu 0xfffe
	s_or_b32 exec_lo, exec_lo, s4
	v_cmp_gt_u32_e32 vcc_lo, 28, v31
	v_add_nc_u32_e32 v43, 4, v31
	s_mov_b32 s4, exec_lo
	s_wait_dscnt 0x0
	s_wait_alu 0xfffd
	v_cndmask_b32_e64 v8, 0, 4, vcc_lo
	s_delay_alu instid0(VALU_DEP_1)
	v_add_lshl_u32 v42, v8, v31, 2
	ds_bpermute_b32 v22, v42, v4
	ds_bpermute_b32 v8, v42, v6
	v_cmpx_le_u32_e64 v43, v3
	s_cbranch_execz .LBB1364_77
; %bb.76:
	s_wait_dscnt 0x1
	v_add_co_u32 v4, vcc_lo, v5, v22
	s_wait_alu 0xfffd
	v_add_co_ci_u32_e64 v6, null, 0, v6, vcc_lo
	s_delay_alu instid0(VALU_DEP_2) | instskip(SKIP_2) | instid1(VALU_DEP_2)
	v_add_co_u32 v5, vcc_lo, 0, v4
	s_wait_dscnt 0x0
	s_wait_alu 0xfffd
	v_add_co_ci_u32_e64 v6, null, v8, v6, vcc_lo
.LBB1364_77:
	s_wait_alu 0xfffe
	s_or_b32 exec_lo, exec_lo, s4
	v_cmp_gt_u32_e32 vcc_lo, 24, v31
	v_add_nc_u32_e32 v45, 8, v31
	s_mov_b32 s4, exec_lo
	s_wait_dscnt 0x0
	s_wait_alu 0xfffd
	v_cndmask_b32_e64 v8, 0, 8, vcc_lo
	s_delay_alu instid0(VALU_DEP_1)
	v_add_lshl_u32 v44, v8, v31, 2
	ds_bpermute_b32 v22, v44, v4
	ds_bpermute_b32 v8, v44, v6
	v_cmpx_le_u32_e64 v45, v3
	s_cbranch_execz .LBB1364_79
; %bb.78:
	s_wait_dscnt 0x1
	v_add_co_u32 v4, vcc_lo, v5, v22
	s_wait_alu 0xfffd
	v_add_co_ci_u32_e64 v6, null, 0, v6, vcc_lo
	s_delay_alu instid0(VALU_DEP_2) | instskip(SKIP_2) | instid1(VALU_DEP_2)
	v_add_co_u32 v5, vcc_lo, 0, v4
	s_wait_dscnt 0x0
	s_wait_alu 0xfffd
	v_add_co_ci_u32_e64 v6, null, v8, v6, vcc_lo
.LBB1364_79:
	s_wait_alu 0xfffe
	s_or_b32 exec_lo, exec_lo, s4
	v_lshl_or_b32 v46, v31, 2, 64
	v_add_nc_u32_e32 v47, 16, v31
	s_mov_b32 s4, exec_lo
	s_wait_dscnt 0x0
	ds_bpermute_b32 v8, v46, v4
	ds_bpermute_b32 v4, v46, v6
	v_cmpx_le_u32_e64 v47, v3
	s_cbranch_execz .LBB1364_81
; %bb.80:
	s_wait_dscnt 0x1
	v_add_co_u32 v3, vcc_lo, v5, v8
	s_wait_alu 0xfffd
	v_add_co_ci_u32_e64 v6, null, 0, v6, vcc_lo
	s_delay_alu instid0(VALU_DEP_2) | instskip(SKIP_2) | instid1(VALU_DEP_2)
	v_add_co_u32 v5, vcc_lo, v3, 0
	s_wait_dscnt 0x0
	s_wait_alu 0xfffd
	v_add_co_ci_u32_e64 v6, null, v6, v4, vcc_lo
.LBB1364_81:
	s_wait_alu 0xfffe
	s_or_b32 exec_lo, exec_lo, s4
	v_mov_b32_e32 v22, 0
	s_branch .LBB1364_84
.LBB1364_82:                            ;   in Loop: Header=BB1364_84 Depth=1
	s_wait_alu 0xfffe
	s_or_b32 exec_lo, exec_lo, s4
	v_add_co_u32 v5, vcc_lo, v5, v3
	v_subrev_nc_u32_e32 v21, 32, v21
	s_wait_alu 0xfffd
	v_add_co_ci_u32_e64 v6, null, v6, v4, vcc_lo
	s_mov_b32 s4, 0
.LBB1364_83:                            ;   in Loop: Header=BB1364_84 Depth=1
	s_wait_alu 0xfffe
	s_and_b32 vcc_lo, exec_lo, s4
	s_wait_alu 0xfffe
	s_cbranch_vccnz .LBB1364_100
.LBB1364_84:                            ; =>This Loop Header: Depth=1
                                        ;     Child Loop BB1364_87 Depth 2
	v_and_b32_e32 v3, 0xff, v7
	s_mov_b32 s4, -1
	s_delay_alu instid0(VALU_DEP_1)
	v_cmp_ne_u16_e32 vcc_lo, 2, v3
	s_wait_dscnt 0x0
	v_dual_mov_b32 v3, v5 :: v_dual_mov_b32 v4, v6
                                        ; implicit-def: $vgpr5_vgpr6
	s_cmp_lg_u32 vcc_lo, exec_lo
	s_cbranch_scc1 .LBB1364_83
; %bb.85:                               ;   in Loop: Header=BB1364_84 Depth=1
	v_lshlrev_b64_e32 v[5:6], 4, v[21:22]
	s_mov_b32 s4, exec_lo
	s_delay_alu instid0(VALU_DEP_1) | instskip(SKIP_1) | instid1(VALU_DEP_2)
	v_add_co_u32 v23, vcc_lo, s14, v5
	s_wait_alu 0xfffd
	v_add_co_ci_u32_e64 v24, null, s15, v6, vcc_lo
	;;#ASMSTART
	global_load_b128 v[5:8], v[23:24] off scope:SCOPE_DEV	
s_wait_loadcnt 0x0
	;;#ASMEND
	v_and_b32_e32 v8, 0xff, v7
	s_delay_alu instid0(VALU_DEP_1)
	v_cmpx_eq_u16_e32 0, v8
	s_cbranch_execz .LBB1364_89
; %bb.86:                               ;   in Loop: Header=BB1364_84 Depth=1
	s_mov_b32 s5, 0
.LBB1364_87:                            ;   Parent Loop BB1364_84 Depth=1
                                        ; =>  This Inner Loop Header: Depth=2
	;;#ASMSTART
	global_load_b128 v[5:8], v[23:24] off scope:SCOPE_DEV	
s_wait_loadcnt 0x0
	;;#ASMEND
	v_and_b32_e32 v8, 0xff, v7
	s_delay_alu instid0(VALU_DEP_1)
	v_cmp_ne_u16_e32 vcc_lo, 0, v8
	s_wait_alu 0xfffe
	s_or_b32 s5, vcc_lo, s5
	s_wait_alu 0xfffe
	s_and_not1_b32 exec_lo, exec_lo, s5
	s_cbranch_execnz .LBB1364_87
; %bb.88:                               ;   in Loop: Header=BB1364_84 Depth=1
	s_or_b32 exec_lo, exec_lo, s5
.LBB1364_89:                            ;   in Loop: Header=BB1364_84 Depth=1
	s_wait_alu 0xfffe
	s_or_b32 exec_lo, exec_lo, s4
	v_dual_mov_b32 v23, v5 :: v_dual_and_b32 v8, 0xff, v7
	ds_bpermute_b32 v48, v27, v5
	ds_bpermute_b32 v24, v27, v6
	s_mov_b32 s4, exec_lo
	v_cmp_eq_u16_e32 vcc_lo, 2, v8
	s_wait_alu 0xfffd
	v_and_or_b32 v8, vcc_lo, v28, 0x80000000
	s_delay_alu instid0(VALU_DEP_1) | instskip(NEXT) | instid1(VALU_DEP_1)
	v_ctz_i32_b32_e32 v8, v8
	v_cmpx_lt_u32_e64 v31, v8
	s_cbranch_execz .LBB1364_91
; %bb.90:                               ;   in Loop: Header=BB1364_84 Depth=1
	s_wait_dscnt 0x1
	v_add_co_u32 v23, vcc_lo, v5, v48
	s_wait_alu 0xfffd
	v_add_co_ci_u32_e64 v6, null, 0, v6, vcc_lo
	s_delay_alu instid0(VALU_DEP_2) | instskip(SKIP_2) | instid1(VALU_DEP_2)
	v_add_co_u32 v5, vcc_lo, 0, v23
	s_wait_dscnt 0x0
	s_wait_alu 0xfffd
	v_add_co_ci_u32_e64 v6, null, v24, v6, vcc_lo
.LBB1364_91:                            ;   in Loop: Header=BB1364_84 Depth=1
	s_wait_alu 0xfffe
	s_or_b32 exec_lo, exec_lo, s4
	s_wait_dscnt 0x1
	ds_bpermute_b32 v48, v29, v23
	s_wait_dscnt 0x1
	ds_bpermute_b32 v24, v29, v6
	s_mov_b32 s4, exec_lo
	v_cmpx_le_u32_e64 v30, v8
	s_cbranch_execz .LBB1364_93
; %bb.92:                               ;   in Loop: Header=BB1364_84 Depth=1
	s_wait_dscnt 0x1
	v_add_co_u32 v23, vcc_lo, v5, v48
	s_wait_alu 0xfffd
	v_add_co_ci_u32_e64 v6, null, 0, v6, vcc_lo
	s_delay_alu instid0(VALU_DEP_2) | instskip(SKIP_2) | instid1(VALU_DEP_2)
	v_add_co_u32 v5, vcc_lo, 0, v23
	s_wait_dscnt 0x0
	s_wait_alu 0xfffd
	v_add_co_ci_u32_e64 v6, null, v24, v6, vcc_lo
.LBB1364_93:                            ;   in Loop: Header=BB1364_84 Depth=1
	s_wait_alu 0xfffe
	s_or_b32 exec_lo, exec_lo, s4
	s_wait_dscnt 0x1
	ds_bpermute_b32 v48, v42, v23
	s_wait_dscnt 0x1
	ds_bpermute_b32 v24, v42, v6
	s_mov_b32 s4, exec_lo
	v_cmpx_le_u32_e64 v43, v8
	;; [unrolled: 20-line block ×3, first 2 shown]
	s_cbranch_execz .LBB1364_97
; %bb.96:                               ;   in Loop: Header=BB1364_84 Depth=1
	s_wait_dscnt 0x1
	v_add_co_u32 v23, vcc_lo, v5, v48
	s_wait_alu 0xfffd
	v_add_co_ci_u32_e64 v6, null, 0, v6, vcc_lo
	s_delay_alu instid0(VALU_DEP_2) | instskip(SKIP_2) | instid1(VALU_DEP_2)
	v_add_co_u32 v5, vcc_lo, 0, v23
	s_wait_dscnt 0x0
	s_wait_alu 0xfffd
	v_add_co_ci_u32_e64 v6, null, v24, v6, vcc_lo
.LBB1364_97:                            ;   in Loop: Header=BB1364_84 Depth=1
	s_wait_alu 0xfffe
	s_or_b32 exec_lo, exec_lo, s4
	s_wait_dscnt 0x0
	ds_bpermute_b32 v24, v46, v23
	ds_bpermute_b32 v23, v46, v6
	s_mov_b32 s4, exec_lo
	v_cmpx_le_u32_e64 v47, v8
	s_cbranch_execz .LBB1364_82
; %bb.98:                               ;   in Loop: Header=BB1364_84 Depth=1
	s_wait_dscnt 0x1
	v_add_co_u32 v5, vcc_lo, v5, v24
	s_wait_alu 0xfffd
	v_add_co_ci_u32_e64 v6, null, 0, v6, vcc_lo
	s_delay_alu instid0(VALU_DEP_2) | instskip(SKIP_2) | instid1(VALU_DEP_2)
	v_add_co_u32 v5, vcc_lo, v5, 0
	s_wait_dscnt 0x0
	s_wait_alu 0xfffd
	v_add_co_ci_u32_e64 v6, null, v6, v23, vcc_lo
	s_branch .LBB1364_82
.LBB1364_99:
                                        ; implicit-def: $vgpr19_vgpr20
                                        ; implicit-def: $vgpr6_vgpr7
                                        ; implicit-def: $vgpr21_vgpr22
                                        ; implicit-def: $vgpr23_vgpr24
                                        ; implicit-def: $vgpr25_vgpr26
                                        ; implicit-def: $vgpr27_vgpr28
                                        ; implicit-def: $vgpr29_vgpr30
                                        ; implicit-def: $vgpr4_vgpr5
	s_wait_alu 0xfffe
	s_and_b32 vcc_lo, exec_lo, s1
	s_wait_alu 0xfffe
	s_cbranch_vccnz .LBB1364_105
	s_branch .LBB1364_132
.LBB1364_100:
	s_and_saveexec_b32 s4, s1
	s_cbranch_execz .LBB1364_102
; %bb.101:
	s_add_co_i32 s6, s20, 32
	s_mov_b32 s7, 0
	v_add_co_u32 v5, vcc_lo, v3, v1
	s_wait_alu 0xfffe
	s_lshl_b64 s[6:7], s[6:7], 4
	v_dual_mov_b32 v7, 2 :: v_dual_mov_b32 v8, 0
	s_wait_alu 0xfffe
	s_add_nc_u64 s[6:7], s[14:15], s[6:7]
	s_wait_alu 0xfffd
	v_add_co_ci_u32_e64 v6, null, v4, v2, vcc_lo
	s_wait_alu 0xfffe
	v_dual_mov_b32 v22, s7 :: v_dual_mov_b32 v21, s6
	;;#ASMSTART
	global_store_b128 v[21:22], v[5:8] off scope:SCOPE_DEV	
s_wait_storecnt 0x0
	;;#ASMEND
	ds_store_b128 v8, v[1:4] offset:10752
.LBB1364_102:
	s_wait_alu 0xfffe
	s_or_b32 exec_lo, exec_lo, s4
	s_delay_alu instid0(SALU_CYCLE_1)
	s_and_b32 exec_lo, exec_lo, s2
; %bb.103:
	v_mov_b32_e32 v1, 0
	ds_store_b64 v1, v[3:4] offset:88
.LBB1364_104:
	s_wait_alu 0xfffe
	s_or_b32 exec_lo, exec_lo, s3
	v_mov_b32_e32 v3, 0
	s_wait_loadcnt_dscnt 0x0
	s_barrier_signal -1
	s_barrier_wait -1
	global_inv scope:SCOPE_SE
	ds_load_b64 v[1:2], v3 offset:88
	v_cndmask_b32_e64 v4, v25, v19, s1
	v_cndmask_b32_e64 v5, v26, v20, s1
	s_wait_loadcnt_dscnt 0x0
	s_barrier_signal -1
	s_barrier_wait -1
	v_cndmask_b32_e64 v4, v4, 0, s2
	v_cndmask_b32_e64 v5, v5, 0, s2
	global_inv scope:SCOPE_SE
	v_add_co_u32 v29, vcc_lo, v1, v4
	s_wait_alu 0xfffd
	v_add_co_ci_u32_e64 v30, null, v2, v5, vcc_lo
	ds_load_b128 v[2:5], v3 offset:10752
	v_add_co_u32 v27, vcc_lo, v29, v40
	s_wait_alu 0xfffd
	v_add_co_ci_u32_e64 v28, null, 0, v30, vcc_lo
	s_delay_alu instid0(VALU_DEP_2) | instskip(SKIP_1) | instid1(VALU_DEP_2)
	v_add_co_u32 v25, vcc_lo, v27, v39
	s_wait_alu 0xfffd
	v_add_co_ci_u32_e64 v26, null, 0, v28, vcc_lo
	s_delay_alu instid0(VALU_DEP_2) | instskip(SKIP_1) | instid1(VALU_DEP_2)
	;; [unrolled: 4-line block ×5, first 2 shown]
	v_add_co_u32 v19, vcc_lo, v6, v35
	s_wait_alu 0xfffd
	v_add_co_ci_u32_e64 v20, null, 0, v7, vcc_lo
	s_branch .LBB1364_132
.LBB1364_105:
	s_wait_dscnt 0x0
	v_dual_mov_b32 v2, 0 :: v_dual_mov_b32 v3, v17
	v_mov_b32_dpp v4, v17 row_shr:1 row_mask:0xf bank_mask:0xf
	s_delay_alu instid0(VALU_DEP_2)
	v_mov_b32_dpp v1, v2 row_shr:1 row_mask:0xf bank_mask:0xf
	s_and_saveexec_b32 s1, s0
; %bb.106:
	s_delay_alu instid0(VALU_DEP_2) | instskip(SKIP_2) | instid1(VALU_DEP_2)
	v_add_co_u32 v3, vcc_lo, v17, v4
	s_wait_alu 0xfffd
	v_add_co_ci_u32_e64 v2, null, 0, v18, vcc_lo
	v_add_co_u32 v17, vcc_lo, 0, v3
	s_wait_alu 0xfffd
	s_delay_alu instid0(VALU_DEP_2) | instskip(NEXT) | instid1(VALU_DEP_1)
	v_add_co_ci_u32_e64 v18, null, v1, v2, vcc_lo
	v_mov_b32_e32 v2, v18
; %bb.107:
	s_wait_alu 0xfffe
	s_or_b32 exec_lo, exec_lo, s1
	v_mov_b32_dpp v1, v3 row_shr:2 row_mask:0xf bank_mask:0xf
	s_delay_alu instid0(VALU_DEP_2)
	v_mov_b32_dpp v4, v2 row_shr:2 row_mask:0xf bank_mask:0xf
	v_cmp_lt_u32_e32 vcc_lo, 1, v41
	s_and_saveexec_b32 s3, vcc_lo
; %bb.108:
	s_delay_alu instid0(VALU_DEP_3) | instskip(SKIP_2) | instid1(VALU_DEP_2)
	v_add_co_u32 v3, s1, v17, v1
	s_wait_alu 0xf1ff
	v_add_co_ci_u32_e64 v2, null, 0, v18, s1
	v_add_co_u32 v1, s1, 0, v3
	s_wait_alu 0xf1ff
	s_delay_alu instid0(VALU_DEP_2) | instskip(NEXT) | instid1(VALU_DEP_1)
	v_add_co_ci_u32_e64 v2, null, v4, v2, s1
	v_dual_mov_b32 v18, v2 :: v_dual_mov_b32 v17, v1
; %bb.109:
	s_wait_alu 0xfffe
	s_or_b32 exec_lo, exec_lo, s3
	v_mov_b32_dpp v1, v3 row_shr:4 row_mask:0xf bank_mask:0xf
	v_mov_b32_dpp v4, v2 row_shr:4 row_mask:0xf bank_mask:0xf
	v_cmp_lt_u32_e64 s1, 3, v41
	s_and_saveexec_b32 s4, s1
; %bb.110:
	v_add_co_u32 v3, s3, v17, v1
	s_wait_alu 0xf1ff
	v_add_co_ci_u32_e64 v2, null, 0, v18, s3
	s_delay_alu instid0(VALU_DEP_2) | instskip(SKIP_1) | instid1(VALU_DEP_2)
	v_add_co_u32 v1, s3, 0, v3
	s_wait_alu 0xf1ff
	v_add_co_ci_u32_e64 v2, null, v4, v2, s3
	s_delay_alu instid0(VALU_DEP_1)
	v_dual_mov_b32 v18, v2 :: v_dual_mov_b32 v17, v1
; %bb.111:
	s_wait_alu 0xfffe
	s_or_b32 exec_lo, exec_lo, s4
	v_mov_b32_dpp v4, v3 row_shr:8 row_mask:0xf bank_mask:0xf
	v_mov_b32_dpp v1, v2 row_shr:8 row_mask:0xf bank_mask:0xf
	v_cmp_lt_u32_e64 s3, 7, v41
	s_and_saveexec_b32 s5, s3
; %bb.112:
	v_add_co_u32 v3, s4, v17, v4
	s_wait_alu 0xf1ff
	v_add_co_ci_u32_e64 v2, null, 0, v18, s4
	s_delay_alu instid0(VALU_DEP_2) | instskip(SKIP_1) | instid1(VALU_DEP_2)
	v_add_co_u32 v17, s4, 0, v3
	s_wait_alu 0xf1ff
	v_add_co_ci_u32_e64 v18, null, v1, v2, s4
	s_delay_alu instid0(VALU_DEP_1)
	v_mov_b32_e32 v2, v18
; %bb.113:
	s_wait_alu 0xfffe
	s_or_b32 exec_lo, exec_lo, s5
	ds_swizzle_b32 v3, v3 offset:swizzle(BROADCAST,32,15)
	ds_swizzle_b32 v1, v2 offset:swizzle(BROADCAST,32,15)
	v_and_b32_e32 v2, 16, v31
	s_mov_b32 s5, exec_lo
	s_delay_alu instid0(VALU_DEP_1)
	v_cmpx_ne_u32_e32 0, v2
	s_cbranch_execz .LBB1364_115
; %bb.114:
	s_wait_dscnt 0x1
	v_add_co_u32 v2, s4, v17, v3
	s_wait_alu 0xf1ff
	v_add_co_ci_u32_e64 v3, null, 0, v18, s4
	s_delay_alu instid0(VALU_DEP_2) | instskip(SKIP_2) | instid1(VALU_DEP_2)
	v_add_co_u32 v17, s4, v2, 0
	s_wait_dscnt 0x0
	s_wait_alu 0xf1ff
	v_add_co_ci_u32_e64 v18, null, v3, v1, s4
.LBB1364_115:
	s_wait_alu 0xfffe
	s_or_b32 exec_lo, exec_lo, s5
	s_wait_dscnt 0x0
	v_and_b32_e32 v1, 0x1e0, v0
	v_lshrrev_b32_e32 v3, 5, v0
	s_mov_b32 s5, exec_lo
	s_delay_alu instid0(VALU_DEP_2) | instskip(NEXT) | instid1(VALU_DEP_1)
	v_min_u32_e32 v1, 0x160, v1
	v_or_b32_e32 v1, 31, v1
	s_delay_alu instid0(VALU_DEP_1)
	v_cmpx_eq_u32_e64 v0, v1
; %bb.116:
	v_lshlrev_b32_e32 v1, 3, v3
	ds_store_b64 v1, v[17:18]
; %bb.117:
	s_wait_alu 0xfffe
	s_or_b32 exec_lo, exec_lo, s5
	s_delay_alu instid0(SALU_CYCLE_1)
	s_mov_b32 s5, exec_lo
	s_wait_loadcnt_dscnt 0x0
	s_barrier_signal -1
	s_barrier_wait -1
	global_inv scope:SCOPE_SE
	v_cmpx_gt_u32_e32 12, v0
	s_cbranch_execz .LBB1364_127
; %bb.118:
	v_add_nc_u32_e32 v4, v32, v0
	ds_load_b64 v[1:2], v4
	s_wait_dscnt 0x0
	v_mov_b32_dpp v7, v1 row_shr:1 row_mask:0xf bank_mask:0xf
	v_mov_b32_dpp v6, v2 row_shr:1 row_mask:0xf bank_mask:0xf
	v_mov_b32_e32 v5, v1
	s_and_saveexec_b32 s4, s0
; %bb.119:
	s_delay_alu instid0(VALU_DEP_3) | instskip(SKIP_2) | instid1(VALU_DEP_2)
	v_add_co_u32 v5, s0, v1, v7
	s_wait_alu 0xf1ff
	v_add_co_ci_u32_e64 v2, null, 0, v2, s0
	v_add_co_u32 v1, s0, 0, v5
	s_wait_alu 0xf1ff
	s_delay_alu instid0(VALU_DEP_2)
	v_add_co_ci_u32_e64 v2, null, v6, v2, s0
; %bb.120:
	s_wait_alu 0xfffe
	s_or_b32 exec_lo, exec_lo, s4
	v_mov_b32_dpp v7, v5 row_shr:2 row_mask:0xf bank_mask:0xf
	s_delay_alu instid0(VALU_DEP_2)
	v_mov_b32_dpp v6, v2 row_shr:2 row_mask:0xf bank_mask:0xf
	s_and_saveexec_b32 s0, vcc_lo
; %bb.121:
	s_delay_alu instid0(VALU_DEP_2) | instskip(SKIP_2) | instid1(VALU_DEP_2)
	v_add_co_u32 v5, vcc_lo, v1, v7
	s_wait_alu 0xfffd
	v_add_co_ci_u32_e64 v2, null, 0, v2, vcc_lo
	v_add_co_u32 v1, vcc_lo, 0, v5
	s_wait_alu 0xfffd
	s_delay_alu instid0(VALU_DEP_2)
	v_add_co_ci_u32_e64 v2, null, v6, v2, vcc_lo
; %bb.122:
	s_wait_alu 0xfffe
	s_or_b32 exec_lo, exec_lo, s0
	v_mov_b32_dpp v7, v5 row_shr:4 row_mask:0xf bank_mask:0xf
	s_delay_alu instid0(VALU_DEP_2)
	v_mov_b32_dpp v6, v2 row_shr:4 row_mask:0xf bank_mask:0xf
	s_and_saveexec_b32 s0, s1
; %bb.123:
	s_delay_alu instid0(VALU_DEP_2) | instskip(SKIP_2) | instid1(VALU_DEP_2)
	v_add_co_u32 v5, vcc_lo, v1, v7
	s_wait_alu 0xfffd
	v_add_co_ci_u32_e64 v2, null, 0, v2, vcc_lo
	v_add_co_u32 v1, vcc_lo, 0, v5
	s_wait_alu 0xfffd
	s_delay_alu instid0(VALU_DEP_2)
	v_add_co_ci_u32_e64 v2, null, v6, v2, vcc_lo
; %bb.124:
	s_wait_alu 0xfffe
	s_or_b32 exec_lo, exec_lo, s0
	v_mov_b32_dpp v6, v5 row_shr:8 row_mask:0xf bank_mask:0xf
	s_delay_alu instid0(VALU_DEP_2)
	v_mov_b32_dpp v5, v2 row_shr:8 row_mask:0xf bank_mask:0xf
	s_and_saveexec_b32 s0, s3
; %bb.125:
	s_delay_alu instid0(VALU_DEP_2) | instskip(SKIP_2) | instid1(VALU_DEP_2)
	v_add_co_u32 v1, vcc_lo, v1, v6
	s_wait_alu 0xfffd
	v_add_co_ci_u32_e64 v2, null, 0, v2, vcc_lo
	v_add_co_u32 v1, vcc_lo, v1, 0
	s_wait_alu 0xfffd
	s_delay_alu instid0(VALU_DEP_2)
	v_add_co_ci_u32_e64 v2, null, v2, v5, vcc_lo
; %bb.126:
	s_wait_alu 0xfffe
	s_or_b32 exec_lo, exec_lo, s0
	ds_store_b64 v4, v[1:2]
.LBB1364_127:
	s_wait_alu 0xfffe
	s_or_b32 exec_lo, exec_lo, s5
	v_mov_b32_e32 v6, 0
	v_mov_b32_e32 v7, 0
	s_mov_b32 s0, exec_lo
	s_wait_loadcnt_dscnt 0x0
	s_barrier_signal -1
	s_barrier_wait -1
	global_inv scope:SCOPE_SE
	v_cmpx_lt_u32_e32 31, v0
; %bb.128:
	v_lshl_add_u32 v1, v3, 3, -8
	ds_load_b64 v[6:7], v1
; %bb.129:
	s_wait_alu 0xfffe
	s_or_b32 exec_lo, exec_lo, s0
	v_sub_co_u32 v1, vcc_lo, v31, 1
	v_mov_b32_e32 v5, 0
	s_delay_alu instid0(VALU_DEP_2) | instskip(SKIP_1) | instid1(VALU_DEP_1)
	v_cmp_gt_i32_e64 s0, 0, v1
	s_wait_alu 0xf1ff
	v_cndmask_b32_e64 v1, v1, v31, s0
	s_delay_alu instid0(VALU_DEP_1)
	v_lshlrev_b32_e32 v2, 2, v1
	s_wait_dscnt 0x0
	v_add_co_u32 v1, s0, v6, v17
	s_wait_alu 0xf1ff
	v_add_co_ci_u32_e64 v3, null, v7, v18, s0
	ds_bpermute_b32 v1, v2, v1
	ds_bpermute_b32 v8, v2, v3
	ds_load_b64 v[2:3], v5 offset:88
	s_and_saveexec_b32 s0, s2
	s_cbranch_execz .LBB1364_131
; %bb.130:
	s_add_nc_u64 s[4:5], s[14:15], 0x200
	v_mov_b32_e32 v4, 2
	s_wait_alu 0xfffe
	v_dual_mov_b32 v18, s5 :: v_dual_mov_b32 v17, s4
	s_wait_dscnt 0x0
	;;#ASMSTART
	global_store_b128 v[17:18], v[2:5] off scope:SCOPE_DEV	
s_wait_storecnt 0x0
	;;#ASMEND
.LBB1364_131:
	s_wait_alu 0xfffe
	s_or_b32 exec_lo, exec_lo, s0
	s_wait_dscnt 0x1
	s_wait_alu 0xfffd
	v_dual_cndmask_b32 v1, v1, v6 :: v_dual_cndmask_b32 v4, v8, v7
	s_wait_loadcnt_dscnt 0x0
	s_barrier_signal -1
	s_barrier_wait -1
	s_delay_alu instid0(VALU_DEP_1)
	v_cndmask_b32_e64 v29, v1, 0, s2
	v_cndmask_b32_e64 v30, v4, 0, s2
	v_mov_b32_e32 v4, 0
	v_mov_b32_e32 v5, 0
	global_inv scope:SCOPE_SE
	v_add_co_u32 v27, vcc_lo, v29, v40
	s_wait_alu 0xfffd
	v_add_co_ci_u32_e64 v28, null, 0, v30, vcc_lo
	s_delay_alu instid0(VALU_DEP_2) | instskip(SKIP_1) | instid1(VALU_DEP_2)
	v_add_co_u32 v25, vcc_lo, v27, v39
	s_wait_alu 0xfffd
	v_add_co_ci_u32_e64 v26, null, 0, v28, vcc_lo
	s_delay_alu instid0(VALU_DEP_2) | instskip(SKIP_1) | instid1(VALU_DEP_2)
	;; [unrolled: 4-line block ×5, first 2 shown]
	v_add_co_u32 v19, vcc_lo, v6, v35
	s_wait_alu 0xfffd
	v_add_co_ci_u32_e64 v20, null, 0, v7, vcc_lo
.LBB1364_132:
	s_wait_dscnt 0x0
	v_cmp_gt_u64_e32 vcc_lo, 0x181, v[2:3]
	v_lshlrev_b64_e32 v[17:18], 2, v[9:10]
	v_cmp_eq_u32_e64 s0, 1, v40
	s_mov_b32 s1, -1
	s_cbranch_vccnz .LBB1364_136
; %bb.133:
	s_wait_alu 0xfffe
	s_and_b32 vcc_lo, exec_lo, s1
	s_wait_alu 0xfffe
	s_cbranch_vccnz .LBB1364_151
.LBB1364_134:
	s_and_b32 s0, s2, s18
	s_wait_alu 0xfffe
	s_and_saveexec_b32 s1, s0
	s_cbranch_execnz .LBB1364_168
.LBB1364_135:
	s_endpgm
.LBB1364_136:
	v_add_co_u32 v31, vcc_lo, v4, v2
	s_wait_alu 0xfffd
	v_add_co_ci_u32_e64 v32, null, v5, v3, vcc_lo
	v_add_co_u32 v1, s1, s12, v17
	s_wait_alu 0xf1fe
	v_add_co_ci_u32_e64 v8, null, s13, v18, s1
	s_delay_alu instid0(VALU_DEP_3)
	v_cmp_lt_u64_e32 vcc_lo, v[29:30], v[31:32]
	s_or_b32 s1, s19, vcc_lo
	s_wait_alu 0xfffe
	s_and_b32 s1, s1, s0
	s_wait_alu 0xfffe
	s_and_saveexec_b32 s0, s1
	s_cbranch_execz .LBB1364_138
; %bb.137:
	v_lshlrev_b64_e32 v[41:42], 2, v[29:30]
	s_delay_alu instid0(VALU_DEP_1) | instskip(SKIP_1) | instid1(VALU_DEP_2)
	v_add_co_u32 v41, vcc_lo, v1, v41
	s_wait_alu 0xfffd
	v_add_co_ci_u32_e64 v42, null, v8, v42, vcc_lo
	global_store_b32 v[41:42], v15, off
.LBB1364_138:
	s_wait_alu 0xfffe
	s_or_b32 exec_lo, exec_lo, s0
	v_cmp_lt_u64_e32 vcc_lo, v[27:28], v[31:32]
	v_cmp_eq_u32_e64 s0, 1, v39
	s_or_b32 s1, s19, vcc_lo
	s_wait_alu 0xfffe
	s_and_b32 s1, s1, s0
	s_wait_alu 0xfffe
	s_and_saveexec_b32 s0, s1
	s_cbranch_execz .LBB1364_140
; %bb.139:
	v_lshlrev_b64_e32 v[41:42], 2, v[27:28]
	s_delay_alu instid0(VALU_DEP_1) | instskip(SKIP_1) | instid1(VALU_DEP_2)
	v_add_co_u32 v41, vcc_lo, v1, v41
	s_wait_alu 0xfffd
	v_add_co_ci_u32_e64 v42, null, v8, v42, vcc_lo
	global_store_b32 v[41:42], v16, off
.LBB1364_140:
	s_wait_alu 0xfffe
	s_or_b32 exec_lo, exec_lo, s0
	v_cmp_lt_u64_e32 vcc_lo, v[25:26], v[31:32]
	v_cmp_eq_u32_e64 s0, 1, v37
	;; [unrolled: 18-line block ×6, first 2 shown]
	s_or_b32 s1, s19, vcc_lo
	s_wait_alu 0xfffe
	s_and_b32 s1, s1, s0
	s_wait_alu 0xfffe
	s_and_saveexec_b32 s0, s1
	s_cbranch_execz .LBB1364_150
; %bb.149:
	v_lshlrev_b64_e32 v[30:31], 2, v[19:20]
	s_delay_alu instid0(VALU_DEP_1) | instskip(SKIP_1) | instid1(VALU_DEP_2)
	v_add_co_u32 v7, vcc_lo, v1, v30
	s_wait_alu 0xfffd
	v_add_co_ci_u32_e64 v8, null, v8, v31, vcc_lo
	global_store_b32 v[7:8], v33, off
.LBB1364_150:
	s_wait_alu 0xfffe
	s_or_b32 exec_lo, exec_lo, s0
	s_branch .LBB1364_134
.LBB1364_151:
	s_mov_b32 s0, exec_lo
	v_cmpx_eq_u32_e32 1, v40
; %bb.152:
	v_sub_nc_u32_e32 v1, v29, v4
	s_delay_alu instid0(VALU_DEP_1)
	v_lshlrev_b32_e32 v1, 2, v1
	ds_store_b32 v1, v15
; %bb.153:
	s_wait_alu 0xfffe
	s_or_b32 exec_lo, exec_lo, s0
	s_delay_alu instid0(SALU_CYCLE_1)
	s_mov_b32 s0, exec_lo
	v_cmpx_eq_u32_e32 1, v39
; %bb.154:
	v_sub_nc_u32_e32 v1, v27, v4
	s_delay_alu instid0(VALU_DEP_1)
	v_lshlrev_b32_e32 v1, 2, v1
	ds_store_b32 v1, v16
; %bb.155:
	s_wait_alu 0xfffe
	s_or_b32 exec_lo, exec_lo, s0
	s_delay_alu instid0(SALU_CYCLE_1)
	;; [unrolled: 11-line block ×6, first 2 shown]
	s_mov_b32 s0, exec_lo
	v_cmpx_eq_u32_e32 1, v34
; %bb.164:
	v_sub_nc_u32_e32 v1, v19, v4
	s_delay_alu instid0(VALU_DEP_1)
	v_lshlrev_b32_e32 v1, 2, v1
	ds_store_b32 v1, v33
; %bb.165:
	s_wait_alu 0xfffe
	s_or_b32 exec_lo, exec_lo, s0
	v_lshlrev_b64_e32 v[6:7], 2, v[4:5]
	v_mov_b32_e32 v1, 0
	s_mov_b32 s1, 0
	s_wait_storecnt 0x0
	s_wait_loadcnt_dscnt 0x0
	s_barrier_signal -1
	s_barrier_wait -1
	v_add_co_u32 v8, vcc_lo, s12, v6
	s_wait_alu 0xfffd
	v_add_co_ci_u32_e64 v11, null, s13, v7, vcc_lo
	v_dual_mov_b32 v7, v1 :: v_dual_mov_b32 v6, v0
	s_delay_alu instid0(VALU_DEP_3) | instskip(SKIP_1) | instid1(VALU_DEP_3)
	v_add_co_u32 v8, vcc_lo, v8, v17
	s_wait_alu 0xfffd
	v_add_co_ci_u32_e64 v11, null, v11, v18, vcc_lo
	v_add_nc_u32_e32 v0, 0x180, v0
	global_inv scope:SCOPE_SE
.LBB1364_166:                           ; =>This Inner Loop Header: Depth=1
	v_lshlrev_b32_e32 v12, 2, v6
	v_cmp_le_u64_e32 vcc_lo, v[2:3], v[0:1]
	ds_load_b32 v14, v12
	v_lshlrev_b64_e32 v[12:13], 2, v[6:7]
	v_dual_mov_b32 v7, v1 :: v_dual_mov_b32 v6, v0
	v_add_nc_u32_e32 v0, 0x180, v0
	s_wait_alu 0xfffe
	s_or_b32 s1, vcc_lo, s1
	s_delay_alu instid0(VALU_DEP_3)
	v_add_co_u32 v12, s0, v8, v12
	s_wait_alu 0xf1ff
	v_add_co_ci_u32_e64 v13, null, v11, v13, s0
	s_wait_dscnt 0x0
	global_store_b32 v[12:13], v14, off
	s_wait_alu 0xfffe
	s_and_not1_b32 exec_lo, exec_lo, s1
	s_cbranch_execnz .LBB1364_166
; %bb.167:
	s_or_b32 exec_lo, exec_lo, s1
	s_and_b32 s0, s2, s18
	s_wait_alu 0xfffe
	s_and_saveexec_b32 s1, s0
	s_cbranch_execz .LBB1364_135
.LBB1364_168:
	v_add_co_u32 v0, vcc_lo, v4, v2
	s_wait_alu 0xfffd
	v_add_co_ci_u32_e64 v1, null, v5, v3, vcc_lo
	v_mov_b32_e32 v2, 0
	s_delay_alu instid0(VALU_DEP_3) | instskip(SKIP_1) | instid1(VALU_DEP_3)
	v_add_co_u32 v0, vcc_lo, v0, v9
	s_wait_alu 0xfffd
	v_add_co_ci_u32_e64 v1, null, v1, v10, vcc_lo
	global_store_b64 v2, v[0:1], s[8:9]
	s_endpgm
	.section	.rodata,"a",@progbits
	.p2align	6, 0x0
	.amdhsa_kernel _ZN7rocprim17ROCPRIM_400000_NS6detail17trampoline_kernelINS0_14default_configENS1_25partition_config_selectorILNS1_17partition_subalgoE5EfNS0_10empty_typeEbEEZZNS1_14partition_implILS5_5ELb0ES3_mN6thrust23THRUST_200600_302600_NS6detail15normal_iteratorINSA_10device_ptrIfEEEEPS6_NSA_18transform_iteratorINSB_9not_fun_tI7is_trueIfEEESF_NSA_11use_defaultESM_EENS0_5tupleIJSF_S6_EEENSO_IJSG_SG_EEES6_PlJS6_EEE10hipError_tPvRmT3_T4_T5_T6_T7_T9_mT8_P12ihipStream_tbDpT10_ENKUlT_T0_E_clISt17integral_constantIbLb0EES1A_IbLb1EEEEDaS16_S17_EUlS16_E_NS1_11comp_targetILNS1_3genE10ELNS1_11target_archE1200ELNS1_3gpuE4ELNS1_3repE0EEENS1_30default_config_static_selectorELNS0_4arch9wavefront6targetE0EEEvT1_
		.amdhsa_group_segment_fixed_size 10768
		.amdhsa_private_segment_fixed_size 0
		.amdhsa_kernarg_size 136
		.amdhsa_user_sgpr_count 2
		.amdhsa_user_sgpr_dispatch_ptr 0
		.amdhsa_user_sgpr_queue_ptr 0
		.amdhsa_user_sgpr_kernarg_segment_ptr 1
		.amdhsa_user_sgpr_dispatch_id 0
		.amdhsa_user_sgpr_private_segment_size 0
		.amdhsa_wavefront_size32 1
		.amdhsa_uses_dynamic_stack 0
		.amdhsa_enable_private_segment 0
		.amdhsa_system_sgpr_workgroup_id_x 1
		.amdhsa_system_sgpr_workgroup_id_y 0
		.amdhsa_system_sgpr_workgroup_id_z 0
		.amdhsa_system_sgpr_workgroup_info 0
		.amdhsa_system_vgpr_workitem_id 0
		.amdhsa_next_free_vgpr 49
		.amdhsa_next_free_sgpr 24
		.amdhsa_reserve_vcc 1
		.amdhsa_float_round_mode_32 0
		.amdhsa_float_round_mode_16_64 0
		.amdhsa_float_denorm_mode_32 3
		.amdhsa_float_denorm_mode_16_64 3
		.amdhsa_fp16_overflow 0
		.amdhsa_workgroup_processor_mode 1
		.amdhsa_memory_ordered 1
		.amdhsa_forward_progress 1
		.amdhsa_inst_pref_size 68
		.amdhsa_round_robin_scheduling 0
		.amdhsa_exception_fp_ieee_invalid_op 0
		.amdhsa_exception_fp_denorm_src 0
		.amdhsa_exception_fp_ieee_div_zero 0
		.amdhsa_exception_fp_ieee_overflow 0
		.amdhsa_exception_fp_ieee_underflow 0
		.amdhsa_exception_fp_ieee_inexact 0
		.amdhsa_exception_int_div_zero 0
	.end_amdhsa_kernel
	.section	.text._ZN7rocprim17ROCPRIM_400000_NS6detail17trampoline_kernelINS0_14default_configENS1_25partition_config_selectorILNS1_17partition_subalgoE5EfNS0_10empty_typeEbEEZZNS1_14partition_implILS5_5ELb0ES3_mN6thrust23THRUST_200600_302600_NS6detail15normal_iteratorINSA_10device_ptrIfEEEEPS6_NSA_18transform_iteratorINSB_9not_fun_tI7is_trueIfEEESF_NSA_11use_defaultESM_EENS0_5tupleIJSF_S6_EEENSO_IJSG_SG_EEES6_PlJS6_EEE10hipError_tPvRmT3_T4_T5_T6_T7_T9_mT8_P12ihipStream_tbDpT10_ENKUlT_T0_E_clISt17integral_constantIbLb0EES1A_IbLb1EEEEDaS16_S17_EUlS16_E_NS1_11comp_targetILNS1_3genE10ELNS1_11target_archE1200ELNS1_3gpuE4ELNS1_3repE0EEENS1_30default_config_static_selectorELNS0_4arch9wavefront6targetE0EEEvT1_,"axG",@progbits,_ZN7rocprim17ROCPRIM_400000_NS6detail17trampoline_kernelINS0_14default_configENS1_25partition_config_selectorILNS1_17partition_subalgoE5EfNS0_10empty_typeEbEEZZNS1_14partition_implILS5_5ELb0ES3_mN6thrust23THRUST_200600_302600_NS6detail15normal_iteratorINSA_10device_ptrIfEEEEPS6_NSA_18transform_iteratorINSB_9not_fun_tI7is_trueIfEEESF_NSA_11use_defaultESM_EENS0_5tupleIJSF_S6_EEENSO_IJSG_SG_EEES6_PlJS6_EEE10hipError_tPvRmT3_T4_T5_T6_T7_T9_mT8_P12ihipStream_tbDpT10_ENKUlT_T0_E_clISt17integral_constantIbLb0EES1A_IbLb1EEEEDaS16_S17_EUlS16_E_NS1_11comp_targetILNS1_3genE10ELNS1_11target_archE1200ELNS1_3gpuE4ELNS1_3repE0EEENS1_30default_config_static_selectorELNS0_4arch9wavefront6targetE0EEEvT1_,comdat
.Lfunc_end1364:
	.size	_ZN7rocprim17ROCPRIM_400000_NS6detail17trampoline_kernelINS0_14default_configENS1_25partition_config_selectorILNS1_17partition_subalgoE5EfNS0_10empty_typeEbEEZZNS1_14partition_implILS5_5ELb0ES3_mN6thrust23THRUST_200600_302600_NS6detail15normal_iteratorINSA_10device_ptrIfEEEEPS6_NSA_18transform_iteratorINSB_9not_fun_tI7is_trueIfEEESF_NSA_11use_defaultESM_EENS0_5tupleIJSF_S6_EEENSO_IJSG_SG_EEES6_PlJS6_EEE10hipError_tPvRmT3_T4_T5_T6_T7_T9_mT8_P12ihipStream_tbDpT10_ENKUlT_T0_E_clISt17integral_constantIbLb0EES1A_IbLb1EEEEDaS16_S17_EUlS16_E_NS1_11comp_targetILNS1_3genE10ELNS1_11target_archE1200ELNS1_3gpuE4ELNS1_3repE0EEENS1_30default_config_static_selectorELNS0_4arch9wavefront6targetE0EEEvT1_, .Lfunc_end1364-_ZN7rocprim17ROCPRIM_400000_NS6detail17trampoline_kernelINS0_14default_configENS1_25partition_config_selectorILNS1_17partition_subalgoE5EfNS0_10empty_typeEbEEZZNS1_14partition_implILS5_5ELb0ES3_mN6thrust23THRUST_200600_302600_NS6detail15normal_iteratorINSA_10device_ptrIfEEEEPS6_NSA_18transform_iteratorINSB_9not_fun_tI7is_trueIfEEESF_NSA_11use_defaultESM_EENS0_5tupleIJSF_S6_EEENSO_IJSG_SG_EEES6_PlJS6_EEE10hipError_tPvRmT3_T4_T5_T6_T7_T9_mT8_P12ihipStream_tbDpT10_ENKUlT_T0_E_clISt17integral_constantIbLb0EES1A_IbLb1EEEEDaS16_S17_EUlS16_E_NS1_11comp_targetILNS1_3genE10ELNS1_11target_archE1200ELNS1_3gpuE4ELNS1_3repE0EEENS1_30default_config_static_selectorELNS0_4arch9wavefront6targetE0EEEvT1_
                                        ; -- End function
	.set _ZN7rocprim17ROCPRIM_400000_NS6detail17trampoline_kernelINS0_14default_configENS1_25partition_config_selectorILNS1_17partition_subalgoE5EfNS0_10empty_typeEbEEZZNS1_14partition_implILS5_5ELb0ES3_mN6thrust23THRUST_200600_302600_NS6detail15normal_iteratorINSA_10device_ptrIfEEEEPS6_NSA_18transform_iteratorINSB_9not_fun_tI7is_trueIfEEESF_NSA_11use_defaultESM_EENS0_5tupleIJSF_S6_EEENSO_IJSG_SG_EEES6_PlJS6_EEE10hipError_tPvRmT3_T4_T5_T6_T7_T9_mT8_P12ihipStream_tbDpT10_ENKUlT_T0_E_clISt17integral_constantIbLb0EES1A_IbLb1EEEEDaS16_S17_EUlS16_E_NS1_11comp_targetILNS1_3genE10ELNS1_11target_archE1200ELNS1_3gpuE4ELNS1_3repE0EEENS1_30default_config_static_selectorELNS0_4arch9wavefront6targetE0EEEvT1_.num_vgpr, 49
	.set _ZN7rocprim17ROCPRIM_400000_NS6detail17trampoline_kernelINS0_14default_configENS1_25partition_config_selectorILNS1_17partition_subalgoE5EfNS0_10empty_typeEbEEZZNS1_14partition_implILS5_5ELb0ES3_mN6thrust23THRUST_200600_302600_NS6detail15normal_iteratorINSA_10device_ptrIfEEEEPS6_NSA_18transform_iteratorINSB_9not_fun_tI7is_trueIfEEESF_NSA_11use_defaultESM_EENS0_5tupleIJSF_S6_EEENSO_IJSG_SG_EEES6_PlJS6_EEE10hipError_tPvRmT3_T4_T5_T6_T7_T9_mT8_P12ihipStream_tbDpT10_ENKUlT_T0_E_clISt17integral_constantIbLb0EES1A_IbLb1EEEEDaS16_S17_EUlS16_E_NS1_11comp_targetILNS1_3genE10ELNS1_11target_archE1200ELNS1_3gpuE4ELNS1_3repE0EEENS1_30default_config_static_selectorELNS0_4arch9wavefront6targetE0EEEvT1_.num_agpr, 0
	.set _ZN7rocprim17ROCPRIM_400000_NS6detail17trampoline_kernelINS0_14default_configENS1_25partition_config_selectorILNS1_17partition_subalgoE5EfNS0_10empty_typeEbEEZZNS1_14partition_implILS5_5ELb0ES3_mN6thrust23THRUST_200600_302600_NS6detail15normal_iteratorINSA_10device_ptrIfEEEEPS6_NSA_18transform_iteratorINSB_9not_fun_tI7is_trueIfEEESF_NSA_11use_defaultESM_EENS0_5tupleIJSF_S6_EEENSO_IJSG_SG_EEES6_PlJS6_EEE10hipError_tPvRmT3_T4_T5_T6_T7_T9_mT8_P12ihipStream_tbDpT10_ENKUlT_T0_E_clISt17integral_constantIbLb0EES1A_IbLb1EEEEDaS16_S17_EUlS16_E_NS1_11comp_targetILNS1_3genE10ELNS1_11target_archE1200ELNS1_3gpuE4ELNS1_3repE0EEENS1_30default_config_static_selectorELNS0_4arch9wavefront6targetE0EEEvT1_.numbered_sgpr, 24
	.set _ZN7rocprim17ROCPRIM_400000_NS6detail17trampoline_kernelINS0_14default_configENS1_25partition_config_selectorILNS1_17partition_subalgoE5EfNS0_10empty_typeEbEEZZNS1_14partition_implILS5_5ELb0ES3_mN6thrust23THRUST_200600_302600_NS6detail15normal_iteratorINSA_10device_ptrIfEEEEPS6_NSA_18transform_iteratorINSB_9not_fun_tI7is_trueIfEEESF_NSA_11use_defaultESM_EENS0_5tupleIJSF_S6_EEENSO_IJSG_SG_EEES6_PlJS6_EEE10hipError_tPvRmT3_T4_T5_T6_T7_T9_mT8_P12ihipStream_tbDpT10_ENKUlT_T0_E_clISt17integral_constantIbLb0EES1A_IbLb1EEEEDaS16_S17_EUlS16_E_NS1_11comp_targetILNS1_3genE10ELNS1_11target_archE1200ELNS1_3gpuE4ELNS1_3repE0EEENS1_30default_config_static_selectorELNS0_4arch9wavefront6targetE0EEEvT1_.num_named_barrier, 0
	.set _ZN7rocprim17ROCPRIM_400000_NS6detail17trampoline_kernelINS0_14default_configENS1_25partition_config_selectorILNS1_17partition_subalgoE5EfNS0_10empty_typeEbEEZZNS1_14partition_implILS5_5ELb0ES3_mN6thrust23THRUST_200600_302600_NS6detail15normal_iteratorINSA_10device_ptrIfEEEEPS6_NSA_18transform_iteratorINSB_9not_fun_tI7is_trueIfEEESF_NSA_11use_defaultESM_EENS0_5tupleIJSF_S6_EEENSO_IJSG_SG_EEES6_PlJS6_EEE10hipError_tPvRmT3_T4_T5_T6_T7_T9_mT8_P12ihipStream_tbDpT10_ENKUlT_T0_E_clISt17integral_constantIbLb0EES1A_IbLb1EEEEDaS16_S17_EUlS16_E_NS1_11comp_targetILNS1_3genE10ELNS1_11target_archE1200ELNS1_3gpuE4ELNS1_3repE0EEENS1_30default_config_static_selectorELNS0_4arch9wavefront6targetE0EEEvT1_.private_seg_size, 0
	.set _ZN7rocprim17ROCPRIM_400000_NS6detail17trampoline_kernelINS0_14default_configENS1_25partition_config_selectorILNS1_17partition_subalgoE5EfNS0_10empty_typeEbEEZZNS1_14partition_implILS5_5ELb0ES3_mN6thrust23THRUST_200600_302600_NS6detail15normal_iteratorINSA_10device_ptrIfEEEEPS6_NSA_18transform_iteratorINSB_9not_fun_tI7is_trueIfEEESF_NSA_11use_defaultESM_EENS0_5tupleIJSF_S6_EEENSO_IJSG_SG_EEES6_PlJS6_EEE10hipError_tPvRmT3_T4_T5_T6_T7_T9_mT8_P12ihipStream_tbDpT10_ENKUlT_T0_E_clISt17integral_constantIbLb0EES1A_IbLb1EEEEDaS16_S17_EUlS16_E_NS1_11comp_targetILNS1_3genE10ELNS1_11target_archE1200ELNS1_3gpuE4ELNS1_3repE0EEENS1_30default_config_static_selectorELNS0_4arch9wavefront6targetE0EEEvT1_.uses_vcc, 1
	.set _ZN7rocprim17ROCPRIM_400000_NS6detail17trampoline_kernelINS0_14default_configENS1_25partition_config_selectorILNS1_17partition_subalgoE5EfNS0_10empty_typeEbEEZZNS1_14partition_implILS5_5ELb0ES3_mN6thrust23THRUST_200600_302600_NS6detail15normal_iteratorINSA_10device_ptrIfEEEEPS6_NSA_18transform_iteratorINSB_9not_fun_tI7is_trueIfEEESF_NSA_11use_defaultESM_EENS0_5tupleIJSF_S6_EEENSO_IJSG_SG_EEES6_PlJS6_EEE10hipError_tPvRmT3_T4_T5_T6_T7_T9_mT8_P12ihipStream_tbDpT10_ENKUlT_T0_E_clISt17integral_constantIbLb0EES1A_IbLb1EEEEDaS16_S17_EUlS16_E_NS1_11comp_targetILNS1_3genE10ELNS1_11target_archE1200ELNS1_3gpuE4ELNS1_3repE0EEENS1_30default_config_static_selectorELNS0_4arch9wavefront6targetE0EEEvT1_.uses_flat_scratch, 1
	.set _ZN7rocprim17ROCPRIM_400000_NS6detail17trampoline_kernelINS0_14default_configENS1_25partition_config_selectorILNS1_17partition_subalgoE5EfNS0_10empty_typeEbEEZZNS1_14partition_implILS5_5ELb0ES3_mN6thrust23THRUST_200600_302600_NS6detail15normal_iteratorINSA_10device_ptrIfEEEEPS6_NSA_18transform_iteratorINSB_9not_fun_tI7is_trueIfEEESF_NSA_11use_defaultESM_EENS0_5tupleIJSF_S6_EEENSO_IJSG_SG_EEES6_PlJS6_EEE10hipError_tPvRmT3_T4_T5_T6_T7_T9_mT8_P12ihipStream_tbDpT10_ENKUlT_T0_E_clISt17integral_constantIbLb0EES1A_IbLb1EEEEDaS16_S17_EUlS16_E_NS1_11comp_targetILNS1_3genE10ELNS1_11target_archE1200ELNS1_3gpuE4ELNS1_3repE0EEENS1_30default_config_static_selectorELNS0_4arch9wavefront6targetE0EEEvT1_.has_dyn_sized_stack, 0
	.set _ZN7rocprim17ROCPRIM_400000_NS6detail17trampoline_kernelINS0_14default_configENS1_25partition_config_selectorILNS1_17partition_subalgoE5EfNS0_10empty_typeEbEEZZNS1_14partition_implILS5_5ELb0ES3_mN6thrust23THRUST_200600_302600_NS6detail15normal_iteratorINSA_10device_ptrIfEEEEPS6_NSA_18transform_iteratorINSB_9not_fun_tI7is_trueIfEEESF_NSA_11use_defaultESM_EENS0_5tupleIJSF_S6_EEENSO_IJSG_SG_EEES6_PlJS6_EEE10hipError_tPvRmT3_T4_T5_T6_T7_T9_mT8_P12ihipStream_tbDpT10_ENKUlT_T0_E_clISt17integral_constantIbLb0EES1A_IbLb1EEEEDaS16_S17_EUlS16_E_NS1_11comp_targetILNS1_3genE10ELNS1_11target_archE1200ELNS1_3gpuE4ELNS1_3repE0EEENS1_30default_config_static_selectorELNS0_4arch9wavefront6targetE0EEEvT1_.has_recursion, 0
	.set _ZN7rocprim17ROCPRIM_400000_NS6detail17trampoline_kernelINS0_14default_configENS1_25partition_config_selectorILNS1_17partition_subalgoE5EfNS0_10empty_typeEbEEZZNS1_14partition_implILS5_5ELb0ES3_mN6thrust23THRUST_200600_302600_NS6detail15normal_iteratorINSA_10device_ptrIfEEEEPS6_NSA_18transform_iteratorINSB_9not_fun_tI7is_trueIfEEESF_NSA_11use_defaultESM_EENS0_5tupleIJSF_S6_EEENSO_IJSG_SG_EEES6_PlJS6_EEE10hipError_tPvRmT3_T4_T5_T6_T7_T9_mT8_P12ihipStream_tbDpT10_ENKUlT_T0_E_clISt17integral_constantIbLb0EES1A_IbLb1EEEEDaS16_S17_EUlS16_E_NS1_11comp_targetILNS1_3genE10ELNS1_11target_archE1200ELNS1_3gpuE4ELNS1_3repE0EEENS1_30default_config_static_selectorELNS0_4arch9wavefront6targetE0EEEvT1_.has_indirect_call, 0
	.section	.AMDGPU.csdata,"",@progbits
; Kernel info:
; codeLenInByte = 8604
; TotalNumSgprs: 26
; NumVgprs: 49
; ScratchSize: 0
; MemoryBound: 0
; FloatMode: 240
; IeeeMode: 1
; LDSByteSize: 10768 bytes/workgroup (compile time only)
; SGPRBlocks: 0
; VGPRBlocks: 6
; NumSGPRsForWavesPerEU: 26
; NumVGPRsForWavesPerEU: 49
; Occupancy: 15
; WaveLimiterHint : 1
; COMPUTE_PGM_RSRC2:SCRATCH_EN: 0
; COMPUTE_PGM_RSRC2:USER_SGPR: 2
; COMPUTE_PGM_RSRC2:TRAP_HANDLER: 0
; COMPUTE_PGM_RSRC2:TGID_X_EN: 1
; COMPUTE_PGM_RSRC2:TGID_Y_EN: 0
; COMPUTE_PGM_RSRC2:TGID_Z_EN: 0
; COMPUTE_PGM_RSRC2:TIDIG_COMP_CNT: 0
	.section	.text._ZN7rocprim17ROCPRIM_400000_NS6detail17trampoline_kernelINS0_14default_configENS1_25partition_config_selectorILNS1_17partition_subalgoE5EfNS0_10empty_typeEbEEZZNS1_14partition_implILS5_5ELb0ES3_mN6thrust23THRUST_200600_302600_NS6detail15normal_iteratorINSA_10device_ptrIfEEEEPS6_NSA_18transform_iteratorINSB_9not_fun_tI7is_trueIfEEESF_NSA_11use_defaultESM_EENS0_5tupleIJSF_S6_EEENSO_IJSG_SG_EEES6_PlJS6_EEE10hipError_tPvRmT3_T4_T5_T6_T7_T9_mT8_P12ihipStream_tbDpT10_ENKUlT_T0_E_clISt17integral_constantIbLb0EES1A_IbLb1EEEEDaS16_S17_EUlS16_E_NS1_11comp_targetILNS1_3genE9ELNS1_11target_archE1100ELNS1_3gpuE3ELNS1_3repE0EEENS1_30default_config_static_selectorELNS0_4arch9wavefront6targetE0EEEvT1_,"axG",@progbits,_ZN7rocprim17ROCPRIM_400000_NS6detail17trampoline_kernelINS0_14default_configENS1_25partition_config_selectorILNS1_17partition_subalgoE5EfNS0_10empty_typeEbEEZZNS1_14partition_implILS5_5ELb0ES3_mN6thrust23THRUST_200600_302600_NS6detail15normal_iteratorINSA_10device_ptrIfEEEEPS6_NSA_18transform_iteratorINSB_9not_fun_tI7is_trueIfEEESF_NSA_11use_defaultESM_EENS0_5tupleIJSF_S6_EEENSO_IJSG_SG_EEES6_PlJS6_EEE10hipError_tPvRmT3_T4_T5_T6_T7_T9_mT8_P12ihipStream_tbDpT10_ENKUlT_T0_E_clISt17integral_constantIbLb0EES1A_IbLb1EEEEDaS16_S17_EUlS16_E_NS1_11comp_targetILNS1_3genE9ELNS1_11target_archE1100ELNS1_3gpuE3ELNS1_3repE0EEENS1_30default_config_static_selectorELNS0_4arch9wavefront6targetE0EEEvT1_,comdat
	.protected	_ZN7rocprim17ROCPRIM_400000_NS6detail17trampoline_kernelINS0_14default_configENS1_25partition_config_selectorILNS1_17partition_subalgoE5EfNS0_10empty_typeEbEEZZNS1_14partition_implILS5_5ELb0ES3_mN6thrust23THRUST_200600_302600_NS6detail15normal_iteratorINSA_10device_ptrIfEEEEPS6_NSA_18transform_iteratorINSB_9not_fun_tI7is_trueIfEEESF_NSA_11use_defaultESM_EENS0_5tupleIJSF_S6_EEENSO_IJSG_SG_EEES6_PlJS6_EEE10hipError_tPvRmT3_T4_T5_T6_T7_T9_mT8_P12ihipStream_tbDpT10_ENKUlT_T0_E_clISt17integral_constantIbLb0EES1A_IbLb1EEEEDaS16_S17_EUlS16_E_NS1_11comp_targetILNS1_3genE9ELNS1_11target_archE1100ELNS1_3gpuE3ELNS1_3repE0EEENS1_30default_config_static_selectorELNS0_4arch9wavefront6targetE0EEEvT1_ ; -- Begin function _ZN7rocprim17ROCPRIM_400000_NS6detail17trampoline_kernelINS0_14default_configENS1_25partition_config_selectorILNS1_17partition_subalgoE5EfNS0_10empty_typeEbEEZZNS1_14partition_implILS5_5ELb0ES3_mN6thrust23THRUST_200600_302600_NS6detail15normal_iteratorINSA_10device_ptrIfEEEEPS6_NSA_18transform_iteratorINSB_9not_fun_tI7is_trueIfEEESF_NSA_11use_defaultESM_EENS0_5tupleIJSF_S6_EEENSO_IJSG_SG_EEES6_PlJS6_EEE10hipError_tPvRmT3_T4_T5_T6_T7_T9_mT8_P12ihipStream_tbDpT10_ENKUlT_T0_E_clISt17integral_constantIbLb0EES1A_IbLb1EEEEDaS16_S17_EUlS16_E_NS1_11comp_targetILNS1_3genE9ELNS1_11target_archE1100ELNS1_3gpuE3ELNS1_3repE0EEENS1_30default_config_static_selectorELNS0_4arch9wavefront6targetE0EEEvT1_
	.globl	_ZN7rocprim17ROCPRIM_400000_NS6detail17trampoline_kernelINS0_14default_configENS1_25partition_config_selectorILNS1_17partition_subalgoE5EfNS0_10empty_typeEbEEZZNS1_14partition_implILS5_5ELb0ES3_mN6thrust23THRUST_200600_302600_NS6detail15normal_iteratorINSA_10device_ptrIfEEEEPS6_NSA_18transform_iteratorINSB_9not_fun_tI7is_trueIfEEESF_NSA_11use_defaultESM_EENS0_5tupleIJSF_S6_EEENSO_IJSG_SG_EEES6_PlJS6_EEE10hipError_tPvRmT3_T4_T5_T6_T7_T9_mT8_P12ihipStream_tbDpT10_ENKUlT_T0_E_clISt17integral_constantIbLb0EES1A_IbLb1EEEEDaS16_S17_EUlS16_E_NS1_11comp_targetILNS1_3genE9ELNS1_11target_archE1100ELNS1_3gpuE3ELNS1_3repE0EEENS1_30default_config_static_selectorELNS0_4arch9wavefront6targetE0EEEvT1_
	.p2align	8
	.type	_ZN7rocprim17ROCPRIM_400000_NS6detail17trampoline_kernelINS0_14default_configENS1_25partition_config_selectorILNS1_17partition_subalgoE5EfNS0_10empty_typeEbEEZZNS1_14partition_implILS5_5ELb0ES3_mN6thrust23THRUST_200600_302600_NS6detail15normal_iteratorINSA_10device_ptrIfEEEEPS6_NSA_18transform_iteratorINSB_9not_fun_tI7is_trueIfEEESF_NSA_11use_defaultESM_EENS0_5tupleIJSF_S6_EEENSO_IJSG_SG_EEES6_PlJS6_EEE10hipError_tPvRmT3_T4_T5_T6_T7_T9_mT8_P12ihipStream_tbDpT10_ENKUlT_T0_E_clISt17integral_constantIbLb0EES1A_IbLb1EEEEDaS16_S17_EUlS16_E_NS1_11comp_targetILNS1_3genE9ELNS1_11target_archE1100ELNS1_3gpuE3ELNS1_3repE0EEENS1_30default_config_static_selectorELNS0_4arch9wavefront6targetE0EEEvT1_,@function
_ZN7rocprim17ROCPRIM_400000_NS6detail17trampoline_kernelINS0_14default_configENS1_25partition_config_selectorILNS1_17partition_subalgoE5EfNS0_10empty_typeEbEEZZNS1_14partition_implILS5_5ELb0ES3_mN6thrust23THRUST_200600_302600_NS6detail15normal_iteratorINSA_10device_ptrIfEEEEPS6_NSA_18transform_iteratorINSB_9not_fun_tI7is_trueIfEEESF_NSA_11use_defaultESM_EENS0_5tupleIJSF_S6_EEENSO_IJSG_SG_EEES6_PlJS6_EEE10hipError_tPvRmT3_T4_T5_T6_T7_T9_mT8_P12ihipStream_tbDpT10_ENKUlT_T0_E_clISt17integral_constantIbLb0EES1A_IbLb1EEEEDaS16_S17_EUlS16_E_NS1_11comp_targetILNS1_3genE9ELNS1_11target_archE1100ELNS1_3gpuE3ELNS1_3repE0EEENS1_30default_config_static_selectorELNS0_4arch9wavefront6targetE0EEEvT1_: ; @_ZN7rocprim17ROCPRIM_400000_NS6detail17trampoline_kernelINS0_14default_configENS1_25partition_config_selectorILNS1_17partition_subalgoE5EfNS0_10empty_typeEbEEZZNS1_14partition_implILS5_5ELb0ES3_mN6thrust23THRUST_200600_302600_NS6detail15normal_iteratorINSA_10device_ptrIfEEEEPS6_NSA_18transform_iteratorINSB_9not_fun_tI7is_trueIfEEESF_NSA_11use_defaultESM_EENS0_5tupleIJSF_S6_EEENSO_IJSG_SG_EEES6_PlJS6_EEE10hipError_tPvRmT3_T4_T5_T6_T7_T9_mT8_P12ihipStream_tbDpT10_ENKUlT_T0_E_clISt17integral_constantIbLb0EES1A_IbLb1EEEEDaS16_S17_EUlS16_E_NS1_11comp_targetILNS1_3genE9ELNS1_11target_archE1100ELNS1_3gpuE3ELNS1_3repE0EEENS1_30default_config_static_selectorELNS0_4arch9wavefront6targetE0EEEvT1_
; %bb.0:
	.section	.rodata,"a",@progbits
	.p2align	6, 0x0
	.amdhsa_kernel _ZN7rocprim17ROCPRIM_400000_NS6detail17trampoline_kernelINS0_14default_configENS1_25partition_config_selectorILNS1_17partition_subalgoE5EfNS0_10empty_typeEbEEZZNS1_14partition_implILS5_5ELb0ES3_mN6thrust23THRUST_200600_302600_NS6detail15normal_iteratorINSA_10device_ptrIfEEEEPS6_NSA_18transform_iteratorINSB_9not_fun_tI7is_trueIfEEESF_NSA_11use_defaultESM_EENS0_5tupleIJSF_S6_EEENSO_IJSG_SG_EEES6_PlJS6_EEE10hipError_tPvRmT3_T4_T5_T6_T7_T9_mT8_P12ihipStream_tbDpT10_ENKUlT_T0_E_clISt17integral_constantIbLb0EES1A_IbLb1EEEEDaS16_S17_EUlS16_E_NS1_11comp_targetILNS1_3genE9ELNS1_11target_archE1100ELNS1_3gpuE3ELNS1_3repE0EEENS1_30default_config_static_selectorELNS0_4arch9wavefront6targetE0EEEvT1_
		.amdhsa_group_segment_fixed_size 0
		.amdhsa_private_segment_fixed_size 0
		.amdhsa_kernarg_size 136
		.amdhsa_user_sgpr_count 2
		.amdhsa_user_sgpr_dispatch_ptr 0
		.amdhsa_user_sgpr_queue_ptr 0
		.amdhsa_user_sgpr_kernarg_segment_ptr 1
		.amdhsa_user_sgpr_dispatch_id 0
		.amdhsa_user_sgpr_private_segment_size 0
		.amdhsa_wavefront_size32 1
		.amdhsa_uses_dynamic_stack 0
		.amdhsa_enable_private_segment 0
		.amdhsa_system_sgpr_workgroup_id_x 1
		.amdhsa_system_sgpr_workgroup_id_y 0
		.amdhsa_system_sgpr_workgroup_id_z 0
		.amdhsa_system_sgpr_workgroup_info 0
		.amdhsa_system_vgpr_workitem_id 0
		.amdhsa_next_free_vgpr 1
		.amdhsa_next_free_sgpr 1
		.amdhsa_reserve_vcc 0
		.amdhsa_float_round_mode_32 0
		.amdhsa_float_round_mode_16_64 0
		.amdhsa_float_denorm_mode_32 3
		.amdhsa_float_denorm_mode_16_64 3
		.amdhsa_fp16_overflow 0
		.amdhsa_workgroup_processor_mode 1
		.amdhsa_memory_ordered 1
		.amdhsa_forward_progress 1
		.amdhsa_inst_pref_size 0
		.amdhsa_round_robin_scheduling 0
		.amdhsa_exception_fp_ieee_invalid_op 0
		.amdhsa_exception_fp_denorm_src 0
		.amdhsa_exception_fp_ieee_div_zero 0
		.amdhsa_exception_fp_ieee_overflow 0
		.amdhsa_exception_fp_ieee_underflow 0
		.amdhsa_exception_fp_ieee_inexact 0
		.amdhsa_exception_int_div_zero 0
	.end_amdhsa_kernel
	.section	.text._ZN7rocprim17ROCPRIM_400000_NS6detail17trampoline_kernelINS0_14default_configENS1_25partition_config_selectorILNS1_17partition_subalgoE5EfNS0_10empty_typeEbEEZZNS1_14partition_implILS5_5ELb0ES3_mN6thrust23THRUST_200600_302600_NS6detail15normal_iteratorINSA_10device_ptrIfEEEEPS6_NSA_18transform_iteratorINSB_9not_fun_tI7is_trueIfEEESF_NSA_11use_defaultESM_EENS0_5tupleIJSF_S6_EEENSO_IJSG_SG_EEES6_PlJS6_EEE10hipError_tPvRmT3_T4_T5_T6_T7_T9_mT8_P12ihipStream_tbDpT10_ENKUlT_T0_E_clISt17integral_constantIbLb0EES1A_IbLb1EEEEDaS16_S17_EUlS16_E_NS1_11comp_targetILNS1_3genE9ELNS1_11target_archE1100ELNS1_3gpuE3ELNS1_3repE0EEENS1_30default_config_static_selectorELNS0_4arch9wavefront6targetE0EEEvT1_,"axG",@progbits,_ZN7rocprim17ROCPRIM_400000_NS6detail17trampoline_kernelINS0_14default_configENS1_25partition_config_selectorILNS1_17partition_subalgoE5EfNS0_10empty_typeEbEEZZNS1_14partition_implILS5_5ELb0ES3_mN6thrust23THRUST_200600_302600_NS6detail15normal_iteratorINSA_10device_ptrIfEEEEPS6_NSA_18transform_iteratorINSB_9not_fun_tI7is_trueIfEEESF_NSA_11use_defaultESM_EENS0_5tupleIJSF_S6_EEENSO_IJSG_SG_EEES6_PlJS6_EEE10hipError_tPvRmT3_T4_T5_T6_T7_T9_mT8_P12ihipStream_tbDpT10_ENKUlT_T0_E_clISt17integral_constantIbLb0EES1A_IbLb1EEEEDaS16_S17_EUlS16_E_NS1_11comp_targetILNS1_3genE9ELNS1_11target_archE1100ELNS1_3gpuE3ELNS1_3repE0EEENS1_30default_config_static_selectorELNS0_4arch9wavefront6targetE0EEEvT1_,comdat
.Lfunc_end1365:
	.size	_ZN7rocprim17ROCPRIM_400000_NS6detail17trampoline_kernelINS0_14default_configENS1_25partition_config_selectorILNS1_17partition_subalgoE5EfNS0_10empty_typeEbEEZZNS1_14partition_implILS5_5ELb0ES3_mN6thrust23THRUST_200600_302600_NS6detail15normal_iteratorINSA_10device_ptrIfEEEEPS6_NSA_18transform_iteratorINSB_9not_fun_tI7is_trueIfEEESF_NSA_11use_defaultESM_EENS0_5tupleIJSF_S6_EEENSO_IJSG_SG_EEES6_PlJS6_EEE10hipError_tPvRmT3_T4_T5_T6_T7_T9_mT8_P12ihipStream_tbDpT10_ENKUlT_T0_E_clISt17integral_constantIbLb0EES1A_IbLb1EEEEDaS16_S17_EUlS16_E_NS1_11comp_targetILNS1_3genE9ELNS1_11target_archE1100ELNS1_3gpuE3ELNS1_3repE0EEENS1_30default_config_static_selectorELNS0_4arch9wavefront6targetE0EEEvT1_, .Lfunc_end1365-_ZN7rocprim17ROCPRIM_400000_NS6detail17trampoline_kernelINS0_14default_configENS1_25partition_config_selectorILNS1_17partition_subalgoE5EfNS0_10empty_typeEbEEZZNS1_14partition_implILS5_5ELb0ES3_mN6thrust23THRUST_200600_302600_NS6detail15normal_iteratorINSA_10device_ptrIfEEEEPS6_NSA_18transform_iteratorINSB_9not_fun_tI7is_trueIfEEESF_NSA_11use_defaultESM_EENS0_5tupleIJSF_S6_EEENSO_IJSG_SG_EEES6_PlJS6_EEE10hipError_tPvRmT3_T4_T5_T6_T7_T9_mT8_P12ihipStream_tbDpT10_ENKUlT_T0_E_clISt17integral_constantIbLb0EES1A_IbLb1EEEEDaS16_S17_EUlS16_E_NS1_11comp_targetILNS1_3genE9ELNS1_11target_archE1100ELNS1_3gpuE3ELNS1_3repE0EEENS1_30default_config_static_selectorELNS0_4arch9wavefront6targetE0EEEvT1_
                                        ; -- End function
	.set _ZN7rocprim17ROCPRIM_400000_NS6detail17trampoline_kernelINS0_14default_configENS1_25partition_config_selectorILNS1_17partition_subalgoE5EfNS0_10empty_typeEbEEZZNS1_14partition_implILS5_5ELb0ES3_mN6thrust23THRUST_200600_302600_NS6detail15normal_iteratorINSA_10device_ptrIfEEEEPS6_NSA_18transform_iteratorINSB_9not_fun_tI7is_trueIfEEESF_NSA_11use_defaultESM_EENS0_5tupleIJSF_S6_EEENSO_IJSG_SG_EEES6_PlJS6_EEE10hipError_tPvRmT3_T4_T5_T6_T7_T9_mT8_P12ihipStream_tbDpT10_ENKUlT_T0_E_clISt17integral_constantIbLb0EES1A_IbLb1EEEEDaS16_S17_EUlS16_E_NS1_11comp_targetILNS1_3genE9ELNS1_11target_archE1100ELNS1_3gpuE3ELNS1_3repE0EEENS1_30default_config_static_selectorELNS0_4arch9wavefront6targetE0EEEvT1_.num_vgpr, 0
	.set _ZN7rocprim17ROCPRIM_400000_NS6detail17trampoline_kernelINS0_14default_configENS1_25partition_config_selectorILNS1_17partition_subalgoE5EfNS0_10empty_typeEbEEZZNS1_14partition_implILS5_5ELb0ES3_mN6thrust23THRUST_200600_302600_NS6detail15normal_iteratorINSA_10device_ptrIfEEEEPS6_NSA_18transform_iteratorINSB_9not_fun_tI7is_trueIfEEESF_NSA_11use_defaultESM_EENS0_5tupleIJSF_S6_EEENSO_IJSG_SG_EEES6_PlJS6_EEE10hipError_tPvRmT3_T4_T5_T6_T7_T9_mT8_P12ihipStream_tbDpT10_ENKUlT_T0_E_clISt17integral_constantIbLb0EES1A_IbLb1EEEEDaS16_S17_EUlS16_E_NS1_11comp_targetILNS1_3genE9ELNS1_11target_archE1100ELNS1_3gpuE3ELNS1_3repE0EEENS1_30default_config_static_selectorELNS0_4arch9wavefront6targetE0EEEvT1_.num_agpr, 0
	.set _ZN7rocprim17ROCPRIM_400000_NS6detail17trampoline_kernelINS0_14default_configENS1_25partition_config_selectorILNS1_17partition_subalgoE5EfNS0_10empty_typeEbEEZZNS1_14partition_implILS5_5ELb0ES3_mN6thrust23THRUST_200600_302600_NS6detail15normal_iteratorINSA_10device_ptrIfEEEEPS6_NSA_18transform_iteratorINSB_9not_fun_tI7is_trueIfEEESF_NSA_11use_defaultESM_EENS0_5tupleIJSF_S6_EEENSO_IJSG_SG_EEES6_PlJS6_EEE10hipError_tPvRmT3_T4_T5_T6_T7_T9_mT8_P12ihipStream_tbDpT10_ENKUlT_T0_E_clISt17integral_constantIbLb0EES1A_IbLb1EEEEDaS16_S17_EUlS16_E_NS1_11comp_targetILNS1_3genE9ELNS1_11target_archE1100ELNS1_3gpuE3ELNS1_3repE0EEENS1_30default_config_static_selectorELNS0_4arch9wavefront6targetE0EEEvT1_.numbered_sgpr, 0
	.set _ZN7rocprim17ROCPRIM_400000_NS6detail17trampoline_kernelINS0_14default_configENS1_25partition_config_selectorILNS1_17partition_subalgoE5EfNS0_10empty_typeEbEEZZNS1_14partition_implILS5_5ELb0ES3_mN6thrust23THRUST_200600_302600_NS6detail15normal_iteratorINSA_10device_ptrIfEEEEPS6_NSA_18transform_iteratorINSB_9not_fun_tI7is_trueIfEEESF_NSA_11use_defaultESM_EENS0_5tupleIJSF_S6_EEENSO_IJSG_SG_EEES6_PlJS6_EEE10hipError_tPvRmT3_T4_T5_T6_T7_T9_mT8_P12ihipStream_tbDpT10_ENKUlT_T0_E_clISt17integral_constantIbLb0EES1A_IbLb1EEEEDaS16_S17_EUlS16_E_NS1_11comp_targetILNS1_3genE9ELNS1_11target_archE1100ELNS1_3gpuE3ELNS1_3repE0EEENS1_30default_config_static_selectorELNS0_4arch9wavefront6targetE0EEEvT1_.num_named_barrier, 0
	.set _ZN7rocprim17ROCPRIM_400000_NS6detail17trampoline_kernelINS0_14default_configENS1_25partition_config_selectorILNS1_17partition_subalgoE5EfNS0_10empty_typeEbEEZZNS1_14partition_implILS5_5ELb0ES3_mN6thrust23THRUST_200600_302600_NS6detail15normal_iteratorINSA_10device_ptrIfEEEEPS6_NSA_18transform_iteratorINSB_9not_fun_tI7is_trueIfEEESF_NSA_11use_defaultESM_EENS0_5tupleIJSF_S6_EEENSO_IJSG_SG_EEES6_PlJS6_EEE10hipError_tPvRmT3_T4_T5_T6_T7_T9_mT8_P12ihipStream_tbDpT10_ENKUlT_T0_E_clISt17integral_constantIbLb0EES1A_IbLb1EEEEDaS16_S17_EUlS16_E_NS1_11comp_targetILNS1_3genE9ELNS1_11target_archE1100ELNS1_3gpuE3ELNS1_3repE0EEENS1_30default_config_static_selectorELNS0_4arch9wavefront6targetE0EEEvT1_.private_seg_size, 0
	.set _ZN7rocprim17ROCPRIM_400000_NS6detail17trampoline_kernelINS0_14default_configENS1_25partition_config_selectorILNS1_17partition_subalgoE5EfNS0_10empty_typeEbEEZZNS1_14partition_implILS5_5ELb0ES3_mN6thrust23THRUST_200600_302600_NS6detail15normal_iteratorINSA_10device_ptrIfEEEEPS6_NSA_18transform_iteratorINSB_9not_fun_tI7is_trueIfEEESF_NSA_11use_defaultESM_EENS0_5tupleIJSF_S6_EEENSO_IJSG_SG_EEES6_PlJS6_EEE10hipError_tPvRmT3_T4_T5_T6_T7_T9_mT8_P12ihipStream_tbDpT10_ENKUlT_T0_E_clISt17integral_constantIbLb0EES1A_IbLb1EEEEDaS16_S17_EUlS16_E_NS1_11comp_targetILNS1_3genE9ELNS1_11target_archE1100ELNS1_3gpuE3ELNS1_3repE0EEENS1_30default_config_static_selectorELNS0_4arch9wavefront6targetE0EEEvT1_.uses_vcc, 0
	.set _ZN7rocprim17ROCPRIM_400000_NS6detail17trampoline_kernelINS0_14default_configENS1_25partition_config_selectorILNS1_17partition_subalgoE5EfNS0_10empty_typeEbEEZZNS1_14partition_implILS5_5ELb0ES3_mN6thrust23THRUST_200600_302600_NS6detail15normal_iteratorINSA_10device_ptrIfEEEEPS6_NSA_18transform_iteratorINSB_9not_fun_tI7is_trueIfEEESF_NSA_11use_defaultESM_EENS0_5tupleIJSF_S6_EEENSO_IJSG_SG_EEES6_PlJS6_EEE10hipError_tPvRmT3_T4_T5_T6_T7_T9_mT8_P12ihipStream_tbDpT10_ENKUlT_T0_E_clISt17integral_constantIbLb0EES1A_IbLb1EEEEDaS16_S17_EUlS16_E_NS1_11comp_targetILNS1_3genE9ELNS1_11target_archE1100ELNS1_3gpuE3ELNS1_3repE0EEENS1_30default_config_static_selectorELNS0_4arch9wavefront6targetE0EEEvT1_.uses_flat_scratch, 0
	.set _ZN7rocprim17ROCPRIM_400000_NS6detail17trampoline_kernelINS0_14default_configENS1_25partition_config_selectorILNS1_17partition_subalgoE5EfNS0_10empty_typeEbEEZZNS1_14partition_implILS5_5ELb0ES3_mN6thrust23THRUST_200600_302600_NS6detail15normal_iteratorINSA_10device_ptrIfEEEEPS6_NSA_18transform_iteratorINSB_9not_fun_tI7is_trueIfEEESF_NSA_11use_defaultESM_EENS0_5tupleIJSF_S6_EEENSO_IJSG_SG_EEES6_PlJS6_EEE10hipError_tPvRmT3_T4_T5_T6_T7_T9_mT8_P12ihipStream_tbDpT10_ENKUlT_T0_E_clISt17integral_constantIbLb0EES1A_IbLb1EEEEDaS16_S17_EUlS16_E_NS1_11comp_targetILNS1_3genE9ELNS1_11target_archE1100ELNS1_3gpuE3ELNS1_3repE0EEENS1_30default_config_static_selectorELNS0_4arch9wavefront6targetE0EEEvT1_.has_dyn_sized_stack, 0
	.set _ZN7rocprim17ROCPRIM_400000_NS6detail17trampoline_kernelINS0_14default_configENS1_25partition_config_selectorILNS1_17partition_subalgoE5EfNS0_10empty_typeEbEEZZNS1_14partition_implILS5_5ELb0ES3_mN6thrust23THRUST_200600_302600_NS6detail15normal_iteratorINSA_10device_ptrIfEEEEPS6_NSA_18transform_iteratorINSB_9not_fun_tI7is_trueIfEEESF_NSA_11use_defaultESM_EENS0_5tupleIJSF_S6_EEENSO_IJSG_SG_EEES6_PlJS6_EEE10hipError_tPvRmT3_T4_T5_T6_T7_T9_mT8_P12ihipStream_tbDpT10_ENKUlT_T0_E_clISt17integral_constantIbLb0EES1A_IbLb1EEEEDaS16_S17_EUlS16_E_NS1_11comp_targetILNS1_3genE9ELNS1_11target_archE1100ELNS1_3gpuE3ELNS1_3repE0EEENS1_30default_config_static_selectorELNS0_4arch9wavefront6targetE0EEEvT1_.has_recursion, 0
	.set _ZN7rocprim17ROCPRIM_400000_NS6detail17trampoline_kernelINS0_14default_configENS1_25partition_config_selectorILNS1_17partition_subalgoE5EfNS0_10empty_typeEbEEZZNS1_14partition_implILS5_5ELb0ES3_mN6thrust23THRUST_200600_302600_NS6detail15normal_iteratorINSA_10device_ptrIfEEEEPS6_NSA_18transform_iteratorINSB_9not_fun_tI7is_trueIfEEESF_NSA_11use_defaultESM_EENS0_5tupleIJSF_S6_EEENSO_IJSG_SG_EEES6_PlJS6_EEE10hipError_tPvRmT3_T4_T5_T6_T7_T9_mT8_P12ihipStream_tbDpT10_ENKUlT_T0_E_clISt17integral_constantIbLb0EES1A_IbLb1EEEEDaS16_S17_EUlS16_E_NS1_11comp_targetILNS1_3genE9ELNS1_11target_archE1100ELNS1_3gpuE3ELNS1_3repE0EEENS1_30default_config_static_selectorELNS0_4arch9wavefront6targetE0EEEvT1_.has_indirect_call, 0
	.section	.AMDGPU.csdata,"",@progbits
; Kernel info:
; codeLenInByte = 0
; TotalNumSgprs: 0
; NumVgprs: 0
; ScratchSize: 0
; MemoryBound: 0
; FloatMode: 240
; IeeeMode: 1
; LDSByteSize: 0 bytes/workgroup (compile time only)
; SGPRBlocks: 0
; VGPRBlocks: 0
; NumSGPRsForWavesPerEU: 1
; NumVGPRsForWavesPerEU: 1
; Occupancy: 16
; WaveLimiterHint : 0
; COMPUTE_PGM_RSRC2:SCRATCH_EN: 0
; COMPUTE_PGM_RSRC2:USER_SGPR: 2
; COMPUTE_PGM_RSRC2:TRAP_HANDLER: 0
; COMPUTE_PGM_RSRC2:TGID_X_EN: 1
; COMPUTE_PGM_RSRC2:TGID_Y_EN: 0
; COMPUTE_PGM_RSRC2:TGID_Z_EN: 0
; COMPUTE_PGM_RSRC2:TIDIG_COMP_CNT: 0
	.section	.text._ZN7rocprim17ROCPRIM_400000_NS6detail17trampoline_kernelINS0_14default_configENS1_25partition_config_selectorILNS1_17partition_subalgoE5EfNS0_10empty_typeEbEEZZNS1_14partition_implILS5_5ELb0ES3_mN6thrust23THRUST_200600_302600_NS6detail15normal_iteratorINSA_10device_ptrIfEEEEPS6_NSA_18transform_iteratorINSB_9not_fun_tI7is_trueIfEEESF_NSA_11use_defaultESM_EENS0_5tupleIJSF_S6_EEENSO_IJSG_SG_EEES6_PlJS6_EEE10hipError_tPvRmT3_T4_T5_T6_T7_T9_mT8_P12ihipStream_tbDpT10_ENKUlT_T0_E_clISt17integral_constantIbLb0EES1A_IbLb1EEEEDaS16_S17_EUlS16_E_NS1_11comp_targetILNS1_3genE8ELNS1_11target_archE1030ELNS1_3gpuE2ELNS1_3repE0EEENS1_30default_config_static_selectorELNS0_4arch9wavefront6targetE0EEEvT1_,"axG",@progbits,_ZN7rocprim17ROCPRIM_400000_NS6detail17trampoline_kernelINS0_14default_configENS1_25partition_config_selectorILNS1_17partition_subalgoE5EfNS0_10empty_typeEbEEZZNS1_14partition_implILS5_5ELb0ES3_mN6thrust23THRUST_200600_302600_NS6detail15normal_iteratorINSA_10device_ptrIfEEEEPS6_NSA_18transform_iteratorINSB_9not_fun_tI7is_trueIfEEESF_NSA_11use_defaultESM_EENS0_5tupleIJSF_S6_EEENSO_IJSG_SG_EEES6_PlJS6_EEE10hipError_tPvRmT3_T4_T5_T6_T7_T9_mT8_P12ihipStream_tbDpT10_ENKUlT_T0_E_clISt17integral_constantIbLb0EES1A_IbLb1EEEEDaS16_S17_EUlS16_E_NS1_11comp_targetILNS1_3genE8ELNS1_11target_archE1030ELNS1_3gpuE2ELNS1_3repE0EEENS1_30default_config_static_selectorELNS0_4arch9wavefront6targetE0EEEvT1_,comdat
	.protected	_ZN7rocprim17ROCPRIM_400000_NS6detail17trampoline_kernelINS0_14default_configENS1_25partition_config_selectorILNS1_17partition_subalgoE5EfNS0_10empty_typeEbEEZZNS1_14partition_implILS5_5ELb0ES3_mN6thrust23THRUST_200600_302600_NS6detail15normal_iteratorINSA_10device_ptrIfEEEEPS6_NSA_18transform_iteratorINSB_9not_fun_tI7is_trueIfEEESF_NSA_11use_defaultESM_EENS0_5tupleIJSF_S6_EEENSO_IJSG_SG_EEES6_PlJS6_EEE10hipError_tPvRmT3_T4_T5_T6_T7_T9_mT8_P12ihipStream_tbDpT10_ENKUlT_T0_E_clISt17integral_constantIbLb0EES1A_IbLb1EEEEDaS16_S17_EUlS16_E_NS1_11comp_targetILNS1_3genE8ELNS1_11target_archE1030ELNS1_3gpuE2ELNS1_3repE0EEENS1_30default_config_static_selectorELNS0_4arch9wavefront6targetE0EEEvT1_ ; -- Begin function _ZN7rocprim17ROCPRIM_400000_NS6detail17trampoline_kernelINS0_14default_configENS1_25partition_config_selectorILNS1_17partition_subalgoE5EfNS0_10empty_typeEbEEZZNS1_14partition_implILS5_5ELb0ES3_mN6thrust23THRUST_200600_302600_NS6detail15normal_iteratorINSA_10device_ptrIfEEEEPS6_NSA_18transform_iteratorINSB_9not_fun_tI7is_trueIfEEESF_NSA_11use_defaultESM_EENS0_5tupleIJSF_S6_EEENSO_IJSG_SG_EEES6_PlJS6_EEE10hipError_tPvRmT3_T4_T5_T6_T7_T9_mT8_P12ihipStream_tbDpT10_ENKUlT_T0_E_clISt17integral_constantIbLb0EES1A_IbLb1EEEEDaS16_S17_EUlS16_E_NS1_11comp_targetILNS1_3genE8ELNS1_11target_archE1030ELNS1_3gpuE2ELNS1_3repE0EEENS1_30default_config_static_selectorELNS0_4arch9wavefront6targetE0EEEvT1_
	.globl	_ZN7rocprim17ROCPRIM_400000_NS6detail17trampoline_kernelINS0_14default_configENS1_25partition_config_selectorILNS1_17partition_subalgoE5EfNS0_10empty_typeEbEEZZNS1_14partition_implILS5_5ELb0ES3_mN6thrust23THRUST_200600_302600_NS6detail15normal_iteratorINSA_10device_ptrIfEEEEPS6_NSA_18transform_iteratorINSB_9not_fun_tI7is_trueIfEEESF_NSA_11use_defaultESM_EENS0_5tupleIJSF_S6_EEENSO_IJSG_SG_EEES6_PlJS6_EEE10hipError_tPvRmT3_T4_T5_T6_T7_T9_mT8_P12ihipStream_tbDpT10_ENKUlT_T0_E_clISt17integral_constantIbLb0EES1A_IbLb1EEEEDaS16_S17_EUlS16_E_NS1_11comp_targetILNS1_3genE8ELNS1_11target_archE1030ELNS1_3gpuE2ELNS1_3repE0EEENS1_30default_config_static_selectorELNS0_4arch9wavefront6targetE0EEEvT1_
	.p2align	8
	.type	_ZN7rocprim17ROCPRIM_400000_NS6detail17trampoline_kernelINS0_14default_configENS1_25partition_config_selectorILNS1_17partition_subalgoE5EfNS0_10empty_typeEbEEZZNS1_14partition_implILS5_5ELb0ES3_mN6thrust23THRUST_200600_302600_NS6detail15normal_iteratorINSA_10device_ptrIfEEEEPS6_NSA_18transform_iteratorINSB_9not_fun_tI7is_trueIfEEESF_NSA_11use_defaultESM_EENS0_5tupleIJSF_S6_EEENSO_IJSG_SG_EEES6_PlJS6_EEE10hipError_tPvRmT3_T4_T5_T6_T7_T9_mT8_P12ihipStream_tbDpT10_ENKUlT_T0_E_clISt17integral_constantIbLb0EES1A_IbLb1EEEEDaS16_S17_EUlS16_E_NS1_11comp_targetILNS1_3genE8ELNS1_11target_archE1030ELNS1_3gpuE2ELNS1_3repE0EEENS1_30default_config_static_selectorELNS0_4arch9wavefront6targetE0EEEvT1_,@function
_ZN7rocprim17ROCPRIM_400000_NS6detail17trampoline_kernelINS0_14default_configENS1_25partition_config_selectorILNS1_17partition_subalgoE5EfNS0_10empty_typeEbEEZZNS1_14partition_implILS5_5ELb0ES3_mN6thrust23THRUST_200600_302600_NS6detail15normal_iteratorINSA_10device_ptrIfEEEEPS6_NSA_18transform_iteratorINSB_9not_fun_tI7is_trueIfEEESF_NSA_11use_defaultESM_EENS0_5tupleIJSF_S6_EEENSO_IJSG_SG_EEES6_PlJS6_EEE10hipError_tPvRmT3_T4_T5_T6_T7_T9_mT8_P12ihipStream_tbDpT10_ENKUlT_T0_E_clISt17integral_constantIbLb0EES1A_IbLb1EEEEDaS16_S17_EUlS16_E_NS1_11comp_targetILNS1_3genE8ELNS1_11target_archE1030ELNS1_3gpuE2ELNS1_3repE0EEENS1_30default_config_static_selectorELNS0_4arch9wavefront6targetE0EEEvT1_: ; @_ZN7rocprim17ROCPRIM_400000_NS6detail17trampoline_kernelINS0_14default_configENS1_25partition_config_selectorILNS1_17partition_subalgoE5EfNS0_10empty_typeEbEEZZNS1_14partition_implILS5_5ELb0ES3_mN6thrust23THRUST_200600_302600_NS6detail15normal_iteratorINSA_10device_ptrIfEEEEPS6_NSA_18transform_iteratorINSB_9not_fun_tI7is_trueIfEEESF_NSA_11use_defaultESM_EENS0_5tupleIJSF_S6_EEENSO_IJSG_SG_EEES6_PlJS6_EEE10hipError_tPvRmT3_T4_T5_T6_T7_T9_mT8_P12ihipStream_tbDpT10_ENKUlT_T0_E_clISt17integral_constantIbLb0EES1A_IbLb1EEEEDaS16_S17_EUlS16_E_NS1_11comp_targetILNS1_3genE8ELNS1_11target_archE1030ELNS1_3gpuE2ELNS1_3repE0EEENS1_30default_config_static_selectorELNS0_4arch9wavefront6targetE0EEEvT1_
; %bb.0:
	.section	.rodata,"a",@progbits
	.p2align	6, 0x0
	.amdhsa_kernel _ZN7rocprim17ROCPRIM_400000_NS6detail17trampoline_kernelINS0_14default_configENS1_25partition_config_selectorILNS1_17partition_subalgoE5EfNS0_10empty_typeEbEEZZNS1_14partition_implILS5_5ELb0ES3_mN6thrust23THRUST_200600_302600_NS6detail15normal_iteratorINSA_10device_ptrIfEEEEPS6_NSA_18transform_iteratorINSB_9not_fun_tI7is_trueIfEEESF_NSA_11use_defaultESM_EENS0_5tupleIJSF_S6_EEENSO_IJSG_SG_EEES6_PlJS6_EEE10hipError_tPvRmT3_T4_T5_T6_T7_T9_mT8_P12ihipStream_tbDpT10_ENKUlT_T0_E_clISt17integral_constantIbLb0EES1A_IbLb1EEEEDaS16_S17_EUlS16_E_NS1_11comp_targetILNS1_3genE8ELNS1_11target_archE1030ELNS1_3gpuE2ELNS1_3repE0EEENS1_30default_config_static_selectorELNS0_4arch9wavefront6targetE0EEEvT1_
		.amdhsa_group_segment_fixed_size 0
		.amdhsa_private_segment_fixed_size 0
		.amdhsa_kernarg_size 136
		.amdhsa_user_sgpr_count 2
		.amdhsa_user_sgpr_dispatch_ptr 0
		.amdhsa_user_sgpr_queue_ptr 0
		.amdhsa_user_sgpr_kernarg_segment_ptr 1
		.amdhsa_user_sgpr_dispatch_id 0
		.amdhsa_user_sgpr_private_segment_size 0
		.amdhsa_wavefront_size32 1
		.amdhsa_uses_dynamic_stack 0
		.amdhsa_enable_private_segment 0
		.amdhsa_system_sgpr_workgroup_id_x 1
		.amdhsa_system_sgpr_workgroup_id_y 0
		.amdhsa_system_sgpr_workgroup_id_z 0
		.amdhsa_system_sgpr_workgroup_info 0
		.amdhsa_system_vgpr_workitem_id 0
		.amdhsa_next_free_vgpr 1
		.amdhsa_next_free_sgpr 1
		.amdhsa_reserve_vcc 0
		.amdhsa_float_round_mode_32 0
		.amdhsa_float_round_mode_16_64 0
		.amdhsa_float_denorm_mode_32 3
		.amdhsa_float_denorm_mode_16_64 3
		.amdhsa_fp16_overflow 0
		.amdhsa_workgroup_processor_mode 1
		.amdhsa_memory_ordered 1
		.amdhsa_forward_progress 1
		.amdhsa_inst_pref_size 0
		.amdhsa_round_robin_scheduling 0
		.amdhsa_exception_fp_ieee_invalid_op 0
		.amdhsa_exception_fp_denorm_src 0
		.amdhsa_exception_fp_ieee_div_zero 0
		.amdhsa_exception_fp_ieee_overflow 0
		.amdhsa_exception_fp_ieee_underflow 0
		.amdhsa_exception_fp_ieee_inexact 0
		.amdhsa_exception_int_div_zero 0
	.end_amdhsa_kernel
	.section	.text._ZN7rocprim17ROCPRIM_400000_NS6detail17trampoline_kernelINS0_14default_configENS1_25partition_config_selectorILNS1_17partition_subalgoE5EfNS0_10empty_typeEbEEZZNS1_14partition_implILS5_5ELb0ES3_mN6thrust23THRUST_200600_302600_NS6detail15normal_iteratorINSA_10device_ptrIfEEEEPS6_NSA_18transform_iteratorINSB_9not_fun_tI7is_trueIfEEESF_NSA_11use_defaultESM_EENS0_5tupleIJSF_S6_EEENSO_IJSG_SG_EEES6_PlJS6_EEE10hipError_tPvRmT3_T4_T5_T6_T7_T9_mT8_P12ihipStream_tbDpT10_ENKUlT_T0_E_clISt17integral_constantIbLb0EES1A_IbLb1EEEEDaS16_S17_EUlS16_E_NS1_11comp_targetILNS1_3genE8ELNS1_11target_archE1030ELNS1_3gpuE2ELNS1_3repE0EEENS1_30default_config_static_selectorELNS0_4arch9wavefront6targetE0EEEvT1_,"axG",@progbits,_ZN7rocprim17ROCPRIM_400000_NS6detail17trampoline_kernelINS0_14default_configENS1_25partition_config_selectorILNS1_17partition_subalgoE5EfNS0_10empty_typeEbEEZZNS1_14partition_implILS5_5ELb0ES3_mN6thrust23THRUST_200600_302600_NS6detail15normal_iteratorINSA_10device_ptrIfEEEEPS6_NSA_18transform_iteratorINSB_9not_fun_tI7is_trueIfEEESF_NSA_11use_defaultESM_EENS0_5tupleIJSF_S6_EEENSO_IJSG_SG_EEES6_PlJS6_EEE10hipError_tPvRmT3_T4_T5_T6_T7_T9_mT8_P12ihipStream_tbDpT10_ENKUlT_T0_E_clISt17integral_constantIbLb0EES1A_IbLb1EEEEDaS16_S17_EUlS16_E_NS1_11comp_targetILNS1_3genE8ELNS1_11target_archE1030ELNS1_3gpuE2ELNS1_3repE0EEENS1_30default_config_static_selectorELNS0_4arch9wavefront6targetE0EEEvT1_,comdat
.Lfunc_end1366:
	.size	_ZN7rocprim17ROCPRIM_400000_NS6detail17trampoline_kernelINS0_14default_configENS1_25partition_config_selectorILNS1_17partition_subalgoE5EfNS0_10empty_typeEbEEZZNS1_14partition_implILS5_5ELb0ES3_mN6thrust23THRUST_200600_302600_NS6detail15normal_iteratorINSA_10device_ptrIfEEEEPS6_NSA_18transform_iteratorINSB_9not_fun_tI7is_trueIfEEESF_NSA_11use_defaultESM_EENS0_5tupleIJSF_S6_EEENSO_IJSG_SG_EEES6_PlJS6_EEE10hipError_tPvRmT3_T4_T5_T6_T7_T9_mT8_P12ihipStream_tbDpT10_ENKUlT_T0_E_clISt17integral_constantIbLb0EES1A_IbLb1EEEEDaS16_S17_EUlS16_E_NS1_11comp_targetILNS1_3genE8ELNS1_11target_archE1030ELNS1_3gpuE2ELNS1_3repE0EEENS1_30default_config_static_selectorELNS0_4arch9wavefront6targetE0EEEvT1_, .Lfunc_end1366-_ZN7rocprim17ROCPRIM_400000_NS6detail17trampoline_kernelINS0_14default_configENS1_25partition_config_selectorILNS1_17partition_subalgoE5EfNS0_10empty_typeEbEEZZNS1_14partition_implILS5_5ELb0ES3_mN6thrust23THRUST_200600_302600_NS6detail15normal_iteratorINSA_10device_ptrIfEEEEPS6_NSA_18transform_iteratorINSB_9not_fun_tI7is_trueIfEEESF_NSA_11use_defaultESM_EENS0_5tupleIJSF_S6_EEENSO_IJSG_SG_EEES6_PlJS6_EEE10hipError_tPvRmT3_T4_T5_T6_T7_T9_mT8_P12ihipStream_tbDpT10_ENKUlT_T0_E_clISt17integral_constantIbLb0EES1A_IbLb1EEEEDaS16_S17_EUlS16_E_NS1_11comp_targetILNS1_3genE8ELNS1_11target_archE1030ELNS1_3gpuE2ELNS1_3repE0EEENS1_30default_config_static_selectorELNS0_4arch9wavefront6targetE0EEEvT1_
                                        ; -- End function
	.set _ZN7rocprim17ROCPRIM_400000_NS6detail17trampoline_kernelINS0_14default_configENS1_25partition_config_selectorILNS1_17partition_subalgoE5EfNS0_10empty_typeEbEEZZNS1_14partition_implILS5_5ELb0ES3_mN6thrust23THRUST_200600_302600_NS6detail15normal_iteratorINSA_10device_ptrIfEEEEPS6_NSA_18transform_iteratorINSB_9not_fun_tI7is_trueIfEEESF_NSA_11use_defaultESM_EENS0_5tupleIJSF_S6_EEENSO_IJSG_SG_EEES6_PlJS6_EEE10hipError_tPvRmT3_T4_T5_T6_T7_T9_mT8_P12ihipStream_tbDpT10_ENKUlT_T0_E_clISt17integral_constantIbLb0EES1A_IbLb1EEEEDaS16_S17_EUlS16_E_NS1_11comp_targetILNS1_3genE8ELNS1_11target_archE1030ELNS1_3gpuE2ELNS1_3repE0EEENS1_30default_config_static_selectorELNS0_4arch9wavefront6targetE0EEEvT1_.num_vgpr, 0
	.set _ZN7rocprim17ROCPRIM_400000_NS6detail17trampoline_kernelINS0_14default_configENS1_25partition_config_selectorILNS1_17partition_subalgoE5EfNS0_10empty_typeEbEEZZNS1_14partition_implILS5_5ELb0ES3_mN6thrust23THRUST_200600_302600_NS6detail15normal_iteratorINSA_10device_ptrIfEEEEPS6_NSA_18transform_iteratorINSB_9not_fun_tI7is_trueIfEEESF_NSA_11use_defaultESM_EENS0_5tupleIJSF_S6_EEENSO_IJSG_SG_EEES6_PlJS6_EEE10hipError_tPvRmT3_T4_T5_T6_T7_T9_mT8_P12ihipStream_tbDpT10_ENKUlT_T0_E_clISt17integral_constantIbLb0EES1A_IbLb1EEEEDaS16_S17_EUlS16_E_NS1_11comp_targetILNS1_3genE8ELNS1_11target_archE1030ELNS1_3gpuE2ELNS1_3repE0EEENS1_30default_config_static_selectorELNS0_4arch9wavefront6targetE0EEEvT1_.num_agpr, 0
	.set _ZN7rocprim17ROCPRIM_400000_NS6detail17trampoline_kernelINS0_14default_configENS1_25partition_config_selectorILNS1_17partition_subalgoE5EfNS0_10empty_typeEbEEZZNS1_14partition_implILS5_5ELb0ES3_mN6thrust23THRUST_200600_302600_NS6detail15normal_iteratorINSA_10device_ptrIfEEEEPS6_NSA_18transform_iteratorINSB_9not_fun_tI7is_trueIfEEESF_NSA_11use_defaultESM_EENS0_5tupleIJSF_S6_EEENSO_IJSG_SG_EEES6_PlJS6_EEE10hipError_tPvRmT3_T4_T5_T6_T7_T9_mT8_P12ihipStream_tbDpT10_ENKUlT_T0_E_clISt17integral_constantIbLb0EES1A_IbLb1EEEEDaS16_S17_EUlS16_E_NS1_11comp_targetILNS1_3genE8ELNS1_11target_archE1030ELNS1_3gpuE2ELNS1_3repE0EEENS1_30default_config_static_selectorELNS0_4arch9wavefront6targetE0EEEvT1_.numbered_sgpr, 0
	.set _ZN7rocprim17ROCPRIM_400000_NS6detail17trampoline_kernelINS0_14default_configENS1_25partition_config_selectorILNS1_17partition_subalgoE5EfNS0_10empty_typeEbEEZZNS1_14partition_implILS5_5ELb0ES3_mN6thrust23THRUST_200600_302600_NS6detail15normal_iteratorINSA_10device_ptrIfEEEEPS6_NSA_18transform_iteratorINSB_9not_fun_tI7is_trueIfEEESF_NSA_11use_defaultESM_EENS0_5tupleIJSF_S6_EEENSO_IJSG_SG_EEES6_PlJS6_EEE10hipError_tPvRmT3_T4_T5_T6_T7_T9_mT8_P12ihipStream_tbDpT10_ENKUlT_T0_E_clISt17integral_constantIbLb0EES1A_IbLb1EEEEDaS16_S17_EUlS16_E_NS1_11comp_targetILNS1_3genE8ELNS1_11target_archE1030ELNS1_3gpuE2ELNS1_3repE0EEENS1_30default_config_static_selectorELNS0_4arch9wavefront6targetE0EEEvT1_.num_named_barrier, 0
	.set _ZN7rocprim17ROCPRIM_400000_NS6detail17trampoline_kernelINS0_14default_configENS1_25partition_config_selectorILNS1_17partition_subalgoE5EfNS0_10empty_typeEbEEZZNS1_14partition_implILS5_5ELb0ES3_mN6thrust23THRUST_200600_302600_NS6detail15normal_iteratorINSA_10device_ptrIfEEEEPS6_NSA_18transform_iteratorINSB_9not_fun_tI7is_trueIfEEESF_NSA_11use_defaultESM_EENS0_5tupleIJSF_S6_EEENSO_IJSG_SG_EEES6_PlJS6_EEE10hipError_tPvRmT3_T4_T5_T6_T7_T9_mT8_P12ihipStream_tbDpT10_ENKUlT_T0_E_clISt17integral_constantIbLb0EES1A_IbLb1EEEEDaS16_S17_EUlS16_E_NS1_11comp_targetILNS1_3genE8ELNS1_11target_archE1030ELNS1_3gpuE2ELNS1_3repE0EEENS1_30default_config_static_selectorELNS0_4arch9wavefront6targetE0EEEvT1_.private_seg_size, 0
	.set _ZN7rocprim17ROCPRIM_400000_NS6detail17trampoline_kernelINS0_14default_configENS1_25partition_config_selectorILNS1_17partition_subalgoE5EfNS0_10empty_typeEbEEZZNS1_14partition_implILS5_5ELb0ES3_mN6thrust23THRUST_200600_302600_NS6detail15normal_iteratorINSA_10device_ptrIfEEEEPS6_NSA_18transform_iteratorINSB_9not_fun_tI7is_trueIfEEESF_NSA_11use_defaultESM_EENS0_5tupleIJSF_S6_EEENSO_IJSG_SG_EEES6_PlJS6_EEE10hipError_tPvRmT3_T4_T5_T6_T7_T9_mT8_P12ihipStream_tbDpT10_ENKUlT_T0_E_clISt17integral_constantIbLb0EES1A_IbLb1EEEEDaS16_S17_EUlS16_E_NS1_11comp_targetILNS1_3genE8ELNS1_11target_archE1030ELNS1_3gpuE2ELNS1_3repE0EEENS1_30default_config_static_selectorELNS0_4arch9wavefront6targetE0EEEvT1_.uses_vcc, 0
	.set _ZN7rocprim17ROCPRIM_400000_NS6detail17trampoline_kernelINS0_14default_configENS1_25partition_config_selectorILNS1_17partition_subalgoE5EfNS0_10empty_typeEbEEZZNS1_14partition_implILS5_5ELb0ES3_mN6thrust23THRUST_200600_302600_NS6detail15normal_iteratorINSA_10device_ptrIfEEEEPS6_NSA_18transform_iteratorINSB_9not_fun_tI7is_trueIfEEESF_NSA_11use_defaultESM_EENS0_5tupleIJSF_S6_EEENSO_IJSG_SG_EEES6_PlJS6_EEE10hipError_tPvRmT3_T4_T5_T6_T7_T9_mT8_P12ihipStream_tbDpT10_ENKUlT_T0_E_clISt17integral_constantIbLb0EES1A_IbLb1EEEEDaS16_S17_EUlS16_E_NS1_11comp_targetILNS1_3genE8ELNS1_11target_archE1030ELNS1_3gpuE2ELNS1_3repE0EEENS1_30default_config_static_selectorELNS0_4arch9wavefront6targetE0EEEvT1_.uses_flat_scratch, 0
	.set _ZN7rocprim17ROCPRIM_400000_NS6detail17trampoline_kernelINS0_14default_configENS1_25partition_config_selectorILNS1_17partition_subalgoE5EfNS0_10empty_typeEbEEZZNS1_14partition_implILS5_5ELb0ES3_mN6thrust23THRUST_200600_302600_NS6detail15normal_iteratorINSA_10device_ptrIfEEEEPS6_NSA_18transform_iteratorINSB_9not_fun_tI7is_trueIfEEESF_NSA_11use_defaultESM_EENS0_5tupleIJSF_S6_EEENSO_IJSG_SG_EEES6_PlJS6_EEE10hipError_tPvRmT3_T4_T5_T6_T7_T9_mT8_P12ihipStream_tbDpT10_ENKUlT_T0_E_clISt17integral_constantIbLb0EES1A_IbLb1EEEEDaS16_S17_EUlS16_E_NS1_11comp_targetILNS1_3genE8ELNS1_11target_archE1030ELNS1_3gpuE2ELNS1_3repE0EEENS1_30default_config_static_selectorELNS0_4arch9wavefront6targetE0EEEvT1_.has_dyn_sized_stack, 0
	.set _ZN7rocprim17ROCPRIM_400000_NS6detail17trampoline_kernelINS0_14default_configENS1_25partition_config_selectorILNS1_17partition_subalgoE5EfNS0_10empty_typeEbEEZZNS1_14partition_implILS5_5ELb0ES3_mN6thrust23THRUST_200600_302600_NS6detail15normal_iteratorINSA_10device_ptrIfEEEEPS6_NSA_18transform_iteratorINSB_9not_fun_tI7is_trueIfEEESF_NSA_11use_defaultESM_EENS0_5tupleIJSF_S6_EEENSO_IJSG_SG_EEES6_PlJS6_EEE10hipError_tPvRmT3_T4_T5_T6_T7_T9_mT8_P12ihipStream_tbDpT10_ENKUlT_T0_E_clISt17integral_constantIbLb0EES1A_IbLb1EEEEDaS16_S17_EUlS16_E_NS1_11comp_targetILNS1_3genE8ELNS1_11target_archE1030ELNS1_3gpuE2ELNS1_3repE0EEENS1_30default_config_static_selectorELNS0_4arch9wavefront6targetE0EEEvT1_.has_recursion, 0
	.set _ZN7rocprim17ROCPRIM_400000_NS6detail17trampoline_kernelINS0_14default_configENS1_25partition_config_selectorILNS1_17partition_subalgoE5EfNS0_10empty_typeEbEEZZNS1_14partition_implILS5_5ELb0ES3_mN6thrust23THRUST_200600_302600_NS6detail15normal_iteratorINSA_10device_ptrIfEEEEPS6_NSA_18transform_iteratorINSB_9not_fun_tI7is_trueIfEEESF_NSA_11use_defaultESM_EENS0_5tupleIJSF_S6_EEENSO_IJSG_SG_EEES6_PlJS6_EEE10hipError_tPvRmT3_T4_T5_T6_T7_T9_mT8_P12ihipStream_tbDpT10_ENKUlT_T0_E_clISt17integral_constantIbLb0EES1A_IbLb1EEEEDaS16_S17_EUlS16_E_NS1_11comp_targetILNS1_3genE8ELNS1_11target_archE1030ELNS1_3gpuE2ELNS1_3repE0EEENS1_30default_config_static_selectorELNS0_4arch9wavefront6targetE0EEEvT1_.has_indirect_call, 0
	.section	.AMDGPU.csdata,"",@progbits
; Kernel info:
; codeLenInByte = 0
; TotalNumSgprs: 0
; NumVgprs: 0
; ScratchSize: 0
; MemoryBound: 0
; FloatMode: 240
; IeeeMode: 1
; LDSByteSize: 0 bytes/workgroup (compile time only)
; SGPRBlocks: 0
; VGPRBlocks: 0
; NumSGPRsForWavesPerEU: 1
; NumVGPRsForWavesPerEU: 1
; Occupancy: 16
; WaveLimiterHint : 0
; COMPUTE_PGM_RSRC2:SCRATCH_EN: 0
; COMPUTE_PGM_RSRC2:USER_SGPR: 2
; COMPUTE_PGM_RSRC2:TRAP_HANDLER: 0
; COMPUTE_PGM_RSRC2:TGID_X_EN: 1
; COMPUTE_PGM_RSRC2:TGID_Y_EN: 0
; COMPUTE_PGM_RSRC2:TGID_Z_EN: 0
; COMPUTE_PGM_RSRC2:TIDIG_COMP_CNT: 0
	.section	.text._ZN6thrust23THRUST_200600_302600_NS11hip_rocprim14__parallel_for6kernelILj256ENS1_11__transform17unary_transform_fINS0_7pointerIbNS1_3tagENS0_11use_defaultES8_EENS0_10device_ptrIyEENS4_14no_stencil_tagENS0_8identityIbEENS4_21always_true_predicateEEElLj1EEEvT0_T1_SI_,"axG",@progbits,_ZN6thrust23THRUST_200600_302600_NS11hip_rocprim14__parallel_for6kernelILj256ENS1_11__transform17unary_transform_fINS0_7pointerIbNS1_3tagENS0_11use_defaultES8_EENS0_10device_ptrIyEENS4_14no_stencil_tagENS0_8identityIbEENS4_21always_true_predicateEEElLj1EEEvT0_T1_SI_,comdat
	.protected	_ZN6thrust23THRUST_200600_302600_NS11hip_rocprim14__parallel_for6kernelILj256ENS1_11__transform17unary_transform_fINS0_7pointerIbNS1_3tagENS0_11use_defaultES8_EENS0_10device_ptrIyEENS4_14no_stencil_tagENS0_8identityIbEENS4_21always_true_predicateEEElLj1EEEvT0_T1_SI_ ; -- Begin function _ZN6thrust23THRUST_200600_302600_NS11hip_rocprim14__parallel_for6kernelILj256ENS1_11__transform17unary_transform_fINS0_7pointerIbNS1_3tagENS0_11use_defaultES8_EENS0_10device_ptrIyEENS4_14no_stencil_tagENS0_8identityIbEENS4_21always_true_predicateEEElLj1EEEvT0_T1_SI_
	.globl	_ZN6thrust23THRUST_200600_302600_NS11hip_rocprim14__parallel_for6kernelILj256ENS1_11__transform17unary_transform_fINS0_7pointerIbNS1_3tagENS0_11use_defaultES8_EENS0_10device_ptrIyEENS4_14no_stencil_tagENS0_8identityIbEENS4_21always_true_predicateEEElLj1EEEvT0_T1_SI_
	.p2align	8
	.type	_ZN6thrust23THRUST_200600_302600_NS11hip_rocprim14__parallel_for6kernelILj256ENS1_11__transform17unary_transform_fINS0_7pointerIbNS1_3tagENS0_11use_defaultES8_EENS0_10device_ptrIyEENS4_14no_stencil_tagENS0_8identityIbEENS4_21always_true_predicateEEElLj1EEEvT0_T1_SI_,@function
_ZN6thrust23THRUST_200600_302600_NS11hip_rocprim14__parallel_for6kernelILj256ENS1_11__transform17unary_transform_fINS0_7pointerIbNS1_3tagENS0_11use_defaultES8_EENS0_10device_ptrIyEENS4_14no_stencil_tagENS0_8identityIbEENS4_21always_true_predicateEEElLj1EEEvT0_T1_SI_: ; @_ZN6thrust23THRUST_200600_302600_NS11hip_rocprim14__parallel_for6kernelILj256ENS1_11__transform17unary_transform_fINS0_7pointerIbNS1_3tagENS0_11use_defaultES8_EENS0_10device_ptrIyEENS4_14no_stencil_tagENS0_8identityIbEENS4_21always_true_predicateEEElLj1EEEvT0_T1_SI_
; %bb.0:
	s_clause 0x1
	s_load_b128 s[8:11], s[0:1], 0x18
	s_load_b128 s[0:3], s[0:1], 0x0
	s_lshl_b32 s4, ttmp9, 8
	s_mov_b32 s5, 0
	s_wait_kmcnt 0x0
	s_add_nc_u64 s[4:5], s[10:11], s[4:5]
	s_delay_alu instid0(SALU_CYCLE_1) | instskip(NEXT) | instid1(SALU_CYCLE_1)
	s_sub_nc_u64 s[6:7], s[8:9], s[4:5]
	v_cmp_gt_i64_e64 s7, 0x100, s[6:7]
	s_and_b32 s7, s7, exec_lo
	s_cselect_b32 s7, s6, 0x100
	s_mov_b32 s6, -1
	s_wait_alu 0xfffe
	s_cmp_eq_u32 s7, 0x100
	s_cbranch_scc0 .LBB1367_3
; %bb.1:
	s_and_not1_b32 vcc_lo, exec_lo, s6
	s_cbranch_vccz .LBB1367_6
.LBB1367_2:
	s_endpgm
.LBB1367_3:
	s_mov_b32 s6, exec_lo
	v_cmpx_gt_u32_e64 s7, v0
	s_cbranch_execz .LBB1367_5
; %bb.4:
	v_add_co_u32 v1, s7, s4, v0
	s_wait_alu 0xf1ff
	v_add_co_ci_u32_e64 v2, null, s5, 0, s7
	s_mov_b32 s7, 0
	v_add_co_u32 v3, vcc_lo, s0, v1
	s_delay_alu instid0(VALU_DEP_1)
	v_add_co_ci_u32_e64 v4, null, s1, v2, vcc_lo
	v_lshlrev_b64_e32 v[1:2], 3, v[1:2]
	flat_load_u8 v3, v[3:4]
	s_wait_alu 0xfffe
	v_mov_b32_e32 v4, s7
	v_add_co_u32 v1, vcc_lo, s2, v1
	s_wait_alu 0xfffd
	v_add_co_ci_u32_e64 v2, null, s3, v2, vcc_lo
	s_wait_loadcnt_dscnt 0x0
	v_and_b32_e32 v3, 0xffff, v3
	flat_store_b64 v[1:2], v[3:4]
.LBB1367_5:
	s_wait_alu 0xfffe
	s_or_b32 exec_lo, exec_lo, s6
	s_cbranch_execnz .LBB1367_2
.LBB1367_6:
	v_add_co_u32 v0, s4, s4, v0
	s_wait_alu 0xf1ff
	v_add_co_ci_u32_e64 v1, null, s5, 0, s4
	s_delay_alu instid0(VALU_DEP_2) | instskip(SKIP_1) | instid1(VALU_DEP_2)
	v_add_co_u32 v2, vcc_lo, s0, v0
	s_wait_alu 0xfffd
	v_add_co_ci_u32_e64 v3, null, s1, v1, vcc_lo
	v_lshlrev_b64_e32 v[0:1], 3, v[0:1]
	s_mov_b32 s0, 0
	flat_load_u8 v2, v[2:3]
	s_wait_alu 0xfffe
	v_mov_b32_e32 v3, s0
	v_add_co_u32 v0, vcc_lo, s2, v0
	s_wait_alu 0xfffd
	v_add_co_ci_u32_e64 v1, null, s3, v1, vcc_lo
	s_wait_loadcnt_dscnt 0x0
	v_and_b32_e32 v2, 0xffff, v2
	flat_store_b64 v[0:1], v[2:3]
	s_endpgm
	.section	.rodata,"a",@progbits
	.p2align	6, 0x0
	.amdhsa_kernel _ZN6thrust23THRUST_200600_302600_NS11hip_rocprim14__parallel_for6kernelILj256ENS1_11__transform17unary_transform_fINS0_7pointerIbNS1_3tagENS0_11use_defaultES8_EENS0_10device_ptrIyEENS4_14no_stencil_tagENS0_8identityIbEENS4_21always_true_predicateEEElLj1EEEvT0_T1_SI_
		.amdhsa_group_segment_fixed_size 0
		.amdhsa_private_segment_fixed_size 0
		.amdhsa_kernarg_size 40
		.amdhsa_user_sgpr_count 2
		.amdhsa_user_sgpr_dispatch_ptr 0
		.amdhsa_user_sgpr_queue_ptr 0
		.amdhsa_user_sgpr_kernarg_segment_ptr 1
		.amdhsa_user_sgpr_dispatch_id 0
		.amdhsa_user_sgpr_private_segment_size 0
		.amdhsa_wavefront_size32 1
		.amdhsa_uses_dynamic_stack 0
		.amdhsa_enable_private_segment 0
		.amdhsa_system_sgpr_workgroup_id_x 1
		.amdhsa_system_sgpr_workgroup_id_y 0
		.amdhsa_system_sgpr_workgroup_id_z 0
		.amdhsa_system_sgpr_workgroup_info 0
		.amdhsa_system_vgpr_workitem_id 0
		.amdhsa_next_free_vgpr 5
		.amdhsa_next_free_sgpr 12
		.amdhsa_reserve_vcc 1
		.amdhsa_float_round_mode_32 0
		.amdhsa_float_round_mode_16_64 0
		.amdhsa_float_denorm_mode_32 3
		.amdhsa_float_denorm_mode_16_64 3
		.amdhsa_fp16_overflow 0
		.amdhsa_workgroup_processor_mode 1
		.amdhsa_memory_ordered 1
		.amdhsa_forward_progress 1
		.amdhsa_inst_pref_size 3
		.amdhsa_round_robin_scheduling 0
		.amdhsa_exception_fp_ieee_invalid_op 0
		.amdhsa_exception_fp_denorm_src 0
		.amdhsa_exception_fp_ieee_div_zero 0
		.amdhsa_exception_fp_ieee_overflow 0
		.amdhsa_exception_fp_ieee_underflow 0
		.amdhsa_exception_fp_ieee_inexact 0
		.amdhsa_exception_int_div_zero 0
	.end_amdhsa_kernel
	.section	.text._ZN6thrust23THRUST_200600_302600_NS11hip_rocprim14__parallel_for6kernelILj256ENS1_11__transform17unary_transform_fINS0_7pointerIbNS1_3tagENS0_11use_defaultES8_EENS0_10device_ptrIyEENS4_14no_stencil_tagENS0_8identityIbEENS4_21always_true_predicateEEElLj1EEEvT0_T1_SI_,"axG",@progbits,_ZN6thrust23THRUST_200600_302600_NS11hip_rocprim14__parallel_for6kernelILj256ENS1_11__transform17unary_transform_fINS0_7pointerIbNS1_3tagENS0_11use_defaultES8_EENS0_10device_ptrIyEENS4_14no_stencil_tagENS0_8identityIbEENS4_21always_true_predicateEEElLj1EEEvT0_T1_SI_,comdat
.Lfunc_end1367:
	.size	_ZN6thrust23THRUST_200600_302600_NS11hip_rocprim14__parallel_for6kernelILj256ENS1_11__transform17unary_transform_fINS0_7pointerIbNS1_3tagENS0_11use_defaultES8_EENS0_10device_ptrIyEENS4_14no_stencil_tagENS0_8identityIbEENS4_21always_true_predicateEEElLj1EEEvT0_T1_SI_, .Lfunc_end1367-_ZN6thrust23THRUST_200600_302600_NS11hip_rocprim14__parallel_for6kernelILj256ENS1_11__transform17unary_transform_fINS0_7pointerIbNS1_3tagENS0_11use_defaultES8_EENS0_10device_ptrIyEENS4_14no_stencil_tagENS0_8identityIbEENS4_21always_true_predicateEEElLj1EEEvT0_T1_SI_
                                        ; -- End function
	.set _ZN6thrust23THRUST_200600_302600_NS11hip_rocprim14__parallel_for6kernelILj256ENS1_11__transform17unary_transform_fINS0_7pointerIbNS1_3tagENS0_11use_defaultES8_EENS0_10device_ptrIyEENS4_14no_stencil_tagENS0_8identityIbEENS4_21always_true_predicateEEElLj1EEEvT0_T1_SI_.num_vgpr, 5
	.set _ZN6thrust23THRUST_200600_302600_NS11hip_rocprim14__parallel_for6kernelILj256ENS1_11__transform17unary_transform_fINS0_7pointerIbNS1_3tagENS0_11use_defaultES8_EENS0_10device_ptrIyEENS4_14no_stencil_tagENS0_8identityIbEENS4_21always_true_predicateEEElLj1EEEvT0_T1_SI_.num_agpr, 0
	.set _ZN6thrust23THRUST_200600_302600_NS11hip_rocprim14__parallel_for6kernelILj256ENS1_11__transform17unary_transform_fINS0_7pointerIbNS1_3tagENS0_11use_defaultES8_EENS0_10device_ptrIyEENS4_14no_stencil_tagENS0_8identityIbEENS4_21always_true_predicateEEElLj1EEEvT0_T1_SI_.numbered_sgpr, 12
	.set _ZN6thrust23THRUST_200600_302600_NS11hip_rocprim14__parallel_for6kernelILj256ENS1_11__transform17unary_transform_fINS0_7pointerIbNS1_3tagENS0_11use_defaultES8_EENS0_10device_ptrIyEENS4_14no_stencil_tagENS0_8identityIbEENS4_21always_true_predicateEEElLj1EEEvT0_T1_SI_.num_named_barrier, 0
	.set _ZN6thrust23THRUST_200600_302600_NS11hip_rocprim14__parallel_for6kernelILj256ENS1_11__transform17unary_transform_fINS0_7pointerIbNS1_3tagENS0_11use_defaultES8_EENS0_10device_ptrIyEENS4_14no_stencil_tagENS0_8identityIbEENS4_21always_true_predicateEEElLj1EEEvT0_T1_SI_.private_seg_size, 0
	.set _ZN6thrust23THRUST_200600_302600_NS11hip_rocprim14__parallel_for6kernelILj256ENS1_11__transform17unary_transform_fINS0_7pointerIbNS1_3tagENS0_11use_defaultES8_EENS0_10device_ptrIyEENS4_14no_stencil_tagENS0_8identityIbEENS4_21always_true_predicateEEElLj1EEEvT0_T1_SI_.uses_vcc, 1
	.set _ZN6thrust23THRUST_200600_302600_NS11hip_rocprim14__parallel_for6kernelILj256ENS1_11__transform17unary_transform_fINS0_7pointerIbNS1_3tagENS0_11use_defaultES8_EENS0_10device_ptrIyEENS4_14no_stencil_tagENS0_8identityIbEENS4_21always_true_predicateEEElLj1EEEvT0_T1_SI_.uses_flat_scratch, 0
	.set _ZN6thrust23THRUST_200600_302600_NS11hip_rocprim14__parallel_for6kernelILj256ENS1_11__transform17unary_transform_fINS0_7pointerIbNS1_3tagENS0_11use_defaultES8_EENS0_10device_ptrIyEENS4_14no_stencil_tagENS0_8identityIbEENS4_21always_true_predicateEEElLj1EEEvT0_T1_SI_.has_dyn_sized_stack, 0
	.set _ZN6thrust23THRUST_200600_302600_NS11hip_rocprim14__parallel_for6kernelILj256ENS1_11__transform17unary_transform_fINS0_7pointerIbNS1_3tagENS0_11use_defaultES8_EENS0_10device_ptrIyEENS4_14no_stencil_tagENS0_8identityIbEENS4_21always_true_predicateEEElLj1EEEvT0_T1_SI_.has_recursion, 0
	.set _ZN6thrust23THRUST_200600_302600_NS11hip_rocprim14__parallel_for6kernelILj256ENS1_11__transform17unary_transform_fINS0_7pointerIbNS1_3tagENS0_11use_defaultES8_EENS0_10device_ptrIyEENS4_14no_stencil_tagENS0_8identityIbEENS4_21always_true_predicateEEElLj1EEEvT0_T1_SI_.has_indirect_call, 0
	.section	.AMDGPU.csdata,"",@progbits
; Kernel info:
; codeLenInByte = 360
; TotalNumSgprs: 14
; NumVgprs: 5
; ScratchSize: 0
; MemoryBound: 0
; FloatMode: 240
; IeeeMode: 1
; LDSByteSize: 0 bytes/workgroup (compile time only)
; SGPRBlocks: 0
; VGPRBlocks: 0
; NumSGPRsForWavesPerEU: 14
; NumVGPRsForWavesPerEU: 5
; Occupancy: 16
; WaveLimiterHint : 0
; COMPUTE_PGM_RSRC2:SCRATCH_EN: 0
; COMPUTE_PGM_RSRC2:USER_SGPR: 2
; COMPUTE_PGM_RSRC2:TRAP_HANDLER: 0
; COMPUTE_PGM_RSRC2:TGID_X_EN: 1
; COMPUTE_PGM_RSRC2:TGID_Y_EN: 0
; COMPUTE_PGM_RSRC2:TGID_Z_EN: 0
; COMPUTE_PGM_RSRC2:TIDIG_COMP_CNT: 0
	.section	.text._ZN7rocprim17ROCPRIM_400000_NS6detail17trampoline_kernelINS0_14default_configENS1_25partition_config_selectorILNS1_17partition_subalgoE5EyNS0_10empty_typeEbEEZZNS1_14partition_implILS5_5ELb0ES3_mN6thrust23THRUST_200600_302600_NS6detail15normal_iteratorINSA_10device_ptrIyEEEEPS6_NSA_18transform_iteratorINSB_9not_fun_tI7is_trueIyEEESF_NSA_11use_defaultESM_EENS0_5tupleIJSF_S6_EEENSO_IJSG_SG_EEES6_PlJS6_EEE10hipError_tPvRmT3_T4_T5_T6_T7_T9_mT8_P12ihipStream_tbDpT10_ENKUlT_T0_E_clISt17integral_constantIbLb0EES1B_EEDaS16_S17_EUlS16_E_NS1_11comp_targetILNS1_3genE0ELNS1_11target_archE4294967295ELNS1_3gpuE0ELNS1_3repE0EEENS1_30default_config_static_selectorELNS0_4arch9wavefront6targetE0EEEvT1_,"axG",@progbits,_ZN7rocprim17ROCPRIM_400000_NS6detail17trampoline_kernelINS0_14default_configENS1_25partition_config_selectorILNS1_17partition_subalgoE5EyNS0_10empty_typeEbEEZZNS1_14partition_implILS5_5ELb0ES3_mN6thrust23THRUST_200600_302600_NS6detail15normal_iteratorINSA_10device_ptrIyEEEEPS6_NSA_18transform_iteratorINSB_9not_fun_tI7is_trueIyEEESF_NSA_11use_defaultESM_EENS0_5tupleIJSF_S6_EEENSO_IJSG_SG_EEES6_PlJS6_EEE10hipError_tPvRmT3_T4_T5_T6_T7_T9_mT8_P12ihipStream_tbDpT10_ENKUlT_T0_E_clISt17integral_constantIbLb0EES1B_EEDaS16_S17_EUlS16_E_NS1_11comp_targetILNS1_3genE0ELNS1_11target_archE4294967295ELNS1_3gpuE0ELNS1_3repE0EEENS1_30default_config_static_selectorELNS0_4arch9wavefront6targetE0EEEvT1_,comdat
	.protected	_ZN7rocprim17ROCPRIM_400000_NS6detail17trampoline_kernelINS0_14default_configENS1_25partition_config_selectorILNS1_17partition_subalgoE5EyNS0_10empty_typeEbEEZZNS1_14partition_implILS5_5ELb0ES3_mN6thrust23THRUST_200600_302600_NS6detail15normal_iteratorINSA_10device_ptrIyEEEEPS6_NSA_18transform_iteratorINSB_9not_fun_tI7is_trueIyEEESF_NSA_11use_defaultESM_EENS0_5tupleIJSF_S6_EEENSO_IJSG_SG_EEES6_PlJS6_EEE10hipError_tPvRmT3_T4_T5_T6_T7_T9_mT8_P12ihipStream_tbDpT10_ENKUlT_T0_E_clISt17integral_constantIbLb0EES1B_EEDaS16_S17_EUlS16_E_NS1_11comp_targetILNS1_3genE0ELNS1_11target_archE4294967295ELNS1_3gpuE0ELNS1_3repE0EEENS1_30default_config_static_selectorELNS0_4arch9wavefront6targetE0EEEvT1_ ; -- Begin function _ZN7rocprim17ROCPRIM_400000_NS6detail17trampoline_kernelINS0_14default_configENS1_25partition_config_selectorILNS1_17partition_subalgoE5EyNS0_10empty_typeEbEEZZNS1_14partition_implILS5_5ELb0ES3_mN6thrust23THRUST_200600_302600_NS6detail15normal_iteratorINSA_10device_ptrIyEEEEPS6_NSA_18transform_iteratorINSB_9not_fun_tI7is_trueIyEEESF_NSA_11use_defaultESM_EENS0_5tupleIJSF_S6_EEENSO_IJSG_SG_EEES6_PlJS6_EEE10hipError_tPvRmT3_T4_T5_T6_T7_T9_mT8_P12ihipStream_tbDpT10_ENKUlT_T0_E_clISt17integral_constantIbLb0EES1B_EEDaS16_S17_EUlS16_E_NS1_11comp_targetILNS1_3genE0ELNS1_11target_archE4294967295ELNS1_3gpuE0ELNS1_3repE0EEENS1_30default_config_static_selectorELNS0_4arch9wavefront6targetE0EEEvT1_
	.globl	_ZN7rocprim17ROCPRIM_400000_NS6detail17trampoline_kernelINS0_14default_configENS1_25partition_config_selectorILNS1_17partition_subalgoE5EyNS0_10empty_typeEbEEZZNS1_14partition_implILS5_5ELb0ES3_mN6thrust23THRUST_200600_302600_NS6detail15normal_iteratorINSA_10device_ptrIyEEEEPS6_NSA_18transform_iteratorINSB_9not_fun_tI7is_trueIyEEESF_NSA_11use_defaultESM_EENS0_5tupleIJSF_S6_EEENSO_IJSG_SG_EEES6_PlJS6_EEE10hipError_tPvRmT3_T4_T5_T6_T7_T9_mT8_P12ihipStream_tbDpT10_ENKUlT_T0_E_clISt17integral_constantIbLb0EES1B_EEDaS16_S17_EUlS16_E_NS1_11comp_targetILNS1_3genE0ELNS1_11target_archE4294967295ELNS1_3gpuE0ELNS1_3repE0EEENS1_30default_config_static_selectorELNS0_4arch9wavefront6targetE0EEEvT1_
	.p2align	8
	.type	_ZN7rocprim17ROCPRIM_400000_NS6detail17trampoline_kernelINS0_14default_configENS1_25partition_config_selectorILNS1_17partition_subalgoE5EyNS0_10empty_typeEbEEZZNS1_14partition_implILS5_5ELb0ES3_mN6thrust23THRUST_200600_302600_NS6detail15normal_iteratorINSA_10device_ptrIyEEEEPS6_NSA_18transform_iteratorINSB_9not_fun_tI7is_trueIyEEESF_NSA_11use_defaultESM_EENS0_5tupleIJSF_S6_EEENSO_IJSG_SG_EEES6_PlJS6_EEE10hipError_tPvRmT3_T4_T5_T6_T7_T9_mT8_P12ihipStream_tbDpT10_ENKUlT_T0_E_clISt17integral_constantIbLb0EES1B_EEDaS16_S17_EUlS16_E_NS1_11comp_targetILNS1_3genE0ELNS1_11target_archE4294967295ELNS1_3gpuE0ELNS1_3repE0EEENS1_30default_config_static_selectorELNS0_4arch9wavefront6targetE0EEEvT1_,@function
_ZN7rocprim17ROCPRIM_400000_NS6detail17trampoline_kernelINS0_14default_configENS1_25partition_config_selectorILNS1_17partition_subalgoE5EyNS0_10empty_typeEbEEZZNS1_14partition_implILS5_5ELb0ES3_mN6thrust23THRUST_200600_302600_NS6detail15normal_iteratorINSA_10device_ptrIyEEEEPS6_NSA_18transform_iteratorINSB_9not_fun_tI7is_trueIyEEESF_NSA_11use_defaultESM_EENS0_5tupleIJSF_S6_EEENSO_IJSG_SG_EEES6_PlJS6_EEE10hipError_tPvRmT3_T4_T5_T6_T7_T9_mT8_P12ihipStream_tbDpT10_ENKUlT_T0_E_clISt17integral_constantIbLb0EES1B_EEDaS16_S17_EUlS16_E_NS1_11comp_targetILNS1_3genE0ELNS1_11target_archE4294967295ELNS1_3gpuE0ELNS1_3repE0EEENS1_30default_config_static_selectorELNS0_4arch9wavefront6targetE0EEEvT1_: ; @_ZN7rocprim17ROCPRIM_400000_NS6detail17trampoline_kernelINS0_14default_configENS1_25partition_config_selectorILNS1_17partition_subalgoE5EyNS0_10empty_typeEbEEZZNS1_14partition_implILS5_5ELb0ES3_mN6thrust23THRUST_200600_302600_NS6detail15normal_iteratorINSA_10device_ptrIyEEEEPS6_NSA_18transform_iteratorINSB_9not_fun_tI7is_trueIyEEESF_NSA_11use_defaultESM_EENS0_5tupleIJSF_S6_EEENSO_IJSG_SG_EEES6_PlJS6_EEE10hipError_tPvRmT3_T4_T5_T6_T7_T9_mT8_P12ihipStream_tbDpT10_ENKUlT_T0_E_clISt17integral_constantIbLb0EES1B_EEDaS16_S17_EUlS16_E_NS1_11comp_targetILNS1_3genE0ELNS1_11target_archE4294967295ELNS1_3gpuE0ELNS1_3repE0EEENS1_30default_config_static_selectorELNS0_4arch9wavefront6targetE0EEEvT1_
; %bb.0:
	.section	.rodata,"a",@progbits
	.p2align	6, 0x0
	.amdhsa_kernel _ZN7rocprim17ROCPRIM_400000_NS6detail17trampoline_kernelINS0_14default_configENS1_25partition_config_selectorILNS1_17partition_subalgoE5EyNS0_10empty_typeEbEEZZNS1_14partition_implILS5_5ELb0ES3_mN6thrust23THRUST_200600_302600_NS6detail15normal_iteratorINSA_10device_ptrIyEEEEPS6_NSA_18transform_iteratorINSB_9not_fun_tI7is_trueIyEEESF_NSA_11use_defaultESM_EENS0_5tupleIJSF_S6_EEENSO_IJSG_SG_EEES6_PlJS6_EEE10hipError_tPvRmT3_T4_T5_T6_T7_T9_mT8_P12ihipStream_tbDpT10_ENKUlT_T0_E_clISt17integral_constantIbLb0EES1B_EEDaS16_S17_EUlS16_E_NS1_11comp_targetILNS1_3genE0ELNS1_11target_archE4294967295ELNS1_3gpuE0ELNS1_3repE0EEENS1_30default_config_static_selectorELNS0_4arch9wavefront6targetE0EEEvT1_
		.amdhsa_group_segment_fixed_size 0
		.amdhsa_private_segment_fixed_size 0
		.amdhsa_kernarg_size 120
		.amdhsa_user_sgpr_count 2
		.amdhsa_user_sgpr_dispatch_ptr 0
		.amdhsa_user_sgpr_queue_ptr 0
		.amdhsa_user_sgpr_kernarg_segment_ptr 1
		.amdhsa_user_sgpr_dispatch_id 0
		.amdhsa_user_sgpr_private_segment_size 0
		.amdhsa_wavefront_size32 1
		.amdhsa_uses_dynamic_stack 0
		.amdhsa_enable_private_segment 0
		.amdhsa_system_sgpr_workgroup_id_x 1
		.amdhsa_system_sgpr_workgroup_id_y 0
		.amdhsa_system_sgpr_workgroup_id_z 0
		.amdhsa_system_sgpr_workgroup_info 0
		.amdhsa_system_vgpr_workitem_id 0
		.amdhsa_next_free_vgpr 1
		.amdhsa_next_free_sgpr 1
		.amdhsa_reserve_vcc 0
		.amdhsa_float_round_mode_32 0
		.amdhsa_float_round_mode_16_64 0
		.amdhsa_float_denorm_mode_32 3
		.amdhsa_float_denorm_mode_16_64 3
		.amdhsa_fp16_overflow 0
		.amdhsa_workgroup_processor_mode 1
		.amdhsa_memory_ordered 1
		.amdhsa_forward_progress 1
		.amdhsa_inst_pref_size 0
		.amdhsa_round_robin_scheduling 0
		.amdhsa_exception_fp_ieee_invalid_op 0
		.amdhsa_exception_fp_denorm_src 0
		.amdhsa_exception_fp_ieee_div_zero 0
		.amdhsa_exception_fp_ieee_overflow 0
		.amdhsa_exception_fp_ieee_underflow 0
		.amdhsa_exception_fp_ieee_inexact 0
		.amdhsa_exception_int_div_zero 0
	.end_amdhsa_kernel
	.section	.text._ZN7rocprim17ROCPRIM_400000_NS6detail17trampoline_kernelINS0_14default_configENS1_25partition_config_selectorILNS1_17partition_subalgoE5EyNS0_10empty_typeEbEEZZNS1_14partition_implILS5_5ELb0ES3_mN6thrust23THRUST_200600_302600_NS6detail15normal_iteratorINSA_10device_ptrIyEEEEPS6_NSA_18transform_iteratorINSB_9not_fun_tI7is_trueIyEEESF_NSA_11use_defaultESM_EENS0_5tupleIJSF_S6_EEENSO_IJSG_SG_EEES6_PlJS6_EEE10hipError_tPvRmT3_T4_T5_T6_T7_T9_mT8_P12ihipStream_tbDpT10_ENKUlT_T0_E_clISt17integral_constantIbLb0EES1B_EEDaS16_S17_EUlS16_E_NS1_11comp_targetILNS1_3genE0ELNS1_11target_archE4294967295ELNS1_3gpuE0ELNS1_3repE0EEENS1_30default_config_static_selectorELNS0_4arch9wavefront6targetE0EEEvT1_,"axG",@progbits,_ZN7rocprim17ROCPRIM_400000_NS6detail17trampoline_kernelINS0_14default_configENS1_25partition_config_selectorILNS1_17partition_subalgoE5EyNS0_10empty_typeEbEEZZNS1_14partition_implILS5_5ELb0ES3_mN6thrust23THRUST_200600_302600_NS6detail15normal_iteratorINSA_10device_ptrIyEEEEPS6_NSA_18transform_iteratorINSB_9not_fun_tI7is_trueIyEEESF_NSA_11use_defaultESM_EENS0_5tupleIJSF_S6_EEENSO_IJSG_SG_EEES6_PlJS6_EEE10hipError_tPvRmT3_T4_T5_T6_T7_T9_mT8_P12ihipStream_tbDpT10_ENKUlT_T0_E_clISt17integral_constantIbLb0EES1B_EEDaS16_S17_EUlS16_E_NS1_11comp_targetILNS1_3genE0ELNS1_11target_archE4294967295ELNS1_3gpuE0ELNS1_3repE0EEENS1_30default_config_static_selectorELNS0_4arch9wavefront6targetE0EEEvT1_,comdat
.Lfunc_end1368:
	.size	_ZN7rocprim17ROCPRIM_400000_NS6detail17trampoline_kernelINS0_14default_configENS1_25partition_config_selectorILNS1_17partition_subalgoE5EyNS0_10empty_typeEbEEZZNS1_14partition_implILS5_5ELb0ES3_mN6thrust23THRUST_200600_302600_NS6detail15normal_iteratorINSA_10device_ptrIyEEEEPS6_NSA_18transform_iteratorINSB_9not_fun_tI7is_trueIyEEESF_NSA_11use_defaultESM_EENS0_5tupleIJSF_S6_EEENSO_IJSG_SG_EEES6_PlJS6_EEE10hipError_tPvRmT3_T4_T5_T6_T7_T9_mT8_P12ihipStream_tbDpT10_ENKUlT_T0_E_clISt17integral_constantIbLb0EES1B_EEDaS16_S17_EUlS16_E_NS1_11comp_targetILNS1_3genE0ELNS1_11target_archE4294967295ELNS1_3gpuE0ELNS1_3repE0EEENS1_30default_config_static_selectorELNS0_4arch9wavefront6targetE0EEEvT1_, .Lfunc_end1368-_ZN7rocprim17ROCPRIM_400000_NS6detail17trampoline_kernelINS0_14default_configENS1_25partition_config_selectorILNS1_17partition_subalgoE5EyNS0_10empty_typeEbEEZZNS1_14partition_implILS5_5ELb0ES3_mN6thrust23THRUST_200600_302600_NS6detail15normal_iteratorINSA_10device_ptrIyEEEEPS6_NSA_18transform_iteratorINSB_9not_fun_tI7is_trueIyEEESF_NSA_11use_defaultESM_EENS0_5tupleIJSF_S6_EEENSO_IJSG_SG_EEES6_PlJS6_EEE10hipError_tPvRmT3_T4_T5_T6_T7_T9_mT8_P12ihipStream_tbDpT10_ENKUlT_T0_E_clISt17integral_constantIbLb0EES1B_EEDaS16_S17_EUlS16_E_NS1_11comp_targetILNS1_3genE0ELNS1_11target_archE4294967295ELNS1_3gpuE0ELNS1_3repE0EEENS1_30default_config_static_selectorELNS0_4arch9wavefront6targetE0EEEvT1_
                                        ; -- End function
	.set _ZN7rocprim17ROCPRIM_400000_NS6detail17trampoline_kernelINS0_14default_configENS1_25partition_config_selectorILNS1_17partition_subalgoE5EyNS0_10empty_typeEbEEZZNS1_14partition_implILS5_5ELb0ES3_mN6thrust23THRUST_200600_302600_NS6detail15normal_iteratorINSA_10device_ptrIyEEEEPS6_NSA_18transform_iteratorINSB_9not_fun_tI7is_trueIyEEESF_NSA_11use_defaultESM_EENS0_5tupleIJSF_S6_EEENSO_IJSG_SG_EEES6_PlJS6_EEE10hipError_tPvRmT3_T4_T5_T6_T7_T9_mT8_P12ihipStream_tbDpT10_ENKUlT_T0_E_clISt17integral_constantIbLb0EES1B_EEDaS16_S17_EUlS16_E_NS1_11comp_targetILNS1_3genE0ELNS1_11target_archE4294967295ELNS1_3gpuE0ELNS1_3repE0EEENS1_30default_config_static_selectorELNS0_4arch9wavefront6targetE0EEEvT1_.num_vgpr, 0
	.set _ZN7rocprim17ROCPRIM_400000_NS6detail17trampoline_kernelINS0_14default_configENS1_25partition_config_selectorILNS1_17partition_subalgoE5EyNS0_10empty_typeEbEEZZNS1_14partition_implILS5_5ELb0ES3_mN6thrust23THRUST_200600_302600_NS6detail15normal_iteratorINSA_10device_ptrIyEEEEPS6_NSA_18transform_iteratorINSB_9not_fun_tI7is_trueIyEEESF_NSA_11use_defaultESM_EENS0_5tupleIJSF_S6_EEENSO_IJSG_SG_EEES6_PlJS6_EEE10hipError_tPvRmT3_T4_T5_T6_T7_T9_mT8_P12ihipStream_tbDpT10_ENKUlT_T0_E_clISt17integral_constantIbLb0EES1B_EEDaS16_S17_EUlS16_E_NS1_11comp_targetILNS1_3genE0ELNS1_11target_archE4294967295ELNS1_3gpuE0ELNS1_3repE0EEENS1_30default_config_static_selectorELNS0_4arch9wavefront6targetE0EEEvT1_.num_agpr, 0
	.set _ZN7rocprim17ROCPRIM_400000_NS6detail17trampoline_kernelINS0_14default_configENS1_25partition_config_selectorILNS1_17partition_subalgoE5EyNS0_10empty_typeEbEEZZNS1_14partition_implILS5_5ELb0ES3_mN6thrust23THRUST_200600_302600_NS6detail15normal_iteratorINSA_10device_ptrIyEEEEPS6_NSA_18transform_iteratorINSB_9not_fun_tI7is_trueIyEEESF_NSA_11use_defaultESM_EENS0_5tupleIJSF_S6_EEENSO_IJSG_SG_EEES6_PlJS6_EEE10hipError_tPvRmT3_T4_T5_T6_T7_T9_mT8_P12ihipStream_tbDpT10_ENKUlT_T0_E_clISt17integral_constantIbLb0EES1B_EEDaS16_S17_EUlS16_E_NS1_11comp_targetILNS1_3genE0ELNS1_11target_archE4294967295ELNS1_3gpuE0ELNS1_3repE0EEENS1_30default_config_static_selectorELNS0_4arch9wavefront6targetE0EEEvT1_.numbered_sgpr, 0
	.set _ZN7rocprim17ROCPRIM_400000_NS6detail17trampoline_kernelINS0_14default_configENS1_25partition_config_selectorILNS1_17partition_subalgoE5EyNS0_10empty_typeEbEEZZNS1_14partition_implILS5_5ELb0ES3_mN6thrust23THRUST_200600_302600_NS6detail15normal_iteratorINSA_10device_ptrIyEEEEPS6_NSA_18transform_iteratorINSB_9not_fun_tI7is_trueIyEEESF_NSA_11use_defaultESM_EENS0_5tupleIJSF_S6_EEENSO_IJSG_SG_EEES6_PlJS6_EEE10hipError_tPvRmT3_T4_T5_T6_T7_T9_mT8_P12ihipStream_tbDpT10_ENKUlT_T0_E_clISt17integral_constantIbLb0EES1B_EEDaS16_S17_EUlS16_E_NS1_11comp_targetILNS1_3genE0ELNS1_11target_archE4294967295ELNS1_3gpuE0ELNS1_3repE0EEENS1_30default_config_static_selectorELNS0_4arch9wavefront6targetE0EEEvT1_.num_named_barrier, 0
	.set _ZN7rocprim17ROCPRIM_400000_NS6detail17trampoline_kernelINS0_14default_configENS1_25partition_config_selectorILNS1_17partition_subalgoE5EyNS0_10empty_typeEbEEZZNS1_14partition_implILS5_5ELb0ES3_mN6thrust23THRUST_200600_302600_NS6detail15normal_iteratorINSA_10device_ptrIyEEEEPS6_NSA_18transform_iteratorINSB_9not_fun_tI7is_trueIyEEESF_NSA_11use_defaultESM_EENS0_5tupleIJSF_S6_EEENSO_IJSG_SG_EEES6_PlJS6_EEE10hipError_tPvRmT3_T4_T5_T6_T7_T9_mT8_P12ihipStream_tbDpT10_ENKUlT_T0_E_clISt17integral_constantIbLb0EES1B_EEDaS16_S17_EUlS16_E_NS1_11comp_targetILNS1_3genE0ELNS1_11target_archE4294967295ELNS1_3gpuE0ELNS1_3repE0EEENS1_30default_config_static_selectorELNS0_4arch9wavefront6targetE0EEEvT1_.private_seg_size, 0
	.set _ZN7rocprim17ROCPRIM_400000_NS6detail17trampoline_kernelINS0_14default_configENS1_25partition_config_selectorILNS1_17partition_subalgoE5EyNS0_10empty_typeEbEEZZNS1_14partition_implILS5_5ELb0ES3_mN6thrust23THRUST_200600_302600_NS6detail15normal_iteratorINSA_10device_ptrIyEEEEPS6_NSA_18transform_iteratorINSB_9not_fun_tI7is_trueIyEEESF_NSA_11use_defaultESM_EENS0_5tupleIJSF_S6_EEENSO_IJSG_SG_EEES6_PlJS6_EEE10hipError_tPvRmT3_T4_T5_T6_T7_T9_mT8_P12ihipStream_tbDpT10_ENKUlT_T0_E_clISt17integral_constantIbLb0EES1B_EEDaS16_S17_EUlS16_E_NS1_11comp_targetILNS1_3genE0ELNS1_11target_archE4294967295ELNS1_3gpuE0ELNS1_3repE0EEENS1_30default_config_static_selectorELNS0_4arch9wavefront6targetE0EEEvT1_.uses_vcc, 0
	.set _ZN7rocprim17ROCPRIM_400000_NS6detail17trampoline_kernelINS0_14default_configENS1_25partition_config_selectorILNS1_17partition_subalgoE5EyNS0_10empty_typeEbEEZZNS1_14partition_implILS5_5ELb0ES3_mN6thrust23THRUST_200600_302600_NS6detail15normal_iteratorINSA_10device_ptrIyEEEEPS6_NSA_18transform_iteratorINSB_9not_fun_tI7is_trueIyEEESF_NSA_11use_defaultESM_EENS0_5tupleIJSF_S6_EEENSO_IJSG_SG_EEES6_PlJS6_EEE10hipError_tPvRmT3_T4_T5_T6_T7_T9_mT8_P12ihipStream_tbDpT10_ENKUlT_T0_E_clISt17integral_constantIbLb0EES1B_EEDaS16_S17_EUlS16_E_NS1_11comp_targetILNS1_3genE0ELNS1_11target_archE4294967295ELNS1_3gpuE0ELNS1_3repE0EEENS1_30default_config_static_selectorELNS0_4arch9wavefront6targetE0EEEvT1_.uses_flat_scratch, 0
	.set _ZN7rocprim17ROCPRIM_400000_NS6detail17trampoline_kernelINS0_14default_configENS1_25partition_config_selectorILNS1_17partition_subalgoE5EyNS0_10empty_typeEbEEZZNS1_14partition_implILS5_5ELb0ES3_mN6thrust23THRUST_200600_302600_NS6detail15normal_iteratorINSA_10device_ptrIyEEEEPS6_NSA_18transform_iteratorINSB_9not_fun_tI7is_trueIyEEESF_NSA_11use_defaultESM_EENS0_5tupleIJSF_S6_EEENSO_IJSG_SG_EEES6_PlJS6_EEE10hipError_tPvRmT3_T4_T5_T6_T7_T9_mT8_P12ihipStream_tbDpT10_ENKUlT_T0_E_clISt17integral_constantIbLb0EES1B_EEDaS16_S17_EUlS16_E_NS1_11comp_targetILNS1_3genE0ELNS1_11target_archE4294967295ELNS1_3gpuE0ELNS1_3repE0EEENS1_30default_config_static_selectorELNS0_4arch9wavefront6targetE0EEEvT1_.has_dyn_sized_stack, 0
	.set _ZN7rocprim17ROCPRIM_400000_NS6detail17trampoline_kernelINS0_14default_configENS1_25partition_config_selectorILNS1_17partition_subalgoE5EyNS0_10empty_typeEbEEZZNS1_14partition_implILS5_5ELb0ES3_mN6thrust23THRUST_200600_302600_NS6detail15normal_iteratorINSA_10device_ptrIyEEEEPS6_NSA_18transform_iteratorINSB_9not_fun_tI7is_trueIyEEESF_NSA_11use_defaultESM_EENS0_5tupleIJSF_S6_EEENSO_IJSG_SG_EEES6_PlJS6_EEE10hipError_tPvRmT3_T4_T5_T6_T7_T9_mT8_P12ihipStream_tbDpT10_ENKUlT_T0_E_clISt17integral_constantIbLb0EES1B_EEDaS16_S17_EUlS16_E_NS1_11comp_targetILNS1_3genE0ELNS1_11target_archE4294967295ELNS1_3gpuE0ELNS1_3repE0EEENS1_30default_config_static_selectorELNS0_4arch9wavefront6targetE0EEEvT1_.has_recursion, 0
	.set _ZN7rocprim17ROCPRIM_400000_NS6detail17trampoline_kernelINS0_14default_configENS1_25partition_config_selectorILNS1_17partition_subalgoE5EyNS0_10empty_typeEbEEZZNS1_14partition_implILS5_5ELb0ES3_mN6thrust23THRUST_200600_302600_NS6detail15normal_iteratorINSA_10device_ptrIyEEEEPS6_NSA_18transform_iteratorINSB_9not_fun_tI7is_trueIyEEESF_NSA_11use_defaultESM_EENS0_5tupleIJSF_S6_EEENSO_IJSG_SG_EEES6_PlJS6_EEE10hipError_tPvRmT3_T4_T5_T6_T7_T9_mT8_P12ihipStream_tbDpT10_ENKUlT_T0_E_clISt17integral_constantIbLb0EES1B_EEDaS16_S17_EUlS16_E_NS1_11comp_targetILNS1_3genE0ELNS1_11target_archE4294967295ELNS1_3gpuE0ELNS1_3repE0EEENS1_30default_config_static_selectorELNS0_4arch9wavefront6targetE0EEEvT1_.has_indirect_call, 0
	.section	.AMDGPU.csdata,"",@progbits
; Kernel info:
; codeLenInByte = 0
; TotalNumSgprs: 0
; NumVgprs: 0
; ScratchSize: 0
; MemoryBound: 0
; FloatMode: 240
; IeeeMode: 1
; LDSByteSize: 0 bytes/workgroup (compile time only)
; SGPRBlocks: 0
; VGPRBlocks: 0
; NumSGPRsForWavesPerEU: 1
; NumVGPRsForWavesPerEU: 1
; Occupancy: 16
; WaveLimiterHint : 0
; COMPUTE_PGM_RSRC2:SCRATCH_EN: 0
; COMPUTE_PGM_RSRC2:USER_SGPR: 2
; COMPUTE_PGM_RSRC2:TRAP_HANDLER: 0
; COMPUTE_PGM_RSRC2:TGID_X_EN: 1
; COMPUTE_PGM_RSRC2:TGID_Y_EN: 0
; COMPUTE_PGM_RSRC2:TGID_Z_EN: 0
; COMPUTE_PGM_RSRC2:TIDIG_COMP_CNT: 0
	.section	.text._ZN7rocprim17ROCPRIM_400000_NS6detail17trampoline_kernelINS0_14default_configENS1_25partition_config_selectorILNS1_17partition_subalgoE5EyNS0_10empty_typeEbEEZZNS1_14partition_implILS5_5ELb0ES3_mN6thrust23THRUST_200600_302600_NS6detail15normal_iteratorINSA_10device_ptrIyEEEEPS6_NSA_18transform_iteratorINSB_9not_fun_tI7is_trueIyEEESF_NSA_11use_defaultESM_EENS0_5tupleIJSF_S6_EEENSO_IJSG_SG_EEES6_PlJS6_EEE10hipError_tPvRmT3_T4_T5_T6_T7_T9_mT8_P12ihipStream_tbDpT10_ENKUlT_T0_E_clISt17integral_constantIbLb0EES1B_EEDaS16_S17_EUlS16_E_NS1_11comp_targetILNS1_3genE5ELNS1_11target_archE942ELNS1_3gpuE9ELNS1_3repE0EEENS1_30default_config_static_selectorELNS0_4arch9wavefront6targetE0EEEvT1_,"axG",@progbits,_ZN7rocprim17ROCPRIM_400000_NS6detail17trampoline_kernelINS0_14default_configENS1_25partition_config_selectorILNS1_17partition_subalgoE5EyNS0_10empty_typeEbEEZZNS1_14partition_implILS5_5ELb0ES3_mN6thrust23THRUST_200600_302600_NS6detail15normal_iteratorINSA_10device_ptrIyEEEEPS6_NSA_18transform_iteratorINSB_9not_fun_tI7is_trueIyEEESF_NSA_11use_defaultESM_EENS0_5tupleIJSF_S6_EEENSO_IJSG_SG_EEES6_PlJS6_EEE10hipError_tPvRmT3_T4_T5_T6_T7_T9_mT8_P12ihipStream_tbDpT10_ENKUlT_T0_E_clISt17integral_constantIbLb0EES1B_EEDaS16_S17_EUlS16_E_NS1_11comp_targetILNS1_3genE5ELNS1_11target_archE942ELNS1_3gpuE9ELNS1_3repE0EEENS1_30default_config_static_selectorELNS0_4arch9wavefront6targetE0EEEvT1_,comdat
	.protected	_ZN7rocprim17ROCPRIM_400000_NS6detail17trampoline_kernelINS0_14default_configENS1_25partition_config_selectorILNS1_17partition_subalgoE5EyNS0_10empty_typeEbEEZZNS1_14partition_implILS5_5ELb0ES3_mN6thrust23THRUST_200600_302600_NS6detail15normal_iteratorINSA_10device_ptrIyEEEEPS6_NSA_18transform_iteratorINSB_9not_fun_tI7is_trueIyEEESF_NSA_11use_defaultESM_EENS0_5tupleIJSF_S6_EEENSO_IJSG_SG_EEES6_PlJS6_EEE10hipError_tPvRmT3_T4_T5_T6_T7_T9_mT8_P12ihipStream_tbDpT10_ENKUlT_T0_E_clISt17integral_constantIbLb0EES1B_EEDaS16_S17_EUlS16_E_NS1_11comp_targetILNS1_3genE5ELNS1_11target_archE942ELNS1_3gpuE9ELNS1_3repE0EEENS1_30default_config_static_selectorELNS0_4arch9wavefront6targetE0EEEvT1_ ; -- Begin function _ZN7rocprim17ROCPRIM_400000_NS6detail17trampoline_kernelINS0_14default_configENS1_25partition_config_selectorILNS1_17partition_subalgoE5EyNS0_10empty_typeEbEEZZNS1_14partition_implILS5_5ELb0ES3_mN6thrust23THRUST_200600_302600_NS6detail15normal_iteratorINSA_10device_ptrIyEEEEPS6_NSA_18transform_iteratorINSB_9not_fun_tI7is_trueIyEEESF_NSA_11use_defaultESM_EENS0_5tupleIJSF_S6_EEENSO_IJSG_SG_EEES6_PlJS6_EEE10hipError_tPvRmT3_T4_T5_T6_T7_T9_mT8_P12ihipStream_tbDpT10_ENKUlT_T0_E_clISt17integral_constantIbLb0EES1B_EEDaS16_S17_EUlS16_E_NS1_11comp_targetILNS1_3genE5ELNS1_11target_archE942ELNS1_3gpuE9ELNS1_3repE0EEENS1_30default_config_static_selectorELNS0_4arch9wavefront6targetE0EEEvT1_
	.globl	_ZN7rocprim17ROCPRIM_400000_NS6detail17trampoline_kernelINS0_14default_configENS1_25partition_config_selectorILNS1_17partition_subalgoE5EyNS0_10empty_typeEbEEZZNS1_14partition_implILS5_5ELb0ES3_mN6thrust23THRUST_200600_302600_NS6detail15normal_iteratorINSA_10device_ptrIyEEEEPS6_NSA_18transform_iteratorINSB_9not_fun_tI7is_trueIyEEESF_NSA_11use_defaultESM_EENS0_5tupleIJSF_S6_EEENSO_IJSG_SG_EEES6_PlJS6_EEE10hipError_tPvRmT3_T4_T5_T6_T7_T9_mT8_P12ihipStream_tbDpT10_ENKUlT_T0_E_clISt17integral_constantIbLb0EES1B_EEDaS16_S17_EUlS16_E_NS1_11comp_targetILNS1_3genE5ELNS1_11target_archE942ELNS1_3gpuE9ELNS1_3repE0EEENS1_30default_config_static_selectorELNS0_4arch9wavefront6targetE0EEEvT1_
	.p2align	8
	.type	_ZN7rocprim17ROCPRIM_400000_NS6detail17trampoline_kernelINS0_14default_configENS1_25partition_config_selectorILNS1_17partition_subalgoE5EyNS0_10empty_typeEbEEZZNS1_14partition_implILS5_5ELb0ES3_mN6thrust23THRUST_200600_302600_NS6detail15normal_iteratorINSA_10device_ptrIyEEEEPS6_NSA_18transform_iteratorINSB_9not_fun_tI7is_trueIyEEESF_NSA_11use_defaultESM_EENS0_5tupleIJSF_S6_EEENSO_IJSG_SG_EEES6_PlJS6_EEE10hipError_tPvRmT3_T4_T5_T6_T7_T9_mT8_P12ihipStream_tbDpT10_ENKUlT_T0_E_clISt17integral_constantIbLb0EES1B_EEDaS16_S17_EUlS16_E_NS1_11comp_targetILNS1_3genE5ELNS1_11target_archE942ELNS1_3gpuE9ELNS1_3repE0EEENS1_30default_config_static_selectorELNS0_4arch9wavefront6targetE0EEEvT1_,@function
_ZN7rocprim17ROCPRIM_400000_NS6detail17trampoline_kernelINS0_14default_configENS1_25partition_config_selectorILNS1_17partition_subalgoE5EyNS0_10empty_typeEbEEZZNS1_14partition_implILS5_5ELb0ES3_mN6thrust23THRUST_200600_302600_NS6detail15normal_iteratorINSA_10device_ptrIyEEEEPS6_NSA_18transform_iteratorINSB_9not_fun_tI7is_trueIyEEESF_NSA_11use_defaultESM_EENS0_5tupleIJSF_S6_EEENSO_IJSG_SG_EEES6_PlJS6_EEE10hipError_tPvRmT3_T4_T5_T6_T7_T9_mT8_P12ihipStream_tbDpT10_ENKUlT_T0_E_clISt17integral_constantIbLb0EES1B_EEDaS16_S17_EUlS16_E_NS1_11comp_targetILNS1_3genE5ELNS1_11target_archE942ELNS1_3gpuE9ELNS1_3repE0EEENS1_30default_config_static_selectorELNS0_4arch9wavefront6targetE0EEEvT1_: ; @_ZN7rocprim17ROCPRIM_400000_NS6detail17trampoline_kernelINS0_14default_configENS1_25partition_config_selectorILNS1_17partition_subalgoE5EyNS0_10empty_typeEbEEZZNS1_14partition_implILS5_5ELb0ES3_mN6thrust23THRUST_200600_302600_NS6detail15normal_iteratorINSA_10device_ptrIyEEEEPS6_NSA_18transform_iteratorINSB_9not_fun_tI7is_trueIyEEESF_NSA_11use_defaultESM_EENS0_5tupleIJSF_S6_EEENSO_IJSG_SG_EEES6_PlJS6_EEE10hipError_tPvRmT3_T4_T5_T6_T7_T9_mT8_P12ihipStream_tbDpT10_ENKUlT_T0_E_clISt17integral_constantIbLb0EES1B_EEDaS16_S17_EUlS16_E_NS1_11comp_targetILNS1_3genE5ELNS1_11target_archE942ELNS1_3gpuE9ELNS1_3repE0EEENS1_30default_config_static_selectorELNS0_4arch9wavefront6targetE0EEEvT1_
; %bb.0:
	.section	.rodata,"a",@progbits
	.p2align	6, 0x0
	.amdhsa_kernel _ZN7rocprim17ROCPRIM_400000_NS6detail17trampoline_kernelINS0_14default_configENS1_25partition_config_selectorILNS1_17partition_subalgoE5EyNS0_10empty_typeEbEEZZNS1_14partition_implILS5_5ELb0ES3_mN6thrust23THRUST_200600_302600_NS6detail15normal_iteratorINSA_10device_ptrIyEEEEPS6_NSA_18transform_iteratorINSB_9not_fun_tI7is_trueIyEEESF_NSA_11use_defaultESM_EENS0_5tupleIJSF_S6_EEENSO_IJSG_SG_EEES6_PlJS6_EEE10hipError_tPvRmT3_T4_T5_T6_T7_T9_mT8_P12ihipStream_tbDpT10_ENKUlT_T0_E_clISt17integral_constantIbLb0EES1B_EEDaS16_S17_EUlS16_E_NS1_11comp_targetILNS1_3genE5ELNS1_11target_archE942ELNS1_3gpuE9ELNS1_3repE0EEENS1_30default_config_static_selectorELNS0_4arch9wavefront6targetE0EEEvT1_
		.amdhsa_group_segment_fixed_size 0
		.amdhsa_private_segment_fixed_size 0
		.amdhsa_kernarg_size 120
		.amdhsa_user_sgpr_count 2
		.amdhsa_user_sgpr_dispatch_ptr 0
		.amdhsa_user_sgpr_queue_ptr 0
		.amdhsa_user_sgpr_kernarg_segment_ptr 1
		.amdhsa_user_sgpr_dispatch_id 0
		.amdhsa_user_sgpr_private_segment_size 0
		.amdhsa_wavefront_size32 1
		.amdhsa_uses_dynamic_stack 0
		.amdhsa_enable_private_segment 0
		.amdhsa_system_sgpr_workgroup_id_x 1
		.amdhsa_system_sgpr_workgroup_id_y 0
		.amdhsa_system_sgpr_workgroup_id_z 0
		.amdhsa_system_sgpr_workgroup_info 0
		.amdhsa_system_vgpr_workitem_id 0
		.amdhsa_next_free_vgpr 1
		.amdhsa_next_free_sgpr 1
		.amdhsa_reserve_vcc 0
		.amdhsa_float_round_mode_32 0
		.amdhsa_float_round_mode_16_64 0
		.amdhsa_float_denorm_mode_32 3
		.amdhsa_float_denorm_mode_16_64 3
		.amdhsa_fp16_overflow 0
		.amdhsa_workgroup_processor_mode 1
		.amdhsa_memory_ordered 1
		.amdhsa_forward_progress 1
		.amdhsa_inst_pref_size 0
		.amdhsa_round_robin_scheduling 0
		.amdhsa_exception_fp_ieee_invalid_op 0
		.amdhsa_exception_fp_denorm_src 0
		.amdhsa_exception_fp_ieee_div_zero 0
		.amdhsa_exception_fp_ieee_overflow 0
		.amdhsa_exception_fp_ieee_underflow 0
		.amdhsa_exception_fp_ieee_inexact 0
		.amdhsa_exception_int_div_zero 0
	.end_amdhsa_kernel
	.section	.text._ZN7rocprim17ROCPRIM_400000_NS6detail17trampoline_kernelINS0_14default_configENS1_25partition_config_selectorILNS1_17partition_subalgoE5EyNS0_10empty_typeEbEEZZNS1_14partition_implILS5_5ELb0ES3_mN6thrust23THRUST_200600_302600_NS6detail15normal_iteratorINSA_10device_ptrIyEEEEPS6_NSA_18transform_iteratorINSB_9not_fun_tI7is_trueIyEEESF_NSA_11use_defaultESM_EENS0_5tupleIJSF_S6_EEENSO_IJSG_SG_EEES6_PlJS6_EEE10hipError_tPvRmT3_T4_T5_T6_T7_T9_mT8_P12ihipStream_tbDpT10_ENKUlT_T0_E_clISt17integral_constantIbLb0EES1B_EEDaS16_S17_EUlS16_E_NS1_11comp_targetILNS1_3genE5ELNS1_11target_archE942ELNS1_3gpuE9ELNS1_3repE0EEENS1_30default_config_static_selectorELNS0_4arch9wavefront6targetE0EEEvT1_,"axG",@progbits,_ZN7rocprim17ROCPRIM_400000_NS6detail17trampoline_kernelINS0_14default_configENS1_25partition_config_selectorILNS1_17partition_subalgoE5EyNS0_10empty_typeEbEEZZNS1_14partition_implILS5_5ELb0ES3_mN6thrust23THRUST_200600_302600_NS6detail15normal_iteratorINSA_10device_ptrIyEEEEPS6_NSA_18transform_iteratorINSB_9not_fun_tI7is_trueIyEEESF_NSA_11use_defaultESM_EENS0_5tupleIJSF_S6_EEENSO_IJSG_SG_EEES6_PlJS6_EEE10hipError_tPvRmT3_T4_T5_T6_T7_T9_mT8_P12ihipStream_tbDpT10_ENKUlT_T0_E_clISt17integral_constantIbLb0EES1B_EEDaS16_S17_EUlS16_E_NS1_11comp_targetILNS1_3genE5ELNS1_11target_archE942ELNS1_3gpuE9ELNS1_3repE0EEENS1_30default_config_static_selectorELNS0_4arch9wavefront6targetE0EEEvT1_,comdat
.Lfunc_end1369:
	.size	_ZN7rocprim17ROCPRIM_400000_NS6detail17trampoline_kernelINS0_14default_configENS1_25partition_config_selectorILNS1_17partition_subalgoE5EyNS0_10empty_typeEbEEZZNS1_14partition_implILS5_5ELb0ES3_mN6thrust23THRUST_200600_302600_NS6detail15normal_iteratorINSA_10device_ptrIyEEEEPS6_NSA_18transform_iteratorINSB_9not_fun_tI7is_trueIyEEESF_NSA_11use_defaultESM_EENS0_5tupleIJSF_S6_EEENSO_IJSG_SG_EEES6_PlJS6_EEE10hipError_tPvRmT3_T4_T5_T6_T7_T9_mT8_P12ihipStream_tbDpT10_ENKUlT_T0_E_clISt17integral_constantIbLb0EES1B_EEDaS16_S17_EUlS16_E_NS1_11comp_targetILNS1_3genE5ELNS1_11target_archE942ELNS1_3gpuE9ELNS1_3repE0EEENS1_30default_config_static_selectorELNS0_4arch9wavefront6targetE0EEEvT1_, .Lfunc_end1369-_ZN7rocprim17ROCPRIM_400000_NS6detail17trampoline_kernelINS0_14default_configENS1_25partition_config_selectorILNS1_17partition_subalgoE5EyNS0_10empty_typeEbEEZZNS1_14partition_implILS5_5ELb0ES3_mN6thrust23THRUST_200600_302600_NS6detail15normal_iteratorINSA_10device_ptrIyEEEEPS6_NSA_18transform_iteratorINSB_9not_fun_tI7is_trueIyEEESF_NSA_11use_defaultESM_EENS0_5tupleIJSF_S6_EEENSO_IJSG_SG_EEES6_PlJS6_EEE10hipError_tPvRmT3_T4_T5_T6_T7_T9_mT8_P12ihipStream_tbDpT10_ENKUlT_T0_E_clISt17integral_constantIbLb0EES1B_EEDaS16_S17_EUlS16_E_NS1_11comp_targetILNS1_3genE5ELNS1_11target_archE942ELNS1_3gpuE9ELNS1_3repE0EEENS1_30default_config_static_selectorELNS0_4arch9wavefront6targetE0EEEvT1_
                                        ; -- End function
	.set _ZN7rocprim17ROCPRIM_400000_NS6detail17trampoline_kernelINS0_14default_configENS1_25partition_config_selectorILNS1_17partition_subalgoE5EyNS0_10empty_typeEbEEZZNS1_14partition_implILS5_5ELb0ES3_mN6thrust23THRUST_200600_302600_NS6detail15normal_iteratorINSA_10device_ptrIyEEEEPS6_NSA_18transform_iteratorINSB_9not_fun_tI7is_trueIyEEESF_NSA_11use_defaultESM_EENS0_5tupleIJSF_S6_EEENSO_IJSG_SG_EEES6_PlJS6_EEE10hipError_tPvRmT3_T4_T5_T6_T7_T9_mT8_P12ihipStream_tbDpT10_ENKUlT_T0_E_clISt17integral_constantIbLb0EES1B_EEDaS16_S17_EUlS16_E_NS1_11comp_targetILNS1_3genE5ELNS1_11target_archE942ELNS1_3gpuE9ELNS1_3repE0EEENS1_30default_config_static_selectorELNS0_4arch9wavefront6targetE0EEEvT1_.num_vgpr, 0
	.set _ZN7rocprim17ROCPRIM_400000_NS6detail17trampoline_kernelINS0_14default_configENS1_25partition_config_selectorILNS1_17partition_subalgoE5EyNS0_10empty_typeEbEEZZNS1_14partition_implILS5_5ELb0ES3_mN6thrust23THRUST_200600_302600_NS6detail15normal_iteratorINSA_10device_ptrIyEEEEPS6_NSA_18transform_iteratorINSB_9not_fun_tI7is_trueIyEEESF_NSA_11use_defaultESM_EENS0_5tupleIJSF_S6_EEENSO_IJSG_SG_EEES6_PlJS6_EEE10hipError_tPvRmT3_T4_T5_T6_T7_T9_mT8_P12ihipStream_tbDpT10_ENKUlT_T0_E_clISt17integral_constantIbLb0EES1B_EEDaS16_S17_EUlS16_E_NS1_11comp_targetILNS1_3genE5ELNS1_11target_archE942ELNS1_3gpuE9ELNS1_3repE0EEENS1_30default_config_static_selectorELNS0_4arch9wavefront6targetE0EEEvT1_.num_agpr, 0
	.set _ZN7rocprim17ROCPRIM_400000_NS6detail17trampoline_kernelINS0_14default_configENS1_25partition_config_selectorILNS1_17partition_subalgoE5EyNS0_10empty_typeEbEEZZNS1_14partition_implILS5_5ELb0ES3_mN6thrust23THRUST_200600_302600_NS6detail15normal_iteratorINSA_10device_ptrIyEEEEPS6_NSA_18transform_iteratorINSB_9not_fun_tI7is_trueIyEEESF_NSA_11use_defaultESM_EENS0_5tupleIJSF_S6_EEENSO_IJSG_SG_EEES6_PlJS6_EEE10hipError_tPvRmT3_T4_T5_T6_T7_T9_mT8_P12ihipStream_tbDpT10_ENKUlT_T0_E_clISt17integral_constantIbLb0EES1B_EEDaS16_S17_EUlS16_E_NS1_11comp_targetILNS1_3genE5ELNS1_11target_archE942ELNS1_3gpuE9ELNS1_3repE0EEENS1_30default_config_static_selectorELNS0_4arch9wavefront6targetE0EEEvT1_.numbered_sgpr, 0
	.set _ZN7rocprim17ROCPRIM_400000_NS6detail17trampoline_kernelINS0_14default_configENS1_25partition_config_selectorILNS1_17partition_subalgoE5EyNS0_10empty_typeEbEEZZNS1_14partition_implILS5_5ELb0ES3_mN6thrust23THRUST_200600_302600_NS6detail15normal_iteratorINSA_10device_ptrIyEEEEPS6_NSA_18transform_iteratorINSB_9not_fun_tI7is_trueIyEEESF_NSA_11use_defaultESM_EENS0_5tupleIJSF_S6_EEENSO_IJSG_SG_EEES6_PlJS6_EEE10hipError_tPvRmT3_T4_T5_T6_T7_T9_mT8_P12ihipStream_tbDpT10_ENKUlT_T0_E_clISt17integral_constantIbLb0EES1B_EEDaS16_S17_EUlS16_E_NS1_11comp_targetILNS1_3genE5ELNS1_11target_archE942ELNS1_3gpuE9ELNS1_3repE0EEENS1_30default_config_static_selectorELNS0_4arch9wavefront6targetE0EEEvT1_.num_named_barrier, 0
	.set _ZN7rocprim17ROCPRIM_400000_NS6detail17trampoline_kernelINS0_14default_configENS1_25partition_config_selectorILNS1_17partition_subalgoE5EyNS0_10empty_typeEbEEZZNS1_14partition_implILS5_5ELb0ES3_mN6thrust23THRUST_200600_302600_NS6detail15normal_iteratorINSA_10device_ptrIyEEEEPS6_NSA_18transform_iteratorINSB_9not_fun_tI7is_trueIyEEESF_NSA_11use_defaultESM_EENS0_5tupleIJSF_S6_EEENSO_IJSG_SG_EEES6_PlJS6_EEE10hipError_tPvRmT3_T4_T5_T6_T7_T9_mT8_P12ihipStream_tbDpT10_ENKUlT_T0_E_clISt17integral_constantIbLb0EES1B_EEDaS16_S17_EUlS16_E_NS1_11comp_targetILNS1_3genE5ELNS1_11target_archE942ELNS1_3gpuE9ELNS1_3repE0EEENS1_30default_config_static_selectorELNS0_4arch9wavefront6targetE0EEEvT1_.private_seg_size, 0
	.set _ZN7rocprim17ROCPRIM_400000_NS6detail17trampoline_kernelINS0_14default_configENS1_25partition_config_selectorILNS1_17partition_subalgoE5EyNS0_10empty_typeEbEEZZNS1_14partition_implILS5_5ELb0ES3_mN6thrust23THRUST_200600_302600_NS6detail15normal_iteratorINSA_10device_ptrIyEEEEPS6_NSA_18transform_iteratorINSB_9not_fun_tI7is_trueIyEEESF_NSA_11use_defaultESM_EENS0_5tupleIJSF_S6_EEENSO_IJSG_SG_EEES6_PlJS6_EEE10hipError_tPvRmT3_T4_T5_T6_T7_T9_mT8_P12ihipStream_tbDpT10_ENKUlT_T0_E_clISt17integral_constantIbLb0EES1B_EEDaS16_S17_EUlS16_E_NS1_11comp_targetILNS1_3genE5ELNS1_11target_archE942ELNS1_3gpuE9ELNS1_3repE0EEENS1_30default_config_static_selectorELNS0_4arch9wavefront6targetE0EEEvT1_.uses_vcc, 0
	.set _ZN7rocprim17ROCPRIM_400000_NS6detail17trampoline_kernelINS0_14default_configENS1_25partition_config_selectorILNS1_17partition_subalgoE5EyNS0_10empty_typeEbEEZZNS1_14partition_implILS5_5ELb0ES3_mN6thrust23THRUST_200600_302600_NS6detail15normal_iteratorINSA_10device_ptrIyEEEEPS6_NSA_18transform_iteratorINSB_9not_fun_tI7is_trueIyEEESF_NSA_11use_defaultESM_EENS0_5tupleIJSF_S6_EEENSO_IJSG_SG_EEES6_PlJS6_EEE10hipError_tPvRmT3_T4_T5_T6_T7_T9_mT8_P12ihipStream_tbDpT10_ENKUlT_T0_E_clISt17integral_constantIbLb0EES1B_EEDaS16_S17_EUlS16_E_NS1_11comp_targetILNS1_3genE5ELNS1_11target_archE942ELNS1_3gpuE9ELNS1_3repE0EEENS1_30default_config_static_selectorELNS0_4arch9wavefront6targetE0EEEvT1_.uses_flat_scratch, 0
	.set _ZN7rocprim17ROCPRIM_400000_NS6detail17trampoline_kernelINS0_14default_configENS1_25partition_config_selectorILNS1_17partition_subalgoE5EyNS0_10empty_typeEbEEZZNS1_14partition_implILS5_5ELb0ES3_mN6thrust23THRUST_200600_302600_NS6detail15normal_iteratorINSA_10device_ptrIyEEEEPS6_NSA_18transform_iteratorINSB_9not_fun_tI7is_trueIyEEESF_NSA_11use_defaultESM_EENS0_5tupleIJSF_S6_EEENSO_IJSG_SG_EEES6_PlJS6_EEE10hipError_tPvRmT3_T4_T5_T6_T7_T9_mT8_P12ihipStream_tbDpT10_ENKUlT_T0_E_clISt17integral_constantIbLb0EES1B_EEDaS16_S17_EUlS16_E_NS1_11comp_targetILNS1_3genE5ELNS1_11target_archE942ELNS1_3gpuE9ELNS1_3repE0EEENS1_30default_config_static_selectorELNS0_4arch9wavefront6targetE0EEEvT1_.has_dyn_sized_stack, 0
	.set _ZN7rocprim17ROCPRIM_400000_NS6detail17trampoline_kernelINS0_14default_configENS1_25partition_config_selectorILNS1_17partition_subalgoE5EyNS0_10empty_typeEbEEZZNS1_14partition_implILS5_5ELb0ES3_mN6thrust23THRUST_200600_302600_NS6detail15normal_iteratorINSA_10device_ptrIyEEEEPS6_NSA_18transform_iteratorINSB_9not_fun_tI7is_trueIyEEESF_NSA_11use_defaultESM_EENS0_5tupleIJSF_S6_EEENSO_IJSG_SG_EEES6_PlJS6_EEE10hipError_tPvRmT3_T4_T5_T6_T7_T9_mT8_P12ihipStream_tbDpT10_ENKUlT_T0_E_clISt17integral_constantIbLb0EES1B_EEDaS16_S17_EUlS16_E_NS1_11comp_targetILNS1_3genE5ELNS1_11target_archE942ELNS1_3gpuE9ELNS1_3repE0EEENS1_30default_config_static_selectorELNS0_4arch9wavefront6targetE0EEEvT1_.has_recursion, 0
	.set _ZN7rocprim17ROCPRIM_400000_NS6detail17trampoline_kernelINS0_14default_configENS1_25partition_config_selectorILNS1_17partition_subalgoE5EyNS0_10empty_typeEbEEZZNS1_14partition_implILS5_5ELb0ES3_mN6thrust23THRUST_200600_302600_NS6detail15normal_iteratorINSA_10device_ptrIyEEEEPS6_NSA_18transform_iteratorINSB_9not_fun_tI7is_trueIyEEESF_NSA_11use_defaultESM_EENS0_5tupleIJSF_S6_EEENSO_IJSG_SG_EEES6_PlJS6_EEE10hipError_tPvRmT3_T4_T5_T6_T7_T9_mT8_P12ihipStream_tbDpT10_ENKUlT_T0_E_clISt17integral_constantIbLb0EES1B_EEDaS16_S17_EUlS16_E_NS1_11comp_targetILNS1_3genE5ELNS1_11target_archE942ELNS1_3gpuE9ELNS1_3repE0EEENS1_30default_config_static_selectorELNS0_4arch9wavefront6targetE0EEEvT1_.has_indirect_call, 0
	.section	.AMDGPU.csdata,"",@progbits
; Kernel info:
; codeLenInByte = 0
; TotalNumSgprs: 0
; NumVgprs: 0
; ScratchSize: 0
; MemoryBound: 0
; FloatMode: 240
; IeeeMode: 1
; LDSByteSize: 0 bytes/workgroup (compile time only)
; SGPRBlocks: 0
; VGPRBlocks: 0
; NumSGPRsForWavesPerEU: 1
; NumVGPRsForWavesPerEU: 1
; Occupancy: 16
; WaveLimiterHint : 0
; COMPUTE_PGM_RSRC2:SCRATCH_EN: 0
; COMPUTE_PGM_RSRC2:USER_SGPR: 2
; COMPUTE_PGM_RSRC2:TRAP_HANDLER: 0
; COMPUTE_PGM_RSRC2:TGID_X_EN: 1
; COMPUTE_PGM_RSRC2:TGID_Y_EN: 0
; COMPUTE_PGM_RSRC2:TGID_Z_EN: 0
; COMPUTE_PGM_RSRC2:TIDIG_COMP_CNT: 0
	.section	.text._ZN7rocprim17ROCPRIM_400000_NS6detail17trampoline_kernelINS0_14default_configENS1_25partition_config_selectorILNS1_17partition_subalgoE5EyNS0_10empty_typeEbEEZZNS1_14partition_implILS5_5ELb0ES3_mN6thrust23THRUST_200600_302600_NS6detail15normal_iteratorINSA_10device_ptrIyEEEEPS6_NSA_18transform_iteratorINSB_9not_fun_tI7is_trueIyEEESF_NSA_11use_defaultESM_EENS0_5tupleIJSF_S6_EEENSO_IJSG_SG_EEES6_PlJS6_EEE10hipError_tPvRmT3_T4_T5_T6_T7_T9_mT8_P12ihipStream_tbDpT10_ENKUlT_T0_E_clISt17integral_constantIbLb0EES1B_EEDaS16_S17_EUlS16_E_NS1_11comp_targetILNS1_3genE4ELNS1_11target_archE910ELNS1_3gpuE8ELNS1_3repE0EEENS1_30default_config_static_selectorELNS0_4arch9wavefront6targetE0EEEvT1_,"axG",@progbits,_ZN7rocprim17ROCPRIM_400000_NS6detail17trampoline_kernelINS0_14default_configENS1_25partition_config_selectorILNS1_17partition_subalgoE5EyNS0_10empty_typeEbEEZZNS1_14partition_implILS5_5ELb0ES3_mN6thrust23THRUST_200600_302600_NS6detail15normal_iteratorINSA_10device_ptrIyEEEEPS6_NSA_18transform_iteratorINSB_9not_fun_tI7is_trueIyEEESF_NSA_11use_defaultESM_EENS0_5tupleIJSF_S6_EEENSO_IJSG_SG_EEES6_PlJS6_EEE10hipError_tPvRmT3_T4_T5_T6_T7_T9_mT8_P12ihipStream_tbDpT10_ENKUlT_T0_E_clISt17integral_constantIbLb0EES1B_EEDaS16_S17_EUlS16_E_NS1_11comp_targetILNS1_3genE4ELNS1_11target_archE910ELNS1_3gpuE8ELNS1_3repE0EEENS1_30default_config_static_selectorELNS0_4arch9wavefront6targetE0EEEvT1_,comdat
	.protected	_ZN7rocprim17ROCPRIM_400000_NS6detail17trampoline_kernelINS0_14default_configENS1_25partition_config_selectorILNS1_17partition_subalgoE5EyNS0_10empty_typeEbEEZZNS1_14partition_implILS5_5ELb0ES3_mN6thrust23THRUST_200600_302600_NS6detail15normal_iteratorINSA_10device_ptrIyEEEEPS6_NSA_18transform_iteratorINSB_9not_fun_tI7is_trueIyEEESF_NSA_11use_defaultESM_EENS0_5tupleIJSF_S6_EEENSO_IJSG_SG_EEES6_PlJS6_EEE10hipError_tPvRmT3_T4_T5_T6_T7_T9_mT8_P12ihipStream_tbDpT10_ENKUlT_T0_E_clISt17integral_constantIbLb0EES1B_EEDaS16_S17_EUlS16_E_NS1_11comp_targetILNS1_3genE4ELNS1_11target_archE910ELNS1_3gpuE8ELNS1_3repE0EEENS1_30default_config_static_selectorELNS0_4arch9wavefront6targetE0EEEvT1_ ; -- Begin function _ZN7rocprim17ROCPRIM_400000_NS6detail17trampoline_kernelINS0_14default_configENS1_25partition_config_selectorILNS1_17partition_subalgoE5EyNS0_10empty_typeEbEEZZNS1_14partition_implILS5_5ELb0ES3_mN6thrust23THRUST_200600_302600_NS6detail15normal_iteratorINSA_10device_ptrIyEEEEPS6_NSA_18transform_iteratorINSB_9not_fun_tI7is_trueIyEEESF_NSA_11use_defaultESM_EENS0_5tupleIJSF_S6_EEENSO_IJSG_SG_EEES6_PlJS6_EEE10hipError_tPvRmT3_T4_T5_T6_T7_T9_mT8_P12ihipStream_tbDpT10_ENKUlT_T0_E_clISt17integral_constantIbLb0EES1B_EEDaS16_S17_EUlS16_E_NS1_11comp_targetILNS1_3genE4ELNS1_11target_archE910ELNS1_3gpuE8ELNS1_3repE0EEENS1_30default_config_static_selectorELNS0_4arch9wavefront6targetE0EEEvT1_
	.globl	_ZN7rocprim17ROCPRIM_400000_NS6detail17trampoline_kernelINS0_14default_configENS1_25partition_config_selectorILNS1_17partition_subalgoE5EyNS0_10empty_typeEbEEZZNS1_14partition_implILS5_5ELb0ES3_mN6thrust23THRUST_200600_302600_NS6detail15normal_iteratorINSA_10device_ptrIyEEEEPS6_NSA_18transform_iteratorINSB_9not_fun_tI7is_trueIyEEESF_NSA_11use_defaultESM_EENS0_5tupleIJSF_S6_EEENSO_IJSG_SG_EEES6_PlJS6_EEE10hipError_tPvRmT3_T4_T5_T6_T7_T9_mT8_P12ihipStream_tbDpT10_ENKUlT_T0_E_clISt17integral_constantIbLb0EES1B_EEDaS16_S17_EUlS16_E_NS1_11comp_targetILNS1_3genE4ELNS1_11target_archE910ELNS1_3gpuE8ELNS1_3repE0EEENS1_30default_config_static_selectorELNS0_4arch9wavefront6targetE0EEEvT1_
	.p2align	8
	.type	_ZN7rocprim17ROCPRIM_400000_NS6detail17trampoline_kernelINS0_14default_configENS1_25partition_config_selectorILNS1_17partition_subalgoE5EyNS0_10empty_typeEbEEZZNS1_14partition_implILS5_5ELb0ES3_mN6thrust23THRUST_200600_302600_NS6detail15normal_iteratorINSA_10device_ptrIyEEEEPS6_NSA_18transform_iteratorINSB_9not_fun_tI7is_trueIyEEESF_NSA_11use_defaultESM_EENS0_5tupleIJSF_S6_EEENSO_IJSG_SG_EEES6_PlJS6_EEE10hipError_tPvRmT3_T4_T5_T6_T7_T9_mT8_P12ihipStream_tbDpT10_ENKUlT_T0_E_clISt17integral_constantIbLb0EES1B_EEDaS16_S17_EUlS16_E_NS1_11comp_targetILNS1_3genE4ELNS1_11target_archE910ELNS1_3gpuE8ELNS1_3repE0EEENS1_30default_config_static_selectorELNS0_4arch9wavefront6targetE0EEEvT1_,@function
_ZN7rocprim17ROCPRIM_400000_NS6detail17trampoline_kernelINS0_14default_configENS1_25partition_config_selectorILNS1_17partition_subalgoE5EyNS0_10empty_typeEbEEZZNS1_14partition_implILS5_5ELb0ES3_mN6thrust23THRUST_200600_302600_NS6detail15normal_iteratorINSA_10device_ptrIyEEEEPS6_NSA_18transform_iteratorINSB_9not_fun_tI7is_trueIyEEESF_NSA_11use_defaultESM_EENS0_5tupleIJSF_S6_EEENSO_IJSG_SG_EEES6_PlJS6_EEE10hipError_tPvRmT3_T4_T5_T6_T7_T9_mT8_P12ihipStream_tbDpT10_ENKUlT_T0_E_clISt17integral_constantIbLb0EES1B_EEDaS16_S17_EUlS16_E_NS1_11comp_targetILNS1_3genE4ELNS1_11target_archE910ELNS1_3gpuE8ELNS1_3repE0EEENS1_30default_config_static_selectorELNS0_4arch9wavefront6targetE0EEEvT1_: ; @_ZN7rocprim17ROCPRIM_400000_NS6detail17trampoline_kernelINS0_14default_configENS1_25partition_config_selectorILNS1_17partition_subalgoE5EyNS0_10empty_typeEbEEZZNS1_14partition_implILS5_5ELb0ES3_mN6thrust23THRUST_200600_302600_NS6detail15normal_iteratorINSA_10device_ptrIyEEEEPS6_NSA_18transform_iteratorINSB_9not_fun_tI7is_trueIyEEESF_NSA_11use_defaultESM_EENS0_5tupleIJSF_S6_EEENSO_IJSG_SG_EEES6_PlJS6_EEE10hipError_tPvRmT3_T4_T5_T6_T7_T9_mT8_P12ihipStream_tbDpT10_ENKUlT_T0_E_clISt17integral_constantIbLb0EES1B_EEDaS16_S17_EUlS16_E_NS1_11comp_targetILNS1_3genE4ELNS1_11target_archE910ELNS1_3gpuE8ELNS1_3repE0EEENS1_30default_config_static_selectorELNS0_4arch9wavefront6targetE0EEEvT1_
; %bb.0:
	.section	.rodata,"a",@progbits
	.p2align	6, 0x0
	.amdhsa_kernel _ZN7rocprim17ROCPRIM_400000_NS6detail17trampoline_kernelINS0_14default_configENS1_25partition_config_selectorILNS1_17partition_subalgoE5EyNS0_10empty_typeEbEEZZNS1_14partition_implILS5_5ELb0ES3_mN6thrust23THRUST_200600_302600_NS6detail15normal_iteratorINSA_10device_ptrIyEEEEPS6_NSA_18transform_iteratorINSB_9not_fun_tI7is_trueIyEEESF_NSA_11use_defaultESM_EENS0_5tupleIJSF_S6_EEENSO_IJSG_SG_EEES6_PlJS6_EEE10hipError_tPvRmT3_T4_T5_T6_T7_T9_mT8_P12ihipStream_tbDpT10_ENKUlT_T0_E_clISt17integral_constantIbLb0EES1B_EEDaS16_S17_EUlS16_E_NS1_11comp_targetILNS1_3genE4ELNS1_11target_archE910ELNS1_3gpuE8ELNS1_3repE0EEENS1_30default_config_static_selectorELNS0_4arch9wavefront6targetE0EEEvT1_
		.amdhsa_group_segment_fixed_size 0
		.amdhsa_private_segment_fixed_size 0
		.amdhsa_kernarg_size 120
		.amdhsa_user_sgpr_count 2
		.amdhsa_user_sgpr_dispatch_ptr 0
		.amdhsa_user_sgpr_queue_ptr 0
		.amdhsa_user_sgpr_kernarg_segment_ptr 1
		.amdhsa_user_sgpr_dispatch_id 0
		.amdhsa_user_sgpr_private_segment_size 0
		.amdhsa_wavefront_size32 1
		.amdhsa_uses_dynamic_stack 0
		.amdhsa_enable_private_segment 0
		.amdhsa_system_sgpr_workgroup_id_x 1
		.amdhsa_system_sgpr_workgroup_id_y 0
		.amdhsa_system_sgpr_workgroup_id_z 0
		.amdhsa_system_sgpr_workgroup_info 0
		.amdhsa_system_vgpr_workitem_id 0
		.amdhsa_next_free_vgpr 1
		.amdhsa_next_free_sgpr 1
		.amdhsa_reserve_vcc 0
		.amdhsa_float_round_mode_32 0
		.amdhsa_float_round_mode_16_64 0
		.amdhsa_float_denorm_mode_32 3
		.amdhsa_float_denorm_mode_16_64 3
		.amdhsa_fp16_overflow 0
		.amdhsa_workgroup_processor_mode 1
		.amdhsa_memory_ordered 1
		.amdhsa_forward_progress 1
		.amdhsa_inst_pref_size 0
		.amdhsa_round_robin_scheduling 0
		.amdhsa_exception_fp_ieee_invalid_op 0
		.amdhsa_exception_fp_denorm_src 0
		.amdhsa_exception_fp_ieee_div_zero 0
		.amdhsa_exception_fp_ieee_overflow 0
		.amdhsa_exception_fp_ieee_underflow 0
		.amdhsa_exception_fp_ieee_inexact 0
		.amdhsa_exception_int_div_zero 0
	.end_amdhsa_kernel
	.section	.text._ZN7rocprim17ROCPRIM_400000_NS6detail17trampoline_kernelINS0_14default_configENS1_25partition_config_selectorILNS1_17partition_subalgoE5EyNS0_10empty_typeEbEEZZNS1_14partition_implILS5_5ELb0ES3_mN6thrust23THRUST_200600_302600_NS6detail15normal_iteratorINSA_10device_ptrIyEEEEPS6_NSA_18transform_iteratorINSB_9not_fun_tI7is_trueIyEEESF_NSA_11use_defaultESM_EENS0_5tupleIJSF_S6_EEENSO_IJSG_SG_EEES6_PlJS6_EEE10hipError_tPvRmT3_T4_T5_T6_T7_T9_mT8_P12ihipStream_tbDpT10_ENKUlT_T0_E_clISt17integral_constantIbLb0EES1B_EEDaS16_S17_EUlS16_E_NS1_11comp_targetILNS1_3genE4ELNS1_11target_archE910ELNS1_3gpuE8ELNS1_3repE0EEENS1_30default_config_static_selectorELNS0_4arch9wavefront6targetE0EEEvT1_,"axG",@progbits,_ZN7rocprim17ROCPRIM_400000_NS6detail17trampoline_kernelINS0_14default_configENS1_25partition_config_selectorILNS1_17partition_subalgoE5EyNS0_10empty_typeEbEEZZNS1_14partition_implILS5_5ELb0ES3_mN6thrust23THRUST_200600_302600_NS6detail15normal_iteratorINSA_10device_ptrIyEEEEPS6_NSA_18transform_iteratorINSB_9not_fun_tI7is_trueIyEEESF_NSA_11use_defaultESM_EENS0_5tupleIJSF_S6_EEENSO_IJSG_SG_EEES6_PlJS6_EEE10hipError_tPvRmT3_T4_T5_T6_T7_T9_mT8_P12ihipStream_tbDpT10_ENKUlT_T0_E_clISt17integral_constantIbLb0EES1B_EEDaS16_S17_EUlS16_E_NS1_11comp_targetILNS1_3genE4ELNS1_11target_archE910ELNS1_3gpuE8ELNS1_3repE0EEENS1_30default_config_static_selectorELNS0_4arch9wavefront6targetE0EEEvT1_,comdat
.Lfunc_end1370:
	.size	_ZN7rocprim17ROCPRIM_400000_NS6detail17trampoline_kernelINS0_14default_configENS1_25partition_config_selectorILNS1_17partition_subalgoE5EyNS0_10empty_typeEbEEZZNS1_14partition_implILS5_5ELb0ES3_mN6thrust23THRUST_200600_302600_NS6detail15normal_iteratorINSA_10device_ptrIyEEEEPS6_NSA_18transform_iteratorINSB_9not_fun_tI7is_trueIyEEESF_NSA_11use_defaultESM_EENS0_5tupleIJSF_S6_EEENSO_IJSG_SG_EEES6_PlJS6_EEE10hipError_tPvRmT3_T4_T5_T6_T7_T9_mT8_P12ihipStream_tbDpT10_ENKUlT_T0_E_clISt17integral_constantIbLb0EES1B_EEDaS16_S17_EUlS16_E_NS1_11comp_targetILNS1_3genE4ELNS1_11target_archE910ELNS1_3gpuE8ELNS1_3repE0EEENS1_30default_config_static_selectorELNS0_4arch9wavefront6targetE0EEEvT1_, .Lfunc_end1370-_ZN7rocprim17ROCPRIM_400000_NS6detail17trampoline_kernelINS0_14default_configENS1_25partition_config_selectorILNS1_17partition_subalgoE5EyNS0_10empty_typeEbEEZZNS1_14partition_implILS5_5ELb0ES3_mN6thrust23THRUST_200600_302600_NS6detail15normal_iteratorINSA_10device_ptrIyEEEEPS6_NSA_18transform_iteratorINSB_9not_fun_tI7is_trueIyEEESF_NSA_11use_defaultESM_EENS0_5tupleIJSF_S6_EEENSO_IJSG_SG_EEES6_PlJS6_EEE10hipError_tPvRmT3_T4_T5_T6_T7_T9_mT8_P12ihipStream_tbDpT10_ENKUlT_T0_E_clISt17integral_constantIbLb0EES1B_EEDaS16_S17_EUlS16_E_NS1_11comp_targetILNS1_3genE4ELNS1_11target_archE910ELNS1_3gpuE8ELNS1_3repE0EEENS1_30default_config_static_selectorELNS0_4arch9wavefront6targetE0EEEvT1_
                                        ; -- End function
	.set _ZN7rocprim17ROCPRIM_400000_NS6detail17trampoline_kernelINS0_14default_configENS1_25partition_config_selectorILNS1_17partition_subalgoE5EyNS0_10empty_typeEbEEZZNS1_14partition_implILS5_5ELb0ES3_mN6thrust23THRUST_200600_302600_NS6detail15normal_iteratorINSA_10device_ptrIyEEEEPS6_NSA_18transform_iteratorINSB_9not_fun_tI7is_trueIyEEESF_NSA_11use_defaultESM_EENS0_5tupleIJSF_S6_EEENSO_IJSG_SG_EEES6_PlJS6_EEE10hipError_tPvRmT3_T4_T5_T6_T7_T9_mT8_P12ihipStream_tbDpT10_ENKUlT_T0_E_clISt17integral_constantIbLb0EES1B_EEDaS16_S17_EUlS16_E_NS1_11comp_targetILNS1_3genE4ELNS1_11target_archE910ELNS1_3gpuE8ELNS1_3repE0EEENS1_30default_config_static_selectorELNS0_4arch9wavefront6targetE0EEEvT1_.num_vgpr, 0
	.set _ZN7rocprim17ROCPRIM_400000_NS6detail17trampoline_kernelINS0_14default_configENS1_25partition_config_selectorILNS1_17partition_subalgoE5EyNS0_10empty_typeEbEEZZNS1_14partition_implILS5_5ELb0ES3_mN6thrust23THRUST_200600_302600_NS6detail15normal_iteratorINSA_10device_ptrIyEEEEPS6_NSA_18transform_iteratorINSB_9not_fun_tI7is_trueIyEEESF_NSA_11use_defaultESM_EENS0_5tupleIJSF_S6_EEENSO_IJSG_SG_EEES6_PlJS6_EEE10hipError_tPvRmT3_T4_T5_T6_T7_T9_mT8_P12ihipStream_tbDpT10_ENKUlT_T0_E_clISt17integral_constantIbLb0EES1B_EEDaS16_S17_EUlS16_E_NS1_11comp_targetILNS1_3genE4ELNS1_11target_archE910ELNS1_3gpuE8ELNS1_3repE0EEENS1_30default_config_static_selectorELNS0_4arch9wavefront6targetE0EEEvT1_.num_agpr, 0
	.set _ZN7rocprim17ROCPRIM_400000_NS6detail17trampoline_kernelINS0_14default_configENS1_25partition_config_selectorILNS1_17partition_subalgoE5EyNS0_10empty_typeEbEEZZNS1_14partition_implILS5_5ELb0ES3_mN6thrust23THRUST_200600_302600_NS6detail15normal_iteratorINSA_10device_ptrIyEEEEPS6_NSA_18transform_iteratorINSB_9not_fun_tI7is_trueIyEEESF_NSA_11use_defaultESM_EENS0_5tupleIJSF_S6_EEENSO_IJSG_SG_EEES6_PlJS6_EEE10hipError_tPvRmT3_T4_T5_T6_T7_T9_mT8_P12ihipStream_tbDpT10_ENKUlT_T0_E_clISt17integral_constantIbLb0EES1B_EEDaS16_S17_EUlS16_E_NS1_11comp_targetILNS1_3genE4ELNS1_11target_archE910ELNS1_3gpuE8ELNS1_3repE0EEENS1_30default_config_static_selectorELNS0_4arch9wavefront6targetE0EEEvT1_.numbered_sgpr, 0
	.set _ZN7rocprim17ROCPRIM_400000_NS6detail17trampoline_kernelINS0_14default_configENS1_25partition_config_selectorILNS1_17partition_subalgoE5EyNS0_10empty_typeEbEEZZNS1_14partition_implILS5_5ELb0ES3_mN6thrust23THRUST_200600_302600_NS6detail15normal_iteratorINSA_10device_ptrIyEEEEPS6_NSA_18transform_iteratorINSB_9not_fun_tI7is_trueIyEEESF_NSA_11use_defaultESM_EENS0_5tupleIJSF_S6_EEENSO_IJSG_SG_EEES6_PlJS6_EEE10hipError_tPvRmT3_T4_T5_T6_T7_T9_mT8_P12ihipStream_tbDpT10_ENKUlT_T0_E_clISt17integral_constantIbLb0EES1B_EEDaS16_S17_EUlS16_E_NS1_11comp_targetILNS1_3genE4ELNS1_11target_archE910ELNS1_3gpuE8ELNS1_3repE0EEENS1_30default_config_static_selectorELNS0_4arch9wavefront6targetE0EEEvT1_.num_named_barrier, 0
	.set _ZN7rocprim17ROCPRIM_400000_NS6detail17trampoline_kernelINS0_14default_configENS1_25partition_config_selectorILNS1_17partition_subalgoE5EyNS0_10empty_typeEbEEZZNS1_14partition_implILS5_5ELb0ES3_mN6thrust23THRUST_200600_302600_NS6detail15normal_iteratorINSA_10device_ptrIyEEEEPS6_NSA_18transform_iteratorINSB_9not_fun_tI7is_trueIyEEESF_NSA_11use_defaultESM_EENS0_5tupleIJSF_S6_EEENSO_IJSG_SG_EEES6_PlJS6_EEE10hipError_tPvRmT3_T4_T5_T6_T7_T9_mT8_P12ihipStream_tbDpT10_ENKUlT_T0_E_clISt17integral_constantIbLb0EES1B_EEDaS16_S17_EUlS16_E_NS1_11comp_targetILNS1_3genE4ELNS1_11target_archE910ELNS1_3gpuE8ELNS1_3repE0EEENS1_30default_config_static_selectorELNS0_4arch9wavefront6targetE0EEEvT1_.private_seg_size, 0
	.set _ZN7rocprim17ROCPRIM_400000_NS6detail17trampoline_kernelINS0_14default_configENS1_25partition_config_selectorILNS1_17partition_subalgoE5EyNS0_10empty_typeEbEEZZNS1_14partition_implILS5_5ELb0ES3_mN6thrust23THRUST_200600_302600_NS6detail15normal_iteratorINSA_10device_ptrIyEEEEPS6_NSA_18transform_iteratorINSB_9not_fun_tI7is_trueIyEEESF_NSA_11use_defaultESM_EENS0_5tupleIJSF_S6_EEENSO_IJSG_SG_EEES6_PlJS6_EEE10hipError_tPvRmT3_T4_T5_T6_T7_T9_mT8_P12ihipStream_tbDpT10_ENKUlT_T0_E_clISt17integral_constantIbLb0EES1B_EEDaS16_S17_EUlS16_E_NS1_11comp_targetILNS1_3genE4ELNS1_11target_archE910ELNS1_3gpuE8ELNS1_3repE0EEENS1_30default_config_static_selectorELNS0_4arch9wavefront6targetE0EEEvT1_.uses_vcc, 0
	.set _ZN7rocprim17ROCPRIM_400000_NS6detail17trampoline_kernelINS0_14default_configENS1_25partition_config_selectorILNS1_17partition_subalgoE5EyNS0_10empty_typeEbEEZZNS1_14partition_implILS5_5ELb0ES3_mN6thrust23THRUST_200600_302600_NS6detail15normal_iteratorINSA_10device_ptrIyEEEEPS6_NSA_18transform_iteratorINSB_9not_fun_tI7is_trueIyEEESF_NSA_11use_defaultESM_EENS0_5tupleIJSF_S6_EEENSO_IJSG_SG_EEES6_PlJS6_EEE10hipError_tPvRmT3_T4_T5_T6_T7_T9_mT8_P12ihipStream_tbDpT10_ENKUlT_T0_E_clISt17integral_constantIbLb0EES1B_EEDaS16_S17_EUlS16_E_NS1_11comp_targetILNS1_3genE4ELNS1_11target_archE910ELNS1_3gpuE8ELNS1_3repE0EEENS1_30default_config_static_selectorELNS0_4arch9wavefront6targetE0EEEvT1_.uses_flat_scratch, 0
	.set _ZN7rocprim17ROCPRIM_400000_NS6detail17trampoline_kernelINS0_14default_configENS1_25partition_config_selectorILNS1_17partition_subalgoE5EyNS0_10empty_typeEbEEZZNS1_14partition_implILS5_5ELb0ES3_mN6thrust23THRUST_200600_302600_NS6detail15normal_iteratorINSA_10device_ptrIyEEEEPS6_NSA_18transform_iteratorINSB_9not_fun_tI7is_trueIyEEESF_NSA_11use_defaultESM_EENS0_5tupleIJSF_S6_EEENSO_IJSG_SG_EEES6_PlJS6_EEE10hipError_tPvRmT3_T4_T5_T6_T7_T9_mT8_P12ihipStream_tbDpT10_ENKUlT_T0_E_clISt17integral_constantIbLb0EES1B_EEDaS16_S17_EUlS16_E_NS1_11comp_targetILNS1_3genE4ELNS1_11target_archE910ELNS1_3gpuE8ELNS1_3repE0EEENS1_30default_config_static_selectorELNS0_4arch9wavefront6targetE0EEEvT1_.has_dyn_sized_stack, 0
	.set _ZN7rocprim17ROCPRIM_400000_NS6detail17trampoline_kernelINS0_14default_configENS1_25partition_config_selectorILNS1_17partition_subalgoE5EyNS0_10empty_typeEbEEZZNS1_14partition_implILS5_5ELb0ES3_mN6thrust23THRUST_200600_302600_NS6detail15normal_iteratorINSA_10device_ptrIyEEEEPS6_NSA_18transform_iteratorINSB_9not_fun_tI7is_trueIyEEESF_NSA_11use_defaultESM_EENS0_5tupleIJSF_S6_EEENSO_IJSG_SG_EEES6_PlJS6_EEE10hipError_tPvRmT3_T4_T5_T6_T7_T9_mT8_P12ihipStream_tbDpT10_ENKUlT_T0_E_clISt17integral_constantIbLb0EES1B_EEDaS16_S17_EUlS16_E_NS1_11comp_targetILNS1_3genE4ELNS1_11target_archE910ELNS1_3gpuE8ELNS1_3repE0EEENS1_30default_config_static_selectorELNS0_4arch9wavefront6targetE0EEEvT1_.has_recursion, 0
	.set _ZN7rocprim17ROCPRIM_400000_NS6detail17trampoline_kernelINS0_14default_configENS1_25partition_config_selectorILNS1_17partition_subalgoE5EyNS0_10empty_typeEbEEZZNS1_14partition_implILS5_5ELb0ES3_mN6thrust23THRUST_200600_302600_NS6detail15normal_iteratorINSA_10device_ptrIyEEEEPS6_NSA_18transform_iteratorINSB_9not_fun_tI7is_trueIyEEESF_NSA_11use_defaultESM_EENS0_5tupleIJSF_S6_EEENSO_IJSG_SG_EEES6_PlJS6_EEE10hipError_tPvRmT3_T4_T5_T6_T7_T9_mT8_P12ihipStream_tbDpT10_ENKUlT_T0_E_clISt17integral_constantIbLb0EES1B_EEDaS16_S17_EUlS16_E_NS1_11comp_targetILNS1_3genE4ELNS1_11target_archE910ELNS1_3gpuE8ELNS1_3repE0EEENS1_30default_config_static_selectorELNS0_4arch9wavefront6targetE0EEEvT1_.has_indirect_call, 0
	.section	.AMDGPU.csdata,"",@progbits
; Kernel info:
; codeLenInByte = 0
; TotalNumSgprs: 0
; NumVgprs: 0
; ScratchSize: 0
; MemoryBound: 0
; FloatMode: 240
; IeeeMode: 1
; LDSByteSize: 0 bytes/workgroup (compile time only)
; SGPRBlocks: 0
; VGPRBlocks: 0
; NumSGPRsForWavesPerEU: 1
; NumVGPRsForWavesPerEU: 1
; Occupancy: 16
; WaveLimiterHint : 0
; COMPUTE_PGM_RSRC2:SCRATCH_EN: 0
; COMPUTE_PGM_RSRC2:USER_SGPR: 2
; COMPUTE_PGM_RSRC2:TRAP_HANDLER: 0
; COMPUTE_PGM_RSRC2:TGID_X_EN: 1
; COMPUTE_PGM_RSRC2:TGID_Y_EN: 0
; COMPUTE_PGM_RSRC2:TGID_Z_EN: 0
; COMPUTE_PGM_RSRC2:TIDIG_COMP_CNT: 0
	.section	.text._ZN7rocprim17ROCPRIM_400000_NS6detail17trampoline_kernelINS0_14default_configENS1_25partition_config_selectorILNS1_17partition_subalgoE5EyNS0_10empty_typeEbEEZZNS1_14partition_implILS5_5ELb0ES3_mN6thrust23THRUST_200600_302600_NS6detail15normal_iteratorINSA_10device_ptrIyEEEEPS6_NSA_18transform_iteratorINSB_9not_fun_tI7is_trueIyEEESF_NSA_11use_defaultESM_EENS0_5tupleIJSF_S6_EEENSO_IJSG_SG_EEES6_PlJS6_EEE10hipError_tPvRmT3_T4_T5_T6_T7_T9_mT8_P12ihipStream_tbDpT10_ENKUlT_T0_E_clISt17integral_constantIbLb0EES1B_EEDaS16_S17_EUlS16_E_NS1_11comp_targetILNS1_3genE3ELNS1_11target_archE908ELNS1_3gpuE7ELNS1_3repE0EEENS1_30default_config_static_selectorELNS0_4arch9wavefront6targetE0EEEvT1_,"axG",@progbits,_ZN7rocprim17ROCPRIM_400000_NS6detail17trampoline_kernelINS0_14default_configENS1_25partition_config_selectorILNS1_17partition_subalgoE5EyNS0_10empty_typeEbEEZZNS1_14partition_implILS5_5ELb0ES3_mN6thrust23THRUST_200600_302600_NS6detail15normal_iteratorINSA_10device_ptrIyEEEEPS6_NSA_18transform_iteratorINSB_9not_fun_tI7is_trueIyEEESF_NSA_11use_defaultESM_EENS0_5tupleIJSF_S6_EEENSO_IJSG_SG_EEES6_PlJS6_EEE10hipError_tPvRmT3_T4_T5_T6_T7_T9_mT8_P12ihipStream_tbDpT10_ENKUlT_T0_E_clISt17integral_constantIbLb0EES1B_EEDaS16_S17_EUlS16_E_NS1_11comp_targetILNS1_3genE3ELNS1_11target_archE908ELNS1_3gpuE7ELNS1_3repE0EEENS1_30default_config_static_selectorELNS0_4arch9wavefront6targetE0EEEvT1_,comdat
	.protected	_ZN7rocprim17ROCPRIM_400000_NS6detail17trampoline_kernelINS0_14default_configENS1_25partition_config_selectorILNS1_17partition_subalgoE5EyNS0_10empty_typeEbEEZZNS1_14partition_implILS5_5ELb0ES3_mN6thrust23THRUST_200600_302600_NS6detail15normal_iteratorINSA_10device_ptrIyEEEEPS6_NSA_18transform_iteratorINSB_9not_fun_tI7is_trueIyEEESF_NSA_11use_defaultESM_EENS0_5tupleIJSF_S6_EEENSO_IJSG_SG_EEES6_PlJS6_EEE10hipError_tPvRmT3_T4_T5_T6_T7_T9_mT8_P12ihipStream_tbDpT10_ENKUlT_T0_E_clISt17integral_constantIbLb0EES1B_EEDaS16_S17_EUlS16_E_NS1_11comp_targetILNS1_3genE3ELNS1_11target_archE908ELNS1_3gpuE7ELNS1_3repE0EEENS1_30default_config_static_selectorELNS0_4arch9wavefront6targetE0EEEvT1_ ; -- Begin function _ZN7rocprim17ROCPRIM_400000_NS6detail17trampoline_kernelINS0_14default_configENS1_25partition_config_selectorILNS1_17partition_subalgoE5EyNS0_10empty_typeEbEEZZNS1_14partition_implILS5_5ELb0ES3_mN6thrust23THRUST_200600_302600_NS6detail15normal_iteratorINSA_10device_ptrIyEEEEPS6_NSA_18transform_iteratorINSB_9not_fun_tI7is_trueIyEEESF_NSA_11use_defaultESM_EENS0_5tupleIJSF_S6_EEENSO_IJSG_SG_EEES6_PlJS6_EEE10hipError_tPvRmT3_T4_T5_T6_T7_T9_mT8_P12ihipStream_tbDpT10_ENKUlT_T0_E_clISt17integral_constantIbLb0EES1B_EEDaS16_S17_EUlS16_E_NS1_11comp_targetILNS1_3genE3ELNS1_11target_archE908ELNS1_3gpuE7ELNS1_3repE0EEENS1_30default_config_static_selectorELNS0_4arch9wavefront6targetE0EEEvT1_
	.globl	_ZN7rocprim17ROCPRIM_400000_NS6detail17trampoline_kernelINS0_14default_configENS1_25partition_config_selectorILNS1_17partition_subalgoE5EyNS0_10empty_typeEbEEZZNS1_14partition_implILS5_5ELb0ES3_mN6thrust23THRUST_200600_302600_NS6detail15normal_iteratorINSA_10device_ptrIyEEEEPS6_NSA_18transform_iteratorINSB_9not_fun_tI7is_trueIyEEESF_NSA_11use_defaultESM_EENS0_5tupleIJSF_S6_EEENSO_IJSG_SG_EEES6_PlJS6_EEE10hipError_tPvRmT3_T4_T5_T6_T7_T9_mT8_P12ihipStream_tbDpT10_ENKUlT_T0_E_clISt17integral_constantIbLb0EES1B_EEDaS16_S17_EUlS16_E_NS1_11comp_targetILNS1_3genE3ELNS1_11target_archE908ELNS1_3gpuE7ELNS1_3repE0EEENS1_30default_config_static_selectorELNS0_4arch9wavefront6targetE0EEEvT1_
	.p2align	8
	.type	_ZN7rocprim17ROCPRIM_400000_NS6detail17trampoline_kernelINS0_14default_configENS1_25partition_config_selectorILNS1_17partition_subalgoE5EyNS0_10empty_typeEbEEZZNS1_14partition_implILS5_5ELb0ES3_mN6thrust23THRUST_200600_302600_NS6detail15normal_iteratorINSA_10device_ptrIyEEEEPS6_NSA_18transform_iteratorINSB_9not_fun_tI7is_trueIyEEESF_NSA_11use_defaultESM_EENS0_5tupleIJSF_S6_EEENSO_IJSG_SG_EEES6_PlJS6_EEE10hipError_tPvRmT3_T4_T5_T6_T7_T9_mT8_P12ihipStream_tbDpT10_ENKUlT_T0_E_clISt17integral_constantIbLb0EES1B_EEDaS16_S17_EUlS16_E_NS1_11comp_targetILNS1_3genE3ELNS1_11target_archE908ELNS1_3gpuE7ELNS1_3repE0EEENS1_30default_config_static_selectorELNS0_4arch9wavefront6targetE0EEEvT1_,@function
_ZN7rocprim17ROCPRIM_400000_NS6detail17trampoline_kernelINS0_14default_configENS1_25partition_config_selectorILNS1_17partition_subalgoE5EyNS0_10empty_typeEbEEZZNS1_14partition_implILS5_5ELb0ES3_mN6thrust23THRUST_200600_302600_NS6detail15normal_iteratorINSA_10device_ptrIyEEEEPS6_NSA_18transform_iteratorINSB_9not_fun_tI7is_trueIyEEESF_NSA_11use_defaultESM_EENS0_5tupleIJSF_S6_EEENSO_IJSG_SG_EEES6_PlJS6_EEE10hipError_tPvRmT3_T4_T5_T6_T7_T9_mT8_P12ihipStream_tbDpT10_ENKUlT_T0_E_clISt17integral_constantIbLb0EES1B_EEDaS16_S17_EUlS16_E_NS1_11comp_targetILNS1_3genE3ELNS1_11target_archE908ELNS1_3gpuE7ELNS1_3repE0EEENS1_30default_config_static_selectorELNS0_4arch9wavefront6targetE0EEEvT1_: ; @_ZN7rocprim17ROCPRIM_400000_NS6detail17trampoline_kernelINS0_14default_configENS1_25partition_config_selectorILNS1_17partition_subalgoE5EyNS0_10empty_typeEbEEZZNS1_14partition_implILS5_5ELb0ES3_mN6thrust23THRUST_200600_302600_NS6detail15normal_iteratorINSA_10device_ptrIyEEEEPS6_NSA_18transform_iteratorINSB_9not_fun_tI7is_trueIyEEESF_NSA_11use_defaultESM_EENS0_5tupleIJSF_S6_EEENSO_IJSG_SG_EEES6_PlJS6_EEE10hipError_tPvRmT3_T4_T5_T6_T7_T9_mT8_P12ihipStream_tbDpT10_ENKUlT_T0_E_clISt17integral_constantIbLb0EES1B_EEDaS16_S17_EUlS16_E_NS1_11comp_targetILNS1_3genE3ELNS1_11target_archE908ELNS1_3gpuE7ELNS1_3repE0EEENS1_30default_config_static_selectorELNS0_4arch9wavefront6targetE0EEEvT1_
; %bb.0:
	.section	.rodata,"a",@progbits
	.p2align	6, 0x0
	.amdhsa_kernel _ZN7rocprim17ROCPRIM_400000_NS6detail17trampoline_kernelINS0_14default_configENS1_25partition_config_selectorILNS1_17partition_subalgoE5EyNS0_10empty_typeEbEEZZNS1_14partition_implILS5_5ELb0ES3_mN6thrust23THRUST_200600_302600_NS6detail15normal_iteratorINSA_10device_ptrIyEEEEPS6_NSA_18transform_iteratorINSB_9not_fun_tI7is_trueIyEEESF_NSA_11use_defaultESM_EENS0_5tupleIJSF_S6_EEENSO_IJSG_SG_EEES6_PlJS6_EEE10hipError_tPvRmT3_T4_T5_T6_T7_T9_mT8_P12ihipStream_tbDpT10_ENKUlT_T0_E_clISt17integral_constantIbLb0EES1B_EEDaS16_S17_EUlS16_E_NS1_11comp_targetILNS1_3genE3ELNS1_11target_archE908ELNS1_3gpuE7ELNS1_3repE0EEENS1_30default_config_static_selectorELNS0_4arch9wavefront6targetE0EEEvT1_
		.amdhsa_group_segment_fixed_size 0
		.amdhsa_private_segment_fixed_size 0
		.amdhsa_kernarg_size 120
		.amdhsa_user_sgpr_count 2
		.amdhsa_user_sgpr_dispatch_ptr 0
		.amdhsa_user_sgpr_queue_ptr 0
		.amdhsa_user_sgpr_kernarg_segment_ptr 1
		.amdhsa_user_sgpr_dispatch_id 0
		.amdhsa_user_sgpr_private_segment_size 0
		.amdhsa_wavefront_size32 1
		.amdhsa_uses_dynamic_stack 0
		.amdhsa_enable_private_segment 0
		.amdhsa_system_sgpr_workgroup_id_x 1
		.amdhsa_system_sgpr_workgroup_id_y 0
		.amdhsa_system_sgpr_workgroup_id_z 0
		.amdhsa_system_sgpr_workgroup_info 0
		.amdhsa_system_vgpr_workitem_id 0
		.amdhsa_next_free_vgpr 1
		.amdhsa_next_free_sgpr 1
		.amdhsa_reserve_vcc 0
		.amdhsa_float_round_mode_32 0
		.amdhsa_float_round_mode_16_64 0
		.amdhsa_float_denorm_mode_32 3
		.amdhsa_float_denorm_mode_16_64 3
		.amdhsa_fp16_overflow 0
		.amdhsa_workgroup_processor_mode 1
		.amdhsa_memory_ordered 1
		.amdhsa_forward_progress 1
		.amdhsa_inst_pref_size 0
		.amdhsa_round_robin_scheduling 0
		.amdhsa_exception_fp_ieee_invalid_op 0
		.amdhsa_exception_fp_denorm_src 0
		.amdhsa_exception_fp_ieee_div_zero 0
		.amdhsa_exception_fp_ieee_overflow 0
		.amdhsa_exception_fp_ieee_underflow 0
		.amdhsa_exception_fp_ieee_inexact 0
		.amdhsa_exception_int_div_zero 0
	.end_amdhsa_kernel
	.section	.text._ZN7rocprim17ROCPRIM_400000_NS6detail17trampoline_kernelINS0_14default_configENS1_25partition_config_selectorILNS1_17partition_subalgoE5EyNS0_10empty_typeEbEEZZNS1_14partition_implILS5_5ELb0ES3_mN6thrust23THRUST_200600_302600_NS6detail15normal_iteratorINSA_10device_ptrIyEEEEPS6_NSA_18transform_iteratorINSB_9not_fun_tI7is_trueIyEEESF_NSA_11use_defaultESM_EENS0_5tupleIJSF_S6_EEENSO_IJSG_SG_EEES6_PlJS6_EEE10hipError_tPvRmT3_T4_T5_T6_T7_T9_mT8_P12ihipStream_tbDpT10_ENKUlT_T0_E_clISt17integral_constantIbLb0EES1B_EEDaS16_S17_EUlS16_E_NS1_11comp_targetILNS1_3genE3ELNS1_11target_archE908ELNS1_3gpuE7ELNS1_3repE0EEENS1_30default_config_static_selectorELNS0_4arch9wavefront6targetE0EEEvT1_,"axG",@progbits,_ZN7rocprim17ROCPRIM_400000_NS6detail17trampoline_kernelINS0_14default_configENS1_25partition_config_selectorILNS1_17partition_subalgoE5EyNS0_10empty_typeEbEEZZNS1_14partition_implILS5_5ELb0ES3_mN6thrust23THRUST_200600_302600_NS6detail15normal_iteratorINSA_10device_ptrIyEEEEPS6_NSA_18transform_iteratorINSB_9not_fun_tI7is_trueIyEEESF_NSA_11use_defaultESM_EENS0_5tupleIJSF_S6_EEENSO_IJSG_SG_EEES6_PlJS6_EEE10hipError_tPvRmT3_T4_T5_T6_T7_T9_mT8_P12ihipStream_tbDpT10_ENKUlT_T0_E_clISt17integral_constantIbLb0EES1B_EEDaS16_S17_EUlS16_E_NS1_11comp_targetILNS1_3genE3ELNS1_11target_archE908ELNS1_3gpuE7ELNS1_3repE0EEENS1_30default_config_static_selectorELNS0_4arch9wavefront6targetE0EEEvT1_,comdat
.Lfunc_end1371:
	.size	_ZN7rocprim17ROCPRIM_400000_NS6detail17trampoline_kernelINS0_14default_configENS1_25partition_config_selectorILNS1_17partition_subalgoE5EyNS0_10empty_typeEbEEZZNS1_14partition_implILS5_5ELb0ES3_mN6thrust23THRUST_200600_302600_NS6detail15normal_iteratorINSA_10device_ptrIyEEEEPS6_NSA_18transform_iteratorINSB_9not_fun_tI7is_trueIyEEESF_NSA_11use_defaultESM_EENS0_5tupleIJSF_S6_EEENSO_IJSG_SG_EEES6_PlJS6_EEE10hipError_tPvRmT3_T4_T5_T6_T7_T9_mT8_P12ihipStream_tbDpT10_ENKUlT_T0_E_clISt17integral_constantIbLb0EES1B_EEDaS16_S17_EUlS16_E_NS1_11comp_targetILNS1_3genE3ELNS1_11target_archE908ELNS1_3gpuE7ELNS1_3repE0EEENS1_30default_config_static_selectorELNS0_4arch9wavefront6targetE0EEEvT1_, .Lfunc_end1371-_ZN7rocprim17ROCPRIM_400000_NS6detail17trampoline_kernelINS0_14default_configENS1_25partition_config_selectorILNS1_17partition_subalgoE5EyNS0_10empty_typeEbEEZZNS1_14partition_implILS5_5ELb0ES3_mN6thrust23THRUST_200600_302600_NS6detail15normal_iteratorINSA_10device_ptrIyEEEEPS6_NSA_18transform_iteratorINSB_9not_fun_tI7is_trueIyEEESF_NSA_11use_defaultESM_EENS0_5tupleIJSF_S6_EEENSO_IJSG_SG_EEES6_PlJS6_EEE10hipError_tPvRmT3_T4_T5_T6_T7_T9_mT8_P12ihipStream_tbDpT10_ENKUlT_T0_E_clISt17integral_constantIbLb0EES1B_EEDaS16_S17_EUlS16_E_NS1_11comp_targetILNS1_3genE3ELNS1_11target_archE908ELNS1_3gpuE7ELNS1_3repE0EEENS1_30default_config_static_selectorELNS0_4arch9wavefront6targetE0EEEvT1_
                                        ; -- End function
	.set _ZN7rocprim17ROCPRIM_400000_NS6detail17trampoline_kernelINS0_14default_configENS1_25partition_config_selectorILNS1_17partition_subalgoE5EyNS0_10empty_typeEbEEZZNS1_14partition_implILS5_5ELb0ES3_mN6thrust23THRUST_200600_302600_NS6detail15normal_iteratorINSA_10device_ptrIyEEEEPS6_NSA_18transform_iteratorINSB_9not_fun_tI7is_trueIyEEESF_NSA_11use_defaultESM_EENS0_5tupleIJSF_S6_EEENSO_IJSG_SG_EEES6_PlJS6_EEE10hipError_tPvRmT3_T4_T5_T6_T7_T9_mT8_P12ihipStream_tbDpT10_ENKUlT_T0_E_clISt17integral_constantIbLb0EES1B_EEDaS16_S17_EUlS16_E_NS1_11comp_targetILNS1_3genE3ELNS1_11target_archE908ELNS1_3gpuE7ELNS1_3repE0EEENS1_30default_config_static_selectorELNS0_4arch9wavefront6targetE0EEEvT1_.num_vgpr, 0
	.set _ZN7rocprim17ROCPRIM_400000_NS6detail17trampoline_kernelINS0_14default_configENS1_25partition_config_selectorILNS1_17partition_subalgoE5EyNS0_10empty_typeEbEEZZNS1_14partition_implILS5_5ELb0ES3_mN6thrust23THRUST_200600_302600_NS6detail15normal_iteratorINSA_10device_ptrIyEEEEPS6_NSA_18transform_iteratorINSB_9not_fun_tI7is_trueIyEEESF_NSA_11use_defaultESM_EENS0_5tupleIJSF_S6_EEENSO_IJSG_SG_EEES6_PlJS6_EEE10hipError_tPvRmT3_T4_T5_T6_T7_T9_mT8_P12ihipStream_tbDpT10_ENKUlT_T0_E_clISt17integral_constantIbLb0EES1B_EEDaS16_S17_EUlS16_E_NS1_11comp_targetILNS1_3genE3ELNS1_11target_archE908ELNS1_3gpuE7ELNS1_3repE0EEENS1_30default_config_static_selectorELNS0_4arch9wavefront6targetE0EEEvT1_.num_agpr, 0
	.set _ZN7rocprim17ROCPRIM_400000_NS6detail17trampoline_kernelINS0_14default_configENS1_25partition_config_selectorILNS1_17partition_subalgoE5EyNS0_10empty_typeEbEEZZNS1_14partition_implILS5_5ELb0ES3_mN6thrust23THRUST_200600_302600_NS6detail15normal_iteratorINSA_10device_ptrIyEEEEPS6_NSA_18transform_iteratorINSB_9not_fun_tI7is_trueIyEEESF_NSA_11use_defaultESM_EENS0_5tupleIJSF_S6_EEENSO_IJSG_SG_EEES6_PlJS6_EEE10hipError_tPvRmT3_T4_T5_T6_T7_T9_mT8_P12ihipStream_tbDpT10_ENKUlT_T0_E_clISt17integral_constantIbLb0EES1B_EEDaS16_S17_EUlS16_E_NS1_11comp_targetILNS1_3genE3ELNS1_11target_archE908ELNS1_3gpuE7ELNS1_3repE0EEENS1_30default_config_static_selectorELNS0_4arch9wavefront6targetE0EEEvT1_.numbered_sgpr, 0
	.set _ZN7rocprim17ROCPRIM_400000_NS6detail17trampoline_kernelINS0_14default_configENS1_25partition_config_selectorILNS1_17partition_subalgoE5EyNS0_10empty_typeEbEEZZNS1_14partition_implILS5_5ELb0ES3_mN6thrust23THRUST_200600_302600_NS6detail15normal_iteratorINSA_10device_ptrIyEEEEPS6_NSA_18transform_iteratorINSB_9not_fun_tI7is_trueIyEEESF_NSA_11use_defaultESM_EENS0_5tupleIJSF_S6_EEENSO_IJSG_SG_EEES6_PlJS6_EEE10hipError_tPvRmT3_T4_T5_T6_T7_T9_mT8_P12ihipStream_tbDpT10_ENKUlT_T0_E_clISt17integral_constantIbLb0EES1B_EEDaS16_S17_EUlS16_E_NS1_11comp_targetILNS1_3genE3ELNS1_11target_archE908ELNS1_3gpuE7ELNS1_3repE0EEENS1_30default_config_static_selectorELNS0_4arch9wavefront6targetE0EEEvT1_.num_named_barrier, 0
	.set _ZN7rocprim17ROCPRIM_400000_NS6detail17trampoline_kernelINS0_14default_configENS1_25partition_config_selectorILNS1_17partition_subalgoE5EyNS0_10empty_typeEbEEZZNS1_14partition_implILS5_5ELb0ES3_mN6thrust23THRUST_200600_302600_NS6detail15normal_iteratorINSA_10device_ptrIyEEEEPS6_NSA_18transform_iteratorINSB_9not_fun_tI7is_trueIyEEESF_NSA_11use_defaultESM_EENS0_5tupleIJSF_S6_EEENSO_IJSG_SG_EEES6_PlJS6_EEE10hipError_tPvRmT3_T4_T5_T6_T7_T9_mT8_P12ihipStream_tbDpT10_ENKUlT_T0_E_clISt17integral_constantIbLb0EES1B_EEDaS16_S17_EUlS16_E_NS1_11comp_targetILNS1_3genE3ELNS1_11target_archE908ELNS1_3gpuE7ELNS1_3repE0EEENS1_30default_config_static_selectorELNS0_4arch9wavefront6targetE0EEEvT1_.private_seg_size, 0
	.set _ZN7rocprim17ROCPRIM_400000_NS6detail17trampoline_kernelINS0_14default_configENS1_25partition_config_selectorILNS1_17partition_subalgoE5EyNS0_10empty_typeEbEEZZNS1_14partition_implILS5_5ELb0ES3_mN6thrust23THRUST_200600_302600_NS6detail15normal_iteratorINSA_10device_ptrIyEEEEPS6_NSA_18transform_iteratorINSB_9not_fun_tI7is_trueIyEEESF_NSA_11use_defaultESM_EENS0_5tupleIJSF_S6_EEENSO_IJSG_SG_EEES6_PlJS6_EEE10hipError_tPvRmT3_T4_T5_T6_T7_T9_mT8_P12ihipStream_tbDpT10_ENKUlT_T0_E_clISt17integral_constantIbLb0EES1B_EEDaS16_S17_EUlS16_E_NS1_11comp_targetILNS1_3genE3ELNS1_11target_archE908ELNS1_3gpuE7ELNS1_3repE0EEENS1_30default_config_static_selectorELNS0_4arch9wavefront6targetE0EEEvT1_.uses_vcc, 0
	.set _ZN7rocprim17ROCPRIM_400000_NS6detail17trampoline_kernelINS0_14default_configENS1_25partition_config_selectorILNS1_17partition_subalgoE5EyNS0_10empty_typeEbEEZZNS1_14partition_implILS5_5ELb0ES3_mN6thrust23THRUST_200600_302600_NS6detail15normal_iteratorINSA_10device_ptrIyEEEEPS6_NSA_18transform_iteratorINSB_9not_fun_tI7is_trueIyEEESF_NSA_11use_defaultESM_EENS0_5tupleIJSF_S6_EEENSO_IJSG_SG_EEES6_PlJS6_EEE10hipError_tPvRmT3_T4_T5_T6_T7_T9_mT8_P12ihipStream_tbDpT10_ENKUlT_T0_E_clISt17integral_constantIbLb0EES1B_EEDaS16_S17_EUlS16_E_NS1_11comp_targetILNS1_3genE3ELNS1_11target_archE908ELNS1_3gpuE7ELNS1_3repE0EEENS1_30default_config_static_selectorELNS0_4arch9wavefront6targetE0EEEvT1_.uses_flat_scratch, 0
	.set _ZN7rocprim17ROCPRIM_400000_NS6detail17trampoline_kernelINS0_14default_configENS1_25partition_config_selectorILNS1_17partition_subalgoE5EyNS0_10empty_typeEbEEZZNS1_14partition_implILS5_5ELb0ES3_mN6thrust23THRUST_200600_302600_NS6detail15normal_iteratorINSA_10device_ptrIyEEEEPS6_NSA_18transform_iteratorINSB_9not_fun_tI7is_trueIyEEESF_NSA_11use_defaultESM_EENS0_5tupleIJSF_S6_EEENSO_IJSG_SG_EEES6_PlJS6_EEE10hipError_tPvRmT3_T4_T5_T6_T7_T9_mT8_P12ihipStream_tbDpT10_ENKUlT_T0_E_clISt17integral_constantIbLb0EES1B_EEDaS16_S17_EUlS16_E_NS1_11comp_targetILNS1_3genE3ELNS1_11target_archE908ELNS1_3gpuE7ELNS1_3repE0EEENS1_30default_config_static_selectorELNS0_4arch9wavefront6targetE0EEEvT1_.has_dyn_sized_stack, 0
	.set _ZN7rocprim17ROCPRIM_400000_NS6detail17trampoline_kernelINS0_14default_configENS1_25partition_config_selectorILNS1_17partition_subalgoE5EyNS0_10empty_typeEbEEZZNS1_14partition_implILS5_5ELb0ES3_mN6thrust23THRUST_200600_302600_NS6detail15normal_iteratorINSA_10device_ptrIyEEEEPS6_NSA_18transform_iteratorINSB_9not_fun_tI7is_trueIyEEESF_NSA_11use_defaultESM_EENS0_5tupleIJSF_S6_EEENSO_IJSG_SG_EEES6_PlJS6_EEE10hipError_tPvRmT3_T4_T5_T6_T7_T9_mT8_P12ihipStream_tbDpT10_ENKUlT_T0_E_clISt17integral_constantIbLb0EES1B_EEDaS16_S17_EUlS16_E_NS1_11comp_targetILNS1_3genE3ELNS1_11target_archE908ELNS1_3gpuE7ELNS1_3repE0EEENS1_30default_config_static_selectorELNS0_4arch9wavefront6targetE0EEEvT1_.has_recursion, 0
	.set _ZN7rocprim17ROCPRIM_400000_NS6detail17trampoline_kernelINS0_14default_configENS1_25partition_config_selectorILNS1_17partition_subalgoE5EyNS0_10empty_typeEbEEZZNS1_14partition_implILS5_5ELb0ES3_mN6thrust23THRUST_200600_302600_NS6detail15normal_iteratorINSA_10device_ptrIyEEEEPS6_NSA_18transform_iteratorINSB_9not_fun_tI7is_trueIyEEESF_NSA_11use_defaultESM_EENS0_5tupleIJSF_S6_EEENSO_IJSG_SG_EEES6_PlJS6_EEE10hipError_tPvRmT3_T4_T5_T6_T7_T9_mT8_P12ihipStream_tbDpT10_ENKUlT_T0_E_clISt17integral_constantIbLb0EES1B_EEDaS16_S17_EUlS16_E_NS1_11comp_targetILNS1_3genE3ELNS1_11target_archE908ELNS1_3gpuE7ELNS1_3repE0EEENS1_30default_config_static_selectorELNS0_4arch9wavefront6targetE0EEEvT1_.has_indirect_call, 0
	.section	.AMDGPU.csdata,"",@progbits
; Kernel info:
; codeLenInByte = 0
; TotalNumSgprs: 0
; NumVgprs: 0
; ScratchSize: 0
; MemoryBound: 0
; FloatMode: 240
; IeeeMode: 1
; LDSByteSize: 0 bytes/workgroup (compile time only)
; SGPRBlocks: 0
; VGPRBlocks: 0
; NumSGPRsForWavesPerEU: 1
; NumVGPRsForWavesPerEU: 1
; Occupancy: 16
; WaveLimiterHint : 0
; COMPUTE_PGM_RSRC2:SCRATCH_EN: 0
; COMPUTE_PGM_RSRC2:USER_SGPR: 2
; COMPUTE_PGM_RSRC2:TRAP_HANDLER: 0
; COMPUTE_PGM_RSRC2:TGID_X_EN: 1
; COMPUTE_PGM_RSRC2:TGID_Y_EN: 0
; COMPUTE_PGM_RSRC2:TGID_Z_EN: 0
; COMPUTE_PGM_RSRC2:TIDIG_COMP_CNT: 0
	.section	.text._ZN7rocprim17ROCPRIM_400000_NS6detail17trampoline_kernelINS0_14default_configENS1_25partition_config_selectorILNS1_17partition_subalgoE5EyNS0_10empty_typeEbEEZZNS1_14partition_implILS5_5ELb0ES3_mN6thrust23THRUST_200600_302600_NS6detail15normal_iteratorINSA_10device_ptrIyEEEEPS6_NSA_18transform_iteratorINSB_9not_fun_tI7is_trueIyEEESF_NSA_11use_defaultESM_EENS0_5tupleIJSF_S6_EEENSO_IJSG_SG_EEES6_PlJS6_EEE10hipError_tPvRmT3_T4_T5_T6_T7_T9_mT8_P12ihipStream_tbDpT10_ENKUlT_T0_E_clISt17integral_constantIbLb0EES1B_EEDaS16_S17_EUlS16_E_NS1_11comp_targetILNS1_3genE2ELNS1_11target_archE906ELNS1_3gpuE6ELNS1_3repE0EEENS1_30default_config_static_selectorELNS0_4arch9wavefront6targetE0EEEvT1_,"axG",@progbits,_ZN7rocprim17ROCPRIM_400000_NS6detail17trampoline_kernelINS0_14default_configENS1_25partition_config_selectorILNS1_17partition_subalgoE5EyNS0_10empty_typeEbEEZZNS1_14partition_implILS5_5ELb0ES3_mN6thrust23THRUST_200600_302600_NS6detail15normal_iteratorINSA_10device_ptrIyEEEEPS6_NSA_18transform_iteratorINSB_9not_fun_tI7is_trueIyEEESF_NSA_11use_defaultESM_EENS0_5tupleIJSF_S6_EEENSO_IJSG_SG_EEES6_PlJS6_EEE10hipError_tPvRmT3_T4_T5_T6_T7_T9_mT8_P12ihipStream_tbDpT10_ENKUlT_T0_E_clISt17integral_constantIbLb0EES1B_EEDaS16_S17_EUlS16_E_NS1_11comp_targetILNS1_3genE2ELNS1_11target_archE906ELNS1_3gpuE6ELNS1_3repE0EEENS1_30default_config_static_selectorELNS0_4arch9wavefront6targetE0EEEvT1_,comdat
	.protected	_ZN7rocprim17ROCPRIM_400000_NS6detail17trampoline_kernelINS0_14default_configENS1_25partition_config_selectorILNS1_17partition_subalgoE5EyNS0_10empty_typeEbEEZZNS1_14partition_implILS5_5ELb0ES3_mN6thrust23THRUST_200600_302600_NS6detail15normal_iteratorINSA_10device_ptrIyEEEEPS6_NSA_18transform_iteratorINSB_9not_fun_tI7is_trueIyEEESF_NSA_11use_defaultESM_EENS0_5tupleIJSF_S6_EEENSO_IJSG_SG_EEES6_PlJS6_EEE10hipError_tPvRmT3_T4_T5_T6_T7_T9_mT8_P12ihipStream_tbDpT10_ENKUlT_T0_E_clISt17integral_constantIbLb0EES1B_EEDaS16_S17_EUlS16_E_NS1_11comp_targetILNS1_3genE2ELNS1_11target_archE906ELNS1_3gpuE6ELNS1_3repE0EEENS1_30default_config_static_selectorELNS0_4arch9wavefront6targetE0EEEvT1_ ; -- Begin function _ZN7rocprim17ROCPRIM_400000_NS6detail17trampoline_kernelINS0_14default_configENS1_25partition_config_selectorILNS1_17partition_subalgoE5EyNS0_10empty_typeEbEEZZNS1_14partition_implILS5_5ELb0ES3_mN6thrust23THRUST_200600_302600_NS6detail15normal_iteratorINSA_10device_ptrIyEEEEPS6_NSA_18transform_iteratorINSB_9not_fun_tI7is_trueIyEEESF_NSA_11use_defaultESM_EENS0_5tupleIJSF_S6_EEENSO_IJSG_SG_EEES6_PlJS6_EEE10hipError_tPvRmT3_T4_T5_T6_T7_T9_mT8_P12ihipStream_tbDpT10_ENKUlT_T0_E_clISt17integral_constantIbLb0EES1B_EEDaS16_S17_EUlS16_E_NS1_11comp_targetILNS1_3genE2ELNS1_11target_archE906ELNS1_3gpuE6ELNS1_3repE0EEENS1_30default_config_static_selectorELNS0_4arch9wavefront6targetE0EEEvT1_
	.globl	_ZN7rocprim17ROCPRIM_400000_NS6detail17trampoline_kernelINS0_14default_configENS1_25partition_config_selectorILNS1_17partition_subalgoE5EyNS0_10empty_typeEbEEZZNS1_14partition_implILS5_5ELb0ES3_mN6thrust23THRUST_200600_302600_NS6detail15normal_iteratorINSA_10device_ptrIyEEEEPS6_NSA_18transform_iteratorINSB_9not_fun_tI7is_trueIyEEESF_NSA_11use_defaultESM_EENS0_5tupleIJSF_S6_EEENSO_IJSG_SG_EEES6_PlJS6_EEE10hipError_tPvRmT3_T4_T5_T6_T7_T9_mT8_P12ihipStream_tbDpT10_ENKUlT_T0_E_clISt17integral_constantIbLb0EES1B_EEDaS16_S17_EUlS16_E_NS1_11comp_targetILNS1_3genE2ELNS1_11target_archE906ELNS1_3gpuE6ELNS1_3repE0EEENS1_30default_config_static_selectorELNS0_4arch9wavefront6targetE0EEEvT1_
	.p2align	8
	.type	_ZN7rocprim17ROCPRIM_400000_NS6detail17trampoline_kernelINS0_14default_configENS1_25partition_config_selectorILNS1_17partition_subalgoE5EyNS0_10empty_typeEbEEZZNS1_14partition_implILS5_5ELb0ES3_mN6thrust23THRUST_200600_302600_NS6detail15normal_iteratorINSA_10device_ptrIyEEEEPS6_NSA_18transform_iteratorINSB_9not_fun_tI7is_trueIyEEESF_NSA_11use_defaultESM_EENS0_5tupleIJSF_S6_EEENSO_IJSG_SG_EEES6_PlJS6_EEE10hipError_tPvRmT3_T4_T5_T6_T7_T9_mT8_P12ihipStream_tbDpT10_ENKUlT_T0_E_clISt17integral_constantIbLb0EES1B_EEDaS16_S17_EUlS16_E_NS1_11comp_targetILNS1_3genE2ELNS1_11target_archE906ELNS1_3gpuE6ELNS1_3repE0EEENS1_30default_config_static_selectorELNS0_4arch9wavefront6targetE0EEEvT1_,@function
_ZN7rocprim17ROCPRIM_400000_NS6detail17trampoline_kernelINS0_14default_configENS1_25partition_config_selectorILNS1_17partition_subalgoE5EyNS0_10empty_typeEbEEZZNS1_14partition_implILS5_5ELb0ES3_mN6thrust23THRUST_200600_302600_NS6detail15normal_iteratorINSA_10device_ptrIyEEEEPS6_NSA_18transform_iteratorINSB_9not_fun_tI7is_trueIyEEESF_NSA_11use_defaultESM_EENS0_5tupleIJSF_S6_EEENSO_IJSG_SG_EEES6_PlJS6_EEE10hipError_tPvRmT3_T4_T5_T6_T7_T9_mT8_P12ihipStream_tbDpT10_ENKUlT_T0_E_clISt17integral_constantIbLb0EES1B_EEDaS16_S17_EUlS16_E_NS1_11comp_targetILNS1_3genE2ELNS1_11target_archE906ELNS1_3gpuE6ELNS1_3repE0EEENS1_30default_config_static_selectorELNS0_4arch9wavefront6targetE0EEEvT1_: ; @_ZN7rocprim17ROCPRIM_400000_NS6detail17trampoline_kernelINS0_14default_configENS1_25partition_config_selectorILNS1_17partition_subalgoE5EyNS0_10empty_typeEbEEZZNS1_14partition_implILS5_5ELb0ES3_mN6thrust23THRUST_200600_302600_NS6detail15normal_iteratorINSA_10device_ptrIyEEEEPS6_NSA_18transform_iteratorINSB_9not_fun_tI7is_trueIyEEESF_NSA_11use_defaultESM_EENS0_5tupleIJSF_S6_EEENSO_IJSG_SG_EEES6_PlJS6_EEE10hipError_tPvRmT3_T4_T5_T6_T7_T9_mT8_P12ihipStream_tbDpT10_ENKUlT_T0_E_clISt17integral_constantIbLb0EES1B_EEDaS16_S17_EUlS16_E_NS1_11comp_targetILNS1_3genE2ELNS1_11target_archE906ELNS1_3gpuE6ELNS1_3repE0EEENS1_30default_config_static_selectorELNS0_4arch9wavefront6targetE0EEEvT1_
; %bb.0:
	.section	.rodata,"a",@progbits
	.p2align	6, 0x0
	.amdhsa_kernel _ZN7rocprim17ROCPRIM_400000_NS6detail17trampoline_kernelINS0_14default_configENS1_25partition_config_selectorILNS1_17partition_subalgoE5EyNS0_10empty_typeEbEEZZNS1_14partition_implILS5_5ELb0ES3_mN6thrust23THRUST_200600_302600_NS6detail15normal_iteratorINSA_10device_ptrIyEEEEPS6_NSA_18transform_iteratorINSB_9not_fun_tI7is_trueIyEEESF_NSA_11use_defaultESM_EENS0_5tupleIJSF_S6_EEENSO_IJSG_SG_EEES6_PlJS6_EEE10hipError_tPvRmT3_T4_T5_T6_T7_T9_mT8_P12ihipStream_tbDpT10_ENKUlT_T0_E_clISt17integral_constantIbLb0EES1B_EEDaS16_S17_EUlS16_E_NS1_11comp_targetILNS1_3genE2ELNS1_11target_archE906ELNS1_3gpuE6ELNS1_3repE0EEENS1_30default_config_static_selectorELNS0_4arch9wavefront6targetE0EEEvT1_
		.amdhsa_group_segment_fixed_size 0
		.amdhsa_private_segment_fixed_size 0
		.amdhsa_kernarg_size 120
		.amdhsa_user_sgpr_count 2
		.amdhsa_user_sgpr_dispatch_ptr 0
		.amdhsa_user_sgpr_queue_ptr 0
		.amdhsa_user_sgpr_kernarg_segment_ptr 1
		.amdhsa_user_sgpr_dispatch_id 0
		.amdhsa_user_sgpr_private_segment_size 0
		.amdhsa_wavefront_size32 1
		.amdhsa_uses_dynamic_stack 0
		.amdhsa_enable_private_segment 0
		.amdhsa_system_sgpr_workgroup_id_x 1
		.amdhsa_system_sgpr_workgroup_id_y 0
		.amdhsa_system_sgpr_workgroup_id_z 0
		.amdhsa_system_sgpr_workgroup_info 0
		.amdhsa_system_vgpr_workitem_id 0
		.amdhsa_next_free_vgpr 1
		.amdhsa_next_free_sgpr 1
		.amdhsa_reserve_vcc 0
		.amdhsa_float_round_mode_32 0
		.amdhsa_float_round_mode_16_64 0
		.amdhsa_float_denorm_mode_32 3
		.amdhsa_float_denorm_mode_16_64 3
		.amdhsa_fp16_overflow 0
		.amdhsa_workgroup_processor_mode 1
		.amdhsa_memory_ordered 1
		.amdhsa_forward_progress 1
		.amdhsa_inst_pref_size 0
		.amdhsa_round_robin_scheduling 0
		.amdhsa_exception_fp_ieee_invalid_op 0
		.amdhsa_exception_fp_denorm_src 0
		.amdhsa_exception_fp_ieee_div_zero 0
		.amdhsa_exception_fp_ieee_overflow 0
		.amdhsa_exception_fp_ieee_underflow 0
		.amdhsa_exception_fp_ieee_inexact 0
		.amdhsa_exception_int_div_zero 0
	.end_amdhsa_kernel
	.section	.text._ZN7rocprim17ROCPRIM_400000_NS6detail17trampoline_kernelINS0_14default_configENS1_25partition_config_selectorILNS1_17partition_subalgoE5EyNS0_10empty_typeEbEEZZNS1_14partition_implILS5_5ELb0ES3_mN6thrust23THRUST_200600_302600_NS6detail15normal_iteratorINSA_10device_ptrIyEEEEPS6_NSA_18transform_iteratorINSB_9not_fun_tI7is_trueIyEEESF_NSA_11use_defaultESM_EENS0_5tupleIJSF_S6_EEENSO_IJSG_SG_EEES6_PlJS6_EEE10hipError_tPvRmT3_T4_T5_T6_T7_T9_mT8_P12ihipStream_tbDpT10_ENKUlT_T0_E_clISt17integral_constantIbLb0EES1B_EEDaS16_S17_EUlS16_E_NS1_11comp_targetILNS1_3genE2ELNS1_11target_archE906ELNS1_3gpuE6ELNS1_3repE0EEENS1_30default_config_static_selectorELNS0_4arch9wavefront6targetE0EEEvT1_,"axG",@progbits,_ZN7rocprim17ROCPRIM_400000_NS6detail17trampoline_kernelINS0_14default_configENS1_25partition_config_selectorILNS1_17partition_subalgoE5EyNS0_10empty_typeEbEEZZNS1_14partition_implILS5_5ELb0ES3_mN6thrust23THRUST_200600_302600_NS6detail15normal_iteratorINSA_10device_ptrIyEEEEPS6_NSA_18transform_iteratorINSB_9not_fun_tI7is_trueIyEEESF_NSA_11use_defaultESM_EENS0_5tupleIJSF_S6_EEENSO_IJSG_SG_EEES6_PlJS6_EEE10hipError_tPvRmT3_T4_T5_T6_T7_T9_mT8_P12ihipStream_tbDpT10_ENKUlT_T0_E_clISt17integral_constantIbLb0EES1B_EEDaS16_S17_EUlS16_E_NS1_11comp_targetILNS1_3genE2ELNS1_11target_archE906ELNS1_3gpuE6ELNS1_3repE0EEENS1_30default_config_static_selectorELNS0_4arch9wavefront6targetE0EEEvT1_,comdat
.Lfunc_end1372:
	.size	_ZN7rocprim17ROCPRIM_400000_NS6detail17trampoline_kernelINS0_14default_configENS1_25partition_config_selectorILNS1_17partition_subalgoE5EyNS0_10empty_typeEbEEZZNS1_14partition_implILS5_5ELb0ES3_mN6thrust23THRUST_200600_302600_NS6detail15normal_iteratorINSA_10device_ptrIyEEEEPS6_NSA_18transform_iteratorINSB_9not_fun_tI7is_trueIyEEESF_NSA_11use_defaultESM_EENS0_5tupleIJSF_S6_EEENSO_IJSG_SG_EEES6_PlJS6_EEE10hipError_tPvRmT3_T4_T5_T6_T7_T9_mT8_P12ihipStream_tbDpT10_ENKUlT_T0_E_clISt17integral_constantIbLb0EES1B_EEDaS16_S17_EUlS16_E_NS1_11comp_targetILNS1_3genE2ELNS1_11target_archE906ELNS1_3gpuE6ELNS1_3repE0EEENS1_30default_config_static_selectorELNS0_4arch9wavefront6targetE0EEEvT1_, .Lfunc_end1372-_ZN7rocprim17ROCPRIM_400000_NS6detail17trampoline_kernelINS0_14default_configENS1_25partition_config_selectorILNS1_17partition_subalgoE5EyNS0_10empty_typeEbEEZZNS1_14partition_implILS5_5ELb0ES3_mN6thrust23THRUST_200600_302600_NS6detail15normal_iteratorINSA_10device_ptrIyEEEEPS6_NSA_18transform_iteratorINSB_9not_fun_tI7is_trueIyEEESF_NSA_11use_defaultESM_EENS0_5tupleIJSF_S6_EEENSO_IJSG_SG_EEES6_PlJS6_EEE10hipError_tPvRmT3_T4_T5_T6_T7_T9_mT8_P12ihipStream_tbDpT10_ENKUlT_T0_E_clISt17integral_constantIbLb0EES1B_EEDaS16_S17_EUlS16_E_NS1_11comp_targetILNS1_3genE2ELNS1_11target_archE906ELNS1_3gpuE6ELNS1_3repE0EEENS1_30default_config_static_selectorELNS0_4arch9wavefront6targetE0EEEvT1_
                                        ; -- End function
	.set _ZN7rocprim17ROCPRIM_400000_NS6detail17trampoline_kernelINS0_14default_configENS1_25partition_config_selectorILNS1_17partition_subalgoE5EyNS0_10empty_typeEbEEZZNS1_14partition_implILS5_5ELb0ES3_mN6thrust23THRUST_200600_302600_NS6detail15normal_iteratorINSA_10device_ptrIyEEEEPS6_NSA_18transform_iteratorINSB_9not_fun_tI7is_trueIyEEESF_NSA_11use_defaultESM_EENS0_5tupleIJSF_S6_EEENSO_IJSG_SG_EEES6_PlJS6_EEE10hipError_tPvRmT3_T4_T5_T6_T7_T9_mT8_P12ihipStream_tbDpT10_ENKUlT_T0_E_clISt17integral_constantIbLb0EES1B_EEDaS16_S17_EUlS16_E_NS1_11comp_targetILNS1_3genE2ELNS1_11target_archE906ELNS1_3gpuE6ELNS1_3repE0EEENS1_30default_config_static_selectorELNS0_4arch9wavefront6targetE0EEEvT1_.num_vgpr, 0
	.set _ZN7rocprim17ROCPRIM_400000_NS6detail17trampoline_kernelINS0_14default_configENS1_25partition_config_selectorILNS1_17partition_subalgoE5EyNS0_10empty_typeEbEEZZNS1_14partition_implILS5_5ELb0ES3_mN6thrust23THRUST_200600_302600_NS6detail15normal_iteratorINSA_10device_ptrIyEEEEPS6_NSA_18transform_iteratorINSB_9not_fun_tI7is_trueIyEEESF_NSA_11use_defaultESM_EENS0_5tupleIJSF_S6_EEENSO_IJSG_SG_EEES6_PlJS6_EEE10hipError_tPvRmT3_T4_T5_T6_T7_T9_mT8_P12ihipStream_tbDpT10_ENKUlT_T0_E_clISt17integral_constantIbLb0EES1B_EEDaS16_S17_EUlS16_E_NS1_11comp_targetILNS1_3genE2ELNS1_11target_archE906ELNS1_3gpuE6ELNS1_3repE0EEENS1_30default_config_static_selectorELNS0_4arch9wavefront6targetE0EEEvT1_.num_agpr, 0
	.set _ZN7rocprim17ROCPRIM_400000_NS6detail17trampoline_kernelINS0_14default_configENS1_25partition_config_selectorILNS1_17partition_subalgoE5EyNS0_10empty_typeEbEEZZNS1_14partition_implILS5_5ELb0ES3_mN6thrust23THRUST_200600_302600_NS6detail15normal_iteratorINSA_10device_ptrIyEEEEPS6_NSA_18transform_iteratorINSB_9not_fun_tI7is_trueIyEEESF_NSA_11use_defaultESM_EENS0_5tupleIJSF_S6_EEENSO_IJSG_SG_EEES6_PlJS6_EEE10hipError_tPvRmT3_T4_T5_T6_T7_T9_mT8_P12ihipStream_tbDpT10_ENKUlT_T0_E_clISt17integral_constantIbLb0EES1B_EEDaS16_S17_EUlS16_E_NS1_11comp_targetILNS1_3genE2ELNS1_11target_archE906ELNS1_3gpuE6ELNS1_3repE0EEENS1_30default_config_static_selectorELNS0_4arch9wavefront6targetE0EEEvT1_.numbered_sgpr, 0
	.set _ZN7rocprim17ROCPRIM_400000_NS6detail17trampoline_kernelINS0_14default_configENS1_25partition_config_selectorILNS1_17partition_subalgoE5EyNS0_10empty_typeEbEEZZNS1_14partition_implILS5_5ELb0ES3_mN6thrust23THRUST_200600_302600_NS6detail15normal_iteratorINSA_10device_ptrIyEEEEPS6_NSA_18transform_iteratorINSB_9not_fun_tI7is_trueIyEEESF_NSA_11use_defaultESM_EENS0_5tupleIJSF_S6_EEENSO_IJSG_SG_EEES6_PlJS6_EEE10hipError_tPvRmT3_T4_T5_T6_T7_T9_mT8_P12ihipStream_tbDpT10_ENKUlT_T0_E_clISt17integral_constantIbLb0EES1B_EEDaS16_S17_EUlS16_E_NS1_11comp_targetILNS1_3genE2ELNS1_11target_archE906ELNS1_3gpuE6ELNS1_3repE0EEENS1_30default_config_static_selectorELNS0_4arch9wavefront6targetE0EEEvT1_.num_named_barrier, 0
	.set _ZN7rocprim17ROCPRIM_400000_NS6detail17trampoline_kernelINS0_14default_configENS1_25partition_config_selectorILNS1_17partition_subalgoE5EyNS0_10empty_typeEbEEZZNS1_14partition_implILS5_5ELb0ES3_mN6thrust23THRUST_200600_302600_NS6detail15normal_iteratorINSA_10device_ptrIyEEEEPS6_NSA_18transform_iteratorINSB_9not_fun_tI7is_trueIyEEESF_NSA_11use_defaultESM_EENS0_5tupleIJSF_S6_EEENSO_IJSG_SG_EEES6_PlJS6_EEE10hipError_tPvRmT3_T4_T5_T6_T7_T9_mT8_P12ihipStream_tbDpT10_ENKUlT_T0_E_clISt17integral_constantIbLb0EES1B_EEDaS16_S17_EUlS16_E_NS1_11comp_targetILNS1_3genE2ELNS1_11target_archE906ELNS1_3gpuE6ELNS1_3repE0EEENS1_30default_config_static_selectorELNS0_4arch9wavefront6targetE0EEEvT1_.private_seg_size, 0
	.set _ZN7rocprim17ROCPRIM_400000_NS6detail17trampoline_kernelINS0_14default_configENS1_25partition_config_selectorILNS1_17partition_subalgoE5EyNS0_10empty_typeEbEEZZNS1_14partition_implILS5_5ELb0ES3_mN6thrust23THRUST_200600_302600_NS6detail15normal_iteratorINSA_10device_ptrIyEEEEPS6_NSA_18transform_iteratorINSB_9not_fun_tI7is_trueIyEEESF_NSA_11use_defaultESM_EENS0_5tupleIJSF_S6_EEENSO_IJSG_SG_EEES6_PlJS6_EEE10hipError_tPvRmT3_T4_T5_T6_T7_T9_mT8_P12ihipStream_tbDpT10_ENKUlT_T0_E_clISt17integral_constantIbLb0EES1B_EEDaS16_S17_EUlS16_E_NS1_11comp_targetILNS1_3genE2ELNS1_11target_archE906ELNS1_3gpuE6ELNS1_3repE0EEENS1_30default_config_static_selectorELNS0_4arch9wavefront6targetE0EEEvT1_.uses_vcc, 0
	.set _ZN7rocprim17ROCPRIM_400000_NS6detail17trampoline_kernelINS0_14default_configENS1_25partition_config_selectorILNS1_17partition_subalgoE5EyNS0_10empty_typeEbEEZZNS1_14partition_implILS5_5ELb0ES3_mN6thrust23THRUST_200600_302600_NS6detail15normal_iteratorINSA_10device_ptrIyEEEEPS6_NSA_18transform_iteratorINSB_9not_fun_tI7is_trueIyEEESF_NSA_11use_defaultESM_EENS0_5tupleIJSF_S6_EEENSO_IJSG_SG_EEES6_PlJS6_EEE10hipError_tPvRmT3_T4_T5_T6_T7_T9_mT8_P12ihipStream_tbDpT10_ENKUlT_T0_E_clISt17integral_constantIbLb0EES1B_EEDaS16_S17_EUlS16_E_NS1_11comp_targetILNS1_3genE2ELNS1_11target_archE906ELNS1_3gpuE6ELNS1_3repE0EEENS1_30default_config_static_selectorELNS0_4arch9wavefront6targetE0EEEvT1_.uses_flat_scratch, 0
	.set _ZN7rocprim17ROCPRIM_400000_NS6detail17trampoline_kernelINS0_14default_configENS1_25partition_config_selectorILNS1_17partition_subalgoE5EyNS0_10empty_typeEbEEZZNS1_14partition_implILS5_5ELb0ES3_mN6thrust23THRUST_200600_302600_NS6detail15normal_iteratorINSA_10device_ptrIyEEEEPS6_NSA_18transform_iteratorINSB_9not_fun_tI7is_trueIyEEESF_NSA_11use_defaultESM_EENS0_5tupleIJSF_S6_EEENSO_IJSG_SG_EEES6_PlJS6_EEE10hipError_tPvRmT3_T4_T5_T6_T7_T9_mT8_P12ihipStream_tbDpT10_ENKUlT_T0_E_clISt17integral_constantIbLb0EES1B_EEDaS16_S17_EUlS16_E_NS1_11comp_targetILNS1_3genE2ELNS1_11target_archE906ELNS1_3gpuE6ELNS1_3repE0EEENS1_30default_config_static_selectorELNS0_4arch9wavefront6targetE0EEEvT1_.has_dyn_sized_stack, 0
	.set _ZN7rocprim17ROCPRIM_400000_NS6detail17trampoline_kernelINS0_14default_configENS1_25partition_config_selectorILNS1_17partition_subalgoE5EyNS0_10empty_typeEbEEZZNS1_14partition_implILS5_5ELb0ES3_mN6thrust23THRUST_200600_302600_NS6detail15normal_iteratorINSA_10device_ptrIyEEEEPS6_NSA_18transform_iteratorINSB_9not_fun_tI7is_trueIyEEESF_NSA_11use_defaultESM_EENS0_5tupleIJSF_S6_EEENSO_IJSG_SG_EEES6_PlJS6_EEE10hipError_tPvRmT3_T4_T5_T6_T7_T9_mT8_P12ihipStream_tbDpT10_ENKUlT_T0_E_clISt17integral_constantIbLb0EES1B_EEDaS16_S17_EUlS16_E_NS1_11comp_targetILNS1_3genE2ELNS1_11target_archE906ELNS1_3gpuE6ELNS1_3repE0EEENS1_30default_config_static_selectorELNS0_4arch9wavefront6targetE0EEEvT1_.has_recursion, 0
	.set _ZN7rocprim17ROCPRIM_400000_NS6detail17trampoline_kernelINS0_14default_configENS1_25partition_config_selectorILNS1_17partition_subalgoE5EyNS0_10empty_typeEbEEZZNS1_14partition_implILS5_5ELb0ES3_mN6thrust23THRUST_200600_302600_NS6detail15normal_iteratorINSA_10device_ptrIyEEEEPS6_NSA_18transform_iteratorINSB_9not_fun_tI7is_trueIyEEESF_NSA_11use_defaultESM_EENS0_5tupleIJSF_S6_EEENSO_IJSG_SG_EEES6_PlJS6_EEE10hipError_tPvRmT3_T4_T5_T6_T7_T9_mT8_P12ihipStream_tbDpT10_ENKUlT_T0_E_clISt17integral_constantIbLb0EES1B_EEDaS16_S17_EUlS16_E_NS1_11comp_targetILNS1_3genE2ELNS1_11target_archE906ELNS1_3gpuE6ELNS1_3repE0EEENS1_30default_config_static_selectorELNS0_4arch9wavefront6targetE0EEEvT1_.has_indirect_call, 0
	.section	.AMDGPU.csdata,"",@progbits
; Kernel info:
; codeLenInByte = 0
; TotalNumSgprs: 0
; NumVgprs: 0
; ScratchSize: 0
; MemoryBound: 0
; FloatMode: 240
; IeeeMode: 1
; LDSByteSize: 0 bytes/workgroup (compile time only)
; SGPRBlocks: 0
; VGPRBlocks: 0
; NumSGPRsForWavesPerEU: 1
; NumVGPRsForWavesPerEU: 1
; Occupancy: 16
; WaveLimiterHint : 0
; COMPUTE_PGM_RSRC2:SCRATCH_EN: 0
; COMPUTE_PGM_RSRC2:USER_SGPR: 2
; COMPUTE_PGM_RSRC2:TRAP_HANDLER: 0
; COMPUTE_PGM_RSRC2:TGID_X_EN: 1
; COMPUTE_PGM_RSRC2:TGID_Y_EN: 0
; COMPUTE_PGM_RSRC2:TGID_Z_EN: 0
; COMPUTE_PGM_RSRC2:TIDIG_COMP_CNT: 0
	.section	.text._ZN7rocprim17ROCPRIM_400000_NS6detail17trampoline_kernelINS0_14default_configENS1_25partition_config_selectorILNS1_17partition_subalgoE5EyNS0_10empty_typeEbEEZZNS1_14partition_implILS5_5ELb0ES3_mN6thrust23THRUST_200600_302600_NS6detail15normal_iteratorINSA_10device_ptrIyEEEEPS6_NSA_18transform_iteratorINSB_9not_fun_tI7is_trueIyEEESF_NSA_11use_defaultESM_EENS0_5tupleIJSF_S6_EEENSO_IJSG_SG_EEES6_PlJS6_EEE10hipError_tPvRmT3_T4_T5_T6_T7_T9_mT8_P12ihipStream_tbDpT10_ENKUlT_T0_E_clISt17integral_constantIbLb0EES1B_EEDaS16_S17_EUlS16_E_NS1_11comp_targetILNS1_3genE10ELNS1_11target_archE1200ELNS1_3gpuE4ELNS1_3repE0EEENS1_30default_config_static_selectorELNS0_4arch9wavefront6targetE0EEEvT1_,"axG",@progbits,_ZN7rocprim17ROCPRIM_400000_NS6detail17trampoline_kernelINS0_14default_configENS1_25partition_config_selectorILNS1_17partition_subalgoE5EyNS0_10empty_typeEbEEZZNS1_14partition_implILS5_5ELb0ES3_mN6thrust23THRUST_200600_302600_NS6detail15normal_iteratorINSA_10device_ptrIyEEEEPS6_NSA_18transform_iteratorINSB_9not_fun_tI7is_trueIyEEESF_NSA_11use_defaultESM_EENS0_5tupleIJSF_S6_EEENSO_IJSG_SG_EEES6_PlJS6_EEE10hipError_tPvRmT3_T4_T5_T6_T7_T9_mT8_P12ihipStream_tbDpT10_ENKUlT_T0_E_clISt17integral_constantIbLb0EES1B_EEDaS16_S17_EUlS16_E_NS1_11comp_targetILNS1_3genE10ELNS1_11target_archE1200ELNS1_3gpuE4ELNS1_3repE0EEENS1_30default_config_static_selectorELNS0_4arch9wavefront6targetE0EEEvT1_,comdat
	.protected	_ZN7rocprim17ROCPRIM_400000_NS6detail17trampoline_kernelINS0_14default_configENS1_25partition_config_selectorILNS1_17partition_subalgoE5EyNS0_10empty_typeEbEEZZNS1_14partition_implILS5_5ELb0ES3_mN6thrust23THRUST_200600_302600_NS6detail15normal_iteratorINSA_10device_ptrIyEEEEPS6_NSA_18transform_iteratorINSB_9not_fun_tI7is_trueIyEEESF_NSA_11use_defaultESM_EENS0_5tupleIJSF_S6_EEENSO_IJSG_SG_EEES6_PlJS6_EEE10hipError_tPvRmT3_T4_T5_T6_T7_T9_mT8_P12ihipStream_tbDpT10_ENKUlT_T0_E_clISt17integral_constantIbLb0EES1B_EEDaS16_S17_EUlS16_E_NS1_11comp_targetILNS1_3genE10ELNS1_11target_archE1200ELNS1_3gpuE4ELNS1_3repE0EEENS1_30default_config_static_selectorELNS0_4arch9wavefront6targetE0EEEvT1_ ; -- Begin function _ZN7rocprim17ROCPRIM_400000_NS6detail17trampoline_kernelINS0_14default_configENS1_25partition_config_selectorILNS1_17partition_subalgoE5EyNS0_10empty_typeEbEEZZNS1_14partition_implILS5_5ELb0ES3_mN6thrust23THRUST_200600_302600_NS6detail15normal_iteratorINSA_10device_ptrIyEEEEPS6_NSA_18transform_iteratorINSB_9not_fun_tI7is_trueIyEEESF_NSA_11use_defaultESM_EENS0_5tupleIJSF_S6_EEENSO_IJSG_SG_EEES6_PlJS6_EEE10hipError_tPvRmT3_T4_T5_T6_T7_T9_mT8_P12ihipStream_tbDpT10_ENKUlT_T0_E_clISt17integral_constantIbLb0EES1B_EEDaS16_S17_EUlS16_E_NS1_11comp_targetILNS1_3genE10ELNS1_11target_archE1200ELNS1_3gpuE4ELNS1_3repE0EEENS1_30default_config_static_selectorELNS0_4arch9wavefront6targetE0EEEvT1_
	.globl	_ZN7rocprim17ROCPRIM_400000_NS6detail17trampoline_kernelINS0_14default_configENS1_25partition_config_selectorILNS1_17partition_subalgoE5EyNS0_10empty_typeEbEEZZNS1_14partition_implILS5_5ELb0ES3_mN6thrust23THRUST_200600_302600_NS6detail15normal_iteratorINSA_10device_ptrIyEEEEPS6_NSA_18transform_iteratorINSB_9not_fun_tI7is_trueIyEEESF_NSA_11use_defaultESM_EENS0_5tupleIJSF_S6_EEENSO_IJSG_SG_EEES6_PlJS6_EEE10hipError_tPvRmT3_T4_T5_T6_T7_T9_mT8_P12ihipStream_tbDpT10_ENKUlT_T0_E_clISt17integral_constantIbLb0EES1B_EEDaS16_S17_EUlS16_E_NS1_11comp_targetILNS1_3genE10ELNS1_11target_archE1200ELNS1_3gpuE4ELNS1_3repE0EEENS1_30default_config_static_selectorELNS0_4arch9wavefront6targetE0EEEvT1_
	.p2align	8
	.type	_ZN7rocprim17ROCPRIM_400000_NS6detail17trampoline_kernelINS0_14default_configENS1_25partition_config_selectorILNS1_17partition_subalgoE5EyNS0_10empty_typeEbEEZZNS1_14partition_implILS5_5ELb0ES3_mN6thrust23THRUST_200600_302600_NS6detail15normal_iteratorINSA_10device_ptrIyEEEEPS6_NSA_18transform_iteratorINSB_9not_fun_tI7is_trueIyEEESF_NSA_11use_defaultESM_EENS0_5tupleIJSF_S6_EEENSO_IJSG_SG_EEES6_PlJS6_EEE10hipError_tPvRmT3_T4_T5_T6_T7_T9_mT8_P12ihipStream_tbDpT10_ENKUlT_T0_E_clISt17integral_constantIbLb0EES1B_EEDaS16_S17_EUlS16_E_NS1_11comp_targetILNS1_3genE10ELNS1_11target_archE1200ELNS1_3gpuE4ELNS1_3repE0EEENS1_30default_config_static_selectorELNS0_4arch9wavefront6targetE0EEEvT1_,@function
_ZN7rocprim17ROCPRIM_400000_NS6detail17trampoline_kernelINS0_14default_configENS1_25partition_config_selectorILNS1_17partition_subalgoE5EyNS0_10empty_typeEbEEZZNS1_14partition_implILS5_5ELb0ES3_mN6thrust23THRUST_200600_302600_NS6detail15normal_iteratorINSA_10device_ptrIyEEEEPS6_NSA_18transform_iteratorINSB_9not_fun_tI7is_trueIyEEESF_NSA_11use_defaultESM_EENS0_5tupleIJSF_S6_EEENSO_IJSG_SG_EEES6_PlJS6_EEE10hipError_tPvRmT3_T4_T5_T6_T7_T9_mT8_P12ihipStream_tbDpT10_ENKUlT_T0_E_clISt17integral_constantIbLb0EES1B_EEDaS16_S17_EUlS16_E_NS1_11comp_targetILNS1_3genE10ELNS1_11target_archE1200ELNS1_3gpuE4ELNS1_3repE0EEENS1_30default_config_static_selectorELNS0_4arch9wavefront6targetE0EEEvT1_: ; @_ZN7rocprim17ROCPRIM_400000_NS6detail17trampoline_kernelINS0_14default_configENS1_25partition_config_selectorILNS1_17partition_subalgoE5EyNS0_10empty_typeEbEEZZNS1_14partition_implILS5_5ELb0ES3_mN6thrust23THRUST_200600_302600_NS6detail15normal_iteratorINSA_10device_ptrIyEEEEPS6_NSA_18transform_iteratorINSB_9not_fun_tI7is_trueIyEEESF_NSA_11use_defaultESM_EENS0_5tupleIJSF_S6_EEENSO_IJSG_SG_EEES6_PlJS6_EEE10hipError_tPvRmT3_T4_T5_T6_T7_T9_mT8_P12ihipStream_tbDpT10_ENKUlT_T0_E_clISt17integral_constantIbLb0EES1B_EEDaS16_S17_EUlS16_E_NS1_11comp_targetILNS1_3genE10ELNS1_11target_archE1200ELNS1_3gpuE4ELNS1_3repE0EEENS1_30default_config_static_selectorELNS0_4arch9wavefront6targetE0EEEvT1_
; %bb.0:
	s_clause 0x3
	s_load_b128 s[4:7], s[0:1], 0x8
	s_load_b128 s[8:11], s[0:1], 0x48
	s_load_b32 s2, s[0:1], 0x70
	s_load_b64 s[14:15], s[0:1], 0x58
	s_mov_b32 s17, 0
	s_lshl_b32 s20, ttmp9, 10
	s_mov_b32 s21, s17
	v_lshrrev_b32_e32 v11, 2, v0
	v_or_b32_e32 v9, 0x200, v0
	v_or_b32_e32 v10, 0x300, v0
	s_mov_b32 s3, -1
	s_wait_kmcnt 0x0
	s_lshl_b64 s[12:13], s[6:7], 3
	s_load_b64 s[10:11], s[10:11], 0x0
	s_add_co_i32 s19, s2, -1
	s_lshl_b32 s16, s2, 10
	s_lshl_b32 s2, s19, 10
	s_add_nc_u64 s[16:17], s[6:7], s[16:17]
	s_add_co_i32 s2, s6, s2
	v_cmp_le_u64_e64 s6, s[14:15], s[16:17]
	s_sub_co_i32 s18, s14, s2
	s_cmp_eq_u32 ttmp9, s19
	s_cselect_b32 s16, -1, 0
	s_wait_alu 0xfffe
	s_and_b32 s2, s16, s6
	s_add_nc_u64 s[6:7], s[4:5], s[12:13]
	s_xor_b32 s17, s2, -1
	s_lshl_b64 s[4:5], s[20:21], 3
	s_wait_alu 0xfffe
	s_and_b32 vcc_lo, exec_lo, s17
	s_add_nc_u64 s[14:15], s[6:7], s[4:5]
	s_cbranch_vccz .LBB1373_2
; %bb.1:
	v_lshlrev_b32_e32 v12, 3, v0
	v_or_b32_e32 v13, 0x100, v0
	v_lshrrev_b32_e32 v14, 2, v9
	v_lshrrev_b32_e32 v15, 2, v10
	v_and_b32_e32 v16, 56, v11
	s_wait_alu 0xfffe
	v_add_co_u32 v1, s2, s14, v12
	s_delay_alu instid0(VALU_DEP_1)
	v_add_co_ci_u32_e64 v2, null, s15, 0, s2
	v_lshrrev_b32_e32 v13, 2, v13
	v_and_b32_e32 v14, 0xb8, v14
	v_and_b32_e32 v15, 0xf8, v15
	s_clause 0x3
	flat_load_b64 v[3:4], v[1:2]
	flat_load_b64 v[5:6], v[1:2] offset:2048
	flat_load_b64 v[7:8], v[1:2] offset:4096
	;; [unrolled: 1-line block ×3, first 2 shown]
	v_add_nc_u32_e32 v16, v16, v12
	v_and_b32_e32 v13, 0x78, v13
	v_add_nc_u32_e32 v14, v14, v12
	s_mov_b32 s3, 0
	s_delay_alu instid0(VALU_DEP_2)
	v_add_nc_u32_e32 v13, v13, v12
	v_add_nc_u32_e32 v12, v15, v12
	s_wait_loadcnt_dscnt 0x303
	ds_store_b64 v16, v[3:4]
	s_wait_loadcnt_dscnt 0x203
	ds_store_b64 v13, v[5:6] offset:2048
	s_wait_loadcnt_dscnt 0x103
	ds_store_b64 v14, v[7:8] offset:4096
	;; [unrolled: 2-line block ×3, first 2 shown]
	s_wait_dscnt 0x0
	s_barrier_signal -1
	s_barrier_wait -1
.LBB1373_2:
	s_load_b64 s[6:7], s[0:1], 0x20
	v_cmp_gt_u32_e64 s2, s18, v0
	s_and_not1_b32 vcc_lo, exec_lo, s3
	s_cbranch_vccnz .LBB1373_10
; %bb.3:
	v_mov_b32_e32 v1, 0
	s_delay_alu instid0(VALU_DEP_1)
	v_dual_mov_b32 v2, v1 :: v_dual_mov_b32 v3, v1
	v_dual_mov_b32 v4, v1 :: v_dual_mov_b32 v5, v1
	;; [unrolled: 1-line block ×3, first 2 shown]
	v_mov_b32_e32 v8, v1
	s_and_saveexec_b32 s3, s2
	s_cbranch_execz .LBB1373_5
; %bb.4:
	v_dual_mov_b32 v15, v1 :: v_dual_lshlrev_b32 v2, 3, v0
	v_dual_mov_b32 v14, v1 :: v_dual_mov_b32 v17, v1
	v_dual_mov_b32 v16, v1 :: v_dual_mov_b32 v19, v1
	s_delay_alu instid0(VALU_DEP_3)
	v_add_co_u32 v2, s2, s14, v2
	s_wait_alu 0xf1ff
	v_add_co_ci_u32_e64 v3, null, s15, 0, s2
	v_mov_b32_e32 v18, v1
	flat_load_b64 v[12:13], v[2:3]
	s_wait_loadcnt_dscnt 0x0
	v_dual_mov_b32 v1, v12 :: v_dual_mov_b32 v2, v13
	v_dual_mov_b32 v3, v14 :: v_dual_mov_b32 v4, v15
	;; [unrolled: 1-line block ×4, first 2 shown]
.LBB1373_5:
	s_wait_alu 0xfffe
	s_or_b32 exec_lo, exec_lo, s3
	v_or_b32_e32 v12, 0x100, v0
	s_mov_b32 s2, exec_lo
	s_delay_alu instid0(VALU_DEP_1)
	v_cmpx_gt_u32_e64 s18, v12
	s_cbranch_execnz .LBB1373_134
; %bb.6:
	s_wait_alu 0xfffe
	s_or_b32 exec_lo, exec_lo, s2
	s_delay_alu instid0(SALU_CYCLE_1)
	s_mov_b32 s2, exec_lo
	v_cmpx_gt_u32_e64 s18, v9
	s_cbranch_execnz .LBB1373_135
.LBB1373_7:
	s_wait_alu 0xfffe
	s_or_b32 exec_lo, exec_lo, s2
	s_delay_alu instid0(SALU_CYCLE_1)
	s_mov_b32 s2, exec_lo
	v_cmpx_gt_u32_e64 s18, v10
	s_cbranch_execz .LBB1373_9
.LBB1373_8:
	v_lshlrev_b32_e32 v7, 3, v0
	s_delay_alu instid0(VALU_DEP_1)
	v_add_co_u32 v7, s3, s14, v7
	s_wait_alu 0xf1ff
	v_add_co_ci_u32_e64 v8, null, s15, 0, s3
	flat_load_b64 v[7:8], v[7:8] offset:6144
.LBB1373_9:
	s_wait_alu 0xfffe
	s_or_b32 exec_lo, exec_lo, s2
	v_lshrrev_b32_e32 v12, 2, v12
	v_lshrrev_b32_e32 v13, 2, v9
	;; [unrolled: 1-line block ×3, first 2 shown]
	v_and_b32_e32 v11, 56, v11
	v_lshlrev_b32_e32 v15, 3, v0
	v_and_b32_e32 v12, 0x78, v12
	v_and_b32_e32 v13, 0xf8, v13
	;; [unrolled: 1-line block ×3, first 2 shown]
	s_delay_alu instid0(VALU_DEP_4) | instskip(NEXT) | instid1(VALU_DEP_4)
	v_add_nc_u32_e32 v11, v11, v15
	v_add_nc_u32_e32 v12, v12, v15
	s_delay_alu instid0(VALU_DEP_4) | instskip(NEXT) | instid1(VALU_DEP_4)
	v_add_nc_u32_e32 v13, v13, v15
	v_add_nc_u32_e32 v14, v14, v15
	ds_store_b64 v11, v[1:2]
	s_wait_loadcnt_dscnt 0x1
	ds_store_b64 v12, v[3:4] offset:2048
	ds_store_b64 v13, v[5:6] offset:4096
	;; [unrolled: 1-line block ×3, first 2 shown]
	s_wait_dscnt 0x0
	s_barrier_signal -1
	s_barrier_wait -1
.LBB1373_10:
	v_and_b32_e32 v1, 0xf8, v0
	global_inv scope:SCOPE_SE
	v_lshrrev_b32_e32 v26, 5, v0
	s_wait_kmcnt 0x0
	s_add_nc_u64 s[2:3], s[6:7], s[12:13]
	s_and_b32 vcc_lo, exec_lo, s17
	v_lshl_add_u32 v1, v0, 5, v1
	s_wait_alu 0xfffe
	s_add_nc_u64 s[2:3], s[2:3], s[4:5]
	s_mov_b32 s4, -1
	ds_load_2addr_b64 v[5:8], v1 offset1:1
	ds_load_2addr_b64 v[1:4], v1 offset0:2 offset1:3
	s_wait_loadcnt_dscnt 0x0
	s_barrier_signal -1
	s_barrier_wait -1
	global_inv scope:SCOPE_SE
	s_cbranch_vccz .LBB1373_12
; %bb.11:
	v_lshlrev_b32_e32 v17, 3, v0
	v_or_b32_e32 v19, 0x100, v0
	v_lshrrev_b32_e32 v20, 5, v9
	v_lshrrev_b32_e32 v21, 5, v10
	v_and_b32_e32 v22, 4, v26
	s_clause 0x3
	global_load_b64 v[11:12], v17, s[2:3]
	global_load_b64 v[13:14], v17, s[2:3] offset:2048
	global_load_b64 v[15:16], v17, s[2:3] offset:4096
	;; [unrolled: 1-line block ×3, first 2 shown]
	v_lshrrev_b32_e32 v19, 5, v19
	v_and_b32_e32 v20, 20, v20
	v_and_b32_e32 v21, 28, v21
	v_add_nc_u32_e32 v22, v22, v0
	s_mov_b32 s4, 0
	v_and_b32_e32 v19, 12, v19
	v_add_nc_u32_e32 v20, v20, v0
	v_add_nc_u32_e32 v21, v21, v0
	s_delay_alu instid0(VALU_DEP_3)
	v_add_nc_u32_e32 v19, v19, v0
	s_wait_loadcnt 0x3
	v_cmp_eq_u64_e32 vcc_lo, 0, v[11:12]
	v_cndmask_b32_e64 v11, 0, 1, vcc_lo
	s_wait_loadcnt 0x2
	v_cmp_eq_u64_e32 vcc_lo, 0, v[13:14]
	s_wait_alu 0xfffd
	v_cndmask_b32_e64 v12, 0, 1, vcc_lo
	s_wait_loadcnt 0x1
	v_cmp_eq_u64_e32 vcc_lo, 0, v[15:16]
	s_wait_alu 0xfffd
	;; [unrolled: 4-line block ×3, first 2 shown]
	v_cndmask_b32_e64 v14, 0, 1, vcc_lo
	ds_store_b8 v22, v11
	ds_store_b8 v19, v12 offset:256
	ds_store_b8 v20, v13 offset:512
	ds_store_b8 v21, v14 offset:768
	s_wait_dscnt 0x0
	s_barrier_signal -1
	s_barrier_wait -1
.LBB1373_12:
	v_lshlrev_b32_e32 v11, 2, v0
	v_lshrrev_b32_e32 v12, 3, v0
	s_and_not1_b32 vcc_lo, exec_lo, s4
	s_wait_alu 0xfffe
	s_cbranch_vccnz .LBB1373_20
; %bb.13:
	v_dual_mov_b32 v13, 0 :: v_dual_mov_b32 v14, 0
	s_mov_b32 s4, exec_lo
	v_cmpx_gt_u32_e64 s18, v0
	s_cbranch_execz .LBB1373_15
; %bb.14:
	v_lshlrev_b32_e32 v13, 3, v0
	global_load_b64 v[13:14], v13, s[2:3]
	s_wait_loadcnt 0x0
	v_cmp_eq_u64_e32 vcc_lo, 0, v[13:14]
	s_wait_alu 0xfffd
	v_cndmask_b32_e64 v13, 0, 1, vcc_lo
	v_cndmask_b32_e64 v14, 0, 1, vcc_lo
.LBB1373_15:
	s_or_b32 exec_lo, exec_lo, s4
	v_or_b32_e32 v15, 0x100, v0
	s_mov_b32 s4, exec_lo
	s_delay_alu instid0(VALU_DEP_1)
	v_cmpx_gt_u32_e64 s18, v15
	s_cbranch_execnz .LBB1373_136
; %bb.16:
	s_or_b32 exec_lo, exec_lo, s4
	s_delay_alu instid0(SALU_CYCLE_1)
	s_mov_b32 s4, exec_lo
	v_cmpx_gt_u32_e64 s18, v9
	s_cbranch_execnz .LBB1373_137
.LBB1373_17:
	s_or_b32 exec_lo, exec_lo, s4
	s_delay_alu instid0(SALU_CYCLE_1)
	s_mov_b32 s4, exec_lo
	v_cmpx_gt_u32_e64 s18, v10
	s_cbranch_execz .LBB1373_19
.LBB1373_18:
	v_lshlrev_b32_e32 v16, 3, v0
	global_load_b64 v[16:17], v16, s[2:3] offset:6144
	s_wait_loadcnt 0x0
	v_cmp_eq_u64_e32 vcc_lo, 0, v[16:17]
	v_lshrrev_b32_e32 v17, 16, v14
	s_wait_alu 0xfffd
	v_cndmask_b32_e64 v16, 0, 1, vcc_lo
	s_delay_alu instid0(VALU_DEP_1) | instskip(NEXT) | instid1(VALU_DEP_1)
	v_lshlrev_b16 v16, 8, v16
	v_or_b32_e32 v16, v17, v16
	s_delay_alu instid0(VALU_DEP_1) | instskip(NEXT) | instid1(VALU_DEP_1)
	v_lshlrev_b32_e32 v16, 16, v16
	v_and_or_b32 v14, 0xffff, v14, v16
.LBB1373_19:
	s_or_b32 exec_lo, exec_lo, s4
	v_lshrrev_b32_e32 v15, 5, v15
	v_lshrrev_b32_e32 v9, 5, v9
	;; [unrolled: 1-line block ×3, first 2 shown]
	v_and_b32_e32 v16, 4, v26
	v_lshrrev_b32_e32 v17, 8, v14
	v_and_b32_e32 v15, 12, v15
	v_and_b32_e32 v9, 28, v9
	;; [unrolled: 1-line block ×3, first 2 shown]
	v_add_nc_u32_e32 v16, v16, v0
	v_lshrrev_b32_e32 v18, 24, v14
	v_add_nc_u32_e32 v15, v15, v0
	v_add_nc_u32_e32 v9, v9, v0
	;; [unrolled: 1-line block ×3, first 2 shown]
	ds_store_b8 v16, v13
	ds_store_b8 v15, v17 offset:256
	ds_store_b8_d16_hi v9, v14 offset:512
	ds_store_b8 v10, v18 offset:768
	s_wait_loadcnt_dscnt 0x0
	s_barrier_signal -1
	s_barrier_wait -1
.LBB1373_20:
	s_delay_alu instid0(VALU_DEP_1)
	v_dual_mov_b32 v10, 0 :: v_dual_and_b32 v9, 28, v12
	s_wait_loadcnt 0x0
	global_inv scope:SCOPE_SE
	s_load_b64 s[6:7], s[0:1], 0x68
	v_mbcnt_lo_u32_b32 v31, -1, 0
	v_add_nc_u32_e32 v9, v9, v11
	s_cmp_lg_u32 ttmp9, 0
	s_mov_b32 s3, -1
	s_delay_alu instid0(VALU_DEP_2)
	v_and_b32_e32 v32, 15, v31
	ds_load_b32 v27, v9
	s_wait_loadcnt_dscnt 0x0
	s_barrier_signal -1
	s_barrier_wait -1
	global_inv scope:SCOPE_SE
	v_and_b32_e32 v30, 0xff, v27
	v_bfe_u32 v29, v27, 8, 8
	v_bfe_u32 v28, v27, 16, 8
	v_lshrrev_b32_e32 v25, 24, v27
	s_delay_alu instid0(VALU_DEP_2) | instskip(NEXT) | instid1(VALU_DEP_1)
	v_add3_u32 v9, v29, v30, v28
	v_add_co_u32 v17, s2, v9, v25
	s_wait_alu 0xf1ff
	v_add_co_ci_u32_e64 v18, null, 0, 0, s2
	v_cmp_ne_u32_e64 s2, 0, v32
	s_cbranch_scc0 .LBB1373_77
; %bb.21:
	v_mov_b32_e32 v11, v17
	v_mov_b32_dpp v9, v17 row_shr:1 row_mask:0xf bank_mask:0xf
	v_mov_b32_dpp v14, v10 row_shr:1 row_mask:0xf bank_mask:0xf
	v_dual_mov_b32 v13, v17 :: v_dual_mov_b32 v12, v18
	s_and_saveexec_b32 s3, s2
; %bb.22:
	s_delay_alu instid0(VALU_DEP_3) | instskip(SKIP_2) | instid1(VALU_DEP_2)
	v_add_co_u32 v13, vcc_lo, v17, v9
	s_wait_alu 0xfffd
	v_add_co_ci_u32_e64 v10, null, 0, v18, vcc_lo
	v_add_co_u32 v9, vcc_lo, 0, v13
	s_wait_alu 0xfffd
	s_delay_alu instid0(VALU_DEP_2) | instskip(NEXT) | instid1(VALU_DEP_1)
	v_add_co_ci_u32_e64 v10, null, v14, v10, vcc_lo
	v_dual_mov_b32 v12, v10 :: v_dual_mov_b32 v11, v9
; %bb.23:
	s_wait_alu 0xfffe
	s_or_b32 exec_lo, exec_lo, s3
	v_mov_b32_dpp v9, v13 row_shr:2 row_mask:0xf bank_mask:0xf
	v_mov_b32_dpp v14, v10 row_shr:2 row_mask:0xf bank_mask:0xf
	s_mov_b32 s3, exec_lo
	v_cmpx_lt_u32_e32 1, v32
; %bb.24:
	s_delay_alu instid0(VALU_DEP_3) | instskip(SKIP_2) | instid1(VALU_DEP_2)
	v_add_co_u32 v13, vcc_lo, v11, v9
	s_wait_alu 0xfffd
	v_add_co_ci_u32_e64 v10, null, 0, v12, vcc_lo
	v_add_co_u32 v9, vcc_lo, 0, v13
	s_wait_alu 0xfffd
	s_delay_alu instid0(VALU_DEP_2) | instskip(NEXT) | instid1(VALU_DEP_1)
	v_add_co_ci_u32_e64 v10, null, v14, v10, vcc_lo
	v_dual_mov_b32 v12, v10 :: v_dual_mov_b32 v11, v9
; %bb.25:
	s_wait_alu 0xfffe
	s_or_b32 exec_lo, exec_lo, s3
	v_mov_b32_dpp v9, v13 row_shr:4 row_mask:0xf bank_mask:0xf
	v_mov_b32_dpp v14, v10 row_shr:4 row_mask:0xf bank_mask:0xf
	s_mov_b32 s3, exec_lo
	v_cmpx_lt_u32_e32 3, v32
	;; [unrolled: 17-line block ×3, first 2 shown]
; %bb.28:
	s_delay_alu instid0(VALU_DEP_3) | instskip(SKIP_2) | instid1(VALU_DEP_2)
	v_add_co_u32 v13, vcc_lo, v11, v14
	s_wait_alu 0xfffd
	v_add_co_ci_u32_e64 v10, null, 0, v12, vcc_lo
	v_add_co_u32 v11, vcc_lo, 0, v13
	s_wait_alu 0xfffd
	s_delay_alu instid0(VALU_DEP_2) | instskip(NEXT) | instid1(VALU_DEP_1)
	v_add_co_ci_u32_e64 v12, null, v9, v10, vcc_lo
	v_mov_b32_e32 v10, v12
; %bb.29:
	s_wait_alu 0xfffe
	s_or_b32 exec_lo, exec_lo, s3
	ds_swizzle_b32 v9, v13 offset:swizzle(BROADCAST,32,15)
	ds_swizzle_b32 v14, v10 offset:swizzle(BROADCAST,32,15)
	v_and_b32_e32 v15, 16, v31
	s_mov_b32 s3, exec_lo
	s_delay_alu instid0(VALU_DEP_1)
	v_cmpx_ne_u32_e32 0, v15
	s_cbranch_execz .LBB1373_31
; %bb.30:
	s_wait_dscnt 0x1
	v_add_co_u32 v13, vcc_lo, v11, v9
	s_wait_alu 0xfffd
	v_add_co_ci_u32_e64 v10, null, 0, v12, vcc_lo
	s_delay_alu instid0(VALU_DEP_2) | instskip(SKIP_2) | instid1(VALU_DEP_2)
	v_add_co_u32 v9, vcc_lo, 0, v13
	s_wait_dscnt 0x0
	s_wait_alu 0xfffd
	v_add_co_ci_u32_e64 v10, null, v14, v10, vcc_lo
	s_delay_alu instid0(VALU_DEP_1)
	v_dual_mov_b32 v12, v10 :: v_dual_mov_b32 v11, v9
.LBB1373_31:
	s_wait_alu 0xfffe
	s_or_b32 exec_lo, exec_lo, s3
	s_wait_dscnt 0x1
	v_or_b32_e32 v9, 31, v0
	s_mov_b32 s3, exec_lo
	s_delay_alu instid0(VALU_DEP_1)
	v_cmpx_eq_u32_e64 v0, v9
; %bb.32:
	v_lshlrev_b32_e32 v9, 3, v26
	ds_store_b64 v9, v[11:12]
; %bb.33:
	s_wait_alu 0xfffe
	s_or_b32 exec_lo, exec_lo, s3
	s_delay_alu instid0(SALU_CYCLE_1)
	s_mov_b32 s3, exec_lo
	s_wait_loadcnt_dscnt 0x0
	s_barrier_signal -1
	s_barrier_wait -1
	global_inv scope:SCOPE_SE
	v_cmpx_gt_u32_e32 8, v0
	s_cbranch_execz .LBB1373_41
; %bb.34:
	v_lshlrev_b32_e32 v9, 3, v0
	s_mov_b32 s4, exec_lo
	ds_load_b64 v[11:12], v9
	s_wait_dscnt 0x0
	v_dual_mov_b32 v15, v11 :: v_dual_and_b32 v14, 7, v31
	v_mov_b32_dpp v19, v11 row_shr:1 row_mask:0xf bank_mask:0xf
	v_mov_b32_dpp v16, v12 row_shr:1 row_mask:0xf bank_mask:0xf
	s_delay_alu instid0(VALU_DEP_3)
	v_cmpx_ne_u32_e32 0, v14
; %bb.35:
	s_delay_alu instid0(VALU_DEP_3) | instskip(SKIP_2) | instid1(VALU_DEP_2)
	v_add_co_u32 v15, vcc_lo, v11, v19
	s_wait_alu 0xfffd
	v_add_co_ci_u32_e64 v12, null, 0, v12, vcc_lo
	v_add_co_u32 v11, vcc_lo, 0, v15
	s_wait_alu 0xfffd
	s_delay_alu instid0(VALU_DEP_2)
	v_add_co_ci_u32_e64 v12, null, v16, v12, vcc_lo
; %bb.36:
	s_or_b32 exec_lo, exec_lo, s4
	v_mov_b32_dpp v19, v15 row_shr:2 row_mask:0xf bank_mask:0xf
	s_delay_alu instid0(VALU_DEP_2)
	v_mov_b32_dpp v16, v12 row_shr:2 row_mask:0xf bank_mask:0xf
	s_mov_b32 s4, exec_lo
	v_cmpx_lt_u32_e32 1, v14
; %bb.37:
	s_delay_alu instid0(VALU_DEP_3) | instskip(SKIP_2) | instid1(VALU_DEP_2)
	v_add_co_u32 v15, vcc_lo, v11, v19
	s_wait_alu 0xfffd
	v_add_co_ci_u32_e64 v12, null, 0, v12, vcc_lo
	v_add_co_u32 v11, vcc_lo, 0, v15
	s_wait_alu 0xfffd
	s_delay_alu instid0(VALU_DEP_2)
	v_add_co_ci_u32_e64 v12, null, v16, v12, vcc_lo
; %bb.38:
	s_or_b32 exec_lo, exec_lo, s4
	v_mov_b32_dpp v16, v15 row_shr:4 row_mask:0xf bank_mask:0xf
	s_delay_alu instid0(VALU_DEP_2)
	v_mov_b32_dpp v15, v12 row_shr:4 row_mask:0xf bank_mask:0xf
	s_mov_b32 s4, exec_lo
	v_cmpx_lt_u32_e32 3, v14
; %bb.39:
	s_delay_alu instid0(VALU_DEP_3) | instskip(SKIP_2) | instid1(VALU_DEP_2)
	v_add_co_u32 v11, vcc_lo, v11, v16
	s_wait_alu 0xfffd
	v_add_co_ci_u32_e64 v12, null, 0, v12, vcc_lo
	v_add_co_u32 v11, vcc_lo, v11, 0
	s_wait_alu 0xfffd
	s_delay_alu instid0(VALU_DEP_2)
	v_add_co_ci_u32_e64 v12, null, v12, v15, vcc_lo
; %bb.40:
	s_or_b32 exec_lo, exec_lo, s4
	ds_store_b64 v9, v[11:12]
.LBB1373_41:
	s_wait_alu 0xfffe
	s_or_b32 exec_lo, exec_lo, s3
	s_delay_alu instid0(SALU_CYCLE_1)
	s_mov_b32 s4, exec_lo
	v_cmp_gt_u32_e32 vcc_lo, 32, v0
	s_wait_loadcnt_dscnt 0x0
	s_barrier_signal -1
	s_barrier_wait -1
	global_inv scope:SCOPE_SE
                                        ; implicit-def: $vgpr19_vgpr20
	v_cmpx_lt_u32_e32 31, v0
	s_cbranch_execz .LBB1373_43
; %bb.42:
	v_lshl_add_u32 v9, v26, 3, -8
	ds_load_b64 v[19:20], v9
	s_wait_dscnt 0x0
	v_add_co_u32 v13, s3, v13, v19
	s_wait_alu 0xf1ff
	v_add_co_ci_u32_e64 v10, null, v10, v20, s3
.LBB1373_43:
	s_or_b32 exec_lo, exec_lo, s4
	v_sub_co_u32 v9, s3, v31, 1
	s_delay_alu instid0(VALU_DEP_1) | instskip(NEXT) | instid1(VALU_DEP_1)
	v_cmp_gt_i32_e64 s4, 0, v9
	v_cndmask_b32_e64 v9, v9, v31, s4
	s_delay_alu instid0(VALU_DEP_1)
	v_lshlrev_b32_e32 v9, 2, v9
	ds_bpermute_b32 v33, v9, v13
	ds_bpermute_b32 v34, v9, v10
	s_and_saveexec_b32 s4, vcc_lo
	s_cbranch_execz .LBB1373_82
; %bb.44:
	v_mov_b32_e32 v12, 0
	ds_load_b64 v[9:10], v12 offset:56
	s_and_saveexec_b32 s5, s3
	s_cbranch_execz .LBB1373_46
; %bb.45:
	s_add_co_i32 s12, ttmp9, 32
	s_mov_b32 s13, 0
	s_delay_alu instid0(SALU_CYCLE_1) | instskip(SKIP_2) | instid1(SALU_CYCLE_1)
	s_lshl_b64 s[12:13], s[12:13], 4
	s_wait_kmcnt 0x0
	s_add_nc_u64 s[12:13], s[6:7], s[12:13]
	v_dual_mov_b32 v11, 1 :: v_dual_mov_b32 v14, s13
	v_mov_b32_e32 v13, s12
	s_wait_dscnt 0x0
	;;#ASMSTART
	global_store_b128 v[13:14], v[9:12] off scope:SCOPE_DEV	
s_wait_storecnt 0x0
	;;#ASMEND
.LBB1373_46:
	s_wait_alu 0xfffe
	s_or_b32 exec_lo, exec_lo, s5
	v_xad_u32 v21, v31, -1, ttmp9
	s_mov_b32 s12, 0
	s_mov_b32 s5, exec_lo
	s_delay_alu instid0(VALU_DEP_1) | instskip(NEXT) | instid1(VALU_DEP_1)
	v_add_nc_u32_e32 v11, 32, v21
	v_lshlrev_b64_e32 v[11:12], 4, v[11:12]
	s_wait_kmcnt 0x0
	s_delay_alu instid0(VALU_DEP_1) | instskip(SKIP_1) | instid1(VALU_DEP_2)
	v_add_co_u32 v11, vcc_lo, s6, v11
	s_wait_alu 0xfffd
	v_add_co_ci_u32_e64 v12, null, s7, v12, vcc_lo
	;;#ASMSTART
	global_load_b128 v[13:16], v[11:12] off scope:SCOPE_DEV	
s_wait_loadcnt 0x0
	;;#ASMEND
	v_and_b32_e32 v16, 0xff, v15
	s_delay_alu instid0(VALU_DEP_1)
	v_cmpx_eq_u16_e32 0, v16
	s_cbranch_execz .LBB1373_49
.LBB1373_47:                            ; =>This Inner Loop Header: Depth=1
	;;#ASMSTART
	global_load_b128 v[13:16], v[11:12] off scope:SCOPE_DEV	
s_wait_loadcnt 0x0
	;;#ASMEND
	v_and_b32_e32 v16, 0xff, v15
	s_delay_alu instid0(VALU_DEP_1)
	v_cmp_ne_u16_e32 vcc_lo, 0, v16
	s_wait_alu 0xfffe
	s_or_b32 s12, vcc_lo, s12
	s_wait_alu 0xfffe
	s_and_not1_b32 exec_lo, exec_lo, s12
	s_cbranch_execnz .LBB1373_47
; %bb.48:
	s_or_b32 exec_lo, exec_lo, s12
.LBB1373_49:
	s_wait_alu 0xfffe
	s_or_b32 exec_lo, exec_lo, s5
	v_cmp_ne_u32_e32 vcc_lo, 31, v31
	v_and_b32_e32 v12, 0xff, v15
	v_lshlrev_b32_e64 v36, v31, -1
	s_mov_b32 s5, exec_lo
	s_wait_alu 0xfffd
	v_add_co_ci_u32_e64 v11, null, 0, v31, vcc_lo
	v_cmp_eq_u16_e32 vcc_lo, 2, v12
	s_delay_alu instid0(VALU_DEP_2)
	v_dual_mov_b32 v12, v13 :: v_dual_lshlrev_b32 v35, 2, v11
	s_wait_alu 0xfffd
	v_and_or_b32 v11, vcc_lo, v36, 0x80000000
	ds_bpermute_b32 v22, v35, v13
	ds_bpermute_b32 v16, v35, v14
	v_ctz_i32_b32_e32 v11, v11
	s_delay_alu instid0(VALU_DEP_1)
	v_cmpx_lt_u32_e64 v31, v11
	s_cbranch_execz .LBB1373_51
; %bb.50:
	s_wait_dscnt 0x1
	v_add_co_u32 v12, vcc_lo, v13, v22
	s_wait_alu 0xfffd
	v_add_co_ci_u32_e64 v14, null, 0, v14, vcc_lo
	s_delay_alu instid0(VALU_DEP_2) | instskip(SKIP_2) | instid1(VALU_DEP_2)
	v_add_co_u32 v13, vcc_lo, 0, v12
	s_wait_dscnt 0x0
	s_wait_alu 0xfffd
	v_add_co_ci_u32_e64 v14, null, v16, v14, vcc_lo
.LBB1373_51:
	s_wait_alu 0xfffe
	s_or_b32 exec_lo, exec_lo, s5
	v_cmp_gt_u32_e32 vcc_lo, 30, v31
	v_add_nc_u32_e32 v38, 2, v31
	s_mov_b32 s5, exec_lo
	s_wait_dscnt 0x0
	s_wait_alu 0xfffd
	v_cndmask_b32_e64 v16, 0, 2, vcc_lo
	s_delay_alu instid0(VALU_DEP_1)
	v_add_lshl_u32 v37, v16, v31, 2
	ds_bpermute_b32 v22, v37, v12
	ds_bpermute_b32 v16, v37, v14
	v_cmpx_le_u32_e64 v38, v11
	s_cbranch_execz .LBB1373_53
; %bb.52:
	s_wait_dscnt 0x1
	v_add_co_u32 v12, vcc_lo, v13, v22
	s_wait_alu 0xfffd
	v_add_co_ci_u32_e64 v14, null, 0, v14, vcc_lo
	s_delay_alu instid0(VALU_DEP_2) | instskip(SKIP_2) | instid1(VALU_DEP_2)
	v_add_co_u32 v13, vcc_lo, 0, v12
	s_wait_dscnt 0x0
	s_wait_alu 0xfffd
	v_add_co_ci_u32_e64 v14, null, v16, v14, vcc_lo
.LBB1373_53:
	s_wait_alu 0xfffe
	s_or_b32 exec_lo, exec_lo, s5
	v_cmp_gt_u32_e32 vcc_lo, 28, v31
	v_add_nc_u32_e32 v40, 4, v31
	s_mov_b32 s5, exec_lo
	s_wait_dscnt 0x0
	s_wait_alu 0xfffd
	v_cndmask_b32_e64 v16, 0, 4, vcc_lo
	s_delay_alu instid0(VALU_DEP_1)
	v_add_lshl_u32 v39, v16, v31, 2
	ds_bpermute_b32 v22, v39, v12
	ds_bpermute_b32 v16, v39, v14
	v_cmpx_le_u32_e64 v40, v11
	;; [unrolled: 25-line block ×3, first 2 shown]
	s_cbranch_execz .LBB1373_57
; %bb.56:
	s_wait_dscnt 0x1
	v_add_co_u32 v12, vcc_lo, v13, v22
	s_wait_alu 0xfffd
	v_add_co_ci_u32_e64 v14, null, 0, v14, vcc_lo
	s_delay_alu instid0(VALU_DEP_2) | instskip(SKIP_2) | instid1(VALU_DEP_2)
	v_add_co_u32 v13, vcc_lo, 0, v12
	s_wait_dscnt 0x0
	s_wait_alu 0xfffd
	v_add_co_ci_u32_e64 v14, null, v16, v14, vcc_lo
.LBB1373_57:
	s_wait_alu 0xfffe
	s_or_b32 exec_lo, exec_lo, s5
	v_lshl_or_b32 v43, v31, 2, 64
	v_add_nc_u32_e32 v44, 16, v31
	s_mov_b32 s5, exec_lo
	s_wait_dscnt 0x0
	ds_bpermute_b32 v16, v43, v12
	ds_bpermute_b32 v12, v43, v14
	v_cmpx_le_u32_e64 v44, v11
	s_cbranch_execz .LBB1373_59
; %bb.58:
	s_wait_dscnt 0x1
	v_add_co_u32 v11, vcc_lo, v13, v16
	s_wait_alu 0xfffd
	v_add_co_ci_u32_e64 v14, null, 0, v14, vcc_lo
	s_delay_alu instid0(VALU_DEP_2) | instskip(SKIP_2) | instid1(VALU_DEP_2)
	v_add_co_u32 v13, vcc_lo, v11, 0
	s_wait_dscnt 0x0
	s_wait_alu 0xfffd
	v_add_co_ci_u32_e64 v14, null, v14, v12, vcc_lo
.LBB1373_59:
	s_wait_alu 0xfffe
	s_or_b32 exec_lo, exec_lo, s5
	v_mov_b32_e32 v22, 0
	s_branch .LBB1373_62
.LBB1373_60:                            ;   in Loop: Header=BB1373_62 Depth=1
	s_wait_alu 0xfffe
	s_or_b32 exec_lo, exec_lo, s5
	v_add_co_u32 v13, vcc_lo, v13, v11
	v_subrev_nc_u32_e32 v21, 32, v21
	s_wait_alu 0xfffd
	v_add_co_ci_u32_e64 v14, null, v14, v12, vcc_lo
	s_mov_b32 s5, 0
.LBB1373_61:                            ;   in Loop: Header=BB1373_62 Depth=1
	s_wait_alu 0xfffe
	s_and_b32 vcc_lo, exec_lo, s5
	s_wait_alu 0xfffe
	s_cbranch_vccnz .LBB1373_78
.LBB1373_62:                            ; =>This Loop Header: Depth=1
                                        ;     Child Loop BB1373_65 Depth 2
	v_and_b32_e32 v11, 0xff, v15
	s_mov_b32 s5, -1
	s_delay_alu instid0(VALU_DEP_1)
	v_cmp_ne_u16_e32 vcc_lo, 2, v11
	s_wait_dscnt 0x0
	v_dual_mov_b32 v11, v13 :: v_dual_mov_b32 v12, v14
                                        ; implicit-def: $vgpr13_vgpr14
	s_cmp_lg_u32 vcc_lo, exec_lo
	s_cbranch_scc1 .LBB1373_61
; %bb.63:                               ;   in Loop: Header=BB1373_62 Depth=1
	v_lshlrev_b64_e32 v[13:14], 4, v[21:22]
	s_mov_b32 s5, exec_lo
	s_delay_alu instid0(VALU_DEP_1) | instskip(SKIP_1) | instid1(VALU_DEP_2)
	v_add_co_u32 v23, vcc_lo, s6, v13
	s_wait_alu 0xfffd
	v_add_co_ci_u32_e64 v24, null, s7, v14, vcc_lo
	;;#ASMSTART
	global_load_b128 v[13:16], v[23:24] off scope:SCOPE_DEV	
s_wait_loadcnt 0x0
	;;#ASMEND
	v_and_b32_e32 v16, 0xff, v15
	s_delay_alu instid0(VALU_DEP_1)
	v_cmpx_eq_u16_e32 0, v16
	s_cbranch_execz .LBB1373_67
; %bb.64:                               ;   in Loop: Header=BB1373_62 Depth=1
	s_mov_b32 s12, 0
.LBB1373_65:                            ;   Parent Loop BB1373_62 Depth=1
                                        ; =>  This Inner Loop Header: Depth=2
	;;#ASMSTART
	global_load_b128 v[13:16], v[23:24] off scope:SCOPE_DEV	
s_wait_loadcnt 0x0
	;;#ASMEND
	v_and_b32_e32 v16, 0xff, v15
	s_delay_alu instid0(VALU_DEP_1)
	v_cmp_ne_u16_e32 vcc_lo, 0, v16
	s_wait_alu 0xfffe
	s_or_b32 s12, vcc_lo, s12
	s_wait_alu 0xfffe
	s_and_not1_b32 exec_lo, exec_lo, s12
	s_cbranch_execnz .LBB1373_65
; %bb.66:                               ;   in Loop: Header=BB1373_62 Depth=1
	s_or_b32 exec_lo, exec_lo, s12
.LBB1373_67:                            ;   in Loop: Header=BB1373_62 Depth=1
	s_wait_alu 0xfffe
	s_or_b32 exec_lo, exec_lo, s5
	v_dual_mov_b32 v23, v13 :: v_dual_and_b32 v16, 0xff, v15
	ds_bpermute_b32 v45, v35, v13
	ds_bpermute_b32 v24, v35, v14
	s_mov_b32 s5, exec_lo
	v_cmp_eq_u16_e32 vcc_lo, 2, v16
	s_wait_alu 0xfffd
	v_and_or_b32 v16, vcc_lo, v36, 0x80000000
	s_delay_alu instid0(VALU_DEP_1) | instskip(NEXT) | instid1(VALU_DEP_1)
	v_ctz_i32_b32_e32 v16, v16
	v_cmpx_lt_u32_e64 v31, v16
	s_cbranch_execz .LBB1373_69
; %bb.68:                               ;   in Loop: Header=BB1373_62 Depth=1
	s_wait_dscnt 0x1
	v_add_co_u32 v23, vcc_lo, v13, v45
	s_wait_alu 0xfffd
	v_add_co_ci_u32_e64 v14, null, 0, v14, vcc_lo
	s_delay_alu instid0(VALU_DEP_2) | instskip(SKIP_2) | instid1(VALU_DEP_2)
	v_add_co_u32 v13, vcc_lo, 0, v23
	s_wait_dscnt 0x0
	s_wait_alu 0xfffd
	v_add_co_ci_u32_e64 v14, null, v24, v14, vcc_lo
.LBB1373_69:                            ;   in Loop: Header=BB1373_62 Depth=1
	s_wait_alu 0xfffe
	s_or_b32 exec_lo, exec_lo, s5
	s_wait_dscnt 0x1
	ds_bpermute_b32 v45, v37, v23
	s_wait_dscnt 0x1
	ds_bpermute_b32 v24, v37, v14
	s_mov_b32 s5, exec_lo
	v_cmpx_le_u32_e64 v38, v16
	s_cbranch_execz .LBB1373_71
; %bb.70:                               ;   in Loop: Header=BB1373_62 Depth=1
	s_wait_dscnt 0x1
	v_add_co_u32 v23, vcc_lo, v13, v45
	s_wait_alu 0xfffd
	v_add_co_ci_u32_e64 v14, null, 0, v14, vcc_lo
	s_delay_alu instid0(VALU_DEP_2) | instskip(SKIP_2) | instid1(VALU_DEP_2)
	v_add_co_u32 v13, vcc_lo, 0, v23
	s_wait_dscnt 0x0
	s_wait_alu 0xfffd
	v_add_co_ci_u32_e64 v14, null, v24, v14, vcc_lo
.LBB1373_71:                            ;   in Loop: Header=BB1373_62 Depth=1
	s_wait_alu 0xfffe
	s_or_b32 exec_lo, exec_lo, s5
	s_wait_dscnt 0x1
	ds_bpermute_b32 v45, v39, v23
	s_wait_dscnt 0x1
	ds_bpermute_b32 v24, v39, v14
	s_mov_b32 s5, exec_lo
	v_cmpx_le_u32_e64 v40, v16
	;; [unrolled: 20-line block ×3, first 2 shown]
	s_cbranch_execz .LBB1373_75
; %bb.74:                               ;   in Loop: Header=BB1373_62 Depth=1
	s_wait_dscnt 0x1
	v_add_co_u32 v23, vcc_lo, v13, v45
	s_wait_alu 0xfffd
	v_add_co_ci_u32_e64 v14, null, 0, v14, vcc_lo
	s_delay_alu instid0(VALU_DEP_2) | instskip(SKIP_2) | instid1(VALU_DEP_2)
	v_add_co_u32 v13, vcc_lo, 0, v23
	s_wait_dscnt 0x0
	s_wait_alu 0xfffd
	v_add_co_ci_u32_e64 v14, null, v24, v14, vcc_lo
.LBB1373_75:                            ;   in Loop: Header=BB1373_62 Depth=1
	s_wait_alu 0xfffe
	s_or_b32 exec_lo, exec_lo, s5
	s_wait_dscnt 0x0
	ds_bpermute_b32 v24, v43, v23
	ds_bpermute_b32 v23, v43, v14
	s_mov_b32 s5, exec_lo
	v_cmpx_le_u32_e64 v44, v16
	s_cbranch_execz .LBB1373_60
; %bb.76:                               ;   in Loop: Header=BB1373_62 Depth=1
	s_wait_dscnt 0x1
	v_add_co_u32 v13, vcc_lo, v13, v24
	s_wait_alu 0xfffd
	v_add_co_ci_u32_e64 v14, null, 0, v14, vcc_lo
	s_delay_alu instid0(VALU_DEP_2) | instskip(SKIP_2) | instid1(VALU_DEP_2)
	v_add_co_u32 v13, vcc_lo, v13, 0
	s_wait_dscnt 0x0
	s_wait_alu 0xfffd
	v_add_co_ci_u32_e64 v14, null, v14, v23, vcc_lo
	s_branch .LBB1373_60
.LBB1373_77:
                                        ; implicit-def: $vgpr15_vgpr16
                                        ; implicit-def: $vgpr13_vgpr14
                                        ; implicit-def: $vgpr19_vgpr20
                                        ; implicit-def: $vgpr21_vgpr22
                                        ; implicit-def: $vgpr11_vgpr12
	s_wait_alu 0xfffe
	s_and_b32 vcc_lo, exec_lo, s3
	s_wait_alu 0xfffe
	s_cbranch_vccnz .LBB1373_83
	s_branch .LBB1373_108
.LBB1373_78:
	s_and_saveexec_b32 s5, s3
	s_cbranch_execz .LBB1373_80
; %bb.79:
	s_add_co_i32 s12, ttmp9, 32
	s_mov_b32 s13, 0
	v_add_co_u32 v13, vcc_lo, v11, v9
	s_wait_alu 0xfffe
	s_lshl_b64 s[12:13], s[12:13], 4
	v_dual_mov_b32 v15, 2 :: v_dual_mov_b32 v16, 0
	s_wait_alu 0xfffe
	s_add_nc_u64 s[12:13], s[6:7], s[12:13]
	s_wait_alu 0xfffd
	v_add_co_ci_u32_e64 v14, null, v12, v10, vcc_lo
	s_wait_alu 0xfffe
	v_dual_mov_b32 v22, s13 :: v_dual_mov_b32 v21, s12
	;;#ASMSTART
	global_store_b128 v[21:22], v[13:16] off scope:SCOPE_DEV	
s_wait_storecnt 0x0
	;;#ASMEND
	ds_store_b128 v16, v[9:12] offset:8448
.LBB1373_80:
	s_wait_alu 0xfffe
	s_or_b32 exec_lo, exec_lo, s5
	v_cmp_eq_u32_e32 vcc_lo, 0, v0
	s_and_b32 exec_lo, exec_lo, vcc_lo
; %bb.81:
	v_mov_b32_e32 v9, 0
	ds_store_b64 v9, v[11:12] offset:56
.LBB1373_82:
	s_wait_alu 0xfffe
	s_or_b32 exec_lo, exec_lo, s4
	s_wait_dscnt 0x1
	v_cndmask_b32_e64 v10, v33, v19, s3
	v_cmp_ne_u32_e32 vcc_lo, 0, v0
	v_mov_b32_e32 v9, 0
	s_wait_loadcnt_dscnt 0x0
	s_barrier_signal -1
	s_barrier_wait -1
	global_inv scope:SCOPE_SE
	s_wait_alu 0xfffd
	v_cndmask_b32_e32 v16, 0, v10, vcc_lo
	ds_load_b64 v[13:14], v9 offset:56
	v_cndmask_b32_e64 v11, v34, v20, s3
	s_wait_loadcnt_dscnt 0x0
	s_barrier_signal -1
	s_barrier_wait -1
	global_inv scope:SCOPE_SE
	v_cndmask_b32_e32 v15, 0, v11, vcc_lo
	ds_load_b128 v[9:12], v9 offset:8448
	v_add_co_u32 v21, vcc_lo, v13, v16
	s_wait_alu 0xfffd
	v_add_co_ci_u32_e64 v22, null, v14, v15, vcc_lo
	s_delay_alu instid0(VALU_DEP_2) | instskip(SKIP_1) | instid1(VALU_DEP_2)
	v_add_co_u32 v19, vcc_lo, v21, v30
	s_wait_alu 0xfffd
	v_add_co_ci_u32_e64 v20, null, 0, v22, vcc_lo
	s_delay_alu instid0(VALU_DEP_2) | instskip(SKIP_1) | instid1(VALU_DEP_2)
	;; [unrolled: 4-line block ×3, first 2 shown]
	v_add_co_u32 v15, vcc_lo, v13, v28
	s_wait_alu 0xfffd
	v_add_co_ci_u32_e64 v16, null, 0, v14, vcc_lo
	s_branch .LBB1373_108
.LBB1373_83:
	s_wait_dscnt 0x0
	v_dual_mov_b32 v10, 0 :: v_dual_mov_b32 v11, v17
	v_mov_b32_dpp v12, v17 row_shr:1 row_mask:0xf bank_mask:0xf
	s_delay_alu instid0(VALU_DEP_2)
	v_mov_b32_dpp v9, v10 row_shr:1 row_mask:0xf bank_mask:0xf
	s_and_saveexec_b32 s3, s2
; %bb.84:
	s_delay_alu instid0(VALU_DEP_2) | instskip(SKIP_2) | instid1(VALU_DEP_2)
	v_add_co_u32 v11, vcc_lo, v17, v12
	s_wait_alu 0xfffd
	v_add_co_ci_u32_e64 v10, null, 0, v18, vcc_lo
	v_add_co_u32 v17, vcc_lo, 0, v11
	s_wait_alu 0xfffd
	s_delay_alu instid0(VALU_DEP_2) | instskip(NEXT) | instid1(VALU_DEP_1)
	v_add_co_ci_u32_e64 v18, null, v9, v10, vcc_lo
	v_mov_b32_e32 v10, v18
; %bb.85:
	s_wait_alu 0xfffe
	s_or_b32 exec_lo, exec_lo, s3
	v_mov_b32_dpp v9, v11 row_shr:2 row_mask:0xf bank_mask:0xf
	s_delay_alu instid0(VALU_DEP_2)
	v_mov_b32_dpp v12, v10 row_shr:2 row_mask:0xf bank_mask:0xf
	s_mov_b32 s2, exec_lo
	v_cmpx_lt_u32_e32 1, v32
; %bb.86:
	s_delay_alu instid0(VALU_DEP_3) | instskip(SKIP_2) | instid1(VALU_DEP_2)
	v_add_co_u32 v11, vcc_lo, v17, v9
	s_wait_alu 0xfffd
	v_add_co_ci_u32_e64 v10, null, 0, v18, vcc_lo
	v_add_co_u32 v9, vcc_lo, 0, v11
	s_wait_alu 0xfffd
	s_delay_alu instid0(VALU_DEP_2) | instskip(NEXT) | instid1(VALU_DEP_1)
	v_add_co_ci_u32_e64 v10, null, v12, v10, vcc_lo
	v_dual_mov_b32 v18, v10 :: v_dual_mov_b32 v17, v9
; %bb.87:
	s_wait_alu 0xfffe
	s_or_b32 exec_lo, exec_lo, s2
	v_mov_b32_dpp v9, v11 row_shr:4 row_mask:0xf bank_mask:0xf
	v_mov_b32_dpp v12, v10 row_shr:4 row_mask:0xf bank_mask:0xf
	s_mov_b32 s2, exec_lo
	v_cmpx_lt_u32_e32 3, v32
; %bb.88:
	s_delay_alu instid0(VALU_DEP_3) | instskip(SKIP_2) | instid1(VALU_DEP_2)
	v_add_co_u32 v11, vcc_lo, v17, v9
	s_wait_alu 0xfffd
	v_add_co_ci_u32_e64 v10, null, 0, v18, vcc_lo
	v_add_co_u32 v9, vcc_lo, 0, v11
	s_wait_alu 0xfffd
	s_delay_alu instid0(VALU_DEP_2) | instskip(NEXT) | instid1(VALU_DEP_1)
	v_add_co_ci_u32_e64 v10, null, v12, v10, vcc_lo
	v_dual_mov_b32 v18, v10 :: v_dual_mov_b32 v17, v9
; %bb.89:
	s_wait_alu 0xfffe
	s_or_b32 exec_lo, exec_lo, s2
	v_mov_b32_dpp v12, v11 row_shr:8 row_mask:0xf bank_mask:0xf
	v_mov_b32_dpp v9, v10 row_shr:8 row_mask:0xf bank_mask:0xf
	s_mov_b32 s2, exec_lo
	v_cmpx_lt_u32_e32 7, v32
; %bb.90:
	s_delay_alu instid0(VALU_DEP_3) | instskip(SKIP_2) | instid1(VALU_DEP_2)
	v_add_co_u32 v11, vcc_lo, v17, v12
	s_wait_alu 0xfffd
	v_add_co_ci_u32_e64 v10, null, 0, v18, vcc_lo
	v_add_co_u32 v17, vcc_lo, 0, v11
	s_wait_alu 0xfffd
	s_delay_alu instid0(VALU_DEP_2) | instskip(NEXT) | instid1(VALU_DEP_1)
	v_add_co_ci_u32_e64 v18, null, v9, v10, vcc_lo
	v_mov_b32_e32 v10, v18
; %bb.91:
	s_wait_alu 0xfffe
	s_or_b32 exec_lo, exec_lo, s2
	ds_swizzle_b32 v11, v11 offset:swizzle(BROADCAST,32,15)
	ds_swizzle_b32 v9, v10 offset:swizzle(BROADCAST,32,15)
	v_and_b32_e32 v10, 16, v31
	s_mov_b32 s2, exec_lo
	s_delay_alu instid0(VALU_DEP_1)
	v_cmpx_ne_u32_e32 0, v10
	s_cbranch_execz .LBB1373_93
; %bb.92:
	s_wait_dscnt 0x1
	v_add_co_u32 v10, vcc_lo, v17, v11
	s_wait_alu 0xfffd
	v_add_co_ci_u32_e64 v11, null, 0, v18, vcc_lo
	s_delay_alu instid0(VALU_DEP_2) | instskip(SKIP_2) | instid1(VALU_DEP_2)
	v_add_co_u32 v17, vcc_lo, v10, 0
	s_wait_dscnt 0x0
	s_wait_alu 0xfffd
	v_add_co_ci_u32_e64 v18, null, v11, v9, vcc_lo
.LBB1373_93:
	s_wait_alu 0xfffe
	s_or_b32 exec_lo, exec_lo, s2
	s_wait_dscnt 0x0
	v_or_b32_e32 v9, 31, v0
	s_mov_b32 s2, exec_lo
	s_delay_alu instid0(VALU_DEP_1)
	v_cmpx_eq_u32_e64 v0, v9
; %bb.94:
	v_lshlrev_b32_e32 v9, 3, v26
	ds_store_b64 v9, v[17:18]
; %bb.95:
	s_wait_alu 0xfffe
	s_or_b32 exec_lo, exec_lo, s2
	s_delay_alu instid0(SALU_CYCLE_1)
	s_mov_b32 s2, exec_lo
	s_wait_loadcnt_dscnt 0x0
	s_barrier_signal -1
	s_barrier_wait -1
	global_inv scope:SCOPE_SE
	v_cmpx_gt_u32_e32 8, v0
	s_cbranch_execz .LBB1373_103
; %bb.96:
	v_lshlrev_b32_e32 v11, 3, v0
	s_mov_b32 s3, exec_lo
	ds_load_b64 v[9:10], v11
	s_wait_dscnt 0x0
	v_dual_mov_b32 v13, v9 :: v_dual_and_b32 v12, 7, v31
	v_mov_b32_dpp v15, v9 row_shr:1 row_mask:0xf bank_mask:0xf
	v_mov_b32_dpp v14, v10 row_shr:1 row_mask:0xf bank_mask:0xf
	s_delay_alu instid0(VALU_DEP_3)
	v_cmpx_ne_u32_e32 0, v12
; %bb.97:
	s_delay_alu instid0(VALU_DEP_3) | instskip(SKIP_2) | instid1(VALU_DEP_2)
	v_add_co_u32 v13, vcc_lo, v9, v15
	s_wait_alu 0xfffd
	v_add_co_ci_u32_e64 v10, null, 0, v10, vcc_lo
	v_add_co_u32 v9, vcc_lo, 0, v13
	s_wait_alu 0xfffd
	s_delay_alu instid0(VALU_DEP_2)
	v_add_co_ci_u32_e64 v10, null, v14, v10, vcc_lo
; %bb.98:
	s_wait_alu 0xfffe
	s_or_b32 exec_lo, exec_lo, s3
	v_mov_b32_dpp v15, v13 row_shr:2 row_mask:0xf bank_mask:0xf
	s_delay_alu instid0(VALU_DEP_2)
	v_mov_b32_dpp v14, v10 row_shr:2 row_mask:0xf bank_mask:0xf
	s_mov_b32 s3, exec_lo
	v_cmpx_lt_u32_e32 1, v12
; %bb.99:
	s_delay_alu instid0(VALU_DEP_3) | instskip(SKIP_2) | instid1(VALU_DEP_2)
	v_add_co_u32 v13, vcc_lo, v9, v15
	s_wait_alu 0xfffd
	v_add_co_ci_u32_e64 v10, null, 0, v10, vcc_lo
	v_add_co_u32 v9, vcc_lo, 0, v13
	s_wait_alu 0xfffd
	s_delay_alu instid0(VALU_DEP_2)
	v_add_co_ci_u32_e64 v10, null, v14, v10, vcc_lo
; %bb.100:
	s_wait_alu 0xfffe
	s_or_b32 exec_lo, exec_lo, s3
	v_mov_b32_dpp v14, v13 row_shr:4 row_mask:0xf bank_mask:0xf
	s_delay_alu instid0(VALU_DEP_2)
	v_mov_b32_dpp v13, v10 row_shr:4 row_mask:0xf bank_mask:0xf
	s_mov_b32 s3, exec_lo
	v_cmpx_lt_u32_e32 3, v12
; %bb.101:
	s_delay_alu instid0(VALU_DEP_3) | instskip(SKIP_2) | instid1(VALU_DEP_2)
	v_add_co_u32 v9, vcc_lo, v9, v14
	s_wait_alu 0xfffd
	v_add_co_ci_u32_e64 v10, null, 0, v10, vcc_lo
	v_add_co_u32 v9, vcc_lo, v9, 0
	s_wait_alu 0xfffd
	s_delay_alu instid0(VALU_DEP_2)
	v_add_co_ci_u32_e64 v10, null, v10, v13, vcc_lo
; %bb.102:
	s_wait_alu 0xfffe
	s_or_b32 exec_lo, exec_lo, s3
	ds_store_b64 v11, v[9:10]
.LBB1373_103:
	s_wait_alu 0xfffe
	s_or_b32 exec_lo, exec_lo, s2
	v_mov_b32_e32 v13, 0
	v_mov_b32_e32 v14, 0
	s_mov_b32 s2, exec_lo
	s_wait_loadcnt_dscnt 0x0
	s_barrier_signal -1
	s_barrier_wait -1
	global_inv scope:SCOPE_SE
	v_cmpx_lt_u32_e32 31, v0
; %bb.104:
	v_lshl_add_u32 v9, v26, 3, -8
	ds_load_b64 v[13:14], v9
; %bb.105:
	s_wait_alu 0xfffe
	s_or_b32 exec_lo, exec_lo, s2
	v_sub_co_u32 v9, vcc_lo, v31, 1
	v_mov_b32_e32 v12, 0
	s_delay_alu instid0(VALU_DEP_2) | instskip(SKIP_1) | instid1(VALU_DEP_1)
	v_cmp_gt_i32_e64 s2, 0, v9
	s_wait_alu 0xf1ff
	v_cndmask_b32_e64 v9, v9, v31, s2
	s_wait_dscnt 0x0
	v_add_co_u32 v10, s2, v13, v17
	s_wait_alu 0xf1ff
	v_add_co_ci_u32_e64 v11, null, v14, v18, s2
	v_lshlrev_b32_e32 v9, 2, v9
	v_cmp_eq_u32_e64 s2, 0, v0
	ds_bpermute_b32 v15, v9, v10
	ds_bpermute_b32 v16, v9, v11
	ds_load_b64 v[9:10], v12 offset:56
	s_and_saveexec_b32 s3, s2
	s_cbranch_execz .LBB1373_107
; %bb.106:
	s_wait_kmcnt 0x0
	s_add_nc_u64 s[4:5], s[6:7], 0x200
	s_delay_alu instid0(SALU_CYCLE_1)
	v_dual_mov_b32 v11, 2 :: v_dual_mov_b32 v18, s5
	v_mov_b32_e32 v17, s4
	s_wait_dscnt 0x0
	;;#ASMSTART
	global_store_b128 v[17:18], v[9:12] off scope:SCOPE_DEV	
s_wait_storecnt 0x0
	;;#ASMEND
.LBB1373_107:
	s_wait_alu 0xfffe
	s_or_b32 exec_lo, exec_lo, s3
	s_wait_dscnt 0x1
	s_wait_alu 0xfffd
	v_dual_cndmask_b32 v11, v15, v13 :: v_dual_cndmask_b32 v12, v16, v14
	s_wait_loadcnt_dscnt 0x0
	s_barrier_signal -1
	s_barrier_wait -1
	s_delay_alu instid0(VALU_DEP_1)
	v_cndmask_b32_e64 v21, v11, 0, s2
	v_cndmask_b32_e64 v22, v12, 0, s2
	v_mov_b32_e32 v11, 0
	v_mov_b32_e32 v12, 0
	global_inv scope:SCOPE_SE
	v_add_co_u32 v19, vcc_lo, v21, v30
	s_wait_alu 0xfffd
	v_add_co_ci_u32_e64 v20, null, 0, v22, vcc_lo
	s_delay_alu instid0(VALU_DEP_2) | instskip(SKIP_1) | instid1(VALU_DEP_2)
	v_add_co_u32 v13, vcc_lo, v19, v29
	s_wait_alu 0xfffd
	v_add_co_ci_u32_e64 v14, null, 0, v20, vcc_lo
	s_delay_alu instid0(VALU_DEP_2) | instskip(SKIP_1) | instid1(VALU_DEP_2)
	v_add_co_u32 v15, vcc_lo, v13, v28
	s_wait_alu 0xfffd
	v_add_co_ci_u32_e64 v16, null, 0, v14, vcc_lo
.LBB1373_108:
	s_load_b64 s[2:3], s[0:1], 0x30
	v_and_b32_e32 v26, 1, v27
	s_wait_dscnt 0x0
	v_cmp_gt_u64_e32 vcc_lo, 0x101, v[9:10]
	v_lshrrev_b32_e32 v23, 16, v27
	v_lshrrev_b32_e32 v24, 8, v27
	s_mov_b32 s1, -1
	v_cmp_eq_u32_e64 s0, 1, v26
	s_cbranch_vccnz .LBB1373_112
; %bb.109:
	s_wait_alu 0xfffe
	s_and_b32 vcc_lo, exec_lo, s1
	s_wait_alu 0xfffe
	s_cbranch_vccnz .LBB1373_121
.LBB1373_110:
	v_cmp_eq_u32_e32 vcc_lo, 0, v0
	s_and_b32 s0, vcc_lo, s16
	s_wait_alu 0xfffe
	s_and_saveexec_b32 s1, s0
	s_cbranch_execnz .LBB1373_133
.LBB1373_111:
	s_endpgm
.LBB1373_112:
	v_add_co_u32 v17, vcc_lo, v11, v9
	s_wait_alu 0xfffd
	v_add_co_ci_u32_e64 v18, null, v12, v10, vcc_lo
	s_lshl_b64 s[4:5], s[10:11], 3
	s_wait_kmcnt 0x0
	s_wait_alu 0xfffe
	s_add_nc_u64 s[4:5], s[2:3], s[4:5]
	v_cmp_lt_u64_e32 vcc_lo, v[21:22], v[17:18]
	s_or_b32 s1, s17, vcc_lo
	s_wait_alu 0xfffe
	s_and_b32 s1, s1, s0
	s_wait_alu 0xfffe
	s_and_saveexec_b32 s0, s1
	s_cbranch_execz .LBB1373_114
; %bb.113:
	v_lshlrev_b64_e32 v[27:28], 3, v[21:22]
	s_delay_alu instid0(VALU_DEP_1) | instskip(SKIP_1) | instid1(VALU_DEP_2)
	v_add_co_u32 v27, vcc_lo, s4, v27
	s_wait_alu 0xfffd
	v_add_co_ci_u32_e64 v28, null, s5, v28, vcc_lo
	global_store_b64 v[27:28], v[5:6], off
.LBB1373_114:
	s_wait_alu 0xfffe
	s_or_b32 exec_lo, exec_lo, s0
	v_and_b32_e32 v22, 1, v24
	v_cmp_lt_u64_e32 vcc_lo, v[19:20], v[17:18]
	s_delay_alu instid0(VALU_DEP_2)
	v_cmp_eq_u32_e64 s0, 1, v22
	s_or_b32 s1, s17, vcc_lo
	s_wait_alu 0xfffe
	s_and_b32 s1, s1, s0
	s_wait_alu 0xfffe
	s_and_saveexec_b32 s0, s1
	s_cbranch_execz .LBB1373_116
; %bb.115:
	v_lshlrev_b64_e32 v[27:28], 3, v[19:20]
	s_delay_alu instid0(VALU_DEP_1) | instskip(SKIP_1) | instid1(VALU_DEP_2)
	v_add_co_u32 v27, vcc_lo, s4, v27
	s_wait_alu 0xfffd
	v_add_co_ci_u32_e64 v28, null, s5, v28, vcc_lo
	global_store_b64 v[27:28], v[7:8], off
.LBB1373_116:
	s_wait_alu 0xfffe
	s_or_b32 exec_lo, exec_lo, s0
	v_and_b32_e32 v20, 1, v23
	v_cmp_lt_u64_e32 vcc_lo, v[13:14], v[17:18]
	s_delay_alu instid0(VALU_DEP_2)
	v_cmp_eq_u32_e64 s0, 1, v20
	;; [unrolled: 20-line block ×3, first 2 shown]
	s_or_b32 s1, s17, vcc_lo
	s_wait_alu 0xfffe
	s_and_b32 s1, s1, s0
	s_wait_alu 0xfffe
	s_and_saveexec_b32 s0, s1
	s_cbranch_execz .LBB1373_120
; %bb.119:
	v_lshlrev_b64_e32 v[16:17], 3, v[15:16]
	s_delay_alu instid0(VALU_DEP_1) | instskip(SKIP_1) | instid1(VALU_DEP_2)
	v_add_co_u32 v16, vcc_lo, s4, v16
	s_wait_alu 0xfffd
	v_add_co_ci_u32_e64 v17, null, s5, v17, vcc_lo
	global_store_b64 v[16:17], v[3:4], off
.LBB1373_120:
	s_wait_alu 0xfffe
	s_or_b32 exec_lo, exec_lo, s0
	s_branch .LBB1373_110
.LBB1373_121:
	s_mov_b32 s0, exec_lo
	v_cmpx_eq_u32_e32 1, v26
; %bb.122:
	v_sub_nc_u32_e32 v14, v21, v11
	s_delay_alu instid0(VALU_DEP_1)
	v_lshlrev_b32_e32 v14, 3, v14
	ds_store_b64 v14, v[5:6]
; %bb.123:
	s_wait_alu 0xfffe
	s_or_b32 exec_lo, exec_lo, s0
	v_and_b32_e32 v5, 1, v24
	s_mov_b32 s0, exec_lo
	s_delay_alu instid0(VALU_DEP_1)
	v_cmpx_eq_u32_e32 1, v5
; %bb.124:
	v_sub_nc_u32_e32 v5, v19, v11
	s_delay_alu instid0(VALU_DEP_1)
	v_lshlrev_b32_e32 v5, 3, v5
	ds_store_b64 v5, v[7:8]
; %bb.125:
	s_wait_alu 0xfffe
	s_or_b32 exec_lo, exec_lo, s0
	v_and_b32_e32 v5, 1, v23
	s_mov_b32 s0, exec_lo
	s_delay_alu instid0(VALU_DEP_1)
	v_cmpx_eq_u32_e32 1, v5
; %bb.126:
	v_sub_nc_u32_e32 v5, v13, v11
	s_delay_alu instid0(VALU_DEP_1)
	v_lshlrev_b32_e32 v5, 3, v5
	ds_store_b64 v5, v[1:2]
; %bb.127:
	s_wait_alu 0xfffe
	s_or_b32 exec_lo, exec_lo, s0
	v_and_b32_e32 v1, 1, v25
	s_mov_b32 s0, exec_lo
	s_delay_alu instid0(VALU_DEP_1)
	v_cmpx_eq_u32_e32 1, v1
; %bb.128:
	v_sub_nc_u32_e32 v1, v15, v11
	s_delay_alu instid0(VALU_DEP_1)
	v_lshlrev_b32_e32 v1, 3, v1
	ds_store_b64 v1, v[3:4]
; %bb.129:
	s_wait_alu 0xfffe
	s_or_b32 exec_lo, exec_lo, s0
	v_mov_b32_e32 v3, 0
	s_mov_b32 s1, exec_lo
	s_wait_storecnt 0x0
	s_wait_loadcnt_dscnt 0x0
	s_barrier_signal -1
	s_barrier_wait -1
	v_mov_b32_e32 v1, v3
	global_inv scope:SCOPE_SE
	v_cmpx_gt_u64_e64 v[9:10], v[0:1]
	s_cbranch_execz .LBB1373_132
; %bb.130:
	v_lshlrev_b64_e32 v[4:5], 3, v[11:12]
	s_lshl_b64 s[4:5], s[10:11], 3
	v_or_b32_e32 v2, 0x100, v0
	s_wait_kmcnt 0x0
	s_wait_alu 0xfffe
	s_add_nc_u64 s[2:3], s[2:3], s[4:5]
	s_wait_alu 0xfffe
	v_add_co_u32 v6, vcc_lo, s2, v4
	s_wait_alu 0xfffd
	v_add_co_ci_u32_e64 v7, null, s3, v5, vcc_lo
	v_dual_mov_b32 v5, v1 :: v_dual_mov_b32 v4, v0
	s_mov_b32 s2, 0
.LBB1373_131:                           ; =>This Inner Loop Header: Depth=1
	s_delay_alu instid0(VALU_DEP_1) | instskip(NEXT) | instid1(VALU_DEP_2)
	v_lshlrev_b32_e32 v1, 3, v4
	v_lshlrev_b64_e32 v[15:16], 3, v[4:5]
	v_dual_mov_b32 v5, v3 :: v_dual_mov_b32 v4, v2
	v_cmp_le_u64_e32 vcc_lo, v[9:10], v[2:3]
	ds_load_b64 v[13:14], v1
	v_add_nc_u32_e32 v2, 0x100, v2
	v_add_co_u32 v15, s0, v6, v15
	s_wait_alu 0xf1ff
	v_add_co_ci_u32_e64 v16, null, v7, v16, s0
	s_wait_alu 0xfffe
	s_or_b32 s2, vcc_lo, s2
	s_wait_dscnt 0x0
	global_store_b64 v[15:16], v[13:14], off
	s_wait_alu 0xfffe
	s_and_not1_b32 exec_lo, exec_lo, s2
	s_cbranch_execnz .LBB1373_131
.LBB1373_132:
	s_wait_alu 0xfffe
	s_or_b32 exec_lo, exec_lo, s1
	v_cmp_eq_u32_e32 vcc_lo, 0, v0
	s_and_b32 s0, vcc_lo, s16
	s_wait_alu 0xfffe
	s_and_saveexec_b32 s1, s0
	s_cbranch_execz .LBB1373_111
.LBB1373_133:
	v_add_co_u32 v0, vcc_lo, v11, v9
	s_wait_alu 0xfffd
	v_add_co_ci_u32_e64 v1, null, v12, v10, vcc_lo
	v_mov_b32_e32 v2, 0
	s_delay_alu instid0(VALU_DEP_3) | instskip(SKIP_1) | instid1(VALU_DEP_3)
	v_add_co_u32 v0, vcc_lo, v0, s10
	s_wait_alu 0xfffd
	v_add_co_ci_u32_e64 v1, null, s11, v1, vcc_lo
	global_store_b64 v2, v[0:1], s[8:9]
	s_endpgm
.LBB1373_134:
	v_lshlrev_b32_e32 v3, 3, v0
	s_delay_alu instid0(VALU_DEP_1)
	v_add_co_u32 v3, s3, s14, v3
	s_wait_alu 0xf1ff
	v_add_co_ci_u32_e64 v4, null, s15, 0, s3
	flat_load_b64 v[3:4], v[3:4] offset:2048
	s_wait_alu 0xfffe
	s_or_b32 exec_lo, exec_lo, s2
	s_delay_alu instid0(SALU_CYCLE_1)
	s_mov_b32 s2, exec_lo
	v_cmpx_gt_u32_e64 s18, v9
	s_cbranch_execz .LBB1373_7
.LBB1373_135:
	v_lshlrev_b32_e32 v5, 3, v0
	s_delay_alu instid0(VALU_DEP_1)
	v_add_co_u32 v5, s3, s14, v5
	s_wait_alu 0xf1ff
	v_add_co_ci_u32_e64 v6, null, s15, 0, s3
	flat_load_b64 v[5:6], v[5:6] offset:4096
	s_wait_alu 0xfffe
	s_or_b32 exec_lo, exec_lo, s2
	s_delay_alu instid0(SALU_CYCLE_1)
	s_mov_b32 s2, exec_lo
	v_cmpx_gt_u32_e64 s18, v10
	s_cbranch_execnz .LBB1373_8
	s_branch .LBB1373_9
.LBB1373_136:
	v_lshlrev_b32_e32 v16, 3, v0
	global_load_b64 v[16:17], v16, s[2:3] offset:2048
	s_wait_loadcnt 0x0
	v_cmp_eq_u64_e32 vcc_lo, 0, v[16:17]
	s_wait_alu 0xfffd
	v_cndmask_b32_e64 v16, 0, 1, vcc_lo
	s_delay_alu instid0(VALU_DEP_1) | instskip(NEXT) | instid1(VALU_DEP_1)
	v_lshlrev_b16 v16, 8, v16
	v_or_b32_e32 v14, v14, v16
	s_delay_alu instid0(VALU_DEP_1) | instskip(SKIP_1) | instid1(SALU_CYCLE_1)
	v_and_b32_e32 v14, 0xffff, v14
	s_or_b32 exec_lo, exec_lo, s4
	s_mov_b32 s4, exec_lo
	v_cmpx_gt_u32_e64 s18, v9
	s_cbranch_execz .LBB1373_17
.LBB1373_137:
	v_lshlrev_b32_e32 v16, 3, v0
	global_load_b64 v[16:17], v16, s[2:3] offset:4096
	s_wait_loadcnt 0x0
	v_cmp_eq_u64_e32 vcc_lo, 0, v[16:17]
	s_wait_alu 0xfffd
	v_cndmask_b32_e64 v16, 0, 1, vcc_lo
	s_delay_alu instid0(VALU_DEP_1) | instskip(SKIP_1) | instid1(SALU_CYCLE_1)
	v_lshl_or_b32 v14, v16, 16, v14
	s_or_b32 exec_lo, exec_lo, s4
	s_mov_b32 s4, exec_lo
	v_cmpx_gt_u32_e64 s18, v10
	s_cbranch_execnz .LBB1373_18
	s_branch .LBB1373_19
	.section	.rodata,"a",@progbits
	.p2align	6, 0x0
	.amdhsa_kernel _ZN7rocprim17ROCPRIM_400000_NS6detail17trampoline_kernelINS0_14default_configENS1_25partition_config_selectorILNS1_17partition_subalgoE5EyNS0_10empty_typeEbEEZZNS1_14partition_implILS5_5ELb0ES3_mN6thrust23THRUST_200600_302600_NS6detail15normal_iteratorINSA_10device_ptrIyEEEEPS6_NSA_18transform_iteratorINSB_9not_fun_tI7is_trueIyEEESF_NSA_11use_defaultESM_EENS0_5tupleIJSF_S6_EEENSO_IJSG_SG_EEES6_PlJS6_EEE10hipError_tPvRmT3_T4_T5_T6_T7_T9_mT8_P12ihipStream_tbDpT10_ENKUlT_T0_E_clISt17integral_constantIbLb0EES1B_EEDaS16_S17_EUlS16_E_NS1_11comp_targetILNS1_3genE10ELNS1_11target_archE1200ELNS1_3gpuE4ELNS1_3repE0EEENS1_30default_config_static_selectorELNS0_4arch9wavefront6targetE0EEEvT1_
		.amdhsa_group_segment_fixed_size 8464
		.amdhsa_private_segment_fixed_size 0
		.amdhsa_kernarg_size 120
		.amdhsa_user_sgpr_count 2
		.amdhsa_user_sgpr_dispatch_ptr 0
		.amdhsa_user_sgpr_queue_ptr 0
		.amdhsa_user_sgpr_kernarg_segment_ptr 1
		.amdhsa_user_sgpr_dispatch_id 0
		.amdhsa_user_sgpr_private_segment_size 0
		.amdhsa_wavefront_size32 1
		.amdhsa_uses_dynamic_stack 0
		.amdhsa_enable_private_segment 0
		.amdhsa_system_sgpr_workgroup_id_x 1
		.amdhsa_system_sgpr_workgroup_id_y 0
		.amdhsa_system_sgpr_workgroup_id_z 0
		.amdhsa_system_sgpr_workgroup_info 0
		.amdhsa_system_vgpr_workitem_id 0
		.amdhsa_next_free_vgpr 46
		.amdhsa_next_free_sgpr 22
		.amdhsa_reserve_vcc 1
		.amdhsa_float_round_mode_32 0
		.amdhsa_float_round_mode_16_64 0
		.amdhsa_float_denorm_mode_32 3
		.amdhsa_float_denorm_mode_16_64 3
		.amdhsa_fp16_overflow 0
		.amdhsa_workgroup_processor_mode 1
		.amdhsa_memory_ordered 1
		.amdhsa_forward_progress 1
		.amdhsa_inst_pref_size 55
		.amdhsa_round_robin_scheduling 0
		.amdhsa_exception_fp_ieee_invalid_op 0
		.amdhsa_exception_fp_denorm_src 0
		.amdhsa_exception_fp_ieee_div_zero 0
		.amdhsa_exception_fp_ieee_overflow 0
		.amdhsa_exception_fp_ieee_underflow 0
		.amdhsa_exception_fp_ieee_inexact 0
		.amdhsa_exception_int_div_zero 0
	.end_amdhsa_kernel
	.section	.text._ZN7rocprim17ROCPRIM_400000_NS6detail17trampoline_kernelINS0_14default_configENS1_25partition_config_selectorILNS1_17partition_subalgoE5EyNS0_10empty_typeEbEEZZNS1_14partition_implILS5_5ELb0ES3_mN6thrust23THRUST_200600_302600_NS6detail15normal_iteratorINSA_10device_ptrIyEEEEPS6_NSA_18transform_iteratorINSB_9not_fun_tI7is_trueIyEEESF_NSA_11use_defaultESM_EENS0_5tupleIJSF_S6_EEENSO_IJSG_SG_EEES6_PlJS6_EEE10hipError_tPvRmT3_T4_T5_T6_T7_T9_mT8_P12ihipStream_tbDpT10_ENKUlT_T0_E_clISt17integral_constantIbLb0EES1B_EEDaS16_S17_EUlS16_E_NS1_11comp_targetILNS1_3genE10ELNS1_11target_archE1200ELNS1_3gpuE4ELNS1_3repE0EEENS1_30default_config_static_selectorELNS0_4arch9wavefront6targetE0EEEvT1_,"axG",@progbits,_ZN7rocprim17ROCPRIM_400000_NS6detail17trampoline_kernelINS0_14default_configENS1_25partition_config_selectorILNS1_17partition_subalgoE5EyNS0_10empty_typeEbEEZZNS1_14partition_implILS5_5ELb0ES3_mN6thrust23THRUST_200600_302600_NS6detail15normal_iteratorINSA_10device_ptrIyEEEEPS6_NSA_18transform_iteratorINSB_9not_fun_tI7is_trueIyEEESF_NSA_11use_defaultESM_EENS0_5tupleIJSF_S6_EEENSO_IJSG_SG_EEES6_PlJS6_EEE10hipError_tPvRmT3_T4_T5_T6_T7_T9_mT8_P12ihipStream_tbDpT10_ENKUlT_T0_E_clISt17integral_constantIbLb0EES1B_EEDaS16_S17_EUlS16_E_NS1_11comp_targetILNS1_3genE10ELNS1_11target_archE1200ELNS1_3gpuE4ELNS1_3repE0EEENS1_30default_config_static_selectorELNS0_4arch9wavefront6targetE0EEEvT1_,comdat
.Lfunc_end1373:
	.size	_ZN7rocprim17ROCPRIM_400000_NS6detail17trampoline_kernelINS0_14default_configENS1_25partition_config_selectorILNS1_17partition_subalgoE5EyNS0_10empty_typeEbEEZZNS1_14partition_implILS5_5ELb0ES3_mN6thrust23THRUST_200600_302600_NS6detail15normal_iteratorINSA_10device_ptrIyEEEEPS6_NSA_18transform_iteratorINSB_9not_fun_tI7is_trueIyEEESF_NSA_11use_defaultESM_EENS0_5tupleIJSF_S6_EEENSO_IJSG_SG_EEES6_PlJS6_EEE10hipError_tPvRmT3_T4_T5_T6_T7_T9_mT8_P12ihipStream_tbDpT10_ENKUlT_T0_E_clISt17integral_constantIbLb0EES1B_EEDaS16_S17_EUlS16_E_NS1_11comp_targetILNS1_3genE10ELNS1_11target_archE1200ELNS1_3gpuE4ELNS1_3repE0EEENS1_30default_config_static_selectorELNS0_4arch9wavefront6targetE0EEEvT1_, .Lfunc_end1373-_ZN7rocprim17ROCPRIM_400000_NS6detail17trampoline_kernelINS0_14default_configENS1_25partition_config_selectorILNS1_17partition_subalgoE5EyNS0_10empty_typeEbEEZZNS1_14partition_implILS5_5ELb0ES3_mN6thrust23THRUST_200600_302600_NS6detail15normal_iteratorINSA_10device_ptrIyEEEEPS6_NSA_18transform_iteratorINSB_9not_fun_tI7is_trueIyEEESF_NSA_11use_defaultESM_EENS0_5tupleIJSF_S6_EEENSO_IJSG_SG_EEES6_PlJS6_EEE10hipError_tPvRmT3_T4_T5_T6_T7_T9_mT8_P12ihipStream_tbDpT10_ENKUlT_T0_E_clISt17integral_constantIbLb0EES1B_EEDaS16_S17_EUlS16_E_NS1_11comp_targetILNS1_3genE10ELNS1_11target_archE1200ELNS1_3gpuE4ELNS1_3repE0EEENS1_30default_config_static_selectorELNS0_4arch9wavefront6targetE0EEEvT1_
                                        ; -- End function
	.set _ZN7rocprim17ROCPRIM_400000_NS6detail17trampoline_kernelINS0_14default_configENS1_25partition_config_selectorILNS1_17partition_subalgoE5EyNS0_10empty_typeEbEEZZNS1_14partition_implILS5_5ELb0ES3_mN6thrust23THRUST_200600_302600_NS6detail15normal_iteratorINSA_10device_ptrIyEEEEPS6_NSA_18transform_iteratorINSB_9not_fun_tI7is_trueIyEEESF_NSA_11use_defaultESM_EENS0_5tupleIJSF_S6_EEENSO_IJSG_SG_EEES6_PlJS6_EEE10hipError_tPvRmT3_T4_T5_T6_T7_T9_mT8_P12ihipStream_tbDpT10_ENKUlT_T0_E_clISt17integral_constantIbLb0EES1B_EEDaS16_S17_EUlS16_E_NS1_11comp_targetILNS1_3genE10ELNS1_11target_archE1200ELNS1_3gpuE4ELNS1_3repE0EEENS1_30default_config_static_selectorELNS0_4arch9wavefront6targetE0EEEvT1_.num_vgpr, 46
	.set _ZN7rocprim17ROCPRIM_400000_NS6detail17trampoline_kernelINS0_14default_configENS1_25partition_config_selectorILNS1_17partition_subalgoE5EyNS0_10empty_typeEbEEZZNS1_14partition_implILS5_5ELb0ES3_mN6thrust23THRUST_200600_302600_NS6detail15normal_iteratorINSA_10device_ptrIyEEEEPS6_NSA_18transform_iteratorINSB_9not_fun_tI7is_trueIyEEESF_NSA_11use_defaultESM_EENS0_5tupleIJSF_S6_EEENSO_IJSG_SG_EEES6_PlJS6_EEE10hipError_tPvRmT3_T4_T5_T6_T7_T9_mT8_P12ihipStream_tbDpT10_ENKUlT_T0_E_clISt17integral_constantIbLb0EES1B_EEDaS16_S17_EUlS16_E_NS1_11comp_targetILNS1_3genE10ELNS1_11target_archE1200ELNS1_3gpuE4ELNS1_3repE0EEENS1_30default_config_static_selectorELNS0_4arch9wavefront6targetE0EEEvT1_.num_agpr, 0
	.set _ZN7rocprim17ROCPRIM_400000_NS6detail17trampoline_kernelINS0_14default_configENS1_25partition_config_selectorILNS1_17partition_subalgoE5EyNS0_10empty_typeEbEEZZNS1_14partition_implILS5_5ELb0ES3_mN6thrust23THRUST_200600_302600_NS6detail15normal_iteratorINSA_10device_ptrIyEEEEPS6_NSA_18transform_iteratorINSB_9not_fun_tI7is_trueIyEEESF_NSA_11use_defaultESM_EENS0_5tupleIJSF_S6_EEENSO_IJSG_SG_EEES6_PlJS6_EEE10hipError_tPvRmT3_T4_T5_T6_T7_T9_mT8_P12ihipStream_tbDpT10_ENKUlT_T0_E_clISt17integral_constantIbLb0EES1B_EEDaS16_S17_EUlS16_E_NS1_11comp_targetILNS1_3genE10ELNS1_11target_archE1200ELNS1_3gpuE4ELNS1_3repE0EEENS1_30default_config_static_selectorELNS0_4arch9wavefront6targetE0EEEvT1_.numbered_sgpr, 22
	.set _ZN7rocprim17ROCPRIM_400000_NS6detail17trampoline_kernelINS0_14default_configENS1_25partition_config_selectorILNS1_17partition_subalgoE5EyNS0_10empty_typeEbEEZZNS1_14partition_implILS5_5ELb0ES3_mN6thrust23THRUST_200600_302600_NS6detail15normal_iteratorINSA_10device_ptrIyEEEEPS6_NSA_18transform_iteratorINSB_9not_fun_tI7is_trueIyEEESF_NSA_11use_defaultESM_EENS0_5tupleIJSF_S6_EEENSO_IJSG_SG_EEES6_PlJS6_EEE10hipError_tPvRmT3_T4_T5_T6_T7_T9_mT8_P12ihipStream_tbDpT10_ENKUlT_T0_E_clISt17integral_constantIbLb0EES1B_EEDaS16_S17_EUlS16_E_NS1_11comp_targetILNS1_3genE10ELNS1_11target_archE1200ELNS1_3gpuE4ELNS1_3repE0EEENS1_30default_config_static_selectorELNS0_4arch9wavefront6targetE0EEEvT1_.num_named_barrier, 0
	.set _ZN7rocprim17ROCPRIM_400000_NS6detail17trampoline_kernelINS0_14default_configENS1_25partition_config_selectorILNS1_17partition_subalgoE5EyNS0_10empty_typeEbEEZZNS1_14partition_implILS5_5ELb0ES3_mN6thrust23THRUST_200600_302600_NS6detail15normal_iteratorINSA_10device_ptrIyEEEEPS6_NSA_18transform_iteratorINSB_9not_fun_tI7is_trueIyEEESF_NSA_11use_defaultESM_EENS0_5tupleIJSF_S6_EEENSO_IJSG_SG_EEES6_PlJS6_EEE10hipError_tPvRmT3_T4_T5_T6_T7_T9_mT8_P12ihipStream_tbDpT10_ENKUlT_T0_E_clISt17integral_constantIbLb0EES1B_EEDaS16_S17_EUlS16_E_NS1_11comp_targetILNS1_3genE10ELNS1_11target_archE1200ELNS1_3gpuE4ELNS1_3repE0EEENS1_30default_config_static_selectorELNS0_4arch9wavefront6targetE0EEEvT1_.private_seg_size, 0
	.set _ZN7rocprim17ROCPRIM_400000_NS6detail17trampoline_kernelINS0_14default_configENS1_25partition_config_selectorILNS1_17partition_subalgoE5EyNS0_10empty_typeEbEEZZNS1_14partition_implILS5_5ELb0ES3_mN6thrust23THRUST_200600_302600_NS6detail15normal_iteratorINSA_10device_ptrIyEEEEPS6_NSA_18transform_iteratorINSB_9not_fun_tI7is_trueIyEEESF_NSA_11use_defaultESM_EENS0_5tupleIJSF_S6_EEENSO_IJSG_SG_EEES6_PlJS6_EEE10hipError_tPvRmT3_T4_T5_T6_T7_T9_mT8_P12ihipStream_tbDpT10_ENKUlT_T0_E_clISt17integral_constantIbLb0EES1B_EEDaS16_S17_EUlS16_E_NS1_11comp_targetILNS1_3genE10ELNS1_11target_archE1200ELNS1_3gpuE4ELNS1_3repE0EEENS1_30default_config_static_selectorELNS0_4arch9wavefront6targetE0EEEvT1_.uses_vcc, 1
	.set _ZN7rocprim17ROCPRIM_400000_NS6detail17trampoline_kernelINS0_14default_configENS1_25partition_config_selectorILNS1_17partition_subalgoE5EyNS0_10empty_typeEbEEZZNS1_14partition_implILS5_5ELb0ES3_mN6thrust23THRUST_200600_302600_NS6detail15normal_iteratorINSA_10device_ptrIyEEEEPS6_NSA_18transform_iteratorINSB_9not_fun_tI7is_trueIyEEESF_NSA_11use_defaultESM_EENS0_5tupleIJSF_S6_EEENSO_IJSG_SG_EEES6_PlJS6_EEE10hipError_tPvRmT3_T4_T5_T6_T7_T9_mT8_P12ihipStream_tbDpT10_ENKUlT_T0_E_clISt17integral_constantIbLb0EES1B_EEDaS16_S17_EUlS16_E_NS1_11comp_targetILNS1_3genE10ELNS1_11target_archE1200ELNS1_3gpuE4ELNS1_3repE0EEENS1_30default_config_static_selectorELNS0_4arch9wavefront6targetE0EEEvT1_.uses_flat_scratch, 1
	.set _ZN7rocprim17ROCPRIM_400000_NS6detail17trampoline_kernelINS0_14default_configENS1_25partition_config_selectorILNS1_17partition_subalgoE5EyNS0_10empty_typeEbEEZZNS1_14partition_implILS5_5ELb0ES3_mN6thrust23THRUST_200600_302600_NS6detail15normal_iteratorINSA_10device_ptrIyEEEEPS6_NSA_18transform_iteratorINSB_9not_fun_tI7is_trueIyEEESF_NSA_11use_defaultESM_EENS0_5tupleIJSF_S6_EEENSO_IJSG_SG_EEES6_PlJS6_EEE10hipError_tPvRmT3_T4_T5_T6_T7_T9_mT8_P12ihipStream_tbDpT10_ENKUlT_T0_E_clISt17integral_constantIbLb0EES1B_EEDaS16_S17_EUlS16_E_NS1_11comp_targetILNS1_3genE10ELNS1_11target_archE1200ELNS1_3gpuE4ELNS1_3repE0EEENS1_30default_config_static_selectorELNS0_4arch9wavefront6targetE0EEEvT1_.has_dyn_sized_stack, 0
	.set _ZN7rocprim17ROCPRIM_400000_NS6detail17trampoline_kernelINS0_14default_configENS1_25partition_config_selectorILNS1_17partition_subalgoE5EyNS0_10empty_typeEbEEZZNS1_14partition_implILS5_5ELb0ES3_mN6thrust23THRUST_200600_302600_NS6detail15normal_iteratorINSA_10device_ptrIyEEEEPS6_NSA_18transform_iteratorINSB_9not_fun_tI7is_trueIyEEESF_NSA_11use_defaultESM_EENS0_5tupleIJSF_S6_EEENSO_IJSG_SG_EEES6_PlJS6_EEE10hipError_tPvRmT3_T4_T5_T6_T7_T9_mT8_P12ihipStream_tbDpT10_ENKUlT_T0_E_clISt17integral_constantIbLb0EES1B_EEDaS16_S17_EUlS16_E_NS1_11comp_targetILNS1_3genE10ELNS1_11target_archE1200ELNS1_3gpuE4ELNS1_3repE0EEENS1_30default_config_static_selectorELNS0_4arch9wavefront6targetE0EEEvT1_.has_recursion, 0
	.set _ZN7rocprim17ROCPRIM_400000_NS6detail17trampoline_kernelINS0_14default_configENS1_25partition_config_selectorILNS1_17partition_subalgoE5EyNS0_10empty_typeEbEEZZNS1_14partition_implILS5_5ELb0ES3_mN6thrust23THRUST_200600_302600_NS6detail15normal_iteratorINSA_10device_ptrIyEEEEPS6_NSA_18transform_iteratorINSB_9not_fun_tI7is_trueIyEEESF_NSA_11use_defaultESM_EENS0_5tupleIJSF_S6_EEENSO_IJSG_SG_EEES6_PlJS6_EEE10hipError_tPvRmT3_T4_T5_T6_T7_T9_mT8_P12ihipStream_tbDpT10_ENKUlT_T0_E_clISt17integral_constantIbLb0EES1B_EEDaS16_S17_EUlS16_E_NS1_11comp_targetILNS1_3genE10ELNS1_11target_archE1200ELNS1_3gpuE4ELNS1_3repE0EEENS1_30default_config_static_selectorELNS0_4arch9wavefront6targetE0EEEvT1_.has_indirect_call, 0
	.section	.AMDGPU.csdata,"",@progbits
; Kernel info:
; codeLenInByte = 6960
; TotalNumSgprs: 24
; NumVgprs: 46
; ScratchSize: 0
; MemoryBound: 0
; FloatMode: 240
; IeeeMode: 1
; LDSByteSize: 8464 bytes/workgroup (compile time only)
; SGPRBlocks: 0
; VGPRBlocks: 5
; NumSGPRsForWavesPerEU: 24
; NumVGPRsForWavesPerEU: 46
; Occupancy: 16
; WaveLimiterHint : 1
; COMPUTE_PGM_RSRC2:SCRATCH_EN: 0
; COMPUTE_PGM_RSRC2:USER_SGPR: 2
; COMPUTE_PGM_RSRC2:TRAP_HANDLER: 0
; COMPUTE_PGM_RSRC2:TGID_X_EN: 1
; COMPUTE_PGM_RSRC2:TGID_Y_EN: 0
; COMPUTE_PGM_RSRC2:TGID_Z_EN: 0
; COMPUTE_PGM_RSRC2:TIDIG_COMP_CNT: 0
	.section	.text._ZN7rocprim17ROCPRIM_400000_NS6detail17trampoline_kernelINS0_14default_configENS1_25partition_config_selectorILNS1_17partition_subalgoE5EyNS0_10empty_typeEbEEZZNS1_14partition_implILS5_5ELb0ES3_mN6thrust23THRUST_200600_302600_NS6detail15normal_iteratorINSA_10device_ptrIyEEEEPS6_NSA_18transform_iteratorINSB_9not_fun_tI7is_trueIyEEESF_NSA_11use_defaultESM_EENS0_5tupleIJSF_S6_EEENSO_IJSG_SG_EEES6_PlJS6_EEE10hipError_tPvRmT3_T4_T5_T6_T7_T9_mT8_P12ihipStream_tbDpT10_ENKUlT_T0_E_clISt17integral_constantIbLb0EES1B_EEDaS16_S17_EUlS16_E_NS1_11comp_targetILNS1_3genE9ELNS1_11target_archE1100ELNS1_3gpuE3ELNS1_3repE0EEENS1_30default_config_static_selectorELNS0_4arch9wavefront6targetE0EEEvT1_,"axG",@progbits,_ZN7rocprim17ROCPRIM_400000_NS6detail17trampoline_kernelINS0_14default_configENS1_25partition_config_selectorILNS1_17partition_subalgoE5EyNS0_10empty_typeEbEEZZNS1_14partition_implILS5_5ELb0ES3_mN6thrust23THRUST_200600_302600_NS6detail15normal_iteratorINSA_10device_ptrIyEEEEPS6_NSA_18transform_iteratorINSB_9not_fun_tI7is_trueIyEEESF_NSA_11use_defaultESM_EENS0_5tupleIJSF_S6_EEENSO_IJSG_SG_EEES6_PlJS6_EEE10hipError_tPvRmT3_T4_T5_T6_T7_T9_mT8_P12ihipStream_tbDpT10_ENKUlT_T0_E_clISt17integral_constantIbLb0EES1B_EEDaS16_S17_EUlS16_E_NS1_11comp_targetILNS1_3genE9ELNS1_11target_archE1100ELNS1_3gpuE3ELNS1_3repE0EEENS1_30default_config_static_selectorELNS0_4arch9wavefront6targetE0EEEvT1_,comdat
	.protected	_ZN7rocprim17ROCPRIM_400000_NS6detail17trampoline_kernelINS0_14default_configENS1_25partition_config_selectorILNS1_17partition_subalgoE5EyNS0_10empty_typeEbEEZZNS1_14partition_implILS5_5ELb0ES3_mN6thrust23THRUST_200600_302600_NS6detail15normal_iteratorINSA_10device_ptrIyEEEEPS6_NSA_18transform_iteratorINSB_9not_fun_tI7is_trueIyEEESF_NSA_11use_defaultESM_EENS0_5tupleIJSF_S6_EEENSO_IJSG_SG_EEES6_PlJS6_EEE10hipError_tPvRmT3_T4_T5_T6_T7_T9_mT8_P12ihipStream_tbDpT10_ENKUlT_T0_E_clISt17integral_constantIbLb0EES1B_EEDaS16_S17_EUlS16_E_NS1_11comp_targetILNS1_3genE9ELNS1_11target_archE1100ELNS1_3gpuE3ELNS1_3repE0EEENS1_30default_config_static_selectorELNS0_4arch9wavefront6targetE0EEEvT1_ ; -- Begin function _ZN7rocprim17ROCPRIM_400000_NS6detail17trampoline_kernelINS0_14default_configENS1_25partition_config_selectorILNS1_17partition_subalgoE5EyNS0_10empty_typeEbEEZZNS1_14partition_implILS5_5ELb0ES3_mN6thrust23THRUST_200600_302600_NS6detail15normal_iteratorINSA_10device_ptrIyEEEEPS6_NSA_18transform_iteratorINSB_9not_fun_tI7is_trueIyEEESF_NSA_11use_defaultESM_EENS0_5tupleIJSF_S6_EEENSO_IJSG_SG_EEES6_PlJS6_EEE10hipError_tPvRmT3_T4_T5_T6_T7_T9_mT8_P12ihipStream_tbDpT10_ENKUlT_T0_E_clISt17integral_constantIbLb0EES1B_EEDaS16_S17_EUlS16_E_NS1_11comp_targetILNS1_3genE9ELNS1_11target_archE1100ELNS1_3gpuE3ELNS1_3repE0EEENS1_30default_config_static_selectorELNS0_4arch9wavefront6targetE0EEEvT1_
	.globl	_ZN7rocprim17ROCPRIM_400000_NS6detail17trampoline_kernelINS0_14default_configENS1_25partition_config_selectorILNS1_17partition_subalgoE5EyNS0_10empty_typeEbEEZZNS1_14partition_implILS5_5ELb0ES3_mN6thrust23THRUST_200600_302600_NS6detail15normal_iteratorINSA_10device_ptrIyEEEEPS6_NSA_18transform_iteratorINSB_9not_fun_tI7is_trueIyEEESF_NSA_11use_defaultESM_EENS0_5tupleIJSF_S6_EEENSO_IJSG_SG_EEES6_PlJS6_EEE10hipError_tPvRmT3_T4_T5_T6_T7_T9_mT8_P12ihipStream_tbDpT10_ENKUlT_T0_E_clISt17integral_constantIbLb0EES1B_EEDaS16_S17_EUlS16_E_NS1_11comp_targetILNS1_3genE9ELNS1_11target_archE1100ELNS1_3gpuE3ELNS1_3repE0EEENS1_30default_config_static_selectorELNS0_4arch9wavefront6targetE0EEEvT1_
	.p2align	8
	.type	_ZN7rocprim17ROCPRIM_400000_NS6detail17trampoline_kernelINS0_14default_configENS1_25partition_config_selectorILNS1_17partition_subalgoE5EyNS0_10empty_typeEbEEZZNS1_14partition_implILS5_5ELb0ES3_mN6thrust23THRUST_200600_302600_NS6detail15normal_iteratorINSA_10device_ptrIyEEEEPS6_NSA_18transform_iteratorINSB_9not_fun_tI7is_trueIyEEESF_NSA_11use_defaultESM_EENS0_5tupleIJSF_S6_EEENSO_IJSG_SG_EEES6_PlJS6_EEE10hipError_tPvRmT3_T4_T5_T6_T7_T9_mT8_P12ihipStream_tbDpT10_ENKUlT_T0_E_clISt17integral_constantIbLb0EES1B_EEDaS16_S17_EUlS16_E_NS1_11comp_targetILNS1_3genE9ELNS1_11target_archE1100ELNS1_3gpuE3ELNS1_3repE0EEENS1_30default_config_static_selectorELNS0_4arch9wavefront6targetE0EEEvT1_,@function
_ZN7rocprim17ROCPRIM_400000_NS6detail17trampoline_kernelINS0_14default_configENS1_25partition_config_selectorILNS1_17partition_subalgoE5EyNS0_10empty_typeEbEEZZNS1_14partition_implILS5_5ELb0ES3_mN6thrust23THRUST_200600_302600_NS6detail15normal_iteratorINSA_10device_ptrIyEEEEPS6_NSA_18transform_iteratorINSB_9not_fun_tI7is_trueIyEEESF_NSA_11use_defaultESM_EENS0_5tupleIJSF_S6_EEENSO_IJSG_SG_EEES6_PlJS6_EEE10hipError_tPvRmT3_T4_T5_T6_T7_T9_mT8_P12ihipStream_tbDpT10_ENKUlT_T0_E_clISt17integral_constantIbLb0EES1B_EEDaS16_S17_EUlS16_E_NS1_11comp_targetILNS1_3genE9ELNS1_11target_archE1100ELNS1_3gpuE3ELNS1_3repE0EEENS1_30default_config_static_selectorELNS0_4arch9wavefront6targetE0EEEvT1_: ; @_ZN7rocprim17ROCPRIM_400000_NS6detail17trampoline_kernelINS0_14default_configENS1_25partition_config_selectorILNS1_17partition_subalgoE5EyNS0_10empty_typeEbEEZZNS1_14partition_implILS5_5ELb0ES3_mN6thrust23THRUST_200600_302600_NS6detail15normal_iteratorINSA_10device_ptrIyEEEEPS6_NSA_18transform_iteratorINSB_9not_fun_tI7is_trueIyEEESF_NSA_11use_defaultESM_EENS0_5tupleIJSF_S6_EEENSO_IJSG_SG_EEES6_PlJS6_EEE10hipError_tPvRmT3_T4_T5_T6_T7_T9_mT8_P12ihipStream_tbDpT10_ENKUlT_T0_E_clISt17integral_constantIbLb0EES1B_EEDaS16_S17_EUlS16_E_NS1_11comp_targetILNS1_3genE9ELNS1_11target_archE1100ELNS1_3gpuE3ELNS1_3repE0EEENS1_30default_config_static_selectorELNS0_4arch9wavefront6targetE0EEEvT1_
; %bb.0:
	.section	.rodata,"a",@progbits
	.p2align	6, 0x0
	.amdhsa_kernel _ZN7rocprim17ROCPRIM_400000_NS6detail17trampoline_kernelINS0_14default_configENS1_25partition_config_selectorILNS1_17partition_subalgoE5EyNS0_10empty_typeEbEEZZNS1_14partition_implILS5_5ELb0ES3_mN6thrust23THRUST_200600_302600_NS6detail15normal_iteratorINSA_10device_ptrIyEEEEPS6_NSA_18transform_iteratorINSB_9not_fun_tI7is_trueIyEEESF_NSA_11use_defaultESM_EENS0_5tupleIJSF_S6_EEENSO_IJSG_SG_EEES6_PlJS6_EEE10hipError_tPvRmT3_T4_T5_T6_T7_T9_mT8_P12ihipStream_tbDpT10_ENKUlT_T0_E_clISt17integral_constantIbLb0EES1B_EEDaS16_S17_EUlS16_E_NS1_11comp_targetILNS1_3genE9ELNS1_11target_archE1100ELNS1_3gpuE3ELNS1_3repE0EEENS1_30default_config_static_selectorELNS0_4arch9wavefront6targetE0EEEvT1_
		.amdhsa_group_segment_fixed_size 0
		.amdhsa_private_segment_fixed_size 0
		.amdhsa_kernarg_size 120
		.amdhsa_user_sgpr_count 2
		.amdhsa_user_sgpr_dispatch_ptr 0
		.amdhsa_user_sgpr_queue_ptr 0
		.amdhsa_user_sgpr_kernarg_segment_ptr 1
		.amdhsa_user_sgpr_dispatch_id 0
		.amdhsa_user_sgpr_private_segment_size 0
		.amdhsa_wavefront_size32 1
		.amdhsa_uses_dynamic_stack 0
		.amdhsa_enable_private_segment 0
		.amdhsa_system_sgpr_workgroup_id_x 1
		.amdhsa_system_sgpr_workgroup_id_y 0
		.amdhsa_system_sgpr_workgroup_id_z 0
		.amdhsa_system_sgpr_workgroup_info 0
		.amdhsa_system_vgpr_workitem_id 0
		.amdhsa_next_free_vgpr 1
		.amdhsa_next_free_sgpr 1
		.amdhsa_reserve_vcc 0
		.amdhsa_float_round_mode_32 0
		.amdhsa_float_round_mode_16_64 0
		.amdhsa_float_denorm_mode_32 3
		.amdhsa_float_denorm_mode_16_64 3
		.amdhsa_fp16_overflow 0
		.amdhsa_workgroup_processor_mode 1
		.amdhsa_memory_ordered 1
		.amdhsa_forward_progress 1
		.amdhsa_inst_pref_size 0
		.amdhsa_round_robin_scheduling 0
		.amdhsa_exception_fp_ieee_invalid_op 0
		.amdhsa_exception_fp_denorm_src 0
		.amdhsa_exception_fp_ieee_div_zero 0
		.amdhsa_exception_fp_ieee_overflow 0
		.amdhsa_exception_fp_ieee_underflow 0
		.amdhsa_exception_fp_ieee_inexact 0
		.amdhsa_exception_int_div_zero 0
	.end_amdhsa_kernel
	.section	.text._ZN7rocprim17ROCPRIM_400000_NS6detail17trampoline_kernelINS0_14default_configENS1_25partition_config_selectorILNS1_17partition_subalgoE5EyNS0_10empty_typeEbEEZZNS1_14partition_implILS5_5ELb0ES3_mN6thrust23THRUST_200600_302600_NS6detail15normal_iteratorINSA_10device_ptrIyEEEEPS6_NSA_18transform_iteratorINSB_9not_fun_tI7is_trueIyEEESF_NSA_11use_defaultESM_EENS0_5tupleIJSF_S6_EEENSO_IJSG_SG_EEES6_PlJS6_EEE10hipError_tPvRmT3_T4_T5_T6_T7_T9_mT8_P12ihipStream_tbDpT10_ENKUlT_T0_E_clISt17integral_constantIbLb0EES1B_EEDaS16_S17_EUlS16_E_NS1_11comp_targetILNS1_3genE9ELNS1_11target_archE1100ELNS1_3gpuE3ELNS1_3repE0EEENS1_30default_config_static_selectorELNS0_4arch9wavefront6targetE0EEEvT1_,"axG",@progbits,_ZN7rocprim17ROCPRIM_400000_NS6detail17trampoline_kernelINS0_14default_configENS1_25partition_config_selectorILNS1_17partition_subalgoE5EyNS0_10empty_typeEbEEZZNS1_14partition_implILS5_5ELb0ES3_mN6thrust23THRUST_200600_302600_NS6detail15normal_iteratorINSA_10device_ptrIyEEEEPS6_NSA_18transform_iteratorINSB_9not_fun_tI7is_trueIyEEESF_NSA_11use_defaultESM_EENS0_5tupleIJSF_S6_EEENSO_IJSG_SG_EEES6_PlJS6_EEE10hipError_tPvRmT3_T4_T5_T6_T7_T9_mT8_P12ihipStream_tbDpT10_ENKUlT_T0_E_clISt17integral_constantIbLb0EES1B_EEDaS16_S17_EUlS16_E_NS1_11comp_targetILNS1_3genE9ELNS1_11target_archE1100ELNS1_3gpuE3ELNS1_3repE0EEENS1_30default_config_static_selectorELNS0_4arch9wavefront6targetE0EEEvT1_,comdat
.Lfunc_end1374:
	.size	_ZN7rocprim17ROCPRIM_400000_NS6detail17trampoline_kernelINS0_14default_configENS1_25partition_config_selectorILNS1_17partition_subalgoE5EyNS0_10empty_typeEbEEZZNS1_14partition_implILS5_5ELb0ES3_mN6thrust23THRUST_200600_302600_NS6detail15normal_iteratorINSA_10device_ptrIyEEEEPS6_NSA_18transform_iteratorINSB_9not_fun_tI7is_trueIyEEESF_NSA_11use_defaultESM_EENS0_5tupleIJSF_S6_EEENSO_IJSG_SG_EEES6_PlJS6_EEE10hipError_tPvRmT3_T4_T5_T6_T7_T9_mT8_P12ihipStream_tbDpT10_ENKUlT_T0_E_clISt17integral_constantIbLb0EES1B_EEDaS16_S17_EUlS16_E_NS1_11comp_targetILNS1_3genE9ELNS1_11target_archE1100ELNS1_3gpuE3ELNS1_3repE0EEENS1_30default_config_static_selectorELNS0_4arch9wavefront6targetE0EEEvT1_, .Lfunc_end1374-_ZN7rocprim17ROCPRIM_400000_NS6detail17trampoline_kernelINS0_14default_configENS1_25partition_config_selectorILNS1_17partition_subalgoE5EyNS0_10empty_typeEbEEZZNS1_14partition_implILS5_5ELb0ES3_mN6thrust23THRUST_200600_302600_NS6detail15normal_iteratorINSA_10device_ptrIyEEEEPS6_NSA_18transform_iteratorINSB_9not_fun_tI7is_trueIyEEESF_NSA_11use_defaultESM_EENS0_5tupleIJSF_S6_EEENSO_IJSG_SG_EEES6_PlJS6_EEE10hipError_tPvRmT3_T4_T5_T6_T7_T9_mT8_P12ihipStream_tbDpT10_ENKUlT_T0_E_clISt17integral_constantIbLb0EES1B_EEDaS16_S17_EUlS16_E_NS1_11comp_targetILNS1_3genE9ELNS1_11target_archE1100ELNS1_3gpuE3ELNS1_3repE0EEENS1_30default_config_static_selectorELNS0_4arch9wavefront6targetE0EEEvT1_
                                        ; -- End function
	.set _ZN7rocprim17ROCPRIM_400000_NS6detail17trampoline_kernelINS0_14default_configENS1_25partition_config_selectorILNS1_17partition_subalgoE5EyNS0_10empty_typeEbEEZZNS1_14partition_implILS5_5ELb0ES3_mN6thrust23THRUST_200600_302600_NS6detail15normal_iteratorINSA_10device_ptrIyEEEEPS6_NSA_18transform_iteratorINSB_9not_fun_tI7is_trueIyEEESF_NSA_11use_defaultESM_EENS0_5tupleIJSF_S6_EEENSO_IJSG_SG_EEES6_PlJS6_EEE10hipError_tPvRmT3_T4_T5_T6_T7_T9_mT8_P12ihipStream_tbDpT10_ENKUlT_T0_E_clISt17integral_constantIbLb0EES1B_EEDaS16_S17_EUlS16_E_NS1_11comp_targetILNS1_3genE9ELNS1_11target_archE1100ELNS1_3gpuE3ELNS1_3repE0EEENS1_30default_config_static_selectorELNS0_4arch9wavefront6targetE0EEEvT1_.num_vgpr, 0
	.set _ZN7rocprim17ROCPRIM_400000_NS6detail17trampoline_kernelINS0_14default_configENS1_25partition_config_selectorILNS1_17partition_subalgoE5EyNS0_10empty_typeEbEEZZNS1_14partition_implILS5_5ELb0ES3_mN6thrust23THRUST_200600_302600_NS6detail15normal_iteratorINSA_10device_ptrIyEEEEPS6_NSA_18transform_iteratorINSB_9not_fun_tI7is_trueIyEEESF_NSA_11use_defaultESM_EENS0_5tupleIJSF_S6_EEENSO_IJSG_SG_EEES6_PlJS6_EEE10hipError_tPvRmT3_T4_T5_T6_T7_T9_mT8_P12ihipStream_tbDpT10_ENKUlT_T0_E_clISt17integral_constantIbLb0EES1B_EEDaS16_S17_EUlS16_E_NS1_11comp_targetILNS1_3genE9ELNS1_11target_archE1100ELNS1_3gpuE3ELNS1_3repE0EEENS1_30default_config_static_selectorELNS0_4arch9wavefront6targetE0EEEvT1_.num_agpr, 0
	.set _ZN7rocprim17ROCPRIM_400000_NS6detail17trampoline_kernelINS0_14default_configENS1_25partition_config_selectorILNS1_17partition_subalgoE5EyNS0_10empty_typeEbEEZZNS1_14partition_implILS5_5ELb0ES3_mN6thrust23THRUST_200600_302600_NS6detail15normal_iteratorINSA_10device_ptrIyEEEEPS6_NSA_18transform_iteratorINSB_9not_fun_tI7is_trueIyEEESF_NSA_11use_defaultESM_EENS0_5tupleIJSF_S6_EEENSO_IJSG_SG_EEES6_PlJS6_EEE10hipError_tPvRmT3_T4_T5_T6_T7_T9_mT8_P12ihipStream_tbDpT10_ENKUlT_T0_E_clISt17integral_constantIbLb0EES1B_EEDaS16_S17_EUlS16_E_NS1_11comp_targetILNS1_3genE9ELNS1_11target_archE1100ELNS1_3gpuE3ELNS1_3repE0EEENS1_30default_config_static_selectorELNS0_4arch9wavefront6targetE0EEEvT1_.numbered_sgpr, 0
	.set _ZN7rocprim17ROCPRIM_400000_NS6detail17trampoline_kernelINS0_14default_configENS1_25partition_config_selectorILNS1_17partition_subalgoE5EyNS0_10empty_typeEbEEZZNS1_14partition_implILS5_5ELb0ES3_mN6thrust23THRUST_200600_302600_NS6detail15normal_iteratorINSA_10device_ptrIyEEEEPS6_NSA_18transform_iteratorINSB_9not_fun_tI7is_trueIyEEESF_NSA_11use_defaultESM_EENS0_5tupleIJSF_S6_EEENSO_IJSG_SG_EEES6_PlJS6_EEE10hipError_tPvRmT3_T4_T5_T6_T7_T9_mT8_P12ihipStream_tbDpT10_ENKUlT_T0_E_clISt17integral_constantIbLb0EES1B_EEDaS16_S17_EUlS16_E_NS1_11comp_targetILNS1_3genE9ELNS1_11target_archE1100ELNS1_3gpuE3ELNS1_3repE0EEENS1_30default_config_static_selectorELNS0_4arch9wavefront6targetE0EEEvT1_.num_named_barrier, 0
	.set _ZN7rocprim17ROCPRIM_400000_NS6detail17trampoline_kernelINS0_14default_configENS1_25partition_config_selectorILNS1_17partition_subalgoE5EyNS0_10empty_typeEbEEZZNS1_14partition_implILS5_5ELb0ES3_mN6thrust23THRUST_200600_302600_NS6detail15normal_iteratorINSA_10device_ptrIyEEEEPS6_NSA_18transform_iteratorINSB_9not_fun_tI7is_trueIyEEESF_NSA_11use_defaultESM_EENS0_5tupleIJSF_S6_EEENSO_IJSG_SG_EEES6_PlJS6_EEE10hipError_tPvRmT3_T4_T5_T6_T7_T9_mT8_P12ihipStream_tbDpT10_ENKUlT_T0_E_clISt17integral_constantIbLb0EES1B_EEDaS16_S17_EUlS16_E_NS1_11comp_targetILNS1_3genE9ELNS1_11target_archE1100ELNS1_3gpuE3ELNS1_3repE0EEENS1_30default_config_static_selectorELNS0_4arch9wavefront6targetE0EEEvT1_.private_seg_size, 0
	.set _ZN7rocprim17ROCPRIM_400000_NS6detail17trampoline_kernelINS0_14default_configENS1_25partition_config_selectorILNS1_17partition_subalgoE5EyNS0_10empty_typeEbEEZZNS1_14partition_implILS5_5ELb0ES3_mN6thrust23THRUST_200600_302600_NS6detail15normal_iteratorINSA_10device_ptrIyEEEEPS6_NSA_18transform_iteratorINSB_9not_fun_tI7is_trueIyEEESF_NSA_11use_defaultESM_EENS0_5tupleIJSF_S6_EEENSO_IJSG_SG_EEES6_PlJS6_EEE10hipError_tPvRmT3_T4_T5_T6_T7_T9_mT8_P12ihipStream_tbDpT10_ENKUlT_T0_E_clISt17integral_constantIbLb0EES1B_EEDaS16_S17_EUlS16_E_NS1_11comp_targetILNS1_3genE9ELNS1_11target_archE1100ELNS1_3gpuE3ELNS1_3repE0EEENS1_30default_config_static_selectorELNS0_4arch9wavefront6targetE0EEEvT1_.uses_vcc, 0
	.set _ZN7rocprim17ROCPRIM_400000_NS6detail17trampoline_kernelINS0_14default_configENS1_25partition_config_selectorILNS1_17partition_subalgoE5EyNS0_10empty_typeEbEEZZNS1_14partition_implILS5_5ELb0ES3_mN6thrust23THRUST_200600_302600_NS6detail15normal_iteratorINSA_10device_ptrIyEEEEPS6_NSA_18transform_iteratorINSB_9not_fun_tI7is_trueIyEEESF_NSA_11use_defaultESM_EENS0_5tupleIJSF_S6_EEENSO_IJSG_SG_EEES6_PlJS6_EEE10hipError_tPvRmT3_T4_T5_T6_T7_T9_mT8_P12ihipStream_tbDpT10_ENKUlT_T0_E_clISt17integral_constantIbLb0EES1B_EEDaS16_S17_EUlS16_E_NS1_11comp_targetILNS1_3genE9ELNS1_11target_archE1100ELNS1_3gpuE3ELNS1_3repE0EEENS1_30default_config_static_selectorELNS0_4arch9wavefront6targetE0EEEvT1_.uses_flat_scratch, 0
	.set _ZN7rocprim17ROCPRIM_400000_NS6detail17trampoline_kernelINS0_14default_configENS1_25partition_config_selectorILNS1_17partition_subalgoE5EyNS0_10empty_typeEbEEZZNS1_14partition_implILS5_5ELb0ES3_mN6thrust23THRUST_200600_302600_NS6detail15normal_iteratorINSA_10device_ptrIyEEEEPS6_NSA_18transform_iteratorINSB_9not_fun_tI7is_trueIyEEESF_NSA_11use_defaultESM_EENS0_5tupleIJSF_S6_EEENSO_IJSG_SG_EEES6_PlJS6_EEE10hipError_tPvRmT3_T4_T5_T6_T7_T9_mT8_P12ihipStream_tbDpT10_ENKUlT_T0_E_clISt17integral_constantIbLb0EES1B_EEDaS16_S17_EUlS16_E_NS1_11comp_targetILNS1_3genE9ELNS1_11target_archE1100ELNS1_3gpuE3ELNS1_3repE0EEENS1_30default_config_static_selectorELNS0_4arch9wavefront6targetE0EEEvT1_.has_dyn_sized_stack, 0
	.set _ZN7rocprim17ROCPRIM_400000_NS6detail17trampoline_kernelINS0_14default_configENS1_25partition_config_selectorILNS1_17partition_subalgoE5EyNS0_10empty_typeEbEEZZNS1_14partition_implILS5_5ELb0ES3_mN6thrust23THRUST_200600_302600_NS6detail15normal_iteratorINSA_10device_ptrIyEEEEPS6_NSA_18transform_iteratorINSB_9not_fun_tI7is_trueIyEEESF_NSA_11use_defaultESM_EENS0_5tupleIJSF_S6_EEENSO_IJSG_SG_EEES6_PlJS6_EEE10hipError_tPvRmT3_T4_T5_T6_T7_T9_mT8_P12ihipStream_tbDpT10_ENKUlT_T0_E_clISt17integral_constantIbLb0EES1B_EEDaS16_S17_EUlS16_E_NS1_11comp_targetILNS1_3genE9ELNS1_11target_archE1100ELNS1_3gpuE3ELNS1_3repE0EEENS1_30default_config_static_selectorELNS0_4arch9wavefront6targetE0EEEvT1_.has_recursion, 0
	.set _ZN7rocprim17ROCPRIM_400000_NS6detail17trampoline_kernelINS0_14default_configENS1_25partition_config_selectorILNS1_17partition_subalgoE5EyNS0_10empty_typeEbEEZZNS1_14partition_implILS5_5ELb0ES3_mN6thrust23THRUST_200600_302600_NS6detail15normal_iteratorINSA_10device_ptrIyEEEEPS6_NSA_18transform_iteratorINSB_9not_fun_tI7is_trueIyEEESF_NSA_11use_defaultESM_EENS0_5tupleIJSF_S6_EEENSO_IJSG_SG_EEES6_PlJS6_EEE10hipError_tPvRmT3_T4_T5_T6_T7_T9_mT8_P12ihipStream_tbDpT10_ENKUlT_T0_E_clISt17integral_constantIbLb0EES1B_EEDaS16_S17_EUlS16_E_NS1_11comp_targetILNS1_3genE9ELNS1_11target_archE1100ELNS1_3gpuE3ELNS1_3repE0EEENS1_30default_config_static_selectorELNS0_4arch9wavefront6targetE0EEEvT1_.has_indirect_call, 0
	.section	.AMDGPU.csdata,"",@progbits
; Kernel info:
; codeLenInByte = 0
; TotalNumSgprs: 0
; NumVgprs: 0
; ScratchSize: 0
; MemoryBound: 0
; FloatMode: 240
; IeeeMode: 1
; LDSByteSize: 0 bytes/workgroup (compile time only)
; SGPRBlocks: 0
; VGPRBlocks: 0
; NumSGPRsForWavesPerEU: 1
; NumVGPRsForWavesPerEU: 1
; Occupancy: 16
; WaveLimiterHint : 0
; COMPUTE_PGM_RSRC2:SCRATCH_EN: 0
; COMPUTE_PGM_RSRC2:USER_SGPR: 2
; COMPUTE_PGM_RSRC2:TRAP_HANDLER: 0
; COMPUTE_PGM_RSRC2:TGID_X_EN: 1
; COMPUTE_PGM_RSRC2:TGID_Y_EN: 0
; COMPUTE_PGM_RSRC2:TGID_Z_EN: 0
; COMPUTE_PGM_RSRC2:TIDIG_COMP_CNT: 0
	.section	.text._ZN7rocprim17ROCPRIM_400000_NS6detail17trampoline_kernelINS0_14default_configENS1_25partition_config_selectorILNS1_17partition_subalgoE5EyNS0_10empty_typeEbEEZZNS1_14partition_implILS5_5ELb0ES3_mN6thrust23THRUST_200600_302600_NS6detail15normal_iteratorINSA_10device_ptrIyEEEEPS6_NSA_18transform_iteratorINSB_9not_fun_tI7is_trueIyEEESF_NSA_11use_defaultESM_EENS0_5tupleIJSF_S6_EEENSO_IJSG_SG_EEES6_PlJS6_EEE10hipError_tPvRmT3_T4_T5_T6_T7_T9_mT8_P12ihipStream_tbDpT10_ENKUlT_T0_E_clISt17integral_constantIbLb0EES1B_EEDaS16_S17_EUlS16_E_NS1_11comp_targetILNS1_3genE8ELNS1_11target_archE1030ELNS1_3gpuE2ELNS1_3repE0EEENS1_30default_config_static_selectorELNS0_4arch9wavefront6targetE0EEEvT1_,"axG",@progbits,_ZN7rocprim17ROCPRIM_400000_NS6detail17trampoline_kernelINS0_14default_configENS1_25partition_config_selectorILNS1_17partition_subalgoE5EyNS0_10empty_typeEbEEZZNS1_14partition_implILS5_5ELb0ES3_mN6thrust23THRUST_200600_302600_NS6detail15normal_iteratorINSA_10device_ptrIyEEEEPS6_NSA_18transform_iteratorINSB_9not_fun_tI7is_trueIyEEESF_NSA_11use_defaultESM_EENS0_5tupleIJSF_S6_EEENSO_IJSG_SG_EEES6_PlJS6_EEE10hipError_tPvRmT3_T4_T5_T6_T7_T9_mT8_P12ihipStream_tbDpT10_ENKUlT_T0_E_clISt17integral_constantIbLb0EES1B_EEDaS16_S17_EUlS16_E_NS1_11comp_targetILNS1_3genE8ELNS1_11target_archE1030ELNS1_3gpuE2ELNS1_3repE0EEENS1_30default_config_static_selectorELNS0_4arch9wavefront6targetE0EEEvT1_,comdat
	.protected	_ZN7rocprim17ROCPRIM_400000_NS6detail17trampoline_kernelINS0_14default_configENS1_25partition_config_selectorILNS1_17partition_subalgoE5EyNS0_10empty_typeEbEEZZNS1_14partition_implILS5_5ELb0ES3_mN6thrust23THRUST_200600_302600_NS6detail15normal_iteratorINSA_10device_ptrIyEEEEPS6_NSA_18transform_iteratorINSB_9not_fun_tI7is_trueIyEEESF_NSA_11use_defaultESM_EENS0_5tupleIJSF_S6_EEENSO_IJSG_SG_EEES6_PlJS6_EEE10hipError_tPvRmT3_T4_T5_T6_T7_T9_mT8_P12ihipStream_tbDpT10_ENKUlT_T0_E_clISt17integral_constantIbLb0EES1B_EEDaS16_S17_EUlS16_E_NS1_11comp_targetILNS1_3genE8ELNS1_11target_archE1030ELNS1_3gpuE2ELNS1_3repE0EEENS1_30default_config_static_selectorELNS0_4arch9wavefront6targetE0EEEvT1_ ; -- Begin function _ZN7rocprim17ROCPRIM_400000_NS6detail17trampoline_kernelINS0_14default_configENS1_25partition_config_selectorILNS1_17partition_subalgoE5EyNS0_10empty_typeEbEEZZNS1_14partition_implILS5_5ELb0ES3_mN6thrust23THRUST_200600_302600_NS6detail15normal_iteratorINSA_10device_ptrIyEEEEPS6_NSA_18transform_iteratorINSB_9not_fun_tI7is_trueIyEEESF_NSA_11use_defaultESM_EENS0_5tupleIJSF_S6_EEENSO_IJSG_SG_EEES6_PlJS6_EEE10hipError_tPvRmT3_T4_T5_T6_T7_T9_mT8_P12ihipStream_tbDpT10_ENKUlT_T0_E_clISt17integral_constantIbLb0EES1B_EEDaS16_S17_EUlS16_E_NS1_11comp_targetILNS1_3genE8ELNS1_11target_archE1030ELNS1_3gpuE2ELNS1_3repE0EEENS1_30default_config_static_selectorELNS0_4arch9wavefront6targetE0EEEvT1_
	.globl	_ZN7rocprim17ROCPRIM_400000_NS6detail17trampoline_kernelINS0_14default_configENS1_25partition_config_selectorILNS1_17partition_subalgoE5EyNS0_10empty_typeEbEEZZNS1_14partition_implILS5_5ELb0ES3_mN6thrust23THRUST_200600_302600_NS6detail15normal_iteratorINSA_10device_ptrIyEEEEPS6_NSA_18transform_iteratorINSB_9not_fun_tI7is_trueIyEEESF_NSA_11use_defaultESM_EENS0_5tupleIJSF_S6_EEENSO_IJSG_SG_EEES6_PlJS6_EEE10hipError_tPvRmT3_T4_T5_T6_T7_T9_mT8_P12ihipStream_tbDpT10_ENKUlT_T0_E_clISt17integral_constantIbLb0EES1B_EEDaS16_S17_EUlS16_E_NS1_11comp_targetILNS1_3genE8ELNS1_11target_archE1030ELNS1_3gpuE2ELNS1_3repE0EEENS1_30default_config_static_selectorELNS0_4arch9wavefront6targetE0EEEvT1_
	.p2align	8
	.type	_ZN7rocprim17ROCPRIM_400000_NS6detail17trampoline_kernelINS0_14default_configENS1_25partition_config_selectorILNS1_17partition_subalgoE5EyNS0_10empty_typeEbEEZZNS1_14partition_implILS5_5ELb0ES3_mN6thrust23THRUST_200600_302600_NS6detail15normal_iteratorINSA_10device_ptrIyEEEEPS6_NSA_18transform_iteratorINSB_9not_fun_tI7is_trueIyEEESF_NSA_11use_defaultESM_EENS0_5tupleIJSF_S6_EEENSO_IJSG_SG_EEES6_PlJS6_EEE10hipError_tPvRmT3_T4_T5_T6_T7_T9_mT8_P12ihipStream_tbDpT10_ENKUlT_T0_E_clISt17integral_constantIbLb0EES1B_EEDaS16_S17_EUlS16_E_NS1_11comp_targetILNS1_3genE8ELNS1_11target_archE1030ELNS1_3gpuE2ELNS1_3repE0EEENS1_30default_config_static_selectorELNS0_4arch9wavefront6targetE0EEEvT1_,@function
_ZN7rocprim17ROCPRIM_400000_NS6detail17trampoline_kernelINS0_14default_configENS1_25partition_config_selectorILNS1_17partition_subalgoE5EyNS0_10empty_typeEbEEZZNS1_14partition_implILS5_5ELb0ES3_mN6thrust23THRUST_200600_302600_NS6detail15normal_iteratorINSA_10device_ptrIyEEEEPS6_NSA_18transform_iteratorINSB_9not_fun_tI7is_trueIyEEESF_NSA_11use_defaultESM_EENS0_5tupleIJSF_S6_EEENSO_IJSG_SG_EEES6_PlJS6_EEE10hipError_tPvRmT3_T4_T5_T6_T7_T9_mT8_P12ihipStream_tbDpT10_ENKUlT_T0_E_clISt17integral_constantIbLb0EES1B_EEDaS16_S17_EUlS16_E_NS1_11comp_targetILNS1_3genE8ELNS1_11target_archE1030ELNS1_3gpuE2ELNS1_3repE0EEENS1_30default_config_static_selectorELNS0_4arch9wavefront6targetE0EEEvT1_: ; @_ZN7rocprim17ROCPRIM_400000_NS6detail17trampoline_kernelINS0_14default_configENS1_25partition_config_selectorILNS1_17partition_subalgoE5EyNS0_10empty_typeEbEEZZNS1_14partition_implILS5_5ELb0ES3_mN6thrust23THRUST_200600_302600_NS6detail15normal_iteratorINSA_10device_ptrIyEEEEPS6_NSA_18transform_iteratorINSB_9not_fun_tI7is_trueIyEEESF_NSA_11use_defaultESM_EENS0_5tupleIJSF_S6_EEENSO_IJSG_SG_EEES6_PlJS6_EEE10hipError_tPvRmT3_T4_T5_T6_T7_T9_mT8_P12ihipStream_tbDpT10_ENKUlT_T0_E_clISt17integral_constantIbLb0EES1B_EEDaS16_S17_EUlS16_E_NS1_11comp_targetILNS1_3genE8ELNS1_11target_archE1030ELNS1_3gpuE2ELNS1_3repE0EEENS1_30default_config_static_selectorELNS0_4arch9wavefront6targetE0EEEvT1_
; %bb.0:
	.section	.rodata,"a",@progbits
	.p2align	6, 0x0
	.amdhsa_kernel _ZN7rocprim17ROCPRIM_400000_NS6detail17trampoline_kernelINS0_14default_configENS1_25partition_config_selectorILNS1_17partition_subalgoE5EyNS0_10empty_typeEbEEZZNS1_14partition_implILS5_5ELb0ES3_mN6thrust23THRUST_200600_302600_NS6detail15normal_iteratorINSA_10device_ptrIyEEEEPS6_NSA_18transform_iteratorINSB_9not_fun_tI7is_trueIyEEESF_NSA_11use_defaultESM_EENS0_5tupleIJSF_S6_EEENSO_IJSG_SG_EEES6_PlJS6_EEE10hipError_tPvRmT3_T4_T5_T6_T7_T9_mT8_P12ihipStream_tbDpT10_ENKUlT_T0_E_clISt17integral_constantIbLb0EES1B_EEDaS16_S17_EUlS16_E_NS1_11comp_targetILNS1_3genE8ELNS1_11target_archE1030ELNS1_3gpuE2ELNS1_3repE0EEENS1_30default_config_static_selectorELNS0_4arch9wavefront6targetE0EEEvT1_
		.amdhsa_group_segment_fixed_size 0
		.amdhsa_private_segment_fixed_size 0
		.amdhsa_kernarg_size 120
		.amdhsa_user_sgpr_count 2
		.amdhsa_user_sgpr_dispatch_ptr 0
		.amdhsa_user_sgpr_queue_ptr 0
		.amdhsa_user_sgpr_kernarg_segment_ptr 1
		.amdhsa_user_sgpr_dispatch_id 0
		.amdhsa_user_sgpr_private_segment_size 0
		.amdhsa_wavefront_size32 1
		.amdhsa_uses_dynamic_stack 0
		.amdhsa_enable_private_segment 0
		.amdhsa_system_sgpr_workgroup_id_x 1
		.amdhsa_system_sgpr_workgroup_id_y 0
		.amdhsa_system_sgpr_workgroup_id_z 0
		.amdhsa_system_sgpr_workgroup_info 0
		.amdhsa_system_vgpr_workitem_id 0
		.amdhsa_next_free_vgpr 1
		.amdhsa_next_free_sgpr 1
		.amdhsa_reserve_vcc 0
		.amdhsa_float_round_mode_32 0
		.amdhsa_float_round_mode_16_64 0
		.amdhsa_float_denorm_mode_32 3
		.amdhsa_float_denorm_mode_16_64 3
		.amdhsa_fp16_overflow 0
		.amdhsa_workgroup_processor_mode 1
		.amdhsa_memory_ordered 1
		.amdhsa_forward_progress 1
		.amdhsa_inst_pref_size 0
		.amdhsa_round_robin_scheduling 0
		.amdhsa_exception_fp_ieee_invalid_op 0
		.amdhsa_exception_fp_denorm_src 0
		.amdhsa_exception_fp_ieee_div_zero 0
		.amdhsa_exception_fp_ieee_overflow 0
		.amdhsa_exception_fp_ieee_underflow 0
		.amdhsa_exception_fp_ieee_inexact 0
		.amdhsa_exception_int_div_zero 0
	.end_amdhsa_kernel
	.section	.text._ZN7rocprim17ROCPRIM_400000_NS6detail17trampoline_kernelINS0_14default_configENS1_25partition_config_selectorILNS1_17partition_subalgoE5EyNS0_10empty_typeEbEEZZNS1_14partition_implILS5_5ELb0ES3_mN6thrust23THRUST_200600_302600_NS6detail15normal_iteratorINSA_10device_ptrIyEEEEPS6_NSA_18transform_iteratorINSB_9not_fun_tI7is_trueIyEEESF_NSA_11use_defaultESM_EENS0_5tupleIJSF_S6_EEENSO_IJSG_SG_EEES6_PlJS6_EEE10hipError_tPvRmT3_T4_T5_T6_T7_T9_mT8_P12ihipStream_tbDpT10_ENKUlT_T0_E_clISt17integral_constantIbLb0EES1B_EEDaS16_S17_EUlS16_E_NS1_11comp_targetILNS1_3genE8ELNS1_11target_archE1030ELNS1_3gpuE2ELNS1_3repE0EEENS1_30default_config_static_selectorELNS0_4arch9wavefront6targetE0EEEvT1_,"axG",@progbits,_ZN7rocprim17ROCPRIM_400000_NS6detail17trampoline_kernelINS0_14default_configENS1_25partition_config_selectorILNS1_17partition_subalgoE5EyNS0_10empty_typeEbEEZZNS1_14partition_implILS5_5ELb0ES3_mN6thrust23THRUST_200600_302600_NS6detail15normal_iteratorINSA_10device_ptrIyEEEEPS6_NSA_18transform_iteratorINSB_9not_fun_tI7is_trueIyEEESF_NSA_11use_defaultESM_EENS0_5tupleIJSF_S6_EEENSO_IJSG_SG_EEES6_PlJS6_EEE10hipError_tPvRmT3_T4_T5_T6_T7_T9_mT8_P12ihipStream_tbDpT10_ENKUlT_T0_E_clISt17integral_constantIbLb0EES1B_EEDaS16_S17_EUlS16_E_NS1_11comp_targetILNS1_3genE8ELNS1_11target_archE1030ELNS1_3gpuE2ELNS1_3repE0EEENS1_30default_config_static_selectorELNS0_4arch9wavefront6targetE0EEEvT1_,comdat
.Lfunc_end1375:
	.size	_ZN7rocprim17ROCPRIM_400000_NS6detail17trampoline_kernelINS0_14default_configENS1_25partition_config_selectorILNS1_17partition_subalgoE5EyNS0_10empty_typeEbEEZZNS1_14partition_implILS5_5ELb0ES3_mN6thrust23THRUST_200600_302600_NS6detail15normal_iteratorINSA_10device_ptrIyEEEEPS6_NSA_18transform_iteratorINSB_9not_fun_tI7is_trueIyEEESF_NSA_11use_defaultESM_EENS0_5tupleIJSF_S6_EEENSO_IJSG_SG_EEES6_PlJS6_EEE10hipError_tPvRmT3_T4_T5_T6_T7_T9_mT8_P12ihipStream_tbDpT10_ENKUlT_T0_E_clISt17integral_constantIbLb0EES1B_EEDaS16_S17_EUlS16_E_NS1_11comp_targetILNS1_3genE8ELNS1_11target_archE1030ELNS1_3gpuE2ELNS1_3repE0EEENS1_30default_config_static_selectorELNS0_4arch9wavefront6targetE0EEEvT1_, .Lfunc_end1375-_ZN7rocprim17ROCPRIM_400000_NS6detail17trampoline_kernelINS0_14default_configENS1_25partition_config_selectorILNS1_17partition_subalgoE5EyNS0_10empty_typeEbEEZZNS1_14partition_implILS5_5ELb0ES3_mN6thrust23THRUST_200600_302600_NS6detail15normal_iteratorINSA_10device_ptrIyEEEEPS6_NSA_18transform_iteratorINSB_9not_fun_tI7is_trueIyEEESF_NSA_11use_defaultESM_EENS0_5tupleIJSF_S6_EEENSO_IJSG_SG_EEES6_PlJS6_EEE10hipError_tPvRmT3_T4_T5_T6_T7_T9_mT8_P12ihipStream_tbDpT10_ENKUlT_T0_E_clISt17integral_constantIbLb0EES1B_EEDaS16_S17_EUlS16_E_NS1_11comp_targetILNS1_3genE8ELNS1_11target_archE1030ELNS1_3gpuE2ELNS1_3repE0EEENS1_30default_config_static_selectorELNS0_4arch9wavefront6targetE0EEEvT1_
                                        ; -- End function
	.set _ZN7rocprim17ROCPRIM_400000_NS6detail17trampoline_kernelINS0_14default_configENS1_25partition_config_selectorILNS1_17partition_subalgoE5EyNS0_10empty_typeEbEEZZNS1_14partition_implILS5_5ELb0ES3_mN6thrust23THRUST_200600_302600_NS6detail15normal_iteratorINSA_10device_ptrIyEEEEPS6_NSA_18transform_iteratorINSB_9not_fun_tI7is_trueIyEEESF_NSA_11use_defaultESM_EENS0_5tupleIJSF_S6_EEENSO_IJSG_SG_EEES6_PlJS6_EEE10hipError_tPvRmT3_T4_T5_T6_T7_T9_mT8_P12ihipStream_tbDpT10_ENKUlT_T0_E_clISt17integral_constantIbLb0EES1B_EEDaS16_S17_EUlS16_E_NS1_11comp_targetILNS1_3genE8ELNS1_11target_archE1030ELNS1_3gpuE2ELNS1_3repE0EEENS1_30default_config_static_selectorELNS0_4arch9wavefront6targetE0EEEvT1_.num_vgpr, 0
	.set _ZN7rocprim17ROCPRIM_400000_NS6detail17trampoline_kernelINS0_14default_configENS1_25partition_config_selectorILNS1_17partition_subalgoE5EyNS0_10empty_typeEbEEZZNS1_14partition_implILS5_5ELb0ES3_mN6thrust23THRUST_200600_302600_NS6detail15normal_iteratorINSA_10device_ptrIyEEEEPS6_NSA_18transform_iteratorINSB_9not_fun_tI7is_trueIyEEESF_NSA_11use_defaultESM_EENS0_5tupleIJSF_S6_EEENSO_IJSG_SG_EEES6_PlJS6_EEE10hipError_tPvRmT3_T4_T5_T6_T7_T9_mT8_P12ihipStream_tbDpT10_ENKUlT_T0_E_clISt17integral_constantIbLb0EES1B_EEDaS16_S17_EUlS16_E_NS1_11comp_targetILNS1_3genE8ELNS1_11target_archE1030ELNS1_3gpuE2ELNS1_3repE0EEENS1_30default_config_static_selectorELNS0_4arch9wavefront6targetE0EEEvT1_.num_agpr, 0
	.set _ZN7rocprim17ROCPRIM_400000_NS6detail17trampoline_kernelINS0_14default_configENS1_25partition_config_selectorILNS1_17partition_subalgoE5EyNS0_10empty_typeEbEEZZNS1_14partition_implILS5_5ELb0ES3_mN6thrust23THRUST_200600_302600_NS6detail15normal_iteratorINSA_10device_ptrIyEEEEPS6_NSA_18transform_iteratorINSB_9not_fun_tI7is_trueIyEEESF_NSA_11use_defaultESM_EENS0_5tupleIJSF_S6_EEENSO_IJSG_SG_EEES6_PlJS6_EEE10hipError_tPvRmT3_T4_T5_T6_T7_T9_mT8_P12ihipStream_tbDpT10_ENKUlT_T0_E_clISt17integral_constantIbLb0EES1B_EEDaS16_S17_EUlS16_E_NS1_11comp_targetILNS1_3genE8ELNS1_11target_archE1030ELNS1_3gpuE2ELNS1_3repE0EEENS1_30default_config_static_selectorELNS0_4arch9wavefront6targetE0EEEvT1_.numbered_sgpr, 0
	.set _ZN7rocprim17ROCPRIM_400000_NS6detail17trampoline_kernelINS0_14default_configENS1_25partition_config_selectorILNS1_17partition_subalgoE5EyNS0_10empty_typeEbEEZZNS1_14partition_implILS5_5ELb0ES3_mN6thrust23THRUST_200600_302600_NS6detail15normal_iteratorINSA_10device_ptrIyEEEEPS6_NSA_18transform_iteratorINSB_9not_fun_tI7is_trueIyEEESF_NSA_11use_defaultESM_EENS0_5tupleIJSF_S6_EEENSO_IJSG_SG_EEES6_PlJS6_EEE10hipError_tPvRmT3_T4_T5_T6_T7_T9_mT8_P12ihipStream_tbDpT10_ENKUlT_T0_E_clISt17integral_constantIbLb0EES1B_EEDaS16_S17_EUlS16_E_NS1_11comp_targetILNS1_3genE8ELNS1_11target_archE1030ELNS1_3gpuE2ELNS1_3repE0EEENS1_30default_config_static_selectorELNS0_4arch9wavefront6targetE0EEEvT1_.num_named_barrier, 0
	.set _ZN7rocprim17ROCPRIM_400000_NS6detail17trampoline_kernelINS0_14default_configENS1_25partition_config_selectorILNS1_17partition_subalgoE5EyNS0_10empty_typeEbEEZZNS1_14partition_implILS5_5ELb0ES3_mN6thrust23THRUST_200600_302600_NS6detail15normal_iteratorINSA_10device_ptrIyEEEEPS6_NSA_18transform_iteratorINSB_9not_fun_tI7is_trueIyEEESF_NSA_11use_defaultESM_EENS0_5tupleIJSF_S6_EEENSO_IJSG_SG_EEES6_PlJS6_EEE10hipError_tPvRmT3_T4_T5_T6_T7_T9_mT8_P12ihipStream_tbDpT10_ENKUlT_T0_E_clISt17integral_constantIbLb0EES1B_EEDaS16_S17_EUlS16_E_NS1_11comp_targetILNS1_3genE8ELNS1_11target_archE1030ELNS1_3gpuE2ELNS1_3repE0EEENS1_30default_config_static_selectorELNS0_4arch9wavefront6targetE0EEEvT1_.private_seg_size, 0
	.set _ZN7rocprim17ROCPRIM_400000_NS6detail17trampoline_kernelINS0_14default_configENS1_25partition_config_selectorILNS1_17partition_subalgoE5EyNS0_10empty_typeEbEEZZNS1_14partition_implILS5_5ELb0ES3_mN6thrust23THRUST_200600_302600_NS6detail15normal_iteratorINSA_10device_ptrIyEEEEPS6_NSA_18transform_iteratorINSB_9not_fun_tI7is_trueIyEEESF_NSA_11use_defaultESM_EENS0_5tupleIJSF_S6_EEENSO_IJSG_SG_EEES6_PlJS6_EEE10hipError_tPvRmT3_T4_T5_T6_T7_T9_mT8_P12ihipStream_tbDpT10_ENKUlT_T0_E_clISt17integral_constantIbLb0EES1B_EEDaS16_S17_EUlS16_E_NS1_11comp_targetILNS1_3genE8ELNS1_11target_archE1030ELNS1_3gpuE2ELNS1_3repE0EEENS1_30default_config_static_selectorELNS0_4arch9wavefront6targetE0EEEvT1_.uses_vcc, 0
	.set _ZN7rocprim17ROCPRIM_400000_NS6detail17trampoline_kernelINS0_14default_configENS1_25partition_config_selectorILNS1_17partition_subalgoE5EyNS0_10empty_typeEbEEZZNS1_14partition_implILS5_5ELb0ES3_mN6thrust23THRUST_200600_302600_NS6detail15normal_iteratorINSA_10device_ptrIyEEEEPS6_NSA_18transform_iteratorINSB_9not_fun_tI7is_trueIyEEESF_NSA_11use_defaultESM_EENS0_5tupleIJSF_S6_EEENSO_IJSG_SG_EEES6_PlJS6_EEE10hipError_tPvRmT3_T4_T5_T6_T7_T9_mT8_P12ihipStream_tbDpT10_ENKUlT_T0_E_clISt17integral_constantIbLb0EES1B_EEDaS16_S17_EUlS16_E_NS1_11comp_targetILNS1_3genE8ELNS1_11target_archE1030ELNS1_3gpuE2ELNS1_3repE0EEENS1_30default_config_static_selectorELNS0_4arch9wavefront6targetE0EEEvT1_.uses_flat_scratch, 0
	.set _ZN7rocprim17ROCPRIM_400000_NS6detail17trampoline_kernelINS0_14default_configENS1_25partition_config_selectorILNS1_17partition_subalgoE5EyNS0_10empty_typeEbEEZZNS1_14partition_implILS5_5ELb0ES3_mN6thrust23THRUST_200600_302600_NS6detail15normal_iteratorINSA_10device_ptrIyEEEEPS6_NSA_18transform_iteratorINSB_9not_fun_tI7is_trueIyEEESF_NSA_11use_defaultESM_EENS0_5tupleIJSF_S6_EEENSO_IJSG_SG_EEES6_PlJS6_EEE10hipError_tPvRmT3_T4_T5_T6_T7_T9_mT8_P12ihipStream_tbDpT10_ENKUlT_T0_E_clISt17integral_constantIbLb0EES1B_EEDaS16_S17_EUlS16_E_NS1_11comp_targetILNS1_3genE8ELNS1_11target_archE1030ELNS1_3gpuE2ELNS1_3repE0EEENS1_30default_config_static_selectorELNS0_4arch9wavefront6targetE0EEEvT1_.has_dyn_sized_stack, 0
	.set _ZN7rocprim17ROCPRIM_400000_NS6detail17trampoline_kernelINS0_14default_configENS1_25partition_config_selectorILNS1_17partition_subalgoE5EyNS0_10empty_typeEbEEZZNS1_14partition_implILS5_5ELb0ES3_mN6thrust23THRUST_200600_302600_NS6detail15normal_iteratorINSA_10device_ptrIyEEEEPS6_NSA_18transform_iteratorINSB_9not_fun_tI7is_trueIyEEESF_NSA_11use_defaultESM_EENS0_5tupleIJSF_S6_EEENSO_IJSG_SG_EEES6_PlJS6_EEE10hipError_tPvRmT3_T4_T5_T6_T7_T9_mT8_P12ihipStream_tbDpT10_ENKUlT_T0_E_clISt17integral_constantIbLb0EES1B_EEDaS16_S17_EUlS16_E_NS1_11comp_targetILNS1_3genE8ELNS1_11target_archE1030ELNS1_3gpuE2ELNS1_3repE0EEENS1_30default_config_static_selectorELNS0_4arch9wavefront6targetE0EEEvT1_.has_recursion, 0
	.set _ZN7rocprim17ROCPRIM_400000_NS6detail17trampoline_kernelINS0_14default_configENS1_25partition_config_selectorILNS1_17partition_subalgoE5EyNS0_10empty_typeEbEEZZNS1_14partition_implILS5_5ELb0ES3_mN6thrust23THRUST_200600_302600_NS6detail15normal_iteratorINSA_10device_ptrIyEEEEPS6_NSA_18transform_iteratorINSB_9not_fun_tI7is_trueIyEEESF_NSA_11use_defaultESM_EENS0_5tupleIJSF_S6_EEENSO_IJSG_SG_EEES6_PlJS6_EEE10hipError_tPvRmT3_T4_T5_T6_T7_T9_mT8_P12ihipStream_tbDpT10_ENKUlT_T0_E_clISt17integral_constantIbLb0EES1B_EEDaS16_S17_EUlS16_E_NS1_11comp_targetILNS1_3genE8ELNS1_11target_archE1030ELNS1_3gpuE2ELNS1_3repE0EEENS1_30default_config_static_selectorELNS0_4arch9wavefront6targetE0EEEvT1_.has_indirect_call, 0
	.section	.AMDGPU.csdata,"",@progbits
; Kernel info:
; codeLenInByte = 0
; TotalNumSgprs: 0
; NumVgprs: 0
; ScratchSize: 0
; MemoryBound: 0
; FloatMode: 240
; IeeeMode: 1
; LDSByteSize: 0 bytes/workgroup (compile time only)
; SGPRBlocks: 0
; VGPRBlocks: 0
; NumSGPRsForWavesPerEU: 1
; NumVGPRsForWavesPerEU: 1
; Occupancy: 16
; WaveLimiterHint : 0
; COMPUTE_PGM_RSRC2:SCRATCH_EN: 0
; COMPUTE_PGM_RSRC2:USER_SGPR: 2
; COMPUTE_PGM_RSRC2:TRAP_HANDLER: 0
; COMPUTE_PGM_RSRC2:TGID_X_EN: 1
; COMPUTE_PGM_RSRC2:TGID_Y_EN: 0
; COMPUTE_PGM_RSRC2:TGID_Z_EN: 0
; COMPUTE_PGM_RSRC2:TIDIG_COMP_CNT: 0
	.section	.text._ZN7rocprim17ROCPRIM_400000_NS6detail17trampoline_kernelINS0_14default_configENS1_25partition_config_selectorILNS1_17partition_subalgoE5EyNS0_10empty_typeEbEEZZNS1_14partition_implILS5_5ELb0ES3_mN6thrust23THRUST_200600_302600_NS6detail15normal_iteratorINSA_10device_ptrIyEEEEPS6_NSA_18transform_iteratorINSB_9not_fun_tI7is_trueIyEEESF_NSA_11use_defaultESM_EENS0_5tupleIJSF_S6_EEENSO_IJSG_SG_EEES6_PlJS6_EEE10hipError_tPvRmT3_T4_T5_T6_T7_T9_mT8_P12ihipStream_tbDpT10_ENKUlT_T0_E_clISt17integral_constantIbLb1EES1B_EEDaS16_S17_EUlS16_E_NS1_11comp_targetILNS1_3genE0ELNS1_11target_archE4294967295ELNS1_3gpuE0ELNS1_3repE0EEENS1_30default_config_static_selectorELNS0_4arch9wavefront6targetE0EEEvT1_,"axG",@progbits,_ZN7rocprim17ROCPRIM_400000_NS6detail17trampoline_kernelINS0_14default_configENS1_25partition_config_selectorILNS1_17partition_subalgoE5EyNS0_10empty_typeEbEEZZNS1_14partition_implILS5_5ELb0ES3_mN6thrust23THRUST_200600_302600_NS6detail15normal_iteratorINSA_10device_ptrIyEEEEPS6_NSA_18transform_iteratorINSB_9not_fun_tI7is_trueIyEEESF_NSA_11use_defaultESM_EENS0_5tupleIJSF_S6_EEENSO_IJSG_SG_EEES6_PlJS6_EEE10hipError_tPvRmT3_T4_T5_T6_T7_T9_mT8_P12ihipStream_tbDpT10_ENKUlT_T0_E_clISt17integral_constantIbLb1EES1B_EEDaS16_S17_EUlS16_E_NS1_11comp_targetILNS1_3genE0ELNS1_11target_archE4294967295ELNS1_3gpuE0ELNS1_3repE0EEENS1_30default_config_static_selectorELNS0_4arch9wavefront6targetE0EEEvT1_,comdat
	.protected	_ZN7rocprim17ROCPRIM_400000_NS6detail17trampoline_kernelINS0_14default_configENS1_25partition_config_selectorILNS1_17partition_subalgoE5EyNS0_10empty_typeEbEEZZNS1_14partition_implILS5_5ELb0ES3_mN6thrust23THRUST_200600_302600_NS6detail15normal_iteratorINSA_10device_ptrIyEEEEPS6_NSA_18transform_iteratorINSB_9not_fun_tI7is_trueIyEEESF_NSA_11use_defaultESM_EENS0_5tupleIJSF_S6_EEENSO_IJSG_SG_EEES6_PlJS6_EEE10hipError_tPvRmT3_T4_T5_T6_T7_T9_mT8_P12ihipStream_tbDpT10_ENKUlT_T0_E_clISt17integral_constantIbLb1EES1B_EEDaS16_S17_EUlS16_E_NS1_11comp_targetILNS1_3genE0ELNS1_11target_archE4294967295ELNS1_3gpuE0ELNS1_3repE0EEENS1_30default_config_static_selectorELNS0_4arch9wavefront6targetE0EEEvT1_ ; -- Begin function _ZN7rocprim17ROCPRIM_400000_NS6detail17trampoline_kernelINS0_14default_configENS1_25partition_config_selectorILNS1_17partition_subalgoE5EyNS0_10empty_typeEbEEZZNS1_14partition_implILS5_5ELb0ES3_mN6thrust23THRUST_200600_302600_NS6detail15normal_iteratorINSA_10device_ptrIyEEEEPS6_NSA_18transform_iteratorINSB_9not_fun_tI7is_trueIyEEESF_NSA_11use_defaultESM_EENS0_5tupleIJSF_S6_EEENSO_IJSG_SG_EEES6_PlJS6_EEE10hipError_tPvRmT3_T4_T5_T6_T7_T9_mT8_P12ihipStream_tbDpT10_ENKUlT_T0_E_clISt17integral_constantIbLb1EES1B_EEDaS16_S17_EUlS16_E_NS1_11comp_targetILNS1_3genE0ELNS1_11target_archE4294967295ELNS1_3gpuE0ELNS1_3repE0EEENS1_30default_config_static_selectorELNS0_4arch9wavefront6targetE0EEEvT1_
	.globl	_ZN7rocprim17ROCPRIM_400000_NS6detail17trampoline_kernelINS0_14default_configENS1_25partition_config_selectorILNS1_17partition_subalgoE5EyNS0_10empty_typeEbEEZZNS1_14partition_implILS5_5ELb0ES3_mN6thrust23THRUST_200600_302600_NS6detail15normal_iteratorINSA_10device_ptrIyEEEEPS6_NSA_18transform_iteratorINSB_9not_fun_tI7is_trueIyEEESF_NSA_11use_defaultESM_EENS0_5tupleIJSF_S6_EEENSO_IJSG_SG_EEES6_PlJS6_EEE10hipError_tPvRmT3_T4_T5_T6_T7_T9_mT8_P12ihipStream_tbDpT10_ENKUlT_T0_E_clISt17integral_constantIbLb1EES1B_EEDaS16_S17_EUlS16_E_NS1_11comp_targetILNS1_3genE0ELNS1_11target_archE4294967295ELNS1_3gpuE0ELNS1_3repE0EEENS1_30default_config_static_selectorELNS0_4arch9wavefront6targetE0EEEvT1_
	.p2align	8
	.type	_ZN7rocprim17ROCPRIM_400000_NS6detail17trampoline_kernelINS0_14default_configENS1_25partition_config_selectorILNS1_17partition_subalgoE5EyNS0_10empty_typeEbEEZZNS1_14partition_implILS5_5ELb0ES3_mN6thrust23THRUST_200600_302600_NS6detail15normal_iteratorINSA_10device_ptrIyEEEEPS6_NSA_18transform_iteratorINSB_9not_fun_tI7is_trueIyEEESF_NSA_11use_defaultESM_EENS0_5tupleIJSF_S6_EEENSO_IJSG_SG_EEES6_PlJS6_EEE10hipError_tPvRmT3_T4_T5_T6_T7_T9_mT8_P12ihipStream_tbDpT10_ENKUlT_T0_E_clISt17integral_constantIbLb1EES1B_EEDaS16_S17_EUlS16_E_NS1_11comp_targetILNS1_3genE0ELNS1_11target_archE4294967295ELNS1_3gpuE0ELNS1_3repE0EEENS1_30default_config_static_selectorELNS0_4arch9wavefront6targetE0EEEvT1_,@function
_ZN7rocprim17ROCPRIM_400000_NS6detail17trampoline_kernelINS0_14default_configENS1_25partition_config_selectorILNS1_17partition_subalgoE5EyNS0_10empty_typeEbEEZZNS1_14partition_implILS5_5ELb0ES3_mN6thrust23THRUST_200600_302600_NS6detail15normal_iteratorINSA_10device_ptrIyEEEEPS6_NSA_18transform_iteratorINSB_9not_fun_tI7is_trueIyEEESF_NSA_11use_defaultESM_EENS0_5tupleIJSF_S6_EEENSO_IJSG_SG_EEES6_PlJS6_EEE10hipError_tPvRmT3_T4_T5_T6_T7_T9_mT8_P12ihipStream_tbDpT10_ENKUlT_T0_E_clISt17integral_constantIbLb1EES1B_EEDaS16_S17_EUlS16_E_NS1_11comp_targetILNS1_3genE0ELNS1_11target_archE4294967295ELNS1_3gpuE0ELNS1_3repE0EEENS1_30default_config_static_selectorELNS0_4arch9wavefront6targetE0EEEvT1_: ; @_ZN7rocprim17ROCPRIM_400000_NS6detail17trampoline_kernelINS0_14default_configENS1_25partition_config_selectorILNS1_17partition_subalgoE5EyNS0_10empty_typeEbEEZZNS1_14partition_implILS5_5ELb0ES3_mN6thrust23THRUST_200600_302600_NS6detail15normal_iteratorINSA_10device_ptrIyEEEEPS6_NSA_18transform_iteratorINSB_9not_fun_tI7is_trueIyEEESF_NSA_11use_defaultESM_EENS0_5tupleIJSF_S6_EEENSO_IJSG_SG_EEES6_PlJS6_EEE10hipError_tPvRmT3_T4_T5_T6_T7_T9_mT8_P12ihipStream_tbDpT10_ENKUlT_T0_E_clISt17integral_constantIbLb1EES1B_EEDaS16_S17_EUlS16_E_NS1_11comp_targetILNS1_3genE0ELNS1_11target_archE4294967295ELNS1_3gpuE0ELNS1_3repE0EEENS1_30default_config_static_selectorELNS0_4arch9wavefront6targetE0EEEvT1_
; %bb.0:
	.section	.rodata,"a",@progbits
	.p2align	6, 0x0
	.amdhsa_kernel _ZN7rocprim17ROCPRIM_400000_NS6detail17trampoline_kernelINS0_14default_configENS1_25partition_config_selectorILNS1_17partition_subalgoE5EyNS0_10empty_typeEbEEZZNS1_14partition_implILS5_5ELb0ES3_mN6thrust23THRUST_200600_302600_NS6detail15normal_iteratorINSA_10device_ptrIyEEEEPS6_NSA_18transform_iteratorINSB_9not_fun_tI7is_trueIyEEESF_NSA_11use_defaultESM_EENS0_5tupleIJSF_S6_EEENSO_IJSG_SG_EEES6_PlJS6_EEE10hipError_tPvRmT3_T4_T5_T6_T7_T9_mT8_P12ihipStream_tbDpT10_ENKUlT_T0_E_clISt17integral_constantIbLb1EES1B_EEDaS16_S17_EUlS16_E_NS1_11comp_targetILNS1_3genE0ELNS1_11target_archE4294967295ELNS1_3gpuE0ELNS1_3repE0EEENS1_30default_config_static_selectorELNS0_4arch9wavefront6targetE0EEEvT1_
		.amdhsa_group_segment_fixed_size 0
		.amdhsa_private_segment_fixed_size 0
		.amdhsa_kernarg_size 136
		.amdhsa_user_sgpr_count 2
		.amdhsa_user_sgpr_dispatch_ptr 0
		.amdhsa_user_sgpr_queue_ptr 0
		.amdhsa_user_sgpr_kernarg_segment_ptr 1
		.amdhsa_user_sgpr_dispatch_id 0
		.amdhsa_user_sgpr_private_segment_size 0
		.amdhsa_wavefront_size32 1
		.amdhsa_uses_dynamic_stack 0
		.amdhsa_enable_private_segment 0
		.amdhsa_system_sgpr_workgroup_id_x 1
		.amdhsa_system_sgpr_workgroup_id_y 0
		.amdhsa_system_sgpr_workgroup_id_z 0
		.amdhsa_system_sgpr_workgroup_info 0
		.amdhsa_system_vgpr_workitem_id 0
		.amdhsa_next_free_vgpr 1
		.amdhsa_next_free_sgpr 1
		.amdhsa_reserve_vcc 0
		.amdhsa_float_round_mode_32 0
		.amdhsa_float_round_mode_16_64 0
		.amdhsa_float_denorm_mode_32 3
		.amdhsa_float_denorm_mode_16_64 3
		.amdhsa_fp16_overflow 0
		.amdhsa_workgroup_processor_mode 1
		.amdhsa_memory_ordered 1
		.amdhsa_forward_progress 1
		.amdhsa_inst_pref_size 0
		.amdhsa_round_robin_scheduling 0
		.amdhsa_exception_fp_ieee_invalid_op 0
		.amdhsa_exception_fp_denorm_src 0
		.amdhsa_exception_fp_ieee_div_zero 0
		.amdhsa_exception_fp_ieee_overflow 0
		.amdhsa_exception_fp_ieee_underflow 0
		.amdhsa_exception_fp_ieee_inexact 0
		.amdhsa_exception_int_div_zero 0
	.end_amdhsa_kernel
	.section	.text._ZN7rocprim17ROCPRIM_400000_NS6detail17trampoline_kernelINS0_14default_configENS1_25partition_config_selectorILNS1_17partition_subalgoE5EyNS0_10empty_typeEbEEZZNS1_14partition_implILS5_5ELb0ES3_mN6thrust23THRUST_200600_302600_NS6detail15normal_iteratorINSA_10device_ptrIyEEEEPS6_NSA_18transform_iteratorINSB_9not_fun_tI7is_trueIyEEESF_NSA_11use_defaultESM_EENS0_5tupleIJSF_S6_EEENSO_IJSG_SG_EEES6_PlJS6_EEE10hipError_tPvRmT3_T4_T5_T6_T7_T9_mT8_P12ihipStream_tbDpT10_ENKUlT_T0_E_clISt17integral_constantIbLb1EES1B_EEDaS16_S17_EUlS16_E_NS1_11comp_targetILNS1_3genE0ELNS1_11target_archE4294967295ELNS1_3gpuE0ELNS1_3repE0EEENS1_30default_config_static_selectorELNS0_4arch9wavefront6targetE0EEEvT1_,"axG",@progbits,_ZN7rocprim17ROCPRIM_400000_NS6detail17trampoline_kernelINS0_14default_configENS1_25partition_config_selectorILNS1_17partition_subalgoE5EyNS0_10empty_typeEbEEZZNS1_14partition_implILS5_5ELb0ES3_mN6thrust23THRUST_200600_302600_NS6detail15normal_iteratorINSA_10device_ptrIyEEEEPS6_NSA_18transform_iteratorINSB_9not_fun_tI7is_trueIyEEESF_NSA_11use_defaultESM_EENS0_5tupleIJSF_S6_EEENSO_IJSG_SG_EEES6_PlJS6_EEE10hipError_tPvRmT3_T4_T5_T6_T7_T9_mT8_P12ihipStream_tbDpT10_ENKUlT_T0_E_clISt17integral_constantIbLb1EES1B_EEDaS16_S17_EUlS16_E_NS1_11comp_targetILNS1_3genE0ELNS1_11target_archE4294967295ELNS1_3gpuE0ELNS1_3repE0EEENS1_30default_config_static_selectorELNS0_4arch9wavefront6targetE0EEEvT1_,comdat
.Lfunc_end1376:
	.size	_ZN7rocprim17ROCPRIM_400000_NS6detail17trampoline_kernelINS0_14default_configENS1_25partition_config_selectorILNS1_17partition_subalgoE5EyNS0_10empty_typeEbEEZZNS1_14partition_implILS5_5ELb0ES3_mN6thrust23THRUST_200600_302600_NS6detail15normal_iteratorINSA_10device_ptrIyEEEEPS6_NSA_18transform_iteratorINSB_9not_fun_tI7is_trueIyEEESF_NSA_11use_defaultESM_EENS0_5tupleIJSF_S6_EEENSO_IJSG_SG_EEES6_PlJS6_EEE10hipError_tPvRmT3_T4_T5_T6_T7_T9_mT8_P12ihipStream_tbDpT10_ENKUlT_T0_E_clISt17integral_constantIbLb1EES1B_EEDaS16_S17_EUlS16_E_NS1_11comp_targetILNS1_3genE0ELNS1_11target_archE4294967295ELNS1_3gpuE0ELNS1_3repE0EEENS1_30default_config_static_selectorELNS0_4arch9wavefront6targetE0EEEvT1_, .Lfunc_end1376-_ZN7rocprim17ROCPRIM_400000_NS6detail17trampoline_kernelINS0_14default_configENS1_25partition_config_selectorILNS1_17partition_subalgoE5EyNS0_10empty_typeEbEEZZNS1_14partition_implILS5_5ELb0ES3_mN6thrust23THRUST_200600_302600_NS6detail15normal_iteratorINSA_10device_ptrIyEEEEPS6_NSA_18transform_iteratorINSB_9not_fun_tI7is_trueIyEEESF_NSA_11use_defaultESM_EENS0_5tupleIJSF_S6_EEENSO_IJSG_SG_EEES6_PlJS6_EEE10hipError_tPvRmT3_T4_T5_T6_T7_T9_mT8_P12ihipStream_tbDpT10_ENKUlT_T0_E_clISt17integral_constantIbLb1EES1B_EEDaS16_S17_EUlS16_E_NS1_11comp_targetILNS1_3genE0ELNS1_11target_archE4294967295ELNS1_3gpuE0ELNS1_3repE0EEENS1_30default_config_static_selectorELNS0_4arch9wavefront6targetE0EEEvT1_
                                        ; -- End function
	.set _ZN7rocprim17ROCPRIM_400000_NS6detail17trampoline_kernelINS0_14default_configENS1_25partition_config_selectorILNS1_17partition_subalgoE5EyNS0_10empty_typeEbEEZZNS1_14partition_implILS5_5ELb0ES3_mN6thrust23THRUST_200600_302600_NS6detail15normal_iteratorINSA_10device_ptrIyEEEEPS6_NSA_18transform_iteratorINSB_9not_fun_tI7is_trueIyEEESF_NSA_11use_defaultESM_EENS0_5tupleIJSF_S6_EEENSO_IJSG_SG_EEES6_PlJS6_EEE10hipError_tPvRmT3_T4_T5_T6_T7_T9_mT8_P12ihipStream_tbDpT10_ENKUlT_T0_E_clISt17integral_constantIbLb1EES1B_EEDaS16_S17_EUlS16_E_NS1_11comp_targetILNS1_3genE0ELNS1_11target_archE4294967295ELNS1_3gpuE0ELNS1_3repE0EEENS1_30default_config_static_selectorELNS0_4arch9wavefront6targetE0EEEvT1_.num_vgpr, 0
	.set _ZN7rocprim17ROCPRIM_400000_NS6detail17trampoline_kernelINS0_14default_configENS1_25partition_config_selectorILNS1_17partition_subalgoE5EyNS0_10empty_typeEbEEZZNS1_14partition_implILS5_5ELb0ES3_mN6thrust23THRUST_200600_302600_NS6detail15normal_iteratorINSA_10device_ptrIyEEEEPS6_NSA_18transform_iteratorINSB_9not_fun_tI7is_trueIyEEESF_NSA_11use_defaultESM_EENS0_5tupleIJSF_S6_EEENSO_IJSG_SG_EEES6_PlJS6_EEE10hipError_tPvRmT3_T4_T5_T6_T7_T9_mT8_P12ihipStream_tbDpT10_ENKUlT_T0_E_clISt17integral_constantIbLb1EES1B_EEDaS16_S17_EUlS16_E_NS1_11comp_targetILNS1_3genE0ELNS1_11target_archE4294967295ELNS1_3gpuE0ELNS1_3repE0EEENS1_30default_config_static_selectorELNS0_4arch9wavefront6targetE0EEEvT1_.num_agpr, 0
	.set _ZN7rocprim17ROCPRIM_400000_NS6detail17trampoline_kernelINS0_14default_configENS1_25partition_config_selectorILNS1_17partition_subalgoE5EyNS0_10empty_typeEbEEZZNS1_14partition_implILS5_5ELb0ES3_mN6thrust23THRUST_200600_302600_NS6detail15normal_iteratorINSA_10device_ptrIyEEEEPS6_NSA_18transform_iteratorINSB_9not_fun_tI7is_trueIyEEESF_NSA_11use_defaultESM_EENS0_5tupleIJSF_S6_EEENSO_IJSG_SG_EEES6_PlJS6_EEE10hipError_tPvRmT3_T4_T5_T6_T7_T9_mT8_P12ihipStream_tbDpT10_ENKUlT_T0_E_clISt17integral_constantIbLb1EES1B_EEDaS16_S17_EUlS16_E_NS1_11comp_targetILNS1_3genE0ELNS1_11target_archE4294967295ELNS1_3gpuE0ELNS1_3repE0EEENS1_30default_config_static_selectorELNS0_4arch9wavefront6targetE0EEEvT1_.numbered_sgpr, 0
	.set _ZN7rocprim17ROCPRIM_400000_NS6detail17trampoline_kernelINS0_14default_configENS1_25partition_config_selectorILNS1_17partition_subalgoE5EyNS0_10empty_typeEbEEZZNS1_14partition_implILS5_5ELb0ES3_mN6thrust23THRUST_200600_302600_NS6detail15normal_iteratorINSA_10device_ptrIyEEEEPS6_NSA_18transform_iteratorINSB_9not_fun_tI7is_trueIyEEESF_NSA_11use_defaultESM_EENS0_5tupleIJSF_S6_EEENSO_IJSG_SG_EEES6_PlJS6_EEE10hipError_tPvRmT3_T4_T5_T6_T7_T9_mT8_P12ihipStream_tbDpT10_ENKUlT_T0_E_clISt17integral_constantIbLb1EES1B_EEDaS16_S17_EUlS16_E_NS1_11comp_targetILNS1_3genE0ELNS1_11target_archE4294967295ELNS1_3gpuE0ELNS1_3repE0EEENS1_30default_config_static_selectorELNS0_4arch9wavefront6targetE0EEEvT1_.num_named_barrier, 0
	.set _ZN7rocprim17ROCPRIM_400000_NS6detail17trampoline_kernelINS0_14default_configENS1_25partition_config_selectorILNS1_17partition_subalgoE5EyNS0_10empty_typeEbEEZZNS1_14partition_implILS5_5ELb0ES3_mN6thrust23THRUST_200600_302600_NS6detail15normal_iteratorINSA_10device_ptrIyEEEEPS6_NSA_18transform_iteratorINSB_9not_fun_tI7is_trueIyEEESF_NSA_11use_defaultESM_EENS0_5tupleIJSF_S6_EEENSO_IJSG_SG_EEES6_PlJS6_EEE10hipError_tPvRmT3_T4_T5_T6_T7_T9_mT8_P12ihipStream_tbDpT10_ENKUlT_T0_E_clISt17integral_constantIbLb1EES1B_EEDaS16_S17_EUlS16_E_NS1_11comp_targetILNS1_3genE0ELNS1_11target_archE4294967295ELNS1_3gpuE0ELNS1_3repE0EEENS1_30default_config_static_selectorELNS0_4arch9wavefront6targetE0EEEvT1_.private_seg_size, 0
	.set _ZN7rocprim17ROCPRIM_400000_NS6detail17trampoline_kernelINS0_14default_configENS1_25partition_config_selectorILNS1_17partition_subalgoE5EyNS0_10empty_typeEbEEZZNS1_14partition_implILS5_5ELb0ES3_mN6thrust23THRUST_200600_302600_NS6detail15normal_iteratorINSA_10device_ptrIyEEEEPS6_NSA_18transform_iteratorINSB_9not_fun_tI7is_trueIyEEESF_NSA_11use_defaultESM_EENS0_5tupleIJSF_S6_EEENSO_IJSG_SG_EEES6_PlJS6_EEE10hipError_tPvRmT3_T4_T5_T6_T7_T9_mT8_P12ihipStream_tbDpT10_ENKUlT_T0_E_clISt17integral_constantIbLb1EES1B_EEDaS16_S17_EUlS16_E_NS1_11comp_targetILNS1_3genE0ELNS1_11target_archE4294967295ELNS1_3gpuE0ELNS1_3repE0EEENS1_30default_config_static_selectorELNS0_4arch9wavefront6targetE0EEEvT1_.uses_vcc, 0
	.set _ZN7rocprim17ROCPRIM_400000_NS6detail17trampoline_kernelINS0_14default_configENS1_25partition_config_selectorILNS1_17partition_subalgoE5EyNS0_10empty_typeEbEEZZNS1_14partition_implILS5_5ELb0ES3_mN6thrust23THRUST_200600_302600_NS6detail15normal_iteratorINSA_10device_ptrIyEEEEPS6_NSA_18transform_iteratorINSB_9not_fun_tI7is_trueIyEEESF_NSA_11use_defaultESM_EENS0_5tupleIJSF_S6_EEENSO_IJSG_SG_EEES6_PlJS6_EEE10hipError_tPvRmT3_T4_T5_T6_T7_T9_mT8_P12ihipStream_tbDpT10_ENKUlT_T0_E_clISt17integral_constantIbLb1EES1B_EEDaS16_S17_EUlS16_E_NS1_11comp_targetILNS1_3genE0ELNS1_11target_archE4294967295ELNS1_3gpuE0ELNS1_3repE0EEENS1_30default_config_static_selectorELNS0_4arch9wavefront6targetE0EEEvT1_.uses_flat_scratch, 0
	.set _ZN7rocprim17ROCPRIM_400000_NS6detail17trampoline_kernelINS0_14default_configENS1_25partition_config_selectorILNS1_17partition_subalgoE5EyNS0_10empty_typeEbEEZZNS1_14partition_implILS5_5ELb0ES3_mN6thrust23THRUST_200600_302600_NS6detail15normal_iteratorINSA_10device_ptrIyEEEEPS6_NSA_18transform_iteratorINSB_9not_fun_tI7is_trueIyEEESF_NSA_11use_defaultESM_EENS0_5tupleIJSF_S6_EEENSO_IJSG_SG_EEES6_PlJS6_EEE10hipError_tPvRmT3_T4_T5_T6_T7_T9_mT8_P12ihipStream_tbDpT10_ENKUlT_T0_E_clISt17integral_constantIbLb1EES1B_EEDaS16_S17_EUlS16_E_NS1_11comp_targetILNS1_3genE0ELNS1_11target_archE4294967295ELNS1_3gpuE0ELNS1_3repE0EEENS1_30default_config_static_selectorELNS0_4arch9wavefront6targetE0EEEvT1_.has_dyn_sized_stack, 0
	.set _ZN7rocprim17ROCPRIM_400000_NS6detail17trampoline_kernelINS0_14default_configENS1_25partition_config_selectorILNS1_17partition_subalgoE5EyNS0_10empty_typeEbEEZZNS1_14partition_implILS5_5ELb0ES3_mN6thrust23THRUST_200600_302600_NS6detail15normal_iteratorINSA_10device_ptrIyEEEEPS6_NSA_18transform_iteratorINSB_9not_fun_tI7is_trueIyEEESF_NSA_11use_defaultESM_EENS0_5tupleIJSF_S6_EEENSO_IJSG_SG_EEES6_PlJS6_EEE10hipError_tPvRmT3_T4_T5_T6_T7_T9_mT8_P12ihipStream_tbDpT10_ENKUlT_T0_E_clISt17integral_constantIbLb1EES1B_EEDaS16_S17_EUlS16_E_NS1_11comp_targetILNS1_3genE0ELNS1_11target_archE4294967295ELNS1_3gpuE0ELNS1_3repE0EEENS1_30default_config_static_selectorELNS0_4arch9wavefront6targetE0EEEvT1_.has_recursion, 0
	.set _ZN7rocprim17ROCPRIM_400000_NS6detail17trampoline_kernelINS0_14default_configENS1_25partition_config_selectorILNS1_17partition_subalgoE5EyNS0_10empty_typeEbEEZZNS1_14partition_implILS5_5ELb0ES3_mN6thrust23THRUST_200600_302600_NS6detail15normal_iteratorINSA_10device_ptrIyEEEEPS6_NSA_18transform_iteratorINSB_9not_fun_tI7is_trueIyEEESF_NSA_11use_defaultESM_EENS0_5tupleIJSF_S6_EEENSO_IJSG_SG_EEES6_PlJS6_EEE10hipError_tPvRmT3_T4_T5_T6_T7_T9_mT8_P12ihipStream_tbDpT10_ENKUlT_T0_E_clISt17integral_constantIbLb1EES1B_EEDaS16_S17_EUlS16_E_NS1_11comp_targetILNS1_3genE0ELNS1_11target_archE4294967295ELNS1_3gpuE0ELNS1_3repE0EEENS1_30default_config_static_selectorELNS0_4arch9wavefront6targetE0EEEvT1_.has_indirect_call, 0
	.section	.AMDGPU.csdata,"",@progbits
; Kernel info:
; codeLenInByte = 0
; TotalNumSgprs: 0
; NumVgprs: 0
; ScratchSize: 0
; MemoryBound: 0
; FloatMode: 240
; IeeeMode: 1
; LDSByteSize: 0 bytes/workgroup (compile time only)
; SGPRBlocks: 0
; VGPRBlocks: 0
; NumSGPRsForWavesPerEU: 1
; NumVGPRsForWavesPerEU: 1
; Occupancy: 16
; WaveLimiterHint : 0
; COMPUTE_PGM_RSRC2:SCRATCH_EN: 0
; COMPUTE_PGM_RSRC2:USER_SGPR: 2
; COMPUTE_PGM_RSRC2:TRAP_HANDLER: 0
; COMPUTE_PGM_RSRC2:TGID_X_EN: 1
; COMPUTE_PGM_RSRC2:TGID_Y_EN: 0
; COMPUTE_PGM_RSRC2:TGID_Z_EN: 0
; COMPUTE_PGM_RSRC2:TIDIG_COMP_CNT: 0
	.section	.text._ZN7rocprim17ROCPRIM_400000_NS6detail17trampoline_kernelINS0_14default_configENS1_25partition_config_selectorILNS1_17partition_subalgoE5EyNS0_10empty_typeEbEEZZNS1_14partition_implILS5_5ELb0ES3_mN6thrust23THRUST_200600_302600_NS6detail15normal_iteratorINSA_10device_ptrIyEEEEPS6_NSA_18transform_iteratorINSB_9not_fun_tI7is_trueIyEEESF_NSA_11use_defaultESM_EENS0_5tupleIJSF_S6_EEENSO_IJSG_SG_EEES6_PlJS6_EEE10hipError_tPvRmT3_T4_T5_T6_T7_T9_mT8_P12ihipStream_tbDpT10_ENKUlT_T0_E_clISt17integral_constantIbLb1EES1B_EEDaS16_S17_EUlS16_E_NS1_11comp_targetILNS1_3genE5ELNS1_11target_archE942ELNS1_3gpuE9ELNS1_3repE0EEENS1_30default_config_static_selectorELNS0_4arch9wavefront6targetE0EEEvT1_,"axG",@progbits,_ZN7rocprim17ROCPRIM_400000_NS6detail17trampoline_kernelINS0_14default_configENS1_25partition_config_selectorILNS1_17partition_subalgoE5EyNS0_10empty_typeEbEEZZNS1_14partition_implILS5_5ELb0ES3_mN6thrust23THRUST_200600_302600_NS6detail15normal_iteratorINSA_10device_ptrIyEEEEPS6_NSA_18transform_iteratorINSB_9not_fun_tI7is_trueIyEEESF_NSA_11use_defaultESM_EENS0_5tupleIJSF_S6_EEENSO_IJSG_SG_EEES6_PlJS6_EEE10hipError_tPvRmT3_T4_T5_T6_T7_T9_mT8_P12ihipStream_tbDpT10_ENKUlT_T0_E_clISt17integral_constantIbLb1EES1B_EEDaS16_S17_EUlS16_E_NS1_11comp_targetILNS1_3genE5ELNS1_11target_archE942ELNS1_3gpuE9ELNS1_3repE0EEENS1_30default_config_static_selectorELNS0_4arch9wavefront6targetE0EEEvT1_,comdat
	.protected	_ZN7rocprim17ROCPRIM_400000_NS6detail17trampoline_kernelINS0_14default_configENS1_25partition_config_selectorILNS1_17partition_subalgoE5EyNS0_10empty_typeEbEEZZNS1_14partition_implILS5_5ELb0ES3_mN6thrust23THRUST_200600_302600_NS6detail15normal_iteratorINSA_10device_ptrIyEEEEPS6_NSA_18transform_iteratorINSB_9not_fun_tI7is_trueIyEEESF_NSA_11use_defaultESM_EENS0_5tupleIJSF_S6_EEENSO_IJSG_SG_EEES6_PlJS6_EEE10hipError_tPvRmT3_T4_T5_T6_T7_T9_mT8_P12ihipStream_tbDpT10_ENKUlT_T0_E_clISt17integral_constantIbLb1EES1B_EEDaS16_S17_EUlS16_E_NS1_11comp_targetILNS1_3genE5ELNS1_11target_archE942ELNS1_3gpuE9ELNS1_3repE0EEENS1_30default_config_static_selectorELNS0_4arch9wavefront6targetE0EEEvT1_ ; -- Begin function _ZN7rocprim17ROCPRIM_400000_NS6detail17trampoline_kernelINS0_14default_configENS1_25partition_config_selectorILNS1_17partition_subalgoE5EyNS0_10empty_typeEbEEZZNS1_14partition_implILS5_5ELb0ES3_mN6thrust23THRUST_200600_302600_NS6detail15normal_iteratorINSA_10device_ptrIyEEEEPS6_NSA_18transform_iteratorINSB_9not_fun_tI7is_trueIyEEESF_NSA_11use_defaultESM_EENS0_5tupleIJSF_S6_EEENSO_IJSG_SG_EEES6_PlJS6_EEE10hipError_tPvRmT3_T4_T5_T6_T7_T9_mT8_P12ihipStream_tbDpT10_ENKUlT_T0_E_clISt17integral_constantIbLb1EES1B_EEDaS16_S17_EUlS16_E_NS1_11comp_targetILNS1_3genE5ELNS1_11target_archE942ELNS1_3gpuE9ELNS1_3repE0EEENS1_30default_config_static_selectorELNS0_4arch9wavefront6targetE0EEEvT1_
	.globl	_ZN7rocprim17ROCPRIM_400000_NS6detail17trampoline_kernelINS0_14default_configENS1_25partition_config_selectorILNS1_17partition_subalgoE5EyNS0_10empty_typeEbEEZZNS1_14partition_implILS5_5ELb0ES3_mN6thrust23THRUST_200600_302600_NS6detail15normal_iteratorINSA_10device_ptrIyEEEEPS6_NSA_18transform_iteratorINSB_9not_fun_tI7is_trueIyEEESF_NSA_11use_defaultESM_EENS0_5tupleIJSF_S6_EEENSO_IJSG_SG_EEES6_PlJS6_EEE10hipError_tPvRmT3_T4_T5_T6_T7_T9_mT8_P12ihipStream_tbDpT10_ENKUlT_T0_E_clISt17integral_constantIbLb1EES1B_EEDaS16_S17_EUlS16_E_NS1_11comp_targetILNS1_3genE5ELNS1_11target_archE942ELNS1_3gpuE9ELNS1_3repE0EEENS1_30default_config_static_selectorELNS0_4arch9wavefront6targetE0EEEvT1_
	.p2align	8
	.type	_ZN7rocprim17ROCPRIM_400000_NS6detail17trampoline_kernelINS0_14default_configENS1_25partition_config_selectorILNS1_17partition_subalgoE5EyNS0_10empty_typeEbEEZZNS1_14partition_implILS5_5ELb0ES3_mN6thrust23THRUST_200600_302600_NS6detail15normal_iteratorINSA_10device_ptrIyEEEEPS6_NSA_18transform_iteratorINSB_9not_fun_tI7is_trueIyEEESF_NSA_11use_defaultESM_EENS0_5tupleIJSF_S6_EEENSO_IJSG_SG_EEES6_PlJS6_EEE10hipError_tPvRmT3_T4_T5_T6_T7_T9_mT8_P12ihipStream_tbDpT10_ENKUlT_T0_E_clISt17integral_constantIbLb1EES1B_EEDaS16_S17_EUlS16_E_NS1_11comp_targetILNS1_3genE5ELNS1_11target_archE942ELNS1_3gpuE9ELNS1_3repE0EEENS1_30default_config_static_selectorELNS0_4arch9wavefront6targetE0EEEvT1_,@function
_ZN7rocprim17ROCPRIM_400000_NS6detail17trampoline_kernelINS0_14default_configENS1_25partition_config_selectorILNS1_17partition_subalgoE5EyNS0_10empty_typeEbEEZZNS1_14partition_implILS5_5ELb0ES3_mN6thrust23THRUST_200600_302600_NS6detail15normal_iteratorINSA_10device_ptrIyEEEEPS6_NSA_18transform_iteratorINSB_9not_fun_tI7is_trueIyEEESF_NSA_11use_defaultESM_EENS0_5tupleIJSF_S6_EEENSO_IJSG_SG_EEES6_PlJS6_EEE10hipError_tPvRmT3_T4_T5_T6_T7_T9_mT8_P12ihipStream_tbDpT10_ENKUlT_T0_E_clISt17integral_constantIbLb1EES1B_EEDaS16_S17_EUlS16_E_NS1_11comp_targetILNS1_3genE5ELNS1_11target_archE942ELNS1_3gpuE9ELNS1_3repE0EEENS1_30default_config_static_selectorELNS0_4arch9wavefront6targetE0EEEvT1_: ; @_ZN7rocprim17ROCPRIM_400000_NS6detail17trampoline_kernelINS0_14default_configENS1_25partition_config_selectorILNS1_17partition_subalgoE5EyNS0_10empty_typeEbEEZZNS1_14partition_implILS5_5ELb0ES3_mN6thrust23THRUST_200600_302600_NS6detail15normal_iteratorINSA_10device_ptrIyEEEEPS6_NSA_18transform_iteratorINSB_9not_fun_tI7is_trueIyEEESF_NSA_11use_defaultESM_EENS0_5tupleIJSF_S6_EEENSO_IJSG_SG_EEES6_PlJS6_EEE10hipError_tPvRmT3_T4_T5_T6_T7_T9_mT8_P12ihipStream_tbDpT10_ENKUlT_T0_E_clISt17integral_constantIbLb1EES1B_EEDaS16_S17_EUlS16_E_NS1_11comp_targetILNS1_3genE5ELNS1_11target_archE942ELNS1_3gpuE9ELNS1_3repE0EEENS1_30default_config_static_selectorELNS0_4arch9wavefront6targetE0EEEvT1_
; %bb.0:
	.section	.rodata,"a",@progbits
	.p2align	6, 0x0
	.amdhsa_kernel _ZN7rocprim17ROCPRIM_400000_NS6detail17trampoline_kernelINS0_14default_configENS1_25partition_config_selectorILNS1_17partition_subalgoE5EyNS0_10empty_typeEbEEZZNS1_14partition_implILS5_5ELb0ES3_mN6thrust23THRUST_200600_302600_NS6detail15normal_iteratorINSA_10device_ptrIyEEEEPS6_NSA_18transform_iteratorINSB_9not_fun_tI7is_trueIyEEESF_NSA_11use_defaultESM_EENS0_5tupleIJSF_S6_EEENSO_IJSG_SG_EEES6_PlJS6_EEE10hipError_tPvRmT3_T4_T5_T6_T7_T9_mT8_P12ihipStream_tbDpT10_ENKUlT_T0_E_clISt17integral_constantIbLb1EES1B_EEDaS16_S17_EUlS16_E_NS1_11comp_targetILNS1_3genE5ELNS1_11target_archE942ELNS1_3gpuE9ELNS1_3repE0EEENS1_30default_config_static_selectorELNS0_4arch9wavefront6targetE0EEEvT1_
		.amdhsa_group_segment_fixed_size 0
		.amdhsa_private_segment_fixed_size 0
		.amdhsa_kernarg_size 136
		.amdhsa_user_sgpr_count 2
		.amdhsa_user_sgpr_dispatch_ptr 0
		.amdhsa_user_sgpr_queue_ptr 0
		.amdhsa_user_sgpr_kernarg_segment_ptr 1
		.amdhsa_user_sgpr_dispatch_id 0
		.amdhsa_user_sgpr_private_segment_size 0
		.amdhsa_wavefront_size32 1
		.amdhsa_uses_dynamic_stack 0
		.amdhsa_enable_private_segment 0
		.amdhsa_system_sgpr_workgroup_id_x 1
		.amdhsa_system_sgpr_workgroup_id_y 0
		.amdhsa_system_sgpr_workgroup_id_z 0
		.amdhsa_system_sgpr_workgroup_info 0
		.amdhsa_system_vgpr_workitem_id 0
		.amdhsa_next_free_vgpr 1
		.amdhsa_next_free_sgpr 1
		.amdhsa_reserve_vcc 0
		.amdhsa_float_round_mode_32 0
		.amdhsa_float_round_mode_16_64 0
		.amdhsa_float_denorm_mode_32 3
		.amdhsa_float_denorm_mode_16_64 3
		.amdhsa_fp16_overflow 0
		.amdhsa_workgroup_processor_mode 1
		.amdhsa_memory_ordered 1
		.amdhsa_forward_progress 1
		.amdhsa_inst_pref_size 0
		.amdhsa_round_robin_scheduling 0
		.amdhsa_exception_fp_ieee_invalid_op 0
		.amdhsa_exception_fp_denorm_src 0
		.amdhsa_exception_fp_ieee_div_zero 0
		.amdhsa_exception_fp_ieee_overflow 0
		.amdhsa_exception_fp_ieee_underflow 0
		.amdhsa_exception_fp_ieee_inexact 0
		.amdhsa_exception_int_div_zero 0
	.end_amdhsa_kernel
	.section	.text._ZN7rocprim17ROCPRIM_400000_NS6detail17trampoline_kernelINS0_14default_configENS1_25partition_config_selectorILNS1_17partition_subalgoE5EyNS0_10empty_typeEbEEZZNS1_14partition_implILS5_5ELb0ES3_mN6thrust23THRUST_200600_302600_NS6detail15normal_iteratorINSA_10device_ptrIyEEEEPS6_NSA_18transform_iteratorINSB_9not_fun_tI7is_trueIyEEESF_NSA_11use_defaultESM_EENS0_5tupleIJSF_S6_EEENSO_IJSG_SG_EEES6_PlJS6_EEE10hipError_tPvRmT3_T4_T5_T6_T7_T9_mT8_P12ihipStream_tbDpT10_ENKUlT_T0_E_clISt17integral_constantIbLb1EES1B_EEDaS16_S17_EUlS16_E_NS1_11comp_targetILNS1_3genE5ELNS1_11target_archE942ELNS1_3gpuE9ELNS1_3repE0EEENS1_30default_config_static_selectorELNS0_4arch9wavefront6targetE0EEEvT1_,"axG",@progbits,_ZN7rocprim17ROCPRIM_400000_NS6detail17trampoline_kernelINS0_14default_configENS1_25partition_config_selectorILNS1_17partition_subalgoE5EyNS0_10empty_typeEbEEZZNS1_14partition_implILS5_5ELb0ES3_mN6thrust23THRUST_200600_302600_NS6detail15normal_iteratorINSA_10device_ptrIyEEEEPS6_NSA_18transform_iteratorINSB_9not_fun_tI7is_trueIyEEESF_NSA_11use_defaultESM_EENS0_5tupleIJSF_S6_EEENSO_IJSG_SG_EEES6_PlJS6_EEE10hipError_tPvRmT3_T4_T5_T6_T7_T9_mT8_P12ihipStream_tbDpT10_ENKUlT_T0_E_clISt17integral_constantIbLb1EES1B_EEDaS16_S17_EUlS16_E_NS1_11comp_targetILNS1_3genE5ELNS1_11target_archE942ELNS1_3gpuE9ELNS1_3repE0EEENS1_30default_config_static_selectorELNS0_4arch9wavefront6targetE0EEEvT1_,comdat
.Lfunc_end1377:
	.size	_ZN7rocprim17ROCPRIM_400000_NS6detail17trampoline_kernelINS0_14default_configENS1_25partition_config_selectorILNS1_17partition_subalgoE5EyNS0_10empty_typeEbEEZZNS1_14partition_implILS5_5ELb0ES3_mN6thrust23THRUST_200600_302600_NS6detail15normal_iteratorINSA_10device_ptrIyEEEEPS6_NSA_18transform_iteratorINSB_9not_fun_tI7is_trueIyEEESF_NSA_11use_defaultESM_EENS0_5tupleIJSF_S6_EEENSO_IJSG_SG_EEES6_PlJS6_EEE10hipError_tPvRmT3_T4_T5_T6_T7_T9_mT8_P12ihipStream_tbDpT10_ENKUlT_T0_E_clISt17integral_constantIbLb1EES1B_EEDaS16_S17_EUlS16_E_NS1_11comp_targetILNS1_3genE5ELNS1_11target_archE942ELNS1_3gpuE9ELNS1_3repE0EEENS1_30default_config_static_selectorELNS0_4arch9wavefront6targetE0EEEvT1_, .Lfunc_end1377-_ZN7rocprim17ROCPRIM_400000_NS6detail17trampoline_kernelINS0_14default_configENS1_25partition_config_selectorILNS1_17partition_subalgoE5EyNS0_10empty_typeEbEEZZNS1_14partition_implILS5_5ELb0ES3_mN6thrust23THRUST_200600_302600_NS6detail15normal_iteratorINSA_10device_ptrIyEEEEPS6_NSA_18transform_iteratorINSB_9not_fun_tI7is_trueIyEEESF_NSA_11use_defaultESM_EENS0_5tupleIJSF_S6_EEENSO_IJSG_SG_EEES6_PlJS6_EEE10hipError_tPvRmT3_T4_T5_T6_T7_T9_mT8_P12ihipStream_tbDpT10_ENKUlT_T0_E_clISt17integral_constantIbLb1EES1B_EEDaS16_S17_EUlS16_E_NS1_11comp_targetILNS1_3genE5ELNS1_11target_archE942ELNS1_3gpuE9ELNS1_3repE0EEENS1_30default_config_static_selectorELNS0_4arch9wavefront6targetE0EEEvT1_
                                        ; -- End function
	.set _ZN7rocprim17ROCPRIM_400000_NS6detail17trampoline_kernelINS0_14default_configENS1_25partition_config_selectorILNS1_17partition_subalgoE5EyNS0_10empty_typeEbEEZZNS1_14partition_implILS5_5ELb0ES3_mN6thrust23THRUST_200600_302600_NS6detail15normal_iteratorINSA_10device_ptrIyEEEEPS6_NSA_18transform_iteratorINSB_9not_fun_tI7is_trueIyEEESF_NSA_11use_defaultESM_EENS0_5tupleIJSF_S6_EEENSO_IJSG_SG_EEES6_PlJS6_EEE10hipError_tPvRmT3_T4_T5_T6_T7_T9_mT8_P12ihipStream_tbDpT10_ENKUlT_T0_E_clISt17integral_constantIbLb1EES1B_EEDaS16_S17_EUlS16_E_NS1_11comp_targetILNS1_3genE5ELNS1_11target_archE942ELNS1_3gpuE9ELNS1_3repE0EEENS1_30default_config_static_selectorELNS0_4arch9wavefront6targetE0EEEvT1_.num_vgpr, 0
	.set _ZN7rocprim17ROCPRIM_400000_NS6detail17trampoline_kernelINS0_14default_configENS1_25partition_config_selectorILNS1_17partition_subalgoE5EyNS0_10empty_typeEbEEZZNS1_14partition_implILS5_5ELb0ES3_mN6thrust23THRUST_200600_302600_NS6detail15normal_iteratorINSA_10device_ptrIyEEEEPS6_NSA_18transform_iteratorINSB_9not_fun_tI7is_trueIyEEESF_NSA_11use_defaultESM_EENS0_5tupleIJSF_S6_EEENSO_IJSG_SG_EEES6_PlJS6_EEE10hipError_tPvRmT3_T4_T5_T6_T7_T9_mT8_P12ihipStream_tbDpT10_ENKUlT_T0_E_clISt17integral_constantIbLb1EES1B_EEDaS16_S17_EUlS16_E_NS1_11comp_targetILNS1_3genE5ELNS1_11target_archE942ELNS1_3gpuE9ELNS1_3repE0EEENS1_30default_config_static_selectorELNS0_4arch9wavefront6targetE0EEEvT1_.num_agpr, 0
	.set _ZN7rocprim17ROCPRIM_400000_NS6detail17trampoline_kernelINS0_14default_configENS1_25partition_config_selectorILNS1_17partition_subalgoE5EyNS0_10empty_typeEbEEZZNS1_14partition_implILS5_5ELb0ES3_mN6thrust23THRUST_200600_302600_NS6detail15normal_iteratorINSA_10device_ptrIyEEEEPS6_NSA_18transform_iteratorINSB_9not_fun_tI7is_trueIyEEESF_NSA_11use_defaultESM_EENS0_5tupleIJSF_S6_EEENSO_IJSG_SG_EEES6_PlJS6_EEE10hipError_tPvRmT3_T4_T5_T6_T7_T9_mT8_P12ihipStream_tbDpT10_ENKUlT_T0_E_clISt17integral_constantIbLb1EES1B_EEDaS16_S17_EUlS16_E_NS1_11comp_targetILNS1_3genE5ELNS1_11target_archE942ELNS1_3gpuE9ELNS1_3repE0EEENS1_30default_config_static_selectorELNS0_4arch9wavefront6targetE0EEEvT1_.numbered_sgpr, 0
	.set _ZN7rocprim17ROCPRIM_400000_NS6detail17trampoline_kernelINS0_14default_configENS1_25partition_config_selectorILNS1_17partition_subalgoE5EyNS0_10empty_typeEbEEZZNS1_14partition_implILS5_5ELb0ES3_mN6thrust23THRUST_200600_302600_NS6detail15normal_iteratorINSA_10device_ptrIyEEEEPS6_NSA_18transform_iteratorINSB_9not_fun_tI7is_trueIyEEESF_NSA_11use_defaultESM_EENS0_5tupleIJSF_S6_EEENSO_IJSG_SG_EEES6_PlJS6_EEE10hipError_tPvRmT3_T4_T5_T6_T7_T9_mT8_P12ihipStream_tbDpT10_ENKUlT_T0_E_clISt17integral_constantIbLb1EES1B_EEDaS16_S17_EUlS16_E_NS1_11comp_targetILNS1_3genE5ELNS1_11target_archE942ELNS1_3gpuE9ELNS1_3repE0EEENS1_30default_config_static_selectorELNS0_4arch9wavefront6targetE0EEEvT1_.num_named_barrier, 0
	.set _ZN7rocprim17ROCPRIM_400000_NS6detail17trampoline_kernelINS0_14default_configENS1_25partition_config_selectorILNS1_17partition_subalgoE5EyNS0_10empty_typeEbEEZZNS1_14partition_implILS5_5ELb0ES3_mN6thrust23THRUST_200600_302600_NS6detail15normal_iteratorINSA_10device_ptrIyEEEEPS6_NSA_18transform_iteratorINSB_9not_fun_tI7is_trueIyEEESF_NSA_11use_defaultESM_EENS0_5tupleIJSF_S6_EEENSO_IJSG_SG_EEES6_PlJS6_EEE10hipError_tPvRmT3_T4_T5_T6_T7_T9_mT8_P12ihipStream_tbDpT10_ENKUlT_T0_E_clISt17integral_constantIbLb1EES1B_EEDaS16_S17_EUlS16_E_NS1_11comp_targetILNS1_3genE5ELNS1_11target_archE942ELNS1_3gpuE9ELNS1_3repE0EEENS1_30default_config_static_selectorELNS0_4arch9wavefront6targetE0EEEvT1_.private_seg_size, 0
	.set _ZN7rocprim17ROCPRIM_400000_NS6detail17trampoline_kernelINS0_14default_configENS1_25partition_config_selectorILNS1_17partition_subalgoE5EyNS0_10empty_typeEbEEZZNS1_14partition_implILS5_5ELb0ES3_mN6thrust23THRUST_200600_302600_NS6detail15normal_iteratorINSA_10device_ptrIyEEEEPS6_NSA_18transform_iteratorINSB_9not_fun_tI7is_trueIyEEESF_NSA_11use_defaultESM_EENS0_5tupleIJSF_S6_EEENSO_IJSG_SG_EEES6_PlJS6_EEE10hipError_tPvRmT3_T4_T5_T6_T7_T9_mT8_P12ihipStream_tbDpT10_ENKUlT_T0_E_clISt17integral_constantIbLb1EES1B_EEDaS16_S17_EUlS16_E_NS1_11comp_targetILNS1_3genE5ELNS1_11target_archE942ELNS1_3gpuE9ELNS1_3repE0EEENS1_30default_config_static_selectorELNS0_4arch9wavefront6targetE0EEEvT1_.uses_vcc, 0
	.set _ZN7rocprim17ROCPRIM_400000_NS6detail17trampoline_kernelINS0_14default_configENS1_25partition_config_selectorILNS1_17partition_subalgoE5EyNS0_10empty_typeEbEEZZNS1_14partition_implILS5_5ELb0ES3_mN6thrust23THRUST_200600_302600_NS6detail15normal_iteratorINSA_10device_ptrIyEEEEPS6_NSA_18transform_iteratorINSB_9not_fun_tI7is_trueIyEEESF_NSA_11use_defaultESM_EENS0_5tupleIJSF_S6_EEENSO_IJSG_SG_EEES6_PlJS6_EEE10hipError_tPvRmT3_T4_T5_T6_T7_T9_mT8_P12ihipStream_tbDpT10_ENKUlT_T0_E_clISt17integral_constantIbLb1EES1B_EEDaS16_S17_EUlS16_E_NS1_11comp_targetILNS1_3genE5ELNS1_11target_archE942ELNS1_3gpuE9ELNS1_3repE0EEENS1_30default_config_static_selectorELNS0_4arch9wavefront6targetE0EEEvT1_.uses_flat_scratch, 0
	.set _ZN7rocprim17ROCPRIM_400000_NS6detail17trampoline_kernelINS0_14default_configENS1_25partition_config_selectorILNS1_17partition_subalgoE5EyNS0_10empty_typeEbEEZZNS1_14partition_implILS5_5ELb0ES3_mN6thrust23THRUST_200600_302600_NS6detail15normal_iteratorINSA_10device_ptrIyEEEEPS6_NSA_18transform_iteratorINSB_9not_fun_tI7is_trueIyEEESF_NSA_11use_defaultESM_EENS0_5tupleIJSF_S6_EEENSO_IJSG_SG_EEES6_PlJS6_EEE10hipError_tPvRmT3_T4_T5_T6_T7_T9_mT8_P12ihipStream_tbDpT10_ENKUlT_T0_E_clISt17integral_constantIbLb1EES1B_EEDaS16_S17_EUlS16_E_NS1_11comp_targetILNS1_3genE5ELNS1_11target_archE942ELNS1_3gpuE9ELNS1_3repE0EEENS1_30default_config_static_selectorELNS0_4arch9wavefront6targetE0EEEvT1_.has_dyn_sized_stack, 0
	.set _ZN7rocprim17ROCPRIM_400000_NS6detail17trampoline_kernelINS0_14default_configENS1_25partition_config_selectorILNS1_17partition_subalgoE5EyNS0_10empty_typeEbEEZZNS1_14partition_implILS5_5ELb0ES3_mN6thrust23THRUST_200600_302600_NS6detail15normal_iteratorINSA_10device_ptrIyEEEEPS6_NSA_18transform_iteratorINSB_9not_fun_tI7is_trueIyEEESF_NSA_11use_defaultESM_EENS0_5tupleIJSF_S6_EEENSO_IJSG_SG_EEES6_PlJS6_EEE10hipError_tPvRmT3_T4_T5_T6_T7_T9_mT8_P12ihipStream_tbDpT10_ENKUlT_T0_E_clISt17integral_constantIbLb1EES1B_EEDaS16_S17_EUlS16_E_NS1_11comp_targetILNS1_3genE5ELNS1_11target_archE942ELNS1_3gpuE9ELNS1_3repE0EEENS1_30default_config_static_selectorELNS0_4arch9wavefront6targetE0EEEvT1_.has_recursion, 0
	.set _ZN7rocprim17ROCPRIM_400000_NS6detail17trampoline_kernelINS0_14default_configENS1_25partition_config_selectorILNS1_17partition_subalgoE5EyNS0_10empty_typeEbEEZZNS1_14partition_implILS5_5ELb0ES3_mN6thrust23THRUST_200600_302600_NS6detail15normal_iteratorINSA_10device_ptrIyEEEEPS6_NSA_18transform_iteratorINSB_9not_fun_tI7is_trueIyEEESF_NSA_11use_defaultESM_EENS0_5tupleIJSF_S6_EEENSO_IJSG_SG_EEES6_PlJS6_EEE10hipError_tPvRmT3_T4_T5_T6_T7_T9_mT8_P12ihipStream_tbDpT10_ENKUlT_T0_E_clISt17integral_constantIbLb1EES1B_EEDaS16_S17_EUlS16_E_NS1_11comp_targetILNS1_3genE5ELNS1_11target_archE942ELNS1_3gpuE9ELNS1_3repE0EEENS1_30default_config_static_selectorELNS0_4arch9wavefront6targetE0EEEvT1_.has_indirect_call, 0
	.section	.AMDGPU.csdata,"",@progbits
; Kernel info:
; codeLenInByte = 0
; TotalNumSgprs: 0
; NumVgprs: 0
; ScratchSize: 0
; MemoryBound: 0
; FloatMode: 240
; IeeeMode: 1
; LDSByteSize: 0 bytes/workgroup (compile time only)
; SGPRBlocks: 0
; VGPRBlocks: 0
; NumSGPRsForWavesPerEU: 1
; NumVGPRsForWavesPerEU: 1
; Occupancy: 16
; WaveLimiterHint : 0
; COMPUTE_PGM_RSRC2:SCRATCH_EN: 0
; COMPUTE_PGM_RSRC2:USER_SGPR: 2
; COMPUTE_PGM_RSRC2:TRAP_HANDLER: 0
; COMPUTE_PGM_RSRC2:TGID_X_EN: 1
; COMPUTE_PGM_RSRC2:TGID_Y_EN: 0
; COMPUTE_PGM_RSRC2:TGID_Z_EN: 0
; COMPUTE_PGM_RSRC2:TIDIG_COMP_CNT: 0
	.section	.text._ZN7rocprim17ROCPRIM_400000_NS6detail17trampoline_kernelINS0_14default_configENS1_25partition_config_selectorILNS1_17partition_subalgoE5EyNS0_10empty_typeEbEEZZNS1_14partition_implILS5_5ELb0ES3_mN6thrust23THRUST_200600_302600_NS6detail15normal_iteratorINSA_10device_ptrIyEEEEPS6_NSA_18transform_iteratorINSB_9not_fun_tI7is_trueIyEEESF_NSA_11use_defaultESM_EENS0_5tupleIJSF_S6_EEENSO_IJSG_SG_EEES6_PlJS6_EEE10hipError_tPvRmT3_T4_T5_T6_T7_T9_mT8_P12ihipStream_tbDpT10_ENKUlT_T0_E_clISt17integral_constantIbLb1EES1B_EEDaS16_S17_EUlS16_E_NS1_11comp_targetILNS1_3genE4ELNS1_11target_archE910ELNS1_3gpuE8ELNS1_3repE0EEENS1_30default_config_static_selectorELNS0_4arch9wavefront6targetE0EEEvT1_,"axG",@progbits,_ZN7rocprim17ROCPRIM_400000_NS6detail17trampoline_kernelINS0_14default_configENS1_25partition_config_selectorILNS1_17partition_subalgoE5EyNS0_10empty_typeEbEEZZNS1_14partition_implILS5_5ELb0ES3_mN6thrust23THRUST_200600_302600_NS6detail15normal_iteratorINSA_10device_ptrIyEEEEPS6_NSA_18transform_iteratorINSB_9not_fun_tI7is_trueIyEEESF_NSA_11use_defaultESM_EENS0_5tupleIJSF_S6_EEENSO_IJSG_SG_EEES6_PlJS6_EEE10hipError_tPvRmT3_T4_T5_T6_T7_T9_mT8_P12ihipStream_tbDpT10_ENKUlT_T0_E_clISt17integral_constantIbLb1EES1B_EEDaS16_S17_EUlS16_E_NS1_11comp_targetILNS1_3genE4ELNS1_11target_archE910ELNS1_3gpuE8ELNS1_3repE0EEENS1_30default_config_static_selectorELNS0_4arch9wavefront6targetE0EEEvT1_,comdat
	.protected	_ZN7rocprim17ROCPRIM_400000_NS6detail17trampoline_kernelINS0_14default_configENS1_25partition_config_selectorILNS1_17partition_subalgoE5EyNS0_10empty_typeEbEEZZNS1_14partition_implILS5_5ELb0ES3_mN6thrust23THRUST_200600_302600_NS6detail15normal_iteratorINSA_10device_ptrIyEEEEPS6_NSA_18transform_iteratorINSB_9not_fun_tI7is_trueIyEEESF_NSA_11use_defaultESM_EENS0_5tupleIJSF_S6_EEENSO_IJSG_SG_EEES6_PlJS6_EEE10hipError_tPvRmT3_T4_T5_T6_T7_T9_mT8_P12ihipStream_tbDpT10_ENKUlT_T0_E_clISt17integral_constantIbLb1EES1B_EEDaS16_S17_EUlS16_E_NS1_11comp_targetILNS1_3genE4ELNS1_11target_archE910ELNS1_3gpuE8ELNS1_3repE0EEENS1_30default_config_static_selectorELNS0_4arch9wavefront6targetE0EEEvT1_ ; -- Begin function _ZN7rocprim17ROCPRIM_400000_NS6detail17trampoline_kernelINS0_14default_configENS1_25partition_config_selectorILNS1_17partition_subalgoE5EyNS0_10empty_typeEbEEZZNS1_14partition_implILS5_5ELb0ES3_mN6thrust23THRUST_200600_302600_NS6detail15normal_iteratorINSA_10device_ptrIyEEEEPS6_NSA_18transform_iteratorINSB_9not_fun_tI7is_trueIyEEESF_NSA_11use_defaultESM_EENS0_5tupleIJSF_S6_EEENSO_IJSG_SG_EEES6_PlJS6_EEE10hipError_tPvRmT3_T4_T5_T6_T7_T9_mT8_P12ihipStream_tbDpT10_ENKUlT_T0_E_clISt17integral_constantIbLb1EES1B_EEDaS16_S17_EUlS16_E_NS1_11comp_targetILNS1_3genE4ELNS1_11target_archE910ELNS1_3gpuE8ELNS1_3repE0EEENS1_30default_config_static_selectorELNS0_4arch9wavefront6targetE0EEEvT1_
	.globl	_ZN7rocprim17ROCPRIM_400000_NS6detail17trampoline_kernelINS0_14default_configENS1_25partition_config_selectorILNS1_17partition_subalgoE5EyNS0_10empty_typeEbEEZZNS1_14partition_implILS5_5ELb0ES3_mN6thrust23THRUST_200600_302600_NS6detail15normal_iteratorINSA_10device_ptrIyEEEEPS6_NSA_18transform_iteratorINSB_9not_fun_tI7is_trueIyEEESF_NSA_11use_defaultESM_EENS0_5tupleIJSF_S6_EEENSO_IJSG_SG_EEES6_PlJS6_EEE10hipError_tPvRmT3_T4_T5_T6_T7_T9_mT8_P12ihipStream_tbDpT10_ENKUlT_T0_E_clISt17integral_constantIbLb1EES1B_EEDaS16_S17_EUlS16_E_NS1_11comp_targetILNS1_3genE4ELNS1_11target_archE910ELNS1_3gpuE8ELNS1_3repE0EEENS1_30default_config_static_selectorELNS0_4arch9wavefront6targetE0EEEvT1_
	.p2align	8
	.type	_ZN7rocprim17ROCPRIM_400000_NS6detail17trampoline_kernelINS0_14default_configENS1_25partition_config_selectorILNS1_17partition_subalgoE5EyNS0_10empty_typeEbEEZZNS1_14partition_implILS5_5ELb0ES3_mN6thrust23THRUST_200600_302600_NS6detail15normal_iteratorINSA_10device_ptrIyEEEEPS6_NSA_18transform_iteratorINSB_9not_fun_tI7is_trueIyEEESF_NSA_11use_defaultESM_EENS0_5tupleIJSF_S6_EEENSO_IJSG_SG_EEES6_PlJS6_EEE10hipError_tPvRmT3_T4_T5_T6_T7_T9_mT8_P12ihipStream_tbDpT10_ENKUlT_T0_E_clISt17integral_constantIbLb1EES1B_EEDaS16_S17_EUlS16_E_NS1_11comp_targetILNS1_3genE4ELNS1_11target_archE910ELNS1_3gpuE8ELNS1_3repE0EEENS1_30default_config_static_selectorELNS0_4arch9wavefront6targetE0EEEvT1_,@function
_ZN7rocprim17ROCPRIM_400000_NS6detail17trampoline_kernelINS0_14default_configENS1_25partition_config_selectorILNS1_17partition_subalgoE5EyNS0_10empty_typeEbEEZZNS1_14partition_implILS5_5ELb0ES3_mN6thrust23THRUST_200600_302600_NS6detail15normal_iteratorINSA_10device_ptrIyEEEEPS6_NSA_18transform_iteratorINSB_9not_fun_tI7is_trueIyEEESF_NSA_11use_defaultESM_EENS0_5tupleIJSF_S6_EEENSO_IJSG_SG_EEES6_PlJS6_EEE10hipError_tPvRmT3_T4_T5_T6_T7_T9_mT8_P12ihipStream_tbDpT10_ENKUlT_T0_E_clISt17integral_constantIbLb1EES1B_EEDaS16_S17_EUlS16_E_NS1_11comp_targetILNS1_3genE4ELNS1_11target_archE910ELNS1_3gpuE8ELNS1_3repE0EEENS1_30default_config_static_selectorELNS0_4arch9wavefront6targetE0EEEvT1_: ; @_ZN7rocprim17ROCPRIM_400000_NS6detail17trampoline_kernelINS0_14default_configENS1_25partition_config_selectorILNS1_17partition_subalgoE5EyNS0_10empty_typeEbEEZZNS1_14partition_implILS5_5ELb0ES3_mN6thrust23THRUST_200600_302600_NS6detail15normal_iteratorINSA_10device_ptrIyEEEEPS6_NSA_18transform_iteratorINSB_9not_fun_tI7is_trueIyEEESF_NSA_11use_defaultESM_EENS0_5tupleIJSF_S6_EEENSO_IJSG_SG_EEES6_PlJS6_EEE10hipError_tPvRmT3_T4_T5_T6_T7_T9_mT8_P12ihipStream_tbDpT10_ENKUlT_T0_E_clISt17integral_constantIbLb1EES1B_EEDaS16_S17_EUlS16_E_NS1_11comp_targetILNS1_3genE4ELNS1_11target_archE910ELNS1_3gpuE8ELNS1_3repE0EEENS1_30default_config_static_selectorELNS0_4arch9wavefront6targetE0EEEvT1_
; %bb.0:
	.section	.rodata,"a",@progbits
	.p2align	6, 0x0
	.amdhsa_kernel _ZN7rocprim17ROCPRIM_400000_NS6detail17trampoline_kernelINS0_14default_configENS1_25partition_config_selectorILNS1_17partition_subalgoE5EyNS0_10empty_typeEbEEZZNS1_14partition_implILS5_5ELb0ES3_mN6thrust23THRUST_200600_302600_NS6detail15normal_iteratorINSA_10device_ptrIyEEEEPS6_NSA_18transform_iteratorINSB_9not_fun_tI7is_trueIyEEESF_NSA_11use_defaultESM_EENS0_5tupleIJSF_S6_EEENSO_IJSG_SG_EEES6_PlJS6_EEE10hipError_tPvRmT3_T4_T5_T6_T7_T9_mT8_P12ihipStream_tbDpT10_ENKUlT_T0_E_clISt17integral_constantIbLb1EES1B_EEDaS16_S17_EUlS16_E_NS1_11comp_targetILNS1_3genE4ELNS1_11target_archE910ELNS1_3gpuE8ELNS1_3repE0EEENS1_30default_config_static_selectorELNS0_4arch9wavefront6targetE0EEEvT1_
		.amdhsa_group_segment_fixed_size 0
		.amdhsa_private_segment_fixed_size 0
		.amdhsa_kernarg_size 136
		.amdhsa_user_sgpr_count 2
		.amdhsa_user_sgpr_dispatch_ptr 0
		.amdhsa_user_sgpr_queue_ptr 0
		.amdhsa_user_sgpr_kernarg_segment_ptr 1
		.amdhsa_user_sgpr_dispatch_id 0
		.amdhsa_user_sgpr_private_segment_size 0
		.amdhsa_wavefront_size32 1
		.amdhsa_uses_dynamic_stack 0
		.amdhsa_enable_private_segment 0
		.amdhsa_system_sgpr_workgroup_id_x 1
		.amdhsa_system_sgpr_workgroup_id_y 0
		.amdhsa_system_sgpr_workgroup_id_z 0
		.amdhsa_system_sgpr_workgroup_info 0
		.amdhsa_system_vgpr_workitem_id 0
		.amdhsa_next_free_vgpr 1
		.amdhsa_next_free_sgpr 1
		.amdhsa_reserve_vcc 0
		.amdhsa_float_round_mode_32 0
		.amdhsa_float_round_mode_16_64 0
		.amdhsa_float_denorm_mode_32 3
		.amdhsa_float_denorm_mode_16_64 3
		.amdhsa_fp16_overflow 0
		.amdhsa_workgroup_processor_mode 1
		.amdhsa_memory_ordered 1
		.amdhsa_forward_progress 1
		.amdhsa_inst_pref_size 0
		.amdhsa_round_robin_scheduling 0
		.amdhsa_exception_fp_ieee_invalid_op 0
		.amdhsa_exception_fp_denorm_src 0
		.amdhsa_exception_fp_ieee_div_zero 0
		.amdhsa_exception_fp_ieee_overflow 0
		.amdhsa_exception_fp_ieee_underflow 0
		.amdhsa_exception_fp_ieee_inexact 0
		.amdhsa_exception_int_div_zero 0
	.end_amdhsa_kernel
	.section	.text._ZN7rocprim17ROCPRIM_400000_NS6detail17trampoline_kernelINS0_14default_configENS1_25partition_config_selectorILNS1_17partition_subalgoE5EyNS0_10empty_typeEbEEZZNS1_14partition_implILS5_5ELb0ES3_mN6thrust23THRUST_200600_302600_NS6detail15normal_iteratorINSA_10device_ptrIyEEEEPS6_NSA_18transform_iteratorINSB_9not_fun_tI7is_trueIyEEESF_NSA_11use_defaultESM_EENS0_5tupleIJSF_S6_EEENSO_IJSG_SG_EEES6_PlJS6_EEE10hipError_tPvRmT3_T4_T5_T6_T7_T9_mT8_P12ihipStream_tbDpT10_ENKUlT_T0_E_clISt17integral_constantIbLb1EES1B_EEDaS16_S17_EUlS16_E_NS1_11comp_targetILNS1_3genE4ELNS1_11target_archE910ELNS1_3gpuE8ELNS1_3repE0EEENS1_30default_config_static_selectorELNS0_4arch9wavefront6targetE0EEEvT1_,"axG",@progbits,_ZN7rocprim17ROCPRIM_400000_NS6detail17trampoline_kernelINS0_14default_configENS1_25partition_config_selectorILNS1_17partition_subalgoE5EyNS0_10empty_typeEbEEZZNS1_14partition_implILS5_5ELb0ES3_mN6thrust23THRUST_200600_302600_NS6detail15normal_iteratorINSA_10device_ptrIyEEEEPS6_NSA_18transform_iteratorINSB_9not_fun_tI7is_trueIyEEESF_NSA_11use_defaultESM_EENS0_5tupleIJSF_S6_EEENSO_IJSG_SG_EEES6_PlJS6_EEE10hipError_tPvRmT3_T4_T5_T6_T7_T9_mT8_P12ihipStream_tbDpT10_ENKUlT_T0_E_clISt17integral_constantIbLb1EES1B_EEDaS16_S17_EUlS16_E_NS1_11comp_targetILNS1_3genE4ELNS1_11target_archE910ELNS1_3gpuE8ELNS1_3repE0EEENS1_30default_config_static_selectorELNS0_4arch9wavefront6targetE0EEEvT1_,comdat
.Lfunc_end1378:
	.size	_ZN7rocprim17ROCPRIM_400000_NS6detail17trampoline_kernelINS0_14default_configENS1_25partition_config_selectorILNS1_17partition_subalgoE5EyNS0_10empty_typeEbEEZZNS1_14partition_implILS5_5ELb0ES3_mN6thrust23THRUST_200600_302600_NS6detail15normal_iteratorINSA_10device_ptrIyEEEEPS6_NSA_18transform_iteratorINSB_9not_fun_tI7is_trueIyEEESF_NSA_11use_defaultESM_EENS0_5tupleIJSF_S6_EEENSO_IJSG_SG_EEES6_PlJS6_EEE10hipError_tPvRmT3_T4_T5_T6_T7_T9_mT8_P12ihipStream_tbDpT10_ENKUlT_T0_E_clISt17integral_constantIbLb1EES1B_EEDaS16_S17_EUlS16_E_NS1_11comp_targetILNS1_3genE4ELNS1_11target_archE910ELNS1_3gpuE8ELNS1_3repE0EEENS1_30default_config_static_selectorELNS0_4arch9wavefront6targetE0EEEvT1_, .Lfunc_end1378-_ZN7rocprim17ROCPRIM_400000_NS6detail17trampoline_kernelINS0_14default_configENS1_25partition_config_selectorILNS1_17partition_subalgoE5EyNS0_10empty_typeEbEEZZNS1_14partition_implILS5_5ELb0ES3_mN6thrust23THRUST_200600_302600_NS6detail15normal_iteratorINSA_10device_ptrIyEEEEPS6_NSA_18transform_iteratorINSB_9not_fun_tI7is_trueIyEEESF_NSA_11use_defaultESM_EENS0_5tupleIJSF_S6_EEENSO_IJSG_SG_EEES6_PlJS6_EEE10hipError_tPvRmT3_T4_T5_T6_T7_T9_mT8_P12ihipStream_tbDpT10_ENKUlT_T0_E_clISt17integral_constantIbLb1EES1B_EEDaS16_S17_EUlS16_E_NS1_11comp_targetILNS1_3genE4ELNS1_11target_archE910ELNS1_3gpuE8ELNS1_3repE0EEENS1_30default_config_static_selectorELNS0_4arch9wavefront6targetE0EEEvT1_
                                        ; -- End function
	.set _ZN7rocprim17ROCPRIM_400000_NS6detail17trampoline_kernelINS0_14default_configENS1_25partition_config_selectorILNS1_17partition_subalgoE5EyNS0_10empty_typeEbEEZZNS1_14partition_implILS5_5ELb0ES3_mN6thrust23THRUST_200600_302600_NS6detail15normal_iteratorINSA_10device_ptrIyEEEEPS6_NSA_18transform_iteratorINSB_9not_fun_tI7is_trueIyEEESF_NSA_11use_defaultESM_EENS0_5tupleIJSF_S6_EEENSO_IJSG_SG_EEES6_PlJS6_EEE10hipError_tPvRmT3_T4_T5_T6_T7_T9_mT8_P12ihipStream_tbDpT10_ENKUlT_T0_E_clISt17integral_constantIbLb1EES1B_EEDaS16_S17_EUlS16_E_NS1_11comp_targetILNS1_3genE4ELNS1_11target_archE910ELNS1_3gpuE8ELNS1_3repE0EEENS1_30default_config_static_selectorELNS0_4arch9wavefront6targetE0EEEvT1_.num_vgpr, 0
	.set _ZN7rocprim17ROCPRIM_400000_NS6detail17trampoline_kernelINS0_14default_configENS1_25partition_config_selectorILNS1_17partition_subalgoE5EyNS0_10empty_typeEbEEZZNS1_14partition_implILS5_5ELb0ES3_mN6thrust23THRUST_200600_302600_NS6detail15normal_iteratorINSA_10device_ptrIyEEEEPS6_NSA_18transform_iteratorINSB_9not_fun_tI7is_trueIyEEESF_NSA_11use_defaultESM_EENS0_5tupleIJSF_S6_EEENSO_IJSG_SG_EEES6_PlJS6_EEE10hipError_tPvRmT3_T4_T5_T6_T7_T9_mT8_P12ihipStream_tbDpT10_ENKUlT_T0_E_clISt17integral_constantIbLb1EES1B_EEDaS16_S17_EUlS16_E_NS1_11comp_targetILNS1_3genE4ELNS1_11target_archE910ELNS1_3gpuE8ELNS1_3repE0EEENS1_30default_config_static_selectorELNS0_4arch9wavefront6targetE0EEEvT1_.num_agpr, 0
	.set _ZN7rocprim17ROCPRIM_400000_NS6detail17trampoline_kernelINS0_14default_configENS1_25partition_config_selectorILNS1_17partition_subalgoE5EyNS0_10empty_typeEbEEZZNS1_14partition_implILS5_5ELb0ES3_mN6thrust23THRUST_200600_302600_NS6detail15normal_iteratorINSA_10device_ptrIyEEEEPS6_NSA_18transform_iteratorINSB_9not_fun_tI7is_trueIyEEESF_NSA_11use_defaultESM_EENS0_5tupleIJSF_S6_EEENSO_IJSG_SG_EEES6_PlJS6_EEE10hipError_tPvRmT3_T4_T5_T6_T7_T9_mT8_P12ihipStream_tbDpT10_ENKUlT_T0_E_clISt17integral_constantIbLb1EES1B_EEDaS16_S17_EUlS16_E_NS1_11comp_targetILNS1_3genE4ELNS1_11target_archE910ELNS1_3gpuE8ELNS1_3repE0EEENS1_30default_config_static_selectorELNS0_4arch9wavefront6targetE0EEEvT1_.numbered_sgpr, 0
	.set _ZN7rocprim17ROCPRIM_400000_NS6detail17trampoline_kernelINS0_14default_configENS1_25partition_config_selectorILNS1_17partition_subalgoE5EyNS0_10empty_typeEbEEZZNS1_14partition_implILS5_5ELb0ES3_mN6thrust23THRUST_200600_302600_NS6detail15normal_iteratorINSA_10device_ptrIyEEEEPS6_NSA_18transform_iteratorINSB_9not_fun_tI7is_trueIyEEESF_NSA_11use_defaultESM_EENS0_5tupleIJSF_S6_EEENSO_IJSG_SG_EEES6_PlJS6_EEE10hipError_tPvRmT3_T4_T5_T6_T7_T9_mT8_P12ihipStream_tbDpT10_ENKUlT_T0_E_clISt17integral_constantIbLb1EES1B_EEDaS16_S17_EUlS16_E_NS1_11comp_targetILNS1_3genE4ELNS1_11target_archE910ELNS1_3gpuE8ELNS1_3repE0EEENS1_30default_config_static_selectorELNS0_4arch9wavefront6targetE0EEEvT1_.num_named_barrier, 0
	.set _ZN7rocprim17ROCPRIM_400000_NS6detail17trampoline_kernelINS0_14default_configENS1_25partition_config_selectorILNS1_17partition_subalgoE5EyNS0_10empty_typeEbEEZZNS1_14partition_implILS5_5ELb0ES3_mN6thrust23THRUST_200600_302600_NS6detail15normal_iteratorINSA_10device_ptrIyEEEEPS6_NSA_18transform_iteratorINSB_9not_fun_tI7is_trueIyEEESF_NSA_11use_defaultESM_EENS0_5tupleIJSF_S6_EEENSO_IJSG_SG_EEES6_PlJS6_EEE10hipError_tPvRmT3_T4_T5_T6_T7_T9_mT8_P12ihipStream_tbDpT10_ENKUlT_T0_E_clISt17integral_constantIbLb1EES1B_EEDaS16_S17_EUlS16_E_NS1_11comp_targetILNS1_3genE4ELNS1_11target_archE910ELNS1_3gpuE8ELNS1_3repE0EEENS1_30default_config_static_selectorELNS0_4arch9wavefront6targetE0EEEvT1_.private_seg_size, 0
	.set _ZN7rocprim17ROCPRIM_400000_NS6detail17trampoline_kernelINS0_14default_configENS1_25partition_config_selectorILNS1_17partition_subalgoE5EyNS0_10empty_typeEbEEZZNS1_14partition_implILS5_5ELb0ES3_mN6thrust23THRUST_200600_302600_NS6detail15normal_iteratorINSA_10device_ptrIyEEEEPS6_NSA_18transform_iteratorINSB_9not_fun_tI7is_trueIyEEESF_NSA_11use_defaultESM_EENS0_5tupleIJSF_S6_EEENSO_IJSG_SG_EEES6_PlJS6_EEE10hipError_tPvRmT3_T4_T5_T6_T7_T9_mT8_P12ihipStream_tbDpT10_ENKUlT_T0_E_clISt17integral_constantIbLb1EES1B_EEDaS16_S17_EUlS16_E_NS1_11comp_targetILNS1_3genE4ELNS1_11target_archE910ELNS1_3gpuE8ELNS1_3repE0EEENS1_30default_config_static_selectorELNS0_4arch9wavefront6targetE0EEEvT1_.uses_vcc, 0
	.set _ZN7rocprim17ROCPRIM_400000_NS6detail17trampoline_kernelINS0_14default_configENS1_25partition_config_selectorILNS1_17partition_subalgoE5EyNS0_10empty_typeEbEEZZNS1_14partition_implILS5_5ELb0ES3_mN6thrust23THRUST_200600_302600_NS6detail15normal_iteratorINSA_10device_ptrIyEEEEPS6_NSA_18transform_iteratorINSB_9not_fun_tI7is_trueIyEEESF_NSA_11use_defaultESM_EENS0_5tupleIJSF_S6_EEENSO_IJSG_SG_EEES6_PlJS6_EEE10hipError_tPvRmT3_T4_T5_T6_T7_T9_mT8_P12ihipStream_tbDpT10_ENKUlT_T0_E_clISt17integral_constantIbLb1EES1B_EEDaS16_S17_EUlS16_E_NS1_11comp_targetILNS1_3genE4ELNS1_11target_archE910ELNS1_3gpuE8ELNS1_3repE0EEENS1_30default_config_static_selectorELNS0_4arch9wavefront6targetE0EEEvT1_.uses_flat_scratch, 0
	.set _ZN7rocprim17ROCPRIM_400000_NS6detail17trampoline_kernelINS0_14default_configENS1_25partition_config_selectorILNS1_17partition_subalgoE5EyNS0_10empty_typeEbEEZZNS1_14partition_implILS5_5ELb0ES3_mN6thrust23THRUST_200600_302600_NS6detail15normal_iteratorINSA_10device_ptrIyEEEEPS6_NSA_18transform_iteratorINSB_9not_fun_tI7is_trueIyEEESF_NSA_11use_defaultESM_EENS0_5tupleIJSF_S6_EEENSO_IJSG_SG_EEES6_PlJS6_EEE10hipError_tPvRmT3_T4_T5_T6_T7_T9_mT8_P12ihipStream_tbDpT10_ENKUlT_T0_E_clISt17integral_constantIbLb1EES1B_EEDaS16_S17_EUlS16_E_NS1_11comp_targetILNS1_3genE4ELNS1_11target_archE910ELNS1_3gpuE8ELNS1_3repE0EEENS1_30default_config_static_selectorELNS0_4arch9wavefront6targetE0EEEvT1_.has_dyn_sized_stack, 0
	.set _ZN7rocprim17ROCPRIM_400000_NS6detail17trampoline_kernelINS0_14default_configENS1_25partition_config_selectorILNS1_17partition_subalgoE5EyNS0_10empty_typeEbEEZZNS1_14partition_implILS5_5ELb0ES3_mN6thrust23THRUST_200600_302600_NS6detail15normal_iteratorINSA_10device_ptrIyEEEEPS6_NSA_18transform_iteratorINSB_9not_fun_tI7is_trueIyEEESF_NSA_11use_defaultESM_EENS0_5tupleIJSF_S6_EEENSO_IJSG_SG_EEES6_PlJS6_EEE10hipError_tPvRmT3_T4_T5_T6_T7_T9_mT8_P12ihipStream_tbDpT10_ENKUlT_T0_E_clISt17integral_constantIbLb1EES1B_EEDaS16_S17_EUlS16_E_NS1_11comp_targetILNS1_3genE4ELNS1_11target_archE910ELNS1_3gpuE8ELNS1_3repE0EEENS1_30default_config_static_selectorELNS0_4arch9wavefront6targetE0EEEvT1_.has_recursion, 0
	.set _ZN7rocprim17ROCPRIM_400000_NS6detail17trampoline_kernelINS0_14default_configENS1_25partition_config_selectorILNS1_17partition_subalgoE5EyNS0_10empty_typeEbEEZZNS1_14partition_implILS5_5ELb0ES3_mN6thrust23THRUST_200600_302600_NS6detail15normal_iteratorINSA_10device_ptrIyEEEEPS6_NSA_18transform_iteratorINSB_9not_fun_tI7is_trueIyEEESF_NSA_11use_defaultESM_EENS0_5tupleIJSF_S6_EEENSO_IJSG_SG_EEES6_PlJS6_EEE10hipError_tPvRmT3_T4_T5_T6_T7_T9_mT8_P12ihipStream_tbDpT10_ENKUlT_T0_E_clISt17integral_constantIbLb1EES1B_EEDaS16_S17_EUlS16_E_NS1_11comp_targetILNS1_3genE4ELNS1_11target_archE910ELNS1_3gpuE8ELNS1_3repE0EEENS1_30default_config_static_selectorELNS0_4arch9wavefront6targetE0EEEvT1_.has_indirect_call, 0
	.section	.AMDGPU.csdata,"",@progbits
; Kernel info:
; codeLenInByte = 0
; TotalNumSgprs: 0
; NumVgprs: 0
; ScratchSize: 0
; MemoryBound: 0
; FloatMode: 240
; IeeeMode: 1
; LDSByteSize: 0 bytes/workgroup (compile time only)
; SGPRBlocks: 0
; VGPRBlocks: 0
; NumSGPRsForWavesPerEU: 1
; NumVGPRsForWavesPerEU: 1
; Occupancy: 16
; WaveLimiterHint : 0
; COMPUTE_PGM_RSRC2:SCRATCH_EN: 0
; COMPUTE_PGM_RSRC2:USER_SGPR: 2
; COMPUTE_PGM_RSRC2:TRAP_HANDLER: 0
; COMPUTE_PGM_RSRC2:TGID_X_EN: 1
; COMPUTE_PGM_RSRC2:TGID_Y_EN: 0
; COMPUTE_PGM_RSRC2:TGID_Z_EN: 0
; COMPUTE_PGM_RSRC2:TIDIG_COMP_CNT: 0
	.section	.text._ZN7rocprim17ROCPRIM_400000_NS6detail17trampoline_kernelINS0_14default_configENS1_25partition_config_selectorILNS1_17partition_subalgoE5EyNS0_10empty_typeEbEEZZNS1_14partition_implILS5_5ELb0ES3_mN6thrust23THRUST_200600_302600_NS6detail15normal_iteratorINSA_10device_ptrIyEEEEPS6_NSA_18transform_iteratorINSB_9not_fun_tI7is_trueIyEEESF_NSA_11use_defaultESM_EENS0_5tupleIJSF_S6_EEENSO_IJSG_SG_EEES6_PlJS6_EEE10hipError_tPvRmT3_T4_T5_T6_T7_T9_mT8_P12ihipStream_tbDpT10_ENKUlT_T0_E_clISt17integral_constantIbLb1EES1B_EEDaS16_S17_EUlS16_E_NS1_11comp_targetILNS1_3genE3ELNS1_11target_archE908ELNS1_3gpuE7ELNS1_3repE0EEENS1_30default_config_static_selectorELNS0_4arch9wavefront6targetE0EEEvT1_,"axG",@progbits,_ZN7rocprim17ROCPRIM_400000_NS6detail17trampoline_kernelINS0_14default_configENS1_25partition_config_selectorILNS1_17partition_subalgoE5EyNS0_10empty_typeEbEEZZNS1_14partition_implILS5_5ELb0ES3_mN6thrust23THRUST_200600_302600_NS6detail15normal_iteratorINSA_10device_ptrIyEEEEPS6_NSA_18transform_iteratorINSB_9not_fun_tI7is_trueIyEEESF_NSA_11use_defaultESM_EENS0_5tupleIJSF_S6_EEENSO_IJSG_SG_EEES6_PlJS6_EEE10hipError_tPvRmT3_T4_T5_T6_T7_T9_mT8_P12ihipStream_tbDpT10_ENKUlT_T0_E_clISt17integral_constantIbLb1EES1B_EEDaS16_S17_EUlS16_E_NS1_11comp_targetILNS1_3genE3ELNS1_11target_archE908ELNS1_3gpuE7ELNS1_3repE0EEENS1_30default_config_static_selectorELNS0_4arch9wavefront6targetE0EEEvT1_,comdat
	.protected	_ZN7rocprim17ROCPRIM_400000_NS6detail17trampoline_kernelINS0_14default_configENS1_25partition_config_selectorILNS1_17partition_subalgoE5EyNS0_10empty_typeEbEEZZNS1_14partition_implILS5_5ELb0ES3_mN6thrust23THRUST_200600_302600_NS6detail15normal_iteratorINSA_10device_ptrIyEEEEPS6_NSA_18transform_iteratorINSB_9not_fun_tI7is_trueIyEEESF_NSA_11use_defaultESM_EENS0_5tupleIJSF_S6_EEENSO_IJSG_SG_EEES6_PlJS6_EEE10hipError_tPvRmT3_T4_T5_T6_T7_T9_mT8_P12ihipStream_tbDpT10_ENKUlT_T0_E_clISt17integral_constantIbLb1EES1B_EEDaS16_S17_EUlS16_E_NS1_11comp_targetILNS1_3genE3ELNS1_11target_archE908ELNS1_3gpuE7ELNS1_3repE0EEENS1_30default_config_static_selectorELNS0_4arch9wavefront6targetE0EEEvT1_ ; -- Begin function _ZN7rocprim17ROCPRIM_400000_NS6detail17trampoline_kernelINS0_14default_configENS1_25partition_config_selectorILNS1_17partition_subalgoE5EyNS0_10empty_typeEbEEZZNS1_14partition_implILS5_5ELb0ES3_mN6thrust23THRUST_200600_302600_NS6detail15normal_iteratorINSA_10device_ptrIyEEEEPS6_NSA_18transform_iteratorINSB_9not_fun_tI7is_trueIyEEESF_NSA_11use_defaultESM_EENS0_5tupleIJSF_S6_EEENSO_IJSG_SG_EEES6_PlJS6_EEE10hipError_tPvRmT3_T4_T5_T6_T7_T9_mT8_P12ihipStream_tbDpT10_ENKUlT_T0_E_clISt17integral_constantIbLb1EES1B_EEDaS16_S17_EUlS16_E_NS1_11comp_targetILNS1_3genE3ELNS1_11target_archE908ELNS1_3gpuE7ELNS1_3repE0EEENS1_30default_config_static_selectorELNS0_4arch9wavefront6targetE0EEEvT1_
	.globl	_ZN7rocprim17ROCPRIM_400000_NS6detail17trampoline_kernelINS0_14default_configENS1_25partition_config_selectorILNS1_17partition_subalgoE5EyNS0_10empty_typeEbEEZZNS1_14partition_implILS5_5ELb0ES3_mN6thrust23THRUST_200600_302600_NS6detail15normal_iteratorINSA_10device_ptrIyEEEEPS6_NSA_18transform_iteratorINSB_9not_fun_tI7is_trueIyEEESF_NSA_11use_defaultESM_EENS0_5tupleIJSF_S6_EEENSO_IJSG_SG_EEES6_PlJS6_EEE10hipError_tPvRmT3_T4_T5_T6_T7_T9_mT8_P12ihipStream_tbDpT10_ENKUlT_T0_E_clISt17integral_constantIbLb1EES1B_EEDaS16_S17_EUlS16_E_NS1_11comp_targetILNS1_3genE3ELNS1_11target_archE908ELNS1_3gpuE7ELNS1_3repE0EEENS1_30default_config_static_selectorELNS0_4arch9wavefront6targetE0EEEvT1_
	.p2align	8
	.type	_ZN7rocprim17ROCPRIM_400000_NS6detail17trampoline_kernelINS0_14default_configENS1_25partition_config_selectorILNS1_17partition_subalgoE5EyNS0_10empty_typeEbEEZZNS1_14partition_implILS5_5ELb0ES3_mN6thrust23THRUST_200600_302600_NS6detail15normal_iteratorINSA_10device_ptrIyEEEEPS6_NSA_18transform_iteratorINSB_9not_fun_tI7is_trueIyEEESF_NSA_11use_defaultESM_EENS0_5tupleIJSF_S6_EEENSO_IJSG_SG_EEES6_PlJS6_EEE10hipError_tPvRmT3_T4_T5_T6_T7_T9_mT8_P12ihipStream_tbDpT10_ENKUlT_T0_E_clISt17integral_constantIbLb1EES1B_EEDaS16_S17_EUlS16_E_NS1_11comp_targetILNS1_3genE3ELNS1_11target_archE908ELNS1_3gpuE7ELNS1_3repE0EEENS1_30default_config_static_selectorELNS0_4arch9wavefront6targetE0EEEvT1_,@function
_ZN7rocprim17ROCPRIM_400000_NS6detail17trampoline_kernelINS0_14default_configENS1_25partition_config_selectorILNS1_17partition_subalgoE5EyNS0_10empty_typeEbEEZZNS1_14partition_implILS5_5ELb0ES3_mN6thrust23THRUST_200600_302600_NS6detail15normal_iteratorINSA_10device_ptrIyEEEEPS6_NSA_18transform_iteratorINSB_9not_fun_tI7is_trueIyEEESF_NSA_11use_defaultESM_EENS0_5tupleIJSF_S6_EEENSO_IJSG_SG_EEES6_PlJS6_EEE10hipError_tPvRmT3_T4_T5_T6_T7_T9_mT8_P12ihipStream_tbDpT10_ENKUlT_T0_E_clISt17integral_constantIbLb1EES1B_EEDaS16_S17_EUlS16_E_NS1_11comp_targetILNS1_3genE3ELNS1_11target_archE908ELNS1_3gpuE7ELNS1_3repE0EEENS1_30default_config_static_selectorELNS0_4arch9wavefront6targetE0EEEvT1_: ; @_ZN7rocprim17ROCPRIM_400000_NS6detail17trampoline_kernelINS0_14default_configENS1_25partition_config_selectorILNS1_17partition_subalgoE5EyNS0_10empty_typeEbEEZZNS1_14partition_implILS5_5ELb0ES3_mN6thrust23THRUST_200600_302600_NS6detail15normal_iteratorINSA_10device_ptrIyEEEEPS6_NSA_18transform_iteratorINSB_9not_fun_tI7is_trueIyEEESF_NSA_11use_defaultESM_EENS0_5tupleIJSF_S6_EEENSO_IJSG_SG_EEES6_PlJS6_EEE10hipError_tPvRmT3_T4_T5_T6_T7_T9_mT8_P12ihipStream_tbDpT10_ENKUlT_T0_E_clISt17integral_constantIbLb1EES1B_EEDaS16_S17_EUlS16_E_NS1_11comp_targetILNS1_3genE3ELNS1_11target_archE908ELNS1_3gpuE7ELNS1_3repE0EEENS1_30default_config_static_selectorELNS0_4arch9wavefront6targetE0EEEvT1_
; %bb.0:
	.section	.rodata,"a",@progbits
	.p2align	6, 0x0
	.amdhsa_kernel _ZN7rocprim17ROCPRIM_400000_NS6detail17trampoline_kernelINS0_14default_configENS1_25partition_config_selectorILNS1_17partition_subalgoE5EyNS0_10empty_typeEbEEZZNS1_14partition_implILS5_5ELb0ES3_mN6thrust23THRUST_200600_302600_NS6detail15normal_iteratorINSA_10device_ptrIyEEEEPS6_NSA_18transform_iteratorINSB_9not_fun_tI7is_trueIyEEESF_NSA_11use_defaultESM_EENS0_5tupleIJSF_S6_EEENSO_IJSG_SG_EEES6_PlJS6_EEE10hipError_tPvRmT3_T4_T5_T6_T7_T9_mT8_P12ihipStream_tbDpT10_ENKUlT_T0_E_clISt17integral_constantIbLb1EES1B_EEDaS16_S17_EUlS16_E_NS1_11comp_targetILNS1_3genE3ELNS1_11target_archE908ELNS1_3gpuE7ELNS1_3repE0EEENS1_30default_config_static_selectorELNS0_4arch9wavefront6targetE0EEEvT1_
		.amdhsa_group_segment_fixed_size 0
		.amdhsa_private_segment_fixed_size 0
		.amdhsa_kernarg_size 136
		.amdhsa_user_sgpr_count 2
		.amdhsa_user_sgpr_dispatch_ptr 0
		.amdhsa_user_sgpr_queue_ptr 0
		.amdhsa_user_sgpr_kernarg_segment_ptr 1
		.amdhsa_user_sgpr_dispatch_id 0
		.amdhsa_user_sgpr_private_segment_size 0
		.amdhsa_wavefront_size32 1
		.amdhsa_uses_dynamic_stack 0
		.amdhsa_enable_private_segment 0
		.amdhsa_system_sgpr_workgroup_id_x 1
		.amdhsa_system_sgpr_workgroup_id_y 0
		.amdhsa_system_sgpr_workgroup_id_z 0
		.amdhsa_system_sgpr_workgroup_info 0
		.amdhsa_system_vgpr_workitem_id 0
		.amdhsa_next_free_vgpr 1
		.amdhsa_next_free_sgpr 1
		.amdhsa_reserve_vcc 0
		.amdhsa_float_round_mode_32 0
		.amdhsa_float_round_mode_16_64 0
		.amdhsa_float_denorm_mode_32 3
		.amdhsa_float_denorm_mode_16_64 3
		.amdhsa_fp16_overflow 0
		.amdhsa_workgroup_processor_mode 1
		.amdhsa_memory_ordered 1
		.amdhsa_forward_progress 1
		.amdhsa_inst_pref_size 0
		.amdhsa_round_robin_scheduling 0
		.amdhsa_exception_fp_ieee_invalid_op 0
		.amdhsa_exception_fp_denorm_src 0
		.amdhsa_exception_fp_ieee_div_zero 0
		.amdhsa_exception_fp_ieee_overflow 0
		.amdhsa_exception_fp_ieee_underflow 0
		.amdhsa_exception_fp_ieee_inexact 0
		.amdhsa_exception_int_div_zero 0
	.end_amdhsa_kernel
	.section	.text._ZN7rocprim17ROCPRIM_400000_NS6detail17trampoline_kernelINS0_14default_configENS1_25partition_config_selectorILNS1_17partition_subalgoE5EyNS0_10empty_typeEbEEZZNS1_14partition_implILS5_5ELb0ES3_mN6thrust23THRUST_200600_302600_NS6detail15normal_iteratorINSA_10device_ptrIyEEEEPS6_NSA_18transform_iteratorINSB_9not_fun_tI7is_trueIyEEESF_NSA_11use_defaultESM_EENS0_5tupleIJSF_S6_EEENSO_IJSG_SG_EEES6_PlJS6_EEE10hipError_tPvRmT3_T4_T5_T6_T7_T9_mT8_P12ihipStream_tbDpT10_ENKUlT_T0_E_clISt17integral_constantIbLb1EES1B_EEDaS16_S17_EUlS16_E_NS1_11comp_targetILNS1_3genE3ELNS1_11target_archE908ELNS1_3gpuE7ELNS1_3repE0EEENS1_30default_config_static_selectorELNS0_4arch9wavefront6targetE0EEEvT1_,"axG",@progbits,_ZN7rocprim17ROCPRIM_400000_NS6detail17trampoline_kernelINS0_14default_configENS1_25partition_config_selectorILNS1_17partition_subalgoE5EyNS0_10empty_typeEbEEZZNS1_14partition_implILS5_5ELb0ES3_mN6thrust23THRUST_200600_302600_NS6detail15normal_iteratorINSA_10device_ptrIyEEEEPS6_NSA_18transform_iteratorINSB_9not_fun_tI7is_trueIyEEESF_NSA_11use_defaultESM_EENS0_5tupleIJSF_S6_EEENSO_IJSG_SG_EEES6_PlJS6_EEE10hipError_tPvRmT3_T4_T5_T6_T7_T9_mT8_P12ihipStream_tbDpT10_ENKUlT_T0_E_clISt17integral_constantIbLb1EES1B_EEDaS16_S17_EUlS16_E_NS1_11comp_targetILNS1_3genE3ELNS1_11target_archE908ELNS1_3gpuE7ELNS1_3repE0EEENS1_30default_config_static_selectorELNS0_4arch9wavefront6targetE0EEEvT1_,comdat
.Lfunc_end1379:
	.size	_ZN7rocprim17ROCPRIM_400000_NS6detail17trampoline_kernelINS0_14default_configENS1_25partition_config_selectorILNS1_17partition_subalgoE5EyNS0_10empty_typeEbEEZZNS1_14partition_implILS5_5ELb0ES3_mN6thrust23THRUST_200600_302600_NS6detail15normal_iteratorINSA_10device_ptrIyEEEEPS6_NSA_18transform_iteratorINSB_9not_fun_tI7is_trueIyEEESF_NSA_11use_defaultESM_EENS0_5tupleIJSF_S6_EEENSO_IJSG_SG_EEES6_PlJS6_EEE10hipError_tPvRmT3_T4_T5_T6_T7_T9_mT8_P12ihipStream_tbDpT10_ENKUlT_T0_E_clISt17integral_constantIbLb1EES1B_EEDaS16_S17_EUlS16_E_NS1_11comp_targetILNS1_3genE3ELNS1_11target_archE908ELNS1_3gpuE7ELNS1_3repE0EEENS1_30default_config_static_selectorELNS0_4arch9wavefront6targetE0EEEvT1_, .Lfunc_end1379-_ZN7rocprim17ROCPRIM_400000_NS6detail17trampoline_kernelINS0_14default_configENS1_25partition_config_selectorILNS1_17partition_subalgoE5EyNS0_10empty_typeEbEEZZNS1_14partition_implILS5_5ELb0ES3_mN6thrust23THRUST_200600_302600_NS6detail15normal_iteratorINSA_10device_ptrIyEEEEPS6_NSA_18transform_iteratorINSB_9not_fun_tI7is_trueIyEEESF_NSA_11use_defaultESM_EENS0_5tupleIJSF_S6_EEENSO_IJSG_SG_EEES6_PlJS6_EEE10hipError_tPvRmT3_T4_T5_T6_T7_T9_mT8_P12ihipStream_tbDpT10_ENKUlT_T0_E_clISt17integral_constantIbLb1EES1B_EEDaS16_S17_EUlS16_E_NS1_11comp_targetILNS1_3genE3ELNS1_11target_archE908ELNS1_3gpuE7ELNS1_3repE0EEENS1_30default_config_static_selectorELNS0_4arch9wavefront6targetE0EEEvT1_
                                        ; -- End function
	.set _ZN7rocprim17ROCPRIM_400000_NS6detail17trampoline_kernelINS0_14default_configENS1_25partition_config_selectorILNS1_17partition_subalgoE5EyNS0_10empty_typeEbEEZZNS1_14partition_implILS5_5ELb0ES3_mN6thrust23THRUST_200600_302600_NS6detail15normal_iteratorINSA_10device_ptrIyEEEEPS6_NSA_18transform_iteratorINSB_9not_fun_tI7is_trueIyEEESF_NSA_11use_defaultESM_EENS0_5tupleIJSF_S6_EEENSO_IJSG_SG_EEES6_PlJS6_EEE10hipError_tPvRmT3_T4_T5_T6_T7_T9_mT8_P12ihipStream_tbDpT10_ENKUlT_T0_E_clISt17integral_constantIbLb1EES1B_EEDaS16_S17_EUlS16_E_NS1_11comp_targetILNS1_3genE3ELNS1_11target_archE908ELNS1_3gpuE7ELNS1_3repE0EEENS1_30default_config_static_selectorELNS0_4arch9wavefront6targetE0EEEvT1_.num_vgpr, 0
	.set _ZN7rocprim17ROCPRIM_400000_NS6detail17trampoline_kernelINS0_14default_configENS1_25partition_config_selectorILNS1_17partition_subalgoE5EyNS0_10empty_typeEbEEZZNS1_14partition_implILS5_5ELb0ES3_mN6thrust23THRUST_200600_302600_NS6detail15normal_iteratorINSA_10device_ptrIyEEEEPS6_NSA_18transform_iteratorINSB_9not_fun_tI7is_trueIyEEESF_NSA_11use_defaultESM_EENS0_5tupleIJSF_S6_EEENSO_IJSG_SG_EEES6_PlJS6_EEE10hipError_tPvRmT3_T4_T5_T6_T7_T9_mT8_P12ihipStream_tbDpT10_ENKUlT_T0_E_clISt17integral_constantIbLb1EES1B_EEDaS16_S17_EUlS16_E_NS1_11comp_targetILNS1_3genE3ELNS1_11target_archE908ELNS1_3gpuE7ELNS1_3repE0EEENS1_30default_config_static_selectorELNS0_4arch9wavefront6targetE0EEEvT1_.num_agpr, 0
	.set _ZN7rocprim17ROCPRIM_400000_NS6detail17trampoline_kernelINS0_14default_configENS1_25partition_config_selectorILNS1_17partition_subalgoE5EyNS0_10empty_typeEbEEZZNS1_14partition_implILS5_5ELb0ES3_mN6thrust23THRUST_200600_302600_NS6detail15normal_iteratorINSA_10device_ptrIyEEEEPS6_NSA_18transform_iteratorINSB_9not_fun_tI7is_trueIyEEESF_NSA_11use_defaultESM_EENS0_5tupleIJSF_S6_EEENSO_IJSG_SG_EEES6_PlJS6_EEE10hipError_tPvRmT3_T4_T5_T6_T7_T9_mT8_P12ihipStream_tbDpT10_ENKUlT_T0_E_clISt17integral_constantIbLb1EES1B_EEDaS16_S17_EUlS16_E_NS1_11comp_targetILNS1_3genE3ELNS1_11target_archE908ELNS1_3gpuE7ELNS1_3repE0EEENS1_30default_config_static_selectorELNS0_4arch9wavefront6targetE0EEEvT1_.numbered_sgpr, 0
	.set _ZN7rocprim17ROCPRIM_400000_NS6detail17trampoline_kernelINS0_14default_configENS1_25partition_config_selectorILNS1_17partition_subalgoE5EyNS0_10empty_typeEbEEZZNS1_14partition_implILS5_5ELb0ES3_mN6thrust23THRUST_200600_302600_NS6detail15normal_iteratorINSA_10device_ptrIyEEEEPS6_NSA_18transform_iteratorINSB_9not_fun_tI7is_trueIyEEESF_NSA_11use_defaultESM_EENS0_5tupleIJSF_S6_EEENSO_IJSG_SG_EEES6_PlJS6_EEE10hipError_tPvRmT3_T4_T5_T6_T7_T9_mT8_P12ihipStream_tbDpT10_ENKUlT_T0_E_clISt17integral_constantIbLb1EES1B_EEDaS16_S17_EUlS16_E_NS1_11comp_targetILNS1_3genE3ELNS1_11target_archE908ELNS1_3gpuE7ELNS1_3repE0EEENS1_30default_config_static_selectorELNS0_4arch9wavefront6targetE0EEEvT1_.num_named_barrier, 0
	.set _ZN7rocprim17ROCPRIM_400000_NS6detail17trampoline_kernelINS0_14default_configENS1_25partition_config_selectorILNS1_17partition_subalgoE5EyNS0_10empty_typeEbEEZZNS1_14partition_implILS5_5ELb0ES3_mN6thrust23THRUST_200600_302600_NS6detail15normal_iteratorINSA_10device_ptrIyEEEEPS6_NSA_18transform_iteratorINSB_9not_fun_tI7is_trueIyEEESF_NSA_11use_defaultESM_EENS0_5tupleIJSF_S6_EEENSO_IJSG_SG_EEES6_PlJS6_EEE10hipError_tPvRmT3_T4_T5_T6_T7_T9_mT8_P12ihipStream_tbDpT10_ENKUlT_T0_E_clISt17integral_constantIbLb1EES1B_EEDaS16_S17_EUlS16_E_NS1_11comp_targetILNS1_3genE3ELNS1_11target_archE908ELNS1_3gpuE7ELNS1_3repE0EEENS1_30default_config_static_selectorELNS0_4arch9wavefront6targetE0EEEvT1_.private_seg_size, 0
	.set _ZN7rocprim17ROCPRIM_400000_NS6detail17trampoline_kernelINS0_14default_configENS1_25partition_config_selectorILNS1_17partition_subalgoE5EyNS0_10empty_typeEbEEZZNS1_14partition_implILS5_5ELb0ES3_mN6thrust23THRUST_200600_302600_NS6detail15normal_iteratorINSA_10device_ptrIyEEEEPS6_NSA_18transform_iteratorINSB_9not_fun_tI7is_trueIyEEESF_NSA_11use_defaultESM_EENS0_5tupleIJSF_S6_EEENSO_IJSG_SG_EEES6_PlJS6_EEE10hipError_tPvRmT3_T4_T5_T6_T7_T9_mT8_P12ihipStream_tbDpT10_ENKUlT_T0_E_clISt17integral_constantIbLb1EES1B_EEDaS16_S17_EUlS16_E_NS1_11comp_targetILNS1_3genE3ELNS1_11target_archE908ELNS1_3gpuE7ELNS1_3repE0EEENS1_30default_config_static_selectorELNS0_4arch9wavefront6targetE0EEEvT1_.uses_vcc, 0
	.set _ZN7rocprim17ROCPRIM_400000_NS6detail17trampoline_kernelINS0_14default_configENS1_25partition_config_selectorILNS1_17partition_subalgoE5EyNS0_10empty_typeEbEEZZNS1_14partition_implILS5_5ELb0ES3_mN6thrust23THRUST_200600_302600_NS6detail15normal_iteratorINSA_10device_ptrIyEEEEPS6_NSA_18transform_iteratorINSB_9not_fun_tI7is_trueIyEEESF_NSA_11use_defaultESM_EENS0_5tupleIJSF_S6_EEENSO_IJSG_SG_EEES6_PlJS6_EEE10hipError_tPvRmT3_T4_T5_T6_T7_T9_mT8_P12ihipStream_tbDpT10_ENKUlT_T0_E_clISt17integral_constantIbLb1EES1B_EEDaS16_S17_EUlS16_E_NS1_11comp_targetILNS1_3genE3ELNS1_11target_archE908ELNS1_3gpuE7ELNS1_3repE0EEENS1_30default_config_static_selectorELNS0_4arch9wavefront6targetE0EEEvT1_.uses_flat_scratch, 0
	.set _ZN7rocprim17ROCPRIM_400000_NS6detail17trampoline_kernelINS0_14default_configENS1_25partition_config_selectorILNS1_17partition_subalgoE5EyNS0_10empty_typeEbEEZZNS1_14partition_implILS5_5ELb0ES3_mN6thrust23THRUST_200600_302600_NS6detail15normal_iteratorINSA_10device_ptrIyEEEEPS6_NSA_18transform_iteratorINSB_9not_fun_tI7is_trueIyEEESF_NSA_11use_defaultESM_EENS0_5tupleIJSF_S6_EEENSO_IJSG_SG_EEES6_PlJS6_EEE10hipError_tPvRmT3_T4_T5_T6_T7_T9_mT8_P12ihipStream_tbDpT10_ENKUlT_T0_E_clISt17integral_constantIbLb1EES1B_EEDaS16_S17_EUlS16_E_NS1_11comp_targetILNS1_3genE3ELNS1_11target_archE908ELNS1_3gpuE7ELNS1_3repE0EEENS1_30default_config_static_selectorELNS0_4arch9wavefront6targetE0EEEvT1_.has_dyn_sized_stack, 0
	.set _ZN7rocprim17ROCPRIM_400000_NS6detail17trampoline_kernelINS0_14default_configENS1_25partition_config_selectorILNS1_17partition_subalgoE5EyNS0_10empty_typeEbEEZZNS1_14partition_implILS5_5ELb0ES3_mN6thrust23THRUST_200600_302600_NS6detail15normal_iteratorINSA_10device_ptrIyEEEEPS6_NSA_18transform_iteratorINSB_9not_fun_tI7is_trueIyEEESF_NSA_11use_defaultESM_EENS0_5tupleIJSF_S6_EEENSO_IJSG_SG_EEES6_PlJS6_EEE10hipError_tPvRmT3_T4_T5_T6_T7_T9_mT8_P12ihipStream_tbDpT10_ENKUlT_T0_E_clISt17integral_constantIbLb1EES1B_EEDaS16_S17_EUlS16_E_NS1_11comp_targetILNS1_3genE3ELNS1_11target_archE908ELNS1_3gpuE7ELNS1_3repE0EEENS1_30default_config_static_selectorELNS0_4arch9wavefront6targetE0EEEvT1_.has_recursion, 0
	.set _ZN7rocprim17ROCPRIM_400000_NS6detail17trampoline_kernelINS0_14default_configENS1_25partition_config_selectorILNS1_17partition_subalgoE5EyNS0_10empty_typeEbEEZZNS1_14partition_implILS5_5ELb0ES3_mN6thrust23THRUST_200600_302600_NS6detail15normal_iteratorINSA_10device_ptrIyEEEEPS6_NSA_18transform_iteratorINSB_9not_fun_tI7is_trueIyEEESF_NSA_11use_defaultESM_EENS0_5tupleIJSF_S6_EEENSO_IJSG_SG_EEES6_PlJS6_EEE10hipError_tPvRmT3_T4_T5_T6_T7_T9_mT8_P12ihipStream_tbDpT10_ENKUlT_T0_E_clISt17integral_constantIbLb1EES1B_EEDaS16_S17_EUlS16_E_NS1_11comp_targetILNS1_3genE3ELNS1_11target_archE908ELNS1_3gpuE7ELNS1_3repE0EEENS1_30default_config_static_selectorELNS0_4arch9wavefront6targetE0EEEvT1_.has_indirect_call, 0
	.section	.AMDGPU.csdata,"",@progbits
; Kernel info:
; codeLenInByte = 0
; TotalNumSgprs: 0
; NumVgprs: 0
; ScratchSize: 0
; MemoryBound: 0
; FloatMode: 240
; IeeeMode: 1
; LDSByteSize: 0 bytes/workgroup (compile time only)
; SGPRBlocks: 0
; VGPRBlocks: 0
; NumSGPRsForWavesPerEU: 1
; NumVGPRsForWavesPerEU: 1
; Occupancy: 16
; WaveLimiterHint : 0
; COMPUTE_PGM_RSRC2:SCRATCH_EN: 0
; COMPUTE_PGM_RSRC2:USER_SGPR: 2
; COMPUTE_PGM_RSRC2:TRAP_HANDLER: 0
; COMPUTE_PGM_RSRC2:TGID_X_EN: 1
; COMPUTE_PGM_RSRC2:TGID_Y_EN: 0
; COMPUTE_PGM_RSRC2:TGID_Z_EN: 0
; COMPUTE_PGM_RSRC2:TIDIG_COMP_CNT: 0
	.section	.text._ZN7rocprim17ROCPRIM_400000_NS6detail17trampoline_kernelINS0_14default_configENS1_25partition_config_selectorILNS1_17partition_subalgoE5EyNS0_10empty_typeEbEEZZNS1_14partition_implILS5_5ELb0ES3_mN6thrust23THRUST_200600_302600_NS6detail15normal_iteratorINSA_10device_ptrIyEEEEPS6_NSA_18transform_iteratorINSB_9not_fun_tI7is_trueIyEEESF_NSA_11use_defaultESM_EENS0_5tupleIJSF_S6_EEENSO_IJSG_SG_EEES6_PlJS6_EEE10hipError_tPvRmT3_T4_T5_T6_T7_T9_mT8_P12ihipStream_tbDpT10_ENKUlT_T0_E_clISt17integral_constantIbLb1EES1B_EEDaS16_S17_EUlS16_E_NS1_11comp_targetILNS1_3genE2ELNS1_11target_archE906ELNS1_3gpuE6ELNS1_3repE0EEENS1_30default_config_static_selectorELNS0_4arch9wavefront6targetE0EEEvT1_,"axG",@progbits,_ZN7rocprim17ROCPRIM_400000_NS6detail17trampoline_kernelINS0_14default_configENS1_25partition_config_selectorILNS1_17partition_subalgoE5EyNS0_10empty_typeEbEEZZNS1_14partition_implILS5_5ELb0ES3_mN6thrust23THRUST_200600_302600_NS6detail15normal_iteratorINSA_10device_ptrIyEEEEPS6_NSA_18transform_iteratorINSB_9not_fun_tI7is_trueIyEEESF_NSA_11use_defaultESM_EENS0_5tupleIJSF_S6_EEENSO_IJSG_SG_EEES6_PlJS6_EEE10hipError_tPvRmT3_T4_T5_T6_T7_T9_mT8_P12ihipStream_tbDpT10_ENKUlT_T0_E_clISt17integral_constantIbLb1EES1B_EEDaS16_S17_EUlS16_E_NS1_11comp_targetILNS1_3genE2ELNS1_11target_archE906ELNS1_3gpuE6ELNS1_3repE0EEENS1_30default_config_static_selectorELNS0_4arch9wavefront6targetE0EEEvT1_,comdat
	.protected	_ZN7rocprim17ROCPRIM_400000_NS6detail17trampoline_kernelINS0_14default_configENS1_25partition_config_selectorILNS1_17partition_subalgoE5EyNS0_10empty_typeEbEEZZNS1_14partition_implILS5_5ELb0ES3_mN6thrust23THRUST_200600_302600_NS6detail15normal_iteratorINSA_10device_ptrIyEEEEPS6_NSA_18transform_iteratorINSB_9not_fun_tI7is_trueIyEEESF_NSA_11use_defaultESM_EENS0_5tupleIJSF_S6_EEENSO_IJSG_SG_EEES6_PlJS6_EEE10hipError_tPvRmT3_T4_T5_T6_T7_T9_mT8_P12ihipStream_tbDpT10_ENKUlT_T0_E_clISt17integral_constantIbLb1EES1B_EEDaS16_S17_EUlS16_E_NS1_11comp_targetILNS1_3genE2ELNS1_11target_archE906ELNS1_3gpuE6ELNS1_3repE0EEENS1_30default_config_static_selectorELNS0_4arch9wavefront6targetE0EEEvT1_ ; -- Begin function _ZN7rocprim17ROCPRIM_400000_NS6detail17trampoline_kernelINS0_14default_configENS1_25partition_config_selectorILNS1_17partition_subalgoE5EyNS0_10empty_typeEbEEZZNS1_14partition_implILS5_5ELb0ES3_mN6thrust23THRUST_200600_302600_NS6detail15normal_iteratorINSA_10device_ptrIyEEEEPS6_NSA_18transform_iteratorINSB_9not_fun_tI7is_trueIyEEESF_NSA_11use_defaultESM_EENS0_5tupleIJSF_S6_EEENSO_IJSG_SG_EEES6_PlJS6_EEE10hipError_tPvRmT3_T4_T5_T6_T7_T9_mT8_P12ihipStream_tbDpT10_ENKUlT_T0_E_clISt17integral_constantIbLb1EES1B_EEDaS16_S17_EUlS16_E_NS1_11comp_targetILNS1_3genE2ELNS1_11target_archE906ELNS1_3gpuE6ELNS1_3repE0EEENS1_30default_config_static_selectorELNS0_4arch9wavefront6targetE0EEEvT1_
	.globl	_ZN7rocprim17ROCPRIM_400000_NS6detail17trampoline_kernelINS0_14default_configENS1_25partition_config_selectorILNS1_17partition_subalgoE5EyNS0_10empty_typeEbEEZZNS1_14partition_implILS5_5ELb0ES3_mN6thrust23THRUST_200600_302600_NS6detail15normal_iteratorINSA_10device_ptrIyEEEEPS6_NSA_18transform_iteratorINSB_9not_fun_tI7is_trueIyEEESF_NSA_11use_defaultESM_EENS0_5tupleIJSF_S6_EEENSO_IJSG_SG_EEES6_PlJS6_EEE10hipError_tPvRmT3_T4_T5_T6_T7_T9_mT8_P12ihipStream_tbDpT10_ENKUlT_T0_E_clISt17integral_constantIbLb1EES1B_EEDaS16_S17_EUlS16_E_NS1_11comp_targetILNS1_3genE2ELNS1_11target_archE906ELNS1_3gpuE6ELNS1_3repE0EEENS1_30default_config_static_selectorELNS0_4arch9wavefront6targetE0EEEvT1_
	.p2align	8
	.type	_ZN7rocprim17ROCPRIM_400000_NS6detail17trampoline_kernelINS0_14default_configENS1_25partition_config_selectorILNS1_17partition_subalgoE5EyNS0_10empty_typeEbEEZZNS1_14partition_implILS5_5ELb0ES3_mN6thrust23THRUST_200600_302600_NS6detail15normal_iteratorINSA_10device_ptrIyEEEEPS6_NSA_18transform_iteratorINSB_9not_fun_tI7is_trueIyEEESF_NSA_11use_defaultESM_EENS0_5tupleIJSF_S6_EEENSO_IJSG_SG_EEES6_PlJS6_EEE10hipError_tPvRmT3_T4_T5_T6_T7_T9_mT8_P12ihipStream_tbDpT10_ENKUlT_T0_E_clISt17integral_constantIbLb1EES1B_EEDaS16_S17_EUlS16_E_NS1_11comp_targetILNS1_3genE2ELNS1_11target_archE906ELNS1_3gpuE6ELNS1_3repE0EEENS1_30default_config_static_selectorELNS0_4arch9wavefront6targetE0EEEvT1_,@function
_ZN7rocprim17ROCPRIM_400000_NS6detail17trampoline_kernelINS0_14default_configENS1_25partition_config_selectorILNS1_17partition_subalgoE5EyNS0_10empty_typeEbEEZZNS1_14partition_implILS5_5ELb0ES3_mN6thrust23THRUST_200600_302600_NS6detail15normal_iteratorINSA_10device_ptrIyEEEEPS6_NSA_18transform_iteratorINSB_9not_fun_tI7is_trueIyEEESF_NSA_11use_defaultESM_EENS0_5tupleIJSF_S6_EEENSO_IJSG_SG_EEES6_PlJS6_EEE10hipError_tPvRmT3_T4_T5_T6_T7_T9_mT8_P12ihipStream_tbDpT10_ENKUlT_T0_E_clISt17integral_constantIbLb1EES1B_EEDaS16_S17_EUlS16_E_NS1_11comp_targetILNS1_3genE2ELNS1_11target_archE906ELNS1_3gpuE6ELNS1_3repE0EEENS1_30default_config_static_selectorELNS0_4arch9wavefront6targetE0EEEvT1_: ; @_ZN7rocprim17ROCPRIM_400000_NS6detail17trampoline_kernelINS0_14default_configENS1_25partition_config_selectorILNS1_17partition_subalgoE5EyNS0_10empty_typeEbEEZZNS1_14partition_implILS5_5ELb0ES3_mN6thrust23THRUST_200600_302600_NS6detail15normal_iteratorINSA_10device_ptrIyEEEEPS6_NSA_18transform_iteratorINSB_9not_fun_tI7is_trueIyEEESF_NSA_11use_defaultESM_EENS0_5tupleIJSF_S6_EEENSO_IJSG_SG_EEES6_PlJS6_EEE10hipError_tPvRmT3_T4_T5_T6_T7_T9_mT8_P12ihipStream_tbDpT10_ENKUlT_T0_E_clISt17integral_constantIbLb1EES1B_EEDaS16_S17_EUlS16_E_NS1_11comp_targetILNS1_3genE2ELNS1_11target_archE906ELNS1_3gpuE6ELNS1_3repE0EEENS1_30default_config_static_selectorELNS0_4arch9wavefront6targetE0EEEvT1_
; %bb.0:
	.section	.rodata,"a",@progbits
	.p2align	6, 0x0
	.amdhsa_kernel _ZN7rocprim17ROCPRIM_400000_NS6detail17trampoline_kernelINS0_14default_configENS1_25partition_config_selectorILNS1_17partition_subalgoE5EyNS0_10empty_typeEbEEZZNS1_14partition_implILS5_5ELb0ES3_mN6thrust23THRUST_200600_302600_NS6detail15normal_iteratorINSA_10device_ptrIyEEEEPS6_NSA_18transform_iteratorINSB_9not_fun_tI7is_trueIyEEESF_NSA_11use_defaultESM_EENS0_5tupleIJSF_S6_EEENSO_IJSG_SG_EEES6_PlJS6_EEE10hipError_tPvRmT3_T4_T5_T6_T7_T9_mT8_P12ihipStream_tbDpT10_ENKUlT_T0_E_clISt17integral_constantIbLb1EES1B_EEDaS16_S17_EUlS16_E_NS1_11comp_targetILNS1_3genE2ELNS1_11target_archE906ELNS1_3gpuE6ELNS1_3repE0EEENS1_30default_config_static_selectorELNS0_4arch9wavefront6targetE0EEEvT1_
		.amdhsa_group_segment_fixed_size 0
		.amdhsa_private_segment_fixed_size 0
		.amdhsa_kernarg_size 136
		.amdhsa_user_sgpr_count 2
		.amdhsa_user_sgpr_dispatch_ptr 0
		.amdhsa_user_sgpr_queue_ptr 0
		.amdhsa_user_sgpr_kernarg_segment_ptr 1
		.amdhsa_user_sgpr_dispatch_id 0
		.amdhsa_user_sgpr_private_segment_size 0
		.amdhsa_wavefront_size32 1
		.amdhsa_uses_dynamic_stack 0
		.amdhsa_enable_private_segment 0
		.amdhsa_system_sgpr_workgroup_id_x 1
		.amdhsa_system_sgpr_workgroup_id_y 0
		.amdhsa_system_sgpr_workgroup_id_z 0
		.amdhsa_system_sgpr_workgroup_info 0
		.amdhsa_system_vgpr_workitem_id 0
		.amdhsa_next_free_vgpr 1
		.amdhsa_next_free_sgpr 1
		.amdhsa_reserve_vcc 0
		.amdhsa_float_round_mode_32 0
		.amdhsa_float_round_mode_16_64 0
		.amdhsa_float_denorm_mode_32 3
		.amdhsa_float_denorm_mode_16_64 3
		.amdhsa_fp16_overflow 0
		.amdhsa_workgroup_processor_mode 1
		.amdhsa_memory_ordered 1
		.amdhsa_forward_progress 1
		.amdhsa_inst_pref_size 0
		.amdhsa_round_robin_scheduling 0
		.amdhsa_exception_fp_ieee_invalid_op 0
		.amdhsa_exception_fp_denorm_src 0
		.amdhsa_exception_fp_ieee_div_zero 0
		.amdhsa_exception_fp_ieee_overflow 0
		.amdhsa_exception_fp_ieee_underflow 0
		.amdhsa_exception_fp_ieee_inexact 0
		.amdhsa_exception_int_div_zero 0
	.end_amdhsa_kernel
	.section	.text._ZN7rocprim17ROCPRIM_400000_NS6detail17trampoline_kernelINS0_14default_configENS1_25partition_config_selectorILNS1_17partition_subalgoE5EyNS0_10empty_typeEbEEZZNS1_14partition_implILS5_5ELb0ES3_mN6thrust23THRUST_200600_302600_NS6detail15normal_iteratorINSA_10device_ptrIyEEEEPS6_NSA_18transform_iteratorINSB_9not_fun_tI7is_trueIyEEESF_NSA_11use_defaultESM_EENS0_5tupleIJSF_S6_EEENSO_IJSG_SG_EEES6_PlJS6_EEE10hipError_tPvRmT3_T4_T5_T6_T7_T9_mT8_P12ihipStream_tbDpT10_ENKUlT_T0_E_clISt17integral_constantIbLb1EES1B_EEDaS16_S17_EUlS16_E_NS1_11comp_targetILNS1_3genE2ELNS1_11target_archE906ELNS1_3gpuE6ELNS1_3repE0EEENS1_30default_config_static_selectorELNS0_4arch9wavefront6targetE0EEEvT1_,"axG",@progbits,_ZN7rocprim17ROCPRIM_400000_NS6detail17trampoline_kernelINS0_14default_configENS1_25partition_config_selectorILNS1_17partition_subalgoE5EyNS0_10empty_typeEbEEZZNS1_14partition_implILS5_5ELb0ES3_mN6thrust23THRUST_200600_302600_NS6detail15normal_iteratorINSA_10device_ptrIyEEEEPS6_NSA_18transform_iteratorINSB_9not_fun_tI7is_trueIyEEESF_NSA_11use_defaultESM_EENS0_5tupleIJSF_S6_EEENSO_IJSG_SG_EEES6_PlJS6_EEE10hipError_tPvRmT3_T4_T5_T6_T7_T9_mT8_P12ihipStream_tbDpT10_ENKUlT_T0_E_clISt17integral_constantIbLb1EES1B_EEDaS16_S17_EUlS16_E_NS1_11comp_targetILNS1_3genE2ELNS1_11target_archE906ELNS1_3gpuE6ELNS1_3repE0EEENS1_30default_config_static_selectorELNS0_4arch9wavefront6targetE0EEEvT1_,comdat
.Lfunc_end1380:
	.size	_ZN7rocprim17ROCPRIM_400000_NS6detail17trampoline_kernelINS0_14default_configENS1_25partition_config_selectorILNS1_17partition_subalgoE5EyNS0_10empty_typeEbEEZZNS1_14partition_implILS5_5ELb0ES3_mN6thrust23THRUST_200600_302600_NS6detail15normal_iteratorINSA_10device_ptrIyEEEEPS6_NSA_18transform_iteratorINSB_9not_fun_tI7is_trueIyEEESF_NSA_11use_defaultESM_EENS0_5tupleIJSF_S6_EEENSO_IJSG_SG_EEES6_PlJS6_EEE10hipError_tPvRmT3_T4_T5_T6_T7_T9_mT8_P12ihipStream_tbDpT10_ENKUlT_T0_E_clISt17integral_constantIbLb1EES1B_EEDaS16_S17_EUlS16_E_NS1_11comp_targetILNS1_3genE2ELNS1_11target_archE906ELNS1_3gpuE6ELNS1_3repE0EEENS1_30default_config_static_selectorELNS0_4arch9wavefront6targetE0EEEvT1_, .Lfunc_end1380-_ZN7rocprim17ROCPRIM_400000_NS6detail17trampoline_kernelINS0_14default_configENS1_25partition_config_selectorILNS1_17partition_subalgoE5EyNS0_10empty_typeEbEEZZNS1_14partition_implILS5_5ELb0ES3_mN6thrust23THRUST_200600_302600_NS6detail15normal_iteratorINSA_10device_ptrIyEEEEPS6_NSA_18transform_iteratorINSB_9not_fun_tI7is_trueIyEEESF_NSA_11use_defaultESM_EENS0_5tupleIJSF_S6_EEENSO_IJSG_SG_EEES6_PlJS6_EEE10hipError_tPvRmT3_T4_T5_T6_T7_T9_mT8_P12ihipStream_tbDpT10_ENKUlT_T0_E_clISt17integral_constantIbLb1EES1B_EEDaS16_S17_EUlS16_E_NS1_11comp_targetILNS1_3genE2ELNS1_11target_archE906ELNS1_3gpuE6ELNS1_3repE0EEENS1_30default_config_static_selectorELNS0_4arch9wavefront6targetE0EEEvT1_
                                        ; -- End function
	.set _ZN7rocprim17ROCPRIM_400000_NS6detail17trampoline_kernelINS0_14default_configENS1_25partition_config_selectorILNS1_17partition_subalgoE5EyNS0_10empty_typeEbEEZZNS1_14partition_implILS5_5ELb0ES3_mN6thrust23THRUST_200600_302600_NS6detail15normal_iteratorINSA_10device_ptrIyEEEEPS6_NSA_18transform_iteratorINSB_9not_fun_tI7is_trueIyEEESF_NSA_11use_defaultESM_EENS0_5tupleIJSF_S6_EEENSO_IJSG_SG_EEES6_PlJS6_EEE10hipError_tPvRmT3_T4_T5_T6_T7_T9_mT8_P12ihipStream_tbDpT10_ENKUlT_T0_E_clISt17integral_constantIbLb1EES1B_EEDaS16_S17_EUlS16_E_NS1_11comp_targetILNS1_3genE2ELNS1_11target_archE906ELNS1_3gpuE6ELNS1_3repE0EEENS1_30default_config_static_selectorELNS0_4arch9wavefront6targetE0EEEvT1_.num_vgpr, 0
	.set _ZN7rocprim17ROCPRIM_400000_NS6detail17trampoline_kernelINS0_14default_configENS1_25partition_config_selectorILNS1_17partition_subalgoE5EyNS0_10empty_typeEbEEZZNS1_14partition_implILS5_5ELb0ES3_mN6thrust23THRUST_200600_302600_NS6detail15normal_iteratorINSA_10device_ptrIyEEEEPS6_NSA_18transform_iteratorINSB_9not_fun_tI7is_trueIyEEESF_NSA_11use_defaultESM_EENS0_5tupleIJSF_S6_EEENSO_IJSG_SG_EEES6_PlJS6_EEE10hipError_tPvRmT3_T4_T5_T6_T7_T9_mT8_P12ihipStream_tbDpT10_ENKUlT_T0_E_clISt17integral_constantIbLb1EES1B_EEDaS16_S17_EUlS16_E_NS1_11comp_targetILNS1_3genE2ELNS1_11target_archE906ELNS1_3gpuE6ELNS1_3repE0EEENS1_30default_config_static_selectorELNS0_4arch9wavefront6targetE0EEEvT1_.num_agpr, 0
	.set _ZN7rocprim17ROCPRIM_400000_NS6detail17trampoline_kernelINS0_14default_configENS1_25partition_config_selectorILNS1_17partition_subalgoE5EyNS0_10empty_typeEbEEZZNS1_14partition_implILS5_5ELb0ES3_mN6thrust23THRUST_200600_302600_NS6detail15normal_iteratorINSA_10device_ptrIyEEEEPS6_NSA_18transform_iteratorINSB_9not_fun_tI7is_trueIyEEESF_NSA_11use_defaultESM_EENS0_5tupleIJSF_S6_EEENSO_IJSG_SG_EEES6_PlJS6_EEE10hipError_tPvRmT3_T4_T5_T6_T7_T9_mT8_P12ihipStream_tbDpT10_ENKUlT_T0_E_clISt17integral_constantIbLb1EES1B_EEDaS16_S17_EUlS16_E_NS1_11comp_targetILNS1_3genE2ELNS1_11target_archE906ELNS1_3gpuE6ELNS1_3repE0EEENS1_30default_config_static_selectorELNS0_4arch9wavefront6targetE0EEEvT1_.numbered_sgpr, 0
	.set _ZN7rocprim17ROCPRIM_400000_NS6detail17trampoline_kernelINS0_14default_configENS1_25partition_config_selectorILNS1_17partition_subalgoE5EyNS0_10empty_typeEbEEZZNS1_14partition_implILS5_5ELb0ES3_mN6thrust23THRUST_200600_302600_NS6detail15normal_iteratorINSA_10device_ptrIyEEEEPS6_NSA_18transform_iteratorINSB_9not_fun_tI7is_trueIyEEESF_NSA_11use_defaultESM_EENS0_5tupleIJSF_S6_EEENSO_IJSG_SG_EEES6_PlJS6_EEE10hipError_tPvRmT3_T4_T5_T6_T7_T9_mT8_P12ihipStream_tbDpT10_ENKUlT_T0_E_clISt17integral_constantIbLb1EES1B_EEDaS16_S17_EUlS16_E_NS1_11comp_targetILNS1_3genE2ELNS1_11target_archE906ELNS1_3gpuE6ELNS1_3repE0EEENS1_30default_config_static_selectorELNS0_4arch9wavefront6targetE0EEEvT1_.num_named_barrier, 0
	.set _ZN7rocprim17ROCPRIM_400000_NS6detail17trampoline_kernelINS0_14default_configENS1_25partition_config_selectorILNS1_17partition_subalgoE5EyNS0_10empty_typeEbEEZZNS1_14partition_implILS5_5ELb0ES3_mN6thrust23THRUST_200600_302600_NS6detail15normal_iteratorINSA_10device_ptrIyEEEEPS6_NSA_18transform_iteratorINSB_9not_fun_tI7is_trueIyEEESF_NSA_11use_defaultESM_EENS0_5tupleIJSF_S6_EEENSO_IJSG_SG_EEES6_PlJS6_EEE10hipError_tPvRmT3_T4_T5_T6_T7_T9_mT8_P12ihipStream_tbDpT10_ENKUlT_T0_E_clISt17integral_constantIbLb1EES1B_EEDaS16_S17_EUlS16_E_NS1_11comp_targetILNS1_3genE2ELNS1_11target_archE906ELNS1_3gpuE6ELNS1_3repE0EEENS1_30default_config_static_selectorELNS0_4arch9wavefront6targetE0EEEvT1_.private_seg_size, 0
	.set _ZN7rocprim17ROCPRIM_400000_NS6detail17trampoline_kernelINS0_14default_configENS1_25partition_config_selectorILNS1_17partition_subalgoE5EyNS0_10empty_typeEbEEZZNS1_14partition_implILS5_5ELb0ES3_mN6thrust23THRUST_200600_302600_NS6detail15normal_iteratorINSA_10device_ptrIyEEEEPS6_NSA_18transform_iteratorINSB_9not_fun_tI7is_trueIyEEESF_NSA_11use_defaultESM_EENS0_5tupleIJSF_S6_EEENSO_IJSG_SG_EEES6_PlJS6_EEE10hipError_tPvRmT3_T4_T5_T6_T7_T9_mT8_P12ihipStream_tbDpT10_ENKUlT_T0_E_clISt17integral_constantIbLb1EES1B_EEDaS16_S17_EUlS16_E_NS1_11comp_targetILNS1_3genE2ELNS1_11target_archE906ELNS1_3gpuE6ELNS1_3repE0EEENS1_30default_config_static_selectorELNS0_4arch9wavefront6targetE0EEEvT1_.uses_vcc, 0
	.set _ZN7rocprim17ROCPRIM_400000_NS6detail17trampoline_kernelINS0_14default_configENS1_25partition_config_selectorILNS1_17partition_subalgoE5EyNS0_10empty_typeEbEEZZNS1_14partition_implILS5_5ELb0ES3_mN6thrust23THRUST_200600_302600_NS6detail15normal_iteratorINSA_10device_ptrIyEEEEPS6_NSA_18transform_iteratorINSB_9not_fun_tI7is_trueIyEEESF_NSA_11use_defaultESM_EENS0_5tupleIJSF_S6_EEENSO_IJSG_SG_EEES6_PlJS6_EEE10hipError_tPvRmT3_T4_T5_T6_T7_T9_mT8_P12ihipStream_tbDpT10_ENKUlT_T0_E_clISt17integral_constantIbLb1EES1B_EEDaS16_S17_EUlS16_E_NS1_11comp_targetILNS1_3genE2ELNS1_11target_archE906ELNS1_3gpuE6ELNS1_3repE0EEENS1_30default_config_static_selectorELNS0_4arch9wavefront6targetE0EEEvT1_.uses_flat_scratch, 0
	.set _ZN7rocprim17ROCPRIM_400000_NS6detail17trampoline_kernelINS0_14default_configENS1_25partition_config_selectorILNS1_17partition_subalgoE5EyNS0_10empty_typeEbEEZZNS1_14partition_implILS5_5ELb0ES3_mN6thrust23THRUST_200600_302600_NS6detail15normal_iteratorINSA_10device_ptrIyEEEEPS6_NSA_18transform_iteratorINSB_9not_fun_tI7is_trueIyEEESF_NSA_11use_defaultESM_EENS0_5tupleIJSF_S6_EEENSO_IJSG_SG_EEES6_PlJS6_EEE10hipError_tPvRmT3_T4_T5_T6_T7_T9_mT8_P12ihipStream_tbDpT10_ENKUlT_T0_E_clISt17integral_constantIbLb1EES1B_EEDaS16_S17_EUlS16_E_NS1_11comp_targetILNS1_3genE2ELNS1_11target_archE906ELNS1_3gpuE6ELNS1_3repE0EEENS1_30default_config_static_selectorELNS0_4arch9wavefront6targetE0EEEvT1_.has_dyn_sized_stack, 0
	.set _ZN7rocprim17ROCPRIM_400000_NS6detail17trampoline_kernelINS0_14default_configENS1_25partition_config_selectorILNS1_17partition_subalgoE5EyNS0_10empty_typeEbEEZZNS1_14partition_implILS5_5ELb0ES3_mN6thrust23THRUST_200600_302600_NS6detail15normal_iteratorINSA_10device_ptrIyEEEEPS6_NSA_18transform_iteratorINSB_9not_fun_tI7is_trueIyEEESF_NSA_11use_defaultESM_EENS0_5tupleIJSF_S6_EEENSO_IJSG_SG_EEES6_PlJS6_EEE10hipError_tPvRmT3_T4_T5_T6_T7_T9_mT8_P12ihipStream_tbDpT10_ENKUlT_T0_E_clISt17integral_constantIbLb1EES1B_EEDaS16_S17_EUlS16_E_NS1_11comp_targetILNS1_3genE2ELNS1_11target_archE906ELNS1_3gpuE6ELNS1_3repE0EEENS1_30default_config_static_selectorELNS0_4arch9wavefront6targetE0EEEvT1_.has_recursion, 0
	.set _ZN7rocprim17ROCPRIM_400000_NS6detail17trampoline_kernelINS0_14default_configENS1_25partition_config_selectorILNS1_17partition_subalgoE5EyNS0_10empty_typeEbEEZZNS1_14partition_implILS5_5ELb0ES3_mN6thrust23THRUST_200600_302600_NS6detail15normal_iteratorINSA_10device_ptrIyEEEEPS6_NSA_18transform_iteratorINSB_9not_fun_tI7is_trueIyEEESF_NSA_11use_defaultESM_EENS0_5tupleIJSF_S6_EEENSO_IJSG_SG_EEES6_PlJS6_EEE10hipError_tPvRmT3_T4_T5_T6_T7_T9_mT8_P12ihipStream_tbDpT10_ENKUlT_T0_E_clISt17integral_constantIbLb1EES1B_EEDaS16_S17_EUlS16_E_NS1_11comp_targetILNS1_3genE2ELNS1_11target_archE906ELNS1_3gpuE6ELNS1_3repE0EEENS1_30default_config_static_selectorELNS0_4arch9wavefront6targetE0EEEvT1_.has_indirect_call, 0
	.section	.AMDGPU.csdata,"",@progbits
; Kernel info:
; codeLenInByte = 0
; TotalNumSgprs: 0
; NumVgprs: 0
; ScratchSize: 0
; MemoryBound: 0
; FloatMode: 240
; IeeeMode: 1
; LDSByteSize: 0 bytes/workgroup (compile time only)
; SGPRBlocks: 0
; VGPRBlocks: 0
; NumSGPRsForWavesPerEU: 1
; NumVGPRsForWavesPerEU: 1
; Occupancy: 16
; WaveLimiterHint : 0
; COMPUTE_PGM_RSRC2:SCRATCH_EN: 0
; COMPUTE_PGM_RSRC2:USER_SGPR: 2
; COMPUTE_PGM_RSRC2:TRAP_HANDLER: 0
; COMPUTE_PGM_RSRC2:TGID_X_EN: 1
; COMPUTE_PGM_RSRC2:TGID_Y_EN: 0
; COMPUTE_PGM_RSRC2:TGID_Z_EN: 0
; COMPUTE_PGM_RSRC2:TIDIG_COMP_CNT: 0
	.section	.text._ZN7rocprim17ROCPRIM_400000_NS6detail17trampoline_kernelINS0_14default_configENS1_25partition_config_selectorILNS1_17partition_subalgoE5EyNS0_10empty_typeEbEEZZNS1_14partition_implILS5_5ELb0ES3_mN6thrust23THRUST_200600_302600_NS6detail15normal_iteratorINSA_10device_ptrIyEEEEPS6_NSA_18transform_iteratorINSB_9not_fun_tI7is_trueIyEEESF_NSA_11use_defaultESM_EENS0_5tupleIJSF_S6_EEENSO_IJSG_SG_EEES6_PlJS6_EEE10hipError_tPvRmT3_T4_T5_T6_T7_T9_mT8_P12ihipStream_tbDpT10_ENKUlT_T0_E_clISt17integral_constantIbLb1EES1B_EEDaS16_S17_EUlS16_E_NS1_11comp_targetILNS1_3genE10ELNS1_11target_archE1200ELNS1_3gpuE4ELNS1_3repE0EEENS1_30default_config_static_selectorELNS0_4arch9wavefront6targetE0EEEvT1_,"axG",@progbits,_ZN7rocprim17ROCPRIM_400000_NS6detail17trampoline_kernelINS0_14default_configENS1_25partition_config_selectorILNS1_17partition_subalgoE5EyNS0_10empty_typeEbEEZZNS1_14partition_implILS5_5ELb0ES3_mN6thrust23THRUST_200600_302600_NS6detail15normal_iteratorINSA_10device_ptrIyEEEEPS6_NSA_18transform_iteratorINSB_9not_fun_tI7is_trueIyEEESF_NSA_11use_defaultESM_EENS0_5tupleIJSF_S6_EEENSO_IJSG_SG_EEES6_PlJS6_EEE10hipError_tPvRmT3_T4_T5_T6_T7_T9_mT8_P12ihipStream_tbDpT10_ENKUlT_T0_E_clISt17integral_constantIbLb1EES1B_EEDaS16_S17_EUlS16_E_NS1_11comp_targetILNS1_3genE10ELNS1_11target_archE1200ELNS1_3gpuE4ELNS1_3repE0EEENS1_30default_config_static_selectorELNS0_4arch9wavefront6targetE0EEEvT1_,comdat
	.protected	_ZN7rocprim17ROCPRIM_400000_NS6detail17trampoline_kernelINS0_14default_configENS1_25partition_config_selectorILNS1_17partition_subalgoE5EyNS0_10empty_typeEbEEZZNS1_14partition_implILS5_5ELb0ES3_mN6thrust23THRUST_200600_302600_NS6detail15normal_iteratorINSA_10device_ptrIyEEEEPS6_NSA_18transform_iteratorINSB_9not_fun_tI7is_trueIyEEESF_NSA_11use_defaultESM_EENS0_5tupleIJSF_S6_EEENSO_IJSG_SG_EEES6_PlJS6_EEE10hipError_tPvRmT3_T4_T5_T6_T7_T9_mT8_P12ihipStream_tbDpT10_ENKUlT_T0_E_clISt17integral_constantIbLb1EES1B_EEDaS16_S17_EUlS16_E_NS1_11comp_targetILNS1_3genE10ELNS1_11target_archE1200ELNS1_3gpuE4ELNS1_3repE0EEENS1_30default_config_static_selectorELNS0_4arch9wavefront6targetE0EEEvT1_ ; -- Begin function _ZN7rocprim17ROCPRIM_400000_NS6detail17trampoline_kernelINS0_14default_configENS1_25partition_config_selectorILNS1_17partition_subalgoE5EyNS0_10empty_typeEbEEZZNS1_14partition_implILS5_5ELb0ES3_mN6thrust23THRUST_200600_302600_NS6detail15normal_iteratorINSA_10device_ptrIyEEEEPS6_NSA_18transform_iteratorINSB_9not_fun_tI7is_trueIyEEESF_NSA_11use_defaultESM_EENS0_5tupleIJSF_S6_EEENSO_IJSG_SG_EEES6_PlJS6_EEE10hipError_tPvRmT3_T4_T5_T6_T7_T9_mT8_P12ihipStream_tbDpT10_ENKUlT_T0_E_clISt17integral_constantIbLb1EES1B_EEDaS16_S17_EUlS16_E_NS1_11comp_targetILNS1_3genE10ELNS1_11target_archE1200ELNS1_3gpuE4ELNS1_3repE0EEENS1_30default_config_static_selectorELNS0_4arch9wavefront6targetE0EEEvT1_
	.globl	_ZN7rocprim17ROCPRIM_400000_NS6detail17trampoline_kernelINS0_14default_configENS1_25partition_config_selectorILNS1_17partition_subalgoE5EyNS0_10empty_typeEbEEZZNS1_14partition_implILS5_5ELb0ES3_mN6thrust23THRUST_200600_302600_NS6detail15normal_iteratorINSA_10device_ptrIyEEEEPS6_NSA_18transform_iteratorINSB_9not_fun_tI7is_trueIyEEESF_NSA_11use_defaultESM_EENS0_5tupleIJSF_S6_EEENSO_IJSG_SG_EEES6_PlJS6_EEE10hipError_tPvRmT3_T4_T5_T6_T7_T9_mT8_P12ihipStream_tbDpT10_ENKUlT_T0_E_clISt17integral_constantIbLb1EES1B_EEDaS16_S17_EUlS16_E_NS1_11comp_targetILNS1_3genE10ELNS1_11target_archE1200ELNS1_3gpuE4ELNS1_3repE0EEENS1_30default_config_static_selectorELNS0_4arch9wavefront6targetE0EEEvT1_
	.p2align	8
	.type	_ZN7rocprim17ROCPRIM_400000_NS6detail17trampoline_kernelINS0_14default_configENS1_25partition_config_selectorILNS1_17partition_subalgoE5EyNS0_10empty_typeEbEEZZNS1_14partition_implILS5_5ELb0ES3_mN6thrust23THRUST_200600_302600_NS6detail15normal_iteratorINSA_10device_ptrIyEEEEPS6_NSA_18transform_iteratorINSB_9not_fun_tI7is_trueIyEEESF_NSA_11use_defaultESM_EENS0_5tupleIJSF_S6_EEENSO_IJSG_SG_EEES6_PlJS6_EEE10hipError_tPvRmT3_T4_T5_T6_T7_T9_mT8_P12ihipStream_tbDpT10_ENKUlT_T0_E_clISt17integral_constantIbLb1EES1B_EEDaS16_S17_EUlS16_E_NS1_11comp_targetILNS1_3genE10ELNS1_11target_archE1200ELNS1_3gpuE4ELNS1_3repE0EEENS1_30default_config_static_selectorELNS0_4arch9wavefront6targetE0EEEvT1_,@function
_ZN7rocprim17ROCPRIM_400000_NS6detail17trampoline_kernelINS0_14default_configENS1_25partition_config_selectorILNS1_17partition_subalgoE5EyNS0_10empty_typeEbEEZZNS1_14partition_implILS5_5ELb0ES3_mN6thrust23THRUST_200600_302600_NS6detail15normal_iteratorINSA_10device_ptrIyEEEEPS6_NSA_18transform_iteratorINSB_9not_fun_tI7is_trueIyEEESF_NSA_11use_defaultESM_EENS0_5tupleIJSF_S6_EEENSO_IJSG_SG_EEES6_PlJS6_EEE10hipError_tPvRmT3_T4_T5_T6_T7_T9_mT8_P12ihipStream_tbDpT10_ENKUlT_T0_E_clISt17integral_constantIbLb1EES1B_EEDaS16_S17_EUlS16_E_NS1_11comp_targetILNS1_3genE10ELNS1_11target_archE1200ELNS1_3gpuE4ELNS1_3repE0EEENS1_30default_config_static_selectorELNS0_4arch9wavefront6targetE0EEEvT1_: ; @_ZN7rocprim17ROCPRIM_400000_NS6detail17trampoline_kernelINS0_14default_configENS1_25partition_config_selectorILNS1_17partition_subalgoE5EyNS0_10empty_typeEbEEZZNS1_14partition_implILS5_5ELb0ES3_mN6thrust23THRUST_200600_302600_NS6detail15normal_iteratorINSA_10device_ptrIyEEEEPS6_NSA_18transform_iteratorINSB_9not_fun_tI7is_trueIyEEESF_NSA_11use_defaultESM_EENS0_5tupleIJSF_S6_EEENSO_IJSG_SG_EEES6_PlJS6_EEE10hipError_tPvRmT3_T4_T5_T6_T7_T9_mT8_P12ihipStream_tbDpT10_ENKUlT_T0_E_clISt17integral_constantIbLb1EES1B_EEDaS16_S17_EUlS16_E_NS1_11comp_targetILNS1_3genE10ELNS1_11target_archE1200ELNS1_3gpuE4ELNS1_3repE0EEENS1_30default_config_static_selectorELNS0_4arch9wavefront6targetE0EEEvT1_
; %bb.0:
	s_endpgm
	.section	.rodata,"a",@progbits
	.p2align	6, 0x0
	.amdhsa_kernel _ZN7rocprim17ROCPRIM_400000_NS6detail17trampoline_kernelINS0_14default_configENS1_25partition_config_selectorILNS1_17partition_subalgoE5EyNS0_10empty_typeEbEEZZNS1_14partition_implILS5_5ELb0ES3_mN6thrust23THRUST_200600_302600_NS6detail15normal_iteratorINSA_10device_ptrIyEEEEPS6_NSA_18transform_iteratorINSB_9not_fun_tI7is_trueIyEEESF_NSA_11use_defaultESM_EENS0_5tupleIJSF_S6_EEENSO_IJSG_SG_EEES6_PlJS6_EEE10hipError_tPvRmT3_T4_T5_T6_T7_T9_mT8_P12ihipStream_tbDpT10_ENKUlT_T0_E_clISt17integral_constantIbLb1EES1B_EEDaS16_S17_EUlS16_E_NS1_11comp_targetILNS1_3genE10ELNS1_11target_archE1200ELNS1_3gpuE4ELNS1_3repE0EEENS1_30default_config_static_selectorELNS0_4arch9wavefront6targetE0EEEvT1_
		.amdhsa_group_segment_fixed_size 0
		.amdhsa_private_segment_fixed_size 0
		.amdhsa_kernarg_size 136
		.amdhsa_user_sgpr_count 2
		.amdhsa_user_sgpr_dispatch_ptr 0
		.amdhsa_user_sgpr_queue_ptr 0
		.amdhsa_user_sgpr_kernarg_segment_ptr 1
		.amdhsa_user_sgpr_dispatch_id 0
		.amdhsa_user_sgpr_private_segment_size 0
		.amdhsa_wavefront_size32 1
		.amdhsa_uses_dynamic_stack 0
		.amdhsa_enable_private_segment 0
		.amdhsa_system_sgpr_workgroup_id_x 1
		.amdhsa_system_sgpr_workgroup_id_y 0
		.amdhsa_system_sgpr_workgroup_id_z 0
		.amdhsa_system_sgpr_workgroup_info 0
		.amdhsa_system_vgpr_workitem_id 0
		.amdhsa_next_free_vgpr 1
		.amdhsa_next_free_sgpr 1
		.amdhsa_reserve_vcc 0
		.amdhsa_float_round_mode_32 0
		.amdhsa_float_round_mode_16_64 0
		.amdhsa_float_denorm_mode_32 3
		.amdhsa_float_denorm_mode_16_64 3
		.amdhsa_fp16_overflow 0
		.amdhsa_workgroup_processor_mode 1
		.amdhsa_memory_ordered 1
		.amdhsa_forward_progress 1
		.amdhsa_inst_pref_size 1
		.amdhsa_round_robin_scheduling 0
		.amdhsa_exception_fp_ieee_invalid_op 0
		.amdhsa_exception_fp_denorm_src 0
		.amdhsa_exception_fp_ieee_div_zero 0
		.amdhsa_exception_fp_ieee_overflow 0
		.amdhsa_exception_fp_ieee_underflow 0
		.amdhsa_exception_fp_ieee_inexact 0
		.amdhsa_exception_int_div_zero 0
	.end_amdhsa_kernel
	.section	.text._ZN7rocprim17ROCPRIM_400000_NS6detail17trampoline_kernelINS0_14default_configENS1_25partition_config_selectorILNS1_17partition_subalgoE5EyNS0_10empty_typeEbEEZZNS1_14partition_implILS5_5ELb0ES3_mN6thrust23THRUST_200600_302600_NS6detail15normal_iteratorINSA_10device_ptrIyEEEEPS6_NSA_18transform_iteratorINSB_9not_fun_tI7is_trueIyEEESF_NSA_11use_defaultESM_EENS0_5tupleIJSF_S6_EEENSO_IJSG_SG_EEES6_PlJS6_EEE10hipError_tPvRmT3_T4_T5_T6_T7_T9_mT8_P12ihipStream_tbDpT10_ENKUlT_T0_E_clISt17integral_constantIbLb1EES1B_EEDaS16_S17_EUlS16_E_NS1_11comp_targetILNS1_3genE10ELNS1_11target_archE1200ELNS1_3gpuE4ELNS1_3repE0EEENS1_30default_config_static_selectorELNS0_4arch9wavefront6targetE0EEEvT1_,"axG",@progbits,_ZN7rocprim17ROCPRIM_400000_NS6detail17trampoline_kernelINS0_14default_configENS1_25partition_config_selectorILNS1_17partition_subalgoE5EyNS0_10empty_typeEbEEZZNS1_14partition_implILS5_5ELb0ES3_mN6thrust23THRUST_200600_302600_NS6detail15normal_iteratorINSA_10device_ptrIyEEEEPS6_NSA_18transform_iteratorINSB_9not_fun_tI7is_trueIyEEESF_NSA_11use_defaultESM_EENS0_5tupleIJSF_S6_EEENSO_IJSG_SG_EEES6_PlJS6_EEE10hipError_tPvRmT3_T4_T5_T6_T7_T9_mT8_P12ihipStream_tbDpT10_ENKUlT_T0_E_clISt17integral_constantIbLb1EES1B_EEDaS16_S17_EUlS16_E_NS1_11comp_targetILNS1_3genE10ELNS1_11target_archE1200ELNS1_3gpuE4ELNS1_3repE0EEENS1_30default_config_static_selectorELNS0_4arch9wavefront6targetE0EEEvT1_,comdat
.Lfunc_end1381:
	.size	_ZN7rocprim17ROCPRIM_400000_NS6detail17trampoline_kernelINS0_14default_configENS1_25partition_config_selectorILNS1_17partition_subalgoE5EyNS0_10empty_typeEbEEZZNS1_14partition_implILS5_5ELb0ES3_mN6thrust23THRUST_200600_302600_NS6detail15normal_iteratorINSA_10device_ptrIyEEEEPS6_NSA_18transform_iteratorINSB_9not_fun_tI7is_trueIyEEESF_NSA_11use_defaultESM_EENS0_5tupleIJSF_S6_EEENSO_IJSG_SG_EEES6_PlJS6_EEE10hipError_tPvRmT3_T4_T5_T6_T7_T9_mT8_P12ihipStream_tbDpT10_ENKUlT_T0_E_clISt17integral_constantIbLb1EES1B_EEDaS16_S17_EUlS16_E_NS1_11comp_targetILNS1_3genE10ELNS1_11target_archE1200ELNS1_3gpuE4ELNS1_3repE0EEENS1_30default_config_static_selectorELNS0_4arch9wavefront6targetE0EEEvT1_, .Lfunc_end1381-_ZN7rocprim17ROCPRIM_400000_NS6detail17trampoline_kernelINS0_14default_configENS1_25partition_config_selectorILNS1_17partition_subalgoE5EyNS0_10empty_typeEbEEZZNS1_14partition_implILS5_5ELb0ES3_mN6thrust23THRUST_200600_302600_NS6detail15normal_iteratorINSA_10device_ptrIyEEEEPS6_NSA_18transform_iteratorINSB_9not_fun_tI7is_trueIyEEESF_NSA_11use_defaultESM_EENS0_5tupleIJSF_S6_EEENSO_IJSG_SG_EEES6_PlJS6_EEE10hipError_tPvRmT3_T4_T5_T6_T7_T9_mT8_P12ihipStream_tbDpT10_ENKUlT_T0_E_clISt17integral_constantIbLb1EES1B_EEDaS16_S17_EUlS16_E_NS1_11comp_targetILNS1_3genE10ELNS1_11target_archE1200ELNS1_3gpuE4ELNS1_3repE0EEENS1_30default_config_static_selectorELNS0_4arch9wavefront6targetE0EEEvT1_
                                        ; -- End function
	.set _ZN7rocprim17ROCPRIM_400000_NS6detail17trampoline_kernelINS0_14default_configENS1_25partition_config_selectorILNS1_17partition_subalgoE5EyNS0_10empty_typeEbEEZZNS1_14partition_implILS5_5ELb0ES3_mN6thrust23THRUST_200600_302600_NS6detail15normal_iteratorINSA_10device_ptrIyEEEEPS6_NSA_18transform_iteratorINSB_9not_fun_tI7is_trueIyEEESF_NSA_11use_defaultESM_EENS0_5tupleIJSF_S6_EEENSO_IJSG_SG_EEES6_PlJS6_EEE10hipError_tPvRmT3_T4_T5_T6_T7_T9_mT8_P12ihipStream_tbDpT10_ENKUlT_T0_E_clISt17integral_constantIbLb1EES1B_EEDaS16_S17_EUlS16_E_NS1_11comp_targetILNS1_3genE10ELNS1_11target_archE1200ELNS1_3gpuE4ELNS1_3repE0EEENS1_30default_config_static_selectorELNS0_4arch9wavefront6targetE0EEEvT1_.num_vgpr, 0
	.set _ZN7rocprim17ROCPRIM_400000_NS6detail17trampoline_kernelINS0_14default_configENS1_25partition_config_selectorILNS1_17partition_subalgoE5EyNS0_10empty_typeEbEEZZNS1_14partition_implILS5_5ELb0ES3_mN6thrust23THRUST_200600_302600_NS6detail15normal_iteratorINSA_10device_ptrIyEEEEPS6_NSA_18transform_iteratorINSB_9not_fun_tI7is_trueIyEEESF_NSA_11use_defaultESM_EENS0_5tupleIJSF_S6_EEENSO_IJSG_SG_EEES6_PlJS6_EEE10hipError_tPvRmT3_T4_T5_T6_T7_T9_mT8_P12ihipStream_tbDpT10_ENKUlT_T0_E_clISt17integral_constantIbLb1EES1B_EEDaS16_S17_EUlS16_E_NS1_11comp_targetILNS1_3genE10ELNS1_11target_archE1200ELNS1_3gpuE4ELNS1_3repE0EEENS1_30default_config_static_selectorELNS0_4arch9wavefront6targetE0EEEvT1_.num_agpr, 0
	.set _ZN7rocprim17ROCPRIM_400000_NS6detail17trampoline_kernelINS0_14default_configENS1_25partition_config_selectorILNS1_17partition_subalgoE5EyNS0_10empty_typeEbEEZZNS1_14partition_implILS5_5ELb0ES3_mN6thrust23THRUST_200600_302600_NS6detail15normal_iteratorINSA_10device_ptrIyEEEEPS6_NSA_18transform_iteratorINSB_9not_fun_tI7is_trueIyEEESF_NSA_11use_defaultESM_EENS0_5tupleIJSF_S6_EEENSO_IJSG_SG_EEES6_PlJS6_EEE10hipError_tPvRmT3_T4_T5_T6_T7_T9_mT8_P12ihipStream_tbDpT10_ENKUlT_T0_E_clISt17integral_constantIbLb1EES1B_EEDaS16_S17_EUlS16_E_NS1_11comp_targetILNS1_3genE10ELNS1_11target_archE1200ELNS1_3gpuE4ELNS1_3repE0EEENS1_30default_config_static_selectorELNS0_4arch9wavefront6targetE0EEEvT1_.numbered_sgpr, 0
	.set _ZN7rocprim17ROCPRIM_400000_NS6detail17trampoline_kernelINS0_14default_configENS1_25partition_config_selectorILNS1_17partition_subalgoE5EyNS0_10empty_typeEbEEZZNS1_14partition_implILS5_5ELb0ES3_mN6thrust23THRUST_200600_302600_NS6detail15normal_iteratorINSA_10device_ptrIyEEEEPS6_NSA_18transform_iteratorINSB_9not_fun_tI7is_trueIyEEESF_NSA_11use_defaultESM_EENS0_5tupleIJSF_S6_EEENSO_IJSG_SG_EEES6_PlJS6_EEE10hipError_tPvRmT3_T4_T5_T6_T7_T9_mT8_P12ihipStream_tbDpT10_ENKUlT_T0_E_clISt17integral_constantIbLb1EES1B_EEDaS16_S17_EUlS16_E_NS1_11comp_targetILNS1_3genE10ELNS1_11target_archE1200ELNS1_3gpuE4ELNS1_3repE0EEENS1_30default_config_static_selectorELNS0_4arch9wavefront6targetE0EEEvT1_.num_named_barrier, 0
	.set _ZN7rocprim17ROCPRIM_400000_NS6detail17trampoline_kernelINS0_14default_configENS1_25partition_config_selectorILNS1_17partition_subalgoE5EyNS0_10empty_typeEbEEZZNS1_14partition_implILS5_5ELb0ES3_mN6thrust23THRUST_200600_302600_NS6detail15normal_iteratorINSA_10device_ptrIyEEEEPS6_NSA_18transform_iteratorINSB_9not_fun_tI7is_trueIyEEESF_NSA_11use_defaultESM_EENS0_5tupleIJSF_S6_EEENSO_IJSG_SG_EEES6_PlJS6_EEE10hipError_tPvRmT3_T4_T5_T6_T7_T9_mT8_P12ihipStream_tbDpT10_ENKUlT_T0_E_clISt17integral_constantIbLb1EES1B_EEDaS16_S17_EUlS16_E_NS1_11comp_targetILNS1_3genE10ELNS1_11target_archE1200ELNS1_3gpuE4ELNS1_3repE0EEENS1_30default_config_static_selectorELNS0_4arch9wavefront6targetE0EEEvT1_.private_seg_size, 0
	.set _ZN7rocprim17ROCPRIM_400000_NS6detail17trampoline_kernelINS0_14default_configENS1_25partition_config_selectorILNS1_17partition_subalgoE5EyNS0_10empty_typeEbEEZZNS1_14partition_implILS5_5ELb0ES3_mN6thrust23THRUST_200600_302600_NS6detail15normal_iteratorINSA_10device_ptrIyEEEEPS6_NSA_18transform_iteratorINSB_9not_fun_tI7is_trueIyEEESF_NSA_11use_defaultESM_EENS0_5tupleIJSF_S6_EEENSO_IJSG_SG_EEES6_PlJS6_EEE10hipError_tPvRmT3_T4_T5_T6_T7_T9_mT8_P12ihipStream_tbDpT10_ENKUlT_T0_E_clISt17integral_constantIbLb1EES1B_EEDaS16_S17_EUlS16_E_NS1_11comp_targetILNS1_3genE10ELNS1_11target_archE1200ELNS1_3gpuE4ELNS1_3repE0EEENS1_30default_config_static_selectorELNS0_4arch9wavefront6targetE0EEEvT1_.uses_vcc, 0
	.set _ZN7rocprim17ROCPRIM_400000_NS6detail17trampoline_kernelINS0_14default_configENS1_25partition_config_selectorILNS1_17partition_subalgoE5EyNS0_10empty_typeEbEEZZNS1_14partition_implILS5_5ELb0ES3_mN6thrust23THRUST_200600_302600_NS6detail15normal_iteratorINSA_10device_ptrIyEEEEPS6_NSA_18transform_iteratorINSB_9not_fun_tI7is_trueIyEEESF_NSA_11use_defaultESM_EENS0_5tupleIJSF_S6_EEENSO_IJSG_SG_EEES6_PlJS6_EEE10hipError_tPvRmT3_T4_T5_T6_T7_T9_mT8_P12ihipStream_tbDpT10_ENKUlT_T0_E_clISt17integral_constantIbLb1EES1B_EEDaS16_S17_EUlS16_E_NS1_11comp_targetILNS1_3genE10ELNS1_11target_archE1200ELNS1_3gpuE4ELNS1_3repE0EEENS1_30default_config_static_selectorELNS0_4arch9wavefront6targetE0EEEvT1_.uses_flat_scratch, 0
	.set _ZN7rocprim17ROCPRIM_400000_NS6detail17trampoline_kernelINS0_14default_configENS1_25partition_config_selectorILNS1_17partition_subalgoE5EyNS0_10empty_typeEbEEZZNS1_14partition_implILS5_5ELb0ES3_mN6thrust23THRUST_200600_302600_NS6detail15normal_iteratorINSA_10device_ptrIyEEEEPS6_NSA_18transform_iteratorINSB_9not_fun_tI7is_trueIyEEESF_NSA_11use_defaultESM_EENS0_5tupleIJSF_S6_EEENSO_IJSG_SG_EEES6_PlJS6_EEE10hipError_tPvRmT3_T4_T5_T6_T7_T9_mT8_P12ihipStream_tbDpT10_ENKUlT_T0_E_clISt17integral_constantIbLb1EES1B_EEDaS16_S17_EUlS16_E_NS1_11comp_targetILNS1_3genE10ELNS1_11target_archE1200ELNS1_3gpuE4ELNS1_3repE0EEENS1_30default_config_static_selectorELNS0_4arch9wavefront6targetE0EEEvT1_.has_dyn_sized_stack, 0
	.set _ZN7rocprim17ROCPRIM_400000_NS6detail17trampoline_kernelINS0_14default_configENS1_25partition_config_selectorILNS1_17partition_subalgoE5EyNS0_10empty_typeEbEEZZNS1_14partition_implILS5_5ELb0ES3_mN6thrust23THRUST_200600_302600_NS6detail15normal_iteratorINSA_10device_ptrIyEEEEPS6_NSA_18transform_iteratorINSB_9not_fun_tI7is_trueIyEEESF_NSA_11use_defaultESM_EENS0_5tupleIJSF_S6_EEENSO_IJSG_SG_EEES6_PlJS6_EEE10hipError_tPvRmT3_T4_T5_T6_T7_T9_mT8_P12ihipStream_tbDpT10_ENKUlT_T0_E_clISt17integral_constantIbLb1EES1B_EEDaS16_S17_EUlS16_E_NS1_11comp_targetILNS1_3genE10ELNS1_11target_archE1200ELNS1_3gpuE4ELNS1_3repE0EEENS1_30default_config_static_selectorELNS0_4arch9wavefront6targetE0EEEvT1_.has_recursion, 0
	.set _ZN7rocprim17ROCPRIM_400000_NS6detail17trampoline_kernelINS0_14default_configENS1_25partition_config_selectorILNS1_17partition_subalgoE5EyNS0_10empty_typeEbEEZZNS1_14partition_implILS5_5ELb0ES3_mN6thrust23THRUST_200600_302600_NS6detail15normal_iteratorINSA_10device_ptrIyEEEEPS6_NSA_18transform_iteratorINSB_9not_fun_tI7is_trueIyEEESF_NSA_11use_defaultESM_EENS0_5tupleIJSF_S6_EEENSO_IJSG_SG_EEES6_PlJS6_EEE10hipError_tPvRmT3_T4_T5_T6_T7_T9_mT8_P12ihipStream_tbDpT10_ENKUlT_T0_E_clISt17integral_constantIbLb1EES1B_EEDaS16_S17_EUlS16_E_NS1_11comp_targetILNS1_3genE10ELNS1_11target_archE1200ELNS1_3gpuE4ELNS1_3repE0EEENS1_30default_config_static_selectorELNS0_4arch9wavefront6targetE0EEEvT1_.has_indirect_call, 0
	.section	.AMDGPU.csdata,"",@progbits
; Kernel info:
; codeLenInByte = 4
; TotalNumSgprs: 0
; NumVgprs: 0
; ScratchSize: 0
; MemoryBound: 0
; FloatMode: 240
; IeeeMode: 1
; LDSByteSize: 0 bytes/workgroup (compile time only)
; SGPRBlocks: 0
; VGPRBlocks: 0
; NumSGPRsForWavesPerEU: 1
; NumVGPRsForWavesPerEU: 1
; Occupancy: 16
; WaveLimiterHint : 0
; COMPUTE_PGM_RSRC2:SCRATCH_EN: 0
; COMPUTE_PGM_RSRC2:USER_SGPR: 2
; COMPUTE_PGM_RSRC2:TRAP_HANDLER: 0
; COMPUTE_PGM_RSRC2:TGID_X_EN: 1
; COMPUTE_PGM_RSRC2:TGID_Y_EN: 0
; COMPUTE_PGM_RSRC2:TGID_Z_EN: 0
; COMPUTE_PGM_RSRC2:TIDIG_COMP_CNT: 0
	.section	.text._ZN7rocprim17ROCPRIM_400000_NS6detail17trampoline_kernelINS0_14default_configENS1_25partition_config_selectorILNS1_17partition_subalgoE5EyNS0_10empty_typeEbEEZZNS1_14partition_implILS5_5ELb0ES3_mN6thrust23THRUST_200600_302600_NS6detail15normal_iteratorINSA_10device_ptrIyEEEEPS6_NSA_18transform_iteratorINSB_9not_fun_tI7is_trueIyEEESF_NSA_11use_defaultESM_EENS0_5tupleIJSF_S6_EEENSO_IJSG_SG_EEES6_PlJS6_EEE10hipError_tPvRmT3_T4_T5_T6_T7_T9_mT8_P12ihipStream_tbDpT10_ENKUlT_T0_E_clISt17integral_constantIbLb1EES1B_EEDaS16_S17_EUlS16_E_NS1_11comp_targetILNS1_3genE9ELNS1_11target_archE1100ELNS1_3gpuE3ELNS1_3repE0EEENS1_30default_config_static_selectorELNS0_4arch9wavefront6targetE0EEEvT1_,"axG",@progbits,_ZN7rocprim17ROCPRIM_400000_NS6detail17trampoline_kernelINS0_14default_configENS1_25partition_config_selectorILNS1_17partition_subalgoE5EyNS0_10empty_typeEbEEZZNS1_14partition_implILS5_5ELb0ES3_mN6thrust23THRUST_200600_302600_NS6detail15normal_iteratorINSA_10device_ptrIyEEEEPS6_NSA_18transform_iteratorINSB_9not_fun_tI7is_trueIyEEESF_NSA_11use_defaultESM_EENS0_5tupleIJSF_S6_EEENSO_IJSG_SG_EEES6_PlJS6_EEE10hipError_tPvRmT3_T4_T5_T6_T7_T9_mT8_P12ihipStream_tbDpT10_ENKUlT_T0_E_clISt17integral_constantIbLb1EES1B_EEDaS16_S17_EUlS16_E_NS1_11comp_targetILNS1_3genE9ELNS1_11target_archE1100ELNS1_3gpuE3ELNS1_3repE0EEENS1_30default_config_static_selectorELNS0_4arch9wavefront6targetE0EEEvT1_,comdat
	.protected	_ZN7rocprim17ROCPRIM_400000_NS6detail17trampoline_kernelINS0_14default_configENS1_25partition_config_selectorILNS1_17partition_subalgoE5EyNS0_10empty_typeEbEEZZNS1_14partition_implILS5_5ELb0ES3_mN6thrust23THRUST_200600_302600_NS6detail15normal_iteratorINSA_10device_ptrIyEEEEPS6_NSA_18transform_iteratorINSB_9not_fun_tI7is_trueIyEEESF_NSA_11use_defaultESM_EENS0_5tupleIJSF_S6_EEENSO_IJSG_SG_EEES6_PlJS6_EEE10hipError_tPvRmT3_T4_T5_T6_T7_T9_mT8_P12ihipStream_tbDpT10_ENKUlT_T0_E_clISt17integral_constantIbLb1EES1B_EEDaS16_S17_EUlS16_E_NS1_11comp_targetILNS1_3genE9ELNS1_11target_archE1100ELNS1_3gpuE3ELNS1_3repE0EEENS1_30default_config_static_selectorELNS0_4arch9wavefront6targetE0EEEvT1_ ; -- Begin function _ZN7rocprim17ROCPRIM_400000_NS6detail17trampoline_kernelINS0_14default_configENS1_25partition_config_selectorILNS1_17partition_subalgoE5EyNS0_10empty_typeEbEEZZNS1_14partition_implILS5_5ELb0ES3_mN6thrust23THRUST_200600_302600_NS6detail15normal_iteratorINSA_10device_ptrIyEEEEPS6_NSA_18transform_iteratorINSB_9not_fun_tI7is_trueIyEEESF_NSA_11use_defaultESM_EENS0_5tupleIJSF_S6_EEENSO_IJSG_SG_EEES6_PlJS6_EEE10hipError_tPvRmT3_T4_T5_T6_T7_T9_mT8_P12ihipStream_tbDpT10_ENKUlT_T0_E_clISt17integral_constantIbLb1EES1B_EEDaS16_S17_EUlS16_E_NS1_11comp_targetILNS1_3genE9ELNS1_11target_archE1100ELNS1_3gpuE3ELNS1_3repE0EEENS1_30default_config_static_selectorELNS0_4arch9wavefront6targetE0EEEvT1_
	.globl	_ZN7rocprim17ROCPRIM_400000_NS6detail17trampoline_kernelINS0_14default_configENS1_25partition_config_selectorILNS1_17partition_subalgoE5EyNS0_10empty_typeEbEEZZNS1_14partition_implILS5_5ELb0ES3_mN6thrust23THRUST_200600_302600_NS6detail15normal_iteratorINSA_10device_ptrIyEEEEPS6_NSA_18transform_iteratorINSB_9not_fun_tI7is_trueIyEEESF_NSA_11use_defaultESM_EENS0_5tupleIJSF_S6_EEENSO_IJSG_SG_EEES6_PlJS6_EEE10hipError_tPvRmT3_T4_T5_T6_T7_T9_mT8_P12ihipStream_tbDpT10_ENKUlT_T0_E_clISt17integral_constantIbLb1EES1B_EEDaS16_S17_EUlS16_E_NS1_11comp_targetILNS1_3genE9ELNS1_11target_archE1100ELNS1_3gpuE3ELNS1_3repE0EEENS1_30default_config_static_selectorELNS0_4arch9wavefront6targetE0EEEvT1_
	.p2align	8
	.type	_ZN7rocprim17ROCPRIM_400000_NS6detail17trampoline_kernelINS0_14default_configENS1_25partition_config_selectorILNS1_17partition_subalgoE5EyNS0_10empty_typeEbEEZZNS1_14partition_implILS5_5ELb0ES3_mN6thrust23THRUST_200600_302600_NS6detail15normal_iteratorINSA_10device_ptrIyEEEEPS6_NSA_18transform_iteratorINSB_9not_fun_tI7is_trueIyEEESF_NSA_11use_defaultESM_EENS0_5tupleIJSF_S6_EEENSO_IJSG_SG_EEES6_PlJS6_EEE10hipError_tPvRmT3_T4_T5_T6_T7_T9_mT8_P12ihipStream_tbDpT10_ENKUlT_T0_E_clISt17integral_constantIbLb1EES1B_EEDaS16_S17_EUlS16_E_NS1_11comp_targetILNS1_3genE9ELNS1_11target_archE1100ELNS1_3gpuE3ELNS1_3repE0EEENS1_30default_config_static_selectorELNS0_4arch9wavefront6targetE0EEEvT1_,@function
_ZN7rocprim17ROCPRIM_400000_NS6detail17trampoline_kernelINS0_14default_configENS1_25partition_config_selectorILNS1_17partition_subalgoE5EyNS0_10empty_typeEbEEZZNS1_14partition_implILS5_5ELb0ES3_mN6thrust23THRUST_200600_302600_NS6detail15normal_iteratorINSA_10device_ptrIyEEEEPS6_NSA_18transform_iteratorINSB_9not_fun_tI7is_trueIyEEESF_NSA_11use_defaultESM_EENS0_5tupleIJSF_S6_EEENSO_IJSG_SG_EEES6_PlJS6_EEE10hipError_tPvRmT3_T4_T5_T6_T7_T9_mT8_P12ihipStream_tbDpT10_ENKUlT_T0_E_clISt17integral_constantIbLb1EES1B_EEDaS16_S17_EUlS16_E_NS1_11comp_targetILNS1_3genE9ELNS1_11target_archE1100ELNS1_3gpuE3ELNS1_3repE0EEENS1_30default_config_static_selectorELNS0_4arch9wavefront6targetE0EEEvT1_: ; @_ZN7rocprim17ROCPRIM_400000_NS6detail17trampoline_kernelINS0_14default_configENS1_25partition_config_selectorILNS1_17partition_subalgoE5EyNS0_10empty_typeEbEEZZNS1_14partition_implILS5_5ELb0ES3_mN6thrust23THRUST_200600_302600_NS6detail15normal_iteratorINSA_10device_ptrIyEEEEPS6_NSA_18transform_iteratorINSB_9not_fun_tI7is_trueIyEEESF_NSA_11use_defaultESM_EENS0_5tupleIJSF_S6_EEENSO_IJSG_SG_EEES6_PlJS6_EEE10hipError_tPvRmT3_T4_T5_T6_T7_T9_mT8_P12ihipStream_tbDpT10_ENKUlT_T0_E_clISt17integral_constantIbLb1EES1B_EEDaS16_S17_EUlS16_E_NS1_11comp_targetILNS1_3genE9ELNS1_11target_archE1100ELNS1_3gpuE3ELNS1_3repE0EEENS1_30default_config_static_selectorELNS0_4arch9wavefront6targetE0EEEvT1_
; %bb.0:
	.section	.rodata,"a",@progbits
	.p2align	6, 0x0
	.amdhsa_kernel _ZN7rocprim17ROCPRIM_400000_NS6detail17trampoline_kernelINS0_14default_configENS1_25partition_config_selectorILNS1_17partition_subalgoE5EyNS0_10empty_typeEbEEZZNS1_14partition_implILS5_5ELb0ES3_mN6thrust23THRUST_200600_302600_NS6detail15normal_iteratorINSA_10device_ptrIyEEEEPS6_NSA_18transform_iteratorINSB_9not_fun_tI7is_trueIyEEESF_NSA_11use_defaultESM_EENS0_5tupleIJSF_S6_EEENSO_IJSG_SG_EEES6_PlJS6_EEE10hipError_tPvRmT3_T4_T5_T6_T7_T9_mT8_P12ihipStream_tbDpT10_ENKUlT_T0_E_clISt17integral_constantIbLb1EES1B_EEDaS16_S17_EUlS16_E_NS1_11comp_targetILNS1_3genE9ELNS1_11target_archE1100ELNS1_3gpuE3ELNS1_3repE0EEENS1_30default_config_static_selectorELNS0_4arch9wavefront6targetE0EEEvT1_
		.amdhsa_group_segment_fixed_size 0
		.amdhsa_private_segment_fixed_size 0
		.amdhsa_kernarg_size 136
		.amdhsa_user_sgpr_count 2
		.amdhsa_user_sgpr_dispatch_ptr 0
		.amdhsa_user_sgpr_queue_ptr 0
		.amdhsa_user_sgpr_kernarg_segment_ptr 1
		.amdhsa_user_sgpr_dispatch_id 0
		.amdhsa_user_sgpr_private_segment_size 0
		.amdhsa_wavefront_size32 1
		.amdhsa_uses_dynamic_stack 0
		.amdhsa_enable_private_segment 0
		.amdhsa_system_sgpr_workgroup_id_x 1
		.amdhsa_system_sgpr_workgroup_id_y 0
		.amdhsa_system_sgpr_workgroup_id_z 0
		.amdhsa_system_sgpr_workgroup_info 0
		.amdhsa_system_vgpr_workitem_id 0
		.amdhsa_next_free_vgpr 1
		.amdhsa_next_free_sgpr 1
		.amdhsa_reserve_vcc 0
		.amdhsa_float_round_mode_32 0
		.amdhsa_float_round_mode_16_64 0
		.amdhsa_float_denorm_mode_32 3
		.amdhsa_float_denorm_mode_16_64 3
		.amdhsa_fp16_overflow 0
		.amdhsa_workgroup_processor_mode 1
		.amdhsa_memory_ordered 1
		.amdhsa_forward_progress 1
		.amdhsa_inst_pref_size 0
		.amdhsa_round_robin_scheduling 0
		.amdhsa_exception_fp_ieee_invalid_op 0
		.amdhsa_exception_fp_denorm_src 0
		.amdhsa_exception_fp_ieee_div_zero 0
		.amdhsa_exception_fp_ieee_overflow 0
		.amdhsa_exception_fp_ieee_underflow 0
		.amdhsa_exception_fp_ieee_inexact 0
		.amdhsa_exception_int_div_zero 0
	.end_amdhsa_kernel
	.section	.text._ZN7rocprim17ROCPRIM_400000_NS6detail17trampoline_kernelINS0_14default_configENS1_25partition_config_selectorILNS1_17partition_subalgoE5EyNS0_10empty_typeEbEEZZNS1_14partition_implILS5_5ELb0ES3_mN6thrust23THRUST_200600_302600_NS6detail15normal_iteratorINSA_10device_ptrIyEEEEPS6_NSA_18transform_iteratorINSB_9not_fun_tI7is_trueIyEEESF_NSA_11use_defaultESM_EENS0_5tupleIJSF_S6_EEENSO_IJSG_SG_EEES6_PlJS6_EEE10hipError_tPvRmT3_T4_T5_T6_T7_T9_mT8_P12ihipStream_tbDpT10_ENKUlT_T0_E_clISt17integral_constantIbLb1EES1B_EEDaS16_S17_EUlS16_E_NS1_11comp_targetILNS1_3genE9ELNS1_11target_archE1100ELNS1_3gpuE3ELNS1_3repE0EEENS1_30default_config_static_selectorELNS0_4arch9wavefront6targetE0EEEvT1_,"axG",@progbits,_ZN7rocprim17ROCPRIM_400000_NS6detail17trampoline_kernelINS0_14default_configENS1_25partition_config_selectorILNS1_17partition_subalgoE5EyNS0_10empty_typeEbEEZZNS1_14partition_implILS5_5ELb0ES3_mN6thrust23THRUST_200600_302600_NS6detail15normal_iteratorINSA_10device_ptrIyEEEEPS6_NSA_18transform_iteratorINSB_9not_fun_tI7is_trueIyEEESF_NSA_11use_defaultESM_EENS0_5tupleIJSF_S6_EEENSO_IJSG_SG_EEES6_PlJS6_EEE10hipError_tPvRmT3_T4_T5_T6_T7_T9_mT8_P12ihipStream_tbDpT10_ENKUlT_T0_E_clISt17integral_constantIbLb1EES1B_EEDaS16_S17_EUlS16_E_NS1_11comp_targetILNS1_3genE9ELNS1_11target_archE1100ELNS1_3gpuE3ELNS1_3repE0EEENS1_30default_config_static_selectorELNS0_4arch9wavefront6targetE0EEEvT1_,comdat
.Lfunc_end1382:
	.size	_ZN7rocprim17ROCPRIM_400000_NS6detail17trampoline_kernelINS0_14default_configENS1_25partition_config_selectorILNS1_17partition_subalgoE5EyNS0_10empty_typeEbEEZZNS1_14partition_implILS5_5ELb0ES3_mN6thrust23THRUST_200600_302600_NS6detail15normal_iteratorINSA_10device_ptrIyEEEEPS6_NSA_18transform_iteratorINSB_9not_fun_tI7is_trueIyEEESF_NSA_11use_defaultESM_EENS0_5tupleIJSF_S6_EEENSO_IJSG_SG_EEES6_PlJS6_EEE10hipError_tPvRmT3_T4_T5_T6_T7_T9_mT8_P12ihipStream_tbDpT10_ENKUlT_T0_E_clISt17integral_constantIbLb1EES1B_EEDaS16_S17_EUlS16_E_NS1_11comp_targetILNS1_3genE9ELNS1_11target_archE1100ELNS1_3gpuE3ELNS1_3repE0EEENS1_30default_config_static_selectorELNS0_4arch9wavefront6targetE0EEEvT1_, .Lfunc_end1382-_ZN7rocprim17ROCPRIM_400000_NS6detail17trampoline_kernelINS0_14default_configENS1_25partition_config_selectorILNS1_17partition_subalgoE5EyNS0_10empty_typeEbEEZZNS1_14partition_implILS5_5ELb0ES3_mN6thrust23THRUST_200600_302600_NS6detail15normal_iteratorINSA_10device_ptrIyEEEEPS6_NSA_18transform_iteratorINSB_9not_fun_tI7is_trueIyEEESF_NSA_11use_defaultESM_EENS0_5tupleIJSF_S6_EEENSO_IJSG_SG_EEES6_PlJS6_EEE10hipError_tPvRmT3_T4_T5_T6_T7_T9_mT8_P12ihipStream_tbDpT10_ENKUlT_T0_E_clISt17integral_constantIbLb1EES1B_EEDaS16_S17_EUlS16_E_NS1_11comp_targetILNS1_3genE9ELNS1_11target_archE1100ELNS1_3gpuE3ELNS1_3repE0EEENS1_30default_config_static_selectorELNS0_4arch9wavefront6targetE0EEEvT1_
                                        ; -- End function
	.set _ZN7rocprim17ROCPRIM_400000_NS6detail17trampoline_kernelINS0_14default_configENS1_25partition_config_selectorILNS1_17partition_subalgoE5EyNS0_10empty_typeEbEEZZNS1_14partition_implILS5_5ELb0ES3_mN6thrust23THRUST_200600_302600_NS6detail15normal_iteratorINSA_10device_ptrIyEEEEPS6_NSA_18transform_iteratorINSB_9not_fun_tI7is_trueIyEEESF_NSA_11use_defaultESM_EENS0_5tupleIJSF_S6_EEENSO_IJSG_SG_EEES6_PlJS6_EEE10hipError_tPvRmT3_T4_T5_T6_T7_T9_mT8_P12ihipStream_tbDpT10_ENKUlT_T0_E_clISt17integral_constantIbLb1EES1B_EEDaS16_S17_EUlS16_E_NS1_11comp_targetILNS1_3genE9ELNS1_11target_archE1100ELNS1_3gpuE3ELNS1_3repE0EEENS1_30default_config_static_selectorELNS0_4arch9wavefront6targetE0EEEvT1_.num_vgpr, 0
	.set _ZN7rocprim17ROCPRIM_400000_NS6detail17trampoline_kernelINS0_14default_configENS1_25partition_config_selectorILNS1_17partition_subalgoE5EyNS0_10empty_typeEbEEZZNS1_14partition_implILS5_5ELb0ES3_mN6thrust23THRUST_200600_302600_NS6detail15normal_iteratorINSA_10device_ptrIyEEEEPS6_NSA_18transform_iteratorINSB_9not_fun_tI7is_trueIyEEESF_NSA_11use_defaultESM_EENS0_5tupleIJSF_S6_EEENSO_IJSG_SG_EEES6_PlJS6_EEE10hipError_tPvRmT3_T4_T5_T6_T7_T9_mT8_P12ihipStream_tbDpT10_ENKUlT_T0_E_clISt17integral_constantIbLb1EES1B_EEDaS16_S17_EUlS16_E_NS1_11comp_targetILNS1_3genE9ELNS1_11target_archE1100ELNS1_3gpuE3ELNS1_3repE0EEENS1_30default_config_static_selectorELNS0_4arch9wavefront6targetE0EEEvT1_.num_agpr, 0
	.set _ZN7rocprim17ROCPRIM_400000_NS6detail17trampoline_kernelINS0_14default_configENS1_25partition_config_selectorILNS1_17partition_subalgoE5EyNS0_10empty_typeEbEEZZNS1_14partition_implILS5_5ELb0ES3_mN6thrust23THRUST_200600_302600_NS6detail15normal_iteratorINSA_10device_ptrIyEEEEPS6_NSA_18transform_iteratorINSB_9not_fun_tI7is_trueIyEEESF_NSA_11use_defaultESM_EENS0_5tupleIJSF_S6_EEENSO_IJSG_SG_EEES6_PlJS6_EEE10hipError_tPvRmT3_T4_T5_T6_T7_T9_mT8_P12ihipStream_tbDpT10_ENKUlT_T0_E_clISt17integral_constantIbLb1EES1B_EEDaS16_S17_EUlS16_E_NS1_11comp_targetILNS1_3genE9ELNS1_11target_archE1100ELNS1_3gpuE3ELNS1_3repE0EEENS1_30default_config_static_selectorELNS0_4arch9wavefront6targetE0EEEvT1_.numbered_sgpr, 0
	.set _ZN7rocprim17ROCPRIM_400000_NS6detail17trampoline_kernelINS0_14default_configENS1_25partition_config_selectorILNS1_17partition_subalgoE5EyNS0_10empty_typeEbEEZZNS1_14partition_implILS5_5ELb0ES3_mN6thrust23THRUST_200600_302600_NS6detail15normal_iteratorINSA_10device_ptrIyEEEEPS6_NSA_18transform_iteratorINSB_9not_fun_tI7is_trueIyEEESF_NSA_11use_defaultESM_EENS0_5tupleIJSF_S6_EEENSO_IJSG_SG_EEES6_PlJS6_EEE10hipError_tPvRmT3_T4_T5_T6_T7_T9_mT8_P12ihipStream_tbDpT10_ENKUlT_T0_E_clISt17integral_constantIbLb1EES1B_EEDaS16_S17_EUlS16_E_NS1_11comp_targetILNS1_3genE9ELNS1_11target_archE1100ELNS1_3gpuE3ELNS1_3repE0EEENS1_30default_config_static_selectorELNS0_4arch9wavefront6targetE0EEEvT1_.num_named_barrier, 0
	.set _ZN7rocprim17ROCPRIM_400000_NS6detail17trampoline_kernelINS0_14default_configENS1_25partition_config_selectorILNS1_17partition_subalgoE5EyNS0_10empty_typeEbEEZZNS1_14partition_implILS5_5ELb0ES3_mN6thrust23THRUST_200600_302600_NS6detail15normal_iteratorINSA_10device_ptrIyEEEEPS6_NSA_18transform_iteratorINSB_9not_fun_tI7is_trueIyEEESF_NSA_11use_defaultESM_EENS0_5tupleIJSF_S6_EEENSO_IJSG_SG_EEES6_PlJS6_EEE10hipError_tPvRmT3_T4_T5_T6_T7_T9_mT8_P12ihipStream_tbDpT10_ENKUlT_T0_E_clISt17integral_constantIbLb1EES1B_EEDaS16_S17_EUlS16_E_NS1_11comp_targetILNS1_3genE9ELNS1_11target_archE1100ELNS1_3gpuE3ELNS1_3repE0EEENS1_30default_config_static_selectorELNS0_4arch9wavefront6targetE0EEEvT1_.private_seg_size, 0
	.set _ZN7rocprim17ROCPRIM_400000_NS6detail17trampoline_kernelINS0_14default_configENS1_25partition_config_selectorILNS1_17partition_subalgoE5EyNS0_10empty_typeEbEEZZNS1_14partition_implILS5_5ELb0ES3_mN6thrust23THRUST_200600_302600_NS6detail15normal_iteratorINSA_10device_ptrIyEEEEPS6_NSA_18transform_iteratorINSB_9not_fun_tI7is_trueIyEEESF_NSA_11use_defaultESM_EENS0_5tupleIJSF_S6_EEENSO_IJSG_SG_EEES6_PlJS6_EEE10hipError_tPvRmT3_T4_T5_T6_T7_T9_mT8_P12ihipStream_tbDpT10_ENKUlT_T0_E_clISt17integral_constantIbLb1EES1B_EEDaS16_S17_EUlS16_E_NS1_11comp_targetILNS1_3genE9ELNS1_11target_archE1100ELNS1_3gpuE3ELNS1_3repE0EEENS1_30default_config_static_selectorELNS0_4arch9wavefront6targetE0EEEvT1_.uses_vcc, 0
	.set _ZN7rocprim17ROCPRIM_400000_NS6detail17trampoline_kernelINS0_14default_configENS1_25partition_config_selectorILNS1_17partition_subalgoE5EyNS0_10empty_typeEbEEZZNS1_14partition_implILS5_5ELb0ES3_mN6thrust23THRUST_200600_302600_NS6detail15normal_iteratorINSA_10device_ptrIyEEEEPS6_NSA_18transform_iteratorINSB_9not_fun_tI7is_trueIyEEESF_NSA_11use_defaultESM_EENS0_5tupleIJSF_S6_EEENSO_IJSG_SG_EEES6_PlJS6_EEE10hipError_tPvRmT3_T4_T5_T6_T7_T9_mT8_P12ihipStream_tbDpT10_ENKUlT_T0_E_clISt17integral_constantIbLb1EES1B_EEDaS16_S17_EUlS16_E_NS1_11comp_targetILNS1_3genE9ELNS1_11target_archE1100ELNS1_3gpuE3ELNS1_3repE0EEENS1_30default_config_static_selectorELNS0_4arch9wavefront6targetE0EEEvT1_.uses_flat_scratch, 0
	.set _ZN7rocprim17ROCPRIM_400000_NS6detail17trampoline_kernelINS0_14default_configENS1_25partition_config_selectorILNS1_17partition_subalgoE5EyNS0_10empty_typeEbEEZZNS1_14partition_implILS5_5ELb0ES3_mN6thrust23THRUST_200600_302600_NS6detail15normal_iteratorINSA_10device_ptrIyEEEEPS6_NSA_18transform_iteratorINSB_9not_fun_tI7is_trueIyEEESF_NSA_11use_defaultESM_EENS0_5tupleIJSF_S6_EEENSO_IJSG_SG_EEES6_PlJS6_EEE10hipError_tPvRmT3_T4_T5_T6_T7_T9_mT8_P12ihipStream_tbDpT10_ENKUlT_T0_E_clISt17integral_constantIbLb1EES1B_EEDaS16_S17_EUlS16_E_NS1_11comp_targetILNS1_3genE9ELNS1_11target_archE1100ELNS1_3gpuE3ELNS1_3repE0EEENS1_30default_config_static_selectorELNS0_4arch9wavefront6targetE0EEEvT1_.has_dyn_sized_stack, 0
	.set _ZN7rocprim17ROCPRIM_400000_NS6detail17trampoline_kernelINS0_14default_configENS1_25partition_config_selectorILNS1_17partition_subalgoE5EyNS0_10empty_typeEbEEZZNS1_14partition_implILS5_5ELb0ES3_mN6thrust23THRUST_200600_302600_NS6detail15normal_iteratorINSA_10device_ptrIyEEEEPS6_NSA_18transform_iteratorINSB_9not_fun_tI7is_trueIyEEESF_NSA_11use_defaultESM_EENS0_5tupleIJSF_S6_EEENSO_IJSG_SG_EEES6_PlJS6_EEE10hipError_tPvRmT3_T4_T5_T6_T7_T9_mT8_P12ihipStream_tbDpT10_ENKUlT_T0_E_clISt17integral_constantIbLb1EES1B_EEDaS16_S17_EUlS16_E_NS1_11comp_targetILNS1_3genE9ELNS1_11target_archE1100ELNS1_3gpuE3ELNS1_3repE0EEENS1_30default_config_static_selectorELNS0_4arch9wavefront6targetE0EEEvT1_.has_recursion, 0
	.set _ZN7rocprim17ROCPRIM_400000_NS6detail17trampoline_kernelINS0_14default_configENS1_25partition_config_selectorILNS1_17partition_subalgoE5EyNS0_10empty_typeEbEEZZNS1_14partition_implILS5_5ELb0ES3_mN6thrust23THRUST_200600_302600_NS6detail15normal_iteratorINSA_10device_ptrIyEEEEPS6_NSA_18transform_iteratorINSB_9not_fun_tI7is_trueIyEEESF_NSA_11use_defaultESM_EENS0_5tupleIJSF_S6_EEENSO_IJSG_SG_EEES6_PlJS6_EEE10hipError_tPvRmT3_T4_T5_T6_T7_T9_mT8_P12ihipStream_tbDpT10_ENKUlT_T0_E_clISt17integral_constantIbLb1EES1B_EEDaS16_S17_EUlS16_E_NS1_11comp_targetILNS1_3genE9ELNS1_11target_archE1100ELNS1_3gpuE3ELNS1_3repE0EEENS1_30default_config_static_selectorELNS0_4arch9wavefront6targetE0EEEvT1_.has_indirect_call, 0
	.section	.AMDGPU.csdata,"",@progbits
; Kernel info:
; codeLenInByte = 0
; TotalNumSgprs: 0
; NumVgprs: 0
; ScratchSize: 0
; MemoryBound: 0
; FloatMode: 240
; IeeeMode: 1
; LDSByteSize: 0 bytes/workgroup (compile time only)
; SGPRBlocks: 0
; VGPRBlocks: 0
; NumSGPRsForWavesPerEU: 1
; NumVGPRsForWavesPerEU: 1
; Occupancy: 16
; WaveLimiterHint : 0
; COMPUTE_PGM_RSRC2:SCRATCH_EN: 0
; COMPUTE_PGM_RSRC2:USER_SGPR: 2
; COMPUTE_PGM_RSRC2:TRAP_HANDLER: 0
; COMPUTE_PGM_RSRC2:TGID_X_EN: 1
; COMPUTE_PGM_RSRC2:TGID_Y_EN: 0
; COMPUTE_PGM_RSRC2:TGID_Z_EN: 0
; COMPUTE_PGM_RSRC2:TIDIG_COMP_CNT: 0
	.section	.text._ZN7rocprim17ROCPRIM_400000_NS6detail17trampoline_kernelINS0_14default_configENS1_25partition_config_selectorILNS1_17partition_subalgoE5EyNS0_10empty_typeEbEEZZNS1_14partition_implILS5_5ELb0ES3_mN6thrust23THRUST_200600_302600_NS6detail15normal_iteratorINSA_10device_ptrIyEEEEPS6_NSA_18transform_iteratorINSB_9not_fun_tI7is_trueIyEEESF_NSA_11use_defaultESM_EENS0_5tupleIJSF_S6_EEENSO_IJSG_SG_EEES6_PlJS6_EEE10hipError_tPvRmT3_T4_T5_T6_T7_T9_mT8_P12ihipStream_tbDpT10_ENKUlT_T0_E_clISt17integral_constantIbLb1EES1B_EEDaS16_S17_EUlS16_E_NS1_11comp_targetILNS1_3genE8ELNS1_11target_archE1030ELNS1_3gpuE2ELNS1_3repE0EEENS1_30default_config_static_selectorELNS0_4arch9wavefront6targetE0EEEvT1_,"axG",@progbits,_ZN7rocprim17ROCPRIM_400000_NS6detail17trampoline_kernelINS0_14default_configENS1_25partition_config_selectorILNS1_17partition_subalgoE5EyNS0_10empty_typeEbEEZZNS1_14partition_implILS5_5ELb0ES3_mN6thrust23THRUST_200600_302600_NS6detail15normal_iteratorINSA_10device_ptrIyEEEEPS6_NSA_18transform_iteratorINSB_9not_fun_tI7is_trueIyEEESF_NSA_11use_defaultESM_EENS0_5tupleIJSF_S6_EEENSO_IJSG_SG_EEES6_PlJS6_EEE10hipError_tPvRmT3_T4_T5_T6_T7_T9_mT8_P12ihipStream_tbDpT10_ENKUlT_T0_E_clISt17integral_constantIbLb1EES1B_EEDaS16_S17_EUlS16_E_NS1_11comp_targetILNS1_3genE8ELNS1_11target_archE1030ELNS1_3gpuE2ELNS1_3repE0EEENS1_30default_config_static_selectorELNS0_4arch9wavefront6targetE0EEEvT1_,comdat
	.protected	_ZN7rocprim17ROCPRIM_400000_NS6detail17trampoline_kernelINS0_14default_configENS1_25partition_config_selectorILNS1_17partition_subalgoE5EyNS0_10empty_typeEbEEZZNS1_14partition_implILS5_5ELb0ES3_mN6thrust23THRUST_200600_302600_NS6detail15normal_iteratorINSA_10device_ptrIyEEEEPS6_NSA_18transform_iteratorINSB_9not_fun_tI7is_trueIyEEESF_NSA_11use_defaultESM_EENS0_5tupleIJSF_S6_EEENSO_IJSG_SG_EEES6_PlJS6_EEE10hipError_tPvRmT3_T4_T5_T6_T7_T9_mT8_P12ihipStream_tbDpT10_ENKUlT_T0_E_clISt17integral_constantIbLb1EES1B_EEDaS16_S17_EUlS16_E_NS1_11comp_targetILNS1_3genE8ELNS1_11target_archE1030ELNS1_3gpuE2ELNS1_3repE0EEENS1_30default_config_static_selectorELNS0_4arch9wavefront6targetE0EEEvT1_ ; -- Begin function _ZN7rocprim17ROCPRIM_400000_NS6detail17trampoline_kernelINS0_14default_configENS1_25partition_config_selectorILNS1_17partition_subalgoE5EyNS0_10empty_typeEbEEZZNS1_14partition_implILS5_5ELb0ES3_mN6thrust23THRUST_200600_302600_NS6detail15normal_iteratorINSA_10device_ptrIyEEEEPS6_NSA_18transform_iteratorINSB_9not_fun_tI7is_trueIyEEESF_NSA_11use_defaultESM_EENS0_5tupleIJSF_S6_EEENSO_IJSG_SG_EEES6_PlJS6_EEE10hipError_tPvRmT3_T4_T5_T6_T7_T9_mT8_P12ihipStream_tbDpT10_ENKUlT_T0_E_clISt17integral_constantIbLb1EES1B_EEDaS16_S17_EUlS16_E_NS1_11comp_targetILNS1_3genE8ELNS1_11target_archE1030ELNS1_3gpuE2ELNS1_3repE0EEENS1_30default_config_static_selectorELNS0_4arch9wavefront6targetE0EEEvT1_
	.globl	_ZN7rocprim17ROCPRIM_400000_NS6detail17trampoline_kernelINS0_14default_configENS1_25partition_config_selectorILNS1_17partition_subalgoE5EyNS0_10empty_typeEbEEZZNS1_14partition_implILS5_5ELb0ES3_mN6thrust23THRUST_200600_302600_NS6detail15normal_iteratorINSA_10device_ptrIyEEEEPS6_NSA_18transform_iteratorINSB_9not_fun_tI7is_trueIyEEESF_NSA_11use_defaultESM_EENS0_5tupleIJSF_S6_EEENSO_IJSG_SG_EEES6_PlJS6_EEE10hipError_tPvRmT3_T4_T5_T6_T7_T9_mT8_P12ihipStream_tbDpT10_ENKUlT_T0_E_clISt17integral_constantIbLb1EES1B_EEDaS16_S17_EUlS16_E_NS1_11comp_targetILNS1_3genE8ELNS1_11target_archE1030ELNS1_3gpuE2ELNS1_3repE0EEENS1_30default_config_static_selectorELNS0_4arch9wavefront6targetE0EEEvT1_
	.p2align	8
	.type	_ZN7rocprim17ROCPRIM_400000_NS6detail17trampoline_kernelINS0_14default_configENS1_25partition_config_selectorILNS1_17partition_subalgoE5EyNS0_10empty_typeEbEEZZNS1_14partition_implILS5_5ELb0ES3_mN6thrust23THRUST_200600_302600_NS6detail15normal_iteratorINSA_10device_ptrIyEEEEPS6_NSA_18transform_iteratorINSB_9not_fun_tI7is_trueIyEEESF_NSA_11use_defaultESM_EENS0_5tupleIJSF_S6_EEENSO_IJSG_SG_EEES6_PlJS6_EEE10hipError_tPvRmT3_T4_T5_T6_T7_T9_mT8_P12ihipStream_tbDpT10_ENKUlT_T0_E_clISt17integral_constantIbLb1EES1B_EEDaS16_S17_EUlS16_E_NS1_11comp_targetILNS1_3genE8ELNS1_11target_archE1030ELNS1_3gpuE2ELNS1_3repE0EEENS1_30default_config_static_selectorELNS0_4arch9wavefront6targetE0EEEvT1_,@function
_ZN7rocprim17ROCPRIM_400000_NS6detail17trampoline_kernelINS0_14default_configENS1_25partition_config_selectorILNS1_17partition_subalgoE5EyNS0_10empty_typeEbEEZZNS1_14partition_implILS5_5ELb0ES3_mN6thrust23THRUST_200600_302600_NS6detail15normal_iteratorINSA_10device_ptrIyEEEEPS6_NSA_18transform_iteratorINSB_9not_fun_tI7is_trueIyEEESF_NSA_11use_defaultESM_EENS0_5tupleIJSF_S6_EEENSO_IJSG_SG_EEES6_PlJS6_EEE10hipError_tPvRmT3_T4_T5_T6_T7_T9_mT8_P12ihipStream_tbDpT10_ENKUlT_T0_E_clISt17integral_constantIbLb1EES1B_EEDaS16_S17_EUlS16_E_NS1_11comp_targetILNS1_3genE8ELNS1_11target_archE1030ELNS1_3gpuE2ELNS1_3repE0EEENS1_30default_config_static_selectorELNS0_4arch9wavefront6targetE0EEEvT1_: ; @_ZN7rocprim17ROCPRIM_400000_NS6detail17trampoline_kernelINS0_14default_configENS1_25partition_config_selectorILNS1_17partition_subalgoE5EyNS0_10empty_typeEbEEZZNS1_14partition_implILS5_5ELb0ES3_mN6thrust23THRUST_200600_302600_NS6detail15normal_iteratorINSA_10device_ptrIyEEEEPS6_NSA_18transform_iteratorINSB_9not_fun_tI7is_trueIyEEESF_NSA_11use_defaultESM_EENS0_5tupleIJSF_S6_EEENSO_IJSG_SG_EEES6_PlJS6_EEE10hipError_tPvRmT3_T4_T5_T6_T7_T9_mT8_P12ihipStream_tbDpT10_ENKUlT_T0_E_clISt17integral_constantIbLb1EES1B_EEDaS16_S17_EUlS16_E_NS1_11comp_targetILNS1_3genE8ELNS1_11target_archE1030ELNS1_3gpuE2ELNS1_3repE0EEENS1_30default_config_static_selectorELNS0_4arch9wavefront6targetE0EEEvT1_
; %bb.0:
	.section	.rodata,"a",@progbits
	.p2align	6, 0x0
	.amdhsa_kernel _ZN7rocprim17ROCPRIM_400000_NS6detail17trampoline_kernelINS0_14default_configENS1_25partition_config_selectorILNS1_17partition_subalgoE5EyNS0_10empty_typeEbEEZZNS1_14partition_implILS5_5ELb0ES3_mN6thrust23THRUST_200600_302600_NS6detail15normal_iteratorINSA_10device_ptrIyEEEEPS6_NSA_18transform_iteratorINSB_9not_fun_tI7is_trueIyEEESF_NSA_11use_defaultESM_EENS0_5tupleIJSF_S6_EEENSO_IJSG_SG_EEES6_PlJS6_EEE10hipError_tPvRmT3_T4_T5_T6_T7_T9_mT8_P12ihipStream_tbDpT10_ENKUlT_T0_E_clISt17integral_constantIbLb1EES1B_EEDaS16_S17_EUlS16_E_NS1_11comp_targetILNS1_3genE8ELNS1_11target_archE1030ELNS1_3gpuE2ELNS1_3repE0EEENS1_30default_config_static_selectorELNS0_4arch9wavefront6targetE0EEEvT1_
		.amdhsa_group_segment_fixed_size 0
		.amdhsa_private_segment_fixed_size 0
		.amdhsa_kernarg_size 136
		.amdhsa_user_sgpr_count 2
		.amdhsa_user_sgpr_dispatch_ptr 0
		.amdhsa_user_sgpr_queue_ptr 0
		.amdhsa_user_sgpr_kernarg_segment_ptr 1
		.amdhsa_user_sgpr_dispatch_id 0
		.amdhsa_user_sgpr_private_segment_size 0
		.amdhsa_wavefront_size32 1
		.amdhsa_uses_dynamic_stack 0
		.amdhsa_enable_private_segment 0
		.amdhsa_system_sgpr_workgroup_id_x 1
		.amdhsa_system_sgpr_workgroup_id_y 0
		.amdhsa_system_sgpr_workgroup_id_z 0
		.amdhsa_system_sgpr_workgroup_info 0
		.amdhsa_system_vgpr_workitem_id 0
		.amdhsa_next_free_vgpr 1
		.amdhsa_next_free_sgpr 1
		.amdhsa_reserve_vcc 0
		.amdhsa_float_round_mode_32 0
		.amdhsa_float_round_mode_16_64 0
		.amdhsa_float_denorm_mode_32 3
		.amdhsa_float_denorm_mode_16_64 3
		.amdhsa_fp16_overflow 0
		.amdhsa_workgroup_processor_mode 1
		.amdhsa_memory_ordered 1
		.amdhsa_forward_progress 1
		.amdhsa_inst_pref_size 0
		.amdhsa_round_robin_scheduling 0
		.amdhsa_exception_fp_ieee_invalid_op 0
		.amdhsa_exception_fp_denorm_src 0
		.amdhsa_exception_fp_ieee_div_zero 0
		.amdhsa_exception_fp_ieee_overflow 0
		.amdhsa_exception_fp_ieee_underflow 0
		.amdhsa_exception_fp_ieee_inexact 0
		.amdhsa_exception_int_div_zero 0
	.end_amdhsa_kernel
	.section	.text._ZN7rocprim17ROCPRIM_400000_NS6detail17trampoline_kernelINS0_14default_configENS1_25partition_config_selectorILNS1_17partition_subalgoE5EyNS0_10empty_typeEbEEZZNS1_14partition_implILS5_5ELb0ES3_mN6thrust23THRUST_200600_302600_NS6detail15normal_iteratorINSA_10device_ptrIyEEEEPS6_NSA_18transform_iteratorINSB_9not_fun_tI7is_trueIyEEESF_NSA_11use_defaultESM_EENS0_5tupleIJSF_S6_EEENSO_IJSG_SG_EEES6_PlJS6_EEE10hipError_tPvRmT3_T4_T5_T6_T7_T9_mT8_P12ihipStream_tbDpT10_ENKUlT_T0_E_clISt17integral_constantIbLb1EES1B_EEDaS16_S17_EUlS16_E_NS1_11comp_targetILNS1_3genE8ELNS1_11target_archE1030ELNS1_3gpuE2ELNS1_3repE0EEENS1_30default_config_static_selectorELNS0_4arch9wavefront6targetE0EEEvT1_,"axG",@progbits,_ZN7rocprim17ROCPRIM_400000_NS6detail17trampoline_kernelINS0_14default_configENS1_25partition_config_selectorILNS1_17partition_subalgoE5EyNS0_10empty_typeEbEEZZNS1_14partition_implILS5_5ELb0ES3_mN6thrust23THRUST_200600_302600_NS6detail15normal_iteratorINSA_10device_ptrIyEEEEPS6_NSA_18transform_iteratorINSB_9not_fun_tI7is_trueIyEEESF_NSA_11use_defaultESM_EENS0_5tupleIJSF_S6_EEENSO_IJSG_SG_EEES6_PlJS6_EEE10hipError_tPvRmT3_T4_T5_T6_T7_T9_mT8_P12ihipStream_tbDpT10_ENKUlT_T0_E_clISt17integral_constantIbLb1EES1B_EEDaS16_S17_EUlS16_E_NS1_11comp_targetILNS1_3genE8ELNS1_11target_archE1030ELNS1_3gpuE2ELNS1_3repE0EEENS1_30default_config_static_selectorELNS0_4arch9wavefront6targetE0EEEvT1_,comdat
.Lfunc_end1383:
	.size	_ZN7rocprim17ROCPRIM_400000_NS6detail17trampoline_kernelINS0_14default_configENS1_25partition_config_selectorILNS1_17partition_subalgoE5EyNS0_10empty_typeEbEEZZNS1_14partition_implILS5_5ELb0ES3_mN6thrust23THRUST_200600_302600_NS6detail15normal_iteratorINSA_10device_ptrIyEEEEPS6_NSA_18transform_iteratorINSB_9not_fun_tI7is_trueIyEEESF_NSA_11use_defaultESM_EENS0_5tupleIJSF_S6_EEENSO_IJSG_SG_EEES6_PlJS6_EEE10hipError_tPvRmT3_T4_T5_T6_T7_T9_mT8_P12ihipStream_tbDpT10_ENKUlT_T0_E_clISt17integral_constantIbLb1EES1B_EEDaS16_S17_EUlS16_E_NS1_11comp_targetILNS1_3genE8ELNS1_11target_archE1030ELNS1_3gpuE2ELNS1_3repE0EEENS1_30default_config_static_selectorELNS0_4arch9wavefront6targetE0EEEvT1_, .Lfunc_end1383-_ZN7rocprim17ROCPRIM_400000_NS6detail17trampoline_kernelINS0_14default_configENS1_25partition_config_selectorILNS1_17partition_subalgoE5EyNS0_10empty_typeEbEEZZNS1_14partition_implILS5_5ELb0ES3_mN6thrust23THRUST_200600_302600_NS6detail15normal_iteratorINSA_10device_ptrIyEEEEPS6_NSA_18transform_iteratorINSB_9not_fun_tI7is_trueIyEEESF_NSA_11use_defaultESM_EENS0_5tupleIJSF_S6_EEENSO_IJSG_SG_EEES6_PlJS6_EEE10hipError_tPvRmT3_T4_T5_T6_T7_T9_mT8_P12ihipStream_tbDpT10_ENKUlT_T0_E_clISt17integral_constantIbLb1EES1B_EEDaS16_S17_EUlS16_E_NS1_11comp_targetILNS1_3genE8ELNS1_11target_archE1030ELNS1_3gpuE2ELNS1_3repE0EEENS1_30default_config_static_selectorELNS0_4arch9wavefront6targetE0EEEvT1_
                                        ; -- End function
	.set _ZN7rocprim17ROCPRIM_400000_NS6detail17trampoline_kernelINS0_14default_configENS1_25partition_config_selectorILNS1_17partition_subalgoE5EyNS0_10empty_typeEbEEZZNS1_14partition_implILS5_5ELb0ES3_mN6thrust23THRUST_200600_302600_NS6detail15normal_iteratorINSA_10device_ptrIyEEEEPS6_NSA_18transform_iteratorINSB_9not_fun_tI7is_trueIyEEESF_NSA_11use_defaultESM_EENS0_5tupleIJSF_S6_EEENSO_IJSG_SG_EEES6_PlJS6_EEE10hipError_tPvRmT3_T4_T5_T6_T7_T9_mT8_P12ihipStream_tbDpT10_ENKUlT_T0_E_clISt17integral_constantIbLb1EES1B_EEDaS16_S17_EUlS16_E_NS1_11comp_targetILNS1_3genE8ELNS1_11target_archE1030ELNS1_3gpuE2ELNS1_3repE0EEENS1_30default_config_static_selectorELNS0_4arch9wavefront6targetE0EEEvT1_.num_vgpr, 0
	.set _ZN7rocprim17ROCPRIM_400000_NS6detail17trampoline_kernelINS0_14default_configENS1_25partition_config_selectorILNS1_17partition_subalgoE5EyNS0_10empty_typeEbEEZZNS1_14partition_implILS5_5ELb0ES3_mN6thrust23THRUST_200600_302600_NS6detail15normal_iteratorINSA_10device_ptrIyEEEEPS6_NSA_18transform_iteratorINSB_9not_fun_tI7is_trueIyEEESF_NSA_11use_defaultESM_EENS0_5tupleIJSF_S6_EEENSO_IJSG_SG_EEES6_PlJS6_EEE10hipError_tPvRmT3_T4_T5_T6_T7_T9_mT8_P12ihipStream_tbDpT10_ENKUlT_T0_E_clISt17integral_constantIbLb1EES1B_EEDaS16_S17_EUlS16_E_NS1_11comp_targetILNS1_3genE8ELNS1_11target_archE1030ELNS1_3gpuE2ELNS1_3repE0EEENS1_30default_config_static_selectorELNS0_4arch9wavefront6targetE0EEEvT1_.num_agpr, 0
	.set _ZN7rocprim17ROCPRIM_400000_NS6detail17trampoline_kernelINS0_14default_configENS1_25partition_config_selectorILNS1_17partition_subalgoE5EyNS0_10empty_typeEbEEZZNS1_14partition_implILS5_5ELb0ES3_mN6thrust23THRUST_200600_302600_NS6detail15normal_iteratorINSA_10device_ptrIyEEEEPS6_NSA_18transform_iteratorINSB_9not_fun_tI7is_trueIyEEESF_NSA_11use_defaultESM_EENS0_5tupleIJSF_S6_EEENSO_IJSG_SG_EEES6_PlJS6_EEE10hipError_tPvRmT3_T4_T5_T6_T7_T9_mT8_P12ihipStream_tbDpT10_ENKUlT_T0_E_clISt17integral_constantIbLb1EES1B_EEDaS16_S17_EUlS16_E_NS1_11comp_targetILNS1_3genE8ELNS1_11target_archE1030ELNS1_3gpuE2ELNS1_3repE0EEENS1_30default_config_static_selectorELNS0_4arch9wavefront6targetE0EEEvT1_.numbered_sgpr, 0
	.set _ZN7rocprim17ROCPRIM_400000_NS6detail17trampoline_kernelINS0_14default_configENS1_25partition_config_selectorILNS1_17partition_subalgoE5EyNS0_10empty_typeEbEEZZNS1_14partition_implILS5_5ELb0ES3_mN6thrust23THRUST_200600_302600_NS6detail15normal_iteratorINSA_10device_ptrIyEEEEPS6_NSA_18transform_iteratorINSB_9not_fun_tI7is_trueIyEEESF_NSA_11use_defaultESM_EENS0_5tupleIJSF_S6_EEENSO_IJSG_SG_EEES6_PlJS6_EEE10hipError_tPvRmT3_T4_T5_T6_T7_T9_mT8_P12ihipStream_tbDpT10_ENKUlT_T0_E_clISt17integral_constantIbLb1EES1B_EEDaS16_S17_EUlS16_E_NS1_11comp_targetILNS1_3genE8ELNS1_11target_archE1030ELNS1_3gpuE2ELNS1_3repE0EEENS1_30default_config_static_selectorELNS0_4arch9wavefront6targetE0EEEvT1_.num_named_barrier, 0
	.set _ZN7rocprim17ROCPRIM_400000_NS6detail17trampoline_kernelINS0_14default_configENS1_25partition_config_selectorILNS1_17partition_subalgoE5EyNS0_10empty_typeEbEEZZNS1_14partition_implILS5_5ELb0ES3_mN6thrust23THRUST_200600_302600_NS6detail15normal_iteratorINSA_10device_ptrIyEEEEPS6_NSA_18transform_iteratorINSB_9not_fun_tI7is_trueIyEEESF_NSA_11use_defaultESM_EENS0_5tupleIJSF_S6_EEENSO_IJSG_SG_EEES6_PlJS6_EEE10hipError_tPvRmT3_T4_T5_T6_T7_T9_mT8_P12ihipStream_tbDpT10_ENKUlT_T0_E_clISt17integral_constantIbLb1EES1B_EEDaS16_S17_EUlS16_E_NS1_11comp_targetILNS1_3genE8ELNS1_11target_archE1030ELNS1_3gpuE2ELNS1_3repE0EEENS1_30default_config_static_selectorELNS0_4arch9wavefront6targetE0EEEvT1_.private_seg_size, 0
	.set _ZN7rocprim17ROCPRIM_400000_NS6detail17trampoline_kernelINS0_14default_configENS1_25partition_config_selectorILNS1_17partition_subalgoE5EyNS0_10empty_typeEbEEZZNS1_14partition_implILS5_5ELb0ES3_mN6thrust23THRUST_200600_302600_NS6detail15normal_iteratorINSA_10device_ptrIyEEEEPS6_NSA_18transform_iteratorINSB_9not_fun_tI7is_trueIyEEESF_NSA_11use_defaultESM_EENS0_5tupleIJSF_S6_EEENSO_IJSG_SG_EEES6_PlJS6_EEE10hipError_tPvRmT3_T4_T5_T6_T7_T9_mT8_P12ihipStream_tbDpT10_ENKUlT_T0_E_clISt17integral_constantIbLb1EES1B_EEDaS16_S17_EUlS16_E_NS1_11comp_targetILNS1_3genE8ELNS1_11target_archE1030ELNS1_3gpuE2ELNS1_3repE0EEENS1_30default_config_static_selectorELNS0_4arch9wavefront6targetE0EEEvT1_.uses_vcc, 0
	.set _ZN7rocprim17ROCPRIM_400000_NS6detail17trampoline_kernelINS0_14default_configENS1_25partition_config_selectorILNS1_17partition_subalgoE5EyNS0_10empty_typeEbEEZZNS1_14partition_implILS5_5ELb0ES3_mN6thrust23THRUST_200600_302600_NS6detail15normal_iteratorINSA_10device_ptrIyEEEEPS6_NSA_18transform_iteratorINSB_9not_fun_tI7is_trueIyEEESF_NSA_11use_defaultESM_EENS0_5tupleIJSF_S6_EEENSO_IJSG_SG_EEES6_PlJS6_EEE10hipError_tPvRmT3_T4_T5_T6_T7_T9_mT8_P12ihipStream_tbDpT10_ENKUlT_T0_E_clISt17integral_constantIbLb1EES1B_EEDaS16_S17_EUlS16_E_NS1_11comp_targetILNS1_3genE8ELNS1_11target_archE1030ELNS1_3gpuE2ELNS1_3repE0EEENS1_30default_config_static_selectorELNS0_4arch9wavefront6targetE0EEEvT1_.uses_flat_scratch, 0
	.set _ZN7rocprim17ROCPRIM_400000_NS6detail17trampoline_kernelINS0_14default_configENS1_25partition_config_selectorILNS1_17partition_subalgoE5EyNS0_10empty_typeEbEEZZNS1_14partition_implILS5_5ELb0ES3_mN6thrust23THRUST_200600_302600_NS6detail15normal_iteratorINSA_10device_ptrIyEEEEPS6_NSA_18transform_iteratorINSB_9not_fun_tI7is_trueIyEEESF_NSA_11use_defaultESM_EENS0_5tupleIJSF_S6_EEENSO_IJSG_SG_EEES6_PlJS6_EEE10hipError_tPvRmT3_T4_T5_T6_T7_T9_mT8_P12ihipStream_tbDpT10_ENKUlT_T0_E_clISt17integral_constantIbLb1EES1B_EEDaS16_S17_EUlS16_E_NS1_11comp_targetILNS1_3genE8ELNS1_11target_archE1030ELNS1_3gpuE2ELNS1_3repE0EEENS1_30default_config_static_selectorELNS0_4arch9wavefront6targetE0EEEvT1_.has_dyn_sized_stack, 0
	.set _ZN7rocprim17ROCPRIM_400000_NS6detail17trampoline_kernelINS0_14default_configENS1_25partition_config_selectorILNS1_17partition_subalgoE5EyNS0_10empty_typeEbEEZZNS1_14partition_implILS5_5ELb0ES3_mN6thrust23THRUST_200600_302600_NS6detail15normal_iteratorINSA_10device_ptrIyEEEEPS6_NSA_18transform_iteratorINSB_9not_fun_tI7is_trueIyEEESF_NSA_11use_defaultESM_EENS0_5tupleIJSF_S6_EEENSO_IJSG_SG_EEES6_PlJS6_EEE10hipError_tPvRmT3_T4_T5_T6_T7_T9_mT8_P12ihipStream_tbDpT10_ENKUlT_T0_E_clISt17integral_constantIbLb1EES1B_EEDaS16_S17_EUlS16_E_NS1_11comp_targetILNS1_3genE8ELNS1_11target_archE1030ELNS1_3gpuE2ELNS1_3repE0EEENS1_30default_config_static_selectorELNS0_4arch9wavefront6targetE0EEEvT1_.has_recursion, 0
	.set _ZN7rocprim17ROCPRIM_400000_NS6detail17trampoline_kernelINS0_14default_configENS1_25partition_config_selectorILNS1_17partition_subalgoE5EyNS0_10empty_typeEbEEZZNS1_14partition_implILS5_5ELb0ES3_mN6thrust23THRUST_200600_302600_NS6detail15normal_iteratorINSA_10device_ptrIyEEEEPS6_NSA_18transform_iteratorINSB_9not_fun_tI7is_trueIyEEESF_NSA_11use_defaultESM_EENS0_5tupleIJSF_S6_EEENSO_IJSG_SG_EEES6_PlJS6_EEE10hipError_tPvRmT3_T4_T5_T6_T7_T9_mT8_P12ihipStream_tbDpT10_ENKUlT_T0_E_clISt17integral_constantIbLb1EES1B_EEDaS16_S17_EUlS16_E_NS1_11comp_targetILNS1_3genE8ELNS1_11target_archE1030ELNS1_3gpuE2ELNS1_3repE0EEENS1_30default_config_static_selectorELNS0_4arch9wavefront6targetE0EEEvT1_.has_indirect_call, 0
	.section	.AMDGPU.csdata,"",@progbits
; Kernel info:
; codeLenInByte = 0
; TotalNumSgprs: 0
; NumVgprs: 0
; ScratchSize: 0
; MemoryBound: 0
; FloatMode: 240
; IeeeMode: 1
; LDSByteSize: 0 bytes/workgroup (compile time only)
; SGPRBlocks: 0
; VGPRBlocks: 0
; NumSGPRsForWavesPerEU: 1
; NumVGPRsForWavesPerEU: 1
; Occupancy: 16
; WaveLimiterHint : 0
; COMPUTE_PGM_RSRC2:SCRATCH_EN: 0
; COMPUTE_PGM_RSRC2:USER_SGPR: 2
; COMPUTE_PGM_RSRC2:TRAP_HANDLER: 0
; COMPUTE_PGM_RSRC2:TGID_X_EN: 1
; COMPUTE_PGM_RSRC2:TGID_Y_EN: 0
; COMPUTE_PGM_RSRC2:TGID_Z_EN: 0
; COMPUTE_PGM_RSRC2:TIDIG_COMP_CNT: 0
	.section	.text._ZN7rocprim17ROCPRIM_400000_NS6detail17trampoline_kernelINS0_14default_configENS1_25partition_config_selectorILNS1_17partition_subalgoE5EyNS0_10empty_typeEbEEZZNS1_14partition_implILS5_5ELb0ES3_mN6thrust23THRUST_200600_302600_NS6detail15normal_iteratorINSA_10device_ptrIyEEEEPS6_NSA_18transform_iteratorINSB_9not_fun_tI7is_trueIyEEESF_NSA_11use_defaultESM_EENS0_5tupleIJSF_S6_EEENSO_IJSG_SG_EEES6_PlJS6_EEE10hipError_tPvRmT3_T4_T5_T6_T7_T9_mT8_P12ihipStream_tbDpT10_ENKUlT_T0_E_clISt17integral_constantIbLb1EES1A_IbLb0EEEEDaS16_S17_EUlS16_E_NS1_11comp_targetILNS1_3genE0ELNS1_11target_archE4294967295ELNS1_3gpuE0ELNS1_3repE0EEENS1_30default_config_static_selectorELNS0_4arch9wavefront6targetE0EEEvT1_,"axG",@progbits,_ZN7rocprim17ROCPRIM_400000_NS6detail17trampoline_kernelINS0_14default_configENS1_25partition_config_selectorILNS1_17partition_subalgoE5EyNS0_10empty_typeEbEEZZNS1_14partition_implILS5_5ELb0ES3_mN6thrust23THRUST_200600_302600_NS6detail15normal_iteratorINSA_10device_ptrIyEEEEPS6_NSA_18transform_iteratorINSB_9not_fun_tI7is_trueIyEEESF_NSA_11use_defaultESM_EENS0_5tupleIJSF_S6_EEENSO_IJSG_SG_EEES6_PlJS6_EEE10hipError_tPvRmT3_T4_T5_T6_T7_T9_mT8_P12ihipStream_tbDpT10_ENKUlT_T0_E_clISt17integral_constantIbLb1EES1A_IbLb0EEEEDaS16_S17_EUlS16_E_NS1_11comp_targetILNS1_3genE0ELNS1_11target_archE4294967295ELNS1_3gpuE0ELNS1_3repE0EEENS1_30default_config_static_selectorELNS0_4arch9wavefront6targetE0EEEvT1_,comdat
	.protected	_ZN7rocprim17ROCPRIM_400000_NS6detail17trampoline_kernelINS0_14default_configENS1_25partition_config_selectorILNS1_17partition_subalgoE5EyNS0_10empty_typeEbEEZZNS1_14partition_implILS5_5ELb0ES3_mN6thrust23THRUST_200600_302600_NS6detail15normal_iteratorINSA_10device_ptrIyEEEEPS6_NSA_18transform_iteratorINSB_9not_fun_tI7is_trueIyEEESF_NSA_11use_defaultESM_EENS0_5tupleIJSF_S6_EEENSO_IJSG_SG_EEES6_PlJS6_EEE10hipError_tPvRmT3_T4_T5_T6_T7_T9_mT8_P12ihipStream_tbDpT10_ENKUlT_T0_E_clISt17integral_constantIbLb1EES1A_IbLb0EEEEDaS16_S17_EUlS16_E_NS1_11comp_targetILNS1_3genE0ELNS1_11target_archE4294967295ELNS1_3gpuE0ELNS1_3repE0EEENS1_30default_config_static_selectorELNS0_4arch9wavefront6targetE0EEEvT1_ ; -- Begin function _ZN7rocprim17ROCPRIM_400000_NS6detail17trampoline_kernelINS0_14default_configENS1_25partition_config_selectorILNS1_17partition_subalgoE5EyNS0_10empty_typeEbEEZZNS1_14partition_implILS5_5ELb0ES3_mN6thrust23THRUST_200600_302600_NS6detail15normal_iteratorINSA_10device_ptrIyEEEEPS6_NSA_18transform_iteratorINSB_9not_fun_tI7is_trueIyEEESF_NSA_11use_defaultESM_EENS0_5tupleIJSF_S6_EEENSO_IJSG_SG_EEES6_PlJS6_EEE10hipError_tPvRmT3_T4_T5_T6_T7_T9_mT8_P12ihipStream_tbDpT10_ENKUlT_T0_E_clISt17integral_constantIbLb1EES1A_IbLb0EEEEDaS16_S17_EUlS16_E_NS1_11comp_targetILNS1_3genE0ELNS1_11target_archE4294967295ELNS1_3gpuE0ELNS1_3repE0EEENS1_30default_config_static_selectorELNS0_4arch9wavefront6targetE0EEEvT1_
	.globl	_ZN7rocprim17ROCPRIM_400000_NS6detail17trampoline_kernelINS0_14default_configENS1_25partition_config_selectorILNS1_17partition_subalgoE5EyNS0_10empty_typeEbEEZZNS1_14partition_implILS5_5ELb0ES3_mN6thrust23THRUST_200600_302600_NS6detail15normal_iteratorINSA_10device_ptrIyEEEEPS6_NSA_18transform_iteratorINSB_9not_fun_tI7is_trueIyEEESF_NSA_11use_defaultESM_EENS0_5tupleIJSF_S6_EEENSO_IJSG_SG_EEES6_PlJS6_EEE10hipError_tPvRmT3_T4_T5_T6_T7_T9_mT8_P12ihipStream_tbDpT10_ENKUlT_T0_E_clISt17integral_constantIbLb1EES1A_IbLb0EEEEDaS16_S17_EUlS16_E_NS1_11comp_targetILNS1_3genE0ELNS1_11target_archE4294967295ELNS1_3gpuE0ELNS1_3repE0EEENS1_30default_config_static_selectorELNS0_4arch9wavefront6targetE0EEEvT1_
	.p2align	8
	.type	_ZN7rocprim17ROCPRIM_400000_NS6detail17trampoline_kernelINS0_14default_configENS1_25partition_config_selectorILNS1_17partition_subalgoE5EyNS0_10empty_typeEbEEZZNS1_14partition_implILS5_5ELb0ES3_mN6thrust23THRUST_200600_302600_NS6detail15normal_iteratorINSA_10device_ptrIyEEEEPS6_NSA_18transform_iteratorINSB_9not_fun_tI7is_trueIyEEESF_NSA_11use_defaultESM_EENS0_5tupleIJSF_S6_EEENSO_IJSG_SG_EEES6_PlJS6_EEE10hipError_tPvRmT3_T4_T5_T6_T7_T9_mT8_P12ihipStream_tbDpT10_ENKUlT_T0_E_clISt17integral_constantIbLb1EES1A_IbLb0EEEEDaS16_S17_EUlS16_E_NS1_11comp_targetILNS1_3genE0ELNS1_11target_archE4294967295ELNS1_3gpuE0ELNS1_3repE0EEENS1_30default_config_static_selectorELNS0_4arch9wavefront6targetE0EEEvT1_,@function
_ZN7rocprim17ROCPRIM_400000_NS6detail17trampoline_kernelINS0_14default_configENS1_25partition_config_selectorILNS1_17partition_subalgoE5EyNS0_10empty_typeEbEEZZNS1_14partition_implILS5_5ELb0ES3_mN6thrust23THRUST_200600_302600_NS6detail15normal_iteratorINSA_10device_ptrIyEEEEPS6_NSA_18transform_iteratorINSB_9not_fun_tI7is_trueIyEEESF_NSA_11use_defaultESM_EENS0_5tupleIJSF_S6_EEENSO_IJSG_SG_EEES6_PlJS6_EEE10hipError_tPvRmT3_T4_T5_T6_T7_T9_mT8_P12ihipStream_tbDpT10_ENKUlT_T0_E_clISt17integral_constantIbLb1EES1A_IbLb0EEEEDaS16_S17_EUlS16_E_NS1_11comp_targetILNS1_3genE0ELNS1_11target_archE4294967295ELNS1_3gpuE0ELNS1_3repE0EEENS1_30default_config_static_selectorELNS0_4arch9wavefront6targetE0EEEvT1_: ; @_ZN7rocprim17ROCPRIM_400000_NS6detail17trampoline_kernelINS0_14default_configENS1_25partition_config_selectorILNS1_17partition_subalgoE5EyNS0_10empty_typeEbEEZZNS1_14partition_implILS5_5ELb0ES3_mN6thrust23THRUST_200600_302600_NS6detail15normal_iteratorINSA_10device_ptrIyEEEEPS6_NSA_18transform_iteratorINSB_9not_fun_tI7is_trueIyEEESF_NSA_11use_defaultESM_EENS0_5tupleIJSF_S6_EEENSO_IJSG_SG_EEES6_PlJS6_EEE10hipError_tPvRmT3_T4_T5_T6_T7_T9_mT8_P12ihipStream_tbDpT10_ENKUlT_T0_E_clISt17integral_constantIbLb1EES1A_IbLb0EEEEDaS16_S17_EUlS16_E_NS1_11comp_targetILNS1_3genE0ELNS1_11target_archE4294967295ELNS1_3gpuE0ELNS1_3repE0EEENS1_30default_config_static_selectorELNS0_4arch9wavefront6targetE0EEEvT1_
; %bb.0:
	.section	.rodata,"a",@progbits
	.p2align	6, 0x0
	.amdhsa_kernel _ZN7rocprim17ROCPRIM_400000_NS6detail17trampoline_kernelINS0_14default_configENS1_25partition_config_selectorILNS1_17partition_subalgoE5EyNS0_10empty_typeEbEEZZNS1_14partition_implILS5_5ELb0ES3_mN6thrust23THRUST_200600_302600_NS6detail15normal_iteratorINSA_10device_ptrIyEEEEPS6_NSA_18transform_iteratorINSB_9not_fun_tI7is_trueIyEEESF_NSA_11use_defaultESM_EENS0_5tupleIJSF_S6_EEENSO_IJSG_SG_EEES6_PlJS6_EEE10hipError_tPvRmT3_T4_T5_T6_T7_T9_mT8_P12ihipStream_tbDpT10_ENKUlT_T0_E_clISt17integral_constantIbLb1EES1A_IbLb0EEEEDaS16_S17_EUlS16_E_NS1_11comp_targetILNS1_3genE0ELNS1_11target_archE4294967295ELNS1_3gpuE0ELNS1_3repE0EEENS1_30default_config_static_selectorELNS0_4arch9wavefront6targetE0EEEvT1_
		.amdhsa_group_segment_fixed_size 0
		.amdhsa_private_segment_fixed_size 0
		.amdhsa_kernarg_size 120
		.amdhsa_user_sgpr_count 2
		.amdhsa_user_sgpr_dispatch_ptr 0
		.amdhsa_user_sgpr_queue_ptr 0
		.amdhsa_user_sgpr_kernarg_segment_ptr 1
		.amdhsa_user_sgpr_dispatch_id 0
		.amdhsa_user_sgpr_private_segment_size 0
		.amdhsa_wavefront_size32 1
		.amdhsa_uses_dynamic_stack 0
		.amdhsa_enable_private_segment 0
		.amdhsa_system_sgpr_workgroup_id_x 1
		.amdhsa_system_sgpr_workgroup_id_y 0
		.amdhsa_system_sgpr_workgroup_id_z 0
		.amdhsa_system_sgpr_workgroup_info 0
		.amdhsa_system_vgpr_workitem_id 0
		.amdhsa_next_free_vgpr 1
		.amdhsa_next_free_sgpr 1
		.amdhsa_reserve_vcc 0
		.amdhsa_float_round_mode_32 0
		.amdhsa_float_round_mode_16_64 0
		.amdhsa_float_denorm_mode_32 3
		.amdhsa_float_denorm_mode_16_64 3
		.amdhsa_fp16_overflow 0
		.amdhsa_workgroup_processor_mode 1
		.amdhsa_memory_ordered 1
		.amdhsa_forward_progress 1
		.amdhsa_inst_pref_size 0
		.amdhsa_round_robin_scheduling 0
		.amdhsa_exception_fp_ieee_invalid_op 0
		.amdhsa_exception_fp_denorm_src 0
		.amdhsa_exception_fp_ieee_div_zero 0
		.amdhsa_exception_fp_ieee_overflow 0
		.amdhsa_exception_fp_ieee_underflow 0
		.amdhsa_exception_fp_ieee_inexact 0
		.amdhsa_exception_int_div_zero 0
	.end_amdhsa_kernel
	.section	.text._ZN7rocprim17ROCPRIM_400000_NS6detail17trampoline_kernelINS0_14default_configENS1_25partition_config_selectorILNS1_17partition_subalgoE5EyNS0_10empty_typeEbEEZZNS1_14partition_implILS5_5ELb0ES3_mN6thrust23THRUST_200600_302600_NS6detail15normal_iteratorINSA_10device_ptrIyEEEEPS6_NSA_18transform_iteratorINSB_9not_fun_tI7is_trueIyEEESF_NSA_11use_defaultESM_EENS0_5tupleIJSF_S6_EEENSO_IJSG_SG_EEES6_PlJS6_EEE10hipError_tPvRmT3_T4_T5_T6_T7_T9_mT8_P12ihipStream_tbDpT10_ENKUlT_T0_E_clISt17integral_constantIbLb1EES1A_IbLb0EEEEDaS16_S17_EUlS16_E_NS1_11comp_targetILNS1_3genE0ELNS1_11target_archE4294967295ELNS1_3gpuE0ELNS1_3repE0EEENS1_30default_config_static_selectorELNS0_4arch9wavefront6targetE0EEEvT1_,"axG",@progbits,_ZN7rocprim17ROCPRIM_400000_NS6detail17trampoline_kernelINS0_14default_configENS1_25partition_config_selectorILNS1_17partition_subalgoE5EyNS0_10empty_typeEbEEZZNS1_14partition_implILS5_5ELb0ES3_mN6thrust23THRUST_200600_302600_NS6detail15normal_iteratorINSA_10device_ptrIyEEEEPS6_NSA_18transform_iteratorINSB_9not_fun_tI7is_trueIyEEESF_NSA_11use_defaultESM_EENS0_5tupleIJSF_S6_EEENSO_IJSG_SG_EEES6_PlJS6_EEE10hipError_tPvRmT3_T4_T5_T6_T7_T9_mT8_P12ihipStream_tbDpT10_ENKUlT_T0_E_clISt17integral_constantIbLb1EES1A_IbLb0EEEEDaS16_S17_EUlS16_E_NS1_11comp_targetILNS1_3genE0ELNS1_11target_archE4294967295ELNS1_3gpuE0ELNS1_3repE0EEENS1_30default_config_static_selectorELNS0_4arch9wavefront6targetE0EEEvT1_,comdat
.Lfunc_end1384:
	.size	_ZN7rocprim17ROCPRIM_400000_NS6detail17trampoline_kernelINS0_14default_configENS1_25partition_config_selectorILNS1_17partition_subalgoE5EyNS0_10empty_typeEbEEZZNS1_14partition_implILS5_5ELb0ES3_mN6thrust23THRUST_200600_302600_NS6detail15normal_iteratorINSA_10device_ptrIyEEEEPS6_NSA_18transform_iteratorINSB_9not_fun_tI7is_trueIyEEESF_NSA_11use_defaultESM_EENS0_5tupleIJSF_S6_EEENSO_IJSG_SG_EEES6_PlJS6_EEE10hipError_tPvRmT3_T4_T5_T6_T7_T9_mT8_P12ihipStream_tbDpT10_ENKUlT_T0_E_clISt17integral_constantIbLb1EES1A_IbLb0EEEEDaS16_S17_EUlS16_E_NS1_11comp_targetILNS1_3genE0ELNS1_11target_archE4294967295ELNS1_3gpuE0ELNS1_3repE0EEENS1_30default_config_static_selectorELNS0_4arch9wavefront6targetE0EEEvT1_, .Lfunc_end1384-_ZN7rocprim17ROCPRIM_400000_NS6detail17trampoline_kernelINS0_14default_configENS1_25partition_config_selectorILNS1_17partition_subalgoE5EyNS0_10empty_typeEbEEZZNS1_14partition_implILS5_5ELb0ES3_mN6thrust23THRUST_200600_302600_NS6detail15normal_iteratorINSA_10device_ptrIyEEEEPS6_NSA_18transform_iteratorINSB_9not_fun_tI7is_trueIyEEESF_NSA_11use_defaultESM_EENS0_5tupleIJSF_S6_EEENSO_IJSG_SG_EEES6_PlJS6_EEE10hipError_tPvRmT3_T4_T5_T6_T7_T9_mT8_P12ihipStream_tbDpT10_ENKUlT_T0_E_clISt17integral_constantIbLb1EES1A_IbLb0EEEEDaS16_S17_EUlS16_E_NS1_11comp_targetILNS1_3genE0ELNS1_11target_archE4294967295ELNS1_3gpuE0ELNS1_3repE0EEENS1_30default_config_static_selectorELNS0_4arch9wavefront6targetE0EEEvT1_
                                        ; -- End function
	.set _ZN7rocprim17ROCPRIM_400000_NS6detail17trampoline_kernelINS0_14default_configENS1_25partition_config_selectorILNS1_17partition_subalgoE5EyNS0_10empty_typeEbEEZZNS1_14partition_implILS5_5ELb0ES3_mN6thrust23THRUST_200600_302600_NS6detail15normal_iteratorINSA_10device_ptrIyEEEEPS6_NSA_18transform_iteratorINSB_9not_fun_tI7is_trueIyEEESF_NSA_11use_defaultESM_EENS0_5tupleIJSF_S6_EEENSO_IJSG_SG_EEES6_PlJS6_EEE10hipError_tPvRmT3_T4_T5_T6_T7_T9_mT8_P12ihipStream_tbDpT10_ENKUlT_T0_E_clISt17integral_constantIbLb1EES1A_IbLb0EEEEDaS16_S17_EUlS16_E_NS1_11comp_targetILNS1_3genE0ELNS1_11target_archE4294967295ELNS1_3gpuE0ELNS1_3repE0EEENS1_30default_config_static_selectorELNS0_4arch9wavefront6targetE0EEEvT1_.num_vgpr, 0
	.set _ZN7rocprim17ROCPRIM_400000_NS6detail17trampoline_kernelINS0_14default_configENS1_25partition_config_selectorILNS1_17partition_subalgoE5EyNS0_10empty_typeEbEEZZNS1_14partition_implILS5_5ELb0ES3_mN6thrust23THRUST_200600_302600_NS6detail15normal_iteratorINSA_10device_ptrIyEEEEPS6_NSA_18transform_iteratorINSB_9not_fun_tI7is_trueIyEEESF_NSA_11use_defaultESM_EENS0_5tupleIJSF_S6_EEENSO_IJSG_SG_EEES6_PlJS6_EEE10hipError_tPvRmT3_T4_T5_T6_T7_T9_mT8_P12ihipStream_tbDpT10_ENKUlT_T0_E_clISt17integral_constantIbLb1EES1A_IbLb0EEEEDaS16_S17_EUlS16_E_NS1_11comp_targetILNS1_3genE0ELNS1_11target_archE4294967295ELNS1_3gpuE0ELNS1_3repE0EEENS1_30default_config_static_selectorELNS0_4arch9wavefront6targetE0EEEvT1_.num_agpr, 0
	.set _ZN7rocprim17ROCPRIM_400000_NS6detail17trampoline_kernelINS0_14default_configENS1_25partition_config_selectorILNS1_17partition_subalgoE5EyNS0_10empty_typeEbEEZZNS1_14partition_implILS5_5ELb0ES3_mN6thrust23THRUST_200600_302600_NS6detail15normal_iteratorINSA_10device_ptrIyEEEEPS6_NSA_18transform_iteratorINSB_9not_fun_tI7is_trueIyEEESF_NSA_11use_defaultESM_EENS0_5tupleIJSF_S6_EEENSO_IJSG_SG_EEES6_PlJS6_EEE10hipError_tPvRmT3_T4_T5_T6_T7_T9_mT8_P12ihipStream_tbDpT10_ENKUlT_T0_E_clISt17integral_constantIbLb1EES1A_IbLb0EEEEDaS16_S17_EUlS16_E_NS1_11comp_targetILNS1_3genE0ELNS1_11target_archE4294967295ELNS1_3gpuE0ELNS1_3repE0EEENS1_30default_config_static_selectorELNS0_4arch9wavefront6targetE0EEEvT1_.numbered_sgpr, 0
	.set _ZN7rocprim17ROCPRIM_400000_NS6detail17trampoline_kernelINS0_14default_configENS1_25partition_config_selectorILNS1_17partition_subalgoE5EyNS0_10empty_typeEbEEZZNS1_14partition_implILS5_5ELb0ES3_mN6thrust23THRUST_200600_302600_NS6detail15normal_iteratorINSA_10device_ptrIyEEEEPS6_NSA_18transform_iteratorINSB_9not_fun_tI7is_trueIyEEESF_NSA_11use_defaultESM_EENS0_5tupleIJSF_S6_EEENSO_IJSG_SG_EEES6_PlJS6_EEE10hipError_tPvRmT3_T4_T5_T6_T7_T9_mT8_P12ihipStream_tbDpT10_ENKUlT_T0_E_clISt17integral_constantIbLb1EES1A_IbLb0EEEEDaS16_S17_EUlS16_E_NS1_11comp_targetILNS1_3genE0ELNS1_11target_archE4294967295ELNS1_3gpuE0ELNS1_3repE0EEENS1_30default_config_static_selectorELNS0_4arch9wavefront6targetE0EEEvT1_.num_named_barrier, 0
	.set _ZN7rocprim17ROCPRIM_400000_NS6detail17trampoline_kernelINS0_14default_configENS1_25partition_config_selectorILNS1_17partition_subalgoE5EyNS0_10empty_typeEbEEZZNS1_14partition_implILS5_5ELb0ES3_mN6thrust23THRUST_200600_302600_NS6detail15normal_iteratorINSA_10device_ptrIyEEEEPS6_NSA_18transform_iteratorINSB_9not_fun_tI7is_trueIyEEESF_NSA_11use_defaultESM_EENS0_5tupleIJSF_S6_EEENSO_IJSG_SG_EEES6_PlJS6_EEE10hipError_tPvRmT3_T4_T5_T6_T7_T9_mT8_P12ihipStream_tbDpT10_ENKUlT_T0_E_clISt17integral_constantIbLb1EES1A_IbLb0EEEEDaS16_S17_EUlS16_E_NS1_11comp_targetILNS1_3genE0ELNS1_11target_archE4294967295ELNS1_3gpuE0ELNS1_3repE0EEENS1_30default_config_static_selectorELNS0_4arch9wavefront6targetE0EEEvT1_.private_seg_size, 0
	.set _ZN7rocprim17ROCPRIM_400000_NS6detail17trampoline_kernelINS0_14default_configENS1_25partition_config_selectorILNS1_17partition_subalgoE5EyNS0_10empty_typeEbEEZZNS1_14partition_implILS5_5ELb0ES3_mN6thrust23THRUST_200600_302600_NS6detail15normal_iteratorINSA_10device_ptrIyEEEEPS6_NSA_18transform_iteratorINSB_9not_fun_tI7is_trueIyEEESF_NSA_11use_defaultESM_EENS0_5tupleIJSF_S6_EEENSO_IJSG_SG_EEES6_PlJS6_EEE10hipError_tPvRmT3_T4_T5_T6_T7_T9_mT8_P12ihipStream_tbDpT10_ENKUlT_T0_E_clISt17integral_constantIbLb1EES1A_IbLb0EEEEDaS16_S17_EUlS16_E_NS1_11comp_targetILNS1_3genE0ELNS1_11target_archE4294967295ELNS1_3gpuE0ELNS1_3repE0EEENS1_30default_config_static_selectorELNS0_4arch9wavefront6targetE0EEEvT1_.uses_vcc, 0
	.set _ZN7rocprim17ROCPRIM_400000_NS6detail17trampoline_kernelINS0_14default_configENS1_25partition_config_selectorILNS1_17partition_subalgoE5EyNS0_10empty_typeEbEEZZNS1_14partition_implILS5_5ELb0ES3_mN6thrust23THRUST_200600_302600_NS6detail15normal_iteratorINSA_10device_ptrIyEEEEPS6_NSA_18transform_iteratorINSB_9not_fun_tI7is_trueIyEEESF_NSA_11use_defaultESM_EENS0_5tupleIJSF_S6_EEENSO_IJSG_SG_EEES6_PlJS6_EEE10hipError_tPvRmT3_T4_T5_T6_T7_T9_mT8_P12ihipStream_tbDpT10_ENKUlT_T0_E_clISt17integral_constantIbLb1EES1A_IbLb0EEEEDaS16_S17_EUlS16_E_NS1_11comp_targetILNS1_3genE0ELNS1_11target_archE4294967295ELNS1_3gpuE0ELNS1_3repE0EEENS1_30default_config_static_selectorELNS0_4arch9wavefront6targetE0EEEvT1_.uses_flat_scratch, 0
	.set _ZN7rocprim17ROCPRIM_400000_NS6detail17trampoline_kernelINS0_14default_configENS1_25partition_config_selectorILNS1_17partition_subalgoE5EyNS0_10empty_typeEbEEZZNS1_14partition_implILS5_5ELb0ES3_mN6thrust23THRUST_200600_302600_NS6detail15normal_iteratorINSA_10device_ptrIyEEEEPS6_NSA_18transform_iteratorINSB_9not_fun_tI7is_trueIyEEESF_NSA_11use_defaultESM_EENS0_5tupleIJSF_S6_EEENSO_IJSG_SG_EEES6_PlJS6_EEE10hipError_tPvRmT3_T4_T5_T6_T7_T9_mT8_P12ihipStream_tbDpT10_ENKUlT_T0_E_clISt17integral_constantIbLb1EES1A_IbLb0EEEEDaS16_S17_EUlS16_E_NS1_11comp_targetILNS1_3genE0ELNS1_11target_archE4294967295ELNS1_3gpuE0ELNS1_3repE0EEENS1_30default_config_static_selectorELNS0_4arch9wavefront6targetE0EEEvT1_.has_dyn_sized_stack, 0
	.set _ZN7rocprim17ROCPRIM_400000_NS6detail17trampoline_kernelINS0_14default_configENS1_25partition_config_selectorILNS1_17partition_subalgoE5EyNS0_10empty_typeEbEEZZNS1_14partition_implILS5_5ELb0ES3_mN6thrust23THRUST_200600_302600_NS6detail15normal_iteratorINSA_10device_ptrIyEEEEPS6_NSA_18transform_iteratorINSB_9not_fun_tI7is_trueIyEEESF_NSA_11use_defaultESM_EENS0_5tupleIJSF_S6_EEENSO_IJSG_SG_EEES6_PlJS6_EEE10hipError_tPvRmT3_T4_T5_T6_T7_T9_mT8_P12ihipStream_tbDpT10_ENKUlT_T0_E_clISt17integral_constantIbLb1EES1A_IbLb0EEEEDaS16_S17_EUlS16_E_NS1_11comp_targetILNS1_3genE0ELNS1_11target_archE4294967295ELNS1_3gpuE0ELNS1_3repE0EEENS1_30default_config_static_selectorELNS0_4arch9wavefront6targetE0EEEvT1_.has_recursion, 0
	.set _ZN7rocprim17ROCPRIM_400000_NS6detail17trampoline_kernelINS0_14default_configENS1_25partition_config_selectorILNS1_17partition_subalgoE5EyNS0_10empty_typeEbEEZZNS1_14partition_implILS5_5ELb0ES3_mN6thrust23THRUST_200600_302600_NS6detail15normal_iteratorINSA_10device_ptrIyEEEEPS6_NSA_18transform_iteratorINSB_9not_fun_tI7is_trueIyEEESF_NSA_11use_defaultESM_EENS0_5tupleIJSF_S6_EEENSO_IJSG_SG_EEES6_PlJS6_EEE10hipError_tPvRmT3_T4_T5_T6_T7_T9_mT8_P12ihipStream_tbDpT10_ENKUlT_T0_E_clISt17integral_constantIbLb1EES1A_IbLb0EEEEDaS16_S17_EUlS16_E_NS1_11comp_targetILNS1_3genE0ELNS1_11target_archE4294967295ELNS1_3gpuE0ELNS1_3repE0EEENS1_30default_config_static_selectorELNS0_4arch9wavefront6targetE0EEEvT1_.has_indirect_call, 0
	.section	.AMDGPU.csdata,"",@progbits
; Kernel info:
; codeLenInByte = 0
; TotalNumSgprs: 0
; NumVgprs: 0
; ScratchSize: 0
; MemoryBound: 0
; FloatMode: 240
; IeeeMode: 1
; LDSByteSize: 0 bytes/workgroup (compile time only)
; SGPRBlocks: 0
; VGPRBlocks: 0
; NumSGPRsForWavesPerEU: 1
; NumVGPRsForWavesPerEU: 1
; Occupancy: 16
; WaveLimiterHint : 0
; COMPUTE_PGM_RSRC2:SCRATCH_EN: 0
; COMPUTE_PGM_RSRC2:USER_SGPR: 2
; COMPUTE_PGM_RSRC2:TRAP_HANDLER: 0
; COMPUTE_PGM_RSRC2:TGID_X_EN: 1
; COMPUTE_PGM_RSRC2:TGID_Y_EN: 0
; COMPUTE_PGM_RSRC2:TGID_Z_EN: 0
; COMPUTE_PGM_RSRC2:TIDIG_COMP_CNT: 0
	.section	.text._ZN7rocprim17ROCPRIM_400000_NS6detail17trampoline_kernelINS0_14default_configENS1_25partition_config_selectorILNS1_17partition_subalgoE5EyNS0_10empty_typeEbEEZZNS1_14partition_implILS5_5ELb0ES3_mN6thrust23THRUST_200600_302600_NS6detail15normal_iteratorINSA_10device_ptrIyEEEEPS6_NSA_18transform_iteratorINSB_9not_fun_tI7is_trueIyEEESF_NSA_11use_defaultESM_EENS0_5tupleIJSF_S6_EEENSO_IJSG_SG_EEES6_PlJS6_EEE10hipError_tPvRmT3_T4_T5_T6_T7_T9_mT8_P12ihipStream_tbDpT10_ENKUlT_T0_E_clISt17integral_constantIbLb1EES1A_IbLb0EEEEDaS16_S17_EUlS16_E_NS1_11comp_targetILNS1_3genE5ELNS1_11target_archE942ELNS1_3gpuE9ELNS1_3repE0EEENS1_30default_config_static_selectorELNS0_4arch9wavefront6targetE0EEEvT1_,"axG",@progbits,_ZN7rocprim17ROCPRIM_400000_NS6detail17trampoline_kernelINS0_14default_configENS1_25partition_config_selectorILNS1_17partition_subalgoE5EyNS0_10empty_typeEbEEZZNS1_14partition_implILS5_5ELb0ES3_mN6thrust23THRUST_200600_302600_NS6detail15normal_iteratorINSA_10device_ptrIyEEEEPS6_NSA_18transform_iteratorINSB_9not_fun_tI7is_trueIyEEESF_NSA_11use_defaultESM_EENS0_5tupleIJSF_S6_EEENSO_IJSG_SG_EEES6_PlJS6_EEE10hipError_tPvRmT3_T4_T5_T6_T7_T9_mT8_P12ihipStream_tbDpT10_ENKUlT_T0_E_clISt17integral_constantIbLb1EES1A_IbLb0EEEEDaS16_S17_EUlS16_E_NS1_11comp_targetILNS1_3genE5ELNS1_11target_archE942ELNS1_3gpuE9ELNS1_3repE0EEENS1_30default_config_static_selectorELNS0_4arch9wavefront6targetE0EEEvT1_,comdat
	.protected	_ZN7rocprim17ROCPRIM_400000_NS6detail17trampoline_kernelINS0_14default_configENS1_25partition_config_selectorILNS1_17partition_subalgoE5EyNS0_10empty_typeEbEEZZNS1_14partition_implILS5_5ELb0ES3_mN6thrust23THRUST_200600_302600_NS6detail15normal_iteratorINSA_10device_ptrIyEEEEPS6_NSA_18transform_iteratorINSB_9not_fun_tI7is_trueIyEEESF_NSA_11use_defaultESM_EENS0_5tupleIJSF_S6_EEENSO_IJSG_SG_EEES6_PlJS6_EEE10hipError_tPvRmT3_T4_T5_T6_T7_T9_mT8_P12ihipStream_tbDpT10_ENKUlT_T0_E_clISt17integral_constantIbLb1EES1A_IbLb0EEEEDaS16_S17_EUlS16_E_NS1_11comp_targetILNS1_3genE5ELNS1_11target_archE942ELNS1_3gpuE9ELNS1_3repE0EEENS1_30default_config_static_selectorELNS0_4arch9wavefront6targetE0EEEvT1_ ; -- Begin function _ZN7rocprim17ROCPRIM_400000_NS6detail17trampoline_kernelINS0_14default_configENS1_25partition_config_selectorILNS1_17partition_subalgoE5EyNS0_10empty_typeEbEEZZNS1_14partition_implILS5_5ELb0ES3_mN6thrust23THRUST_200600_302600_NS6detail15normal_iteratorINSA_10device_ptrIyEEEEPS6_NSA_18transform_iteratorINSB_9not_fun_tI7is_trueIyEEESF_NSA_11use_defaultESM_EENS0_5tupleIJSF_S6_EEENSO_IJSG_SG_EEES6_PlJS6_EEE10hipError_tPvRmT3_T4_T5_T6_T7_T9_mT8_P12ihipStream_tbDpT10_ENKUlT_T0_E_clISt17integral_constantIbLb1EES1A_IbLb0EEEEDaS16_S17_EUlS16_E_NS1_11comp_targetILNS1_3genE5ELNS1_11target_archE942ELNS1_3gpuE9ELNS1_3repE0EEENS1_30default_config_static_selectorELNS0_4arch9wavefront6targetE0EEEvT1_
	.globl	_ZN7rocprim17ROCPRIM_400000_NS6detail17trampoline_kernelINS0_14default_configENS1_25partition_config_selectorILNS1_17partition_subalgoE5EyNS0_10empty_typeEbEEZZNS1_14partition_implILS5_5ELb0ES3_mN6thrust23THRUST_200600_302600_NS6detail15normal_iteratorINSA_10device_ptrIyEEEEPS6_NSA_18transform_iteratorINSB_9not_fun_tI7is_trueIyEEESF_NSA_11use_defaultESM_EENS0_5tupleIJSF_S6_EEENSO_IJSG_SG_EEES6_PlJS6_EEE10hipError_tPvRmT3_T4_T5_T6_T7_T9_mT8_P12ihipStream_tbDpT10_ENKUlT_T0_E_clISt17integral_constantIbLb1EES1A_IbLb0EEEEDaS16_S17_EUlS16_E_NS1_11comp_targetILNS1_3genE5ELNS1_11target_archE942ELNS1_3gpuE9ELNS1_3repE0EEENS1_30default_config_static_selectorELNS0_4arch9wavefront6targetE0EEEvT1_
	.p2align	8
	.type	_ZN7rocprim17ROCPRIM_400000_NS6detail17trampoline_kernelINS0_14default_configENS1_25partition_config_selectorILNS1_17partition_subalgoE5EyNS0_10empty_typeEbEEZZNS1_14partition_implILS5_5ELb0ES3_mN6thrust23THRUST_200600_302600_NS6detail15normal_iteratorINSA_10device_ptrIyEEEEPS6_NSA_18transform_iteratorINSB_9not_fun_tI7is_trueIyEEESF_NSA_11use_defaultESM_EENS0_5tupleIJSF_S6_EEENSO_IJSG_SG_EEES6_PlJS6_EEE10hipError_tPvRmT3_T4_T5_T6_T7_T9_mT8_P12ihipStream_tbDpT10_ENKUlT_T0_E_clISt17integral_constantIbLb1EES1A_IbLb0EEEEDaS16_S17_EUlS16_E_NS1_11comp_targetILNS1_3genE5ELNS1_11target_archE942ELNS1_3gpuE9ELNS1_3repE0EEENS1_30default_config_static_selectorELNS0_4arch9wavefront6targetE0EEEvT1_,@function
_ZN7rocprim17ROCPRIM_400000_NS6detail17trampoline_kernelINS0_14default_configENS1_25partition_config_selectorILNS1_17partition_subalgoE5EyNS0_10empty_typeEbEEZZNS1_14partition_implILS5_5ELb0ES3_mN6thrust23THRUST_200600_302600_NS6detail15normal_iteratorINSA_10device_ptrIyEEEEPS6_NSA_18transform_iteratorINSB_9not_fun_tI7is_trueIyEEESF_NSA_11use_defaultESM_EENS0_5tupleIJSF_S6_EEENSO_IJSG_SG_EEES6_PlJS6_EEE10hipError_tPvRmT3_T4_T5_T6_T7_T9_mT8_P12ihipStream_tbDpT10_ENKUlT_T0_E_clISt17integral_constantIbLb1EES1A_IbLb0EEEEDaS16_S17_EUlS16_E_NS1_11comp_targetILNS1_3genE5ELNS1_11target_archE942ELNS1_3gpuE9ELNS1_3repE0EEENS1_30default_config_static_selectorELNS0_4arch9wavefront6targetE0EEEvT1_: ; @_ZN7rocprim17ROCPRIM_400000_NS6detail17trampoline_kernelINS0_14default_configENS1_25partition_config_selectorILNS1_17partition_subalgoE5EyNS0_10empty_typeEbEEZZNS1_14partition_implILS5_5ELb0ES3_mN6thrust23THRUST_200600_302600_NS6detail15normal_iteratorINSA_10device_ptrIyEEEEPS6_NSA_18transform_iteratorINSB_9not_fun_tI7is_trueIyEEESF_NSA_11use_defaultESM_EENS0_5tupleIJSF_S6_EEENSO_IJSG_SG_EEES6_PlJS6_EEE10hipError_tPvRmT3_T4_T5_T6_T7_T9_mT8_P12ihipStream_tbDpT10_ENKUlT_T0_E_clISt17integral_constantIbLb1EES1A_IbLb0EEEEDaS16_S17_EUlS16_E_NS1_11comp_targetILNS1_3genE5ELNS1_11target_archE942ELNS1_3gpuE9ELNS1_3repE0EEENS1_30default_config_static_selectorELNS0_4arch9wavefront6targetE0EEEvT1_
; %bb.0:
	.section	.rodata,"a",@progbits
	.p2align	6, 0x0
	.amdhsa_kernel _ZN7rocprim17ROCPRIM_400000_NS6detail17trampoline_kernelINS0_14default_configENS1_25partition_config_selectorILNS1_17partition_subalgoE5EyNS0_10empty_typeEbEEZZNS1_14partition_implILS5_5ELb0ES3_mN6thrust23THRUST_200600_302600_NS6detail15normal_iteratorINSA_10device_ptrIyEEEEPS6_NSA_18transform_iteratorINSB_9not_fun_tI7is_trueIyEEESF_NSA_11use_defaultESM_EENS0_5tupleIJSF_S6_EEENSO_IJSG_SG_EEES6_PlJS6_EEE10hipError_tPvRmT3_T4_T5_T6_T7_T9_mT8_P12ihipStream_tbDpT10_ENKUlT_T0_E_clISt17integral_constantIbLb1EES1A_IbLb0EEEEDaS16_S17_EUlS16_E_NS1_11comp_targetILNS1_3genE5ELNS1_11target_archE942ELNS1_3gpuE9ELNS1_3repE0EEENS1_30default_config_static_selectorELNS0_4arch9wavefront6targetE0EEEvT1_
		.amdhsa_group_segment_fixed_size 0
		.amdhsa_private_segment_fixed_size 0
		.amdhsa_kernarg_size 120
		.amdhsa_user_sgpr_count 2
		.amdhsa_user_sgpr_dispatch_ptr 0
		.amdhsa_user_sgpr_queue_ptr 0
		.amdhsa_user_sgpr_kernarg_segment_ptr 1
		.amdhsa_user_sgpr_dispatch_id 0
		.amdhsa_user_sgpr_private_segment_size 0
		.amdhsa_wavefront_size32 1
		.amdhsa_uses_dynamic_stack 0
		.amdhsa_enable_private_segment 0
		.amdhsa_system_sgpr_workgroup_id_x 1
		.amdhsa_system_sgpr_workgroup_id_y 0
		.amdhsa_system_sgpr_workgroup_id_z 0
		.amdhsa_system_sgpr_workgroup_info 0
		.amdhsa_system_vgpr_workitem_id 0
		.amdhsa_next_free_vgpr 1
		.amdhsa_next_free_sgpr 1
		.amdhsa_reserve_vcc 0
		.amdhsa_float_round_mode_32 0
		.amdhsa_float_round_mode_16_64 0
		.amdhsa_float_denorm_mode_32 3
		.amdhsa_float_denorm_mode_16_64 3
		.amdhsa_fp16_overflow 0
		.amdhsa_workgroup_processor_mode 1
		.amdhsa_memory_ordered 1
		.amdhsa_forward_progress 1
		.amdhsa_inst_pref_size 0
		.amdhsa_round_robin_scheduling 0
		.amdhsa_exception_fp_ieee_invalid_op 0
		.amdhsa_exception_fp_denorm_src 0
		.amdhsa_exception_fp_ieee_div_zero 0
		.amdhsa_exception_fp_ieee_overflow 0
		.amdhsa_exception_fp_ieee_underflow 0
		.amdhsa_exception_fp_ieee_inexact 0
		.amdhsa_exception_int_div_zero 0
	.end_amdhsa_kernel
	.section	.text._ZN7rocprim17ROCPRIM_400000_NS6detail17trampoline_kernelINS0_14default_configENS1_25partition_config_selectorILNS1_17partition_subalgoE5EyNS0_10empty_typeEbEEZZNS1_14partition_implILS5_5ELb0ES3_mN6thrust23THRUST_200600_302600_NS6detail15normal_iteratorINSA_10device_ptrIyEEEEPS6_NSA_18transform_iteratorINSB_9not_fun_tI7is_trueIyEEESF_NSA_11use_defaultESM_EENS0_5tupleIJSF_S6_EEENSO_IJSG_SG_EEES6_PlJS6_EEE10hipError_tPvRmT3_T4_T5_T6_T7_T9_mT8_P12ihipStream_tbDpT10_ENKUlT_T0_E_clISt17integral_constantIbLb1EES1A_IbLb0EEEEDaS16_S17_EUlS16_E_NS1_11comp_targetILNS1_3genE5ELNS1_11target_archE942ELNS1_3gpuE9ELNS1_3repE0EEENS1_30default_config_static_selectorELNS0_4arch9wavefront6targetE0EEEvT1_,"axG",@progbits,_ZN7rocprim17ROCPRIM_400000_NS6detail17trampoline_kernelINS0_14default_configENS1_25partition_config_selectorILNS1_17partition_subalgoE5EyNS0_10empty_typeEbEEZZNS1_14partition_implILS5_5ELb0ES3_mN6thrust23THRUST_200600_302600_NS6detail15normal_iteratorINSA_10device_ptrIyEEEEPS6_NSA_18transform_iteratorINSB_9not_fun_tI7is_trueIyEEESF_NSA_11use_defaultESM_EENS0_5tupleIJSF_S6_EEENSO_IJSG_SG_EEES6_PlJS6_EEE10hipError_tPvRmT3_T4_T5_T6_T7_T9_mT8_P12ihipStream_tbDpT10_ENKUlT_T0_E_clISt17integral_constantIbLb1EES1A_IbLb0EEEEDaS16_S17_EUlS16_E_NS1_11comp_targetILNS1_3genE5ELNS1_11target_archE942ELNS1_3gpuE9ELNS1_3repE0EEENS1_30default_config_static_selectorELNS0_4arch9wavefront6targetE0EEEvT1_,comdat
.Lfunc_end1385:
	.size	_ZN7rocprim17ROCPRIM_400000_NS6detail17trampoline_kernelINS0_14default_configENS1_25partition_config_selectorILNS1_17partition_subalgoE5EyNS0_10empty_typeEbEEZZNS1_14partition_implILS5_5ELb0ES3_mN6thrust23THRUST_200600_302600_NS6detail15normal_iteratorINSA_10device_ptrIyEEEEPS6_NSA_18transform_iteratorINSB_9not_fun_tI7is_trueIyEEESF_NSA_11use_defaultESM_EENS0_5tupleIJSF_S6_EEENSO_IJSG_SG_EEES6_PlJS6_EEE10hipError_tPvRmT3_T4_T5_T6_T7_T9_mT8_P12ihipStream_tbDpT10_ENKUlT_T0_E_clISt17integral_constantIbLb1EES1A_IbLb0EEEEDaS16_S17_EUlS16_E_NS1_11comp_targetILNS1_3genE5ELNS1_11target_archE942ELNS1_3gpuE9ELNS1_3repE0EEENS1_30default_config_static_selectorELNS0_4arch9wavefront6targetE0EEEvT1_, .Lfunc_end1385-_ZN7rocprim17ROCPRIM_400000_NS6detail17trampoline_kernelINS0_14default_configENS1_25partition_config_selectorILNS1_17partition_subalgoE5EyNS0_10empty_typeEbEEZZNS1_14partition_implILS5_5ELb0ES3_mN6thrust23THRUST_200600_302600_NS6detail15normal_iteratorINSA_10device_ptrIyEEEEPS6_NSA_18transform_iteratorINSB_9not_fun_tI7is_trueIyEEESF_NSA_11use_defaultESM_EENS0_5tupleIJSF_S6_EEENSO_IJSG_SG_EEES6_PlJS6_EEE10hipError_tPvRmT3_T4_T5_T6_T7_T9_mT8_P12ihipStream_tbDpT10_ENKUlT_T0_E_clISt17integral_constantIbLb1EES1A_IbLb0EEEEDaS16_S17_EUlS16_E_NS1_11comp_targetILNS1_3genE5ELNS1_11target_archE942ELNS1_3gpuE9ELNS1_3repE0EEENS1_30default_config_static_selectorELNS0_4arch9wavefront6targetE0EEEvT1_
                                        ; -- End function
	.set _ZN7rocprim17ROCPRIM_400000_NS6detail17trampoline_kernelINS0_14default_configENS1_25partition_config_selectorILNS1_17partition_subalgoE5EyNS0_10empty_typeEbEEZZNS1_14partition_implILS5_5ELb0ES3_mN6thrust23THRUST_200600_302600_NS6detail15normal_iteratorINSA_10device_ptrIyEEEEPS6_NSA_18transform_iteratorINSB_9not_fun_tI7is_trueIyEEESF_NSA_11use_defaultESM_EENS0_5tupleIJSF_S6_EEENSO_IJSG_SG_EEES6_PlJS6_EEE10hipError_tPvRmT3_T4_T5_T6_T7_T9_mT8_P12ihipStream_tbDpT10_ENKUlT_T0_E_clISt17integral_constantIbLb1EES1A_IbLb0EEEEDaS16_S17_EUlS16_E_NS1_11comp_targetILNS1_3genE5ELNS1_11target_archE942ELNS1_3gpuE9ELNS1_3repE0EEENS1_30default_config_static_selectorELNS0_4arch9wavefront6targetE0EEEvT1_.num_vgpr, 0
	.set _ZN7rocprim17ROCPRIM_400000_NS6detail17trampoline_kernelINS0_14default_configENS1_25partition_config_selectorILNS1_17partition_subalgoE5EyNS0_10empty_typeEbEEZZNS1_14partition_implILS5_5ELb0ES3_mN6thrust23THRUST_200600_302600_NS6detail15normal_iteratorINSA_10device_ptrIyEEEEPS6_NSA_18transform_iteratorINSB_9not_fun_tI7is_trueIyEEESF_NSA_11use_defaultESM_EENS0_5tupleIJSF_S6_EEENSO_IJSG_SG_EEES6_PlJS6_EEE10hipError_tPvRmT3_T4_T5_T6_T7_T9_mT8_P12ihipStream_tbDpT10_ENKUlT_T0_E_clISt17integral_constantIbLb1EES1A_IbLb0EEEEDaS16_S17_EUlS16_E_NS1_11comp_targetILNS1_3genE5ELNS1_11target_archE942ELNS1_3gpuE9ELNS1_3repE0EEENS1_30default_config_static_selectorELNS0_4arch9wavefront6targetE0EEEvT1_.num_agpr, 0
	.set _ZN7rocprim17ROCPRIM_400000_NS6detail17trampoline_kernelINS0_14default_configENS1_25partition_config_selectorILNS1_17partition_subalgoE5EyNS0_10empty_typeEbEEZZNS1_14partition_implILS5_5ELb0ES3_mN6thrust23THRUST_200600_302600_NS6detail15normal_iteratorINSA_10device_ptrIyEEEEPS6_NSA_18transform_iteratorINSB_9not_fun_tI7is_trueIyEEESF_NSA_11use_defaultESM_EENS0_5tupleIJSF_S6_EEENSO_IJSG_SG_EEES6_PlJS6_EEE10hipError_tPvRmT3_T4_T5_T6_T7_T9_mT8_P12ihipStream_tbDpT10_ENKUlT_T0_E_clISt17integral_constantIbLb1EES1A_IbLb0EEEEDaS16_S17_EUlS16_E_NS1_11comp_targetILNS1_3genE5ELNS1_11target_archE942ELNS1_3gpuE9ELNS1_3repE0EEENS1_30default_config_static_selectorELNS0_4arch9wavefront6targetE0EEEvT1_.numbered_sgpr, 0
	.set _ZN7rocprim17ROCPRIM_400000_NS6detail17trampoline_kernelINS0_14default_configENS1_25partition_config_selectorILNS1_17partition_subalgoE5EyNS0_10empty_typeEbEEZZNS1_14partition_implILS5_5ELb0ES3_mN6thrust23THRUST_200600_302600_NS6detail15normal_iteratorINSA_10device_ptrIyEEEEPS6_NSA_18transform_iteratorINSB_9not_fun_tI7is_trueIyEEESF_NSA_11use_defaultESM_EENS0_5tupleIJSF_S6_EEENSO_IJSG_SG_EEES6_PlJS6_EEE10hipError_tPvRmT3_T4_T5_T6_T7_T9_mT8_P12ihipStream_tbDpT10_ENKUlT_T0_E_clISt17integral_constantIbLb1EES1A_IbLb0EEEEDaS16_S17_EUlS16_E_NS1_11comp_targetILNS1_3genE5ELNS1_11target_archE942ELNS1_3gpuE9ELNS1_3repE0EEENS1_30default_config_static_selectorELNS0_4arch9wavefront6targetE0EEEvT1_.num_named_barrier, 0
	.set _ZN7rocprim17ROCPRIM_400000_NS6detail17trampoline_kernelINS0_14default_configENS1_25partition_config_selectorILNS1_17partition_subalgoE5EyNS0_10empty_typeEbEEZZNS1_14partition_implILS5_5ELb0ES3_mN6thrust23THRUST_200600_302600_NS6detail15normal_iteratorINSA_10device_ptrIyEEEEPS6_NSA_18transform_iteratorINSB_9not_fun_tI7is_trueIyEEESF_NSA_11use_defaultESM_EENS0_5tupleIJSF_S6_EEENSO_IJSG_SG_EEES6_PlJS6_EEE10hipError_tPvRmT3_T4_T5_T6_T7_T9_mT8_P12ihipStream_tbDpT10_ENKUlT_T0_E_clISt17integral_constantIbLb1EES1A_IbLb0EEEEDaS16_S17_EUlS16_E_NS1_11comp_targetILNS1_3genE5ELNS1_11target_archE942ELNS1_3gpuE9ELNS1_3repE0EEENS1_30default_config_static_selectorELNS0_4arch9wavefront6targetE0EEEvT1_.private_seg_size, 0
	.set _ZN7rocprim17ROCPRIM_400000_NS6detail17trampoline_kernelINS0_14default_configENS1_25partition_config_selectorILNS1_17partition_subalgoE5EyNS0_10empty_typeEbEEZZNS1_14partition_implILS5_5ELb0ES3_mN6thrust23THRUST_200600_302600_NS6detail15normal_iteratorINSA_10device_ptrIyEEEEPS6_NSA_18transform_iteratorINSB_9not_fun_tI7is_trueIyEEESF_NSA_11use_defaultESM_EENS0_5tupleIJSF_S6_EEENSO_IJSG_SG_EEES6_PlJS6_EEE10hipError_tPvRmT3_T4_T5_T6_T7_T9_mT8_P12ihipStream_tbDpT10_ENKUlT_T0_E_clISt17integral_constantIbLb1EES1A_IbLb0EEEEDaS16_S17_EUlS16_E_NS1_11comp_targetILNS1_3genE5ELNS1_11target_archE942ELNS1_3gpuE9ELNS1_3repE0EEENS1_30default_config_static_selectorELNS0_4arch9wavefront6targetE0EEEvT1_.uses_vcc, 0
	.set _ZN7rocprim17ROCPRIM_400000_NS6detail17trampoline_kernelINS0_14default_configENS1_25partition_config_selectorILNS1_17partition_subalgoE5EyNS0_10empty_typeEbEEZZNS1_14partition_implILS5_5ELb0ES3_mN6thrust23THRUST_200600_302600_NS6detail15normal_iteratorINSA_10device_ptrIyEEEEPS6_NSA_18transform_iteratorINSB_9not_fun_tI7is_trueIyEEESF_NSA_11use_defaultESM_EENS0_5tupleIJSF_S6_EEENSO_IJSG_SG_EEES6_PlJS6_EEE10hipError_tPvRmT3_T4_T5_T6_T7_T9_mT8_P12ihipStream_tbDpT10_ENKUlT_T0_E_clISt17integral_constantIbLb1EES1A_IbLb0EEEEDaS16_S17_EUlS16_E_NS1_11comp_targetILNS1_3genE5ELNS1_11target_archE942ELNS1_3gpuE9ELNS1_3repE0EEENS1_30default_config_static_selectorELNS0_4arch9wavefront6targetE0EEEvT1_.uses_flat_scratch, 0
	.set _ZN7rocprim17ROCPRIM_400000_NS6detail17trampoline_kernelINS0_14default_configENS1_25partition_config_selectorILNS1_17partition_subalgoE5EyNS0_10empty_typeEbEEZZNS1_14partition_implILS5_5ELb0ES3_mN6thrust23THRUST_200600_302600_NS6detail15normal_iteratorINSA_10device_ptrIyEEEEPS6_NSA_18transform_iteratorINSB_9not_fun_tI7is_trueIyEEESF_NSA_11use_defaultESM_EENS0_5tupleIJSF_S6_EEENSO_IJSG_SG_EEES6_PlJS6_EEE10hipError_tPvRmT3_T4_T5_T6_T7_T9_mT8_P12ihipStream_tbDpT10_ENKUlT_T0_E_clISt17integral_constantIbLb1EES1A_IbLb0EEEEDaS16_S17_EUlS16_E_NS1_11comp_targetILNS1_3genE5ELNS1_11target_archE942ELNS1_3gpuE9ELNS1_3repE0EEENS1_30default_config_static_selectorELNS0_4arch9wavefront6targetE0EEEvT1_.has_dyn_sized_stack, 0
	.set _ZN7rocprim17ROCPRIM_400000_NS6detail17trampoline_kernelINS0_14default_configENS1_25partition_config_selectorILNS1_17partition_subalgoE5EyNS0_10empty_typeEbEEZZNS1_14partition_implILS5_5ELb0ES3_mN6thrust23THRUST_200600_302600_NS6detail15normal_iteratorINSA_10device_ptrIyEEEEPS6_NSA_18transform_iteratorINSB_9not_fun_tI7is_trueIyEEESF_NSA_11use_defaultESM_EENS0_5tupleIJSF_S6_EEENSO_IJSG_SG_EEES6_PlJS6_EEE10hipError_tPvRmT3_T4_T5_T6_T7_T9_mT8_P12ihipStream_tbDpT10_ENKUlT_T0_E_clISt17integral_constantIbLb1EES1A_IbLb0EEEEDaS16_S17_EUlS16_E_NS1_11comp_targetILNS1_3genE5ELNS1_11target_archE942ELNS1_3gpuE9ELNS1_3repE0EEENS1_30default_config_static_selectorELNS0_4arch9wavefront6targetE0EEEvT1_.has_recursion, 0
	.set _ZN7rocprim17ROCPRIM_400000_NS6detail17trampoline_kernelINS0_14default_configENS1_25partition_config_selectorILNS1_17partition_subalgoE5EyNS0_10empty_typeEbEEZZNS1_14partition_implILS5_5ELb0ES3_mN6thrust23THRUST_200600_302600_NS6detail15normal_iteratorINSA_10device_ptrIyEEEEPS6_NSA_18transform_iteratorINSB_9not_fun_tI7is_trueIyEEESF_NSA_11use_defaultESM_EENS0_5tupleIJSF_S6_EEENSO_IJSG_SG_EEES6_PlJS6_EEE10hipError_tPvRmT3_T4_T5_T6_T7_T9_mT8_P12ihipStream_tbDpT10_ENKUlT_T0_E_clISt17integral_constantIbLb1EES1A_IbLb0EEEEDaS16_S17_EUlS16_E_NS1_11comp_targetILNS1_3genE5ELNS1_11target_archE942ELNS1_3gpuE9ELNS1_3repE0EEENS1_30default_config_static_selectorELNS0_4arch9wavefront6targetE0EEEvT1_.has_indirect_call, 0
	.section	.AMDGPU.csdata,"",@progbits
; Kernel info:
; codeLenInByte = 0
; TotalNumSgprs: 0
; NumVgprs: 0
; ScratchSize: 0
; MemoryBound: 0
; FloatMode: 240
; IeeeMode: 1
; LDSByteSize: 0 bytes/workgroup (compile time only)
; SGPRBlocks: 0
; VGPRBlocks: 0
; NumSGPRsForWavesPerEU: 1
; NumVGPRsForWavesPerEU: 1
; Occupancy: 16
; WaveLimiterHint : 0
; COMPUTE_PGM_RSRC2:SCRATCH_EN: 0
; COMPUTE_PGM_RSRC2:USER_SGPR: 2
; COMPUTE_PGM_RSRC2:TRAP_HANDLER: 0
; COMPUTE_PGM_RSRC2:TGID_X_EN: 1
; COMPUTE_PGM_RSRC2:TGID_Y_EN: 0
; COMPUTE_PGM_RSRC2:TGID_Z_EN: 0
; COMPUTE_PGM_RSRC2:TIDIG_COMP_CNT: 0
	.section	.text._ZN7rocprim17ROCPRIM_400000_NS6detail17trampoline_kernelINS0_14default_configENS1_25partition_config_selectorILNS1_17partition_subalgoE5EyNS0_10empty_typeEbEEZZNS1_14partition_implILS5_5ELb0ES3_mN6thrust23THRUST_200600_302600_NS6detail15normal_iteratorINSA_10device_ptrIyEEEEPS6_NSA_18transform_iteratorINSB_9not_fun_tI7is_trueIyEEESF_NSA_11use_defaultESM_EENS0_5tupleIJSF_S6_EEENSO_IJSG_SG_EEES6_PlJS6_EEE10hipError_tPvRmT3_T4_T5_T6_T7_T9_mT8_P12ihipStream_tbDpT10_ENKUlT_T0_E_clISt17integral_constantIbLb1EES1A_IbLb0EEEEDaS16_S17_EUlS16_E_NS1_11comp_targetILNS1_3genE4ELNS1_11target_archE910ELNS1_3gpuE8ELNS1_3repE0EEENS1_30default_config_static_selectorELNS0_4arch9wavefront6targetE0EEEvT1_,"axG",@progbits,_ZN7rocprim17ROCPRIM_400000_NS6detail17trampoline_kernelINS0_14default_configENS1_25partition_config_selectorILNS1_17partition_subalgoE5EyNS0_10empty_typeEbEEZZNS1_14partition_implILS5_5ELb0ES3_mN6thrust23THRUST_200600_302600_NS6detail15normal_iteratorINSA_10device_ptrIyEEEEPS6_NSA_18transform_iteratorINSB_9not_fun_tI7is_trueIyEEESF_NSA_11use_defaultESM_EENS0_5tupleIJSF_S6_EEENSO_IJSG_SG_EEES6_PlJS6_EEE10hipError_tPvRmT3_T4_T5_T6_T7_T9_mT8_P12ihipStream_tbDpT10_ENKUlT_T0_E_clISt17integral_constantIbLb1EES1A_IbLb0EEEEDaS16_S17_EUlS16_E_NS1_11comp_targetILNS1_3genE4ELNS1_11target_archE910ELNS1_3gpuE8ELNS1_3repE0EEENS1_30default_config_static_selectorELNS0_4arch9wavefront6targetE0EEEvT1_,comdat
	.protected	_ZN7rocprim17ROCPRIM_400000_NS6detail17trampoline_kernelINS0_14default_configENS1_25partition_config_selectorILNS1_17partition_subalgoE5EyNS0_10empty_typeEbEEZZNS1_14partition_implILS5_5ELb0ES3_mN6thrust23THRUST_200600_302600_NS6detail15normal_iteratorINSA_10device_ptrIyEEEEPS6_NSA_18transform_iteratorINSB_9not_fun_tI7is_trueIyEEESF_NSA_11use_defaultESM_EENS0_5tupleIJSF_S6_EEENSO_IJSG_SG_EEES6_PlJS6_EEE10hipError_tPvRmT3_T4_T5_T6_T7_T9_mT8_P12ihipStream_tbDpT10_ENKUlT_T0_E_clISt17integral_constantIbLb1EES1A_IbLb0EEEEDaS16_S17_EUlS16_E_NS1_11comp_targetILNS1_3genE4ELNS1_11target_archE910ELNS1_3gpuE8ELNS1_3repE0EEENS1_30default_config_static_selectorELNS0_4arch9wavefront6targetE0EEEvT1_ ; -- Begin function _ZN7rocprim17ROCPRIM_400000_NS6detail17trampoline_kernelINS0_14default_configENS1_25partition_config_selectorILNS1_17partition_subalgoE5EyNS0_10empty_typeEbEEZZNS1_14partition_implILS5_5ELb0ES3_mN6thrust23THRUST_200600_302600_NS6detail15normal_iteratorINSA_10device_ptrIyEEEEPS6_NSA_18transform_iteratorINSB_9not_fun_tI7is_trueIyEEESF_NSA_11use_defaultESM_EENS0_5tupleIJSF_S6_EEENSO_IJSG_SG_EEES6_PlJS6_EEE10hipError_tPvRmT3_T4_T5_T6_T7_T9_mT8_P12ihipStream_tbDpT10_ENKUlT_T0_E_clISt17integral_constantIbLb1EES1A_IbLb0EEEEDaS16_S17_EUlS16_E_NS1_11comp_targetILNS1_3genE4ELNS1_11target_archE910ELNS1_3gpuE8ELNS1_3repE0EEENS1_30default_config_static_selectorELNS0_4arch9wavefront6targetE0EEEvT1_
	.globl	_ZN7rocprim17ROCPRIM_400000_NS6detail17trampoline_kernelINS0_14default_configENS1_25partition_config_selectorILNS1_17partition_subalgoE5EyNS0_10empty_typeEbEEZZNS1_14partition_implILS5_5ELb0ES3_mN6thrust23THRUST_200600_302600_NS6detail15normal_iteratorINSA_10device_ptrIyEEEEPS6_NSA_18transform_iteratorINSB_9not_fun_tI7is_trueIyEEESF_NSA_11use_defaultESM_EENS0_5tupleIJSF_S6_EEENSO_IJSG_SG_EEES6_PlJS6_EEE10hipError_tPvRmT3_T4_T5_T6_T7_T9_mT8_P12ihipStream_tbDpT10_ENKUlT_T0_E_clISt17integral_constantIbLb1EES1A_IbLb0EEEEDaS16_S17_EUlS16_E_NS1_11comp_targetILNS1_3genE4ELNS1_11target_archE910ELNS1_3gpuE8ELNS1_3repE0EEENS1_30default_config_static_selectorELNS0_4arch9wavefront6targetE0EEEvT1_
	.p2align	8
	.type	_ZN7rocprim17ROCPRIM_400000_NS6detail17trampoline_kernelINS0_14default_configENS1_25partition_config_selectorILNS1_17partition_subalgoE5EyNS0_10empty_typeEbEEZZNS1_14partition_implILS5_5ELb0ES3_mN6thrust23THRUST_200600_302600_NS6detail15normal_iteratorINSA_10device_ptrIyEEEEPS6_NSA_18transform_iteratorINSB_9not_fun_tI7is_trueIyEEESF_NSA_11use_defaultESM_EENS0_5tupleIJSF_S6_EEENSO_IJSG_SG_EEES6_PlJS6_EEE10hipError_tPvRmT3_T4_T5_T6_T7_T9_mT8_P12ihipStream_tbDpT10_ENKUlT_T0_E_clISt17integral_constantIbLb1EES1A_IbLb0EEEEDaS16_S17_EUlS16_E_NS1_11comp_targetILNS1_3genE4ELNS1_11target_archE910ELNS1_3gpuE8ELNS1_3repE0EEENS1_30default_config_static_selectorELNS0_4arch9wavefront6targetE0EEEvT1_,@function
_ZN7rocprim17ROCPRIM_400000_NS6detail17trampoline_kernelINS0_14default_configENS1_25partition_config_selectorILNS1_17partition_subalgoE5EyNS0_10empty_typeEbEEZZNS1_14partition_implILS5_5ELb0ES3_mN6thrust23THRUST_200600_302600_NS6detail15normal_iteratorINSA_10device_ptrIyEEEEPS6_NSA_18transform_iteratorINSB_9not_fun_tI7is_trueIyEEESF_NSA_11use_defaultESM_EENS0_5tupleIJSF_S6_EEENSO_IJSG_SG_EEES6_PlJS6_EEE10hipError_tPvRmT3_T4_T5_T6_T7_T9_mT8_P12ihipStream_tbDpT10_ENKUlT_T0_E_clISt17integral_constantIbLb1EES1A_IbLb0EEEEDaS16_S17_EUlS16_E_NS1_11comp_targetILNS1_3genE4ELNS1_11target_archE910ELNS1_3gpuE8ELNS1_3repE0EEENS1_30default_config_static_selectorELNS0_4arch9wavefront6targetE0EEEvT1_: ; @_ZN7rocprim17ROCPRIM_400000_NS6detail17trampoline_kernelINS0_14default_configENS1_25partition_config_selectorILNS1_17partition_subalgoE5EyNS0_10empty_typeEbEEZZNS1_14partition_implILS5_5ELb0ES3_mN6thrust23THRUST_200600_302600_NS6detail15normal_iteratorINSA_10device_ptrIyEEEEPS6_NSA_18transform_iteratorINSB_9not_fun_tI7is_trueIyEEESF_NSA_11use_defaultESM_EENS0_5tupleIJSF_S6_EEENSO_IJSG_SG_EEES6_PlJS6_EEE10hipError_tPvRmT3_T4_T5_T6_T7_T9_mT8_P12ihipStream_tbDpT10_ENKUlT_T0_E_clISt17integral_constantIbLb1EES1A_IbLb0EEEEDaS16_S17_EUlS16_E_NS1_11comp_targetILNS1_3genE4ELNS1_11target_archE910ELNS1_3gpuE8ELNS1_3repE0EEENS1_30default_config_static_selectorELNS0_4arch9wavefront6targetE0EEEvT1_
; %bb.0:
	.section	.rodata,"a",@progbits
	.p2align	6, 0x0
	.amdhsa_kernel _ZN7rocprim17ROCPRIM_400000_NS6detail17trampoline_kernelINS0_14default_configENS1_25partition_config_selectorILNS1_17partition_subalgoE5EyNS0_10empty_typeEbEEZZNS1_14partition_implILS5_5ELb0ES3_mN6thrust23THRUST_200600_302600_NS6detail15normal_iteratorINSA_10device_ptrIyEEEEPS6_NSA_18transform_iteratorINSB_9not_fun_tI7is_trueIyEEESF_NSA_11use_defaultESM_EENS0_5tupleIJSF_S6_EEENSO_IJSG_SG_EEES6_PlJS6_EEE10hipError_tPvRmT3_T4_T5_T6_T7_T9_mT8_P12ihipStream_tbDpT10_ENKUlT_T0_E_clISt17integral_constantIbLb1EES1A_IbLb0EEEEDaS16_S17_EUlS16_E_NS1_11comp_targetILNS1_3genE4ELNS1_11target_archE910ELNS1_3gpuE8ELNS1_3repE0EEENS1_30default_config_static_selectorELNS0_4arch9wavefront6targetE0EEEvT1_
		.amdhsa_group_segment_fixed_size 0
		.amdhsa_private_segment_fixed_size 0
		.amdhsa_kernarg_size 120
		.amdhsa_user_sgpr_count 2
		.amdhsa_user_sgpr_dispatch_ptr 0
		.amdhsa_user_sgpr_queue_ptr 0
		.amdhsa_user_sgpr_kernarg_segment_ptr 1
		.amdhsa_user_sgpr_dispatch_id 0
		.amdhsa_user_sgpr_private_segment_size 0
		.amdhsa_wavefront_size32 1
		.amdhsa_uses_dynamic_stack 0
		.amdhsa_enable_private_segment 0
		.amdhsa_system_sgpr_workgroup_id_x 1
		.amdhsa_system_sgpr_workgroup_id_y 0
		.amdhsa_system_sgpr_workgroup_id_z 0
		.amdhsa_system_sgpr_workgroup_info 0
		.amdhsa_system_vgpr_workitem_id 0
		.amdhsa_next_free_vgpr 1
		.amdhsa_next_free_sgpr 1
		.amdhsa_reserve_vcc 0
		.amdhsa_float_round_mode_32 0
		.amdhsa_float_round_mode_16_64 0
		.amdhsa_float_denorm_mode_32 3
		.amdhsa_float_denorm_mode_16_64 3
		.amdhsa_fp16_overflow 0
		.amdhsa_workgroup_processor_mode 1
		.amdhsa_memory_ordered 1
		.amdhsa_forward_progress 1
		.amdhsa_inst_pref_size 0
		.amdhsa_round_robin_scheduling 0
		.amdhsa_exception_fp_ieee_invalid_op 0
		.amdhsa_exception_fp_denorm_src 0
		.amdhsa_exception_fp_ieee_div_zero 0
		.amdhsa_exception_fp_ieee_overflow 0
		.amdhsa_exception_fp_ieee_underflow 0
		.amdhsa_exception_fp_ieee_inexact 0
		.amdhsa_exception_int_div_zero 0
	.end_amdhsa_kernel
	.section	.text._ZN7rocprim17ROCPRIM_400000_NS6detail17trampoline_kernelINS0_14default_configENS1_25partition_config_selectorILNS1_17partition_subalgoE5EyNS0_10empty_typeEbEEZZNS1_14partition_implILS5_5ELb0ES3_mN6thrust23THRUST_200600_302600_NS6detail15normal_iteratorINSA_10device_ptrIyEEEEPS6_NSA_18transform_iteratorINSB_9not_fun_tI7is_trueIyEEESF_NSA_11use_defaultESM_EENS0_5tupleIJSF_S6_EEENSO_IJSG_SG_EEES6_PlJS6_EEE10hipError_tPvRmT3_T4_T5_T6_T7_T9_mT8_P12ihipStream_tbDpT10_ENKUlT_T0_E_clISt17integral_constantIbLb1EES1A_IbLb0EEEEDaS16_S17_EUlS16_E_NS1_11comp_targetILNS1_3genE4ELNS1_11target_archE910ELNS1_3gpuE8ELNS1_3repE0EEENS1_30default_config_static_selectorELNS0_4arch9wavefront6targetE0EEEvT1_,"axG",@progbits,_ZN7rocprim17ROCPRIM_400000_NS6detail17trampoline_kernelINS0_14default_configENS1_25partition_config_selectorILNS1_17partition_subalgoE5EyNS0_10empty_typeEbEEZZNS1_14partition_implILS5_5ELb0ES3_mN6thrust23THRUST_200600_302600_NS6detail15normal_iteratorINSA_10device_ptrIyEEEEPS6_NSA_18transform_iteratorINSB_9not_fun_tI7is_trueIyEEESF_NSA_11use_defaultESM_EENS0_5tupleIJSF_S6_EEENSO_IJSG_SG_EEES6_PlJS6_EEE10hipError_tPvRmT3_T4_T5_T6_T7_T9_mT8_P12ihipStream_tbDpT10_ENKUlT_T0_E_clISt17integral_constantIbLb1EES1A_IbLb0EEEEDaS16_S17_EUlS16_E_NS1_11comp_targetILNS1_3genE4ELNS1_11target_archE910ELNS1_3gpuE8ELNS1_3repE0EEENS1_30default_config_static_selectorELNS0_4arch9wavefront6targetE0EEEvT1_,comdat
.Lfunc_end1386:
	.size	_ZN7rocprim17ROCPRIM_400000_NS6detail17trampoline_kernelINS0_14default_configENS1_25partition_config_selectorILNS1_17partition_subalgoE5EyNS0_10empty_typeEbEEZZNS1_14partition_implILS5_5ELb0ES3_mN6thrust23THRUST_200600_302600_NS6detail15normal_iteratorINSA_10device_ptrIyEEEEPS6_NSA_18transform_iteratorINSB_9not_fun_tI7is_trueIyEEESF_NSA_11use_defaultESM_EENS0_5tupleIJSF_S6_EEENSO_IJSG_SG_EEES6_PlJS6_EEE10hipError_tPvRmT3_T4_T5_T6_T7_T9_mT8_P12ihipStream_tbDpT10_ENKUlT_T0_E_clISt17integral_constantIbLb1EES1A_IbLb0EEEEDaS16_S17_EUlS16_E_NS1_11comp_targetILNS1_3genE4ELNS1_11target_archE910ELNS1_3gpuE8ELNS1_3repE0EEENS1_30default_config_static_selectorELNS0_4arch9wavefront6targetE0EEEvT1_, .Lfunc_end1386-_ZN7rocprim17ROCPRIM_400000_NS6detail17trampoline_kernelINS0_14default_configENS1_25partition_config_selectorILNS1_17partition_subalgoE5EyNS0_10empty_typeEbEEZZNS1_14partition_implILS5_5ELb0ES3_mN6thrust23THRUST_200600_302600_NS6detail15normal_iteratorINSA_10device_ptrIyEEEEPS6_NSA_18transform_iteratorINSB_9not_fun_tI7is_trueIyEEESF_NSA_11use_defaultESM_EENS0_5tupleIJSF_S6_EEENSO_IJSG_SG_EEES6_PlJS6_EEE10hipError_tPvRmT3_T4_T5_T6_T7_T9_mT8_P12ihipStream_tbDpT10_ENKUlT_T0_E_clISt17integral_constantIbLb1EES1A_IbLb0EEEEDaS16_S17_EUlS16_E_NS1_11comp_targetILNS1_3genE4ELNS1_11target_archE910ELNS1_3gpuE8ELNS1_3repE0EEENS1_30default_config_static_selectorELNS0_4arch9wavefront6targetE0EEEvT1_
                                        ; -- End function
	.set _ZN7rocprim17ROCPRIM_400000_NS6detail17trampoline_kernelINS0_14default_configENS1_25partition_config_selectorILNS1_17partition_subalgoE5EyNS0_10empty_typeEbEEZZNS1_14partition_implILS5_5ELb0ES3_mN6thrust23THRUST_200600_302600_NS6detail15normal_iteratorINSA_10device_ptrIyEEEEPS6_NSA_18transform_iteratorINSB_9not_fun_tI7is_trueIyEEESF_NSA_11use_defaultESM_EENS0_5tupleIJSF_S6_EEENSO_IJSG_SG_EEES6_PlJS6_EEE10hipError_tPvRmT3_T4_T5_T6_T7_T9_mT8_P12ihipStream_tbDpT10_ENKUlT_T0_E_clISt17integral_constantIbLb1EES1A_IbLb0EEEEDaS16_S17_EUlS16_E_NS1_11comp_targetILNS1_3genE4ELNS1_11target_archE910ELNS1_3gpuE8ELNS1_3repE0EEENS1_30default_config_static_selectorELNS0_4arch9wavefront6targetE0EEEvT1_.num_vgpr, 0
	.set _ZN7rocprim17ROCPRIM_400000_NS6detail17trampoline_kernelINS0_14default_configENS1_25partition_config_selectorILNS1_17partition_subalgoE5EyNS0_10empty_typeEbEEZZNS1_14partition_implILS5_5ELb0ES3_mN6thrust23THRUST_200600_302600_NS6detail15normal_iteratorINSA_10device_ptrIyEEEEPS6_NSA_18transform_iteratorINSB_9not_fun_tI7is_trueIyEEESF_NSA_11use_defaultESM_EENS0_5tupleIJSF_S6_EEENSO_IJSG_SG_EEES6_PlJS6_EEE10hipError_tPvRmT3_T4_T5_T6_T7_T9_mT8_P12ihipStream_tbDpT10_ENKUlT_T0_E_clISt17integral_constantIbLb1EES1A_IbLb0EEEEDaS16_S17_EUlS16_E_NS1_11comp_targetILNS1_3genE4ELNS1_11target_archE910ELNS1_3gpuE8ELNS1_3repE0EEENS1_30default_config_static_selectorELNS0_4arch9wavefront6targetE0EEEvT1_.num_agpr, 0
	.set _ZN7rocprim17ROCPRIM_400000_NS6detail17trampoline_kernelINS0_14default_configENS1_25partition_config_selectorILNS1_17partition_subalgoE5EyNS0_10empty_typeEbEEZZNS1_14partition_implILS5_5ELb0ES3_mN6thrust23THRUST_200600_302600_NS6detail15normal_iteratorINSA_10device_ptrIyEEEEPS6_NSA_18transform_iteratorINSB_9not_fun_tI7is_trueIyEEESF_NSA_11use_defaultESM_EENS0_5tupleIJSF_S6_EEENSO_IJSG_SG_EEES6_PlJS6_EEE10hipError_tPvRmT3_T4_T5_T6_T7_T9_mT8_P12ihipStream_tbDpT10_ENKUlT_T0_E_clISt17integral_constantIbLb1EES1A_IbLb0EEEEDaS16_S17_EUlS16_E_NS1_11comp_targetILNS1_3genE4ELNS1_11target_archE910ELNS1_3gpuE8ELNS1_3repE0EEENS1_30default_config_static_selectorELNS0_4arch9wavefront6targetE0EEEvT1_.numbered_sgpr, 0
	.set _ZN7rocprim17ROCPRIM_400000_NS6detail17trampoline_kernelINS0_14default_configENS1_25partition_config_selectorILNS1_17partition_subalgoE5EyNS0_10empty_typeEbEEZZNS1_14partition_implILS5_5ELb0ES3_mN6thrust23THRUST_200600_302600_NS6detail15normal_iteratorINSA_10device_ptrIyEEEEPS6_NSA_18transform_iteratorINSB_9not_fun_tI7is_trueIyEEESF_NSA_11use_defaultESM_EENS0_5tupleIJSF_S6_EEENSO_IJSG_SG_EEES6_PlJS6_EEE10hipError_tPvRmT3_T4_T5_T6_T7_T9_mT8_P12ihipStream_tbDpT10_ENKUlT_T0_E_clISt17integral_constantIbLb1EES1A_IbLb0EEEEDaS16_S17_EUlS16_E_NS1_11comp_targetILNS1_3genE4ELNS1_11target_archE910ELNS1_3gpuE8ELNS1_3repE0EEENS1_30default_config_static_selectorELNS0_4arch9wavefront6targetE0EEEvT1_.num_named_barrier, 0
	.set _ZN7rocprim17ROCPRIM_400000_NS6detail17trampoline_kernelINS0_14default_configENS1_25partition_config_selectorILNS1_17partition_subalgoE5EyNS0_10empty_typeEbEEZZNS1_14partition_implILS5_5ELb0ES3_mN6thrust23THRUST_200600_302600_NS6detail15normal_iteratorINSA_10device_ptrIyEEEEPS6_NSA_18transform_iteratorINSB_9not_fun_tI7is_trueIyEEESF_NSA_11use_defaultESM_EENS0_5tupleIJSF_S6_EEENSO_IJSG_SG_EEES6_PlJS6_EEE10hipError_tPvRmT3_T4_T5_T6_T7_T9_mT8_P12ihipStream_tbDpT10_ENKUlT_T0_E_clISt17integral_constantIbLb1EES1A_IbLb0EEEEDaS16_S17_EUlS16_E_NS1_11comp_targetILNS1_3genE4ELNS1_11target_archE910ELNS1_3gpuE8ELNS1_3repE0EEENS1_30default_config_static_selectorELNS0_4arch9wavefront6targetE0EEEvT1_.private_seg_size, 0
	.set _ZN7rocprim17ROCPRIM_400000_NS6detail17trampoline_kernelINS0_14default_configENS1_25partition_config_selectorILNS1_17partition_subalgoE5EyNS0_10empty_typeEbEEZZNS1_14partition_implILS5_5ELb0ES3_mN6thrust23THRUST_200600_302600_NS6detail15normal_iteratorINSA_10device_ptrIyEEEEPS6_NSA_18transform_iteratorINSB_9not_fun_tI7is_trueIyEEESF_NSA_11use_defaultESM_EENS0_5tupleIJSF_S6_EEENSO_IJSG_SG_EEES6_PlJS6_EEE10hipError_tPvRmT3_T4_T5_T6_T7_T9_mT8_P12ihipStream_tbDpT10_ENKUlT_T0_E_clISt17integral_constantIbLb1EES1A_IbLb0EEEEDaS16_S17_EUlS16_E_NS1_11comp_targetILNS1_3genE4ELNS1_11target_archE910ELNS1_3gpuE8ELNS1_3repE0EEENS1_30default_config_static_selectorELNS0_4arch9wavefront6targetE0EEEvT1_.uses_vcc, 0
	.set _ZN7rocprim17ROCPRIM_400000_NS6detail17trampoline_kernelINS0_14default_configENS1_25partition_config_selectorILNS1_17partition_subalgoE5EyNS0_10empty_typeEbEEZZNS1_14partition_implILS5_5ELb0ES3_mN6thrust23THRUST_200600_302600_NS6detail15normal_iteratorINSA_10device_ptrIyEEEEPS6_NSA_18transform_iteratorINSB_9not_fun_tI7is_trueIyEEESF_NSA_11use_defaultESM_EENS0_5tupleIJSF_S6_EEENSO_IJSG_SG_EEES6_PlJS6_EEE10hipError_tPvRmT3_T4_T5_T6_T7_T9_mT8_P12ihipStream_tbDpT10_ENKUlT_T0_E_clISt17integral_constantIbLb1EES1A_IbLb0EEEEDaS16_S17_EUlS16_E_NS1_11comp_targetILNS1_3genE4ELNS1_11target_archE910ELNS1_3gpuE8ELNS1_3repE0EEENS1_30default_config_static_selectorELNS0_4arch9wavefront6targetE0EEEvT1_.uses_flat_scratch, 0
	.set _ZN7rocprim17ROCPRIM_400000_NS6detail17trampoline_kernelINS0_14default_configENS1_25partition_config_selectorILNS1_17partition_subalgoE5EyNS0_10empty_typeEbEEZZNS1_14partition_implILS5_5ELb0ES3_mN6thrust23THRUST_200600_302600_NS6detail15normal_iteratorINSA_10device_ptrIyEEEEPS6_NSA_18transform_iteratorINSB_9not_fun_tI7is_trueIyEEESF_NSA_11use_defaultESM_EENS0_5tupleIJSF_S6_EEENSO_IJSG_SG_EEES6_PlJS6_EEE10hipError_tPvRmT3_T4_T5_T6_T7_T9_mT8_P12ihipStream_tbDpT10_ENKUlT_T0_E_clISt17integral_constantIbLb1EES1A_IbLb0EEEEDaS16_S17_EUlS16_E_NS1_11comp_targetILNS1_3genE4ELNS1_11target_archE910ELNS1_3gpuE8ELNS1_3repE0EEENS1_30default_config_static_selectorELNS0_4arch9wavefront6targetE0EEEvT1_.has_dyn_sized_stack, 0
	.set _ZN7rocprim17ROCPRIM_400000_NS6detail17trampoline_kernelINS0_14default_configENS1_25partition_config_selectorILNS1_17partition_subalgoE5EyNS0_10empty_typeEbEEZZNS1_14partition_implILS5_5ELb0ES3_mN6thrust23THRUST_200600_302600_NS6detail15normal_iteratorINSA_10device_ptrIyEEEEPS6_NSA_18transform_iteratorINSB_9not_fun_tI7is_trueIyEEESF_NSA_11use_defaultESM_EENS0_5tupleIJSF_S6_EEENSO_IJSG_SG_EEES6_PlJS6_EEE10hipError_tPvRmT3_T4_T5_T6_T7_T9_mT8_P12ihipStream_tbDpT10_ENKUlT_T0_E_clISt17integral_constantIbLb1EES1A_IbLb0EEEEDaS16_S17_EUlS16_E_NS1_11comp_targetILNS1_3genE4ELNS1_11target_archE910ELNS1_3gpuE8ELNS1_3repE0EEENS1_30default_config_static_selectorELNS0_4arch9wavefront6targetE0EEEvT1_.has_recursion, 0
	.set _ZN7rocprim17ROCPRIM_400000_NS6detail17trampoline_kernelINS0_14default_configENS1_25partition_config_selectorILNS1_17partition_subalgoE5EyNS0_10empty_typeEbEEZZNS1_14partition_implILS5_5ELb0ES3_mN6thrust23THRUST_200600_302600_NS6detail15normal_iteratorINSA_10device_ptrIyEEEEPS6_NSA_18transform_iteratorINSB_9not_fun_tI7is_trueIyEEESF_NSA_11use_defaultESM_EENS0_5tupleIJSF_S6_EEENSO_IJSG_SG_EEES6_PlJS6_EEE10hipError_tPvRmT3_T4_T5_T6_T7_T9_mT8_P12ihipStream_tbDpT10_ENKUlT_T0_E_clISt17integral_constantIbLb1EES1A_IbLb0EEEEDaS16_S17_EUlS16_E_NS1_11comp_targetILNS1_3genE4ELNS1_11target_archE910ELNS1_3gpuE8ELNS1_3repE0EEENS1_30default_config_static_selectorELNS0_4arch9wavefront6targetE0EEEvT1_.has_indirect_call, 0
	.section	.AMDGPU.csdata,"",@progbits
; Kernel info:
; codeLenInByte = 0
; TotalNumSgprs: 0
; NumVgprs: 0
; ScratchSize: 0
; MemoryBound: 0
; FloatMode: 240
; IeeeMode: 1
; LDSByteSize: 0 bytes/workgroup (compile time only)
; SGPRBlocks: 0
; VGPRBlocks: 0
; NumSGPRsForWavesPerEU: 1
; NumVGPRsForWavesPerEU: 1
; Occupancy: 16
; WaveLimiterHint : 0
; COMPUTE_PGM_RSRC2:SCRATCH_EN: 0
; COMPUTE_PGM_RSRC2:USER_SGPR: 2
; COMPUTE_PGM_RSRC2:TRAP_HANDLER: 0
; COMPUTE_PGM_RSRC2:TGID_X_EN: 1
; COMPUTE_PGM_RSRC2:TGID_Y_EN: 0
; COMPUTE_PGM_RSRC2:TGID_Z_EN: 0
; COMPUTE_PGM_RSRC2:TIDIG_COMP_CNT: 0
	.section	.text._ZN7rocprim17ROCPRIM_400000_NS6detail17trampoline_kernelINS0_14default_configENS1_25partition_config_selectorILNS1_17partition_subalgoE5EyNS0_10empty_typeEbEEZZNS1_14partition_implILS5_5ELb0ES3_mN6thrust23THRUST_200600_302600_NS6detail15normal_iteratorINSA_10device_ptrIyEEEEPS6_NSA_18transform_iteratorINSB_9not_fun_tI7is_trueIyEEESF_NSA_11use_defaultESM_EENS0_5tupleIJSF_S6_EEENSO_IJSG_SG_EEES6_PlJS6_EEE10hipError_tPvRmT3_T4_T5_T6_T7_T9_mT8_P12ihipStream_tbDpT10_ENKUlT_T0_E_clISt17integral_constantIbLb1EES1A_IbLb0EEEEDaS16_S17_EUlS16_E_NS1_11comp_targetILNS1_3genE3ELNS1_11target_archE908ELNS1_3gpuE7ELNS1_3repE0EEENS1_30default_config_static_selectorELNS0_4arch9wavefront6targetE0EEEvT1_,"axG",@progbits,_ZN7rocprim17ROCPRIM_400000_NS6detail17trampoline_kernelINS0_14default_configENS1_25partition_config_selectorILNS1_17partition_subalgoE5EyNS0_10empty_typeEbEEZZNS1_14partition_implILS5_5ELb0ES3_mN6thrust23THRUST_200600_302600_NS6detail15normal_iteratorINSA_10device_ptrIyEEEEPS6_NSA_18transform_iteratorINSB_9not_fun_tI7is_trueIyEEESF_NSA_11use_defaultESM_EENS0_5tupleIJSF_S6_EEENSO_IJSG_SG_EEES6_PlJS6_EEE10hipError_tPvRmT3_T4_T5_T6_T7_T9_mT8_P12ihipStream_tbDpT10_ENKUlT_T0_E_clISt17integral_constantIbLb1EES1A_IbLb0EEEEDaS16_S17_EUlS16_E_NS1_11comp_targetILNS1_3genE3ELNS1_11target_archE908ELNS1_3gpuE7ELNS1_3repE0EEENS1_30default_config_static_selectorELNS0_4arch9wavefront6targetE0EEEvT1_,comdat
	.protected	_ZN7rocprim17ROCPRIM_400000_NS6detail17trampoline_kernelINS0_14default_configENS1_25partition_config_selectorILNS1_17partition_subalgoE5EyNS0_10empty_typeEbEEZZNS1_14partition_implILS5_5ELb0ES3_mN6thrust23THRUST_200600_302600_NS6detail15normal_iteratorINSA_10device_ptrIyEEEEPS6_NSA_18transform_iteratorINSB_9not_fun_tI7is_trueIyEEESF_NSA_11use_defaultESM_EENS0_5tupleIJSF_S6_EEENSO_IJSG_SG_EEES6_PlJS6_EEE10hipError_tPvRmT3_T4_T5_T6_T7_T9_mT8_P12ihipStream_tbDpT10_ENKUlT_T0_E_clISt17integral_constantIbLb1EES1A_IbLb0EEEEDaS16_S17_EUlS16_E_NS1_11comp_targetILNS1_3genE3ELNS1_11target_archE908ELNS1_3gpuE7ELNS1_3repE0EEENS1_30default_config_static_selectorELNS0_4arch9wavefront6targetE0EEEvT1_ ; -- Begin function _ZN7rocprim17ROCPRIM_400000_NS6detail17trampoline_kernelINS0_14default_configENS1_25partition_config_selectorILNS1_17partition_subalgoE5EyNS0_10empty_typeEbEEZZNS1_14partition_implILS5_5ELb0ES3_mN6thrust23THRUST_200600_302600_NS6detail15normal_iteratorINSA_10device_ptrIyEEEEPS6_NSA_18transform_iteratorINSB_9not_fun_tI7is_trueIyEEESF_NSA_11use_defaultESM_EENS0_5tupleIJSF_S6_EEENSO_IJSG_SG_EEES6_PlJS6_EEE10hipError_tPvRmT3_T4_T5_T6_T7_T9_mT8_P12ihipStream_tbDpT10_ENKUlT_T0_E_clISt17integral_constantIbLb1EES1A_IbLb0EEEEDaS16_S17_EUlS16_E_NS1_11comp_targetILNS1_3genE3ELNS1_11target_archE908ELNS1_3gpuE7ELNS1_3repE0EEENS1_30default_config_static_selectorELNS0_4arch9wavefront6targetE0EEEvT1_
	.globl	_ZN7rocprim17ROCPRIM_400000_NS6detail17trampoline_kernelINS0_14default_configENS1_25partition_config_selectorILNS1_17partition_subalgoE5EyNS0_10empty_typeEbEEZZNS1_14partition_implILS5_5ELb0ES3_mN6thrust23THRUST_200600_302600_NS6detail15normal_iteratorINSA_10device_ptrIyEEEEPS6_NSA_18transform_iteratorINSB_9not_fun_tI7is_trueIyEEESF_NSA_11use_defaultESM_EENS0_5tupleIJSF_S6_EEENSO_IJSG_SG_EEES6_PlJS6_EEE10hipError_tPvRmT3_T4_T5_T6_T7_T9_mT8_P12ihipStream_tbDpT10_ENKUlT_T0_E_clISt17integral_constantIbLb1EES1A_IbLb0EEEEDaS16_S17_EUlS16_E_NS1_11comp_targetILNS1_3genE3ELNS1_11target_archE908ELNS1_3gpuE7ELNS1_3repE0EEENS1_30default_config_static_selectorELNS0_4arch9wavefront6targetE0EEEvT1_
	.p2align	8
	.type	_ZN7rocprim17ROCPRIM_400000_NS6detail17trampoline_kernelINS0_14default_configENS1_25partition_config_selectorILNS1_17partition_subalgoE5EyNS0_10empty_typeEbEEZZNS1_14partition_implILS5_5ELb0ES3_mN6thrust23THRUST_200600_302600_NS6detail15normal_iteratorINSA_10device_ptrIyEEEEPS6_NSA_18transform_iteratorINSB_9not_fun_tI7is_trueIyEEESF_NSA_11use_defaultESM_EENS0_5tupleIJSF_S6_EEENSO_IJSG_SG_EEES6_PlJS6_EEE10hipError_tPvRmT3_T4_T5_T6_T7_T9_mT8_P12ihipStream_tbDpT10_ENKUlT_T0_E_clISt17integral_constantIbLb1EES1A_IbLb0EEEEDaS16_S17_EUlS16_E_NS1_11comp_targetILNS1_3genE3ELNS1_11target_archE908ELNS1_3gpuE7ELNS1_3repE0EEENS1_30default_config_static_selectorELNS0_4arch9wavefront6targetE0EEEvT1_,@function
_ZN7rocprim17ROCPRIM_400000_NS6detail17trampoline_kernelINS0_14default_configENS1_25partition_config_selectorILNS1_17partition_subalgoE5EyNS0_10empty_typeEbEEZZNS1_14partition_implILS5_5ELb0ES3_mN6thrust23THRUST_200600_302600_NS6detail15normal_iteratorINSA_10device_ptrIyEEEEPS6_NSA_18transform_iteratorINSB_9not_fun_tI7is_trueIyEEESF_NSA_11use_defaultESM_EENS0_5tupleIJSF_S6_EEENSO_IJSG_SG_EEES6_PlJS6_EEE10hipError_tPvRmT3_T4_T5_T6_T7_T9_mT8_P12ihipStream_tbDpT10_ENKUlT_T0_E_clISt17integral_constantIbLb1EES1A_IbLb0EEEEDaS16_S17_EUlS16_E_NS1_11comp_targetILNS1_3genE3ELNS1_11target_archE908ELNS1_3gpuE7ELNS1_3repE0EEENS1_30default_config_static_selectorELNS0_4arch9wavefront6targetE0EEEvT1_: ; @_ZN7rocprim17ROCPRIM_400000_NS6detail17trampoline_kernelINS0_14default_configENS1_25partition_config_selectorILNS1_17partition_subalgoE5EyNS0_10empty_typeEbEEZZNS1_14partition_implILS5_5ELb0ES3_mN6thrust23THRUST_200600_302600_NS6detail15normal_iteratorINSA_10device_ptrIyEEEEPS6_NSA_18transform_iteratorINSB_9not_fun_tI7is_trueIyEEESF_NSA_11use_defaultESM_EENS0_5tupleIJSF_S6_EEENSO_IJSG_SG_EEES6_PlJS6_EEE10hipError_tPvRmT3_T4_T5_T6_T7_T9_mT8_P12ihipStream_tbDpT10_ENKUlT_T0_E_clISt17integral_constantIbLb1EES1A_IbLb0EEEEDaS16_S17_EUlS16_E_NS1_11comp_targetILNS1_3genE3ELNS1_11target_archE908ELNS1_3gpuE7ELNS1_3repE0EEENS1_30default_config_static_selectorELNS0_4arch9wavefront6targetE0EEEvT1_
; %bb.0:
	.section	.rodata,"a",@progbits
	.p2align	6, 0x0
	.amdhsa_kernel _ZN7rocprim17ROCPRIM_400000_NS6detail17trampoline_kernelINS0_14default_configENS1_25partition_config_selectorILNS1_17partition_subalgoE5EyNS0_10empty_typeEbEEZZNS1_14partition_implILS5_5ELb0ES3_mN6thrust23THRUST_200600_302600_NS6detail15normal_iteratorINSA_10device_ptrIyEEEEPS6_NSA_18transform_iteratorINSB_9not_fun_tI7is_trueIyEEESF_NSA_11use_defaultESM_EENS0_5tupleIJSF_S6_EEENSO_IJSG_SG_EEES6_PlJS6_EEE10hipError_tPvRmT3_T4_T5_T6_T7_T9_mT8_P12ihipStream_tbDpT10_ENKUlT_T0_E_clISt17integral_constantIbLb1EES1A_IbLb0EEEEDaS16_S17_EUlS16_E_NS1_11comp_targetILNS1_3genE3ELNS1_11target_archE908ELNS1_3gpuE7ELNS1_3repE0EEENS1_30default_config_static_selectorELNS0_4arch9wavefront6targetE0EEEvT1_
		.amdhsa_group_segment_fixed_size 0
		.amdhsa_private_segment_fixed_size 0
		.amdhsa_kernarg_size 120
		.amdhsa_user_sgpr_count 2
		.amdhsa_user_sgpr_dispatch_ptr 0
		.amdhsa_user_sgpr_queue_ptr 0
		.amdhsa_user_sgpr_kernarg_segment_ptr 1
		.amdhsa_user_sgpr_dispatch_id 0
		.amdhsa_user_sgpr_private_segment_size 0
		.amdhsa_wavefront_size32 1
		.amdhsa_uses_dynamic_stack 0
		.amdhsa_enable_private_segment 0
		.amdhsa_system_sgpr_workgroup_id_x 1
		.amdhsa_system_sgpr_workgroup_id_y 0
		.amdhsa_system_sgpr_workgroup_id_z 0
		.amdhsa_system_sgpr_workgroup_info 0
		.amdhsa_system_vgpr_workitem_id 0
		.amdhsa_next_free_vgpr 1
		.amdhsa_next_free_sgpr 1
		.amdhsa_reserve_vcc 0
		.amdhsa_float_round_mode_32 0
		.amdhsa_float_round_mode_16_64 0
		.amdhsa_float_denorm_mode_32 3
		.amdhsa_float_denorm_mode_16_64 3
		.amdhsa_fp16_overflow 0
		.amdhsa_workgroup_processor_mode 1
		.amdhsa_memory_ordered 1
		.amdhsa_forward_progress 1
		.amdhsa_inst_pref_size 0
		.amdhsa_round_robin_scheduling 0
		.amdhsa_exception_fp_ieee_invalid_op 0
		.amdhsa_exception_fp_denorm_src 0
		.amdhsa_exception_fp_ieee_div_zero 0
		.amdhsa_exception_fp_ieee_overflow 0
		.amdhsa_exception_fp_ieee_underflow 0
		.amdhsa_exception_fp_ieee_inexact 0
		.amdhsa_exception_int_div_zero 0
	.end_amdhsa_kernel
	.section	.text._ZN7rocprim17ROCPRIM_400000_NS6detail17trampoline_kernelINS0_14default_configENS1_25partition_config_selectorILNS1_17partition_subalgoE5EyNS0_10empty_typeEbEEZZNS1_14partition_implILS5_5ELb0ES3_mN6thrust23THRUST_200600_302600_NS6detail15normal_iteratorINSA_10device_ptrIyEEEEPS6_NSA_18transform_iteratorINSB_9not_fun_tI7is_trueIyEEESF_NSA_11use_defaultESM_EENS0_5tupleIJSF_S6_EEENSO_IJSG_SG_EEES6_PlJS6_EEE10hipError_tPvRmT3_T4_T5_T6_T7_T9_mT8_P12ihipStream_tbDpT10_ENKUlT_T0_E_clISt17integral_constantIbLb1EES1A_IbLb0EEEEDaS16_S17_EUlS16_E_NS1_11comp_targetILNS1_3genE3ELNS1_11target_archE908ELNS1_3gpuE7ELNS1_3repE0EEENS1_30default_config_static_selectorELNS0_4arch9wavefront6targetE0EEEvT1_,"axG",@progbits,_ZN7rocprim17ROCPRIM_400000_NS6detail17trampoline_kernelINS0_14default_configENS1_25partition_config_selectorILNS1_17partition_subalgoE5EyNS0_10empty_typeEbEEZZNS1_14partition_implILS5_5ELb0ES3_mN6thrust23THRUST_200600_302600_NS6detail15normal_iteratorINSA_10device_ptrIyEEEEPS6_NSA_18transform_iteratorINSB_9not_fun_tI7is_trueIyEEESF_NSA_11use_defaultESM_EENS0_5tupleIJSF_S6_EEENSO_IJSG_SG_EEES6_PlJS6_EEE10hipError_tPvRmT3_T4_T5_T6_T7_T9_mT8_P12ihipStream_tbDpT10_ENKUlT_T0_E_clISt17integral_constantIbLb1EES1A_IbLb0EEEEDaS16_S17_EUlS16_E_NS1_11comp_targetILNS1_3genE3ELNS1_11target_archE908ELNS1_3gpuE7ELNS1_3repE0EEENS1_30default_config_static_selectorELNS0_4arch9wavefront6targetE0EEEvT1_,comdat
.Lfunc_end1387:
	.size	_ZN7rocprim17ROCPRIM_400000_NS6detail17trampoline_kernelINS0_14default_configENS1_25partition_config_selectorILNS1_17partition_subalgoE5EyNS0_10empty_typeEbEEZZNS1_14partition_implILS5_5ELb0ES3_mN6thrust23THRUST_200600_302600_NS6detail15normal_iteratorINSA_10device_ptrIyEEEEPS6_NSA_18transform_iteratorINSB_9not_fun_tI7is_trueIyEEESF_NSA_11use_defaultESM_EENS0_5tupleIJSF_S6_EEENSO_IJSG_SG_EEES6_PlJS6_EEE10hipError_tPvRmT3_T4_T5_T6_T7_T9_mT8_P12ihipStream_tbDpT10_ENKUlT_T0_E_clISt17integral_constantIbLb1EES1A_IbLb0EEEEDaS16_S17_EUlS16_E_NS1_11comp_targetILNS1_3genE3ELNS1_11target_archE908ELNS1_3gpuE7ELNS1_3repE0EEENS1_30default_config_static_selectorELNS0_4arch9wavefront6targetE0EEEvT1_, .Lfunc_end1387-_ZN7rocprim17ROCPRIM_400000_NS6detail17trampoline_kernelINS0_14default_configENS1_25partition_config_selectorILNS1_17partition_subalgoE5EyNS0_10empty_typeEbEEZZNS1_14partition_implILS5_5ELb0ES3_mN6thrust23THRUST_200600_302600_NS6detail15normal_iteratorINSA_10device_ptrIyEEEEPS6_NSA_18transform_iteratorINSB_9not_fun_tI7is_trueIyEEESF_NSA_11use_defaultESM_EENS0_5tupleIJSF_S6_EEENSO_IJSG_SG_EEES6_PlJS6_EEE10hipError_tPvRmT3_T4_T5_T6_T7_T9_mT8_P12ihipStream_tbDpT10_ENKUlT_T0_E_clISt17integral_constantIbLb1EES1A_IbLb0EEEEDaS16_S17_EUlS16_E_NS1_11comp_targetILNS1_3genE3ELNS1_11target_archE908ELNS1_3gpuE7ELNS1_3repE0EEENS1_30default_config_static_selectorELNS0_4arch9wavefront6targetE0EEEvT1_
                                        ; -- End function
	.set _ZN7rocprim17ROCPRIM_400000_NS6detail17trampoline_kernelINS0_14default_configENS1_25partition_config_selectorILNS1_17partition_subalgoE5EyNS0_10empty_typeEbEEZZNS1_14partition_implILS5_5ELb0ES3_mN6thrust23THRUST_200600_302600_NS6detail15normal_iteratorINSA_10device_ptrIyEEEEPS6_NSA_18transform_iteratorINSB_9not_fun_tI7is_trueIyEEESF_NSA_11use_defaultESM_EENS0_5tupleIJSF_S6_EEENSO_IJSG_SG_EEES6_PlJS6_EEE10hipError_tPvRmT3_T4_T5_T6_T7_T9_mT8_P12ihipStream_tbDpT10_ENKUlT_T0_E_clISt17integral_constantIbLb1EES1A_IbLb0EEEEDaS16_S17_EUlS16_E_NS1_11comp_targetILNS1_3genE3ELNS1_11target_archE908ELNS1_3gpuE7ELNS1_3repE0EEENS1_30default_config_static_selectorELNS0_4arch9wavefront6targetE0EEEvT1_.num_vgpr, 0
	.set _ZN7rocprim17ROCPRIM_400000_NS6detail17trampoline_kernelINS0_14default_configENS1_25partition_config_selectorILNS1_17partition_subalgoE5EyNS0_10empty_typeEbEEZZNS1_14partition_implILS5_5ELb0ES3_mN6thrust23THRUST_200600_302600_NS6detail15normal_iteratorINSA_10device_ptrIyEEEEPS6_NSA_18transform_iteratorINSB_9not_fun_tI7is_trueIyEEESF_NSA_11use_defaultESM_EENS0_5tupleIJSF_S6_EEENSO_IJSG_SG_EEES6_PlJS6_EEE10hipError_tPvRmT3_T4_T5_T6_T7_T9_mT8_P12ihipStream_tbDpT10_ENKUlT_T0_E_clISt17integral_constantIbLb1EES1A_IbLb0EEEEDaS16_S17_EUlS16_E_NS1_11comp_targetILNS1_3genE3ELNS1_11target_archE908ELNS1_3gpuE7ELNS1_3repE0EEENS1_30default_config_static_selectorELNS0_4arch9wavefront6targetE0EEEvT1_.num_agpr, 0
	.set _ZN7rocprim17ROCPRIM_400000_NS6detail17trampoline_kernelINS0_14default_configENS1_25partition_config_selectorILNS1_17partition_subalgoE5EyNS0_10empty_typeEbEEZZNS1_14partition_implILS5_5ELb0ES3_mN6thrust23THRUST_200600_302600_NS6detail15normal_iteratorINSA_10device_ptrIyEEEEPS6_NSA_18transform_iteratorINSB_9not_fun_tI7is_trueIyEEESF_NSA_11use_defaultESM_EENS0_5tupleIJSF_S6_EEENSO_IJSG_SG_EEES6_PlJS6_EEE10hipError_tPvRmT3_T4_T5_T6_T7_T9_mT8_P12ihipStream_tbDpT10_ENKUlT_T0_E_clISt17integral_constantIbLb1EES1A_IbLb0EEEEDaS16_S17_EUlS16_E_NS1_11comp_targetILNS1_3genE3ELNS1_11target_archE908ELNS1_3gpuE7ELNS1_3repE0EEENS1_30default_config_static_selectorELNS0_4arch9wavefront6targetE0EEEvT1_.numbered_sgpr, 0
	.set _ZN7rocprim17ROCPRIM_400000_NS6detail17trampoline_kernelINS0_14default_configENS1_25partition_config_selectorILNS1_17partition_subalgoE5EyNS0_10empty_typeEbEEZZNS1_14partition_implILS5_5ELb0ES3_mN6thrust23THRUST_200600_302600_NS6detail15normal_iteratorINSA_10device_ptrIyEEEEPS6_NSA_18transform_iteratorINSB_9not_fun_tI7is_trueIyEEESF_NSA_11use_defaultESM_EENS0_5tupleIJSF_S6_EEENSO_IJSG_SG_EEES6_PlJS6_EEE10hipError_tPvRmT3_T4_T5_T6_T7_T9_mT8_P12ihipStream_tbDpT10_ENKUlT_T0_E_clISt17integral_constantIbLb1EES1A_IbLb0EEEEDaS16_S17_EUlS16_E_NS1_11comp_targetILNS1_3genE3ELNS1_11target_archE908ELNS1_3gpuE7ELNS1_3repE0EEENS1_30default_config_static_selectorELNS0_4arch9wavefront6targetE0EEEvT1_.num_named_barrier, 0
	.set _ZN7rocprim17ROCPRIM_400000_NS6detail17trampoline_kernelINS0_14default_configENS1_25partition_config_selectorILNS1_17partition_subalgoE5EyNS0_10empty_typeEbEEZZNS1_14partition_implILS5_5ELb0ES3_mN6thrust23THRUST_200600_302600_NS6detail15normal_iteratorINSA_10device_ptrIyEEEEPS6_NSA_18transform_iteratorINSB_9not_fun_tI7is_trueIyEEESF_NSA_11use_defaultESM_EENS0_5tupleIJSF_S6_EEENSO_IJSG_SG_EEES6_PlJS6_EEE10hipError_tPvRmT3_T4_T5_T6_T7_T9_mT8_P12ihipStream_tbDpT10_ENKUlT_T0_E_clISt17integral_constantIbLb1EES1A_IbLb0EEEEDaS16_S17_EUlS16_E_NS1_11comp_targetILNS1_3genE3ELNS1_11target_archE908ELNS1_3gpuE7ELNS1_3repE0EEENS1_30default_config_static_selectorELNS0_4arch9wavefront6targetE0EEEvT1_.private_seg_size, 0
	.set _ZN7rocprim17ROCPRIM_400000_NS6detail17trampoline_kernelINS0_14default_configENS1_25partition_config_selectorILNS1_17partition_subalgoE5EyNS0_10empty_typeEbEEZZNS1_14partition_implILS5_5ELb0ES3_mN6thrust23THRUST_200600_302600_NS6detail15normal_iteratorINSA_10device_ptrIyEEEEPS6_NSA_18transform_iteratorINSB_9not_fun_tI7is_trueIyEEESF_NSA_11use_defaultESM_EENS0_5tupleIJSF_S6_EEENSO_IJSG_SG_EEES6_PlJS6_EEE10hipError_tPvRmT3_T4_T5_T6_T7_T9_mT8_P12ihipStream_tbDpT10_ENKUlT_T0_E_clISt17integral_constantIbLb1EES1A_IbLb0EEEEDaS16_S17_EUlS16_E_NS1_11comp_targetILNS1_3genE3ELNS1_11target_archE908ELNS1_3gpuE7ELNS1_3repE0EEENS1_30default_config_static_selectorELNS0_4arch9wavefront6targetE0EEEvT1_.uses_vcc, 0
	.set _ZN7rocprim17ROCPRIM_400000_NS6detail17trampoline_kernelINS0_14default_configENS1_25partition_config_selectorILNS1_17partition_subalgoE5EyNS0_10empty_typeEbEEZZNS1_14partition_implILS5_5ELb0ES3_mN6thrust23THRUST_200600_302600_NS6detail15normal_iteratorINSA_10device_ptrIyEEEEPS6_NSA_18transform_iteratorINSB_9not_fun_tI7is_trueIyEEESF_NSA_11use_defaultESM_EENS0_5tupleIJSF_S6_EEENSO_IJSG_SG_EEES6_PlJS6_EEE10hipError_tPvRmT3_T4_T5_T6_T7_T9_mT8_P12ihipStream_tbDpT10_ENKUlT_T0_E_clISt17integral_constantIbLb1EES1A_IbLb0EEEEDaS16_S17_EUlS16_E_NS1_11comp_targetILNS1_3genE3ELNS1_11target_archE908ELNS1_3gpuE7ELNS1_3repE0EEENS1_30default_config_static_selectorELNS0_4arch9wavefront6targetE0EEEvT1_.uses_flat_scratch, 0
	.set _ZN7rocprim17ROCPRIM_400000_NS6detail17trampoline_kernelINS0_14default_configENS1_25partition_config_selectorILNS1_17partition_subalgoE5EyNS0_10empty_typeEbEEZZNS1_14partition_implILS5_5ELb0ES3_mN6thrust23THRUST_200600_302600_NS6detail15normal_iteratorINSA_10device_ptrIyEEEEPS6_NSA_18transform_iteratorINSB_9not_fun_tI7is_trueIyEEESF_NSA_11use_defaultESM_EENS0_5tupleIJSF_S6_EEENSO_IJSG_SG_EEES6_PlJS6_EEE10hipError_tPvRmT3_T4_T5_T6_T7_T9_mT8_P12ihipStream_tbDpT10_ENKUlT_T0_E_clISt17integral_constantIbLb1EES1A_IbLb0EEEEDaS16_S17_EUlS16_E_NS1_11comp_targetILNS1_3genE3ELNS1_11target_archE908ELNS1_3gpuE7ELNS1_3repE0EEENS1_30default_config_static_selectorELNS0_4arch9wavefront6targetE0EEEvT1_.has_dyn_sized_stack, 0
	.set _ZN7rocprim17ROCPRIM_400000_NS6detail17trampoline_kernelINS0_14default_configENS1_25partition_config_selectorILNS1_17partition_subalgoE5EyNS0_10empty_typeEbEEZZNS1_14partition_implILS5_5ELb0ES3_mN6thrust23THRUST_200600_302600_NS6detail15normal_iteratorINSA_10device_ptrIyEEEEPS6_NSA_18transform_iteratorINSB_9not_fun_tI7is_trueIyEEESF_NSA_11use_defaultESM_EENS0_5tupleIJSF_S6_EEENSO_IJSG_SG_EEES6_PlJS6_EEE10hipError_tPvRmT3_T4_T5_T6_T7_T9_mT8_P12ihipStream_tbDpT10_ENKUlT_T0_E_clISt17integral_constantIbLb1EES1A_IbLb0EEEEDaS16_S17_EUlS16_E_NS1_11comp_targetILNS1_3genE3ELNS1_11target_archE908ELNS1_3gpuE7ELNS1_3repE0EEENS1_30default_config_static_selectorELNS0_4arch9wavefront6targetE0EEEvT1_.has_recursion, 0
	.set _ZN7rocprim17ROCPRIM_400000_NS6detail17trampoline_kernelINS0_14default_configENS1_25partition_config_selectorILNS1_17partition_subalgoE5EyNS0_10empty_typeEbEEZZNS1_14partition_implILS5_5ELb0ES3_mN6thrust23THRUST_200600_302600_NS6detail15normal_iteratorINSA_10device_ptrIyEEEEPS6_NSA_18transform_iteratorINSB_9not_fun_tI7is_trueIyEEESF_NSA_11use_defaultESM_EENS0_5tupleIJSF_S6_EEENSO_IJSG_SG_EEES6_PlJS6_EEE10hipError_tPvRmT3_T4_T5_T6_T7_T9_mT8_P12ihipStream_tbDpT10_ENKUlT_T0_E_clISt17integral_constantIbLb1EES1A_IbLb0EEEEDaS16_S17_EUlS16_E_NS1_11comp_targetILNS1_3genE3ELNS1_11target_archE908ELNS1_3gpuE7ELNS1_3repE0EEENS1_30default_config_static_selectorELNS0_4arch9wavefront6targetE0EEEvT1_.has_indirect_call, 0
	.section	.AMDGPU.csdata,"",@progbits
; Kernel info:
; codeLenInByte = 0
; TotalNumSgprs: 0
; NumVgprs: 0
; ScratchSize: 0
; MemoryBound: 0
; FloatMode: 240
; IeeeMode: 1
; LDSByteSize: 0 bytes/workgroup (compile time only)
; SGPRBlocks: 0
; VGPRBlocks: 0
; NumSGPRsForWavesPerEU: 1
; NumVGPRsForWavesPerEU: 1
; Occupancy: 16
; WaveLimiterHint : 0
; COMPUTE_PGM_RSRC2:SCRATCH_EN: 0
; COMPUTE_PGM_RSRC2:USER_SGPR: 2
; COMPUTE_PGM_RSRC2:TRAP_HANDLER: 0
; COMPUTE_PGM_RSRC2:TGID_X_EN: 1
; COMPUTE_PGM_RSRC2:TGID_Y_EN: 0
; COMPUTE_PGM_RSRC2:TGID_Z_EN: 0
; COMPUTE_PGM_RSRC2:TIDIG_COMP_CNT: 0
	.section	.text._ZN7rocprim17ROCPRIM_400000_NS6detail17trampoline_kernelINS0_14default_configENS1_25partition_config_selectorILNS1_17partition_subalgoE5EyNS0_10empty_typeEbEEZZNS1_14partition_implILS5_5ELb0ES3_mN6thrust23THRUST_200600_302600_NS6detail15normal_iteratorINSA_10device_ptrIyEEEEPS6_NSA_18transform_iteratorINSB_9not_fun_tI7is_trueIyEEESF_NSA_11use_defaultESM_EENS0_5tupleIJSF_S6_EEENSO_IJSG_SG_EEES6_PlJS6_EEE10hipError_tPvRmT3_T4_T5_T6_T7_T9_mT8_P12ihipStream_tbDpT10_ENKUlT_T0_E_clISt17integral_constantIbLb1EES1A_IbLb0EEEEDaS16_S17_EUlS16_E_NS1_11comp_targetILNS1_3genE2ELNS1_11target_archE906ELNS1_3gpuE6ELNS1_3repE0EEENS1_30default_config_static_selectorELNS0_4arch9wavefront6targetE0EEEvT1_,"axG",@progbits,_ZN7rocprim17ROCPRIM_400000_NS6detail17trampoline_kernelINS0_14default_configENS1_25partition_config_selectorILNS1_17partition_subalgoE5EyNS0_10empty_typeEbEEZZNS1_14partition_implILS5_5ELb0ES3_mN6thrust23THRUST_200600_302600_NS6detail15normal_iteratorINSA_10device_ptrIyEEEEPS6_NSA_18transform_iteratorINSB_9not_fun_tI7is_trueIyEEESF_NSA_11use_defaultESM_EENS0_5tupleIJSF_S6_EEENSO_IJSG_SG_EEES6_PlJS6_EEE10hipError_tPvRmT3_T4_T5_T6_T7_T9_mT8_P12ihipStream_tbDpT10_ENKUlT_T0_E_clISt17integral_constantIbLb1EES1A_IbLb0EEEEDaS16_S17_EUlS16_E_NS1_11comp_targetILNS1_3genE2ELNS1_11target_archE906ELNS1_3gpuE6ELNS1_3repE0EEENS1_30default_config_static_selectorELNS0_4arch9wavefront6targetE0EEEvT1_,comdat
	.protected	_ZN7rocprim17ROCPRIM_400000_NS6detail17trampoline_kernelINS0_14default_configENS1_25partition_config_selectorILNS1_17partition_subalgoE5EyNS0_10empty_typeEbEEZZNS1_14partition_implILS5_5ELb0ES3_mN6thrust23THRUST_200600_302600_NS6detail15normal_iteratorINSA_10device_ptrIyEEEEPS6_NSA_18transform_iteratorINSB_9not_fun_tI7is_trueIyEEESF_NSA_11use_defaultESM_EENS0_5tupleIJSF_S6_EEENSO_IJSG_SG_EEES6_PlJS6_EEE10hipError_tPvRmT3_T4_T5_T6_T7_T9_mT8_P12ihipStream_tbDpT10_ENKUlT_T0_E_clISt17integral_constantIbLb1EES1A_IbLb0EEEEDaS16_S17_EUlS16_E_NS1_11comp_targetILNS1_3genE2ELNS1_11target_archE906ELNS1_3gpuE6ELNS1_3repE0EEENS1_30default_config_static_selectorELNS0_4arch9wavefront6targetE0EEEvT1_ ; -- Begin function _ZN7rocprim17ROCPRIM_400000_NS6detail17trampoline_kernelINS0_14default_configENS1_25partition_config_selectorILNS1_17partition_subalgoE5EyNS0_10empty_typeEbEEZZNS1_14partition_implILS5_5ELb0ES3_mN6thrust23THRUST_200600_302600_NS6detail15normal_iteratorINSA_10device_ptrIyEEEEPS6_NSA_18transform_iteratorINSB_9not_fun_tI7is_trueIyEEESF_NSA_11use_defaultESM_EENS0_5tupleIJSF_S6_EEENSO_IJSG_SG_EEES6_PlJS6_EEE10hipError_tPvRmT3_T4_T5_T6_T7_T9_mT8_P12ihipStream_tbDpT10_ENKUlT_T0_E_clISt17integral_constantIbLb1EES1A_IbLb0EEEEDaS16_S17_EUlS16_E_NS1_11comp_targetILNS1_3genE2ELNS1_11target_archE906ELNS1_3gpuE6ELNS1_3repE0EEENS1_30default_config_static_selectorELNS0_4arch9wavefront6targetE0EEEvT1_
	.globl	_ZN7rocprim17ROCPRIM_400000_NS6detail17trampoline_kernelINS0_14default_configENS1_25partition_config_selectorILNS1_17partition_subalgoE5EyNS0_10empty_typeEbEEZZNS1_14partition_implILS5_5ELb0ES3_mN6thrust23THRUST_200600_302600_NS6detail15normal_iteratorINSA_10device_ptrIyEEEEPS6_NSA_18transform_iteratorINSB_9not_fun_tI7is_trueIyEEESF_NSA_11use_defaultESM_EENS0_5tupleIJSF_S6_EEENSO_IJSG_SG_EEES6_PlJS6_EEE10hipError_tPvRmT3_T4_T5_T6_T7_T9_mT8_P12ihipStream_tbDpT10_ENKUlT_T0_E_clISt17integral_constantIbLb1EES1A_IbLb0EEEEDaS16_S17_EUlS16_E_NS1_11comp_targetILNS1_3genE2ELNS1_11target_archE906ELNS1_3gpuE6ELNS1_3repE0EEENS1_30default_config_static_selectorELNS0_4arch9wavefront6targetE0EEEvT1_
	.p2align	8
	.type	_ZN7rocprim17ROCPRIM_400000_NS6detail17trampoline_kernelINS0_14default_configENS1_25partition_config_selectorILNS1_17partition_subalgoE5EyNS0_10empty_typeEbEEZZNS1_14partition_implILS5_5ELb0ES3_mN6thrust23THRUST_200600_302600_NS6detail15normal_iteratorINSA_10device_ptrIyEEEEPS6_NSA_18transform_iteratorINSB_9not_fun_tI7is_trueIyEEESF_NSA_11use_defaultESM_EENS0_5tupleIJSF_S6_EEENSO_IJSG_SG_EEES6_PlJS6_EEE10hipError_tPvRmT3_T4_T5_T6_T7_T9_mT8_P12ihipStream_tbDpT10_ENKUlT_T0_E_clISt17integral_constantIbLb1EES1A_IbLb0EEEEDaS16_S17_EUlS16_E_NS1_11comp_targetILNS1_3genE2ELNS1_11target_archE906ELNS1_3gpuE6ELNS1_3repE0EEENS1_30default_config_static_selectorELNS0_4arch9wavefront6targetE0EEEvT1_,@function
_ZN7rocprim17ROCPRIM_400000_NS6detail17trampoline_kernelINS0_14default_configENS1_25partition_config_selectorILNS1_17partition_subalgoE5EyNS0_10empty_typeEbEEZZNS1_14partition_implILS5_5ELb0ES3_mN6thrust23THRUST_200600_302600_NS6detail15normal_iteratorINSA_10device_ptrIyEEEEPS6_NSA_18transform_iteratorINSB_9not_fun_tI7is_trueIyEEESF_NSA_11use_defaultESM_EENS0_5tupleIJSF_S6_EEENSO_IJSG_SG_EEES6_PlJS6_EEE10hipError_tPvRmT3_T4_T5_T6_T7_T9_mT8_P12ihipStream_tbDpT10_ENKUlT_T0_E_clISt17integral_constantIbLb1EES1A_IbLb0EEEEDaS16_S17_EUlS16_E_NS1_11comp_targetILNS1_3genE2ELNS1_11target_archE906ELNS1_3gpuE6ELNS1_3repE0EEENS1_30default_config_static_selectorELNS0_4arch9wavefront6targetE0EEEvT1_: ; @_ZN7rocprim17ROCPRIM_400000_NS6detail17trampoline_kernelINS0_14default_configENS1_25partition_config_selectorILNS1_17partition_subalgoE5EyNS0_10empty_typeEbEEZZNS1_14partition_implILS5_5ELb0ES3_mN6thrust23THRUST_200600_302600_NS6detail15normal_iteratorINSA_10device_ptrIyEEEEPS6_NSA_18transform_iteratorINSB_9not_fun_tI7is_trueIyEEESF_NSA_11use_defaultESM_EENS0_5tupleIJSF_S6_EEENSO_IJSG_SG_EEES6_PlJS6_EEE10hipError_tPvRmT3_T4_T5_T6_T7_T9_mT8_P12ihipStream_tbDpT10_ENKUlT_T0_E_clISt17integral_constantIbLb1EES1A_IbLb0EEEEDaS16_S17_EUlS16_E_NS1_11comp_targetILNS1_3genE2ELNS1_11target_archE906ELNS1_3gpuE6ELNS1_3repE0EEENS1_30default_config_static_selectorELNS0_4arch9wavefront6targetE0EEEvT1_
; %bb.0:
	.section	.rodata,"a",@progbits
	.p2align	6, 0x0
	.amdhsa_kernel _ZN7rocprim17ROCPRIM_400000_NS6detail17trampoline_kernelINS0_14default_configENS1_25partition_config_selectorILNS1_17partition_subalgoE5EyNS0_10empty_typeEbEEZZNS1_14partition_implILS5_5ELb0ES3_mN6thrust23THRUST_200600_302600_NS6detail15normal_iteratorINSA_10device_ptrIyEEEEPS6_NSA_18transform_iteratorINSB_9not_fun_tI7is_trueIyEEESF_NSA_11use_defaultESM_EENS0_5tupleIJSF_S6_EEENSO_IJSG_SG_EEES6_PlJS6_EEE10hipError_tPvRmT3_T4_T5_T6_T7_T9_mT8_P12ihipStream_tbDpT10_ENKUlT_T0_E_clISt17integral_constantIbLb1EES1A_IbLb0EEEEDaS16_S17_EUlS16_E_NS1_11comp_targetILNS1_3genE2ELNS1_11target_archE906ELNS1_3gpuE6ELNS1_3repE0EEENS1_30default_config_static_selectorELNS0_4arch9wavefront6targetE0EEEvT1_
		.amdhsa_group_segment_fixed_size 0
		.amdhsa_private_segment_fixed_size 0
		.amdhsa_kernarg_size 120
		.amdhsa_user_sgpr_count 2
		.amdhsa_user_sgpr_dispatch_ptr 0
		.amdhsa_user_sgpr_queue_ptr 0
		.amdhsa_user_sgpr_kernarg_segment_ptr 1
		.amdhsa_user_sgpr_dispatch_id 0
		.amdhsa_user_sgpr_private_segment_size 0
		.amdhsa_wavefront_size32 1
		.amdhsa_uses_dynamic_stack 0
		.amdhsa_enable_private_segment 0
		.amdhsa_system_sgpr_workgroup_id_x 1
		.amdhsa_system_sgpr_workgroup_id_y 0
		.amdhsa_system_sgpr_workgroup_id_z 0
		.amdhsa_system_sgpr_workgroup_info 0
		.amdhsa_system_vgpr_workitem_id 0
		.amdhsa_next_free_vgpr 1
		.amdhsa_next_free_sgpr 1
		.amdhsa_reserve_vcc 0
		.amdhsa_float_round_mode_32 0
		.amdhsa_float_round_mode_16_64 0
		.amdhsa_float_denorm_mode_32 3
		.amdhsa_float_denorm_mode_16_64 3
		.amdhsa_fp16_overflow 0
		.amdhsa_workgroup_processor_mode 1
		.amdhsa_memory_ordered 1
		.amdhsa_forward_progress 1
		.amdhsa_inst_pref_size 0
		.amdhsa_round_robin_scheduling 0
		.amdhsa_exception_fp_ieee_invalid_op 0
		.amdhsa_exception_fp_denorm_src 0
		.amdhsa_exception_fp_ieee_div_zero 0
		.amdhsa_exception_fp_ieee_overflow 0
		.amdhsa_exception_fp_ieee_underflow 0
		.amdhsa_exception_fp_ieee_inexact 0
		.amdhsa_exception_int_div_zero 0
	.end_amdhsa_kernel
	.section	.text._ZN7rocprim17ROCPRIM_400000_NS6detail17trampoline_kernelINS0_14default_configENS1_25partition_config_selectorILNS1_17partition_subalgoE5EyNS0_10empty_typeEbEEZZNS1_14partition_implILS5_5ELb0ES3_mN6thrust23THRUST_200600_302600_NS6detail15normal_iteratorINSA_10device_ptrIyEEEEPS6_NSA_18transform_iteratorINSB_9not_fun_tI7is_trueIyEEESF_NSA_11use_defaultESM_EENS0_5tupleIJSF_S6_EEENSO_IJSG_SG_EEES6_PlJS6_EEE10hipError_tPvRmT3_T4_T5_T6_T7_T9_mT8_P12ihipStream_tbDpT10_ENKUlT_T0_E_clISt17integral_constantIbLb1EES1A_IbLb0EEEEDaS16_S17_EUlS16_E_NS1_11comp_targetILNS1_3genE2ELNS1_11target_archE906ELNS1_3gpuE6ELNS1_3repE0EEENS1_30default_config_static_selectorELNS0_4arch9wavefront6targetE0EEEvT1_,"axG",@progbits,_ZN7rocprim17ROCPRIM_400000_NS6detail17trampoline_kernelINS0_14default_configENS1_25partition_config_selectorILNS1_17partition_subalgoE5EyNS0_10empty_typeEbEEZZNS1_14partition_implILS5_5ELb0ES3_mN6thrust23THRUST_200600_302600_NS6detail15normal_iteratorINSA_10device_ptrIyEEEEPS6_NSA_18transform_iteratorINSB_9not_fun_tI7is_trueIyEEESF_NSA_11use_defaultESM_EENS0_5tupleIJSF_S6_EEENSO_IJSG_SG_EEES6_PlJS6_EEE10hipError_tPvRmT3_T4_T5_T6_T7_T9_mT8_P12ihipStream_tbDpT10_ENKUlT_T0_E_clISt17integral_constantIbLb1EES1A_IbLb0EEEEDaS16_S17_EUlS16_E_NS1_11comp_targetILNS1_3genE2ELNS1_11target_archE906ELNS1_3gpuE6ELNS1_3repE0EEENS1_30default_config_static_selectorELNS0_4arch9wavefront6targetE0EEEvT1_,comdat
.Lfunc_end1388:
	.size	_ZN7rocprim17ROCPRIM_400000_NS6detail17trampoline_kernelINS0_14default_configENS1_25partition_config_selectorILNS1_17partition_subalgoE5EyNS0_10empty_typeEbEEZZNS1_14partition_implILS5_5ELb0ES3_mN6thrust23THRUST_200600_302600_NS6detail15normal_iteratorINSA_10device_ptrIyEEEEPS6_NSA_18transform_iteratorINSB_9not_fun_tI7is_trueIyEEESF_NSA_11use_defaultESM_EENS0_5tupleIJSF_S6_EEENSO_IJSG_SG_EEES6_PlJS6_EEE10hipError_tPvRmT3_T4_T5_T6_T7_T9_mT8_P12ihipStream_tbDpT10_ENKUlT_T0_E_clISt17integral_constantIbLb1EES1A_IbLb0EEEEDaS16_S17_EUlS16_E_NS1_11comp_targetILNS1_3genE2ELNS1_11target_archE906ELNS1_3gpuE6ELNS1_3repE0EEENS1_30default_config_static_selectorELNS0_4arch9wavefront6targetE0EEEvT1_, .Lfunc_end1388-_ZN7rocprim17ROCPRIM_400000_NS6detail17trampoline_kernelINS0_14default_configENS1_25partition_config_selectorILNS1_17partition_subalgoE5EyNS0_10empty_typeEbEEZZNS1_14partition_implILS5_5ELb0ES3_mN6thrust23THRUST_200600_302600_NS6detail15normal_iteratorINSA_10device_ptrIyEEEEPS6_NSA_18transform_iteratorINSB_9not_fun_tI7is_trueIyEEESF_NSA_11use_defaultESM_EENS0_5tupleIJSF_S6_EEENSO_IJSG_SG_EEES6_PlJS6_EEE10hipError_tPvRmT3_T4_T5_T6_T7_T9_mT8_P12ihipStream_tbDpT10_ENKUlT_T0_E_clISt17integral_constantIbLb1EES1A_IbLb0EEEEDaS16_S17_EUlS16_E_NS1_11comp_targetILNS1_3genE2ELNS1_11target_archE906ELNS1_3gpuE6ELNS1_3repE0EEENS1_30default_config_static_selectorELNS0_4arch9wavefront6targetE0EEEvT1_
                                        ; -- End function
	.set _ZN7rocprim17ROCPRIM_400000_NS6detail17trampoline_kernelINS0_14default_configENS1_25partition_config_selectorILNS1_17partition_subalgoE5EyNS0_10empty_typeEbEEZZNS1_14partition_implILS5_5ELb0ES3_mN6thrust23THRUST_200600_302600_NS6detail15normal_iteratorINSA_10device_ptrIyEEEEPS6_NSA_18transform_iteratorINSB_9not_fun_tI7is_trueIyEEESF_NSA_11use_defaultESM_EENS0_5tupleIJSF_S6_EEENSO_IJSG_SG_EEES6_PlJS6_EEE10hipError_tPvRmT3_T4_T5_T6_T7_T9_mT8_P12ihipStream_tbDpT10_ENKUlT_T0_E_clISt17integral_constantIbLb1EES1A_IbLb0EEEEDaS16_S17_EUlS16_E_NS1_11comp_targetILNS1_3genE2ELNS1_11target_archE906ELNS1_3gpuE6ELNS1_3repE0EEENS1_30default_config_static_selectorELNS0_4arch9wavefront6targetE0EEEvT1_.num_vgpr, 0
	.set _ZN7rocprim17ROCPRIM_400000_NS6detail17trampoline_kernelINS0_14default_configENS1_25partition_config_selectorILNS1_17partition_subalgoE5EyNS0_10empty_typeEbEEZZNS1_14partition_implILS5_5ELb0ES3_mN6thrust23THRUST_200600_302600_NS6detail15normal_iteratorINSA_10device_ptrIyEEEEPS6_NSA_18transform_iteratorINSB_9not_fun_tI7is_trueIyEEESF_NSA_11use_defaultESM_EENS0_5tupleIJSF_S6_EEENSO_IJSG_SG_EEES6_PlJS6_EEE10hipError_tPvRmT3_T4_T5_T6_T7_T9_mT8_P12ihipStream_tbDpT10_ENKUlT_T0_E_clISt17integral_constantIbLb1EES1A_IbLb0EEEEDaS16_S17_EUlS16_E_NS1_11comp_targetILNS1_3genE2ELNS1_11target_archE906ELNS1_3gpuE6ELNS1_3repE0EEENS1_30default_config_static_selectorELNS0_4arch9wavefront6targetE0EEEvT1_.num_agpr, 0
	.set _ZN7rocprim17ROCPRIM_400000_NS6detail17trampoline_kernelINS0_14default_configENS1_25partition_config_selectorILNS1_17partition_subalgoE5EyNS0_10empty_typeEbEEZZNS1_14partition_implILS5_5ELb0ES3_mN6thrust23THRUST_200600_302600_NS6detail15normal_iteratorINSA_10device_ptrIyEEEEPS6_NSA_18transform_iteratorINSB_9not_fun_tI7is_trueIyEEESF_NSA_11use_defaultESM_EENS0_5tupleIJSF_S6_EEENSO_IJSG_SG_EEES6_PlJS6_EEE10hipError_tPvRmT3_T4_T5_T6_T7_T9_mT8_P12ihipStream_tbDpT10_ENKUlT_T0_E_clISt17integral_constantIbLb1EES1A_IbLb0EEEEDaS16_S17_EUlS16_E_NS1_11comp_targetILNS1_3genE2ELNS1_11target_archE906ELNS1_3gpuE6ELNS1_3repE0EEENS1_30default_config_static_selectorELNS0_4arch9wavefront6targetE0EEEvT1_.numbered_sgpr, 0
	.set _ZN7rocprim17ROCPRIM_400000_NS6detail17trampoline_kernelINS0_14default_configENS1_25partition_config_selectorILNS1_17partition_subalgoE5EyNS0_10empty_typeEbEEZZNS1_14partition_implILS5_5ELb0ES3_mN6thrust23THRUST_200600_302600_NS6detail15normal_iteratorINSA_10device_ptrIyEEEEPS6_NSA_18transform_iteratorINSB_9not_fun_tI7is_trueIyEEESF_NSA_11use_defaultESM_EENS0_5tupleIJSF_S6_EEENSO_IJSG_SG_EEES6_PlJS6_EEE10hipError_tPvRmT3_T4_T5_T6_T7_T9_mT8_P12ihipStream_tbDpT10_ENKUlT_T0_E_clISt17integral_constantIbLb1EES1A_IbLb0EEEEDaS16_S17_EUlS16_E_NS1_11comp_targetILNS1_3genE2ELNS1_11target_archE906ELNS1_3gpuE6ELNS1_3repE0EEENS1_30default_config_static_selectorELNS0_4arch9wavefront6targetE0EEEvT1_.num_named_barrier, 0
	.set _ZN7rocprim17ROCPRIM_400000_NS6detail17trampoline_kernelINS0_14default_configENS1_25partition_config_selectorILNS1_17partition_subalgoE5EyNS0_10empty_typeEbEEZZNS1_14partition_implILS5_5ELb0ES3_mN6thrust23THRUST_200600_302600_NS6detail15normal_iteratorINSA_10device_ptrIyEEEEPS6_NSA_18transform_iteratorINSB_9not_fun_tI7is_trueIyEEESF_NSA_11use_defaultESM_EENS0_5tupleIJSF_S6_EEENSO_IJSG_SG_EEES6_PlJS6_EEE10hipError_tPvRmT3_T4_T5_T6_T7_T9_mT8_P12ihipStream_tbDpT10_ENKUlT_T0_E_clISt17integral_constantIbLb1EES1A_IbLb0EEEEDaS16_S17_EUlS16_E_NS1_11comp_targetILNS1_3genE2ELNS1_11target_archE906ELNS1_3gpuE6ELNS1_3repE0EEENS1_30default_config_static_selectorELNS0_4arch9wavefront6targetE0EEEvT1_.private_seg_size, 0
	.set _ZN7rocprim17ROCPRIM_400000_NS6detail17trampoline_kernelINS0_14default_configENS1_25partition_config_selectorILNS1_17partition_subalgoE5EyNS0_10empty_typeEbEEZZNS1_14partition_implILS5_5ELb0ES3_mN6thrust23THRUST_200600_302600_NS6detail15normal_iteratorINSA_10device_ptrIyEEEEPS6_NSA_18transform_iteratorINSB_9not_fun_tI7is_trueIyEEESF_NSA_11use_defaultESM_EENS0_5tupleIJSF_S6_EEENSO_IJSG_SG_EEES6_PlJS6_EEE10hipError_tPvRmT3_T4_T5_T6_T7_T9_mT8_P12ihipStream_tbDpT10_ENKUlT_T0_E_clISt17integral_constantIbLb1EES1A_IbLb0EEEEDaS16_S17_EUlS16_E_NS1_11comp_targetILNS1_3genE2ELNS1_11target_archE906ELNS1_3gpuE6ELNS1_3repE0EEENS1_30default_config_static_selectorELNS0_4arch9wavefront6targetE0EEEvT1_.uses_vcc, 0
	.set _ZN7rocprim17ROCPRIM_400000_NS6detail17trampoline_kernelINS0_14default_configENS1_25partition_config_selectorILNS1_17partition_subalgoE5EyNS0_10empty_typeEbEEZZNS1_14partition_implILS5_5ELb0ES3_mN6thrust23THRUST_200600_302600_NS6detail15normal_iteratorINSA_10device_ptrIyEEEEPS6_NSA_18transform_iteratorINSB_9not_fun_tI7is_trueIyEEESF_NSA_11use_defaultESM_EENS0_5tupleIJSF_S6_EEENSO_IJSG_SG_EEES6_PlJS6_EEE10hipError_tPvRmT3_T4_T5_T6_T7_T9_mT8_P12ihipStream_tbDpT10_ENKUlT_T0_E_clISt17integral_constantIbLb1EES1A_IbLb0EEEEDaS16_S17_EUlS16_E_NS1_11comp_targetILNS1_3genE2ELNS1_11target_archE906ELNS1_3gpuE6ELNS1_3repE0EEENS1_30default_config_static_selectorELNS0_4arch9wavefront6targetE0EEEvT1_.uses_flat_scratch, 0
	.set _ZN7rocprim17ROCPRIM_400000_NS6detail17trampoline_kernelINS0_14default_configENS1_25partition_config_selectorILNS1_17partition_subalgoE5EyNS0_10empty_typeEbEEZZNS1_14partition_implILS5_5ELb0ES3_mN6thrust23THRUST_200600_302600_NS6detail15normal_iteratorINSA_10device_ptrIyEEEEPS6_NSA_18transform_iteratorINSB_9not_fun_tI7is_trueIyEEESF_NSA_11use_defaultESM_EENS0_5tupleIJSF_S6_EEENSO_IJSG_SG_EEES6_PlJS6_EEE10hipError_tPvRmT3_T4_T5_T6_T7_T9_mT8_P12ihipStream_tbDpT10_ENKUlT_T0_E_clISt17integral_constantIbLb1EES1A_IbLb0EEEEDaS16_S17_EUlS16_E_NS1_11comp_targetILNS1_3genE2ELNS1_11target_archE906ELNS1_3gpuE6ELNS1_3repE0EEENS1_30default_config_static_selectorELNS0_4arch9wavefront6targetE0EEEvT1_.has_dyn_sized_stack, 0
	.set _ZN7rocprim17ROCPRIM_400000_NS6detail17trampoline_kernelINS0_14default_configENS1_25partition_config_selectorILNS1_17partition_subalgoE5EyNS0_10empty_typeEbEEZZNS1_14partition_implILS5_5ELb0ES3_mN6thrust23THRUST_200600_302600_NS6detail15normal_iteratorINSA_10device_ptrIyEEEEPS6_NSA_18transform_iteratorINSB_9not_fun_tI7is_trueIyEEESF_NSA_11use_defaultESM_EENS0_5tupleIJSF_S6_EEENSO_IJSG_SG_EEES6_PlJS6_EEE10hipError_tPvRmT3_T4_T5_T6_T7_T9_mT8_P12ihipStream_tbDpT10_ENKUlT_T0_E_clISt17integral_constantIbLb1EES1A_IbLb0EEEEDaS16_S17_EUlS16_E_NS1_11comp_targetILNS1_3genE2ELNS1_11target_archE906ELNS1_3gpuE6ELNS1_3repE0EEENS1_30default_config_static_selectorELNS0_4arch9wavefront6targetE0EEEvT1_.has_recursion, 0
	.set _ZN7rocprim17ROCPRIM_400000_NS6detail17trampoline_kernelINS0_14default_configENS1_25partition_config_selectorILNS1_17partition_subalgoE5EyNS0_10empty_typeEbEEZZNS1_14partition_implILS5_5ELb0ES3_mN6thrust23THRUST_200600_302600_NS6detail15normal_iteratorINSA_10device_ptrIyEEEEPS6_NSA_18transform_iteratorINSB_9not_fun_tI7is_trueIyEEESF_NSA_11use_defaultESM_EENS0_5tupleIJSF_S6_EEENSO_IJSG_SG_EEES6_PlJS6_EEE10hipError_tPvRmT3_T4_T5_T6_T7_T9_mT8_P12ihipStream_tbDpT10_ENKUlT_T0_E_clISt17integral_constantIbLb1EES1A_IbLb0EEEEDaS16_S17_EUlS16_E_NS1_11comp_targetILNS1_3genE2ELNS1_11target_archE906ELNS1_3gpuE6ELNS1_3repE0EEENS1_30default_config_static_selectorELNS0_4arch9wavefront6targetE0EEEvT1_.has_indirect_call, 0
	.section	.AMDGPU.csdata,"",@progbits
; Kernel info:
; codeLenInByte = 0
; TotalNumSgprs: 0
; NumVgprs: 0
; ScratchSize: 0
; MemoryBound: 0
; FloatMode: 240
; IeeeMode: 1
; LDSByteSize: 0 bytes/workgroup (compile time only)
; SGPRBlocks: 0
; VGPRBlocks: 0
; NumSGPRsForWavesPerEU: 1
; NumVGPRsForWavesPerEU: 1
; Occupancy: 16
; WaveLimiterHint : 0
; COMPUTE_PGM_RSRC2:SCRATCH_EN: 0
; COMPUTE_PGM_RSRC2:USER_SGPR: 2
; COMPUTE_PGM_RSRC2:TRAP_HANDLER: 0
; COMPUTE_PGM_RSRC2:TGID_X_EN: 1
; COMPUTE_PGM_RSRC2:TGID_Y_EN: 0
; COMPUTE_PGM_RSRC2:TGID_Z_EN: 0
; COMPUTE_PGM_RSRC2:TIDIG_COMP_CNT: 0
	.section	.text._ZN7rocprim17ROCPRIM_400000_NS6detail17trampoline_kernelINS0_14default_configENS1_25partition_config_selectorILNS1_17partition_subalgoE5EyNS0_10empty_typeEbEEZZNS1_14partition_implILS5_5ELb0ES3_mN6thrust23THRUST_200600_302600_NS6detail15normal_iteratorINSA_10device_ptrIyEEEEPS6_NSA_18transform_iteratorINSB_9not_fun_tI7is_trueIyEEESF_NSA_11use_defaultESM_EENS0_5tupleIJSF_S6_EEENSO_IJSG_SG_EEES6_PlJS6_EEE10hipError_tPvRmT3_T4_T5_T6_T7_T9_mT8_P12ihipStream_tbDpT10_ENKUlT_T0_E_clISt17integral_constantIbLb1EES1A_IbLb0EEEEDaS16_S17_EUlS16_E_NS1_11comp_targetILNS1_3genE10ELNS1_11target_archE1200ELNS1_3gpuE4ELNS1_3repE0EEENS1_30default_config_static_selectorELNS0_4arch9wavefront6targetE0EEEvT1_,"axG",@progbits,_ZN7rocprim17ROCPRIM_400000_NS6detail17trampoline_kernelINS0_14default_configENS1_25partition_config_selectorILNS1_17partition_subalgoE5EyNS0_10empty_typeEbEEZZNS1_14partition_implILS5_5ELb0ES3_mN6thrust23THRUST_200600_302600_NS6detail15normal_iteratorINSA_10device_ptrIyEEEEPS6_NSA_18transform_iteratorINSB_9not_fun_tI7is_trueIyEEESF_NSA_11use_defaultESM_EENS0_5tupleIJSF_S6_EEENSO_IJSG_SG_EEES6_PlJS6_EEE10hipError_tPvRmT3_T4_T5_T6_T7_T9_mT8_P12ihipStream_tbDpT10_ENKUlT_T0_E_clISt17integral_constantIbLb1EES1A_IbLb0EEEEDaS16_S17_EUlS16_E_NS1_11comp_targetILNS1_3genE10ELNS1_11target_archE1200ELNS1_3gpuE4ELNS1_3repE0EEENS1_30default_config_static_selectorELNS0_4arch9wavefront6targetE0EEEvT1_,comdat
	.protected	_ZN7rocprim17ROCPRIM_400000_NS6detail17trampoline_kernelINS0_14default_configENS1_25partition_config_selectorILNS1_17partition_subalgoE5EyNS0_10empty_typeEbEEZZNS1_14partition_implILS5_5ELb0ES3_mN6thrust23THRUST_200600_302600_NS6detail15normal_iteratorINSA_10device_ptrIyEEEEPS6_NSA_18transform_iteratorINSB_9not_fun_tI7is_trueIyEEESF_NSA_11use_defaultESM_EENS0_5tupleIJSF_S6_EEENSO_IJSG_SG_EEES6_PlJS6_EEE10hipError_tPvRmT3_T4_T5_T6_T7_T9_mT8_P12ihipStream_tbDpT10_ENKUlT_T0_E_clISt17integral_constantIbLb1EES1A_IbLb0EEEEDaS16_S17_EUlS16_E_NS1_11comp_targetILNS1_3genE10ELNS1_11target_archE1200ELNS1_3gpuE4ELNS1_3repE0EEENS1_30default_config_static_selectorELNS0_4arch9wavefront6targetE0EEEvT1_ ; -- Begin function _ZN7rocprim17ROCPRIM_400000_NS6detail17trampoline_kernelINS0_14default_configENS1_25partition_config_selectorILNS1_17partition_subalgoE5EyNS0_10empty_typeEbEEZZNS1_14partition_implILS5_5ELb0ES3_mN6thrust23THRUST_200600_302600_NS6detail15normal_iteratorINSA_10device_ptrIyEEEEPS6_NSA_18transform_iteratorINSB_9not_fun_tI7is_trueIyEEESF_NSA_11use_defaultESM_EENS0_5tupleIJSF_S6_EEENSO_IJSG_SG_EEES6_PlJS6_EEE10hipError_tPvRmT3_T4_T5_T6_T7_T9_mT8_P12ihipStream_tbDpT10_ENKUlT_T0_E_clISt17integral_constantIbLb1EES1A_IbLb0EEEEDaS16_S17_EUlS16_E_NS1_11comp_targetILNS1_3genE10ELNS1_11target_archE1200ELNS1_3gpuE4ELNS1_3repE0EEENS1_30default_config_static_selectorELNS0_4arch9wavefront6targetE0EEEvT1_
	.globl	_ZN7rocprim17ROCPRIM_400000_NS6detail17trampoline_kernelINS0_14default_configENS1_25partition_config_selectorILNS1_17partition_subalgoE5EyNS0_10empty_typeEbEEZZNS1_14partition_implILS5_5ELb0ES3_mN6thrust23THRUST_200600_302600_NS6detail15normal_iteratorINSA_10device_ptrIyEEEEPS6_NSA_18transform_iteratorINSB_9not_fun_tI7is_trueIyEEESF_NSA_11use_defaultESM_EENS0_5tupleIJSF_S6_EEENSO_IJSG_SG_EEES6_PlJS6_EEE10hipError_tPvRmT3_T4_T5_T6_T7_T9_mT8_P12ihipStream_tbDpT10_ENKUlT_T0_E_clISt17integral_constantIbLb1EES1A_IbLb0EEEEDaS16_S17_EUlS16_E_NS1_11comp_targetILNS1_3genE10ELNS1_11target_archE1200ELNS1_3gpuE4ELNS1_3repE0EEENS1_30default_config_static_selectorELNS0_4arch9wavefront6targetE0EEEvT1_
	.p2align	8
	.type	_ZN7rocprim17ROCPRIM_400000_NS6detail17trampoline_kernelINS0_14default_configENS1_25partition_config_selectorILNS1_17partition_subalgoE5EyNS0_10empty_typeEbEEZZNS1_14partition_implILS5_5ELb0ES3_mN6thrust23THRUST_200600_302600_NS6detail15normal_iteratorINSA_10device_ptrIyEEEEPS6_NSA_18transform_iteratorINSB_9not_fun_tI7is_trueIyEEESF_NSA_11use_defaultESM_EENS0_5tupleIJSF_S6_EEENSO_IJSG_SG_EEES6_PlJS6_EEE10hipError_tPvRmT3_T4_T5_T6_T7_T9_mT8_P12ihipStream_tbDpT10_ENKUlT_T0_E_clISt17integral_constantIbLb1EES1A_IbLb0EEEEDaS16_S17_EUlS16_E_NS1_11comp_targetILNS1_3genE10ELNS1_11target_archE1200ELNS1_3gpuE4ELNS1_3repE0EEENS1_30default_config_static_selectorELNS0_4arch9wavefront6targetE0EEEvT1_,@function
_ZN7rocprim17ROCPRIM_400000_NS6detail17trampoline_kernelINS0_14default_configENS1_25partition_config_selectorILNS1_17partition_subalgoE5EyNS0_10empty_typeEbEEZZNS1_14partition_implILS5_5ELb0ES3_mN6thrust23THRUST_200600_302600_NS6detail15normal_iteratorINSA_10device_ptrIyEEEEPS6_NSA_18transform_iteratorINSB_9not_fun_tI7is_trueIyEEESF_NSA_11use_defaultESM_EENS0_5tupleIJSF_S6_EEENSO_IJSG_SG_EEES6_PlJS6_EEE10hipError_tPvRmT3_T4_T5_T6_T7_T9_mT8_P12ihipStream_tbDpT10_ENKUlT_T0_E_clISt17integral_constantIbLb1EES1A_IbLb0EEEEDaS16_S17_EUlS16_E_NS1_11comp_targetILNS1_3genE10ELNS1_11target_archE1200ELNS1_3gpuE4ELNS1_3repE0EEENS1_30default_config_static_selectorELNS0_4arch9wavefront6targetE0EEEvT1_: ; @_ZN7rocprim17ROCPRIM_400000_NS6detail17trampoline_kernelINS0_14default_configENS1_25partition_config_selectorILNS1_17partition_subalgoE5EyNS0_10empty_typeEbEEZZNS1_14partition_implILS5_5ELb0ES3_mN6thrust23THRUST_200600_302600_NS6detail15normal_iteratorINSA_10device_ptrIyEEEEPS6_NSA_18transform_iteratorINSB_9not_fun_tI7is_trueIyEEESF_NSA_11use_defaultESM_EENS0_5tupleIJSF_S6_EEENSO_IJSG_SG_EEES6_PlJS6_EEE10hipError_tPvRmT3_T4_T5_T6_T7_T9_mT8_P12ihipStream_tbDpT10_ENKUlT_T0_E_clISt17integral_constantIbLb1EES1A_IbLb0EEEEDaS16_S17_EUlS16_E_NS1_11comp_targetILNS1_3genE10ELNS1_11target_archE1200ELNS1_3gpuE4ELNS1_3repE0EEENS1_30default_config_static_selectorELNS0_4arch9wavefront6targetE0EEEvT1_
; %bb.0:
	s_endpgm
	.section	.rodata,"a",@progbits
	.p2align	6, 0x0
	.amdhsa_kernel _ZN7rocprim17ROCPRIM_400000_NS6detail17trampoline_kernelINS0_14default_configENS1_25partition_config_selectorILNS1_17partition_subalgoE5EyNS0_10empty_typeEbEEZZNS1_14partition_implILS5_5ELb0ES3_mN6thrust23THRUST_200600_302600_NS6detail15normal_iteratorINSA_10device_ptrIyEEEEPS6_NSA_18transform_iteratorINSB_9not_fun_tI7is_trueIyEEESF_NSA_11use_defaultESM_EENS0_5tupleIJSF_S6_EEENSO_IJSG_SG_EEES6_PlJS6_EEE10hipError_tPvRmT3_T4_T5_T6_T7_T9_mT8_P12ihipStream_tbDpT10_ENKUlT_T0_E_clISt17integral_constantIbLb1EES1A_IbLb0EEEEDaS16_S17_EUlS16_E_NS1_11comp_targetILNS1_3genE10ELNS1_11target_archE1200ELNS1_3gpuE4ELNS1_3repE0EEENS1_30default_config_static_selectorELNS0_4arch9wavefront6targetE0EEEvT1_
		.amdhsa_group_segment_fixed_size 0
		.amdhsa_private_segment_fixed_size 0
		.amdhsa_kernarg_size 120
		.amdhsa_user_sgpr_count 2
		.amdhsa_user_sgpr_dispatch_ptr 0
		.amdhsa_user_sgpr_queue_ptr 0
		.amdhsa_user_sgpr_kernarg_segment_ptr 1
		.amdhsa_user_sgpr_dispatch_id 0
		.amdhsa_user_sgpr_private_segment_size 0
		.amdhsa_wavefront_size32 1
		.amdhsa_uses_dynamic_stack 0
		.amdhsa_enable_private_segment 0
		.amdhsa_system_sgpr_workgroup_id_x 1
		.amdhsa_system_sgpr_workgroup_id_y 0
		.amdhsa_system_sgpr_workgroup_id_z 0
		.amdhsa_system_sgpr_workgroup_info 0
		.amdhsa_system_vgpr_workitem_id 0
		.amdhsa_next_free_vgpr 1
		.amdhsa_next_free_sgpr 1
		.amdhsa_reserve_vcc 0
		.amdhsa_float_round_mode_32 0
		.amdhsa_float_round_mode_16_64 0
		.amdhsa_float_denorm_mode_32 3
		.amdhsa_float_denorm_mode_16_64 3
		.amdhsa_fp16_overflow 0
		.amdhsa_workgroup_processor_mode 1
		.amdhsa_memory_ordered 1
		.amdhsa_forward_progress 1
		.amdhsa_inst_pref_size 1
		.amdhsa_round_robin_scheduling 0
		.amdhsa_exception_fp_ieee_invalid_op 0
		.amdhsa_exception_fp_denorm_src 0
		.amdhsa_exception_fp_ieee_div_zero 0
		.amdhsa_exception_fp_ieee_overflow 0
		.amdhsa_exception_fp_ieee_underflow 0
		.amdhsa_exception_fp_ieee_inexact 0
		.amdhsa_exception_int_div_zero 0
	.end_amdhsa_kernel
	.section	.text._ZN7rocprim17ROCPRIM_400000_NS6detail17trampoline_kernelINS0_14default_configENS1_25partition_config_selectorILNS1_17partition_subalgoE5EyNS0_10empty_typeEbEEZZNS1_14partition_implILS5_5ELb0ES3_mN6thrust23THRUST_200600_302600_NS6detail15normal_iteratorINSA_10device_ptrIyEEEEPS6_NSA_18transform_iteratorINSB_9not_fun_tI7is_trueIyEEESF_NSA_11use_defaultESM_EENS0_5tupleIJSF_S6_EEENSO_IJSG_SG_EEES6_PlJS6_EEE10hipError_tPvRmT3_T4_T5_T6_T7_T9_mT8_P12ihipStream_tbDpT10_ENKUlT_T0_E_clISt17integral_constantIbLb1EES1A_IbLb0EEEEDaS16_S17_EUlS16_E_NS1_11comp_targetILNS1_3genE10ELNS1_11target_archE1200ELNS1_3gpuE4ELNS1_3repE0EEENS1_30default_config_static_selectorELNS0_4arch9wavefront6targetE0EEEvT1_,"axG",@progbits,_ZN7rocprim17ROCPRIM_400000_NS6detail17trampoline_kernelINS0_14default_configENS1_25partition_config_selectorILNS1_17partition_subalgoE5EyNS0_10empty_typeEbEEZZNS1_14partition_implILS5_5ELb0ES3_mN6thrust23THRUST_200600_302600_NS6detail15normal_iteratorINSA_10device_ptrIyEEEEPS6_NSA_18transform_iteratorINSB_9not_fun_tI7is_trueIyEEESF_NSA_11use_defaultESM_EENS0_5tupleIJSF_S6_EEENSO_IJSG_SG_EEES6_PlJS6_EEE10hipError_tPvRmT3_T4_T5_T6_T7_T9_mT8_P12ihipStream_tbDpT10_ENKUlT_T0_E_clISt17integral_constantIbLb1EES1A_IbLb0EEEEDaS16_S17_EUlS16_E_NS1_11comp_targetILNS1_3genE10ELNS1_11target_archE1200ELNS1_3gpuE4ELNS1_3repE0EEENS1_30default_config_static_selectorELNS0_4arch9wavefront6targetE0EEEvT1_,comdat
.Lfunc_end1389:
	.size	_ZN7rocprim17ROCPRIM_400000_NS6detail17trampoline_kernelINS0_14default_configENS1_25partition_config_selectorILNS1_17partition_subalgoE5EyNS0_10empty_typeEbEEZZNS1_14partition_implILS5_5ELb0ES3_mN6thrust23THRUST_200600_302600_NS6detail15normal_iteratorINSA_10device_ptrIyEEEEPS6_NSA_18transform_iteratorINSB_9not_fun_tI7is_trueIyEEESF_NSA_11use_defaultESM_EENS0_5tupleIJSF_S6_EEENSO_IJSG_SG_EEES6_PlJS6_EEE10hipError_tPvRmT3_T4_T5_T6_T7_T9_mT8_P12ihipStream_tbDpT10_ENKUlT_T0_E_clISt17integral_constantIbLb1EES1A_IbLb0EEEEDaS16_S17_EUlS16_E_NS1_11comp_targetILNS1_3genE10ELNS1_11target_archE1200ELNS1_3gpuE4ELNS1_3repE0EEENS1_30default_config_static_selectorELNS0_4arch9wavefront6targetE0EEEvT1_, .Lfunc_end1389-_ZN7rocprim17ROCPRIM_400000_NS6detail17trampoline_kernelINS0_14default_configENS1_25partition_config_selectorILNS1_17partition_subalgoE5EyNS0_10empty_typeEbEEZZNS1_14partition_implILS5_5ELb0ES3_mN6thrust23THRUST_200600_302600_NS6detail15normal_iteratorINSA_10device_ptrIyEEEEPS6_NSA_18transform_iteratorINSB_9not_fun_tI7is_trueIyEEESF_NSA_11use_defaultESM_EENS0_5tupleIJSF_S6_EEENSO_IJSG_SG_EEES6_PlJS6_EEE10hipError_tPvRmT3_T4_T5_T6_T7_T9_mT8_P12ihipStream_tbDpT10_ENKUlT_T0_E_clISt17integral_constantIbLb1EES1A_IbLb0EEEEDaS16_S17_EUlS16_E_NS1_11comp_targetILNS1_3genE10ELNS1_11target_archE1200ELNS1_3gpuE4ELNS1_3repE0EEENS1_30default_config_static_selectorELNS0_4arch9wavefront6targetE0EEEvT1_
                                        ; -- End function
	.set _ZN7rocprim17ROCPRIM_400000_NS6detail17trampoline_kernelINS0_14default_configENS1_25partition_config_selectorILNS1_17partition_subalgoE5EyNS0_10empty_typeEbEEZZNS1_14partition_implILS5_5ELb0ES3_mN6thrust23THRUST_200600_302600_NS6detail15normal_iteratorINSA_10device_ptrIyEEEEPS6_NSA_18transform_iteratorINSB_9not_fun_tI7is_trueIyEEESF_NSA_11use_defaultESM_EENS0_5tupleIJSF_S6_EEENSO_IJSG_SG_EEES6_PlJS6_EEE10hipError_tPvRmT3_T4_T5_T6_T7_T9_mT8_P12ihipStream_tbDpT10_ENKUlT_T0_E_clISt17integral_constantIbLb1EES1A_IbLb0EEEEDaS16_S17_EUlS16_E_NS1_11comp_targetILNS1_3genE10ELNS1_11target_archE1200ELNS1_3gpuE4ELNS1_3repE0EEENS1_30default_config_static_selectorELNS0_4arch9wavefront6targetE0EEEvT1_.num_vgpr, 0
	.set _ZN7rocprim17ROCPRIM_400000_NS6detail17trampoline_kernelINS0_14default_configENS1_25partition_config_selectorILNS1_17partition_subalgoE5EyNS0_10empty_typeEbEEZZNS1_14partition_implILS5_5ELb0ES3_mN6thrust23THRUST_200600_302600_NS6detail15normal_iteratorINSA_10device_ptrIyEEEEPS6_NSA_18transform_iteratorINSB_9not_fun_tI7is_trueIyEEESF_NSA_11use_defaultESM_EENS0_5tupleIJSF_S6_EEENSO_IJSG_SG_EEES6_PlJS6_EEE10hipError_tPvRmT3_T4_T5_T6_T7_T9_mT8_P12ihipStream_tbDpT10_ENKUlT_T0_E_clISt17integral_constantIbLb1EES1A_IbLb0EEEEDaS16_S17_EUlS16_E_NS1_11comp_targetILNS1_3genE10ELNS1_11target_archE1200ELNS1_3gpuE4ELNS1_3repE0EEENS1_30default_config_static_selectorELNS0_4arch9wavefront6targetE0EEEvT1_.num_agpr, 0
	.set _ZN7rocprim17ROCPRIM_400000_NS6detail17trampoline_kernelINS0_14default_configENS1_25partition_config_selectorILNS1_17partition_subalgoE5EyNS0_10empty_typeEbEEZZNS1_14partition_implILS5_5ELb0ES3_mN6thrust23THRUST_200600_302600_NS6detail15normal_iteratorINSA_10device_ptrIyEEEEPS6_NSA_18transform_iteratorINSB_9not_fun_tI7is_trueIyEEESF_NSA_11use_defaultESM_EENS0_5tupleIJSF_S6_EEENSO_IJSG_SG_EEES6_PlJS6_EEE10hipError_tPvRmT3_T4_T5_T6_T7_T9_mT8_P12ihipStream_tbDpT10_ENKUlT_T0_E_clISt17integral_constantIbLb1EES1A_IbLb0EEEEDaS16_S17_EUlS16_E_NS1_11comp_targetILNS1_3genE10ELNS1_11target_archE1200ELNS1_3gpuE4ELNS1_3repE0EEENS1_30default_config_static_selectorELNS0_4arch9wavefront6targetE0EEEvT1_.numbered_sgpr, 0
	.set _ZN7rocprim17ROCPRIM_400000_NS6detail17trampoline_kernelINS0_14default_configENS1_25partition_config_selectorILNS1_17partition_subalgoE5EyNS0_10empty_typeEbEEZZNS1_14partition_implILS5_5ELb0ES3_mN6thrust23THRUST_200600_302600_NS6detail15normal_iteratorINSA_10device_ptrIyEEEEPS6_NSA_18transform_iteratorINSB_9not_fun_tI7is_trueIyEEESF_NSA_11use_defaultESM_EENS0_5tupleIJSF_S6_EEENSO_IJSG_SG_EEES6_PlJS6_EEE10hipError_tPvRmT3_T4_T5_T6_T7_T9_mT8_P12ihipStream_tbDpT10_ENKUlT_T0_E_clISt17integral_constantIbLb1EES1A_IbLb0EEEEDaS16_S17_EUlS16_E_NS1_11comp_targetILNS1_3genE10ELNS1_11target_archE1200ELNS1_3gpuE4ELNS1_3repE0EEENS1_30default_config_static_selectorELNS0_4arch9wavefront6targetE0EEEvT1_.num_named_barrier, 0
	.set _ZN7rocprim17ROCPRIM_400000_NS6detail17trampoline_kernelINS0_14default_configENS1_25partition_config_selectorILNS1_17partition_subalgoE5EyNS0_10empty_typeEbEEZZNS1_14partition_implILS5_5ELb0ES3_mN6thrust23THRUST_200600_302600_NS6detail15normal_iteratorINSA_10device_ptrIyEEEEPS6_NSA_18transform_iteratorINSB_9not_fun_tI7is_trueIyEEESF_NSA_11use_defaultESM_EENS0_5tupleIJSF_S6_EEENSO_IJSG_SG_EEES6_PlJS6_EEE10hipError_tPvRmT3_T4_T5_T6_T7_T9_mT8_P12ihipStream_tbDpT10_ENKUlT_T0_E_clISt17integral_constantIbLb1EES1A_IbLb0EEEEDaS16_S17_EUlS16_E_NS1_11comp_targetILNS1_3genE10ELNS1_11target_archE1200ELNS1_3gpuE4ELNS1_3repE0EEENS1_30default_config_static_selectorELNS0_4arch9wavefront6targetE0EEEvT1_.private_seg_size, 0
	.set _ZN7rocprim17ROCPRIM_400000_NS6detail17trampoline_kernelINS0_14default_configENS1_25partition_config_selectorILNS1_17partition_subalgoE5EyNS0_10empty_typeEbEEZZNS1_14partition_implILS5_5ELb0ES3_mN6thrust23THRUST_200600_302600_NS6detail15normal_iteratorINSA_10device_ptrIyEEEEPS6_NSA_18transform_iteratorINSB_9not_fun_tI7is_trueIyEEESF_NSA_11use_defaultESM_EENS0_5tupleIJSF_S6_EEENSO_IJSG_SG_EEES6_PlJS6_EEE10hipError_tPvRmT3_T4_T5_T6_T7_T9_mT8_P12ihipStream_tbDpT10_ENKUlT_T0_E_clISt17integral_constantIbLb1EES1A_IbLb0EEEEDaS16_S17_EUlS16_E_NS1_11comp_targetILNS1_3genE10ELNS1_11target_archE1200ELNS1_3gpuE4ELNS1_3repE0EEENS1_30default_config_static_selectorELNS0_4arch9wavefront6targetE0EEEvT1_.uses_vcc, 0
	.set _ZN7rocprim17ROCPRIM_400000_NS6detail17trampoline_kernelINS0_14default_configENS1_25partition_config_selectorILNS1_17partition_subalgoE5EyNS0_10empty_typeEbEEZZNS1_14partition_implILS5_5ELb0ES3_mN6thrust23THRUST_200600_302600_NS6detail15normal_iteratorINSA_10device_ptrIyEEEEPS6_NSA_18transform_iteratorINSB_9not_fun_tI7is_trueIyEEESF_NSA_11use_defaultESM_EENS0_5tupleIJSF_S6_EEENSO_IJSG_SG_EEES6_PlJS6_EEE10hipError_tPvRmT3_T4_T5_T6_T7_T9_mT8_P12ihipStream_tbDpT10_ENKUlT_T0_E_clISt17integral_constantIbLb1EES1A_IbLb0EEEEDaS16_S17_EUlS16_E_NS1_11comp_targetILNS1_3genE10ELNS1_11target_archE1200ELNS1_3gpuE4ELNS1_3repE0EEENS1_30default_config_static_selectorELNS0_4arch9wavefront6targetE0EEEvT1_.uses_flat_scratch, 0
	.set _ZN7rocprim17ROCPRIM_400000_NS6detail17trampoline_kernelINS0_14default_configENS1_25partition_config_selectorILNS1_17partition_subalgoE5EyNS0_10empty_typeEbEEZZNS1_14partition_implILS5_5ELb0ES3_mN6thrust23THRUST_200600_302600_NS6detail15normal_iteratorINSA_10device_ptrIyEEEEPS6_NSA_18transform_iteratorINSB_9not_fun_tI7is_trueIyEEESF_NSA_11use_defaultESM_EENS0_5tupleIJSF_S6_EEENSO_IJSG_SG_EEES6_PlJS6_EEE10hipError_tPvRmT3_T4_T5_T6_T7_T9_mT8_P12ihipStream_tbDpT10_ENKUlT_T0_E_clISt17integral_constantIbLb1EES1A_IbLb0EEEEDaS16_S17_EUlS16_E_NS1_11comp_targetILNS1_3genE10ELNS1_11target_archE1200ELNS1_3gpuE4ELNS1_3repE0EEENS1_30default_config_static_selectorELNS0_4arch9wavefront6targetE0EEEvT1_.has_dyn_sized_stack, 0
	.set _ZN7rocprim17ROCPRIM_400000_NS6detail17trampoline_kernelINS0_14default_configENS1_25partition_config_selectorILNS1_17partition_subalgoE5EyNS0_10empty_typeEbEEZZNS1_14partition_implILS5_5ELb0ES3_mN6thrust23THRUST_200600_302600_NS6detail15normal_iteratorINSA_10device_ptrIyEEEEPS6_NSA_18transform_iteratorINSB_9not_fun_tI7is_trueIyEEESF_NSA_11use_defaultESM_EENS0_5tupleIJSF_S6_EEENSO_IJSG_SG_EEES6_PlJS6_EEE10hipError_tPvRmT3_T4_T5_T6_T7_T9_mT8_P12ihipStream_tbDpT10_ENKUlT_T0_E_clISt17integral_constantIbLb1EES1A_IbLb0EEEEDaS16_S17_EUlS16_E_NS1_11comp_targetILNS1_3genE10ELNS1_11target_archE1200ELNS1_3gpuE4ELNS1_3repE0EEENS1_30default_config_static_selectorELNS0_4arch9wavefront6targetE0EEEvT1_.has_recursion, 0
	.set _ZN7rocprim17ROCPRIM_400000_NS6detail17trampoline_kernelINS0_14default_configENS1_25partition_config_selectorILNS1_17partition_subalgoE5EyNS0_10empty_typeEbEEZZNS1_14partition_implILS5_5ELb0ES3_mN6thrust23THRUST_200600_302600_NS6detail15normal_iteratorINSA_10device_ptrIyEEEEPS6_NSA_18transform_iteratorINSB_9not_fun_tI7is_trueIyEEESF_NSA_11use_defaultESM_EENS0_5tupleIJSF_S6_EEENSO_IJSG_SG_EEES6_PlJS6_EEE10hipError_tPvRmT3_T4_T5_T6_T7_T9_mT8_P12ihipStream_tbDpT10_ENKUlT_T0_E_clISt17integral_constantIbLb1EES1A_IbLb0EEEEDaS16_S17_EUlS16_E_NS1_11comp_targetILNS1_3genE10ELNS1_11target_archE1200ELNS1_3gpuE4ELNS1_3repE0EEENS1_30default_config_static_selectorELNS0_4arch9wavefront6targetE0EEEvT1_.has_indirect_call, 0
	.section	.AMDGPU.csdata,"",@progbits
; Kernel info:
; codeLenInByte = 4
; TotalNumSgprs: 0
; NumVgprs: 0
; ScratchSize: 0
; MemoryBound: 0
; FloatMode: 240
; IeeeMode: 1
; LDSByteSize: 0 bytes/workgroup (compile time only)
; SGPRBlocks: 0
; VGPRBlocks: 0
; NumSGPRsForWavesPerEU: 1
; NumVGPRsForWavesPerEU: 1
; Occupancy: 16
; WaveLimiterHint : 0
; COMPUTE_PGM_RSRC2:SCRATCH_EN: 0
; COMPUTE_PGM_RSRC2:USER_SGPR: 2
; COMPUTE_PGM_RSRC2:TRAP_HANDLER: 0
; COMPUTE_PGM_RSRC2:TGID_X_EN: 1
; COMPUTE_PGM_RSRC2:TGID_Y_EN: 0
; COMPUTE_PGM_RSRC2:TGID_Z_EN: 0
; COMPUTE_PGM_RSRC2:TIDIG_COMP_CNT: 0
	.section	.text._ZN7rocprim17ROCPRIM_400000_NS6detail17trampoline_kernelINS0_14default_configENS1_25partition_config_selectorILNS1_17partition_subalgoE5EyNS0_10empty_typeEbEEZZNS1_14partition_implILS5_5ELb0ES3_mN6thrust23THRUST_200600_302600_NS6detail15normal_iteratorINSA_10device_ptrIyEEEEPS6_NSA_18transform_iteratorINSB_9not_fun_tI7is_trueIyEEESF_NSA_11use_defaultESM_EENS0_5tupleIJSF_S6_EEENSO_IJSG_SG_EEES6_PlJS6_EEE10hipError_tPvRmT3_T4_T5_T6_T7_T9_mT8_P12ihipStream_tbDpT10_ENKUlT_T0_E_clISt17integral_constantIbLb1EES1A_IbLb0EEEEDaS16_S17_EUlS16_E_NS1_11comp_targetILNS1_3genE9ELNS1_11target_archE1100ELNS1_3gpuE3ELNS1_3repE0EEENS1_30default_config_static_selectorELNS0_4arch9wavefront6targetE0EEEvT1_,"axG",@progbits,_ZN7rocprim17ROCPRIM_400000_NS6detail17trampoline_kernelINS0_14default_configENS1_25partition_config_selectorILNS1_17partition_subalgoE5EyNS0_10empty_typeEbEEZZNS1_14partition_implILS5_5ELb0ES3_mN6thrust23THRUST_200600_302600_NS6detail15normal_iteratorINSA_10device_ptrIyEEEEPS6_NSA_18transform_iteratorINSB_9not_fun_tI7is_trueIyEEESF_NSA_11use_defaultESM_EENS0_5tupleIJSF_S6_EEENSO_IJSG_SG_EEES6_PlJS6_EEE10hipError_tPvRmT3_T4_T5_T6_T7_T9_mT8_P12ihipStream_tbDpT10_ENKUlT_T0_E_clISt17integral_constantIbLb1EES1A_IbLb0EEEEDaS16_S17_EUlS16_E_NS1_11comp_targetILNS1_3genE9ELNS1_11target_archE1100ELNS1_3gpuE3ELNS1_3repE0EEENS1_30default_config_static_selectorELNS0_4arch9wavefront6targetE0EEEvT1_,comdat
	.protected	_ZN7rocprim17ROCPRIM_400000_NS6detail17trampoline_kernelINS0_14default_configENS1_25partition_config_selectorILNS1_17partition_subalgoE5EyNS0_10empty_typeEbEEZZNS1_14partition_implILS5_5ELb0ES3_mN6thrust23THRUST_200600_302600_NS6detail15normal_iteratorINSA_10device_ptrIyEEEEPS6_NSA_18transform_iteratorINSB_9not_fun_tI7is_trueIyEEESF_NSA_11use_defaultESM_EENS0_5tupleIJSF_S6_EEENSO_IJSG_SG_EEES6_PlJS6_EEE10hipError_tPvRmT3_T4_T5_T6_T7_T9_mT8_P12ihipStream_tbDpT10_ENKUlT_T0_E_clISt17integral_constantIbLb1EES1A_IbLb0EEEEDaS16_S17_EUlS16_E_NS1_11comp_targetILNS1_3genE9ELNS1_11target_archE1100ELNS1_3gpuE3ELNS1_3repE0EEENS1_30default_config_static_selectorELNS0_4arch9wavefront6targetE0EEEvT1_ ; -- Begin function _ZN7rocprim17ROCPRIM_400000_NS6detail17trampoline_kernelINS0_14default_configENS1_25partition_config_selectorILNS1_17partition_subalgoE5EyNS0_10empty_typeEbEEZZNS1_14partition_implILS5_5ELb0ES3_mN6thrust23THRUST_200600_302600_NS6detail15normal_iteratorINSA_10device_ptrIyEEEEPS6_NSA_18transform_iteratorINSB_9not_fun_tI7is_trueIyEEESF_NSA_11use_defaultESM_EENS0_5tupleIJSF_S6_EEENSO_IJSG_SG_EEES6_PlJS6_EEE10hipError_tPvRmT3_T4_T5_T6_T7_T9_mT8_P12ihipStream_tbDpT10_ENKUlT_T0_E_clISt17integral_constantIbLb1EES1A_IbLb0EEEEDaS16_S17_EUlS16_E_NS1_11comp_targetILNS1_3genE9ELNS1_11target_archE1100ELNS1_3gpuE3ELNS1_3repE0EEENS1_30default_config_static_selectorELNS0_4arch9wavefront6targetE0EEEvT1_
	.globl	_ZN7rocprim17ROCPRIM_400000_NS6detail17trampoline_kernelINS0_14default_configENS1_25partition_config_selectorILNS1_17partition_subalgoE5EyNS0_10empty_typeEbEEZZNS1_14partition_implILS5_5ELb0ES3_mN6thrust23THRUST_200600_302600_NS6detail15normal_iteratorINSA_10device_ptrIyEEEEPS6_NSA_18transform_iteratorINSB_9not_fun_tI7is_trueIyEEESF_NSA_11use_defaultESM_EENS0_5tupleIJSF_S6_EEENSO_IJSG_SG_EEES6_PlJS6_EEE10hipError_tPvRmT3_T4_T5_T6_T7_T9_mT8_P12ihipStream_tbDpT10_ENKUlT_T0_E_clISt17integral_constantIbLb1EES1A_IbLb0EEEEDaS16_S17_EUlS16_E_NS1_11comp_targetILNS1_3genE9ELNS1_11target_archE1100ELNS1_3gpuE3ELNS1_3repE0EEENS1_30default_config_static_selectorELNS0_4arch9wavefront6targetE0EEEvT1_
	.p2align	8
	.type	_ZN7rocprim17ROCPRIM_400000_NS6detail17trampoline_kernelINS0_14default_configENS1_25partition_config_selectorILNS1_17partition_subalgoE5EyNS0_10empty_typeEbEEZZNS1_14partition_implILS5_5ELb0ES3_mN6thrust23THRUST_200600_302600_NS6detail15normal_iteratorINSA_10device_ptrIyEEEEPS6_NSA_18transform_iteratorINSB_9not_fun_tI7is_trueIyEEESF_NSA_11use_defaultESM_EENS0_5tupleIJSF_S6_EEENSO_IJSG_SG_EEES6_PlJS6_EEE10hipError_tPvRmT3_T4_T5_T6_T7_T9_mT8_P12ihipStream_tbDpT10_ENKUlT_T0_E_clISt17integral_constantIbLb1EES1A_IbLb0EEEEDaS16_S17_EUlS16_E_NS1_11comp_targetILNS1_3genE9ELNS1_11target_archE1100ELNS1_3gpuE3ELNS1_3repE0EEENS1_30default_config_static_selectorELNS0_4arch9wavefront6targetE0EEEvT1_,@function
_ZN7rocprim17ROCPRIM_400000_NS6detail17trampoline_kernelINS0_14default_configENS1_25partition_config_selectorILNS1_17partition_subalgoE5EyNS0_10empty_typeEbEEZZNS1_14partition_implILS5_5ELb0ES3_mN6thrust23THRUST_200600_302600_NS6detail15normal_iteratorINSA_10device_ptrIyEEEEPS6_NSA_18transform_iteratorINSB_9not_fun_tI7is_trueIyEEESF_NSA_11use_defaultESM_EENS0_5tupleIJSF_S6_EEENSO_IJSG_SG_EEES6_PlJS6_EEE10hipError_tPvRmT3_T4_T5_T6_T7_T9_mT8_P12ihipStream_tbDpT10_ENKUlT_T0_E_clISt17integral_constantIbLb1EES1A_IbLb0EEEEDaS16_S17_EUlS16_E_NS1_11comp_targetILNS1_3genE9ELNS1_11target_archE1100ELNS1_3gpuE3ELNS1_3repE0EEENS1_30default_config_static_selectorELNS0_4arch9wavefront6targetE0EEEvT1_: ; @_ZN7rocprim17ROCPRIM_400000_NS6detail17trampoline_kernelINS0_14default_configENS1_25partition_config_selectorILNS1_17partition_subalgoE5EyNS0_10empty_typeEbEEZZNS1_14partition_implILS5_5ELb0ES3_mN6thrust23THRUST_200600_302600_NS6detail15normal_iteratorINSA_10device_ptrIyEEEEPS6_NSA_18transform_iteratorINSB_9not_fun_tI7is_trueIyEEESF_NSA_11use_defaultESM_EENS0_5tupleIJSF_S6_EEENSO_IJSG_SG_EEES6_PlJS6_EEE10hipError_tPvRmT3_T4_T5_T6_T7_T9_mT8_P12ihipStream_tbDpT10_ENKUlT_T0_E_clISt17integral_constantIbLb1EES1A_IbLb0EEEEDaS16_S17_EUlS16_E_NS1_11comp_targetILNS1_3genE9ELNS1_11target_archE1100ELNS1_3gpuE3ELNS1_3repE0EEENS1_30default_config_static_selectorELNS0_4arch9wavefront6targetE0EEEvT1_
; %bb.0:
	.section	.rodata,"a",@progbits
	.p2align	6, 0x0
	.amdhsa_kernel _ZN7rocprim17ROCPRIM_400000_NS6detail17trampoline_kernelINS0_14default_configENS1_25partition_config_selectorILNS1_17partition_subalgoE5EyNS0_10empty_typeEbEEZZNS1_14partition_implILS5_5ELb0ES3_mN6thrust23THRUST_200600_302600_NS6detail15normal_iteratorINSA_10device_ptrIyEEEEPS6_NSA_18transform_iteratorINSB_9not_fun_tI7is_trueIyEEESF_NSA_11use_defaultESM_EENS0_5tupleIJSF_S6_EEENSO_IJSG_SG_EEES6_PlJS6_EEE10hipError_tPvRmT3_T4_T5_T6_T7_T9_mT8_P12ihipStream_tbDpT10_ENKUlT_T0_E_clISt17integral_constantIbLb1EES1A_IbLb0EEEEDaS16_S17_EUlS16_E_NS1_11comp_targetILNS1_3genE9ELNS1_11target_archE1100ELNS1_3gpuE3ELNS1_3repE0EEENS1_30default_config_static_selectorELNS0_4arch9wavefront6targetE0EEEvT1_
		.amdhsa_group_segment_fixed_size 0
		.amdhsa_private_segment_fixed_size 0
		.amdhsa_kernarg_size 120
		.amdhsa_user_sgpr_count 2
		.amdhsa_user_sgpr_dispatch_ptr 0
		.amdhsa_user_sgpr_queue_ptr 0
		.amdhsa_user_sgpr_kernarg_segment_ptr 1
		.amdhsa_user_sgpr_dispatch_id 0
		.amdhsa_user_sgpr_private_segment_size 0
		.amdhsa_wavefront_size32 1
		.amdhsa_uses_dynamic_stack 0
		.amdhsa_enable_private_segment 0
		.amdhsa_system_sgpr_workgroup_id_x 1
		.amdhsa_system_sgpr_workgroup_id_y 0
		.amdhsa_system_sgpr_workgroup_id_z 0
		.amdhsa_system_sgpr_workgroup_info 0
		.amdhsa_system_vgpr_workitem_id 0
		.amdhsa_next_free_vgpr 1
		.amdhsa_next_free_sgpr 1
		.amdhsa_reserve_vcc 0
		.amdhsa_float_round_mode_32 0
		.amdhsa_float_round_mode_16_64 0
		.amdhsa_float_denorm_mode_32 3
		.amdhsa_float_denorm_mode_16_64 3
		.amdhsa_fp16_overflow 0
		.amdhsa_workgroup_processor_mode 1
		.amdhsa_memory_ordered 1
		.amdhsa_forward_progress 1
		.amdhsa_inst_pref_size 0
		.amdhsa_round_robin_scheduling 0
		.amdhsa_exception_fp_ieee_invalid_op 0
		.amdhsa_exception_fp_denorm_src 0
		.amdhsa_exception_fp_ieee_div_zero 0
		.amdhsa_exception_fp_ieee_overflow 0
		.amdhsa_exception_fp_ieee_underflow 0
		.amdhsa_exception_fp_ieee_inexact 0
		.amdhsa_exception_int_div_zero 0
	.end_amdhsa_kernel
	.section	.text._ZN7rocprim17ROCPRIM_400000_NS6detail17trampoline_kernelINS0_14default_configENS1_25partition_config_selectorILNS1_17partition_subalgoE5EyNS0_10empty_typeEbEEZZNS1_14partition_implILS5_5ELb0ES3_mN6thrust23THRUST_200600_302600_NS6detail15normal_iteratorINSA_10device_ptrIyEEEEPS6_NSA_18transform_iteratorINSB_9not_fun_tI7is_trueIyEEESF_NSA_11use_defaultESM_EENS0_5tupleIJSF_S6_EEENSO_IJSG_SG_EEES6_PlJS6_EEE10hipError_tPvRmT3_T4_T5_T6_T7_T9_mT8_P12ihipStream_tbDpT10_ENKUlT_T0_E_clISt17integral_constantIbLb1EES1A_IbLb0EEEEDaS16_S17_EUlS16_E_NS1_11comp_targetILNS1_3genE9ELNS1_11target_archE1100ELNS1_3gpuE3ELNS1_3repE0EEENS1_30default_config_static_selectorELNS0_4arch9wavefront6targetE0EEEvT1_,"axG",@progbits,_ZN7rocprim17ROCPRIM_400000_NS6detail17trampoline_kernelINS0_14default_configENS1_25partition_config_selectorILNS1_17partition_subalgoE5EyNS0_10empty_typeEbEEZZNS1_14partition_implILS5_5ELb0ES3_mN6thrust23THRUST_200600_302600_NS6detail15normal_iteratorINSA_10device_ptrIyEEEEPS6_NSA_18transform_iteratorINSB_9not_fun_tI7is_trueIyEEESF_NSA_11use_defaultESM_EENS0_5tupleIJSF_S6_EEENSO_IJSG_SG_EEES6_PlJS6_EEE10hipError_tPvRmT3_T4_T5_T6_T7_T9_mT8_P12ihipStream_tbDpT10_ENKUlT_T0_E_clISt17integral_constantIbLb1EES1A_IbLb0EEEEDaS16_S17_EUlS16_E_NS1_11comp_targetILNS1_3genE9ELNS1_11target_archE1100ELNS1_3gpuE3ELNS1_3repE0EEENS1_30default_config_static_selectorELNS0_4arch9wavefront6targetE0EEEvT1_,comdat
.Lfunc_end1390:
	.size	_ZN7rocprim17ROCPRIM_400000_NS6detail17trampoline_kernelINS0_14default_configENS1_25partition_config_selectorILNS1_17partition_subalgoE5EyNS0_10empty_typeEbEEZZNS1_14partition_implILS5_5ELb0ES3_mN6thrust23THRUST_200600_302600_NS6detail15normal_iteratorINSA_10device_ptrIyEEEEPS6_NSA_18transform_iteratorINSB_9not_fun_tI7is_trueIyEEESF_NSA_11use_defaultESM_EENS0_5tupleIJSF_S6_EEENSO_IJSG_SG_EEES6_PlJS6_EEE10hipError_tPvRmT3_T4_T5_T6_T7_T9_mT8_P12ihipStream_tbDpT10_ENKUlT_T0_E_clISt17integral_constantIbLb1EES1A_IbLb0EEEEDaS16_S17_EUlS16_E_NS1_11comp_targetILNS1_3genE9ELNS1_11target_archE1100ELNS1_3gpuE3ELNS1_3repE0EEENS1_30default_config_static_selectorELNS0_4arch9wavefront6targetE0EEEvT1_, .Lfunc_end1390-_ZN7rocprim17ROCPRIM_400000_NS6detail17trampoline_kernelINS0_14default_configENS1_25partition_config_selectorILNS1_17partition_subalgoE5EyNS0_10empty_typeEbEEZZNS1_14partition_implILS5_5ELb0ES3_mN6thrust23THRUST_200600_302600_NS6detail15normal_iteratorINSA_10device_ptrIyEEEEPS6_NSA_18transform_iteratorINSB_9not_fun_tI7is_trueIyEEESF_NSA_11use_defaultESM_EENS0_5tupleIJSF_S6_EEENSO_IJSG_SG_EEES6_PlJS6_EEE10hipError_tPvRmT3_T4_T5_T6_T7_T9_mT8_P12ihipStream_tbDpT10_ENKUlT_T0_E_clISt17integral_constantIbLb1EES1A_IbLb0EEEEDaS16_S17_EUlS16_E_NS1_11comp_targetILNS1_3genE9ELNS1_11target_archE1100ELNS1_3gpuE3ELNS1_3repE0EEENS1_30default_config_static_selectorELNS0_4arch9wavefront6targetE0EEEvT1_
                                        ; -- End function
	.set _ZN7rocprim17ROCPRIM_400000_NS6detail17trampoline_kernelINS0_14default_configENS1_25partition_config_selectorILNS1_17partition_subalgoE5EyNS0_10empty_typeEbEEZZNS1_14partition_implILS5_5ELb0ES3_mN6thrust23THRUST_200600_302600_NS6detail15normal_iteratorINSA_10device_ptrIyEEEEPS6_NSA_18transform_iteratorINSB_9not_fun_tI7is_trueIyEEESF_NSA_11use_defaultESM_EENS0_5tupleIJSF_S6_EEENSO_IJSG_SG_EEES6_PlJS6_EEE10hipError_tPvRmT3_T4_T5_T6_T7_T9_mT8_P12ihipStream_tbDpT10_ENKUlT_T0_E_clISt17integral_constantIbLb1EES1A_IbLb0EEEEDaS16_S17_EUlS16_E_NS1_11comp_targetILNS1_3genE9ELNS1_11target_archE1100ELNS1_3gpuE3ELNS1_3repE0EEENS1_30default_config_static_selectorELNS0_4arch9wavefront6targetE0EEEvT1_.num_vgpr, 0
	.set _ZN7rocprim17ROCPRIM_400000_NS6detail17trampoline_kernelINS0_14default_configENS1_25partition_config_selectorILNS1_17partition_subalgoE5EyNS0_10empty_typeEbEEZZNS1_14partition_implILS5_5ELb0ES3_mN6thrust23THRUST_200600_302600_NS6detail15normal_iteratorINSA_10device_ptrIyEEEEPS6_NSA_18transform_iteratorINSB_9not_fun_tI7is_trueIyEEESF_NSA_11use_defaultESM_EENS0_5tupleIJSF_S6_EEENSO_IJSG_SG_EEES6_PlJS6_EEE10hipError_tPvRmT3_T4_T5_T6_T7_T9_mT8_P12ihipStream_tbDpT10_ENKUlT_T0_E_clISt17integral_constantIbLb1EES1A_IbLb0EEEEDaS16_S17_EUlS16_E_NS1_11comp_targetILNS1_3genE9ELNS1_11target_archE1100ELNS1_3gpuE3ELNS1_3repE0EEENS1_30default_config_static_selectorELNS0_4arch9wavefront6targetE0EEEvT1_.num_agpr, 0
	.set _ZN7rocprim17ROCPRIM_400000_NS6detail17trampoline_kernelINS0_14default_configENS1_25partition_config_selectorILNS1_17partition_subalgoE5EyNS0_10empty_typeEbEEZZNS1_14partition_implILS5_5ELb0ES3_mN6thrust23THRUST_200600_302600_NS6detail15normal_iteratorINSA_10device_ptrIyEEEEPS6_NSA_18transform_iteratorINSB_9not_fun_tI7is_trueIyEEESF_NSA_11use_defaultESM_EENS0_5tupleIJSF_S6_EEENSO_IJSG_SG_EEES6_PlJS6_EEE10hipError_tPvRmT3_T4_T5_T6_T7_T9_mT8_P12ihipStream_tbDpT10_ENKUlT_T0_E_clISt17integral_constantIbLb1EES1A_IbLb0EEEEDaS16_S17_EUlS16_E_NS1_11comp_targetILNS1_3genE9ELNS1_11target_archE1100ELNS1_3gpuE3ELNS1_3repE0EEENS1_30default_config_static_selectorELNS0_4arch9wavefront6targetE0EEEvT1_.numbered_sgpr, 0
	.set _ZN7rocprim17ROCPRIM_400000_NS6detail17trampoline_kernelINS0_14default_configENS1_25partition_config_selectorILNS1_17partition_subalgoE5EyNS0_10empty_typeEbEEZZNS1_14partition_implILS5_5ELb0ES3_mN6thrust23THRUST_200600_302600_NS6detail15normal_iteratorINSA_10device_ptrIyEEEEPS6_NSA_18transform_iteratorINSB_9not_fun_tI7is_trueIyEEESF_NSA_11use_defaultESM_EENS0_5tupleIJSF_S6_EEENSO_IJSG_SG_EEES6_PlJS6_EEE10hipError_tPvRmT3_T4_T5_T6_T7_T9_mT8_P12ihipStream_tbDpT10_ENKUlT_T0_E_clISt17integral_constantIbLb1EES1A_IbLb0EEEEDaS16_S17_EUlS16_E_NS1_11comp_targetILNS1_3genE9ELNS1_11target_archE1100ELNS1_3gpuE3ELNS1_3repE0EEENS1_30default_config_static_selectorELNS0_4arch9wavefront6targetE0EEEvT1_.num_named_barrier, 0
	.set _ZN7rocprim17ROCPRIM_400000_NS6detail17trampoline_kernelINS0_14default_configENS1_25partition_config_selectorILNS1_17partition_subalgoE5EyNS0_10empty_typeEbEEZZNS1_14partition_implILS5_5ELb0ES3_mN6thrust23THRUST_200600_302600_NS6detail15normal_iteratorINSA_10device_ptrIyEEEEPS6_NSA_18transform_iteratorINSB_9not_fun_tI7is_trueIyEEESF_NSA_11use_defaultESM_EENS0_5tupleIJSF_S6_EEENSO_IJSG_SG_EEES6_PlJS6_EEE10hipError_tPvRmT3_T4_T5_T6_T7_T9_mT8_P12ihipStream_tbDpT10_ENKUlT_T0_E_clISt17integral_constantIbLb1EES1A_IbLb0EEEEDaS16_S17_EUlS16_E_NS1_11comp_targetILNS1_3genE9ELNS1_11target_archE1100ELNS1_3gpuE3ELNS1_3repE0EEENS1_30default_config_static_selectorELNS0_4arch9wavefront6targetE0EEEvT1_.private_seg_size, 0
	.set _ZN7rocprim17ROCPRIM_400000_NS6detail17trampoline_kernelINS0_14default_configENS1_25partition_config_selectorILNS1_17partition_subalgoE5EyNS0_10empty_typeEbEEZZNS1_14partition_implILS5_5ELb0ES3_mN6thrust23THRUST_200600_302600_NS6detail15normal_iteratorINSA_10device_ptrIyEEEEPS6_NSA_18transform_iteratorINSB_9not_fun_tI7is_trueIyEEESF_NSA_11use_defaultESM_EENS0_5tupleIJSF_S6_EEENSO_IJSG_SG_EEES6_PlJS6_EEE10hipError_tPvRmT3_T4_T5_T6_T7_T9_mT8_P12ihipStream_tbDpT10_ENKUlT_T0_E_clISt17integral_constantIbLb1EES1A_IbLb0EEEEDaS16_S17_EUlS16_E_NS1_11comp_targetILNS1_3genE9ELNS1_11target_archE1100ELNS1_3gpuE3ELNS1_3repE0EEENS1_30default_config_static_selectorELNS0_4arch9wavefront6targetE0EEEvT1_.uses_vcc, 0
	.set _ZN7rocprim17ROCPRIM_400000_NS6detail17trampoline_kernelINS0_14default_configENS1_25partition_config_selectorILNS1_17partition_subalgoE5EyNS0_10empty_typeEbEEZZNS1_14partition_implILS5_5ELb0ES3_mN6thrust23THRUST_200600_302600_NS6detail15normal_iteratorINSA_10device_ptrIyEEEEPS6_NSA_18transform_iteratorINSB_9not_fun_tI7is_trueIyEEESF_NSA_11use_defaultESM_EENS0_5tupleIJSF_S6_EEENSO_IJSG_SG_EEES6_PlJS6_EEE10hipError_tPvRmT3_T4_T5_T6_T7_T9_mT8_P12ihipStream_tbDpT10_ENKUlT_T0_E_clISt17integral_constantIbLb1EES1A_IbLb0EEEEDaS16_S17_EUlS16_E_NS1_11comp_targetILNS1_3genE9ELNS1_11target_archE1100ELNS1_3gpuE3ELNS1_3repE0EEENS1_30default_config_static_selectorELNS0_4arch9wavefront6targetE0EEEvT1_.uses_flat_scratch, 0
	.set _ZN7rocprim17ROCPRIM_400000_NS6detail17trampoline_kernelINS0_14default_configENS1_25partition_config_selectorILNS1_17partition_subalgoE5EyNS0_10empty_typeEbEEZZNS1_14partition_implILS5_5ELb0ES3_mN6thrust23THRUST_200600_302600_NS6detail15normal_iteratorINSA_10device_ptrIyEEEEPS6_NSA_18transform_iteratorINSB_9not_fun_tI7is_trueIyEEESF_NSA_11use_defaultESM_EENS0_5tupleIJSF_S6_EEENSO_IJSG_SG_EEES6_PlJS6_EEE10hipError_tPvRmT3_T4_T5_T6_T7_T9_mT8_P12ihipStream_tbDpT10_ENKUlT_T0_E_clISt17integral_constantIbLb1EES1A_IbLb0EEEEDaS16_S17_EUlS16_E_NS1_11comp_targetILNS1_3genE9ELNS1_11target_archE1100ELNS1_3gpuE3ELNS1_3repE0EEENS1_30default_config_static_selectorELNS0_4arch9wavefront6targetE0EEEvT1_.has_dyn_sized_stack, 0
	.set _ZN7rocprim17ROCPRIM_400000_NS6detail17trampoline_kernelINS0_14default_configENS1_25partition_config_selectorILNS1_17partition_subalgoE5EyNS0_10empty_typeEbEEZZNS1_14partition_implILS5_5ELb0ES3_mN6thrust23THRUST_200600_302600_NS6detail15normal_iteratorINSA_10device_ptrIyEEEEPS6_NSA_18transform_iteratorINSB_9not_fun_tI7is_trueIyEEESF_NSA_11use_defaultESM_EENS0_5tupleIJSF_S6_EEENSO_IJSG_SG_EEES6_PlJS6_EEE10hipError_tPvRmT3_T4_T5_T6_T7_T9_mT8_P12ihipStream_tbDpT10_ENKUlT_T0_E_clISt17integral_constantIbLb1EES1A_IbLb0EEEEDaS16_S17_EUlS16_E_NS1_11comp_targetILNS1_3genE9ELNS1_11target_archE1100ELNS1_3gpuE3ELNS1_3repE0EEENS1_30default_config_static_selectorELNS0_4arch9wavefront6targetE0EEEvT1_.has_recursion, 0
	.set _ZN7rocprim17ROCPRIM_400000_NS6detail17trampoline_kernelINS0_14default_configENS1_25partition_config_selectorILNS1_17partition_subalgoE5EyNS0_10empty_typeEbEEZZNS1_14partition_implILS5_5ELb0ES3_mN6thrust23THRUST_200600_302600_NS6detail15normal_iteratorINSA_10device_ptrIyEEEEPS6_NSA_18transform_iteratorINSB_9not_fun_tI7is_trueIyEEESF_NSA_11use_defaultESM_EENS0_5tupleIJSF_S6_EEENSO_IJSG_SG_EEES6_PlJS6_EEE10hipError_tPvRmT3_T4_T5_T6_T7_T9_mT8_P12ihipStream_tbDpT10_ENKUlT_T0_E_clISt17integral_constantIbLb1EES1A_IbLb0EEEEDaS16_S17_EUlS16_E_NS1_11comp_targetILNS1_3genE9ELNS1_11target_archE1100ELNS1_3gpuE3ELNS1_3repE0EEENS1_30default_config_static_selectorELNS0_4arch9wavefront6targetE0EEEvT1_.has_indirect_call, 0
	.section	.AMDGPU.csdata,"",@progbits
; Kernel info:
; codeLenInByte = 0
; TotalNumSgprs: 0
; NumVgprs: 0
; ScratchSize: 0
; MemoryBound: 0
; FloatMode: 240
; IeeeMode: 1
; LDSByteSize: 0 bytes/workgroup (compile time only)
; SGPRBlocks: 0
; VGPRBlocks: 0
; NumSGPRsForWavesPerEU: 1
; NumVGPRsForWavesPerEU: 1
; Occupancy: 16
; WaveLimiterHint : 0
; COMPUTE_PGM_RSRC2:SCRATCH_EN: 0
; COMPUTE_PGM_RSRC2:USER_SGPR: 2
; COMPUTE_PGM_RSRC2:TRAP_HANDLER: 0
; COMPUTE_PGM_RSRC2:TGID_X_EN: 1
; COMPUTE_PGM_RSRC2:TGID_Y_EN: 0
; COMPUTE_PGM_RSRC2:TGID_Z_EN: 0
; COMPUTE_PGM_RSRC2:TIDIG_COMP_CNT: 0
	.section	.text._ZN7rocprim17ROCPRIM_400000_NS6detail17trampoline_kernelINS0_14default_configENS1_25partition_config_selectorILNS1_17partition_subalgoE5EyNS0_10empty_typeEbEEZZNS1_14partition_implILS5_5ELb0ES3_mN6thrust23THRUST_200600_302600_NS6detail15normal_iteratorINSA_10device_ptrIyEEEEPS6_NSA_18transform_iteratorINSB_9not_fun_tI7is_trueIyEEESF_NSA_11use_defaultESM_EENS0_5tupleIJSF_S6_EEENSO_IJSG_SG_EEES6_PlJS6_EEE10hipError_tPvRmT3_T4_T5_T6_T7_T9_mT8_P12ihipStream_tbDpT10_ENKUlT_T0_E_clISt17integral_constantIbLb1EES1A_IbLb0EEEEDaS16_S17_EUlS16_E_NS1_11comp_targetILNS1_3genE8ELNS1_11target_archE1030ELNS1_3gpuE2ELNS1_3repE0EEENS1_30default_config_static_selectorELNS0_4arch9wavefront6targetE0EEEvT1_,"axG",@progbits,_ZN7rocprim17ROCPRIM_400000_NS6detail17trampoline_kernelINS0_14default_configENS1_25partition_config_selectorILNS1_17partition_subalgoE5EyNS0_10empty_typeEbEEZZNS1_14partition_implILS5_5ELb0ES3_mN6thrust23THRUST_200600_302600_NS6detail15normal_iteratorINSA_10device_ptrIyEEEEPS6_NSA_18transform_iteratorINSB_9not_fun_tI7is_trueIyEEESF_NSA_11use_defaultESM_EENS0_5tupleIJSF_S6_EEENSO_IJSG_SG_EEES6_PlJS6_EEE10hipError_tPvRmT3_T4_T5_T6_T7_T9_mT8_P12ihipStream_tbDpT10_ENKUlT_T0_E_clISt17integral_constantIbLb1EES1A_IbLb0EEEEDaS16_S17_EUlS16_E_NS1_11comp_targetILNS1_3genE8ELNS1_11target_archE1030ELNS1_3gpuE2ELNS1_3repE0EEENS1_30default_config_static_selectorELNS0_4arch9wavefront6targetE0EEEvT1_,comdat
	.protected	_ZN7rocprim17ROCPRIM_400000_NS6detail17trampoline_kernelINS0_14default_configENS1_25partition_config_selectorILNS1_17partition_subalgoE5EyNS0_10empty_typeEbEEZZNS1_14partition_implILS5_5ELb0ES3_mN6thrust23THRUST_200600_302600_NS6detail15normal_iteratorINSA_10device_ptrIyEEEEPS6_NSA_18transform_iteratorINSB_9not_fun_tI7is_trueIyEEESF_NSA_11use_defaultESM_EENS0_5tupleIJSF_S6_EEENSO_IJSG_SG_EEES6_PlJS6_EEE10hipError_tPvRmT3_T4_T5_T6_T7_T9_mT8_P12ihipStream_tbDpT10_ENKUlT_T0_E_clISt17integral_constantIbLb1EES1A_IbLb0EEEEDaS16_S17_EUlS16_E_NS1_11comp_targetILNS1_3genE8ELNS1_11target_archE1030ELNS1_3gpuE2ELNS1_3repE0EEENS1_30default_config_static_selectorELNS0_4arch9wavefront6targetE0EEEvT1_ ; -- Begin function _ZN7rocprim17ROCPRIM_400000_NS6detail17trampoline_kernelINS0_14default_configENS1_25partition_config_selectorILNS1_17partition_subalgoE5EyNS0_10empty_typeEbEEZZNS1_14partition_implILS5_5ELb0ES3_mN6thrust23THRUST_200600_302600_NS6detail15normal_iteratorINSA_10device_ptrIyEEEEPS6_NSA_18transform_iteratorINSB_9not_fun_tI7is_trueIyEEESF_NSA_11use_defaultESM_EENS0_5tupleIJSF_S6_EEENSO_IJSG_SG_EEES6_PlJS6_EEE10hipError_tPvRmT3_T4_T5_T6_T7_T9_mT8_P12ihipStream_tbDpT10_ENKUlT_T0_E_clISt17integral_constantIbLb1EES1A_IbLb0EEEEDaS16_S17_EUlS16_E_NS1_11comp_targetILNS1_3genE8ELNS1_11target_archE1030ELNS1_3gpuE2ELNS1_3repE0EEENS1_30default_config_static_selectorELNS0_4arch9wavefront6targetE0EEEvT1_
	.globl	_ZN7rocprim17ROCPRIM_400000_NS6detail17trampoline_kernelINS0_14default_configENS1_25partition_config_selectorILNS1_17partition_subalgoE5EyNS0_10empty_typeEbEEZZNS1_14partition_implILS5_5ELb0ES3_mN6thrust23THRUST_200600_302600_NS6detail15normal_iteratorINSA_10device_ptrIyEEEEPS6_NSA_18transform_iteratorINSB_9not_fun_tI7is_trueIyEEESF_NSA_11use_defaultESM_EENS0_5tupleIJSF_S6_EEENSO_IJSG_SG_EEES6_PlJS6_EEE10hipError_tPvRmT3_T4_T5_T6_T7_T9_mT8_P12ihipStream_tbDpT10_ENKUlT_T0_E_clISt17integral_constantIbLb1EES1A_IbLb0EEEEDaS16_S17_EUlS16_E_NS1_11comp_targetILNS1_3genE8ELNS1_11target_archE1030ELNS1_3gpuE2ELNS1_3repE0EEENS1_30default_config_static_selectorELNS0_4arch9wavefront6targetE0EEEvT1_
	.p2align	8
	.type	_ZN7rocprim17ROCPRIM_400000_NS6detail17trampoline_kernelINS0_14default_configENS1_25partition_config_selectorILNS1_17partition_subalgoE5EyNS0_10empty_typeEbEEZZNS1_14partition_implILS5_5ELb0ES3_mN6thrust23THRUST_200600_302600_NS6detail15normal_iteratorINSA_10device_ptrIyEEEEPS6_NSA_18transform_iteratorINSB_9not_fun_tI7is_trueIyEEESF_NSA_11use_defaultESM_EENS0_5tupleIJSF_S6_EEENSO_IJSG_SG_EEES6_PlJS6_EEE10hipError_tPvRmT3_T4_T5_T6_T7_T9_mT8_P12ihipStream_tbDpT10_ENKUlT_T0_E_clISt17integral_constantIbLb1EES1A_IbLb0EEEEDaS16_S17_EUlS16_E_NS1_11comp_targetILNS1_3genE8ELNS1_11target_archE1030ELNS1_3gpuE2ELNS1_3repE0EEENS1_30default_config_static_selectorELNS0_4arch9wavefront6targetE0EEEvT1_,@function
_ZN7rocprim17ROCPRIM_400000_NS6detail17trampoline_kernelINS0_14default_configENS1_25partition_config_selectorILNS1_17partition_subalgoE5EyNS0_10empty_typeEbEEZZNS1_14partition_implILS5_5ELb0ES3_mN6thrust23THRUST_200600_302600_NS6detail15normal_iteratorINSA_10device_ptrIyEEEEPS6_NSA_18transform_iteratorINSB_9not_fun_tI7is_trueIyEEESF_NSA_11use_defaultESM_EENS0_5tupleIJSF_S6_EEENSO_IJSG_SG_EEES6_PlJS6_EEE10hipError_tPvRmT3_T4_T5_T6_T7_T9_mT8_P12ihipStream_tbDpT10_ENKUlT_T0_E_clISt17integral_constantIbLb1EES1A_IbLb0EEEEDaS16_S17_EUlS16_E_NS1_11comp_targetILNS1_3genE8ELNS1_11target_archE1030ELNS1_3gpuE2ELNS1_3repE0EEENS1_30default_config_static_selectorELNS0_4arch9wavefront6targetE0EEEvT1_: ; @_ZN7rocprim17ROCPRIM_400000_NS6detail17trampoline_kernelINS0_14default_configENS1_25partition_config_selectorILNS1_17partition_subalgoE5EyNS0_10empty_typeEbEEZZNS1_14partition_implILS5_5ELb0ES3_mN6thrust23THRUST_200600_302600_NS6detail15normal_iteratorINSA_10device_ptrIyEEEEPS6_NSA_18transform_iteratorINSB_9not_fun_tI7is_trueIyEEESF_NSA_11use_defaultESM_EENS0_5tupleIJSF_S6_EEENSO_IJSG_SG_EEES6_PlJS6_EEE10hipError_tPvRmT3_T4_T5_T6_T7_T9_mT8_P12ihipStream_tbDpT10_ENKUlT_T0_E_clISt17integral_constantIbLb1EES1A_IbLb0EEEEDaS16_S17_EUlS16_E_NS1_11comp_targetILNS1_3genE8ELNS1_11target_archE1030ELNS1_3gpuE2ELNS1_3repE0EEENS1_30default_config_static_selectorELNS0_4arch9wavefront6targetE0EEEvT1_
; %bb.0:
	.section	.rodata,"a",@progbits
	.p2align	6, 0x0
	.amdhsa_kernel _ZN7rocprim17ROCPRIM_400000_NS6detail17trampoline_kernelINS0_14default_configENS1_25partition_config_selectorILNS1_17partition_subalgoE5EyNS0_10empty_typeEbEEZZNS1_14partition_implILS5_5ELb0ES3_mN6thrust23THRUST_200600_302600_NS6detail15normal_iteratorINSA_10device_ptrIyEEEEPS6_NSA_18transform_iteratorINSB_9not_fun_tI7is_trueIyEEESF_NSA_11use_defaultESM_EENS0_5tupleIJSF_S6_EEENSO_IJSG_SG_EEES6_PlJS6_EEE10hipError_tPvRmT3_T4_T5_T6_T7_T9_mT8_P12ihipStream_tbDpT10_ENKUlT_T0_E_clISt17integral_constantIbLb1EES1A_IbLb0EEEEDaS16_S17_EUlS16_E_NS1_11comp_targetILNS1_3genE8ELNS1_11target_archE1030ELNS1_3gpuE2ELNS1_3repE0EEENS1_30default_config_static_selectorELNS0_4arch9wavefront6targetE0EEEvT1_
		.amdhsa_group_segment_fixed_size 0
		.amdhsa_private_segment_fixed_size 0
		.amdhsa_kernarg_size 120
		.amdhsa_user_sgpr_count 2
		.amdhsa_user_sgpr_dispatch_ptr 0
		.amdhsa_user_sgpr_queue_ptr 0
		.amdhsa_user_sgpr_kernarg_segment_ptr 1
		.amdhsa_user_sgpr_dispatch_id 0
		.amdhsa_user_sgpr_private_segment_size 0
		.amdhsa_wavefront_size32 1
		.amdhsa_uses_dynamic_stack 0
		.amdhsa_enable_private_segment 0
		.amdhsa_system_sgpr_workgroup_id_x 1
		.amdhsa_system_sgpr_workgroup_id_y 0
		.amdhsa_system_sgpr_workgroup_id_z 0
		.amdhsa_system_sgpr_workgroup_info 0
		.amdhsa_system_vgpr_workitem_id 0
		.amdhsa_next_free_vgpr 1
		.amdhsa_next_free_sgpr 1
		.amdhsa_reserve_vcc 0
		.amdhsa_float_round_mode_32 0
		.amdhsa_float_round_mode_16_64 0
		.amdhsa_float_denorm_mode_32 3
		.amdhsa_float_denorm_mode_16_64 3
		.amdhsa_fp16_overflow 0
		.amdhsa_workgroup_processor_mode 1
		.amdhsa_memory_ordered 1
		.amdhsa_forward_progress 1
		.amdhsa_inst_pref_size 0
		.amdhsa_round_robin_scheduling 0
		.amdhsa_exception_fp_ieee_invalid_op 0
		.amdhsa_exception_fp_denorm_src 0
		.amdhsa_exception_fp_ieee_div_zero 0
		.amdhsa_exception_fp_ieee_overflow 0
		.amdhsa_exception_fp_ieee_underflow 0
		.amdhsa_exception_fp_ieee_inexact 0
		.amdhsa_exception_int_div_zero 0
	.end_amdhsa_kernel
	.section	.text._ZN7rocprim17ROCPRIM_400000_NS6detail17trampoline_kernelINS0_14default_configENS1_25partition_config_selectorILNS1_17partition_subalgoE5EyNS0_10empty_typeEbEEZZNS1_14partition_implILS5_5ELb0ES3_mN6thrust23THRUST_200600_302600_NS6detail15normal_iteratorINSA_10device_ptrIyEEEEPS6_NSA_18transform_iteratorINSB_9not_fun_tI7is_trueIyEEESF_NSA_11use_defaultESM_EENS0_5tupleIJSF_S6_EEENSO_IJSG_SG_EEES6_PlJS6_EEE10hipError_tPvRmT3_T4_T5_T6_T7_T9_mT8_P12ihipStream_tbDpT10_ENKUlT_T0_E_clISt17integral_constantIbLb1EES1A_IbLb0EEEEDaS16_S17_EUlS16_E_NS1_11comp_targetILNS1_3genE8ELNS1_11target_archE1030ELNS1_3gpuE2ELNS1_3repE0EEENS1_30default_config_static_selectorELNS0_4arch9wavefront6targetE0EEEvT1_,"axG",@progbits,_ZN7rocprim17ROCPRIM_400000_NS6detail17trampoline_kernelINS0_14default_configENS1_25partition_config_selectorILNS1_17partition_subalgoE5EyNS0_10empty_typeEbEEZZNS1_14partition_implILS5_5ELb0ES3_mN6thrust23THRUST_200600_302600_NS6detail15normal_iteratorINSA_10device_ptrIyEEEEPS6_NSA_18transform_iteratorINSB_9not_fun_tI7is_trueIyEEESF_NSA_11use_defaultESM_EENS0_5tupleIJSF_S6_EEENSO_IJSG_SG_EEES6_PlJS6_EEE10hipError_tPvRmT3_T4_T5_T6_T7_T9_mT8_P12ihipStream_tbDpT10_ENKUlT_T0_E_clISt17integral_constantIbLb1EES1A_IbLb0EEEEDaS16_S17_EUlS16_E_NS1_11comp_targetILNS1_3genE8ELNS1_11target_archE1030ELNS1_3gpuE2ELNS1_3repE0EEENS1_30default_config_static_selectorELNS0_4arch9wavefront6targetE0EEEvT1_,comdat
.Lfunc_end1391:
	.size	_ZN7rocprim17ROCPRIM_400000_NS6detail17trampoline_kernelINS0_14default_configENS1_25partition_config_selectorILNS1_17partition_subalgoE5EyNS0_10empty_typeEbEEZZNS1_14partition_implILS5_5ELb0ES3_mN6thrust23THRUST_200600_302600_NS6detail15normal_iteratorINSA_10device_ptrIyEEEEPS6_NSA_18transform_iteratorINSB_9not_fun_tI7is_trueIyEEESF_NSA_11use_defaultESM_EENS0_5tupleIJSF_S6_EEENSO_IJSG_SG_EEES6_PlJS6_EEE10hipError_tPvRmT3_T4_T5_T6_T7_T9_mT8_P12ihipStream_tbDpT10_ENKUlT_T0_E_clISt17integral_constantIbLb1EES1A_IbLb0EEEEDaS16_S17_EUlS16_E_NS1_11comp_targetILNS1_3genE8ELNS1_11target_archE1030ELNS1_3gpuE2ELNS1_3repE0EEENS1_30default_config_static_selectorELNS0_4arch9wavefront6targetE0EEEvT1_, .Lfunc_end1391-_ZN7rocprim17ROCPRIM_400000_NS6detail17trampoline_kernelINS0_14default_configENS1_25partition_config_selectorILNS1_17partition_subalgoE5EyNS0_10empty_typeEbEEZZNS1_14partition_implILS5_5ELb0ES3_mN6thrust23THRUST_200600_302600_NS6detail15normal_iteratorINSA_10device_ptrIyEEEEPS6_NSA_18transform_iteratorINSB_9not_fun_tI7is_trueIyEEESF_NSA_11use_defaultESM_EENS0_5tupleIJSF_S6_EEENSO_IJSG_SG_EEES6_PlJS6_EEE10hipError_tPvRmT3_T4_T5_T6_T7_T9_mT8_P12ihipStream_tbDpT10_ENKUlT_T0_E_clISt17integral_constantIbLb1EES1A_IbLb0EEEEDaS16_S17_EUlS16_E_NS1_11comp_targetILNS1_3genE8ELNS1_11target_archE1030ELNS1_3gpuE2ELNS1_3repE0EEENS1_30default_config_static_selectorELNS0_4arch9wavefront6targetE0EEEvT1_
                                        ; -- End function
	.set _ZN7rocprim17ROCPRIM_400000_NS6detail17trampoline_kernelINS0_14default_configENS1_25partition_config_selectorILNS1_17partition_subalgoE5EyNS0_10empty_typeEbEEZZNS1_14partition_implILS5_5ELb0ES3_mN6thrust23THRUST_200600_302600_NS6detail15normal_iteratorINSA_10device_ptrIyEEEEPS6_NSA_18transform_iteratorINSB_9not_fun_tI7is_trueIyEEESF_NSA_11use_defaultESM_EENS0_5tupleIJSF_S6_EEENSO_IJSG_SG_EEES6_PlJS6_EEE10hipError_tPvRmT3_T4_T5_T6_T7_T9_mT8_P12ihipStream_tbDpT10_ENKUlT_T0_E_clISt17integral_constantIbLb1EES1A_IbLb0EEEEDaS16_S17_EUlS16_E_NS1_11comp_targetILNS1_3genE8ELNS1_11target_archE1030ELNS1_3gpuE2ELNS1_3repE0EEENS1_30default_config_static_selectorELNS0_4arch9wavefront6targetE0EEEvT1_.num_vgpr, 0
	.set _ZN7rocprim17ROCPRIM_400000_NS6detail17trampoline_kernelINS0_14default_configENS1_25partition_config_selectorILNS1_17partition_subalgoE5EyNS0_10empty_typeEbEEZZNS1_14partition_implILS5_5ELb0ES3_mN6thrust23THRUST_200600_302600_NS6detail15normal_iteratorINSA_10device_ptrIyEEEEPS6_NSA_18transform_iteratorINSB_9not_fun_tI7is_trueIyEEESF_NSA_11use_defaultESM_EENS0_5tupleIJSF_S6_EEENSO_IJSG_SG_EEES6_PlJS6_EEE10hipError_tPvRmT3_T4_T5_T6_T7_T9_mT8_P12ihipStream_tbDpT10_ENKUlT_T0_E_clISt17integral_constantIbLb1EES1A_IbLb0EEEEDaS16_S17_EUlS16_E_NS1_11comp_targetILNS1_3genE8ELNS1_11target_archE1030ELNS1_3gpuE2ELNS1_3repE0EEENS1_30default_config_static_selectorELNS0_4arch9wavefront6targetE0EEEvT1_.num_agpr, 0
	.set _ZN7rocprim17ROCPRIM_400000_NS6detail17trampoline_kernelINS0_14default_configENS1_25partition_config_selectorILNS1_17partition_subalgoE5EyNS0_10empty_typeEbEEZZNS1_14partition_implILS5_5ELb0ES3_mN6thrust23THRUST_200600_302600_NS6detail15normal_iteratorINSA_10device_ptrIyEEEEPS6_NSA_18transform_iteratorINSB_9not_fun_tI7is_trueIyEEESF_NSA_11use_defaultESM_EENS0_5tupleIJSF_S6_EEENSO_IJSG_SG_EEES6_PlJS6_EEE10hipError_tPvRmT3_T4_T5_T6_T7_T9_mT8_P12ihipStream_tbDpT10_ENKUlT_T0_E_clISt17integral_constantIbLb1EES1A_IbLb0EEEEDaS16_S17_EUlS16_E_NS1_11comp_targetILNS1_3genE8ELNS1_11target_archE1030ELNS1_3gpuE2ELNS1_3repE0EEENS1_30default_config_static_selectorELNS0_4arch9wavefront6targetE0EEEvT1_.numbered_sgpr, 0
	.set _ZN7rocprim17ROCPRIM_400000_NS6detail17trampoline_kernelINS0_14default_configENS1_25partition_config_selectorILNS1_17partition_subalgoE5EyNS0_10empty_typeEbEEZZNS1_14partition_implILS5_5ELb0ES3_mN6thrust23THRUST_200600_302600_NS6detail15normal_iteratorINSA_10device_ptrIyEEEEPS6_NSA_18transform_iteratorINSB_9not_fun_tI7is_trueIyEEESF_NSA_11use_defaultESM_EENS0_5tupleIJSF_S6_EEENSO_IJSG_SG_EEES6_PlJS6_EEE10hipError_tPvRmT3_T4_T5_T6_T7_T9_mT8_P12ihipStream_tbDpT10_ENKUlT_T0_E_clISt17integral_constantIbLb1EES1A_IbLb0EEEEDaS16_S17_EUlS16_E_NS1_11comp_targetILNS1_3genE8ELNS1_11target_archE1030ELNS1_3gpuE2ELNS1_3repE0EEENS1_30default_config_static_selectorELNS0_4arch9wavefront6targetE0EEEvT1_.num_named_barrier, 0
	.set _ZN7rocprim17ROCPRIM_400000_NS6detail17trampoline_kernelINS0_14default_configENS1_25partition_config_selectorILNS1_17partition_subalgoE5EyNS0_10empty_typeEbEEZZNS1_14partition_implILS5_5ELb0ES3_mN6thrust23THRUST_200600_302600_NS6detail15normal_iteratorINSA_10device_ptrIyEEEEPS6_NSA_18transform_iteratorINSB_9not_fun_tI7is_trueIyEEESF_NSA_11use_defaultESM_EENS0_5tupleIJSF_S6_EEENSO_IJSG_SG_EEES6_PlJS6_EEE10hipError_tPvRmT3_T4_T5_T6_T7_T9_mT8_P12ihipStream_tbDpT10_ENKUlT_T0_E_clISt17integral_constantIbLb1EES1A_IbLb0EEEEDaS16_S17_EUlS16_E_NS1_11comp_targetILNS1_3genE8ELNS1_11target_archE1030ELNS1_3gpuE2ELNS1_3repE0EEENS1_30default_config_static_selectorELNS0_4arch9wavefront6targetE0EEEvT1_.private_seg_size, 0
	.set _ZN7rocprim17ROCPRIM_400000_NS6detail17trampoline_kernelINS0_14default_configENS1_25partition_config_selectorILNS1_17partition_subalgoE5EyNS0_10empty_typeEbEEZZNS1_14partition_implILS5_5ELb0ES3_mN6thrust23THRUST_200600_302600_NS6detail15normal_iteratorINSA_10device_ptrIyEEEEPS6_NSA_18transform_iteratorINSB_9not_fun_tI7is_trueIyEEESF_NSA_11use_defaultESM_EENS0_5tupleIJSF_S6_EEENSO_IJSG_SG_EEES6_PlJS6_EEE10hipError_tPvRmT3_T4_T5_T6_T7_T9_mT8_P12ihipStream_tbDpT10_ENKUlT_T0_E_clISt17integral_constantIbLb1EES1A_IbLb0EEEEDaS16_S17_EUlS16_E_NS1_11comp_targetILNS1_3genE8ELNS1_11target_archE1030ELNS1_3gpuE2ELNS1_3repE0EEENS1_30default_config_static_selectorELNS0_4arch9wavefront6targetE0EEEvT1_.uses_vcc, 0
	.set _ZN7rocprim17ROCPRIM_400000_NS6detail17trampoline_kernelINS0_14default_configENS1_25partition_config_selectorILNS1_17partition_subalgoE5EyNS0_10empty_typeEbEEZZNS1_14partition_implILS5_5ELb0ES3_mN6thrust23THRUST_200600_302600_NS6detail15normal_iteratorINSA_10device_ptrIyEEEEPS6_NSA_18transform_iteratorINSB_9not_fun_tI7is_trueIyEEESF_NSA_11use_defaultESM_EENS0_5tupleIJSF_S6_EEENSO_IJSG_SG_EEES6_PlJS6_EEE10hipError_tPvRmT3_T4_T5_T6_T7_T9_mT8_P12ihipStream_tbDpT10_ENKUlT_T0_E_clISt17integral_constantIbLb1EES1A_IbLb0EEEEDaS16_S17_EUlS16_E_NS1_11comp_targetILNS1_3genE8ELNS1_11target_archE1030ELNS1_3gpuE2ELNS1_3repE0EEENS1_30default_config_static_selectorELNS0_4arch9wavefront6targetE0EEEvT1_.uses_flat_scratch, 0
	.set _ZN7rocprim17ROCPRIM_400000_NS6detail17trampoline_kernelINS0_14default_configENS1_25partition_config_selectorILNS1_17partition_subalgoE5EyNS0_10empty_typeEbEEZZNS1_14partition_implILS5_5ELb0ES3_mN6thrust23THRUST_200600_302600_NS6detail15normal_iteratorINSA_10device_ptrIyEEEEPS6_NSA_18transform_iteratorINSB_9not_fun_tI7is_trueIyEEESF_NSA_11use_defaultESM_EENS0_5tupleIJSF_S6_EEENSO_IJSG_SG_EEES6_PlJS6_EEE10hipError_tPvRmT3_T4_T5_T6_T7_T9_mT8_P12ihipStream_tbDpT10_ENKUlT_T0_E_clISt17integral_constantIbLb1EES1A_IbLb0EEEEDaS16_S17_EUlS16_E_NS1_11comp_targetILNS1_3genE8ELNS1_11target_archE1030ELNS1_3gpuE2ELNS1_3repE0EEENS1_30default_config_static_selectorELNS0_4arch9wavefront6targetE0EEEvT1_.has_dyn_sized_stack, 0
	.set _ZN7rocprim17ROCPRIM_400000_NS6detail17trampoline_kernelINS0_14default_configENS1_25partition_config_selectorILNS1_17partition_subalgoE5EyNS0_10empty_typeEbEEZZNS1_14partition_implILS5_5ELb0ES3_mN6thrust23THRUST_200600_302600_NS6detail15normal_iteratorINSA_10device_ptrIyEEEEPS6_NSA_18transform_iteratorINSB_9not_fun_tI7is_trueIyEEESF_NSA_11use_defaultESM_EENS0_5tupleIJSF_S6_EEENSO_IJSG_SG_EEES6_PlJS6_EEE10hipError_tPvRmT3_T4_T5_T6_T7_T9_mT8_P12ihipStream_tbDpT10_ENKUlT_T0_E_clISt17integral_constantIbLb1EES1A_IbLb0EEEEDaS16_S17_EUlS16_E_NS1_11comp_targetILNS1_3genE8ELNS1_11target_archE1030ELNS1_3gpuE2ELNS1_3repE0EEENS1_30default_config_static_selectorELNS0_4arch9wavefront6targetE0EEEvT1_.has_recursion, 0
	.set _ZN7rocprim17ROCPRIM_400000_NS6detail17trampoline_kernelINS0_14default_configENS1_25partition_config_selectorILNS1_17partition_subalgoE5EyNS0_10empty_typeEbEEZZNS1_14partition_implILS5_5ELb0ES3_mN6thrust23THRUST_200600_302600_NS6detail15normal_iteratorINSA_10device_ptrIyEEEEPS6_NSA_18transform_iteratorINSB_9not_fun_tI7is_trueIyEEESF_NSA_11use_defaultESM_EENS0_5tupleIJSF_S6_EEENSO_IJSG_SG_EEES6_PlJS6_EEE10hipError_tPvRmT3_T4_T5_T6_T7_T9_mT8_P12ihipStream_tbDpT10_ENKUlT_T0_E_clISt17integral_constantIbLb1EES1A_IbLb0EEEEDaS16_S17_EUlS16_E_NS1_11comp_targetILNS1_3genE8ELNS1_11target_archE1030ELNS1_3gpuE2ELNS1_3repE0EEENS1_30default_config_static_selectorELNS0_4arch9wavefront6targetE0EEEvT1_.has_indirect_call, 0
	.section	.AMDGPU.csdata,"",@progbits
; Kernel info:
; codeLenInByte = 0
; TotalNumSgprs: 0
; NumVgprs: 0
; ScratchSize: 0
; MemoryBound: 0
; FloatMode: 240
; IeeeMode: 1
; LDSByteSize: 0 bytes/workgroup (compile time only)
; SGPRBlocks: 0
; VGPRBlocks: 0
; NumSGPRsForWavesPerEU: 1
; NumVGPRsForWavesPerEU: 1
; Occupancy: 16
; WaveLimiterHint : 0
; COMPUTE_PGM_RSRC2:SCRATCH_EN: 0
; COMPUTE_PGM_RSRC2:USER_SGPR: 2
; COMPUTE_PGM_RSRC2:TRAP_HANDLER: 0
; COMPUTE_PGM_RSRC2:TGID_X_EN: 1
; COMPUTE_PGM_RSRC2:TGID_Y_EN: 0
; COMPUTE_PGM_RSRC2:TGID_Z_EN: 0
; COMPUTE_PGM_RSRC2:TIDIG_COMP_CNT: 0
	.section	.text._ZN7rocprim17ROCPRIM_400000_NS6detail17trampoline_kernelINS0_14default_configENS1_25partition_config_selectorILNS1_17partition_subalgoE5EyNS0_10empty_typeEbEEZZNS1_14partition_implILS5_5ELb0ES3_mN6thrust23THRUST_200600_302600_NS6detail15normal_iteratorINSA_10device_ptrIyEEEEPS6_NSA_18transform_iteratorINSB_9not_fun_tI7is_trueIyEEESF_NSA_11use_defaultESM_EENS0_5tupleIJSF_S6_EEENSO_IJSG_SG_EEES6_PlJS6_EEE10hipError_tPvRmT3_T4_T5_T6_T7_T9_mT8_P12ihipStream_tbDpT10_ENKUlT_T0_E_clISt17integral_constantIbLb0EES1A_IbLb1EEEEDaS16_S17_EUlS16_E_NS1_11comp_targetILNS1_3genE0ELNS1_11target_archE4294967295ELNS1_3gpuE0ELNS1_3repE0EEENS1_30default_config_static_selectorELNS0_4arch9wavefront6targetE0EEEvT1_,"axG",@progbits,_ZN7rocprim17ROCPRIM_400000_NS6detail17trampoline_kernelINS0_14default_configENS1_25partition_config_selectorILNS1_17partition_subalgoE5EyNS0_10empty_typeEbEEZZNS1_14partition_implILS5_5ELb0ES3_mN6thrust23THRUST_200600_302600_NS6detail15normal_iteratorINSA_10device_ptrIyEEEEPS6_NSA_18transform_iteratorINSB_9not_fun_tI7is_trueIyEEESF_NSA_11use_defaultESM_EENS0_5tupleIJSF_S6_EEENSO_IJSG_SG_EEES6_PlJS6_EEE10hipError_tPvRmT3_T4_T5_T6_T7_T9_mT8_P12ihipStream_tbDpT10_ENKUlT_T0_E_clISt17integral_constantIbLb0EES1A_IbLb1EEEEDaS16_S17_EUlS16_E_NS1_11comp_targetILNS1_3genE0ELNS1_11target_archE4294967295ELNS1_3gpuE0ELNS1_3repE0EEENS1_30default_config_static_selectorELNS0_4arch9wavefront6targetE0EEEvT1_,comdat
	.protected	_ZN7rocprim17ROCPRIM_400000_NS6detail17trampoline_kernelINS0_14default_configENS1_25partition_config_selectorILNS1_17partition_subalgoE5EyNS0_10empty_typeEbEEZZNS1_14partition_implILS5_5ELb0ES3_mN6thrust23THRUST_200600_302600_NS6detail15normal_iteratorINSA_10device_ptrIyEEEEPS6_NSA_18transform_iteratorINSB_9not_fun_tI7is_trueIyEEESF_NSA_11use_defaultESM_EENS0_5tupleIJSF_S6_EEENSO_IJSG_SG_EEES6_PlJS6_EEE10hipError_tPvRmT3_T4_T5_T6_T7_T9_mT8_P12ihipStream_tbDpT10_ENKUlT_T0_E_clISt17integral_constantIbLb0EES1A_IbLb1EEEEDaS16_S17_EUlS16_E_NS1_11comp_targetILNS1_3genE0ELNS1_11target_archE4294967295ELNS1_3gpuE0ELNS1_3repE0EEENS1_30default_config_static_selectorELNS0_4arch9wavefront6targetE0EEEvT1_ ; -- Begin function _ZN7rocprim17ROCPRIM_400000_NS6detail17trampoline_kernelINS0_14default_configENS1_25partition_config_selectorILNS1_17partition_subalgoE5EyNS0_10empty_typeEbEEZZNS1_14partition_implILS5_5ELb0ES3_mN6thrust23THRUST_200600_302600_NS6detail15normal_iteratorINSA_10device_ptrIyEEEEPS6_NSA_18transform_iteratorINSB_9not_fun_tI7is_trueIyEEESF_NSA_11use_defaultESM_EENS0_5tupleIJSF_S6_EEENSO_IJSG_SG_EEES6_PlJS6_EEE10hipError_tPvRmT3_T4_T5_T6_T7_T9_mT8_P12ihipStream_tbDpT10_ENKUlT_T0_E_clISt17integral_constantIbLb0EES1A_IbLb1EEEEDaS16_S17_EUlS16_E_NS1_11comp_targetILNS1_3genE0ELNS1_11target_archE4294967295ELNS1_3gpuE0ELNS1_3repE0EEENS1_30default_config_static_selectorELNS0_4arch9wavefront6targetE0EEEvT1_
	.globl	_ZN7rocprim17ROCPRIM_400000_NS6detail17trampoline_kernelINS0_14default_configENS1_25partition_config_selectorILNS1_17partition_subalgoE5EyNS0_10empty_typeEbEEZZNS1_14partition_implILS5_5ELb0ES3_mN6thrust23THRUST_200600_302600_NS6detail15normal_iteratorINSA_10device_ptrIyEEEEPS6_NSA_18transform_iteratorINSB_9not_fun_tI7is_trueIyEEESF_NSA_11use_defaultESM_EENS0_5tupleIJSF_S6_EEENSO_IJSG_SG_EEES6_PlJS6_EEE10hipError_tPvRmT3_T4_T5_T6_T7_T9_mT8_P12ihipStream_tbDpT10_ENKUlT_T0_E_clISt17integral_constantIbLb0EES1A_IbLb1EEEEDaS16_S17_EUlS16_E_NS1_11comp_targetILNS1_3genE0ELNS1_11target_archE4294967295ELNS1_3gpuE0ELNS1_3repE0EEENS1_30default_config_static_selectorELNS0_4arch9wavefront6targetE0EEEvT1_
	.p2align	8
	.type	_ZN7rocprim17ROCPRIM_400000_NS6detail17trampoline_kernelINS0_14default_configENS1_25partition_config_selectorILNS1_17partition_subalgoE5EyNS0_10empty_typeEbEEZZNS1_14partition_implILS5_5ELb0ES3_mN6thrust23THRUST_200600_302600_NS6detail15normal_iteratorINSA_10device_ptrIyEEEEPS6_NSA_18transform_iteratorINSB_9not_fun_tI7is_trueIyEEESF_NSA_11use_defaultESM_EENS0_5tupleIJSF_S6_EEENSO_IJSG_SG_EEES6_PlJS6_EEE10hipError_tPvRmT3_T4_T5_T6_T7_T9_mT8_P12ihipStream_tbDpT10_ENKUlT_T0_E_clISt17integral_constantIbLb0EES1A_IbLb1EEEEDaS16_S17_EUlS16_E_NS1_11comp_targetILNS1_3genE0ELNS1_11target_archE4294967295ELNS1_3gpuE0ELNS1_3repE0EEENS1_30default_config_static_selectorELNS0_4arch9wavefront6targetE0EEEvT1_,@function
_ZN7rocprim17ROCPRIM_400000_NS6detail17trampoline_kernelINS0_14default_configENS1_25partition_config_selectorILNS1_17partition_subalgoE5EyNS0_10empty_typeEbEEZZNS1_14partition_implILS5_5ELb0ES3_mN6thrust23THRUST_200600_302600_NS6detail15normal_iteratorINSA_10device_ptrIyEEEEPS6_NSA_18transform_iteratorINSB_9not_fun_tI7is_trueIyEEESF_NSA_11use_defaultESM_EENS0_5tupleIJSF_S6_EEENSO_IJSG_SG_EEES6_PlJS6_EEE10hipError_tPvRmT3_T4_T5_T6_T7_T9_mT8_P12ihipStream_tbDpT10_ENKUlT_T0_E_clISt17integral_constantIbLb0EES1A_IbLb1EEEEDaS16_S17_EUlS16_E_NS1_11comp_targetILNS1_3genE0ELNS1_11target_archE4294967295ELNS1_3gpuE0ELNS1_3repE0EEENS1_30default_config_static_selectorELNS0_4arch9wavefront6targetE0EEEvT1_: ; @_ZN7rocprim17ROCPRIM_400000_NS6detail17trampoline_kernelINS0_14default_configENS1_25partition_config_selectorILNS1_17partition_subalgoE5EyNS0_10empty_typeEbEEZZNS1_14partition_implILS5_5ELb0ES3_mN6thrust23THRUST_200600_302600_NS6detail15normal_iteratorINSA_10device_ptrIyEEEEPS6_NSA_18transform_iteratorINSB_9not_fun_tI7is_trueIyEEESF_NSA_11use_defaultESM_EENS0_5tupleIJSF_S6_EEENSO_IJSG_SG_EEES6_PlJS6_EEE10hipError_tPvRmT3_T4_T5_T6_T7_T9_mT8_P12ihipStream_tbDpT10_ENKUlT_T0_E_clISt17integral_constantIbLb0EES1A_IbLb1EEEEDaS16_S17_EUlS16_E_NS1_11comp_targetILNS1_3genE0ELNS1_11target_archE4294967295ELNS1_3gpuE0ELNS1_3repE0EEENS1_30default_config_static_selectorELNS0_4arch9wavefront6targetE0EEEvT1_
; %bb.0:
	.section	.rodata,"a",@progbits
	.p2align	6, 0x0
	.amdhsa_kernel _ZN7rocprim17ROCPRIM_400000_NS6detail17trampoline_kernelINS0_14default_configENS1_25partition_config_selectorILNS1_17partition_subalgoE5EyNS0_10empty_typeEbEEZZNS1_14partition_implILS5_5ELb0ES3_mN6thrust23THRUST_200600_302600_NS6detail15normal_iteratorINSA_10device_ptrIyEEEEPS6_NSA_18transform_iteratorINSB_9not_fun_tI7is_trueIyEEESF_NSA_11use_defaultESM_EENS0_5tupleIJSF_S6_EEENSO_IJSG_SG_EEES6_PlJS6_EEE10hipError_tPvRmT3_T4_T5_T6_T7_T9_mT8_P12ihipStream_tbDpT10_ENKUlT_T0_E_clISt17integral_constantIbLb0EES1A_IbLb1EEEEDaS16_S17_EUlS16_E_NS1_11comp_targetILNS1_3genE0ELNS1_11target_archE4294967295ELNS1_3gpuE0ELNS1_3repE0EEENS1_30default_config_static_selectorELNS0_4arch9wavefront6targetE0EEEvT1_
		.amdhsa_group_segment_fixed_size 0
		.amdhsa_private_segment_fixed_size 0
		.amdhsa_kernarg_size 136
		.amdhsa_user_sgpr_count 2
		.amdhsa_user_sgpr_dispatch_ptr 0
		.amdhsa_user_sgpr_queue_ptr 0
		.amdhsa_user_sgpr_kernarg_segment_ptr 1
		.amdhsa_user_sgpr_dispatch_id 0
		.amdhsa_user_sgpr_private_segment_size 0
		.amdhsa_wavefront_size32 1
		.amdhsa_uses_dynamic_stack 0
		.amdhsa_enable_private_segment 0
		.amdhsa_system_sgpr_workgroup_id_x 1
		.amdhsa_system_sgpr_workgroup_id_y 0
		.amdhsa_system_sgpr_workgroup_id_z 0
		.amdhsa_system_sgpr_workgroup_info 0
		.amdhsa_system_vgpr_workitem_id 0
		.amdhsa_next_free_vgpr 1
		.amdhsa_next_free_sgpr 1
		.amdhsa_reserve_vcc 0
		.amdhsa_float_round_mode_32 0
		.amdhsa_float_round_mode_16_64 0
		.amdhsa_float_denorm_mode_32 3
		.amdhsa_float_denorm_mode_16_64 3
		.amdhsa_fp16_overflow 0
		.amdhsa_workgroup_processor_mode 1
		.amdhsa_memory_ordered 1
		.amdhsa_forward_progress 1
		.amdhsa_inst_pref_size 0
		.amdhsa_round_robin_scheduling 0
		.amdhsa_exception_fp_ieee_invalid_op 0
		.amdhsa_exception_fp_denorm_src 0
		.amdhsa_exception_fp_ieee_div_zero 0
		.amdhsa_exception_fp_ieee_overflow 0
		.amdhsa_exception_fp_ieee_underflow 0
		.amdhsa_exception_fp_ieee_inexact 0
		.amdhsa_exception_int_div_zero 0
	.end_amdhsa_kernel
	.section	.text._ZN7rocprim17ROCPRIM_400000_NS6detail17trampoline_kernelINS0_14default_configENS1_25partition_config_selectorILNS1_17partition_subalgoE5EyNS0_10empty_typeEbEEZZNS1_14partition_implILS5_5ELb0ES3_mN6thrust23THRUST_200600_302600_NS6detail15normal_iteratorINSA_10device_ptrIyEEEEPS6_NSA_18transform_iteratorINSB_9not_fun_tI7is_trueIyEEESF_NSA_11use_defaultESM_EENS0_5tupleIJSF_S6_EEENSO_IJSG_SG_EEES6_PlJS6_EEE10hipError_tPvRmT3_T4_T5_T6_T7_T9_mT8_P12ihipStream_tbDpT10_ENKUlT_T0_E_clISt17integral_constantIbLb0EES1A_IbLb1EEEEDaS16_S17_EUlS16_E_NS1_11comp_targetILNS1_3genE0ELNS1_11target_archE4294967295ELNS1_3gpuE0ELNS1_3repE0EEENS1_30default_config_static_selectorELNS0_4arch9wavefront6targetE0EEEvT1_,"axG",@progbits,_ZN7rocprim17ROCPRIM_400000_NS6detail17trampoline_kernelINS0_14default_configENS1_25partition_config_selectorILNS1_17partition_subalgoE5EyNS0_10empty_typeEbEEZZNS1_14partition_implILS5_5ELb0ES3_mN6thrust23THRUST_200600_302600_NS6detail15normal_iteratorINSA_10device_ptrIyEEEEPS6_NSA_18transform_iteratorINSB_9not_fun_tI7is_trueIyEEESF_NSA_11use_defaultESM_EENS0_5tupleIJSF_S6_EEENSO_IJSG_SG_EEES6_PlJS6_EEE10hipError_tPvRmT3_T4_T5_T6_T7_T9_mT8_P12ihipStream_tbDpT10_ENKUlT_T0_E_clISt17integral_constantIbLb0EES1A_IbLb1EEEEDaS16_S17_EUlS16_E_NS1_11comp_targetILNS1_3genE0ELNS1_11target_archE4294967295ELNS1_3gpuE0ELNS1_3repE0EEENS1_30default_config_static_selectorELNS0_4arch9wavefront6targetE0EEEvT1_,comdat
.Lfunc_end1392:
	.size	_ZN7rocprim17ROCPRIM_400000_NS6detail17trampoline_kernelINS0_14default_configENS1_25partition_config_selectorILNS1_17partition_subalgoE5EyNS0_10empty_typeEbEEZZNS1_14partition_implILS5_5ELb0ES3_mN6thrust23THRUST_200600_302600_NS6detail15normal_iteratorINSA_10device_ptrIyEEEEPS6_NSA_18transform_iteratorINSB_9not_fun_tI7is_trueIyEEESF_NSA_11use_defaultESM_EENS0_5tupleIJSF_S6_EEENSO_IJSG_SG_EEES6_PlJS6_EEE10hipError_tPvRmT3_T4_T5_T6_T7_T9_mT8_P12ihipStream_tbDpT10_ENKUlT_T0_E_clISt17integral_constantIbLb0EES1A_IbLb1EEEEDaS16_S17_EUlS16_E_NS1_11comp_targetILNS1_3genE0ELNS1_11target_archE4294967295ELNS1_3gpuE0ELNS1_3repE0EEENS1_30default_config_static_selectorELNS0_4arch9wavefront6targetE0EEEvT1_, .Lfunc_end1392-_ZN7rocprim17ROCPRIM_400000_NS6detail17trampoline_kernelINS0_14default_configENS1_25partition_config_selectorILNS1_17partition_subalgoE5EyNS0_10empty_typeEbEEZZNS1_14partition_implILS5_5ELb0ES3_mN6thrust23THRUST_200600_302600_NS6detail15normal_iteratorINSA_10device_ptrIyEEEEPS6_NSA_18transform_iteratorINSB_9not_fun_tI7is_trueIyEEESF_NSA_11use_defaultESM_EENS0_5tupleIJSF_S6_EEENSO_IJSG_SG_EEES6_PlJS6_EEE10hipError_tPvRmT3_T4_T5_T6_T7_T9_mT8_P12ihipStream_tbDpT10_ENKUlT_T0_E_clISt17integral_constantIbLb0EES1A_IbLb1EEEEDaS16_S17_EUlS16_E_NS1_11comp_targetILNS1_3genE0ELNS1_11target_archE4294967295ELNS1_3gpuE0ELNS1_3repE0EEENS1_30default_config_static_selectorELNS0_4arch9wavefront6targetE0EEEvT1_
                                        ; -- End function
	.set _ZN7rocprim17ROCPRIM_400000_NS6detail17trampoline_kernelINS0_14default_configENS1_25partition_config_selectorILNS1_17partition_subalgoE5EyNS0_10empty_typeEbEEZZNS1_14partition_implILS5_5ELb0ES3_mN6thrust23THRUST_200600_302600_NS6detail15normal_iteratorINSA_10device_ptrIyEEEEPS6_NSA_18transform_iteratorINSB_9not_fun_tI7is_trueIyEEESF_NSA_11use_defaultESM_EENS0_5tupleIJSF_S6_EEENSO_IJSG_SG_EEES6_PlJS6_EEE10hipError_tPvRmT3_T4_T5_T6_T7_T9_mT8_P12ihipStream_tbDpT10_ENKUlT_T0_E_clISt17integral_constantIbLb0EES1A_IbLb1EEEEDaS16_S17_EUlS16_E_NS1_11comp_targetILNS1_3genE0ELNS1_11target_archE4294967295ELNS1_3gpuE0ELNS1_3repE0EEENS1_30default_config_static_selectorELNS0_4arch9wavefront6targetE0EEEvT1_.num_vgpr, 0
	.set _ZN7rocprim17ROCPRIM_400000_NS6detail17trampoline_kernelINS0_14default_configENS1_25partition_config_selectorILNS1_17partition_subalgoE5EyNS0_10empty_typeEbEEZZNS1_14partition_implILS5_5ELb0ES3_mN6thrust23THRUST_200600_302600_NS6detail15normal_iteratorINSA_10device_ptrIyEEEEPS6_NSA_18transform_iteratorINSB_9not_fun_tI7is_trueIyEEESF_NSA_11use_defaultESM_EENS0_5tupleIJSF_S6_EEENSO_IJSG_SG_EEES6_PlJS6_EEE10hipError_tPvRmT3_T4_T5_T6_T7_T9_mT8_P12ihipStream_tbDpT10_ENKUlT_T0_E_clISt17integral_constantIbLb0EES1A_IbLb1EEEEDaS16_S17_EUlS16_E_NS1_11comp_targetILNS1_3genE0ELNS1_11target_archE4294967295ELNS1_3gpuE0ELNS1_3repE0EEENS1_30default_config_static_selectorELNS0_4arch9wavefront6targetE0EEEvT1_.num_agpr, 0
	.set _ZN7rocprim17ROCPRIM_400000_NS6detail17trampoline_kernelINS0_14default_configENS1_25partition_config_selectorILNS1_17partition_subalgoE5EyNS0_10empty_typeEbEEZZNS1_14partition_implILS5_5ELb0ES3_mN6thrust23THRUST_200600_302600_NS6detail15normal_iteratorINSA_10device_ptrIyEEEEPS6_NSA_18transform_iteratorINSB_9not_fun_tI7is_trueIyEEESF_NSA_11use_defaultESM_EENS0_5tupleIJSF_S6_EEENSO_IJSG_SG_EEES6_PlJS6_EEE10hipError_tPvRmT3_T4_T5_T6_T7_T9_mT8_P12ihipStream_tbDpT10_ENKUlT_T0_E_clISt17integral_constantIbLb0EES1A_IbLb1EEEEDaS16_S17_EUlS16_E_NS1_11comp_targetILNS1_3genE0ELNS1_11target_archE4294967295ELNS1_3gpuE0ELNS1_3repE0EEENS1_30default_config_static_selectorELNS0_4arch9wavefront6targetE0EEEvT1_.numbered_sgpr, 0
	.set _ZN7rocprim17ROCPRIM_400000_NS6detail17trampoline_kernelINS0_14default_configENS1_25partition_config_selectorILNS1_17partition_subalgoE5EyNS0_10empty_typeEbEEZZNS1_14partition_implILS5_5ELb0ES3_mN6thrust23THRUST_200600_302600_NS6detail15normal_iteratorINSA_10device_ptrIyEEEEPS6_NSA_18transform_iteratorINSB_9not_fun_tI7is_trueIyEEESF_NSA_11use_defaultESM_EENS0_5tupleIJSF_S6_EEENSO_IJSG_SG_EEES6_PlJS6_EEE10hipError_tPvRmT3_T4_T5_T6_T7_T9_mT8_P12ihipStream_tbDpT10_ENKUlT_T0_E_clISt17integral_constantIbLb0EES1A_IbLb1EEEEDaS16_S17_EUlS16_E_NS1_11comp_targetILNS1_3genE0ELNS1_11target_archE4294967295ELNS1_3gpuE0ELNS1_3repE0EEENS1_30default_config_static_selectorELNS0_4arch9wavefront6targetE0EEEvT1_.num_named_barrier, 0
	.set _ZN7rocprim17ROCPRIM_400000_NS6detail17trampoline_kernelINS0_14default_configENS1_25partition_config_selectorILNS1_17partition_subalgoE5EyNS0_10empty_typeEbEEZZNS1_14partition_implILS5_5ELb0ES3_mN6thrust23THRUST_200600_302600_NS6detail15normal_iteratorINSA_10device_ptrIyEEEEPS6_NSA_18transform_iteratorINSB_9not_fun_tI7is_trueIyEEESF_NSA_11use_defaultESM_EENS0_5tupleIJSF_S6_EEENSO_IJSG_SG_EEES6_PlJS6_EEE10hipError_tPvRmT3_T4_T5_T6_T7_T9_mT8_P12ihipStream_tbDpT10_ENKUlT_T0_E_clISt17integral_constantIbLb0EES1A_IbLb1EEEEDaS16_S17_EUlS16_E_NS1_11comp_targetILNS1_3genE0ELNS1_11target_archE4294967295ELNS1_3gpuE0ELNS1_3repE0EEENS1_30default_config_static_selectorELNS0_4arch9wavefront6targetE0EEEvT1_.private_seg_size, 0
	.set _ZN7rocprim17ROCPRIM_400000_NS6detail17trampoline_kernelINS0_14default_configENS1_25partition_config_selectorILNS1_17partition_subalgoE5EyNS0_10empty_typeEbEEZZNS1_14partition_implILS5_5ELb0ES3_mN6thrust23THRUST_200600_302600_NS6detail15normal_iteratorINSA_10device_ptrIyEEEEPS6_NSA_18transform_iteratorINSB_9not_fun_tI7is_trueIyEEESF_NSA_11use_defaultESM_EENS0_5tupleIJSF_S6_EEENSO_IJSG_SG_EEES6_PlJS6_EEE10hipError_tPvRmT3_T4_T5_T6_T7_T9_mT8_P12ihipStream_tbDpT10_ENKUlT_T0_E_clISt17integral_constantIbLb0EES1A_IbLb1EEEEDaS16_S17_EUlS16_E_NS1_11comp_targetILNS1_3genE0ELNS1_11target_archE4294967295ELNS1_3gpuE0ELNS1_3repE0EEENS1_30default_config_static_selectorELNS0_4arch9wavefront6targetE0EEEvT1_.uses_vcc, 0
	.set _ZN7rocprim17ROCPRIM_400000_NS6detail17trampoline_kernelINS0_14default_configENS1_25partition_config_selectorILNS1_17partition_subalgoE5EyNS0_10empty_typeEbEEZZNS1_14partition_implILS5_5ELb0ES3_mN6thrust23THRUST_200600_302600_NS6detail15normal_iteratorINSA_10device_ptrIyEEEEPS6_NSA_18transform_iteratorINSB_9not_fun_tI7is_trueIyEEESF_NSA_11use_defaultESM_EENS0_5tupleIJSF_S6_EEENSO_IJSG_SG_EEES6_PlJS6_EEE10hipError_tPvRmT3_T4_T5_T6_T7_T9_mT8_P12ihipStream_tbDpT10_ENKUlT_T0_E_clISt17integral_constantIbLb0EES1A_IbLb1EEEEDaS16_S17_EUlS16_E_NS1_11comp_targetILNS1_3genE0ELNS1_11target_archE4294967295ELNS1_3gpuE0ELNS1_3repE0EEENS1_30default_config_static_selectorELNS0_4arch9wavefront6targetE0EEEvT1_.uses_flat_scratch, 0
	.set _ZN7rocprim17ROCPRIM_400000_NS6detail17trampoline_kernelINS0_14default_configENS1_25partition_config_selectorILNS1_17partition_subalgoE5EyNS0_10empty_typeEbEEZZNS1_14partition_implILS5_5ELb0ES3_mN6thrust23THRUST_200600_302600_NS6detail15normal_iteratorINSA_10device_ptrIyEEEEPS6_NSA_18transform_iteratorINSB_9not_fun_tI7is_trueIyEEESF_NSA_11use_defaultESM_EENS0_5tupleIJSF_S6_EEENSO_IJSG_SG_EEES6_PlJS6_EEE10hipError_tPvRmT3_T4_T5_T6_T7_T9_mT8_P12ihipStream_tbDpT10_ENKUlT_T0_E_clISt17integral_constantIbLb0EES1A_IbLb1EEEEDaS16_S17_EUlS16_E_NS1_11comp_targetILNS1_3genE0ELNS1_11target_archE4294967295ELNS1_3gpuE0ELNS1_3repE0EEENS1_30default_config_static_selectorELNS0_4arch9wavefront6targetE0EEEvT1_.has_dyn_sized_stack, 0
	.set _ZN7rocprim17ROCPRIM_400000_NS6detail17trampoline_kernelINS0_14default_configENS1_25partition_config_selectorILNS1_17partition_subalgoE5EyNS0_10empty_typeEbEEZZNS1_14partition_implILS5_5ELb0ES3_mN6thrust23THRUST_200600_302600_NS6detail15normal_iteratorINSA_10device_ptrIyEEEEPS6_NSA_18transform_iteratorINSB_9not_fun_tI7is_trueIyEEESF_NSA_11use_defaultESM_EENS0_5tupleIJSF_S6_EEENSO_IJSG_SG_EEES6_PlJS6_EEE10hipError_tPvRmT3_T4_T5_T6_T7_T9_mT8_P12ihipStream_tbDpT10_ENKUlT_T0_E_clISt17integral_constantIbLb0EES1A_IbLb1EEEEDaS16_S17_EUlS16_E_NS1_11comp_targetILNS1_3genE0ELNS1_11target_archE4294967295ELNS1_3gpuE0ELNS1_3repE0EEENS1_30default_config_static_selectorELNS0_4arch9wavefront6targetE0EEEvT1_.has_recursion, 0
	.set _ZN7rocprim17ROCPRIM_400000_NS6detail17trampoline_kernelINS0_14default_configENS1_25partition_config_selectorILNS1_17partition_subalgoE5EyNS0_10empty_typeEbEEZZNS1_14partition_implILS5_5ELb0ES3_mN6thrust23THRUST_200600_302600_NS6detail15normal_iteratorINSA_10device_ptrIyEEEEPS6_NSA_18transform_iteratorINSB_9not_fun_tI7is_trueIyEEESF_NSA_11use_defaultESM_EENS0_5tupleIJSF_S6_EEENSO_IJSG_SG_EEES6_PlJS6_EEE10hipError_tPvRmT3_T4_T5_T6_T7_T9_mT8_P12ihipStream_tbDpT10_ENKUlT_T0_E_clISt17integral_constantIbLb0EES1A_IbLb1EEEEDaS16_S17_EUlS16_E_NS1_11comp_targetILNS1_3genE0ELNS1_11target_archE4294967295ELNS1_3gpuE0ELNS1_3repE0EEENS1_30default_config_static_selectorELNS0_4arch9wavefront6targetE0EEEvT1_.has_indirect_call, 0
	.section	.AMDGPU.csdata,"",@progbits
; Kernel info:
; codeLenInByte = 0
; TotalNumSgprs: 0
; NumVgprs: 0
; ScratchSize: 0
; MemoryBound: 0
; FloatMode: 240
; IeeeMode: 1
; LDSByteSize: 0 bytes/workgroup (compile time only)
; SGPRBlocks: 0
; VGPRBlocks: 0
; NumSGPRsForWavesPerEU: 1
; NumVGPRsForWavesPerEU: 1
; Occupancy: 16
; WaveLimiterHint : 0
; COMPUTE_PGM_RSRC2:SCRATCH_EN: 0
; COMPUTE_PGM_RSRC2:USER_SGPR: 2
; COMPUTE_PGM_RSRC2:TRAP_HANDLER: 0
; COMPUTE_PGM_RSRC2:TGID_X_EN: 1
; COMPUTE_PGM_RSRC2:TGID_Y_EN: 0
; COMPUTE_PGM_RSRC2:TGID_Z_EN: 0
; COMPUTE_PGM_RSRC2:TIDIG_COMP_CNT: 0
	.section	.text._ZN7rocprim17ROCPRIM_400000_NS6detail17trampoline_kernelINS0_14default_configENS1_25partition_config_selectorILNS1_17partition_subalgoE5EyNS0_10empty_typeEbEEZZNS1_14partition_implILS5_5ELb0ES3_mN6thrust23THRUST_200600_302600_NS6detail15normal_iteratorINSA_10device_ptrIyEEEEPS6_NSA_18transform_iteratorINSB_9not_fun_tI7is_trueIyEEESF_NSA_11use_defaultESM_EENS0_5tupleIJSF_S6_EEENSO_IJSG_SG_EEES6_PlJS6_EEE10hipError_tPvRmT3_T4_T5_T6_T7_T9_mT8_P12ihipStream_tbDpT10_ENKUlT_T0_E_clISt17integral_constantIbLb0EES1A_IbLb1EEEEDaS16_S17_EUlS16_E_NS1_11comp_targetILNS1_3genE5ELNS1_11target_archE942ELNS1_3gpuE9ELNS1_3repE0EEENS1_30default_config_static_selectorELNS0_4arch9wavefront6targetE0EEEvT1_,"axG",@progbits,_ZN7rocprim17ROCPRIM_400000_NS6detail17trampoline_kernelINS0_14default_configENS1_25partition_config_selectorILNS1_17partition_subalgoE5EyNS0_10empty_typeEbEEZZNS1_14partition_implILS5_5ELb0ES3_mN6thrust23THRUST_200600_302600_NS6detail15normal_iteratorINSA_10device_ptrIyEEEEPS6_NSA_18transform_iteratorINSB_9not_fun_tI7is_trueIyEEESF_NSA_11use_defaultESM_EENS0_5tupleIJSF_S6_EEENSO_IJSG_SG_EEES6_PlJS6_EEE10hipError_tPvRmT3_T4_T5_T6_T7_T9_mT8_P12ihipStream_tbDpT10_ENKUlT_T0_E_clISt17integral_constantIbLb0EES1A_IbLb1EEEEDaS16_S17_EUlS16_E_NS1_11comp_targetILNS1_3genE5ELNS1_11target_archE942ELNS1_3gpuE9ELNS1_3repE0EEENS1_30default_config_static_selectorELNS0_4arch9wavefront6targetE0EEEvT1_,comdat
	.protected	_ZN7rocprim17ROCPRIM_400000_NS6detail17trampoline_kernelINS0_14default_configENS1_25partition_config_selectorILNS1_17partition_subalgoE5EyNS0_10empty_typeEbEEZZNS1_14partition_implILS5_5ELb0ES3_mN6thrust23THRUST_200600_302600_NS6detail15normal_iteratorINSA_10device_ptrIyEEEEPS6_NSA_18transform_iteratorINSB_9not_fun_tI7is_trueIyEEESF_NSA_11use_defaultESM_EENS0_5tupleIJSF_S6_EEENSO_IJSG_SG_EEES6_PlJS6_EEE10hipError_tPvRmT3_T4_T5_T6_T7_T9_mT8_P12ihipStream_tbDpT10_ENKUlT_T0_E_clISt17integral_constantIbLb0EES1A_IbLb1EEEEDaS16_S17_EUlS16_E_NS1_11comp_targetILNS1_3genE5ELNS1_11target_archE942ELNS1_3gpuE9ELNS1_3repE0EEENS1_30default_config_static_selectorELNS0_4arch9wavefront6targetE0EEEvT1_ ; -- Begin function _ZN7rocprim17ROCPRIM_400000_NS6detail17trampoline_kernelINS0_14default_configENS1_25partition_config_selectorILNS1_17partition_subalgoE5EyNS0_10empty_typeEbEEZZNS1_14partition_implILS5_5ELb0ES3_mN6thrust23THRUST_200600_302600_NS6detail15normal_iteratorINSA_10device_ptrIyEEEEPS6_NSA_18transform_iteratorINSB_9not_fun_tI7is_trueIyEEESF_NSA_11use_defaultESM_EENS0_5tupleIJSF_S6_EEENSO_IJSG_SG_EEES6_PlJS6_EEE10hipError_tPvRmT3_T4_T5_T6_T7_T9_mT8_P12ihipStream_tbDpT10_ENKUlT_T0_E_clISt17integral_constantIbLb0EES1A_IbLb1EEEEDaS16_S17_EUlS16_E_NS1_11comp_targetILNS1_3genE5ELNS1_11target_archE942ELNS1_3gpuE9ELNS1_3repE0EEENS1_30default_config_static_selectorELNS0_4arch9wavefront6targetE0EEEvT1_
	.globl	_ZN7rocprim17ROCPRIM_400000_NS6detail17trampoline_kernelINS0_14default_configENS1_25partition_config_selectorILNS1_17partition_subalgoE5EyNS0_10empty_typeEbEEZZNS1_14partition_implILS5_5ELb0ES3_mN6thrust23THRUST_200600_302600_NS6detail15normal_iteratorINSA_10device_ptrIyEEEEPS6_NSA_18transform_iteratorINSB_9not_fun_tI7is_trueIyEEESF_NSA_11use_defaultESM_EENS0_5tupleIJSF_S6_EEENSO_IJSG_SG_EEES6_PlJS6_EEE10hipError_tPvRmT3_T4_T5_T6_T7_T9_mT8_P12ihipStream_tbDpT10_ENKUlT_T0_E_clISt17integral_constantIbLb0EES1A_IbLb1EEEEDaS16_S17_EUlS16_E_NS1_11comp_targetILNS1_3genE5ELNS1_11target_archE942ELNS1_3gpuE9ELNS1_3repE0EEENS1_30default_config_static_selectorELNS0_4arch9wavefront6targetE0EEEvT1_
	.p2align	8
	.type	_ZN7rocprim17ROCPRIM_400000_NS6detail17trampoline_kernelINS0_14default_configENS1_25partition_config_selectorILNS1_17partition_subalgoE5EyNS0_10empty_typeEbEEZZNS1_14partition_implILS5_5ELb0ES3_mN6thrust23THRUST_200600_302600_NS6detail15normal_iteratorINSA_10device_ptrIyEEEEPS6_NSA_18transform_iteratorINSB_9not_fun_tI7is_trueIyEEESF_NSA_11use_defaultESM_EENS0_5tupleIJSF_S6_EEENSO_IJSG_SG_EEES6_PlJS6_EEE10hipError_tPvRmT3_T4_T5_T6_T7_T9_mT8_P12ihipStream_tbDpT10_ENKUlT_T0_E_clISt17integral_constantIbLb0EES1A_IbLb1EEEEDaS16_S17_EUlS16_E_NS1_11comp_targetILNS1_3genE5ELNS1_11target_archE942ELNS1_3gpuE9ELNS1_3repE0EEENS1_30default_config_static_selectorELNS0_4arch9wavefront6targetE0EEEvT1_,@function
_ZN7rocprim17ROCPRIM_400000_NS6detail17trampoline_kernelINS0_14default_configENS1_25partition_config_selectorILNS1_17partition_subalgoE5EyNS0_10empty_typeEbEEZZNS1_14partition_implILS5_5ELb0ES3_mN6thrust23THRUST_200600_302600_NS6detail15normal_iteratorINSA_10device_ptrIyEEEEPS6_NSA_18transform_iteratorINSB_9not_fun_tI7is_trueIyEEESF_NSA_11use_defaultESM_EENS0_5tupleIJSF_S6_EEENSO_IJSG_SG_EEES6_PlJS6_EEE10hipError_tPvRmT3_T4_T5_T6_T7_T9_mT8_P12ihipStream_tbDpT10_ENKUlT_T0_E_clISt17integral_constantIbLb0EES1A_IbLb1EEEEDaS16_S17_EUlS16_E_NS1_11comp_targetILNS1_3genE5ELNS1_11target_archE942ELNS1_3gpuE9ELNS1_3repE0EEENS1_30default_config_static_selectorELNS0_4arch9wavefront6targetE0EEEvT1_: ; @_ZN7rocprim17ROCPRIM_400000_NS6detail17trampoline_kernelINS0_14default_configENS1_25partition_config_selectorILNS1_17partition_subalgoE5EyNS0_10empty_typeEbEEZZNS1_14partition_implILS5_5ELb0ES3_mN6thrust23THRUST_200600_302600_NS6detail15normal_iteratorINSA_10device_ptrIyEEEEPS6_NSA_18transform_iteratorINSB_9not_fun_tI7is_trueIyEEESF_NSA_11use_defaultESM_EENS0_5tupleIJSF_S6_EEENSO_IJSG_SG_EEES6_PlJS6_EEE10hipError_tPvRmT3_T4_T5_T6_T7_T9_mT8_P12ihipStream_tbDpT10_ENKUlT_T0_E_clISt17integral_constantIbLb0EES1A_IbLb1EEEEDaS16_S17_EUlS16_E_NS1_11comp_targetILNS1_3genE5ELNS1_11target_archE942ELNS1_3gpuE9ELNS1_3repE0EEENS1_30default_config_static_selectorELNS0_4arch9wavefront6targetE0EEEvT1_
; %bb.0:
	.section	.rodata,"a",@progbits
	.p2align	6, 0x0
	.amdhsa_kernel _ZN7rocprim17ROCPRIM_400000_NS6detail17trampoline_kernelINS0_14default_configENS1_25partition_config_selectorILNS1_17partition_subalgoE5EyNS0_10empty_typeEbEEZZNS1_14partition_implILS5_5ELb0ES3_mN6thrust23THRUST_200600_302600_NS6detail15normal_iteratorINSA_10device_ptrIyEEEEPS6_NSA_18transform_iteratorINSB_9not_fun_tI7is_trueIyEEESF_NSA_11use_defaultESM_EENS0_5tupleIJSF_S6_EEENSO_IJSG_SG_EEES6_PlJS6_EEE10hipError_tPvRmT3_T4_T5_T6_T7_T9_mT8_P12ihipStream_tbDpT10_ENKUlT_T0_E_clISt17integral_constantIbLb0EES1A_IbLb1EEEEDaS16_S17_EUlS16_E_NS1_11comp_targetILNS1_3genE5ELNS1_11target_archE942ELNS1_3gpuE9ELNS1_3repE0EEENS1_30default_config_static_selectorELNS0_4arch9wavefront6targetE0EEEvT1_
		.amdhsa_group_segment_fixed_size 0
		.amdhsa_private_segment_fixed_size 0
		.amdhsa_kernarg_size 136
		.amdhsa_user_sgpr_count 2
		.amdhsa_user_sgpr_dispatch_ptr 0
		.amdhsa_user_sgpr_queue_ptr 0
		.amdhsa_user_sgpr_kernarg_segment_ptr 1
		.amdhsa_user_sgpr_dispatch_id 0
		.amdhsa_user_sgpr_private_segment_size 0
		.amdhsa_wavefront_size32 1
		.amdhsa_uses_dynamic_stack 0
		.amdhsa_enable_private_segment 0
		.amdhsa_system_sgpr_workgroup_id_x 1
		.amdhsa_system_sgpr_workgroup_id_y 0
		.amdhsa_system_sgpr_workgroup_id_z 0
		.amdhsa_system_sgpr_workgroup_info 0
		.amdhsa_system_vgpr_workitem_id 0
		.amdhsa_next_free_vgpr 1
		.amdhsa_next_free_sgpr 1
		.amdhsa_reserve_vcc 0
		.amdhsa_float_round_mode_32 0
		.amdhsa_float_round_mode_16_64 0
		.amdhsa_float_denorm_mode_32 3
		.amdhsa_float_denorm_mode_16_64 3
		.amdhsa_fp16_overflow 0
		.amdhsa_workgroup_processor_mode 1
		.amdhsa_memory_ordered 1
		.amdhsa_forward_progress 1
		.amdhsa_inst_pref_size 0
		.amdhsa_round_robin_scheduling 0
		.amdhsa_exception_fp_ieee_invalid_op 0
		.amdhsa_exception_fp_denorm_src 0
		.amdhsa_exception_fp_ieee_div_zero 0
		.amdhsa_exception_fp_ieee_overflow 0
		.amdhsa_exception_fp_ieee_underflow 0
		.amdhsa_exception_fp_ieee_inexact 0
		.amdhsa_exception_int_div_zero 0
	.end_amdhsa_kernel
	.section	.text._ZN7rocprim17ROCPRIM_400000_NS6detail17trampoline_kernelINS0_14default_configENS1_25partition_config_selectorILNS1_17partition_subalgoE5EyNS0_10empty_typeEbEEZZNS1_14partition_implILS5_5ELb0ES3_mN6thrust23THRUST_200600_302600_NS6detail15normal_iteratorINSA_10device_ptrIyEEEEPS6_NSA_18transform_iteratorINSB_9not_fun_tI7is_trueIyEEESF_NSA_11use_defaultESM_EENS0_5tupleIJSF_S6_EEENSO_IJSG_SG_EEES6_PlJS6_EEE10hipError_tPvRmT3_T4_T5_T6_T7_T9_mT8_P12ihipStream_tbDpT10_ENKUlT_T0_E_clISt17integral_constantIbLb0EES1A_IbLb1EEEEDaS16_S17_EUlS16_E_NS1_11comp_targetILNS1_3genE5ELNS1_11target_archE942ELNS1_3gpuE9ELNS1_3repE0EEENS1_30default_config_static_selectorELNS0_4arch9wavefront6targetE0EEEvT1_,"axG",@progbits,_ZN7rocprim17ROCPRIM_400000_NS6detail17trampoline_kernelINS0_14default_configENS1_25partition_config_selectorILNS1_17partition_subalgoE5EyNS0_10empty_typeEbEEZZNS1_14partition_implILS5_5ELb0ES3_mN6thrust23THRUST_200600_302600_NS6detail15normal_iteratorINSA_10device_ptrIyEEEEPS6_NSA_18transform_iteratorINSB_9not_fun_tI7is_trueIyEEESF_NSA_11use_defaultESM_EENS0_5tupleIJSF_S6_EEENSO_IJSG_SG_EEES6_PlJS6_EEE10hipError_tPvRmT3_T4_T5_T6_T7_T9_mT8_P12ihipStream_tbDpT10_ENKUlT_T0_E_clISt17integral_constantIbLb0EES1A_IbLb1EEEEDaS16_S17_EUlS16_E_NS1_11comp_targetILNS1_3genE5ELNS1_11target_archE942ELNS1_3gpuE9ELNS1_3repE0EEENS1_30default_config_static_selectorELNS0_4arch9wavefront6targetE0EEEvT1_,comdat
.Lfunc_end1393:
	.size	_ZN7rocprim17ROCPRIM_400000_NS6detail17trampoline_kernelINS0_14default_configENS1_25partition_config_selectorILNS1_17partition_subalgoE5EyNS0_10empty_typeEbEEZZNS1_14partition_implILS5_5ELb0ES3_mN6thrust23THRUST_200600_302600_NS6detail15normal_iteratorINSA_10device_ptrIyEEEEPS6_NSA_18transform_iteratorINSB_9not_fun_tI7is_trueIyEEESF_NSA_11use_defaultESM_EENS0_5tupleIJSF_S6_EEENSO_IJSG_SG_EEES6_PlJS6_EEE10hipError_tPvRmT3_T4_T5_T6_T7_T9_mT8_P12ihipStream_tbDpT10_ENKUlT_T0_E_clISt17integral_constantIbLb0EES1A_IbLb1EEEEDaS16_S17_EUlS16_E_NS1_11comp_targetILNS1_3genE5ELNS1_11target_archE942ELNS1_3gpuE9ELNS1_3repE0EEENS1_30default_config_static_selectorELNS0_4arch9wavefront6targetE0EEEvT1_, .Lfunc_end1393-_ZN7rocprim17ROCPRIM_400000_NS6detail17trampoline_kernelINS0_14default_configENS1_25partition_config_selectorILNS1_17partition_subalgoE5EyNS0_10empty_typeEbEEZZNS1_14partition_implILS5_5ELb0ES3_mN6thrust23THRUST_200600_302600_NS6detail15normal_iteratorINSA_10device_ptrIyEEEEPS6_NSA_18transform_iteratorINSB_9not_fun_tI7is_trueIyEEESF_NSA_11use_defaultESM_EENS0_5tupleIJSF_S6_EEENSO_IJSG_SG_EEES6_PlJS6_EEE10hipError_tPvRmT3_T4_T5_T6_T7_T9_mT8_P12ihipStream_tbDpT10_ENKUlT_T0_E_clISt17integral_constantIbLb0EES1A_IbLb1EEEEDaS16_S17_EUlS16_E_NS1_11comp_targetILNS1_3genE5ELNS1_11target_archE942ELNS1_3gpuE9ELNS1_3repE0EEENS1_30default_config_static_selectorELNS0_4arch9wavefront6targetE0EEEvT1_
                                        ; -- End function
	.set _ZN7rocprim17ROCPRIM_400000_NS6detail17trampoline_kernelINS0_14default_configENS1_25partition_config_selectorILNS1_17partition_subalgoE5EyNS0_10empty_typeEbEEZZNS1_14partition_implILS5_5ELb0ES3_mN6thrust23THRUST_200600_302600_NS6detail15normal_iteratorINSA_10device_ptrIyEEEEPS6_NSA_18transform_iteratorINSB_9not_fun_tI7is_trueIyEEESF_NSA_11use_defaultESM_EENS0_5tupleIJSF_S6_EEENSO_IJSG_SG_EEES6_PlJS6_EEE10hipError_tPvRmT3_T4_T5_T6_T7_T9_mT8_P12ihipStream_tbDpT10_ENKUlT_T0_E_clISt17integral_constantIbLb0EES1A_IbLb1EEEEDaS16_S17_EUlS16_E_NS1_11comp_targetILNS1_3genE5ELNS1_11target_archE942ELNS1_3gpuE9ELNS1_3repE0EEENS1_30default_config_static_selectorELNS0_4arch9wavefront6targetE0EEEvT1_.num_vgpr, 0
	.set _ZN7rocprim17ROCPRIM_400000_NS6detail17trampoline_kernelINS0_14default_configENS1_25partition_config_selectorILNS1_17partition_subalgoE5EyNS0_10empty_typeEbEEZZNS1_14partition_implILS5_5ELb0ES3_mN6thrust23THRUST_200600_302600_NS6detail15normal_iteratorINSA_10device_ptrIyEEEEPS6_NSA_18transform_iteratorINSB_9not_fun_tI7is_trueIyEEESF_NSA_11use_defaultESM_EENS0_5tupleIJSF_S6_EEENSO_IJSG_SG_EEES6_PlJS6_EEE10hipError_tPvRmT3_T4_T5_T6_T7_T9_mT8_P12ihipStream_tbDpT10_ENKUlT_T0_E_clISt17integral_constantIbLb0EES1A_IbLb1EEEEDaS16_S17_EUlS16_E_NS1_11comp_targetILNS1_3genE5ELNS1_11target_archE942ELNS1_3gpuE9ELNS1_3repE0EEENS1_30default_config_static_selectorELNS0_4arch9wavefront6targetE0EEEvT1_.num_agpr, 0
	.set _ZN7rocprim17ROCPRIM_400000_NS6detail17trampoline_kernelINS0_14default_configENS1_25partition_config_selectorILNS1_17partition_subalgoE5EyNS0_10empty_typeEbEEZZNS1_14partition_implILS5_5ELb0ES3_mN6thrust23THRUST_200600_302600_NS6detail15normal_iteratorINSA_10device_ptrIyEEEEPS6_NSA_18transform_iteratorINSB_9not_fun_tI7is_trueIyEEESF_NSA_11use_defaultESM_EENS0_5tupleIJSF_S6_EEENSO_IJSG_SG_EEES6_PlJS6_EEE10hipError_tPvRmT3_T4_T5_T6_T7_T9_mT8_P12ihipStream_tbDpT10_ENKUlT_T0_E_clISt17integral_constantIbLb0EES1A_IbLb1EEEEDaS16_S17_EUlS16_E_NS1_11comp_targetILNS1_3genE5ELNS1_11target_archE942ELNS1_3gpuE9ELNS1_3repE0EEENS1_30default_config_static_selectorELNS0_4arch9wavefront6targetE0EEEvT1_.numbered_sgpr, 0
	.set _ZN7rocprim17ROCPRIM_400000_NS6detail17trampoline_kernelINS0_14default_configENS1_25partition_config_selectorILNS1_17partition_subalgoE5EyNS0_10empty_typeEbEEZZNS1_14partition_implILS5_5ELb0ES3_mN6thrust23THRUST_200600_302600_NS6detail15normal_iteratorINSA_10device_ptrIyEEEEPS6_NSA_18transform_iteratorINSB_9not_fun_tI7is_trueIyEEESF_NSA_11use_defaultESM_EENS0_5tupleIJSF_S6_EEENSO_IJSG_SG_EEES6_PlJS6_EEE10hipError_tPvRmT3_T4_T5_T6_T7_T9_mT8_P12ihipStream_tbDpT10_ENKUlT_T0_E_clISt17integral_constantIbLb0EES1A_IbLb1EEEEDaS16_S17_EUlS16_E_NS1_11comp_targetILNS1_3genE5ELNS1_11target_archE942ELNS1_3gpuE9ELNS1_3repE0EEENS1_30default_config_static_selectorELNS0_4arch9wavefront6targetE0EEEvT1_.num_named_barrier, 0
	.set _ZN7rocprim17ROCPRIM_400000_NS6detail17trampoline_kernelINS0_14default_configENS1_25partition_config_selectorILNS1_17partition_subalgoE5EyNS0_10empty_typeEbEEZZNS1_14partition_implILS5_5ELb0ES3_mN6thrust23THRUST_200600_302600_NS6detail15normal_iteratorINSA_10device_ptrIyEEEEPS6_NSA_18transform_iteratorINSB_9not_fun_tI7is_trueIyEEESF_NSA_11use_defaultESM_EENS0_5tupleIJSF_S6_EEENSO_IJSG_SG_EEES6_PlJS6_EEE10hipError_tPvRmT3_T4_T5_T6_T7_T9_mT8_P12ihipStream_tbDpT10_ENKUlT_T0_E_clISt17integral_constantIbLb0EES1A_IbLb1EEEEDaS16_S17_EUlS16_E_NS1_11comp_targetILNS1_3genE5ELNS1_11target_archE942ELNS1_3gpuE9ELNS1_3repE0EEENS1_30default_config_static_selectorELNS0_4arch9wavefront6targetE0EEEvT1_.private_seg_size, 0
	.set _ZN7rocprim17ROCPRIM_400000_NS6detail17trampoline_kernelINS0_14default_configENS1_25partition_config_selectorILNS1_17partition_subalgoE5EyNS0_10empty_typeEbEEZZNS1_14partition_implILS5_5ELb0ES3_mN6thrust23THRUST_200600_302600_NS6detail15normal_iteratorINSA_10device_ptrIyEEEEPS6_NSA_18transform_iteratorINSB_9not_fun_tI7is_trueIyEEESF_NSA_11use_defaultESM_EENS0_5tupleIJSF_S6_EEENSO_IJSG_SG_EEES6_PlJS6_EEE10hipError_tPvRmT3_T4_T5_T6_T7_T9_mT8_P12ihipStream_tbDpT10_ENKUlT_T0_E_clISt17integral_constantIbLb0EES1A_IbLb1EEEEDaS16_S17_EUlS16_E_NS1_11comp_targetILNS1_3genE5ELNS1_11target_archE942ELNS1_3gpuE9ELNS1_3repE0EEENS1_30default_config_static_selectorELNS0_4arch9wavefront6targetE0EEEvT1_.uses_vcc, 0
	.set _ZN7rocprim17ROCPRIM_400000_NS6detail17trampoline_kernelINS0_14default_configENS1_25partition_config_selectorILNS1_17partition_subalgoE5EyNS0_10empty_typeEbEEZZNS1_14partition_implILS5_5ELb0ES3_mN6thrust23THRUST_200600_302600_NS6detail15normal_iteratorINSA_10device_ptrIyEEEEPS6_NSA_18transform_iteratorINSB_9not_fun_tI7is_trueIyEEESF_NSA_11use_defaultESM_EENS0_5tupleIJSF_S6_EEENSO_IJSG_SG_EEES6_PlJS6_EEE10hipError_tPvRmT3_T4_T5_T6_T7_T9_mT8_P12ihipStream_tbDpT10_ENKUlT_T0_E_clISt17integral_constantIbLb0EES1A_IbLb1EEEEDaS16_S17_EUlS16_E_NS1_11comp_targetILNS1_3genE5ELNS1_11target_archE942ELNS1_3gpuE9ELNS1_3repE0EEENS1_30default_config_static_selectorELNS0_4arch9wavefront6targetE0EEEvT1_.uses_flat_scratch, 0
	.set _ZN7rocprim17ROCPRIM_400000_NS6detail17trampoline_kernelINS0_14default_configENS1_25partition_config_selectorILNS1_17partition_subalgoE5EyNS0_10empty_typeEbEEZZNS1_14partition_implILS5_5ELb0ES3_mN6thrust23THRUST_200600_302600_NS6detail15normal_iteratorINSA_10device_ptrIyEEEEPS6_NSA_18transform_iteratorINSB_9not_fun_tI7is_trueIyEEESF_NSA_11use_defaultESM_EENS0_5tupleIJSF_S6_EEENSO_IJSG_SG_EEES6_PlJS6_EEE10hipError_tPvRmT3_T4_T5_T6_T7_T9_mT8_P12ihipStream_tbDpT10_ENKUlT_T0_E_clISt17integral_constantIbLb0EES1A_IbLb1EEEEDaS16_S17_EUlS16_E_NS1_11comp_targetILNS1_3genE5ELNS1_11target_archE942ELNS1_3gpuE9ELNS1_3repE0EEENS1_30default_config_static_selectorELNS0_4arch9wavefront6targetE0EEEvT1_.has_dyn_sized_stack, 0
	.set _ZN7rocprim17ROCPRIM_400000_NS6detail17trampoline_kernelINS0_14default_configENS1_25partition_config_selectorILNS1_17partition_subalgoE5EyNS0_10empty_typeEbEEZZNS1_14partition_implILS5_5ELb0ES3_mN6thrust23THRUST_200600_302600_NS6detail15normal_iteratorINSA_10device_ptrIyEEEEPS6_NSA_18transform_iteratorINSB_9not_fun_tI7is_trueIyEEESF_NSA_11use_defaultESM_EENS0_5tupleIJSF_S6_EEENSO_IJSG_SG_EEES6_PlJS6_EEE10hipError_tPvRmT3_T4_T5_T6_T7_T9_mT8_P12ihipStream_tbDpT10_ENKUlT_T0_E_clISt17integral_constantIbLb0EES1A_IbLb1EEEEDaS16_S17_EUlS16_E_NS1_11comp_targetILNS1_3genE5ELNS1_11target_archE942ELNS1_3gpuE9ELNS1_3repE0EEENS1_30default_config_static_selectorELNS0_4arch9wavefront6targetE0EEEvT1_.has_recursion, 0
	.set _ZN7rocprim17ROCPRIM_400000_NS6detail17trampoline_kernelINS0_14default_configENS1_25partition_config_selectorILNS1_17partition_subalgoE5EyNS0_10empty_typeEbEEZZNS1_14partition_implILS5_5ELb0ES3_mN6thrust23THRUST_200600_302600_NS6detail15normal_iteratorINSA_10device_ptrIyEEEEPS6_NSA_18transform_iteratorINSB_9not_fun_tI7is_trueIyEEESF_NSA_11use_defaultESM_EENS0_5tupleIJSF_S6_EEENSO_IJSG_SG_EEES6_PlJS6_EEE10hipError_tPvRmT3_T4_T5_T6_T7_T9_mT8_P12ihipStream_tbDpT10_ENKUlT_T0_E_clISt17integral_constantIbLb0EES1A_IbLb1EEEEDaS16_S17_EUlS16_E_NS1_11comp_targetILNS1_3genE5ELNS1_11target_archE942ELNS1_3gpuE9ELNS1_3repE0EEENS1_30default_config_static_selectorELNS0_4arch9wavefront6targetE0EEEvT1_.has_indirect_call, 0
	.section	.AMDGPU.csdata,"",@progbits
; Kernel info:
; codeLenInByte = 0
; TotalNumSgprs: 0
; NumVgprs: 0
; ScratchSize: 0
; MemoryBound: 0
; FloatMode: 240
; IeeeMode: 1
; LDSByteSize: 0 bytes/workgroup (compile time only)
; SGPRBlocks: 0
; VGPRBlocks: 0
; NumSGPRsForWavesPerEU: 1
; NumVGPRsForWavesPerEU: 1
; Occupancy: 16
; WaveLimiterHint : 0
; COMPUTE_PGM_RSRC2:SCRATCH_EN: 0
; COMPUTE_PGM_RSRC2:USER_SGPR: 2
; COMPUTE_PGM_RSRC2:TRAP_HANDLER: 0
; COMPUTE_PGM_RSRC2:TGID_X_EN: 1
; COMPUTE_PGM_RSRC2:TGID_Y_EN: 0
; COMPUTE_PGM_RSRC2:TGID_Z_EN: 0
; COMPUTE_PGM_RSRC2:TIDIG_COMP_CNT: 0
	.section	.text._ZN7rocprim17ROCPRIM_400000_NS6detail17trampoline_kernelINS0_14default_configENS1_25partition_config_selectorILNS1_17partition_subalgoE5EyNS0_10empty_typeEbEEZZNS1_14partition_implILS5_5ELb0ES3_mN6thrust23THRUST_200600_302600_NS6detail15normal_iteratorINSA_10device_ptrIyEEEEPS6_NSA_18transform_iteratorINSB_9not_fun_tI7is_trueIyEEESF_NSA_11use_defaultESM_EENS0_5tupleIJSF_S6_EEENSO_IJSG_SG_EEES6_PlJS6_EEE10hipError_tPvRmT3_T4_T5_T6_T7_T9_mT8_P12ihipStream_tbDpT10_ENKUlT_T0_E_clISt17integral_constantIbLb0EES1A_IbLb1EEEEDaS16_S17_EUlS16_E_NS1_11comp_targetILNS1_3genE4ELNS1_11target_archE910ELNS1_3gpuE8ELNS1_3repE0EEENS1_30default_config_static_selectorELNS0_4arch9wavefront6targetE0EEEvT1_,"axG",@progbits,_ZN7rocprim17ROCPRIM_400000_NS6detail17trampoline_kernelINS0_14default_configENS1_25partition_config_selectorILNS1_17partition_subalgoE5EyNS0_10empty_typeEbEEZZNS1_14partition_implILS5_5ELb0ES3_mN6thrust23THRUST_200600_302600_NS6detail15normal_iteratorINSA_10device_ptrIyEEEEPS6_NSA_18transform_iteratorINSB_9not_fun_tI7is_trueIyEEESF_NSA_11use_defaultESM_EENS0_5tupleIJSF_S6_EEENSO_IJSG_SG_EEES6_PlJS6_EEE10hipError_tPvRmT3_T4_T5_T6_T7_T9_mT8_P12ihipStream_tbDpT10_ENKUlT_T0_E_clISt17integral_constantIbLb0EES1A_IbLb1EEEEDaS16_S17_EUlS16_E_NS1_11comp_targetILNS1_3genE4ELNS1_11target_archE910ELNS1_3gpuE8ELNS1_3repE0EEENS1_30default_config_static_selectorELNS0_4arch9wavefront6targetE0EEEvT1_,comdat
	.protected	_ZN7rocprim17ROCPRIM_400000_NS6detail17trampoline_kernelINS0_14default_configENS1_25partition_config_selectorILNS1_17partition_subalgoE5EyNS0_10empty_typeEbEEZZNS1_14partition_implILS5_5ELb0ES3_mN6thrust23THRUST_200600_302600_NS6detail15normal_iteratorINSA_10device_ptrIyEEEEPS6_NSA_18transform_iteratorINSB_9not_fun_tI7is_trueIyEEESF_NSA_11use_defaultESM_EENS0_5tupleIJSF_S6_EEENSO_IJSG_SG_EEES6_PlJS6_EEE10hipError_tPvRmT3_T4_T5_T6_T7_T9_mT8_P12ihipStream_tbDpT10_ENKUlT_T0_E_clISt17integral_constantIbLb0EES1A_IbLb1EEEEDaS16_S17_EUlS16_E_NS1_11comp_targetILNS1_3genE4ELNS1_11target_archE910ELNS1_3gpuE8ELNS1_3repE0EEENS1_30default_config_static_selectorELNS0_4arch9wavefront6targetE0EEEvT1_ ; -- Begin function _ZN7rocprim17ROCPRIM_400000_NS6detail17trampoline_kernelINS0_14default_configENS1_25partition_config_selectorILNS1_17partition_subalgoE5EyNS0_10empty_typeEbEEZZNS1_14partition_implILS5_5ELb0ES3_mN6thrust23THRUST_200600_302600_NS6detail15normal_iteratorINSA_10device_ptrIyEEEEPS6_NSA_18transform_iteratorINSB_9not_fun_tI7is_trueIyEEESF_NSA_11use_defaultESM_EENS0_5tupleIJSF_S6_EEENSO_IJSG_SG_EEES6_PlJS6_EEE10hipError_tPvRmT3_T4_T5_T6_T7_T9_mT8_P12ihipStream_tbDpT10_ENKUlT_T0_E_clISt17integral_constantIbLb0EES1A_IbLb1EEEEDaS16_S17_EUlS16_E_NS1_11comp_targetILNS1_3genE4ELNS1_11target_archE910ELNS1_3gpuE8ELNS1_3repE0EEENS1_30default_config_static_selectorELNS0_4arch9wavefront6targetE0EEEvT1_
	.globl	_ZN7rocprim17ROCPRIM_400000_NS6detail17trampoline_kernelINS0_14default_configENS1_25partition_config_selectorILNS1_17partition_subalgoE5EyNS0_10empty_typeEbEEZZNS1_14partition_implILS5_5ELb0ES3_mN6thrust23THRUST_200600_302600_NS6detail15normal_iteratorINSA_10device_ptrIyEEEEPS6_NSA_18transform_iteratorINSB_9not_fun_tI7is_trueIyEEESF_NSA_11use_defaultESM_EENS0_5tupleIJSF_S6_EEENSO_IJSG_SG_EEES6_PlJS6_EEE10hipError_tPvRmT3_T4_T5_T6_T7_T9_mT8_P12ihipStream_tbDpT10_ENKUlT_T0_E_clISt17integral_constantIbLb0EES1A_IbLb1EEEEDaS16_S17_EUlS16_E_NS1_11comp_targetILNS1_3genE4ELNS1_11target_archE910ELNS1_3gpuE8ELNS1_3repE0EEENS1_30default_config_static_selectorELNS0_4arch9wavefront6targetE0EEEvT1_
	.p2align	8
	.type	_ZN7rocprim17ROCPRIM_400000_NS6detail17trampoline_kernelINS0_14default_configENS1_25partition_config_selectorILNS1_17partition_subalgoE5EyNS0_10empty_typeEbEEZZNS1_14partition_implILS5_5ELb0ES3_mN6thrust23THRUST_200600_302600_NS6detail15normal_iteratorINSA_10device_ptrIyEEEEPS6_NSA_18transform_iteratorINSB_9not_fun_tI7is_trueIyEEESF_NSA_11use_defaultESM_EENS0_5tupleIJSF_S6_EEENSO_IJSG_SG_EEES6_PlJS6_EEE10hipError_tPvRmT3_T4_T5_T6_T7_T9_mT8_P12ihipStream_tbDpT10_ENKUlT_T0_E_clISt17integral_constantIbLb0EES1A_IbLb1EEEEDaS16_S17_EUlS16_E_NS1_11comp_targetILNS1_3genE4ELNS1_11target_archE910ELNS1_3gpuE8ELNS1_3repE0EEENS1_30default_config_static_selectorELNS0_4arch9wavefront6targetE0EEEvT1_,@function
_ZN7rocprim17ROCPRIM_400000_NS6detail17trampoline_kernelINS0_14default_configENS1_25partition_config_selectorILNS1_17partition_subalgoE5EyNS0_10empty_typeEbEEZZNS1_14partition_implILS5_5ELb0ES3_mN6thrust23THRUST_200600_302600_NS6detail15normal_iteratorINSA_10device_ptrIyEEEEPS6_NSA_18transform_iteratorINSB_9not_fun_tI7is_trueIyEEESF_NSA_11use_defaultESM_EENS0_5tupleIJSF_S6_EEENSO_IJSG_SG_EEES6_PlJS6_EEE10hipError_tPvRmT3_T4_T5_T6_T7_T9_mT8_P12ihipStream_tbDpT10_ENKUlT_T0_E_clISt17integral_constantIbLb0EES1A_IbLb1EEEEDaS16_S17_EUlS16_E_NS1_11comp_targetILNS1_3genE4ELNS1_11target_archE910ELNS1_3gpuE8ELNS1_3repE0EEENS1_30default_config_static_selectorELNS0_4arch9wavefront6targetE0EEEvT1_: ; @_ZN7rocprim17ROCPRIM_400000_NS6detail17trampoline_kernelINS0_14default_configENS1_25partition_config_selectorILNS1_17partition_subalgoE5EyNS0_10empty_typeEbEEZZNS1_14partition_implILS5_5ELb0ES3_mN6thrust23THRUST_200600_302600_NS6detail15normal_iteratorINSA_10device_ptrIyEEEEPS6_NSA_18transform_iteratorINSB_9not_fun_tI7is_trueIyEEESF_NSA_11use_defaultESM_EENS0_5tupleIJSF_S6_EEENSO_IJSG_SG_EEES6_PlJS6_EEE10hipError_tPvRmT3_T4_T5_T6_T7_T9_mT8_P12ihipStream_tbDpT10_ENKUlT_T0_E_clISt17integral_constantIbLb0EES1A_IbLb1EEEEDaS16_S17_EUlS16_E_NS1_11comp_targetILNS1_3genE4ELNS1_11target_archE910ELNS1_3gpuE8ELNS1_3repE0EEENS1_30default_config_static_selectorELNS0_4arch9wavefront6targetE0EEEvT1_
; %bb.0:
	.section	.rodata,"a",@progbits
	.p2align	6, 0x0
	.amdhsa_kernel _ZN7rocprim17ROCPRIM_400000_NS6detail17trampoline_kernelINS0_14default_configENS1_25partition_config_selectorILNS1_17partition_subalgoE5EyNS0_10empty_typeEbEEZZNS1_14partition_implILS5_5ELb0ES3_mN6thrust23THRUST_200600_302600_NS6detail15normal_iteratorINSA_10device_ptrIyEEEEPS6_NSA_18transform_iteratorINSB_9not_fun_tI7is_trueIyEEESF_NSA_11use_defaultESM_EENS0_5tupleIJSF_S6_EEENSO_IJSG_SG_EEES6_PlJS6_EEE10hipError_tPvRmT3_T4_T5_T6_T7_T9_mT8_P12ihipStream_tbDpT10_ENKUlT_T0_E_clISt17integral_constantIbLb0EES1A_IbLb1EEEEDaS16_S17_EUlS16_E_NS1_11comp_targetILNS1_3genE4ELNS1_11target_archE910ELNS1_3gpuE8ELNS1_3repE0EEENS1_30default_config_static_selectorELNS0_4arch9wavefront6targetE0EEEvT1_
		.amdhsa_group_segment_fixed_size 0
		.amdhsa_private_segment_fixed_size 0
		.amdhsa_kernarg_size 136
		.amdhsa_user_sgpr_count 2
		.amdhsa_user_sgpr_dispatch_ptr 0
		.amdhsa_user_sgpr_queue_ptr 0
		.amdhsa_user_sgpr_kernarg_segment_ptr 1
		.amdhsa_user_sgpr_dispatch_id 0
		.amdhsa_user_sgpr_private_segment_size 0
		.amdhsa_wavefront_size32 1
		.amdhsa_uses_dynamic_stack 0
		.amdhsa_enable_private_segment 0
		.amdhsa_system_sgpr_workgroup_id_x 1
		.amdhsa_system_sgpr_workgroup_id_y 0
		.amdhsa_system_sgpr_workgroup_id_z 0
		.amdhsa_system_sgpr_workgroup_info 0
		.amdhsa_system_vgpr_workitem_id 0
		.amdhsa_next_free_vgpr 1
		.amdhsa_next_free_sgpr 1
		.amdhsa_reserve_vcc 0
		.amdhsa_float_round_mode_32 0
		.amdhsa_float_round_mode_16_64 0
		.amdhsa_float_denorm_mode_32 3
		.amdhsa_float_denorm_mode_16_64 3
		.amdhsa_fp16_overflow 0
		.amdhsa_workgroup_processor_mode 1
		.amdhsa_memory_ordered 1
		.amdhsa_forward_progress 1
		.amdhsa_inst_pref_size 0
		.amdhsa_round_robin_scheduling 0
		.amdhsa_exception_fp_ieee_invalid_op 0
		.amdhsa_exception_fp_denorm_src 0
		.amdhsa_exception_fp_ieee_div_zero 0
		.amdhsa_exception_fp_ieee_overflow 0
		.amdhsa_exception_fp_ieee_underflow 0
		.amdhsa_exception_fp_ieee_inexact 0
		.amdhsa_exception_int_div_zero 0
	.end_amdhsa_kernel
	.section	.text._ZN7rocprim17ROCPRIM_400000_NS6detail17trampoline_kernelINS0_14default_configENS1_25partition_config_selectorILNS1_17partition_subalgoE5EyNS0_10empty_typeEbEEZZNS1_14partition_implILS5_5ELb0ES3_mN6thrust23THRUST_200600_302600_NS6detail15normal_iteratorINSA_10device_ptrIyEEEEPS6_NSA_18transform_iteratorINSB_9not_fun_tI7is_trueIyEEESF_NSA_11use_defaultESM_EENS0_5tupleIJSF_S6_EEENSO_IJSG_SG_EEES6_PlJS6_EEE10hipError_tPvRmT3_T4_T5_T6_T7_T9_mT8_P12ihipStream_tbDpT10_ENKUlT_T0_E_clISt17integral_constantIbLb0EES1A_IbLb1EEEEDaS16_S17_EUlS16_E_NS1_11comp_targetILNS1_3genE4ELNS1_11target_archE910ELNS1_3gpuE8ELNS1_3repE0EEENS1_30default_config_static_selectorELNS0_4arch9wavefront6targetE0EEEvT1_,"axG",@progbits,_ZN7rocprim17ROCPRIM_400000_NS6detail17trampoline_kernelINS0_14default_configENS1_25partition_config_selectorILNS1_17partition_subalgoE5EyNS0_10empty_typeEbEEZZNS1_14partition_implILS5_5ELb0ES3_mN6thrust23THRUST_200600_302600_NS6detail15normal_iteratorINSA_10device_ptrIyEEEEPS6_NSA_18transform_iteratorINSB_9not_fun_tI7is_trueIyEEESF_NSA_11use_defaultESM_EENS0_5tupleIJSF_S6_EEENSO_IJSG_SG_EEES6_PlJS6_EEE10hipError_tPvRmT3_T4_T5_T6_T7_T9_mT8_P12ihipStream_tbDpT10_ENKUlT_T0_E_clISt17integral_constantIbLb0EES1A_IbLb1EEEEDaS16_S17_EUlS16_E_NS1_11comp_targetILNS1_3genE4ELNS1_11target_archE910ELNS1_3gpuE8ELNS1_3repE0EEENS1_30default_config_static_selectorELNS0_4arch9wavefront6targetE0EEEvT1_,comdat
.Lfunc_end1394:
	.size	_ZN7rocprim17ROCPRIM_400000_NS6detail17trampoline_kernelINS0_14default_configENS1_25partition_config_selectorILNS1_17partition_subalgoE5EyNS0_10empty_typeEbEEZZNS1_14partition_implILS5_5ELb0ES3_mN6thrust23THRUST_200600_302600_NS6detail15normal_iteratorINSA_10device_ptrIyEEEEPS6_NSA_18transform_iteratorINSB_9not_fun_tI7is_trueIyEEESF_NSA_11use_defaultESM_EENS0_5tupleIJSF_S6_EEENSO_IJSG_SG_EEES6_PlJS6_EEE10hipError_tPvRmT3_T4_T5_T6_T7_T9_mT8_P12ihipStream_tbDpT10_ENKUlT_T0_E_clISt17integral_constantIbLb0EES1A_IbLb1EEEEDaS16_S17_EUlS16_E_NS1_11comp_targetILNS1_3genE4ELNS1_11target_archE910ELNS1_3gpuE8ELNS1_3repE0EEENS1_30default_config_static_selectorELNS0_4arch9wavefront6targetE0EEEvT1_, .Lfunc_end1394-_ZN7rocprim17ROCPRIM_400000_NS6detail17trampoline_kernelINS0_14default_configENS1_25partition_config_selectorILNS1_17partition_subalgoE5EyNS0_10empty_typeEbEEZZNS1_14partition_implILS5_5ELb0ES3_mN6thrust23THRUST_200600_302600_NS6detail15normal_iteratorINSA_10device_ptrIyEEEEPS6_NSA_18transform_iteratorINSB_9not_fun_tI7is_trueIyEEESF_NSA_11use_defaultESM_EENS0_5tupleIJSF_S6_EEENSO_IJSG_SG_EEES6_PlJS6_EEE10hipError_tPvRmT3_T4_T5_T6_T7_T9_mT8_P12ihipStream_tbDpT10_ENKUlT_T0_E_clISt17integral_constantIbLb0EES1A_IbLb1EEEEDaS16_S17_EUlS16_E_NS1_11comp_targetILNS1_3genE4ELNS1_11target_archE910ELNS1_3gpuE8ELNS1_3repE0EEENS1_30default_config_static_selectorELNS0_4arch9wavefront6targetE0EEEvT1_
                                        ; -- End function
	.set _ZN7rocprim17ROCPRIM_400000_NS6detail17trampoline_kernelINS0_14default_configENS1_25partition_config_selectorILNS1_17partition_subalgoE5EyNS0_10empty_typeEbEEZZNS1_14partition_implILS5_5ELb0ES3_mN6thrust23THRUST_200600_302600_NS6detail15normal_iteratorINSA_10device_ptrIyEEEEPS6_NSA_18transform_iteratorINSB_9not_fun_tI7is_trueIyEEESF_NSA_11use_defaultESM_EENS0_5tupleIJSF_S6_EEENSO_IJSG_SG_EEES6_PlJS6_EEE10hipError_tPvRmT3_T4_T5_T6_T7_T9_mT8_P12ihipStream_tbDpT10_ENKUlT_T0_E_clISt17integral_constantIbLb0EES1A_IbLb1EEEEDaS16_S17_EUlS16_E_NS1_11comp_targetILNS1_3genE4ELNS1_11target_archE910ELNS1_3gpuE8ELNS1_3repE0EEENS1_30default_config_static_selectorELNS0_4arch9wavefront6targetE0EEEvT1_.num_vgpr, 0
	.set _ZN7rocprim17ROCPRIM_400000_NS6detail17trampoline_kernelINS0_14default_configENS1_25partition_config_selectorILNS1_17partition_subalgoE5EyNS0_10empty_typeEbEEZZNS1_14partition_implILS5_5ELb0ES3_mN6thrust23THRUST_200600_302600_NS6detail15normal_iteratorINSA_10device_ptrIyEEEEPS6_NSA_18transform_iteratorINSB_9not_fun_tI7is_trueIyEEESF_NSA_11use_defaultESM_EENS0_5tupleIJSF_S6_EEENSO_IJSG_SG_EEES6_PlJS6_EEE10hipError_tPvRmT3_T4_T5_T6_T7_T9_mT8_P12ihipStream_tbDpT10_ENKUlT_T0_E_clISt17integral_constantIbLb0EES1A_IbLb1EEEEDaS16_S17_EUlS16_E_NS1_11comp_targetILNS1_3genE4ELNS1_11target_archE910ELNS1_3gpuE8ELNS1_3repE0EEENS1_30default_config_static_selectorELNS0_4arch9wavefront6targetE0EEEvT1_.num_agpr, 0
	.set _ZN7rocprim17ROCPRIM_400000_NS6detail17trampoline_kernelINS0_14default_configENS1_25partition_config_selectorILNS1_17partition_subalgoE5EyNS0_10empty_typeEbEEZZNS1_14partition_implILS5_5ELb0ES3_mN6thrust23THRUST_200600_302600_NS6detail15normal_iteratorINSA_10device_ptrIyEEEEPS6_NSA_18transform_iteratorINSB_9not_fun_tI7is_trueIyEEESF_NSA_11use_defaultESM_EENS0_5tupleIJSF_S6_EEENSO_IJSG_SG_EEES6_PlJS6_EEE10hipError_tPvRmT3_T4_T5_T6_T7_T9_mT8_P12ihipStream_tbDpT10_ENKUlT_T0_E_clISt17integral_constantIbLb0EES1A_IbLb1EEEEDaS16_S17_EUlS16_E_NS1_11comp_targetILNS1_3genE4ELNS1_11target_archE910ELNS1_3gpuE8ELNS1_3repE0EEENS1_30default_config_static_selectorELNS0_4arch9wavefront6targetE0EEEvT1_.numbered_sgpr, 0
	.set _ZN7rocprim17ROCPRIM_400000_NS6detail17trampoline_kernelINS0_14default_configENS1_25partition_config_selectorILNS1_17partition_subalgoE5EyNS0_10empty_typeEbEEZZNS1_14partition_implILS5_5ELb0ES3_mN6thrust23THRUST_200600_302600_NS6detail15normal_iteratorINSA_10device_ptrIyEEEEPS6_NSA_18transform_iteratorINSB_9not_fun_tI7is_trueIyEEESF_NSA_11use_defaultESM_EENS0_5tupleIJSF_S6_EEENSO_IJSG_SG_EEES6_PlJS6_EEE10hipError_tPvRmT3_T4_T5_T6_T7_T9_mT8_P12ihipStream_tbDpT10_ENKUlT_T0_E_clISt17integral_constantIbLb0EES1A_IbLb1EEEEDaS16_S17_EUlS16_E_NS1_11comp_targetILNS1_3genE4ELNS1_11target_archE910ELNS1_3gpuE8ELNS1_3repE0EEENS1_30default_config_static_selectorELNS0_4arch9wavefront6targetE0EEEvT1_.num_named_barrier, 0
	.set _ZN7rocprim17ROCPRIM_400000_NS6detail17trampoline_kernelINS0_14default_configENS1_25partition_config_selectorILNS1_17partition_subalgoE5EyNS0_10empty_typeEbEEZZNS1_14partition_implILS5_5ELb0ES3_mN6thrust23THRUST_200600_302600_NS6detail15normal_iteratorINSA_10device_ptrIyEEEEPS6_NSA_18transform_iteratorINSB_9not_fun_tI7is_trueIyEEESF_NSA_11use_defaultESM_EENS0_5tupleIJSF_S6_EEENSO_IJSG_SG_EEES6_PlJS6_EEE10hipError_tPvRmT3_T4_T5_T6_T7_T9_mT8_P12ihipStream_tbDpT10_ENKUlT_T0_E_clISt17integral_constantIbLb0EES1A_IbLb1EEEEDaS16_S17_EUlS16_E_NS1_11comp_targetILNS1_3genE4ELNS1_11target_archE910ELNS1_3gpuE8ELNS1_3repE0EEENS1_30default_config_static_selectorELNS0_4arch9wavefront6targetE0EEEvT1_.private_seg_size, 0
	.set _ZN7rocprim17ROCPRIM_400000_NS6detail17trampoline_kernelINS0_14default_configENS1_25partition_config_selectorILNS1_17partition_subalgoE5EyNS0_10empty_typeEbEEZZNS1_14partition_implILS5_5ELb0ES3_mN6thrust23THRUST_200600_302600_NS6detail15normal_iteratorINSA_10device_ptrIyEEEEPS6_NSA_18transform_iteratorINSB_9not_fun_tI7is_trueIyEEESF_NSA_11use_defaultESM_EENS0_5tupleIJSF_S6_EEENSO_IJSG_SG_EEES6_PlJS6_EEE10hipError_tPvRmT3_T4_T5_T6_T7_T9_mT8_P12ihipStream_tbDpT10_ENKUlT_T0_E_clISt17integral_constantIbLb0EES1A_IbLb1EEEEDaS16_S17_EUlS16_E_NS1_11comp_targetILNS1_3genE4ELNS1_11target_archE910ELNS1_3gpuE8ELNS1_3repE0EEENS1_30default_config_static_selectorELNS0_4arch9wavefront6targetE0EEEvT1_.uses_vcc, 0
	.set _ZN7rocprim17ROCPRIM_400000_NS6detail17trampoline_kernelINS0_14default_configENS1_25partition_config_selectorILNS1_17partition_subalgoE5EyNS0_10empty_typeEbEEZZNS1_14partition_implILS5_5ELb0ES3_mN6thrust23THRUST_200600_302600_NS6detail15normal_iteratorINSA_10device_ptrIyEEEEPS6_NSA_18transform_iteratorINSB_9not_fun_tI7is_trueIyEEESF_NSA_11use_defaultESM_EENS0_5tupleIJSF_S6_EEENSO_IJSG_SG_EEES6_PlJS6_EEE10hipError_tPvRmT3_T4_T5_T6_T7_T9_mT8_P12ihipStream_tbDpT10_ENKUlT_T0_E_clISt17integral_constantIbLb0EES1A_IbLb1EEEEDaS16_S17_EUlS16_E_NS1_11comp_targetILNS1_3genE4ELNS1_11target_archE910ELNS1_3gpuE8ELNS1_3repE0EEENS1_30default_config_static_selectorELNS0_4arch9wavefront6targetE0EEEvT1_.uses_flat_scratch, 0
	.set _ZN7rocprim17ROCPRIM_400000_NS6detail17trampoline_kernelINS0_14default_configENS1_25partition_config_selectorILNS1_17partition_subalgoE5EyNS0_10empty_typeEbEEZZNS1_14partition_implILS5_5ELb0ES3_mN6thrust23THRUST_200600_302600_NS6detail15normal_iteratorINSA_10device_ptrIyEEEEPS6_NSA_18transform_iteratorINSB_9not_fun_tI7is_trueIyEEESF_NSA_11use_defaultESM_EENS0_5tupleIJSF_S6_EEENSO_IJSG_SG_EEES6_PlJS6_EEE10hipError_tPvRmT3_T4_T5_T6_T7_T9_mT8_P12ihipStream_tbDpT10_ENKUlT_T0_E_clISt17integral_constantIbLb0EES1A_IbLb1EEEEDaS16_S17_EUlS16_E_NS1_11comp_targetILNS1_3genE4ELNS1_11target_archE910ELNS1_3gpuE8ELNS1_3repE0EEENS1_30default_config_static_selectorELNS0_4arch9wavefront6targetE0EEEvT1_.has_dyn_sized_stack, 0
	.set _ZN7rocprim17ROCPRIM_400000_NS6detail17trampoline_kernelINS0_14default_configENS1_25partition_config_selectorILNS1_17partition_subalgoE5EyNS0_10empty_typeEbEEZZNS1_14partition_implILS5_5ELb0ES3_mN6thrust23THRUST_200600_302600_NS6detail15normal_iteratorINSA_10device_ptrIyEEEEPS6_NSA_18transform_iteratorINSB_9not_fun_tI7is_trueIyEEESF_NSA_11use_defaultESM_EENS0_5tupleIJSF_S6_EEENSO_IJSG_SG_EEES6_PlJS6_EEE10hipError_tPvRmT3_T4_T5_T6_T7_T9_mT8_P12ihipStream_tbDpT10_ENKUlT_T0_E_clISt17integral_constantIbLb0EES1A_IbLb1EEEEDaS16_S17_EUlS16_E_NS1_11comp_targetILNS1_3genE4ELNS1_11target_archE910ELNS1_3gpuE8ELNS1_3repE0EEENS1_30default_config_static_selectorELNS0_4arch9wavefront6targetE0EEEvT1_.has_recursion, 0
	.set _ZN7rocprim17ROCPRIM_400000_NS6detail17trampoline_kernelINS0_14default_configENS1_25partition_config_selectorILNS1_17partition_subalgoE5EyNS0_10empty_typeEbEEZZNS1_14partition_implILS5_5ELb0ES3_mN6thrust23THRUST_200600_302600_NS6detail15normal_iteratorINSA_10device_ptrIyEEEEPS6_NSA_18transform_iteratorINSB_9not_fun_tI7is_trueIyEEESF_NSA_11use_defaultESM_EENS0_5tupleIJSF_S6_EEENSO_IJSG_SG_EEES6_PlJS6_EEE10hipError_tPvRmT3_T4_T5_T6_T7_T9_mT8_P12ihipStream_tbDpT10_ENKUlT_T0_E_clISt17integral_constantIbLb0EES1A_IbLb1EEEEDaS16_S17_EUlS16_E_NS1_11comp_targetILNS1_3genE4ELNS1_11target_archE910ELNS1_3gpuE8ELNS1_3repE0EEENS1_30default_config_static_selectorELNS0_4arch9wavefront6targetE0EEEvT1_.has_indirect_call, 0
	.section	.AMDGPU.csdata,"",@progbits
; Kernel info:
; codeLenInByte = 0
; TotalNumSgprs: 0
; NumVgprs: 0
; ScratchSize: 0
; MemoryBound: 0
; FloatMode: 240
; IeeeMode: 1
; LDSByteSize: 0 bytes/workgroup (compile time only)
; SGPRBlocks: 0
; VGPRBlocks: 0
; NumSGPRsForWavesPerEU: 1
; NumVGPRsForWavesPerEU: 1
; Occupancy: 16
; WaveLimiterHint : 0
; COMPUTE_PGM_RSRC2:SCRATCH_EN: 0
; COMPUTE_PGM_RSRC2:USER_SGPR: 2
; COMPUTE_PGM_RSRC2:TRAP_HANDLER: 0
; COMPUTE_PGM_RSRC2:TGID_X_EN: 1
; COMPUTE_PGM_RSRC2:TGID_Y_EN: 0
; COMPUTE_PGM_RSRC2:TGID_Z_EN: 0
; COMPUTE_PGM_RSRC2:TIDIG_COMP_CNT: 0
	.section	.text._ZN7rocprim17ROCPRIM_400000_NS6detail17trampoline_kernelINS0_14default_configENS1_25partition_config_selectorILNS1_17partition_subalgoE5EyNS0_10empty_typeEbEEZZNS1_14partition_implILS5_5ELb0ES3_mN6thrust23THRUST_200600_302600_NS6detail15normal_iteratorINSA_10device_ptrIyEEEEPS6_NSA_18transform_iteratorINSB_9not_fun_tI7is_trueIyEEESF_NSA_11use_defaultESM_EENS0_5tupleIJSF_S6_EEENSO_IJSG_SG_EEES6_PlJS6_EEE10hipError_tPvRmT3_T4_T5_T6_T7_T9_mT8_P12ihipStream_tbDpT10_ENKUlT_T0_E_clISt17integral_constantIbLb0EES1A_IbLb1EEEEDaS16_S17_EUlS16_E_NS1_11comp_targetILNS1_3genE3ELNS1_11target_archE908ELNS1_3gpuE7ELNS1_3repE0EEENS1_30default_config_static_selectorELNS0_4arch9wavefront6targetE0EEEvT1_,"axG",@progbits,_ZN7rocprim17ROCPRIM_400000_NS6detail17trampoline_kernelINS0_14default_configENS1_25partition_config_selectorILNS1_17partition_subalgoE5EyNS0_10empty_typeEbEEZZNS1_14partition_implILS5_5ELb0ES3_mN6thrust23THRUST_200600_302600_NS6detail15normal_iteratorINSA_10device_ptrIyEEEEPS6_NSA_18transform_iteratorINSB_9not_fun_tI7is_trueIyEEESF_NSA_11use_defaultESM_EENS0_5tupleIJSF_S6_EEENSO_IJSG_SG_EEES6_PlJS6_EEE10hipError_tPvRmT3_T4_T5_T6_T7_T9_mT8_P12ihipStream_tbDpT10_ENKUlT_T0_E_clISt17integral_constantIbLb0EES1A_IbLb1EEEEDaS16_S17_EUlS16_E_NS1_11comp_targetILNS1_3genE3ELNS1_11target_archE908ELNS1_3gpuE7ELNS1_3repE0EEENS1_30default_config_static_selectorELNS0_4arch9wavefront6targetE0EEEvT1_,comdat
	.protected	_ZN7rocprim17ROCPRIM_400000_NS6detail17trampoline_kernelINS0_14default_configENS1_25partition_config_selectorILNS1_17partition_subalgoE5EyNS0_10empty_typeEbEEZZNS1_14partition_implILS5_5ELb0ES3_mN6thrust23THRUST_200600_302600_NS6detail15normal_iteratorINSA_10device_ptrIyEEEEPS6_NSA_18transform_iteratorINSB_9not_fun_tI7is_trueIyEEESF_NSA_11use_defaultESM_EENS0_5tupleIJSF_S6_EEENSO_IJSG_SG_EEES6_PlJS6_EEE10hipError_tPvRmT3_T4_T5_T6_T7_T9_mT8_P12ihipStream_tbDpT10_ENKUlT_T0_E_clISt17integral_constantIbLb0EES1A_IbLb1EEEEDaS16_S17_EUlS16_E_NS1_11comp_targetILNS1_3genE3ELNS1_11target_archE908ELNS1_3gpuE7ELNS1_3repE0EEENS1_30default_config_static_selectorELNS0_4arch9wavefront6targetE0EEEvT1_ ; -- Begin function _ZN7rocprim17ROCPRIM_400000_NS6detail17trampoline_kernelINS0_14default_configENS1_25partition_config_selectorILNS1_17partition_subalgoE5EyNS0_10empty_typeEbEEZZNS1_14partition_implILS5_5ELb0ES3_mN6thrust23THRUST_200600_302600_NS6detail15normal_iteratorINSA_10device_ptrIyEEEEPS6_NSA_18transform_iteratorINSB_9not_fun_tI7is_trueIyEEESF_NSA_11use_defaultESM_EENS0_5tupleIJSF_S6_EEENSO_IJSG_SG_EEES6_PlJS6_EEE10hipError_tPvRmT3_T4_T5_T6_T7_T9_mT8_P12ihipStream_tbDpT10_ENKUlT_T0_E_clISt17integral_constantIbLb0EES1A_IbLb1EEEEDaS16_S17_EUlS16_E_NS1_11comp_targetILNS1_3genE3ELNS1_11target_archE908ELNS1_3gpuE7ELNS1_3repE0EEENS1_30default_config_static_selectorELNS0_4arch9wavefront6targetE0EEEvT1_
	.globl	_ZN7rocprim17ROCPRIM_400000_NS6detail17trampoline_kernelINS0_14default_configENS1_25partition_config_selectorILNS1_17partition_subalgoE5EyNS0_10empty_typeEbEEZZNS1_14partition_implILS5_5ELb0ES3_mN6thrust23THRUST_200600_302600_NS6detail15normal_iteratorINSA_10device_ptrIyEEEEPS6_NSA_18transform_iteratorINSB_9not_fun_tI7is_trueIyEEESF_NSA_11use_defaultESM_EENS0_5tupleIJSF_S6_EEENSO_IJSG_SG_EEES6_PlJS6_EEE10hipError_tPvRmT3_T4_T5_T6_T7_T9_mT8_P12ihipStream_tbDpT10_ENKUlT_T0_E_clISt17integral_constantIbLb0EES1A_IbLb1EEEEDaS16_S17_EUlS16_E_NS1_11comp_targetILNS1_3genE3ELNS1_11target_archE908ELNS1_3gpuE7ELNS1_3repE0EEENS1_30default_config_static_selectorELNS0_4arch9wavefront6targetE0EEEvT1_
	.p2align	8
	.type	_ZN7rocprim17ROCPRIM_400000_NS6detail17trampoline_kernelINS0_14default_configENS1_25partition_config_selectorILNS1_17partition_subalgoE5EyNS0_10empty_typeEbEEZZNS1_14partition_implILS5_5ELb0ES3_mN6thrust23THRUST_200600_302600_NS6detail15normal_iteratorINSA_10device_ptrIyEEEEPS6_NSA_18transform_iteratorINSB_9not_fun_tI7is_trueIyEEESF_NSA_11use_defaultESM_EENS0_5tupleIJSF_S6_EEENSO_IJSG_SG_EEES6_PlJS6_EEE10hipError_tPvRmT3_T4_T5_T6_T7_T9_mT8_P12ihipStream_tbDpT10_ENKUlT_T0_E_clISt17integral_constantIbLb0EES1A_IbLb1EEEEDaS16_S17_EUlS16_E_NS1_11comp_targetILNS1_3genE3ELNS1_11target_archE908ELNS1_3gpuE7ELNS1_3repE0EEENS1_30default_config_static_selectorELNS0_4arch9wavefront6targetE0EEEvT1_,@function
_ZN7rocprim17ROCPRIM_400000_NS6detail17trampoline_kernelINS0_14default_configENS1_25partition_config_selectorILNS1_17partition_subalgoE5EyNS0_10empty_typeEbEEZZNS1_14partition_implILS5_5ELb0ES3_mN6thrust23THRUST_200600_302600_NS6detail15normal_iteratorINSA_10device_ptrIyEEEEPS6_NSA_18transform_iteratorINSB_9not_fun_tI7is_trueIyEEESF_NSA_11use_defaultESM_EENS0_5tupleIJSF_S6_EEENSO_IJSG_SG_EEES6_PlJS6_EEE10hipError_tPvRmT3_T4_T5_T6_T7_T9_mT8_P12ihipStream_tbDpT10_ENKUlT_T0_E_clISt17integral_constantIbLb0EES1A_IbLb1EEEEDaS16_S17_EUlS16_E_NS1_11comp_targetILNS1_3genE3ELNS1_11target_archE908ELNS1_3gpuE7ELNS1_3repE0EEENS1_30default_config_static_selectorELNS0_4arch9wavefront6targetE0EEEvT1_: ; @_ZN7rocprim17ROCPRIM_400000_NS6detail17trampoline_kernelINS0_14default_configENS1_25partition_config_selectorILNS1_17partition_subalgoE5EyNS0_10empty_typeEbEEZZNS1_14partition_implILS5_5ELb0ES3_mN6thrust23THRUST_200600_302600_NS6detail15normal_iteratorINSA_10device_ptrIyEEEEPS6_NSA_18transform_iteratorINSB_9not_fun_tI7is_trueIyEEESF_NSA_11use_defaultESM_EENS0_5tupleIJSF_S6_EEENSO_IJSG_SG_EEES6_PlJS6_EEE10hipError_tPvRmT3_T4_T5_T6_T7_T9_mT8_P12ihipStream_tbDpT10_ENKUlT_T0_E_clISt17integral_constantIbLb0EES1A_IbLb1EEEEDaS16_S17_EUlS16_E_NS1_11comp_targetILNS1_3genE3ELNS1_11target_archE908ELNS1_3gpuE7ELNS1_3repE0EEENS1_30default_config_static_selectorELNS0_4arch9wavefront6targetE0EEEvT1_
; %bb.0:
	.section	.rodata,"a",@progbits
	.p2align	6, 0x0
	.amdhsa_kernel _ZN7rocprim17ROCPRIM_400000_NS6detail17trampoline_kernelINS0_14default_configENS1_25partition_config_selectorILNS1_17partition_subalgoE5EyNS0_10empty_typeEbEEZZNS1_14partition_implILS5_5ELb0ES3_mN6thrust23THRUST_200600_302600_NS6detail15normal_iteratorINSA_10device_ptrIyEEEEPS6_NSA_18transform_iteratorINSB_9not_fun_tI7is_trueIyEEESF_NSA_11use_defaultESM_EENS0_5tupleIJSF_S6_EEENSO_IJSG_SG_EEES6_PlJS6_EEE10hipError_tPvRmT3_T4_T5_T6_T7_T9_mT8_P12ihipStream_tbDpT10_ENKUlT_T0_E_clISt17integral_constantIbLb0EES1A_IbLb1EEEEDaS16_S17_EUlS16_E_NS1_11comp_targetILNS1_3genE3ELNS1_11target_archE908ELNS1_3gpuE7ELNS1_3repE0EEENS1_30default_config_static_selectorELNS0_4arch9wavefront6targetE0EEEvT1_
		.amdhsa_group_segment_fixed_size 0
		.amdhsa_private_segment_fixed_size 0
		.amdhsa_kernarg_size 136
		.amdhsa_user_sgpr_count 2
		.amdhsa_user_sgpr_dispatch_ptr 0
		.amdhsa_user_sgpr_queue_ptr 0
		.amdhsa_user_sgpr_kernarg_segment_ptr 1
		.amdhsa_user_sgpr_dispatch_id 0
		.amdhsa_user_sgpr_private_segment_size 0
		.amdhsa_wavefront_size32 1
		.amdhsa_uses_dynamic_stack 0
		.amdhsa_enable_private_segment 0
		.amdhsa_system_sgpr_workgroup_id_x 1
		.amdhsa_system_sgpr_workgroup_id_y 0
		.amdhsa_system_sgpr_workgroup_id_z 0
		.amdhsa_system_sgpr_workgroup_info 0
		.amdhsa_system_vgpr_workitem_id 0
		.amdhsa_next_free_vgpr 1
		.amdhsa_next_free_sgpr 1
		.amdhsa_reserve_vcc 0
		.amdhsa_float_round_mode_32 0
		.amdhsa_float_round_mode_16_64 0
		.amdhsa_float_denorm_mode_32 3
		.amdhsa_float_denorm_mode_16_64 3
		.amdhsa_fp16_overflow 0
		.amdhsa_workgroup_processor_mode 1
		.amdhsa_memory_ordered 1
		.amdhsa_forward_progress 1
		.amdhsa_inst_pref_size 0
		.amdhsa_round_robin_scheduling 0
		.amdhsa_exception_fp_ieee_invalid_op 0
		.amdhsa_exception_fp_denorm_src 0
		.amdhsa_exception_fp_ieee_div_zero 0
		.amdhsa_exception_fp_ieee_overflow 0
		.amdhsa_exception_fp_ieee_underflow 0
		.amdhsa_exception_fp_ieee_inexact 0
		.amdhsa_exception_int_div_zero 0
	.end_amdhsa_kernel
	.section	.text._ZN7rocprim17ROCPRIM_400000_NS6detail17trampoline_kernelINS0_14default_configENS1_25partition_config_selectorILNS1_17partition_subalgoE5EyNS0_10empty_typeEbEEZZNS1_14partition_implILS5_5ELb0ES3_mN6thrust23THRUST_200600_302600_NS6detail15normal_iteratorINSA_10device_ptrIyEEEEPS6_NSA_18transform_iteratorINSB_9not_fun_tI7is_trueIyEEESF_NSA_11use_defaultESM_EENS0_5tupleIJSF_S6_EEENSO_IJSG_SG_EEES6_PlJS6_EEE10hipError_tPvRmT3_T4_T5_T6_T7_T9_mT8_P12ihipStream_tbDpT10_ENKUlT_T0_E_clISt17integral_constantIbLb0EES1A_IbLb1EEEEDaS16_S17_EUlS16_E_NS1_11comp_targetILNS1_3genE3ELNS1_11target_archE908ELNS1_3gpuE7ELNS1_3repE0EEENS1_30default_config_static_selectorELNS0_4arch9wavefront6targetE0EEEvT1_,"axG",@progbits,_ZN7rocprim17ROCPRIM_400000_NS6detail17trampoline_kernelINS0_14default_configENS1_25partition_config_selectorILNS1_17partition_subalgoE5EyNS0_10empty_typeEbEEZZNS1_14partition_implILS5_5ELb0ES3_mN6thrust23THRUST_200600_302600_NS6detail15normal_iteratorINSA_10device_ptrIyEEEEPS6_NSA_18transform_iteratorINSB_9not_fun_tI7is_trueIyEEESF_NSA_11use_defaultESM_EENS0_5tupleIJSF_S6_EEENSO_IJSG_SG_EEES6_PlJS6_EEE10hipError_tPvRmT3_T4_T5_T6_T7_T9_mT8_P12ihipStream_tbDpT10_ENKUlT_T0_E_clISt17integral_constantIbLb0EES1A_IbLb1EEEEDaS16_S17_EUlS16_E_NS1_11comp_targetILNS1_3genE3ELNS1_11target_archE908ELNS1_3gpuE7ELNS1_3repE0EEENS1_30default_config_static_selectorELNS0_4arch9wavefront6targetE0EEEvT1_,comdat
.Lfunc_end1395:
	.size	_ZN7rocprim17ROCPRIM_400000_NS6detail17trampoline_kernelINS0_14default_configENS1_25partition_config_selectorILNS1_17partition_subalgoE5EyNS0_10empty_typeEbEEZZNS1_14partition_implILS5_5ELb0ES3_mN6thrust23THRUST_200600_302600_NS6detail15normal_iteratorINSA_10device_ptrIyEEEEPS6_NSA_18transform_iteratorINSB_9not_fun_tI7is_trueIyEEESF_NSA_11use_defaultESM_EENS0_5tupleIJSF_S6_EEENSO_IJSG_SG_EEES6_PlJS6_EEE10hipError_tPvRmT3_T4_T5_T6_T7_T9_mT8_P12ihipStream_tbDpT10_ENKUlT_T0_E_clISt17integral_constantIbLb0EES1A_IbLb1EEEEDaS16_S17_EUlS16_E_NS1_11comp_targetILNS1_3genE3ELNS1_11target_archE908ELNS1_3gpuE7ELNS1_3repE0EEENS1_30default_config_static_selectorELNS0_4arch9wavefront6targetE0EEEvT1_, .Lfunc_end1395-_ZN7rocprim17ROCPRIM_400000_NS6detail17trampoline_kernelINS0_14default_configENS1_25partition_config_selectorILNS1_17partition_subalgoE5EyNS0_10empty_typeEbEEZZNS1_14partition_implILS5_5ELb0ES3_mN6thrust23THRUST_200600_302600_NS6detail15normal_iteratorINSA_10device_ptrIyEEEEPS6_NSA_18transform_iteratorINSB_9not_fun_tI7is_trueIyEEESF_NSA_11use_defaultESM_EENS0_5tupleIJSF_S6_EEENSO_IJSG_SG_EEES6_PlJS6_EEE10hipError_tPvRmT3_T4_T5_T6_T7_T9_mT8_P12ihipStream_tbDpT10_ENKUlT_T0_E_clISt17integral_constantIbLb0EES1A_IbLb1EEEEDaS16_S17_EUlS16_E_NS1_11comp_targetILNS1_3genE3ELNS1_11target_archE908ELNS1_3gpuE7ELNS1_3repE0EEENS1_30default_config_static_selectorELNS0_4arch9wavefront6targetE0EEEvT1_
                                        ; -- End function
	.set _ZN7rocprim17ROCPRIM_400000_NS6detail17trampoline_kernelINS0_14default_configENS1_25partition_config_selectorILNS1_17partition_subalgoE5EyNS0_10empty_typeEbEEZZNS1_14partition_implILS5_5ELb0ES3_mN6thrust23THRUST_200600_302600_NS6detail15normal_iteratorINSA_10device_ptrIyEEEEPS6_NSA_18transform_iteratorINSB_9not_fun_tI7is_trueIyEEESF_NSA_11use_defaultESM_EENS0_5tupleIJSF_S6_EEENSO_IJSG_SG_EEES6_PlJS6_EEE10hipError_tPvRmT3_T4_T5_T6_T7_T9_mT8_P12ihipStream_tbDpT10_ENKUlT_T0_E_clISt17integral_constantIbLb0EES1A_IbLb1EEEEDaS16_S17_EUlS16_E_NS1_11comp_targetILNS1_3genE3ELNS1_11target_archE908ELNS1_3gpuE7ELNS1_3repE0EEENS1_30default_config_static_selectorELNS0_4arch9wavefront6targetE0EEEvT1_.num_vgpr, 0
	.set _ZN7rocprim17ROCPRIM_400000_NS6detail17trampoline_kernelINS0_14default_configENS1_25partition_config_selectorILNS1_17partition_subalgoE5EyNS0_10empty_typeEbEEZZNS1_14partition_implILS5_5ELb0ES3_mN6thrust23THRUST_200600_302600_NS6detail15normal_iteratorINSA_10device_ptrIyEEEEPS6_NSA_18transform_iteratorINSB_9not_fun_tI7is_trueIyEEESF_NSA_11use_defaultESM_EENS0_5tupleIJSF_S6_EEENSO_IJSG_SG_EEES6_PlJS6_EEE10hipError_tPvRmT3_T4_T5_T6_T7_T9_mT8_P12ihipStream_tbDpT10_ENKUlT_T0_E_clISt17integral_constantIbLb0EES1A_IbLb1EEEEDaS16_S17_EUlS16_E_NS1_11comp_targetILNS1_3genE3ELNS1_11target_archE908ELNS1_3gpuE7ELNS1_3repE0EEENS1_30default_config_static_selectorELNS0_4arch9wavefront6targetE0EEEvT1_.num_agpr, 0
	.set _ZN7rocprim17ROCPRIM_400000_NS6detail17trampoline_kernelINS0_14default_configENS1_25partition_config_selectorILNS1_17partition_subalgoE5EyNS0_10empty_typeEbEEZZNS1_14partition_implILS5_5ELb0ES3_mN6thrust23THRUST_200600_302600_NS6detail15normal_iteratorINSA_10device_ptrIyEEEEPS6_NSA_18transform_iteratorINSB_9not_fun_tI7is_trueIyEEESF_NSA_11use_defaultESM_EENS0_5tupleIJSF_S6_EEENSO_IJSG_SG_EEES6_PlJS6_EEE10hipError_tPvRmT3_T4_T5_T6_T7_T9_mT8_P12ihipStream_tbDpT10_ENKUlT_T0_E_clISt17integral_constantIbLb0EES1A_IbLb1EEEEDaS16_S17_EUlS16_E_NS1_11comp_targetILNS1_3genE3ELNS1_11target_archE908ELNS1_3gpuE7ELNS1_3repE0EEENS1_30default_config_static_selectorELNS0_4arch9wavefront6targetE0EEEvT1_.numbered_sgpr, 0
	.set _ZN7rocprim17ROCPRIM_400000_NS6detail17trampoline_kernelINS0_14default_configENS1_25partition_config_selectorILNS1_17partition_subalgoE5EyNS0_10empty_typeEbEEZZNS1_14partition_implILS5_5ELb0ES3_mN6thrust23THRUST_200600_302600_NS6detail15normal_iteratorINSA_10device_ptrIyEEEEPS6_NSA_18transform_iteratorINSB_9not_fun_tI7is_trueIyEEESF_NSA_11use_defaultESM_EENS0_5tupleIJSF_S6_EEENSO_IJSG_SG_EEES6_PlJS6_EEE10hipError_tPvRmT3_T4_T5_T6_T7_T9_mT8_P12ihipStream_tbDpT10_ENKUlT_T0_E_clISt17integral_constantIbLb0EES1A_IbLb1EEEEDaS16_S17_EUlS16_E_NS1_11comp_targetILNS1_3genE3ELNS1_11target_archE908ELNS1_3gpuE7ELNS1_3repE0EEENS1_30default_config_static_selectorELNS0_4arch9wavefront6targetE0EEEvT1_.num_named_barrier, 0
	.set _ZN7rocprim17ROCPRIM_400000_NS6detail17trampoline_kernelINS0_14default_configENS1_25partition_config_selectorILNS1_17partition_subalgoE5EyNS0_10empty_typeEbEEZZNS1_14partition_implILS5_5ELb0ES3_mN6thrust23THRUST_200600_302600_NS6detail15normal_iteratorINSA_10device_ptrIyEEEEPS6_NSA_18transform_iteratorINSB_9not_fun_tI7is_trueIyEEESF_NSA_11use_defaultESM_EENS0_5tupleIJSF_S6_EEENSO_IJSG_SG_EEES6_PlJS6_EEE10hipError_tPvRmT3_T4_T5_T6_T7_T9_mT8_P12ihipStream_tbDpT10_ENKUlT_T0_E_clISt17integral_constantIbLb0EES1A_IbLb1EEEEDaS16_S17_EUlS16_E_NS1_11comp_targetILNS1_3genE3ELNS1_11target_archE908ELNS1_3gpuE7ELNS1_3repE0EEENS1_30default_config_static_selectorELNS0_4arch9wavefront6targetE0EEEvT1_.private_seg_size, 0
	.set _ZN7rocprim17ROCPRIM_400000_NS6detail17trampoline_kernelINS0_14default_configENS1_25partition_config_selectorILNS1_17partition_subalgoE5EyNS0_10empty_typeEbEEZZNS1_14partition_implILS5_5ELb0ES3_mN6thrust23THRUST_200600_302600_NS6detail15normal_iteratorINSA_10device_ptrIyEEEEPS6_NSA_18transform_iteratorINSB_9not_fun_tI7is_trueIyEEESF_NSA_11use_defaultESM_EENS0_5tupleIJSF_S6_EEENSO_IJSG_SG_EEES6_PlJS6_EEE10hipError_tPvRmT3_T4_T5_T6_T7_T9_mT8_P12ihipStream_tbDpT10_ENKUlT_T0_E_clISt17integral_constantIbLb0EES1A_IbLb1EEEEDaS16_S17_EUlS16_E_NS1_11comp_targetILNS1_3genE3ELNS1_11target_archE908ELNS1_3gpuE7ELNS1_3repE0EEENS1_30default_config_static_selectorELNS0_4arch9wavefront6targetE0EEEvT1_.uses_vcc, 0
	.set _ZN7rocprim17ROCPRIM_400000_NS6detail17trampoline_kernelINS0_14default_configENS1_25partition_config_selectorILNS1_17partition_subalgoE5EyNS0_10empty_typeEbEEZZNS1_14partition_implILS5_5ELb0ES3_mN6thrust23THRUST_200600_302600_NS6detail15normal_iteratorINSA_10device_ptrIyEEEEPS6_NSA_18transform_iteratorINSB_9not_fun_tI7is_trueIyEEESF_NSA_11use_defaultESM_EENS0_5tupleIJSF_S6_EEENSO_IJSG_SG_EEES6_PlJS6_EEE10hipError_tPvRmT3_T4_T5_T6_T7_T9_mT8_P12ihipStream_tbDpT10_ENKUlT_T0_E_clISt17integral_constantIbLb0EES1A_IbLb1EEEEDaS16_S17_EUlS16_E_NS1_11comp_targetILNS1_3genE3ELNS1_11target_archE908ELNS1_3gpuE7ELNS1_3repE0EEENS1_30default_config_static_selectorELNS0_4arch9wavefront6targetE0EEEvT1_.uses_flat_scratch, 0
	.set _ZN7rocprim17ROCPRIM_400000_NS6detail17trampoline_kernelINS0_14default_configENS1_25partition_config_selectorILNS1_17partition_subalgoE5EyNS0_10empty_typeEbEEZZNS1_14partition_implILS5_5ELb0ES3_mN6thrust23THRUST_200600_302600_NS6detail15normal_iteratorINSA_10device_ptrIyEEEEPS6_NSA_18transform_iteratorINSB_9not_fun_tI7is_trueIyEEESF_NSA_11use_defaultESM_EENS0_5tupleIJSF_S6_EEENSO_IJSG_SG_EEES6_PlJS6_EEE10hipError_tPvRmT3_T4_T5_T6_T7_T9_mT8_P12ihipStream_tbDpT10_ENKUlT_T0_E_clISt17integral_constantIbLb0EES1A_IbLb1EEEEDaS16_S17_EUlS16_E_NS1_11comp_targetILNS1_3genE3ELNS1_11target_archE908ELNS1_3gpuE7ELNS1_3repE0EEENS1_30default_config_static_selectorELNS0_4arch9wavefront6targetE0EEEvT1_.has_dyn_sized_stack, 0
	.set _ZN7rocprim17ROCPRIM_400000_NS6detail17trampoline_kernelINS0_14default_configENS1_25partition_config_selectorILNS1_17partition_subalgoE5EyNS0_10empty_typeEbEEZZNS1_14partition_implILS5_5ELb0ES3_mN6thrust23THRUST_200600_302600_NS6detail15normal_iteratorINSA_10device_ptrIyEEEEPS6_NSA_18transform_iteratorINSB_9not_fun_tI7is_trueIyEEESF_NSA_11use_defaultESM_EENS0_5tupleIJSF_S6_EEENSO_IJSG_SG_EEES6_PlJS6_EEE10hipError_tPvRmT3_T4_T5_T6_T7_T9_mT8_P12ihipStream_tbDpT10_ENKUlT_T0_E_clISt17integral_constantIbLb0EES1A_IbLb1EEEEDaS16_S17_EUlS16_E_NS1_11comp_targetILNS1_3genE3ELNS1_11target_archE908ELNS1_3gpuE7ELNS1_3repE0EEENS1_30default_config_static_selectorELNS0_4arch9wavefront6targetE0EEEvT1_.has_recursion, 0
	.set _ZN7rocprim17ROCPRIM_400000_NS6detail17trampoline_kernelINS0_14default_configENS1_25partition_config_selectorILNS1_17partition_subalgoE5EyNS0_10empty_typeEbEEZZNS1_14partition_implILS5_5ELb0ES3_mN6thrust23THRUST_200600_302600_NS6detail15normal_iteratorINSA_10device_ptrIyEEEEPS6_NSA_18transform_iteratorINSB_9not_fun_tI7is_trueIyEEESF_NSA_11use_defaultESM_EENS0_5tupleIJSF_S6_EEENSO_IJSG_SG_EEES6_PlJS6_EEE10hipError_tPvRmT3_T4_T5_T6_T7_T9_mT8_P12ihipStream_tbDpT10_ENKUlT_T0_E_clISt17integral_constantIbLb0EES1A_IbLb1EEEEDaS16_S17_EUlS16_E_NS1_11comp_targetILNS1_3genE3ELNS1_11target_archE908ELNS1_3gpuE7ELNS1_3repE0EEENS1_30default_config_static_selectorELNS0_4arch9wavefront6targetE0EEEvT1_.has_indirect_call, 0
	.section	.AMDGPU.csdata,"",@progbits
; Kernel info:
; codeLenInByte = 0
; TotalNumSgprs: 0
; NumVgprs: 0
; ScratchSize: 0
; MemoryBound: 0
; FloatMode: 240
; IeeeMode: 1
; LDSByteSize: 0 bytes/workgroup (compile time only)
; SGPRBlocks: 0
; VGPRBlocks: 0
; NumSGPRsForWavesPerEU: 1
; NumVGPRsForWavesPerEU: 1
; Occupancy: 16
; WaveLimiterHint : 0
; COMPUTE_PGM_RSRC2:SCRATCH_EN: 0
; COMPUTE_PGM_RSRC2:USER_SGPR: 2
; COMPUTE_PGM_RSRC2:TRAP_HANDLER: 0
; COMPUTE_PGM_RSRC2:TGID_X_EN: 1
; COMPUTE_PGM_RSRC2:TGID_Y_EN: 0
; COMPUTE_PGM_RSRC2:TGID_Z_EN: 0
; COMPUTE_PGM_RSRC2:TIDIG_COMP_CNT: 0
	.section	.text._ZN7rocprim17ROCPRIM_400000_NS6detail17trampoline_kernelINS0_14default_configENS1_25partition_config_selectorILNS1_17partition_subalgoE5EyNS0_10empty_typeEbEEZZNS1_14partition_implILS5_5ELb0ES3_mN6thrust23THRUST_200600_302600_NS6detail15normal_iteratorINSA_10device_ptrIyEEEEPS6_NSA_18transform_iteratorINSB_9not_fun_tI7is_trueIyEEESF_NSA_11use_defaultESM_EENS0_5tupleIJSF_S6_EEENSO_IJSG_SG_EEES6_PlJS6_EEE10hipError_tPvRmT3_T4_T5_T6_T7_T9_mT8_P12ihipStream_tbDpT10_ENKUlT_T0_E_clISt17integral_constantIbLb0EES1A_IbLb1EEEEDaS16_S17_EUlS16_E_NS1_11comp_targetILNS1_3genE2ELNS1_11target_archE906ELNS1_3gpuE6ELNS1_3repE0EEENS1_30default_config_static_selectorELNS0_4arch9wavefront6targetE0EEEvT1_,"axG",@progbits,_ZN7rocprim17ROCPRIM_400000_NS6detail17trampoline_kernelINS0_14default_configENS1_25partition_config_selectorILNS1_17partition_subalgoE5EyNS0_10empty_typeEbEEZZNS1_14partition_implILS5_5ELb0ES3_mN6thrust23THRUST_200600_302600_NS6detail15normal_iteratorINSA_10device_ptrIyEEEEPS6_NSA_18transform_iteratorINSB_9not_fun_tI7is_trueIyEEESF_NSA_11use_defaultESM_EENS0_5tupleIJSF_S6_EEENSO_IJSG_SG_EEES6_PlJS6_EEE10hipError_tPvRmT3_T4_T5_T6_T7_T9_mT8_P12ihipStream_tbDpT10_ENKUlT_T0_E_clISt17integral_constantIbLb0EES1A_IbLb1EEEEDaS16_S17_EUlS16_E_NS1_11comp_targetILNS1_3genE2ELNS1_11target_archE906ELNS1_3gpuE6ELNS1_3repE0EEENS1_30default_config_static_selectorELNS0_4arch9wavefront6targetE0EEEvT1_,comdat
	.protected	_ZN7rocprim17ROCPRIM_400000_NS6detail17trampoline_kernelINS0_14default_configENS1_25partition_config_selectorILNS1_17partition_subalgoE5EyNS0_10empty_typeEbEEZZNS1_14partition_implILS5_5ELb0ES3_mN6thrust23THRUST_200600_302600_NS6detail15normal_iteratorINSA_10device_ptrIyEEEEPS6_NSA_18transform_iteratorINSB_9not_fun_tI7is_trueIyEEESF_NSA_11use_defaultESM_EENS0_5tupleIJSF_S6_EEENSO_IJSG_SG_EEES6_PlJS6_EEE10hipError_tPvRmT3_T4_T5_T6_T7_T9_mT8_P12ihipStream_tbDpT10_ENKUlT_T0_E_clISt17integral_constantIbLb0EES1A_IbLb1EEEEDaS16_S17_EUlS16_E_NS1_11comp_targetILNS1_3genE2ELNS1_11target_archE906ELNS1_3gpuE6ELNS1_3repE0EEENS1_30default_config_static_selectorELNS0_4arch9wavefront6targetE0EEEvT1_ ; -- Begin function _ZN7rocprim17ROCPRIM_400000_NS6detail17trampoline_kernelINS0_14default_configENS1_25partition_config_selectorILNS1_17partition_subalgoE5EyNS0_10empty_typeEbEEZZNS1_14partition_implILS5_5ELb0ES3_mN6thrust23THRUST_200600_302600_NS6detail15normal_iteratorINSA_10device_ptrIyEEEEPS6_NSA_18transform_iteratorINSB_9not_fun_tI7is_trueIyEEESF_NSA_11use_defaultESM_EENS0_5tupleIJSF_S6_EEENSO_IJSG_SG_EEES6_PlJS6_EEE10hipError_tPvRmT3_T4_T5_T6_T7_T9_mT8_P12ihipStream_tbDpT10_ENKUlT_T0_E_clISt17integral_constantIbLb0EES1A_IbLb1EEEEDaS16_S17_EUlS16_E_NS1_11comp_targetILNS1_3genE2ELNS1_11target_archE906ELNS1_3gpuE6ELNS1_3repE0EEENS1_30default_config_static_selectorELNS0_4arch9wavefront6targetE0EEEvT1_
	.globl	_ZN7rocprim17ROCPRIM_400000_NS6detail17trampoline_kernelINS0_14default_configENS1_25partition_config_selectorILNS1_17partition_subalgoE5EyNS0_10empty_typeEbEEZZNS1_14partition_implILS5_5ELb0ES3_mN6thrust23THRUST_200600_302600_NS6detail15normal_iteratorINSA_10device_ptrIyEEEEPS6_NSA_18transform_iteratorINSB_9not_fun_tI7is_trueIyEEESF_NSA_11use_defaultESM_EENS0_5tupleIJSF_S6_EEENSO_IJSG_SG_EEES6_PlJS6_EEE10hipError_tPvRmT3_T4_T5_T6_T7_T9_mT8_P12ihipStream_tbDpT10_ENKUlT_T0_E_clISt17integral_constantIbLb0EES1A_IbLb1EEEEDaS16_S17_EUlS16_E_NS1_11comp_targetILNS1_3genE2ELNS1_11target_archE906ELNS1_3gpuE6ELNS1_3repE0EEENS1_30default_config_static_selectorELNS0_4arch9wavefront6targetE0EEEvT1_
	.p2align	8
	.type	_ZN7rocprim17ROCPRIM_400000_NS6detail17trampoline_kernelINS0_14default_configENS1_25partition_config_selectorILNS1_17partition_subalgoE5EyNS0_10empty_typeEbEEZZNS1_14partition_implILS5_5ELb0ES3_mN6thrust23THRUST_200600_302600_NS6detail15normal_iteratorINSA_10device_ptrIyEEEEPS6_NSA_18transform_iteratorINSB_9not_fun_tI7is_trueIyEEESF_NSA_11use_defaultESM_EENS0_5tupleIJSF_S6_EEENSO_IJSG_SG_EEES6_PlJS6_EEE10hipError_tPvRmT3_T4_T5_T6_T7_T9_mT8_P12ihipStream_tbDpT10_ENKUlT_T0_E_clISt17integral_constantIbLb0EES1A_IbLb1EEEEDaS16_S17_EUlS16_E_NS1_11comp_targetILNS1_3genE2ELNS1_11target_archE906ELNS1_3gpuE6ELNS1_3repE0EEENS1_30default_config_static_selectorELNS0_4arch9wavefront6targetE0EEEvT1_,@function
_ZN7rocprim17ROCPRIM_400000_NS6detail17trampoline_kernelINS0_14default_configENS1_25partition_config_selectorILNS1_17partition_subalgoE5EyNS0_10empty_typeEbEEZZNS1_14partition_implILS5_5ELb0ES3_mN6thrust23THRUST_200600_302600_NS6detail15normal_iteratorINSA_10device_ptrIyEEEEPS6_NSA_18transform_iteratorINSB_9not_fun_tI7is_trueIyEEESF_NSA_11use_defaultESM_EENS0_5tupleIJSF_S6_EEENSO_IJSG_SG_EEES6_PlJS6_EEE10hipError_tPvRmT3_T4_T5_T6_T7_T9_mT8_P12ihipStream_tbDpT10_ENKUlT_T0_E_clISt17integral_constantIbLb0EES1A_IbLb1EEEEDaS16_S17_EUlS16_E_NS1_11comp_targetILNS1_3genE2ELNS1_11target_archE906ELNS1_3gpuE6ELNS1_3repE0EEENS1_30default_config_static_selectorELNS0_4arch9wavefront6targetE0EEEvT1_: ; @_ZN7rocprim17ROCPRIM_400000_NS6detail17trampoline_kernelINS0_14default_configENS1_25partition_config_selectorILNS1_17partition_subalgoE5EyNS0_10empty_typeEbEEZZNS1_14partition_implILS5_5ELb0ES3_mN6thrust23THRUST_200600_302600_NS6detail15normal_iteratorINSA_10device_ptrIyEEEEPS6_NSA_18transform_iteratorINSB_9not_fun_tI7is_trueIyEEESF_NSA_11use_defaultESM_EENS0_5tupleIJSF_S6_EEENSO_IJSG_SG_EEES6_PlJS6_EEE10hipError_tPvRmT3_T4_T5_T6_T7_T9_mT8_P12ihipStream_tbDpT10_ENKUlT_T0_E_clISt17integral_constantIbLb0EES1A_IbLb1EEEEDaS16_S17_EUlS16_E_NS1_11comp_targetILNS1_3genE2ELNS1_11target_archE906ELNS1_3gpuE6ELNS1_3repE0EEENS1_30default_config_static_selectorELNS0_4arch9wavefront6targetE0EEEvT1_
; %bb.0:
	.section	.rodata,"a",@progbits
	.p2align	6, 0x0
	.amdhsa_kernel _ZN7rocprim17ROCPRIM_400000_NS6detail17trampoline_kernelINS0_14default_configENS1_25partition_config_selectorILNS1_17partition_subalgoE5EyNS0_10empty_typeEbEEZZNS1_14partition_implILS5_5ELb0ES3_mN6thrust23THRUST_200600_302600_NS6detail15normal_iteratorINSA_10device_ptrIyEEEEPS6_NSA_18transform_iteratorINSB_9not_fun_tI7is_trueIyEEESF_NSA_11use_defaultESM_EENS0_5tupleIJSF_S6_EEENSO_IJSG_SG_EEES6_PlJS6_EEE10hipError_tPvRmT3_T4_T5_T6_T7_T9_mT8_P12ihipStream_tbDpT10_ENKUlT_T0_E_clISt17integral_constantIbLb0EES1A_IbLb1EEEEDaS16_S17_EUlS16_E_NS1_11comp_targetILNS1_3genE2ELNS1_11target_archE906ELNS1_3gpuE6ELNS1_3repE0EEENS1_30default_config_static_selectorELNS0_4arch9wavefront6targetE0EEEvT1_
		.amdhsa_group_segment_fixed_size 0
		.amdhsa_private_segment_fixed_size 0
		.amdhsa_kernarg_size 136
		.amdhsa_user_sgpr_count 2
		.amdhsa_user_sgpr_dispatch_ptr 0
		.amdhsa_user_sgpr_queue_ptr 0
		.amdhsa_user_sgpr_kernarg_segment_ptr 1
		.amdhsa_user_sgpr_dispatch_id 0
		.amdhsa_user_sgpr_private_segment_size 0
		.amdhsa_wavefront_size32 1
		.amdhsa_uses_dynamic_stack 0
		.amdhsa_enable_private_segment 0
		.amdhsa_system_sgpr_workgroup_id_x 1
		.amdhsa_system_sgpr_workgroup_id_y 0
		.amdhsa_system_sgpr_workgroup_id_z 0
		.amdhsa_system_sgpr_workgroup_info 0
		.amdhsa_system_vgpr_workitem_id 0
		.amdhsa_next_free_vgpr 1
		.amdhsa_next_free_sgpr 1
		.amdhsa_reserve_vcc 0
		.amdhsa_float_round_mode_32 0
		.amdhsa_float_round_mode_16_64 0
		.amdhsa_float_denorm_mode_32 3
		.amdhsa_float_denorm_mode_16_64 3
		.amdhsa_fp16_overflow 0
		.amdhsa_workgroup_processor_mode 1
		.amdhsa_memory_ordered 1
		.amdhsa_forward_progress 1
		.amdhsa_inst_pref_size 0
		.amdhsa_round_robin_scheduling 0
		.amdhsa_exception_fp_ieee_invalid_op 0
		.amdhsa_exception_fp_denorm_src 0
		.amdhsa_exception_fp_ieee_div_zero 0
		.amdhsa_exception_fp_ieee_overflow 0
		.amdhsa_exception_fp_ieee_underflow 0
		.amdhsa_exception_fp_ieee_inexact 0
		.amdhsa_exception_int_div_zero 0
	.end_amdhsa_kernel
	.section	.text._ZN7rocprim17ROCPRIM_400000_NS6detail17trampoline_kernelINS0_14default_configENS1_25partition_config_selectorILNS1_17partition_subalgoE5EyNS0_10empty_typeEbEEZZNS1_14partition_implILS5_5ELb0ES3_mN6thrust23THRUST_200600_302600_NS6detail15normal_iteratorINSA_10device_ptrIyEEEEPS6_NSA_18transform_iteratorINSB_9not_fun_tI7is_trueIyEEESF_NSA_11use_defaultESM_EENS0_5tupleIJSF_S6_EEENSO_IJSG_SG_EEES6_PlJS6_EEE10hipError_tPvRmT3_T4_T5_T6_T7_T9_mT8_P12ihipStream_tbDpT10_ENKUlT_T0_E_clISt17integral_constantIbLb0EES1A_IbLb1EEEEDaS16_S17_EUlS16_E_NS1_11comp_targetILNS1_3genE2ELNS1_11target_archE906ELNS1_3gpuE6ELNS1_3repE0EEENS1_30default_config_static_selectorELNS0_4arch9wavefront6targetE0EEEvT1_,"axG",@progbits,_ZN7rocprim17ROCPRIM_400000_NS6detail17trampoline_kernelINS0_14default_configENS1_25partition_config_selectorILNS1_17partition_subalgoE5EyNS0_10empty_typeEbEEZZNS1_14partition_implILS5_5ELb0ES3_mN6thrust23THRUST_200600_302600_NS6detail15normal_iteratorINSA_10device_ptrIyEEEEPS6_NSA_18transform_iteratorINSB_9not_fun_tI7is_trueIyEEESF_NSA_11use_defaultESM_EENS0_5tupleIJSF_S6_EEENSO_IJSG_SG_EEES6_PlJS6_EEE10hipError_tPvRmT3_T4_T5_T6_T7_T9_mT8_P12ihipStream_tbDpT10_ENKUlT_T0_E_clISt17integral_constantIbLb0EES1A_IbLb1EEEEDaS16_S17_EUlS16_E_NS1_11comp_targetILNS1_3genE2ELNS1_11target_archE906ELNS1_3gpuE6ELNS1_3repE0EEENS1_30default_config_static_selectorELNS0_4arch9wavefront6targetE0EEEvT1_,comdat
.Lfunc_end1396:
	.size	_ZN7rocprim17ROCPRIM_400000_NS6detail17trampoline_kernelINS0_14default_configENS1_25partition_config_selectorILNS1_17partition_subalgoE5EyNS0_10empty_typeEbEEZZNS1_14partition_implILS5_5ELb0ES3_mN6thrust23THRUST_200600_302600_NS6detail15normal_iteratorINSA_10device_ptrIyEEEEPS6_NSA_18transform_iteratorINSB_9not_fun_tI7is_trueIyEEESF_NSA_11use_defaultESM_EENS0_5tupleIJSF_S6_EEENSO_IJSG_SG_EEES6_PlJS6_EEE10hipError_tPvRmT3_T4_T5_T6_T7_T9_mT8_P12ihipStream_tbDpT10_ENKUlT_T0_E_clISt17integral_constantIbLb0EES1A_IbLb1EEEEDaS16_S17_EUlS16_E_NS1_11comp_targetILNS1_3genE2ELNS1_11target_archE906ELNS1_3gpuE6ELNS1_3repE0EEENS1_30default_config_static_selectorELNS0_4arch9wavefront6targetE0EEEvT1_, .Lfunc_end1396-_ZN7rocprim17ROCPRIM_400000_NS6detail17trampoline_kernelINS0_14default_configENS1_25partition_config_selectorILNS1_17partition_subalgoE5EyNS0_10empty_typeEbEEZZNS1_14partition_implILS5_5ELb0ES3_mN6thrust23THRUST_200600_302600_NS6detail15normal_iteratorINSA_10device_ptrIyEEEEPS6_NSA_18transform_iteratorINSB_9not_fun_tI7is_trueIyEEESF_NSA_11use_defaultESM_EENS0_5tupleIJSF_S6_EEENSO_IJSG_SG_EEES6_PlJS6_EEE10hipError_tPvRmT3_T4_T5_T6_T7_T9_mT8_P12ihipStream_tbDpT10_ENKUlT_T0_E_clISt17integral_constantIbLb0EES1A_IbLb1EEEEDaS16_S17_EUlS16_E_NS1_11comp_targetILNS1_3genE2ELNS1_11target_archE906ELNS1_3gpuE6ELNS1_3repE0EEENS1_30default_config_static_selectorELNS0_4arch9wavefront6targetE0EEEvT1_
                                        ; -- End function
	.set _ZN7rocprim17ROCPRIM_400000_NS6detail17trampoline_kernelINS0_14default_configENS1_25partition_config_selectorILNS1_17partition_subalgoE5EyNS0_10empty_typeEbEEZZNS1_14partition_implILS5_5ELb0ES3_mN6thrust23THRUST_200600_302600_NS6detail15normal_iteratorINSA_10device_ptrIyEEEEPS6_NSA_18transform_iteratorINSB_9not_fun_tI7is_trueIyEEESF_NSA_11use_defaultESM_EENS0_5tupleIJSF_S6_EEENSO_IJSG_SG_EEES6_PlJS6_EEE10hipError_tPvRmT3_T4_T5_T6_T7_T9_mT8_P12ihipStream_tbDpT10_ENKUlT_T0_E_clISt17integral_constantIbLb0EES1A_IbLb1EEEEDaS16_S17_EUlS16_E_NS1_11comp_targetILNS1_3genE2ELNS1_11target_archE906ELNS1_3gpuE6ELNS1_3repE0EEENS1_30default_config_static_selectorELNS0_4arch9wavefront6targetE0EEEvT1_.num_vgpr, 0
	.set _ZN7rocprim17ROCPRIM_400000_NS6detail17trampoline_kernelINS0_14default_configENS1_25partition_config_selectorILNS1_17partition_subalgoE5EyNS0_10empty_typeEbEEZZNS1_14partition_implILS5_5ELb0ES3_mN6thrust23THRUST_200600_302600_NS6detail15normal_iteratorINSA_10device_ptrIyEEEEPS6_NSA_18transform_iteratorINSB_9not_fun_tI7is_trueIyEEESF_NSA_11use_defaultESM_EENS0_5tupleIJSF_S6_EEENSO_IJSG_SG_EEES6_PlJS6_EEE10hipError_tPvRmT3_T4_T5_T6_T7_T9_mT8_P12ihipStream_tbDpT10_ENKUlT_T0_E_clISt17integral_constantIbLb0EES1A_IbLb1EEEEDaS16_S17_EUlS16_E_NS1_11comp_targetILNS1_3genE2ELNS1_11target_archE906ELNS1_3gpuE6ELNS1_3repE0EEENS1_30default_config_static_selectorELNS0_4arch9wavefront6targetE0EEEvT1_.num_agpr, 0
	.set _ZN7rocprim17ROCPRIM_400000_NS6detail17trampoline_kernelINS0_14default_configENS1_25partition_config_selectorILNS1_17partition_subalgoE5EyNS0_10empty_typeEbEEZZNS1_14partition_implILS5_5ELb0ES3_mN6thrust23THRUST_200600_302600_NS6detail15normal_iteratorINSA_10device_ptrIyEEEEPS6_NSA_18transform_iteratorINSB_9not_fun_tI7is_trueIyEEESF_NSA_11use_defaultESM_EENS0_5tupleIJSF_S6_EEENSO_IJSG_SG_EEES6_PlJS6_EEE10hipError_tPvRmT3_T4_T5_T6_T7_T9_mT8_P12ihipStream_tbDpT10_ENKUlT_T0_E_clISt17integral_constantIbLb0EES1A_IbLb1EEEEDaS16_S17_EUlS16_E_NS1_11comp_targetILNS1_3genE2ELNS1_11target_archE906ELNS1_3gpuE6ELNS1_3repE0EEENS1_30default_config_static_selectorELNS0_4arch9wavefront6targetE0EEEvT1_.numbered_sgpr, 0
	.set _ZN7rocprim17ROCPRIM_400000_NS6detail17trampoline_kernelINS0_14default_configENS1_25partition_config_selectorILNS1_17partition_subalgoE5EyNS0_10empty_typeEbEEZZNS1_14partition_implILS5_5ELb0ES3_mN6thrust23THRUST_200600_302600_NS6detail15normal_iteratorINSA_10device_ptrIyEEEEPS6_NSA_18transform_iteratorINSB_9not_fun_tI7is_trueIyEEESF_NSA_11use_defaultESM_EENS0_5tupleIJSF_S6_EEENSO_IJSG_SG_EEES6_PlJS6_EEE10hipError_tPvRmT3_T4_T5_T6_T7_T9_mT8_P12ihipStream_tbDpT10_ENKUlT_T0_E_clISt17integral_constantIbLb0EES1A_IbLb1EEEEDaS16_S17_EUlS16_E_NS1_11comp_targetILNS1_3genE2ELNS1_11target_archE906ELNS1_3gpuE6ELNS1_3repE0EEENS1_30default_config_static_selectorELNS0_4arch9wavefront6targetE0EEEvT1_.num_named_barrier, 0
	.set _ZN7rocprim17ROCPRIM_400000_NS6detail17trampoline_kernelINS0_14default_configENS1_25partition_config_selectorILNS1_17partition_subalgoE5EyNS0_10empty_typeEbEEZZNS1_14partition_implILS5_5ELb0ES3_mN6thrust23THRUST_200600_302600_NS6detail15normal_iteratorINSA_10device_ptrIyEEEEPS6_NSA_18transform_iteratorINSB_9not_fun_tI7is_trueIyEEESF_NSA_11use_defaultESM_EENS0_5tupleIJSF_S6_EEENSO_IJSG_SG_EEES6_PlJS6_EEE10hipError_tPvRmT3_T4_T5_T6_T7_T9_mT8_P12ihipStream_tbDpT10_ENKUlT_T0_E_clISt17integral_constantIbLb0EES1A_IbLb1EEEEDaS16_S17_EUlS16_E_NS1_11comp_targetILNS1_3genE2ELNS1_11target_archE906ELNS1_3gpuE6ELNS1_3repE0EEENS1_30default_config_static_selectorELNS0_4arch9wavefront6targetE0EEEvT1_.private_seg_size, 0
	.set _ZN7rocprim17ROCPRIM_400000_NS6detail17trampoline_kernelINS0_14default_configENS1_25partition_config_selectorILNS1_17partition_subalgoE5EyNS0_10empty_typeEbEEZZNS1_14partition_implILS5_5ELb0ES3_mN6thrust23THRUST_200600_302600_NS6detail15normal_iteratorINSA_10device_ptrIyEEEEPS6_NSA_18transform_iteratorINSB_9not_fun_tI7is_trueIyEEESF_NSA_11use_defaultESM_EENS0_5tupleIJSF_S6_EEENSO_IJSG_SG_EEES6_PlJS6_EEE10hipError_tPvRmT3_T4_T5_T6_T7_T9_mT8_P12ihipStream_tbDpT10_ENKUlT_T0_E_clISt17integral_constantIbLb0EES1A_IbLb1EEEEDaS16_S17_EUlS16_E_NS1_11comp_targetILNS1_3genE2ELNS1_11target_archE906ELNS1_3gpuE6ELNS1_3repE0EEENS1_30default_config_static_selectorELNS0_4arch9wavefront6targetE0EEEvT1_.uses_vcc, 0
	.set _ZN7rocprim17ROCPRIM_400000_NS6detail17trampoline_kernelINS0_14default_configENS1_25partition_config_selectorILNS1_17partition_subalgoE5EyNS0_10empty_typeEbEEZZNS1_14partition_implILS5_5ELb0ES3_mN6thrust23THRUST_200600_302600_NS6detail15normal_iteratorINSA_10device_ptrIyEEEEPS6_NSA_18transform_iteratorINSB_9not_fun_tI7is_trueIyEEESF_NSA_11use_defaultESM_EENS0_5tupleIJSF_S6_EEENSO_IJSG_SG_EEES6_PlJS6_EEE10hipError_tPvRmT3_T4_T5_T6_T7_T9_mT8_P12ihipStream_tbDpT10_ENKUlT_T0_E_clISt17integral_constantIbLb0EES1A_IbLb1EEEEDaS16_S17_EUlS16_E_NS1_11comp_targetILNS1_3genE2ELNS1_11target_archE906ELNS1_3gpuE6ELNS1_3repE0EEENS1_30default_config_static_selectorELNS0_4arch9wavefront6targetE0EEEvT1_.uses_flat_scratch, 0
	.set _ZN7rocprim17ROCPRIM_400000_NS6detail17trampoline_kernelINS0_14default_configENS1_25partition_config_selectorILNS1_17partition_subalgoE5EyNS0_10empty_typeEbEEZZNS1_14partition_implILS5_5ELb0ES3_mN6thrust23THRUST_200600_302600_NS6detail15normal_iteratorINSA_10device_ptrIyEEEEPS6_NSA_18transform_iteratorINSB_9not_fun_tI7is_trueIyEEESF_NSA_11use_defaultESM_EENS0_5tupleIJSF_S6_EEENSO_IJSG_SG_EEES6_PlJS6_EEE10hipError_tPvRmT3_T4_T5_T6_T7_T9_mT8_P12ihipStream_tbDpT10_ENKUlT_T0_E_clISt17integral_constantIbLb0EES1A_IbLb1EEEEDaS16_S17_EUlS16_E_NS1_11comp_targetILNS1_3genE2ELNS1_11target_archE906ELNS1_3gpuE6ELNS1_3repE0EEENS1_30default_config_static_selectorELNS0_4arch9wavefront6targetE0EEEvT1_.has_dyn_sized_stack, 0
	.set _ZN7rocprim17ROCPRIM_400000_NS6detail17trampoline_kernelINS0_14default_configENS1_25partition_config_selectorILNS1_17partition_subalgoE5EyNS0_10empty_typeEbEEZZNS1_14partition_implILS5_5ELb0ES3_mN6thrust23THRUST_200600_302600_NS6detail15normal_iteratorINSA_10device_ptrIyEEEEPS6_NSA_18transform_iteratorINSB_9not_fun_tI7is_trueIyEEESF_NSA_11use_defaultESM_EENS0_5tupleIJSF_S6_EEENSO_IJSG_SG_EEES6_PlJS6_EEE10hipError_tPvRmT3_T4_T5_T6_T7_T9_mT8_P12ihipStream_tbDpT10_ENKUlT_T0_E_clISt17integral_constantIbLb0EES1A_IbLb1EEEEDaS16_S17_EUlS16_E_NS1_11comp_targetILNS1_3genE2ELNS1_11target_archE906ELNS1_3gpuE6ELNS1_3repE0EEENS1_30default_config_static_selectorELNS0_4arch9wavefront6targetE0EEEvT1_.has_recursion, 0
	.set _ZN7rocprim17ROCPRIM_400000_NS6detail17trampoline_kernelINS0_14default_configENS1_25partition_config_selectorILNS1_17partition_subalgoE5EyNS0_10empty_typeEbEEZZNS1_14partition_implILS5_5ELb0ES3_mN6thrust23THRUST_200600_302600_NS6detail15normal_iteratorINSA_10device_ptrIyEEEEPS6_NSA_18transform_iteratorINSB_9not_fun_tI7is_trueIyEEESF_NSA_11use_defaultESM_EENS0_5tupleIJSF_S6_EEENSO_IJSG_SG_EEES6_PlJS6_EEE10hipError_tPvRmT3_T4_T5_T6_T7_T9_mT8_P12ihipStream_tbDpT10_ENKUlT_T0_E_clISt17integral_constantIbLb0EES1A_IbLb1EEEEDaS16_S17_EUlS16_E_NS1_11comp_targetILNS1_3genE2ELNS1_11target_archE906ELNS1_3gpuE6ELNS1_3repE0EEENS1_30default_config_static_selectorELNS0_4arch9wavefront6targetE0EEEvT1_.has_indirect_call, 0
	.section	.AMDGPU.csdata,"",@progbits
; Kernel info:
; codeLenInByte = 0
; TotalNumSgprs: 0
; NumVgprs: 0
; ScratchSize: 0
; MemoryBound: 0
; FloatMode: 240
; IeeeMode: 1
; LDSByteSize: 0 bytes/workgroup (compile time only)
; SGPRBlocks: 0
; VGPRBlocks: 0
; NumSGPRsForWavesPerEU: 1
; NumVGPRsForWavesPerEU: 1
; Occupancy: 16
; WaveLimiterHint : 0
; COMPUTE_PGM_RSRC2:SCRATCH_EN: 0
; COMPUTE_PGM_RSRC2:USER_SGPR: 2
; COMPUTE_PGM_RSRC2:TRAP_HANDLER: 0
; COMPUTE_PGM_RSRC2:TGID_X_EN: 1
; COMPUTE_PGM_RSRC2:TGID_Y_EN: 0
; COMPUTE_PGM_RSRC2:TGID_Z_EN: 0
; COMPUTE_PGM_RSRC2:TIDIG_COMP_CNT: 0
	.section	.text._ZN7rocprim17ROCPRIM_400000_NS6detail17trampoline_kernelINS0_14default_configENS1_25partition_config_selectorILNS1_17partition_subalgoE5EyNS0_10empty_typeEbEEZZNS1_14partition_implILS5_5ELb0ES3_mN6thrust23THRUST_200600_302600_NS6detail15normal_iteratorINSA_10device_ptrIyEEEEPS6_NSA_18transform_iteratorINSB_9not_fun_tI7is_trueIyEEESF_NSA_11use_defaultESM_EENS0_5tupleIJSF_S6_EEENSO_IJSG_SG_EEES6_PlJS6_EEE10hipError_tPvRmT3_T4_T5_T6_T7_T9_mT8_P12ihipStream_tbDpT10_ENKUlT_T0_E_clISt17integral_constantIbLb0EES1A_IbLb1EEEEDaS16_S17_EUlS16_E_NS1_11comp_targetILNS1_3genE10ELNS1_11target_archE1200ELNS1_3gpuE4ELNS1_3repE0EEENS1_30default_config_static_selectorELNS0_4arch9wavefront6targetE0EEEvT1_,"axG",@progbits,_ZN7rocprim17ROCPRIM_400000_NS6detail17trampoline_kernelINS0_14default_configENS1_25partition_config_selectorILNS1_17partition_subalgoE5EyNS0_10empty_typeEbEEZZNS1_14partition_implILS5_5ELb0ES3_mN6thrust23THRUST_200600_302600_NS6detail15normal_iteratorINSA_10device_ptrIyEEEEPS6_NSA_18transform_iteratorINSB_9not_fun_tI7is_trueIyEEESF_NSA_11use_defaultESM_EENS0_5tupleIJSF_S6_EEENSO_IJSG_SG_EEES6_PlJS6_EEE10hipError_tPvRmT3_T4_T5_T6_T7_T9_mT8_P12ihipStream_tbDpT10_ENKUlT_T0_E_clISt17integral_constantIbLb0EES1A_IbLb1EEEEDaS16_S17_EUlS16_E_NS1_11comp_targetILNS1_3genE10ELNS1_11target_archE1200ELNS1_3gpuE4ELNS1_3repE0EEENS1_30default_config_static_selectorELNS0_4arch9wavefront6targetE0EEEvT1_,comdat
	.protected	_ZN7rocprim17ROCPRIM_400000_NS6detail17trampoline_kernelINS0_14default_configENS1_25partition_config_selectorILNS1_17partition_subalgoE5EyNS0_10empty_typeEbEEZZNS1_14partition_implILS5_5ELb0ES3_mN6thrust23THRUST_200600_302600_NS6detail15normal_iteratorINSA_10device_ptrIyEEEEPS6_NSA_18transform_iteratorINSB_9not_fun_tI7is_trueIyEEESF_NSA_11use_defaultESM_EENS0_5tupleIJSF_S6_EEENSO_IJSG_SG_EEES6_PlJS6_EEE10hipError_tPvRmT3_T4_T5_T6_T7_T9_mT8_P12ihipStream_tbDpT10_ENKUlT_T0_E_clISt17integral_constantIbLb0EES1A_IbLb1EEEEDaS16_S17_EUlS16_E_NS1_11comp_targetILNS1_3genE10ELNS1_11target_archE1200ELNS1_3gpuE4ELNS1_3repE0EEENS1_30default_config_static_selectorELNS0_4arch9wavefront6targetE0EEEvT1_ ; -- Begin function _ZN7rocprim17ROCPRIM_400000_NS6detail17trampoline_kernelINS0_14default_configENS1_25partition_config_selectorILNS1_17partition_subalgoE5EyNS0_10empty_typeEbEEZZNS1_14partition_implILS5_5ELb0ES3_mN6thrust23THRUST_200600_302600_NS6detail15normal_iteratorINSA_10device_ptrIyEEEEPS6_NSA_18transform_iteratorINSB_9not_fun_tI7is_trueIyEEESF_NSA_11use_defaultESM_EENS0_5tupleIJSF_S6_EEENSO_IJSG_SG_EEES6_PlJS6_EEE10hipError_tPvRmT3_T4_T5_T6_T7_T9_mT8_P12ihipStream_tbDpT10_ENKUlT_T0_E_clISt17integral_constantIbLb0EES1A_IbLb1EEEEDaS16_S17_EUlS16_E_NS1_11comp_targetILNS1_3genE10ELNS1_11target_archE1200ELNS1_3gpuE4ELNS1_3repE0EEENS1_30default_config_static_selectorELNS0_4arch9wavefront6targetE0EEEvT1_
	.globl	_ZN7rocprim17ROCPRIM_400000_NS6detail17trampoline_kernelINS0_14default_configENS1_25partition_config_selectorILNS1_17partition_subalgoE5EyNS0_10empty_typeEbEEZZNS1_14partition_implILS5_5ELb0ES3_mN6thrust23THRUST_200600_302600_NS6detail15normal_iteratorINSA_10device_ptrIyEEEEPS6_NSA_18transform_iteratorINSB_9not_fun_tI7is_trueIyEEESF_NSA_11use_defaultESM_EENS0_5tupleIJSF_S6_EEENSO_IJSG_SG_EEES6_PlJS6_EEE10hipError_tPvRmT3_T4_T5_T6_T7_T9_mT8_P12ihipStream_tbDpT10_ENKUlT_T0_E_clISt17integral_constantIbLb0EES1A_IbLb1EEEEDaS16_S17_EUlS16_E_NS1_11comp_targetILNS1_3genE10ELNS1_11target_archE1200ELNS1_3gpuE4ELNS1_3repE0EEENS1_30default_config_static_selectorELNS0_4arch9wavefront6targetE0EEEvT1_
	.p2align	8
	.type	_ZN7rocprim17ROCPRIM_400000_NS6detail17trampoline_kernelINS0_14default_configENS1_25partition_config_selectorILNS1_17partition_subalgoE5EyNS0_10empty_typeEbEEZZNS1_14partition_implILS5_5ELb0ES3_mN6thrust23THRUST_200600_302600_NS6detail15normal_iteratorINSA_10device_ptrIyEEEEPS6_NSA_18transform_iteratorINSB_9not_fun_tI7is_trueIyEEESF_NSA_11use_defaultESM_EENS0_5tupleIJSF_S6_EEENSO_IJSG_SG_EEES6_PlJS6_EEE10hipError_tPvRmT3_T4_T5_T6_T7_T9_mT8_P12ihipStream_tbDpT10_ENKUlT_T0_E_clISt17integral_constantIbLb0EES1A_IbLb1EEEEDaS16_S17_EUlS16_E_NS1_11comp_targetILNS1_3genE10ELNS1_11target_archE1200ELNS1_3gpuE4ELNS1_3repE0EEENS1_30default_config_static_selectorELNS0_4arch9wavefront6targetE0EEEvT1_,@function
_ZN7rocprim17ROCPRIM_400000_NS6detail17trampoline_kernelINS0_14default_configENS1_25partition_config_selectorILNS1_17partition_subalgoE5EyNS0_10empty_typeEbEEZZNS1_14partition_implILS5_5ELb0ES3_mN6thrust23THRUST_200600_302600_NS6detail15normal_iteratorINSA_10device_ptrIyEEEEPS6_NSA_18transform_iteratorINSB_9not_fun_tI7is_trueIyEEESF_NSA_11use_defaultESM_EENS0_5tupleIJSF_S6_EEENSO_IJSG_SG_EEES6_PlJS6_EEE10hipError_tPvRmT3_T4_T5_T6_T7_T9_mT8_P12ihipStream_tbDpT10_ENKUlT_T0_E_clISt17integral_constantIbLb0EES1A_IbLb1EEEEDaS16_S17_EUlS16_E_NS1_11comp_targetILNS1_3genE10ELNS1_11target_archE1200ELNS1_3gpuE4ELNS1_3repE0EEENS1_30default_config_static_selectorELNS0_4arch9wavefront6targetE0EEEvT1_: ; @_ZN7rocprim17ROCPRIM_400000_NS6detail17trampoline_kernelINS0_14default_configENS1_25partition_config_selectorILNS1_17partition_subalgoE5EyNS0_10empty_typeEbEEZZNS1_14partition_implILS5_5ELb0ES3_mN6thrust23THRUST_200600_302600_NS6detail15normal_iteratorINSA_10device_ptrIyEEEEPS6_NSA_18transform_iteratorINSB_9not_fun_tI7is_trueIyEEESF_NSA_11use_defaultESM_EENS0_5tupleIJSF_S6_EEENSO_IJSG_SG_EEES6_PlJS6_EEE10hipError_tPvRmT3_T4_T5_T6_T7_T9_mT8_P12ihipStream_tbDpT10_ENKUlT_T0_E_clISt17integral_constantIbLb0EES1A_IbLb1EEEEDaS16_S17_EUlS16_E_NS1_11comp_targetILNS1_3genE10ELNS1_11target_archE1200ELNS1_3gpuE4ELNS1_3repE0EEENS1_30default_config_static_selectorELNS0_4arch9wavefront6targetE0EEEvT1_
; %bb.0:
	s_clause 0x3
	s_load_b64 s[12:13], s[0:1], 0x30
	s_load_b128 s[4:7], s[0:1], 0x48
	s_load_b64 s[18:19], s[0:1], 0x58
	s_load_b64 s[14:15], s[0:1], 0x68
	v_cmp_eq_u32_e64 s2, 0, v0
	s_and_saveexec_b32 s3, s2
	s_cbranch_execz .LBB1397_4
; %bb.1:
	s_mov_b32 s9, exec_lo
	s_mov_b32 s8, exec_lo
	v_mbcnt_lo_u32_b32 v1, s9, 0
                                        ; implicit-def: $vgpr2
	s_delay_alu instid0(VALU_DEP_1)
	v_cmpx_eq_u32_e32 0, v1
	s_cbranch_execz .LBB1397_3
; %bb.2:
	s_load_b64 s[10:11], s[0:1], 0x78
	s_bcnt1_i32_b32 s9, s9
	s_wait_alu 0xfffe
	v_dual_mov_b32 v2, 0 :: v_dual_mov_b32 v3, s9
	s_wait_kmcnt 0x0
	global_atomic_add_u32 v2, v2, v3, s[10:11] th:TH_ATOMIC_RETURN scope:SCOPE_DEV
.LBB1397_3:
	s_or_b32 exec_lo, exec_lo, s8
	s_wait_loadcnt 0x0
	v_readfirstlane_b32 s8, v2
	s_wait_alu 0xf1ff
	s_delay_alu instid0(VALU_DEP_1)
	v_dual_mov_b32 v2, 0 :: v_dual_add_nc_u32 v1, s8, v1
	ds_store_b32 v2, v1
.LBB1397_4:
	s_or_b32 exec_lo, exec_lo, s3
	v_mov_b32_e32 v1, 0
	s_clause 0x2
	s_load_b128 s[8:11], s[0:1], 0x8
	s_load_b64 s[16:17], s[0:1], 0x20
	s_load_b32 s0, s[0:1], 0x70
	s_wait_dscnt 0x0
	s_barrier_signal -1
	s_barrier_wait -1
	global_inv scope:SCOPE_SE
	ds_load_b32 v2, v1
	s_wait_loadcnt_dscnt 0x0
	s_barrier_signal -1
	s_barrier_wait -1
	global_inv scope:SCOPE_SE
	s_wait_kmcnt 0x0
	global_load_b64 v[17:18], v1, s[6:7]
	s_mov_b32 s25, 0
	v_lshrrev_b32_e32 v11, 2, v0
	s_mov_b32 s23, s25
	v_or_b32_e32 v10, 0x200, v0
	v_or_b32_e32 v9, 0x300, v0
	s_lshl_b64 s[6:7], s[10:11], 3
	s_add_co_i32 s21, s0, -1
	s_lshl_b32 s24, s0, 10
	s_lshl_b32 s3, s21, 10
	s_add_nc_u64 s[0:1], s[10:11], s[24:25]
	s_add_co_i32 s3, s10, s3
	v_readfirstlane_b32 s20, v2
	v_cmp_le_u64_e64 s0, s[18:19], s[0:1]
	s_sub_co_i32 s3, s18, s3
	s_add_nc_u64 s[10:11], s[8:9], s[6:7]
	s_mov_b32 s1, -1
	s_lshl_b32 s22, s20, 10
	s_cmp_eq_u32 s20, s21
	s_cselect_b32 s18, -1, 0
	s_lshl_b64 s[8:9], s[22:23], 3
	s_wait_alu 0xfffe
	s_and_b32 s0, s0, s18
	s_add_nc_u64 s[10:11], s[10:11], s[8:9]
	s_wait_alu 0xfffe
	s_xor_b32 s19, s0, -1
	s_wait_alu 0xfffe
	s_and_b32 vcc_lo, exec_lo, s19
	s_cbranch_vccz .LBB1397_6
; %bb.5:
	v_lshlrev_b32_e32 v12, 3, v0
	v_or_b32_e32 v13, 0x100, v0
	v_lshrrev_b32_e32 v14, 2, v10
	v_lshrrev_b32_e32 v15, 2, v9
	v_and_b32_e32 v16, 56, v11
	v_add_co_u32 v1, s0, s10, v12
	s_wait_alu 0xf1ff
	v_add_co_ci_u32_e64 v2, null, s11, 0, s0
	v_lshrrev_b32_e32 v13, 2, v13
	v_and_b32_e32 v14, 0xb8, v14
	v_and_b32_e32 v15, 0xf8, v15
	s_clause 0x3
	flat_load_b64 v[3:4], v[1:2]
	flat_load_b64 v[5:6], v[1:2] offset:2048
	flat_load_b64 v[7:8], v[1:2] offset:4096
	;; [unrolled: 1-line block ×3, first 2 shown]
	v_add_nc_u32_e32 v16, v16, v12
	v_and_b32_e32 v13, 0x78, v13
	v_add_nc_u32_e32 v14, v14, v12
	s_mov_b32 s1, 0
	s_delay_alu instid0(VALU_DEP_2)
	v_add_nc_u32_e32 v13, v13, v12
	v_add_nc_u32_e32 v12, v15, v12
	s_wait_loadcnt_dscnt 0x303
	ds_store_b64 v16, v[3:4]
	s_wait_loadcnt_dscnt 0x203
	ds_store_b64 v13, v[5:6] offset:2048
	s_wait_loadcnt_dscnt 0x103
	ds_store_b64 v14, v[7:8] offset:4096
	;; [unrolled: 2-line block ×3, first 2 shown]
	s_wait_dscnt 0x0
	s_barrier_signal -1
	s_barrier_wait -1
.LBB1397_6:
	v_cmp_gt_u32_e64 s0, s3, v0
	s_wait_alu 0xfffe
	s_and_not1_b32 vcc_lo, exec_lo, s1
	s_cbranch_vccnz .LBB1397_14
; %bb.7:
	v_mov_b32_e32 v1, 0
	s_delay_alu instid0(VALU_DEP_1)
	v_dual_mov_b32 v2, v1 :: v_dual_mov_b32 v3, v1
	v_dual_mov_b32 v4, v1 :: v_dual_mov_b32 v5, v1
	v_dual_mov_b32 v6, v1 :: v_dual_mov_b32 v7, v1
	v_mov_b32_e32 v8, v1
	s_and_saveexec_b32 s1, s0
	s_cbranch_execz .LBB1397_9
; %bb.8:
	v_dual_mov_b32 v21, v1 :: v_dual_lshlrev_b32 v2, 3, v0
	v_dual_mov_b32 v22, v1 :: v_dual_mov_b32 v23, v1
	v_dual_mov_b32 v24, v1 :: v_dual_mov_b32 v25, v1
	s_delay_alu instid0(VALU_DEP_3)
	v_add_co_u32 v2, s0, s10, v2
	s_wait_alu 0xf1ff
	v_add_co_ci_u32_e64 v3, null, s11, 0, s0
	v_mov_b32_e32 v26, v1
	flat_load_b64 v[19:20], v[2:3]
	s_wait_loadcnt_dscnt 0x0
	v_dual_mov_b32 v1, v19 :: v_dual_mov_b32 v2, v20
	v_dual_mov_b32 v3, v21 :: v_dual_mov_b32 v4, v22
	;; [unrolled: 1-line block ×4, first 2 shown]
.LBB1397_9:
	s_wait_alu 0xfffe
	s_or_b32 exec_lo, exec_lo, s1
	v_or_b32_e32 v12, 0x100, v0
	s_mov_b32 s0, exec_lo
	s_delay_alu instid0(VALU_DEP_1)
	v_cmpx_gt_u32_e64 s3, v12
	s_cbranch_execnz .LBB1397_138
; %bb.10:
	s_wait_alu 0xfffe
	s_or_b32 exec_lo, exec_lo, s0
	s_delay_alu instid0(SALU_CYCLE_1)
	s_mov_b32 s0, exec_lo
	v_cmpx_gt_u32_e64 s3, v10
	s_cbranch_execnz .LBB1397_139
.LBB1397_11:
	s_wait_alu 0xfffe
	s_or_b32 exec_lo, exec_lo, s0
	s_delay_alu instid0(SALU_CYCLE_1)
	s_mov_b32 s0, exec_lo
	v_cmpx_gt_u32_e64 s3, v9
	s_cbranch_execz .LBB1397_13
.LBB1397_12:
	v_lshlrev_b32_e32 v7, 3, v0
	s_delay_alu instid0(VALU_DEP_1)
	v_add_co_u32 v7, s1, s10, v7
	s_wait_alu 0xf1ff
	v_add_co_ci_u32_e64 v8, null, s11, 0, s1
	flat_load_b64 v[7:8], v[7:8] offset:6144
.LBB1397_13:
	s_wait_alu 0xfffe
	s_or_b32 exec_lo, exec_lo, s0
	v_lshrrev_b32_e32 v12, 2, v12
	v_lshrrev_b32_e32 v13, 2, v10
	v_lshrrev_b32_e32 v14, 2, v9
	v_and_b32_e32 v11, 56, v11
	v_lshlrev_b32_e32 v15, 3, v0
	v_and_b32_e32 v12, 0x78, v12
	v_and_b32_e32 v13, 0xf8, v13
	;; [unrolled: 1-line block ×3, first 2 shown]
	s_delay_alu instid0(VALU_DEP_4) | instskip(NEXT) | instid1(VALU_DEP_4)
	v_add_nc_u32_e32 v11, v11, v15
	v_add_nc_u32_e32 v12, v12, v15
	s_delay_alu instid0(VALU_DEP_4) | instskip(NEXT) | instid1(VALU_DEP_4)
	v_add_nc_u32_e32 v13, v13, v15
	v_add_nc_u32_e32 v14, v14, v15
	ds_store_b64 v11, v[1:2]
	s_wait_loadcnt_dscnt 0x1
	ds_store_b64 v12, v[3:4] offset:2048
	ds_store_b64 v13, v[5:6] offset:4096
	;; [unrolled: 1-line block ×3, first 2 shown]
	s_wait_dscnt 0x0
	s_barrier_signal -1
	s_barrier_wait -1
.LBB1397_14:
	v_and_b32_e32 v1, 0xf8, v0
	s_wait_loadcnt 0x0
	global_inv scope:SCOPE_SE
	v_lshrrev_b32_e32 v28, 5, v0
	s_add_nc_u64 s[0:1], s[16:17], s[6:7]
	s_and_b32 vcc_lo, exec_lo, s19
	v_lshl_add_u32 v1, v0, 5, v1
	s_wait_alu 0xfffe
	s_add_nc_u64 s[0:1], s[0:1], s[8:9]
	s_mov_b32 s6, -1
	ds_load_2addr_b64 v[5:8], v1 offset1:1
	ds_load_2addr_b64 v[1:4], v1 offset0:2 offset1:3
	s_wait_loadcnt_dscnt 0x0
	s_barrier_signal -1
	s_barrier_wait -1
	global_inv scope:SCOPE_SE
	s_cbranch_vccz .LBB1397_16
; %bb.15:
	v_lshlrev_b32_e32 v19, 3, v0
	v_or_b32_e32 v21, 0x100, v0
	v_lshrrev_b32_e32 v22, 5, v10
	v_lshrrev_b32_e32 v23, 5, v9
	v_and_b32_e32 v24, 4, v28
	s_clause 0x3
	global_load_b64 v[11:12], v19, s[0:1]
	global_load_b64 v[13:14], v19, s[0:1] offset:2048
	global_load_b64 v[15:16], v19, s[0:1] offset:4096
	;; [unrolled: 1-line block ×3, first 2 shown]
	v_lshrrev_b32_e32 v21, 5, v21
	v_and_b32_e32 v22, 20, v22
	v_and_b32_e32 v23, 28, v23
	v_add_nc_u32_e32 v24, v24, v0
	s_mov_b32 s6, 0
	v_and_b32_e32 v21, 12, v21
	v_add_nc_u32_e32 v22, v22, v0
	v_add_nc_u32_e32 v23, v23, v0
	s_delay_alu instid0(VALU_DEP_3)
	v_add_nc_u32_e32 v21, v21, v0
	s_wait_loadcnt 0x3
	v_cmp_eq_u64_e32 vcc_lo, 0, v[11:12]
	v_cndmask_b32_e64 v11, 0, 1, vcc_lo
	s_wait_loadcnt 0x2
	v_cmp_eq_u64_e32 vcc_lo, 0, v[13:14]
	s_wait_alu 0xfffd
	v_cndmask_b32_e64 v12, 0, 1, vcc_lo
	s_wait_loadcnt 0x1
	v_cmp_eq_u64_e32 vcc_lo, 0, v[15:16]
	s_wait_alu 0xfffd
	;; [unrolled: 4-line block ×3, first 2 shown]
	v_cndmask_b32_e64 v14, 0, 1, vcc_lo
	ds_store_b8 v24, v11
	ds_store_b8 v21, v12 offset:256
	ds_store_b8 v22, v13 offset:512
	;; [unrolled: 1-line block ×3, first 2 shown]
	s_wait_dscnt 0x0
	s_barrier_signal -1
	s_barrier_wait -1
.LBB1397_16:
	v_lshlrev_b32_e32 v11, 2, v0
	v_lshrrev_b32_e32 v12, 3, v0
	s_and_not1_b32 vcc_lo, exec_lo, s6
	s_wait_alu 0xfffe
	s_cbranch_vccnz .LBB1397_24
; %bb.17:
	v_dual_mov_b32 v13, 0 :: v_dual_mov_b32 v14, 0
	s_mov_b32 s6, exec_lo
	v_cmpx_gt_u32_e64 s3, v0
	s_cbranch_execz .LBB1397_19
; %bb.18:
	v_lshlrev_b32_e32 v13, 3, v0
	global_load_b64 v[13:14], v13, s[0:1]
	s_wait_loadcnt 0x0
	v_cmp_eq_u64_e32 vcc_lo, 0, v[13:14]
	s_wait_alu 0xfffd
	v_cndmask_b32_e64 v13, 0, 1, vcc_lo
	v_cndmask_b32_e64 v14, 0, 1, vcc_lo
.LBB1397_19:
	s_or_b32 exec_lo, exec_lo, s6
	v_or_b32_e32 v15, 0x100, v0
	s_mov_b32 s6, exec_lo
	s_delay_alu instid0(VALU_DEP_1)
	v_cmpx_gt_u32_e64 s3, v15
	s_cbranch_execnz .LBB1397_140
; %bb.20:
	s_or_b32 exec_lo, exec_lo, s6
	s_delay_alu instid0(SALU_CYCLE_1)
	s_mov_b32 s6, exec_lo
	v_cmpx_gt_u32_e64 s3, v10
	s_cbranch_execnz .LBB1397_141
.LBB1397_21:
	s_or_b32 exec_lo, exec_lo, s6
	v_cmp_gt_u32_e32 vcc_lo, s3, v9
	s_and_saveexec_b32 s3, vcc_lo
	s_cbranch_execz .LBB1397_23
.LBB1397_22:
	v_lshlrev_b32_e32 v16, 3, v0
	global_load_b64 v[19:20], v16, s[0:1] offset:6144
	s_wait_loadcnt 0x0
	v_cmp_eq_u64_e32 vcc_lo, 0, v[19:20]
	v_lshrrev_b32_e32 v19, 16, v14
	s_wait_alu 0xfffd
	v_cndmask_b32_e64 v16, 0, 1, vcc_lo
	s_delay_alu instid0(VALU_DEP_1) | instskip(NEXT) | instid1(VALU_DEP_1)
	v_lshlrev_b16 v16, 8, v16
	v_or_b32_e32 v16, v19, v16
	s_delay_alu instid0(VALU_DEP_1) | instskip(NEXT) | instid1(VALU_DEP_1)
	v_lshlrev_b32_e32 v16, 16, v16
	v_and_or_b32 v14, 0xffff, v14, v16
.LBB1397_23:
	s_wait_alu 0xfffe
	s_or_b32 exec_lo, exec_lo, s3
	v_lshrrev_b32_e32 v15, 5, v15
	v_lshrrev_b32_e32 v10, 5, v10
	;; [unrolled: 1-line block ×3, first 2 shown]
	v_and_b32_e32 v16, 4, v28
	v_lshrrev_b32_e32 v19, 8, v14
	v_and_b32_e32 v15, 12, v15
	v_and_b32_e32 v10, 28, v10
	;; [unrolled: 1-line block ×3, first 2 shown]
	v_add_nc_u32_e32 v16, v16, v0
	v_lshrrev_b32_e32 v20, 24, v14
	v_add_nc_u32_e32 v15, v15, v0
	v_add_nc_u32_e32 v10, v10, v0
	;; [unrolled: 1-line block ×3, first 2 shown]
	ds_store_b8 v16, v13
	ds_store_b8 v15, v19 offset:256
	ds_store_b8_d16_hi v10, v14 offset:512
	ds_store_b8 v9, v20 offset:768
	s_wait_loadcnt_dscnt 0x0
	s_barrier_signal -1
	s_barrier_wait -1
.LBB1397_24:
	s_delay_alu instid0(VALU_DEP_1)
	v_dual_mov_b32 v10, 0 :: v_dual_and_b32 v9, 28, v12
	s_wait_loadcnt 0x0
	global_inv scope:SCOPE_SE
	v_mbcnt_lo_u32_b32 v33, -1, 0
	s_cmp_lg_u32 s20, 0
	v_add_nc_u32_e32 v9, v9, v11
	s_mov_b32 s1, -1
	s_delay_alu instid0(VALU_DEP_2)
	v_and_b32_e32 v34, 15, v33
	ds_load_b32 v29, v9
	s_wait_loadcnt_dscnt 0x0
	s_barrier_signal -1
	s_barrier_wait -1
	global_inv scope:SCOPE_SE
	v_and_b32_e32 v32, 0xff, v29
	v_bfe_u32 v31, v29, 8, 8
	v_bfe_u32 v30, v29, 16, 8
	v_lshrrev_b32_e32 v27, 24, v29
	s_delay_alu instid0(VALU_DEP_2) | instskip(NEXT) | instid1(VALU_DEP_1)
	v_add3_u32 v9, v31, v32, v30
	v_add_co_u32 v19, s0, v9, v27
	s_wait_alu 0xf1ff
	v_add_co_ci_u32_e64 v20, null, 0, 0, s0
	v_cmp_ne_u32_e64 s0, 0, v34
	s_cbranch_scc0 .LBB1397_81
; %bb.25:
	v_mov_b32_e32 v11, v19
	v_mov_b32_dpp v9, v19 row_shr:1 row_mask:0xf bank_mask:0xf
	v_mov_b32_dpp v14, v10 row_shr:1 row_mask:0xf bank_mask:0xf
	v_dual_mov_b32 v13, v19 :: v_dual_mov_b32 v12, v20
	s_and_saveexec_b32 s1, s0
; %bb.26:
	s_delay_alu instid0(VALU_DEP_3) | instskip(SKIP_2) | instid1(VALU_DEP_2)
	v_add_co_u32 v13, vcc_lo, v19, v9
	s_wait_alu 0xfffd
	v_add_co_ci_u32_e64 v10, null, 0, v20, vcc_lo
	v_add_co_u32 v9, vcc_lo, 0, v13
	s_wait_alu 0xfffd
	s_delay_alu instid0(VALU_DEP_2) | instskip(NEXT) | instid1(VALU_DEP_1)
	v_add_co_ci_u32_e64 v10, null, v14, v10, vcc_lo
	v_dual_mov_b32 v12, v10 :: v_dual_mov_b32 v11, v9
; %bb.27:
	s_wait_alu 0xfffe
	s_or_b32 exec_lo, exec_lo, s1
	v_mov_b32_dpp v9, v13 row_shr:2 row_mask:0xf bank_mask:0xf
	v_mov_b32_dpp v14, v10 row_shr:2 row_mask:0xf bank_mask:0xf
	s_mov_b32 s1, exec_lo
	v_cmpx_lt_u32_e32 1, v34
; %bb.28:
	s_delay_alu instid0(VALU_DEP_3) | instskip(SKIP_2) | instid1(VALU_DEP_2)
	v_add_co_u32 v13, vcc_lo, v11, v9
	s_wait_alu 0xfffd
	v_add_co_ci_u32_e64 v10, null, 0, v12, vcc_lo
	v_add_co_u32 v9, vcc_lo, 0, v13
	s_wait_alu 0xfffd
	s_delay_alu instid0(VALU_DEP_2) | instskip(NEXT) | instid1(VALU_DEP_1)
	v_add_co_ci_u32_e64 v10, null, v14, v10, vcc_lo
	v_dual_mov_b32 v12, v10 :: v_dual_mov_b32 v11, v9
; %bb.29:
	s_wait_alu 0xfffe
	s_or_b32 exec_lo, exec_lo, s1
	v_mov_b32_dpp v9, v13 row_shr:4 row_mask:0xf bank_mask:0xf
	v_mov_b32_dpp v14, v10 row_shr:4 row_mask:0xf bank_mask:0xf
	s_mov_b32 s1, exec_lo
	v_cmpx_lt_u32_e32 3, v34
; %bb.30:
	s_delay_alu instid0(VALU_DEP_3) | instskip(SKIP_2) | instid1(VALU_DEP_2)
	v_add_co_u32 v13, vcc_lo, v11, v9
	s_wait_alu 0xfffd
	v_add_co_ci_u32_e64 v10, null, 0, v12, vcc_lo
	v_add_co_u32 v9, vcc_lo, 0, v13
	s_wait_alu 0xfffd
	s_delay_alu instid0(VALU_DEP_2) | instskip(NEXT) | instid1(VALU_DEP_1)
	v_add_co_ci_u32_e64 v10, null, v14, v10, vcc_lo
	v_dual_mov_b32 v12, v10 :: v_dual_mov_b32 v11, v9
; %bb.31:
	s_wait_alu 0xfffe
	s_or_b32 exec_lo, exec_lo, s1
	v_mov_b32_dpp v14, v13 row_shr:8 row_mask:0xf bank_mask:0xf
	v_mov_b32_dpp v9, v10 row_shr:8 row_mask:0xf bank_mask:0xf
	s_mov_b32 s1, exec_lo
	v_cmpx_lt_u32_e32 7, v34
; %bb.32:
	s_delay_alu instid0(VALU_DEP_3) | instskip(SKIP_2) | instid1(VALU_DEP_2)
	v_add_co_u32 v13, vcc_lo, v11, v14
	s_wait_alu 0xfffd
	v_add_co_ci_u32_e64 v10, null, 0, v12, vcc_lo
	v_add_co_u32 v11, vcc_lo, 0, v13
	s_wait_alu 0xfffd
	s_delay_alu instid0(VALU_DEP_2) | instskip(NEXT) | instid1(VALU_DEP_1)
	v_add_co_ci_u32_e64 v12, null, v9, v10, vcc_lo
	v_mov_b32_e32 v10, v12
; %bb.33:
	s_wait_alu 0xfffe
	s_or_b32 exec_lo, exec_lo, s1
	ds_swizzle_b32 v9, v13 offset:swizzle(BROADCAST,32,15)
	ds_swizzle_b32 v14, v10 offset:swizzle(BROADCAST,32,15)
	v_and_b32_e32 v15, 16, v33
	s_mov_b32 s1, exec_lo
	s_delay_alu instid0(VALU_DEP_1)
	v_cmpx_ne_u32_e32 0, v15
	s_cbranch_execz .LBB1397_35
; %bb.34:
	s_wait_dscnt 0x1
	v_add_co_u32 v13, vcc_lo, v11, v9
	s_wait_alu 0xfffd
	v_add_co_ci_u32_e64 v10, null, 0, v12, vcc_lo
	s_delay_alu instid0(VALU_DEP_2) | instskip(SKIP_2) | instid1(VALU_DEP_2)
	v_add_co_u32 v9, vcc_lo, 0, v13
	s_wait_dscnt 0x0
	s_wait_alu 0xfffd
	v_add_co_ci_u32_e64 v10, null, v14, v10, vcc_lo
	s_delay_alu instid0(VALU_DEP_1)
	v_dual_mov_b32 v12, v10 :: v_dual_mov_b32 v11, v9
.LBB1397_35:
	s_wait_alu 0xfffe
	s_or_b32 exec_lo, exec_lo, s1
	s_wait_dscnt 0x1
	v_or_b32_e32 v9, 31, v0
	s_mov_b32 s1, exec_lo
	s_delay_alu instid0(VALU_DEP_1)
	v_cmpx_eq_u32_e64 v0, v9
; %bb.36:
	v_lshlrev_b32_e32 v9, 3, v28
	ds_store_b64 v9, v[11:12]
; %bb.37:
	s_wait_alu 0xfffe
	s_or_b32 exec_lo, exec_lo, s1
	s_delay_alu instid0(SALU_CYCLE_1)
	s_mov_b32 s1, exec_lo
	s_wait_loadcnt_dscnt 0x0
	s_barrier_signal -1
	s_barrier_wait -1
	global_inv scope:SCOPE_SE
	v_cmpx_gt_u32_e32 8, v0
	s_cbranch_execz .LBB1397_45
; %bb.38:
	v_lshlrev_b32_e32 v9, 3, v0
	s_mov_b32 s3, exec_lo
	ds_load_b64 v[11:12], v9
	s_wait_dscnt 0x0
	v_dual_mov_b32 v15, v11 :: v_dual_and_b32 v14, 7, v33
	v_mov_b32_dpp v21, v11 row_shr:1 row_mask:0xf bank_mask:0xf
	v_mov_b32_dpp v16, v12 row_shr:1 row_mask:0xf bank_mask:0xf
	s_delay_alu instid0(VALU_DEP_3)
	v_cmpx_ne_u32_e32 0, v14
; %bb.39:
	s_delay_alu instid0(VALU_DEP_3) | instskip(SKIP_2) | instid1(VALU_DEP_2)
	v_add_co_u32 v15, vcc_lo, v11, v21
	s_wait_alu 0xfffd
	v_add_co_ci_u32_e64 v12, null, 0, v12, vcc_lo
	v_add_co_u32 v11, vcc_lo, 0, v15
	s_wait_alu 0xfffd
	s_delay_alu instid0(VALU_DEP_2)
	v_add_co_ci_u32_e64 v12, null, v16, v12, vcc_lo
; %bb.40:
	s_wait_alu 0xfffe
	s_or_b32 exec_lo, exec_lo, s3
	v_mov_b32_dpp v21, v15 row_shr:2 row_mask:0xf bank_mask:0xf
	s_delay_alu instid0(VALU_DEP_2)
	v_mov_b32_dpp v16, v12 row_shr:2 row_mask:0xf bank_mask:0xf
	s_mov_b32 s3, exec_lo
	v_cmpx_lt_u32_e32 1, v14
; %bb.41:
	s_delay_alu instid0(VALU_DEP_3) | instskip(SKIP_2) | instid1(VALU_DEP_2)
	v_add_co_u32 v15, vcc_lo, v11, v21
	s_wait_alu 0xfffd
	v_add_co_ci_u32_e64 v12, null, 0, v12, vcc_lo
	v_add_co_u32 v11, vcc_lo, 0, v15
	s_wait_alu 0xfffd
	s_delay_alu instid0(VALU_DEP_2)
	v_add_co_ci_u32_e64 v12, null, v16, v12, vcc_lo
; %bb.42:
	s_wait_alu 0xfffe
	s_or_b32 exec_lo, exec_lo, s3
	v_mov_b32_dpp v16, v15 row_shr:4 row_mask:0xf bank_mask:0xf
	s_delay_alu instid0(VALU_DEP_2)
	v_mov_b32_dpp v15, v12 row_shr:4 row_mask:0xf bank_mask:0xf
	s_mov_b32 s3, exec_lo
	v_cmpx_lt_u32_e32 3, v14
; %bb.43:
	s_delay_alu instid0(VALU_DEP_3) | instskip(SKIP_2) | instid1(VALU_DEP_2)
	v_add_co_u32 v11, vcc_lo, v11, v16
	s_wait_alu 0xfffd
	v_add_co_ci_u32_e64 v12, null, 0, v12, vcc_lo
	v_add_co_u32 v11, vcc_lo, v11, 0
	s_wait_alu 0xfffd
	s_delay_alu instid0(VALU_DEP_2)
	v_add_co_ci_u32_e64 v12, null, v12, v15, vcc_lo
; %bb.44:
	s_wait_alu 0xfffe
	s_or_b32 exec_lo, exec_lo, s3
	ds_store_b64 v9, v[11:12]
.LBB1397_45:
	s_wait_alu 0xfffe
	s_or_b32 exec_lo, exec_lo, s1
	s_delay_alu instid0(SALU_CYCLE_1)
	s_mov_b32 s3, exec_lo
	v_cmp_gt_u32_e32 vcc_lo, 32, v0
	s_wait_loadcnt_dscnt 0x0
	s_barrier_signal -1
	s_barrier_wait -1
	global_inv scope:SCOPE_SE
                                        ; implicit-def: $vgpr21_vgpr22
	v_cmpx_lt_u32_e32 31, v0
	s_cbranch_execz .LBB1397_47
; %bb.46:
	v_lshl_add_u32 v9, v28, 3, -8
	ds_load_b64 v[21:22], v9
	s_wait_dscnt 0x0
	v_add_co_u32 v13, s1, v13, v21
	s_wait_alu 0xf1ff
	v_add_co_ci_u32_e64 v10, null, v10, v22, s1
.LBB1397_47:
	s_wait_alu 0xfffe
	s_or_b32 exec_lo, exec_lo, s3
	v_sub_co_u32 v9, s1, v33, 1
	s_delay_alu instid0(VALU_DEP_1) | instskip(SKIP_1) | instid1(VALU_DEP_1)
	v_cmp_gt_i32_e64 s3, 0, v9
	s_wait_alu 0xf1ff
	v_cndmask_b32_e64 v9, v9, v33, s3
	s_delay_alu instid0(VALU_DEP_1)
	v_lshlrev_b32_e32 v9, 2, v9
	ds_bpermute_b32 v35, v9, v13
	ds_bpermute_b32 v36, v9, v10
	s_and_saveexec_b32 s3, vcc_lo
	s_cbranch_execz .LBB1397_86
; %bb.48:
	v_mov_b32_e32 v12, 0
	ds_load_b64 v[9:10], v12 offset:56
	s_and_saveexec_b32 s6, s1
	s_cbranch_execz .LBB1397_50
; %bb.49:
	s_add_co_i32 s8, s20, 32
	s_mov_b32 s9, 0
	s_wait_alu 0xfffe
	s_lshl_b64 s[8:9], s[8:9], 4
	s_wait_alu 0xfffe
	s_add_nc_u64 s[8:9], s[14:15], s[8:9]
	s_wait_alu 0xfffe
	v_dual_mov_b32 v11, 1 :: v_dual_mov_b32 v14, s9
	v_mov_b32_e32 v13, s8
	s_wait_dscnt 0x0
	;;#ASMSTART
	global_store_b128 v[13:14], v[9:12] off scope:SCOPE_DEV	
s_wait_storecnt 0x0
	;;#ASMEND
.LBB1397_50:
	s_or_b32 exec_lo, exec_lo, s6
	v_xad_u32 v23, v33, -1, s20
	s_mov_b32 s7, 0
	s_mov_b32 s6, exec_lo
	s_delay_alu instid0(VALU_DEP_1) | instskip(NEXT) | instid1(VALU_DEP_1)
	v_add_nc_u32_e32 v11, 32, v23
	v_lshlrev_b64_e32 v[11:12], 4, v[11:12]
	s_delay_alu instid0(VALU_DEP_1) | instskip(SKIP_1) | instid1(VALU_DEP_2)
	v_add_co_u32 v11, vcc_lo, s14, v11
	s_wait_alu 0xfffd
	v_add_co_ci_u32_e64 v12, null, s15, v12, vcc_lo
	;;#ASMSTART
	global_load_b128 v[13:16], v[11:12] off scope:SCOPE_DEV	
s_wait_loadcnt 0x0
	;;#ASMEND
	v_and_b32_e32 v16, 0xff, v15
	s_delay_alu instid0(VALU_DEP_1)
	v_cmpx_eq_u16_e32 0, v16
	s_cbranch_execz .LBB1397_53
.LBB1397_51:                            ; =>This Inner Loop Header: Depth=1
	;;#ASMSTART
	global_load_b128 v[13:16], v[11:12] off scope:SCOPE_DEV	
s_wait_loadcnt 0x0
	;;#ASMEND
	v_and_b32_e32 v16, 0xff, v15
	s_delay_alu instid0(VALU_DEP_1) | instskip(SKIP_1) | instid1(SALU_CYCLE_1)
	v_cmp_ne_u16_e32 vcc_lo, 0, v16
	s_or_b32 s7, vcc_lo, s7
	s_and_not1_b32 exec_lo, exec_lo, s7
	s_cbranch_execnz .LBB1397_51
; %bb.52:
	s_or_b32 exec_lo, exec_lo, s7
.LBB1397_53:
	s_delay_alu instid0(SALU_CYCLE_1)
	s_or_b32 exec_lo, exec_lo, s6
	v_cmp_ne_u32_e32 vcc_lo, 31, v33
	v_and_b32_e32 v12, 0xff, v15
	v_lshlrev_b32_e64 v38, v33, -1
	s_mov_b32 s6, exec_lo
	s_wait_alu 0xfffd
	v_add_co_ci_u32_e64 v11, null, 0, v33, vcc_lo
	v_cmp_eq_u16_e32 vcc_lo, 2, v12
	s_delay_alu instid0(VALU_DEP_2)
	v_dual_mov_b32 v12, v13 :: v_dual_lshlrev_b32 v37, 2, v11
	s_wait_alu 0xfffd
	v_and_or_b32 v11, vcc_lo, v38, 0x80000000
	ds_bpermute_b32 v24, v37, v13
	ds_bpermute_b32 v16, v37, v14
	v_ctz_i32_b32_e32 v11, v11
	s_delay_alu instid0(VALU_DEP_1)
	v_cmpx_lt_u32_e64 v33, v11
	s_cbranch_execz .LBB1397_55
; %bb.54:
	s_wait_dscnt 0x1
	v_add_co_u32 v12, vcc_lo, v13, v24
	s_wait_alu 0xfffd
	v_add_co_ci_u32_e64 v14, null, 0, v14, vcc_lo
	s_delay_alu instid0(VALU_DEP_2) | instskip(SKIP_2) | instid1(VALU_DEP_2)
	v_add_co_u32 v13, vcc_lo, 0, v12
	s_wait_dscnt 0x0
	s_wait_alu 0xfffd
	v_add_co_ci_u32_e64 v14, null, v16, v14, vcc_lo
.LBB1397_55:
	s_or_b32 exec_lo, exec_lo, s6
	v_cmp_gt_u32_e32 vcc_lo, 30, v33
	v_add_nc_u32_e32 v40, 2, v33
	s_mov_b32 s6, exec_lo
	s_wait_dscnt 0x0
	s_wait_alu 0xfffd
	v_cndmask_b32_e64 v16, 0, 2, vcc_lo
	s_delay_alu instid0(VALU_DEP_1)
	v_add_lshl_u32 v39, v16, v33, 2
	ds_bpermute_b32 v24, v39, v12
	ds_bpermute_b32 v16, v39, v14
	v_cmpx_le_u32_e64 v40, v11
	s_cbranch_execz .LBB1397_57
; %bb.56:
	s_wait_dscnt 0x1
	v_add_co_u32 v12, vcc_lo, v13, v24
	s_wait_alu 0xfffd
	v_add_co_ci_u32_e64 v14, null, 0, v14, vcc_lo
	s_delay_alu instid0(VALU_DEP_2) | instskip(SKIP_2) | instid1(VALU_DEP_2)
	v_add_co_u32 v13, vcc_lo, 0, v12
	s_wait_dscnt 0x0
	s_wait_alu 0xfffd
	v_add_co_ci_u32_e64 v14, null, v16, v14, vcc_lo
.LBB1397_57:
	s_or_b32 exec_lo, exec_lo, s6
	v_cmp_gt_u32_e32 vcc_lo, 28, v33
	v_add_nc_u32_e32 v42, 4, v33
	s_mov_b32 s6, exec_lo
	s_wait_dscnt 0x0
	s_wait_alu 0xfffd
	v_cndmask_b32_e64 v16, 0, 4, vcc_lo
	s_delay_alu instid0(VALU_DEP_1)
	v_add_lshl_u32 v41, v16, v33, 2
	ds_bpermute_b32 v24, v41, v12
	ds_bpermute_b32 v16, v41, v14
	v_cmpx_le_u32_e64 v42, v11
	;; [unrolled: 24-line block ×3, first 2 shown]
	s_cbranch_execz .LBB1397_61
; %bb.60:
	s_wait_dscnt 0x1
	v_add_co_u32 v12, vcc_lo, v13, v24
	s_wait_alu 0xfffd
	v_add_co_ci_u32_e64 v14, null, 0, v14, vcc_lo
	s_delay_alu instid0(VALU_DEP_2) | instskip(SKIP_2) | instid1(VALU_DEP_2)
	v_add_co_u32 v13, vcc_lo, 0, v12
	s_wait_dscnt 0x0
	s_wait_alu 0xfffd
	v_add_co_ci_u32_e64 v14, null, v16, v14, vcc_lo
.LBB1397_61:
	s_or_b32 exec_lo, exec_lo, s6
	v_lshl_or_b32 v45, v33, 2, 64
	v_add_nc_u32_e32 v46, 16, v33
	s_mov_b32 s6, exec_lo
	s_wait_dscnt 0x0
	ds_bpermute_b32 v16, v45, v12
	ds_bpermute_b32 v12, v45, v14
	v_cmpx_le_u32_e64 v46, v11
	s_cbranch_execz .LBB1397_63
; %bb.62:
	s_wait_dscnt 0x1
	v_add_co_u32 v11, vcc_lo, v13, v16
	s_wait_alu 0xfffd
	v_add_co_ci_u32_e64 v14, null, 0, v14, vcc_lo
	s_delay_alu instid0(VALU_DEP_2) | instskip(SKIP_2) | instid1(VALU_DEP_2)
	v_add_co_u32 v13, vcc_lo, v11, 0
	s_wait_dscnt 0x0
	s_wait_alu 0xfffd
	v_add_co_ci_u32_e64 v14, null, v14, v12, vcc_lo
.LBB1397_63:
	s_or_b32 exec_lo, exec_lo, s6
	v_mov_b32_e32 v24, 0
	s_branch .LBB1397_66
.LBB1397_64:                            ;   in Loop: Header=BB1397_66 Depth=1
	s_or_b32 exec_lo, exec_lo, s6
	v_add_co_u32 v13, vcc_lo, v13, v11
	v_subrev_nc_u32_e32 v23, 32, v23
	s_wait_alu 0xfffd
	v_add_co_ci_u32_e64 v14, null, v14, v12, vcc_lo
	s_mov_b32 s6, 0
.LBB1397_65:                            ;   in Loop: Header=BB1397_66 Depth=1
	s_delay_alu instid0(SALU_CYCLE_1)
	s_and_b32 vcc_lo, exec_lo, s6
	s_wait_alu 0xfffe
	s_cbranch_vccnz .LBB1397_82
.LBB1397_66:                            ; =>This Loop Header: Depth=1
                                        ;     Child Loop BB1397_69 Depth 2
	v_and_b32_e32 v11, 0xff, v15
	s_mov_b32 s6, -1
	s_delay_alu instid0(VALU_DEP_1)
	v_cmp_ne_u16_e32 vcc_lo, 2, v11
	s_wait_dscnt 0x0
	v_dual_mov_b32 v11, v13 :: v_dual_mov_b32 v12, v14
                                        ; implicit-def: $vgpr13_vgpr14
	s_cmp_lg_u32 vcc_lo, exec_lo
	s_cbranch_scc1 .LBB1397_65
; %bb.67:                               ;   in Loop: Header=BB1397_66 Depth=1
	v_lshlrev_b64_e32 v[13:14], 4, v[23:24]
	s_mov_b32 s6, exec_lo
	s_delay_alu instid0(VALU_DEP_1) | instskip(SKIP_1) | instid1(VALU_DEP_2)
	v_add_co_u32 v25, vcc_lo, s14, v13
	s_wait_alu 0xfffd
	v_add_co_ci_u32_e64 v26, null, s15, v14, vcc_lo
	;;#ASMSTART
	global_load_b128 v[13:16], v[25:26] off scope:SCOPE_DEV	
s_wait_loadcnt 0x0
	;;#ASMEND
	v_and_b32_e32 v16, 0xff, v15
	s_delay_alu instid0(VALU_DEP_1)
	v_cmpx_eq_u16_e32 0, v16
	s_cbranch_execz .LBB1397_71
; %bb.68:                               ;   in Loop: Header=BB1397_66 Depth=1
	s_mov_b32 s7, 0
.LBB1397_69:                            ;   Parent Loop BB1397_66 Depth=1
                                        ; =>  This Inner Loop Header: Depth=2
	;;#ASMSTART
	global_load_b128 v[13:16], v[25:26] off scope:SCOPE_DEV	
s_wait_loadcnt 0x0
	;;#ASMEND
	v_and_b32_e32 v16, 0xff, v15
	s_delay_alu instid0(VALU_DEP_1) | instskip(SKIP_1) | instid1(SALU_CYCLE_1)
	v_cmp_ne_u16_e32 vcc_lo, 0, v16
	s_or_b32 s7, vcc_lo, s7
	s_and_not1_b32 exec_lo, exec_lo, s7
	s_cbranch_execnz .LBB1397_69
; %bb.70:                               ;   in Loop: Header=BB1397_66 Depth=1
	s_or_b32 exec_lo, exec_lo, s7
.LBB1397_71:                            ;   in Loop: Header=BB1397_66 Depth=1
	s_delay_alu instid0(SALU_CYCLE_1)
	s_or_b32 exec_lo, exec_lo, s6
	v_dual_mov_b32 v25, v13 :: v_dual_and_b32 v16, 0xff, v15
	ds_bpermute_b32 v47, v37, v13
	ds_bpermute_b32 v26, v37, v14
	s_mov_b32 s6, exec_lo
	v_cmp_eq_u16_e32 vcc_lo, 2, v16
	s_wait_alu 0xfffd
	v_and_or_b32 v16, vcc_lo, v38, 0x80000000
	s_delay_alu instid0(VALU_DEP_1) | instskip(NEXT) | instid1(VALU_DEP_1)
	v_ctz_i32_b32_e32 v16, v16
	v_cmpx_lt_u32_e64 v33, v16
	s_cbranch_execz .LBB1397_73
; %bb.72:                               ;   in Loop: Header=BB1397_66 Depth=1
	s_wait_dscnt 0x1
	v_add_co_u32 v25, vcc_lo, v13, v47
	s_wait_alu 0xfffd
	v_add_co_ci_u32_e64 v14, null, 0, v14, vcc_lo
	s_delay_alu instid0(VALU_DEP_2) | instskip(SKIP_2) | instid1(VALU_DEP_2)
	v_add_co_u32 v13, vcc_lo, 0, v25
	s_wait_dscnt 0x0
	s_wait_alu 0xfffd
	v_add_co_ci_u32_e64 v14, null, v26, v14, vcc_lo
.LBB1397_73:                            ;   in Loop: Header=BB1397_66 Depth=1
	s_or_b32 exec_lo, exec_lo, s6
	s_wait_dscnt 0x1
	ds_bpermute_b32 v47, v39, v25
	s_wait_dscnt 0x1
	ds_bpermute_b32 v26, v39, v14
	s_mov_b32 s6, exec_lo
	v_cmpx_le_u32_e64 v40, v16
	s_cbranch_execz .LBB1397_75
; %bb.74:                               ;   in Loop: Header=BB1397_66 Depth=1
	s_wait_dscnt 0x1
	v_add_co_u32 v25, vcc_lo, v13, v47
	s_wait_alu 0xfffd
	v_add_co_ci_u32_e64 v14, null, 0, v14, vcc_lo
	s_delay_alu instid0(VALU_DEP_2) | instskip(SKIP_2) | instid1(VALU_DEP_2)
	v_add_co_u32 v13, vcc_lo, 0, v25
	s_wait_dscnt 0x0
	s_wait_alu 0xfffd
	v_add_co_ci_u32_e64 v14, null, v26, v14, vcc_lo
.LBB1397_75:                            ;   in Loop: Header=BB1397_66 Depth=1
	s_or_b32 exec_lo, exec_lo, s6
	s_wait_dscnt 0x1
	ds_bpermute_b32 v47, v41, v25
	s_wait_dscnt 0x1
	ds_bpermute_b32 v26, v41, v14
	s_mov_b32 s6, exec_lo
	v_cmpx_le_u32_e64 v42, v16
	;; [unrolled: 19-line block ×3, first 2 shown]
	s_cbranch_execz .LBB1397_79
; %bb.78:                               ;   in Loop: Header=BB1397_66 Depth=1
	s_wait_dscnt 0x1
	v_add_co_u32 v25, vcc_lo, v13, v47
	s_wait_alu 0xfffd
	v_add_co_ci_u32_e64 v14, null, 0, v14, vcc_lo
	s_delay_alu instid0(VALU_DEP_2) | instskip(SKIP_2) | instid1(VALU_DEP_2)
	v_add_co_u32 v13, vcc_lo, 0, v25
	s_wait_dscnt 0x0
	s_wait_alu 0xfffd
	v_add_co_ci_u32_e64 v14, null, v26, v14, vcc_lo
.LBB1397_79:                            ;   in Loop: Header=BB1397_66 Depth=1
	s_or_b32 exec_lo, exec_lo, s6
	s_wait_dscnt 0x0
	ds_bpermute_b32 v26, v45, v25
	ds_bpermute_b32 v25, v45, v14
	s_mov_b32 s6, exec_lo
	v_cmpx_le_u32_e64 v46, v16
	s_cbranch_execz .LBB1397_64
; %bb.80:                               ;   in Loop: Header=BB1397_66 Depth=1
	s_wait_dscnt 0x1
	v_add_co_u32 v13, vcc_lo, v13, v26
	s_wait_alu 0xfffd
	v_add_co_ci_u32_e64 v14, null, 0, v14, vcc_lo
	s_delay_alu instid0(VALU_DEP_2) | instskip(SKIP_2) | instid1(VALU_DEP_2)
	v_add_co_u32 v13, vcc_lo, v13, 0
	s_wait_dscnt 0x0
	s_wait_alu 0xfffd
	v_add_co_ci_u32_e64 v14, null, v14, v25, vcc_lo
	s_branch .LBB1397_64
.LBB1397_81:
                                        ; implicit-def: $vgpr15_vgpr16
                                        ; implicit-def: $vgpr13_vgpr14
                                        ; implicit-def: $vgpr21_vgpr22
                                        ; implicit-def: $vgpr23_vgpr24
                                        ; implicit-def: $vgpr11_vgpr12
	s_wait_alu 0xfffe
	s_and_b32 vcc_lo, exec_lo, s1
	s_wait_alu 0xfffe
	s_cbranch_vccnz .LBB1397_87
	s_branch .LBB1397_112
.LBB1397_82:
	s_and_saveexec_b32 s6, s1
	s_cbranch_execz .LBB1397_84
; %bb.83:
	s_add_co_i32 s8, s20, 32
	s_mov_b32 s9, 0
	v_add_co_u32 v13, vcc_lo, v11, v9
	s_wait_alu 0xfffe
	s_lshl_b64 s[8:9], s[8:9], 4
	v_dual_mov_b32 v15, 2 :: v_dual_mov_b32 v16, 0
	s_wait_alu 0xfffe
	s_add_nc_u64 s[8:9], s[14:15], s[8:9]
	s_wait_alu 0xfffd
	v_add_co_ci_u32_e64 v14, null, v12, v10, vcc_lo
	s_wait_alu 0xfffe
	v_dual_mov_b32 v24, s9 :: v_dual_mov_b32 v23, s8
	;;#ASMSTART
	global_store_b128 v[23:24], v[13:16] off scope:SCOPE_DEV	
s_wait_storecnt 0x0
	;;#ASMEND
	ds_store_b128 v16, v[9:12] offset:8448
.LBB1397_84:
	s_or_b32 exec_lo, exec_lo, s6
	s_delay_alu instid0(SALU_CYCLE_1)
	s_and_b32 exec_lo, exec_lo, s2
; %bb.85:
	v_mov_b32_e32 v9, 0
	ds_store_b64 v9, v[11:12] offset:56
.LBB1397_86:
	s_wait_alu 0xfffe
	s_or_b32 exec_lo, exec_lo, s3
	v_mov_b32_e32 v9, 0
	s_wait_loadcnt_dscnt 0x0
	s_barrier_signal -1
	s_barrier_wait -1
	global_inv scope:SCOPE_SE
	ds_load_b64 v[13:14], v9 offset:56
	v_cndmask_b32_e64 v11, v35, v21, s1
	v_cndmask_b32_e64 v10, v36, v22, s1
	s_wait_loadcnt_dscnt 0x0
	s_barrier_signal -1
	s_barrier_wait -1
	v_cndmask_b32_e64 v16, v11, 0, s2
	v_cndmask_b32_e64 v15, v10, 0, s2
	global_inv scope:SCOPE_SE
	ds_load_b128 v[9:12], v9 offset:8448
	v_add_co_u32 v23, vcc_lo, v13, v16
	s_wait_alu 0xfffd
	v_add_co_ci_u32_e64 v24, null, v14, v15, vcc_lo
	s_delay_alu instid0(VALU_DEP_2) | instskip(SKIP_1) | instid1(VALU_DEP_2)
	v_add_co_u32 v21, vcc_lo, v23, v32
	s_wait_alu 0xfffd
	v_add_co_ci_u32_e64 v22, null, 0, v24, vcc_lo
	s_delay_alu instid0(VALU_DEP_2) | instskip(SKIP_1) | instid1(VALU_DEP_2)
	;; [unrolled: 4-line block ×3, first 2 shown]
	v_add_co_u32 v15, vcc_lo, v13, v30
	s_wait_alu 0xfffd
	v_add_co_ci_u32_e64 v16, null, 0, v14, vcc_lo
	s_branch .LBB1397_112
.LBB1397_87:
	s_wait_dscnt 0x0
	v_dual_mov_b32 v10, 0 :: v_dual_mov_b32 v11, v19
	v_mov_b32_dpp v12, v19 row_shr:1 row_mask:0xf bank_mask:0xf
	s_delay_alu instid0(VALU_DEP_2)
	v_mov_b32_dpp v9, v10 row_shr:1 row_mask:0xf bank_mask:0xf
	s_and_saveexec_b32 s1, s0
; %bb.88:
	s_delay_alu instid0(VALU_DEP_2) | instskip(SKIP_2) | instid1(VALU_DEP_2)
	v_add_co_u32 v11, vcc_lo, v19, v12
	s_wait_alu 0xfffd
	v_add_co_ci_u32_e64 v10, null, 0, v20, vcc_lo
	v_add_co_u32 v19, vcc_lo, 0, v11
	s_wait_alu 0xfffd
	s_delay_alu instid0(VALU_DEP_2) | instskip(NEXT) | instid1(VALU_DEP_1)
	v_add_co_ci_u32_e64 v20, null, v9, v10, vcc_lo
	v_mov_b32_e32 v10, v20
; %bb.89:
	s_wait_alu 0xfffe
	s_or_b32 exec_lo, exec_lo, s1
	v_mov_b32_dpp v9, v11 row_shr:2 row_mask:0xf bank_mask:0xf
	s_delay_alu instid0(VALU_DEP_2)
	v_mov_b32_dpp v12, v10 row_shr:2 row_mask:0xf bank_mask:0xf
	s_mov_b32 s0, exec_lo
	v_cmpx_lt_u32_e32 1, v34
; %bb.90:
	s_delay_alu instid0(VALU_DEP_3) | instskip(SKIP_2) | instid1(VALU_DEP_2)
	v_add_co_u32 v11, vcc_lo, v19, v9
	s_wait_alu 0xfffd
	v_add_co_ci_u32_e64 v10, null, 0, v20, vcc_lo
	v_add_co_u32 v9, vcc_lo, 0, v11
	s_wait_alu 0xfffd
	s_delay_alu instid0(VALU_DEP_2) | instskip(NEXT) | instid1(VALU_DEP_1)
	v_add_co_ci_u32_e64 v10, null, v12, v10, vcc_lo
	v_dual_mov_b32 v20, v10 :: v_dual_mov_b32 v19, v9
; %bb.91:
	s_wait_alu 0xfffe
	s_or_b32 exec_lo, exec_lo, s0
	v_mov_b32_dpp v9, v11 row_shr:4 row_mask:0xf bank_mask:0xf
	v_mov_b32_dpp v12, v10 row_shr:4 row_mask:0xf bank_mask:0xf
	s_mov_b32 s0, exec_lo
	v_cmpx_lt_u32_e32 3, v34
; %bb.92:
	s_delay_alu instid0(VALU_DEP_3) | instskip(SKIP_2) | instid1(VALU_DEP_2)
	v_add_co_u32 v11, vcc_lo, v19, v9
	s_wait_alu 0xfffd
	v_add_co_ci_u32_e64 v10, null, 0, v20, vcc_lo
	v_add_co_u32 v9, vcc_lo, 0, v11
	s_wait_alu 0xfffd
	s_delay_alu instid0(VALU_DEP_2) | instskip(NEXT) | instid1(VALU_DEP_1)
	v_add_co_ci_u32_e64 v10, null, v12, v10, vcc_lo
	v_dual_mov_b32 v20, v10 :: v_dual_mov_b32 v19, v9
; %bb.93:
	s_wait_alu 0xfffe
	s_or_b32 exec_lo, exec_lo, s0
	v_mov_b32_dpp v12, v11 row_shr:8 row_mask:0xf bank_mask:0xf
	v_mov_b32_dpp v9, v10 row_shr:8 row_mask:0xf bank_mask:0xf
	s_mov_b32 s0, exec_lo
	v_cmpx_lt_u32_e32 7, v34
; %bb.94:
	s_delay_alu instid0(VALU_DEP_3) | instskip(SKIP_2) | instid1(VALU_DEP_2)
	v_add_co_u32 v11, vcc_lo, v19, v12
	s_wait_alu 0xfffd
	v_add_co_ci_u32_e64 v10, null, 0, v20, vcc_lo
	v_add_co_u32 v19, vcc_lo, 0, v11
	s_wait_alu 0xfffd
	s_delay_alu instid0(VALU_DEP_2) | instskip(NEXT) | instid1(VALU_DEP_1)
	v_add_co_ci_u32_e64 v20, null, v9, v10, vcc_lo
	v_mov_b32_e32 v10, v20
; %bb.95:
	s_wait_alu 0xfffe
	s_or_b32 exec_lo, exec_lo, s0
	ds_swizzle_b32 v11, v11 offset:swizzle(BROADCAST,32,15)
	ds_swizzle_b32 v9, v10 offset:swizzle(BROADCAST,32,15)
	v_and_b32_e32 v10, 16, v33
	s_mov_b32 s0, exec_lo
	s_delay_alu instid0(VALU_DEP_1)
	v_cmpx_ne_u32_e32 0, v10
	s_cbranch_execz .LBB1397_97
; %bb.96:
	s_wait_dscnt 0x1
	v_add_co_u32 v10, vcc_lo, v19, v11
	s_wait_alu 0xfffd
	v_add_co_ci_u32_e64 v11, null, 0, v20, vcc_lo
	s_delay_alu instid0(VALU_DEP_2) | instskip(SKIP_2) | instid1(VALU_DEP_2)
	v_add_co_u32 v19, vcc_lo, v10, 0
	s_wait_dscnt 0x0
	s_wait_alu 0xfffd
	v_add_co_ci_u32_e64 v20, null, v11, v9, vcc_lo
.LBB1397_97:
	s_wait_alu 0xfffe
	s_or_b32 exec_lo, exec_lo, s0
	s_wait_dscnt 0x0
	v_or_b32_e32 v9, 31, v0
	s_mov_b32 s0, exec_lo
	s_delay_alu instid0(VALU_DEP_1)
	v_cmpx_eq_u32_e64 v0, v9
; %bb.98:
	v_lshlrev_b32_e32 v9, 3, v28
	ds_store_b64 v9, v[19:20]
; %bb.99:
	s_wait_alu 0xfffe
	s_or_b32 exec_lo, exec_lo, s0
	s_delay_alu instid0(SALU_CYCLE_1)
	s_mov_b32 s0, exec_lo
	s_wait_loadcnt_dscnt 0x0
	s_barrier_signal -1
	s_barrier_wait -1
	global_inv scope:SCOPE_SE
	v_cmpx_gt_u32_e32 8, v0
	s_cbranch_execz .LBB1397_107
; %bb.100:
	v_lshlrev_b32_e32 v11, 3, v0
	s_mov_b32 s1, exec_lo
	ds_load_b64 v[9:10], v11
	s_wait_dscnt 0x0
	v_dual_mov_b32 v13, v9 :: v_dual_and_b32 v12, 7, v33
	v_mov_b32_dpp v15, v9 row_shr:1 row_mask:0xf bank_mask:0xf
	v_mov_b32_dpp v14, v10 row_shr:1 row_mask:0xf bank_mask:0xf
	s_delay_alu instid0(VALU_DEP_3)
	v_cmpx_ne_u32_e32 0, v12
; %bb.101:
	s_delay_alu instid0(VALU_DEP_3) | instskip(SKIP_2) | instid1(VALU_DEP_2)
	v_add_co_u32 v13, vcc_lo, v9, v15
	s_wait_alu 0xfffd
	v_add_co_ci_u32_e64 v10, null, 0, v10, vcc_lo
	v_add_co_u32 v9, vcc_lo, 0, v13
	s_wait_alu 0xfffd
	s_delay_alu instid0(VALU_DEP_2)
	v_add_co_ci_u32_e64 v10, null, v14, v10, vcc_lo
; %bb.102:
	s_wait_alu 0xfffe
	s_or_b32 exec_lo, exec_lo, s1
	v_mov_b32_dpp v15, v13 row_shr:2 row_mask:0xf bank_mask:0xf
	s_delay_alu instid0(VALU_DEP_2)
	v_mov_b32_dpp v14, v10 row_shr:2 row_mask:0xf bank_mask:0xf
	s_mov_b32 s1, exec_lo
	v_cmpx_lt_u32_e32 1, v12
; %bb.103:
	s_delay_alu instid0(VALU_DEP_3) | instskip(SKIP_2) | instid1(VALU_DEP_2)
	v_add_co_u32 v13, vcc_lo, v9, v15
	s_wait_alu 0xfffd
	v_add_co_ci_u32_e64 v10, null, 0, v10, vcc_lo
	v_add_co_u32 v9, vcc_lo, 0, v13
	s_wait_alu 0xfffd
	s_delay_alu instid0(VALU_DEP_2)
	v_add_co_ci_u32_e64 v10, null, v14, v10, vcc_lo
; %bb.104:
	s_wait_alu 0xfffe
	s_or_b32 exec_lo, exec_lo, s1
	v_mov_b32_dpp v14, v13 row_shr:4 row_mask:0xf bank_mask:0xf
	s_delay_alu instid0(VALU_DEP_2)
	v_mov_b32_dpp v13, v10 row_shr:4 row_mask:0xf bank_mask:0xf
	s_mov_b32 s1, exec_lo
	v_cmpx_lt_u32_e32 3, v12
; %bb.105:
	s_delay_alu instid0(VALU_DEP_3) | instskip(SKIP_2) | instid1(VALU_DEP_2)
	v_add_co_u32 v9, vcc_lo, v9, v14
	s_wait_alu 0xfffd
	v_add_co_ci_u32_e64 v10, null, 0, v10, vcc_lo
	v_add_co_u32 v9, vcc_lo, v9, 0
	s_wait_alu 0xfffd
	s_delay_alu instid0(VALU_DEP_2)
	v_add_co_ci_u32_e64 v10, null, v10, v13, vcc_lo
; %bb.106:
	s_wait_alu 0xfffe
	s_or_b32 exec_lo, exec_lo, s1
	ds_store_b64 v11, v[9:10]
.LBB1397_107:
	s_wait_alu 0xfffe
	s_or_b32 exec_lo, exec_lo, s0
	v_mov_b32_e32 v13, 0
	v_mov_b32_e32 v14, 0
	s_mov_b32 s0, exec_lo
	s_wait_loadcnt_dscnt 0x0
	s_barrier_signal -1
	s_barrier_wait -1
	global_inv scope:SCOPE_SE
	v_cmpx_lt_u32_e32 31, v0
; %bb.108:
	v_lshl_add_u32 v9, v28, 3, -8
	ds_load_b64 v[13:14], v9
; %bb.109:
	s_wait_alu 0xfffe
	s_or_b32 exec_lo, exec_lo, s0
	v_sub_co_u32 v9, vcc_lo, v33, 1
	v_mov_b32_e32 v12, 0
	s_delay_alu instid0(VALU_DEP_2) | instskip(SKIP_1) | instid1(VALU_DEP_1)
	v_cmp_gt_i32_e64 s0, 0, v9
	s_wait_alu 0xf1ff
	v_cndmask_b32_e64 v9, v9, v33, s0
	s_wait_dscnt 0x0
	v_add_co_u32 v10, s0, v13, v19
	s_wait_alu 0xf1ff
	v_add_co_ci_u32_e64 v11, null, v14, v20, s0
	v_lshlrev_b32_e32 v9, 2, v9
	ds_bpermute_b32 v15, v9, v10
	ds_bpermute_b32 v16, v9, v11
	ds_load_b64 v[9:10], v12 offset:56
	s_and_saveexec_b32 s0, s2
	s_cbranch_execz .LBB1397_111
; %bb.110:
	s_add_nc_u64 s[6:7], s[14:15], 0x200
	s_delay_alu instid0(SALU_CYCLE_1)
	v_dual_mov_b32 v11, 2 :: v_dual_mov_b32 v20, s7
	v_mov_b32_e32 v19, s6
	s_wait_dscnt 0x0
	;;#ASMSTART
	global_store_b128 v[19:20], v[9:12] off scope:SCOPE_DEV	
s_wait_storecnt 0x0
	;;#ASMEND
.LBB1397_111:
	s_wait_alu 0xfffe
	s_or_b32 exec_lo, exec_lo, s0
	s_wait_dscnt 0x1
	s_wait_alu 0xfffd
	v_dual_cndmask_b32 v11, v15, v13 :: v_dual_cndmask_b32 v12, v16, v14
	s_wait_loadcnt_dscnt 0x0
	s_barrier_signal -1
	s_barrier_wait -1
	s_delay_alu instid0(VALU_DEP_1)
	v_cndmask_b32_e64 v23, v11, 0, s2
	v_cndmask_b32_e64 v24, v12, 0, s2
	v_mov_b32_e32 v11, 0
	v_mov_b32_e32 v12, 0
	global_inv scope:SCOPE_SE
	v_add_co_u32 v21, vcc_lo, v23, v32
	s_wait_alu 0xfffd
	v_add_co_ci_u32_e64 v22, null, 0, v24, vcc_lo
	s_delay_alu instid0(VALU_DEP_2) | instskip(SKIP_1) | instid1(VALU_DEP_2)
	v_add_co_u32 v13, vcc_lo, v21, v31
	s_wait_alu 0xfffd
	v_add_co_ci_u32_e64 v14, null, 0, v22, vcc_lo
	s_delay_alu instid0(VALU_DEP_2) | instskip(SKIP_1) | instid1(VALU_DEP_2)
	v_add_co_u32 v15, vcc_lo, v13, v30
	s_wait_alu 0xfffd
	v_add_co_ci_u32_e64 v16, null, 0, v14, vcc_lo
.LBB1397_112:
	v_and_b32_e32 v28, 1, v29
	s_wait_dscnt 0x0
	v_cmp_gt_u64_e32 vcc_lo, 0x101, v[9:10]
	v_lshrrev_b32_e32 v25, 16, v29
	v_lshrrev_b32_e32 v26, 8, v29
	s_mov_b32 s1, -1
	v_cmp_eq_u32_e64 s0, 1, v28
	s_cbranch_vccnz .LBB1397_116
; %bb.113:
	s_wait_alu 0xfffe
	s_and_b32 vcc_lo, exec_lo, s1
	s_wait_alu 0xfffe
	s_cbranch_vccnz .LBB1397_125
.LBB1397_114:
	s_and_b32 s0, s2, s18
	s_wait_alu 0xfffe
	s_and_saveexec_b32 s1, s0
	s_cbranch_execnz .LBB1397_137
.LBB1397_115:
	s_endpgm
.LBB1397_116:
	v_add_co_u32 v19, vcc_lo, v11, v9
	s_wait_alu 0xfffd
	v_add_co_ci_u32_e64 v20, null, v12, v10, vcc_lo
	v_lshlrev_b64_e32 v[29:30], 3, v[17:18]
	s_delay_alu instid0(VALU_DEP_2) | instskip(NEXT) | instid1(VALU_DEP_2)
	v_cmp_lt_u64_e32 vcc_lo, v[23:24], v[19:20]
	v_add_co_u32 v29, s1, s12, v29
	s_wait_alu 0xf1fe
	s_delay_alu instid0(VALU_DEP_3)
	v_add_co_ci_u32_e64 v30, null, s13, v30, s1
	s_or_b32 s1, s19, vcc_lo
	s_wait_alu 0xfffe
	s_and_b32 s1, s1, s0
	s_wait_alu 0xfffe
	s_and_saveexec_b32 s0, s1
	s_cbranch_execz .LBB1397_118
; %bb.117:
	v_lshlrev_b64_e32 v[31:32], 3, v[23:24]
	s_delay_alu instid0(VALU_DEP_1) | instskip(SKIP_1) | instid1(VALU_DEP_2)
	v_add_co_u32 v31, vcc_lo, v29, v31
	s_wait_alu 0xfffd
	v_add_co_ci_u32_e64 v32, null, v30, v32, vcc_lo
	global_store_b64 v[31:32], v[5:6], off
.LBB1397_118:
	s_wait_alu 0xfffe
	s_or_b32 exec_lo, exec_lo, s0
	v_and_b32_e32 v24, 1, v26
	v_cmp_lt_u64_e32 vcc_lo, v[21:22], v[19:20]
	s_delay_alu instid0(VALU_DEP_2)
	v_cmp_eq_u32_e64 s0, 1, v24
	s_or_b32 s1, s19, vcc_lo
	s_wait_alu 0xfffe
	s_and_b32 s1, s1, s0
	s_wait_alu 0xfffe
	s_and_saveexec_b32 s0, s1
	s_cbranch_execz .LBB1397_120
; %bb.119:
	v_lshlrev_b64_e32 v[31:32], 3, v[21:22]
	s_delay_alu instid0(VALU_DEP_1) | instskip(SKIP_1) | instid1(VALU_DEP_2)
	v_add_co_u32 v31, vcc_lo, v29, v31
	s_wait_alu 0xfffd
	v_add_co_ci_u32_e64 v32, null, v30, v32, vcc_lo
	global_store_b64 v[31:32], v[7:8], off
.LBB1397_120:
	s_wait_alu 0xfffe
	s_or_b32 exec_lo, exec_lo, s0
	v_and_b32_e32 v22, 1, v25
	v_cmp_lt_u64_e32 vcc_lo, v[13:14], v[19:20]
	s_delay_alu instid0(VALU_DEP_2)
	v_cmp_eq_u32_e64 s0, 1, v22
	;; [unrolled: 20-line block ×3, first 2 shown]
	s_or_b32 s1, s19, vcc_lo
	s_wait_alu 0xfffe
	s_and_b32 s1, s1, s0
	s_wait_alu 0xfffe
	s_and_saveexec_b32 s0, s1
	s_cbranch_execz .LBB1397_124
; %bb.123:
	v_lshlrev_b64_e32 v[19:20], 3, v[15:16]
	s_delay_alu instid0(VALU_DEP_1) | instskip(SKIP_1) | instid1(VALU_DEP_2)
	v_add_co_u32 v19, vcc_lo, v29, v19
	s_wait_alu 0xfffd
	v_add_co_ci_u32_e64 v20, null, v30, v20, vcc_lo
	global_store_b64 v[19:20], v[3:4], off
.LBB1397_124:
	s_wait_alu 0xfffe
	s_or_b32 exec_lo, exec_lo, s0
	s_branch .LBB1397_114
.LBB1397_125:
	s_mov_b32 s0, exec_lo
	v_cmpx_eq_u32_e32 1, v28
; %bb.126:
	v_sub_nc_u32_e32 v14, v23, v11
	s_delay_alu instid0(VALU_DEP_1)
	v_lshlrev_b32_e32 v14, 3, v14
	ds_store_b64 v14, v[5:6]
; %bb.127:
	s_wait_alu 0xfffe
	s_or_b32 exec_lo, exec_lo, s0
	v_and_b32_e32 v5, 1, v26
	s_mov_b32 s0, exec_lo
	s_delay_alu instid0(VALU_DEP_1)
	v_cmpx_eq_u32_e32 1, v5
; %bb.128:
	v_sub_nc_u32_e32 v5, v21, v11
	s_delay_alu instid0(VALU_DEP_1)
	v_lshlrev_b32_e32 v5, 3, v5
	ds_store_b64 v5, v[7:8]
; %bb.129:
	s_wait_alu 0xfffe
	s_or_b32 exec_lo, exec_lo, s0
	v_and_b32_e32 v5, 1, v25
	s_mov_b32 s0, exec_lo
	s_delay_alu instid0(VALU_DEP_1)
	;; [unrolled: 12-line block ×3, first 2 shown]
	v_cmpx_eq_u32_e32 1, v1
; %bb.132:
	v_sub_nc_u32_e32 v1, v15, v11
	s_delay_alu instid0(VALU_DEP_1)
	v_lshlrev_b32_e32 v1, 3, v1
	ds_store_b64 v1, v[3:4]
; %bb.133:
	s_wait_alu 0xfffe
	s_or_b32 exec_lo, exec_lo, s0
	v_mov_b32_e32 v1, 0
	s_mov_b32 s1, exec_lo
	s_wait_storecnt 0x0
	s_wait_loadcnt_dscnt 0x0
	s_barrier_signal -1
	s_barrier_wait -1
	global_inv scope:SCOPE_SE
	v_cmpx_gt_u64_e64 v[9:10], v[0:1]
	s_cbranch_execz .LBB1397_136
; %bb.134:
	v_lshlrev_b64_e32 v[2:3], 3, v[17:18]
	v_lshlrev_b64_e32 v[4:5], 3, v[11:12]
	s_mov_b32 s3, 0
	s_delay_alu instid0(VALU_DEP_2) | instskip(SKIP_1) | instid1(VALU_DEP_3)
	v_add_co_u32 v6, vcc_lo, s12, v2
	s_wait_alu 0xfffd
	v_add_co_ci_u32_e64 v7, null, s13, v3, vcc_lo
	v_dual_mov_b32 v3, v1 :: v_dual_mov_b32 v2, v0
	s_delay_alu instid0(VALU_DEP_3) | instskip(SKIP_1) | instid1(VALU_DEP_3)
	v_add_co_u32 v4, vcc_lo, v6, v4
	s_wait_alu 0xfffd
	v_add_co_ci_u32_e64 v5, null, v7, v5, vcc_lo
	v_or_b32_e32 v0, 0x100, v0
.LBB1397_135:                           ; =>This Inner Loop Header: Depth=1
	v_lshlrev_b32_e32 v6, 3, v2
	v_lshlrev_b64_e32 v[13:14], 3, v[2:3]
	v_mov_b32_e32 v3, v1
	s_delay_alu instid0(VALU_DEP_4)
	v_cmp_le_u64_e32 vcc_lo, v[9:10], v[0:1]
	v_mov_b32_e32 v2, v0
	ds_load_b64 v[6:7], v6
	v_add_nc_u32_e32 v0, 0x100, v0
	v_add_co_u32 v13, s0, v4, v13
	s_wait_alu 0xf1ff
	v_add_co_ci_u32_e64 v14, null, v5, v14, s0
	s_wait_alu 0xfffe
	s_or_b32 s3, vcc_lo, s3
	s_wait_dscnt 0x0
	global_store_b64 v[13:14], v[6:7], off
	s_wait_alu 0xfffe
	s_and_not1_b32 exec_lo, exec_lo, s3
	s_cbranch_execnz .LBB1397_135
.LBB1397_136:
	s_wait_alu 0xfffe
	s_or_b32 exec_lo, exec_lo, s1
	s_and_b32 s0, s2, s18
	s_wait_alu 0xfffe
	s_and_saveexec_b32 s1, s0
	s_cbranch_execz .LBB1397_115
.LBB1397_137:
	v_add_co_u32 v0, vcc_lo, v11, v9
	s_wait_alu 0xfffd
	v_add_co_ci_u32_e64 v1, null, v12, v10, vcc_lo
	v_mov_b32_e32 v2, 0
	s_delay_alu instid0(VALU_DEP_3) | instskip(SKIP_1) | instid1(VALU_DEP_3)
	v_add_co_u32 v0, vcc_lo, v0, v17
	s_wait_alu 0xfffd
	v_add_co_ci_u32_e64 v1, null, v1, v18, vcc_lo
	global_store_b64 v2, v[0:1], s[4:5]
	s_endpgm
.LBB1397_138:
	v_lshlrev_b32_e32 v3, 3, v0
	s_delay_alu instid0(VALU_DEP_1)
	v_add_co_u32 v3, s1, s10, v3
	s_wait_alu 0xf1ff
	v_add_co_ci_u32_e64 v4, null, s11, 0, s1
	flat_load_b64 v[3:4], v[3:4] offset:2048
	s_wait_alu 0xfffe
	s_or_b32 exec_lo, exec_lo, s0
	s_delay_alu instid0(SALU_CYCLE_1)
	s_mov_b32 s0, exec_lo
	v_cmpx_gt_u32_e64 s3, v10
	s_cbranch_execz .LBB1397_11
.LBB1397_139:
	v_lshlrev_b32_e32 v5, 3, v0
	s_delay_alu instid0(VALU_DEP_1)
	v_add_co_u32 v5, s1, s10, v5
	s_wait_alu 0xf1ff
	v_add_co_ci_u32_e64 v6, null, s11, 0, s1
	flat_load_b64 v[5:6], v[5:6] offset:4096
	s_wait_alu 0xfffe
	s_or_b32 exec_lo, exec_lo, s0
	s_delay_alu instid0(SALU_CYCLE_1)
	s_mov_b32 s0, exec_lo
	v_cmpx_gt_u32_e64 s3, v9
	s_cbranch_execnz .LBB1397_12
	s_branch .LBB1397_13
.LBB1397_140:
	v_lshlrev_b32_e32 v16, 3, v0
	global_load_b64 v[19:20], v16, s[0:1] offset:2048
	s_wait_loadcnt 0x0
	v_cmp_eq_u64_e32 vcc_lo, 0, v[19:20]
	s_wait_alu 0xfffd
	v_cndmask_b32_e64 v16, 0, 1, vcc_lo
	s_delay_alu instid0(VALU_DEP_1) | instskip(NEXT) | instid1(VALU_DEP_1)
	v_lshlrev_b16 v16, 8, v16
	v_or_b32_e32 v14, v14, v16
	s_delay_alu instid0(VALU_DEP_1) | instskip(SKIP_1) | instid1(SALU_CYCLE_1)
	v_and_b32_e32 v14, 0xffff, v14
	s_or_b32 exec_lo, exec_lo, s6
	s_mov_b32 s6, exec_lo
	v_cmpx_gt_u32_e64 s3, v10
	s_cbranch_execz .LBB1397_21
.LBB1397_141:
	v_lshlrev_b32_e32 v16, 3, v0
	global_load_b64 v[19:20], v16, s[0:1] offset:4096
	s_wait_loadcnt 0x0
	v_cmp_eq_u64_e32 vcc_lo, 0, v[19:20]
	s_wait_alu 0xfffd
	v_cndmask_b32_e64 v16, 0, 1, vcc_lo
	s_delay_alu instid0(VALU_DEP_1)
	v_lshl_or_b32 v14, v16, 16, v14
	s_or_b32 exec_lo, exec_lo, s6
	v_cmp_gt_u32_e32 vcc_lo, s3, v9
	s_and_saveexec_b32 s3, vcc_lo
	s_cbranch_execnz .LBB1397_22
	s_branch .LBB1397_23
	.section	.rodata,"a",@progbits
	.p2align	6, 0x0
	.amdhsa_kernel _ZN7rocprim17ROCPRIM_400000_NS6detail17trampoline_kernelINS0_14default_configENS1_25partition_config_selectorILNS1_17partition_subalgoE5EyNS0_10empty_typeEbEEZZNS1_14partition_implILS5_5ELb0ES3_mN6thrust23THRUST_200600_302600_NS6detail15normal_iteratorINSA_10device_ptrIyEEEEPS6_NSA_18transform_iteratorINSB_9not_fun_tI7is_trueIyEEESF_NSA_11use_defaultESM_EENS0_5tupleIJSF_S6_EEENSO_IJSG_SG_EEES6_PlJS6_EEE10hipError_tPvRmT3_T4_T5_T6_T7_T9_mT8_P12ihipStream_tbDpT10_ENKUlT_T0_E_clISt17integral_constantIbLb0EES1A_IbLb1EEEEDaS16_S17_EUlS16_E_NS1_11comp_targetILNS1_3genE10ELNS1_11target_archE1200ELNS1_3gpuE4ELNS1_3repE0EEENS1_30default_config_static_selectorELNS0_4arch9wavefront6targetE0EEEvT1_
		.amdhsa_group_segment_fixed_size 8464
		.amdhsa_private_segment_fixed_size 0
		.amdhsa_kernarg_size 136
		.amdhsa_user_sgpr_count 2
		.amdhsa_user_sgpr_dispatch_ptr 0
		.amdhsa_user_sgpr_queue_ptr 0
		.amdhsa_user_sgpr_kernarg_segment_ptr 1
		.amdhsa_user_sgpr_dispatch_id 0
		.amdhsa_user_sgpr_private_segment_size 0
		.amdhsa_wavefront_size32 1
		.amdhsa_uses_dynamic_stack 0
		.amdhsa_enable_private_segment 0
		.amdhsa_system_sgpr_workgroup_id_x 1
		.amdhsa_system_sgpr_workgroup_id_y 0
		.amdhsa_system_sgpr_workgroup_id_z 0
		.amdhsa_system_sgpr_workgroup_info 0
		.amdhsa_system_vgpr_workitem_id 0
		.amdhsa_next_free_vgpr 48
		.amdhsa_next_free_sgpr 26
		.amdhsa_reserve_vcc 1
		.amdhsa_float_round_mode_32 0
		.amdhsa_float_round_mode_16_64 0
		.amdhsa_float_denorm_mode_32 3
		.amdhsa_float_denorm_mode_16_64 3
		.amdhsa_fp16_overflow 0
		.amdhsa_workgroup_processor_mode 1
		.amdhsa_memory_ordered 1
		.amdhsa_forward_progress 1
		.amdhsa_inst_pref_size 56
		.amdhsa_round_robin_scheduling 0
		.amdhsa_exception_fp_ieee_invalid_op 0
		.amdhsa_exception_fp_denorm_src 0
		.amdhsa_exception_fp_ieee_div_zero 0
		.amdhsa_exception_fp_ieee_overflow 0
		.amdhsa_exception_fp_ieee_underflow 0
		.amdhsa_exception_fp_ieee_inexact 0
		.amdhsa_exception_int_div_zero 0
	.end_amdhsa_kernel
	.section	.text._ZN7rocprim17ROCPRIM_400000_NS6detail17trampoline_kernelINS0_14default_configENS1_25partition_config_selectorILNS1_17partition_subalgoE5EyNS0_10empty_typeEbEEZZNS1_14partition_implILS5_5ELb0ES3_mN6thrust23THRUST_200600_302600_NS6detail15normal_iteratorINSA_10device_ptrIyEEEEPS6_NSA_18transform_iteratorINSB_9not_fun_tI7is_trueIyEEESF_NSA_11use_defaultESM_EENS0_5tupleIJSF_S6_EEENSO_IJSG_SG_EEES6_PlJS6_EEE10hipError_tPvRmT3_T4_T5_T6_T7_T9_mT8_P12ihipStream_tbDpT10_ENKUlT_T0_E_clISt17integral_constantIbLb0EES1A_IbLb1EEEEDaS16_S17_EUlS16_E_NS1_11comp_targetILNS1_3genE10ELNS1_11target_archE1200ELNS1_3gpuE4ELNS1_3repE0EEENS1_30default_config_static_selectorELNS0_4arch9wavefront6targetE0EEEvT1_,"axG",@progbits,_ZN7rocprim17ROCPRIM_400000_NS6detail17trampoline_kernelINS0_14default_configENS1_25partition_config_selectorILNS1_17partition_subalgoE5EyNS0_10empty_typeEbEEZZNS1_14partition_implILS5_5ELb0ES3_mN6thrust23THRUST_200600_302600_NS6detail15normal_iteratorINSA_10device_ptrIyEEEEPS6_NSA_18transform_iteratorINSB_9not_fun_tI7is_trueIyEEESF_NSA_11use_defaultESM_EENS0_5tupleIJSF_S6_EEENSO_IJSG_SG_EEES6_PlJS6_EEE10hipError_tPvRmT3_T4_T5_T6_T7_T9_mT8_P12ihipStream_tbDpT10_ENKUlT_T0_E_clISt17integral_constantIbLb0EES1A_IbLb1EEEEDaS16_S17_EUlS16_E_NS1_11comp_targetILNS1_3genE10ELNS1_11target_archE1200ELNS1_3gpuE4ELNS1_3repE0EEENS1_30default_config_static_selectorELNS0_4arch9wavefront6targetE0EEEvT1_,comdat
.Lfunc_end1397:
	.size	_ZN7rocprim17ROCPRIM_400000_NS6detail17trampoline_kernelINS0_14default_configENS1_25partition_config_selectorILNS1_17partition_subalgoE5EyNS0_10empty_typeEbEEZZNS1_14partition_implILS5_5ELb0ES3_mN6thrust23THRUST_200600_302600_NS6detail15normal_iteratorINSA_10device_ptrIyEEEEPS6_NSA_18transform_iteratorINSB_9not_fun_tI7is_trueIyEEESF_NSA_11use_defaultESM_EENS0_5tupleIJSF_S6_EEENSO_IJSG_SG_EEES6_PlJS6_EEE10hipError_tPvRmT3_T4_T5_T6_T7_T9_mT8_P12ihipStream_tbDpT10_ENKUlT_T0_E_clISt17integral_constantIbLb0EES1A_IbLb1EEEEDaS16_S17_EUlS16_E_NS1_11comp_targetILNS1_3genE10ELNS1_11target_archE1200ELNS1_3gpuE4ELNS1_3repE0EEENS1_30default_config_static_selectorELNS0_4arch9wavefront6targetE0EEEvT1_, .Lfunc_end1397-_ZN7rocprim17ROCPRIM_400000_NS6detail17trampoline_kernelINS0_14default_configENS1_25partition_config_selectorILNS1_17partition_subalgoE5EyNS0_10empty_typeEbEEZZNS1_14partition_implILS5_5ELb0ES3_mN6thrust23THRUST_200600_302600_NS6detail15normal_iteratorINSA_10device_ptrIyEEEEPS6_NSA_18transform_iteratorINSB_9not_fun_tI7is_trueIyEEESF_NSA_11use_defaultESM_EENS0_5tupleIJSF_S6_EEENSO_IJSG_SG_EEES6_PlJS6_EEE10hipError_tPvRmT3_T4_T5_T6_T7_T9_mT8_P12ihipStream_tbDpT10_ENKUlT_T0_E_clISt17integral_constantIbLb0EES1A_IbLb1EEEEDaS16_S17_EUlS16_E_NS1_11comp_targetILNS1_3genE10ELNS1_11target_archE1200ELNS1_3gpuE4ELNS1_3repE0EEENS1_30default_config_static_selectorELNS0_4arch9wavefront6targetE0EEEvT1_
                                        ; -- End function
	.set _ZN7rocprim17ROCPRIM_400000_NS6detail17trampoline_kernelINS0_14default_configENS1_25partition_config_selectorILNS1_17partition_subalgoE5EyNS0_10empty_typeEbEEZZNS1_14partition_implILS5_5ELb0ES3_mN6thrust23THRUST_200600_302600_NS6detail15normal_iteratorINSA_10device_ptrIyEEEEPS6_NSA_18transform_iteratorINSB_9not_fun_tI7is_trueIyEEESF_NSA_11use_defaultESM_EENS0_5tupleIJSF_S6_EEENSO_IJSG_SG_EEES6_PlJS6_EEE10hipError_tPvRmT3_T4_T5_T6_T7_T9_mT8_P12ihipStream_tbDpT10_ENKUlT_T0_E_clISt17integral_constantIbLb0EES1A_IbLb1EEEEDaS16_S17_EUlS16_E_NS1_11comp_targetILNS1_3genE10ELNS1_11target_archE1200ELNS1_3gpuE4ELNS1_3repE0EEENS1_30default_config_static_selectorELNS0_4arch9wavefront6targetE0EEEvT1_.num_vgpr, 48
	.set _ZN7rocprim17ROCPRIM_400000_NS6detail17trampoline_kernelINS0_14default_configENS1_25partition_config_selectorILNS1_17partition_subalgoE5EyNS0_10empty_typeEbEEZZNS1_14partition_implILS5_5ELb0ES3_mN6thrust23THRUST_200600_302600_NS6detail15normal_iteratorINSA_10device_ptrIyEEEEPS6_NSA_18transform_iteratorINSB_9not_fun_tI7is_trueIyEEESF_NSA_11use_defaultESM_EENS0_5tupleIJSF_S6_EEENSO_IJSG_SG_EEES6_PlJS6_EEE10hipError_tPvRmT3_T4_T5_T6_T7_T9_mT8_P12ihipStream_tbDpT10_ENKUlT_T0_E_clISt17integral_constantIbLb0EES1A_IbLb1EEEEDaS16_S17_EUlS16_E_NS1_11comp_targetILNS1_3genE10ELNS1_11target_archE1200ELNS1_3gpuE4ELNS1_3repE0EEENS1_30default_config_static_selectorELNS0_4arch9wavefront6targetE0EEEvT1_.num_agpr, 0
	.set _ZN7rocprim17ROCPRIM_400000_NS6detail17trampoline_kernelINS0_14default_configENS1_25partition_config_selectorILNS1_17partition_subalgoE5EyNS0_10empty_typeEbEEZZNS1_14partition_implILS5_5ELb0ES3_mN6thrust23THRUST_200600_302600_NS6detail15normal_iteratorINSA_10device_ptrIyEEEEPS6_NSA_18transform_iteratorINSB_9not_fun_tI7is_trueIyEEESF_NSA_11use_defaultESM_EENS0_5tupleIJSF_S6_EEENSO_IJSG_SG_EEES6_PlJS6_EEE10hipError_tPvRmT3_T4_T5_T6_T7_T9_mT8_P12ihipStream_tbDpT10_ENKUlT_T0_E_clISt17integral_constantIbLb0EES1A_IbLb1EEEEDaS16_S17_EUlS16_E_NS1_11comp_targetILNS1_3genE10ELNS1_11target_archE1200ELNS1_3gpuE4ELNS1_3repE0EEENS1_30default_config_static_selectorELNS0_4arch9wavefront6targetE0EEEvT1_.numbered_sgpr, 26
	.set _ZN7rocprim17ROCPRIM_400000_NS6detail17trampoline_kernelINS0_14default_configENS1_25partition_config_selectorILNS1_17partition_subalgoE5EyNS0_10empty_typeEbEEZZNS1_14partition_implILS5_5ELb0ES3_mN6thrust23THRUST_200600_302600_NS6detail15normal_iteratorINSA_10device_ptrIyEEEEPS6_NSA_18transform_iteratorINSB_9not_fun_tI7is_trueIyEEESF_NSA_11use_defaultESM_EENS0_5tupleIJSF_S6_EEENSO_IJSG_SG_EEES6_PlJS6_EEE10hipError_tPvRmT3_T4_T5_T6_T7_T9_mT8_P12ihipStream_tbDpT10_ENKUlT_T0_E_clISt17integral_constantIbLb0EES1A_IbLb1EEEEDaS16_S17_EUlS16_E_NS1_11comp_targetILNS1_3genE10ELNS1_11target_archE1200ELNS1_3gpuE4ELNS1_3repE0EEENS1_30default_config_static_selectorELNS0_4arch9wavefront6targetE0EEEvT1_.num_named_barrier, 0
	.set _ZN7rocprim17ROCPRIM_400000_NS6detail17trampoline_kernelINS0_14default_configENS1_25partition_config_selectorILNS1_17partition_subalgoE5EyNS0_10empty_typeEbEEZZNS1_14partition_implILS5_5ELb0ES3_mN6thrust23THRUST_200600_302600_NS6detail15normal_iteratorINSA_10device_ptrIyEEEEPS6_NSA_18transform_iteratorINSB_9not_fun_tI7is_trueIyEEESF_NSA_11use_defaultESM_EENS0_5tupleIJSF_S6_EEENSO_IJSG_SG_EEES6_PlJS6_EEE10hipError_tPvRmT3_T4_T5_T6_T7_T9_mT8_P12ihipStream_tbDpT10_ENKUlT_T0_E_clISt17integral_constantIbLb0EES1A_IbLb1EEEEDaS16_S17_EUlS16_E_NS1_11comp_targetILNS1_3genE10ELNS1_11target_archE1200ELNS1_3gpuE4ELNS1_3repE0EEENS1_30default_config_static_selectorELNS0_4arch9wavefront6targetE0EEEvT1_.private_seg_size, 0
	.set _ZN7rocprim17ROCPRIM_400000_NS6detail17trampoline_kernelINS0_14default_configENS1_25partition_config_selectorILNS1_17partition_subalgoE5EyNS0_10empty_typeEbEEZZNS1_14partition_implILS5_5ELb0ES3_mN6thrust23THRUST_200600_302600_NS6detail15normal_iteratorINSA_10device_ptrIyEEEEPS6_NSA_18transform_iteratorINSB_9not_fun_tI7is_trueIyEEESF_NSA_11use_defaultESM_EENS0_5tupleIJSF_S6_EEENSO_IJSG_SG_EEES6_PlJS6_EEE10hipError_tPvRmT3_T4_T5_T6_T7_T9_mT8_P12ihipStream_tbDpT10_ENKUlT_T0_E_clISt17integral_constantIbLb0EES1A_IbLb1EEEEDaS16_S17_EUlS16_E_NS1_11comp_targetILNS1_3genE10ELNS1_11target_archE1200ELNS1_3gpuE4ELNS1_3repE0EEENS1_30default_config_static_selectorELNS0_4arch9wavefront6targetE0EEEvT1_.uses_vcc, 1
	.set _ZN7rocprim17ROCPRIM_400000_NS6detail17trampoline_kernelINS0_14default_configENS1_25partition_config_selectorILNS1_17partition_subalgoE5EyNS0_10empty_typeEbEEZZNS1_14partition_implILS5_5ELb0ES3_mN6thrust23THRUST_200600_302600_NS6detail15normal_iteratorINSA_10device_ptrIyEEEEPS6_NSA_18transform_iteratorINSB_9not_fun_tI7is_trueIyEEESF_NSA_11use_defaultESM_EENS0_5tupleIJSF_S6_EEENSO_IJSG_SG_EEES6_PlJS6_EEE10hipError_tPvRmT3_T4_T5_T6_T7_T9_mT8_P12ihipStream_tbDpT10_ENKUlT_T0_E_clISt17integral_constantIbLb0EES1A_IbLb1EEEEDaS16_S17_EUlS16_E_NS1_11comp_targetILNS1_3genE10ELNS1_11target_archE1200ELNS1_3gpuE4ELNS1_3repE0EEENS1_30default_config_static_selectorELNS0_4arch9wavefront6targetE0EEEvT1_.uses_flat_scratch, 1
	.set _ZN7rocprim17ROCPRIM_400000_NS6detail17trampoline_kernelINS0_14default_configENS1_25partition_config_selectorILNS1_17partition_subalgoE5EyNS0_10empty_typeEbEEZZNS1_14partition_implILS5_5ELb0ES3_mN6thrust23THRUST_200600_302600_NS6detail15normal_iteratorINSA_10device_ptrIyEEEEPS6_NSA_18transform_iteratorINSB_9not_fun_tI7is_trueIyEEESF_NSA_11use_defaultESM_EENS0_5tupleIJSF_S6_EEENSO_IJSG_SG_EEES6_PlJS6_EEE10hipError_tPvRmT3_T4_T5_T6_T7_T9_mT8_P12ihipStream_tbDpT10_ENKUlT_T0_E_clISt17integral_constantIbLb0EES1A_IbLb1EEEEDaS16_S17_EUlS16_E_NS1_11comp_targetILNS1_3genE10ELNS1_11target_archE1200ELNS1_3gpuE4ELNS1_3repE0EEENS1_30default_config_static_selectorELNS0_4arch9wavefront6targetE0EEEvT1_.has_dyn_sized_stack, 0
	.set _ZN7rocprim17ROCPRIM_400000_NS6detail17trampoline_kernelINS0_14default_configENS1_25partition_config_selectorILNS1_17partition_subalgoE5EyNS0_10empty_typeEbEEZZNS1_14partition_implILS5_5ELb0ES3_mN6thrust23THRUST_200600_302600_NS6detail15normal_iteratorINSA_10device_ptrIyEEEEPS6_NSA_18transform_iteratorINSB_9not_fun_tI7is_trueIyEEESF_NSA_11use_defaultESM_EENS0_5tupleIJSF_S6_EEENSO_IJSG_SG_EEES6_PlJS6_EEE10hipError_tPvRmT3_T4_T5_T6_T7_T9_mT8_P12ihipStream_tbDpT10_ENKUlT_T0_E_clISt17integral_constantIbLb0EES1A_IbLb1EEEEDaS16_S17_EUlS16_E_NS1_11comp_targetILNS1_3genE10ELNS1_11target_archE1200ELNS1_3gpuE4ELNS1_3repE0EEENS1_30default_config_static_selectorELNS0_4arch9wavefront6targetE0EEEvT1_.has_recursion, 0
	.set _ZN7rocprim17ROCPRIM_400000_NS6detail17trampoline_kernelINS0_14default_configENS1_25partition_config_selectorILNS1_17partition_subalgoE5EyNS0_10empty_typeEbEEZZNS1_14partition_implILS5_5ELb0ES3_mN6thrust23THRUST_200600_302600_NS6detail15normal_iteratorINSA_10device_ptrIyEEEEPS6_NSA_18transform_iteratorINSB_9not_fun_tI7is_trueIyEEESF_NSA_11use_defaultESM_EENS0_5tupleIJSF_S6_EEENSO_IJSG_SG_EEES6_PlJS6_EEE10hipError_tPvRmT3_T4_T5_T6_T7_T9_mT8_P12ihipStream_tbDpT10_ENKUlT_T0_E_clISt17integral_constantIbLb0EES1A_IbLb1EEEEDaS16_S17_EUlS16_E_NS1_11comp_targetILNS1_3genE10ELNS1_11target_archE1200ELNS1_3gpuE4ELNS1_3repE0EEENS1_30default_config_static_selectorELNS0_4arch9wavefront6targetE0EEEvT1_.has_indirect_call, 0
	.section	.AMDGPU.csdata,"",@progbits
; Kernel info:
; codeLenInByte = 7108
; TotalNumSgprs: 28
; NumVgprs: 48
; ScratchSize: 0
; MemoryBound: 0
; FloatMode: 240
; IeeeMode: 1
; LDSByteSize: 8464 bytes/workgroup (compile time only)
; SGPRBlocks: 0
; VGPRBlocks: 5
; NumSGPRsForWavesPerEU: 28
; NumVGPRsForWavesPerEU: 48
; Occupancy: 16
; WaveLimiterHint : 1
; COMPUTE_PGM_RSRC2:SCRATCH_EN: 0
; COMPUTE_PGM_RSRC2:USER_SGPR: 2
; COMPUTE_PGM_RSRC2:TRAP_HANDLER: 0
; COMPUTE_PGM_RSRC2:TGID_X_EN: 1
; COMPUTE_PGM_RSRC2:TGID_Y_EN: 0
; COMPUTE_PGM_RSRC2:TGID_Z_EN: 0
; COMPUTE_PGM_RSRC2:TIDIG_COMP_CNT: 0
	.section	.text._ZN7rocprim17ROCPRIM_400000_NS6detail17trampoline_kernelINS0_14default_configENS1_25partition_config_selectorILNS1_17partition_subalgoE5EyNS0_10empty_typeEbEEZZNS1_14partition_implILS5_5ELb0ES3_mN6thrust23THRUST_200600_302600_NS6detail15normal_iteratorINSA_10device_ptrIyEEEEPS6_NSA_18transform_iteratorINSB_9not_fun_tI7is_trueIyEEESF_NSA_11use_defaultESM_EENS0_5tupleIJSF_S6_EEENSO_IJSG_SG_EEES6_PlJS6_EEE10hipError_tPvRmT3_T4_T5_T6_T7_T9_mT8_P12ihipStream_tbDpT10_ENKUlT_T0_E_clISt17integral_constantIbLb0EES1A_IbLb1EEEEDaS16_S17_EUlS16_E_NS1_11comp_targetILNS1_3genE9ELNS1_11target_archE1100ELNS1_3gpuE3ELNS1_3repE0EEENS1_30default_config_static_selectorELNS0_4arch9wavefront6targetE0EEEvT1_,"axG",@progbits,_ZN7rocprim17ROCPRIM_400000_NS6detail17trampoline_kernelINS0_14default_configENS1_25partition_config_selectorILNS1_17partition_subalgoE5EyNS0_10empty_typeEbEEZZNS1_14partition_implILS5_5ELb0ES3_mN6thrust23THRUST_200600_302600_NS6detail15normal_iteratorINSA_10device_ptrIyEEEEPS6_NSA_18transform_iteratorINSB_9not_fun_tI7is_trueIyEEESF_NSA_11use_defaultESM_EENS0_5tupleIJSF_S6_EEENSO_IJSG_SG_EEES6_PlJS6_EEE10hipError_tPvRmT3_T4_T5_T6_T7_T9_mT8_P12ihipStream_tbDpT10_ENKUlT_T0_E_clISt17integral_constantIbLb0EES1A_IbLb1EEEEDaS16_S17_EUlS16_E_NS1_11comp_targetILNS1_3genE9ELNS1_11target_archE1100ELNS1_3gpuE3ELNS1_3repE0EEENS1_30default_config_static_selectorELNS0_4arch9wavefront6targetE0EEEvT1_,comdat
	.protected	_ZN7rocprim17ROCPRIM_400000_NS6detail17trampoline_kernelINS0_14default_configENS1_25partition_config_selectorILNS1_17partition_subalgoE5EyNS0_10empty_typeEbEEZZNS1_14partition_implILS5_5ELb0ES3_mN6thrust23THRUST_200600_302600_NS6detail15normal_iteratorINSA_10device_ptrIyEEEEPS6_NSA_18transform_iteratorINSB_9not_fun_tI7is_trueIyEEESF_NSA_11use_defaultESM_EENS0_5tupleIJSF_S6_EEENSO_IJSG_SG_EEES6_PlJS6_EEE10hipError_tPvRmT3_T4_T5_T6_T7_T9_mT8_P12ihipStream_tbDpT10_ENKUlT_T0_E_clISt17integral_constantIbLb0EES1A_IbLb1EEEEDaS16_S17_EUlS16_E_NS1_11comp_targetILNS1_3genE9ELNS1_11target_archE1100ELNS1_3gpuE3ELNS1_3repE0EEENS1_30default_config_static_selectorELNS0_4arch9wavefront6targetE0EEEvT1_ ; -- Begin function _ZN7rocprim17ROCPRIM_400000_NS6detail17trampoline_kernelINS0_14default_configENS1_25partition_config_selectorILNS1_17partition_subalgoE5EyNS0_10empty_typeEbEEZZNS1_14partition_implILS5_5ELb0ES3_mN6thrust23THRUST_200600_302600_NS6detail15normal_iteratorINSA_10device_ptrIyEEEEPS6_NSA_18transform_iteratorINSB_9not_fun_tI7is_trueIyEEESF_NSA_11use_defaultESM_EENS0_5tupleIJSF_S6_EEENSO_IJSG_SG_EEES6_PlJS6_EEE10hipError_tPvRmT3_T4_T5_T6_T7_T9_mT8_P12ihipStream_tbDpT10_ENKUlT_T0_E_clISt17integral_constantIbLb0EES1A_IbLb1EEEEDaS16_S17_EUlS16_E_NS1_11comp_targetILNS1_3genE9ELNS1_11target_archE1100ELNS1_3gpuE3ELNS1_3repE0EEENS1_30default_config_static_selectorELNS0_4arch9wavefront6targetE0EEEvT1_
	.globl	_ZN7rocprim17ROCPRIM_400000_NS6detail17trampoline_kernelINS0_14default_configENS1_25partition_config_selectorILNS1_17partition_subalgoE5EyNS0_10empty_typeEbEEZZNS1_14partition_implILS5_5ELb0ES3_mN6thrust23THRUST_200600_302600_NS6detail15normal_iteratorINSA_10device_ptrIyEEEEPS6_NSA_18transform_iteratorINSB_9not_fun_tI7is_trueIyEEESF_NSA_11use_defaultESM_EENS0_5tupleIJSF_S6_EEENSO_IJSG_SG_EEES6_PlJS6_EEE10hipError_tPvRmT3_T4_T5_T6_T7_T9_mT8_P12ihipStream_tbDpT10_ENKUlT_T0_E_clISt17integral_constantIbLb0EES1A_IbLb1EEEEDaS16_S17_EUlS16_E_NS1_11comp_targetILNS1_3genE9ELNS1_11target_archE1100ELNS1_3gpuE3ELNS1_3repE0EEENS1_30default_config_static_selectorELNS0_4arch9wavefront6targetE0EEEvT1_
	.p2align	8
	.type	_ZN7rocprim17ROCPRIM_400000_NS6detail17trampoline_kernelINS0_14default_configENS1_25partition_config_selectorILNS1_17partition_subalgoE5EyNS0_10empty_typeEbEEZZNS1_14partition_implILS5_5ELb0ES3_mN6thrust23THRUST_200600_302600_NS6detail15normal_iteratorINSA_10device_ptrIyEEEEPS6_NSA_18transform_iteratorINSB_9not_fun_tI7is_trueIyEEESF_NSA_11use_defaultESM_EENS0_5tupleIJSF_S6_EEENSO_IJSG_SG_EEES6_PlJS6_EEE10hipError_tPvRmT3_T4_T5_T6_T7_T9_mT8_P12ihipStream_tbDpT10_ENKUlT_T0_E_clISt17integral_constantIbLb0EES1A_IbLb1EEEEDaS16_S17_EUlS16_E_NS1_11comp_targetILNS1_3genE9ELNS1_11target_archE1100ELNS1_3gpuE3ELNS1_3repE0EEENS1_30default_config_static_selectorELNS0_4arch9wavefront6targetE0EEEvT1_,@function
_ZN7rocprim17ROCPRIM_400000_NS6detail17trampoline_kernelINS0_14default_configENS1_25partition_config_selectorILNS1_17partition_subalgoE5EyNS0_10empty_typeEbEEZZNS1_14partition_implILS5_5ELb0ES3_mN6thrust23THRUST_200600_302600_NS6detail15normal_iteratorINSA_10device_ptrIyEEEEPS6_NSA_18transform_iteratorINSB_9not_fun_tI7is_trueIyEEESF_NSA_11use_defaultESM_EENS0_5tupleIJSF_S6_EEENSO_IJSG_SG_EEES6_PlJS6_EEE10hipError_tPvRmT3_T4_T5_T6_T7_T9_mT8_P12ihipStream_tbDpT10_ENKUlT_T0_E_clISt17integral_constantIbLb0EES1A_IbLb1EEEEDaS16_S17_EUlS16_E_NS1_11comp_targetILNS1_3genE9ELNS1_11target_archE1100ELNS1_3gpuE3ELNS1_3repE0EEENS1_30default_config_static_selectorELNS0_4arch9wavefront6targetE0EEEvT1_: ; @_ZN7rocprim17ROCPRIM_400000_NS6detail17trampoline_kernelINS0_14default_configENS1_25partition_config_selectorILNS1_17partition_subalgoE5EyNS0_10empty_typeEbEEZZNS1_14partition_implILS5_5ELb0ES3_mN6thrust23THRUST_200600_302600_NS6detail15normal_iteratorINSA_10device_ptrIyEEEEPS6_NSA_18transform_iteratorINSB_9not_fun_tI7is_trueIyEEESF_NSA_11use_defaultESM_EENS0_5tupleIJSF_S6_EEENSO_IJSG_SG_EEES6_PlJS6_EEE10hipError_tPvRmT3_T4_T5_T6_T7_T9_mT8_P12ihipStream_tbDpT10_ENKUlT_T0_E_clISt17integral_constantIbLb0EES1A_IbLb1EEEEDaS16_S17_EUlS16_E_NS1_11comp_targetILNS1_3genE9ELNS1_11target_archE1100ELNS1_3gpuE3ELNS1_3repE0EEENS1_30default_config_static_selectorELNS0_4arch9wavefront6targetE0EEEvT1_
; %bb.0:
	.section	.rodata,"a",@progbits
	.p2align	6, 0x0
	.amdhsa_kernel _ZN7rocprim17ROCPRIM_400000_NS6detail17trampoline_kernelINS0_14default_configENS1_25partition_config_selectorILNS1_17partition_subalgoE5EyNS0_10empty_typeEbEEZZNS1_14partition_implILS5_5ELb0ES3_mN6thrust23THRUST_200600_302600_NS6detail15normal_iteratorINSA_10device_ptrIyEEEEPS6_NSA_18transform_iteratorINSB_9not_fun_tI7is_trueIyEEESF_NSA_11use_defaultESM_EENS0_5tupleIJSF_S6_EEENSO_IJSG_SG_EEES6_PlJS6_EEE10hipError_tPvRmT3_T4_T5_T6_T7_T9_mT8_P12ihipStream_tbDpT10_ENKUlT_T0_E_clISt17integral_constantIbLb0EES1A_IbLb1EEEEDaS16_S17_EUlS16_E_NS1_11comp_targetILNS1_3genE9ELNS1_11target_archE1100ELNS1_3gpuE3ELNS1_3repE0EEENS1_30default_config_static_selectorELNS0_4arch9wavefront6targetE0EEEvT1_
		.amdhsa_group_segment_fixed_size 0
		.amdhsa_private_segment_fixed_size 0
		.amdhsa_kernarg_size 136
		.amdhsa_user_sgpr_count 2
		.amdhsa_user_sgpr_dispatch_ptr 0
		.amdhsa_user_sgpr_queue_ptr 0
		.amdhsa_user_sgpr_kernarg_segment_ptr 1
		.amdhsa_user_sgpr_dispatch_id 0
		.amdhsa_user_sgpr_private_segment_size 0
		.amdhsa_wavefront_size32 1
		.amdhsa_uses_dynamic_stack 0
		.amdhsa_enable_private_segment 0
		.amdhsa_system_sgpr_workgroup_id_x 1
		.amdhsa_system_sgpr_workgroup_id_y 0
		.amdhsa_system_sgpr_workgroup_id_z 0
		.amdhsa_system_sgpr_workgroup_info 0
		.amdhsa_system_vgpr_workitem_id 0
		.amdhsa_next_free_vgpr 1
		.amdhsa_next_free_sgpr 1
		.amdhsa_reserve_vcc 0
		.amdhsa_float_round_mode_32 0
		.amdhsa_float_round_mode_16_64 0
		.amdhsa_float_denorm_mode_32 3
		.amdhsa_float_denorm_mode_16_64 3
		.amdhsa_fp16_overflow 0
		.amdhsa_workgroup_processor_mode 1
		.amdhsa_memory_ordered 1
		.amdhsa_forward_progress 1
		.amdhsa_inst_pref_size 0
		.amdhsa_round_robin_scheduling 0
		.amdhsa_exception_fp_ieee_invalid_op 0
		.amdhsa_exception_fp_denorm_src 0
		.amdhsa_exception_fp_ieee_div_zero 0
		.amdhsa_exception_fp_ieee_overflow 0
		.amdhsa_exception_fp_ieee_underflow 0
		.amdhsa_exception_fp_ieee_inexact 0
		.amdhsa_exception_int_div_zero 0
	.end_amdhsa_kernel
	.section	.text._ZN7rocprim17ROCPRIM_400000_NS6detail17trampoline_kernelINS0_14default_configENS1_25partition_config_selectorILNS1_17partition_subalgoE5EyNS0_10empty_typeEbEEZZNS1_14partition_implILS5_5ELb0ES3_mN6thrust23THRUST_200600_302600_NS6detail15normal_iteratorINSA_10device_ptrIyEEEEPS6_NSA_18transform_iteratorINSB_9not_fun_tI7is_trueIyEEESF_NSA_11use_defaultESM_EENS0_5tupleIJSF_S6_EEENSO_IJSG_SG_EEES6_PlJS6_EEE10hipError_tPvRmT3_T4_T5_T6_T7_T9_mT8_P12ihipStream_tbDpT10_ENKUlT_T0_E_clISt17integral_constantIbLb0EES1A_IbLb1EEEEDaS16_S17_EUlS16_E_NS1_11comp_targetILNS1_3genE9ELNS1_11target_archE1100ELNS1_3gpuE3ELNS1_3repE0EEENS1_30default_config_static_selectorELNS0_4arch9wavefront6targetE0EEEvT1_,"axG",@progbits,_ZN7rocprim17ROCPRIM_400000_NS6detail17trampoline_kernelINS0_14default_configENS1_25partition_config_selectorILNS1_17partition_subalgoE5EyNS0_10empty_typeEbEEZZNS1_14partition_implILS5_5ELb0ES3_mN6thrust23THRUST_200600_302600_NS6detail15normal_iteratorINSA_10device_ptrIyEEEEPS6_NSA_18transform_iteratorINSB_9not_fun_tI7is_trueIyEEESF_NSA_11use_defaultESM_EENS0_5tupleIJSF_S6_EEENSO_IJSG_SG_EEES6_PlJS6_EEE10hipError_tPvRmT3_T4_T5_T6_T7_T9_mT8_P12ihipStream_tbDpT10_ENKUlT_T0_E_clISt17integral_constantIbLb0EES1A_IbLb1EEEEDaS16_S17_EUlS16_E_NS1_11comp_targetILNS1_3genE9ELNS1_11target_archE1100ELNS1_3gpuE3ELNS1_3repE0EEENS1_30default_config_static_selectorELNS0_4arch9wavefront6targetE0EEEvT1_,comdat
.Lfunc_end1398:
	.size	_ZN7rocprim17ROCPRIM_400000_NS6detail17trampoline_kernelINS0_14default_configENS1_25partition_config_selectorILNS1_17partition_subalgoE5EyNS0_10empty_typeEbEEZZNS1_14partition_implILS5_5ELb0ES3_mN6thrust23THRUST_200600_302600_NS6detail15normal_iteratorINSA_10device_ptrIyEEEEPS6_NSA_18transform_iteratorINSB_9not_fun_tI7is_trueIyEEESF_NSA_11use_defaultESM_EENS0_5tupleIJSF_S6_EEENSO_IJSG_SG_EEES6_PlJS6_EEE10hipError_tPvRmT3_T4_T5_T6_T7_T9_mT8_P12ihipStream_tbDpT10_ENKUlT_T0_E_clISt17integral_constantIbLb0EES1A_IbLb1EEEEDaS16_S17_EUlS16_E_NS1_11comp_targetILNS1_3genE9ELNS1_11target_archE1100ELNS1_3gpuE3ELNS1_3repE0EEENS1_30default_config_static_selectorELNS0_4arch9wavefront6targetE0EEEvT1_, .Lfunc_end1398-_ZN7rocprim17ROCPRIM_400000_NS6detail17trampoline_kernelINS0_14default_configENS1_25partition_config_selectorILNS1_17partition_subalgoE5EyNS0_10empty_typeEbEEZZNS1_14partition_implILS5_5ELb0ES3_mN6thrust23THRUST_200600_302600_NS6detail15normal_iteratorINSA_10device_ptrIyEEEEPS6_NSA_18transform_iteratorINSB_9not_fun_tI7is_trueIyEEESF_NSA_11use_defaultESM_EENS0_5tupleIJSF_S6_EEENSO_IJSG_SG_EEES6_PlJS6_EEE10hipError_tPvRmT3_T4_T5_T6_T7_T9_mT8_P12ihipStream_tbDpT10_ENKUlT_T0_E_clISt17integral_constantIbLb0EES1A_IbLb1EEEEDaS16_S17_EUlS16_E_NS1_11comp_targetILNS1_3genE9ELNS1_11target_archE1100ELNS1_3gpuE3ELNS1_3repE0EEENS1_30default_config_static_selectorELNS0_4arch9wavefront6targetE0EEEvT1_
                                        ; -- End function
	.set _ZN7rocprim17ROCPRIM_400000_NS6detail17trampoline_kernelINS0_14default_configENS1_25partition_config_selectorILNS1_17partition_subalgoE5EyNS0_10empty_typeEbEEZZNS1_14partition_implILS5_5ELb0ES3_mN6thrust23THRUST_200600_302600_NS6detail15normal_iteratorINSA_10device_ptrIyEEEEPS6_NSA_18transform_iteratorINSB_9not_fun_tI7is_trueIyEEESF_NSA_11use_defaultESM_EENS0_5tupleIJSF_S6_EEENSO_IJSG_SG_EEES6_PlJS6_EEE10hipError_tPvRmT3_T4_T5_T6_T7_T9_mT8_P12ihipStream_tbDpT10_ENKUlT_T0_E_clISt17integral_constantIbLb0EES1A_IbLb1EEEEDaS16_S17_EUlS16_E_NS1_11comp_targetILNS1_3genE9ELNS1_11target_archE1100ELNS1_3gpuE3ELNS1_3repE0EEENS1_30default_config_static_selectorELNS0_4arch9wavefront6targetE0EEEvT1_.num_vgpr, 0
	.set _ZN7rocprim17ROCPRIM_400000_NS6detail17trampoline_kernelINS0_14default_configENS1_25partition_config_selectorILNS1_17partition_subalgoE5EyNS0_10empty_typeEbEEZZNS1_14partition_implILS5_5ELb0ES3_mN6thrust23THRUST_200600_302600_NS6detail15normal_iteratorINSA_10device_ptrIyEEEEPS6_NSA_18transform_iteratorINSB_9not_fun_tI7is_trueIyEEESF_NSA_11use_defaultESM_EENS0_5tupleIJSF_S6_EEENSO_IJSG_SG_EEES6_PlJS6_EEE10hipError_tPvRmT3_T4_T5_T6_T7_T9_mT8_P12ihipStream_tbDpT10_ENKUlT_T0_E_clISt17integral_constantIbLb0EES1A_IbLb1EEEEDaS16_S17_EUlS16_E_NS1_11comp_targetILNS1_3genE9ELNS1_11target_archE1100ELNS1_3gpuE3ELNS1_3repE0EEENS1_30default_config_static_selectorELNS0_4arch9wavefront6targetE0EEEvT1_.num_agpr, 0
	.set _ZN7rocprim17ROCPRIM_400000_NS6detail17trampoline_kernelINS0_14default_configENS1_25partition_config_selectorILNS1_17partition_subalgoE5EyNS0_10empty_typeEbEEZZNS1_14partition_implILS5_5ELb0ES3_mN6thrust23THRUST_200600_302600_NS6detail15normal_iteratorINSA_10device_ptrIyEEEEPS6_NSA_18transform_iteratorINSB_9not_fun_tI7is_trueIyEEESF_NSA_11use_defaultESM_EENS0_5tupleIJSF_S6_EEENSO_IJSG_SG_EEES6_PlJS6_EEE10hipError_tPvRmT3_T4_T5_T6_T7_T9_mT8_P12ihipStream_tbDpT10_ENKUlT_T0_E_clISt17integral_constantIbLb0EES1A_IbLb1EEEEDaS16_S17_EUlS16_E_NS1_11comp_targetILNS1_3genE9ELNS1_11target_archE1100ELNS1_3gpuE3ELNS1_3repE0EEENS1_30default_config_static_selectorELNS0_4arch9wavefront6targetE0EEEvT1_.numbered_sgpr, 0
	.set _ZN7rocprim17ROCPRIM_400000_NS6detail17trampoline_kernelINS0_14default_configENS1_25partition_config_selectorILNS1_17partition_subalgoE5EyNS0_10empty_typeEbEEZZNS1_14partition_implILS5_5ELb0ES3_mN6thrust23THRUST_200600_302600_NS6detail15normal_iteratorINSA_10device_ptrIyEEEEPS6_NSA_18transform_iteratorINSB_9not_fun_tI7is_trueIyEEESF_NSA_11use_defaultESM_EENS0_5tupleIJSF_S6_EEENSO_IJSG_SG_EEES6_PlJS6_EEE10hipError_tPvRmT3_T4_T5_T6_T7_T9_mT8_P12ihipStream_tbDpT10_ENKUlT_T0_E_clISt17integral_constantIbLb0EES1A_IbLb1EEEEDaS16_S17_EUlS16_E_NS1_11comp_targetILNS1_3genE9ELNS1_11target_archE1100ELNS1_3gpuE3ELNS1_3repE0EEENS1_30default_config_static_selectorELNS0_4arch9wavefront6targetE0EEEvT1_.num_named_barrier, 0
	.set _ZN7rocprim17ROCPRIM_400000_NS6detail17trampoline_kernelINS0_14default_configENS1_25partition_config_selectorILNS1_17partition_subalgoE5EyNS0_10empty_typeEbEEZZNS1_14partition_implILS5_5ELb0ES3_mN6thrust23THRUST_200600_302600_NS6detail15normal_iteratorINSA_10device_ptrIyEEEEPS6_NSA_18transform_iteratorINSB_9not_fun_tI7is_trueIyEEESF_NSA_11use_defaultESM_EENS0_5tupleIJSF_S6_EEENSO_IJSG_SG_EEES6_PlJS6_EEE10hipError_tPvRmT3_T4_T5_T6_T7_T9_mT8_P12ihipStream_tbDpT10_ENKUlT_T0_E_clISt17integral_constantIbLb0EES1A_IbLb1EEEEDaS16_S17_EUlS16_E_NS1_11comp_targetILNS1_3genE9ELNS1_11target_archE1100ELNS1_3gpuE3ELNS1_3repE0EEENS1_30default_config_static_selectorELNS0_4arch9wavefront6targetE0EEEvT1_.private_seg_size, 0
	.set _ZN7rocprim17ROCPRIM_400000_NS6detail17trampoline_kernelINS0_14default_configENS1_25partition_config_selectorILNS1_17partition_subalgoE5EyNS0_10empty_typeEbEEZZNS1_14partition_implILS5_5ELb0ES3_mN6thrust23THRUST_200600_302600_NS6detail15normal_iteratorINSA_10device_ptrIyEEEEPS6_NSA_18transform_iteratorINSB_9not_fun_tI7is_trueIyEEESF_NSA_11use_defaultESM_EENS0_5tupleIJSF_S6_EEENSO_IJSG_SG_EEES6_PlJS6_EEE10hipError_tPvRmT3_T4_T5_T6_T7_T9_mT8_P12ihipStream_tbDpT10_ENKUlT_T0_E_clISt17integral_constantIbLb0EES1A_IbLb1EEEEDaS16_S17_EUlS16_E_NS1_11comp_targetILNS1_3genE9ELNS1_11target_archE1100ELNS1_3gpuE3ELNS1_3repE0EEENS1_30default_config_static_selectorELNS0_4arch9wavefront6targetE0EEEvT1_.uses_vcc, 0
	.set _ZN7rocprim17ROCPRIM_400000_NS6detail17trampoline_kernelINS0_14default_configENS1_25partition_config_selectorILNS1_17partition_subalgoE5EyNS0_10empty_typeEbEEZZNS1_14partition_implILS5_5ELb0ES3_mN6thrust23THRUST_200600_302600_NS6detail15normal_iteratorINSA_10device_ptrIyEEEEPS6_NSA_18transform_iteratorINSB_9not_fun_tI7is_trueIyEEESF_NSA_11use_defaultESM_EENS0_5tupleIJSF_S6_EEENSO_IJSG_SG_EEES6_PlJS6_EEE10hipError_tPvRmT3_T4_T5_T6_T7_T9_mT8_P12ihipStream_tbDpT10_ENKUlT_T0_E_clISt17integral_constantIbLb0EES1A_IbLb1EEEEDaS16_S17_EUlS16_E_NS1_11comp_targetILNS1_3genE9ELNS1_11target_archE1100ELNS1_3gpuE3ELNS1_3repE0EEENS1_30default_config_static_selectorELNS0_4arch9wavefront6targetE0EEEvT1_.uses_flat_scratch, 0
	.set _ZN7rocprim17ROCPRIM_400000_NS6detail17trampoline_kernelINS0_14default_configENS1_25partition_config_selectorILNS1_17partition_subalgoE5EyNS0_10empty_typeEbEEZZNS1_14partition_implILS5_5ELb0ES3_mN6thrust23THRUST_200600_302600_NS6detail15normal_iteratorINSA_10device_ptrIyEEEEPS6_NSA_18transform_iteratorINSB_9not_fun_tI7is_trueIyEEESF_NSA_11use_defaultESM_EENS0_5tupleIJSF_S6_EEENSO_IJSG_SG_EEES6_PlJS6_EEE10hipError_tPvRmT3_T4_T5_T6_T7_T9_mT8_P12ihipStream_tbDpT10_ENKUlT_T0_E_clISt17integral_constantIbLb0EES1A_IbLb1EEEEDaS16_S17_EUlS16_E_NS1_11comp_targetILNS1_3genE9ELNS1_11target_archE1100ELNS1_3gpuE3ELNS1_3repE0EEENS1_30default_config_static_selectorELNS0_4arch9wavefront6targetE0EEEvT1_.has_dyn_sized_stack, 0
	.set _ZN7rocprim17ROCPRIM_400000_NS6detail17trampoline_kernelINS0_14default_configENS1_25partition_config_selectorILNS1_17partition_subalgoE5EyNS0_10empty_typeEbEEZZNS1_14partition_implILS5_5ELb0ES3_mN6thrust23THRUST_200600_302600_NS6detail15normal_iteratorINSA_10device_ptrIyEEEEPS6_NSA_18transform_iteratorINSB_9not_fun_tI7is_trueIyEEESF_NSA_11use_defaultESM_EENS0_5tupleIJSF_S6_EEENSO_IJSG_SG_EEES6_PlJS6_EEE10hipError_tPvRmT3_T4_T5_T6_T7_T9_mT8_P12ihipStream_tbDpT10_ENKUlT_T0_E_clISt17integral_constantIbLb0EES1A_IbLb1EEEEDaS16_S17_EUlS16_E_NS1_11comp_targetILNS1_3genE9ELNS1_11target_archE1100ELNS1_3gpuE3ELNS1_3repE0EEENS1_30default_config_static_selectorELNS0_4arch9wavefront6targetE0EEEvT1_.has_recursion, 0
	.set _ZN7rocprim17ROCPRIM_400000_NS6detail17trampoline_kernelINS0_14default_configENS1_25partition_config_selectorILNS1_17partition_subalgoE5EyNS0_10empty_typeEbEEZZNS1_14partition_implILS5_5ELb0ES3_mN6thrust23THRUST_200600_302600_NS6detail15normal_iteratorINSA_10device_ptrIyEEEEPS6_NSA_18transform_iteratorINSB_9not_fun_tI7is_trueIyEEESF_NSA_11use_defaultESM_EENS0_5tupleIJSF_S6_EEENSO_IJSG_SG_EEES6_PlJS6_EEE10hipError_tPvRmT3_T4_T5_T6_T7_T9_mT8_P12ihipStream_tbDpT10_ENKUlT_T0_E_clISt17integral_constantIbLb0EES1A_IbLb1EEEEDaS16_S17_EUlS16_E_NS1_11comp_targetILNS1_3genE9ELNS1_11target_archE1100ELNS1_3gpuE3ELNS1_3repE0EEENS1_30default_config_static_selectorELNS0_4arch9wavefront6targetE0EEEvT1_.has_indirect_call, 0
	.section	.AMDGPU.csdata,"",@progbits
; Kernel info:
; codeLenInByte = 0
; TotalNumSgprs: 0
; NumVgprs: 0
; ScratchSize: 0
; MemoryBound: 0
; FloatMode: 240
; IeeeMode: 1
; LDSByteSize: 0 bytes/workgroup (compile time only)
; SGPRBlocks: 0
; VGPRBlocks: 0
; NumSGPRsForWavesPerEU: 1
; NumVGPRsForWavesPerEU: 1
; Occupancy: 16
; WaveLimiterHint : 0
; COMPUTE_PGM_RSRC2:SCRATCH_EN: 0
; COMPUTE_PGM_RSRC2:USER_SGPR: 2
; COMPUTE_PGM_RSRC2:TRAP_HANDLER: 0
; COMPUTE_PGM_RSRC2:TGID_X_EN: 1
; COMPUTE_PGM_RSRC2:TGID_Y_EN: 0
; COMPUTE_PGM_RSRC2:TGID_Z_EN: 0
; COMPUTE_PGM_RSRC2:TIDIG_COMP_CNT: 0
	.section	.text._ZN7rocprim17ROCPRIM_400000_NS6detail17trampoline_kernelINS0_14default_configENS1_25partition_config_selectorILNS1_17partition_subalgoE5EyNS0_10empty_typeEbEEZZNS1_14partition_implILS5_5ELb0ES3_mN6thrust23THRUST_200600_302600_NS6detail15normal_iteratorINSA_10device_ptrIyEEEEPS6_NSA_18transform_iteratorINSB_9not_fun_tI7is_trueIyEEESF_NSA_11use_defaultESM_EENS0_5tupleIJSF_S6_EEENSO_IJSG_SG_EEES6_PlJS6_EEE10hipError_tPvRmT3_T4_T5_T6_T7_T9_mT8_P12ihipStream_tbDpT10_ENKUlT_T0_E_clISt17integral_constantIbLb0EES1A_IbLb1EEEEDaS16_S17_EUlS16_E_NS1_11comp_targetILNS1_3genE8ELNS1_11target_archE1030ELNS1_3gpuE2ELNS1_3repE0EEENS1_30default_config_static_selectorELNS0_4arch9wavefront6targetE0EEEvT1_,"axG",@progbits,_ZN7rocprim17ROCPRIM_400000_NS6detail17trampoline_kernelINS0_14default_configENS1_25partition_config_selectorILNS1_17partition_subalgoE5EyNS0_10empty_typeEbEEZZNS1_14partition_implILS5_5ELb0ES3_mN6thrust23THRUST_200600_302600_NS6detail15normal_iteratorINSA_10device_ptrIyEEEEPS6_NSA_18transform_iteratorINSB_9not_fun_tI7is_trueIyEEESF_NSA_11use_defaultESM_EENS0_5tupleIJSF_S6_EEENSO_IJSG_SG_EEES6_PlJS6_EEE10hipError_tPvRmT3_T4_T5_T6_T7_T9_mT8_P12ihipStream_tbDpT10_ENKUlT_T0_E_clISt17integral_constantIbLb0EES1A_IbLb1EEEEDaS16_S17_EUlS16_E_NS1_11comp_targetILNS1_3genE8ELNS1_11target_archE1030ELNS1_3gpuE2ELNS1_3repE0EEENS1_30default_config_static_selectorELNS0_4arch9wavefront6targetE0EEEvT1_,comdat
	.protected	_ZN7rocprim17ROCPRIM_400000_NS6detail17trampoline_kernelINS0_14default_configENS1_25partition_config_selectorILNS1_17partition_subalgoE5EyNS0_10empty_typeEbEEZZNS1_14partition_implILS5_5ELb0ES3_mN6thrust23THRUST_200600_302600_NS6detail15normal_iteratorINSA_10device_ptrIyEEEEPS6_NSA_18transform_iteratorINSB_9not_fun_tI7is_trueIyEEESF_NSA_11use_defaultESM_EENS0_5tupleIJSF_S6_EEENSO_IJSG_SG_EEES6_PlJS6_EEE10hipError_tPvRmT3_T4_T5_T6_T7_T9_mT8_P12ihipStream_tbDpT10_ENKUlT_T0_E_clISt17integral_constantIbLb0EES1A_IbLb1EEEEDaS16_S17_EUlS16_E_NS1_11comp_targetILNS1_3genE8ELNS1_11target_archE1030ELNS1_3gpuE2ELNS1_3repE0EEENS1_30default_config_static_selectorELNS0_4arch9wavefront6targetE0EEEvT1_ ; -- Begin function _ZN7rocprim17ROCPRIM_400000_NS6detail17trampoline_kernelINS0_14default_configENS1_25partition_config_selectorILNS1_17partition_subalgoE5EyNS0_10empty_typeEbEEZZNS1_14partition_implILS5_5ELb0ES3_mN6thrust23THRUST_200600_302600_NS6detail15normal_iteratorINSA_10device_ptrIyEEEEPS6_NSA_18transform_iteratorINSB_9not_fun_tI7is_trueIyEEESF_NSA_11use_defaultESM_EENS0_5tupleIJSF_S6_EEENSO_IJSG_SG_EEES6_PlJS6_EEE10hipError_tPvRmT3_T4_T5_T6_T7_T9_mT8_P12ihipStream_tbDpT10_ENKUlT_T0_E_clISt17integral_constantIbLb0EES1A_IbLb1EEEEDaS16_S17_EUlS16_E_NS1_11comp_targetILNS1_3genE8ELNS1_11target_archE1030ELNS1_3gpuE2ELNS1_3repE0EEENS1_30default_config_static_selectorELNS0_4arch9wavefront6targetE0EEEvT1_
	.globl	_ZN7rocprim17ROCPRIM_400000_NS6detail17trampoline_kernelINS0_14default_configENS1_25partition_config_selectorILNS1_17partition_subalgoE5EyNS0_10empty_typeEbEEZZNS1_14partition_implILS5_5ELb0ES3_mN6thrust23THRUST_200600_302600_NS6detail15normal_iteratorINSA_10device_ptrIyEEEEPS6_NSA_18transform_iteratorINSB_9not_fun_tI7is_trueIyEEESF_NSA_11use_defaultESM_EENS0_5tupleIJSF_S6_EEENSO_IJSG_SG_EEES6_PlJS6_EEE10hipError_tPvRmT3_T4_T5_T6_T7_T9_mT8_P12ihipStream_tbDpT10_ENKUlT_T0_E_clISt17integral_constantIbLb0EES1A_IbLb1EEEEDaS16_S17_EUlS16_E_NS1_11comp_targetILNS1_3genE8ELNS1_11target_archE1030ELNS1_3gpuE2ELNS1_3repE0EEENS1_30default_config_static_selectorELNS0_4arch9wavefront6targetE0EEEvT1_
	.p2align	8
	.type	_ZN7rocprim17ROCPRIM_400000_NS6detail17trampoline_kernelINS0_14default_configENS1_25partition_config_selectorILNS1_17partition_subalgoE5EyNS0_10empty_typeEbEEZZNS1_14partition_implILS5_5ELb0ES3_mN6thrust23THRUST_200600_302600_NS6detail15normal_iteratorINSA_10device_ptrIyEEEEPS6_NSA_18transform_iteratorINSB_9not_fun_tI7is_trueIyEEESF_NSA_11use_defaultESM_EENS0_5tupleIJSF_S6_EEENSO_IJSG_SG_EEES6_PlJS6_EEE10hipError_tPvRmT3_T4_T5_T6_T7_T9_mT8_P12ihipStream_tbDpT10_ENKUlT_T0_E_clISt17integral_constantIbLb0EES1A_IbLb1EEEEDaS16_S17_EUlS16_E_NS1_11comp_targetILNS1_3genE8ELNS1_11target_archE1030ELNS1_3gpuE2ELNS1_3repE0EEENS1_30default_config_static_selectorELNS0_4arch9wavefront6targetE0EEEvT1_,@function
_ZN7rocprim17ROCPRIM_400000_NS6detail17trampoline_kernelINS0_14default_configENS1_25partition_config_selectorILNS1_17partition_subalgoE5EyNS0_10empty_typeEbEEZZNS1_14partition_implILS5_5ELb0ES3_mN6thrust23THRUST_200600_302600_NS6detail15normal_iteratorINSA_10device_ptrIyEEEEPS6_NSA_18transform_iteratorINSB_9not_fun_tI7is_trueIyEEESF_NSA_11use_defaultESM_EENS0_5tupleIJSF_S6_EEENSO_IJSG_SG_EEES6_PlJS6_EEE10hipError_tPvRmT3_T4_T5_T6_T7_T9_mT8_P12ihipStream_tbDpT10_ENKUlT_T0_E_clISt17integral_constantIbLb0EES1A_IbLb1EEEEDaS16_S17_EUlS16_E_NS1_11comp_targetILNS1_3genE8ELNS1_11target_archE1030ELNS1_3gpuE2ELNS1_3repE0EEENS1_30default_config_static_selectorELNS0_4arch9wavefront6targetE0EEEvT1_: ; @_ZN7rocprim17ROCPRIM_400000_NS6detail17trampoline_kernelINS0_14default_configENS1_25partition_config_selectorILNS1_17partition_subalgoE5EyNS0_10empty_typeEbEEZZNS1_14partition_implILS5_5ELb0ES3_mN6thrust23THRUST_200600_302600_NS6detail15normal_iteratorINSA_10device_ptrIyEEEEPS6_NSA_18transform_iteratorINSB_9not_fun_tI7is_trueIyEEESF_NSA_11use_defaultESM_EENS0_5tupleIJSF_S6_EEENSO_IJSG_SG_EEES6_PlJS6_EEE10hipError_tPvRmT3_T4_T5_T6_T7_T9_mT8_P12ihipStream_tbDpT10_ENKUlT_T0_E_clISt17integral_constantIbLb0EES1A_IbLb1EEEEDaS16_S17_EUlS16_E_NS1_11comp_targetILNS1_3genE8ELNS1_11target_archE1030ELNS1_3gpuE2ELNS1_3repE0EEENS1_30default_config_static_selectorELNS0_4arch9wavefront6targetE0EEEvT1_
; %bb.0:
	.section	.rodata,"a",@progbits
	.p2align	6, 0x0
	.amdhsa_kernel _ZN7rocprim17ROCPRIM_400000_NS6detail17trampoline_kernelINS0_14default_configENS1_25partition_config_selectorILNS1_17partition_subalgoE5EyNS0_10empty_typeEbEEZZNS1_14partition_implILS5_5ELb0ES3_mN6thrust23THRUST_200600_302600_NS6detail15normal_iteratorINSA_10device_ptrIyEEEEPS6_NSA_18transform_iteratorINSB_9not_fun_tI7is_trueIyEEESF_NSA_11use_defaultESM_EENS0_5tupleIJSF_S6_EEENSO_IJSG_SG_EEES6_PlJS6_EEE10hipError_tPvRmT3_T4_T5_T6_T7_T9_mT8_P12ihipStream_tbDpT10_ENKUlT_T0_E_clISt17integral_constantIbLb0EES1A_IbLb1EEEEDaS16_S17_EUlS16_E_NS1_11comp_targetILNS1_3genE8ELNS1_11target_archE1030ELNS1_3gpuE2ELNS1_3repE0EEENS1_30default_config_static_selectorELNS0_4arch9wavefront6targetE0EEEvT1_
		.amdhsa_group_segment_fixed_size 0
		.amdhsa_private_segment_fixed_size 0
		.amdhsa_kernarg_size 136
		.amdhsa_user_sgpr_count 2
		.amdhsa_user_sgpr_dispatch_ptr 0
		.amdhsa_user_sgpr_queue_ptr 0
		.amdhsa_user_sgpr_kernarg_segment_ptr 1
		.amdhsa_user_sgpr_dispatch_id 0
		.amdhsa_user_sgpr_private_segment_size 0
		.amdhsa_wavefront_size32 1
		.amdhsa_uses_dynamic_stack 0
		.amdhsa_enable_private_segment 0
		.amdhsa_system_sgpr_workgroup_id_x 1
		.amdhsa_system_sgpr_workgroup_id_y 0
		.amdhsa_system_sgpr_workgroup_id_z 0
		.amdhsa_system_sgpr_workgroup_info 0
		.amdhsa_system_vgpr_workitem_id 0
		.amdhsa_next_free_vgpr 1
		.amdhsa_next_free_sgpr 1
		.amdhsa_reserve_vcc 0
		.amdhsa_float_round_mode_32 0
		.amdhsa_float_round_mode_16_64 0
		.amdhsa_float_denorm_mode_32 3
		.amdhsa_float_denorm_mode_16_64 3
		.amdhsa_fp16_overflow 0
		.amdhsa_workgroup_processor_mode 1
		.amdhsa_memory_ordered 1
		.amdhsa_forward_progress 1
		.amdhsa_inst_pref_size 0
		.amdhsa_round_robin_scheduling 0
		.amdhsa_exception_fp_ieee_invalid_op 0
		.amdhsa_exception_fp_denorm_src 0
		.amdhsa_exception_fp_ieee_div_zero 0
		.amdhsa_exception_fp_ieee_overflow 0
		.amdhsa_exception_fp_ieee_underflow 0
		.amdhsa_exception_fp_ieee_inexact 0
		.amdhsa_exception_int_div_zero 0
	.end_amdhsa_kernel
	.section	.text._ZN7rocprim17ROCPRIM_400000_NS6detail17trampoline_kernelINS0_14default_configENS1_25partition_config_selectorILNS1_17partition_subalgoE5EyNS0_10empty_typeEbEEZZNS1_14partition_implILS5_5ELb0ES3_mN6thrust23THRUST_200600_302600_NS6detail15normal_iteratorINSA_10device_ptrIyEEEEPS6_NSA_18transform_iteratorINSB_9not_fun_tI7is_trueIyEEESF_NSA_11use_defaultESM_EENS0_5tupleIJSF_S6_EEENSO_IJSG_SG_EEES6_PlJS6_EEE10hipError_tPvRmT3_T4_T5_T6_T7_T9_mT8_P12ihipStream_tbDpT10_ENKUlT_T0_E_clISt17integral_constantIbLb0EES1A_IbLb1EEEEDaS16_S17_EUlS16_E_NS1_11comp_targetILNS1_3genE8ELNS1_11target_archE1030ELNS1_3gpuE2ELNS1_3repE0EEENS1_30default_config_static_selectorELNS0_4arch9wavefront6targetE0EEEvT1_,"axG",@progbits,_ZN7rocprim17ROCPRIM_400000_NS6detail17trampoline_kernelINS0_14default_configENS1_25partition_config_selectorILNS1_17partition_subalgoE5EyNS0_10empty_typeEbEEZZNS1_14partition_implILS5_5ELb0ES3_mN6thrust23THRUST_200600_302600_NS6detail15normal_iteratorINSA_10device_ptrIyEEEEPS6_NSA_18transform_iteratorINSB_9not_fun_tI7is_trueIyEEESF_NSA_11use_defaultESM_EENS0_5tupleIJSF_S6_EEENSO_IJSG_SG_EEES6_PlJS6_EEE10hipError_tPvRmT3_T4_T5_T6_T7_T9_mT8_P12ihipStream_tbDpT10_ENKUlT_T0_E_clISt17integral_constantIbLb0EES1A_IbLb1EEEEDaS16_S17_EUlS16_E_NS1_11comp_targetILNS1_3genE8ELNS1_11target_archE1030ELNS1_3gpuE2ELNS1_3repE0EEENS1_30default_config_static_selectorELNS0_4arch9wavefront6targetE0EEEvT1_,comdat
.Lfunc_end1399:
	.size	_ZN7rocprim17ROCPRIM_400000_NS6detail17trampoline_kernelINS0_14default_configENS1_25partition_config_selectorILNS1_17partition_subalgoE5EyNS0_10empty_typeEbEEZZNS1_14partition_implILS5_5ELb0ES3_mN6thrust23THRUST_200600_302600_NS6detail15normal_iteratorINSA_10device_ptrIyEEEEPS6_NSA_18transform_iteratorINSB_9not_fun_tI7is_trueIyEEESF_NSA_11use_defaultESM_EENS0_5tupleIJSF_S6_EEENSO_IJSG_SG_EEES6_PlJS6_EEE10hipError_tPvRmT3_T4_T5_T6_T7_T9_mT8_P12ihipStream_tbDpT10_ENKUlT_T0_E_clISt17integral_constantIbLb0EES1A_IbLb1EEEEDaS16_S17_EUlS16_E_NS1_11comp_targetILNS1_3genE8ELNS1_11target_archE1030ELNS1_3gpuE2ELNS1_3repE0EEENS1_30default_config_static_selectorELNS0_4arch9wavefront6targetE0EEEvT1_, .Lfunc_end1399-_ZN7rocprim17ROCPRIM_400000_NS6detail17trampoline_kernelINS0_14default_configENS1_25partition_config_selectorILNS1_17partition_subalgoE5EyNS0_10empty_typeEbEEZZNS1_14partition_implILS5_5ELb0ES3_mN6thrust23THRUST_200600_302600_NS6detail15normal_iteratorINSA_10device_ptrIyEEEEPS6_NSA_18transform_iteratorINSB_9not_fun_tI7is_trueIyEEESF_NSA_11use_defaultESM_EENS0_5tupleIJSF_S6_EEENSO_IJSG_SG_EEES6_PlJS6_EEE10hipError_tPvRmT3_T4_T5_T6_T7_T9_mT8_P12ihipStream_tbDpT10_ENKUlT_T0_E_clISt17integral_constantIbLb0EES1A_IbLb1EEEEDaS16_S17_EUlS16_E_NS1_11comp_targetILNS1_3genE8ELNS1_11target_archE1030ELNS1_3gpuE2ELNS1_3repE0EEENS1_30default_config_static_selectorELNS0_4arch9wavefront6targetE0EEEvT1_
                                        ; -- End function
	.set _ZN7rocprim17ROCPRIM_400000_NS6detail17trampoline_kernelINS0_14default_configENS1_25partition_config_selectorILNS1_17partition_subalgoE5EyNS0_10empty_typeEbEEZZNS1_14partition_implILS5_5ELb0ES3_mN6thrust23THRUST_200600_302600_NS6detail15normal_iteratorINSA_10device_ptrIyEEEEPS6_NSA_18transform_iteratorINSB_9not_fun_tI7is_trueIyEEESF_NSA_11use_defaultESM_EENS0_5tupleIJSF_S6_EEENSO_IJSG_SG_EEES6_PlJS6_EEE10hipError_tPvRmT3_T4_T5_T6_T7_T9_mT8_P12ihipStream_tbDpT10_ENKUlT_T0_E_clISt17integral_constantIbLb0EES1A_IbLb1EEEEDaS16_S17_EUlS16_E_NS1_11comp_targetILNS1_3genE8ELNS1_11target_archE1030ELNS1_3gpuE2ELNS1_3repE0EEENS1_30default_config_static_selectorELNS0_4arch9wavefront6targetE0EEEvT1_.num_vgpr, 0
	.set _ZN7rocprim17ROCPRIM_400000_NS6detail17trampoline_kernelINS0_14default_configENS1_25partition_config_selectorILNS1_17partition_subalgoE5EyNS0_10empty_typeEbEEZZNS1_14partition_implILS5_5ELb0ES3_mN6thrust23THRUST_200600_302600_NS6detail15normal_iteratorINSA_10device_ptrIyEEEEPS6_NSA_18transform_iteratorINSB_9not_fun_tI7is_trueIyEEESF_NSA_11use_defaultESM_EENS0_5tupleIJSF_S6_EEENSO_IJSG_SG_EEES6_PlJS6_EEE10hipError_tPvRmT3_T4_T5_T6_T7_T9_mT8_P12ihipStream_tbDpT10_ENKUlT_T0_E_clISt17integral_constantIbLb0EES1A_IbLb1EEEEDaS16_S17_EUlS16_E_NS1_11comp_targetILNS1_3genE8ELNS1_11target_archE1030ELNS1_3gpuE2ELNS1_3repE0EEENS1_30default_config_static_selectorELNS0_4arch9wavefront6targetE0EEEvT1_.num_agpr, 0
	.set _ZN7rocprim17ROCPRIM_400000_NS6detail17trampoline_kernelINS0_14default_configENS1_25partition_config_selectorILNS1_17partition_subalgoE5EyNS0_10empty_typeEbEEZZNS1_14partition_implILS5_5ELb0ES3_mN6thrust23THRUST_200600_302600_NS6detail15normal_iteratorINSA_10device_ptrIyEEEEPS6_NSA_18transform_iteratorINSB_9not_fun_tI7is_trueIyEEESF_NSA_11use_defaultESM_EENS0_5tupleIJSF_S6_EEENSO_IJSG_SG_EEES6_PlJS6_EEE10hipError_tPvRmT3_T4_T5_T6_T7_T9_mT8_P12ihipStream_tbDpT10_ENKUlT_T0_E_clISt17integral_constantIbLb0EES1A_IbLb1EEEEDaS16_S17_EUlS16_E_NS1_11comp_targetILNS1_3genE8ELNS1_11target_archE1030ELNS1_3gpuE2ELNS1_3repE0EEENS1_30default_config_static_selectorELNS0_4arch9wavefront6targetE0EEEvT1_.numbered_sgpr, 0
	.set _ZN7rocprim17ROCPRIM_400000_NS6detail17trampoline_kernelINS0_14default_configENS1_25partition_config_selectorILNS1_17partition_subalgoE5EyNS0_10empty_typeEbEEZZNS1_14partition_implILS5_5ELb0ES3_mN6thrust23THRUST_200600_302600_NS6detail15normal_iteratorINSA_10device_ptrIyEEEEPS6_NSA_18transform_iteratorINSB_9not_fun_tI7is_trueIyEEESF_NSA_11use_defaultESM_EENS0_5tupleIJSF_S6_EEENSO_IJSG_SG_EEES6_PlJS6_EEE10hipError_tPvRmT3_T4_T5_T6_T7_T9_mT8_P12ihipStream_tbDpT10_ENKUlT_T0_E_clISt17integral_constantIbLb0EES1A_IbLb1EEEEDaS16_S17_EUlS16_E_NS1_11comp_targetILNS1_3genE8ELNS1_11target_archE1030ELNS1_3gpuE2ELNS1_3repE0EEENS1_30default_config_static_selectorELNS0_4arch9wavefront6targetE0EEEvT1_.num_named_barrier, 0
	.set _ZN7rocprim17ROCPRIM_400000_NS6detail17trampoline_kernelINS0_14default_configENS1_25partition_config_selectorILNS1_17partition_subalgoE5EyNS0_10empty_typeEbEEZZNS1_14partition_implILS5_5ELb0ES3_mN6thrust23THRUST_200600_302600_NS6detail15normal_iteratorINSA_10device_ptrIyEEEEPS6_NSA_18transform_iteratorINSB_9not_fun_tI7is_trueIyEEESF_NSA_11use_defaultESM_EENS0_5tupleIJSF_S6_EEENSO_IJSG_SG_EEES6_PlJS6_EEE10hipError_tPvRmT3_T4_T5_T6_T7_T9_mT8_P12ihipStream_tbDpT10_ENKUlT_T0_E_clISt17integral_constantIbLb0EES1A_IbLb1EEEEDaS16_S17_EUlS16_E_NS1_11comp_targetILNS1_3genE8ELNS1_11target_archE1030ELNS1_3gpuE2ELNS1_3repE0EEENS1_30default_config_static_selectorELNS0_4arch9wavefront6targetE0EEEvT1_.private_seg_size, 0
	.set _ZN7rocprim17ROCPRIM_400000_NS6detail17trampoline_kernelINS0_14default_configENS1_25partition_config_selectorILNS1_17partition_subalgoE5EyNS0_10empty_typeEbEEZZNS1_14partition_implILS5_5ELb0ES3_mN6thrust23THRUST_200600_302600_NS6detail15normal_iteratorINSA_10device_ptrIyEEEEPS6_NSA_18transform_iteratorINSB_9not_fun_tI7is_trueIyEEESF_NSA_11use_defaultESM_EENS0_5tupleIJSF_S6_EEENSO_IJSG_SG_EEES6_PlJS6_EEE10hipError_tPvRmT3_T4_T5_T6_T7_T9_mT8_P12ihipStream_tbDpT10_ENKUlT_T0_E_clISt17integral_constantIbLb0EES1A_IbLb1EEEEDaS16_S17_EUlS16_E_NS1_11comp_targetILNS1_3genE8ELNS1_11target_archE1030ELNS1_3gpuE2ELNS1_3repE0EEENS1_30default_config_static_selectorELNS0_4arch9wavefront6targetE0EEEvT1_.uses_vcc, 0
	.set _ZN7rocprim17ROCPRIM_400000_NS6detail17trampoline_kernelINS0_14default_configENS1_25partition_config_selectorILNS1_17partition_subalgoE5EyNS0_10empty_typeEbEEZZNS1_14partition_implILS5_5ELb0ES3_mN6thrust23THRUST_200600_302600_NS6detail15normal_iteratorINSA_10device_ptrIyEEEEPS6_NSA_18transform_iteratorINSB_9not_fun_tI7is_trueIyEEESF_NSA_11use_defaultESM_EENS0_5tupleIJSF_S6_EEENSO_IJSG_SG_EEES6_PlJS6_EEE10hipError_tPvRmT3_T4_T5_T6_T7_T9_mT8_P12ihipStream_tbDpT10_ENKUlT_T0_E_clISt17integral_constantIbLb0EES1A_IbLb1EEEEDaS16_S17_EUlS16_E_NS1_11comp_targetILNS1_3genE8ELNS1_11target_archE1030ELNS1_3gpuE2ELNS1_3repE0EEENS1_30default_config_static_selectorELNS0_4arch9wavefront6targetE0EEEvT1_.uses_flat_scratch, 0
	.set _ZN7rocprim17ROCPRIM_400000_NS6detail17trampoline_kernelINS0_14default_configENS1_25partition_config_selectorILNS1_17partition_subalgoE5EyNS0_10empty_typeEbEEZZNS1_14partition_implILS5_5ELb0ES3_mN6thrust23THRUST_200600_302600_NS6detail15normal_iteratorINSA_10device_ptrIyEEEEPS6_NSA_18transform_iteratorINSB_9not_fun_tI7is_trueIyEEESF_NSA_11use_defaultESM_EENS0_5tupleIJSF_S6_EEENSO_IJSG_SG_EEES6_PlJS6_EEE10hipError_tPvRmT3_T4_T5_T6_T7_T9_mT8_P12ihipStream_tbDpT10_ENKUlT_T0_E_clISt17integral_constantIbLb0EES1A_IbLb1EEEEDaS16_S17_EUlS16_E_NS1_11comp_targetILNS1_3genE8ELNS1_11target_archE1030ELNS1_3gpuE2ELNS1_3repE0EEENS1_30default_config_static_selectorELNS0_4arch9wavefront6targetE0EEEvT1_.has_dyn_sized_stack, 0
	.set _ZN7rocprim17ROCPRIM_400000_NS6detail17trampoline_kernelINS0_14default_configENS1_25partition_config_selectorILNS1_17partition_subalgoE5EyNS0_10empty_typeEbEEZZNS1_14partition_implILS5_5ELb0ES3_mN6thrust23THRUST_200600_302600_NS6detail15normal_iteratorINSA_10device_ptrIyEEEEPS6_NSA_18transform_iteratorINSB_9not_fun_tI7is_trueIyEEESF_NSA_11use_defaultESM_EENS0_5tupleIJSF_S6_EEENSO_IJSG_SG_EEES6_PlJS6_EEE10hipError_tPvRmT3_T4_T5_T6_T7_T9_mT8_P12ihipStream_tbDpT10_ENKUlT_T0_E_clISt17integral_constantIbLb0EES1A_IbLb1EEEEDaS16_S17_EUlS16_E_NS1_11comp_targetILNS1_3genE8ELNS1_11target_archE1030ELNS1_3gpuE2ELNS1_3repE0EEENS1_30default_config_static_selectorELNS0_4arch9wavefront6targetE0EEEvT1_.has_recursion, 0
	.set _ZN7rocprim17ROCPRIM_400000_NS6detail17trampoline_kernelINS0_14default_configENS1_25partition_config_selectorILNS1_17partition_subalgoE5EyNS0_10empty_typeEbEEZZNS1_14partition_implILS5_5ELb0ES3_mN6thrust23THRUST_200600_302600_NS6detail15normal_iteratorINSA_10device_ptrIyEEEEPS6_NSA_18transform_iteratorINSB_9not_fun_tI7is_trueIyEEESF_NSA_11use_defaultESM_EENS0_5tupleIJSF_S6_EEENSO_IJSG_SG_EEES6_PlJS6_EEE10hipError_tPvRmT3_T4_T5_T6_T7_T9_mT8_P12ihipStream_tbDpT10_ENKUlT_T0_E_clISt17integral_constantIbLb0EES1A_IbLb1EEEEDaS16_S17_EUlS16_E_NS1_11comp_targetILNS1_3genE8ELNS1_11target_archE1030ELNS1_3gpuE2ELNS1_3repE0EEENS1_30default_config_static_selectorELNS0_4arch9wavefront6targetE0EEEvT1_.has_indirect_call, 0
	.section	.AMDGPU.csdata,"",@progbits
; Kernel info:
; codeLenInByte = 0
; TotalNumSgprs: 0
; NumVgprs: 0
; ScratchSize: 0
; MemoryBound: 0
; FloatMode: 240
; IeeeMode: 1
; LDSByteSize: 0 bytes/workgroup (compile time only)
; SGPRBlocks: 0
; VGPRBlocks: 0
; NumSGPRsForWavesPerEU: 1
; NumVGPRsForWavesPerEU: 1
; Occupancy: 16
; WaveLimiterHint : 0
; COMPUTE_PGM_RSRC2:SCRATCH_EN: 0
; COMPUTE_PGM_RSRC2:USER_SGPR: 2
; COMPUTE_PGM_RSRC2:TRAP_HANDLER: 0
; COMPUTE_PGM_RSRC2:TGID_X_EN: 1
; COMPUTE_PGM_RSRC2:TGID_Y_EN: 0
; COMPUTE_PGM_RSRC2:TGID_Z_EN: 0
; COMPUTE_PGM_RSRC2:TIDIG_COMP_CNT: 0
	.section	.text._ZN6thrust23THRUST_200600_302600_NS11hip_rocprim14__parallel_for6kernelILj256ENS1_11__transform17unary_transform_fINS0_7pointerIbNS1_3tagENS0_11use_defaultES8_EENS0_10device_ptrIjEENS4_14no_stencil_tagENS0_8identityIbEENS4_21always_true_predicateEEElLj1EEEvT0_T1_SI_,"axG",@progbits,_ZN6thrust23THRUST_200600_302600_NS11hip_rocprim14__parallel_for6kernelILj256ENS1_11__transform17unary_transform_fINS0_7pointerIbNS1_3tagENS0_11use_defaultES8_EENS0_10device_ptrIjEENS4_14no_stencil_tagENS0_8identityIbEENS4_21always_true_predicateEEElLj1EEEvT0_T1_SI_,comdat
	.protected	_ZN6thrust23THRUST_200600_302600_NS11hip_rocprim14__parallel_for6kernelILj256ENS1_11__transform17unary_transform_fINS0_7pointerIbNS1_3tagENS0_11use_defaultES8_EENS0_10device_ptrIjEENS4_14no_stencil_tagENS0_8identityIbEENS4_21always_true_predicateEEElLj1EEEvT0_T1_SI_ ; -- Begin function _ZN6thrust23THRUST_200600_302600_NS11hip_rocprim14__parallel_for6kernelILj256ENS1_11__transform17unary_transform_fINS0_7pointerIbNS1_3tagENS0_11use_defaultES8_EENS0_10device_ptrIjEENS4_14no_stencil_tagENS0_8identityIbEENS4_21always_true_predicateEEElLj1EEEvT0_T1_SI_
	.globl	_ZN6thrust23THRUST_200600_302600_NS11hip_rocprim14__parallel_for6kernelILj256ENS1_11__transform17unary_transform_fINS0_7pointerIbNS1_3tagENS0_11use_defaultES8_EENS0_10device_ptrIjEENS4_14no_stencil_tagENS0_8identityIbEENS4_21always_true_predicateEEElLj1EEEvT0_T1_SI_
	.p2align	8
	.type	_ZN6thrust23THRUST_200600_302600_NS11hip_rocprim14__parallel_for6kernelILj256ENS1_11__transform17unary_transform_fINS0_7pointerIbNS1_3tagENS0_11use_defaultES8_EENS0_10device_ptrIjEENS4_14no_stencil_tagENS0_8identityIbEENS4_21always_true_predicateEEElLj1EEEvT0_T1_SI_,@function
_ZN6thrust23THRUST_200600_302600_NS11hip_rocprim14__parallel_for6kernelILj256ENS1_11__transform17unary_transform_fINS0_7pointerIbNS1_3tagENS0_11use_defaultES8_EENS0_10device_ptrIjEENS4_14no_stencil_tagENS0_8identityIbEENS4_21always_true_predicateEEElLj1EEEvT0_T1_SI_: ; @_ZN6thrust23THRUST_200600_302600_NS11hip_rocprim14__parallel_for6kernelILj256ENS1_11__transform17unary_transform_fINS0_7pointerIbNS1_3tagENS0_11use_defaultES8_EENS0_10device_ptrIjEENS4_14no_stencil_tagENS0_8identityIbEENS4_21always_true_predicateEEElLj1EEEvT0_T1_SI_
; %bb.0:
	s_clause 0x1
	s_load_b128 s[8:11], s[0:1], 0x18
	s_load_b128 s[0:3], s[0:1], 0x0
	s_lshl_b32 s4, ttmp9, 8
	s_mov_b32 s5, 0
	s_wait_kmcnt 0x0
	s_add_nc_u64 s[4:5], s[10:11], s[4:5]
	s_delay_alu instid0(SALU_CYCLE_1) | instskip(NEXT) | instid1(SALU_CYCLE_1)
	s_sub_nc_u64 s[6:7], s[8:9], s[4:5]
	v_cmp_gt_i64_e64 s7, 0x100, s[6:7]
	s_and_b32 s7, s7, exec_lo
	s_cselect_b32 s7, s6, 0x100
	s_mov_b32 s6, -1
	s_wait_alu 0xfffe
	s_cmp_eq_u32 s7, 0x100
	s_cbranch_scc0 .LBB1400_3
; %bb.1:
	s_and_not1_b32 vcc_lo, exec_lo, s6
	s_cbranch_vccz .LBB1400_6
.LBB1400_2:
	s_endpgm
.LBB1400_3:
	s_mov_b32 s6, exec_lo
	v_cmpx_gt_u32_e64 s7, v0
	s_cbranch_execz .LBB1400_5
; %bb.4:
	v_add_co_u32 v1, s7, s4, v0
	s_wait_alu 0xf1ff
	v_add_co_ci_u32_e64 v2, null, s5, 0, s7
	s_delay_alu instid0(VALU_DEP_2) | instskip(NEXT) | instid1(VALU_DEP_1)
	v_add_co_u32 v3, vcc_lo, s0, v1
	v_add_co_ci_u32_e64 v4, null, s1, v2, vcc_lo
	v_lshlrev_b64_e32 v[1:2], 2, v[1:2]
	flat_load_u8 v3, v[3:4]
	v_add_co_u32 v1, vcc_lo, s2, v1
	s_wait_alu 0xfffd
	v_add_co_ci_u32_e64 v2, null, s3, v2, vcc_lo
	s_wait_loadcnt_dscnt 0x0
	flat_store_b32 v[1:2], v3
.LBB1400_5:
	s_wait_alu 0xfffe
	s_or_b32 exec_lo, exec_lo, s6
	s_cbranch_execnz .LBB1400_2
.LBB1400_6:
	v_add_co_u32 v0, s4, s4, v0
	s_wait_alu 0xf1ff
	v_add_co_ci_u32_e64 v1, null, s5, 0, s4
	s_delay_alu instid0(VALU_DEP_2) | instskip(SKIP_1) | instid1(VALU_DEP_2)
	v_add_co_u32 v2, vcc_lo, s0, v0
	s_wait_alu 0xfffd
	v_add_co_ci_u32_e64 v3, null, s1, v1, vcc_lo
	v_lshlrev_b64_e32 v[0:1], 2, v[0:1]
	flat_load_u8 v2, v[2:3]
	v_add_co_u32 v0, vcc_lo, s2, v0
	s_wait_alu 0xfffd
	v_add_co_ci_u32_e64 v1, null, s3, v1, vcc_lo
	s_wait_loadcnt_dscnt 0x0
	flat_store_b32 v[0:1], v2
	s_endpgm
	.section	.rodata,"a",@progbits
	.p2align	6, 0x0
	.amdhsa_kernel _ZN6thrust23THRUST_200600_302600_NS11hip_rocprim14__parallel_for6kernelILj256ENS1_11__transform17unary_transform_fINS0_7pointerIbNS1_3tagENS0_11use_defaultES8_EENS0_10device_ptrIjEENS4_14no_stencil_tagENS0_8identityIbEENS4_21always_true_predicateEEElLj1EEEvT0_T1_SI_
		.amdhsa_group_segment_fixed_size 0
		.amdhsa_private_segment_fixed_size 0
		.amdhsa_kernarg_size 40
		.amdhsa_user_sgpr_count 2
		.amdhsa_user_sgpr_dispatch_ptr 0
		.amdhsa_user_sgpr_queue_ptr 0
		.amdhsa_user_sgpr_kernarg_segment_ptr 1
		.amdhsa_user_sgpr_dispatch_id 0
		.amdhsa_user_sgpr_private_segment_size 0
		.amdhsa_wavefront_size32 1
		.amdhsa_uses_dynamic_stack 0
		.amdhsa_enable_private_segment 0
		.amdhsa_system_sgpr_workgroup_id_x 1
		.amdhsa_system_sgpr_workgroup_id_y 0
		.amdhsa_system_sgpr_workgroup_id_z 0
		.amdhsa_system_sgpr_workgroup_info 0
		.amdhsa_system_vgpr_workitem_id 0
		.amdhsa_next_free_vgpr 5
		.amdhsa_next_free_sgpr 12
		.amdhsa_reserve_vcc 1
		.amdhsa_float_round_mode_32 0
		.amdhsa_float_round_mode_16_64 0
		.amdhsa_float_denorm_mode_32 3
		.amdhsa_float_denorm_mode_16_64 3
		.amdhsa_fp16_overflow 0
		.amdhsa_workgroup_processor_mode 1
		.amdhsa_memory_ordered 1
		.amdhsa_forward_progress 1
		.amdhsa_inst_pref_size 3
		.amdhsa_round_robin_scheduling 0
		.amdhsa_exception_fp_ieee_invalid_op 0
		.amdhsa_exception_fp_denorm_src 0
		.amdhsa_exception_fp_ieee_div_zero 0
		.amdhsa_exception_fp_ieee_overflow 0
		.amdhsa_exception_fp_ieee_underflow 0
		.amdhsa_exception_fp_ieee_inexact 0
		.amdhsa_exception_int_div_zero 0
	.end_amdhsa_kernel
	.section	.text._ZN6thrust23THRUST_200600_302600_NS11hip_rocprim14__parallel_for6kernelILj256ENS1_11__transform17unary_transform_fINS0_7pointerIbNS1_3tagENS0_11use_defaultES8_EENS0_10device_ptrIjEENS4_14no_stencil_tagENS0_8identityIbEENS4_21always_true_predicateEEElLj1EEEvT0_T1_SI_,"axG",@progbits,_ZN6thrust23THRUST_200600_302600_NS11hip_rocprim14__parallel_for6kernelILj256ENS1_11__transform17unary_transform_fINS0_7pointerIbNS1_3tagENS0_11use_defaultES8_EENS0_10device_ptrIjEENS4_14no_stencil_tagENS0_8identityIbEENS4_21always_true_predicateEEElLj1EEEvT0_T1_SI_,comdat
.Lfunc_end1400:
	.size	_ZN6thrust23THRUST_200600_302600_NS11hip_rocprim14__parallel_for6kernelILj256ENS1_11__transform17unary_transform_fINS0_7pointerIbNS1_3tagENS0_11use_defaultES8_EENS0_10device_ptrIjEENS4_14no_stencil_tagENS0_8identityIbEENS4_21always_true_predicateEEElLj1EEEvT0_T1_SI_, .Lfunc_end1400-_ZN6thrust23THRUST_200600_302600_NS11hip_rocprim14__parallel_for6kernelILj256ENS1_11__transform17unary_transform_fINS0_7pointerIbNS1_3tagENS0_11use_defaultES8_EENS0_10device_ptrIjEENS4_14no_stencil_tagENS0_8identityIbEENS4_21always_true_predicateEEElLj1EEEvT0_T1_SI_
                                        ; -- End function
	.set _ZN6thrust23THRUST_200600_302600_NS11hip_rocprim14__parallel_for6kernelILj256ENS1_11__transform17unary_transform_fINS0_7pointerIbNS1_3tagENS0_11use_defaultES8_EENS0_10device_ptrIjEENS4_14no_stencil_tagENS0_8identityIbEENS4_21always_true_predicateEEElLj1EEEvT0_T1_SI_.num_vgpr, 5
	.set _ZN6thrust23THRUST_200600_302600_NS11hip_rocprim14__parallel_for6kernelILj256ENS1_11__transform17unary_transform_fINS0_7pointerIbNS1_3tagENS0_11use_defaultES8_EENS0_10device_ptrIjEENS4_14no_stencil_tagENS0_8identityIbEENS4_21always_true_predicateEEElLj1EEEvT0_T1_SI_.num_agpr, 0
	.set _ZN6thrust23THRUST_200600_302600_NS11hip_rocprim14__parallel_for6kernelILj256ENS1_11__transform17unary_transform_fINS0_7pointerIbNS1_3tagENS0_11use_defaultES8_EENS0_10device_ptrIjEENS4_14no_stencil_tagENS0_8identityIbEENS4_21always_true_predicateEEElLj1EEEvT0_T1_SI_.numbered_sgpr, 12
	.set _ZN6thrust23THRUST_200600_302600_NS11hip_rocprim14__parallel_for6kernelILj256ENS1_11__transform17unary_transform_fINS0_7pointerIbNS1_3tagENS0_11use_defaultES8_EENS0_10device_ptrIjEENS4_14no_stencil_tagENS0_8identityIbEENS4_21always_true_predicateEEElLj1EEEvT0_T1_SI_.num_named_barrier, 0
	.set _ZN6thrust23THRUST_200600_302600_NS11hip_rocprim14__parallel_for6kernelILj256ENS1_11__transform17unary_transform_fINS0_7pointerIbNS1_3tagENS0_11use_defaultES8_EENS0_10device_ptrIjEENS4_14no_stencil_tagENS0_8identityIbEENS4_21always_true_predicateEEElLj1EEEvT0_T1_SI_.private_seg_size, 0
	.set _ZN6thrust23THRUST_200600_302600_NS11hip_rocprim14__parallel_for6kernelILj256ENS1_11__transform17unary_transform_fINS0_7pointerIbNS1_3tagENS0_11use_defaultES8_EENS0_10device_ptrIjEENS4_14no_stencil_tagENS0_8identityIbEENS4_21always_true_predicateEEElLj1EEEvT0_T1_SI_.uses_vcc, 1
	.set _ZN6thrust23THRUST_200600_302600_NS11hip_rocprim14__parallel_for6kernelILj256ENS1_11__transform17unary_transform_fINS0_7pointerIbNS1_3tagENS0_11use_defaultES8_EENS0_10device_ptrIjEENS4_14no_stencil_tagENS0_8identityIbEENS4_21always_true_predicateEEElLj1EEEvT0_T1_SI_.uses_flat_scratch, 0
	.set _ZN6thrust23THRUST_200600_302600_NS11hip_rocprim14__parallel_for6kernelILj256ENS1_11__transform17unary_transform_fINS0_7pointerIbNS1_3tagENS0_11use_defaultES8_EENS0_10device_ptrIjEENS4_14no_stencil_tagENS0_8identityIbEENS4_21always_true_predicateEEElLj1EEEvT0_T1_SI_.has_dyn_sized_stack, 0
	.set _ZN6thrust23THRUST_200600_302600_NS11hip_rocprim14__parallel_for6kernelILj256ENS1_11__transform17unary_transform_fINS0_7pointerIbNS1_3tagENS0_11use_defaultES8_EENS0_10device_ptrIjEENS4_14no_stencil_tagENS0_8identityIbEENS4_21always_true_predicateEEElLj1EEEvT0_T1_SI_.has_recursion, 0
	.set _ZN6thrust23THRUST_200600_302600_NS11hip_rocprim14__parallel_for6kernelILj256ENS1_11__transform17unary_transform_fINS0_7pointerIbNS1_3tagENS0_11use_defaultES8_EENS0_10device_ptrIjEENS4_14no_stencil_tagENS0_8identityIbEENS4_21always_true_predicateEEElLj1EEEvT0_T1_SI_.has_indirect_call, 0
	.section	.AMDGPU.csdata,"",@progbits
; Kernel info:
; codeLenInByte = 320
; TotalNumSgprs: 14
; NumVgprs: 5
; ScratchSize: 0
; MemoryBound: 0
; FloatMode: 240
; IeeeMode: 1
; LDSByteSize: 0 bytes/workgroup (compile time only)
; SGPRBlocks: 0
; VGPRBlocks: 0
; NumSGPRsForWavesPerEU: 14
; NumVGPRsForWavesPerEU: 5
; Occupancy: 16
; WaveLimiterHint : 0
; COMPUTE_PGM_RSRC2:SCRATCH_EN: 0
; COMPUTE_PGM_RSRC2:USER_SGPR: 2
; COMPUTE_PGM_RSRC2:TRAP_HANDLER: 0
; COMPUTE_PGM_RSRC2:TGID_X_EN: 1
; COMPUTE_PGM_RSRC2:TGID_Y_EN: 0
; COMPUTE_PGM_RSRC2:TGID_Z_EN: 0
; COMPUTE_PGM_RSRC2:TIDIG_COMP_CNT: 0
	.section	.text._ZN7rocprim17ROCPRIM_400000_NS6detail17trampoline_kernelINS0_14default_configENS1_25partition_config_selectorILNS1_17partition_subalgoE5EjNS0_10empty_typeEbEEZZNS1_14partition_implILS5_5ELb0ES3_mN6thrust23THRUST_200600_302600_NS6detail15normal_iteratorINSA_10device_ptrIjEEEEPS6_NSA_18transform_iteratorINSB_9not_fun_tI7is_trueIjEEESF_NSA_11use_defaultESM_EENS0_5tupleIJSF_S6_EEENSO_IJSG_SG_EEES6_PlJS6_EEE10hipError_tPvRmT3_T4_T5_T6_T7_T9_mT8_P12ihipStream_tbDpT10_ENKUlT_T0_E_clISt17integral_constantIbLb0EES1B_EEDaS16_S17_EUlS16_E_NS1_11comp_targetILNS1_3genE0ELNS1_11target_archE4294967295ELNS1_3gpuE0ELNS1_3repE0EEENS1_30default_config_static_selectorELNS0_4arch9wavefront6targetE0EEEvT1_,"axG",@progbits,_ZN7rocprim17ROCPRIM_400000_NS6detail17trampoline_kernelINS0_14default_configENS1_25partition_config_selectorILNS1_17partition_subalgoE5EjNS0_10empty_typeEbEEZZNS1_14partition_implILS5_5ELb0ES3_mN6thrust23THRUST_200600_302600_NS6detail15normal_iteratorINSA_10device_ptrIjEEEEPS6_NSA_18transform_iteratorINSB_9not_fun_tI7is_trueIjEEESF_NSA_11use_defaultESM_EENS0_5tupleIJSF_S6_EEENSO_IJSG_SG_EEES6_PlJS6_EEE10hipError_tPvRmT3_T4_T5_T6_T7_T9_mT8_P12ihipStream_tbDpT10_ENKUlT_T0_E_clISt17integral_constantIbLb0EES1B_EEDaS16_S17_EUlS16_E_NS1_11comp_targetILNS1_3genE0ELNS1_11target_archE4294967295ELNS1_3gpuE0ELNS1_3repE0EEENS1_30default_config_static_selectorELNS0_4arch9wavefront6targetE0EEEvT1_,comdat
	.protected	_ZN7rocprim17ROCPRIM_400000_NS6detail17trampoline_kernelINS0_14default_configENS1_25partition_config_selectorILNS1_17partition_subalgoE5EjNS0_10empty_typeEbEEZZNS1_14partition_implILS5_5ELb0ES3_mN6thrust23THRUST_200600_302600_NS6detail15normal_iteratorINSA_10device_ptrIjEEEEPS6_NSA_18transform_iteratorINSB_9not_fun_tI7is_trueIjEEESF_NSA_11use_defaultESM_EENS0_5tupleIJSF_S6_EEENSO_IJSG_SG_EEES6_PlJS6_EEE10hipError_tPvRmT3_T4_T5_T6_T7_T9_mT8_P12ihipStream_tbDpT10_ENKUlT_T0_E_clISt17integral_constantIbLb0EES1B_EEDaS16_S17_EUlS16_E_NS1_11comp_targetILNS1_3genE0ELNS1_11target_archE4294967295ELNS1_3gpuE0ELNS1_3repE0EEENS1_30default_config_static_selectorELNS0_4arch9wavefront6targetE0EEEvT1_ ; -- Begin function _ZN7rocprim17ROCPRIM_400000_NS6detail17trampoline_kernelINS0_14default_configENS1_25partition_config_selectorILNS1_17partition_subalgoE5EjNS0_10empty_typeEbEEZZNS1_14partition_implILS5_5ELb0ES3_mN6thrust23THRUST_200600_302600_NS6detail15normal_iteratorINSA_10device_ptrIjEEEEPS6_NSA_18transform_iteratorINSB_9not_fun_tI7is_trueIjEEESF_NSA_11use_defaultESM_EENS0_5tupleIJSF_S6_EEENSO_IJSG_SG_EEES6_PlJS6_EEE10hipError_tPvRmT3_T4_T5_T6_T7_T9_mT8_P12ihipStream_tbDpT10_ENKUlT_T0_E_clISt17integral_constantIbLb0EES1B_EEDaS16_S17_EUlS16_E_NS1_11comp_targetILNS1_3genE0ELNS1_11target_archE4294967295ELNS1_3gpuE0ELNS1_3repE0EEENS1_30default_config_static_selectorELNS0_4arch9wavefront6targetE0EEEvT1_
	.globl	_ZN7rocprim17ROCPRIM_400000_NS6detail17trampoline_kernelINS0_14default_configENS1_25partition_config_selectorILNS1_17partition_subalgoE5EjNS0_10empty_typeEbEEZZNS1_14partition_implILS5_5ELb0ES3_mN6thrust23THRUST_200600_302600_NS6detail15normal_iteratorINSA_10device_ptrIjEEEEPS6_NSA_18transform_iteratorINSB_9not_fun_tI7is_trueIjEEESF_NSA_11use_defaultESM_EENS0_5tupleIJSF_S6_EEENSO_IJSG_SG_EEES6_PlJS6_EEE10hipError_tPvRmT3_T4_T5_T6_T7_T9_mT8_P12ihipStream_tbDpT10_ENKUlT_T0_E_clISt17integral_constantIbLb0EES1B_EEDaS16_S17_EUlS16_E_NS1_11comp_targetILNS1_3genE0ELNS1_11target_archE4294967295ELNS1_3gpuE0ELNS1_3repE0EEENS1_30default_config_static_selectorELNS0_4arch9wavefront6targetE0EEEvT1_
	.p2align	8
	.type	_ZN7rocprim17ROCPRIM_400000_NS6detail17trampoline_kernelINS0_14default_configENS1_25partition_config_selectorILNS1_17partition_subalgoE5EjNS0_10empty_typeEbEEZZNS1_14partition_implILS5_5ELb0ES3_mN6thrust23THRUST_200600_302600_NS6detail15normal_iteratorINSA_10device_ptrIjEEEEPS6_NSA_18transform_iteratorINSB_9not_fun_tI7is_trueIjEEESF_NSA_11use_defaultESM_EENS0_5tupleIJSF_S6_EEENSO_IJSG_SG_EEES6_PlJS6_EEE10hipError_tPvRmT3_T4_T5_T6_T7_T9_mT8_P12ihipStream_tbDpT10_ENKUlT_T0_E_clISt17integral_constantIbLb0EES1B_EEDaS16_S17_EUlS16_E_NS1_11comp_targetILNS1_3genE0ELNS1_11target_archE4294967295ELNS1_3gpuE0ELNS1_3repE0EEENS1_30default_config_static_selectorELNS0_4arch9wavefront6targetE0EEEvT1_,@function
_ZN7rocprim17ROCPRIM_400000_NS6detail17trampoline_kernelINS0_14default_configENS1_25partition_config_selectorILNS1_17partition_subalgoE5EjNS0_10empty_typeEbEEZZNS1_14partition_implILS5_5ELb0ES3_mN6thrust23THRUST_200600_302600_NS6detail15normal_iteratorINSA_10device_ptrIjEEEEPS6_NSA_18transform_iteratorINSB_9not_fun_tI7is_trueIjEEESF_NSA_11use_defaultESM_EENS0_5tupleIJSF_S6_EEENSO_IJSG_SG_EEES6_PlJS6_EEE10hipError_tPvRmT3_T4_T5_T6_T7_T9_mT8_P12ihipStream_tbDpT10_ENKUlT_T0_E_clISt17integral_constantIbLb0EES1B_EEDaS16_S17_EUlS16_E_NS1_11comp_targetILNS1_3genE0ELNS1_11target_archE4294967295ELNS1_3gpuE0ELNS1_3repE0EEENS1_30default_config_static_selectorELNS0_4arch9wavefront6targetE0EEEvT1_: ; @_ZN7rocprim17ROCPRIM_400000_NS6detail17trampoline_kernelINS0_14default_configENS1_25partition_config_selectorILNS1_17partition_subalgoE5EjNS0_10empty_typeEbEEZZNS1_14partition_implILS5_5ELb0ES3_mN6thrust23THRUST_200600_302600_NS6detail15normal_iteratorINSA_10device_ptrIjEEEEPS6_NSA_18transform_iteratorINSB_9not_fun_tI7is_trueIjEEESF_NSA_11use_defaultESM_EENS0_5tupleIJSF_S6_EEENSO_IJSG_SG_EEES6_PlJS6_EEE10hipError_tPvRmT3_T4_T5_T6_T7_T9_mT8_P12ihipStream_tbDpT10_ENKUlT_T0_E_clISt17integral_constantIbLb0EES1B_EEDaS16_S17_EUlS16_E_NS1_11comp_targetILNS1_3genE0ELNS1_11target_archE4294967295ELNS1_3gpuE0ELNS1_3repE0EEENS1_30default_config_static_selectorELNS0_4arch9wavefront6targetE0EEEvT1_
; %bb.0:
	.section	.rodata,"a",@progbits
	.p2align	6, 0x0
	.amdhsa_kernel _ZN7rocprim17ROCPRIM_400000_NS6detail17trampoline_kernelINS0_14default_configENS1_25partition_config_selectorILNS1_17partition_subalgoE5EjNS0_10empty_typeEbEEZZNS1_14partition_implILS5_5ELb0ES3_mN6thrust23THRUST_200600_302600_NS6detail15normal_iteratorINSA_10device_ptrIjEEEEPS6_NSA_18transform_iteratorINSB_9not_fun_tI7is_trueIjEEESF_NSA_11use_defaultESM_EENS0_5tupleIJSF_S6_EEENSO_IJSG_SG_EEES6_PlJS6_EEE10hipError_tPvRmT3_T4_T5_T6_T7_T9_mT8_P12ihipStream_tbDpT10_ENKUlT_T0_E_clISt17integral_constantIbLb0EES1B_EEDaS16_S17_EUlS16_E_NS1_11comp_targetILNS1_3genE0ELNS1_11target_archE4294967295ELNS1_3gpuE0ELNS1_3repE0EEENS1_30default_config_static_selectorELNS0_4arch9wavefront6targetE0EEEvT1_
		.amdhsa_group_segment_fixed_size 0
		.amdhsa_private_segment_fixed_size 0
		.amdhsa_kernarg_size 120
		.amdhsa_user_sgpr_count 2
		.amdhsa_user_sgpr_dispatch_ptr 0
		.amdhsa_user_sgpr_queue_ptr 0
		.amdhsa_user_sgpr_kernarg_segment_ptr 1
		.amdhsa_user_sgpr_dispatch_id 0
		.amdhsa_user_sgpr_private_segment_size 0
		.amdhsa_wavefront_size32 1
		.amdhsa_uses_dynamic_stack 0
		.amdhsa_enable_private_segment 0
		.amdhsa_system_sgpr_workgroup_id_x 1
		.amdhsa_system_sgpr_workgroup_id_y 0
		.amdhsa_system_sgpr_workgroup_id_z 0
		.amdhsa_system_sgpr_workgroup_info 0
		.amdhsa_system_vgpr_workitem_id 0
		.amdhsa_next_free_vgpr 1
		.amdhsa_next_free_sgpr 1
		.amdhsa_reserve_vcc 0
		.amdhsa_float_round_mode_32 0
		.amdhsa_float_round_mode_16_64 0
		.amdhsa_float_denorm_mode_32 3
		.amdhsa_float_denorm_mode_16_64 3
		.amdhsa_fp16_overflow 0
		.amdhsa_workgroup_processor_mode 1
		.amdhsa_memory_ordered 1
		.amdhsa_forward_progress 1
		.amdhsa_inst_pref_size 0
		.amdhsa_round_robin_scheduling 0
		.amdhsa_exception_fp_ieee_invalid_op 0
		.amdhsa_exception_fp_denorm_src 0
		.amdhsa_exception_fp_ieee_div_zero 0
		.amdhsa_exception_fp_ieee_overflow 0
		.amdhsa_exception_fp_ieee_underflow 0
		.amdhsa_exception_fp_ieee_inexact 0
		.amdhsa_exception_int_div_zero 0
	.end_amdhsa_kernel
	.section	.text._ZN7rocprim17ROCPRIM_400000_NS6detail17trampoline_kernelINS0_14default_configENS1_25partition_config_selectorILNS1_17partition_subalgoE5EjNS0_10empty_typeEbEEZZNS1_14partition_implILS5_5ELb0ES3_mN6thrust23THRUST_200600_302600_NS6detail15normal_iteratorINSA_10device_ptrIjEEEEPS6_NSA_18transform_iteratorINSB_9not_fun_tI7is_trueIjEEESF_NSA_11use_defaultESM_EENS0_5tupleIJSF_S6_EEENSO_IJSG_SG_EEES6_PlJS6_EEE10hipError_tPvRmT3_T4_T5_T6_T7_T9_mT8_P12ihipStream_tbDpT10_ENKUlT_T0_E_clISt17integral_constantIbLb0EES1B_EEDaS16_S17_EUlS16_E_NS1_11comp_targetILNS1_3genE0ELNS1_11target_archE4294967295ELNS1_3gpuE0ELNS1_3repE0EEENS1_30default_config_static_selectorELNS0_4arch9wavefront6targetE0EEEvT1_,"axG",@progbits,_ZN7rocprim17ROCPRIM_400000_NS6detail17trampoline_kernelINS0_14default_configENS1_25partition_config_selectorILNS1_17partition_subalgoE5EjNS0_10empty_typeEbEEZZNS1_14partition_implILS5_5ELb0ES3_mN6thrust23THRUST_200600_302600_NS6detail15normal_iteratorINSA_10device_ptrIjEEEEPS6_NSA_18transform_iteratorINSB_9not_fun_tI7is_trueIjEEESF_NSA_11use_defaultESM_EENS0_5tupleIJSF_S6_EEENSO_IJSG_SG_EEES6_PlJS6_EEE10hipError_tPvRmT3_T4_T5_T6_T7_T9_mT8_P12ihipStream_tbDpT10_ENKUlT_T0_E_clISt17integral_constantIbLb0EES1B_EEDaS16_S17_EUlS16_E_NS1_11comp_targetILNS1_3genE0ELNS1_11target_archE4294967295ELNS1_3gpuE0ELNS1_3repE0EEENS1_30default_config_static_selectorELNS0_4arch9wavefront6targetE0EEEvT1_,comdat
.Lfunc_end1401:
	.size	_ZN7rocprim17ROCPRIM_400000_NS6detail17trampoline_kernelINS0_14default_configENS1_25partition_config_selectorILNS1_17partition_subalgoE5EjNS0_10empty_typeEbEEZZNS1_14partition_implILS5_5ELb0ES3_mN6thrust23THRUST_200600_302600_NS6detail15normal_iteratorINSA_10device_ptrIjEEEEPS6_NSA_18transform_iteratorINSB_9not_fun_tI7is_trueIjEEESF_NSA_11use_defaultESM_EENS0_5tupleIJSF_S6_EEENSO_IJSG_SG_EEES6_PlJS6_EEE10hipError_tPvRmT3_T4_T5_T6_T7_T9_mT8_P12ihipStream_tbDpT10_ENKUlT_T0_E_clISt17integral_constantIbLb0EES1B_EEDaS16_S17_EUlS16_E_NS1_11comp_targetILNS1_3genE0ELNS1_11target_archE4294967295ELNS1_3gpuE0ELNS1_3repE0EEENS1_30default_config_static_selectorELNS0_4arch9wavefront6targetE0EEEvT1_, .Lfunc_end1401-_ZN7rocprim17ROCPRIM_400000_NS6detail17trampoline_kernelINS0_14default_configENS1_25partition_config_selectorILNS1_17partition_subalgoE5EjNS0_10empty_typeEbEEZZNS1_14partition_implILS5_5ELb0ES3_mN6thrust23THRUST_200600_302600_NS6detail15normal_iteratorINSA_10device_ptrIjEEEEPS6_NSA_18transform_iteratorINSB_9not_fun_tI7is_trueIjEEESF_NSA_11use_defaultESM_EENS0_5tupleIJSF_S6_EEENSO_IJSG_SG_EEES6_PlJS6_EEE10hipError_tPvRmT3_T4_T5_T6_T7_T9_mT8_P12ihipStream_tbDpT10_ENKUlT_T0_E_clISt17integral_constantIbLb0EES1B_EEDaS16_S17_EUlS16_E_NS1_11comp_targetILNS1_3genE0ELNS1_11target_archE4294967295ELNS1_3gpuE0ELNS1_3repE0EEENS1_30default_config_static_selectorELNS0_4arch9wavefront6targetE0EEEvT1_
                                        ; -- End function
	.set _ZN7rocprim17ROCPRIM_400000_NS6detail17trampoline_kernelINS0_14default_configENS1_25partition_config_selectorILNS1_17partition_subalgoE5EjNS0_10empty_typeEbEEZZNS1_14partition_implILS5_5ELb0ES3_mN6thrust23THRUST_200600_302600_NS6detail15normal_iteratorINSA_10device_ptrIjEEEEPS6_NSA_18transform_iteratorINSB_9not_fun_tI7is_trueIjEEESF_NSA_11use_defaultESM_EENS0_5tupleIJSF_S6_EEENSO_IJSG_SG_EEES6_PlJS6_EEE10hipError_tPvRmT3_T4_T5_T6_T7_T9_mT8_P12ihipStream_tbDpT10_ENKUlT_T0_E_clISt17integral_constantIbLb0EES1B_EEDaS16_S17_EUlS16_E_NS1_11comp_targetILNS1_3genE0ELNS1_11target_archE4294967295ELNS1_3gpuE0ELNS1_3repE0EEENS1_30default_config_static_selectorELNS0_4arch9wavefront6targetE0EEEvT1_.num_vgpr, 0
	.set _ZN7rocprim17ROCPRIM_400000_NS6detail17trampoline_kernelINS0_14default_configENS1_25partition_config_selectorILNS1_17partition_subalgoE5EjNS0_10empty_typeEbEEZZNS1_14partition_implILS5_5ELb0ES3_mN6thrust23THRUST_200600_302600_NS6detail15normal_iteratorINSA_10device_ptrIjEEEEPS6_NSA_18transform_iteratorINSB_9not_fun_tI7is_trueIjEEESF_NSA_11use_defaultESM_EENS0_5tupleIJSF_S6_EEENSO_IJSG_SG_EEES6_PlJS6_EEE10hipError_tPvRmT3_T4_T5_T6_T7_T9_mT8_P12ihipStream_tbDpT10_ENKUlT_T0_E_clISt17integral_constantIbLb0EES1B_EEDaS16_S17_EUlS16_E_NS1_11comp_targetILNS1_3genE0ELNS1_11target_archE4294967295ELNS1_3gpuE0ELNS1_3repE0EEENS1_30default_config_static_selectorELNS0_4arch9wavefront6targetE0EEEvT1_.num_agpr, 0
	.set _ZN7rocprim17ROCPRIM_400000_NS6detail17trampoline_kernelINS0_14default_configENS1_25partition_config_selectorILNS1_17partition_subalgoE5EjNS0_10empty_typeEbEEZZNS1_14partition_implILS5_5ELb0ES3_mN6thrust23THRUST_200600_302600_NS6detail15normal_iteratorINSA_10device_ptrIjEEEEPS6_NSA_18transform_iteratorINSB_9not_fun_tI7is_trueIjEEESF_NSA_11use_defaultESM_EENS0_5tupleIJSF_S6_EEENSO_IJSG_SG_EEES6_PlJS6_EEE10hipError_tPvRmT3_T4_T5_T6_T7_T9_mT8_P12ihipStream_tbDpT10_ENKUlT_T0_E_clISt17integral_constantIbLb0EES1B_EEDaS16_S17_EUlS16_E_NS1_11comp_targetILNS1_3genE0ELNS1_11target_archE4294967295ELNS1_3gpuE0ELNS1_3repE0EEENS1_30default_config_static_selectorELNS0_4arch9wavefront6targetE0EEEvT1_.numbered_sgpr, 0
	.set _ZN7rocprim17ROCPRIM_400000_NS6detail17trampoline_kernelINS0_14default_configENS1_25partition_config_selectorILNS1_17partition_subalgoE5EjNS0_10empty_typeEbEEZZNS1_14partition_implILS5_5ELb0ES3_mN6thrust23THRUST_200600_302600_NS6detail15normal_iteratorINSA_10device_ptrIjEEEEPS6_NSA_18transform_iteratorINSB_9not_fun_tI7is_trueIjEEESF_NSA_11use_defaultESM_EENS0_5tupleIJSF_S6_EEENSO_IJSG_SG_EEES6_PlJS6_EEE10hipError_tPvRmT3_T4_T5_T6_T7_T9_mT8_P12ihipStream_tbDpT10_ENKUlT_T0_E_clISt17integral_constantIbLb0EES1B_EEDaS16_S17_EUlS16_E_NS1_11comp_targetILNS1_3genE0ELNS1_11target_archE4294967295ELNS1_3gpuE0ELNS1_3repE0EEENS1_30default_config_static_selectorELNS0_4arch9wavefront6targetE0EEEvT1_.num_named_barrier, 0
	.set _ZN7rocprim17ROCPRIM_400000_NS6detail17trampoline_kernelINS0_14default_configENS1_25partition_config_selectorILNS1_17partition_subalgoE5EjNS0_10empty_typeEbEEZZNS1_14partition_implILS5_5ELb0ES3_mN6thrust23THRUST_200600_302600_NS6detail15normal_iteratorINSA_10device_ptrIjEEEEPS6_NSA_18transform_iteratorINSB_9not_fun_tI7is_trueIjEEESF_NSA_11use_defaultESM_EENS0_5tupleIJSF_S6_EEENSO_IJSG_SG_EEES6_PlJS6_EEE10hipError_tPvRmT3_T4_T5_T6_T7_T9_mT8_P12ihipStream_tbDpT10_ENKUlT_T0_E_clISt17integral_constantIbLb0EES1B_EEDaS16_S17_EUlS16_E_NS1_11comp_targetILNS1_3genE0ELNS1_11target_archE4294967295ELNS1_3gpuE0ELNS1_3repE0EEENS1_30default_config_static_selectorELNS0_4arch9wavefront6targetE0EEEvT1_.private_seg_size, 0
	.set _ZN7rocprim17ROCPRIM_400000_NS6detail17trampoline_kernelINS0_14default_configENS1_25partition_config_selectorILNS1_17partition_subalgoE5EjNS0_10empty_typeEbEEZZNS1_14partition_implILS5_5ELb0ES3_mN6thrust23THRUST_200600_302600_NS6detail15normal_iteratorINSA_10device_ptrIjEEEEPS6_NSA_18transform_iteratorINSB_9not_fun_tI7is_trueIjEEESF_NSA_11use_defaultESM_EENS0_5tupleIJSF_S6_EEENSO_IJSG_SG_EEES6_PlJS6_EEE10hipError_tPvRmT3_T4_T5_T6_T7_T9_mT8_P12ihipStream_tbDpT10_ENKUlT_T0_E_clISt17integral_constantIbLb0EES1B_EEDaS16_S17_EUlS16_E_NS1_11comp_targetILNS1_3genE0ELNS1_11target_archE4294967295ELNS1_3gpuE0ELNS1_3repE0EEENS1_30default_config_static_selectorELNS0_4arch9wavefront6targetE0EEEvT1_.uses_vcc, 0
	.set _ZN7rocprim17ROCPRIM_400000_NS6detail17trampoline_kernelINS0_14default_configENS1_25partition_config_selectorILNS1_17partition_subalgoE5EjNS0_10empty_typeEbEEZZNS1_14partition_implILS5_5ELb0ES3_mN6thrust23THRUST_200600_302600_NS6detail15normal_iteratorINSA_10device_ptrIjEEEEPS6_NSA_18transform_iteratorINSB_9not_fun_tI7is_trueIjEEESF_NSA_11use_defaultESM_EENS0_5tupleIJSF_S6_EEENSO_IJSG_SG_EEES6_PlJS6_EEE10hipError_tPvRmT3_T4_T5_T6_T7_T9_mT8_P12ihipStream_tbDpT10_ENKUlT_T0_E_clISt17integral_constantIbLb0EES1B_EEDaS16_S17_EUlS16_E_NS1_11comp_targetILNS1_3genE0ELNS1_11target_archE4294967295ELNS1_3gpuE0ELNS1_3repE0EEENS1_30default_config_static_selectorELNS0_4arch9wavefront6targetE0EEEvT1_.uses_flat_scratch, 0
	.set _ZN7rocprim17ROCPRIM_400000_NS6detail17trampoline_kernelINS0_14default_configENS1_25partition_config_selectorILNS1_17partition_subalgoE5EjNS0_10empty_typeEbEEZZNS1_14partition_implILS5_5ELb0ES3_mN6thrust23THRUST_200600_302600_NS6detail15normal_iteratorINSA_10device_ptrIjEEEEPS6_NSA_18transform_iteratorINSB_9not_fun_tI7is_trueIjEEESF_NSA_11use_defaultESM_EENS0_5tupleIJSF_S6_EEENSO_IJSG_SG_EEES6_PlJS6_EEE10hipError_tPvRmT3_T4_T5_T6_T7_T9_mT8_P12ihipStream_tbDpT10_ENKUlT_T0_E_clISt17integral_constantIbLb0EES1B_EEDaS16_S17_EUlS16_E_NS1_11comp_targetILNS1_3genE0ELNS1_11target_archE4294967295ELNS1_3gpuE0ELNS1_3repE0EEENS1_30default_config_static_selectorELNS0_4arch9wavefront6targetE0EEEvT1_.has_dyn_sized_stack, 0
	.set _ZN7rocprim17ROCPRIM_400000_NS6detail17trampoline_kernelINS0_14default_configENS1_25partition_config_selectorILNS1_17partition_subalgoE5EjNS0_10empty_typeEbEEZZNS1_14partition_implILS5_5ELb0ES3_mN6thrust23THRUST_200600_302600_NS6detail15normal_iteratorINSA_10device_ptrIjEEEEPS6_NSA_18transform_iteratorINSB_9not_fun_tI7is_trueIjEEESF_NSA_11use_defaultESM_EENS0_5tupleIJSF_S6_EEENSO_IJSG_SG_EEES6_PlJS6_EEE10hipError_tPvRmT3_T4_T5_T6_T7_T9_mT8_P12ihipStream_tbDpT10_ENKUlT_T0_E_clISt17integral_constantIbLb0EES1B_EEDaS16_S17_EUlS16_E_NS1_11comp_targetILNS1_3genE0ELNS1_11target_archE4294967295ELNS1_3gpuE0ELNS1_3repE0EEENS1_30default_config_static_selectorELNS0_4arch9wavefront6targetE0EEEvT1_.has_recursion, 0
	.set _ZN7rocprim17ROCPRIM_400000_NS6detail17trampoline_kernelINS0_14default_configENS1_25partition_config_selectorILNS1_17partition_subalgoE5EjNS0_10empty_typeEbEEZZNS1_14partition_implILS5_5ELb0ES3_mN6thrust23THRUST_200600_302600_NS6detail15normal_iteratorINSA_10device_ptrIjEEEEPS6_NSA_18transform_iteratorINSB_9not_fun_tI7is_trueIjEEESF_NSA_11use_defaultESM_EENS0_5tupleIJSF_S6_EEENSO_IJSG_SG_EEES6_PlJS6_EEE10hipError_tPvRmT3_T4_T5_T6_T7_T9_mT8_P12ihipStream_tbDpT10_ENKUlT_T0_E_clISt17integral_constantIbLb0EES1B_EEDaS16_S17_EUlS16_E_NS1_11comp_targetILNS1_3genE0ELNS1_11target_archE4294967295ELNS1_3gpuE0ELNS1_3repE0EEENS1_30default_config_static_selectorELNS0_4arch9wavefront6targetE0EEEvT1_.has_indirect_call, 0
	.section	.AMDGPU.csdata,"",@progbits
; Kernel info:
; codeLenInByte = 0
; TotalNumSgprs: 0
; NumVgprs: 0
; ScratchSize: 0
; MemoryBound: 0
; FloatMode: 240
; IeeeMode: 1
; LDSByteSize: 0 bytes/workgroup (compile time only)
; SGPRBlocks: 0
; VGPRBlocks: 0
; NumSGPRsForWavesPerEU: 1
; NumVGPRsForWavesPerEU: 1
; Occupancy: 16
; WaveLimiterHint : 0
; COMPUTE_PGM_RSRC2:SCRATCH_EN: 0
; COMPUTE_PGM_RSRC2:USER_SGPR: 2
; COMPUTE_PGM_RSRC2:TRAP_HANDLER: 0
; COMPUTE_PGM_RSRC2:TGID_X_EN: 1
; COMPUTE_PGM_RSRC2:TGID_Y_EN: 0
; COMPUTE_PGM_RSRC2:TGID_Z_EN: 0
; COMPUTE_PGM_RSRC2:TIDIG_COMP_CNT: 0
	.section	.text._ZN7rocprim17ROCPRIM_400000_NS6detail17trampoline_kernelINS0_14default_configENS1_25partition_config_selectorILNS1_17partition_subalgoE5EjNS0_10empty_typeEbEEZZNS1_14partition_implILS5_5ELb0ES3_mN6thrust23THRUST_200600_302600_NS6detail15normal_iteratorINSA_10device_ptrIjEEEEPS6_NSA_18transform_iteratorINSB_9not_fun_tI7is_trueIjEEESF_NSA_11use_defaultESM_EENS0_5tupleIJSF_S6_EEENSO_IJSG_SG_EEES6_PlJS6_EEE10hipError_tPvRmT3_T4_T5_T6_T7_T9_mT8_P12ihipStream_tbDpT10_ENKUlT_T0_E_clISt17integral_constantIbLb0EES1B_EEDaS16_S17_EUlS16_E_NS1_11comp_targetILNS1_3genE5ELNS1_11target_archE942ELNS1_3gpuE9ELNS1_3repE0EEENS1_30default_config_static_selectorELNS0_4arch9wavefront6targetE0EEEvT1_,"axG",@progbits,_ZN7rocprim17ROCPRIM_400000_NS6detail17trampoline_kernelINS0_14default_configENS1_25partition_config_selectorILNS1_17partition_subalgoE5EjNS0_10empty_typeEbEEZZNS1_14partition_implILS5_5ELb0ES3_mN6thrust23THRUST_200600_302600_NS6detail15normal_iteratorINSA_10device_ptrIjEEEEPS6_NSA_18transform_iteratorINSB_9not_fun_tI7is_trueIjEEESF_NSA_11use_defaultESM_EENS0_5tupleIJSF_S6_EEENSO_IJSG_SG_EEES6_PlJS6_EEE10hipError_tPvRmT3_T4_T5_T6_T7_T9_mT8_P12ihipStream_tbDpT10_ENKUlT_T0_E_clISt17integral_constantIbLb0EES1B_EEDaS16_S17_EUlS16_E_NS1_11comp_targetILNS1_3genE5ELNS1_11target_archE942ELNS1_3gpuE9ELNS1_3repE0EEENS1_30default_config_static_selectorELNS0_4arch9wavefront6targetE0EEEvT1_,comdat
	.protected	_ZN7rocprim17ROCPRIM_400000_NS6detail17trampoline_kernelINS0_14default_configENS1_25partition_config_selectorILNS1_17partition_subalgoE5EjNS0_10empty_typeEbEEZZNS1_14partition_implILS5_5ELb0ES3_mN6thrust23THRUST_200600_302600_NS6detail15normal_iteratorINSA_10device_ptrIjEEEEPS6_NSA_18transform_iteratorINSB_9not_fun_tI7is_trueIjEEESF_NSA_11use_defaultESM_EENS0_5tupleIJSF_S6_EEENSO_IJSG_SG_EEES6_PlJS6_EEE10hipError_tPvRmT3_T4_T5_T6_T7_T9_mT8_P12ihipStream_tbDpT10_ENKUlT_T0_E_clISt17integral_constantIbLb0EES1B_EEDaS16_S17_EUlS16_E_NS1_11comp_targetILNS1_3genE5ELNS1_11target_archE942ELNS1_3gpuE9ELNS1_3repE0EEENS1_30default_config_static_selectorELNS0_4arch9wavefront6targetE0EEEvT1_ ; -- Begin function _ZN7rocprim17ROCPRIM_400000_NS6detail17trampoline_kernelINS0_14default_configENS1_25partition_config_selectorILNS1_17partition_subalgoE5EjNS0_10empty_typeEbEEZZNS1_14partition_implILS5_5ELb0ES3_mN6thrust23THRUST_200600_302600_NS6detail15normal_iteratorINSA_10device_ptrIjEEEEPS6_NSA_18transform_iteratorINSB_9not_fun_tI7is_trueIjEEESF_NSA_11use_defaultESM_EENS0_5tupleIJSF_S6_EEENSO_IJSG_SG_EEES6_PlJS6_EEE10hipError_tPvRmT3_T4_T5_T6_T7_T9_mT8_P12ihipStream_tbDpT10_ENKUlT_T0_E_clISt17integral_constantIbLb0EES1B_EEDaS16_S17_EUlS16_E_NS1_11comp_targetILNS1_3genE5ELNS1_11target_archE942ELNS1_3gpuE9ELNS1_3repE0EEENS1_30default_config_static_selectorELNS0_4arch9wavefront6targetE0EEEvT1_
	.globl	_ZN7rocprim17ROCPRIM_400000_NS6detail17trampoline_kernelINS0_14default_configENS1_25partition_config_selectorILNS1_17partition_subalgoE5EjNS0_10empty_typeEbEEZZNS1_14partition_implILS5_5ELb0ES3_mN6thrust23THRUST_200600_302600_NS6detail15normal_iteratorINSA_10device_ptrIjEEEEPS6_NSA_18transform_iteratorINSB_9not_fun_tI7is_trueIjEEESF_NSA_11use_defaultESM_EENS0_5tupleIJSF_S6_EEENSO_IJSG_SG_EEES6_PlJS6_EEE10hipError_tPvRmT3_T4_T5_T6_T7_T9_mT8_P12ihipStream_tbDpT10_ENKUlT_T0_E_clISt17integral_constantIbLb0EES1B_EEDaS16_S17_EUlS16_E_NS1_11comp_targetILNS1_3genE5ELNS1_11target_archE942ELNS1_3gpuE9ELNS1_3repE0EEENS1_30default_config_static_selectorELNS0_4arch9wavefront6targetE0EEEvT1_
	.p2align	8
	.type	_ZN7rocprim17ROCPRIM_400000_NS6detail17trampoline_kernelINS0_14default_configENS1_25partition_config_selectorILNS1_17partition_subalgoE5EjNS0_10empty_typeEbEEZZNS1_14partition_implILS5_5ELb0ES3_mN6thrust23THRUST_200600_302600_NS6detail15normal_iteratorINSA_10device_ptrIjEEEEPS6_NSA_18transform_iteratorINSB_9not_fun_tI7is_trueIjEEESF_NSA_11use_defaultESM_EENS0_5tupleIJSF_S6_EEENSO_IJSG_SG_EEES6_PlJS6_EEE10hipError_tPvRmT3_T4_T5_T6_T7_T9_mT8_P12ihipStream_tbDpT10_ENKUlT_T0_E_clISt17integral_constantIbLb0EES1B_EEDaS16_S17_EUlS16_E_NS1_11comp_targetILNS1_3genE5ELNS1_11target_archE942ELNS1_3gpuE9ELNS1_3repE0EEENS1_30default_config_static_selectorELNS0_4arch9wavefront6targetE0EEEvT1_,@function
_ZN7rocprim17ROCPRIM_400000_NS6detail17trampoline_kernelINS0_14default_configENS1_25partition_config_selectorILNS1_17partition_subalgoE5EjNS0_10empty_typeEbEEZZNS1_14partition_implILS5_5ELb0ES3_mN6thrust23THRUST_200600_302600_NS6detail15normal_iteratorINSA_10device_ptrIjEEEEPS6_NSA_18transform_iteratorINSB_9not_fun_tI7is_trueIjEEESF_NSA_11use_defaultESM_EENS0_5tupleIJSF_S6_EEENSO_IJSG_SG_EEES6_PlJS6_EEE10hipError_tPvRmT3_T4_T5_T6_T7_T9_mT8_P12ihipStream_tbDpT10_ENKUlT_T0_E_clISt17integral_constantIbLb0EES1B_EEDaS16_S17_EUlS16_E_NS1_11comp_targetILNS1_3genE5ELNS1_11target_archE942ELNS1_3gpuE9ELNS1_3repE0EEENS1_30default_config_static_selectorELNS0_4arch9wavefront6targetE0EEEvT1_: ; @_ZN7rocprim17ROCPRIM_400000_NS6detail17trampoline_kernelINS0_14default_configENS1_25partition_config_selectorILNS1_17partition_subalgoE5EjNS0_10empty_typeEbEEZZNS1_14partition_implILS5_5ELb0ES3_mN6thrust23THRUST_200600_302600_NS6detail15normal_iteratorINSA_10device_ptrIjEEEEPS6_NSA_18transform_iteratorINSB_9not_fun_tI7is_trueIjEEESF_NSA_11use_defaultESM_EENS0_5tupleIJSF_S6_EEENSO_IJSG_SG_EEES6_PlJS6_EEE10hipError_tPvRmT3_T4_T5_T6_T7_T9_mT8_P12ihipStream_tbDpT10_ENKUlT_T0_E_clISt17integral_constantIbLb0EES1B_EEDaS16_S17_EUlS16_E_NS1_11comp_targetILNS1_3genE5ELNS1_11target_archE942ELNS1_3gpuE9ELNS1_3repE0EEENS1_30default_config_static_selectorELNS0_4arch9wavefront6targetE0EEEvT1_
; %bb.0:
	.section	.rodata,"a",@progbits
	.p2align	6, 0x0
	.amdhsa_kernel _ZN7rocprim17ROCPRIM_400000_NS6detail17trampoline_kernelINS0_14default_configENS1_25partition_config_selectorILNS1_17partition_subalgoE5EjNS0_10empty_typeEbEEZZNS1_14partition_implILS5_5ELb0ES3_mN6thrust23THRUST_200600_302600_NS6detail15normal_iteratorINSA_10device_ptrIjEEEEPS6_NSA_18transform_iteratorINSB_9not_fun_tI7is_trueIjEEESF_NSA_11use_defaultESM_EENS0_5tupleIJSF_S6_EEENSO_IJSG_SG_EEES6_PlJS6_EEE10hipError_tPvRmT3_T4_T5_T6_T7_T9_mT8_P12ihipStream_tbDpT10_ENKUlT_T0_E_clISt17integral_constantIbLb0EES1B_EEDaS16_S17_EUlS16_E_NS1_11comp_targetILNS1_3genE5ELNS1_11target_archE942ELNS1_3gpuE9ELNS1_3repE0EEENS1_30default_config_static_selectorELNS0_4arch9wavefront6targetE0EEEvT1_
		.amdhsa_group_segment_fixed_size 0
		.amdhsa_private_segment_fixed_size 0
		.amdhsa_kernarg_size 120
		.amdhsa_user_sgpr_count 2
		.amdhsa_user_sgpr_dispatch_ptr 0
		.amdhsa_user_sgpr_queue_ptr 0
		.amdhsa_user_sgpr_kernarg_segment_ptr 1
		.amdhsa_user_sgpr_dispatch_id 0
		.amdhsa_user_sgpr_private_segment_size 0
		.amdhsa_wavefront_size32 1
		.amdhsa_uses_dynamic_stack 0
		.amdhsa_enable_private_segment 0
		.amdhsa_system_sgpr_workgroup_id_x 1
		.amdhsa_system_sgpr_workgroup_id_y 0
		.amdhsa_system_sgpr_workgroup_id_z 0
		.amdhsa_system_sgpr_workgroup_info 0
		.amdhsa_system_vgpr_workitem_id 0
		.amdhsa_next_free_vgpr 1
		.amdhsa_next_free_sgpr 1
		.amdhsa_reserve_vcc 0
		.amdhsa_float_round_mode_32 0
		.amdhsa_float_round_mode_16_64 0
		.amdhsa_float_denorm_mode_32 3
		.amdhsa_float_denorm_mode_16_64 3
		.amdhsa_fp16_overflow 0
		.amdhsa_workgroup_processor_mode 1
		.amdhsa_memory_ordered 1
		.amdhsa_forward_progress 1
		.amdhsa_inst_pref_size 0
		.amdhsa_round_robin_scheduling 0
		.amdhsa_exception_fp_ieee_invalid_op 0
		.amdhsa_exception_fp_denorm_src 0
		.amdhsa_exception_fp_ieee_div_zero 0
		.amdhsa_exception_fp_ieee_overflow 0
		.amdhsa_exception_fp_ieee_underflow 0
		.amdhsa_exception_fp_ieee_inexact 0
		.amdhsa_exception_int_div_zero 0
	.end_amdhsa_kernel
	.section	.text._ZN7rocprim17ROCPRIM_400000_NS6detail17trampoline_kernelINS0_14default_configENS1_25partition_config_selectorILNS1_17partition_subalgoE5EjNS0_10empty_typeEbEEZZNS1_14partition_implILS5_5ELb0ES3_mN6thrust23THRUST_200600_302600_NS6detail15normal_iteratorINSA_10device_ptrIjEEEEPS6_NSA_18transform_iteratorINSB_9not_fun_tI7is_trueIjEEESF_NSA_11use_defaultESM_EENS0_5tupleIJSF_S6_EEENSO_IJSG_SG_EEES6_PlJS6_EEE10hipError_tPvRmT3_T4_T5_T6_T7_T9_mT8_P12ihipStream_tbDpT10_ENKUlT_T0_E_clISt17integral_constantIbLb0EES1B_EEDaS16_S17_EUlS16_E_NS1_11comp_targetILNS1_3genE5ELNS1_11target_archE942ELNS1_3gpuE9ELNS1_3repE0EEENS1_30default_config_static_selectorELNS0_4arch9wavefront6targetE0EEEvT1_,"axG",@progbits,_ZN7rocprim17ROCPRIM_400000_NS6detail17trampoline_kernelINS0_14default_configENS1_25partition_config_selectorILNS1_17partition_subalgoE5EjNS0_10empty_typeEbEEZZNS1_14partition_implILS5_5ELb0ES3_mN6thrust23THRUST_200600_302600_NS6detail15normal_iteratorINSA_10device_ptrIjEEEEPS6_NSA_18transform_iteratorINSB_9not_fun_tI7is_trueIjEEESF_NSA_11use_defaultESM_EENS0_5tupleIJSF_S6_EEENSO_IJSG_SG_EEES6_PlJS6_EEE10hipError_tPvRmT3_T4_T5_T6_T7_T9_mT8_P12ihipStream_tbDpT10_ENKUlT_T0_E_clISt17integral_constantIbLb0EES1B_EEDaS16_S17_EUlS16_E_NS1_11comp_targetILNS1_3genE5ELNS1_11target_archE942ELNS1_3gpuE9ELNS1_3repE0EEENS1_30default_config_static_selectorELNS0_4arch9wavefront6targetE0EEEvT1_,comdat
.Lfunc_end1402:
	.size	_ZN7rocprim17ROCPRIM_400000_NS6detail17trampoline_kernelINS0_14default_configENS1_25partition_config_selectorILNS1_17partition_subalgoE5EjNS0_10empty_typeEbEEZZNS1_14partition_implILS5_5ELb0ES3_mN6thrust23THRUST_200600_302600_NS6detail15normal_iteratorINSA_10device_ptrIjEEEEPS6_NSA_18transform_iteratorINSB_9not_fun_tI7is_trueIjEEESF_NSA_11use_defaultESM_EENS0_5tupleIJSF_S6_EEENSO_IJSG_SG_EEES6_PlJS6_EEE10hipError_tPvRmT3_T4_T5_T6_T7_T9_mT8_P12ihipStream_tbDpT10_ENKUlT_T0_E_clISt17integral_constantIbLb0EES1B_EEDaS16_S17_EUlS16_E_NS1_11comp_targetILNS1_3genE5ELNS1_11target_archE942ELNS1_3gpuE9ELNS1_3repE0EEENS1_30default_config_static_selectorELNS0_4arch9wavefront6targetE0EEEvT1_, .Lfunc_end1402-_ZN7rocprim17ROCPRIM_400000_NS6detail17trampoline_kernelINS0_14default_configENS1_25partition_config_selectorILNS1_17partition_subalgoE5EjNS0_10empty_typeEbEEZZNS1_14partition_implILS5_5ELb0ES3_mN6thrust23THRUST_200600_302600_NS6detail15normal_iteratorINSA_10device_ptrIjEEEEPS6_NSA_18transform_iteratorINSB_9not_fun_tI7is_trueIjEEESF_NSA_11use_defaultESM_EENS0_5tupleIJSF_S6_EEENSO_IJSG_SG_EEES6_PlJS6_EEE10hipError_tPvRmT3_T4_T5_T6_T7_T9_mT8_P12ihipStream_tbDpT10_ENKUlT_T0_E_clISt17integral_constantIbLb0EES1B_EEDaS16_S17_EUlS16_E_NS1_11comp_targetILNS1_3genE5ELNS1_11target_archE942ELNS1_3gpuE9ELNS1_3repE0EEENS1_30default_config_static_selectorELNS0_4arch9wavefront6targetE0EEEvT1_
                                        ; -- End function
	.set _ZN7rocprim17ROCPRIM_400000_NS6detail17trampoline_kernelINS0_14default_configENS1_25partition_config_selectorILNS1_17partition_subalgoE5EjNS0_10empty_typeEbEEZZNS1_14partition_implILS5_5ELb0ES3_mN6thrust23THRUST_200600_302600_NS6detail15normal_iteratorINSA_10device_ptrIjEEEEPS6_NSA_18transform_iteratorINSB_9not_fun_tI7is_trueIjEEESF_NSA_11use_defaultESM_EENS0_5tupleIJSF_S6_EEENSO_IJSG_SG_EEES6_PlJS6_EEE10hipError_tPvRmT3_T4_T5_T6_T7_T9_mT8_P12ihipStream_tbDpT10_ENKUlT_T0_E_clISt17integral_constantIbLb0EES1B_EEDaS16_S17_EUlS16_E_NS1_11comp_targetILNS1_3genE5ELNS1_11target_archE942ELNS1_3gpuE9ELNS1_3repE0EEENS1_30default_config_static_selectorELNS0_4arch9wavefront6targetE0EEEvT1_.num_vgpr, 0
	.set _ZN7rocprim17ROCPRIM_400000_NS6detail17trampoline_kernelINS0_14default_configENS1_25partition_config_selectorILNS1_17partition_subalgoE5EjNS0_10empty_typeEbEEZZNS1_14partition_implILS5_5ELb0ES3_mN6thrust23THRUST_200600_302600_NS6detail15normal_iteratorINSA_10device_ptrIjEEEEPS6_NSA_18transform_iteratorINSB_9not_fun_tI7is_trueIjEEESF_NSA_11use_defaultESM_EENS0_5tupleIJSF_S6_EEENSO_IJSG_SG_EEES6_PlJS6_EEE10hipError_tPvRmT3_T4_T5_T6_T7_T9_mT8_P12ihipStream_tbDpT10_ENKUlT_T0_E_clISt17integral_constantIbLb0EES1B_EEDaS16_S17_EUlS16_E_NS1_11comp_targetILNS1_3genE5ELNS1_11target_archE942ELNS1_3gpuE9ELNS1_3repE0EEENS1_30default_config_static_selectorELNS0_4arch9wavefront6targetE0EEEvT1_.num_agpr, 0
	.set _ZN7rocprim17ROCPRIM_400000_NS6detail17trampoline_kernelINS0_14default_configENS1_25partition_config_selectorILNS1_17partition_subalgoE5EjNS0_10empty_typeEbEEZZNS1_14partition_implILS5_5ELb0ES3_mN6thrust23THRUST_200600_302600_NS6detail15normal_iteratorINSA_10device_ptrIjEEEEPS6_NSA_18transform_iteratorINSB_9not_fun_tI7is_trueIjEEESF_NSA_11use_defaultESM_EENS0_5tupleIJSF_S6_EEENSO_IJSG_SG_EEES6_PlJS6_EEE10hipError_tPvRmT3_T4_T5_T6_T7_T9_mT8_P12ihipStream_tbDpT10_ENKUlT_T0_E_clISt17integral_constantIbLb0EES1B_EEDaS16_S17_EUlS16_E_NS1_11comp_targetILNS1_3genE5ELNS1_11target_archE942ELNS1_3gpuE9ELNS1_3repE0EEENS1_30default_config_static_selectorELNS0_4arch9wavefront6targetE0EEEvT1_.numbered_sgpr, 0
	.set _ZN7rocprim17ROCPRIM_400000_NS6detail17trampoline_kernelINS0_14default_configENS1_25partition_config_selectorILNS1_17partition_subalgoE5EjNS0_10empty_typeEbEEZZNS1_14partition_implILS5_5ELb0ES3_mN6thrust23THRUST_200600_302600_NS6detail15normal_iteratorINSA_10device_ptrIjEEEEPS6_NSA_18transform_iteratorINSB_9not_fun_tI7is_trueIjEEESF_NSA_11use_defaultESM_EENS0_5tupleIJSF_S6_EEENSO_IJSG_SG_EEES6_PlJS6_EEE10hipError_tPvRmT3_T4_T5_T6_T7_T9_mT8_P12ihipStream_tbDpT10_ENKUlT_T0_E_clISt17integral_constantIbLb0EES1B_EEDaS16_S17_EUlS16_E_NS1_11comp_targetILNS1_3genE5ELNS1_11target_archE942ELNS1_3gpuE9ELNS1_3repE0EEENS1_30default_config_static_selectorELNS0_4arch9wavefront6targetE0EEEvT1_.num_named_barrier, 0
	.set _ZN7rocprim17ROCPRIM_400000_NS6detail17trampoline_kernelINS0_14default_configENS1_25partition_config_selectorILNS1_17partition_subalgoE5EjNS0_10empty_typeEbEEZZNS1_14partition_implILS5_5ELb0ES3_mN6thrust23THRUST_200600_302600_NS6detail15normal_iteratorINSA_10device_ptrIjEEEEPS6_NSA_18transform_iteratorINSB_9not_fun_tI7is_trueIjEEESF_NSA_11use_defaultESM_EENS0_5tupleIJSF_S6_EEENSO_IJSG_SG_EEES6_PlJS6_EEE10hipError_tPvRmT3_T4_T5_T6_T7_T9_mT8_P12ihipStream_tbDpT10_ENKUlT_T0_E_clISt17integral_constantIbLb0EES1B_EEDaS16_S17_EUlS16_E_NS1_11comp_targetILNS1_3genE5ELNS1_11target_archE942ELNS1_3gpuE9ELNS1_3repE0EEENS1_30default_config_static_selectorELNS0_4arch9wavefront6targetE0EEEvT1_.private_seg_size, 0
	.set _ZN7rocprim17ROCPRIM_400000_NS6detail17trampoline_kernelINS0_14default_configENS1_25partition_config_selectorILNS1_17partition_subalgoE5EjNS0_10empty_typeEbEEZZNS1_14partition_implILS5_5ELb0ES3_mN6thrust23THRUST_200600_302600_NS6detail15normal_iteratorINSA_10device_ptrIjEEEEPS6_NSA_18transform_iteratorINSB_9not_fun_tI7is_trueIjEEESF_NSA_11use_defaultESM_EENS0_5tupleIJSF_S6_EEENSO_IJSG_SG_EEES6_PlJS6_EEE10hipError_tPvRmT3_T4_T5_T6_T7_T9_mT8_P12ihipStream_tbDpT10_ENKUlT_T0_E_clISt17integral_constantIbLb0EES1B_EEDaS16_S17_EUlS16_E_NS1_11comp_targetILNS1_3genE5ELNS1_11target_archE942ELNS1_3gpuE9ELNS1_3repE0EEENS1_30default_config_static_selectorELNS0_4arch9wavefront6targetE0EEEvT1_.uses_vcc, 0
	.set _ZN7rocprim17ROCPRIM_400000_NS6detail17trampoline_kernelINS0_14default_configENS1_25partition_config_selectorILNS1_17partition_subalgoE5EjNS0_10empty_typeEbEEZZNS1_14partition_implILS5_5ELb0ES3_mN6thrust23THRUST_200600_302600_NS6detail15normal_iteratorINSA_10device_ptrIjEEEEPS6_NSA_18transform_iteratorINSB_9not_fun_tI7is_trueIjEEESF_NSA_11use_defaultESM_EENS0_5tupleIJSF_S6_EEENSO_IJSG_SG_EEES6_PlJS6_EEE10hipError_tPvRmT3_T4_T5_T6_T7_T9_mT8_P12ihipStream_tbDpT10_ENKUlT_T0_E_clISt17integral_constantIbLb0EES1B_EEDaS16_S17_EUlS16_E_NS1_11comp_targetILNS1_3genE5ELNS1_11target_archE942ELNS1_3gpuE9ELNS1_3repE0EEENS1_30default_config_static_selectorELNS0_4arch9wavefront6targetE0EEEvT1_.uses_flat_scratch, 0
	.set _ZN7rocprim17ROCPRIM_400000_NS6detail17trampoline_kernelINS0_14default_configENS1_25partition_config_selectorILNS1_17partition_subalgoE5EjNS0_10empty_typeEbEEZZNS1_14partition_implILS5_5ELb0ES3_mN6thrust23THRUST_200600_302600_NS6detail15normal_iteratorINSA_10device_ptrIjEEEEPS6_NSA_18transform_iteratorINSB_9not_fun_tI7is_trueIjEEESF_NSA_11use_defaultESM_EENS0_5tupleIJSF_S6_EEENSO_IJSG_SG_EEES6_PlJS6_EEE10hipError_tPvRmT3_T4_T5_T6_T7_T9_mT8_P12ihipStream_tbDpT10_ENKUlT_T0_E_clISt17integral_constantIbLb0EES1B_EEDaS16_S17_EUlS16_E_NS1_11comp_targetILNS1_3genE5ELNS1_11target_archE942ELNS1_3gpuE9ELNS1_3repE0EEENS1_30default_config_static_selectorELNS0_4arch9wavefront6targetE0EEEvT1_.has_dyn_sized_stack, 0
	.set _ZN7rocprim17ROCPRIM_400000_NS6detail17trampoline_kernelINS0_14default_configENS1_25partition_config_selectorILNS1_17partition_subalgoE5EjNS0_10empty_typeEbEEZZNS1_14partition_implILS5_5ELb0ES3_mN6thrust23THRUST_200600_302600_NS6detail15normal_iteratorINSA_10device_ptrIjEEEEPS6_NSA_18transform_iteratorINSB_9not_fun_tI7is_trueIjEEESF_NSA_11use_defaultESM_EENS0_5tupleIJSF_S6_EEENSO_IJSG_SG_EEES6_PlJS6_EEE10hipError_tPvRmT3_T4_T5_T6_T7_T9_mT8_P12ihipStream_tbDpT10_ENKUlT_T0_E_clISt17integral_constantIbLb0EES1B_EEDaS16_S17_EUlS16_E_NS1_11comp_targetILNS1_3genE5ELNS1_11target_archE942ELNS1_3gpuE9ELNS1_3repE0EEENS1_30default_config_static_selectorELNS0_4arch9wavefront6targetE0EEEvT1_.has_recursion, 0
	.set _ZN7rocprim17ROCPRIM_400000_NS6detail17trampoline_kernelINS0_14default_configENS1_25partition_config_selectorILNS1_17partition_subalgoE5EjNS0_10empty_typeEbEEZZNS1_14partition_implILS5_5ELb0ES3_mN6thrust23THRUST_200600_302600_NS6detail15normal_iteratorINSA_10device_ptrIjEEEEPS6_NSA_18transform_iteratorINSB_9not_fun_tI7is_trueIjEEESF_NSA_11use_defaultESM_EENS0_5tupleIJSF_S6_EEENSO_IJSG_SG_EEES6_PlJS6_EEE10hipError_tPvRmT3_T4_T5_T6_T7_T9_mT8_P12ihipStream_tbDpT10_ENKUlT_T0_E_clISt17integral_constantIbLb0EES1B_EEDaS16_S17_EUlS16_E_NS1_11comp_targetILNS1_3genE5ELNS1_11target_archE942ELNS1_3gpuE9ELNS1_3repE0EEENS1_30default_config_static_selectorELNS0_4arch9wavefront6targetE0EEEvT1_.has_indirect_call, 0
	.section	.AMDGPU.csdata,"",@progbits
; Kernel info:
; codeLenInByte = 0
; TotalNumSgprs: 0
; NumVgprs: 0
; ScratchSize: 0
; MemoryBound: 0
; FloatMode: 240
; IeeeMode: 1
; LDSByteSize: 0 bytes/workgroup (compile time only)
; SGPRBlocks: 0
; VGPRBlocks: 0
; NumSGPRsForWavesPerEU: 1
; NumVGPRsForWavesPerEU: 1
; Occupancy: 16
; WaveLimiterHint : 0
; COMPUTE_PGM_RSRC2:SCRATCH_EN: 0
; COMPUTE_PGM_RSRC2:USER_SGPR: 2
; COMPUTE_PGM_RSRC2:TRAP_HANDLER: 0
; COMPUTE_PGM_RSRC2:TGID_X_EN: 1
; COMPUTE_PGM_RSRC2:TGID_Y_EN: 0
; COMPUTE_PGM_RSRC2:TGID_Z_EN: 0
; COMPUTE_PGM_RSRC2:TIDIG_COMP_CNT: 0
	.section	.text._ZN7rocprim17ROCPRIM_400000_NS6detail17trampoline_kernelINS0_14default_configENS1_25partition_config_selectorILNS1_17partition_subalgoE5EjNS0_10empty_typeEbEEZZNS1_14partition_implILS5_5ELb0ES3_mN6thrust23THRUST_200600_302600_NS6detail15normal_iteratorINSA_10device_ptrIjEEEEPS6_NSA_18transform_iteratorINSB_9not_fun_tI7is_trueIjEEESF_NSA_11use_defaultESM_EENS0_5tupleIJSF_S6_EEENSO_IJSG_SG_EEES6_PlJS6_EEE10hipError_tPvRmT3_T4_T5_T6_T7_T9_mT8_P12ihipStream_tbDpT10_ENKUlT_T0_E_clISt17integral_constantIbLb0EES1B_EEDaS16_S17_EUlS16_E_NS1_11comp_targetILNS1_3genE4ELNS1_11target_archE910ELNS1_3gpuE8ELNS1_3repE0EEENS1_30default_config_static_selectorELNS0_4arch9wavefront6targetE0EEEvT1_,"axG",@progbits,_ZN7rocprim17ROCPRIM_400000_NS6detail17trampoline_kernelINS0_14default_configENS1_25partition_config_selectorILNS1_17partition_subalgoE5EjNS0_10empty_typeEbEEZZNS1_14partition_implILS5_5ELb0ES3_mN6thrust23THRUST_200600_302600_NS6detail15normal_iteratorINSA_10device_ptrIjEEEEPS6_NSA_18transform_iteratorINSB_9not_fun_tI7is_trueIjEEESF_NSA_11use_defaultESM_EENS0_5tupleIJSF_S6_EEENSO_IJSG_SG_EEES6_PlJS6_EEE10hipError_tPvRmT3_T4_T5_T6_T7_T9_mT8_P12ihipStream_tbDpT10_ENKUlT_T0_E_clISt17integral_constantIbLb0EES1B_EEDaS16_S17_EUlS16_E_NS1_11comp_targetILNS1_3genE4ELNS1_11target_archE910ELNS1_3gpuE8ELNS1_3repE0EEENS1_30default_config_static_selectorELNS0_4arch9wavefront6targetE0EEEvT1_,comdat
	.protected	_ZN7rocprim17ROCPRIM_400000_NS6detail17trampoline_kernelINS0_14default_configENS1_25partition_config_selectorILNS1_17partition_subalgoE5EjNS0_10empty_typeEbEEZZNS1_14partition_implILS5_5ELb0ES3_mN6thrust23THRUST_200600_302600_NS6detail15normal_iteratorINSA_10device_ptrIjEEEEPS6_NSA_18transform_iteratorINSB_9not_fun_tI7is_trueIjEEESF_NSA_11use_defaultESM_EENS0_5tupleIJSF_S6_EEENSO_IJSG_SG_EEES6_PlJS6_EEE10hipError_tPvRmT3_T4_T5_T6_T7_T9_mT8_P12ihipStream_tbDpT10_ENKUlT_T0_E_clISt17integral_constantIbLb0EES1B_EEDaS16_S17_EUlS16_E_NS1_11comp_targetILNS1_3genE4ELNS1_11target_archE910ELNS1_3gpuE8ELNS1_3repE0EEENS1_30default_config_static_selectorELNS0_4arch9wavefront6targetE0EEEvT1_ ; -- Begin function _ZN7rocprim17ROCPRIM_400000_NS6detail17trampoline_kernelINS0_14default_configENS1_25partition_config_selectorILNS1_17partition_subalgoE5EjNS0_10empty_typeEbEEZZNS1_14partition_implILS5_5ELb0ES3_mN6thrust23THRUST_200600_302600_NS6detail15normal_iteratorINSA_10device_ptrIjEEEEPS6_NSA_18transform_iteratorINSB_9not_fun_tI7is_trueIjEEESF_NSA_11use_defaultESM_EENS0_5tupleIJSF_S6_EEENSO_IJSG_SG_EEES6_PlJS6_EEE10hipError_tPvRmT3_T4_T5_T6_T7_T9_mT8_P12ihipStream_tbDpT10_ENKUlT_T0_E_clISt17integral_constantIbLb0EES1B_EEDaS16_S17_EUlS16_E_NS1_11comp_targetILNS1_3genE4ELNS1_11target_archE910ELNS1_3gpuE8ELNS1_3repE0EEENS1_30default_config_static_selectorELNS0_4arch9wavefront6targetE0EEEvT1_
	.globl	_ZN7rocprim17ROCPRIM_400000_NS6detail17trampoline_kernelINS0_14default_configENS1_25partition_config_selectorILNS1_17partition_subalgoE5EjNS0_10empty_typeEbEEZZNS1_14partition_implILS5_5ELb0ES3_mN6thrust23THRUST_200600_302600_NS6detail15normal_iteratorINSA_10device_ptrIjEEEEPS6_NSA_18transform_iteratorINSB_9not_fun_tI7is_trueIjEEESF_NSA_11use_defaultESM_EENS0_5tupleIJSF_S6_EEENSO_IJSG_SG_EEES6_PlJS6_EEE10hipError_tPvRmT3_T4_T5_T6_T7_T9_mT8_P12ihipStream_tbDpT10_ENKUlT_T0_E_clISt17integral_constantIbLb0EES1B_EEDaS16_S17_EUlS16_E_NS1_11comp_targetILNS1_3genE4ELNS1_11target_archE910ELNS1_3gpuE8ELNS1_3repE0EEENS1_30default_config_static_selectorELNS0_4arch9wavefront6targetE0EEEvT1_
	.p2align	8
	.type	_ZN7rocprim17ROCPRIM_400000_NS6detail17trampoline_kernelINS0_14default_configENS1_25partition_config_selectorILNS1_17partition_subalgoE5EjNS0_10empty_typeEbEEZZNS1_14partition_implILS5_5ELb0ES3_mN6thrust23THRUST_200600_302600_NS6detail15normal_iteratorINSA_10device_ptrIjEEEEPS6_NSA_18transform_iteratorINSB_9not_fun_tI7is_trueIjEEESF_NSA_11use_defaultESM_EENS0_5tupleIJSF_S6_EEENSO_IJSG_SG_EEES6_PlJS6_EEE10hipError_tPvRmT3_T4_T5_T6_T7_T9_mT8_P12ihipStream_tbDpT10_ENKUlT_T0_E_clISt17integral_constantIbLb0EES1B_EEDaS16_S17_EUlS16_E_NS1_11comp_targetILNS1_3genE4ELNS1_11target_archE910ELNS1_3gpuE8ELNS1_3repE0EEENS1_30default_config_static_selectorELNS0_4arch9wavefront6targetE0EEEvT1_,@function
_ZN7rocprim17ROCPRIM_400000_NS6detail17trampoline_kernelINS0_14default_configENS1_25partition_config_selectorILNS1_17partition_subalgoE5EjNS0_10empty_typeEbEEZZNS1_14partition_implILS5_5ELb0ES3_mN6thrust23THRUST_200600_302600_NS6detail15normal_iteratorINSA_10device_ptrIjEEEEPS6_NSA_18transform_iteratorINSB_9not_fun_tI7is_trueIjEEESF_NSA_11use_defaultESM_EENS0_5tupleIJSF_S6_EEENSO_IJSG_SG_EEES6_PlJS6_EEE10hipError_tPvRmT3_T4_T5_T6_T7_T9_mT8_P12ihipStream_tbDpT10_ENKUlT_T0_E_clISt17integral_constantIbLb0EES1B_EEDaS16_S17_EUlS16_E_NS1_11comp_targetILNS1_3genE4ELNS1_11target_archE910ELNS1_3gpuE8ELNS1_3repE0EEENS1_30default_config_static_selectorELNS0_4arch9wavefront6targetE0EEEvT1_: ; @_ZN7rocprim17ROCPRIM_400000_NS6detail17trampoline_kernelINS0_14default_configENS1_25partition_config_selectorILNS1_17partition_subalgoE5EjNS0_10empty_typeEbEEZZNS1_14partition_implILS5_5ELb0ES3_mN6thrust23THRUST_200600_302600_NS6detail15normal_iteratorINSA_10device_ptrIjEEEEPS6_NSA_18transform_iteratorINSB_9not_fun_tI7is_trueIjEEESF_NSA_11use_defaultESM_EENS0_5tupleIJSF_S6_EEENSO_IJSG_SG_EEES6_PlJS6_EEE10hipError_tPvRmT3_T4_T5_T6_T7_T9_mT8_P12ihipStream_tbDpT10_ENKUlT_T0_E_clISt17integral_constantIbLb0EES1B_EEDaS16_S17_EUlS16_E_NS1_11comp_targetILNS1_3genE4ELNS1_11target_archE910ELNS1_3gpuE8ELNS1_3repE0EEENS1_30default_config_static_selectorELNS0_4arch9wavefront6targetE0EEEvT1_
; %bb.0:
	.section	.rodata,"a",@progbits
	.p2align	6, 0x0
	.amdhsa_kernel _ZN7rocprim17ROCPRIM_400000_NS6detail17trampoline_kernelINS0_14default_configENS1_25partition_config_selectorILNS1_17partition_subalgoE5EjNS0_10empty_typeEbEEZZNS1_14partition_implILS5_5ELb0ES3_mN6thrust23THRUST_200600_302600_NS6detail15normal_iteratorINSA_10device_ptrIjEEEEPS6_NSA_18transform_iteratorINSB_9not_fun_tI7is_trueIjEEESF_NSA_11use_defaultESM_EENS0_5tupleIJSF_S6_EEENSO_IJSG_SG_EEES6_PlJS6_EEE10hipError_tPvRmT3_T4_T5_T6_T7_T9_mT8_P12ihipStream_tbDpT10_ENKUlT_T0_E_clISt17integral_constantIbLb0EES1B_EEDaS16_S17_EUlS16_E_NS1_11comp_targetILNS1_3genE4ELNS1_11target_archE910ELNS1_3gpuE8ELNS1_3repE0EEENS1_30default_config_static_selectorELNS0_4arch9wavefront6targetE0EEEvT1_
		.amdhsa_group_segment_fixed_size 0
		.amdhsa_private_segment_fixed_size 0
		.amdhsa_kernarg_size 120
		.amdhsa_user_sgpr_count 2
		.amdhsa_user_sgpr_dispatch_ptr 0
		.amdhsa_user_sgpr_queue_ptr 0
		.amdhsa_user_sgpr_kernarg_segment_ptr 1
		.amdhsa_user_sgpr_dispatch_id 0
		.amdhsa_user_sgpr_private_segment_size 0
		.amdhsa_wavefront_size32 1
		.amdhsa_uses_dynamic_stack 0
		.amdhsa_enable_private_segment 0
		.amdhsa_system_sgpr_workgroup_id_x 1
		.amdhsa_system_sgpr_workgroup_id_y 0
		.amdhsa_system_sgpr_workgroup_id_z 0
		.amdhsa_system_sgpr_workgroup_info 0
		.amdhsa_system_vgpr_workitem_id 0
		.amdhsa_next_free_vgpr 1
		.amdhsa_next_free_sgpr 1
		.amdhsa_reserve_vcc 0
		.amdhsa_float_round_mode_32 0
		.amdhsa_float_round_mode_16_64 0
		.amdhsa_float_denorm_mode_32 3
		.amdhsa_float_denorm_mode_16_64 3
		.amdhsa_fp16_overflow 0
		.amdhsa_workgroup_processor_mode 1
		.amdhsa_memory_ordered 1
		.amdhsa_forward_progress 1
		.amdhsa_inst_pref_size 0
		.amdhsa_round_robin_scheduling 0
		.amdhsa_exception_fp_ieee_invalid_op 0
		.amdhsa_exception_fp_denorm_src 0
		.amdhsa_exception_fp_ieee_div_zero 0
		.amdhsa_exception_fp_ieee_overflow 0
		.amdhsa_exception_fp_ieee_underflow 0
		.amdhsa_exception_fp_ieee_inexact 0
		.amdhsa_exception_int_div_zero 0
	.end_amdhsa_kernel
	.section	.text._ZN7rocprim17ROCPRIM_400000_NS6detail17trampoline_kernelINS0_14default_configENS1_25partition_config_selectorILNS1_17partition_subalgoE5EjNS0_10empty_typeEbEEZZNS1_14partition_implILS5_5ELb0ES3_mN6thrust23THRUST_200600_302600_NS6detail15normal_iteratorINSA_10device_ptrIjEEEEPS6_NSA_18transform_iteratorINSB_9not_fun_tI7is_trueIjEEESF_NSA_11use_defaultESM_EENS0_5tupleIJSF_S6_EEENSO_IJSG_SG_EEES6_PlJS6_EEE10hipError_tPvRmT3_T4_T5_T6_T7_T9_mT8_P12ihipStream_tbDpT10_ENKUlT_T0_E_clISt17integral_constantIbLb0EES1B_EEDaS16_S17_EUlS16_E_NS1_11comp_targetILNS1_3genE4ELNS1_11target_archE910ELNS1_3gpuE8ELNS1_3repE0EEENS1_30default_config_static_selectorELNS0_4arch9wavefront6targetE0EEEvT1_,"axG",@progbits,_ZN7rocprim17ROCPRIM_400000_NS6detail17trampoline_kernelINS0_14default_configENS1_25partition_config_selectorILNS1_17partition_subalgoE5EjNS0_10empty_typeEbEEZZNS1_14partition_implILS5_5ELb0ES3_mN6thrust23THRUST_200600_302600_NS6detail15normal_iteratorINSA_10device_ptrIjEEEEPS6_NSA_18transform_iteratorINSB_9not_fun_tI7is_trueIjEEESF_NSA_11use_defaultESM_EENS0_5tupleIJSF_S6_EEENSO_IJSG_SG_EEES6_PlJS6_EEE10hipError_tPvRmT3_T4_T5_T6_T7_T9_mT8_P12ihipStream_tbDpT10_ENKUlT_T0_E_clISt17integral_constantIbLb0EES1B_EEDaS16_S17_EUlS16_E_NS1_11comp_targetILNS1_3genE4ELNS1_11target_archE910ELNS1_3gpuE8ELNS1_3repE0EEENS1_30default_config_static_selectorELNS0_4arch9wavefront6targetE0EEEvT1_,comdat
.Lfunc_end1403:
	.size	_ZN7rocprim17ROCPRIM_400000_NS6detail17trampoline_kernelINS0_14default_configENS1_25partition_config_selectorILNS1_17partition_subalgoE5EjNS0_10empty_typeEbEEZZNS1_14partition_implILS5_5ELb0ES3_mN6thrust23THRUST_200600_302600_NS6detail15normal_iteratorINSA_10device_ptrIjEEEEPS6_NSA_18transform_iteratorINSB_9not_fun_tI7is_trueIjEEESF_NSA_11use_defaultESM_EENS0_5tupleIJSF_S6_EEENSO_IJSG_SG_EEES6_PlJS6_EEE10hipError_tPvRmT3_T4_T5_T6_T7_T9_mT8_P12ihipStream_tbDpT10_ENKUlT_T0_E_clISt17integral_constantIbLb0EES1B_EEDaS16_S17_EUlS16_E_NS1_11comp_targetILNS1_3genE4ELNS1_11target_archE910ELNS1_3gpuE8ELNS1_3repE0EEENS1_30default_config_static_selectorELNS0_4arch9wavefront6targetE0EEEvT1_, .Lfunc_end1403-_ZN7rocprim17ROCPRIM_400000_NS6detail17trampoline_kernelINS0_14default_configENS1_25partition_config_selectorILNS1_17partition_subalgoE5EjNS0_10empty_typeEbEEZZNS1_14partition_implILS5_5ELb0ES3_mN6thrust23THRUST_200600_302600_NS6detail15normal_iteratorINSA_10device_ptrIjEEEEPS6_NSA_18transform_iteratorINSB_9not_fun_tI7is_trueIjEEESF_NSA_11use_defaultESM_EENS0_5tupleIJSF_S6_EEENSO_IJSG_SG_EEES6_PlJS6_EEE10hipError_tPvRmT3_T4_T5_T6_T7_T9_mT8_P12ihipStream_tbDpT10_ENKUlT_T0_E_clISt17integral_constantIbLb0EES1B_EEDaS16_S17_EUlS16_E_NS1_11comp_targetILNS1_3genE4ELNS1_11target_archE910ELNS1_3gpuE8ELNS1_3repE0EEENS1_30default_config_static_selectorELNS0_4arch9wavefront6targetE0EEEvT1_
                                        ; -- End function
	.set _ZN7rocprim17ROCPRIM_400000_NS6detail17trampoline_kernelINS0_14default_configENS1_25partition_config_selectorILNS1_17partition_subalgoE5EjNS0_10empty_typeEbEEZZNS1_14partition_implILS5_5ELb0ES3_mN6thrust23THRUST_200600_302600_NS6detail15normal_iteratorINSA_10device_ptrIjEEEEPS6_NSA_18transform_iteratorINSB_9not_fun_tI7is_trueIjEEESF_NSA_11use_defaultESM_EENS0_5tupleIJSF_S6_EEENSO_IJSG_SG_EEES6_PlJS6_EEE10hipError_tPvRmT3_T4_T5_T6_T7_T9_mT8_P12ihipStream_tbDpT10_ENKUlT_T0_E_clISt17integral_constantIbLb0EES1B_EEDaS16_S17_EUlS16_E_NS1_11comp_targetILNS1_3genE4ELNS1_11target_archE910ELNS1_3gpuE8ELNS1_3repE0EEENS1_30default_config_static_selectorELNS0_4arch9wavefront6targetE0EEEvT1_.num_vgpr, 0
	.set _ZN7rocprim17ROCPRIM_400000_NS6detail17trampoline_kernelINS0_14default_configENS1_25partition_config_selectorILNS1_17partition_subalgoE5EjNS0_10empty_typeEbEEZZNS1_14partition_implILS5_5ELb0ES3_mN6thrust23THRUST_200600_302600_NS6detail15normal_iteratorINSA_10device_ptrIjEEEEPS6_NSA_18transform_iteratorINSB_9not_fun_tI7is_trueIjEEESF_NSA_11use_defaultESM_EENS0_5tupleIJSF_S6_EEENSO_IJSG_SG_EEES6_PlJS6_EEE10hipError_tPvRmT3_T4_T5_T6_T7_T9_mT8_P12ihipStream_tbDpT10_ENKUlT_T0_E_clISt17integral_constantIbLb0EES1B_EEDaS16_S17_EUlS16_E_NS1_11comp_targetILNS1_3genE4ELNS1_11target_archE910ELNS1_3gpuE8ELNS1_3repE0EEENS1_30default_config_static_selectorELNS0_4arch9wavefront6targetE0EEEvT1_.num_agpr, 0
	.set _ZN7rocprim17ROCPRIM_400000_NS6detail17trampoline_kernelINS0_14default_configENS1_25partition_config_selectorILNS1_17partition_subalgoE5EjNS0_10empty_typeEbEEZZNS1_14partition_implILS5_5ELb0ES3_mN6thrust23THRUST_200600_302600_NS6detail15normal_iteratorINSA_10device_ptrIjEEEEPS6_NSA_18transform_iteratorINSB_9not_fun_tI7is_trueIjEEESF_NSA_11use_defaultESM_EENS0_5tupleIJSF_S6_EEENSO_IJSG_SG_EEES6_PlJS6_EEE10hipError_tPvRmT3_T4_T5_T6_T7_T9_mT8_P12ihipStream_tbDpT10_ENKUlT_T0_E_clISt17integral_constantIbLb0EES1B_EEDaS16_S17_EUlS16_E_NS1_11comp_targetILNS1_3genE4ELNS1_11target_archE910ELNS1_3gpuE8ELNS1_3repE0EEENS1_30default_config_static_selectorELNS0_4arch9wavefront6targetE0EEEvT1_.numbered_sgpr, 0
	.set _ZN7rocprim17ROCPRIM_400000_NS6detail17trampoline_kernelINS0_14default_configENS1_25partition_config_selectorILNS1_17partition_subalgoE5EjNS0_10empty_typeEbEEZZNS1_14partition_implILS5_5ELb0ES3_mN6thrust23THRUST_200600_302600_NS6detail15normal_iteratorINSA_10device_ptrIjEEEEPS6_NSA_18transform_iteratorINSB_9not_fun_tI7is_trueIjEEESF_NSA_11use_defaultESM_EENS0_5tupleIJSF_S6_EEENSO_IJSG_SG_EEES6_PlJS6_EEE10hipError_tPvRmT3_T4_T5_T6_T7_T9_mT8_P12ihipStream_tbDpT10_ENKUlT_T0_E_clISt17integral_constantIbLb0EES1B_EEDaS16_S17_EUlS16_E_NS1_11comp_targetILNS1_3genE4ELNS1_11target_archE910ELNS1_3gpuE8ELNS1_3repE0EEENS1_30default_config_static_selectorELNS0_4arch9wavefront6targetE0EEEvT1_.num_named_barrier, 0
	.set _ZN7rocprim17ROCPRIM_400000_NS6detail17trampoline_kernelINS0_14default_configENS1_25partition_config_selectorILNS1_17partition_subalgoE5EjNS0_10empty_typeEbEEZZNS1_14partition_implILS5_5ELb0ES3_mN6thrust23THRUST_200600_302600_NS6detail15normal_iteratorINSA_10device_ptrIjEEEEPS6_NSA_18transform_iteratorINSB_9not_fun_tI7is_trueIjEEESF_NSA_11use_defaultESM_EENS0_5tupleIJSF_S6_EEENSO_IJSG_SG_EEES6_PlJS6_EEE10hipError_tPvRmT3_T4_T5_T6_T7_T9_mT8_P12ihipStream_tbDpT10_ENKUlT_T0_E_clISt17integral_constantIbLb0EES1B_EEDaS16_S17_EUlS16_E_NS1_11comp_targetILNS1_3genE4ELNS1_11target_archE910ELNS1_3gpuE8ELNS1_3repE0EEENS1_30default_config_static_selectorELNS0_4arch9wavefront6targetE0EEEvT1_.private_seg_size, 0
	.set _ZN7rocprim17ROCPRIM_400000_NS6detail17trampoline_kernelINS0_14default_configENS1_25partition_config_selectorILNS1_17partition_subalgoE5EjNS0_10empty_typeEbEEZZNS1_14partition_implILS5_5ELb0ES3_mN6thrust23THRUST_200600_302600_NS6detail15normal_iteratorINSA_10device_ptrIjEEEEPS6_NSA_18transform_iteratorINSB_9not_fun_tI7is_trueIjEEESF_NSA_11use_defaultESM_EENS0_5tupleIJSF_S6_EEENSO_IJSG_SG_EEES6_PlJS6_EEE10hipError_tPvRmT3_T4_T5_T6_T7_T9_mT8_P12ihipStream_tbDpT10_ENKUlT_T0_E_clISt17integral_constantIbLb0EES1B_EEDaS16_S17_EUlS16_E_NS1_11comp_targetILNS1_3genE4ELNS1_11target_archE910ELNS1_3gpuE8ELNS1_3repE0EEENS1_30default_config_static_selectorELNS0_4arch9wavefront6targetE0EEEvT1_.uses_vcc, 0
	.set _ZN7rocprim17ROCPRIM_400000_NS6detail17trampoline_kernelINS0_14default_configENS1_25partition_config_selectorILNS1_17partition_subalgoE5EjNS0_10empty_typeEbEEZZNS1_14partition_implILS5_5ELb0ES3_mN6thrust23THRUST_200600_302600_NS6detail15normal_iteratorINSA_10device_ptrIjEEEEPS6_NSA_18transform_iteratorINSB_9not_fun_tI7is_trueIjEEESF_NSA_11use_defaultESM_EENS0_5tupleIJSF_S6_EEENSO_IJSG_SG_EEES6_PlJS6_EEE10hipError_tPvRmT3_T4_T5_T6_T7_T9_mT8_P12ihipStream_tbDpT10_ENKUlT_T0_E_clISt17integral_constantIbLb0EES1B_EEDaS16_S17_EUlS16_E_NS1_11comp_targetILNS1_3genE4ELNS1_11target_archE910ELNS1_3gpuE8ELNS1_3repE0EEENS1_30default_config_static_selectorELNS0_4arch9wavefront6targetE0EEEvT1_.uses_flat_scratch, 0
	.set _ZN7rocprim17ROCPRIM_400000_NS6detail17trampoline_kernelINS0_14default_configENS1_25partition_config_selectorILNS1_17partition_subalgoE5EjNS0_10empty_typeEbEEZZNS1_14partition_implILS5_5ELb0ES3_mN6thrust23THRUST_200600_302600_NS6detail15normal_iteratorINSA_10device_ptrIjEEEEPS6_NSA_18transform_iteratorINSB_9not_fun_tI7is_trueIjEEESF_NSA_11use_defaultESM_EENS0_5tupleIJSF_S6_EEENSO_IJSG_SG_EEES6_PlJS6_EEE10hipError_tPvRmT3_T4_T5_T6_T7_T9_mT8_P12ihipStream_tbDpT10_ENKUlT_T0_E_clISt17integral_constantIbLb0EES1B_EEDaS16_S17_EUlS16_E_NS1_11comp_targetILNS1_3genE4ELNS1_11target_archE910ELNS1_3gpuE8ELNS1_3repE0EEENS1_30default_config_static_selectorELNS0_4arch9wavefront6targetE0EEEvT1_.has_dyn_sized_stack, 0
	.set _ZN7rocprim17ROCPRIM_400000_NS6detail17trampoline_kernelINS0_14default_configENS1_25partition_config_selectorILNS1_17partition_subalgoE5EjNS0_10empty_typeEbEEZZNS1_14partition_implILS5_5ELb0ES3_mN6thrust23THRUST_200600_302600_NS6detail15normal_iteratorINSA_10device_ptrIjEEEEPS6_NSA_18transform_iteratorINSB_9not_fun_tI7is_trueIjEEESF_NSA_11use_defaultESM_EENS0_5tupleIJSF_S6_EEENSO_IJSG_SG_EEES6_PlJS6_EEE10hipError_tPvRmT3_T4_T5_T6_T7_T9_mT8_P12ihipStream_tbDpT10_ENKUlT_T0_E_clISt17integral_constantIbLb0EES1B_EEDaS16_S17_EUlS16_E_NS1_11comp_targetILNS1_3genE4ELNS1_11target_archE910ELNS1_3gpuE8ELNS1_3repE0EEENS1_30default_config_static_selectorELNS0_4arch9wavefront6targetE0EEEvT1_.has_recursion, 0
	.set _ZN7rocprim17ROCPRIM_400000_NS6detail17trampoline_kernelINS0_14default_configENS1_25partition_config_selectorILNS1_17partition_subalgoE5EjNS0_10empty_typeEbEEZZNS1_14partition_implILS5_5ELb0ES3_mN6thrust23THRUST_200600_302600_NS6detail15normal_iteratorINSA_10device_ptrIjEEEEPS6_NSA_18transform_iteratorINSB_9not_fun_tI7is_trueIjEEESF_NSA_11use_defaultESM_EENS0_5tupleIJSF_S6_EEENSO_IJSG_SG_EEES6_PlJS6_EEE10hipError_tPvRmT3_T4_T5_T6_T7_T9_mT8_P12ihipStream_tbDpT10_ENKUlT_T0_E_clISt17integral_constantIbLb0EES1B_EEDaS16_S17_EUlS16_E_NS1_11comp_targetILNS1_3genE4ELNS1_11target_archE910ELNS1_3gpuE8ELNS1_3repE0EEENS1_30default_config_static_selectorELNS0_4arch9wavefront6targetE0EEEvT1_.has_indirect_call, 0
	.section	.AMDGPU.csdata,"",@progbits
; Kernel info:
; codeLenInByte = 0
; TotalNumSgprs: 0
; NumVgprs: 0
; ScratchSize: 0
; MemoryBound: 0
; FloatMode: 240
; IeeeMode: 1
; LDSByteSize: 0 bytes/workgroup (compile time only)
; SGPRBlocks: 0
; VGPRBlocks: 0
; NumSGPRsForWavesPerEU: 1
; NumVGPRsForWavesPerEU: 1
; Occupancy: 16
; WaveLimiterHint : 0
; COMPUTE_PGM_RSRC2:SCRATCH_EN: 0
; COMPUTE_PGM_RSRC2:USER_SGPR: 2
; COMPUTE_PGM_RSRC2:TRAP_HANDLER: 0
; COMPUTE_PGM_RSRC2:TGID_X_EN: 1
; COMPUTE_PGM_RSRC2:TGID_Y_EN: 0
; COMPUTE_PGM_RSRC2:TGID_Z_EN: 0
; COMPUTE_PGM_RSRC2:TIDIG_COMP_CNT: 0
	.section	.text._ZN7rocprim17ROCPRIM_400000_NS6detail17trampoline_kernelINS0_14default_configENS1_25partition_config_selectorILNS1_17partition_subalgoE5EjNS0_10empty_typeEbEEZZNS1_14partition_implILS5_5ELb0ES3_mN6thrust23THRUST_200600_302600_NS6detail15normal_iteratorINSA_10device_ptrIjEEEEPS6_NSA_18transform_iteratorINSB_9not_fun_tI7is_trueIjEEESF_NSA_11use_defaultESM_EENS0_5tupleIJSF_S6_EEENSO_IJSG_SG_EEES6_PlJS6_EEE10hipError_tPvRmT3_T4_T5_T6_T7_T9_mT8_P12ihipStream_tbDpT10_ENKUlT_T0_E_clISt17integral_constantIbLb0EES1B_EEDaS16_S17_EUlS16_E_NS1_11comp_targetILNS1_3genE3ELNS1_11target_archE908ELNS1_3gpuE7ELNS1_3repE0EEENS1_30default_config_static_selectorELNS0_4arch9wavefront6targetE0EEEvT1_,"axG",@progbits,_ZN7rocprim17ROCPRIM_400000_NS6detail17trampoline_kernelINS0_14default_configENS1_25partition_config_selectorILNS1_17partition_subalgoE5EjNS0_10empty_typeEbEEZZNS1_14partition_implILS5_5ELb0ES3_mN6thrust23THRUST_200600_302600_NS6detail15normal_iteratorINSA_10device_ptrIjEEEEPS6_NSA_18transform_iteratorINSB_9not_fun_tI7is_trueIjEEESF_NSA_11use_defaultESM_EENS0_5tupleIJSF_S6_EEENSO_IJSG_SG_EEES6_PlJS6_EEE10hipError_tPvRmT3_T4_T5_T6_T7_T9_mT8_P12ihipStream_tbDpT10_ENKUlT_T0_E_clISt17integral_constantIbLb0EES1B_EEDaS16_S17_EUlS16_E_NS1_11comp_targetILNS1_3genE3ELNS1_11target_archE908ELNS1_3gpuE7ELNS1_3repE0EEENS1_30default_config_static_selectorELNS0_4arch9wavefront6targetE0EEEvT1_,comdat
	.protected	_ZN7rocprim17ROCPRIM_400000_NS6detail17trampoline_kernelINS0_14default_configENS1_25partition_config_selectorILNS1_17partition_subalgoE5EjNS0_10empty_typeEbEEZZNS1_14partition_implILS5_5ELb0ES3_mN6thrust23THRUST_200600_302600_NS6detail15normal_iteratorINSA_10device_ptrIjEEEEPS6_NSA_18transform_iteratorINSB_9not_fun_tI7is_trueIjEEESF_NSA_11use_defaultESM_EENS0_5tupleIJSF_S6_EEENSO_IJSG_SG_EEES6_PlJS6_EEE10hipError_tPvRmT3_T4_T5_T6_T7_T9_mT8_P12ihipStream_tbDpT10_ENKUlT_T0_E_clISt17integral_constantIbLb0EES1B_EEDaS16_S17_EUlS16_E_NS1_11comp_targetILNS1_3genE3ELNS1_11target_archE908ELNS1_3gpuE7ELNS1_3repE0EEENS1_30default_config_static_selectorELNS0_4arch9wavefront6targetE0EEEvT1_ ; -- Begin function _ZN7rocprim17ROCPRIM_400000_NS6detail17trampoline_kernelINS0_14default_configENS1_25partition_config_selectorILNS1_17partition_subalgoE5EjNS0_10empty_typeEbEEZZNS1_14partition_implILS5_5ELb0ES3_mN6thrust23THRUST_200600_302600_NS6detail15normal_iteratorINSA_10device_ptrIjEEEEPS6_NSA_18transform_iteratorINSB_9not_fun_tI7is_trueIjEEESF_NSA_11use_defaultESM_EENS0_5tupleIJSF_S6_EEENSO_IJSG_SG_EEES6_PlJS6_EEE10hipError_tPvRmT3_T4_T5_T6_T7_T9_mT8_P12ihipStream_tbDpT10_ENKUlT_T0_E_clISt17integral_constantIbLb0EES1B_EEDaS16_S17_EUlS16_E_NS1_11comp_targetILNS1_3genE3ELNS1_11target_archE908ELNS1_3gpuE7ELNS1_3repE0EEENS1_30default_config_static_selectorELNS0_4arch9wavefront6targetE0EEEvT1_
	.globl	_ZN7rocprim17ROCPRIM_400000_NS6detail17trampoline_kernelINS0_14default_configENS1_25partition_config_selectorILNS1_17partition_subalgoE5EjNS0_10empty_typeEbEEZZNS1_14partition_implILS5_5ELb0ES3_mN6thrust23THRUST_200600_302600_NS6detail15normal_iteratorINSA_10device_ptrIjEEEEPS6_NSA_18transform_iteratorINSB_9not_fun_tI7is_trueIjEEESF_NSA_11use_defaultESM_EENS0_5tupleIJSF_S6_EEENSO_IJSG_SG_EEES6_PlJS6_EEE10hipError_tPvRmT3_T4_T5_T6_T7_T9_mT8_P12ihipStream_tbDpT10_ENKUlT_T0_E_clISt17integral_constantIbLb0EES1B_EEDaS16_S17_EUlS16_E_NS1_11comp_targetILNS1_3genE3ELNS1_11target_archE908ELNS1_3gpuE7ELNS1_3repE0EEENS1_30default_config_static_selectorELNS0_4arch9wavefront6targetE0EEEvT1_
	.p2align	8
	.type	_ZN7rocprim17ROCPRIM_400000_NS6detail17trampoline_kernelINS0_14default_configENS1_25partition_config_selectorILNS1_17partition_subalgoE5EjNS0_10empty_typeEbEEZZNS1_14partition_implILS5_5ELb0ES3_mN6thrust23THRUST_200600_302600_NS6detail15normal_iteratorINSA_10device_ptrIjEEEEPS6_NSA_18transform_iteratorINSB_9not_fun_tI7is_trueIjEEESF_NSA_11use_defaultESM_EENS0_5tupleIJSF_S6_EEENSO_IJSG_SG_EEES6_PlJS6_EEE10hipError_tPvRmT3_T4_T5_T6_T7_T9_mT8_P12ihipStream_tbDpT10_ENKUlT_T0_E_clISt17integral_constantIbLb0EES1B_EEDaS16_S17_EUlS16_E_NS1_11comp_targetILNS1_3genE3ELNS1_11target_archE908ELNS1_3gpuE7ELNS1_3repE0EEENS1_30default_config_static_selectorELNS0_4arch9wavefront6targetE0EEEvT1_,@function
_ZN7rocprim17ROCPRIM_400000_NS6detail17trampoline_kernelINS0_14default_configENS1_25partition_config_selectorILNS1_17partition_subalgoE5EjNS0_10empty_typeEbEEZZNS1_14partition_implILS5_5ELb0ES3_mN6thrust23THRUST_200600_302600_NS6detail15normal_iteratorINSA_10device_ptrIjEEEEPS6_NSA_18transform_iteratorINSB_9not_fun_tI7is_trueIjEEESF_NSA_11use_defaultESM_EENS0_5tupleIJSF_S6_EEENSO_IJSG_SG_EEES6_PlJS6_EEE10hipError_tPvRmT3_T4_T5_T6_T7_T9_mT8_P12ihipStream_tbDpT10_ENKUlT_T0_E_clISt17integral_constantIbLb0EES1B_EEDaS16_S17_EUlS16_E_NS1_11comp_targetILNS1_3genE3ELNS1_11target_archE908ELNS1_3gpuE7ELNS1_3repE0EEENS1_30default_config_static_selectorELNS0_4arch9wavefront6targetE0EEEvT1_: ; @_ZN7rocprim17ROCPRIM_400000_NS6detail17trampoline_kernelINS0_14default_configENS1_25partition_config_selectorILNS1_17partition_subalgoE5EjNS0_10empty_typeEbEEZZNS1_14partition_implILS5_5ELb0ES3_mN6thrust23THRUST_200600_302600_NS6detail15normal_iteratorINSA_10device_ptrIjEEEEPS6_NSA_18transform_iteratorINSB_9not_fun_tI7is_trueIjEEESF_NSA_11use_defaultESM_EENS0_5tupleIJSF_S6_EEENSO_IJSG_SG_EEES6_PlJS6_EEE10hipError_tPvRmT3_T4_T5_T6_T7_T9_mT8_P12ihipStream_tbDpT10_ENKUlT_T0_E_clISt17integral_constantIbLb0EES1B_EEDaS16_S17_EUlS16_E_NS1_11comp_targetILNS1_3genE3ELNS1_11target_archE908ELNS1_3gpuE7ELNS1_3repE0EEENS1_30default_config_static_selectorELNS0_4arch9wavefront6targetE0EEEvT1_
; %bb.0:
	.section	.rodata,"a",@progbits
	.p2align	6, 0x0
	.amdhsa_kernel _ZN7rocprim17ROCPRIM_400000_NS6detail17trampoline_kernelINS0_14default_configENS1_25partition_config_selectorILNS1_17partition_subalgoE5EjNS0_10empty_typeEbEEZZNS1_14partition_implILS5_5ELb0ES3_mN6thrust23THRUST_200600_302600_NS6detail15normal_iteratorINSA_10device_ptrIjEEEEPS6_NSA_18transform_iteratorINSB_9not_fun_tI7is_trueIjEEESF_NSA_11use_defaultESM_EENS0_5tupleIJSF_S6_EEENSO_IJSG_SG_EEES6_PlJS6_EEE10hipError_tPvRmT3_T4_T5_T6_T7_T9_mT8_P12ihipStream_tbDpT10_ENKUlT_T0_E_clISt17integral_constantIbLb0EES1B_EEDaS16_S17_EUlS16_E_NS1_11comp_targetILNS1_3genE3ELNS1_11target_archE908ELNS1_3gpuE7ELNS1_3repE0EEENS1_30default_config_static_selectorELNS0_4arch9wavefront6targetE0EEEvT1_
		.amdhsa_group_segment_fixed_size 0
		.amdhsa_private_segment_fixed_size 0
		.amdhsa_kernarg_size 120
		.amdhsa_user_sgpr_count 2
		.amdhsa_user_sgpr_dispatch_ptr 0
		.amdhsa_user_sgpr_queue_ptr 0
		.amdhsa_user_sgpr_kernarg_segment_ptr 1
		.amdhsa_user_sgpr_dispatch_id 0
		.amdhsa_user_sgpr_private_segment_size 0
		.amdhsa_wavefront_size32 1
		.amdhsa_uses_dynamic_stack 0
		.amdhsa_enable_private_segment 0
		.amdhsa_system_sgpr_workgroup_id_x 1
		.amdhsa_system_sgpr_workgroup_id_y 0
		.amdhsa_system_sgpr_workgroup_id_z 0
		.amdhsa_system_sgpr_workgroup_info 0
		.amdhsa_system_vgpr_workitem_id 0
		.amdhsa_next_free_vgpr 1
		.amdhsa_next_free_sgpr 1
		.amdhsa_reserve_vcc 0
		.amdhsa_float_round_mode_32 0
		.amdhsa_float_round_mode_16_64 0
		.amdhsa_float_denorm_mode_32 3
		.amdhsa_float_denorm_mode_16_64 3
		.amdhsa_fp16_overflow 0
		.amdhsa_workgroup_processor_mode 1
		.amdhsa_memory_ordered 1
		.amdhsa_forward_progress 1
		.amdhsa_inst_pref_size 0
		.amdhsa_round_robin_scheduling 0
		.amdhsa_exception_fp_ieee_invalid_op 0
		.amdhsa_exception_fp_denorm_src 0
		.amdhsa_exception_fp_ieee_div_zero 0
		.amdhsa_exception_fp_ieee_overflow 0
		.amdhsa_exception_fp_ieee_underflow 0
		.amdhsa_exception_fp_ieee_inexact 0
		.amdhsa_exception_int_div_zero 0
	.end_amdhsa_kernel
	.section	.text._ZN7rocprim17ROCPRIM_400000_NS6detail17trampoline_kernelINS0_14default_configENS1_25partition_config_selectorILNS1_17partition_subalgoE5EjNS0_10empty_typeEbEEZZNS1_14partition_implILS5_5ELb0ES3_mN6thrust23THRUST_200600_302600_NS6detail15normal_iteratorINSA_10device_ptrIjEEEEPS6_NSA_18transform_iteratorINSB_9not_fun_tI7is_trueIjEEESF_NSA_11use_defaultESM_EENS0_5tupleIJSF_S6_EEENSO_IJSG_SG_EEES6_PlJS6_EEE10hipError_tPvRmT3_T4_T5_T6_T7_T9_mT8_P12ihipStream_tbDpT10_ENKUlT_T0_E_clISt17integral_constantIbLb0EES1B_EEDaS16_S17_EUlS16_E_NS1_11comp_targetILNS1_3genE3ELNS1_11target_archE908ELNS1_3gpuE7ELNS1_3repE0EEENS1_30default_config_static_selectorELNS0_4arch9wavefront6targetE0EEEvT1_,"axG",@progbits,_ZN7rocprim17ROCPRIM_400000_NS6detail17trampoline_kernelINS0_14default_configENS1_25partition_config_selectorILNS1_17partition_subalgoE5EjNS0_10empty_typeEbEEZZNS1_14partition_implILS5_5ELb0ES3_mN6thrust23THRUST_200600_302600_NS6detail15normal_iteratorINSA_10device_ptrIjEEEEPS6_NSA_18transform_iteratorINSB_9not_fun_tI7is_trueIjEEESF_NSA_11use_defaultESM_EENS0_5tupleIJSF_S6_EEENSO_IJSG_SG_EEES6_PlJS6_EEE10hipError_tPvRmT3_T4_T5_T6_T7_T9_mT8_P12ihipStream_tbDpT10_ENKUlT_T0_E_clISt17integral_constantIbLb0EES1B_EEDaS16_S17_EUlS16_E_NS1_11comp_targetILNS1_3genE3ELNS1_11target_archE908ELNS1_3gpuE7ELNS1_3repE0EEENS1_30default_config_static_selectorELNS0_4arch9wavefront6targetE0EEEvT1_,comdat
.Lfunc_end1404:
	.size	_ZN7rocprim17ROCPRIM_400000_NS6detail17trampoline_kernelINS0_14default_configENS1_25partition_config_selectorILNS1_17partition_subalgoE5EjNS0_10empty_typeEbEEZZNS1_14partition_implILS5_5ELb0ES3_mN6thrust23THRUST_200600_302600_NS6detail15normal_iteratorINSA_10device_ptrIjEEEEPS6_NSA_18transform_iteratorINSB_9not_fun_tI7is_trueIjEEESF_NSA_11use_defaultESM_EENS0_5tupleIJSF_S6_EEENSO_IJSG_SG_EEES6_PlJS6_EEE10hipError_tPvRmT3_T4_T5_T6_T7_T9_mT8_P12ihipStream_tbDpT10_ENKUlT_T0_E_clISt17integral_constantIbLb0EES1B_EEDaS16_S17_EUlS16_E_NS1_11comp_targetILNS1_3genE3ELNS1_11target_archE908ELNS1_3gpuE7ELNS1_3repE0EEENS1_30default_config_static_selectorELNS0_4arch9wavefront6targetE0EEEvT1_, .Lfunc_end1404-_ZN7rocprim17ROCPRIM_400000_NS6detail17trampoline_kernelINS0_14default_configENS1_25partition_config_selectorILNS1_17partition_subalgoE5EjNS0_10empty_typeEbEEZZNS1_14partition_implILS5_5ELb0ES3_mN6thrust23THRUST_200600_302600_NS6detail15normal_iteratorINSA_10device_ptrIjEEEEPS6_NSA_18transform_iteratorINSB_9not_fun_tI7is_trueIjEEESF_NSA_11use_defaultESM_EENS0_5tupleIJSF_S6_EEENSO_IJSG_SG_EEES6_PlJS6_EEE10hipError_tPvRmT3_T4_T5_T6_T7_T9_mT8_P12ihipStream_tbDpT10_ENKUlT_T0_E_clISt17integral_constantIbLb0EES1B_EEDaS16_S17_EUlS16_E_NS1_11comp_targetILNS1_3genE3ELNS1_11target_archE908ELNS1_3gpuE7ELNS1_3repE0EEENS1_30default_config_static_selectorELNS0_4arch9wavefront6targetE0EEEvT1_
                                        ; -- End function
	.set _ZN7rocprim17ROCPRIM_400000_NS6detail17trampoline_kernelINS0_14default_configENS1_25partition_config_selectorILNS1_17partition_subalgoE5EjNS0_10empty_typeEbEEZZNS1_14partition_implILS5_5ELb0ES3_mN6thrust23THRUST_200600_302600_NS6detail15normal_iteratorINSA_10device_ptrIjEEEEPS6_NSA_18transform_iteratorINSB_9not_fun_tI7is_trueIjEEESF_NSA_11use_defaultESM_EENS0_5tupleIJSF_S6_EEENSO_IJSG_SG_EEES6_PlJS6_EEE10hipError_tPvRmT3_T4_T5_T6_T7_T9_mT8_P12ihipStream_tbDpT10_ENKUlT_T0_E_clISt17integral_constantIbLb0EES1B_EEDaS16_S17_EUlS16_E_NS1_11comp_targetILNS1_3genE3ELNS1_11target_archE908ELNS1_3gpuE7ELNS1_3repE0EEENS1_30default_config_static_selectorELNS0_4arch9wavefront6targetE0EEEvT1_.num_vgpr, 0
	.set _ZN7rocprim17ROCPRIM_400000_NS6detail17trampoline_kernelINS0_14default_configENS1_25partition_config_selectorILNS1_17partition_subalgoE5EjNS0_10empty_typeEbEEZZNS1_14partition_implILS5_5ELb0ES3_mN6thrust23THRUST_200600_302600_NS6detail15normal_iteratorINSA_10device_ptrIjEEEEPS6_NSA_18transform_iteratorINSB_9not_fun_tI7is_trueIjEEESF_NSA_11use_defaultESM_EENS0_5tupleIJSF_S6_EEENSO_IJSG_SG_EEES6_PlJS6_EEE10hipError_tPvRmT3_T4_T5_T6_T7_T9_mT8_P12ihipStream_tbDpT10_ENKUlT_T0_E_clISt17integral_constantIbLb0EES1B_EEDaS16_S17_EUlS16_E_NS1_11comp_targetILNS1_3genE3ELNS1_11target_archE908ELNS1_3gpuE7ELNS1_3repE0EEENS1_30default_config_static_selectorELNS0_4arch9wavefront6targetE0EEEvT1_.num_agpr, 0
	.set _ZN7rocprim17ROCPRIM_400000_NS6detail17trampoline_kernelINS0_14default_configENS1_25partition_config_selectorILNS1_17partition_subalgoE5EjNS0_10empty_typeEbEEZZNS1_14partition_implILS5_5ELb0ES3_mN6thrust23THRUST_200600_302600_NS6detail15normal_iteratorINSA_10device_ptrIjEEEEPS6_NSA_18transform_iteratorINSB_9not_fun_tI7is_trueIjEEESF_NSA_11use_defaultESM_EENS0_5tupleIJSF_S6_EEENSO_IJSG_SG_EEES6_PlJS6_EEE10hipError_tPvRmT3_T4_T5_T6_T7_T9_mT8_P12ihipStream_tbDpT10_ENKUlT_T0_E_clISt17integral_constantIbLb0EES1B_EEDaS16_S17_EUlS16_E_NS1_11comp_targetILNS1_3genE3ELNS1_11target_archE908ELNS1_3gpuE7ELNS1_3repE0EEENS1_30default_config_static_selectorELNS0_4arch9wavefront6targetE0EEEvT1_.numbered_sgpr, 0
	.set _ZN7rocprim17ROCPRIM_400000_NS6detail17trampoline_kernelINS0_14default_configENS1_25partition_config_selectorILNS1_17partition_subalgoE5EjNS0_10empty_typeEbEEZZNS1_14partition_implILS5_5ELb0ES3_mN6thrust23THRUST_200600_302600_NS6detail15normal_iteratorINSA_10device_ptrIjEEEEPS6_NSA_18transform_iteratorINSB_9not_fun_tI7is_trueIjEEESF_NSA_11use_defaultESM_EENS0_5tupleIJSF_S6_EEENSO_IJSG_SG_EEES6_PlJS6_EEE10hipError_tPvRmT3_T4_T5_T6_T7_T9_mT8_P12ihipStream_tbDpT10_ENKUlT_T0_E_clISt17integral_constantIbLb0EES1B_EEDaS16_S17_EUlS16_E_NS1_11comp_targetILNS1_3genE3ELNS1_11target_archE908ELNS1_3gpuE7ELNS1_3repE0EEENS1_30default_config_static_selectorELNS0_4arch9wavefront6targetE0EEEvT1_.num_named_barrier, 0
	.set _ZN7rocprim17ROCPRIM_400000_NS6detail17trampoline_kernelINS0_14default_configENS1_25partition_config_selectorILNS1_17partition_subalgoE5EjNS0_10empty_typeEbEEZZNS1_14partition_implILS5_5ELb0ES3_mN6thrust23THRUST_200600_302600_NS6detail15normal_iteratorINSA_10device_ptrIjEEEEPS6_NSA_18transform_iteratorINSB_9not_fun_tI7is_trueIjEEESF_NSA_11use_defaultESM_EENS0_5tupleIJSF_S6_EEENSO_IJSG_SG_EEES6_PlJS6_EEE10hipError_tPvRmT3_T4_T5_T6_T7_T9_mT8_P12ihipStream_tbDpT10_ENKUlT_T0_E_clISt17integral_constantIbLb0EES1B_EEDaS16_S17_EUlS16_E_NS1_11comp_targetILNS1_3genE3ELNS1_11target_archE908ELNS1_3gpuE7ELNS1_3repE0EEENS1_30default_config_static_selectorELNS0_4arch9wavefront6targetE0EEEvT1_.private_seg_size, 0
	.set _ZN7rocprim17ROCPRIM_400000_NS6detail17trampoline_kernelINS0_14default_configENS1_25partition_config_selectorILNS1_17partition_subalgoE5EjNS0_10empty_typeEbEEZZNS1_14partition_implILS5_5ELb0ES3_mN6thrust23THRUST_200600_302600_NS6detail15normal_iteratorINSA_10device_ptrIjEEEEPS6_NSA_18transform_iteratorINSB_9not_fun_tI7is_trueIjEEESF_NSA_11use_defaultESM_EENS0_5tupleIJSF_S6_EEENSO_IJSG_SG_EEES6_PlJS6_EEE10hipError_tPvRmT3_T4_T5_T6_T7_T9_mT8_P12ihipStream_tbDpT10_ENKUlT_T0_E_clISt17integral_constantIbLb0EES1B_EEDaS16_S17_EUlS16_E_NS1_11comp_targetILNS1_3genE3ELNS1_11target_archE908ELNS1_3gpuE7ELNS1_3repE0EEENS1_30default_config_static_selectorELNS0_4arch9wavefront6targetE0EEEvT1_.uses_vcc, 0
	.set _ZN7rocprim17ROCPRIM_400000_NS6detail17trampoline_kernelINS0_14default_configENS1_25partition_config_selectorILNS1_17partition_subalgoE5EjNS0_10empty_typeEbEEZZNS1_14partition_implILS5_5ELb0ES3_mN6thrust23THRUST_200600_302600_NS6detail15normal_iteratorINSA_10device_ptrIjEEEEPS6_NSA_18transform_iteratorINSB_9not_fun_tI7is_trueIjEEESF_NSA_11use_defaultESM_EENS0_5tupleIJSF_S6_EEENSO_IJSG_SG_EEES6_PlJS6_EEE10hipError_tPvRmT3_T4_T5_T6_T7_T9_mT8_P12ihipStream_tbDpT10_ENKUlT_T0_E_clISt17integral_constantIbLb0EES1B_EEDaS16_S17_EUlS16_E_NS1_11comp_targetILNS1_3genE3ELNS1_11target_archE908ELNS1_3gpuE7ELNS1_3repE0EEENS1_30default_config_static_selectorELNS0_4arch9wavefront6targetE0EEEvT1_.uses_flat_scratch, 0
	.set _ZN7rocprim17ROCPRIM_400000_NS6detail17trampoline_kernelINS0_14default_configENS1_25partition_config_selectorILNS1_17partition_subalgoE5EjNS0_10empty_typeEbEEZZNS1_14partition_implILS5_5ELb0ES3_mN6thrust23THRUST_200600_302600_NS6detail15normal_iteratorINSA_10device_ptrIjEEEEPS6_NSA_18transform_iteratorINSB_9not_fun_tI7is_trueIjEEESF_NSA_11use_defaultESM_EENS0_5tupleIJSF_S6_EEENSO_IJSG_SG_EEES6_PlJS6_EEE10hipError_tPvRmT3_T4_T5_T6_T7_T9_mT8_P12ihipStream_tbDpT10_ENKUlT_T0_E_clISt17integral_constantIbLb0EES1B_EEDaS16_S17_EUlS16_E_NS1_11comp_targetILNS1_3genE3ELNS1_11target_archE908ELNS1_3gpuE7ELNS1_3repE0EEENS1_30default_config_static_selectorELNS0_4arch9wavefront6targetE0EEEvT1_.has_dyn_sized_stack, 0
	.set _ZN7rocprim17ROCPRIM_400000_NS6detail17trampoline_kernelINS0_14default_configENS1_25partition_config_selectorILNS1_17partition_subalgoE5EjNS0_10empty_typeEbEEZZNS1_14partition_implILS5_5ELb0ES3_mN6thrust23THRUST_200600_302600_NS6detail15normal_iteratorINSA_10device_ptrIjEEEEPS6_NSA_18transform_iteratorINSB_9not_fun_tI7is_trueIjEEESF_NSA_11use_defaultESM_EENS0_5tupleIJSF_S6_EEENSO_IJSG_SG_EEES6_PlJS6_EEE10hipError_tPvRmT3_T4_T5_T6_T7_T9_mT8_P12ihipStream_tbDpT10_ENKUlT_T0_E_clISt17integral_constantIbLb0EES1B_EEDaS16_S17_EUlS16_E_NS1_11comp_targetILNS1_3genE3ELNS1_11target_archE908ELNS1_3gpuE7ELNS1_3repE0EEENS1_30default_config_static_selectorELNS0_4arch9wavefront6targetE0EEEvT1_.has_recursion, 0
	.set _ZN7rocprim17ROCPRIM_400000_NS6detail17trampoline_kernelINS0_14default_configENS1_25partition_config_selectorILNS1_17partition_subalgoE5EjNS0_10empty_typeEbEEZZNS1_14partition_implILS5_5ELb0ES3_mN6thrust23THRUST_200600_302600_NS6detail15normal_iteratorINSA_10device_ptrIjEEEEPS6_NSA_18transform_iteratorINSB_9not_fun_tI7is_trueIjEEESF_NSA_11use_defaultESM_EENS0_5tupleIJSF_S6_EEENSO_IJSG_SG_EEES6_PlJS6_EEE10hipError_tPvRmT3_T4_T5_T6_T7_T9_mT8_P12ihipStream_tbDpT10_ENKUlT_T0_E_clISt17integral_constantIbLb0EES1B_EEDaS16_S17_EUlS16_E_NS1_11comp_targetILNS1_3genE3ELNS1_11target_archE908ELNS1_3gpuE7ELNS1_3repE0EEENS1_30default_config_static_selectorELNS0_4arch9wavefront6targetE0EEEvT1_.has_indirect_call, 0
	.section	.AMDGPU.csdata,"",@progbits
; Kernel info:
; codeLenInByte = 0
; TotalNumSgprs: 0
; NumVgprs: 0
; ScratchSize: 0
; MemoryBound: 0
; FloatMode: 240
; IeeeMode: 1
; LDSByteSize: 0 bytes/workgroup (compile time only)
; SGPRBlocks: 0
; VGPRBlocks: 0
; NumSGPRsForWavesPerEU: 1
; NumVGPRsForWavesPerEU: 1
; Occupancy: 16
; WaveLimiterHint : 0
; COMPUTE_PGM_RSRC2:SCRATCH_EN: 0
; COMPUTE_PGM_RSRC2:USER_SGPR: 2
; COMPUTE_PGM_RSRC2:TRAP_HANDLER: 0
; COMPUTE_PGM_RSRC2:TGID_X_EN: 1
; COMPUTE_PGM_RSRC2:TGID_Y_EN: 0
; COMPUTE_PGM_RSRC2:TGID_Z_EN: 0
; COMPUTE_PGM_RSRC2:TIDIG_COMP_CNT: 0
	.section	.text._ZN7rocprim17ROCPRIM_400000_NS6detail17trampoline_kernelINS0_14default_configENS1_25partition_config_selectorILNS1_17partition_subalgoE5EjNS0_10empty_typeEbEEZZNS1_14partition_implILS5_5ELb0ES3_mN6thrust23THRUST_200600_302600_NS6detail15normal_iteratorINSA_10device_ptrIjEEEEPS6_NSA_18transform_iteratorINSB_9not_fun_tI7is_trueIjEEESF_NSA_11use_defaultESM_EENS0_5tupleIJSF_S6_EEENSO_IJSG_SG_EEES6_PlJS6_EEE10hipError_tPvRmT3_T4_T5_T6_T7_T9_mT8_P12ihipStream_tbDpT10_ENKUlT_T0_E_clISt17integral_constantIbLb0EES1B_EEDaS16_S17_EUlS16_E_NS1_11comp_targetILNS1_3genE2ELNS1_11target_archE906ELNS1_3gpuE6ELNS1_3repE0EEENS1_30default_config_static_selectorELNS0_4arch9wavefront6targetE0EEEvT1_,"axG",@progbits,_ZN7rocprim17ROCPRIM_400000_NS6detail17trampoline_kernelINS0_14default_configENS1_25partition_config_selectorILNS1_17partition_subalgoE5EjNS0_10empty_typeEbEEZZNS1_14partition_implILS5_5ELb0ES3_mN6thrust23THRUST_200600_302600_NS6detail15normal_iteratorINSA_10device_ptrIjEEEEPS6_NSA_18transform_iteratorINSB_9not_fun_tI7is_trueIjEEESF_NSA_11use_defaultESM_EENS0_5tupleIJSF_S6_EEENSO_IJSG_SG_EEES6_PlJS6_EEE10hipError_tPvRmT3_T4_T5_T6_T7_T9_mT8_P12ihipStream_tbDpT10_ENKUlT_T0_E_clISt17integral_constantIbLb0EES1B_EEDaS16_S17_EUlS16_E_NS1_11comp_targetILNS1_3genE2ELNS1_11target_archE906ELNS1_3gpuE6ELNS1_3repE0EEENS1_30default_config_static_selectorELNS0_4arch9wavefront6targetE0EEEvT1_,comdat
	.protected	_ZN7rocprim17ROCPRIM_400000_NS6detail17trampoline_kernelINS0_14default_configENS1_25partition_config_selectorILNS1_17partition_subalgoE5EjNS0_10empty_typeEbEEZZNS1_14partition_implILS5_5ELb0ES3_mN6thrust23THRUST_200600_302600_NS6detail15normal_iteratorINSA_10device_ptrIjEEEEPS6_NSA_18transform_iteratorINSB_9not_fun_tI7is_trueIjEEESF_NSA_11use_defaultESM_EENS0_5tupleIJSF_S6_EEENSO_IJSG_SG_EEES6_PlJS6_EEE10hipError_tPvRmT3_T4_T5_T6_T7_T9_mT8_P12ihipStream_tbDpT10_ENKUlT_T0_E_clISt17integral_constantIbLb0EES1B_EEDaS16_S17_EUlS16_E_NS1_11comp_targetILNS1_3genE2ELNS1_11target_archE906ELNS1_3gpuE6ELNS1_3repE0EEENS1_30default_config_static_selectorELNS0_4arch9wavefront6targetE0EEEvT1_ ; -- Begin function _ZN7rocprim17ROCPRIM_400000_NS6detail17trampoline_kernelINS0_14default_configENS1_25partition_config_selectorILNS1_17partition_subalgoE5EjNS0_10empty_typeEbEEZZNS1_14partition_implILS5_5ELb0ES3_mN6thrust23THRUST_200600_302600_NS6detail15normal_iteratorINSA_10device_ptrIjEEEEPS6_NSA_18transform_iteratorINSB_9not_fun_tI7is_trueIjEEESF_NSA_11use_defaultESM_EENS0_5tupleIJSF_S6_EEENSO_IJSG_SG_EEES6_PlJS6_EEE10hipError_tPvRmT3_T4_T5_T6_T7_T9_mT8_P12ihipStream_tbDpT10_ENKUlT_T0_E_clISt17integral_constantIbLb0EES1B_EEDaS16_S17_EUlS16_E_NS1_11comp_targetILNS1_3genE2ELNS1_11target_archE906ELNS1_3gpuE6ELNS1_3repE0EEENS1_30default_config_static_selectorELNS0_4arch9wavefront6targetE0EEEvT1_
	.globl	_ZN7rocprim17ROCPRIM_400000_NS6detail17trampoline_kernelINS0_14default_configENS1_25partition_config_selectorILNS1_17partition_subalgoE5EjNS0_10empty_typeEbEEZZNS1_14partition_implILS5_5ELb0ES3_mN6thrust23THRUST_200600_302600_NS6detail15normal_iteratorINSA_10device_ptrIjEEEEPS6_NSA_18transform_iteratorINSB_9not_fun_tI7is_trueIjEEESF_NSA_11use_defaultESM_EENS0_5tupleIJSF_S6_EEENSO_IJSG_SG_EEES6_PlJS6_EEE10hipError_tPvRmT3_T4_T5_T6_T7_T9_mT8_P12ihipStream_tbDpT10_ENKUlT_T0_E_clISt17integral_constantIbLb0EES1B_EEDaS16_S17_EUlS16_E_NS1_11comp_targetILNS1_3genE2ELNS1_11target_archE906ELNS1_3gpuE6ELNS1_3repE0EEENS1_30default_config_static_selectorELNS0_4arch9wavefront6targetE0EEEvT1_
	.p2align	8
	.type	_ZN7rocprim17ROCPRIM_400000_NS6detail17trampoline_kernelINS0_14default_configENS1_25partition_config_selectorILNS1_17partition_subalgoE5EjNS0_10empty_typeEbEEZZNS1_14partition_implILS5_5ELb0ES3_mN6thrust23THRUST_200600_302600_NS6detail15normal_iteratorINSA_10device_ptrIjEEEEPS6_NSA_18transform_iteratorINSB_9not_fun_tI7is_trueIjEEESF_NSA_11use_defaultESM_EENS0_5tupleIJSF_S6_EEENSO_IJSG_SG_EEES6_PlJS6_EEE10hipError_tPvRmT3_T4_T5_T6_T7_T9_mT8_P12ihipStream_tbDpT10_ENKUlT_T0_E_clISt17integral_constantIbLb0EES1B_EEDaS16_S17_EUlS16_E_NS1_11comp_targetILNS1_3genE2ELNS1_11target_archE906ELNS1_3gpuE6ELNS1_3repE0EEENS1_30default_config_static_selectorELNS0_4arch9wavefront6targetE0EEEvT1_,@function
_ZN7rocprim17ROCPRIM_400000_NS6detail17trampoline_kernelINS0_14default_configENS1_25partition_config_selectorILNS1_17partition_subalgoE5EjNS0_10empty_typeEbEEZZNS1_14partition_implILS5_5ELb0ES3_mN6thrust23THRUST_200600_302600_NS6detail15normal_iteratorINSA_10device_ptrIjEEEEPS6_NSA_18transform_iteratorINSB_9not_fun_tI7is_trueIjEEESF_NSA_11use_defaultESM_EENS0_5tupleIJSF_S6_EEENSO_IJSG_SG_EEES6_PlJS6_EEE10hipError_tPvRmT3_T4_T5_T6_T7_T9_mT8_P12ihipStream_tbDpT10_ENKUlT_T0_E_clISt17integral_constantIbLb0EES1B_EEDaS16_S17_EUlS16_E_NS1_11comp_targetILNS1_3genE2ELNS1_11target_archE906ELNS1_3gpuE6ELNS1_3repE0EEENS1_30default_config_static_selectorELNS0_4arch9wavefront6targetE0EEEvT1_: ; @_ZN7rocprim17ROCPRIM_400000_NS6detail17trampoline_kernelINS0_14default_configENS1_25partition_config_selectorILNS1_17partition_subalgoE5EjNS0_10empty_typeEbEEZZNS1_14partition_implILS5_5ELb0ES3_mN6thrust23THRUST_200600_302600_NS6detail15normal_iteratorINSA_10device_ptrIjEEEEPS6_NSA_18transform_iteratorINSB_9not_fun_tI7is_trueIjEEESF_NSA_11use_defaultESM_EENS0_5tupleIJSF_S6_EEENSO_IJSG_SG_EEES6_PlJS6_EEE10hipError_tPvRmT3_T4_T5_T6_T7_T9_mT8_P12ihipStream_tbDpT10_ENKUlT_T0_E_clISt17integral_constantIbLb0EES1B_EEDaS16_S17_EUlS16_E_NS1_11comp_targetILNS1_3genE2ELNS1_11target_archE906ELNS1_3gpuE6ELNS1_3repE0EEENS1_30default_config_static_selectorELNS0_4arch9wavefront6targetE0EEEvT1_
; %bb.0:
	.section	.rodata,"a",@progbits
	.p2align	6, 0x0
	.amdhsa_kernel _ZN7rocprim17ROCPRIM_400000_NS6detail17trampoline_kernelINS0_14default_configENS1_25partition_config_selectorILNS1_17partition_subalgoE5EjNS0_10empty_typeEbEEZZNS1_14partition_implILS5_5ELb0ES3_mN6thrust23THRUST_200600_302600_NS6detail15normal_iteratorINSA_10device_ptrIjEEEEPS6_NSA_18transform_iteratorINSB_9not_fun_tI7is_trueIjEEESF_NSA_11use_defaultESM_EENS0_5tupleIJSF_S6_EEENSO_IJSG_SG_EEES6_PlJS6_EEE10hipError_tPvRmT3_T4_T5_T6_T7_T9_mT8_P12ihipStream_tbDpT10_ENKUlT_T0_E_clISt17integral_constantIbLb0EES1B_EEDaS16_S17_EUlS16_E_NS1_11comp_targetILNS1_3genE2ELNS1_11target_archE906ELNS1_3gpuE6ELNS1_3repE0EEENS1_30default_config_static_selectorELNS0_4arch9wavefront6targetE0EEEvT1_
		.amdhsa_group_segment_fixed_size 0
		.amdhsa_private_segment_fixed_size 0
		.amdhsa_kernarg_size 120
		.amdhsa_user_sgpr_count 2
		.amdhsa_user_sgpr_dispatch_ptr 0
		.amdhsa_user_sgpr_queue_ptr 0
		.amdhsa_user_sgpr_kernarg_segment_ptr 1
		.amdhsa_user_sgpr_dispatch_id 0
		.amdhsa_user_sgpr_private_segment_size 0
		.amdhsa_wavefront_size32 1
		.amdhsa_uses_dynamic_stack 0
		.amdhsa_enable_private_segment 0
		.amdhsa_system_sgpr_workgroup_id_x 1
		.amdhsa_system_sgpr_workgroup_id_y 0
		.amdhsa_system_sgpr_workgroup_id_z 0
		.amdhsa_system_sgpr_workgroup_info 0
		.amdhsa_system_vgpr_workitem_id 0
		.amdhsa_next_free_vgpr 1
		.amdhsa_next_free_sgpr 1
		.amdhsa_reserve_vcc 0
		.amdhsa_float_round_mode_32 0
		.amdhsa_float_round_mode_16_64 0
		.amdhsa_float_denorm_mode_32 3
		.amdhsa_float_denorm_mode_16_64 3
		.amdhsa_fp16_overflow 0
		.amdhsa_workgroup_processor_mode 1
		.amdhsa_memory_ordered 1
		.amdhsa_forward_progress 1
		.amdhsa_inst_pref_size 0
		.amdhsa_round_robin_scheduling 0
		.amdhsa_exception_fp_ieee_invalid_op 0
		.amdhsa_exception_fp_denorm_src 0
		.amdhsa_exception_fp_ieee_div_zero 0
		.amdhsa_exception_fp_ieee_overflow 0
		.amdhsa_exception_fp_ieee_underflow 0
		.amdhsa_exception_fp_ieee_inexact 0
		.amdhsa_exception_int_div_zero 0
	.end_amdhsa_kernel
	.section	.text._ZN7rocprim17ROCPRIM_400000_NS6detail17trampoline_kernelINS0_14default_configENS1_25partition_config_selectorILNS1_17partition_subalgoE5EjNS0_10empty_typeEbEEZZNS1_14partition_implILS5_5ELb0ES3_mN6thrust23THRUST_200600_302600_NS6detail15normal_iteratorINSA_10device_ptrIjEEEEPS6_NSA_18transform_iteratorINSB_9not_fun_tI7is_trueIjEEESF_NSA_11use_defaultESM_EENS0_5tupleIJSF_S6_EEENSO_IJSG_SG_EEES6_PlJS6_EEE10hipError_tPvRmT3_T4_T5_T6_T7_T9_mT8_P12ihipStream_tbDpT10_ENKUlT_T0_E_clISt17integral_constantIbLb0EES1B_EEDaS16_S17_EUlS16_E_NS1_11comp_targetILNS1_3genE2ELNS1_11target_archE906ELNS1_3gpuE6ELNS1_3repE0EEENS1_30default_config_static_selectorELNS0_4arch9wavefront6targetE0EEEvT1_,"axG",@progbits,_ZN7rocprim17ROCPRIM_400000_NS6detail17trampoline_kernelINS0_14default_configENS1_25partition_config_selectorILNS1_17partition_subalgoE5EjNS0_10empty_typeEbEEZZNS1_14partition_implILS5_5ELb0ES3_mN6thrust23THRUST_200600_302600_NS6detail15normal_iteratorINSA_10device_ptrIjEEEEPS6_NSA_18transform_iteratorINSB_9not_fun_tI7is_trueIjEEESF_NSA_11use_defaultESM_EENS0_5tupleIJSF_S6_EEENSO_IJSG_SG_EEES6_PlJS6_EEE10hipError_tPvRmT3_T4_T5_T6_T7_T9_mT8_P12ihipStream_tbDpT10_ENKUlT_T0_E_clISt17integral_constantIbLb0EES1B_EEDaS16_S17_EUlS16_E_NS1_11comp_targetILNS1_3genE2ELNS1_11target_archE906ELNS1_3gpuE6ELNS1_3repE0EEENS1_30default_config_static_selectorELNS0_4arch9wavefront6targetE0EEEvT1_,comdat
.Lfunc_end1405:
	.size	_ZN7rocprim17ROCPRIM_400000_NS6detail17trampoline_kernelINS0_14default_configENS1_25partition_config_selectorILNS1_17partition_subalgoE5EjNS0_10empty_typeEbEEZZNS1_14partition_implILS5_5ELb0ES3_mN6thrust23THRUST_200600_302600_NS6detail15normal_iteratorINSA_10device_ptrIjEEEEPS6_NSA_18transform_iteratorINSB_9not_fun_tI7is_trueIjEEESF_NSA_11use_defaultESM_EENS0_5tupleIJSF_S6_EEENSO_IJSG_SG_EEES6_PlJS6_EEE10hipError_tPvRmT3_T4_T5_T6_T7_T9_mT8_P12ihipStream_tbDpT10_ENKUlT_T0_E_clISt17integral_constantIbLb0EES1B_EEDaS16_S17_EUlS16_E_NS1_11comp_targetILNS1_3genE2ELNS1_11target_archE906ELNS1_3gpuE6ELNS1_3repE0EEENS1_30default_config_static_selectorELNS0_4arch9wavefront6targetE0EEEvT1_, .Lfunc_end1405-_ZN7rocprim17ROCPRIM_400000_NS6detail17trampoline_kernelINS0_14default_configENS1_25partition_config_selectorILNS1_17partition_subalgoE5EjNS0_10empty_typeEbEEZZNS1_14partition_implILS5_5ELb0ES3_mN6thrust23THRUST_200600_302600_NS6detail15normal_iteratorINSA_10device_ptrIjEEEEPS6_NSA_18transform_iteratorINSB_9not_fun_tI7is_trueIjEEESF_NSA_11use_defaultESM_EENS0_5tupleIJSF_S6_EEENSO_IJSG_SG_EEES6_PlJS6_EEE10hipError_tPvRmT3_T4_T5_T6_T7_T9_mT8_P12ihipStream_tbDpT10_ENKUlT_T0_E_clISt17integral_constantIbLb0EES1B_EEDaS16_S17_EUlS16_E_NS1_11comp_targetILNS1_3genE2ELNS1_11target_archE906ELNS1_3gpuE6ELNS1_3repE0EEENS1_30default_config_static_selectorELNS0_4arch9wavefront6targetE0EEEvT1_
                                        ; -- End function
	.set _ZN7rocprim17ROCPRIM_400000_NS6detail17trampoline_kernelINS0_14default_configENS1_25partition_config_selectorILNS1_17partition_subalgoE5EjNS0_10empty_typeEbEEZZNS1_14partition_implILS5_5ELb0ES3_mN6thrust23THRUST_200600_302600_NS6detail15normal_iteratorINSA_10device_ptrIjEEEEPS6_NSA_18transform_iteratorINSB_9not_fun_tI7is_trueIjEEESF_NSA_11use_defaultESM_EENS0_5tupleIJSF_S6_EEENSO_IJSG_SG_EEES6_PlJS6_EEE10hipError_tPvRmT3_T4_T5_T6_T7_T9_mT8_P12ihipStream_tbDpT10_ENKUlT_T0_E_clISt17integral_constantIbLb0EES1B_EEDaS16_S17_EUlS16_E_NS1_11comp_targetILNS1_3genE2ELNS1_11target_archE906ELNS1_3gpuE6ELNS1_3repE0EEENS1_30default_config_static_selectorELNS0_4arch9wavefront6targetE0EEEvT1_.num_vgpr, 0
	.set _ZN7rocprim17ROCPRIM_400000_NS6detail17trampoline_kernelINS0_14default_configENS1_25partition_config_selectorILNS1_17partition_subalgoE5EjNS0_10empty_typeEbEEZZNS1_14partition_implILS5_5ELb0ES3_mN6thrust23THRUST_200600_302600_NS6detail15normal_iteratorINSA_10device_ptrIjEEEEPS6_NSA_18transform_iteratorINSB_9not_fun_tI7is_trueIjEEESF_NSA_11use_defaultESM_EENS0_5tupleIJSF_S6_EEENSO_IJSG_SG_EEES6_PlJS6_EEE10hipError_tPvRmT3_T4_T5_T6_T7_T9_mT8_P12ihipStream_tbDpT10_ENKUlT_T0_E_clISt17integral_constantIbLb0EES1B_EEDaS16_S17_EUlS16_E_NS1_11comp_targetILNS1_3genE2ELNS1_11target_archE906ELNS1_3gpuE6ELNS1_3repE0EEENS1_30default_config_static_selectorELNS0_4arch9wavefront6targetE0EEEvT1_.num_agpr, 0
	.set _ZN7rocprim17ROCPRIM_400000_NS6detail17trampoline_kernelINS0_14default_configENS1_25partition_config_selectorILNS1_17partition_subalgoE5EjNS0_10empty_typeEbEEZZNS1_14partition_implILS5_5ELb0ES3_mN6thrust23THRUST_200600_302600_NS6detail15normal_iteratorINSA_10device_ptrIjEEEEPS6_NSA_18transform_iteratorINSB_9not_fun_tI7is_trueIjEEESF_NSA_11use_defaultESM_EENS0_5tupleIJSF_S6_EEENSO_IJSG_SG_EEES6_PlJS6_EEE10hipError_tPvRmT3_T4_T5_T6_T7_T9_mT8_P12ihipStream_tbDpT10_ENKUlT_T0_E_clISt17integral_constantIbLb0EES1B_EEDaS16_S17_EUlS16_E_NS1_11comp_targetILNS1_3genE2ELNS1_11target_archE906ELNS1_3gpuE6ELNS1_3repE0EEENS1_30default_config_static_selectorELNS0_4arch9wavefront6targetE0EEEvT1_.numbered_sgpr, 0
	.set _ZN7rocprim17ROCPRIM_400000_NS6detail17trampoline_kernelINS0_14default_configENS1_25partition_config_selectorILNS1_17partition_subalgoE5EjNS0_10empty_typeEbEEZZNS1_14partition_implILS5_5ELb0ES3_mN6thrust23THRUST_200600_302600_NS6detail15normal_iteratorINSA_10device_ptrIjEEEEPS6_NSA_18transform_iteratorINSB_9not_fun_tI7is_trueIjEEESF_NSA_11use_defaultESM_EENS0_5tupleIJSF_S6_EEENSO_IJSG_SG_EEES6_PlJS6_EEE10hipError_tPvRmT3_T4_T5_T6_T7_T9_mT8_P12ihipStream_tbDpT10_ENKUlT_T0_E_clISt17integral_constantIbLb0EES1B_EEDaS16_S17_EUlS16_E_NS1_11comp_targetILNS1_3genE2ELNS1_11target_archE906ELNS1_3gpuE6ELNS1_3repE0EEENS1_30default_config_static_selectorELNS0_4arch9wavefront6targetE0EEEvT1_.num_named_barrier, 0
	.set _ZN7rocprim17ROCPRIM_400000_NS6detail17trampoline_kernelINS0_14default_configENS1_25partition_config_selectorILNS1_17partition_subalgoE5EjNS0_10empty_typeEbEEZZNS1_14partition_implILS5_5ELb0ES3_mN6thrust23THRUST_200600_302600_NS6detail15normal_iteratorINSA_10device_ptrIjEEEEPS6_NSA_18transform_iteratorINSB_9not_fun_tI7is_trueIjEEESF_NSA_11use_defaultESM_EENS0_5tupleIJSF_S6_EEENSO_IJSG_SG_EEES6_PlJS6_EEE10hipError_tPvRmT3_T4_T5_T6_T7_T9_mT8_P12ihipStream_tbDpT10_ENKUlT_T0_E_clISt17integral_constantIbLb0EES1B_EEDaS16_S17_EUlS16_E_NS1_11comp_targetILNS1_3genE2ELNS1_11target_archE906ELNS1_3gpuE6ELNS1_3repE0EEENS1_30default_config_static_selectorELNS0_4arch9wavefront6targetE0EEEvT1_.private_seg_size, 0
	.set _ZN7rocprim17ROCPRIM_400000_NS6detail17trampoline_kernelINS0_14default_configENS1_25partition_config_selectorILNS1_17partition_subalgoE5EjNS0_10empty_typeEbEEZZNS1_14partition_implILS5_5ELb0ES3_mN6thrust23THRUST_200600_302600_NS6detail15normal_iteratorINSA_10device_ptrIjEEEEPS6_NSA_18transform_iteratorINSB_9not_fun_tI7is_trueIjEEESF_NSA_11use_defaultESM_EENS0_5tupleIJSF_S6_EEENSO_IJSG_SG_EEES6_PlJS6_EEE10hipError_tPvRmT3_T4_T5_T6_T7_T9_mT8_P12ihipStream_tbDpT10_ENKUlT_T0_E_clISt17integral_constantIbLb0EES1B_EEDaS16_S17_EUlS16_E_NS1_11comp_targetILNS1_3genE2ELNS1_11target_archE906ELNS1_3gpuE6ELNS1_3repE0EEENS1_30default_config_static_selectorELNS0_4arch9wavefront6targetE0EEEvT1_.uses_vcc, 0
	.set _ZN7rocprim17ROCPRIM_400000_NS6detail17trampoline_kernelINS0_14default_configENS1_25partition_config_selectorILNS1_17partition_subalgoE5EjNS0_10empty_typeEbEEZZNS1_14partition_implILS5_5ELb0ES3_mN6thrust23THRUST_200600_302600_NS6detail15normal_iteratorINSA_10device_ptrIjEEEEPS6_NSA_18transform_iteratorINSB_9not_fun_tI7is_trueIjEEESF_NSA_11use_defaultESM_EENS0_5tupleIJSF_S6_EEENSO_IJSG_SG_EEES6_PlJS6_EEE10hipError_tPvRmT3_T4_T5_T6_T7_T9_mT8_P12ihipStream_tbDpT10_ENKUlT_T0_E_clISt17integral_constantIbLb0EES1B_EEDaS16_S17_EUlS16_E_NS1_11comp_targetILNS1_3genE2ELNS1_11target_archE906ELNS1_3gpuE6ELNS1_3repE0EEENS1_30default_config_static_selectorELNS0_4arch9wavefront6targetE0EEEvT1_.uses_flat_scratch, 0
	.set _ZN7rocprim17ROCPRIM_400000_NS6detail17trampoline_kernelINS0_14default_configENS1_25partition_config_selectorILNS1_17partition_subalgoE5EjNS0_10empty_typeEbEEZZNS1_14partition_implILS5_5ELb0ES3_mN6thrust23THRUST_200600_302600_NS6detail15normal_iteratorINSA_10device_ptrIjEEEEPS6_NSA_18transform_iteratorINSB_9not_fun_tI7is_trueIjEEESF_NSA_11use_defaultESM_EENS0_5tupleIJSF_S6_EEENSO_IJSG_SG_EEES6_PlJS6_EEE10hipError_tPvRmT3_T4_T5_T6_T7_T9_mT8_P12ihipStream_tbDpT10_ENKUlT_T0_E_clISt17integral_constantIbLb0EES1B_EEDaS16_S17_EUlS16_E_NS1_11comp_targetILNS1_3genE2ELNS1_11target_archE906ELNS1_3gpuE6ELNS1_3repE0EEENS1_30default_config_static_selectorELNS0_4arch9wavefront6targetE0EEEvT1_.has_dyn_sized_stack, 0
	.set _ZN7rocprim17ROCPRIM_400000_NS6detail17trampoline_kernelINS0_14default_configENS1_25partition_config_selectorILNS1_17partition_subalgoE5EjNS0_10empty_typeEbEEZZNS1_14partition_implILS5_5ELb0ES3_mN6thrust23THRUST_200600_302600_NS6detail15normal_iteratorINSA_10device_ptrIjEEEEPS6_NSA_18transform_iteratorINSB_9not_fun_tI7is_trueIjEEESF_NSA_11use_defaultESM_EENS0_5tupleIJSF_S6_EEENSO_IJSG_SG_EEES6_PlJS6_EEE10hipError_tPvRmT3_T4_T5_T6_T7_T9_mT8_P12ihipStream_tbDpT10_ENKUlT_T0_E_clISt17integral_constantIbLb0EES1B_EEDaS16_S17_EUlS16_E_NS1_11comp_targetILNS1_3genE2ELNS1_11target_archE906ELNS1_3gpuE6ELNS1_3repE0EEENS1_30default_config_static_selectorELNS0_4arch9wavefront6targetE0EEEvT1_.has_recursion, 0
	.set _ZN7rocprim17ROCPRIM_400000_NS6detail17trampoline_kernelINS0_14default_configENS1_25partition_config_selectorILNS1_17partition_subalgoE5EjNS0_10empty_typeEbEEZZNS1_14partition_implILS5_5ELb0ES3_mN6thrust23THRUST_200600_302600_NS6detail15normal_iteratorINSA_10device_ptrIjEEEEPS6_NSA_18transform_iteratorINSB_9not_fun_tI7is_trueIjEEESF_NSA_11use_defaultESM_EENS0_5tupleIJSF_S6_EEENSO_IJSG_SG_EEES6_PlJS6_EEE10hipError_tPvRmT3_T4_T5_T6_T7_T9_mT8_P12ihipStream_tbDpT10_ENKUlT_T0_E_clISt17integral_constantIbLb0EES1B_EEDaS16_S17_EUlS16_E_NS1_11comp_targetILNS1_3genE2ELNS1_11target_archE906ELNS1_3gpuE6ELNS1_3repE0EEENS1_30default_config_static_selectorELNS0_4arch9wavefront6targetE0EEEvT1_.has_indirect_call, 0
	.section	.AMDGPU.csdata,"",@progbits
; Kernel info:
; codeLenInByte = 0
; TotalNumSgprs: 0
; NumVgprs: 0
; ScratchSize: 0
; MemoryBound: 0
; FloatMode: 240
; IeeeMode: 1
; LDSByteSize: 0 bytes/workgroup (compile time only)
; SGPRBlocks: 0
; VGPRBlocks: 0
; NumSGPRsForWavesPerEU: 1
; NumVGPRsForWavesPerEU: 1
; Occupancy: 16
; WaveLimiterHint : 0
; COMPUTE_PGM_RSRC2:SCRATCH_EN: 0
; COMPUTE_PGM_RSRC2:USER_SGPR: 2
; COMPUTE_PGM_RSRC2:TRAP_HANDLER: 0
; COMPUTE_PGM_RSRC2:TGID_X_EN: 1
; COMPUTE_PGM_RSRC2:TGID_Y_EN: 0
; COMPUTE_PGM_RSRC2:TGID_Z_EN: 0
; COMPUTE_PGM_RSRC2:TIDIG_COMP_CNT: 0
	.section	.text._ZN7rocprim17ROCPRIM_400000_NS6detail17trampoline_kernelINS0_14default_configENS1_25partition_config_selectorILNS1_17partition_subalgoE5EjNS0_10empty_typeEbEEZZNS1_14partition_implILS5_5ELb0ES3_mN6thrust23THRUST_200600_302600_NS6detail15normal_iteratorINSA_10device_ptrIjEEEEPS6_NSA_18transform_iteratorINSB_9not_fun_tI7is_trueIjEEESF_NSA_11use_defaultESM_EENS0_5tupleIJSF_S6_EEENSO_IJSG_SG_EEES6_PlJS6_EEE10hipError_tPvRmT3_T4_T5_T6_T7_T9_mT8_P12ihipStream_tbDpT10_ENKUlT_T0_E_clISt17integral_constantIbLb0EES1B_EEDaS16_S17_EUlS16_E_NS1_11comp_targetILNS1_3genE10ELNS1_11target_archE1200ELNS1_3gpuE4ELNS1_3repE0EEENS1_30default_config_static_selectorELNS0_4arch9wavefront6targetE0EEEvT1_,"axG",@progbits,_ZN7rocprim17ROCPRIM_400000_NS6detail17trampoline_kernelINS0_14default_configENS1_25partition_config_selectorILNS1_17partition_subalgoE5EjNS0_10empty_typeEbEEZZNS1_14partition_implILS5_5ELb0ES3_mN6thrust23THRUST_200600_302600_NS6detail15normal_iteratorINSA_10device_ptrIjEEEEPS6_NSA_18transform_iteratorINSB_9not_fun_tI7is_trueIjEEESF_NSA_11use_defaultESM_EENS0_5tupleIJSF_S6_EEENSO_IJSG_SG_EEES6_PlJS6_EEE10hipError_tPvRmT3_T4_T5_T6_T7_T9_mT8_P12ihipStream_tbDpT10_ENKUlT_T0_E_clISt17integral_constantIbLb0EES1B_EEDaS16_S17_EUlS16_E_NS1_11comp_targetILNS1_3genE10ELNS1_11target_archE1200ELNS1_3gpuE4ELNS1_3repE0EEENS1_30default_config_static_selectorELNS0_4arch9wavefront6targetE0EEEvT1_,comdat
	.protected	_ZN7rocprim17ROCPRIM_400000_NS6detail17trampoline_kernelINS0_14default_configENS1_25partition_config_selectorILNS1_17partition_subalgoE5EjNS0_10empty_typeEbEEZZNS1_14partition_implILS5_5ELb0ES3_mN6thrust23THRUST_200600_302600_NS6detail15normal_iteratorINSA_10device_ptrIjEEEEPS6_NSA_18transform_iteratorINSB_9not_fun_tI7is_trueIjEEESF_NSA_11use_defaultESM_EENS0_5tupleIJSF_S6_EEENSO_IJSG_SG_EEES6_PlJS6_EEE10hipError_tPvRmT3_T4_T5_T6_T7_T9_mT8_P12ihipStream_tbDpT10_ENKUlT_T0_E_clISt17integral_constantIbLb0EES1B_EEDaS16_S17_EUlS16_E_NS1_11comp_targetILNS1_3genE10ELNS1_11target_archE1200ELNS1_3gpuE4ELNS1_3repE0EEENS1_30default_config_static_selectorELNS0_4arch9wavefront6targetE0EEEvT1_ ; -- Begin function _ZN7rocprim17ROCPRIM_400000_NS6detail17trampoline_kernelINS0_14default_configENS1_25partition_config_selectorILNS1_17partition_subalgoE5EjNS0_10empty_typeEbEEZZNS1_14partition_implILS5_5ELb0ES3_mN6thrust23THRUST_200600_302600_NS6detail15normal_iteratorINSA_10device_ptrIjEEEEPS6_NSA_18transform_iteratorINSB_9not_fun_tI7is_trueIjEEESF_NSA_11use_defaultESM_EENS0_5tupleIJSF_S6_EEENSO_IJSG_SG_EEES6_PlJS6_EEE10hipError_tPvRmT3_T4_T5_T6_T7_T9_mT8_P12ihipStream_tbDpT10_ENKUlT_T0_E_clISt17integral_constantIbLb0EES1B_EEDaS16_S17_EUlS16_E_NS1_11comp_targetILNS1_3genE10ELNS1_11target_archE1200ELNS1_3gpuE4ELNS1_3repE0EEENS1_30default_config_static_selectorELNS0_4arch9wavefront6targetE0EEEvT1_
	.globl	_ZN7rocprim17ROCPRIM_400000_NS6detail17trampoline_kernelINS0_14default_configENS1_25partition_config_selectorILNS1_17partition_subalgoE5EjNS0_10empty_typeEbEEZZNS1_14partition_implILS5_5ELb0ES3_mN6thrust23THRUST_200600_302600_NS6detail15normal_iteratorINSA_10device_ptrIjEEEEPS6_NSA_18transform_iteratorINSB_9not_fun_tI7is_trueIjEEESF_NSA_11use_defaultESM_EENS0_5tupleIJSF_S6_EEENSO_IJSG_SG_EEES6_PlJS6_EEE10hipError_tPvRmT3_T4_T5_T6_T7_T9_mT8_P12ihipStream_tbDpT10_ENKUlT_T0_E_clISt17integral_constantIbLb0EES1B_EEDaS16_S17_EUlS16_E_NS1_11comp_targetILNS1_3genE10ELNS1_11target_archE1200ELNS1_3gpuE4ELNS1_3repE0EEENS1_30default_config_static_selectorELNS0_4arch9wavefront6targetE0EEEvT1_
	.p2align	8
	.type	_ZN7rocprim17ROCPRIM_400000_NS6detail17trampoline_kernelINS0_14default_configENS1_25partition_config_selectorILNS1_17partition_subalgoE5EjNS0_10empty_typeEbEEZZNS1_14partition_implILS5_5ELb0ES3_mN6thrust23THRUST_200600_302600_NS6detail15normal_iteratorINSA_10device_ptrIjEEEEPS6_NSA_18transform_iteratorINSB_9not_fun_tI7is_trueIjEEESF_NSA_11use_defaultESM_EENS0_5tupleIJSF_S6_EEENSO_IJSG_SG_EEES6_PlJS6_EEE10hipError_tPvRmT3_T4_T5_T6_T7_T9_mT8_P12ihipStream_tbDpT10_ENKUlT_T0_E_clISt17integral_constantIbLb0EES1B_EEDaS16_S17_EUlS16_E_NS1_11comp_targetILNS1_3genE10ELNS1_11target_archE1200ELNS1_3gpuE4ELNS1_3repE0EEENS1_30default_config_static_selectorELNS0_4arch9wavefront6targetE0EEEvT1_,@function
_ZN7rocprim17ROCPRIM_400000_NS6detail17trampoline_kernelINS0_14default_configENS1_25partition_config_selectorILNS1_17partition_subalgoE5EjNS0_10empty_typeEbEEZZNS1_14partition_implILS5_5ELb0ES3_mN6thrust23THRUST_200600_302600_NS6detail15normal_iteratorINSA_10device_ptrIjEEEEPS6_NSA_18transform_iteratorINSB_9not_fun_tI7is_trueIjEEESF_NSA_11use_defaultESM_EENS0_5tupleIJSF_S6_EEENSO_IJSG_SG_EEES6_PlJS6_EEE10hipError_tPvRmT3_T4_T5_T6_T7_T9_mT8_P12ihipStream_tbDpT10_ENKUlT_T0_E_clISt17integral_constantIbLb0EES1B_EEDaS16_S17_EUlS16_E_NS1_11comp_targetILNS1_3genE10ELNS1_11target_archE1200ELNS1_3gpuE4ELNS1_3repE0EEENS1_30default_config_static_selectorELNS0_4arch9wavefront6targetE0EEEvT1_: ; @_ZN7rocprim17ROCPRIM_400000_NS6detail17trampoline_kernelINS0_14default_configENS1_25partition_config_selectorILNS1_17partition_subalgoE5EjNS0_10empty_typeEbEEZZNS1_14partition_implILS5_5ELb0ES3_mN6thrust23THRUST_200600_302600_NS6detail15normal_iteratorINSA_10device_ptrIjEEEEPS6_NSA_18transform_iteratorINSB_9not_fun_tI7is_trueIjEEESF_NSA_11use_defaultESM_EENS0_5tupleIJSF_S6_EEENSO_IJSG_SG_EEES6_PlJS6_EEE10hipError_tPvRmT3_T4_T5_T6_T7_T9_mT8_P12ihipStream_tbDpT10_ENKUlT_T0_E_clISt17integral_constantIbLb0EES1B_EEDaS16_S17_EUlS16_E_NS1_11comp_targetILNS1_3genE10ELNS1_11target_archE1200ELNS1_3gpuE4ELNS1_3repE0EEENS1_30default_config_static_selectorELNS0_4arch9wavefront6targetE0EEEvT1_
; %bb.0:
	s_clause 0x3
	s_load_b128 s[4:7], s[0:1], 0x8
	s_load_b128 s[8:11], s[0:1], 0x48
	s_load_b32 s2, s[0:1], 0x70
	s_load_b64 s[14:15], s[0:1], 0x58
	s_mov_b32 s17, 0
	s_mul_i32 s20, ttmp9, 0x600
	s_mov_b32 s21, s17
	v_lshlrev_b32_e32 v23, 2, v0
	v_lshrrev_b32_e32 v9, 3, v0
	v_add_nc_u32_e32 v22, 0x180, v0
	v_add_nc_u32_e32 v21, 0x240, v0
	v_or_b32_e32 v18, 0x300, v0
	v_add_nc_u32_e32 v20, 0x3c0, v0
	v_add_nc_u32_e32 v17, 0x480, v0
	;; [unrolled: 1-line block ×3, first 2 shown]
	s_mov_b32 s3, -1
	s_wait_kmcnt 0x0
	s_lshl_b64 s[12:13], s[6:7], 2
	s_load_b64 s[10:11], s[10:11], 0x0
	s_mul_i32 s16, s2, 0x600
	s_add_co_i32 s2, s2, -1
	s_add_co_i32 s18, s16, s6
	s_add_nc_u64 s[6:7], s[6:7], s[16:17]
	s_sub_co_i32 s18, s14, s18
	v_cmp_le_u64_e64 s6, s[14:15], s[6:7]
	s_addk_co_i32 s18, 0x600
	s_cmp_eq_u32 ttmp9, s2
	s_cselect_b32 s16, -1, 0
	s_delay_alu instid0(SALU_CYCLE_1)
	s_and_b32 s2, s16, s6
	s_add_nc_u64 s[6:7], s[4:5], s[12:13]
	s_xor_b32 s17, s2, -1
	s_lshl_b64 s[4:5], s[20:21], 2
	s_and_b32 vcc_lo, exec_lo, s17
	s_wait_alu 0xfffe
	s_add_nc_u64 s[6:7], s[6:7], s[4:5]
	s_cbranch_vccz .LBB1406_2
; %bb.1:
	s_wait_alu 0xfffe
	v_add_co_u32 v1, s2, s6, v23
	s_delay_alu instid0(VALU_DEP_1)
	v_add_co_ci_u32_e64 v2, null, s7, 0, s2
	v_add_nc_u32_e32 v11, 0xc0, v0
	v_lshrrev_b32_e32 v12, 3, v22
	v_lshrrev_b32_e32 v13, 3, v21
	s_clause 0x7
	flat_load_b32 v3, v[1:2]
	flat_load_b32 v4, v[1:2] offset:768
	flat_load_b32 v5, v[1:2] offset:1536
	;; [unrolled: 1-line block ×7, first 2 shown]
	v_lshrrev_b32_e32 v14, 3, v18
	v_lshrrev_b32_e32 v11, 3, v11
	v_and_b32_e32 v2, 28, v9
	v_lshrrev_b32_e32 v15, 3, v20
	v_lshrrev_b32_e32 v16, 3, v17
	;; [unrolled: 1-line block ×3, first 2 shown]
	v_and_b32_e32 v11, 60, v11
	v_and_b32_e32 v12, 0x7c, v12
	;; [unrolled: 1-line block ×4, first 2 shown]
	v_add_nc_u32_e32 v2, v2, v23
	v_and_b32_e32 v15, 0xfc, v15
	v_and_b32_e32 v16, 0xbc, v16
	v_and_b32_e32 v24, 0xfc, v24
	v_add_nc_u32_e32 v11, v11, v23
	v_add_nc_u32_e32 v12, v12, v23
	;; [unrolled: 1-line block ×4, first 2 shown]
	s_mov_b32 s3, 0
	v_add_nc_u32_e32 v15, v15, v23
	v_add_nc_u32_e32 v16, v16, v23
	;; [unrolled: 1-line block ×3, first 2 shown]
	s_wait_loadcnt_dscnt 0x707
	ds_store_b32 v2, v3
	s_wait_loadcnt_dscnt 0x607
	ds_store_b32 v11, v4 offset:768
	s_wait_loadcnt_dscnt 0x507
	ds_store_b32 v12, v5 offset:1536
	;; [unrolled: 2-line block ×7, first 2 shown]
	s_wait_dscnt 0x0
	s_barrier_signal -1
	s_barrier_wait -1
.LBB1406_2:
	s_load_b64 s[14:15], s[0:1], 0x20
	v_cmp_gt_u32_e64 s2, s18, v0
	s_and_not1_b32 vcc_lo, exec_lo, s3
	s_cbranch_vccnz .LBB1406_14
; %bb.3:
	v_mov_b32_e32 v1, 0
	s_delay_alu instid0(VALU_DEP_1)
	v_dual_mov_b32 v2, v1 :: v_dual_mov_b32 v3, v1
	v_dual_mov_b32 v4, v1 :: v_dual_mov_b32 v5, v1
	;; [unrolled: 1-line block ×3, first 2 shown]
	v_mov_b32_e32 v8, v1
	s_and_saveexec_b32 s3, s2
	s_cbranch_execz .LBB1406_5
; %bb.4:
	v_add_co_u32 v2, s2, s6, v23
	s_wait_alu 0xf1ff
	v_add_co_ci_u32_e64 v3, null, s7, 0, s2
	v_dual_mov_b32 v25, v1 :: v_dual_mov_b32 v26, v1
	v_dual_mov_b32 v27, v1 :: v_dual_mov_b32 v28, v1
	flat_load_b32 v24, v[2:3]
	v_dual_mov_b32 v29, v1 :: v_dual_mov_b32 v30, v1
	v_mov_b32_e32 v31, v1
	s_wait_loadcnt_dscnt 0x0
	v_dual_mov_b32 v1, v24 :: v_dual_mov_b32 v2, v25
	v_dual_mov_b32 v3, v26 :: v_dual_mov_b32 v4, v27
	;; [unrolled: 1-line block ×4, first 2 shown]
.LBB1406_5:
	s_wait_alu 0xfffe
	s_or_b32 exec_lo, exec_lo, s3
	v_add_nc_u32_e32 v10, 0xc0, v0
	s_mov_b32 s2, exec_lo
	s_delay_alu instid0(VALU_DEP_1)
	v_cmpx_gt_u32_e64 s18, v10
	s_cbranch_execnz .LBB1406_158
; %bb.6:
	s_wait_alu 0xfffe
	s_or_b32 exec_lo, exec_lo, s2
	s_delay_alu instid0(SALU_CYCLE_1)
	s_mov_b32 s2, exec_lo
	v_cmpx_gt_u32_e64 s18, v22
	s_cbranch_execnz .LBB1406_159
.LBB1406_7:
	s_wait_alu 0xfffe
	s_or_b32 exec_lo, exec_lo, s2
	s_delay_alu instid0(SALU_CYCLE_1)
	s_mov_b32 s2, exec_lo
	v_cmpx_gt_u32_e64 s18, v21
	s_cbranch_execnz .LBB1406_160
.LBB1406_8:
	s_wait_alu 0xfffe
	s_or_b32 exec_lo, exec_lo, s2
	s_delay_alu instid0(SALU_CYCLE_1)
	s_mov_b32 s2, exec_lo
	v_cmpx_gt_u32_e64 s18, v18
	s_cbranch_execnz .LBB1406_161
.LBB1406_9:
	s_wait_alu 0xfffe
	s_or_b32 exec_lo, exec_lo, s2
	s_delay_alu instid0(SALU_CYCLE_1)
	s_mov_b32 s2, exec_lo
	v_cmpx_gt_u32_e64 s18, v20
	s_cbranch_execnz .LBB1406_162
.LBB1406_10:
	s_wait_alu 0xfffe
	s_or_b32 exec_lo, exec_lo, s2
	s_delay_alu instid0(SALU_CYCLE_1)
	s_mov_b32 s2, exec_lo
	v_cmpx_gt_u32_e64 s18, v17
	s_cbranch_execnz .LBB1406_163
.LBB1406_11:
	s_wait_alu 0xfffe
	s_or_b32 exec_lo, exec_lo, s2
	s_delay_alu instid0(SALU_CYCLE_1)
	s_mov_b32 s2, exec_lo
	v_cmpx_gt_u32_e64 s18, v19
	s_cbranch_execz .LBB1406_13
.LBB1406_12:
	v_add_co_u32 v11, s3, s6, v23
	s_wait_alu 0xf1ff
	v_add_co_ci_u32_e64 v12, null, s7, 0, s3
	flat_load_b32 v8, v[11:12] offset:5376
.LBB1406_13:
	s_wait_alu 0xfffe
	s_or_b32 exec_lo, exec_lo, s2
	v_lshrrev_b32_e32 v10, 3, v10
	v_lshrrev_b32_e32 v11, 3, v22
	;; [unrolled: 1-line block ×4, first 2 shown]
	v_and_b32_e32 v9, 28, v9
	v_lshrrev_b32_e32 v14, 3, v20
	v_lshrrev_b32_e32 v15, 3, v17
	v_lshrrev_b32_e32 v16, 3, v19
	v_and_b32_e32 v10, 60, v10
	v_and_b32_e32 v11, 0x7c, v11
	v_and_b32_e32 v12, 0x7c, v12
	v_and_b32_e32 v13, 0x7c, v13
	v_add_nc_u32_e32 v9, v9, v23
	v_and_b32_e32 v14, 0xfc, v14
	v_and_b32_e32 v15, 0xfc, v15
	;; [unrolled: 1-line block ×3, first 2 shown]
	v_add_nc_u32_e32 v10, v10, v23
	v_add_nc_u32_e32 v11, v11, v23
	;; [unrolled: 1-line block ×7, first 2 shown]
	ds_store_b32 v9, v1
	s_wait_loadcnt_dscnt 0x1
	ds_store_b32 v10, v2 offset:768
	ds_store_b32 v11, v3 offset:1536
	;; [unrolled: 1-line block ×7, first 2 shown]
	s_wait_dscnt 0x0
	s_barrier_signal -1
	s_barrier_wait -1
.LBB1406_14:
	v_and_b32_e32 v1, 0xfc, v0
	global_inv scope:SCOPE_SE
	v_lshrrev_b32_e32 v35, 5, v0
	s_wait_kmcnt 0x0
	s_add_nc_u64 s[2:3], s[14:15], s[12:13]
	s_and_b32 vcc_lo, exec_lo, s17
	v_lshl_add_u32 v1, v0, 5, v1
	s_wait_alu 0xfffe
	s_add_nc_u64 s[2:3], s[2:3], s[4:5]
	s_mov_b32 s4, -1
	ds_load_2addr_b32 v[15:16], v1 offset1:1
	ds_load_2addr_b32 v[13:14], v1 offset0:2 offset1:3
	ds_load_2addr_b32 v[11:12], v1 offset0:4 offset1:5
	;; [unrolled: 1-line block ×3, first 2 shown]
	s_wait_loadcnt_dscnt 0x0
	s_barrier_signal -1
	s_barrier_wait -1
	global_inv scope:SCOPE_SE
	s_cbranch_vccz .LBB1406_16
; %bb.15:
	s_clause 0x7
	global_load_b32 v1, v23, s[2:3]
	global_load_b32 v2, v23, s[2:3] offset:768
	global_load_b32 v3, v23, s[2:3] offset:1536
	;; [unrolled: 1-line block ×7, first 2 shown]
	v_add_nc_u32_e32 v25, 0xc0, v0
	v_lshrrev_b32_e32 v26, 5, v22
	v_lshrrev_b32_e32 v27, 5, v21
	;; [unrolled: 1-line block ×3, first 2 shown]
	v_and_b32_e32 v24, 4, v35
	v_lshrrev_b32_e32 v25, 5, v25
	v_lshrrev_b32_e32 v29, 5, v20
	;; [unrolled: 1-line block ×4, first 2 shown]
	v_and_b32_e32 v26, 28, v26
	v_and_b32_e32 v25, 12, v25
	;; [unrolled: 1-line block ×4, first 2 shown]
	v_add_nc_u32_e32 v24, v24, v0
	v_and_b32_e32 v29, 60, v29
	v_and_b32_e32 v30, 44, v30
	;; [unrolled: 1-line block ×3, first 2 shown]
	v_add_nc_u32_e32 v25, v25, v0
	v_add_nc_u32_e32 v26, v26, v0
	;; [unrolled: 1-line block ×4, first 2 shown]
	s_mov_b32 s4, 0
	v_add_nc_u32_e32 v29, v29, v0
	v_add_nc_u32_e32 v30, v30, v0
	;; [unrolled: 1-line block ×3, first 2 shown]
	s_wait_loadcnt 0x7
	v_cmp_eq_u32_e32 vcc_lo, 0, v1
	v_cndmask_b32_e64 v1, 0, 1, vcc_lo
	s_wait_loadcnt 0x6
	v_cmp_eq_u32_e32 vcc_lo, 0, v2
	s_wait_alu 0xfffd
	v_cndmask_b32_e64 v2, 0, 1, vcc_lo
	s_wait_loadcnt 0x5
	v_cmp_eq_u32_e32 vcc_lo, 0, v3
	s_wait_alu 0xfffd
	;; [unrolled: 4-line block ×7, first 2 shown]
	v_cndmask_b32_e64 v8, 0, 1, vcc_lo
	ds_store_b8 v24, v1
	ds_store_b8 v25, v2 offset:192
	ds_store_b8 v26, v3 offset:384
	;; [unrolled: 1-line block ×7, first 2 shown]
	s_wait_dscnt 0x0
	s_barrier_signal -1
	s_barrier_wait -1
.LBB1406_16:
	v_lshlrev_b32_e32 v38, 3, v0
	v_lshrrev_b32_e32 v1, 2, v0
	s_and_not1_b32 vcc_lo, exec_lo, s4
	s_wait_alu 0xfffe
	s_cbranch_vccnz .LBB1406_28
; %bb.17:
	v_mov_b32_e32 v2, 0
	s_mov_b32 s5, 0
	s_mov_b32 s4, exec_lo
	s_delay_alu instid0(VALU_DEP_1)
	v_dual_mov_b32 v3, v2 :: v_dual_mov_b32 v4, v2
	v_cmpx_gt_u32_e64 s18, v0
	s_cbranch_execz .LBB1406_19
; %bb.18:
	global_load_b32 v2, v23, s[2:3]
	s_wait_loadcnt 0x0
	v_cmp_eq_u32_e32 vcc_lo, 0, v2
	s_wait_alu 0xfffd
	v_cndmask_b32_e64 v2, 0, 1, vcc_lo
	s_delay_alu instid0(VALU_DEP_1)
	v_dual_mov_b32 v3, s5 :: v_dual_mov_b32 v4, v2
.LBB1406_19:
	s_or_b32 exec_lo, exec_lo, s4
	v_add_nc_u32_e32 v5, 0xc0, v0
	s_mov_b32 s4, exec_lo
	s_delay_alu instid0(VALU_DEP_1)
	v_cmpx_gt_u32_e64 s18, v5
	s_cbranch_execnz .LBB1406_164
; %bb.20:
	s_wait_alu 0xfffe
	s_or_b32 exec_lo, exec_lo, s4
	s_delay_alu instid0(SALU_CYCLE_1)
	s_mov_b32 s4, exec_lo
	v_cmpx_gt_u32_e64 s18, v22
	s_cbranch_execnz .LBB1406_165
.LBB1406_21:
	s_wait_alu 0xfffe
	s_or_b32 exec_lo, exec_lo, s4
	s_delay_alu instid0(SALU_CYCLE_1)
	s_mov_b32 s4, exec_lo
	v_cmpx_gt_u32_e64 s18, v21
	s_cbranch_execnz .LBB1406_166
.LBB1406_22:
	s_wait_alu 0xfffe
	s_or_b32 exec_lo, exec_lo, s4
	s_delay_alu instid0(SALU_CYCLE_1)
	s_mov_b32 s4, exec_lo
	v_cmpx_gt_u32_e64 s18, v18
	s_cbranch_execnz .LBB1406_167
.LBB1406_23:
	s_wait_alu 0xfffe
	s_or_b32 exec_lo, exec_lo, s4
	s_delay_alu instid0(SALU_CYCLE_1)
	s_mov_b32 s4, exec_lo
	v_cmpx_gt_u32_e64 s18, v20
	s_cbranch_execnz .LBB1406_168
.LBB1406_24:
	s_wait_alu 0xfffe
	s_or_b32 exec_lo, exec_lo, s4
	s_delay_alu instid0(SALU_CYCLE_1)
	s_mov_b32 s4, exec_lo
	v_cmpx_gt_u32_e64 s18, v17
	s_cbranch_execnz .LBB1406_169
.LBB1406_25:
	s_wait_alu 0xfffe
	s_or_b32 exec_lo, exec_lo, s4
	s_delay_alu instid0(SALU_CYCLE_1)
	s_mov_b32 s4, exec_lo
	v_cmpx_gt_u32_e64 s18, v19
	s_cbranch_execz .LBB1406_27
.LBB1406_26:
	global_load_b32 v6, v23, s[2:3] offset:5376
	v_lshrrev_b32_e32 v7, 16, v3
	s_delay_alu instid0(VALU_DEP_1) | instskip(SKIP_4) | instid1(VALU_DEP_1)
	v_and_b32_e32 v7, 0xff, v7
	s_wait_loadcnt 0x0
	v_cmp_eq_u32_e32 vcc_lo, 0, v6
	s_wait_alu 0xfffd
	v_cndmask_b32_e64 v6, 0, 1, vcc_lo
	v_lshlrev_b16 v6, 8, v6
	s_delay_alu instid0(VALU_DEP_1) | instskip(NEXT) | instid1(VALU_DEP_1)
	v_or_b32_e32 v6, v7, v6
	v_lshlrev_b32_e32 v6, 16, v6
	s_delay_alu instid0(VALU_DEP_1)
	v_and_or_b32 v3, 0xffff, v3, v6
.LBB1406_27:
	s_wait_alu 0xfffe
	s_or_b32 exec_lo, exec_lo, s4
	v_lshrrev_b32_e32 v5, 5, v5
	v_lshrrev_b32_e32 v6, 5, v22
	;; [unrolled: 1-line block ×4, first 2 shown]
	v_and_b32_e32 v7, 4, v35
	v_lshrrev_b32_e32 v20, 5, v20
	v_lshrrev_b32_e32 v17, 5, v17
	;; [unrolled: 1-line block ×3, first 2 shown]
	v_and_b32_e32 v5, 12, v5
	v_and_b32_e32 v6, 28, v6
	;; [unrolled: 1-line block ×4, first 2 shown]
	v_add_nc_u32_e32 v7, v7, v0
	v_and_b32_e32 v20, 60, v20
	v_and_b32_e32 v17, 60, v17
	;; [unrolled: 1-line block ×3, first 2 shown]
	v_lshrrev_b32_e32 v8, 8, v2
	v_add_nc_u32_e32 v5, v5, v0
	v_add_nc_u32_e32 v6, v6, v0
	v_lshrrev_b32_e32 v22, 24, v2
	v_add_nc_u32_e32 v21, v21, v0
	v_add_nc_u32_e32 v18, v18, v0
	;; [unrolled: 3-line block ×3, first 2 shown]
	v_lshrrev_b32_e32 v24, 24, v3
	v_add_nc_u32_e32 v19, v19, v0
	ds_store_b8 v7, v4
	ds_store_b8 v5, v8 offset:192
	ds_store_b8_d16_hi v6, v2 offset:384
	ds_store_b8 v21, v22 offset:576
	ds_store_b8 v18, v3 offset:768
	;; [unrolled: 1-line block ×3, first 2 shown]
	ds_store_b8_d16_hi v17, v3 offset:1152
	ds_store_b8 v19, v24 offset:1344
	s_wait_loadcnt_dscnt 0x0
	s_barrier_signal -1
	s_barrier_wait -1
.LBB1406_28:
	s_delay_alu instid0(VALU_DEP_1)
	v_dual_mov_b32 v2, 0 :: v_dual_and_b32 v1, 60, v1
	s_wait_loadcnt 0x0
	global_inv scope:SCOPE_SE
	s_load_b64 s[6:7], s[0:1], 0x68
	v_mbcnt_lo_u32_b32 v45, -1, 0
	v_add_nc_u32_e32 v1, v1, v38
	s_cmp_lg_u32 ttmp9, 0
	s_mov_b32 s3, -1
	s_delay_alu instid0(VALU_DEP_2)
	v_and_b32_e32 v46, 15, v45
	ds_load_2addr_b32 v[17:18], v1 offset1:1
	s_wait_loadcnt_dscnt 0x0
	s_barrier_signal -1
	s_barrier_wait -1
	global_inv scope:SCOPE_SE
	v_and_b32_e32 v41, 0xff, v17
	v_bfe_u32 v40, v17, 8, 8
	v_bfe_u32 v39, v17, 16, 8
	v_lshrrev_b32_e32 v37, 24, v17
	v_and_b32_e32 v44, 0xff, v18
	v_bfe_u32 v43, v18, 8, 8
	v_bfe_u32 v42, v18, 16, 8
	v_add3_u32 v1, v40, v41, v39
	v_lshrrev_b32_e32 v36, 24, v18
	s_delay_alu instid0(VALU_DEP_2) | instskip(SKIP_3) | instid1(VALU_DEP_3)
	v_add_co_u32 v1, s2, v1, v37
	s_wait_alu 0xf1ff
	v_add_co_ci_u32_e64 v3, null, 0, 0, s2
	v_cmp_ne_u32_e64 s2, 0, v46
	v_add_co_u32 v1, vcc_lo, v1, v44
	s_wait_alu 0xfffd
	s_delay_alu instid0(VALU_DEP_3) | instskip(NEXT) | instid1(VALU_DEP_2)
	v_add_co_ci_u32_e64 v3, null, 0, v3, vcc_lo
	v_add_co_u32 v1, vcc_lo, v1, v43
	s_wait_alu 0xfffd
	s_delay_alu instid0(VALU_DEP_2) | instskip(NEXT) | instid1(VALU_DEP_2)
	v_add_co_ci_u32_e64 v3, null, 0, v3, vcc_lo
	v_add_co_u32 v1, vcc_lo, v1, v42
	s_wait_alu 0xfffd
	s_delay_alu instid0(VALU_DEP_2) | instskip(NEXT) | instid1(VALU_DEP_2)
	v_add_co_ci_u32_e64 v3, null, 0, v3, vcc_lo
	v_add_co_u32 v19, vcc_lo, v1, v36
	s_wait_alu 0xfffd
	s_delay_alu instid0(VALU_DEP_2)
	v_add_co_ci_u32_e64 v20, null, 0, v3, vcc_lo
	s_cbranch_scc0 .LBB1406_85
; %bb.29:
	v_mov_b32_e32 v3, v19
	v_mov_b32_dpp v1, v19 row_shr:1 row_mask:0xf bank_mask:0xf
	v_mov_b32_dpp v6, v2 row_shr:1 row_mask:0xf bank_mask:0xf
	v_dual_mov_b32 v5, v19 :: v_dual_mov_b32 v4, v20
	s_and_saveexec_b32 s3, s2
; %bb.30:
	s_delay_alu instid0(VALU_DEP_3) | instskip(SKIP_2) | instid1(VALU_DEP_2)
	v_add_co_u32 v5, vcc_lo, v19, v1
	s_wait_alu 0xfffd
	v_add_co_ci_u32_e64 v2, null, 0, v20, vcc_lo
	v_add_co_u32 v1, vcc_lo, 0, v5
	s_wait_alu 0xfffd
	s_delay_alu instid0(VALU_DEP_2) | instskip(NEXT) | instid1(VALU_DEP_1)
	v_add_co_ci_u32_e64 v2, null, v6, v2, vcc_lo
	v_dual_mov_b32 v4, v2 :: v_dual_mov_b32 v3, v1
; %bb.31:
	s_wait_alu 0xfffe
	s_or_b32 exec_lo, exec_lo, s3
	v_mov_b32_dpp v1, v5 row_shr:2 row_mask:0xf bank_mask:0xf
	v_mov_b32_dpp v6, v2 row_shr:2 row_mask:0xf bank_mask:0xf
	s_mov_b32 s3, exec_lo
	v_cmpx_lt_u32_e32 1, v46
; %bb.32:
	s_delay_alu instid0(VALU_DEP_3) | instskip(SKIP_2) | instid1(VALU_DEP_2)
	v_add_co_u32 v5, vcc_lo, v3, v1
	s_wait_alu 0xfffd
	v_add_co_ci_u32_e64 v2, null, 0, v4, vcc_lo
	v_add_co_u32 v1, vcc_lo, 0, v5
	s_wait_alu 0xfffd
	s_delay_alu instid0(VALU_DEP_2) | instskip(NEXT) | instid1(VALU_DEP_1)
	v_add_co_ci_u32_e64 v2, null, v6, v2, vcc_lo
	v_dual_mov_b32 v4, v2 :: v_dual_mov_b32 v3, v1
; %bb.33:
	s_wait_alu 0xfffe
	s_or_b32 exec_lo, exec_lo, s3
	v_mov_b32_dpp v1, v5 row_shr:4 row_mask:0xf bank_mask:0xf
	v_mov_b32_dpp v6, v2 row_shr:4 row_mask:0xf bank_mask:0xf
	s_mov_b32 s3, exec_lo
	v_cmpx_lt_u32_e32 3, v46
	;; [unrolled: 17-line block ×3, first 2 shown]
; %bb.36:
	s_delay_alu instid0(VALU_DEP_3) | instskip(SKIP_2) | instid1(VALU_DEP_2)
	v_add_co_u32 v5, vcc_lo, v3, v6
	s_wait_alu 0xfffd
	v_add_co_ci_u32_e64 v2, null, 0, v4, vcc_lo
	v_add_co_u32 v3, vcc_lo, 0, v5
	s_wait_alu 0xfffd
	s_delay_alu instid0(VALU_DEP_2) | instskip(NEXT) | instid1(VALU_DEP_1)
	v_add_co_ci_u32_e64 v4, null, v1, v2, vcc_lo
	v_mov_b32_e32 v2, v4
; %bb.37:
	s_wait_alu 0xfffe
	s_or_b32 exec_lo, exec_lo, s3
	ds_swizzle_b32 v1, v5 offset:swizzle(BROADCAST,32,15)
	ds_swizzle_b32 v6, v2 offset:swizzle(BROADCAST,32,15)
	v_and_b32_e32 v7, 16, v45
	s_mov_b32 s3, exec_lo
	s_delay_alu instid0(VALU_DEP_1)
	v_cmpx_ne_u32_e32 0, v7
	s_cbranch_execz .LBB1406_39
; %bb.38:
	s_wait_dscnt 0x1
	v_add_co_u32 v5, vcc_lo, v3, v1
	s_wait_alu 0xfffd
	v_add_co_ci_u32_e64 v2, null, 0, v4, vcc_lo
	s_delay_alu instid0(VALU_DEP_2) | instskip(SKIP_2) | instid1(VALU_DEP_2)
	v_add_co_u32 v1, vcc_lo, 0, v5
	s_wait_dscnt 0x0
	s_wait_alu 0xfffd
	v_add_co_ci_u32_e64 v2, null, v6, v2, vcc_lo
	s_delay_alu instid0(VALU_DEP_1)
	v_dual_mov_b32 v4, v2 :: v_dual_mov_b32 v3, v1
.LBB1406_39:
	s_wait_alu 0xfffe
	s_or_b32 exec_lo, exec_lo, s3
	s_wait_dscnt 0x1
	v_and_b32_e32 v1, 0xe0, v0
	s_mov_b32 s3, exec_lo
	s_delay_alu instid0(VALU_DEP_1) | instskip(NEXT) | instid1(VALU_DEP_1)
	v_min_u32_e32 v1, 0xa0, v1
	v_or_b32_e32 v1, 31, v1
	s_delay_alu instid0(VALU_DEP_1)
	v_cmpx_eq_u32_e64 v0, v1
; %bb.40:
	v_lshlrev_b32_e32 v1, 3, v35
	ds_store_b64 v1, v[3:4]
; %bb.41:
	s_wait_alu 0xfffe
	s_or_b32 exec_lo, exec_lo, s3
	s_delay_alu instid0(SALU_CYCLE_1)
	s_mov_b32 s3, exec_lo
	s_wait_loadcnt_dscnt 0x0
	s_barrier_signal -1
	s_barrier_wait -1
	global_inv scope:SCOPE_SE
	v_cmpx_gt_u32_e32 6, v0
	s_cbranch_execz .LBB1406_49
; %bb.42:
	ds_load_b64 v[3:4], v38
	v_and_b32_e32 v1, 7, v45
	s_mov_b32 s4, exec_lo
	s_wait_dscnt 0x0
	v_mov_b32_dpp v8, v3 row_shr:1 row_mask:0xf bank_mask:0xf
	v_mov_b32_dpp v7, v4 row_shr:1 row_mask:0xf bank_mask:0xf
	v_mov_b32_e32 v6, v3
	v_cmpx_ne_u32_e32 0, v1
; %bb.43:
	s_delay_alu instid0(VALU_DEP_4) | instskip(SKIP_2) | instid1(VALU_DEP_2)
	v_add_co_u32 v6, vcc_lo, v3, v8
	s_wait_alu 0xfffd
	v_add_co_ci_u32_e64 v4, null, 0, v4, vcc_lo
	v_add_co_u32 v3, vcc_lo, 0, v6
	s_wait_alu 0xfffd
	s_delay_alu instid0(VALU_DEP_2)
	v_add_co_ci_u32_e64 v4, null, v7, v4, vcc_lo
; %bb.44:
	s_wait_alu 0xfffe
	s_or_b32 exec_lo, exec_lo, s4
	v_mov_b32_dpp v8, v6 row_shr:2 row_mask:0xf bank_mask:0xf
	s_delay_alu instid0(VALU_DEP_2)
	v_mov_b32_dpp v7, v4 row_shr:2 row_mask:0xf bank_mask:0xf
	s_mov_b32 s4, exec_lo
	v_cmpx_lt_u32_e32 1, v1
; %bb.45:
	s_delay_alu instid0(VALU_DEP_3) | instskip(SKIP_2) | instid1(VALU_DEP_2)
	v_add_co_u32 v6, vcc_lo, v3, v8
	s_wait_alu 0xfffd
	v_add_co_ci_u32_e64 v4, null, 0, v4, vcc_lo
	v_add_co_u32 v3, vcc_lo, 0, v6
	s_wait_alu 0xfffd
	s_delay_alu instid0(VALU_DEP_2)
	v_add_co_ci_u32_e64 v4, null, v7, v4, vcc_lo
; %bb.46:
	s_wait_alu 0xfffe
	s_or_b32 exec_lo, exec_lo, s4
	v_mov_b32_dpp v7, v6 row_shr:4 row_mask:0xf bank_mask:0xf
	s_delay_alu instid0(VALU_DEP_2)
	v_mov_b32_dpp v6, v4 row_shr:4 row_mask:0xf bank_mask:0xf
	s_mov_b32 s4, exec_lo
	v_cmpx_lt_u32_e32 3, v1
; %bb.47:
	s_delay_alu instid0(VALU_DEP_3) | instskip(SKIP_2) | instid1(VALU_DEP_2)
	v_add_co_u32 v1, vcc_lo, v3, v7
	s_wait_alu 0xfffd
	v_add_co_ci_u32_e64 v4, null, 0, v4, vcc_lo
	v_add_co_u32 v3, vcc_lo, v1, 0
	s_wait_alu 0xfffd
	s_delay_alu instid0(VALU_DEP_2)
	v_add_co_ci_u32_e64 v4, null, v4, v6, vcc_lo
; %bb.48:
	s_wait_alu 0xfffe
	s_or_b32 exec_lo, exec_lo, s4
	ds_store_b64 v38, v[3:4]
.LBB1406_49:
	s_wait_alu 0xfffe
	s_or_b32 exec_lo, exec_lo, s3
	s_delay_alu instid0(SALU_CYCLE_1)
	s_mov_b32 s4, exec_lo
	v_cmp_gt_u32_e32 vcc_lo, 32, v0
	s_wait_loadcnt_dscnt 0x0
	s_barrier_signal -1
	s_barrier_wait -1
	global_inv scope:SCOPE_SE
                                        ; implicit-def: $vgpr21_vgpr22
	v_cmpx_lt_u32_e32 31, v0
	s_cbranch_execz .LBB1406_51
; %bb.50:
	v_lshl_add_u32 v1, v35, 3, -8
	ds_load_b64 v[21:22], v1
	s_wait_dscnt 0x0
	v_add_co_u32 v5, s3, v5, v21
	s_wait_alu 0xf1ff
	v_add_co_ci_u32_e64 v2, null, v2, v22, s3
.LBB1406_51:
	s_wait_alu 0xfffe
	s_or_b32 exec_lo, exec_lo, s4
	v_sub_co_u32 v1, s3, v45, 1
	s_delay_alu instid0(VALU_DEP_1) | instskip(SKIP_1) | instid1(VALU_DEP_1)
	v_cmp_gt_i32_e64 s4, 0, v1
	s_wait_alu 0xf1ff
	v_cndmask_b32_e64 v1, v1, v45, s4
	s_delay_alu instid0(VALU_DEP_1)
	v_lshlrev_b32_e32 v1, 2, v1
	ds_bpermute_b32 v27, v1, v5
	ds_bpermute_b32 v28, v1, v2
	s_and_saveexec_b32 s4, vcc_lo
	s_cbranch_execz .LBB1406_90
; %bb.52:
	v_mov_b32_e32 v4, 0
	ds_load_b64 v[1:2], v4 offset:40
	s_and_saveexec_b32 s5, s3
	s_cbranch_execz .LBB1406_54
; %bb.53:
	s_add_co_i32 s12, ttmp9, 32
	s_mov_b32 s13, 0
	s_delay_alu instid0(SALU_CYCLE_1)
	s_lshl_b64 s[12:13], s[12:13], 4
	s_wait_kmcnt 0x0
	s_add_nc_u64 s[12:13], s[6:7], s[12:13]
	v_mov_b32_e32 v3, 1
	v_dual_mov_b32 v5, s12 :: v_dual_mov_b32 v6, s13
	s_wait_dscnt 0x0
	;;#ASMSTART
	global_store_b128 v[5:6], v[1:4] off scope:SCOPE_DEV	
s_wait_storecnt 0x0
	;;#ASMEND
.LBB1406_54:
	s_wait_alu 0xfffe
	s_or_b32 exec_lo, exec_lo, s5
	v_xad_u32 v23, v45, -1, ttmp9
	s_mov_b32 s12, 0
	s_mov_b32 s5, exec_lo
	s_delay_alu instid0(VALU_DEP_1) | instskip(NEXT) | instid1(VALU_DEP_1)
	v_add_nc_u32_e32 v3, 32, v23
	v_lshlrev_b64_e32 v[3:4], 4, v[3:4]
	s_wait_kmcnt 0x0
	s_delay_alu instid0(VALU_DEP_1) | instskip(SKIP_1) | instid1(VALU_DEP_2)
	v_add_co_u32 v3, vcc_lo, s6, v3
	s_wait_alu 0xfffd
	v_add_co_ci_u32_e64 v4, null, s7, v4, vcc_lo
	;;#ASMSTART
	global_load_b128 v[5:8], v[3:4] off scope:SCOPE_DEV	
s_wait_loadcnt 0x0
	;;#ASMEND
	v_and_b32_e32 v8, 0xff, v7
	s_delay_alu instid0(VALU_DEP_1)
	v_cmpx_eq_u16_e32 0, v8
	s_cbranch_execz .LBB1406_57
.LBB1406_55:                            ; =>This Inner Loop Header: Depth=1
	;;#ASMSTART
	global_load_b128 v[5:8], v[3:4] off scope:SCOPE_DEV	
s_wait_loadcnt 0x0
	;;#ASMEND
	v_and_b32_e32 v8, 0xff, v7
	s_delay_alu instid0(VALU_DEP_1)
	v_cmp_ne_u16_e32 vcc_lo, 0, v8
	s_wait_alu 0xfffe
	s_or_b32 s12, vcc_lo, s12
	s_wait_alu 0xfffe
	s_and_not1_b32 exec_lo, exec_lo, s12
	s_cbranch_execnz .LBB1406_55
; %bb.56:
	s_or_b32 exec_lo, exec_lo, s12
.LBB1406_57:
	s_wait_alu 0xfffe
	s_or_b32 exec_lo, exec_lo, s5
	v_cmp_ne_u32_e32 vcc_lo, 31, v45
	v_and_b32_e32 v4, 0xff, v7
	v_lshlrev_b32_e64 v30, v45, -1
	s_mov_b32 s5, exec_lo
	s_wait_alu 0xfffd
	v_add_co_ci_u32_e64 v3, null, 0, v45, vcc_lo
	v_cmp_eq_u16_e32 vcc_lo, 2, v4
	s_delay_alu instid0(VALU_DEP_2)
	v_dual_mov_b32 v4, v5 :: v_dual_lshlrev_b32 v29, 2, v3
	s_wait_alu 0xfffd
	v_and_or_b32 v3, vcc_lo, v30, 0x80000000
	ds_bpermute_b32 v24, v29, v5
	ds_bpermute_b32 v8, v29, v6
	v_ctz_i32_b32_e32 v3, v3
	s_delay_alu instid0(VALU_DEP_1)
	v_cmpx_lt_u32_e64 v45, v3
	s_cbranch_execz .LBB1406_59
; %bb.58:
	s_wait_dscnt 0x1
	v_add_co_u32 v4, vcc_lo, v5, v24
	s_wait_alu 0xfffd
	v_add_co_ci_u32_e64 v6, null, 0, v6, vcc_lo
	s_delay_alu instid0(VALU_DEP_2) | instskip(SKIP_2) | instid1(VALU_DEP_2)
	v_add_co_u32 v5, vcc_lo, 0, v4
	s_wait_dscnt 0x0
	s_wait_alu 0xfffd
	v_add_co_ci_u32_e64 v6, null, v8, v6, vcc_lo
.LBB1406_59:
	s_wait_alu 0xfffe
	s_or_b32 exec_lo, exec_lo, s5
	v_cmp_gt_u32_e32 vcc_lo, 30, v45
	v_add_nc_u32_e32 v32, 2, v45
	s_mov_b32 s5, exec_lo
	s_wait_dscnt 0x0
	s_wait_alu 0xfffd
	v_cndmask_b32_e64 v8, 0, 2, vcc_lo
	s_delay_alu instid0(VALU_DEP_1)
	v_add_lshl_u32 v31, v8, v45, 2
	ds_bpermute_b32 v24, v31, v4
	ds_bpermute_b32 v8, v31, v6
	v_cmpx_le_u32_e64 v32, v3
	s_cbranch_execz .LBB1406_61
; %bb.60:
	s_wait_dscnt 0x1
	v_add_co_u32 v4, vcc_lo, v5, v24
	s_wait_alu 0xfffd
	v_add_co_ci_u32_e64 v6, null, 0, v6, vcc_lo
	s_delay_alu instid0(VALU_DEP_2) | instskip(SKIP_2) | instid1(VALU_DEP_2)
	v_add_co_u32 v5, vcc_lo, 0, v4
	s_wait_dscnt 0x0
	s_wait_alu 0xfffd
	v_add_co_ci_u32_e64 v6, null, v8, v6, vcc_lo
.LBB1406_61:
	s_wait_alu 0xfffe
	s_or_b32 exec_lo, exec_lo, s5
	v_cmp_gt_u32_e32 vcc_lo, 28, v45
	v_add_nc_u32_e32 v34, 4, v45
	s_mov_b32 s5, exec_lo
	s_wait_dscnt 0x0
	s_wait_alu 0xfffd
	v_cndmask_b32_e64 v8, 0, 4, vcc_lo
	s_delay_alu instid0(VALU_DEP_1)
	v_add_lshl_u32 v33, v8, v45, 2
	ds_bpermute_b32 v24, v33, v4
	ds_bpermute_b32 v8, v33, v6
	v_cmpx_le_u32_e64 v34, v3
	;; [unrolled: 25-line block ×3, first 2 shown]
	s_cbranch_execz .LBB1406_65
; %bb.64:
	s_wait_dscnt 0x1
	v_add_co_u32 v4, vcc_lo, v5, v24
	s_wait_alu 0xfffd
	v_add_co_ci_u32_e64 v6, null, 0, v6, vcc_lo
	s_delay_alu instid0(VALU_DEP_2) | instskip(SKIP_2) | instid1(VALU_DEP_2)
	v_add_co_u32 v5, vcc_lo, 0, v4
	s_wait_dscnt 0x0
	s_wait_alu 0xfffd
	v_add_co_ci_u32_e64 v6, null, v8, v6, vcc_lo
.LBB1406_65:
	s_wait_alu 0xfffe
	s_or_b32 exec_lo, exec_lo, s5
	v_lshl_or_b32 v49, v45, 2, 64
	v_add_nc_u32_e32 v50, 16, v45
	s_mov_b32 s5, exec_lo
	s_wait_dscnt 0x0
	ds_bpermute_b32 v8, v49, v4
	ds_bpermute_b32 v4, v49, v6
	v_cmpx_le_u32_e64 v50, v3
	s_cbranch_execz .LBB1406_67
; %bb.66:
	s_wait_dscnt 0x1
	v_add_co_u32 v3, vcc_lo, v5, v8
	s_wait_alu 0xfffd
	v_add_co_ci_u32_e64 v6, null, 0, v6, vcc_lo
	s_delay_alu instid0(VALU_DEP_2) | instskip(SKIP_2) | instid1(VALU_DEP_2)
	v_add_co_u32 v5, vcc_lo, v3, 0
	s_wait_dscnt 0x0
	s_wait_alu 0xfffd
	v_add_co_ci_u32_e64 v6, null, v6, v4, vcc_lo
.LBB1406_67:
	s_wait_alu 0xfffe
	s_or_b32 exec_lo, exec_lo, s5
	v_mov_b32_e32 v24, 0
	s_branch .LBB1406_70
.LBB1406_68:                            ;   in Loop: Header=BB1406_70 Depth=1
	s_wait_alu 0xfffe
	s_or_b32 exec_lo, exec_lo, s5
	v_add_co_u32 v5, vcc_lo, v5, v3
	v_subrev_nc_u32_e32 v23, 32, v23
	s_wait_alu 0xfffd
	v_add_co_ci_u32_e64 v6, null, v6, v4, vcc_lo
	s_mov_b32 s5, 0
.LBB1406_69:                            ;   in Loop: Header=BB1406_70 Depth=1
	s_wait_alu 0xfffe
	s_and_b32 vcc_lo, exec_lo, s5
	s_wait_alu 0xfffe
	s_cbranch_vccnz .LBB1406_86
.LBB1406_70:                            ; =>This Loop Header: Depth=1
                                        ;     Child Loop BB1406_73 Depth 2
	v_and_b32_e32 v3, 0xff, v7
	s_mov_b32 s5, -1
	s_delay_alu instid0(VALU_DEP_1)
	v_cmp_ne_u16_e32 vcc_lo, 2, v3
	s_wait_dscnt 0x0
	v_dual_mov_b32 v3, v5 :: v_dual_mov_b32 v4, v6
                                        ; implicit-def: $vgpr5_vgpr6
	s_cmp_lg_u32 vcc_lo, exec_lo
	s_cbranch_scc1 .LBB1406_69
; %bb.71:                               ;   in Loop: Header=BB1406_70 Depth=1
	v_lshlrev_b64_e32 v[5:6], 4, v[23:24]
	s_mov_b32 s5, exec_lo
	s_delay_alu instid0(VALU_DEP_1) | instskip(SKIP_1) | instid1(VALU_DEP_2)
	v_add_co_u32 v25, vcc_lo, s6, v5
	s_wait_alu 0xfffd
	v_add_co_ci_u32_e64 v26, null, s7, v6, vcc_lo
	;;#ASMSTART
	global_load_b128 v[5:8], v[25:26] off scope:SCOPE_DEV	
s_wait_loadcnt 0x0
	;;#ASMEND
	v_and_b32_e32 v8, 0xff, v7
	s_delay_alu instid0(VALU_DEP_1)
	v_cmpx_eq_u16_e32 0, v8
	s_cbranch_execz .LBB1406_75
; %bb.72:                               ;   in Loop: Header=BB1406_70 Depth=1
	s_mov_b32 s12, 0
.LBB1406_73:                            ;   Parent Loop BB1406_70 Depth=1
                                        ; =>  This Inner Loop Header: Depth=2
	;;#ASMSTART
	global_load_b128 v[5:8], v[25:26] off scope:SCOPE_DEV	
s_wait_loadcnt 0x0
	;;#ASMEND
	v_and_b32_e32 v8, 0xff, v7
	s_delay_alu instid0(VALU_DEP_1)
	v_cmp_ne_u16_e32 vcc_lo, 0, v8
	s_wait_alu 0xfffe
	s_or_b32 s12, vcc_lo, s12
	s_wait_alu 0xfffe
	s_and_not1_b32 exec_lo, exec_lo, s12
	s_cbranch_execnz .LBB1406_73
; %bb.74:                               ;   in Loop: Header=BB1406_70 Depth=1
	s_or_b32 exec_lo, exec_lo, s12
.LBB1406_75:                            ;   in Loop: Header=BB1406_70 Depth=1
	s_wait_alu 0xfffe
	s_or_b32 exec_lo, exec_lo, s5
	v_dual_mov_b32 v25, v5 :: v_dual_and_b32 v8, 0xff, v7
	ds_bpermute_b32 v51, v29, v5
	ds_bpermute_b32 v26, v29, v6
	s_mov_b32 s5, exec_lo
	v_cmp_eq_u16_e32 vcc_lo, 2, v8
	s_wait_alu 0xfffd
	v_and_or_b32 v8, vcc_lo, v30, 0x80000000
	s_delay_alu instid0(VALU_DEP_1) | instskip(NEXT) | instid1(VALU_DEP_1)
	v_ctz_i32_b32_e32 v8, v8
	v_cmpx_lt_u32_e64 v45, v8
	s_cbranch_execz .LBB1406_77
; %bb.76:                               ;   in Loop: Header=BB1406_70 Depth=1
	s_wait_dscnt 0x1
	v_add_co_u32 v25, vcc_lo, v5, v51
	s_wait_alu 0xfffd
	v_add_co_ci_u32_e64 v6, null, 0, v6, vcc_lo
	s_delay_alu instid0(VALU_DEP_2) | instskip(SKIP_2) | instid1(VALU_DEP_2)
	v_add_co_u32 v5, vcc_lo, 0, v25
	s_wait_dscnt 0x0
	s_wait_alu 0xfffd
	v_add_co_ci_u32_e64 v6, null, v26, v6, vcc_lo
.LBB1406_77:                            ;   in Loop: Header=BB1406_70 Depth=1
	s_wait_alu 0xfffe
	s_or_b32 exec_lo, exec_lo, s5
	s_wait_dscnt 0x1
	ds_bpermute_b32 v51, v31, v25
	s_wait_dscnt 0x1
	ds_bpermute_b32 v26, v31, v6
	s_mov_b32 s5, exec_lo
	v_cmpx_le_u32_e64 v32, v8
	s_cbranch_execz .LBB1406_79
; %bb.78:                               ;   in Loop: Header=BB1406_70 Depth=1
	s_wait_dscnt 0x1
	v_add_co_u32 v25, vcc_lo, v5, v51
	s_wait_alu 0xfffd
	v_add_co_ci_u32_e64 v6, null, 0, v6, vcc_lo
	s_delay_alu instid0(VALU_DEP_2) | instskip(SKIP_2) | instid1(VALU_DEP_2)
	v_add_co_u32 v5, vcc_lo, 0, v25
	s_wait_dscnt 0x0
	s_wait_alu 0xfffd
	v_add_co_ci_u32_e64 v6, null, v26, v6, vcc_lo
.LBB1406_79:                            ;   in Loop: Header=BB1406_70 Depth=1
	s_wait_alu 0xfffe
	s_or_b32 exec_lo, exec_lo, s5
	s_wait_dscnt 0x1
	ds_bpermute_b32 v51, v33, v25
	s_wait_dscnt 0x1
	ds_bpermute_b32 v26, v33, v6
	s_mov_b32 s5, exec_lo
	v_cmpx_le_u32_e64 v34, v8
	;; [unrolled: 20-line block ×3, first 2 shown]
	s_cbranch_execz .LBB1406_83
; %bb.82:                               ;   in Loop: Header=BB1406_70 Depth=1
	s_wait_dscnt 0x1
	v_add_co_u32 v25, vcc_lo, v5, v51
	s_wait_alu 0xfffd
	v_add_co_ci_u32_e64 v6, null, 0, v6, vcc_lo
	s_delay_alu instid0(VALU_DEP_2) | instskip(SKIP_2) | instid1(VALU_DEP_2)
	v_add_co_u32 v5, vcc_lo, 0, v25
	s_wait_dscnt 0x0
	s_wait_alu 0xfffd
	v_add_co_ci_u32_e64 v6, null, v26, v6, vcc_lo
.LBB1406_83:                            ;   in Loop: Header=BB1406_70 Depth=1
	s_wait_alu 0xfffe
	s_or_b32 exec_lo, exec_lo, s5
	s_wait_dscnt 0x0
	ds_bpermute_b32 v26, v49, v25
	ds_bpermute_b32 v25, v49, v6
	s_mov_b32 s5, exec_lo
	v_cmpx_le_u32_e64 v50, v8
	s_cbranch_execz .LBB1406_68
; %bb.84:                               ;   in Loop: Header=BB1406_70 Depth=1
	s_wait_dscnt 0x1
	v_add_co_u32 v5, vcc_lo, v5, v26
	s_wait_alu 0xfffd
	v_add_co_ci_u32_e64 v6, null, 0, v6, vcc_lo
	s_delay_alu instid0(VALU_DEP_2) | instskip(SKIP_2) | instid1(VALU_DEP_2)
	v_add_co_u32 v5, vcc_lo, v5, 0
	s_wait_dscnt 0x0
	s_wait_alu 0xfffd
	v_add_co_ci_u32_e64 v6, null, v6, v25, vcc_lo
	s_branch .LBB1406_68
.LBB1406_85:
                                        ; implicit-def: $vgpr21_vgpr22
                                        ; implicit-def: $vgpr6_vgpr7
                                        ; implicit-def: $vgpr23_vgpr24
                                        ; implicit-def: $vgpr25_vgpr26
                                        ; implicit-def: $vgpr27_vgpr28
                                        ; implicit-def: $vgpr29_vgpr30
                                        ; implicit-def: $vgpr31_vgpr32
                                        ; implicit-def: $vgpr33_vgpr34
                                        ; implicit-def: $vgpr4_vgpr5
	s_load_b64 s[4:5], s[0:1], 0x30
	s_and_b32 vcc_lo, exec_lo, s3
	s_wait_alu 0xfffe
	s_cbranch_vccnz .LBB1406_91
	s_branch .LBB1406_116
.LBB1406_86:
	s_and_saveexec_b32 s5, s3
	s_cbranch_execz .LBB1406_88
; %bb.87:
	s_add_co_i32 s12, ttmp9, 32
	s_mov_b32 s13, 0
	v_add_co_u32 v5, vcc_lo, v3, v1
	s_wait_alu 0xfffe
	s_lshl_b64 s[12:13], s[12:13], 4
	v_dual_mov_b32 v7, 2 :: v_dual_mov_b32 v8, 0
	s_wait_alu 0xfffe
	s_add_nc_u64 s[12:13], s[6:7], s[12:13]
	s_wait_alu 0xfffd
	v_add_co_ci_u32_e64 v6, null, v4, v2, vcc_lo
	s_wait_alu 0xfffe
	v_dual_mov_b32 v24, s13 :: v_dual_mov_b32 v23, s12
	;;#ASMSTART
	global_store_b128 v[23:24], v[5:8] off scope:SCOPE_DEV	
s_wait_storecnt 0x0
	;;#ASMEND
	ds_store_b128 v8, v[1:4] offset:6336
.LBB1406_88:
	s_wait_alu 0xfffe
	s_or_b32 exec_lo, exec_lo, s5
	v_cmp_eq_u32_e32 vcc_lo, 0, v0
	s_and_b32 exec_lo, exec_lo, vcc_lo
; %bb.89:
	v_mov_b32_e32 v1, 0
	ds_store_b64 v1, v[3:4] offset:40
.LBB1406_90:
	s_wait_alu 0xfffe
	s_or_b32 exec_lo, exec_lo, s4
	s_wait_dscnt 0x1
	v_cndmask_b32_e64 v4, v27, v21, s3
	v_cmp_ne_u32_e32 vcc_lo, 0, v0
	v_mov_b32_e32 v3, 0
	s_wait_loadcnt_dscnt 0x0
	s_barrier_signal -1
	s_barrier_wait -1
	global_inv scope:SCOPE_SE
	s_wait_alu 0xfffd
	v_cndmask_b32_e32 v4, 0, v4, vcc_lo
	ds_load_b64 v[1:2], v3 offset:40
	v_cndmask_b32_e64 v5, v28, v22, s3
	s_wait_loadcnt_dscnt 0x0
	s_barrier_signal -1
	s_barrier_wait -1
	global_inv scope:SCOPE_SE
	v_cndmask_b32_e32 v5, 0, v5, vcc_lo
	v_add_co_u32 v33, vcc_lo, v1, v4
	s_wait_alu 0xfffd
	s_delay_alu instid0(VALU_DEP_2) | instskip(SKIP_4) | instid1(VALU_DEP_2)
	v_add_co_ci_u32_e64 v34, null, v2, v5, vcc_lo
	ds_load_b128 v[2:5], v3 offset:6336
	v_add_co_u32 v31, vcc_lo, v33, v41
	s_wait_alu 0xfffd
	v_add_co_ci_u32_e64 v32, null, 0, v34, vcc_lo
	v_add_co_u32 v29, vcc_lo, v31, v40
	s_wait_alu 0xfffd
	s_delay_alu instid0(VALU_DEP_2) | instskip(NEXT) | instid1(VALU_DEP_2)
	v_add_co_ci_u32_e64 v30, null, 0, v32, vcc_lo
	v_add_co_u32 v27, vcc_lo, v29, v39
	s_wait_alu 0xfffd
	s_delay_alu instid0(VALU_DEP_2) | instskip(NEXT) | instid1(VALU_DEP_2)
	;; [unrolled: 4-line block ×5, first 2 shown]
	v_add_co_ci_u32_e64 v7, null, 0, v24, vcc_lo
	v_add_co_u32 v21, vcc_lo, v6, v42
	s_wait_alu 0xfffd
	s_delay_alu instid0(VALU_DEP_2)
	v_add_co_ci_u32_e64 v22, null, 0, v7, vcc_lo
	s_load_b64 s[4:5], s[0:1], 0x30
	s_branch .LBB1406_116
.LBB1406_91:
	s_wait_dscnt 0x0
	v_dual_mov_b32 v2, 0 :: v_dual_mov_b32 v3, v19
	v_mov_b32_dpp v4, v19 row_shr:1 row_mask:0xf bank_mask:0xf
	s_delay_alu instid0(VALU_DEP_2)
	v_mov_b32_dpp v1, v2 row_shr:1 row_mask:0xf bank_mask:0xf
	s_and_saveexec_b32 s0, s2
; %bb.92:
	s_delay_alu instid0(VALU_DEP_2) | instskip(SKIP_2) | instid1(VALU_DEP_2)
	v_add_co_u32 v3, vcc_lo, v19, v4
	s_wait_alu 0xfffd
	v_add_co_ci_u32_e64 v2, null, 0, v20, vcc_lo
	v_add_co_u32 v19, vcc_lo, 0, v3
	s_wait_alu 0xfffd
	s_delay_alu instid0(VALU_DEP_2) | instskip(NEXT) | instid1(VALU_DEP_1)
	v_add_co_ci_u32_e64 v20, null, v1, v2, vcc_lo
	v_mov_b32_e32 v2, v20
; %bb.93:
	s_or_b32 exec_lo, exec_lo, s0
	v_mov_b32_dpp v1, v3 row_shr:2 row_mask:0xf bank_mask:0xf
	s_delay_alu instid0(VALU_DEP_2)
	v_mov_b32_dpp v4, v2 row_shr:2 row_mask:0xf bank_mask:0xf
	s_mov_b32 s0, exec_lo
	v_cmpx_lt_u32_e32 1, v46
; %bb.94:
	s_delay_alu instid0(VALU_DEP_3) | instskip(SKIP_2) | instid1(VALU_DEP_2)
	v_add_co_u32 v3, vcc_lo, v19, v1
	s_wait_alu 0xfffd
	v_add_co_ci_u32_e64 v2, null, 0, v20, vcc_lo
	v_add_co_u32 v1, vcc_lo, 0, v3
	s_wait_alu 0xfffd
	s_delay_alu instid0(VALU_DEP_2) | instskip(NEXT) | instid1(VALU_DEP_1)
	v_add_co_ci_u32_e64 v2, null, v4, v2, vcc_lo
	v_dual_mov_b32 v20, v2 :: v_dual_mov_b32 v19, v1
; %bb.95:
	s_or_b32 exec_lo, exec_lo, s0
	v_mov_b32_dpp v1, v3 row_shr:4 row_mask:0xf bank_mask:0xf
	v_mov_b32_dpp v4, v2 row_shr:4 row_mask:0xf bank_mask:0xf
	s_mov_b32 s0, exec_lo
	v_cmpx_lt_u32_e32 3, v46
; %bb.96:
	s_delay_alu instid0(VALU_DEP_3) | instskip(SKIP_2) | instid1(VALU_DEP_2)
	v_add_co_u32 v3, vcc_lo, v19, v1
	s_wait_alu 0xfffd
	v_add_co_ci_u32_e64 v2, null, 0, v20, vcc_lo
	v_add_co_u32 v1, vcc_lo, 0, v3
	s_wait_alu 0xfffd
	s_delay_alu instid0(VALU_DEP_2) | instskip(NEXT) | instid1(VALU_DEP_1)
	v_add_co_ci_u32_e64 v2, null, v4, v2, vcc_lo
	v_dual_mov_b32 v20, v2 :: v_dual_mov_b32 v19, v1
; %bb.97:
	s_or_b32 exec_lo, exec_lo, s0
	v_mov_b32_dpp v4, v3 row_shr:8 row_mask:0xf bank_mask:0xf
	v_mov_b32_dpp v1, v2 row_shr:8 row_mask:0xf bank_mask:0xf
	s_mov_b32 s0, exec_lo
	v_cmpx_lt_u32_e32 7, v46
; %bb.98:
	s_delay_alu instid0(VALU_DEP_3) | instskip(SKIP_2) | instid1(VALU_DEP_2)
	v_add_co_u32 v3, vcc_lo, v19, v4
	s_wait_alu 0xfffd
	v_add_co_ci_u32_e64 v2, null, 0, v20, vcc_lo
	v_add_co_u32 v19, vcc_lo, 0, v3
	s_wait_alu 0xfffd
	s_delay_alu instid0(VALU_DEP_2) | instskip(NEXT) | instid1(VALU_DEP_1)
	v_add_co_ci_u32_e64 v20, null, v1, v2, vcc_lo
	v_mov_b32_e32 v2, v20
; %bb.99:
	s_or_b32 exec_lo, exec_lo, s0
	ds_swizzle_b32 v3, v3 offset:swizzle(BROADCAST,32,15)
	ds_swizzle_b32 v1, v2 offset:swizzle(BROADCAST,32,15)
	v_and_b32_e32 v2, 16, v45
	s_mov_b32 s0, exec_lo
	s_delay_alu instid0(VALU_DEP_1)
	v_cmpx_ne_u32_e32 0, v2
	s_cbranch_execz .LBB1406_101
; %bb.100:
	s_wait_dscnt 0x1
	v_add_co_u32 v2, vcc_lo, v19, v3
	s_wait_alu 0xfffd
	v_add_co_ci_u32_e64 v3, null, 0, v20, vcc_lo
	s_delay_alu instid0(VALU_DEP_2) | instskip(SKIP_2) | instid1(VALU_DEP_2)
	v_add_co_u32 v19, vcc_lo, v2, 0
	s_wait_dscnt 0x0
	s_wait_alu 0xfffd
	v_add_co_ci_u32_e64 v20, null, v3, v1, vcc_lo
.LBB1406_101:
	s_or_b32 exec_lo, exec_lo, s0
	s_wait_dscnt 0x0
	v_and_b32_e32 v1, 0xe0, v0
	s_mov_b32 s0, exec_lo
	s_delay_alu instid0(VALU_DEP_1) | instskip(NEXT) | instid1(VALU_DEP_1)
	v_min_u32_e32 v1, 0xa0, v1
	v_or_b32_e32 v1, 31, v1
	s_delay_alu instid0(VALU_DEP_1)
	v_cmpx_eq_u32_e64 v0, v1
; %bb.102:
	v_lshlrev_b32_e32 v1, 3, v35
	ds_store_b64 v1, v[19:20]
; %bb.103:
	s_or_b32 exec_lo, exec_lo, s0
	s_delay_alu instid0(SALU_CYCLE_1)
	s_mov_b32 s0, exec_lo
	s_wait_loadcnt_dscnt 0x0
	s_barrier_signal -1
	s_barrier_wait -1
	global_inv scope:SCOPE_SE
	v_cmpx_gt_u32_e32 6, v0
	s_cbranch_execz .LBB1406_111
; %bb.104:
	ds_load_b64 v[1:2], v38
	v_and_b32_e32 v3, 7, v45
	s_mov_b32 s1, exec_lo
	s_wait_dscnt 0x0
	v_mov_b32_dpp v6, v1 row_shr:1 row_mask:0xf bank_mask:0xf
	v_mov_b32_dpp v5, v2 row_shr:1 row_mask:0xf bank_mask:0xf
	v_mov_b32_e32 v4, v1
	v_cmpx_ne_u32_e32 0, v3
; %bb.105:
	s_delay_alu instid0(VALU_DEP_4) | instskip(SKIP_2) | instid1(VALU_DEP_2)
	v_add_co_u32 v4, vcc_lo, v1, v6
	s_wait_alu 0xfffd
	v_add_co_ci_u32_e64 v2, null, 0, v2, vcc_lo
	v_add_co_u32 v1, vcc_lo, 0, v4
	s_wait_alu 0xfffd
	s_delay_alu instid0(VALU_DEP_2)
	v_add_co_ci_u32_e64 v2, null, v5, v2, vcc_lo
; %bb.106:
	s_or_b32 exec_lo, exec_lo, s1
	v_mov_b32_dpp v6, v4 row_shr:2 row_mask:0xf bank_mask:0xf
	s_delay_alu instid0(VALU_DEP_2)
	v_mov_b32_dpp v5, v2 row_shr:2 row_mask:0xf bank_mask:0xf
	s_mov_b32 s1, exec_lo
	v_cmpx_lt_u32_e32 1, v3
; %bb.107:
	s_delay_alu instid0(VALU_DEP_3) | instskip(SKIP_2) | instid1(VALU_DEP_2)
	v_add_co_u32 v4, vcc_lo, v1, v6
	s_wait_alu 0xfffd
	v_add_co_ci_u32_e64 v2, null, 0, v2, vcc_lo
	v_add_co_u32 v1, vcc_lo, 0, v4
	s_wait_alu 0xfffd
	s_delay_alu instid0(VALU_DEP_2)
	v_add_co_ci_u32_e64 v2, null, v5, v2, vcc_lo
; %bb.108:
	s_or_b32 exec_lo, exec_lo, s1
	v_mov_b32_dpp v5, v4 row_shr:4 row_mask:0xf bank_mask:0xf
	s_delay_alu instid0(VALU_DEP_2)
	v_mov_b32_dpp v4, v2 row_shr:4 row_mask:0xf bank_mask:0xf
	s_mov_b32 s1, exec_lo
	v_cmpx_lt_u32_e32 3, v3
; %bb.109:
	s_delay_alu instid0(VALU_DEP_3) | instskip(SKIP_2) | instid1(VALU_DEP_2)
	v_add_co_u32 v1, vcc_lo, v1, v5
	s_wait_alu 0xfffd
	v_add_co_ci_u32_e64 v2, null, 0, v2, vcc_lo
	v_add_co_u32 v1, vcc_lo, v1, 0
	s_wait_alu 0xfffd
	s_delay_alu instid0(VALU_DEP_2)
	v_add_co_ci_u32_e64 v2, null, v2, v4, vcc_lo
; %bb.110:
	s_or_b32 exec_lo, exec_lo, s1
	ds_store_b64 v38, v[1:2]
.LBB1406_111:
	s_or_b32 exec_lo, exec_lo, s0
	v_mov_b32_e32 v6, 0
	v_mov_b32_e32 v7, 0
	s_mov_b32 s0, exec_lo
	s_wait_loadcnt_dscnt 0x0
	s_barrier_signal -1
	s_barrier_wait -1
	global_inv scope:SCOPE_SE
	v_cmpx_lt_u32_e32 31, v0
; %bb.112:
	v_lshl_add_u32 v1, v35, 3, -8
	ds_load_b64 v[6:7], v1
; %bb.113:
	s_or_b32 exec_lo, exec_lo, s0
	v_sub_co_u32 v1, vcc_lo, v45, 1
	v_mov_b32_e32 v5, 0
	s_delay_alu instid0(VALU_DEP_2) | instskip(NEXT) | instid1(VALU_DEP_1)
	v_cmp_gt_i32_e64 s0, 0, v1
	v_cndmask_b32_e64 v1, v1, v45, s0
	s_delay_alu instid0(VALU_DEP_1)
	v_lshlrev_b32_e32 v2, 2, v1
	s_wait_dscnt 0x0
	v_add_co_u32 v1, s0, v6, v19
	s_wait_alu 0xf1ff
	v_add_co_ci_u32_e64 v3, null, v7, v20, s0
	v_cmp_eq_u32_e64 s0, 0, v0
	ds_bpermute_b32 v1, v2, v1
	ds_bpermute_b32 v8, v2, v3
	ds_load_b64 v[2:3], v5 offset:40
	s_and_saveexec_b32 s1, s0
	s_cbranch_execz .LBB1406_115
; %bb.114:
	s_wait_kmcnt 0x0
	s_add_nc_u64 s[2:3], s[6:7], 0x200
	v_mov_b32_e32 v4, 2
	s_wait_alu 0xfffe
	v_dual_mov_b32 v20, s3 :: v_dual_mov_b32 v19, s2
	s_wait_dscnt 0x0
	;;#ASMSTART
	global_store_b128 v[19:20], v[2:5] off scope:SCOPE_DEV	
s_wait_storecnt 0x0
	;;#ASMEND
.LBB1406_115:
	s_wait_alu 0xfffe
	s_or_b32 exec_lo, exec_lo, s1
	s_wait_dscnt 0x1
	s_wait_alu 0xfffd
	v_dual_cndmask_b32 v1, v1, v6 :: v_dual_cndmask_b32 v4, v8, v7
	s_wait_loadcnt_dscnt 0x0
	s_barrier_signal -1
	s_barrier_wait -1
	s_delay_alu instid0(VALU_DEP_1)
	v_cndmask_b32_e64 v33, v1, 0, s0
	v_cndmask_b32_e64 v34, v4, 0, s0
	v_mov_b32_e32 v4, 0
	v_mov_b32_e32 v5, 0
	global_inv scope:SCOPE_SE
	v_add_co_u32 v31, vcc_lo, v33, v41
	s_wait_alu 0xfffd
	v_add_co_ci_u32_e64 v32, null, 0, v34, vcc_lo
	s_delay_alu instid0(VALU_DEP_2) | instskip(SKIP_1) | instid1(VALU_DEP_2)
	v_add_co_u32 v29, vcc_lo, v31, v40
	s_wait_alu 0xfffd
	v_add_co_ci_u32_e64 v30, null, 0, v32, vcc_lo
	s_delay_alu instid0(VALU_DEP_2) | instskip(SKIP_1) | instid1(VALU_DEP_2)
	;; [unrolled: 4-line block ×6, first 2 shown]
	v_add_co_u32 v21, vcc_lo, v6, v42
	s_wait_alu 0xfffd
	v_add_co_ci_u32_e64 v22, null, 0, v7, vcc_lo
.LBB1406_116:
	v_lshrrev_b32_e32 v38, 8, v17
	v_lshrrev_b32_e32 v35, 16, v17
	v_and_b32_e32 v17, 1, v17
	s_wait_dscnt 0x0
	v_cmp_gt_u64_e32 vcc_lo, 0xc1, v[2:3]
	v_lshrrev_b32_e32 v8, 8, v18
	v_lshrrev_b32_e32 v1, 16, v18
	s_mov_b32 s1, -1
	v_cmp_eq_u32_e64 s0, 1, v17
	s_cbranch_vccnz .LBB1406_120
; %bb.117:
	s_wait_alu 0xfffe
	s_and_b32 vcc_lo, exec_lo, s1
	s_wait_alu 0xfffe
	s_cbranch_vccnz .LBB1406_137
.LBB1406_118:
	v_cmp_eq_u32_e32 vcc_lo, 0, v0
	s_and_b32 s0, vcc_lo, s16
	s_wait_alu 0xfffe
	s_and_saveexec_b32 s1, s0
	s_cbranch_execnz .LBB1406_157
.LBB1406_119:
	s_endpgm
.LBB1406_120:
	v_add_co_u32 v19, vcc_lo, v4, v2
	s_wait_alu 0xfffd
	v_add_co_ci_u32_e64 v20, null, v5, v3, vcc_lo
	s_lshl_b64 s[2:3], s[10:11], 2
	s_wait_kmcnt 0x0
	s_wait_alu 0xfffe
	s_add_nc_u64 s[2:3], s[4:5], s[2:3]
	v_cmp_lt_u64_e32 vcc_lo, v[33:34], v[19:20]
	s_or_b32 s1, s17, vcc_lo
	s_wait_alu 0xfffe
	s_and_b32 s1, s1, s0
	s_wait_alu 0xfffe
	s_and_saveexec_b32 s0, s1
	s_cbranch_execz .LBB1406_122
; %bb.121:
	v_lshlrev_b64_e32 v[39:40], 2, v[33:34]
	s_delay_alu instid0(VALU_DEP_1) | instskip(SKIP_1) | instid1(VALU_DEP_2)
	v_add_co_u32 v39, vcc_lo, s2, v39
	s_wait_alu 0xfffd
	v_add_co_ci_u32_e64 v40, null, s3, v40, vcc_lo
	global_store_b32 v[39:40], v15, off
.LBB1406_122:
	s_wait_alu 0xfffe
	s_or_b32 exec_lo, exec_lo, s0
	v_and_b32_e32 v34, 1, v38
	v_cmp_lt_u64_e32 vcc_lo, v[31:32], v[19:20]
	s_delay_alu instid0(VALU_DEP_2)
	v_cmp_eq_u32_e64 s0, 1, v34
	s_or_b32 s1, s17, vcc_lo
	s_wait_alu 0xfffe
	s_and_b32 s1, s1, s0
	s_wait_alu 0xfffe
	s_and_saveexec_b32 s0, s1
	s_cbranch_execz .LBB1406_124
; %bb.123:
	v_lshlrev_b64_e32 v[39:40], 2, v[31:32]
	s_delay_alu instid0(VALU_DEP_1) | instskip(SKIP_1) | instid1(VALU_DEP_2)
	v_add_co_u32 v39, vcc_lo, s2, v39
	s_wait_alu 0xfffd
	v_add_co_ci_u32_e64 v40, null, s3, v40, vcc_lo
	global_store_b32 v[39:40], v16, off
.LBB1406_124:
	s_wait_alu 0xfffe
	s_or_b32 exec_lo, exec_lo, s0
	v_and_b32_e32 v32, 1, v35
	v_cmp_lt_u64_e32 vcc_lo, v[29:30], v[19:20]
	s_delay_alu instid0(VALU_DEP_2)
	v_cmp_eq_u32_e64 s0, 1, v32
	;; [unrolled: 20-line block ×7, first 2 shown]
	s_or_b32 s1, s17, vcc_lo
	s_wait_alu 0xfffe
	s_and_b32 s1, s1, s0
	s_wait_alu 0xfffe
	s_and_saveexec_b32 s0, s1
	s_cbranch_execz .LBB1406_136
; %bb.135:
	v_lshlrev_b64_e32 v[19:20], 2, v[21:22]
	s_delay_alu instid0(VALU_DEP_1) | instskip(SKIP_1) | instid1(VALU_DEP_2)
	v_add_co_u32 v19, vcc_lo, s2, v19
	s_wait_alu 0xfffd
	v_add_co_ci_u32_e64 v20, null, s3, v20, vcc_lo
	global_store_b32 v[19:20], v10, off
.LBB1406_136:
	s_wait_alu 0xfffe
	s_or_b32 exec_lo, exec_lo, s0
	s_branch .LBB1406_118
.LBB1406_137:
	s_mov_b32 s0, exec_lo
	v_cmpx_eq_u32_e32 1, v17
; %bb.138:
	v_sub_nc_u32_e32 v7, v33, v4
	s_delay_alu instid0(VALU_DEP_1)
	v_lshlrev_b32_e32 v7, 2, v7
	ds_store_b32 v7, v15
; %bb.139:
	s_wait_alu 0xfffe
	s_or_b32 exec_lo, exec_lo, s0
	v_and_b32_e32 v7, 1, v38
	s_mov_b32 s0, exec_lo
	s_delay_alu instid0(VALU_DEP_1)
	v_cmpx_eq_u32_e32 1, v7
; %bb.140:
	v_sub_nc_u32_e32 v7, v31, v4
	s_delay_alu instid0(VALU_DEP_1)
	v_lshlrev_b32_e32 v7, 2, v7
	ds_store_b32 v7, v16
; %bb.141:
	s_wait_alu 0xfffe
	s_or_b32 exec_lo, exec_lo, s0
	v_and_b32_e32 v7, 1, v35
	s_mov_b32 s0, exec_lo
	s_delay_alu instid0(VALU_DEP_1)
	v_cmpx_eq_u32_e32 1, v7
; %bb.142:
	v_sub_nc_u32_e32 v7, v29, v4
	s_delay_alu instid0(VALU_DEP_1)
	v_lshlrev_b32_e32 v7, 2, v7
	ds_store_b32 v7, v13
; %bb.143:
	s_wait_alu 0xfffe
	s_or_b32 exec_lo, exec_lo, s0
	v_and_b32_e32 v7, 1, v37
	s_mov_b32 s0, exec_lo
	s_delay_alu instid0(VALU_DEP_1)
	v_cmpx_eq_u32_e32 1, v7
; %bb.144:
	v_sub_nc_u32_e32 v7, v27, v4
	s_delay_alu instid0(VALU_DEP_1)
	v_lshlrev_b32_e32 v7, 2, v7
	ds_store_b32 v7, v14
; %bb.145:
	s_wait_alu 0xfffe
	s_or_b32 exec_lo, exec_lo, s0
	v_and_b32_e32 v7, 1, v18
	s_mov_b32 s0, exec_lo
	s_delay_alu instid0(VALU_DEP_1)
	v_cmpx_eq_u32_e32 1, v7
; %bb.146:
	v_sub_nc_u32_e32 v7, v25, v4
	s_delay_alu instid0(VALU_DEP_1)
	v_lshlrev_b32_e32 v7, 2, v7
	ds_store_b32 v7, v11
; %bb.147:
	s_wait_alu 0xfffe
	s_or_b32 exec_lo, exec_lo, s0
	v_and_b32_e32 v7, 1, v8
	s_mov_b32 s0, exec_lo
	s_delay_alu instid0(VALU_DEP_1)
	v_cmpx_eq_u32_e32 1, v7
; %bb.148:
	v_sub_nc_u32_e32 v7, v23, v4
	s_delay_alu instid0(VALU_DEP_1)
	v_lshlrev_b32_e32 v7, 2, v7
	ds_store_b32 v7, v12
; %bb.149:
	s_wait_alu 0xfffe
	s_or_b32 exec_lo, exec_lo, s0
	v_and_b32_e32 v1, 1, v1
	s_mov_b32 s0, exec_lo
	s_delay_alu instid0(VALU_DEP_1)
	v_cmpx_eq_u32_e32 1, v1
; %bb.150:
	v_sub_nc_u32_e32 v1, v6, v4
	s_delay_alu instid0(VALU_DEP_1)
	v_lshlrev_b32_e32 v1, 2, v1
	ds_store_b32 v1, v9
; %bb.151:
	s_wait_alu 0xfffe
	s_or_b32 exec_lo, exec_lo, s0
	v_and_b32_e32 v1, 1, v36
	s_mov_b32 s0, exec_lo
	s_delay_alu instid0(VALU_DEP_1)
	v_cmpx_eq_u32_e32 1, v1
; %bb.152:
	v_sub_nc_u32_e32 v1, v21, v4
	s_delay_alu instid0(VALU_DEP_1)
	v_lshlrev_b32_e32 v1, 2, v1
	ds_store_b32 v1, v10
; %bb.153:
	s_wait_alu 0xfffe
	s_or_b32 exec_lo, exec_lo, s0
	v_mov_b32_e32 v7, 0
	s_mov_b32 s1, exec_lo
	s_wait_storecnt 0x0
	s_wait_loadcnt_dscnt 0x0
	s_barrier_signal -1
	s_barrier_wait -1
	v_mov_b32_e32 v1, v7
	global_inv scope:SCOPE_SE
	v_cmpx_gt_u64_e64 v[2:3], v[0:1]
	s_cbranch_execz .LBB1406_156
; %bb.154:
	v_lshlrev_b64_e32 v[8:9], 2, v[4:5]
	s_lshl_b64 s[2:3], s[10:11], 2
	v_add_nc_u32_e32 v6, 0xc0, v0
	s_wait_kmcnt 0x0
	s_delay_alu instid0(VALU_DEP_2) | instskip(SKIP_3) | instid1(VALU_DEP_2)
	v_add_co_u32 v8, vcc_lo, s4, v8
	s_wait_alu 0xfffd
	v_add_co_ci_u32_e64 v9, null, s5, v9, vcc_lo
	s_wait_alu 0xfffe
	v_add_co_u32 v10, vcc_lo, v8, s2
	s_wait_alu 0xfffd
	s_delay_alu instid0(VALU_DEP_2)
	v_add_co_ci_u32_e64 v11, null, s3, v9, vcc_lo
	v_dual_mov_b32 v9, v1 :: v_dual_mov_b32 v8, v0
	s_mov_b32 s2, 0
.LBB1406_155:                           ; =>This Inner Loop Header: Depth=1
	s_delay_alu instid0(VALU_DEP_1) | instskip(NEXT) | instid1(VALU_DEP_2)
	v_lshlrev_b32_e32 v1, 2, v8
	v_lshlrev_b64_e32 v[12:13], 2, v[8:9]
	v_dual_mov_b32 v9, v7 :: v_dual_mov_b32 v8, v6
	v_cmp_le_u64_e32 vcc_lo, v[2:3], v[6:7]
	ds_load_b32 v1, v1
	v_add_nc_u32_e32 v6, 0xc0, v6
	v_add_co_u32 v12, s0, v10, v12
	s_wait_alu 0xf1ff
	v_add_co_ci_u32_e64 v13, null, v11, v13, s0
	s_wait_alu 0xfffe
	s_or_b32 s2, vcc_lo, s2
	s_wait_dscnt 0x0
	global_store_b32 v[12:13], v1, off
	s_wait_alu 0xfffe
	s_and_not1_b32 exec_lo, exec_lo, s2
	s_cbranch_execnz .LBB1406_155
.LBB1406_156:
	s_wait_alu 0xfffe
	s_or_b32 exec_lo, exec_lo, s1
	v_cmp_eq_u32_e32 vcc_lo, 0, v0
	s_and_b32 s0, vcc_lo, s16
	s_wait_alu 0xfffe
	s_and_saveexec_b32 s1, s0
	s_cbranch_execz .LBB1406_119
.LBB1406_157:
	v_add_co_u32 v0, vcc_lo, v4, v2
	s_wait_alu 0xfffd
	v_add_co_ci_u32_e64 v1, null, v5, v3, vcc_lo
	v_mov_b32_e32 v2, 0
	s_delay_alu instid0(VALU_DEP_3) | instskip(SKIP_1) | instid1(VALU_DEP_3)
	v_add_co_u32 v0, vcc_lo, v0, s10
	s_wait_alu 0xfffd
	v_add_co_ci_u32_e64 v1, null, s11, v1, vcc_lo
	global_store_b64 v2, v[0:1], s[8:9]
	s_endpgm
.LBB1406_158:
	v_add_co_u32 v11, s3, s6, v23
	s_wait_alu 0xf1ff
	v_add_co_ci_u32_e64 v12, null, s7, 0, s3
	flat_load_b32 v2, v[11:12] offset:768
	s_wait_alu 0xfffe
	s_or_b32 exec_lo, exec_lo, s2
	s_delay_alu instid0(SALU_CYCLE_1)
	s_mov_b32 s2, exec_lo
	v_cmpx_gt_u32_e64 s18, v22
	s_cbranch_execz .LBB1406_7
.LBB1406_159:
	v_add_co_u32 v11, s3, s6, v23
	s_wait_alu 0xf1ff
	v_add_co_ci_u32_e64 v12, null, s7, 0, s3
	flat_load_b32 v3, v[11:12] offset:1536
	s_wait_alu 0xfffe
	s_or_b32 exec_lo, exec_lo, s2
	s_delay_alu instid0(SALU_CYCLE_1)
	s_mov_b32 s2, exec_lo
	v_cmpx_gt_u32_e64 s18, v21
	s_cbranch_execz .LBB1406_8
.LBB1406_160:
	v_add_co_u32 v11, s3, s6, v23
	s_wait_alu 0xf1ff
	v_add_co_ci_u32_e64 v12, null, s7, 0, s3
	flat_load_b32 v4, v[11:12] offset:2304
	s_wait_alu 0xfffe
	s_or_b32 exec_lo, exec_lo, s2
	s_delay_alu instid0(SALU_CYCLE_1)
	s_mov_b32 s2, exec_lo
	v_cmpx_gt_u32_e64 s18, v18
	s_cbranch_execz .LBB1406_9
.LBB1406_161:
	v_add_co_u32 v11, s3, s6, v23
	s_wait_alu 0xf1ff
	v_add_co_ci_u32_e64 v12, null, s7, 0, s3
	flat_load_b32 v5, v[11:12] offset:3072
	s_wait_alu 0xfffe
	s_or_b32 exec_lo, exec_lo, s2
	s_delay_alu instid0(SALU_CYCLE_1)
	s_mov_b32 s2, exec_lo
	v_cmpx_gt_u32_e64 s18, v20
	s_cbranch_execz .LBB1406_10
.LBB1406_162:
	v_add_co_u32 v11, s3, s6, v23
	s_wait_alu 0xf1ff
	v_add_co_ci_u32_e64 v12, null, s7, 0, s3
	flat_load_b32 v6, v[11:12] offset:3840
	s_wait_alu 0xfffe
	s_or_b32 exec_lo, exec_lo, s2
	s_delay_alu instid0(SALU_CYCLE_1)
	s_mov_b32 s2, exec_lo
	v_cmpx_gt_u32_e64 s18, v17
	s_cbranch_execz .LBB1406_11
.LBB1406_163:
	v_add_co_u32 v11, s3, s6, v23
	s_wait_alu 0xf1ff
	v_add_co_ci_u32_e64 v12, null, s7, 0, s3
	flat_load_b32 v7, v[11:12] offset:4608
	s_wait_alu 0xfffe
	s_or_b32 exec_lo, exec_lo, s2
	s_delay_alu instid0(SALU_CYCLE_1)
	s_mov_b32 s2, exec_lo
	v_cmpx_gt_u32_e64 s18, v19
	s_cbranch_execnz .LBB1406_12
	s_branch .LBB1406_13
.LBB1406_164:
	global_load_b32 v6, v23, s[2:3] offset:768
	v_and_b32_e32 v7, 0xff, v2
	s_wait_loadcnt 0x0
	v_cmp_eq_u32_e32 vcc_lo, 0, v6
	s_wait_alu 0xfffd
	v_cndmask_b32_e64 v6, 0, 1, vcc_lo
	s_delay_alu instid0(VALU_DEP_1) | instskip(NEXT) | instid1(VALU_DEP_1)
	v_lshlrev_b16 v6, 8, v6
	v_or_b32_e32 v6, v7, v6
	s_delay_alu instid0(VALU_DEP_1) | instskip(NEXT) | instid1(VALU_DEP_1)
	v_and_b32_e32 v6, 0xffff, v6
	v_and_or_b32 v2, 0xffff0000, v2, v6
	s_wait_alu 0xfffe
	s_or_b32 exec_lo, exec_lo, s4
	s_delay_alu instid0(SALU_CYCLE_1)
	s_mov_b32 s4, exec_lo
	v_cmpx_gt_u32_e64 s18, v22
	s_cbranch_execz .LBB1406_21
.LBB1406_165:
	global_load_b32 v6, v23, s[2:3] offset:1536
	v_lshrrev_b32_e32 v7, 16, v2
	s_delay_alu instid0(VALU_DEP_1) | instskip(SKIP_4) | instid1(VALU_DEP_1)
	v_and_b32_e32 v7, 0xffffff00, v7
	s_wait_loadcnt 0x0
	v_cmp_eq_u32_e32 vcc_lo, 0, v6
	s_wait_alu 0xfffd
	v_cndmask_b32_e64 v6, 0, 1, vcc_lo
	v_or_b32_e32 v6, v6, v7
	s_delay_alu instid0(VALU_DEP_1) | instskip(NEXT) | instid1(VALU_DEP_1)
	v_lshlrev_b32_e32 v6, 16, v6
	v_and_or_b32 v2, 0xffff, v2, v6
	s_wait_alu 0xfffe
	s_or_b32 exec_lo, exec_lo, s4
	s_delay_alu instid0(SALU_CYCLE_1)
	s_mov_b32 s4, exec_lo
	v_cmpx_gt_u32_e64 s18, v21
	s_cbranch_execz .LBB1406_22
.LBB1406_166:
	global_load_b32 v6, v23, s[2:3] offset:2304
	v_lshrrev_b32_e32 v7, 16, v2
	s_delay_alu instid0(VALU_DEP_1) | instskip(SKIP_4) | instid1(VALU_DEP_1)
	v_and_b32_e32 v7, 0xff, v7
	s_wait_loadcnt 0x0
	v_cmp_eq_u32_e32 vcc_lo, 0, v6
	s_wait_alu 0xfffd
	v_cndmask_b32_e64 v6, 0, 1, vcc_lo
	v_lshlrev_b16 v6, 8, v6
	s_delay_alu instid0(VALU_DEP_1) | instskip(NEXT) | instid1(VALU_DEP_1)
	v_or_b32_e32 v6, v7, v6
	v_lshlrev_b32_e32 v6, 16, v6
	s_delay_alu instid0(VALU_DEP_1) | instskip(SKIP_2) | instid1(SALU_CYCLE_1)
	v_and_or_b32 v2, 0xffff, v2, v6
	s_wait_alu 0xfffe
	s_or_b32 exec_lo, exec_lo, s4
	s_mov_b32 s4, exec_lo
	v_cmpx_gt_u32_e64 s18, v18
	s_cbranch_execz .LBB1406_23
.LBB1406_167:
	global_load_b32 v6, v23, s[2:3] offset:3072
	v_and_b32_e32 v7, 0xffffff00, v3
	s_wait_loadcnt 0x0
	v_cmp_eq_u32_e32 vcc_lo, 0, v6
	s_wait_alu 0xfffd
	v_cndmask_b32_e64 v6, 0, 1, vcc_lo
	s_delay_alu instid0(VALU_DEP_1) | instskip(NEXT) | instid1(VALU_DEP_1)
	v_or_b32_e32 v6, v6, v7
	v_and_b32_e32 v6, 0xffff, v6
	s_delay_alu instid0(VALU_DEP_1) | instskip(SKIP_2) | instid1(SALU_CYCLE_1)
	v_and_or_b32 v3, 0xffff0000, v3, v6
	s_wait_alu 0xfffe
	s_or_b32 exec_lo, exec_lo, s4
	s_mov_b32 s4, exec_lo
	v_cmpx_gt_u32_e64 s18, v20
	s_cbranch_execz .LBB1406_24
.LBB1406_168:
	global_load_b32 v6, v23, s[2:3] offset:3840
	v_and_b32_e32 v7, 0xff, v3
	s_wait_loadcnt 0x0
	v_cmp_eq_u32_e32 vcc_lo, 0, v6
	s_wait_alu 0xfffd
	v_cndmask_b32_e64 v6, 0, 1, vcc_lo
	s_delay_alu instid0(VALU_DEP_1) | instskip(NEXT) | instid1(VALU_DEP_1)
	v_lshlrev_b16 v6, 8, v6
	v_or_b32_e32 v6, v7, v6
	s_delay_alu instid0(VALU_DEP_1) | instskip(NEXT) | instid1(VALU_DEP_1)
	v_and_b32_e32 v6, 0xffff, v6
	v_and_or_b32 v3, 0xffff0000, v3, v6
	s_wait_alu 0xfffe
	s_or_b32 exec_lo, exec_lo, s4
	s_delay_alu instid0(SALU_CYCLE_1)
	s_mov_b32 s4, exec_lo
	v_cmpx_gt_u32_e64 s18, v17
	s_cbranch_execz .LBB1406_25
.LBB1406_169:
	global_load_b32 v6, v23, s[2:3] offset:4608
	v_lshrrev_b32_e32 v7, 16, v3
	s_delay_alu instid0(VALU_DEP_1) | instskip(SKIP_4) | instid1(VALU_DEP_1)
	v_and_b32_e32 v7, 0xffffff00, v7
	s_wait_loadcnt 0x0
	v_cmp_eq_u32_e32 vcc_lo, 0, v6
	s_wait_alu 0xfffd
	v_cndmask_b32_e64 v6, 0, 1, vcc_lo
	v_or_b32_e32 v6, v6, v7
	s_delay_alu instid0(VALU_DEP_1) | instskip(NEXT) | instid1(VALU_DEP_1)
	v_lshlrev_b32_e32 v6, 16, v6
	v_and_or_b32 v3, 0xffff, v3, v6
	s_wait_alu 0xfffe
	s_or_b32 exec_lo, exec_lo, s4
	s_delay_alu instid0(SALU_CYCLE_1)
	s_mov_b32 s4, exec_lo
	v_cmpx_gt_u32_e64 s18, v19
	s_cbranch_execnz .LBB1406_26
	s_branch .LBB1406_27
	.section	.rodata,"a",@progbits
	.p2align	6, 0x0
	.amdhsa_kernel _ZN7rocprim17ROCPRIM_400000_NS6detail17trampoline_kernelINS0_14default_configENS1_25partition_config_selectorILNS1_17partition_subalgoE5EjNS0_10empty_typeEbEEZZNS1_14partition_implILS5_5ELb0ES3_mN6thrust23THRUST_200600_302600_NS6detail15normal_iteratorINSA_10device_ptrIjEEEEPS6_NSA_18transform_iteratorINSB_9not_fun_tI7is_trueIjEEESF_NSA_11use_defaultESM_EENS0_5tupleIJSF_S6_EEENSO_IJSG_SG_EEES6_PlJS6_EEE10hipError_tPvRmT3_T4_T5_T6_T7_T9_mT8_P12ihipStream_tbDpT10_ENKUlT_T0_E_clISt17integral_constantIbLb0EES1B_EEDaS16_S17_EUlS16_E_NS1_11comp_targetILNS1_3genE10ELNS1_11target_archE1200ELNS1_3gpuE4ELNS1_3repE0EEENS1_30default_config_static_selectorELNS0_4arch9wavefront6targetE0EEEvT1_
		.amdhsa_group_segment_fixed_size 6352
		.amdhsa_private_segment_fixed_size 0
		.amdhsa_kernarg_size 120
		.amdhsa_user_sgpr_count 2
		.amdhsa_user_sgpr_dispatch_ptr 0
		.amdhsa_user_sgpr_queue_ptr 0
		.amdhsa_user_sgpr_kernarg_segment_ptr 1
		.amdhsa_user_sgpr_dispatch_id 0
		.amdhsa_user_sgpr_private_segment_size 0
		.amdhsa_wavefront_size32 1
		.amdhsa_uses_dynamic_stack 0
		.amdhsa_enable_private_segment 0
		.amdhsa_system_sgpr_workgroup_id_x 1
		.amdhsa_system_sgpr_workgroup_id_y 0
		.amdhsa_system_sgpr_workgroup_id_z 0
		.amdhsa_system_sgpr_workgroup_info 0
		.amdhsa_system_vgpr_workitem_id 0
		.amdhsa_next_free_vgpr 52
		.amdhsa_next_free_sgpr 22
		.amdhsa_reserve_vcc 1
		.amdhsa_float_round_mode_32 0
		.amdhsa_float_round_mode_16_64 0
		.amdhsa_float_denorm_mode_32 3
		.amdhsa_float_denorm_mode_16_64 3
		.amdhsa_fp16_overflow 0
		.amdhsa_workgroup_processor_mode 1
		.amdhsa_memory_ordered 1
		.amdhsa_forward_progress 1
		.amdhsa_inst_pref_size 74
		.amdhsa_round_robin_scheduling 0
		.amdhsa_exception_fp_ieee_invalid_op 0
		.amdhsa_exception_fp_denorm_src 0
		.amdhsa_exception_fp_ieee_div_zero 0
		.amdhsa_exception_fp_ieee_overflow 0
		.amdhsa_exception_fp_ieee_underflow 0
		.amdhsa_exception_fp_ieee_inexact 0
		.amdhsa_exception_int_div_zero 0
	.end_amdhsa_kernel
	.section	.text._ZN7rocprim17ROCPRIM_400000_NS6detail17trampoline_kernelINS0_14default_configENS1_25partition_config_selectorILNS1_17partition_subalgoE5EjNS0_10empty_typeEbEEZZNS1_14partition_implILS5_5ELb0ES3_mN6thrust23THRUST_200600_302600_NS6detail15normal_iteratorINSA_10device_ptrIjEEEEPS6_NSA_18transform_iteratorINSB_9not_fun_tI7is_trueIjEEESF_NSA_11use_defaultESM_EENS0_5tupleIJSF_S6_EEENSO_IJSG_SG_EEES6_PlJS6_EEE10hipError_tPvRmT3_T4_T5_T6_T7_T9_mT8_P12ihipStream_tbDpT10_ENKUlT_T0_E_clISt17integral_constantIbLb0EES1B_EEDaS16_S17_EUlS16_E_NS1_11comp_targetILNS1_3genE10ELNS1_11target_archE1200ELNS1_3gpuE4ELNS1_3repE0EEENS1_30default_config_static_selectorELNS0_4arch9wavefront6targetE0EEEvT1_,"axG",@progbits,_ZN7rocprim17ROCPRIM_400000_NS6detail17trampoline_kernelINS0_14default_configENS1_25partition_config_selectorILNS1_17partition_subalgoE5EjNS0_10empty_typeEbEEZZNS1_14partition_implILS5_5ELb0ES3_mN6thrust23THRUST_200600_302600_NS6detail15normal_iteratorINSA_10device_ptrIjEEEEPS6_NSA_18transform_iteratorINSB_9not_fun_tI7is_trueIjEEESF_NSA_11use_defaultESM_EENS0_5tupleIJSF_S6_EEENSO_IJSG_SG_EEES6_PlJS6_EEE10hipError_tPvRmT3_T4_T5_T6_T7_T9_mT8_P12ihipStream_tbDpT10_ENKUlT_T0_E_clISt17integral_constantIbLb0EES1B_EEDaS16_S17_EUlS16_E_NS1_11comp_targetILNS1_3genE10ELNS1_11target_archE1200ELNS1_3gpuE4ELNS1_3repE0EEENS1_30default_config_static_selectorELNS0_4arch9wavefront6targetE0EEEvT1_,comdat
.Lfunc_end1406:
	.size	_ZN7rocprim17ROCPRIM_400000_NS6detail17trampoline_kernelINS0_14default_configENS1_25partition_config_selectorILNS1_17partition_subalgoE5EjNS0_10empty_typeEbEEZZNS1_14partition_implILS5_5ELb0ES3_mN6thrust23THRUST_200600_302600_NS6detail15normal_iteratorINSA_10device_ptrIjEEEEPS6_NSA_18transform_iteratorINSB_9not_fun_tI7is_trueIjEEESF_NSA_11use_defaultESM_EENS0_5tupleIJSF_S6_EEENSO_IJSG_SG_EEES6_PlJS6_EEE10hipError_tPvRmT3_T4_T5_T6_T7_T9_mT8_P12ihipStream_tbDpT10_ENKUlT_T0_E_clISt17integral_constantIbLb0EES1B_EEDaS16_S17_EUlS16_E_NS1_11comp_targetILNS1_3genE10ELNS1_11target_archE1200ELNS1_3gpuE4ELNS1_3repE0EEENS1_30default_config_static_selectorELNS0_4arch9wavefront6targetE0EEEvT1_, .Lfunc_end1406-_ZN7rocprim17ROCPRIM_400000_NS6detail17trampoline_kernelINS0_14default_configENS1_25partition_config_selectorILNS1_17partition_subalgoE5EjNS0_10empty_typeEbEEZZNS1_14partition_implILS5_5ELb0ES3_mN6thrust23THRUST_200600_302600_NS6detail15normal_iteratorINSA_10device_ptrIjEEEEPS6_NSA_18transform_iteratorINSB_9not_fun_tI7is_trueIjEEESF_NSA_11use_defaultESM_EENS0_5tupleIJSF_S6_EEENSO_IJSG_SG_EEES6_PlJS6_EEE10hipError_tPvRmT3_T4_T5_T6_T7_T9_mT8_P12ihipStream_tbDpT10_ENKUlT_T0_E_clISt17integral_constantIbLb0EES1B_EEDaS16_S17_EUlS16_E_NS1_11comp_targetILNS1_3genE10ELNS1_11target_archE1200ELNS1_3gpuE4ELNS1_3repE0EEENS1_30default_config_static_selectorELNS0_4arch9wavefront6targetE0EEEvT1_
                                        ; -- End function
	.set _ZN7rocprim17ROCPRIM_400000_NS6detail17trampoline_kernelINS0_14default_configENS1_25partition_config_selectorILNS1_17partition_subalgoE5EjNS0_10empty_typeEbEEZZNS1_14partition_implILS5_5ELb0ES3_mN6thrust23THRUST_200600_302600_NS6detail15normal_iteratorINSA_10device_ptrIjEEEEPS6_NSA_18transform_iteratorINSB_9not_fun_tI7is_trueIjEEESF_NSA_11use_defaultESM_EENS0_5tupleIJSF_S6_EEENSO_IJSG_SG_EEES6_PlJS6_EEE10hipError_tPvRmT3_T4_T5_T6_T7_T9_mT8_P12ihipStream_tbDpT10_ENKUlT_T0_E_clISt17integral_constantIbLb0EES1B_EEDaS16_S17_EUlS16_E_NS1_11comp_targetILNS1_3genE10ELNS1_11target_archE1200ELNS1_3gpuE4ELNS1_3repE0EEENS1_30default_config_static_selectorELNS0_4arch9wavefront6targetE0EEEvT1_.num_vgpr, 52
	.set _ZN7rocprim17ROCPRIM_400000_NS6detail17trampoline_kernelINS0_14default_configENS1_25partition_config_selectorILNS1_17partition_subalgoE5EjNS0_10empty_typeEbEEZZNS1_14partition_implILS5_5ELb0ES3_mN6thrust23THRUST_200600_302600_NS6detail15normal_iteratorINSA_10device_ptrIjEEEEPS6_NSA_18transform_iteratorINSB_9not_fun_tI7is_trueIjEEESF_NSA_11use_defaultESM_EENS0_5tupleIJSF_S6_EEENSO_IJSG_SG_EEES6_PlJS6_EEE10hipError_tPvRmT3_T4_T5_T6_T7_T9_mT8_P12ihipStream_tbDpT10_ENKUlT_T0_E_clISt17integral_constantIbLb0EES1B_EEDaS16_S17_EUlS16_E_NS1_11comp_targetILNS1_3genE10ELNS1_11target_archE1200ELNS1_3gpuE4ELNS1_3repE0EEENS1_30default_config_static_selectorELNS0_4arch9wavefront6targetE0EEEvT1_.num_agpr, 0
	.set _ZN7rocprim17ROCPRIM_400000_NS6detail17trampoline_kernelINS0_14default_configENS1_25partition_config_selectorILNS1_17partition_subalgoE5EjNS0_10empty_typeEbEEZZNS1_14partition_implILS5_5ELb0ES3_mN6thrust23THRUST_200600_302600_NS6detail15normal_iteratorINSA_10device_ptrIjEEEEPS6_NSA_18transform_iteratorINSB_9not_fun_tI7is_trueIjEEESF_NSA_11use_defaultESM_EENS0_5tupleIJSF_S6_EEENSO_IJSG_SG_EEES6_PlJS6_EEE10hipError_tPvRmT3_T4_T5_T6_T7_T9_mT8_P12ihipStream_tbDpT10_ENKUlT_T0_E_clISt17integral_constantIbLb0EES1B_EEDaS16_S17_EUlS16_E_NS1_11comp_targetILNS1_3genE10ELNS1_11target_archE1200ELNS1_3gpuE4ELNS1_3repE0EEENS1_30default_config_static_selectorELNS0_4arch9wavefront6targetE0EEEvT1_.numbered_sgpr, 22
	.set _ZN7rocprim17ROCPRIM_400000_NS6detail17trampoline_kernelINS0_14default_configENS1_25partition_config_selectorILNS1_17partition_subalgoE5EjNS0_10empty_typeEbEEZZNS1_14partition_implILS5_5ELb0ES3_mN6thrust23THRUST_200600_302600_NS6detail15normal_iteratorINSA_10device_ptrIjEEEEPS6_NSA_18transform_iteratorINSB_9not_fun_tI7is_trueIjEEESF_NSA_11use_defaultESM_EENS0_5tupleIJSF_S6_EEENSO_IJSG_SG_EEES6_PlJS6_EEE10hipError_tPvRmT3_T4_T5_T6_T7_T9_mT8_P12ihipStream_tbDpT10_ENKUlT_T0_E_clISt17integral_constantIbLb0EES1B_EEDaS16_S17_EUlS16_E_NS1_11comp_targetILNS1_3genE10ELNS1_11target_archE1200ELNS1_3gpuE4ELNS1_3repE0EEENS1_30default_config_static_selectorELNS0_4arch9wavefront6targetE0EEEvT1_.num_named_barrier, 0
	.set _ZN7rocprim17ROCPRIM_400000_NS6detail17trampoline_kernelINS0_14default_configENS1_25partition_config_selectorILNS1_17partition_subalgoE5EjNS0_10empty_typeEbEEZZNS1_14partition_implILS5_5ELb0ES3_mN6thrust23THRUST_200600_302600_NS6detail15normal_iteratorINSA_10device_ptrIjEEEEPS6_NSA_18transform_iteratorINSB_9not_fun_tI7is_trueIjEEESF_NSA_11use_defaultESM_EENS0_5tupleIJSF_S6_EEENSO_IJSG_SG_EEES6_PlJS6_EEE10hipError_tPvRmT3_T4_T5_T6_T7_T9_mT8_P12ihipStream_tbDpT10_ENKUlT_T0_E_clISt17integral_constantIbLb0EES1B_EEDaS16_S17_EUlS16_E_NS1_11comp_targetILNS1_3genE10ELNS1_11target_archE1200ELNS1_3gpuE4ELNS1_3repE0EEENS1_30default_config_static_selectorELNS0_4arch9wavefront6targetE0EEEvT1_.private_seg_size, 0
	.set _ZN7rocprim17ROCPRIM_400000_NS6detail17trampoline_kernelINS0_14default_configENS1_25partition_config_selectorILNS1_17partition_subalgoE5EjNS0_10empty_typeEbEEZZNS1_14partition_implILS5_5ELb0ES3_mN6thrust23THRUST_200600_302600_NS6detail15normal_iteratorINSA_10device_ptrIjEEEEPS6_NSA_18transform_iteratorINSB_9not_fun_tI7is_trueIjEEESF_NSA_11use_defaultESM_EENS0_5tupleIJSF_S6_EEENSO_IJSG_SG_EEES6_PlJS6_EEE10hipError_tPvRmT3_T4_T5_T6_T7_T9_mT8_P12ihipStream_tbDpT10_ENKUlT_T0_E_clISt17integral_constantIbLb0EES1B_EEDaS16_S17_EUlS16_E_NS1_11comp_targetILNS1_3genE10ELNS1_11target_archE1200ELNS1_3gpuE4ELNS1_3repE0EEENS1_30default_config_static_selectorELNS0_4arch9wavefront6targetE0EEEvT1_.uses_vcc, 1
	.set _ZN7rocprim17ROCPRIM_400000_NS6detail17trampoline_kernelINS0_14default_configENS1_25partition_config_selectorILNS1_17partition_subalgoE5EjNS0_10empty_typeEbEEZZNS1_14partition_implILS5_5ELb0ES3_mN6thrust23THRUST_200600_302600_NS6detail15normal_iteratorINSA_10device_ptrIjEEEEPS6_NSA_18transform_iteratorINSB_9not_fun_tI7is_trueIjEEESF_NSA_11use_defaultESM_EENS0_5tupleIJSF_S6_EEENSO_IJSG_SG_EEES6_PlJS6_EEE10hipError_tPvRmT3_T4_T5_T6_T7_T9_mT8_P12ihipStream_tbDpT10_ENKUlT_T0_E_clISt17integral_constantIbLb0EES1B_EEDaS16_S17_EUlS16_E_NS1_11comp_targetILNS1_3genE10ELNS1_11target_archE1200ELNS1_3gpuE4ELNS1_3repE0EEENS1_30default_config_static_selectorELNS0_4arch9wavefront6targetE0EEEvT1_.uses_flat_scratch, 1
	.set _ZN7rocprim17ROCPRIM_400000_NS6detail17trampoline_kernelINS0_14default_configENS1_25partition_config_selectorILNS1_17partition_subalgoE5EjNS0_10empty_typeEbEEZZNS1_14partition_implILS5_5ELb0ES3_mN6thrust23THRUST_200600_302600_NS6detail15normal_iteratorINSA_10device_ptrIjEEEEPS6_NSA_18transform_iteratorINSB_9not_fun_tI7is_trueIjEEESF_NSA_11use_defaultESM_EENS0_5tupleIJSF_S6_EEENSO_IJSG_SG_EEES6_PlJS6_EEE10hipError_tPvRmT3_T4_T5_T6_T7_T9_mT8_P12ihipStream_tbDpT10_ENKUlT_T0_E_clISt17integral_constantIbLb0EES1B_EEDaS16_S17_EUlS16_E_NS1_11comp_targetILNS1_3genE10ELNS1_11target_archE1200ELNS1_3gpuE4ELNS1_3repE0EEENS1_30default_config_static_selectorELNS0_4arch9wavefront6targetE0EEEvT1_.has_dyn_sized_stack, 0
	.set _ZN7rocprim17ROCPRIM_400000_NS6detail17trampoline_kernelINS0_14default_configENS1_25partition_config_selectorILNS1_17partition_subalgoE5EjNS0_10empty_typeEbEEZZNS1_14partition_implILS5_5ELb0ES3_mN6thrust23THRUST_200600_302600_NS6detail15normal_iteratorINSA_10device_ptrIjEEEEPS6_NSA_18transform_iteratorINSB_9not_fun_tI7is_trueIjEEESF_NSA_11use_defaultESM_EENS0_5tupleIJSF_S6_EEENSO_IJSG_SG_EEES6_PlJS6_EEE10hipError_tPvRmT3_T4_T5_T6_T7_T9_mT8_P12ihipStream_tbDpT10_ENKUlT_T0_E_clISt17integral_constantIbLb0EES1B_EEDaS16_S17_EUlS16_E_NS1_11comp_targetILNS1_3genE10ELNS1_11target_archE1200ELNS1_3gpuE4ELNS1_3repE0EEENS1_30default_config_static_selectorELNS0_4arch9wavefront6targetE0EEEvT1_.has_recursion, 0
	.set _ZN7rocprim17ROCPRIM_400000_NS6detail17trampoline_kernelINS0_14default_configENS1_25partition_config_selectorILNS1_17partition_subalgoE5EjNS0_10empty_typeEbEEZZNS1_14partition_implILS5_5ELb0ES3_mN6thrust23THRUST_200600_302600_NS6detail15normal_iteratorINSA_10device_ptrIjEEEEPS6_NSA_18transform_iteratorINSB_9not_fun_tI7is_trueIjEEESF_NSA_11use_defaultESM_EENS0_5tupleIJSF_S6_EEENSO_IJSG_SG_EEES6_PlJS6_EEE10hipError_tPvRmT3_T4_T5_T6_T7_T9_mT8_P12ihipStream_tbDpT10_ENKUlT_T0_E_clISt17integral_constantIbLb0EES1B_EEDaS16_S17_EUlS16_E_NS1_11comp_targetILNS1_3genE10ELNS1_11target_archE1200ELNS1_3gpuE4ELNS1_3repE0EEENS1_30default_config_static_selectorELNS0_4arch9wavefront6targetE0EEEvT1_.has_indirect_call, 0
	.section	.AMDGPU.csdata,"",@progbits
; Kernel info:
; codeLenInByte = 9364
; TotalNumSgprs: 24
; NumVgprs: 52
; ScratchSize: 0
; MemoryBound: 0
; FloatMode: 240
; IeeeMode: 1
; LDSByteSize: 6352 bytes/workgroup (compile time only)
; SGPRBlocks: 0
; VGPRBlocks: 6
; NumSGPRsForWavesPerEU: 24
; NumVGPRsForWavesPerEU: 52
; Occupancy: 15
; WaveLimiterHint : 1
; COMPUTE_PGM_RSRC2:SCRATCH_EN: 0
; COMPUTE_PGM_RSRC2:USER_SGPR: 2
; COMPUTE_PGM_RSRC2:TRAP_HANDLER: 0
; COMPUTE_PGM_RSRC2:TGID_X_EN: 1
; COMPUTE_PGM_RSRC2:TGID_Y_EN: 0
; COMPUTE_PGM_RSRC2:TGID_Z_EN: 0
; COMPUTE_PGM_RSRC2:TIDIG_COMP_CNT: 0
	.section	.text._ZN7rocprim17ROCPRIM_400000_NS6detail17trampoline_kernelINS0_14default_configENS1_25partition_config_selectorILNS1_17partition_subalgoE5EjNS0_10empty_typeEbEEZZNS1_14partition_implILS5_5ELb0ES3_mN6thrust23THRUST_200600_302600_NS6detail15normal_iteratorINSA_10device_ptrIjEEEEPS6_NSA_18transform_iteratorINSB_9not_fun_tI7is_trueIjEEESF_NSA_11use_defaultESM_EENS0_5tupleIJSF_S6_EEENSO_IJSG_SG_EEES6_PlJS6_EEE10hipError_tPvRmT3_T4_T5_T6_T7_T9_mT8_P12ihipStream_tbDpT10_ENKUlT_T0_E_clISt17integral_constantIbLb0EES1B_EEDaS16_S17_EUlS16_E_NS1_11comp_targetILNS1_3genE9ELNS1_11target_archE1100ELNS1_3gpuE3ELNS1_3repE0EEENS1_30default_config_static_selectorELNS0_4arch9wavefront6targetE0EEEvT1_,"axG",@progbits,_ZN7rocprim17ROCPRIM_400000_NS6detail17trampoline_kernelINS0_14default_configENS1_25partition_config_selectorILNS1_17partition_subalgoE5EjNS0_10empty_typeEbEEZZNS1_14partition_implILS5_5ELb0ES3_mN6thrust23THRUST_200600_302600_NS6detail15normal_iteratorINSA_10device_ptrIjEEEEPS6_NSA_18transform_iteratorINSB_9not_fun_tI7is_trueIjEEESF_NSA_11use_defaultESM_EENS0_5tupleIJSF_S6_EEENSO_IJSG_SG_EEES6_PlJS6_EEE10hipError_tPvRmT3_T4_T5_T6_T7_T9_mT8_P12ihipStream_tbDpT10_ENKUlT_T0_E_clISt17integral_constantIbLb0EES1B_EEDaS16_S17_EUlS16_E_NS1_11comp_targetILNS1_3genE9ELNS1_11target_archE1100ELNS1_3gpuE3ELNS1_3repE0EEENS1_30default_config_static_selectorELNS0_4arch9wavefront6targetE0EEEvT1_,comdat
	.protected	_ZN7rocprim17ROCPRIM_400000_NS6detail17trampoline_kernelINS0_14default_configENS1_25partition_config_selectorILNS1_17partition_subalgoE5EjNS0_10empty_typeEbEEZZNS1_14partition_implILS5_5ELb0ES3_mN6thrust23THRUST_200600_302600_NS6detail15normal_iteratorINSA_10device_ptrIjEEEEPS6_NSA_18transform_iteratorINSB_9not_fun_tI7is_trueIjEEESF_NSA_11use_defaultESM_EENS0_5tupleIJSF_S6_EEENSO_IJSG_SG_EEES6_PlJS6_EEE10hipError_tPvRmT3_T4_T5_T6_T7_T9_mT8_P12ihipStream_tbDpT10_ENKUlT_T0_E_clISt17integral_constantIbLb0EES1B_EEDaS16_S17_EUlS16_E_NS1_11comp_targetILNS1_3genE9ELNS1_11target_archE1100ELNS1_3gpuE3ELNS1_3repE0EEENS1_30default_config_static_selectorELNS0_4arch9wavefront6targetE0EEEvT1_ ; -- Begin function _ZN7rocprim17ROCPRIM_400000_NS6detail17trampoline_kernelINS0_14default_configENS1_25partition_config_selectorILNS1_17partition_subalgoE5EjNS0_10empty_typeEbEEZZNS1_14partition_implILS5_5ELb0ES3_mN6thrust23THRUST_200600_302600_NS6detail15normal_iteratorINSA_10device_ptrIjEEEEPS6_NSA_18transform_iteratorINSB_9not_fun_tI7is_trueIjEEESF_NSA_11use_defaultESM_EENS0_5tupleIJSF_S6_EEENSO_IJSG_SG_EEES6_PlJS6_EEE10hipError_tPvRmT3_T4_T5_T6_T7_T9_mT8_P12ihipStream_tbDpT10_ENKUlT_T0_E_clISt17integral_constantIbLb0EES1B_EEDaS16_S17_EUlS16_E_NS1_11comp_targetILNS1_3genE9ELNS1_11target_archE1100ELNS1_3gpuE3ELNS1_3repE0EEENS1_30default_config_static_selectorELNS0_4arch9wavefront6targetE0EEEvT1_
	.globl	_ZN7rocprim17ROCPRIM_400000_NS6detail17trampoline_kernelINS0_14default_configENS1_25partition_config_selectorILNS1_17partition_subalgoE5EjNS0_10empty_typeEbEEZZNS1_14partition_implILS5_5ELb0ES3_mN6thrust23THRUST_200600_302600_NS6detail15normal_iteratorINSA_10device_ptrIjEEEEPS6_NSA_18transform_iteratorINSB_9not_fun_tI7is_trueIjEEESF_NSA_11use_defaultESM_EENS0_5tupleIJSF_S6_EEENSO_IJSG_SG_EEES6_PlJS6_EEE10hipError_tPvRmT3_T4_T5_T6_T7_T9_mT8_P12ihipStream_tbDpT10_ENKUlT_T0_E_clISt17integral_constantIbLb0EES1B_EEDaS16_S17_EUlS16_E_NS1_11comp_targetILNS1_3genE9ELNS1_11target_archE1100ELNS1_3gpuE3ELNS1_3repE0EEENS1_30default_config_static_selectorELNS0_4arch9wavefront6targetE0EEEvT1_
	.p2align	8
	.type	_ZN7rocprim17ROCPRIM_400000_NS6detail17trampoline_kernelINS0_14default_configENS1_25partition_config_selectorILNS1_17partition_subalgoE5EjNS0_10empty_typeEbEEZZNS1_14partition_implILS5_5ELb0ES3_mN6thrust23THRUST_200600_302600_NS6detail15normal_iteratorINSA_10device_ptrIjEEEEPS6_NSA_18transform_iteratorINSB_9not_fun_tI7is_trueIjEEESF_NSA_11use_defaultESM_EENS0_5tupleIJSF_S6_EEENSO_IJSG_SG_EEES6_PlJS6_EEE10hipError_tPvRmT3_T4_T5_T6_T7_T9_mT8_P12ihipStream_tbDpT10_ENKUlT_T0_E_clISt17integral_constantIbLb0EES1B_EEDaS16_S17_EUlS16_E_NS1_11comp_targetILNS1_3genE9ELNS1_11target_archE1100ELNS1_3gpuE3ELNS1_3repE0EEENS1_30default_config_static_selectorELNS0_4arch9wavefront6targetE0EEEvT1_,@function
_ZN7rocprim17ROCPRIM_400000_NS6detail17trampoline_kernelINS0_14default_configENS1_25partition_config_selectorILNS1_17partition_subalgoE5EjNS0_10empty_typeEbEEZZNS1_14partition_implILS5_5ELb0ES3_mN6thrust23THRUST_200600_302600_NS6detail15normal_iteratorINSA_10device_ptrIjEEEEPS6_NSA_18transform_iteratorINSB_9not_fun_tI7is_trueIjEEESF_NSA_11use_defaultESM_EENS0_5tupleIJSF_S6_EEENSO_IJSG_SG_EEES6_PlJS6_EEE10hipError_tPvRmT3_T4_T5_T6_T7_T9_mT8_P12ihipStream_tbDpT10_ENKUlT_T0_E_clISt17integral_constantIbLb0EES1B_EEDaS16_S17_EUlS16_E_NS1_11comp_targetILNS1_3genE9ELNS1_11target_archE1100ELNS1_3gpuE3ELNS1_3repE0EEENS1_30default_config_static_selectorELNS0_4arch9wavefront6targetE0EEEvT1_: ; @_ZN7rocprim17ROCPRIM_400000_NS6detail17trampoline_kernelINS0_14default_configENS1_25partition_config_selectorILNS1_17partition_subalgoE5EjNS0_10empty_typeEbEEZZNS1_14partition_implILS5_5ELb0ES3_mN6thrust23THRUST_200600_302600_NS6detail15normal_iteratorINSA_10device_ptrIjEEEEPS6_NSA_18transform_iteratorINSB_9not_fun_tI7is_trueIjEEESF_NSA_11use_defaultESM_EENS0_5tupleIJSF_S6_EEENSO_IJSG_SG_EEES6_PlJS6_EEE10hipError_tPvRmT3_T4_T5_T6_T7_T9_mT8_P12ihipStream_tbDpT10_ENKUlT_T0_E_clISt17integral_constantIbLb0EES1B_EEDaS16_S17_EUlS16_E_NS1_11comp_targetILNS1_3genE9ELNS1_11target_archE1100ELNS1_3gpuE3ELNS1_3repE0EEENS1_30default_config_static_selectorELNS0_4arch9wavefront6targetE0EEEvT1_
; %bb.0:
	.section	.rodata,"a",@progbits
	.p2align	6, 0x0
	.amdhsa_kernel _ZN7rocprim17ROCPRIM_400000_NS6detail17trampoline_kernelINS0_14default_configENS1_25partition_config_selectorILNS1_17partition_subalgoE5EjNS0_10empty_typeEbEEZZNS1_14partition_implILS5_5ELb0ES3_mN6thrust23THRUST_200600_302600_NS6detail15normal_iteratorINSA_10device_ptrIjEEEEPS6_NSA_18transform_iteratorINSB_9not_fun_tI7is_trueIjEEESF_NSA_11use_defaultESM_EENS0_5tupleIJSF_S6_EEENSO_IJSG_SG_EEES6_PlJS6_EEE10hipError_tPvRmT3_T4_T5_T6_T7_T9_mT8_P12ihipStream_tbDpT10_ENKUlT_T0_E_clISt17integral_constantIbLb0EES1B_EEDaS16_S17_EUlS16_E_NS1_11comp_targetILNS1_3genE9ELNS1_11target_archE1100ELNS1_3gpuE3ELNS1_3repE0EEENS1_30default_config_static_selectorELNS0_4arch9wavefront6targetE0EEEvT1_
		.amdhsa_group_segment_fixed_size 0
		.amdhsa_private_segment_fixed_size 0
		.amdhsa_kernarg_size 120
		.amdhsa_user_sgpr_count 2
		.amdhsa_user_sgpr_dispatch_ptr 0
		.amdhsa_user_sgpr_queue_ptr 0
		.amdhsa_user_sgpr_kernarg_segment_ptr 1
		.amdhsa_user_sgpr_dispatch_id 0
		.amdhsa_user_sgpr_private_segment_size 0
		.amdhsa_wavefront_size32 1
		.amdhsa_uses_dynamic_stack 0
		.amdhsa_enable_private_segment 0
		.amdhsa_system_sgpr_workgroup_id_x 1
		.amdhsa_system_sgpr_workgroup_id_y 0
		.amdhsa_system_sgpr_workgroup_id_z 0
		.amdhsa_system_sgpr_workgroup_info 0
		.amdhsa_system_vgpr_workitem_id 0
		.amdhsa_next_free_vgpr 1
		.amdhsa_next_free_sgpr 1
		.amdhsa_reserve_vcc 0
		.amdhsa_float_round_mode_32 0
		.amdhsa_float_round_mode_16_64 0
		.amdhsa_float_denorm_mode_32 3
		.amdhsa_float_denorm_mode_16_64 3
		.amdhsa_fp16_overflow 0
		.amdhsa_workgroup_processor_mode 1
		.amdhsa_memory_ordered 1
		.amdhsa_forward_progress 1
		.amdhsa_inst_pref_size 0
		.amdhsa_round_robin_scheduling 0
		.amdhsa_exception_fp_ieee_invalid_op 0
		.amdhsa_exception_fp_denorm_src 0
		.amdhsa_exception_fp_ieee_div_zero 0
		.amdhsa_exception_fp_ieee_overflow 0
		.amdhsa_exception_fp_ieee_underflow 0
		.amdhsa_exception_fp_ieee_inexact 0
		.amdhsa_exception_int_div_zero 0
	.end_amdhsa_kernel
	.section	.text._ZN7rocprim17ROCPRIM_400000_NS6detail17trampoline_kernelINS0_14default_configENS1_25partition_config_selectorILNS1_17partition_subalgoE5EjNS0_10empty_typeEbEEZZNS1_14partition_implILS5_5ELb0ES3_mN6thrust23THRUST_200600_302600_NS6detail15normal_iteratorINSA_10device_ptrIjEEEEPS6_NSA_18transform_iteratorINSB_9not_fun_tI7is_trueIjEEESF_NSA_11use_defaultESM_EENS0_5tupleIJSF_S6_EEENSO_IJSG_SG_EEES6_PlJS6_EEE10hipError_tPvRmT3_T4_T5_T6_T7_T9_mT8_P12ihipStream_tbDpT10_ENKUlT_T0_E_clISt17integral_constantIbLb0EES1B_EEDaS16_S17_EUlS16_E_NS1_11comp_targetILNS1_3genE9ELNS1_11target_archE1100ELNS1_3gpuE3ELNS1_3repE0EEENS1_30default_config_static_selectorELNS0_4arch9wavefront6targetE0EEEvT1_,"axG",@progbits,_ZN7rocprim17ROCPRIM_400000_NS6detail17trampoline_kernelINS0_14default_configENS1_25partition_config_selectorILNS1_17partition_subalgoE5EjNS0_10empty_typeEbEEZZNS1_14partition_implILS5_5ELb0ES3_mN6thrust23THRUST_200600_302600_NS6detail15normal_iteratorINSA_10device_ptrIjEEEEPS6_NSA_18transform_iteratorINSB_9not_fun_tI7is_trueIjEEESF_NSA_11use_defaultESM_EENS0_5tupleIJSF_S6_EEENSO_IJSG_SG_EEES6_PlJS6_EEE10hipError_tPvRmT3_T4_T5_T6_T7_T9_mT8_P12ihipStream_tbDpT10_ENKUlT_T0_E_clISt17integral_constantIbLb0EES1B_EEDaS16_S17_EUlS16_E_NS1_11comp_targetILNS1_3genE9ELNS1_11target_archE1100ELNS1_3gpuE3ELNS1_3repE0EEENS1_30default_config_static_selectorELNS0_4arch9wavefront6targetE0EEEvT1_,comdat
.Lfunc_end1407:
	.size	_ZN7rocprim17ROCPRIM_400000_NS6detail17trampoline_kernelINS0_14default_configENS1_25partition_config_selectorILNS1_17partition_subalgoE5EjNS0_10empty_typeEbEEZZNS1_14partition_implILS5_5ELb0ES3_mN6thrust23THRUST_200600_302600_NS6detail15normal_iteratorINSA_10device_ptrIjEEEEPS6_NSA_18transform_iteratorINSB_9not_fun_tI7is_trueIjEEESF_NSA_11use_defaultESM_EENS0_5tupleIJSF_S6_EEENSO_IJSG_SG_EEES6_PlJS6_EEE10hipError_tPvRmT3_T4_T5_T6_T7_T9_mT8_P12ihipStream_tbDpT10_ENKUlT_T0_E_clISt17integral_constantIbLb0EES1B_EEDaS16_S17_EUlS16_E_NS1_11comp_targetILNS1_3genE9ELNS1_11target_archE1100ELNS1_3gpuE3ELNS1_3repE0EEENS1_30default_config_static_selectorELNS0_4arch9wavefront6targetE0EEEvT1_, .Lfunc_end1407-_ZN7rocprim17ROCPRIM_400000_NS6detail17trampoline_kernelINS0_14default_configENS1_25partition_config_selectorILNS1_17partition_subalgoE5EjNS0_10empty_typeEbEEZZNS1_14partition_implILS5_5ELb0ES3_mN6thrust23THRUST_200600_302600_NS6detail15normal_iteratorINSA_10device_ptrIjEEEEPS6_NSA_18transform_iteratorINSB_9not_fun_tI7is_trueIjEEESF_NSA_11use_defaultESM_EENS0_5tupleIJSF_S6_EEENSO_IJSG_SG_EEES6_PlJS6_EEE10hipError_tPvRmT3_T4_T5_T6_T7_T9_mT8_P12ihipStream_tbDpT10_ENKUlT_T0_E_clISt17integral_constantIbLb0EES1B_EEDaS16_S17_EUlS16_E_NS1_11comp_targetILNS1_3genE9ELNS1_11target_archE1100ELNS1_3gpuE3ELNS1_3repE0EEENS1_30default_config_static_selectorELNS0_4arch9wavefront6targetE0EEEvT1_
                                        ; -- End function
	.set _ZN7rocprim17ROCPRIM_400000_NS6detail17trampoline_kernelINS0_14default_configENS1_25partition_config_selectorILNS1_17partition_subalgoE5EjNS0_10empty_typeEbEEZZNS1_14partition_implILS5_5ELb0ES3_mN6thrust23THRUST_200600_302600_NS6detail15normal_iteratorINSA_10device_ptrIjEEEEPS6_NSA_18transform_iteratorINSB_9not_fun_tI7is_trueIjEEESF_NSA_11use_defaultESM_EENS0_5tupleIJSF_S6_EEENSO_IJSG_SG_EEES6_PlJS6_EEE10hipError_tPvRmT3_T4_T5_T6_T7_T9_mT8_P12ihipStream_tbDpT10_ENKUlT_T0_E_clISt17integral_constantIbLb0EES1B_EEDaS16_S17_EUlS16_E_NS1_11comp_targetILNS1_3genE9ELNS1_11target_archE1100ELNS1_3gpuE3ELNS1_3repE0EEENS1_30default_config_static_selectorELNS0_4arch9wavefront6targetE0EEEvT1_.num_vgpr, 0
	.set _ZN7rocprim17ROCPRIM_400000_NS6detail17trampoline_kernelINS0_14default_configENS1_25partition_config_selectorILNS1_17partition_subalgoE5EjNS0_10empty_typeEbEEZZNS1_14partition_implILS5_5ELb0ES3_mN6thrust23THRUST_200600_302600_NS6detail15normal_iteratorINSA_10device_ptrIjEEEEPS6_NSA_18transform_iteratorINSB_9not_fun_tI7is_trueIjEEESF_NSA_11use_defaultESM_EENS0_5tupleIJSF_S6_EEENSO_IJSG_SG_EEES6_PlJS6_EEE10hipError_tPvRmT3_T4_T5_T6_T7_T9_mT8_P12ihipStream_tbDpT10_ENKUlT_T0_E_clISt17integral_constantIbLb0EES1B_EEDaS16_S17_EUlS16_E_NS1_11comp_targetILNS1_3genE9ELNS1_11target_archE1100ELNS1_3gpuE3ELNS1_3repE0EEENS1_30default_config_static_selectorELNS0_4arch9wavefront6targetE0EEEvT1_.num_agpr, 0
	.set _ZN7rocprim17ROCPRIM_400000_NS6detail17trampoline_kernelINS0_14default_configENS1_25partition_config_selectorILNS1_17partition_subalgoE5EjNS0_10empty_typeEbEEZZNS1_14partition_implILS5_5ELb0ES3_mN6thrust23THRUST_200600_302600_NS6detail15normal_iteratorINSA_10device_ptrIjEEEEPS6_NSA_18transform_iteratorINSB_9not_fun_tI7is_trueIjEEESF_NSA_11use_defaultESM_EENS0_5tupleIJSF_S6_EEENSO_IJSG_SG_EEES6_PlJS6_EEE10hipError_tPvRmT3_T4_T5_T6_T7_T9_mT8_P12ihipStream_tbDpT10_ENKUlT_T0_E_clISt17integral_constantIbLb0EES1B_EEDaS16_S17_EUlS16_E_NS1_11comp_targetILNS1_3genE9ELNS1_11target_archE1100ELNS1_3gpuE3ELNS1_3repE0EEENS1_30default_config_static_selectorELNS0_4arch9wavefront6targetE0EEEvT1_.numbered_sgpr, 0
	.set _ZN7rocprim17ROCPRIM_400000_NS6detail17trampoline_kernelINS0_14default_configENS1_25partition_config_selectorILNS1_17partition_subalgoE5EjNS0_10empty_typeEbEEZZNS1_14partition_implILS5_5ELb0ES3_mN6thrust23THRUST_200600_302600_NS6detail15normal_iteratorINSA_10device_ptrIjEEEEPS6_NSA_18transform_iteratorINSB_9not_fun_tI7is_trueIjEEESF_NSA_11use_defaultESM_EENS0_5tupleIJSF_S6_EEENSO_IJSG_SG_EEES6_PlJS6_EEE10hipError_tPvRmT3_T4_T5_T6_T7_T9_mT8_P12ihipStream_tbDpT10_ENKUlT_T0_E_clISt17integral_constantIbLb0EES1B_EEDaS16_S17_EUlS16_E_NS1_11comp_targetILNS1_3genE9ELNS1_11target_archE1100ELNS1_3gpuE3ELNS1_3repE0EEENS1_30default_config_static_selectorELNS0_4arch9wavefront6targetE0EEEvT1_.num_named_barrier, 0
	.set _ZN7rocprim17ROCPRIM_400000_NS6detail17trampoline_kernelINS0_14default_configENS1_25partition_config_selectorILNS1_17partition_subalgoE5EjNS0_10empty_typeEbEEZZNS1_14partition_implILS5_5ELb0ES3_mN6thrust23THRUST_200600_302600_NS6detail15normal_iteratorINSA_10device_ptrIjEEEEPS6_NSA_18transform_iteratorINSB_9not_fun_tI7is_trueIjEEESF_NSA_11use_defaultESM_EENS0_5tupleIJSF_S6_EEENSO_IJSG_SG_EEES6_PlJS6_EEE10hipError_tPvRmT3_T4_T5_T6_T7_T9_mT8_P12ihipStream_tbDpT10_ENKUlT_T0_E_clISt17integral_constantIbLb0EES1B_EEDaS16_S17_EUlS16_E_NS1_11comp_targetILNS1_3genE9ELNS1_11target_archE1100ELNS1_3gpuE3ELNS1_3repE0EEENS1_30default_config_static_selectorELNS0_4arch9wavefront6targetE0EEEvT1_.private_seg_size, 0
	.set _ZN7rocprim17ROCPRIM_400000_NS6detail17trampoline_kernelINS0_14default_configENS1_25partition_config_selectorILNS1_17partition_subalgoE5EjNS0_10empty_typeEbEEZZNS1_14partition_implILS5_5ELb0ES3_mN6thrust23THRUST_200600_302600_NS6detail15normal_iteratorINSA_10device_ptrIjEEEEPS6_NSA_18transform_iteratorINSB_9not_fun_tI7is_trueIjEEESF_NSA_11use_defaultESM_EENS0_5tupleIJSF_S6_EEENSO_IJSG_SG_EEES6_PlJS6_EEE10hipError_tPvRmT3_T4_T5_T6_T7_T9_mT8_P12ihipStream_tbDpT10_ENKUlT_T0_E_clISt17integral_constantIbLb0EES1B_EEDaS16_S17_EUlS16_E_NS1_11comp_targetILNS1_3genE9ELNS1_11target_archE1100ELNS1_3gpuE3ELNS1_3repE0EEENS1_30default_config_static_selectorELNS0_4arch9wavefront6targetE0EEEvT1_.uses_vcc, 0
	.set _ZN7rocprim17ROCPRIM_400000_NS6detail17trampoline_kernelINS0_14default_configENS1_25partition_config_selectorILNS1_17partition_subalgoE5EjNS0_10empty_typeEbEEZZNS1_14partition_implILS5_5ELb0ES3_mN6thrust23THRUST_200600_302600_NS6detail15normal_iteratorINSA_10device_ptrIjEEEEPS6_NSA_18transform_iteratorINSB_9not_fun_tI7is_trueIjEEESF_NSA_11use_defaultESM_EENS0_5tupleIJSF_S6_EEENSO_IJSG_SG_EEES6_PlJS6_EEE10hipError_tPvRmT3_T4_T5_T6_T7_T9_mT8_P12ihipStream_tbDpT10_ENKUlT_T0_E_clISt17integral_constantIbLb0EES1B_EEDaS16_S17_EUlS16_E_NS1_11comp_targetILNS1_3genE9ELNS1_11target_archE1100ELNS1_3gpuE3ELNS1_3repE0EEENS1_30default_config_static_selectorELNS0_4arch9wavefront6targetE0EEEvT1_.uses_flat_scratch, 0
	.set _ZN7rocprim17ROCPRIM_400000_NS6detail17trampoline_kernelINS0_14default_configENS1_25partition_config_selectorILNS1_17partition_subalgoE5EjNS0_10empty_typeEbEEZZNS1_14partition_implILS5_5ELb0ES3_mN6thrust23THRUST_200600_302600_NS6detail15normal_iteratorINSA_10device_ptrIjEEEEPS6_NSA_18transform_iteratorINSB_9not_fun_tI7is_trueIjEEESF_NSA_11use_defaultESM_EENS0_5tupleIJSF_S6_EEENSO_IJSG_SG_EEES6_PlJS6_EEE10hipError_tPvRmT3_T4_T5_T6_T7_T9_mT8_P12ihipStream_tbDpT10_ENKUlT_T0_E_clISt17integral_constantIbLb0EES1B_EEDaS16_S17_EUlS16_E_NS1_11comp_targetILNS1_3genE9ELNS1_11target_archE1100ELNS1_3gpuE3ELNS1_3repE0EEENS1_30default_config_static_selectorELNS0_4arch9wavefront6targetE0EEEvT1_.has_dyn_sized_stack, 0
	.set _ZN7rocprim17ROCPRIM_400000_NS6detail17trampoline_kernelINS0_14default_configENS1_25partition_config_selectorILNS1_17partition_subalgoE5EjNS0_10empty_typeEbEEZZNS1_14partition_implILS5_5ELb0ES3_mN6thrust23THRUST_200600_302600_NS6detail15normal_iteratorINSA_10device_ptrIjEEEEPS6_NSA_18transform_iteratorINSB_9not_fun_tI7is_trueIjEEESF_NSA_11use_defaultESM_EENS0_5tupleIJSF_S6_EEENSO_IJSG_SG_EEES6_PlJS6_EEE10hipError_tPvRmT3_T4_T5_T6_T7_T9_mT8_P12ihipStream_tbDpT10_ENKUlT_T0_E_clISt17integral_constantIbLb0EES1B_EEDaS16_S17_EUlS16_E_NS1_11comp_targetILNS1_3genE9ELNS1_11target_archE1100ELNS1_3gpuE3ELNS1_3repE0EEENS1_30default_config_static_selectorELNS0_4arch9wavefront6targetE0EEEvT1_.has_recursion, 0
	.set _ZN7rocprim17ROCPRIM_400000_NS6detail17trampoline_kernelINS0_14default_configENS1_25partition_config_selectorILNS1_17partition_subalgoE5EjNS0_10empty_typeEbEEZZNS1_14partition_implILS5_5ELb0ES3_mN6thrust23THRUST_200600_302600_NS6detail15normal_iteratorINSA_10device_ptrIjEEEEPS6_NSA_18transform_iteratorINSB_9not_fun_tI7is_trueIjEEESF_NSA_11use_defaultESM_EENS0_5tupleIJSF_S6_EEENSO_IJSG_SG_EEES6_PlJS6_EEE10hipError_tPvRmT3_T4_T5_T6_T7_T9_mT8_P12ihipStream_tbDpT10_ENKUlT_T0_E_clISt17integral_constantIbLb0EES1B_EEDaS16_S17_EUlS16_E_NS1_11comp_targetILNS1_3genE9ELNS1_11target_archE1100ELNS1_3gpuE3ELNS1_3repE0EEENS1_30default_config_static_selectorELNS0_4arch9wavefront6targetE0EEEvT1_.has_indirect_call, 0
	.section	.AMDGPU.csdata,"",@progbits
; Kernel info:
; codeLenInByte = 0
; TotalNumSgprs: 0
; NumVgprs: 0
; ScratchSize: 0
; MemoryBound: 0
; FloatMode: 240
; IeeeMode: 1
; LDSByteSize: 0 bytes/workgroup (compile time only)
; SGPRBlocks: 0
; VGPRBlocks: 0
; NumSGPRsForWavesPerEU: 1
; NumVGPRsForWavesPerEU: 1
; Occupancy: 16
; WaveLimiterHint : 0
; COMPUTE_PGM_RSRC2:SCRATCH_EN: 0
; COMPUTE_PGM_RSRC2:USER_SGPR: 2
; COMPUTE_PGM_RSRC2:TRAP_HANDLER: 0
; COMPUTE_PGM_RSRC2:TGID_X_EN: 1
; COMPUTE_PGM_RSRC2:TGID_Y_EN: 0
; COMPUTE_PGM_RSRC2:TGID_Z_EN: 0
; COMPUTE_PGM_RSRC2:TIDIG_COMP_CNT: 0
	.section	.text._ZN7rocprim17ROCPRIM_400000_NS6detail17trampoline_kernelINS0_14default_configENS1_25partition_config_selectorILNS1_17partition_subalgoE5EjNS0_10empty_typeEbEEZZNS1_14partition_implILS5_5ELb0ES3_mN6thrust23THRUST_200600_302600_NS6detail15normal_iteratorINSA_10device_ptrIjEEEEPS6_NSA_18transform_iteratorINSB_9not_fun_tI7is_trueIjEEESF_NSA_11use_defaultESM_EENS0_5tupleIJSF_S6_EEENSO_IJSG_SG_EEES6_PlJS6_EEE10hipError_tPvRmT3_T4_T5_T6_T7_T9_mT8_P12ihipStream_tbDpT10_ENKUlT_T0_E_clISt17integral_constantIbLb0EES1B_EEDaS16_S17_EUlS16_E_NS1_11comp_targetILNS1_3genE8ELNS1_11target_archE1030ELNS1_3gpuE2ELNS1_3repE0EEENS1_30default_config_static_selectorELNS0_4arch9wavefront6targetE0EEEvT1_,"axG",@progbits,_ZN7rocprim17ROCPRIM_400000_NS6detail17trampoline_kernelINS0_14default_configENS1_25partition_config_selectorILNS1_17partition_subalgoE5EjNS0_10empty_typeEbEEZZNS1_14partition_implILS5_5ELb0ES3_mN6thrust23THRUST_200600_302600_NS6detail15normal_iteratorINSA_10device_ptrIjEEEEPS6_NSA_18transform_iteratorINSB_9not_fun_tI7is_trueIjEEESF_NSA_11use_defaultESM_EENS0_5tupleIJSF_S6_EEENSO_IJSG_SG_EEES6_PlJS6_EEE10hipError_tPvRmT3_T4_T5_T6_T7_T9_mT8_P12ihipStream_tbDpT10_ENKUlT_T0_E_clISt17integral_constantIbLb0EES1B_EEDaS16_S17_EUlS16_E_NS1_11comp_targetILNS1_3genE8ELNS1_11target_archE1030ELNS1_3gpuE2ELNS1_3repE0EEENS1_30default_config_static_selectorELNS0_4arch9wavefront6targetE0EEEvT1_,comdat
	.protected	_ZN7rocprim17ROCPRIM_400000_NS6detail17trampoline_kernelINS0_14default_configENS1_25partition_config_selectorILNS1_17partition_subalgoE5EjNS0_10empty_typeEbEEZZNS1_14partition_implILS5_5ELb0ES3_mN6thrust23THRUST_200600_302600_NS6detail15normal_iteratorINSA_10device_ptrIjEEEEPS6_NSA_18transform_iteratorINSB_9not_fun_tI7is_trueIjEEESF_NSA_11use_defaultESM_EENS0_5tupleIJSF_S6_EEENSO_IJSG_SG_EEES6_PlJS6_EEE10hipError_tPvRmT3_T4_T5_T6_T7_T9_mT8_P12ihipStream_tbDpT10_ENKUlT_T0_E_clISt17integral_constantIbLb0EES1B_EEDaS16_S17_EUlS16_E_NS1_11comp_targetILNS1_3genE8ELNS1_11target_archE1030ELNS1_3gpuE2ELNS1_3repE0EEENS1_30default_config_static_selectorELNS0_4arch9wavefront6targetE0EEEvT1_ ; -- Begin function _ZN7rocprim17ROCPRIM_400000_NS6detail17trampoline_kernelINS0_14default_configENS1_25partition_config_selectorILNS1_17partition_subalgoE5EjNS0_10empty_typeEbEEZZNS1_14partition_implILS5_5ELb0ES3_mN6thrust23THRUST_200600_302600_NS6detail15normal_iteratorINSA_10device_ptrIjEEEEPS6_NSA_18transform_iteratorINSB_9not_fun_tI7is_trueIjEEESF_NSA_11use_defaultESM_EENS0_5tupleIJSF_S6_EEENSO_IJSG_SG_EEES6_PlJS6_EEE10hipError_tPvRmT3_T4_T5_T6_T7_T9_mT8_P12ihipStream_tbDpT10_ENKUlT_T0_E_clISt17integral_constantIbLb0EES1B_EEDaS16_S17_EUlS16_E_NS1_11comp_targetILNS1_3genE8ELNS1_11target_archE1030ELNS1_3gpuE2ELNS1_3repE0EEENS1_30default_config_static_selectorELNS0_4arch9wavefront6targetE0EEEvT1_
	.globl	_ZN7rocprim17ROCPRIM_400000_NS6detail17trampoline_kernelINS0_14default_configENS1_25partition_config_selectorILNS1_17partition_subalgoE5EjNS0_10empty_typeEbEEZZNS1_14partition_implILS5_5ELb0ES3_mN6thrust23THRUST_200600_302600_NS6detail15normal_iteratorINSA_10device_ptrIjEEEEPS6_NSA_18transform_iteratorINSB_9not_fun_tI7is_trueIjEEESF_NSA_11use_defaultESM_EENS0_5tupleIJSF_S6_EEENSO_IJSG_SG_EEES6_PlJS6_EEE10hipError_tPvRmT3_T4_T5_T6_T7_T9_mT8_P12ihipStream_tbDpT10_ENKUlT_T0_E_clISt17integral_constantIbLb0EES1B_EEDaS16_S17_EUlS16_E_NS1_11comp_targetILNS1_3genE8ELNS1_11target_archE1030ELNS1_3gpuE2ELNS1_3repE0EEENS1_30default_config_static_selectorELNS0_4arch9wavefront6targetE0EEEvT1_
	.p2align	8
	.type	_ZN7rocprim17ROCPRIM_400000_NS6detail17trampoline_kernelINS0_14default_configENS1_25partition_config_selectorILNS1_17partition_subalgoE5EjNS0_10empty_typeEbEEZZNS1_14partition_implILS5_5ELb0ES3_mN6thrust23THRUST_200600_302600_NS6detail15normal_iteratorINSA_10device_ptrIjEEEEPS6_NSA_18transform_iteratorINSB_9not_fun_tI7is_trueIjEEESF_NSA_11use_defaultESM_EENS0_5tupleIJSF_S6_EEENSO_IJSG_SG_EEES6_PlJS6_EEE10hipError_tPvRmT3_T4_T5_T6_T7_T9_mT8_P12ihipStream_tbDpT10_ENKUlT_T0_E_clISt17integral_constantIbLb0EES1B_EEDaS16_S17_EUlS16_E_NS1_11comp_targetILNS1_3genE8ELNS1_11target_archE1030ELNS1_3gpuE2ELNS1_3repE0EEENS1_30default_config_static_selectorELNS0_4arch9wavefront6targetE0EEEvT1_,@function
_ZN7rocprim17ROCPRIM_400000_NS6detail17trampoline_kernelINS0_14default_configENS1_25partition_config_selectorILNS1_17partition_subalgoE5EjNS0_10empty_typeEbEEZZNS1_14partition_implILS5_5ELb0ES3_mN6thrust23THRUST_200600_302600_NS6detail15normal_iteratorINSA_10device_ptrIjEEEEPS6_NSA_18transform_iteratorINSB_9not_fun_tI7is_trueIjEEESF_NSA_11use_defaultESM_EENS0_5tupleIJSF_S6_EEENSO_IJSG_SG_EEES6_PlJS6_EEE10hipError_tPvRmT3_T4_T5_T6_T7_T9_mT8_P12ihipStream_tbDpT10_ENKUlT_T0_E_clISt17integral_constantIbLb0EES1B_EEDaS16_S17_EUlS16_E_NS1_11comp_targetILNS1_3genE8ELNS1_11target_archE1030ELNS1_3gpuE2ELNS1_3repE0EEENS1_30default_config_static_selectorELNS0_4arch9wavefront6targetE0EEEvT1_: ; @_ZN7rocprim17ROCPRIM_400000_NS6detail17trampoline_kernelINS0_14default_configENS1_25partition_config_selectorILNS1_17partition_subalgoE5EjNS0_10empty_typeEbEEZZNS1_14partition_implILS5_5ELb0ES3_mN6thrust23THRUST_200600_302600_NS6detail15normal_iteratorINSA_10device_ptrIjEEEEPS6_NSA_18transform_iteratorINSB_9not_fun_tI7is_trueIjEEESF_NSA_11use_defaultESM_EENS0_5tupleIJSF_S6_EEENSO_IJSG_SG_EEES6_PlJS6_EEE10hipError_tPvRmT3_T4_T5_T6_T7_T9_mT8_P12ihipStream_tbDpT10_ENKUlT_T0_E_clISt17integral_constantIbLb0EES1B_EEDaS16_S17_EUlS16_E_NS1_11comp_targetILNS1_3genE8ELNS1_11target_archE1030ELNS1_3gpuE2ELNS1_3repE0EEENS1_30default_config_static_selectorELNS0_4arch9wavefront6targetE0EEEvT1_
; %bb.0:
	.section	.rodata,"a",@progbits
	.p2align	6, 0x0
	.amdhsa_kernel _ZN7rocprim17ROCPRIM_400000_NS6detail17trampoline_kernelINS0_14default_configENS1_25partition_config_selectorILNS1_17partition_subalgoE5EjNS0_10empty_typeEbEEZZNS1_14partition_implILS5_5ELb0ES3_mN6thrust23THRUST_200600_302600_NS6detail15normal_iteratorINSA_10device_ptrIjEEEEPS6_NSA_18transform_iteratorINSB_9not_fun_tI7is_trueIjEEESF_NSA_11use_defaultESM_EENS0_5tupleIJSF_S6_EEENSO_IJSG_SG_EEES6_PlJS6_EEE10hipError_tPvRmT3_T4_T5_T6_T7_T9_mT8_P12ihipStream_tbDpT10_ENKUlT_T0_E_clISt17integral_constantIbLb0EES1B_EEDaS16_S17_EUlS16_E_NS1_11comp_targetILNS1_3genE8ELNS1_11target_archE1030ELNS1_3gpuE2ELNS1_3repE0EEENS1_30default_config_static_selectorELNS0_4arch9wavefront6targetE0EEEvT1_
		.amdhsa_group_segment_fixed_size 0
		.amdhsa_private_segment_fixed_size 0
		.amdhsa_kernarg_size 120
		.amdhsa_user_sgpr_count 2
		.amdhsa_user_sgpr_dispatch_ptr 0
		.amdhsa_user_sgpr_queue_ptr 0
		.amdhsa_user_sgpr_kernarg_segment_ptr 1
		.amdhsa_user_sgpr_dispatch_id 0
		.amdhsa_user_sgpr_private_segment_size 0
		.amdhsa_wavefront_size32 1
		.amdhsa_uses_dynamic_stack 0
		.amdhsa_enable_private_segment 0
		.amdhsa_system_sgpr_workgroup_id_x 1
		.amdhsa_system_sgpr_workgroup_id_y 0
		.amdhsa_system_sgpr_workgroup_id_z 0
		.amdhsa_system_sgpr_workgroup_info 0
		.amdhsa_system_vgpr_workitem_id 0
		.amdhsa_next_free_vgpr 1
		.amdhsa_next_free_sgpr 1
		.amdhsa_reserve_vcc 0
		.amdhsa_float_round_mode_32 0
		.amdhsa_float_round_mode_16_64 0
		.amdhsa_float_denorm_mode_32 3
		.amdhsa_float_denorm_mode_16_64 3
		.amdhsa_fp16_overflow 0
		.amdhsa_workgroup_processor_mode 1
		.amdhsa_memory_ordered 1
		.amdhsa_forward_progress 1
		.amdhsa_inst_pref_size 0
		.amdhsa_round_robin_scheduling 0
		.amdhsa_exception_fp_ieee_invalid_op 0
		.amdhsa_exception_fp_denorm_src 0
		.amdhsa_exception_fp_ieee_div_zero 0
		.amdhsa_exception_fp_ieee_overflow 0
		.amdhsa_exception_fp_ieee_underflow 0
		.amdhsa_exception_fp_ieee_inexact 0
		.amdhsa_exception_int_div_zero 0
	.end_amdhsa_kernel
	.section	.text._ZN7rocprim17ROCPRIM_400000_NS6detail17trampoline_kernelINS0_14default_configENS1_25partition_config_selectorILNS1_17partition_subalgoE5EjNS0_10empty_typeEbEEZZNS1_14partition_implILS5_5ELb0ES3_mN6thrust23THRUST_200600_302600_NS6detail15normal_iteratorINSA_10device_ptrIjEEEEPS6_NSA_18transform_iteratorINSB_9not_fun_tI7is_trueIjEEESF_NSA_11use_defaultESM_EENS0_5tupleIJSF_S6_EEENSO_IJSG_SG_EEES6_PlJS6_EEE10hipError_tPvRmT3_T4_T5_T6_T7_T9_mT8_P12ihipStream_tbDpT10_ENKUlT_T0_E_clISt17integral_constantIbLb0EES1B_EEDaS16_S17_EUlS16_E_NS1_11comp_targetILNS1_3genE8ELNS1_11target_archE1030ELNS1_3gpuE2ELNS1_3repE0EEENS1_30default_config_static_selectorELNS0_4arch9wavefront6targetE0EEEvT1_,"axG",@progbits,_ZN7rocprim17ROCPRIM_400000_NS6detail17trampoline_kernelINS0_14default_configENS1_25partition_config_selectorILNS1_17partition_subalgoE5EjNS0_10empty_typeEbEEZZNS1_14partition_implILS5_5ELb0ES3_mN6thrust23THRUST_200600_302600_NS6detail15normal_iteratorINSA_10device_ptrIjEEEEPS6_NSA_18transform_iteratorINSB_9not_fun_tI7is_trueIjEEESF_NSA_11use_defaultESM_EENS0_5tupleIJSF_S6_EEENSO_IJSG_SG_EEES6_PlJS6_EEE10hipError_tPvRmT3_T4_T5_T6_T7_T9_mT8_P12ihipStream_tbDpT10_ENKUlT_T0_E_clISt17integral_constantIbLb0EES1B_EEDaS16_S17_EUlS16_E_NS1_11comp_targetILNS1_3genE8ELNS1_11target_archE1030ELNS1_3gpuE2ELNS1_3repE0EEENS1_30default_config_static_selectorELNS0_4arch9wavefront6targetE0EEEvT1_,comdat
.Lfunc_end1408:
	.size	_ZN7rocprim17ROCPRIM_400000_NS6detail17trampoline_kernelINS0_14default_configENS1_25partition_config_selectorILNS1_17partition_subalgoE5EjNS0_10empty_typeEbEEZZNS1_14partition_implILS5_5ELb0ES3_mN6thrust23THRUST_200600_302600_NS6detail15normal_iteratorINSA_10device_ptrIjEEEEPS6_NSA_18transform_iteratorINSB_9not_fun_tI7is_trueIjEEESF_NSA_11use_defaultESM_EENS0_5tupleIJSF_S6_EEENSO_IJSG_SG_EEES6_PlJS6_EEE10hipError_tPvRmT3_T4_T5_T6_T7_T9_mT8_P12ihipStream_tbDpT10_ENKUlT_T0_E_clISt17integral_constantIbLb0EES1B_EEDaS16_S17_EUlS16_E_NS1_11comp_targetILNS1_3genE8ELNS1_11target_archE1030ELNS1_3gpuE2ELNS1_3repE0EEENS1_30default_config_static_selectorELNS0_4arch9wavefront6targetE0EEEvT1_, .Lfunc_end1408-_ZN7rocprim17ROCPRIM_400000_NS6detail17trampoline_kernelINS0_14default_configENS1_25partition_config_selectorILNS1_17partition_subalgoE5EjNS0_10empty_typeEbEEZZNS1_14partition_implILS5_5ELb0ES3_mN6thrust23THRUST_200600_302600_NS6detail15normal_iteratorINSA_10device_ptrIjEEEEPS6_NSA_18transform_iteratorINSB_9not_fun_tI7is_trueIjEEESF_NSA_11use_defaultESM_EENS0_5tupleIJSF_S6_EEENSO_IJSG_SG_EEES6_PlJS6_EEE10hipError_tPvRmT3_T4_T5_T6_T7_T9_mT8_P12ihipStream_tbDpT10_ENKUlT_T0_E_clISt17integral_constantIbLb0EES1B_EEDaS16_S17_EUlS16_E_NS1_11comp_targetILNS1_3genE8ELNS1_11target_archE1030ELNS1_3gpuE2ELNS1_3repE0EEENS1_30default_config_static_selectorELNS0_4arch9wavefront6targetE0EEEvT1_
                                        ; -- End function
	.set _ZN7rocprim17ROCPRIM_400000_NS6detail17trampoline_kernelINS0_14default_configENS1_25partition_config_selectorILNS1_17partition_subalgoE5EjNS0_10empty_typeEbEEZZNS1_14partition_implILS5_5ELb0ES3_mN6thrust23THRUST_200600_302600_NS6detail15normal_iteratorINSA_10device_ptrIjEEEEPS6_NSA_18transform_iteratorINSB_9not_fun_tI7is_trueIjEEESF_NSA_11use_defaultESM_EENS0_5tupleIJSF_S6_EEENSO_IJSG_SG_EEES6_PlJS6_EEE10hipError_tPvRmT3_T4_T5_T6_T7_T9_mT8_P12ihipStream_tbDpT10_ENKUlT_T0_E_clISt17integral_constantIbLb0EES1B_EEDaS16_S17_EUlS16_E_NS1_11comp_targetILNS1_3genE8ELNS1_11target_archE1030ELNS1_3gpuE2ELNS1_3repE0EEENS1_30default_config_static_selectorELNS0_4arch9wavefront6targetE0EEEvT1_.num_vgpr, 0
	.set _ZN7rocprim17ROCPRIM_400000_NS6detail17trampoline_kernelINS0_14default_configENS1_25partition_config_selectorILNS1_17partition_subalgoE5EjNS0_10empty_typeEbEEZZNS1_14partition_implILS5_5ELb0ES3_mN6thrust23THRUST_200600_302600_NS6detail15normal_iteratorINSA_10device_ptrIjEEEEPS6_NSA_18transform_iteratorINSB_9not_fun_tI7is_trueIjEEESF_NSA_11use_defaultESM_EENS0_5tupleIJSF_S6_EEENSO_IJSG_SG_EEES6_PlJS6_EEE10hipError_tPvRmT3_T4_T5_T6_T7_T9_mT8_P12ihipStream_tbDpT10_ENKUlT_T0_E_clISt17integral_constantIbLb0EES1B_EEDaS16_S17_EUlS16_E_NS1_11comp_targetILNS1_3genE8ELNS1_11target_archE1030ELNS1_3gpuE2ELNS1_3repE0EEENS1_30default_config_static_selectorELNS0_4arch9wavefront6targetE0EEEvT1_.num_agpr, 0
	.set _ZN7rocprim17ROCPRIM_400000_NS6detail17trampoline_kernelINS0_14default_configENS1_25partition_config_selectorILNS1_17partition_subalgoE5EjNS0_10empty_typeEbEEZZNS1_14partition_implILS5_5ELb0ES3_mN6thrust23THRUST_200600_302600_NS6detail15normal_iteratorINSA_10device_ptrIjEEEEPS6_NSA_18transform_iteratorINSB_9not_fun_tI7is_trueIjEEESF_NSA_11use_defaultESM_EENS0_5tupleIJSF_S6_EEENSO_IJSG_SG_EEES6_PlJS6_EEE10hipError_tPvRmT3_T4_T5_T6_T7_T9_mT8_P12ihipStream_tbDpT10_ENKUlT_T0_E_clISt17integral_constantIbLb0EES1B_EEDaS16_S17_EUlS16_E_NS1_11comp_targetILNS1_3genE8ELNS1_11target_archE1030ELNS1_3gpuE2ELNS1_3repE0EEENS1_30default_config_static_selectorELNS0_4arch9wavefront6targetE0EEEvT1_.numbered_sgpr, 0
	.set _ZN7rocprim17ROCPRIM_400000_NS6detail17trampoline_kernelINS0_14default_configENS1_25partition_config_selectorILNS1_17partition_subalgoE5EjNS0_10empty_typeEbEEZZNS1_14partition_implILS5_5ELb0ES3_mN6thrust23THRUST_200600_302600_NS6detail15normal_iteratorINSA_10device_ptrIjEEEEPS6_NSA_18transform_iteratorINSB_9not_fun_tI7is_trueIjEEESF_NSA_11use_defaultESM_EENS0_5tupleIJSF_S6_EEENSO_IJSG_SG_EEES6_PlJS6_EEE10hipError_tPvRmT3_T4_T5_T6_T7_T9_mT8_P12ihipStream_tbDpT10_ENKUlT_T0_E_clISt17integral_constantIbLb0EES1B_EEDaS16_S17_EUlS16_E_NS1_11comp_targetILNS1_3genE8ELNS1_11target_archE1030ELNS1_3gpuE2ELNS1_3repE0EEENS1_30default_config_static_selectorELNS0_4arch9wavefront6targetE0EEEvT1_.num_named_barrier, 0
	.set _ZN7rocprim17ROCPRIM_400000_NS6detail17trampoline_kernelINS0_14default_configENS1_25partition_config_selectorILNS1_17partition_subalgoE5EjNS0_10empty_typeEbEEZZNS1_14partition_implILS5_5ELb0ES3_mN6thrust23THRUST_200600_302600_NS6detail15normal_iteratorINSA_10device_ptrIjEEEEPS6_NSA_18transform_iteratorINSB_9not_fun_tI7is_trueIjEEESF_NSA_11use_defaultESM_EENS0_5tupleIJSF_S6_EEENSO_IJSG_SG_EEES6_PlJS6_EEE10hipError_tPvRmT3_T4_T5_T6_T7_T9_mT8_P12ihipStream_tbDpT10_ENKUlT_T0_E_clISt17integral_constantIbLb0EES1B_EEDaS16_S17_EUlS16_E_NS1_11comp_targetILNS1_3genE8ELNS1_11target_archE1030ELNS1_3gpuE2ELNS1_3repE0EEENS1_30default_config_static_selectorELNS0_4arch9wavefront6targetE0EEEvT1_.private_seg_size, 0
	.set _ZN7rocprim17ROCPRIM_400000_NS6detail17trampoline_kernelINS0_14default_configENS1_25partition_config_selectorILNS1_17partition_subalgoE5EjNS0_10empty_typeEbEEZZNS1_14partition_implILS5_5ELb0ES3_mN6thrust23THRUST_200600_302600_NS6detail15normal_iteratorINSA_10device_ptrIjEEEEPS6_NSA_18transform_iteratorINSB_9not_fun_tI7is_trueIjEEESF_NSA_11use_defaultESM_EENS0_5tupleIJSF_S6_EEENSO_IJSG_SG_EEES6_PlJS6_EEE10hipError_tPvRmT3_T4_T5_T6_T7_T9_mT8_P12ihipStream_tbDpT10_ENKUlT_T0_E_clISt17integral_constantIbLb0EES1B_EEDaS16_S17_EUlS16_E_NS1_11comp_targetILNS1_3genE8ELNS1_11target_archE1030ELNS1_3gpuE2ELNS1_3repE0EEENS1_30default_config_static_selectorELNS0_4arch9wavefront6targetE0EEEvT1_.uses_vcc, 0
	.set _ZN7rocprim17ROCPRIM_400000_NS6detail17trampoline_kernelINS0_14default_configENS1_25partition_config_selectorILNS1_17partition_subalgoE5EjNS0_10empty_typeEbEEZZNS1_14partition_implILS5_5ELb0ES3_mN6thrust23THRUST_200600_302600_NS6detail15normal_iteratorINSA_10device_ptrIjEEEEPS6_NSA_18transform_iteratorINSB_9not_fun_tI7is_trueIjEEESF_NSA_11use_defaultESM_EENS0_5tupleIJSF_S6_EEENSO_IJSG_SG_EEES6_PlJS6_EEE10hipError_tPvRmT3_T4_T5_T6_T7_T9_mT8_P12ihipStream_tbDpT10_ENKUlT_T0_E_clISt17integral_constantIbLb0EES1B_EEDaS16_S17_EUlS16_E_NS1_11comp_targetILNS1_3genE8ELNS1_11target_archE1030ELNS1_3gpuE2ELNS1_3repE0EEENS1_30default_config_static_selectorELNS0_4arch9wavefront6targetE0EEEvT1_.uses_flat_scratch, 0
	.set _ZN7rocprim17ROCPRIM_400000_NS6detail17trampoline_kernelINS0_14default_configENS1_25partition_config_selectorILNS1_17partition_subalgoE5EjNS0_10empty_typeEbEEZZNS1_14partition_implILS5_5ELb0ES3_mN6thrust23THRUST_200600_302600_NS6detail15normal_iteratorINSA_10device_ptrIjEEEEPS6_NSA_18transform_iteratorINSB_9not_fun_tI7is_trueIjEEESF_NSA_11use_defaultESM_EENS0_5tupleIJSF_S6_EEENSO_IJSG_SG_EEES6_PlJS6_EEE10hipError_tPvRmT3_T4_T5_T6_T7_T9_mT8_P12ihipStream_tbDpT10_ENKUlT_T0_E_clISt17integral_constantIbLb0EES1B_EEDaS16_S17_EUlS16_E_NS1_11comp_targetILNS1_3genE8ELNS1_11target_archE1030ELNS1_3gpuE2ELNS1_3repE0EEENS1_30default_config_static_selectorELNS0_4arch9wavefront6targetE0EEEvT1_.has_dyn_sized_stack, 0
	.set _ZN7rocprim17ROCPRIM_400000_NS6detail17trampoline_kernelINS0_14default_configENS1_25partition_config_selectorILNS1_17partition_subalgoE5EjNS0_10empty_typeEbEEZZNS1_14partition_implILS5_5ELb0ES3_mN6thrust23THRUST_200600_302600_NS6detail15normal_iteratorINSA_10device_ptrIjEEEEPS6_NSA_18transform_iteratorINSB_9not_fun_tI7is_trueIjEEESF_NSA_11use_defaultESM_EENS0_5tupleIJSF_S6_EEENSO_IJSG_SG_EEES6_PlJS6_EEE10hipError_tPvRmT3_T4_T5_T6_T7_T9_mT8_P12ihipStream_tbDpT10_ENKUlT_T0_E_clISt17integral_constantIbLb0EES1B_EEDaS16_S17_EUlS16_E_NS1_11comp_targetILNS1_3genE8ELNS1_11target_archE1030ELNS1_3gpuE2ELNS1_3repE0EEENS1_30default_config_static_selectorELNS0_4arch9wavefront6targetE0EEEvT1_.has_recursion, 0
	.set _ZN7rocprim17ROCPRIM_400000_NS6detail17trampoline_kernelINS0_14default_configENS1_25partition_config_selectorILNS1_17partition_subalgoE5EjNS0_10empty_typeEbEEZZNS1_14partition_implILS5_5ELb0ES3_mN6thrust23THRUST_200600_302600_NS6detail15normal_iteratorINSA_10device_ptrIjEEEEPS6_NSA_18transform_iteratorINSB_9not_fun_tI7is_trueIjEEESF_NSA_11use_defaultESM_EENS0_5tupleIJSF_S6_EEENSO_IJSG_SG_EEES6_PlJS6_EEE10hipError_tPvRmT3_T4_T5_T6_T7_T9_mT8_P12ihipStream_tbDpT10_ENKUlT_T0_E_clISt17integral_constantIbLb0EES1B_EEDaS16_S17_EUlS16_E_NS1_11comp_targetILNS1_3genE8ELNS1_11target_archE1030ELNS1_3gpuE2ELNS1_3repE0EEENS1_30default_config_static_selectorELNS0_4arch9wavefront6targetE0EEEvT1_.has_indirect_call, 0
	.section	.AMDGPU.csdata,"",@progbits
; Kernel info:
; codeLenInByte = 0
; TotalNumSgprs: 0
; NumVgprs: 0
; ScratchSize: 0
; MemoryBound: 0
; FloatMode: 240
; IeeeMode: 1
; LDSByteSize: 0 bytes/workgroup (compile time only)
; SGPRBlocks: 0
; VGPRBlocks: 0
; NumSGPRsForWavesPerEU: 1
; NumVGPRsForWavesPerEU: 1
; Occupancy: 16
; WaveLimiterHint : 0
; COMPUTE_PGM_RSRC2:SCRATCH_EN: 0
; COMPUTE_PGM_RSRC2:USER_SGPR: 2
; COMPUTE_PGM_RSRC2:TRAP_HANDLER: 0
; COMPUTE_PGM_RSRC2:TGID_X_EN: 1
; COMPUTE_PGM_RSRC2:TGID_Y_EN: 0
; COMPUTE_PGM_RSRC2:TGID_Z_EN: 0
; COMPUTE_PGM_RSRC2:TIDIG_COMP_CNT: 0
	.section	.text._ZN7rocprim17ROCPRIM_400000_NS6detail17trampoline_kernelINS0_14default_configENS1_25partition_config_selectorILNS1_17partition_subalgoE5EjNS0_10empty_typeEbEEZZNS1_14partition_implILS5_5ELb0ES3_mN6thrust23THRUST_200600_302600_NS6detail15normal_iteratorINSA_10device_ptrIjEEEEPS6_NSA_18transform_iteratorINSB_9not_fun_tI7is_trueIjEEESF_NSA_11use_defaultESM_EENS0_5tupleIJSF_S6_EEENSO_IJSG_SG_EEES6_PlJS6_EEE10hipError_tPvRmT3_T4_T5_T6_T7_T9_mT8_P12ihipStream_tbDpT10_ENKUlT_T0_E_clISt17integral_constantIbLb1EES1B_EEDaS16_S17_EUlS16_E_NS1_11comp_targetILNS1_3genE0ELNS1_11target_archE4294967295ELNS1_3gpuE0ELNS1_3repE0EEENS1_30default_config_static_selectorELNS0_4arch9wavefront6targetE0EEEvT1_,"axG",@progbits,_ZN7rocprim17ROCPRIM_400000_NS6detail17trampoline_kernelINS0_14default_configENS1_25partition_config_selectorILNS1_17partition_subalgoE5EjNS0_10empty_typeEbEEZZNS1_14partition_implILS5_5ELb0ES3_mN6thrust23THRUST_200600_302600_NS6detail15normal_iteratorINSA_10device_ptrIjEEEEPS6_NSA_18transform_iteratorINSB_9not_fun_tI7is_trueIjEEESF_NSA_11use_defaultESM_EENS0_5tupleIJSF_S6_EEENSO_IJSG_SG_EEES6_PlJS6_EEE10hipError_tPvRmT3_T4_T5_T6_T7_T9_mT8_P12ihipStream_tbDpT10_ENKUlT_T0_E_clISt17integral_constantIbLb1EES1B_EEDaS16_S17_EUlS16_E_NS1_11comp_targetILNS1_3genE0ELNS1_11target_archE4294967295ELNS1_3gpuE0ELNS1_3repE0EEENS1_30default_config_static_selectorELNS0_4arch9wavefront6targetE0EEEvT1_,comdat
	.protected	_ZN7rocprim17ROCPRIM_400000_NS6detail17trampoline_kernelINS0_14default_configENS1_25partition_config_selectorILNS1_17partition_subalgoE5EjNS0_10empty_typeEbEEZZNS1_14partition_implILS5_5ELb0ES3_mN6thrust23THRUST_200600_302600_NS6detail15normal_iteratorINSA_10device_ptrIjEEEEPS6_NSA_18transform_iteratorINSB_9not_fun_tI7is_trueIjEEESF_NSA_11use_defaultESM_EENS0_5tupleIJSF_S6_EEENSO_IJSG_SG_EEES6_PlJS6_EEE10hipError_tPvRmT3_T4_T5_T6_T7_T9_mT8_P12ihipStream_tbDpT10_ENKUlT_T0_E_clISt17integral_constantIbLb1EES1B_EEDaS16_S17_EUlS16_E_NS1_11comp_targetILNS1_3genE0ELNS1_11target_archE4294967295ELNS1_3gpuE0ELNS1_3repE0EEENS1_30default_config_static_selectorELNS0_4arch9wavefront6targetE0EEEvT1_ ; -- Begin function _ZN7rocprim17ROCPRIM_400000_NS6detail17trampoline_kernelINS0_14default_configENS1_25partition_config_selectorILNS1_17partition_subalgoE5EjNS0_10empty_typeEbEEZZNS1_14partition_implILS5_5ELb0ES3_mN6thrust23THRUST_200600_302600_NS6detail15normal_iteratorINSA_10device_ptrIjEEEEPS6_NSA_18transform_iteratorINSB_9not_fun_tI7is_trueIjEEESF_NSA_11use_defaultESM_EENS0_5tupleIJSF_S6_EEENSO_IJSG_SG_EEES6_PlJS6_EEE10hipError_tPvRmT3_T4_T5_T6_T7_T9_mT8_P12ihipStream_tbDpT10_ENKUlT_T0_E_clISt17integral_constantIbLb1EES1B_EEDaS16_S17_EUlS16_E_NS1_11comp_targetILNS1_3genE0ELNS1_11target_archE4294967295ELNS1_3gpuE0ELNS1_3repE0EEENS1_30default_config_static_selectorELNS0_4arch9wavefront6targetE0EEEvT1_
	.globl	_ZN7rocprim17ROCPRIM_400000_NS6detail17trampoline_kernelINS0_14default_configENS1_25partition_config_selectorILNS1_17partition_subalgoE5EjNS0_10empty_typeEbEEZZNS1_14partition_implILS5_5ELb0ES3_mN6thrust23THRUST_200600_302600_NS6detail15normal_iteratorINSA_10device_ptrIjEEEEPS6_NSA_18transform_iteratorINSB_9not_fun_tI7is_trueIjEEESF_NSA_11use_defaultESM_EENS0_5tupleIJSF_S6_EEENSO_IJSG_SG_EEES6_PlJS6_EEE10hipError_tPvRmT3_T4_T5_T6_T7_T9_mT8_P12ihipStream_tbDpT10_ENKUlT_T0_E_clISt17integral_constantIbLb1EES1B_EEDaS16_S17_EUlS16_E_NS1_11comp_targetILNS1_3genE0ELNS1_11target_archE4294967295ELNS1_3gpuE0ELNS1_3repE0EEENS1_30default_config_static_selectorELNS0_4arch9wavefront6targetE0EEEvT1_
	.p2align	8
	.type	_ZN7rocprim17ROCPRIM_400000_NS6detail17trampoline_kernelINS0_14default_configENS1_25partition_config_selectorILNS1_17partition_subalgoE5EjNS0_10empty_typeEbEEZZNS1_14partition_implILS5_5ELb0ES3_mN6thrust23THRUST_200600_302600_NS6detail15normal_iteratorINSA_10device_ptrIjEEEEPS6_NSA_18transform_iteratorINSB_9not_fun_tI7is_trueIjEEESF_NSA_11use_defaultESM_EENS0_5tupleIJSF_S6_EEENSO_IJSG_SG_EEES6_PlJS6_EEE10hipError_tPvRmT3_T4_T5_T6_T7_T9_mT8_P12ihipStream_tbDpT10_ENKUlT_T0_E_clISt17integral_constantIbLb1EES1B_EEDaS16_S17_EUlS16_E_NS1_11comp_targetILNS1_3genE0ELNS1_11target_archE4294967295ELNS1_3gpuE0ELNS1_3repE0EEENS1_30default_config_static_selectorELNS0_4arch9wavefront6targetE0EEEvT1_,@function
_ZN7rocprim17ROCPRIM_400000_NS6detail17trampoline_kernelINS0_14default_configENS1_25partition_config_selectorILNS1_17partition_subalgoE5EjNS0_10empty_typeEbEEZZNS1_14partition_implILS5_5ELb0ES3_mN6thrust23THRUST_200600_302600_NS6detail15normal_iteratorINSA_10device_ptrIjEEEEPS6_NSA_18transform_iteratorINSB_9not_fun_tI7is_trueIjEEESF_NSA_11use_defaultESM_EENS0_5tupleIJSF_S6_EEENSO_IJSG_SG_EEES6_PlJS6_EEE10hipError_tPvRmT3_T4_T5_T6_T7_T9_mT8_P12ihipStream_tbDpT10_ENKUlT_T0_E_clISt17integral_constantIbLb1EES1B_EEDaS16_S17_EUlS16_E_NS1_11comp_targetILNS1_3genE0ELNS1_11target_archE4294967295ELNS1_3gpuE0ELNS1_3repE0EEENS1_30default_config_static_selectorELNS0_4arch9wavefront6targetE0EEEvT1_: ; @_ZN7rocprim17ROCPRIM_400000_NS6detail17trampoline_kernelINS0_14default_configENS1_25partition_config_selectorILNS1_17partition_subalgoE5EjNS0_10empty_typeEbEEZZNS1_14partition_implILS5_5ELb0ES3_mN6thrust23THRUST_200600_302600_NS6detail15normal_iteratorINSA_10device_ptrIjEEEEPS6_NSA_18transform_iteratorINSB_9not_fun_tI7is_trueIjEEESF_NSA_11use_defaultESM_EENS0_5tupleIJSF_S6_EEENSO_IJSG_SG_EEES6_PlJS6_EEE10hipError_tPvRmT3_T4_T5_T6_T7_T9_mT8_P12ihipStream_tbDpT10_ENKUlT_T0_E_clISt17integral_constantIbLb1EES1B_EEDaS16_S17_EUlS16_E_NS1_11comp_targetILNS1_3genE0ELNS1_11target_archE4294967295ELNS1_3gpuE0ELNS1_3repE0EEENS1_30default_config_static_selectorELNS0_4arch9wavefront6targetE0EEEvT1_
; %bb.0:
	.section	.rodata,"a",@progbits
	.p2align	6, 0x0
	.amdhsa_kernel _ZN7rocprim17ROCPRIM_400000_NS6detail17trampoline_kernelINS0_14default_configENS1_25partition_config_selectorILNS1_17partition_subalgoE5EjNS0_10empty_typeEbEEZZNS1_14partition_implILS5_5ELb0ES3_mN6thrust23THRUST_200600_302600_NS6detail15normal_iteratorINSA_10device_ptrIjEEEEPS6_NSA_18transform_iteratorINSB_9not_fun_tI7is_trueIjEEESF_NSA_11use_defaultESM_EENS0_5tupleIJSF_S6_EEENSO_IJSG_SG_EEES6_PlJS6_EEE10hipError_tPvRmT3_T4_T5_T6_T7_T9_mT8_P12ihipStream_tbDpT10_ENKUlT_T0_E_clISt17integral_constantIbLb1EES1B_EEDaS16_S17_EUlS16_E_NS1_11comp_targetILNS1_3genE0ELNS1_11target_archE4294967295ELNS1_3gpuE0ELNS1_3repE0EEENS1_30default_config_static_selectorELNS0_4arch9wavefront6targetE0EEEvT1_
		.amdhsa_group_segment_fixed_size 0
		.amdhsa_private_segment_fixed_size 0
		.amdhsa_kernarg_size 136
		.amdhsa_user_sgpr_count 2
		.amdhsa_user_sgpr_dispatch_ptr 0
		.amdhsa_user_sgpr_queue_ptr 0
		.amdhsa_user_sgpr_kernarg_segment_ptr 1
		.amdhsa_user_sgpr_dispatch_id 0
		.amdhsa_user_sgpr_private_segment_size 0
		.amdhsa_wavefront_size32 1
		.amdhsa_uses_dynamic_stack 0
		.amdhsa_enable_private_segment 0
		.amdhsa_system_sgpr_workgroup_id_x 1
		.amdhsa_system_sgpr_workgroup_id_y 0
		.amdhsa_system_sgpr_workgroup_id_z 0
		.amdhsa_system_sgpr_workgroup_info 0
		.amdhsa_system_vgpr_workitem_id 0
		.amdhsa_next_free_vgpr 1
		.amdhsa_next_free_sgpr 1
		.amdhsa_reserve_vcc 0
		.amdhsa_float_round_mode_32 0
		.amdhsa_float_round_mode_16_64 0
		.amdhsa_float_denorm_mode_32 3
		.amdhsa_float_denorm_mode_16_64 3
		.amdhsa_fp16_overflow 0
		.amdhsa_workgroup_processor_mode 1
		.amdhsa_memory_ordered 1
		.amdhsa_forward_progress 1
		.amdhsa_inst_pref_size 0
		.amdhsa_round_robin_scheduling 0
		.amdhsa_exception_fp_ieee_invalid_op 0
		.amdhsa_exception_fp_denorm_src 0
		.amdhsa_exception_fp_ieee_div_zero 0
		.amdhsa_exception_fp_ieee_overflow 0
		.amdhsa_exception_fp_ieee_underflow 0
		.amdhsa_exception_fp_ieee_inexact 0
		.amdhsa_exception_int_div_zero 0
	.end_amdhsa_kernel
	.section	.text._ZN7rocprim17ROCPRIM_400000_NS6detail17trampoline_kernelINS0_14default_configENS1_25partition_config_selectorILNS1_17partition_subalgoE5EjNS0_10empty_typeEbEEZZNS1_14partition_implILS5_5ELb0ES3_mN6thrust23THRUST_200600_302600_NS6detail15normal_iteratorINSA_10device_ptrIjEEEEPS6_NSA_18transform_iteratorINSB_9not_fun_tI7is_trueIjEEESF_NSA_11use_defaultESM_EENS0_5tupleIJSF_S6_EEENSO_IJSG_SG_EEES6_PlJS6_EEE10hipError_tPvRmT3_T4_T5_T6_T7_T9_mT8_P12ihipStream_tbDpT10_ENKUlT_T0_E_clISt17integral_constantIbLb1EES1B_EEDaS16_S17_EUlS16_E_NS1_11comp_targetILNS1_3genE0ELNS1_11target_archE4294967295ELNS1_3gpuE0ELNS1_3repE0EEENS1_30default_config_static_selectorELNS0_4arch9wavefront6targetE0EEEvT1_,"axG",@progbits,_ZN7rocprim17ROCPRIM_400000_NS6detail17trampoline_kernelINS0_14default_configENS1_25partition_config_selectorILNS1_17partition_subalgoE5EjNS0_10empty_typeEbEEZZNS1_14partition_implILS5_5ELb0ES3_mN6thrust23THRUST_200600_302600_NS6detail15normal_iteratorINSA_10device_ptrIjEEEEPS6_NSA_18transform_iteratorINSB_9not_fun_tI7is_trueIjEEESF_NSA_11use_defaultESM_EENS0_5tupleIJSF_S6_EEENSO_IJSG_SG_EEES6_PlJS6_EEE10hipError_tPvRmT3_T4_T5_T6_T7_T9_mT8_P12ihipStream_tbDpT10_ENKUlT_T0_E_clISt17integral_constantIbLb1EES1B_EEDaS16_S17_EUlS16_E_NS1_11comp_targetILNS1_3genE0ELNS1_11target_archE4294967295ELNS1_3gpuE0ELNS1_3repE0EEENS1_30default_config_static_selectorELNS0_4arch9wavefront6targetE0EEEvT1_,comdat
.Lfunc_end1409:
	.size	_ZN7rocprim17ROCPRIM_400000_NS6detail17trampoline_kernelINS0_14default_configENS1_25partition_config_selectorILNS1_17partition_subalgoE5EjNS0_10empty_typeEbEEZZNS1_14partition_implILS5_5ELb0ES3_mN6thrust23THRUST_200600_302600_NS6detail15normal_iteratorINSA_10device_ptrIjEEEEPS6_NSA_18transform_iteratorINSB_9not_fun_tI7is_trueIjEEESF_NSA_11use_defaultESM_EENS0_5tupleIJSF_S6_EEENSO_IJSG_SG_EEES6_PlJS6_EEE10hipError_tPvRmT3_T4_T5_T6_T7_T9_mT8_P12ihipStream_tbDpT10_ENKUlT_T0_E_clISt17integral_constantIbLb1EES1B_EEDaS16_S17_EUlS16_E_NS1_11comp_targetILNS1_3genE0ELNS1_11target_archE4294967295ELNS1_3gpuE0ELNS1_3repE0EEENS1_30default_config_static_selectorELNS0_4arch9wavefront6targetE0EEEvT1_, .Lfunc_end1409-_ZN7rocprim17ROCPRIM_400000_NS6detail17trampoline_kernelINS0_14default_configENS1_25partition_config_selectorILNS1_17partition_subalgoE5EjNS0_10empty_typeEbEEZZNS1_14partition_implILS5_5ELb0ES3_mN6thrust23THRUST_200600_302600_NS6detail15normal_iteratorINSA_10device_ptrIjEEEEPS6_NSA_18transform_iteratorINSB_9not_fun_tI7is_trueIjEEESF_NSA_11use_defaultESM_EENS0_5tupleIJSF_S6_EEENSO_IJSG_SG_EEES6_PlJS6_EEE10hipError_tPvRmT3_T4_T5_T6_T7_T9_mT8_P12ihipStream_tbDpT10_ENKUlT_T0_E_clISt17integral_constantIbLb1EES1B_EEDaS16_S17_EUlS16_E_NS1_11comp_targetILNS1_3genE0ELNS1_11target_archE4294967295ELNS1_3gpuE0ELNS1_3repE0EEENS1_30default_config_static_selectorELNS0_4arch9wavefront6targetE0EEEvT1_
                                        ; -- End function
	.set _ZN7rocprim17ROCPRIM_400000_NS6detail17trampoline_kernelINS0_14default_configENS1_25partition_config_selectorILNS1_17partition_subalgoE5EjNS0_10empty_typeEbEEZZNS1_14partition_implILS5_5ELb0ES3_mN6thrust23THRUST_200600_302600_NS6detail15normal_iteratorINSA_10device_ptrIjEEEEPS6_NSA_18transform_iteratorINSB_9not_fun_tI7is_trueIjEEESF_NSA_11use_defaultESM_EENS0_5tupleIJSF_S6_EEENSO_IJSG_SG_EEES6_PlJS6_EEE10hipError_tPvRmT3_T4_T5_T6_T7_T9_mT8_P12ihipStream_tbDpT10_ENKUlT_T0_E_clISt17integral_constantIbLb1EES1B_EEDaS16_S17_EUlS16_E_NS1_11comp_targetILNS1_3genE0ELNS1_11target_archE4294967295ELNS1_3gpuE0ELNS1_3repE0EEENS1_30default_config_static_selectorELNS0_4arch9wavefront6targetE0EEEvT1_.num_vgpr, 0
	.set _ZN7rocprim17ROCPRIM_400000_NS6detail17trampoline_kernelINS0_14default_configENS1_25partition_config_selectorILNS1_17partition_subalgoE5EjNS0_10empty_typeEbEEZZNS1_14partition_implILS5_5ELb0ES3_mN6thrust23THRUST_200600_302600_NS6detail15normal_iteratorINSA_10device_ptrIjEEEEPS6_NSA_18transform_iteratorINSB_9not_fun_tI7is_trueIjEEESF_NSA_11use_defaultESM_EENS0_5tupleIJSF_S6_EEENSO_IJSG_SG_EEES6_PlJS6_EEE10hipError_tPvRmT3_T4_T5_T6_T7_T9_mT8_P12ihipStream_tbDpT10_ENKUlT_T0_E_clISt17integral_constantIbLb1EES1B_EEDaS16_S17_EUlS16_E_NS1_11comp_targetILNS1_3genE0ELNS1_11target_archE4294967295ELNS1_3gpuE0ELNS1_3repE0EEENS1_30default_config_static_selectorELNS0_4arch9wavefront6targetE0EEEvT1_.num_agpr, 0
	.set _ZN7rocprim17ROCPRIM_400000_NS6detail17trampoline_kernelINS0_14default_configENS1_25partition_config_selectorILNS1_17partition_subalgoE5EjNS0_10empty_typeEbEEZZNS1_14partition_implILS5_5ELb0ES3_mN6thrust23THRUST_200600_302600_NS6detail15normal_iteratorINSA_10device_ptrIjEEEEPS6_NSA_18transform_iteratorINSB_9not_fun_tI7is_trueIjEEESF_NSA_11use_defaultESM_EENS0_5tupleIJSF_S6_EEENSO_IJSG_SG_EEES6_PlJS6_EEE10hipError_tPvRmT3_T4_T5_T6_T7_T9_mT8_P12ihipStream_tbDpT10_ENKUlT_T0_E_clISt17integral_constantIbLb1EES1B_EEDaS16_S17_EUlS16_E_NS1_11comp_targetILNS1_3genE0ELNS1_11target_archE4294967295ELNS1_3gpuE0ELNS1_3repE0EEENS1_30default_config_static_selectorELNS0_4arch9wavefront6targetE0EEEvT1_.numbered_sgpr, 0
	.set _ZN7rocprim17ROCPRIM_400000_NS6detail17trampoline_kernelINS0_14default_configENS1_25partition_config_selectorILNS1_17partition_subalgoE5EjNS0_10empty_typeEbEEZZNS1_14partition_implILS5_5ELb0ES3_mN6thrust23THRUST_200600_302600_NS6detail15normal_iteratorINSA_10device_ptrIjEEEEPS6_NSA_18transform_iteratorINSB_9not_fun_tI7is_trueIjEEESF_NSA_11use_defaultESM_EENS0_5tupleIJSF_S6_EEENSO_IJSG_SG_EEES6_PlJS6_EEE10hipError_tPvRmT3_T4_T5_T6_T7_T9_mT8_P12ihipStream_tbDpT10_ENKUlT_T0_E_clISt17integral_constantIbLb1EES1B_EEDaS16_S17_EUlS16_E_NS1_11comp_targetILNS1_3genE0ELNS1_11target_archE4294967295ELNS1_3gpuE0ELNS1_3repE0EEENS1_30default_config_static_selectorELNS0_4arch9wavefront6targetE0EEEvT1_.num_named_barrier, 0
	.set _ZN7rocprim17ROCPRIM_400000_NS6detail17trampoline_kernelINS0_14default_configENS1_25partition_config_selectorILNS1_17partition_subalgoE5EjNS0_10empty_typeEbEEZZNS1_14partition_implILS5_5ELb0ES3_mN6thrust23THRUST_200600_302600_NS6detail15normal_iteratorINSA_10device_ptrIjEEEEPS6_NSA_18transform_iteratorINSB_9not_fun_tI7is_trueIjEEESF_NSA_11use_defaultESM_EENS0_5tupleIJSF_S6_EEENSO_IJSG_SG_EEES6_PlJS6_EEE10hipError_tPvRmT3_T4_T5_T6_T7_T9_mT8_P12ihipStream_tbDpT10_ENKUlT_T0_E_clISt17integral_constantIbLb1EES1B_EEDaS16_S17_EUlS16_E_NS1_11comp_targetILNS1_3genE0ELNS1_11target_archE4294967295ELNS1_3gpuE0ELNS1_3repE0EEENS1_30default_config_static_selectorELNS0_4arch9wavefront6targetE0EEEvT1_.private_seg_size, 0
	.set _ZN7rocprim17ROCPRIM_400000_NS6detail17trampoline_kernelINS0_14default_configENS1_25partition_config_selectorILNS1_17partition_subalgoE5EjNS0_10empty_typeEbEEZZNS1_14partition_implILS5_5ELb0ES3_mN6thrust23THRUST_200600_302600_NS6detail15normal_iteratorINSA_10device_ptrIjEEEEPS6_NSA_18transform_iteratorINSB_9not_fun_tI7is_trueIjEEESF_NSA_11use_defaultESM_EENS0_5tupleIJSF_S6_EEENSO_IJSG_SG_EEES6_PlJS6_EEE10hipError_tPvRmT3_T4_T5_T6_T7_T9_mT8_P12ihipStream_tbDpT10_ENKUlT_T0_E_clISt17integral_constantIbLb1EES1B_EEDaS16_S17_EUlS16_E_NS1_11comp_targetILNS1_3genE0ELNS1_11target_archE4294967295ELNS1_3gpuE0ELNS1_3repE0EEENS1_30default_config_static_selectorELNS0_4arch9wavefront6targetE0EEEvT1_.uses_vcc, 0
	.set _ZN7rocprim17ROCPRIM_400000_NS6detail17trampoline_kernelINS0_14default_configENS1_25partition_config_selectorILNS1_17partition_subalgoE5EjNS0_10empty_typeEbEEZZNS1_14partition_implILS5_5ELb0ES3_mN6thrust23THRUST_200600_302600_NS6detail15normal_iteratorINSA_10device_ptrIjEEEEPS6_NSA_18transform_iteratorINSB_9not_fun_tI7is_trueIjEEESF_NSA_11use_defaultESM_EENS0_5tupleIJSF_S6_EEENSO_IJSG_SG_EEES6_PlJS6_EEE10hipError_tPvRmT3_T4_T5_T6_T7_T9_mT8_P12ihipStream_tbDpT10_ENKUlT_T0_E_clISt17integral_constantIbLb1EES1B_EEDaS16_S17_EUlS16_E_NS1_11comp_targetILNS1_3genE0ELNS1_11target_archE4294967295ELNS1_3gpuE0ELNS1_3repE0EEENS1_30default_config_static_selectorELNS0_4arch9wavefront6targetE0EEEvT1_.uses_flat_scratch, 0
	.set _ZN7rocprim17ROCPRIM_400000_NS6detail17trampoline_kernelINS0_14default_configENS1_25partition_config_selectorILNS1_17partition_subalgoE5EjNS0_10empty_typeEbEEZZNS1_14partition_implILS5_5ELb0ES3_mN6thrust23THRUST_200600_302600_NS6detail15normal_iteratorINSA_10device_ptrIjEEEEPS6_NSA_18transform_iteratorINSB_9not_fun_tI7is_trueIjEEESF_NSA_11use_defaultESM_EENS0_5tupleIJSF_S6_EEENSO_IJSG_SG_EEES6_PlJS6_EEE10hipError_tPvRmT3_T4_T5_T6_T7_T9_mT8_P12ihipStream_tbDpT10_ENKUlT_T0_E_clISt17integral_constantIbLb1EES1B_EEDaS16_S17_EUlS16_E_NS1_11comp_targetILNS1_3genE0ELNS1_11target_archE4294967295ELNS1_3gpuE0ELNS1_3repE0EEENS1_30default_config_static_selectorELNS0_4arch9wavefront6targetE0EEEvT1_.has_dyn_sized_stack, 0
	.set _ZN7rocprim17ROCPRIM_400000_NS6detail17trampoline_kernelINS0_14default_configENS1_25partition_config_selectorILNS1_17partition_subalgoE5EjNS0_10empty_typeEbEEZZNS1_14partition_implILS5_5ELb0ES3_mN6thrust23THRUST_200600_302600_NS6detail15normal_iteratorINSA_10device_ptrIjEEEEPS6_NSA_18transform_iteratorINSB_9not_fun_tI7is_trueIjEEESF_NSA_11use_defaultESM_EENS0_5tupleIJSF_S6_EEENSO_IJSG_SG_EEES6_PlJS6_EEE10hipError_tPvRmT3_T4_T5_T6_T7_T9_mT8_P12ihipStream_tbDpT10_ENKUlT_T0_E_clISt17integral_constantIbLb1EES1B_EEDaS16_S17_EUlS16_E_NS1_11comp_targetILNS1_3genE0ELNS1_11target_archE4294967295ELNS1_3gpuE0ELNS1_3repE0EEENS1_30default_config_static_selectorELNS0_4arch9wavefront6targetE0EEEvT1_.has_recursion, 0
	.set _ZN7rocprim17ROCPRIM_400000_NS6detail17trampoline_kernelINS0_14default_configENS1_25partition_config_selectorILNS1_17partition_subalgoE5EjNS0_10empty_typeEbEEZZNS1_14partition_implILS5_5ELb0ES3_mN6thrust23THRUST_200600_302600_NS6detail15normal_iteratorINSA_10device_ptrIjEEEEPS6_NSA_18transform_iteratorINSB_9not_fun_tI7is_trueIjEEESF_NSA_11use_defaultESM_EENS0_5tupleIJSF_S6_EEENSO_IJSG_SG_EEES6_PlJS6_EEE10hipError_tPvRmT3_T4_T5_T6_T7_T9_mT8_P12ihipStream_tbDpT10_ENKUlT_T0_E_clISt17integral_constantIbLb1EES1B_EEDaS16_S17_EUlS16_E_NS1_11comp_targetILNS1_3genE0ELNS1_11target_archE4294967295ELNS1_3gpuE0ELNS1_3repE0EEENS1_30default_config_static_selectorELNS0_4arch9wavefront6targetE0EEEvT1_.has_indirect_call, 0
	.section	.AMDGPU.csdata,"",@progbits
; Kernel info:
; codeLenInByte = 0
; TotalNumSgprs: 0
; NumVgprs: 0
; ScratchSize: 0
; MemoryBound: 0
; FloatMode: 240
; IeeeMode: 1
; LDSByteSize: 0 bytes/workgroup (compile time only)
; SGPRBlocks: 0
; VGPRBlocks: 0
; NumSGPRsForWavesPerEU: 1
; NumVGPRsForWavesPerEU: 1
; Occupancy: 16
; WaveLimiterHint : 0
; COMPUTE_PGM_RSRC2:SCRATCH_EN: 0
; COMPUTE_PGM_RSRC2:USER_SGPR: 2
; COMPUTE_PGM_RSRC2:TRAP_HANDLER: 0
; COMPUTE_PGM_RSRC2:TGID_X_EN: 1
; COMPUTE_PGM_RSRC2:TGID_Y_EN: 0
; COMPUTE_PGM_RSRC2:TGID_Z_EN: 0
; COMPUTE_PGM_RSRC2:TIDIG_COMP_CNT: 0
	.section	.text._ZN7rocprim17ROCPRIM_400000_NS6detail17trampoline_kernelINS0_14default_configENS1_25partition_config_selectorILNS1_17partition_subalgoE5EjNS0_10empty_typeEbEEZZNS1_14partition_implILS5_5ELb0ES3_mN6thrust23THRUST_200600_302600_NS6detail15normal_iteratorINSA_10device_ptrIjEEEEPS6_NSA_18transform_iteratorINSB_9not_fun_tI7is_trueIjEEESF_NSA_11use_defaultESM_EENS0_5tupleIJSF_S6_EEENSO_IJSG_SG_EEES6_PlJS6_EEE10hipError_tPvRmT3_T4_T5_T6_T7_T9_mT8_P12ihipStream_tbDpT10_ENKUlT_T0_E_clISt17integral_constantIbLb1EES1B_EEDaS16_S17_EUlS16_E_NS1_11comp_targetILNS1_3genE5ELNS1_11target_archE942ELNS1_3gpuE9ELNS1_3repE0EEENS1_30default_config_static_selectorELNS0_4arch9wavefront6targetE0EEEvT1_,"axG",@progbits,_ZN7rocprim17ROCPRIM_400000_NS6detail17trampoline_kernelINS0_14default_configENS1_25partition_config_selectorILNS1_17partition_subalgoE5EjNS0_10empty_typeEbEEZZNS1_14partition_implILS5_5ELb0ES3_mN6thrust23THRUST_200600_302600_NS6detail15normal_iteratorINSA_10device_ptrIjEEEEPS6_NSA_18transform_iteratorINSB_9not_fun_tI7is_trueIjEEESF_NSA_11use_defaultESM_EENS0_5tupleIJSF_S6_EEENSO_IJSG_SG_EEES6_PlJS6_EEE10hipError_tPvRmT3_T4_T5_T6_T7_T9_mT8_P12ihipStream_tbDpT10_ENKUlT_T0_E_clISt17integral_constantIbLb1EES1B_EEDaS16_S17_EUlS16_E_NS1_11comp_targetILNS1_3genE5ELNS1_11target_archE942ELNS1_3gpuE9ELNS1_3repE0EEENS1_30default_config_static_selectorELNS0_4arch9wavefront6targetE0EEEvT1_,comdat
	.protected	_ZN7rocprim17ROCPRIM_400000_NS6detail17trampoline_kernelINS0_14default_configENS1_25partition_config_selectorILNS1_17partition_subalgoE5EjNS0_10empty_typeEbEEZZNS1_14partition_implILS5_5ELb0ES3_mN6thrust23THRUST_200600_302600_NS6detail15normal_iteratorINSA_10device_ptrIjEEEEPS6_NSA_18transform_iteratorINSB_9not_fun_tI7is_trueIjEEESF_NSA_11use_defaultESM_EENS0_5tupleIJSF_S6_EEENSO_IJSG_SG_EEES6_PlJS6_EEE10hipError_tPvRmT3_T4_T5_T6_T7_T9_mT8_P12ihipStream_tbDpT10_ENKUlT_T0_E_clISt17integral_constantIbLb1EES1B_EEDaS16_S17_EUlS16_E_NS1_11comp_targetILNS1_3genE5ELNS1_11target_archE942ELNS1_3gpuE9ELNS1_3repE0EEENS1_30default_config_static_selectorELNS0_4arch9wavefront6targetE0EEEvT1_ ; -- Begin function _ZN7rocprim17ROCPRIM_400000_NS6detail17trampoline_kernelINS0_14default_configENS1_25partition_config_selectorILNS1_17partition_subalgoE5EjNS0_10empty_typeEbEEZZNS1_14partition_implILS5_5ELb0ES3_mN6thrust23THRUST_200600_302600_NS6detail15normal_iteratorINSA_10device_ptrIjEEEEPS6_NSA_18transform_iteratorINSB_9not_fun_tI7is_trueIjEEESF_NSA_11use_defaultESM_EENS0_5tupleIJSF_S6_EEENSO_IJSG_SG_EEES6_PlJS6_EEE10hipError_tPvRmT3_T4_T5_T6_T7_T9_mT8_P12ihipStream_tbDpT10_ENKUlT_T0_E_clISt17integral_constantIbLb1EES1B_EEDaS16_S17_EUlS16_E_NS1_11comp_targetILNS1_3genE5ELNS1_11target_archE942ELNS1_3gpuE9ELNS1_3repE0EEENS1_30default_config_static_selectorELNS0_4arch9wavefront6targetE0EEEvT1_
	.globl	_ZN7rocprim17ROCPRIM_400000_NS6detail17trampoline_kernelINS0_14default_configENS1_25partition_config_selectorILNS1_17partition_subalgoE5EjNS0_10empty_typeEbEEZZNS1_14partition_implILS5_5ELb0ES3_mN6thrust23THRUST_200600_302600_NS6detail15normal_iteratorINSA_10device_ptrIjEEEEPS6_NSA_18transform_iteratorINSB_9not_fun_tI7is_trueIjEEESF_NSA_11use_defaultESM_EENS0_5tupleIJSF_S6_EEENSO_IJSG_SG_EEES6_PlJS6_EEE10hipError_tPvRmT3_T4_T5_T6_T7_T9_mT8_P12ihipStream_tbDpT10_ENKUlT_T0_E_clISt17integral_constantIbLb1EES1B_EEDaS16_S17_EUlS16_E_NS1_11comp_targetILNS1_3genE5ELNS1_11target_archE942ELNS1_3gpuE9ELNS1_3repE0EEENS1_30default_config_static_selectorELNS0_4arch9wavefront6targetE0EEEvT1_
	.p2align	8
	.type	_ZN7rocprim17ROCPRIM_400000_NS6detail17trampoline_kernelINS0_14default_configENS1_25partition_config_selectorILNS1_17partition_subalgoE5EjNS0_10empty_typeEbEEZZNS1_14partition_implILS5_5ELb0ES3_mN6thrust23THRUST_200600_302600_NS6detail15normal_iteratorINSA_10device_ptrIjEEEEPS6_NSA_18transform_iteratorINSB_9not_fun_tI7is_trueIjEEESF_NSA_11use_defaultESM_EENS0_5tupleIJSF_S6_EEENSO_IJSG_SG_EEES6_PlJS6_EEE10hipError_tPvRmT3_T4_T5_T6_T7_T9_mT8_P12ihipStream_tbDpT10_ENKUlT_T0_E_clISt17integral_constantIbLb1EES1B_EEDaS16_S17_EUlS16_E_NS1_11comp_targetILNS1_3genE5ELNS1_11target_archE942ELNS1_3gpuE9ELNS1_3repE0EEENS1_30default_config_static_selectorELNS0_4arch9wavefront6targetE0EEEvT1_,@function
_ZN7rocprim17ROCPRIM_400000_NS6detail17trampoline_kernelINS0_14default_configENS1_25partition_config_selectorILNS1_17partition_subalgoE5EjNS0_10empty_typeEbEEZZNS1_14partition_implILS5_5ELb0ES3_mN6thrust23THRUST_200600_302600_NS6detail15normal_iteratorINSA_10device_ptrIjEEEEPS6_NSA_18transform_iteratorINSB_9not_fun_tI7is_trueIjEEESF_NSA_11use_defaultESM_EENS0_5tupleIJSF_S6_EEENSO_IJSG_SG_EEES6_PlJS6_EEE10hipError_tPvRmT3_T4_T5_T6_T7_T9_mT8_P12ihipStream_tbDpT10_ENKUlT_T0_E_clISt17integral_constantIbLb1EES1B_EEDaS16_S17_EUlS16_E_NS1_11comp_targetILNS1_3genE5ELNS1_11target_archE942ELNS1_3gpuE9ELNS1_3repE0EEENS1_30default_config_static_selectorELNS0_4arch9wavefront6targetE0EEEvT1_: ; @_ZN7rocprim17ROCPRIM_400000_NS6detail17trampoline_kernelINS0_14default_configENS1_25partition_config_selectorILNS1_17partition_subalgoE5EjNS0_10empty_typeEbEEZZNS1_14partition_implILS5_5ELb0ES3_mN6thrust23THRUST_200600_302600_NS6detail15normal_iteratorINSA_10device_ptrIjEEEEPS6_NSA_18transform_iteratorINSB_9not_fun_tI7is_trueIjEEESF_NSA_11use_defaultESM_EENS0_5tupleIJSF_S6_EEENSO_IJSG_SG_EEES6_PlJS6_EEE10hipError_tPvRmT3_T4_T5_T6_T7_T9_mT8_P12ihipStream_tbDpT10_ENKUlT_T0_E_clISt17integral_constantIbLb1EES1B_EEDaS16_S17_EUlS16_E_NS1_11comp_targetILNS1_3genE5ELNS1_11target_archE942ELNS1_3gpuE9ELNS1_3repE0EEENS1_30default_config_static_selectorELNS0_4arch9wavefront6targetE0EEEvT1_
; %bb.0:
	.section	.rodata,"a",@progbits
	.p2align	6, 0x0
	.amdhsa_kernel _ZN7rocprim17ROCPRIM_400000_NS6detail17trampoline_kernelINS0_14default_configENS1_25partition_config_selectorILNS1_17partition_subalgoE5EjNS0_10empty_typeEbEEZZNS1_14partition_implILS5_5ELb0ES3_mN6thrust23THRUST_200600_302600_NS6detail15normal_iteratorINSA_10device_ptrIjEEEEPS6_NSA_18transform_iteratorINSB_9not_fun_tI7is_trueIjEEESF_NSA_11use_defaultESM_EENS0_5tupleIJSF_S6_EEENSO_IJSG_SG_EEES6_PlJS6_EEE10hipError_tPvRmT3_T4_T5_T6_T7_T9_mT8_P12ihipStream_tbDpT10_ENKUlT_T0_E_clISt17integral_constantIbLb1EES1B_EEDaS16_S17_EUlS16_E_NS1_11comp_targetILNS1_3genE5ELNS1_11target_archE942ELNS1_3gpuE9ELNS1_3repE0EEENS1_30default_config_static_selectorELNS0_4arch9wavefront6targetE0EEEvT1_
		.amdhsa_group_segment_fixed_size 0
		.amdhsa_private_segment_fixed_size 0
		.amdhsa_kernarg_size 136
		.amdhsa_user_sgpr_count 2
		.amdhsa_user_sgpr_dispatch_ptr 0
		.amdhsa_user_sgpr_queue_ptr 0
		.amdhsa_user_sgpr_kernarg_segment_ptr 1
		.amdhsa_user_sgpr_dispatch_id 0
		.amdhsa_user_sgpr_private_segment_size 0
		.amdhsa_wavefront_size32 1
		.amdhsa_uses_dynamic_stack 0
		.amdhsa_enable_private_segment 0
		.amdhsa_system_sgpr_workgroup_id_x 1
		.amdhsa_system_sgpr_workgroup_id_y 0
		.amdhsa_system_sgpr_workgroup_id_z 0
		.amdhsa_system_sgpr_workgroup_info 0
		.amdhsa_system_vgpr_workitem_id 0
		.amdhsa_next_free_vgpr 1
		.amdhsa_next_free_sgpr 1
		.amdhsa_reserve_vcc 0
		.amdhsa_float_round_mode_32 0
		.amdhsa_float_round_mode_16_64 0
		.amdhsa_float_denorm_mode_32 3
		.amdhsa_float_denorm_mode_16_64 3
		.amdhsa_fp16_overflow 0
		.amdhsa_workgroup_processor_mode 1
		.amdhsa_memory_ordered 1
		.amdhsa_forward_progress 1
		.amdhsa_inst_pref_size 0
		.amdhsa_round_robin_scheduling 0
		.amdhsa_exception_fp_ieee_invalid_op 0
		.amdhsa_exception_fp_denorm_src 0
		.amdhsa_exception_fp_ieee_div_zero 0
		.amdhsa_exception_fp_ieee_overflow 0
		.amdhsa_exception_fp_ieee_underflow 0
		.amdhsa_exception_fp_ieee_inexact 0
		.amdhsa_exception_int_div_zero 0
	.end_amdhsa_kernel
	.section	.text._ZN7rocprim17ROCPRIM_400000_NS6detail17trampoline_kernelINS0_14default_configENS1_25partition_config_selectorILNS1_17partition_subalgoE5EjNS0_10empty_typeEbEEZZNS1_14partition_implILS5_5ELb0ES3_mN6thrust23THRUST_200600_302600_NS6detail15normal_iteratorINSA_10device_ptrIjEEEEPS6_NSA_18transform_iteratorINSB_9not_fun_tI7is_trueIjEEESF_NSA_11use_defaultESM_EENS0_5tupleIJSF_S6_EEENSO_IJSG_SG_EEES6_PlJS6_EEE10hipError_tPvRmT3_T4_T5_T6_T7_T9_mT8_P12ihipStream_tbDpT10_ENKUlT_T0_E_clISt17integral_constantIbLb1EES1B_EEDaS16_S17_EUlS16_E_NS1_11comp_targetILNS1_3genE5ELNS1_11target_archE942ELNS1_3gpuE9ELNS1_3repE0EEENS1_30default_config_static_selectorELNS0_4arch9wavefront6targetE0EEEvT1_,"axG",@progbits,_ZN7rocprim17ROCPRIM_400000_NS6detail17trampoline_kernelINS0_14default_configENS1_25partition_config_selectorILNS1_17partition_subalgoE5EjNS0_10empty_typeEbEEZZNS1_14partition_implILS5_5ELb0ES3_mN6thrust23THRUST_200600_302600_NS6detail15normal_iteratorINSA_10device_ptrIjEEEEPS6_NSA_18transform_iteratorINSB_9not_fun_tI7is_trueIjEEESF_NSA_11use_defaultESM_EENS0_5tupleIJSF_S6_EEENSO_IJSG_SG_EEES6_PlJS6_EEE10hipError_tPvRmT3_T4_T5_T6_T7_T9_mT8_P12ihipStream_tbDpT10_ENKUlT_T0_E_clISt17integral_constantIbLb1EES1B_EEDaS16_S17_EUlS16_E_NS1_11comp_targetILNS1_3genE5ELNS1_11target_archE942ELNS1_3gpuE9ELNS1_3repE0EEENS1_30default_config_static_selectorELNS0_4arch9wavefront6targetE0EEEvT1_,comdat
.Lfunc_end1410:
	.size	_ZN7rocprim17ROCPRIM_400000_NS6detail17trampoline_kernelINS0_14default_configENS1_25partition_config_selectorILNS1_17partition_subalgoE5EjNS0_10empty_typeEbEEZZNS1_14partition_implILS5_5ELb0ES3_mN6thrust23THRUST_200600_302600_NS6detail15normal_iteratorINSA_10device_ptrIjEEEEPS6_NSA_18transform_iteratorINSB_9not_fun_tI7is_trueIjEEESF_NSA_11use_defaultESM_EENS0_5tupleIJSF_S6_EEENSO_IJSG_SG_EEES6_PlJS6_EEE10hipError_tPvRmT3_T4_T5_T6_T7_T9_mT8_P12ihipStream_tbDpT10_ENKUlT_T0_E_clISt17integral_constantIbLb1EES1B_EEDaS16_S17_EUlS16_E_NS1_11comp_targetILNS1_3genE5ELNS1_11target_archE942ELNS1_3gpuE9ELNS1_3repE0EEENS1_30default_config_static_selectorELNS0_4arch9wavefront6targetE0EEEvT1_, .Lfunc_end1410-_ZN7rocprim17ROCPRIM_400000_NS6detail17trampoline_kernelINS0_14default_configENS1_25partition_config_selectorILNS1_17partition_subalgoE5EjNS0_10empty_typeEbEEZZNS1_14partition_implILS5_5ELb0ES3_mN6thrust23THRUST_200600_302600_NS6detail15normal_iteratorINSA_10device_ptrIjEEEEPS6_NSA_18transform_iteratorINSB_9not_fun_tI7is_trueIjEEESF_NSA_11use_defaultESM_EENS0_5tupleIJSF_S6_EEENSO_IJSG_SG_EEES6_PlJS6_EEE10hipError_tPvRmT3_T4_T5_T6_T7_T9_mT8_P12ihipStream_tbDpT10_ENKUlT_T0_E_clISt17integral_constantIbLb1EES1B_EEDaS16_S17_EUlS16_E_NS1_11comp_targetILNS1_3genE5ELNS1_11target_archE942ELNS1_3gpuE9ELNS1_3repE0EEENS1_30default_config_static_selectorELNS0_4arch9wavefront6targetE0EEEvT1_
                                        ; -- End function
	.set _ZN7rocprim17ROCPRIM_400000_NS6detail17trampoline_kernelINS0_14default_configENS1_25partition_config_selectorILNS1_17partition_subalgoE5EjNS0_10empty_typeEbEEZZNS1_14partition_implILS5_5ELb0ES3_mN6thrust23THRUST_200600_302600_NS6detail15normal_iteratorINSA_10device_ptrIjEEEEPS6_NSA_18transform_iteratorINSB_9not_fun_tI7is_trueIjEEESF_NSA_11use_defaultESM_EENS0_5tupleIJSF_S6_EEENSO_IJSG_SG_EEES6_PlJS6_EEE10hipError_tPvRmT3_T4_T5_T6_T7_T9_mT8_P12ihipStream_tbDpT10_ENKUlT_T0_E_clISt17integral_constantIbLb1EES1B_EEDaS16_S17_EUlS16_E_NS1_11comp_targetILNS1_3genE5ELNS1_11target_archE942ELNS1_3gpuE9ELNS1_3repE0EEENS1_30default_config_static_selectorELNS0_4arch9wavefront6targetE0EEEvT1_.num_vgpr, 0
	.set _ZN7rocprim17ROCPRIM_400000_NS6detail17trampoline_kernelINS0_14default_configENS1_25partition_config_selectorILNS1_17partition_subalgoE5EjNS0_10empty_typeEbEEZZNS1_14partition_implILS5_5ELb0ES3_mN6thrust23THRUST_200600_302600_NS6detail15normal_iteratorINSA_10device_ptrIjEEEEPS6_NSA_18transform_iteratorINSB_9not_fun_tI7is_trueIjEEESF_NSA_11use_defaultESM_EENS0_5tupleIJSF_S6_EEENSO_IJSG_SG_EEES6_PlJS6_EEE10hipError_tPvRmT3_T4_T5_T6_T7_T9_mT8_P12ihipStream_tbDpT10_ENKUlT_T0_E_clISt17integral_constantIbLb1EES1B_EEDaS16_S17_EUlS16_E_NS1_11comp_targetILNS1_3genE5ELNS1_11target_archE942ELNS1_3gpuE9ELNS1_3repE0EEENS1_30default_config_static_selectorELNS0_4arch9wavefront6targetE0EEEvT1_.num_agpr, 0
	.set _ZN7rocprim17ROCPRIM_400000_NS6detail17trampoline_kernelINS0_14default_configENS1_25partition_config_selectorILNS1_17partition_subalgoE5EjNS0_10empty_typeEbEEZZNS1_14partition_implILS5_5ELb0ES3_mN6thrust23THRUST_200600_302600_NS6detail15normal_iteratorINSA_10device_ptrIjEEEEPS6_NSA_18transform_iteratorINSB_9not_fun_tI7is_trueIjEEESF_NSA_11use_defaultESM_EENS0_5tupleIJSF_S6_EEENSO_IJSG_SG_EEES6_PlJS6_EEE10hipError_tPvRmT3_T4_T5_T6_T7_T9_mT8_P12ihipStream_tbDpT10_ENKUlT_T0_E_clISt17integral_constantIbLb1EES1B_EEDaS16_S17_EUlS16_E_NS1_11comp_targetILNS1_3genE5ELNS1_11target_archE942ELNS1_3gpuE9ELNS1_3repE0EEENS1_30default_config_static_selectorELNS0_4arch9wavefront6targetE0EEEvT1_.numbered_sgpr, 0
	.set _ZN7rocprim17ROCPRIM_400000_NS6detail17trampoline_kernelINS0_14default_configENS1_25partition_config_selectorILNS1_17partition_subalgoE5EjNS0_10empty_typeEbEEZZNS1_14partition_implILS5_5ELb0ES3_mN6thrust23THRUST_200600_302600_NS6detail15normal_iteratorINSA_10device_ptrIjEEEEPS6_NSA_18transform_iteratorINSB_9not_fun_tI7is_trueIjEEESF_NSA_11use_defaultESM_EENS0_5tupleIJSF_S6_EEENSO_IJSG_SG_EEES6_PlJS6_EEE10hipError_tPvRmT3_T4_T5_T6_T7_T9_mT8_P12ihipStream_tbDpT10_ENKUlT_T0_E_clISt17integral_constantIbLb1EES1B_EEDaS16_S17_EUlS16_E_NS1_11comp_targetILNS1_3genE5ELNS1_11target_archE942ELNS1_3gpuE9ELNS1_3repE0EEENS1_30default_config_static_selectorELNS0_4arch9wavefront6targetE0EEEvT1_.num_named_barrier, 0
	.set _ZN7rocprim17ROCPRIM_400000_NS6detail17trampoline_kernelINS0_14default_configENS1_25partition_config_selectorILNS1_17partition_subalgoE5EjNS0_10empty_typeEbEEZZNS1_14partition_implILS5_5ELb0ES3_mN6thrust23THRUST_200600_302600_NS6detail15normal_iteratorINSA_10device_ptrIjEEEEPS6_NSA_18transform_iteratorINSB_9not_fun_tI7is_trueIjEEESF_NSA_11use_defaultESM_EENS0_5tupleIJSF_S6_EEENSO_IJSG_SG_EEES6_PlJS6_EEE10hipError_tPvRmT3_T4_T5_T6_T7_T9_mT8_P12ihipStream_tbDpT10_ENKUlT_T0_E_clISt17integral_constantIbLb1EES1B_EEDaS16_S17_EUlS16_E_NS1_11comp_targetILNS1_3genE5ELNS1_11target_archE942ELNS1_3gpuE9ELNS1_3repE0EEENS1_30default_config_static_selectorELNS0_4arch9wavefront6targetE0EEEvT1_.private_seg_size, 0
	.set _ZN7rocprim17ROCPRIM_400000_NS6detail17trampoline_kernelINS0_14default_configENS1_25partition_config_selectorILNS1_17partition_subalgoE5EjNS0_10empty_typeEbEEZZNS1_14partition_implILS5_5ELb0ES3_mN6thrust23THRUST_200600_302600_NS6detail15normal_iteratorINSA_10device_ptrIjEEEEPS6_NSA_18transform_iteratorINSB_9not_fun_tI7is_trueIjEEESF_NSA_11use_defaultESM_EENS0_5tupleIJSF_S6_EEENSO_IJSG_SG_EEES6_PlJS6_EEE10hipError_tPvRmT3_T4_T5_T6_T7_T9_mT8_P12ihipStream_tbDpT10_ENKUlT_T0_E_clISt17integral_constantIbLb1EES1B_EEDaS16_S17_EUlS16_E_NS1_11comp_targetILNS1_3genE5ELNS1_11target_archE942ELNS1_3gpuE9ELNS1_3repE0EEENS1_30default_config_static_selectorELNS0_4arch9wavefront6targetE0EEEvT1_.uses_vcc, 0
	.set _ZN7rocprim17ROCPRIM_400000_NS6detail17trampoline_kernelINS0_14default_configENS1_25partition_config_selectorILNS1_17partition_subalgoE5EjNS0_10empty_typeEbEEZZNS1_14partition_implILS5_5ELb0ES3_mN6thrust23THRUST_200600_302600_NS6detail15normal_iteratorINSA_10device_ptrIjEEEEPS6_NSA_18transform_iteratorINSB_9not_fun_tI7is_trueIjEEESF_NSA_11use_defaultESM_EENS0_5tupleIJSF_S6_EEENSO_IJSG_SG_EEES6_PlJS6_EEE10hipError_tPvRmT3_T4_T5_T6_T7_T9_mT8_P12ihipStream_tbDpT10_ENKUlT_T0_E_clISt17integral_constantIbLb1EES1B_EEDaS16_S17_EUlS16_E_NS1_11comp_targetILNS1_3genE5ELNS1_11target_archE942ELNS1_3gpuE9ELNS1_3repE0EEENS1_30default_config_static_selectorELNS0_4arch9wavefront6targetE0EEEvT1_.uses_flat_scratch, 0
	.set _ZN7rocprim17ROCPRIM_400000_NS6detail17trampoline_kernelINS0_14default_configENS1_25partition_config_selectorILNS1_17partition_subalgoE5EjNS0_10empty_typeEbEEZZNS1_14partition_implILS5_5ELb0ES3_mN6thrust23THRUST_200600_302600_NS6detail15normal_iteratorINSA_10device_ptrIjEEEEPS6_NSA_18transform_iteratorINSB_9not_fun_tI7is_trueIjEEESF_NSA_11use_defaultESM_EENS0_5tupleIJSF_S6_EEENSO_IJSG_SG_EEES6_PlJS6_EEE10hipError_tPvRmT3_T4_T5_T6_T7_T9_mT8_P12ihipStream_tbDpT10_ENKUlT_T0_E_clISt17integral_constantIbLb1EES1B_EEDaS16_S17_EUlS16_E_NS1_11comp_targetILNS1_3genE5ELNS1_11target_archE942ELNS1_3gpuE9ELNS1_3repE0EEENS1_30default_config_static_selectorELNS0_4arch9wavefront6targetE0EEEvT1_.has_dyn_sized_stack, 0
	.set _ZN7rocprim17ROCPRIM_400000_NS6detail17trampoline_kernelINS0_14default_configENS1_25partition_config_selectorILNS1_17partition_subalgoE5EjNS0_10empty_typeEbEEZZNS1_14partition_implILS5_5ELb0ES3_mN6thrust23THRUST_200600_302600_NS6detail15normal_iteratorINSA_10device_ptrIjEEEEPS6_NSA_18transform_iteratorINSB_9not_fun_tI7is_trueIjEEESF_NSA_11use_defaultESM_EENS0_5tupleIJSF_S6_EEENSO_IJSG_SG_EEES6_PlJS6_EEE10hipError_tPvRmT3_T4_T5_T6_T7_T9_mT8_P12ihipStream_tbDpT10_ENKUlT_T0_E_clISt17integral_constantIbLb1EES1B_EEDaS16_S17_EUlS16_E_NS1_11comp_targetILNS1_3genE5ELNS1_11target_archE942ELNS1_3gpuE9ELNS1_3repE0EEENS1_30default_config_static_selectorELNS0_4arch9wavefront6targetE0EEEvT1_.has_recursion, 0
	.set _ZN7rocprim17ROCPRIM_400000_NS6detail17trampoline_kernelINS0_14default_configENS1_25partition_config_selectorILNS1_17partition_subalgoE5EjNS0_10empty_typeEbEEZZNS1_14partition_implILS5_5ELb0ES3_mN6thrust23THRUST_200600_302600_NS6detail15normal_iteratorINSA_10device_ptrIjEEEEPS6_NSA_18transform_iteratorINSB_9not_fun_tI7is_trueIjEEESF_NSA_11use_defaultESM_EENS0_5tupleIJSF_S6_EEENSO_IJSG_SG_EEES6_PlJS6_EEE10hipError_tPvRmT3_T4_T5_T6_T7_T9_mT8_P12ihipStream_tbDpT10_ENKUlT_T0_E_clISt17integral_constantIbLb1EES1B_EEDaS16_S17_EUlS16_E_NS1_11comp_targetILNS1_3genE5ELNS1_11target_archE942ELNS1_3gpuE9ELNS1_3repE0EEENS1_30default_config_static_selectorELNS0_4arch9wavefront6targetE0EEEvT1_.has_indirect_call, 0
	.section	.AMDGPU.csdata,"",@progbits
; Kernel info:
; codeLenInByte = 0
; TotalNumSgprs: 0
; NumVgprs: 0
; ScratchSize: 0
; MemoryBound: 0
; FloatMode: 240
; IeeeMode: 1
; LDSByteSize: 0 bytes/workgroup (compile time only)
; SGPRBlocks: 0
; VGPRBlocks: 0
; NumSGPRsForWavesPerEU: 1
; NumVGPRsForWavesPerEU: 1
; Occupancy: 16
; WaveLimiterHint : 0
; COMPUTE_PGM_RSRC2:SCRATCH_EN: 0
; COMPUTE_PGM_RSRC2:USER_SGPR: 2
; COMPUTE_PGM_RSRC2:TRAP_HANDLER: 0
; COMPUTE_PGM_RSRC2:TGID_X_EN: 1
; COMPUTE_PGM_RSRC2:TGID_Y_EN: 0
; COMPUTE_PGM_RSRC2:TGID_Z_EN: 0
; COMPUTE_PGM_RSRC2:TIDIG_COMP_CNT: 0
	.section	.text._ZN7rocprim17ROCPRIM_400000_NS6detail17trampoline_kernelINS0_14default_configENS1_25partition_config_selectorILNS1_17partition_subalgoE5EjNS0_10empty_typeEbEEZZNS1_14partition_implILS5_5ELb0ES3_mN6thrust23THRUST_200600_302600_NS6detail15normal_iteratorINSA_10device_ptrIjEEEEPS6_NSA_18transform_iteratorINSB_9not_fun_tI7is_trueIjEEESF_NSA_11use_defaultESM_EENS0_5tupleIJSF_S6_EEENSO_IJSG_SG_EEES6_PlJS6_EEE10hipError_tPvRmT3_T4_T5_T6_T7_T9_mT8_P12ihipStream_tbDpT10_ENKUlT_T0_E_clISt17integral_constantIbLb1EES1B_EEDaS16_S17_EUlS16_E_NS1_11comp_targetILNS1_3genE4ELNS1_11target_archE910ELNS1_3gpuE8ELNS1_3repE0EEENS1_30default_config_static_selectorELNS0_4arch9wavefront6targetE0EEEvT1_,"axG",@progbits,_ZN7rocprim17ROCPRIM_400000_NS6detail17trampoline_kernelINS0_14default_configENS1_25partition_config_selectorILNS1_17partition_subalgoE5EjNS0_10empty_typeEbEEZZNS1_14partition_implILS5_5ELb0ES3_mN6thrust23THRUST_200600_302600_NS6detail15normal_iteratorINSA_10device_ptrIjEEEEPS6_NSA_18transform_iteratorINSB_9not_fun_tI7is_trueIjEEESF_NSA_11use_defaultESM_EENS0_5tupleIJSF_S6_EEENSO_IJSG_SG_EEES6_PlJS6_EEE10hipError_tPvRmT3_T4_T5_T6_T7_T9_mT8_P12ihipStream_tbDpT10_ENKUlT_T0_E_clISt17integral_constantIbLb1EES1B_EEDaS16_S17_EUlS16_E_NS1_11comp_targetILNS1_3genE4ELNS1_11target_archE910ELNS1_3gpuE8ELNS1_3repE0EEENS1_30default_config_static_selectorELNS0_4arch9wavefront6targetE0EEEvT1_,comdat
	.protected	_ZN7rocprim17ROCPRIM_400000_NS6detail17trampoline_kernelINS0_14default_configENS1_25partition_config_selectorILNS1_17partition_subalgoE5EjNS0_10empty_typeEbEEZZNS1_14partition_implILS5_5ELb0ES3_mN6thrust23THRUST_200600_302600_NS6detail15normal_iteratorINSA_10device_ptrIjEEEEPS6_NSA_18transform_iteratorINSB_9not_fun_tI7is_trueIjEEESF_NSA_11use_defaultESM_EENS0_5tupleIJSF_S6_EEENSO_IJSG_SG_EEES6_PlJS6_EEE10hipError_tPvRmT3_T4_T5_T6_T7_T9_mT8_P12ihipStream_tbDpT10_ENKUlT_T0_E_clISt17integral_constantIbLb1EES1B_EEDaS16_S17_EUlS16_E_NS1_11comp_targetILNS1_3genE4ELNS1_11target_archE910ELNS1_3gpuE8ELNS1_3repE0EEENS1_30default_config_static_selectorELNS0_4arch9wavefront6targetE0EEEvT1_ ; -- Begin function _ZN7rocprim17ROCPRIM_400000_NS6detail17trampoline_kernelINS0_14default_configENS1_25partition_config_selectorILNS1_17partition_subalgoE5EjNS0_10empty_typeEbEEZZNS1_14partition_implILS5_5ELb0ES3_mN6thrust23THRUST_200600_302600_NS6detail15normal_iteratorINSA_10device_ptrIjEEEEPS6_NSA_18transform_iteratorINSB_9not_fun_tI7is_trueIjEEESF_NSA_11use_defaultESM_EENS0_5tupleIJSF_S6_EEENSO_IJSG_SG_EEES6_PlJS6_EEE10hipError_tPvRmT3_T4_T5_T6_T7_T9_mT8_P12ihipStream_tbDpT10_ENKUlT_T0_E_clISt17integral_constantIbLb1EES1B_EEDaS16_S17_EUlS16_E_NS1_11comp_targetILNS1_3genE4ELNS1_11target_archE910ELNS1_3gpuE8ELNS1_3repE0EEENS1_30default_config_static_selectorELNS0_4arch9wavefront6targetE0EEEvT1_
	.globl	_ZN7rocprim17ROCPRIM_400000_NS6detail17trampoline_kernelINS0_14default_configENS1_25partition_config_selectorILNS1_17partition_subalgoE5EjNS0_10empty_typeEbEEZZNS1_14partition_implILS5_5ELb0ES3_mN6thrust23THRUST_200600_302600_NS6detail15normal_iteratorINSA_10device_ptrIjEEEEPS6_NSA_18transform_iteratorINSB_9not_fun_tI7is_trueIjEEESF_NSA_11use_defaultESM_EENS0_5tupleIJSF_S6_EEENSO_IJSG_SG_EEES6_PlJS6_EEE10hipError_tPvRmT3_T4_T5_T6_T7_T9_mT8_P12ihipStream_tbDpT10_ENKUlT_T0_E_clISt17integral_constantIbLb1EES1B_EEDaS16_S17_EUlS16_E_NS1_11comp_targetILNS1_3genE4ELNS1_11target_archE910ELNS1_3gpuE8ELNS1_3repE0EEENS1_30default_config_static_selectorELNS0_4arch9wavefront6targetE0EEEvT1_
	.p2align	8
	.type	_ZN7rocprim17ROCPRIM_400000_NS6detail17trampoline_kernelINS0_14default_configENS1_25partition_config_selectorILNS1_17partition_subalgoE5EjNS0_10empty_typeEbEEZZNS1_14partition_implILS5_5ELb0ES3_mN6thrust23THRUST_200600_302600_NS6detail15normal_iteratorINSA_10device_ptrIjEEEEPS6_NSA_18transform_iteratorINSB_9not_fun_tI7is_trueIjEEESF_NSA_11use_defaultESM_EENS0_5tupleIJSF_S6_EEENSO_IJSG_SG_EEES6_PlJS6_EEE10hipError_tPvRmT3_T4_T5_T6_T7_T9_mT8_P12ihipStream_tbDpT10_ENKUlT_T0_E_clISt17integral_constantIbLb1EES1B_EEDaS16_S17_EUlS16_E_NS1_11comp_targetILNS1_3genE4ELNS1_11target_archE910ELNS1_3gpuE8ELNS1_3repE0EEENS1_30default_config_static_selectorELNS0_4arch9wavefront6targetE0EEEvT1_,@function
_ZN7rocprim17ROCPRIM_400000_NS6detail17trampoline_kernelINS0_14default_configENS1_25partition_config_selectorILNS1_17partition_subalgoE5EjNS0_10empty_typeEbEEZZNS1_14partition_implILS5_5ELb0ES3_mN6thrust23THRUST_200600_302600_NS6detail15normal_iteratorINSA_10device_ptrIjEEEEPS6_NSA_18transform_iteratorINSB_9not_fun_tI7is_trueIjEEESF_NSA_11use_defaultESM_EENS0_5tupleIJSF_S6_EEENSO_IJSG_SG_EEES6_PlJS6_EEE10hipError_tPvRmT3_T4_T5_T6_T7_T9_mT8_P12ihipStream_tbDpT10_ENKUlT_T0_E_clISt17integral_constantIbLb1EES1B_EEDaS16_S17_EUlS16_E_NS1_11comp_targetILNS1_3genE4ELNS1_11target_archE910ELNS1_3gpuE8ELNS1_3repE0EEENS1_30default_config_static_selectorELNS0_4arch9wavefront6targetE0EEEvT1_: ; @_ZN7rocprim17ROCPRIM_400000_NS6detail17trampoline_kernelINS0_14default_configENS1_25partition_config_selectorILNS1_17partition_subalgoE5EjNS0_10empty_typeEbEEZZNS1_14partition_implILS5_5ELb0ES3_mN6thrust23THRUST_200600_302600_NS6detail15normal_iteratorINSA_10device_ptrIjEEEEPS6_NSA_18transform_iteratorINSB_9not_fun_tI7is_trueIjEEESF_NSA_11use_defaultESM_EENS0_5tupleIJSF_S6_EEENSO_IJSG_SG_EEES6_PlJS6_EEE10hipError_tPvRmT3_T4_T5_T6_T7_T9_mT8_P12ihipStream_tbDpT10_ENKUlT_T0_E_clISt17integral_constantIbLb1EES1B_EEDaS16_S17_EUlS16_E_NS1_11comp_targetILNS1_3genE4ELNS1_11target_archE910ELNS1_3gpuE8ELNS1_3repE0EEENS1_30default_config_static_selectorELNS0_4arch9wavefront6targetE0EEEvT1_
; %bb.0:
	.section	.rodata,"a",@progbits
	.p2align	6, 0x0
	.amdhsa_kernel _ZN7rocprim17ROCPRIM_400000_NS6detail17trampoline_kernelINS0_14default_configENS1_25partition_config_selectorILNS1_17partition_subalgoE5EjNS0_10empty_typeEbEEZZNS1_14partition_implILS5_5ELb0ES3_mN6thrust23THRUST_200600_302600_NS6detail15normal_iteratorINSA_10device_ptrIjEEEEPS6_NSA_18transform_iteratorINSB_9not_fun_tI7is_trueIjEEESF_NSA_11use_defaultESM_EENS0_5tupleIJSF_S6_EEENSO_IJSG_SG_EEES6_PlJS6_EEE10hipError_tPvRmT3_T4_T5_T6_T7_T9_mT8_P12ihipStream_tbDpT10_ENKUlT_T0_E_clISt17integral_constantIbLb1EES1B_EEDaS16_S17_EUlS16_E_NS1_11comp_targetILNS1_3genE4ELNS1_11target_archE910ELNS1_3gpuE8ELNS1_3repE0EEENS1_30default_config_static_selectorELNS0_4arch9wavefront6targetE0EEEvT1_
		.amdhsa_group_segment_fixed_size 0
		.amdhsa_private_segment_fixed_size 0
		.amdhsa_kernarg_size 136
		.amdhsa_user_sgpr_count 2
		.amdhsa_user_sgpr_dispatch_ptr 0
		.amdhsa_user_sgpr_queue_ptr 0
		.amdhsa_user_sgpr_kernarg_segment_ptr 1
		.amdhsa_user_sgpr_dispatch_id 0
		.amdhsa_user_sgpr_private_segment_size 0
		.amdhsa_wavefront_size32 1
		.amdhsa_uses_dynamic_stack 0
		.amdhsa_enable_private_segment 0
		.amdhsa_system_sgpr_workgroup_id_x 1
		.amdhsa_system_sgpr_workgroup_id_y 0
		.amdhsa_system_sgpr_workgroup_id_z 0
		.amdhsa_system_sgpr_workgroup_info 0
		.amdhsa_system_vgpr_workitem_id 0
		.amdhsa_next_free_vgpr 1
		.amdhsa_next_free_sgpr 1
		.amdhsa_reserve_vcc 0
		.amdhsa_float_round_mode_32 0
		.amdhsa_float_round_mode_16_64 0
		.amdhsa_float_denorm_mode_32 3
		.amdhsa_float_denorm_mode_16_64 3
		.amdhsa_fp16_overflow 0
		.amdhsa_workgroup_processor_mode 1
		.amdhsa_memory_ordered 1
		.amdhsa_forward_progress 1
		.amdhsa_inst_pref_size 0
		.amdhsa_round_robin_scheduling 0
		.amdhsa_exception_fp_ieee_invalid_op 0
		.amdhsa_exception_fp_denorm_src 0
		.amdhsa_exception_fp_ieee_div_zero 0
		.amdhsa_exception_fp_ieee_overflow 0
		.amdhsa_exception_fp_ieee_underflow 0
		.amdhsa_exception_fp_ieee_inexact 0
		.amdhsa_exception_int_div_zero 0
	.end_amdhsa_kernel
	.section	.text._ZN7rocprim17ROCPRIM_400000_NS6detail17trampoline_kernelINS0_14default_configENS1_25partition_config_selectorILNS1_17partition_subalgoE5EjNS0_10empty_typeEbEEZZNS1_14partition_implILS5_5ELb0ES3_mN6thrust23THRUST_200600_302600_NS6detail15normal_iteratorINSA_10device_ptrIjEEEEPS6_NSA_18transform_iteratorINSB_9not_fun_tI7is_trueIjEEESF_NSA_11use_defaultESM_EENS0_5tupleIJSF_S6_EEENSO_IJSG_SG_EEES6_PlJS6_EEE10hipError_tPvRmT3_T4_T5_T6_T7_T9_mT8_P12ihipStream_tbDpT10_ENKUlT_T0_E_clISt17integral_constantIbLb1EES1B_EEDaS16_S17_EUlS16_E_NS1_11comp_targetILNS1_3genE4ELNS1_11target_archE910ELNS1_3gpuE8ELNS1_3repE0EEENS1_30default_config_static_selectorELNS0_4arch9wavefront6targetE0EEEvT1_,"axG",@progbits,_ZN7rocprim17ROCPRIM_400000_NS6detail17trampoline_kernelINS0_14default_configENS1_25partition_config_selectorILNS1_17partition_subalgoE5EjNS0_10empty_typeEbEEZZNS1_14partition_implILS5_5ELb0ES3_mN6thrust23THRUST_200600_302600_NS6detail15normal_iteratorINSA_10device_ptrIjEEEEPS6_NSA_18transform_iteratorINSB_9not_fun_tI7is_trueIjEEESF_NSA_11use_defaultESM_EENS0_5tupleIJSF_S6_EEENSO_IJSG_SG_EEES6_PlJS6_EEE10hipError_tPvRmT3_T4_T5_T6_T7_T9_mT8_P12ihipStream_tbDpT10_ENKUlT_T0_E_clISt17integral_constantIbLb1EES1B_EEDaS16_S17_EUlS16_E_NS1_11comp_targetILNS1_3genE4ELNS1_11target_archE910ELNS1_3gpuE8ELNS1_3repE0EEENS1_30default_config_static_selectorELNS0_4arch9wavefront6targetE0EEEvT1_,comdat
.Lfunc_end1411:
	.size	_ZN7rocprim17ROCPRIM_400000_NS6detail17trampoline_kernelINS0_14default_configENS1_25partition_config_selectorILNS1_17partition_subalgoE5EjNS0_10empty_typeEbEEZZNS1_14partition_implILS5_5ELb0ES3_mN6thrust23THRUST_200600_302600_NS6detail15normal_iteratorINSA_10device_ptrIjEEEEPS6_NSA_18transform_iteratorINSB_9not_fun_tI7is_trueIjEEESF_NSA_11use_defaultESM_EENS0_5tupleIJSF_S6_EEENSO_IJSG_SG_EEES6_PlJS6_EEE10hipError_tPvRmT3_T4_T5_T6_T7_T9_mT8_P12ihipStream_tbDpT10_ENKUlT_T0_E_clISt17integral_constantIbLb1EES1B_EEDaS16_S17_EUlS16_E_NS1_11comp_targetILNS1_3genE4ELNS1_11target_archE910ELNS1_3gpuE8ELNS1_3repE0EEENS1_30default_config_static_selectorELNS0_4arch9wavefront6targetE0EEEvT1_, .Lfunc_end1411-_ZN7rocprim17ROCPRIM_400000_NS6detail17trampoline_kernelINS0_14default_configENS1_25partition_config_selectorILNS1_17partition_subalgoE5EjNS0_10empty_typeEbEEZZNS1_14partition_implILS5_5ELb0ES3_mN6thrust23THRUST_200600_302600_NS6detail15normal_iteratorINSA_10device_ptrIjEEEEPS6_NSA_18transform_iteratorINSB_9not_fun_tI7is_trueIjEEESF_NSA_11use_defaultESM_EENS0_5tupleIJSF_S6_EEENSO_IJSG_SG_EEES6_PlJS6_EEE10hipError_tPvRmT3_T4_T5_T6_T7_T9_mT8_P12ihipStream_tbDpT10_ENKUlT_T0_E_clISt17integral_constantIbLb1EES1B_EEDaS16_S17_EUlS16_E_NS1_11comp_targetILNS1_3genE4ELNS1_11target_archE910ELNS1_3gpuE8ELNS1_3repE0EEENS1_30default_config_static_selectorELNS0_4arch9wavefront6targetE0EEEvT1_
                                        ; -- End function
	.set _ZN7rocprim17ROCPRIM_400000_NS6detail17trampoline_kernelINS0_14default_configENS1_25partition_config_selectorILNS1_17partition_subalgoE5EjNS0_10empty_typeEbEEZZNS1_14partition_implILS5_5ELb0ES3_mN6thrust23THRUST_200600_302600_NS6detail15normal_iteratorINSA_10device_ptrIjEEEEPS6_NSA_18transform_iteratorINSB_9not_fun_tI7is_trueIjEEESF_NSA_11use_defaultESM_EENS0_5tupleIJSF_S6_EEENSO_IJSG_SG_EEES6_PlJS6_EEE10hipError_tPvRmT3_T4_T5_T6_T7_T9_mT8_P12ihipStream_tbDpT10_ENKUlT_T0_E_clISt17integral_constantIbLb1EES1B_EEDaS16_S17_EUlS16_E_NS1_11comp_targetILNS1_3genE4ELNS1_11target_archE910ELNS1_3gpuE8ELNS1_3repE0EEENS1_30default_config_static_selectorELNS0_4arch9wavefront6targetE0EEEvT1_.num_vgpr, 0
	.set _ZN7rocprim17ROCPRIM_400000_NS6detail17trampoline_kernelINS0_14default_configENS1_25partition_config_selectorILNS1_17partition_subalgoE5EjNS0_10empty_typeEbEEZZNS1_14partition_implILS5_5ELb0ES3_mN6thrust23THRUST_200600_302600_NS6detail15normal_iteratorINSA_10device_ptrIjEEEEPS6_NSA_18transform_iteratorINSB_9not_fun_tI7is_trueIjEEESF_NSA_11use_defaultESM_EENS0_5tupleIJSF_S6_EEENSO_IJSG_SG_EEES6_PlJS6_EEE10hipError_tPvRmT3_T4_T5_T6_T7_T9_mT8_P12ihipStream_tbDpT10_ENKUlT_T0_E_clISt17integral_constantIbLb1EES1B_EEDaS16_S17_EUlS16_E_NS1_11comp_targetILNS1_3genE4ELNS1_11target_archE910ELNS1_3gpuE8ELNS1_3repE0EEENS1_30default_config_static_selectorELNS0_4arch9wavefront6targetE0EEEvT1_.num_agpr, 0
	.set _ZN7rocprim17ROCPRIM_400000_NS6detail17trampoline_kernelINS0_14default_configENS1_25partition_config_selectorILNS1_17partition_subalgoE5EjNS0_10empty_typeEbEEZZNS1_14partition_implILS5_5ELb0ES3_mN6thrust23THRUST_200600_302600_NS6detail15normal_iteratorINSA_10device_ptrIjEEEEPS6_NSA_18transform_iteratorINSB_9not_fun_tI7is_trueIjEEESF_NSA_11use_defaultESM_EENS0_5tupleIJSF_S6_EEENSO_IJSG_SG_EEES6_PlJS6_EEE10hipError_tPvRmT3_T4_T5_T6_T7_T9_mT8_P12ihipStream_tbDpT10_ENKUlT_T0_E_clISt17integral_constantIbLb1EES1B_EEDaS16_S17_EUlS16_E_NS1_11comp_targetILNS1_3genE4ELNS1_11target_archE910ELNS1_3gpuE8ELNS1_3repE0EEENS1_30default_config_static_selectorELNS0_4arch9wavefront6targetE0EEEvT1_.numbered_sgpr, 0
	.set _ZN7rocprim17ROCPRIM_400000_NS6detail17trampoline_kernelINS0_14default_configENS1_25partition_config_selectorILNS1_17partition_subalgoE5EjNS0_10empty_typeEbEEZZNS1_14partition_implILS5_5ELb0ES3_mN6thrust23THRUST_200600_302600_NS6detail15normal_iteratorINSA_10device_ptrIjEEEEPS6_NSA_18transform_iteratorINSB_9not_fun_tI7is_trueIjEEESF_NSA_11use_defaultESM_EENS0_5tupleIJSF_S6_EEENSO_IJSG_SG_EEES6_PlJS6_EEE10hipError_tPvRmT3_T4_T5_T6_T7_T9_mT8_P12ihipStream_tbDpT10_ENKUlT_T0_E_clISt17integral_constantIbLb1EES1B_EEDaS16_S17_EUlS16_E_NS1_11comp_targetILNS1_3genE4ELNS1_11target_archE910ELNS1_3gpuE8ELNS1_3repE0EEENS1_30default_config_static_selectorELNS0_4arch9wavefront6targetE0EEEvT1_.num_named_barrier, 0
	.set _ZN7rocprim17ROCPRIM_400000_NS6detail17trampoline_kernelINS0_14default_configENS1_25partition_config_selectorILNS1_17partition_subalgoE5EjNS0_10empty_typeEbEEZZNS1_14partition_implILS5_5ELb0ES3_mN6thrust23THRUST_200600_302600_NS6detail15normal_iteratorINSA_10device_ptrIjEEEEPS6_NSA_18transform_iteratorINSB_9not_fun_tI7is_trueIjEEESF_NSA_11use_defaultESM_EENS0_5tupleIJSF_S6_EEENSO_IJSG_SG_EEES6_PlJS6_EEE10hipError_tPvRmT3_T4_T5_T6_T7_T9_mT8_P12ihipStream_tbDpT10_ENKUlT_T0_E_clISt17integral_constantIbLb1EES1B_EEDaS16_S17_EUlS16_E_NS1_11comp_targetILNS1_3genE4ELNS1_11target_archE910ELNS1_3gpuE8ELNS1_3repE0EEENS1_30default_config_static_selectorELNS0_4arch9wavefront6targetE0EEEvT1_.private_seg_size, 0
	.set _ZN7rocprim17ROCPRIM_400000_NS6detail17trampoline_kernelINS0_14default_configENS1_25partition_config_selectorILNS1_17partition_subalgoE5EjNS0_10empty_typeEbEEZZNS1_14partition_implILS5_5ELb0ES3_mN6thrust23THRUST_200600_302600_NS6detail15normal_iteratorINSA_10device_ptrIjEEEEPS6_NSA_18transform_iteratorINSB_9not_fun_tI7is_trueIjEEESF_NSA_11use_defaultESM_EENS0_5tupleIJSF_S6_EEENSO_IJSG_SG_EEES6_PlJS6_EEE10hipError_tPvRmT3_T4_T5_T6_T7_T9_mT8_P12ihipStream_tbDpT10_ENKUlT_T0_E_clISt17integral_constantIbLb1EES1B_EEDaS16_S17_EUlS16_E_NS1_11comp_targetILNS1_3genE4ELNS1_11target_archE910ELNS1_3gpuE8ELNS1_3repE0EEENS1_30default_config_static_selectorELNS0_4arch9wavefront6targetE0EEEvT1_.uses_vcc, 0
	.set _ZN7rocprim17ROCPRIM_400000_NS6detail17trampoline_kernelINS0_14default_configENS1_25partition_config_selectorILNS1_17partition_subalgoE5EjNS0_10empty_typeEbEEZZNS1_14partition_implILS5_5ELb0ES3_mN6thrust23THRUST_200600_302600_NS6detail15normal_iteratorINSA_10device_ptrIjEEEEPS6_NSA_18transform_iteratorINSB_9not_fun_tI7is_trueIjEEESF_NSA_11use_defaultESM_EENS0_5tupleIJSF_S6_EEENSO_IJSG_SG_EEES6_PlJS6_EEE10hipError_tPvRmT3_T4_T5_T6_T7_T9_mT8_P12ihipStream_tbDpT10_ENKUlT_T0_E_clISt17integral_constantIbLb1EES1B_EEDaS16_S17_EUlS16_E_NS1_11comp_targetILNS1_3genE4ELNS1_11target_archE910ELNS1_3gpuE8ELNS1_3repE0EEENS1_30default_config_static_selectorELNS0_4arch9wavefront6targetE0EEEvT1_.uses_flat_scratch, 0
	.set _ZN7rocprim17ROCPRIM_400000_NS6detail17trampoline_kernelINS0_14default_configENS1_25partition_config_selectorILNS1_17partition_subalgoE5EjNS0_10empty_typeEbEEZZNS1_14partition_implILS5_5ELb0ES3_mN6thrust23THRUST_200600_302600_NS6detail15normal_iteratorINSA_10device_ptrIjEEEEPS6_NSA_18transform_iteratorINSB_9not_fun_tI7is_trueIjEEESF_NSA_11use_defaultESM_EENS0_5tupleIJSF_S6_EEENSO_IJSG_SG_EEES6_PlJS6_EEE10hipError_tPvRmT3_T4_T5_T6_T7_T9_mT8_P12ihipStream_tbDpT10_ENKUlT_T0_E_clISt17integral_constantIbLb1EES1B_EEDaS16_S17_EUlS16_E_NS1_11comp_targetILNS1_3genE4ELNS1_11target_archE910ELNS1_3gpuE8ELNS1_3repE0EEENS1_30default_config_static_selectorELNS0_4arch9wavefront6targetE0EEEvT1_.has_dyn_sized_stack, 0
	.set _ZN7rocprim17ROCPRIM_400000_NS6detail17trampoline_kernelINS0_14default_configENS1_25partition_config_selectorILNS1_17partition_subalgoE5EjNS0_10empty_typeEbEEZZNS1_14partition_implILS5_5ELb0ES3_mN6thrust23THRUST_200600_302600_NS6detail15normal_iteratorINSA_10device_ptrIjEEEEPS6_NSA_18transform_iteratorINSB_9not_fun_tI7is_trueIjEEESF_NSA_11use_defaultESM_EENS0_5tupleIJSF_S6_EEENSO_IJSG_SG_EEES6_PlJS6_EEE10hipError_tPvRmT3_T4_T5_T6_T7_T9_mT8_P12ihipStream_tbDpT10_ENKUlT_T0_E_clISt17integral_constantIbLb1EES1B_EEDaS16_S17_EUlS16_E_NS1_11comp_targetILNS1_3genE4ELNS1_11target_archE910ELNS1_3gpuE8ELNS1_3repE0EEENS1_30default_config_static_selectorELNS0_4arch9wavefront6targetE0EEEvT1_.has_recursion, 0
	.set _ZN7rocprim17ROCPRIM_400000_NS6detail17trampoline_kernelINS0_14default_configENS1_25partition_config_selectorILNS1_17partition_subalgoE5EjNS0_10empty_typeEbEEZZNS1_14partition_implILS5_5ELb0ES3_mN6thrust23THRUST_200600_302600_NS6detail15normal_iteratorINSA_10device_ptrIjEEEEPS6_NSA_18transform_iteratorINSB_9not_fun_tI7is_trueIjEEESF_NSA_11use_defaultESM_EENS0_5tupleIJSF_S6_EEENSO_IJSG_SG_EEES6_PlJS6_EEE10hipError_tPvRmT3_T4_T5_T6_T7_T9_mT8_P12ihipStream_tbDpT10_ENKUlT_T0_E_clISt17integral_constantIbLb1EES1B_EEDaS16_S17_EUlS16_E_NS1_11comp_targetILNS1_3genE4ELNS1_11target_archE910ELNS1_3gpuE8ELNS1_3repE0EEENS1_30default_config_static_selectorELNS0_4arch9wavefront6targetE0EEEvT1_.has_indirect_call, 0
	.section	.AMDGPU.csdata,"",@progbits
; Kernel info:
; codeLenInByte = 0
; TotalNumSgprs: 0
; NumVgprs: 0
; ScratchSize: 0
; MemoryBound: 0
; FloatMode: 240
; IeeeMode: 1
; LDSByteSize: 0 bytes/workgroup (compile time only)
; SGPRBlocks: 0
; VGPRBlocks: 0
; NumSGPRsForWavesPerEU: 1
; NumVGPRsForWavesPerEU: 1
; Occupancy: 16
; WaveLimiterHint : 0
; COMPUTE_PGM_RSRC2:SCRATCH_EN: 0
; COMPUTE_PGM_RSRC2:USER_SGPR: 2
; COMPUTE_PGM_RSRC2:TRAP_HANDLER: 0
; COMPUTE_PGM_RSRC2:TGID_X_EN: 1
; COMPUTE_PGM_RSRC2:TGID_Y_EN: 0
; COMPUTE_PGM_RSRC2:TGID_Z_EN: 0
; COMPUTE_PGM_RSRC2:TIDIG_COMP_CNT: 0
	.section	.text._ZN7rocprim17ROCPRIM_400000_NS6detail17trampoline_kernelINS0_14default_configENS1_25partition_config_selectorILNS1_17partition_subalgoE5EjNS0_10empty_typeEbEEZZNS1_14partition_implILS5_5ELb0ES3_mN6thrust23THRUST_200600_302600_NS6detail15normal_iteratorINSA_10device_ptrIjEEEEPS6_NSA_18transform_iteratorINSB_9not_fun_tI7is_trueIjEEESF_NSA_11use_defaultESM_EENS0_5tupleIJSF_S6_EEENSO_IJSG_SG_EEES6_PlJS6_EEE10hipError_tPvRmT3_T4_T5_T6_T7_T9_mT8_P12ihipStream_tbDpT10_ENKUlT_T0_E_clISt17integral_constantIbLb1EES1B_EEDaS16_S17_EUlS16_E_NS1_11comp_targetILNS1_3genE3ELNS1_11target_archE908ELNS1_3gpuE7ELNS1_3repE0EEENS1_30default_config_static_selectorELNS0_4arch9wavefront6targetE0EEEvT1_,"axG",@progbits,_ZN7rocprim17ROCPRIM_400000_NS6detail17trampoline_kernelINS0_14default_configENS1_25partition_config_selectorILNS1_17partition_subalgoE5EjNS0_10empty_typeEbEEZZNS1_14partition_implILS5_5ELb0ES3_mN6thrust23THRUST_200600_302600_NS6detail15normal_iteratorINSA_10device_ptrIjEEEEPS6_NSA_18transform_iteratorINSB_9not_fun_tI7is_trueIjEEESF_NSA_11use_defaultESM_EENS0_5tupleIJSF_S6_EEENSO_IJSG_SG_EEES6_PlJS6_EEE10hipError_tPvRmT3_T4_T5_T6_T7_T9_mT8_P12ihipStream_tbDpT10_ENKUlT_T0_E_clISt17integral_constantIbLb1EES1B_EEDaS16_S17_EUlS16_E_NS1_11comp_targetILNS1_3genE3ELNS1_11target_archE908ELNS1_3gpuE7ELNS1_3repE0EEENS1_30default_config_static_selectorELNS0_4arch9wavefront6targetE0EEEvT1_,comdat
	.protected	_ZN7rocprim17ROCPRIM_400000_NS6detail17trampoline_kernelINS0_14default_configENS1_25partition_config_selectorILNS1_17partition_subalgoE5EjNS0_10empty_typeEbEEZZNS1_14partition_implILS5_5ELb0ES3_mN6thrust23THRUST_200600_302600_NS6detail15normal_iteratorINSA_10device_ptrIjEEEEPS6_NSA_18transform_iteratorINSB_9not_fun_tI7is_trueIjEEESF_NSA_11use_defaultESM_EENS0_5tupleIJSF_S6_EEENSO_IJSG_SG_EEES6_PlJS6_EEE10hipError_tPvRmT3_T4_T5_T6_T7_T9_mT8_P12ihipStream_tbDpT10_ENKUlT_T0_E_clISt17integral_constantIbLb1EES1B_EEDaS16_S17_EUlS16_E_NS1_11comp_targetILNS1_3genE3ELNS1_11target_archE908ELNS1_3gpuE7ELNS1_3repE0EEENS1_30default_config_static_selectorELNS0_4arch9wavefront6targetE0EEEvT1_ ; -- Begin function _ZN7rocprim17ROCPRIM_400000_NS6detail17trampoline_kernelINS0_14default_configENS1_25partition_config_selectorILNS1_17partition_subalgoE5EjNS0_10empty_typeEbEEZZNS1_14partition_implILS5_5ELb0ES3_mN6thrust23THRUST_200600_302600_NS6detail15normal_iteratorINSA_10device_ptrIjEEEEPS6_NSA_18transform_iteratorINSB_9not_fun_tI7is_trueIjEEESF_NSA_11use_defaultESM_EENS0_5tupleIJSF_S6_EEENSO_IJSG_SG_EEES6_PlJS6_EEE10hipError_tPvRmT3_T4_T5_T6_T7_T9_mT8_P12ihipStream_tbDpT10_ENKUlT_T0_E_clISt17integral_constantIbLb1EES1B_EEDaS16_S17_EUlS16_E_NS1_11comp_targetILNS1_3genE3ELNS1_11target_archE908ELNS1_3gpuE7ELNS1_3repE0EEENS1_30default_config_static_selectorELNS0_4arch9wavefront6targetE0EEEvT1_
	.globl	_ZN7rocprim17ROCPRIM_400000_NS6detail17trampoline_kernelINS0_14default_configENS1_25partition_config_selectorILNS1_17partition_subalgoE5EjNS0_10empty_typeEbEEZZNS1_14partition_implILS5_5ELb0ES3_mN6thrust23THRUST_200600_302600_NS6detail15normal_iteratorINSA_10device_ptrIjEEEEPS6_NSA_18transform_iteratorINSB_9not_fun_tI7is_trueIjEEESF_NSA_11use_defaultESM_EENS0_5tupleIJSF_S6_EEENSO_IJSG_SG_EEES6_PlJS6_EEE10hipError_tPvRmT3_T4_T5_T6_T7_T9_mT8_P12ihipStream_tbDpT10_ENKUlT_T0_E_clISt17integral_constantIbLb1EES1B_EEDaS16_S17_EUlS16_E_NS1_11comp_targetILNS1_3genE3ELNS1_11target_archE908ELNS1_3gpuE7ELNS1_3repE0EEENS1_30default_config_static_selectorELNS0_4arch9wavefront6targetE0EEEvT1_
	.p2align	8
	.type	_ZN7rocprim17ROCPRIM_400000_NS6detail17trampoline_kernelINS0_14default_configENS1_25partition_config_selectorILNS1_17partition_subalgoE5EjNS0_10empty_typeEbEEZZNS1_14partition_implILS5_5ELb0ES3_mN6thrust23THRUST_200600_302600_NS6detail15normal_iteratorINSA_10device_ptrIjEEEEPS6_NSA_18transform_iteratorINSB_9not_fun_tI7is_trueIjEEESF_NSA_11use_defaultESM_EENS0_5tupleIJSF_S6_EEENSO_IJSG_SG_EEES6_PlJS6_EEE10hipError_tPvRmT3_T4_T5_T6_T7_T9_mT8_P12ihipStream_tbDpT10_ENKUlT_T0_E_clISt17integral_constantIbLb1EES1B_EEDaS16_S17_EUlS16_E_NS1_11comp_targetILNS1_3genE3ELNS1_11target_archE908ELNS1_3gpuE7ELNS1_3repE0EEENS1_30default_config_static_selectorELNS0_4arch9wavefront6targetE0EEEvT1_,@function
_ZN7rocprim17ROCPRIM_400000_NS6detail17trampoline_kernelINS0_14default_configENS1_25partition_config_selectorILNS1_17partition_subalgoE5EjNS0_10empty_typeEbEEZZNS1_14partition_implILS5_5ELb0ES3_mN6thrust23THRUST_200600_302600_NS6detail15normal_iteratorINSA_10device_ptrIjEEEEPS6_NSA_18transform_iteratorINSB_9not_fun_tI7is_trueIjEEESF_NSA_11use_defaultESM_EENS0_5tupleIJSF_S6_EEENSO_IJSG_SG_EEES6_PlJS6_EEE10hipError_tPvRmT3_T4_T5_T6_T7_T9_mT8_P12ihipStream_tbDpT10_ENKUlT_T0_E_clISt17integral_constantIbLb1EES1B_EEDaS16_S17_EUlS16_E_NS1_11comp_targetILNS1_3genE3ELNS1_11target_archE908ELNS1_3gpuE7ELNS1_3repE0EEENS1_30default_config_static_selectorELNS0_4arch9wavefront6targetE0EEEvT1_: ; @_ZN7rocprim17ROCPRIM_400000_NS6detail17trampoline_kernelINS0_14default_configENS1_25partition_config_selectorILNS1_17partition_subalgoE5EjNS0_10empty_typeEbEEZZNS1_14partition_implILS5_5ELb0ES3_mN6thrust23THRUST_200600_302600_NS6detail15normal_iteratorINSA_10device_ptrIjEEEEPS6_NSA_18transform_iteratorINSB_9not_fun_tI7is_trueIjEEESF_NSA_11use_defaultESM_EENS0_5tupleIJSF_S6_EEENSO_IJSG_SG_EEES6_PlJS6_EEE10hipError_tPvRmT3_T4_T5_T6_T7_T9_mT8_P12ihipStream_tbDpT10_ENKUlT_T0_E_clISt17integral_constantIbLb1EES1B_EEDaS16_S17_EUlS16_E_NS1_11comp_targetILNS1_3genE3ELNS1_11target_archE908ELNS1_3gpuE7ELNS1_3repE0EEENS1_30default_config_static_selectorELNS0_4arch9wavefront6targetE0EEEvT1_
; %bb.0:
	.section	.rodata,"a",@progbits
	.p2align	6, 0x0
	.amdhsa_kernel _ZN7rocprim17ROCPRIM_400000_NS6detail17trampoline_kernelINS0_14default_configENS1_25partition_config_selectorILNS1_17partition_subalgoE5EjNS0_10empty_typeEbEEZZNS1_14partition_implILS5_5ELb0ES3_mN6thrust23THRUST_200600_302600_NS6detail15normal_iteratorINSA_10device_ptrIjEEEEPS6_NSA_18transform_iteratorINSB_9not_fun_tI7is_trueIjEEESF_NSA_11use_defaultESM_EENS0_5tupleIJSF_S6_EEENSO_IJSG_SG_EEES6_PlJS6_EEE10hipError_tPvRmT3_T4_T5_T6_T7_T9_mT8_P12ihipStream_tbDpT10_ENKUlT_T0_E_clISt17integral_constantIbLb1EES1B_EEDaS16_S17_EUlS16_E_NS1_11comp_targetILNS1_3genE3ELNS1_11target_archE908ELNS1_3gpuE7ELNS1_3repE0EEENS1_30default_config_static_selectorELNS0_4arch9wavefront6targetE0EEEvT1_
		.amdhsa_group_segment_fixed_size 0
		.amdhsa_private_segment_fixed_size 0
		.amdhsa_kernarg_size 136
		.amdhsa_user_sgpr_count 2
		.amdhsa_user_sgpr_dispatch_ptr 0
		.amdhsa_user_sgpr_queue_ptr 0
		.amdhsa_user_sgpr_kernarg_segment_ptr 1
		.amdhsa_user_sgpr_dispatch_id 0
		.amdhsa_user_sgpr_private_segment_size 0
		.amdhsa_wavefront_size32 1
		.amdhsa_uses_dynamic_stack 0
		.amdhsa_enable_private_segment 0
		.amdhsa_system_sgpr_workgroup_id_x 1
		.amdhsa_system_sgpr_workgroup_id_y 0
		.amdhsa_system_sgpr_workgroup_id_z 0
		.amdhsa_system_sgpr_workgroup_info 0
		.amdhsa_system_vgpr_workitem_id 0
		.amdhsa_next_free_vgpr 1
		.amdhsa_next_free_sgpr 1
		.amdhsa_reserve_vcc 0
		.amdhsa_float_round_mode_32 0
		.amdhsa_float_round_mode_16_64 0
		.amdhsa_float_denorm_mode_32 3
		.amdhsa_float_denorm_mode_16_64 3
		.amdhsa_fp16_overflow 0
		.amdhsa_workgroup_processor_mode 1
		.amdhsa_memory_ordered 1
		.amdhsa_forward_progress 1
		.amdhsa_inst_pref_size 0
		.amdhsa_round_robin_scheduling 0
		.amdhsa_exception_fp_ieee_invalid_op 0
		.amdhsa_exception_fp_denorm_src 0
		.amdhsa_exception_fp_ieee_div_zero 0
		.amdhsa_exception_fp_ieee_overflow 0
		.amdhsa_exception_fp_ieee_underflow 0
		.amdhsa_exception_fp_ieee_inexact 0
		.amdhsa_exception_int_div_zero 0
	.end_amdhsa_kernel
	.section	.text._ZN7rocprim17ROCPRIM_400000_NS6detail17trampoline_kernelINS0_14default_configENS1_25partition_config_selectorILNS1_17partition_subalgoE5EjNS0_10empty_typeEbEEZZNS1_14partition_implILS5_5ELb0ES3_mN6thrust23THRUST_200600_302600_NS6detail15normal_iteratorINSA_10device_ptrIjEEEEPS6_NSA_18transform_iteratorINSB_9not_fun_tI7is_trueIjEEESF_NSA_11use_defaultESM_EENS0_5tupleIJSF_S6_EEENSO_IJSG_SG_EEES6_PlJS6_EEE10hipError_tPvRmT3_T4_T5_T6_T7_T9_mT8_P12ihipStream_tbDpT10_ENKUlT_T0_E_clISt17integral_constantIbLb1EES1B_EEDaS16_S17_EUlS16_E_NS1_11comp_targetILNS1_3genE3ELNS1_11target_archE908ELNS1_3gpuE7ELNS1_3repE0EEENS1_30default_config_static_selectorELNS0_4arch9wavefront6targetE0EEEvT1_,"axG",@progbits,_ZN7rocprim17ROCPRIM_400000_NS6detail17trampoline_kernelINS0_14default_configENS1_25partition_config_selectorILNS1_17partition_subalgoE5EjNS0_10empty_typeEbEEZZNS1_14partition_implILS5_5ELb0ES3_mN6thrust23THRUST_200600_302600_NS6detail15normal_iteratorINSA_10device_ptrIjEEEEPS6_NSA_18transform_iteratorINSB_9not_fun_tI7is_trueIjEEESF_NSA_11use_defaultESM_EENS0_5tupleIJSF_S6_EEENSO_IJSG_SG_EEES6_PlJS6_EEE10hipError_tPvRmT3_T4_T5_T6_T7_T9_mT8_P12ihipStream_tbDpT10_ENKUlT_T0_E_clISt17integral_constantIbLb1EES1B_EEDaS16_S17_EUlS16_E_NS1_11comp_targetILNS1_3genE3ELNS1_11target_archE908ELNS1_3gpuE7ELNS1_3repE0EEENS1_30default_config_static_selectorELNS0_4arch9wavefront6targetE0EEEvT1_,comdat
.Lfunc_end1412:
	.size	_ZN7rocprim17ROCPRIM_400000_NS6detail17trampoline_kernelINS0_14default_configENS1_25partition_config_selectorILNS1_17partition_subalgoE5EjNS0_10empty_typeEbEEZZNS1_14partition_implILS5_5ELb0ES3_mN6thrust23THRUST_200600_302600_NS6detail15normal_iteratorINSA_10device_ptrIjEEEEPS6_NSA_18transform_iteratorINSB_9not_fun_tI7is_trueIjEEESF_NSA_11use_defaultESM_EENS0_5tupleIJSF_S6_EEENSO_IJSG_SG_EEES6_PlJS6_EEE10hipError_tPvRmT3_T4_T5_T6_T7_T9_mT8_P12ihipStream_tbDpT10_ENKUlT_T0_E_clISt17integral_constantIbLb1EES1B_EEDaS16_S17_EUlS16_E_NS1_11comp_targetILNS1_3genE3ELNS1_11target_archE908ELNS1_3gpuE7ELNS1_3repE0EEENS1_30default_config_static_selectorELNS0_4arch9wavefront6targetE0EEEvT1_, .Lfunc_end1412-_ZN7rocprim17ROCPRIM_400000_NS6detail17trampoline_kernelINS0_14default_configENS1_25partition_config_selectorILNS1_17partition_subalgoE5EjNS0_10empty_typeEbEEZZNS1_14partition_implILS5_5ELb0ES3_mN6thrust23THRUST_200600_302600_NS6detail15normal_iteratorINSA_10device_ptrIjEEEEPS6_NSA_18transform_iteratorINSB_9not_fun_tI7is_trueIjEEESF_NSA_11use_defaultESM_EENS0_5tupleIJSF_S6_EEENSO_IJSG_SG_EEES6_PlJS6_EEE10hipError_tPvRmT3_T4_T5_T6_T7_T9_mT8_P12ihipStream_tbDpT10_ENKUlT_T0_E_clISt17integral_constantIbLb1EES1B_EEDaS16_S17_EUlS16_E_NS1_11comp_targetILNS1_3genE3ELNS1_11target_archE908ELNS1_3gpuE7ELNS1_3repE0EEENS1_30default_config_static_selectorELNS0_4arch9wavefront6targetE0EEEvT1_
                                        ; -- End function
	.set _ZN7rocprim17ROCPRIM_400000_NS6detail17trampoline_kernelINS0_14default_configENS1_25partition_config_selectorILNS1_17partition_subalgoE5EjNS0_10empty_typeEbEEZZNS1_14partition_implILS5_5ELb0ES3_mN6thrust23THRUST_200600_302600_NS6detail15normal_iteratorINSA_10device_ptrIjEEEEPS6_NSA_18transform_iteratorINSB_9not_fun_tI7is_trueIjEEESF_NSA_11use_defaultESM_EENS0_5tupleIJSF_S6_EEENSO_IJSG_SG_EEES6_PlJS6_EEE10hipError_tPvRmT3_T4_T5_T6_T7_T9_mT8_P12ihipStream_tbDpT10_ENKUlT_T0_E_clISt17integral_constantIbLb1EES1B_EEDaS16_S17_EUlS16_E_NS1_11comp_targetILNS1_3genE3ELNS1_11target_archE908ELNS1_3gpuE7ELNS1_3repE0EEENS1_30default_config_static_selectorELNS0_4arch9wavefront6targetE0EEEvT1_.num_vgpr, 0
	.set _ZN7rocprim17ROCPRIM_400000_NS6detail17trampoline_kernelINS0_14default_configENS1_25partition_config_selectorILNS1_17partition_subalgoE5EjNS0_10empty_typeEbEEZZNS1_14partition_implILS5_5ELb0ES3_mN6thrust23THRUST_200600_302600_NS6detail15normal_iteratorINSA_10device_ptrIjEEEEPS6_NSA_18transform_iteratorINSB_9not_fun_tI7is_trueIjEEESF_NSA_11use_defaultESM_EENS0_5tupleIJSF_S6_EEENSO_IJSG_SG_EEES6_PlJS6_EEE10hipError_tPvRmT3_T4_T5_T6_T7_T9_mT8_P12ihipStream_tbDpT10_ENKUlT_T0_E_clISt17integral_constantIbLb1EES1B_EEDaS16_S17_EUlS16_E_NS1_11comp_targetILNS1_3genE3ELNS1_11target_archE908ELNS1_3gpuE7ELNS1_3repE0EEENS1_30default_config_static_selectorELNS0_4arch9wavefront6targetE0EEEvT1_.num_agpr, 0
	.set _ZN7rocprim17ROCPRIM_400000_NS6detail17trampoline_kernelINS0_14default_configENS1_25partition_config_selectorILNS1_17partition_subalgoE5EjNS0_10empty_typeEbEEZZNS1_14partition_implILS5_5ELb0ES3_mN6thrust23THRUST_200600_302600_NS6detail15normal_iteratorINSA_10device_ptrIjEEEEPS6_NSA_18transform_iteratorINSB_9not_fun_tI7is_trueIjEEESF_NSA_11use_defaultESM_EENS0_5tupleIJSF_S6_EEENSO_IJSG_SG_EEES6_PlJS6_EEE10hipError_tPvRmT3_T4_T5_T6_T7_T9_mT8_P12ihipStream_tbDpT10_ENKUlT_T0_E_clISt17integral_constantIbLb1EES1B_EEDaS16_S17_EUlS16_E_NS1_11comp_targetILNS1_3genE3ELNS1_11target_archE908ELNS1_3gpuE7ELNS1_3repE0EEENS1_30default_config_static_selectorELNS0_4arch9wavefront6targetE0EEEvT1_.numbered_sgpr, 0
	.set _ZN7rocprim17ROCPRIM_400000_NS6detail17trampoline_kernelINS0_14default_configENS1_25partition_config_selectorILNS1_17partition_subalgoE5EjNS0_10empty_typeEbEEZZNS1_14partition_implILS5_5ELb0ES3_mN6thrust23THRUST_200600_302600_NS6detail15normal_iteratorINSA_10device_ptrIjEEEEPS6_NSA_18transform_iteratorINSB_9not_fun_tI7is_trueIjEEESF_NSA_11use_defaultESM_EENS0_5tupleIJSF_S6_EEENSO_IJSG_SG_EEES6_PlJS6_EEE10hipError_tPvRmT3_T4_T5_T6_T7_T9_mT8_P12ihipStream_tbDpT10_ENKUlT_T0_E_clISt17integral_constantIbLb1EES1B_EEDaS16_S17_EUlS16_E_NS1_11comp_targetILNS1_3genE3ELNS1_11target_archE908ELNS1_3gpuE7ELNS1_3repE0EEENS1_30default_config_static_selectorELNS0_4arch9wavefront6targetE0EEEvT1_.num_named_barrier, 0
	.set _ZN7rocprim17ROCPRIM_400000_NS6detail17trampoline_kernelINS0_14default_configENS1_25partition_config_selectorILNS1_17partition_subalgoE5EjNS0_10empty_typeEbEEZZNS1_14partition_implILS5_5ELb0ES3_mN6thrust23THRUST_200600_302600_NS6detail15normal_iteratorINSA_10device_ptrIjEEEEPS6_NSA_18transform_iteratorINSB_9not_fun_tI7is_trueIjEEESF_NSA_11use_defaultESM_EENS0_5tupleIJSF_S6_EEENSO_IJSG_SG_EEES6_PlJS6_EEE10hipError_tPvRmT3_T4_T5_T6_T7_T9_mT8_P12ihipStream_tbDpT10_ENKUlT_T0_E_clISt17integral_constantIbLb1EES1B_EEDaS16_S17_EUlS16_E_NS1_11comp_targetILNS1_3genE3ELNS1_11target_archE908ELNS1_3gpuE7ELNS1_3repE0EEENS1_30default_config_static_selectorELNS0_4arch9wavefront6targetE0EEEvT1_.private_seg_size, 0
	.set _ZN7rocprim17ROCPRIM_400000_NS6detail17trampoline_kernelINS0_14default_configENS1_25partition_config_selectorILNS1_17partition_subalgoE5EjNS0_10empty_typeEbEEZZNS1_14partition_implILS5_5ELb0ES3_mN6thrust23THRUST_200600_302600_NS6detail15normal_iteratorINSA_10device_ptrIjEEEEPS6_NSA_18transform_iteratorINSB_9not_fun_tI7is_trueIjEEESF_NSA_11use_defaultESM_EENS0_5tupleIJSF_S6_EEENSO_IJSG_SG_EEES6_PlJS6_EEE10hipError_tPvRmT3_T4_T5_T6_T7_T9_mT8_P12ihipStream_tbDpT10_ENKUlT_T0_E_clISt17integral_constantIbLb1EES1B_EEDaS16_S17_EUlS16_E_NS1_11comp_targetILNS1_3genE3ELNS1_11target_archE908ELNS1_3gpuE7ELNS1_3repE0EEENS1_30default_config_static_selectorELNS0_4arch9wavefront6targetE0EEEvT1_.uses_vcc, 0
	.set _ZN7rocprim17ROCPRIM_400000_NS6detail17trampoline_kernelINS0_14default_configENS1_25partition_config_selectorILNS1_17partition_subalgoE5EjNS0_10empty_typeEbEEZZNS1_14partition_implILS5_5ELb0ES3_mN6thrust23THRUST_200600_302600_NS6detail15normal_iteratorINSA_10device_ptrIjEEEEPS6_NSA_18transform_iteratorINSB_9not_fun_tI7is_trueIjEEESF_NSA_11use_defaultESM_EENS0_5tupleIJSF_S6_EEENSO_IJSG_SG_EEES6_PlJS6_EEE10hipError_tPvRmT3_T4_T5_T6_T7_T9_mT8_P12ihipStream_tbDpT10_ENKUlT_T0_E_clISt17integral_constantIbLb1EES1B_EEDaS16_S17_EUlS16_E_NS1_11comp_targetILNS1_3genE3ELNS1_11target_archE908ELNS1_3gpuE7ELNS1_3repE0EEENS1_30default_config_static_selectorELNS0_4arch9wavefront6targetE0EEEvT1_.uses_flat_scratch, 0
	.set _ZN7rocprim17ROCPRIM_400000_NS6detail17trampoline_kernelINS0_14default_configENS1_25partition_config_selectorILNS1_17partition_subalgoE5EjNS0_10empty_typeEbEEZZNS1_14partition_implILS5_5ELb0ES3_mN6thrust23THRUST_200600_302600_NS6detail15normal_iteratorINSA_10device_ptrIjEEEEPS6_NSA_18transform_iteratorINSB_9not_fun_tI7is_trueIjEEESF_NSA_11use_defaultESM_EENS0_5tupleIJSF_S6_EEENSO_IJSG_SG_EEES6_PlJS6_EEE10hipError_tPvRmT3_T4_T5_T6_T7_T9_mT8_P12ihipStream_tbDpT10_ENKUlT_T0_E_clISt17integral_constantIbLb1EES1B_EEDaS16_S17_EUlS16_E_NS1_11comp_targetILNS1_3genE3ELNS1_11target_archE908ELNS1_3gpuE7ELNS1_3repE0EEENS1_30default_config_static_selectorELNS0_4arch9wavefront6targetE0EEEvT1_.has_dyn_sized_stack, 0
	.set _ZN7rocprim17ROCPRIM_400000_NS6detail17trampoline_kernelINS0_14default_configENS1_25partition_config_selectorILNS1_17partition_subalgoE5EjNS0_10empty_typeEbEEZZNS1_14partition_implILS5_5ELb0ES3_mN6thrust23THRUST_200600_302600_NS6detail15normal_iteratorINSA_10device_ptrIjEEEEPS6_NSA_18transform_iteratorINSB_9not_fun_tI7is_trueIjEEESF_NSA_11use_defaultESM_EENS0_5tupleIJSF_S6_EEENSO_IJSG_SG_EEES6_PlJS6_EEE10hipError_tPvRmT3_T4_T5_T6_T7_T9_mT8_P12ihipStream_tbDpT10_ENKUlT_T0_E_clISt17integral_constantIbLb1EES1B_EEDaS16_S17_EUlS16_E_NS1_11comp_targetILNS1_3genE3ELNS1_11target_archE908ELNS1_3gpuE7ELNS1_3repE0EEENS1_30default_config_static_selectorELNS0_4arch9wavefront6targetE0EEEvT1_.has_recursion, 0
	.set _ZN7rocprim17ROCPRIM_400000_NS6detail17trampoline_kernelINS0_14default_configENS1_25partition_config_selectorILNS1_17partition_subalgoE5EjNS0_10empty_typeEbEEZZNS1_14partition_implILS5_5ELb0ES3_mN6thrust23THRUST_200600_302600_NS6detail15normal_iteratorINSA_10device_ptrIjEEEEPS6_NSA_18transform_iteratorINSB_9not_fun_tI7is_trueIjEEESF_NSA_11use_defaultESM_EENS0_5tupleIJSF_S6_EEENSO_IJSG_SG_EEES6_PlJS6_EEE10hipError_tPvRmT3_T4_T5_T6_T7_T9_mT8_P12ihipStream_tbDpT10_ENKUlT_T0_E_clISt17integral_constantIbLb1EES1B_EEDaS16_S17_EUlS16_E_NS1_11comp_targetILNS1_3genE3ELNS1_11target_archE908ELNS1_3gpuE7ELNS1_3repE0EEENS1_30default_config_static_selectorELNS0_4arch9wavefront6targetE0EEEvT1_.has_indirect_call, 0
	.section	.AMDGPU.csdata,"",@progbits
; Kernel info:
; codeLenInByte = 0
; TotalNumSgprs: 0
; NumVgprs: 0
; ScratchSize: 0
; MemoryBound: 0
; FloatMode: 240
; IeeeMode: 1
; LDSByteSize: 0 bytes/workgroup (compile time only)
; SGPRBlocks: 0
; VGPRBlocks: 0
; NumSGPRsForWavesPerEU: 1
; NumVGPRsForWavesPerEU: 1
; Occupancy: 16
; WaveLimiterHint : 0
; COMPUTE_PGM_RSRC2:SCRATCH_EN: 0
; COMPUTE_PGM_RSRC2:USER_SGPR: 2
; COMPUTE_PGM_RSRC2:TRAP_HANDLER: 0
; COMPUTE_PGM_RSRC2:TGID_X_EN: 1
; COMPUTE_PGM_RSRC2:TGID_Y_EN: 0
; COMPUTE_PGM_RSRC2:TGID_Z_EN: 0
; COMPUTE_PGM_RSRC2:TIDIG_COMP_CNT: 0
	.section	.text._ZN7rocprim17ROCPRIM_400000_NS6detail17trampoline_kernelINS0_14default_configENS1_25partition_config_selectorILNS1_17partition_subalgoE5EjNS0_10empty_typeEbEEZZNS1_14partition_implILS5_5ELb0ES3_mN6thrust23THRUST_200600_302600_NS6detail15normal_iteratorINSA_10device_ptrIjEEEEPS6_NSA_18transform_iteratorINSB_9not_fun_tI7is_trueIjEEESF_NSA_11use_defaultESM_EENS0_5tupleIJSF_S6_EEENSO_IJSG_SG_EEES6_PlJS6_EEE10hipError_tPvRmT3_T4_T5_T6_T7_T9_mT8_P12ihipStream_tbDpT10_ENKUlT_T0_E_clISt17integral_constantIbLb1EES1B_EEDaS16_S17_EUlS16_E_NS1_11comp_targetILNS1_3genE2ELNS1_11target_archE906ELNS1_3gpuE6ELNS1_3repE0EEENS1_30default_config_static_selectorELNS0_4arch9wavefront6targetE0EEEvT1_,"axG",@progbits,_ZN7rocprim17ROCPRIM_400000_NS6detail17trampoline_kernelINS0_14default_configENS1_25partition_config_selectorILNS1_17partition_subalgoE5EjNS0_10empty_typeEbEEZZNS1_14partition_implILS5_5ELb0ES3_mN6thrust23THRUST_200600_302600_NS6detail15normal_iteratorINSA_10device_ptrIjEEEEPS6_NSA_18transform_iteratorINSB_9not_fun_tI7is_trueIjEEESF_NSA_11use_defaultESM_EENS0_5tupleIJSF_S6_EEENSO_IJSG_SG_EEES6_PlJS6_EEE10hipError_tPvRmT3_T4_T5_T6_T7_T9_mT8_P12ihipStream_tbDpT10_ENKUlT_T0_E_clISt17integral_constantIbLb1EES1B_EEDaS16_S17_EUlS16_E_NS1_11comp_targetILNS1_3genE2ELNS1_11target_archE906ELNS1_3gpuE6ELNS1_3repE0EEENS1_30default_config_static_selectorELNS0_4arch9wavefront6targetE0EEEvT1_,comdat
	.protected	_ZN7rocprim17ROCPRIM_400000_NS6detail17trampoline_kernelINS0_14default_configENS1_25partition_config_selectorILNS1_17partition_subalgoE5EjNS0_10empty_typeEbEEZZNS1_14partition_implILS5_5ELb0ES3_mN6thrust23THRUST_200600_302600_NS6detail15normal_iteratorINSA_10device_ptrIjEEEEPS6_NSA_18transform_iteratorINSB_9not_fun_tI7is_trueIjEEESF_NSA_11use_defaultESM_EENS0_5tupleIJSF_S6_EEENSO_IJSG_SG_EEES6_PlJS6_EEE10hipError_tPvRmT3_T4_T5_T6_T7_T9_mT8_P12ihipStream_tbDpT10_ENKUlT_T0_E_clISt17integral_constantIbLb1EES1B_EEDaS16_S17_EUlS16_E_NS1_11comp_targetILNS1_3genE2ELNS1_11target_archE906ELNS1_3gpuE6ELNS1_3repE0EEENS1_30default_config_static_selectorELNS0_4arch9wavefront6targetE0EEEvT1_ ; -- Begin function _ZN7rocprim17ROCPRIM_400000_NS6detail17trampoline_kernelINS0_14default_configENS1_25partition_config_selectorILNS1_17partition_subalgoE5EjNS0_10empty_typeEbEEZZNS1_14partition_implILS5_5ELb0ES3_mN6thrust23THRUST_200600_302600_NS6detail15normal_iteratorINSA_10device_ptrIjEEEEPS6_NSA_18transform_iteratorINSB_9not_fun_tI7is_trueIjEEESF_NSA_11use_defaultESM_EENS0_5tupleIJSF_S6_EEENSO_IJSG_SG_EEES6_PlJS6_EEE10hipError_tPvRmT3_T4_T5_T6_T7_T9_mT8_P12ihipStream_tbDpT10_ENKUlT_T0_E_clISt17integral_constantIbLb1EES1B_EEDaS16_S17_EUlS16_E_NS1_11comp_targetILNS1_3genE2ELNS1_11target_archE906ELNS1_3gpuE6ELNS1_3repE0EEENS1_30default_config_static_selectorELNS0_4arch9wavefront6targetE0EEEvT1_
	.globl	_ZN7rocprim17ROCPRIM_400000_NS6detail17trampoline_kernelINS0_14default_configENS1_25partition_config_selectorILNS1_17partition_subalgoE5EjNS0_10empty_typeEbEEZZNS1_14partition_implILS5_5ELb0ES3_mN6thrust23THRUST_200600_302600_NS6detail15normal_iteratorINSA_10device_ptrIjEEEEPS6_NSA_18transform_iteratorINSB_9not_fun_tI7is_trueIjEEESF_NSA_11use_defaultESM_EENS0_5tupleIJSF_S6_EEENSO_IJSG_SG_EEES6_PlJS6_EEE10hipError_tPvRmT3_T4_T5_T6_T7_T9_mT8_P12ihipStream_tbDpT10_ENKUlT_T0_E_clISt17integral_constantIbLb1EES1B_EEDaS16_S17_EUlS16_E_NS1_11comp_targetILNS1_3genE2ELNS1_11target_archE906ELNS1_3gpuE6ELNS1_3repE0EEENS1_30default_config_static_selectorELNS0_4arch9wavefront6targetE0EEEvT1_
	.p2align	8
	.type	_ZN7rocprim17ROCPRIM_400000_NS6detail17trampoline_kernelINS0_14default_configENS1_25partition_config_selectorILNS1_17partition_subalgoE5EjNS0_10empty_typeEbEEZZNS1_14partition_implILS5_5ELb0ES3_mN6thrust23THRUST_200600_302600_NS6detail15normal_iteratorINSA_10device_ptrIjEEEEPS6_NSA_18transform_iteratorINSB_9not_fun_tI7is_trueIjEEESF_NSA_11use_defaultESM_EENS0_5tupleIJSF_S6_EEENSO_IJSG_SG_EEES6_PlJS6_EEE10hipError_tPvRmT3_T4_T5_T6_T7_T9_mT8_P12ihipStream_tbDpT10_ENKUlT_T0_E_clISt17integral_constantIbLb1EES1B_EEDaS16_S17_EUlS16_E_NS1_11comp_targetILNS1_3genE2ELNS1_11target_archE906ELNS1_3gpuE6ELNS1_3repE0EEENS1_30default_config_static_selectorELNS0_4arch9wavefront6targetE0EEEvT1_,@function
_ZN7rocprim17ROCPRIM_400000_NS6detail17trampoline_kernelINS0_14default_configENS1_25partition_config_selectorILNS1_17partition_subalgoE5EjNS0_10empty_typeEbEEZZNS1_14partition_implILS5_5ELb0ES3_mN6thrust23THRUST_200600_302600_NS6detail15normal_iteratorINSA_10device_ptrIjEEEEPS6_NSA_18transform_iteratorINSB_9not_fun_tI7is_trueIjEEESF_NSA_11use_defaultESM_EENS0_5tupleIJSF_S6_EEENSO_IJSG_SG_EEES6_PlJS6_EEE10hipError_tPvRmT3_T4_T5_T6_T7_T9_mT8_P12ihipStream_tbDpT10_ENKUlT_T0_E_clISt17integral_constantIbLb1EES1B_EEDaS16_S17_EUlS16_E_NS1_11comp_targetILNS1_3genE2ELNS1_11target_archE906ELNS1_3gpuE6ELNS1_3repE0EEENS1_30default_config_static_selectorELNS0_4arch9wavefront6targetE0EEEvT1_: ; @_ZN7rocprim17ROCPRIM_400000_NS6detail17trampoline_kernelINS0_14default_configENS1_25partition_config_selectorILNS1_17partition_subalgoE5EjNS0_10empty_typeEbEEZZNS1_14partition_implILS5_5ELb0ES3_mN6thrust23THRUST_200600_302600_NS6detail15normal_iteratorINSA_10device_ptrIjEEEEPS6_NSA_18transform_iteratorINSB_9not_fun_tI7is_trueIjEEESF_NSA_11use_defaultESM_EENS0_5tupleIJSF_S6_EEENSO_IJSG_SG_EEES6_PlJS6_EEE10hipError_tPvRmT3_T4_T5_T6_T7_T9_mT8_P12ihipStream_tbDpT10_ENKUlT_T0_E_clISt17integral_constantIbLb1EES1B_EEDaS16_S17_EUlS16_E_NS1_11comp_targetILNS1_3genE2ELNS1_11target_archE906ELNS1_3gpuE6ELNS1_3repE0EEENS1_30default_config_static_selectorELNS0_4arch9wavefront6targetE0EEEvT1_
; %bb.0:
	.section	.rodata,"a",@progbits
	.p2align	6, 0x0
	.amdhsa_kernel _ZN7rocprim17ROCPRIM_400000_NS6detail17trampoline_kernelINS0_14default_configENS1_25partition_config_selectorILNS1_17partition_subalgoE5EjNS0_10empty_typeEbEEZZNS1_14partition_implILS5_5ELb0ES3_mN6thrust23THRUST_200600_302600_NS6detail15normal_iteratorINSA_10device_ptrIjEEEEPS6_NSA_18transform_iteratorINSB_9not_fun_tI7is_trueIjEEESF_NSA_11use_defaultESM_EENS0_5tupleIJSF_S6_EEENSO_IJSG_SG_EEES6_PlJS6_EEE10hipError_tPvRmT3_T4_T5_T6_T7_T9_mT8_P12ihipStream_tbDpT10_ENKUlT_T0_E_clISt17integral_constantIbLb1EES1B_EEDaS16_S17_EUlS16_E_NS1_11comp_targetILNS1_3genE2ELNS1_11target_archE906ELNS1_3gpuE6ELNS1_3repE0EEENS1_30default_config_static_selectorELNS0_4arch9wavefront6targetE0EEEvT1_
		.amdhsa_group_segment_fixed_size 0
		.amdhsa_private_segment_fixed_size 0
		.amdhsa_kernarg_size 136
		.amdhsa_user_sgpr_count 2
		.amdhsa_user_sgpr_dispatch_ptr 0
		.amdhsa_user_sgpr_queue_ptr 0
		.amdhsa_user_sgpr_kernarg_segment_ptr 1
		.amdhsa_user_sgpr_dispatch_id 0
		.amdhsa_user_sgpr_private_segment_size 0
		.amdhsa_wavefront_size32 1
		.amdhsa_uses_dynamic_stack 0
		.amdhsa_enable_private_segment 0
		.amdhsa_system_sgpr_workgroup_id_x 1
		.amdhsa_system_sgpr_workgroup_id_y 0
		.amdhsa_system_sgpr_workgroup_id_z 0
		.amdhsa_system_sgpr_workgroup_info 0
		.amdhsa_system_vgpr_workitem_id 0
		.amdhsa_next_free_vgpr 1
		.amdhsa_next_free_sgpr 1
		.amdhsa_reserve_vcc 0
		.amdhsa_float_round_mode_32 0
		.amdhsa_float_round_mode_16_64 0
		.amdhsa_float_denorm_mode_32 3
		.amdhsa_float_denorm_mode_16_64 3
		.amdhsa_fp16_overflow 0
		.amdhsa_workgroup_processor_mode 1
		.amdhsa_memory_ordered 1
		.amdhsa_forward_progress 1
		.amdhsa_inst_pref_size 0
		.amdhsa_round_robin_scheduling 0
		.amdhsa_exception_fp_ieee_invalid_op 0
		.amdhsa_exception_fp_denorm_src 0
		.amdhsa_exception_fp_ieee_div_zero 0
		.amdhsa_exception_fp_ieee_overflow 0
		.amdhsa_exception_fp_ieee_underflow 0
		.amdhsa_exception_fp_ieee_inexact 0
		.amdhsa_exception_int_div_zero 0
	.end_amdhsa_kernel
	.section	.text._ZN7rocprim17ROCPRIM_400000_NS6detail17trampoline_kernelINS0_14default_configENS1_25partition_config_selectorILNS1_17partition_subalgoE5EjNS0_10empty_typeEbEEZZNS1_14partition_implILS5_5ELb0ES3_mN6thrust23THRUST_200600_302600_NS6detail15normal_iteratorINSA_10device_ptrIjEEEEPS6_NSA_18transform_iteratorINSB_9not_fun_tI7is_trueIjEEESF_NSA_11use_defaultESM_EENS0_5tupleIJSF_S6_EEENSO_IJSG_SG_EEES6_PlJS6_EEE10hipError_tPvRmT3_T4_T5_T6_T7_T9_mT8_P12ihipStream_tbDpT10_ENKUlT_T0_E_clISt17integral_constantIbLb1EES1B_EEDaS16_S17_EUlS16_E_NS1_11comp_targetILNS1_3genE2ELNS1_11target_archE906ELNS1_3gpuE6ELNS1_3repE0EEENS1_30default_config_static_selectorELNS0_4arch9wavefront6targetE0EEEvT1_,"axG",@progbits,_ZN7rocprim17ROCPRIM_400000_NS6detail17trampoline_kernelINS0_14default_configENS1_25partition_config_selectorILNS1_17partition_subalgoE5EjNS0_10empty_typeEbEEZZNS1_14partition_implILS5_5ELb0ES3_mN6thrust23THRUST_200600_302600_NS6detail15normal_iteratorINSA_10device_ptrIjEEEEPS6_NSA_18transform_iteratorINSB_9not_fun_tI7is_trueIjEEESF_NSA_11use_defaultESM_EENS0_5tupleIJSF_S6_EEENSO_IJSG_SG_EEES6_PlJS6_EEE10hipError_tPvRmT3_T4_T5_T6_T7_T9_mT8_P12ihipStream_tbDpT10_ENKUlT_T0_E_clISt17integral_constantIbLb1EES1B_EEDaS16_S17_EUlS16_E_NS1_11comp_targetILNS1_3genE2ELNS1_11target_archE906ELNS1_3gpuE6ELNS1_3repE0EEENS1_30default_config_static_selectorELNS0_4arch9wavefront6targetE0EEEvT1_,comdat
.Lfunc_end1413:
	.size	_ZN7rocprim17ROCPRIM_400000_NS6detail17trampoline_kernelINS0_14default_configENS1_25partition_config_selectorILNS1_17partition_subalgoE5EjNS0_10empty_typeEbEEZZNS1_14partition_implILS5_5ELb0ES3_mN6thrust23THRUST_200600_302600_NS6detail15normal_iteratorINSA_10device_ptrIjEEEEPS6_NSA_18transform_iteratorINSB_9not_fun_tI7is_trueIjEEESF_NSA_11use_defaultESM_EENS0_5tupleIJSF_S6_EEENSO_IJSG_SG_EEES6_PlJS6_EEE10hipError_tPvRmT3_T4_T5_T6_T7_T9_mT8_P12ihipStream_tbDpT10_ENKUlT_T0_E_clISt17integral_constantIbLb1EES1B_EEDaS16_S17_EUlS16_E_NS1_11comp_targetILNS1_3genE2ELNS1_11target_archE906ELNS1_3gpuE6ELNS1_3repE0EEENS1_30default_config_static_selectorELNS0_4arch9wavefront6targetE0EEEvT1_, .Lfunc_end1413-_ZN7rocprim17ROCPRIM_400000_NS6detail17trampoline_kernelINS0_14default_configENS1_25partition_config_selectorILNS1_17partition_subalgoE5EjNS0_10empty_typeEbEEZZNS1_14partition_implILS5_5ELb0ES3_mN6thrust23THRUST_200600_302600_NS6detail15normal_iteratorINSA_10device_ptrIjEEEEPS6_NSA_18transform_iteratorINSB_9not_fun_tI7is_trueIjEEESF_NSA_11use_defaultESM_EENS0_5tupleIJSF_S6_EEENSO_IJSG_SG_EEES6_PlJS6_EEE10hipError_tPvRmT3_T4_T5_T6_T7_T9_mT8_P12ihipStream_tbDpT10_ENKUlT_T0_E_clISt17integral_constantIbLb1EES1B_EEDaS16_S17_EUlS16_E_NS1_11comp_targetILNS1_3genE2ELNS1_11target_archE906ELNS1_3gpuE6ELNS1_3repE0EEENS1_30default_config_static_selectorELNS0_4arch9wavefront6targetE0EEEvT1_
                                        ; -- End function
	.set _ZN7rocprim17ROCPRIM_400000_NS6detail17trampoline_kernelINS0_14default_configENS1_25partition_config_selectorILNS1_17partition_subalgoE5EjNS0_10empty_typeEbEEZZNS1_14partition_implILS5_5ELb0ES3_mN6thrust23THRUST_200600_302600_NS6detail15normal_iteratorINSA_10device_ptrIjEEEEPS6_NSA_18transform_iteratorINSB_9not_fun_tI7is_trueIjEEESF_NSA_11use_defaultESM_EENS0_5tupleIJSF_S6_EEENSO_IJSG_SG_EEES6_PlJS6_EEE10hipError_tPvRmT3_T4_T5_T6_T7_T9_mT8_P12ihipStream_tbDpT10_ENKUlT_T0_E_clISt17integral_constantIbLb1EES1B_EEDaS16_S17_EUlS16_E_NS1_11comp_targetILNS1_3genE2ELNS1_11target_archE906ELNS1_3gpuE6ELNS1_3repE0EEENS1_30default_config_static_selectorELNS0_4arch9wavefront6targetE0EEEvT1_.num_vgpr, 0
	.set _ZN7rocprim17ROCPRIM_400000_NS6detail17trampoline_kernelINS0_14default_configENS1_25partition_config_selectorILNS1_17partition_subalgoE5EjNS0_10empty_typeEbEEZZNS1_14partition_implILS5_5ELb0ES3_mN6thrust23THRUST_200600_302600_NS6detail15normal_iteratorINSA_10device_ptrIjEEEEPS6_NSA_18transform_iteratorINSB_9not_fun_tI7is_trueIjEEESF_NSA_11use_defaultESM_EENS0_5tupleIJSF_S6_EEENSO_IJSG_SG_EEES6_PlJS6_EEE10hipError_tPvRmT3_T4_T5_T6_T7_T9_mT8_P12ihipStream_tbDpT10_ENKUlT_T0_E_clISt17integral_constantIbLb1EES1B_EEDaS16_S17_EUlS16_E_NS1_11comp_targetILNS1_3genE2ELNS1_11target_archE906ELNS1_3gpuE6ELNS1_3repE0EEENS1_30default_config_static_selectorELNS0_4arch9wavefront6targetE0EEEvT1_.num_agpr, 0
	.set _ZN7rocprim17ROCPRIM_400000_NS6detail17trampoline_kernelINS0_14default_configENS1_25partition_config_selectorILNS1_17partition_subalgoE5EjNS0_10empty_typeEbEEZZNS1_14partition_implILS5_5ELb0ES3_mN6thrust23THRUST_200600_302600_NS6detail15normal_iteratorINSA_10device_ptrIjEEEEPS6_NSA_18transform_iteratorINSB_9not_fun_tI7is_trueIjEEESF_NSA_11use_defaultESM_EENS0_5tupleIJSF_S6_EEENSO_IJSG_SG_EEES6_PlJS6_EEE10hipError_tPvRmT3_T4_T5_T6_T7_T9_mT8_P12ihipStream_tbDpT10_ENKUlT_T0_E_clISt17integral_constantIbLb1EES1B_EEDaS16_S17_EUlS16_E_NS1_11comp_targetILNS1_3genE2ELNS1_11target_archE906ELNS1_3gpuE6ELNS1_3repE0EEENS1_30default_config_static_selectorELNS0_4arch9wavefront6targetE0EEEvT1_.numbered_sgpr, 0
	.set _ZN7rocprim17ROCPRIM_400000_NS6detail17trampoline_kernelINS0_14default_configENS1_25partition_config_selectorILNS1_17partition_subalgoE5EjNS0_10empty_typeEbEEZZNS1_14partition_implILS5_5ELb0ES3_mN6thrust23THRUST_200600_302600_NS6detail15normal_iteratorINSA_10device_ptrIjEEEEPS6_NSA_18transform_iteratorINSB_9not_fun_tI7is_trueIjEEESF_NSA_11use_defaultESM_EENS0_5tupleIJSF_S6_EEENSO_IJSG_SG_EEES6_PlJS6_EEE10hipError_tPvRmT3_T4_T5_T6_T7_T9_mT8_P12ihipStream_tbDpT10_ENKUlT_T0_E_clISt17integral_constantIbLb1EES1B_EEDaS16_S17_EUlS16_E_NS1_11comp_targetILNS1_3genE2ELNS1_11target_archE906ELNS1_3gpuE6ELNS1_3repE0EEENS1_30default_config_static_selectorELNS0_4arch9wavefront6targetE0EEEvT1_.num_named_barrier, 0
	.set _ZN7rocprim17ROCPRIM_400000_NS6detail17trampoline_kernelINS0_14default_configENS1_25partition_config_selectorILNS1_17partition_subalgoE5EjNS0_10empty_typeEbEEZZNS1_14partition_implILS5_5ELb0ES3_mN6thrust23THRUST_200600_302600_NS6detail15normal_iteratorINSA_10device_ptrIjEEEEPS6_NSA_18transform_iteratorINSB_9not_fun_tI7is_trueIjEEESF_NSA_11use_defaultESM_EENS0_5tupleIJSF_S6_EEENSO_IJSG_SG_EEES6_PlJS6_EEE10hipError_tPvRmT3_T4_T5_T6_T7_T9_mT8_P12ihipStream_tbDpT10_ENKUlT_T0_E_clISt17integral_constantIbLb1EES1B_EEDaS16_S17_EUlS16_E_NS1_11comp_targetILNS1_3genE2ELNS1_11target_archE906ELNS1_3gpuE6ELNS1_3repE0EEENS1_30default_config_static_selectorELNS0_4arch9wavefront6targetE0EEEvT1_.private_seg_size, 0
	.set _ZN7rocprim17ROCPRIM_400000_NS6detail17trampoline_kernelINS0_14default_configENS1_25partition_config_selectorILNS1_17partition_subalgoE5EjNS0_10empty_typeEbEEZZNS1_14partition_implILS5_5ELb0ES3_mN6thrust23THRUST_200600_302600_NS6detail15normal_iteratorINSA_10device_ptrIjEEEEPS6_NSA_18transform_iteratorINSB_9not_fun_tI7is_trueIjEEESF_NSA_11use_defaultESM_EENS0_5tupleIJSF_S6_EEENSO_IJSG_SG_EEES6_PlJS6_EEE10hipError_tPvRmT3_T4_T5_T6_T7_T9_mT8_P12ihipStream_tbDpT10_ENKUlT_T0_E_clISt17integral_constantIbLb1EES1B_EEDaS16_S17_EUlS16_E_NS1_11comp_targetILNS1_3genE2ELNS1_11target_archE906ELNS1_3gpuE6ELNS1_3repE0EEENS1_30default_config_static_selectorELNS0_4arch9wavefront6targetE0EEEvT1_.uses_vcc, 0
	.set _ZN7rocprim17ROCPRIM_400000_NS6detail17trampoline_kernelINS0_14default_configENS1_25partition_config_selectorILNS1_17partition_subalgoE5EjNS0_10empty_typeEbEEZZNS1_14partition_implILS5_5ELb0ES3_mN6thrust23THRUST_200600_302600_NS6detail15normal_iteratorINSA_10device_ptrIjEEEEPS6_NSA_18transform_iteratorINSB_9not_fun_tI7is_trueIjEEESF_NSA_11use_defaultESM_EENS0_5tupleIJSF_S6_EEENSO_IJSG_SG_EEES6_PlJS6_EEE10hipError_tPvRmT3_T4_T5_T6_T7_T9_mT8_P12ihipStream_tbDpT10_ENKUlT_T0_E_clISt17integral_constantIbLb1EES1B_EEDaS16_S17_EUlS16_E_NS1_11comp_targetILNS1_3genE2ELNS1_11target_archE906ELNS1_3gpuE6ELNS1_3repE0EEENS1_30default_config_static_selectorELNS0_4arch9wavefront6targetE0EEEvT1_.uses_flat_scratch, 0
	.set _ZN7rocprim17ROCPRIM_400000_NS6detail17trampoline_kernelINS0_14default_configENS1_25partition_config_selectorILNS1_17partition_subalgoE5EjNS0_10empty_typeEbEEZZNS1_14partition_implILS5_5ELb0ES3_mN6thrust23THRUST_200600_302600_NS6detail15normal_iteratorINSA_10device_ptrIjEEEEPS6_NSA_18transform_iteratorINSB_9not_fun_tI7is_trueIjEEESF_NSA_11use_defaultESM_EENS0_5tupleIJSF_S6_EEENSO_IJSG_SG_EEES6_PlJS6_EEE10hipError_tPvRmT3_T4_T5_T6_T7_T9_mT8_P12ihipStream_tbDpT10_ENKUlT_T0_E_clISt17integral_constantIbLb1EES1B_EEDaS16_S17_EUlS16_E_NS1_11comp_targetILNS1_3genE2ELNS1_11target_archE906ELNS1_3gpuE6ELNS1_3repE0EEENS1_30default_config_static_selectorELNS0_4arch9wavefront6targetE0EEEvT1_.has_dyn_sized_stack, 0
	.set _ZN7rocprim17ROCPRIM_400000_NS6detail17trampoline_kernelINS0_14default_configENS1_25partition_config_selectorILNS1_17partition_subalgoE5EjNS0_10empty_typeEbEEZZNS1_14partition_implILS5_5ELb0ES3_mN6thrust23THRUST_200600_302600_NS6detail15normal_iteratorINSA_10device_ptrIjEEEEPS6_NSA_18transform_iteratorINSB_9not_fun_tI7is_trueIjEEESF_NSA_11use_defaultESM_EENS0_5tupleIJSF_S6_EEENSO_IJSG_SG_EEES6_PlJS6_EEE10hipError_tPvRmT3_T4_T5_T6_T7_T9_mT8_P12ihipStream_tbDpT10_ENKUlT_T0_E_clISt17integral_constantIbLb1EES1B_EEDaS16_S17_EUlS16_E_NS1_11comp_targetILNS1_3genE2ELNS1_11target_archE906ELNS1_3gpuE6ELNS1_3repE0EEENS1_30default_config_static_selectorELNS0_4arch9wavefront6targetE0EEEvT1_.has_recursion, 0
	.set _ZN7rocprim17ROCPRIM_400000_NS6detail17trampoline_kernelINS0_14default_configENS1_25partition_config_selectorILNS1_17partition_subalgoE5EjNS0_10empty_typeEbEEZZNS1_14partition_implILS5_5ELb0ES3_mN6thrust23THRUST_200600_302600_NS6detail15normal_iteratorINSA_10device_ptrIjEEEEPS6_NSA_18transform_iteratorINSB_9not_fun_tI7is_trueIjEEESF_NSA_11use_defaultESM_EENS0_5tupleIJSF_S6_EEENSO_IJSG_SG_EEES6_PlJS6_EEE10hipError_tPvRmT3_T4_T5_T6_T7_T9_mT8_P12ihipStream_tbDpT10_ENKUlT_T0_E_clISt17integral_constantIbLb1EES1B_EEDaS16_S17_EUlS16_E_NS1_11comp_targetILNS1_3genE2ELNS1_11target_archE906ELNS1_3gpuE6ELNS1_3repE0EEENS1_30default_config_static_selectorELNS0_4arch9wavefront6targetE0EEEvT1_.has_indirect_call, 0
	.section	.AMDGPU.csdata,"",@progbits
; Kernel info:
; codeLenInByte = 0
; TotalNumSgprs: 0
; NumVgprs: 0
; ScratchSize: 0
; MemoryBound: 0
; FloatMode: 240
; IeeeMode: 1
; LDSByteSize: 0 bytes/workgroup (compile time only)
; SGPRBlocks: 0
; VGPRBlocks: 0
; NumSGPRsForWavesPerEU: 1
; NumVGPRsForWavesPerEU: 1
; Occupancy: 16
; WaveLimiterHint : 0
; COMPUTE_PGM_RSRC2:SCRATCH_EN: 0
; COMPUTE_PGM_RSRC2:USER_SGPR: 2
; COMPUTE_PGM_RSRC2:TRAP_HANDLER: 0
; COMPUTE_PGM_RSRC2:TGID_X_EN: 1
; COMPUTE_PGM_RSRC2:TGID_Y_EN: 0
; COMPUTE_PGM_RSRC2:TGID_Z_EN: 0
; COMPUTE_PGM_RSRC2:TIDIG_COMP_CNT: 0
	.section	.text._ZN7rocprim17ROCPRIM_400000_NS6detail17trampoline_kernelINS0_14default_configENS1_25partition_config_selectorILNS1_17partition_subalgoE5EjNS0_10empty_typeEbEEZZNS1_14partition_implILS5_5ELb0ES3_mN6thrust23THRUST_200600_302600_NS6detail15normal_iteratorINSA_10device_ptrIjEEEEPS6_NSA_18transform_iteratorINSB_9not_fun_tI7is_trueIjEEESF_NSA_11use_defaultESM_EENS0_5tupleIJSF_S6_EEENSO_IJSG_SG_EEES6_PlJS6_EEE10hipError_tPvRmT3_T4_T5_T6_T7_T9_mT8_P12ihipStream_tbDpT10_ENKUlT_T0_E_clISt17integral_constantIbLb1EES1B_EEDaS16_S17_EUlS16_E_NS1_11comp_targetILNS1_3genE10ELNS1_11target_archE1200ELNS1_3gpuE4ELNS1_3repE0EEENS1_30default_config_static_selectorELNS0_4arch9wavefront6targetE0EEEvT1_,"axG",@progbits,_ZN7rocprim17ROCPRIM_400000_NS6detail17trampoline_kernelINS0_14default_configENS1_25partition_config_selectorILNS1_17partition_subalgoE5EjNS0_10empty_typeEbEEZZNS1_14partition_implILS5_5ELb0ES3_mN6thrust23THRUST_200600_302600_NS6detail15normal_iteratorINSA_10device_ptrIjEEEEPS6_NSA_18transform_iteratorINSB_9not_fun_tI7is_trueIjEEESF_NSA_11use_defaultESM_EENS0_5tupleIJSF_S6_EEENSO_IJSG_SG_EEES6_PlJS6_EEE10hipError_tPvRmT3_T4_T5_T6_T7_T9_mT8_P12ihipStream_tbDpT10_ENKUlT_T0_E_clISt17integral_constantIbLb1EES1B_EEDaS16_S17_EUlS16_E_NS1_11comp_targetILNS1_3genE10ELNS1_11target_archE1200ELNS1_3gpuE4ELNS1_3repE0EEENS1_30default_config_static_selectorELNS0_4arch9wavefront6targetE0EEEvT1_,comdat
	.protected	_ZN7rocprim17ROCPRIM_400000_NS6detail17trampoline_kernelINS0_14default_configENS1_25partition_config_selectorILNS1_17partition_subalgoE5EjNS0_10empty_typeEbEEZZNS1_14partition_implILS5_5ELb0ES3_mN6thrust23THRUST_200600_302600_NS6detail15normal_iteratorINSA_10device_ptrIjEEEEPS6_NSA_18transform_iteratorINSB_9not_fun_tI7is_trueIjEEESF_NSA_11use_defaultESM_EENS0_5tupleIJSF_S6_EEENSO_IJSG_SG_EEES6_PlJS6_EEE10hipError_tPvRmT3_T4_T5_T6_T7_T9_mT8_P12ihipStream_tbDpT10_ENKUlT_T0_E_clISt17integral_constantIbLb1EES1B_EEDaS16_S17_EUlS16_E_NS1_11comp_targetILNS1_3genE10ELNS1_11target_archE1200ELNS1_3gpuE4ELNS1_3repE0EEENS1_30default_config_static_selectorELNS0_4arch9wavefront6targetE0EEEvT1_ ; -- Begin function _ZN7rocprim17ROCPRIM_400000_NS6detail17trampoline_kernelINS0_14default_configENS1_25partition_config_selectorILNS1_17partition_subalgoE5EjNS0_10empty_typeEbEEZZNS1_14partition_implILS5_5ELb0ES3_mN6thrust23THRUST_200600_302600_NS6detail15normal_iteratorINSA_10device_ptrIjEEEEPS6_NSA_18transform_iteratorINSB_9not_fun_tI7is_trueIjEEESF_NSA_11use_defaultESM_EENS0_5tupleIJSF_S6_EEENSO_IJSG_SG_EEES6_PlJS6_EEE10hipError_tPvRmT3_T4_T5_T6_T7_T9_mT8_P12ihipStream_tbDpT10_ENKUlT_T0_E_clISt17integral_constantIbLb1EES1B_EEDaS16_S17_EUlS16_E_NS1_11comp_targetILNS1_3genE10ELNS1_11target_archE1200ELNS1_3gpuE4ELNS1_3repE0EEENS1_30default_config_static_selectorELNS0_4arch9wavefront6targetE0EEEvT1_
	.globl	_ZN7rocprim17ROCPRIM_400000_NS6detail17trampoline_kernelINS0_14default_configENS1_25partition_config_selectorILNS1_17partition_subalgoE5EjNS0_10empty_typeEbEEZZNS1_14partition_implILS5_5ELb0ES3_mN6thrust23THRUST_200600_302600_NS6detail15normal_iteratorINSA_10device_ptrIjEEEEPS6_NSA_18transform_iteratorINSB_9not_fun_tI7is_trueIjEEESF_NSA_11use_defaultESM_EENS0_5tupleIJSF_S6_EEENSO_IJSG_SG_EEES6_PlJS6_EEE10hipError_tPvRmT3_T4_T5_T6_T7_T9_mT8_P12ihipStream_tbDpT10_ENKUlT_T0_E_clISt17integral_constantIbLb1EES1B_EEDaS16_S17_EUlS16_E_NS1_11comp_targetILNS1_3genE10ELNS1_11target_archE1200ELNS1_3gpuE4ELNS1_3repE0EEENS1_30default_config_static_selectorELNS0_4arch9wavefront6targetE0EEEvT1_
	.p2align	8
	.type	_ZN7rocprim17ROCPRIM_400000_NS6detail17trampoline_kernelINS0_14default_configENS1_25partition_config_selectorILNS1_17partition_subalgoE5EjNS0_10empty_typeEbEEZZNS1_14partition_implILS5_5ELb0ES3_mN6thrust23THRUST_200600_302600_NS6detail15normal_iteratorINSA_10device_ptrIjEEEEPS6_NSA_18transform_iteratorINSB_9not_fun_tI7is_trueIjEEESF_NSA_11use_defaultESM_EENS0_5tupleIJSF_S6_EEENSO_IJSG_SG_EEES6_PlJS6_EEE10hipError_tPvRmT3_T4_T5_T6_T7_T9_mT8_P12ihipStream_tbDpT10_ENKUlT_T0_E_clISt17integral_constantIbLb1EES1B_EEDaS16_S17_EUlS16_E_NS1_11comp_targetILNS1_3genE10ELNS1_11target_archE1200ELNS1_3gpuE4ELNS1_3repE0EEENS1_30default_config_static_selectorELNS0_4arch9wavefront6targetE0EEEvT1_,@function
_ZN7rocprim17ROCPRIM_400000_NS6detail17trampoline_kernelINS0_14default_configENS1_25partition_config_selectorILNS1_17partition_subalgoE5EjNS0_10empty_typeEbEEZZNS1_14partition_implILS5_5ELb0ES3_mN6thrust23THRUST_200600_302600_NS6detail15normal_iteratorINSA_10device_ptrIjEEEEPS6_NSA_18transform_iteratorINSB_9not_fun_tI7is_trueIjEEESF_NSA_11use_defaultESM_EENS0_5tupleIJSF_S6_EEENSO_IJSG_SG_EEES6_PlJS6_EEE10hipError_tPvRmT3_T4_T5_T6_T7_T9_mT8_P12ihipStream_tbDpT10_ENKUlT_T0_E_clISt17integral_constantIbLb1EES1B_EEDaS16_S17_EUlS16_E_NS1_11comp_targetILNS1_3genE10ELNS1_11target_archE1200ELNS1_3gpuE4ELNS1_3repE0EEENS1_30default_config_static_selectorELNS0_4arch9wavefront6targetE0EEEvT1_: ; @_ZN7rocprim17ROCPRIM_400000_NS6detail17trampoline_kernelINS0_14default_configENS1_25partition_config_selectorILNS1_17partition_subalgoE5EjNS0_10empty_typeEbEEZZNS1_14partition_implILS5_5ELb0ES3_mN6thrust23THRUST_200600_302600_NS6detail15normal_iteratorINSA_10device_ptrIjEEEEPS6_NSA_18transform_iteratorINSB_9not_fun_tI7is_trueIjEEESF_NSA_11use_defaultESM_EENS0_5tupleIJSF_S6_EEENSO_IJSG_SG_EEES6_PlJS6_EEE10hipError_tPvRmT3_T4_T5_T6_T7_T9_mT8_P12ihipStream_tbDpT10_ENKUlT_T0_E_clISt17integral_constantIbLb1EES1B_EEDaS16_S17_EUlS16_E_NS1_11comp_targetILNS1_3genE10ELNS1_11target_archE1200ELNS1_3gpuE4ELNS1_3repE0EEENS1_30default_config_static_selectorELNS0_4arch9wavefront6targetE0EEEvT1_
; %bb.0:
	s_endpgm
	.section	.rodata,"a",@progbits
	.p2align	6, 0x0
	.amdhsa_kernel _ZN7rocprim17ROCPRIM_400000_NS6detail17trampoline_kernelINS0_14default_configENS1_25partition_config_selectorILNS1_17partition_subalgoE5EjNS0_10empty_typeEbEEZZNS1_14partition_implILS5_5ELb0ES3_mN6thrust23THRUST_200600_302600_NS6detail15normal_iteratorINSA_10device_ptrIjEEEEPS6_NSA_18transform_iteratorINSB_9not_fun_tI7is_trueIjEEESF_NSA_11use_defaultESM_EENS0_5tupleIJSF_S6_EEENSO_IJSG_SG_EEES6_PlJS6_EEE10hipError_tPvRmT3_T4_T5_T6_T7_T9_mT8_P12ihipStream_tbDpT10_ENKUlT_T0_E_clISt17integral_constantIbLb1EES1B_EEDaS16_S17_EUlS16_E_NS1_11comp_targetILNS1_3genE10ELNS1_11target_archE1200ELNS1_3gpuE4ELNS1_3repE0EEENS1_30default_config_static_selectorELNS0_4arch9wavefront6targetE0EEEvT1_
		.amdhsa_group_segment_fixed_size 0
		.amdhsa_private_segment_fixed_size 0
		.amdhsa_kernarg_size 136
		.amdhsa_user_sgpr_count 2
		.amdhsa_user_sgpr_dispatch_ptr 0
		.amdhsa_user_sgpr_queue_ptr 0
		.amdhsa_user_sgpr_kernarg_segment_ptr 1
		.amdhsa_user_sgpr_dispatch_id 0
		.amdhsa_user_sgpr_private_segment_size 0
		.amdhsa_wavefront_size32 1
		.amdhsa_uses_dynamic_stack 0
		.amdhsa_enable_private_segment 0
		.amdhsa_system_sgpr_workgroup_id_x 1
		.amdhsa_system_sgpr_workgroup_id_y 0
		.amdhsa_system_sgpr_workgroup_id_z 0
		.amdhsa_system_sgpr_workgroup_info 0
		.amdhsa_system_vgpr_workitem_id 0
		.amdhsa_next_free_vgpr 1
		.amdhsa_next_free_sgpr 1
		.amdhsa_reserve_vcc 0
		.amdhsa_float_round_mode_32 0
		.amdhsa_float_round_mode_16_64 0
		.amdhsa_float_denorm_mode_32 3
		.amdhsa_float_denorm_mode_16_64 3
		.amdhsa_fp16_overflow 0
		.amdhsa_workgroup_processor_mode 1
		.amdhsa_memory_ordered 1
		.amdhsa_forward_progress 1
		.amdhsa_inst_pref_size 1
		.amdhsa_round_robin_scheduling 0
		.amdhsa_exception_fp_ieee_invalid_op 0
		.amdhsa_exception_fp_denorm_src 0
		.amdhsa_exception_fp_ieee_div_zero 0
		.amdhsa_exception_fp_ieee_overflow 0
		.amdhsa_exception_fp_ieee_underflow 0
		.amdhsa_exception_fp_ieee_inexact 0
		.amdhsa_exception_int_div_zero 0
	.end_amdhsa_kernel
	.section	.text._ZN7rocprim17ROCPRIM_400000_NS6detail17trampoline_kernelINS0_14default_configENS1_25partition_config_selectorILNS1_17partition_subalgoE5EjNS0_10empty_typeEbEEZZNS1_14partition_implILS5_5ELb0ES3_mN6thrust23THRUST_200600_302600_NS6detail15normal_iteratorINSA_10device_ptrIjEEEEPS6_NSA_18transform_iteratorINSB_9not_fun_tI7is_trueIjEEESF_NSA_11use_defaultESM_EENS0_5tupleIJSF_S6_EEENSO_IJSG_SG_EEES6_PlJS6_EEE10hipError_tPvRmT3_T4_T5_T6_T7_T9_mT8_P12ihipStream_tbDpT10_ENKUlT_T0_E_clISt17integral_constantIbLb1EES1B_EEDaS16_S17_EUlS16_E_NS1_11comp_targetILNS1_3genE10ELNS1_11target_archE1200ELNS1_3gpuE4ELNS1_3repE0EEENS1_30default_config_static_selectorELNS0_4arch9wavefront6targetE0EEEvT1_,"axG",@progbits,_ZN7rocprim17ROCPRIM_400000_NS6detail17trampoline_kernelINS0_14default_configENS1_25partition_config_selectorILNS1_17partition_subalgoE5EjNS0_10empty_typeEbEEZZNS1_14partition_implILS5_5ELb0ES3_mN6thrust23THRUST_200600_302600_NS6detail15normal_iteratorINSA_10device_ptrIjEEEEPS6_NSA_18transform_iteratorINSB_9not_fun_tI7is_trueIjEEESF_NSA_11use_defaultESM_EENS0_5tupleIJSF_S6_EEENSO_IJSG_SG_EEES6_PlJS6_EEE10hipError_tPvRmT3_T4_T5_T6_T7_T9_mT8_P12ihipStream_tbDpT10_ENKUlT_T0_E_clISt17integral_constantIbLb1EES1B_EEDaS16_S17_EUlS16_E_NS1_11comp_targetILNS1_3genE10ELNS1_11target_archE1200ELNS1_3gpuE4ELNS1_3repE0EEENS1_30default_config_static_selectorELNS0_4arch9wavefront6targetE0EEEvT1_,comdat
.Lfunc_end1414:
	.size	_ZN7rocprim17ROCPRIM_400000_NS6detail17trampoline_kernelINS0_14default_configENS1_25partition_config_selectorILNS1_17partition_subalgoE5EjNS0_10empty_typeEbEEZZNS1_14partition_implILS5_5ELb0ES3_mN6thrust23THRUST_200600_302600_NS6detail15normal_iteratorINSA_10device_ptrIjEEEEPS6_NSA_18transform_iteratorINSB_9not_fun_tI7is_trueIjEEESF_NSA_11use_defaultESM_EENS0_5tupleIJSF_S6_EEENSO_IJSG_SG_EEES6_PlJS6_EEE10hipError_tPvRmT3_T4_T5_T6_T7_T9_mT8_P12ihipStream_tbDpT10_ENKUlT_T0_E_clISt17integral_constantIbLb1EES1B_EEDaS16_S17_EUlS16_E_NS1_11comp_targetILNS1_3genE10ELNS1_11target_archE1200ELNS1_3gpuE4ELNS1_3repE0EEENS1_30default_config_static_selectorELNS0_4arch9wavefront6targetE0EEEvT1_, .Lfunc_end1414-_ZN7rocprim17ROCPRIM_400000_NS6detail17trampoline_kernelINS0_14default_configENS1_25partition_config_selectorILNS1_17partition_subalgoE5EjNS0_10empty_typeEbEEZZNS1_14partition_implILS5_5ELb0ES3_mN6thrust23THRUST_200600_302600_NS6detail15normal_iteratorINSA_10device_ptrIjEEEEPS6_NSA_18transform_iteratorINSB_9not_fun_tI7is_trueIjEEESF_NSA_11use_defaultESM_EENS0_5tupleIJSF_S6_EEENSO_IJSG_SG_EEES6_PlJS6_EEE10hipError_tPvRmT3_T4_T5_T6_T7_T9_mT8_P12ihipStream_tbDpT10_ENKUlT_T0_E_clISt17integral_constantIbLb1EES1B_EEDaS16_S17_EUlS16_E_NS1_11comp_targetILNS1_3genE10ELNS1_11target_archE1200ELNS1_3gpuE4ELNS1_3repE0EEENS1_30default_config_static_selectorELNS0_4arch9wavefront6targetE0EEEvT1_
                                        ; -- End function
	.set _ZN7rocprim17ROCPRIM_400000_NS6detail17trampoline_kernelINS0_14default_configENS1_25partition_config_selectorILNS1_17partition_subalgoE5EjNS0_10empty_typeEbEEZZNS1_14partition_implILS5_5ELb0ES3_mN6thrust23THRUST_200600_302600_NS6detail15normal_iteratorINSA_10device_ptrIjEEEEPS6_NSA_18transform_iteratorINSB_9not_fun_tI7is_trueIjEEESF_NSA_11use_defaultESM_EENS0_5tupleIJSF_S6_EEENSO_IJSG_SG_EEES6_PlJS6_EEE10hipError_tPvRmT3_T4_T5_T6_T7_T9_mT8_P12ihipStream_tbDpT10_ENKUlT_T0_E_clISt17integral_constantIbLb1EES1B_EEDaS16_S17_EUlS16_E_NS1_11comp_targetILNS1_3genE10ELNS1_11target_archE1200ELNS1_3gpuE4ELNS1_3repE0EEENS1_30default_config_static_selectorELNS0_4arch9wavefront6targetE0EEEvT1_.num_vgpr, 0
	.set _ZN7rocprim17ROCPRIM_400000_NS6detail17trampoline_kernelINS0_14default_configENS1_25partition_config_selectorILNS1_17partition_subalgoE5EjNS0_10empty_typeEbEEZZNS1_14partition_implILS5_5ELb0ES3_mN6thrust23THRUST_200600_302600_NS6detail15normal_iteratorINSA_10device_ptrIjEEEEPS6_NSA_18transform_iteratorINSB_9not_fun_tI7is_trueIjEEESF_NSA_11use_defaultESM_EENS0_5tupleIJSF_S6_EEENSO_IJSG_SG_EEES6_PlJS6_EEE10hipError_tPvRmT3_T4_T5_T6_T7_T9_mT8_P12ihipStream_tbDpT10_ENKUlT_T0_E_clISt17integral_constantIbLb1EES1B_EEDaS16_S17_EUlS16_E_NS1_11comp_targetILNS1_3genE10ELNS1_11target_archE1200ELNS1_3gpuE4ELNS1_3repE0EEENS1_30default_config_static_selectorELNS0_4arch9wavefront6targetE0EEEvT1_.num_agpr, 0
	.set _ZN7rocprim17ROCPRIM_400000_NS6detail17trampoline_kernelINS0_14default_configENS1_25partition_config_selectorILNS1_17partition_subalgoE5EjNS0_10empty_typeEbEEZZNS1_14partition_implILS5_5ELb0ES3_mN6thrust23THRUST_200600_302600_NS6detail15normal_iteratorINSA_10device_ptrIjEEEEPS6_NSA_18transform_iteratorINSB_9not_fun_tI7is_trueIjEEESF_NSA_11use_defaultESM_EENS0_5tupleIJSF_S6_EEENSO_IJSG_SG_EEES6_PlJS6_EEE10hipError_tPvRmT3_T4_T5_T6_T7_T9_mT8_P12ihipStream_tbDpT10_ENKUlT_T0_E_clISt17integral_constantIbLb1EES1B_EEDaS16_S17_EUlS16_E_NS1_11comp_targetILNS1_3genE10ELNS1_11target_archE1200ELNS1_3gpuE4ELNS1_3repE0EEENS1_30default_config_static_selectorELNS0_4arch9wavefront6targetE0EEEvT1_.numbered_sgpr, 0
	.set _ZN7rocprim17ROCPRIM_400000_NS6detail17trampoline_kernelINS0_14default_configENS1_25partition_config_selectorILNS1_17partition_subalgoE5EjNS0_10empty_typeEbEEZZNS1_14partition_implILS5_5ELb0ES3_mN6thrust23THRUST_200600_302600_NS6detail15normal_iteratorINSA_10device_ptrIjEEEEPS6_NSA_18transform_iteratorINSB_9not_fun_tI7is_trueIjEEESF_NSA_11use_defaultESM_EENS0_5tupleIJSF_S6_EEENSO_IJSG_SG_EEES6_PlJS6_EEE10hipError_tPvRmT3_T4_T5_T6_T7_T9_mT8_P12ihipStream_tbDpT10_ENKUlT_T0_E_clISt17integral_constantIbLb1EES1B_EEDaS16_S17_EUlS16_E_NS1_11comp_targetILNS1_3genE10ELNS1_11target_archE1200ELNS1_3gpuE4ELNS1_3repE0EEENS1_30default_config_static_selectorELNS0_4arch9wavefront6targetE0EEEvT1_.num_named_barrier, 0
	.set _ZN7rocprim17ROCPRIM_400000_NS6detail17trampoline_kernelINS0_14default_configENS1_25partition_config_selectorILNS1_17partition_subalgoE5EjNS0_10empty_typeEbEEZZNS1_14partition_implILS5_5ELb0ES3_mN6thrust23THRUST_200600_302600_NS6detail15normal_iteratorINSA_10device_ptrIjEEEEPS6_NSA_18transform_iteratorINSB_9not_fun_tI7is_trueIjEEESF_NSA_11use_defaultESM_EENS0_5tupleIJSF_S6_EEENSO_IJSG_SG_EEES6_PlJS6_EEE10hipError_tPvRmT3_T4_T5_T6_T7_T9_mT8_P12ihipStream_tbDpT10_ENKUlT_T0_E_clISt17integral_constantIbLb1EES1B_EEDaS16_S17_EUlS16_E_NS1_11comp_targetILNS1_3genE10ELNS1_11target_archE1200ELNS1_3gpuE4ELNS1_3repE0EEENS1_30default_config_static_selectorELNS0_4arch9wavefront6targetE0EEEvT1_.private_seg_size, 0
	.set _ZN7rocprim17ROCPRIM_400000_NS6detail17trampoline_kernelINS0_14default_configENS1_25partition_config_selectorILNS1_17partition_subalgoE5EjNS0_10empty_typeEbEEZZNS1_14partition_implILS5_5ELb0ES3_mN6thrust23THRUST_200600_302600_NS6detail15normal_iteratorINSA_10device_ptrIjEEEEPS6_NSA_18transform_iteratorINSB_9not_fun_tI7is_trueIjEEESF_NSA_11use_defaultESM_EENS0_5tupleIJSF_S6_EEENSO_IJSG_SG_EEES6_PlJS6_EEE10hipError_tPvRmT3_T4_T5_T6_T7_T9_mT8_P12ihipStream_tbDpT10_ENKUlT_T0_E_clISt17integral_constantIbLb1EES1B_EEDaS16_S17_EUlS16_E_NS1_11comp_targetILNS1_3genE10ELNS1_11target_archE1200ELNS1_3gpuE4ELNS1_3repE0EEENS1_30default_config_static_selectorELNS0_4arch9wavefront6targetE0EEEvT1_.uses_vcc, 0
	.set _ZN7rocprim17ROCPRIM_400000_NS6detail17trampoline_kernelINS0_14default_configENS1_25partition_config_selectorILNS1_17partition_subalgoE5EjNS0_10empty_typeEbEEZZNS1_14partition_implILS5_5ELb0ES3_mN6thrust23THRUST_200600_302600_NS6detail15normal_iteratorINSA_10device_ptrIjEEEEPS6_NSA_18transform_iteratorINSB_9not_fun_tI7is_trueIjEEESF_NSA_11use_defaultESM_EENS0_5tupleIJSF_S6_EEENSO_IJSG_SG_EEES6_PlJS6_EEE10hipError_tPvRmT3_T4_T5_T6_T7_T9_mT8_P12ihipStream_tbDpT10_ENKUlT_T0_E_clISt17integral_constantIbLb1EES1B_EEDaS16_S17_EUlS16_E_NS1_11comp_targetILNS1_3genE10ELNS1_11target_archE1200ELNS1_3gpuE4ELNS1_3repE0EEENS1_30default_config_static_selectorELNS0_4arch9wavefront6targetE0EEEvT1_.uses_flat_scratch, 0
	.set _ZN7rocprim17ROCPRIM_400000_NS6detail17trampoline_kernelINS0_14default_configENS1_25partition_config_selectorILNS1_17partition_subalgoE5EjNS0_10empty_typeEbEEZZNS1_14partition_implILS5_5ELb0ES3_mN6thrust23THRUST_200600_302600_NS6detail15normal_iteratorINSA_10device_ptrIjEEEEPS6_NSA_18transform_iteratorINSB_9not_fun_tI7is_trueIjEEESF_NSA_11use_defaultESM_EENS0_5tupleIJSF_S6_EEENSO_IJSG_SG_EEES6_PlJS6_EEE10hipError_tPvRmT3_T4_T5_T6_T7_T9_mT8_P12ihipStream_tbDpT10_ENKUlT_T0_E_clISt17integral_constantIbLb1EES1B_EEDaS16_S17_EUlS16_E_NS1_11comp_targetILNS1_3genE10ELNS1_11target_archE1200ELNS1_3gpuE4ELNS1_3repE0EEENS1_30default_config_static_selectorELNS0_4arch9wavefront6targetE0EEEvT1_.has_dyn_sized_stack, 0
	.set _ZN7rocprim17ROCPRIM_400000_NS6detail17trampoline_kernelINS0_14default_configENS1_25partition_config_selectorILNS1_17partition_subalgoE5EjNS0_10empty_typeEbEEZZNS1_14partition_implILS5_5ELb0ES3_mN6thrust23THRUST_200600_302600_NS6detail15normal_iteratorINSA_10device_ptrIjEEEEPS6_NSA_18transform_iteratorINSB_9not_fun_tI7is_trueIjEEESF_NSA_11use_defaultESM_EENS0_5tupleIJSF_S6_EEENSO_IJSG_SG_EEES6_PlJS6_EEE10hipError_tPvRmT3_T4_T5_T6_T7_T9_mT8_P12ihipStream_tbDpT10_ENKUlT_T0_E_clISt17integral_constantIbLb1EES1B_EEDaS16_S17_EUlS16_E_NS1_11comp_targetILNS1_3genE10ELNS1_11target_archE1200ELNS1_3gpuE4ELNS1_3repE0EEENS1_30default_config_static_selectorELNS0_4arch9wavefront6targetE0EEEvT1_.has_recursion, 0
	.set _ZN7rocprim17ROCPRIM_400000_NS6detail17trampoline_kernelINS0_14default_configENS1_25partition_config_selectorILNS1_17partition_subalgoE5EjNS0_10empty_typeEbEEZZNS1_14partition_implILS5_5ELb0ES3_mN6thrust23THRUST_200600_302600_NS6detail15normal_iteratorINSA_10device_ptrIjEEEEPS6_NSA_18transform_iteratorINSB_9not_fun_tI7is_trueIjEEESF_NSA_11use_defaultESM_EENS0_5tupleIJSF_S6_EEENSO_IJSG_SG_EEES6_PlJS6_EEE10hipError_tPvRmT3_T4_T5_T6_T7_T9_mT8_P12ihipStream_tbDpT10_ENKUlT_T0_E_clISt17integral_constantIbLb1EES1B_EEDaS16_S17_EUlS16_E_NS1_11comp_targetILNS1_3genE10ELNS1_11target_archE1200ELNS1_3gpuE4ELNS1_3repE0EEENS1_30default_config_static_selectorELNS0_4arch9wavefront6targetE0EEEvT1_.has_indirect_call, 0
	.section	.AMDGPU.csdata,"",@progbits
; Kernel info:
; codeLenInByte = 4
; TotalNumSgprs: 0
; NumVgprs: 0
; ScratchSize: 0
; MemoryBound: 0
; FloatMode: 240
; IeeeMode: 1
; LDSByteSize: 0 bytes/workgroup (compile time only)
; SGPRBlocks: 0
; VGPRBlocks: 0
; NumSGPRsForWavesPerEU: 1
; NumVGPRsForWavesPerEU: 1
; Occupancy: 16
; WaveLimiterHint : 0
; COMPUTE_PGM_RSRC2:SCRATCH_EN: 0
; COMPUTE_PGM_RSRC2:USER_SGPR: 2
; COMPUTE_PGM_RSRC2:TRAP_HANDLER: 0
; COMPUTE_PGM_RSRC2:TGID_X_EN: 1
; COMPUTE_PGM_RSRC2:TGID_Y_EN: 0
; COMPUTE_PGM_RSRC2:TGID_Z_EN: 0
; COMPUTE_PGM_RSRC2:TIDIG_COMP_CNT: 0
	.section	.text._ZN7rocprim17ROCPRIM_400000_NS6detail17trampoline_kernelINS0_14default_configENS1_25partition_config_selectorILNS1_17partition_subalgoE5EjNS0_10empty_typeEbEEZZNS1_14partition_implILS5_5ELb0ES3_mN6thrust23THRUST_200600_302600_NS6detail15normal_iteratorINSA_10device_ptrIjEEEEPS6_NSA_18transform_iteratorINSB_9not_fun_tI7is_trueIjEEESF_NSA_11use_defaultESM_EENS0_5tupleIJSF_S6_EEENSO_IJSG_SG_EEES6_PlJS6_EEE10hipError_tPvRmT3_T4_T5_T6_T7_T9_mT8_P12ihipStream_tbDpT10_ENKUlT_T0_E_clISt17integral_constantIbLb1EES1B_EEDaS16_S17_EUlS16_E_NS1_11comp_targetILNS1_3genE9ELNS1_11target_archE1100ELNS1_3gpuE3ELNS1_3repE0EEENS1_30default_config_static_selectorELNS0_4arch9wavefront6targetE0EEEvT1_,"axG",@progbits,_ZN7rocprim17ROCPRIM_400000_NS6detail17trampoline_kernelINS0_14default_configENS1_25partition_config_selectorILNS1_17partition_subalgoE5EjNS0_10empty_typeEbEEZZNS1_14partition_implILS5_5ELb0ES3_mN6thrust23THRUST_200600_302600_NS6detail15normal_iteratorINSA_10device_ptrIjEEEEPS6_NSA_18transform_iteratorINSB_9not_fun_tI7is_trueIjEEESF_NSA_11use_defaultESM_EENS0_5tupleIJSF_S6_EEENSO_IJSG_SG_EEES6_PlJS6_EEE10hipError_tPvRmT3_T4_T5_T6_T7_T9_mT8_P12ihipStream_tbDpT10_ENKUlT_T0_E_clISt17integral_constantIbLb1EES1B_EEDaS16_S17_EUlS16_E_NS1_11comp_targetILNS1_3genE9ELNS1_11target_archE1100ELNS1_3gpuE3ELNS1_3repE0EEENS1_30default_config_static_selectorELNS0_4arch9wavefront6targetE0EEEvT1_,comdat
	.protected	_ZN7rocprim17ROCPRIM_400000_NS6detail17trampoline_kernelINS0_14default_configENS1_25partition_config_selectorILNS1_17partition_subalgoE5EjNS0_10empty_typeEbEEZZNS1_14partition_implILS5_5ELb0ES3_mN6thrust23THRUST_200600_302600_NS6detail15normal_iteratorINSA_10device_ptrIjEEEEPS6_NSA_18transform_iteratorINSB_9not_fun_tI7is_trueIjEEESF_NSA_11use_defaultESM_EENS0_5tupleIJSF_S6_EEENSO_IJSG_SG_EEES6_PlJS6_EEE10hipError_tPvRmT3_T4_T5_T6_T7_T9_mT8_P12ihipStream_tbDpT10_ENKUlT_T0_E_clISt17integral_constantIbLb1EES1B_EEDaS16_S17_EUlS16_E_NS1_11comp_targetILNS1_3genE9ELNS1_11target_archE1100ELNS1_3gpuE3ELNS1_3repE0EEENS1_30default_config_static_selectorELNS0_4arch9wavefront6targetE0EEEvT1_ ; -- Begin function _ZN7rocprim17ROCPRIM_400000_NS6detail17trampoline_kernelINS0_14default_configENS1_25partition_config_selectorILNS1_17partition_subalgoE5EjNS0_10empty_typeEbEEZZNS1_14partition_implILS5_5ELb0ES3_mN6thrust23THRUST_200600_302600_NS6detail15normal_iteratorINSA_10device_ptrIjEEEEPS6_NSA_18transform_iteratorINSB_9not_fun_tI7is_trueIjEEESF_NSA_11use_defaultESM_EENS0_5tupleIJSF_S6_EEENSO_IJSG_SG_EEES6_PlJS6_EEE10hipError_tPvRmT3_T4_T5_T6_T7_T9_mT8_P12ihipStream_tbDpT10_ENKUlT_T0_E_clISt17integral_constantIbLb1EES1B_EEDaS16_S17_EUlS16_E_NS1_11comp_targetILNS1_3genE9ELNS1_11target_archE1100ELNS1_3gpuE3ELNS1_3repE0EEENS1_30default_config_static_selectorELNS0_4arch9wavefront6targetE0EEEvT1_
	.globl	_ZN7rocprim17ROCPRIM_400000_NS6detail17trampoline_kernelINS0_14default_configENS1_25partition_config_selectorILNS1_17partition_subalgoE5EjNS0_10empty_typeEbEEZZNS1_14partition_implILS5_5ELb0ES3_mN6thrust23THRUST_200600_302600_NS6detail15normal_iteratorINSA_10device_ptrIjEEEEPS6_NSA_18transform_iteratorINSB_9not_fun_tI7is_trueIjEEESF_NSA_11use_defaultESM_EENS0_5tupleIJSF_S6_EEENSO_IJSG_SG_EEES6_PlJS6_EEE10hipError_tPvRmT3_T4_T5_T6_T7_T9_mT8_P12ihipStream_tbDpT10_ENKUlT_T0_E_clISt17integral_constantIbLb1EES1B_EEDaS16_S17_EUlS16_E_NS1_11comp_targetILNS1_3genE9ELNS1_11target_archE1100ELNS1_3gpuE3ELNS1_3repE0EEENS1_30default_config_static_selectorELNS0_4arch9wavefront6targetE0EEEvT1_
	.p2align	8
	.type	_ZN7rocprim17ROCPRIM_400000_NS6detail17trampoline_kernelINS0_14default_configENS1_25partition_config_selectorILNS1_17partition_subalgoE5EjNS0_10empty_typeEbEEZZNS1_14partition_implILS5_5ELb0ES3_mN6thrust23THRUST_200600_302600_NS6detail15normal_iteratorINSA_10device_ptrIjEEEEPS6_NSA_18transform_iteratorINSB_9not_fun_tI7is_trueIjEEESF_NSA_11use_defaultESM_EENS0_5tupleIJSF_S6_EEENSO_IJSG_SG_EEES6_PlJS6_EEE10hipError_tPvRmT3_T4_T5_T6_T7_T9_mT8_P12ihipStream_tbDpT10_ENKUlT_T0_E_clISt17integral_constantIbLb1EES1B_EEDaS16_S17_EUlS16_E_NS1_11comp_targetILNS1_3genE9ELNS1_11target_archE1100ELNS1_3gpuE3ELNS1_3repE0EEENS1_30default_config_static_selectorELNS0_4arch9wavefront6targetE0EEEvT1_,@function
_ZN7rocprim17ROCPRIM_400000_NS6detail17trampoline_kernelINS0_14default_configENS1_25partition_config_selectorILNS1_17partition_subalgoE5EjNS0_10empty_typeEbEEZZNS1_14partition_implILS5_5ELb0ES3_mN6thrust23THRUST_200600_302600_NS6detail15normal_iteratorINSA_10device_ptrIjEEEEPS6_NSA_18transform_iteratorINSB_9not_fun_tI7is_trueIjEEESF_NSA_11use_defaultESM_EENS0_5tupleIJSF_S6_EEENSO_IJSG_SG_EEES6_PlJS6_EEE10hipError_tPvRmT3_T4_T5_T6_T7_T9_mT8_P12ihipStream_tbDpT10_ENKUlT_T0_E_clISt17integral_constantIbLb1EES1B_EEDaS16_S17_EUlS16_E_NS1_11comp_targetILNS1_3genE9ELNS1_11target_archE1100ELNS1_3gpuE3ELNS1_3repE0EEENS1_30default_config_static_selectorELNS0_4arch9wavefront6targetE0EEEvT1_: ; @_ZN7rocprim17ROCPRIM_400000_NS6detail17trampoline_kernelINS0_14default_configENS1_25partition_config_selectorILNS1_17partition_subalgoE5EjNS0_10empty_typeEbEEZZNS1_14partition_implILS5_5ELb0ES3_mN6thrust23THRUST_200600_302600_NS6detail15normal_iteratorINSA_10device_ptrIjEEEEPS6_NSA_18transform_iteratorINSB_9not_fun_tI7is_trueIjEEESF_NSA_11use_defaultESM_EENS0_5tupleIJSF_S6_EEENSO_IJSG_SG_EEES6_PlJS6_EEE10hipError_tPvRmT3_T4_T5_T6_T7_T9_mT8_P12ihipStream_tbDpT10_ENKUlT_T0_E_clISt17integral_constantIbLb1EES1B_EEDaS16_S17_EUlS16_E_NS1_11comp_targetILNS1_3genE9ELNS1_11target_archE1100ELNS1_3gpuE3ELNS1_3repE0EEENS1_30default_config_static_selectorELNS0_4arch9wavefront6targetE0EEEvT1_
; %bb.0:
	.section	.rodata,"a",@progbits
	.p2align	6, 0x0
	.amdhsa_kernel _ZN7rocprim17ROCPRIM_400000_NS6detail17trampoline_kernelINS0_14default_configENS1_25partition_config_selectorILNS1_17partition_subalgoE5EjNS0_10empty_typeEbEEZZNS1_14partition_implILS5_5ELb0ES3_mN6thrust23THRUST_200600_302600_NS6detail15normal_iteratorINSA_10device_ptrIjEEEEPS6_NSA_18transform_iteratorINSB_9not_fun_tI7is_trueIjEEESF_NSA_11use_defaultESM_EENS0_5tupleIJSF_S6_EEENSO_IJSG_SG_EEES6_PlJS6_EEE10hipError_tPvRmT3_T4_T5_T6_T7_T9_mT8_P12ihipStream_tbDpT10_ENKUlT_T0_E_clISt17integral_constantIbLb1EES1B_EEDaS16_S17_EUlS16_E_NS1_11comp_targetILNS1_3genE9ELNS1_11target_archE1100ELNS1_3gpuE3ELNS1_3repE0EEENS1_30default_config_static_selectorELNS0_4arch9wavefront6targetE0EEEvT1_
		.amdhsa_group_segment_fixed_size 0
		.amdhsa_private_segment_fixed_size 0
		.amdhsa_kernarg_size 136
		.amdhsa_user_sgpr_count 2
		.amdhsa_user_sgpr_dispatch_ptr 0
		.amdhsa_user_sgpr_queue_ptr 0
		.amdhsa_user_sgpr_kernarg_segment_ptr 1
		.amdhsa_user_sgpr_dispatch_id 0
		.amdhsa_user_sgpr_private_segment_size 0
		.amdhsa_wavefront_size32 1
		.amdhsa_uses_dynamic_stack 0
		.amdhsa_enable_private_segment 0
		.amdhsa_system_sgpr_workgroup_id_x 1
		.amdhsa_system_sgpr_workgroup_id_y 0
		.amdhsa_system_sgpr_workgroup_id_z 0
		.amdhsa_system_sgpr_workgroup_info 0
		.amdhsa_system_vgpr_workitem_id 0
		.amdhsa_next_free_vgpr 1
		.amdhsa_next_free_sgpr 1
		.amdhsa_reserve_vcc 0
		.amdhsa_float_round_mode_32 0
		.amdhsa_float_round_mode_16_64 0
		.amdhsa_float_denorm_mode_32 3
		.amdhsa_float_denorm_mode_16_64 3
		.amdhsa_fp16_overflow 0
		.amdhsa_workgroup_processor_mode 1
		.amdhsa_memory_ordered 1
		.amdhsa_forward_progress 1
		.amdhsa_inst_pref_size 0
		.amdhsa_round_robin_scheduling 0
		.amdhsa_exception_fp_ieee_invalid_op 0
		.amdhsa_exception_fp_denorm_src 0
		.amdhsa_exception_fp_ieee_div_zero 0
		.amdhsa_exception_fp_ieee_overflow 0
		.amdhsa_exception_fp_ieee_underflow 0
		.amdhsa_exception_fp_ieee_inexact 0
		.amdhsa_exception_int_div_zero 0
	.end_amdhsa_kernel
	.section	.text._ZN7rocprim17ROCPRIM_400000_NS6detail17trampoline_kernelINS0_14default_configENS1_25partition_config_selectorILNS1_17partition_subalgoE5EjNS0_10empty_typeEbEEZZNS1_14partition_implILS5_5ELb0ES3_mN6thrust23THRUST_200600_302600_NS6detail15normal_iteratorINSA_10device_ptrIjEEEEPS6_NSA_18transform_iteratorINSB_9not_fun_tI7is_trueIjEEESF_NSA_11use_defaultESM_EENS0_5tupleIJSF_S6_EEENSO_IJSG_SG_EEES6_PlJS6_EEE10hipError_tPvRmT3_T4_T5_T6_T7_T9_mT8_P12ihipStream_tbDpT10_ENKUlT_T0_E_clISt17integral_constantIbLb1EES1B_EEDaS16_S17_EUlS16_E_NS1_11comp_targetILNS1_3genE9ELNS1_11target_archE1100ELNS1_3gpuE3ELNS1_3repE0EEENS1_30default_config_static_selectorELNS0_4arch9wavefront6targetE0EEEvT1_,"axG",@progbits,_ZN7rocprim17ROCPRIM_400000_NS6detail17trampoline_kernelINS0_14default_configENS1_25partition_config_selectorILNS1_17partition_subalgoE5EjNS0_10empty_typeEbEEZZNS1_14partition_implILS5_5ELb0ES3_mN6thrust23THRUST_200600_302600_NS6detail15normal_iteratorINSA_10device_ptrIjEEEEPS6_NSA_18transform_iteratorINSB_9not_fun_tI7is_trueIjEEESF_NSA_11use_defaultESM_EENS0_5tupleIJSF_S6_EEENSO_IJSG_SG_EEES6_PlJS6_EEE10hipError_tPvRmT3_T4_T5_T6_T7_T9_mT8_P12ihipStream_tbDpT10_ENKUlT_T0_E_clISt17integral_constantIbLb1EES1B_EEDaS16_S17_EUlS16_E_NS1_11comp_targetILNS1_3genE9ELNS1_11target_archE1100ELNS1_3gpuE3ELNS1_3repE0EEENS1_30default_config_static_selectorELNS0_4arch9wavefront6targetE0EEEvT1_,comdat
.Lfunc_end1415:
	.size	_ZN7rocprim17ROCPRIM_400000_NS6detail17trampoline_kernelINS0_14default_configENS1_25partition_config_selectorILNS1_17partition_subalgoE5EjNS0_10empty_typeEbEEZZNS1_14partition_implILS5_5ELb0ES3_mN6thrust23THRUST_200600_302600_NS6detail15normal_iteratorINSA_10device_ptrIjEEEEPS6_NSA_18transform_iteratorINSB_9not_fun_tI7is_trueIjEEESF_NSA_11use_defaultESM_EENS0_5tupleIJSF_S6_EEENSO_IJSG_SG_EEES6_PlJS6_EEE10hipError_tPvRmT3_T4_T5_T6_T7_T9_mT8_P12ihipStream_tbDpT10_ENKUlT_T0_E_clISt17integral_constantIbLb1EES1B_EEDaS16_S17_EUlS16_E_NS1_11comp_targetILNS1_3genE9ELNS1_11target_archE1100ELNS1_3gpuE3ELNS1_3repE0EEENS1_30default_config_static_selectorELNS0_4arch9wavefront6targetE0EEEvT1_, .Lfunc_end1415-_ZN7rocprim17ROCPRIM_400000_NS6detail17trampoline_kernelINS0_14default_configENS1_25partition_config_selectorILNS1_17partition_subalgoE5EjNS0_10empty_typeEbEEZZNS1_14partition_implILS5_5ELb0ES3_mN6thrust23THRUST_200600_302600_NS6detail15normal_iteratorINSA_10device_ptrIjEEEEPS6_NSA_18transform_iteratorINSB_9not_fun_tI7is_trueIjEEESF_NSA_11use_defaultESM_EENS0_5tupleIJSF_S6_EEENSO_IJSG_SG_EEES6_PlJS6_EEE10hipError_tPvRmT3_T4_T5_T6_T7_T9_mT8_P12ihipStream_tbDpT10_ENKUlT_T0_E_clISt17integral_constantIbLb1EES1B_EEDaS16_S17_EUlS16_E_NS1_11comp_targetILNS1_3genE9ELNS1_11target_archE1100ELNS1_3gpuE3ELNS1_3repE0EEENS1_30default_config_static_selectorELNS0_4arch9wavefront6targetE0EEEvT1_
                                        ; -- End function
	.set _ZN7rocprim17ROCPRIM_400000_NS6detail17trampoline_kernelINS0_14default_configENS1_25partition_config_selectorILNS1_17partition_subalgoE5EjNS0_10empty_typeEbEEZZNS1_14partition_implILS5_5ELb0ES3_mN6thrust23THRUST_200600_302600_NS6detail15normal_iteratorINSA_10device_ptrIjEEEEPS6_NSA_18transform_iteratorINSB_9not_fun_tI7is_trueIjEEESF_NSA_11use_defaultESM_EENS0_5tupleIJSF_S6_EEENSO_IJSG_SG_EEES6_PlJS6_EEE10hipError_tPvRmT3_T4_T5_T6_T7_T9_mT8_P12ihipStream_tbDpT10_ENKUlT_T0_E_clISt17integral_constantIbLb1EES1B_EEDaS16_S17_EUlS16_E_NS1_11comp_targetILNS1_3genE9ELNS1_11target_archE1100ELNS1_3gpuE3ELNS1_3repE0EEENS1_30default_config_static_selectorELNS0_4arch9wavefront6targetE0EEEvT1_.num_vgpr, 0
	.set _ZN7rocprim17ROCPRIM_400000_NS6detail17trampoline_kernelINS0_14default_configENS1_25partition_config_selectorILNS1_17partition_subalgoE5EjNS0_10empty_typeEbEEZZNS1_14partition_implILS5_5ELb0ES3_mN6thrust23THRUST_200600_302600_NS6detail15normal_iteratorINSA_10device_ptrIjEEEEPS6_NSA_18transform_iteratorINSB_9not_fun_tI7is_trueIjEEESF_NSA_11use_defaultESM_EENS0_5tupleIJSF_S6_EEENSO_IJSG_SG_EEES6_PlJS6_EEE10hipError_tPvRmT3_T4_T5_T6_T7_T9_mT8_P12ihipStream_tbDpT10_ENKUlT_T0_E_clISt17integral_constantIbLb1EES1B_EEDaS16_S17_EUlS16_E_NS1_11comp_targetILNS1_3genE9ELNS1_11target_archE1100ELNS1_3gpuE3ELNS1_3repE0EEENS1_30default_config_static_selectorELNS0_4arch9wavefront6targetE0EEEvT1_.num_agpr, 0
	.set _ZN7rocprim17ROCPRIM_400000_NS6detail17trampoline_kernelINS0_14default_configENS1_25partition_config_selectorILNS1_17partition_subalgoE5EjNS0_10empty_typeEbEEZZNS1_14partition_implILS5_5ELb0ES3_mN6thrust23THRUST_200600_302600_NS6detail15normal_iteratorINSA_10device_ptrIjEEEEPS6_NSA_18transform_iteratorINSB_9not_fun_tI7is_trueIjEEESF_NSA_11use_defaultESM_EENS0_5tupleIJSF_S6_EEENSO_IJSG_SG_EEES6_PlJS6_EEE10hipError_tPvRmT3_T4_T5_T6_T7_T9_mT8_P12ihipStream_tbDpT10_ENKUlT_T0_E_clISt17integral_constantIbLb1EES1B_EEDaS16_S17_EUlS16_E_NS1_11comp_targetILNS1_3genE9ELNS1_11target_archE1100ELNS1_3gpuE3ELNS1_3repE0EEENS1_30default_config_static_selectorELNS0_4arch9wavefront6targetE0EEEvT1_.numbered_sgpr, 0
	.set _ZN7rocprim17ROCPRIM_400000_NS6detail17trampoline_kernelINS0_14default_configENS1_25partition_config_selectorILNS1_17partition_subalgoE5EjNS0_10empty_typeEbEEZZNS1_14partition_implILS5_5ELb0ES3_mN6thrust23THRUST_200600_302600_NS6detail15normal_iteratorINSA_10device_ptrIjEEEEPS6_NSA_18transform_iteratorINSB_9not_fun_tI7is_trueIjEEESF_NSA_11use_defaultESM_EENS0_5tupleIJSF_S6_EEENSO_IJSG_SG_EEES6_PlJS6_EEE10hipError_tPvRmT3_T4_T5_T6_T7_T9_mT8_P12ihipStream_tbDpT10_ENKUlT_T0_E_clISt17integral_constantIbLb1EES1B_EEDaS16_S17_EUlS16_E_NS1_11comp_targetILNS1_3genE9ELNS1_11target_archE1100ELNS1_3gpuE3ELNS1_3repE0EEENS1_30default_config_static_selectorELNS0_4arch9wavefront6targetE0EEEvT1_.num_named_barrier, 0
	.set _ZN7rocprim17ROCPRIM_400000_NS6detail17trampoline_kernelINS0_14default_configENS1_25partition_config_selectorILNS1_17partition_subalgoE5EjNS0_10empty_typeEbEEZZNS1_14partition_implILS5_5ELb0ES3_mN6thrust23THRUST_200600_302600_NS6detail15normal_iteratorINSA_10device_ptrIjEEEEPS6_NSA_18transform_iteratorINSB_9not_fun_tI7is_trueIjEEESF_NSA_11use_defaultESM_EENS0_5tupleIJSF_S6_EEENSO_IJSG_SG_EEES6_PlJS6_EEE10hipError_tPvRmT3_T4_T5_T6_T7_T9_mT8_P12ihipStream_tbDpT10_ENKUlT_T0_E_clISt17integral_constantIbLb1EES1B_EEDaS16_S17_EUlS16_E_NS1_11comp_targetILNS1_3genE9ELNS1_11target_archE1100ELNS1_3gpuE3ELNS1_3repE0EEENS1_30default_config_static_selectorELNS0_4arch9wavefront6targetE0EEEvT1_.private_seg_size, 0
	.set _ZN7rocprim17ROCPRIM_400000_NS6detail17trampoline_kernelINS0_14default_configENS1_25partition_config_selectorILNS1_17partition_subalgoE5EjNS0_10empty_typeEbEEZZNS1_14partition_implILS5_5ELb0ES3_mN6thrust23THRUST_200600_302600_NS6detail15normal_iteratorINSA_10device_ptrIjEEEEPS6_NSA_18transform_iteratorINSB_9not_fun_tI7is_trueIjEEESF_NSA_11use_defaultESM_EENS0_5tupleIJSF_S6_EEENSO_IJSG_SG_EEES6_PlJS6_EEE10hipError_tPvRmT3_T4_T5_T6_T7_T9_mT8_P12ihipStream_tbDpT10_ENKUlT_T0_E_clISt17integral_constantIbLb1EES1B_EEDaS16_S17_EUlS16_E_NS1_11comp_targetILNS1_3genE9ELNS1_11target_archE1100ELNS1_3gpuE3ELNS1_3repE0EEENS1_30default_config_static_selectorELNS0_4arch9wavefront6targetE0EEEvT1_.uses_vcc, 0
	.set _ZN7rocprim17ROCPRIM_400000_NS6detail17trampoline_kernelINS0_14default_configENS1_25partition_config_selectorILNS1_17partition_subalgoE5EjNS0_10empty_typeEbEEZZNS1_14partition_implILS5_5ELb0ES3_mN6thrust23THRUST_200600_302600_NS6detail15normal_iteratorINSA_10device_ptrIjEEEEPS6_NSA_18transform_iteratorINSB_9not_fun_tI7is_trueIjEEESF_NSA_11use_defaultESM_EENS0_5tupleIJSF_S6_EEENSO_IJSG_SG_EEES6_PlJS6_EEE10hipError_tPvRmT3_T4_T5_T6_T7_T9_mT8_P12ihipStream_tbDpT10_ENKUlT_T0_E_clISt17integral_constantIbLb1EES1B_EEDaS16_S17_EUlS16_E_NS1_11comp_targetILNS1_3genE9ELNS1_11target_archE1100ELNS1_3gpuE3ELNS1_3repE0EEENS1_30default_config_static_selectorELNS0_4arch9wavefront6targetE0EEEvT1_.uses_flat_scratch, 0
	.set _ZN7rocprim17ROCPRIM_400000_NS6detail17trampoline_kernelINS0_14default_configENS1_25partition_config_selectorILNS1_17partition_subalgoE5EjNS0_10empty_typeEbEEZZNS1_14partition_implILS5_5ELb0ES3_mN6thrust23THRUST_200600_302600_NS6detail15normal_iteratorINSA_10device_ptrIjEEEEPS6_NSA_18transform_iteratorINSB_9not_fun_tI7is_trueIjEEESF_NSA_11use_defaultESM_EENS0_5tupleIJSF_S6_EEENSO_IJSG_SG_EEES6_PlJS6_EEE10hipError_tPvRmT3_T4_T5_T6_T7_T9_mT8_P12ihipStream_tbDpT10_ENKUlT_T0_E_clISt17integral_constantIbLb1EES1B_EEDaS16_S17_EUlS16_E_NS1_11comp_targetILNS1_3genE9ELNS1_11target_archE1100ELNS1_3gpuE3ELNS1_3repE0EEENS1_30default_config_static_selectorELNS0_4arch9wavefront6targetE0EEEvT1_.has_dyn_sized_stack, 0
	.set _ZN7rocprim17ROCPRIM_400000_NS6detail17trampoline_kernelINS0_14default_configENS1_25partition_config_selectorILNS1_17partition_subalgoE5EjNS0_10empty_typeEbEEZZNS1_14partition_implILS5_5ELb0ES3_mN6thrust23THRUST_200600_302600_NS6detail15normal_iteratorINSA_10device_ptrIjEEEEPS6_NSA_18transform_iteratorINSB_9not_fun_tI7is_trueIjEEESF_NSA_11use_defaultESM_EENS0_5tupleIJSF_S6_EEENSO_IJSG_SG_EEES6_PlJS6_EEE10hipError_tPvRmT3_T4_T5_T6_T7_T9_mT8_P12ihipStream_tbDpT10_ENKUlT_T0_E_clISt17integral_constantIbLb1EES1B_EEDaS16_S17_EUlS16_E_NS1_11comp_targetILNS1_3genE9ELNS1_11target_archE1100ELNS1_3gpuE3ELNS1_3repE0EEENS1_30default_config_static_selectorELNS0_4arch9wavefront6targetE0EEEvT1_.has_recursion, 0
	.set _ZN7rocprim17ROCPRIM_400000_NS6detail17trampoline_kernelINS0_14default_configENS1_25partition_config_selectorILNS1_17partition_subalgoE5EjNS0_10empty_typeEbEEZZNS1_14partition_implILS5_5ELb0ES3_mN6thrust23THRUST_200600_302600_NS6detail15normal_iteratorINSA_10device_ptrIjEEEEPS6_NSA_18transform_iteratorINSB_9not_fun_tI7is_trueIjEEESF_NSA_11use_defaultESM_EENS0_5tupleIJSF_S6_EEENSO_IJSG_SG_EEES6_PlJS6_EEE10hipError_tPvRmT3_T4_T5_T6_T7_T9_mT8_P12ihipStream_tbDpT10_ENKUlT_T0_E_clISt17integral_constantIbLb1EES1B_EEDaS16_S17_EUlS16_E_NS1_11comp_targetILNS1_3genE9ELNS1_11target_archE1100ELNS1_3gpuE3ELNS1_3repE0EEENS1_30default_config_static_selectorELNS0_4arch9wavefront6targetE0EEEvT1_.has_indirect_call, 0
	.section	.AMDGPU.csdata,"",@progbits
; Kernel info:
; codeLenInByte = 0
; TotalNumSgprs: 0
; NumVgprs: 0
; ScratchSize: 0
; MemoryBound: 0
; FloatMode: 240
; IeeeMode: 1
; LDSByteSize: 0 bytes/workgroup (compile time only)
; SGPRBlocks: 0
; VGPRBlocks: 0
; NumSGPRsForWavesPerEU: 1
; NumVGPRsForWavesPerEU: 1
; Occupancy: 16
; WaveLimiterHint : 0
; COMPUTE_PGM_RSRC2:SCRATCH_EN: 0
; COMPUTE_PGM_RSRC2:USER_SGPR: 2
; COMPUTE_PGM_RSRC2:TRAP_HANDLER: 0
; COMPUTE_PGM_RSRC2:TGID_X_EN: 1
; COMPUTE_PGM_RSRC2:TGID_Y_EN: 0
; COMPUTE_PGM_RSRC2:TGID_Z_EN: 0
; COMPUTE_PGM_RSRC2:TIDIG_COMP_CNT: 0
	.section	.text._ZN7rocprim17ROCPRIM_400000_NS6detail17trampoline_kernelINS0_14default_configENS1_25partition_config_selectorILNS1_17partition_subalgoE5EjNS0_10empty_typeEbEEZZNS1_14partition_implILS5_5ELb0ES3_mN6thrust23THRUST_200600_302600_NS6detail15normal_iteratorINSA_10device_ptrIjEEEEPS6_NSA_18transform_iteratorINSB_9not_fun_tI7is_trueIjEEESF_NSA_11use_defaultESM_EENS0_5tupleIJSF_S6_EEENSO_IJSG_SG_EEES6_PlJS6_EEE10hipError_tPvRmT3_T4_T5_T6_T7_T9_mT8_P12ihipStream_tbDpT10_ENKUlT_T0_E_clISt17integral_constantIbLb1EES1B_EEDaS16_S17_EUlS16_E_NS1_11comp_targetILNS1_3genE8ELNS1_11target_archE1030ELNS1_3gpuE2ELNS1_3repE0EEENS1_30default_config_static_selectorELNS0_4arch9wavefront6targetE0EEEvT1_,"axG",@progbits,_ZN7rocprim17ROCPRIM_400000_NS6detail17trampoline_kernelINS0_14default_configENS1_25partition_config_selectorILNS1_17partition_subalgoE5EjNS0_10empty_typeEbEEZZNS1_14partition_implILS5_5ELb0ES3_mN6thrust23THRUST_200600_302600_NS6detail15normal_iteratorINSA_10device_ptrIjEEEEPS6_NSA_18transform_iteratorINSB_9not_fun_tI7is_trueIjEEESF_NSA_11use_defaultESM_EENS0_5tupleIJSF_S6_EEENSO_IJSG_SG_EEES6_PlJS6_EEE10hipError_tPvRmT3_T4_T5_T6_T7_T9_mT8_P12ihipStream_tbDpT10_ENKUlT_T0_E_clISt17integral_constantIbLb1EES1B_EEDaS16_S17_EUlS16_E_NS1_11comp_targetILNS1_3genE8ELNS1_11target_archE1030ELNS1_3gpuE2ELNS1_3repE0EEENS1_30default_config_static_selectorELNS0_4arch9wavefront6targetE0EEEvT1_,comdat
	.protected	_ZN7rocprim17ROCPRIM_400000_NS6detail17trampoline_kernelINS0_14default_configENS1_25partition_config_selectorILNS1_17partition_subalgoE5EjNS0_10empty_typeEbEEZZNS1_14partition_implILS5_5ELb0ES3_mN6thrust23THRUST_200600_302600_NS6detail15normal_iteratorINSA_10device_ptrIjEEEEPS6_NSA_18transform_iteratorINSB_9not_fun_tI7is_trueIjEEESF_NSA_11use_defaultESM_EENS0_5tupleIJSF_S6_EEENSO_IJSG_SG_EEES6_PlJS6_EEE10hipError_tPvRmT3_T4_T5_T6_T7_T9_mT8_P12ihipStream_tbDpT10_ENKUlT_T0_E_clISt17integral_constantIbLb1EES1B_EEDaS16_S17_EUlS16_E_NS1_11comp_targetILNS1_3genE8ELNS1_11target_archE1030ELNS1_3gpuE2ELNS1_3repE0EEENS1_30default_config_static_selectorELNS0_4arch9wavefront6targetE0EEEvT1_ ; -- Begin function _ZN7rocprim17ROCPRIM_400000_NS6detail17trampoline_kernelINS0_14default_configENS1_25partition_config_selectorILNS1_17partition_subalgoE5EjNS0_10empty_typeEbEEZZNS1_14partition_implILS5_5ELb0ES3_mN6thrust23THRUST_200600_302600_NS6detail15normal_iteratorINSA_10device_ptrIjEEEEPS6_NSA_18transform_iteratorINSB_9not_fun_tI7is_trueIjEEESF_NSA_11use_defaultESM_EENS0_5tupleIJSF_S6_EEENSO_IJSG_SG_EEES6_PlJS6_EEE10hipError_tPvRmT3_T4_T5_T6_T7_T9_mT8_P12ihipStream_tbDpT10_ENKUlT_T0_E_clISt17integral_constantIbLb1EES1B_EEDaS16_S17_EUlS16_E_NS1_11comp_targetILNS1_3genE8ELNS1_11target_archE1030ELNS1_3gpuE2ELNS1_3repE0EEENS1_30default_config_static_selectorELNS0_4arch9wavefront6targetE0EEEvT1_
	.globl	_ZN7rocprim17ROCPRIM_400000_NS6detail17trampoline_kernelINS0_14default_configENS1_25partition_config_selectorILNS1_17partition_subalgoE5EjNS0_10empty_typeEbEEZZNS1_14partition_implILS5_5ELb0ES3_mN6thrust23THRUST_200600_302600_NS6detail15normal_iteratorINSA_10device_ptrIjEEEEPS6_NSA_18transform_iteratorINSB_9not_fun_tI7is_trueIjEEESF_NSA_11use_defaultESM_EENS0_5tupleIJSF_S6_EEENSO_IJSG_SG_EEES6_PlJS6_EEE10hipError_tPvRmT3_T4_T5_T6_T7_T9_mT8_P12ihipStream_tbDpT10_ENKUlT_T0_E_clISt17integral_constantIbLb1EES1B_EEDaS16_S17_EUlS16_E_NS1_11comp_targetILNS1_3genE8ELNS1_11target_archE1030ELNS1_3gpuE2ELNS1_3repE0EEENS1_30default_config_static_selectorELNS0_4arch9wavefront6targetE0EEEvT1_
	.p2align	8
	.type	_ZN7rocprim17ROCPRIM_400000_NS6detail17trampoline_kernelINS0_14default_configENS1_25partition_config_selectorILNS1_17partition_subalgoE5EjNS0_10empty_typeEbEEZZNS1_14partition_implILS5_5ELb0ES3_mN6thrust23THRUST_200600_302600_NS6detail15normal_iteratorINSA_10device_ptrIjEEEEPS6_NSA_18transform_iteratorINSB_9not_fun_tI7is_trueIjEEESF_NSA_11use_defaultESM_EENS0_5tupleIJSF_S6_EEENSO_IJSG_SG_EEES6_PlJS6_EEE10hipError_tPvRmT3_T4_T5_T6_T7_T9_mT8_P12ihipStream_tbDpT10_ENKUlT_T0_E_clISt17integral_constantIbLb1EES1B_EEDaS16_S17_EUlS16_E_NS1_11comp_targetILNS1_3genE8ELNS1_11target_archE1030ELNS1_3gpuE2ELNS1_3repE0EEENS1_30default_config_static_selectorELNS0_4arch9wavefront6targetE0EEEvT1_,@function
_ZN7rocprim17ROCPRIM_400000_NS6detail17trampoline_kernelINS0_14default_configENS1_25partition_config_selectorILNS1_17partition_subalgoE5EjNS0_10empty_typeEbEEZZNS1_14partition_implILS5_5ELb0ES3_mN6thrust23THRUST_200600_302600_NS6detail15normal_iteratorINSA_10device_ptrIjEEEEPS6_NSA_18transform_iteratorINSB_9not_fun_tI7is_trueIjEEESF_NSA_11use_defaultESM_EENS0_5tupleIJSF_S6_EEENSO_IJSG_SG_EEES6_PlJS6_EEE10hipError_tPvRmT3_T4_T5_T6_T7_T9_mT8_P12ihipStream_tbDpT10_ENKUlT_T0_E_clISt17integral_constantIbLb1EES1B_EEDaS16_S17_EUlS16_E_NS1_11comp_targetILNS1_3genE8ELNS1_11target_archE1030ELNS1_3gpuE2ELNS1_3repE0EEENS1_30default_config_static_selectorELNS0_4arch9wavefront6targetE0EEEvT1_: ; @_ZN7rocprim17ROCPRIM_400000_NS6detail17trampoline_kernelINS0_14default_configENS1_25partition_config_selectorILNS1_17partition_subalgoE5EjNS0_10empty_typeEbEEZZNS1_14partition_implILS5_5ELb0ES3_mN6thrust23THRUST_200600_302600_NS6detail15normal_iteratorINSA_10device_ptrIjEEEEPS6_NSA_18transform_iteratorINSB_9not_fun_tI7is_trueIjEEESF_NSA_11use_defaultESM_EENS0_5tupleIJSF_S6_EEENSO_IJSG_SG_EEES6_PlJS6_EEE10hipError_tPvRmT3_T4_T5_T6_T7_T9_mT8_P12ihipStream_tbDpT10_ENKUlT_T0_E_clISt17integral_constantIbLb1EES1B_EEDaS16_S17_EUlS16_E_NS1_11comp_targetILNS1_3genE8ELNS1_11target_archE1030ELNS1_3gpuE2ELNS1_3repE0EEENS1_30default_config_static_selectorELNS0_4arch9wavefront6targetE0EEEvT1_
; %bb.0:
	.section	.rodata,"a",@progbits
	.p2align	6, 0x0
	.amdhsa_kernel _ZN7rocprim17ROCPRIM_400000_NS6detail17trampoline_kernelINS0_14default_configENS1_25partition_config_selectorILNS1_17partition_subalgoE5EjNS0_10empty_typeEbEEZZNS1_14partition_implILS5_5ELb0ES3_mN6thrust23THRUST_200600_302600_NS6detail15normal_iteratorINSA_10device_ptrIjEEEEPS6_NSA_18transform_iteratorINSB_9not_fun_tI7is_trueIjEEESF_NSA_11use_defaultESM_EENS0_5tupleIJSF_S6_EEENSO_IJSG_SG_EEES6_PlJS6_EEE10hipError_tPvRmT3_T4_T5_T6_T7_T9_mT8_P12ihipStream_tbDpT10_ENKUlT_T0_E_clISt17integral_constantIbLb1EES1B_EEDaS16_S17_EUlS16_E_NS1_11comp_targetILNS1_3genE8ELNS1_11target_archE1030ELNS1_3gpuE2ELNS1_3repE0EEENS1_30default_config_static_selectorELNS0_4arch9wavefront6targetE0EEEvT1_
		.amdhsa_group_segment_fixed_size 0
		.amdhsa_private_segment_fixed_size 0
		.amdhsa_kernarg_size 136
		.amdhsa_user_sgpr_count 2
		.amdhsa_user_sgpr_dispatch_ptr 0
		.amdhsa_user_sgpr_queue_ptr 0
		.amdhsa_user_sgpr_kernarg_segment_ptr 1
		.amdhsa_user_sgpr_dispatch_id 0
		.amdhsa_user_sgpr_private_segment_size 0
		.amdhsa_wavefront_size32 1
		.amdhsa_uses_dynamic_stack 0
		.amdhsa_enable_private_segment 0
		.amdhsa_system_sgpr_workgroup_id_x 1
		.amdhsa_system_sgpr_workgroup_id_y 0
		.amdhsa_system_sgpr_workgroup_id_z 0
		.amdhsa_system_sgpr_workgroup_info 0
		.amdhsa_system_vgpr_workitem_id 0
		.amdhsa_next_free_vgpr 1
		.amdhsa_next_free_sgpr 1
		.amdhsa_reserve_vcc 0
		.amdhsa_float_round_mode_32 0
		.amdhsa_float_round_mode_16_64 0
		.amdhsa_float_denorm_mode_32 3
		.amdhsa_float_denorm_mode_16_64 3
		.amdhsa_fp16_overflow 0
		.amdhsa_workgroup_processor_mode 1
		.amdhsa_memory_ordered 1
		.amdhsa_forward_progress 1
		.amdhsa_inst_pref_size 0
		.amdhsa_round_robin_scheduling 0
		.amdhsa_exception_fp_ieee_invalid_op 0
		.amdhsa_exception_fp_denorm_src 0
		.amdhsa_exception_fp_ieee_div_zero 0
		.amdhsa_exception_fp_ieee_overflow 0
		.amdhsa_exception_fp_ieee_underflow 0
		.amdhsa_exception_fp_ieee_inexact 0
		.amdhsa_exception_int_div_zero 0
	.end_amdhsa_kernel
	.section	.text._ZN7rocprim17ROCPRIM_400000_NS6detail17trampoline_kernelINS0_14default_configENS1_25partition_config_selectorILNS1_17partition_subalgoE5EjNS0_10empty_typeEbEEZZNS1_14partition_implILS5_5ELb0ES3_mN6thrust23THRUST_200600_302600_NS6detail15normal_iteratorINSA_10device_ptrIjEEEEPS6_NSA_18transform_iteratorINSB_9not_fun_tI7is_trueIjEEESF_NSA_11use_defaultESM_EENS0_5tupleIJSF_S6_EEENSO_IJSG_SG_EEES6_PlJS6_EEE10hipError_tPvRmT3_T4_T5_T6_T7_T9_mT8_P12ihipStream_tbDpT10_ENKUlT_T0_E_clISt17integral_constantIbLb1EES1B_EEDaS16_S17_EUlS16_E_NS1_11comp_targetILNS1_3genE8ELNS1_11target_archE1030ELNS1_3gpuE2ELNS1_3repE0EEENS1_30default_config_static_selectorELNS0_4arch9wavefront6targetE0EEEvT1_,"axG",@progbits,_ZN7rocprim17ROCPRIM_400000_NS6detail17trampoline_kernelINS0_14default_configENS1_25partition_config_selectorILNS1_17partition_subalgoE5EjNS0_10empty_typeEbEEZZNS1_14partition_implILS5_5ELb0ES3_mN6thrust23THRUST_200600_302600_NS6detail15normal_iteratorINSA_10device_ptrIjEEEEPS6_NSA_18transform_iteratorINSB_9not_fun_tI7is_trueIjEEESF_NSA_11use_defaultESM_EENS0_5tupleIJSF_S6_EEENSO_IJSG_SG_EEES6_PlJS6_EEE10hipError_tPvRmT3_T4_T5_T6_T7_T9_mT8_P12ihipStream_tbDpT10_ENKUlT_T0_E_clISt17integral_constantIbLb1EES1B_EEDaS16_S17_EUlS16_E_NS1_11comp_targetILNS1_3genE8ELNS1_11target_archE1030ELNS1_3gpuE2ELNS1_3repE0EEENS1_30default_config_static_selectorELNS0_4arch9wavefront6targetE0EEEvT1_,comdat
.Lfunc_end1416:
	.size	_ZN7rocprim17ROCPRIM_400000_NS6detail17trampoline_kernelINS0_14default_configENS1_25partition_config_selectorILNS1_17partition_subalgoE5EjNS0_10empty_typeEbEEZZNS1_14partition_implILS5_5ELb0ES3_mN6thrust23THRUST_200600_302600_NS6detail15normal_iteratorINSA_10device_ptrIjEEEEPS6_NSA_18transform_iteratorINSB_9not_fun_tI7is_trueIjEEESF_NSA_11use_defaultESM_EENS0_5tupleIJSF_S6_EEENSO_IJSG_SG_EEES6_PlJS6_EEE10hipError_tPvRmT3_T4_T5_T6_T7_T9_mT8_P12ihipStream_tbDpT10_ENKUlT_T0_E_clISt17integral_constantIbLb1EES1B_EEDaS16_S17_EUlS16_E_NS1_11comp_targetILNS1_3genE8ELNS1_11target_archE1030ELNS1_3gpuE2ELNS1_3repE0EEENS1_30default_config_static_selectorELNS0_4arch9wavefront6targetE0EEEvT1_, .Lfunc_end1416-_ZN7rocprim17ROCPRIM_400000_NS6detail17trampoline_kernelINS0_14default_configENS1_25partition_config_selectorILNS1_17partition_subalgoE5EjNS0_10empty_typeEbEEZZNS1_14partition_implILS5_5ELb0ES3_mN6thrust23THRUST_200600_302600_NS6detail15normal_iteratorINSA_10device_ptrIjEEEEPS6_NSA_18transform_iteratorINSB_9not_fun_tI7is_trueIjEEESF_NSA_11use_defaultESM_EENS0_5tupleIJSF_S6_EEENSO_IJSG_SG_EEES6_PlJS6_EEE10hipError_tPvRmT3_T4_T5_T6_T7_T9_mT8_P12ihipStream_tbDpT10_ENKUlT_T0_E_clISt17integral_constantIbLb1EES1B_EEDaS16_S17_EUlS16_E_NS1_11comp_targetILNS1_3genE8ELNS1_11target_archE1030ELNS1_3gpuE2ELNS1_3repE0EEENS1_30default_config_static_selectorELNS0_4arch9wavefront6targetE0EEEvT1_
                                        ; -- End function
	.set _ZN7rocprim17ROCPRIM_400000_NS6detail17trampoline_kernelINS0_14default_configENS1_25partition_config_selectorILNS1_17partition_subalgoE5EjNS0_10empty_typeEbEEZZNS1_14partition_implILS5_5ELb0ES3_mN6thrust23THRUST_200600_302600_NS6detail15normal_iteratorINSA_10device_ptrIjEEEEPS6_NSA_18transform_iteratorINSB_9not_fun_tI7is_trueIjEEESF_NSA_11use_defaultESM_EENS0_5tupleIJSF_S6_EEENSO_IJSG_SG_EEES6_PlJS6_EEE10hipError_tPvRmT3_T4_T5_T6_T7_T9_mT8_P12ihipStream_tbDpT10_ENKUlT_T0_E_clISt17integral_constantIbLb1EES1B_EEDaS16_S17_EUlS16_E_NS1_11comp_targetILNS1_3genE8ELNS1_11target_archE1030ELNS1_3gpuE2ELNS1_3repE0EEENS1_30default_config_static_selectorELNS0_4arch9wavefront6targetE0EEEvT1_.num_vgpr, 0
	.set _ZN7rocprim17ROCPRIM_400000_NS6detail17trampoline_kernelINS0_14default_configENS1_25partition_config_selectorILNS1_17partition_subalgoE5EjNS0_10empty_typeEbEEZZNS1_14partition_implILS5_5ELb0ES3_mN6thrust23THRUST_200600_302600_NS6detail15normal_iteratorINSA_10device_ptrIjEEEEPS6_NSA_18transform_iteratorINSB_9not_fun_tI7is_trueIjEEESF_NSA_11use_defaultESM_EENS0_5tupleIJSF_S6_EEENSO_IJSG_SG_EEES6_PlJS6_EEE10hipError_tPvRmT3_T4_T5_T6_T7_T9_mT8_P12ihipStream_tbDpT10_ENKUlT_T0_E_clISt17integral_constantIbLb1EES1B_EEDaS16_S17_EUlS16_E_NS1_11comp_targetILNS1_3genE8ELNS1_11target_archE1030ELNS1_3gpuE2ELNS1_3repE0EEENS1_30default_config_static_selectorELNS0_4arch9wavefront6targetE0EEEvT1_.num_agpr, 0
	.set _ZN7rocprim17ROCPRIM_400000_NS6detail17trampoline_kernelINS0_14default_configENS1_25partition_config_selectorILNS1_17partition_subalgoE5EjNS0_10empty_typeEbEEZZNS1_14partition_implILS5_5ELb0ES3_mN6thrust23THRUST_200600_302600_NS6detail15normal_iteratorINSA_10device_ptrIjEEEEPS6_NSA_18transform_iteratorINSB_9not_fun_tI7is_trueIjEEESF_NSA_11use_defaultESM_EENS0_5tupleIJSF_S6_EEENSO_IJSG_SG_EEES6_PlJS6_EEE10hipError_tPvRmT3_T4_T5_T6_T7_T9_mT8_P12ihipStream_tbDpT10_ENKUlT_T0_E_clISt17integral_constantIbLb1EES1B_EEDaS16_S17_EUlS16_E_NS1_11comp_targetILNS1_3genE8ELNS1_11target_archE1030ELNS1_3gpuE2ELNS1_3repE0EEENS1_30default_config_static_selectorELNS0_4arch9wavefront6targetE0EEEvT1_.numbered_sgpr, 0
	.set _ZN7rocprim17ROCPRIM_400000_NS6detail17trampoline_kernelINS0_14default_configENS1_25partition_config_selectorILNS1_17partition_subalgoE5EjNS0_10empty_typeEbEEZZNS1_14partition_implILS5_5ELb0ES3_mN6thrust23THRUST_200600_302600_NS6detail15normal_iteratorINSA_10device_ptrIjEEEEPS6_NSA_18transform_iteratorINSB_9not_fun_tI7is_trueIjEEESF_NSA_11use_defaultESM_EENS0_5tupleIJSF_S6_EEENSO_IJSG_SG_EEES6_PlJS6_EEE10hipError_tPvRmT3_T4_T5_T6_T7_T9_mT8_P12ihipStream_tbDpT10_ENKUlT_T0_E_clISt17integral_constantIbLb1EES1B_EEDaS16_S17_EUlS16_E_NS1_11comp_targetILNS1_3genE8ELNS1_11target_archE1030ELNS1_3gpuE2ELNS1_3repE0EEENS1_30default_config_static_selectorELNS0_4arch9wavefront6targetE0EEEvT1_.num_named_barrier, 0
	.set _ZN7rocprim17ROCPRIM_400000_NS6detail17trampoline_kernelINS0_14default_configENS1_25partition_config_selectorILNS1_17partition_subalgoE5EjNS0_10empty_typeEbEEZZNS1_14partition_implILS5_5ELb0ES3_mN6thrust23THRUST_200600_302600_NS6detail15normal_iteratorINSA_10device_ptrIjEEEEPS6_NSA_18transform_iteratorINSB_9not_fun_tI7is_trueIjEEESF_NSA_11use_defaultESM_EENS0_5tupleIJSF_S6_EEENSO_IJSG_SG_EEES6_PlJS6_EEE10hipError_tPvRmT3_T4_T5_T6_T7_T9_mT8_P12ihipStream_tbDpT10_ENKUlT_T0_E_clISt17integral_constantIbLb1EES1B_EEDaS16_S17_EUlS16_E_NS1_11comp_targetILNS1_3genE8ELNS1_11target_archE1030ELNS1_3gpuE2ELNS1_3repE0EEENS1_30default_config_static_selectorELNS0_4arch9wavefront6targetE0EEEvT1_.private_seg_size, 0
	.set _ZN7rocprim17ROCPRIM_400000_NS6detail17trampoline_kernelINS0_14default_configENS1_25partition_config_selectorILNS1_17partition_subalgoE5EjNS0_10empty_typeEbEEZZNS1_14partition_implILS5_5ELb0ES3_mN6thrust23THRUST_200600_302600_NS6detail15normal_iteratorINSA_10device_ptrIjEEEEPS6_NSA_18transform_iteratorINSB_9not_fun_tI7is_trueIjEEESF_NSA_11use_defaultESM_EENS0_5tupleIJSF_S6_EEENSO_IJSG_SG_EEES6_PlJS6_EEE10hipError_tPvRmT3_T4_T5_T6_T7_T9_mT8_P12ihipStream_tbDpT10_ENKUlT_T0_E_clISt17integral_constantIbLb1EES1B_EEDaS16_S17_EUlS16_E_NS1_11comp_targetILNS1_3genE8ELNS1_11target_archE1030ELNS1_3gpuE2ELNS1_3repE0EEENS1_30default_config_static_selectorELNS0_4arch9wavefront6targetE0EEEvT1_.uses_vcc, 0
	.set _ZN7rocprim17ROCPRIM_400000_NS6detail17trampoline_kernelINS0_14default_configENS1_25partition_config_selectorILNS1_17partition_subalgoE5EjNS0_10empty_typeEbEEZZNS1_14partition_implILS5_5ELb0ES3_mN6thrust23THRUST_200600_302600_NS6detail15normal_iteratorINSA_10device_ptrIjEEEEPS6_NSA_18transform_iteratorINSB_9not_fun_tI7is_trueIjEEESF_NSA_11use_defaultESM_EENS0_5tupleIJSF_S6_EEENSO_IJSG_SG_EEES6_PlJS6_EEE10hipError_tPvRmT3_T4_T5_T6_T7_T9_mT8_P12ihipStream_tbDpT10_ENKUlT_T0_E_clISt17integral_constantIbLb1EES1B_EEDaS16_S17_EUlS16_E_NS1_11comp_targetILNS1_3genE8ELNS1_11target_archE1030ELNS1_3gpuE2ELNS1_3repE0EEENS1_30default_config_static_selectorELNS0_4arch9wavefront6targetE0EEEvT1_.uses_flat_scratch, 0
	.set _ZN7rocprim17ROCPRIM_400000_NS6detail17trampoline_kernelINS0_14default_configENS1_25partition_config_selectorILNS1_17partition_subalgoE5EjNS0_10empty_typeEbEEZZNS1_14partition_implILS5_5ELb0ES3_mN6thrust23THRUST_200600_302600_NS6detail15normal_iteratorINSA_10device_ptrIjEEEEPS6_NSA_18transform_iteratorINSB_9not_fun_tI7is_trueIjEEESF_NSA_11use_defaultESM_EENS0_5tupleIJSF_S6_EEENSO_IJSG_SG_EEES6_PlJS6_EEE10hipError_tPvRmT3_T4_T5_T6_T7_T9_mT8_P12ihipStream_tbDpT10_ENKUlT_T0_E_clISt17integral_constantIbLb1EES1B_EEDaS16_S17_EUlS16_E_NS1_11comp_targetILNS1_3genE8ELNS1_11target_archE1030ELNS1_3gpuE2ELNS1_3repE0EEENS1_30default_config_static_selectorELNS0_4arch9wavefront6targetE0EEEvT1_.has_dyn_sized_stack, 0
	.set _ZN7rocprim17ROCPRIM_400000_NS6detail17trampoline_kernelINS0_14default_configENS1_25partition_config_selectorILNS1_17partition_subalgoE5EjNS0_10empty_typeEbEEZZNS1_14partition_implILS5_5ELb0ES3_mN6thrust23THRUST_200600_302600_NS6detail15normal_iteratorINSA_10device_ptrIjEEEEPS6_NSA_18transform_iteratorINSB_9not_fun_tI7is_trueIjEEESF_NSA_11use_defaultESM_EENS0_5tupleIJSF_S6_EEENSO_IJSG_SG_EEES6_PlJS6_EEE10hipError_tPvRmT3_T4_T5_T6_T7_T9_mT8_P12ihipStream_tbDpT10_ENKUlT_T0_E_clISt17integral_constantIbLb1EES1B_EEDaS16_S17_EUlS16_E_NS1_11comp_targetILNS1_3genE8ELNS1_11target_archE1030ELNS1_3gpuE2ELNS1_3repE0EEENS1_30default_config_static_selectorELNS0_4arch9wavefront6targetE0EEEvT1_.has_recursion, 0
	.set _ZN7rocprim17ROCPRIM_400000_NS6detail17trampoline_kernelINS0_14default_configENS1_25partition_config_selectorILNS1_17partition_subalgoE5EjNS0_10empty_typeEbEEZZNS1_14partition_implILS5_5ELb0ES3_mN6thrust23THRUST_200600_302600_NS6detail15normal_iteratorINSA_10device_ptrIjEEEEPS6_NSA_18transform_iteratorINSB_9not_fun_tI7is_trueIjEEESF_NSA_11use_defaultESM_EENS0_5tupleIJSF_S6_EEENSO_IJSG_SG_EEES6_PlJS6_EEE10hipError_tPvRmT3_T4_T5_T6_T7_T9_mT8_P12ihipStream_tbDpT10_ENKUlT_T0_E_clISt17integral_constantIbLb1EES1B_EEDaS16_S17_EUlS16_E_NS1_11comp_targetILNS1_3genE8ELNS1_11target_archE1030ELNS1_3gpuE2ELNS1_3repE0EEENS1_30default_config_static_selectorELNS0_4arch9wavefront6targetE0EEEvT1_.has_indirect_call, 0
	.section	.AMDGPU.csdata,"",@progbits
; Kernel info:
; codeLenInByte = 0
; TotalNumSgprs: 0
; NumVgprs: 0
; ScratchSize: 0
; MemoryBound: 0
; FloatMode: 240
; IeeeMode: 1
; LDSByteSize: 0 bytes/workgroup (compile time only)
; SGPRBlocks: 0
; VGPRBlocks: 0
; NumSGPRsForWavesPerEU: 1
; NumVGPRsForWavesPerEU: 1
; Occupancy: 16
; WaveLimiterHint : 0
; COMPUTE_PGM_RSRC2:SCRATCH_EN: 0
; COMPUTE_PGM_RSRC2:USER_SGPR: 2
; COMPUTE_PGM_RSRC2:TRAP_HANDLER: 0
; COMPUTE_PGM_RSRC2:TGID_X_EN: 1
; COMPUTE_PGM_RSRC2:TGID_Y_EN: 0
; COMPUTE_PGM_RSRC2:TGID_Z_EN: 0
; COMPUTE_PGM_RSRC2:TIDIG_COMP_CNT: 0
	.section	.text._ZN7rocprim17ROCPRIM_400000_NS6detail17trampoline_kernelINS0_14default_configENS1_25partition_config_selectorILNS1_17partition_subalgoE5EjNS0_10empty_typeEbEEZZNS1_14partition_implILS5_5ELb0ES3_mN6thrust23THRUST_200600_302600_NS6detail15normal_iteratorINSA_10device_ptrIjEEEEPS6_NSA_18transform_iteratorINSB_9not_fun_tI7is_trueIjEEESF_NSA_11use_defaultESM_EENS0_5tupleIJSF_S6_EEENSO_IJSG_SG_EEES6_PlJS6_EEE10hipError_tPvRmT3_T4_T5_T6_T7_T9_mT8_P12ihipStream_tbDpT10_ENKUlT_T0_E_clISt17integral_constantIbLb1EES1A_IbLb0EEEEDaS16_S17_EUlS16_E_NS1_11comp_targetILNS1_3genE0ELNS1_11target_archE4294967295ELNS1_3gpuE0ELNS1_3repE0EEENS1_30default_config_static_selectorELNS0_4arch9wavefront6targetE0EEEvT1_,"axG",@progbits,_ZN7rocprim17ROCPRIM_400000_NS6detail17trampoline_kernelINS0_14default_configENS1_25partition_config_selectorILNS1_17partition_subalgoE5EjNS0_10empty_typeEbEEZZNS1_14partition_implILS5_5ELb0ES3_mN6thrust23THRUST_200600_302600_NS6detail15normal_iteratorINSA_10device_ptrIjEEEEPS6_NSA_18transform_iteratorINSB_9not_fun_tI7is_trueIjEEESF_NSA_11use_defaultESM_EENS0_5tupleIJSF_S6_EEENSO_IJSG_SG_EEES6_PlJS6_EEE10hipError_tPvRmT3_T4_T5_T6_T7_T9_mT8_P12ihipStream_tbDpT10_ENKUlT_T0_E_clISt17integral_constantIbLb1EES1A_IbLb0EEEEDaS16_S17_EUlS16_E_NS1_11comp_targetILNS1_3genE0ELNS1_11target_archE4294967295ELNS1_3gpuE0ELNS1_3repE0EEENS1_30default_config_static_selectorELNS0_4arch9wavefront6targetE0EEEvT1_,comdat
	.protected	_ZN7rocprim17ROCPRIM_400000_NS6detail17trampoline_kernelINS0_14default_configENS1_25partition_config_selectorILNS1_17partition_subalgoE5EjNS0_10empty_typeEbEEZZNS1_14partition_implILS5_5ELb0ES3_mN6thrust23THRUST_200600_302600_NS6detail15normal_iteratorINSA_10device_ptrIjEEEEPS6_NSA_18transform_iteratorINSB_9not_fun_tI7is_trueIjEEESF_NSA_11use_defaultESM_EENS0_5tupleIJSF_S6_EEENSO_IJSG_SG_EEES6_PlJS6_EEE10hipError_tPvRmT3_T4_T5_T6_T7_T9_mT8_P12ihipStream_tbDpT10_ENKUlT_T0_E_clISt17integral_constantIbLb1EES1A_IbLb0EEEEDaS16_S17_EUlS16_E_NS1_11comp_targetILNS1_3genE0ELNS1_11target_archE4294967295ELNS1_3gpuE0ELNS1_3repE0EEENS1_30default_config_static_selectorELNS0_4arch9wavefront6targetE0EEEvT1_ ; -- Begin function _ZN7rocprim17ROCPRIM_400000_NS6detail17trampoline_kernelINS0_14default_configENS1_25partition_config_selectorILNS1_17partition_subalgoE5EjNS0_10empty_typeEbEEZZNS1_14partition_implILS5_5ELb0ES3_mN6thrust23THRUST_200600_302600_NS6detail15normal_iteratorINSA_10device_ptrIjEEEEPS6_NSA_18transform_iteratorINSB_9not_fun_tI7is_trueIjEEESF_NSA_11use_defaultESM_EENS0_5tupleIJSF_S6_EEENSO_IJSG_SG_EEES6_PlJS6_EEE10hipError_tPvRmT3_T4_T5_T6_T7_T9_mT8_P12ihipStream_tbDpT10_ENKUlT_T0_E_clISt17integral_constantIbLb1EES1A_IbLb0EEEEDaS16_S17_EUlS16_E_NS1_11comp_targetILNS1_3genE0ELNS1_11target_archE4294967295ELNS1_3gpuE0ELNS1_3repE0EEENS1_30default_config_static_selectorELNS0_4arch9wavefront6targetE0EEEvT1_
	.globl	_ZN7rocprim17ROCPRIM_400000_NS6detail17trampoline_kernelINS0_14default_configENS1_25partition_config_selectorILNS1_17partition_subalgoE5EjNS0_10empty_typeEbEEZZNS1_14partition_implILS5_5ELb0ES3_mN6thrust23THRUST_200600_302600_NS6detail15normal_iteratorINSA_10device_ptrIjEEEEPS6_NSA_18transform_iteratorINSB_9not_fun_tI7is_trueIjEEESF_NSA_11use_defaultESM_EENS0_5tupleIJSF_S6_EEENSO_IJSG_SG_EEES6_PlJS6_EEE10hipError_tPvRmT3_T4_T5_T6_T7_T9_mT8_P12ihipStream_tbDpT10_ENKUlT_T0_E_clISt17integral_constantIbLb1EES1A_IbLb0EEEEDaS16_S17_EUlS16_E_NS1_11comp_targetILNS1_3genE0ELNS1_11target_archE4294967295ELNS1_3gpuE0ELNS1_3repE0EEENS1_30default_config_static_selectorELNS0_4arch9wavefront6targetE0EEEvT1_
	.p2align	8
	.type	_ZN7rocprim17ROCPRIM_400000_NS6detail17trampoline_kernelINS0_14default_configENS1_25partition_config_selectorILNS1_17partition_subalgoE5EjNS0_10empty_typeEbEEZZNS1_14partition_implILS5_5ELb0ES3_mN6thrust23THRUST_200600_302600_NS6detail15normal_iteratorINSA_10device_ptrIjEEEEPS6_NSA_18transform_iteratorINSB_9not_fun_tI7is_trueIjEEESF_NSA_11use_defaultESM_EENS0_5tupleIJSF_S6_EEENSO_IJSG_SG_EEES6_PlJS6_EEE10hipError_tPvRmT3_T4_T5_T6_T7_T9_mT8_P12ihipStream_tbDpT10_ENKUlT_T0_E_clISt17integral_constantIbLb1EES1A_IbLb0EEEEDaS16_S17_EUlS16_E_NS1_11comp_targetILNS1_3genE0ELNS1_11target_archE4294967295ELNS1_3gpuE0ELNS1_3repE0EEENS1_30default_config_static_selectorELNS0_4arch9wavefront6targetE0EEEvT1_,@function
_ZN7rocprim17ROCPRIM_400000_NS6detail17trampoline_kernelINS0_14default_configENS1_25partition_config_selectorILNS1_17partition_subalgoE5EjNS0_10empty_typeEbEEZZNS1_14partition_implILS5_5ELb0ES3_mN6thrust23THRUST_200600_302600_NS6detail15normal_iteratorINSA_10device_ptrIjEEEEPS6_NSA_18transform_iteratorINSB_9not_fun_tI7is_trueIjEEESF_NSA_11use_defaultESM_EENS0_5tupleIJSF_S6_EEENSO_IJSG_SG_EEES6_PlJS6_EEE10hipError_tPvRmT3_T4_T5_T6_T7_T9_mT8_P12ihipStream_tbDpT10_ENKUlT_T0_E_clISt17integral_constantIbLb1EES1A_IbLb0EEEEDaS16_S17_EUlS16_E_NS1_11comp_targetILNS1_3genE0ELNS1_11target_archE4294967295ELNS1_3gpuE0ELNS1_3repE0EEENS1_30default_config_static_selectorELNS0_4arch9wavefront6targetE0EEEvT1_: ; @_ZN7rocprim17ROCPRIM_400000_NS6detail17trampoline_kernelINS0_14default_configENS1_25partition_config_selectorILNS1_17partition_subalgoE5EjNS0_10empty_typeEbEEZZNS1_14partition_implILS5_5ELb0ES3_mN6thrust23THRUST_200600_302600_NS6detail15normal_iteratorINSA_10device_ptrIjEEEEPS6_NSA_18transform_iteratorINSB_9not_fun_tI7is_trueIjEEESF_NSA_11use_defaultESM_EENS0_5tupleIJSF_S6_EEENSO_IJSG_SG_EEES6_PlJS6_EEE10hipError_tPvRmT3_T4_T5_T6_T7_T9_mT8_P12ihipStream_tbDpT10_ENKUlT_T0_E_clISt17integral_constantIbLb1EES1A_IbLb0EEEEDaS16_S17_EUlS16_E_NS1_11comp_targetILNS1_3genE0ELNS1_11target_archE4294967295ELNS1_3gpuE0ELNS1_3repE0EEENS1_30default_config_static_selectorELNS0_4arch9wavefront6targetE0EEEvT1_
; %bb.0:
	.section	.rodata,"a",@progbits
	.p2align	6, 0x0
	.amdhsa_kernel _ZN7rocprim17ROCPRIM_400000_NS6detail17trampoline_kernelINS0_14default_configENS1_25partition_config_selectorILNS1_17partition_subalgoE5EjNS0_10empty_typeEbEEZZNS1_14partition_implILS5_5ELb0ES3_mN6thrust23THRUST_200600_302600_NS6detail15normal_iteratorINSA_10device_ptrIjEEEEPS6_NSA_18transform_iteratorINSB_9not_fun_tI7is_trueIjEEESF_NSA_11use_defaultESM_EENS0_5tupleIJSF_S6_EEENSO_IJSG_SG_EEES6_PlJS6_EEE10hipError_tPvRmT3_T4_T5_T6_T7_T9_mT8_P12ihipStream_tbDpT10_ENKUlT_T0_E_clISt17integral_constantIbLb1EES1A_IbLb0EEEEDaS16_S17_EUlS16_E_NS1_11comp_targetILNS1_3genE0ELNS1_11target_archE4294967295ELNS1_3gpuE0ELNS1_3repE0EEENS1_30default_config_static_selectorELNS0_4arch9wavefront6targetE0EEEvT1_
		.amdhsa_group_segment_fixed_size 0
		.amdhsa_private_segment_fixed_size 0
		.amdhsa_kernarg_size 120
		.amdhsa_user_sgpr_count 2
		.amdhsa_user_sgpr_dispatch_ptr 0
		.amdhsa_user_sgpr_queue_ptr 0
		.amdhsa_user_sgpr_kernarg_segment_ptr 1
		.amdhsa_user_sgpr_dispatch_id 0
		.amdhsa_user_sgpr_private_segment_size 0
		.amdhsa_wavefront_size32 1
		.amdhsa_uses_dynamic_stack 0
		.amdhsa_enable_private_segment 0
		.amdhsa_system_sgpr_workgroup_id_x 1
		.amdhsa_system_sgpr_workgroup_id_y 0
		.amdhsa_system_sgpr_workgroup_id_z 0
		.amdhsa_system_sgpr_workgroup_info 0
		.amdhsa_system_vgpr_workitem_id 0
		.amdhsa_next_free_vgpr 1
		.amdhsa_next_free_sgpr 1
		.amdhsa_reserve_vcc 0
		.amdhsa_float_round_mode_32 0
		.amdhsa_float_round_mode_16_64 0
		.amdhsa_float_denorm_mode_32 3
		.amdhsa_float_denorm_mode_16_64 3
		.amdhsa_fp16_overflow 0
		.amdhsa_workgroup_processor_mode 1
		.amdhsa_memory_ordered 1
		.amdhsa_forward_progress 1
		.amdhsa_inst_pref_size 0
		.amdhsa_round_robin_scheduling 0
		.amdhsa_exception_fp_ieee_invalid_op 0
		.amdhsa_exception_fp_denorm_src 0
		.amdhsa_exception_fp_ieee_div_zero 0
		.amdhsa_exception_fp_ieee_overflow 0
		.amdhsa_exception_fp_ieee_underflow 0
		.amdhsa_exception_fp_ieee_inexact 0
		.amdhsa_exception_int_div_zero 0
	.end_amdhsa_kernel
	.section	.text._ZN7rocprim17ROCPRIM_400000_NS6detail17trampoline_kernelINS0_14default_configENS1_25partition_config_selectorILNS1_17partition_subalgoE5EjNS0_10empty_typeEbEEZZNS1_14partition_implILS5_5ELb0ES3_mN6thrust23THRUST_200600_302600_NS6detail15normal_iteratorINSA_10device_ptrIjEEEEPS6_NSA_18transform_iteratorINSB_9not_fun_tI7is_trueIjEEESF_NSA_11use_defaultESM_EENS0_5tupleIJSF_S6_EEENSO_IJSG_SG_EEES6_PlJS6_EEE10hipError_tPvRmT3_T4_T5_T6_T7_T9_mT8_P12ihipStream_tbDpT10_ENKUlT_T0_E_clISt17integral_constantIbLb1EES1A_IbLb0EEEEDaS16_S17_EUlS16_E_NS1_11comp_targetILNS1_3genE0ELNS1_11target_archE4294967295ELNS1_3gpuE0ELNS1_3repE0EEENS1_30default_config_static_selectorELNS0_4arch9wavefront6targetE0EEEvT1_,"axG",@progbits,_ZN7rocprim17ROCPRIM_400000_NS6detail17trampoline_kernelINS0_14default_configENS1_25partition_config_selectorILNS1_17partition_subalgoE5EjNS0_10empty_typeEbEEZZNS1_14partition_implILS5_5ELb0ES3_mN6thrust23THRUST_200600_302600_NS6detail15normal_iteratorINSA_10device_ptrIjEEEEPS6_NSA_18transform_iteratorINSB_9not_fun_tI7is_trueIjEEESF_NSA_11use_defaultESM_EENS0_5tupleIJSF_S6_EEENSO_IJSG_SG_EEES6_PlJS6_EEE10hipError_tPvRmT3_T4_T5_T6_T7_T9_mT8_P12ihipStream_tbDpT10_ENKUlT_T0_E_clISt17integral_constantIbLb1EES1A_IbLb0EEEEDaS16_S17_EUlS16_E_NS1_11comp_targetILNS1_3genE0ELNS1_11target_archE4294967295ELNS1_3gpuE0ELNS1_3repE0EEENS1_30default_config_static_selectorELNS0_4arch9wavefront6targetE0EEEvT1_,comdat
.Lfunc_end1417:
	.size	_ZN7rocprim17ROCPRIM_400000_NS6detail17trampoline_kernelINS0_14default_configENS1_25partition_config_selectorILNS1_17partition_subalgoE5EjNS0_10empty_typeEbEEZZNS1_14partition_implILS5_5ELb0ES3_mN6thrust23THRUST_200600_302600_NS6detail15normal_iteratorINSA_10device_ptrIjEEEEPS6_NSA_18transform_iteratorINSB_9not_fun_tI7is_trueIjEEESF_NSA_11use_defaultESM_EENS0_5tupleIJSF_S6_EEENSO_IJSG_SG_EEES6_PlJS6_EEE10hipError_tPvRmT3_T4_T5_T6_T7_T9_mT8_P12ihipStream_tbDpT10_ENKUlT_T0_E_clISt17integral_constantIbLb1EES1A_IbLb0EEEEDaS16_S17_EUlS16_E_NS1_11comp_targetILNS1_3genE0ELNS1_11target_archE4294967295ELNS1_3gpuE0ELNS1_3repE0EEENS1_30default_config_static_selectorELNS0_4arch9wavefront6targetE0EEEvT1_, .Lfunc_end1417-_ZN7rocprim17ROCPRIM_400000_NS6detail17trampoline_kernelINS0_14default_configENS1_25partition_config_selectorILNS1_17partition_subalgoE5EjNS0_10empty_typeEbEEZZNS1_14partition_implILS5_5ELb0ES3_mN6thrust23THRUST_200600_302600_NS6detail15normal_iteratorINSA_10device_ptrIjEEEEPS6_NSA_18transform_iteratorINSB_9not_fun_tI7is_trueIjEEESF_NSA_11use_defaultESM_EENS0_5tupleIJSF_S6_EEENSO_IJSG_SG_EEES6_PlJS6_EEE10hipError_tPvRmT3_T4_T5_T6_T7_T9_mT8_P12ihipStream_tbDpT10_ENKUlT_T0_E_clISt17integral_constantIbLb1EES1A_IbLb0EEEEDaS16_S17_EUlS16_E_NS1_11comp_targetILNS1_3genE0ELNS1_11target_archE4294967295ELNS1_3gpuE0ELNS1_3repE0EEENS1_30default_config_static_selectorELNS0_4arch9wavefront6targetE0EEEvT1_
                                        ; -- End function
	.set _ZN7rocprim17ROCPRIM_400000_NS6detail17trampoline_kernelINS0_14default_configENS1_25partition_config_selectorILNS1_17partition_subalgoE5EjNS0_10empty_typeEbEEZZNS1_14partition_implILS5_5ELb0ES3_mN6thrust23THRUST_200600_302600_NS6detail15normal_iteratorINSA_10device_ptrIjEEEEPS6_NSA_18transform_iteratorINSB_9not_fun_tI7is_trueIjEEESF_NSA_11use_defaultESM_EENS0_5tupleIJSF_S6_EEENSO_IJSG_SG_EEES6_PlJS6_EEE10hipError_tPvRmT3_T4_T5_T6_T7_T9_mT8_P12ihipStream_tbDpT10_ENKUlT_T0_E_clISt17integral_constantIbLb1EES1A_IbLb0EEEEDaS16_S17_EUlS16_E_NS1_11comp_targetILNS1_3genE0ELNS1_11target_archE4294967295ELNS1_3gpuE0ELNS1_3repE0EEENS1_30default_config_static_selectorELNS0_4arch9wavefront6targetE0EEEvT1_.num_vgpr, 0
	.set _ZN7rocprim17ROCPRIM_400000_NS6detail17trampoline_kernelINS0_14default_configENS1_25partition_config_selectorILNS1_17partition_subalgoE5EjNS0_10empty_typeEbEEZZNS1_14partition_implILS5_5ELb0ES3_mN6thrust23THRUST_200600_302600_NS6detail15normal_iteratorINSA_10device_ptrIjEEEEPS6_NSA_18transform_iteratorINSB_9not_fun_tI7is_trueIjEEESF_NSA_11use_defaultESM_EENS0_5tupleIJSF_S6_EEENSO_IJSG_SG_EEES6_PlJS6_EEE10hipError_tPvRmT3_T4_T5_T6_T7_T9_mT8_P12ihipStream_tbDpT10_ENKUlT_T0_E_clISt17integral_constantIbLb1EES1A_IbLb0EEEEDaS16_S17_EUlS16_E_NS1_11comp_targetILNS1_3genE0ELNS1_11target_archE4294967295ELNS1_3gpuE0ELNS1_3repE0EEENS1_30default_config_static_selectorELNS0_4arch9wavefront6targetE0EEEvT1_.num_agpr, 0
	.set _ZN7rocprim17ROCPRIM_400000_NS6detail17trampoline_kernelINS0_14default_configENS1_25partition_config_selectorILNS1_17partition_subalgoE5EjNS0_10empty_typeEbEEZZNS1_14partition_implILS5_5ELb0ES3_mN6thrust23THRUST_200600_302600_NS6detail15normal_iteratorINSA_10device_ptrIjEEEEPS6_NSA_18transform_iteratorINSB_9not_fun_tI7is_trueIjEEESF_NSA_11use_defaultESM_EENS0_5tupleIJSF_S6_EEENSO_IJSG_SG_EEES6_PlJS6_EEE10hipError_tPvRmT3_T4_T5_T6_T7_T9_mT8_P12ihipStream_tbDpT10_ENKUlT_T0_E_clISt17integral_constantIbLb1EES1A_IbLb0EEEEDaS16_S17_EUlS16_E_NS1_11comp_targetILNS1_3genE0ELNS1_11target_archE4294967295ELNS1_3gpuE0ELNS1_3repE0EEENS1_30default_config_static_selectorELNS0_4arch9wavefront6targetE0EEEvT1_.numbered_sgpr, 0
	.set _ZN7rocprim17ROCPRIM_400000_NS6detail17trampoline_kernelINS0_14default_configENS1_25partition_config_selectorILNS1_17partition_subalgoE5EjNS0_10empty_typeEbEEZZNS1_14partition_implILS5_5ELb0ES3_mN6thrust23THRUST_200600_302600_NS6detail15normal_iteratorINSA_10device_ptrIjEEEEPS6_NSA_18transform_iteratorINSB_9not_fun_tI7is_trueIjEEESF_NSA_11use_defaultESM_EENS0_5tupleIJSF_S6_EEENSO_IJSG_SG_EEES6_PlJS6_EEE10hipError_tPvRmT3_T4_T5_T6_T7_T9_mT8_P12ihipStream_tbDpT10_ENKUlT_T0_E_clISt17integral_constantIbLb1EES1A_IbLb0EEEEDaS16_S17_EUlS16_E_NS1_11comp_targetILNS1_3genE0ELNS1_11target_archE4294967295ELNS1_3gpuE0ELNS1_3repE0EEENS1_30default_config_static_selectorELNS0_4arch9wavefront6targetE0EEEvT1_.num_named_barrier, 0
	.set _ZN7rocprim17ROCPRIM_400000_NS6detail17trampoline_kernelINS0_14default_configENS1_25partition_config_selectorILNS1_17partition_subalgoE5EjNS0_10empty_typeEbEEZZNS1_14partition_implILS5_5ELb0ES3_mN6thrust23THRUST_200600_302600_NS6detail15normal_iteratorINSA_10device_ptrIjEEEEPS6_NSA_18transform_iteratorINSB_9not_fun_tI7is_trueIjEEESF_NSA_11use_defaultESM_EENS0_5tupleIJSF_S6_EEENSO_IJSG_SG_EEES6_PlJS6_EEE10hipError_tPvRmT3_T4_T5_T6_T7_T9_mT8_P12ihipStream_tbDpT10_ENKUlT_T0_E_clISt17integral_constantIbLb1EES1A_IbLb0EEEEDaS16_S17_EUlS16_E_NS1_11comp_targetILNS1_3genE0ELNS1_11target_archE4294967295ELNS1_3gpuE0ELNS1_3repE0EEENS1_30default_config_static_selectorELNS0_4arch9wavefront6targetE0EEEvT1_.private_seg_size, 0
	.set _ZN7rocprim17ROCPRIM_400000_NS6detail17trampoline_kernelINS0_14default_configENS1_25partition_config_selectorILNS1_17partition_subalgoE5EjNS0_10empty_typeEbEEZZNS1_14partition_implILS5_5ELb0ES3_mN6thrust23THRUST_200600_302600_NS6detail15normal_iteratorINSA_10device_ptrIjEEEEPS6_NSA_18transform_iteratorINSB_9not_fun_tI7is_trueIjEEESF_NSA_11use_defaultESM_EENS0_5tupleIJSF_S6_EEENSO_IJSG_SG_EEES6_PlJS6_EEE10hipError_tPvRmT3_T4_T5_T6_T7_T9_mT8_P12ihipStream_tbDpT10_ENKUlT_T0_E_clISt17integral_constantIbLb1EES1A_IbLb0EEEEDaS16_S17_EUlS16_E_NS1_11comp_targetILNS1_3genE0ELNS1_11target_archE4294967295ELNS1_3gpuE0ELNS1_3repE0EEENS1_30default_config_static_selectorELNS0_4arch9wavefront6targetE0EEEvT1_.uses_vcc, 0
	.set _ZN7rocprim17ROCPRIM_400000_NS6detail17trampoline_kernelINS0_14default_configENS1_25partition_config_selectorILNS1_17partition_subalgoE5EjNS0_10empty_typeEbEEZZNS1_14partition_implILS5_5ELb0ES3_mN6thrust23THRUST_200600_302600_NS6detail15normal_iteratorINSA_10device_ptrIjEEEEPS6_NSA_18transform_iteratorINSB_9not_fun_tI7is_trueIjEEESF_NSA_11use_defaultESM_EENS0_5tupleIJSF_S6_EEENSO_IJSG_SG_EEES6_PlJS6_EEE10hipError_tPvRmT3_T4_T5_T6_T7_T9_mT8_P12ihipStream_tbDpT10_ENKUlT_T0_E_clISt17integral_constantIbLb1EES1A_IbLb0EEEEDaS16_S17_EUlS16_E_NS1_11comp_targetILNS1_3genE0ELNS1_11target_archE4294967295ELNS1_3gpuE0ELNS1_3repE0EEENS1_30default_config_static_selectorELNS0_4arch9wavefront6targetE0EEEvT1_.uses_flat_scratch, 0
	.set _ZN7rocprim17ROCPRIM_400000_NS6detail17trampoline_kernelINS0_14default_configENS1_25partition_config_selectorILNS1_17partition_subalgoE5EjNS0_10empty_typeEbEEZZNS1_14partition_implILS5_5ELb0ES3_mN6thrust23THRUST_200600_302600_NS6detail15normal_iteratorINSA_10device_ptrIjEEEEPS6_NSA_18transform_iteratorINSB_9not_fun_tI7is_trueIjEEESF_NSA_11use_defaultESM_EENS0_5tupleIJSF_S6_EEENSO_IJSG_SG_EEES6_PlJS6_EEE10hipError_tPvRmT3_T4_T5_T6_T7_T9_mT8_P12ihipStream_tbDpT10_ENKUlT_T0_E_clISt17integral_constantIbLb1EES1A_IbLb0EEEEDaS16_S17_EUlS16_E_NS1_11comp_targetILNS1_3genE0ELNS1_11target_archE4294967295ELNS1_3gpuE0ELNS1_3repE0EEENS1_30default_config_static_selectorELNS0_4arch9wavefront6targetE0EEEvT1_.has_dyn_sized_stack, 0
	.set _ZN7rocprim17ROCPRIM_400000_NS6detail17trampoline_kernelINS0_14default_configENS1_25partition_config_selectorILNS1_17partition_subalgoE5EjNS0_10empty_typeEbEEZZNS1_14partition_implILS5_5ELb0ES3_mN6thrust23THRUST_200600_302600_NS6detail15normal_iteratorINSA_10device_ptrIjEEEEPS6_NSA_18transform_iteratorINSB_9not_fun_tI7is_trueIjEEESF_NSA_11use_defaultESM_EENS0_5tupleIJSF_S6_EEENSO_IJSG_SG_EEES6_PlJS6_EEE10hipError_tPvRmT3_T4_T5_T6_T7_T9_mT8_P12ihipStream_tbDpT10_ENKUlT_T0_E_clISt17integral_constantIbLb1EES1A_IbLb0EEEEDaS16_S17_EUlS16_E_NS1_11comp_targetILNS1_3genE0ELNS1_11target_archE4294967295ELNS1_3gpuE0ELNS1_3repE0EEENS1_30default_config_static_selectorELNS0_4arch9wavefront6targetE0EEEvT1_.has_recursion, 0
	.set _ZN7rocprim17ROCPRIM_400000_NS6detail17trampoline_kernelINS0_14default_configENS1_25partition_config_selectorILNS1_17partition_subalgoE5EjNS0_10empty_typeEbEEZZNS1_14partition_implILS5_5ELb0ES3_mN6thrust23THRUST_200600_302600_NS6detail15normal_iteratorINSA_10device_ptrIjEEEEPS6_NSA_18transform_iteratorINSB_9not_fun_tI7is_trueIjEEESF_NSA_11use_defaultESM_EENS0_5tupleIJSF_S6_EEENSO_IJSG_SG_EEES6_PlJS6_EEE10hipError_tPvRmT3_T4_T5_T6_T7_T9_mT8_P12ihipStream_tbDpT10_ENKUlT_T0_E_clISt17integral_constantIbLb1EES1A_IbLb0EEEEDaS16_S17_EUlS16_E_NS1_11comp_targetILNS1_3genE0ELNS1_11target_archE4294967295ELNS1_3gpuE0ELNS1_3repE0EEENS1_30default_config_static_selectorELNS0_4arch9wavefront6targetE0EEEvT1_.has_indirect_call, 0
	.section	.AMDGPU.csdata,"",@progbits
; Kernel info:
; codeLenInByte = 0
; TotalNumSgprs: 0
; NumVgprs: 0
; ScratchSize: 0
; MemoryBound: 0
; FloatMode: 240
; IeeeMode: 1
; LDSByteSize: 0 bytes/workgroup (compile time only)
; SGPRBlocks: 0
; VGPRBlocks: 0
; NumSGPRsForWavesPerEU: 1
; NumVGPRsForWavesPerEU: 1
; Occupancy: 16
; WaveLimiterHint : 0
; COMPUTE_PGM_RSRC2:SCRATCH_EN: 0
; COMPUTE_PGM_RSRC2:USER_SGPR: 2
; COMPUTE_PGM_RSRC2:TRAP_HANDLER: 0
; COMPUTE_PGM_RSRC2:TGID_X_EN: 1
; COMPUTE_PGM_RSRC2:TGID_Y_EN: 0
; COMPUTE_PGM_RSRC2:TGID_Z_EN: 0
; COMPUTE_PGM_RSRC2:TIDIG_COMP_CNT: 0
	.section	.text._ZN7rocprim17ROCPRIM_400000_NS6detail17trampoline_kernelINS0_14default_configENS1_25partition_config_selectorILNS1_17partition_subalgoE5EjNS0_10empty_typeEbEEZZNS1_14partition_implILS5_5ELb0ES3_mN6thrust23THRUST_200600_302600_NS6detail15normal_iteratorINSA_10device_ptrIjEEEEPS6_NSA_18transform_iteratorINSB_9not_fun_tI7is_trueIjEEESF_NSA_11use_defaultESM_EENS0_5tupleIJSF_S6_EEENSO_IJSG_SG_EEES6_PlJS6_EEE10hipError_tPvRmT3_T4_T5_T6_T7_T9_mT8_P12ihipStream_tbDpT10_ENKUlT_T0_E_clISt17integral_constantIbLb1EES1A_IbLb0EEEEDaS16_S17_EUlS16_E_NS1_11comp_targetILNS1_3genE5ELNS1_11target_archE942ELNS1_3gpuE9ELNS1_3repE0EEENS1_30default_config_static_selectorELNS0_4arch9wavefront6targetE0EEEvT1_,"axG",@progbits,_ZN7rocprim17ROCPRIM_400000_NS6detail17trampoline_kernelINS0_14default_configENS1_25partition_config_selectorILNS1_17partition_subalgoE5EjNS0_10empty_typeEbEEZZNS1_14partition_implILS5_5ELb0ES3_mN6thrust23THRUST_200600_302600_NS6detail15normal_iteratorINSA_10device_ptrIjEEEEPS6_NSA_18transform_iteratorINSB_9not_fun_tI7is_trueIjEEESF_NSA_11use_defaultESM_EENS0_5tupleIJSF_S6_EEENSO_IJSG_SG_EEES6_PlJS6_EEE10hipError_tPvRmT3_T4_T5_T6_T7_T9_mT8_P12ihipStream_tbDpT10_ENKUlT_T0_E_clISt17integral_constantIbLb1EES1A_IbLb0EEEEDaS16_S17_EUlS16_E_NS1_11comp_targetILNS1_3genE5ELNS1_11target_archE942ELNS1_3gpuE9ELNS1_3repE0EEENS1_30default_config_static_selectorELNS0_4arch9wavefront6targetE0EEEvT1_,comdat
	.protected	_ZN7rocprim17ROCPRIM_400000_NS6detail17trampoline_kernelINS0_14default_configENS1_25partition_config_selectorILNS1_17partition_subalgoE5EjNS0_10empty_typeEbEEZZNS1_14partition_implILS5_5ELb0ES3_mN6thrust23THRUST_200600_302600_NS6detail15normal_iteratorINSA_10device_ptrIjEEEEPS6_NSA_18transform_iteratorINSB_9not_fun_tI7is_trueIjEEESF_NSA_11use_defaultESM_EENS0_5tupleIJSF_S6_EEENSO_IJSG_SG_EEES6_PlJS6_EEE10hipError_tPvRmT3_T4_T5_T6_T7_T9_mT8_P12ihipStream_tbDpT10_ENKUlT_T0_E_clISt17integral_constantIbLb1EES1A_IbLb0EEEEDaS16_S17_EUlS16_E_NS1_11comp_targetILNS1_3genE5ELNS1_11target_archE942ELNS1_3gpuE9ELNS1_3repE0EEENS1_30default_config_static_selectorELNS0_4arch9wavefront6targetE0EEEvT1_ ; -- Begin function _ZN7rocprim17ROCPRIM_400000_NS6detail17trampoline_kernelINS0_14default_configENS1_25partition_config_selectorILNS1_17partition_subalgoE5EjNS0_10empty_typeEbEEZZNS1_14partition_implILS5_5ELb0ES3_mN6thrust23THRUST_200600_302600_NS6detail15normal_iteratorINSA_10device_ptrIjEEEEPS6_NSA_18transform_iteratorINSB_9not_fun_tI7is_trueIjEEESF_NSA_11use_defaultESM_EENS0_5tupleIJSF_S6_EEENSO_IJSG_SG_EEES6_PlJS6_EEE10hipError_tPvRmT3_T4_T5_T6_T7_T9_mT8_P12ihipStream_tbDpT10_ENKUlT_T0_E_clISt17integral_constantIbLb1EES1A_IbLb0EEEEDaS16_S17_EUlS16_E_NS1_11comp_targetILNS1_3genE5ELNS1_11target_archE942ELNS1_3gpuE9ELNS1_3repE0EEENS1_30default_config_static_selectorELNS0_4arch9wavefront6targetE0EEEvT1_
	.globl	_ZN7rocprim17ROCPRIM_400000_NS6detail17trampoline_kernelINS0_14default_configENS1_25partition_config_selectorILNS1_17partition_subalgoE5EjNS0_10empty_typeEbEEZZNS1_14partition_implILS5_5ELb0ES3_mN6thrust23THRUST_200600_302600_NS6detail15normal_iteratorINSA_10device_ptrIjEEEEPS6_NSA_18transform_iteratorINSB_9not_fun_tI7is_trueIjEEESF_NSA_11use_defaultESM_EENS0_5tupleIJSF_S6_EEENSO_IJSG_SG_EEES6_PlJS6_EEE10hipError_tPvRmT3_T4_T5_T6_T7_T9_mT8_P12ihipStream_tbDpT10_ENKUlT_T0_E_clISt17integral_constantIbLb1EES1A_IbLb0EEEEDaS16_S17_EUlS16_E_NS1_11comp_targetILNS1_3genE5ELNS1_11target_archE942ELNS1_3gpuE9ELNS1_3repE0EEENS1_30default_config_static_selectorELNS0_4arch9wavefront6targetE0EEEvT1_
	.p2align	8
	.type	_ZN7rocprim17ROCPRIM_400000_NS6detail17trampoline_kernelINS0_14default_configENS1_25partition_config_selectorILNS1_17partition_subalgoE5EjNS0_10empty_typeEbEEZZNS1_14partition_implILS5_5ELb0ES3_mN6thrust23THRUST_200600_302600_NS6detail15normal_iteratorINSA_10device_ptrIjEEEEPS6_NSA_18transform_iteratorINSB_9not_fun_tI7is_trueIjEEESF_NSA_11use_defaultESM_EENS0_5tupleIJSF_S6_EEENSO_IJSG_SG_EEES6_PlJS6_EEE10hipError_tPvRmT3_T4_T5_T6_T7_T9_mT8_P12ihipStream_tbDpT10_ENKUlT_T0_E_clISt17integral_constantIbLb1EES1A_IbLb0EEEEDaS16_S17_EUlS16_E_NS1_11comp_targetILNS1_3genE5ELNS1_11target_archE942ELNS1_3gpuE9ELNS1_3repE0EEENS1_30default_config_static_selectorELNS0_4arch9wavefront6targetE0EEEvT1_,@function
_ZN7rocprim17ROCPRIM_400000_NS6detail17trampoline_kernelINS0_14default_configENS1_25partition_config_selectorILNS1_17partition_subalgoE5EjNS0_10empty_typeEbEEZZNS1_14partition_implILS5_5ELb0ES3_mN6thrust23THRUST_200600_302600_NS6detail15normal_iteratorINSA_10device_ptrIjEEEEPS6_NSA_18transform_iteratorINSB_9not_fun_tI7is_trueIjEEESF_NSA_11use_defaultESM_EENS0_5tupleIJSF_S6_EEENSO_IJSG_SG_EEES6_PlJS6_EEE10hipError_tPvRmT3_T4_T5_T6_T7_T9_mT8_P12ihipStream_tbDpT10_ENKUlT_T0_E_clISt17integral_constantIbLb1EES1A_IbLb0EEEEDaS16_S17_EUlS16_E_NS1_11comp_targetILNS1_3genE5ELNS1_11target_archE942ELNS1_3gpuE9ELNS1_3repE0EEENS1_30default_config_static_selectorELNS0_4arch9wavefront6targetE0EEEvT1_: ; @_ZN7rocprim17ROCPRIM_400000_NS6detail17trampoline_kernelINS0_14default_configENS1_25partition_config_selectorILNS1_17partition_subalgoE5EjNS0_10empty_typeEbEEZZNS1_14partition_implILS5_5ELb0ES3_mN6thrust23THRUST_200600_302600_NS6detail15normal_iteratorINSA_10device_ptrIjEEEEPS6_NSA_18transform_iteratorINSB_9not_fun_tI7is_trueIjEEESF_NSA_11use_defaultESM_EENS0_5tupleIJSF_S6_EEENSO_IJSG_SG_EEES6_PlJS6_EEE10hipError_tPvRmT3_T4_T5_T6_T7_T9_mT8_P12ihipStream_tbDpT10_ENKUlT_T0_E_clISt17integral_constantIbLb1EES1A_IbLb0EEEEDaS16_S17_EUlS16_E_NS1_11comp_targetILNS1_3genE5ELNS1_11target_archE942ELNS1_3gpuE9ELNS1_3repE0EEENS1_30default_config_static_selectorELNS0_4arch9wavefront6targetE0EEEvT1_
; %bb.0:
	.section	.rodata,"a",@progbits
	.p2align	6, 0x0
	.amdhsa_kernel _ZN7rocprim17ROCPRIM_400000_NS6detail17trampoline_kernelINS0_14default_configENS1_25partition_config_selectorILNS1_17partition_subalgoE5EjNS0_10empty_typeEbEEZZNS1_14partition_implILS5_5ELb0ES3_mN6thrust23THRUST_200600_302600_NS6detail15normal_iteratorINSA_10device_ptrIjEEEEPS6_NSA_18transform_iteratorINSB_9not_fun_tI7is_trueIjEEESF_NSA_11use_defaultESM_EENS0_5tupleIJSF_S6_EEENSO_IJSG_SG_EEES6_PlJS6_EEE10hipError_tPvRmT3_T4_T5_T6_T7_T9_mT8_P12ihipStream_tbDpT10_ENKUlT_T0_E_clISt17integral_constantIbLb1EES1A_IbLb0EEEEDaS16_S17_EUlS16_E_NS1_11comp_targetILNS1_3genE5ELNS1_11target_archE942ELNS1_3gpuE9ELNS1_3repE0EEENS1_30default_config_static_selectorELNS0_4arch9wavefront6targetE0EEEvT1_
		.amdhsa_group_segment_fixed_size 0
		.amdhsa_private_segment_fixed_size 0
		.amdhsa_kernarg_size 120
		.amdhsa_user_sgpr_count 2
		.amdhsa_user_sgpr_dispatch_ptr 0
		.amdhsa_user_sgpr_queue_ptr 0
		.amdhsa_user_sgpr_kernarg_segment_ptr 1
		.amdhsa_user_sgpr_dispatch_id 0
		.amdhsa_user_sgpr_private_segment_size 0
		.amdhsa_wavefront_size32 1
		.amdhsa_uses_dynamic_stack 0
		.amdhsa_enable_private_segment 0
		.amdhsa_system_sgpr_workgroup_id_x 1
		.amdhsa_system_sgpr_workgroup_id_y 0
		.amdhsa_system_sgpr_workgroup_id_z 0
		.amdhsa_system_sgpr_workgroup_info 0
		.amdhsa_system_vgpr_workitem_id 0
		.amdhsa_next_free_vgpr 1
		.amdhsa_next_free_sgpr 1
		.amdhsa_reserve_vcc 0
		.amdhsa_float_round_mode_32 0
		.amdhsa_float_round_mode_16_64 0
		.amdhsa_float_denorm_mode_32 3
		.amdhsa_float_denorm_mode_16_64 3
		.amdhsa_fp16_overflow 0
		.amdhsa_workgroup_processor_mode 1
		.amdhsa_memory_ordered 1
		.amdhsa_forward_progress 1
		.amdhsa_inst_pref_size 0
		.amdhsa_round_robin_scheduling 0
		.amdhsa_exception_fp_ieee_invalid_op 0
		.amdhsa_exception_fp_denorm_src 0
		.amdhsa_exception_fp_ieee_div_zero 0
		.amdhsa_exception_fp_ieee_overflow 0
		.amdhsa_exception_fp_ieee_underflow 0
		.amdhsa_exception_fp_ieee_inexact 0
		.amdhsa_exception_int_div_zero 0
	.end_amdhsa_kernel
	.section	.text._ZN7rocprim17ROCPRIM_400000_NS6detail17trampoline_kernelINS0_14default_configENS1_25partition_config_selectorILNS1_17partition_subalgoE5EjNS0_10empty_typeEbEEZZNS1_14partition_implILS5_5ELb0ES3_mN6thrust23THRUST_200600_302600_NS6detail15normal_iteratorINSA_10device_ptrIjEEEEPS6_NSA_18transform_iteratorINSB_9not_fun_tI7is_trueIjEEESF_NSA_11use_defaultESM_EENS0_5tupleIJSF_S6_EEENSO_IJSG_SG_EEES6_PlJS6_EEE10hipError_tPvRmT3_T4_T5_T6_T7_T9_mT8_P12ihipStream_tbDpT10_ENKUlT_T0_E_clISt17integral_constantIbLb1EES1A_IbLb0EEEEDaS16_S17_EUlS16_E_NS1_11comp_targetILNS1_3genE5ELNS1_11target_archE942ELNS1_3gpuE9ELNS1_3repE0EEENS1_30default_config_static_selectorELNS0_4arch9wavefront6targetE0EEEvT1_,"axG",@progbits,_ZN7rocprim17ROCPRIM_400000_NS6detail17trampoline_kernelINS0_14default_configENS1_25partition_config_selectorILNS1_17partition_subalgoE5EjNS0_10empty_typeEbEEZZNS1_14partition_implILS5_5ELb0ES3_mN6thrust23THRUST_200600_302600_NS6detail15normal_iteratorINSA_10device_ptrIjEEEEPS6_NSA_18transform_iteratorINSB_9not_fun_tI7is_trueIjEEESF_NSA_11use_defaultESM_EENS0_5tupleIJSF_S6_EEENSO_IJSG_SG_EEES6_PlJS6_EEE10hipError_tPvRmT3_T4_T5_T6_T7_T9_mT8_P12ihipStream_tbDpT10_ENKUlT_T0_E_clISt17integral_constantIbLb1EES1A_IbLb0EEEEDaS16_S17_EUlS16_E_NS1_11comp_targetILNS1_3genE5ELNS1_11target_archE942ELNS1_3gpuE9ELNS1_3repE0EEENS1_30default_config_static_selectorELNS0_4arch9wavefront6targetE0EEEvT1_,comdat
.Lfunc_end1418:
	.size	_ZN7rocprim17ROCPRIM_400000_NS6detail17trampoline_kernelINS0_14default_configENS1_25partition_config_selectorILNS1_17partition_subalgoE5EjNS0_10empty_typeEbEEZZNS1_14partition_implILS5_5ELb0ES3_mN6thrust23THRUST_200600_302600_NS6detail15normal_iteratorINSA_10device_ptrIjEEEEPS6_NSA_18transform_iteratorINSB_9not_fun_tI7is_trueIjEEESF_NSA_11use_defaultESM_EENS0_5tupleIJSF_S6_EEENSO_IJSG_SG_EEES6_PlJS6_EEE10hipError_tPvRmT3_T4_T5_T6_T7_T9_mT8_P12ihipStream_tbDpT10_ENKUlT_T0_E_clISt17integral_constantIbLb1EES1A_IbLb0EEEEDaS16_S17_EUlS16_E_NS1_11comp_targetILNS1_3genE5ELNS1_11target_archE942ELNS1_3gpuE9ELNS1_3repE0EEENS1_30default_config_static_selectorELNS0_4arch9wavefront6targetE0EEEvT1_, .Lfunc_end1418-_ZN7rocprim17ROCPRIM_400000_NS6detail17trampoline_kernelINS0_14default_configENS1_25partition_config_selectorILNS1_17partition_subalgoE5EjNS0_10empty_typeEbEEZZNS1_14partition_implILS5_5ELb0ES3_mN6thrust23THRUST_200600_302600_NS6detail15normal_iteratorINSA_10device_ptrIjEEEEPS6_NSA_18transform_iteratorINSB_9not_fun_tI7is_trueIjEEESF_NSA_11use_defaultESM_EENS0_5tupleIJSF_S6_EEENSO_IJSG_SG_EEES6_PlJS6_EEE10hipError_tPvRmT3_T4_T5_T6_T7_T9_mT8_P12ihipStream_tbDpT10_ENKUlT_T0_E_clISt17integral_constantIbLb1EES1A_IbLb0EEEEDaS16_S17_EUlS16_E_NS1_11comp_targetILNS1_3genE5ELNS1_11target_archE942ELNS1_3gpuE9ELNS1_3repE0EEENS1_30default_config_static_selectorELNS0_4arch9wavefront6targetE0EEEvT1_
                                        ; -- End function
	.set _ZN7rocprim17ROCPRIM_400000_NS6detail17trampoline_kernelINS0_14default_configENS1_25partition_config_selectorILNS1_17partition_subalgoE5EjNS0_10empty_typeEbEEZZNS1_14partition_implILS5_5ELb0ES3_mN6thrust23THRUST_200600_302600_NS6detail15normal_iteratorINSA_10device_ptrIjEEEEPS6_NSA_18transform_iteratorINSB_9not_fun_tI7is_trueIjEEESF_NSA_11use_defaultESM_EENS0_5tupleIJSF_S6_EEENSO_IJSG_SG_EEES6_PlJS6_EEE10hipError_tPvRmT3_T4_T5_T6_T7_T9_mT8_P12ihipStream_tbDpT10_ENKUlT_T0_E_clISt17integral_constantIbLb1EES1A_IbLb0EEEEDaS16_S17_EUlS16_E_NS1_11comp_targetILNS1_3genE5ELNS1_11target_archE942ELNS1_3gpuE9ELNS1_3repE0EEENS1_30default_config_static_selectorELNS0_4arch9wavefront6targetE0EEEvT1_.num_vgpr, 0
	.set _ZN7rocprim17ROCPRIM_400000_NS6detail17trampoline_kernelINS0_14default_configENS1_25partition_config_selectorILNS1_17partition_subalgoE5EjNS0_10empty_typeEbEEZZNS1_14partition_implILS5_5ELb0ES3_mN6thrust23THRUST_200600_302600_NS6detail15normal_iteratorINSA_10device_ptrIjEEEEPS6_NSA_18transform_iteratorINSB_9not_fun_tI7is_trueIjEEESF_NSA_11use_defaultESM_EENS0_5tupleIJSF_S6_EEENSO_IJSG_SG_EEES6_PlJS6_EEE10hipError_tPvRmT3_T4_T5_T6_T7_T9_mT8_P12ihipStream_tbDpT10_ENKUlT_T0_E_clISt17integral_constantIbLb1EES1A_IbLb0EEEEDaS16_S17_EUlS16_E_NS1_11comp_targetILNS1_3genE5ELNS1_11target_archE942ELNS1_3gpuE9ELNS1_3repE0EEENS1_30default_config_static_selectorELNS0_4arch9wavefront6targetE0EEEvT1_.num_agpr, 0
	.set _ZN7rocprim17ROCPRIM_400000_NS6detail17trampoline_kernelINS0_14default_configENS1_25partition_config_selectorILNS1_17partition_subalgoE5EjNS0_10empty_typeEbEEZZNS1_14partition_implILS5_5ELb0ES3_mN6thrust23THRUST_200600_302600_NS6detail15normal_iteratorINSA_10device_ptrIjEEEEPS6_NSA_18transform_iteratorINSB_9not_fun_tI7is_trueIjEEESF_NSA_11use_defaultESM_EENS0_5tupleIJSF_S6_EEENSO_IJSG_SG_EEES6_PlJS6_EEE10hipError_tPvRmT3_T4_T5_T6_T7_T9_mT8_P12ihipStream_tbDpT10_ENKUlT_T0_E_clISt17integral_constantIbLb1EES1A_IbLb0EEEEDaS16_S17_EUlS16_E_NS1_11comp_targetILNS1_3genE5ELNS1_11target_archE942ELNS1_3gpuE9ELNS1_3repE0EEENS1_30default_config_static_selectorELNS0_4arch9wavefront6targetE0EEEvT1_.numbered_sgpr, 0
	.set _ZN7rocprim17ROCPRIM_400000_NS6detail17trampoline_kernelINS0_14default_configENS1_25partition_config_selectorILNS1_17partition_subalgoE5EjNS0_10empty_typeEbEEZZNS1_14partition_implILS5_5ELb0ES3_mN6thrust23THRUST_200600_302600_NS6detail15normal_iteratorINSA_10device_ptrIjEEEEPS6_NSA_18transform_iteratorINSB_9not_fun_tI7is_trueIjEEESF_NSA_11use_defaultESM_EENS0_5tupleIJSF_S6_EEENSO_IJSG_SG_EEES6_PlJS6_EEE10hipError_tPvRmT3_T4_T5_T6_T7_T9_mT8_P12ihipStream_tbDpT10_ENKUlT_T0_E_clISt17integral_constantIbLb1EES1A_IbLb0EEEEDaS16_S17_EUlS16_E_NS1_11comp_targetILNS1_3genE5ELNS1_11target_archE942ELNS1_3gpuE9ELNS1_3repE0EEENS1_30default_config_static_selectorELNS0_4arch9wavefront6targetE0EEEvT1_.num_named_barrier, 0
	.set _ZN7rocprim17ROCPRIM_400000_NS6detail17trampoline_kernelINS0_14default_configENS1_25partition_config_selectorILNS1_17partition_subalgoE5EjNS0_10empty_typeEbEEZZNS1_14partition_implILS5_5ELb0ES3_mN6thrust23THRUST_200600_302600_NS6detail15normal_iteratorINSA_10device_ptrIjEEEEPS6_NSA_18transform_iteratorINSB_9not_fun_tI7is_trueIjEEESF_NSA_11use_defaultESM_EENS0_5tupleIJSF_S6_EEENSO_IJSG_SG_EEES6_PlJS6_EEE10hipError_tPvRmT3_T4_T5_T6_T7_T9_mT8_P12ihipStream_tbDpT10_ENKUlT_T0_E_clISt17integral_constantIbLb1EES1A_IbLb0EEEEDaS16_S17_EUlS16_E_NS1_11comp_targetILNS1_3genE5ELNS1_11target_archE942ELNS1_3gpuE9ELNS1_3repE0EEENS1_30default_config_static_selectorELNS0_4arch9wavefront6targetE0EEEvT1_.private_seg_size, 0
	.set _ZN7rocprim17ROCPRIM_400000_NS6detail17trampoline_kernelINS0_14default_configENS1_25partition_config_selectorILNS1_17partition_subalgoE5EjNS0_10empty_typeEbEEZZNS1_14partition_implILS5_5ELb0ES3_mN6thrust23THRUST_200600_302600_NS6detail15normal_iteratorINSA_10device_ptrIjEEEEPS6_NSA_18transform_iteratorINSB_9not_fun_tI7is_trueIjEEESF_NSA_11use_defaultESM_EENS0_5tupleIJSF_S6_EEENSO_IJSG_SG_EEES6_PlJS6_EEE10hipError_tPvRmT3_T4_T5_T6_T7_T9_mT8_P12ihipStream_tbDpT10_ENKUlT_T0_E_clISt17integral_constantIbLb1EES1A_IbLb0EEEEDaS16_S17_EUlS16_E_NS1_11comp_targetILNS1_3genE5ELNS1_11target_archE942ELNS1_3gpuE9ELNS1_3repE0EEENS1_30default_config_static_selectorELNS0_4arch9wavefront6targetE0EEEvT1_.uses_vcc, 0
	.set _ZN7rocprim17ROCPRIM_400000_NS6detail17trampoline_kernelINS0_14default_configENS1_25partition_config_selectorILNS1_17partition_subalgoE5EjNS0_10empty_typeEbEEZZNS1_14partition_implILS5_5ELb0ES3_mN6thrust23THRUST_200600_302600_NS6detail15normal_iteratorINSA_10device_ptrIjEEEEPS6_NSA_18transform_iteratorINSB_9not_fun_tI7is_trueIjEEESF_NSA_11use_defaultESM_EENS0_5tupleIJSF_S6_EEENSO_IJSG_SG_EEES6_PlJS6_EEE10hipError_tPvRmT3_T4_T5_T6_T7_T9_mT8_P12ihipStream_tbDpT10_ENKUlT_T0_E_clISt17integral_constantIbLb1EES1A_IbLb0EEEEDaS16_S17_EUlS16_E_NS1_11comp_targetILNS1_3genE5ELNS1_11target_archE942ELNS1_3gpuE9ELNS1_3repE0EEENS1_30default_config_static_selectorELNS0_4arch9wavefront6targetE0EEEvT1_.uses_flat_scratch, 0
	.set _ZN7rocprim17ROCPRIM_400000_NS6detail17trampoline_kernelINS0_14default_configENS1_25partition_config_selectorILNS1_17partition_subalgoE5EjNS0_10empty_typeEbEEZZNS1_14partition_implILS5_5ELb0ES3_mN6thrust23THRUST_200600_302600_NS6detail15normal_iteratorINSA_10device_ptrIjEEEEPS6_NSA_18transform_iteratorINSB_9not_fun_tI7is_trueIjEEESF_NSA_11use_defaultESM_EENS0_5tupleIJSF_S6_EEENSO_IJSG_SG_EEES6_PlJS6_EEE10hipError_tPvRmT3_T4_T5_T6_T7_T9_mT8_P12ihipStream_tbDpT10_ENKUlT_T0_E_clISt17integral_constantIbLb1EES1A_IbLb0EEEEDaS16_S17_EUlS16_E_NS1_11comp_targetILNS1_3genE5ELNS1_11target_archE942ELNS1_3gpuE9ELNS1_3repE0EEENS1_30default_config_static_selectorELNS0_4arch9wavefront6targetE0EEEvT1_.has_dyn_sized_stack, 0
	.set _ZN7rocprim17ROCPRIM_400000_NS6detail17trampoline_kernelINS0_14default_configENS1_25partition_config_selectorILNS1_17partition_subalgoE5EjNS0_10empty_typeEbEEZZNS1_14partition_implILS5_5ELb0ES3_mN6thrust23THRUST_200600_302600_NS6detail15normal_iteratorINSA_10device_ptrIjEEEEPS6_NSA_18transform_iteratorINSB_9not_fun_tI7is_trueIjEEESF_NSA_11use_defaultESM_EENS0_5tupleIJSF_S6_EEENSO_IJSG_SG_EEES6_PlJS6_EEE10hipError_tPvRmT3_T4_T5_T6_T7_T9_mT8_P12ihipStream_tbDpT10_ENKUlT_T0_E_clISt17integral_constantIbLb1EES1A_IbLb0EEEEDaS16_S17_EUlS16_E_NS1_11comp_targetILNS1_3genE5ELNS1_11target_archE942ELNS1_3gpuE9ELNS1_3repE0EEENS1_30default_config_static_selectorELNS0_4arch9wavefront6targetE0EEEvT1_.has_recursion, 0
	.set _ZN7rocprim17ROCPRIM_400000_NS6detail17trampoline_kernelINS0_14default_configENS1_25partition_config_selectorILNS1_17partition_subalgoE5EjNS0_10empty_typeEbEEZZNS1_14partition_implILS5_5ELb0ES3_mN6thrust23THRUST_200600_302600_NS6detail15normal_iteratorINSA_10device_ptrIjEEEEPS6_NSA_18transform_iteratorINSB_9not_fun_tI7is_trueIjEEESF_NSA_11use_defaultESM_EENS0_5tupleIJSF_S6_EEENSO_IJSG_SG_EEES6_PlJS6_EEE10hipError_tPvRmT3_T4_T5_T6_T7_T9_mT8_P12ihipStream_tbDpT10_ENKUlT_T0_E_clISt17integral_constantIbLb1EES1A_IbLb0EEEEDaS16_S17_EUlS16_E_NS1_11comp_targetILNS1_3genE5ELNS1_11target_archE942ELNS1_3gpuE9ELNS1_3repE0EEENS1_30default_config_static_selectorELNS0_4arch9wavefront6targetE0EEEvT1_.has_indirect_call, 0
	.section	.AMDGPU.csdata,"",@progbits
; Kernel info:
; codeLenInByte = 0
; TotalNumSgprs: 0
; NumVgprs: 0
; ScratchSize: 0
; MemoryBound: 0
; FloatMode: 240
; IeeeMode: 1
; LDSByteSize: 0 bytes/workgroup (compile time only)
; SGPRBlocks: 0
; VGPRBlocks: 0
; NumSGPRsForWavesPerEU: 1
; NumVGPRsForWavesPerEU: 1
; Occupancy: 16
; WaveLimiterHint : 0
; COMPUTE_PGM_RSRC2:SCRATCH_EN: 0
; COMPUTE_PGM_RSRC2:USER_SGPR: 2
; COMPUTE_PGM_RSRC2:TRAP_HANDLER: 0
; COMPUTE_PGM_RSRC2:TGID_X_EN: 1
; COMPUTE_PGM_RSRC2:TGID_Y_EN: 0
; COMPUTE_PGM_RSRC2:TGID_Z_EN: 0
; COMPUTE_PGM_RSRC2:TIDIG_COMP_CNT: 0
	.section	.text._ZN7rocprim17ROCPRIM_400000_NS6detail17trampoline_kernelINS0_14default_configENS1_25partition_config_selectorILNS1_17partition_subalgoE5EjNS0_10empty_typeEbEEZZNS1_14partition_implILS5_5ELb0ES3_mN6thrust23THRUST_200600_302600_NS6detail15normal_iteratorINSA_10device_ptrIjEEEEPS6_NSA_18transform_iteratorINSB_9not_fun_tI7is_trueIjEEESF_NSA_11use_defaultESM_EENS0_5tupleIJSF_S6_EEENSO_IJSG_SG_EEES6_PlJS6_EEE10hipError_tPvRmT3_T4_T5_T6_T7_T9_mT8_P12ihipStream_tbDpT10_ENKUlT_T0_E_clISt17integral_constantIbLb1EES1A_IbLb0EEEEDaS16_S17_EUlS16_E_NS1_11comp_targetILNS1_3genE4ELNS1_11target_archE910ELNS1_3gpuE8ELNS1_3repE0EEENS1_30default_config_static_selectorELNS0_4arch9wavefront6targetE0EEEvT1_,"axG",@progbits,_ZN7rocprim17ROCPRIM_400000_NS6detail17trampoline_kernelINS0_14default_configENS1_25partition_config_selectorILNS1_17partition_subalgoE5EjNS0_10empty_typeEbEEZZNS1_14partition_implILS5_5ELb0ES3_mN6thrust23THRUST_200600_302600_NS6detail15normal_iteratorINSA_10device_ptrIjEEEEPS6_NSA_18transform_iteratorINSB_9not_fun_tI7is_trueIjEEESF_NSA_11use_defaultESM_EENS0_5tupleIJSF_S6_EEENSO_IJSG_SG_EEES6_PlJS6_EEE10hipError_tPvRmT3_T4_T5_T6_T7_T9_mT8_P12ihipStream_tbDpT10_ENKUlT_T0_E_clISt17integral_constantIbLb1EES1A_IbLb0EEEEDaS16_S17_EUlS16_E_NS1_11comp_targetILNS1_3genE4ELNS1_11target_archE910ELNS1_3gpuE8ELNS1_3repE0EEENS1_30default_config_static_selectorELNS0_4arch9wavefront6targetE0EEEvT1_,comdat
	.protected	_ZN7rocprim17ROCPRIM_400000_NS6detail17trampoline_kernelINS0_14default_configENS1_25partition_config_selectorILNS1_17partition_subalgoE5EjNS0_10empty_typeEbEEZZNS1_14partition_implILS5_5ELb0ES3_mN6thrust23THRUST_200600_302600_NS6detail15normal_iteratorINSA_10device_ptrIjEEEEPS6_NSA_18transform_iteratorINSB_9not_fun_tI7is_trueIjEEESF_NSA_11use_defaultESM_EENS0_5tupleIJSF_S6_EEENSO_IJSG_SG_EEES6_PlJS6_EEE10hipError_tPvRmT3_T4_T5_T6_T7_T9_mT8_P12ihipStream_tbDpT10_ENKUlT_T0_E_clISt17integral_constantIbLb1EES1A_IbLb0EEEEDaS16_S17_EUlS16_E_NS1_11comp_targetILNS1_3genE4ELNS1_11target_archE910ELNS1_3gpuE8ELNS1_3repE0EEENS1_30default_config_static_selectorELNS0_4arch9wavefront6targetE0EEEvT1_ ; -- Begin function _ZN7rocprim17ROCPRIM_400000_NS6detail17trampoline_kernelINS0_14default_configENS1_25partition_config_selectorILNS1_17partition_subalgoE5EjNS0_10empty_typeEbEEZZNS1_14partition_implILS5_5ELb0ES3_mN6thrust23THRUST_200600_302600_NS6detail15normal_iteratorINSA_10device_ptrIjEEEEPS6_NSA_18transform_iteratorINSB_9not_fun_tI7is_trueIjEEESF_NSA_11use_defaultESM_EENS0_5tupleIJSF_S6_EEENSO_IJSG_SG_EEES6_PlJS6_EEE10hipError_tPvRmT3_T4_T5_T6_T7_T9_mT8_P12ihipStream_tbDpT10_ENKUlT_T0_E_clISt17integral_constantIbLb1EES1A_IbLb0EEEEDaS16_S17_EUlS16_E_NS1_11comp_targetILNS1_3genE4ELNS1_11target_archE910ELNS1_3gpuE8ELNS1_3repE0EEENS1_30default_config_static_selectorELNS0_4arch9wavefront6targetE0EEEvT1_
	.globl	_ZN7rocprim17ROCPRIM_400000_NS6detail17trampoline_kernelINS0_14default_configENS1_25partition_config_selectorILNS1_17partition_subalgoE5EjNS0_10empty_typeEbEEZZNS1_14partition_implILS5_5ELb0ES3_mN6thrust23THRUST_200600_302600_NS6detail15normal_iteratorINSA_10device_ptrIjEEEEPS6_NSA_18transform_iteratorINSB_9not_fun_tI7is_trueIjEEESF_NSA_11use_defaultESM_EENS0_5tupleIJSF_S6_EEENSO_IJSG_SG_EEES6_PlJS6_EEE10hipError_tPvRmT3_T4_T5_T6_T7_T9_mT8_P12ihipStream_tbDpT10_ENKUlT_T0_E_clISt17integral_constantIbLb1EES1A_IbLb0EEEEDaS16_S17_EUlS16_E_NS1_11comp_targetILNS1_3genE4ELNS1_11target_archE910ELNS1_3gpuE8ELNS1_3repE0EEENS1_30default_config_static_selectorELNS0_4arch9wavefront6targetE0EEEvT1_
	.p2align	8
	.type	_ZN7rocprim17ROCPRIM_400000_NS6detail17trampoline_kernelINS0_14default_configENS1_25partition_config_selectorILNS1_17partition_subalgoE5EjNS0_10empty_typeEbEEZZNS1_14partition_implILS5_5ELb0ES3_mN6thrust23THRUST_200600_302600_NS6detail15normal_iteratorINSA_10device_ptrIjEEEEPS6_NSA_18transform_iteratorINSB_9not_fun_tI7is_trueIjEEESF_NSA_11use_defaultESM_EENS0_5tupleIJSF_S6_EEENSO_IJSG_SG_EEES6_PlJS6_EEE10hipError_tPvRmT3_T4_T5_T6_T7_T9_mT8_P12ihipStream_tbDpT10_ENKUlT_T0_E_clISt17integral_constantIbLb1EES1A_IbLb0EEEEDaS16_S17_EUlS16_E_NS1_11comp_targetILNS1_3genE4ELNS1_11target_archE910ELNS1_3gpuE8ELNS1_3repE0EEENS1_30default_config_static_selectorELNS0_4arch9wavefront6targetE0EEEvT1_,@function
_ZN7rocprim17ROCPRIM_400000_NS6detail17trampoline_kernelINS0_14default_configENS1_25partition_config_selectorILNS1_17partition_subalgoE5EjNS0_10empty_typeEbEEZZNS1_14partition_implILS5_5ELb0ES3_mN6thrust23THRUST_200600_302600_NS6detail15normal_iteratorINSA_10device_ptrIjEEEEPS6_NSA_18transform_iteratorINSB_9not_fun_tI7is_trueIjEEESF_NSA_11use_defaultESM_EENS0_5tupleIJSF_S6_EEENSO_IJSG_SG_EEES6_PlJS6_EEE10hipError_tPvRmT3_T4_T5_T6_T7_T9_mT8_P12ihipStream_tbDpT10_ENKUlT_T0_E_clISt17integral_constantIbLb1EES1A_IbLb0EEEEDaS16_S17_EUlS16_E_NS1_11comp_targetILNS1_3genE4ELNS1_11target_archE910ELNS1_3gpuE8ELNS1_3repE0EEENS1_30default_config_static_selectorELNS0_4arch9wavefront6targetE0EEEvT1_: ; @_ZN7rocprim17ROCPRIM_400000_NS6detail17trampoline_kernelINS0_14default_configENS1_25partition_config_selectorILNS1_17partition_subalgoE5EjNS0_10empty_typeEbEEZZNS1_14partition_implILS5_5ELb0ES3_mN6thrust23THRUST_200600_302600_NS6detail15normal_iteratorINSA_10device_ptrIjEEEEPS6_NSA_18transform_iteratorINSB_9not_fun_tI7is_trueIjEEESF_NSA_11use_defaultESM_EENS0_5tupleIJSF_S6_EEENSO_IJSG_SG_EEES6_PlJS6_EEE10hipError_tPvRmT3_T4_T5_T6_T7_T9_mT8_P12ihipStream_tbDpT10_ENKUlT_T0_E_clISt17integral_constantIbLb1EES1A_IbLb0EEEEDaS16_S17_EUlS16_E_NS1_11comp_targetILNS1_3genE4ELNS1_11target_archE910ELNS1_3gpuE8ELNS1_3repE0EEENS1_30default_config_static_selectorELNS0_4arch9wavefront6targetE0EEEvT1_
; %bb.0:
	.section	.rodata,"a",@progbits
	.p2align	6, 0x0
	.amdhsa_kernel _ZN7rocprim17ROCPRIM_400000_NS6detail17trampoline_kernelINS0_14default_configENS1_25partition_config_selectorILNS1_17partition_subalgoE5EjNS0_10empty_typeEbEEZZNS1_14partition_implILS5_5ELb0ES3_mN6thrust23THRUST_200600_302600_NS6detail15normal_iteratorINSA_10device_ptrIjEEEEPS6_NSA_18transform_iteratorINSB_9not_fun_tI7is_trueIjEEESF_NSA_11use_defaultESM_EENS0_5tupleIJSF_S6_EEENSO_IJSG_SG_EEES6_PlJS6_EEE10hipError_tPvRmT3_T4_T5_T6_T7_T9_mT8_P12ihipStream_tbDpT10_ENKUlT_T0_E_clISt17integral_constantIbLb1EES1A_IbLb0EEEEDaS16_S17_EUlS16_E_NS1_11comp_targetILNS1_3genE4ELNS1_11target_archE910ELNS1_3gpuE8ELNS1_3repE0EEENS1_30default_config_static_selectorELNS0_4arch9wavefront6targetE0EEEvT1_
		.amdhsa_group_segment_fixed_size 0
		.amdhsa_private_segment_fixed_size 0
		.amdhsa_kernarg_size 120
		.amdhsa_user_sgpr_count 2
		.amdhsa_user_sgpr_dispatch_ptr 0
		.amdhsa_user_sgpr_queue_ptr 0
		.amdhsa_user_sgpr_kernarg_segment_ptr 1
		.amdhsa_user_sgpr_dispatch_id 0
		.amdhsa_user_sgpr_private_segment_size 0
		.amdhsa_wavefront_size32 1
		.amdhsa_uses_dynamic_stack 0
		.amdhsa_enable_private_segment 0
		.amdhsa_system_sgpr_workgroup_id_x 1
		.amdhsa_system_sgpr_workgroup_id_y 0
		.amdhsa_system_sgpr_workgroup_id_z 0
		.amdhsa_system_sgpr_workgroup_info 0
		.amdhsa_system_vgpr_workitem_id 0
		.amdhsa_next_free_vgpr 1
		.amdhsa_next_free_sgpr 1
		.amdhsa_reserve_vcc 0
		.amdhsa_float_round_mode_32 0
		.amdhsa_float_round_mode_16_64 0
		.amdhsa_float_denorm_mode_32 3
		.amdhsa_float_denorm_mode_16_64 3
		.amdhsa_fp16_overflow 0
		.amdhsa_workgroup_processor_mode 1
		.amdhsa_memory_ordered 1
		.amdhsa_forward_progress 1
		.amdhsa_inst_pref_size 0
		.amdhsa_round_robin_scheduling 0
		.amdhsa_exception_fp_ieee_invalid_op 0
		.amdhsa_exception_fp_denorm_src 0
		.amdhsa_exception_fp_ieee_div_zero 0
		.amdhsa_exception_fp_ieee_overflow 0
		.amdhsa_exception_fp_ieee_underflow 0
		.amdhsa_exception_fp_ieee_inexact 0
		.amdhsa_exception_int_div_zero 0
	.end_amdhsa_kernel
	.section	.text._ZN7rocprim17ROCPRIM_400000_NS6detail17trampoline_kernelINS0_14default_configENS1_25partition_config_selectorILNS1_17partition_subalgoE5EjNS0_10empty_typeEbEEZZNS1_14partition_implILS5_5ELb0ES3_mN6thrust23THRUST_200600_302600_NS6detail15normal_iteratorINSA_10device_ptrIjEEEEPS6_NSA_18transform_iteratorINSB_9not_fun_tI7is_trueIjEEESF_NSA_11use_defaultESM_EENS0_5tupleIJSF_S6_EEENSO_IJSG_SG_EEES6_PlJS6_EEE10hipError_tPvRmT3_T4_T5_T6_T7_T9_mT8_P12ihipStream_tbDpT10_ENKUlT_T0_E_clISt17integral_constantIbLb1EES1A_IbLb0EEEEDaS16_S17_EUlS16_E_NS1_11comp_targetILNS1_3genE4ELNS1_11target_archE910ELNS1_3gpuE8ELNS1_3repE0EEENS1_30default_config_static_selectorELNS0_4arch9wavefront6targetE0EEEvT1_,"axG",@progbits,_ZN7rocprim17ROCPRIM_400000_NS6detail17trampoline_kernelINS0_14default_configENS1_25partition_config_selectorILNS1_17partition_subalgoE5EjNS0_10empty_typeEbEEZZNS1_14partition_implILS5_5ELb0ES3_mN6thrust23THRUST_200600_302600_NS6detail15normal_iteratorINSA_10device_ptrIjEEEEPS6_NSA_18transform_iteratorINSB_9not_fun_tI7is_trueIjEEESF_NSA_11use_defaultESM_EENS0_5tupleIJSF_S6_EEENSO_IJSG_SG_EEES6_PlJS6_EEE10hipError_tPvRmT3_T4_T5_T6_T7_T9_mT8_P12ihipStream_tbDpT10_ENKUlT_T0_E_clISt17integral_constantIbLb1EES1A_IbLb0EEEEDaS16_S17_EUlS16_E_NS1_11comp_targetILNS1_3genE4ELNS1_11target_archE910ELNS1_3gpuE8ELNS1_3repE0EEENS1_30default_config_static_selectorELNS0_4arch9wavefront6targetE0EEEvT1_,comdat
.Lfunc_end1419:
	.size	_ZN7rocprim17ROCPRIM_400000_NS6detail17trampoline_kernelINS0_14default_configENS1_25partition_config_selectorILNS1_17partition_subalgoE5EjNS0_10empty_typeEbEEZZNS1_14partition_implILS5_5ELb0ES3_mN6thrust23THRUST_200600_302600_NS6detail15normal_iteratorINSA_10device_ptrIjEEEEPS6_NSA_18transform_iteratorINSB_9not_fun_tI7is_trueIjEEESF_NSA_11use_defaultESM_EENS0_5tupleIJSF_S6_EEENSO_IJSG_SG_EEES6_PlJS6_EEE10hipError_tPvRmT3_T4_T5_T6_T7_T9_mT8_P12ihipStream_tbDpT10_ENKUlT_T0_E_clISt17integral_constantIbLb1EES1A_IbLb0EEEEDaS16_S17_EUlS16_E_NS1_11comp_targetILNS1_3genE4ELNS1_11target_archE910ELNS1_3gpuE8ELNS1_3repE0EEENS1_30default_config_static_selectorELNS0_4arch9wavefront6targetE0EEEvT1_, .Lfunc_end1419-_ZN7rocprim17ROCPRIM_400000_NS6detail17trampoline_kernelINS0_14default_configENS1_25partition_config_selectorILNS1_17partition_subalgoE5EjNS0_10empty_typeEbEEZZNS1_14partition_implILS5_5ELb0ES3_mN6thrust23THRUST_200600_302600_NS6detail15normal_iteratorINSA_10device_ptrIjEEEEPS6_NSA_18transform_iteratorINSB_9not_fun_tI7is_trueIjEEESF_NSA_11use_defaultESM_EENS0_5tupleIJSF_S6_EEENSO_IJSG_SG_EEES6_PlJS6_EEE10hipError_tPvRmT3_T4_T5_T6_T7_T9_mT8_P12ihipStream_tbDpT10_ENKUlT_T0_E_clISt17integral_constantIbLb1EES1A_IbLb0EEEEDaS16_S17_EUlS16_E_NS1_11comp_targetILNS1_3genE4ELNS1_11target_archE910ELNS1_3gpuE8ELNS1_3repE0EEENS1_30default_config_static_selectorELNS0_4arch9wavefront6targetE0EEEvT1_
                                        ; -- End function
	.set _ZN7rocprim17ROCPRIM_400000_NS6detail17trampoline_kernelINS0_14default_configENS1_25partition_config_selectorILNS1_17partition_subalgoE5EjNS0_10empty_typeEbEEZZNS1_14partition_implILS5_5ELb0ES3_mN6thrust23THRUST_200600_302600_NS6detail15normal_iteratorINSA_10device_ptrIjEEEEPS6_NSA_18transform_iteratorINSB_9not_fun_tI7is_trueIjEEESF_NSA_11use_defaultESM_EENS0_5tupleIJSF_S6_EEENSO_IJSG_SG_EEES6_PlJS6_EEE10hipError_tPvRmT3_T4_T5_T6_T7_T9_mT8_P12ihipStream_tbDpT10_ENKUlT_T0_E_clISt17integral_constantIbLb1EES1A_IbLb0EEEEDaS16_S17_EUlS16_E_NS1_11comp_targetILNS1_3genE4ELNS1_11target_archE910ELNS1_3gpuE8ELNS1_3repE0EEENS1_30default_config_static_selectorELNS0_4arch9wavefront6targetE0EEEvT1_.num_vgpr, 0
	.set _ZN7rocprim17ROCPRIM_400000_NS6detail17trampoline_kernelINS0_14default_configENS1_25partition_config_selectorILNS1_17partition_subalgoE5EjNS0_10empty_typeEbEEZZNS1_14partition_implILS5_5ELb0ES3_mN6thrust23THRUST_200600_302600_NS6detail15normal_iteratorINSA_10device_ptrIjEEEEPS6_NSA_18transform_iteratorINSB_9not_fun_tI7is_trueIjEEESF_NSA_11use_defaultESM_EENS0_5tupleIJSF_S6_EEENSO_IJSG_SG_EEES6_PlJS6_EEE10hipError_tPvRmT3_T4_T5_T6_T7_T9_mT8_P12ihipStream_tbDpT10_ENKUlT_T0_E_clISt17integral_constantIbLb1EES1A_IbLb0EEEEDaS16_S17_EUlS16_E_NS1_11comp_targetILNS1_3genE4ELNS1_11target_archE910ELNS1_3gpuE8ELNS1_3repE0EEENS1_30default_config_static_selectorELNS0_4arch9wavefront6targetE0EEEvT1_.num_agpr, 0
	.set _ZN7rocprim17ROCPRIM_400000_NS6detail17trampoline_kernelINS0_14default_configENS1_25partition_config_selectorILNS1_17partition_subalgoE5EjNS0_10empty_typeEbEEZZNS1_14partition_implILS5_5ELb0ES3_mN6thrust23THRUST_200600_302600_NS6detail15normal_iteratorINSA_10device_ptrIjEEEEPS6_NSA_18transform_iteratorINSB_9not_fun_tI7is_trueIjEEESF_NSA_11use_defaultESM_EENS0_5tupleIJSF_S6_EEENSO_IJSG_SG_EEES6_PlJS6_EEE10hipError_tPvRmT3_T4_T5_T6_T7_T9_mT8_P12ihipStream_tbDpT10_ENKUlT_T0_E_clISt17integral_constantIbLb1EES1A_IbLb0EEEEDaS16_S17_EUlS16_E_NS1_11comp_targetILNS1_3genE4ELNS1_11target_archE910ELNS1_3gpuE8ELNS1_3repE0EEENS1_30default_config_static_selectorELNS0_4arch9wavefront6targetE0EEEvT1_.numbered_sgpr, 0
	.set _ZN7rocprim17ROCPRIM_400000_NS6detail17trampoline_kernelINS0_14default_configENS1_25partition_config_selectorILNS1_17partition_subalgoE5EjNS0_10empty_typeEbEEZZNS1_14partition_implILS5_5ELb0ES3_mN6thrust23THRUST_200600_302600_NS6detail15normal_iteratorINSA_10device_ptrIjEEEEPS6_NSA_18transform_iteratorINSB_9not_fun_tI7is_trueIjEEESF_NSA_11use_defaultESM_EENS0_5tupleIJSF_S6_EEENSO_IJSG_SG_EEES6_PlJS6_EEE10hipError_tPvRmT3_T4_T5_T6_T7_T9_mT8_P12ihipStream_tbDpT10_ENKUlT_T0_E_clISt17integral_constantIbLb1EES1A_IbLb0EEEEDaS16_S17_EUlS16_E_NS1_11comp_targetILNS1_3genE4ELNS1_11target_archE910ELNS1_3gpuE8ELNS1_3repE0EEENS1_30default_config_static_selectorELNS0_4arch9wavefront6targetE0EEEvT1_.num_named_barrier, 0
	.set _ZN7rocprim17ROCPRIM_400000_NS6detail17trampoline_kernelINS0_14default_configENS1_25partition_config_selectorILNS1_17partition_subalgoE5EjNS0_10empty_typeEbEEZZNS1_14partition_implILS5_5ELb0ES3_mN6thrust23THRUST_200600_302600_NS6detail15normal_iteratorINSA_10device_ptrIjEEEEPS6_NSA_18transform_iteratorINSB_9not_fun_tI7is_trueIjEEESF_NSA_11use_defaultESM_EENS0_5tupleIJSF_S6_EEENSO_IJSG_SG_EEES6_PlJS6_EEE10hipError_tPvRmT3_T4_T5_T6_T7_T9_mT8_P12ihipStream_tbDpT10_ENKUlT_T0_E_clISt17integral_constantIbLb1EES1A_IbLb0EEEEDaS16_S17_EUlS16_E_NS1_11comp_targetILNS1_3genE4ELNS1_11target_archE910ELNS1_3gpuE8ELNS1_3repE0EEENS1_30default_config_static_selectorELNS0_4arch9wavefront6targetE0EEEvT1_.private_seg_size, 0
	.set _ZN7rocprim17ROCPRIM_400000_NS6detail17trampoline_kernelINS0_14default_configENS1_25partition_config_selectorILNS1_17partition_subalgoE5EjNS0_10empty_typeEbEEZZNS1_14partition_implILS5_5ELb0ES3_mN6thrust23THRUST_200600_302600_NS6detail15normal_iteratorINSA_10device_ptrIjEEEEPS6_NSA_18transform_iteratorINSB_9not_fun_tI7is_trueIjEEESF_NSA_11use_defaultESM_EENS0_5tupleIJSF_S6_EEENSO_IJSG_SG_EEES6_PlJS6_EEE10hipError_tPvRmT3_T4_T5_T6_T7_T9_mT8_P12ihipStream_tbDpT10_ENKUlT_T0_E_clISt17integral_constantIbLb1EES1A_IbLb0EEEEDaS16_S17_EUlS16_E_NS1_11comp_targetILNS1_3genE4ELNS1_11target_archE910ELNS1_3gpuE8ELNS1_3repE0EEENS1_30default_config_static_selectorELNS0_4arch9wavefront6targetE0EEEvT1_.uses_vcc, 0
	.set _ZN7rocprim17ROCPRIM_400000_NS6detail17trampoline_kernelINS0_14default_configENS1_25partition_config_selectorILNS1_17partition_subalgoE5EjNS0_10empty_typeEbEEZZNS1_14partition_implILS5_5ELb0ES3_mN6thrust23THRUST_200600_302600_NS6detail15normal_iteratorINSA_10device_ptrIjEEEEPS6_NSA_18transform_iteratorINSB_9not_fun_tI7is_trueIjEEESF_NSA_11use_defaultESM_EENS0_5tupleIJSF_S6_EEENSO_IJSG_SG_EEES6_PlJS6_EEE10hipError_tPvRmT3_T4_T5_T6_T7_T9_mT8_P12ihipStream_tbDpT10_ENKUlT_T0_E_clISt17integral_constantIbLb1EES1A_IbLb0EEEEDaS16_S17_EUlS16_E_NS1_11comp_targetILNS1_3genE4ELNS1_11target_archE910ELNS1_3gpuE8ELNS1_3repE0EEENS1_30default_config_static_selectorELNS0_4arch9wavefront6targetE0EEEvT1_.uses_flat_scratch, 0
	.set _ZN7rocprim17ROCPRIM_400000_NS6detail17trampoline_kernelINS0_14default_configENS1_25partition_config_selectorILNS1_17partition_subalgoE5EjNS0_10empty_typeEbEEZZNS1_14partition_implILS5_5ELb0ES3_mN6thrust23THRUST_200600_302600_NS6detail15normal_iteratorINSA_10device_ptrIjEEEEPS6_NSA_18transform_iteratorINSB_9not_fun_tI7is_trueIjEEESF_NSA_11use_defaultESM_EENS0_5tupleIJSF_S6_EEENSO_IJSG_SG_EEES6_PlJS6_EEE10hipError_tPvRmT3_T4_T5_T6_T7_T9_mT8_P12ihipStream_tbDpT10_ENKUlT_T0_E_clISt17integral_constantIbLb1EES1A_IbLb0EEEEDaS16_S17_EUlS16_E_NS1_11comp_targetILNS1_3genE4ELNS1_11target_archE910ELNS1_3gpuE8ELNS1_3repE0EEENS1_30default_config_static_selectorELNS0_4arch9wavefront6targetE0EEEvT1_.has_dyn_sized_stack, 0
	.set _ZN7rocprim17ROCPRIM_400000_NS6detail17trampoline_kernelINS0_14default_configENS1_25partition_config_selectorILNS1_17partition_subalgoE5EjNS0_10empty_typeEbEEZZNS1_14partition_implILS5_5ELb0ES3_mN6thrust23THRUST_200600_302600_NS6detail15normal_iteratorINSA_10device_ptrIjEEEEPS6_NSA_18transform_iteratorINSB_9not_fun_tI7is_trueIjEEESF_NSA_11use_defaultESM_EENS0_5tupleIJSF_S6_EEENSO_IJSG_SG_EEES6_PlJS6_EEE10hipError_tPvRmT3_T4_T5_T6_T7_T9_mT8_P12ihipStream_tbDpT10_ENKUlT_T0_E_clISt17integral_constantIbLb1EES1A_IbLb0EEEEDaS16_S17_EUlS16_E_NS1_11comp_targetILNS1_3genE4ELNS1_11target_archE910ELNS1_3gpuE8ELNS1_3repE0EEENS1_30default_config_static_selectorELNS0_4arch9wavefront6targetE0EEEvT1_.has_recursion, 0
	.set _ZN7rocprim17ROCPRIM_400000_NS6detail17trampoline_kernelINS0_14default_configENS1_25partition_config_selectorILNS1_17partition_subalgoE5EjNS0_10empty_typeEbEEZZNS1_14partition_implILS5_5ELb0ES3_mN6thrust23THRUST_200600_302600_NS6detail15normal_iteratorINSA_10device_ptrIjEEEEPS6_NSA_18transform_iteratorINSB_9not_fun_tI7is_trueIjEEESF_NSA_11use_defaultESM_EENS0_5tupleIJSF_S6_EEENSO_IJSG_SG_EEES6_PlJS6_EEE10hipError_tPvRmT3_T4_T5_T6_T7_T9_mT8_P12ihipStream_tbDpT10_ENKUlT_T0_E_clISt17integral_constantIbLb1EES1A_IbLb0EEEEDaS16_S17_EUlS16_E_NS1_11comp_targetILNS1_3genE4ELNS1_11target_archE910ELNS1_3gpuE8ELNS1_3repE0EEENS1_30default_config_static_selectorELNS0_4arch9wavefront6targetE0EEEvT1_.has_indirect_call, 0
	.section	.AMDGPU.csdata,"",@progbits
; Kernel info:
; codeLenInByte = 0
; TotalNumSgprs: 0
; NumVgprs: 0
; ScratchSize: 0
; MemoryBound: 0
; FloatMode: 240
; IeeeMode: 1
; LDSByteSize: 0 bytes/workgroup (compile time only)
; SGPRBlocks: 0
; VGPRBlocks: 0
; NumSGPRsForWavesPerEU: 1
; NumVGPRsForWavesPerEU: 1
; Occupancy: 16
; WaveLimiterHint : 0
; COMPUTE_PGM_RSRC2:SCRATCH_EN: 0
; COMPUTE_PGM_RSRC2:USER_SGPR: 2
; COMPUTE_PGM_RSRC2:TRAP_HANDLER: 0
; COMPUTE_PGM_RSRC2:TGID_X_EN: 1
; COMPUTE_PGM_RSRC2:TGID_Y_EN: 0
; COMPUTE_PGM_RSRC2:TGID_Z_EN: 0
; COMPUTE_PGM_RSRC2:TIDIG_COMP_CNT: 0
	.section	.text._ZN7rocprim17ROCPRIM_400000_NS6detail17trampoline_kernelINS0_14default_configENS1_25partition_config_selectorILNS1_17partition_subalgoE5EjNS0_10empty_typeEbEEZZNS1_14partition_implILS5_5ELb0ES3_mN6thrust23THRUST_200600_302600_NS6detail15normal_iteratorINSA_10device_ptrIjEEEEPS6_NSA_18transform_iteratorINSB_9not_fun_tI7is_trueIjEEESF_NSA_11use_defaultESM_EENS0_5tupleIJSF_S6_EEENSO_IJSG_SG_EEES6_PlJS6_EEE10hipError_tPvRmT3_T4_T5_T6_T7_T9_mT8_P12ihipStream_tbDpT10_ENKUlT_T0_E_clISt17integral_constantIbLb1EES1A_IbLb0EEEEDaS16_S17_EUlS16_E_NS1_11comp_targetILNS1_3genE3ELNS1_11target_archE908ELNS1_3gpuE7ELNS1_3repE0EEENS1_30default_config_static_selectorELNS0_4arch9wavefront6targetE0EEEvT1_,"axG",@progbits,_ZN7rocprim17ROCPRIM_400000_NS6detail17trampoline_kernelINS0_14default_configENS1_25partition_config_selectorILNS1_17partition_subalgoE5EjNS0_10empty_typeEbEEZZNS1_14partition_implILS5_5ELb0ES3_mN6thrust23THRUST_200600_302600_NS6detail15normal_iteratorINSA_10device_ptrIjEEEEPS6_NSA_18transform_iteratorINSB_9not_fun_tI7is_trueIjEEESF_NSA_11use_defaultESM_EENS0_5tupleIJSF_S6_EEENSO_IJSG_SG_EEES6_PlJS6_EEE10hipError_tPvRmT3_T4_T5_T6_T7_T9_mT8_P12ihipStream_tbDpT10_ENKUlT_T0_E_clISt17integral_constantIbLb1EES1A_IbLb0EEEEDaS16_S17_EUlS16_E_NS1_11comp_targetILNS1_3genE3ELNS1_11target_archE908ELNS1_3gpuE7ELNS1_3repE0EEENS1_30default_config_static_selectorELNS0_4arch9wavefront6targetE0EEEvT1_,comdat
	.protected	_ZN7rocprim17ROCPRIM_400000_NS6detail17trampoline_kernelINS0_14default_configENS1_25partition_config_selectorILNS1_17partition_subalgoE5EjNS0_10empty_typeEbEEZZNS1_14partition_implILS5_5ELb0ES3_mN6thrust23THRUST_200600_302600_NS6detail15normal_iteratorINSA_10device_ptrIjEEEEPS6_NSA_18transform_iteratorINSB_9not_fun_tI7is_trueIjEEESF_NSA_11use_defaultESM_EENS0_5tupleIJSF_S6_EEENSO_IJSG_SG_EEES6_PlJS6_EEE10hipError_tPvRmT3_T4_T5_T6_T7_T9_mT8_P12ihipStream_tbDpT10_ENKUlT_T0_E_clISt17integral_constantIbLb1EES1A_IbLb0EEEEDaS16_S17_EUlS16_E_NS1_11comp_targetILNS1_3genE3ELNS1_11target_archE908ELNS1_3gpuE7ELNS1_3repE0EEENS1_30default_config_static_selectorELNS0_4arch9wavefront6targetE0EEEvT1_ ; -- Begin function _ZN7rocprim17ROCPRIM_400000_NS6detail17trampoline_kernelINS0_14default_configENS1_25partition_config_selectorILNS1_17partition_subalgoE5EjNS0_10empty_typeEbEEZZNS1_14partition_implILS5_5ELb0ES3_mN6thrust23THRUST_200600_302600_NS6detail15normal_iteratorINSA_10device_ptrIjEEEEPS6_NSA_18transform_iteratorINSB_9not_fun_tI7is_trueIjEEESF_NSA_11use_defaultESM_EENS0_5tupleIJSF_S6_EEENSO_IJSG_SG_EEES6_PlJS6_EEE10hipError_tPvRmT3_T4_T5_T6_T7_T9_mT8_P12ihipStream_tbDpT10_ENKUlT_T0_E_clISt17integral_constantIbLb1EES1A_IbLb0EEEEDaS16_S17_EUlS16_E_NS1_11comp_targetILNS1_3genE3ELNS1_11target_archE908ELNS1_3gpuE7ELNS1_3repE0EEENS1_30default_config_static_selectorELNS0_4arch9wavefront6targetE0EEEvT1_
	.globl	_ZN7rocprim17ROCPRIM_400000_NS6detail17trampoline_kernelINS0_14default_configENS1_25partition_config_selectorILNS1_17partition_subalgoE5EjNS0_10empty_typeEbEEZZNS1_14partition_implILS5_5ELb0ES3_mN6thrust23THRUST_200600_302600_NS6detail15normal_iteratorINSA_10device_ptrIjEEEEPS6_NSA_18transform_iteratorINSB_9not_fun_tI7is_trueIjEEESF_NSA_11use_defaultESM_EENS0_5tupleIJSF_S6_EEENSO_IJSG_SG_EEES6_PlJS6_EEE10hipError_tPvRmT3_T4_T5_T6_T7_T9_mT8_P12ihipStream_tbDpT10_ENKUlT_T0_E_clISt17integral_constantIbLb1EES1A_IbLb0EEEEDaS16_S17_EUlS16_E_NS1_11comp_targetILNS1_3genE3ELNS1_11target_archE908ELNS1_3gpuE7ELNS1_3repE0EEENS1_30default_config_static_selectorELNS0_4arch9wavefront6targetE0EEEvT1_
	.p2align	8
	.type	_ZN7rocprim17ROCPRIM_400000_NS6detail17trampoline_kernelINS0_14default_configENS1_25partition_config_selectorILNS1_17partition_subalgoE5EjNS0_10empty_typeEbEEZZNS1_14partition_implILS5_5ELb0ES3_mN6thrust23THRUST_200600_302600_NS6detail15normal_iteratorINSA_10device_ptrIjEEEEPS6_NSA_18transform_iteratorINSB_9not_fun_tI7is_trueIjEEESF_NSA_11use_defaultESM_EENS0_5tupleIJSF_S6_EEENSO_IJSG_SG_EEES6_PlJS6_EEE10hipError_tPvRmT3_T4_T5_T6_T7_T9_mT8_P12ihipStream_tbDpT10_ENKUlT_T0_E_clISt17integral_constantIbLb1EES1A_IbLb0EEEEDaS16_S17_EUlS16_E_NS1_11comp_targetILNS1_3genE3ELNS1_11target_archE908ELNS1_3gpuE7ELNS1_3repE0EEENS1_30default_config_static_selectorELNS0_4arch9wavefront6targetE0EEEvT1_,@function
_ZN7rocprim17ROCPRIM_400000_NS6detail17trampoline_kernelINS0_14default_configENS1_25partition_config_selectorILNS1_17partition_subalgoE5EjNS0_10empty_typeEbEEZZNS1_14partition_implILS5_5ELb0ES3_mN6thrust23THRUST_200600_302600_NS6detail15normal_iteratorINSA_10device_ptrIjEEEEPS6_NSA_18transform_iteratorINSB_9not_fun_tI7is_trueIjEEESF_NSA_11use_defaultESM_EENS0_5tupleIJSF_S6_EEENSO_IJSG_SG_EEES6_PlJS6_EEE10hipError_tPvRmT3_T4_T5_T6_T7_T9_mT8_P12ihipStream_tbDpT10_ENKUlT_T0_E_clISt17integral_constantIbLb1EES1A_IbLb0EEEEDaS16_S17_EUlS16_E_NS1_11comp_targetILNS1_3genE3ELNS1_11target_archE908ELNS1_3gpuE7ELNS1_3repE0EEENS1_30default_config_static_selectorELNS0_4arch9wavefront6targetE0EEEvT1_: ; @_ZN7rocprim17ROCPRIM_400000_NS6detail17trampoline_kernelINS0_14default_configENS1_25partition_config_selectorILNS1_17partition_subalgoE5EjNS0_10empty_typeEbEEZZNS1_14partition_implILS5_5ELb0ES3_mN6thrust23THRUST_200600_302600_NS6detail15normal_iteratorINSA_10device_ptrIjEEEEPS6_NSA_18transform_iteratorINSB_9not_fun_tI7is_trueIjEEESF_NSA_11use_defaultESM_EENS0_5tupleIJSF_S6_EEENSO_IJSG_SG_EEES6_PlJS6_EEE10hipError_tPvRmT3_T4_T5_T6_T7_T9_mT8_P12ihipStream_tbDpT10_ENKUlT_T0_E_clISt17integral_constantIbLb1EES1A_IbLb0EEEEDaS16_S17_EUlS16_E_NS1_11comp_targetILNS1_3genE3ELNS1_11target_archE908ELNS1_3gpuE7ELNS1_3repE0EEENS1_30default_config_static_selectorELNS0_4arch9wavefront6targetE0EEEvT1_
; %bb.0:
	.section	.rodata,"a",@progbits
	.p2align	6, 0x0
	.amdhsa_kernel _ZN7rocprim17ROCPRIM_400000_NS6detail17trampoline_kernelINS0_14default_configENS1_25partition_config_selectorILNS1_17partition_subalgoE5EjNS0_10empty_typeEbEEZZNS1_14partition_implILS5_5ELb0ES3_mN6thrust23THRUST_200600_302600_NS6detail15normal_iteratorINSA_10device_ptrIjEEEEPS6_NSA_18transform_iteratorINSB_9not_fun_tI7is_trueIjEEESF_NSA_11use_defaultESM_EENS0_5tupleIJSF_S6_EEENSO_IJSG_SG_EEES6_PlJS6_EEE10hipError_tPvRmT3_T4_T5_T6_T7_T9_mT8_P12ihipStream_tbDpT10_ENKUlT_T0_E_clISt17integral_constantIbLb1EES1A_IbLb0EEEEDaS16_S17_EUlS16_E_NS1_11comp_targetILNS1_3genE3ELNS1_11target_archE908ELNS1_3gpuE7ELNS1_3repE0EEENS1_30default_config_static_selectorELNS0_4arch9wavefront6targetE0EEEvT1_
		.amdhsa_group_segment_fixed_size 0
		.amdhsa_private_segment_fixed_size 0
		.amdhsa_kernarg_size 120
		.amdhsa_user_sgpr_count 2
		.amdhsa_user_sgpr_dispatch_ptr 0
		.amdhsa_user_sgpr_queue_ptr 0
		.amdhsa_user_sgpr_kernarg_segment_ptr 1
		.amdhsa_user_sgpr_dispatch_id 0
		.amdhsa_user_sgpr_private_segment_size 0
		.amdhsa_wavefront_size32 1
		.amdhsa_uses_dynamic_stack 0
		.amdhsa_enable_private_segment 0
		.amdhsa_system_sgpr_workgroup_id_x 1
		.amdhsa_system_sgpr_workgroup_id_y 0
		.amdhsa_system_sgpr_workgroup_id_z 0
		.amdhsa_system_sgpr_workgroup_info 0
		.amdhsa_system_vgpr_workitem_id 0
		.amdhsa_next_free_vgpr 1
		.amdhsa_next_free_sgpr 1
		.amdhsa_reserve_vcc 0
		.amdhsa_float_round_mode_32 0
		.amdhsa_float_round_mode_16_64 0
		.amdhsa_float_denorm_mode_32 3
		.amdhsa_float_denorm_mode_16_64 3
		.amdhsa_fp16_overflow 0
		.amdhsa_workgroup_processor_mode 1
		.amdhsa_memory_ordered 1
		.amdhsa_forward_progress 1
		.amdhsa_inst_pref_size 0
		.amdhsa_round_robin_scheduling 0
		.amdhsa_exception_fp_ieee_invalid_op 0
		.amdhsa_exception_fp_denorm_src 0
		.amdhsa_exception_fp_ieee_div_zero 0
		.amdhsa_exception_fp_ieee_overflow 0
		.amdhsa_exception_fp_ieee_underflow 0
		.amdhsa_exception_fp_ieee_inexact 0
		.amdhsa_exception_int_div_zero 0
	.end_amdhsa_kernel
	.section	.text._ZN7rocprim17ROCPRIM_400000_NS6detail17trampoline_kernelINS0_14default_configENS1_25partition_config_selectorILNS1_17partition_subalgoE5EjNS0_10empty_typeEbEEZZNS1_14partition_implILS5_5ELb0ES3_mN6thrust23THRUST_200600_302600_NS6detail15normal_iteratorINSA_10device_ptrIjEEEEPS6_NSA_18transform_iteratorINSB_9not_fun_tI7is_trueIjEEESF_NSA_11use_defaultESM_EENS0_5tupleIJSF_S6_EEENSO_IJSG_SG_EEES6_PlJS6_EEE10hipError_tPvRmT3_T4_T5_T6_T7_T9_mT8_P12ihipStream_tbDpT10_ENKUlT_T0_E_clISt17integral_constantIbLb1EES1A_IbLb0EEEEDaS16_S17_EUlS16_E_NS1_11comp_targetILNS1_3genE3ELNS1_11target_archE908ELNS1_3gpuE7ELNS1_3repE0EEENS1_30default_config_static_selectorELNS0_4arch9wavefront6targetE0EEEvT1_,"axG",@progbits,_ZN7rocprim17ROCPRIM_400000_NS6detail17trampoline_kernelINS0_14default_configENS1_25partition_config_selectorILNS1_17partition_subalgoE5EjNS0_10empty_typeEbEEZZNS1_14partition_implILS5_5ELb0ES3_mN6thrust23THRUST_200600_302600_NS6detail15normal_iteratorINSA_10device_ptrIjEEEEPS6_NSA_18transform_iteratorINSB_9not_fun_tI7is_trueIjEEESF_NSA_11use_defaultESM_EENS0_5tupleIJSF_S6_EEENSO_IJSG_SG_EEES6_PlJS6_EEE10hipError_tPvRmT3_T4_T5_T6_T7_T9_mT8_P12ihipStream_tbDpT10_ENKUlT_T0_E_clISt17integral_constantIbLb1EES1A_IbLb0EEEEDaS16_S17_EUlS16_E_NS1_11comp_targetILNS1_3genE3ELNS1_11target_archE908ELNS1_3gpuE7ELNS1_3repE0EEENS1_30default_config_static_selectorELNS0_4arch9wavefront6targetE0EEEvT1_,comdat
.Lfunc_end1420:
	.size	_ZN7rocprim17ROCPRIM_400000_NS6detail17trampoline_kernelINS0_14default_configENS1_25partition_config_selectorILNS1_17partition_subalgoE5EjNS0_10empty_typeEbEEZZNS1_14partition_implILS5_5ELb0ES3_mN6thrust23THRUST_200600_302600_NS6detail15normal_iteratorINSA_10device_ptrIjEEEEPS6_NSA_18transform_iteratorINSB_9not_fun_tI7is_trueIjEEESF_NSA_11use_defaultESM_EENS0_5tupleIJSF_S6_EEENSO_IJSG_SG_EEES6_PlJS6_EEE10hipError_tPvRmT3_T4_T5_T6_T7_T9_mT8_P12ihipStream_tbDpT10_ENKUlT_T0_E_clISt17integral_constantIbLb1EES1A_IbLb0EEEEDaS16_S17_EUlS16_E_NS1_11comp_targetILNS1_3genE3ELNS1_11target_archE908ELNS1_3gpuE7ELNS1_3repE0EEENS1_30default_config_static_selectorELNS0_4arch9wavefront6targetE0EEEvT1_, .Lfunc_end1420-_ZN7rocprim17ROCPRIM_400000_NS6detail17trampoline_kernelINS0_14default_configENS1_25partition_config_selectorILNS1_17partition_subalgoE5EjNS0_10empty_typeEbEEZZNS1_14partition_implILS5_5ELb0ES3_mN6thrust23THRUST_200600_302600_NS6detail15normal_iteratorINSA_10device_ptrIjEEEEPS6_NSA_18transform_iteratorINSB_9not_fun_tI7is_trueIjEEESF_NSA_11use_defaultESM_EENS0_5tupleIJSF_S6_EEENSO_IJSG_SG_EEES6_PlJS6_EEE10hipError_tPvRmT3_T4_T5_T6_T7_T9_mT8_P12ihipStream_tbDpT10_ENKUlT_T0_E_clISt17integral_constantIbLb1EES1A_IbLb0EEEEDaS16_S17_EUlS16_E_NS1_11comp_targetILNS1_3genE3ELNS1_11target_archE908ELNS1_3gpuE7ELNS1_3repE0EEENS1_30default_config_static_selectorELNS0_4arch9wavefront6targetE0EEEvT1_
                                        ; -- End function
	.set _ZN7rocprim17ROCPRIM_400000_NS6detail17trampoline_kernelINS0_14default_configENS1_25partition_config_selectorILNS1_17partition_subalgoE5EjNS0_10empty_typeEbEEZZNS1_14partition_implILS5_5ELb0ES3_mN6thrust23THRUST_200600_302600_NS6detail15normal_iteratorINSA_10device_ptrIjEEEEPS6_NSA_18transform_iteratorINSB_9not_fun_tI7is_trueIjEEESF_NSA_11use_defaultESM_EENS0_5tupleIJSF_S6_EEENSO_IJSG_SG_EEES6_PlJS6_EEE10hipError_tPvRmT3_T4_T5_T6_T7_T9_mT8_P12ihipStream_tbDpT10_ENKUlT_T0_E_clISt17integral_constantIbLb1EES1A_IbLb0EEEEDaS16_S17_EUlS16_E_NS1_11comp_targetILNS1_3genE3ELNS1_11target_archE908ELNS1_3gpuE7ELNS1_3repE0EEENS1_30default_config_static_selectorELNS0_4arch9wavefront6targetE0EEEvT1_.num_vgpr, 0
	.set _ZN7rocprim17ROCPRIM_400000_NS6detail17trampoline_kernelINS0_14default_configENS1_25partition_config_selectorILNS1_17partition_subalgoE5EjNS0_10empty_typeEbEEZZNS1_14partition_implILS5_5ELb0ES3_mN6thrust23THRUST_200600_302600_NS6detail15normal_iteratorINSA_10device_ptrIjEEEEPS6_NSA_18transform_iteratorINSB_9not_fun_tI7is_trueIjEEESF_NSA_11use_defaultESM_EENS0_5tupleIJSF_S6_EEENSO_IJSG_SG_EEES6_PlJS6_EEE10hipError_tPvRmT3_T4_T5_T6_T7_T9_mT8_P12ihipStream_tbDpT10_ENKUlT_T0_E_clISt17integral_constantIbLb1EES1A_IbLb0EEEEDaS16_S17_EUlS16_E_NS1_11comp_targetILNS1_3genE3ELNS1_11target_archE908ELNS1_3gpuE7ELNS1_3repE0EEENS1_30default_config_static_selectorELNS0_4arch9wavefront6targetE0EEEvT1_.num_agpr, 0
	.set _ZN7rocprim17ROCPRIM_400000_NS6detail17trampoline_kernelINS0_14default_configENS1_25partition_config_selectorILNS1_17partition_subalgoE5EjNS0_10empty_typeEbEEZZNS1_14partition_implILS5_5ELb0ES3_mN6thrust23THRUST_200600_302600_NS6detail15normal_iteratorINSA_10device_ptrIjEEEEPS6_NSA_18transform_iteratorINSB_9not_fun_tI7is_trueIjEEESF_NSA_11use_defaultESM_EENS0_5tupleIJSF_S6_EEENSO_IJSG_SG_EEES6_PlJS6_EEE10hipError_tPvRmT3_T4_T5_T6_T7_T9_mT8_P12ihipStream_tbDpT10_ENKUlT_T0_E_clISt17integral_constantIbLb1EES1A_IbLb0EEEEDaS16_S17_EUlS16_E_NS1_11comp_targetILNS1_3genE3ELNS1_11target_archE908ELNS1_3gpuE7ELNS1_3repE0EEENS1_30default_config_static_selectorELNS0_4arch9wavefront6targetE0EEEvT1_.numbered_sgpr, 0
	.set _ZN7rocprim17ROCPRIM_400000_NS6detail17trampoline_kernelINS0_14default_configENS1_25partition_config_selectorILNS1_17partition_subalgoE5EjNS0_10empty_typeEbEEZZNS1_14partition_implILS5_5ELb0ES3_mN6thrust23THRUST_200600_302600_NS6detail15normal_iteratorINSA_10device_ptrIjEEEEPS6_NSA_18transform_iteratorINSB_9not_fun_tI7is_trueIjEEESF_NSA_11use_defaultESM_EENS0_5tupleIJSF_S6_EEENSO_IJSG_SG_EEES6_PlJS6_EEE10hipError_tPvRmT3_T4_T5_T6_T7_T9_mT8_P12ihipStream_tbDpT10_ENKUlT_T0_E_clISt17integral_constantIbLb1EES1A_IbLb0EEEEDaS16_S17_EUlS16_E_NS1_11comp_targetILNS1_3genE3ELNS1_11target_archE908ELNS1_3gpuE7ELNS1_3repE0EEENS1_30default_config_static_selectorELNS0_4arch9wavefront6targetE0EEEvT1_.num_named_barrier, 0
	.set _ZN7rocprim17ROCPRIM_400000_NS6detail17trampoline_kernelINS0_14default_configENS1_25partition_config_selectorILNS1_17partition_subalgoE5EjNS0_10empty_typeEbEEZZNS1_14partition_implILS5_5ELb0ES3_mN6thrust23THRUST_200600_302600_NS6detail15normal_iteratorINSA_10device_ptrIjEEEEPS6_NSA_18transform_iteratorINSB_9not_fun_tI7is_trueIjEEESF_NSA_11use_defaultESM_EENS0_5tupleIJSF_S6_EEENSO_IJSG_SG_EEES6_PlJS6_EEE10hipError_tPvRmT3_T4_T5_T6_T7_T9_mT8_P12ihipStream_tbDpT10_ENKUlT_T0_E_clISt17integral_constantIbLb1EES1A_IbLb0EEEEDaS16_S17_EUlS16_E_NS1_11comp_targetILNS1_3genE3ELNS1_11target_archE908ELNS1_3gpuE7ELNS1_3repE0EEENS1_30default_config_static_selectorELNS0_4arch9wavefront6targetE0EEEvT1_.private_seg_size, 0
	.set _ZN7rocprim17ROCPRIM_400000_NS6detail17trampoline_kernelINS0_14default_configENS1_25partition_config_selectorILNS1_17partition_subalgoE5EjNS0_10empty_typeEbEEZZNS1_14partition_implILS5_5ELb0ES3_mN6thrust23THRUST_200600_302600_NS6detail15normal_iteratorINSA_10device_ptrIjEEEEPS6_NSA_18transform_iteratorINSB_9not_fun_tI7is_trueIjEEESF_NSA_11use_defaultESM_EENS0_5tupleIJSF_S6_EEENSO_IJSG_SG_EEES6_PlJS6_EEE10hipError_tPvRmT3_T4_T5_T6_T7_T9_mT8_P12ihipStream_tbDpT10_ENKUlT_T0_E_clISt17integral_constantIbLb1EES1A_IbLb0EEEEDaS16_S17_EUlS16_E_NS1_11comp_targetILNS1_3genE3ELNS1_11target_archE908ELNS1_3gpuE7ELNS1_3repE0EEENS1_30default_config_static_selectorELNS0_4arch9wavefront6targetE0EEEvT1_.uses_vcc, 0
	.set _ZN7rocprim17ROCPRIM_400000_NS6detail17trampoline_kernelINS0_14default_configENS1_25partition_config_selectorILNS1_17partition_subalgoE5EjNS0_10empty_typeEbEEZZNS1_14partition_implILS5_5ELb0ES3_mN6thrust23THRUST_200600_302600_NS6detail15normal_iteratorINSA_10device_ptrIjEEEEPS6_NSA_18transform_iteratorINSB_9not_fun_tI7is_trueIjEEESF_NSA_11use_defaultESM_EENS0_5tupleIJSF_S6_EEENSO_IJSG_SG_EEES6_PlJS6_EEE10hipError_tPvRmT3_T4_T5_T6_T7_T9_mT8_P12ihipStream_tbDpT10_ENKUlT_T0_E_clISt17integral_constantIbLb1EES1A_IbLb0EEEEDaS16_S17_EUlS16_E_NS1_11comp_targetILNS1_3genE3ELNS1_11target_archE908ELNS1_3gpuE7ELNS1_3repE0EEENS1_30default_config_static_selectorELNS0_4arch9wavefront6targetE0EEEvT1_.uses_flat_scratch, 0
	.set _ZN7rocprim17ROCPRIM_400000_NS6detail17trampoline_kernelINS0_14default_configENS1_25partition_config_selectorILNS1_17partition_subalgoE5EjNS0_10empty_typeEbEEZZNS1_14partition_implILS5_5ELb0ES3_mN6thrust23THRUST_200600_302600_NS6detail15normal_iteratorINSA_10device_ptrIjEEEEPS6_NSA_18transform_iteratorINSB_9not_fun_tI7is_trueIjEEESF_NSA_11use_defaultESM_EENS0_5tupleIJSF_S6_EEENSO_IJSG_SG_EEES6_PlJS6_EEE10hipError_tPvRmT3_T4_T5_T6_T7_T9_mT8_P12ihipStream_tbDpT10_ENKUlT_T0_E_clISt17integral_constantIbLb1EES1A_IbLb0EEEEDaS16_S17_EUlS16_E_NS1_11comp_targetILNS1_3genE3ELNS1_11target_archE908ELNS1_3gpuE7ELNS1_3repE0EEENS1_30default_config_static_selectorELNS0_4arch9wavefront6targetE0EEEvT1_.has_dyn_sized_stack, 0
	.set _ZN7rocprim17ROCPRIM_400000_NS6detail17trampoline_kernelINS0_14default_configENS1_25partition_config_selectorILNS1_17partition_subalgoE5EjNS0_10empty_typeEbEEZZNS1_14partition_implILS5_5ELb0ES3_mN6thrust23THRUST_200600_302600_NS6detail15normal_iteratorINSA_10device_ptrIjEEEEPS6_NSA_18transform_iteratorINSB_9not_fun_tI7is_trueIjEEESF_NSA_11use_defaultESM_EENS0_5tupleIJSF_S6_EEENSO_IJSG_SG_EEES6_PlJS6_EEE10hipError_tPvRmT3_T4_T5_T6_T7_T9_mT8_P12ihipStream_tbDpT10_ENKUlT_T0_E_clISt17integral_constantIbLb1EES1A_IbLb0EEEEDaS16_S17_EUlS16_E_NS1_11comp_targetILNS1_3genE3ELNS1_11target_archE908ELNS1_3gpuE7ELNS1_3repE0EEENS1_30default_config_static_selectorELNS0_4arch9wavefront6targetE0EEEvT1_.has_recursion, 0
	.set _ZN7rocprim17ROCPRIM_400000_NS6detail17trampoline_kernelINS0_14default_configENS1_25partition_config_selectorILNS1_17partition_subalgoE5EjNS0_10empty_typeEbEEZZNS1_14partition_implILS5_5ELb0ES3_mN6thrust23THRUST_200600_302600_NS6detail15normal_iteratorINSA_10device_ptrIjEEEEPS6_NSA_18transform_iteratorINSB_9not_fun_tI7is_trueIjEEESF_NSA_11use_defaultESM_EENS0_5tupleIJSF_S6_EEENSO_IJSG_SG_EEES6_PlJS6_EEE10hipError_tPvRmT3_T4_T5_T6_T7_T9_mT8_P12ihipStream_tbDpT10_ENKUlT_T0_E_clISt17integral_constantIbLb1EES1A_IbLb0EEEEDaS16_S17_EUlS16_E_NS1_11comp_targetILNS1_3genE3ELNS1_11target_archE908ELNS1_3gpuE7ELNS1_3repE0EEENS1_30default_config_static_selectorELNS0_4arch9wavefront6targetE0EEEvT1_.has_indirect_call, 0
	.section	.AMDGPU.csdata,"",@progbits
; Kernel info:
; codeLenInByte = 0
; TotalNumSgprs: 0
; NumVgprs: 0
; ScratchSize: 0
; MemoryBound: 0
; FloatMode: 240
; IeeeMode: 1
; LDSByteSize: 0 bytes/workgroup (compile time only)
; SGPRBlocks: 0
; VGPRBlocks: 0
; NumSGPRsForWavesPerEU: 1
; NumVGPRsForWavesPerEU: 1
; Occupancy: 16
; WaveLimiterHint : 0
; COMPUTE_PGM_RSRC2:SCRATCH_EN: 0
; COMPUTE_PGM_RSRC2:USER_SGPR: 2
; COMPUTE_PGM_RSRC2:TRAP_HANDLER: 0
; COMPUTE_PGM_RSRC2:TGID_X_EN: 1
; COMPUTE_PGM_RSRC2:TGID_Y_EN: 0
; COMPUTE_PGM_RSRC2:TGID_Z_EN: 0
; COMPUTE_PGM_RSRC2:TIDIG_COMP_CNT: 0
	.section	.text._ZN7rocprim17ROCPRIM_400000_NS6detail17trampoline_kernelINS0_14default_configENS1_25partition_config_selectorILNS1_17partition_subalgoE5EjNS0_10empty_typeEbEEZZNS1_14partition_implILS5_5ELb0ES3_mN6thrust23THRUST_200600_302600_NS6detail15normal_iteratorINSA_10device_ptrIjEEEEPS6_NSA_18transform_iteratorINSB_9not_fun_tI7is_trueIjEEESF_NSA_11use_defaultESM_EENS0_5tupleIJSF_S6_EEENSO_IJSG_SG_EEES6_PlJS6_EEE10hipError_tPvRmT3_T4_T5_T6_T7_T9_mT8_P12ihipStream_tbDpT10_ENKUlT_T0_E_clISt17integral_constantIbLb1EES1A_IbLb0EEEEDaS16_S17_EUlS16_E_NS1_11comp_targetILNS1_3genE2ELNS1_11target_archE906ELNS1_3gpuE6ELNS1_3repE0EEENS1_30default_config_static_selectorELNS0_4arch9wavefront6targetE0EEEvT1_,"axG",@progbits,_ZN7rocprim17ROCPRIM_400000_NS6detail17trampoline_kernelINS0_14default_configENS1_25partition_config_selectorILNS1_17partition_subalgoE5EjNS0_10empty_typeEbEEZZNS1_14partition_implILS5_5ELb0ES3_mN6thrust23THRUST_200600_302600_NS6detail15normal_iteratorINSA_10device_ptrIjEEEEPS6_NSA_18transform_iteratorINSB_9not_fun_tI7is_trueIjEEESF_NSA_11use_defaultESM_EENS0_5tupleIJSF_S6_EEENSO_IJSG_SG_EEES6_PlJS6_EEE10hipError_tPvRmT3_T4_T5_T6_T7_T9_mT8_P12ihipStream_tbDpT10_ENKUlT_T0_E_clISt17integral_constantIbLb1EES1A_IbLb0EEEEDaS16_S17_EUlS16_E_NS1_11comp_targetILNS1_3genE2ELNS1_11target_archE906ELNS1_3gpuE6ELNS1_3repE0EEENS1_30default_config_static_selectorELNS0_4arch9wavefront6targetE0EEEvT1_,comdat
	.protected	_ZN7rocprim17ROCPRIM_400000_NS6detail17trampoline_kernelINS0_14default_configENS1_25partition_config_selectorILNS1_17partition_subalgoE5EjNS0_10empty_typeEbEEZZNS1_14partition_implILS5_5ELb0ES3_mN6thrust23THRUST_200600_302600_NS6detail15normal_iteratorINSA_10device_ptrIjEEEEPS6_NSA_18transform_iteratorINSB_9not_fun_tI7is_trueIjEEESF_NSA_11use_defaultESM_EENS0_5tupleIJSF_S6_EEENSO_IJSG_SG_EEES6_PlJS6_EEE10hipError_tPvRmT3_T4_T5_T6_T7_T9_mT8_P12ihipStream_tbDpT10_ENKUlT_T0_E_clISt17integral_constantIbLb1EES1A_IbLb0EEEEDaS16_S17_EUlS16_E_NS1_11comp_targetILNS1_3genE2ELNS1_11target_archE906ELNS1_3gpuE6ELNS1_3repE0EEENS1_30default_config_static_selectorELNS0_4arch9wavefront6targetE0EEEvT1_ ; -- Begin function _ZN7rocprim17ROCPRIM_400000_NS6detail17trampoline_kernelINS0_14default_configENS1_25partition_config_selectorILNS1_17partition_subalgoE5EjNS0_10empty_typeEbEEZZNS1_14partition_implILS5_5ELb0ES3_mN6thrust23THRUST_200600_302600_NS6detail15normal_iteratorINSA_10device_ptrIjEEEEPS6_NSA_18transform_iteratorINSB_9not_fun_tI7is_trueIjEEESF_NSA_11use_defaultESM_EENS0_5tupleIJSF_S6_EEENSO_IJSG_SG_EEES6_PlJS6_EEE10hipError_tPvRmT3_T4_T5_T6_T7_T9_mT8_P12ihipStream_tbDpT10_ENKUlT_T0_E_clISt17integral_constantIbLb1EES1A_IbLb0EEEEDaS16_S17_EUlS16_E_NS1_11comp_targetILNS1_3genE2ELNS1_11target_archE906ELNS1_3gpuE6ELNS1_3repE0EEENS1_30default_config_static_selectorELNS0_4arch9wavefront6targetE0EEEvT1_
	.globl	_ZN7rocprim17ROCPRIM_400000_NS6detail17trampoline_kernelINS0_14default_configENS1_25partition_config_selectorILNS1_17partition_subalgoE5EjNS0_10empty_typeEbEEZZNS1_14partition_implILS5_5ELb0ES3_mN6thrust23THRUST_200600_302600_NS6detail15normal_iteratorINSA_10device_ptrIjEEEEPS6_NSA_18transform_iteratorINSB_9not_fun_tI7is_trueIjEEESF_NSA_11use_defaultESM_EENS0_5tupleIJSF_S6_EEENSO_IJSG_SG_EEES6_PlJS6_EEE10hipError_tPvRmT3_T4_T5_T6_T7_T9_mT8_P12ihipStream_tbDpT10_ENKUlT_T0_E_clISt17integral_constantIbLb1EES1A_IbLb0EEEEDaS16_S17_EUlS16_E_NS1_11comp_targetILNS1_3genE2ELNS1_11target_archE906ELNS1_3gpuE6ELNS1_3repE0EEENS1_30default_config_static_selectorELNS0_4arch9wavefront6targetE0EEEvT1_
	.p2align	8
	.type	_ZN7rocprim17ROCPRIM_400000_NS6detail17trampoline_kernelINS0_14default_configENS1_25partition_config_selectorILNS1_17partition_subalgoE5EjNS0_10empty_typeEbEEZZNS1_14partition_implILS5_5ELb0ES3_mN6thrust23THRUST_200600_302600_NS6detail15normal_iteratorINSA_10device_ptrIjEEEEPS6_NSA_18transform_iteratorINSB_9not_fun_tI7is_trueIjEEESF_NSA_11use_defaultESM_EENS0_5tupleIJSF_S6_EEENSO_IJSG_SG_EEES6_PlJS6_EEE10hipError_tPvRmT3_T4_T5_T6_T7_T9_mT8_P12ihipStream_tbDpT10_ENKUlT_T0_E_clISt17integral_constantIbLb1EES1A_IbLb0EEEEDaS16_S17_EUlS16_E_NS1_11comp_targetILNS1_3genE2ELNS1_11target_archE906ELNS1_3gpuE6ELNS1_3repE0EEENS1_30default_config_static_selectorELNS0_4arch9wavefront6targetE0EEEvT1_,@function
_ZN7rocprim17ROCPRIM_400000_NS6detail17trampoline_kernelINS0_14default_configENS1_25partition_config_selectorILNS1_17partition_subalgoE5EjNS0_10empty_typeEbEEZZNS1_14partition_implILS5_5ELb0ES3_mN6thrust23THRUST_200600_302600_NS6detail15normal_iteratorINSA_10device_ptrIjEEEEPS6_NSA_18transform_iteratorINSB_9not_fun_tI7is_trueIjEEESF_NSA_11use_defaultESM_EENS0_5tupleIJSF_S6_EEENSO_IJSG_SG_EEES6_PlJS6_EEE10hipError_tPvRmT3_T4_T5_T6_T7_T9_mT8_P12ihipStream_tbDpT10_ENKUlT_T0_E_clISt17integral_constantIbLb1EES1A_IbLb0EEEEDaS16_S17_EUlS16_E_NS1_11comp_targetILNS1_3genE2ELNS1_11target_archE906ELNS1_3gpuE6ELNS1_3repE0EEENS1_30default_config_static_selectorELNS0_4arch9wavefront6targetE0EEEvT1_: ; @_ZN7rocprim17ROCPRIM_400000_NS6detail17trampoline_kernelINS0_14default_configENS1_25partition_config_selectorILNS1_17partition_subalgoE5EjNS0_10empty_typeEbEEZZNS1_14partition_implILS5_5ELb0ES3_mN6thrust23THRUST_200600_302600_NS6detail15normal_iteratorINSA_10device_ptrIjEEEEPS6_NSA_18transform_iteratorINSB_9not_fun_tI7is_trueIjEEESF_NSA_11use_defaultESM_EENS0_5tupleIJSF_S6_EEENSO_IJSG_SG_EEES6_PlJS6_EEE10hipError_tPvRmT3_T4_T5_T6_T7_T9_mT8_P12ihipStream_tbDpT10_ENKUlT_T0_E_clISt17integral_constantIbLb1EES1A_IbLb0EEEEDaS16_S17_EUlS16_E_NS1_11comp_targetILNS1_3genE2ELNS1_11target_archE906ELNS1_3gpuE6ELNS1_3repE0EEENS1_30default_config_static_selectorELNS0_4arch9wavefront6targetE0EEEvT1_
; %bb.0:
	.section	.rodata,"a",@progbits
	.p2align	6, 0x0
	.amdhsa_kernel _ZN7rocprim17ROCPRIM_400000_NS6detail17trampoline_kernelINS0_14default_configENS1_25partition_config_selectorILNS1_17partition_subalgoE5EjNS0_10empty_typeEbEEZZNS1_14partition_implILS5_5ELb0ES3_mN6thrust23THRUST_200600_302600_NS6detail15normal_iteratorINSA_10device_ptrIjEEEEPS6_NSA_18transform_iteratorINSB_9not_fun_tI7is_trueIjEEESF_NSA_11use_defaultESM_EENS0_5tupleIJSF_S6_EEENSO_IJSG_SG_EEES6_PlJS6_EEE10hipError_tPvRmT3_T4_T5_T6_T7_T9_mT8_P12ihipStream_tbDpT10_ENKUlT_T0_E_clISt17integral_constantIbLb1EES1A_IbLb0EEEEDaS16_S17_EUlS16_E_NS1_11comp_targetILNS1_3genE2ELNS1_11target_archE906ELNS1_3gpuE6ELNS1_3repE0EEENS1_30default_config_static_selectorELNS0_4arch9wavefront6targetE0EEEvT1_
		.amdhsa_group_segment_fixed_size 0
		.amdhsa_private_segment_fixed_size 0
		.amdhsa_kernarg_size 120
		.amdhsa_user_sgpr_count 2
		.amdhsa_user_sgpr_dispatch_ptr 0
		.amdhsa_user_sgpr_queue_ptr 0
		.amdhsa_user_sgpr_kernarg_segment_ptr 1
		.amdhsa_user_sgpr_dispatch_id 0
		.amdhsa_user_sgpr_private_segment_size 0
		.amdhsa_wavefront_size32 1
		.amdhsa_uses_dynamic_stack 0
		.amdhsa_enable_private_segment 0
		.amdhsa_system_sgpr_workgroup_id_x 1
		.amdhsa_system_sgpr_workgroup_id_y 0
		.amdhsa_system_sgpr_workgroup_id_z 0
		.amdhsa_system_sgpr_workgroup_info 0
		.amdhsa_system_vgpr_workitem_id 0
		.amdhsa_next_free_vgpr 1
		.amdhsa_next_free_sgpr 1
		.amdhsa_reserve_vcc 0
		.amdhsa_float_round_mode_32 0
		.amdhsa_float_round_mode_16_64 0
		.amdhsa_float_denorm_mode_32 3
		.amdhsa_float_denorm_mode_16_64 3
		.amdhsa_fp16_overflow 0
		.amdhsa_workgroup_processor_mode 1
		.amdhsa_memory_ordered 1
		.amdhsa_forward_progress 1
		.amdhsa_inst_pref_size 0
		.amdhsa_round_robin_scheduling 0
		.amdhsa_exception_fp_ieee_invalid_op 0
		.amdhsa_exception_fp_denorm_src 0
		.amdhsa_exception_fp_ieee_div_zero 0
		.amdhsa_exception_fp_ieee_overflow 0
		.amdhsa_exception_fp_ieee_underflow 0
		.amdhsa_exception_fp_ieee_inexact 0
		.amdhsa_exception_int_div_zero 0
	.end_amdhsa_kernel
	.section	.text._ZN7rocprim17ROCPRIM_400000_NS6detail17trampoline_kernelINS0_14default_configENS1_25partition_config_selectorILNS1_17partition_subalgoE5EjNS0_10empty_typeEbEEZZNS1_14partition_implILS5_5ELb0ES3_mN6thrust23THRUST_200600_302600_NS6detail15normal_iteratorINSA_10device_ptrIjEEEEPS6_NSA_18transform_iteratorINSB_9not_fun_tI7is_trueIjEEESF_NSA_11use_defaultESM_EENS0_5tupleIJSF_S6_EEENSO_IJSG_SG_EEES6_PlJS6_EEE10hipError_tPvRmT3_T4_T5_T6_T7_T9_mT8_P12ihipStream_tbDpT10_ENKUlT_T0_E_clISt17integral_constantIbLb1EES1A_IbLb0EEEEDaS16_S17_EUlS16_E_NS1_11comp_targetILNS1_3genE2ELNS1_11target_archE906ELNS1_3gpuE6ELNS1_3repE0EEENS1_30default_config_static_selectorELNS0_4arch9wavefront6targetE0EEEvT1_,"axG",@progbits,_ZN7rocprim17ROCPRIM_400000_NS6detail17trampoline_kernelINS0_14default_configENS1_25partition_config_selectorILNS1_17partition_subalgoE5EjNS0_10empty_typeEbEEZZNS1_14partition_implILS5_5ELb0ES3_mN6thrust23THRUST_200600_302600_NS6detail15normal_iteratorINSA_10device_ptrIjEEEEPS6_NSA_18transform_iteratorINSB_9not_fun_tI7is_trueIjEEESF_NSA_11use_defaultESM_EENS0_5tupleIJSF_S6_EEENSO_IJSG_SG_EEES6_PlJS6_EEE10hipError_tPvRmT3_T4_T5_T6_T7_T9_mT8_P12ihipStream_tbDpT10_ENKUlT_T0_E_clISt17integral_constantIbLb1EES1A_IbLb0EEEEDaS16_S17_EUlS16_E_NS1_11comp_targetILNS1_3genE2ELNS1_11target_archE906ELNS1_3gpuE6ELNS1_3repE0EEENS1_30default_config_static_selectorELNS0_4arch9wavefront6targetE0EEEvT1_,comdat
.Lfunc_end1421:
	.size	_ZN7rocprim17ROCPRIM_400000_NS6detail17trampoline_kernelINS0_14default_configENS1_25partition_config_selectorILNS1_17partition_subalgoE5EjNS0_10empty_typeEbEEZZNS1_14partition_implILS5_5ELb0ES3_mN6thrust23THRUST_200600_302600_NS6detail15normal_iteratorINSA_10device_ptrIjEEEEPS6_NSA_18transform_iteratorINSB_9not_fun_tI7is_trueIjEEESF_NSA_11use_defaultESM_EENS0_5tupleIJSF_S6_EEENSO_IJSG_SG_EEES6_PlJS6_EEE10hipError_tPvRmT3_T4_T5_T6_T7_T9_mT8_P12ihipStream_tbDpT10_ENKUlT_T0_E_clISt17integral_constantIbLb1EES1A_IbLb0EEEEDaS16_S17_EUlS16_E_NS1_11comp_targetILNS1_3genE2ELNS1_11target_archE906ELNS1_3gpuE6ELNS1_3repE0EEENS1_30default_config_static_selectorELNS0_4arch9wavefront6targetE0EEEvT1_, .Lfunc_end1421-_ZN7rocprim17ROCPRIM_400000_NS6detail17trampoline_kernelINS0_14default_configENS1_25partition_config_selectorILNS1_17partition_subalgoE5EjNS0_10empty_typeEbEEZZNS1_14partition_implILS5_5ELb0ES3_mN6thrust23THRUST_200600_302600_NS6detail15normal_iteratorINSA_10device_ptrIjEEEEPS6_NSA_18transform_iteratorINSB_9not_fun_tI7is_trueIjEEESF_NSA_11use_defaultESM_EENS0_5tupleIJSF_S6_EEENSO_IJSG_SG_EEES6_PlJS6_EEE10hipError_tPvRmT3_T4_T5_T6_T7_T9_mT8_P12ihipStream_tbDpT10_ENKUlT_T0_E_clISt17integral_constantIbLb1EES1A_IbLb0EEEEDaS16_S17_EUlS16_E_NS1_11comp_targetILNS1_3genE2ELNS1_11target_archE906ELNS1_3gpuE6ELNS1_3repE0EEENS1_30default_config_static_selectorELNS0_4arch9wavefront6targetE0EEEvT1_
                                        ; -- End function
	.set _ZN7rocprim17ROCPRIM_400000_NS6detail17trampoline_kernelINS0_14default_configENS1_25partition_config_selectorILNS1_17partition_subalgoE5EjNS0_10empty_typeEbEEZZNS1_14partition_implILS5_5ELb0ES3_mN6thrust23THRUST_200600_302600_NS6detail15normal_iteratorINSA_10device_ptrIjEEEEPS6_NSA_18transform_iteratorINSB_9not_fun_tI7is_trueIjEEESF_NSA_11use_defaultESM_EENS0_5tupleIJSF_S6_EEENSO_IJSG_SG_EEES6_PlJS6_EEE10hipError_tPvRmT3_T4_T5_T6_T7_T9_mT8_P12ihipStream_tbDpT10_ENKUlT_T0_E_clISt17integral_constantIbLb1EES1A_IbLb0EEEEDaS16_S17_EUlS16_E_NS1_11comp_targetILNS1_3genE2ELNS1_11target_archE906ELNS1_3gpuE6ELNS1_3repE0EEENS1_30default_config_static_selectorELNS0_4arch9wavefront6targetE0EEEvT1_.num_vgpr, 0
	.set _ZN7rocprim17ROCPRIM_400000_NS6detail17trampoline_kernelINS0_14default_configENS1_25partition_config_selectorILNS1_17partition_subalgoE5EjNS0_10empty_typeEbEEZZNS1_14partition_implILS5_5ELb0ES3_mN6thrust23THRUST_200600_302600_NS6detail15normal_iteratorINSA_10device_ptrIjEEEEPS6_NSA_18transform_iteratorINSB_9not_fun_tI7is_trueIjEEESF_NSA_11use_defaultESM_EENS0_5tupleIJSF_S6_EEENSO_IJSG_SG_EEES6_PlJS6_EEE10hipError_tPvRmT3_T4_T5_T6_T7_T9_mT8_P12ihipStream_tbDpT10_ENKUlT_T0_E_clISt17integral_constantIbLb1EES1A_IbLb0EEEEDaS16_S17_EUlS16_E_NS1_11comp_targetILNS1_3genE2ELNS1_11target_archE906ELNS1_3gpuE6ELNS1_3repE0EEENS1_30default_config_static_selectorELNS0_4arch9wavefront6targetE0EEEvT1_.num_agpr, 0
	.set _ZN7rocprim17ROCPRIM_400000_NS6detail17trampoline_kernelINS0_14default_configENS1_25partition_config_selectorILNS1_17partition_subalgoE5EjNS0_10empty_typeEbEEZZNS1_14partition_implILS5_5ELb0ES3_mN6thrust23THRUST_200600_302600_NS6detail15normal_iteratorINSA_10device_ptrIjEEEEPS6_NSA_18transform_iteratorINSB_9not_fun_tI7is_trueIjEEESF_NSA_11use_defaultESM_EENS0_5tupleIJSF_S6_EEENSO_IJSG_SG_EEES6_PlJS6_EEE10hipError_tPvRmT3_T4_T5_T6_T7_T9_mT8_P12ihipStream_tbDpT10_ENKUlT_T0_E_clISt17integral_constantIbLb1EES1A_IbLb0EEEEDaS16_S17_EUlS16_E_NS1_11comp_targetILNS1_3genE2ELNS1_11target_archE906ELNS1_3gpuE6ELNS1_3repE0EEENS1_30default_config_static_selectorELNS0_4arch9wavefront6targetE0EEEvT1_.numbered_sgpr, 0
	.set _ZN7rocprim17ROCPRIM_400000_NS6detail17trampoline_kernelINS0_14default_configENS1_25partition_config_selectorILNS1_17partition_subalgoE5EjNS0_10empty_typeEbEEZZNS1_14partition_implILS5_5ELb0ES3_mN6thrust23THRUST_200600_302600_NS6detail15normal_iteratorINSA_10device_ptrIjEEEEPS6_NSA_18transform_iteratorINSB_9not_fun_tI7is_trueIjEEESF_NSA_11use_defaultESM_EENS0_5tupleIJSF_S6_EEENSO_IJSG_SG_EEES6_PlJS6_EEE10hipError_tPvRmT3_T4_T5_T6_T7_T9_mT8_P12ihipStream_tbDpT10_ENKUlT_T0_E_clISt17integral_constantIbLb1EES1A_IbLb0EEEEDaS16_S17_EUlS16_E_NS1_11comp_targetILNS1_3genE2ELNS1_11target_archE906ELNS1_3gpuE6ELNS1_3repE0EEENS1_30default_config_static_selectorELNS0_4arch9wavefront6targetE0EEEvT1_.num_named_barrier, 0
	.set _ZN7rocprim17ROCPRIM_400000_NS6detail17trampoline_kernelINS0_14default_configENS1_25partition_config_selectorILNS1_17partition_subalgoE5EjNS0_10empty_typeEbEEZZNS1_14partition_implILS5_5ELb0ES3_mN6thrust23THRUST_200600_302600_NS6detail15normal_iteratorINSA_10device_ptrIjEEEEPS6_NSA_18transform_iteratorINSB_9not_fun_tI7is_trueIjEEESF_NSA_11use_defaultESM_EENS0_5tupleIJSF_S6_EEENSO_IJSG_SG_EEES6_PlJS6_EEE10hipError_tPvRmT3_T4_T5_T6_T7_T9_mT8_P12ihipStream_tbDpT10_ENKUlT_T0_E_clISt17integral_constantIbLb1EES1A_IbLb0EEEEDaS16_S17_EUlS16_E_NS1_11comp_targetILNS1_3genE2ELNS1_11target_archE906ELNS1_3gpuE6ELNS1_3repE0EEENS1_30default_config_static_selectorELNS0_4arch9wavefront6targetE0EEEvT1_.private_seg_size, 0
	.set _ZN7rocprim17ROCPRIM_400000_NS6detail17trampoline_kernelINS0_14default_configENS1_25partition_config_selectorILNS1_17partition_subalgoE5EjNS0_10empty_typeEbEEZZNS1_14partition_implILS5_5ELb0ES3_mN6thrust23THRUST_200600_302600_NS6detail15normal_iteratorINSA_10device_ptrIjEEEEPS6_NSA_18transform_iteratorINSB_9not_fun_tI7is_trueIjEEESF_NSA_11use_defaultESM_EENS0_5tupleIJSF_S6_EEENSO_IJSG_SG_EEES6_PlJS6_EEE10hipError_tPvRmT3_T4_T5_T6_T7_T9_mT8_P12ihipStream_tbDpT10_ENKUlT_T0_E_clISt17integral_constantIbLb1EES1A_IbLb0EEEEDaS16_S17_EUlS16_E_NS1_11comp_targetILNS1_3genE2ELNS1_11target_archE906ELNS1_3gpuE6ELNS1_3repE0EEENS1_30default_config_static_selectorELNS0_4arch9wavefront6targetE0EEEvT1_.uses_vcc, 0
	.set _ZN7rocprim17ROCPRIM_400000_NS6detail17trampoline_kernelINS0_14default_configENS1_25partition_config_selectorILNS1_17partition_subalgoE5EjNS0_10empty_typeEbEEZZNS1_14partition_implILS5_5ELb0ES3_mN6thrust23THRUST_200600_302600_NS6detail15normal_iteratorINSA_10device_ptrIjEEEEPS6_NSA_18transform_iteratorINSB_9not_fun_tI7is_trueIjEEESF_NSA_11use_defaultESM_EENS0_5tupleIJSF_S6_EEENSO_IJSG_SG_EEES6_PlJS6_EEE10hipError_tPvRmT3_T4_T5_T6_T7_T9_mT8_P12ihipStream_tbDpT10_ENKUlT_T0_E_clISt17integral_constantIbLb1EES1A_IbLb0EEEEDaS16_S17_EUlS16_E_NS1_11comp_targetILNS1_3genE2ELNS1_11target_archE906ELNS1_3gpuE6ELNS1_3repE0EEENS1_30default_config_static_selectorELNS0_4arch9wavefront6targetE0EEEvT1_.uses_flat_scratch, 0
	.set _ZN7rocprim17ROCPRIM_400000_NS6detail17trampoline_kernelINS0_14default_configENS1_25partition_config_selectorILNS1_17partition_subalgoE5EjNS0_10empty_typeEbEEZZNS1_14partition_implILS5_5ELb0ES3_mN6thrust23THRUST_200600_302600_NS6detail15normal_iteratorINSA_10device_ptrIjEEEEPS6_NSA_18transform_iteratorINSB_9not_fun_tI7is_trueIjEEESF_NSA_11use_defaultESM_EENS0_5tupleIJSF_S6_EEENSO_IJSG_SG_EEES6_PlJS6_EEE10hipError_tPvRmT3_T4_T5_T6_T7_T9_mT8_P12ihipStream_tbDpT10_ENKUlT_T0_E_clISt17integral_constantIbLb1EES1A_IbLb0EEEEDaS16_S17_EUlS16_E_NS1_11comp_targetILNS1_3genE2ELNS1_11target_archE906ELNS1_3gpuE6ELNS1_3repE0EEENS1_30default_config_static_selectorELNS0_4arch9wavefront6targetE0EEEvT1_.has_dyn_sized_stack, 0
	.set _ZN7rocprim17ROCPRIM_400000_NS6detail17trampoline_kernelINS0_14default_configENS1_25partition_config_selectorILNS1_17partition_subalgoE5EjNS0_10empty_typeEbEEZZNS1_14partition_implILS5_5ELb0ES3_mN6thrust23THRUST_200600_302600_NS6detail15normal_iteratorINSA_10device_ptrIjEEEEPS6_NSA_18transform_iteratorINSB_9not_fun_tI7is_trueIjEEESF_NSA_11use_defaultESM_EENS0_5tupleIJSF_S6_EEENSO_IJSG_SG_EEES6_PlJS6_EEE10hipError_tPvRmT3_T4_T5_T6_T7_T9_mT8_P12ihipStream_tbDpT10_ENKUlT_T0_E_clISt17integral_constantIbLb1EES1A_IbLb0EEEEDaS16_S17_EUlS16_E_NS1_11comp_targetILNS1_3genE2ELNS1_11target_archE906ELNS1_3gpuE6ELNS1_3repE0EEENS1_30default_config_static_selectorELNS0_4arch9wavefront6targetE0EEEvT1_.has_recursion, 0
	.set _ZN7rocprim17ROCPRIM_400000_NS6detail17trampoline_kernelINS0_14default_configENS1_25partition_config_selectorILNS1_17partition_subalgoE5EjNS0_10empty_typeEbEEZZNS1_14partition_implILS5_5ELb0ES3_mN6thrust23THRUST_200600_302600_NS6detail15normal_iteratorINSA_10device_ptrIjEEEEPS6_NSA_18transform_iteratorINSB_9not_fun_tI7is_trueIjEEESF_NSA_11use_defaultESM_EENS0_5tupleIJSF_S6_EEENSO_IJSG_SG_EEES6_PlJS6_EEE10hipError_tPvRmT3_T4_T5_T6_T7_T9_mT8_P12ihipStream_tbDpT10_ENKUlT_T0_E_clISt17integral_constantIbLb1EES1A_IbLb0EEEEDaS16_S17_EUlS16_E_NS1_11comp_targetILNS1_3genE2ELNS1_11target_archE906ELNS1_3gpuE6ELNS1_3repE0EEENS1_30default_config_static_selectorELNS0_4arch9wavefront6targetE0EEEvT1_.has_indirect_call, 0
	.section	.AMDGPU.csdata,"",@progbits
; Kernel info:
; codeLenInByte = 0
; TotalNumSgprs: 0
; NumVgprs: 0
; ScratchSize: 0
; MemoryBound: 0
; FloatMode: 240
; IeeeMode: 1
; LDSByteSize: 0 bytes/workgroup (compile time only)
; SGPRBlocks: 0
; VGPRBlocks: 0
; NumSGPRsForWavesPerEU: 1
; NumVGPRsForWavesPerEU: 1
; Occupancy: 16
; WaveLimiterHint : 0
; COMPUTE_PGM_RSRC2:SCRATCH_EN: 0
; COMPUTE_PGM_RSRC2:USER_SGPR: 2
; COMPUTE_PGM_RSRC2:TRAP_HANDLER: 0
; COMPUTE_PGM_RSRC2:TGID_X_EN: 1
; COMPUTE_PGM_RSRC2:TGID_Y_EN: 0
; COMPUTE_PGM_RSRC2:TGID_Z_EN: 0
; COMPUTE_PGM_RSRC2:TIDIG_COMP_CNT: 0
	.section	.text._ZN7rocprim17ROCPRIM_400000_NS6detail17trampoline_kernelINS0_14default_configENS1_25partition_config_selectorILNS1_17partition_subalgoE5EjNS0_10empty_typeEbEEZZNS1_14partition_implILS5_5ELb0ES3_mN6thrust23THRUST_200600_302600_NS6detail15normal_iteratorINSA_10device_ptrIjEEEEPS6_NSA_18transform_iteratorINSB_9not_fun_tI7is_trueIjEEESF_NSA_11use_defaultESM_EENS0_5tupleIJSF_S6_EEENSO_IJSG_SG_EEES6_PlJS6_EEE10hipError_tPvRmT3_T4_T5_T6_T7_T9_mT8_P12ihipStream_tbDpT10_ENKUlT_T0_E_clISt17integral_constantIbLb1EES1A_IbLb0EEEEDaS16_S17_EUlS16_E_NS1_11comp_targetILNS1_3genE10ELNS1_11target_archE1200ELNS1_3gpuE4ELNS1_3repE0EEENS1_30default_config_static_selectorELNS0_4arch9wavefront6targetE0EEEvT1_,"axG",@progbits,_ZN7rocprim17ROCPRIM_400000_NS6detail17trampoline_kernelINS0_14default_configENS1_25partition_config_selectorILNS1_17partition_subalgoE5EjNS0_10empty_typeEbEEZZNS1_14partition_implILS5_5ELb0ES3_mN6thrust23THRUST_200600_302600_NS6detail15normal_iteratorINSA_10device_ptrIjEEEEPS6_NSA_18transform_iteratorINSB_9not_fun_tI7is_trueIjEEESF_NSA_11use_defaultESM_EENS0_5tupleIJSF_S6_EEENSO_IJSG_SG_EEES6_PlJS6_EEE10hipError_tPvRmT3_T4_T5_T6_T7_T9_mT8_P12ihipStream_tbDpT10_ENKUlT_T0_E_clISt17integral_constantIbLb1EES1A_IbLb0EEEEDaS16_S17_EUlS16_E_NS1_11comp_targetILNS1_3genE10ELNS1_11target_archE1200ELNS1_3gpuE4ELNS1_3repE0EEENS1_30default_config_static_selectorELNS0_4arch9wavefront6targetE0EEEvT1_,comdat
	.protected	_ZN7rocprim17ROCPRIM_400000_NS6detail17trampoline_kernelINS0_14default_configENS1_25partition_config_selectorILNS1_17partition_subalgoE5EjNS0_10empty_typeEbEEZZNS1_14partition_implILS5_5ELb0ES3_mN6thrust23THRUST_200600_302600_NS6detail15normal_iteratorINSA_10device_ptrIjEEEEPS6_NSA_18transform_iteratorINSB_9not_fun_tI7is_trueIjEEESF_NSA_11use_defaultESM_EENS0_5tupleIJSF_S6_EEENSO_IJSG_SG_EEES6_PlJS6_EEE10hipError_tPvRmT3_T4_T5_T6_T7_T9_mT8_P12ihipStream_tbDpT10_ENKUlT_T0_E_clISt17integral_constantIbLb1EES1A_IbLb0EEEEDaS16_S17_EUlS16_E_NS1_11comp_targetILNS1_3genE10ELNS1_11target_archE1200ELNS1_3gpuE4ELNS1_3repE0EEENS1_30default_config_static_selectorELNS0_4arch9wavefront6targetE0EEEvT1_ ; -- Begin function _ZN7rocprim17ROCPRIM_400000_NS6detail17trampoline_kernelINS0_14default_configENS1_25partition_config_selectorILNS1_17partition_subalgoE5EjNS0_10empty_typeEbEEZZNS1_14partition_implILS5_5ELb0ES3_mN6thrust23THRUST_200600_302600_NS6detail15normal_iteratorINSA_10device_ptrIjEEEEPS6_NSA_18transform_iteratorINSB_9not_fun_tI7is_trueIjEEESF_NSA_11use_defaultESM_EENS0_5tupleIJSF_S6_EEENSO_IJSG_SG_EEES6_PlJS6_EEE10hipError_tPvRmT3_T4_T5_T6_T7_T9_mT8_P12ihipStream_tbDpT10_ENKUlT_T0_E_clISt17integral_constantIbLb1EES1A_IbLb0EEEEDaS16_S17_EUlS16_E_NS1_11comp_targetILNS1_3genE10ELNS1_11target_archE1200ELNS1_3gpuE4ELNS1_3repE0EEENS1_30default_config_static_selectorELNS0_4arch9wavefront6targetE0EEEvT1_
	.globl	_ZN7rocprim17ROCPRIM_400000_NS6detail17trampoline_kernelINS0_14default_configENS1_25partition_config_selectorILNS1_17partition_subalgoE5EjNS0_10empty_typeEbEEZZNS1_14partition_implILS5_5ELb0ES3_mN6thrust23THRUST_200600_302600_NS6detail15normal_iteratorINSA_10device_ptrIjEEEEPS6_NSA_18transform_iteratorINSB_9not_fun_tI7is_trueIjEEESF_NSA_11use_defaultESM_EENS0_5tupleIJSF_S6_EEENSO_IJSG_SG_EEES6_PlJS6_EEE10hipError_tPvRmT3_T4_T5_T6_T7_T9_mT8_P12ihipStream_tbDpT10_ENKUlT_T0_E_clISt17integral_constantIbLb1EES1A_IbLb0EEEEDaS16_S17_EUlS16_E_NS1_11comp_targetILNS1_3genE10ELNS1_11target_archE1200ELNS1_3gpuE4ELNS1_3repE0EEENS1_30default_config_static_selectorELNS0_4arch9wavefront6targetE0EEEvT1_
	.p2align	8
	.type	_ZN7rocprim17ROCPRIM_400000_NS6detail17trampoline_kernelINS0_14default_configENS1_25partition_config_selectorILNS1_17partition_subalgoE5EjNS0_10empty_typeEbEEZZNS1_14partition_implILS5_5ELb0ES3_mN6thrust23THRUST_200600_302600_NS6detail15normal_iteratorINSA_10device_ptrIjEEEEPS6_NSA_18transform_iteratorINSB_9not_fun_tI7is_trueIjEEESF_NSA_11use_defaultESM_EENS0_5tupleIJSF_S6_EEENSO_IJSG_SG_EEES6_PlJS6_EEE10hipError_tPvRmT3_T4_T5_T6_T7_T9_mT8_P12ihipStream_tbDpT10_ENKUlT_T0_E_clISt17integral_constantIbLb1EES1A_IbLb0EEEEDaS16_S17_EUlS16_E_NS1_11comp_targetILNS1_3genE10ELNS1_11target_archE1200ELNS1_3gpuE4ELNS1_3repE0EEENS1_30default_config_static_selectorELNS0_4arch9wavefront6targetE0EEEvT1_,@function
_ZN7rocprim17ROCPRIM_400000_NS6detail17trampoline_kernelINS0_14default_configENS1_25partition_config_selectorILNS1_17partition_subalgoE5EjNS0_10empty_typeEbEEZZNS1_14partition_implILS5_5ELb0ES3_mN6thrust23THRUST_200600_302600_NS6detail15normal_iteratorINSA_10device_ptrIjEEEEPS6_NSA_18transform_iteratorINSB_9not_fun_tI7is_trueIjEEESF_NSA_11use_defaultESM_EENS0_5tupleIJSF_S6_EEENSO_IJSG_SG_EEES6_PlJS6_EEE10hipError_tPvRmT3_T4_T5_T6_T7_T9_mT8_P12ihipStream_tbDpT10_ENKUlT_T0_E_clISt17integral_constantIbLb1EES1A_IbLb0EEEEDaS16_S17_EUlS16_E_NS1_11comp_targetILNS1_3genE10ELNS1_11target_archE1200ELNS1_3gpuE4ELNS1_3repE0EEENS1_30default_config_static_selectorELNS0_4arch9wavefront6targetE0EEEvT1_: ; @_ZN7rocprim17ROCPRIM_400000_NS6detail17trampoline_kernelINS0_14default_configENS1_25partition_config_selectorILNS1_17partition_subalgoE5EjNS0_10empty_typeEbEEZZNS1_14partition_implILS5_5ELb0ES3_mN6thrust23THRUST_200600_302600_NS6detail15normal_iteratorINSA_10device_ptrIjEEEEPS6_NSA_18transform_iteratorINSB_9not_fun_tI7is_trueIjEEESF_NSA_11use_defaultESM_EENS0_5tupleIJSF_S6_EEENSO_IJSG_SG_EEES6_PlJS6_EEE10hipError_tPvRmT3_T4_T5_T6_T7_T9_mT8_P12ihipStream_tbDpT10_ENKUlT_T0_E_clISt17integral_constantIbLb1EES1A_IbLb0EEEEDaS16_S17_EUlS16_E_NS1_11comp_targetILNS1_3genE10ELNS1_11target_archE1200ELNS1_3gpuE4ELNS1_3repE0EEENS1_30default_config_static_selectorELNS0_4arch9wavefront6targetE0EEEvT1_
; %bb.0:
	s_endpgm
	.section	.rodata,"a",@progbits
	.p2align	6, 0x0
	.amdhsa_kernel _ZN7rocprim17ROCPRIM_400000_NS6detail17trampoline_kernelINS0_14default_configENS1_25partition_config_selectorILNS1_17partition_subalgoE5EjNS0_10empty_typeEbEEZZNS1_14partition_implILS5_5ELb0ES3_mN6thrust23THRUST_200600_302600_NS6detail15normal_iteratorINSA_10device_ptrIjEEEEPS6_NSA_18transform_iteratorINSB_9not_fun_tI7is_trueIjEEESF_NSA_11use_defaultESM_EENS0_5tupleIJSF_S6_EEENSO_IJSG_SG_EEES6_PlJS6_EEE10hipError_tPvRmT3_T4_T5_T6_T7_T9_mT8_P12ihipStream_tbDpT10_ENKUlT_T0_E_clISt17integral_constantIbLb1EES1A_IbLb0EEEEDaS16_S17_EUlS16_E_NS1_11comp_targetILNS1_3genE10ELNS1_11target_archE1200ELNS1_3gpuE4ELNS1_3repE0EEENS1_30default_config_static_selectorELNS0_4arch9wavefront6targetE0EEEvT1_
		.amdhsa_group_segment_fixed_size 0
		.amdhsa_private_segment_fixed_size 0
		.amdhsa_kernarg_size 120
		.amdhsa_user_sgpr_count 2
		.amdhsa_user_sgpr_dispatch_ptr 0
		.amdhsa_user_sgpr_queue_ptr 0
		.amdhsa_user_sgpr_kernarg_segment_ptr 1
		.amdhsa_user_sgpr_dispatch_id 0
		.amdhsa_user_sgpr_private_segment_size 0
		.amdhsa_wavefront_size32 1
		.amdhsa_uses_dynamic_stack 0
		.amdhsa_enable_private_segment 0
		.amdhsa_system_sgpr_workgroup_id_x 1
		.amdhsa_system_sgpr_workgroup_id_y 0
		.amdhsa_system_sgpr_workgroup_id_z 0
		.amdhsa_system_sgpr_workgroup_info 0
		.amdhsa_system_vgpr_workitem_id 0
		.amdhsa_next_free_vgpr 1
		.amdhsa_next_free_sgpr 1
		.amdhsa_reserve_vcc 0
		.amdhsa_float_round_mode_32 0
		.amdhsa_float_round_mode_16_64 0
		.amdhsa_float_denorm_mode_32 3
		.amdhsa_float_denorm_mode_16_64 3
		.amdhsa_fp16_overflow 0
		.amdhsa_workgroup_processor_mode 1
		.amdhsa_memory_ordered 1
		.amdhsa_forward_progress 1
		.amdhsa_inst_pref_size 1
		.amdhsa_round_robin_scheduling 0
		.amdhsa_exception_fp_ieee_invalid_op 0
		.amdhsa_exception_fp_denorm_src 0
		.amdhsa_exception_fp_ieee_div_zero 0
		.amdhsa_exception_fp_ieee_overflow 0
		.amdhsa_exception_fp_ieee_underflow 0
		.amdhsa_exception_fp_ieee_inexact 0
		.amdhsa_exception_int_div_zero 0
	.end_amdhsa_kernel
	.section	.text._ZN7rocprim17ROCPRIM_400000_NS6detail17trampoline_kernelINS0_14default_configENS1_25partition_config_selectorILNS1_17partition_subalgoE5EjNS0_10empty_typeEbEEZZNS1_14partition_implILS5_5ELb0ES3_mN6thrust23THRUST_200600_302600_NS6detail15normal_iteratorINSA_10device_ptrIjEEEEPS6_NSA_18transform_iteratorINSB_9not_fun_tI7is_trueIjEEESF_NSA_11use_defaultESM_EENS0_5tupleIJSF_S6_EEENSO_IJSG_SG_EEES6_PlJS6_EEE10hipError_tPvRmT3_T4_T5_T6_T7_T9_mT8_P12ihipStream_tbDpT10_ENKUlT_T0_E_clISt17integral_constantIbLb1EES1A_IbLb0EEEEDaS16_S17_EUlS16_E_NS1_11comp_targetILNS1_3genE10ELNS1_11target_archE1200ELNS1_3gpuE4ELNS1_3repE0EEENS1_30default_config_static_selectorELNS0_4arch9wavefront6targetE0EEEvT1_,"axG",@progbits,_ZN7rocprim17ROCPRIM_400000_NS6detail17trampoline_kernelINS0_14default_configENS1_25partition_config_selectorILNS1_17partition_subalgoE5EjNS0_10empty_typeEbEEZZNS1_14partition_implILS5_5ELb0ES3_mN6thrust23THRUST_200600_302600_NS6detail15normal_iteratorINSA_10device_ptrIjEEEEPS6_NSA_18transform_iteratorINSB_9not_fun_tI7is_trueIjEEESF_NSA_11use_defaultESM_EENS0_5tupleIJSF_S6_EEENSO_IJSG_SG_EEES6_PlJS6_EEE10hipError_tPvRmT3_T4_T5_T6_T7_T9_mT8_P12ihipStream_tbDpT10_ENKUlT_T0_E_clISt17integral_constantIbLb1EES1A_IbLb0EEEEDaS16_S17_EUlS16_E_NS1_11comp_targetILNS1_3genE10ELNS1_11target_archE1200ELNS1_3gpuE4ELNS1_3repE0EEENS1_30default_config_static_selectorELNS0_4arch9wavefront6targetE0EEEvT1_,comdat
.Lfunc_end1422:
	.size	_ZN7rocprim17ROCPRIM_400000_NS6detail17trampoline_kernelINS0_14default_configENS1_25partition_config_selectorILNS1_17partition_subalgoE5EjNS0_10empty_typeEbEEZZNS1_14partition_implILS5_5ELb0ES3_mN6thrust23THRUST_200600_302600_NS6detail15normal_iteratorINSA_10device_ptrIjEEEEPS6_NSA_18transform_iteratorINSB_9not_fun_tI7is_trueIjEEESF_NSA_11use_defaultESM_EENS0_5tupleIJSF_S6_EEENSO_IJSG_SG_EEES6_PlJS6_EEE10hipError_tPvRmT3_T4_T5_T6_T7_T9_mT8_P12ihipStream_tbDpT10_ENKUlT_T0_E_clISt17integral_constantIbLb1EES1A_IbLb0EEEEDaS16_S17_EUlS16_E_NS1_11comp_targetILNS1_3genE10ELNS1_11target_archE1200ELNS1_3gpuE4ELNS1_3repE0EEENS1_30default_config_static_selectorELNS0_4arch9wavefront6targetE0EEEvT1_, .Lfunc_end1422-_ZN7rocprim17ROCPRIM_400000_NS6detail17trampoline_kernelINS0_14default_configENS1_25partition_config_selectorILNS1_17partition_subalgoE5EjNS0_10empty_typeEbEEZZNS1_14partition_implILS5_5ELb0ES3_mN6thrust23THRUST_200600_302600_NS6detail15normal_iteratorINSA_10device_ptrIjEEEEPS6_NSA_18transform_iteratorINSB_9not_fun_tI7is_trueIjEEESF_NSA_11use_defaultESM_EENS0_5tupleIJSF_S6_EEENSO_IJSG_SG_EEES6_PlJS6_EEE10hipError_tPvRmT3_T4_T5_T6_T7_T9_mT8_P12ihipStream_tbDpT10_ENKUlT_T0_E_clISt17integral_constantIbLb1EES1A_IbLb0EEEEDaS16_S17_EUlS16_E_NS1_11comp_targetILNS1_3genE10ELNS1_11target_archE1200ELNS1_3gpuE4ELNS1_3repE0EEENS1_30default_config_static_selectorELNS0_4arch9wavefront6targetE0EEEvT1_
                                        ; -- End function
	.set _ZN7rocprim17ROCPRIM_400000_NS6detail17trampoline_kernelINS0_14default_configENS1_25partition_config_selectorILNS1_17partition_subalgoE5EjNS0_10empty_typeEbEEZZNS1_14partition_implILS5_5ELb0ES3_mN6thrust23THRUST_200600_302600_NS6detail15normal_iteratorINSA_10device_ptrIjEEEEPS6_NSA_18transform_iteratorINSB_9not_fun_tI7is_trueIjEEESF_NSA_11use_defaultESM_EENS0_5tupleIJSF_S6_EEENSO_IJSG_SG_EEES6_PlJS6_EEE10hipError_tPvRmT3_T4_T5_T6_T7_T9_mT8_P12ihipStream_tbDpT10_ENKUlT_T0_E_clISt17integral_constantIbLb1EES1A_IbLb0EEEEDaS16_S17_EUlS16_E_NS1_11comp_targetILNS1_3genE10ELNS1_11target_archE1200ELNS1_3gpuE4ELNS1_3repE0EEENS1_30default_config_static_selectorELNS0_4arch9wavefront6targetE0EEEvT1_.num_vgpr, 0
	.set _ZN7rocprim17ROCPRIM_400000_NS6detail17trampoline_kernelINS0_14default_configENS1_25partition_config_selectorILNS1_17partition_subalgoE5EjNS0_10empty_typeEbEEZZNS1_14partition_implILS5_5ELb0ES3_mN6thrust23THRUST_200600_302600_NS6detail15normal_iteratorINSA_10device_ptrIjEEEEPS6_NSA_18transform_iteratorINSB_9not_fun_tI7is_trueIjEEESF_NSA_11use_defaultESM_EENS0_5tupleIJSF_S6_EEENSO_IJSG_SG_EEES6_PlJS6_EEE10hipError_tPvRmT3_T4_T5_T6_T7_T9_mT8_P12ihipStream_tbDpT10_ENKUlT_T0_E_clISt17integral_constantIbLb1EES1A_IbLb0EEEEDaS16_S17_EUlS16_E_NS1_11comp_targetILNS1_3genE10ELNS1_11target_archE1200ELNS1_3gpuE4ELNS1_3repE0EEENS1_30default_config_static_selectorELNS0_4arch9wavefront6targetE0EEEvT1_.num_agpr, 0
	.set _ZN7rocprim17ROCPRIM_400000_NS6detail17trampoline_kernelINS0_14default_configENS1_25partition_config_selectorILNS1_17partition_subalgoE5EjNS0_10empty_typeEbEEZZNS1_14partition_implILS5_5ELb0ES3_mN6thrust23THRUST_200600_302600_NS6detail15normal_iteratorINSA_10device_ptrIjEEEEPS6_NSA_18transform_iteratorINSB_9not_fun_tI7is_trueIjEEESF_NSA_11use_defaultESM_EENS0_5tupleIJSF_S6_EEENSO_IJSG_SG_EEES6_PlJS6_EEE10hipError_tPvRmT3_T4_T5_T6_T7_T9_mT8_P12ihipStream_tbDpT10_ENKUlT_T0_E_clISt17integral_constantIbLb1EES1A_IbLb0EEEEDaS16_S17_EUlS16_E_NS1_11comp_targetILNS1_3genE10ELNS1_11target_archE1200ELNS1_3gpuE4ELNS1_3repE0EEENS1_30default_config_static_selectorELNS0_4arch9wavefront6targetE0EEEvT1_.numbered_sgpr, 0
	.set _ZN7rocprim17ROCPRIM_400000_NS6detail17trampoline_kernelINS0_14default_configENS1_25partition_config_selectorILNS1_17partition_subalgoE5EjNS0_10empty_typeEbEEZZNS1_14partition_implILS5_5ELb0ES3_mN6thrust23THRUST_200600_302600_NS6detail15normal_iteratorINSA_10device_ptrIjEEEEPS6_NSA_18transform_iteratorINSB_9not_fun_tI7is_trueIjEEESF_NSA_11use_defaultESM_EENS0_5tupleIJSF_S6_EEENSO_IJSG_SG_EEES6_PlJS6_EEE10hipError_tPvRmT3_T4_T5_T6_T7_T9_mT8_P12ihipStream_tbDpT10_ENKUlT_T0_E_clISt17integral_constantIbLb1EES1A_IbLb0EEEEDaS16_S17_EUlS16_E_NS1_11comp_targetILNS1_3genE10ELNS1_11target_archE1200ELNS1_3gpuE4ELNS1_3repE0EEENS1_30default_config_static_selectorELNS0_4arch9wavefront6targetE0EEEvT1_.num_named_barrier, 0
	.set _ZN7rocprim17ROCPRIM_400000_NS6detail17trampoline_kernelINS0_14default_configENS1_25partition_config_selectorILNS1_17partition_subalgoE5EjNS0_10empty_typeEbEEZZNS1_14partition_implILS5_5ELb0ES3_mN6thrust23THRUST_200600_302600_NS6detail15normal_iteratorINSA_10device_ptrIjEEEEPS6_NSA_18transform_iteratorINSB_9not_fun_tI7is_trueIjEEESF_NSA_11use_defaultESM_EENS0_5tupleIJSF_S6_EEENSO_IJSG_SG_EEES6_PlJS6_EEE10hipError_tPvRmT3_T4_T5_T6_T7_T9_mT8_P12ihipStream_tbDpT10_ENKUlT_T0_E_clISt17integral_constantIbLb1EES1A_IbLb0EEEEDaS16_S17_EUlS16_E_NS1_11comp_targetILNS1_3genE10ELNS1_11target_archE1200ELNS1_3gpuE4ELNS1_3repE0EEENS1_30default_config_static_selectorELNS0_4arch9wavefront6targetE0EEEvT1_.private_seg_size, 0
	.set _ZN7rocprim17ROCPRIM_400000_NS6detail17trampoline_kernelINS0_14default_configENS1_25partition_config_selectorILNS1_17partition_subalgoE5EjNS0_10empty_typeEbEEZZNS1_14partition_implILS5_5ELb0ES3_mN6thrust23THRUST_200600_302600_NS6detail15normal_iteratorINSA_10device_ptrIjEEEEPS6_NSA_18transform_iteratorINSB_9not_fun_tI7is_trueIjEEESF_NSA_11use_defaultESM_EENS0_5tupleIJSF_S6_EEENSO_IJSG_SG_EEES6_PlJS6_EEE10hipError_tPvRmT3_T4_T5_T6_T7_T9_mT8_P12ihipStream_tbDpT10_ENKUlT_T0_E_clISt17integral_constantIbLb1EES1A_IbLb0EEEEDaS16_S17_EUlS16_E_NS1_11comp_targetILNS1_3genE10ELNS1_11target_archE1200ELNS1_3gpuE4ELNS1_3repE0EEENS1_30default_config_static_selectorELNS0_4arch9wavefront6targetE0EEEvT1_.uses_vcc, 0
	.set _ZN7rocprim17ROCPRIM_400000_NS6detail17trampoline_kernelINS0_14default_configENS1_25partition_config_selectorILNS1_17partition_subalgoE5EjNS0_10empty_typeEbEEZZNS1_14partition_implILS5_5ELb0ES3_mN6thrust23THRUST_200600_302600_NS6detail15normal_iteratorINSA_10device_ptrIjEEEEPS6_NSA_18transform_iteratorINSB_9not_fun_tI7is_trueIjEEESF_NSA_11use_defaultESM_EENS0_5tupleIJSF_S6_EEENSO_IJSG_SG_EEES6_PlJS6_EEE10hipError_tPvRmT3_T4_T5_T6_T7_T9_mT8_P12ihipStream_tbDpT10_ENKUlT_T0_E_clISt17integral_constantIbLb1EES1A_IbLb0EEEEDaS16_S17_EUlS16_E_NS1_11comp_targetILNS1_3genE10ELNS1_11target_archE1200ELNS1_3gpuE4ELNS1_3repE0EEENS1_30default_config_static_selectorELNS0_4arch9wavefront6targetE0EEEvT1_.uses_flat_scratch, 0
	.set _ZN7rocprim17ROCPRIM_400000_NS6detail17trampoline_kernelINS0_14default_configENS1_25partition_config_selectorILNS1_17partition_subalgoE5EjNS0_10empty_typeEbEEZZNS1_14partition_implILS5_5ELb0ES3_mN6thrust23THRUST_200600_302600_NS6detail15normal_iteratorINSA_10device_ptrIjEEEEPS6_NSA_18transform_iteratorINSB_9not_fun_tI7is_trueIjEEESF_NSA_11use_defaultESM_EENS0_5tupleIJSF_S6_EEENSO_IJSG_SG_EEES6_PlJS6_EEE10hipError_tPvRmT3_T4_T5_T6_T7_T9_mT8_P12ihipStream_tbDpT10_ENKUlT_T0_E_clISt17integral_constantIbLb1EES1A_IbLb0EEEEDaS16_S17_EUlS16_E_NS1_11comp_targetILNS1_3genE10ELNS1_11target_archE1200ELNS1_3gpuE4ELNS1_3repE0EEENS1_30default_config_static_selectorELNS0_4arch9wavefront6targetE0EEEvT1_.has_dyn_sized_stack, 0
	.set _ZN7rocprim17ROCPRIM_400000_NS6detail17trampoline_kernelINS0_14default_configENS1_25partition_config_selectorILNS1_17partition_subalgoE5EjNS0_10empty_typeEbEEZZNS1_14partition_implILS5_5ELb0ES3_mN6thrust23THRUST_200600_302600_NS6detail15normal_iteratorINSA_10device_ptrIjEEEEPS6_NSA_18transform_iteratorINSB_9not_fun_tI7is_trueIjEEESF_NSA_11use_defaultESM_EENS0_5tupleIJSF_S6_EEENSO_IJSG_SG_EEES6_PlJS6_EEE10hipError_tPvRmT3_T4_T5_T6_T7_T9_mT8_P12ihipStream_tbDpT10_ENKUlT_T0_E_clISt17integral_constantIbLb1EES1A_IbLb0EEEEDaS16_S17_EUlS16_E_NS1_11comp_targetILNS1_3genE10ELNS1_11target_archE1200ELNS1_3gpuE4ELNS1_3repE0EEENS1_30default_config_static_selectorELNS0_4arch9wavefront6targetE0EEEvT1_.has_recursion, 0
	.set _ZN7rocprim17ROCPRIM_400000_NS6detail17trampoline_kernelINS0_14default_configENS1_25partition_config_selectorILNS1_17partition_subalgoE5EjNS0_10empty_typeEbEEZZNS1_14partition_implILS5_5ELb0ES3_mN6thrust23THRUST_200600_302600_NS6detail15normal_iteratorINSA_10device_ptrIjEEEEPS6_NSA_18transform_iteratorINSB_9not_fun_tI7is_trueIjEEESF_NSA_11use_defaultESM_EENS0_5tupleIJSF_S6_EEENSO_IJSG_SG_EEES6_PlJS6_EEE10hipError_tPvRmT3_T4_T5_T6_T7_T9_mT8_P12ihipStream_tbDpT10_ENKUlT_T0_E_clISt17integral_constantIbLb1EES1A_IbLb0EEEEDaS16_S17_EUlS16_E_NS1_11comp_targetILNS1_3genE10ELNS1_11target_archE1200ELNS1_3gpuE4ELNS1_3repE0EEENS1_30default_config_static_selectorELNS0_4arch9wavefront6targetE0EEEvT1_.has_indirect_call, 0
	.section	.AMDGPU.csdata,"",@progbits
; Kernel info:
; codeLenInByte = 4
; TotalNumSgprs: 0
; NumVgprs: 0
; ScratchSize: 0
; MemoryBound: 0
; FloatMode: 240
; IeeeMode: 1
; LDSByteSize: 0 bytes/workgroup (compile time only)
; SGPRBlocks: 0
; VGPRBlocks: 0
; NumSGPRsForWavesPerEU: 1
; NumVGPRsForWavesPerEU: 1
; Occupancy: 16
; WaveLimiterHint : 0
; COMPUTE_PGM_RSRC2:SCRATCH_EN: 0
; COMPUTE_PGM_RSRC2:USER_SGPR: 2
; COMPUTE_PGM_RSRC2:TRAP_HANDLER: 0
; COMPUTE_PGM_RSRC2:TGID_X_EN: 1
; COMPUTE_PGM_RSRC2:TGID_Y_EN: 0
; COMPUTE_PGM_RSRC2:TGID_Z_EN: 0
; COMPUTE_PGM_RSRC2:TIDIG_COMP_CNT: 0
	.section	.text._ZN7rocprim17ROCPRIM_400000_NS6detail17trampoline_kernelINS0_14default_configENS1_25partition_config_selectorILNS1_17partition_subalgoE5EjNS0_10empty_typeEbEEZZNS1_14partition_implILS5_5ELb0ES3_mN6thrust23THRUST_200600_302600_NS6detail15normal_iteratorINSA_10device_ptrIjEEEEPS6_NSA_18transform_iteratorINSB_9not_fun_tI7is_trueIjEEESF_NSA_11use_defaultESM_EENS0_5tupleIJSF_S6_EEENSO_IJSG_SG_EEES6_PlJS6_EEE10hipError_tPvRmT3_T4_T5_T6_T7_T9_mT8_P12ihipStream_tbDpT10_ENKUlT_T0_E_clISt17integral_constantIbLb1EES1A_IbLb0EEEEDaS16_S17_EUlS16_E_NS1_11comp_targetILNS1_3genE9ELNS1_11target_archE1100ELNS1_3gpuE3ELNS1_3repE0EEENS1_30default_config_static_selectorELNS0_4arch9wavefront6targetE0EEEvT1_,"axG",@progbits,_ZN7rocprim17ROCPRIM_400000_NS6detail17trampoline_kernelINS0_14default_configENS1_25partition_config_selectorILNS1_17partition_subalgoE5EjNS0_10empty_typeEbEEZZNS1_14partition_implILS5_5ELb0ES3_mN6thrust23THRUST_200600_302600_NS6detail15normal_iteratorINSA_10device_ptrIjEEEEPS6_NSA_18transform_iteratorINSB_9not_fun_tI7is_trueIjEEESF_NSA_11use_defaultESM_EENS0_5tupleIJSF_S6_EEENSO_IJSG_SG_EEES6_PlJS6_EEE10hipError_tPvRmT3_T4_T5_T6_T7_T9_mT8_P12ihipStream_tbDpT10_ENKUlT_T0_E_clISt17integral_constantIbLb1EES1A_IbLb0EEEEDaS16_S17_EUlS16_E_NS1_11comp_targetILNS1_3genE9ELNS1_11target_archE1100ELNS1_3gpuE3ELNS1_3repE0EEENS1_30default_config_static_selectorELNS0_4arch9wavefront6targetE0EEEvT1_,comdat
	.protected	_ZN7rocprim17ROCPRIM_400000_NS6detail17trampoline_kernelINS0_14default_configENS1_25partition_config_selectorILNS1_17partition_subalgoE5EjNS0_10empty_typeEbEEZZNS1_14partition_implILS5_5ELb0ES3_mN6thrust23THRUST_200600_302600_NS6detail15normal_iteratorINSA_10device_ptrIjEEEEPS6_NSA_18transform_iteratorINSB_9not_fun_tI7is_trueIjEEESF_NSA_11use_defaultESM_EENS0_5tupleIJSF_S6_EEENSO_IJSG_SG_EEES6_PlJS6_EEE10hipError_tPvRmT3_T4_T5_T6_T7_T9_mT8_P12ihipStream_tbDpT10_ENKUlT_T0_E_clISt17integral_constantIbLb1EES1A_IbLb0EEEEDaS16_S17_EUlS16_E_NS1_11comp_targetILNS1_3genE9ELNS1_11target_archE1100ELNS1_3gpuE3ELNS1_3repE0EEENS1_30default_config_static_selectorELNS0_4arch9wavefront6targetE0EEEvT1_ ; -- Begin function _ZN7rocprim17ROCPRIM_400000_NS6detail17trampoline_kernelINS0_14default_configENS1_25partition_config_selectorILNS1_17partition_subalgoE5EjNS0_10empty_typeEbEEZZNS1_14partition_implILS5_5ELb0ES3_mN6thrust23THRUST_200600_302600_NS6detail15normal_iteratorINSA_10device_ptrIjEEEEPS6_NSA_18transform_iteratorINSB_9not_fun_tI7is_trueIjEEESF_NSA_11use_defaultESM_EENS0_5tupleIJSF_S6_EEENSO_IJSG_SG_EEES6_PlJS6_EEE10hipError_tPvRmT3_T4_T5_T6_T7_T9_mT8_P12ihipStream_tbDpT10_ENKUlT_T0_E_clISt17integral_constantIbLb1EES1A_IbLb0EEEEDaS16_S17_EUlS16_E_NS1_11comp_targetILNS1_3genE9ELNS1_11target_archE1100ELNS1_3gpuE3ELNS1_3repE0EEENS1_30default_config_static_selectorELNS0_4arch9wavefront6targetE0EEEvT1_
	.globl	_ZN7rocprim17ROCPRIM_400000_NS6detail17trampoline_kernelINS0_14default_configENS1_25partition_config_selectorILNS1_17partition_subalgoE5EjNS0_10empty_typeEbEEZZNS1_14partition_implILS5_5ELb0ES3_mN6thrust23THRUST_200600_302600_NS6detail15normal_iteratorINSA_10device_ptrIjEEEEPS6_NSA_18transform_iteratorINSB_9not_fun_tI7is_trueIjEEESF_NSA_11use_defaultESM_EENS0_5tupleIJSF_S6_EEENSO_IJSG_SG_EEES6_PlJS6_EEE10hipError_tPvRmT3_T4_T5_T6_T7_T9_mT8_P12ihipStream_tbDpT10_ENKUlT_T0_E_clISt17integral_constantIbLb1EES1A_IbLb0EEEEDaS16_S17_EUlS16_E_NS1_11comp_targetILNS1_3genE9ELNS1_11target_archE1100ELNS1_3gpuE3ELNS1_3repE0EEENS1_30default_config_static_selectorELNS0_4arch9wavefront6targetE0EEEvT1_
	.p2align	8
	.type	_ZN7rocprim17ROCPRIM_400000_NS6detail17trampoline_kernelINS0_14default_configENS1_25partition_config_selectorILNS1_17partition_subalgoE5EjNS0_10empty_typeEbEEZZNS1_14partition_implILS5_5ELb0ES3_mN6thrust23THRUST_200600_302600_NS6detail15normal_iteratorINSA_10device_ptrIjEEEEPS6_NSA_18transform_iteratorINSB_9not_fun_tI7is_trueIjEEESF_NSA_11use_defaultESM_EENS0_5tupleIJSF_S6_EEENSO_IJSG_SG_EEES6_PlJS6_EEE10hipError_tPvRmT3_T4_T5_T6_T7_T9_mT8_P12ihipStream_tbDpT10_ENKUlT_T0_E_clISt17integral_constantIbLb1EES1A_IbLb0EEEEDaS16_S17_EUlS16_E_NS1_11comp_targetILNS1_3genE9ELNS1_11target_archE1100ELNS1_3gpuE3ELNS1_3repE0EEENS1_30default_config_static_selectorELNS0_4arch9wavefront6targetE0EEEvT1_,@function
_ZN7rocprim17ROCPRIM_400000_NS6detail17trampoline_kernelINS0_14default_configENS1_25partition_config_selectorILNS1_17partition_subalgoE5EjNS0_10empty_typeEbEEZZNS1_14partition_implILS5_5ELb0ES3_mN6thrust23THRUST_200600_302600_NS6detail15normal_iteratorINSA_10device_ptrIjEEEEPS6_NSA_18transform_iteratorINSB_9not_fun_tI7is_trueIjEEESF_NSA_11use_defaultESM_EENS0_5tupleIJSF_S6_EEENSO_IJSG_SG_EEES6_PlJS6_EEE10hipError_tPvRmT3_T4_T5_T6_T7_T9_mT8_P12ihipStream_tbDpT10_ENKUlT_T0_E_clISt17integral_constantIbLb1EES1A_IbLb0EEEEDaS16_S17_EUlS16_E_NS1_11comp_targetILNS1_3genE9ELNS1_11target_archE1100ELNS1_3gpuE3ELNS1_3repE0EEENS1_30default_config_static_selectorELNS0_4arch9wavefront6targetE0EEEvT1_: ; @_ZN7rocprim17ROCPRIM_400000_NS6detail17trampoline_kernelINS0_14default_configENS1_25partition_config_selectorILNS1_17partition_subalgoE5EjNS0_10empty_typeEbEEZZNS1_14partition_implILS5_5ELb0ES3_mN6thrust23THRUST_200600_302600_NS6detail15normal_iteratorINSA_10device_ptrIjEEEEPS6_NSA_18transform_iteratorINSB_9not_fun_tI7is_trueIjEEESF_NSA_11use_defaultESM_EENS0_5tupleIJSF_S6_EEENSO_IJSG_SG_EEES6_PlJS6_EEE10hipError_tPvRmT3_T4_T5_T6_T7_T9_mT8_P12ihipStream_tbDpT10_ENKUlT_T0_E_clISt17integral_constantIbLb1EES1A_IbLb0EEEEDaS16_S17_EUlS16_E_NS1_11comp_targetILNS1_3genE9ELNS1_11target_archE1100ELNS1_3gpuE3ELNS1_3repE0EEENS1_30default_config_static_selectorELNS0_4arch9wavefront6targetE0EEEvT1_
; %bb.0:
	.section	.rodata,"a",@progbits
	.p2align	6, 0x0
	.amdhsa_kernel _ZN7rocprim17ROCPRIM_400000_NS6detail17trampoline_kernelINS0_14default_configENS1_25partition_config_selectorILNS1_17partition_subalgoE5EjNS0_10empty_typeEbEEZZNS1_14partition_implILS5_5ELb0ES3_mN6thrust23THRUST_200600_302600_NS6detail15normal_iteratorINSA_10device_ptrIjEEEEPS6_NSA_18transform_iteratorINSB_9not_fun_tI7is_trueIjEEESF_NSA_11use_defaultESM_EENS0_5tupleIJSF_S6_EEENSO_IJSG_SG_EEES6_PlJS6_EEE10hipError_tPvRmT3_T4_T5_T6_T7_T9_mT8_P12ihipStream_tbDpT10_ENKUlT_T0_E_clISt17integral_constantIbLb1EES1A_IbLb0EEEEDaS16_S17_EUlS16_E_NS1_11comp_targetILNS1_3genE9ELNS1_11target_archE1100ELNS1_3gpuE3ELNS1_3repE0EEENS1_30default_config_static_selectorELNS0_4arch9wavefront6targetE0EEEvT1_
		.amdhsa_group_segment_fixed_size 0
		.amdhsa_private_segment_fixed_size 0
		.amdhsa_kernarg_size 120
		.amdhsa_user_sgpr_count 2
		.amdhsa_user_sgpr_dispatch_ptr 0
		.amdhsa_user_sgpr_queue_ptr 0
		.amdhsa_user_sgpr_kernarg_segment_ptr 1
		.amdhsa_user_sgpr_dispatch_id 0
		.amdhsa_user_sgpr_private_segment_size 0
		.amdhsa_wavefront_size32 1
		.amdhsa_uses_dynamic_stack 0
		.amdhsa_enable_private_segment 0
		.amdhsa_system_sgpr_workgroup_id_x 1
		.amdhsa_system_sgpr_workgroup_id_y 0
		.amdhsa_system_sgpr_workgroup_id_z 0
		.amdhsa_system_sgpr_workgroup_info 0
		.amdhsa_system_vgpr_workitem_id 0
		.amdhsa_next_free_vgpr 1
		.amdhsa_next_free_sgpr 1
		.amdhsa_reserve_vcc 0
		.amdhsa_float_round_mode_32 0
		.amdhsa_float_round_mode_16_64 0
		.amdhsa_float_denorm_mode_32 3
		.amdhsa_float_denorm_mode_16_64 3
		.amdhsa_fp16_overflow 0
		.amdhsa_workgroup_processor_mode 1
		.amdhsa_memory_ordered 1
		.amdhsa_forward_progress 1
		.amdhsa_inst_pref_size 0
		.amdhsa_round_robin_scheduling 0
		.amdhsa_exception_fp_ieee_invalid_op 0
		.amdhsa_exception_fp_denorm_src 0
		.amdhsa_exception_fp_ieee_div_zero 0
		.amdhsa_exception_fp_ieee_overflow 0
		.amdhsa_exception_fp_ieee_underflow 0
		.amdhsa_exception_fp_ieee_inexact 0
		.amdhsa_exception_int_div_zero 0
	.end_amdhsa_kernel
	.section	.text._ZN7rocprim17ROCPRIM_400000_NS6detail17trampoline_kernelINS0_14default_configENS1_25partition_config_selectorILNS1_17partition_subalgoE5EjNS0_10empty_typeEbEEZZNS1_14partition_implILS5_5ELb0ES3_mN6thrust23THRUST_200600_302600_NS6detail15normal_iteratorINSA_10device_ptrIjEEEEPS6_NSA_18transform_iteratorINSB_9not_fun_tI7is_trueIjEEESF_NSA_11use_defaultESM_EENS0_5tupleIJSF_S6_EEENSO_IJSG_SG_EEES6_PlJS6_EEE10hipError_tPvRmT3_T4_T5_T6_T7_T9_mT8_P12ihipStream_tbDpT10_ENKUlT_T0_E_clISt17integral_constantIbLb1EES1A_IbLb0EEEEDaS16_S17_EUlS16_E_NS1_11comp_targetILNS1_3genE9ELNS1_11target_archE1100ELNS1_3gpuE3ELNS1_3repE0EEENS1_30default_config_static_selectorELNS0_4arch9wavefront6targetE0EEEvT1_,"axG",@progbits,_ZN7rocprim17ROCPRIM_400000_NS6detail17trampoline_kernelINS0_14default_configENS1_25partition_config_selectorILNS1_17partition_subalgoE5EjNS0_10empty_typeEbEEZZNS1_14partition_implILS5_5ELb0ES3_mN6thrust23THRUST_200600_302600_NS6detail15normal_iteratorINSA_10device_ptrIjEEEEPS6_NSA_18transform_iteratorINSB_9not_fun_tI7is_trueIjEEESF_NSA_11use_defaultESM_EENS0_5tupleIJSF_S6_EEENSO_IJSG_SG_EEES6_PlJS6_EEE10hipError_tPvRmT3_T4_T5_T6_T7_T9_mT8_P12ihipStream_tbDpT10_ENKUlT_T0_E_clISt17integral_constantIbLb1EES1A_IbLb0EEEEDaS16_S17_EUlS16_E_NS1_11comp_targetILNS1_3genE9ELNS1_11target_archE1100ELNS1_3gpuE3ELNS1_3repE0EEENS1_30default_config_static_selectorELNS0_4arch9wavefront6targetE0EEEvT1_,comdat
.Lfunc_end1423:
	.size	_ZN7rocprim17ROCPRIM_400000_NS6detail17trampoline_kernelINS0_14default_configENS1_25partition_config_selectorILNS1_17partition_subalgoE5EjNS0_10empty_typeEbEEZZNS1_14partition_implILS5_5ELb0ES3_mN6thrust23THRUST_200600_302600_NS6detail15normal_iteratorINSA_10device_ptrIjEEEEPS6_NSA_18transform_iteratorINSB_9not_fun_tI7is_trueIjEEESF_NSA_11use_defaultESM_EENS0_5tupleIJSF_S6_EEENSO_IJSG_SG_EEES6_PlJS6_EEE10hipError_tPvRmT3_T4_T5_T6_T7_T9_mT8_P12ihipStream_tbDpT10_ENKUlT_T0_E_clISt17integral_constantIbLb1EES1A_IbLb0EEEEDaS16_S17_EUlS16_E_NS1_11comp_targetILNS1_3genE9ELNS1_11target_archE1100ELNS1_3gpuE3ELNS1_3repE0EEENS1_30default_config_static_selectorELNS0_4arch9wavefront6targetE0EEEvT1_, .Lfunc_end1423-_ZN7rocprim17ROCPRIM_400000_NS6detail17trampoline_kernelINS0_14default_configENS1_25partition_config_selectorILNS1_17partition_subalgoE5EjNS0_10empty_typeEbEEZZNS1_14partition_implILS5_5ELb0ES3_mN6thrust23THRUST_200600_302600_NS6detail15normal_iteratorINSA_10device_ptrIjEEEEPS6_NSA_18transform_iteratorINSB_9not_fun_tI7is_trueIjEEESF_NSA_11use_defaultESM_EENS0_5tupleIJSF_S6_EEENSO_IJSG_SG_EEES6_PlJS6_EEE10hipError_tPvRmT3_T4_T5_T6_T7_T9_mT8_P12ihipStream_tbDpT10_ENKUlT_T0_E_clISt17integral_constantIbLb1EES1A_IbLb0EEEEDaS16_S17_EUlS16_E_NS1_11comp_targetILNS1_3genE9ELNS1_11target_archE1100ELNS1_3gpuE3ELNS1_3repE0EEENS1_30default_config_static_selectorELNS0_4arch9wavefront6targetE0EEEvT1_
                                        ; -- End function
	.set _ZN7rocprim17ROCPRIM_400000_NS6detail17trampoline_kernelINS0_14default_configENS1_25partition_config_selectorILNS1_17partition_subalgoE5EjNS0_10empty_typeEbEEZZNS1_14partition_implILS5_5ELb0ES3_mN6thrust23THRUST_200600_302600_NS6detail15normal_iteratorINSA_10device_ptrIjEEEEPS6_NSA_18transform_iteratorINSB_9not_fun_tI7is_trueIjEEESF_NSA_11use_defaultESM_EENS0_5tupleIJSF_S6_EEENSO_IJSG_SG_EEES6_PlJS6_EEE10hipError_tPvRmT3_T4_T5_T6_T7_T9_mT8_P12ihipStream_tbDpT10_ENKUlT_T0_E_clISt17integral_constantIbLb1EES1A_IbLb0EEEEDaS16_S17_EUlS16_E_NS1_11comp_targetILNS1_3genE9ELNS1_11target_archE1100ELNS1_3gpuE3ELNS1_3repE0EEENS1_30default_config_static_selectorELNS0_4arch9wavefront6targetE0EEEvT1_.num_vgpr, 0
	.set _ZN7rocprim17ROCPRIM_400000_NS6detail17trampoline_kernelINS0_14default_configENS1_25partition_config_selectorILNS1_17partition_subalgoE5EjNS0_10empty_typeEbEEZZNS1_14partition_implILS5_5ELb0ES3_mN6thrust23THRUST_200600_302600_NS6detail15normal_iteratorINSA_10device_ptrIjEEEEPS6_NSA_18transform_iteratorINSB_9not_fun_tI7is_trueIjEEESF_NSA_11use_defaultESM_EENS0_5tupleIJSF_S6_EEENSO_IJSG_SG_EEES6_PlJS6_EEE10hipError_tPvRmT3_T4_T5_T6_T7_T9_mT8_P12ihipStream_tbDpT10_ENKUlT_T0_E_clISt17integral_constantIbLb1EES1A_IbLb0EEEEDaS16_S17_EUlS16_E_NS1_11comp_targetILNS1_3genE9ELNS1_11target_archE1100ELNS1_3gpuE3ELNS1_3repE0EEENS1_30default_config_static_selectorELNS0_4arch9wavefront6targetE0EEEvT1_.num_agpr, 0
	.set _ZN7rocprim17ROCPRIM_400000_NS6detail17trampoline_kernelINS0_14default_configENS1_25partition_config_selectorILNS1_17partition_subalgoE5EjNS0_10empty_typeEbEEZZNS1_14partition_implILS5_5ELb0ES3_mN6thrust23THRUST_200600_302600_NS6detail15normal_iteratorINSA_10device_ptrIjEEEEPS6_NSA_18transform_iteratorINSB_9not_fun_tI7is_trueIjEEESF_NSA_11use_defaultESM_EENS0_5tupleIJSF_S6_EEENSO_IJSG_SG_EEES6_PlJS6_EEE10hipError_tPvRmT3_T4_T5_T6_T7_T9_mT8_P12ihipStream_tbDpT10_ENKUlT_T0_E_clISt17integral_constantIbLb1EES1A_IbLb0EEEEDaS16_S17_EUlS16_E_NS1_11comp_targetILNS1_3genE9ELNS1_11target_archE1100ELNS1_3gpuE3ELNS1_3repE0EEENS1_30default_config_static_selectorELNS0_4arch9wavefront6targetE0EEEvT1_.numbered_sgpr, 0
	.set _ZN7rocprim17ROCPRIM_400000_NS6detail17trampoline_kernelINS0_14default_configENS1_25partition_config_selectorILNS1_17partition_subalgoE5EjNS0_10empty_typeEbEEZZNS1_14partition_implILS5_5ELb0ES3_mN6thrust23THRUST_200600_302600_NS6detail15normal_iteratorINSA_10device_ptrIjEEEEPS6_NSA_18transform_iteratorINSB_9not_fun_tI7is_trueIjEEESF_NSA_11use_defaultESM_EENS0_5tupleIJSF_S6_EEENSO_IJSG_SG_EEES6_PlJS6_EEE10hipError_tPvRmT3_T4_T5_T6_T7_T9_mT8_P12ihipStream_tbDpT10_ENKUlT_T0_E_clISt17integral_constantIbLb1EES1A_IbLb0EEEEDaS16_S17_EUlS16_E_NS1_11comp_targetILNS1_3genE9ELNS1_11target_archE1100ELNS1_3gpuE3ELNS1_3repE0EEENS1_30default_config_static_selectorELNS0_4arch9wavefront6targetE0EEEvT1_.num_named_barrier, 0
	.set _ZN7rocprim17ROCPRIM_400000_NS6detail17trampoline_kernelINS0_14default_configENS1_25partition_config_selectorILNS1_17partition_subalgoE5EjNS0_10empty_typeEbEEZZNS1_14partition_implILS5_5ELb0ES3_mN6thrust23THRUST_200600_302600_NS6detail15normal_iteratorINSA_10device_ptrIjEEEEPS6_NSA_18transform_iteratorINSB_9not_fun_tI7is_trueIjEEESF_NSA_11use_defaultESM_EENS0_5tupleIJSF_S6_EEENSO_IJSG_SG_EEES6_PlJS6_EEE10hipError_tPvRmT3_T4_T5_T6_T7_T9_mT8_P12ihipStream_tbDpT10_ENKUlT_T0_E_clISt17integral_constantIbLb1EES1A_IbLb0EEEEDaS16_S17_EUlS16_E_NS1_11comp_targetILNS1_3genE9ELNS1_11target_archE1100ELNS1_3gpuE3ELNS1_3repE0EEENS1_30default_config_static_selectorELNS0_4arch9wavefront6targetE0EEEvT1_.private_seg_size, 0
	.set _ZN7rocprim17ROCPRIM_400000_NS6detail17trampoline_kernelINS0_14default_configENS1_25partition_config_selectorILNS1_17partition_subalgoE5EjNS0_10empty_typeEbEEZZNS1_14partition_implILS5_5ELb0ES3_mN6thrust23THRUST_200600_302600_NS6detail15normal_iteratorINSA_10device_ptrIjEEEEPS6_NSA_18transform_iteratorINSB_9not_fun_tI7is_trueIjEEESF_NSA_11use_defaultESM_EENS0_5tupleIJSF_S6_EEENSO_IJSG_SG_EEES6_PlJS6_EEE10hipError_tPvRmT3_T4_T5_T6_T7_T9_mT8_P12ihipStream_tbDpT10_ENKUlT_T0_E_clISt17integral_constantIbLb1EES1A_IbLb0EEEEDaS16_S17_EUlS16_E_NS1_11comp_targetILNS1_3genE9ELNS1_11target_archE1100ELNS1_3gpuE3ELNS1_3repE0EEENS1_30default_config_static_selectorELNS0_4arch9wavefront6targetE0EEEvT1_.uses_vcc, 0
	.set _ZN7rocprim17ROCPRIM_400000_NS6detail17trampoline_kernelINS0_14default_configENS1_25partition_config_selectorILNS1_17partition_subalgoE5EjNS0_10empty_typeEbEEZZNS1_14partition_implILS5_5ELb0ES3_mN6thrust23THRUST_200600_302600_NS6detail15normal_iteratorINSA_10device_ptrIjEEEEPS6_NSA_18transform_iteratorINSB_9not_fun_tI7is_trueIjEEESF_NSA_11use_defaultESM_EENS0_5tupleIJSF_S6_EEENSO_IJSG_SG_EEES6_PlJS6_EEE10hipError_tPvRmT3_T4_T5_T6_T7_T9_mT8_P12ihipStream_tbDpT10_ENKUlT_T0_E_clISt17integral_constantIbLb1EES1A_IbLb0EEEEDaS16_S17_EUlS16_E_NS1_11comp_targetILNS1_3genE9ELNS1_11target_archE1100ELNS1_3gpuE3ELNS1_3repE0EEENS1_30default_config_static_selectorELNS0_4arch9wavefront6targetE0EEEvT1_.uses_flat_scratch, 0
	.set _ZN7rocprim17ROCPRIM_400000_NS6detail17trampoline_kernelINS0_14default_configENS1_25partition_config_selectorILNS1_17partition_subalgoE5EjNS0_10empty_typeEbEEZZNS1_14partition_implILS5_5ELb0ES3_mN6thrust23THRUST_200600_302600_NS6detail15normal_iteratorINSA_10device_ptrIjEEEEPS6_NSA_18transform_iteratorINSB_9not_fun_tI7is_trueIjEEESF_NSA_11use_defaultESM_EENS0_5tupleIJSF_S6_EEENSO_IJSG_SG_EEES6_PlJS6_EEE10hipError_tPvRmT3_T4_T5_T6_T7_T9_mT8_P12ihipStream_tbDpT10_ENKUlT_T0_E_clISt17integral_constantIbLb1EES1A_IbLb0EEEEDaS16_S17_EUlS16_E_NS1_11comp_targetILNS1_3genE9ELNS1_11target_archE1100ELNS1_3gpuE3ELNS1_3repE0EEENS1_30default_config_static_selectorELNS0_4arch9wavefront6targetE0EEEvT1_.has_dyn_sized_stack, 0
	.set _ZN7rocprim17ROCPRIM_400000_NS6detail17trampoline_kernelINS0_14default_configENS1_25partition_config_selectorILNS1_17partition_subalgoE5EjNS0_10empty_typeEbEEZZNS1_14partition_implILS5_5ELb0ES3_mN6thrust23THRUST_200600_302600_NS6detail15normal_iteratorINSA_10device_ptrIjEEEEPS6_NSA_18transform_iteratorINSB_9not_fun_tI7is_trueIjEEESF_NSA_11use_defaultESM_EENS0_5tupleIJSF_S6_EEENSO_IJSG_SG_EEES6_PlJS6_EEE10hipError_tPvRmT3_T4_T5_T6_T7_T9_mT8_P12ihipStream_tbDpT10_ENKUlT_T0_E_clISt17integral_constantIbLb1EES1A_IbLb0EEEEDaS16_S17_EUlS16_E_NS1_11comp_targetILNS1_3genE9ELNS1_11target_archE1100ELNS1_3gpuE3ELNS1_3repE0EEENS1_30default_config_static_selectorELNS0_4arch9wavefront6targetE0EEEvT1_.has_recursion, 0
	.set _ZN7rocprim17ROCPRIM_400000_NS6detail17trampoline_kernelINS0_14default_configENS1_25partition_config_selectorILNS1_17partition_subalgoE5EjNS0_10empty_typeEbEEZZNS1_14partition_implILS5_5ELb0ES3_mN6thrust23THRUST_200600_302600_NS6detail15normal_iteratorINSA_10device_ptrIjEEEEPS6_NSA_18transform_iteratorINSB_9not_fun_tI7is_trueIjEEESF_NSA_11use_defaultESM_EENS0_5tupleIJSF_S6_EEENSO_IJSG_SG_EEES6_PlJS6_EEE10hipError_tPvRmT3_T4_T5_T6_T7_T9_mT8_P12ihipStream_tbDpT10_ENKUlT_T0_E_clISt17integral_constantIbLb1EES1A_IbLb0EEEEDaS16_S17_EUlS16_E_NS1_11comp_targetILNS1_3genE9ELNS1_11target_archE1100ELNS1_3gpuE3ELNS1_3repE0EEENS1_30default_config_static_selectorELNS0_4arch9wavefront6targetE0EEEvT1_.has_indirect_call, 0
	.section	.AMDGPU.csdata,"",@progbits
; Kernel info:
; codeLenInByte = 0
; TotalNumSgprs: 0
; NumVgprs: 0
; ScratchSize: 0
; MemoryBound: 0
; FloatMode: 240
; IeeeMode: 1
; LDSByteSize: 0 bytes/workgroup (compile time only)
; SGPRBlocks: 0
; VGPRBlocks: 0
; NumSGPRsForWavesPerEU: 1
; NumVGPRsForWavesPerEU: 1
; Occupancy: 16
; WaveLimiterHint : 0
; COMPUTE_PGM_RSRC2:SCRATCH_EN: 0
; COMPUTE_PGM_RSRC2:USER_SGPR: 2
; COMPUTE_PGM_RSRC2:TRAP_HANDLER: 0
; COMPUTE_PGM_RSRC2:TGID_X_EN: 1
; COMPUTE_PGM_RSRC2:TGID_Y_EN: 0
; COMPUTE_PGM_RSRC2:TGID_Z_EN: 0
; COMPUTE_PGM_RSRC2:TIDIG_COMP_CNT: 0
	.section	.text._ZN7rocprim17ROCPRIM_400000_NS6detail17trampoline_kernelINS0_14default_configENS1_25partition_config_selectorILNS1_17partition_subalgoE5EjNS0_10empty_typeEbEEZZNS1_14partition_implILS5_5ELb0ES3_mN6thrust23THRUST_200600_302600_NS6detail15normal_iteratorINSA_10device_ptrIjEEEEPS6_NSA_18transform_iteratorINSB_9not_fun_tI7is_trueIjEEESF_NSA_11use_defaultESM_EENS0_5tupleIJSF_S6_EEENSO_IJSG_SG_EEES6_PlJS6_EEE10hipError_tPvRmT3_T4_T5_T6_T7_T9_mT8_P12ihipStream_tbDpT10_ENKUlT_T0_E_clISt17integral_constantIbLb1EES1A_IbLb0EEEEDaS16_S17_EUlS16_E_NS1_11comp_targetILNS1_3genE8ELNS1_11target_archE1030ELNS1_3gpuE2ELNS1_3repE0EEENS1_30default_config_static_selectorELNS0_4arch9wavefront6targetE0EEEvT1_,"axG",@progbits,_ZN7rocprim17ROCPRIM_400000_NS6detail17trampoline_kernelINS0_14default_configENS1_25partition_config_selectorILNS1_17partition_subalgoE5EjNS0_10empty_typeEbEEZZNS1_14partition_implILS5_5ELb0ES3_mN6thrust23THRUST_200600_302600_NS6detail15normal_iteratorINSA_10device_ptrIjEEEEPS6_NSA_18transform_iteratorINSB_9not_fun_tI7is_trueIjEEESF_NSA_11use_defaultESM_EENS0_5tupleIJSF_S6_EEENSO_IJSG_SG_EEES6_PlJS6_EEE10hipError_tPvRmT3_T4_T5_T6_T7_T9_mT8_P12ihipStream_tbDpT10_ENKUlT_T0_E_clISt17integral_constantIbLb1EES1A_IbLb0EEEEDaS16_S17_EUlS16_E_NS1_11comp_targetILNS1_3genE8ELNS1_11target_archE1030ELNS1_3gpuE2ELNS1_3repE0EEENS1_30default_config_static_selectorELNS0_4arch9wavefront6targetE0EEEvT1_,comdat
	.protected	_ZN7rocprim17ROCPRIM_400000_NS6detail17trampoline_kernelINS0_14default_configENS1_25partition_config_selectorILNS1_17partition_subalgoE5EjNS0_10empty_typeEbEEZZNS1_14partition_implILS5_5ELb0ES3_mN6thrust23THRUST_200600_302600_NS6detail15normal_iteratorINSA_10device_ptrIjEEEEPS6_NSA_18transform_iteratorINSB_9not_fun_tI7is_trueIjEEESF_NSA_11use_defaultESM_EENS0_5tupleIJSF_S6_EEENSO_IJSG_SG_EEES6_PlJS6_EEE10hipError_tPvRmT3_T4_T5_T6_T7_T9_mT8_P12ihipStream_tbDpT10_ENKUlT_T0_E_clISt17integral_constantIbLb1EES1A_IbLb0EEEEDaS16_S17_EUlS16_E_NS1_11comp_targetILNS1_3genE8ELNS1_11target_archE1030ELNS1_3gpuE2ELNS1_3repE0EEENS1_30default_config_static_selectorELNS0_4arch9wavefront6targetE0EEEvT1_ ; -- Begin function _ZN7rocprim17ROCPRIM_400000_NS6detail17trampoline_kernelINS0_14default_configENS1_25partition_config_selectorILNS1_17partition_subalgoE5EjNS0_10empty_typeEbEEZZNS1_14partition_implILS5_5ELb0ES3_mN6thrust23THRUST_200600_302600_NS6detail15normal_iteratorINSA_10device_ptrIjEEEEPS6_NSA_18transform_iteratorINSB_9not_fun_tI7is_trueIjEEESF_NSA_11use_defaultESM_EENS0_5tupleIJSF_S6_EEENSO_IJSG_SG_EEES6_PlJS6_EEE10hipError_tPvRmT3_T4_T5_T6_T7_T9_mT8_P12ihipStream_tbDpT10_ENKUlT_T0_E_clISt17integral_constantIbLb1EES1A_IbLb0EEEEDaS16_S17_EUlS16_E_NS1_11comp_targetILNS1_3genE8ELNS1_11target_archE1030ELNS1_3gpuE2ELNS1_3repE0EEENS1_30default_config_static_selectorELNS0_4arch9wavefront6targetE0EEEvT1_
	.globl	_ZN7rocprim17ROCPRIM_400000_NS6detail17trampoline_kernelINS0_14default_configENS1_25partition_config_selectorILNS1_17partition_subalgoE5EjNS0_10empty_typeEbEEZZNS1_14partition_implILS5_5ELb0ES3_mN6thrust23THRUST_200600_302600_NS6detail15normal_iteratorINSA_10device_ptrIjEEEEPS6_NSA_18transform_iteratorINSB_9not_fun_tI7is_trueIjEEESF_NSA_11use_defaultESM_EENS0_5tupleIJSF_S6_EEENSO_IJSG_SG_EEES6_PlJS6_EEE10hipError_tPvRmT3_T4_T5_T6_T7_T9_mT8_P12ihipStream_tbDpT10_ENKUlT_T0_E_clISt17integral_constantIbLb1EES1A_IbLb0EEEEDaS16_S17_EUlS16_E_NS1_11comp_targetILNS1_3genE8ELNS1_11target_archE1030ELNS1_3gpuE2ELNS1_3repE0EEENS1_30default_config_static_selectorELNS0_4arch9wavefront6targetE0EEEvT1_
	.p2align	8
	.type	_ZN7rocprim17ROCPRIM_400000_NS6detail17trampoline_kernelINS0_14default_configENS1_25partition_config_selectorILNS1_17partition_subalgoE5EjNS0_10empty_typeEbEEZZNS1_14partition_implILS5_5ELb0ES3_mN6thrust23THRUST_200600_302600_NS6detail15normal_iteratorINSA_10device_ptrIjEEEEPS6_NSA_18transform_iteratorINSB_9not_fun_tI7is_trueIjEEESF_NSA_11use_defaultESM_EENS0_5tupleIJSF_S6_EEENSO_IJSG_SG_EEES6_PlJS6_EEE10hipError_tPvRmT3_T4_T5_T6_T7_T9_mT8_P12ihipStream_tbDpT10_ENKUlT_T0_E_clISt17integral_constantIbLb1EES1A_IbLb0EEEEDaS16_S17_EUlS16_E_NS1_11comp_targetILNS1_3genE8ELNS1_11target_archE1030ELNS1_3gpuE2ELNS1_3repE0EEENS1_30default_config_static_selectorELNS0_4arch9wavefront6targetE0EEEvT1_,@function
_ZN7rocprim17ROCPRIM_400000_NS6detail17trampoline_kernelINS0_14default_configENS1_25partition_config_selectorILNS1_17partition_subalgoE5EjNS0_10empty_typeEbEEZZNS1_14partition_implILS5_5ELb0ES3_mN6thrust23THRUST_200600_302600_NS6detail15normal_iteratorINSA_10device_ptrIjEEEEPS6_NSA_18transform_iteratorINSB_9not_fun_tI7is_trueIjEEESF_NSA_11use_defaultESM_EENS0_5tupleIJSF_S6_EEENSO_IJSG_SG_EEES6_PlJS6_EEE10hipError_tPvRmT3_T4_T5_T6_T7_T9_mT8_P12ihipStream_tbDpT10_ENKUlT_T0_E_clISt17integral_constantIbLb1EES1A_IbLb0EEEEDaS16_S17_EUlS16_E_NS1_11comp_targetILNS1_3genE8ELNS1_11target_archE1030ELNS1_3gpuE2ELNS1_3repE0EEENS1_30default_config_static_selectorELNS0_4arch9wavefront6targetE0EEEvT1_: ; @_ZN7rocprim17ROCPRIM_400000_NS6detail17trampoline_kernelINS0_14default_configENS1_25partition_config_selectorILNS1_17partition_subalgoE5EjNS0_10empty_typeEbEEZZNS1_14partition_implILS5_5ELb0ES3_mN6thrust23THRUST_200600_302600_NS6detail15normal_iteratorINSA_10device_ptrIjEEEEPS6_NSA_18transform_iteratorINSB_9not_fun_tI7is_trueIjEEESF_NSA_11use_defaultESM_EENS0_5tupleIJSF_S6_EEENSO_IJSG_SG_EEES6_PlJS6_EEE10hipError_tPvRmT3_T4_T5_T6_T7_T9_mT8_P12ihipStream_tbDpT10_ENKUlT_T0_E_clISt17integral_constantIbLb1EES1A_IbLb0EEEEDaS16_S17_EUlS16_E_NS1_11comp_targetILNS1_3genE8ELNS1_11target_archE1030ELNS1_3gpuE2ELNS1_3repE0EEENS1_30default_config_static_selectorELNS0_4arch9wavefront6targetE0EEEvT1_
; %bb.0:
	.section	.rodata,"a",@progbits
	.p2align	6, 0x0
	.amdhsa_kernel _ZN7rocprim17ROCPRIM_400000_NS6detail17trampoline_kernelINS0_14default_configENS1_25partition_config_selectorILNS1_17partition_subalgoE5EjNS0_10empty_typeEbEEZZNS1_14partition_implILS5_5ELb0ES3_mN6thrust23THRUST_200600_302600_NS6detail15normal_iteratorINSA_10device_ptrIjEEEEPS6_NSA_18transform_iteratorINSB_9not_fun_tI7is_trueIjEEESF_NSA_11use_defaultESM_EENS0_5tupleIJSF_S6_EEENSO_IJSG_SG_EEES6_PlJS6_EEE10hipError_tPvRmT3_T4_T5_T6_T7_T9_mT8_P12ihipStream_tbDpT10_ENKUlT_T0_E_clISt17integral_constantIbLb1EES1A_IbLb0EEEEDaS16_S17_EUlS16_E_NS1_11comp_targetILNS1_3genE8ELNS1_11target_archE1030ELNS1_3gpuE2ELNS1_3repE0EEENS1_30default_config_static_selectorELNS0_4arch9wavefront6targetE0EEEvT1_
		.amdhsa_group_segment_fixed_size 0
		.amdhsa_private_segment_fixed_size 0
		.amdhsa_kernarg_size 120
		.amdhsa_user_sgpr_count 2
		.amdhsa_user_sgpr_dispatch_ptr 0
		.amdhsa_user_sgpr_queue_ptr 0
		.amdhsa_user_sgpr_kernarg_segment_ptr 1
		.amdhsa_user_sgpr_dispatch_id 0
		.amdhsa_user_sgpr_private_segment_size 0
		.amdhsa_wavefront_size32 1
		.amdhsa_uses_dynamic_stack 0
		.amdhsa_enable_private_segment 0
		.amdhsa_system_sgpr_workgroup_id_x 1
		.amdhsa_system_sgpr_workgroup_id_y 0
		.amdhsa_system_sgpr_workgroup_id_z 0
		.amdhsa_system_sgpr_workgroup_info 0
		.amdhsa_system_vgpr_workitem_id 0
		.amdhsa_next_free_vgpr 1
		.amdhsa_next_free_sgpr 1
		.amdhsa_reserve_vcc 0
		.amdhsa_float_round_mode_32 0
		.amdhsa_float_round_mode_16_64 0
		.amdhsa_float_denorm_mode_32 3
		.amdhsa_float_denorm_mode_16_64 3
		.amdhsa_fp16_overflow 0
		.amdhsa_workgroup_processor_mode 1
		.amdhsa_memory_ordered 1
		.amdhsa_forward_progress 1
		.amdhsa_inst_pref_size 0
		.amdhsa_round_robin_scheduling 0
		.amdhsa_exception_fp_ieee_invalid_op 0
		.amdhsa_exception_fp_denorm_src 0
		.amdhsa_exception_fp_ieee_div_zero 0
		.amdhsa_exception_fp_ieee_overflow 0
		.amdhsa_exception_fp_ieee_underflow 0
		.amdhsa_exception_fp_ieee_inexact 0
		.amdhsa_exception_int_div_zero 0
	.end_amdhsa_kernel
	.section	.text._ZN7rocprim17ROCPRIM_400000_NS6detail17trampoline_kernelINS0_14default_configENS1_25partition_config_selectorILNS1_17partition_subalgoE5EjNS0_10empty_typeEbEEZZNS1_14partition_implILS5_5ELb0ES3_mN6thrust23THRUST_200600_302600_NS6detail15normal_iteratorINSA_10device_ptrIjEEEEPS6_NSA_18transform_iteratorINSB_9not_fun_tI7is_trueIjEEESF_NSA_11use_defaultESM_EENS0_5tupleIJSF_S6_EEENSO_IJSG_SG_EEES6_PlJS6_EEE10hipError_tPvRmT3_T4_T5_T6_T7_T9_mT8_P12ihipStream_tbDpT10_ENKUlT_T0_E_clISt17integral_constantIbLb1EES1A_IbLb0EEEEDaS16_S17_EUlS16_E_NS1_11comp_targetILNS1_3genE8ELNS1_11target_archE1030ELNS1_3gpuE2ELNS1_3repE0EEENS1_30default_config_static_selectorELNS0_4arch9wavefront6targetE0EEEvT1_,"axG",@progbits,_ZN7rocprim17ROCPRIM_400000_NS6detail17trampoline_kernelINS0_14default_configENS1_25partition_config_selectorILNS1_17partition_subalgoE5EjNS0_10empty_typeEbEEZZNS1_14partition_implILS5_5ELb0ES3_mN6thrust23THRUST_200600_302600_NS6detail15normal_iteratorINSA_10device_ptrIjEEEEPS6_NSA_18transform_iteratorINSB_9not_fun_tI7is_trueIjEEESF_NSA_11use_defaultESM_EENS0_5tupleIJSF_S6_EEENSO_IJSG_SG_EEES6_PlJS6_EEE10hipError_tPvRmT3_T4_T5_T6_T7_T9_mT8_P12ihipStream_tbDpT10_ENKUlT_T0_E_clISt17integral_constantIbLb1EES1A_IbLb0EEEEDaS16_S17_EUlS16_E_NS1_11comp_targetILNS1_3genE8ELNS1_11target_archE1030ELNS1_3gpuE2ELNS1_3repE0EEENS1_30default_config_static_selectorELNS0_4arch9wavefront6targetE0EEEvT1_,comdat
.Lfunc_end1424:
	.size	_ZN7rocprim17ROCPRIM_400000_NS6detail17trampoline_kernelINS0_14default_configENS1_25partition_config_selectorILNS1_17partition_subalgoE5EjNS0_10empty_typeEbEEZZNS1_14partition_implILS5_5ELb0ES3_mN6thrust23THRUST_200600_302600_NS6detail15normal_iteratorINSA_10device_ptrIjEEEEPS6_NSA_18transform_iteratorINSB_9not_fun_tI7is_trueIjEEESF_NSA_11use_defaultESM_EENS0_5tupleIJSF_S6_EEENSO_IJSG_SG_EEES6_PlJS6_EEE10hipError_tPvRmT3_T4_T5_T6_T7_T9_mT8_P12ihipStream_tbDpT10_ENKUlT_T0_E_clISt17integral_constantIbLb1EES1A_IbLb0EEEEDaS16_S17_EUlS16_E_NS1_11comp_targetILNS1_3genE8ELNS1_11target_archE1030ELNS1_3gpuE2ELNS1_3repE0EEENS1_30default_config_static_selectorELNS0_4arch9wavefront6targetE0EEEvT1_, .Lfunc_end1424-_ZN7rocprim17ROCPRIM_400000_NS6detail17trampoline_kernelINS0_14default_configENS1_25partition_config_selectorILNS1_17partition_subalgoE5EjNS0_10empty_typeEbEEZZNS1_14partition_implILS5_5ELb0ES3_mN6thrust23THRUST_200600_302600_NS6detail15normal_iteratorINSA_10device_ptrIjEEEEPS6_NSA_18transform_iteratorINSB_9not_fun_tI7is_trueIjEEESF_NSA_11use_defaultESM_EENS0_5tupleIJSF_S6_EEENSO_IJSG_SG_EEES6_PlJS6_EEE10hipError_tPvRmT3_T4_T5_T6_T7_T9_mT8_P12ihipStream_tbDpT10_ENKUlT_T0_E_clISt17integral_constantIbLb1EES1A_IbLb0EEEEDaS16_S17_EUlS16_E_NS1_11comp_targetILNS1_3genE8ELNS1_11target_archE1030ELNS1_3gpuE2ELNS1_3repE0EEENS1_30default_config_static_selectorELNS0_4arch9wavefront6targetE0EEEvT1_
                                        ; -- End function
	.set _ZN7rocprim17ROCPRIM_400000_NS6detail17trampoline_kernelINS0_14default_configENS1_25partition_config_selectorILNS1_17partition_subalgoE5EjNS0_10empty_typeEbEEZZNS1_14partition_implILS5_5ELb0ES3_mN6thrust23THRUST_200600_302600_NS6detail15normal_iteratorINSA_10device_ptrIjEEEEPS6_NSA_18transform_iteratorINSB_9not_fun_tI7is_trueIjEEESF_NSA_11use_defaultESM_EENS0_5tupleIJSF_S6_EEENSO_IJSG_SG_EEES6_PlJS6_EEE10hipError_tPvRmT3_T4_T5_T6_T7_T9_mT8_P12ihipStream_tbDpT10_ENKUlT_T0_E_clISt17integral_constantIbLb1EES1A_IbLb0EEEEDaS16_S17_EUlS16_E_NS1_11comp_targetILNS1_3genE8ELNS1_11target_archE1030ELNS1_3gpuE2ELNS1_3repE0EEENS1_30default_config_static_selectorELNS0_4arch9wavefront6targetE0EEEvT1_.num_vgpr, 0
	.set _ZN7rocprim17ROCPRIM_400000_NS6detail17trampoline_kernelINS0_14default_configENS1_25partition_config_selectorILNS1_17partition_subalgoE5EjNS0_10empty_typeEbEEZZNS1_14partition_implILS5_5ELb0ES3_mN6thrust23THRUST_200600_302600_NS6detail15normal_iteratorINSA_10device_ptrIjEEEEPS6_NSA_18transform_iteratorINSB_9not_fun_tI7is_trueIjEEESF_NSA_11use_defaultESM_EENS0_5tupleIJSF_S6_EEENSO_IJSG_SG_EEES6_PlJS6_EEE10hipError_tPvRmT3_T4_T5_T6_T7_T9_mT8_P12ihipStream_tbDpT10_ENKUlT_T0_E_clISt17integral_constantIbLb1EES1A_IbLb0EEEEDaS16_S17_EUlS16_E_NS1_11comp_targetILNS1_3genE8ELNS1_11target_archE1030ELNS1_3gpuE2ELNS1_3repE0EEENS1_30default_config_static_selectorELNS0_4arch9wavefront6targetE0EEEvT1_.num_agpr, 0
	.set _ZN7rocprim17ROCPRIM_400000_NS6detail17trampoline_kernelINS0_14default_configENS1_25partition_config_selectorILNS1_17partition_subalgoE5EjNS0_10empty_typeEbEEZZNS1_14partition_implILS5_5ELb0ES3_mN6thrust23THRUST_200600_302600_NS6detail15normal_iteratorINSA_10device_ptrIjEEEEPS6_NSA_18transform_iteratorINSB_9not_fun_tI7is_trueIjEEESF_NSA_11use_defaultESM_EENS0_5tupleIJSF_S6_EEENSO_IJSG_SG_EEES6_PlJS6_EEE10hipError_tPvRmT3_T4_T5_T6_T7_T9_mT8_P12ihipStream_tbDpT10_ENKUlT_T0_E_clISt17integral_constantIbLb1EES1A_IbLb0EEEEDaS16_S17_EUlS16_E_NS1_11comp_targetILNS1_3genE8ELNS1_11target_archE1030ELNS1_3gpuE2ELNS1_3repE0EEENS1_30default_config_static_selectorELNS0_4arch9wavefront6targetE0EEEvT1_.numbered_sgpr, 0
	.set _ZN7rocprim17ROCPRIM_400000_NS6detail17trampoline_kernelINS0_14default_configENS1_25partition_config_selectorILNS1_17partition_subalgoE5EjNS0_10empty_typeEbEEZZNS1_14partition_implILS5_5ELb0ES3_mN6thrust23THRUST_200600_302600_NS6detail15normal_iteratorINSA_10device_ptrIjEEEEPS6_NSA_18transform_iteratorINSB_9not_fun_tI7is_trueIjEEESF_NSA_11use_defaultESM_EENS0_5tupleIJSF_S6_EEENSO_IJSG_SG_EEES6_PlJS6_EEE10hipError_tPvRmT3_T4_T5_T6_T7_T9_mT8_P12ihipStream_tbDpT10_ENKUlT_T0_E_clISt17integral_constantIbLb1EES1A_IbLb0EEEEDaS16_S17_EUlS16_E_NS1_11comp_targetILNS1_3genE8ELNS1_11target_archE1030ELNS1_3gpuE2ELNS1_3repE0EEENS1_30default_config_static_selectorELNS0_4arch9wavefront6targetE0EEEvT1_.num_named_barrier, 0
	.set _ZN7rocprim17ROCPRIM_400000_NS6detail17trampoline_kernelINS0_14default_configENS1_25partition_config_selectorILNS1_17partition_subalgoE5EjNS0_10empty_typeEbEEZZNS1_14partition_implILS5_5ELb0ES3_mN6thrust23THRUST_200600_302600_NS6detail15normal_iteratorINSA_10device_ptrIjEEEEPS6_NSA_18transform_iteratorINSB_9not_fun_tI7is_trueIjEEESF_NSA_11use_defaultESM_EENS0_5tupleIJSF_S6_EEENSO_IJSG_SG_EEES6_PlJS6_EEE10hipError_tPvRmT3_T4_T5_T6_T7_T9_mT8_P12ihipStream_tbDpT10_ENKUlT_T0_E_clISt17integral_constantIbLb1EES1A_IbLb0EEEEDaS16_S17_EUlS16_E_NS1_11comp_targetILNS1_3genE8ELNS1_11target_archE1030ELNS1_3gpuE2ELNS1_3repE0EEENS1_30default_config_static_selectorELNS0_4arch9wavefront6targetE0EEEvT1_.private_seg_size, 0
	.set _ZN7rocprim17ROCPRIM_400000_NS6detail17trampoline_kernelINS0_14default_configENS1_25partition_config_selectorILNS1_17partition_subalgoE5EjNS0_10empty_typeEbEEZZNS1_14partition_implILS5_5ELb0ES3_mN6thrust23THRUST_200600_302600_NS6detail15normal_iteratorINSA_10device_ptrIjEEEEPS6_NSA_18transform_iteratorINSB_9not_fun_tI7is_trueIjEEESF_NSA_11use_defaultESM_EENS0_5tupleIJSF_S6_EEENSO_IJSG_SG_EEES6_PlJS6_EEE10hipError_tPvRmT3_T4_T5_T6_T7_T9_mT8_P12ihipStream_tbDpT10_ENKUlT_T0_E_clISt17integral_constantIbLb1EES1A_IbLb0EEEEDaS16_S17_EUlS16_E_NS1_11comp_targetILNS1_3genE8ELNS1_11target_archE1030ELNS1_3gpuE2ELNS1_3repE0EEENS1_30default_config_static_selectorELNS0_4arch9wavefront6targetE0EEEvT1_.uses_vcc, 0
	.set _ZN7rocprim17ROCPRIM_400000_NS6detail17trampoline_kernelINS0_14default_configENS1_25partition_config_selectorILNS1_17partition_subalgoE5EjNS0_10empty_typeEbEEZZNS1_14partition_implILS5_5ELb0ES3_mN6thrust23THRUST_200600_302600_NS6detail15normal_iteratorINSA_10device_ptrIjEEEEPS6_NSA_18transform_iteratorINSB_9not_fun_tI7is_trueIjEEESF_NSA_11use_defaultESM_EENS0_5tupleIJSF_S6_EEENSO_IJSG_SG_EEES6_PlJS6_EEE10hipError_tPvRmT3_T4_T5_T6_T7_T9_mT8_P12ihipStream_tbDpT10_ENKUlT_T0_E_clISt17integral_constantIbLb1EES1A_IbLb0EEEEDaS16_S17_EUlS16_E_NS1_11comp_targetILNS1_3genE8ELNS1_11target_archE1030ELNS1_3gpuE2ELNS1_3repE0EEENS1_30default_config_static_selectorELNS0_4arch9wavefront6targetE0EEEvT1_.uses_flat_scratch, 0
	.set _ZN7rocprim17ROCPRIM_400000_NS6detail17trampoline_kernelINS0_14default_configENS1_25partition_config_selectorILNS1_17partition_subalgoE5EjNS0_10empty_typeEbEEZZNS1_14partition_implILS5_5ELb0ES3_mN6thrust23THRUST_200600_302600_NS6detail15normal_iteratorINSA_10device_ptrIjEEEEPS6_NSA_18transform_iteratorINSB_9not_fun_tI7is_trueIjEEESF_NSA_11use_defaultESM_EENS0_5tupleIJSF_S6_EEENSO_IJSG_SG_EEES6_PlJS6_EEE10hipError_tPvRmT3_T4_T5_T6_T7_T9_mT8_P12ihipStream_tbDpT10_ENKUlT_T0_E_clISt17integral_constantIbLb1EES1A_IbLb0EEEEDaS16_S17_EUlS16_E_NS1_11comp_targetILNS1_3genE8ELNS1_11target_archE1030ELNS1_3gpuE2ELNS1_3repE0EEENS1_30default_config_static_selectorELNS0_4arch9wavefront6targetE0EEEvT1_.has_dyn_sized_stack, 0
	.set _ZN7rocprim17ROCPRIM_400000_NS6detail17trampoline_kernelINS0_14default_configENS1_25partition_config_selectorILNS1_17partition_subalgoE5EjNS0_10empty_typeEbEEZZNS1_14partition_implILS5_5ELb0ES3_mN6thrust23THRUST_200600_302600_NS6detail15normal_iteratorINSA_10device_ptrIjEEEEPS6_NSA_18transform_iteratorINSB_9not_fun_tI7is_trueIjEEESF_NSA_11use_defaultESM_EENS0_5tupleIJSF_S6_EEENSO_IJSG_SG_EEES6_PlJS6_EEE10hipError_tPvRmT3_T4_T5_T6_T7_T9_mT8_P12ihipStream_tbDpT10_ENKUlT_T0_E_clISt17integral_constantIbLb1EES1A_IbLb0EEEEDaS16_S17_EUlS16_E_NS1_11comp_targetILNS1_3genE8ELNS1_11target_archE1030ELNS1_3gpuE2ELNS1_3repE0EEENS1_30default_config_static_selectorELNS0_4arch9wavefront6targetE0EEEvT1_.has_recursion, 0
	.set _ZN7rocprim17ROCPRIM_400000_NS6detail17trampoline_kernelINS0_14default_configENS1_25partition_config_selectorILNS1_17partition_subalgoE5EjNS0_10empty_typeEbEEZZNS1_14partition_implILS5_5ELb0ES3_mN6thrust23THRUST_200600_302600_NS6detail15normal_iteratorINSA_10device_ptrIjEEEEPS6_NSA_18transform_iteratorINSB_9not_fun_tI7is_trueIjEEESF_NSA_11use_defaultESM_EENS0_5tupleIJSF_S6_EEENSO_IJSG_SG_EEES6_PlJS6_EEE10hipError_tPvRmT3_T4_T5_T6_T7_T9_mT8_P12ihipStream_tbDpT10_ENKUlT_T0_E_clISt17integral_constantIbLb1EES1A_IbLb0EEEEDaS16_S17_EUlS16_E_NS1_11comp_targetILNS1_3genE8ELNS1_11target_archE1030ELNS1_3gpuE2ELNS1_3repE0EEENS1_30default_config_static_selectorELNS0_4arch9wavefront6targetE0EEEvT1_.has_indirect_call, 0
	.section	.AMDGPU.csdata,"",@progbits
; Kernel info:
; codeLenInByte = 0
; TotalNumSgprs: 0
; NumVgprs: 0
; ScratchSize: 0
; MemoryBound: 0
; FloatMode: 240
; IeeeMode: 1
; LDSByteSize: 0 bytes/workgroup (compile time only)
; SGPRBlocks: 0
; VGPRBlocks: 0
; NumSGPRsForWavesPerEU: 1
; NumVGPRsForWavesPerEU: 1
; Occupancy: 16
; WaveLimiterHint : 0
; COMPUTE_PGM_RSRC2:SCRATCH_EN: 0
; COMPUTE_PGM_RSRC2:USER_SGPR: 2
; COMPUTE_PGM_RSRC2:TRAP_HANDLER: 0
; COMPUTE_PGM_RSRC2:TGID_X_EN: 1
; COMPUTE_PGM_RSRC2:TGID_Y_EN: 0
; COMPUTE_PGM_RSRC2:TGID_Z_EN: 0
; COMPUTE_PGM_RSRC2:TIDIG_COMP_CNT: 0
	.section	.text._ZN7rocprim17ROCPRIM_400000_NS6detail17trampoline_kernelINS0_14default_configENS1_25partition_config_selectorILNS1_17partition_subalgoE5EjNS0_10empty_typeEbEEZZNS1_14partition_implILS5_5ELb0ES3_mN6thrust23THRUST_200600_302600_NS6detail15normal_iteratorINSA_10device_ptrIjEEEEPS6_NSA_18transform_iteratorINSB_9not_fun_tI7is_trueIjEEESF_NSA_11use_defaultESM_EENS0_5tupleIJSF_S6_EEENSO_IJSG_SG_EEES6_PlJS6_EEE10hipError_tPvRmT3_T4_T5_T6_T7_T9_mT8_P12ihipStream_tbDpT10_ENKUlT_T0_E_clISt17integral_constantIbLb0EES1A_IbLb1EEEEDaS16_S17_EUlS16_E_NS1_11comp_targetILNS1_3genE0ELNS1_11target_archE4294967295ELNS1_3gpuE0ELNS1_3repE0EEENS1_30default_config_static_selectorELNS0_4arch9wavefront6targetE0EEEvT1_,"axG",@progbits,_ZN7rocprim17ROCPRIM_400000_NS6detail17trampoline_kernelINS0_14default_configENS1_25partition_config_selectorILNS1_17partition_subalgoE5EjNS0_10empty_typeEbEEZZNS1_14partition_implILS5_5ELb0ES3_mN6thrust23THRUST_200600_302600_NS6detail15normal_iteratorINSA_10device_ptrIjEEEEPS6_NSA_18transform_iteratorINSB_9not_fun_tI7is_trueIjEEESF_NSA_11use_defaultESM_EENS0_5tupleIJSF_S6_EEENSO_IJSG_SG_EEES6_PlJS6_EEE10hipError_tPvRmT3_T4_T5_T6_T7_T9_mT8_P12ihipStream_tbDpT10_ENKUlT_T0_E_clISt17integral_constantIbLb0EES1A_IbLb1EEEEDaS16_S17_EUlS16_E_NS1_11comp_targetILNS1_3genE0ELNS1_11target_archE4294967295ELNS1_3gpuE0ELNS1_3repE0EEENS1_30default_config_static_selectorELNS0_4arch9wavefront6targetE0EEEvT1_,comdat
	.protected	_ZN7rocprim17ROCPRIM_400000_NS6detail17trampoline_kernelINS0_14default_configENS1_25partition_config_selectorILNS1_17partition_subalgoE5EjNS0_10empty_typeEbEEZZNS1_14partition_implILS5_5ELb0ES3_mN6thrust23THRUST_200600_302600_NS6detail15normal_iteratorINSA_10device_ptrIjEEEEPS6_NSA_18transform_iteratorINSB_9not_fun_tI7is_trueIjEEESF_NSA_11use_defaultESM_EENS0_5tupleIJSF_S6_EEENSO_IJSG_SG_EEES6_PlJS6_EEE10hipError_tPvRmT3_T4_T5_T6_T7_T9_mT8_P12ihipStream_tbDpT10_ENKUlT_T0_E_clISt17integral_constantIbLb0EES1A_IbLb1EEEEDaS16_S17_EUlS16_E_NS1_11comp_targetILNS1_3genE0ELNS1_11target_archE4294967295ELNS1_3gpuE0ELNS1_3repE0EEENS1_30default_config_static_selectorELNS0_4arch9wavefront6targetE0EEEvT1_ ; -- Begin function _ZN7rocprim17ROCPRIM_400000_NS6detail17trampoline_kernelINS0_14default_configENS1_25partition_config_selectorILNS1_17partition_subalgoE5EjNS0_10empty_typeEbEEZZNS1_14partition_implILS5_5ELb0ES3_mN6thrust23THRUST_200600_302600_NS6detail15normal_iteratorINSA_10device_ptrIjEEEEPS6_NSA_18transform_iteratorINSB_9not_fun_tI7is_trueIjEEESF_NSA_11use_defaultESM_EENS0_5tupleIJSF_S6_EEENSO_IJSG_SG_EEES6_PlJS6_EEE10hipError_tPvRmT3_T4_T5_T6_T7_T9_mT8_P12ihipStream_tbDpT10_ENKUlT_T0_E_clISt17integral_constantIbLb0EES1A_IbLb1EEEEDaS16_S17_EUlS16_E_NS1_11comp_targetILNS1_3genE0ELNS1_11target_archE4294967295ELNS1_3gpuE0ELNS1_3repE0EEENS1_30default_config_static_selectorELNS0_4arch9wavefront6targetE0EEEvT1_
	.globl	_ZN7rocprim17ROCPRIM_400000_NS6detail17trampoline_kernelINS0_14default_configENS1_25partition_config_selectorILNS1_17partition_subalgoE5EjNS0_10empty_typeEbEEZZNS1_14partition_implILS5_5ELb0ES3_mN6thrust23THRUST_200600_302600_NS6detail15normal_iteratorINSA_10device_ptrIjEEEEPS6_NSA_18transform_iteratorINSB_9not_fun_tI7is_trueIjEEESF_NSA_11use_defaultESM_EENS0_5tupleIJSF_S6_EEENSO_IJSG_SG_EEES6_PlJS6_EEE10hipError_tPvRmT3_T4_T5_T6_T7_T9_mT8_P12ihipStream_tbDpT10_ENKUlT_T0_E_clISt17integral_constantIbLb0EES1A_IbLb1EEEEDaS16_S17_EUlS16_E_NS1_11comp_targetILNS1_3genE0ELNS1_11target_archE4294967295ELNS1_3gpuE0ELNS1_3repE0EEENS1_30default_config_static_selectorELNS0_4arch9wavefront6targetE0EEEvT1_
	.p2align	8
	.type	_ZN7rocprim17ROCPRIM_400000_NS6detail17trampoline_kernelINS0_14default_configENS1_25partition_config_selectorILNS1_17partition_subalgoE5EjNS0_10empty_typeEbEEZZNS1_14partition_implILS5_5ELb0ES3_mN6thrust23THRUST_200600_302600_NS6detail15normal_iteratorINSA_10device_ptrIjEEEEPS6_NSA_18transform_iteratorINSB_9not_fun_tI7is_trueIjEEESF_NSA_11use_defaultESM_EENS0_5tupleIJSF_S6_EEENSO_IJSG_SG_EEES6_PlJS6_EEE10hipError_tPvRmT3_T4_T5_T6_T7_T9_mT8_P12ihipStream_tbDpT10_ENKUlT_T0_E_clISt17integral_constantIbLb0EES1A_IbLb1EEEEDaS16_S17_EUlS16_E_NS1_11comp_targetILNS1_3genE0ELNS1_11target_archE4294967295ELNS1_3gpuE0ELNS1_3repE0EEENS1_30default_config_static_selectorELNS0_4arch9wavefront6targetE0EEEvT1_,@function
_ZN7rocprim17ROCPRIM_400000_NS6detail17trampoline_kernelINS0_14default_configENS1_25partition_config_selectorILNS1_17partition_subalgoE5EjNS0_10empty_typeEbEEZZNS1_14partition_implILS5_5ELb0ES3_mN6thrust23THRUST_200600_302600_NS6detail15normal_iteratorINSA_10device_ptrIjEEEEPS6_NSA_18transform_iteratorINSB_9not_fun_tI7is_trueIjEEESF_NSA_11use_defaultESM_EENS0_5tupleIJSF_S6_EEENSO_IJSG_SG_EEES6_PlJS6_EEE10hipError_tPvRmT3_T4_T5_T6_T7_T9_mT8_P12ihipStream_tbDpT10_ENKUlT_T0_E_clISt17integral_constantIbLb0EES1A_IbLb1EEEEDaS16_S17_EUlS16_E_NS1_11comp_targetILNS1_3genE0ELNS1_11target_archE4294967295ELNS1_3gpuE0ELNS1_3repE0EEENS1_30default_config_static_selectorELNS0_4arch9wavefront6targetE0EEEvT1_: ; @_ZN7rocprim17ROCPRIM_400000_NS6detail17trampoline_kernelINS0_14default_configENS1_25partition_config_selectorILNS1_17partition_subalgoE5EjNS0_10empty_typeEbEEZZNS1_14partition_implILS5_5ELb0ES3_mN6thrust23THRUST_200600_302600_NS6detail15normal_iteratorINSA_10device_ptrIjEEEEPS6_NSA_18transform_iteratorINSB_9not_fun_tI7is_trueIjEEESF_NSA_11use_defaultESM_EENS0_5tupleIJSF_S6_EEENSO_IJSG_SG_EEES6_PlJS6_EEE10hipError_tPvRmT3_T4_T5_T6_T7_T9_mT8_P12ihipStream_tbDpT10_ENKUlT_T0_E_clISt17integral_constantIbLb0EES1A_IbLb1EEEEDaS16_S17_EUlS16_E_NS1_11comp_targetILNS1_3genE0ELNS1_11target_archE4294967295ELNS1_3gpuE0ELNS1_3repE0EEENS1_30default_config_static_selectorELNS0_4arch9wavefront6targetE0EEEvT1_
; %bb.0:
	.section	.rodata,"a",@progbits
	.p2align	6, 0x0
	.amdhsa_kernel _ZN7rocprim17ROCPRIM_400000_NS6detail17trampoline_kernelINS0_14default_configENS1_25partition_config_selectorILNS1_17partition_subalgoE5EjNS0_10empty_typeEbEEZZNS1_14partition_implILS5_5ELb0ES3_mN6thrust23THRUST_200600_302600_NS6detail15normal_iteratorINSA_10device_ptrIjEEEEPS6_NSA_18transform_iteratorINSB_9not_fun_tI7is_trueIjEEESF_NSA_11use_defaultESM_EENS0_5tupleIJSF_S6_EEENSO_IJSG_SG_EEES6_PlJS6_EEE10hipError_tPvRmT3_T4_T5_T6_T7_T9_mT8_P12ihipStream_tbDpT10_ENKUlT_T0_E_clISt17integral_constantIbLb0EES1A_IbLb1EEEEDaS16_S17_EUlS16_E_NS1_11comp_targetILNS1_3genE0ELNS1_11target_archE4294967295ELNS1_3gpuE0ELNS1_3repE0EEENS1_30default_config_static_selectorELNS0_4arch9wavefront6targetE0EEEvT1_
		.amdhsa_group_segment_fixed_size 0
		.amdhsa_private_segment_fixed_size 0
		.amdhsa_kernarg_size 136
		.amdhsa_user_sgpr_count 2
		.amdhsa_user_sgpr_dispatch_ptr 0
		.amdhsa_user_sgpr_queue_ptr 0
		.amdhsa_user_sgpr_kernarg_segment_ptr 1
		.amdhsa_user_sgpr_dispatch_id 0
		.amdhsa_user_sgpr_private_segment_size 0
		.amdhsa_wavefront_size32 1
		.amdhsa_uses_dynamic_stack 0
		.amdhsa_enable_private_segment 0
		.amdhsa_system_sgpr_workgroup_id_x 1
		.amdhsa_system_sgpr_workgroup_id_y 0
		.amdhsa_system_sgpr_workgroup_id_z 0
		.amdhsa_system_sgpr_workgroup_info 0
		.amdhsa_system_vgpr_workitem_id 0
		.amdhsa_next_free_vgpr 1
		.amdhsa_next_free_sgpr 1
		.amdhsa_reserve_vcc 0
		.amdhsa_float_round_mode_32 0
		.amdhsa_float_round_mode_16_64 0
		.amdhsa_float_denorm_mode_32 3
		.amdhsa_float_denorm_mode_16_64 3
		.amdhsa_fp16_overflow 0
		.amdhsa_workgroup_processor_mode 1
		.amdhsa_memory_ordered 1
		.amdhsa_forward_progress 1
		.amdhsa_inst_pref_size 0
		.amdhsa_round_robin_scheduling 0
		.amdhsa_exception_fp_ieee_invalid_op 0
		.amdhsa_exception_fp_denorm_src 0
		.amdhsa_exception_fp_ieee_div_zero 0
		.amdhsa_exception_fp_ieee_overflow 0
		.amdhsa_exception_fp_ieee_underflow 0
		.amdhsa_exception_fp_ieee_inexact 0
		.amdhsa_exception_int_div_zero 0
	.end_amdhsa_kernel
	.section	.text._ZN7rocprim17ROCPRIM_400000_NS6detail17trampoline_kernelINS0_14default_configENS1_25partition_config_selectorILNS1_17partition_subalgoE5EjNS0_10empty_typeEbEEZZNS1_14partition_implILS5_5ELb0ES3_mN6thrust23THRUST_200600_302600_NS6detail15normal_iteratorINSA_10device_ptrIjEEEEPS6_NSA_18transform_iteratorINSB_9not_fun_tI7is_trueIjEEESF_NSA_11use_defaultESM_EENS0_5tupleIJSF_S6_EEENSO_IJSG_SG_EEES6_PlJS6_EEE10hipError_tPvRmT3_T4_T5_T6_T7_T9_mT8_P12ihipStream_tbDpT10_ENKUlT_T0_E_clISt17integral_constantIbLb0EES1A_IbLb1EEEEDaS16_S17_EUlS16_E_NS1_11comp_targetILNS1_3genE0ELNS1_11target_archE4294967295ELNS1_3gpuE0ELNS1_3repE0EEENS1_30default_config_static_selectorELNS0_4arch9wavefront6targetE0EEEvT1_,"axG",@progbits,_ZN7rocprim17ROCPRIM_400000_NS6detail17trampoline_kernelINS0_14default_configENS1_25partition_config_selectorILNS1_17partition_subalgoE5EjNS0_10empty_typeEbEEZZNS1_14partition_implILS5_5ELb0ES3_mN6thrust23THRUST_200600_302600_NS6detail15normal_iteratorINSA_10device_ptrIjEEEEPS6_NSA_18transform_iteratorINSB_9not_fun_tI7is_trueIjEEESF_NSA_11use_defaultESM_EENS0_5tupleIJSF_S6_EEENSO_IJSG_SG_EEES6_PlJS6_EEE10hipError_tPvRmT3_T4_T5_T6_T7_T9_mT8_P12ihipStream_tbDpT10_ENKUlT_T0_E_clISt17integral_constantIbLb0EES1A_IbLb1EEEEDaS16_S17_EUlS16_E_NS1_11comp_targetILNS1_3genE0ELNS1_11target_archE4294967295ELNS1_3gpuE0ELNS1_3repE0EEENS1_30default_config_static_selectorELNS0_4arch9wavefront6targetE0EEEvT1_,comdat
.Lfunc_end1425:
	.size	_ZN7rocprim17ROCPRIM_400000_NS6detail17trampoline_kernelINS0_14default_configENS1_25partition_config_selectorILNS1_17partition_subalgoE5EjNS0_10empty_typeEbEEZZNS1_14partition_implILS5_5ELb0ES3_mN6thrust23THRUST_200600_302600_NS6detail15normal_iteratorINSA_10device_ptrIjEEEEPS6_NSA_18transform_iteratorINSB_9not_fun_tI7is_trueIjEEESF_NSA_11use_defaultESM_EENS0_5tupleIJSF_S6_EEENSO_IJSG_SG_EEES6_PlJS6_EEE10hipError_tPvRmT3_T4_T5_T6_T7_T9_mT8_P12ihipStream_tbDpT10_ENKUlT_T0_E_clISt17integral_constantIbLb0EES1A_IbLb1EEEEDaS16_S17_EUlS16_E_NS1_11comp_targetILNS1_3genE0ELNS1_11target_archE4294967295ELNS1_3gpuE0ELNS1_3repE0EEENS1_30default_config_static_selectorELNS0_4arch9wavefront6targetE0EEEvT1_, .Lfunc_end1425-_ZN7rocprim17ROCPRIM_400000_NS6detail17trampoline_kernelINS0_14default_configENS1_25partition_config_selectorILNS1_17partition_subalgoE5EjNS0_10empty_typeEbEEZZNS1_14partition_implILS5_5ELb0ES3_mN6thrust23THRUST_200600_302600_NS6detail15normal_iteratorINSA_10device_ptrIjEEEEPS6_NSA_18transform_iteratorINSB_9not_fun_tI7is_trueIjEEESF_NSA_11use_defaultESM_EENS0_5tupleIJSF_S6_EEENSO_IJSG_SG_EEES6_PlJS6_EEE10hipError_tPvRmT3_T4_T5_T6_T7_T9_mT8_P12ihipStream_tbDpT10_ENKUlT_T0_E_clISt17integral_constantIbLb0EES1A_IbLb1EEEEDaS16_S17_EUlS16_E_NS1_11comp_targetILNS1_3genE0ELNS1_11target_archE4294967295ELNS1_3gpuE0ELNS1_3repE0EEENS1_30default_config_static_selectorELNS0_4arch9wavefront6targetE0EEEvT1_
                                        ; -- End function
	.set _ZN7rocprim17ROCPRIM_400000_NS6detail17trampoline_kernelINS0_14default_configENS1_25partition_config_selectorILNS1_17partition_subalgoE5EjNS0_10empty_typeEbEEZZNS1_14partition_implILS5_5ELb0ES3_mN6thrust23THRUST_200600_302600_NS6detail15normal_iteratorINSA_10device_ptrIjEEEEPS6_NSA_18transform_iteratorINSB_9not_fun_tI7is_trueIjEEESF_NSA_11use_defaultESM_EENS0_5tupleIJSF_S6_EEENSO_IJSG_SG_EEES6_PlJS6_EEE10hipError_tPvRmT3_T4_T5_T6_T7_T9_mT8_P12ihipStream_tbDpT10_ENKUlT_T0_E_clISt17integral_constantIbLb0EES1A_IbLb1EEEEDaS16_S17_EUlS16_E_NS1_11comp_targetILNS1_3genE0ELNS1_11target_archE4294967295ELNS1_3gpuE0ELNS1_3repE0EEENS1_30default_config_static_selectorELNS0_4arch9wavefront6targetE0EEEvT1_.num_vgpr, 0
	.set _ZN7rocprim17ROCPRIM_400000_NS6detail17trampoline_kernelINS0_14default_configENS1_25partition_config_selectorILNS1_17partition_subalgoE5EjNS0_10empty_typeEbEEZZNS1_14partition_implILS5_5ELb0ES3_mN6thrust23THRUST_200600_302600_NS6detail15normal_iteratorINSA_10device_ptrIjEEEEPS6_NSA_18transform_iteratorINSB_9not_fun_tI7is_trueIjEEESF_NSA_11use_defaultESM_EENS0_5tupleIJSF_S6_EEENSO_IJSG_SG_EEES6_PlJS6_EEE10hipError_tPvRmT3_T4_T5_T6_T7_T9_mT8_P12ihipStream_tbDpT10_ENKUlT_T0_E_clISt17integral_constantIbLb0EES1A_IbLb1EEEEDaS16_S17_EUlS16_E_NS1_11comp_targetILNS1_3genE0ELNS1_11target_archE4294967295ELNS1_3gpuE0ELNS1_3repE0EEENS1_30default_config_static_selectorELNS0_4arch9wavefront6targetE0EEEvT1_.num_agpr, 0
	.set _ZN7rocprim17ROCPRIM_400000_NS6detail17trampoline_kernelINS0_14default_configENS1_25partition_config_selectorILNS1_17partition_subalgoE5EjNS0_10empty_typeEbEEZZNS1_14partition_implILS5_5ELb0ES3_mN6thrust23THRUST_200600_302600_NS6detail15normal_iteratorINSA_10device_ptrIjEEEEPS6_NSA_18transform_iteratorINSB_9not_fun_tI7is_trueIjEEESF_NSA_11use_defaultESM_EENS0_5tupleIJSF_S6_EEENSO_IJSG_SG_EEES6_PlJS6_EEE10hipError_tPvRmT3_T4_T5_T6_T7_T9_mT8_P12ihipStream_tbDpT10_ENKUlT_T0_E_clISt17integral_constantIbLb0EES1A_IbLb1EEEEDaS16_S17_EUlS16_E_NS1_11comp_targetILNS1_3genE0ELNS1_11target_archE4294967295ELNS1_3gpuE0ELNS1_3repE0EEENS1_30default_config_static_selectorELNS0_4arch9wavefront6targetE0EEEvT1_.numbered_sgpr, 0
	.set _ZN7rocprim17ROCPRIM_400000_NS6detail17trampoline_kernelINS0_14default_configENS1_25partition_config_selectorILNS1_17partition_subalgoE5EjNS0_10empty_typeEbEEZZNS1_14partition_implILS5_5ELb0ES3_mN6thrust23THRUST_200600_302600_NS6detail15normal_iteratorINSA_10device_ptrIjEEEEPS6_NSA_18transform_iteratorINSB_9not_fun_tI7is_trueIjEEESF_NSA_11use_defaultESM_EENS0_5tupleIJSF_S6_EEENSO_IJSG_SG_EEES6_PlJS6_EEE10hipError_tPvRmT3_T4_T5_T6_T7_T9_mT8_P12ihipStream_tbDpT10_ENKUlT_T0_E_clISt17integral_constantIbLb0EES1A_IbLb1EEEEDaS16_S17_EUlS16_E_NS1_11comp_targetILNS1_3genE0ELNS1_11target_archE4294967295ELNS1_3gpuE0ELNS1_3repE0EEENS1_30default_config_static_selectorELNS0_4arch9wavefront6targetE0EEEvT1_.num_named_barrier, 0
	.set _ZN7rocprim17ROCPRIM_400000_NS6detail17trampoline_kernelINS0_14default_configENS1_25partition_config_selectorILNS1_17partition_subalgoE5EjNS0_10empty_typeEbEEZZNS1_14partition_implILS5_5ELb0ES3_mN6thrust23THRUST_200600_302600_NS6detail15normal_iteratorINSA_10device_ptrIjEEEEPS6_NSA_18transform_iteratorINSB_9not_fun_tI7is_trueIjEEESF_NSA_11use_defaultESM_EENS0_5tupleIJSF_S6_EEENSO_IJSG_SG_EEES6_PlJS6_EEE10hipError_tPvRmT3_T4_T5_T6_T7_T9_mT8_P12ihipStream_tbDpT10_ENKUlT_T0_E_clISt17integral_constantIbLb0EES1A_IbLb1EEEEDaS16_S17_EUlS16_E_NS1_11comp_targetILNS1_3genE0ELNS1_11target_archE4294967295ELNS1_3gpuE0ELNS1_3repE0EEENS1_30default_config_static_selectorELNS0_4arch9wavefront6targetE0EEEvT1_.private_seg_size, 0
	.set _ZN7rocprim17ROCPRIM_400000_NS6detail17trampoline_kernelINS0_14default_configENS1_25partition_config_selectorILNS1_17partition_subalgoE5EjNS0_10empty_typeEbEEZZNS1_14partition_implILS5_5ELb0ES3_mN6thrust23THRUST_200600_302600_NS6detail15normal_iteratorINSA_10device_ptrIjEEEEPS6_NSA_18transform_iteratorINSB_9not_fun_tI7is_trueIjEEESF_NSA_11use_defaultESM_EENS0_5tupleIJSF_S6_EEENSO_IJSG_SG_EEES6_PlJS6_EEE10hipError_tPvRmT3_T4_T5_T6_T7_T9_mT8_P12ihipStream_tbDpT10_ENKUlT_T0_E_clISt17integral_constantIbLb0EES1A_IbLb1EEEEDaS16_S17_EUlS16_E_NS1_11comp_targetILNS1_3genE0ELNS1_11target_archE4294967295ELNS1_3gpuE0ELNS1_3repE0EEENS1_30default_config_static_selectorELNS0_4arch9wavefront6targetE0EEEvT1_.uses_vcc, 0
	.set _ZN7rocprim17ROCPRIM_400000_NS6detail17trampoline_kernelINS0_14default_configENS1_25partition_config_selectorILNS1_17partition_subalgoE5EjNS0_10empty_typeEbEEZZNS1_14partition_implILS5_5ELb0ES3_mN6thrust23THRUST_200600_302600_NS6detail15normal_iteratorINSA_10device_ptrIjEEEEPS6_NSA_18transform_iteratorINSB_9not_fun_tI7is_trueIjEEESF_NSA_11use_defaultESM_EENS0_5tupleIJSF_S6_EEENSO_IJSG_SG_EEES6_PlJS6_EEE10hipError_tPvRmT3_T4_T5_T6_T7_T9_mT8_P12ihipStream_tbDpT10_ENKUlT_T0_E_clISt17integral_constantIbLb0EES1A_IbLb1EEEEDaS16_S17_EUlS16_E_NS1_11comp_targetILNS1_3genE0ELNS1_11target_archE4294967295ELNS1_3gpuE0ELNS1_3repE0EEENS1_30default_config_static_selectorELNS0_4arch9wavefront6targetE0EEEvT1_.uses_flat_scratch, 0
	.set _ZN7rocprim17ROCPRIM_400000_NS6detail17trampoline_kernelINS0_14default_configENS1_25partition_config_selectorILNS1_17partition_subalgoE5EjNS0_10empty_typeEbEEZZNS1_14partition_implILS5_5ELb0ES3_mN6thrust23THRUST_200600_302600_NS6detail15normal_iteratorINSA_10device_ptrIjEEEEPS6_NSA_18transform_iteratorINSB_9not_fun_tI7is_trueIjEEESF_NSA_11use_defaultESM_EENS0_5tupleIJSF_S6_EEENSO_IJSG_SG_EEES6_PlJS6_EEE10hipError_tPvRmT3_T4_T5_T6_T7_T9_mT8_P12ihipStream_tbDpT10_ENKUlT_T0_E_clISt17integral_constantIbLb0EES1A_IbLb1EEEEDaS16_S17_EUlS16_E_NS1_11comp_targetILNS1_3genE0ELNS1_11target_archE4294967295ELNS1_3gpuE0ELNS1_3repE0EEENS1_30default_config_static_selectorELNS0_4arch9wavefront6targetE0EEEvT1_.has_dyn_sized_stack, 0
	.set _ZN7rocprim17ROCPRIM_400000_NS6detail17trampoline_kernelINS0_14default_configENS1_25partition_config_selectorILNS1_17partition_subalgoE5EjNS0_10empty_typeEbEEZZNS1_14partition_implILS5_5ELb0ES3_mN6thrust23THRUST_200600_302600_NS6detail15normal_iteratorINSA_10device_ptrIjEEEEPS6_NSA_18transform_iteratorINSB_9not_fun_tI7is_trueIjEEESF_NSA_11use_defaultESM_EENS0_5tupleIJSF_S6_EEENSO_IJSG_SG_EEES6_PlJS6_EEE10hipError_tPvRmT3_T4_T5_T6_T7_T9_mT8_P12ihipStream_tbDpT10_ENKUlT_T0_E_clISt17integral_constantIbLb0EES1A_IbLb1EEEEDaS16_S17_EUlS16_E_NS1_11comp_targetILNS1_3genE0ELNS1_11target_archE4294967295ELNS1_3gpuE0ELNS1_3repE0EEENS1_30default_config_static_selectorELNS0_4arch9wavefront6targetE0EEEvT1_.has_recursion, 0
	.set _ZN7rocprim17ROCPRIM_400000_NS6detail17trampoline_kernelINS0_14default_configENS1_25partition_config_selectorILNS1_17partition_subalgoE5EjNS0_10empty_typeEbEEZZNS1_14partition_implILS5_5ELb0ES3_mN6thrust23THRUST_200600_302600_NS6detail15normal_iteratorINSA_10device_ptrIjEEEEPS6_NSA_18transform_iteratorINSB_9not_fun_tI7is_trueIjEEESF_NSA_11use_defaultESM_EENS0_5tupleIJSF_S6_EEENSO_IJSG_SG_EEES6_PlJS6_EEE10hipError_tPvRmT3_T4_T5_T6_T7_T9_mT8_P12ihipStream_tbDpT10_ENKUlT_T0_E_clISt17integral_constantIbLb0EES1A_IbLb1EEEEDaS16_S17_EUlS16_E_NS1_11comp_targetILNS1_3genE0ELNS1_11target_archE4294967295ELNS1_3gpuE0ELNS1_3repE0EEENS1_30default_config_static_selectorELNS0_4arch9wavefront6targetE0EEEvT1_.has_indirect_call, 0
	.section	.AMDGPU.csdata,"",@progbits
; Kernel info:
; codeLenInByte = 0
; TotalNumSgprs: 0
; NumVgprs: 0
; ScratchSize: 0
; MemoryBound: 0
; FloatMode: 240
; IeeeMode: 1
; LDSByteSize: 0 bytes/workgroup (compile time only)
; SGPRBlocks: 0
; VGPRBlocks: 0
; NumSGPRsForWavesPerEU: 1
; NumVGPRsForWavesPerEU: 1
; Occupancy: 16
; WaveLimiterHint : 0
; COMPUTE_PGM_RSRC2:SCRATCH_EN: 0
; COMPUTE_PGM_RSRC2:USER_SGPR: 2
; COMPUTE_PGM_RSRC2:TRAP_HANDLER: 0
; COMPUTE_PGM_RSRC2:TGID_X_EN: 1
; COMPUTE_PGM_RSRC2:TGID_Y_EN: 0
; COMPUTE_PGM_RSRC2:TGID_Z_EN: 0
; COMPUTE_PGM_RSRC2:TIDIG_COMP_CNT: 0
	.section	.text._ZN7rocprim17ROCPRIM_400000_NS6detail17trampoline_kernelINS0_14default_configENS1_25partition_config_selectorILNS1_17partition_subalgoE5EjNS0_10empty_typeEbEEZZNS1_14partition_implILS5_5ELb0ES3_mN6thrust23THRUST_200600_302600_NS6detail15normal_iteratorINSA_10device_ptrIjEEEEPS6_NSA_18transform_iteratorINSB_9not_fun_tI7is_trueIjEEESF_NSA_11use_defaultESM_EENS0_5tupleIJSF_S6_EEENSO_IJSG_SG_EEES6_PlJS6_EEE10hipError_tPvRmT3_T4_T5_T6_T7_T9_mT8_P12ihipStream_tbDpT10_ENKUlT_T0_E_clISt17integral_constantIbLb0EES1A_IbLb1EEEEDaS16_S17_EUlS16_E_NS1_11comp_targetILNS1_3genE5ELNS1_11target_archE942ELNS1_3gpuE9ELNS1_3repE0EEENS1_30default_config_static_selectorELNS0_4arch9wavefront6targetE0EEEvT1_,"axG",@progbits,_ZN7rocprim17ROCPRIM_400000_NS6detail17trampoline_kernelINS0_14default_configENS1_25partition_config_selectorILNS1_17partition_subalgoE5EjNS0_10empty_typeEbEEZZNS1_14partition_implILS5_5ELb0ES3_mN6thrust23THRUST_200600_302600_NS6detail15normal_iteratorINSA_10device_ptrIjEEEEPS6_NSA_18transform_iteratorINSB_9not_fun_tI7is_trueIjEEESF_NSA_11use_defaultESM_EENS0_5tupleIJSF_S6_EEENSO_IJSG_SG_EEES6_PlJS6_EEE10hipError_tPvRmT3_T4_T5_T6_T7_T9_mT8_P12ihipStream_tbDpT10_ENKUlT_T0_E_clISt17integral_constantIbLb0EES1A_IbLb1EEEEDaS16_S17_EUlS16_E_NS1_11comp_targetILNS1_3genE5ELNS1_11target_archE942ELNS1_3gpuE9ELNS1_3repE0EEENS1_30default_config_static_selectorELNS0_4arch9wavefront6targetE0EEEvT1_,comdat
	.protected	_ZN7rocprim17ROCPRIM_400000_NS6detail17trampoline_kernelINS0_14default_configENS1_25partition_config_selectorILNS1_17partition_subalgoE5EjNS0_10empty_typeEbEEZZNS1_14partition_implILS5_5ELb0ES3_mN6thrust23THRUST_200600_302600_NS6detail15normal_iteratorINSA_10device_ptrIjEEEEPS6_NSA_18transform_iteratorINSB_9not_fun_tI7is_trueIjEEESF_NSA_11use_defaultESM_EENS0_5tupleIJSF_S6_EEENSO_IJSG_SG_EEES6_PlJS6_EEE10hipError_tPvRmT3_T4_T5_T6_T7_T9_mT8_P12ihipStream_tbDpT10_ENKUlT_T0_E_clISt17integral_constantIbLb0EES1A_IbLb1EEEEDaS16_S17_EUlS16_E_NS1_11comp_targetILNS1_3genE5ELNS1_11target_archE942ELNS1_3gpuE9ELNS1_3repE0EEENS1_30default_config_static_selectorELNS0_4arch9wavefront6targetE0EEEvT1_ ; -- Begin function _ZN7rocprim17ROCPRIM_400000_NS6detail17trampoline_kernelINS0_14default_configENS1_25partition_config_selectorILNS1_17partition_subalgoE5EjNS0_10empty_typeEbEEZZNS1_14partition_implILS5_5ELb0ES3_mN6thrust23THRUST_200600_302600_NS6detail15normal_iteratorINSA_10device_ptrIjEEEEPS6_NSA_18transform_iteratorINSB_9not_fun_tI7is_trueIjEEESF_NSA_11use_defaultESM_EENS0_5tupleIJSF_S6_EEENSO_IJSG_SG_EEES6_PlJS6_EEE10hipError_tPvRmT3_T4_T5_T6_T7_T9_mT8_P12ihipStream_tbDpT10_ENKUlT_T0_E_clISt17integral_constantIbLb0EES1A_IbLb1EEEEDaS16_S17_EUlS16_E_NS1_11comp_targetILNS1_3genE5ELNS1_11target_archE942ELNS1_3gpuE9ELNS1_3repE0EEENS1_30default_config_static_selectorELNS0_4arch9wavefront6targetE0EEEvT1_
	.globl	_ZN7rocprim17ROCPRIM_400000_NS6detail17trampoline_kernelINS0_14default_configENS1_25partition_config_selectorILNS1_17partition_subalgoE5EjNS0_10empty_typeEbEEZZNS1_14partition_implILS5_5ELb0ES3_mN6thrust23THRUST_200600_302600_NS6detail15normal_iteratorINSA_10device_ptrIjEEEEPS6_NSA_18transform_iteratorINSB_9not_fun_tI7is_trueIjEEESF_NSA_11use_defaultESM_EENS0_5tupleIJSF_S6_EEENSO_IJSG_SG_EEES6_PlJS6_EEE10hipError_tPvRmT3_T4_T5_T6_T7_T9_mT8_P12ihipStream_tbDpT10_ENKUlT_T0_E_clISt17integral_constantIbLb0EES1A_IbLb1EEEEDaS16_S17_EUlS16_E_NS1_11comp_targetILNS1_3genE5ELNS1_11target_archE942ELNS1_3gpuE9ELNS1_3repE0EEENS1_30default_config_static_selectorELNS0_4arch9wavefront6targetE0EEEvT1_
	.p2align	8
	.type	_ZN7rocprim17ROCPRIM_400000_NS6detail17trampoline_kernelINS0_14default_configENS1_25partition_config_selectorILNS1_17partition_subalgoE5EjNS0_10empty_typeEbEEZZNS1_14partition_implILS5_5ELb0ES3_mN6thrust23THRUST_200600_302600_NS6detail15normal_iteratorINSA_10device_ptrIjEEEEPS6_NSA_18transform_iteratorINSB_9not_fun_tI7is_trueIjEEESF_NSA_11use_defaultESM_EENS0_5tupleIJSF_S6_EEENSO_IJSG_SG_EEES6_PlJS6_EEE10hipError_tPvRmT3_T4_T5_T6_T7_T9_mT8_P12ihipStream_tbDpT10_ENKUlT_T0_E_clISt17integral_constantIbLb0EES1A_IbLb1EEEEDaS16_S17_EUlS16_E_NS1_11comp_targetILNS1_3genE5ELNS1_11target_archE942ELNS1_3gpuE9ELNS1_3repE0EEENS1_30default_config_static_selectorELNS0_4arch9wavefront6targetE0EEEvT1_,@function
_ZN7rocprim17ROCPRIM_400000_NS6detail17trampoline_kernelINS0_14default_configENS1_25partition_config_selectorILNS1_17partition_subalgoE5EjNS0_10empty_typeEbEEZZNS1_14partition_implILS5_5ELb0ES3_mN6thrust23THRUST_200600_302600_NS6detail15normal_iteratorINSA_10device_ptrIjEEEEPS6_NSA_18transform_iteratorINSB_9not_fun_tI7is_trueIjEEESF_NSA_11use_defaultESM_EENS0_5tupleIJSF_S6_EEENSO_IJSG_SG_EEES6_PlJS6_EEE10hipError_tPvRmT3_T4_T5_T6_T7_T9_mT8_P12ihipStream_tbDpT10_ENKUlT_T0_E_clISt17integral_constantIbLb0EES1A_IbLb1EEEEDaS16_S17_EUlS16_E_NS1_11comp_targetILNS1_3genE5ELNS1_11target_archE942ELNS1_3gpuE9ELNS1_3repE0EEENS1_30default_config_static_selectorELNS0_4arch9wavefront6targetE0EEEvT1_: ; @_ZN7rocprim17ROCPRIM_400000_NS6detail17trampoline_kernelINS0_14default_configENS1_25partition_config_selectorILNS1_17partition_subalgoE5EjNS0_10empty_typeEbEEZZNS1_14partition_implILS5_5ELb0ES3_mN6thrust23THRUST_200600_302600_NS6detail15normal_iteratorINSA_10device_ptrIjEEEEPS6_NSA_18transform_iteratorINSB_9not_fun_tI7is_trueIjEEESF_NSA_11use_defaultESM_EENS0_5tupleIJSF_S6_EEENSO_IJSG_SG_EEES6_PlJS6_EEE10hipError_tPvRmT3_T4_T5_T6_T7_T9_mT8_P12ihipStream_tbDpT10_ENKUlT_T0_E_clISt17integral_constantIbLb0EES1A_IbLb1EEEEDaS16_S17_EUlS16_E_NS1_11comp_targetILNS1_3genE5ELNS1_11target_archE942ELNS1_3gpuE9ELNS1_3repE0EEENS1_30default_config_static_selectorELNS0_4arch9wavefront6targetE0EEEvT1_
; %bb.0:
	.section	.rodata,"a",@progbits
	.p2align	6, 0x0
	.amdhsa_kernel _ZN7rocprim17ROCPRIM_400000_NS6detail17trampoline_kernelINS0_14default_configENS1_25partition_config_selectorILNS1_17partition_subalgoE5EjNS0_10empty_typeEbEEZZNS1_14partition_implILS5_5ELb0ES3_mN6thrust23THRUST_200600_302600_NS6detail15normal_iteratorINSA_10device_ptrIjEEEEPS6_NSA_18transform_iteratorINSB_9not_fun_tI7is_trueIjEEESF_NSA_11use_defaultESM_EENS0_5tupleIJSF_S6_EEENSO_IJSG_SG_EEES6_PlJS6_EEE10hipError_tPvRmT3_T4_T5_T6_T7_T9_mT8_P12ihipStream_tbDpT10_ENKUlT_T0_E_clISt17integral_constantIbLb0EES1A_IbLb1EEEEDaS16_S17_EUlS16_E_NS1_11comp_targetILNS1_3genE5ELNS1_11target_archE942ELNS1_3gpuE9ELNS1_3repE0EEENS1_30default_config_static_selectorELNS0_4arch9wavefront6targetE0EEEvT1_
		.amdhsa_group_segment_fixed_size 0
		.amdhsa_private_segment_fixed_size 0
		.amdhsa_kernarg_size 136
		.amdhsa_user_sgpr_count 2
		.amdhsa_user_sgpr_dispatch_ptr 0
		.amdhsa_user_sgpr_queue_ptr 0
		.amdhsa_user_sgpr_kernarg_segment_ptr 1
		.amdhsa_user_sgpr_dispatch_id 0
		.amdhsa_user_sgpr_private_segment_size 0
		.amdhsa_wavefront_size32 1
		.amdhsa_uses_dynamic_stack 0
		.amdhsa_enable_private_segment 0
		.amdhsa_system_sgpr_workgroup_id_x 1
		.amdhsa_system_sgpr_workgroup_id_y 0
		.amdhsa_system_sgpr_workgroup_id_z 0
		.amdhsa_system_sgpr_workgroup_info 0
		.amdhsa_system_vgpr_workitem_id 0
		.amdhsa_next_free_vgpr 1
		.amdhsa_next_free_sgpr 1
		.amdhsa_reserve_vcc 0
		.amdhsa_float_round_mode_32 0
		.amdhsa_float_round_mode_16_64 0
		.amdhsa_float_denorm_mode_32 3
		.amdhsa_float_denorm_mode_16_64 3
		.amdhsa_fp16_overflow 0
		.amdhsa_workgroup_processor_mode 1
		.amdhsa_memory_ordered 1
		.amdhsa_forward_progress 1
		.amdhsa_inst_pref_size 0
		.amdhsa_round_robin_scheduling 0
		.amdhsa_exception_fp_ieee_invalid_op 0
		.amdhsa_exception_fp_denorm_src 0
		.amdhsa_exception_fp_ieee_div_zero 0
		.amdhsa_exception_fp_ieee_overflow 0
		.amdhsa_exception_fp_ieee_underflow 0
		.amdhsa_exception_fp_ieee_inexact 0
		.amdhsa_exception_int_div_zero 0
	.end_amdhsa_kernel
	.section	.text._ZN7rocprim17ROCPRIM_400000_NS6detail17trampoline_kernelINS0_14default_configENS1_25partition_config_selectorILNS1_17partition_subalgoE5EjNS0_10empty_typeEbEEZZNS1_14partition_implILS5_5ELb0ES3_mN6thrust23THRUST_200600_302600_NS6detail15normal_iteratorINSA_10device_ptrIjEEEEPS6_NSA_18transform_iteratorINSB_9not_fun_tI7is_trueIjEEESF_NSA_11use_defaultESM_EENS0_5tupleIJSF_S6_EEENSO_IJSG_SG_EEES6_PlJS6_EEE10hipError_tPvRmT3_T4_T5_T6_T7_T9_mT8_P12ihipStream_tbDpT10_ENKUlT_T0_E_clISt17integral_constantIbLb0EES1A_IbLb1EEEEDaS16_S17_EUlS16_E_NS1_11comp_targetILNS1_3genE5ELNS1_11target_archE942ELNS1_3gpuE9ELNS1_3repE0EEENS1_30default_config_static_selectorELNS0_4arch9wavefront6targetE0EEEvT1_,"axG",@progbits,_ZN7rocprim17ROCPRIM_400000_NS6detail17trampoline_kernelINS0_14default_configENS1_25partition_config_selectorILNS1_17partition_subalgoE5EjNS0_10empty_typeEbEEZZNS1_14partition_implILS5_5ELb0ES3_mN6thrust23THRUST_200600_302600_NS6detail15normal_iteratorINSA_10device_ptrIjEEEEPS6_NSA_18transform_iteratorINSB_9not_fun_tI7is_trueIjEEESF_NSA_11use_defaultESM_EENS0_5tupleIJSF_S6_EEENSO_IJSG_SG_EEES6_PlJS6_EEE10hipError_tPvRmT3_T4_T5_T6_T7_T9_mT8_P12ihipStream_tbDpT10_ENKUlT_T0_E_clISt17integral_constantIbLb0EES1A_IbLb1EEEEDaS16_S17_EUlS16_E_NS1_11comp_targetILNS1_3genE5ELNS1_11target_archE942ELNS1_3gpuE9ELNS1_3repE0EEENS1_30default_config_static_selectorELNS0_4arch9wavefront6targetE0EEEvT1_,comdat
.Lfunc_end1426:
	.size	_ZN7rocprim17ROCPRIM_400000_NS6detail17trampoline_kernelINS0_14default_configENS1_25partition_config_selectorILNS1_17partition_subalgoE5EjNS0_10empty_typeEbEEZZNS1_14partition_implILS5_5ELb0ES3_mN6thrust23THRUST_200600_302600_NS6detail15normal_iteratorINSA_10device_ptrIjEEEEPS6_NSA_18transform_iteratorINSB_9not_fun_tI7is_trueIjEEESF_NSA_11use_defaultESM_EENS0_5tupleIJSF_S6_EEENSO_IJSG_SG_EEES6_PlJS6_EEE10hipError_tPvRmT3_T4_T5_T6_T7_T9_mT8_P12ihipStream_tbDpT10_ENKUlT_T0_E_clISt17integral_constantIbLb0EES1A_IbLb1EEEEDaS16_S17_EUlS16_E_NS1_11comp_targetILNS1_3genE5ELNS1_11target_archE942ELNS1_3gpuE9ELNS1_3repE0EEENS1_30default_config_static_selectorELNS0_4arch9wavefront6targetE0EEEvT1_, .Lfunc_end1426-_ZN7rocprim17ROCPRIM_400000_NS6detail17trampoline_kernelINS0_14default_configENS1_25partition_config_selectorILNS1_17partition_subalgoE5EjNS0_10empty_typeEbEEZZNS1_14partition_implILS5_5ELb0ES3_mN6thrust23THRUST_200600_302600_NS6detail15normal_iteratorINSA_10device_ptrIjEEEEPS6_NSA_18transform_iteratorINSB_9not_fun_tI7is_trueIjEEESF_NSA_11use_defaultESM_EENS0_5tupleIJSF_S6_EEENSO_IJSG_SG_EEES6_PlJS6_EEE10hipError_tPvRmT3_T4_T5_T6_T7_T9_mT8_P12ihipStream_tbDpT10_ENKUlT_T0_E_clISt17integral_constantIbLb0EES1A_IbLb1EEEEDaS16_S17_EUlS16_E_NS1_11comp_targetILNS1_3genE5ELNS1_11target_archE942ELNS1_3gpuE9ELNS1_3repE0EEENS1_30default_config_static_selectorELNS0_4arch9wavefront6targetE0EEEvT1_
                                        ; -- End function
	.set _ZN7rocprim17ROCPRIM_400000_NS6detail17trampoline_kernelINS0_14default_configENS1_25partition_config_selectorILNS1_17partition_subalgoE5EjNS0_10empty_typeEbEEZZNS1_14partition_implILS5_5ELb0ES3_mN6thrust23THRUST_200600_302600_NS6detail15normal_iteratorINSA_10device_ptrIjEEEEPS6_NSA_18transform_iteratorINSB_9not_fun_tI7is_trueIjEEESF_NSA_11use_defaultESM_EENS0_5tupleIJSF_S6_EEENSO_IJSG_SG_EEES6_PlJS6_EEE10hipError_tPvRmT3_T4_T5_T6_T7_T9_mT8_P12ihipStream_tbDpT10_ENKUlT_T0_E_clISt17integral_constantIbLb0EES1A_IbLb1EEEEDaS16_S17_EUlS16_E_NS1_11comp_targetILNS1_3genE5ELNS1_11target_archE942ELNS1_3gpuE9ELNS1_3repE0EEENS1_30default_config_static_selectorELNS0_4arch9wavefront6targetE0EEEvT1_.num_vgpr, 0
	.set _ZN7rocprim17ROCPRIM_400000_NS6detail17trampoline_kernelINS0_14default_configENS1_25partition_config_selectorILNS1_17partition_subalgoE5EjNS0_10empty_typeEbEEZZNS1_14partition_implILS5_5ELb0ES3_mN6thrust23THRUST_200600_302600_NS6detail15normal_iteratorINSA_10device_ptrIjEEEEPS6_NSA_18transform_iteratorINSB_9not_fun_tI7is_trueIjEEESF_NSA_11use_defaultESM_EENS0_5tupleIJSF_S6_EEENSO_IJSG_SG_EEES6_PlJS6_EEE10hipError_tPvRmT3_T4_T5_T6_T7_T9_mT8_P12ihipStream_tbDpT10_ENKUlT_T0_E_clISt17integral_constantIbLb0EES1A_IbLb1EEEEDaS16_S17_EUlS16_E_NS1_11comp_targetILNS1_3genE5ELNS1_11target_archE942ELNS1_3gpuE9ELNS1_3repE0EEENS1_30default_config_static_selectorELNS0_4arch9wavefront6targetE0EEEvT1_.num_agpr, 0
	.set _ZN7rocprim17ROCPRIM_400000_NS6detail17trampoline_kernelINS0_14default_configENS1_25partition_config_selectorILNS1_17partition_subalgoE5EjNS0_10empty_typeEbEEZZNS1_14partition_implILS5_5ELb0ES3_mN6thrust23THRUST_200600_302600_NS6detail15normal_iteratorINSA_10device_ptrIjEEEEPS6_NSA_18transform_iteratorINSB_9not_fun_tI7is_trueIjEEESF_NSA_11use_defaultESM_EENS0_5tupleIJSF_S6_EEENSO_IJSG_SG_EEES6_PlJS6_EEE10hipError_tPvRmT3_T4_T5_T6_T7_T9_mT8_P12ihipStream_tbDpT10_ENKUlT_T0_E_clISt17integral_constantIbLb0EES1A_IbLb1EEEEDaS16_S17_EUlS16_E_NS1_11comp_targetILNS1_3genE5ELNS1_11target_archE942ELNS1_3gpuE9ELNS1_3repE0EEENS1_30default_config_static_selectorELNS0_4arch9wavefront6targetE0EEEvT1_.numbered_sgpr, 0
	.set _ZN7rocprim17ROCPRIM_400000_NS6detail17trampoline_kernelINS0_14default_configENS1_25partition_config_selectorILNS1_17partition_subalgoE5EjNS0_10empty_typeEbEEZZNS1_14partition_implILS5_5ELb0ES3_mN6thrust23THRUST_200600_302600_NS6detail15normal_iteratorINSA_10device_ptrIjEEEEPS6_NSA_18transform_iteratorINSB_9not_fun_tI7is_trueIjEEESF_NSA_11use_defaultESM_EENS0_5tupleIJSF_S6_EEENSO_IJSG_SG_EEES6_PlJS6_EEE10hipError_tPvRmT3_T4_T5_T6_T7_T9_mT8_P12ihipStream_tbDpT10_ENKUlT_T0_E_clISt17integral_constantIbLb0EES1A_IbLb1EEEEDaS16_S17_EUlS16_E_NS1_11comp_targetILNS1_3genE5ELNS1_11target_archE942ELNS1_3gpuE9ELNS1_3repE0EEENS1_30default_config_static_selectorELNS0_4arch9wavefront6targetE0EEEvT1_.num_named_barrier, 0
	.set _ZN7rocprim17ROCPRIM_400000_NS6detail17trampoline_kernelINS0_14default_configENS1_25partition_config_selectorILNS1_17partition_subalgoE5EjNS0_10empty_typeEbEEZZNS1_14partition_implILS5_5ELb0ES3_mN6thrust23THRUST_200600_302600_NS6detail15normal_iteratorINSA_10device_ptrIjEEEEPS6_NSA_18transform_iteratorINSB_9not_fun_tI7is_trueIjEEESF_NSA_11use_defaultESM_EENS0_5tupleIJSF_S6_EEENSO_IJSG_SG_EEES6_PlJS6_EEE10hipError_tPvRmT3_T4_T5_T6_T7_T9_mT8_P12ihipStream_tbDpT10_ENKUlT_T0_E_clISt17integral_constantIbLb0EES1A_IbLb1EEEEDaS16_S17_EUlS16_E_NS1_11comp_targetILNS1_3genE5ELNS1_11target_archE942ELNS1_3gpuE9ELNS1_3repE0EEENS1_30default_config_static_selectorELNS0_4arch9wavefront6targetE0EEEvT1_.private_seg_size, 0
	.set _ZN7rocprim17ROCPRIM_400000_NS6detail17trampoline_kernelINS0_14default_configENS1_25partition_config_selectorILNS1_17partition_subalgoE5EjNS0_10empty_typeEbEEZZNS1_14partition_implILS5_5ELb0ES3_mN6thrust23THRUST_200600_302600_NS6detail15normal_iteratorINSA_10device_ptrIjEEEEPS6_NSA_18transform_iteratorINSB_9not_fun_tI7is_trueIjEEESF_NSA_11use_defaultESM_EENS0_5tupleIJSF_S6_EEENSO_IJSG_SG_EEES6_PlJS6_EEE10hipError_tPvRmT3_T4_T5_T6_T7_T9_mT8_P12ihipStream_tbDpT10_ENKUlT_T0_E_clISt17integral_constantIbLb0EES1A_IbLb1EEEEDaS16_S17_EUlS16_E_NS1_11comp_targetILNS1_3genE5ELNS1_11target_archE942ELNS1_3gpuE9ELNS1_3repE0EEENS1_30default_config_static_selectorELNS0_4arch9wavefront6targetE0EEEvT1_.uses_vcc, 0
	.set _ZN7rocprim17ROCPRIM_400000_NS6detail17trampoline_kernelINS0_14default_configENS1_25partition_config_selectorILNS1_17partition_subalgoE5EjNS0_10empty_typeEbEEZZNS1_14partition_implILS5_5ELb0ES3_mN6thrust23THRUST_200600_302600_NS6detail15normal_iteratorINSA_10device_ptrIjEEEEPS6_NSA_18transform_iteratorINSB_9not_fun_tI7is_trueIjEEESF_NSA_11use_defaultESM_EENS0_5tupleIJSF_S6_EEENSO_IJSG_SG_EEES6_PlJS6_EEE10hipError_tPvRmT3_T4_T5_T6_T7_T9_mT8_P12ihipStream_tbDpT10_ENKUlT_T0_E_clISt17integral_constantIbLb0EES1A_IbLb1EEEEDaS16_S17_EUlS16_E_NS1_11comp_targetILNS1_3genE5ELNS1_11target_archE942ELNS1_3gpuE9ELNS1_3repE0EEENS1_30default_config_static_selectorELNS0_4arch9wavefront6targetE0EEEvT1_.uses_flat_scratch, 0
	.set _ZN7rocprim17ROCPRIM_400000_NS6detail17trampoline_kernelINS0_14default_configENS1_25partition_config_selectorILNS1_17partition_subalgoE5EjNS0_10empty_typeEbEEZZNS1_14partition_implILS5_5ELb0ES3_mN6thrust23THRUST_200600_302600_NS6detail15normal_iteratorINSA_10device_ptrIjEEEEPS6_NSA_18transform_iteratorINSB_9not_fun_tI7is_trueIjEEESF_NSA_11use_defaultESM_EENS0_5tupleIJSF_S6_EEENSO_IJSG_SG_EEES6_PlJS6_EEE10hipError_tPvRmT3_T4_T5_T6_T7_T9_mT8_P12ihipStream_tbDpT10_ENKUlT_T0_E_clISt17integral_constantIbLb0EES1A_IbLb1EEEEDaS16_S17_EUlS16_E_NS1_11comp_targetILNS1_3genE5ELNS1_11target_archE942ELNS1_3gpuE9ELNS1_3repE0EEENS1_30default_config_static_selectorELNS0_4arch9wavefront6targetE0EEEvT1_.has_dyn_sized_stack, 0
	.set _ZN7rocprim17ROCPRIM_400000_NS6detail17trampoline_kernelINS0_14default_configENS1_25partition_config_selectorILNS1_17partition_subalgoE5EjNS0_10empty_typeEbEEZZNS1_14partition_implILS5_5ELb0ES3_mN6thrust23THRUST_200600_302600_NS6detail15normal_iteratorINSA_10device_ptrIjEEEEPS6_NSA_18transform_iteratorINSB_9not_fun_tI7is_trueIjEEESF_NSA_11use_defaultESM_EENS0_5tupleIJSF_S6_EEENSO_IJSG_SG_EEES6_PlJS6_EEE10hipError_tPvRmT3_T4_T5_T6_T7_T9_mT8_P12ihipStream_tbDpT10_ENKUlT_T0_E_clISt17integral_constantIbLb0EES1A_IbLb1EEEEDaS16_S17_EUlS16_E_NS1_11comp_targetILNS1_3genE5ELNS1_11target_archE942ELNS1_3gpuE9ELNS1_3repE0EEENS1_30default_config_static_selectorELNS0_4arch9wavefront6targetE0EEEvT1_.has_recursion, 0
	.set _ZN7rocprim17ROCPRIM_400000_NS6detail17trampoline_kernelINS0_14default_configENS1_25partition_config_selectorILNS1_17partition_subalgoE5EjNS0_10empty_typeEbEEZZNS1_14partition_implILS5_5ELb0ES3_mN6thrust23THRUST_200600_302600_NS6detail15normal_iteratorINSA_10device_ptrIjEEEEPS6_NSA_18transform_iteratorINSB_9not_fun_tI7is_trueIjEEESF_NSA_11use_defaultESM_EENS0_5tupleIJSF_S6_EEENSO_IJSG_SG_EEES6_PlJS6_EEE10hipError_tPvRmT3_T4_T5_T6_T7_T9_mT8_P12ihipStream_tbDpT10_ENKUlT_T0_E_clISt17integral_constantIbLb0EES1A_IbLb1EEEEDaS16_S17_EUlS16_E_NS1_11comp_targetILNS1_3genE5ELNS1_11target_archE942ELNS1_3gpuE9ELNS1_3repE0EEENS1_30default_config_static_selectorELNS0_4arch9wavefront6targetE0EEEvT1_.has_indirect_call, 0
	.section	.AMDGPU.csdata,"",@progbits
; Kernel info:
; codeLenInByte = 0
; TotalNumSgprs: 0
; NumVgprs: 0
; ScratchSize: 0
; MemoryBound: 0
; FloatMode: 240
; IeeeMode: 1
; LDSByteSize: 0 bytes/workgroup (compile time only)
; SGPRBlocks: 0
; VGPRBlocks: 0
; NumSGPRsForWavesPerEU: 1
; NumVGPRsForWavesPerEU: 1
; Occupancy: 16
; WaveLimiterHint : 0
; COMPUTE_PGM_RSRC2:SCRATCH_EN: 0
; COMPUTE_PGM_RSRC2:USER_SGPR: 2
; COMPUTE_PGM_RSRC2:TRAP_HANDLER: 0
; COMPUTE_PGM_RSRC2:TGID_X_EN: 1
; COMPUTE_PGM_RSRC2:TGID_Y_EN: 0
; COMPUTE_PGM_RSRC2:TGID_Z_EN: 0
; COMPUTE_PGM_RSRC2:TIDIG_COMP_CNT: 0
	.section	.text._ZN7rocprim17ROCPRIM_400000_NS6detail17trampoline_kernelINS0_14default_configENS1_25partition_config_selectorILNS1_17partition_subalgoE5EjNS0_10empty_typeEbEEZZNS1_14partition_implILS5_5ELb0ES3_mN6thrust23THRUST_200600_302600_NS6detail15normal_iteratorINSA_10device_ptrIjEEEEPS6_NSA_18transform_iteratorINSB_9not_fun_tI7is_trueIjEEESF_NSA_11use_defaultESM_EENS0_5tupleIJSF_S6_EEENSO_IJSG_SG_EEES6_PlJS6_EEE10hipError_tPvRmT3_T4_T5_T6_T7_T9_mT8_P12ihipStream_tbDpT10_ENKUlT_T0_E_clISt17integral_constantIbLb0EES1A_IbLb1EEEEDaS16_S17_EUlS16_E_NS1_11comp_targetILNS1_3genE4ELNS1_11target_archE910ELNS1_3gpuE8ELNS1_3repE0EEENS1_30default_config_static_selectorELNS0_4arch9wavefront6targetE0EEEvT1_,"axG",@progbits,_ZN7rocprim17ROCPRIM_400000_NS6detail17trampoline_kernelINS0_14default_configENS1_25partition_config_selectorILNS1_17partition_subalgoE5EjNS0_10empty_typeEbEEZZNS1_14partition_implILS5_5ELb0ES3_mN6thrust23THRUST_200600_302600_NS6detail15normal_iteratorINSA_10device_ptrIjEEEEPS6_NSA_18transform_iteratorINSB_9not_fun_tI7is_trueIjEEESF_NSA_11use_defaultESM_EENS0_5tupleIJSF_S6_EEENSO_IJSG_SG_EEES6_PlJS6_EEE10hipError_tPvRmT3_T4_T5_T6_T7_T9_mT8_P12ihipStream_tbDpT10_ENKUlT_T0_E_clISt17integral_constantIbLb0EES1A_IbLb1EEEEDaS16_S17_EUlS16_E_NS1_11comp_targetILNS1_3genE4ELNS1_11target_archE910ELNS1_3gpuE8ELNS1_3repE0EEENS1_30default_config_static_selectorELNS0_4arch9wavefront6targetE0EEEvT1_,comdat
	.protected	_ZN7rocprim17ROCPRIM_400000_NS6detail17trampoline_kernelINS0_14default_configENS1_25partition_config_selectorILNS1_17partition_subalgoE5EjNS0_10empty_typeEbEEZZNS1_14partition_implILS5_5ELb0ES3_mN6thrust23THRUST_200600_302600_NS6detail15normal_iteratorINSA_10device_ptrIjEEEEPS6_NSA_18transform_iteratorINSB_9not_fun_tI7is_trueIjEEESF_NSA_11use_defaultESM_EENS0_5tupleIJSF_S6_EEENSO_IJSG_SG_EEES6_PlJS6_EEE10hipError_tPvRmT3_T4_T5_T6_T7_T9_mT8_P12ihipStream_tbDpT10_ENKUlT_T0_E_clISt17integral_constantIbLb0EES1A_IbLb1EEEEDaS16_S17_EUlS16_E_NS1_11comp_targetILNS1_3genE4ELNS1_11target_archE910ELNS1_3gpuE8ELNS1_3repE0EEENS1_30default_config_static_selectorELNS0_4arch9wavefront6targetE0EEEvT1_ ; -- Begin function _ZN7rocprim17ROCPRIM_400000_NS6detail17trampoline_kernelINS0_14default_configENS1_25partition_config_selectorILNS1_17partition_subalgoE5EjNS0_10empty_typeEbEEZZNS1_14partition_implILS5_5ELb0ES3_mN6thrust23THRUST_200600_302600_NS6detail15normal_iteratorINSA_10device_ptrIjEEEEPS6_NSA_18transform_iteratorINSB_9not_fun_tI7is_trueIjEEESF_NSA_11use_defaultESM_EENS0_5tupleIJSF_S6_EEENSO_IJSG_SG_EEES6_PlJS6_EEE10hipError_tPvRmT3_T4_T5_T6_T7_T9_mT8_P12ihipStream_tbDpT10_ENKUlT_T0_E_clISt17integral_constantIbLb0EES1A_IbLb1EEEEDaS16_S17_EUlS16_E_NS1_11comp_targetILNS1_3genE4ELNS1_11target_archE910ELNS1_3gpuE8ELNS1_3repE0EEENS1_30default_config_static_selectorELNS0_4arch9wavefront6targetE0EEEvT1_
	.globl	_ZN7rocprim17ROCPRIM_400000_NS6detail17trampoline_kernelINS0_14default_configENS1_25partition_config_selectorILNS1_17partition_subalgoE5EjNS0_10empty_typeEbEEZZNS1_14partition_implILS5_5ELb0ES3_mN6thrust23THRUST_200600_302600_NS6detail15normal_iteratorINSA_10device_ptrIjEEEEPS6_NSA_18transform_iteratorINSB_9not_fun_tI7is_trueIjEEESF_NSA_11use_defaultESM_EENS0_5tupleIJSF_S6_EEENSO_IJSG_SG_EEES6_PlJS6_EEE10hipError_tPvRmT3_T4_T5_T6_T7_T9_mT8_P12ihipStream_tbDpT10_ENKUlT_T0_E_clISt17integral_constantIbLb0EES1A_IbLb1EEEEDaS16_S17_EUlS16_E_NS1_11comp_targetILNS1_3genE4ELNS1_11target_archE910ELNS1_3gpuE8ELNS1_3repE0EEENS1_30default_config_static_selectorELNS0_4arch9wavefront6targetE0EEEvT1_
	.p2align	8
	.type	_ZN7rocprim17ROCPRIM_400000_NS6detail17trampoline_kernelINS0_14default_configENS1_25partition_config_selectorILNS1_17partition_subalgoE5EjNS0_10empty_typeEbEEZZNS1_14partition_implILS5_5ELb0ES3_mN6thrust23THRUST_200600_302600_NS6detail15normal_iteratorINSA_10device_ptrIjEEEEPS6_NSA_18transform_iteratorINSB_9not_fun_tI7is_trueIjEEESF_NSA_11use_defaultESM_EENS0_5tupleIJSF_S6_EEENSO_IJSG_SG_EEES6_PlJS6_EEE10hipError_tPvRmT3_T4_T5_T6_T7_T9_mT8_P12ihipStream_tbDpT10_ENKUlT_T0_E_clISt17integral_constantIbLb0EES1A_IbLb1EEEEDaS16_S17_EUlS16_E_NS1_11comp_targetILNS1_3genE4ELNS1_11target_archE910ELNS1_3gpuE8ELNS1_3repE0EEENS1_30default_config_static_selectorELNS0_4arch9wavefront6targetE0EEEvT1_,@function
_ZN7rocprim17ROCPRIM_400000_NS6detail17trampoline_kernelINS0_14default_configENS1_25partition_config_selectorILNS1_17partition_subalgoE5EjNS0_10empty_typeEbEEZZNS1_14partition_implILS5_5ELb0ES3_mN6thrust23THRUST_200600_302600_NS6detail15normal_iteratorINSA_10device_ptrIjEEEEPS6_NSA_18transform_iteratorINSB_9not_fun_tI7is_trueIjEEESF_NSA_11use_defaultESM_EENS0_5tupleIJSF_S6_EEENSO_IJSG_SG_EEES6_PlJS6_EEE10hipError_tPvRmT3_T4_T5_T6_T7_T9_mT8_P12ihipStream_tbDpT10_ENKUlT_T0_E_clISt17integral_constantIbLb0EES1A_IbLb1EEEEDaS16_S17_EUlS16_E_NS1_11comp_targetILNS1_3genE4ELNS1_11target_archE910ELNS1_3gpuE8ELNS1_3repE0EEENS1_30default_config_static_selectorELNS0_4arch9wavefront6targetE0EEEvT1_: ; @_ZN7rocprim17ROCPRIM_400000_NS6detail17trampoline_kernelINS0_14default_configENS1_25partition_config_selectorILNS1_17partition_subalgoE5EjNS0_10empty_typeEbEEZZNS1_14partition_implILS5_5ELb0ES3_mN6thrust23THRUST_200600_302600_NS6detail15normal_iteratorINSA_10device_ptrIjEEEEPS6_NSA_18transform_iteratorINSB_9not_fun_tI7is_trueIjEEESF_NSA_11use_defaultESM_EENS0_5tupleIJSF_S6_EEENSO_IJSG_SG_EEES6_PlJS6_EEE10hipError_tPvRmT3_T4_T5_T6_T7_T9_mT8_P12ihipStream_tbDpT10_ENKUlT_T0_E_clISt17integral_constantIbLb0EES1A_IbLb1EEEEDaS16_S17_EUlS16_E_NS1_11comp_targetILNS1_3genE4ELNS1_11target_archE910ELNS1_3gpuE8ELNS1_3repE0EEENS1_30default_config_static_selectorELNS0_4arch9wavefront6targetE0EEEvT1_
; %bb.0:
	.section	.rodata,"a",@progbits
	.p2align	6, 0x0
	.amdhsa_kernel _ZN7rocprim17ROCPRIM_400000_NS6detail17trampoline_kernelINS0_14default_configENS1_25partition_config_selectorILNS1_17partition_subalgoE5EjNS0_10empty_typeEbEEZZNS1_14partition_implILS5_5ELb0ES3_mN6thrust23THRUST_200600_302600_NS6detail15normal_iteratorINSA_10device_ptrIjEEEEPS6_NSA_18transform_iteratorINSB_9not_fun_tI7is_trueIjEEESF_NSA_11use_defaultESM_EENS0_5tupleIJSF_S6_EEENSO_IJSG_SG_EEES6_PlJS6_EEE10hipError_tPvRmT3_T4_T5_T6_T7_T9_mT8_P12ihipStream_tbDpT10_ENKUlT_T0_E_clISt17integral_constantIbLb0EES1A_IbLb1EEEEDaS16_S17_EUlS16_E_NS1_11comp_targetILNS1_3genE4ELNS1_11target_archE910ELNS1_3gpuE8ELNS1_3repE0EEENS1_30default_config_static_selectorELNS0_4arch9wavefront6targetE0EEEvT1_
		.amdhsa_group_segment_fixed_size 0
		.amdhsa_private_segment_fixed_size 0
		.amdhsa_kernarg_size 136
		.amdhsa_user_sgpr_count 2
		.amdhsa_user_sgpr_dispatch_ptr 0
		.amdhsa_user_sgpr_queue_ptr 0
		.amdhsa_user_sgpr_kernarg_segment_ptr 1
		.amdhsa_user_sgpr_dispatch_id 0
		.amdhsa_user_sgpr_private_segment_size 0
		.amdhsa_wavefront_size32 1
		.amdhsa_uses_dynamic_stack 0
		.amdhsa_enable_private_segment 0
		.amdhsa_system_sgpr_workgroup_id_x 1
		.amdhsa_system_sgpr_workgroup_id_y 0
		.amdhsa_system_sgpr_workgroup_id_z 0
		.amdhsa_system_sgpr_workgroup_info 0
		.amdhsa_system_vgpr_workitem_id 0
		.amdhsa_next_free_vgpr 1
		.amdhsa_next_free_sgpr 1
		.amdhsa_reserve_vcc 0
		.amdhsa_float_round_mode_32 0
		.amdhsa_float_round_mode_16_64 0
		.amdhsa_float_denorm_mode_32 3
		.amdhsa_float_denorm_mode_16_64 3
		.amdhsa_fp16_overflow 0
		.amdhsa_workgroup_processor_mode 1
		.amdhsa_memory_ordered 1
		.amdhsa_forward_progress 1
		.amdhsa_inst_pref_size 0
		.amdhsa_round_robin_scheduling 0
		.amdhsa_exception_fp_ieee_invalid_op 0
		.amdhsa_exception_fp_denorm_src 0
		.amdhsa_exception_fp_ieee_div_zero 0
		.amdhsa_exception_fp_ieee_overflow 0
		.amdhsa_exception_fp_ieee_underflow 0
		.amdhsa_exception_fp_ieee_inexact 0
		.amdhsa_exception_int_div_zero 0
	.end_amdhsa_kernel
	.section	.text._ZN7rocprim17ROCPRIM_400000_NS6detail17trampoline_kernelINS0_14default_configENS1_25partition_config_selectorILNS1_17partition_subalgoE5EjNS0_10empty_typeEbEEZZNS1_14partition_implILS5_5ELb0ES3_mN6thrust23THRUST_200600_302600_NS6detail15normal_iteratorINSA_10device_ptrIjEEEEPS6_NSA_18transform_iteratorINSB_9not_fun_tI7is_trueIjEEESF_NSA_11use_defaultESM_EENS0_5tupleIJSF_S6_EEENSO_IJSG_SG_EEES6_PlJS6_EEE10hipError_tPvRmT3_T4_T5_T6_T7_T9_mT8_P12ihipStream_tbDpT10_ENKUlT_T0_E_clISt17integral_constantIbLb0EES1A_IbLb1EEEEDaS16_S17_EUlS16_E_NS1_11comp_targetILNS1_3genE4ELNS1_11target_archE910ELNS1_3gpuE8ELNS1_3repE0EEENS1_30default_config_static_selectorELNS0_4arch9wavefront6targetE0EEEvT1_,"axG",@progbits,_ZN7rocprim17ROCPRIM_400000_NS6detail17trampoline_kernelINS0_14default_configENS1_25partition_config_selectorILNS1_17partition_subalgoE5EjNS0_10empty_typeEbEEZZNS1_14partition_implILS5_5ELb0ES3_mN6thrust23THRUST_200600_302600_NS6detail15normal_iteratorINSA_10device_ptrIjEEEEPS6_NSA_18transform_iteratorINSB_9not_fun_tI7is_trueIjEEESF_NSA_11use_defaultESM_EENS0_5tupleIJSF_S6_EEENSO_IJSG_SG_EEES6_PlJS6_EEE10hipError_tPvRmT3_T4_T5_T6_T7_T9_mT8_P12ihipStream_tbDpT10_ENKUlT_T0_E_clISt17integral_constantIbLb0EES1A_IbLb1EEEEDaS16_S17_EUlS16_E_NS1_11comp_targetILNS1_3genE4ELNS1_11target_archE910ELNS1_3gpuE8ELNS1_3repE0EEENS1_30default_config_static_selectorELNS0_4arch9wavefront6targetE0EEEvT1_,comdat
.Lfunc_end1427:
	.size	_ZN7rocprim17ROCPRIM_400000_NS6detail17trampoline_kernelINS0_14default_configENS1_25partition_config_selectorILNS1_17partition_subalgoE5EjNS0_10empty_typeEbEEZZNS1_14partition_implILS5_5ELb0ES3_mN6thrust23THRUST_200600_302600_NS6detail15normal_iteratorINSA_10device_ptrIjEEEEPS6_NSA_18transform_iteratorINSB_9not_fun_tI7is_trueIjEEESF_NSA_11use_defaultESM_EENS0_5tupleIJSF_S6_EEENSO_IJSG_SG_EEES6_PlJS6_EEE10hipError_tPvRmT3_T4_T5_T6_T7_T9_mT8_P12ihipStream_tbDpT10_ENKUlT_T0_E_clISt17integral_constantIbLb0EES1A_IbLb1EEEEDaS16_S17_EUlS16_E_NS1_11comp_targetILNS1_3genE4ELNS1_11target_archE910ELNS1_3gpuE8ELNS1_3repE0EEENS1_30default_config_static_selectorELNS0_4arch9wavefront6targetE0EEEvT1_, .Lfunc_end1427-_ZN7rocprim17ROCPRIM_400000_NS6detail17trampoline_kernelINS0_14default_configENS1_25partition_config_selectorILNS1_17partition_subalgoE5EjNS0_10empty_typeEbEEZZNS1_14partition_implILS5_5ELb0ES3_mN6thrust23THRUST_200600_302600_NS6detail15normal_iteratorINSA_10device_ptrIjEEEEPS6_NSA_18transform_iteratorINSB_9not_fun_tI7is_trueIjEEESF_NSA_11use_defaultESM_EENS0_5tupleIJSF_S6_EEENSO_IJSG_SG_EEES6_PlJS6_EEE10hipError_tPvRmT3_T4_T5_T6_T7_T9_mT8_P12ihipStream_tbDpT10_ENKUlT_T0_E_clISt17integral_constantIbLb0EES1A_IbLb1EEEEDaS16_S17_EUlS16_E_NS1_11comp_targetILNS1_3genE4ELNS1_11target_archE910ELNS1_3gpuE8ELNS1_3repE0EEENS1_30default_config_static_selectorELNS0_4arch9wavefront6targetE0EEEvT1_
                                        ; -- End function
	.set _ZN7rocprim17ROCPRIM_400000_NS6detail17trampoline_kernelINS0_14default_configENS1_25partition_config_selectorILNS1_17partition_subalgoE5EjNS0_10empty_typeEbEEZZNS1_14partition_implILS5_5ELb0ES3_mN6thrust23THRUST_200600_302600_NS6detail15normal_iteratorINSA_10device_ptrIjEEEEPS6_NSA_18transform_iteratorINSB_9not_fun_tI7is_trueIjEEESF_NSA_11use_defaultESM_EENS0_5tupleIJSF_S6_EEENSO_IJSG_SG_EEES6_PlJS6_EEE10hipError_tPvRmT3_T4_T5_T6_T7_T9_mT8_P12ihipStream_tbDpT10_ENKUlT_T0_E_clISt17integral_constantIbLb0EES1A_IbLb1EEEEDaS16_S17_EUlS16_E_NS1_11comp_targetILNS1_3genE4ELNS1_11target_archE910ELNS1_3gpuE8ELNS1_3repE0EEENS1_30default_config_static_selectorELNS0_4arch9wavefront6targetE0EEEvT1_.num_vgpr, 0
	.set _ZN7rocprim17ROCPRIM_400000_NS6detail17trampoline_kernelINS0_14default_configENS1_25partition_config_selectorILNS1_17partition_subalgoE5EjNS0_10empty_typeEbEEZZNS1_14partition_implILS5_5ELb0ES3_mN6thrust23THRUST_200600_302600_NS6detail15normal_iteratorINSA_10device_ptrIjEEEEPS6_NSA_18transform_iteratorINSB_9not_fun_tI7is_trueIjEEESF_NSA_11use_defaultESM_EENS0_5tupleIJSF_S6_EEENSO_IJSG_SG_EEES6_PlJS6_EEE10hipError_tPvRmT3_T4_T5_T6_T7_T9_mT8_P12ihipStream_tbDpT10_ENKUlT_T0_E_clISt17integral_constantIbLb0EES1A_IbLb1EEEEDaS16_S17_EUlS16_E_NS1_11comp_targetILNS1_3genE4ELNS1_11target_archE910ELNS1_3gpuE8ELNS1_3repE0EEENS1_30default_config_static_selectorELNS0_4arch9wavefront6targetE0EEEvT1_.num_agpr, 0
	.set _ZN7rocprim17ROCPRIM_400000_NS6detail17trampoline_kernelINS0_14default_configENS1_25partition_config_selectorILNS1_17partition_subalgoE5EjNS0_10empty_typeEbEEZZNS1_14partition_implILS5_5ELb0ES3_mN6thrust23THRUST_200600_302600_NS6detail15normal_iteratorINSA_10device_ptrIjEEEEPS6_NSA_18transform_iteratorINSB_9not_fun_tI7is_trueIjEEESF_NSA_11use_defaultESM_EENS0_5tupleIJSF_S6_EEENSO_IJSG_SG_EEES6_PlJS6_EEE10hipError_tPvRmT3_T4_T5_T6_T7_T9_mT8_P12ihipStream_tbDpT10_ENKUlT_T0_E_clISt17integral_constantIbLb0EES1A_IbLb1EEEEDaS16_S17_EUlS16_E_NS1_11comp_targetILNS1_3genE4ELNS1_11target_archE910ELNS1_3gpuE8ELNS1_3repE0EEENS1_30default_config_static_selectorELNS0_4arch9wavefront6targetE0EEEvT1_.numbered_sgpr, 0
	.set _ZN7rocprim17ROCPRIM_400000_NS6detail17trampoline_kernelINS0_14default_configENS1_25partition_config_selectorILNS1_17partition_subalgoE5EjNS0_10empty_typeEbEEZZNS1_14partition_implILS5_5ELb0ES3_mN6thrust23THRUST_200600_302600_NS6detail15normal_iteratorINSA_10device_ptrIjEEEEPS6_NSA_18transform_iteratorINSB_9not_fun_tI7is_trueIjEEESF_NSA_11use_defaultESM_EENS0_5tupleIJSF_S6_EEENSO_IJSG_SG_EEES6_PlJS6_EEE10hipError_tPvRmT3_T4_T5_T6_T7_T9_mT8_P12ihipStream_tbDpT10_ENKUlT_T0_E_clISt17integral_constantIbLb0EES1A_IbLb1EEEEDaS16_S17_EUlS16_E_NS1_11comp_targetILNS1_3genE4ELNS1_11target_archE910ELNS1_3gpuE8ELNS1_3repE0EEENS1_30default_config_static_selectorELNS0_4arch9wavefront6targetE0EEEvT1_.num_named_barrier, 0
	.set _ZN7rocprim17ROCPRIM_400000_NS6detail17trampoline_kernelINS0_14default_configENS1_25partition_config_selectorILNS1_17partition_subalgoE5EjNS0_10empty_typeEbEEZZNS1_14partition_implILS5_5ELb0ES3_mN6thrust23THRUST_200600_302600_NS6detail15normal_iteratorINSA_10device_ptrIjEEEEPS6_NSA_18transform_iteratorINSB_9not_fun_tI7is_trueIjEEESF_NSA_11use_defaultESM_EENS0_5tupleIJSF_S6_EEENSO_IJSG_SG_EEES6_PlJS6_EEE10hipError_tPvRmT3_T4_T5_T6_T7_T9_mT8_P12ihipStream_tbDpT10_ENKUlT_T0_E_clISt17integral_constantIbLb0EES1A_IbLb1EEEEDaS16_S17_EUlS16_E_NS1_11comp_targetILNS1_3genE4ELNS1_11target_archE910ELNS1_3gpuE8ELNS1_3repE0EEENS1_30default_config_static_selectorELNS0_4arch9wavefront6targetE0EEEvT1_.private_seg_size, 0
	.set _ZN7rocprim17ROCPRIM_400000_NS6detail17trampoline_kernelINS0_14default_configENS1_25partition_config_selectorILNS1_17partition_subalgoE5EjNS0_10empty_typeEbEEZZNS1_14partition_implILS5_5ELb0ES3_mN6thrust23THRUST_200600_302600_NS6detail15normal_iteratorINSA_10device_ptrIjEEEEPS6_NSA_18transform_iteratorINSB_9not_fun_tI7is_trueIjEEESF_NSA_11use_defaultESM_EENS0_5tupleIJSF_S6_EEENSO_IJSG_SG_EEES6_PlJS6_EEE10hipError_tPvRmT3_T4_T5_T6_T7_T9_mT8_P12ihipStream_tbDpT10_ENKUlT_T0_E_clISt17integral_constantIbLb0EES1A_IbLb1EEEEDaS16_S17_EUlS16_E_NS1_11comp_targetILNS1_3genE4ELNS1_11target_archE910ELNS1_3gpuE8ELNS1_3repE0EEENS1_30default_config_static_selectorELNS0_4arch9wavefront6targetE0EEEvT1_.uses_vcc, 0
	.set _ZN7rocprim17ROCPRIM_400000_NS6detail17trampoline_kernelINS0_14default_configENS1_25partition_config_selectorILNS1_17partition_subalgoE5EjNS0_10empty_typeEbEEZZNS1_14partition_implILS5_5ELb0ES3_mN6thrust23THRUST_200600_302600_NS6detail15normal_iteratorINSA_10device_ptrIjEEEEPS6_NSA_18transform_iteratorINSB_9not_fun_tI7is_trueIjEEESF_NSA_11use_defaultESM_EENS0_5tupleIJSF_S6_EEENSO_IJSG_SG_EEES6_PlJS6_EEE10hipError_tPvRmT3_T4_T5_T6_T7_T9_mT8_P12ihipStream_tbDpT10_ENKUlT_T0_E_clISt17integral_constantIbLb0EES1A_IbLb1EEEEDaS16_S17_EUlS16_E_NS1_11comp_targetILNS1_3genE4ELNS1_11target_archE910ELNS1_3gpuE8ELNS1_3repE0EEENS1_30default_config_static_selectorELNS0_4arch9wavefront6targetE0EEEvT1_.uses_flat_scratch, 0
	.set _ZN7rocprim17ROCPRIM_400000_NS6detail17trampoline_kernelINS0_14default_configENS1_25partition_config_selectorILNS1_17partition_subalgoE5EjNS0_10empty_typeEbEEZZNS1_14partition_implILS5_5ELb0ES3_mN6thrust23THRUST_200600_302600_NS6detail15normal_iteratorINSA_10device_ptrIjEEEEPS6_NSA_18transform_iteratorINSB_9not_fun_tI7is_trueIjEEESF_NSA_11use_defaultESM_EENS0_5tupleIJSF_S6_EEENSO_IJSG_SG_EEES6_PlJS6_EEE10hipError_tPvRmT3_T4_T5_T6_T7_T9_mT8_P12ihipStream_tbDpT10_ENKUlT_T0_E_clISt17integral_constantIbLb0EES1A_IbLb1EEEEDaS16_S17_EUlS16_E_NS1_11comp_targetILNS1_3genE4ELNS1_11target_archE910ELNS1_3gpuE8ELNS1_3repE0EEENS1_30default_config_static_selectorELNS0_4arch9wavefront6targetE0EEEvT1_.has_dyn_sized_stack, 0
	.set _ZN7rocprim17ROCPRIM_400000_NS6detail17trampoline_kernelINS0_14default_configENS1_25partition_config_selectorILNS1_17partition_subalgoE5EjNS0_10empty_typeEbEEZZNS1_14partition_implILS5_5ELb0ES3_mN6thrust23THRUST_200600_302600_NS6detail15normal_iteratorINSA_10device_ptrIjEEEEPS6_NSA_18transform_iteratorINSB_9not_fun_tI7is_trueIjEEESF_NSA_11use_defaultESM_EENS0_5tupleIJSF_S6_EEENSO_IJSG_SG_EEES6_PlJS6_EEE10hipError_tPvRmT3_T4_T5_T6_T7_T9_mT8_P12ihipStream_tbDpT10_ENKUlT_T0_E_clISt17integral_constantIbLb0EES1A_IbLb1EEEEDaS16_S17_EUlS16_E_NS1_11comp_targetILNS1_3genE4ELNS1_11target_archE910ELNS1_3gpuE8ELNS1_3repE0EEENS1_30default_config_static_selectorELNS0_4arch9wavefront6targetE0EEEvT1_.has_recursion, 0
	.set _ZN7rocprim17ROCPRIM_400000_NS6detail17trampoline_kernelINS0_14default_configENS1_25partition_config_selectorILNS1_17partition_subalgoE5EjNS0_10empty_typeEbEEZZNS1_14partition_implILS5_5ELb0ES3_mN6thrust23THRUST_200600_302600_NS6detail15normal_iteratorINSA_10device_ptrIjEEEEPS6_NSA_18transform_iteratorINSB_9not_fun_tI7is_trueIjEEESF_NSA_11use_defaultESM_EENS0_5tupleIJSF_S6_EEENSO_IJSG_SG_EEES6_PlJS6_EEE10hipError_tPvRmT3_T4_T5_T6_T7_T9_mT8_P12ihipStream_tbDpT10_ENKUlT_T0_E_clISt17integral_constantIbLb0EES1A_IbLb1EEEEDaS16_S17_EUlS16_E_NS1_11comp_targetILNS1_3genE4ELNS1_11target_archE910ELNS1_3gpuE8ELNS1_3repE0EEENS1_30default_config_static_selectorELNS0_4arch9wavefront6targetE0EEEvT1_.has_indirect_call, 0
	.section	.AMDGPU.csdata,"",@progbits
; Kernel info:
; codeLenInByte = 0
; TotalNumSgprs: 0
; NumVgprs: 0
; ScratchSize: 0
; MemoryBound: 0
; FloatMode: 240
; IeeeMode: 1
; LDSByteSize: 0 bytes/workgroup (compile time only)
; SGPRBlocks: 0
; VGPRBlocks: 0
; NumSGPRsForWavesPerEU: 1
; NumVGPRsForWavesPerEU: 1
; Occupancy: 16
; WaveLimiterHint : 0
; COMPUTE_PGM_RSRC2:SCRATCH_EN: 0
; COMPUTE_PGM_RSRC2:USER_SGPR: 2
; COMPUTE_PGM_RSRC2:TRAP_HANDLER: 0
; COMPUTE_PGM_RSRC2:TGID_X_EN: 1
; COMPUTE_PGM_RSRC2:TGID_Y_EN: 0
; COMPUTE_PGM_RSRC2:TGID_Z_EN: 0
; COMPUTE_PGM_RSRC2:TIDIG_COMP_CNT: 0
	.section	.text._ZN7rocprim17ROCPRIM_400000_NS6detail17trampoline_kernelINS0_14default_configENS1_25partition_config_selectorILNS1_17partition_subalgoE5EjNS0_10empty_typeEbEEZZNS1_14partition_implILS5_5ELb0ES3_mN6thrust23THRUST_200600_302600_NS6detail15normal_iteratorINSA_10device_ptrIjEEEEPS6_NSA_18transform_iteratorINSB_9not_fun_tI7is_trueIjEEESF_NSA_11use_defaultESM_EENS0_5tupleIJSF_S6_EEENSO_IJSG_SG_EEES6_PlJS6_EEE10hipError_tPvRmT3_T4_T5_T6_T7_T9_mT8_P12ihipStream_tbDpT10_ENKUlT_T0_E_clISt17integral_constantIbLb0EES1A_IbLb1EEEEDaS16_S17_EUlS16_E_NS1_11comp_targetILNS1_3genE3ELNS1_11target_archE908ELNS1_3gpuE7ELNS1_3repE0EEENS1_30default_config_static_selectorELNS0_4arch9wavefront6targetE0EEEvT1_,"axG",@progbits,_ZN7rocprim17ROCPRIM_400000_NS6detail17trampoline_kernelINS0_14default_configENS1_25partition_config_selectorILNS1_17partition_subalgoE5EjNS0_10empty_typeEbEEZZNS1_14partition_implILS5_5ELb0ES3_mN6thrust23THRUST_200600_302600_NS6detail15normal_iteratorINSA_10device_ptrIjEEEEPS6_NSA_18transform_iteratorINSB_9not_fun_tI7is_trueIjEEESF_NSA_11use_defaultESM_EENS0_5tupleIJSF_S6_EEENSO_IJSG_SG_EEES6_PlJS6_EEE10hipError_tPvRmT3_T4_T5_T6_T7_T9_mT8_P12ihipStream_tbDpT10_ENKUlT_T0_E_clISt17integral_constantIbLb0EES1A_IbLb1EEEEDaS16_S17_EUlS16_E_NS1_11comp_targetILNS1_3genE3ELNS1_11target_archE908ELNS1_3gpuE7ELNS1_3repE0EEENS1_30default_config_static_selectorELNS0_4arch9wavefront6targetE0EEEvT1_,comdat
	.protected	_ZN7rocprim17ROCPRIM_400000_NS6detail17trampoline_kernelINS0_14default_configENS1_25partition_config_selectorILNS1_17partition_subalgoE5EjNS0_10empty_typeEbEEZZNS1_14partition_implILS5_5ELb0ES3_mN6thrust23THRUST_200600_302600_NS6detail15normal_iteratorINSA_10device_ptrIjEEEEPS6_NSA_18transform_iteratorINSB_9not_fun_tI7is_trueIjEEESF_NSA_11use_defaultESM_EENS0_5tupleIJSF_S6_EEENSO_IJSG_SG_EEES6_PlJS6_EEE10hipError_tPvRmT3_T4_T5_T6_T7_T9_mT8_P12ihipStream_tbDpT10_ENKUlT_T0_E_clISt17integral_constantIbLb0EES1A_IbLb1EEEEDaS16_S17_EUlS16_E_NS1_11comp_targetILNS1_3genE3ELNS1_11target_archE908ELNS1_3gpuE7ELNS1_3repE0EEENS1_30default_config_static_selectorELNS0_4arch9wavefront6targetE0EEEvT1_ ; -- Begin function _ZN7rocprim17ROCPRIM_400000_NS6detail17trampoline_kernelINS0_14default_configENS1_25partition_config_selectorILNS1_17partition_subalgoE5EjNS0_10empty_typeEbEEZZNS1_14partition_implILS5_5ELb0ES3_mN6thrust23THRUST_200600_302600_NS6detail15normal_iteratorINSA_10device_ptrIjEEEEPS6_NSA_18transform_iteratorINSB_9not_fun_tI7is_trueIjEEESF_NSA_11use_defaultESM_EENS0_5tupleIJSF_S6_EEENSO_IJSG_SG_EEES6_PlJS6_EEE10hipError_tPvRmT3_T4_T5_T6_T7_T9_mT8_P12ihipStream_tbDpT10_ENKUlT_T0_E_clISt17integral_constantIbLb0EES1A_IbLb1EEEEDaS16_S17_EUlS16_E_NS1_11comp_targetILNS1_3genE3ELNS1_11target_archE908ELNS1_3gpuE7ELNS1_3repE0EEENS1_30default_config_static_selectorELNS0_4arch9wavefront6targetE0EEEvT1_
	.globl	_ZN7rocprim17ROCPRIM_400000_NS6detail17trampoline_kernelINS0_14default_configENS1_25partition_config_selectorILNS1_17partition_subalgoE5EjNS0_10empty_typeEbEEZZNS1_14partition_implILS5_5ELb0ES3_mN6thrust23THRUST_200600_302600_NS6detail15normal_iteratorINSA_10device_ptrIjEEEEPS6_NSA_18transform_iteratorINSB_9not_fun_tI7is_trueIjEEESF_NSA_11use_defaultESM_EENS0_5tupleIJSF_S6_EEENSO_IJSG_SG_EEES6_PlJS6_EEE10hipError_tPvRmT3_T4_T5_T6_T7_T9_mT8_P12ihipStream_tbDpT10_ENKUlT_T0_E_clISt17integral_constantIbLb0EES1A_IbLb1EEEEDaS16_S17_EUlS16_E_NS1_11comp_targetILNS1_3genE3ELNS1_11target_archE908ELNS1_3gpuE7ELNS1_3repE0EEENS1_30default_config_static_selectorELNS0_4arch9wavefront6targetE0EEEvT1_
	.p2align	8
	.type	_ZN7rocprim17ROCPRIM_400000_NS6detail17trampoline_kernelINS0_14default_configENS1_25partition_config_selectorILNS1_17partition_subalgoE5EjNS0_10empty_typeEbEEZZNS1_14partition_implILS5_5ELb0ES3_mN6thrust23THRUST_200600_302600_NS6detail15normal_iteratorINSA_10device_ptrIjEEEEPS6_NSA_18transform_iteratorINSB_9not_fun_tI7is_trueIjEEESF_NSA_11use_defaultESM_EENS0_5tupleIJSF_S6_EEENSO_IJSG_SG_EEES6_PlJS6_EEE10hipError_tPvRmT3_T4_T5_T6_T7_T9_mT8_P12ihipStream_tbDpT10_ENKUlT_T0_E_clISt17integral_constantIbLb0EES1A_IbLb1EEEEDaS16_S17_EUlS16_E_NS1_11comp_targetILNS1_3genE3ELNS1_11target_archE908ELNS1_3gpuE7ELNS1_3repE0EEENS1_30default_config_static_selectorELNS0_4arch9wavefront6targetE0EEEvT1_,@function
_ZN7rocprim17ROCPRIM_400000_NS6detail17trampoline_kernelINS0_14default_configENS1_25partition_config_selectorILNS1_17partition_subalgoE5EjNS0_10empty_typeEbEEZZNS1_14partition_implILS5_5ELb0ES3_mN6thrust23THRUST_200600_302600_NS6detail15normal_iteratorINSA_10device_ptrIjEEEEPS6_NSA_18transform_iteratorINSB_9not_fun_tI7is_trueIjEEESF_NSA_11use_defaultESM_EENS0_5tupleIJSF_S6_EEENSO_IJSG_SG_EEES6_PlJS6_EEE10hipError_tPvRmT3_T4_T5_T6_T7_T9_mT8_P12ihipStream_tbDpT10_ENKUlT_T0_E_clISt17integral_constantIbLb0EES1A_IbLb1EEEEDaS16_S17_EUlS16_E_NS1_11comp_targetILNS1_3genE3ELNS1_11target_archE908ELNS1_3gpuE7ELNS1_3repE0EEENS1_30default_config_static_selectorELNS0_4arch9wavefront6targetE0EEEvT1_: ; @_ZN7rocprim17ROCPRIM_400000_NS6detail17trampoline_kernelINS0_14default_configENS1_25partition_config_selectorILNS1_17partition_subalgoE5EjNS0_10empty_typeEbEEZZNS1_14partition_implILS5_5ELb0ES3_mN6thrust23THRUST_200600_302600_NS6detail15normal_iteratorINSA_10device_ptrIjEEEEPS6_NSA_18transform_iteratorINSB_9not_fun_tI7is_trueIjEEESF_NSA_11use_defaultESM_EENS0_5tupleIJSF_S6_EEENSO_IJSG_SG_EEES6_PlJS6_EEE10hipError_tPvRmT3_T4_T5_T6_T7_T9_mT8_P12ihipStream_tbDpT10_ENKUlT_T0_E_clISt17integral_constantIbLb0EES1A_IbLb1EEEEDaS16_S17_EUlS16_E_NS1_11comp_targetILNS1_3genE3ELNS1_11target_archE908ELNS1_3gpuE7ELNS1_3repE0EEENS1_30default_config_static_selectorELNS0_4arch9wavefront6targetE0EEEvT1_
; %bb.0:
	.section	.rodata,"a",@progbits
	.p2align	6, 0x0
	.amdhsa_kernel _ZN7rocprim17ROCPRIM_400000_NS6detail17trampoline_kernelINS0_14default_configENS1_25partition_config_selectorILNS1_17partition_subalgoE5EjNS0_10empty_typeEbEEZZNS1_14partition_implILS5_5ELb0ES3_mN6thrust23THRUST_200600_302600_NS6detail15normal_iteratorINSA_10device_ptrIjEEEEPS6_NSA_18transform_iteratorINSB_9not_fun_tI7is_trueIjEEESF_NSA_11use_defaultESM_EENS0_5tupleIJSF_S6_EEENSO_IJSG_SG_EEES6_PlJS6_EEE10hipError_tPvRmT3_T4_T5_T6_T7_T9_mT8_P12ihipStream_tbDpT10_ENKUlT_T0_E_clISt17integral_constantIbLb0EES1A_IbLb1EEEEDaS16_S17_EUlS16_E_NS1_11comp_targetILNS1_3genE3ELNS1_11target_archE908ELNS1_3gpuE7ELNS1_3repE0EEENS1_30default_config_static_selectorELNS0_4arch9wavefront6targetE0EEEvT1_
		.amdhsa_group_segment_fixed_size 0
		.amdhsa_private_segment_fixed_size 0
		.amdhsa_kernarg_size 136
		.amdhsa_user_sgpr_count 2
		.amdhsa_user_sgpr_dispatch_ptr 0
		.amdhsa_user_sgpr_queue_ptr 0
		.amdhsa_user_sgpr_kernarg_segment_ptr 1
		.amdhsa_user_sgpr_dispatch_id 0
		.amdhsa_user_sgpr_private_segment_size 0
		.amdhsa_wavefront_size32 1
		.amdhsa_uses_dynamic_stack 0
		.amdhsa_enable_private_segment 0
		.amdhsa_system_sgpr_workgroup_id_x 1
		.amdhsa_system_sgpr_workgroup_id_y 0
		.amdhsa_system_sgpr_workgroup_id_z 0
		.amdhsa_system_sgpr_workgroup_info 0
		.amdhsa_system_vgpr_workitem_id 0
		.amdhsa_next_free_vgpr 1
		.amdhsa_next_free_sgpr 1
		.amdhsa_reserve_vcc 0
		.amdhsa_float_round_mode_32 0
		.amdhsa_float_round_mode_16_64 0
		.amdhsa_float_denorm_mode_32 3
		.amdhsa_float_denorm_mode_16_64 3
		.amdhsa_fp16_overflow 0
		.amdhsa_workgroup_processor_mode 1
		.amdhsa_memory_ordered 1
		.amdhsa_forward_progress 1
		.amdhsa_inst_pref_size 0
		.amdhsa_round_robin_scheduling 0
		.amdhsa_exception_fp_ieee_invalid_op 0
		.amdhsa_exception_fp_denorm_src 0
		.amdhsa_exception_fp_ieee_div_zero 0
		.amdhsa_exception_fp_ieee_overflow 0
		.amdhsa_exception_fp_ieee_underflow 0
		.amdhsa_exception_fp_ieee_inexact 0
		.amdhsa_exception_int_div_zero 0
	.end_amdhsa_kernel
	.section	.text._ZN7rocprim17ROCPRIM_400000_NS6detail17trampoline_kernelINS0_14default_configENS1_25partition_config_selectorILNS1_17partition_subalgoE5EjNS0_10empty_typeEbEEZZNS1_14partition_implILS5_5ELb0ES3_mN6thrust23THRUST_200600_302600_NS6detail15normal_iteratorINSA_10device_ptrIjEEEEPS6_NSA_18transform_iteratorINSB_9not_fun_tI7is_trueIjEEESF_NSA_11use_defaultESM_EENS0_5tupleIJSF_S6_EEENSO_IJSG_SG_EEES6_PlJS6_EEE10hipError_tPvRmT3_T4_T5_T6_T7_T9_mT8_P12ihipStream_tbDpT10_ENKUlT_T0_E_clISt17integral_constantIbLb0EES1A_IbLb1EEEEDaS16_S17_EUlS16_E_NS1_11comp_targetILNS1_3genE3ELNS1_11target_archE908ELNS1_3gpuE7ELNS1_3repE0EEENS1_30default_config_static_selectorELNS0_4arch9wavefront6targetE0EEEvT1_,"axG",@progbits,_ZN7rocprim17ROCPRIM_400000_NS6detail17trampoline_kernelINS0_14default_configENS1_25partition_config_selectorILNS1_17partition_subalgoE5EjNS0_10empty_typeEbEEZZNS1_14partition_implILS5_5ELb0ES3_mN6thrust23THRUST_200600_302600_NS6detail15normal_iteratorINSA_10device_ptrIjEEEEPS6_NSA_18transform_iteratorINSB_9not_fun_tI7is_trueIjEEESF_NSA_11use_defaultESM_EENS0_5tupleIJSF_S6_EEENSO_IJSG_SG_EEES6_PlJS6_EEE10hipError_tPvRmT3_T4_T5_T6_T7_T9_mT8_P12ihipStream_tbDpT10_ENKUlT_T0_E_clISt17integral_constantIbLb0EES1A_IbLb1EEEEDaS16_S17_EUlS16_E_NS1_11comp_targetILNS1_3genE3ELNS1_11target_archE908ELNS1_3gpuE7ELNS1_3repE0EEENS1_30default_config_static_selectorELNS0_4arch9wavefront6targetE0EEEvT1_,comdat
.Lfunc_end1428:
	.size	_ZN7rocprim17ROCPRIM_400000_NS6detail17trampoline_kernelINS0_14default_configENS1_25partition_config_selectorILNS1_17partition_subalgoE5EjNS0_10empty_typeEbEEZZNS1_14partition_implILS5_5ELb0ES3_mN6thrust23THRUST_200600_302600_NS6detail15normal_iteratorINSA_10device_ptrIjEEEEPS6_NSA_18transform_iteratorINSB_9not_fun_tI7is_trueIjEEESF_NSA_11use_defaultESM_EENS0_5tupleIJSF_S6_EEENSO_IJSG_SG_EEES6_PlJS6_EEE10hipError_tPvRmT3_T4_T5_T6_T7_T9_mT8_P12ihipStream_tbDpT10_ENKUlT_T0_E_clISt17integral_constantIbLb0EES1A_IbLb1EEEEDaS16_S17_EUlS16_E_NS1_11comp_targetILNS1_3genE3ELNS1_11target_archE908ELNS1_3gpuE7ELNS1_3repE0EEENS1_30default_config_static_selectorELNS0_4arch9wavefront6targetE0EEEvT1_, .Lfunc_end1428-_ZN7rocprim17ROCPRIM_400000_NS6detail17trampoline_kernelINS0_14default_configENS1_25partition_config_selectorILNS1_17partition_subalgoE5EjNS0_10empty_typeEbEEZZNS1_14partition_implILS5_5ELb0ES3_mN6thrust23THRUST_200600_302600_NS6detail15normal_iteratorINSA_10device_ptrIjEEEEPS6_NSA_18transform_iteratorINSB_9not_fun_tI7is_trueIjEEESF_NSA_11use_defaultESM_EENS0_5tupleIJSF_S6_EEENSO_IJSG_SG_EEES6_PlJS6_EEE10hipError_tPvRmT3_T4_T5_T6_T7_T9_mT8_P12ihipStream_tbDpT10_ENKUlT_T0_E_clISt17integral_constantIbLb0EES1A_IbLb1EEEEDaS16_S17_EUlS16_E_NS1_11comp_targetILNS1_3genE3ELNS1_11target_archE908ELNS1_3gpuE7ELNS1_3repE0EEENS1_30default_config_static_selectorELNS0_4arch9wavefront6targetE0EEEvT1_
                                        ; -- End function
	.set _ZN7rocprim17ROCPRIM_400000_NS6detail17trampoline_kernelINS0_14default_configENS1_25partition_config_selectorILNS1_17partition_subalgoE5EjNS0_10empty_typeEbEEZZNS1_14partition_implILS5_5ELb0ES3_mN6thrust23THRUST_200600_302600_NS6detail15normal_iteratorINSA_10device_ptrIjEEEEPS6_NSA_18transform_iteratorINSB_9not_fun_tI7is_trueIjEEESF_NSA_11use_defaultESM_EENS0_5tupleIJSF_S6_EEENSO_IJSG_SG_EEES6_PlJS6_EEE10hipError_tPvRmT3_T4_T5_T6_T7_T9_mT8_P12ihipStream_tbDpT10_ENKUlT_T0_E_clISt17integral_constantIbLb0EES1A_IbLb1EEEEDaS16_S17_EUlS16_E_NS1_11comp_targetILNS1_3genE3ELNS1_11target_archE908ELNS1_3gpuE7ELNS1_3repE0EEENS1_30default_config_static_selectorELNS0_4arch9wavefront6targetE0EEEvT1_.num_vgpr, 0
	.set _ZN7rocprim17ROCPRIM_400000_NS6detail17trampoline_kernelINS0_14default_configENS1_25partition_config_selectorILNS1_17partition_subalgoE5EjNS0_10empty_typeEbEEZZNS1_14partition_implILS5_5ELb0ES3_mN6thrust23THRUST_200600_302600_NS6detail15normal_iteratorINSA_10device_ptrIjEEEEPS6_NSA_18transform_iteratorINSB_9not_fun_tI7is_trueIjEEESF_NSA_11use_defaultESM_EENS0_5tupleIJSF_S6_EEENSO_IJSG_SG_EEES6_PlJS6_EEE10hipError_tPvRmT3_T4_T5_T6_T7_T9_mT8_P12ihipStream_tbDpT10_ENKUlT_T0_E_clISt17integral_constantIbLb0EES1A_IbLb1EEEEDaS16_S17_EUlS16_E_NS1_11comp_targetILNS1_3genE3ELNS1_11target_archE908ELNS1_3gpuE7ELNS1_3repE0EEENS1_30default_config_static_selectorELNS0_4arch9wavefront6targetE0EEEvT1_.num_agpr, 0
	.set _ZN7rocprim17ROCPRIM_400000_NS6detail17trampoline_kernelINS0_14default_configENS1_25partition_config_selectorILNS1_17partition_subalgoE5EjNS0_10empty_typeEbEEZZNS1_14partition_implILS5_5ELb0ES3_mN6thrust23THRUST_200600_302600_NS6detail15normal_iteratorINSA_10device_ptrIjEEEEPS6_NSA_18transform_iteratorINSB_9not_fun_tI7is_trueIjEEESF_NSA_11use_defaultESM_EENS0_5tupleIJSF_S6_EEENSO_IJSG_SG_EEES6_PlJS6_EEE10hipError_tPvRmT3_T4_T5_T6_T7_T9_mT8_P12ihipStream_tbDpT10_ENKUlT_T0_E_clISt17integral_constantIbLb0EES1A_IbLb1EEEEDaS16_S17_EUlS16_E_NS1_11comp_targetILNS1_3genE3ELNS1_11target_archE908ELNS1_3gpuE7ELNS1_3repE0EEENS1_30default_config_static_selectorELNS0_4arch9wavefront6targetE0EEEvT1_.numbered_sgpr, 0
	.set _ZN7rocprim17ROCPRIM_400000_NS6detail17trampoline_kernelINS0_14default_configENS1_25partition_config_selectorILNS1_17partition_subalgoE5EjNS0_10empty_typeEbEEZZNS1_14partition_implILS5_5ELb0ES3_mN6thrust23THRUST_200600_302600_NS6detail15normal_iteratorINSA_10device_ptrIjEEEEPS6_NSA_18transform_iteratorINSB_9not_fun_tI7is_trueIjEEESF_NSA_11use_defaultESM_EENS0_5tupleIJSF_S6_EEENSO_IJSG_SG_EEES6_PlJS6_EEE10hipError_tPvRmT3_T4_T5_T6_T7_T9_mT8_P12ihipStream_tbDpT10_ENKUlT_T0_E_clISt17integral_constantIbLb0EES1A_IbLb1EEEEDaS16_S17_EUlS16_E_NS1_11comp_targetILNS1_3genE3ELNS1_11target_archE908ELNS1_3gpuE7ELNS1_3repE0EEENS1_30default_config_static_selectorELNS0_4arch9wavefront6targetE0EEEvT1_.num_named_barrier, 0
	.set _ZN7rocprim17ROCPRIM_400000_NS6detail17trampoline_kernelINS0_14default_configENS1_25partition_config_selectorILNS1_17partition_subalgoE5EjNS0_10empty_typeEbEEZZNS1_14partition_implILS5_5ELb0ES3_mN6thrust23THRUST_200600_302600_NS6detail15normal_iteratorINSA_10device_ptrIjEEEEPS6_NSA_18transform_iteratorINSB_9not_fun_tI7is_trueIjEEESF_NSA_11use_defaultESM_EENS0_5tupleIJSF_S6_EEENSO_IJSG_SG_EEES6_PlJS6_EEE10hipError_tPvRmT3_T4_T5_T6_T7_T9_mT8_P12ihipStream_tbDpT10_ENKUlT_T0_E_clISt17integral_constantIbLb0EES1A_IbLb1EEEEDaS16_S17_EUlS16_E_NS1_11comp_targetILNS1_3genE3ELNS1_11target_archE908ELNS1_3gpuE7ELNS1_3repE0EEENS1_30default_config_static_selectorELNS0_4arch9wavefront6targetE0EEEvT1_.private_seg_size, 0
	.set _ZN7rocprim17ROCPRIM_400000_NS6detail17trampoline_kernelINS0_14default_configENS1_25partition_config_selectorILNS1_17partition_subalgoE5EjNS0_10empty_typeEbEEZZNS1_14partition_implILS5_5ELb0ES3_mN6thrust23THRUST_200600_302600_NS6detail15normal_iteratorINSA_10device_ptrIjEEEEPS6_NSA_18transform_iteratorINSB_9not_fun_tI7is_trueIjEEESF_NSA_11use_defaultESM_EENS0_5tupleIJSF_S6_EEENSO_IJSG_SG_EEES6_PlJS6_EEE10hipError_tPvRmT3_T4_T5_T6_T7_T9_mT8_P12ihipStream_tbDpT10_ENKUlT_T0_E_clISt17integral_constantIbLb0EES1A_IbLb1EEEEDaS16_S17_EUlS16_E_NS1_11comp_targetILNS1_3genE3ELNS1_11target_archE908ELNS1_3gpuE7ELNS1_3repE0EEENS1_30default_config_static_selectorELNS0_4arch9wavefront6targetE0EEEvT1_.uses_vcc, 0
	.set _ZN7rocprim17ROCPRIM_400000_NS6detail17trampoline_kernelINS0_14default_configENS1_25partition_config_selectorILNS1_17partition_subalgoE5EjNS0_10empty_typeEbEEZZNS1_14partition_implILS5_5ELb0ES3_mN6thrust23THRUST_200600_302600_NS6detail15normal_iteratorINSA_10device_ptrIjEEEEPS6_NSA_18transform_iteratorINSB_9not_fun_tI7is_trueIjEEESF_NSA_11use_defaultESM_EENS0_5tupleIJSF_S6_EEENSO_IJSG_SG_EEES6_PlJS6_EEE10hipError_tPvRmT3_T4_T5_T6_T7_T9_mT8_P12ihipStream_tbDpT10_ENKUlT_T0_E_clISt17integral_constantIbLb0EES1A_IbLb1EEEEDaS16_S17_EUlS16_E_NS1_11comp_targetILNS1_3genE3ELNS1_11target_archE908ELNS1_3gpuE7ELNS1_3repE0EEENS1_30default_config_static_selectorELNS0_4arch9wavefront6targetE0EEEvT1_.uses_flat_scratch, 0
	.set _ZN7rocprim17ROCPRIM_400000_NS6detail17trampoline_kernelINS0_14default_configENS1_25partition_config_selectorILNS1_17partition_subalgoE5EjNS0_10empty_typeEbEEZZNS1_14partition_implILS5_5ELb0ES3_mN6thrust23THRUST_200600_302600_NS6detail15normal_iteratorINSA_10device_ptrIjEEEEPS6_NSA_18transform_iteratorINSB_9not_fun_tI7is_trueIjEEESF_NSA_11use_defaultESM_EENS0_5tupleIJSF_S6_EEENSO_IJSG_SG_EEES6_PlJS6_EEE10hipError_tPvRmT3_T4_T5_T6_T7_T9_mT8_P12ihipStream_tbDpT10_ENKUlT_T0_E_clISt17integral_constantIbLb0EES1A_IbLb1EEEEDaS16_S17_EUlS16_E_NS1_11comp_targetILNS1_3genE3ELNS1_11target_archE908ELNS1_3gpuE7ELNS1_3repE0EEENS1_30default_config_static_selectorELNS0_4arch9wavefront6targetE0EEEvT1_.has_dyn_sized_stack, 0
	.set _ZN7rocprim17ROCPRIM_400000_NS6detail17trampoline_kernelINS0_14default_configENS1_25partition_config_selectorILNS1_17partition_subalgoE5EjNS0_10empty_typeEbEEZZNS1_14partition_implILS5_5ELb0ES3_mN6thrust23THRUST_200600_302600_NS6detail15normal_iteratorINSA_10device_ptrIjEEEEPS6_NSA_18transform_iteratorINSB_9not_fun_tI7is_trueIjEEESF_NSA_11use_defaultESM_EENS0_5tupleIJSF_S6_EEENSO_IJSG_SG_EEES6_PlJS6_EEE10hipError_tPvRmT3_T4_T5_T6_T7_T9_mT8_P12ihipStream_tbDpT10_ENKUlT_T0_E_clISt17integral_constantIbLb0EES1A_IbLb1EEEEDaS16_S17_EUlS16_E_NS1_11comp_targetILNS1_3genE3ELNS1_11target_archE908ELNS1_3gpuE7ELNS1_3repE0EEENS1_30default_config_static_selectorELNS0_4arch9wavefront6targetE0EEEvT1_.has_recursion, 0
	.set _ZN7rocprim17ROCPRIM_400000_NS6detail17trampoline_kernelINS0_14default_configENS1_25partition_config_selectorILNS1_17partition_subalgoE5EjNS0_10empty_typeEbEEZZNS1_14partition_implILS5_5ELb0ES3_mN6thrust23THRUST_200600_302600_NS6detail15normal_iteratorINSA_10device_ptrIjEEEEPS6_NSA_18transform_iteratorINSB_9not_fun_tI7is_trueIjEEESF_NSA_11use_defaultESM_EENS0_5tupleIJSF_S6_EEENSO_IJSG_SG_EEES6_PlJS6_EEE10hipError_tPvRmT3_T4_T5_T6_T7_T9_mT8_P12ihipStream_tbDpT10_ENKUlT_T0_E_clISt17integral_constantIbLb0EES1A_IbLb1EEEEDaS16_S17_EUlS16_E_NS1_11comp_targetILNS1_3genE3ELNS1_11target_archE908ELNS1_3gpuE7ELNS1_3repE0EEENS1_30default_config_static_selectorELNS0_4arch9wavefront6targetE0EEEvT1_.has_indirect_call, 0
	.section	.AMDGPU.csdata,"",@progbits
; Kernel info:
; codeLenInByte = 0
; TotalNumSgprs: 0
; NumVgprs: 0
; ScratchSize: 0
; MemoryBound: 0
; FloatMode: 240
; IeeeMode: 1
; LDSByteSize: 0 bytes/workgroup (compile time only)
; SGPRBlocks: 0
; VGPRBlocks: 0
; NumSGPRsForWavesPerEU: 1
; NumVGPRsForWavesPerEU: 1
; Occupancy: 16
; WaveLimiterHint : 0
; COMPUTE_PGM_RSRC2:SCRATCH_EN: 0
; COMPUTE_PGM_RSRC2:USER_SGPR: 2
; COMPUTE_PGM_RSRC2:TRAP_HANDLER: 0
; COMPUTE_PGM_RSRC2:TGID_X_EN: 1
; COMPUTE_PGM_RSRC2:TGID_Y_EN: 0
; COMPUTE_PGM_RSRC2:TGID_Z_EN: 0
; COMPUTE_PGM_RSRC2:TIDIG_COMP_CNT: 0
	.section	.text._ZN7rocprim17ROCPRIM_400000_NS6detail17trampoline_kernelINS0_14default_configENS1_25partition_config_selectorILNS1_17partition_subalgoE5EjNS0_10empty_typeEbEEZZNS1_14partition_implILS5_5ELb0ES3_mN6thrust23THRUST_200600_302600_NS6detail15normal_iteratorINSA_10device_ptrIjEEEEPS6_NSA_18transform_iteratorINSB_9not_fun_tI7is_trueIjEEESF_NSA_11use_defaultESM_EENS0_5tupleIJSF_S6_EEENSO_IJSG_SG_EEES6_PlJS6_EEE10hipError_tPvRmT3_T4_T5_T6_T7_T9_mT8_P12ihipStream_tbDpT10_ENKUlT_T0_E_clISt17integral_constantIbLb0EES1A_IbLb1EEEEDaS16_S17_EUlS16_E_NS1_11comp_targetILNS1_3genE2ELNS1_11target_archE906ELNS1_3gpuE6ELNS1_3repE0EEENS1_30default_config_static_selectorELNS0_4arch9wavefront6targetE0EEEvT1_,"axG",@progbits,_ZN7rocprim17ROCPRIM_400000_NS6detail17trampoline_kernelINS0_14default_configENS1_25partition_config_selectorILNS1_17partition_subalgoE5EjNS0_10empty_typeEbEEZZNS1_14partition_implILS5_5ELb0ES3_mN6thrust23THRUST_200600_302600_NS6detail15normal_iteratorINSA_10device_ptrIjEEEEPS6_NSA_18transform_iteratorINSB_9not_fun_tI7is_trueIjEEESF_NSA_11use_defaultESM_EENS0_5tupleIJSF_S6_EEENSO_IJSG_SG_EEES6_PlJS6_EEE10hipError_tPvRmT3_T4_T5_T6_T7_T9_mT8_P12ihipStream_tbDpT10_ENKUlT_T0_E_clISt17integral_constantIbLb0EES1A_IbLb1EEEEDaS16_S17_EUlS16_E_NS1_11comp_targetILNS1_3genE2ELNS1_11target_archE906ELNS1_3gpuE6ELNS1_3repE0EEENS1_30default_config_static_selectorELNS0_4arch9wavefront6targetE0EEEvT1_,comdat
	.protected	_ZN7rocprim17ROCPRIM_400000_NS6detail17trampoline_kernelINS0_14default_configENS1_25partition_config_selectorILNS1_17partition_subalgoE5EjNS0_10empty_typeEbEEZZNS1_14partition_implILS5_5ELb0ES3_mN6thrust23THRUST_200600_302600_NS6detail15normal_iteratorINSA_10device_ptrIjEEEEPS6_NSA_18transform_iteratorINSB_9not_fun_tI7is_trueIjEEESF_NSA_11use_defaultESM_EENS0_5tupleIJSF_S6_EEENSO_IJSG_SG_EEES6_PlJS6_EEE10hipError_tPvRmT3_T4_T5_T6_T7_T9_mT8_P12ihipStream_tbDpT10_ENKUlT_T0_E_clISt17integral_constantIbLb0EES1A_IbLb1EEEEDaS16_S17_EUlS16_E_NS1_11comp_targetILNS1_3genE2ELNS1_11target_archE906ELNS1_3gpuE6ELNS1_3repE0EEENS1_30default_config_static_selectorELNS0_4arch9wavefront6targetE0EEEvT1_ ; -- Begin function _ZN7rocprim17ROCPRIM_400000_NS6detail17trampoline_kernelINS0_14default_configENS1_25partition_config_selectorILNS1_17partition_subalgoE5EjNS0_10empty_typeEbEEZZNS1_14partition_implILS5_5ELb0ES3_mN6thrust23THRUST_200600_302600_NS6detail15normal_iteratorINSA_10device_ptrIjEEEEPS6_NSA_18transform_iteratorINSB_9not_fun_tI7is_trueIjEEESF_NSA_11use_defaultESM_EENS0_5tupleIJSF_S6_EEENSO_IJSG_SG_EEES6_PlJS6_EEE10hipError_tPvRmT3_T4_T5_T6_T7_T9_mT8_P12ihipStream_tbDpT10_ENKUlT_T0_E_clISt17integral_constantIbLb0EES1A_IbLb1EEEEDaS16_S17_EUlS16_E_NS1_11comp_targetILNS1_3genE2ELNS1_11target_archE906ELNS1_3gpuE6ELNS1_3repE0EEENS1_30default_config_static_selectorELNS0_4arch9wavefront6targetE0EEEvT1_
	.globl	_ZN7rocprim17ROCPRIM_400000_NS6detail17trampoline_kernelINS0_14default_configENS1_25partition_config_selectorILNS1_17partition_subalgoE5EjNS0_10empty_typeEbEEZZNS1_14partition_implILS5_5ELb0ES3_mN6thrust23THRUST_200600_302600_NS6detail15normal_iteratorINSA_10device_ptrIjEEEEPS6_NSA_18transform_iteratorINSB_9not_fun_tI7is_trueIjEEESF_NSA_11use_defaultESM_EENS0_5tupleIJSF_S6_EEENSO_IJSG_SG_EEES6_PlJS6_EEE10hipError_tPvRmT3_T4_T5_T6_T7_T9_mT8_P12ihipStream_tbDpT10_ENKUlT_T0_E_clISt17integral_constantIbLb0EES1A_IbLb1EEEEDaS16_S17_EUlS16_E_NS1_11comp_targetILNS1_3genE2ELNS1_11target_archE906ELNS1_3gpuE6ELNS1_3repE0EEENS1_30default_config_static_selectorELNS0_4arch9wavefront6targetE0EEEvT1_
	.p2align	8
	.type	_ZN7rocprim17ROCPRIM_400000_NS6detail17trampoline_kernelINS0_14default_configENS1_25partition_config_selectorILNS1_17partition_subalgoE5EjNS0_10empty_typeEbEEZZNS1_14partition_implILS5_5ELb0ES3_mN6thrust23THRUST_200600_302600_NS6detail15normal_iteratorINSA_10device_ptrIjEEEEPS6_NSA_18transform_iteratorINSB_9not_fun_tI7is_trueIjEEESF_NSA_11use_defaultESM_EENS0_5tupleIJSF_S6_EEENSO_IJSG_SG_EEES6_PlJS6_EEE10hipError_tPvRmT3_T4_T5_T6_T7_T9_mT8_P12ihipStream_tbDpT10_ENKUlT_T0_E_clISt17integral_constantIbLb0EES1A_IbLb1EEEEDaS16_S17_EUlS16_E_NS1_11comp_targetILNS1_3genE2ELNS1_11target_archE906ELNS1_3gpuE6ELNS1_3repE0EEENS1_30default_config_static_selectorELNS0_4arch9wavefront6targetE0EEEvT1_,@function
_ZN7rocprim17ROCPRIM_400000_NS6detail17trampoline_kernelINS0_14default_configENS1_25partition_config_selectorILNS1_17partition_subalgoE5EjNS0_10empty_typeEbEEZZNS1_14partition_implILS5_5ELb0ES3_mN6thrust23THRUST_200600_302600_NS6detail15normal_iteratorINSA_10device_ptrIjEEEEPS6_NSA_18transform_iteratorINSB_9not_fun_tI7is_trueIjEEESF_NSA_11use_defaultESM_EENS0_5tupleIJSF_S6_EEENSO_IJSG_SG_EEES6_PlJS6_EEE10hipError_tPvRmT3_T4_T5_T6_T7_T9_mT8_P12ihipStream_tbDpT10_ENKUlT_T0_E_clISt17integral_constantIbLb0EES1A_IbLb1EEEEDaS16_S17_EUlS16_E_NS1_11comp_targetILNS1_3genE2ELNS1_11target_archE906ELNS1_3gpuE6ELNS1_3repE0EEENS1_30default_config_static_selectorELNS0_4arch9wavefront6targetE0EEEvT1_: ; @_ZN7rocprim17ROCPRIM_400000_NS6detail17trampoline_kernelINS0_14default_configENS1_25partition_config_selectorILNS1_17partition_subalgoE5EjNS0_10empty_typeEbEEZZNS1_14partition_implILS5_5ELb0ES3_mN6thrust23THRUST_200600_302600_NS6detail15normal_iteratorINSA_10device_ptrIjEEEEPS6_NSA_18transform_iteratorINSB_9not_fun_tI7is_trueIjEEESF_NSA_11use_defaultESM_EENS0_5tupleIJSF_S6_EEENSO_IJSG_SG_EEES6_PlJS6_EEE10hipError_tPvRmT3_T4_T5_T6_T7_T9_mT8_P12ihipStream_tbDpT10_ENKUlT_T0_E_clISt17integral_constantIbLb0EES1A_IbLb1EEEEDaS16_S17_EUlS16_E_NS1_11comp_targetILNS1_3genE2ELNS1_11target_archE906ELNS1_3gpuE6ELNS1_3repE0EEENS1_30default_config_static_selectorELNS0_4arch9wavefront6targetE0EEEvT1_
; %bb.0:
	.section	.rodata,"a",@progbits
	.p2align	6, 0x0
	.amdhsa_kernel _ZN7rocprim17ROCPRIM_400000_NS6detail17trampoline_kernelINS0_14default_configENS1_25partition_config_selectorILNS1_17partition_subalgoE5EjNS0_10empty_typeEbEEZZNS1_14partition_implILS5_5ELb0ES3_mN6thrust23THRUST_200600_302600_NS6detail15normal_iteratorINSA_10device_ptrIjEEEEPS6_NSA_18transform_iteratorINSB_9not_fun_tI7is_trueIjEEESF_NSA_11use_defaultESM_EENS0_5tupleIJSF_S6_EEENSO_IJSG_SG_EEES6_PlJS6_EEE10hipError_tPvRmT3_T4_T5_T6_T7_T9_mT8_P12ihipStream_tbDpT10_ENKUlT_T0_E_clISt17integral_constantIbLb0EES1A_IbLb1EEEEDaS16_S17_EUlS16_E_NS1_11comp_targetILNS1_3genE2ELNS1_11target_archE906ELNS1_3gpuE6ELNS1_3repE0EEENS1_30default_config_static_selectorELNS0_4arch9wavefront6targetE0EEEvT1_
		.amdhsa_group_segment_fixed_size 0
		.amdhsa_private_segment_fixed_size 0
		.amdhsa_kernarg_size 136
		.amdhsa_user_sgpr_count 2
		.amdhsa_user_sgpr_dispatch_ptr 0
		.amdhsa_user_sgpr_queue_ptr 0
		.amdhsa_user_sgpr_kernarg_segment_ptr 1
		.amdhsa_user_sgpr_dispatch_id 0
		.amdhsa_user_sgpr_private_segment_size 0
		.amdhsa_wavefront_size32 1
		.amdhsa_uses_dynamic_stack 0
		.amdhsa_enable_private_segment 0
		.amdhsa_system_sgpr_workgroup_id_x 1
		.amdhsa_system_sgpr_workgroup_id_y 0
		.amdhsa_system_sgpr_workgroup_id_z 0
		.amdhsa_system_sgpr_workgroup_info 0
		.amdhsa_system_vgpr_workitem_id 0
		.amdhsa_next_free_vgpr 1
		.amdhsa_next_free_sgpr 1
		.amdhsa_reserve_vcc 0
		.amdhsa_float_round_mode_32 0
		.amdhsa_float_round_mode_16_64 0
		.amdhsa_float_denorm_mode_32 3
		.amdhsa_float_denorm_mode_16_64 3
		.amdhsa_fp16_overflow 0
		.amdhsa_workgroup_processor_mode 1
		.amdhsa_memory_ordered 1
		.amdhsa_forward_progress 1
		.amdhsa_inst_pref_size 0
		.amdhsa_round_robin_scheduling 0
		.amdhsa_exception_fp_ieee_invalid_op 0
		.amdhsa_exception_fp_denorm_src 0
		.amdhsa_exception_fp_ieee_div_zero 0
		.amdhsa_exception_fp_ieee_overflow 0
		.amdhsa_exception_fp_ieee_underflow 0
		.amdhsa_exception_fp_ieee_inexact 0
		.amdhsa_exception_int_div_zero 0
	.end_amdhsa_kernel
	.section	.text._ZN7rocprim17ROCPRIM_400000_NS6detail17trampoline_kernelINS0_14default_configENS1_25partition_config_selectorILNS1_17partition_subalgoE5EjNS0_10empty_typeEbEEZZNS1_14partition_implILS5_5ELb0ES3_mN6thrust23THRUST_200600_302600_NS6detail15normal_iteratorINSA_10device_ptrIjEEEEPS6_NSA_18transform_iteratorINSB_9not_fun_tI7is_trueIjEEESF_NSA_11use_defaultESM_EENS0_5tupleIJSF_S6_EEENSO_IJSG_SG_EEES6_PlJS6_EEE10hipError_tPvRmT3_T4_T5_T6_T7_T9_mT8_P12ihipStream_tbDpT10_ENKUlT_T0_E_clISt17integral_constantIbLb0EES1A_IbLb1EEEEDaS16_S17_EUlS16_E_NS1_11comp_targetILNS1_3genE2ELNS1_11target_archE906ELNS1_3gpuE6ELNS1_3repE0EEENS1_30default_config_static_selectorELNS0_4arch9wavefront6targetE0EEEvT1_,"axG",@progbits,_ZN7rocprim17ROCPRIM_400000_NS6detail17trampoline_kernelINS0_14default_configENS1_25partition_config_selectorILNS1_17partition_subalgoE5EjNS0_10empty_typeEbEEZZNS1_14partition_implILS5_5ELb0ES3_mN6thrust23THRUST_200600_302600_NS6detail15normal_iteratorINSA_10device_ptrIjEEEEPS6_NSA_18transform_iteratorINSB_9not_fun_tI7is_trueIjEEESF_NSA_11use_defaultESM_EENS0_5tupleIJSF_S6_EEENSO_IJSG_SG_EEES6_PlJS6_EEE10hipError_tPvRmT3_T4_T5_T6_T7_T9_mT8_P12ihipStream_tbDpT10_ENKUlT_T0_E_clISt17integral_constantIbLb0EES1A_IbLb1EEEEDaS16_S17_EUlS16_E_NS1_11comp_targetILNS1_3genE2ELNS1_11target_archE906ELNS1_3gpuE6ELNS1_3repE0EEENS1_30default_config_static_selectorELNS0_4arch9wavefront6targetE0EEEvT1_,comdat
.Lfunc_end1429:
	.size	_ZN7rocprim17ROCPRIM_400000_NS6detail17trampoline_kernelINS0_14default_configENS1_25partition_config_selectorILNS1_17partition_subalgoE5EjNS0_10empty_typeEbEEZZNS1_14partition_implILS5_5ELb0ES3_mN6thrust23THRUST_200600_302600_NS6detail15normal_iteratorINSA_10device_ptrIjEEEEPS6_NSA_18transform_iteratorINSB_9not_fun_tI7is_trueIjEEESF_NSA_11use_defaultESM_EENS0_5tupleIJSF_S6_EEENSO_IJSG_SG_EEES6_PlJS6_EEE10hipError_tPvRmT3_T4_T5_T6_T7_T9_mT8_P12ihipStream_tbDpT10_ENKUlT_T0_E_clISt17integral_constantIbLb0EES1A_IbLb1EEEEDaS16_S17_EUlS16_E_NS1_11comp_targetILNS1_3genE2ELNS1_11target_archE906ELNS1_3gpuE6ELNS1_3repE0EEENS1_30default_config_static_selectorELNS0_4arch9wavefront6targetE0EEEvT1_, .Lfunc_end1429-_ZN7rocprim17ROCPRIM_400000_NS6detail17trampoline_kernelINS0_14default_configENS1_25partition_config_selectorILNS1_17partition_subalgoE5EjNS0_10empty_typeEbEEZZNS1_14partition_implILS5_5ELb0ES3_mN6thrust23THRUST_200600_302600_NS6detail15normal_iteratorINSA_10device_ptrIjEEEEPS6_NSA_18transform_iteratorINSB_9not_fun_tI7is_trueIjEEESF_NSA_11use_defaultESM_EENS0_5tupleIJSF_S6_EEENSO_IJSG_SG_EEES6_PlJS6_EEE10hipError_tPvRmT3_T4_T5_T6_T7_T9_mT8_P12ihipStream_tbDpT10_ENKUlT_T0_E_clISt17integral_constantIbLb0EES1A_IbLb1EEEEDaS16_S17_EUlS16_E_NS1_11comp_targetILNS1_3genE2ELNS1_11target_archE906ELNS1_3gpuE6ELNS1_3repE0EEENS1_30default_config_static_selectorELNS0_4arch9wavefront6targetE0EEEvT1_
                                        ; -- End function
	.set _ZN7rocprim17ROCPRIM_400000_NS6detail17trampoline_kernelINS0_14default_configENS1_25partition_config_selectorILNS1_17partition_subalgoE5EjNS0_10empty_typeEbEEZZNS1_14partition_implILS5_5ELb0ES3_mN6thrust23THRUST_200600_302600_NS6detail15normal_iteratorINSA_10device_ptrIjEEEEPS6_NSA_18transform_iteratorINSB_9not_fun_tI7is_trueIjEEESF_NSA_11use_defaultESM_EENS0_5tupleIJSF_S6_EEENSO_IJSG_SG_EEES6_PlJS6_EEE10hipError_tPvRmT3_T4_T5_T6_T7_T9_mT8_P12ihipStream_tbDpT10_ENKUlT_T0_E_clISt17integral_constantIbLb0EES1A_IbLb1EEEEDaS16_S17_EUlS16_E_NS1_11comp_targetILNS1_3genE2ELNS1_11target_archE906ELNS1_3gpuE6ELNS1_3repE0EEENS1_30default_config_static_selectorELNS0_4arch9wavefront6targetE0EEEvT1_.num_vgpr, 0
	.set _ZN7rocprim17ROCPRIM_400000_NS6detail17trampoline_kernelINS0_14default_configENS1_25partition_config_selectorILNS1_17partition_subalgoE5EjNS0_10empty_typeEbEEZZNS1_14partition_implILS5_5ELb0ES3_mN6thrust23THRUST_200600_302600_NS6detail15normal_iteratorINSA_10device_ptrIjEEEEPS6_NSA_18transform_iteratorINSB_9not_fun_tI7is_trueIjEEESF_NSA_11use_defaultESM_EENS0_5tupleIJSF_S6_EEENSO_IJSG_SG_EEES6_PlJS6_EEE10hipError_tPvRmT3_T4_T5_T6_T7_T9_mT8_P12ihipStream_tbDpT10_ENKUlT_T0_E_clISt17integral_constantIbLb0EES1A_IbLb1EEEEDaS16_S17_EUlS16_E_NS1_11comp_targetILNS1_3genE2ELNS1_11target_archE906ELNS1_3gpuE6ELNS1_3repE0EEENS1_30default_config_static_selectorELNS0_4arch9wavefront6targetE0EEEvT1_.num_agpr, 0
	.set _ZN7rocprim17ROCPRIM_400000_NS6detail17trampoline_kernelINS0_14default_configENS1_25partition_config_selectorILNS1_17partition_subalgoE5EjNS0_10empty_typeEbEEZZNS1_14partition_implILS5_5ELb0ES3_mN6thrust23THRUST_200600_302600_NS6detail15normal_iteratorINSA_10device_ptrIjEEEEPS6_NSA_18transform_iteratorINSB_9not_fun_tI7is_trueIjEEESF_NSA_11use_defaultESM_EENS0_5tupleIJSF_S6_EEENSO_IJSG_SG_EEES6_PlJS6_EEE10hipError_tPvRmT3_T4_T5_T6_T7_T9_mT8_P12ihipStream_tbDpT10_ENKUlT_T0_E_clISt17integral_constantIbLb0EES1A_IbLb1EEEEDaS16_S17_EUlS16_E_NS1_11comp_targetILNS1_3genE2ELNS1_11target_archE906ELNS1_3gpuE6ELNS1_3repE0EEENS1_30default_config_static_selectorELNS0_4arch9wavefront6targetE0EEEvT1_.numbered_sgpr, 0
	.set _ZN7rocprim17ROCPRIM_400000_NS6detail17trampoline_kernelINS0_14default_configENS1_25partition_config_selectorILNS1_17partition_subalgoE5EjNS0_10empty_typeEbEEZZNS1_14partition_implILS5_5ELb0ES3_mN6thrust23THRUST_200600_302600_NS6detail15normal_iteratorINSA_10device_ptrIjEEEEPS6_NSA_18transform_iteratorINSB_9not_fun_tI7is_trueIjEEESF_NSA_11use_defaultESM_EENS0_5tupleIJSF_S6_EEENSO_IJSG_SG_EEES6_PlJS6_EEE10hipError_tPvRmT3_T4_T5_T6_T7_T9_mT8_P12ihipStream_tbDpT10_ENKUlT_T0_E_clISt17integral_constantIbLb0EES1A_IbLb1EEEEDaS16_S17_EUlS16_E_NS1_11comp_targetILNS1_3genE2ELNS1_11target_archE906ELNS1_3gpuE6ELNS1_3repE0EEENS1_30default_config_static_selectorELNS0_4arch9wavefront6targetE0EEEvT1_.num_named_barrier, 0
	.set _ZN7rocprim17ROCPRIM_400000_NS6detail17trampoline_kernelINS0_14default_configENS1_25partition_config_selectorILNS1_17partition_subalgoE5EjNS0_10empty_typeEbEEZZNS1_14partition_implILS5_5ELb0ES3_mN6thrust23THRUST_200600_302600_NS6detail15normal_iteratorINSA_10device_ptrIjEEEEPS6_NSA_18transform_iteratorINSB_9not_fun_tI7is_trueIjEEESF_NSA_11use_defaultESM_EENS0_5tupleIJSF_S6_EEENSO_IJSG_SG_EEES6_PlJS6_EEE10hipError_tPvRmT3_T4_T5_T6_T7_T9_mT8_P12ihipStream_tbDpT10_ENKUlT_T0_E_clISt17integral_constantIbLb0EES1A_IbLb1EEEEDaS16_S17_EUlS16_E_NS1_11comp_targetILNS1_3genE2ELNS1_11target_archE906ELNS1_3gpuE6ELNS1_3repE0EEENS1_30default_config_static_selectorELNS0_4arch9wavefront6targetE0EEEvT1_.private_seg_size, 0
	.set _ZN7rocprim17ROCPRIM_400000_NS6detail17trampoline_kernelINS0_14default_configENS1_25partition_config_selectorILNS1_17partition_subalgoE5EjNS0_10empty_typeEbEEZZNS1_14partition_implILS5_5ELb0ES3_mN6thrust23THRUST_200600_302600_NS6detail15normal_iteratorINSA_10device_ptrIjEEEEPS6_NSA_18transform_iteratorINSB_9not_fun_tI7is_trueIjEEESF_NSA_11use_defaultESM_EENS0_5tupleIJSF_S6_EEENSO_IJSG_SG_EEES6_PlJS6_EEE10hipError_tPvRmT3_T4_T5_T6_T7_T9_mT8_P12ihipStream_tbDpT10_ENKUlT_T0_E_clISt17integral_constantIbLb0EES1A_IbLb1EEEEDaS16_S17_EUlS16_E_NS1_11comp_targetILNS1_3genE2ELNS1_11target_archE906ELNS1_3gpuE6ELNS1_3repE0EEENS1_30default_config_static_selectorELNS0_4arch9wavefront6targetE0EEEvT1_.uses_vcc, 0
	.set _ZN7rocprim17ROCPRIM_400000_NS6detail17trampoline_kernelINS0_14default_configENS1_25partition_config_selectorILNS1_17partition_subalgoE5EjNS0_10empty_typeEbEEZZNS1_14partition_implILS5_5ELb0ES3_mN6thrust23THRUST_200600_302600_NS6detail15normal_iteratorINSA_10device_ptrIjEEEEPS6_NSA_18transform_iteratorINSB_9not_fun_tI7is_trueIjEEESF_NSA_11use_defaultESM_EENS0_5tupleIJSF_S6_EEENSO_IJSG_SG_EEES6_PlJS6_EEE10hipError_tPvRmT3_T4_T5_T6_T7_T9_mT8_P12ihipStream_tbDpT10_ENKUlT_T0_E_clISt17integral_constantIbLb0EES1A_IbLb1EEEEDaS16_S17_EUlS16_E_NS1_11comp_targetILNS1_3genE2ELNS1_11target_archE906ELNS1_3gpuE6ELNS1_3repE0EEENS1_30default_config_static_selectorELNS0_4arch9wavefront6targetE0EEEvT1_.uses_flat_scratch, 0
	.set _ZN7rocprim17ROCPRIM_400000_NS6detail17trampoline_kernelINS0_14default_configENS1_25partition_config_selectorILNS1_17partition_subalgoE5EjNS0_10empty_typeEbEEZZNS1_14partition_implILS5_5ELb0ES3_mN6thrust23THRUST_200600_302600_NS6detail15normal_iteratorINSA_10device_ptrIjEEEEPS6_NSA_18transform_iteratorINSB_9not_fun_tI7is_trueIjEEESF_NSA_11use_defaultESM_EENS0_5tupleIJSF_S6_EEENSO_IJSG_SG_EEES6_PlJS6_EEE10hipError_tPvRmT3_T4_T5_T6_T7_T9_mT8_P12ihipStream_tbDpT10_ENKUlT_T0_E_clISt17integral_constantIbLb0EES1A_IbLb1EEEEDaS16_S17_EUlS16_E_NS1_11comp_targetILNS1_3genE2ELNS1_11target_archE906ELNS1_3gpuE6ELNS1_3repE0EEENS1_30default_config_static_selectorELNS0_4arch9wavefront6targetE0EEEvT1_.has_dyn_sized_stack, 0
	.set _ZN7rocprim17ROCPRIM_400000_NS6detail17trampoline_kernelINS0_14default_configENS1_25partition_config_selectorILNS1_17partition_subalgoE5EjNS0_10empty_typeEbEEZZNS1_14partition_implILS5_5ELb0ES3_mN6thrust23THRUST_200600_302600_NS6detail15normal_iteratorINSA_10device_ptrIjEEEEPS6_NSA_18transform_iteratorINSB_9not_fun_tI7is_trueIjEEESF_NSA_11use_defaultESM_EENS0_5tupleIJSF_S6_EEENSO_IJSG_SG_EEES6_PlJS6_EEE10hipError_tPvRmT3_T4_T5_T6_T7_T9_mT8_P12ihipStream_tbDpT10_ENKUlT_T0_E_clISt17integral_constantIbLb0EES1A_IbLb1EEEEDaS16_S17_EUlS16_E_NS1_11comp_targetILNS1_3genE2ELNS1_11target_archE906ELNS1_3gpuE6ELNS1_3repE0EEENS1_30default_config_static_selectorELNS0_4arch9wavefront6targetE0EEEvT1_.has_recursion, 0
	.set _ZN7rocprim17ROCPRIM_400000_NS6detail17trampoline_kernelINS0_14default_configENS1_25partition_config_selectorILNS1_17partition_subalgoE5EjNS0_10empty_typeEbEEZZNS1_14partition_implILS5_5ELb0ES3_mN6thrust23THRUST_200600_302600_NS6detail15normal_iteratorINSA_10device_ptrIjEEEEPS6_NSA_18transform_iteratorINSB_9not_fun_tI7is_trueIjEEESF_NSA_11use_defaultESM_EENS0_5tupleIJSF_S6_EEENSO_IJSG_SG_EEES6_PlJS6_EEE10hipError_tPvRmT3_T4_T5_T6_T7_T9_mT8_P12ihipStream_tbDpT10_ENKUlT_T0_E_clISt17integral_constantIbLb0EES1A_IbLb1EEEEDaS16_S17_EUlS16_E_NS1_11comp_targetILNS1_3genE2ELNS1_11target_archE906ELNS1_3gpuE6ELNS1_3repE0EEENS1_30default_config_static_selectorELNS0_4arch9wavefront6targetE0EEEvT1_.has_indirect_call, 0
	.section	.AMDGPU.csdata,"",@progbits
; Kernel info:
; codeLenInByte = 0
; TotalNumSgprs: 0
; NumVgprs: 0
; ScratchSize: 0
; MemoryBound: 0
; FloatMode: 240
; IeeeMode: 1
; LDSByteSize: 0 bytes/workgroup (compile time only)
; SGPRBlocks: 0
; VGPRBlocks: 0
; NumSGPRsForWavesPerEU: 1
; NumVGPRsForWavesPerEU: 1
; Occupancy: 16
; WaveLimiterHint : 0
; COMPUTE_PGM_RSRC2:SCRATCH_EN: 0
; COMPUTE_PGM_RSRC2:USER_SGPR: 2
; COMPUTE_PGM_RSRC2:TRAP_HANDLER: 0
; COMPUTE_PGM_RSRC2:TGID_X_EN: 1
; COMPUTE_PGM_RSRC2:TGID_Y_EN: 0
; COMPUTE_PGM_RSRC2:TGID_Z_EN: 0
; COMPUTE_PGM_RSRC2:TIDIG_COMP_CNT: 0
	.section	.text._ZN7rocprim17ROCPRIM_400000_NS6detail17trampoline_kernelINS0_14default_configENS1_25partition_config_selectorILNS1_17partition_subalgoE5EjNS0_10empty_typeEbEEZZNS1_14partition_implILS5_5ELb0ES3_mN6thrust23THRUST_200600_302600_NS6detail15normal_iteratorINSA_10device_ptrIjEEEEPS6_NSA_18transform_iteratorINSB_9not_fun_tI7is_trueIjEEESF_NSA_11use_defaultESM_EENS0_5tupleIJSF_S6_EEENSO_IJSG_SG_EEES6_PlJS6_EEE10hipError_tPvRmT3_T4_T5_T6_T7_T9_mT8_P12ihipStream_tbDpT10_ENKUlT_T0_E_clISt17integral_constantIbLb0EES1A_IbLb1EEEEDaS16_S17_EUlS16_E_NS1_11comp_targetILNS1_3genE10ELNS1_11target_archE1200ELNS1_3gpuE4ELNS1_3repE0EEENS1_30default_config_static_selectorELNS0_4arch9wavefront6targetE0EEEvT1_,"axG",@progbits,_ZN7rocprim17ROCPRIM_400000_NS6detail17trampoline_kernelINS0_14default_configENS1_25partition_config_selectorILNS1_17partition_subalgoE5EjNS0_10empty_typeEbEEZZNS1_14partition_implILS5_5ELb0ES3_mN6thrust23THRUST_200600_302600_NS6detail15normal_iteratorINSA_10device_ptrIjEEEEPS6_NSA_18transform_iteratorINSB_9not_fun_tI7is_trueIjEEESF_NSA_11use_defaultESM_EENS0_5tupleIJSF_S6_EEENSO_IJSG_SG_EEES6_PlJS6_EEE10hipError_tPvRmT3_T4_T5_T6_T7_T9_mT8_P12ihipStream_tbDpT10_ENKUlT_T0_E_clISt17integral_constantIbLb0EES1A_IbLb1EEEEDaS16_S17_EUlS16_E_NS1_11comp_targetILNS1_3genE10ELNS1_11target_archE1200ELNS1_3gpuE4ELNS1_3repE0EEENS1_30default_config_static_selectorELNS0_4arch9wavefront6targetE0EEEvT1_,comdat
	.protected	_ZN7rocprim17ROCPRIM_400000_NS6detail17trampoline_kernelINS0_14default_configENS1_25partition_config_selectorILNS1_17partition_subalgoE5EjNS0_10empty_typeEbEEZZNS1_14partition_implILS5_5ELb0ES3_mN6thrust23THRUST_200600_302600_NS6detail15normal_iteratorINSA_10device_ptrIjEEEEPS6_NSA_18transform_iteratorINSB_9not_fun_tI7is_trueIjEEESF_NSA_11use_defaultESM_EENS0_5tupleIJSF_S6_EEENSO_IJSG_SG_EEES6_PlJS6_EEE10hipError_tPvRmT3_T4_T5_T6_T7_T9_mT8_P12ihipStream_tbDpT10_ENKUlT_T0_E_clISt17integral_constantIbLb0EES1A_IbLb1EEEEDaS16_S17_EUlS16_E_NS1_11comp_targetILNS1_3genE10ELNS1_11target_archE1200ELNS1_3gpuE4ELNS1_3repE0EEENS1_30default_config_static_selectorELNS0_4arch9wavefront6targetE0EEEvT1_ ; -- Begin function _ZN7rocprim17ROCPRIM_400000_NS6detail17trampoline_kernelINS0_14default_configENS1_25partition_config_selectorILNS1_17partition_subalgoE5EjNS0_10empty_typeEbEEZZNS1_14partition_implILS5_5ELb0ES3_mN6thrust23THRUST_200600_302600_NS6detail15normal_iteratorINSA_10device_ptrIjEEEEPS6_NSA_18transform_iteratorINSB_9not_fun_tI7is_trueIjEEESF_NSA_11use_defaultESM_EENS0_5tupleIJSF_S6_EEENSO_IJSG_SG_EEES6_PlJS6_EEE10hipError_tPvRmT3_T4_T5_T6_T7_T9_mT8_P12ihipStream_tbDpT10_ENKUlT_T0_E_clISt17integral_constantIbLb0EES1A_IbLb1EEEEDaS16_S17_EUlS16_E_NS1_11comp_targetILNS1_3genE10ELNS1_11target_archE1200ELNS1_3gpuE4ELNS1_3repE0EEENS1_30default_config_static_selectorELNS0_4arch9wavefront6targetE0EEEvT1_
	.globl	_ZN7rocprim17ROCPRIM_400000_NS6detail17trampoline_kernelINS0_14default_configENS1_25partition_config_selectorILNS1_17partition_subalgoE5EjNS0_10empty_typeEbEEZZNS1_14partition_implILS5_5ELb0ES3_mN6thrust23THRUST_200600_302600_NS6detail15normal_iteratorINSA_10device_ptrIjEEEEPS6_NSA_18transform_iteratorINSB_9not_fun_tI7is_trueIjEEESF_NSA_11use_defaultESM_EENS0_5tupleIJSF_S6_EEENSO_IJSG_SG_EEES6_PlJS6_EEE10hipError_tPvRmT3_T4_T5_T6_T7_T9_mT8_P12ihipStream_tbDpT10_ENKUlT_T0_E_clISt17integral_constantIbLb0EES1A_IbLb1EEEEDaS16_S17_EUlS16_E_NS1_11comp_targetILNS1_3genE10ELNS1_11target_archE1200ELNS1_3gpuE4ELNS1_3repE0EEENS1_30default_config_static_selectorELNS0_4arch9wavefront6targetE0EEEvT1_
	.p2align	8
	.type	_ZN7rocprim17ROCPRIM_400000_NS6detail17trampoline_kernelINS0_14default_configENS1_25partition_config_selectorILNS1_17partition_subalgoE5EjNS0_10empty_typeEbEEZZNS1_14partition_implILS5_5ELb0ES3_mN6thrust23THRUST_200600_302600_NS6detail15normal_iteratorINSA_10device_ptrIjEEEEPS6_NSA_18transform_iteratorINSB_9not_fun_tI7is_trueIjEEESF_NSA_11use_defaultESM_EENS0_5tupleIJSF_S6_EEENSO_IJSG_SG_EEES6_PlJS6_EEE10hipError_tPvRmT3_T4_T5_T6_T7_T9_mT8_P12ihipStream_tbDpT10_ENKUlT_T0_E_clISt17integral_constantIbLb0EES1A_IbLb1EEEEDaS16_S17_EUlS16_E_NS1_11comp_targetILNS1_3genE10ELNS1_11target_archE1200ELNS1_3gpuE4ELNS1_3repE0EEENS1_30default_config_static_selectorELNS0_4arch9wavefront6targetE0EEEvT1_,@function
_ZN7rocprim17ROCPRIM_400000_NS6detail17trampoline_kernelINS0_14default_configENS1_25partition_config_selectorILNS1_17partition_subalgoE5EjNS0_10empty_typeEbEEZZNS1_14partition_implILS5_5ELb0ES3_mN6thrust23THRUST_200600_302600_NS6detail15normal_iteratorINSA_10device_ptrIjEEEEPS6_NSA_18transform_iteratorINSB_9not_fun_tI7is_trueIjEEESF_NSA_11use_defaultESM_EENS0_5tupleIJSF_S6_EEENSO_IJSG_SG_EEES6_PlJS6_EEE10hipError_tPvRmT3_T4_T5_T6_T7_T9_mT8_P12ihipStream_tbDpT10_ENKUlT_T0_E_clISt17integral_constantIbLb0EES1A_IbLb1EEEEDaS16_S17_EUlS16_E_NS1_11comp_targetILNS1_3genE10ELNS1_11target_archE1200ELNS1_3gpuE4ELNS1_3repE0EEENS1_30default_config_static_selectorELNS0_4arch9wavefront6targetE0EEEvT1_: ; @_ZN7rocprim17ROCPRIM_400000_NS6detail17trampoline_kernelINS0_14default_configENS1_25partition_config_selectorILNS1_17partition_subalgoE5EjNS0_10empty_typeEbEEZZNS1_14partition_implILS5_5ELb0ES3_mN6thrust23THRUST_200600_302600_NS6detail15normal_iteratorINSA_10device_ptrIjEEEEPS6_NSA_18transform_iteratorINSB_9not_fun_tI7is_trueIjEEESF_NSA_11use_defaultESM_EENS0_5tupleIJSF_S6_EEENSO_IJSG_SG_EEES6_PlJS6_EEE10hipError_tPvRmT3_T4_T5_T6_T7_T9_mT8_P12ihipStream_tbDpT10_ENKUlT_T0_E_clISt17integral_constantIbLb0EES1A_IbLb1EEEEDaS16_S17_EUlS16_E_NS1_11comp_targetILNS1_3genE10ELNS1_11target_archE1200ELNS1_3gpuE4ELNS1_3repE0EEENS1_30default_config_static_selectorELNS0_4arch9wavefront6targetE0EEEvT1_
; %bb.0:
	s_clause 0x3
	s_load_b64 s[12:13], s[0:1], 0x30
	s_load_b128 s[4:7], s[0:1], 0x48
	s_load_b64 s[18:19], s[0:1], 0x58
	s_load_b64 s[14:15], s[0:1], 0x68
	v_cmp_eq_u32_e64 s2, 0, v0
	s_and_saveexec_b32 s3, s2
	s_cbranch_execz .LBB1430_4
; %bb.1:
	s_mov_b32 s9, exec_lo
	s_mov_b32 s8, exec_lo
	v_mbcnt_lo_u32_b32 v1, s9, 0
                                        ; implicit-def: $vgpr2
	s_delay_alu instid0(VALU_DEP_1)
	v_cmpx_eq_u32_e32 0, v1
	s_cbranch_execz .LBB1430_3
; %bb.2:
	s_load_b64 s[10:11], s[0:1], 0x78
	s_bcnt1_i32_b32 s9, s9
	s_wait_alu 0xfffe
	v_dual_mov_b32 v2, 0 :: v_dual_mov_b32 v3, s9
	s_wait_kmcnt 0x0
	global_atomic_add_u32 v2, v2, v3, s[10:11] th:TH_ATOMIC_RETURN scope:SCOPE_DEV
.LBB1430_3:
	s_or_b32 exec_lo, exec_lo, s8
	s_wait_loadcnt 0x0
	v_readfirstlane_b32 s8, v2
	s_wait_alu 0xf1ff
	s_delay_alu instid0(VALU_DEP_1)
	v_dual_mov_b32 v2, 0 :: v_dual_add_nc_u32 v1, s8, v1
	ds_store_b32 v2, v1
.LBB1430_4:
	s_or_b32 exec_lo, exec_lo, s3
	v_dual_mov_b32 v1, 0 :: v_dual_add_nc_u32 v24, 0x180, v0
	s_clause 0x2
	s_load_b128 s[8:11], s[0:1], 0x8
	s_load_b64 s[16:17], s[0:1], 0x20
	s_load_b32 s0, s[0:1], 0x70
	s_wait_dscnt 0x0
	s_barrier_signal -1
	s_barrier_wait -1
	global_inv scope:SCOPE_SE
	ds_load_b32 v2, v1
	s_wait_loadcnt_dscnt 0x0
	s_barrier_signal -1
	s_barrier_wait -1
	global_inv scope:SCOPE_SE
	s_wait_kmcnt 0x0
	global_load_b64 v[9:10], v1, s[6:7]
	v_lshlrev_b32_e32 v25, 2, v0
	v_lshrrev_b32_e32 v11, 3, v0
	v_add_nc_u32_e32 v23, 0x240, v0
	v_or_b32_e32 v22, 0x300, v0
	v_add_nc_u32_e32 v21, 0x3c0, v0
	v_add_nc_u32_e32 v20, 0x480, v0
	;; [unrolled: 1-line block ×3, first 2 shown]
	s_lshl_b64 s[6:7], s[10:11], 2
	s_delay_alu instid0(SALU_CYCLE_1)
	s_add_nc_u64 s[22:23], s[8:9], s[6:7]
	s_mul_i32 s8, s0, 0x600
	s_mov_b32 s9, 0
	s_wait_alu 0xfffe
	s_add_co_i32 s3, s8, s10
	s_add_co_i32 s21, s0, -1
	v_readfirstlane_b32 s20, v2
	s_add_nc_u64 s[0:1], s[10:11], s[8:9]
	s_sub_co_i32 s3, s18, s3
	v_cmp_le_u64_e64 s0, s[18:19], s[0:1]
	s_addk_co_i32 s3, 0x600
	s_cmp_eq_u32 s20, s21
	s_mul_i32 s8, s20, 0x600
	s_cselect_b32 s18, -1, 0
	s_wait_alu 0xfffe
	s_lshl_b64 s[8:9], s[8:9], 2
	s_and_b32 s0, s0, s18
	s_mov_b32 s1, -1
	s_wait_alu 0xfffe
	s_xor_b32 s19, s0, -1
	s_add_nc_u64 s[10:11], s[22:23], s[8:9]
	s_wait_alu 0xfffe
	s_and_b32 vcc_lo, exec_lo, s19
	s_cbranch_vccz .LBB1430_6
; %bb.5:
	v_add_co_u32 v1, s0, s10, v25
	s_wait_alu 0xf1ff
	v_add_co_ci_u32_e64 v2, null, s11, 0, s0
	v_add_nc_u32_e32 v13, 0xc0, v0
	v_lshrrev_b32_e32 v14, 3, v24
	v_lshrrev_b32_e32 v15, 3, v23
	s_clause 0x7
	flat_load_b32 v3, v[1:2]
	flat_load_b32 v4, v[1:2] offset:768
	flat_load_b32 v5, v[1:2] offset:1536
	flat_load_b32 v6, v[1:2] offset:2304
	flat_load_b32 v7, v[1:2] offset:3072
	flat_load_b32 v8, v[1:2] offset:3840
	flat_load_b32 v12, v[1:2] offset:4608
	flat_load_b32 v1, v[1:2] offset:5376
	v_lshrrev_b32_e32 v16, 3, v22
	v_lshrrev_b32_e32 v13, 3, v13
	v_and_b32_e32 v2, 28, v11
	v_lshrrev_b32_e32 v17, 3, v21
	v_lshrrev_b32_e32 v18, 3, v20
	;; [unrolled: 1-line block ×3, first 2 shown]
	v_and_b32_e32 v13, 60, v13
	v_and_b32_e32 v14, 0x7c, v14
	;; [unrolled: 1-line block ×4, first 2 shown]
	v_add_nc_u32_e32 v2, v2, v25
	v_and_b32_e32 v17, 0xfc, v17
	v_and_b32_e32 v18, 0xbc, v18
	;; [unrolled: 1-line block ×3, first 2 shown]
	v_add_nc_u32_e32 v13, v13, v25
	v_add_nc_u32_e32 v14, v14, v25
	;; [unrolled: 1-line block ×4, first 2 shown]
	s_mov_b32 s1, 0
	v_add_nc_u32_e32 v17, v17, v25
	v_add_nc_u32_e32 v18, v18, v25
	;; [unrolled: 1-line block ×3, first 2 shown]
	s_wait_loadcnt_dscnt 0x707
	ds_store_b32 v2, v3
	s_wait_loadcnt_dscnt 0x607
	ds_store_b32 v13, v4 offset:768
	s_wait_loadcnt_dscnt 0x507
	ds_store_b32 v14, v5 offset:1536
	;; [unrolled: 2-line block ×7, first 2 shown]
	s_wait_dscnt 0x0
	s_barrier_signal -1
	s_barrier_wait -1
.LBB1430_6:
	v_cmp_gt_u32_e64 s0, s3, v0
	s_wait_alu 0xfffe
	s_and_not1_b32 vcc_lo, exec_lo, s1
	s_cbranch_vccnz .LBB1430_18
; %bb.7:
	v_mov_b32_e32 v1, 0
	s_delay_alu instid0(VALU_DEP_1)
	v_dual_mov_b32 v2, v1 :: v_dual_mov_b32 v3, v1
	v_dual_mov_b32 v4, v1 :: v_dual_mov_b32 v5, v1
	;; [unrolled: 1-line block ×3, first 2 shown]
	v_mov_b32_e32 v8, v1
	s_and_saveexec_b32 s1, s0
	s_cbranch_execz .LBB1430_9
; %bb.8:
	v_add_co_u32 v2, s0, s10, v25
	s_wait_alu 0xf1ff
	v_add_co_ci_u32_e64 v3, null, s11, 0, s0
	v_dual_mov_b32 v27, v1 :: v_dual_mov_b32 v28, v1
	v_dual_mov_b32 v29, v1 :: v_dual_mov_b32 v30, v1
	flat_load_b32 v26, v[2:3]
	v_dual_mov_b32 v31, v1 :: v_dual_mov_b32 v32, v1
	v_mov_b32_e32 v33, v1
	s_wait_loadcnt_dscnt 0x0
	v_dual_mov_b32 v1, v26 :: v_dual_mov_b32 v2, v27
	v_dual_mov_b32 v3, v28 :: v_dual_mov_b32 v4, v29
	;; [unrolled: 1-line block ×4, first 2 shown]
.LBB1430_9:
	s_wait_alu 0xfffe
	s_or_b32 exec_lo, exec_lo, s1
	v_add_nc_u32_e32 v12, 0xc0, v0
	s_mov_b32 s0, exec_lo
	s_delay_alu instid0(VALU_DEP_1)
	v_cmpx_gt_u32_e64 s3, v12
	s_cbranch_execnz .LBB1430_162
; %bb.10:
	s_wait_alu 0xfffe
	s_or_b32 exec_lo, exec_lo, s0
	s_delay_alu instid0(SALU_CYCLE_1)
	s_mov_b32 s0, exec_lo
	v_cmpx_gt_u32_e64 s3, v24
	s_cbranch_execnz .LBB1430_163
.LBB1430_11:
	s_wait_alu 0xfffe
	s_or_b32 exec_lo, exec_lo, s0
	s_delay_alu instid0(SALU_CYCLE_1)
	s_mov_b32 s0, exec_lo
	v_cmpx_gt_u32_e64 s3, v23
	s_cbranch_execnz .LBB1430_164
.LBB1430_12:
	s_wait_alu 0xfffe
	s_or_b32 exec_lo, exec_lo, s0
	s_delay_alu instid0(SALU_CYCLE_1)
	s_mov_b32 s0, exec_lo
	v_cmpx_gt_u32_e64 s3, v22
	s_cbranch_execnz .LBB1430_165
.LBB1430_13:
	s_wait_alu 0xfffe
	s_or_b32 exec_lo, exec_lo, s0
	s_delay_alu instid0(SALU_CYCLE_1)
	s_mov_b32 s0, exec_lo
	v_cmpx_gt_u32_e64 s3, v21
	s_cbranch_execnz .LBB1430_166
.LBB1430_14:
	s_wait_alu 0xfffe
	s_or_b32 exec_lo, exec_lo, s0
	s_delay_alu instid0(SALU_CYCLE_1)
	s_mov_b32 s0, exec_lo
	v_cmpx_gt_u32_e64 s3, v20
	s_cbranch_execnz .LBB1430_167
.LBB1430_15:
	s_wait_alu 0xfffe
	s_or_b32 exec_lo, exec_lo, s0
	s_delay_alu instid0(SALU_CYCLE_1)
	s_mov_b32 s0, exec_lo
	v_cmpx_gt_u32_e64 s3, v19
	s_cbranch_execz .LBB1430_17
.LBB1430_16:
	v_add_co_u32 v13, s1, s10, v25
	s_wait_alu 0xf1ff
	v_add_co_ci_u32_e64 v14, null, s11, 0, s1
	flat_load_b32 v8, v[13:14] offset:5376
.LBB1430_17:
	s_wait_alu 0xfffe
	s_or_b32 exec_lo, exec_lo, s0
	v_lshrrev_b32_e32 v12, 3, v12
	v_lshrrev_b32_e32 v13, 3, v24
	;; [unrolled: 1-line block ×4, first 2 shown]
	v_and_b32_e32 v11, 28, v11
	v_lshrrev_b32_e32 v16, 3, v21
	v_lshrrev_b32_e32 v17, 3, v20
	;; [unrolled: 1-line block ×3, first 2 shown]
	v_and_b32_e32 v12, 60, v12
	v_and_b32_e32 v13, 0x7c, v13
	;; [unrolled: 1-line block ×4, first 2 shown]
	v_add_nc_u32_e32 v11, v11, v25
	v_and_b32_e32 v16, 0xfc, v16
	v_and_b32_e32 v17, 0xfc, v17
	;; [unrolled: 1-line block ×3, first 2 shown]
	v_add_nc_u32_e32 v12, v12, v25
	v_add_nc_u32_e32 v13, v13, v25
	;; [unrolled: 1-line block ×7, first 2 shown]
	ds_store_b32 v11, v1
	s_wait_loadcnt_dscnt 0x1
	ds_store_b32 v12, v2 offset:768
	ds_store_b32 v13, v3 offset:1536
	;; [unrolled: 1-line block ×7, first 2 shown]
	s_wait_dscnt 0x0
	s_barrier_signal -1
	s_barrier_wait -1
.LBB1430_18:
	v_and_b32_e32 v1, 0xfc, v0
	s_wait_loadcnt 0x0
	global_inv scope:SCOPE_SE
	v_lshrrev_b32_e32 v37, 5, v0
	s_add_nc_u64 s[0:1], s[16:17], s[6:7]
	s_and_b32 vcc_lo, exec_lo, s19
	v_lshl_add_u32 v1, v0, 5, v1
	s_wait_alu 0xfffe
	s_add_nc_u64 s[0:1], s[0:1], s[8:9]
	s_mov_b32 s6, -1
	ds_load_2addr_b32 v[17:18], v1 offset1:1
	ds_load_2addr_b32 v[15:16], v1 offset0:2 offset1:3
	ds_load_2addr_b32 v[13:14], v1 offset0:4 offset1:5
	;; [unrolled: 1-line block ×3, first 2 shown]
	s_wait_loadcnt_dscnt 0x0
	s_barrier_signal -1
	s_barrier_wait -1
	global_inv scope:SCOPE_SE
	s_cbranch_vccz .LBB1430_20
; %bb.19:
	s_clause 0x7
	global_load_b32 v1, v25, s[0:1]
	global_load_b32 v2, v25, s[0:1] offset:768
	global_load_b32 v3, v25, s[0:1] offset:1536
	;; [unrolled: 1-line block ×7, first 2 shown]
	v_add_nc_u32_e32 v27, 0xc0, v0
	v_lshrrev_b32_e32 v28, 5, v24
	v_lshrrev_b32_e32 v29, 5, v23
	;; [unrolled: 1-line block ×3, first 2 shown]
	v_and_b32_e32 v26, 4, v37
	v_lshrrev_b32_e32 v27, 5, v27
	v_lshrrev_b32_e32 v31, 5, v21
	;; [unrolled: 1-line block ×4, first 2 shown]
	v_and_b32_e32 v28, 28, v28
	v_and_b32_e32 v27, 12, v27
	;; [unrolled: 1-line block ×4, first 2 shown]
	v_add_nc_u32_e32 v26, v26, v0
	v_and_b32_e32 v31, 60, v31
	v_and_b32_e32 v32, 44, v32
	;; [unrolled: 1-line block ×3, first 2 shown]
	v_add_nc_u32_e32 v27, v27, v0
	v_add_nc_u32_e32 v28, v28, v0
	;; [unrolled: 1-line block ×4, first 2 shown]
	s_mov_b32 s6, 0
	v_add_nc_u32_e32 v31, v31, v0
	v_add_nc_u32_e32 v32, v32, v0
	;; [unrolled: 1-line block ×3, first 2 shown]
	s_wait_loadcnt 0x7
	v_cmp_eq_u32_e32 vcc_lo, 0, v1
	v_cndmask_b32_e64 v1, 0, 1, vcc_lo
	s_wait_loadcnt 0x6
	v_cmp_eq_u32_e32 vcc_lo, 0, v2
	s_wait_alu 0xfffd
	v_cndmask_b32_e64 v2, 0, 1, vcc_lo
	s_wait_loadcnt 0x5
	v_cmp_eq_u32_e32 vcc_lo, 0, v3
	s_wait_alu 0xfffd
	;; [unrolled: 4-line block ×7, first 2 shown]
	v_cndmask_b32_e64 v8, 0, 1, vcc_lo
	ds_store_b8 v26, v1
	ds_store_b8 v27, v2 offset:192
	ds_store_b8 v28, v3 offset:384
	ds_store_b8 v29, v4 offset:576
	ds_store_b8 v30, v5 offset:768
	ds_store_b8 v31, v6 offset:960
	ds_store_b8 v32, v7 offset:1152
	ds_store_b8 v33, v8 offset:1344
	s_wait_dscnt 0x0
	s_barrier_signal -1
	s_barrier_wait -1
.LBB1430_20:
	v_lshlrev_b32_e32 v40, 3, v0
	v_lshrrev_b32_e32 v1, 2, v0
	s_and_not1_b32 vcc_lo, exec_lo, s6
	s_wait_alu 0xfffe
	s_cbranch_vccnz .LBB1430_32
; %bb.21:
	v_mov_b32_e32 v2, 0
	s_mov_b32 s7, 0
	s_mov_b32 s6, exec_lo
	s_delay_alu instid0(VALU_DEP_1)
	v_dual_mov_b32 v3, v2 :: v_dual_mov_b32 v4, v2
	v_cmpx_gt_u32_e64 s3, v0
	s_cbranch_execz .LBB1430_23
; %bb.22:
	global_load_b32 v2, v25, s[0:1]
	s_wait_loadcnt 0x0
	v_cmp_eq_u32_e32 vcc_lo, 0, v2
	s_wait_alu 0xfffd
	v_cndmask_b32_e64 v2, 0, 1, vcc_lo
	s_delay_alu instid0(VALU_DEP_1)
	v_dual_mov_b32 v3, s7 :: v_dual_mov_b32 v4, v2
.LBB1430_23:
	s_or_b32 exec_lo, exec_lo, s6
	v_add_nc_u32_e32 v5, 0xc0, v0
	s_mov_b32 s6, exec_lo
	s_delay_alu instid0(VALU_DEP_1)
	v_cmpx_gt_u32_e64 s3, v5
	s_cbranch_execnz .LBB1430_168
; %bb.24:
	s_wait_alu 0xfffe
	s_or_b32 exec_lo, exec_lo, s6
	s_delay_alu instid0(SALU_CYCLE_1)
	s_mov_b32 s6, exec_lo
	v_cmpx_gt_u32_e64 s3, v24
	s_cbranch_execnz .LBB1430_169
.LBB1430_25:
	s_wait_alu 0xfffe
	s_or_b32 exec_lo, exec_lo, s6
	s_delay_alu instid0(SALU_CYCLE_1)
	s_mov_b32 s6, exec_lo
	v_cmpx_gt_u32_e64 s3, v23
	s_cbranch_execnz .LBB1430_170
.LBB1430_26:
	s_wait_alu 0xfffe
	s_or_b32 exec_lo, exec_lo, s6
	s_delay_alu instid0(SALU_CYCLE_1)
	s_mov_b32 s6, exec_lo
	v_cmpx_gt_u32_e64 s3, v22
	s_cbranch_execnz .LBB1430_171
.LBB1430_27:
	s_wait_alu 0xfffe
	s_or_b32 exec_lo, exec_lo, s6
	s_delay_alu instid0(SALU_CYCLE_1)
	s_mov_b32 s6, exec_lo
	v_cmpx_gt_u32_e64 s3, v21
	s_cbranch_execnz .LBB1430_172
.LBB1430_28:
	s_wait_alu 0xfffe
	s_or_b32 exec_lo, exec_lo, s6
	s_delay_alu instid0(SALU_CYCLE_1)
	s_mov_b32 s6, exec_lo
	v_cmpx_gt_u32_e64 s3, v20
	s_cbranch_execnz .LBB1430_173
.LBB1430_29:
	s_wait_alu 0xfffe
	s_or_b32 exec_lo, exec_lo, s6
	v_cmp_gt_u32_e32 vcc_lo, s3, v19
	s_and_saveexec_b32 s3, vcc_lo
	s_cbranch_execz .LBB1430_31
.LBB1430_30:
	global_load_b32 v6, v25, s[0:1] offset:5376
	v_lshrrev_b32_e32 v7, 16, v3
	s_delay_alu instid0(VALU_DEP_1) | instskip(SKIP_4) | instid1(VALU_DEP_1)
	v_and_b32_e32 v7, 0xff, v7
	s_wait_loadcnt 0x0
	v_cmp_eq_u32_e32 vcc_lo, 0, v6
	s_wait_alu 0xfffd
	v_cndmask_b32_e64 v6, 0, 1, vcc_lo
	v_lshlrev_b16 v6, 8, v6
	s_delay_alu instid0(VALU_DEP_1) | instskip(NEXT) | instid1(VALU_DEP_1)
	v_or_b32_e32 v6, v7, v6
	v_lshlrev_b32_e32 v6, 16, v6
	s_delay_alu instid0(VALU_DEP_1)
	v_and_or_b32 v3, 0xffff, v3, v6
.LBB1430_31:
	s_wait_alu 0xfffe
	s_or_b32 exec_lo, exec_lo, s3
	v_lshrrev_b32_e32 v5, 5, v5
	v_lshrrev_b32_e32 v6, 5, v24
	v_lshrrev_b32_e32 v23, 5, v23
	v_lshrrev_b32_e32 v22, 5, v22
	v_and_b32_e32 v7, 4, v37
	v_lshrrev_b32_e32 v21, 5, v21
	v_lshrrev_b32_e32 v20, 5, v20
	;; [unrolled: 1-line block ×3, first 2 shown]
	v_and_b32_e32 v5, 12, v5
	v_and_b32_e32 v6, 28, v6
	;; [unrolled: 1-line block ×4, first 2 shown]
	v_add_nc_u32_e32 v7, v7, v0
	v_and_b32_e32 v21, 60, v21
	v_and_b32_e32 v20, 60, v20
	;; [unrolled: 1-line block ×3, first 2 shown]
	v_lshrrev_b32_e32 v8, 8, v2
	v_add_nc_u32_e32 v5, v5, v0
	v_add_nc_u32_e32 v6, v6, v0
	v_lshrrev_b32_e32 v24, 24, v2
	v_add_nc_u32_e32 v23, v23, v0
	v_add_nc_u32_e32 v22, v22, v0
	v_lshrrev_b32_e32 v25, 8, v3
	v_add_nc_u32_e32 v21, v21, v0
	v_add_nc_u32_e32 v20, v20, v0
	v_lshrrev_b32_e32 v26, 24, v3
	v_add_nc_u32_e32 v19, v19, v0
	ds_store_b8 v7, v4
	ds_store_b8 v5, v8 offset:192
	ds_store_b8_d16_hi v6, v2 offset:384
	ds_store_b8 v23, v24 offset:576
	ds_store_b8 v22, v3 offset:768
	ds_store_b8 v21, v25 offset:960
	ds_store_b8_d16_hi v20, v3 offset:1152
	ds_store_b8 v19, v26 offset:1344
	s_wait_loadcnt_dscnt 0x0
	s_barrier_signal -1
	s_barrier_wait -1
.LBB1430_32:
	s_delay_alu instid0(VALU_DEP_1)
	v_dual_mov_b32 v2, 0 :: v_dual_and_b32 v1, 60, v1
	s_wait_loadcnt 0x0
	global_inv scope:SCOPE_SE
	v_mbcnt_lo_u32_b32 v47, -1, 0
	s_cmp_lg_u32 s20, 0
	v_add_nc_u32_e32 v1, v1, v40
	s_mov_b32 s1, -1
	s_delay_alu instid0(VALU_DEP_2)
	v_and_b32_e32 v48, 15, v47
	ds_load_2addr_b32 v[19:20], v1 offset1:1
	s_wait_loadcnt_dscnt 0x0
	s_barrier_signal -1
	s_barrier_wait -1
	global_inv scope:SCOPE_SE
	v_and_b32_e32 v43, 0xff, v19
	v_bfe_u32 v42, v19, 8, 8
	v_bfe_u32 v41, v19, 16, 8
	v_lshrrev_b32_e32 v39, 24, v19
	v_and_b32_e32 v46, 0xff, v20
	v_bfe_u32 v45, v20, 8, 8
	v_bfe_u32 v44, v20, 16, 8
	v_add3_u32 v1, v42, v43, v41
	v_lshrrev_b32_e32 v38, 24, v20
	s_delay_alu instid0(VALU_DEP_2) | instskip(SKIP_3) | instid1(VALU_DEP_3)
	v_add_co_u32 v1, s0, v1, v39
	s_wait_alu 0xf1ff
	v_add_co_ci_u32_e64 v3, null, 0, 0, s0
	v_cmp_ne_u32_e64 s0, 0, v48
	v_add_co_u32 v1, vcc_lo, v1, v46
	s_wait_alu 0xfffd
	s_delay_alu instid0(VALU_DEP_3) | instskip(NEXT) | instid1(VALU_DEP_2)
	v_add_co_ci_u32_e64 v3, null, 0, v3, vcc_lo
	v_add_co_u32 v1, vcc_lo, v1, v45
	s_wait_alu 0xfffd
	s_delay_alu instid0(VALU_DEP_2) | instskip(NEXT) | instid1(VALU_DEP_2)
	v_add_co_ci_u32_e64 v3, null, 0, v3, vcc_lo
	v_add_co_u32 v1, vcc_lo, v1, v44
	s_wait_alu 0xfffd
	s_delay_alu instid0(VALU_DEP_2) | instskip(NEXT) | instid1(VALU_DEP_2)
	v_add_co_ci_u32_e64 v3, null, 0, v3, vcc_lo
	v_add_co_u32 v21, vcc_lo, v1, v38
	s_wait_alu 0xfffd
	s_delay_alu instid0(VALU_DEP_2)
	v_add_co_ci_u32_e64 v22, null, 0, v3, vcc_lo
	s_cbranch_scc0 .LBB1430_89
; %bb.33:
	v_mov_b32_e32 v3, v21
	v_mov_b32_dpp v1, v21 row_shr:1 row_mask:0xf bank_mask:0xf
	v_mov_b32_dpp v6, v2 row_shr:1 row_mask:0xf bank_mask:0xf
	v_dual_mov_b32 v5, v21 :: v_dual_mov_b32 v4, v22
	s_and_saveexec_b32 s1, s0
; %bb.34:
	s_delay_alu instid0(VALU_DEP_3) | instskip(SKIP_2) | instid1(VALU_DEP_2)
	v_add_co_u32 v5, vcc_lo, v21, v1
	s_wait_alu 0xfffd
	v_add_co_ci_u32_e64 v2, null, 0, v22, vcc_lo
	v_add_co_u32 v1, vcc_lo, 0, v5
	s_wait_alu 0xfffd
	s_delay_alu instid0(VALU_DEP_2) | instskip(NEXT) | instid1(VALU_DEP_1)
	v_add_co_ci_u32_e64 v2, null, v6, v2, vcc_lo
	v_dual_mov_b32 v4, v2 :: v_dual_mov_b32 v3, v1
; %bb.35:
	s_wait_alu 0xfffe
	s_or_b32 exec_lo, exec_lo, s1
	v_mov_b32_dpp v1, v5 row_shr:2 row_mask:0xf bank_mask:0xf
	v_mov_b32_dpp v6, v2 row_shr:2 row_mask:0xf bank_mask:0xf
	s_mov_b32 s1, exec_lo
	v_cmpx_lt_u32_e32 1, v48
; %bb.36:
	s_delay_alu instid0(VALU_DEP_3) | instskip(SKIP_2) | instid1(VALU_DEP_2)
	v_add_co_u32 v5, vcc_lo, v3, v1
	s_wait_alu 0xfffd
	v_add_co_ci_u32_e64 v2, null, 0, v4, vcc_lo
	v_add_co_u32 v1, vcc_lo, 0, v5
	s_wait_alu 0xfffd
	s_delay_alu instid0(VALU_DEP_2) | instskip(NEXT) | instid1(VALU_DEP_1)
	v_add_co_ci_u32_e64 v2, null, v6, v2, vcc_lo
	v_dual_mov_b32 v4, v2 :: v_dual_mov_b32 v3, v1
; %bb.37:
	s_wait_alu 0xfffe
	s_or_b32 exec_lo, exec_lo, s1
	v_mov_b32_dpp v1, v5 row_shr:4 row_mask:0xf bank_mask:0xf
	v_mov_b32_dpp v6, v2 row_shr:4 row_mask:0xf bank_mask:0xf
	s_mov_b32 s1, exec_lo
	v_cmpx_lt_u32_e32 3, v48
	;; [unrolled: 17-line block ×3, first 2 shown]
; %bb.40:
	s_delay_alu instid0(VALU_DEP_3) | instskip(SKIP_2) | instid1(VALU_DEP_2)
	v_add_co_u32 v5, vcc_lo, v3, v6
	s_wait_alu 0xfffd
	v_add_co_ci_u32_e64 v2, null, 0, v4, vcc_lo
	v_add_co_u32 v3, vcc_lo, 0, v5
	s_wait_alu 0xfffd
	s_delay_alu instid0(VALU_DEP_2) | instskip(NEXT) | instid1(VALU_DEP_1)
	v_add_co_ci_u32_e64 v4, null, v1, v2, vcc_lo
	v_mov_b32_e32 v2, v4
; %bb.41:
	s_wait_alu 0xfffe
	s_or_b32 exec_lo, exec_lo, s1
	ds_swizzle_b32 v1, v5 offset:swizzle(BROADCAST,32,15)
	ds_swizzle_b32 v6, v2 offset:swizzle(BROADCAST,32,15)
	v_and_b32_e32 v7, 16, v47
	s_mov_b32 s1, exec_lo
	s_delay_alu instid0(VALU_DEP_1)
	v_cmpx_ne_u32_e32 0, v7
	s_cbranch_execz .LBB1430_43
; %bb.42:
	s_wait_dscnt 0x1
	v_add_co_u32 v5, vcc_lo, v3, v1
	s_wait_alu 0xfffd
	v_add_co_ci_u32_e64 v2, null, 0, v4, vcc_lo
	s_delay_alu instid0(VALU_DEP_2) | instskip(SKIP_2) | instid1(VALU_DEP_2)
	v_add_co_u32 v1, vcc_lo, 0, v5
	s_wait_dscnt 0x0
	s_wait_alu 0xfffd
	v_add_co_ci_u32_e64 v2, null, v6, v2, vcc_lo
	s_delay_alu instid0(VALU_DEP_1)
	v_dual_mov_b32 v4, v2 :: v_dual_mov_b32 v3, v1
.LBB1430_43:
	s_wait_alu 0xfffe
	s_or_b32 exec_lo, exec_lo, s1
	s_wait_dscnt 0x1
	v_and_b32_e32 v1, 0xe0, v0
	s_mov_b32 s1, exec_lo
	s_delay_alu instid0(VALU_DEP_1) | instskip(NEXT) | instid1(VALU_DEP_1)
	v_min_u32_e32 v1, 0xa0, v1
	v_or_b32_e32 v1, 31, v1
	s_delay_alu instid0(VALU_DEP_1)
	v_cmpx_eq_u32_e64 v0, v1
; %bb.44:
	v_lshlrev_b32_e32 v1, 3, v37
	ds_store_b64 v1, v[3:4]
; %bb.45:
	s_wait_alu 0xfffe
	s_or_b32 exec_lo, exec_lo, s1
	s_delay_alu instid0(SALU_CYCLE_1)
	s_mov_b32 s1, exec_lo
	s_wait_loadcnt_dscnt 0x0
	s_barrier_signal -1
	s_barrier_wait -1
	global_inv scope:SCOPE_SE
	v_cmpx_gt_u32_e32 6, v0
	s_cbranch_execz .LBB1430_53
; %bb.46:
	ds_load_b64 v[3:4], v40
	v_and_b32_e32 v1, 7, v47
	s_mov_b32 s3, exec_lo
	s_wait_dscnt 0x0
	v_mov_b32_dpp v8, v3 row_shr:1 row_mask:0xf bank_mask:0xf
	v_mov_b32_dpp v7, v4 row_shr:1 row_mask:0xf bank_mask:0xf
	v_mov_b32_e32 v6, v3
	v_cmpx_ne_u32_e32 0, v1
; %bb.47:
	s_delay_alu instid0(VALU_DEP_4) | instskip(SKIP_2) | instid1(VALU_DEP_2)
	v_add_co_u32 v6, vcc_lo, v3, v8
	s_wait_alu 0xfffd
	v_add_co_ci_u32_e64 v4, null, 0, v4, vcc_lo
	v_add_co_u32 v3, vcc_lo, 0, v6
	s_wait_alu 0xfffd
	s_delay_alu instid0(VALU_DEP_2)
	v_add_co_ci_u32_e64 v4, null, v7, v4, vcc_lo
; %bb.48:
	s_wait_alu 0xfffe
	s_or_b32 exec_lo, exec_lo, s3
	v_mov_b32_dpp v8, v6 row_shr:2 row_mask:0xf bank_mask:0xf
	s_delay_alu instid0(VALU_DEP_2)
	v_mov_b32_dpp v7, v4 row_shr:2 row_mask:0xf bank_mask:0xf
	s_mov_b32 s3, exec_lo
	v_cmpx_lt_u32_e32 1, v1
; %bb.49:
	s_delay_alu instid0(VALU_DEP_3) | instskip(SKIP_2) | instid1(VALU_DEP_2)
	v_add_co_u32 v6, vcc_lo, v3, v8
	s_wait_alu 0xfffd
	v_add_co_ci_u32_e64 v4, null, 0, v4, vcc_lo
	v_add_co_u32 v3, vcc_lo, 0, v6
	s_wait_alu 0xfffd
	s_delay_alu instid0(VALU_DEP_2)
	v_add_co_ci_u32_e64 v4, null, v7, v4, vcc_lo
; %bb.50:
	s_wait_alu 0xfffe
	s_or_b32 exec_lo, exec_lo, s3
	v_mov_b32_dpp v7, v6 row_shr:4 row_mask:0xf bank_mask:0xf
	s_delay_alu instid0(VALU_DEP_2)
	v_mov_b32_dpp v6, v4 row_shr:4 row_mask:0xf bank_mask:0xf
	s_mov_b32 s3, exec_lo
	v_cmpx_lt_u32_e32 3, v1
; %bb.51:
	s_delay_alu instid0(VALU_DEP_3) | instskip(SKIP_2) | instid1(VALU_DEP_2)
	v_add_co_u32 v1, vcc_lo, v3, v7
	s_wait_alu 0xfffd
	v_add_co_ci_u32_e64 v4, null, 0, v4, vcc_lo
	v_add_co_u32 v3, vcc_lo, v1, 0
	s_wait_alu 0xfffd
	s_delay_alu instid0(VALU_DEP_2)
	v_add_co_ci_u32_e64 v4, null, v4, v6, vcc_lo
; %bb.52:
	s_wait_alu 0xfffe
	s_or_b32 exec_lo, exec_lo, s3
	ds_store_b64 v40, v[3:4]
.LBB1430_53:
	s_wait_alu 0xfffe
	s_or_b32 exec_lo, exec_lo, s1
	s_delay_alu instid0(SALU_CYCLE_1)
	s_mov_b32 s3, exec_lo
	v_cmp_gt_u32_e32 vcc_lo, 32, v0
	s_wait_loadcnt_dscnt 0x0
	s_barrier_signal -1
	s_barrier_wait -1
	global_inv scope:SCOPE_SE
                                        ; implicit-def: $vgpr23_vgpr24
	v_cmpx_lt_u32_e32 31, v0
	s_cbranch_execz .LBB1430_55
; %bb.54:
	v_lshl_add_u32 v1, v37, 3, -8
	ds_load_b64 v[23:24], v1
	s_wait_dscnt 0x0
	v_add_co_u32 v5, s1, v5, v23
	s_wait_alu 0xf1ff
	v_add_co_ci_u32_e64 v2, null, v2, v24, s1
.LBB1430_55:
	s_wait_alu 0xfffe
	s_or_b32 exec_lo, exec_lo, s3
	v_sub_co_u32 v1, s1, v47, 1
	s_delay_alu instid0(VALU_DEP_1) | instskip(SKIP_1) | instid1(VALU_DEP_1)
	v_cmp_gt_i32_e64 s3, 0, v1
	s_wait_alu 0xf1ff
	v_cndmask_b32_e64 v1, v1, v47, s3
	s_delay_alu instid0(VALU_DEP_1)
	v_lshlrev_b32_e32 v1, 2, v1
	ds_bpermute_b32 v29, v1, v5
	ds_bpermute_b32 v30, v1, v2
	s_and_saveexec_b32 s3, vcc_lo
	s_cbranch_execz .LBB1430_94
; %bb.56:
	v_mov_b32_e32 v4, 0
	ds_load_b64 v[1:2], v4 offset:40
	s_and_saveexec_b32 s6, s1
	s_cbranch_execz .LBB1430_58
; %bb.57:
	s_add_co_i32 s8, s20, 32
	s_mov_b32 s9, 0
	s_wait_alu 0xfffe
	s_lshl_b64 s[8:9], s[8:9], 4
	s_wait_alu 0xfffe
	s_add_nc_u64 s[8:9], s[14:15], s[8:9]
	v_mov_b32_e32 v3, 1
	s_wait_alu 0xfffe
	v_dual_mov_b32 v5, s8 :: v_dual_mov_b32 v6, s9
	s_wait_dscnt 0x0
	;;#ASMSTART
	global_store_b128 v[5:6], v[1:4] off scope:SCOPE_DEV	
s_wait_storecnt 0x0
	;;#ASMEND
.LBB1430_58:
	s_wait_alu 0xfffe
	s_or_b32 exec_lo, exec_lo, s6
	v_xad_u32 v25, v47, -1, s20
	s_mov_b32 s7, 0
	s_mov_b32 s6, exec_lo
	s_delay_alu instid0(VALU_DEP_1) | instskip(NEXT) | instid1(VALU_DEP_1)
	v_add_nc_u32_e32 v3, 32, v25
	v_lshlrev_b64_e32 v[3:4], 4, v[3:4]
	s_delay_alu instid0(VALU_DEP_1) | instskip(SKIP_1) | instid1(VALU_DEP_2)
	v_add_co_u32 v3, vcc_lo, s14, v3
	s_wait_alu 0xfffd
	v_add_co_ci_u32_e64 v4, null, s15, v4, vcc_lo
	;;#ASMSTART
	global_load_b128 v[5:8], v[3:4] off scope:SCOPE_DEV	
s_wait_loadcnt 0x0
	;;#ASMEND
	v_and_b32_e32 v8, 0xff, v7
	s_delay_alu instid0(VALU_DEP_1)
	v_cmpx_eq_u16_e32 0, v8
	s_cbranch_execz .LBB1430_61
.LBB1430_59:                            ; =>This Inner Loop Header: Depth=1
	;;#ASMSTART
	global_load_b128 v[5:8], v[3:4] off scope:SCOPE_DEV	
s_wait_loadcnt 0x0
	;;#ASMEND
	v_and_b32_e32 v8, 0xff, v7
	s_delay_alu instid0(VALU_DEP_1)
	v_cmp_ne_u16_e32 vcc_lo, 0, v8
	s_wait_alu 0xfffe
	s_or_b32 s7, vcc_lo, s7
	s_wait_alu 0xfffe
	s_and_not1_b32 exec_lo, exec_lo, s7
	s_cbranch_execnz .LBB1430_59
; %bb.60:
	s_or_b32 exec_lo, exec_lo, s7
.LBB1430_61:
	s_wait_alu 0xfffe
	s_or_b32 exec_lo, exec_lo, s6
	v_cmp_ne_u32_e32 vcc_lo, 31, v47
	v_and_b32_e32 v4, 0xff, v7
	v_lshlrev_b32_e64 v32, v47, -1
	s_mov_b32 s6, exec_lo
	s_wait_alu 0xfffd
	v_add_co_ci_u32_e64 v3, null, 0, v47, vcc_lo
	v_cmp_eq_u16_e32 vcc_lo, 2, v4
	s_delay_alu instid0(VALU_DEP_2)
	v_dual_mov_b32 v4, v5 :: v_dual_lshlrev_b32 v31, 2, v3
	s_wait_alu 0xfffd
	v_and_or_b32 v3, vcc_lo, v32, 0x80000000
	ds_bpermute_b32 v26, v31, v5
	ds_bpermute_b32 v8, v31, v6
	v_ctz_i32_b32_e32 v3, v3
	s_delay_alu instid0(VALU_DEP_1)
	v_cmpx_lt_u32_e64 v47, v3
	s_cbranch_execz .LBB1430_63
; %bb.62:
	s_wait_dscnt 0x1
	v_add_co_u32 v4, vcc_lo, v5, v26
	s_wait_alu 0xfffd
	v_add_co_ci_u32_e64 v6, null, 0, v6, vcc_lo
	s_delay_alu instid0(VALU_DEP_2) | instskip(SKIP_2) | instid1(VALU_DEP_2)
	v_add_co_u32 v5, vcc_lo, 0, v4
	s_wait_dscnt 0x0
	s_wait_alu 0xfffd
	v_add_co_ci_u32_e64 v6, null, v8, v6, vcc_lo
.LBB1430_63:
	s_wait_alu 0xfffe
	s_or_b32 exec_lo, exec_lo, s6
	v_cmp_gt_u32_e32 vcc_lo, 30, v47
	v_add_nc_u32_e32 v34, 2, v47
	s_mov_b32 s6, exec_lo
	s_wait_dscnt 0x0
	s_wait_alu 0xfffd
	v_cndmask_b32_e64 v8, 0, 2, vcc_lo
	s_delay_alu instid0(VALU_DEP_1)
	v_add_lshl_u32 v33, v8, v47, 2
	ds_bpermute_b32 v26, v33, v4
	ds_bpermute_b32 v8, v33, v6
	v_cmpx_le_u32_e64 v34, v3
	s_cbranch_execz .LBB1430_65
; %bb.64:
	s_wait_dscnt 0x1
	v_add_co_u32 v4, vcc_lo, v5, v26
	s_wait_alu 0xfffd
	v_add_co_ci_u32_e64 v6, null, 0, v6, vcc_lo
	s_delay_alu instid0(VALU_DEP_2) | instskip(SKIP_2) | instid1(VALU_DEP_2)
	v_add_co_u32 v5, vcc_lo, 0, v4
	s_wait_dscnt 0x0
	s_wait_alu 0xfffd
	v_add_co_ci_u32_e64 v6, null, v8, v6, vcc_lo
.LBB1430_65:
	s_wait_alu 0xfffe
	s_or_b32 exec_lo, exec_lo, s6
	v_cmp_gt_u32_e32 vcc_lo, 28, v47
	v_add_nc_u32_e32 v36, 4, v47
	s_mov_b32 s6, exec_lo
	s_wait_dscnt 0x0
	s_wait_alu 0xfffd
	v_cndmask_b32_e64 v8, 0, 4, vcc_lo
	s_delay_alu instid0(VALU_DEP_1)
	v_add_lshl_u32 v35, v8, v47, 2
	ds_bpermute_b32 v26, v35, v4
	ds_bpermute_b32 v8, v35, v6
	v_cmpx_le_u32_e64 v36, v3
	;; [unrolled: 25-line block ×3, first 2 shown]
	s_cbranch_execz .LBB1430_69
; %bb.68:
	s_wait_dscnt 0x1
	v_add_co_u32 v4, vcc_lo, v5, v26
	s_wait_alu 0xfffd
	v_add_co_ci_u32_e64 v6, null, 0, v6, vcc_lo
	s_delay_alu instid0(VALU_DEP_2) | instskip(SKIP_2) | instid1(VALU_DEP_2)
	v_add_co_u32 v5, vcc_lo, 0, v4
	s_wait_dscnt 0x0
	s_wait_alu 0xfffd
	v_add_co_ci_u32_e64 v6, null, v8, v6, vcc_lo
.LBB1430_69:
	s_wait_alu 0xfffe
	s_or_b32 exec_lo, exec_lo, s6
	v_lshl_or_b32 v51, v47, 2, 64
	v_add_nc_u32_e32 v52, 16, v47
	s_mov_b32 s6, exec_lo
	s_wait_dscnt 0x0
	ds_bpermute_b32 v8, v51, v4
	ds_bpermute_b32 v4, v51, v6
	v_cmpx_le_u32_e64 v52, v3
	s_cbranch_execz .LBB1430_71
; %bb.70:
	s_wait_dscnt 0x1
	v_add_co_u32 v3, vcc_lo, v5, v8
	s_wait_alu 0xfffd
	v_add_co_ci_u32_e64 v6, null, 0, v6, vcc_lo
	s_delay_alu instid0(VALU_DEP_2) | instskip(SKIP_2) | instid1(VALU_DEP_2)
	v_add_co_u32 v5, vcc_lo, v3, 0
	s_wait_dscnt 0x0
	s_wait_alu 0xfffd
	v_add_co_ci_u32_e64 v6, null, v6, v4, vcc_lo
.LBB1430_71:
	s_wait_alu 0xfffe
	s_or_b32 exec_lo, exec_lo, s6
	v_mov_b32_e32 v26, 0
	s_branch .LBB1430_74
.LBB1430_72:                            ;   in Loop: Header=BB1430_74 Depth=1
	s_wait_alu 0xfffe
	s_or_b32 exec_lo, exec_lo, s6
	v_add_co_u32 v5, vcc_lo, v5, v3
	v_subrev_nc_u32_e32 v25, 32, v25
	s_wait_alu 0xfffd
	v_add_co_ci_u32_e64 v6, null, v6, v4, vcc_lo
	s_mov_b32 s6, 0
.LBB1430_73:                            ;   in Loop: Header=BB1430_74 Depth=1
	s_wait_alu 0xfffe
	s_and_b32 vcc_lo, exec_lo, s6
	s_wait_alu 0xfffe
	s_cbranch_vccnz .LBB1430_90
.LBB1430_74:                            ; =>This Loop Header: Depth=1
                                        ;     Child Loop BB1430_77 Depth 2
	v_and_b32_e32 v3, 0xff, v7
	s_mov_b32 s6, -1
	s_delay_alu instid0(VALU_DEP_1)
	v_cmp_ne_u16_e32 vcc_lo, 2, v3
	s_wait_dscnt 0x0
	v_dual_mov_b32 v3, v5 :: v_dual_mov_b32 v4, v6
                                        ; implicit-def: $vgpr5_vgpr6
	s_cmp_lg_u32 vcc_lo, exec_lo
	s_cbranch_scc1 .LBB1430_73
; %bb.75:                               ;   in Loop: Header=BB1430_74 Depth=1
	v_lshlrev_b64_e32 v[5:6], 4, v[25:26]
	s_mov_b32 s6, exec_lo
	s_delay_alu instid0(VALU_DEP_1) | instskip(SKIP_1) | instid1(VALU_DEP_2)
	v_add_co_u32 v27, vcc_lo, s14, v5
	s_wait_alu 0xfffd
	v_add_co_ci_u32_e64 v28, null, s15, v6, vcc_lo
	;;#ASMSTART
	global_load_b128 v[5:8], v[27:28] off scope:SCOPE_DEV	
s_wait_loadcnt 0x0
	;;#ASMEND
	v_and_b32_e32 v8, 0xff, v7
	s_delay_alu instid0(VALU_DEP_1)
	v_cmpx_eq_u16_e32 0, v8
	s_cbranch_execz .LBB1430_79
; %bb.76:                               ;   in Loop: Header=BB1430_74 Depth=1
	s_mov_b32 s7, 0
.LBB1430_77:                            ;   Parent Loop BB1430_74 Depth=1
                                        ; =>  This Inner Loop Header: Depth=2
	;;#ASMSTART
	global_load_b128 v[5:8], v[27:28] off scope:SCOPE_DEV	
s_wait_loadcnt 0x0
	;;#ASMEND
	v_and_b32_e32 v8, 0xff, v7
	s_delay_alu instid0(VALU_DEP_1)
	v_cmp_ne_u16_e32 vcc_lo, 0, v8
	s_wait_alu 0xfffe
	s_or_b32 s7, vcc_lo, s7
	s_wait_alu 0xfffe
	s_and_not1_b32 exec_lo, exec_lo, s7
	s_cbranch_execnz .LBB1430_77
; %bb.78:                               ;   in Loop: Header=BB1430_74 Depth=1
	s_or_b32 exec_lo, exec_lo, s7
.LBB1430_79:                            ;   in Loop: Header=BB1430_74 Depth=1
	s_wait_alu 0xfffe
	s_or_b32 exec_lo, exec_lo, s6
	v_dual_mov_b32 v27, v5 :: v_dual_and_b32 v8, 0xff, v7
	ds_bpermute_b32 v53, v31, v5
	ds_bpermute_b32 v28, v31, v6
	s_mov_b32 s6, exec_lo
	v_cmp_eq_u16_e32 vcc_lo, 2, v8
	s_wait_alu 0xfffd
	v_and_or_b32 v8, vcc_lo, v32, 0x80000000
	s_delay_alu instid0(VALU_DEP_1) | instskip(NEXT) | instid1(VALU_DEP_1)
	v_ctz_i32_b32_e32 v8, v8
	v_cmpx_lt_u32_e64 v47, v8
	s_cbranch_execz .LBB1430_81
; %bb.80:                               ;   in Loop: Header=BB1430_74 Depth=1
	s_wait_dscnt 0x1
	v_add_co_u32 v27, vcc_lo, v5, v53
	s_wait_alu 0xfffd
	v_add_co_ci_u32_e64 v6, null, 0, v6, vcc_lo
	s_delay_alu instid0(VALU_DEP_2) | instskip(SKIP_2) | instid1(VALU_DEP_2)
	v_add_co_u32 v5, vcc_lo, 0, v27
	s_wait_dscnt 0x0
	s_wait_alu 0xfffd
	v_add_co_ci_u32_e64 v6, null, v28, v6, vcc_lo
.LBB1430_81:                            ;   in Loop: Header=BB1430_74 Depth=1
	s_wait_alu 0xfffe
	s_or_b32 exec_lo, exec_lo, s6
	s_wait_dscnt 0x1
	ds_bpermute_b32 v53, v33, v27
	s_wait_dscnt 0x1
	ds_bpermute_b32 v28, v33, v6
	s_mov_b32 s6, exec_lo
	v_cmpx_le_u32_e64 v34, v8
	s_cbranch_execz .LBB1430_83
; %bb.82:                               ;   in Loop: Header=BB1430_74 Depth=1
	s_wait_dscnt 0x1
	v_add_co_u32 v27, vcc_lo, v5, v53
	s_wait_alu 0xfffd
	v_add_co_ci_u32_e64 v6, null, 0, v6, vcc_lo
	s_delay_alu instid0(VALU_DEP_2) | instskip(SKIP_2) | instid1(VALU_DEP_2)
	v_add_co_u32 v5, vcc_lo, 0, v27
	s_wait_dscnt 0x0
	s_wait_alu 0xfffd
	v_add_co_ci_u32_e64 v6, null, v28, v6, vcc_lo
.LBB1430_83:                            ;   in Loop: Header=BB1430_74 Depth=1
	s_wait_alu 0xfffe
	s_or_b32 exec_lo, exec_lo, s6
	s_wait_dscnt 0x1
	ds_bpermute_b32 v53, v35, v27
	s_wait_dscnt 0x1
	ds_bpermute_b32 v28, v35, v6
	s_mov_b32 s6, exec_lo
	v_cmpx_le_u32_e64 v36, v8
	;; [unrolled: 20-line block ×3, first 2 shown]
	s_cbranch_execz .LBB1430_87
; %bb.86:                               ;   in Loop: Header=BB1430_74 Depth=1
	s_wait_dscnt 0x1
	v_add_co_u32 v27, vcc_lo, v5, v53
	s_wait_alu 0xfffd
	v_add_co_ci_u32_e64 v6, null, 0, v6, vcc_lo
	s_delay_alu instid0(VALU_DEP_2) | instskip(SKIP_2) | instid1(VALU_DEP_2)
	v_add_co_u32 v5, vcc_lo, 0, v27
	s_wait_dscnt 0x0
	s_wait_alu 0xfffd
	v_add_co_ci_u32_e64 v6, null, v28, v6, vcc_lo
.LBB1430_87:                            ;   in Loop: Header=BB1430_74 Depth=1
	s_wait_alu 0xfffe
	s_or_b32 exec_lo, exec_lo, s6
	s_wait_dscnt 0x0
	ds_bpermute_b32 v28, v51, v27
	ds_bpermute_b32 v27, v51, v6
	s_mov_b32 s6, exec_lo
	v_cmpx_le_u32_e64 v52, v8
	s_cbranch_execz .LBB1430_72
; %bb.88:                               ;   in Loop: Header=BB1430_74 Depth=1
	s_wait_dscnt 0x1
	v_add_co_u32 v5, vcc_lo, v5, v28
	s_wait_alu 0xfffd
	v_add_co_ci_u32_e64 v6, null, 0, v6, vcc_lo
	s_delay_alu instid0(VALU_DEP_2) | instskip(SKIP_2) | instid1(VALU_DEP_2)
	v_add_co_u32 v5, vcc_lo, v5, 0
	s_wait_dscnt 0x0
	s_wait_alu 0xfffd
	v_add_co_ci_u32_e64 v6, null, v6, v27, vcc_lo
	s_branch .LBB1430_72
.LBB1430_89:
                                        ; implicit-def: $vgpr23_vgpr24
                                        ; implicit-def: $vgpr6_vgpr7
                                        ; implicit-def: $vgpr25_vgpr26
                                        ; implicit-def: $vgpr27_vgpr28
                                        ; implicit-def: $vgpr29_vgpr30
                                        ; implicit-def: $vgpr31_vgpr32
                                        ; implicit-def: $vgpr33_vgpr34
                                        ; implicit-def: $vgpr35_vgpr36
                                        ; implicit-def: $vgpr4_vgpr5
	s_wait_alu 0xfffe
	s_and_b32 vcc_lo, exec_lo, s1
	s_wait_alu 0xfffe
	s_cbranch_vccnz .LBB1430_95
	s_branch .LBB1430_120
.LBB1430_90:
	s_and_saveexec_b32 s6, s1
	s_cbranch_execz .LBB1430_92
; %bb.91:
	s_add_co_i32 s8, s20, 32
	s_mov_b32 s9, 0
	v_add_co_u32 v5, vcc_lo, v3, v1
	s_wait_alu 0xfffe
	s_lshl_b64 s[8:9], s[8:9], 4
	v_dual_mov_b32 v7, 2 :: v_dual_mov_b32 v8, 0
	s_wait_alu 0xfffe
	s_add_nc_u64 s[8:9], s[14:15], s[8:9]
	s_wait_alu 0xfffd
	v_add_co_ci_u32_e64 v6, null, v4, v2, vcc_lo
	s_wait_alu 0xfffe
	v_dual_mov_b32 v26, s9 :: v_dual_mov_b32 v25, s8
	;;#ASMSTART
	global_store_b128 v[25:26], v[5:8] off scope:SCOPE_DEV	
s_wait_storecnt 0x0
	;;#ASMEND
	ds_store_b128 v8, v[1:4] offset:6336
.LBB1430_92:
	s_wait_alu 0xfffe
	s_or_b32 exec_lo, exec_lo, s6
	s_delay_alu instid0(SALU_CYCLE_1)
	s_and_b32 exec_lo, exec_lo, s2
; %bb.93:
	v_mov_b32_e32 v1, 0
	ds_store_b64 v1, v[3:4] offset:40
.LBB1430_94:
	s_wait_alu 0xfffe
	s_or_b32 exec_lo, exec_lo, s3
	v_mov_b32_e32 v3, 0
	s_wait_loadcnt_dscnt 0x0
	s_barrier_signal -1
	s_barrier_wait -1
	global_inv scope:SCOPE_SE
	ds_load_b64 v[1:2], v3 offset:40
	v_cndmask_b32_e64 v4, v29, v23, s1
	v_cndmask_b32_e64 v5, v30, v24, s1
	s_wait_loadcnt_dscnt 0x0
	s_barrier_signal -1
	s_barrier_wait -1
	v_cndmask_b32_e64 v4, v4, 0, s2
	v_cndmask_b32_e64 v5, v5, 0, s2
	global_inv scope:SCOPE_SE
	v_add_co_u32 v35, vcc_lo, v1, v4
	s_wait_alu 0xfffd
	v_add_co_ci_u32_e64 v36, null, v2, v5, vcc_lo
	ds_load_b128 v[2:5], v3 offset:6336
	v_add_co_u32 v33, vcc_lo, v35, v43
	s_wait_alu 0xfffd
	v_add_co_ci_u32_e64 v34, null, 0, v36, vcc_lo
	s_delay_alu instid0(VALU_DEP_2) | instskip(SKIP_1) | instid1(VALU_DEP_2)
	v_add_co_u32 v31, vcc_lo, v33, v42
	s_wait_alu 0xfffd
	v_add_co_ci_u32_e64 v32, null, 0, v34, vcc_lo
	s_delay_alu instid0(VALU_DEP_2) | instskip(SKIP_1) | instid1(VALU_DEP_2)
	;; [unrolled: 4-line block ×6, first 2 shown]
	v_add_co_u32 v23, vcc_lo, v6, v44
	s_wait_alu 0xfffd
	v_add_co_ci_u32_e64 v24, null, 0, v7, vcc_lo
	s_branch .LBB1430_120
.LBB1430_95:
	s_wait_dscnt 0x0
	v_dual_mov_b32 v2, 0 :: v_dual_mov_b32 v3, v21
	v_mov_b32_dpp v4, v21 row_shr:1 row_mask:0xf bank_mask:0xf
	s_delay_alu instid0(VALU_DEP_2)
	v_mov_b32_dpp v1, v2 row_shr:1 row_mask:0xf bank_mask:0xf
	s_and_saveexec_b32 s1, s0
; %bb.96:
	s_delay_alu instid0(VALU_DEP_2) | instskip(SKIP_2) | instid1(VALU_DEP_2)
	v_add_co_u32 v3, vcc_lo, v21, v4
	s_wait_alu 0xfffd
	v_add_co_ci_u32_e64 v2, null, 0, v22, vcc_lo
	v_add_co_u32 v21, vcc_lo, 0, v3
	s_wait_alu 0xfffd
	s_delay_alu instid0(VALU_DEP_2) | instskip(NEXT) | instid1(VALU_DEP_1)
	v_add_co_ci_u32_e64 v22, null, v1, v2, vcc_lo
	v_mov_b32_e32 v2, v22
; %bb.97:
	s_wait_alu 0xfffe
	s_or_b32 exec_lo, exec_lo, s1
	v_mov_b32_dpp v1, v3 row_shr:2 row_mask:0xf bank_mask:0xf
	s_delay_alu instid0(VALU_DEP_2)
	v_mov_b32_dpp v4, v2 row_shr:2 row_mask:0xf bank_mask:0xf
	s_mov_b32 s0, exec_lo
	v_cmpx_lt_u32_e32 1, v48
; %bb.98:
	s_delay_alu instid0(VALU_DEP_3) | instskip(SKIP_2) | instid1(VALU_DEP_2)
	v_add_co_u32 v3, vcc_lo, v21, v1
	s_wait_alu 0xfffd
	v_add_co_ci_u32_e64 v2, null, 0, v22, vcc_lo
	v_add_co_u32 v1, vcc_lo, 0, v3
	s_wait_alu 0xfffd
	s_delay_alu instid0(VALU_DEP_2) | instskip(NEXT) | instid1(VALU_DEP_1)
	v_add_co_ci_u32_e64 v2, null, v4, v2, vcc_lo
	v_dual_mov_b32 v22, v2 :: v_dual_mov_b32 v21, v1
; %bb.99:
	s_wait_alu 0xfffe
	s_or_b32 exec_lo, exec_lo, s0
	v_mov_b32_dpp v1, v3 row_shr:4 row_mask:0xf bank_mask:0xf
	v_mov_b32_dpp v4, v2 row_shr:4 row_mask:0xf bank_mask:0xf
	s_mov_b32 s0, exec_lo
	v_cmpx_lt_u32_e32 3, v48
; %bb.100:
	s_delay_alu instid0(VALU_DEP_3) | instskip(SKIP_2) | instid1(VALU_DEP_2)
	v_add_co_u32 v3, vcc_lo, v21, v1
	s_wait_alu 0xfffd
	v_add_co_ci_u32_e64 v2, null, 0, v22, vcc_lo
	v_add_co_u32 v1, vcc_lo, 0, v3
	s_wait_alu 0xfffd
	s_delay_alu instid0(VALU_DEP_2) | instskip(NEXT) | instid1(VALU_DEP_1)
	v_add_co_ci_u32_e64 v2, null, v4, v2, vcc_lo
	v_dual_mov_b32 v22, v2 :: v_dual_mov_b32 v21, v1
; %bb.101:
	s_wait_alu 0xfffe
	s_or_b32 exec_lo, exec_lo, s0
	v_mov_b32_dpp v4, v3 row_shr:8 row_mask:0xf bank_mask:0xf
	v_mov_b32_dpp v1, v2 row_shr:8 row_mask:0xf bank_mask:0xf
	s_mov_b32 s0, exec_lo
	v_cmpx_lt_u32_e32 7, v48
; %bb.102:
	s_delay_alu instid0(VALU_DEP_3) | instskip(SKIP_2) | instid1(VALU_DEP_2)
	v_add_co_u32 v3, vcc_lo, v21, v4
	s_wait_alu 0xfffd
	v_add_co_ci_u32_e64 v2, null, 0, v22, vcc_lo
	v_add_co_u32 v21, vcc_lo, 0, v3
	s_wait_alu 0xfffd
	s_delay_alu instid0(VALU_DEP_2) | instskip(NEXT) | instid1(VALU_DEP_1)
	v_add_co_ci_u32_e64 v22, null, v1, v2, vcc_lo
	v_mov_b32_e32 v2, v22
; %bb.103:
	s_wait_alu 0xfffe
	s_or_b32 exec_lo, exec_lo, s0
	ds_swizzle_b32 v3, v3 offset:swizzle(BROADCAST,32,15)
	ds_swizzle_b32 v1, v2 offset:swizzle(BROADCAST,32,15)
	v_and_b32_e32 v2, 16, v47
	s_mov_b32 s0, exec_lo
	s_delay_alu instid0(VALU_DEP_1)
	v_cmpx_ne_u32_e32 0, v2
	s_cbranch_execz .LBB1430_105
; %bb.104:
	s_wait_dscnt 0x1
	v_add_co_u32 v2, vcc_lo, v21, v3
	s_wait_alu 0xfffd
	v_add_co_ci_u32_e64 v3, null, 0, v22, vcc_lo
	s_delay_alu instid0(VALU_DEP_2) | instskip(SKIP_2) | instid1(VALU_DEP_2)
	v_add_co_u32 v21, vcc_lo, v2, 0
	s_wait_dscnt 0x0
	s_wait_alu 0xfffd
	v_add_co_ci_u32_e64 v22, null, v3, v1, vcc_lo
.LBB1430_105:
	s_wait_alu 0xfffe
	s_or_b32 exec_lo, exec_lo, s0
	s_wait_dscnt 0x0
	v_and_b32_e32 v1, 0xe0, v0
	s_mov_b32 s0, exec_lo
	s_delay_alu instid0(VALU_DEP_1) | instskip(NEXT) | instid1(VALU_DEP_1)
	v_min_u32_e32 v1, 0xa0, v1
	v_or_b32_e32 v1, 31, v1
	s_delay_alu instid0(VALU_DEP_1)
	v_cmpx_eq_u32_e64 v0, v1
; %bb.106:
	v_lshlrev_b32_e32 v1, 3, v37
	ds_store_b64 v1, v[21:22]
; %bb.107:
	s_wait_alu 0xfffe
	s_or_b32 exec_lo, exec_lo, s0
	s_delay_alu instid0(SALU_CYCLE_1)
	s_mov_b32 s0, exec_lo
	s_wait_loadcnt_dscnt 0x0
	s_barrier_signal -1
	s_barrier_wait -1
	global_inv scope:SCOPE_SE
	v_cmpx_gt_u32_e32 6, v0
	s_cbranch_execz .LBB1430_115
; %bb.108:
	ds_load_b64 v[1:2], v40
	v_and_b32_e32 v3, 7, v47
	s_mov_b32 s1, exec_lo
	s_wait_dscnt 0x0
	v_mov_b32_dpp v6, v1 row_shr:1 row_mask:0xf bank_mask:0xf
	v_mov_b32_dpp v5, v2 row_shr:1 row_mask:0xf bank_mask:0xf
	v_mov_b32_e32 v4, v1
	v_cmpx_ne_u32_e32 0, v3
; %bb.109:
	s_delay_alu instid0(VALU_DEP_4) | instskip(SKIP_2) | instid1(VALU_DEP_2)
	v_add_co_u32 v4, vcc_lo, v1, v6
	s_wait_alu 0xfffd
	v_add_co_ci_u32_e64 v2, null, 0, v2, vcc_lo
	v_add_co_u32 v1, vcc_lo, 0, v4
	s_wait_alu 0xfffd
	s_delay_alu instid0(VALU_DEP_2)
	v_add_co_ci_u32_e64 v2, null, v5, v2, vcc_lo
; %bb.110:
	s_wait_alu 0xfffe
	s_or_b32 exec_lo, exec_lo, s1
	v_mov_b32_dpp v6, v4 row_shr:2 row_mask:0xf bank_mask:0xf
	s_delay_alu instid0(VALU_DEP_2)
	v_mov_b32_dpp v5, v2 row_shr:2 row_mask:0xf bank_mask:0xf
	s_mov_b32 s1, exec_lo
	v_cmpx_lt_u32_e32 1, v3
; %bb.111:
	s_delay_alu instid0(VALU_DEP_3) | instskip(SKIP_2) | instid1(VALU_DEP_2)
	v_add_co_u32 v4, vcc_lo, v1, v6
	s_wait_alu 0xfffd
	v_add_co_ci_u32_e64 v2, null, 0, v2, vcc_lo
	v_add_co_u32 v1, vcc_lo, 0, v4
	s_wait_alu 0xfffd
	s_delay_alu instid0(VALU_DEP_2)
	v_add_co_ci_u32_e64 v2, null, v5, v2, vcc_lo
; %bb.112:
	s_wait_alu 0xfffe
	s_or_b32 exec_lo, exec_lo, s1
	v_mov_b32_dpp v5, v4 row_shr:4 row_mask:0xf bank_mask:0xf
	s_delay_alu instid0(VALU_DEP_2)
	v_mov_b32_dpp v4, v2 row_shr:4 row_mask:0xf bank_mask:0xf
	s_mov_b32 s1, exec_lo
	v_cmpx_lt_u32_e32 3, v3
; %bb.113:
	s_delay_alu instid0(VALU_DEP_3) | instskip(SKIP_2) | instid1(VALU_DEP_2)
	v_add_co_u32 v1, vcc_lo, v1, v5
	s_wait_alu 0xfffd
	v_add_co_ci_u32_e64 v2, null, 0, v2, vcc_lo
	v_add_co_u32 v1, vcc_lo, v1, 0
	s_wait_alu 0xfffd
	s_delay_alu instid0(VALU_DEP_2)
	v_add_co_ci_u32_e64 v2, null, v2, v4, vcc_lo
; %bb.114:
	s_wait_alu 0xfffe
	s_or_b32 exec_lo, exec_lo, s1
	ds_store_b64 v40, v[1:2]
.LBB1430_115:
	s_wait_alu 0xfffe
	s_or_b32 exec_lo, exec_lo, s0
	v_mov_b32_e32 v6, 0
	v_mov_b32_e32 v7, 0
	s_mov_b32 s0, exec_lo
	s_wait_loadcnt_dscnt 0x0
	s_barrier_signal -1
	s_barrier_wait -1
	global_inv scope:SCOPE_SE
	v_cmpx_lt_u32_e32 31, v0
; %bb.116:
	v_lshl_add_u32 v1, v37, 3, -8
	ds_load_b64 v[6:7], v1
; %bb.117:
	s_wait_alu 0xfffe
	s_or_b32 exec_lo, exec_lo, s0
	v_sub_co_u32 v1, vcc_lo, v47, 1
	v_mov_b32_e32 v5, 0
	s_delay_alu instid0(VALU_DEP_2) | instskip(SKIP_1) | instid1(VALU_DEP_1)
	v_cmp_gt_i32_e64 s0, 0, v1
	s_wait_alu 0xf1ff
	v_cndmask_b32_e64 v1, v1, v47, s0
	s_delay_alu instid0(VALU_DEP_1)
	v_lshlrev_b32_e32 v2, 2, v1
	s_wait_dscnt 0x0
	v_add_co_u32 v1, s0, v6, v21
	s_wait_alu 0xf1ff
	v_add_co_ci_u32_e64 v3, null, v7, v22, s0
	ds_bpermute_b32 v1, v2, v1
	ds_bpermute_b32 v8, v2, v3
	ds_load_b64 v[2:3], v5 offset:40
	s_and_saveexec_b32 s0, s2
	s_cbranch_execz .LBB1430_119
; %bb.118:
	s_add_nc_u64 s[6:7], s[14:15], 0x200
	v_mov_b32_e32 v4, 2
	s_wait_alu 0xfffe
	v_dual_mov_b32 v22, s7 :: v_dual_mov_b32 v21, s6
	s_wait_dscnt 0x0
	;;#ASMSTART
	global_store_b128 v[21:22], v[2:5] off scope:SCOPE_DEV	
s_wait_storecnt 0x0
	;;#ASMEND
.LBB1430_119:
	s_wait_alu 0xfffe
	s_or_b32 exec_lo, exec_lo, s0
	s_wait_dscnt 0x1
	s_wait_alu 0xfffd
	v_dual_cndmask_b32 v1, v1, v6 :: v_dual_cndmask_b32 v4, v8, v7
	s_wait_loadcnt_dscnt 0x0
	s_barrier_signal -1
	s_barrier_wait -1
	s_delay_alu instid0(VALU_DEP_1)
	v_cndmask_b32_e64 v35, v1, 0, s2
	v_cndmask_b32_e64 v36, v4, 0, s2
	v_mov_b32_e32 v4, 0
	v_mov_b32_e32 v5, 0
	global_inv scope:SCOPE_SE
	v_add_co_u32 v33, vcc_lo, v35, v43
	s_wait_alu 0xfffd
	v_add_co_ci_u32_e64 v34, null, 0, v36, vcc_lo
	s_delay_alu instid0(VALU_DEP_2) | instskip(SKIP_1) | instid1(VALU_DEP_2)
	v_add_co_u32 v31, vcc_lo, v33, v42
	s_wait_alu 0xfffd
	v_add_co_ci_u32_e64 v32, null, 0, v34, vcc_lo
	s_delay_alu instid0(VALU_DEP_2) | instskip(SKIP_1) | instid1(VALU_DEP_2)
	;; [unrolled: 4-line block ×6, first 2 shown]
	v_add_co_u32 v23, vcc_lo, v6, v44
	s_wait_alu 0xfffd
	v_add_co_ci_u32_e64 v24, null, 0, v7, vcc_lo
.LBB1430_120:
	v_lshrrev_b32_e32 v40, 8, v19
	v_lshrrev_b32_e32 v37, 16, v19
	v_and_b32_e32 v19, 1, v19
	s_wait_dscnt 0x0
	v_cmp_gt_u64_e32 vcc_lo, 0xc1, v[2:3]
	v_lshrrev_b32_e32 v8, 8, v20
	v_lshrrev_b32_e32 v1, 16, v20
	s_mov_b32 s1, -1
	v_cmp_eq_u32_e64 s0, 1, v19
	s_cbranch_vccnz .LBB1430_124
; %bb.121:
	s_wait_alu 0xfffe
	s_and_b32 vcc_lo, exec_lo, s1
	s_wait_alu 0xfffe
	s_cbranch_vccnz .LBB1430_141
.LBB1430_122:
	s_and_b32 s0, s2, s18
	s_wait_alu 0xfffe
	s_and_saveexec_b32 s1, s0
	s_cbranch_execnz .LBB1430_161
.LBB1430_123:
	s_endpgm
.LBB1430_124:
	v_add_co_u32 v21, vcc_lo, v4, v2
	s_wait_alu 0xfffd
	v_add_co_ci_u32_e64 v22, null, v5, v3, vcc_lo
	v_lshlrev_b64_e32 v[41:42], 2, v[9:10]
	s_delay_alu instid0(VALU_DEP_2) | instskip(NEXT) | instid1(VALU_DEP_2)
	v_cmp_lt_u64_e32 vcc_lo, v[35:36], v[21:22]
	v_add_co_u32 v41, s1, s12, v41
	s_wait_alu 0xf1fe
	s_delay_alu instid0(VALU_DEP_3)
	v_add_co_ci_u32_e64 v42, null, s13, v42, s1
	s_or_b32 s1, s19, vcc_lo
	s_wait_alu 0xfffe
	s_and_b32 s1, s1, s0
	s_wait_alu 0xfffe
	s_and_saveexec_b32 s0, s1
	s_cbranch_execz .LBB1430_126
; %bb.125:
	v_lshlrev_b64_e32 v[43:44], 2, v[35:36]
	s_delay_alu instid0(VALU_DEP_1) | instskip(SKIP_1) | instid1(VALU_DEP_2)
	v_add_co_u32 v43, vcc_lo, v41, v43
	s_wait_alu 0xfffd
	v_add_co_ci_u32_e64 v44, null, v42, v44, vcc_lo
	global_store_b32 v[43:44], v17, off
.LBB1430_126:
	s_wait_alu 0xfffe
	s_or_b32 exec_lo, exec_lo, s0
	v_and_b32_e32 v36, 1, v40
	v_cmp_lt_u64_e32 vcc_lo, v[33:34], v[21:22]
	s_delay_alu instid0(VALU_DEP_2)
	v_cmp_eq_u32_e64 s0, 1, v36
	s_or_b32 s1, s19, vcc_lo
	s_wait_alu 0xfffe
	s_and_b32 s1, s1, s0
	s_wait_alu 0xfffe
	s_and_saveexec_b32 s0, s1
	s_cbranch_execz .LBB1430_128
; %bb.127:
	v_lshlrev_b64_e32 v[43:44], 2, v[33:34]
	s_delay_alu instid0(VALU_DEP_1) | instskip(SKIP_1) | instid1(VALU_DEP_2)
	v_add_co_u32 v43, vcc_lo, v41, v43
	s_wait_alu 0xfffd
	v_add_co_ci_u32_e64 v44, null, v42, v44, vcc_lo
	global_store_b32 v[43:44], v18, off
.LBB1430_128:
	s_wait_alu 0xfffe
	s_or_b32 exec_lo, exec_lo, s0
	v_and_b32_e32 v34, 1, v37
	v_cmp_lt_u64_e32 vcc_lo, v[31:32], v[21:22]
	s_delay_alu instid0(VALU_DEP_2)
	v_cmp_eq_u32_e64 s0, 1, v34
	;; [unrolled: 20-line block ×7, first 2 shown]
	s_or_b32 s1, s19, vcc_lo
	s_wait_alu 0xfffe
	s_and_b32 s1, s1, s0
	s_wait_alu 0xfffe
	s_and_saveexec_b32 s0, s1
	s_cbranch_execz .LBB1430_140
; %bb.139:
	v_lshlrev_b64_e32 v[21:22], 2, v[23:24]
	s_delay_alu instid0(VALU_DEP_1) | instskip(SKIP_1) | instid1(VALU_DEP_2)
	v_add_co_u32 v21, vcc_lo, v41, v21
	s_wait_alu 0xfffd
	v_add_co_ci_u32_e64 v22, null, v42, v22, vcc_lo
	global_store_b32 v[21:22], v12, off
.LBB1430_140:
	s_wait_alu 0xfffe
	s_or_b32 exec_lo, exec_lo, s0
	s_branch .LBB1430_122
.LBB1430_141:
	s_mov_b32 s0, exec_lo
	v_cmpx_eq_u32_e32 1, v19
; %bb.142:
	v_sub_nc_u32_e32 v7, v35, v4
	s_delay_alu instid0(VALU_DEP_1)
	v_lshlrev_b32_e32 v7, 2, v7
	ds_store_b32 v7, v17
; %bb.143:
	s_wait_alu 0xfffe
	s_or_b32 exec_lo, exec_lo, s0
	v_and_b32_e32 v7, 1, v40
	s_mov_b32 s0, exec_lo
	s_delay_alu instid0(VALU_DEP_1)
	v_cmpx_eq_u32_e32 1, v7
; %bb.144:
	v_sub_nc_u32_e32 v7, v33, v4
	s_delay_alu instid0(VALU_DEP_1)
	v_lshlrev_b32_e32 v7, 2, v7
	ds_store_b32 v7, v18
; %bb.145:
	s_wait_alu 0xfffe
	s_or_b32 exec_lo, exec_lo, s0
	v_and_b32_e32 v7, 1, v37
	s_mov_b32 s0, exec_lo
	s_delay_alu instid0(VALU_DEP_1)
	v_cmpx_eq_u32_e32 1, v7
; %bb.146:
	v_sub_nc_u32_e32 v7, v31, v4
	s_delay_alu instid0(VALU_DEP_1)
	v_lshlrev_b32_e32 v7, 2, v7
	ds_store_b32 v7, v15
; %bb.147:
	s_wait_alu 0xfffe
	s_or_b32 exec_lo, exec_lo, s0
	v_and_b32_e32 v7, 1, v39
	s_mov_b32 s0, exec_lo
	s_delay_alu instid0(VALU_DEP_1)
	v_cmpx_eq_u32_e32 1, v7
; %bb.148:
	v_sub_nc_u32_e32 v7, v29, v4
	s_delay_alu instid0(VALU_DEP_1)
	v_lshlrev_b32_e32 v7, 2, v7
	ds_store_b32 v7, v16
; %bb.149:
	s_wait_alu 0xfffe
	s_or_b32 exec_lo, exec_lo, s0
	v_and_b32_e32 v7, 1, v20
	s_mov_b32 s0, exec_lo
	s_delay_alu instid0(VALU_DEP_1)
	v_cmpx_eq_u32_e32 1, v7
; %bb.150:
	v_sub_nc_u32_e32 v7, v27, v4
	s_delay_alu instid0(VALU_DEP_1)
	v_lshlrev_b32_e32 v7, 2, v7
	ds_store_b32 v7, v13
; %bb.151:
	s_wait_alu 0xfffe
	s_or_b32 exec_lo, exec_lo, s0
	v_and_b32_e32 v7, 1, v8
	s_mov_b32 s0, exec_lo
	s_delay_alu instid0(VALU_DEP_1)
	v_cmpx_eq_u32_e32 1, v7
; %bb.152:
	v_sub_nc_u32_e32 v7, v25, v4
	s_delay_alu instid0(VALU_DEP_1)
	v_lshlrev_b32_e32 v7, 2, v7
	ds_store_b32 v7, v14
; %bb.153:
	s_wait_alu 0xfffe
	s_or_b32 exec_lo, exec_lo, s0
	v_and_b32_e32 v1, 1, v1
	s_mov_b32 s0, exec_lo
	s_delay_alu instid0(VALU_DEP_1)
	v_cmpx_eq_u32_e32 1, v1
; %bb.154:
	v_sub_nc_u32_e32 v1, v6, v4
	s_delay_alu instid0(VALU_DEP_1)
	v_lshlrev_b32_e32 v1, 2, v1
	ds_store_b32 v1, v11
; %bb.155:
	s_wait_alu 0xfffe
	s_or_b32 exec_lo, exec_lo, s0
	v_and_b32_e32 v1, 1, v38
	s_mov_b32 s0, exec_lo
	s_delay_alu instid0(VALU_DEP_1)
	v_cmpx_eq_u32_e32 1, v1
; %bb.156:
	v_sub_nc_u32_e32 v1, v23, v4
	s_delay_alu instid0(VALU_DEP_1)
	v_lshlrev_b32_e32 v1, 2, v1
	ds_store_b32 v1, v12
; %bb.157:
	s_wait_alu 0xfffe
	s_or_b32 exec_lo, exec_lo, s0
	v_mov_b32_e32 v1, 0
	s_mov_b32 s1, exec_lo
	s_wait_storecnt 0x0
	s_wait_loadcnt_dscnt 0x0
	s_barrier_signal -1
	s_barrier_wait -1
	global_inv scope:SCOPE_SE
	v_cmpx_gt_u64_e64 v[2:3], v[0:1]
	s_cbranch_execz .LBB1430_160
; %bb.158:
	v_lshlrev_b64_e32 v[6:7], 2, v[4:5]
	v_lshlrev_b64_e32 v[11:12], 2, v[9:10]
	s_mov_b32 s3, 0
	s_delay_alu instid0(VALU_DEP_2) | instskip(SKIP_1) | instid1(VALU_DEP_3)
	v_add_co_u32 v8, vcc_lo, s12, v6
	s_wait_alu 0xfffd
	v_add_co_ci_u32_e64 v13, null, s13, v7, vcc_lo
	v_dual_mov_b32 v7, v1 :: v_dual_mov_b32 v6, v0
	s_delay_alu instid0(VALU_DEP_3) | instskip(SKIP_1) | instid1(VALU_DEP_3)
	v_add_co_u32 v8, vcc_lo, v8, v11
	s_wait_alu 0xfffd
	v_add_co_ci_u32_e64 v11, null, v13, v12, vcc_lo
	v_add_nc_u32_e32 v0, 0xc0, v0
.LBB1430_159:                           ; =>This Inner Loop Header: Depth=1
	v_lshlrev_b32_e32 v12, 2, v6
	s_delay_alu instid0(VALU_DEP_2)
	v_cmp_le_u64_e32 vcc_lo, v[2:3], v[0:1]
	ds_load_b32 v14, v12
	v_lshlrev_b64_e32 v[12:13], 2, v[6:7]
	v_dual_mov_b32 v7, v1 :: v_dual_mov_b32 v6, v0
	v_add_nc_u32_e32 v0, 0xc0, v0
	s_wait_alu 0xfffe
	s_or_b32 s3, vcc_lo, s3
	s_delay_alu instid0(VALU_DEP_3)
	v_add_co_u32 v12, s0, v8, v12
	s_wait_alu 0xf1ff
	v_add_co_ci_u32_e64 v13, null, v11, v13, s0
	s_wait_dscnt 0x0
	global_store_b32 v[12:13], v14, off
	s_wait_alu 0xfffe
	s_and_not1_b32 exec_lo, exec_lo, s3
	s_cbranch_execnz .LBB1430_159
.LBB1430_160:
	s_wait_alu 0xfffe
	s_or_b32 exec_lo, exec_lo, s1
	s_and_b32 s0, s2, s18
	s_wait_alu 0xfffe
	s_and_saveexec_b32 s1, s0
	s_cbranch_execz .LBB1430_123
.LBB1430_161:
	v_add_co_u32 v0, vcc_lo, v4, v2
	s_wait_alu 0xfffd
	v_add_co_ci_u32_e64 v1, null, v5, v3, vcc_lo
	v_mov_b32_e32 v2, 0
	s_delay_alu instid0(VALU_DEP_3) | instskip(SKIP_1) | instid1(VALU_DEP_3)
	v_add_co_u32 v0, vcc_lo, v0, v9
	s_wait_alu 0xfffd
	v_add_co_ci_u32_e64 v1, null, v1, v10, vcc_lo
	global_store_b64 v2, v[0:1], s[4:5]
	s_endpgm
.LBB1430_162:
	v_add_co_u32 v13, s1, s10, v25
	s_wait_alu 0xf1ff
	v_add_co_ci_u32_e64 v14, null, s11, 0, s1
	flat_load_b32 v2, v[13:14] offset:768
	s_wait_alu 0xfffe
	s_or_b32 exec_lo, exec_lo, s0
	s_delay_alu instid0(SALU_CYCLE_1)
	s_mov_b32 s0, exec_lo
	v_cmpx_gt_u32_e64 s3, v24
	s_cbranch_execz .LBB1430_11
.LBB1430_163:
	v_add_co_u32 v13, s1, s10, v25
	s_wait_alu 0xf1ff
	v_add_co_ci_u32_e64 v14, null, s11, 0, s1
	flat_load_b32 v3, v[13:14] offset:1536
	s_wait_alu 0xfffe
	s_or_b32 exec_lo, exec_lo, s0
	s_delay_alu instid0(SALU_CYCLE_1)
	s_mov_b32 s0, exec_lo
	v_cmpx_gt_u32_e64 s3, v23
	s_cbranch_execz .LBB1430_12
.LBB1430_164:
	v_add_co_u32 v13, s1, s10, v25
	s_wait_alu 0xf1ff
	v_add_co_ci_u32_e64 v14, null, s11, 0, s1
	flat_load_b32 v4, v[13:14] offset:2304
	s_wait_alu 0xfffe
	s_or_b32 exec_lo, exec_lo, s0
	s_delay_alu instid0(SALU_CYCLE_1)
	s_mov_b32 s0, exec_lo
	v_cmpx_gt_u32_e64 s3, v22
	s_cbranch_execz .LBB1430_13
.LBB1430_165:
	v_add_co_u32 v13, s1, s10, v25
	s_wait_alu 0xf1ff
	v_add_co_ci_u32_e64 v14, null, s11, 0, s1
	flat_load_b32 v5, v[13:14] offset:3072
	s_wait_alu 0xfffe
	s_or_b32 exec_lo, exec_lo, s0
	s_delay_alu instid0(SALU_CYCLE_1)
	s_mov_b32 s0, exec_lo
	v_cmpx_gt_u32_e64 s3, v21
	s_cbranch_execz .LBB1430_14
.LBB1430_166:
	v_add_co_u32 v13, s1, s10, v25
	s_wait_alu 0xf1ff
	v_add_co_ci_u32_e64 v14, null, s11, 0, s1
	flat_load_b32 v6, v[13:14] offset:3840
	s_wait_alu 0xfffe
	s_or_b32 exec_lo, exec_lo, s0
	s_delay_alu instid0(SALU_CYCLE_1)
	s_mov_b32 s0, exec_lo
	v_cmpx_gt_u32_e64 s3, v20
	s_cbranch_execz .LBB1430_15
.LBB1430_167:
	v_add_co_u32 v13, s1, s10, v25
	s_wait_alu 0xf1ff
	v_add_co_ci_u32_e64 v14, null, s11, 0, s1
	flat_load_b32 v7, v[13:14] offset:4608
	s_wait_alu 0xfffe
	s_or_b32 exec_lo, exec_lo, s0
	s_delay_alu instid0(SALU_CYCLE_1)
	s_mov_b32 s0, exec_lo
	v_cmpx_gt_u32_e64 s3, v19
	s_cbranch_execnz .LBB1430_16
	s_branch .LBB1430_17
.LBB1430_168:
	global_load_b32 v6, v25, s[0:1] offset:768
	v_and_b32_e32 v7, 0xff, v2
	s_wait_loadcnt 0x0
	v_cmp_eq_u32_e32 vcc_lo, 0, v6
	s_wait_alu 0xfffd
	v_cndmask_b32_e64 v6, 0, 1, vcc_lo
	s_delay_alu instid0(VALU_DEP_1) | instskip(NEXT) | instid1(VALU_DEP_1)
	v_lshlrev_b16 v6, 8, v6
	v_or_b32_e32 v6, v7, v6
	s_delay_alu instid0(VALU_DEP_1) | instskip(NEXT) | instid1(VALU_DEP_1)
	v_and_b32_e32 v6, 0xffff, v6
	v_and_or_b32 v2, 0xffff0000, v2, v6
	s_wait_alu 0xfffe
	s_or_b32 exec_lo, exec_lo, s6
	s_delay_alu instid0(SALU_CYCLE_1)
	s_mov_b32 s6, exec_lo
	v_cmpx_gt_u32_e64 s3, v24
	s_cbranch_execz .LBB1430_25
.LBB1430_169:
	global_load_b32 v6, v25, s[0:1] offset:1536
	v_lshrrev_b32_e32 v7, 16, v2
	s_delay_alu instid0(VALU_DEP_1) | instskip(SKIP_4) | instid1(VALU_DEP_1)
	v_and_b32_e32 v7, 0xffffff00, v7
	s_wait_loadcnt 0x0
	v_cmp_eq_u32_e32 vcc_lo, 0, v6
	s_wait_alu 0xfffd
	v_cndmask_b32_e64 v6, 0, 1, vcc_lo
	v_or_b32_e32 v6, v6, v7
	s_delay_alu instid0(VALU_DEP_1) | instskip(NEXT) | instid1(VALU_DEP_1)
	v_lshlrev_b32_e32 v6, 16, v6
	v_and_or_b32 v2, 0xffff, v2, v6
	s_wait_alu 0xfffe
	s_or_b32 exec_lo, exec_lo, s6
	s_delay_alu instid0(SALU_CYCLE_1)
	s_mov_b32 s6, exec_lo
	v_cmpx_gt_u32_e64 s3, v23
	s_cbranch_execz .LBB1430_26
.LBB1430_170:
	global_load_b32 v6, v25, s[0:1] offset:2304
	v_lshrrev_b32_e32 v7, 16, v2
	s_delay_alu instid0(VALU_DEP_1) | instskip(SKIP_4) | instid1(VALU_DEP_1)
	v_and_b32_e32 v7, 0xff, v7
	s_wait_loadcnt 0x0
	v_cmp_eq_u32_e32 vcc_lo, 0, v6
	s_wait_alu 0xfffd
	v_cndmask_b32_e64 v6, 0, 1, vcc_lo
	v_lshlrev_b16 v6, 8, v6
	s_delay_alu instid0(VALU_DEP_1) | instskip(NEXT) | instid1(VALU_DEP_1)
	v_or_b32_e32 v6, v7, v6
	v_lshlrev_b32_e32 v6, 16, v6
	s_delay_alu instid0(VALU_DEP_1) | instskip(SKIP_2) | instid1(SALU_CYCLE_1)
	v_and_or_b32 v2, 0xffff, v2, v6
	s_wait_alu 0xfffe
	s_or_b32 exec_lo, exec_lo, s6
	s_mov_b32 s6, exec_lo
	v_cmpx_gt_u32_e64 s3, v22
	s_cbranch_execz .LBB1430_27
.LBB1430_171:
	global_load_b32 v6, v25, s[0:1] offset:3072
	v_and_b32_e32 v7, 0xffffff00, v3
	s_wait_loadcnt 0x0
	v_cmp_eq_u32_e32 vcc_lo, 0, v6
	s_wait_alu 0xfffd
	v_cndmask_b32_e64 v6, 0, 1, vcc_lo
	s_delay_alu instid0(VALU_DEP_1) | instskip(NEXT) | instid1(VALU_DEP_1)
	v_or_b32_e32 v6, v6, v7
	v_and_b32_e32 v6, 0xffff, v6
	s_delay_alu instid0(VALU_DEP_1) | instskip(SKIP_2) | instid1(SALU_CYCLE_1)
	v_and_or_b32 v3, 0xffff0000, v3, v6
	s_wait_alu 0xfffe
	s_or_b32 exec_lo, exec_lo, s6
	s_mov_b32 s6, exec_lo
	v_cmpx_gt_u32_e64 s3, v21
	s_cbranch_execz .LBB1430_28
.LBB1430_172:
	global_load_b32 v6, v25, s[0:1] offset:3840
	v_and_b32_e32 v7, 0xff, v3
	s_wait_loadcnt 0x0
	v_cmp_eq_u32_e32 vcc_lo, 0, v6
	s_wait_alu 0xfffd
	v_cndmask_b32_e64 v6, 0, 1, vcc_lo
	s_delay_alu instid0(VALU_DEP_1) | instskip(NEXT) | instid1(VALU_DEP_1)
	v_lshlrev_b16 v6, 8, v6
	v_or_b32_e32 v6, v7, v6
	s_delay_alu instid0(VALU_DEP_1) | instskip(NEXT) | instid1(VALU_DEP_1)
	v_and_b32_e32 v6, 0xffff, v6
	v_and_or_b32 v3, 0xffff0000, v3, v6
	s_wait_alu 0xfffe
	s_or_b32 exec_lo, exec_lo, s6
	s_delay_alu instid0(SALU_CYCLE_1)
	s_mov_b32 s6, exec_lo
	v_cmpx_gt_u32_e64 s3, v20
	s_cbranch_execz .LBB1430_29
.LBB1430_173:
	global_load_b32 v6, v25, s[0:1] offset:4608
	v_lshrrev_b32_e32 v7, 16, v3
	s_delay_alu instid0(VALU_DEP_1) | instskip(SKIP_4) | instid1(VALU_DEP_1)
	v_and_b32_e32 v7, 0xffffff00, v7
	s_wait_loadcnt 0x0
	v_cmp_eq_u32_e32 vcc_lo, 0, v6
	s_wait_alu 0xfffd
	v_cndmask_b32_e64 v6, 0, 1, vcc_lo
	v_or_b32_e32 v6, v6, v7
	s_delay_alu instid0(VALU_DEP_1) | instskip(NEXT) | instid1(VALU_DEP_1)
	v_lshlrev_b32_e32 v6, 16, v6
	v_and_or_b32 v3, 0xffff, v3, v6
	s_wait_alu 0xfffe
	s_or_b32 exec_lo, exec_lo, s6
	v_cmp_gt_u32_e32 vcc_lo, s3, v19
	s_and_saveexec_b32 s3, vcc_lo
	s_cbranch_execnz .LBB1430_30
	s_branch .LBB1430_31
	.section	.rodata,"a",@progbits
	.p2align	6, 0x0
	.amdhsa_kernel _ZN7rocprim17ROCPRIM_400000_NS6detail17trampoline_kernelINS0_14default_configENS1_25partition_config_selectorILNS1_17partition_subalgoE5EjNS0_10empty_typeEbEEZZNS1_14partition_implILS5_5ELb0ES3_mN6thrust23THRUST_200600_302600_NS6detail15normal_iteratorINSA_10device_ptrIjEEEEPS6_NSA_18transform_iteratorINSB_9not_fun_tI7is_trueIjEEESF_NSA_11use_defaultESM_EENS0_5tupleIJSF_S6_EEENSO_IJSG_SG_EEES6_PlJS6_EEE10hipError_tPvRmT3_T4_T5_T6_T7_T9_mT8_P12ihipStream_tbDpT10_ENKUlT_T0_E_clISt17integral_constantIbLb0EES1A_IbLb1EEEEDaS16_S17_EUlS16_E_NS1_11comp_targetILNS1_3genE10ELNS1_11target_archE1200ELNS1_3gpuE4ELNS1_3repE0EEENS1_30default_config_static_selectorELNS0_4arch9wavefront6targetE0EEEvT1_
		.amdhsa_group_segment_fixed_size 6352
		.amdhsa_private_segment_fixed_size 0
		.amdhsa_kernarg_size 136
		.amdhsa_user_sgpr_count 2
		.amdhsa_user_sgpr_dispatch_ptr 0
		.amdhsa_user_sgpr_queue_ptr 0
		.amdhsa_user_sgpr_kernarg_segment_ptr 1
		.amdhsa_user_sgpr_dispatch_id 0
		.amdhsa_user_sgpr_private_segment_size 0
		.amdhsa_wavefront_size32 1
		.amdhsa_uses_dynamic_stack 0
		.amdhsa_enable_private_segment 0
		.amdhsa_system_sgpr_workgroup_id_x 1
		.amdhsa_system_sgpr_workgroup_id_y 0
		.amdhsa_system_sgpr_workgroup_id_z 0
		.amdhsa_system_sgpr_workgroup_info 0
		.amdhsa_system_vgpr_workitem_id 0
		.amdhsa_next_free_vgpr 54
		.amdhsa_next_free_sgpr 24
		.amdhsa_reserve_vcc 1
		.amdhsa_float_round_mode_32 0
		.amdhsa_float_round_mode_16_64 0
		.amdhsa_float_denorm_mode_32 3
		.amdhsa_float_denorm_mode_16_64 3
		.amdhsa_fp16_overflow 0
		.amdhsa_workgroup_processor_mode 1
		.amdhsa_memory_ordered 1
		.amdhsa_forward_progress 1
		.amdhsa_inst_pref_size 75
		.amdhsa_round_robin_scheduling 0
		.amdhsa_exception_fp_ieee_invalid_op 0
		.amdhsa_exception_fp_denorm_src 0
		.amdhsa_exception_fp_ieee_div_zero 0
		.amdhsa_exception_fp_ieee_overflow 0
		.amdhsa_exception_fp_ieee_underflow 0
		.amdhsa_exception_fp_ieee_inexact 0
		.amdhsa_exception_int_div_zero 0
	.end_amdhsa_kernel
	.section	.text._ZN7rocprim17ROCPRIM_400000_NS6detail17trampoline_kernelINS0_14default_configENS1_25partition_config_selectorILNS1_17partition_subalgoE5EjNS0_10empty_typeEbEEZZNS1_14partition_implILS5_5ELb0ES3_mN6thrust23THRUST_200600_302600_NS6detail15normal_iteratorINSA_10device_ptrIjEEEEPS6_NSA_18transform_iteratorINSB_9not_fun_tI7is_trueIjEEESF_NSA_11use_defaultESM_EENS0_5tupleIJSF_S6_EEENSO_IJSG_SG_EEES6_PlJS6_EEE10hipError_tPvRmT3_T4_T5_T6_T7_T9_mT8_P12ihipStream_tbDpT10_ENKUlT_T0_E_clISt17integral_constantIbLb0EES1A_IbLb1EEEEDaS16_S17_EUlS16_E_NS1_11comp_targetILNS1_3genE10ELNS1_11target_archE1200ELNS1_3gpuE4ELNS1_3repE0EEENS1_30default_config_static_selectorELNS0_4arch9wavefront6targetE0EEEvT1_,"axG",@progbits,_ZN7rocprim17ROCPRIM_400000_NS6detail17trampoline_kernelINS0_14default_configENS1_25partition_config_selectorILNS1_17partition_subalgoE5EjNS0_10empty_typeEbEEZZNS1_14partition_implILS5_5ELb0ES3_mN6thrust23THRUST_200600_302600_NS6detail15normal_iteratorINSA_10device_ptrIjEEEEPS6_NSA_18transform_iteratorINSB_9not_fun_tI7is_trueIjEEESF_NSA_11use_defaultESM_EENS0_5tupleIJSF_S6_EEENSO_IJSG_SG_EEES6_PlJS6_EEE10hipError_tPvRmT3_T4_T5_T6_T7_T9_mT8_P12ihipStream_tbDpT10_ENKUlT_T0_E_clISt17integral_constantIbLb0EES1A_IbLb1EEEEDaS16_S17_EUlS16_E_NS1_11comp_targetILNS1_3genE10ELNS1_11target_archE1200ELNS1_3gpuE4ELNS1_3repE0EEENS1_30default_config_static_selectorELNS0_4arch9wavefront6targetE0EEEvT1_,comdat
.Lfunc_end1430:
	.size	_ZN7rocprim17ROCPRIM_400000_NS6detail17trampoline_kernelINS0_14default_configENS1_25partition_config_selectorILNS1_17partition_subalgoE5EjNS0_10empty_typeEbEEZZNS1_14partition_implILS5_5ELb0ES3_mN6thrust23THRUST_200600_302600_NS6detail15normal_iteratorINSA_10device_ptrIjEEEEPS6_NSA_18transform_iteratorINSB_9not_fun_tI7is_trueIjEEESF_NSA_11use_defaultESM_EENS0_5tupleIJSF_S6_EEENSO_IJSG_SG_EEES6_PlJS6_EEE10hipError_tPvRmT3_T4_T5_T6_T7_T9_mT8_P12ihipStream_tbDpT10_ENKUlT_T0_E_clISt17integral_constantIbLb0EES1A_IbLb1EEEEDaS16_S17_EUlS16_E_NS1_11comp_targetILNS1_3genE10ELNS1_11target_archE1200ELNS1_3gpuE4ELNS1_3repE0EEENS1_30default_config_static_selectorELNS0_4arch9wavefront6targetE0EEEvT1_, .Lfunc_end1430-_ZN7rocprim17ROCPRIM_400000_NS6detail17trampoline_kernelINS0_14default_configENS1_25partition_config_selectorILNS1_17partition_subalgoE5EjNS0_10empty_typeEbEEZZNS1_14partition_implILS5_5ELb0ES3_mN6thrust23THRUST_200600_302600_NS6detail15normal_iteratorINSA_10device_ptrIjEEEEPS6_NSA_18transform_iteratorINSB_9not_fun_tI7is_trueIjEEESF_NSA_11use_defaultESM_EENS0_5tupleIJSF_S6_EEENSO_IJSG_SG_EEES6_PlJS6_EEE10hipError_tPvRmT3_T4_T5_T6_T7_T9_mT8_P12ihipStream_tbDpT10_ENKUlT_T0_E_clISt17integral_constantIbLb0EES1A_IbLb1EEEEDaS16_S17_EUlS16_E_NS1_11comp_targetILNS1_3genE10ELNS1_11target_archE1200ELNS1_3gpuE4ELNS1_3repE0EEENS1_30default_config_static_selectorELNS0_4arch9wavefront6targetE0EEEvT1_
                                        ; -- End function
	.set _ZN7rocprim17ROCPRIM_400000_NS6detail17trampoline_kernelINS0_14default_configENS1_25partition_config_selectorILNS1_17partition_subalgoE5EjNS0_10empty_typeEbEEZZNS1_14partition_implILS5_5ELb0ES3_mN6thrust23THRUST_200600_302600_NS6detail15normal_iteratorINSA_10device_ptrIjEEEEPS6_NSA_18transform_iteratorINSB_9not_fun_tI7is_trueIjEEESF_NSA_11use_defaultESM_EENS0_5tupleIJSF_S6_EEENSO_IJSG_SG_EEES6_PlJS6_EEE10hipError_tPvRmT3_T4_T5_T6_T7_T9_mT8_P12ihipStream_tbDpT10_ENKUlT_T0_E_clISt17integral_constantIbLb0EES1A_IbLb1EEEEDaS16_S17_EUlS16_E_NS1_11comp_targetILNS1_3genE10ELNS1_11target_archE1200ELNS1_3gpuE4ELNS1_3repE0EEENS1_30default_config_static_selectorELNS0_4arch9wavefront6targetE0EEEvT1_.num_vgpr, 54
	.set _ZN7rocprim17ROCPRIM_400000_NS6detail17trampoline_kernelINS0_14default_configENS1_25partition_config_selectorILNS1_17partition_subalgoE5EjNS0_10empty_typeEbEEZZNS1_14partition_implILS5_5ELb0ES3_mN6thrust23THRUST_200600_302600_NS6detail15normal_iteratorINSA_10device_ptrIjEEEEPS6_NSA_18transform_iteratorINSB_9not_fun_tI7is_trueIjEEESF_NSA_11use_defaultESM_EENS0_5tupleIJSF_S6_EEENSO_IJSG_SG_EEES6_PlJS6_EEE10hipError_tPvRmT3_T4_T5_T6_T7_T9_mT8_P12ihipStream_tbDpT10_ENKUlT_T0_E_clISt17integral_constantIbLb0EES1A_IbLb1EEEEDaS16_S17_EUlS16_E_NS1_11comp_targetILNS1_3genE10ELNS1_11target_archE1200ELNS1_3gpuE4ELNS1_3repE0EEENS1_30default_config_static_selectorELNS0_4arch9wavefront6targetE0EEEvT1_.num_agpr, 0
	.set _ZN7rocprim17ROCPRIM_400000_NS6detail17trampoline_kernelINS0_14default_configENS1_25partition_config_selectorILNS1_17partition_subalgoE5EjNS0_10empty_typeEbEEZZNS1_14partition_implILS5_5ELb0ES3_mN6thrust23THRUST_200600_302600_NS6detail15normal_iteratorINSA_10device_ptrIjEEEEPS6_NSA_18transform_iteratorINSB_9not_fun_tI7is_trueIjEEESF_NSA_11use_defaultESM_EENS0_5tupleIJSF_S6_EEENSO_IJSG_SG_EEES6_PlJS6_EEE10hipError_tPvRmT3_T4_T5_T6_T7_T9_mT8_P12ihipStream_tbDpT10_ENKUlT_T0_E_clISt17integral_constantIbLb0EES1A_IbLb1EEEEDaS16_S17_EUlS16_E_NS1_11comp_targetILNS1_3genE10ELNS1_11target_archE1200ELNS1_3gpuE4ELNS1_3repE0EEENS1_30default_config_static_selectorELNS0_4arch9wavefront6targetE0EEEvT1_.numbered_sgpr, 24
	.set _ZN7rocprim17ROCPRIM_400000_NS6detail17trampoline_kernelINS0_14default_configENS1_25partition_config_selectorILNS1_17partition_subalgoE5EjNS0_10empty_typeEbEEZZNS1_14partition_implILS5_5ELb0ES3_mN6thrust23THRUST_200600_302600_NS6detail15normal_iteratorINSA_10device_ptrIjEEEEPS6_NSA_18transform_iteratorINSB_9not_fun_tI7is_trueIjEEESF_NSA_11use_defaultESM_EENS0_5tupleIJSF_S6_EEENSO_IJSG_SG_EEES6_PlJS6_EEE10hipError_tPvRmT3_T4_T5_T6_T7_T9_mT8_P12ihipStream_tbDpT10_ENKUlT_T0_E_clISt17integral_constantIbLb0EES1A_IbLb1EEEEDaS16_S17_EUlS16_E_NS1_11comp_targetILNS1_3genE10ELNS1_11target_archE1200ELNS1_3gpuE4ELNS1_3repE0EEENS1_30default_config_static_selectorELNS0_4arch9wavefront6targetE0EEEvT1_.num_named_barrier, 0
	.set _ZN7rocprim17ROCPRIM_400000_NS6detail17trampoline_kernelINS0_14default_configENS1_25partition_config_selectorILNS1_17partition_subalgoE5EjNS0_10empty_typeEbEEZZNS1_14partition_implILS5_5ELb0ES3_mN6thrust23THRUST_200600_302600_NS6detail15normal_iteratorINSA_10device_ptrIjEEEEPS6_NSA_18transform_iteratorINSB_9not_fun_tI7is_trueIjEEESF_NSA_11use_defaultESM_EENS0_5tupleIJSF_S6_EEENSO_IJSG_SG_EEES6_PlJS6_EEE10hipError_tPvRmT3_T4_T5_T6_T7_T9_mT8_P12ihipStream_tbDpT10_ENKUlT_T0_E_clISt17integral_constantIbLb0EES1A_IbLb1EEEEDaS16_S17_EUlS16_E_NS1_11comp_targetILNS1_3genE10ELNS1_11target_archE1200ELNS1_3gpuE4ELNS1_3repE0EEENS1_30default_config_static_selectorELNS0_4arch9wavefront6targetE0EEEvT1_.private_seg_size, 0
	.set _ZN7rocprim17ROCPRIM_400000_NS6detail17trampoline_kernelINS0_14default_configENS1_25partition_config_selectorILNS1_17partition_subalgoE5EjNS0_10empty_typeEbEEZZNS1_14partition_implILS5_5ELb0ES3_mN6thrust23THRUST_200600_302600_NS6detail15normal_iteratorINSA_10device_ptrIjEEEEPS6_NSA_18transform_iteratorINSB_9not_fun_tI7is_trueIjEEESF_NSA_11use_defaultESM_EENS0_5tupleIJSF_S6_EEENSO_IJSG_SG_EEES6_PlJS6_EEE10hipError_tPvRmT3_T4_T5_T6_T7_T9_mT8_P12ihipStream_tbDpT10_ENKUlT_T0_E_clISt17integral_constantIbLb0EES1A_IbLb1EEEEDaS16_S17_EUlS16_E_NS1_11comp_targetILNS1_3genE10ELNS1_11target_archE1200ELNS1_3gpuE4ELNS1_3repE0EEENS1_30default_config_static_selectorELNS0_4arch9wavefront6targetE0EEEvT1_.uses_vcc, 1
	.set _ZN7rocprim17ROCPRIM_400000_NS6detail17trampoline_kernelINS0_14default_configENS1_25partition_config_selectorILNS1_17partition_subalgoE5EjNS0_10empty_typeEbEEZZNS1_14partition_implILS5_5ELb0ES3_mN6thrust23THRUST_200600_302600_NS6detail15normal_iteratorINSA_10device_ptrIjEEEEPS6_NSA_18transform_iteratorINSB_9not_fun_tI7is_trueIjEEESF_NSA_11use_defaultESM_EENS0_5tupleIJSF_S6_EEENSO_IJSG_SG_EEES6_PlJS6_EEE10hipError_tPvRmT3_T4_T5_T6_T7_T9_mT8_P12ihipStream_tbDpT10_ENKUlT_T0_E_clISt17integral_constantIbLb0EES1A_IbLb1EEEEDaS16_S17_EUlS16_E_NS1_11comp_targetILNS1_3genE10ELNS1_11target_archE1200ELNS1_3gpuE4ELNS1_3repE0EEENS1_30default_config_static_selectorELNS0_4arch9wavefront6targetE0EEEvT1_.uses_flat_scratch, 1
	.set _ZN7rocprim17ROCPRIM_400000_NS6detail17trampoline_kernelINS0_14default_configENS1_25partition_config_selectorILNS1_17partition_subalgoE5EjNS0_10empty_typeEbEEZZNS1_14partition_implILS5_5ELb0ES3_mN6thrust23THRUST_200600_302600_NS6detail15normal_iteratorINSA_10device_ptrIjEEEEPS6_NSA_18transform_iteratorINSB_9not_fun_tI7is_trueIjEEESF_NSA_11use_defaultESM_EENS0_5tupleIJSF_S6_EEENSO_IJSG_SG_EEES6_PlJS6_EEE10hipError_tPvRmT3_T4_T5_T6_T7_T9_mT8_P12ihipStream_tbDpT10_ENKUlT_T0_E_clISt17integral_constantIbLb0EES1A_IbLb1EEEEDaS16_S17_EUlS16_E_NS1_11comp_targetILNS1_3genE10ELNS1_11target_archE1200ELNS1_3gpuE4ELNS1_3repE0EEENS1_30default_config_static_selectorELNS0_4arch9wavefront6targetE0EEEvT1_.has_dyn_sized_stack, 0
	.set _ZN7rocprim17ROCPRIM_400000_NS6detail17trampoline_kernelINS0_14default_configENS1_25partition_config_selectorILNS1_17partition_subalgoE5EjNS0_10empty_typeEbEEZZNS1_14partition_implILS5_5ELb0ES3_mN6thrust23THRUST_200600_302600_NS6detail15normal_iteratorINSA_10device_ptrIjEEEEPS6_NSA_18transform_iteratorINSB_9not_fun_tI7is_trueIjEEESF_NSA_11use_defaultESM_EENS0_5tupleIJSF_S6_EEENSO_IJSG_SG_EEES6_PlJS6_EEE10hipError_tPvRmT3_T4_T5_T6_T7_T9_mT8_P12ihipStream_tbDpT10_ENKUlT_T0_E_clISt17integral_constantIbLb0EES1A_IbLb1EEEEDaS16_S17_EUlS16_E_NS1_11comp_targetILNS1_3genE10ELNS1_11target_archE1200ELNS1_3gpuE4ELNS1_3repE0EEENS1_30default_config_static_selectorELNS0_4arch9wavefront6targetE0EEEvT1_.has_recursion, 0
	.set _ZN7rocprim17ROCPRIM_400000_NS6detail17trampoline_kernelINS0_14default_configENS1_25partition_config_selectorILNS1_17partition_subalgoE5EjNS0_10empty_typeEbEEZZNS1_14partition_implILS5_5ELb0ES3_mN6thrust23THRUST_200600_302600_NS6detail15normal_iteratorINSA_10device_ptrIjEEEEPS6_NSA_18transform_iteratorINSB_9not_fun_tI7is_trueIjEEESF_NSA_11use_defaultESM_EENS0_5tupleIJSF_S6_EEENSO_IJSG_SG_EEES6_PlJS6_EEE10hipError_tPvRmT3_T4_T5_T6_T7_T9_mT8_P12ihipStream_tbDpT10_ENKUlT_T0_E_clISt17integral_constantIbLb0EES1A_IbLb1EEEEDaS16_S17_EUlS16_E_NS1_11comp_targetILNS1_3genE10ELNS1_11target_archE1200ELNS1_3gpuE4ELNS1_3repE0EEENS1_30default_config_static_selectorELNS0_4arch9wavefront6targetE0EEEvT1_.has_indirect_call, 0
	.section	.AMDGPU.csdata,"",@progbits
; Kernel info:
; codeLenInByte = 9576
; TotalNumSgprs: 26
; NumVgprs: 54
; ScratchSize: 0
; MemoryBound: 0
; FloatMode: 240
; IeeeMode: 1
; LDSByteSize: 6352 bytes/workgroup (compile time only)
; SGPRBlocks: 0
; VGPRBlocks: 6
; NumSGPRsForWavesPerEU: 26
; NumVGPRsForWavesPerEU: 54
; Occupancy: 15
; WaveLimiterHint : 1
; COMPUTE_PGM_RSRC2:SCRATCH_EN: 0
; COMPUTE_PGM_RSRC2:USER_SGPR: 2
; COMPUTE_PGM_RSRC2:TRAP_HANDLER: 0
; COMPUTE_PGM_RSRC2:TGID_X_EN: 1
; COMPUTE_PGM_RSRC2:TGID_Y_EN: 0
; COMPUTE_PGM_RSRC2:TGID_Z_EN: 0
; COMPUTE_PGM_RSRC2:TIDIG_COMP_CNT: 0
	.section	.text._ZN7rocprim17ROCPRIM_400000_NS6detail17trampoline_kernelINS0_14default_configENS1_25partition_config_selectorILNS1_17partition_subalgoE5EjNS0_10empty_typeEbEEZZNS1_14partition_implILS5_5ELb0ES3_mN6thrust23THRUST_200600_302600_NS6detail15normal_iteratorINSA_10device_ptrIjEEEEPS6_NSA_18transform_iteratorINSB_9not_fun_tI7is_trueIjEEESF_NSA_11use_defaultESM_EENS0_5tupleIJSF_S6_EEENSO_IJSG_SG_EEES6_PlJS6_EEE10hipError_tPvRmT3_T4_T5_T6_T7_T9_mT8_P12ihipStream_tbDpT10_ENKUlT_T0_E_clISt17integral_constantIbLb0EES1A_IbLb1EEEEDaS16_S17_EUlS16_E_NS1_11comp_targetILNS1_3genE9ELNS1_11target_archE1100ELNS1_3gpuE3ELNS1_3repE0EEENS1_30default_config_static_selectorELNS0_4arch9wavefront6targetE0EEEvT1_,"axG",@progbits,_ZN7rocprim17ROCPRIM_400000_NS6detail17trampoline_kernelINS0_14default_configENS1_25partition_config_selectorILNS1_17partition_subalgoE5EjNS0_10empty_typeEbEEZZNS1_14partition_implILS5_5ELb0ES3_mN6thrust23THRUST_200600_302600_NS6detail15normal_iteratorINSA_10device_ptrIjEEEEPS6_NSA_18transform_iteratorINSB_9not_fun_tI7is_trueIjEEESF_NSA_11use_defaultESM_EENS0_5tupleIJSF_S6_EEENSO_IJSG_SG_EEES6_PlJS6_EEE10hipError_tPvRmT3_T4_T5_T6_T7_T9_mT8_P12ihipStream_tbDpT10_ENKUlT_T0_E_clISt17integral_constantIbLb0EES1A_IbLb1EEEEDaS16_S17_EUlS16_E_NS1_11comp_targetILNS1_3genE9ELNS1_11target_archE1100ELNS1_3gpuE3ELNS1_3repE0EEENS1_30default_config_static_selectorELNS0_4arch9wavefront6targetE0EEEvT1_,comdat
	.protected	_ZN7rocprim17ROCPRIM_400000_NS6detail17trampoline_kernelINS0_14default_configENS1_25partition_config_selectorILNS1_17partition_subalgoE5EjNS0_10empty_typeEbEEZZNS1_14partition_implILS5_5ELb0ES3_mN6thrust23THRUST_200600_302600_NS6detail15normal_iteratorINSA_10device_ptrIjEEEEPS6_NSA_18transform_iteratorINSB_9not_fun_tI7is_trueIjEEESF_NSA_11use_defaultESM_EENS0_5tupleIJSF_S6_EEENSO_IJSG_SG_EEES6_PlJS6_EEE10hipError_tPvRmT3_T4_T5_T6_T7_T9_mT8_P12ihipStream_tbDpT10_ENKUlT_T0_E_clISt17integral_constantIbLb0EES1A_IbLb1EEEEDaS16_S17_EUlS16_E_NS1_11comp_targetILNS1_3genE9ELNS1_11target_archE1100ELNS1_3gpuE3ELNS1_3repE0EEENS1_30default_config_static_selectorELNS0_4arch9wavefront6targetE0EEEvT1_ ; -- Begin function _ZN7rocprim17ROCPRIM_400000_NS6detail17trampoline_kernelINS0_14default_configENS1_25partition_config_selectorILNS1_17partition_subalgoE5EjNS0_10empty_typeEbEEZZNS1_14partition_implILS5_5ELb0ES3_mN6thrust23THRUST_200600_302600_NS6detail15normal_iteratorINSA_10device_ptrIjEEEEPS6_NSA_18transform_iteratorINSB_9not_fun_tI7is_trueIjEEESF_NSA_11use_defaultESM_EENS0_5tupleIJSF_S6_EEENSO_IJSG_SG_EEES6_PlJS6_EEE10hipError_tPvRmT3_T4_T5_T6_T7_T9_mT8_P12ihipStream_tbDpT10_ENKUlT_T0_E_clISt17integral_constantIbLb0EES1A_IbLb1EEEEDaS16_S17_EUlS16_E_NS1_11comp_targetILNS1_3genE9ELNS1_11target_archE1100ELNS1_3gpuE3ELNS1_3repE0EEENS1_30default_config_static_selectorELNS0_4arch9wavefront6targetE0EEEvT1_
	.globl	_ZN7rocprim17ROCPRIM_400000_NS6detail17trampoline_kernelINS0_14default_configENS1_25partition_config_selectorILNS1_17partition_subalgoE5EjNS0_10empty_typeEbEEZZNS1_14partition_implILS5_5ELb0ES3_mN6thrust23THRUST_200600_302600_NS6detail15normal_iteratorINSA_10device_ptrIjEEEEPS6_NSA_18transform_iteratorINSB_9not_fun_tI7is_trueIjEEESF_NSA_11use_defaultESM_EENS0_5tupleIJSF_S6_EEENSO_IJSG_SG_EEES6_PlJS6_EEE10hipError_tPvRmT3_T4_T5_T6_T7_T9_mT8_P12ihipStream_tbDpT10_ENKUlT_T0_E_clISt17integral_constantIbLb0EES1A_IbLb1EEEEDaS16_S17_EUlS16_E_NS1_11comp_targetILNS1_3genE9ELNS1_11target_archE1100ELNS1_3gpuE3ELNS1_3repE0EEENS1_30default_config_static_selectorELNS0_4arch9wavefront6targetE0EEEvT1_
	.p2align	8
	.type	_ZN7rocprim17ROCPRIM_400000_NS6detail17trampoline_kernelINS0_14default_configENS1_25partition_config_selectorILNS1_17partition_subalgoE5EjNS0_10empty_typeEbEEZZNS1_14partition_implILS5_5ELb0ES3_mN6thrust23THRUST_200600_302600_NS6detail15normal_iteratorINSA_10device_ptrIjEEEEPS6_NSA_18transform_iteratorINSB_9not_fun_tI7is_trueIjEEESF_NSA_11use_defaultESM_EENS0_5tupleIJSF_S6_EEENSO_IJSG_SG_EEES6_PlJS6_EEE10hipError_tPvRmT3_T4_T5_T6_T7_T9_mT8_P12ihipStream_tbDpT10_ENKUlT_T0_E_clISt17integral_constantIbLb0EES1A_IbLb1EEEEDaS16_S17_EUlS16_E_NS1_11comp_targetILNS1_3genE9ELNS1_11target_archE1100ELNS1_3gpuE3ELNS1_3repE0EEENS1_30default_config_static_selectorELNS0_4arch9wavefront6targetE0EEEvT1_,@function
_ZN7rocprim17ROCPRIM_400000_NS6detail17trampoline_kernelINS0_14default_configENS1_25partition_config_selectorILNS1_17partition_subalgoE5EjNS0_10empty_typeEbEEZZNS1_14partition_implILS5_5ELb0ES3_mN6thrust23THRUST_200600_302600_NS6detail15normal_iteratorINSA_10device_ptrIjEEEEPS6_NSA_18transform_iteratorINSB_9not_fun_tI7is_trueIjEEESF_NSA_11use_defaultESM_EENS0_5tupleIJSF_S6_EEENSO_IJSG_SG_EEES6_PlJS6_EEE10hipError_tPvRmT3_T4_T5_T6_T7_T9_mT8_P12ihipStream_tbDpT10_ENKUlT_T0_E_clISt17integral_constantIbLb0EES1A_IbLb1EEEEDaS16_S17_EUlS16_E_NS1_11comp_targetILNS1_3genE9ELNS1_11target_archE1100ELNS1_3gpuE3ELNS1_3repE0EEENS1_30default_config_static_selectorELNS0_4arch9wavefront6targetE0EEEvT1_: ; @_ZN7rocprim17ROCPRIM_400000_NS6detail17trampoline_kernelINS0_14default_configENS1_25partition_config_selectorILNS1_17partition_subalgoE5EjNS0_10empty_typeEbEEZZNS1_14partition_implILS5_5ELb0ES3_mN6thrust23THRUST_200600_302600_NS6detail15normal_iteratorINSA_10device_ptrIjEEEEPS6_NSA_18transform_iteratorINSB_9not_fun_tI7is_trueIjEEESF_NSA_11use_defaultESM_EENS0_5tupleIJSF_S6_EEENSO_IJSG_SG_EEES6_PlJS6_EEE10hipError_tPvRmT3_T4_T5_T6_T7_T9_mT8_P12ihipStream_tbDpT10_ENKUlT_T0_E_clISt17integral_constantIbLb0EES1A_IbLb1EEEEDaS16_S17_EUlS16_E_NS1_11comp_targetILNS1_3genE9ELNS1_11target_archE1100ELNS1_3gpuE3ELNS1_3repE0EEENS1_30default_config_static_selectorELNS0_4arch9wavefront6targetE0EEEvT1_
; %bb.0:
	.section	.rodata,"a",@progbits
	.p2align	6, 0x0
	.amdhsa_kernel _ZN7rocprim17ROCPRIM_400000_NS6detail17trampoline_kernelINS0_14default_configENS1_25partition_config_selectorILNS1_17partition_subalgoE5EjNS0_10empty_typeEbEEZZNS1_14partition_implILS5_5ELb0ES3_mN6thrust23THRUST_200600_302600_NS6detail15normal_iteratorINSA_10device_ptrIjEEEEPS6_NSA_18transform_iteratorINSB_9not_fun_tI7is_trueIjEEESF_NSA_11use_defaultESM_EENS0_5tupleIJSF_S6_EEENSO_IJSG_SG_EEES6_PlJS6_EEE10hipError_tPvRmT3_T4_T5_T6_T7_T9_mT8_P12ihipStream_tbDpT10_ENKUlT_T0_E_clISt17integral_constantIbLb0EES1A_IbLb1EEEEDaS16_S17_EUlS16_E_NS1_11comp_targetILNS1_3genE9ELNS1_11target_archE1100ELNS1_3gpuE3ELNS1_3repE0EEENS1_30default_config_static_selectorELNS0_4arch9wavefront6targetE0EEEvT1_
		.amdhsa_group_segment_fixed_size 0
		.amdhsa_private_segment_fixed_size 0
		.amdhsa_kernarg_size 136
		.amdhsa_user_sgpr_count 2
		.amdhsa_user_sgpr_dispatch_ptr 0
		.amdhsa_user_sgpr_queue_ptr 0
		.amdhsa_user_sgpr_kernarg_segment_ptr 1
		.amdhsa_user_sgpr_dispatch_id 0
		.amdhsa_user_sgpr_private_segment_size 0
		.amdhsa_wavefront_size32 1
		.amdhsa_uses_dynamic_stack 0
		.amdhsa_enable_private_segment 0
		.amdhsa_system_sgpr_workgroup_id_x 1
		.amdhsa_system_sgpr_workgroup_id_y 0
		.amdhsa_system_sgpr_workgroup_id_z 0
		.amdhsa_system_sgpr_workgroup_info 0
		.amdhsa_system_vgpr_workitem_id 0
		.amdhsa_next_free_vgpr 1
		.amdhsa_next_free_sgpr 1
		.amdhsa_reserve_vcc 0
		.amdhsa_float_round_mode_32 0
		.amdhsa_float_round_mode_16_64 0
		.amdhsa_float_denorm_mode_32 3
		.amdhsa_float_denorm_mode_16_64 3
		.amdhsa_fp16_overflow 0
		.amdhsa_workgroup_processor_mode 1
		.amdhsa_memory_ordered 1
		.amdhsa_forward_progress 1
		.amdhsa_inst_pref_size 0
		.amdhsa_round_robin_scheduling 0
		.amdhsa_exception_fp_ieee_invalid_op 0
		.amdhsa_exception_fp_denorm_src 0
		.amdhsa_exception_fp_ieee_div_zero 0
		.amdhsa_exception_fp_ieee_overflow 0
		.amdhsa_exception_fp_ieee_underflow 0
		.amdhsa_exception_fp_ieee_inexact 0
		.amdhsa_exception_int_div_zero 0
	.end_amdhsa_kernel
	.section	.text._ZN7rocprim17ROCPRIM_400000_NS6detail17trampoline_kernelINS0_14default_configENS1_25partition_config_selectorILNS1_17partition_subalgoE5EjNS0_10empty_typeEbEEZZNS1_14partition_implILS5_5ELb0ES3_mN6thrust23THRUST_200600_302600_NS6detail15normal_iteratorINSA_10device_ptrIjEEEEPS6_NSA_18transform_iteratorINSB_9not_fun_tI7is_trueIjEEESF_NSA_11use_defaultESM_EENS0_5tupleIJSF_S6_EEENSO_IJSG_SG_EEES6_PlJS6_EEE10hipError_tPvRmT3_T4_T5_T6_T7_T9_mT8_P12ihipStream_tbDpT10_ENKUlT_T0_E_clISt17integral_constantIbLb0EES1A_IbLb1EEEEDaS16_S17_EUlS16_E_NS1_11comp_targetILNS1_3genE9ELNS1_11target_archE1100ELNS1_3gpuE3ELNS1_3repE0EEENS1_30default_config_static_selectorELNS0_4arch9wavefront6targetE0EEEvT1_,"axG",@progbits,_ZN7rocprim17ROCPRIM_400000_NS6detail17trampoline_kernelINS0_14default_configENS1_25partition_config_selectorILNS1_17partition_subalgoE5EjNS0_10empty_typeEbEEZZNS1_14partition_implILS5_5ELb0ES3_mN6thrust23THRUST_200600_302600_NS6detail15normal_iteratorINSA_10device_ptrIjEEEEPS6_NSA_18transform_iteratorINSB_9not_fun_tI7is_trueIjEEESF_NSA_11use_defaultESM_EENS0_5tupleIJSF_S6_EEENSO_IJSG_SG_EEES6_PlJS6_EEE10hipError_tPvRmT3_T4_T5_T6_T7_T9_mT8_P12ihipStream_tbDpT10_ENKUlT_T0_E_clISt17integral_constantIbLb0EES1A_IbLb1EEEEDaS16_S17_EUlS16_E_NS1_11comp_targetILNS1_3genE9ELNS1_11target_archE1100ELNS1_3gpuE3ELNS1_3repE0EEENS1_30default_config_static_selectorELNS0_4arch9wavefront6targetE0EEEvT1_,comdat
.Lfunc_end1431:
	.size	_ZN7rocprim17ROCPRIM_400000_NS6detail17trampoline_kernelINS0_14default_configENS1_25partition_config_selectorILNS1_17partition_subalgoE5EjNS0_10empty_typeEbEEZZNS1_14partition_implILS5_5ELb0ES3_mN6thrust23THRUST_200600_302600_NS6detail15normal_iteratorINSA_10device_ptrIjEEEEPS6_NSA_18transform_iteratorINSB_9not_fun_tI7is_trueIjEEESF_NSA_11use_defaultESM_EENS0_5tupleIJSF_S6_EEENSO_IJSG_SG_EEES6_PlJS6_EEE10hipError_tPvRmT3_T4_T5_T6_T7_T9_mT8_P12ihipStream_tbDpT10_ENKUlT_T0_E_clISt17integral_constantIbLb0EES1A_IbLb1EEEEDaS16_S17_EUlS16_E_NS1_11comp_targetILNS1_3genE9ELNS1_11target_archE1100ELNS1_3gpuE3ELNS1_3repE0EEENS1_30default_config_static_selectorELNS0_4arch9wavefront6targetE0EEEvT1_, .Lfunc_end1431-_ZN7rocprim17ROCPRIM_400000_NS6detail17trampoline_kernelINS0_14default_configENS1_25partition_config_selectorILNS1_17partition_subalgoE5EjNS0_10empty_typeEbEEZZNS1_14partition_implILS5_5ELb0ES3_mN6thrust23THRUST_200600_302600_NS6detail15normal_iteratorINSA_10device_ptrIjEEEEPS6_NSA_18transform_iteratorINSB_9not_fun_tI7is_trueIjEEESF_NSA_11use_defaultESM_EENS0_5tupleIJSF_S6_EEENSO_IJSG_SG_EEES6_PlJS6_EEE10hipError_tPvRmT3_T4_T5_T6_T7_T9_mT8_P12ihipStream_tbDpT10_ENKUlT_T0_E_clISt17integral_constantIbLb0EES1A_IbLb1EEEEDaS16_S17_EUlS16_E_NS1_11comp_targetILNS1_3genE9ELNS1_11target_archE1100ELNS1_3gpuE3ELNS1_3repE0EEENS1_30default_config_static_selectorELNS0_4arch9wavefront6targetE0EEEvT1_
                                        ; -- End function
	.set _ZN7rocprim17ROCPRIM_400000_NS6detail17trampoline_kernelINS0_14default_configENS1_25partition_config_selectorILNS1_17partition_subalgoE5EjNS0_10empty_typeEbEEZZNS1_14partition_implILS5_5ELb0ES3_mN6thrust23THRUST_200600_302600_NS6detail15normal_iteratorINSA_10device_ptrIjEEEEPS6_NSA_18transform_iteratorINSB_9not_fun_tI7is_trueIjEEESF_NSA_11use_defaultESM_EENS0_5tupleIJSF_S6_EEENSO_IJSG_SG_EEES6_PlJS6_EEE10hipError_tPvRmT3_T4_T5_T6_T7_T9_mT8_P12ihipStream_tbDpT10_ENKUlT_T0_E_clISt17integral_constantIbLb0EES1A_IbLb1EEEEDaS16_S17_EUlS16_E_NS1_11comp_targetILNS1_3genE9ELNS1_11target_archE1100ELNS1_3gpuE3ELNS1_3repE0EEENS1_30default_config_static_selectorELNS0_4arch9wavefront6targetE0EEEvT1_.num_vgpr, 0
	.set _ZN7rocprim17ROCPRIM_400000_NS6detail17trampoline_kernelINS0_14default_configENS1_25partition_config_selectorILNS1_17partition_subalgoE5EjNS0_10empty_typeEbEEZZNS1_14partition_implILS5_5ELb0ES3_mN6thrust23THRUST_200600_302600_NS6detail15normal_iteratorINSA_10device_ptrIjEEEEPS6_NSA_18transform_iteratorINSB_9not_fun_tI7is_trueIjEEESF_NSA_11use_defaultESM_EENS0_5tupleIJSF_S6_EEENSO_IJSG_SG_EEES6_PlJS6_EEE10hipError_tPvRmT3_T4_T5_T6_T7_T9_mT8_P12ihipStream_tbDpT10_ENKUlT_T0_E_clISt17integral_constantIbLb0EES1A_IbLb1EEEEDaS16_S17_EUlS16_E_NS1_11comp_targetILNS1_3genE9ELNS1_11target_archE1100ELNS1_3gpuE3ELNS1_3repE0EEENS1_30default_config_static_selectorELNS0_4arch9wavefront6targetE0EEEvT1_.num_agpr, 0
	.set _ZN7rocprim17ROCPRIM_400000_NS6detail17trampoline_kernelINS0_14default_configENS1_25partition_config_selectorILNS1_17partition_subalgoE5EjNS0_10empty_typeEbEEZZNS1_14partition_implILS5_5ELb0ES3_mN6thrust23THRUST_200600_302600_NS6detail15normal_iteratorINSA_10device_ptrIjEEEEPS6_NSA_18transform_iteratorINSB_9not_fun_tI7is_trueIjEEESF_NSA_11use_defaultESM_EENS0_5tupleIJSF_S6_EEENSO_IJSG_SG_EEES6_PlJS6_EEE10hipError_tPvRmT3_T4_T5_T6_T7_T9_mT8_P12ihipStream_tbDpT10_ENKUlT_T0_E_clISt17integral_constantIbLb0EES1A_IbLb1EEEEDaS16_S17_EUlS16_E_NS1_11comp_targetILNS1_3genE9ELNS1_11target_archE1100ELNS1_3gpuE3ELNS1_3repE0EEENS1_30default_config_static_selectorELNS0_4arch9wavefront6targetE0EEEvT1_.numbered_sgpr, 0
	.set _ZN7rocprim17ROCPRIM_400000_NS6detail17trampoline_kernelINS0_14default_configENS1_25partition_config_selectorILNS1_17partition_subalgoE5EjNS0_10empty_typeEbEEZZNS1_14partition_implILS5_5ELb0ES3_mN6thrust23THRUST_200600_302600_NS6detail15normal_iteratorINSA_10device_ptrIjEEEEPS6_NSA_18transform_iteratorINSB_9not_fun_tI7is_trueIjEEESF_NSA_11use_defaultESM_EENS0_5tupleIJSF_S6_EEENSO_IJSG_SG_EEES6_PlJS6_EEE10hipError_tPvRmT3_T4_T5_T6_T7_T9_mT8_P12ihipStream_tbDpT10_ENKUlT_T0_E_clISt17integral_constantIbLb0EES1A_IbLb1EEEEDaS16_S17_EUlS16_E_NS1_11comp_targetILNS1_3genE9ELNS1_11target_archE1100ELNS1_3gpuE3ELNS1_3repE0EEENS1_30default_config_static_selectorELNS0_4arch9wavefront6targetE0EEEvT1_.num_named_barrier, 0
	.set _ZN7rocprim17ROCPRIM_400000_NS6detail17trampoline_kernelINS0_14default_configENS1_25partition_config_selectorILNS1_17partition_subalgoE5EjNS0_10empty_typeEbEEZZNS1_14partition_implILS5_5ELb0ES3_mN6thrust23THRUST_200600_302600_NS6detail15normal_iteratorINSA_10device_ptrIjEEEEPS6_NSA_18transform_iteratorINSB_9not_fun_tI7is_trueIjEEESF_NSA_11use_defaultESM_EENS0_5tupleIJSF_S6_EEENSO_IJSG_SG_EEES6_PlJS6_EEE10hipError_tPvRmT3_T4_T5_T6_T7_T9_mT8_P12ihipStream_tbDpT10_ENKUlT_T0_E_clISt17integral_constantIbLb0EES1A_IbLb1EEEEDaS16_S17_EUlS16_E_NS1_11comp_targetILNS1_3genE9ELNS1_11target_archE1100ELNS1_3gpuE3ELNS1_3repE0EEENS1_30default_config_static_selectorELNS0_4arch9wavefront6targetE0EEEvT1_.private_seg_size, 0
	.set _ZN7rocprim17ROCPRIM_400000_NS6detail17trampoline_kernelINS0_14default_configENS1_25partition_config_selectorILNS1_17partition_subalgoE5EjNS0_10empty_typeEbEEZZNS1_14partition_implILS5_5ELb0ES3_mN6thrust23THRUST_200600_302600_NS6detail15normal_iteratorINSA_10device_ptrIjEEEEPS6_NSA_18transform_iteratorINSB_9not_fun_tI7is_trueIjEEESF_NSA_11use_defaultESM_EENS0_5tupleIJSF_S6_EEENSO_IJSG_SG_EEES6_PlJS6_EEE10hipError_tPvRmT3_T4_T5_T6_T7_T9_mT8_P12ihipStream_tbDpT10_ENKUlT_T0_E_clISt17integral_constantIbLb0EES1A_IbLb1EEEEDaS16_S17_EUlS16_E_NS1_11comp_targetILNS1_3genE9ELNS1_11target_archE1100ELNS1_3gpuE3ELNS1_3repE0EEENS1_30default_config_static_selectorELNS0_4arch9wavefront6targetE0EEEvT1_.uses_vcc, 0
	.set _ZN7rocprim17ROCPRIM_400000_NS6detail17trampoline_kernelINS0_14default_configENS1_25partition_config_selectorILNS1_17partition_subalgoE5EjNS0_10empty_typeEbEEZZNS1_14partition_implILS5_5ELb0ES3_mN6thrust23THRUST_200600_302600_NS6detail15normal_iteratorINSA_10device_ptrIjEEEEPS6_NSA_18transform_iteratorINSB_9not_fun_tI7is_trueIjEEESF_NSA_11use_defaultESM_EENS0_5tupleIJSF_S6_EEENSO_IJSG_SG_EEES6_PlJS6_EEE10hipError_tPvRmT3_T4_T5_T6_T7_T9_mT8_P12ihipStream_tbDpT10_ENKUlT_T0_E_clISt17integral_constantIbLb0EES1A_IbLb1EEEEDaS16_S17_EUlS16_E_NS1_11comp_targetILNS1_3genE9ELNS1_11target_archE1100ELNS1_3gpuE3ELNS1_3repE0EEENS1_30default_config_static_selectorELNS0_4arch9wavefront6targetE0EEEvT1_.uses_flat_scratch, 0
	.set _ZN7rocprim17ROCPRIM_400000_NS6detail17trampoline_kernelINS0_14default_configENS1_25partition_config_selectorILNS1_17partition_subalgoE5EjNS0_10empty_typeEbEEZZNS1_14partition_implILS5_5ELb0ES3_mN6thrust23THRUST_200600_302600_NS6detail15normal_iteratorINSA_10device_ptrIjEEEEPS6_NSA_18transform_iteratorINSB_9not_fun_tI7is_trueIjEEESF_NSA_11use_defaultESM_EENS0_5tupleIJSF_S6_EEENSO_IJSG_SG_EEES6_PlJS6_EEE10hipError_tPvRmT3_T4_T5_T6_T7_T9_mT8_P12ihipStream_tbDpT10_ENKUlT_T0_E_clISt17integral_constantIbLb0EES1A_IbLb1EEEEDaS16_S17_EUlS16_E_NS1_11comp_targetILNS1_3genE9ELNS1_11target_archE1100ELNS1_3gpuE3ELNS1_3repE0EEENS1_30default_config_static_selectorELNS0_4arch9wavefront6targetE0EEEvT1_.has_dyn_sized_stack, 0
	.set _ZN7rocprim17ROCPRIM_400000_NS6detail17trampoline_kernelINS0_14default_configENS1_25partition_config_selectorILNS1_17partition_subalgoE5EjNS0_10empty_typeEbEEZZNS1_14partition_implILS5_5ELb0ES3_mN6thrust23THRUST_200600_302600_NS6detail15normal_iteratorINSA_10device_ptrIjEEEEPS6_NSA_18transform_iteratorINSB_9not_fun_tI7is_trueIjEEESF_NSA_11use_defaultESM_EENS0_5tupleIJSF_S6_EEENSO_IJSG_SG_EEES6_PlJS6_EEE10hipError_tPvRmT3_T4_T5_T6_T7_T9_mT8_P12ihipStream_tbDpT10_ENKUlT_T0_E_clISt17integral_constantIbLb0EES1A_IbLb1EEEEDaS16_S17_EUlS16_E_NS1_11comp_targetILNS1_3genE9ELNS1_11target_archE1100ELNS1_3gpuE3ELNS1_3repE0EEENS1_30default_config_static_selectorELNS0_4arch9wavefront6targetE0EEEvT1_.has_recursion, 0
	.set _ZN7rocprim17ROCPRIM_400000_NS6detail17trampoline_kernelINS0_14default_configENS1_25partition_config_selectorILNS1_17partition_subalgoE5EjNS0_10empty_typeEbEEZZNS1_14partition_implILS5_5ELb0ES3_mN6thrust23THRUST_200600_302600_NS6detail15normal_iteratorINSA_10device_ptrIjEEEEPS6_NSA_18transform_iteratorINSB_9not_fun_tI7is_trueIjEEESF_NSA_11use_defaultESM_EENS0_5tupleIJSF_S6_EEENSO_IJSG_SG_EEES6_PlJS6_EEE10hipError_tPvRmT3_T4_T5_T6_T7_T9_mT8_P12ihipStream_tbDpT10_ENKUlT_T0_E_clISt17integral_constantIbLb0EES1A_IbLb1EEEEDaS16_S17_EUlS16_E_NS1_11comp_targetILNS1_3genE9ELNS1_11target_archE1100ELNS1_3gpuE3ELNS1_3repE0EEENS1_30default_config_static_selectorELNS0_4arch9wavefront6targetE0EEEvT1_.has_indirect_call, 0
	.section	.AMDGPU.csdata,"",@progbits
; Kernel info:
; codeLenInByte = 0
; TotalNumSgprs: 0
; NumVgprs: 0
; ScratchSize: 0
; MemoryBound: 0
; FloatMode: 240
; IeeeMode: 1
; LDSByteSize: 0 bytes/workgroup (compile time only)
; SGPRBlocks: 0
; VGPRBlocks: 0
; NumSGPRsForWavesPerEU: 1
; NumVGPRsForWavesPerEU: 1
; Occupancy: 16
; WaveLimiterHint : 0
; COMPUTE_PGM_RSRC2:SCRATCH_EN: 0
; COMPUTE_PGM_RSRC2:USER_SGPR: 2
; COMPUTE_PGM_RSRC2:TRAP_HANDLER: 0
; COMPUTE_PGM_RSRC2:TGID_X_EN: 1
; COMPUTE_PGM_RSRC2:TGID_Y_EN: 0
; COMPUTE_PGM_RSRC2:TGID_Z_EN: 0
; COMPUTE_PGM_RSRC2:TIDIG_COMP_CNT: 0
	.section	.text._ZN7rocprim17ROCPRIM_400000_NS6detail17trampoline_kernelINS0_14default_configENS1_25partition_config_selectorILNS1_17partition_subalgoE5EjNS0_10empty_typeEbEEZZNS1_14partition_implILS5_5ELb0ES3_mN6thrust23THRUST_200600_302600_NS6detail15normal_iteratorINSA_10device_ptrIjEEEEPS6_NSA_18transform_iteratorINSB_9not_fun_tI7is_trueIjEEESF_NSA_11use_defaultESM_EENS0_5tupleIJSF_S6_EEENSO_IJSG_SG_EEES6_PlJS6_EEE10hipError_tPvRmT3_T4_T5_T6_T7_T9_mT8_P12ihipStream_tbDpT10_ENKUlT_T0_E_clISt17integral_constantIbLb0EES1A_IbLb1EEEEDaS16_S17_EUlS16_E_NS1_11comp_targetILNS1_3genE8ELNS1_11target_archE1030ELNS1_3gpuE2ELNS1_3repE0EEENS1_30default_config_static_selectorELNS0_4arch9wavefront6targetE0EEEvT1_,"axG",@progbits,_ZN7rocprim17ROCPRIM_400000_NS6detail17trampoline_kernelINS0_14default_configENS1_25partition_config_selectorILNS1_17partition_subalgoE5EjNS0_10empty_typeEbEEZZNS1_14partition_implILS5_5ELb0ES3_mN6thrust23THRUST_200600_302600_NS6detail15normal_iteratorINSA_10device_ptrIjEEEEPS6_NSA_18transform_iteratorINSB_9not_fun_tI7is_trueIjEEESF_NSA_11use_defaultESM_EENS0_5tupleIJSF_S6_EEENSO_IJSG_SG_EEES6_PlJS6_EEE10hipError_tPvRmT3_T4_T5_T6_T7_T9_mT8_P12ihipStream_tbDpT10_ENKUlT_T0_E_clISt17integral_constantIbLb0EES1A_IbLb1EEEEDaS16_S17_EUlS16_E_NS1_11comp_targetILNS1_3genE8ELNS1_11target_archE1030ELNS1_3gpuE2ELNS1_3repE0EEENS1_30default_config_static_selectorELNS0_4arch9wavefront6targetE0EEEvT1_,comdat
	.protected	_ZN7rocprim17ROCPRIM_400000_NS6detail17trampoline_kernelINS0_14default_configENS1_25partition_config_selectorILNS1_17partition_subalgoE5EjNS0_10empty_typeEbEEZZNS1_14partition_implILS5_5ELb0ES3_mN6thrust23THRUST_200600_302600_NS6detail15normal_iteratorINSA_10device_ptrIjEEEEPS6_NSA_18transform_iteratorINSB_9not_fun_tI7is_trueIjEEESF_NSA_11use_defaultESM_EENS0_5tupleIJSF_S6_EEENSO_IJSG_SG_EEES6_PlJS6_EEE10hipError_tPvRmT3_T4_T5_T6_T7_T9_mT8_P12ihipStream_tbDpT10_ENKUlT_T0_E_clISt17integral_constantIbLb0EES1A_IbLb1EEEEDaS16_S17_EUlS16_E_NS1_11comp_targetILNS1_3genE8ELNS1_11target_archE1030ELNS1_3gpuE2ELNS1_3repE0EEENS1_30default_config_static_selectorELNS0_4arch9wavefront6targetE0EEEvT1_ ; -- Begin function _ZN7rocprim17ROCPRIM_400000_NS6detail17trampoline_kernelINS0_14default_configENS1_25partition_config_selectorILNS1_17partition_subalgoE5EjNS0_10empty_typeEbEEZZNS1_14partition_implILS5_5ELb0ES3_mN6thrust23THRUST_200600_302600_NS6detail15normal_iteratorINSA_10device_ptrIjEEEEPS6_NSA_18transform_iteratorINSB_9not_fun_tI7is_trueIjEEESF_NSA_11use_defaultESM_EENS0_5tupleIJSF_S6_EEENSO_IJSG_SG_EEES6_PlJS6_EEE10hipError_tPvRmT3_T4_T5_T6_T7_T9_mT8_P12ihipStream_tbDpT10_ENKUlT_T0_E_clISt17integral_constantIbLb0EES1A_IbLb1EEEEDaS16_S17_EUlS16_E_NS1_11comp_targetILNS1_3genE8ELNS1_11target_archE1030ELNS1_3gpuE2ELNS1_3repE0EEENS1_30default_config_static_selectorELNS0_4arch9wavefront6targetE0EEEvT1_
	.globl	_ZN7rocprim17ROCPRIM_400000_NS6detail17trampoline_kernelINS0_14default_configENS1_25partition_config_selectorILNS1_17partition_subalgoE5EjNS0_10empty_typeEbEEZZNS1_14partition_implILS5_5ELb0ES3_mN6thrust23THRUST_200600_302600_NS6detail15normal_iteratorINSA_10device_ptrIjEEEEPS6_NSA_18transform_iteratorINSB_9not_fun_tI7is_trueIjEEESF_NSA_11use_defaultESM_EENS0_5tupleIJSF_S6_EEENSO_IJSG_SG_EEES6_PlJS6_EEE10hipError_tPvRmT3_T4_T5_T6_T7_T9_mT8_P12ihipStream_tbDpT10_ENKUlT_T0_E_clISt17integral_constantIbLb0EES1A_IbLb1EEEEDaS16_S17_EUlS16_E_NS1_11comp_targetILNS1_3genE8ELNS1_11target_archE1030ELNS1_3gpuE2ELNS1_3repE0EEENS1_30default_config_static_selectorELNS0_4arch9wavefront6targetE0EEEvT1_
	.p2align	8
	.type	_ZN7rocprim17ROCPRIM_400000_NS6detail17trampoline_kernelINS0_14default_configENS1_25partition_config_selectorILNS1_17partition_subalgoE5EjNS0_10empty_typeEbEEZZNS1_14partition_implILS5_5ELb0ES3_mN6thrust23THRUST_200600_302600_NS6detail15normal_iteratorINSA_10device_ptrIjEEEEPS6_NSA_18transform_iteratorINSB_9not_fun_tI7is_trueIjEEESF_NSA_11use_defaultESM_EENS0_5tupleIJSF_S6_EEENSO_IJSG_SG_EEES6_PlJS6_EEE10hipError_tPvRmT3_T4_T5_T6_T7_T9_mT8_P12ihipStream_tbDpT10_ENKUlT_T0_E_clISt17integral_constantIbLb0EES1A_IbLb1EEEEDaS16_S17_EUlS16_E_NS1_11comp_targetILNS1_3genE8ELNS1_11target_archE1030ELNS1_3gpuE2ELNS1_3repE0EEENS1_30default_config_static_selectorELNS0_4arch9wavefront6targetE0EEEvT1_,@function
_ZN7rocprim17ROCPRIM_400000_NS6detail17trampoline_kernelINS0_14default_configENS1_25partition_config_selectorILNS1_17partition_subalgoE5EjNS0_10empty_typeEbEEZZNS1_14partition_implILS5_5ELb0ES3_mN6thrust23THRUST_200600_302600_NS6detail15normal_iteratorINSA_10device_ptrIjEEEEPS6_NSA_18transform_iteratorINSB_9not_fun_tI7is_trueIjEEESF_NSA_11use_defaultESM_EENS0_5tupleIJSF_S6_EEENSO_IJSG_SG_EEES6_PlJS6_EEE10hipError_tPvRmT3_T4_T5_T6_T7_T9_mT8_P12ihipStream_tbDpT10_ENKUlT_T0_E_clISt17integral_constantIbLb0EES1A_IbLb1EEEEDaS16_S17_EUlS16_E_NS1_11comp_targetILNS1_3genE8ELNS1_11target_archE1030ELNS1_3gpuE2ELNS1_3repE0EEENS1_30default_config_static_selectorELNS0_4arch9wavefront6targetE0EEEvT1_: ; @_ZN7rocprim17ROCPRIM_400000_NS6detail17trampoline_kernelINS0_14default_configENS1_25partition_config_selectorILNS1_17partition_subalgoE5EjNS0_10empty_typeEbEEZZNS1_14partition_implILS5_5ELb0ES3_mN6thrust23THRUST_200600_302600_NS6detail15normal_iteratorINSA_10device_ptrIjEEEEPS6_NSA_18transform_iteratorINSB_9not_fun_tI7is_trueIjEEESF_NSA_11use_defaultESM_EENS0_5tupleIJSF_S6_EEENSO_IJSG_SG_EEES6_PlJS6_EEE10hipError_tPvRmT3_T4_T5_T6_T7_T9_mT8_P12ihipStream_tbDpT10_ENKUlT_T0_E_clISt17integral_constantIbLb0EES1A_IbLb1EEEEDaS16_S17_EUlS16_E_NS1_11comp_targetILNS1_3genE8ELNS1_11target_archE1030ELNS1_3gpuE2ELNS1_3repE0EEENS1_30default_config_static_selectorELNS0_4arch9wavefront6targetE0EEEvT1_
; %bb.0:
	.section	.rodata,"a",@progbits
	.p2align	6, 0x0
	.amdhsa_kernel _ZN7rocprim17ROCPRIM_400000_NS6detail17trampoline_kernelINS0_14default_configENS1_25partition_config_selectorILNS1_17partition_subalgoE5EjNS0_10empty_typeEbEEZZNS1_14partition_implILS5_5ELb0ES3_mN6thrust23THRUST_200600_302600_NS6detail15normal_iteratorINSA_10device_ptrIjEEEEPS6_NSA_18transform_iteratorINSB_9not_fun_tI7is_trueIjEEESF_NSA_11use_defaultESM_EENS0_5tupleIJSF_S6_EEENSO_IJSG_SG_EEES6_PlJS6_EEE10hipError_tPvRmT3_T4_T5_T6_T7_T9_mT8_P12ihipStream_tbDpT10_ENKUlT_T0_E_clISt17integral_constantIbLb0EES1A_IbLb1EEEEDaS16_S17_EUlS16_E_NS1_11comp_targetILNS1_3genE8ELNS1_11target_archE1030ELNS1_3gpuE2ELNS1_3repE0EEENS1_30default_config_static_selectorELNS0_4arch9wavefront6targetE0EEEvT1_
		.amdhsa_group_segment_fixed_size 0
		.amdhsa_private_segment_fixed_size 0
		.amdhsa_kernarg_size 136
		.amdhsa_user_sgpr_count 2
		.amdhsa_user_sgpr_dispatch_ptr 0
		.amdhsa_user_sgpr_queue_ptr 0
		.amdhsa_user_sgpr_kernarg_segment_ptr 1
		.amdhsa_user_sgpr_dispatch_id 0
		.amdhsa_user_sgpr_private_segment_size 0
		.amdhsa_wavefront_size32 1
		.amdhsa_uses_dynamic_stack 0
		.amdhsa_enable_private_segment 0
		.amdhsa_system_sgpr_workgroup_id_x 1
		.amdhsa_system_sgpr_workgroup_id_y 0
		.amdhsa_system_sgpr_workgroup_id_z 0
		.amdhsa_system_sgpr_workgroup_info 0
		.amdhsa_system_vgpr_workitem_id 0
		.amdhsa_next_free_vgpr 1
		.amdhsa_next_free_sgpr 1
		.amdhsa_reserve_vcc 0
		.amdhsa_float_round_mode_32 0
		.amdhsa_float_round_mode_16_64 0
		.amdhsa_float_denorm_mode_32 3
		.amdhsa_float_denorm_mode_16_64 3
		.amdhsa_fp16_overflow 0
		.amdhsa_workgroup_processor_mode 1
		.amdhsa_memory_ordered 1
		.amdhsa_forward_progress 1
		.amdhsa_inst_pref_size 0
		.amdhsa_round_robin_scheduling 0
		.amdhsa_exception_fp_ieee_invalid_op 0
		.amdhsa_exception_fp_denorm_src 0
		.amdhsa_exception_fp_ieee_div_zero 0
		.amdhsa_exception_fp_ieee_overflow 0
		.amdhsa_exception_fp_ieee_underflow 0
		.amdhsa_exception_fp_ieee_inexact 0
		.amdhsa_exception_int_div_zero 0
	.end_amdhsa_kernel
	.section	.text._ZN7rocprim17ROCPRIM_400000_NS6detail17trampoline_kernelINS0_14default_configENS1_25partition_config_selectorILNS1_17partition_subalgoE5EjNS0_10empty_typeEbEEZZNS1_14partition_implILS5_5ELb0ES3_mN6thrust23THRUST_200600_302600_NS6detail15normal_iteratorINSA_10device_ptrIjEEEEPS6_NSA_18transform_iteratorINSB_9not_fun_tI7is_trueIjEEESF_NSA_11use_defaultESM_EENS0_5tupleIJSF_S6_EEENSO_IJSG_SG_EEES6_PlJS6_EEE10hipError_tPvRmT3_T4_T5_T6_T7_T9_mT8_P12ihipStream_tbDpT10_ENKUlT_T0_E_clISt17integral_constantIbLb0EES1A_IbLb1EEEEDaS16_S17_EUlS16_E_NS1_11comp_targetILNS1_3genE8ELNS1_11target_archE1030ELNS1_3gpuE2ELNS1_3repE0EEENS1_30default_config_static_selectorELNS0_4arch9wavefront6targetE0EEEvT1_,"axG",@progbits,_ZN7rocprim17ROCPRIM_400000_NS6detail17trampoline_kernelINS0_14default_configENS1_25partition_config_selectorILNS1_17partition_subalgoE5EjNS0_10empty_typeEbEEZZNS1_14partition_implILS5_5ELb0ES3_mN6thrust23THRUST_200600_302600_NS6detail15normal_iteratorINSA_10device_ptrIjEEEEPS6_NSA_18transform_iteratorINSB_9not_fun_tI7is_trueIjEEESF_NSA_11use_defaultESM_EENS0_5tupleIJSF_S6_EEENSO_IJSG_SG_EEES6_PlJS6_EEE10hipError_tPvRmT3_T4_T5_T6_T7_T9_mT8_P12ihipStream_tbDpT10_ENKUlT_T0_E_clISt17integral_constantIbLb0EES1A_IbLb1EEEEDaS16_S17_EUlS16_E_NS1_11comp_targetILNS1_3genE8ELNS1_11target_archE1030ELNS1_3gpuE2ELNS1_3repE0EEENS1_30default_config_static_selectorELNS0_4arch9wavefront6targetE0EEEvT1_,comdat
.Lfunc_end1432:
	.size	_ZN7rocprim17ROCPRIM_400000_NS6detail17trampoline_kernelINS0_14default_configENS1_25partition_config_selectorILNS1_17partition_subalgoE5EjNS0_10empty_typeEbEEZZNS1_14partition_implILS5_5ELb0ES3_mN6thrust23THRUST_200600_302600_NS6detail15normal_iteratorINSA_10device_ptrIjEEEEPS6_NSA_18transform_iteratorINSB_9not_fun_tI7is_trueIjEEESF_NSA_11use_defaultESM_EENS0_5tupleIJSF_S6_EEENSO_IJSG_SG_EEES6_PlJS6_EEE10hipError_tPvRmT3_T4_T5_T6_T7_T9_mT8_P12ihipStream_tbDpT10_ENKUlT_T0_E_clISt17integral_constantIbLb0EES1A_IbLb1EEEEDaS16_S17_EUlS16_E_NS1_11comp_targetILNS1_3genE8ELNS1_11target_archE1030ELNS1_3gpuE2ELNS1_3repE0EEENS1_30default_config_static_selectorELNS0_4arch9wavefront6targetE0EEEvT1_, .Lfunc_end1432-_ZN7rocprim17ROCPRIM_400000_NS6detail17trampoline_kernelINS0_14default_configENS1_25partition_config_selectorILNS1_17partition_subalgoE5EjNS0_10empty_typeEbEEZZNS1_14partition_implILS5_5ELb0ES3_mN6thrust23THRUST_200600_302600_NS6detail15normal_iteratorINSA_10device_ptrIjEEEEPS6_NSA_18transform_iteratorINSB_9not_fun_tI7is_trueIjEEESF_NSA_11use_defaultESM_EENS0_5tupleIJSF_S6_EEENSO_IJSG_SG_EEES6_PlJS6_EEE10hipError_tPvRmT3_T4_T5_T6_T7_T9_mT8_P12ihipStream_tbDpT10_ENKUlT_T0_E_clISt17integral_constantIbLb0EES1A_IbLb1EEEEDaS16_S17_EUlS16_E_NS1_11comp_targetILNS1_3genE8ELNS1_11target_archE1030ELNS1_3gpuE2ELNS1_3repE0EEENS1_30default_config_static_selectorELNS0_4arch9wavefront6targetE0EEEvT1_
                                        ; -- End function
	.set _ZN7rocprim17ROCPRIM_400000_NS6detail17trampoline_kernelINS0_14default_configENS1_25partition_config_selectorILNS1_17partition_subalgoE5EjNS0_10empty_typeEbEEZZNS1_14partition_implILS5_5ELb0ES3_mN6thrust23THRUST_200600_302600_NS6detail15normal_iteratorINSA_10device_ptrIjEEEEPS6_NSA_18transform_iteratorINSB_9not_fun_tI7is_trueIjEEESF_NSA_11use_defaultESM_EENS0_5tupleIJSF_S6_EEENSO_IJSG_SG_EEES6_PlJS6_EEE10hipError_tPvRmT3_T4_T5_T6_T7_T9_mT8_P12ihipStream_tbDpT10_ENKUlT_T0_E_clISt17integral_constantIbLb0EES1A_IbLb1EEEEDaS16_S17_EUlS16_E_NS1_11comp_targetILNS1_3genE8ELNS1_11target_archE1030ELNS1_3gpuE2ELNS1_3repE0EEENS1_30default_config_static_selectorELNS0_4arch9wavefront6targetE0EEEvT1_.num_vgpr, 0
	.set _ZN7rocprim17ROCPRIM_400000_NS6detail17trampoline_kernelINS0_14default_configENS1_25partition_config_selectorILNS1_17partition_subalgoE5EjNS0_10empty_typeEbEEZZNS1_14partition_implILS5_5ELb0ES3_mN6thrust23THRUST_200600_302600_NS6detail15normal_iteratorINSA_10device_ptrIjEEEEPS6_NSA_18transform_iteratorINSB_9not_fun_tI7is_trueIjEEESF_NSA_11use_defaultESM_EENS0_5tupleIJSF_S6_EEENSO_IJSG_SG_EEES6_PlJS6_EEE10hipError_tPvRmT3_T4_T5_T6_T7_T9_mT8_P12ihipStream_tbDpT10_ENKUlT_T0_E_clISt17integral_constantIbLb0EES1A_IbLb1EEEEDaS16_S17_EUlS16_E_NS1_11comp_targetILNS1_3genE8ELNS1_11target_archE1030ELNS1_3gpuE2ELNS1_3repE0EEENS1_30default_config_static_selectorELNS0_4arch9wavefront6targetE0EEEvT1_.num_agpr, 0
	.set _ZN7rocprim17ROCPRIM_400000_NS6detail17trampoline_kernelINS0_14default_configENS1_25partition_config_selectorILNS1_17partition_subalgoE5EjNS0_10empty_typeEbEEZZNS1_14partition_implILS5_5ELb0ES3_mN6thrust23THRUST_200600_302600_NS6detail15normal_iteratorINSA_10device_ptrIjEEEEPS6_NSA_18transform_iteratorINSB_9not_fun_tI7is_trueIjEEESF_NSA_11use_defaultESM_EENS0_5tupleIJSF_S6_EEENSO_IJSG_SG_EEES6_PlJS6_EEE10hipError_tPvRmT3_T4_T5_T6_T7_T9_mT8_P12ihipStream_tbDpT10_ENKUlT_T0_E_clISt17integral_constantIbLb0EES1A_IbLb1EEEEDaS16_S17_EUlS16_E_NS1_11comp_targetILNS1_3genE8ELNS1_11target_archE1030ELNS1_3gpuE2ELNS1_3repE0EEENS1_30default_config_static_selectorELNS0_4arch9wavefront6targetE0EEEvT1_.numbered_sgpr, 0
	.set _ZN7rocprim17ROCPRIM_400000_NS6detail17trampoline_kernelINS0_14default_configENS1_25partition_config_selectorILNS1_17partition_subalgoE5EjNS0_10empty_typeEbEEZZNS1_14partition_implILS5_5ELb0ES3_mN6thrust23THRUST_200600_302600_NS6detail15normal_iteratorINSA_10device_ptrIjEEEEPS6_NSA_18transform_iteratorINSB_9not_fun_tI7is_trueIjEEESF_NSA_11use_defaultESM_EENS0_5tupleIJSF_S6_EEENSO_IJSG_SG_EEES6_PlJS6_EEE10hipError_tPvRmT3_T4_T5_T6_T7_T9_mT8_P12ihipStream_tbDpT10_ENKUlT_T0_E_clISt17integral_constantIbLb0EES1A_IbLb1EEEEDaS16_S17_EUlS16_E_NS1_11comp_targetILNS1_3genE8ELNS1_11target_archE1030ELNS1_3gpuE2ELNS1_3repE0EEENS1_30default_config_static_selectorELNS0_4arch9wavefront6targetE0EEEvT1_.num_named_barrier, 0
	.set _ZN7rocprim17ROCPRIM_400000_NS6detail17trampoline_kernelINS0_14default_configENS1_25partition_config_selectorILNS1_17partition_subalgoE5EjNS0_10empty_typeEbEEZZNS1_14partition_implILS5_5ELb0ES3_mN6thrust23THRUST_200600_302600_NS6detail15normal_iteratorINSA_10device_ptrIjEEEEPS6_NSA_18transform_iteratorINSB_9not_fun_tI7is_trueIjEEESF_NSA_11use_defaultESM_EENS0_5tupleIJSF_S6_EEENSO_IJSG_SG_EEES6_PlJS6_EEE10hipError_tPvRmT3_T4_T5_T6_T7_T9_mT8_P12ihipStream_tbDpT10_ENKUlT_T0_E_clISt17integral_constantIbLb0EES1A_IbLb1EEEEDaS16_S17_EUlS16_E_NS1_11comp_targetILNS1_3genE8ELNS1_11target_archE1030ELNS1_3gpuE2ELNS1_3repE0EEENS1_30default_config_static_selectorELNS0_4arch9wavefront6targetE0EEEvT1_.private_seg_size, 0
	.set _ZN7rocprim17ROCPRIM_400000_NS6detail17trampoline_kernelINS0_14default_configENS1_25partition_config_selectorILNS1_17partition_subalgoE5EjNS0_10empty_typeEbEEZZNS1_14partition_implILS5_5ELb0ES3_mN6thrust23THRUST_200600_302600_NS6detail15normal_iteratorINSA_10device_ptrIjEEEEPS6_NSA_18transform_iteratorINSB_9not_fun_tI7is_trueIjEEESF_NSA_11use_defaultESM_EENS0_5tupleIJSF_S6_EEENSO_IJSG_SG_EEES6_PlJS6_EEE10hipError_tPvRmT3_T4_T5_T6_T7_T9_mT8_P12ihipStream_tbDpT10_ENKUlT_T0_E_clISt17integral_constantIbLb0EES1A_IbLb1EEEEDaS16_S17_EUlS16_E_NS1_11comp_targetILNS1_3genE8ELNS1_11target_archE1030ELNS1_3gpuE2ELNS1_3repE0EEENS1_30default_config_static_selectorELNS0_4arch9wavefront6targetE0EEEvT1_.uses_vcc, 0
	.set _ZN7rocprim17ROCPRIM_400000_NS6detail17trampoline_kernelINS0_14default_configENS1_25partition_config_selectorILNS1_17partition_subalgoE5EjNS0_10empty_typeEbEEZZNS1_14partition_implILS5_5ELb0ES3_mN6thrust23THRUST_200600_302600_NS6detail15normal_iteratorINSA_10device_ptrIjEEEEPS6_NSA_18transform_iteratorINSB_9not_fun_tI7is_trueIjEEESF_NSA_11use_defaultESM_EENS0_5tupleIJSF_S6_EEENSO_IJSG_SG_EEES6_PlJS6_EEE10hipError_tPvRmT3_T4_T5_T6_T7_T9_mT8_P12ihipStream_tbDpT10_ENKUlT_T0_E_clISt17integral_constantIbLb0EES1A_IbLb1EEEEDaS16_S17_EUlS16_E_NS1_11comp_targetILNS1_3genE8ELNS1_11target_archE1030ELNS1_3gpuE2ELNS1_3repE0EEENS1_30default_config_static_selectorELNS0_4arch9wavefront6targetE0EEEvT1_.uses_flat_scratch, 0
	.set _ZN7rocprim17ROCPRIM_400000_NS6detail17trampoline_kernelINS0_14default_configENS1_25partition_config_selectorILNS1_17partition_subalgoE5EjNS0_10empty_typeEbEEZZNS1_14partition_implILS5_5ELb0ES3_mN6thrust23THRUST_200600_302600_NS6detail15normal_iteratorINSA_10device_ptrIjEEEEPS6_NSA_18transform_iteratorINSB_9not_fun_tI7is_trueIjEEESF_NSA_11use_defaultESM_EENS0_5tupleIJSF_S6_EEENSO_IJSG_SG_EEES6_PlJS6_EEE10hipError_tPvRmT3_T4_T5_T6_T7_T9_mT8_P12ihipStream_tbDpT10_ENKUlT_T0_E_clISt17integral_constantIbLb0EES1A_IbLb1EEEEDaS16_S17_EUlS16_E_NS1_11comp_targetILNS1_3genE8ELNS1_11target_archE1030ELNS1_3gpuE2ELNS1_3repE0EEENS1_30default_config_static_selectorELNS0_4arch9wavefront6targetE0EEEvT1_.has_dyn_sized_stack, 0
	.set _ZN7rocprim17ROCPRIM_400000_NS6detail17trampoline_kernelINS0_14default_configENS1_25partition_config_selectorILNS1_17partition_subalgoE5EjNS0_10empty_typeEbEEZZNS1_14partition_implILS5_5ELb0ES3_mN6thrust23THRUST_200600_302600_NS6detail15normal_iteratorINSA_10device_ptrIjEEEEPS6_NSA_18transform_iteratorINSB_9not_fun_tI7is_trueIjEEESF_NSA_11use_defaultESM_EENS0_5tupleIJSF_S6_EEENSO_IJSG_SG_EEES6_PlJS6_EEE10hipError_tPvRmT3_T4_T5_T6_T7_T9_mT8_P12ihipStream_tbDpT10_ENKUlT_T0_E_clISt17integral_constantIbLb0EES1A_IbLb1EEEEDaS16_S17_EUlS16_E_NS1_11comp_targetILNS1_3genE8ELNS1_11target_archE1030ELNS1_3gpuE2ELNS1_3repE0EEENS1_30default_config_static_selectorELNS0_4arch9wavefront6targetE0EEEvT1_.has_recursion, 0
	.set _ZN7rocprim17ROCPRIM_400000_NS6detail17trampoline_kernelINS0_14default_configENS1_25partition_config_selectorILNS1_17partition_subalgoE5EjNS0_10empty_typeEbEEZZNS1_14partition_implILS5_5ELb0ES3_mN6thrust23THRUST_200600_302600_NS6detail15normal_iteratorINSA_10device_ptrIjEEEEPS6_NSA_18transform_iteratorINSB_9not_fun_tI7is_trueIjEEESF_NSA_11use_defaultESM_EENS0_5tupleIJSF_S6_EEENSO_IJSG_SG_EEES6_PlJS6_EEE10hipError_tPvRmT3_T4_T5_T6_T7_T9_mT8_P12ihipStream_tbDpT10_ENKUlT_T0_E_clISt17integral_constantIbLb0EES1A_IbLb1EEEEDaS16_S17_EUlS16_E_NS1_11comp_targetILNS1_3genE8ELNS1_11target_archE1030ELNS1_3gpuE2ELNS1_3repE0EEENS1_30default_config_static_selectorELNS0_4arch9wavefront6targetE0EEEvT1_.has_indirect_call, 0
	.section	.AMDGPU.csdata,"",@progbits
; Kernel info:
; codeLenInByte = 0
; TotalNumSgprs: 0
; NumVgprs: 0
; ScratchSize: 0
; MemoryBound: 0
; FloatMode: 240
; IeeeMode: 1
; LDSByteSize: 0 bytes/workgroup (compile time only)
; SGPRBlocks: 0
; VGPRBlocks: 0
; NumSGPRsForWavesPerEU: 1
; NumVGPRsForWavesPerEU: 1
; Occupancy: 16
; WaveLimiterHint : 0
; COMPUTE_PGM_RSRC2:SCRATCH_EN: 0
; COMPUTE_PGM_RSRC2:USER_SGPR: 2
; COMPUTE_PGM_RSRC2:TRAP_HANDLER: 0
; COMPUTE_PGM_RSRC2:TGID_X_EN: 1
; COMPUTE_PGM_RSRC2:TGID_Y_EN: 0
; COMPUTE_PGM_RSRC2:TGID_Z_EN: 0
; COMPUTE_PGM_RSRC2:TIDIG_COMP_CNT: 0
	.section	.text._ZN6thrust23THRUST_200600_302600_NS11hip_rocprim14__parallel_for6kernelILj256ENS1_11__transform17unary_transform_fINS0_7pointerIbNS1_3tagENS0_11use_defaultES8_EENS0_10device_ptrItEENS4_14no_stencil_tagENS0_8identityIbEENS4_21always_true_predicateEEElLj1EEEvT0_T1_SI_,"axG",@progbits,_ZN6thrust23THRUST_200600_302600_NS11hip_rocprim14__parallel_for6kernelILj256ENS1_11__transform17unary_transform_fINS0_7pointerIbNS1_3tagENS0_11use_defaultES8_EENS0_10device_ptrItEENS4_14no_stencil_tagENS0_8identityIbEENS4_21always_true_predicateEEElLj1EEEvT0_T1_SI_,comdat
	.protected	_ZN6thrust23THRUST_200600_302600_NS11hip_rocprim14__parallel_for6kernelILj256ENS1_11__transform17unary_transform_fINS0_7pointerIbNS1_3tagENS0_11use_defaultES8_EENS0_10device_ptrItEENS4_14no_stencil_tagENS0_8identityIbEENS4_21always_true_predicateEEElLj1EEEvT0_T1_SI_ ; -- Begin function _ZN6thrust23THRUST_200600_302600_NS11hip_rocprim14__parallel_for6kernelILj256ENS1_11__transform17unary_transform_fINS0_7pointerIbNS1_3tagENS0_11use_defaultES8_EENS0_10device_ptrItEENS4_14no_stencil_tagENS0_8identityIbEENS4_21always_true_predicateEEElLj1EEEvT0_T1_SI_
	.globl	_ZN6thrust23THRUST_200600_302600_NS11hip_rocprim14__parallel_for6kernelILj256ENS1_11__transform17unary_transform_fINS0_7pointerIbNS1_3tagENS0_11use_defaultES8_EENS0_10device_ptrItEENS4_14no_stencil_tagENS0_8identityIbEENS4_21always_true_predicateEEElLj1EEEvT0_T1_SI_
	.p2align	8
	.type	_ZN6thrust23THRUST_200600_302600_NS11hip_rocprim14__parallel_for6kernelILj256ENS1_11__transform17unary_transform_fINS0_7pointerIbNS1_3tagENS0_11use_defaultES8_EENS0_10device_ptrItEENS4_14no_stencil_tagENS0_8identityIbEENS4_21always_true_predicateEEElLj1EEEvT0_T1_SI_,@function
_ZN6thrust23THRUST_200600_302600_NS11hip_rocprim14__parallel_for6kernelILj256ENS1_11__transform17unary_transform_fINS0_7pointerIbNS1_3tagENS0_11use_defaultES8_EENS0_10device_ptrItEENS4_14no_stencil_tagENS0_8identityIbEENS4_21always_true_predicateEEElLj1EEEvT0_T1_SI_: ; @_ZN6thrust23THRUST_200600_302600_NS11hip_rocprim14__parallel_for6kernelILj256ENS1_11__transform17unary_transform_fINS0_7pointerIbNS1_3tagENS0_11use_defaultES8_EENS0_10device_ptrItEENS4_14no_stencil_tagENS0_8identityIbEENS4_21always_true_predicateEEElLj1EEEvT0_T1_SI_
; %bb.0:
	s_clause 0x1
	s_load_b128 s[8:11], s[0:1], 0x18
	s_load_b128 s[0:3], s[0:1], 0x0
	s_lshl_b32 s4, ttmp9, 8
	s_mov_b32 s5, 0
	s_wait_kmcnt 0x0
	s_add_nc_u64 s[4:5], s[10:11], s[4:5]
	s_delay_alu instid0(SALU_CYCLE_1) | instskip(NEXT) | instid1(SALU_CYCLE_1)
	s_sub_nc_u64 s[6:7], s[8:9], s[4:5]
	v_cmp_gt_i64_e64 s7, 0x100, s[6:7]
	s_and_b32 s7, s7, exec_lo
	s_cselect_b32 s7, s6, 0x100
	s_mov_b32 s6, -1
	s_wait_alu 0xfffe
	s_cmp_eq_u32 s7, 0x100
	s_cbranch_scc0 .LBB1433_3
; %bb.1:
	s_and_not1_b32 vcc_lo, exec_lo, s6
	s_cbranch_vccz .LBB1433_6
.LBB1433_2:
	s_endpgm
.LBB1433_3:
	s_mov_b32 s6, exec_lo
	v_cmpx_gt_u32_e64 s7, v0
	s_cbranch_execz .LBB1433_5
; %bb.4:
	v_add_co_u32 v1, s7, s4, v0
	s_wait_alu 0xf1ff
	v_add_co_ci_u32_e64 v2, null, s5, 0, s7
	s_delay_alu instid0(VALU_DEP_2) | instskip(NEXT) | instid1(VALU_DEP_1)
	v_add_co_u32 v3, vcc_lo, s0, v1
	v_add_co_ci_u32_e64 v4, null, s1, v2, vcc_lo
	v_lshlrev_b64_e32 v[1:2], 1, v[1:2]
	flat_load_u8 v3, v[3:4]
	v_add_co_u32 v1, vcc_lo, s2, v1
	s_wait_alu 0xfffd
	v_add_co_ci_u32_e64 v2, null, s3, v2, vcc_lo
	s_wait_loadcnt_dscnt 0x0
	flat_store_b16 v[1:2], v3
.LBB1433_5:
	s_wait_alu 0xfffe
	s_or_b32 exec_lo, exec_lo, s6
	s_cbranch_execnz .LBB1433_2
.LBB1433_6:
	v_add_co_u32 v0, s4, s4, v0
	s_wait_alu 0xf1ff
	v_add_co_ci_u32_e64 v1, null, s5, 0, s4
	s_delay_alu instid0(VALU_DEP_2) | instskip(SKIP_1) | instid1(VALU_DEP_2)
	v_add_co_u32 v2, vcc_lo, s0, v0
	s_wait_alu 0xfffd
	v_add_co_ci_u32_e64 v3, null, s1, v1, vcc_lo
	v_lshlrev_b64_e32 v[0:1], 1, v[0:1]
	flat_load_u8 v2, v[2:3]
	v_add_co_u32 v0, vcc_lo, s2, v0
	s_wait_alu 0xfffd
	v_add_co_ci_u32_e64 v1, null, s3, v1, vcc_lo
	s_wait_loadcnt_dscnt 0x0
	flat_store_b16 v[0:1], v2
	s_endpgm
	.section	.rodata,"a",@progbits
	.p2align	6, 0x0
	.amdhsa_kernel _ZN6thrust23THRUST_200600_302600_NS11hip_rocprim14__parallel_for6kernelILj256ENS1_11__transform17unary_transform_fINS0_7pointerIbNS1_3tagENS0_11use_defaultES8_EENS0_10device_ptrItEENS4_14no_stencil_tagENS0_8identityIbEENS4_21always_true_predicateEEElLj1EEEvT0_T1_SI_
		.amdhsa_group_segment_fixed_size 0
		.amdhsa_private_segment_fixed_size 0
		.amdhsa_kernarg_size 40
		.amdhsa_user_sgpr_count 2
		.amdhsa_user_sgpr_dispatch_ptr 0
		.amdhsa_user_sgpr_queue_ptr 0
		.amdhsa_user_sgpr_kernarg_segment_ptr 1
		.amdhsa_user_sgpr_dispatch_id 0
		.amdhsa_user_sgpr_private_segment_size 0
		.amdhsa_wavefront_size32 1
		.amdhsa_uses_dynamic_stack 0
		.amdhsa_enable_private_segment 0
		.amdhsa_system_sgpr_workgroup_id_x 1
		.amdhsa_system_sgpr_workgroup_id_y 0
		.amdhsa_system_sgpr_workgroup_id_z 0
		.amdhsa_system_sgpr_workgroup_info 0
		.amdhsa_system_vgpr_workitem_id 0
		.amdhsa_next_free_vgpr 5
		.amdhsa_next_free_sgpr 12
		.amdhsa_reserve_vcc 1
		.amdhsa_float_round_mode_32 0
		.amdhsa_float_round_mode_16_64 0
		.amdhsa_float_denorm_mode_32 3
		.amdhsa_float_denorm_mode_16_64 3
		.amdhsa_fp16_overflow 0
		.amdhsa_workgroup_processor_mode 1
		.amdhsa_memory_ordered 1
		.amdhsa_forward_progress 1
		.amdhsa_inst_pref_size 3
		.amdhsa_round_robin_scheduling 0
		.amdhsa_exception_fp_ieee_invalid_op 0
		.amdhsa_exception_fp_denorm_src 0
		.amdhsa_exception_fp_ieee_div_zero 0
		.amdhsa_exception_fp_ieee_overflow 0
		.amdhsa_exception_fp_ieee_underflow 0
		.amdhsa_exception_fp_ieee_inexact 0
		.amdhsa_exception_int_div_zero 0
	.end_amdhsa_kernel
	.section	.text._ZN6thrust23THRUST_200600_302600_NS11hip_rocprim14__parallel_for6kernelILj256ENS1_11__transform17unary_transform_fINS0_7pointerIbNS1_3tagENS0_11use_defaultES8_EENS0_10device_ptrItEENS4_14no_stencil_tagENS0_8identityIbEENS4_21always_true_predicateEEElLj1EEEvT0_T1_SI_,"axG",@progbits,_ZN6thrust23THRUST_200600_302600_NS11hip_rocprim14__parallel_for6kernelILj256ENS1_11__transform17unary_transform_fINS0_7pointerIbNS1_3tagENS0_11use_defaultES8_EENS0_10device_ptrItEENS4_14no_stencil_tagENS0_8identityIbEENS4_21always_true_predicateEEElLj1EEEvT0_T1_SI_,comdat
.Lfunc_end1433:
	.size	_ZN6thrust23THRUST_200600_302600_NS11hip_rocprim14__parallel_for6kernelILj256ENS1_11__transform17unary_transform_fINS0_7pointerIbNS1_3tagENS0_11use_defaultES8_EENS0_10device_ptrItEENS4_14no_stencil_tagENS0_8identityIbEENS4_21always_true_predicateEEElLj1EEEvT0_T1_SI_, .Lfunc_end1433-_ZN6thrust23THRUST_200600_302600_NS11hip_rocprim14__parallel_for6kernelILj256ENS1_11__transform17unary_transform_fINS0_7pointerIbNS1_3tagENS0_11use_defaultES8_EENS0_10device_ptrItEENS4_14no_stencil_tagENS0_8identityIbEENS4_21always_true_predicateEEElLj1EEEvT0_T1_SI_
                                        ; -- End function
	.set _ZN6thrust23THRUST_200600_302600_NS11hip_rocprim14__parallel_for6kernelILj256ENS1_11__transform17unary_transform_fINS0_7pointerIbNS1_3tagENS0_11use_defaultES8_EENS0_10device_ptrItEENS4_14no_stencil_tagENS0_8identityIbEENS4_21always_true_predicateEEElLj1EEEvT0_T1_SI_.num_vgpr, 5
	.set _ZN6thrust23THRUST_200600_302600_NS11hip_rocprim14__parallel_for6kernelILj256ENS1_11__transform17unary_transform_fINS0_7pointerIbNS1_3tagENS0_11use_defaultES8_EENS0_10device_ptrItEENS4_14no_stencil_tagENS0_8identityIbEENS4_21always_true_predicateEEElLj1EEEvT0_T1_SI_.num_agpr, 0
	.set _ZN6thrust23THRUST_200600_302600_NS11hip_rocprim14__parallel_for6kernelILj256ENS1_11__transform17unary_transform_fINS0_7pointerIbNS1_3tagENS0_11use_defaultES8_EENS0_10device_ptrItEENS4_14no_stencil_tagENS0_8identityIbEENS4_21always_true_predicateEEElLj1EEEvT0_T1_SI_.numbered_sgpr, 12
	.set _ZN6thrust23THRUST_200600_302600_NS11hip_rocprim14__parallel_for6kernelILj256ENS1_11__transform17unary_transform_fINS0_7pointerIbNS1_3tagENS0_11use_defaultES8_EENS0_10device_ptrItEENS4_14no_stencil_tagENS0_8identityIbEENS4_21always_true_predicateEEElLj1EEEvT0_T1_SI_.num_named_barrier, 0
	.set _ZN6thrust23THRUST_200600_302600_NS11hip_rocprim14__parallel_for6kernelILj256ENS1_11__transform17unary_transform_fINS0_7pointerIbNS1_3tagENS0_11use_defaultES8_EENS0_10device_ptrItEENS4_14no_stencil_tagENS0_8identityIbEENS4_21always_true_predicateEEElLj1EEEvT0_T1_SI_.private_seg_size, 0
	.set _ZN6thrust23THRUST_200600_302600_NS11hip_rocprim14__parallel_for6kernelILj256ENS1_11__transform17unary_transform_fINS0_7pointerIbNS1_3tagENS0_11use_defaultES8_EENS0_10device_ptrItEENS4_14no_stencil_tagENS0_8identityIbEENS4_21always_true_predicateEEElLj1EEEvT0_T1_SI_.uses_vcc, 1
	.set _ZN6thrust23THRUST_200600_302600_NS11hip_rocprim14__parallel_for6kernelILj256ENS1_11__transform17unary_transform_fINS0_7pointerIbNS1_3tagENS0_11use_defaultES8_EENS0_10device_ptrItEENS4_14no_stencil_tagENS0_8identityIbEENS4_21always_true_predicateEEElLj1EEEvT0_T1_SI_.uses_flat_scratch, 0
	.set _ZN6thrust23THRUST_200600_302600_NS11hip_rocprim14__parallel_for6kernelILj256ENS1_11__transform17unary_transform_fINS0_7pointerIbNS1_3tagENS0_11use_defaultES8_EENS0_10device_ptrItEENS4_14no_stencil_tagENS0_8identityIbEENS4_21always_true_predicateEEElLj1EEEvT0_T1_SI_.has_dyn_sized_stack, 0
	.set _ZN6thrust23THRUST_200600_302600_NS11hip_rocprim14__parallel_for6kernelILj256ENS1_11__transform17unary_transform_fINS0_7pointerIbNS1_3tagENS0_11use_defaultES8_EENS0_10device_ptrItEENS4_14no_stencil_tagENS0_8identityIbEENS4_21always_true_predicateEEElLj1EEEvT0_T1_SI_.has_recursion, 0
	.set _ZN6thrust23THRUST_200600_302600_NS11hip_rocprim14__parallel_for6kernelILj256ENS1_11__transform17unary_transform_fINS0_7pointerIbNS1_3tagENS0_11use_defaultES8_EENS0_10device_ptrItEENS4_14no_stencil_tagENS0_8identityIbEENS4_21always_true_predicateEEElLj1EEEvT0_T1_SI_.has_indirect_call, 0
	.section	.AMDGPU.csdata,"",@progbits
; Kernel info:
; codeLenInByte = 320
; TotalNumSgprs: 14
; NumVgprs: 5
; ScratchSize: 0
; MemoryBound: 0
; FloatMode: 240
; IeeeMode: 1
; LDSByteSize: 0 bytes/workgroup (compile time only)
; SGPRBlocks: 0
; VGPRBlocks: 0
; NumSGPRsForWavesPerEU: 14
; NumVGPRsForWavesPerEU: 5
; Occupancy: 16
; WaveLimiterHint : 0
; COMPUTE_PGM_RSRC2:SCRATCH_EN: 0
; COMPUTE_PGM_RSRC2:USER_SGPR: 2
; COMPUTE_PGM_RSRC2:TRAP_HANDLER: 0
; COMPUTE_PGM_RSRC2:TGID_X_EN: 1
; COMPUTE_PGM_RSRC2:TGID_Y_EN: 0
; COMPUTE_PGM_RSRC2:TGID_Z_EN: 0
; COMPUTE_PGM_RSRC2:TIDIG_COMP_CNT: 0
	.section	.text._ZN7rocprim17ROCPRIM_400000_NS6detail17trampoline_kernelINS0_14default_configENS1_25partition_config_selectorILNS1_17partition_subalgoE5EtNS0_10empty_typeEbEEZZNS1_14partition_implILS5_5ELb0ES3_mN6thrust23THRUST_200600_302600_NS6detail15normal_iteratorINSA_10device_ptrItEEEEPS6_NSA_18transform_iteratorINSB_9not_fun_tI7is_trueItEEESF_NSA_11use_defaultESM_EENS0_5tupleIJSF_S6_EEENSO_IJSG_SG_EEES6_PlJS6_EEE10hipError_tPvRmT3_T4_T5_T6_T7_T9_mT8_P12ihipStream_tbDpT10_ENKUlT_T0_E_clISt17integral_constantIbLb0EES1B_EEDaS16_S17_EUlS16_E_NS1_11comp_targetILNS1_3genE0ELNS1_11target_archE4294967295ELNS1_3gpuE0ELNS1_3repE0EEENS1_30default_config_static_selectorELNS0_4arch9wavefront6targetE0EEEvT1_,"axG",@progbits,_ZN7rocprim17ROCPRIM_400000_NS6detail17trampoline_kernelINS0_14default_configENS1_25partition_config_selectorILNS1_17partition_subalgoE5EtNS0_10empty_typeEbEEZZNS1_14partition_implILS5_5ELb0ES3_mN6thrust23THRUST_200600_302600_NS6detail15normal_iteratorINSA_10device_ptrItEEEEPS6_NSA_18transform_iteratorINSB_9not_fun_tI7is_trueItEEESF_NSA_11use_defaultESM_EENS0_5tupleIJSF_S6_EEENSO_IJSG_SG_EEES6_PlJS6_EEE10hipError_tPvRmT3_T4_T5_T6_T7_T9_mT8_P12ihipStream_tbDpT10_ENKUlT_T0_E_clISt17integral_constantIbLb0EES1B_EEDaS16_S17_EUlS16_E_NS1_11comp_targetILNS1_3genE0ELNS1_11target_archE4294967295ELNS1_3gpuE0ELNS1_3repE0EEENS1_30default_config_static_selectorELNS0_4arch9wavefront6targetE0EEEvT1_,comdat
	.protected	_ZN7rocprim17ROCPRIM_400000_NS6detail17trampoline_kernelINS0_14default_configENS1_25partition_config_selectorILNS1_17partition_subalgoE5EtNS0_10empty_typeEbEEZZNS1_14partition_implILS5_5ELb0ES3_mN6thrust23THRUST_200600_302600_NS6detail15normal_iteratorINSA_10device_ptrItEEEEPS6_NSA_18transform_iteratorINSB_9not_fun_tI7is_trueItEEESF_NSA_11use_defaultESM_EENS0_5tupleIJSF_S6_EEENSO_IJSG_SG_EEES6_PlJS6_EEE10hipError_tPvRmT3_T4_T5_T6_T7_T9_mT8_P12ihipStream_tbDpT10_ENKUlT_T0_E_clISt17integral_constantIbLb0EES1B_EEDaS16_S17_EUlS16_E_NS1_11comp_targetILNS1_3genE0ELNS1_11target_archE4294967295ELNS1_3gpuE0ELNS1_3repE0EEENS1_30default_config_static_selectorELNS0_4arch9wavefront6targetE0EEEvT1_ ; -- Begin function _ZN7rocprim17ROCPRIM_400000_NS6detail17trampoline_kernelINS0_14default_configENS1_25partition_config_selectorILNS1_17partition_subalgoE5EtNS0_10empty_typeEbEEZZNS1_14partition_implILS5_5ELb0ES3_mN6thrust23THRUST_200600_302600_NS6detail15normal_iteratorINSA_10device_ptrItEEEEPS6_NSA_18transform_iteratorINSB_9not_fun_tI7is_trueItEEESF_NSA_11use_defaultESM_EENS0_5tupleIJSF_S6_EEENSO_IJSG_SG_EEES6_PlJS6_EEE10hipError_tPvRmT3_T4_T5_T6_T7_T9_mT8_P12ihipStream_tbDpT10_ENKUlT_T0_E_clISt17integral_constantIbLb0EES1B_EEDaS16_S17_EUlS16_E_NS1_11comp_targetILNS1_3genE0ELNS1_11target_archE4294967295ELNS1_3gpuE0ELNS1_3repE0EEENS1_30default_config_static_selectorELNS0_4arch9wavefront6targetE0EEEvT1_
	.globl	_ZN7rocprim17ROCPRIM_400000_NS6detail17trampoline_kernelINS0_14default_configENS1_25partition_config_selectorILNS1_17partition_subalgoE5EtNS0_10empty_typeEbEEZZNS1_14partition_implILS5_5ELb0ES3_mN6thrust23THRUST_200600_302600_NS6detail15normal_iteratorINSA_10device_ptrItEEEEPS6_NSA_18transform_iteratorINSB_9not_fun_tI7is_trueItEEESF_NSA_11use_defaultESM_EENS0_5tupleIJSF_S6_EEENSO_IJSG_SG_EEES6_PlJS6_EEE10hipError_tPvRmT3_T4_T5_T6_T7_T9_mT8_P12ihipStream_tbDpT10_ENKUlT_T0_E_clISt17integral_constantIbLb0EES1B_EEDaS16_S17_EUlS16_E_NS1_11comp_targetILNS1_3genE0ELNS1_11target_archE4294967295ELNS1_3gpuE0ELNS1_3repE0EEENS1_30default_config_static_selectorELNS0_4arch9wavefront6targetE0EEEvT1_
	.p2align	8
	.type	_ZN7rocprim17ROCPRIM_400000_NS6detail17trampoline_kernelINS0_14default_configENS1_25partition_config_selectorILNS1_17partition_subalgoE5EtNS0_10empty_typeEbEEZZNS1_14partition_implILS5_5ELb0ES3_mN6thrust23THRUST_200600_302600_NS6detail15normal_iteratorINSA_10device_ptrItEEEEPS6_NSA_18transform_iteratorINSB_9not_fun_tI7is_trueItEEESF_NSA_11use_defaultESM_EENS0_5tupleIJSF_S6_EEENSO_IJSG_SG_EEES6_PlJS6_EEE10hipError_tPvRmT3_T4_T5_T6_T7_T9_mT8_P12ihipStream_tbDpT10_ENKUlT_T0_E_clISt17integral_constantIbLb0EES1B_EEDaS16_S17_EUlS16_E_NS1_11comp_targetILNS1_3genE0ELNS1_11target_archE4294967295ELNS1_3gpuE0ELNS1_3repE0EEENS1_30default_config_static_selectorELNS0_4arch9wavefront6targetE0EEEvT1_,@function
_ZN7rocprim17ROCPRIM_400000_NS6detail17trampoline_kernelINS0_14default_configENS1_25partition_config_selectorILNS1_17partition_subalgoE5EtNS0_10empty_typeEbEEZZNS1_14partition_implILS5_5ELb0ES3_mN6thrust23THRUST_200600_302600_NS6detail15normal_iteratorINSA_10device_ptrItEEEEPS6_NSA_18transform_iteratorINSB_9not_fun_tI7is_trueItEEESF_NSA_11use_defaultESM_EENS0_5tupleIJSF_S6_EEENSO_IJSG_SG_EEES6_PlJS6_EEE10hipError_tPvRmT3_T4_T5_T6_T7_T9_mT8_P12ihipStream_tbDpT10_ENKUlT_T0_E_clISt17integral_constantIbLb0EES1B_EEDaS16_S17_EUlS16_E_NS1_11comp_targetILNS1_3genE0ELNS1_11target_archE4294967295ELNS1_3gpuE0ELNS1_3repE0EEENS1_30default_config_static_selectorELNS0_4arch9wavefront6targetE0EEEvT1_: ; @_ZN7rocprim17ROCPRIM_400000_NS6detail17trampoline_kernelINS0_14default_configENS1_25partition_config_selectorILNS1_17partition_subalgoE5EtNS0_10empty_typeEbEEZZNS1_14partition_implILS5_5ELb0ES3_mN6thrust23THRUST_200600_302600_NS6detail15normal_iteratorINSA_10device_ptrItEEEEPS6_NSA_18transform_iteratorINSB_9not_fun_tI7is_trueItEEESF_NSA_11use_defaultESM_EENS0_5tupleIJSF_S6_EEENSO_IJSG_SG_EEES6_PlJS6_EEE10hipError_tPvRmT3_T4_T5_T6_T7_T9_mT8_P12ihipStream_tbDpT10_ENKUlT_T0_E_clISt17integral_constantIbLb0EES1B_EEDaS16_S17_EUlS16_E_NS1_11comp_targetILNS1_3genE0ELNS1_11target_archE4294967295ELNS1_3gpuE0ELNS1_3repE0EEENS1_30default_config_static_selectorELNS0_4arch9wavefront6targetE0EEEvT1_
; %bb.0:
	.section	.rodata,"a",@progbits
	.p2align	6, 0x0
	.amdhsa_kernel _ZN7rocprim17ROCPRIM_400000_NS6detail17trampoline_kernelINS0_14default_configENS1_25partition_config_selectorILNS1_17partition_subalgoE5EtNS0_10empty_typeEbEEZZNS1_14partition_implILS5_5ELb0ES3_mN6thrust23THRUST_200600_302600_NS6detail15normal_iteratorINSA_10device_ptrItEEEEPS6_NSA_18transform_iteratorINSB_9not_fun_tI7is_trueItEEESF_NSA_11use_defaultESM_EENS0_5tupleIJSF_S6_EEENSO_IJSG_SG_EEES6_PlJS6_EEE10hipError_tPvRmT3_T4_T5_T6_T7_T9_mT8_P12ihipStream_tbDpT10_ENKUlT_T0_E_clISt17integral_constantIbLb0EES1B_EEDaS16_S17_EUlS16_E_NS1_11comp_targetILNS1_3genE0ELNS1_11target_archE4294967295ELNS1_3gpuE0ELNS1_3repE0EEENS1_30default_config_static_selectorELNS0_4arch9wavefront6targetE0EEEvT1_
		.amdhsa_group_segment_fixed_size 0
		.amdhsa_private_segment_fixed_size 0
		.amdhsa_kernarg_size 120
		.amdhsa_user_sgpr_count 2
		.amdhsa_user_sgpr_dispatch_ptr 0
		.amdhsa_user_sgpr_queue_ptr 0
		.amdhsa_user_sgpr_kernarg_segment_ptr 1
		.amdhsa_user_sgpr_dispatch_id 0
		.amdhsa_user_sgpr_private_segment_size 0
		.amdhsa_wavefront_size32 1
		.amdhsa_uses_dynamic_stack 0
		.amdhsa_enable_private_segment 0
		.amdhsa_system_sgpr_workgroup_id_x 1
		.amdhsa_system_sgpr_workgroup_id_y 0
		.amdhsa_system_sgpr_workgroup_id_z 0
		.amdhsa_system_sgpr_workgroup_info 0
		.amdhsa_system_vgpr_workitem_id 0
		.amdhsa_next_free_vgpr 1
		.amdhsa_next_free_sgpr 1
		.amdhsa_reserve_vcc 0
		.amdhsa_float_round_mode_32 0
		.amdhsa_float_round_mode_16_64 0
		.amdhsa_float_denorm_mode_32 3
		.amdhsa_float_denorm_mode_16_64 3
		.amdhsa_fp16_overflow 0
		.amdhsa_workgroup_processor_mode 1
		.amdhsa_memory_ordered 1
		.amdhsa_forward_progress 1
		.amdhsa_inst_pref_size 0
		.amdhsa_round_robin_scheduling 0
		.amdhsa_exception_fp_ieee_invalid_op 0
		.amdhsa_exception_fp_denorm_src 0
		.amdhsa_exception_fp_ieee_div_zero 0
		.amdhsa_exception_fp_ieee_overflow 0
		.amdhsa_exception_fp_ieee_underflow 0
		.amdhsa_exception_fp_ieee_inexact 0
		.amdhsa_exception_int_div_zero 0
	.end_amdhsa_kernel
	.section	.text._ZN7rocprim17ROCPRIM_400000_NS6detail17trampoline_kernelINS0_14default_configENS1_25partition_config_selectorILNS1_17partition_subalgoE5EtNS0_10empty_typeEbEEZZNS1_14partition_implILS5_5ELb0ES3_mN6thrust23THRUST_200600_302600_NS6detail15normal_iteratorINSA_10device_ptrItEEEEPS6_NSA_18transform_iteratorINSB_9not_fun_tI7is_trueItEEESF_NSA_11use_defaultESM_EENS0_5tupleIJSF_S6_EEENSO_IJSG_SG_EEES6_PlJS6_EEE10hipError_tPvRmT3_T4_T5_T6_T7_T9_mT8_P12ihipStream_tbDpT10_ENKUlT_T0_E_clISt17integral_constantIbLb0EES1B_EEDaS16_S17_EUlS16_E_NS1_11comp_targetILNS1_3genE0ELNS1_11target_archE4294967295ELNS1_3gpuE0ELNS1_3repE0EEENS1_30default_config_static_selectorELNS0_4arch9wavefront6targetE0EEEvT1_,"axG",@progbits,_ZN7rocprim17ROCPRIM_400000_NS6detail17trampoline_kernelINS0_14default_configENS1_25partition_config_selectorILNS1_17partition_subalgoE5EtNS0_10empty_typeEbEEZZNS1_14partition_implILS5_5ELb0ES3_mN6thrust23THRUST_200600_302600_NS6detail15normal_iteratorINSA_10device_ptrItEEEEPS6_NSA_18transform_iteratorINSB_9not_fun_tI7is_trueItEEESF_NSA_11use_defaultESM_EENS0_5tupleIJSF_S6_EEENSO_IJSG_SG_EEES6_PlJS6_EEE10hipError_tPvRmT3_T4_T5_T6_T7_T9_mT8_P12ihipStream_tbDpT10_ENKUlT_T0_E_clISt17integral_constantIbLb0EES1B_EEDaS16_S17_EUlS16_E_NS1_11comp_targetILNS1_3genE0ELNS1_11target_archE4294967295ELNS1_3gpuE0ELNS1_3repE0EEENS1_30default_config_static_selectorELNS0_4arch9wavefront6targetE0EEEvT1_,comdat
.Lfunc_end1434:
	.size	_ZN7rocprim17ROCPRIM_400000_NS6detail17trampoline_kernelINS0_14default_configENS1_25partition_config_selectorILNS1_17partition_subalgoE5EtNS0_10empty_typeEbEEZZNS1_14partition_implILS5_5ELb0ES3_mN6thrust23THRUST_200600_302600_NS6detail15normal_iteratorINSA_10device_ptrItEEEEPS6_NSA_18transform_iteratorINSB_9not_fun_tI7is_trueItEEESF_NSA_11use_defaultESM_EENS0_5tupleIJSF_S6_EEENSO_IJSG_SG_EEES6_PlJS6_EEE10hipError_tPvRmT3_T4_T5_T6_T7_T9_mT8_P12ihipStream_tbDpT10_ENKUlT_T0_E_clISt17integral_constantIbLb0EES1B_EEDaS16_S17_EUlS16_E_NS1_11comp_targetILNS1_3genE0ELNS1_11target_archE4294967295ELNS1_3gpuE0ELNS1_3repE0EEENS1_30default_config_static_selectorELNS0_4arch9wavefront6targetE0EEEvT1_, .Lfunc_end1434-_ZN7rocprim17ROCPRIM_400000_NS6detail17trampoline_kernelINS0_14default_configENS1_25partition_config_selectorILNS1_17partition_subalgoE5EtNS0_10empty_typeEbEEZZNS1_14partition_implILS5_5ELb0ES3_mN6thrust23THRUST_200600_302600_NS6detail15normal_iteratorINSA_10device_ptrItEEEEPS6_NSA_18transform_iteratorINSB_9not_fun_tI7is_trueItEEESF_NSA_11use_defaultESM_EENS0_5tupleIJSF_S6_EEENSO_IJSG_SG_EEES6_PlJS6_EEE10hipError_tPvRmT3_T4_T5_T6_T7_T9_mT8_P12ihipStream_tbDpT10_ENKUlT_T0_E_clISt17integral_constantIbLb0EES1B_EEDaS16_S17_EUlS16_E_NS1_11comp_targetILNS1_3genE0ELNS1_11target_archE4294967295ELNS1_3gpuE0ELNS1_3repE0EEENS1_30default_config_static_selectorELNS0_4arch9wavefront6targetE0EEEvT1_
                                        ; -- End function
	.set _ZN7rocprim17ROCPRIM_400000_NS6detail17trampoline_kernelINS0_14default_configENS1_25partition_config_selectorILNS1_17partition_subalgoE5EtNS0_10empty_typeEbEEZZNS1_14partition_implILS5_5ELb0ES3_mN6thrust23THRUST_200600_302600_NS6detail15normal_iteratorINSA_10device_ptrItEEEEPS6_NSA_18transform_iteratorINSB_9not_fun_tI7is_trueItEEESF_NSA_11use_defaultESM_EENS0_5tupleIJSF_S6_EEENSO_IJSG_SG_EEES6_PlJS6_EEE10hipError_tPvRmT3_T4_T5_T6_T7_T9_mT8_P12ihipStream_tbDpT10_ENKUlT_T0_E_clISt17integral_constantIbLb0EES1B_EEDaS16_S17_EUlS16_E_NS1_11comp_targetILNS1_3genE0ELNS1_11target_archE4294967295ELNS1_3gpuE0ELNS1_3repE0EEENS1_30default_config_static_selectorELNS0_4arch9wavefront6targetE0EEEvT1_.num_vgpr, 0
	.set _ZN7rocprim17ROCPRIM_400000_NS6detail17trampoline_kernelINS0_14default_configENS1_25partition_config_selectorILNS1_17partition_subalgoE5EtNS0_10empty_typeEbEEZZNS1_14partition_implILS5_5ELb0ES3_mN6thrust23THRUST_200600_302600_NS6detail15normal_iteratorINSA_10device_ptrItEEEEPS6_NSA_18transform_iteratorINSB_9not_fun_tI7is_trueItEEESF_NSA_11use_defaultESM_EENS0_5tupleIJSF_S6_EEENSO_IJSG_SG_EEES6_PlJS6_EEE10hipError_tPvRmT3_T4_T5_T6_T7_T9_mT8_P12ihipStream_tbDpT10_ENKUlT_T0_E_clISt17integral_constantIbLb0EES1B_EEDaS16_S17_EUlS16_E_NS1_11comp_targetILNS1_3genE0ELNS1_11target_archE4294967295ELNS1_3gpuE0ELNS1_3repE0EEENS1_30default_config_static_selectorELNS0_4arch9wavefront6targetE0EEEvT1_.num_agpr, 0
	.set _ZN7rocprim17ROCPRIM_400000_NS6detail17trampoline_kernelINS0_14default_configENS1_25partition_config_selectorILNS1_17partition_subalgoE5EtNS0_10empty_typeEbEEZZNS1_14partition_implILS5_5ELb0ES3_mN6thrust23THRUST_200600_302600_NS6detail15normal_iteratorINSA_10device_ptrItEEEEPS6_NSA_18transform_iteratorINSB_9not_fun_tI7is_trueItEEESF_NSA_11use_defaultESM_EENS0_5tupleIJSF_S6_EEENSO_IJSG_SG_EEES6_PlJS6_EEE10hipError_tPvRmT3_T4_T5_T6_T7_T9_mT8_P12ihipStream_tbDpT10_ENKUlT_T0_E_clISt17integral_constantIbLb0EES1B_EEDaS16_S17_EUlS16_E_NS1_11comp_targetILNS1_3genE0ELNS1_11target_archE4294967295ELNS1_3gpuE0ELNS1_3repE0EEENS1_30default_config_static_selectorELNS0_4arch9wavefront6targetE0EEEvT1_.numbered_sgpr, 0
	.set _ZN7rocprim17ROCPRIM_400000_NS6detail17trampoline_kernelINS0_14default_configENS1_25partition_config_selectorILNS1_17partition_subalgoE5EtNS0_10empty_typeEbEEZZNS1_14partition_implILS5_5ELb0ES3_mN6thrust23THRUST_200600_302600_NS6detail15normal_iteratorINSA_10device_ptrItEEEEPS6_NSA_18transform_iteratorINSB_9not_fun_tI7is_trueItEEESF_NSA_11use_defaultESM_EENS0_5tupleIJSF_S6_EEENSO_IJSG_SG_EEES6_PlJS6_EEE10hipError_tPvRmT3_T4_T5_T6_T7_T9_mT8_P12ihipStream_tbDpT10_ENKUlT_T0_E_clISt17integral_constantIbLb0EES1B_EEDaS16_S17_EUlS16_E_NS1_11comp_targetILNS1_3genE0ELNS1_11target_archE4294967295ELNS1_3gpuE0ELNS1_3repE0EEENS1_30default_config_static_selectorELNS0_4arch9wavefront6targetE0EEEvT1_.num_named_barrier, 0
	.set _ZN7rocprim17ROCPRIM_400000_NS6detail17trampoline_kernelINS0_14default_configENS1_25partition_config_selectorILNS1_17partition_subalgoE5EtNS0_10empty_typeEbEEZZNS1_14partition_implILS5_5ELb0ES3_mN6thrust23THRUST_200600_302600_NS6detail15normal_iteratorINSA_10device_ptrItEEEEPS6_NSA_18transform_iteratorINSB_9not_fun_tI7is_trueItEEESF_NSA_11use_defaultESM_EENS0_5tupleIJSF_S6_EEENSO_IJSG_SG_EEES6_PlJS6_EEE10hipError_tPvRmT3_T4_T5_T6_T7_T9_mT8_P12ihipStream_tbDpT10_ENKUlT_T0_E_clISt17integral_constantIbLb0EES1B_EEDaS16_S17_EUlS16_E_NS1_11comp_targetILNS1_3genE0ELNS1_11target_archE4294967295ELNS1_3gpuE0ELNS1_3repE0EEENS1_30default_config_static_selectorELNS0_4arch9wavefront6targetE0EEEvT1_.private_seg_size, 0
	.set _ZN7rocprim17ROCPRIM_400000_NS6detail17trampoline_kernelINS0_14default_configENS1_25partition_config_selectorILNS1_17partition_subalgoE5EtNS0_10empty_typeEbEEZZNS1_14partition_implILS5_5ELb0ES3_mN6thrust23THRUST_200600_302600_NS6detail15normal_iteratorINSA_10device_ptrItEEEEPS6_NSA_18transform_iteratorINSB_9not_fun_tI7is_trueItEEESF_NSA_11use_defaultESM_EENS0_5tupleIJSF_S6_EEENSO_IJSG_SG_EEES6_PlJS6_EEE10hipError_tPvRmT3_T4_T5_T6_T7_T9_mT8_P12ihipStream_tbDpT10_ENKUlT_T0_E_clISt17integral_constantIbLb0EES1B_EEDaS16_S17_EUlS16_E_NS1_11comp_targetILNS1_3genE0ELNS1_11target_archE4294967295ELNS1_3gpuE0ELNS1_3repE0EEENS1_30default_config_static_selectorELNS0_4arch9wavefront6targetE0EEEvT1_.uses_vcc, 0
	.set _ZN7rocprim17ROCPRIM_400000_NS6detail17trampoline_kernelINS0_14default_configENS1_25partition_config_selectorILNS1_17partition_subalgoE5EtNS0_10empty_typeEbEEZZNS1_14partition_implILS5_5ELb0ES3_mN6thrust23THRUST_200600_302600_NS6detail15normal_iteratorINSA_10device_ptrItEEEEPS6_NSA_18transform_iteratorINSB_9not_fun_tI7is_trueItEEESF_NSA_11use_defaultESM_EENS0_5tupleIJSF_S6_EEENSO_IJSG_SG_EEES6_PlJS6_EEE10hipError_tPvRmT3_T4_T5_T6_T7_T9_mT8_P12ihipStream_tbDpT10_ENKUlT_T0_E_clISt17integral_constantIbLb0EES1B_EEDaS16_S17_EUlS16_E_NS1_11comp_targetILNS1_3genE0ELNS1_11target_archE4294967295ELNS1_3gpuE0ELNS1_3repE0EEENS1_30default_config_static_selectorELNS0_4arch9wavefront6targetE0EEEvT1_.uses_flat_scratch, 0
	.set _ZN7rocprim17ROCPRIM_400000_NS6detail17trampoline_kernelINS0_14default_configENS1_25partition_config_selectorILNS1_17partition_subalgoE5EtNS0_10empty_typeEbEEZZNS1_14partition_implILS5_5ELb0ES3_mN6thrust23THRUST_200600_302600_NS6detail15normal_iteratorINSA_10device_ptrItEEEEPS6_NSA_18transform_iteratorINSB_9not_fun_tI7is_trueItEEESF_NSA_11use_defaultESM_EENS0_5tupleIJSF_S6_EEENSO_IJSG_SG_EEES6_PlJS6_EEE10hipError_tPvRmT3_T4_T5_T6_T7_T9_mT8_P12ihipStream_tbDpT10_ENKUlT_T0_E_clISt17integral_constantIbLb0EES1B_EEDaS16_S17_EUlS16_E_NS1_11comp_targetILNS1_3genE0ELNS1_11target_archE4294967295ELNS1_3gpuE0ELNS1_3repE0EEENS1_30default_config_static_selectorELNS0_4arch9wavefront6targetE0EEEvT1_.has_dyn_sized_stack, 0
	.set _ZN7rocprim17ROCPRIM_400000_NS6detail17trampoline_kernelINS0_14default_configENS1_25partition_config_selectorILNS1_17partition_subalgoE5EtNS0_10empty_typeEbEEZZNS1_14partition_implILS5_5ELb0ES3_mN6thrust23THRUST_200600_302600_NS6detail15normal_iteratorINSA_10device_ptrItEEEEPS6_NSA_18transform_iteratorINSB_9not_fun_tI7is_trueItEEESF_NSA_11use_defaultESM_EENS0_5tupleIJSF_S6_EEENSO_IJSG_SG_EEES6_PlJS6_EEE10hipError_tPvRmT3_T4_T5_T6_T7_T9_mT8_P12ihipStream_tbDpT10_ENKUlT_T0_E_clISt17integral_constantIbLb0EES1B_EEDaS16_S17_EUlS16_E_NS1_11comp_targetILNS1_3genE0ELNS1_11target_archE4294967295ELNS1_3gpuE0ELNS1_3repE0EEENS1_30default_config_static_selectorELNS0_4arch9wavefront6targetE0EEEvT1_.has_recursion, 0
	.set _ZN7rocprim17ROCPRIM_400000_NS6detail17trampoline_kernelINS0_14default_configENS1_25partition_config_selectorILNS1_17partition_subalgoE5EtNS0_10empty_typeEbEEZZNS1_14partition_implILS5_5ELb0ES3_mN6thrust23THRUST_200600_302600_NS6detail15normal_iteratorINSA_10device_ptrItEEEEPS6_NSA_18transform_iteratorINSB_9not_fun_tI7is_trueItEEESF_NSA_11use_defaultESM_EENS0_5tupleIJSF_S6_EEENSO_IJSG_SG_EEES6_PlJS6_EEE10hipError_tPvRmT3_T4_T5_T6_T7_T9_mT8_P12ihipStream_tbDpT10_ENKUlT_T0_E_clISt17integral_constantIbLb0EES1B_EEDaS16_S17_EUlS16_E_NS1_11comp_targetILNS1_3genE0ELNS1_11target_archE4294967295ELNS1_3gpuE0ELNS1_3repE0EEENS1_30default_config_static_selectorELNS0_4arch9wavefront6targetE0EEEvT1_.has_indirect_call, 0
	.section	.AMDGPU.csdata,"",@progbits
; Kernel info:
; codeLenInByte = 0
; TotalNumSgprs: 0
; NumVgprs: 0
; ScratchSize: 0
; MemoryBound: 0
; FloatMode: 240
; IeeeMode: 1
; LDSByteSize: 0 bytes/workgroup (compile time only)
; SGPRBlocks: 0
; VGPRBlocks: 0
; NumSGPRsForWavesPerEU: 1
; NumVGPRsForWavesPerEU: 1
; Occupancy: 16
; WaveLimiterHint : 0
; COMPUTE_PGM_RSRC2:SCRATCH_EN: 0
; COMPUTE_PGM_RSRC2:USER_SGPR: 2
; COMPUTE_PGM_RSRC2:TRAP_HANDLER: 0
; COMPUTE_PGM_RSRC2:TGID_X_EN: 1
; COMPUTE_PGM_RSRC2:TGID_Y_EN: 0
; COMPUTE_PGM_RSRC2:TGID_Z_EN: 0
; COMPUTE_PGM_RSRC2:TIDIG_COMP_CNT: 0
	.section	.text._ZN7rocprim17ROCPRIM_400000_NS6detail17trampoline_kernelINS0_14default_configENS1_25partition_config_selectorILNS1_17partition_subalgoE5EtNS0_10empty_typeEbEEZZNS1_14partition_implILS5_5ELb0ES3_mN6thrust23THRUST_200600_302600_NS6detail15normal_iteratorINSA_10device_ptrItEEEEPS6_NSA_18transform_iteratorINSB_9not_fun_tI7is_trueItEEESF_NSA_11use_defaultESM_EENS0_5tupleIJSF_S6_EEENSO_IJSG_SG_EEES6_PlJS6_EEE10hipError_tPvRmT3_T4_T5_T6_T7_T9_mT8_P12ihipStream_tbDpT10_ENKUlT_T0_E_clISt17integral_constantIbLb0EES1B_EEDaS16_S17_EUlS16_E_NS1_11comp_targetILNS1_3genE5ELNS1_11target_archE942ELNS1_3gpuE9ELNS1_3repE0EEENS1_30default_config_static_selectorELNS0_4arch9wavefront6targetE0EEEvT1_,"axG",@progbits,_ZN7rocprim17ROCPRIM_400000_NS6detail17trampoline_kernelINS0_14default_configENS1_25partition_config_selectorILNS1_17partition_subalgoE5EtNS0_10empty_typeEbEEZZNS1_14partition_implILS5_5ELb0ES3_mN6thrust23THRUST_200600_302600_NS6detail15normal_iteratorINSA_10device_ptrItEEEEPS6_NSA_18transform_iteratorINSB_9not_fun_tI7is_trueItEEESF_NSA_11use_defaultESM_EENS0_5tupleIJSF_S6_EEENSO_IJSG_SG_EEES6_PlJS6_EEE10hipError_tPvRmT3_T4_T5_T6_T7_T9_mT8_P12ihipStream_tbDpT10_ENKUlT_T0_E_clISt17integral_constantIbLb0EES1B_EEDaS16_S17_EUlS16_E_NS1_11comp_targetILNS1_3genE5ELNS1_11target_archE942ELNS1_3gpuE9ELNS1_3repE0EEENS1_30default_config_static_selectorELNS0_4arch9wavefront6targetE0EEEvT1_,comdat
	.protected	_ZN7rocprim17ROCPRIM_400000_NS6detail17trampoline_kernelINS0_14default_configENS1_25partition_config_selectorILNS1_17partition_subalgoE5EtNS0_10empty_typeEbEEZZNS1_14partition_implILS5_5ELb0ES3_mN6thrust23THRUST_200600_302600_NS6detail15normal_iteratorINSA_10device_ptrItEEEEPS6_NSA_18transform_iteratorINSB_9not_fun_tI7is_trueItEEESF_NSA_11use_defaultESM_EENS0_5tupleIJSF_S6_EEENSO_IJSG_SG_EEES6_PlJS6_EEE10hipError_tPvRmT3_T4_T5_T6_T7_T9_mT8_P12ihipStream_tbDpT10_ENKUlT_T0_E_clISt17integral_constantIbLb0EES1B_EEDaS16_S17_EUlS16_E_NS1_11comp_targetILNS1_3genE5ELNS1_11target_archE942ELNS1_3gpuE9ELNS1_3repE0EEENS1_30default_config_static_selectorELNS0_4arch9wavefront6targetE0EEEvT1_ ; -- Begin function _ZN7rocprim17ROCPRIM_400000_NS6detail17trampoline_kernelINS0_14default_configENS1_25partition_config_selectorILNS1_17partition_subalgoE5EtNS0_10empty_typeEbEEZZNS1_14partition_implILS5_5ELb0ES3_mN6thrust23THRUST_200600_302600_NS6detail15normal_iteratorINSA_10device_ptrItEEEEPS6_NSA_18transform_iteratorINSB_9not_fun_tI7is_trueItEEESF_NSA_11use_defaultESM_EENS0_5tupleIJSF_S6_EEENSO_IJSG_SG_EEES6_PlJS6_EEE10hipError_tPvRmT3_T4_T5_T6_T7_T9_mT8_P12ihipStream_tbDpT10_ENKUlT_T0_E_clISt17integral_constantIbLb0EES1B_EEDaS16_S17_EUlS16_E_NS1_11comp_targetILNS1_3genE5ELNS1_11target_archE942ELNS1_3gpuE9ELNS1_3repE0EEENS1_30default_config_static_selectorELNS0_4arch9wavefront6targetE0EEEvT1_
	.globl	_ZN7rocprim17ROCPRIM_400000_NS6detail17trampoline_kernelINS0_14default_configENS1_25partition_config_selectorILNS1_17partition_subalgoE5EtNS0_10empty_typeEbEEZZNS1_14partition_implILS5_5ELb0ES3_mN6thrust23THRUST_200600_302600_NS6detail15normal_iteratorINSA_10device_ptrItEEEEPS6_NSA_18transform_iteratorINSB_9not_fun_tI7is_trueItEEESF_NSA_11use_defaultESM_EENS0_5tupleIJSF_S6_EEENSO_IJSG_SG_EEES6_PlJS6_EEE10hipError_tPvRmT3_T4_T5_T6_T7_T9_mT8_P12ihipStream_tbDpT10_ENKUlT_T0_E_clISt17integral_constantIbLb0EES1B_EEDaS16_S17_EUlS16_E_NS1_11comp_targetILNS1_3genE5ELNS1_11target_archE942ELNS1_3gpuE9ELNS1_3repE0EEENS1_30default_config_static_selectorELNS0_4arch9wavefront6targetE0EEEvT1_
	.p2align	8
	.type	_ZN7rocprim17ROCPRIM_400000_NS6detail17trampoline_kernelINS0_14default_configENS1_25partition_config_selectorILNS1_17partition_subalgoE5EtNS0_10empty_typeEbEEZZNS1_14partition_implILS5_5ELb0ES3_mN6thrust23THRUST_200600_302600_NS6detail15normal_iteratorINSA_10device_ptrItEEEEPS6_NSA_18transform_iteratorINSB_9not_fun_tI7is_trueItEEESF_NSA_11use_defaultESM_EENS0_5tupleIJSF_S6_EEENSO_IJSG_SG_EEES6_PlJS6_EEE10hipError_tPvRmT3_T4_T5_T6_T7_T9_mT8_P12ihipStream_tbDpT10_ENKUlT_T0_E_clISt17integral_constantIbLb0EES1B_EEDaS16_S17_EUlS16_E_NS1_11comp_targetILNS1_3genE5ELNS1_11target_archE942ELNS1_3gpuE9ELNS1_3repE0EEENS1_30default_config_static_selectorELNS0_4arch9wavefront6targetE0EEEvT1_,@function
_ZN7rocprim17ROCPRIM_400000_NS6detail17trampoline_kernelINS0_14default_configENS1_25partition_config_selectorILNS1_17partition_subalgoE5EtNS0_10empty_typeEbEEZZNS1_14partition_implILS5_5ELb0ES3_mN6thrust23THRUST_200600_302600_NS6detail15normal_iteratorINSA_10device_ptrItEEEEPS6_NSA_18transform_iteratorINSB_9not_fun_tI7is_trueItEEESF_NSA_11use_defaultESM_EENS0_5tupleIJSF_S6_EEENSO_IJSG_SG_EEES6_PlJS6_EEE10hipError_tPvRmT3_T4_T5_T6_T7_T9_mT8_P12ihipStream_tbDpT10_ENKUlT_T0_E_clISt17integral_constantIbLb0EES1B_EEDaS16_S17_EUlS16_E_NS1_11comp_targetILNS1_3genE5ELNS1_11target_archE942ELNS1_3gpuE9ELNS1_3repE0EEENS1_30default_config_static_selectorELNS0_4arch9wavefront6targetE0EEEvT1_: ; @_ZN7rocprim17ROCPRIM_400000_NS6detail17trampoline_kernelINS0_14default_configENS1_25partition_config_selectorILNS1_17partition_subalgoE5EtNS0_10empty_typeEbEEZZNS1_14partition_implILS5_5ELb0ES3_mN6thrust23THRUST_200600_302600_NS6detail15normal_iteratorINSA_10device_ptrItEEEEPS6_NSA_18transform_iteratorINSB_9not_fun_tI7is_trueItEEESF_NSA_11use_defaultESM_EENS0_5tupleIJSF_S6_EEENSO_IJSG_SG_EEES6_PlJS6_EEE10hipError_tPvRmT3_T4_T5_T6_T7_T9_mT8_P12ihipStream_tbDpT10_ENKUlT_T0_E_clISt17integral_constantIbLb0EES1B_EEDaS16_S17_EUlS16_E_NS1_11comp_targetILNS1_3genE5ELNS1_11target_archE942ELNS1_3gpuE9ELNS1_3repE0EEENS1_30default_config_static_selectorELNS0_4arch9wavefront6targetE0EEEvT1_
; %bb.0:
	.section	.rodata,"a",@progbits
	.p2align	6, 0x0
	.amdhsa_kernel _ZN7rocprim17ROCPRIM_400000_NS6detail17trampoline_kernelINS0_14default_configENS1_25partition_config_selectorILNS1_17partition_subalgoE5EtNS0_10empty_typeEbEEZZNS1_14partition_implILS5_5ELb0ES3_mN6thrust23THRUST_200600_302600_NS6detail15normal_iteratorINSA_10device_ptrItEEEEPS6_NSA_18transform_iteratorINSB_9not_fun_tI7is_trueItEEESF_NSA_11use_defaultESM_EENS0_5tupleIJSF_S6_EEENSO_IJSG_SG_EEES6_PlJS6_EEE10hipError_tPvRmT3_T4_T5_T6_T7_T9_mT8_P12ihipStream_tbDpT10_ENKUlT_T0_E_clISt17integral_constantIbLb0EES1B_EEDaS16_S17_EUlS16_E_NS1_11comp_targetILNS1_3genE5ELNS1_11target_archE942ELNS1_3gpuE9ELNS1_3repE0EEENS1_30default_config_static_selectorELNS0_4arch9wavefront6targetE0EEEvT1_
		.amdhsa_group_segment_fixed_size 0
		.amdhsa_private_segment_fixed_size 0
		.amdhsa_kernarg_size 120
		.amdhsa_user_sgpr_count 2
		.amdhsa_user_sgpr_dispatch_ptr 0
		.amdhsa_user_sgpr_queue_ptr 0
		.amdhsa_user_sgpr_kernarg_segment_ptr 1
		.amdhsa_user_sgpr_dispatch_id 0
		.amdhsa_user_sgpr_private_segment_size 0
		.amdhsa_wavefront_size32 1
		.amdhsa_uses_dynamic_stack 0
		.amdhsa_enable_private_segment 0
		.amdhsa_system_sgpr_workgroup_id_x 1
		.amdhsa_system_sgpr_workgroup_id_y 0
		.amdhsa_system_sgpr_workgroup_id_z 0
		.amdhsa_system_sgpr_workgroup_info 0
		.amdhsa_system_vgpr_workitem_id 0
		.amdhsa_next_free_vgpr 1
		.amdhsa_next_free_sgpr 1
		.amdhsa_reserve_vcc 0
		.amdhsa_float_round_mode_32 0
		.amdhsa_float_round_mode_16_64 0
		.amdhsa_float_denorm_mode_32 3
		.amdhsa_float_denorm_mode_16_64 3
		.amdhsa_fp16_overflow 0
		.amdhsa_workgroup_processor_mode 1
		.amdhsa_memory_ordered 1
		.amdhsa_forward_progress 1
		.amdhsa_inst_pref_size 0
		.amdhsa_round_robin_scheduling 0
		.amdhsa_exception_fp_ieee_invalid_op 0
		.amdhsa_exception_fp_denorm_src 0
		.amdhsa_exception_fp_ieee_div_zero 0
		.amdhsa_exception_fp_ieee_overflow 0
		.amdhsa_exception_fp_ieee_underflow 0
		.amdhsa_exception_fp_ieee_inexact 0
		.amdhsa_exception_int_div_zero 0
	.end_amdhsa_kernel
	.section	.text._ZN7rocprim17ROCPRIM_400000_NS6detail17trampoline_kernelINS0_14default_configENS1_25partition_config_selectorILNS1_17partition_subalgoE5EtNS0_10empty_typeEbEEZZNS1_14partition_implILS5_5ELb0ES3_mN6thrust23THRUST_200600_302600_NS6detail15normal_iteratorINSA_10device_ptrItEEEEPS6_NSA_18transform_iteratorINSB_9not_fun_tI7is_trueItEEESF_NSA_11use_defaultESM_EENS0_5tupleIJSF_S6_EEENSO_IJSG_SG_EEES6_PlJS6_EEE10hipError_tPvRmT3_T4_T5_T6_T7_T9_mT8_P12ihipStream_tbDpT10_ENKUlT_T0_E_clISt17integral_constantIbLb0EES1B_EEDaS16_S17_EUlS16_E_NS1_11comp_targetILNS1_3genE5ELNS1_11target_archE942ELNS1_3gpuE9ELNS1_3repE0EEENS1_30default_config_static_selectorELNS0_4arch9wavefront6targetE0EEEvT1_,"axG",@progbits,_ZN7rocprim17ROCPRIM_400000_NS6detail17trampoline_kernelINS0_14default_configENS1_25partition_config_selectorILNS1_17partition_subalgoE5EtNS0_10empty_typeEbEEZZNS1_14partition_implILS5_5ELb0ES3_mN6thrust23THRUST_200600_302600_NS6detail15normal_iteratorINSA_10device_ptrItEEEEPS6_NSA_18transform_iteratorINSB_9not_fun_tI7is_trueItEEESF_NSA_11use_defaultESM_EENS0_5tupleIJSF_S6_EEENSO_IJSG_SG_EEES6_PlJS6_EEE10hipError_tPvRmT3_T4_T5_T6_T7_T9_mT8_P12ihipStream_tbDpT10_ENKUlT_T0_E_clISt17integral_constantIbLb0EES1B_EEDaS16_S17_EUlS16_E_NS1_11comp_targetILNS1_3genE5ELNS1_11target_archE942ELNS1_3gpuE9ELNS1_3repE0EEENS1_30default_config_static_selectorELNS0_4arch9wavefront6targetE0EEEvT1_,comdat
.Lfunc_end1435:
	.size	_ZN7rocprim17ROCPRIM_400000_NS6detail17trampoline_kernelINS0_14default_configENS1_25partition_config_selectorILNS1_17partition_subalgoE5EtNS0_10empty_typeEbEEZZNS1_14partition_implILS5_5ELb0ES3_mN6thrust23THRUST_200600_302600_NS6detail15normal_iteratorINSA_10device_ptrItEEEEPS6_NSA_18transform_iteratorINSB_9not_fun_tI7is_trueItEEESF_NSA_11use_defaultESM_EENS0_5tupleIJSF_S6_EEENSO_IJSG_SG_EEES6_PlJS6_EEE10hipError_tPvRmT3_T4_T5_T6_T7_T9_mT8_P12ihipStream_tbDpT10_ENKUlT_T0_E_clISt17integral_constantIbLb0EES1B_EEDaS16_S17_EUlS16_E_NS1_11comp_targetILNS1_3genE5ELNS1_11target_archE942ELNS1_3gpuE9ELNS1_3repE0EEENS1_30default_config_static_selectorELNS0_4arch9wavefront6targetE0EEEvT1_, .Lfunc_end1435-_ZN7rocprim17ROCPRIM_400000_NS6detail17trampoline_kernelINS0_14default_configENS1_25partition_config_selectorILNS1_17partition_subalgoE5EtNS0_10empty_typeEbEEZZNS1_14partition_implILS5_5ELb0ES3_mN6thrust23THRUST_200600_302600_NS6detail15normal_iteratorINSA_10device_ptrItEEEEPS6_NSA_18transform_iteratorINSB_9not_fun_tI7is_trueItEEESF_NSA_11use_defaultESM_EENS0_5tupleIJSF_S6_EEENSO_IJSG_SG_EEES6_PlJS6_EEE10hipError_tPvRmT3_T4_T5_T6_T7_T9_mT8_P12ihipStream_tbDpT10_ENKUlT_T0_E_clISt17integral_constantIbLb0EES1B_EEDaS16_S17_EUlS16_E_NS1_11comp_targetILNS1_3genE5ELNS1_11target_archE942ELNS1_3gpuE9ELNS1_3repE0EEENS1_30default_config_static_selectorELNS0_4arch9wavefront6targetE0EEEvT1_
                                        ; -- End function
	.set _ZN7rocprim17ROCPRIM_400000_NS6detail17trampoline_kernelINS0_14default_configENS1_25partition_config_selectorILNS1_17partition_subalgoE5EtNS0_10empty_typeEbEEZZNS1_14partition_implILS5_5ELb0ES3_mN6thrust23THRUST_200600_302600_NS6detail15normal_iteratorINSA_10device_ptrItEEEEPS6_NSA_18transform_iteratorINSB_9not_fun_tI7is_trueItEEESF_NSA_11use_defaultESM_EENS0_5tupleIJSF_S6_EEENSO_IJSG_SG_EEES6_PlJS6_EEE10hipError_tPvRmT3_T4_T5_T6_T7_T9_mT8_P12ihipStream_tbDpT10_ENKUlT_T0_E_clISt17integral_constantIbLb0EES1B_EEDaS16_S17_EUlS16_E_NS1_11comp_targetILNS1_3genE5ELNS1_11target_archE942ELNS1_3gpuE9ELNS1_3repE0EEENS1_30default_config_static_selectorELNS0_4arch9wavefront6targetE0EEEvT1_.num_vgpr, 0
	.set _ZN7rocprim17ROCPRIM_400000_NS6detail17trampoline_kernelINS0_14default_configENS1_25partition_config_selectorILNS1_17partition_subalgoE5EtNS0_10empty_typeEbEEZZNS1_14partition_implILS5_5ELb0ES3_mN6thrust23THRUST_200600_302600_NS6detail15normal_iteratorINSA_10device_ptrItEEEEPS6_NSA_18transform_iteratorINSB_9not_fun_tI7is_trueItEEESF_NSA_11use_defaultESM_EENS0_5tupleIJSF_S6_EEENSO_IJSG_SG_EEES6_PlJS6_EEE10hipError_tPvRmT3_T4_T5_T6_T7_T9_mT8_P12ihipStream_tbDpT10_ENKUlT_T0_E_clISt17integral_constantIbLb0EES1B_EEDaS16_S17_EUlS16_E_NS1_11comp_targetILNS1_3genE5ELNS1_11target_archE942ELNS1_3gpuE9ELNS1_3repE0EEENS1_30default_config_static_selectorELNS0_4arch9wavefront6targetE0EEEvT1_.num_agpr, 0
	.set _ZN7rocprim17ROCPRIM_400000_NS6detail17trampoline_kernelINS0_14default_configENS1_25partition_config_selectorILNS1_17partition_subalgoE5EtNS0_10empty_typeEbEEZZNS1_14partition_implILS5_5ELb0ES3_mN6thrust23THRUST_200600_302600_NS6detail15normal_iteratorINSA_10device_ptrItEEEEPS6_NSA_18transform_iteratorINSB_9not_fun_tI7is_trueItEEESF_NSA_11use_defaultESM_EENS0_5tupleIJSF_S6_EEENSO_IJSG_SG_EEES6_PlJS6_EEE10hipError_tPvRmT3_T4_T5_T6_T7_T9_mT8_P12ihipStream_tbDpT10_ENKUlT_T0_E_clISt17integral_constantIbLb0EES1B_EEDaS16_S17_EUlS16_E_NS1_11comp_targetILNS1_3genE5ELNS1_11target_archE942ELNS1_3gpuE9ELNS1_3repE0EEENS1_30default_config_static_selectorELNS0_4arch9wavefront6targetE0EEEvT1_.numbered_sgpr, 0
	.set _ZN7rocprim17ROCPRIM_400000_NS6detail17trampoline_kernelINS0_14default_configENS1_25partition_config_selectorILNS1_17partition_subalgoE5EtNS0_10empty_typeEbEEZZNS1_14partition_implILS5_5ELb0ES3_mN6thrust23THRUST_200600_302600_NS6detail15normal_iteratorINSA_10device_ptrItEEEEPS6_NSA_18transform_iteratorINSB_9not_fun_tI7is_trueItEEESF_NSA_11use_defaultESM_EENS0_5tupleIJSF_S6_EEENSO_IJSG_SG_EEES6_PlJS6_EEE10hipError_tPvRmT3_T4_T5_T6_T7_T9_mT8_P12ihipStream_tbDpT10_ENKUlT_T0_E_clISt17integral_constantIbLb0EES1B_EEDaS16_S17_EUlS16_E_NS1_11comp_targetILNS1_3genE5ELNS1_11target_archE942ELNS1_3gpuE9ELNS1_3repE0EEENS1_30default_config_static_selectorELNS0_4arch9wavefront6targetE0EEEvT1_.num_named_barrier, 0
	.set _ZN7rocprim17ROCPRIM_400000_NS6detail17trampoline_kernelINS0_14default_configENS1_25partition_config_selectorILNS1_17partition_subalgoE5EtNS0_10empty_typeEbEEZZNS1_14partition_implILS5_5ELb0ES3_mN6thrust23THRUST_200600_302600_NS6detail15normal_iteratorINSA_10device_ptrItEEEEPS6_NSA_18transform_iteratorINSB_9not_fun_tI7is_trueItEEESF_NSA_11use_defaultESM_EENS0_5tupleIJSF_S6_EEENSO_IJSG_SG_EEES6_PlJS6_EEE10hipError_tPvRmT3_T4_T5_T6_T7_T9_mT8_P12ihipStream_tbDpT10_ENKUlT_T0_E_clISt17integral_constantIbLb0EES1B_EEDaS16_S17_EUlS16_E_NS1_11comp_targetILNS1_3genE5ELNS1_11target_archE942ELNS1_3gpuE9ELNS1_3repE0EEENS1_30default_config_static_selectorELNS0_4arch9wavefront6targetE0EEEvT1_.private_seg_size, 0
	.set _ZN7rocprim17ROCPRIM_400000_NS6detail17trampoline_kernelINS0_14default_configENS1_25partition_config_selectorILNS1_17partition_subalgoE5EtNS0_10empty_typeEbEEZZNS1_14partition_implILS5_5ELb0ES3_mN6thrust23THRUST_200600_302600_NS6detail15normal_iteratorINSA_10device_ptrItEEEEPS6_NSA_18transform_iteratorINSB_9not_fun_tI7is_trueItEEESF_NSA_11use_defaultESM_EENS0_5tupleIJSF_S6_EEENSO_IJSG_SG_EEES6_PlJS6_EEE10hipError_tPvRmT3_T4_T5_T6_T7_T9_mT8_P12ihipStream_tbDpT10_ENKUlT_T0_E_clISt17integral_constantIbLb0EES1B_EEDaS16_S17_EUlS16_E_NS1_11comp_targetILNS1_3genE5ELNS1_11target_archE942ELNS1_3gpuE9ELNS1_3repE0EEENS1_30default_config_static_selectorELNS0_4arch9wavefront6targetE0EEEvT1_.uses_vcc, 0
	.set _ZN7rocprim17ROCPRIM_400000_NS6detail17trampoline_kernelINS0_14default_configENS1_25partition_config_selectorILNS1_17partition_subalgoE5EtNS0_10empty_typeEbEEZZNS1_14partition_implILS5_5ELb0ES3_mN6thrust23THRUST_200600_302600_NS6detail15normal_iteratorINSA_10device_ptrItEEEEPS6_NSA_18transform_iteratorINSB_9not_fun_tI7is_trueItEEESF_NSA_11use_defaultESM_EENS0_5tupleIJSF_S6_EEENSO_IJSG_SG_EEES6_PlJS6_EEE10hipError_tPvRmT3_T4_T5_T6_T7_T9_mT8_P12ihipStream_tbDpT10_ENKUlT_T0_E_clISt17integral_constantIbLb0EES1B_EEDaS16_S17_EUlS16_E_NS1_11comp_targetILNS1_3genE5ELNS1_11target_archE942ELNS1_3gpuE9ELNS1_3repE0EEENS1_30default_config_static_selectorELNS0_4arch9wavefront6targetE0EEEvT1_.uses_flat_scratch, 0
	.set _ZN7rocprim17ROCPRIM_400000_NS6detail17trampoline_kernelINS0_14default_configENS1_25partition_config_selectorILNS1_17partition_subalgoE5EtNS0_10empty_typeEbEEZZNS1_14partition_implILS5_5ELb0ES3_mN6thrust23THRUST_200600_302600_NS6detail15normal_iteratorINSA_10device_ptrItEEEEPS6_NSA_18transform_iteratorINSB_9not_fun_tI7is_trueItEEESF_NSA_11use_defaultESM_EENS0_5tupleIJSF_S6_EEENSO_IJSG_SG_EEES6_PlJS6_EEE10hipError_tPvRmT3_T4_T5_T6_T7_T9_mT8_P12ihipStream_tbDpT10_ENKUlT_T0_E_clISt17integral_constantIbLb0EES1B_EEDaS16_S17_EUlS16_E_NS1_11comp_targetILNS1_3genE5ELNS1_11target_archE942ELNS1_3gpuE9ELNS1_3repE0EEENS1_30default_config_static_selectorELNS0_4arch9wavefront6targetE0EEEvT1_.has_dyn_sized_stack, 0
	.set _ZN7rocprim17ROCPRIM_400000_NS6detail17trampoline_kernelINS0_14default_configENS1_25partition_config_selectorILNS1_17partition_subalgoE5EtNS0_10empty_typeEbEEZZNS1_14partition_implILS5_5ELb0ES3_mN6thrust23THRUST_200600_302600_NS6detail15normal_iteratorINSA_10device_ptrItEEEEPS6_NSA_18transform_iteratorINSB_9not_fun_tI7is_trueItEEESF_NSA_11use_defaultESM_EENS0_5tupleIJSF_S6_EEENSO_IJSG_SG_EEES6_PlJS6_EEE10hipError_tPvRmT3_T4_T5_T6_T7_T9_mT8_P12ihipStream_tbDpT10_ENKUlT_T0_E_clISt17integral_constantIbLb0EES1B_EEDaS16_S17_EUlS16_E_NS1_11comp_targetILNS1_3genE5ELNS1_11target_archE942ELNS1_3gpuE9ELNS1_3repE0EEENS1_30default_config_static_selectorELNS0_4arch9wavefront6targetE0EEEvT1_.has_recursion, 0
	.set _ZN7rocprim17ROCPRIM_400000_NS6detail17trampoline_kernelINS0_14default_configENS1_25partition_config_selectorILNS1_17partition_subalgoE5EtNS0_10empty_typeEbEEZZNS1_14partition_implILS5_5ELb0ES3_mN6thrust23THRUST_200600_302600_NS6detail15normal_iteratorINSA_10device_ptrItEEEEPS6_NSA_18transform_iteratorINSB_9not_fun_tI7is_trueItEEESF_NSA_11use_defaultESM_EENS0_5tupleIJSF_S6_EEENSO_IJSG_SG_EEES6_PlJS6_EEE10hipError_tPvRmT3_T4_T5_T6_T7_T9_mT8_P12ihipStream_tbDpT10_ENKUlT_T0_E_clISt17integral_constantIbLb0EES1B_EEDaS16_S17_EUlS16_E_NS1_11comp_targetILNS1_3genE5ELNS1_11target_archE942ELNS1_3gpuE9ELNS1_3repE0EEENS1_30default_config_static_selectorELNS0_4arch9wavefront6targetE0EEEvT1_.has_indirect_call, 0
	.section	.AMDGPU.csdata,"",@progbits
; Kernel info:
; codeLenInByte = 0
; TotalNumSgprs: 0
; NumVgprs: 0
; ScratchSize: 0
; MemoryBound: 0
; FloatMode: 240
; IeeeMode: 1
; LDSByteSize: 0 bytes/workgroup (compile time only)
; SGPRBlocks: 0
; VGPRBlocks: 0
; NumSGPRsForWavesPerEU: 1
; NumVGPRsForWavesPerEU: 1
; Occupancy: 16
; WaveLimiterHint : 0
; COMPUTE_PGM_RSRC2:SCRATCH_EN: 0
; COMPUTE_PGM_RSRC2:USER_SGPR: 2
; COMPUTE_PGM_RSRC2:TRAP_HANDLER: 0
; COMPUTE_PGM_RSRC2:TGID_X_EN: 1
; COMPUTE_PGM_RSRC2:TGID_Y_EN: 0
; COMPUTE_PGM_RSRC2:TGID_Z_EN: 0
; COMPUTE_PGM_RSRC2:TIDIG_COMP_CNT: 0
	.section	.text._ZN7rocprim17ROCPRIM_400000_NS6detail17trampoline_kernelINS0_14default_configENS1_25partition_config_selectorILNS1_17partition_subalgoE5EtNS0_10empty_typeEbEEZZNS1_14partition_implILS5_5ELb0ES3_mN6thrust23THRUST_200600_302600_NS6detail15normal_iteratorINSA_10device_ptrItEEEEPS6_NSA_18transform_iteratorINSB_9not_fun_tI7is_trueItEEESF_NSA_11use_defaultESM_EENS0_5tupleIJSF_S6_EEENSO_IJSG_SG_EEES6_PlJS6_EEE10hipError_tPvRmT3_T4_T5_T6_T7_T9_mT8_P12ihipStream_tbDpT10_ENKUlT_T0_E_clISt17integral_constantIbLb0EES1B_EEDaS16_S17_EUlS16_E_NS1_11comp_targetILNS1_3genE4ELNS1_11target_archE910ELNS1_3gpuE8ELNS1_3repE0EEENS1_30default_config_static_selectorELNS0_4arch9wavefront6targetE0EEEvT1_,"axG",@progbits,_ZN7rocprim17ROCPRIM_400000_NS6detail17trampoline_kernelINS0_14default_configENS1_25partition_config_selectorILNS1_17partition_subalgoE5EtNS0_10empty_typeEbEEZZNS1_14partition_implILS5_5ELb0ES3_mN6thrust23THRUST_200600_302600_NS6detail15normal_iteratorINSA_10device_ptrItEEEEPS6_NSA_18transform_iteratorINSB_9not_fun_tI7is_trueItEEESF_NSA_11use_defaultESM_EENS0_5tupleIJSF_S6_EEENSO_IJSG_SG_EEES6_PlJS6_EEE10hipError_tPvRmT3_T4_T5_T6_T7_T9_mT8_P12ihipStream_tbDpT10_ENKUlT_T0_E_clISt17integral_constantIbLb0EES1B_EEDaS16_S17_EUlS16_E_NS1_11comp_targetILNS1_3genE4ELNS1_11target_archE910ELNS1_3gpuE8ELNS1_3repE0EEENS1_30default_config_static_selectorELNS0_4arch9wavefront6targetE0EEEvT1_,comdat
	.protected	_ZN7rocprim17ROCPRIM_400000_NS6detail17trampoline_kernelINS0_14default_configENS1_25partition_config_selectorILNS1_17partition_subalgoE5EtNS0_10empty_typeEbEEZZNS1_14partition_implILS5_5ELb0ES3_mN6thrust23THRUST_200600_302600_NS6detail15normal_iteratorINSA_10device_ptrItEEEEPS6_NSA_18transform_iteratorINSB_9not_fun_tI7is_trueItEEESF_NSA_11use_defaultESM_EENS0_5tupleIJSF_S6_EEENSO_IJSG_SG_EEES6_PlJS6_EEE10hipError_tPvRmT3_T4_T5_T6_T7_T9_mT8_P12ihipStream_tbDpT10_ENKUlT_T0_E_clISt17integral_constantIbLb0EES1B_EEDaS16_S17_EUlS16_E_NS1_11comp_targetILNS1_3genE4ELNS1_11target_archE910ELNS1_3gpuE8ELNS1_3repE0EEENS1_30default_config_static_selectorELNS0_4arch9wavefront6targetE0EEEvT1_ ; -- Begin function _ZN7rocprim17ROCPRIM_400000_NS6detail17trampoline_kernelINS0_14default_configENS1_25partition_config_selectorILNS1_17partition_subalgoE5EtNS0_10empty_typeEbEEZZNS1_14partition_implILS5_5ELb0ES3_mN6thrust23THRUST_200600_302600_NS6detail15normal_iteratorINSA_10device_ptrItEEEEPS6_NSA_18transform_iteratorINSB_9not_fun_tI7is_trueItEEESF_NSA_11use_defaultESM_EENS0_5tupleIJSF_S6_EEENSO_IJSG_SG_EEES6_PlJS6_EEE10hipError_tPvRmT3_T4_T5_T6_T7_T9_mT8_P12ihipStream_tbDpT10_ENKUlT_T0_E_clISt17integral_constantIbLb0EES1B_EEDaS16_S17_EUlS16_E_NS1_11comp_targetILNS1_3genE4ELNS1_11target_archE910ELNS1_3gpuE8ELNS1_3repE0EEENS1_30default_config_static_selectorELNS0_4arch9wavefront6targetE0EEEvT1_
	.globl	_ZN7rocprim17ROCPRIM_400000_NS6detail17trampoline_kernelINS0_14default_configENS1_25partition_config_selectorILNS1_17partition_subalgoE5EtNS0_10empty_typeEbEEZZNS1_14partition_implILS5_5ELb0ES3_mN6thrust23THRUST_200600_302600_NS6detail15normal_iteratorINSA_10device_ptrItEEEEPS6_NSA_18transform_iteratorINSB_9not_fun_tI7is_trueItEEESF_NSA_11use_defaultESM_EENS0_5tupleIJSF_S6_EEENSO_IJSG_SG_EEES6_PlJS6_EEE10hipError_tPvRmT3_T4_T5_T6_T7_T9_mT8_P12ihipStream_tbDpT10_ENKUlT_T0_E_clISt17integral_constantIbLb0EES1B_EEDaS16_S17_EUlS16_E_NS1_11comp_targetILNS1_3genE4ELNS1_11target_archE910ELNS1_3gpuE8ELNS1_3repE0EEENS1_30default_config_static_selectorELNS0_4arch9wavefront6targetE0EEEvT1_
	.p2align	8
	.type	_ZN7rocprim17ROCPRIM_400000_NS6detail17trampoline_kernelINS0_14default_configENS1_25partition_config_selectorILNS1_17partition_subalgoE5EtNS0_10empty_typeEbEEZZNS1_14partition_implILS5_5ELb0ES3_mN6thrust23THRUST_200600_302600_NS6detail15normal_iteratorINSA_10device_ptrItEEEEPS6_NSA_18transform_iteratorINSB_9not_fun_tI7is_trueItEEESF_NSA_11use_defaultESM_EENS0_5tupleIJSF_S6_EEENSO_IJSG_SG_EEES6_PlJS6_EEE10hipError_tPvRmT3_T4_T5_T6_T7_T9_mT8_P12ihipStream_tbDpT10_ENKUlT_T0_E_clISt17integral_constantIbLb0EES1B_EEDaS16_S17_EUlS16_E_NS1_11comp_targetILNS1_3genE4ELNS1_11target_archE910ELNS1_3gpuE8ELNS1_3repE0EEENS1_30default_config_static_selectorELNS0_4arch9wavefront6targetE0EEEvT1_,@function
_ZN7rocprim17ROCPRIM_400000_NS6detail17trampoline_kernelINS0_14default_configENS1_25partition_config_selectorILNS1_17partition_subalgoE5EtNS0_10empty_typeEbEEZZNS1_14partition_implILS5_5ELb0ES3_mN6thrust23THRUST_200600_302600_NS6detail15normal_iteratorINSA_10device_ptrItEEEEPS6_NSA_18transform_iteratorINSB_9not_fun_tI7is_trueItEEESF_NSA_11use_defaultESM_EENS0_5tupleIJSF_S6_EEENSO_IJSG_SG_EEES6_PlJS6_EEE10hipError_tPvRmT3_T4_T5_T6_T7_T9_mT8_P12ihipStream_tbDpT10_ENKUlT_T0_E_clISt17integral_constantIbLb0EES1B_EEDaS16_S17_EUlS16_E_NS1_11comp_targetILNS1_3genE4ELNS1_11target_archE910ELNS1_3gpuE8ELNS1_3repE0EEENS1_30default_config_static_selectorELNS0_4arch9wavefront6targetE0EEEvT1_: ; @_ZN7rocprim17ROCPRIM_400000_NS6detail17trampoline_kernelINS0_14default_configENS1_25partition_config_selectorILNS1_17partition_subalgoE5EtNS0_10empty_typeEbEEZZNS1_14partition_implILS5_5ELb0ES3_mN6thrust23THRUST_200600_302600_NS6detail15normal_iteratorINSA_10device_ptrItEEEEPS6_NSA_18transform_iteratorINSB_9not_fun_tI7is_trueItEEESF_NSA_11use_defaultESM_EENS0_5tupleIJSF_S6_EEENSO_IJSG_SG_EEES6_PlJS6_EEE10hipError_tPvRmT3_T4_T5_T6_T7_T9_mT8_P12ihipStream_tbDpT10_ENKUlT_T0_E_clISt17integral_constantIbLb0EES1B_EEDaS16_S17_EUlS16_E_NS1_11comp_targetILNS1_3genE4ELNS1_11target_archE910ELNS1_3gpuE8ELNS1_3repE0EEENS1_30default_config_static_selectorELNS0_4arch9wavefront6targetE0EEEvT1_
; %bb.0:
	.section	.rodata,"a",@progbits
	.p2align	6, 0x0
	.amdhsa_kernel _ZN7rocprim17ROCPRIM_400000_NS6detail17trampoline_kernelINS0_14default_configENS1_25partition_config_selectorILNS1_17partition_subalgoE5EtNS0_10empty_typeEbEEZZNS1_14partition_implILS5_5ELb0ES3_mN6thrust23THRUST_200600_302600_NS6detail15normal_iteratorINSA_10device_ptrItEEEEPS6_NSA_18transform_iteratorINSB_9not_fun_tI7is_trueItEEESF_NSA_11use_defaultESM_EENS0_5tupleIJSF_S6_EEENSO_IJSG_SG_EEES6_PlJS6_EEE10hipError_tPvRmT3_T4_T5_T6_T7_T9_mT8_P12ihipStream_tbDpT10_ENKUlT_T0_E_clISt17integral_constantIbLb0EES1B_EEDaS16_S17_EUlS16_E_NS1_11comp_targetILNS1_3genE4ELNS1_11target_archE910ELNS1_3gpuE8ELNS1_3repE0EEENS1_30default_config_static_selectorELNS0_4arch9wavefront6targetE0EEEvT1_
		.amdhsa_group_segment_fixed_size 0
		.amdhsa_private_segment_fixed_size 0
		.amdhsa_kernarg_size 120
		.amdhsa_user_sgpr_count 2
		.amdhsa_user_sgpr_dispatch_ptr 0
		.amdhsa_user_sgpr_queue_ptr 0
		.amdhsa_user_sgpr_kernarg_segment_ptr 1
		.amdhsa_user_sgpr_dispatch_id 0
		.amdhsa_user_sgpr_private_segment_size 0
		.amdhsa_wavefront_size32 1
		.amdhsa_uses_dynamic_stack 0
		.amdhsa_enable_private_segment 0
		.amdhsa_system_sgpr_workgroup_id_x 1
		.amdhsa_system_sgpr_workgroup_id_y 0
		.amdhsa_system_sgpr_workgroup_id_z 0
		.amdhsa_system_sgpr_workgroup_info 0
		.amdhsa_system_vgpr_workitem_id 0
		.amdhsa_next_free_vgpr 1
		.amdhsa_next_free_sgpr 1
		.amdhsa_reserve_vcc 0
		.amdhsa_float_round_mode_32 0
		.amdhsa_float_round_mode_16_64 0
		.amdhsa_float_denorm_mode_32 3
		.amdhsa_float_denorm_mode_16_64 3
		.amdhsa_fp16_overflow 0
		.amdhsa_workgroup_processor_mode 1
		.amdhsa_memory_ordered 1
		.amdhsa_forward_progress 1
		.amdhsa_inst_pref_size 0
		.amdhsa_round_robin_scheduling 0
		.amdhsa_exception_fp_ieee_invalid_op 0
		.amdhsa_exception_fp_denorm_src 0
		.amdhsa_exception_fp_ieee_div_zero 0
		.amdhsa_exception_fp_ieee_overflow 0
		.amdhsa_exception_fp_ieee_underflow 0
		.amdhsa_exception_fp_ieee_inexact 0
		.amdhsa_exception_int_div_zero 0
	.end_amdhsa_kernel
	.section	.text._ZN7rocprim17ROCPRIM_400000_NS6detail17trampoline_kernelINS0_14default_configENS1_25partition_config_selectorILNS1_17partition_subalgoE5EtNS0_10empty_typeEbEEZZNS1_14partition_implILS5_5ELb0ES3_mN6thrust23THRUST_200600_302600_NS6detail15normal_iteratorINSA_10device_ptrItEEEEPS6_NSA_18transform_iteratorINSB_9not_fun_tI7is_trueItEEESF_NSA_11use_defaultESM_EENS0_5tupleIJSF_S6_EEENSO_IJSG_SG_EEES6_PlJS6_EEE10hipError_tPvRmT3_T4_T5_T6_T7_T9_mT8_P12ihipStream_tbDpT10_ENKUlT_T0_E_clISt17integral_constantIbLb0EES1B_EEDaS16_S17_EUlS16_E_NS1_11comp_targetILNS1_3genE4ELNS1_11target_archE910ELNS1_3gpuE8ELNS1_3repE0EEENS1_30default_config_static_selectorELNS0_4arch9wavefront6targetE0EEEvT1_,"axG",@progbits,_ZN7rocprim17ROCPRIM_400000_NS6detail17trampoline_kernelINS0_14default_configENS1_25partition_config_selectorILNS1_17partition_subalgoE5EtNS0_10empty_typeEbEEZZNS1_14partition_implILS5_5ELb0ES3_mN6thrust23THRUST_200600_302600_NS6detail15normal_iteratorINSA_10device_ptrItEEEEPS6_NSA_18transform_iteratorINSB_9not_fun_tI7is_trueItEEESF_NSA_11use_defaultESM_EENS0_5tupleIJSF_S6_EEENSO_IJSG_SG_EEES6_PlJS6_EEE10hipError_tPvRmT3_T4_T5_T6_T7_T9_mT8_P12ihipStream_tbDpT10_ENKUlT_T0_E_clISt17integral_constantIbLb0EES1B_EEDaS16_S17_EUlS16_E_NS1_11comp_targetILNS1_3genE4ELNS1_11target_archE910ELNS1_3gpuE8ELNS1_3repE0EEENS1_30default_config_static_selectorELNS0_4arch9wavefront6targetE0EEEvT1_,comdat
.Lfunc_end1436:
	.size	_ZN7rocprim17ROCPRIM_400000_NS6detail17trampoline_kernelINS0_14default_configENS1_25partition_config_selectorILNS1_17partition_subalgoE5EtNS0_10empty_typeEbEEZZNS1_14partition_implILS5_5ELb0ES3_mN6thrust23THRUST_200600_302600_NS6detail15normal_iteratorINSA_10device_ptrItEEEEPS6_NSA_18transform_iteratorINSB_9not_fun_tI7is_trueItEEESF_NSA_11use_defaultESM_EENS0_5tupleIJSF_S6_EEENSO_IJSG_SG_EEES6_PlJS6_EEE10hipError_tPvRmT3_T4_T5_T6_T7_T9_mT8_P12ihipStream_tbDpT10_ENKUlT_T0_E_clISt17integral_constantIbLb0EES1B_EEDaS16_S17_EUlS16_E_NS1_11comp_targetILNS1_3genE4ELNS1_11target_archE910ELNS1_3gpuE8ELNS1_3repE0EEENS1_30default_config_static_selectorELNS0_4arch9wavefront6targetE0EEEvT1_, .Lfunc_end1436-_ZN7rocprim17ROCPRIM_400000_NS6detail17trampoline_kernelINS0_14default_configENS1_25partition_config_selectorILNS1_17partition_subalgoE5EtNS0_10empty_typeEbEEZZNS1_14partition_implILS5_5ELb0ES3_mN6thrust23THRUST_200600_302600_NS6detail15normal_iteratorINSA_10device_ptrItEEEEPS6_NSA_18transform_iteratorINSB_9not_fun_tI7is_trueItEEESF_NSA_11use_defaultESM_EENS0_5tupleIJSF_S6_EEENSO_IJSG_SG_EEES6_PlJS6_EEE10hipError_tPvRmT3_T4_T5_T6_T7_T9_mT8_P12ihipStream_tbDpT10_ENKUlT_T0_E_clISt17integral_constantIbLb0EES1B_EEDaS16_S17_EUlS16_E_NS1_11comp_targetILNS1_3genE4ELNS1_11target_archE910ELNS1_3gpuE8ELNS1_3repE0EEENS1_30default_config_static_selectorELNS0_4arch9wavefront6targetE0EEEvT1_
                                        ; -- End function
	.set _ZN7rocprim17ROCPRIM_400000_NS6detail17trampoline_kernelINS0_14default_configENS1_25partition_config_selectorILNS1_17partition_subalgoE5EtNS0_10empty_typeEbEEZZNS1_14partition_implILS5_5ELb0ES3_mN6thrust23THRUST_200600_302600_NS6detail15normal_iteratorINSA_10device_ptrItEEEEPS6_NSA_18transform_iteratorINSB_9not_fun_tI7is_trueItEEESF_NSA_11use_defaultESM_EENS0_5tupleIJSF_S6_EEENSO_IJSG_SG_EEES6_PlJS6_EEE10hipError_tPvRmT3_T4_T5_T6_T7_T9_mT8_P12ihipStream_tbDpT10_ENKUlT_T0_E_clISt17integral_constantIbLb0EES1B_EEDaS16_S17_EUlS16_E_NS1_11comp_targetILNS1_3genE4ELNS1_11target_archE910ELNS1_3gpuE8ELNS1_3repE0EEENS1_30default_config_static_selectorELNS0_4arch9wavefront6targetE0EEEvT1_.num_vgpr, 0
	.set _ZN7rocprim17ROCPRIM_400000_NS6detail17trampoline_kernelINS0_14default_configENS1_25partition_config_selectorILNS1_17partition_subalgoE5EtNS0_10empty_typeEbEEZZNS1_14partition_implILS5_5ELb0ES3_mN6thrust23THRUST_200600_302600_NS6detail15normal_iteratorINSA_10device_ptrItEEEEPS6_NSA_18transform_iteratorINSB_9not_fun_tI7is_trueItEEESF_NSA_11use_defaultESM_EENS0_5tupleIJSF_S6_EEENSO_IJSG_SG_EEES6_PlJS6_EEE10hipError_tPvRmT3_T4_T5_T6_T7_T9_mT8_P12ihipStream_tbDpT10_ENKUlT_T0_E_clISt17integral_constantIbLb0EES1B_EEDaS16_S17_EUlS16_E_NS1_11comp_targetILNS1_3genE4ELNS1_11target_archE910ELNS1_3gpuE8ELNS1_3repE0EEENS1_30default_config_static_selectorELNS0_4arch9wavefront6targetE0EEEvT1_.num_agpr, 0
	.set _ZN7rocprim17ROCPRIM_400000_NS6detail17trampoline_kernelINS0_14default_configENS1_25partition_config_selectorILNS1_17partition_subalgoE5EtNS0_10empty_typeEbEEZZNS1_14partition_implILS5_5ELb0ES3_mN6thrust23THRUST_200600_302600_NS6detail15normal_iteratorINSA_10device_ptrItEEEEPS6_NSA_18transform_iteratorINSB_9not_fun_tI7is_trueItEEESF_NSA_11use_defaultESM_EENS0_5tupleIJSF_S6_EEENSO_IJSG_SG_EEES6_PlJS6_EEE10hipError_tPvRmT3_T4_T5_T6_T7_T9_mT8_P12ihipStream_tbDpT10_ENKUlT_T0_E_clISt17integral_constantIbLb0EES1B_EEDaS16_S17_EUlS16_E_NS1_11comp_targetILNS1_3genE4ELNS1_11target_archE910ELNS1_3gpuE8ELNS1_3repE0EEENS1_30default_config_static_selectorELNS0_4arch9wavefront6targetE0EEEvT1_.numbered_sgpr, 0
	.set _ZN7rocprim17ROCPRIM_400000_NS6detail17trampoline_kernelINS0_14default_configENS1_25partition_config_selectorILNS1_17partition_subalgoE5EtNS0_10empty_typeEbEEZZNS1_14partition_implILS5_5ELb0ES3_mN6thrust23THRUST_200600_302600_NS6detail15normal_iteratorINSA_10device_ptrItEEEEPS6_NSA_18transform_iteratorINSB_9not_fun_tI7is_trueItEEESF_NSA_11use_defaultESM_EENS0_5tupleIJSF_S6_EEENSO_IJSG_SG_EEES6_PlJS6_EEE10hipError_tPvRmT3_T4_T5_T6_T7_T9_mT8_P12ihipStream_tbDpT10_ENKUlT_T0_E_clISt17integral_constantIbLb0EES1B_EEDaS16_S17_EUlS16_E_NS1_11comp_targetILNS1_3genE4ELNS1_11target_archE910ELNS1_3gpuE8ELNS1_3repE0EEENS1_30default_config_static_selectorELNS0_4arch9wavefront6targetE0EEEvT1_.num_named_barrier, 0
	.set _ZN7rocprim17ROCPRIM_400000_NS6detail17trampoline_kernelINS0_14default_configENS1_25partition_config_selectorILNS1_17partition_subalgoE5EtNS0_10empty_typeEbEEZZNS1_14partition_implILS5_5ELb0ES3_mN6thrust23THRUST_200600_302600_NS6detail15normal_iteratorINSA_10device_ptrItEEEEPS6_NSA_18transform_iteratorINSB_9not_fun_tI7is_trueItEEESF_NSA_11use_defaultESM_EENS0_5tupleIJSF_S6_EEENSO_IJSG_SG_EEES6_PlJS6_EEE10hipError_tPvRmT3_T4_T5_T6_T7_T9_mT8_P12ihipStream_tbDpT10_ENKUlT_T0_E_clISt17integral_constantIbLb0EES1B_EEDaS16_S17_EUlS16_E_NS1_11comp_targetILNS1_3genE4ELNS1_11target_archE910ELNS1_3gpuE8ELNS1_3repE0EEENS1_30default_config_static_selectorELNS0_4arch9wavefront6targetE0EEEvT1_.private_seg_size, 0
	.set _ZN7rocprim17ROCPRIM_400000_NS6detail17trampoline_kernelINS0_14default_configENS1_25partition_config_selectorILNS1_17partition_subalgoE5EtNS0_10empty_typeEbEEZZNS1_14partition_implILS5_5ELb0ES3_mN6thrust23THRUST_200600_302600_NS6detail15normal_iteratorINSA_10device_ptrItEEEEPS6_NSA_18transform_iteratorINSB_9not_fun_tI7is_trueItEEESF_NSA_11use_defaultESM_EENS0_5tupleIJSF_S6_EEENSO_IJSG_SG_EEES6_PlJS6_EEE10hipError_tPvRmT3_T4_T5_T6_T7_T9_mT8_P12ihipStream_tbDpT10_ENKUlT_T0_E_clISt17integral_constantIbLb0EES1B_EEDaS16_S17_EUlS16_E_NS1_11comp_targetILNS1_3genE4ELNS1_11target_archE910ELNS1_3gpuE8ELNS1_3repE0EEENS1_30default_config_static_selectorELNS0_4arch9wavefront6targetE0EEEvT1_.uses_vcc, 0
	.set _ZN7rocprim17ROCPRIM_400000_NS6detail17trampoline_kernelINS0_14default_configENS1_25partition_config_selectorILNS1_17partition_subalgoE5EtNS0_10empty_typeEbEEZZNS1_14partition_implILS5_5ELb0ES3_mN6thrust23THRUST_200600_302600_NS6detail15normal_iteratorINSA_10device_ptrItEEEEPS6_NSA_18transform_iteratorINSB_9not_fun_tI7is_trueItEEESF_NSA_11use_defaultESM_EENS0_5tupleIJSF_S6_EEENSO_IJSG_SG_EEES6_PlJS6_EEE10hipError_tPvRmT3_T4_T5_T6_T7_T9_mT8_P12ihipStream_tbDpT10_ENKUlT_T0_E_clISt17integral_constantIbLb0EES1B_EEDaS16_S17_EUlS16_E_NS1_11comp_targetILNS1_3genE4ELNS1_11target_archE910ELNS1_3gpuE8ELNS1_3repE0EEENS1_30default_config_static_selectorELNS0_4arch9wavefront6targetE0EEEvT1_.uses_flat_scratch, 0
	.set _ZN7rocprim17ROCPRIM_400000_NS6detail17trampoline_kernelINS0_14default_configENS1_25partition_config_selectorILNS1_17partition_subalgoE5EtNS0_10empty_typeEbEEZZNS1_14partition_implILS5_5ELb0ES3_mN6thrust23THRUST_200600_302600_NS6detail15normal_iteratorINSA_10device_ptrItEEEEPS6_NSA_18transform_iteratorINSB_9not_fun_tI7is_trueItEEESF_NSA_11use_defaultESM_EENS0_5tupleIJSF_S6_EEENSO_IJSG_SG_EEES6_PlJS6_EEE10hipError_tPvRmT3_T4_T5_T6_T7_T9_mT8_P12ihipStream_tbDpT10_ENKUlT_T0_E_clISt17integral_constantIbLb0EES1B_EEDaS16_S17_EUlS16_E_NS1_11comp_targetILNS1_3genE4ELNS1_11target_archE910ELNS1_3gpuE8ELNS1_3repE0EEENS1_30default_config_static_selectorELNS0_4arch9wavefront6targetE0EEEvT1_.has_dyn_sized_stack, 0
	.set _ZN7rocprim17ROCPRIM_400000_NS6detail17trampoline_kernelINS0_14default_configENS1_25partition_config_selectorILNS1_17partition_subalgoE5EtNS0_10empty_typeEbEEZZNS1_14partition_implILS5_5ELb0ES3_mN6thrust23THRUST_200600_302600_NS6detail15normal_iteratorINSA_10device_ptrItEEEEPS6_NSA_18transform_iteratorINSB_9not_fun_tI7is_trueItEEESF_NSA_11use_defaultESM_EENS0_5tupleIJSF_S6_EEENSO_IJSG_SG_EEES6_PlJS6_EEE10hipError_tPvRmT3_T4_T5_T6_T7_T9_mT8_P12ihipStream_tbDpT10_ENKUlT_T0_E_clISt17integral_constantIbLb0EES1B_EEDaS16_S17_EUlS16_E_NS1_11comp_targetILNS1_3genE4ELNS1_11target_archE910ELNS1_3gpuE8ELNS1_3repE0EEENS1_30default_config_static_selectorELNS0_4arch9wavefront6targetE0EEEvT1_.has_recursion, 0
	.set _ZN7rocprim17ROCPRIM_400000_NS6detail17trampoline_kernelINS0_14default_configENS1_25partition_config_selectorILNS1_17partition_subalgoE5EtNS0_10empty_typeEbEEZZNS1_14partition_implILS5_5ELb0ES3_mN6thrust23THRUST_200600_302600_NS6detail15normal_iteratorINSA_10device_ptrItEEEEPS6_NSA_18transform_iteratorINSB_9not_fun_tI7is_trueItEEESF_NSA_11use_defaultESM_EENS0_5tupleIJSF_S6_EEENSO_IJSG_SG_EEES6_PlJS6_EEE10hipError_tPvRmT3_T4_T5_T6_T7_T9_mT8_P12ihipStream_tbDpT10_ENKUlT_T0_E_clISt17integral_constantIbLb0EES1B_EEDaS16_S17_EUlS16_E_NS1_11comp_targetILNS1_3genE4ELNS1_11target_archE910ELNS1_3gpuE8ELNS1_3repE0EEENS1_30default_config_static_selectorELNS0_4arch9wavefront6targetE0EEEvT1_.has_indirect_call, 0
	.section	.AMDGPU.csdata,"",@progbits
; Kernel info:
; codeLenInByte = 0
; TotalNumSgprs: 0
; NumVgprs: 0
; ScratchSize: 0
; MemoryBound: 0
; FloatMode: 240
; IeeeMode: 1
; LDSByteSize: 0 bytes/workgroup (compile time only)
; SGPRBlocks: 0
; VGPRBlocks: 0
; NumSGPRsForWavesPerEU: 1
; NumVGPRsForWavesPerEU: 1
; Occupancy: 16
; WaveLimiterHint : 0
; COMPUTE_PGM_RSRC2:SCRATCH_EN: 0
; COMPUTE_PGM_RSRC2:USER_SGPR: 2
; COMPUTE_PGM_RSRC2:TRAP_HANDLER: 0
; COMPUTE_PGM_RSRC2:TGID_X_EN: 1
; COMPUTE_PGM_RSRC2:TGID_Y_EN: 0
; COMPUTE_PGM_RSRC2:TGID_Z_EN: 0
; COMPUTE_PGM_RSRC2:TIDIG_COMP_CNT: 0
	.section	.text._ZN7rocprim17ROCPRIM_400000_NS6detail17trampoline_kernelINS0_14default_configENS1_25partition_config_selectorILNS1_17partition_subalgoE5EtNS0_10empty_typeEbEEZZNS1_14partition_implILS5_5ELb0ES3_mN6thrust23THRUST_200600_302600_NS6detail15normal_iteratorINSA_10device_ptrItEEEEPS6_NSA_18transform_iteratorINSB_9not_fun_tI7is_trueItEEESF_NSA_11use_defaultESM_EENS0_5tupleIJSF_S6_EEENSO_IJSG_SG_EEES6_PlJS6_EEE10hipError_tPvRmT3_T4_T5_T6_T7_T9_mT8_P12ihipStream_tbDpT10_ENKUlT_T0_E_clISt17integral_constantIbLb0EES1B_EEDaS16_S17_EUlS16_E_NS1_11comp_targetILNS1_3genE3ELNS1_11target_archE908ELNS1_3gpuE7ELNS1_3repE0EEENS1_30default_config_static_selectorELNS0_4arch9wavefront6targetE0EEEvT1_,"axG",@progbits,_ZN7rocprim17ROCPRIM_400000_NS6detail17trampoline_kernelINS0_14default_configENS1_25partition_config_selectorILNS1_17partition_subalgoE5EtNS0_10empty_typeEbEEZZNS1_14partition_implILS5_5ELb0ES3_mN6thrust23THRUST_200600_302600_NS6detail15normal_iteratorINSA_10device_ptrItEEEEPS6_NSA_18transform_iteratorINSB_9not_fun_tI7is_trueItEEESF_NSA_11use_defaultESM_EENS0_5tupleIJSF_S6_EEENSO_IJSG_SG_EEES6_PlJS6_EEE10hipError_tPvRmT3_T4_T5_T6_T7_T9_mT8_P12ihipStream_tbDpT10_ENKUlT_T0_E_clISt17integral_constantIbLb0EES1B_EEDaS16_S17_EUlS16_E_NS1_11comp_targetILNS1_3genE3ELNS1_11target_archE908ELNS1_3gpuE7ELNS1_3repE0EEENS1_30default_config_static_selectorELNS0_4arch9wavefront6targetE0EEEvT1_,comdat
	.protected	_ZN7rocprim17ROCPRIM_400000_NS6detail17trampoline_kernelINS0_14default_configENS1_25partition_config_selectorILNS1_17partition_subalgoE5EtNS0_10empty_typeEbEEZZNS1_14partition_implILS5_5ELb0ES3_mN6thrust23THRUST_200600_302600_NS6detail15normal_iteratorINSA_10device_ptrItEEEEPS6_NSA_18transform_iteratorINSB_9not_fun_tI7is_trueItEEESF_NSA_11use_defaultESM_EENS0_5tupleIJSF_S6_EEENSO_IJSG_SG_EEES6_PlJS6_EEE10hipError_tPvRmT3_T4_T5_T6_T7_T9_mT8_P12ihipStream_tbDpT10_ENKUlT_T0_E_clISt17integral_constantIbLb0EES1B_EEDaS16_S17_EUlS16_E_NS1_11comp_targetILNS1_3genE3ELNS1_11target_archE908ELNS1_3gpuE7ELNS1_3repE0EEENS1_30default_config_static_selectorELNS0_4arch9wavefront6targetE0EEEvT1_ ; -- Begin function _ZN7rocprim17ROCPRIM_400000_NS6detail17trampoline_kernelINS0_14default_configENS1_25partition_config_selectorILNS1_17partition_subalgoE5EtNS0_10empty_typeEbEEZZNS1_14partition_implILS5_5ELb0ES3_mN6thrust23THRUST_200600_302600_NS6detail15normal_iteratorINSA_10device_ptrItEEEEPS6_NSA_18transform_iteratorINSB_9not_fun_tI7is_trueItEEESF_NSA_11use_defaultESM_EENS0_5tupleIJSF_S6_EEENSO_IJSG_SG_EEES6_PlJS6_EEE10hipError_tPvRmT3_T4_T5_T6_T7_T9_mT8_P12ihipStream_tbDpT10_ENKUlT_T0_E_clISt17integral_constantIbLb0EES1B_EEDaS16_S17_EUlS16_E_NS1_11comp_targetILNS1_3genE3ELNS1_11target_archE908ELNS1_3gpuE7ELNS1_3repE0EEENS1_30default_config_static_selectorELNS0_4arch9wavefront6targetE0EEEvT1_
	.globl	_ZN7rocprim17ROCPRIM_400000_NS6detail17trampoline_kernelINS0_14default_configENS1_25partition_config_selectorILNS1_17partition_subalgoE5EtNS0_10empty_typeEbEEZZNS1_14partition_implILS5_5ELb0ES3_mN6thrust23THRUST_200600_302600_NS6detail15normal_iteratorINSA_10device_ptrItEEEEPS6_NSA_18transform_iteratorINSB_9not_fun_tI7is_trueItEEESF_NSA_11use_defaultESM_EENS0_5tupleIJSF_S6_EEENSO_IJSG_SG_EEES6_PlJS6_EEE10hipError_tPvRmT3_T4_T5_T6_T7_T9_mT8_P12ihipStream_tbDpT10_ENKUlT_T0_E_clISt17integral_constantIbLb0EES1B_EEDaS16_S17_EUlS16_E_NS1_11comp_targetILNS1_3genE3ELNS1_11target_archE908ELNS1_3gpuE7ELNS1_3repE0EEENS1_30default_config_static_selectorELNS0_4arch9wavefront6targetE0EEEvT1_
	.p2align	8
	.type	_ZN7rocprim17ROCPRIM_400000_NS6detail17trampoline_kernelINS0_14default_configENS1_25partition_config_selectorILNS1_17partition_subalgoE5EtNS0_10empty_typeEbEEZZNS1_14partition_implILS5_5ELb0ES3_mN6thrust23THRUST_200600_302600_NS6detail15normal_iteratorINSA_10device_ptrItEEEEPS6_NSA_18transform_iteratorINSB_9not_fun_tI7is_trueItEEESF_NSA_11use_defaultESM_EENS0_5tupleIJSF_S6_EEENSO_IJSG_SG_EEES6_PlJS6_EEE10hipError_tPvRmT3_T4_T5_T6_T7_T9_mT8_P12ihipStream_tbDpT10_ENKUlT_T0_E_clISt17integral_constantIbLb0EES1B_EEDaS16_S17_EUlS16_E_NS1_11comp_targetILNS1_3genE3ELNS1_11target_archE908ELNS1_3gpuE7ELNS1_3repE0EEENS1_30default_config_static_selectorELNS0_4arch9wavefront6targetE0EEEvT1_,@function
_ZN7rocprim17ROCPRIM_400000_NS6detail17trampoline_kernelINS0_14default_configENS1_25partition_config_selectorILNS1_17partition_subalgoE5EtNS0_10empty_typeEbEEZZNS1_14partition_implILS5_5ELb0ES3_mN6thrust23THRUST_200600_302600_NS6detail15normal_iteratorINSA_10device_ptrItEEEEPS6_NSA_18transform_iteratorINSB_9not_fun_tI7is_trueItEEESF_NSA_11use_defaultESM_EENS0_5tupleIJSF_S6_EEENSO_IJSG_SG_EEES6_PlJS6_EEE10hipError_tPvRmT3_T4_T5_T6_T7_T9_mT8_P12ihipStream_tbDpT10_ENKUlT_T0_E_clISt17integral_constantIbLb0EES1B_EEDaS16_S17_EUlS16_E_NS1_11comp_targetILNS1_3genE3ELNS1_11target_archE908ELNS1_3gpuE7ELNS1_3repE0EEENS1_30default_config_static_selectorELNS0_4arch9wavefront6targetE0EEEvT1_: ; @_ZN7rocprim17ROCPRIM_400000_NS6detail17trampoline_kernelINS0_14default_configENS1_25partition_config_selectorILNS1_17partition_subalgoE5EtNS0_10empty_typeEbEEZZNS1_14partition_implILS5_5ELb0ES3_mN6thrust23THRUST_200600_302600_NS6detail15normal_iteratorINSA_10device_ptrItEEEEPS6_NSA_18transform_iteratorINSB_9not_fun_tI7is_trueItEEESF_NSA_11use_defaultESM_EENS0_5tupleIJSF_S6_EEENSO_IJSG_SG_EEES6_PlJS6_EEE10hipError_tPvRmT3_T4_T5_T6_T7_T9_mT8_P12ihipStream_tbDpT10_ENKUlT_T0_E_clISt17integral_constantIbLb0EES1B_EEDaS16_S17_EUlS16_E_NS1_11comp_targetILNS1_3genE3ELNS1_11target_archE908ELNS1_3gpuE7ELNS1_3repE0EEENS1_30default_config_static_selectorELNS0_4arch9wavefront6targetE0EEEvT1_
; %bb.0:
	.section	.rodata,"a",@progbits
	.p2align	6, 0x0
	.amdhsa_kernel _ZN7rocprim17ROCPRIM_400000_NS6detail17trampoline_kernelINS0_14default_configENS1_25partition_config_selectorILNS1_17partition_subalgoE5EtNS0_10empty_typeEbEEZZNS1_14partition_implILS5_5ELb0ES3_mN6thrust23THRUST_200600_302600_NS6detail15normal_iteratorINSA_10device_ptrItEEEEPS6_NSA_18transform_iteratorINSB_9not_fun_tI7is_trueItEEESF_NSA_11use_defaultESM_EENS0_5tupleIJSF_S6_EEENSO_IJSG_SG_EEES6_PlJS6_EEE10hipError_tPvRmT3_T4_T5_T6_T7_T9_mT8_P12ihipStream_tbDpT10_ENKUlT_T0_E_clISt17integral_constantIbLb0EES1B_EEDaS16_S17_EUlS16_E_NS1_11comp_targetILNS1_3genE3ELNS1_11target_archE908ELNS1_3gpuE7ELNS1_3repE0EEENS1_30default_config_static_selectorELNS0_4arch9wavefront6targetE0EEEvT1_
		.amdhsa_group_segment_fixed_size 0
		.amdhsa_private_segment_fixed_size 0
		.amdhsa_kernarg_size 120
		.amdhsa_user_sgpr_count 2
		.amdhsa_user_sgpr_dispatch_ptr 0
		.amdhsa_user_sgpr_queue_ptr 0
		.amdhsa_user_sgpr_kernarg_segment_ptr 1
		.amdhsa_user_sgpr_dispatch_id 0
		.amdhsa_user_sgpr_private_segment_size 0
		.amdhsa_wavefront_size32 1
		.amdhsa_uses_dynamic_stack 0
		.amdhsa_enable_private_segment 0
		.amdhsa_system_sgpr_workgroup_id_x 1
		.amdhsa_system_sgpr_workgroup_id_y 0
		.amdhsa_system_sgpr_workgroup_id_z 0
		.amdhsa_system_sgpr_workgroup_info 0
		.amdhsa_system_vgpr_workitem_id 0
		.amdhsa_next_free_vgpr 1
		.amdhsa_next_free_sgpr 1
		.amdhsa_reserve_vcc 0
		.amdhsa_float_round_mode_32 0
		.amdhsa_float_round_mode_16_64 0
		.amdhsa_float_denorm_mode_32 3
		.amdhsa_float_denorm_mode_16_64 3
		.amdhsa_fp16_overflow 0
		.amdhsa_workgroup_processor_mode 1
		.amdhsa_memory_ordered 1
		.amdhsa_forward_progress 1
		.amdhsa_inst_pref_size 0
		.amdhsa_round_robin_scheduling 0
		.amdhsa_exception_fp_ieee_invalid_op 0
		.amdhsa_exception_fp_denorm_src 0
		.amdhsa_exception_fp_ieee_div_zero 0
		.amdhsa_exception_fp_ieee_overflow 0
		.amdhsa_exception_fp_ieee_underflow 0
		.amdhsa_exception_fp_ieee_inexact 0
		.amdhsa_exception_int_div_zero 0
	.end_amdhsa_kernel
	.section	.text._ZN7rocprim17ROCPRIM_400000_NS6detail17trampoline_kernelINS0_14default_configENS1_25partition_config_selectorILNS1_17partition_subalgoE5EtNS0_10empty_typeEbEEZZNS1_14partition_implILS5_5ELb0ES3_mN6thrust23THRUST_200600_302600_NS6detail15normal_iteratorINSA_10device_ptrItEEEEPS6_NSA_18transform_iteratorINSB_9not_fun_tI7is_trueItEEESF_NSA_11use_defaultESM_EENS0_5tupleIJSF_S6_EEENSO_IJSG_SG_EEES6_PlJS6_EEE10hipError_tPvRmT3_T4_T5_T6_T7_T9_mT8_P12ihipStream_tbDpT10_ENKUlT_T0_E_clISt17integral_constantIbLb0EES1B_EEDaS16_S17_EUlS16_E_NS1_11comp_targetILNS1_3genE3ELNS1_11target_archE908ELNS1_3gpuE7ELNS1_3repE0EEENS1_30default_config_static_selectorELNS0_4arch9wavefront6targetE0EEEvT1_,"axG",@progbits,_ZN7rocprim17ROCPRIM_400000_NS6detail17trampoline_kernelINS0_14default_configENS1_25partition_config_selectorILNS1_17partition_subalgoE5EtNS0_10empty_typeEbEEZZNS1_14partition_implILS5_5ELb0ES3_mN6thrust23THRUST_200600_302600_NS6detail15normal_iteratorINSA_10device_ptrItEEEEPS6_NSA_18transform_iteratorINSB_9not_fun_tI7is_trueItEEESF_NSA_11use_defaultESM_EENS0_5tupleIJSF_S6_EEENSO_IJSG_SG_EEES6_PlJS6_EEE10hipError_tPvRmT3_T4_T5_T6_T7_T9_mT8_P12ihipStream_tbDpT10_ENKUlT_T0_E_clISt17integral_constantIbLb0EES1B_EEDaS16_S17_EUlS16_E_NS1_11comp_targetILNS1_3genE3ELNS1_11target_archE908ELNS1_3gpuE7ELNS1_3repE0EEENS1_30default_config_static_selectorELNS0_4arch9wavefront6targetE0EEEvT1_,comdat
.Lfunc_end1437:
	.size	_ZN7rocprim17ROCPRIM_400000_NS6detail17trampoline_kernelINS0_14default_configENS1_25partition_config_selectorILNS1_17partition_subalgoE5EtNS0_10empty_typeEbEEZZNS1_14partition_implILS5_5ELb0ES3_mN6thrust23THRUST_200600_302600_NS6detail15normal_iteratorINSA_10device_ptrItEEEEPS6_NSA_18transform_iteratorINSB_9not_fun_tI7is_trueItEEESF_NSA_11use_defaultESM_EENS0_5tupleIJSF_S6_EEENSO_IJSG_SG_EEES6_PlJS6_EEE10hipError_tPvRmT3_T4_T5_T6_T7_T9_mT8_P12ihipStream_tbDpT10_ENKUlT_T0_E_clISt17integral_constantIbLb0EES1B_EEDaS16_S17_EUlS16_E_NS1_11comp_targetILNS1_3genE3ELNS1_11target_archE908ELNS1_3gpuE7ELNS1_3repE0EEENS1_30default_config_static_selectorELNS0_4arch9wavefront6targetE0EEEvT1_, .Lfunc_end1437-_ZN7rocprim17ROCPRIM_400000_NS6detail17trampoline_kernelINS0_14default_configENS1_25partition_config_selectorILNS1_17partition_subalgoE5EtNS0_10empty_typeEbEEZZNS1_14partition_implILS5_5ELb0ES3_mN6thrust23THRUST_200600_302600_NS6detail15normal_iteratorINSA_10device_ptrItEEEEPS6_NSA_18transform_iteratorINSB_9not_fun_tI7is_trueItEEESF_NSA_11use_defaultESM_EENS0_5tupleIJSF_S6_EEENSO_IJSG_SG_EEES6_PlJS6_EEE10hipError_tPvRmT3_T4_T5_T6_T7_T9_mT8_P12ihipStream_tbDpT10_ENKUlT_T0_E_clISt17integral_constantIbLb0EES1B_EEDaS16_S17_EUlS16_E_NS1_11comp_targetILNS1_3genE3ELNS1_11target_archE908ELNS1_3gpuE7ELNS1_3repE0EEENS1_30default_config_static_selectorELNS0_4arch9wavefront6targetE0EEEvT1_
                                        ; -- End function
	.set _ZN7rocprim17ROCPRIM_400000_NS6detail17trampoline_kernelINS0_14default_configENS1_25partition_config_selectorILNS1_17partition_subalgoE5EtNS0_10empty_typeEbEEZZNS1_14partition_implILS5_5ELb0ES3_mN6thrust23THRUST_200600_302600_NS6detail15normal_iteratorINSA_10device_ptrItEEEEPS6_NSA_18transform_iteratorINSB_9not_fun_tI7is_trueItEEESF_NSA_11use_defaultESM_EENS0_5tupleIJSF_S6_EEENSO_IJSG_SG_EEES6_PlJS6_EEE10hipError_tPvRmT3_T4_T5_T6_T7_T9_mT8_P12ihipStream_tbDpT10_ENKUlT_T0_E_clISt17integral_constantIbLb0EES1B_EEDaS16_S17_EUlS16_E_NS1_11comp_targetILNS1_3genE3ELNS1_11target_archE908ELNS1_3gpuE7ELNS1_3repE0EEENS1_30default_config_static_selectorELNS0_4arch9wavefront6targetE0EEEvT1_.num_vgpr, 0
	.set _ZN7rocprim17ROCPRIM_400000_NS6detail17trampoline_kernelINS0_14default_configENS1_25partition_config_selectorILNS1_17partition_subalgoE5EtNS0_10empty_typeEbEEZZNS1_14partition_implILS5_5ELb0ES3_mN6thrust23THRUST_200600_302600_NS6detail15normal_iteratorINSA_10device_ptrItEEEEPS6_NSA_18transform_iteratorINSB_9not_fun_tI7is_trueItEEESF_NSA_11use_defaultESM_EENS0_5tupleIJSF_S6_EEENSO_IJSG_SG_EEES6_PlJS6_EEE10hipError_tPvRmT3_T4_T5_T6_T7_T9_mT8_P12ihipStream_tbDpT10_ENKUlT_T0_E_clISt17integral_constantIbLb0EES1B_EEDaS16_S17_EUlS16_E_NS1_11comp_targetILNS1_3genE3ELNS1_11target_archE908ELNS1_3gpuE7ELNS1_3repE0EEENS1_30default_config_static_selectorELNS0_4arch9wavefront6targetE0EEEvT1_.num_agpr, 0
	.set _ZN7rocprim17ROCPRIM_400000_NS6detail17trampoline_kernelINS0_14default_configENS1_25partition_config_selectorILNS1_17partition_subalgoE5EtNS0_10empty_typeEbEEZZNS1_14partition_implILS5_5ELb0ES3_mN6thrust23THRUST_200600_302600_NS6detail15normal_iteratorINSA_10device_ptrItEEEEPS6_NSA_18transform_iteratorINSB_9not_fun_tI7is_trueItEEESF_NSA_11use_defaultESM_EENS0_5tupleIJSF_S6_EEENSO_IJSG_SG_EEES6_PlJS6_EEE10hipError_tPvRmT3_T4_T5_T6_T7_T9_mT8_P12ihipStream_tbDpT10_ENKUlT_T0_E_clISt17integral_constantIbLb0EES1B_EEDaS16_S17_EUlS16_E_NS1_11comp_targetILNS1_3genE3ELNS1_11target_archE908ELNS1_3gpuE7ELNS1_3repE0EEENS1_30default_config_static_selectorELNS0_4arch9wavefront6targetE0EEEvT1_.numbered_sgpr, 0
	.set _ZN7rocprim17ROCPRIM_400000_NS6detail17trampoline_kernelINS0_14default_configENS1_25partition_config_selectorILNS1_17partition_subalgoE5EtNS0_10empty_typeEbEEZZNS1_14partition_implILS5_5ELb0ES3_mN6thrust23THRUST_200600_302600_NS6detail15normal_iteratorINSA_10device_ptrItEEEEPS6_NSA_18transform_iteratorINSB_9not_fun_tI7is_trueItEEESF_NSA_11use_defaultESM_EENS0_5tupleIJSF_S6_EEENSO_IJSG_SG_EEES6_PlJS6_EEE10hipError_tPvRmT3_T4_T5_T6_T7_T9_mT8_P12ihipStream_tbDpT10_ENKUlT_T0_E_clISt17integral_constantIbLb0EES1B_EEDaS16_S17_EUlS16_E_NS1_11comp_targetILNS1_3genE3ELNS1_11target_archE908ELNS1_3gpuE7ELNS1_3repE0EEENS1_30default_config_static_selectorELNS0_4arch9wavefront6targetE0EEEvT1_.num_named_barrier, 0
	.set _ZN7rocprim17ROCPRIM_400000_NS6detail17trampoline_kernelINS0_14default_configENS1_25partition_config_selectorILNS1_17partition_subalgoE5EtNS0_10empty_typeEbEEZZNS1_14partition_implILS5_5ELb0ES3_mN6thrust23THRUST_200600_302600_NS6detail15normal_iteratorINSA_10device_ptrItEEEEPS6_NSA_18transform_iteratorINSB_9not_fun_tI7is_trueItEEESF_NSA_11use_defaultESM_EENS0_5tupleIJSF_S6_EEENSO_IJSG_SG_EEES6_PlJS6_EEE10hipError_tPvRmT3_T4_T5_T6_T7_T9_mT8_P12ihipStream_tbDpT10_ENKUlT_T0_E_clISt17integral_constantIbLb0EES1B_EEDaS16_S17_EUlS16_E_NS1_11comp_targetILNS1_3genE3ELNS1_11target_archE908ELNS1_3gpuE7ELNS1_3repE0EEENS1_30default_config_static_selectorELNS0_4arch9wavefront6targetE0EEEvT1_.private_seg_size, 0
	.set _ZN7rocprim17ROCPRIM_400000_NS6detail17trampoline_kernelINS0_14default_configENS1_25partition_config_selectorILNS1_17partition_subalgoE5EtNS0_10empty_typeEbEEZZNS1_14partition_implILS5_5ELb0ES3_mN6thrust23THRUST_200600_302600_NS6detail15normal_iteratorINSA_10device_ptrItEEEEPS6_NSA_18transform_iteratorINSB_9not_fun_tI7is_trueItEEESF_NSA_11use_defaultESM_EENS0_5tupleIJSF_S6_EEENSO_IJSG_SG_EEES6_PlJS6_EEE10hipError_tPvRmT3_T4_T5_T6_T7_T9_mT8_P12ihipStream_tbDpT10_ENKUlT_T0_E_clISt17integral_constantIbLb0EES1B_EEDaS16_S17_EUlS16_E_NS1_11comp_targetILNS1_3genE3ELNS1_11target_archE908ELNS1_3gpuE7ELNS1_3repE0EEENS1_30default_config_static_selectorELNS0_4arch9wavefront6targetE0EEEvT1_.uses_vcc, 0
	.set _ZN7rocprim17ROCPRIM_400000_NS6detail17trampoline_kernelINS0_14default_configENS1_25partition_config_selectorILNS1_17partition_subalgoE5EtNS0_10empty_typeEbEEZZNS1_14partition_implILS5_5ELb0ES3_mN6thrust23THRUST_200600_302600_NS6detail15normal_iteratorINSA_10device_ptrItEEEEPS6_NSA_18transform_iteratorINSB_9not_fun_tI7is_trueItEEESF_NSA_11use_defaultESM_EENS0_5tupleIJSF_S6_EEENSO_IJSG_SG_EEES6_PlJS6_EEE10hipError_tPvRmT3_T4_T5_T6_T7_T9_mT8_P12ihipStream_tbDpT10_ENKUlT_T0_E_clISt17integral_constantIbLb0EES1B_EEDaS16_S17_EUlS16_E_NS1_11comp_targetILNS1_3genE3ELNS1_11target_archE908ELNS1_3gpuE7ELNS1_3repE0EEENS1_30default_config_static_selectorELNS0_4arch9wavefront6targetE0EEEvT1_.uses_flat_scratch, 0
	.set _ZN7rocprim17ROCPRIM_400000_NS6detail17trampoline_kernelINS0_14default_configENS1_25partition_config_selectorILNS1_17partition_subalgoE5EtNS0_10empty_typeEbEEZZNS1_14partition_implILS5_5ELb0ES3_mN6thrust23THRUST_200600_302600_NS6detail15normal_iteratorINSA_10device_ptrItEEEEPS6_NSA_18transform_iteratorINSB_9not_fun_tI7is_trueItEEESF_NSA_11use_defaultESM_EENS0_5tupleIJSF_S6_EEENSO_IJSG_SG_EEES6_PlJS6_EEE10hipError_tPvRmT3_T4_T5_T6_T7_T9_mT8_P12ihipStream_tbDpT10_ENKUlT_T0_E_clISt17integral_constantIbLb0EES1B_EEDaS16_S17_EUlS16_E_NS1_11comp_targetILNS1_3genE3ELNS1_11target_archE908ELNS1_3gpuE7ELNS1_3repE0EEENS1_30default_config_static_selectorELNS0_4arch9wavefront6targetE0EEEvT1_.has_dyn_sized_stack, 0
	.set _ZN7rocprim17ROCPRIM_400000_NS6detail17trampoline_kernelINS0_14default_configENS1_25partition_config_selectorILNS1_17partition_subalgoE5EtNS0_10empty_typeEbEEZZNS1_14partition_implILS5_5ELb0ES3_mN6thrust23THRUST_200600_302600_NS6detail15normal_iteratorINSA_10device_ptrItEEEEPS6_NSA_18transform_iteratorINSB_9not_fun_tI7is_trueItEEESF_NSA_11use_defaultESM_EENS0_5tupleIJSF_S6_EEENSO_IJSG_SG_EEES6_PlJS6_EEE10hipError_tPvRmT3_T4_T5_T6_T7_T9_mT8_P12ihipStream_tbDpT10_ENKUlT_T0_E_clISt17integral_constantIbLb0EES1B_EEDaS16_S17_EUlS16_E_NS1_11comp_targetILNS1_3genE3ELNS1_11target_archE908ELNS1_3gpuE7ELNS1_3repE0EEENS1_30default_config_static_selectorELNS0_4arch9wavefront6targetE0EEEvT1_.has_recursion, 0
	.set _ZN7rocprim17ROCPRIM_400000_NS6detail17trampoline_kernelINS0_14default_configENS1_25partition_config_selectorILNS1_17partition_subalgoE5EtNS0_10empty_typeEbEEZZNS1_14partition_implILS5_5ELb0ES3_mN6thrust23THRUST_200600_302600_NS6detail15normal_iteratorINSA_10device_ptrItEEEEPS6_NSA_18transform_iteratorINSB_9not_fun_tI7is_trueItEEESF_NSA_11use_defaultESM_EENS0_5tupleIJSF_S6_EEENSO_IJSG_SG_EEES6_PlJS6_EEE10hipError_tPvRmT3_T4_T5_T6_T7_T9_mT8_P12ihipStream_tbDpT10_ENKUlT_T0_E_clISt17integral_constantIbLb0EES1B_EEDaS16_S17_EUlS16_E_NS1_11comp_targetILNS1_3genE3ELNS1_11target_archE908ELNS1_3gpuE7ELNS1_3repE0EEENS1_30default_config_static_selectorELNS0_4arch9wavefront6targetE0EEEvT1_.has_indirect_call, 0
	.section	.AMDGPU.csdata,"",@progbits
; Kernel info:
; codeLenInByte = 0
; TotalNumSgprs: 0
; NumVgprs: 0
; ScratchSize: 0
; MemoryBound: 0
; FloatMode: 240
; IeeeMode: 1
; LDSByteSize: 0 bytes/workgroup (compile time only)
; SGPRBlocks: 0
; VGPRBlocks: 0
; NumSGPRsForWavesPerEU: 1
; NumVGPRsForWavesPerEU: 1
; Occupancy: 16
; WaveLimiterHint : 0
; COMPUTE_PGM_RSRC2:SCRATCH_EN: 0
; COMPUTE_PGM_RSRC2:USER_SGPR: 2
; COMPUTE_PGM_RSRC2:TRAP_HANDLER: 0
; COMPUTE_PGM_RSRC2:TGID_X_EN: 1
; COMPUTE_PGM_RSRC2:TGID_Y_EN: 0
; COMPUTE_PGM_RSRC2:TGID_Z_EN: 0
; COMPUTE_PGM_RSRC2:TIDIG_COMP_CNT: 0
	.section	.text._ZN7rocprim17ROCPRIM_400000_NS6detail17trampoline_kernelINS0_14default_configENS1_25partition_config_selectorILNS1_17partition_subalgoE5EtNS0_10empty_typeEbEEZZNS1_14partition_implILS5_5ELb0ES3_mN6thrust23THRUST_200600_302600_NS6detail15normal_iteratorINSA_10device_ptrItEEEEPS6_NSA_18transform_iteratorINSB_9not_fun_tI7is_trueItEEESF_NSA_11use_defaultESM_EENS0_5tupleIJSF_S6_EEENSO_IJSG_SG_EEES6_PlJS6_EEE10hipError_tPvRmT3_T4_T5_T6_T7_T9_mT8_P12ihipStream_tbDpT10_ENKUlT_T0_E_clISt17integral_constantIbLb0EES1B_EEDaS16_S17_EUlS16_E_NS1_11comp_targetILNS1_3genE2ELNS1_11target_archE906ELNS1_3gpuE6ELNS1_3repE0EEENS1_30default_config_static_selectorELNS0_4arch9wavefront6targetE0EEEvT1_,"axG",@progbits,_ZN7rocprim17ROCPRIM_400000_NS6detail17trampoline_kernelINS0_14default_configENS1_25partition_config_selectorILNS1_17partition_subalgoE5EtNS0_10empty_typeEbEEZZNS1_14partition_implILS5_5ELb0ES3_mN6thrust23THRUST_200600_302600_NS6detail15normal_iteratorINSA_10device_ptrItEEEEPS6_NSA_18transform_iteratorINSB_9not_fun_tI7is_trueItEEESF_NSA_11use_defaultESM_EENS0_5tupleIJSF_S6_EEENSO_IJSG_SG_EEES6_PlJS6_EEE10hipError_tPvRmT3_T4_T5_T6_T7_T9_mT8_P12ihipStream_tbDpT10_ENKUlT_T0_E_clISt17integral_constantIbLb0EES1B_EEDaS16_S17_EUlS16_E_NS1_11comp_targetILNS1_3genE2ELNS1_11target_archE906ELNS1_3gpuE6ELNS1_3repE0EEENS1_30default_config_static_selectorELNS0_4arch9wavefront6targetE0EEEvT1_,comdat
	.protected	_ZN7rocprim17ROCPRIM_400000_NS6detail17trampoline_kernelINS0_14default_configENS1_25partition_config_selectorILNS1_17partition_subalgoE5EtNS0_10empty_typeEbEEZZNS1_14partition_implILS5_5ELb0ES3_mN6thrust23THRUST_200600_302600_NS6detail15normal_iteratorINSA_10device_ptrItEEEEPS6_NSA_18transform_iteratorINSB_9not_fun_tI7is_trueItEEESF_NSA_11use_defaultESM_EENS0_5tupleIJSF_S6_EEENSO_IJSG_SG_EEES6_PlJS6_EEE10hipError_tPvRmT3_T4_T5_T6_T7_T9_mT8_P12ihipStream_tbDpT10_ENKUlT_T0_E_clISt17integral_constantIbLb0EES1B_EEDaS16_S17_EUlS16_E_NS1_11comp_targetILNS1_3genE2ELNS1_11target_archE906ELNS1_3gpuE6ELNS1_3repE0EEENS1_30default_config_static_selectorELNS0_4arch9wavefront6targetE0EEEvT1_ ; -- Begin function _ZN7rocprim17ROCPRIM_400000_NS6detail17trampoline_kernelINS0_14default_configENS1_25partition_config_selectorILNS1_17partition_subalgoE5EtNS0_10empty_typeEbEEZZNS1_14partition_implILS5_5ELb0ES3_mN6thrust23THRUST_200600_302600_NS6detail15normal_iteratorINSA_10device_ptrItEEEEPS6_NSA_18transform_iteratorINSB_9not_fun_tI7is_trueItEEESF_NSA_11use_defaultESM_EENS0_5tupleIJSF_S6_EEENSO_IJSG_SG_EEES6_PlJS6_EEE10hipError_tPvRmT3_T4_T5_T6_T7_T9_mT8_P12ihipStream_tbDpT10_ENKUlT_T0_E_clISt17integral_constantIbLb0EES1B_EEDaS16_S17_EUlS16_E_NS1_11comp_targetILNS1_3genE2ELNS1_11target_archE906ELNS1_3gpuE6ELNS1_3repE0EEENS1_30default_config_static_selectorELNS0_4arch9wavefront6targetE0EEEvT1_
	.globl	_ZN7rocprim17ROCPRIM_400000_NS6detail17trampoline_kernelINS0_14default_configENS1_25partition_config_selectorILNS1_17partition_subalgoE5EtNS0_10empty_typeEbEEZZNS1_14partition_implILS5_5ELb0ES3_mN6thrust23THRUST_200600_302600_NS6detail15normal_iteratorINSA_10device_ptrItEEEEPS6_NSA_18transform_iteratorINSB_9not_fun_tI7is_trueItEEESF_NSA_11use_defaultESM_EENS0_5tupleIJSF_S6_EEENSO_IJSG_SG_EEES6_PlJS6_EEE10hipError_tPvRmT3_T4_T5_T6_T7_T9_mT8_P12ihipStream_tbDpT10_ENKUlT_T0_E_clISt17integral_constantIbLb0EES1B_EEDaS16_S17_EUlS16_E_NS1_11comp_targetILNS1_3genE2ELNS1_11target_archE906ELNS1_3gpuE6ELNS1_3repE0EEENS1_30default_config_static_selectorELNS0_4arch9wavefront6targetE0EEEvT1_
	.p2align	8
	.type	_ZN7rocprim17ROCPRIM_400000_NS6detail17trampoline_kernelINS0_14default_configENS1_25partition_config_selectorILNS1_17partition_subalgoE5EtNS0_10empty_typeEbEEZZNS1_14partition_implILS5_5ELb0ES3_mN6thrust23THRUST_200600_302600_NS6detail15normal_iteratorINSA_10device_ptrItEEEEPS6_NSA_18transform_iteratorINSB_9not_fun_tI7is_trueItEEESF_NSA_11use_defaultESM_EENS0_5tupleIJSF_S6_EEENSO_IJSG_SG_EEES6_PlJS6_EEE10hipError_tPvRmT3_T4_T5_T6_T7_T9_mT8_P12ihipStream_tbDpT10_ENKUlT_T0_E_clISt17integral_constantIbLb0EES1B_EEDaS16_S17_EUlS16_E_NS1_11comp_targetILNS1_3genE2ELNS1_11target_archE906ELNS1_3gpuE6ELNS1_3repE0EEENS1_30default_config_static_selectorELNS0_4arch9wavefront6targetE0EEEvT1_,@function
_ZN7rocprim17ROCPRIM_400000_NS6detail17trampoline_kernelINS0_14default_configENS1_25partition_config_selectorILNS1_17partition_subalgoE5EtNS0_10empty_typeEbEEZZNS1_14partition_implILS5_5ELb0ES3_mN6thrust23THRUST_200600_302600_NS6detail15normal_iteratorINSA_10device_ptrItEEEEPS6_NSA_18transform_iteratorINSB_9not_fun_tI7is_trueItEEESF_NSA_11use_defaultESM_EENS0_5tupleIJSF_S6_EEENSO_IJSG_SG_EEES6_PlJS6_EEE10hipError_tPvRmT3_T4_T5_T6_T7_T9_mT8_P12ihipStream_tbDpT10_ENKUlT_T0_E_clISt17integral_constantIbLb0EES1B_EEDaS16_S17_EUlS16_E_NS1_11comp_targetILNS1_3genE2ELNS1_11target_archE906ELNS1_3gpuE6ELNS1_3repE0EEENS1_30default_config_static_selectorELNS0_4arch9wavefront6targetE0EEEvT1_: ; @_ZN7rocprim17ROCPRIM_400000_NS6detail17trampoline_kernelINS0_14default_configENS1_25partition_config_selectorILNS1_17partition_subalgoE5EtNS0_10empty_typeEbEEZZNS1_14partition_implILS5_5ELb0ES3_mN6thrust23THRUST_200600_302600_NS6detail15normal_iteratorINSA_10device_ptrItEEEEPS6_NSA_18transform_iteratorINSB_9not_fun_tI7is_trueItEEESF_NSA_11use_defaultESM_EENS0_5tupleIJSF_S6_EEENSO_IJSG_SG_EEES6_PlJS6_EEE10hipError_tPvRmT3_T4_T5_T6_T7_T9_mT8_P12ihipStream_tbDpT10_ENKUlT_T0_E_clISt17integral_constantIbLb0EES1B_EEDaS16_S17_EUlS16_E_NS1_11comp_targetILNS1_3genE2ELNS1_11target_archE906ELNS1_3gpuE6ELNS1_3repE0EEENS1_30default_config_static_selectorELNS0_4arch9wavefront6targetE0EEEvT1_
; %bb.0:
	.section	.rodata,"a",@progbits
	.p2align	6, 0x0
	.amdhsa_kernel _ZN7rocprim17ROCPRIM_400000_NS6detail17trampoline_kernelINS0_14default_configENS1_25partition_config_selectorILNS1_17partition_subalgoE5EtNS0_10empty_typeEbEEZZNS1_14partition_implILS5_5ELb0ES3_mN6thrust23THRUST_200600_302600_NS6detail15normal_iteratorINSA_10device_ptrItEEEEPS6_NSA_18transform_iteratorINSB_9not_fun_tI7is_trueItEEESF_NSA_11use_defaultESM_EENS0_5tupleIJSF_S6_EEENSO_IJSG_SG_EEES6_PlJS6_EEE10hipError_tPvRmT3_T4_T5_T6_T7_T9_mT8_P12ihipStream_tbDpT10_ENKUlT_T0_E_clISt17integral_constantIbLb0EES1B_EEDaS16_S17_EUlS16_E_NS1_11comp_targetILNS1_3genE2ELNS1_11target_archE906ELNS1_3gpuE6ELNS1_3repE0EEENS1_30default_config_static_selectorELNS0_4arch9wavefront6targetE0EEEvT1_
		.amdhsa_group_segment_fixed_size 0
		.amdhsa_private_segment_fixed_size 0
		.amdhsa_kernarg_size 120
		.amdhsa_user_sgpr_count 2
		.amdhsa_user_sgpr_dispatch_ptr 0
		.amdhsa_user_sgpr_queue_ptr 0
		.amdhsa_user_sgpr_kernarg_segment_ptr 1
		.amdhsa_user_sgpr_dispatch_id 0
		.amdhsa_user_sgpr_private_segment_size 0
		.amdhsa_wavefront_size32 1
		.amdhsa_uses_dynamic_stack 0
		.amdhsa_enable_private_segment 0
		.amdhsa_system_sgpr_workgroup_id_x 1
		.amdhsa_system_sgpr_workgroup_id_y 0
		.amdhsa_system_sgpr_workgroup_id_z 0
		.amdhsa_system_sgpr_workgroup_info 0
		.amdhsa_system_vgpr_workitem_id 0
		.amdhsa_next_free_vgpr 1
		.amdhsa_next_free_sgpr 1
		.amdhsa_reserve_vcc 0
		.amdhsa_float_round_mode_32 0
		.amdhsa_float_round_mode_16_64 0
		.amdhsa_float_denorm_mode_32 3
		.amdhsa_float_denorm_mode_16_64 3
		.amdhsa_fp16_overflow 0
		.amdhsa_workgroup_processor_mode 1
		.amdhsa_memory_ordered 1
		.amdhsa_forward_progress 1
		.amdhsa_inst_pref_size 0
		.amdhsa_round_robin_scheduling 0
		.amdhsa_exception_fp_ieee_invalid_op 0
		.amdhsa_exception_fp_denorm_src 0
		.amdhsa_exception_fp_ieee_div_zero 0
		.amdhsa_exception_fp_ieee_overflow 0
		.amdhsa_exception_fp_ieee_underflow 0
		.amdhsa_exception_fp_ieee_inexact 0
		.amdhsa_exception_int_div_zero 0
	.end_amdhsa_kernel
	.section	.text._ZN7rocprim17ROCPRIM_400000_NS6detail17trampoline_kernelINS0_14default_configENS1_25partition_config_selectorILNS1_17partition_subalgoE5EtNS0_10empty_typeEbEEZZNS1_14partition_implILS5_5ELb0ES3_mN6thrust23THRUST_200600_302600_NS6detail15normal_iteratorINSA_10device_ptrItEEEEPS6_NSA_18transform_iteratorINSB_9not_fun_tI7is_trueItEEESF_NSA_11use_defaultESM_EENS0_5tupleIJSF_S6_EEENSO_IJSG_SG_EEES6_PlJS6_EEE10hipError_tPvRmT3_T4_T5_T6_T7_T9_mT8_P12ihipStream_tbDpT10_ENKUlT_T0_E_clISt17integral_constantIbLb0EES1B_EEDaS16_S17_EUlS16_E_NS1_11comp_targetILNS1_3genE2ELNS1_11target_archE906ELNS1_3gpuE6ELNS1_3repE0EEENS1_30default_config_static_selectorELNS0_4arch9wavefront6targetE0EEEvT1_,"axG",@progbits,_ZN7rocprim17ROCPRIM_400000_NS6detail17trampoline_kernelINS0_14default_configENS1_25partition_config_selectorILNS1_17partition_subalgoE5EtNS0_10empty_typeEbEEZZNS1_14partition_implILS5_5ELb0ES3_mN6thrust23THRUST_200600_302600_NS6detail15normal_iteratorINSA_10device_ptrItEEEEPS6_NSA_18transform_iteratorINSB_9not_fun_tI7is_trueItEEESF_NSA_11use_defaultESM_EENS0_5tupleIJSF_S6_EEENSO_IJSG_SG_EEES6_PlJS6_EEE10hipError_tPvRmT3_T4_T5_T6_T7_T9_mT8_P12ihipStream_tbDpT10_ENKUlT_T0_E_clISt17integral_constantIbLb0EES1B_EEDaS16_S17_EUlS16_E_NS1_11comp_targetILNS1_3genE2ELNS1_11target_archE906ELNS1_3gpuE6ELNS1_3repE0EEENS1_30default_config_static_selectorELNS0_4arch9wavefront6targetE0EEEvT1_,comdat
.Lfunc_end1438:
	.size	_ZN7rocprim17ROCPRIM_400000_NS6detail17trampoline_kernelINS0_14default_configENS1_25partition_config_selectorILNS1_17partition_subalgoE5EtNS0_10empty_typeEbEEZZNS1_14partition_implILS5_5ELb0ES3_mN6thrust23THRUST_200600_302600_NS6detail15normal_iteratorINSA_10device_ptrItEEEEPS6_NSA_18transform_iteratorINSB_9not_fun_tI7is_trueItEEESF_NSA_11use_defaultESM_EENS0_5tupleIJSF_S6_EEENSO_IJSG_SG_EEES6_PlJS6_EEE10hipError_tPvRmT3_T4_T5_T6_T7_T9_mT8_P12ihipStream_tbDpT10_ENKUlT_T0_E_clISt17integral_constantIbLb0EES1B_EEDaS16_S17_EUlS16_E_NS1_11comp_targetILNS1_3genE2ELNS1_11target_archE906ELNS1_3gpuE6ELNS1_3repE0EEENS1_30default_config_static_selectorELNS0_4arch9wavefront6targetE0EEEvT1_, .Lfunc_end1438-_ZN7rocprim17ROCPRIM_400000_NS6detail17trampoline_kernelINS0_14default_configENS1_25partition_config_selectorILNS1_17partition_subalgoE5EtNS0_10empty_typeEbEEZZNS1_14partition_implILS5_5ELb0ES3_mN6thrust23THRUST_200600_302600_NS6detail15normal_iteratorINSA_10device_ptrItEEEEPS6_NSA_18transform_iteratorINSB_9not_fun_tI7is_trueItEEESF_NSA_11use_defaultESM_EENS0_5tupleIJSF_S6_EEENSO_IJSG_SG_EEES6_PlJS6_EEE10hipError_tPvRmT3_T4_T5_T6_T7_T9_mT8_P12ihipStream_tbDpT10_ENKUlT_T0_E_clISt17integral_constantIbLb0EES1B_EEDaS16_S17_EUlS16_E_NS1_11comp_targetILNS1_3genE2ELNS1_11target_archE906ELNS1_3gpuE6ELNS1_3repE0EEENS1_30default_config_static_selectorELNS0_4arch9wavefront6targetE0EEEvT1_
                                        ; -- End function
	.set _ZN7rocprim17ROCPRIM_400000_NS6detail17trampoline_kernelINS0_14default_configENS1_25partition_config_selectorILNS1_17partition_subalgoE5EtNS0_10empty_typeEbEEZZNS1_14partition_implILS5_5ELb0ES3_mN6thrust23THRUST_200600_302600_NS6detail15normal_iteratorINSA_10device_ptrItEEEEPS6_NSA_18transform_iteratorINSB_9not_fun_tI7is_trueItEEESF_NSA_11use_defaultESM_EENS0_5tupleIJSF_S6_EEENSO_IJSG_SG_EEES6_PlJS6_EEE10hipError_tPvRmT3_T4_T5_T6_T7_T9_mT8_P12ihipStream_tbDpT10_ENKUlT_T0_E_clISt17integral_constantIbLb0EES1B_EEDaS16_S17_EUlS16_E_NS1_11comp_targetILNS1_3genE2ELNS1_11target_archE906ELNS1_3gpuE6ELNS1_3repE0EEENS1_30default_config_static_selectorELNS0_4arch9wavefront6targetE0EEEvT1_.num_vgpr, 0
	.set _ZN7rocprim17ROCPRIM_400000_NS6detail17trampoline_kernelINS0_14default_configENS1_25partition_config_selectorILNS1_17partition_subalgoE5EtNS0_10empty_typeEbEEZZNS1_14partition_implILS5_5ELb0ES3_mN6thrust23THRUST_200600_302600_NS6detail15normal_iteratorINSA_10device_ptrItEEEEPS6_NSA_18transform_iteratorINSB_9not_fun_tI7is_trueItEEESF_NSA_11use_defaultESM_EENS0_5tupleIJSF_S6_EEENSO_IJSG_SG_EEES6_PlJS6_EEE10hipError_tPvRmT3_T4_T5_T6_T7_T9_mT8_P12ihipStream_tbDpT10_ENKUlT_T0_E_clISt17integral_constantIbLb0EES1B_EEDaS16_S17_EUlS16_E_NS1_11comp_targetILNS1_3genE2ELNS1_11target_archE906ELNS1_3gpuE6ELNS1_3repE0EEENS1_30default_config_static_selectorELNS0_4arch9wavefront6targetE0EEEvT1_.num_agpr, 0
	.set _ZN7rocprim17ROCPRIM_400000_NS6detail17trampoline_kernelINS0_14default_configENS1_25partition_config_selectorILNS1_17partition_subalgoE5EtNS0_10empty_typeEbEEZZNS1_14partition_implILS5_5ELb0ES3_mN6thrust23THRUST_200600_302600_NS6detail15normal_iteratorINSA_10device_ptrItEEEEPS6_NSA_18transform_iteratorINSB_9not_fun_tI7is_trueItEEESF_NSA_11use_defaultESM_EENS0_5tupleIJSF_S6_EEENSO_IJSG_SG_EEES6_PlJS6_EEE10hipError_tPvRmT3_T4_T5_T6_T7_T9_mT8_P12ihipStream_tbDpT10_ENKUlT_T0_E_clISt17integral_constantIbLb0EES1B_EEDaS16_S17_EUlS16_E_NS1_11comp_targetILNS1_3genE2ELNS1_11target_archE906ELNS1_3gpuE6ELNS1_3repE0EEENS1_30default_config_static_selectorELNS0_4arch9wavefront6targetE0EEEvT1_.numbered_sgpr, 0
	.set _ZN7rocprim17ROCPRIM_400000_NS6detail17trampoline_kernelINS0_14default_configENS1_25partition_config_selectorILNS1_17partition_subalgoE5EtNS0_10empty_typeEbEEZZNS1_14partition_implILS5_5ELb0ES3_mN6thrust23THRUST_200600_302600_NS6detail15normal_iteratorINSA_10device_ptrItEEEEPS6_NSA_18transform_iteratorINSB_9not_fun_tI7is_trueItEEESF_NSA_11use_defaultESM_EENS0_5tupleIJSF_S6_EEENSO_IJSG_SG_EEES6_PlJS6_EEE10hipError_tPvRmT3_T4_T5_T6_T7_T9_mT8_P12ihipStream_tbDpT10_ENKUlT_T0_E_clISt17integral_constantIbLb0EES1B_EEDaS16_S17_EUlS16_E_NS1_11comp_targetILNS1_3genE2ELNS1_11target_archE906ELNS1_3gpuE6ELNS1_3repE0EEENS1_30default_config_static_selectorELNS0_4arch9wavefront6targetE0EEEvT1_.num_named_barrier, 0
	.set _ZN7rocprim17ROCPRIM_400000_NS6detail17trampoline_kernelINS0_14default_configENS1_25partition_config_selectorILNS1_17partition_subalgoE5EtNS0_10empty_typeEbEEZZNS1_14partition_implILS5_5ELb0ES3_mN6thrust23THRUST_200600_302600_NS6detail15normal_iteratorINSA_10device_ptrItEEEEPS6_NSA_18transform_iteratorINSB_9not_fun_tI7is_trueItEEESF_NSA_11use_defaultESM_EENS0_5tupleIJSF_S6_EEENSO_IJSG_SG_EEES6_PlJS6_EEE10hipError_tPvRmT3_T4_T5_T6_T7_T9_mT8_P12ihipStream_tbDpT10_ENKUlT_T0_E_clISt17integral_constantIbLb0EES1B_EEDaS16_S17_EUlS16_E_NS1_11comp_targetILNS1_3genE2ELNS1_11target_archE906ELNS1_3gpuE6ELNS1_3repE0EEENS1_30default_config_static_selectorELNS0_4arch9wavefront6targetE0EEEvT1_.private_seg_size, 0
	.set _ZN7rocprim17ROCPRIM_400000_NS6detail17trampoline_kernelINS0_14default_configENS1_25partition_config_selectorILNS1_17partition_subalgoE5EtNS0_10empty_typeEbEEZZNS1_14partition_implILS5_5ELb0ES3_mN6thrust23THRUST_200600_302600_NS6detail15normal_iteratorINSA_10device_ptrItEEEEPS6_NSA_18transform_iteratorINSB_9not_fun_tI7is_trueItEEESF_NSA_11use_defaultESM_EENS0_5tupleIJSF_S6_EEENSO_IJSG_SG_EEES6_PlJS6_EEE10hipError_tPvRmT3_T4_T5_T6_T7_T9_mT8_P12ihipStream_tbDpT10_ENKUlT_T0_E_clISt17integral_constantIbLb0EES1B_EEDaS16_S17_EUlS16_E_NS1_11comp_targetILNS1_3genE2ELNS1_11target_archE906ELNS1_3gpuE6ELNS1_3repE0EEENS1_30default_config_static_selectorELNS0_4arch9wavefront6targetE0EEEvT1_.uses_vcc, 0
	.set _ZN7rocprim17ROCPRIM_400000_NS6detail17trampoline_kernelINS0_14default_configENS1_25partition_config_selectorILNS1_17partition_subalgoE5EtNS0_10empty_typeEbEEZZNS1_14partition_implILS5_5ELb0ES3_mN6thrust23THRUST_200600_302600_NS6detail15normal_iteratorINSA_10device_ptrItEEEEPS6_NSA_18transform_iteratorINSB_9not_fun_tI7is_trueItEEESF_NSA_11use_defaultESM_EENS0_5tupleIJSF_S6_EEENSO_IJSG_SG_EEES6_PlJS6_EEE10hipError_tPvRmT3_T4_T5_T6_T7_T9_mT8_P12ihipStream_tbDpT10_ENKUlT_T0_E_clISt17integral_constantIbLb0EES1B_EEDaS16_S17_EUlS16_E_NS1_11comp_targetILNS1_3genE2ELNS1_11target_archE906ELNS1_3gpuE6ELNS1_3repE0EEENS1_30default_config_static_selectorELNS0_4arch9wavefront6targetE0EEEvT1_.uses_flat_scratch, 0
	.set _ZN7rocprim17ROCPRIM_400000_NS6detail17trampoline_kernelINS0_14default_configENS1_25partition_config_selectorILNS1_17partition_subalgoE5EtNS0_10empty_typeEbEEZZNS1_14partition_implILS5_5ELb0ES3_mN6thrust23THRUST_200600_302600_NS6detail15normal_iteratorINSA_10device_ptrItEEEEPS6_NSA_18transform_iteratorINSB_9not_fun_tI7is_trueItEEESF_NSA_11use_defaultESM_EENS0_5tupleIJSF_S6_EEENSO_IJSG_SG_EEES6_PlJS6_EEE10hipError_tPvRmT3_T4_T5_T6_T7_T9_mT8_P12ihipStream_tbDpT10_ENKUlT_T0_E_clISt17integral_constantIbLb0EES1B_EEDaS16_S17_EUlS16_E_NS1_11comp_targetILNS1_3genE2ELNS1_11target_archE906ELNS1_3gpuE6ELNS1_3repE0EEENS1_30default_config_static_selectorELNS0_4arch9wavefront6targetE0EEEvT1_.has_dyn_sized_stack, 0
	.set _ZN7rocprim17ROCPRIM_400000_NS6detail17trampoline_kernelINS0_14default_configENS1_25partition_config_selectorILNS1_17partition_subalgoE5EtNS0_10empty_typeEbEEZZNS1_14partition_implILS5_5ELb0ES3_mN6thrust23THRUST_200600_302600_NS6detail15normal_iteratorINSA_10device_ptrItEEEEPS6_NSA_18transform_iteratorINSB_9not_fun_tI7is_trueItEEESF_NSA_11use_defaultESM_EENS0_5tupleIJSF_S6_EEENSO_IJSG_SG_EEES6_PlJS6_EEE10hipError_tPvRmT3_T4_T5_T6_T7_T9_mT8_P12ihipStream_tbDpT10_ENKUlT_T0_E_clISt17integral_constantIbLb0EES1B_EEDaS16_S17_EUlS16_E_NS1_11comp_targetILNS1_3genE2ELNS1_11target_archE906ELNS1_3gpuE6ELNS1_3repE0EEENS1_30default_config_static_selectorELNS0_4arch9wavefront6targetE0EEEvT1_.has_recursion, 0
	.set _ZN7rocprim17ROCPRIM_400000_NS6detail17trampoline_kernelINS0_14default_configENS1_25partition_config_selectorILNS1_17partition_subalgoE5EtNS0_10empty_typeEbEEZZNS1_14partition_implILS5_5ELb0ES3_mN6thrust23THRUST_200600_302600_NS6detail15normal_iteratorINSA_10device_ptrItEEEEPS6_NSA_18transform_iteratorINSB_9not_fun_tI7is_trueItEEESF_NSA_11use_defaultESM_EENS0_5tupleIJSF_S6_EEENSO_IJSG_SG_EEES6_PlJS6_EEE10hipError_tPvRmT3_T4_T5_T6_T7_T9_mT8_P12ihipStream_tbDpT10_ENKUlT_T0_E_clISt17integral_constantIbLb0EES1B_EEDaS16_S17_EUlS16_E_NS1_11comp_targetILNS1_3genE2ELNS1_11target_archE906ELNS1_3gpuE6ELNS1_3repE0EEENS1_30default_config_static_selectorELNS0_4arch9wavefront6targetE0EEEvT1_.has_indirect_call, 0
	.section	.AMDGPU.csdata,"",@progbits
; Kernel info:
; codeLenInByte = 0
; TotalNumSgprs: 0
; NumVgprs: 0
; ScratchSize: 0
; MemoryBound: 0
; FloatMode: 240
; IeeeMode: 1
; LDSByteSize: 0 bytes/workgroup (compile time only)
; SGPRBlocks: 0
; VGPRBlocks: 0
; NumSGPRsForWavesPerEU: 1
; NumVGPRsForWavesPerEU: 1
; Occupancy: 16
; WaveLimiterHint : 0
; COMPUTE_PGM_RSRC2:SCRATCH_EN: 0
; COMPUTE_PGM_RSRC2:USER_SGPR: 2
; COMPUTE_PGM_RSRC2:TRAP_HANDLER: 0
; COMPUTE_PGM_RSRC2:TGID_X_EN: 1
; COMPUTE_PGM_RSRC2:TGID_Y_EN: 0
; COMPUTE_PGM_RSRC2:TGID_Z_EN: 0
; COMPUTE_PGM_RSRC2:TIDIG_COMP_CNT: 0
	.section	.text._ZN7rocprim17ROCPRIM_400000_NS6detail17trampoline_kernelINS0_14default_configENS1_25partition_config_selectorILNS1_17partition_subalgoE5EtNS0_10empty_typeEbEEZZNS1_14partition_implILS5_5ELb0ES3_mN6thrust23THRUST_200600_302600_NS6detail15normal_iteratorINSA_10device_ptrItEEEEPS6_NSA_18transform_iteratorINSB_9not_fun_tI7is_trueItEEESF_NSA_11use_defaultESM_EENS0_5tupleIJSF_S6_EEENSO_IJSG_SG_EEES6_PlJS6_EEE10hipError_tPvRmT3_T4_T5_T6_T7_T9_mT8_P12ihipStream_tbDpT10_ENKUlT_T0_E_clISt17integral_constantIbLb0EES1B_EEDaS16_S17_EUlS16_E_NS1_11comp_targetILNS1_3genE10ELNS1_11target_archE1200ELNS1_3gpuE4ELNS1_3repE0EEENS1_30default_config_static_selectorELNS0_4arch9wavefront6targetE0EEEvT1_,"axG",@progbits,_ZN7rocprim17ROCPRIM_400000_NS6detail17trampoline_kernelINS0_14default_configENS1_25partition_config_selectorILNS1_17partition_subalgoE5EtNS0_10empty_typeEbEEZZNS1_14partition_implILS5_5ELb0ES3_mN6thrust23THRUST_200600_302600_NS6detail15normal_iteratorINSA_10device_ptrItEEEEPS6_NSA_18transform_iteratorINSB_9not_fun_tI7is_trueItEEESF_NSA_11use_defaultESM_EENS0_5tupleIJSF_S6_EEENSO_IJSG_SG_EEES6_PlJS6_EEE10hipError_tPvRmT3_T4_T5_T6_T7_T9_mT8_P12ihipStream_tbDpT10_ENKUlT_T0_E_clISt17integral_constantIbLb0EES1B_EEDaS16_S17_EUlS16_E_NS1_11comp_targetILNS1_3genE10ELNS1_11target_archE1200ELNS1_3gpuE4ELNS1_3repE0EEENS1_30default_config_static_selectorELNS0_4arch9wavefront6targetE0EEEvT1_,comdat
	.protected	_ZN7rocprim17ROCPRIM_400000_NS6detail17trampoline_kernelINS0_14default_configENS1_25partition_config_selectorILNS1_17partition_subalgoE5EtNS0_10empty_typeEbEEZZNS1_14partition_implILS5_5ELb0ES3_mN6thrust23THRUST_200600_302600_NS6detail15normal_iteratorINSA_10device_ptrItEEEEPS6_NSA_18transform_iteratorINSB_9not_fun_tI7is_trueItEEESF_NSA_11use_defaultESM_EENS0_5tupleIJSF_S6_EEENSO_IJSG_SG_EEES6_PlJS6_EEE10hipError_tPvRmT3_T4_T5_T6_T7_T9_mT8_P12ihipStream_tbDpT10_ENKUlT_T0_E_clISt17integral_constantIbLb0EES1B_EEDaS16_S17_EUlS16_E_NS1_11comp_targetILNS1_3genE10ELNS1_11target_archE1200ELNS1_3gpuE4ELNS1_3repE0EEENS1_30default_config_static_selectorELNS0_4arch9wavefront6targetE0EEEvT1_ ; -- Begin function _ZN7rocprim17ROCPRIM_400000_NS6detail17trampoline_kernelINS0_14default_configENS1_25partition_config_selectorILNS1_17partition_subalgoE5EtNS0_10empty_typeEbEEZZNS1_14partition_implILS5_5ELb0ES3_mN6thrust23THRUST_200600_302600_NS6detail15normal_iteratorINSA_10device_ptrItEEEEPS6_NSA_18transform_iteratorINSB_9not_fun_tI7is_trueItEEESF_NSA_11use_defaultESM_EENS0_5tupleIJSF_S6_EEENSO_IJSG_SG_EEES6_PlJS6_EEE10hipError_tPvRmT3_T4_T5_T6_T7_T9_mT8_P12ihipStream_tbDpT10_ENKUlT_T0_E_clISt17integral_constantIbLb0EES1B_EEDaS16_S17_EUlS16_E_NS1_11comp_targetILNS1_3genE10ELNS1_11target_archE1200ELNS1_3gpuE4ELNS1_3repE0EEENS1_30default_config_static_selectorELNS0_4arch9wavefront6targetE0EEEvT1_
	.globl	_ZN7rocprim17ROCPRIM_400000_NS6detail17trampoline_kernelINS0_14default_configENS1_25partition_config_selectorILNS1_17partition_subalgoE5EtNS0_10empty_typeEbEEZZNS1_14partition_implILS5_5ELb0ES3_mN6thrust23THRUST_200600_302600_NS6detail15normal_iteratorINSA_10device_ptrItEEEEPS6_NSA_18transform_iteratorINSB_9not_fun_tI7is_trueItEEESF_NSA_11use_defaultESM_EENS0_5tupleIJSF_S6_EEENSO_IJSG_SG_EEES6_PlJS6_EEE10hipError_tPvRmT3_T4_T5_T6_T7_T9_mT8_P12ihipStream_tbDpT10_ENKUlT_T0_E_clISt17integral_constantIbLb0EES1B_EEDaS16_S17_EUlS16_E_NS1_11comp_targetILNS1_3genE10ELNS1_11target_archE1200ELNS1_3gpuE4ELNS1_3repE0EEENS1_30default_config_static_selectorELNS0_4arch9wavefront6targetE0EEEvT1_
	.p2align	8
	.type	_ZN7rocprim17ROCPRIM_400000_NS6detail17trampoline_kernelINS0_14default_configENS1_25partition_config_selectorILNS1_17partition_subalgoE5EtNS0_10empty_typeEbEEZZNS1_14partition_implILS5_5ELb0ES3_mN6thrust23THRUST_200600_302600_NS6detail15normal_iteratorINSA_10device_ptrItEEEEPS6_NSA_18transform_iteratorINSB_9not_fun_tI7is_trueItEEESF_NSA_11use_defaultESM_EENS0_5tupleIJSF_S6_EEENSO_IJSG_SG_EEES6_PlJS6_EEE10hipError_tPvRmT3_T4_T5_T6_T7_T9_mT8_P12ihipStream_tbDpT10_ENKUlT_T0_E_clISt17integral_constantIbLb0EES1B_EEDaS16_S17_EUlS16_E_NS1_11comp_targetILNS1_3genE10ELNS1_11target_archE1200ELNS1_3gpuE4ELNS1_3repE0EEENS1_30default_config_static_selectorELNS0_4arch9wavefront6targetE0EEEvT1_,@function
_ZN7rocprim17ROCPRIM_400000_NS6detail17trampoline_kernelINS0_14default_configENS1_25partition_config_selectorILNS1_17partition_subalgoE5EtNS0_10empty_typeEbEEZZNS1_14partition_implILS5_5ELb0ES3_mN6thrust23THRUST_200600_302600_NS6detail15normal_iteratorINSA_10device_ptrItEEEEPS6_NSA_18transform_iteratorINSB_9not_fun_tI7is_trueItEEESF_NSA_11use_defaultESM_EENS0_5tupleIJSF_S6_EEENSO_IJSG_SG_EEES6_PlJS6_EEE10hipError_tPvRmT3_T4_T5_T6_T7_T9_mT8_P12ihipStream_tbDpT10_ENKUlT_T0_E_clISt17integral_constantIbLb0EES1B_EEDaS16_S17_EUlS16_E_NS1_11comp_targetILNS1_3genE10ELNS1_11target_archE1200ELNS1_3gpuE4ELNS1_3repE0EEENS1_30default_config_static_selectorELNS0_4arch9wavefront6targetE0EEEvT1_: ; @_ZN7rocprim17ROCPRIM_400000_NS6detail17trampoline_kernelINS0_14default_configENS1_25partition_config_selectorILNS1_17partition_subalgoE5EtNS0_10empty_typeEbEEZZNS1_14partition_implILS5_5ELb0ES3_mN6thrust23THRUST_200600_302600_NS6detail15normal_iteratorINSA_10device_ptrItEEEEPS6_NSA_18transform_iteratorINSB_9not_fun_tI7is_trueItEEESF_NSA_11use_defaultESM_EENS0_5tupleIJSF_S6_EEENSO_IJSG_SG_EEES6_PlJS6_EEE10hipError_tPvRmT3_T4_T5_T6_T7_T9_mT8_P12ihipStream_tbDpT10_ENKUlT_T0_E_clISt17integral_constantIbLb0EES1B_EEDaS16_S17_EUlS16_E_NS1_11comp_targetILNS1_3genE10ELNS1_11target_archE1200ELNS1_3gpuE4ELNS1_3repE0EEENS1_30default_config_static_selectorELNS0_4arch9wavefront6targetE0EEEvT1_
; %bb.0:
	s_clause 0x3
	s_load_b128 s[12:15], s[0:1], 0x8
	s_load_b128 s[8:11], s[0:1], 0x48
	s_load_b32 s18, s[0:1], 0x70
	s_load_b64 s[2:3], s[0:1], 0x58
	s_mov_b32 s17, 0
	s_mul_i32 s20, ttmp9, 0xc00
	s_mov_b32 s21, s17
	v_lshlrev_b32_e32 v9, 1, v0
	s_wait_kmcnt 0x0
	s_lshl_b64 s[4:5], s[14:15], 1
	s_load_b64 s[6:7], s[10:11], 0x0
	s_mul_i32 s16, s18, 0xc00
	s_add_co_i32 s19, s18, -1
	s_add_co_i32 s18, s16, s14
	s_add_nc_u64 s[10:11], s[14:15], s[16:17]
	s_sub_co_i32 s18, s2, s18
	v_cmp_le_u64_e64 s2, s[2:3], s[10:11]
	s_addk_co_i32 s18, 0xc00
	s_cmp_eq_u32 ttmp9, s19
	s_add_nc_u64 s[12:13], s[12:13], s[4:5]
	s_cselect_b32 s16, -1, 0
	s_lshl_b64 s[10:11], s[20:21], 1
	s_and_b32 s2, s16, s2
	s_mov_b32 s3, -1
	s_wait_alu 0xfffe
	s_xor_b32 s17, s2, -1
	s_add_nc_u64 s[12:13], s[12:13], s[10:11]
	s_and_b32 vcc_lo, exec_lo, s17
	s_cbranch_vccz .LBB1439_2
; %bb.1:
	v_add_co_u32 v1, s2, s12, v9
	s_wait_alu 0xf1ff
	v_add_co_ci_u32_e64 v2, null, s13, 0, s2
	s_mov_b32 s3, 0
	s_clause 0xb
	flat_load_u16 v3, v[1:2]
	flat_load_u16 v4, v[1:2] offset:512
	flat_load_u16 v5, v[1:2] offset:1024
	flat_load_u16 v6, v[1:2] offset:1536
	flat_load_u16 v7, v[1:2] offset:2048
	flat_load_u16 v8, v[1:2] offset:2560
	flat_load_u16 v10, v[1:2] offset:3072
	flat_load_u16 v11, v[1:2] offset:3584
	flat_load_u16 v12, v[1:2] offset:4096
	flat_load_u16 v13, v[1:2] offset:4608
	flat_load_u16 v14, v[1:2] offset:5120
	flat_load_u16 v1, v[1:2] offset:5632
	s_wait_loadcnt_dscnt 0xb0b
	ds_store_b16 v9, v3
	s_wait_loadcnt_dscnt 0xa0b
	ds_store_b16 v9, v4 offset:512
	s_wait_loadcnt_dscnt 0x90b
	ds_store_b16 v9, v5 offset:1024
	;; [unrolled: 2-line block ×11, first 2 shown]
	s_wait_dscnt 0x0
	s_barrier_signal -1
	s_barrier_wait -1
.LBB1439_2:
	s_load_b64 s[14:15], s[0:1], 0x20
	v_cmp_gt_u32_e64 s2, s18, v0
	s_and_not1_b32 vcc_lo, exec_lo, s3
	s_cbranch_vccnz .LBB1439_28
; %bb.3:
	v_mov_b32_e32 v1, 0
	s_delay_alu instid0(VALU_DEP_1)
	v_dual_mov_b32 v2, v1 :: v_dual_mov_b32 v3, v1
	v_dual_mov_b32 v4, v1 :: v_dual_mov_b32 v5, v1
	v_mov_b32_e32 v6, v1
	s_and_saveexec_b32 s3, s2
	s_cbranch_execz .LBB1439_5
; %bb.4:
	v_add_co_u32 v3, s2, s12, v9
	s_wait_alu 0xf1ff
	v_add_co_ci_u32_e64 v4, null, s13, 0, s2
	v_mov_b32_e32 v2, v1
	v_dual_mov_b32 v6, v1 :: v_dual_mov_b32 v7, v1
	v_mov_b32_e32 v5, v1
	flat_load_d16_b16 v2, v[3:4]
	v_dual_mov_b32 v3, v1 :: v_dual_mov_b32 v4, v1
	s_wait_loadcnt_dscnt 0x0
	v_mov_b32_e32 v1, v2
	s_delay_alu instid0(VALU_DEP_2) | instskip(NEXT) | instid1(VALU_DEP_3)
	v_mov_b32_e32 v2, v3
	v_mov_b32_e32 v3, v4
	;; [unrolled: 1-line block ×7, first 2 shown]
.LBB1439_5:
	s_wait_alu 0xfffe
	s_or_b32 exec_lo, exec_lo, s3
	v_or_b32_e32 v7, 0x100, v0
	s_mov_b32 s2, exec_lo
	s_delay_alu instid0(VALU_DEP_1)
	v_cmpx_gt_u32_e64 s18, v7
	s_cbranch_execz .LBB1439_7
; %bb.6:
	v_add_co_u32 v7, s3, s12, v9
	s_wait_alu 0xf1ff
	v_add_co_ci_u32_e64 v8, null, s13, 0, s3
	flat_load_d16_hi_b16 v1, v[7:8] offset:512
.LBB1439_7:
	s_wait_alu 0xfffe
	s_or_b32 exec_lo, exec_lo, s2
	v_or_b32_e32 v7, 0x200, v0
	s_mov_b32 s2, exec_lo
	s_delay_alu instid0(VALU_DEP_1)
	v_cmpx_gt_u32_e64 s18, v7
	s_cbranch_execz .LBB1439_9
; %bb.8:
	v_add_co_u32 v7, s3, s12, v9
	s_wait_alu 0xf1ff
	v_add_co_ci_u32_e64 v8, null, s13, 0, s3
	flat_load_d16_b16 v2, v[7:8] offset:1024
.LBB1439_9:
	s_wait_alu 0xfffe
	s_or_b32 exec_lo, exec_lo, s2
	v_or_b32_e32 v7, 0x300, v0
	s_mov_b32 s2, exec_lo
	s_delay_alu instid0(VALU_DEP_1)
	v_cmpx_gt_u32_e64 s18, v7
	s_cbranch_execz .LBB1439_11
; %bb.10:
	v_add_co_u32 v7, s3, s12, v9
	s_wait_alu 0xf1ff
	v_add_co_ci_u32_e64 v8, null, s13, 0, s3
	s_wait_loadcnt_dscnt 0x0
	flat_load_d16_hi_b16 v2, v[7:8] offset:1536
.LBB1439_11:
	s_wait_alu 0xfffe
	s_or_b32 exec_lo, exec_lo, s2
	v_or_b32_e32 v7, 0x400, v0
	s_mov_b32 s2, exec_lo
	s_delay_alu instid0(VALU_DEP_1)
	v_cmpx_gt_u32_e64 s18, v7
	s_cbranch_execz .LBB1439_13
; %bb.12:
	v_add_co_u32 v7, s3, s12, v9
	s_wait_alu 0xf1ff
	v_add_co_ci_u32_e64 v8, null, s13, 0, s3
	flat_load_d16_b16 v3, v[7:8] offset:2048
.LBB1439_13:
	s_wait_alu 0xfffe
	s_or_b32 exec_lo, exec_lo, s2
	v_or_b32_e32 v7, 0x500, v0
	s_mov_b32 s2, exec_lo
	s_delay_alu instid0(VALU_DEP_1)
	v_cmpx_gt_u32_e64 s18, v7
	s_cbranch_execz .LBB1439_15
; %bb.14:
	v_add_co_u32 v7, s3, s12, v9
	s_wait_alu 0xf1ff
	v_add_co_ci_u32_e64 v8, null, s13, 0, s3
	s_wait_loadcnt_dscnt 0x0
	flat_load_d16_hi_b16 v3, v[7:8] offset:2560
.LBB1439_15:
	;; [unrolled: 27-line block ×5, first 2 shown]
	s_wait_alu 0xfffe
	s_or_b32 exec_lo, exec_lo, s2
	s_wait_loadcnt_dscnt 0x0
	ds_store_b16 v9, v1
	ds_store_b16_d16_hi v9, v1 offset:512
	ds_store_b16 v9, v2 offset:1024
	ds_store_b16_d16_hi v9, v2 offset:1536
	ds_store_b16 v9, v3 offset:2048
	ds_store_b16_d16_hi v9, v3 offset:2560
	ds_store_b16 v9, v4 offset:3072
	ds_store_b16_d16_hi v9, v4 offset:3584
	ds_store_b16 v9, v5 offset:4096
	ds_store_b16_d16_hi v9, v5 offset:4608
	ds_store_b16 v9, v6 offset:5120
	ds_store_b16_d16_hi v9, v6 offset:5632
	s_wait_dscnt 0x0
	s_barrier_signal -1
	s_barrier_wait -1
.LBB1439_28:
	v_mul_u32_u24_e32 v51, 12, v0
	global_inv scope:SCOPE_SE
	s_wait_kmcnt 0x0
	s_add_nc_u64 s[2:3], s[14:15], s[4:5]
	s_and_b32 vcc_lo, exec_lo, s17
	s_wait_alu 0xfffe
	s_add_nc_u64 s[2:3], s[2:3], s[10:11]
	v_lshlrev_b32_e32 v1, 1, v51
	s_mov_b32 s4, -1
	ds_load_2addr_b64 v[33:36], v1 offset1:1
	ds_load_b64 v[41:42], v1 offset:16
	s_wait_loadcnt_dscnt 0x0
	s_barrier_signal -1
	s_barrier_wait -1
	global_inv scope:SCOPE_SE
	s_cbranch_vccz .LBB1439_30
; %bb.29:
	s_clause 0xb
	global_load_u16 v1, v9, s[2:3]
	global_load_u16 v2, v9, s[2:3] offset:512
	global_load_u16 v3, v9, s[2:3] offset:1024
	;; [unrolled: 1-line block ×11, first 2 shown]
	s_mov_b32 s4, 0
	s_wait_loadcnt 0xb
	v_cmp_eq_u16_e32 vcc_lo, 0, v1
	v_cndmask_b32_e64 v1, 0, 1, vcc_lo
	s_wait_loadcnt 0xa
	v_cmp_eq_u16_e32 vcc_lo, 0, v2
	s_wait_alu 0xfffd
	v_cndmask_b32_e64 v2, 0, 1, vcc_lo
	s_wait_loadcnt 0x9
	v_cmp_eq_u16_e32 vcc_lo, 0, v3
	s_wait_alu 0xfffd
	;; [unrolled: 4-line block ×11, first 2 shown]
	v_cndmask_b32_e64 v13, 0, 1, vcc_lo
	ds_store_b8 v0, v1
	ds_store_b8 v0, v2 offset:256
	ds_store_b8 v0, v3 offset:512
	;; [unrolled: 1-line block ×11, first 2 shown]
	s_wait_dscnt 0x0
	s_barrier_signal -1
	s_barrier_wait -1
.LBB1439_30:
	s_and_not1_b32 vcc_lo, exec_lo, s4
	s_wait_alu 0xfffe
	s_cbranch_vccnz .LBB1439_56
; %bb.31:
	v_mov_b32_e32 v3, 0
	s_mov_b32 s4, exec_lo
	s_delay_alu instid0(VALU_DEP_1)
	v_dual_mov_b32 v1, v3 :: v_dual_mov_b32 v2, v3
	v_mov_b32_e32 v4, v3
	v_cmpx_gt_u32_e64 s18, v0
	s_cbranch_execz .LBB1439_33
; %bb.32:
	global_load_u16 v1, v9, s[2:3]
	s_wait_loadcnt 0x0
	v_cmp_eq_u16_e32 vcc_lo, 0, v1
	v_mov_b32_e32 v1, 0
	s_wait_alu 0xfffd
	v_cndmask_b32_e64 v4, 0, 1, vcc_lo
	s_delay_alu instid0(VALU_DEP_1)
	v_dual_mov_b32 v2, v1 :: v_dual_and_b32 v3, 0xffff, v4
.LBB1439_33:
	s_or_b32 exec_lo, exec_lo, s4
	v_or_b32_e32 v5, 0x100, v0
	s_mov_b32 s4, exec_lo
	s_delay_alu instid0(VALU_DEP_1)
	v_cmpx_gt_u32_e64 s18, v5
	s_cbranch_execz .LBB1439_35
; %bb.34:
	global_load_u16 v5, v9, s[2:3] offset:512
	v_and_b32_e32 v6, 0xff, v3
	s_wait_loadcnt 0x0
	v_cmp_eq_u16_e32 vcc_lo, 0, v5
	s_wait_alu 0xfffd
	v_cndmask_b32_e64 v5, 0, 1, vcc_lo
	s_delay_alu instid0(VALU_DEP_1) | instskip(NEXT) | instid1(VALU_DEP_1)
	v_lshlrev_b16 v5, 8, v5
	v_or_b32_e32 v5, v6, v5
	s_delay_alu instid0(VALU_DEP_1) | instskip(NEXT) | instid1(VALU_DEP_1)
	v_and_b32_e32 v5, 0xffff, v5
	v_and_or_b32 v3, 0xffff0000, v3, v5
.LBB1439_35:
	s_or_b32 exec_lo, exec_lo, s4
	v_or_b32_e32 v5, 0x200, v0
	s_mov_b32 s4, exec_lo
	s_delay_alu instid0(VALU_DEP_1)
	v_cmpx_gt_u32_e64 s18, v5
	s_cbranch_execz .LBB1439_37
; %bb.36:
	global_load_u16 v5, v9, s[2:3] offset:1024
	v_lshrrev_b32_e32 v6, 16, v3
	s_delay_alu instid0(VALU_DEP_1) | instskip(SKIP_4) | instid1(VALU_DEP_1)
	v_and_b32_e32 v6, 0xffffff00, v6
	s_wait_loadcnt 0x0
	v_cmp_eq_u16_e32 vcc_lo, 0, v5
	s_wait_alu 0xfffd
	v_cndmask_b32_e64 v5, 0, 1, vcc_lo
	v_or_b32_e32 v5, v5, v6
	s_delay_alu instid0(VALU_DEP_1) | instskip(NEXT) | instid1(VALU_DEP_1)
	v_lshlrev_b32_e32 v5, 16, v5
	v_and_or_b32 v3, 0xffff, v3, v5
.LBB1439_37:
	s_or_b32 exec_lo, exec_lo, s4
	v_or_b32_e32 v5, 0x300, v0
	s_mov_b32 s4, exec_lo
	s_delay_alu instid0(VALU_DEP_1)
	v_cmpx_gt_u32_e64 s18, v5
	s_cbranch_execz .LBB1439_39
; %bb.38:
	global_load_u16 v5, v9, s[2:3] offset:1536
	v_lshrrev_b32_e32 v6, 16, v3
	s_delay_alu instid0(VALU_DEP_1) | instskip(SKIP_4) | instid1(VALU_DEP_1)
	v_and_b32_e32 v6, 0xff, v6
	s_wait_loadcnt 0x0
	v_cmp_eq_u16_e32 vcc_lo, 0, v5
	s_wait_alu 0xfffd
	v_cndmask_b32_e64 v5, 0, 1, vcc_lo
	v_lshlrev_b16 v5, 8, v5
	s_delay_alu instid0(VALU_DEP_1) | instskip(NEXT) | instid1(VALU_DEP_1)
	v_or_b32_e32 v5, v6, v5
	v_lshlrev_b32_e32 v5, 16, v5
	s_delay_alu instid0(VALU_DEP_1)
	v_and_or_b32 v3, 0xffff, v3, v5
.LBB1439_39:
	s_or_b32 exec_lo, exec_lo, s4
	v_or_b32_e32 v5, 0x400, v0
	s_mov_b32 s4, exec_lo
	s_delay_alu instid0(VALU_DEP_1)
	v_cmpx_gt_u32_e64 s18, v5
	s_cbranch_execz .LBB1439_41
; %bb.40:
	global_load_u16 v5, v9, s[2:3] offset:2048
	v_and_b32_e32 v6, 0xffffff00, v1
	s_wait_loadcnt 0x0
	v_cmp_eq_u16_e32 vcc_lo, 0, v5
	s_wait_alu 0xfffd
	v_cndmask_b32_e64 v5, 0, 1, vcc_lo
	s_delay_alu instid0(VALU_DEP_1) | instskip(NEXT) | instid1(VALU_DEP_1)
	v_or_b32_e32 v5, v5, v6
	v_and_b32_e32 v5, 0xffff, v5
	s_delay_alu instid0(VALU_DEP_1)
	v_and_or_b32 v1, 0xffff0000, v1, v5
.LBB1439_41:
	s_or_b32 exec_lo, exec_lo, s4
	v_or_b32_e32 v5, 0x500, v0
	s_mov_b32 s4, exec_lo
	s_delay_alu instid0(VALU_DEP_1)
	v_cmpx_gt_u32_e64 s18, v5
	s_cbranch_execz .LBB1439_43
; %bb.42:
	global_load_u16 v5, v9, s[2:3] offset:2560
	v_and_b32_e32 v6, 0xff, v1
	s_wait_loadcnt 0x0
	v_cmp_eq_u16_e32 vcc_lo, 0, v5
	s_wait_alu 0xfffd
	v_cndmask_b32_e64 v5, 0, 1, vcc_lo
	s_delay_alu instid0(VALU_DEP_1) | instskip(NEXT) | instid1(VALU_DEP_1)
	v_lshlrev_b16 v5, 8, v5
	v_or_b32_e32 v5, v6, v5
	s_delay_alu instid0(VALU_DEP_1) | instskip(NEXT) | instid1(VALU_DEP_1)
	v_and_b32_e32 v5, 0xffff, v5
	v_and_or_b32 v1, 0xffff0000, v1, v5
.LBB1439_43:
	s_or_b32 exec_lo, exec_lo, s4
	v_or_b32_e32 v5, 0x600, v0
	s_mov_b32 s4, exec_lo
	s_delay_alu instid0(VALU_DEP_1)
	v_cmpx_gt_u32_e64 s18, v5
	s_cbranch_execz .LBB1439_45
; %bb.44:
	global_load_u16 v5, v9, s[2:3] offset:3072
	v_lshrrev_b32_e32 v6, 16, v1
	s_delay_alu instid0(VALU_DEP_1) | instskip(SKIP_4) | instid1(VALU_DEP_1)
	v_and_b32_e32 v6, 0xffffff00, v6
	s_wait_loadcnt 0x0
	v_cmp_eq_u16_e32 vcc_lo, 0, v5
	s_wait_alu 0xfffd
	v_cndmask_b32_e64 v5, 0, 1, vcc_lo
	v_or_b32_e32 v5, v5, v6
	s_delay_alu instid0(VALU_DEP_1) | instskip(NEXT) | instid1(VALU_DEP_1)
	v_lshlrev_b32_e32 v5, 16, v5
	v_and_or_b32 v1, 0xffff, v1, v5
.LBB1439_45:
	s_or_b32 exec_lo, exec_lo, s4
	v_or_b32_e32 v5, 0x700, v0
	s_mov_b32 s4, exec_lo
	s_delay_alu instid0(VALU_DEP_1)
	v_cmpx_gt_u32_e64 s18, v5
	s_cbranch_execz .LBB1439_47
; %bb.46:
	global_load_u16 v5, v9, s[2:3] offset:3584
	v_lshrrev_b32_e32 v6, 16, v1
	s_delay_alu instid0(VALU_DEP_1) | instskip(SKIP_4) | instid1(VALU_DEP_1)
	v_and_b32_e32 v6, 0xff, v6
	s_wait_loadcnt 0x0
	v_cmp_eq_u16_e32 vcc_lo, 0, v5
	s_wait_alu 0xfffd
	v_cndmask_b32_e64 v5, 0, 1, vcc_lo
	v_lshlrev_b16 v5, 8, v5
	s_delay_alu instid0(VALU_DEP_1) | instskip(NEXT) | instid1(VALU_DEP_1)
	v_or_b32_e32 v5, v6, v5
	v_lshlrev_b32_e32 v5, 16, v5
	s_delay_alu instid0(VALU_DEP_1)
	v_and_or_b32 v1, 0xffff, v1, v5
.LBB1439_47:
	s_or_b32 exec_lo, exec_lo, s4
	v_or_b32_e32 v5, 0x800, v0
	s_mov_b32 s4, exec_lo
	s_delay_alu instid0(VALU_DEP_1)
	v_cmpx_gt_u32_e64 s18, v5
	s_cbranch_execz .LBB1439_49
; %bb.48:
	global_load_u16 v5, v9, s[2:3] offset:4096
	v_and_b32_e32 v6, 0xffffff00, v2
	s_wait_loadcnt 0x0
	v_cmp_eq_u16_e32 vcc_lo, 0, v5
	s_wait_alu 0xfffd
	v_cndmask_b32_e64 v5, 0, 1, vcc_lo
	s_delay_alu instid0(VALU_DEP_1) | instskip(NEXT) | instid1(VALU_DEP_1)
	v_or_b32_e32 v5, v5, v6
	v_and_b32_e32 v5, 0xffff, v5
	s_delay_alu instid0(VALU_DEP_1)
	v_and_or_b32 v2, 0xffff0000, v2, v5
.LBB1439_49:
	s_or_b32 exec_lo, exec_lo, s4
	v_or_b32_e32 v5, 0x900, v0
	s_mov_b32 s4, exec_lo
	s_delay_alu instid0(VALU_DEP_1)
	v_cmpx_gt_u32_e64 s18, v5
	s_cbranch_execz .LBB1439_51
; %bb.50:
	global_load_u16 v5, v9, s[2:3] offset:4608
	v_and_b32_e32 v6, 0xff, v2
	s_wait_loadcnt 0x0
	v_cmp_eq_u16_e32 vcc_lo, 0, v5
	s_wait_alu 0xfffd
	v_cndmask_b32_e64 v5, 0, 1, vcc_lo
	s_delay_alu instid0(VALU_DEP_1) | instskip(NEXT) | instid1(VALU_DEP_1)
	v_lshlrev_b16 v5, 8, v5
	v_or_b32_e32 v5, v6, v5
	s_delay_alu instid0(VALU_DEP_1) | instskip(NEXT) | instid1(VALU_DEP_1)
	v_and_b32_e32 v5, 0xffff, v5
	v_and_or_b32 v2, 0xffff0000, v2, v5
.LBB1439_51:
	s_or_b32 exec_lo, exec_lo, s4
	v_or_b32_e32 v5, 0xa00, v0
	s_mov_b32 s4, exec_lo
	s_delay_alu instid0(VALU_DEP_1)
	v_cmpx_gt_u32_e64 s18, v5
	s_cbranch_execz .LBB1439_53
; %bb.52:
	global_load_u16 v5, v9, s[2:3] offset:5120
	v_lshrrev_b32_e32 v6, 16, v2
	s_delay_alu instid0(VALU_DEP_1) | instskip(SKIP_4) | instid1(VALU_DEP_1)
	v_and_b32_e32 v6, 0xffffff00, v6
	s_wait_loadcnt 0x0
	v_cmp_eq_u16_e32 vcc_lo, 0, v5
	s_wait_alu 0xfffd
	v_cndmask_b32_e64 v5, 0, 1, vcc_lo
	v_or_b32_e32 v5, v5, v6
	s_delay_alu instid0(VALU_DEP_1) | instskip(NEXT) | instid1(VALU_DEP_1)
	v_lshlrev_b32_e32 v5, 16, v5
	v_and_or_b32 v2, 0xffff, v2, v5
.LBB1439_53:
	s_or_b32 exec_lo, exec_lo, s4
	v_or_b32_e32 v5, 0xb00, v0
	s_mov_b32 s4, exec_lo
	s_delay_alu instid0(VALU_DEP_1)
	v_cmpx_gt_u32_e64 s18, v5
	s_cbranch_execz .LBB1439_55
; %bb.54:
	global_load_u16 v5, v9, s[2:3] offset:5632
	v_lshrrev_b32_e32 v6, 16, v2
	s_delay_alu instid0(VALU_DEP_1) | instskip(SKIP_4) | instid1(VALU_DEP_1)
	v_and_b32_e32 v6, 0xff, v6
	s_wait_loadcnt 0x0
	v_cmp_eq_u16_e32 vcc_lo, 0, v5
	s_wait_alu 0xfffd
	v_cndmask_b32_e64 v5, 0, 1, vcc_lo
	v_lshlrev_b16 v5, 8, v5
	s_delay_alu instid0(VALU_DEP_1) | instskip(NEXT) | instid1(VALU_DEP_1)
	v_or_b32_e32 v5, v6, v5
	v_lshlrev_b32_e32 v5, 16, v5
	s_delay_alu instid0(VALU_DEP_1)
	v_and_or_b32 v2, 0xffff, v2, v5
.LBB1439_55:
	s_or_b32 exec_lo, exec_lo, s4
	v_lshrrev_b32_e32 v5, 8, v3
	v_lshrrev_b32_e32 v6, 24, v3
	;; [unrolled: 1-line block ×6, first 2 shown]
	ds_store_b8 v0, v4
	ds_store_b8 v0, v5 offset:256
	ds_store_b8_d16_hi v0, v3 offset:512
	ds_store_b8 v0, v6 offset:768
	ds_store_b8 v0, v1 offset:1024
	;; [unrolled: 1-line block ×3, first 2 shown]
	ds_store_b8_d16_hi v0, v1 offset:1536
	ds_store_b8 v0, v8 offset:1792
	ds_store_b8 v0, v2 offset:2048
	ds_store_b8 v0, v9 offset:2304
	ds_store_b8_d16_hi v0, v2 offset:2560
	ds_store_b8 v0, v10 offset:2816
	s_wait_loadcnt_dscnt 0x0
	s_barrier_signal -1
	s_barrier_wait -1
.LBB1439_56:
	s_wait_loadcnt 0x0
	global_inv scope:SCOPE_SE
	ds_load_2addr_b32 v[43:44], v51 offset1:1
	ds_load_b32 v47, v51 offset:8
	s_load_b64 s[10:11], s[0:1], 0x68
	v_mbcnt_lo_u32_b32 v61, -1, 0
	s_cmp_lg_u32 ttmp9, 0
	s_mov_b32 s3, -1
	s_wait_loadcnt_dscnt 0x0
	s_barrier_signal -1
	v_and_b32_e32 v62, 15, v61
	s_barrier_wait -1
	global_inv scope:SCOPE_SE
	v_dual_mov_b32 v2, 0 :: v_dual_and_b32 v53, 0xff, v43
	v_bfe_u32 v54, v43, 8, 8
	v_bfe_u32 v52, v43, 16, 8
	v_lshrrev_b32_e32 v50, 24, v43
	v_and_b32_e32 v56, 0xff, v44
	v_bfe_u32 v57, v44, 8, 8
	v_bfe_u32 v58, v44, 16, 8
	v_add3_u32 v1, v54, v53, v52
	v_lshrrev_b32_e32 v49, 24, v44
	v_and_b32_e32 v59, 0xff, v47
	v_bfe_u32 v60, v47, 8, 8
	v_bfe_u32 v55, v47, 16, 8
	v_add_co_u32 v1, s2, v1, v50
	s_wait_alu 0xf1ff
	v_add_co_ci_u32_e64 v3, null, 0, 0, s2
	v_lshrrev_b32_e32 v48, 24, v47
	s_delay_alu instid0(VALU_DEP_3) | instskip(SKIP_1) | instid1(VALU_DEP_3)
	v_add_co_u32 v1, vcc_lo, v1, v56
	s_wait_alu 0xfffd
	v_add_co_ci_u32_e64 v3, null, 0, v3, vcc_lo
	v_cmp_ne_u32_e64 s2, 0, v62
	s_delay_alu instid0(VALU_DEP_3) | instskip(SKIP_1) | instid1(VALU_DEP_3)
	v_add_co_u32 v1, vcc_lo, v1, v57
	s_wait_alu 0xfffd
	v_add_co_ci_u32_e64 v3, null, 0, v3, vcc_lo
	s_delay_alu instid0(VALU_DEP_2) | instskip(SKIP_1) | instid1(VALU_DEP_2)
	v_add_co_u32 v1, vcc_lo, v1, v58
	s_wait_alu 0xfffd
	v_add_co_ci_u32_e64 v3, null, 0, v3, vcc_lo
	s_delay_alu instid0(VALU_DEP_2) | instskip(SKIP_1) | instid1(VALU_DEP_2)
	;; [unrolled: 4-line block ×6, first 2 shown]
	v_add_co_u32 v45, vcc_lo, v1, v48
	s_wait_alu 0xfffd
	v_add_co_ci_u32_e64 v46, null, 0, v3, vcc_lo
	s_cbranch_scc0 .LBB1439_113
; %bb.57:
	v_mov_b32_e32 v3, v45
	v_mov_b32_dpp v1, v45 row_shr:1 row_mask:0xf bank_mask:0xf
	v_mov_b32_dpp v6, v2 row_shr:1 row_mask:0xf bank_mask:0xf
	v_dual_mov_b32 v5, v45 :: v_dual_mov_b32 v4, v46
	s_and_saveexec_b32 s3, s2
; %bb.58:
	s_delay_alu instid0(VALU_DEP_3) | instskip(SKIP_2) | instid1(VALU_DEP_2)
	v_add_co_u32 v5, vcc_lo, v45, v1
	s_wait_alu 0xfffd
	v_add_co_ci_u32_e64 v2, null, 0, v46, vcc_lo
	v_add_co_u32 v1, vcc_lo, 0, v5
	s_wait_alu 0xfffd
	s_delay_alu instid0(VALU_DEP_2) | instskip(NEXT) | instid1(VALU_DEP_1)
	v_add_co_ci_u32_e64 v2, null, v6, v2, vcc_lo
	v_dual_mov_b32 v4, v2 :: v_dual_mov_b32 v3, v1
; %bb.59:
	s_wait_alu 0xfffe
	s_or_b32 exec_lo, exec_lo, s3
	v_mov_b32_dpp v1, v5 row_shr:2 row_mask:0xf bank_mask:0xf
	v_mov_b32_dpp v6, v2 row_shr:2 row_mask:0xf bank_mask:0xf
	s_mov_b32 s3, exec_lo
	v_cmpx_lt_u32_e32 1, v62
; %bb.60:
	s_delay_alu instid0(VALU_DEP_3) | instskip(SKIP_2) | instid1(VALU_DEP_2)
	v_add_co_u32 v5, vcc_lo, v3, v1
	s_wait_alu 0xfffd
	v_add_co_ci_u32_e64 v2, null, 0, v4, vcc_lo
	v_add_co_u32 v1, vcc_lo, 0, v5
	s_wait_alu 0xfffd
	s_delay_alu instid0(VALU_DEP_2) | instskip(NEXT) | instid1(VALU_DEP_1)
	v_add_co_ci_u32_e64 v2, null, v6, v2, vcc_lo
	v_dual_mov_b32 v4, v2 :: v_dual_mov_b32 v3, v1
; %bb.61:
	s_wait_alu 0xfffe
	s_or_b32 exec_lo, exec_lo, s3
	v_mov_b32_dpp v1, v5 row_shr:4 row_mask:0xf bank_mask:0xf
	v_mov_b32_dpp v6, v2 row_shr:4 row_mask:0xf bank_mask:0xf
	s_mov_b32 s3, exec_lo
	v_cmpx_lt_u32_e32 3, v62
; %bb.62:
	s_delay_alu instid0(VALU_DEP_3) | instskip(SKIP_2) | instid1(VALU_DEP_2)
	v_add_co_u32 v5, vcc_lo, v3, v1
	s_wait_alu 0xfffd
	v_add_co_ci_u32_e64 v2, null, 0, v4, vcc_lo
	v_add_co_u32 v1, vcc_lo, 0, v5
	s_wait_alu 0xfffd
	s_delay_alu instid0(VALU_DEP_2) | instskip(NEXT) | instid1(VALU_DEP_1)
	v_add_co_ci_u32_e64 v2, null, v6, v2, vcc_lo
	v_dual_mov_b32 v4, v2 :: v_dual_mov_b32 v3, v1
; %bb.63:
	s_wait_alu 0xfffe
	s_or_b32 exec_lo, exec_lo, s3
	v_mov_b32_dpp v6, v5 row_shr:8 row_mask:0xf bank_mask:0xf
	v_mov_b32_dpp v1, v2 row_shr:8 row_mask:0xf bank_mask:0xf
	s_mov_b32 s3, exec_lo
	v_cmpx_lt_u32_e32 7, v62
; %bb.64:
	s_delay_alu instid0(VALU_DEP_3) | instskip(SKIP_2) | instid1(VALU_DEP_2)
	v_add_co_u32 v5, vcc_lo, v3, v6
	s_wait_alu 0xfffd
	v_add_co_ci_u32_e64 v2, null, 0, v4, vcc_lo
	v_add_co_u32 v3, vcc_lo, 0, v5
	s_wait_alu 0xfffd
	s_delay_alu instid0(VALU_DEP_2) | instskip(NEXT) | instid1(VALU_DEP_1)
	v_add_co_ci_u32_e64 v4, null, v1, v2, vcc_lo
	v_mov_b32_e32 v2, v4
; %bb.65:
	s_wait_alu 0xfffe
	s_or_b32 exec_lo, exec_lo, s3
	ds_swizzle_b32 v1, v5 offset:swizzle(BROADCAST,32,15)
	ds_swizzle_b32 v6, v2 offset:swizzle(BROADCAST,32,15)
	v_and_b32_e32 v7, 16, v61
	s_mov_b32 s3, exec_lo
	s_delay_alu instid0(VALU_DEP_1)
	v_cmpx_ne_u32_e32 0, v7
	s_cbranch_execz .LBB1439_67
; %bb.66:
	s_wait_dscnt 0x1
	v_add_co_u32 v5, vcc_lo, v3, v1
	s_wait_alu 0xfffd
	v_add_co_ci_u32_e64 v2, null, 0, v4, vcc_lo
	s_delay_alu instid0(VALU_DEP_2) | instskip(SKIP_2) | instid1(VALU_DEP_2)
	v_add_co_u32 v1, vcc_lo, 0, v5
	s_wait_dscnt 0x0
	s_wait_alu 0xfffd
	v_add_co_ci_u32_e64 v2, null, v6, v2, vcc_lo
	s_delay_alu instid0(VALU_DEP_1)
	v_dual_mov_b32 v4, v2 :: v_dual_mov_b32 v3, v1
.LBB1439_67:
	s_wait_alu 0xfffe
	s_or_b32 exec_lo, exec_lo, s3
	s_wait_dscnt 0x0
	v_or_b32_e32 v6, 31, v0
	v_lshrrev_b32_e32 v1, 5, v0
	s_mov_b32 s3, exec_lo
	s_delay_alu instid0(VALU_DEP_2)
	v_cmpx_eq_u32_e64 v0, v6
; %bb.68:
	s_delay_alu instid0(VALU_DEP_2)
	v_lshlrev_b32_e32 v6, 3, v1
	ds_store_b64 v6, v[3:4]
; %bb.69:
	s_wait_alu 0xfffe
	s_or_b32 exec_lo, exec_lo, s3
	s_delay_alu instid0(SALU_CYCLE_1)
	s_mov_b32 s3, exec_lo
	s_wait_loadcnt_dscnt 0x0
	s_barrier_signal -1
	s_barrier_wait -1
	global_inv scope:SCOPE_SE
	v_cmpx_gt_u32_e32 8, v0
	s_cbranch_execz .LBB1439_77
; %bb.70:
	v_lshlrev_b32_e32 v6, 3, v0
	s_mov_b32 s4, exec_lo
	ds_load_b64 v[3:4], v6
	s_wait_dscnt 0x0
	v_dual_mov_b32 v8, v3 :: v_dual_and_b32 v7, 7, v61
	v_mov_b32_dpp v10, v3 row_shr:1 row_mask:0xf bank_mask:0xf
	v_mov_b32_dpp v9, v4 row_shr:1 row_mask:0xf bank_mask:0xf
	s_delay_alu instid0(VALU_DEP_3)
	v_cmpx_ne_u32_e32 0, v7
; %bb.71:
	s_delay_alu instid0(VALU_DEP_3) | instskip(SKIP_2) | instid1(VALU_DEP_2)
	v_add_co_u32 v8, vcc_lo, v3, v10
	s_wait_alu 0xfffd
	v_add_co_ci_u32_e64 v4, null, 0, v4, vcc_lo
	v_add_co_u32 v3, vcc_lo, 0, v8
	s_wait_alu 0xfffd
	s_delay_alu instid0(VALU_DEP_2)
	v_add_co_ci_u32_e64 v4, null, v9, v4, vcc_lo
; %bb.72:
	s_or_b32 exec_lo, exec_lo, s4
	v_mov_b32_dpp v10, v8 row_shr:2 row_mask:0xf bank_mask:0xf
	s_delay_alu instid0(VALU_DEP_2)
	v_mov_b32_dpp v9, v4 row_shr:2 row_mask:0xf bank_mask:0xf
	s_mov_b32 s4, exec_lo
	v_cmpx_lt_u32_e32 1, v7
; %bb.73:
	s_delay_alu instid0(VALU_DEP_3) | instskip(SKIP_2) | instid1(VALU_DEP_2)
	v_add_co_u32 v8, vcc_lo, v3, v10
	s_wait_alu 0xfffd
	v_add_co_ci_u32_e64 v4, null, 0, v4, vcc_lo
	v_add_co_u32 v3, vcc_lo, 0, v8
	s_wait_alu 0xfffd
	s_delay_alu instid0(VALU_DEP_2)
	v_add_co_ci_u32_e64 v4, null, v9, v4, vcc_lo
; %bb.74:
	s_or_b32 exec_lo, exec_lo, s4
	v_mov_b32_dpp v9, v8 row_shr:4 row_mask:0xf bank_mask:0xf
	s_delay_alu instid0(VALU_DEP_2)
	v_mov_b32_dpp v8, v4 row_shr:4 row_mask:0xf bank_mask:0xf
	s_mov_b32 s4, exec_lo
	v_cmpx_lt_u32_e32 3, v7
; %bb.75:
	s_delay_alu instid0(VALU_DEP_3) | instskip(SKIP_2) | instid1(VALU_DEP_2)
	v_add_co_u32 v3, vcc_lo, v3, v9
	s_wait_alu 0xfffd
	v_add_co_ci_u32_e64 v4, null, 0, v4, vcc_lo
	v_add_co_u32 v3, vcc_lo, v3, 0
	s_wait_alu 0xfffd
	s_delay_alu instid0(VALU_DEP_2)
	v_add_co_ci_u32_e64 v4, null, v4, v8, vcc_lo
; %bb.76:
	s_or_b32 exec_lo, exec_lo, s4
	ds_store_b64 v6, v[3:4]
.LBB1439_77:
	s_wait_alu 0xfffe
	s_or_b32 exec_lo, exec_lo, s3
	s_delay_alu instid0(SALU_CYCLE_1)
	s_mov_b32 s4, exec_lo
	v_cmp_gt_u32_e32 vcc_lo, 32, v0
	s_wait_loadcnt_dscnt 0x0
	s_barrier_signal -1
	s_barrier_wait -1
	global_inv scope:SCOPE_SE
                                        ; implicit-def: $vgpr9_vgpr10
	v_cmpx_lt_u32_e32 31, v0
	s_cbranch_execz .LBB1439_79
; %bb.78:
	v_lshl_add_u32 v1, v1, 3, -8
	ds_load_b64 v[9:10], v1
	s_wait_dscnt 0x0
	v_add_co_u32 v5, s3, v5, v9
	s_wait_alu 0xf1ff
	v_add_co_ci_u32_e64 v2, null, v2, v10, s3
.LBB1439_79:
	s_or_b32 exec_lo, exec_lo, s4
	v_sub_co_u32 v1, s3, v61, 1
	s_delay_alu instid0(VALU_DEP_1) | instskip(NEXT) | instid1(VALU_DEP_1)
	v_cmp_gt_i32_e64 s4, 0, v1
	v_cndmask_b32_e64 v1, v1, v61, s4
	s_delay_alu instid0(VALU_DEP_1)
	v_lshlrev_b32_e32 v1, 2, v1
	ds_bpermute_b32 v15, v1, v5
	ds_bpermute_b32 v16, v1, v2
	s_and_saveexec_b32 s4, vcc_lo
	s_cbranch_execz .LBB1439_118
; %bb.80:
	v_mov_b32_e32 v4, 0
	ds_load_b64 v[1:2], v4 offset:56
	s_and_saveexec_b32 s5, s3
	s_cbranch_execz .LBB1439_82
; %bb.81:
	s_add_co_i32 s12, ttmp9, 32
	s_mov_b32 s13, 0
	s_wait_alu 0xfffe
	s_lshl_b64 s[12:13], s[12:13], 4
	s_wait_kmcnt 0x0
	s_wait_alu 0xfffe
	s_add_nc_u64 s[12:13], s[10:11], s[12:13]
	v_mov_b32_e32 v3, 1
	s_wait_alu 0xfffe
	v_dual_mov_b32 v5, s12 :: v_dual_mov_b32 v6, s13
	s_wait_dscnt 0x0
	;;#ASMSTART
	global_store_b128 v[5:6], v[1:4] off scope:SCOPE_DEV	
s_wait_storecnt 0x0
	;;#ASMEND
.LBB1439_82:
	s_wait_alu 0xfffe
	s_or_b32 exec_lo, exec_lo, s5
	v_xad_u32 v11, v61, -1, ttmp9
	s_mov_b32 s12, 0
	s_mov_b32 s5, exec_lo
	s_delay_alu instid0(VALU_DEP_1) | instskip(NEXT) | instid1(VALU_DEP_1)
	v_add_nc_u32_e32 v3, 32, v11
	v_lshlrev_b64_e32 v[3:4], 4, v[3:4]
	s_wait_kmcnt 0x0
	s_delay_alu instid0(VALU_DEP_1) | instskip(SKIP_1) | instid1(VALU_DEP_2)
	v_add_co_u32 v3, vcc_lo, s10, v3
	s_wait_alu 0xfffd
	v_add_co_ci_u32_e64 v4, null, s11, v4, vcc_lo
	;;#ASMSTART
	global_load_b128 v[5:8], v[3:4] off scope:SCOPE_DEV	
s_wait_loadcnt 0x0
	;;#ASMEND
	v_and_b32_e32 v8, 0xff, v7
	s_delay_alu instid0(VALU_DEP_1)
	v_cmpx_eq_u16_e32 0, v8
	s_cbranch_execz .LBB1439_85
.LBB1439_83:                            ; =>This Inner Loop Header: Depth=1
	;;#ASMSTART
	global_load_b128 v[5:8], v[3:4] off scope:SCOPE_DEV	
s_wait_loadcnt 0x0
	;;#ASMEND
	v_and_b32_e32 v8, 0xff, v7
	s_delay_alu instid0(VALU_DEP_1)
	v_cmp_ne_u16_e32 vcc_lo, 0, v8
	s_wait_alu 0xfffe
	s_or_b32 s12, vcc_lo, s12
	s_wait_alu 0xfffe
	s_and_not1_b32 exec_lo, exec_lo, s12
	s_cbranch_execnz .LBB1439_83
; %bb.84:
	s_or_b32 exec_lo, exec_lo, s12
.LBB1439_85:
	s_wait_alu 0xfffe
	s_or_b32 exec_lo, exec_lo, s5
	v_cmp_ne_u32_e32 vcc_lo, 31, v61
	v_and_b32_e32 v4, 0xff, v7
	v_lshlrev_b32_e64 v18, v61, -1
	s_mov_b32 s5, exec_lo
	s_wait_alu 0xfffd
	v_add_co_ci_u32_e64 v3, null, 0, v61, vcc_lo
	v_cmp_eq_u16_e32 vcc_lo, 2, v4
	s_delay_alu instid0(VALU_DEP_2)
	v_dual_mov_b32 v4, v5 :: v_dual_lshlrev_b32 v17, 2, v3
	s_wait_alu 0xfffd
	v_and_or_b32 v3, vcc_lo, v18, 0x80000000
	ds_bpermute_b32 v12, v17, v5
	ds_bpermute_b32 v8, v17, v6
	v_ctz_i32_b32_e32 v3, v3
	s_delay_alu instid0(VALU_DEP_1)
	v_cmpx_lt_u32_e64 v61, v3
	s_cbranch_execz .LBB1439_87
; %bb.86:
	s_wait_dscnt 0x1
	v_add_co_u32 v4, vcc_lo, v5, v12
	s_wait_alu 0xfffd
	v_add_co_ci_u32_e64 v6, null, 0, v6, vcc_lo
	s_delay_alu instid0(VALU_DEP_2) | instskip(SKIP_2) | instid1(VALU_DEP_2)
	v_add_co_u32 v5, vcc_lo, 0, v4
	s_wait_dscnt 0x0
	s_wait_alu 0xfffd
	v_add_co_ci_u32_e64 v6, null, v8, v6, vcc_lo
.LBB1439_87:
	s_wait_alu 0xfffe
	s_or_b32 exec_lo, exec_lo, s5
	v_cmp_gt_u32_e32 vcc_lo, 30, v61
	v_add_nc_u32_e32 v20, 2, v61
	s_mov_b32 s5, exec_lo
	s_wait_dscnt 0x0
	s_wait_alu 0xfffd
	v_cndmask_b32_e64 v8, 0, 2, vcc_lo
	s_delay_alu instid0(VALU_DEP_1)
	v_add_lshl_u32 v19, v8, v61, 2
	ds_bpermute_b32 v12, v19, v4
	ds_bpermute_b32 v8, v19, v6
	v_cmpx_le_u32_e64 v20, v3
	s_cbranch_execz .LBB1439_89
; %bb.88:
	s_wait_dscnt 0x1
	v_add_co_u32 v4, vcc_lo, v5, v12
	s_wait_alu 0xfffd
	v_add_co_ci_u32_e64 v6, null, 0, v6, vcc_lo
	s_delay_alu instid0(VALU_DEP_2) | instskip(SKIP_2) | instid1(VALU_DEP_2)
	v_add_co_u32 v5, vcc_lo, 0, v4
	s_wait_dscnt 0x0
	s_wait_alu 0xfffd
	v_add_co_ci_u32_e64 v6, null, v8, v6, vcc_lo
.LBB1439_89:
	s_wait_alu 0xfffe
	s_or_b32 exec_lo, exec_lo, s5
	v_cmp_gt_u32_e32 vcc_lo, 28, v61
	v_add_nc_u32_e32 v22, 4, v61
	s_mov_b32 s5, exec_lo
	s_wait_dscnt 0x0
	s_wait_alu 0xfffd
	v_cndmask_b32_e64 v8, 0, 4, vcc_lo
	s_delay_alu instid0(VALU_DEP_1)
	v_add_lshl_u32 v21, v8, v61, 2
	ds_bpermute_b32 v12, v21, v4
	ds_bpermute_b32 v8, v21, v6
	v_cmpx_le_u32_e64 v22, v3
	;; [unrolled: 25-line block ×3, first 2 shown]
	s_cbranch_execz .LBB1439_93
; %bb.92:
	s_wait_dscnt 0x1
	v_add_co_u32 v4, vcc_lo, v5, v12
	s_wait_alu 0xfffd
	v_add_co_ci_u32_e64 v6, null, 0, v6, vcc_lo
	s_delay_alu instid0(VALU_DEP_2) | instskip(SKIP_2) | instid1(VALU_DEP_2)
	v_add_co_u32 v5, vcc_lo, 0, v4
	s_wait_dscnt 0x0
	s_wait_alu 0xfffd
	v_add_co_ci_u32_e64 v6, null, v8, v6, vcc_lo
.LBB1439_93:
	s_wait_alu 0xfffe
	s_or_b32 exec_lo, exec_lo, s5
	v_lshl_or_b32 v25, v61, 2, 64
	v_add_nc_u32_e32 v26, 16, v61
	s_mov_b32 s5, exec_lo
	s_wait_dscnt 0x0
	ds_bpermute_b32 v8, v25, v4
	ds_bpermute_b32 v4, v25, v6
	v_cmpx_le_u32_e64 v26, v3
	s_cbranch_execz .LBB1439_95
; %bb.94:
	s_wait_dscnt 0x1
	v_add_co_u32 v3, vcc_lo, v5, v8
	s_wait_alu 0xfffd
	v_add_co_ci_u32_e64 v6, null, 0, v6, vcc_lo
	s_delay_alu instid0(VALU_DEP_2) | instskip(SKIP_2) | instid1(VALU_DEP_2)
	v_add_co_u32 v5, vcc_lo, v3, 0
	s_wait_dscnt 0x0
	s_wait_alu 0xfffd
	v_add_co_ci_u32_e64 v6, null, v6, v4, vcc_lo
.LBB1439_95:
	s_wait_alu 0xfffe
	s_or_b32 exec_lo, exec_lo, s5
	v_mov_b32_e32 v12, 0
	s_branch .LBB1439_98
.LBB1439_96:                            ;   in Loop: Header=BB1439_98 Depth=1
	s_wait_alu 0xfffe
	s_or_b32 exec_lo, exec_lo, s5
	v_add_co_u32 v5, vcc_lo, v5, v3
	v_subrev_nc_u32_e32 v11, 32, v11
	s_wait_alu 0xfffd
	v_add_co_ci_u32_e64 v6, null, v6, v4, vcc_lo
	s_mov_b32 s5, 0
.LBB1439_97:                            ;   in Loop: Header=BB1439_98 Depth=1
	s_wait_alu 0xfffe
	s_and_b32 vcc_lo, exec_lo, s5
	s_wait_alu 0xfffe
	s_cbranch_vccnz .LBB1439_114
.LBB1439_98:                            ; =>This Loop Header: Depth=1
                                        ;     Child Loop BB1439_101 Depth 2
	v_and_b32_e32 v3, 0xff, v7
	s_mov_b32 s5, -1
	s_delay_alu instid0(VALU_DEP_1)
	v_cmp_ne_u16_e32 vcc_lo, 2, v3
	s_wait_dscnt 0x0
	v_dual_mov_b32 v3, v5 :: v_dual_mov_b32 v4, v6
                                        ; implicit-def: $vgpr5_vgpr6
	s_cmp_lg_u32 vcc_lo, exec_lo
	s_cbranch_scc1 .LBB1439_97
; %bb.99:                               ;   in Loop: Header=BB1439_98 Depth=1
	v_lshlrev_b64_e32 v[5:6], 4, v[11:12]
	s_mov_b32 s5, exec_lo
	s_delay_alu instid0(VALU_DEP_1) | instskip(SKIP_1) | instid1(VALU_DEP_2)
	v_add_co_u32 v13, vcc_lo, s10, v5
	s_wait_alu 0xfffd
	v_add_co_ci_u32_e64 v14, null, s11, v6, vcc_lo
	;;#ASMSTART
	global_load_b128 v[5:8], v[13:14] off scope:SCOPE_DEV	
s_wait_loadcnt 0x0
	;;#ASMEND
	v_and_b32_e32 v8, 0xff, v7
	s_delay_alu instid0(VALU_DEP_1)
	v_cmpx_eq_u16_e32 0, v8
	s_cbranch_execz .LBB1439_103
; %bb.100:                              ;   in Loop: Header=BB1439_98 Depth=1
	s_mov_b32 s12, 0
.LBB1439_101:                           ;   Parent Loop BB1439_98 Depth=1
                                        ; =>  This Inner Loop Header: Depth=2
	;;#ASMSTART
	global_load_b128 v[5:8], v[13:14] off scope:SCOPE_DEV	
s_wait_loadcnt 0x0
	;;#ASMEND
	v_and_b32_e32 v8, 0xff, v7
	s_delay_alu instid0(VALU_DEP_1)
	v_cmp_ne_u16_e32 vcc_lo, 0, v8
	s_wait_alu 0xfffe
	s_or_b32 s12, vcc_lo, s12
	s_wait_alu 0xfffe
	s_and_not1_b32 exec_lo, exec_lo, s12
	s_cbranch_execnz .LBB1439_101
; %bb.102:                              ;   in Loop: Header=BB1439_98 Depth=1
	s_or_b32 exec_lo, exec_lo, s12
.LBB1439_103:                           ;   in Loop: Header=BB1439_98 Depth=1
	s_wait_alu 0xfffe
	s_or_b32 exec_lo, exec_lo, s5
	v_dual_mov_b32 v13, v5 :: v_dual_and_b32 v8, 0xff, v7
	ds_bpermute_b32 v27, v17, v5
	ds_bpermute_b32 v14, v17, v6
	s_mov_b32 s5, exec_lo
	v_cmp_eq_u16_e32 vcc_lo, 2, v8
	s_wait_alu 0xfffd
	v_and_or_b32 v8, vcc_lo, v18, 0x80000000
	s_delay_alu instid0(VALU_DEP_1) | instskip(NEXT) | instid1(VALU_DEP_1)
	v_ctz_i32_b32_e32 v8, v8
	v_cmpx_lt_u32_e64 v61, v8
	s_cbranch_execz .LBB1439_105
; %bb.104:                              ;   in Loop: Header=BB1439_98 Depth=1
	s_wait_dscnt 0x1
	v_add_co_u32 v13, vcc_lo, v5, v27
	s_wait_alu 0xfffd
	v_add_co_ci_u32_e64 v6, null, 0, v6, vcc_lo
	s_delay_alu instid0(VALU_DEP_2) | instskip(SKIP_2) | instid1(VALU_DEP_2)
	v_add_co_u32 v5, vcc_lo, 0, v13
	s_wait_dscnt 0x0
	s_wait_alu 0xfffd
	v_add_co_ci_u32_e64 v6, null, v14, v6, vcc_lo
.LBB1439_105:                           ;   in Loop: Header=BB1439_98 Depth=1
	s_wait_alu 0xfffe
	s_or_b32 exec_lo, exec_lo, s5
	s_wait_dscnt 0x1
	ds_bpermute_b32 v27, v19, v13
	s_wait_dscnt 0x1
	ds_bpermute_b32 v14, v19, v6
	s_mov_b32 s5, exec_lo
	v_cmpx_le_u32_e64 v20, v8
	s_cbranch_execz .LBB1439_107
; %bb.106:                              ;   in Loop: Header=BB1439_98 Depth=1
	s_wait_dscnt 0x1
	v_add_co_u32 v13, vcc_lo, v5, v27
	s_wait_alu 0xfffd
	v_add_co_ci_u32_e64 v6, null, 0, v6, vcc_lo
	s_delay_alu instid0(VALU_DEP_2) | instskip(SKIP_2) | instid1(VALU_DEP_2)
	v_add_co_u32 v5, vcc_lo, 0, v13
	s_wait_dscnt 0x0
	s_wait_alu 0xfffd
	v_add_co_ci_u32_e64 v6, null, v14, v6, vcc_lo
.LBB1439_107:                           ;   in Loop: Header=BB1439_98 Depth=1
	s_wait_alu 0xfffe
	s_or_b32 exec_lo, exec_lo, s5
	s_wait_dscnt 0x1
	ds_bpermute_b32 v27, v21, v13
	s_wait_dscnt 0x1
	ds_bpermute_b32 v14, v21, v6
	s_mov_b32 s5, exec_lo
	v_cmpx_le_u32_e64 v22, v8
	s_cbranch_execz .LBB1439_109
; %bb.108:                              ;   in Loop: Header=BB1439_98 Depth=1
	s_wait_dscnt 0x1
	v_add_co_u32 v13, vcc_lo, v5, v27
	s_wait_alu 0xfffd
	v_add_co_ci_u32_e64 v6, null, 0, v6, vcc_lo
	s_delay_alu instid0(VALU_DEP_2) | instskip(SKIP_2) | instid1(VALU_DEP_2)
	v_add_co_u32 v5, vcc_lo, 0, v13
	s_wait_dscnt 0x0
	s_wait_alu 0xfffd
	v_add_co_ci_u32_e64 v6, null, v14, v6, vcc_lo
.LBB1439_109:                           ;   in Loop: Header=BB1439_98 Depth=1
	s_wait_alu 0xfffe
	s_or_b32 exec_lo, exec_lo, s5
	s_wait_dscnt 0x1
	ds_bpermute_b32 v27, v23, v13
	s_wait_dscnt 0x1
	ds_bpermute_b32 v14, v23, v6
	s_mov_b32 s5, exec_lo
	v_cmpx_le_u32_e64 v24, v8
	s_cbranch_execz .LBB1439_111
; %bb.110:                              ;   in Loop: Header=BB1439_98 Depth=1
	s_wait_dscnt 0x1
	v_add_co_u32 v13, vcc_lo, v5, v27
	s_wait_alu 0xfffd
	v_add_co_ci_u32_e64 v6, null, 0, v6, vcc_lo
	s_delay_alu instid0(VALU_DEP_2) | instskip(SKIP_2) | instid1(VALU_DEP_2)
	v_add_co_u32 v5, vcc_lo, 0, v13
	s_wait_dscnt 0x0
	s_wait_alu 0xfffd
	v_add_co_ci_u32_e64 v6, null, v14, v6, vcc_lo
.LBB1439_111:                           ;   in Loop: Header=BB1439_98 Depth=1
	s_wait_alu 0xfffe
	s_or_b32 exec_lo, exec_lo, s5
	s_wait_dscnt 0x0
	ds_bpermute_b32 v14, v25, v13
	ds_bpermute_b32 v13, v25, v6
	s_mov_b32 s5, exec_lo
	v_cmpx_le_u32_e64 v26, v8
	s_cbranch_execz .LBB1439_96
; %bb.112:                              ;   in Loop: Header=BB1439_98 Depth=1
	s_wait_dscnt 0x1
	v_add_co_u32 v5, vcc_lo, v5, v14
	s_wait_alu 0xfffd
	v_add_co_ci_u32_e64 v6, null, 0, v6, vcc_lo
	s_delay_alu instid0(VALU_DEP_2) | instskip(SKIP_2) | instid1(VALU_DEP_2)
	v_add_co_u32 v5, vcc_lo, v5, 0
	s_wait_dscnt 0x0
	s_wait_alu 0xfffd
	v_add_co_ci_u32_e64 v6, null, v6, v13, vcc_lo
	s_branch .LBB1439_96
.LBB1439_113:
                                        ; implicit-def: $vgpr39_vgpr40
                                        ; implicit-def: $vgpr1_vgpr2_vgpr3_vgpr4_vgpr5_vgpr6_vgpr7_vgpr8_vgpr9_vgpr10_vgpr11_vgpr12_vgpr13_vgpr14_vgpr15_vgpr16_vgpr17_vgpr18_vgpr19_vgpr20_vgpr21_vgpr22_vgpr23_vgpr24_vgpr25_vgpr26_vgpr27_vgpr28_vgpr29_vgpr30_vgpr31_vgpr32
	s_load_b64 s[4:5], s[0:1], 0x30
	s_and_b32 vcc_lo, exec_lo, s3
	s_wait_alu 0xfffe
	s_cbranch_vccnz .LBB1439_119
	s_branch .LBB1439_144
.LBB1439_114:
	s_and_saveexec_b32 s5, s3
	s_cbranch_execz .LBB1439_116
; %bb.115:
	s_add_co_i32 s12, ttmp9, 32
	s_mov_b32 s13, 0
	v_add_co_u32 v5, vcc_lo, v3, v1
	s_wait_alu 0xfffe
	s_lshl_b64 s[12:13], s[12:13], 4
	v_dual_mov_b32 v7, 2 :: v_dual_mov_b32 v8, 0
	s_wait_alu 0xfffe
	s_add_nc_u64 s[12:13], s[10:11], s[12:13]
	s_wait_alu 0xfffd
	v_add_co_ci_u32_e64 v6, null, v4, v2, vcc_lo
	s_wait_alu 0xfffe
	v_dual_mov_b32 v11, s12 :: v_dual_mov_b32 v12, s13
	;;#ASMSTART
	global_store_b128 v[11:12], v[5:8] off scope:SCOPE_DEV	
s_wait_storecnt 0x0
	;;#ASMEND
	ds_store_b128 v8, v[1:4] offset:6144
.LBB1439_116:
	s_wait_alu 0xfffe
	s_or_b32 exec_lo, exec_lo, s5
	v_cmp_eq_u32_e32 vcc_lo, 0, v0
	s_and_b32 exec_lo, exec_lo, vcc_lo
; %bb.117:
	v_mov_b32_e32 v1, 0
	ds_store_b64 v1, v[3:4] offset:56
.LBB1439_118:
	s_wait_alu 0xfffe
	s_or_b32 exec_lo, exec_lo, s4
	s_wait_dscnt 0x0
	v_cndmask_b32_e64 v4, v16, v10, s3
	v_cmp_ne_u32_e32 vcc_lo, 0, v0
	v_mov_b32_e32 v17, 0
	s_wait_loadcnt 0x0
	s_barrier_signal -1
	s_barrier_wait -1
	global_inv scope:SCOPE_SE
	s_wait_alu 0xfffd
	v_cndmask_b32_e32 v4, 0, v4, vcc_lo
	ds_load_b64 v[1:2], v17 offset:56
	v_cndmask_b32_e64 v3, v15, v9, s3
	s_wait_loadcnt_dscnt 0x0
	s_barrier_signal -1
	s_barrier_wait -1
	global_inv scope:SCOPE_SE
	v_cndmask_b32_e32 v3, 0, v3, vcc_lo
	ds_load_b128 v[37:40], v17 offset:6144
	v_add_co_u32 v1, vcc_lo, v1, v3
	s_wait_alu 0xfffd
	v_add_co_ci_u32_e64 v2, null, v2, v4, vcc_lo
	s_delay_alu instid0(VALU_DEP_2) | instskip(SKIP_1) | instid1(VALU_DEP_2)
	v_add_co_u32 v3, vcc_lo, v1, v53
	s_wait_alu 0xfffd
	v_add_co_ci_u32_e64 v4, null, 0, v2, vcc_lo
	s_delay_alu instid0(VALU_DEP_2) | instskip(SKIP_1) | instid1(VALU_DEP_2)
	;; [unrolled: 4-line block ×11, first 2 shown]
	v_add_co_u32 v23, vcc_lo, v21, v55
	s_wait_alu 0xfffd
	v_add_co_ci_u32_e64 v24, null, 0, v22, vcc_lo
	s_load_b64 s[4:5], s[0:1], 0x30
	s_branch .LBB1439_144
.LBB1439_119:
	v_dual_mov_b32 v2, 0 :: v_dual_mov_b32 v3, v45
	v_mov_b32_dpp v4, v45 row_shr:1 row_mask:0xf bank_mask:0xf
	s_delay_alu instid0(VALU_DEP_2)
	v_mov_b32_dpp v1, v2 row_shr:1 row_mask:0xf bank_mask:0xf
	s_and_saveexec_b32 s0, s2
; %bb.120:
	s_delay_alu instid0(VALU_DEP_2) | instskip(SKIP_2) | instid1(VALU_DEP_2)
	v_add_co_u32 v3, vcc_lo, v45, v4
	s_wait_alu 0xfffd
	v_add_co_ci_u32_e64 v2, null, 0, v46, vcc_lo
	v_add_co_u32 v45, vcc_lo, 0, v3
	s_wait_alu 0xfffd
	s_delay_alu instid0(VALU_DEP_2) | instskip(NEXT) | instid1(VALU_DEP_1)
	v_add_co_ci_u32_e64 v46, null, v1, v2, vcc_lo
	v_mov_b32_e32 v2, v46
; %bb.121:
	s_or_b32 exec_lo, exec_lo, s0
	v_mov_b32_dpp v1, v3 row_shr:2 row_mask:0xf bank_mask:0xf
	s_delay_alu instid0(VALU_DEP_2)
	v_mov_b32_dpp v4, v2 row_shr:2 row_mask:0xf bank_mask:0xf
	s_mov_b32 s0, exec_lo
	v_cmpx_lt_u32_e32 1, v62
; %bb.122:
	s_delay_alu instid0(VALU_DEP_3) | instskip(SKIP_2) | instid1(VALU_DEP_2)
	v_add_co_u32 v3, vcc_lo, v45, v1
	s_wait_alu 0xfffd
	v_add_co_ci_u32_e64 v2, null, 0, v46, vcc_lo
	v_add_co_u32 v1, vcc_lo, 0, v3
	s_wait_alu 0xfffd
	s_delay_alu instid0(VALU_DEP_2) | instskip(NEXT) | instid1(VALU_DEP_1)
	v_add_co_ci_u32_e64 v2, null, v4, v2, vcc_lo
	v_dual_mov_b32 v46, v2 :: v_dual_mov_b32 v45, v1
; %bb.123:
	s_or_b32 exec_lo, exec_lo, s0
	v_mov_b32_dpp v1, v3 row_shr:4 row_mask:0xf bank_mask:0xf
	v_mov_b32_dpp v4, v2 row_shr:4 row_mask:0xf bank_mask:0xf
	s_mov_b32 s0, exec_lo
	v_cmpx_lt_u32_e32 3, v62
; %bb.124:
	s_delay_alu instid0(VALU_DEP_3) | instskip(SKIP_2) | instid1(VALU_DEP_2)
	v_add_co_u32 v3, vcc_lo, v45, v1
	s_wait_alu 0xfffd
	v_add_co_ci_u32_e64 v2, null, 0, v46, vcc_lo
	v_add_co_u32 v1, vcc_lo, 0, v3
	s_wait_alu 0xfffd
	s_delay_alu instid0(VALU_DEP_2) | instskip(NEXT) | instid1(VALU_DEP_1)
	v_add_co_ci_u32_e64 v2, null, v4, v2, vcc_lo
	v_dual_mov_b32 v46, v2 :: v_dual_mov_b32 v45, v1
; %bb.125:
	s_or_b32 exec_lo, exec_lo, s0
	v_mov_b32_dpp v4, v3 row_shr:8 row_mask:0xf bank_mask:0xf
	v_mov_b32_dpp v1, v2 row_shr:8 row_mask:0xf bank_mask:0xf
	s_mov_b32 s0, exec_lo
	v_cmpx_lt_u32_e32 7, v62
; %bb.126:
	s_delay_alu instid0(VALU_DEP_3) | instskip(SKIP_2) | instid1(VALU_DEP_2)
	v_add_co_u32 v3, vcc_lo, v45, v4
	s_wait_alu 0xfffd
	v_add_co_ci_u32_e64 v2, null, 0, v46, vcc_lo
	v_add_co_u32 v45, vcc_lo, 0, v3
	s_wait_alu 0xfffd
	s_delay_alu instid0(VALU_DEP_2) | instskip(NEXT) | instid1(VALU_DEP_1)
	v_add_co_ci_u32_e64 v46, null, v1, v2, vcc_lo
	v_mov_b32_e32 v2, v46
; %bb.127:
	s_or_b32 exec_lo, exec_lo, s0
	ds_swizzle_b32 v3, v3 offset:swizzle(BROADCAST,32,15)
	ds_swizzle_b32 v1, v2 offset:swizzle(BROADCAST,32,15)
	v_and_b32_e32 v2, 16, v61
	s_mov_b32 s0, exec_lo
	s_delay_alu instid0(VALU_DEP_1)
	v_cmpx_ne_u32_e32 0, v2
	s_cbranch_execz .LBB1439_129
; %bb.128:
	s_wait_dscnt 0x1
	v_add_co_u32 v2, vcc_lo, v45, v3
	s_wait_alu 0xfffd
	v_add_co_ci_u32_e64 v3, null, 0, v46, vcc_lo
	s_delay_alu instid0(VALU_DEP_2) | instskip(SKIP_2) | instid1(VALU_DEP_2)
	v_add_co_u32 v45, vcc_lo, v2, 0
	s_wait_dscnt 0x0
	s_wait_alu 0xfffd
	v_add_co_ci_u32_e64 v46, null, v3, v1, vcc_lo
.LBB1439_129:
	s_or_b32 exec_lo, exec_lo, s0
	s_wait_dscnt 0x0
	v_or_b32_e32 v1, 31, v0
	v_lshrrev_b32_e32 v3, 5, v0
	s_mov_b32 s0, exec_lo
	s_delay_alu instid0(VALU_DEP_2)
	v_cmpx_eq_u32_e64 v0, v1
; %bb.130:
	s_delay_alu instid0(VALU_DEP_2)
	v_lshlrev_b32_e32 v1, 3, v3
	ds_store_b64 v1, v[45:46]
; %bb.131:
	s_or_b32 exec_lo, exec_lo, s0
	s_delay_alu instid0(SALU_CYCLE_1)
	s_mov_b32 s0, exec_lo
	s_wait_loadcnt_dscnt 0x0
	s_barrier_signal -1
	s_barrier_wait -1
	global_inv scope:SCOPE_SE
	v_cmpx_gt_u32_e32 8, v0
	s_cbranch_execz .LBB1439_139
; %bb.132:
	v_lshlrev_b32_e32 v4, 2, v0
	s_mov_b32 s1, exec_lo
	s_delay_alu instid0(VALU_DEP_1)
	v_sub_nc_u32_e32 v1, v51, v4
	ds_load_b64 v[1:2], v1
	s_wait_dscnt 0x0
	v_dual_mov_b32 v6, v1 :: v_dual_and_b32 v5, 7, v61
	v_mov_b32_dpp v8, v1 row_shr:1 row_mask:0xf bank_mask:0xf
	v_mov_b32_dpp v7, v2 row_shr:1 row_mask:0xf bank_mask:0xf
	s_delay_alu instid0(VALU_DEP_3)
	v_cmpx_ne_u32_e32 0, v5
; %bb.133:
	s_delay_alu instid0(VALU_DEP_3) | instskip(SKIP_2) | instid1(VALU_DEP_2)
	v_add_co_u32 v6, vcc_lo, v1, v8
	s_wait_alu 0xfffd
	v_add_co_ci_u32_e64 v2, null, 0, v2, vcc_lo
	v_add_co_u32 v1, vcc_lo, 0, v6
	s_wait_alu 0xfffd
	s_delay_alu instid0(VALU_DEP_2)
	v_add_co_ci_u32_e64 v2, null, v7, v2, vcc_lo
; %bb.134:
	s_or_b32 exec_lo, exec_lo, s1
	v_mov_b32_dpp v8, v6 row_shr:2 row_mask:0xf bank_mask:0xf
	s_delay_alu instid0(VALU_DEP_2)
	v_mov_b32_dpp v7, v2 row_shr:2 row_mask:0xf bank_mask:0xf
	s_mov_b32 s1, exec_lo
	v_cmpx_lt_u32_e32 1, v5
; %bb.135:
	s_delay_alu instid0(VALU_DEP_3) | instskip(SKIP_2) | instid1(VALU_DEP_2)
	v_add_co_u32 v6, vcc_lo, v1, v8
	s_wait_alu 0xfffd
	v_add_co_ci_u32_e64 v2, null, 0, v2, vcc_lo
	v_add_co_u32 v1, vcc_lo, 0, v6
	s_wait_alu 0xfffd
	s_delay_alu instid0(VALU_DEP_2)
	v_add_co_ci_u32_e64 v2, null, v7, v2, vcc_lo
; %bb.136:
	s_or_b32 exec_lo, exec_lo, s1
	v_sub_nc_u32_e32 v4, 0, v4
	v_mov_b32_dpp v7, v6 row_shr:4 row_mask:0xf bank_mask:0xf
	s_delay_alu instid0(VALU_DEP_3)
	v_mov_b32_dpp v6, v2 row_shr:4 row_mask:0xf bank_mask:0xf
	s_mov_b32 s1, exec_lo
	v_cmpx_lt_u32_e32 3, v5
; %bb.137:
	s_delay_alu instid0(VALU_DEP_3) | instskip(SKIP_2) | instid1(VALU_DEP_2)
	v_add_co_u32 v1, vcc_lo, v1, v7
	s_wait_alu 0xfffd
	v_add_co_ci_u32_e64 v2, null, 0, v2, vcc_lo
	v_add_co_u32 v1, vcc_lo, v1, 0
	s_wait_alu 0xfffd
	s_delay_alu instid0(VALU_DEP_2)
	v_add_co_ci_u32_e64 v2, null, v2, v6, vcc_lo
; %bb.138:
	s_or_b32 exec_lo, exec_lo, s1
	v_add_nc_u32_e32 v4, v51, v4
	ds_store_b64 v4, v[1:2]
.LBB1439_139:
	s_or_b32 exec_lo, exec_lo, s0
	v_mov_b32_e32 v1, 0
	v_mov_b32_e32 v2, 0
	s_mov_b32 s0, exec_lo
	s_wait_loadcnt_dscnt 0x0
	s_barrier_signal -1
	s_barrier_wait -1
	global_inv scope:SCOPE_SE
	v_cmpx_lt_u32_e32 31, v0
; %bb.140:
	v_lshl_add_u32 v1, v3, 3, -8
	ds_load_b64 v[1:2], v1
; %bb.141:
	s_or_b32 exec_lo, exec_lo, s0
	v_sub_co_u32 v3, vcc_lo, v61, 1
	v_mov_b32_e32 v40, 0
	s_delay_alu instid0(VALU_DEP_2) | instskip(SKIP_2) | instid1(VALU_DEP_1)
	v_cmp_gt_i32_e64 s0, 0, v3
	ds_load_b64 v[37:38], v40 offset:56
	v_cndmask_b32_e64 v3, v3, v61, s0
	v_lshlrev_b32_e32 v4, 2, v3
	s_wait_dscnt 0x1
	v_add_co_u32 v3, s0, v1, v45
	s_wait_alu 0xf1ff
	v_add_co_ci_u32_e64 v5, null, v2, v46, s0
	v_cmp_eq_u32_e64 s0, 0, v0
	ds_bpermute_b32 v3, v4, v3
	ds_bpermute_b32 v4, v4, v5
	s_and_saveexec_b32 s1, s0
	s_cbranch_execz .LBB1439_143
; %bb.142:
	s_wait_kmcnt 0x0
	s_add_nc_u64 s[2:3], s[10:11], 0x200
	s_wait_alu 0xfffe
	v_dual_mov_b32 v39, 2 :: v_dual_mov_b32 v6, s3
	v_mov_b32_e32 v5, s2
	s_wait_dscnt 0x2
	;;#ASMSTART
	global_store_b128 v[5:6], v[37:40] off scope:SCOPE_DEV	
s_wait_storecnt 0x0
	;;#ASMEND
.LBB1439_143:
	s_wait_alu 0xfffe
	s_or_b32 exec_lo, exec_lo, s1
	s_wait_dscnt 0x0
	s_wait_alu 0xfffd
	v_dual_cndmask_b32 v1, v3, v1 :: v_dual_cndmask_b32 v2, v4, v2
	v_mov_b32_e32 v39, 0
	v_mov_b32_e32 v40, 0
	s_wait_loadcnt 0x0
	s_delay_alu instid0(VALU_DEP_3)
	v_cndmask_b32_e64 v1, v1, 0, s0
	v_cndmask_b32_e64 v2, v2, 0, s0
	s_barrier_signal -1
	s_barrier_wait -1
	global_inv scope:SCOPE_SE
	v_add_co_u32 v3, vcc_lo, v1, v53
	s_wait_alu 0xfffd
	v_add_co_ci_u32_e64 v4, null, 0, v2, vcc_lo
	s_delay_alu instid0(VALU_DEP_2) | instskip(SKIP_1) | instid1(VALU_DEP_2)
	v_add_co_u32 v5, vcc_lo, v3, v54
	s_wait_alu 0xfffd
	v_add_co_ci_u32_e64 v6, null, 0, v4, vcc_lo
	s_delay_alu instid0(VALU_DEP_2) | instskip(SKIP_1) | instid1(VALU_DEP_2)
	;; [unrolled: 4-line block ×10, first 2 shown]
	v_add_co_u32 v23, vcc_lo, v21, v55
	s_wait_alu 0xfffd
	v_add_co_ci_u32_e64 v24, null, 0, v22, vcc_lo
.LBB1439_144:
	v_lshrrev_b32_e32 v54, 8, v43
	v_lshrrev_b32_e32 v52, 16, v43
	v_and_b32_e32 v43, 1, v43
	s_wait_dscnt 0x0
	v_cmp_gt_u64_e32 vcc_lo, 0x101, v[37:38]
	v_lshrrev_b32_e32 v45, 8, v44
	v_lshrrev_b32_e32 v32, 16, v44
	;; [unrolled: 1-line block ×10, first 2 shown]
	v_cmp_eq_u32_e64 s0, 1, v43
	s_mov_b32 s1, -1
	s_cbranch_vccnz .LBB1439_148
; %bb.145:
	s_wait_alu 0xfffe
	s_and_b32 vcc_lo, exec_lo, s1
	s_wait_alu 0xfffe
	s_cbranch_vccnz .LBB1439_173
.LBB1439_146:
	v_cmp_eq_u32_e32 vcc_lo, 0, v0
	s_and_b32 s0, vcc_lo, s16
	s_wait_alu 0xfffe
	s_and_saveexec_b32 s1, s0
	s_cbranch_execnz .LBB1439_200
.LBB1439_147:
	s_endpgm
.LBB1439_148:
	v_add_co_u32 v25, vcc_lo, v39, v37
	s_wait_alu 0xfffd
	v_add_co_ci_u32_e64 v26, null, v40, v38, vcc_lo
	s_lshl_b64 s[2:3], s[6:7], 1
	s_wait_kmcnt 0x0
	s_wait_alu 0xfffe
	s_add_nc_u64 s[2:3], s[4:5], s[2:3]
	v_cmp_lt_u64_e32 vcc_lo, v[1:2], v[25:26]
	s_or_b32 s1, s17, vcc_lo
	s_wait_alu 0xfffe
	s_and_b32 s1, s1, s0
	s_wait_alu 0xfffe
	s_and_saveexec_b32 s0, s1
	s_cbranch_execz .LBB1439_150
; %bb.149:
	v_lshlrev_b64_e32 v[55:56], 1, v[1:2]
	s_delay_alu instid0(VALU_DEP_1) | instskip(SKIP_1) | instid1(VALU_DEP_2)
	v_add_co_u32 v55, vcc_lo, s2, v55
	s_wait_alu 0xfffd
	v_add_co_ci_u32_e64 v56, null, s3, v56, vcc_lo
	global_store_b16 v[55:56], v33, off
.LBB1439_150:
	s_wait_alu 0xfffe
	s_or_b32 exec_lo, exec_lo, s0
	v_and_b32_e32 v2, 1, v54
	v_cmp_lt_u64_e32 vcc_lo, v[3:4], v[25:26]
	s_delay_alu instid0(VALU_DEP_2)
	v_cmp_eq_u32_e64 s0, 1, v2
	s_or_b32 s1, s17, vcc_lo
	s_wait_alu 0xfffe
	s_and_b32 s1, s1, s0
	s_wait_alu 0xfffe
	s_and_saveexec_b32 s0, s1
	s_cbranch_execz .LBB1439_152
; %bb.151:
	v_lshlrev_b64_e32 v[55:56], 1, v[3:4]
	s_delay_alu instid0(VALU_DEP_1) | instskip(SKIP_1) | instid1(VALU_DEP_2)
	v_add_co_u32 v55, vcc_lo, s2, v55
	s_wait_alu 0xfffd
	v_add_co_ci_u32_e64 v56, null, s3, v56, vcc_lo
	global_store_b16 v[55:56], v53, off
.LBB1439_152:
	s_wait_alu 0xfffe
	s_or_b32 exec_lo, exec_lo, s0
	v_and_b32_e32 v2, 1, v52
	v_cmp_lt_u64_e32 vcc_lo, v[5:6], v[25:26]
	s_delay_alu instid0(VALU_DEP_2)
	v_cmp_eq_u32_e64 s0, 1, v2
	;; [unrolled: 20-line block ×11, first 2 shown]
	s_or_b32 s1, s17, vcc_lo
	s_wait_alu 0xfffe
	s_and_b32 s1, s1, s0
	s_wait_alu 0xfffe
	s_and_saveexec_b32 s0, s1
	s_cbranch_execz .LBB1439_172
; %bb.171:
	v_lshlrev_b64_e32 v[24:25], 1, v[23:24]
	s_delay_alu instid0(VALU_DEP_1) | instskip(SKIP_1) | instid1(VALU_DEP_2)
	v_add_co_u32 v24, vcc_lo, s2, v24
	s_wait_alu 0xfffd
	v_add_co_ci_u32_e64 v25, null, s3, v25, vcc_lo
	global_store_b16 v[24:25], v27, off
.LBB1439_172:
	s_wait_alu 0xfffe
	s_or_b32 exec_lo, exec_lo, s0
	s_branch .LBB1439_146
.LBB1439_173:
	s_mov_b32 s0, exec_lo
	v_cmpx_eq_u32_e32 1, v43
; %bb.174:
	v_sub_nc_u32_e32 v1, v1, v39
	s_delay_alu instid0(VALU_DEP_1)
	v_lshlrev_b32_e32 v1, 1, v1
	ds_store_b16 v1, v33
; %bb.175:
	s_wait_alu 0xfffe
	s_or_b32 exec_lo, exec_lo, s0
	v_and_b32_e32 v1, 1, v54
	s_mov_b32 s0, exec_lo
	s_delay_alu instid0(VALU_DEP_1)
	v_cmpx_eq_u32_e32 1, v1
; %bb.176:
	v_sub_nc_u32_e32 v1, v3, v39
	s_delay_alu instid0(VALU_DEP_1)
	v_lshlrev_b32_e32 v1, 1, v1
	ds_store_b16 v1, v53
; %bb.177:
	s_wait_alu 0xfffe
	s_or_b32 exec_lo, exec_lo, s0
	v_and_b32_e32 v1, 1, v52
	s_mov_b32 s0, exec_lo
	s_delay_alu instid0(VALU_DEP_1)
	;; [unrolled: 12-line block ×11, first 2 shown]
	v_cmpx_eq_u32_e32 1, v1
; %bb.196:
	v_sub_nc_u32_e32 v1, v23, v39
	s_delay_alu instid0(VALU_DEP_1)
	v_lshlrev_b32_e32 v1, 1, v1
	ds_store_b16 v1, v27
; %bb.197:
	s_wait_alu 0xfffe
	s_or_b32 exec_lo, exec_lo, s0
	v_lshlrev_b64_e32 v[1:2], 1, v[39:40]
	v_mov_b32_e32 v3, 0
	s_lshl_b64 s[0:1], s[6:7], 1
	s_wait_storecnt 0x0
	s_wait_loadcnt_dscnt 0x0
	s_barrier_signal -1
	s_barrier_wait -1
	s_wait_kmcnt 0x0
	v_add_co_u32 v4, vcc_lo, s4, v1
	v_mov_b32_e32 v1, v3
	s_wait_alu 0xfffd
	v_add_co_ci_u32_e64 v2, null, s5, v2, vcc_lo
	s_wait_alu 0xfffe
	v_add_co_u32 v6, vcc_lo, v4, s0
	v_mov_b32_e32 v5, v1
	s_wait_alu 0xfffd
	v_add_co_ci_u32_e64 v7, null, s1, v2, vcc_lo
	v_or_b32_e32 v2, 0x100, v0
	v_mov_b32_e32 v4, v0
	s_mov_b32 s1, 0
	global_inv scope:SCOPE_SE
.LBB1439_198:                           ; =>This Inner Loop Header: Depth=1
	v_lshlrev_b32_e32 v1, 1, v4
	v_lshlrev_b64_e32 v[8:9], 1, v[4:5]
	v_dual_mov_b32 v5, v3 :: v_dual_mov_b32 v4, v2
	v_cmp_le_u64_e32 vcc_lo, v[37:38], v[2:3]
	ds_load_u16 v1, v1
	v_add_nc_u32_e32 v2, 0x100, v2
	v_add_co_u32 v8, s0, v6, v8
	s_wait_alu 0xf1ff
	v_add_co_ci_u32_e64 v9, null, v7, v9, s0
	s_wait_alu 0xfffe
	s_or_b32 s1, vcc_lo, s1
	s_wait_dscnt 0x0
	global_store_b16 v[8:9], v1, off
	s_wait_alu 0xfffe
	s_and_not1_b32 exec_lo, exec_lo, s1
	s_cbranch_execnz .LBB1439_198
; %bb.199:
	s_or_b32 exec_lo, exec_lo, s1
	v_cmp_eq_u32_e32 vcc_lo, 0, v0
	s_and_b32 s0, vcc_lo, s16
	s_wait_alu 0xfffe
	s_and_saveexec_b32 s1, s0
	s_cbranch_execz .LBB1439_147
.LBB1439_200:
	v_add_co_u32 v0, vcc_lo, v39, v37
	s_wait_alu 0xfffd
	v_add_co_ci_u32_e64 v1, null, v40, v38, vcc_lo
	v_mov_b32_e32 v2, 0
	s_delay_alu instid0(VALU_DEP_3) | instskip(SKIP_1) | instid1(VALU_DEP_3)
	v_add_co_u32 v0, vcc_lo, v0, s6
	s_wait_alu 0xfffd
	v_add_co_ci_u32_e64 v1, null, s7, v1, vcc_lo
	global_store_b64 v2, v[0:1], s[8:9]
	s_endpgm
	.section	.rodata,"a",@progbits
	.p2align	6, 0x0
	.amdhsa_kernel _ZN7rocprim17ROCPRIM_400000_NS6detail17trampoline_kernelINS0_14default_configENS1_25partition_config_selectorILNS1_17partition_subalgoE5EtNS0_10empty_typeEbEEZZNS1_14partition_implILS5_5ELb0ES3_mN6thrust23THRUST_200600_302600_NS6detail15normal_iteratorINSA_10device_ptrItEEEEPS6_NSA_18transform_iteratorINSB_9not_fun_tI7is_trueItEEESF_NSA_11use_defaultESM_EENS0_5tupleIJSF_S6_EEENSO_IJSG_SG_EEES6_PlJS6_EEE10hipError_tPvRmT3_T4_T5_T6_T7_T9_mT8_P12ihipStream_tbDpT10_ENKUlT_T0_E_clISt17integral_constantIbLb0EES1B_EEDaS16_S17_EUlS16_E_NS1_11comp_targetILNS1_3genE10ELNS1_11target_archE1200ELNS1_3gpuE4ELNS1_3repE0EEENS1_30default_config_static_selectorELNS0_4arch9wavefront6targetE0EEEvT1_
		.amdhsa_group_segment_fixed_size 6160
		.amdhsa_private_segment_fixed_size 0
		.amdhsa_kernarg_size 120
		.amdhsa_user_sgpr_count 2
		.amdhsa_user_sgpr_dispatch_ptr 0
		.amdhsa_user_sgpr_queue_ptr 0
		.amdhsa_user_sgpr_kernarg_segment_ptr 1
		.amdhsa_user_sgpr_dispatch_id 0
		.amdhsa_user_sgpr_private_segment_size 0
		.amdhsa_wavefront_size32 1
		.amdhsa_uses_dynamic_stack 0
		.amdhsa_enable_private_segment 0
		.amdhsa_system_sgpr_workgroup_id_x 1
		.amdhsa_system_sgpr_workgroup_id_y 0
		.amdhsa_system_sgpr_workgroup_id_z 0
		.amdhsa_system_sgpr_workgroup_info 0
		.amdhsa_system_vgpr_workitem_id 0
		.amdhsa_next_free_vgpr 63
		.amdhsa_next_free_sgpr 22
		.amdhsa_reserve_vcc 1
		.amdhsa_float_round_mode_32 0
		.amdhsa_float_round_mode_16_64 0
		.amdhsa_float_denorm_mode_32 3
		.amdhsa_float_denorm_mode_16_64 3
		.amdhsa_fp16_overflow 0
		.amdhsa_workgroup_processor_mode 1
		.amdhsa_memory_ordered 1
		.amdhsa_forward_progress 1
		.amdhsa_inst_pref_size 82
		.amdhsa_round_robin_scheduling 0
		.amdhsa_exception_fp_ieee_invalid_op 0
		.amdhsa_exception_fp_denorm_src 0
		.amdhsa_exception_fp_ieee_div_zero 0
		.amdhsa_exception_fp_ieee_overflow 0
		.amdhsa_exception_fp_ieee_underflow 0
		.amdhsa_exception_fp_ieee_inexact 0
		.amdhsa_exception_int_div_zero 0
	.end_amdhsa_kernel
	.section	.text._ZN7rocprim17ROCPRIM_400000_NS6detail17trampoline_kernelINS0_14default_configENS1_25partition_config_selectorILNS1_17partition_subalgoE5EtNS0_10empty_typeEbEEZZNS1_14partition_implILS5_5ELb0ES3_mN6thrust23THRUST_200600_302600_NS6detail15normal_iteratorINSA_10device_ptrItEEEEPS6_NSA_18transform_iteratorINSB_9not_fun_tI7is_trueItEEESF_NSA_11use_defaultESM_EENS0_5tupleIJSF_S6_EEENSO_IJSG_SG_EEES6_PlJS6_EEE10hipError_tPvRmT3_T4_T5_T6_T7_T9_mT8_P12ihipStream_tbDpT10_ENKUlT_T0_E_clISt17integral_constantIbLb0EES1B_EEDaS16_S17_EUlS16_E_NS1_11comp_targetILNS1_3genE10ELNS1_11target_archE1200ELNS1_3gpuE4ELNS1_3repE0EEENS1_30default_config_static_selectorELNS0_4arch9wavefront6targetE0EEEvT1_,"axG",@progbits,_ZN7rocprim17ROCPRIM_400000_NS6detail17trampoline_kernelINS0_14default_configENS1_25partition_config_selectorILNS1_17partition_subalgoE5EtNS0_10empty_typeEbEEZZNS1_14partition_implILS5_5ELb0ES3_mN6thrust23THRUST_200600_302600_NS6detail15normal_iteratorINSA_10device_ptrItEEEEPS6_NSA_18transform_iteratorINSB_9not_fun_tI7is_trueItEEESF_NSA_11use_defaultESM_EENS0_5tupleIJSF_S6_EEENSO_IJSG_SG_EEES6_PlJS6_EEE10hipError_tPvRmT3_T4_T5_T6_T7_T9_mT8_P12ihipStream_tbDpT10_ENKUlT_T0_E_clISt17integral_constantIbLb0EES1B_EEDaS16_S17_EUlS16_E_NS1_11comp_targetILNS1_3genE10ELNS1_11target_archE1200ELNS1_3gpuE4ELNS1_3repE0EEENS1_30default_config_static_selectorELNS0_4arch9wavefront6targetE0EEEvT1_,comdat
.Lfunc_end1439:
	.size	_ZN7rocprim17ROCPRIM_400000_NS6detail17trampoline_kernelINS0_14default_configENS1_25partition_config_selectorILNS1_17partition_subalgoE5EtNS0_10empty_typeEbEEZZNS1_14partition_implILS5_5ELb0ES3_mN6thrust23THRUST_200600_302600_NS6detail15normal_iteratorINSA_10device_ptrItEEEEPS6_NSA_18transform_iteratorINSB_9not_fun_tI7is_trueItEEESF_NSA_11use_defaultESM_EENS0_5tupleIJSF_S6_EEENSO_IJSG_SG_EEES6_PlJS6_EEE10hipError_tPvRmT3_T4_T5_T6_T7_T9_mT8_P12ihipStream_tbDpT10_ENKUlT_T0_E_clISt17integral_constantIbLb0EES1B_EEDaS16_S17_EUlS16_E_NS1_11comp_targetILNS1_3genE10ELNS1_11target_archE1200ELNS1_3gpuE4ELNS1_3repE0EEENS1_30default_config_static_selectorELNS0_4arch9wavefront6targetE0EEEvT1_, .Lfunc_end1439-_ZN7rocprim17ROCPRIM_400000_NS6detail17trampoline_kernelINS0_14default_configENS1_25partition_config_selectorILNS1_17partition_subalgoE5EtNS0_10empty_typeEbEEZZNS1_14partition_implILS5_5ELb0ES3_mN6thrust23THRUST_200600_302600_NS6detail15normal_iteratorINSA_10device_ptrItEEEEPS6_NSA_18transform_iteratorINSB_9not_fun_tI7is_trueItEEESF_NSA_11use_defaultESM_EENS0_5tupleIJSF_S6_EEENSO_IJSG_SG_EEES6_PlJS6_EEE10hipError_tPvRmT3_T4_T5_T6_T7_T9_mT8_P12ihipStream_tbDpT10_ENKUlT_T0_E_clISt17integral_constantIbLb0EES1B_EEDaS16_S17_EUlS16_E_NS1_11comp_targetILNS1_3genE10ELNS1_11target_archE1200ELNS1_3gpuE4ELNS1_3repE0EEENS1_30default_config_static_selectorELNS0_4arch9wavefront6targetE0EEEvT1_
                                        ; -- End function
	.set _ZN7rocprim17ROCPRIM_400000_NS6detail17trampoline_kernelINS0_14default_configENS1_25partition_config_selectorILNS1_17partition_subalgoE5EtNS0_10empty_typeEbEEZZNS1_14partition_implILS5_5ELb0ES3_mN6thrust23THRUST_200600_302600_NS6detail15normal_iteratorINSA_10device_ptrItEEEEPS6_NSA_18transform_iteratorINSB_9not_fun_tI7is_trueItEEESF_NSA_11use_defaultESM_EENS0_5tupleIJSF_S6_EEENSO_IJSG_SG_EEES6_PlJS6_EEE10hipError_tPvRmT3_T4_T5_T6_T7_T9_mT8_P12ihipStream_tbDpT10_ENKUlT_T0_E_clISt17integral_constantIbLb0EES1B_EEDaS16_S17_EUlS16_E_NS1_11comp_targetILNS1_3genE10ELNS1_11target_archE1200ELNS1_3gpuE4ELNS1_3repE0EEENS1_30default_config_static_selectorELNS0_4arch9wavefront6targetE0EEEvT1_.num_vgpr, 63
	.set _ZN7rocprim17ROCPRIM_400000_NS6detail17trampoline_kernelINS0_14default_configENS1_25partition_config_selectorILNS1_17partition_subalgoE5EtNS0_10empty_typeEbEEZZNS1_14partition_implILS5_5ELb0ES3_mN6thrust23THRUST_200600_302600_NS6detail15normal_iteratorINSA_10device_ptrItEEEEPS6_NSA_18transform_iteratorINSB_9not_fun_tI7is_trueItEEESF_NSA_11use_defaultESM_EENS0_5tupleIJSF_S6_EEENSO_IJSG_SG_EEES6_PlJS6_EEE10hipError_tPvRmT3_T4_T5_T6_T7_T9_mT8_P12ihipStream_tbDpT10_ENKUlT_T0_E_clISt17integral_constantIbLb0EES1B_EEDaS16_S17_EUlS16_E_NS1_11comp_targetILNS1_3genE10ELNS1_11target_archE1200ELNS1_3gpuE4ELNS1_3repE0EEENS1_30default_config_static_selectorELNS0_4arch9wavefront6targetE0EEEvT1_.num_agpr, 0
	.set _ZN7rocprim17ROCPRIM_400000_NS6detail17trampoline_kernelINS0_14default_configENS1_25partition_config_selectorILNS1_17partition_subalgoE5EtNS0_10empty_typeEbEEZZNS1_14partition_implILS5_5ELb0ES3_mN6thrust23THRUST_200600_302600_NS6detail15normal_iteratorINSA_10device_ptrItEEEEPS6_NSA_18transform_iteratorINSB_9not_fun_tI7is_trueItEEESF_NSA_11use_defaultESM_EENS0_5tupleIJSF_S6_EEENSO_IJSG_SG_EEES6_PlJS6_EEE10hipError_tPvRmT3_T4_T5_T6_T7_T9_mT8_P12ihipStream_tbDpT10_ENKUlT_T0_E_clISt17integral_constantIbLb0EES1B_EEDaS16_S17_EUlS16_E_NS1_11comp_targetILNS1_3genE10ELNS1_11target_archE1200ELNS1_3gpuE4ELNS1_3repE0EEENS1_30default_config_static_selectorELNS0_4arch9wavefront6targetE0EEEvT1_.numbered_sgpr, 22
	.set _ZN7rocprim17ROCPRIM_400000_NS6detail17trampoline_kernelINS0_14default_configENS1_25partition_config_selectorILNS1_17partition_subalgoE5EtNS0_10empty_typeEbEEZZNS1_14partition_implILS5_5ELb0ES3_mN6thrust23THRUST_200600_302600_NS6detail15normal_iteratorINSA_10device_ptrItEEEEPS6_NSA_18transform_iteratorINSB_9not_fun_tI7is_trueItEEESF_NSA_11use_defaultESM_EENS0_5tupleIJSF_S6_EEENSO_IJSG_SG_EEES6_PlJS6_EEE10hipError_tPvRmT3_T4_T5_T6_T7_T9_mT8_P12ihipStream_tbDpT10_ENKUlT_T0_E_clISt17integral_constantIbLb0EES1B_EEDaS16_S17_EUlS16_E_NS1_11comp_targetILNS1_3genE10ELNS1_11target_archE1200ELNS1_3gpuE4ELNS1_3repE0EEENS1_30default_config_static_selectorELNS0_4arch9wavefront6targetE0EEEvT1_.num_named_barrier, 0
	.set _ZN7rocprim17ROCPRIM_400000_NS6detail17trampoline_kernelINS0_14default_configENS1_25partition_config_selectorILNS1_17partition_subalgoE5EtNS0_10empty_typeEbEEZZNS1_14partition_implILS5_5ELb0ES3_mN6thrust23THRUST_200600_302600_NS6detail15normal_iteratorINSA_10device_ptrItEEEEPS6_NSA_18transform_iteratorINSB_9not_fun_tI7is_trueItEEESF_NSA_11use_defaultESM_EENS0_5tupleIJSF_S6_EEENSO_IJSG_SG_EEES6_PlJS6_EEE10hipError_tPvRmT3_T4_T5_T6_T7_T9_mT8_P12ihipStream_tbDpT10_ENKUlT_T0_E_clISt17integral_constantIbLb0EES1B_EEDaS16_S17_EUlS16_E_NS1_11comp_targetILNS1_3genE10ELNS1_11target_archE1200ELNS1_3gpuE4ELNS1_3repE0EEENS1_30default_config_static_selectorELNS0_4arch9wavefront6targetE0EEEvT1_.private_seg_size, 0
	.set _ZN7rocprim17ROCPRIM_400000_NS6detail17trampoline_kernelINS0_14default_configENS1_25partition_config_selectorILNS1_17partition_subalgoE5EtNS0_10empty_typeEbEEZZNS1_14partition_implILS5_5ELb0ES3_mN6thrust23THRUST_200600_302600_NS6detail15normal_iteratorINSA_10device_ptrItEEEEPS6_NSA_18transform_iteratorINSB_9not_fun_tI7is_trueItEEESF_NSA_11use_defaultESM_EENS0_5tupleIJSF_S6_EEENSO_IJSG_SG_EEES6_PlJS6_EEE10hipError_tPvRmT3_T4_T5_T6_T7_T9_mT8_P12ihipStream_tbDpT10_ENKUlT_T0_E_clISt17integral_constantIbLb0EES1B_EEDaS16_S17_EUlS16_E_NS1_11comp_targetILNS1_3genE10ELNS1_11target_archE1200ELNS1_3gpuE4ELNS1_3repE0EEENS1_30default_config_static_selectorELNS0_4arch9wavefront6targetE0EEEvT1_.uses_vcc, 1
	.set _ZN7rocprim17ROCPRIM_400000_NS6detail17trampoline_kernelINS0_14default_configENS1_25partition_config_selectorILNS1_17partition_subalgoE5EtNS0_10empty_typeEbEEZZNS1_14partition_implILS5_5ELb0ES3_mN6thrust23THRUST_200600_302600_NS6detail15normal_iteratorINSA_10device_ptrItEEEEPS6_NSA_18transform_iteratorINSB_9not_fun_tI7is_trueItEEESF_NSA_11use_defaultESM_EENS0_5tupleIJSF_S6_EEENSO_IJSG_SG_EEES6_PlJS6_EEE10hipError_tPvRmT3_T4_T5_T6_T7_T9_mT8_P12ihipStream_tbDpT10_ENKUlT_T0_E_clISt17integral_constantIbLb0EES1B_EEDaS16_S17_EUlS16_E_NS1_11comp_targetILNS1_3genE10ELNS1_11target_archE1200ELNS1_3gpuE4ELNS1_3repE0EEENS1_30default_config_static_selectorELNS0_4arch9wavefront6targetE0EEEvT1_.uses_flat_scratch, 1
	.set _ZN7rocprim17ROCPRIM_400000_NS6detail17trampoline_kernelINS0_14default_configENS1_25partition_config_selectorILNS1_17partition_subalgoE5EtNS0_10empty_typeEbEEZZNS1_14partition_implILS5_5ELb0ES3_mN6thrust23THRUST_200600_302600_NS6detail15normal_iteratorINSA_10device_ptrItEEEEPS6_NSA_18transform_iteratorINSB_9not_fun_tI7is_trueItEEESF_NSA_11use_defaultESM_EENS0_5tupleIJSF_S6_EEENSO_IJSG_SG_EEES6_PlJS6_EEE10hipError_tPvRmT3_T4_T5_T6_T7_T9_mT8_P12ihipStream_tbDpT10_ENKUlT_T0_E_clISt17integral_constantIbLb0EES1B_EEDaS16_S17_EUlS16_E_NS1_11comp_targetILNS1_3genE10ELNS1_11target_archE1200ELNS1_3gpuE4ELNS1_3repE0EEENS1_30default_config_static_selectorELNS0_4arch9wavefront6targetE0EEEvT1_.has_dyn_sized_stack, 0
	.set _ZN7rocprim17ROCPRIM_400000_NS6detail17trampoline_kernelINS0_14default_configENS1_25partition_config_selectorILNS1_17partition_subalgoE5EtNS0_10empty_typeEbEEZZNS1_14partition_implILS5_5ELb0ES3_mN6thrust23THRUST_200600_302600_NS6detail15normal_iteratorINSA_10device_ptrItEEEEPS6_NSA_18transform_iteratorINSB_9not_fun_tI7is_trueItEEESF_NSA_11use_defaultESM_EENS0_5tupleIJSF_S6_EEENSO_IJSG_SG_EEES6_PlJS6_EEE10hipError_tPvRmT3_T4_T5_T6_T7_T9_mT8_P12ihipStream_tbDpT10_ENKUlT_T0_E_clISt17integral_constantIbLb0EES1B_EEDaS16_S17_EUlS16_E_NS1_11comp_targetILNS1_3genE10ELNS1_11target_archE1200ELNS1_3gpuE4ELNS1_3repE0EEENS1_30default_config_static_selectorELNS0_4arch9wavefront6targetE0EEEvT1_.has_recursion, 0
	.set _ZN7rocprim17ROCPRIM_400000_NS6detail17trampoline_kernelINS0_14default_configENS1_25partition_config_selectorILNS1_17partition_subalgoE5EtNS0_10empty_typeEbEEZZNS1_14partition_implILS5_5ELb0ES3_mN6thrust23THRUST_200600_302600_NS6detail15normal_iteratorINSA_10device_ptrItEEEEPS6_NSA_18transform_iteratorINSB_9not_fun_tI7is_trueItEEESF_NSA_11use_defaultESM_EENS0_5tupleIJSF_S6_EEENSO_IJSG_SG_EEES6_PlJS6_EEE10hipError_tPvRmT3_T4_T5_T6_T7_T9_mT8_P12ihipStream_tbDpT10_ENKUlT_T0_E_clISt17integral_constantIbLb0EES1B_EEDaS16_S17_EUlS16_E_NS1_11comp_targetILNS1_3genE10ELNS1_11target_archE1200ELNS1_3gpuE4ELNS1_3repE0EEENS1_30default_config_static_selectorELNS0_4arch9wavefront6targetE0EEEvT1_.has_indirect_call, 0
	.section	.AMDGPU.csdata,"",@progbits
; Kernel info:
; codeLenInByte = 10460
; TotalNumSgprs: 24
; NumVgprs: 63
; ScratchSize: 0
; MemoryBound: 0
; FloatMode: 240
; IeeeMode: 1
; LDSByteSize: 6160 bytes/workgroup (compile time only)
; SGPRBlocks: 0
; VGPRBlocks: 7
; NumSGPRsForWavesPerEU: 24
; NumVGPRsForWavesPerEU: 63
; Occupancy: 16
; WaveLimiterHint : 1
; COMPUTE_PGM_RSRC2:SCRATCH_EN: 0
; COMPUTE_PGM_RSRC2:USER_SGPR: 2
; COMPUTE_PGM_RSRC2:TRAP_HANDLER: 0
; COMPUTE_PGM_RSRC2:TGID_X_EN: 1
; COMPUTE_PGM_RSRC2:TGID_Y_EN: 0
; COMPUTE_PGM_RSRC2:TGID_Z_EN: 0
; COMPUTE_PGM_RSRC2:TIDIG_COMP_CNT: 0
	.section	.text._ZN7rocprim17ROCPRIM_400000_NS6detail17trampoline_kernelINS0_14default_configENS1_25partition_config_selectorILNS1_17partition_subalgoE5EtNS0_10empty_typeEbEEZZNS1_14partition_implILS5_5ELb0ES3_mN6thrust23THRUST_200600_302600_NS6detail15normal_iteratorINSA_10device_ptrItEEEEPS6_NSA_18transform_iteratorINSB_9not_fun_tI7is_trueItEEESF_NSA_11use_defaultESM_EENS0_5tupleIJSF_S6_EEENSO_IJSG_SG_EEES6_PlJS6_EEE10hipError_tPvRmT3_T4_T5_T6_T7_T9_mT8_P12ihipStream_tbDpT10_ENKUlT_T0_E_clISt17integral_constantIbLb0EES1B_EEDaS16_S17_EUlS16_E_NS1_11comp_targetILNS1_3genE9ELNS1_11target_archE1100ELNS1_3gpuE3ELNS1_3repE0EEENS1_30default_config_static_selectorELNS0_4arch9wavefront6targetE0EEEvT1_,"axG",@progbits,_ZN7rocprim17ROCPRIM_400000_NS6detail17trampoline_kernelINS0_14default_configENS1_25partition_config_selectorILNS1_17partition_subalgoE5EtNS0_10empty_typeEbEEZZNS1_14partition_implILS5_5ELb0ES3_mN6thrust23THRUST_200600_302600_NS6detail15normal_iteratorINSA_10device_ptrItEEEEPS6_NSA_18transform_iteratorINSB_9not_fun_tI7is_trueItEEESF_NSA_11use_defaultESM_EENS0_5tupleIJSF_S6_EEENSO_IJSG_SG_EEES6_PlJS6_EEE10hipError_tPvRmT3_T4_T5_T6_T7_T9_mT8_P12ihipStream_tbDpT10_ENKUlT_T0_E_clISt17integral_constantIbLb0EES1B_EEDaS16_S17_EUlS16_E_NS1_11comp_targetILNS1_3genE9ELNS1_11target_archE1100ELNS1_3gpuE3ELNS1_3repE0EEENS1_30default_config_static_selectorELNS0_4arch9wavefront6targetE0EEEvT1_,comdat
	.protected	_ZN7rocprim17ROCPRIM_400000_NS6detail17trampoline_kernelINS0_14default_configENS1_25partition_config_selectorILNS1_17partition_subalgoE5EtNS0_10empty_typeEbEEZZNS1_14partition_implILS5_5ELb0ES3_mN6thrust23THRUST_200600_302600_NS6detail15normal_iteratorINSA_10device_ptrItEEEEPS6_NSA_18transform_iteratorINSB_9not_fun_tI7is_trueItEEESF_NSA_11use_defaultESM_EENS0_5tupleIJSF_S6_EEENSO_IJSG_SG_EEES6_PlJS6_EEE10hipError_tPvRmT3_T4_T5_T6_T7_T9_mT8_P12ihipStream_tbDpT10_ENKUlT_T0_E_clISt17integral_constantIbLb0EES1B_EEDaS16_S17_EUlS16_E_NS1_11comp_targetILNS1_3genE9ELNS1_11target_archE1100ELNS1_3gpuE3ELNS1_3repE0EEENS1_30default_config_static_selectorELNS0_4arch9wavefront6targetE0EEEvT1_ ; -- Begin function _ZN7rocprim17ROCPRIM_400000_NS6detail17trampoline_kernelINS0_14default_configENS1_25partition_config_selectorILNS1_17partition_subalgoE5EtNS0_10empty_typeEbEEZZNS1_14partition_implILS5_5ELb0ES3_mN6thrust23THRUST_200600_302600_NS6detail15normal_iteratorINSA_10device_ptrItEEEEPS6_NSA_18transform_iteratorINSB_9not_fun_tI7is_trueItEEESF_NSA_11use_defaultESM_EENS0_5tupleIJSF_S6_EEENSO_IJSG_SG_EEES6_PlJS6_EEE10hipError_tPvRmT3_T4_T5_T6_T7_T9_mT8_P12ihipStream_tbDpT10_ENKUlT_T0_E_clISt17integral_constantIbLb0EES1B_EEDaS16_S17_EUlS16_E_NS1_11comp_targetILNS1_3genE9ELNS1_11target_archE1100ELNS1_3gpuE3ELNS1_3repE0EEENS1_30default_config_static_selectorELNS0_4arch9wavefront6targetE0EEEvT1_
	.globl	_ZN7rocprim17ROCPRIM_400000_NS6detail17trampoline_kernelINS0_14default_configENS1_25partition_config_selectorILNS1_17partition_subalgoE5EtNS0_10empty_typeEbEEZZNS1_14partition_implILS5_5ELb0ES3_mN6thrust23THRUST_200600_302600_NS6detail15normal_iteratorINSA_10device_ptrItEEEEPS6_NSA_18transform_iteratorINSB_9not_fun_tI7is_trueItEEESF_NSA_11use_defaultESM_EENS0_5tupleIJSF_S6_EEENSO_IJSG_SG_EEES6_PlJS6_EEE10hipError_tPvRmT3_T4_T5_T6_T7_T9_mT8_P12ihipStream_tbDpT10_ENKUlT_T0_E_clISt17integral_constantIbLb0EES1B_EEDaS16_S17_EUlS16_E_NS1_11comp_targetILNS1_3genE9ELNS1_11target_archE1100ELNS1_3gpuE3ELNS1_3repE0EEENS1_30default_config_static_selectorELNS0_4arch9wavefront6targetE0EEEvT1_
	.p2align	8
	.type	_ZN7rocprim17ROCPRIM_400000_NS6detail17trampoline_kernelINS0_14default_configENS1_25partition_config_selectorILNS1_17partition_subalgoE5EtNS0_10empty_typeEbEEZZNS1_14partition_implILS5_5ELb0ES3_mN6thrust23THRUST_200600_302600_NS6detail15normal_iteratorINSA_10device_ptrItEEEEPS6_NSA_18transform_iteratorINSB_9not_fun_tI7is_trueItEEESF_NSA_11use_defaultESM_EENS0_5tupleIJSF_S6_EEENSO_IJSG_SG_EEES6_PlJS6_EEE10hipError_tPvRmT3_T4_T5_T6_T7_T9_mT8_P12ihipStream_tbDpT10_ENKUlT_T0_E_clISt17integral_constantIbLb0EES1B_EEDaS16_S17_EUlS16_E_NS1_11comp_targetILNS1_3genE9ELNS1_11target_archE1100ELNS1_3gpuE3ELNS1_3repE0EEENS1_30default_config_static_selectorELNS0_4arch9wavefront6targetE0EEEvT1_,@function
_ZN7rocprim17ROCPRIM_400000_NS6detail17trampoline_kernelINS0_14default_configENS1_25partition_config_selectorILNS1_17partition_subalgoE5EtNS0_10empty_typeEbEEZZNS1_14partition_implILS5_5ELb0ES3_mN6thrust23THRUST_200600_302600_NS6detail15normal_iteratorINSA_10device_ptrItEEEEPS6_NSA_18transform_iteratorINSB_9not_fun_tI7is_trueItEEESF_NSA_11use_defaultESM_EENS0_5tupleIJSF_S6_EEENSO_IJSG_SG_EEES6_PlJS6_EEE10hipError_tPvRmT3_T4_T5_T6_T7_T9_mT8_P12ihipStream_tbDpT10_ENKUlT_T0_E_clISt17integral_constantIbLb0EES1B_EEDaS16_S17_EUlS16_E_NS1_11comp_targetILNS1_3genE9ELNS1_11target_archE1100ELNS1_3gpuE3ELNS1_3repE0EEENS1_30default_config_static_selectorELNS0_4arch9wavefront6targetE0EEEvT1_: ; @_ZN7rocprim17ROCPRIM_400000_NS6detail17trampoline_kernelINS0_14default_configENS1_25partition_config_selectorILNS1_17partition_subalgoE5EtNS0_10empty_typeEbEEZZNS1_14partition_implILS5_5ELb0ES3_mN6thrust23THRUST_200600_302600_NS6detail15normal_iteratorINSA_10device_ptrItEEEEPS6_NSA_18transform_iteratorINSB_9not_fun_tI7is_trueItEEESF_NSA_11use_defaultESM_EENS0_5tupleIJSF_S6_EEENSO_IJSG_SG_EEES6_PlJS6_EEE10hipError_tPvRmT3_T4_T5_T6_T7_T9_mT8_P12ihipStream_tbDpT10_ENKUlT_T0_E_clISt17integral_constantIbLb0EES1B_EEDaS16_S17_EUlS16_E_NS1_11comp_targetILNS1_3genE9ELNS1_11target_archE1100ELNS1_3gpuE3ELNS1_3repE0EEENS1_30default_config_static_selectorELNS0_4arch9wavefront6targetE0EEEvT1_
; %bb.0:
	.section	.rodata,"a",@progbits
	.p2align	6, 0x0
	.amdhsa_kernel _ZN7rocprim17ROCPRIM_400000_NS6detail17trampoline_kernelINS0_14default_configENS1_25partition_config_selectorILNS1_17partition_subalgoE5EtNS0_10empty_typeEbEEZZNS1_14partition_implILS5_5ELb0ES3_mN6thrust23THRUST_200600_302600_NS6detail15normal_iteratorINSA_10device_ptrItEEEEPS6_NSA_18transform_iteratorINSB_9not_fun_tI7is_trueItEEESF_NSA_11use_defaultESM_EENS0_5tupleIJSF_S6_EEENSO_IJSG_SG_EEES6_PlJS6_EEE10hipError_tPvRmT3_T4_T5_T6_T7_T9_mT8_P12ihipStream_tbDpT10_ENKUlT_T0_E_clISt17integral_constantIbLb0EES1B_EEDaS16_S17_EUlS16_E_NS1_11comp_targetILNS1_3genE9ELNS1_11target_archE1100ELNS1_3gpuE3ELNS1_3repE0EEENS1_30default_config_static_selectorELNS0_4arch9wavefront6targetE0EEEvT1_
		.amdhsa_group_segment_fixed_size 0
		.amdhsa_private_segment_fixed_size 0
		.amdhsa_kernarg_size 120
		.amdhsa_user_sgpr_count 2
		.amdhsa_user_sgpr_dispatch_ptr 0
		.amdhsa_user_sgpr_queue_ptr 0
		.amdhsa_user_sgpr_kernarg_segment_ptr 1
		.amdhsa_user_sgpr_dispatch_id 0
		.amdhsa_user_sgpr_private_segment_size 0
		.amdhsa_wavefront_size32 1
		.amdhsa_uses_dynamic_stack 0
		.amdhsa_enable_private_segment 0
		.amdhsa_system_sgpr_workgroup_id_x 1
		.amdhsa_system_sgpr_workgroup_id_y 0
		.amdhsa_system_sgpr_workgroup_id_z 0
		.amdhsa_system_sgpr_workgroup_info 0
		.amdhsa_system_vgpr_workitem_id 0
		.amdhsa_next_free_vgpr 1
		.amdhsa_next_free_sgpr 1
		.amdhsa_reserve_vcc 0
		.amdhsa_float_round_mode_32 0
		.amdhsa_float_round_mode_16_64 0
		.amdhsa_float_denorm_mode_32 3
		.amdhsa_float_denorm_mode_16_64 3
		.amdhsa_fp16_overflow 0
		.amdhsa_workgroup_processor_mode 1
		.amdhsa_memory_ordered 1
		.amdhsa_forward_progress 1
		.amdhsa_inst_pref_size 0
		.amdhsa_round_robin_scheduling 0
		.amdhsa_exception_fp_ieee_invalid_op 0
		.amdhsa_exception_fp_denorm_src 0
		.amdhsa_exception_fp_ieee_div_zero 0
		.amdhsa_exception_fp_ieee_overflow 0
		.amdhsa_exception_fp_ieee_underflow 0
		.amdhsa_exception_fp_ieee_inexact 0
		.amdhsa_exception_int_div_zero 0
	.end_amdhsa_kernel
	.section	.text._ZN7rocprim17ROCPRIM_400000_NS6detail17trampoline_kernelINS0_14default_configENS1_25partition_config_selectorILNS1_17partition_subalgoE5EtNS0_10empty_typeEbEEZZNS1_14partition_implILS5_5ELb0ES3_mN6thrust23THRUST_200600_302600_NS6detail15normal_iteratorINSA_10device_ptrItEEEEPS6_NSA_18transform_iteratorINSB_9not_fun_tI7is_trueItEEESF_NSA_11use_defaultESM_EENS0_5tupleIJSF_S6_EEENSO_IJSG_SG_EEES6_PlJS6_EEE10hipError_tPvRmT3_T4_T5_T6_T7_T9_mT8_P12ihipStream_tbDpT10_ENKUlT_T0_E_clISt17integral_constantIbLb0EES1B_EEDaS16_S17_EUlS16_E_NS1_11comp_targetILNS1_3genE9ELNS1_11target_archE1100ELNS1_3gpuE3ELNS1_3repE0EEENS1_30default_config_static_selectorELNS0_4arch9wavefront6targetE0EEEvT1_,"axG",@progbits,_ZN7rocprim17ROCPRIM_400000_NS6detail17trampoline_kernelINS0_14default_configENS1_25partition_config_selectorILNS1_17partition_subalgoE5EtNS0_10empty_typeEbEEZZNS1_14partition_implILS5_5ELb0ES3_mN6thrust23THRUST_200600_302600_NS6detail15normal_iteratorINSA_10device_ptrItEEEEPS6_NSA_18transform_iteratorINSB_9not_fun_tI7is_trueItEEESF_NSA_11use_defaultESM_EENS0_5tupleIJSF_S6_EEENSO_IJSG_SG_EEES6_PlJS6_EEE10hipError_tPvRmT3_T4_T5_T6_T7_T9_mT8_P12ihipStream_tbDpT10_ENKUlT_T0_E_clISt17integral_constantIbLb0EES1B_EEDaS16_S17_EUlS16_E_NS1_11comp_targetILNS1_3genE9ELNS1_11target_archE1100ELNS1_3gpuE3ELNS1_3repE0EEENS1_30default_config_static_selectorELNS0_4arch9wavefront6targetE0EEEvT1_,comdat
.Lfunc_end1440:
	.size	_ZN7rocprim17ROCPRIM_400000_NS6detail17trampoline_kernelINS0_14default_configENS1_25partition_config_selectorILNS1_17partition_subalgoE5EtNS0_10empty_typeEbEEZZNS1_14partition_implILS5_5ELb0ES3_mN6thrust23THRUST_200600_302600_NS6detail15normal_iteratorINSA_10device_ptrItEEEEPS6_NSA_18transform_iteratorINSB_9not_fun_tI7is_trueItEEESF_NSA_11use_defaultESM_EENS0_5tupleIJSF_S6_EEENSO_IJSG_SG_EEES6_PlJS6_EEE10hipError_tPvRmT3_T4_T5_T6_T7_T9_mT8_P12ihipStream_tbDpT10_ENKUlT_T0_E_clISt17integral_constantIbLb0EES1B_EEDaS16_S17_EUlS16_E_NS1_11comp_targetILNS1_3genE9ELNS1_11target_archE1100ELNS1_3gpuE3ELNS1_3repE0EEENS1_30default_config_static_selectorELNS0_4arch9wavefront6targetE0EEEvT1_, .Lfunc_end1440-_ZN7rocprim17ROCPRIM_400000_NS6detail17trampoline_kernelINS0_14default_configENS1_25partition_config_selectorILNS1_17partition_subalgoE5EtNS0_10empty_typeEbEEZZNS1_14partition_implILS5_5ELb0ES3_mN6thrust23THRUST_200600_302600_NS6detail15normal_iteratorINSA_10device_ptrItEEEEPS6_NSA_18transform_iteratorINSB_9not_fun_tI7is_trueItEEESF_NSA_11use_defaultESM_EENS0_5tupleIJSF_S6_EEENSO_IJSG_SG_EEES6_PlJS6_EEE10hipError_tPvRmT3_T4_T5_T6_T7_T9_mT8_P12ihipStream_tbDpT10_ENKUlT_T0_E_clISt17integral_constantIbLb0EES1B_EEDaS16_S17_EUlS16_E_NS1_11comp_targetILNS1_3genE9ELNS1_11target_archE1100ELNS1_3gpuE3ELNS1_3repE0EEENS1_30default_config_static_selectorELNS0_4arch9wavefront6targetE0EEEvT1_
                                        ; -- End function
	.set _ZN7rocprim17ROCPRIM_400000_NS6detail17trampoline_kernelINS0_14default_configENS1_25partition_config_selectorILNS1_17partition_subalgoE5EtNS0_10empty_typeEbEEZZNS1_14partition_implILS5_5ELb0ES3_mN6thrust23THRUST_200600_302600_NS6detail15normal_iteratorINSA_10device_ptrItEEEEPS6_NSA_18transform_iteratorINSB_9not_fun_tI7is_trueItEEESF_NSA_11use_defaultESM_EENS0_5tupleIJSF_S6_EEENSO_IJSG_SG_EEES6_PlJS6_EEE10hipError_tPvRmT3_T4_T5_T6_T7_T9_mT8_P12ihipStream_tbDpT10_ENKUlT_T0_E_clISt17integral_constantIbLb0EES1B_EEDaS16_S17_EUlS16_E_NS1_11comp_targetILNS1_3genE9ELNS1_11target_archE1100ELNS1_3gpuE3ELNS1_3repE0EEENS1_30default_config_static_selectorELNS0_4arch9wavefront6targetE0EEEvT1_.num_vgpr, 0
	.set _ZN7rocprim17ROCPRIM_400000_NS6detail17trampoline_kernelINS0_14default_configENS1_25partition_config_selectorILNS1_17partition_subalgoE5EtNS0_10empty_typeEbEEZZNS1_14partition_implILS5_5ELb0ES3_mN6thrust23THRUST_200600_302600_NS6detail15normal_iteratorINSA_10device_ptrItEEEEPS6_NSA_18transform_iteratorINSB_9not_fun_tI7is_trueItEEESF_NSA_11use_defaultESM_EENS0_5tupleIJSF_S6_EEENSO_IJSG_SG_EEES6_PlJS6_EEE10hipError_tPvRmT3_T4_T5_T6_T7_T9_mT8_P12ihipStream_tbDpT10_ENKUlT_T0_E_clISt17integral_constantIbLb0EES1B_EEDaS16_S17_EUlS16_E_NS1_11comp_targetILNS1_3genE9ELNS1_11target_archE1100ELNS1_3gpuE3ELNS1_3repE0EEENS1_30default_config_static_selectorELNS0_4arch9wavefront6targetE0EEEvT1_.num_agpr, 0
	.set _ZN7rocprim17ROCPRIM_400000_NS6detail17trampoline_kernelINS0_14default_configENS1_25partition_config_selectorILNS1_17partition_subalgoE5EtNS0_10empty_typeEbEEZZNS1_14partition_implILS5_5ELb0ES3_mN6thrust23THRUST_200600_302600_NS6detail15normal_iteratorINSA_10device_ptrItEEEEPS6_NSA_18transform_iteratorINSB_9not_fun_tI7is_trueItEEESF_NSA_11use_defaultESM_EENS0_5tupleIJSF_S6_EEENSO_IJSG_SG_EEES6_PlJS6_EEE10hipError_tPvRmT3_T4_T5_T6_T7_T9_mT8_P12ihipStream_tbDpT10_ENKUlT_T0_E_clISt17integral_constantIbLb0EES1B_EEDaS16_S17_EUlS16_E_NS1_11comp_targetILNS1_3genE9ELNS1_11target_archE1100ELNS1_3gpuE3ELNS1_3repE0EEENS1_30default_config_static_selectorELNS0_4arch9wavefront6targetE0EEEvT1_.numbered_sgpr, 0
	.set _ZN7rocprim17ROCPRIM_400000_NS6detail17trampoline_kernelINS0_14default_configENS1_25partition_config_selectorILNS1_17partition_subalgoE5EtNS0_10empty_typeEbEEZZNS1_14partition_implILS5_5ELb0ES3_mN6thrust23THRUST_200600_302600_NS6detail15normal_iteratorINSA_10device_ptrItEEEEPS6_NSA_18transform_iteratorINSB_9not_fun_tI7is_trueItEEESF_NSA_11use_defaultESM_EENS0_5tupleIJSF_S6_EEENSO_IJSG_SG_EEES6_PlJS6_EEE10hipError_tPvRmT3_T4_T5_T6_T7_T9_mT8_P12ihipStream_tbDpT10_ENKUlT_T0_E_clISt17integral_constantIbLb0EES1B_EEDaS16_S17_EUlS16_E_NS1_11comp_targetILNS1_3genE9ELNS1_11target_archE1100ELNS1_3gpuE3ELNS1_3repE0EEENS1_30default_config_static_selectorELNS0_4arch9wavefront6targetE0EEEvT1_.num_named_barrier, 0
	.set _ZN7rocprim17ROCPRIM_400000_NS6detail17trampoline_kernelINS0_14default_configENS1_25partition_config_selectorILNS1_17partition_subalgoE5EtNS0_10empty_typeEbEEZZNS1_14partition_implILS5_5ELb0ES3_mN6thrust23THRUST_200600_302600_NS6detail15normal_iteratorINSA_10device_ptrItEEEEPS6_NSA_18transform_iteratorINSB_9not_fun_tI7is_trueItEEESF_NSA_11use_defaultESM_EENS0_5tupleIJSF_S6_EEENSO_IJSG_SG_EEES6_PlJS6_EEE10hipError_tPvRmT3_T4_T5_T6_T7_T9_mT8_P12ihipStream_tbDpT10_ENKUlT_T0_E_clISt17integral_constantIbLb0EES1B_EEDaS16_S17_EUlS16_E_NS1_11comp_targetILNS1_3genE9ELNS1_11target_archE1100ELNS1_3gpuE3ELNS1_3repE0EEENS1_30default_config_static_selectorELNS0_4arch9wavefront6targetE0EEEvT1_.private_seg_size, 0
	.set _ZN7rocprim17ROCPRIM_400000_NS6detail17trampoline_kernelINS0_14default_configENS1_25partition_config_selectorILNS1_17partition_subalgoE5EtNS0_10empty_typeEbEEZZNS1_14partition_implILS5_5ELb0ES3_mN6thrust23THRUST_200600_302600_NS6detail15normal_iteratorINSA_10device_ptrItEEEEPS6_NSA_18transform_iteratorINSB_9not_fun_tI7is_trueItEEESF_NSA_11use_defaultESM_EENS0_5tupleIJSF_S6_EEENSO_IJSG_SG_EEES6_PlJS6_EEE10hipError_tPvRmT3_T4_T5_T6_T7_T9_mT8_P12ihipStream_tbDpT10_ENKUlT_T0_E_clISt17integral_constantIbLb0EES1B_EEDaS16_S17_EUlS16_E_NS1_11comp_targetILNS1_3genE9ELNS1_11target_archE1100ELNS1_3gpuE3ELNS1_3repE0EEENS1_30default_config_static_selectorELNS0_4arch9wavefront6targetE0EEEvT1_.uses_vcc, 0
	.set _ZN7rocprim17ROCPRIM_400000_NS6detail17trampoline_kernelINS0_14default_configENS1_25partition_config_selectorILNS1_17partition_subalgoE5EtNS0_10empty_typeEbEEZZNS1_14partition_implILS5_5ELb0ES3_mN6thrust23THRUST_200600_302600_NS6detail15normal_iteratorINSA_10device_ptrItEEEEPS6_NSA_18transform_iteratorINSB_9not_fun_tI7is_trueItEEESF_NSA_11use_defaultESM_EENS0_5tupleIJSF_S6_EEENSO_IJSG_SG_EEES6_PlJS6_EEE10hipError_tPvRmT3_T4_T5_T6_T7_T9_mT8_P12ihipStream_tbDpT10_ENKUlT_T0_E_clISt17integral_constantIbLb0EES1B_EEDaS16_S17_EUlS16_E_NS1_11comp_targetILNS1_3genE9ELNS1_11target_archE1100ELNS1_3gpuE3ELNS1_3repE0EEENS1_30default_config_static_selectorELNS0_4arch9wavefront6targetE0EEEvT1_.uses_flat_scratch, 0
	.set _ZN7rocprim17ROCPRIM_400000_NS6detail17trampoline_kernelINS0_14default_configENS1_25partition_config_selectorILNS1_17partition_subalgoE5EtNS0_10empty_typeEbEEZZNS1_14partition_implILS5_5ELb0ES3_mN6thrust23THRUST_200600_302600_NS6detail15normal_iteratorINSA_10device_ptrItEEEEPS6_NSA_18transform_iteratorINSB_9not_fun_tI7is_trueItEEESF_NSA_11use_defaultESM_EENS0_5tupleIJSF_S6_EEENSO_IJSG_SG_EEES6_PlJS6_EEE10hipError_tPvRmT3_T4_T5_T6_T7_T9_mT8_P12ihipStream_tbDpT10_ENKUlT_T0_E_clISt17integral_constantIbLb0EES1B_EEDaS16_S17_EUlS16_E_NS1_11comp_targetILNS1_3genE9ELNS1_11target_archE1100ELNS1_3gpuE3ELNS1_3repE0EEENS1_30default_config_static_selectorELNS0_4arch9wavefront6targetE0EEEvT1_.has_dyn_sized_stack, 0
	.set _ZN7rocprim17ROCPRIM_400000_NS6detail17trampoline_kernelINS0_14default_configENS1_25partition_config_selectorILNS1_17partition_subalgoE5EtNS0_10empty_typeEbEEZZNS1_14partition_implILS5_5ELb0ES3_mN6thrust23THRUST_200600_302600_NS6detail15normal_iteratorINSA_10device_ptrItEEEEPS6_NSA_18transform_iteratorINSB_9not_fun_tI7is_trueItEEESF_NSA_11use_defaultESM_EENS0_5tupleIJSF_S6_EEENSO_IJSG_SG_EEES6_PlJS6_EEE10hipError_tPvRmT3_T4_T5_T6_T7_T9_mT8_P12ihipStream_tbDpT10_ENKUlT_T0_E_clISt17integral_constantIbLb0EES1B_EEDaS16_S17_EUlS16_E_NS1_11comp_targetILNS1_3genE9ELNS1_11target_archE1100ELNS1_3gpuE3ELNS1_3repE0EEENS1_30default_config_static_selectorELNS0_4arch9wavefront6targetE0EEEvT1_.has_recursion, 0
	.set _ZN7rocprim17ROCPRIM_400000_NS6detail17trampoline_kernelINS0_14default_configENS1_25partition_config_selectorILNS1_17partition_subalgoE5EtNS0_10empty_typeEbEEZZNS1_14partition_implILS5_5ELb0ES3_mN6thrust23THRUST_200600_302600_NS6detail15normal_iteratorINSA_10device_ptrItEEEEPS6_NSA_18transform_iteratorINSB_9not_fun_tI7is_trueItEEESF_NSA_11use_defaultESM_EENS0_5tupleIJSF_S6_EEENSO_IJSG_SG_EEES6_PlJS6_EEE10hipError_tPvRmT3_T4_T5_T6_T7_T9_mT8_P12ihipStream_tbDpT10_ENKUlT_T0_E_clISt17integral_constantIbLb0EES1B_EEDaS16_S17_EUlS16_E_NS1_11comp_targetILNS1_3genE9ELNS1_11target_archE1100ELNS1_3gpuE3ELNS1_3repE0EEENS1_30default_config_static_selectorELNS0_4arch9wavefront6targetE0EEEvT1_.has_indirect_call, 0
	.section	.AMDGPU.csdata,"",@progbits
; Kernel info:
; codeLenInByte = 0
; TotalNumSgprs: 0
; NumVgprs: 0
; ScratchSize: 0
; MemoryBound: 0
; FloatMode: 240
; IeeeMode: 1
; LDSByteSize: 0 bytes/workgroup (compile time only)
; SGPRBlocks: 0
; VGPRBlocks: 0
; NumSGPRsForWavesPerEU: 1
; NumVGPRsForWavesPerEU: 1
; Occupancy: 16
; WaveLimiterHint : 0
; COMPUTE_PGM_RSRC2:SCRATCH_EN: 0
; COMPUTE_PGM_RSRC2:USER_SGPR: 2
; COMPUTE_PGM_RSRC2:TRAP_HANDLER: 0
; COMPUTE_PGM_RSRC2:TGID_X_EN: 1
; COMPUTE_PGM_RSRC2:TGID_Y_EN: 0
; COMPUTE_PGM_RSRC2:TGID_Z_EN: 0
; COMPUTE_PGM_RSRC2:TIDIG_COMP_CNT: 0
	.section	.text._ZN7rocprim17ROCPRIM_400000_NS6detail17trampoline_kernelINS0_14default_configENS1_25partition_config_selectorILNS1_17partition_subalgoE5EtNS0_10empty_typeEbEEZZNS1_14partition_implILS5_5ELb0ES3_mN6thrust23THRUST_200600_302600_NS6detail15normal_iteratorINSA_10device_ptrItEEEEPS6_NSA_18transform_iteratorINSB_9not_fun_tI7is_trueItEEESF_NSA_11use_defaultESM_EENS0_5tupleIJSF_S6_EEENSO_IJSG_SG_EEES6_PlJS6_EEE10hipError_tPvRmT3_T4_T5_T6_T7_T9_mT8_P12ihipStream_tbDpT10_ENKUlT_T0_E_clISt17integral_constantIbLb0EES1B_EEDaS16_S17_EUlS16_E_NS1_11comp_targetILNS1_3genE8ELNS1_11target_archE1030ELNS1_3gpuE2ELNS1_3repE0EEENS1_30default_config_static_selectorELNS0_4arch9wavefront6targetE0EEEvT1_,"axG",@progbits,_ZN7rocprim17ROCPRIM_400000_NS6detail17trampoline_kernelINS0_14default_configENS1_25partition_config_selectorILNS1_17partition_subalgoE5EtNS0_10empty_typeEbEEZZNS1_14partition_implILS5_5ELb0ES3_mN6thrust23THRUST_200600_302600_NS6detail15normal_iteratorINSA_10device_ptrItEEEEPS6_NSA_18transform_iteratorINSB_9not_fun_tI7is_trueItEEESF_NSA_11use_defaultESM_EENS0_5tupleIJSF_S6_EEENSO_IJSG_SG_EEES6_PlJS6_EEE10hipError_tPvRmT3_T4_T5_T6_T7_T9_mT8_P12ihipStream_tbDpT10_ENKUlT_T0_E_clISt17integral_constantIbLb0EES1B_EEDaS16_S17_EUlS16_E_NS1_11comp_targetILNS1_3genE8ELNS1_11target_archE1030ELNS1_3gpuE2ELNS1_3repE0EEENS1_30default_config_static_selectorELNS0_4arch9wavefront6targetE0EEEvT1_,comdat
	.protected	_ZN7rocprim17ROCPRIM_400000_NS6detail17trampoline_kernelINS0_14default_configENS1_25partition_config_selectorILNS1_17partition_subalgoE5EtNS0_10empty_typeEbEEZZNS1_14partition_implILS5_5ELb0ES3_mN6thrust23THRUST_200600_302600_NS6detail15normal_iteratorINSA_10device_ptrItEEEEPS6_NSA_18transform_iteratorINSB_9not_fun_tI7is_trueItEEESF_NSA_11use_defaultESM_EENS0_5tupleIJSF_S6_EEENSO_IJSG_SG_EEES6_PlJS6_EEE10hipError_tPvRmT3_T4_T5_T6_T7_T9_mT8_P12ihipStream_tbDpT10_ENKUlT_T0_E_clISt17integral_constantIbLb0EES1B_EEDaS16_S17_EUlS16_E_NS1_11comp_targetILNS1_3genE8ELNS1_11target_archE1030ELNS1_3gpuE2ELNS1_3repE0EEENS1_30default_config_static_selectorELNS0_4arch9wavefront6targetE0EEEvT1_ ; -- Begin function _ZN7rocprim17ROCPRIM_400000_NS6detail17trampoline_kernelINS0_14default_configENS1_25partition_config_selectorILNS1_17partition_subalgoE5EtNS0_10empty_typeEbEEZZNS1_14partition_implILS5_5ELb0ES3_mN6thrust23THRUST_200600_302600_NS6detail15normal_iteratorINSA_10device_ptrItEEEEPS6_NSA_18transform_iteratorINSB_9not_fun_tI7is_trueItEEESF_NSA_11use_defaultESM_EENS0_5tupleIJSF_S6_EEENSO_IJSG_SG_EEES6_PlJS6_EEE10hipError_tPvRmT3_T4_T5_T6_T7_T9_mT8_P12ihipStream_tbDpT10_ENKUlT_T0_E_clISt17integral_constantIbLb0EES1B_EEDaS16_S17_EUlS16_E_NS1_11comp_targetILNS1_3genE8ELNS1_11target_archE1030ELNS1_3gpuE2ELNS1_3repE0EEENS1_30default_config_static_selectorELNS0_4arch9wavefront6targetE0EEEvT1_
	.globl	_ZN7rocprim17ROCPRIM_400000_NS6detail17trampoline_kernelINS0_14default_configENS1_25partition_config_selectorILNS1_17partition_subalgoE5EtNS0_10empty_typeEbEEZZNS1_14partition_implILS5_5ELb0ES3_mN6thrust23THRUST_200600_302600_NS6detail15normal_iteratorINSA_10device_ptrItEEEEPS6_NSA_18transform_iteratorINSB_9not_fun_tI7is_trueItEEESF_NSA_11use_defaultESM_EENS0_5tupleIJSF_S6_EEENSO_IJSG_SG_EEES6_PlJS6_EEE10hipError_tPvRmT3_T4_T5_T6_T7_T9_mT8_P12ihipStream_tbDpT10_ENKUlT_T0_E_clISt17integral_constantIbLb0EES1B_EEDaS16_S17_EUlS16_E_NS1_11comp_targetILNS1_3genE8ELNS1_11target_archE1030ELNS1_3gpuE2ELNS1_3repE0EEENS1_30default_config_static_selectorELNS0_4arch9wavefront6targetE0EEEvT1_
	.p2align	8
	.type	_ZN7rocprim17ROCPRIM_400000_NS6detail17trampoline_kernelINS0_14default_configENS1_25partition_config_selectorILNS1_17partition_subalgoE5EtNS0_10empty_typeEbEEZZNS1_14partition_implILS5_5ELb0ES3_mN6thrust23THRUST_200600_302600_NS6detail15normal_iteratorINSA_10device_ptrItEEEEPS6_NSA_18transform_iteratorINSB_9not_fun_tI7is_trueItEEESF_NSA_11use_defaultESM_EENS0_5tupleIJSF_S6_EEENSO_IJSG_SG_EEES6_PlJS6_EEE10hipError_tPvRmT3_T4_T5_T6_T7_T9_mT8_P12ihipStream_tbDpT10_ENKUlT_T0_E_clISt17integral_constantIbLb0EES1B_EEDaS16_S17_EUlS16_E_NS1_11comp_targetILNS1_3genE8ELNS1_11target_archE1030ELNS1_3gpuE2ELNS1_3repE0EEENS1_30default_config_static_selectorELNS0_4arch9wavefront6targetE0EEEvT1_,@function
_ZN7rocprim17ROCPRIM_400000_NS6detail17trampoline_kernelINS0_14default_configENS1_25partition_config_selectorILNS1_17partition_subalgoE5EtNS0_10empty_typeEbEEZZNS1_14partition_implILS5_5ELb0ES3_mN6thrust23THRUST_200600_302600_NS6detail15normal_iteratorINSA_10device_ptrItEEEEPS6_NSA_18transform_iteratorINSB_9not_fun_tI7is_trueItEEESF_NSA_11use_defaultESM_EENS0_5tupleIJSF_S6_EEENSO_IJSG_SG_EEES6_PlJS6_EEE10hipError_tPvRmT3_T4_T5_T6_T7_T9_mT8_P12ihipStream_tbDpT10_ENKUlT_T0_E_clISt17integral_constantIbLb0EES1B_EEDaS16_S17_EUlS16_E_NS1_11comp_targetILNS1_3genE8ELNS1_11target_archE1030ELNS1_3gpuE2ELNS1_3repE0EEENS1_30default_config_static_selectorELNS0_4arch9wavefront6targetE0EEEvT1_: ; @_ZN7rocprim17ROCPRIM_400000_NS6detail17trampoline_kernelINS0_14default_configENS1_25partition_config_selectorILNS1_17partition_subalgoE5EtNS0_10empty_typeEbEEZZNS1_14partition_implILS5_5ELb0ES3_mN6thrust23THRUST_200600_302600_NS6detail15normal_iteratorINSA_10device_ptrItEEEEPS6_NSA_18transform_iteratorINSB_9not_fun_tI7is_trueItEEESF_NSA_11use_defaultESM_EENS0_5tupleIJSF_S6_EEENSO_IJSG_SG_EEES6_PlJS6_EEE10hipError_tPvRmT3_T4_T5_T6_T7_T9_mT8_P12ihipStream_tbDpT10_ENKUlT_T0_E_clISt17integral_constantIbLb0EES1B_EEDaS16_S17_EUlS16_E_NS1_11comp_targetILNS1_3genE8ELNS1_11target_archE1030ELNS1_3gpuE2ELNS1_3repE0EEENS1_30default_config_static_selectorELNS0_4arch9wavefront6targetE0EEEvT1_
; %bb.0:
	.section	.rodata,"a",@progbits
	.p2align	6, 0x0
	.amdhsa_kernel _ZN7rocprim17ROCPRIM_400000_NS6detail17trampoline_kernelINS0_14default_configENS1_25partition_config_selectorILNS1_17partition_subalgoE5EtNS0_10empty_typeEbEEZZNS1_14partition_implILS5_5ELb0ES3_mN6thrust23THRUST_200600_302600_NS6detail15normal_iteratorINSA_10device_ptrItEEEEPS6_NSA_18transform_iteratorINSB_9not_fun_tI7is_trueItEEESF_NSA_11use_defaultESM_EENS0_5tupleIJSF_S6_EEENSO_IJSG_SG_EEES6_PlJS6_EEE10hipError_tPvRmT3_T4_T5_T6_T7_T9_mT8_P12ihipStream_tbDpT10_ENKUlT_T0_E_clISt17integral_constantIbLb0EES1B_EEDaS16_S17_EUlS16_E_NS1_11comp_targetILNS1_3genE8ELNS1_11target_archE1030ELNS1_3gpuE2ELNS1_3repE0EEENS1_30default_config_static_selectorELNS0_4arch9wavefront6targetE0EEEvT1_
		.amdhsa_group_segment_fixed_size 0
		.amdhsa_private_segment_fixed_size 0
		.amdhsa_kernarg_size 120
		.amdhsa_user_sgpr_count 2
		.amdhsa_user_sgpr_dispatch_ptr 0
		.amdhsa_user_sgpr_queue_ptr 0
		.amdhsa_user_sgpr_kernarg_segment_ptr 1
		.amdhsa_user_sgpr_dispatch_id 0
		.amdhsa_user_sgpr_private_segment_size 0
		.amdhsa_wavefront_size32 1
		.amdhsa_uses_dynamic_stack 0
		.amdhsa_enable_private_segment 0
		.amdhsa_system_sgpr_workgroup_id_x 1
		.amdhsa_system_sgpr_workgroup_id_y 0
		.amdhsa_system_sgpr_workgroup_id_z 0
		.amdhsa_system_sgpr_workgroup_info 0
		.amdhsa_system_vgpr_workitem_id 0
		.amdhsa_next_free_vgpr 1
		.amdhsa_next_free_sgpr 1
		.amdhsa_reserve_vcc 0
		.amdhsa_float_round_mode_32 0
		.amdhsa_float_round_mode_16_64 0
		.amdhsa_float_denorm_mode_32 3
		.amdhsa_float_denorm_mode_16_64 3
		.amdhsa_fp16_overflow 0
		.amdhsa_workgroup_processor_mode 1
		.amdhsa_memory_ordered 1
		.amdhsa_forward_progress 1
		.amdhsa_inst_pref_size 0
		.amdhsa_round_robin_scheduling 0
		.amdhsa_exception_fp_ieee_invalid_op 0
		.amdhsa_exception_fp_denorm_src 0
		.amdhsa_exception_fp_ieee_div_zero 0
		.amdhsa_exception_fp_ieee_overflow 0
		.amdhsa_exception_fp_ieee_underflow 0
		.amdhsa_exception_fp_ieee_inexact 0
		.amdhsa_exception_int_div_zero 0
	.end_amdhsa_kernel
	.section	.text._ZN7rocprim17ROCPRIM_400000_NS6detail17trampoline_kernelINS0_14default_configENS1_25partition_config_selectorILNS1_17partition_subalgoE5EtNS0_10empty_typeEbEEZZNS1_14partition_implILS5_5ELb0ES3_mN6thrust23THRUST_200600_302600_NS6detail15normal_iteratorINSA_10device_ptrItEEEEPS6_NSA_18transform_iteratorINSB_9not_fun_tI7is_trueItEEESF_NSA_11use_defaultESM_EENS0_5tupleIJSF_S6_EEENSO_IJSG_SG_EEES6_PlJS6_EEE10hipError_tPvRmT3_T4_T5_T6_T7_T9_mT8_P12ihipStream_tbDpT10_ENKUlT_T0_E_clISt17integral_constantIbLb0EES1B_EEDaS16_S17_EUlS16_E_NS1_11comp_targetILNS1_3genE8ELNS1_11target_archE1030ELNS1_3gpuE2ELNS1_3repE0EEENS1_30default_config_static_selectorELNS0_4arch9wavefront6targetE0EEEvT1_,"axG",@progbits,_ZN7rocprim17ROCPRIM_400000_NS6detail17trampoline_kernelINS0_14default_configENS1_25partition_config_selectorILNS1_17partition_subalgoE5EtNS0_10empty_typeEbEEZZNS1_14partition_implILS5_5ELb0ES3_mN6thrust23THRUST_200600_302600_NS6detail15normal_iteratorINSA_10device_ptrItEEEEPS6_NSA_18transform_iteratorINSB_9not_fun_tI7is_trueItEEESF_NSA_11use_defaultESM_EENS0_5tupleIJSF_S6_EEENSO_IJSG_SG_EEES6_PlJS6_EEE10hipError_tPvRmT3_T4_T5_T6_T7_T9_mT8_P12ihipStream_tbDpT10_ENKUlT_T0_E_clISt17integral_constantIbLb0EES1B_EEDaS16_S17_EUlS16_E_NS1_11comp_targetILNS1_3genE8ELNS1_11target_archE1030ELNS1_3gpuE2ELNS1_3repE0EEENS1_30default_config_static_selectorELNS0_4arch9wavefront6targetE0EEEvT1_,comdat
.Lfunc_end1441:
	.size	_ZN7rocprim17ROCPRIM_400000_NS6detail17trampoline_kernelINS0_14default_configENS1_25partition_config_selectorILNS1_17partition_subalgoE5EtNS0_10empty_typeEbEEZZNS1_14partition_implILS5_5ELb0ES3_mN6thrust23THRUST_200600_302600_NS6detail15normal_iteratorINSA_10device_ptrItEEEEPS6_NSA_18transform_iteratorINSB_9not_fun_tI7is_trueItEEESF_NSA_11use_defaultESM_EENS0_5tupleIJSF_S6_EEENSO_IJSG_SG_EEES6_PlJS6_EEE10hipError_tPvRmT3_T4_T5_T6_T7_T9_mT8_P12ihipStream_tbDpT10_ENKUlT_T0_E_clISt17integral_constantIbLb0EES1B_EEDaS16_S17_EUlS16_E_NS1_11comp_targetILNS1_3genE8ELNS1_11target_archE1030ELNS1_3gpuE2ELNS1_3repE0EEENS1_30default_config_static_selectorELNS0_4arch9wavefront6targetE0EEEvT1_, .Lfunc_end1441-_ZN7rocprim17ROCPRIM_400000_NS6detail17trampoline_kernelINS0_14default_configENS1_25partition_config_selectorILNS1_17partition_subalgoE5EtNS0_10empty_typeEbEEZZNS1_14partition_implILS5_5ELb0ES3_mN6thrust23THRUST_200600_302600_NS6detail15normal_iteratorINSA_10device_ptrItEEEEPS6_NSA_18transform_iteratorINSB_9not_fun_tI7is_trueItEEESF_NSA_11use_defaultESM_EENS0_5tupleIJSF_S6_EEENSO_IJSG_SG_EEES6_PlJS6_EEE10hipError_tPvRmT3_T4_T5_T6_T7_T9_mT8_P12ihipStream_tbDpT10_ENKUlT_T0_E_clISt17integral_constantIbLb0EES1B_EEDaS16_S17_EUlS16_E_NS1_11comp_targetILNS1_3genE8ELNS1_11target_archE1030ELNS1_3gpuE2ELNS1_3repE0EEENS1_30default_config_static_selectorELNS0_4arch9wavefront6targetE0EEEvT1_
                                        ; -- End function
	.set _ZN7rocprim17ROCPRIM_400000_NS6detail17trampoline_kernelINS0_14default_configENS1_25partition_config_selectorILNS1_17partition_subalgoE5EtNS0_10empty_typeEbEEZZNS1_14partition_implILS5_5ELb0ES3_mN6thrust23THRUST_200600_302600_NS6detail15normal_iteratorINSA_10device_ptrItEEEEPS6_NSA_18transform_iteratorINSB_9not_fun_tI7is_trueItEEESF_NSA_11use_defaultESM_EENS0_5tupleIJSF_S6_EEENSO_IJSG_SG_EEES6_PlJS6_EEE10hipError_tPvRmT3_T4_T5_T6_T7_T9_mT8_P12ihipStream_tbDpT10_ENKUlT_T0_E_clISt17integral_constantIbLb0EES1B_EEDaS16_S17_EUlS16_E_NS1_11comp_targetILNS1_3genE8ELNS1_11target_archE1030ELNS1_3gpuE2ELNS1_3repE0EEENS1_30default_config_static_selectorELNS0_4arch9wavefront6targetE0EEEvT1_.num_vgpr, 0
	.set _ZN7rocprim17ROCPRIM_400000_NS6detail17trampoline_kernelINS0_14default_configENS1_25partition_config_selectorILNS1_17partition_subalgoE5EtNS0_10empty_typeEbEEZZNS1_14partition_implILS5_5ELb0ES3_mN6thrust23THRUST_200600_302600_NS6detail15normal_iteratorINSA_10device_ptrItEEEEPS6_NSA_18transform_iteratorINSB_9not_fun_tI7is_trueItEEESF_NSA_11use_defaultESM_EENS0_5tupleIJSF_S6_EEENSO_IJSG_SG_EEES6_PlJS6_EEE10hipError_tPvRmT3_T4_T5_T6_T7_T9_mT8_P12ihipStream_tbDpT10_ENKUlT_T0_E_clISt17integral_constantIbLb0EES1B_EEDaS16_S17_EUlS16_E_NS1_11comp_targetILNS1_3genE8ELNS1_11target_archE1030ELNS1_3gpuE2ELNS1_3repE0EEENS1_30default_config_static_selectorELNS0_4arch9wavefront6targetE0EEEvT1_.num_agpr, 0
	.set _ZN7rocprim17ROCPRIM_400000_NS6detail17trampoline_kernelINS0_14default_configENS1_25partition_config_selectorILNS1_17partition_subalgoE5EtNS0_10empty_typeEbEEZZNS1_14partition_implILS5_5ELb0ES3_mN6thrust23THRUST_200600_302600_NS6detail15normal_iteratorINSA_10device_ptrItEEEEPS6_NSA_18transform_iteratorINSB_9not_fun_tI7is_trueItEEESF_NSA_11use_defaultESM_EENS0_5tupleIJSF_S6_EEENSO_IJSG_SG_EEES6_PlJS6_EEE10hipError_tPvRmT3_T4_T5_T6_T7_T9_mT8_P12ihipStream_tbDpT10_ENKUlT_T0_E_clISt17integral_constantIbLb0EES1B_EEDaS16_S17_EUlS16_E_NS1_11comp_targetILNS1_3genE8ELNS1_11target_archE1030ELNS1_3gpuE2ELNS1_3repE0EEENS1_30default_config_static_selectorELNS0_4arch9wavefront6targetE0EEEvT1_.numbered_sgpr, 0
	.set _ZN7rocprim17ROCPRIM_400000_NS6detail17trampoline_kernelINS0_14default_configENS1_25partition_config_selectorILNS1_17partition_subalgoE5EtNS0_10empty_typeEbEEZZNS1_14partition_implILS5_5ELb0ES3_mN6thrust23THRUST_200600_302600_NS6detail15normal_iteratorINSA_10device_ptrItEEEEPS6_NSA_18transform_iteratorINSB_9not_fun_tI7is_trueItEEESF_NSA_11use_defaultESM_EENS0_5tupleIJSF_S6_EEENSO_IJSG_SG_EEES6_PlJS6_EEE10hipError_tPvRmT3_T4_T5_T6_T7_T9_mT8_P12ihipStream_tbDpT10_ENKUlT_T0_E_clISt17integral_constantIbLb0EES1B_EEDaS16_S17_EUlS16_E_NS1_11comp_targetILNS1_3genE8ELNS1_11target_archE1030ELNS1_3gpuE2ELNS1_3repE0EEENS1_30default_config_static_selectorELNS0_4arch9wavefront6targetE0EEEvT1_.num_named_barrier, 0
	.set _ZN7rocprim17ROCPRIM_400000_NS6detail17trampoline_kernelINS0_14default_configENS1_25partition_config_selectorILNS1_17partition_subalgoE5EtNS0_10empty_typeEbEEZZNS1_14partition_implILS5_5ELb0ES3_mN6thrust23THRUST_200600_302600_NS6detail15normal_iteratorINSA_10device_ptrItEEEEPS6_NSA_18transform_iteratorINSB_9not_fun_tI7is_trueItEEESF_NSA_11use_defaultESM_EENS0_5tupleIJSF_S6_EEENSO_IJSG_SG_EEES6_PlJS6_EEE10hipError_tPvRmT3_T4_T5_T6_T7_T9_mT8_P12ihipStream_tbDpT10_ENKUlT_T0_E_clISt17integral_constantIbLb0EES1B_EEDaS16_S17_EUlS16_E_NS1_11comp_targetILNS1_3genE8ELNS1_11target_archE1030ELNS1_3gpuE2ELNS1_3repE0EEENS1_30default_config_static_selectorELNS0_4arch9wavefront6targetE0EEEvT1_.private_seg_size, 0
	.set _ZN7rocprim17ROCPRIM_400000_NS6detail17trampoline_kernelINS0_14default_configENS1_25partition_config_selectorILNS1_17partition_subalgoE5EtNS0_10empty_typeEbEEZZNS1_14partition_implILS5_5ELb0ES3_mN6thrust23THRUST_200600_302600_NS6detail15normal_iteratorINSA_10device_ptrItEEEEPS6_NSA_18transform_iteratorINSB_9not_fun_tI7is_trueItEEESF_NSA_11use_defaultESM_EENS0_5tupleIJSF_S6_EEENSO_IJSG_SG_EEES6_PlJS6_EEE10hipError_tPvRmT3_T4_T5_T6_T7_T9_mT8_P12ihipStream_tbDpT10_ENKUlT_T0_E_clISt17integral_constantIbLb0EES1B_EEDaS16_S17_EUlS16_E_NS1_11comp_targetILNS1_3genE8ELNS1_11target_archE1030ELNS1_3gpuE2ELNS1_3repE0EEENS1_30default_config_static_selectorELNS0_4arch9wavefront6targetE0EEEvT1_.uses_vcc, 0
	.set _ZN7rocprim17ROCPRIM_400000_NS6detail17trampoline_kernelINS0_14default_configENS1_25partition_config_selectorILNS1_17partition_subalgoE5EtNS0_10empty_typeEbEEZZNS1_14partition_implILS5_5ELb0ES3_mN6thrust23THRUST_200600_302600_NS6detail15normal_iteratorINSA_10device_ptrItEEEEPS6_NSA_18transform_iteratorINSB_9not_fun_tI7is_trueItEEESF_NSA_11use_defaultESM_EENS0_5tupleIJSF_S6_EEENSO_IJSG_SG_EEES6_PlJS6_EEE10hipError_tPvRmT3_T4_T5_T6_T7_T9_mT8_P12ihipStream_tbDpT10_ENKUlT_T0_E_clISt17integral_constantIbLb0EES1B_EEDaS16_S17_EUlS16_E_NS1_11comp_targetILNS1_3genE8ELNS1_11target_archE1030ELNS1_3gpuE2ELNS1_3repE0EEENS1_30default_config_static_selectorELNS0_4arch9wavefront6targetE0EEEvT1_.uses_flat_scratch, 0
	.set _ZN7rocprim17ROCPRIM_400000_NS6detail17trampoline_kernelINS0_14default_configENS1_25partition_config_selectorILNS1_17partition_subalgoE5EtNS0_10empty_typeEbEEZZNS1_14partition_implILS5_5ELb0ES3_mN6thrust23THRUST_200600_302600_NS6detail15normal_iteratorINSA_10device_ptrItEEEEPS6_NSA_18transform_iteratorINSB_9not_fun_tI7is_trueItEEESF_NSA_11use_defaultESM_EENS0_5tupleIJSF_S6_EEENSO_IJSG_SG_EEES6_PlJS6_EEE10hipError_tPvRmT3_T4_T5_T6_T7_T9_mT8_P12ihipStream_tbDpT10_ENKUlT_T0_E_clISt17integral_constantIbLb0EES1B_EEDaS16_S17_EUlS16_E_NS1_11comp_targetILNS1_3genE8ELNS1_11target_archE1030ELNS1_3gpuE2ELNS1_3repE0EEENS1_30default_config_static_selectorELNS0_4arch9wavefront6targetE0EEEvT1_.has_dyn_sized_stack, 0
	.set _ZN7rocprim17ROCPRIM_400000_NS6detail17trampoline_kernelINS0_14default_configENS1_25partition_config_selectorILNS1_17partition_subalgoE5EtNS0_10empty_typeEbEEZZNS1_14partition_implILS5_5ELb0ES3_mN6thrust23THRUST_200600_302600_NS6detail15normal_iteratorINSA_10device_ptrItEEEEPS6_NSA_18transform_iteratorINSB_9not_fun_tI7is_trueItEEESF_NSA_11use_defaultESM_EENS0_5tupleIJSF_S6_EEENSO_IJSG_SG_EEES6_PlJS6_EEE10hipError_tPvRmT3_T4_T5_T6_T7_T9_mT8_P12ihipStream_tbDpT10_ENKUlT_T0_E_clISt17integral_constantIbLb0EES1B_EEDaS16_S17_EUlS16_E_NS1_11comp_targetILNS1_3genE8ELNS1_11target_archE1030ELNS1_3gpuE2ELNS1_3repE0EEENS1_30default_config_static_selectorELNS0_4arch9wavefront6targetE0EEEvT1_.has_recursion, 0
	.set _ZN7rocprim17ROCPRIM_400000_NS6detail17trampoline_kernelINS0_14default_configENS1_25partition_config_selectorILNS1_17partition_subalgoE5EtNS0_10empty_typeEbEEZZNS1_14partition_implILS5_5ELb0ES3_mN6thrust23THRUST_200600_302600_NS6detail15normal_iteratorINSA_10device_ptrItEEEEPS6_NSA_18transform_iteratorINSB_9not_fun_tI7is_trueItEEESF_NSA_11use_defaultESM_EENS0_5tupleIJSF_S6_EEENSO_IJSG_SG_EEES6_PlJS6_EEE10hipError_tPvRmT3_T4_T5_T6_T7_T9_mT8_P12ihipStream_tbDpT10_ENKUlT_T0_E_clISt17integral_constantIbLb0EES1B_EEDaS16_S17_EUlS16_E_NS1_11comp_targetILNS1_3genE8ELNS1_11target_archE1030ELNS1_3gpuE2ELNS1_3repE0EEENS1_30default_config_static_selectorELNS0_4arch9wavefront6targetE0EEEvT1_.has_indirect_call, 0
	.section	.AMDGPU.csdata,"",@progbits
; Kernel info:
; codeLenInByte = 0
; TotalNumSgprs: 0
; NumVgprs: 0
; ScratchSize: 0
; MemoryBound: 0
; FloatMode: 240
; IeeeMode: 1
; LDSByteSize: 0 bytes/workgroup (compile time only)
; SGPRBlocks: 0
; VGPRBlocks: 0
; NumSGPRsForWavesPerEU: 1
; NumVGPRsForWavesPerEU: 1
; Occupancy: 16
; WaveLimiterHint : 0
; COMPUTE_PGM_RSRC2:SCRATCH_EN: 0
; COMPUTE_PGM_RSRC2:USER_SGPR: 2
; COMPUTE_PGM_RSRC2:TRAP_HANDLER: 0
; COMPUTE_PGM_RSRC2:TGID_X_EN: 1
; COMPUTE_PGM_RSRC2:TGID_Y_EN: 0
; COMPUTE_PGM_RSRC2:TGID_Z_EN: 0
; COMPUTE_PGM_RSRC2:TIDIG_COMP_CNT: 0
	.section	.text._ZN7rocprim17ROCPRIM_400000_NS6detail17trampoline_kernelINS0_14default_configENS1_25partition_config_selectorILNS1_17partition_subalgoE5EtNS0_10empty_typeEbEEZZNS1_14partition_implILS5_5ELb0ES3_mN6thrust23THRUST_200600_302600_NS6detail15normal_iteratorINSA_10device_ptrItEEEEPS6_NSA_18transform_iteratorINSB_9not_fun_tI7is_trueItEEESF_NSA_11use_defaultESM_EENS0_5tupleIJSF_S6_EEENSO_IJSG_SG_EEES6_PlJS6_EEE10hipError_tPvRmT3_T4_T5_T6_T7_T9_mT8_P12ihipStream_tbDpT10_ENKUlT_T0_E_clISt17integral_constantIbLb1EES1B_EEDaS16_S17_EUlS16_E_NS1_11comp_targetILNS1_3genE0ELNS1_11target_archE4294967295ELNS1_3gpuE0ELNS1_3repE0EEENS1_30default_config_static_selectorELNS0_4arch9wavefront6targetE0EEEvT1_,"axG",@progbits,_ZN7rocprim17ROCPRIM_400000_NS6detail17trampoline_kernelINS0_14default_configENS1_25partition_config_selectorILNS1_17partition_subalgoE5EtNS0_10empty_typeEbEEZZNS1_14partition_implILS5_5ELb0ES3_mN6thrust23THRUST_200600_302600_NS6detail15normal_iteratorINSA_10device_ptrItEEEEPS6_NSA_18transform_iteratorINSB_9not_fun_tI7is_trueItEEESF_NSA_11use_defaultESM_EENS0_5tupleIJSF_S6_EEENSO_IJSG_SG_EEES6_PlJS6_EEE10hipError_tPvRmT3_T4_T5_T6_T7_T9_mT8_P12ihipStream_tbDpT10_ENKUlT_T0_E_clISt17integral_constantIbLb1EES1B_EEDaS16_S17_EUlS16_E_NS1_11comp_targetILNS1_3genE0ELNS1_11target_archE4294967295ELNS1_3gpuE0ELNS1_3repE0EEENS1_30default_config_static_selectorELNS0_4arch9wavefront6targetE0EEEvT1_,comdat
	.protected	_ZN7rocprim17ROCPRIM_400000_NS6detail17trampoline_kernelINS0_14default_configENS1_25partition_config_selectorILNS1_17partition_subalgoE5EtNS0_10empty_typeEbEEZZNS1_14partition_implILS5_5ELb0ES3_mN6thrust23THRUST_200600_302600_NS6detail15normal_iteratorINSA_10device_ptrItEEEEPS6_NSA_18transform_iteratorINSB_9not_fun_tI7is_trueItEEESF_NSA_11use_defaultESM_EENS0_5tupleIJSF_S6_EEENSO_IJSG_SG_EEES6_PlJS6_EEE10hipError_tPvRmT3_T4_T5_T6_T7_T9_mT8_P12ihipStream_tbDpT10_ENKUlT_T0_E_clISt17integral_constantIbLb1EES1B_EEDaS16_S17_EUlS16_E_NS1_11comp_targetILNS1_3genE0ELNS1_11target_archE4294967295ELNS1_3gpuE0ELNS1_3repE0EEENS1_30default_config_static_selectorELNS0_4arch9wavefront6targetE0EEEvT1_ ; -- Begin function _ZN7rocprim17ROCPRIM_400000_NS6detail17trampoline_kernelINS0_14default_configENS1_25partition_config_selectorILNS1_17partition_subalgoE5EtNS0_10empty_typeEbEEZZNS1_14partition_implILS5_5ELb0ES3_mN6thrust23THRUST_200600_302600_NS6detail15normal_iteratorINSA_10device_ptrItEEEEPS6_NSA_18transform_iteratorINSB_9not_fun_tI7is_trueItEEESF_NSA_11use_defaultESM_EENS0_5tupleIJSF_S6_EEENSO_IJSG_SG_EEES6_PlJS6_EEE10hipError_tPvRmT3_T4_T5_T6_T7_T9_mT8_P12ihipStream_tbDpT10_ENKUlT_T0_E_clISt17integral_constantIbLb1EES1B_EEDaS16_S17_EUlS16_E_NS1_11comp_targetILNS1_3genE0ELNS1_11target_archE4294967295ELNS1_3gpuE0ELNS1_3repE0EEENS1_30default_config_static_selectorELNS0_4arch9wavefront6targetE0EEEvT1_
	.globl	_ZN7rocprim17ROCPRIM_400000_NS6detail17trampoline_kernelINS0_14default_configENS1_25partition_config_selectorILNS1_17partition_subalgoE5EtNS0_10empty_typeEbEEZZNS1_14partition_implILS5_5ELb0ES3_mN6thrust23THRUST_200600_302600_NS6detail15normal_iteratorINSA_10device_ptrItEEEEPS6_NSA_18transform_iteratorINSB_9not_fun_tI7is_trueItEEESF_NSA_11use_defaultESM_EENS0_5tupleIJSF_S6_EEENSO_IJSG_SG_EEES6_PlJS6_EEE10hipError_tPvRmT3_T4_T5_T6_T7_T9_mT8_P12ihipStream_tbDpT10_ENKUlT_T0_E_clISt17integral_constantIbLb1EES1B_EEDaS16_S17_EUlS16_E_NS1_11comp_targetILNS1_3genE0ELNS1_11target_archE4294967295ELNS1_3gpuE0ELNS1_3repE0EEENS1_30default_config_static_selectorELNS0_4arch9wavefront6targetE0EEEvT1_
	.p2align	8
	.type	_ZN7rocprim17ROCPRIM_400000_NS6detail17trampoline_kernelINS0_14default_configENS1_25partition_config_selectorILNS1_17partition_subalgoE5EtNS0_10empty_typeEbEEZZNS1_14partition_implILS5_5ELb0ES3_mN6thrust23THRUST_200600_302600_NS6detail15normal_iteratorINSA_10device_ptrItEEEEPS6_NSA_18transform_iteratorINSB_9not_fun_tI7is_trueItEEESF_NSA_11use_defaultESM_EENS0_5tupleIJSF_S6_EEENSO_IJSG_SG_EEES6_PlJS6_EEE10hipError_tPvRmT3_T4_T5_T6_T7_T9_mT8_P12ihipStream_tbDpT10_ENKUlT_T0_E_clISt17integral_constantIbLb1EES1B_EEDaS16_S17_EUlS16_E_NS1_11comp_targetILNS1_3genE0ELNS1_11target_archE4294967295ELNS1_3gpuE0ELNS1_3repE0EEENS1_30default_config_static_selectorELNS0_4arch9wavefront6targetE0EEEvT1_,@function
_ZN7rocprim17ROCPRIM_400000_NS6detail17trampoline_kernelINS0_14default_configENS1_25partition_config_selectorILNS1_17partition_subalgoE5EtNS0_10empty_typeEbEEZZNS1_14partition_implILS5_5ELb0ES3_mN6thrust23THRUST_200600_302600_NS6detail15normal_iteratorINSA_10device_ptrItEEEEPS6_NSA_18transform_iteratorINSB_9not_fun_tI7is_trueItEEESF_NSA_11use_defaultESM_EENS0_5tupleIJSF_S6_EEENSO_IJSG_SG_EEES6_PlJS6_EEE10hipError_tPvRmT3_T4_T5_T6_T7_T9_mT8_P12ihipStream_tbDpT10_ENKUlT_T0_E_clISt17integral_constantIbLb1EES1B_EEDaS16_S17_EUlS16_E_NS1_11comp_targetILNS1_3genE0ELNS1_11target_archE4294967295ELNS1_3gpuE0ELNS1_3repE0EEENS1_30default_config_static_selectorELNS0_4arch9wavefront6targetE0EEEvT1_: ; @_ZN7rocprim17ROCPRIM_400000_NS6detail17trampoline_kernelINS0_14default_configENS1_25partition_config_selectorILNS1_17partition_subalgoE5EtNS0_10empty_typeEbEEZZNS1_14partition_implILS5_5ELb0ES3_mN6thrust23THRUST_200600_302600_NS6detail15normal_iteratorINSA_10device_ptrItEEEEPS6_NSA_18transform_iteratorINSB_9not_fun_tI7is_trueItEEESF_NSA_11use_defaultESM_EENS0_5tupleIJSF_S6_EEENSO_IJSG_SG_EEES6_PlJS6_EEE10hipError_tPvRmT3_T4_T5_T6_T7_T9_mT8_P12ihipStream_tbDpT10_ENKUlT_T0_E_clISt17integral_constantIbLb1EES1B_EEDaS16_S17_EUlS16_E_NS1_11comp_targetILNS1_3genE0ELNS1_11target_archE4294967295ELNS1_3gpuE0ELNS1_3repE0EEENS1_30default_config_static_selectorELNS0_4arch9wavefront6targetE0EEEvT1_
; %bb.0:
	.section	.rodata,"a",@progbits
	.p2align	6, 0x0
	.amdhsa_kernel _ZN7rocprim17ROCPRIM_400000_NS6detail17trampoline_kernelINS0_14default_configENS1_25partition_config_selectorILNS1_17partition_subalgoE5EtNS0_10empty_typeEbEEZZNS1_14partition_implILS5_5ELb0ES3_mN6thrust23THRUST_200600_302600_NS6detail15normal_iteratorINSA_10device_ptrItEEEEPS6_NSA_18transform_iteratorINSB_9not_fun_tI7is_trueItEEESF_NSA_11use_defaultESM_EENS0_5tupleIJSF_S6_EEENSO_IJSG_SG_EEES6_PlJS6_EEE10hipError_tPvRmT3_T4_T5_T6_T7_T9_mT8_P12ihipStream_tbDpT10_ENKUlT_T0_E_clISt17integral_constantIbLb1EES1B_EEDaS16_S17_EUlS16_E_NS1_11comp_targetILNS1_3genE0ELNS1_11target_archE4294967295ELNS1_3gpuE0ELNS1_3repE0EEENS1_30default_config_static_selectorELNS0_4arch9wavefront6targetE0EEEvT1_
		.amdhsa_group_segment_fixed_size 0
		.amdhsa_private_segment_fixed_size 0
		.amdhsa_kernarg_size 136
		.amdhsa_user_sgpr_count 2
		.amdhsa_user_sgpr_dispatch_ptr 0
		.amdhsa_user_sgpr_queue_ptr 0
		.amdhsa_user_sgpr_kernarg_segment_ptr 1
		.amdhsa_user_sgpr_dispatch_id 0
		.amdhsa_user_sgpr_private_segment_size 0
		.amdhsa_wavefront_size32 1
		.amdhsa_uses_dynamic_stack 0
		.amdhsa_enable_private_segment 0
		.amdhsa_system_sgpr_workgroup_id_x 1
		.amdhsa_system_sgpr_workgroup_id_y 0
		.amdhsa_system_sgpr_workgroup_id_z 0
		.amdhsa_system_sgpr_workgroup_info 0
		.amdhsa_system_vgpr_workitem_id 0
		.amdhsa_next_free_vgpr 1
		.amdhsa_next_free_sgpr 1
		.amdhsa_reserve_vcc 0
		.amdhsa_float_round_mode_32 0
		.amdhsa_float_round_mode_16_64 0
		.amdhsa_float_denorm_mode_32 3
		.amdhsa_float_denorm_mode_16_64 3
		.amdhsa_fp16_overflow 0
		.amdhsa_workgroup_processor_mode 1
		.amdhsa_memory_ordered 1
		.amdhsa_forward_progress 1
		.amdhsa_inst_pref_size 0
		.amdhsa_round_robin_scheduling 0
		.amdhsa_exception_fp_ieee_invalid_op 0
		.amdhsa_exception_fp_denorm_src 0
		.amdhsa_exception_fp_ieee_div_zero 0
		.amdhsa_exception_fp_ieee_overflow 0
		.amdhsa_exception_fp_ieee_underflow 0
		.amdhsa_exception_fp_ieee_inexact 0
		.amdhsa_exception_int_div_zero 0
	.end_amdhsa_kernel
	.section	.text._ZN7rocprim17ROCPRIM_400000_NS6detail17trampoline_kernelINS0_14default_configENS1_25partition_config_selectorILNS1_17partition_subalgoE5EtNS0_10empty_typeEbEEZZNS1_14partition_implILS5_5ELb0ES3_mN6thrust23THRUST_200600_302600_NS6detail15normal_iteratorINSA_10device_ptrItEEEEPS6_NSA_18transform_iteratorINSB_9not_fun_tI7is_trueItEEESF_NSA_11use_defaultESM_EENS0_5tupleIJSF_S6_EEENSO_IJSG_SG_EEES6_PlJS6_EEE10hipError_tPvRmT3_T4_T5_T6_T7_T9_mT8_P12ihipStream_tbDpT10_ENKUlT_T0_E_clISt17integral_constantIbLb1EES1B_EEDaS16_S17_EUlS16_E_NS1_11comp_targetILNS1_3genE0ELNS1_11target_archE4294967295ELNS1_3gpuE0ELNS1_3repE0EEENS1_30default_config_static_selectorELNS0_4arch9wavefront6targetE0EEEvT1_,"axG",@progbits,_ZN7rocprim17ROCPRIM_400000_NS6detail17trampoline_kernelINS0_14default_configENS1_25partition_config_selectorILNS1_17partition_subalgoE5EtNS0_10empty_typeEbEEZZNS1_14partition_implILS5_5ELb0ES3_mN6thrust23THRUST_200600_302600_NS6detail15normal_iteratorINSA_10device_ptrItEEEEPS6_NSA_18transform_iteratorINSB_9not_fun_tI7is_trueItEEESF_NSA_11use_defaultESM_EENS0_5tupleIJSF_S6_EEENSO_IJSG_SG_EEES6_PlJS6_EEE10hipError_tPvRmT3_T4_T5_T6_T7_T9_mT8_P12ihipStream_tbDpT10_ENKUlT_T0_E_clISt17integral_constantIbLb1EES1B_EEDaS16_S17_EUlS16_E_NS1_11comp_targetILNS1_3genE0ELNS1_11target_archE4294967295ELNS1_3gpuE0ELNS1_3repE0EEENS1_30default_config_static_selectorELNS0_4arch9wavefront6targetE0EEEvT1_,comdat
.Lfunc_end1442:
	.size	_ZN7rocprim17ROCPRIM_400000_NS6detail17trampoline_kernelINS0_14default_configENS1_25partition_config_selectorILNS1_17partition_subalgoE5EtNS0_10empty_typeEbEEZZNS1_14partition_implILS5_5ELb0ES3_mN6thrust23THRUST_200600_302600_NS6detail15normal_iteratorINSA_10device_ptrItEEEEPS6_NSA_18transform_iteratorINSB_9not_fun_tI7is_trueItEEESF_NSA_11use_defaultESM_EENS0_5tupleIJSF_S6_EEENSO_IJSG_SG_EEES6_PlJS6_EEE10hipError_tPvRmT3_T4_T5_T6_T7_T9_mT8_P12ihipStream_tbDpT10_ENKUlT_T0_E_clISt17integral_constantIbLb1EES1B_EEDaS16_S17_EUlS16_E_NS1_11comp_targetILNS1_3genE0ELNS1_11target_archE4294967295ELNS1_3gpuE0ELNS1_3repE0EEENS1_30default_config_static_selectorELNS0_4arch9wavefront6targetE0EEEvT1_, .Lfunc_end1442-_ZN7rocprim17ROCPRIM_400000_NS6detail17trampoline_kernelINS0_14default_configENS1_25partition_config_selectorILNS1_17partition_subalgoE5EtNS0_10empty_typeEbEEZZNS1_14partition_implILS5_5ELb0ES3_mN6thrust23THRUST_200600_302600_NS6detail15normal_iteratorINSA_10device_ptrItEEEEPS6_NSA_18transform_iteratorINSB_9not_fun_tI7is_trueItEEESF_NSA_11use_defaultESM_EENS0_5tupleIJSF_S6_EEENSO_IJSG_SG_EEES6_PlJS6_EEE10hipError_tPvRmT3_T4_T5_T6_T7_T9_mT8_P12ihipStream_tbDpT10_ENKUlT_T0_E_clISt17integral_constantIbLb1EES1B_EEDaS16_S17_EUlS16_E_NS1_11comp_targetILNS1_3genE0ELNS1_11target_archE4294967295ELNS1_3gpuE0ELNS1_3repE0EEENS1_30default_config_static_selectorELNS0_4arch9wavefront6targetE0EEEvT1_
                                        ; -- End function
	.set _ZN7rocprim17ROCPRIM_400000_NS6detail17trampoline_kernelINS0_14default_configENS1_25partition_config_selectorILNS1_17partition_subalgoE5EtNS0_10empty_typeEbEEZZNS1_14partition_implILS5_5ELb0ES3_mN6thrust23THRUST_200600_302600_NS6detail15normal_iteratorINSA_10device_ptrItEEEEPS6_NSA_18transform_iteratorINSB_9not_fun_tI7is_trueItEEESF_NSA_11use_defaultESM_EENS0_5tupleIJSF_S6_EEENSO_IJSG_SG_EEES6_PlJS6_EEE10hipError_tPvRmT3_T4_T5_T6_T7_T9_mT8_P12ihipStream_tbDpT10_ENKUlT_T0_E_clISt17integral_constantIbLb1EES1B_EEDaS16_S17_EUlS16_E_NS1_11comp_targetILNS1_3genE0ELNS1_11target_archE4294967295ELNS1_3gpuE0ELNS1_3repE0EEENS1_30default_config_static_selectorELNS0_4arch9wavefront6targetE0EEEvT1_.num_vgpr, 0
	.set _ZN7rocprim17ROCPRIM_400000_NS6detail17trampoline_kernelINS0_14default_configENS1_25partition_config_selectorILNS1_17partition_subalgoE5EtNS0_10empty_typeEbEEZZNS1_14partition_implILS5_5ELb0ES3_mN6thrust23THRUST_200600_302600_NS6detail15normal_iteratorINSA_10device_ptrItEEEEPS6_NSA_18transform_iteratorINSB_9not_fun_tI7is_trueItEEESF_NSA_11use_defaultESM_EENS0_5tupleIJSF_S6_EEENSO_IJSG_SG_EEES6_PlJS6_EEE10hipError_tPvRmT3_T4_T5_T6_T7_T9_mT8_P12ihipStream_tbDpT10_ENKUlT_T0_E_clISt17integral_constantIbLb1EES1B_EEDaS16_S17_EUlS16_E_NS1_11comp_targetILNS1_3genE0ELNS1_11target_archE4294967295ELNS1_3gpuE0ELNS1_3repE0EEENS1_30default_config_static_selectorELNS0_4arch9wavefront6targetE0EEEvT1_.num_agpr, 0
	.set _ZN7rocprim17ROCPRIM_400000_NS6detail17trampoline_kernelINS0_14default_configENS1_25partition_config_selectorILNS1_17partition_subalgoE5EtNS0_10empty_typeEbEEZZNS1_14partition_implILS5_5ELb0ES3_mN6thrust23THRUST_200600_302600_NS6detail15normal_iteratorINSA_10device_ptrItEEEEPS6_NSA_18transform_iteratorINSB_9not_fun_tI7is_trueItEEESF_NSA_11use_defaultESM_EENS0_5tupleIJSF_S6_EEENSO_IJSG_SG_EEES6_PlJS6_EEE10hipError_tPvRmT3_T4_T5_T6_T7_T9_mT8_P12ihipStream_tbDpT10_ENKUlT_T0_E_clISt17integral_constantIbLb1EES1B_EEDaS16_S17_EUlS16_E_NS1_11comp_targetILNS1_3genE0ELNS1_11target_archE4294967295ELNS1_3gpuE0ELNS1_3repE0EEENS1_30default_config_static_selectorELNS0_4arch9wavefront6targetE0EEEvT1_.numbered_sgpr, 0
	.set _ZN7rocprim17ROCPRIM_400000_NS6detail17trampoline_kernelINS0_14default_configENS1_25partition_config_selectorILNS1_17partition_subalgoE5EtNS0_10empty_typeEbEEZZNS1_14partition_implILS5_5ELb0ES3_mN6thrust23THRUST_200600_302600_NS6detail15normal_iteratorINSA_10device_ptrItEEEEPS6_NSA_18transform_iteratorINSB_9not_fun_tI7is_trueItEEESF_NSA_11use_defaultESM_EENS0_5tupleIJSF_S6_EEENSO_IJSG_SG_EEES6_PlJS6_EEE10hipError_tPvRmT3_T4_T5_T6_T7_T9_mT8_P12ihipStream_tbDpT10_ENKUlT_T0_E_clISt17integral_constantIbLb1EES1B_EEDaS16_S17_EUlS16_E_NS1_11comp_targetILNS1_3genE0ELNS1_11target_archE4294967295ELNS1_3gpuE0ELNS1_3repE0EEENS1_30default_config_static_selectorELNS0_4arch9wavefront6targetE0EEEvT1_.num_named_barrier, 0
	.set _ZN7rocprim17ROCPRIM_400000_NS6detail17trampoline_kernelINS0_14default_configENS1_25partition_config_selectorILNS1_17partition_subalgoE5EtNS0_10empty_typeEbEEZZNS1_14partition_implILS5_5ELb0ES3_mN6thrust23THRUST_200600_302600_NS6detail15normal_iteratorINSA_10device_ptrItEEEEPS6_NSA_18transform_iteratorINSB_9not_fun_tI7is_trueItEEESF_NSA_11use_defaultESM_EENS0_5tupleIJSF_S6_EEENSO_IJSG_SG_EEES6_PlJS6_EEE10hipError_tPvRmT3_T4_T5_T6_T7_T9_mT8_P12ihipStream_tbDpT10_ENKUlT_T0_E_clISt17integral_constantIbLb1EES1B_EEDaS16_S17_EUlS16_E_NS1_11comp_targetILNS1_3genE0ELNS1_11target_archE4294967295ELNS1_3gpuE0ELNS1_3repE0EEENS1_30default_config_static_selectorELNS0_4arch9wavefront6targetE0EEEvT1_.private_seg_size, 0
	.set _ZN7rocprim17ROCPRIM_400000_NS6detail17trampoline_kernelINS0_14default_configENS1_25partition_config_selectorILNS1_17partition_subalgoE5EtNS0_10empty_typeEbEEZZNS1_14partition_implILS5_5ELb0ES3_mN6thrust23THRUST_200600_302600_NS6detail15normal_iteratorINSA_10device_ptrItEEEEPS6_NSA_18transform_iteratorINSB_9not_fun_tI7is_trueItEEESF_NSA_11use_defaultESM_EENS0_5tupleIJSF_S6_EEENSO_IJSG_SG_EEES6_PlJS6_EEE10hipError_tPvRmT3_T4_T5_T6_T7_T9_mT8_P12ihipStream_tbDpT10_ENKUlT_T0_E_clISt17integral_constantIbLb1EES1B_EEDaS16_S17_EUlS16_E_NS1_11comp_targetILNS1_3genE0ELNS1_11target_archE4294967295ELNS1_3gpuE0ELNS1_3repE0EEENS1_30default_config_static_selectorELNS0_4arch9wavefront6targetE0EEEvT1_.uses_vcc, 0
	.set _ZN7rocprim17ROCPRIM_400000_NS6detail17trampoline_kernelINS0_14default_configENS1_25partition_config_selectorILNS1_17partition_subalgoE5EtNS0_10empty_typeEbEEZZNS1_14partition_implILS5_5ELb0ES3_mN6thrust23THRUST_200600_302600_NS6detail15normal_iteratorINSA_10device_ptrItEEEEPS6_NSA_18transform_iteratorINSB_9not_fun_tI7is_trueItEEESF_NSA_11use_defaultESM_EENS0_5tupleIJSF_S6_EEENSO_IJSG_SG_EEES6_PlJS6_EEE10hipError_tPvRmT3_T4_T5_T6_T7_T9_mT8_P12ihipStream_tbDpT10_ENKUlT_T0_E_clISt17integral_constantIbLb1EES1B_EEDaS16_S17_EUlS16_E_NS1_11comp_targetILNS1_3genE0ELNS1_11target_archE4294967295ELNS1_3gpuE0ELNS1_3repE0EEENS1_30default_config_static_selectorELNS0_4arch9wavefront6targetE0EEEvT1_.uses_flat_scratch, 0
	.set _ZN7rocprim17ROCPRIM_400000_NS6detail17trampoline_kernelINS0_14default_configENS1_25partition_config_selectorILNS1_17partition_subalgoE5EtNS0_10empty_typeEbEEZZNS1_14partition_implILS5_5ELb0ES3_mN6thrust23THRUST_200600_302600_NS6detail15normal_iteratorINSA_10device_ptrItEEEEPS6_NSA_18transform_iteratorINSB_9not_fun_tI7is_trueItEEESF_NSA_11use_defaultESM_EENS0_5tupleIJSF_S6_EEENSO_IJSG_SG_EEES6_PlJS6_EEE10hipError_tPvRmT3_T4_T5_T6_T7_T9_mT8_P12ihipStream_tbDpT10_ENKUlT_T0_E_clISt17integral_constantIbLb1EES1B_EEDaS16_S17_EUlS16_E_NS1_11comp_targetILNS1_3genE0ELNS1_11target_archE4294967295ELNS1_3gpuE0ELNS1_3repE0EEENS1_30default_config_static_selectorELNS0_4arch9wavefront6targetE0EEEvT1_.has_dyn_sized_stack, 0
	.set _ZN7rocprim17ROCPRIM_400000_NS6detail17trampoline_kernelINS0_14default_configENS1_25partition_config_selectorILNS1_17partition_subalgoE5EtNS0_10empty_typeEbEEZZNS1_14partition_implILS5_5ELb0ES3_mN6thrust23THRUST_200600_302600_NS6detail15normal_iteratorINSA_10device_ptrItEEEEPS6_NSA_18transform_iteratorINSB_9not_fun_tI7is_trueItEEESF_NSA_11use_defaultESM_EENS0_5tupleIJSF_S6_EEENSO_IJSG_SG_EEES6_PlJS6_EEE10hipError_tPvRmT3_T4_T5_T6_T7_T9_mT8_P12ihipStream_tbDpT10_ENKUlT_T0_E_clISt17integral_constantIbLb1EES1B_EEDaS16_S17_EUlS16_E_NS1_11comp_targetILNS1_3genE0ELNS1_11target_archE4294967295ELNS1_3gpuE0ELNS1_3repE0EEENS1_30default_config_static_selectorELNS0_4arch9wavefront6targetE0EEEvT1_.has_recursion, 0
	.set _ZN7rocprim17ROCPRIM_400000_NS6detail17trampoline_kernelINS0_14default_configENS1_25partition_config_selectorILNS1_17partition_subalgoE5EtNS0_10empty_typeEbEEZZNS1_14partition_implILS5_5ELb0ES3_mN6thrust23THRUST_200600_302600_NS6detail15normal_iteratorINSA_10device_ptrItEEEEPS6_NSA_18transform_iteratorINSB_9not_fun_tI7is_trueItEEESF_NSA_11use_defaultESM_EENS0_5tupleIJSF_S6_EEENSO_IJSG_SG_EEES6_PlJS6_EEE10hipError_tPvRmT3_T4_T5_T6_T7_T9_mT8_P12ihipStream_tbDpT10_ENKUlT_T0_E_clISt17integral_constantIbLb1EES1B_EEDaS16_S17_EUlS16_E_NS1_11comp_targetILNS1_3genE0ELNS1_11target_archE4294967295ELNS1_3gpuE0ELNS1_3repE0EEENS1_30default_config_static_selectorELNS0_4arch9wavefront6targetE0EEEvT1_.has_indirect_call, 0
	.section	.AMDGPU.csdata,"",@progbits
; Kernel info:
; codeLenInByte = 0
; TotalNumSgprs: 0
; NumVgprs: 0
; ScratchSize: 0
; MemoryBound: 0
; FloatMode: 240
; IeeeMode: 1
; LDSByteSize: 0 bytes/workgroup (compile time only)
; SGPRBlocks: 0
; VGPRBlocks: 0
; NumSGPRsForWavesPerEU: 1
; NumVGPRsForWavesPerEU: 1
; Occupancy: 16
; WaveLimiterHint : 0
; COMPUTE_PGM_RSRC2:SCRATCH_EN: 0
; COMPUTE_PGM_RSRC2:USER_SGPR: 2
; COMPUTE_PGM_RSRC2:TRAP_HANDLER: 0
; COMPUTE_PGM_RSRC2:TGID_X_EN: 1
; COMPUTE_PGM_RSRC2:TGID_Y_EN: 0
; COMPUTE_PGM_RSRC2:TGID_Z_EN: 0
; COMPUTE_PGM_RSRC2:TIDIG_COMP_CNT: 0
	.section	.text._ZN7rocprim17ROCPRIM_400000_NS6detail17trampoline_kernelINS0_14default_configENS1_25partition_config_selectorILNS1_17partition_subalgoE5EtNS0_10empty_typeEbEEZZNS1_14partition_implILS5_5ELb0ES3_mN6thrust23THRUST_200600_302600_NS6detail15normal_iteratorINSA_10device_ptrItEEEEPS6_NSA_18transform_iteratorINSB_9not_fun_tI7is_trueItEEESF_NSA_11use_defaultESM_EENS0_5tupleIJSF_S6_EEENSO_IJSG_SG_EEES6_PlJS6_EEE10hipError_tPvRmT3_T4_T5_T6_T7_T9_mT8_P12ihipStream_tbDpT10_ENKUlT_T0_E_clISt17integral_constantIbLb1EES1B_EEDaS16_S17_EUlS16_E_NS1_11comp_targetILNS1_3genE5ELNS1_11target_archE942ELNS1_3gpuE9ELNS1_3repE0EEENS1_30default_config_static_selectorELNS0_4arch9wavefront6targetE0EEEvT1_,"axG",@progbits,_ZN7rocprim17ROCPRIM_400000_NS6detail17trampoline_kernelINS0_14default_configENS1_25partition_config_selectorILNS1_17partition_subalgoE5EtNS0_10empty_typeEbEEZZNS1_14partition_implILS5_5ELb0ES3_mN6thrust23THRUST_200600_302600_NS6detail15normal_iteratorINSA_10device_ptrItEEEEPS6_NSA_18transform_iteratorINSB_9not_fun_tI7is_trueItEEESF_NSA_11use_defaultESM_EENS0_5tupleIJSF_S6_EEENSO_IJSG_SG_EEES6_PlJS6_EEE10hipError_tPvRmT3_T4_T5_T6_T7_T9_mT8_P12ihipStream_tbDpT10_ENKUlT_T0_E_clISt17integral_constantIbLb1EES1B_EEDaS16_S17_EUlS16_E_NS1_11comp_targetILNS1_3genE5ELNS1_11target_archE942ELNS1_3gpuE9ELNS1_3repE0EEENS1_30default_config_static_selectorELNS0_4arch9wavefront6targetE0EEEvT1_,comdat
	.protected	_ZN7rocprim17ROCPRIM_400000_NS6detail17trampoline_kernelINS0_14default_configENS1_25partition_config_selectorILNS1_17partition_subalgoE5EtNS0_10empty_typeEbEEZZNS1_14partition_implILS5_5ELb0ES3_mN6thrust23THRUST_200600_302600_NS6detail15normal_iteratorINSA_10device_ptrItEEEEPS6_NSA_18transform_iteratorINSB_9not_fun_tI7is_trueItEEESF_NSA_11use_defaultESM_EENS0_5tupleIJSF_S6_EEENSO_IJSG_SG_EEES6_PlJS6_EEE10hipError_tPvRmT3_T4_T5_T6_T7_T9_mT8_P12ihipStream_tbDpT10_ENKUlT_T0_E_clISt17integral_constantIbLb1EES1B_EEDaS16_S17_EUlS16_E_NS1_11comp_targetILNS1_3genE5ELNS1_11target_archE942ELNS1_3gpuE9ELNS1_3repE0EEENS1_30default_config_static_selectorELNS0_4arch9wavefront6targetE0EEEvT1_ ; -- Begin function _ZN7rocprim17ROCPRIM_400000_NS6detail17trampoline_kernelINS0_14default_configENS1_25partition_config_selectorILNS1_17partition_subalgoE5EtNS0_10empty_typeEbEEZZNS1_14partition_implILS5_5ELb0ES3_mN6thrust23THRUST_200600_302600_NS6detail15normal_iteratorINSA_10device_ptrItEEEEPS6_NSA_18transform_iteratorINSB_9not_fun_tI7is_trueItEEESF_NSA_11use_defaultESM_EENS0_5tupleIJSF_S6_EEENSO_IJSG_SG_EEES6_PlJS6_EEE10hipError_tPvRmT3_T4_T5_T6_T7_T9_mT8_P12ihipStream_tbDpT10_ENKUlT_T0_E_clISt17integral_constantIbLb1EES1B_EEDaS16_S17_EUlS16_E_NS1_11comp_targetILNS1_3genE5ELNS1_11target_archE942ELNS1_3gpuE9ELNS1_3repE0EEENS1_30default_config_static_selectorELNS0_4arch9wavefront6targetE0EEEvT1_
	.globl	_ZN7rocprim17ROCPRIM_400000_NS6detail17trampoline_kernelINS0_14default_configENS1_25partition_config_selectorILNS1_17partition_subalgoE5EtNS0_10empty_typeEbEEZZNS1_14partition_implILS5_5ELb0ES3_mN6thrust23THRUST_200600_302600_NS6detail15normal_iteratorINSA_10device_ptrItEEEEPS6_NSA_18transform_iteratorINSB_9not_fun_tI7is_trueItEEESF_NSA_11use_defaultESM_EENS0_5tupleIJSF_S6_EEENSO_IJSG_SG_EEES6_PlJS6_EEE10hipError_tPvRmT3_T4_T5_T6_T7_T9_mT8_P12ihipStream_tbDpT10_ENKUlT_T0_E_clISt17integral_constantIbLb1EES1B_EEDaS16_S17_EUlS16_E_NS1_11comp_targetILNS1_3genE5ELNS1_11target_archE942ELNS1_3gpuE9ELNS1_3repE0EEENS1_30default_config_static_selectorELNS0_4arch9wavefront6targetE0EEEvT1_
	.p2align	8
	.type	_ZN7rocprim17ROCPRIM_400000_NS6detail17trampoline_kernelINS0_14default_configENS1_25partition_config_selectorILNS1_17partition_subalgoE5EtNS0_10empty_typeEbEEZZNS1_14partition_implILS5_5ELb0ES3_mN6thrust23THRUST_200600_302600_NS6detail15normal_iteratorINSA_10device_ptrItEEEEPS6_NSA_18transform_iteratorINSB_9not_fun_tI7is_trueItEEESF_NSA_11use_defaultESM_EENS0_5tupleIJSF_S6_EEENSO_IJSG_SG_EEES6_PlJS6_EEE10hipError_tPvRmT3_T4_T5_T6_T7_T9_mT8_P12ihipStream_tbDpT10_ENKUlT_T0_E_clISt17integral_constantIbLb1EES1B_EEDaS16_S17_EUlS16_E_NS1_11comp_targetILNS1_3genE5ELNS1_11target_archE942ELNS1_3gpuE9ELNS1_3repE0EEENS1_30default_config_static_selectorELNS0_4arch9wavefront6targetE0EEEvT1_,@function
_ZN7rocprim17ROCPRIM_400000_NS6detail17trampoline_kernelINS0_14default_configENS1_25partition_config_selectorILNS1_17partition_subalgoE5EtNS0_10empty_typeEbEEZZNS1_14partition_implILS5_5ELb0ES3_mN6thrust23THRUST_200600_302600_NS6detail15normal_iteratorINSA_10device_ptrItEEEEPS6_NSA_18transform_iteratorINSB_9not_fun_tI7is_trueItEEESF_NSA_11use_defaultESM_EENS0_5tupleIJSF_S6_EEENSO_IJSG_SG_EEES6_PlJS6_EEE10hipError_tPvRmT3_T4_T5_T6_T7_T9_mT8_P12ihipStream_tbDpT10_ENKUlT_T0_E_clISt17integral_constantIbLb1EES1B_EEDaS16_S17_EUlS16_E_NS1_11comp_targetILNS1_3genE5ELNS1_11target_archE942ELNS1_3gpuE9ELNS1_3repE0EEENS1_30default_config_static_selectorELNS0_4arch9wavefront6targetE0EEEvT1_: ; @_ZN7rocprim17ROCPRIM_400000_NS6detail17trampoline_kernelINS0_14default_configENS1_25partition_config_selectorILNS1_17partition_subalgoE5EtNS0_10empty_typeEbEEZZNS1_14partition_implILS5_5ELb0ES3_mN6thrust23THRUST_200600_302600_NS6detail15normal_iteratorINSA_10device_ptrItEEEEPS6_NSA_18transform_iteratorINSB_9not_fun_tI7is_trueItEEESF_NSA_11use_defaultESM_EENS0_5tupleIJSF_S6_EEENSO_IJSG_SG_EEES6_PlJS6_EEE10hipError_tPvRmT3_T4_T5_T6_T7_T9_mT8_P12ihipStream_tbDpT10_ENKUlT_T0_E_clISt17integral_constantIbLb1EES1B_EEDaS16_S17_EUlS16_E_NS1_11comp_targetILNS1_3genE5ELNS1_11target_archE942ELNS1_3gpuE9ELNS1_3repE0EEENS1_30default_config_static_selectorELNS0_4arch9wavefront6targetE0EEEvT1_
; %bb.0:
	.section	.rodata,"a",@progbits
	.p2align	6, 0x0
	.amdhsa_kernel _ZN7rocprim17ROCPRIM_400000_NS6detail17trampoline_kernelINS0_14default_configENS1_25partition_config_selectorILNS1_17partition_subalgoE5EtNS0_10empty_typeEbEEZZNS1_14partition_implILS5_5ELb0ES3_mN6thrust23THRUST_200600_302600_NS6detail15normal_iteratorINSA_10device_ptrItEEEEPS6_NSA_18transform_iteratorINSB_9not_fun_tI7is_trueItEEESF_NSA_11use_defaultESM_EENS0_5tupleIJSF_S6_EEENSO_IJSG_SG_EEES6_PlJS6_EEE10hipError_tPvRmT3_T4_T5_T6_T7_T9_mT8_P12ihipStream_tbDpT10_ENKUlT_T0_E_clISt17integral_constantIbLb1EES1B_EEDaS16_S17_EUlS16_E_NS1_11comp_targetILNS1_3genE5ELNS1_11target_archE942ELNS1_3gpuE9ELNS1_3repE0EEENS1_30default_config_static_selectorELNS0_4arch9wavefront6targetE0EEEvT1_
		.amdhsa_group_segment_fixed_size 0
		.amdhsa_private_segment_fixed_size 0
		.amdhsa_kernarg_size 136
		.amdhsa_user_sgpr_count 2
		.amdhsa_user_sgpr_dispatch_ptr 0
		.amdhsa_user_sgpr_queue_ptr 0
		.amdhsa_user_sgpr_kernarg_segment_ptr 1
		.amdhsa_user_sgpr_dispatch_id 0
		.amdhsa_user_sgpr_private_segment_size 0
		.amdhsa_wavefront_size32 1
		.amdhsa_uses_dynamic_stack 0
		.amdhsa_enable_private_segment 0
		.amdhsa_system_sgpr_workgroup_id_x 1
		.amdhsa_system_sgpr_workgroup_id_y 0
		.amdhsa_system_sgpr_workgroup_id_z 0
		.amdhsa_system_sgpr_workgroup_info 0
		.amdhsa_system_vgpr_workitem_id 0
		.amdhsa_next_free_vgpr 1
		.amdhsa_next_free_sgpr 1
		.amdhsa_reserve_vcc 0
		.amdhsa_float_round_mode_32 0
		.amdhsa_float_round_mode_16_64 0
		.amdhsa_float_denorm_mode_32 3
		.amdhsa_float_denorm_mode_16_64 3
		.amdhsa_fp16_overflow 0
		.amdhsa_workgroup_processor_mode 1
		.amdhsa_memory_ordered 1
		.amdhsa_forward_progress 1
		.amdhsa_inst_pref_size 0
		.amdhsa_round_robin_scheduling 0
		.amdhsa_exception_fp_ieee_invalid_op 0
		.amdhsa_exception_fp_denorm_src 0
		.amdhsa_exception_fp_ieee_div_zero 0
		.amdhsa_exception_fp_ieee_overflow 0
		.amdhsa_exception_fp_ieee_underflow 0
		.amdhsa_exception_fp_ieee_inexact 0
		.amdhsa_exception_int_div_zero 0
	.end_amdhsa_kernel
	.section	.text._ZN7rocprim17ROCPRIM_400000_NS6detail17trampoline_kernelINS0_14default_configENS1_25partition_config_selectorILNS1_17partition_subalgoE5EtNS0_10empty_typeEbEEZZNS1_14partition_implILS5_5ELb0ES3_mN6thrust23THRUST_200600_302600_NS6detail15normal_iteratorINSA_10device_ptrItEEEEPS6_NSA_18transform_iteratorINSB_9not_fun_tI7is_trueItEEESF_NSA_11use_defaultESM_EENS0_5tupleIJSF_S6_EEENSO_IJSG_SG_EEES6_PlJS6_EEE10hipError_tPvRmT3_T4_T5_T6_T7_T9_mT8_P12ihipStream_tbDpT10_ENKUlT_T0_E_clISt17integral_constantIbLb1EES1B_EEDaS16_S17_EUlS16_E_NS1_11comp_targetILNS1_3genE5ELNS1_11target_archE942ELNS1_3gpuE9ELNS1_3repE0EEENS1_30default_config_static_selectorELNS0_4arch9wavefront6targetE0EEEvT1_,"axG",@progbits,_ZN7rocprim17ROCPRIM_400000_NS6detail17trampoline_kernelINS0_14default_configENS1_25partition_config_selectorILNS1_17partition_subalgoE5EtNS0_10empty_typeEbEEZZNS1_14partition_implILS5_5ELb0ES3_mN6thrust23THRUST_200600_302600_NS6detail15normal_iteratorINSA_10device_ptrItEEEEPS6_NSA_18transform_iteratorINSB_9not_fun_tI7is_trueItEEESF_NSA_11use_defaultESM_EENS0_5tupleIJSF_S6_EEENSO_IJSG_SG_EEES6_PlJS6_EEE10hipError_tPvRmT3_T4_T5_T6_T7_T9_mT8_P12ihipStream_tbDpT10_ENKUlT_T0_E_clISt17integral_constantIbLb1EES1B_EEDaS16_S17_EUlS16_E_NS1_11comp_targetILNS1_3genE5ELNS1_11target_archE942ELNS1_3gpuE9ELNS1_3repE0EEENS1_30default_config_static_selectorELNS0_4arch9wavefront6targetE0EEEvT1_,comdat
.Lfunc_end1443:
	.size	_ZN7rocprim17ROCPRIM_400000_NS6detail17trampoline_kernelINS0_14default_configENS1_25partition_config_selectorILNS1_17partition_subalgoE5EtNS0_10empty_typeEbEEZZNS1_14partition_implILS5_5ELb0ES3_mN6thrust23THRUST_200600_302600_NS6detail15normal_iteratorINSA_10device_ptrItEEEEPS6_NSA_18transform_iteratorINSB_9not_fun_tI7is_trueItEEESF_NSA_11use_defaultESM_EENS0_5tupleIJSF_S6_EEENSO_IJSG_SG_EEES6_PlJS6_EEE10hipError_tPvRmT3_T4_T5_T6_T7_T9_mT8_P12ihipStream_tbDpT10_ENKUlT_T0_E_clISt17integral_constantIbLb1EES1B_EEDaS16_S17_EUlS16_E_NS1_11comp_targetILNS1_3genE5ELNS1_11target_archE942ELNS1_3gpuE9ELNS1_3repE0EEENS1_30default_config_static_selectorELNS0_4arch9wavefront6targetE0EEEvT1_, .Lfunc_end1443-_ZN7rocprim17ROCPRIM_400000_NS6detail17trampoline_kernelINS0_14default_configENS1_25partition_config_selectorILNS1_17partition_subalgoE5EtNS0_10empty_typeEbEEZZNS1_14partition_implILS5_5ELb0ES3_mN6thrust23THRUST_200600_302600_NS6detail15normal_iteratorINSA_10device_ptrItEEEEPS6_NSA_18transform_iteratorINSB_9not_fun_tI7is_trueItEEESF_NSA_11use_defaultESM_EENS0_5tupleIJSF_S6_EEENSO_IJSG_SG_EEES6_PlJS6_EEE10hipError_tPvRmT3_T4_T5_T6_T7_T9_mT8_P12ihipStream_tbDpT10_ENKUlT_T0_E_clISt17integral_constantIbLb1EES1B_EEDaS16_S17_EUlS16_E_NS1_11comp_targetILNS1_3genE5ELNS1_11target_archE942ELNS1_3gpuE9ELNS1_3repE0EEENS1_30default_config_static_selectorELNS0_4arch9wavefront6targetE0EEEvT1_
                                        ; -- End function
	.set _ZN7rocprim17ROCPRIM_400000_NS6detail17trampoline_kernelINS0_14default_configENS1_25partition_config_selectorILNS1_17partition_subalgoE5EtNS0_10empty_typeEbEEZZNS1_14partition_implILS5_5ELb0ES3_mN6thrust23THRUST_200600_302600_NS6detail15normal_iteratorINSA_10device_ptrItEEEEPS6_NSA_18transform_iteratorINSB_9not_fun_tI7is_trueItEEESF_NSA_11use_defaultESM_EENS0_5tupleIJSF_S6_EEENSO_IJSG_SG_EEES6_PlJS6_EEE10hipError_tPvRmT3_T4_T5_T6_T7_T9_mT8_P12ihipStream_tbDpT10_ENKUlT_T0_E_clISt17integral_constantIbLb1EES1B_EEDaS16_S17_EUlS16_E_NS1_11comp_targetILNS1_3genE5ELNS1_11target_archE942ELNS1_3gpuE9ELNS1_3repE0EEENS1_30default_config_static_selectorELNS0_4arch9wavefront6targetE0EEEvT1_.num_vgpr, 0
	.set _ZN7rocprim17ROCPRIM_400000_NS6detail17trampoline_kernelINS0_14default_configENS1_25partition_config_selectorILNS1_17partition_subalgoE5EtNS0_10empty_typeEbEEZZNS1_14partition_implILS5_5ELb0ES3_mN6thrust23THRUST_200600_302600_NS6detail15normal_iteratorINSA_10device_ptrItEEEEPS6_NSA_18transform_iteratorINSB_9not_fun_tI7is_trueItEEESF_NSA_11use_defaultESM_EENS0_5tupleIJSF_S6_EEENSO_IJSG_SG_EEES6_PlJS6_EEE10hipError_tPvRmT3_T4_T5_T6_T7_T9_mT8_P12ihipStream_tbDpT10_ENKUlT_T0_E_clISt17integral_constantIbLb1EES1B_EEDaS16_S17_EUlS16_E_NS1_11comp_targetILNS1_3genE5ELNS1_11target_archE942ELNS1_3gpuE9ELNS1_3repE0EEENS1_30default_config_static_selectorELNS0_4arch9wavefront6targetE0EEEvT1_.num_agpr, 0
	.set _ZN7rocprim17ROCPRIM_400000_NS6detail17trampoline_kernelINS0_14default_configENS1_25partition_config_selectorILNS1_17partition_subalgoE5EtNS0_10empty_typeEbEEZZNS1_14partition_implILS5_5ELb0ES3_mN6thrust23THRUST_200600_302600_NS6detail15normal_iteratorINSA_10device_ptrItEEEEPS6_NSA_18transform_iteratorINSB_9not_fun_tI7is_trueItEEESF_NSA_11use_defaultESM_EENS0_5tupleIJSF_S6_EEENSO_IJSG_SG_EEES6_PlJS6_EEE10hipError_tPvRmT3_T4_T5_T6_T7_T9_mT8_P12ihipStream_tbDpT10_ENKUlT_T0_E_clISt17integral_constantIbLb1EES1B_EEDaS16_S17_EUlS16_E_NS1_11comp_targetILNS1_3genE5ELNS1_11target_archE942ELNS1_3gpuE9ELNS1_3repE0EEENS1_30default_config_static_selectorELNS0_4arch9wavefront6targetE0EEEvT1_.numbered_sgpr, 0
	.set _ZN7rocprim17ROCPRIM_400000_NS6detail17trampoline_kernelINS0_14default_configENS1_25partition_config_selectorILNS1_17partition_subalgoE5EtNS0_10empty_typeEbEEZZNS1_14partition_implILS5_5ELb0ES3_mN6thrust23THRUST_200600_302600_NS6detail15normal_iteratorINSA_10device_ptrItEEEEPS6_NSA_18transform_iteratorINSB_9not_fun_tI7is_trueItEEESF_NSA_11use_defaultESM_EENS0_5tupleIJSF_S6_EEENSO_IJSG_SG_EEES6_PlJS6_EEE10hipError_tPvRmT3_T4_T5_T6_T7_T9_mT8_P12ihipStream_tbDpT10_ENKUlT_T0_E_clISt17integral_constantIbLb1EES1B_EEDaS16_S17_EUlS16_E_NS1_11comp_targetILNS1_3genE5ELNS1_11target_archE942ELNS1_3gpuE9ELNS1_3repE0EEENS1_30default_config_static_selectorELNS0_4arch9wavefront6targetE0EEEvT1_.num_named_barrier, 0
	.set _ZN7rocprim17ROCPRIM_400000_NS6detail17trampoline_kernelINS0_14default_configENS1_25partition_config_selectorILNS1_17partition_subalgoE5EtNS0_10empty_typeEbEEZZNS1_14partition_implILS5_5ELb0ES3_mN6thrust23THRUST_200600_302600_NS6detail15normal_iteratorINSA_10device_ptrItEEEEPS6_NSA_18transform_iteratorINSB_9not_fun_tI7is_trueItEEESF_NSA_11use_defaultESM_EENS0_5tupleIJSF_S6_EEENSO_IJSG_SG_EEES6_PlJS6_EEE10hipError_tPvRmT3_T4_T5_T6_T7_T9_mT8_P12ihipStream_tbDpT10_ENKUlT_T0_E_clISt17integral_constantIbLb1EES1B_EEDaS16_S17_EUlS16_E_NS1_11comp_targetILNS1_3genE5ELNS1_11target_archE942ELNS1_3gpuE9ELNS1_3repE0EEENS1_30default_config_static_selectorELNS0_4arch9wavefront6targetE0EEEvT1_.private_seg_size, 0
	.set _ZN7rocprim17ROCPRIM_400000_NS6detail17trampoline_kernelINS0_14default_configENS1_25partition_config_selectorILNS1_17partition_subalgoE5EtNS0_10empty_typeEbEEZZNS1_14partition_implILS5_5ELb0ES3_mN6thrust23THRUST_200600_302600_NS6detail15normal_iteratorINSA_10device_ptrItEEEEPS6_NSA_18transform_iteratorINSB_9not_fun_tI7is_trueItEEESF_NSA_11use_defaultESM_EENS0_5tupleIJSF_S6_EEENSO_IJSG_SG_EEES6_PlJS6_EEE10hipError_tPvRmT3_T4_T5_T6_T7_T9_mT8_P12ihipStream_tbDpT10_ENKUlT_T0_E_clISt17integral_constantIbLb1EES1B_EEDaS16_S17_EUlS16_E_NS1_11comp_targetILNS1_3genE5ELNS1_11target_archE942ELNS1_3gpuE9ELNS1_3repE0EEENS1_30default_config_static_selectorELNS0_4arch9wavefront6targetE0EEEvT1_.uses_vcc, 0
	.set _ZN7rocprim17ROCPRIM_400000_NS6detail17trampoline_kernelINS0_14default_configENS1_25partition_config_selectorILNS1_17partition_subalgoE5EtNS0_10empty_typeEbEEZZNS1_14partition_implILS5_5ELb0ES3_mN6thrust23THRUST_200600_302600_NS6detail15normal_iteratorINSA_10device_ptrItEEEEPS6_NSA_18transform_iteratorINSB_9not_fun_tI7is_trueItEEESF_NSA_11use_defaultESM_EENS0_5tupleIJSF_S6_EEENSO_IJSG_SG_EEES6_PlJS6_EEE10hipError_tPvRmT3_T4_T5_T6_T7_T9_mT8_P12ihipStream_tbDpT10_ENKUlT_T0_E_clISt17integral_constantIbLb1EES1B_EEDaS16_S17_EUlS16_E_NS1_11comp_targetILNS1_3genE5ELNS1_11target_archE942ELNS1_3gpuE9ELNS1_3repE0EEENS1_30default_config_static_selectorELNS0_4arch9wavefront6targetE0EEEvT1_.uses_flat_scratch, 0
	.set _ZN7rocprim17ROCPRIM_400000_NS6detail17trampoline_kernelINS0_14default_configENS1_25partition_config_selectorILNS1_17partition_subalgoE5EtNS0_10empty_typeEbEEZZNS1_14partition_implILS5_5ELb0ES3_mN6thrust23THRUST_200600_302600_NS6detail15normal_iteratorINSA_10device_ptrItEEEEPS6_NSA_18transform_iteratorINSB_9not_fun_tI7is_trueItEEESF_NSA_11use_defaultESM_EENS0_5tupleIJSF_S6_EEENSO_IJSG_SG_EEES6_PlJS6_EEE10hipError_tPvRmT3_T4_T5_T6_T7_T9_mT8_P12ihipStream_tbDpT10_ENKUlT_T0_E_clISt17integral_constantIbLb1EES1B_EEDaS16_S17_EUlS16_E_NS1_11comp_targetILNS1_3genE5ELNS1_11target_archE942ELNS1_3gpuE9ELNS1_3repE0EEENS1_30default_config_static_selectorELNS0_4arch9wavefront6targetE0EEEvT1_.has_dyn_sized_stack, 0
	.set _ZN7rocprim17ROCPRIM_400000_NS6detail17trampoline_kernelINS0_14default_configENS1_25partition_config_selectorILNS1_17partition_subalgoE5EtNS0_10empty_typeEbEEZZNS1_14partition_implILS5_5ELb0ES3_mN6thrust23THRUST_200600_302600_NS6detail15normal_iteratorINSA_10device_ptrItEEEEPS6_NSA_18transform_iteratorINSB_9not_fun_tI7is_trueItEEESF_NSA_11use_defaultESM_EENS0_5tupleIJSF_S6_EEENSO_IJSG_SG_EEES6_PlJS6_EEE10hipError_tPvRmT3_T4_T5_T6_T7_T9_mT8_P12ihipStream_tbDpT10_ENKUlT_T0_E_clISt17integral_constantIbLb1EES1B_EEDaS16_S17_EUlS16_E_NS1_11comp_targetILNS1_3genE5ELNS1_11target_archE942ELNS1_3gpuE9ELNS1_3repE0EEENS1_30default_config_static_selectorELNS0_4arch9wavefront6targetE0EEEvT1_.has_recursion, 0
	.set _ZN7rocprim17ROCPRIM_400000_NS6detail17trampoline_kernelINS0_14default_configENS1_25partition_config_selectorILNS1_17partition_subalgoE5EtNS0_10empty_typeEbEEZZNS1_14partition_implILS5_5ELb0ES3_mN6thrust23THRUST_200600_302600_NS6detail15normal_iteratorINSA_10device_ptrItEEEEPS6_NSA_18transform_iteratorINSB_9not_fun_tI7is_trueItEEESF_NSA_11use_defaultESM_EENS0_5tupleIJSF_S6_EEENSO_IJSG_SG_EEES6_PlJS6_EEE10hipError_tPvRmT3_T4_T5_T6_T7_T9_mT8_P12ihipStream_tbDpT10_ENKUlT_T0_E_clISt17integral_constantIbLb1EES1B_EEDaS16_S17_EUlS16_E_NS1_11comp_targetILNS1_3genE5ELNS1_11target_archE942ELNS1_3gpuE9ELNS1_3repE0EEENS1_30default_config_static_selectorELNS0_4arch9wavefront6targetE0EEEvT1_.has_indirect_call, 0
	.section	.AMDGPU.csdata,"",@progbits
; Kernel info:
; codeLenInByte = 0
; TotalNumSgprs: 0
; NumVgprs: 0
; ScratchSize: 0
; MemoryBound: 0
; FloatMode: 240
; IeeeMode: 1
; LDSByteSize: 0 bytes/workgroup (compile time only)
; SGPRBlocks: 0
; VGPRBlocks: 0
; NumSGPRsForWavesPerEU: 1
; NumVGPRsForWavesPerEU: 1
; Occupancy: 16
; WaveLimiterHint : 0
; COMPUTE_PGM_RSRC2:SCRATCH_EN: 0
; COMPUTE_PGM_RSRC2:USER_SGPR: 2
; COMPUTE_PGM_RSRC2:TRAP_HANDLER: 0
; COMPUTE_PGM_RSRC2:TGID_X_EN: 1
; COMPUTE_PGM_RSRC2:TGID_Y_EN: 0
; COMPUTE_PGM_RSRC2:TGID_Z_EN: 0
; COMPUTE_PGM_RSRC2:TIDIG_COMP_CNT: 0
	.section	.text._ZN7rocprim17ROCPRIM_400000_NS6detail17trampoline_kernelINS0_14default_configENS1_25partition_config_selectorILNS1_17partition_subalgoE5EtNS0_10empty_typeEbEEZZNS1_14partition_implILS5_5ELb0ES3_mN6thrust23THRUST_200600_302600_NS6detail15normal_iteratorINSA_10device_ptrItEEEEPS6_NSA_18transform_iteratorINSB_9not_fun_tI7is_trueItEEESF_NSA_11use_defaultESM_EENS0_5tupleIJSF_S6_EEENSO_IJSG_SG_EEES6_PlJS6_EEE10hipError_tPvRmT3_T4_T5_T6_T7_T9_mT8_P12ihipStream_tbDpT10_ENKUlT_T0_E_clISt17integral_constantIbLb1EES1B_EEDaS16_S17_EUlS16_E_NS1_11comp_targetILNS1_3genE4ELNS1_11target_archE910ELNS1_3gpuE8ELNS1_3repE0EEENS1_30default_config_static_selectorELNS0_4arch9wavefront6targetE0EEEvT1_,"axG",@progbits,_ZN7rocprim17ROCPRIM_400000_NS6detail17trampoline_kernelINS0_14default_configENS1_25partition_config_selectorILNS1_17partition_subalgoE5EtNS0_10empty_typeEbEEZZNS1_14partition_implILS5_5ELb0ES3_mN6thrust23THRUST_200600_302600_NS6detail15normal_iteratorINSA_10device_ptrItEEEEPS6_NSA_18transform_iteratorINSB_9not_fun_tI7is_trueItEEESF_NSA_11use_defaultESM_EENS0_5tupleIJSF_S6_EEENSO_IJSG_SG_EEES6_PlJS6_EEE10hipError_tPvRmT3_T4_T5_T6_T7_T9_mT8_P12ihipStream_tbDpT10_ENKUlT_T0_E_clISt17integral_constantIbLb1EES1B_EEDaS16_S17_EUlS16_E_NS1_11comp_targetILNS1_3genE4ELNS1_11target_archE910ELNS1_3gpuE8ELNS1_3repE0EEENS1_30default_config_static_selectorELNS0_4arch9wavefront6targetE0EEEvT1_,comdat
	.protected	_ZN7rocprim17ROCPRIM_400000_NS6detail17trampoline_kernelINS0_14default_configENS1_25partition_config_selectorILNS1_17partition_subalgoE5EtNS0_10empty_typeEbEEZZNS1_14partition_implILS5_5ELb0ES3_mN6thrust23THRUST_200600_302600_NS6detail15normal_iteratorINSA_10device_ptrItEEEEPS6_NSA_18transform_iteratorINSB_9not_fun_tI7is_trueItEEESF_NSA_11use_defaultESM_EENS0_5tupleIJSF_S6_EEENSO_IJSG_SG_EEES6_PlJS6_EEE10hipError_tPvRmT3_T4_T5_T6_T7_T9_mT8_P12ihipStream_tbDpT10_ENKUlT_T0_E_clISt17integral_constantIbLb1EES1B_EEDaS16_S17_EUlS16_E_NS1_11comp_targetILNS1_3genE4ELNS1_11target_archE910ELNS1_3gpuE8ELNS1_3repE0EEENS1_30default_config_static_selectorELNS0_4arch9wavefront6targetE0EEEvT1_ ; -- Begin function _ZN7rocprim17ROCPRIM_400000_NS6detail17trampoline_kernelINS0_14default_configENS1_25partition_config_selectorILNS1_17partition_subalgoE5EtNS0_10empty_typeEbEEZZNS1_14partition_implILS5_5ELb0ES3_mN6thrust23THRUST_200600_302600_NS6detail15normal_iteratorINSA_10device_ptrItEEEEPS6_NSA_18transform_iteratorINSB_9not_fun_tI7is_trueItEEESF_NSA_11use_defaultESM_EENS0_5tupleIJSF_S6_EEENSO_IJSG_SG_EEES6_PlJS6_EEE10hipError_tPvRmT3_T4_T5_T6_T7_T9_mT8_P12ihipStream_tbDpT10_ENKUlT_T0_E_clISt17integral_constantIbLb1EES1B_EEDaS16_S17_EUlS16_E_NS1_11comp_targetILNS1_3genE4ELNS1_11target_archE910ELNS1_3gpuE8ELNS1_3repE0EEENS1_30default_config_static_selectorELNS0_4arch9wavefront6targetE0EEEvT1_
	.globl	_ZN7rocprim17ROCPRIM_400000_NS6detail17trampoline_kernelINS0_14default_configENS1_25partition_config_selectorILNS1_17partition_subalgoE5EtNS0_10empty_typeEbEEZZNS1_14partition_implILS5_5ELb0ES3_mN6thrust23THRUST_200600_302600_NS6detail15normal_iteratorINSA_10device_ptrItEEEEPS6_NSA_18transform_iteratorINSB_9not_fun_tI7is_trueItEEESF_NSA_11use_defaultESM_EENS0_5tupleIJSF_S6_EEENSO_IJSG_SG_EEES6_PlJS6_EEE10hipError_tPvRmT3_T4_T5_T6_T7_T9_mT8_P12ihipStream_tbDpT10_ENKUlT_T0_E_clISt17integral_constantIbLb1EES1B_EEDaS16_S17_EUlS16_E_NS1_11comp_targetILNS1_3genE4ELNS1_11target_archE910ELNS1_3gpuE8ELNS1_3repE0EEENS1_30default_config_static_selectorELNS0_4arch9wavefront6targetE0EEEvT1_
	.p2align	8
	.type	_ZN7rocprim17ROCPRIM_400000_NS6detail17trampoline_kernelINS0_14default_configENS1_25partition_config_selectorILNS1_17partition_subalgoE5EtNS0_10empty_typeEbEEZZNS1_14partition_implILS5_5ELb0ES3_mN6thrust23THRUST_200600_302600_NS6detail15normal_iteratorINSA_10device_ptrItEEEEPS6_NSA_18transform_iteratorINSB_9not_fun_tI7is_trueItEEESF_NSA_11use_defaultESM_EENS0_5tupleIJSF_S6_EEENSO_IJSG_SG_EEES6_PlJS6_EEE10hipError_tPvRmT3_T4_T5_T6_T7_T9_mT8_P12ihipStream_tbDpT10_ENKUlT_T0_E_clISt17integral_constantIbLb1EES1B_EEDaS16_S17_EUlS16_E_NS1_11comp_targetILNS1_3genE4ELNS1_11target_archE910ELNS1_3gpuE8ELNS1_3repE0EEENS1_30default_config_static_selectorELNS0_4arch9wavefront6targetE0EEEvT1_,@function
_ZN7rocprim17ROCPRIM_400000_NS6detail17trampoline_kernelINS0_14default_configENS1_25partition_config_selectorILNS1_17partition_subalgoE5EtNS0_10empty_typeEbEEZZNS1_14partition_implILS5_5ELb0ES3_mN6thrust23THRUST_200600_302600_NS6detail15normal_iteratorINSA_10device_ptrItEEEEPS6_NSA_18transform_iteratorINSB_9not_fun_tI7is_trueItEEESF_NSA_11use_defaultESM_EENS0_5tupleIJSF_S6_EEENSO_IJSG_SG_EEES6_PlJS6_EEE10hipError_tPvRmT3_T4_T5_T6_T7_T9_mT8_P12ihipStream_tbDpT10_ENKUlT_T0_E_clISt17integral_constantIbLb1EES1B_EEDaS16_S17_EUlS16_E_NS1_11comp_targetILNS1_3genE4ELNS1_11target_archE910ELNS1_3gpuE8ELNS1_3repE0EEENS1_30default_config_static_selectorELNS0_4arch9wavefront6targetE0EEEvT1_: ; @_ZN7rocprim17ROCPRIM_400000_NS6detail17trampoline_kernelINS0_14default_configENS1_25partition_config_selectorILNS1_17partition_subalgoE5EtNS0_10empty_typeEbEEZZNS1_14partition_implILS5_5ELb0ES3_mN6thrust23THRUST_200600_302600_NS6detail15normal_iteratorINSA_10device_ptrItEEEEPS6_NSA_18transform_iteratorINSB_9not_fun_tI7is_trueItEEESF_NSA_11use_defaultESM_EENS0_5tupleIJSF_S6_EEENSO_IJSG_SG_EEES6_PlJS6_EEE10hipError_tPvRmT3_T4_T5_T6_T7_T9_mT8_P12ihipStream_tbDpT10_ENKUlT_T0_E_clISt17integral_constantIbLb1EES1B_EEDaS16_S17_EUlS16_E_NS1_11comp_targetILNS1_3genE4ELNS1_11target_archE910ELNS1_3gpuE8ELNS1_3repE0EEENS1_30default_config_static_selectorELNS0_4arch9wavefront6targetE0EEEvT1_
; %bb.0:
	.section	.rodata,"a",@progbits
	.p2align	6, 0x0
	.amdhsa_kernel _ZN7rocprim17ROCPRIM_400000_NS6detail17trampoline_kernelINS0_14default_configENS1_25partition_config_selectorILNS1_17partition_subalgoE5EtNS0_10empty_typeEbEEZZNS1_14partition_implILS5_5ELb0ES3_mN6thrust23THRUST_200600_302600_NS6detail15normal_iteratorINSA_10device_ptrItEEEEPS6_NSA_18transform_iteratorINSB_9not_fun_tI7is_trueItEEESF_NSA_11use_defaultESM_EENS0_5tupleIJSF_S6_EEENSO_IJSG_SG_EEES6_PlJS6_EEE10hipError_tPvRmT3_T4_T5_T6_T7_T9_mT8_P12ihipStream_tbDpT10_ENKUlT_T0_E_clISt17integral_constantIbLb1EES1B_EEDaS16_S17_EUlS16_E_NS1_11comp_targetILNS1_3genE4ELNS1_11target_archE910ELNS1_3gpuE8ELNS1_3repE0EEENS1_30default_config_static_selectorELNS0_4arch9wavefront6targetE0EEEvT1_
		.amdhsa_group_segment_fixed_size 0
		.amdhsa_private_segment_fixed_size 0
		.amdhsa_kernarg_size 136
		.amdhsa_user_sgpr_count 2
		.amdhsa_user_sgpr_dispatch_ptr 0
		.amdhsa_user_sgpr_queue_ptr 0
		.amdhsa_user_sgpr_kernarg_segment_ptr 1
		.amdhsa_user_sgpr_dispatch_id 0
		.amdhsa_user_sgpr_private_segment_size 0
		.amdhsa_wavefront_size32 1
		.amdhsa_uses_dynamic_stack 0
		.amdhsa_enable_private_segment 0
		.amdhsa_system_sgpr_workgroup_id_x 1
		.amdhsa_system_sgpr_workgroup_id_y 0
		.amdhsa_system_sgpr_workgroup_id_z 0
		.amdhsa_system_sgpr_workgroup_info 0
		.amdhsa_system_vgpr_workitem_id 0
		.amdhsa_next_free_vgpr 1
		.amdhsa_next_free_sgpr 1
		.amdhsa_reserve_vcc 0
		.amdhsa_float_round_mode_32 0
		.amdhsa_float_round_mode_16_64 0
		.amdhsa_float_denorm_mode_32 3
		.amdhsa_float_denorm_mode_16_64 3
		.amdhsa_fp16_overflow 0
		.amdhsa_workgroup_processor_mode 1
		.amdhsa_memory_ordered 1
		.amdhsa_forward_progress 1
		.amdhsa_inst_pref_size 0
		.amdhsa_round_robin_scheduling 0
		.amdhsa_exception_fp_ieee_invalid_op 0
		.amdhsa_exception_fp_denorm_src 0
		.amdhsa_exception_fp_ieee_div_zero 0
		.amdhsa_exception_fp_ieee_overflow 0
		.amdhsa_exception_fp_ieee_underflow 0
		.amdhsa_exception_fp_ieee_inexact 0
		.amdhsa_exception_int_div_zero 0
	.end_amdhsa_kernel
	.section	.text._ZN7rocprim17ROCPRIM_400000_NS6detail17trampoline_kernelINS0_14default_configENS1_25partition_config_selectorILNS1_17partition_subalgoE5EtNS0_10empty_typeEbEEZZNS1_14partition_implILS5_5ELb0ES3_mN6thrust23THRUST_200600_302600_NS6detail15normal_iteratorINSA_10device_ptrItEEEEPS6_NSA_18transform_iteratorINSB_9not_fun_tI7is_trueItEEESF_NSA_11use_defaultESM_EENS0_5tupleIJSF_S6_EEENSO_IJSG_SG_EEES6_PlJS6_EEE10hipError_tPvRmT3_T4_T5_T6_T7_T9_mT8_P12ihipStream_tbDpT10_ENKUlT_T0_E_clISt17integral_constantIbLb1EES1B_EEDaS16_S17_EUlS16_E_NS1_11comp_targetILNS1_3genE4ELNS1_11target_archE910ELNS1_3gpuE8ELNS1_3repE0EEENS1_30default_config_static_selectorELNS0_4arch9wavefront6targetE0EEEvT1_,"axG",@progbits,_ZN7rocprim17ROCPRIM_400000_NS6detail17trampoline_kernelINS0_14default_configENS1_25partition_config_selectorILNS1_17partition_subalgoE5EtNS0_10empty_typeEbEEZZNS1_14partition_implILS5_5ELb0ES3_mN6thrust23THRUST_200600_302600_NS6detail15normal_iteratorINSA_10device_ptrItEEEEPS6_NSA_18transform_iteratorINSB_9not_fun_tI7is_trueItEEESF_NSA_11use_defaultESM_EENS0_5tupleIJSF_S6_EEENSO_IJSG_SG_EEES6_PlJS6_EEE10hipError_tPvRmT3_T4_T5_T6_T7_T9_mT8_P12ihipStream_tbDpT10_ENKUlT_T0_E_clISt17integral_constantIbLb1EES1B_EEDaS16_S17_EUlS16_E_NS1_11comp_targetILNS1_3genE4ELNS1_11target_archE910ELNS1_3gpuE8ELNS1_3repE0EEENS1_30default_config_static_selectorELNS0_4arch9wavefront6targetE0EEEvT1_,comdat
.Lfunc_end1444:
	.size	_ZN7rocprim17ROCPRIM_400000_NS6detail17trampoline_kernelINS0_14default_configENS1_25partition_config_selectorILNS1_17partition_subalgoE5EtNS0_10empty_typeEbEEZZNS1_14partition_implILS5_5ELb0ES3_mN6thrust23THRUST_200600_302600_NS6detail15normal_iteratorINSA_10device_ptrItEEEEPS6_NSA_18transform_iteratorINSB_9not_fun_tI7is_trueItEEESF_NSA_11use_defaultESM_EENS0_5tupleIJSF_S6_EEENSO_IJSG_SG_EEES6_PlJS6_EEE10hipError_tPvRmT3_T4_T5_T6_T7_T9_mT8_P12ihipStream_tbDpT10_ENKUlT_T0_E_clISt17integral_constantIbLb1EES1B_EEDaS16_S17_EUlS16_E_NS1_11comp_targetILNS1_3genE4ELNS1_11target_archE910ELNS1_3gpuE8ELNS1_3repE0EEENS1_30default_config_static_selectorELNS0_4arch9wavefront6targetE0EEEvT1_, .Lfunc_end1444-_ZN7rocprim17ROCPRIM_400000_NS6detail17trampoline_kernelINS0_14default_configENS1_25partition_config_selectorILNS1_17partition_subalgoE5EtNS0_10empty_typeEbEEZZNS1_14partition_implILS5_5ELb0ES3_mN6thrust23THRUST_200600_302600_NS6detail15normal_iteratorINSA_10device_ptrItEEEEPS6_NSA_18transform_iteratorINSB_9not_fun_tI7is_trueItEEESF_NSA_11use_defaultESM_EENS0_5tupleIJSF_S6_EEENSO_IJSG_SG_EEES6_PlJS6_EEE10hipError_tPvRmT3_T4_T5_T6_T7_T9_mT8_P12ihipStream_tbDpT10_ENKUlT_T0_E_clISt17integral_constantIbLb1EES1B_EEDaS16_S17_EUlS16_E_NS1_11comp_targetILNS1_3genE4ELNS1_11target_archE910ELNS1_3gpuE8ELNS1_3repE0EEENS1_30default_config_static_selectorELNS0_4arch9wavefront6targetE0EEEvT1_
                                        ; -- End function
	.set _ZN7rocprim17ROCPRIM_400000_NS6detail17trampoline_kernelINS0_14default_configENS1_25partition_config_selectorILNS1_17partition_subalgoE5EtNS0_10empty_typeEbEEZZNS1_14partition_implILS5_5ELb0ES3_mN6thrust23THRUST_200600_302600_NS6detail15normal_iteratorINSA_10device_ptrItEEEEPS6_NSA_18transform_iteratorINSB_9not_fun_tI7is_trueItEEESF_NSA_11use_defaultESM_EENS0_5tupleIJSF_S6_EEENSO_IJSG_SG_EEES6_PlJS6_EEE10hipError_tPvRmT3_T4_T5_T6_T7_T9_mT8_P12ihipStream_tbDpT10_ENKUlT_T0_E_clISt17integral_constantIbLb1EES1B_EEDaS16_S17_EUlS16_E_NS1_11comp_targetILNS1_3genE4ELNS1_11target_archE910ELNS1_3gpuE8ELNS1_3repE0EEENS1_30default_config_static_selectorELNS0_4arch9wavefront6targetE0EEEvT1_.num_vgpr, 0
	.set _ZN7rocprim17ROCPRIM_400000_NS6detail17trampoline_kernelINS0_14default_configENS1_25partition_config_selectorILNS1_17partition_subalgoE5EtNS0_10empty_typeEbEEZZNS1_14partition_implILS5_5ELb0ES3_mN6thrust23THRUST_200600_302600_NS6detail15normal_iteratorINSA_10device_ptrItEEEEPS6_NSA_18transform_iteratorINSB_9not_fun_tI7is_trueItEEESF_NSA_11use_defaultESM_EENS0_5tupleIJSF_S6_EEENSO_IJSG_SG_EEES6_PlJS6_EEE10hipError_tPvRmT3_T4_T5_T6_T7_T9_mT8_P12ihipStream_tbDpT10_ENKUlT_T0_E_clISt17integral_constantIbLb1EES1B_EEDaS16_S17_EUlS16_E_NS1_11comp_targetILNS1_3genE4ELNS1_11target_archE910ELNS1_3gpuE8ELNS1_3repE0EEENS1_30default_config_static_selectorELNS0_4arch9wavefront6targetE0EEEvT1_.num_agpr, 0
	.set _ZN7rocprim17ROCPRIM_400000_NS6detail17trampoline_kernelINS0_14default_configENS1_25partition_config_selectorILNS1_17partition_subalgoE5EtNS0_10empty_typeEbEEZZNS1_14partition_implILS5_5ELb0ES3_mN6thrust23THRUST_200600_302600_NS6detail15normal_iteratorINSA_10device_ptrItEEEEPS6_NSA_18transform_iteratorINSB_9not_fun_tI7is_trueItEEESF_NSA_11use_defaultESM_EENS0_5tupleIJSF_S6_EEENSO_IJSG_SG_EEES6_PlJS6_EEE10hipError_tPvRmT3_T4_T5_T6_T7_T9_mT8_P12ihipStream_tbDpT10_ENKUlT_T0_E_clISt17integral_constantIbLb1EES1B_EEDaS16_S17_EUlS16_E_NS1_11comp_targetILNS1_3genE4ELNS1_11target_archE910ELNS1_3gpuE8ELNS1_3repE0EEENS1_30default_config_static_selectorELNS0_4arch9wavefront6targetE0EEEvT1_.numbered_sgpr, 0
	.set _ZN7rocprim17ROCPRIM_400000_NS6detail17trampoline_kernelINS0_14default_configENS1_25partition_config_selectorILNS1_17partition_subalgoE5EtNS0_10empty_typeEbEEZZNS1_14partition_implILS5_5ELb0ES3_mN6thrust23THRUST_200600_302600_NS6detail15normal_iteratorINSA_10device_ptrItEEEEPS6_NSA_18transform_iteratorINSB_9not_fun_tI7is_trueItEEESF_NSA_11use_defaultESM_EENS0_5tupleIJSF_S6_EEENSO_IJSG_SG_EEES6_PlJS6_EEE10hipError_tPvRmT3_T4_T5_T6_T7_T9_mT8_P12ihipStream_tbDpT10_ENKUlT_T0_E_clISt17integral_constantIbLb1EES1B_EEDaS16_S17_EUlS16_E_NS1_11comp_targetILNS1_3genE4ELNS1_11target_archE910ELNS1_3gpuE8ELNS1_3repE0EEENS1_30default_config_static_selectorELNS0_4arch9wavefront6targetE0EEEvT1_.num_named_barrier, 0
	.set _ZN7rocprim17ROCPRIM_400000_NS6detail17trampoline_kernelINS0_14default_configENS1_25partition_config_selectorILNS1_17partition_subalgoE5EtNS0_10empty_typeEbEEZZNS1_14partition_implILS5_5ELb0ES3_mN6thrust23THRUST_200600_302600_NS6detail15normal_iteratorINSA_10device_ptrItEEEEPS6_NSA_18transform_iteratorINSB_9not_fun_tI7is_trueItEEESF_NSA_11use_defaultESM_EENS0_5tupleIJSF_S6_EEENSO_IJSG_SG_EEES6_PlJS6_EEE10hipError_tPvRmT3_T4_T5_T6_T7_T9_mT8_P12ihipStream_tbDpT10_ENKUlT_T0_E_clISt17integral_constantIbLb1EES1B_EEDaS16_S17_EUlS16_E_NS1_11comp_targetILNS1_3genE4ELNS1_11target_archE910ELNS1_3gpuE8ELNS1_3repE0EEENS1_30default_config_static_selectorELNS0_4arch9wavefront6targetE0EEEvT1_.private_seg_size, 0
	.set _ZN7rocprim17ROCPRIM_400000_NS6detail17trampoline_kernelINS0_14default_configENS1_25partition_config_selectorILNS1_17partition_subalgoE5EtNS0_10empty_typeEbEEZZNS1_14partition_implILS5_5ELb0ES3_mN6thrust23THRUST_200600_302600_NS6detail15normal_iteratorINSA_10device_ptrItEEEEPS6_NSA_18transform_iteratorINSB_9not_fun_tI7is_trueItEEESF_NSA_11use_defaultESM_EENS0_5tupleIJSF_S6_EEENSO_IJSG_SG_EEES6_PlJS6_EEE10hipError_tPvRmT3_T4_T5_T6_T7_T9_mT8_P12ihipStream_tbDpT10_ENKUlT_T0_E_clISt17integral_constantIbLb1EES1B_EEDaS16_S17_EUlS16_E_NS1_11comp_targetILNS1_3genE4ELNS1_11target_archE910ELNS1_3gpuE8ELNS1_3repE0EEENS1_30default_config_static_selectorELNS0_4arch9wavefront6targetE0EEEvT1_.uses_vcc, 0
	.set _ZN7rocprim17ROCPRIM_400000_NS6detail17trampoline_kernelINS0_14default_configENS1_25partition_config_selectorILNS1_17partition_subalgoE5EtNS0_10empty_typeEbEEZZNS1_14partition_implILS5_5ELb0ES3_mN6thrust23THRUST_200600_302600_NS6detail15normal_iteratorINSA_10device_ptrItEEEEPS6_NSA_18transform_iteratorINSB_9not_fun_tI7is_trueItEEESF_NSA_11use_defaultESM_EENS0_5tupleIJSF_S6_EEENSO_IJSG_SG_EEES6_PlJS6_EEE10hipError_tPvRmT3_T4_T5_T6_T7_T9_mT8_P12ihipStream_tbDpT10_ENKUlT_T0_E_clISt17integral_constantIbLb1EES1B_EEDaS16_S17_EUlS16_E_NS1_11comp_targetILNS1_3genE4ELNS1_11target_archE910ELNS1_3gpuE8ELNS1_3repE0EEENS1_30default_config_static_selectorELNS0_4arch9wavefront6targetE0EEEvT1_.uses_flat_scratch, 0
	.set _ZN7rocprim17ROCPRIM_400000_NS6detail17trampoline_kernelINS0_14default_configENS1_25partition_config_selectorILNS1_17partition_subalgoE5EtNS0_10empty_typeEbEEZZNS1_14partition_implILS5_5ELb0ES3_mN6thrust23THRUST_200600_302600_NS6detail15normal_iteratorINSA_10device_ptrItEEEEPS6_NSA_18transform_iteratorINSB_9not_fun_tI7is_trueItEEESF_NSA_11use_defaultESM_EENS0_5tupleIJSF_S6_EEENSO_IJSG_SG_EEES6_PlJS6_EEE10hipError_tPvRmT3_T4_T5_T6_T7_T9_mT8_P12ihipStream_tbDpT10_ENKUlT_T0_E_clISt17integral_constantIbLb1EES1B_EEDaS16_S17_EUlS16_E_NS1_11comp_targetILNS1_3genE4ELNS1_11target_archE910ELNS1_3gpuE8ELNS1_3repE0EEENS1_30default_config_static_selectorELNS0_4arch9wavefront6targetE0EEEvT1_.has_dyn_sized_stack, 0
	.set _ZN7rocprim17ROCPRIM_400000_NS6detail17trampoline_kernelINS0_14default_configENS1_25partition_config_selectorILNS1_17partition_subalgoE5EtNS0_10empty_typeEbEEZZNS1_14partition_implILS5_5ELb0ES3_mN6thrust23THRUST_200600_302600_NS6detail15normal_iteratorINSA_10device_ptrItEEEEPS6_NSA_18transform_iteratorINSB_9not_fun_tI7is_trueItEEESF_NSA_11use_defaultESM_EENS0_5tupleIJSF_S6_EEENSO_IJSG_SG_EEES6_PlJS6_EEE10hipError_tPvRmT3_T4_T5_T6_T7_T9_mT8_P12ihipStream_tbDpT10_ENKUlT_T0_E_clISt17integral_constantIbLb1EES1B_EEDaS16_S17_EUlS16_E_NS1_11comp_targetILNS1_3genE4ELNS1_11target_archE910ELNS1_3gpuE8ELNS1_3repE0EEENS1_30default_config_static_selectorELNS0_4arch9wavefront6targetE0EEEvT1_.has_recursion, 0
	.set _ZN7rocprim17ROCPRIM_400000_NS6detail17trampoline_kernelINS0_14default_configENS1_25partition_config_selectorILNS1_17partition_subalgoE5EtNS0_10empty_typeEbEEZZNS1_14partition_implILS5_5ELb0ES3_mN6thrust23THRUST_200600_302600_NS6detail15normal_iteratorINSA_10device_ptrItEEEEPS6_NSA_18transform_iteratorINSB_9not_fun_tI7is_trueItEEESF_NSA_11use_defaultESM_EENS0_5tupleIJSF_S6_EEENSO_IJSG_SG_EEES6_PlJS6_EEE10hipError_tPvRmT3_T4_T5_T6_T7_T9_mT8_P12ihipStream_tbDpT10_ENKUlT_T0_E_clISt17integral_constantIbLb1EES1B_EEDaS16_S17_EUlS16_E_NS1_11comp_targetILNS1_3genE4ELNS1_11target_archE910ELNS1_3gpuE8ELNS1_3repE0EEENS1_30default_config_static_selectorELNS0_4arch9wavefront6targetE0EEEvT1_.has_indirect_call, 0
	.section	.AMDGPU.csdata,"",@progbits
; Kernel info:
; codeLenInByte = 0
; TotalNumSgprs: 0
; NumVgprs: 0
; ScratchSize: 0
; MemoryBound: 0
; FloatMode: 240
; IeeeMode: 1
; LDSByteSize: 0 bytes/workgroup (compile time only)
; SGPRBlocks: 0
; VGPRBlocks: 0
; NumSGPRsForWavesPerEU: 1
; NumVGPRsForWavesPerEU: 1
; Occupancy: 16
; WaveLimiterHint : 0
; COMPUTE_PGM_RSRC2:SCRATCH_EN: 0
; COMPUTE_PGM_RSRC2:USER_SGPR: 2
; COMPUTE_PGM_RSRC2:TRAP_HANDLER: 0
; COMPUTE_PGM_RSRC2:TGID_X_EN: 1
; COMPUTE_PGM_RSRC2:TGID_Y_EN: 0
; COMPUTE_PGM_RSRC2:TGID_Z_EN: 0
; COMPUTE_PGM_RSRC2:TIDIG_COMP_CNT: 0
	.section	.text._ZN7rocprim17ROCPRIM_400000_NS6detail17trampoline_kernelINS0_14default_configENS1_25partition_config_selectorILNS1_17partition_subalgoE5EtNS0_10empty_typeEbEEZZNS1_14partition_implILS5_5ELb0ES3_mN6thrust23THRUST_200600_302600_NS6detail15normal_iteratorINSA_10device_ptrItEEEEPS6_NSA_18transform_iteratorINSB_9not_fun_tI7is_trueItEEESF_NSA_11use_defaultESM_EENS0_5tupleIJSF_S6_EEENSO_IJSG_SG_EEES6_PlJS6_EEE10hipError_tPvRmT3_T4_T5_T6_T7_T9_mT8_P12ihipStream_tbDpT10_ENKUlT_T0_E_clISt17integral_constantIbLb1EES1B_EEDaS16_S17_EUlS16_E_NS1_11comp_targetILNS1_3genE3ELNS1_11target_archE908ELNS1_3gpuE7ELNS1_3repE0EEENS1_30default_config_static_selectorELNS0_4arch9wavefront6targetE0EEEvT1_,"axG",@progbits,_ZN7rocprim17ROCPRIM_400000_NS6detail17trampoline_kernelINS0_14default_configENS1_25partition_config_selectorILNS1_17partition_subalgoE5EtNS0_10empty_typeEbEEZZNS1_14partition_implILS5_5ELb0ES3_mN6thrust23THRUST_200600_302600_NS6detail15normal_iteratorINSA_10device_ptrItEEEEPS6_NSA_18transform_iteratorINSB_9not_fun_tI7is_trueItEEESF_NSA_11use_defaultESM_EENS0_5tupleIJSF_S6_EEENSO_IJSG_SG_EEES6_PlJS6_EEE10hipError_tPvRmT3_T4_T5_T6_T7_T9_mT8_P12ihipStream_tbDpT10_ENKUlT_T0_E_clISt17integral_constantIbLb1EES1B_EEDaS16_S17_EUlS16_E_NS1_11comp_targetILNS1_3genE3ELNS1_11target_archE908ELNS1_3gpuE7ELNS1_3repE0EEENS1_30default_config_static_selectorELNS0_4arch9wavefront6targetE0EEEvT1_,comdat
	.protected	_ZN7rocprim17ROCPRIM_400000_NS6detail17trampoline_kernelINS0_14default_configENS1_25partition_config_selectorILNS1_17partition_subalgoE5EtNS0_10empty_typeEbEEZZNS1_14partition_implILS5_5ELb0ES3_mN6thrust23THRUST_200600_302600_NS6detail15normal_iteratorINSA_10device_ptrItEEEEPS6_NSA_18transform_iteratorINSB_9not_fun_tI7is_trueItEEESF_NSA_11use_defaultESM_EENS0_5tupleIJSF_S6_EEENSO_IJSG_SG_EEES6_PlJS6_EEE10hipError_tPvRmT3_T4_T5_T6_T7_T9_mT8_P12ihipStream_tbDpT10_ENKUlT_T0_E_clISt17integral_constantIbLb1EES1B_EEDaS16_S17_EUlS16_E_NS1_11comp_targetILNS1_3genE3ELNS1_11target_archE908ELNS1_3gpuE7ELNS1_3repE0EEENS1_30default_config_static_selectorELNS0_4arch9wavefront6targetE0EEEvT1_ ; -- Begin function _ZN7rocprim17ROCPRIM_400000_NS6detail17trampoline_kernelINS0_14default_configENS1_25partition_config_selectorILNS1_17partition_subalgoE5EtNS0_10empty_typeEbEEZZNS1_14partition_implILS5_5ELb0ES3_mN6thrust23THRUST_200600_302600_NS6detail15normal_iteratorINSA_10device_ptrItEEEEPS6_NSA_18transform_iteratorINSB_9not_fun_tI7is_trueItEEESF_NSA_11use_defaultESM_EENS0_5tupleIJSF_S6_EEENSO_IJSG_SG_EEES6_PlJS6_EEE10hipError_tPvRmT3_T4_T5_T6_T7_T9_mT8_P12ihipStream_tbDpT10_ENKUlT_T0_E_clISt17integral_constantIbLb1EES1B_EEDaS16_S17_EUlS16_E_NS1_11comp_targetILNS1_3genE3ELNS1_11target_archE908ELNS1_3gpuE7ELNS1_3repE0EEENS1_30default_config_static_selectorELNS0_4arch9wavefront6targetE0EEEvT1_
	.globl	_ZN7rocprim17ROCPRIM_400000_NS6detail17trampoline_kernelINS0_14default_configENS1_25partition_config_selectorILNS1_17partition_subalgoE5EtNS0_10empty_typeEbEEZZNS1_14partition_implILS5_5ELb0ES3_mN6thrust23THRUST_200600_302600_NS6detail15normal_iteratorINSA_10device_ptrItEEEEPS6_NSA_18transform_iteratorINSB_9not_fun_tI7is_trueItEEESF_NSA_11use_defaultESM_EENS0_5tupleIJSF_S6_EEENSO_IJSG_SG_EEES6_PlJS6_EEE10hipError_tPvRmT3_T4_T5_T6_T7_T9_mT8_P12ihipStream_tbDpT10_ENKUlT_T0_E_clISt17integral_constantIbLb1EES1B_EEDaS16_S17_EUlS16_E_NS1_11comp_targetILNS1_3genE3ELNS1_11target_archE908ELNS1_3gpuE7ELNS1_3repE0EEENS1_30default_config_static_selectorELNS0_4arch9wavefront6targetE0EEEvT1_
	.p2align	8
	.type	_ZN7rocprim17ROCPRIM_400000_NS6detail17trampoline_kernelINS0_14default_configENS1_25partition_config_selectorILNS1_17partition_subalgoE5EtNS0_10empty_typeEbEEZZNS1_14partition_implILS5_5ELb0ES3_mN6thrust23THRUST_200600_302600_NS6detail15normal_iteratorINSA_10device_ptrItEEEEPS6_NSA_18transform_iteratorINSB_9not_fun_tI7is_trueItEEESF_NSA_11use_defaultESM_EENS0_5tupleIJSF_S6_EEENSO_IJSG_SG_EEES6_PlJS6_EEE10hipError_tPvRmT3_T4_T5_T6_T7_T9_mT8_P12ihipStream_tbDpT10_ENKUlT_T0_E_clISt17integral_constantIbLb1EES1B_EEDaS16_S17_EUlS16_E_NS1_11comp_targetILNS1_3genE3ELNS1_11target_archE908ELNS1_3gpuE7ELNS1_3repE0EEENS1_30default_config_static_selectorELNS0_4arch9wavefront6targetE0EEEvT1_,@function
_ZN7rocprim17ROCPRIM_400000_NS6detail17trampoline_kernelINS0_14default_configENS1_25partition_config_selectorILNS1_17partition_subalgoE5EtNS0_10empty_typeEbEEZZNS1_14partition_implILS5_5ELb0ES3_mN6thrust23THRUST_200600_302600_NS6detail15normal_iteratorINSA_10device_ptrItEEEEPS6_NSA_18transform_iteratorINSB_9not_fun_tI7is_trueItEEESF_NSA_11use_defaultESM_EENS0_5tupleIJSF_S6_EEENSO_IJSG_SG_EEES6_PlJS6_EEE10hipError_tPvRmT3_T4_T5_T6_T7_T9_mT8_P12ihipStream_tbDpT10_ENKUlT_T0_E_clISt17integral_constantIbLb1EES1B_EEDaS16_S17_EUlS16_E_NS1_11comp_targetILNS1_3genE3ELNS1_11target_archE908ELNS1_3gpuE7ELNS1_3repE0EEENS1_30default_config_static_selectorELNS0_4arch9wavefront6targetE0EEEvT1_: ; @_ZN7rocprim17ROCPRIM_400000_NS6detail17trampoline_kernelINS0_14default_configENS1_25partition_config_selectorILNS1_17partition_subalgoE5EtNS0_10empty_typeEbEEZZNS1_14partition_implILS5_5ELb0ES3_mN6thrust23THRUST_200600_302600_NS6detail15normal_iteratorINSA_10device_ptrItEEEEPS6_NSA_18transform_iteratorINSB_9not_fun_tI7is_trueItEEESF_NSA_11use_defaultESM_EENS0_5tupleIJSF_S6_EEENSO_IJSG_SG_EEES6_PlJS6_EEE10hipError_tPvRmT3_T4_T5_T6_T7_T9_mT8_P12ihipStream_tbDpT10_ENKUlT_T0_E_clISt17integral_constantIbLb1EES1B_EEDaS16_S17_EUlS16_E_NS1_11comp_targetILNS1_3genE3ELNS1_11target_archE908ELNS1_3gpuE7ELNS1_3repE0EEENS1_30default_config_static_selectorELNS0_4arch9wavefront6targetE0EEEvT1_
; %bb.0:
	.section	.rodata,"a",@progbits
	.p2align	6, 0x0
	.amdhsa_kernel _ZN7rocprim17ROCPRIM_400000_NS6detail17trampoline_kernelINS0_14default_configENS1_25partition_config_selectorILNS1_17partition_subalgoE5EtNS0_10empty_typeEbEEZZNS1_14partition_implILS5_5ELb0ES3_mN6thrust23THRUST_200600_302600_NS6detail15normal_iteratorINSA_10device_ptrItEEEEPS6_NSA_18transform_iteratorINSB_9not_fun_tI7is_trueItEEESF_NSA_11use_defaultESM_EENS0_5tupleIJSF_S6_EEENSO_IJSG_SG_EEES6_PlJS6_EEE10hipError_tPvRmT3_T4_T5_T6_T7_T9_mT8_P12ihipStream_tbDpT10_ENKUlT_T0_E_clISt17integral_constantIbLb1EES1B_EEDaS16_S17_EUlS16_E_NS1_11comp_targetILNS1_3genE3ELNS1_11target_archE908ELNS1_3gpuE7ELNS1_3repE0EEENS1_30default_config_static_selectorELNS0_4arch9wavefront6targetE0EEEvT1_
		.amdhsa_group_segment_fixed_size 0
		.amdhsa_private_segment_fixed_size 0
		.amdhsa_kernarg_size 136
		.amdhsa_user_sgpr_count 2
		.amdhsa_user_sgpr_dispatch_ptr 0
		.amdhsa_user_sgpr_queue_ptr 0
		.amdhsa_user_sgpr_kernarg_segment_ptr 1
		.amdhsa_user_sgpr_dispatch_id 0
		.amdhsa_user_sgpr_private_segment_size 0
		.amdhsa_wavefront_size32 1
		.amdhsa_uses_dynamic_stack 0
		.amdhsa_enable_private_segment 0
		.amdhsa_system_sgpr_workgroup_id_x 1
		.amdhsa_system_sgpr_workgroup_id_y 0
		.amdhsa_system_sgpr_workgroup_id_z 0
		.amdhsa_system_sgpr_workgroup_info 0
		.amdhsa_system_vgpr_workitem_id 0
		.amdhsa_next_free_vgpr 1
		.amdhsa_next_free_sgpr 1
		.amdhsa_reserve_vcc 0
		.amdhsa_float_round_mode_32 0
		.amdhsa_float_round_mode_16_64 0
		.amdhsa_float_denorm_mode_32 3
		.amdhsa_float_denorm_mode_16_64 3
		.amdhsa_fp16_overflow 0
		.amdhsa_workgroup_processor_mode 1
		.amdhsa_memory_ordered 1
		.amdhsa_forward_progress 1
		.amdhsa_inst_pref_size 0
		.amdhsa_round_robin_scheduling 0
		.amdhsa_exception_fp_ieee_invalid_op 0
		.amdhsa_exception_fp_denorm_src 0
		.amdhsa_exception_fp_ieee_div_zero 0
		.amdhsa_exception_fp_ieee_overflow 0
		.amdhsa_exception_fp_ieee_underflow 0
		.amdhsa_exception_fp_ieee_inexact 0
		.amdhsa_exception_int_div_zero 0
	.end_amdhsa_kernel
	.section	.text._ZN7rocprim17ROCPRIM_400000_NS6detail17trampoline_kernelINS0_14default_configENS1_25partition_config_selectorILNS1_17partition_subalgoE5EtNS0_10empty_typeEbEEZZNS1_14partition_implILS5_5ELb0ES3_mN6thrust23THRUST_200600_302600_NS6detail15normal_iteratorINSA_10device_ptrItEEEEPS6_NSA_18transform_iteratorINSB_9not_fun_tI7is_trueItEEESF_NSA_11use_defaultESM_EENS0_5tupleIJSF_S6_EEENSO_IJSG_SG_EEES6_PlJS6_EEE10hipError_tPvRmT3_T4_T5_T6_T7_T9_mT8_P12ihipStream_tbDpT10_ENKUlT_T0_E_clISt17integral_constantIbLb1EES1B_EEDaS16_S17_EUlS16_E_NS1_11comp_targetILNS1_3genE3ELNS1_11target_archE908ELNS1_3gpuE7ELNS1_3repE0EEENS1_30default_config_static_selectorELNS0_4arch9wavefront6targetE0EEEvT1_,"axG",@progbits,_ZN7rocprim17ROCPRIM_400000_NS6detail17trampoline_kernelINS0_14default_configENS1_25partition_config_selectorILNS1_17partition_subalgoE5EtNS0_10empty_typeEbEEZZNS1_14partition_implILS5_5ELb0ES3_mN6thrust23THRUST_200600_302600_NS6detail15normal_iteratorINSA_10device_ptrItEEEEPS6_NSA_18transform_iteratorINSB_9not_fun_tI7is_trueItEEESF_NSA_11use_defaultESM_EENS0_5tupleIJSF_S6_EEENSO_IJSG_SG_EEES6_PlJS6_EEE10hipError_tPvRmT3_T4_T5_T6_T7_T9_mT8_P12ihipStream_tbDpT10_ENKUlT_T0_E_clISt17integral_constantIbLb1EES1B_EEDaS16_S17_EUlS16_E_NS1_11comp_targetILNS1_3genE3ELNS1_11target_archE908ELNS1_3gpuE7ELNS1_3repE0EEENS1_30default_config_static_selectorELNS0_4arch9wavefront6targetE0EEEvT1_,comdat
.Lfunc_end1445:
	.size	_ZN7rocprim17ROCPRIM_400000_NS6detail17trampoline_kernelINS0_14default_configENS1_25partition_config_selectorILNS1_17partition_subalgoE5EtNS0_10empty_typeEbEEZZNS1_14partition_implILS5_5ELb0ES3_mN6thrust23THRUST_200600_302600_NS6detail15normal_iteratorINSA_10device_ptrItEEEEPS6_NSA_18transform_iteratorINSB_9not_fun_tI7is_trueItEEESF_NSA_11use_defaultESM_EENS0_5tupleIJSF_S6_EEENSO_IJSG_SG_EEES6_PlJS6_EEE10hipError_tPvRmT3_T4_T5_T6_T7_T9_mT8_P12ihipStream_tbDpT10_ENKUlT_T0_E_clISt17integral_constantIbLb1EES1B_EEDaS16_S17_EUlS16_E_NS1_11comp_targetILNS1_3genE3ELNS1_11target_archE908ELNS1_3gpuE7ELNS1_3repE0EEENS1_30default_config_static_selectorELNS0_4arch9wavefront6targetE0EEEvT1_, .Lfunc_end1445-_ZN7rocprim17ROCPRIM_400000_NS6detail17trampoline_kernelINS0_14default_configENS1_25partition_config_selectorILNS1_17partition_subalgoE5EtNS0_10empty_typeEbEEZZNS1_14partition_implILS5_5ELb0ES3_mN6thrust23THRUST_200600_302600_NS6detail15normal_iteratorINSA_10device_ptrItEEEEPS6_NSA_18transform_iteratorINSB_9not_fun_tI7is_trueItEEESF_NSA_11use_defaultESM_EENS0_5tupleIJSF_S6_EEENSO_IJSG_SG_EEES6_PlJS6_EEE10hipError_tPvRmT3_T4_T5_T6_T7_T9_mT8_P12ihipStream_tbDpT10_ENKUlT_T0_E_clISt17integral_constantIbLb1EES1B_EEDaS16_S17_EUlS16_E_NS1_11comp_targetILNS1_3genE3ELNS1_11target_archE908ELNS1_3gpuE7ELNS1_3repE0EEENS1_30default_config_static_selectorELNS0_4arch9wavefront6targetE0EEEvT1_
                                        ; -- End function
	.set _ZN7rocprim17ROCPRIM_400000_NS6detail17trampoline_kernelINS0_14default_configENS1_25partition_config_selectorILNS1_17partition_subalgoE5EtNS0_10empty_typeEbEEZZNS1_14partition_implILS5_5ELb0ES3_mN6thrust23THRUST_200600_302600_NS6detail15normal_iteratorINSA_10device_ptrItEEEEPS6_NSA_18transform_iteratorINSB_9not_fun_tI7is_trueItEEESF_NSA_11use_defaultESM_EENS0_5tupleIJSF_S6_EEENSO_IJSG_SG_EEES6_PlJS6_EEE10hipError_tPvRmT3_T4_T5_T6_T7_T9_mT8_P12ihipStream_tbDpT10_ENKUlT_T0_E_clISt17integral_constantIbLb1EES1B_EEDaS16_S17_EUlS16_E_NS1_11comp_targetILNS1_3genE3ELNS1_11target_archE908ELNS1_3gpuE7ELNS1_3repE0EEENS1_30default_config_static_selectorELNS0_4arch9wavefront6targetE0EEEvT1_.num_vgpr, 0
	.set _ZN7rocprim17ROCPRIM_400000_NS6detail17trampoline_kernelINS0_14default_configENS1_25partition_config_selectorILNS1_17partition_subalgoE5EtNS0_10empty_typeEbEEZZNS1_14partition_implILS5_5ELb0ES3_mN6thrust23THRUST_200600_302600_NS6detail15normal_iteratorINSA_10device_ptrItEEEEPS6_NSA_18transform_iteratorINSB_9not_fun_tI7is_trueItEEESF_NSA_11use_defaultESM_EENS0_5tupleIJSF_S6_EEENSO_IJSG_SG_EEES6_PlJS6_EEE10hipError_tPvRmT3_T4_T5_T6_T7_T9_mT8_P12ihipStream_tbDpT10_ENKUlT_T0_E_clISt17integral_constantIbLb1EES1B_EEDaS16_S17_EUlS16_E_NS1_11comp_targetILNS1_3genE3ELNS1_11target_archE908ELNS1_3gpuE7ELNS1_3repE0EEENS1_30default_config_static_selectorELNS0_4arch9wavefront6targetE0EEEvT1_.num_agpr, 0
	.set _ZN7rocprim17ROCPRIM_400000_NS6detail17trampoline_kernelINS0_14default_configENS1_25partition_config_selectorILNS1_17partition_subalgoE5EtNS0_10empty_typeEbEEZZNS1_14partition_implILS5_5ELb0ES3_mN6thrust23THRUST_200600_302600_NS6detail15normal_iteratorINSA_10device_ptrItEEEEPS6_NSA_18transform_iteratorINSB_9not_fun_tI7is_trueItEEESF_NSA_11use_defaultESM_EENS0_5tupleIJSF_S6_EEENSO_IJSG_SG_EEES6_PlJS6_EEE10hipError_tPvRmT3_T4_T5_T6_T7_T9_mT8_P12ihipStream_tbDpT10_ENKUlT_T0_E_clISt17integral_constantIbLb1EES1B_EEDaS16_S17_EUlS16_E_NS1_11comp_targetILNS1_3genE3ELNS1_11target_archE908ELNS1_3gpuE7ELNS1_3repE0EEENS1_30default_config_static_selectorELNS0_4arch9wavefront6targetE0EEEvT1_.numbered_sgpr, 0
	.set _ZN7rocprim17ROCPRIM_400000_NS6detail17trampoline_kernelINS0_14default_configENS1_25partition_config_selectorILNS1_17partition_subalgoE5EtNS0_10empty_typeEbEEZZNS1_14partition_implILS5_5ELb0ES3_mN6thrust23THRUST_200600_302600_NS6detail15normal_iteratorINSA_10device_ptrItEEEEPS6_NSA_18transform_iteratorINSB_9not_fun_tI7is_trueItEEESF_NSA_11use_defaultESM_EENS0_5tupleIJSF_S6_EEENSO_IJSG_SG_EEES6_PlJS6_EEE10hipError_tPvRmT3_T4_T5_T6_T7_T9_mT8_P12ihipStream_tbDpT10_ENKUlT_T0_E_clISt17integral_constantIbLb1EES1B_EEDaS16_S17_EUlS16_E_NS1_11comp_targetILNS1_3genE3ELNS1_11target_archE908ELNS1_3gpuE7ELNS1_3repE0EEENS1_30default_config_static_selectorELNS0_4arch9wavefront6targetE0EEEvT1_.num_named_barrier, 0
	.set _ZN7rocprim17ROCPRIM_400000_NS6detail17trampoline_kernelINS0_14default_configENS1_25partition_config_selectorILNS1_17partition_subalgoE5EtNS0_10empty_typeEbEEZZNS1_14partition_implILS5_5ELb0ES3_mN6thrust23THRUST_200600_302600_NS6detail15normal_iteratorINSA_10device_ptrItEEEEPS6_NSA_18transform_iteratorINSB_9not_fun_tI7is_trueItEEESF_NSA_11use_defaultESM_EENS0_5tupleIJSF_S6_EEENSO_IJSG_SG_EEES6_PlJS6_EEE10hipError_tPvRmT3_T4_T5_T6_T7_T9_mT8_P12ihipStream_tbDpT10_ENKUlT_T0_E_clISt17integral_constantIbLb1EES1B_EEDaS16_S17_EUlS16_E_NS1_11comp_targetILNS1_3genE3ELNS1_11target_archE908ELNS1_3gpuE7ELNS1_3repE0EEENS1_30default_config_static_selectorELNS0_4arch9wavefront6targetE0EEEvT1_.private_seg_size, 0
	.set _ZN7rocprim17ROCPRIM_400000_NS6detail17trampoline_kernelINS0_14default_configENS1_25partition_config_selectorILNS1_17partition_subalgoE5EtNS0_10empty_typeEbEEZZNS1_14partition_implILS5_5ELb0ES3_mN6thrust23THRUST_200600_302600_NS6detail15normal_iteratorINSA_10device_ptrItEEEEPS6_NSA_18transform_iteratorINSB_9not_fun_tI7is_trueItEEESF_NSA_11use_defaultESM_EENS0_5tupleIJSF_S6_EEENSO_IJSG_SG_EEES6_PlJS6_EEE10hipError_tPvRmT3_T4_T5_T6_T7_T9_mT8_P12ihipStream_tbDpT10_ENKUlT_T0_E_clISt17integral_constantIbLb1EES1B_EEDaS16_S17_EUlS16_E_NS1_11comp_targetILNS1_3genE3ELNS1_11target_archE908ELNS1_3gpuE7ELNS1_3repE0EEENS1_30default_config_static_selectorELNS0_4arch9wavefront6targetE0EEEvT1_.uses_vcc, 0
	.set _ZN7rocprim17ROCPRIM_400000_NS6detail17trampoline_kernelINS0_14default_configENS1_25partition_config_selectorILNS1_17partition_subalgoE5EtNS0_10empty_typeEbEEZZNS1_14partition_implILS5_5ELb0ES3_mN6thrust23THRUST_200600_302600_NS6detail15normal_iteratorINSA_10device_ptrItEEEEPS6_NSA_18transform_iteratorINSB_9not_fun_tI7is_trueItEEESF_NSA_11use_defaultESM_EENS0_5tupleIJSF_S6_EEENSO_IJSG_SG_EEES6_PlJS6_EEE10hipError_tPvRmT3_T4_T5_T6_T7_T9_mT8_P12ihipStream_tbDpT10_ENKUlT_T0_E_clISt17integral_constantIbLb1EES1B_EEDaS16_S17_EUlS16_E_NS1_11comp_targetILNS1_3genE3ELNS1_11target_archE908ELNS1_3gpuE7ELNS1_3repE0EEENS1_30default_config_static_selectorELNS0_4arch9wavefront6targetE0EEEvT1_.uses_flat_scratch, 0
	.set _ZN7rocprim17ROCPRIM_400000_NS6detail17trampoline_kernelINS0_14default_configENS1_25partition_config_selectorILNS1_17partition_subalgoE5EtNS0_10empty_typeEbEEZZNS1_14partition_implILS5_5ELb0ES3_mN6thrust23THRUST_200600_302600_NS6detail15normal_iteratorINSA_10device_ptrItEEEEPS6_NSA_18transform_iteratorINSB_9not_fun_tI7is_trueItEEESF_NSA_11use_defaultESM_EENS0_5tupleIJSF_S6_EEENSO_IJSG_SG_EEES6_PlJS6_EEE10hipError_tPvRmT3_T4_T5_T6_T7_T9_mT8_P12ihipStream_tbDpT10_ENKUlT_T0_E_clISt17integral_constantIbLb1EES1B_EEDaS16_S17_EUlS16_E_NS1_11comp_targetILNS1_3genE3ELNS1_11target_archE908ELNS1_3gpuE7ELNS1_3repE0EEENS1_30default_config_static_selectorELNS0_4arch9wavefront6targetE0EEEvT1_.has_dyn_sized_stack, 0
	.set _ZN7rocprim17ROCPRIM_400000_NS6detail17trampoline_kernelINS0_14default_configENS1_25partition_config_selectorILNS1_17partition_subalgoE5EtNS0_10empty_typeEbEEZZNS1_14partition_implILS5_5ELb0ES3_mN6thrust23THRUST_200600_302600_NS6detail15normal_iteratorINSA_10device_ptrItEEEEPS6_NSA_18transform_iteratorINSB_9not_fun_tI7is_trueItEEESF_NSA_11use_defaultESM_EENS0_5tupleIJSF_S6_EEENSO_IJSG_SG_EEES6_PlJS6_EEE10hipError_tPvRmT3_T4_T5_T6_T7_T9_mT8_P12ihipStream_tbDpT10_ENKUlT_T0_E_clISt17integral_constantIbLb1EES1B_EEDaS16_S17_EUlS16_E_NS1_11comp_targetILNS1_3genE3ELNS1_11target_archE908ELNS1_3gpuE7ELNS1_3repE0EEENS1_30default_config_static_selectorELNS0_4arch9wavefront6targetE0EEEvT1_.has_recursion, 0
	.set _ZN7rocprim17ROCPRIM_400000_NS6detail17trampoline_kernelINS0_14default_configENS1_25partition_config_selectorILNS1_17partition_subalgoE5EtNS0_10empty_typeEbEEZZNS1_14partition_implILS5_5ELb0ES3_mN6thrust23THRUST_200600_302600_NS6detail15normal_iteratorINSA_10device_ptrItEEEEPS6_NSA_18transform_iteratorINSB_9not_fun_tI7is_trueItEEESF_NSA_11use_defaultESM_EENS0_5tupleIJSF_S6_EEENSO_IJSG_SG_EEES6_PlJS6_EEE10hipError_tPvRmT3_T4_T5_T6_T7_T9_mT8_P12ihipStream_tbDpT10_ENKUlT_T0_E_clISt17integral_constantIbLb1EES1B_EEDaS16_S17_EUlS16_E_NS1_11comp_targetILNS1_3genE3ELNS1_11target_archE908ELNS1_3gpuE7ELNS1_3repE0EEENS1_30default_config_static_selectorELNS0_4arch9wavefront6targetE0EEEvT1_.has_indirect_call, 0
	.section	.AMDGPU.csdata,"",@progbits
; Kernel info:
; codeLenInByte = 0
; TotalNumSgprs: 0
; NumVgprs: 0
; ScratchSize: 0
; MemoryBound: 0
; FloatMode: 240
; IeeeMode: 1
; LDSByteSize: 0 bytes/workgroup (compile time only)
; SGPRBlocks: 0
; VGPRBlocks: 0
; NumSGPRsForWavesPerEU: 1
; NumVGPRsForWavesPerEU: 1
; Occupancy: 16
; WaveLimiterHint : 0
; COMPUTE_PGM_RSRC2:SCRATCH_EN: 0
; COMPUTE_PGM_RSRC2:USER_SGPR: 2
; COMPUTE_PGM_RSRC2:TRAP_HANDLER: 0
; COMPUTE_PGM_RSRC2:TGID_X_EN: 1
; COMPUTE_PGM_RSRC2:TGID_Y_EN: 0
; COMPUTE_PGM_RSRC2:TGID_Z_EN: 0
; COMPUTE_PGM_RSRC2:TIDIG_COMP_CNT: 0
	.section	.text._ZN7rocprim17ROCPRIM_400000_NS6detail17trampoline_kernelINS0_14default_configENS1_25partition_config_selectorILNS1_17partition_subalgoE5EtNS0_10empty_typeEbEEZZNS1_14partition_implILS5_5ELb0ES3_mN6thrust23THRUST_200600_302600_NS6detail15normal_iteratorINSA_10device_ptrItEEEEPS6_NSA_18transform_iteratorINSB_9not_fun_tI7is_trueItEEESF_NSA_11use_defaultESM_EENS0_5tupleIJSF_S6_EEENSO_IJSG_SG_EEES6_PlJS6_EEE10hipError_tPvRmT3_T4_T5_T6_T7_T9_mT8_P12ihipStream_tbDpT10_ENKUlT_T0_E_clISt17integral_constantIbLb1EES1B_EEDaS16_S17_EUlS16_E_NS1_11comp_targetILNS1_3genE2ELNS1_11target_archE906ELNS1_3gpuE6ELNS1_3repE0EEENS1_30default_config_static_selectorELNS0_4arch9wavefront6targetE0EEEvT1_,"axG",@progbits,_ZN7rocprim17ROCPRIM_400000_NS6detail17trampoline_kernelINS0_14default_configENS1_25partition_config_selectorILNS1_17partition_subalgoE5EtNS0_10empty_typeEbEEZZNS1_14partition_implILS5_5ELb0ES3_mN6thrust23THRUST_200600_302600_NS6detail15normal_iteratorINSA_10device_ptrItEEEEPS6_NSA_18transform_iteratorINSB_9not_fun_tI7is_trueItEEESF_NSA_11use_defaultESM_EENS0_5tupleIJSF_S6_EEENSO_IJSG_SG_EEES6_PlJS6_EEE10hipError_tPvRmT3_T4_T5_T6_T7_T9_mT8_P12ihipStream_tbDpT10_ENKUlT_T0_E_clISt17integral_constantIbLb1EES1B_EEDaS16_S17_EUlS16_E_NS1_11comp_targetILNS1_3genE2ELNS1_11target_archE906ELNS1_3gpuE6ELNS1_3repE0EEENS1_30default_config_static_selectorELNS0_4arch9wavefront6targetE0EEEvT1_,comdat
	.protected	_ZN7rocprim17ROCPRIM_400000_NS6detail17trampoline_kernelINS0_14default_configENS1_25partition_config_selectorILNS1_17partition_subalgoE5EtNS0_10empty_typeEbEEZZNS1_14partition_implILS5_5ELb0ES3_mN6thrust23THRUST_200600_302600_NS6detail15normal_iteratorINSA_10device_ptrItEEEEPS6_NSA_18transform_iteratorINSB_9not_fun_tI7is_trueItEEESF_NSA_11use_defaultESM_EENS0_5tupleIJSF_S6_EEENSO_IJSG_SG_EEES6_PlJS6_EEE10hipError_tPvRmT3_T4_T5_T6_T7_T9_mT8_P12ihipStream_tbDpT10_ENKUlT_T0_E_clISt17integral_constantIbLb1EES1B_EEDaS16_S17_EUlS16_E_NS1_11comp_targetILNS1_3genE2ELNS1_11target_archE906ELNS1_3gpuE6ELNS1_3repE0EEENS1_30default_config_static_selectorELNS0_4arch9wavefront6targetE0EEEvT1_ ; -- Begin function _ZN7rocprim17ROCPRIM_400000_NS6detail17trampoline_kernelINS0_14default_configENS1_25partition_config_selectorILNS1_17partition_subalgoE5EtNS0_10empty_typeEbEEZZNS1_14partition_implILS5_5ELb0ES3_mN6thrust23THRUST_200600_302600_NS6detail15normal_iteratorINSA_10device_ptrItEEEEPS6_NSA_18transform_iteratorINSB_9not_fun_tI7is_trueItEEESF_NSA_11use_defaultESM_EENS0_5tupleIJSF_S6_EEENSO_IJSG_SG_EEES6_PlJS6_EEE10hipError_tPvRmT3_T4_T5_T6_T7_T9_mT8_P12ihipStream_tbDpT10_ENKUlT_T0_E_clISt17integral_constantIbLb1EES1B_EEDaS16_S17_EUlS16_E_NS1_11comp_targetILNS1_3genE2ELNS1_11target_archE906ELNS1_3gpuE6ELNS1_3repE0EEENS1_30default_config_static_selectorELNS0_4arch9wavefront6targetE0EEEvT1_
	.globl	_ZN7rocprim17ROCPRIM_400000_NS6detail17trampoline_kernelINS0_14default_configENS1_25partition_config_selectorILNS1_17partition_subalgoE5EtNS0_10empty_typeEbEEZZNS1_14partition_implILS5_5ELb0ES3_mN6thrust23THRUST_200600_302600_NS6detail15normal_iteratorINSA_10device_ptrItEEEEPS6_NSA_18transform_iteratorINSB_9not_fun_tI7is_trueItEEESF_NSA_11use_defaultESM_EENS0_5tupleIJSF_S6_EEENSO_IJSG_SG_EEES6_PlJS6_EEE10hipError_tPvRmT3_T4_T5_T6_T7_T9_mT8_P12ihipStream_tbDpT10_ENKUlT_T0_E_clISt17integral_constantIbLb1EES1B_EEDaS16_S17_EUlS16_E_NS1_11comp_targetILNS1_3genE2ELNS1_11target_archE906ELNS1_3gpuE6ELNS1_3repE0EEENS1_30default_config_static_selectorELNS0_4arch9wavefront6targetE0EEEvT1_
	.p2align	8
	.type	_ZN7rocprim17ROCPRIM_400000_NS6detail17trampoline_kernelINS0_14default_configENS1_25partition_config_selectorILNS1_17partition_subalgoE5EtNS0_10empty_typeEbEEZZNS1_14partition_implILS5_5ELb0ES3_mN6thrust23THRUST_200600_302600_NS6detail15normal_iteratorINSA_10device_ptrItEEEEPS6_NSA_18transform_iteratorINSB_9not_fun_tI7is_trueItEEESF_NSA_11use_defaultESM_EENS0_5tupleIJSF_S6_EEENSO_IJSG_SG_EEES6_PlJS6_EEE10hipError_tPvRmT3_T4_T5_T6_T7_T9_mT8_P12ihipStream_tbDpT10_ENKUlT_T0_E_clISt17integral_constantIbLb1EES1B_EEDaS16_S17_EUlS16_E_NS1_11comp_targetILNS1_3genE2ELNS1_11target_archE906ELNS1_3gpuE6ELNS1_3repE0EEENS1_30default_config_static_selectorELNS0_4arch9wavefront6targetE0EEEvT1_,@function
_ZN7rocprim17ROCPRIM_400000_NS6detail17trampoline_kernelINS0_14default_configENS1_25partition_config_selectorILNS1_17partition_subalgoE5EtNS0_10empty_typeEbEEZZNS1_14partition_implILS5_5ELb0ES3_mN6thrust23THRUST_200600_302600_NS6detail15normal_iteratorINSA_10device_ptrItEEEEPS6_NSA_18transform_iteratorINSB_9not_fun_tI7is_trueItEEESF_NSA_11use_defaultESM_EENS0_5tupleIJSF_S6_EEENSO_IJSG_SG_EEES6_PlJS6_EEE10hipError_tPvRmT3_T4_T5_T6_T7_T9_mT8_P12ihipStream_tbDpT10_ENKUlT_T0_E_clISt17integral_constantIbLb1EES1B_EEDaS16_S17_EUlS16_E_NS1_11comp_targetILNS1_3genE2ELNS1_11target_archE906ELNS1_3gpuE6ELNS1_3repE0EEENS1_30default_config_static_selectorELNS0_4arch9wavefront6targetE0EEEvT1_: ; @_ZN7rocprim17ROCPRIM_400000_NS6detail17trampoline_kernelINS0_14default_configENS1_25partition_config_selectorILNS1_17partition_subalgoE5EtNS0_10empty_typeEbEEZZNS1_14partition_implILS5_5ELb0ES3_mN6thrust23THRUST_200600_302600_NS6detail15normal_iteratorINSA_10device_ptrItEEEEPS6_NSA_18transform_iteratorINSB_9not_fun_tI7is_trueItEEESF_NSA_11use_defaultESM_EENS0_5tupleIJSF_S6_EEENSO_IJSG_SG_EEES6_PlJS6_EEE10hipError_tPvRmT3_T4_T5_T6_T7_T9_mT8_P12ihipStream_tbDpT10_ENKUlT_T0_E_clISt17integral_constantIbLb1EES1B_EEDaS16_S17_EUlS16_E_NS1_11comp_targetILNS1_3genE2ELNS1_11target_archE906ELNS1_3gpuE6ELNS1_3repE0EEENS1_30default_config_static_selectorELNS0_4arch9wavefront6targetE0EEEvT1_
; %bb.0:
	.section	.rodata,"a",@progbits
	.p2align	6, 0x0
	.amdhsa_kernel _ZN7rocprim17ROCPRIM_400000_NS6detail17trampoline_kernelINS0_14default_configENS1_25partition_config_selectorILNS1_17partition_subalgoE5EtNS0_10empty_typeEbEEZZNS1_14partition_implILS5_5ELb0ES3_mN6thrust23THRUST_200600_302600_NS6detail15normal_iteratorINSA_10device_ptrItEEEEPS6_NSA_18transform_iteratorINSB_9not_fun_tI7is_trueItEEESF_NSA_11use_defaultESM_EENS0_5tupleIJSF_S6_EEENSO_IJSG_SG_EEES6_PlJS6_EEE10hipError_tPvRmT3_T4_T5_T6_T7_T9_mT8_P12ihipStream_tbDpT10_ENKUlT_T0_E_clISt17integral_constantIbLb1EES1B_EEDaS16_S17_EUlS16_E_NS1_11comp_targetILNS1_3genE2ELNS1_11target_archE906ELNS1_3gpuE6ELNS1_3repE0EEENS1_30default_config_static_selectorELNS0_4arch9wavefront6targetE0EEEvT1_
		.amdhsa_group_segment_fixed_size 0
		.amdhsa_private_segment_fixed_size 0
		.amdhsa_kernarg_size 136
		.amdhsa_user_sgpr_count 2
		.amdhsa_user_sgpr_dispatch_ptr 0
		.amdhsa_user_sgpr_queue_ptr 0
		.amdhsa_user_sgpr_kernarg_segment_ptr 1
		.amdhsa_user_sgpr_dispatch_id 0
		.amdhsa_user_sgpr_private_segment_size 0
		.amdhsa_wavefront_size32 1
		.amdhsa_uses_dynamic_stack 0
		.amdhsa_enable_private_segment 0
		.amdhsa_system_sgpr_workgroup_id_x 1
		.amdhsa_system_sgpr_workgroup_id_y 0
		.amdhsa_system_sgpr_workgroup_id_z 0
		.amdhsa_system_sgpr_workgroup_info 0
		.amdhsa_system_vgpr_workitem_id 0
		.amdhsa_next_free_vgpr 1
		.amdhsa_next_free_sgpr 1
		.amdhsa_reserve_vcc 0
		.amdhsa_float_round_mode_32 0
		.amdhsa_float_round_mode_16_64 0
		.amdhsa_float_denorm_mode_32 3
		.amdhsa_float_denorm_mode_16_64 3
		.amdhsa_fp16_overflow 0
		.amdhsa_workgroup_processor_mode 1
		.amdhsa_memory_ordered 1
		.amdhsa_forward_progress 1
		.amdhsa_inst_pref_size 0
		.amdhsa_round_robin_scheduling 0
		.amdhsa_exception_fp_ieee_invalid_op 0
		.amdhsa_exception_fp_denorm_src 0
		.amdhsa_exception_fp_ieee_div_zero 0
		.amdhsa_exception_fp_ieee_overflow 0
		.amdhsa_exception_fp_ieee_underflow 0
		.amdhsa_exception_fp_ieee_inexact 0
		.amdhsa_exception_int_div_zero 0
	.end_amdhsa_kernel
	.section	.text._ZN7rocprim17ROCPRIM_400000_NS6detail17trampoline_kernelINS0_14default_configENS1_25partition_config_selectorILNS1_17partition_subalgoE5EtNS0_10empty_typeEbEEZZNS1_14partition_implILS5_5ELb0ES3_mN6thrust23THRUST_200600_302600_NS6detail15normal_iteratorINSA_10device_ptrItEEEEPS6_NSA_18transform_iteratorINSB_9not_fun_tI7is_trueItEEESF_NSA_11use_defaultESM_EENS0_5tupleIJSF_S6_EEENSO_IJSG_SG_EEES6_PlJS6_EEE10hipError_tPvRmT3_T4_T5_T6_T7_T9_mT8_P12ihipStream_tbDpT10_ENKUlT_T0_E_clISt17integral_constantIbLb1EES1B_EEDaS16_S17_EUlS16_E_NS1_11comp_targetILNS1_3genE2ELNS1_11target_archE906ELNS1_3gpuE6ELNS1_3repE0EEENS1_30default_config_static_selectorELNS0_4arch9wavefront6targetE0EEEvT1_,"axG",@progbits,_ZN7rocprim17ROCPRIM_400000_NS6detail17trampoline_kernelINS0_14default_configENS1_25partition_config_selectorILNS1_17partition_subalgoE5EtNS0_10empty_typeEbEEZZNS1_14partition_implILS5_5ELb0ES3_mN6thrust23THRUST_200600_302600_NS6detail15normal_iteratorINSA_10device_ptrItEEEEPS6_NSA_18transform_iteratorINSB_9not_fun_tI7is_trueItEEESF_NSA_11use_defaultESM_EENS0_5tupleIJSF_S6_EEENSO_IJSG_SG_EEES6_PlJS6_EEE10hipError_tPvRmT3_T4_T5_T6_T7_T9_mT8_P12ihipStream_tbDpT10_ENKUlT_T0_E_clISt17integral_constantIbLb1EES1B_EEDaS16_S17_EUlS16_E_NS1_11comp_targetILNS1_3genE2ELNS1_11target_archE906ELNS1_3gpuE6ELNS1_3repE0EEENS1_30default_config_static_selectorELNS0_4arch9wavefront6targetE0EEEvT1_,comdat
.Lfunc_end1446:
	.size	_ZN7rocprim17ROCPRIM_400000_NS6detail17trampoline_kernelINS0_14default_configENS1_25partition_config_selectorILNS1_17partition_subalgoE5EtNS0_10empty_typeEbEEZZNS1_14partition_implILS5_5ELb0ES3_mN6thrust23THRUST_200600_302600_NS6detail15normal_iteratorINSA_10device_ptrItEEEEPS6_NSA_18transform_iteratorINSB_9not_fun_tI7is_trueItEEESF_NSA_11use_defaultESM_EENS0_5tupleIJSF_S6_EEENSO_IJSG_SG_EEES6_PlJS6_EEE10hipError_tPvRmT3_T4_T5_T6_T7_T9_mT8_P12ihipStream_tbDpT10_ENKUlT_T0_E_clISt17integral_constantIbLb1EES1B_EEDaS16_S17_EUlS16_E_NS1_11comp_targetILNS1_3genE2ELNS1_11target_archE906ELNS1_3gpuE6ELNS1_3repE0EEENS1_30default_config_static_selectorELNS0_4arch9wavefront6targetE0EEEvT1_, .Lfunc_end1446-_ZN7rocprim17ROCPRIM_400000_NS6detail17trampoline_kernelINS0_14default_configENS1_25partition_config_selectorILNS1_17partition_subalgoE5EtNS0_10empty_typeEbEEZZNS1_14partition_implILS5_5ELb0ES3_mN6thrust23THRUST_200600_302600_NS6detail15normal_iteratorINSA_10device_ptrItEEEEPS6_NSA_18transform_iteratorINSB_9not_fun_tI7is_trueItEEESF_NSA_11use_defaultESM_EENS0_5tupleIJSF_S6_EEENSO_IJSG_SG_EEES6_PlJS6_EEE10hipError_tPvRmT3_T4_T5_T6_T7_T9_mT8_P12ihipStream_tbDpT10_ENKUlT_T0_E_clISt17integral_constantIbLb1EES1B_EEDaS16_S17_EUlS16_E_NS1_11comp_targetILNS1_3genE2ELNS1_11target_archE906ELNS1_3gpuE6ELNS1_3repE0EEENS1_30default_config_static_selectorELNS0_4arch9wavefront6targetE0EEEvT1_
                                        ; -- End function
	.set _ZN7rocprim17ROCPRIM_400000_NS6detail17trampoline_kernelINS0_14default_configENS1_25partition_config_selectorILNS1_17partition_subalgoE5EtNS0_10empty_typeEbEEZZNS1_14partition_implILS5_5ELb0ES3_mN6thrust23THRUST_200600_302600_NS6detail15normal_iteratorINSA_10device_ptrItEEEEPS6_NSA_18transform_iteratorINSB_9not_fun_tI7is_trueItEEESF_NSA_11use_defaultESM_EENS0_5tupleIJSF_S6_EEENSO_IJSG_SG_EEES6_PlJS6_EEE10hipError_tPvRmT3_T4_T5_T6_T7_T9_mT8_P12ihipStream_tbDpT10_ENKUlT_T0_E_clISt17integral_constantIbLb1EES1B_EEDaS16_S17_EUlS16_E_NS1_11comp_targetILNS1_3genE2ELNS1_11target_archE906ELNS1_3gpuE6ELNS1_3repE0EEENS1_30default_config_static_selectorELNS0_4arch9wavefront6targetE0EEEvT1_.num_vgpr, 0
	.set _ZN7rocprim17ROCPRIM_400000_NS6detail17trampoline_kernelINS0_14default_configENS1_25partition_config_selectorILNS1_17partition_subalgoE5EtNS0_10empty_typeEbEEZZNS1_14partition_implILS5_5ELb0ES3_mN6thrust23THRUST_200600_302600_NS6detail15normal_iteratorINSA_10device_ptrItEEEEPS6_NSA_18transform_iteratorINSB_9not_fun_tI7is_trueItEEESF_NSA_11use_defaultESM_EENS0_5tupleIJSF_S6_EEENSO_IJSG_SG_EEES6_PlJS6_EEE10hipError_tPvRmT3_T4_T5_T6_T7_T9_mT8_P12ihipStream_tbDpT10_ENKUlT_T0_E_clISt17integral_constantIbLb1EES1B_EEDaS16_S17_EUlS16_E_NS1_11comp_targetILNS1_3genE2ELNS1_11target_archE906ELNS1_3gpuE6ELNS1_3repE0EEENS1_30default_config_static_selectorELNS0_4arch9wavefront6targetE0EEEvT1_.num_agpr, 0
	.set _ZN7rocprim17ROCPRIM_400000_NS6detail17trampoline_kernelINS0_14default_configENS1_25partition_config_selectorILNS1_17partition_subalgoE5EtNS0_10empty_typeEbEEZZNS1_14partition_implILS5_5ELb0ES3_mN6thrust23THRUST_200600_302600_NS6detail15normal_iteratorINSA_10device_ptrItEEEEPS6_NSA_18transform_iteratorINSB_9not_fun_tI7is_trueItEEESF_NSA_11use_defaultESM_EENS0_5tupleIJSF_S6_EEENSO_IJSG_SG_EEES6_PlJS6_EEE10hipError_tPvRmT3_T4_T5_T6_T7_T9_mT8_P12ihipStream_tbDpT10_ENKUlT_T0_E_clISt17integral_constantIbLb1EES1B_EEDaS16_S17_EUlS16_E_NS1_11comp_targetILNS1_3genE2ELNS1_11target_archE906ELNS1_3gpuE6ELNS1_3repE0EEENS1_30default_config_static_selectorELNS0_4arch9wavefront6targetE0EEEvT1_.numbered_sgpr, 0
	.set _ZN7rocprim17ROCPRIM_400000_NS6detail17trampoline_kernelINS0_14default_configENS1_25partition_config_selectorILNS1_17partition_subalgoE5EtNS0_10empty_typeEbEEZZNS1_14partition_implILS5_5ELb0ES3_mN6thrust23THRUST_200600_302600_NS6detail15normal_iteratorINSA_10device_ptrItEEEEPS6_NSA_18transform_iteratorINSB_9not_fun_tI7is_trueItEEESF_NSA_11use_defaultESM_EENS0_5tupleIJSF_S6_EEENSO_IJSG_SG_EEES6_PlJS6_EEE10hipError_tPvRmT3_T4_T5_T6_T7_T9_mT8_P12ihipStream_tbDpT10_ENKUlT_T0_E_clISt17integral_constantIbLb1EES1B_EEDaS16_S17_EUlS16_E_NS1_11comp_targetILNS1_3genE2ELNS1_11target_archE906ELNS1_3gpuE6ELNS1_3repE0EEENS1_30default_config_static_selectorELNS0_4arch9wavefront6targetE0EEEvT1_.num_named_barrier, 0
	.set _ZN7rocprim17ROCPRIM_400000_NS6detail17trampoline_kernelINS0_14default_configENS1_25partition_config_selectorILNS1_17partition_subalgoE5EtNS0_10empty_typeEbEEZZNS1_14partition_implILS5_5ELb0ES3_mN6thrust23THRUST_200600_302600_NS6detail15normal_iteratorINSA_10device_ptrItEEEEPS6_NSA_18transform_iteratorINSB_9not_fun_tI7is_trueItEEESF_NSA_11use_defaultESM_EENS0_5tupleIJSF_S6_EEENSO_IJSG_SG_EEES6_PlJS6_EEE10hipError_tPvRmT3_T4_T5_T6_T7_T9_mT8_P12ihipStream_tbDpT10_ENKUlT_T0_E_clISt17integral_constantIbLb1EES1B_EEDaS16_S17_EUlS16_E_NS1_11comp_targetILNS1_3genE2ELNS1_11target_archE906ELNS1_3gpuE6ELNS1_3repE0EEENS1_30default_config_static_selectorELNS0_4arch9wavefront6targetE0EEEvT1_.private_seg_size, 0
	.set _ZN7rocprim17ROCPRIM_400000_NS6detail17trampoline_kernelINS0_14default_configENS1_25partition_config_selectorILNS1_17partition_subalgoE5EtNS0_10empty_typeEbEEZZNS1_14partition_implILS5_5ELb0ES3_mN6thrust23THRUST_200600_302600_NS6detail15normal_iteratorINSA_10device_ptrItEEEEPS6_NSA_18transform_iteratorINSB_9not_fun_tI7is_trueItEEESF_NSA_11use_defaultESM_EENS0_5tupleIJSF_S6_EEENSO_IJSG_SG_EEES6_PlJS6_EEE10hipError_tPvRmT3_T4_T5_T6_T7_T9_mT8_P12ihipStream_tbDpT10_ENKUlT_T0_E_clISt17integral_constantIbLb1EES1B_EEDaS16_S17_EUlS16_E_NS1_11comp_targetILNS1_3genE2ELNS1_11target_archE906ELNS1_3gpuE6ELNS1_3repE0EEENS1_30default_config_static_selectorELNS0_4arch9wavefront6targetE0EEEvT1_.uses_vcc, 0
	.set _ZN7rocprim17ROCPRIM_400000_NS6detail17trampoline_kernelINS0_14default_configENS1_25partition_config_selectorILNS1_17partition_subalgoE5EtNS0_10empty_typeEbEEZZNS1_14partition_implILS5_5ELb0ES3_mN6thrust23THRUST_200600_302600_NS6detail15normal_iteratorINSA_10device_ptrItEEEEPS6_NSA_18transform_iteratorINSB_9not_fun_tI7is_trueItEEESF_NSA_11use_defaultESM_EENS0_5tupleIJSF_S6_EEENSO_IJSG_SG_EEES6_PlJS6_EEE10hipError_tPvRmT3_T4_T5_T6_T7_T9_mT8_P12ihipStream_tbDpT10_ENKUlT_T0_E_clISt17integral_constantIbLb1EES1B_EEDaS16_S17_EUlS16_E_NS1_11comp_targetILNS1_3genE2ELNS1_11target_archE906ELNS1_3gpuE6ELNS1_3repE0EEENS1_30default_config_static_selectorELNS0_4arch9wavefront6targetE0EEEvT1_.uses_flat_scratch, 0
	.set _ZN7rocprim17ROCPRIM_400000_NS6detail17trampoline_kernelINS0_14default_configENS1_25partition_config_selectorILNS1_17partition_subalgoE5EtNS0_10empty_typeEbEEZZNS1_14partition_implILS5_5ELb0ES3_mN6thrust23THRUST_200600_302600_NS6detail15normal_iteratorINSA_10device_ptrItEEEEPS6_NSA_18transform_iteratorINSB_9not_fun_tI7is_trueItEEESF_NSA_11use_defaultESM_EENS0_5tupleIJSF_S6_EEENSO_IJSG_SG_EEES6_PlJS6_EEE10hipError_tPvRmT3_T4_T5_T6_T7_T9_mT8_P12ihipStream_tbDpT10_ENKUlT_T0_E_clISt17integral_constantIbLb1EES1B_EEDaS16_S17_EUlS16_E_NS1_11comp_targetILNS1_3genE2ELNS1_11target_archE906ELNS1_3gpuE6ELNS1_3repE0EEENS1_30default_config_static_selectorELNS0_4arch9wavefront6targetE0EEEvT1_.has_dyn_sized_stack, 0
	.set _ZN7rocprim17ROCPRIM_400000_NS6detail17trampoline_kernelINS0_14default_configENS1_25partition_config_selectorILNS1_17partition_subalgoE5EtNS0_10empty_typeEbEEZZNS1_14partition_implILS5_5ELb0ES3_mN6thrust23THRUST_200600_302600_NS6detail15normal_iteratorINSA_10device_ptrItEEEEPS6_NSA_18transform_iteratorINSB_9not_fun_tI7is_trueItEEESF_NSA_11use_defaultESM_EENS0_5tupleIJSF_S6_EEENSO_IJSG_SG_EEES6_PlJS6_EEE10hipError_tPvRmT3_T4_T5_T6_T7_T9_mT8_P12ihipStream_tbDpT10_ENKUlT_T0_E_clISt17integral_constantIbLb1EES1B_EEDaS16_S17_EUlS16_E_NS1_11comp_targetILNS1_3genE2ELNS1_11target_archE906ELNS1_3gpuE6ELNS1_3repE0EEENS1_30default_config_static_selectorELNS0_4arch9wavefront6targetE0EEEvT1_.has_recursion, 0
	.set _ZN7rocprim17ROCPRIM_400000_NS6detail17trampoline_kernelINS0_14default_configENS1_25partition_config_selectorILNS1_17partition_subalgoE5EtNS0_10empty_typeEbEEZZNS1_14partition_implILS5_5ELb0ES3_mN6thrust23THRUST_200600_302600_NS6detail15normal_iteratorINSA_10device_ptrItEEEEPS6_NSA_18transform_iteratorINSB_9not_fun_tI7is_trueItEEESF_NSA_11use_defaultESM_EENS0_5tupleIJSF_S6_EEENSO_IJSG_SG_EEES6_PlJS6_EEE10hipError_tPvRmT3_T4_T5_T6_T7_T9_mT8_P12ihipStream_tbDpT10_ENKUlT_T0_E_clISt17integral_constantIbLb1EES1B_EEDaS16_S17_EUlS16_E_NS1_11comp_targetILNS1_3genE2ELNS1_11target_archE906ELNS1_3gpuE6ELNS1_3repE0EEENS1_30default_config_static_selectorELNS0_4arch9wavefront6targetE0EEEvT1_.has_indirect_call, 0
	.section	.AMDGPU.csdata,"",@progbits
; Kernel info:
; codeLenInByte = 0
; TotalNumSgprs: 0
; NumVgprs: 0
; ScratchSize: 0
; MemoryBound: 0
; FloatMode: 240
; IeeeMode: 1
; LDSByteSize: 0 bytes/workgroup (compile time only)
; SGPRBlocks: 0
; VGPRBlocks: 0
; NumSGPRsForWavesPerEU: 1
; NumVGPRsForWavesPerEU: 1
; Occupancy: 16
; WaveLimiterHint : 0
; COMPUTE_PGM_RSRC2:SCRATCH_EN: 0
; COMPUTE_PGM_RSRC2:USER_SGPR: 2
; COMPUTE_PGM_RSRC2:TRAP_HANDLER: 0
; COMPUTE_PGM_RSRC2:TGID_X_EN: 1
; COMPUTE_PGM_RSRC2:TGID_Y_EN: 0
; COMPUTE_PGM_RSRC2:TGID_Z_EN: 0
; COMPUTE_PGM_RSRC2:TIDIG_COMP_CNT: 0
	.section	.text._ZN7rocprim17ROCPRIM_400000_NS6detail17trampoline_kernelINS0_14default_configENS1_25partition_config_selectorILNS1_17partition_subalgoE5EtNS0_10empty_typeEbEEZZNS1_14partition_implILS5_5ELb0ES3_mN6thrust23THRUST_200600_302600_NS6detail15normal_iteratorINSA_10device_ptrItEEEEPS6_NSA_18transform_iteratorINSB_9not_fun_tI7is_trueItEEESF_NSA_11use_defaultESM_EENS0_5tupleIJSF_S6_EEENSO_IJSG_SG_EEES6_PlJS6_EEE10hipError_tPvRmT3_T4_T5_T6_T7_T9_mT8_P12ihipStream_tbDpT10_ENKUlT_T0_E_clISt17integral_constantIbLb1EES1B_EEDaS16_S17_EUlS16_E_NS1_11comp_targetILNS1_3genE10ELNS1_11target_archE1200ELNS1_3gpuE4ELNS1_3repE0EEENS1_30default_config_static_selectorELNS0_4arch9wavefront6targetE0EEEvT1_,"axG",@progbits,_ZN7rocprim17ROCPRIM_400000_NS6detail17trampoline_kernelINS0_14default_configENS1_25partition_config_selectorILNS1_17partition_subalgoE5EtNS0_10empty_typeEbEEZZNS1_14partition_implILS5_5ELb0ES3_mN6thrust23THRUST_200600_302600_NS6detail15normal_iteratorINSA_10device_ptrItEEEEPS6_NSA_18transform_iteratorINSB_9not_fun_tI7is_trueItEEESF_NSA_11use_defaultESM_EENS0_5tupleIJSF_S6_EEENSO_IJSG_SG_EEES6_PlJS6_EEE10hipError_tPvRmT3_T4_T5_T6_T7_T9_mT8_P12ihipStream_tbDpT10_ENKUlT_T0_E_clISt17integral_constantIbLb1EES1B_EEDaS16_S17_EUlS16_E_NS1_11comp_targetILNS1_3genE10ELNS1_11target_archE1200ELNS1_3gpuE4ELNS1_3repE0EEENS1_30default_config_static_selectorELNS0_4arch9wavefront6targetE0EEEvT1_,comdat
	.protected	_ZN7rocprim17ROCPRIM_400000_NS6detail17trampoline_kernelINS0_14default_configENS1_25partition_config_selectorILNS1_17partition_subalgoE5EtNS0_10empty_typeEbEEZZNS1_14partition_implILS5_5ELb0ES3_mN6thrust23THRUST_200600_302600_NS6detail15normal_iteratorINSA_10device_ptrItEEEEPS6_NSA_18transform_iteratorINSB_9not_fun_tI7is_trueItEEESF_NSA_11use_defaultESM_EENS0_5tupleIJSF_S6_EEENSO_IJSG_SG_EEES6_PlJS6_EEE10hipError_tPvRmT3_T4_T5_T6_T7_T9_mT8_P12ihipStream_tbDpT10_ENKUlT_T0_E_clISt17integral_constantIbLb1EES1B_EEDaS16_S17_EUlS16_E_NS1_11comp_targetILNS1_3genE10ELNS1_11target_archE1200ELNS1_3gpuE4ELNS1_3repE0EEENS1_30default_config_static_selectorELNS0_4arch9wavefront6targetE0EEEvT1_ ; -- Begin function _ZN7rocprim17ROCPRIM_400000_NS6detail17trampoline_kernelINS0_14default_configENS1_25partition_config_selectorILNS1_17partition_subalgoE5EtNS0_10empty_typeEbEEZZNS1_14partition_implILS5_5ELb0ES3_mN6thrust23THRUST_200600_302600_NS6detail15normal_iteratorINSA_10device_ptrItEEEEPS6_NSA_18transform_iteratorINSB_9not_fun_tI7is_trueItEEESF_NSA_11use_defaultESM_EENS0_5tupleIJSF_S6_EEENSO_IJSG_SG_EEES6_PlJS6_EEE10hipError_tPvRmT3_T4_T5_T6_T7_T9_mT8_P12ihipStream_tbDpT10_ENKUlT_T0_E_clISt17integral_constantIbLb1EES1B_EEDaS16_S17_EUlS16_E_NS1_11comp_targetILNS1_3genE10ELNS1_11target_archE1200ELNS1_3gpuE4ELNS1_3repE0EEENS1_30default_config_static_selectorELNS0_4arch9wavefront6targetE0EEEvT1_
	.globl	_ZN7rocprim17ROCPRIM_400000_NS6detail17trampoline_kernelINS0_14default_configENS1_25partition_config_selectorILNS1_17partition_subalgoE5EtNS0_10empty_typeEbEEZZNS1_14partition_implILS5_5ELb0ES3_mN6thrust23THRUST_200600_302600_NS6detail15normal_iteratorINSA_10device_ptrItEEEEPS6_NSA_18transform_iteratorINSB_9not_fun_tI7is_trueItEEESF_NSA_11use_defaultESM_EENS0_5tupleIJSF_S6_EEENSO_IJSG_SG_EEES6_PlJS6_EEE10hipError_tPvRmT3_T4_T5_T6_T7_T9_mT8_P12ihipStream_tbDpT10_ENKUlT_T0_E_clISt17integral_constantIbLb1EES1B_EEDaS16_S17_EUlS16_E_NS1_11comp_targetILNS1_3genE10ELNS1_11target_archE1200ELNS1_3gpuE4ELNS1_3repE0EEENS1_30default_config_static_selectorELNS0_4arch9wavefront6targetE0EEEvT1_
	.p2align	8
	.type	_ZN7rocprim17ROCPRIM_400000_NS6detail17trampoline_kernelINS0_14default_configENS1_25partition_config_selectorILNS1_17partition_subalgoE5EtNS0_10empty_typeEbEEZZNS1_14partition_implILS5_5ELb0ES3_mN6thrust23THRUST_200600_302600_NS6detail15normal_iteratorINSA_10device_ptrItEEEEPS6_NSA_18transform_iteratorINSB_9not_fun_tI7is_trueItEEESF_NSA_11use_defaultESM_EENS0_5tupleIJSF_S6_EEENSO_IJSG_SG_EEES6_PlJS6_EEE10hipError_tPvRmT3_T4_T5_T6_T7_T9_mT8_P12ihipStream_tbDpT10_ENKUlT_T0_E_clISt17integral_constantIbLb1EES1B_EEDaS16_S17_EUlS16_E_NS1_11comp_targetILNS1_3genE10ELNS1_11target_archE1200ELNS1_3gpuE4ELNS1_3repE0EEENS1_30default_config_static_selectorELNS0_4arch9wavefront6targetE0EEEvT1_,@function
_ZN7rocprim17ROCPRIM_400000_NS6detail17trampoline_kernelINS0_14default_configENS1_25partition_config_selectorILNS1_17partition_subalgoE5EtNS0_10empty_typeEbEEZZNS1_14partition_implILS5_5ELb0ES3_mN6thrust23THRUST_200600_302600_NS6detail15normal_iteratorINSA_10device_ptrItEEEEPS6_NSA_18transform_iteratorINSB_9not_fun_tI7is_trueItEEESF_NSA_11use_defaultESM_EENS0_5tupleIJSF_S6_EEENSO_IJSG_SG_EEES6_PlJS6_EEE10hipError_tPvRmT3_T4_T5_T6_T7_T9_mT8_P12ihipStream_tbDpT10_ENKUlT_T0_E_clISt17integral_constantIbLb1EES1B_EEDaS16_S17_EUlS16_E_NS1_11comp_targetILNS1_3genE10ELNS1_11target_archE1200ELNS1_3gpuE4ELNS1_3repE0EEENS1_30default_config_static_selectorELNS0_4arch9wavefront6targetE0EEEvT1_: ; @_ZN7rocprim17ROCPRIM_400000_NS6detail17trampoline_kernelINS0_14default_configENS1_25partition_config_selectorILNS1_17partition_subalgoE5EtNS0_10empty_typeEbEEZZNS1_14partition_implILS5_5ELb0ES3_mN6thrust23THRUST_200600_302600_NS6detail15normal_iteratorINSA_10device_ptrItEEEEPS6_NSA_18transform_iteratorINSB_9not_fun_tI7is_trueItEEESF_NSA_11use_defaultESM_EENS0_5tupleIJSF_S6_EEENSO_IJSG_SG_EEES6_PlJS6_EEE10hipError_tPvRmT3_T4_T5_T6_T7_T9_mT8_P12ihipStream_tbDpT10_ENKUlT_T0_E_clISt17integral_constantIbLb1EES1B_EEDaS16_S17_EUlS16_E_NS1_11comp_targetILNS1_3genE10ELNS1_11target_archE1200ELNS1_3gpuE4ELNS1_3repE0EEENS1_30default_config_static_selectorELNS0_4arch9wavefront6targetE0EEEvT1_
; %bb.0:
	s_endpgm
	.section	.rodata,"a",@progbits
	.p2align	6, 0x0
	.amdhsa_kernel _ZN7rocprim17ROCPRIM_400000_NS6detail17trampoline_kernelINS0_14default_configENS1_25partition_config_selectorILNS1_17partition_subalgoE5EtNS0_10empty_typeEbEEZZNS1_14partition_implILS5_5ELb0ES3_mN6thrust23THRUST_200600_302600_NS6detail15normal_iteratorINSA_10device_ptrItEEEEPS6_NSA_18transform_iteratorINSB_9not_fun_tI7is_trueItEEESF_NSA_11use_defaultESM_EENS0_5tupleIJSF_S6_EEENSO_IJSG_SG_EEES6_PlJS6_EEE10hipError_tPvRmT3_T4_T5_T6_T7_T9_mT8_P12ihipStream_tbDpT10_ENKUlT_T0_E_clISt17integral_constantIbLb1EES1B_EEDaS16_S17_EUlS16_E_NS1_11comp_targetILNS1_3genE10ELNS1_11target_archE1200ELNS1_3gpuE4ELNS1_3repE0EEENS1_30default_config_static_selectorELNS0_4arch9wavefront6targetE0EEEvT1_
		.amdhsa_group_segment_fixed_size 0
		.amdhsa_private_segment_fixed_size 0
		.amdhsa_kernarg_size 136
		.amdhsa_user_sgpr_count 2
		.amdhsa_user_sgpr_dispatch_ptr 0
		.amdhsa_user_sgpr_queue_ptr 0
		.amdhsa_user_sgpr_kernarg_segment_ptr 1
		.amdhsa_user_sgpr_dispatch_id 0
		.amdhsa_user_sgpr_private_segment_size 0
		.amdhsa_wavefront_size32 1
		.amdhsa_uses_dynamic_stack 0
		.amdhsa_enable_private_segment 0
		.amdhsa_system_sgpr_workgroup_id_x 1
		.amdhsa_system_sgpr_workgroup_id_y 0
		.amdhsa_system_sgpr_workgroup_id_z 0
		.amdhsa_system_sgpr_workgroup_info 0
		.amdhsa_system_vgpr_workitem_id 0
		.amdhsa_next_free_vgpr 1
		.amdhsa_next_free_sgpr 1
		.amdhsa_reserve_vcc 0
		.amdhsa_float_round_mode_32 0
		.amdhsa_float_round_mode_16_64 0
		.amdhsa_float_denorm_mode_32 3
		.amdhsa_float_denorm_mode_16_64 3
		.amdhsa_fp16_overflow 0
		.amdhsa_workgroup_processor_mode 1
		.amdhsa_memory_ordered 1
		.amdhsa_forward_progress 1
		.amdhsa_inst_pref_size 1
		.amdhsa_round_robin_scheduling 0
		.amdhsa_exception_fp_ieee_invalid_op 0
		.amdhsa_exception_fp_denorm_src 0
		.amdhsa_exception_fp_ieee_div_zero 0
		.amdhsa_exception_fp_ieee_overflow 0
		.amdhsa_exception_fp_ieee_underflow 0
		.amdhsa_exception_fp_ieee_inexact 0
		.amdhsa_exception_int_div_zero 0
	.end_amdhsa_kernel
	.section	.text._ZN7rocprim17ROCPRIM_400000_NS6detail17trampoline_kernelINS0_14default_configENS1_25partition_config_selectorILNS1_17partition_subalgoE5EtNS0_10empty_typeEbEEZZNS1_14partition_implILS5_5ELb0ES3_mN6thrust23THRUST_200600_302600_NS6detail15normal_iteratorINSA_10device_ptrItEEEEPS6_NSA_18transform_iteratorINSB_9not_fun_tI7is_trueItEEESF_NSA_11use_defaultESM_EENS0_5tupleIJSF_S6_EEENSO_IJSG_SG_EEES6_PlJS6_EEE10hipError_tPvRmT3_T4_T5_T6_T7_T9_mT8_P12ihipStream_tbDpT10_ENKUlT_T0_E_clISt17integral_constantIbLb1EES1B_EEDaS16_S17_EUlS16_E_NS1_11comp_targetILNS1_3genE10ELNS1_11target_archE1200ELNS1_3gpuE4ELNS1_3repE0EEENS1_30default_config_static_selectorELNS0_4arch9wavefront6targetE0EEEvT1_,"axG",@progbits,_ZN7rocprim17ROCPRIM_400000_NS6detail17trampoline_kernelINS0_14default_configENS1_25partition_config_selectorILNS1_17partition_subalgoE5EtNS0_10empty_typeEbEEZZNS1_14partition_implILS5_5ELb0ES3_mN6thrust23THRUST_200600_302600_NS6detail15normal_iteratorINSA_10device_ptrItEEEEPS6_NSA_18transform_iteratorINSB_9not_fun_tI7is_trueItEEESF_NSA_11use_defaultESM_EENS0_5tupleIJSF_S6_EEENSO_IJSG_SG_EEES6_PlJS6_EEE10hipError_tPvRmT3_T4_T5_T6_T7_T9_mT8_P12ihipStream_tbDpT10_ENKUlT_T0_E_clISt17integral_constantIbLb1EES1B_EEDaS16_S17_EUlS16_E_NS1_11comp_targetILNS1_3genE10ELNS1_11target_archE1200ELNS1_3gpuE4ELNS1_3repE0EEENS1_30default_config_static_selectorELNS0_4arch9wavefront6targetE0EEEvT1_,comdat
.Lfunc_end1447:
	.size	_ZN7rocprim17ROCPRIM_400000_NS6detail17trampoline_kernelINS0_14default_configENS1_25partition_config_selectorILNS1_17partition_subalgoE5EtNS0_10empty_typeEbEEZZNS1_14partition_implILS5_5ELb0ES3_mN6thrust23THRUST_200600_302600_NS6detail15normal_iteratorINSA_10device_ptrItEEEEPS6_NSA_18transform_iteratorINSB_9not_fun_tI7is_trueItEEESF_NSA_11use_defaultESM_EENS0_5tupleIJSF_S6_EEENSO_IJSG_SG_EEES6_PlJS6_EEE10hipError_tPvRmT3_T4_T5_T6_T7_T9_mT8_P12ihipStream_tbDpT10_ENKUlT_T0_E_clISt17integral_constantIbLb1EES1B_EEDaS16_S17_EUlS16_E_NS1_11comp_targetILNS1_3genE10ELNS1_11target_archE1200ELNS1_3gpuE4ELNS1_3repE0EEENS1_30default_config_static_selectorELNS0_4arch9wavefront6targetE0EEEvT1_, .Lfunc_end1447-_ZN7rocprim17ROCPRIM_400000_NS6detail17trampoline_kernelINS0_14default_configENS1_25partition_config_selectorILNS1_17partition_subalgoE5EtNS0_10empty_typeEbEEZZNS1_14partition_implILS5_5ELb0ES3_mN6thrust23THRUST_200600_302600_NS6detail15normal_iteratorINSA_10device_ptrItEEEEPS6_NSA_18transform_iteratorINSB_9not_fun_tI7is_trueItEEESF_NSA_11use_defaultESM_EENS0_5tupleIJSF_S6_EEENSO_IJSG_SG_EEES6_PlJS6_EEE10hipError_tPvRmT3_T4_T5_T6_T7_T9_mT8_P12ihipStream_tbDpT10_ENKUlT_T0_E_clISt17integral_constantIbLb1EES1B_EEDaS16_S17_EUlS16_E_NS1_11comp_targetILNS1_3genE10ELNS1_11target_archE1200ELNS1_3gpuE4ELNS1_3repE0EEENS1_30default_config_static_selectorELNS0_4arch9wavefront6targetE0EEEvT1_
                                        ; -- End function
	.set _ZN7rocprim17ROCPRIM_400000_NS6detail17trampoline_kernelINS0_14default_configENS1_25partition_config_selectorILNS1_17partition_subalgoE5EtNS0_10empty_typeEbEEZZNS1_14partition_implILS5_5ELb0ES3_mN6thrust23THRUST_200600_302600_NS6detail15normal_iteratorINSA_10device_ptrItEEEEPS6_NSA_18transform_iteratorINSB_9not_fun_tI7is_trueItEEESF_NSA_11use_defaultESM_EENS0_5tupleIJSF_S6_EEENSO_IJSG_SG_EEES6_PlJS6_EEE10hipError_tPvRmT3_T4_T5_T6_T7_T9_mT8_P12ihipStream_tbDpT10_ENKUlT_T0_E_clISt17integral_constantIbLb1EES1B_EEDaS16_S17_EUlS16_E_NS1_11comp_targetILNS1_3genE10ELNS1_11target_archE1200ELNS1_3gpuE4ELNS1_3repE0EEENS1_30default_config_static_selectorELNS0_4arch9wavefront6targetE0EEEvT1_.num_vgpr, 0
	.set _ZN7rocprim17ROCPRIM_400000_NS6detail17trampoline_kernelINS0_14default_configENS1_25partition_config_selectorILNS1_17partition_subalgoE5EtNS0_10empty_typeEbEEZZNS1_14partition_implILS5_5ELb0ES3_mN6thrust23THRUST_200600_302600_NS6detail15normal_iteratorINSA_10device_ptrItEEEEPS6_NSA_18transform_iteratorINSB_9not_fun_tI7is_trueItEEESF_NSA_11use_defaultESM_EENS0_5tupleIJSF_S6_EEENSO_IJSG_SG_EEES6_PlJS6_EEE10hipError_tPvRmT3_T4_T5_T6_T7_T9_mT8_P12ihipStream_tbDpT10_ENKUlT_T0_E_clISt17integral_constantIbLb1EES1B_EEDaS16_S17_EUlS16_E_NS1_11comp_targetILNS1_3genE10ELNS1_11target_archE1200ELNS1_3gpuE4ELNS1_3repE0EEENS1_30default_config_static_selectorELNS0_4arch9wavefront6targetE0EEEvT1_.num_agpr, 0
	.set _ZN7rocprim17ROCPRIM_400000_NS6detail17trampoline_kernelINS0_14default_configENS1_25partition_config_selectorILNS1_17partition_subalgoE5EtNS0_10empty_typeEbEEZZNS1_14partition_implILS5_5ELb0ES3_mN6thrust23THRUST_200600_302600_NS6detail15normal_iteratorINSA_10device_ptrItEEEEPS6_NSA_18transform_iteratorINSB_9not_fun_tI7is_trueItEEESF_NSA_11use_defaultESM_EENS0_5tupleIJSF_S6_EEENSO_IJSG_SG_EEES6_PlJS6_EEE10hipError_tPvRmT3_T4_T5_T6_T7_T9_mT8_P12ihipStream_tbDpT10_ENKUlT_T0_E_clISt17integral_constantIbLb1EES1B_EEDaS16_S17_EUlS16_E_NS1_11comp_targetILNS1_3genE10ELNS1_11target_archE1200ELNS1_3gpuE4ELNS1_3repE0EEENS1_30default_config_static_selectorELNS0_4arch9wavefront6targetE0EEEvT1_.numbered_sgpr, 0
	.set _ZN7rocprim17ROCPRIM_400000_NS6detail17trampoline_kernelINS0_14default_configENS1_25partition_config_selectorILNS1_17partition_subalgoE5EtNS0_10empty_typeEbEEZZNS1_14partition_implILS5_5ELb0ES3_mN6thrust23THRUST_200600_302600_NS6detail15normal_iteratorINSA_10device_ptrItEEEEPS6_NSA_18transform_iteratorINSB_9not_fun_tI7is_trueItEEESF_NSA_11use_defaultESM_EENS0_5tupleIJSF_S6_EEENSO_IJSG_SG_EEES6_PlJS6_EEE10hipError_tPvRmT3_T4_T5_T6_T7_T9_mT8_P12ihipStream_tbDpT10_ENKUlT_T0_E_clISt17integral_constantIbLb1EES1B_EEDaS16_S17_EUlS16_E_NS1_11comp_targetILNS1_3genE10ELNS1_11target_archE1200ELNS1_3gpuE4ELNS1_3repE0EEENS1_30default_config_static_selectorELNS0_4arch9wavefront6targetE0EEEvT1_.num_named_barrier, 0
	.set _ZN7rocprim17ROCPRIM_400000_NS6detail17trampoline_kernelINS0_14default_configENS1_25partition_config_selectorILNS1_17partition_subalgoE5EtNS0_10empty_typeEbEEZZNS1_14partition_implILS5_5ELb0ES3_mN6thrust23THRUST_200600_302600_NS6detail15normal_iteratorINSA_10device_ptrItEEEEPS6_NSA_18transform_iteratorINSB_9not_fun_tI7is_trueItEEESF_NSA_11use_defaultESM_EENS0_5tupleIJSF_S6_EEENSO_IJSG_SG_EEES6_PlJS6_EEE10hipError_tPvRmT3_T4_T5_T6_T7_T9_mT8_P12ihipStream_tbDpT10_ENKUlT_T0_E_clISt17integral_constantIbLb1EES1B_EEDaS16_S17_EUlS16_E_NS1_11comp_targetILNS1_3genE10ELNS1_11target_archE1200ELNS1_3gpuE4ELNS1_3repE0EEENS1_30default_config_static_selectorELNS0_4arch9wavefront6targetE0EEEvT1_.private_seg_size, 0
	.set _ZN7rocprim17ROCPRIM_400000_NS6detail17trampoline_kernelINS0_14default_configENS1_25partition_config_selectorILNS1_17partition_subalgoE5EtNS0_10empty_typeEbEEZZNS1_14partition_implILS5_5ELb0ES3_mN6thrust23THRUST_200600_302600_NS6detail15normal_iteratorINSA_10device_ptrItEEEEPS6_NSA_18transform_iteratorINSB_9not_fun_tI7is_trueItEEESF_NSA_11use_defaultESM_EENS0_5tupleIJSF_S6_EEENSO_IJSG_SG_EEES6_PlJS6_EEE10hipError_tPvRmT3_T4_T5_T6_T7_T9_mT8_P12ihipStream_tbDpT10_ENKUlT_T0_E_clISt17integral_constantIbLb1EES1B_EEDaS16_S17_EUlS16_E_NS1_11comp_targetILNS1_3genE10ELNS1_11target_archE1200ELNS1_3gpuE4ELNS1_3repE0EEENS1_30default_config_static_selectorELNS0_4arch9wavefront6targetE0EEEvT1_.uses_vcc, 0
	.set _ZN7rocprim17ROCPRIM_400000_NS6detail17trampoline_kernelINS0_14default_configENS1_25partition_config_selectorILNS1_17partition_subalgoE5EtNS0_10empty_typeEbEEZZNS1_14partition_implILS5_5ELb0ES3_mN6thrust23THRUST_200600_302600_NS6detail15normal_iteratorINSA_10device_ptrItEEEEPS6_NSA_18transform_iteratorINSB_9not_fun_tI7is_trueItEEESF_NSA_11use_defaultESM_EENS0_5tupleIJSF_S6_EEENSO_IJSG_SG_EEES6_PlJS6_EEE10hipError_tPvRmT3_T4_T5_T6_T7_T9_mT8_P12ihipStream_tbDpT10_ENKUlT_T0_E_clISt17integral_constantIbLb1EES1B_EEDaS16_S17_EUlS16_E_NS1_11comp_targetILNS1_3genE10ELNS1_11target_archE1200ELNS1_3gpuE4ELNS1_3repE0EEENS1_30default_config_static_selectorELNS0_4arch9wavefront6targetE0EEEvT1_.uses_flat_scratch, 0
	.set _ZN7rocprim17ROCPRIM_400000_NS6detail17trampoline_kernelINS0_14default_configENS1_25partition_config_selectorILNS1_17partition_subalgoE5EtNS0_10empty_typeEbEEZZNS1_14partition_implILS5_5ELb0ES3_mN6thrust23THRUST_200600_302600_NS6detail15normal_iteratorINSA_10device_ptrItEEEEPS6_NSA_18transform_iteratorINSB_9not_fun_tI7is_trueItEEESF_NSA_11use_defaultESM_EENS0_5tupleIJSF_S6_EEENSO_IJSG_SG_EEES6_PlJS6_EEE10hipError_tPvRmT3_T4_T5_T6_T7_T9_mT8_P12ihipStream_tbDpT10_ENKUlT_T0_E_clISt17integral_constantIbLb1EES1B_EEDaS16_S17_EUlS16_E_NS1_11comp_targetILNS1_3genE10ELNS1_11target_archE1200ELNS1_3gpuE4ELNS1_3repE0EEENS1_30default_config_static_selectorELNS0_4arch9wavefront6targetE0EEEvT1_.has_dyn_sized_stack, 0
	.set _ZN7rocprim17ROCPRIM_400000_NS6detail17trampoline_kernelINS0_14default_configENS1_25partition_config_selectorILNS1_17partition_subalgoE5EtNS0_10empty_typeEbEEZZNS1_14partition_implILS5_5ELb0ES3_mN6thrust23THRUST_200600_302600_NS6detail15normal_iteratorINSA_10device_ptrItEEEEPS6_NSA_18transform_iteratorINSB_9not_fun_tI7is_trueItEEESF_NSA_11use_defaultESM_EENS0_5tupleIJSF_S6_EEENSO_IJSG_SG_EEES6_PlJS6_EEE10hipError_tPvRmT3_T4_T5_T6_T7_T9_mT8_P12ihipStream_tbDpT10_ENKUlT_T0_E_clISt17integral_constantIbLb1EES1B_EEDaS16_S17_EUlS16_E_NS1_11comp_targetILNS1_3genE10ELNS1_11target_archE1200ELNS1_3gpuE4ELNS1_3repE0EEENS1_30default_config_static_selectorELNS0_4arch9wavefront6targetE0EEEvT1_.has_recursion, 0
	.set _ZN7rocprim17ROCPRIM_400000_NS6detail17trampoline_kernelINS0_14default_configENS1_25partition_config_selectorILNS1_17partition_subalgoE5EtNS0_10empty_typeEbEEZZNS1_14partition_implILS5_5ELb0ES3_mN6thrust23THRUST_200600_302600_NS6detail15normal_iteratorINSA_10device_ptrItEEEEPS6_NSA_18transform_iteratorINSB_9not_fun_tI7is_trueItEEESF_NSA_11use_defaultESM_EENS0_5tupleIJSF_S6_EEENSO_IJSG_SG_EEES6_PlJS6_EEE10hipError_tPvRmT3_T4_T5_T6_T7_T9_mT8_P12ihipStream_tbDpT10_ENKUlT_T0_E_clISt17integral_constantIbLb1EES1B_EEDaS16_S17_EUlS16_E_NS1_11comp_targetILNS1_3genE10ELNS1_11target_archE1200ELNS1_3gpuE4ELNS1_3repE0EEENS1_30default_config_static_selectorELNS0_4arch9wavefront6targetE0EEEvT1_.has_indirect_call, 0
	.section	.AMDGPU.csdata,"",@progbits
; Kernel info:
; codeLenInByte = 4
; TotalNumSgprs: 0
; NumVgprs: 0
; ScratchSize: 0
; MemoryBound: 0
; FloatMode: 240
; IeeeMode: 1
; LDSByteSize: 0 bytes/workgroup (compile time only)
; SGPRBlocks: 0
; VGPRBlocks: 0
; NumSGPRsForWavesPerEU: 1
; NumVGPRsForWavesPerEU: 1
; Occupancy: 16
; WaveLimiterHint : 0
; COMPUTE_PGM_RSRC2:SCRATCH_EN: 0
; COMPUTE_PGM_RSRC2:USER_SGPR: 2
; COMPUTE_PGM_RSRC2:TRAP_HANDLER: 0
; COMPUTE_PGM_RSRC2:TGID_X_EN: 1
; COMPUTE_PGM_RSRC2:TGID_Y_EN: 0
; COMPUTE_PGM_RSRC2:TGID_Z_EN: 0
; COMPUTE_PGM_RSRC2:TIDIG_COMP_CNT: 0
	.section	.text._ZN7rocprim17ROCPRIM_400000_NS6detail17trampoline_kernelINS0_14default_configENS1_25partition_config_selectorILNS1_17partition_subalgoE5EtNS0_10empty_typeEbEEZZNS1_14partition_implILS5_5ELb0ES3_mN6thrust23THRUST_200600_302600_NS6detail15normal_iteratorINSA_10device_ptrItEEEEPS6_NSA_18transform_iteratorINSB_9not_fun_tI7is_trueItEEESF_NSA_11use_defaultESM_EENS0_5tupleIJSF_S6_EEENSO_IJSG_SG_EEES6_PlJS6_EEE10hipError_tPvRmT3_T4_T5_T6_T7_T9_mT8_P12ihipStream_tbDpT10_ENKUlT_T0_E_clISt17integral_constantIbLb1EES1B_EEDaS16_S17_EUlS16_E_NS1_11comp_targetILNS1_3genE9ELNS1_11target_archE1100ELNS1_3gpuE3ELNS1_3repE0EEENS1_30default_config_static_selectorELNS0_4arch9wavefront6targetE0EEEvT1_,"axG",@progbits,_ZN7rocprim17ROCPRIM_400000_NS6detail17trampoline_kernelINS0_14default_configENS1_25partition_config_selectorILNS1_17partition_subalgoE5EtNS0_10empty_typeEbEEZZNS1_14partition_implILS5_5ELb0ES3_mN6thrust23THRUST_200600_302600_NS6detail15normal_iteratorINSA_10device_ptrItEEEEPS6_NSA_18transform_iteratorINSB_9not_fun_tI7is_trueItEEESF_NSA_11use_defaultESM_EENS0_5tupleIJSF_S6_EEENSO_IJSG_SG_EEES6_PlJS6_EEE10hipError_tPvRmT3_T4_T5_T6_T7_T9_mT8_P12ihipStream_tbDpT10_ENKUlT_T0_E_clISt17integral_constantIbLb1EES1B_EEDaS16_S17_EUlS16_E_NS1_11comp_targetILNS1_3genE9ELNS1_11target_archE1100ELNS1_3gpuE3ELNS1_3repE0EEENS1_30default_config_static_selectorELNS0_4arch9wavefront6targetE0EEEvT1_,comdat
	.protected	_ZN7rocprim17ROCPRIM_400000_NS6detail17trampoline_kernelINS0_14default_configENS1_25partition_config_selectorILNS1_17partition_subalgoE5EtNS0_10empty_typeEbEEZZNS1_14partition_implILS5_5ELb0ES3_mN6thrust23THRUST_200600_302600_NS6detail15normal_iteratorINSA_10device_ptrItEEEEPS6_NSA_18transform_iteratorINSB_9not_fun_tI7is_trueItEEESF_NSA_11use_defaultESM_EENS0_5tupleIJSF_S6_EEENSO_IJSG_SG_EEES6_PlJS6_EEE10hipError_tPvRmT3_T4_T5_T6_T7_T9_mT8_P12ihipStream_tbDpT10_ENKUlT_T0_E_clISt17integral_constantIbLb1EES1B_EEDaS16_S17_EUlS16_E_NS1_11comp_targetILNS1_3genE9ELNS1_11target_archE1100ELNS1_3gpuE3ELNS1_3repE0EEENS1_30default_config_static_selectorELNS0_4arch9wavefront6targetE0EEEvT1_ ; -- Begin function _ZN7rocprim17ROCPRIM_400000_NS6detail17trampoline_kernelINS0_14default_configENS1_25partition_config_selectorILNS1_17partition_subalgoE5EtNS0_10empty_typeEbEEZZNS1_14partition_implILS5_5ELb0ES3_mN6thrust23THRUST_200600_302600_NS6detail15normal_iteratorINSA_10device_ptrItEEEEPS6_NSA_18transform_iteratorINSB_9not_fun_tI7is_trueItEEESF_NSA_11use_defaultESM_EENS0_5tupleIJSF_S6_EEENSO_IJSG_SG_EEES6_PlJS6_EEE10hipError_tPvRmT3_T4_T5_T6_T7_T9_mT8_P12ihipStream_tbDpT10_ENKUlT_T0_E_clISt17integral_constantIbLb1EES1B_EEDaS16_S17_EUlS16_E_NS1_11comp_targetILNS1_3genE9ELNS1_11target_archE1100ELNS1_3gpuE3ELNS1_3repE0EEENS1_30default_config_static_selectorELNS0_4arch9wavefront6targetE0EEEvT1_
	.globl	_ZN7rocprim17ROCPRIM_400000_NS6detail17trampoline_kernelINS0_14default_configENS1_25partition_config_selectorILNS1_17partition_subalgoE5EtNS0_10empty_typeEbEEZZNS1_14partition_implILS5_5ELb0ES3_mN6thrust23THRUST_200600_302600_NS6detail15normal_iteratorINSA_10device_ptrItEEEEPS6_NSA_18transform_iteratorINSB_9not_fun_tI7is_trueItEEESF_NSA_11use_defaultESM_EENS0_5tupleIJSF_S6_EEENSO_IJSG_SG_EEES6_PlJS6_EEE10hipError_tPvRmT3_T4_T5_T6_T7_T9_mT8_P12ihipStream_tbDpT10_ENKUlT_T0_E_clISt17integral_constantIbLb1EES1B_EEDaS16_S17_EUlS16_E_NS1_11comp_targetILNS1_3genE9ELNS1_11target_archE1100ELNS1_3gpuE3ELNS1_3repE0EEENS1_30default_config_static_selectorELNS0_4arch9wavefront6targetE0EEEvT1_
	.p2align	8
	.type	_ZN7rocprim17ROCPRIM_400000_NS6detail17trampoline_kernelINS0_14default_configENS1_25partition_config_selectorILNS1_17partition_subalgoE5EtNS0_10empty_typeEbEEZZNS1_14partition_implILS5_5ELb0ES3_mN6thrust23THRUST_200600_302600_NS6detail15normal_iteratorINSA_10device_ptrItEEEEPS6_NSA_18transform_iteratorINSB_9not_fun_tI7is_trueItEEESF_NSA_11use_defaultESM_EENS0_5tupleIJSF_S6_EEENSO_IJSG_SG_EEES6_PlJS6_EEE10hipError_tPvRmT3_T4_T5_T6_T7_T9_mT8_P12ihipStream_tbDpT10_ENKUlT_T0_E_clISt17integral_constantIbLb1EES1B_EEDaS16_S17_EUlS16_E_NS1_11comp_targetILNS1_3genE9ELNS1_11target_archE1100ELNS1_3gpuE3ELNS1_3repE0EEENS1_30default_config_static_selectorELNS0_4arch9wavefront6targetE0EEEvT1_,@function
_ZN7rocprim17ROCPRIM_400000_NS6detail17trampoline_kernelINS0_14default_configENS1_25partition_config_selectorILNS1_17partition_subalgoE5EtNS0_10empty_typeEbEEZZNS1_14partition_implILS5_5ELb0ES3_mN6thrust23THRUST_200600_302600_NS6detail15normal_iteratorINSA_10device_ptrItEEEEPS6_NSA_18transform_iteratorINSB_9not_fun_tI7is_trueItEEESF_NSA_11use_defaultESM_EENS0_5tupleIJSF_S6_EEENSO_IJSG_SG_EEES6_PlJS6_EEE10hipError_tPvRmT3_T4_T5_T6_T7_T9_mT8_P12ihipStream_tbDpT10_ENKUlT_T0_E_clISt17integral_constantIbLb1EES1B_EEDaS16_S17_EUlS16_E_NS1_11comp_targetILNS1_3genE9ELNS1_11target_archE1100ELNS1_3gpuE3ELNS1_3repE0EEENS1_30default_config_static_selectorELNS0_4arch9wavefront6targetE0EEEvT1_: ; @_ZN7rocprim17ROCPRIM_400000_NS6detail17trampoline_kernelINS0_14default_configENS1_25partition_config_selectorILNS1_17partition_subalgoE5EtNS0_10empty_typeEbEEZZNS1_14partition_implILS5_5ELb0ES3_mN6thrust23THRUST_200600_302600_NS6detail15normal_iteratorINSA_10device_ptrItEEEEPS6_NSA_18transform_iteratorINSB_9not_fun_tI7is_trueItEEESF_NSA_11use_defaultESM_EENS0_5tupleIJSF_S6_EEENSO_IJSG_SG_EEES6_PlJS6_EEE10hipError_tPvRmT3_T4_T5_T6_T7_T9_mT8_P12ihipStream_tbDpT10_ENKUlT_T0_E_clISt17integral_constantIbLb1EES1B_EEDaS16_S17_EUlS16_E_NS1_11comp_targetILNS1_3genE9ELNS1_11target_archE1100ELNS1_3gpuE3ELNS1_3repE0EEENS1_30default_config_static_selectorELNS0_4arch9wavefront6targetE0EEEvT1_
; %bb.0:
	.section	.rodata,"a",@progbits
	.p2align	6, 0x0
	.amdhsa_kernel _ZN7rocprim17ROCPRIM_400000_NS6detail17trampoline_kernelINS0_14default_configENS1_25partition_config_selectorILNS1_17partition_subalgoE5EtNS0_10empty_typeEbEEZZNS1_14partition_implILS5_5ELb0ES3_mN6thrust23THRUST_200600_302600_NS6detail15normal_iteratorINSA_10device_ptrItEEEEPS6_NSA_18transform_iteratorINSB_9not_fun_tI7is_trueItEEESF_NSA_11use_defaultESM_EENS0_5tupleIJSF_S6_EEENSO_IJSG_SG_EEES6_PlJS6_EEE10hipError_tPvRmT3_T4_T5_T6_T7_T9_mT8_P12ihipStream_tbDpT10_ENKUlT_T0_E_clISt17integral_constantIbLb1EES1B_EEDaS16_S17_EUlS16_E_NS1_11comp_targetILNS1_3genE9ELNS1_11target_archE1100ELNS1_3gpuE3ELNS1_3repE0EEENS1_30default_config_static_selectorELNS0_4arch9wavefront6targetE0EEEvT1_
		.amdhsa_group_segment_fixed_size 0
		.amdhsa_private_segment_fixed_size 0
		.amdhsa_kernarg_size 136
		.amdhsa_user_sgpr_count 2
		.amdhsa_user_sgpr_dispatch_ptr 0
		.amdhsa_user_sgpr_queue_ptr 0
		.amdhsa_user_sgpr_kernarg_segment_ptr 1
		.amdhsa_user_sgpr_dispatch_id 0
		.amdhsa_user_sgpr_private_segment_size 0
		.amdhsa_wavefront_size32 1
		.amdhsa_uses_dynamic_stack 0
		.amdhsa_enable_private_segment 0
		.amdhsa_system_sgpr_workgroup_id_x 1
		.amdhsa_system_sgpr_workgroup_id_y 0
		.amdhsa_system_sgpr_workgroup_id_z 0
		.amdhsa_system_sgpr_workgroup_info 0
		.amdhsa_system_vgpr_workitem_id 0
		.amdhsa_next_free_vgpr 1
		.amdhsa_next_free_sgpr 1
		.amdhsa_reserve_vcc 0
		.amdhsa_float_round_mode_32 0
		.amdhsa_float_round_mode_16_64 0
		.amdhsa_float_denorm_mode_32 3
		.amdhsa_float_denorm_mode_16_64 3
		.amdhsa_fp16_overflow 0
		.amdhsa_workgroup_processor_mode 1
		.amdhsa_memory_ordered 1
		.amdhsa_forward_progress 1
		.amdhsa_inst_pref_size 0
		.amdhsa_round_robin_scheduling 0
		.amdhsa_exception_fp_ieee_invalid_op 0
		.amdhsa_exception_fp_denorm_src 0
		.amdhsa_exception_fp_ieee_div_zero 0
		.amdhsa_exception_fp_ieee_overflow 0
		.amdhsa_exception_fp_ieee_underflow 0
		.amdhsa_exception_fp_ieee_inexact 0
		.amdhsa_exception_int_div_zero 0
	.end_amdhsa_kernel
	.section	.text._ZN7rocprim17ROCPRIM_400000_NS6detail17trampoline_kernelINS0_14default_configENS1_25partition_config_selectorILNS1_17partition_subalgoE5EtNS0_10empty_typeEbEEZZNS1_14partition_implILS5_5ELb0ES3_mN6thrust23THRUST_200600_302600_NS6detail15normal_iteratorINSA_10device_ptrItEEEEPS6_NSA_18transform_iteratorINSB_9not_fun_tI7is_trueItEEESF_NSA_11use_defaultESM_EENS0_5tupleIJSF_S6_EEENSO_IJSG_SG_EEES6_PlJS6_EEE10hipError_tPvRmT3_T4_T5_T6_T7_T9_mT8_P12ihipStream_tbDpT10_ENKUlT_T0_E_clISt17integral_constantIbLb1EES1B_EEDaS16_S17_EUlS16_E_NS1_11comp_targetILNS1_3genE9ELNS1_11target_archE1100ELNS1_3gpuE3ELNS1_3repE0EEENS1_30default_config_static_selectorELNS0_4arch9wavefront6targetE0EEEvT1_,"axG",@progbits,_ZN7rocprim17ROCPRIM_400000_NS6detail17trampoline_kernelINS0_14default_configENS1_25partition_config_selectorILNS1_17partition_subalgoE5EtNS0_10empty_typeEbEEZZNS1_14partition_implILS5_5ELb0ES3_mN6thrust23THRUST_200600_302600_NS6detail15normal_iteratorINSA_10device_ptrItEEEEPS6_NSA_18transform_iteratorINSB_9not_fun_tI7is_trueItEEESF_NSA_11use_defaultESM_EENS0_5tupleIJSF_S6_EEENSO_IJSG_SG_EEES6_PlJS6_EEE10hipError_tPvRmT3_T4_T5_T6_T7_T9_mT8_P12ihipStream_tbDpT10_ENKUlT_T0_E_clISt17integral_constantIbLb1EES1B_EEDaS16_S17_EUlS16_E_NS1_11comp_targetILNS1_3genE9ELNS1_11target_archE1100ELNS1_3gpuE3ELNS1_3repE0EEENS1_30default_config_static_selectorELNS0_4arch9wavefront6targetE0EEEvT1_,comdat
.Lfunc_end1448:
	.size	_ZN7rocprim17ROCPRIM_400000_NS6detail17trampoline_kernelINS0_14default_configENS1_25partition_config_selectorILNS1_17partition_subalgoE5EtNS0_10empty_typeEbEEZZNS1_14partition_implILS5_5ELb0ES3_mN6thrust23THRUST_200600_302600_NS6detail15normal_iteratorINSA_10device_ptrItEEEEPS6_NSA_18transform_iteratorINSB_9not_fun_tI7is_trueItEEESF_NSA_11use_defaultESM_EENS0_5tupleIJSF_S6_EEENSO_IJSG_SG_EEES6_PlJS6_EEE10hipError_tPvRmT3_T4_T5_T6_T7_T9_mT8_P12ihipStream_tbDpT10_ENKUlT_T0_E_clISt17integral_constantIbLb1EES1B_EEDaS16_S17_EUlS16_E_NS1_11comp_targetILNS1_3genE9ELNS1_11target_archE1100ELNS1_3gpuE3ELNS1_3repE0EEENS1_30default_config_static_selectorELNS0_4arch9wavefront6targetE0EEEvT1_, .Lfunc_end1448-_ZN7rocprim17ROCPRIM_400000_NS6detail17trampoline_kernelINS0_14default_configENS1_25partition_config_selectorILNS1_17partition_subalgoE5EtNS0_10empty_typeEbEEZZNS1_14partition_implILS5_5ELb0ES3_mN6thrust23THRUST_200600_302600_NS6detail15normal_iteratorINSA_10device_ptrItEEEEPS6_NSA_18transform_iteratorINSB_9not_fun_tI7is_trueItEEESF_NSA_11use_defaultESM_EENS0_5tupleIJSF_S6_EEENSO_IJSG_SG_EEES6_PlJS6_EEE10hipError_tPvRmT3_T4_T5_T6_T7_T9_mT8_P12ihipStream_tbDpT10_ENKUlT_T0_E_clISt17integral_constantIbLb1EES1B_EEDaS16_S17_EUlS16_E_NS1_11comp_targetILNS1_3genE9ELNS1_11target_archE1100ELNS1_3gpuE3ELNS1_3repE0EEENS1_30default_config_static_selectorELNS0_4arch9wavefront6targetE0EEEvT1_
                                        ; -- End function
	.set _ZN7rocprim17ROCPRIM_400000_NS6detail17trampoline_kernelINS0_14default_configENS1_25partition_config_selectorILNS1_17partition_subalgoE5EtNS0_10empty_typeEbEEZZNS1_14partition_implILS5_5ELb0ES3_mN6thrust23THRUST_200600_302600_NS6detail15normal_iteratorINSA_10device_ptrItEEEEPS6_NSA_18transform_iteratorINSB_9not_fun_tI7is_trueItEEESF_NSA_11use_defaultESM_EENS0_5tupleIJSF_S6_EEENSO_IJSG_SG_EEES6_PlJS6_EEE10hipError_tPvRmT3_T4_T5_T6_T7_T9_mT8_P12ihipStream_tbDpT10_ENKUlT_T0_E_clISt17integral_constantIbLb1EES1B_EEDaS16_S17_EUlS16_E_NS1_11comp_targetILNS1_3genE9ELNS1_11target_archE1100ELNS1_3gpuE3ELNS1_3repE0EEENS1_30default_config_static_selectorELNS0_4arch9wavefront6targetE0EEEvT1_.num_vgpr, 0
	.set _ZN7rocprim17ROCPRIM_400000_NS6detail17trampoline_kernelINS0_14default_configENS1_25partition_config_selectorILNS1_17partition_subalgoE5EtNS0_10empty_typeEbEEZZNS1_14partition_implILS5_5ELb0ES3_mN6thrust23THRUST_200600_302600_NS6detail15normal_iteratorINSA_10device_ptrItEEEEPS6_NSA_18transform_iteratorINSB_9not_fun_tI7is_trueItEEESF_NSA_11use_defaultESM_EENS0_5tupleIJSF_S6_EEENSO_IJSG_SG_EEES6_PlJS6_EEE10hipError_tPvRmT3_T4_T5_T6_T7_T9_mT8_P12ihipStream_tbDpT10_ENKUlT_T0_E_clISt17integral_constantIbLb1EES1B_EEDaS16_S17_EUlS16_E_NS1_11comp_targetILNS1_3genE9ELNS1_11target_archE1100ELNS1_3gpuE3ELNS1_3repE0EEENS1_30default_config_static_selectorELNS0_4arch9wavefront6targetE0EEEvT1_.num_agpr, 0
	.set _ZN7rocprim17ROCPRIM_400000_NS6detail17trampoline_kernelINS0_14default_configENS1_25partition_config_selectorILNS1_17partition_subalgoE5EtNS0_10empty_typeEbEEZZNS1_14partition_implILS5_5ELb0ES3_mN6thrust23THRUST_200600_302600_NS6detail15normal_iteratorINSA_10device_ptrItEEEEPS6_NSA_18transform_iteratorINSB_9not_fun_tI7is_trueItEEESF_NSA_11use_defaultESM_EENS0_5tupleIJSF_S6_EEENSO_IJSG_SG_EEES6_PlJS6_EEE10hipError_tPvRmT3_T4_T5_T6_T7_T9_mT8_P12ihipStream_tbDpT10_ENKUlT_T0_E_clISt17integral_constantIbLb1EES1B_EEDaS16_S17_EUlS16_E_NS1_11comp_targetILNS1_3genE9ELNS1_11target_archE1100ELNS1_3gpuE3ELNS1_3repE0EEENS1_30default_config_static_selectorELNS0_4arch9wavefront6targetE0EEEvT1_.numbered_sgpr, 0
	.set _ZN7rocprim17ROCPRIM_400000_NS6detail17trampoline_kernelINS0_14default_configENS1_25partition_config_selectorILNS1_17partition_subalgoE5EtNS0_10empty_typeEbEEZZNS1_14partition_implILS5_5ELb0ES3_mN6thrust23THRUST_200600_302600_NS6detail15normal_iteratorINSA_10device_ptrItEEEEPS6_NSA_18transform_iteratorINSB_9not_fun_tI7is_trueItEEESF_NSA_11use_defaultESM_EENS0_5tupleIJSF_S6_EEENSO_IJSG_SG_EEES6_PlJS6_EEE10hipError_tPvRmT3_T4_T5_T6_T7_T9_mT8_P12ihipStream_tbDpT10_ENKUlT_T0_E_clISt17integral_constantIbLb1EES1B_EEDaS16_S17_EUlS16_E_NS1_11comp_targetILNS1_3genE9ELNS1_11target_archE1100ELNS1_3gpuE3ELNS1_3repE0EEENS1_30default_config_static_selectorELNS0_4arch9wavefront6targetE0EEEvT1_.num_named_barrier, 0
	.set _ZN7rocprim17ROCPRIM_400000_NS6detail17trampoline_kernelINS0_14default_configENS1_25partition_config_selectorILNS1_17partition_subalgoE5EtNS0_10empty_typeEbEEZZNS1_14partition_implILS5_5ELb0ES3_mN6thrust23THRUST_200600_302600_NS6detail15normal_iteratorINSA_10device_ptrItEEEEPS6_NSA_18transform_iteratorINSB_9not_fun_tI7is_trueItEEESF_NSA_11use_defaultESM_EENS0_5tupleIJSF_S6_EEENSO_IJSG_SG_EEES6_PlJS6_EEE10hipError_tPvRmT3_T4_T5_T6_T7_T9_mT8_P12ihipStream_tbDpT10_ENKUlT_T0_E_clISt17integral_constantIbLb1EES1B_EEDaS16_S17_EUlS16_E_NS1_11comp_targetILNS1_3genE9ELNS1_11target_archE1100ELNS1_3gpuE3ELNS1_3repE0EEENS1_30default_config_static_selectorELNS0_4arch9wavefront6targetE0EEEvT1_.private_seg_size, 0
	.set _ZN7rocprim17ROCPRIM_400000_NS6detail17trampoline_kernelINS0_14default_configENS1_25partition_config_selectorILNS1_17partition_subalgoE5EtNS0_10empty_typeEbEEZZNS1_14partition_implILS5_5ELb0ES3_mN6thrust23THRUST_200600_302600_NS6detail15normal_iteratorINSA_10device_ptrItEEEEPS6_NSA_18transform_iteratorINSB_9not_fun_tI7is_trueItEEESF_NSA_11use_defaultESM_EENS0_5tupleIJSF_S6_EEENSO_IJSG_SG_EEES6_PlJS6_EEE10hipError_tPvRmT3_T4_T5_T6_T7_T9_mT8_P12ihipStream_tbDpT10_ENKUlT_T0_E_clISt17integral_constantIbLb1EES1B_EEDaS16_S17_EUlS16_E_NS1_11comp_targetILNS1_3genE9ELNS1_11target_archE1100ELNS1_3gpuE3ELNS1_3repE0EEENS1_30default_config_static_selectorELNS0_4arch9wavefront6targetE0EEEvT1_.uses_vcc, 0
	.set _ZN7rocprim17ROCPRIM_400000_NS6detail17trampoline_kernelINS0_14default_configENS1_25partition_config_selectorILNS1_17partition_subalgoE5EtNS0_10empty_typeEbEEZZNS1_14partition_implILS5_5ELb0ES3_mN6thrust23THRUST_200600_302600_NS6detail15normal_iteratorINSA_10device_ptrItEEEEPS6_NSA_18transform_iteratorINSB_9not_fun_tI7is_trueItEEESF_NSA_11use_defaultESM_EENS0_5tupleIJSF_S6_EEENSO_IJSG_SG_EEES6_PlJS6_EEE10hipError_tPvRmT3_T4_T5_T6_T7_T9_mT8_P12ihipStream_tbDpT10_ENKUlT_T0_E_clISt17integral_constantIbLb1EES1B_EEDaS16_S17_EUlS16_E_NS1_11comp_targetILNS1_3genE9ELNS1_11target_archE1100ELNS1_3gpuE3ELNS1_3repE0EEENS1_30default_config_static_selectorELNS0_4arch9wavefront6targetE0EEEvT1_.uses_flat_scratch, 0
	.set _ZN7rocprim17ROCPRIM_400000_NS6detail17trampoline_kernelINS0_14default_configENS1_25partition_config_selectorILNS1_17partition_subalgoE5EtNS0_10empty_typeEbEEZZNS1_14partition_implILS5_5ELb0ES3_mN6thrust23THRUST_200600_302600_NS6detail15normal_iteratorINSA_10device_ptrItEEEEPS6_NSA_18transform_iteratorINSB_9not_fun_tI7is_trueItEEESF_NSA_11use_defaultESM_EENS0_5tupleIJSF_S6_EEENSO_IJSG_SG_EEES6_PlJS6_EEE10hipError_tPvRmT3_T4_T5_T6_T7_T9_mT8_P12ihipStream_tbDpT10_ENKUlT_T0_E_clISt17integral_constantIbLb1EES1B_EEDaS16_S17_EUlS16_E_NS1_11comp_targetILNS1_3genE9ELNS1_11target_archE1100ELNS1_3gpuE3ELNS1_3repE0EEENS1_30default_config_static_selectorELNS0_4arch9wavefront6targetE0EEEvT1_.has_dyn_sized_stack, 0
	.set _ZN7rocprim17ROCPRIM_400000_NS6detail17trampoline_kernelINS0_14default_configENS1_25partition_config_selectorILNS1_17partition_subalgoE5EtNS0_10empty_typeEbEEZZNS1_14partition_implILS5_5ELb0ES3_mN6thrust23THRUST_200600_302600_NS6detail15normal_iteratorINSA_10device_ptrItEEEEPS6_NSA_18transform_iteratorINSB_9not_fun_tI7is_trueItEEESF_NSA_11use_defaultESM_EENS0_5tupleIJSF_S6_EEENSO_IJSG_SG_EEES6_PlJS6_EEE10hipError_tPvRmT3_T4_T5_T6_T7_T9_mT8_P12ihipStream_tbDpT10_ENKUlT_T0_E_clISt17integral_constantIbLb1EES1B_EEDaS16_S17_EUlS16_E_NS1_11comp_targetILNS1_3genE9ELNS1_11target_archE1100ELNS1_3gpuE3ELNS1_3repE0EEENS1_30default_config_static_selectorELNS0_4arch9wavefront6targetE0EEEvT1_.has_recursion, 0
	.set _ZN7rocprim17ROCPRIM_400000_NS6detail17trampoline_kernelINS0_14default_configENS1_25partition_config_selectorILNS1_17partition_subalgoE5EtNS0_10empty_typeEbEEZZNS1_14partition_implILS5_5ELb0ES3_mN6thrust23THRUST_200600_302600_NS6detail15normal_iteratorINSA_10device_ptrItEEEEPS6_NSA_18transform_iteratorINSB_9not_fun_tI7is_trueItEEESF_NSA_11use_defaultESM_EENS0_5tupleIJSF_S6_EEENSO_IJSG_SG_EEES6_PlJS6_EEE10hipError_tPvRmT3_T4_T5_T6_T7_T9_mT8_P12ihipStream_tbDpT10_ENKUlT_T0_E_clISt17integral_constantIbLb1EES1B_EEDaS16_S17_EUlS16_E_NS1_11comp_targetILNS1_3genE9ELNS1_11target_archE1100ELNS1_3gpuE3ELNS1_3repE0EEENS1_30default_config_static_selectorELNS0_4arch9wavefront6targetE0EEEvT1_.has_indirect_call, 0
	.section	.AMDGPU.csdata,"",@progbits
; Kernel info:
; codeLenInByte = 0
; TotalNumSgprs: 0
; NumVgprs: 0
; ScratchSize: 0
; MemoryBound: 0
; FloatMode: 240
; IeeeMode: 1
; LDSByteSize: 0 bytes/workgroup (compile time only)
; SGPRBlocks: 0
; VGPRBlocks: 0
; NumSGPRsForWavesPerEU: 1
; NumVGPRsForWavesPerEU: 1
; Occupancy: 16
; WaveLimiterHint : 0
; COMPUTE_PGM_RSRC2:SCRATCH_EN: 0
; COMPUTE_PGM_RSRC2:USER_SGPR: 2
; COMPUTE_PGM_RSRC2:TRAP_HANDLER: 0
; COMPUTE_PGM_RSRC2:TGID_X_EN: 1
; COMPUTE_PGM_RSRC2:TGID_Y_EN: 0
; COMPUTE_PGM_RSRC2:TGID_Z_EN: 0
; COMPUTE_PGM_RSRC2:TIDIG_COMP_CNT: 0
	.section	.text._ZN7rocprim17ROCPRIM_400000_NS6detail17trampoline_kernelINS0_14default_configENS1_25partition_config_selectorILNS1_17partition_subalgoE5EtNS0_10empty_typeEbEEZZNS1_14partition_implILS5_5ELb0ES3_mN6thrust23THRUST_200600_302600_NS6detail15normal_iteratorINSA_10device_ptrItEEEEPS6_NSA_18transform_iteratorINSB_9not_fun_tI7is_trueItEEESF_NSA_11use_defaultESM_EENS0_5tupleIJSF_S6_EEENSO_IJSG_SG_EEES6_PlJS6_EEE10hipError_tPvRmT3_T4_T5_T6_T7_T9_mT8_P12ihipStream_tbDpT10_ENKUlT_T0_E_clISt17integral_constantIbLb1EES1B_EEDaS16_S17_EUlS16_E_NS1_11comp_targetILNS1_3genE8ELNS1_11target_archE1030ELNS1_3gpuE2ELNS1_3repE0EEENS1_30default_config_static_selectorELNS0_4arch9wavefront6targetE0EEEvT1_,"axG",@progbits,_ZN7rocprim17ROCPRIM_400000_NS6detail17trampoline_kernelINS0_14default_configENS1_25partition_config_selectorILNS1_17partition_subalgoE5EtNS0_10empty_typeEbEEZZNS1_14partition_implILS5_5ELb0ES3_mN6thrust23THRUST_200600_302600_NS6detail15normal_iteratorINSA_10device_ptrItEEEEPS6_NSA_18transform_iteratorINSB_9not_fun_tI7is_trueItEEESF_NSA_11use_defaultESM_EENS0_5tupleIJSF_S6_EEENSO_IJSG_SG_EEES6_PlJS6_EEE10hipError_tPvRmT3_T4_T5_T6_T7_T9_mT8_P12ihipStream_tbDpT10_ENKUlT_T0_E_clISt17integral_constantIbLb1EES1B_EEDaS16_S17_EUlS16_E_NS1_11comp_targetILNS1_3genE8ELNS1_11target_archE1030ELNS1_3gpuE2ELNS1_3repE0EEENS1_30default_config_static_selectorELNS0_4arch9wavefront6targetE0EEEvT1_,comdat
	.protected	_ZN7rocprim17ROCPRIM_400000_NS6detail17trampoline_kernelINS0_14default_configENS1_25partition_config_selectorILNS1_17partition_subalgoE5EtNS0_10empty_typeEbEEZZNS1_14partition_implILS5_5ELb0ES3_mN6thrust23THRUST_200600_302600_NS6detail15normal_iteratorINSA_10device_ptrItEEEEPS6_NSA_18transform_iteratorINSB_9not_fun_tI7is_trueItEEESF_NSA_11use_defaultESM_EENS0_5tupleIJSF_S6_EEENSO_IJSG_SG_EEES6_PlJS6_EEE10hipError_tPvRmT3_T4_T5_T6_T7_T9_mT8_P12ihipStream_tbDpT10_ENKUlT_T0_E_clISt17integral_constantIbLb1EES1B_EEDaS16_S17_EUlS16_E_NS1_11comp_targetILNS1_3genE8ELNS1_11target_archE1030ELNS1_3gpuE2ELNS1_3repE0EEENS1_30default_config_static_selectorELNS0_4arch9wavefront6targetE0EEEvT1_ ; -- Begin function _ZN7rocprim17ROCPRIM_400000_NS6detail17trampoline_kernelINS0_14default_configENS1_25partition_config_selectorILNS1_17partition_subalgoE5EtNS0_10empty_typeEbEEZZNS1_14partition_implILS5_5ELb0ES3_mN6thrust23THRUST_200600_302600_NS6detail15normal_iteratorINSA_10device_ptrItEEEEPS6_NSA_18transform_iteratorINSB_9not_fun_tI7is_trueItEEESF_NSA_11use_defaultESM_EENS0_5tupleIJSF_S6_EEENSO_IJSG_SG_EEES6_PlJS6_EEE10hipError_tPvRmT3_T4_T5_T6_T7_T9_mT8_P12ihipStream_tbDpT10_ENKUlT_T0_E_clISt17integral_constantIbLb1EES1B_EEDaS16_S17_EUlS16_E_NS1_11comp_targetILNS1_3genE8ELNS1_11target_archE1030ELNS1_3gpuE2ELNS1_3repE0EEENS1_30default_config_static_selectorELNS0_4arch9wavefront6targetE0EEEvT1_
	.globl	_ZN7rocprim17ROCPRIM_400000_NS6detail17trampoline_kernelINS0_14default_configENS1_25partition_config_selectorILNS1_17partition_subalgoE5EtNS0_10empty_typeEbEEZZNS1_14partition_implILS5_5ELb0ES3_mN6thrust23THRUST_200600_302600_NS6detail15normal_iteratorINSA_10device_ptrItEEEEPS6_NSA_18transform_iteratorINSB_9not_fun_tI7is_trueItEEESF_NSA_11use_defaultESM_EENS0_5tupleIJSF_S6_EEENSO_IJSG_SG_EEES6_PlJS6_EEE10hipError_tPvRmT3_T4_T5_T6_T7_T9_mT8_P12ihipStream_tbDpT10_ENKUlT_T0_E_clISt17integral_constantIbLb1EES1B_EEDaS16_S17_EUlS16_E_NS1_11comp_targetILNS1_3genE8ELNS1_11target_archE1030ELNS1_3gpuE2ELNS1_3repE0EEENS1_30default_config_static_selectorELNS0_4arch9wavefront6targetE0EEEvT1_
	.p2align	8
	.type	_ZN7rocprim17ROCPRIM_400000_NS6detail17trampoline_kernelINS0_14default_configENS1_25partition_config_selectorILNS1_17partition_subalgoE5EtNS0_10empty_typeEbEEZZNS1_14partition_implILS5_5ELb0ES3_mN6thrust23THRUST_200600_302600_NS6detail15normal_iteratorINSA_10device_ptrItEEEEPS6_NSA_18transform_iteratorINSB_9not_fun_tI7is_trueItEEESF_NSA_11use_defaultESM_EENS0_5tupleIJSF_S6_EEENSO_IJSG_SG_EEES6_PlJS6_EEE10hipError_tPvRmT3_T4_T5_T6_T7_T9_mT8_P12ihipStream_tbDpT10_ENKUlT_T0_E_clISt17integral_constantIbLb1EES1B_EEDaS16_S17_EUlS16_E_NS1_11comp_targetILNS1_3genE8ELNS1_11target_archE1030ELNS1_3gpuE2ELNS1_3repE0EEENS1_30default_config_static_selectorELNS0_4arch9wavefront6targetE0EEEvT1_,@function
_ZN7rocprim17ROCPRIM_400000_NS6detail17trampoline_kernelINS0_14default_configENS1_25partition_config_selectorILNS1_17partition_subalgoE5EtNS0_10empty_typeEbEEZZNS1_14partition_implILS5_5ELb0ES3_mN6thrust23THRUST_200600_302600_NS6detail15normal_iteratorINSA_10device_ptrItEEEEPS6_NSA_18transform_iteratorINSB_9not_fun_tI7is_trueItEEESF_NSA_11use_defaultESM_EENS0_5tupleIJSF_S6_EEENSO_IJSG_SG_EEES6_PlJS6_EEE10hipError_tPvRmT3_T4_T5_T6_T7_T9_mT8_P12ihipStream_tbDpT10_ENKUlT_T0_E_clISt17integral_constantIbLb1EES1B_EEDaS16_S17_EUlS16_E_NS1_11comp_targetILNS1_3genE8ELNS1_11target_archE1030ELNS1_3gpuE2ELNS1_3repE0EEENS1_30default_config_static_selectorELNS0_4arch9wavefront6targetE0EEEvT1_: ; @_ZN7rocprim17ROCPRIM_400000_NS6detail17trampoline_kernelINS0_14default_configENS1_25partition_config_selectorILNS1_17partition_subalgoE5EtNS0_10empty_typeEbEEZZNS1_14partition_implILS5_5ELb0ES3_mN6thrust23THRUST_200600_302600_NS6detail15normal_iteratorINSA_10device_ptrItEEEEPS6_NSA_18transform_iteratorINSB_9not_fun_tI7is_trueItEEESF_NSA_11use_defaultESM_EENS0_5tupleIJSF_S6_EEENSO_IJSG_SG_EEES6_PlJS6_EEE10hipError_tPvRmT3_T4_T5_T6_T7_T9_mT8_P12ihipStream_tbDpT10_ENKUlT_T0_E_clISt17integral_constantIbLb1EES1B_EEDaS16_S17_EUlS16_E_NS1_11comp_targetILNS1_3genE8ELNS1_11target_archE1030ELNS1_3gpuE2ELNS1_3repE0EEENS1_30default_config_static_selectorELNS0_4arch9wavefront6targetE0EEEvT1_
; %bb.0:
	.section	.rodata,"a",@progbits
	.p2align	6, 0x0
	.amdhsa_kernel _ZN7rocprim17ROCPRIM_400000_NS6detail17trampoline_kernelINS0_14default_configENS1_25partition_config_selectorILNS1_17partition_subalgoE5EtNS0_10empty_typeEbEEZZNS1_14partition_implILS5_5ELb0ES3_mN6thrust23THRUST_200600_302600_NS6detail15normal_iteratorINSA_10device_ptrItEEEEPS6_NSA_18transform_iteratorINSB_9not_fun_tI7is_trueItEEESF_NSA_11use_defaultESM_EENS0_5tupleIJSF_S6_EEENSO_IJSG_SG_EEES6_PlJS6_EEE10hipError_tPvRmT3_T4_T5_T6_T7_T9_mT8_P12ihipStream_tbDpT10_ENKUlT_T0_E_clISt17integral_constantIbLb1EES1B_EEDaS16_S17_EUlS16_E_NS1_11comp_targetILNS1_3genE8ELNS1_11target_archE1030ELNS1_3gpuE2ELNS1_3repE0EEENS1_30default_config_static_selectorELNS0_4arch9wavefront6targetE0EEEvT1_
		.amdhsa_group_segment_fixed_size 0
		.amdhsa_private_segment_fixed_size 0
		.amdhsa_kernarg_size 136
		.amdhsa_user_sgpr_count 2
		.amdhsa_user_sgpr_dispatch_ptr 0
		.amdhsa_user_sgpr_queue_ptr 0
		.amdhsa_user_sgpr_kernarg_segment_ptr 1
		.amdhsa_user_sgpr_dispatch_id 0
		.amdhsa_user_sgpr_private_segment_size 0
		.amdhsa_wavefront_size32 1
		.amdhsa_uses_dynamic_stack 0
		.amdhsa_enable_private_segment 0
		.amdhsa_system_sgpr_workgroup_id_x 1
		.amdhsa_system_sgpr_workgroup_id_y 0
		.amdhsa_system_sgpr_workgroup_id_z 0
		.amdhsa_system_sgpr_workgroup_info 0
		.amdhsa_system_vgpr_workitem_id 0
		.amdhsa_next_free_vgpr 1
		.amdhsa_next_free_sgpr 1
		.amdhsa_reserve_vcc 0
		.amdhsa_float_round_mode_32 0
		.amdhsa_float_round_mode_16_64 0
		.amdhsa_float_denorm_mode_32 3
		.amdhsa_float_denorm_mode_16_64 3
		.amdhsa_fp16_overflow 0
		.amdhsa_workgroup_processor_mode 1
		.amdhsa_memory_ordered 1
		.amdhsa_forward_progress 1
		.amdhsa_inst_pref_size 0
		.amdhsa_round_robin_scheduling 0
		.amdhsa_exception_fp_ieee_invalid_op 0
		.amdhsa_exception_fp_denorm_src 0
		.amdhsa_exception_fp_ieee_div_zero 0
		.amdhsa_exception_fp_ieee_overflow 0
		.amdhsa_exception_fp_ieee_underflow 0
		.amdhsa_exception_fp_ieee_inexact 0
		.amdhsa_exception_int_div_zero 0
	.end_amdhsa_kernel
	.section	.text._ZN7rocprim17ROCPRIM_400000_NS6detail17trampoline_kernelINS0_14default_configENS1_25partition_config_selectorILNS1_17partition_subalgoE5EtNS0_10empty_typeEbEEZZNS1_14partition_implILS5_5ELb0ES3_mN6thrust23THRUST_200600_302600_NS6detail15normal_iteratorINSA_10device_ptrItEEEEPS6_NSA_18transform_iteratorINSB_9not_fun_tI7is_trueItEEESF_NSA_11use_defaultESM_EENS0_5tupleIJSF_S6_EEENSO_IJSG_SG_EEES6_PlJS6_EEE10hipError_tPvRmT3_T4_T5_T6_T7_T9_mT8_P12ihipStream_tbDpT10_ENKUlT_T0_E_clISt17integral_constantIbLb1EES1B_EEDaS16_S17_EUlS16_E_NS1_11comp_targetILNS1_3genE8ELNS1_11target_archE1030ELNS1_3gpuE2ELNS1_3repE0EEENS1_30default_config_static_selectorELNS0_4arch9wavefront6targetE0EEEvT1_,"axG",@progbits,_ZN7rocprim17ROCPRIM_400000_NS6detail17trampoline_kernelINS0_14default_configENS1_25partition_config_selectorILNS1_17partition_subalgoE5EtNS0_10empty_typeEbEEZZNS1_14partition_implILS5_5ELb0ES3_mN6thrust23THRUST_200600_302600_NS6detail15normal_iteratorINSA_10device_ptrItEEEEPS6_NSA_18transform_iteratorINSB_9not_fun_tI7is_trueItEEESF_NSA_11use_defaultESM_EENS0_5tupleIJSF_S6_EEENSO_IJSG_SG_EEES6_PlJS6_EEE10hipError_tPvRmT3_T4_T5_T6_T7_T9_mT8_P12ihipStream_tbDpT10_ENKUlT_T0_E_clISt17integral_constantIbLb1EES1B_EEDaS16_S17_EUlS16_E_NS1_11comp_targetILNS1_3genE8ELNS1_11target_archE1030ELNS1_3gpuE2ELNS1_3repE0EEENS1_30default_config_static_selectorELNS0_4arch9wavefront6targetE0EEEvT1_,comdat
.Lfunc_end1449:
	.size	_ZN7rocprim17ROCPRIM_400000_NS6detail17trampoline_kernelINS0_14default_configENS1_25partition_config_selectorILNS1_17partition_subalgoE5EtNS0_10empty_typeEbEEZZNS1_14partition_implILS5_5ELb0ES3_mN6thrust23THRUST_200600_302600_NS6detail15normal_iteratorINSA_10device_ptrItEEEEPS6_NSA_18transform_iteratorINSB_9not_fun_tI7is_trueItEEESF_NSA_11use_defaultESM_EENS0_5tupleIJSF_S6_EEENSO_IJSG_SG_EEES6_PlJS6_EEE10hipError_tPvRmT3_T4_T5_T6_T7_T9_mT8_P12ihipStream_tbDpT10_ENKUlT_T0_E_clISt17integral_constantIbLb1EES1B_EEDaS16_S17_EUlS16_E_NS1_11comp_targetILNS1_3genE8ELNS1_11target_archE1030ELNS1_3gpuE2ELNS1_3repE0EEENS1_30default_config_static_selectorELNS0_4arch9wavefront6targetE0EEEvT1_, .Lfunc_end1449-_ZN7rocprim17ROCPRIM_400000_NS6detail17trampoline_kernelINS0_14default_configENS1_25partition_config_selectorILNS1_17partition_subalgoE5EtNS0_10empty_typeEbEEZZNS1_14partition_implILS5_5ELb0ES3_mN6thrust23THRUST_200600_302600_NS6detail15normal_iteratorINSA_10device_ptrItEEEEPS6_NSA_18transform_iteratorINSB_9not_fun_tI7is_trueItEEESF_NSA_11use_defaultESM_EENS0_5tupleIJSF_S6_EEENSO_IJSG_SG_EEES6_PlJS6_EEE10hipError_tPvRmT3_T4_T5_T6_T7_T9_mT8_P12ihipStream_tbDpT10_ENKUlT_T0_E_clISt17integral_constantIbLb1EES1B_EEDaS16_S17_EUlS16_E_NS1_11comp_targetILNS1_3genE8ELNS1_11target_archE1030ELNS1_3gpuE2ELNS1_3repE0EEENS1_30default_config_static_selectorELNS0_4arch9wavefront6targetE0EEEvT1_
                                        ; -- End function
	.set _ZN7rocprim17ROCPRIM_400000_NS6detail17trampoline_kernelINS0_14default_configENS1_25partition_config_selectorILNS1_17partition_subalgoE5EtNS0_10empty_typeEbEEZZNS1_14partition_implILS5_5ELb0ES3_mN6thrust23THRUST_200600_302600_NS6detail15normal_iteratorINSA_10device_ptrItEEEEPS6_NSA_18transform_iteratorINSB_9not_fun_tI7is_trueItEEESF_NSA_11use_defaultESM_EENS0_5tupleIJSF_S6_EEENSO_IJSG_SG_EEES6_PlJS6_EEE10hipError_tPvRmT3_T4_T5_T6_T7_T9_mT8_P12ihipStream_tbDpT10_ENKUlT_T0_E_clISt17integral_constantIbLb1EES1B_EEDaS16_S17_EUlS16_E_NS1_11comp_targetILNS1_3genE8ELNS1_11target_archE1030ELNS1_3gpuE2ELNS1_3repE0EEENS1_30default_config_static_selectorELNS0_4arch9wavefront6targetE0EEEvT1_.num_vgpr, 0
	.set _ZN7rocprim17ROCPRIM_400000_NS6detail17trampoline_kernelINS0_14default_configENS1_25partition_config_selectorILNS1_17partition_subalgoE5EtNS0_10empty_typeEbEEZZNS1_14partition_implILS5_5ELb0ES3_mN6thrust23THRUST_200600_302600_NS6detail15normal_iteratorINSA_10device_ptrItEEEEPS6_NSA_18transform_iteratorINSB_9not_fun_tI7is_trueItEEESF_NSA_11use_defaultESM_EENS0_5tupleIJSF_S6_EEENSO_IJSG_SG_EEES6_PlJS6_EEE10hipError_tPvRmT3_T4_T5_T6_T7_T9_mT8_P12ihipStream_tbDpT10_ENKUlT_T0_E_clISt17integral_constantIbLb1EES1B_EEDaS16_S17_EUlS16_E_NS1_11comp_targetILNS1_3genE8ELNS1_11target_archE1030ELNS1_3gpuE2ELNS1_3repE0EEENS1_30default_config_static_selectorELNS0_4arch9wavefront6targetE0EEEvT1_.num_agpr, 0
	.set _ZN7rocprim17ROCPRIM_400000_NS6detail17trampoline_kernelINS0_14default_configENS1_25partition_config_selectorILNS1_17partition_subalgoE5EtNS0_10empty_typeEbEEZZNS1_14partition_implILS5_5ELb0ES3_mN6thrust23THRUST_200600_302600_NS6detail15normal_iteratorINSA_10device_ptrItEEEEPS6_NSA_18transform_iteratorINSB_9not_fun_tI7is_trueItEEESF_NSA_11use_defaultESM_EENS0_5tupleIJSF_S6_EEENSO_IJSG_SG_EEES6_PlJS6_EEE10hipError_tPvRmT3_T4_T5_T6_T7_T9_mT8_P12ihipStream_tbDpT10_ENKUlT_T0_E_clISt17integral_constantIbLb1EES1B_EEDaS16_S17_EUlS16_E_NS1_11comp_targetILNS1_3genE8ELNS1_11target_archE1030ELNS1_3gpuE2ELNS1_3repE0EEENS1_30default_config_static_selectorELNS0_4arch9wavefront6targetE0EEEvT1_.numbered_sgpr, 0
	.set _ZN7rocprim17ROCPRIM_400000_NS6detail17trampoline_kernelINS0_14default_configENS1_25partition_config_selectorILNS1_17partition_subalgoE5EtNS0_10empty_typeEbEEZZNS1_14partition_implILS5_5ELb0ES3_mN6thrust23THRUST_200600_302600_NS6detail15normal_iteratorINSA_10device_ptrItEEEEPS6_NSA_18transform_iteratorINSB_9not_fun_tI7is_trueItEEESF_NSA_11use_defaultESM_EENS0_5tupleIJSF_S6_EEENSO_IJSG_SG_EEES6_PlJS6_EEE10hipError_tPvRmT3_T4_T5_T6_T7_T9_mT8_P12ihipStream_tbDpT10_ENKUlT_T0_E_clISt17integral_constantIbLb1EES1B_EEDaS16_S17_EUlS16_E_NS1_11comp_targetILNS1_3genE8ELNS1_11target_archE1030ELNS1_3gpuE2ELNS1_3repE0EEENS1_30default_config_static_selectorELNS0_4arch9wavefront6targetE0EEEvT1_.num_named_barrier, 0
	.set _ZN7rocprim17ROCPRIM_400000_NS6detail17trampoline_kernelINS0_14default_configENS1_25partition_config_selectorILNS1_17partition_subalgoE5EtNS0_10empty_typeEbEEZZNS1_14partition_implILS5_5ELb0ES3_mN6thrust23THRUST_200600_302600_NS6detail15normal_iteratorINSA_10device_ptrItEEEEPS6_NSA_18transform_iteratorINSB_9not_fun_tI7is_trueItEEESF_NSA_11use_defaultESM_EENS0_5tupleIJSF_S6_EEENSO_IJSG_SG_EEES6_PlJS6_EEE10hipError_tPvRmT3_T4_T5_T6_T7_T9_mT8_P12ihipStream_tbDpT10_ENKUlT_T0_E_clISt17integral_constantIbLb1EES1B_EEDaS16_S17_EUlS16_E_NS1_11comp_targetILNS1_3genE8ELNS1_11target_archE1030ELNS1_3gpuE2ELNS1_3repE0EEENS1_30default_config_static_selectorELNS0_4arch9wavefront6targetE0EEEvT1_.private_seg_size, 0
	.set _ZN7rocprim17ROCPRIM_400000_NS6detail17trampoline_kernelINS0_14default_configENS1_25partition_config_selectorILNS1_17partition_subalgoE5EtNS0_10empty_typeEbEEZZNS1_14partition_implILS5_5ELb0ES3_mN6thrust23THRUST_200600_302600_NS6detail15normal_iteratorINSA_10device_ptrItEEEEPS6_NSA_18transform_iteratorINSB_9not_fun_tI7is_trueItEEESF_NSA_11use_defaultESM_EENS0_5tupleIJSF_S6_EEENSO_IJSG_SG_EEES6_PlJS6_EEE10hipError_tPvRmT3_T4_T5_T6_T7_T9_mT8_P12ihipStream_tbDpT10_ENKUlT_T0_E_clISt17integral_constantIbLb1EES1B_EEDaS16_S17_EUlS16_E_NS1_11comp_targetILNS1_3genE8ELNS1_11target_archE1030ELNS1_3gpuE2ELNS1_3repE0EEENS1_30default_config_static_selectorELNS0_4arch9wavefront6targetE0EEEvT1_.uses_vcc, 0
	.set _ZN7rocprim17ROCPRIM_400000_NS6detail17trampoline_kernelINS0_14default_configENS1_25partition_config_selectorILNS1_17partition_subalgoE5EtNS0_10empty_typeEbEEZZNS1_14partition_implILS5_5ELb0ES3_mN6thrust23THRUST_200600_302600_NS6detail15normal_iteratorINSA_10device_ptrItEEEEPS6_NSA_18transform_iteratorINSB_9not_fun_tI7is_trueItEEESF_NSA_11use_defaultESM_EENS0_5tupleIJSF_S6_EEENSO_IJSG_SG_EEES6_PlJS6_EEE10hipError_tPvRmT3_T4_T5_T6_T7_T9_mT8_P12ihipStream_tbDpT10_ENKUlT_T0_E_clISt17integral_constantIbLb1EES1B_EEDaS16_S17_EUlS16_E_NS1_11comp_targetILNS1_3genE8ELNS1_11target_archE1030ELNS1_3gpuE2ELNS1_3repE0EEENS1_30default_config_static_selectorELNS0_4arch9wavefront6targetE0EEEvT1_.uses_flat_scratch, 0
	.set _ZN7rocprim17ROCPRIM_400000_NS6detail17trampoline_kernelINS0_14default_configENS1_25partition_config_selectorILNS1_17partition_subalgoE5EtNS0_10empty_typeEbEEZZNS1_14partition_implILS5_5ELb0ES3_mN6thrust23THRUST_200600_302600_NS6detail15normal_iteratorINSA_10device_ptrItEEEEPS6_NSA_18transform_iteratorINSB_9not_fun_tI7is_trueItEEESF_NSA_11use_defaultESM_EENS0_5tupleIJSF_S6_EEENSO_IJSG_SG_EEES6_PlJS6_EEE10hipError_tPvRmT3_T4_T5_T6_T7_T9_mT8_P12ihipStream_tbDpT10_ENKUlT_T0_E_clISt17integral_constantIbLb1EES1B_EEDaS16_S17_EUlS16_E_NS1_11comp_targetILNS1_3genE8ELNS1_11target_archE1030ELNS1_3gpuE2ELNS1_3repE0EEENS1_30default_config_static_selectorELNS0_4arch9wavefront6targetE0EEEvT1_.has_dyn_sized_stack, 0
	.set _ZN7rocprim17ROCPRIM_400000_NS6detail17trampoline_kernelINS0_14default_configENS1_25partition_config_selectorILNS1_17partition_subalgoE5EtNS0_10empty_typeEbEEZZNS1_14partition_implILS5_5ELb0ES3_mN6thrust23THRUST_200600_302600_NS6detail15normal_iteratorINSA_10device_ptrItEEEEPS6_NSA_18transform_iteratorINSB_9not_fun_tI7is_trueItEEESF_NSA_11use_defaultESM_EENS0_5tupleIJSF_S6_EEENSO_IJSG_SG_EEES6_PlJS6_EEE10hipError_tPvRmT3_T4_T5_T6_T7_T9_mT8_P12ihipStream_tbDpT10_ENKUlT_T0_E_clISt17integral_constantIbLb1EES1B_EEDaS16_S17_EUlS16_E_NS1_11comp_targetILNS1_3genE8ELNS1_11target_archE1030ELNS1_3gpuE2ELNS1_3repE0EEENS1_30default_config_static_selectorELNS0_4arch9wavefront6targetE0EEEvT1_.has_recursion, 0
	.set _ZN7rocprim17ROCPRIM_400000_NS6detail17trampoline_kernelINS0_14default_configENS1_25partition_config_selectorILNS1_17partition_subalgoE5EtNS0_10empty_typeEbEEZZNS1_14partition_implILS5_5ELb0ES3_mN6thrust23THRUST_200600_302600_NS6detail15normal_iteratorINSA_10device_ptrItEEEEPS6_NSA_18transform_iteratorINSB_9not_fun_tI7is_trueItEEESF_NSA_11use_defaultESM_EENS0_5tupleIJSF_S6_EEENSO_IJSG_SG_EEES6_PlJS6_EEE10hipError_tPvRmT3_T4_T5_T6_T7_T9_mT8_P12ihipStream_tbDpT10_ENKUlT_T0_E_clISt17integral_constantIbLb1EES1B_EEDaS16_S17_EUlS16_E_NS1_11comp_targetILNS1_3genE8ELNS1_11target_archE1030ELNS1_3gpuE2ELNS1_3repE0EEENS1_30default_config_static_selectorELNS0_4arch9wavefront6targetE0EEEvT1_.has_indirect_call, 0
	.section	.AMDGPU.csdata,"",@progbits
; Kernel info:
; codeLenInByte = 0
; TotalNumSgprs: 0
; NumVgprs: 0
; ScratchSize: 0
; MemoryBound: 0
; FloatMode: 240
; IeeeMode: 1
; LDSByteSize: 0 bytes/workgroup (compile time only)
; SGPRBlocks: 0
; VGPRBlocks: 0
; NumSGPRsForWavesPerEU: 1
; NumVGPRsForWavesPerEU: 1
; Occupancy: 16
; WaveLimiterHint : 0
; COMPUTE_PGM_RSRC2:SCRATCH_EN: 0
; COMPUTE_PGM_RSRC2:USER_SGPR: 2
; COMPUTE_PGM_RSRC2:TRAP_HANDLER: 0
; COMPUTE_PGM_RSRC2:TGID_X_EN: 1
; COMPUTE_PGM_RSRC2:TGID_Y_EN: 0
; COMPUTE_PGM_RSRC2:TGID_Z_EN: 0
; COMPUTE_PGM_RSRC2:TIDIG_COMP_CNT: 0
	.section	.text._ZN7rocprim17ROCPRIM_400000_NS6detail17trampoline_kernelINS0_14default_configENS1_25partition_config_selectorILNS1_17partition_subalgoE5EtNS0_10empty_typeEbEEZZNS1_14partition_implILS5_5ELb0ES3_mN6thrust23THRUST_200600_302600_NS6detail15normal_iteratorINSA_10device_ptrItEEEEPS6_NSA_18transform_iteratorINSB_9not_fun_tI7is_trueItEEESF_NSA_11use_defaultESM_EENS0_5tupleIJSF_S6_EEENSO_IJSG_SG_EEES6_PlJS6_EEE10hipError_tPvRmT3_T4_T5_T6_T7_T9_mT8_P12ihipStream_tbDpT10_ENKUlT_T0_E_clISt17integral_constantIbLb1EES1A_IbLb0EEEEDaS16_S17_EUlS16_E_NS1_11comp_targetILNS1_3genE0ELNS1_11target_archE4294967295ELNS1_3gpuE0ELNS1_3repE0EEENS1_30default_config_static_selectorELNS0_4arch9wavefront6targetE0EEEvT1_,"axG",@progbits,_ZN7rocprim17ROCPRIM_400000_NS6detail17trampoline_kernelINS0_14default_configENS1_25partition_config_selectorILNS1_17partition_subalgoE5EtNS0_10empty_typeEbEEZZNS1_14partition_implILS5_5ELb0ES3_mN6thrust23THRUST_200600_302600_NS6detail15normal_iteratorINSA_10device_ptrItEEEEPS6_NSA_18transform_iteratorINSB_9not_fun_tI7is_trueItEEESF_NSA_11use_defaultESM_EENS0_5tupleIJSF_S6_EEENSO_IJSG_SG_EEES6_PlJS6_EEE10hipError_tPvRmT3_T4_T5_T6_T7_T9_mT8_P12ihipStream_tbDpT10_ENKUlT_T0_E_clISt17integral_constantIbLb1EES1A_IbLb0EEEEDaS16_S17_EUlS16_E_NS1_11comp_targetILNS1_3genE0ELNS1_11target_archE4294967295ELNS1_3gpuE0ELNS1_3repE0EEENS1_30default_config_static_selectorELNS0_4arch9wavefront6targetE0EEEvT1_,comdat
	.protected	_ZN7rocprim17ROCPRIM_400000_NS6detail17trampoline_kernelINS0_14default_configENS1_25partition_config_selectorILNS1_17partition_subalgoE5EtNS0_10empty_typeEbEEZZNS1_14partition_implILS5_5ELb0ES3_mN6thrust23THRUST_200600_302600_NS6detail15normal_iteratorINSA_10device_ptrItEEEEPS6_NSA_18transform_iteratorINSB_9not_fun_tI7is_trueItEEESF_NSA_11use_defaultESM_EENS0_5tupleIJSF_S6_EEENSO_IJSG_SG_EEES6_PlJS6_EEE10hipError_tPvRmT3_T4_T5_T6_T7_T9_mT8_P12ihipStream_tbDpT10_ENKUlT_T0_E_clISt17integral_constantIbLb1EES1A_IbLb0EEEEDaS16_S17_EUlS16_E_NS1_11comp_targetILNS1_3genE0ELNS1_11target_archE4294967295ELNS1_3gpuE0ELNS1_3repE0EEENS1_30default_config_static_selectorELNS0_4arch9wavefront6targetE0EEEvT1_ ; -- Begin function _ZN7rocprim17ROCPRIM_400000_NS6detail17trampoline_kernelINS0_14default_configENS1_25partition_config_selectorILNS1_17partition_subalgoE5EtNS0_10empty_typeEbEEZZNS1_14partition_implILS5_5ELb0ES3_mN6thrust23THRUST_200600_302600_NS6detail15normal_iteratorINSA_10device_ptrItEEEEPS6_NSA_18transform_iteratorINSB_9not_fun_tI7is_trueItEEESF_NSA_11use_defaultESM_EENS0_5tupleIJSF_S6_EEENSO_IJSG_SG_EEES6_PlJS6_EEE10hipError_tPvRmT3_T4_T5_T6_T7_T9_mT8_P12ihipStream_tbDpT10_ENKUlT_T0_E_clISt17integral_constantIbLb1EES1A_IbLb0EEEEDaS16_S17_EUlS16_E_NS1_11comp_targetILNS1_3genE0ELNS1_11target_archE4294967295ELNS1_3gpuE0ELNS1_3repE0EEENS1_30default_config_static_selectorELNS0_4arch9wavefront6targetE0EEEvT1_
	.globl	_ZN7rocprim17ROCPRIM_400000_NS6detail17trampoline_kernelINS0_14default_configENS1_25partition_config_selectorILNS1_17partition_subalgoE5EtNS0_10empty_typeEbEEZZNS1_14partition_implILS5_5ELb0ES3_mN6thrust23THRUST_200600_302600_NS6detail15normal_iteratorINSA_10device_ptrItEEEEPS6_NSA_18transform_iteratorINSB_9not_fun_tI7is_trueItEEESF_NSA_11use_defaultESM_EENS0_5tupleIJSF_S6_EEENSO_IJSG_SG_EEES6_PlJS6_EEE10hipError_tPvRmT3_T4_T5_T6_T7_T9_mT8_P12ihipStream_tbDpT10_ENKUlT_T0_E_clISt17integral_constantIbLb1EES1A_IbLb0EEEEDaS16_S17_EUlS16_E_NS1_11comp_targetILNS1_3genE0ELNS1_11target_archE4294967295ELNS1_3gpuE0ELNS1_3repE0EEENS1_30default_config_static_selectorELNS0_4arch9wavefront6targetE0EEEvT1_
	.p2align	8
	.type	_ZN7rocprim17ROCPRIM_400000_NS6detail17trampoline_kernelINS0_14default_configENS1_25partition_config_selectorILNS1_17partition_subalgoE5EtNS0_10empty_typeEbEEZZNS1_14partition_implILS5_5ELb0ES3_mN6thrust23THRUST_200600_302600_NS6detail15normal_iteratorINSA_10device_ptrItEEEEPS6_NSA_18transform_iteratorINSB_9not_fun_tI7is_trueItEEESF_NSA_11use_defaultESM_EENS0_5tupleIJSF_S6_EEENSO_IJSG_SG_EEES6_PlJS6_EEE10hipError_tPvRmT3_T4_T5_T6_T7_T9_mT8_P12ihipStream_tbDpT10_ENKUlT_T0_E_clISt17integral_constantIbLb1EES1A_IbLb0EEEEDaS16_S17_EUlS16_E_NS1_11comp_targetILNS1_3genE0ELNS1_11target_archE4294967295ELNS1_3gpuE0ELNS1_3repE0EEENS1_30default_config_static_selectorELNS0_4arch9wavefront6targetE0EEEvT1_,@function
_ZN7rocprim17ROCPRIM_400000_NS6detail17trampoline_kernelINS0_14default_configENS1_25partition_config_selectorILNS1_17partition_subalgoE5EtNS0_10empty_typeEbEEZZNS1_14partition_implILS5_5ELb0ES3_mN6thrust23THRUST_200600_302600_NS6detail15normal_iteratorINSA_10device_ptrItEEEEPS6_NSA_18transform_iteratorINSB_9not_fun_tI7is_trueItEEESF_NSA_11use_defaultESM_EENS0_5tupleIJSF_S6_EEENSO_IJSG_SG_EEES6_PlJS6_EEE10hipError_tPvRmT3_T4_T5_T6_T7_T9_mT8_P12ihipStream_tbDpT10_ENKUlT_T0_E_clISt17integral_constantIbLb1EES1A_IbLb0EEEEDaS16_S17_EUlS16_E_NS1_11comp_targetILNS1_3genE0ELNS1_11target_archE4294967295ELNS1_3gpuE0ELNS1_3repE0EEENS1_30default_config_static_selectorELNS0_4arch9wavefront6targetE0EEEvT1_: ; @_ZN7rocprim17ROCPRIM_400000_NS6detail17trampoline_kernelINS0_14default_configENS1_25partition_config_selectorILNS1_17partition_subalgoE5EtNS0_10empty_typeEbEEZZNS1_14partition_implILS5_5ELb0ES3_mN6thrust23THRUST_200600_302600_NS6detail15normal_iteratorINSA_10device_ptrItEEEEPS6_NSA_18transform_iteratorINSB_9not_fun_tI7is_trueItEEESF_NSA_11use_defaultESM_EENS0_5tupleIJSF_S6_EEENSO_IJSG_SG_EEES6_PlJS6_EEE10hipError_tPvRmT3_T4_T5_T6_T7_T9_mT8_P12ihipStream_tbDpT10_ENKUlT_T0_E_clISt17integral_constantIbLb1EES1A_IbLb0EEEEDaS16_S17_EUlS16_E_NS1_11comp_targetILNS1_3genE0ELNS1_11target_archE4294967295ELNS1_3gpuE0ELNS1_3repE0EEENS1_30default_config_static_selectorELNS0_4arch9wavefront6targetE0EEEvT1_
; %bb.0:
	.section	.rodata,"a",@progbits
	.p2align	6, 0x0
	.amdhsa_kernel _ZN7rocprim17ROCPRIM_400000_NS6detail17trampoline_kernelINS0_14default_configENS1_25partition_config_selectorILNS1_17partition_subalgoE5EtNS0_10empty_typeEbEEZZNS1_14partition_implILS5_5ELb0ES3_mN6thrust23THRUST_200600_302600_NS6detail15normal_iteratorINSA_10device_ptrItEEEEPS6_NSA_18transform_iteratorINSB_9not_fun_tI7is_trueItEEESF_NSA_11use_defaultESM_EENS0_5tupleIJSF_S6_EEENSO_IJSG_SG_EEES6_PlJS6_EEE10hipError_tPvRmT3_T4_T5_T6_T7_T9_mT8_P12ihipStream_tbDpT10_ENKUlT_T0_E_clISt17integral_constantIbLb1EES1A_IbLb0EEEEDaS16_S17_EUlS16_E_NS1_11comp_targetILNS1_3genE0ELNS1_11target_archE4294967295ELNS1_3gpuE0ELNS1_3repE0EEENS1_30default_config_static_selectorELNS0_4arch9wavefront6targetE0EEEvT1_
		.amdhsa_group_segment_fixed_size 0
		.amdhsa_private_segment_fixed_size 0
		.amdhsa_kernarg_size 120
		.amdhsa_user_sgpr_count 2
		.amdhsa_user_sgpr_dispatch_ptr 0
		.amdhsa_user_sgpr_queue_ptr 0
		.amdhsa_user_sgpr_kernarg_segment_ptr 1
		.amdhsa_user_sgpr_dispatch_id 0
		.amdhsa_user_sgpr_private_segment_size 0
		.amdhsa_wavefront_size32 1
		.amdhsa_uses_dynamic_stack 0
		.amdhsa_enable_private_segment 0
		.amdhsa_system_sgpr_workgroup_id_x 1
		.amdhsa_system_sgpr_workgroup_id_y 0
		.amdhsa_system_sgpr_workgroup_id_z 0
		.amdhsa_system_sgpr_workgroup_info 0
		.amdhsa_system_vgpr_workitem_id 0
		.amdhsa_next_free_vgpr 1
		.amdhsa_next_free_sgpr 1
		.amdhsa_reserve_vcc 0
		.amdhsa_float_round_mode_32 0
		.amdhsa_float_round_mode_16_64 0
		.amdhsa_float_denorm_mode_32 3
		.amdhsa_float_denorm_mode_16_64 3
		.amdhsa_fp16_overflow 0
		.amdhsa_workgroup_processor_mode 1
		.amdhsa_memory_ordered 1
		.amdhsa_forward_progress 1
		.amdhsa_inst_pref_size 0
		.amdhsa_round_robin_scheduling 0
		.amdhsa_exception_fp_ieee_invalid_op 0
		.amdhsa_exception_fp_denorm_src 0
		.amdhsa_exception_fp_ieee_div_zero 0
		.amdhsa_exception_fp_ieee_overflow 0
		.amdhsa_exception_fp_ieee_underflow 0
		.amdhsa_exception_fp_ieee_inexact 0
		.amdhsa_exception_int_div_zero 0
	.end_amdhsa_kernel
	.section	.text._ZN7rocprim17ROCPRIM_400000_NS6detail17trampoline_kernelINS0_14default_configENS1_25partition_config_selectorILNS1_17partition_subalgoE5EtNS0_10empty_typeEbEEZZNS1_14partition_implILS5_5ELb0ES3_mN6thrust23THRUST_200600_302600_NS6detail15normal_iteratorINSA_10device_ptrItEEEEPS6_NSA_18transform_iteratorINSB_9not_fun_tI7is_trueItEEESF_NSA_11use_defaultESM_EENS0_5tupleIJSF_S6_EEENSO_IJSG_SG_EEES6_PlJS6_EEE10hipError_tPvRmT3_T4_T5_T6_T7_T9_mT8_P12ihipStream_tbDpT10_ENKUlT_T0_E_clISt17integral_constantIbLb1EES1A_IbLb0EEEEDaS16_S17_EUlS16_E_NS1_11comp_targetILNS1_3genE0ELNS1_11target_archE4294967295ELNS1_3gpuE0ELNS1_3repE0EEENS1_30default_config_static_selectorELNS0_4arch9wavefront6targetE0EEEvT1_,"axG",@progbits,_ZN7rocprim17ROCPRIM_400000_NS6detail17trampoline_kernelINS0_14default_configENS1_25partition_config_selectorILNS1_17partition_subalgoE5EtNS0_10empty_typeEbEEZZNS1_14partition_implILS5_5ELb0ES3_mN6thrust23THRUST_200600_302600_NS6detail15normal_iteratorINSA_10device_ptrItEEEEPS6_NSA_18transform_iteratorINSB_9not_fun_tI7is_trueItEEESF_NSA_11use_defaultESM_EENS0_5tupleIJSF_S6_EEENSO_IJSG_SG_EEES6_PlJS6_EEE10hipError_tPvRmT3_T4_T5_T6_T7_T9_mT8_P12ihipStream_tbDpT10_ENKUlT_T0_E_clISt17integral_constantIbLb1EES1A_IbLb0EEEEDaS16_S17_EUlS16_E_NS1_11comp_targetILNS1_3genE0ELNS1_11target_archE4294967295ELNS1_3gpuE0ELNS1_3repE0EEENS1_30default_config_static_selectorELNS0_4arch9wavefront6targetE0EEEvT1_,comdat
.Lfunc_end1450:
	.size	_ZN7rocprim17ROCPRIM_400000_NS6detail17trampoline_kernelINS0_14default_configENS1_25partition_config_selectorILNS1_17partition_subalgoE5EtNS0_10empty_typeEbEEZZNS1_14partition_implILS5_5ELb0ES3_mN6thrust23THRUST_200600_302600_NS6detail15normal_iteratorINSA_10device_ptrItEEEEPS6_NSA_18transform_iteratorINSB_9not_fun_tI7is_trueItEEESF_NSA_11use_defaultESM_EENS0_5tupleIJSF_S6_EEENSO_IJSG_SG_EEES6_PlJS6_EEE10hipError_tPvRmT3_T4_T5_T6_T7_T9_mT8_P12ihipStream_tbDpT10_ENKUlT_T0_E_clISt17integral_constantIbLb1EES1A_IbLb0EEEEDaS16_S17_EUlS16_E_NS1_11comp_targetILNS1_3genE0ELNS1_11target_archE4294967295ELNS1_3gpuE0ELNS1_3repE0EEENS1_30default_config_static_selectorELNS0_4arch9wavefront6targetE0EEEvT1_, .Lfunc_end1450-_ZN7rocprim17ROCPRIM_400000_NS6detail17trampoline_kernelINS0_14default_configENS1_25partition_config_selectorILNS1_17partition_subalgoE5EtNS0_10empty_typeEbEEZZNS1_14partition_implILS5_5ELb0ES3_mN6thrust23THRUST_200600_302600_NS6detail15normal_iteratorINSA_10device_ptrItEEEEPS6_NSA_18transform_iteratorINSB_9not_fun_tI7is_trueItEEESF_NSA_11use_defaultESM_EENS0_5tupleIJSF_S6_EEENSO_IJSG_SG_EEES6_PlJS6_EEE10hipError_tPvRmT3_T4_T5_T6_T7_T9_mT8_P12ihipStream_tbDpT10_ENKUlT_T0_E_clISt17integral_constantIbLb1EES1A_IbLb0EEEEDaS16_S17_EUlS16_E_NS1_11comp_targetILNS1_3genE0ELNS1_11target_archE4294967295ELNS1_3gpuE0ELNS1_3repE0EEENS1_30default_config_static_selectorELNS0_4arch9wavefront6targetE0EEEvT1_
                                        ; -- End function
	.set _ZN7rocprim17ROCPRIM_400000_NS6detail17trampoline_kernelINS0_14default_configENS1_25partition_config_selectorILNS1_17partition_subalgoE5EtNS0_10empty_typeEbEEZZNS1_14partition_implILS5_5ELb0ES3_mN6thrust23THRUST_200600_302600_NS6detail15normal_iteratorINSA_10device_ptrItEEEEPS6_NSA_18transform_iteratorINSB_9not_fun_tI7is_trueItEEESF_NSA_11use_defaultESM_EENS0_5tupleIJSF_S6_EEENSO_IJSG_SG_EEES6_PlJS6_EEE10hipError_tPvRmT3_T4_T5_T6_T7_T9_mT8_P12ihipStream_tbDpT10_ENKUlT_T0_E_clISt17integral_constantIbLb1EES1A_IbLb0EEEEDaS16_S17_EUlS16_E_NS1_11comp_targetILNS1_3genE0ELNS1_11target_archE4294967295ELNS1_3gpuE0ELNS1_3repE0EEENS1_30default_config_static_selectorELNS0_4arch9wavefront6targetE0EEEvT1_.num_vgpr, 0
	.set _ZN7rocprim17ROCPRIM_400000_NS6detail17trampoline_kernelINS0_14default_configENS1_25partition_config_selectorILNS1_17partition_subalgoE5EtNS0_10empty_typeEbEEZZNS1_14partition_implILS5_5ELb0ES3_mN6thrust23THRUST_200600_302600_NS6detail15normal_iteratorINSA_10device_ptrItEEEEPS6_NSA_18transform_iteratorINSB_9not_fun_tI7is_trueItEEESF_NSA_11use_defaultESM_EENS0_5tupleIJSF_S6_EEENSO_IJSG_SG_EEES6_PlJS6_EEE10hipError_tPvRmT3_T4_T5_T6_T7_T9_mT8_P12ihipStream_tbDpT10_ENKUlT_T0_E_clISt17integral_constantIbLb1EES1A_IbLb0EEEEDaS16_S17_EUlS16_E_NS1_11comp_targetILNS1_3genE0ELNS1_11target_archE4294967295ELNS1_3gpuE0ELNS1_3repE0EEENS1_30default_config_static_selectorELNS0_4arch9wavefront6targetE0EEEvT1_.num_agpr, 0
	.set _ZN7rocprim17ROCPRIM_400000_NS6detail17trampoline_kernelINS0_14default_configENS1_25partition_config_selectorILNS1_17partition_subalgoE5EtNS0_10empty_typeEbEEZZNS1_14partition_implILS5_5ELb0ES3_mN6thrust23THRUST_200600_302600_NS6detail15normal_iteratorINSA_10device_ptrItEEEEPS6_NSA_18transform_iteratorINSB_9not_fun_tI7is_trueItEEESF_NSA_11use_defaultESM_EENS0_5tupleIJSF_S6_EEENSO_IJSG_SG_EEES6_PlJS6_EEE10hipError_tPvRmT3_T4_T5_T6_T7_T9_mT8_P12ihipStream_tbDpT10_ENKUlT_T0_E_clISt17integral_constantIbLb1EES1A_IbLb0EEEEDaS16_S17_EUlS16_E_NS1_11comp_targetILNS1_3genE0ELNS1_11target_archE4294967295ELNS1_3gpuE0ELNS1_3repE0EEENS1_30default_config_static_selectorELNS0_4arch9wavefront6targetE0EEEvT1_.numbered_sgpr, 0
	.set _ZN7rocprim17ROCPRIM_400000_NS6detail17trampoline_kernelINS0_14default_configENS1_25partition_config_selectorILNS1_17partition_subalgoE5EtNS0_10empty_typeEbEEZZNS1_14partition_implILS5_5ELb0ES3_mN6thrust23THRUST_200600_302600_NS6detail15normal_iteratorINSA_10device_ptrItEEEEPS6_NSA_18transform_iteratorINSB_9not_fun_tI7is_trueItEEESF_NSA_11use_defaultESM_EENS0_5tupleIJSF_S6_EEENSO_IJSG_SG_EEES6_PlJS6_EEE10hipError_tPvRmT3_T4_T5_T6_T7_T9_mT8_P12ihipStream_tbDpT10_ENKUlT_T0_E_clISt17integral_constantIbLb1EES1A_IbLb0EEEEDaS16_S17_EUlS16_E_NS1_11comp_targetILNS1_3genE0ELNS1_11target_archE4294967295ELNS1_3gpuE0ELNS1_3repE0EEENS1_30default_config_static_selectorELNS0_4arch9wavefront6targetE0EEEvT1_.num_named_barrier, 0
	.set _ZN7rocprim17ROCPRIM_400000_NS6detail17trampoline_kernelINS0_14default_configENS1_25partition_config_selectorILNS1_17partition_subalgoE5EtNS0_10empty_typeEbEEZZNS1_14partition_implILS5_5ELb0ES3_mN6thrust23THRUST_200600_302600_NS6detail15normal_iteratorINSA_10device_ptrItEEEEPS6_NSA_18transform_iteratorINSB_9not_fun_tI7is_trueItEEESF_NSA_11use_defaultESM_EENS0_5tupleIJSF_S6_EEENSO_IJSG_SG_EEES6_PlJS6_EEE10hipError_tPvRmT3_T4_T5_T6_T7_T9_mT8_P12ihipStream_tbDpT10_ENKUlT_T0_E_clISt17integral_constantIbLb1EES1A_IbLb0EEEEDaS16_S17_EUlS16_E_NS1_11comp_targetILNS1_3genE0ELNS1_11target_archE4294967295ELNS1_3gpuE0ELNS1_3repE0EEENS1_30default_config_static_selectorELNS0_4arch9wavefront6targetE0EEEvT1_.private_seg_size, 0
	.set _ZN7rocprim17ROCPRIM_400000_NS6detail17trampoline_kernelINS0_14default_configENS1_25partition_config_selectorILNS1_17partition_subalgoE5EtNS0_10empty_typeEbEEZZNS1_14partition_implILS5_5ELb0ES3_mN6thrust23THRUST_200600_302600_NS6detail15normal_iteratorINSA_10device_ptrItEEEEPS6_NSA_18transform_iteratorINSB_9not_fun_tI7is_trueItEEESF_NSA_11use_defaultESM_EENS0_5tupleIJSF_S6_EEENSO_IJSG_SG_EEES6_PlJS6_EEE10hipError_tPvRmT3_T4_T5_T6_T7_T9_mT8_P12ihipStream_tbDpT10_ENKUlT_T0_E_clISt17integral_constantIbLb1EES1A_IbLb0EEEEDaS16_S17_EUlS16_E_NS1_11comp_targetILNS1_3genE0ELNS1_11target_archE4294967295ELNS1_3gpuE0ELNS1_3repE0EEENS1_30default_config_static_selectorELNS0_4arch9wavefront6targetE0EEEvT1_.uses_vcc, 0
	.set _ZN7rocprim17ROCPRIM_400000_NS6detail17trampoline_kernelINS0_14default_configENS1_25partition_config_selectorILNS1_17partition_subalgoE5EtNS0_10empty_typeEbEEZZNS1_14partition_implILS5_5ELb0ES3_mN6thrust23THRUST_200600_302600_NS6detail15normal_iteratorINSA_10device_ptrItEEEEPS6_NSA_18transform_iteratorINSB_9not_fun_tI7is_trueItEEESF_NSA_11use_defaultESM_EENS0_5tupleIJSF_S6_EEENSO_IJSG_SG_EEES6_PlJS6_EEE10hipError_tPvRmT3_T4_T5_T6_T7_T9_mT8_P12ihipStream_tbDpT10_ENKUlT_T0_E_clISt17integral_constantIbLb1EES1A_IbLb0EEEEDaS16_S17_EUlS16_E_NS1_11comp_targetILNS1_3genE0ELNS1_11target_archE4294967295ELNS1_3gpuE0ELNS1_3repE0EEENS1_30default_config_static_selectorELNS0_4arch9wavefront6targetE0EEEvT1_.uses_flat_scratch, 0
	.set _ZN7rocprim17ROCPRIM_400000_NS6detail17trampoline_kernelINS0_14default_configENS1_25partition_config_selectorILNS1_17partition_subalgoE5EtNS0_10empty_typeEbEEZZNS1_14partition_implILS5_5ELb0ES3_mN6thrust23THRUST_200600_302600_NS6detail15normal_iteratorINSA_10device_ptrItEEEEPS6_NSA_18transform_iteratorINSB_9not_fun_tI7is_trueItEEESF_NSA_11use_defaultESM_EENS0_5tupleIJSF_S6_EEENSO_IJSG_SG_EEES6_PlJS6_EEE10hipError_tPvRmT3_T4_T5_T6_T7_T9_mT8_P12ihipStream_tbDpT10_ENKUlT_T0_E_clISt17integral_constantIbLb1EES1A_IbLb0EEEEDaS16_S17_EUlS16_E_NS1_11comp_targetILNS1_3genE0ELNS1_11target_archE4294967295ELNS1_3gpuE0ELNS1_3repE0EEENS1_30default_config_static_selectorELNS0_4arch9wavefront6targetE0EEEvT1_.has_dyn_sized_stack, 0
	.set _ZN7rocprim17ROCPRIM_400000_NS6detail17trampoline_kernelINS0_14default_configENS1_25partition_config_selectorILNS1_17partition_subalgoE5EtNS0_10empty_typeEbEEZZNS1_14partition_implILS5_5ELb0ES3_mN6thrust23THRUST_200600_302600_NS6detail15normal_iteratorINSA_10device_ptrItEEEEPS6_NSA_18transform_iteratorINSB_9not_fun_tI7is_trueItEEESF_NSA_11use_defaultESM_EENS0_5tupleIJSF_S6_EEENSO_IJSG_SG_EEES6_PlJS6_EEE10hipError_tPvRmT3_T4_T5_T6_T7_T9_mT8_P12ihipStream_tbDpT10_ENKUlT_T0_E_clISt17integral_constantIbLb1EES1A_IbLb0EEEEDaS16_S17_EUlS16_E_NS1_11comp_targetILNS1_3genE0ELNS1_11target_archE4294967295ELNS1_3gpuE0ELNS1_3repE0EEENS1_30default_config_static_selectorELNS0_4arch9wavefront6targetE0EEEvT1_.has_recursion, 0
	.set _ZN7rocprim17ROCPRIM_400000_NS6detail17trampoline_kernelINS0_14default_configENS1_25partition_config_selectorILNS1_17partition_subalgoE5EtNS0_10empty_typeEbEEZZNS1_14partition_implILS5_5ELb0ES3_mN6thrust23THRUST_200600_302600_NS6detail15normal_iteratorINSA_10device_ptrItEEEEPS6_NSA_18transform_iteratorINSB_9not_fun_tI7is_trueItEEESF_NSA_11use_defaultESM_EENS0_5tupleIJSF_S6_EEENSO_IJSG_SG_EEES6_PlJS6_EEE10hipError_tPvRmT3_T4_T5_T6_T7_T9_mT8_P12ihipStream_tbDpT10_ENKUlT_T0_E_clISt17integral_constantIbLb1EES1A_IbLb0EEEEDaS16_S17_EUlS16_E_NS1_11comp_targetILNS1_3genE0ELNS1_11target_archE4294967295ELNS1_3gpuE0ELNS1_3repE0EEENS1_30default_config_static_selectorELNS0_4arch9wavefront6targetE0EEEvT1_.has_indirect_call, 0
	.section	.AMDGPU.csdata,"",@progbits
; Kernel info:
; codeLenInByte = 0
; TotalNumSgprs: 0
; NumVgprs: 0
; ScratchSize: 0
; MemoryBound: 0
; FloatMode: 240
; IeeeMode: 1
; LDSByteSize: 0 bytes/workgroup (compile time only)
; SGPRBlocks: 0
; VGPRBlocks: 0
; NumSGPRsForWavesPerEU: 1
; NumVGPRsForWavesPerEU: 1
; Occupancy: 16
; WaveLimiterHint : 0
; COMPUTE_PGM_RSRC2:SCRATCH_EN: 0
; COMPUTE_PGM_RSRC2:USER_SGPR: 2
; COMPUTE_PGM_RSRC2:TRAP_HANDLER: 0
; COMPUTE_PGM_RSRC2:TGID_X_EN: 1
; COMPUTE_PGM_RSRC2:TGID_Y_EN: 0
; COMPUTE_PGM_RSRC2:TGID_Z_EN: 0
; COMPUTE_PGM_RSRC2:TIDIG_COMP_CNT: 0
	.section	.text._ZN7rocprim17ROCPRIM_400000_NS6detail17trampoline_kernelINS0_14default_configENS1_25partition_config_selectorILNS1_17partition_subalgoE5EtNS0_10empty_typeEbEEZZNS1_14partition_implILS5_5ELb0ES3_mN6thrust23THRUST_200600_302600_NS6detail15normal_iteratorINSA_10device_ptrItEEEEPS6_NSA_18transform_iteratorINSB_9not_fun_tI7is_trueItEEESF_NSA_11use_defaultESM_EENS0_5tupleIJSF_S6_EEENSO_IJSG_SG_EEES6_PlJS6_EEE10hipError_tPvRmT3_T4_T5_T6_T7_T9_mT8_P12ihipStream_tbDpT10_ENKUlT_T0_E_clISt17integral_constantIbLb1EES1A_IbLb0EEEEDaS16_S17_EUlS16_E_NS1_11comp_targetILNS1_3genE5ELNS1_11target_archE942ELNS1_3gpuE9ELNS1_3repE0EEENS1_30default_config_static_selectorELNS0_4arch9wavefront6targetE0EEEvT1_,"axG",@progbits,_ZN7rocprim17ROCPRIM_400000_NS6detail17trampoline_kernelINS0_14default_configENS1_25partition_config_selectorILNS1_17partition_subalgoE5EtNS0_10empty_typeEbEEZZNS1_14partition_implILS5_5ELb0ES3_mN6thrust23THRUST_200600_302600_NS6detail15normal_iteratorINSA_10device_ptrItEEEEPS6_NSA_18transform_iteratorINSB_9not_fun_tI7is_trueItEEESF_NSA_11use_defaultESM_EENS0_5tupleIJSF_S6_EEENSO_IJSG_SG_EEES6_PlJS6_EEE10hipError_tPvRmT3_T4_T5_T6_T7_T9_mT8_P12ihipStream_tbDpT10_ENKUlT_T0_E_clISt17integral_constantIbLb1EES1A_IbLb0EEEEDaS16_S17_EUlS16_E_NS1_11comp_targetILNS1_3genE5ELNS1_11target_archE942ELNS1_3gpuE9ELNS1_3repE0EEENS1_30default_config_static_selectorELNS0_4arch9wavefront6targetE0EEEvT1_,comdat
	.protected	_ZN7rocprim17ROCPRIM_400000_NS6detail17trampoline_kernelINS0_14default_configENS1_25partition_config_selectorILNS1_17partition_subalgoE5EtNS0_10empty_typeEbEEZZNS1_14partition_implILS5_5ELb0ES3_mN6thrust23THRUST_200600_302600_NS6detail15normal_iteratorINSA_10device_ptrItEEEEPS6_NSA_18transform_iteratorINSB_9not_fun_tI7is_trueItEEESF_NSA_11use_defaultESM_EENS0_5tupleIJSF_S6_EEENSO_IJSG_SG_EEES6_PlJS6_EEE10hipError_tPvRmT3_T4_T5_T6_T7_T9_mT8_P12ihipStream_tbDpT10_ENKUlT_T0_E_clISt17integral_constantIbLb1EES1A_IbLb0EEEEDaS16_S17_EUlS16_E_NS1_11comp_targetILNS1_3genE5ELNS1_11target_archE942ELNS1_3gpuE9ELNS1_3repE0EEENS1_30default_config_static_selectorELNS0_4arch9wavefront6targetE0EEEvT1_ ; -- Begin function _ZN7rocprim17ROCPRIM_400000_NS6detail17trampoline_kernelINS0_14default_configENS1_25partition_config_selectorILNS1_17partition_subalgoE5EtNS0_10empty_typeEbEEZZNS1_14partition_implILS5_5ELb0ES3_mN6thrust23THRUST_200600_302600_NS6detail15normal_iteratorINSA_10device_ptrItEEEEPS6_NSA_18transform_iteratorINSB_9not_fun_tI7is_trueItEEESF_NSA_11use_defaultESM_EENS0_5tupleIJSF_S6_EEENSO_IJSG_SG_EEES6_PlJS6_EEE10hipError_tPvRmT3_T4_T5_T6_T7_T9_mT8_P12ihipStream_tbDpT10_ENKUlT_T0_E_clISt17integral_constantIbLb1EES1A_IbLb0EEEEDaS16_S17_EUlS16_E_NS1_11comp_targetILNS1_3genE5ELNS1_11target_archE942ELNS1_3gpuE9ELNS1_3repE0EEENS1_30default_config_static_selectorELNS0_4arch9wavefront6targetE0EEEvT1_
	.globl	_ZN7rocprim17ROCPRIM_400000_NS6detail17trampoline_kernelINS0_14default_configENS1_25partition_config_selectorILNS1_17partition_subalgoE5EtNS0_10empty_typeEbEEZZNS1_14partition_implILS5_5ELb0ES3_mN6thrust23THRUST_200600_302600_NS6detail15normal_iteratorINSA_10device_ptrItEEEEPS6_NSA_18transform_iteratorINSB_9not_fun_tI7is_trueItEEESF_NSA_11use_defaultESM_EENS0_5tupleIJSF_S6_EEENSO_IJSG_SG_EEES6_PlJS6_EEE10hipError_tPvRmT3_T4_T5_T6_T7_T9_mT8_P12ihipStream_tbDpT10_ENKUlT_T0_E_clISt17integral_constantIbLb1EES1A_IbLb0EEEEDaS16_S17_EUlS16_E_NS1_11comp_targetILNS1_3genE5ELNS1_11target_archE942ELNS1_3gpuE9ELNS1_3repE0EEENS1_30default_config_static_selectorELNS0_4arch9wavefront6targetE0EEEvT1_
	.p2align	8
	.type	_ZN7rocprim17ROCPRIM_400000_NS6detail17trampoline_kernelINS0_14default_configENS1_25partition_config_selectorILNS1_17partition_subalgoE5EtNS0_10empty_typeEbEEZZNS1_14partition_implILS5_5ELb0ES3_mN6thrust23THRUST_200600_302600_NS6detail15normal_iteratorINSA_10device_ptrItEEEEPS6_NSA_18transform_iteratorINSB_9not_fun_tI7is_trueItEEESF_NSA_11use_defaultESM_EENS0_5tupleIJSF_S6_EEENSO_IJSG_SG_EEES6_PlJS6_EEE10hipError_tPvRmT3_T4_T5_T6_T7_T9_mT8_P12ihipStream_tbDpT10_ENKUlT_T0_E_clISt17integral_constantIbLb1EES1A_IbLb0EEEEDaS16_S17_EUlS16_E_NS1_11comp_targetILNS1_3genE5ELNS1_11target_archE942ELNS1_3gpuE9ELNS1_3repE0EEENS1_30default_config_static_selectorELNS0_4arch9wavefront6targetE0EEEvT1_,@function
_ZN7rocprim17ROCPRIM_400000_NS6detail17trampoline_kernelINS0_14default_configENS1_25partition_config_selectorILNS1_17partition_subalgoE5EtNS0_10empty_typeEbEEZZNS1_14partition_implILS5_5ELb0ES3_mN6thrust23THRUST_200600_302600_NS6detail15normal_iteratorINSA_10device_ptrItEEEEPS6_NSA_18transform_iteratorINSB_9not_fun_tI7is_trueItEEESF_NSA_11use_defaultESM_EENS0_5tupleIJSF_S6_EEENSO_IJSG_SG_EEES6_PlJS6_EEE10hipError_tPvRmT3_T4_T5_T6_T7_T9_mT8_P12ihipStream_tbDpT10_ENKUlT_T0_E_clISt17integral_constantIbLb1EES1A_IbLb0EEEEDaS16_S17_EUlS16_E_NS1_11comp_targetILNS1_3genE5ELNS1_11target_archE942ELNS1_3gpuE9ELNS1_3repE0EEENS1_30default_config_static_selectorELNS0_4arch9wavefront6targetE0EEEvT1_: ; @_ZN7rocprim17ROCPRIM_400000_NS6detail17trampoline_kernelINS0_14default_configENS1_25partition_config_selectorILNS1_17partition_subalgoE5EtNS0_10empty_typeEbEEZZNS1_14partition_implILS5_5ELb0ES3_mN6thrust23THRUST_200600_302600_NS6detail15normal_iteratorINSA_10device_ptrItEEEEPS6_NSA_18transform_iteratorINSB_9not_fun_tI7is_trueItEEESF_NSA_11use_defaultESM_EENS0_5tupleIJSF_S6_EEENSO_IJSG_SG_EEES6_PlJS6_EEE10hipError_tPvRmT3_T4_T5_T6_T7_T9_mT8_P12ihipStream_tbDpT10_ENKUlT_T0_E_clISt17integral_constantIbLb1EES1A_IbLb0EEEEDaS16_S17_EUlS16_E_NS1_11comp_targetILNS1_3genE5ELNS1_11target_archE942ELNS1_3gpuE9ELNS1_3repE0EEENS1_30default_config_static_selectorELNS0_4arch9wavefront6targetE0EEEvT1_
; %bb.0:
	.section	.rodata,"a",@progbits
	.p2align	6, 0x0
	.amdhsa_kernel _ZN7rocprim17ROCPRIM_400000_NS6detail17trampoline_kernelINS0_14default_configENS1_25partition_config_selectorILNS1_17partition_subalgoE5EtNS0_10empty_typeEbEEZZNS1_14partition_implILS5_5ELb0ES3_mN6thrust23THRUST_200600_302600_NS6detail15normal_iteratorINSA_10device_ptrItEEEEPS6_NSA_18transform_iteratorINSB_9not_fun_tI7is_trueItEEESF_NSA_11use_defaultESM_EENS0_5tupleIJSF_S6_EEENSO_IJSG_SG_EEES6_PlJS6_EEE10hipError_tPvRmT3_T4_T5_T6_T7_T9_mT8_P12ihipStream_tbDpT10_ENKUlT_T0_E_clISt17integral_constantIbLb1EES1A_IbLb0EEEEDaS16_S17_EUlS16_E_NS1_11comp_targetILNS1_3genE5ELNS1_11target_archE942ELNS1_3gpuE9ELNS1_3repE0EEENS1_30default_config_static_selectorELNS0_4arch9wavefront6targetE0EEEvT1_
		.amdhsa_group_segment_fixed_size 0
		.amdhsa_private_segment_fixed_size 0
		.amdhsa_kernarg_size 120
		.amdhsa_user_sgpr_count 2
		.amdhsa_user_sgpr_dispatch_ptr 0
		.amdhsa_user_sgpr_queue_ptr 0
		.amdhsa_user_sgpr_kernarg_segment_ptr 1
		.amdhsa_user_sgpr_dispatch_id 0
		.amdhsa_user_sgpr_private_segment_size 0
		.amdhsa_wavefront_size32 1
		.amdhsa_uses_dynamic_stack 0
		.amdhsa_enable_private_segment 0
		.amdhsa_system_sgpr_workgroup_id_x 1
		.amdhsa_system_sgpr_workgroup_id_y 0
		.amdhsa_system_sgpr_workgroup_id_z 0
		.amdhsa_system_sgpr_workgroup_info 0
		.amdhsa_system_vgpr_workitem_id 0
		.amdhsa_next_free_vgpr 1
		.amdhsa_next_free_sgpr 1
		.amdhsa_reserve_vcc 0
		.amdhsa_float_round_mode_32 0
		.amdhsa_float_round_mode_16_64 0
		.amdhsa_float_denorm_mode_32 3
		.amdhsa_float_denorm_mode_16_64 3
		.amdhsa_fp16_overflow 0
		.amdhsa_workgroup_processor_mode 1
		.amdhsa_memory_ordered 1
		.amdhsa_forward_progress 1
		.amdhsa_inst_pref_size 0
		.amdhsa_round_robin_scheduling 0
		.amdhsa_exception_fp_ieee_invalid_op 0
		.amdhsa_exception_fp_denorm_src 0
		.amdhsa_exception_fp_ieee_div_zero 0
		.amdhsa_exception_fp_ieee_overflow 0
		.amdhsa_exception_fp_ieee_underflow 0
		.amdhsa_exception_fp_ieee_inexact 0
		.amdhsa_exception_int_div_zero 0
	.end_amdhsa_kernel
	.section	.text._ZN7rocprim17ROCPRIM_400000_NS6detail17trampoline_kernelINS0_14default_configENS1_25partition_config_selectorILNS1_17partition_subalgoE5EtNS0_10empty_typeEbEEZZNS1_14partition_implILS5_5ELb0ES3_mN6thrust23THRUST_200600_302600_NS6detail15normal_iteratorINSA_10device_ptrItEEEEPS6_NSA_18transform_iteratorINSB_9not_fun_tI7is_trueItEEESF_NSA_11use_defaultESM_EENS0_5tupleIJSF_S6_EEENSO_IJSG_SG_EEES6_PlJS6_EEE10hipError_tPvRmT3_T4_T5_T6_T7_T9_mT8_P12ihipStream_tbDpT10_ENKUlT_T0_E_clISt17integral_constantIbLb1EES1A_IbLb0EEEEDaS16_S17_EUlS16_E_NS1_11comp_targetILNS1_3genE5ELNS1_11target_archE942ELNS1_3gpuE9ELNS1_3repE0EEENS1_30default_config_static_selectorELNS0_4arch9wavefront6targetE0EEEvT1_,"axG",@progbits,_ZN7rocprim17ROCPRIM_400000_NS6detail17trampoline_kernelINS0_14default_configENS1_25partition_config_selectorILNS1_17partition_subalgoE5EtNS0_10empty_typeEbEEZZNS1_14partition_implILS5_5ELb0ES3_mN6thrust23THRUST_200600_302600_NS6detail15normal_iteratorINSA_10device_ptrItEEEEPS6_NSA_18transform_iteratorINSB_9not_fun_tI7is_trueItEEESF_NSA_11use_defaultESM_EENS0_5tupleIJSF_S6_EEENSO_IJSG_SG_EEES6_PlJS6_EEE10hipError_tPvRmT3_T4_T5_T6_T7_T9_mT8_P12ihipStream_tbDpT10_ENKUlT_T0_E_clISt17integral_constantIbLb1EES1A_IbLb0EEEEDaS16_S17_EUlS16_E_NS1_11comp_targetILNS1_3genE5ELNS1_11target_archE942ELNS1_3gpuE9ELNS1_3repE0EEENS1_30default_config_static_selectorELNS0_4arch9wavefront6targetE0EEEvT1_,comdat
.Lfunc_end1451:
	.size	_ZN7rocprim17ROCPRIM_400000_NS6detail17trampoline_kernelINS0_14default_configENS1_25partition_config_selectorILNS1_17partition_subalgoE5EtNS0_10empty_typeEbEEZZNS1_14partition_implILS5_5ELb0ES3_mN6thrust23THRUST_200600_302600_NS6detail15normal_iteratorINSA_10device_ptrItEEEEPS6_NSA_18transform_iteratorINSB_9not_fun_tI7is_trueItEEESF_NSA_11use_defaultESM_EENS0_5tupleIJSF_S6_EEENSO_IJSG_SG_EEES6_PlJS6_EEE10hipError_tPvRmT3_T4_T5_T6_T7_T9_mT8_P12ihipStream_tbDpT10_ENKUlT_T0_E_clISt17integral_constantIbLb1EES1A_IbLb0EEEEDaS16_S17_EUlS16_E_NS1_11comp_targetILNS1_3genE5ELNS1_11target_archE942ELNS1_3gpuE9ELNS1_3repE0EEENS1_30default_config_static_selectorELNS0_4arch9wavefront6targetE0EEEvT1_, .Lfunc_end1451-_ZN7rocprim17ROCPRIM_400000_NS6detail17trampoline_kernelINS0_14default_configENS1_25partition_config_selectorILNS1_17partition_subalgoE5EtNS0_10empty_typeEbEEZZNS1_14partition_implILS5_5ELb0ES3_mN6thrust23THRUST_200600_302600_NS6detail15normal_iteratorINSA_10device_ptrItEEEEPS6_NSA_18transform_iteratorINSB_9not_fun_tI7is_trueItEEESF_NSA_11use_defaultESM_EENS0_5tupleIJSF_S6_EEENSO_IJSG_SG_EEES6_PlJS6_EEE10hipError_tPvRmT3_T4_T5_T6_T7_T9_mT8_P12ihipStream_tbDpT10_ENKUlT_T0_E_clISt17integral_constantIbLb1EES1A_IbLb0EEEEDaS16_S17_EUlS16_E_NS1_11comp_targetILNS1_3genE5ELNS1_11target_archE942ELNS1_3gpuE9ELNS1_3repE0EEENS1_30default_config_static_selectorELNS0_4arch9wavefront6targetE0EEEvT1_
                                        ; -- End function
	.set _ZN7rocprim17ROCPRIM_400000_NS6detail17trampoline_kernelINS0_14default_configENS1_25partition_config_selectorILNS1_17partition_subalgoE5EtNS0_10empty_typeEbEEZZNS1_14partition_implILS5_5ELb0ES3_mN6thrust23THRUST_200600_302600_NS6detail15normal_iteratorINSA_10device_ptrItEEEEPS6_NSA_18transform_iteratorINSB_9not_fun_tI7is_trueItEEESF_NSA_11use_defaultESM_EENS0_5tupleIJSF_S6_EEENSO_IJSG_SG_EEES6_PlJS6_EEE10hipError_tPvRmT3_T4_T5_T6_T7_T9_mT8_P12ihipStream_tbDpT10_ENKUlT_T0_E_clISt17integral_constantIbLb1EES1A_IbLb0EEEEDaS16_S17_EUlS16_E_NS1_11comp_targetILNS1_3genE5ELNS1_11target_archE942ELNS1_3gpuE9ELNS1_3repE0EEENS1_30default_config_static_selectorELNS0_4arch9wavefront6targetE0EEEvT1_.num_vgpr, 0
	.set _ZN7rocprim17ROCPRIM_400000_NS6detail17trampoline_kernelINS0_14default_configENS1_25partition_config_selectorILNS1_17partition_subalgoE5EtNS0_10empty_typeEbEEZZNS1_14partition_implILS5_5ELb0ES3_mN6thrust23THRUST_200600_302600_NS6detail15normal_iteratorINSA_10device_ptrItEEEEPS6_NSA_18transform_iteratorINSB_9not_fun_tI7is_trueItEEESF_NSA_11use_defaultESM_EENS0_5tupleIJSF_S6_EEENSO_IJSG_SG_EEES6_PlJS6_EEE10hipError_tPvRmT3_T4_T5_T6_T7_T9_mT8_P12ihipStream_tbDpT10_ENKUlT_T0_E_clISt17integral_constantIbLb1EES1A_IbLb0EEEEDaS16_S17_EUlS16_E_NS1_11comp_targetILNS1_3genE5ELNS1_11target_archE942ELNS1_3gpuE9ELNS1_3repE0EEENS1_30default_config_static_selectorELNS0_4arch9wavefront6targetE0EEEvT1_.num_agpr, 0
	.set _ZN7rocprim17ROCPRIM_400000_NS6detail17trampoline_kernelINS0_14default_configENS1_25partition_config_selectorILNS1_17partition_subalgoE5EtNS0_10empty_typeEbEEZZNS1_14partition_implILS5_5ELb0ES3_mN6thrust23THRUST_200600_302600_NS6detail15normal_iteratorINSA_10device_ptrItEEEEPS6_NSA_18transform_iteratorINSB_9not_fun_tI7is_trueItEEESF_NSA_11use_defaultESM_EENS0_5tupleIJSF_S6_EEENSO_IJSG_SG_EEES6_PlJS6_EEE10hipError_tPvRmT3_T4_T5_T6_T7_T9_mT8_P12ihipStream_tbDpT10_ENKUlT_T0_E_clISt17integral_constantIbLb1EES1A_IbLb0EEEEDaS16_S17_EUlS16_E_NS1_11comp_targetILNS1_3genE5ELNS1_11target_archE942ELNS1_3gpuE9ELNS1_3repE0EEENS1_30default_config_static_selectorELNS0_4arch9wavefront6targetE0EEEvT1_.numbered_sgpr, 0
	.set _ZN7rocprim17ROCPRIM_400000_NS6detail17trampoline_kernelINS0_14default_configENS1_25partition_config_selectorILNS1_17partition_subalgoE5EtNS0_10empty_typeEbEEZZNS1_14partition_implILS5_5ELb0ES3_mN6thrust23THRUST_200600_302600_NS6detail15normal_iteratorINSA_10device_ptrItEEEEPS6_NSA_18transform_iteratorINSB_9not_fun_tI7is_trueItEEESF_NSA_11use_defaultESM_EENS0_5tupleIJSF_S6_EEENSO_IJSG_SG_EEES6_PlJS6_EEE10hipError_tPvRmT3_T4_T5_T6_T7_T9_mT8_P12ihipStream_tbDpT10_ENKUlT_T0_E_clISt17integral_constantIbLb1EES1A_IbLb0EEEEDaS16_S17_EUlS16_E_NS1_11comp_targetILNS1_3genE5ELNS1_11target_archE942ELNS1_3gpuE9ELNS1_3repE0EEENS1_30default_config_static_selectorELNS0_4arch9wavefront6targetE0EEEvT1_.num_named_barrier, 0
	.set _ZN7rocprim17ROCPRIM_400000_NS6detail17trampoline_kernelINS0_14default_configENS1_25partition_config_selectorILNS1_17partition_subalgoE5EtNS0_10empty_typeEbEEZZNS1_14partition_implILS5_5ELb0ES3_mN6thrust23THRUST_200600_302600_NS6detail15normal_iteratorINSA_10device_ptrItEEEEPS6_NSA_18transform_iteratorINSB_9not_fun_tI7is_trueItEEESF_NSA_11use_defaultESM_EENS0_5tupleIJSF_S6_EEENSO_IJSG_SG_EEES6_PlJS6_EEE10hipError_tPvRmT3_T4_T5_T6_T7_T9_mT8_P12ihipStream_tbDpT10_ENKUlT_T0_E_clISt17integral_constantIbLb1EES1A_IbLb0EEEEDaS16_S17_EUlS16_E_NS1_11comp_targetILNS1_3genE5ELNS1_11target_archE942ELNS1_3gpuE9ELNS1_3repE0EEENS1_30default_config_static_selectorELNS0_4arch9wavefront6targetE0EEEvT1_.private_seg_size, 0
	.set _ZN7rocprim17ROCPRIM_400000_NS6detail17trampoline_kernelINS0_14default_configENS1_25partition_config_selectorILNS1_17partition_subalgoE5EtNS0_10empty_typeEbEEZZNS1_14partition_implILS5_5ELb0ES3_mN6thrust23THRUST_200600_302600_NS6detail15normal_iteratorINSA_10device_ptrItEEEEPS6_NSA_18transform_iteratorINSB_9not_fun_tI7is_trueItEEESF_NSA_11use_defaultESM_EENS0_5tupleIJSF_S6_EEENSO_IJSG_SG_EEES6_PlJS6_EEE10hipError_tPvRmT3_T4_T5_T6_T7_T9_mT8_P12ihipStream_tbDpT10_ENKUlT_T0_E_clISt17integral_constantIbLb1EES1A_IbLb0EEEEDaS16_S17_EUlS16_E_NS1_11comp_targetILNS1_3genE5ELNS1_11target_archE942ELNS1_3gpuE9ELNS1_3repE0EEENS1_30default_config_static_selectorELNS0_4arch9wavefront6targetE0EEEvT1_.uses_vcc, 0
	.set _ZN7rocprim17ROCPRIM_400000_NS6detail17trampoline_kernelINS0_14default_configENS1_25partition_config_selectorILNS1_17partition_subalgoE5EtNS0_10empty_typeEbEEZZNS1_14partition_implILS5_5ELb0ES3_mN6thrust23THRUST_200600_302600_NS6detail15normal_iteratorINSA_10device_ptrItEEEEPS6_NSA_18transform_iteratorINSB_9not_fun_tI7is_trueItEEESF_NSA_11use_defaultESM_EENS0_5tupleIJSF_S6_EEENSO_IJSG_SG_EEES6_PlJS6_EEE10hipError_tPvRmT3_T4_T5_T6_T7_T9_mT8_P12ihipStream_tbDpT10_ENKUlT_T0_E_clISt17integral_constantIbLb1EES1A_IbLb0EEEEDaS16_S17_EUlS16_E_NS1_11comp_targetILNS1_3genE5ELNS1_11target_archE942ELNS1_3gpuE9ELNS1_3repE0EEENS1_30default_config_static_selectorELNS0_4arch9wavefront6targetE0EEEvT1_.uses_flat_scratch, 0
	.set _ZN7rocprim17ROCPRIM_400000_NS6detail17trampoline_kernelINS0_14default_configENS1_25partition_config_selectorILNS1_17partition_subalgoE5EtNS0_10empty_typeEbEEZZNS1_14partition_implILS5_5ELb0ES3_mN6thrust23THRUST_200600_302600_NS6detail15normal_iteratorINSA_10device_ptrItEEEEPS6_NSA_18transform_iteratorINSB_9not_fun_tI7is_trueItEEESF_NSA_11use_defaultESM_EENS0_5tupleIJSF_S6_EEENSO_IJSG_SG_EEES6_PlJS6_EEE10hipError_tPvRmT3_T4_T5_T6_T7_T9_mT8_P12ihipStream_tbDpT10_ENKUlT_T0_E_clISt17integral_constantIbLb1EES1A_IbLb0EEEEDaS16_S17_EUlS16_E_NS1_11comp_targetILNS1_3genE5ELNS1_11target_archE942ELNS1_3gpuE9ELNS1_3repE0EEENS1_30default_config_static_selectorELNS0_4arch9wavefront6targetE0EEEvT1_.has_dyn_sized_stack, 0
	.set _ZN7rocprim17ROCPRIM_400000_NS6detail17trampoline_kernelINS0_14default_configENS1_25partition_config_selectorILNS1_17partition_subalgoE5EtNS0_10empty_typeEbEEZZNS1_14partition_implILS5_5ELb0ES3_mN6thrust23THRUST_200600_302600_NS6detail15normal_iteratorINSA_10device_ptrItEEEEPS6_NSA_18transform_iteratorINSB_9not_fun_tI7is_trueItEEESF_NSA_11use_defaultESM_EENS0_5tupleIJSF_S6_EEENSO_IJSG_SG_EEES6_PlJS6_EEE10hipError_tPvRmT3_T4_T5_T6_T7_T9_mT8_P12ihipStream_tbDpT10_ENKUlT_T0_E_clISt17integral_constantIbLb1EES1A_IbLb0EEEEDaS16_S17_EUlS16_E_NS1_11comp_targetILNS1_3genE5ELNS1_11target_archE942ELNS1_3gpuE9ELNS1_3repE0EEENS1_30default_config_static_selectorELNS0_4arch9wavefront6targetE0EEEvT1_.has_recursion, 0
	.set _ZN7rocprim17ROCPRIM_400000_NS6detail17trampoline_kernelINS0_14default_configENS1_25partition_config_selectorILNS1_17partition_subalgoE5EtNS0_10empty_typeEbEEZZNS1_14partition_implILS5_5ELb0ES3_mN6thrust23THRUST_200600_302600_NS6detail15normal_iteratorINSA_10device_ptrItEEEEPS6_NSA_18transform_iteratorINSB_9not_fun_tI7is_trueItEEESF_NSA_11use_defaultESM_EENS0_5tupleIJSF_S6_EEENSO_IJSG_SG_EEES6_PlJS6_EEE10hipError_tPvRmT3_T4_T5_T6_T7_T9_mT8_P12ihipStream_tbDpT10_ENKUlT_T0_E_clISt17integral_constantIbLb1EES1A_IbLb0EEEEDaS16_S17_EUlS16_E_NS1_11comp_targetILNS1_3genE5ELNS1_11target_archE942ELNS1_3gpuE9ELNS1_3repE0EEENS1_30default_config_static_selectorELNS0_4arch9wavefront6targetE0EEEvT1_.has_indirect_call, 0
	.section	.AMDGPU.csdata,"",@progbits
; Kernel info:
; codeLenInByte = 0
; TotalNumSgprs: 0
; NumVgprs: 0
; ScratchSize: 0
; MemoryBound: 0
; FloatMode: 240
; IeeeMode: 1
; LDSByteSize: 0 bytes/workgroup (compile time only)
; SGPRBlocks: 0
; VGPRBlocks: 0
; NumSGPRsForWavesPerEU: 1
; NumVGPRsForWavesPerEU: 1
; Occupancy: 16
; WaveLimiterHint : 0
; COMPUTE_PGM_RSRC2:SCRATCH_EN: 0
; COMPUTE_PGM_RSRC2:USER_SGPR: 2
; COMPUTE_PGM_RSRC2:TRAP_HANDLER: 0
; COMPUTE_PGM_RSRC2:TGID_X_EN: 1
; COMPUTE_PGM_RSRC2:TGID_Y_EN: 0
; COMPUTE_PGM_RSRC2:TGID_Z_EN: 0
; COMPUTE_PGM_RSRC2:TIDIG_COMP_CNT: 0
	.section	.text._ZN7rocprim17ROCPRIM_400000_NS6detail17trampoline_kernelINS0_14default_configENS1_25partition_config_selectorILNS1_17partition_subalgoE5EtNS0_10empty_typeEbEEZZNS1_14partition_implILS5_5ELb0ES3_mN6thrust23THRUST_200600_302600_NS6detail15normal_iteratorINSA_10device_ptrItEEEEPS6_NSA_18transform_iteratorINSB_9not_fun_tI7is_trueItEEESF_NSA_11use_defaultESM_EENS0_5tupleIJSF_S6_EEENSO_IJSG_SG_EEES6_PlJS6_EEE10hipError_tPvRmT3_T4_T5_T6_T7_T9_mT8_P12ihipStream_tbDpT10_ENKUlT_T0_E_clISt17integral_constantIbLb1EES1A_IbLb0EEEEDaS16_S17_EUlS16_E_NS1_11comp_targetILNS1_3genE4ELNS1_11target_archE910ELNS1_3gpuE8ELNS1_3repE0EEENS1_30default_config_static_selectorELNS0_4arch9wavefront6targetE0EEEvT1_,"axG",@progbits,_ZN7rocprim17ROCPRIM_400000_NS6detail17trampoline_kernelINS0_14default_configENS1_25partition_config_selectorILNS1_17partition_subalgoE5EtNS0_10empty_typeEbEEZZNS1_14partition_implILS5_5ELb0ES3_mN6thrust23THRUST_200600_302600_NS6detail15normal_iteratorINSA_10device_ptrItEEEEPS6_NSA_18transform_iteratorINSB_9not_fun_tI7is_trueItEEESF_NSA_11use_defaultESM_EENS0_5tupleIJSF_S6_EEENSO_IJSG_SG_EEES6_PlJS6_EEE10hipError_tPvRmT3_T4_T5_T6_T7_T9_mT8_P12ihipStream_tbDpT10_ENKUlT_T0_E_clISt17integral_constantIbLb1EES1A_IbLb0EEEEDaS16_S17_EUlS16_E_NS1_11comp_targetILNS1_3genE4ELNS1_11target_archE910ELNS1_3gpuE8ELNS1_3repE0EEENS1_30default_config_static_selectorELNS0_4arch9wavefront6targetE0EEEvT1_,comdat
	.protected	_ZN7rocprim17ROCPRIM_400000_NS6detail17trampoline_kernelINS0_14default_configENS1_25partition_config_selectorILNS1_17partition_subalgoE5EtNS0_10empty_typeEbEEZZNS1_14partition_implILS5_5ELb0ES3_mN6thrust23THRUST_200600_302600_NS6detail15normal_iteratorINSA_10device_ptrItEEEEPS6_NSA_18transform_iteratorINSB_9not_fun_tI7is_trueItEEESF_NSA_11use_defaultESM_EENS0_5tupleIJSF_S6_EEENSO_IJSG_SG_EEES6_PlJS6_EEE10hipError_tPvRmT3_T4_T5_T6_T7_T9_mT8_P12ihipStream_tbDpT10_ENKUlT_T0_E_clISt17integral_constantIbLb1EES1A_IbLb0EEEEDaS16_S17_EUlS16_E_NS1_11comp_targetILNS1_3genE4ELNS1_11target_archE910ELNS1_3gpuE8ELNS1_3repE0EEENS1_30default_config_static_selectorELNS0_4arch9wavefront6targetE0EEEvT1_ ; -- Begin function _ZN7rocprim17ROCPRIM_400000_NS6detail17trampoline_kernelINS0_14default_configENS1_25partition_config_selectorILNS1_17partition_subalgoE5EtNS0_10empty_typeEbEEZZNS1_14partition_implILS5_5ELb0ES3_mN6thrust23THRUST_200600_302600_NS6detail15normal_iteratorINSA_10device_ptrItEEEEPS6_NSA_18transform_iteratorINSB_9not_fun_tI7is_trueItEEESF_NSA_11use_defaultESM_EENS0_5tupleIJSF_S6_EEENSO_IJSG_SG_EEES6_PlJS6_EEE10hipError_tPvRmT3_T4_T5_T6_T7_T9_mT8_P12ihipStream_tbDpT10_ENKUlT_T0_E_clISt17integral_constantIbLb1EES1A_IbLb0EEEEDaS16_S17_EUlS16_E_NS1_11comp_targetILNS1_3genE4ELNS1_11target_archE910ELNS1_3gpuE8ELNS1_3repE0EEENS1_30default_config_static_selectorELNS0_4arch9wavefront6targetE0EEEvT1_
	.globl	_ZN7rocprim17ROCPRIM_400000_NS6detail17trampoline_kernelINS0_14default_configENS1_25partition_config_selectorILNS1_17partition_subalgoE5EtNS0_10empty_typeEbEEZZNS1_14partition_implILS5_5ELb0ES3_mN6thrust23THRUST_200600_302600_NS6detail15normal_iteratorINSA_10device_ptrItEEEEPS6_NSA_18transform_iteratorINSB_9not_fun_tI7is_trueItEEESF_NSA_11use_defaultESM_EENS0_5tupleIJSF_S6_EEENSO_IJSG_SG_EEES6_PlJS6_EEE10hipError_tPvRmT3_T4_T5_T6_T7_T9_mT8_P12ihipStream_tbDpT10_ENKUlT_T0_E_clISt17integral_constantIbLb1EES1A_IbLb0EEEEDaS16_S17_EUlS16_E_NS1_11comp_targetILNS1_3genE4ELNS1_11target_archE910ELNS1_3gpuE8ELNS1_3repE0EEENS1_30default_config_static_selectorELNS0_4arch9wavefront6targetE0EEEvT1_
	.p2align	8
	.type	_ZN7rocprim17ROCPRIM_400000_NS6detail17trampoline_kernelINS0_14default_configENS1_25partition_config_selectorILNS1_17partition_subalgoE5EtNS0_10empty_typeEbEEZZNS1_14partition_implILS5_5ELb0ES3_mN6thrust23THRUST_200600_302600_NS6detail15normal_iteratorINSA_10device_ptrItEEEEPS6_NSA_18transform_iteratorINSB_9not_fun_tI7is_trueItEEESF_NSA_11use_defaultESM_EENS0_5tupleIJSF_S6_EEENSO_IJSG_SG_EEES6_PlJS6_EEE10hipError_tPvRmT3_T4_T5_T6_T7_T9_mT8_P12ihipStream_tbDpT10_ENKUlT_T0_E_clISt17integral_constantIbLb1EES1A_IbLb0EEEEDaS16_S17_EUlS16_E_NS1_11comp_targetILNS1_3genE4ELNS1_11target_archE910ELNS1_3gpuE8ELNS1_3repE0EEENS1_30default_config_static_selectorELNS0_4arch9wavefront6targetE0EEEvT1_,@function
_ZN7rocprim17ROCPRIM_400000_NS6detail17trampoline_kernelINS0_14default_configENS1_25partition_config_selectorILNS1_17partition_subalgoE5EtNS0_10empty_typeEbEEZZNS1_14partition_implILS5_5ELb0ES3_mN6thrust23THRUST_200600_302600_NS6detail15normal_iteratorINSA_10device_ptrItEEEEPS6_NSA_18transform_iteratorINSB_9not_fun_tI7is_trueItEEESF_NSA_11use_defaultESM_EENS0_5tupleIJSF_S6_EEENSO_IJSG_SG_EEES6_PlJS6_EEE10hipError_tPvRmT3_T4_T5_T6_T7_T9_mT8_P12ihipStream_tbDpT10_ENKUlT_T0_E_clISt17integral_constantIbLb1EES1A_IbLb0EEEEDaS16_S17_EUlS16_E_NS1_11comp_targetILNS1_3genE4ELNS1_11target_archE910ELNS1_3gpuE8ELNS1_3repE0EEENS1_30default_config_static_selectorELNS0_4arch9wavefront6targetE0EEEvT1_: ; @_ZN7rocprim17ROCPRIM_400000_NS6detail17trampoline_kernelINS0_14default_configENS1_25partition_config_selectorILNS1_17partition_subalgoE5EtNS0_10empty_typeEbEEZZNS1_14partition_implILS5_5ELb0ES3_mN6thrust23THRUST_200600_302600_NS6detail15normal_iteratorINSA_10device_ptrItEEEEPS6_NSA_18transform_iteratorINSB_9not_fun_tI7is_trueItEEESF_NSA_11use_defaultESM_EENS0_5tupleIJSF_S6_EEENSO_IJSG_SG_EEES6_PlJS6_EEE10hipError_tPvRmT3_T4_T5_T6_T7_T9_mT8_P12ihipStream_tbDpT10_ENKUlT_T0_E_clISt17integral_constantIbLb1EES1A_IbLb0EEEEDaS16_S17_EUlS16_E_NS1_11comp_targetILNS1_3genE4ELNS1_11target_archE910ELNS1_3gpuE8ELNS1_3repE0EEENS1_30default_config_static_selectorELNS0_4arch9wavefront6targetE0EEEvT1_
; %bb.0:
	.section	.rodata,"a",@progbits
	.p2align	6, 0x0
	.amdhsa_kernel _ZN7rocprim17ROCPRIM_400000_NS6detail17trampoline_kernelINS0_14default_configENS1_25partition_config_selectorILNS1_17partition_subalgoE5EtNS0_10empty_typeEbEEZZNS1_14partition_implILS5_5ELb0ES3_mN6thrust23THRUST_200600_302600_NS6detail15normal_iteratorINSA_10device_ptrItEEEEPS6_NSA_18transform_iteratorINSB_9not_fun_tI7is_trueItEEESF_NSA_11use_defaultESM_EENS0_5tupleIJSF_S6_EEENSO_IJSG_SG_EEES6_PlJS6_EEE10hipError_tPvRmT3_T4_T5_T6_T7_T9_mT8_P12ihipStream_tbDpT10_ENKUlT_T0_E_clISt17integral_constantIbLb1EES1A_IbLb0EEEEDaS16_S17_EUlS16_E_NS1_11comp_targetILNS1_3genE4ELNS1_11target_archE910ELNS1_3gpuE8ELNS1_3repE0EEENS1_30default_config_static_selectorELNS0_4arch9wavefront6targetE0EEEvT1_
		.amdhsa_group_segment_fixed_size 0
		.amdhsa_private_segment_fixed_size 0
		.amdhsa_kernarg_size 120
		.amdhsa_user_sgpr_count 2
		.amdhsa_user_sgpr_dispatch_ptr 0
		.amdhsa_user_sgpr_queue_ptr 0
		.amdhsa_user_sgpr_kernarg_segment_ptr 1
		.amdhsa_user_sgpr_dispatch_id 0
		.amdhsa_user_sgpr_private_segment_size 0
		.amdhsa_wavefront_size32 1
		.amdhsa_uses_dynamic_stack 0
		.amdhsa_enable_private_segment 0
		.amdhsa_system_sgpr_workgroup_id_x 1
		.amdhsa_system_sgpr_workgroup_id_y 0
		.amdhsa_system_sgpr_workgroup_id_z 0
		.amdhsa_system_sgpr_workgroup_info 0
		.amdhsa_system_vgpr_workitem_id 0
		.amdhsa_next_free_vgpr 1
		.amdhsa_next_free_sgpr 1
		.amdhsa_reserve_vcc 0
		.amdhsa_float_round_mode_32 0
		.amdhsa_float_round_mode_16_64 0
		.amdhsa_float_denorm_mode_32 3
		.amdhsa_float_denorm_mode_16_64 3
		.amdhsa_fp16_overflow 0
		.amdhsa_workgroup_processor_mode 1
		.amdhsa_memory_ordered 1
		.amdhsa_forward_progress 1
		.amdhsa_inst_pref_size 0
		.amdhsa_round_robin_scheduling 0
		.amdhsa_exception_fp_ieee_invalid_op 0
		.amdhsa_exception_fp_denorm_src 0
		.amdhsa_exception_fp_ieee_div_zero 0
		.amdhsa_exception_fp_ieee_overflow 0
		.amdhsa_exception_fp_ieee_underflow 0
		.amdhsa_exception_fp_ieee_inexact 0
		.amdhsa_exception_int_div_zero 0
	.end_amdhsa_kernel
	.section	.text._ZN7rocprim17ROCPRIM_400000_NS6detail17trampoline_kernelINS0_14default_configENS1_25partition_config_selectorILNS1_17partition_subalgoE5EtNS0_10empty_typeEbEEZZNS1_14partition_implILS5_5ELb0ES3_mN6thrust23THRUST_200600_302600_NS6detail15normal_iteratorINSA_10device_ptrItEEEEPS6_NSA_18transform_iteratorINSB_9not_fun_tI7is_trueItEEESF_NSA_11use_defaultESM_EENS0_5tupleIJSF_S6_EEENSO_IJSG_SG_EEES6_PlJS6_EEE10hipError_tPvRmT3_T4_T5_T6_T7_T9_mT8_P12ihipStream_tbDpT10_ENKUlT_T0_E_clISt17integral_constantIbLb1EES1A_IbLb0EEEEDaS16_S17_EUlS16_E_NS1_11comp_targetILNS1_3genE4ELNS1_11target_archE910ELNS1_3gpuE8ELNS1_3repE0EEENS1_30default_config_static_selectorELNS0_4arch9wavefront6targetE0EEEvT1_,"axG",@progbits,_ZN7rocprim17ROCPRIM_400000_NS6detail17trampoline_kernelINS0_14default_configENS1_25partition_config_selectorILNS1_17partition_subalgoE5EtNS0_10empty_typeEbEEZZNS1_14partition_implILS5_5ELb0ES3_mN6thrust23THRUST_200600_302600_NS6detail15normal_iteratorINSA_10device_ptrItEEEEPS6_NSA_18transform_iteratorINSB_9not_fun_tI7is_trueItEEESF_NSA_11use_defaultESM_EENS0_5tupleIJSF_S6_EEENSO_IJSG_SG_EEES6_PlJS6_EEE10hipError_tPvRmT3_T4_T5_T6_T7_T9_mT8_P12ihipStream_tbDpT10_ENKUlT_T0_E_clISt17integral_constantIbLb1EES1A_IbLb0EEEEDaS16_S17_EUlS16_E_NS1_11comp_targetILNS1_3genE4ELNS1_11target_archE910ELNS1_3gpuE8ELNS1_3repE0EEENS1_30default_config_static_selectorELNS0_4arch9wavefront6targetE0EEEvT1_,comdat
.Lfunc_end1452:
	.size	_ZN7rocprim17ROCPRIM_400000_NS6detail17trampoline_kernelINS0_14default_configENS1_25partition_config_selectorILNS1_17partition_subalgoE5EtNS0_10empty_typeEbEEZZNS1_14partition_implILS5_5ELb0ES3_mN6thrust23THRUST_200600_302600_NS6detail15normal_iteratorINSA_10device_ptrItEEEEPS6_NSA_18transform_iteratorINSB_9not_fun_tI7is_trueItEEESF_NSA_11use_defaultESM_EENS0_5tupleIJSF_S6_EEENSO_IJSG_SG_EEES6_PlJS6_EEE10hipError_tPvRmT3_T4_T5_T6_T7_T9_mT8_P12ihipStream_tbDpT10_ENKUlT_T0_E_clISt17integral_constantIbLb1EES1A_IbLb0EEEEDaS16_S17_EUlS16_E_NS1_11comp_targetILNS1_3genE4ELNS1_11target_archE910ELNS1_3gpuE8ELNS1_3repE0EEENS1_30default_config_static_selectorELNS0_4arch9wavefront6targetE0EEEvT1_, .Lfunc_end1452-_ZN7rocprim17ROCPRIM_400000_NS6detail17trampoline_kernelINS0_14default_configENS1_25partition_config_selectorILNS1_17partition_subalgoE5EtNS0_10empty_typeEbEEZZNS1_14partition_implILS5_5ELb0ES3_mN6thrust23THRUST_200600_302600_NS6detail15normal_iteratorINSA_10device_ptrItEEEEPS6_NSA_18transform_iteratorINSB_9not_fun_tI7is_trueItEEESF_NSA_11use_defaultESM_EENS0_5tupleIJSF_S6_EEENSO_IJSG_SG_EEES6_PlJS6_EEE10hipError_tPvRmT3_T4_T5_T6_T7_T9_mT8_P12ihipStream_tbDpT10_ENKUlT_T0_E_clISt17integral_constantIbLb1EES1A_IbLb0EEEEDaS16_S17_EUlS16_E_NS1_11comp_targetILNS1_3genE4ELNS1_11target_archE910ELNS1_3gpuE8ELNS1_3repE0EEENS1_30default_config_static_selectorELNS0_4arch9wavefront6targetE0EEEvT1_
                                        ; -- End function
	.set _ZN7rocprim17ROCPRIM_400000_NS6detail17trampoline_kernelINS0_14default_configENS1_25partition_config_selectorILNS1_17partition_subalgoE5EtNS0_10empty_typeEbEEZZNS1_14partition_implILS5_5ELb0ES3_mN6thrust23THRUST_200600_302600_NS6detail15normal_iteratorINSA_10device_ptrItEEEEPS6_NSA_18transform_iteratorINSB_9not_fun_tI7is_trueItEEESF_NSA_11use_defaultESM_EENS0_5tupleIJSF_S6_EEENSO_IJSG_SG_EEES6_PlJS6_EEE10hipError_tPvRmT3_T4_T5_T6_T7_T9_mT8_P12ihipStream_tbDpT10_ENKUlT_T0_E_clISt17integral_constantIbLb1EES1A_IbLb0EEEEDaS16_S17_EUlS16_E_NS1_11comp_targetILNS1_3genE4ELNS1_11target_archE910ELNS1_3gpuE8ELNS1_3repE0EEENS1_30default_config_static_selectorELNS0_4arch9wavefront6targetE0EEEvT1_.num_vgpr, 0
	.set _ZN7rocprim17ROCPRIM_400000_NS6detail17trampoline_kernelINS0_14default_configENS1_25partition_config_selectorILNS1_17partition_subalgoE5EtNS0_10empty_typeEbEEZZNS1_14partition_implILS5_5ELb0ES3_mN6thrust23THRUST_200600_302600_NS6detail15normal_iteratorINSA_10device_ptrItEEEEPS6_NSA_18transform_iteratorINSB_9not_fun_tI7is_trueItEEESF_NSA_11use_defaultESM_EENS0_5tupleIJSF_S6_EEENSO_IJSG_SG_EEES6_PlJS6_EEE10hipError_tPvRmT3_T4_T5_T6_T7_T9_mT8_P12ihipStream_tbDpT10_ENKUlT_T0_E_clISt17integral_constantIbLb1EES1A_IbLb0EEEEDaS16_S17_EUlS16_E_NS1_11comp_targetILNS1_3genE4ELNS1_11target_archE910ELNS1_3gpuE8ELNS1_3repE0EEENS1_30default_config_static_selectorELNS0_4arch9wavefront6targetE0EEEvT1_.num_agpr, 0
	.set _ZN7rocprim17ROCPRIM_400000_NS6detail17trampoline_kernelINS0_14default_configENS1_25partition_config_selectorILNS1_17partition_subalgoE5EtNS0_10empty_typeEbEEZZNS1_14partition_implILS5_5ELb0ES3_mN6thrust23THRUST_200600_302600_NS6detail15normal_iteratorINSA_10device_ptrItEEEEPS6_NSA_18transform_iteratorINSB_9not_fun_tI7is_trueItEEESF_NSA_11use_defaultESM_EENS0_5tupleIJSF_S6_EEENSO_IJSG_SG_EEES6_PlJS6_EEE10hipError_tPvRmT3_T4_T5_T6_T7_T9_mT8_P12ihipStream_tbDpT10_ENKUlT_T0_E_clISt17integral_constantIbLb1EES1A_IbLb0EEEEDaS16_S17_EUlS16_E_NS1_11comp_targetILNS1_3genE4ELNS1_11target_archE910ELNS1_3gpuE8ELNS1_3repE0EEENS1_30default_config_static_selectorELNS0_4arch9wavefront6targetE0EEEvT1_.numbered_sgpr, 0
	.set _ZN7rocprim17ROCPRIM_400000_NS6detail17trampoline_kernelINS0_14default_configENS1_25partition_config_selectorILNS1_17partition_subalgoE5EtNS0_10empty_typeEbEEZZNS1_14partition_implILS5_5ELb0ES3_mN6thrust23THRUST_200600_302600_NS6detail15normal_iteratorINSA_10device_ptrItEEEEPS6_NSA_18transform_iteratorINSB_9not_fun_tI7is_trueItEEESF_NSA_11use_defaultESM_EENS0_5tupleIJSF_S6_EEENSO_IJSG_SG_EEES6_PlJS6_EEE10hipError_tPvRmT3_T4_T5_T6_T7_T9_mT8_P12ihipStream_tbDpT10_ENKUlT_T0_E_clISt17integral_constantIbLb1EES1A_IbLb0EEEEDaS16_S17_EUlS16_E_NS1_11comp_targetILNS1_3genE4ELNS1_11target_archE910ELNS1_3gpuE8ELNS1_3repE0EEENS1_30default_config_static_selectorELNS0_4arch9wavefront6targetE0EEEvT1_.num_named_barrier, 0
	.set _ZN7rocprim17ROCPRIM_400000_NS6detail17trampoline_kernelINS0_14default_configENS1_25partition_config_selectorILNS1_17partition_subalgoE5EtNS0_10empty_typeEbEEZZNS1_14partition_implILS5_5ELb0ES3_mN6thrust23THRUST_200600_302600_NS6detail15normal_iteratorINSA_10device_ptrItEEEEPS6_NSA_18transform_iteratorINSB_9not_fun_tI7is_trueItEEESF_NSA_11use_defaultESM_EENS0_5tupleIJSF_S6_EEENSO_IJSG_SG_EEES6_PlJS6_EEE10hipError_tPvRmT3_T4_T5_T6_T7_T9_mT8_P12ihipStream_tbDpT10_ENKUlT_T0_E_clISt17integral_constantIbLb1EES1A_IbLb0EEEEDaS16_S17_EUlS16_E_NS1_11comp_targetILNS1_3genE4ELNS1_11target_archE910ELNS1_3gpuE8ELNS1_3repE0EEENS1_30default_config_static_selectorELNS0_4arch9wavefront6targetE0EEEvT1_.private_seg_size, 0
	.set _ZN7rocprim17ROCPRIM_400000_NS6detail17trampoline_kernelINS0_14default_configENS1_25partition_config_selectorILNS1_17partition_subalgoE5EtNS0_10empty_typeEbEEZZNS1_14partition_implILS5_5ELb0ES3_mN6thrust23THRUST_200600_302600_NS6detail15normal_iteratorINSA_10device_ptrItEEEEPS6_NSA_18transform_iteratorINSB_9not_fun_tI7is_trueItEEESF_NSA_11use_defaultESM_EENS0_5tupleIJSF_S6_EEENSO_IJSG_SG_EEES6_PlJS6_EEE10hipError_tPvRmT3_T4_T5_T6_T7_T9_mT8_P12ihipStream_tbDpT10_ENKUlT_T0_E_clISt17integral_constantIbLb1EES1A_IbLb0EEEEDaS16_S17_EUlS16_E_NS1_11comp_targetILNS1_3genE4ELNS1_11target_archE910ELNS1_3gpuE8ELNS1_3repE0EEENS1_30default_config_static_selectorELNS0_4arch9wavefront6targetE0EEEvT1_.uses_vcc, 0
	.set _ZN7rocprim17ROCPRIM_400000_NS6detail17trampoline_kernelINS0_14default_configENS1_25partition_config_selectorILNS1_17partition_subalgoE5EtNS0_10empty_typeEbEEZZNS1_14partition_implILS5_5ELb0ES3_mN6thrust23THRUST_200600_302600_NS6detail15normal_iteratorINSA_10device_ptrItEEEEPS6_NSA_18transform_iteratorINSB_9not_fun_tI7is_trueItEEESF_NSA_11use_defaultESM_EENS0_5tupleIJSF_S6_EEENSO_IJSG_SG_EEES6_PlJS6_EEE10hipError_tPvRmT3_T4_T5_T6_T7_T9_mT8_P12ihipStream_tbDpT10_ENKUlT_T0_E_clISt17integral_constantIbLb1EES1A_IbLb0EEEEDaS16_S17_EUlS16_E_NS1_11comp_targetILNS1_3genE4ELNS1_11target_archE910ELNS1_3gpuE8ELNS1_3repE0EEENS1_30default_config_static_selectorELNS0_4arch9wavefront6targetE0EEEvT1_.uses_flat_scratch, 0
	.set _ZN7rocprim17ROCPRIM_400000_NS6detail17trampoline_kernelINS0_14default_configENS1_25partition_config_selectorILNS1_17partition_subalgoE5EtNS0_10empty_typeEbEEZZNS1_14partition_implILS5_5ELb0ES3_mN6thrust23THRUST_200600_302600_NS6detail15normal_iteratorINSA_10device_ptrItEEEEPS6_NSA_18transform_iteratorINSB_9not_fun_tI7is_trueItEEESF_NSA_11use_defaultESM_EENS0_5tupleIJSF_S6_EEENSO_IJSG_SG_EEES6_PlJS6_EEE10hipError_tPvRmT3_T4_T5_T6_T7_T9_mT8_P12ihipStream_tbDpT10_ENKUlT_T0_E_clISt17integral_constantIbLb1EES1A_IbLb0EEEEDaS16_S17_EUlS16_E_NS1_11comp_targetILNS1_3genE4ELNS1_11target_archE910ELNS1_3gpuE8ELNS1_3repE0EEENS1_30default_config_static_selectorELNS0_4arch9wavefront6targetE0EEEvT1_.has_dyn_sized_stack, 0
	.set _ZN7rocprim17ROCPRIM_400000_NS6detail17trampoline_kernelINS0_14default_configENS1_25partition_config_selectorILNS1_17partition_subalgoE5EtNS0_10empty_typeEbEEZZNS1_14partition_implILS5_5ELb0ES3_mN6thrust23THRUST_200600_302600_NS6detail15normal_iteratorINSA_10device_ptrItEEEEPS6_NSA_18transform_iteratorINSB_9not_fun_tI7is_trueItEEESF_NSA_11use_defaultESM_EENS0_5tupleIJSF_S6_EEENSO_IJSG_SG_EEES6_PlJS6_EEE10hipError_tPvRmT3_T4_T5_T6_T7_T9_mT8_P12ihipStream_tbDpT10_ENKUlT_T0_E_clISt17integral_constantIbLb1EES1A_IbLb0EEEEDaS16_S17_EUlS16_E_NS1_11comp_targetILNS1_3genE4ELNS1_11target_archE910ELNS1_3gpuE8ELNS1_3repE0EEENS1_30default_config_static_selectorELNS0_4arch9wavefront6targetE0EEEvT1_.has_recursion, 0
	.set _ZN7rocprim17ROCPRIM_400000_NS6detail17trampoline_kernelINS0_14default_configENS1_25partition_config_selectorILNS1_17partition_subalgoE5EtNS0_10empty_typeEbEEZZNS1_14partition_implILS5_5ELb0ES3_mN6thrust23THRUST_200600_302600_NS6detail15normal_iteratorINSA_10device_ptrItEEEEPS6_NSA_18transform_iteratorINSB_9not_fun_tI7is_trueItEEESF_NSA_11use_defaultESM_EENS0_5tupleIJSF_S6_EEENSO_IJSG_SG_EEES6_PlJS6_EEE10hipError_tPvRmT3_T4_T5_T6_T7_T9_mT8_P12ihipStream_tbDpT10_ENKUlT_T0_E_clISt17integral_constantIbLb1EES1A_IbLb0EEEEDaS16_S17_EUlS16_E_NS1_11comp_targetILNS1_3genE4ELNS1_11target_archE910ELNS1_3gpuE8ELNS1_3repE0EEENS1_30default_config_static_selectorELNS0_4arch9wavefront6targetE0EEEvT1_.has_indirect_call, 0
	.section	.AMDGPU.csdata,"",@progbits
; Kernel info:
; codeLenInByte = 0
; TotalNumSgprs: 0
; NumVgprs: 0
; ScratchSize: 0
; MemoryBound: 0
; FloatMode: 240
; IeeeMode: 1
; LDSByteSize: 0 bytes/workgroup (compile time only)
; SGPRBlocks: 0
; VGPRBlocks: 0
; NumSGPRsForWavesPerEU: 1
; NumVGPRsForWavesPerEU: 1
; Occupancy: 16
; WaveLimiterHint : 0
; COMPUTE_PGM_RSRC2:SCRATCH_EN: 0
; COMPUTE_PGM_RSRC2:USER_SGPR: 2
; COMPUTE_PGM_RSRC2:TRAP_HANDLER: 0
; COMPUTE_PGM_RSRC2:TGID_X_EN: 1
; COMPUTE_PGM_RSRC2:TGID_Y_EN: 0
; COMPUTE_PGM_RSRC2:TGID_Z_EN: 0
; COMPUTE_PGM_RSRC2:TIDIG_COMP_CNT: 0
	.section	.text._ZN7rocprim17ROCPRIM_400000_NS6detail17trampoline_kernelINS0_14default_configENS1_25partition_config_selectorILNS1_17partition_subalgoE5EtNS0_10empty_typeEbEEZZNS1_14partition_implILS5_5ELb0ES3_mN6thrust23THRUST_200600_302600_NS6detail15normal_iteratorINSA_10device_ptrItEEEEPS6_NSA_18transform_iteratorINSB_9not_fun_tI7is_trueItEEESF_NSA_11use_defaultESM_EENS0_5tupleIJSF_S6_EEENSO_IJSG_SG_EEES6_PlJS6_EEE10hipError_tPvRmT3_T4_T5_T6_T7_T9_mT8_P12ihipStream_tbDpT10_ENKUlT_T0_E_clISt17integral_constantIbLb1EES1A_IbLb0EEEEDaS16_S17_EUlS16_E_NS1_11comp_targetILNS1_3genE3ELNS1_11target_archE908ELNS1_3gpuE7ELNS1_3repE0EEENS1_30default_config_static_selectorELNS0_4arch9wavefront6targetE0EEEvT1_,"axG",@progbits,_ZN7rocprim17ROCPRIM_400000_NS6detail17trampoline_kernelINS0_14default_configENS1_25partition_config_selectorILNS1_17partition_subalgoE5EtNS0_10empty_typeEbEEZZNS1_14partition_implILS5_5ELb0ES3_mN6thrust23THRUST_200600_302600_NS6detail15normal_iteratorINSA_10device_ptrItEEEEPS6_NSA_18transform_iteratorINSB_9not_fun_tI7is_trueItEEESF_NSA_11use_defaultESM_EENS0_5tupleIJSF_S6_EEENSO_IJSG_SG_EEES6_PlJS6_EEE10hipError_tPvRmT3_T4_T5_T6_T7_T9_mT8_P12ihipStream_tbDpT10_ENKUlT_T0_E_clISt17integral_constantIbLb1EES1A_IbLb0EEEEDaS16_S17_EUlS16_E_NS1_11comp_targetILNS1_3genE3ELNS1_11target_archE908ELNS1_3gpuE7ELNS1_3repE0EEENS1_30default_config_static_selectorELNS0_4arch9wavefront6targetE0EEEvT1_,comdat
	.protected	_ZN7rocprim17ROCPRIM_400000_NS6detail17trampoline_kernelINS0_14default_configENS1_25partition_config_selectorILNS1_17partition_subalgoE5EtNS0_10empty_typeEbEEZZNS1_14partition_implILS5_5ELb0ES3_mN6thrust23THRUST_200600_302600_NS6detail15normal_iteratorINSA_10device_ptrItEEEEPS6_NSA_18transform_iteratorINSB_9not_fun_tI7is_trueItEEESF_NSA_11use_defaultESM_EENS0_5tupleIJSF_S6_EEENSO_IJSG_SG_EEES6_PlJS6_EEE10hipError_tPvRmT3_T4_T5_T6_T7_T9_mT8_P12ihipStream_tbDpT10_ENKUlT_T0_E_clISt17integral_constantIbLb1EES1A_IbLb0EEEEDaS16_S17_EUlS16_E_NS1_11comp_targetILNS1_3genE3ELNS1_11target_archE908ELNS1_3gpuE7ELNS1_3repE0EEENS1_30default_config_static_selectorELNS0_4arch9wavefront6targetE0EEEvT1_ ; -- Begin function _ZN7rocprim17ROCPRIM_400000_NS6detail17trampoline_kernelINS0_14default_configENS1_25partition_config_selectorILNS1_17partition_subalgoE5EtNS0_10empty_typeEbEEZZNS1_14partition_implILS5_5ELb0ES3_mN6thrust23THRUST_200600_302600_NS6detail15normal_iteratorINSA_10device_ptrItEEEEPS6_NSA_18transform_iteratorINSB_9not_fun_tI7is_trueItEEESF_NSA_11use_defaultESM_EENS0_5tupleIJSF_S6_EEENSO_IJSG_SG_EEES6_PlJS6_EEE10hipError_tPvRmT3_T4_T5_T6_T7_T9_mT8_P12ihipStream_tbDpT10_ENKUlT_T0_E_clISt17integral_constantIbLb1EES1A_IbLb0EEEEDaS16_S17_EUlS16_E_NS1_11comp_targetILNS1_3genE3ELNS1_11target_archE908ELNS1_3gpuE7ELNS1_3repE0EEENS1_30default_config_static_selectorELNS0_4arch9wavefront6targetE0EEEvT1_
	.globl	_ZN7rocprim17ROCPRIM_400000_NS6detail17trampoline_kernelINS0_14default_configENS1_25partition_config_selectorILNS1_17partition_subalgoE5EtNS0_10empty_typeEbEEZZNS1_14partition_implILS5_5ELb0ES3_mN6thrust23THRUST_200600_302600_NS6detail15normal_iteratorINSA_10device_ptrItEEEEPS6_NSA_18transform_iteratorINSB_9not_fun_tI7is_trueItEEESF_NSA_11use_defaultESM_EENS0_5tupleIJSF_S6_EEENSO_IJSG_SG_EEES6_PlJS6_EEE10hipError_tPvRmT3_T4_T5_T6_T7_T9_mT8_P12ihipStream_tbDpT10_ENKUlT_T0_E_clISt17integral_constantIbLb1EES1A_IbLb0EEEEDaS16_S17_EUlS16_E_NS1_11comp_targetILNS1_3genE3ELNS1_11target_archE908ELNS1_3gpuE7ELNS1_3repE0EEENS1_30default_config_static_selectorELNS0_4arch9wavefront6targetE0EEEvT1_
	.p2align	8
	.type	_ZN7rocprim17ROCPRIM_400000_NS6detail17trampoline_kernelINS0_14default_configENS1_25partition_config_selectorILNS1_17partition_subalgoE5EtNS0_10empty_typeEbEEZZNS1_14partition_implILS5_5ELb0ES3_mN6thrust23THRUST_200600_302600_NS6detail15normal_iteratorINSA_10device_ptrItEEEEPS6_NSA_18transform_iteratorINSB_9not_fun_tI7is_trueItEEESF_NSA_11use_defaultESM_EENS0_5tupleIJSF_S6_EEENSO_IJSG_SG_EEES6_PlJS6_EEE10hipError_tPvRmT3_T4_T5_T6_T7_T9_mT8_P12ihipStream_tbDpT10_ENKUlT_T0_E_clISt17integral_constantIbLb1EES1A_IbLb0EEEEDaS16_S17_EUlS16_E_NS1_11comp_targetILNS1_3genE3ELNS1_11target_archE908ELNS1_3gpuE7ELNS1_3repE0EEENS1_30default_config_static_selectorELNS0_4arch9wavefront6targetE0EEEvT1_,@function
_ZN7rocprim17ROCPRIM_400000_NS6detail17trampoline_kernelINS0_14default_configENS1_25partition_config_selectorILNS1_17partition_subalgoE5EtNS0_10empty_typeEbEEZZNS1_14partition_implILS5_5ELb0ES3_mN6thrust23THRUST_200600_302600_NS6detail15normal_iteratorINSA_10device_ptrItEEEEPS6_NSA_18transform_iteratorINSB_9not_fun_tI7is_trueItEEESF_NSA_11use_defaultESM_EENS0_5tupleIJSF_S6_EEENSO_IJSG_SG_EEES6_PlJS6_EEE10hipError_tPvRmT3_T4_T5_T6_T7_T9_mT8_P12ihipStream_tbDpT10_ENKUlT_T0_E_clISt17integral_constantIbLb1EES1A_IbLb0EEEEDaS16_S17_EUlS16_E_NS1_11comp_targetILNS1_3genE3ELNS1_11target_archE908ELNS1_3gpuE7ELNS1_3repE0EEENS1_30default_config_static_selectorELNS0_4arch9wavefront6targetE0EEEvT1_: ; @_ZN7rocprim17ROCPRIM_400000_NS6detail17trampoline_kernelINS0_14default_configENS1_25partition_config_selectorILNS1_17partition_subalgoE5EtNS0_10empty_typeEbEEZZNS1_14partition_implILS5_5ELb0ES3_mN6thrust23THRUST_200600_302600_NS6detail15normal_iteratorINSA_10device_ptrItEEEEPS6_NSA_18transform_iteratorINSB_9not_fun_tI7is_trueItEEESF_NSA_11use_defaultESM_EENS0_5tupleIJSF_S6_EEENSO_IJSG_SG_EEES6_PlJS6_EEE10hipError_tPvRmT3_T4_T5_T6_T7_T9_mT8_P12ihipStream_tbDpT10_ENKUlT_T0_E_clISt17integral_constantIbLb1EES1A_IbLb0EEEEDaS16_S17_EUlS16_E_NS1_11comp_targetILNS1_3genE3ELNS1_11target_archE908ELNS1_3gpuE7ELNS1_3repE0EEENS1_30default_config_static_selectorELNS0_4arch9wavefront6targetE0EEEvT1_
; %bb.0:
	.section	.rodata,"a",@progbits
	.p2align	6, 0x0
	.amdhsa_kernel _ZN7rocprim17ROCPRIM_400000_NS6detail17trampoline_kernelINS0_14default_configENS1_25partition_config_selectorILNS1_17partition_subalgoE5EtNS0_10empty_typeEbEEZZNS1_14partition_implILS5_5ELb0ES3_mN6thrust23THRUST_200600_302600_NS6detail15normal_iteratorINSA_10device_ptrItEEEEPS6_NSA_18transform_iteratorINSB_9not_fun_tI7is_trueItEEESF_NSA_11use_defaultESM_EENS0_5tupleIJSF_S6_EEENSO_IJSG_SG_EEES6_PlJS6_EEE10hipError_tPvRmT3_T4_T5_T6_T7_T9_mT8_P12ihipStream_tbDpT10_ENKUlT_T0_E_clISt17integral_constantIbLb1EES1A_IbLb0EEEEDaS16_S17_EUlS16_E_NS1_11comp_targetILNS1_3genE3ELNS1_11target_archE908ELNS1_3gpuE7ELNS1_3repE0EEENS1_30default_config_static_selectorELNS0_4arch9wavefront6targetE0EEEvT1_
		.amdhsa_group_segment_fixed_size 0
		.amdhsa_private_segment_fixed_size 0
		.amdhsa_kernarg_size 120
		.amdhsa_user_sgpr_count 2
		.amdhsa_user_sgpr_dispatch_ptr 0
		.amdhsa_user_sgpr_queue_ptr 0
		.amdhsa_user_sgpr_kernarg_segment_ptr 1
		.amdhsa_user_sgpr_dispatch_id 0
		.amdhsa_user_sgpr_private_segment_size 0
		.amdhsa_wavefront_size32 1
		.amdhsa_uses_dynamic_stack 0
		.amdhsa_enable_private_segment 0
		.amdhsa_system_sgpr_workgroup_id_x 1
		.amdhsa_system_sgpr_workgroup_id_y 0
		.amdhsa_system_sgpr_workgroup_id_z 0
		.amdhsa_system_sgpr_workgroup_info 0
		.amdhsa_system_vgpr_workitem_id 0
		.amdhsa_next_free_vgpr 1
		.amdhsa_next_free_sgpr 1
		.amdhsa_reserve_vcc 0
		.amdhsa_float_round_mode_32 0
		.amdhsa_float_round_mode_16_64 0
		.amdhsa_float_denorm_mode_32 3
		.amdhsa_float_denorm_mode_16_64 3
		.amdhsa_fp16_overflow 0
		.amdhsa_workgroup_processor_mode 1
		.amdhsa_memory_ordered 1
		.amdhsa_forward_progress 1
		.amdhsa_inst_pref_size 0
		.amdhsa_round_robin_scheduling 0
		.amdhsa_exception_fp_ieee_invalid_op 0
		.amdhsa_exception_fp_denorm_src 0
		.amdhsa_exception_fp_ieee_div_zero 0
		.amdhsa_exception_fp_ieee_overflow 0
		.amdhsa_exception_fp_ieee_underflow 0
		.amdhsa_exception_fp_ieee_inexact 0
		.amdhsa_exception_int_div_zero 0
	.end_amdhsa_kernel
	.section	.text._ZN7rocprim17ROCPRIM_400000_NS6detail17trampoline_kernelINS0_14default_configENS1_25partition_config_selectorILNS1_17partition_subalgoE5EtNS0_10empty_typeEbEEZZNS1_14partition_implILS5_5ELb0ES3_mN6thrust23THRUST_200600_302600_NS6detail15normal_iteratorINSA_10device_ptrItEEEEPS6_NSA_18transform_iteratorINSB_9not_fun_tI7is_trueItEEESF_NSA_11use_defaultESM_EENS0_5tupleIJSF_S6_EEENSO_IJSG_SG_EEES6_PlJS6_EEE10hipError_tPvRmT3_T4_T5_T6_T7_T9_mT8_P12ihipStream_tbDpT10_ENKUlT_T0_E_clISt17integral_constantIbLb1EES1A_IbLb0EEEEDaS16_S17_EUlS16_E_NS1_11comp_targetILNS1_3genE3ELNS1_11target_archE908ELNS1_3gpuE7ELNS1_3repE0EEENS1_30default_config_static_selectorELNS0_4arch9wavefront6targetE0EEEvT1_,"axG",@progbits,_ZN7rocprim17ROCPRIM_400000_NS6detail17trampoline_kernelINS0_14default_configENS1_25partition_config_selectorILNS1_17partition_subalgoE5EtNS0_10empty_typeEbEEZZNS1_14partition_implILS5_5ELb0ES3_mN6thrust23THRUST_200600_302600_NS6detail15normal_iteratorINSA_10device_ptrItEEEEPS6_NSA_18transform_iteratorINSB_9not_fun_tI7is_trueItEEESF_NSA_11use_defaultESM_EENS0_5tupleIJSF_S6_EEENSO_IJSG_SG_EEES6_PlJS6_EEE10hipError_tPvRmT3_T4_T5_T6_T7_T9_mT8_P12ihipStream_tbDpT10_ENKUlT_T0_E_clISt17integral_constantIbLb1EES1A_IbLb0EEEEDaS16_S17_EUlS16_E_NS1_11comp_targetILNS1_3genE3ELNS1_11target_archE908ELNS1_3gpuE7ELNS1_3repE0EEENS1_30default_config_static_selectorELNS0_4arch9wavefront6targetE0EEEvT1_,comdat
.Lfunc_end1453:
	.size	_ZN7rocprim17ROCPRIM_400000_NS6detail17trampoline_kernelINS0_14default_configENS1_25partition_config_selectorILNS1_17partition_subalgoE5EtNS0_10empty_typeEbEEZZNS1_14partition_implILS5_5ELb0ES3_mN6thrust23THRUST_200600_302600_NS6detail15normal_iteratorINSA_10device_ptrItEEEEPS6_NSA_18transform_iteratorINSB_9not_fun_tI7is_trueItEEESF_NSA_11use_defaultESM_EENS0_5tupleIJSF_S6_EEENSO_IJSG_SG_EEES6_PlJS6_EEE10hipError_tPvRmT3_T4_T5_T6_T7_T9_mT8_P12ihipStream_tbDpT10_ENKUlT_T0_E_clISt17integral_constantIbLb1EES1A_IbLb0EEEEDaS16_S17_EUlS16_E_NS1_11comp_targetILNS1_3genE3ELNS1_11target_archE908ELNS1_3gpuE7ELNS1_3repE0EEENS1_30default_config_static_selectorELNS0_4arch9wavefront6targetE0EEEvT1_, .Lfunc_end1453-_ZN7rocprim17ROCPRIM_400000_NS6detail17trampoline_kernelINS0_14default_configENS1_25partition_config_selectorILNS1_17partition_subalgoE5EtNS0_10empty_typeEbEEZZNS1_14partition_implILS5_5ELb0ES3_mN6thrust23THRUST_200600_302600_NS6detail15normal_iteratorINSA_10device_ptrItEEEEPS6_NSA_18transform_iteratorINSB_9not_fun_tI7is_trueItEEESF_NSA_11use_defaultESM_EENS0_5tupleIJSF_S6_EEENSO_IJSG_SG_EEES6_PlJS6_EEE10hipError_tPvRmT3_T4_T5_T6_T7_T9_mT8_P12ihipStream_tbDpT10_ENKUlT_T0_E_clISt17integral_constantIbLb1EES1A_IbLb0EEEEDaS16_S17_EUlS16_E_NS1_11comp_targetILNS1_3genE3ELNS1_11target_archE908ELNS1_3gpuE7ELNS1_3repE0EEENS1_30default_config_static_selectorELNS0_4arch9wavefront6targetE0EEEvT1_
                                        ; -- End function
	.set _ZN7rocprim17ROCPRIM_400000_NS6detail17trampoline_kernelINS0_14default_configENS1_25partition_config_selectorILNS1_17partition_subalgoE5EtNS0_10empty_typeEbEEZZNS1_14partition_implILS5_5ELb0ES3_mN6thrust23THRUST_200600_302600_NS6detail15normal_iteratorINSA_10device_ptrItEEEEPS6_NSA_18transform_iteratorINSB_9not_fun_tI7is_trueItEEESF_NSA_11use_defaultESM_EENS0_5tupleIJSF_S6_EEENSO_IJSG_SG_EEES6_PlJS6_EEE10hipError_tPvRmT3_T4_T5_T6_T7_T9_mT8_P12ihipStream_tbDpT10_ENKUlT_T0_E_clISt17integral_constantIbLb1EES1A_IbLb0EEEEDaS16_S17_EUlS16_E_NS1_11comp_targetILNS1_3genE3ELNS1_11target_archE908ELNS1_3gpuE7ELNS1_3repE0EEENS1_30default_config_static_selectorELNS0_4arch9wavefront6targetE0EEEvT1_.num_vgpr, 0
	.set _ZN7rocprim17ROCPRIM_400000_NS6detail17trampoline_kernelINS0_14default_configENS1_25partition_config_selectorILNS1_17partition_subalgoE5EtNS0_10empty_typeEbEEZZNS1_14partition_implILS5_5ELb0ES3_mN6thrust23THRUST_200600_302600_NS6detail15normal_iteratorINSA_10device_ptrItEEEEPS6_NSA_18transform_iteratorINSB_9not_fun_tI7is_trueItEEESF_NSA_11use_defaultESM_EENS0_5tupleIJSF_S6_EEENSO_IJSG_SG_EEES6_PlJS6_EEE10hipError_tPvRmT3_T4_T5_T6_T7_T9_mT8_P12ihipStream_tbDpT10_ENKUlT_T0_E_clISt17integral_constantIbLb1EES1A_IbLb0EEEEDaS16_S17_EUlS16_E_NS1_11comp_targetILNS1_3genE3ELNS1_11target_archE908ELNS1_3gpuE7ELNS1_3repE0EEENS1_30default_config_static_selectorELNS0_4arch9wavefront6targetE0EEEvT1_.num_agpr, 0
	.set _ZN7rocprim17ROCPRIM_400000_NS6detail17trampoline_kernelINS0_14default_configENS1_25partition_config_selectorILNS1_17partition_subalgoE5EtNS0_10empty_typeEbEEZZNS1_14partition_implILS5_5ELb0ES3_mN6thrust23THRUST_200600_302600_NS6detail15normal_iteratorINSA_10device_ptrItEEEEPS6_NSA_18transform_iteratorINSB_9not_fun_tI7is_trueItEEESF_NSA_11use_defaultESM_EENS0_5tupleIJSF_S6_EEENSO_IJSG_SG_EEES6_PlJS6_EEE10hipError_tPvRmT3_T4_T5_T6_T7_T9_mT8_P12ihipStream_tbDpT10_ENKUlT_T0_E_clISt17integral_constantIbLb1EES1A_IbLb0EEEEDaS16_S17_EUlS16_E_NS1_11comp_targetILNS1_3genE3ELNS1_11target_archE908ELNS1_3gpuE7ELNS1_3repE0EEENS1_30default_config_static_selectorELNS0_4arch9wavefront6targetE0EEEvT1_.numbered_sgpr, 0
	.set _ZN7rocprim17ROCPRIM_400000_NS6detail17trampoline_kernelINS0_14default_configENS1_25partition_config_selectorILNS1_17partition_subalgoE5EtNS0_10empty_typeEbEEZZNS1_14partition_implILS5_5ELb0ES3_mN6thrust23THRUST_200600_302600_NS6detail15normal_iteratorINSA_10device_ptrItEEEEPS6_NSA_18transform_iteratorINSB_9not_fun_tI7is_trueItEEESF_NSA_11use_defaultESM_EENS0_5tupleIJSF_S6_EEENSO_IJSG_SG_EEES6_PlJS6_EEE10hipError_tPvRmT3_T4_T5_T6_T7_T9_mT8_P12ihipStream_tbDpT10_ENKUlT_T0_E_clISt17integral_constantIbLb1EES1A_IbLb0EEEEDaS16_S17_EUlS16_E_NS1_11comp_targetILNS1_3genE3ELNS1_11target_archE908ELNS1_3gpuE7ELNS1_3repE0EEENS1_30default_config_static_selectorELNS0_4arch9wavefront6targetE0EEEvT1_.num_named_barrier, 0
	.set _ZN7rocprim17ROCPRIM_400000_NS6detail17trampoline_kernelINS0_14default_configENS1_25partition_config_selectorILNS1_17partition_subalgoE5EtNS0_10empty_typeEbEEZZNS1_14partition_implILS5_5ELb0ES3_mN6thrust23THRUST_200600_302600_NS6detail15normal_iteratorINSA_10device_ptrItEEEEPS6_NSA_18transform_iteratorINSB_9not_fun_tI7is_trueItEEESF_NSA_11use_defaultESM_EENS0_5tupleIJSF_S6_EEENSO_IJSG_SG_EEES6_PlJS6_EEE10hipError_tPvRmT3_T4_T5_T6_T7_T9_mT8_P12ihipStream_tbDpT10_ENKUlT_T0_E_clISt17integral_constantIbLb1EES1A_IbLb0EEEEDaS16_S17_EUlS16_E_NS1_11comp_targetILNS1_3genE3ELNS1_11target_archE908ELNS1_3gpuE7ELNS1_3repE0EEENS1_30default_config_static_selectorELNS0_4arch9wavefront6targetE0EEEvT1_.private_seg_size, 0
	.set _ZN7rocprim17ROCPRIM_400000_NS6detail17trampoline_kernelINS0_14default_configENS1_25partition_config_selectorILNS1_17partition_subalgoE5EtNS0_10empty_typeEbEEZZNS1_14partition_implILS5_5ELb0ES3_mN6thrust23THRUST_200600_302600_NS6detail15normal_iteratorINSA_10device_ptrItEEEEPS6_NSA_18transform_iteratorINSB_9not_fun_tI7is_trueItEEESF_NSA_11use_defaultESM_EENS0_5tupleIJSF_S6_EEENSO_IJSG_SG_EEES6_PlJS6_EEE10hipError_tPvRmT3_T4_T5_T6_T7_T9_mT8_P12ihipStream_tbDpT10_ENKUlT_T0_E_clISt17integral_constantIbLb1EES1A_IbLb0EEEEDaS16_S17_EUlS16_E_NS1_11comp_targetILNS1_3genE3ELNS1_11target_archE908ELNS1_3gpuE7ELNS1_3repE0EEENS1_30default_config_static_selectorELNS0_4arch9wavefront6targetE0EEEvT1_.uses_vcc, 0
	.set _ZN7rocprim17ROCPRIM_400000_NS6detail17trampoline_kernelINS0_14default_configENS1_25partition_config_selectorILNS1_17partition_subalgoE5EtNS0_10empty_typeEbEEZZNS1_14partition_implILS5_5ELb0ES3_mN6thrust23THRUST_200600_302600_NS6detail15normal_iteratorINSA_10device_ptrItEEEEPS6_NSA_18transform_iteratorINSB_9not_fun_tI7is_trueItEEESF_NSA_11use_defaultESM_EENS0_5tupleIJSF_S6_EEENSO_IJSG_SG_EEES6_PlJS6_EEE10hipError_tPvRmT3_T4_T5_T6_T7_T9_mT8_P12ihipStream_tbDpT10_ENKUlT_T0_E_clISt17integral_constantIbLb1EES1A_IbLb0EEEEDaS16_S17_EUlS16_E_NS1_11comp_targetILNS1_3genE3ELNS1_11target_archE908ELNS1_3gpuE7ELNS1_3repE0EEENS1_30default_config_static_selectorELNS0_4arch9wavefront6targetE0EEEvT1_.uses_flat_scratch, 0
	.set _ZN7rocprim17ROCPRIM_400000_NS6detail17trampoline_kernelINS0_14default_configENS1_25partition_config_selectorILNS1_17partition_subalgoE5EtNS0_10empty_typeEbEEZZNS1_14partition_implILS5_5ELb0ES3_mN6thrust23THRUST_200600_302600_NS6detail15normal_iteratorINSA_10device_ptrItEEEEPS6_NSA_18transform_iteratorINSB_9not_fun_tI7is_trueItEEESF_NSA_11use_defaultESM_EENS0_5tupleIJSF_S6_EEENSO_IJSG_SG_EEES6_PlJS6_EEE10hipError_tPvRmT3_T4_T5_T6_T7_T9_mT8_P12ihipStream_tbDpT10_ENKUlT_T0_E_clISt17integral_constantIbLb1EES1A_IbLb0EEEEDaS16_S17_EUlS16_E_NS1_11comp_targetILNS1_3genE3ELNS1_11target_archE908ELNS1_3gpuE7ELNS1_3repE0EEENS1_30default_config_static_selectorELNS0_4arch9wavefront6targetE0EEEvT1_.has_dyn_sized_stack, 0
	.set _ZN7rocprim17ROCPRIM_400000_NS6detail17trampoline_kernelINS0_14default_configENS1_25partition_config_selectorILNS1_17partition_subalgoE5EtNS0_10empty_typeEbEEZZNS1_14partition_implILS5_5ELb0ES3_mN6thrust23THRUST_200600_302600_NS6detail15normal_iteratorINSA_10device_ptrItEEEEPS6_NSA_18transform_iteratorINSB_9not_fun_tI7is_trueItEEESF_NSA_11use_defaultESM_EENS0_5tupleIJSF_S6_EEENSO_IJSG_SG_EEES6_PlJS6_EEE10hipError_tPvRmT3_T4_T5_T6_T7_T9_mT8_P12ihipStream_tbDpT10_ENKUlT_T0_E_clISt17integral_constantIbLb1EES1A_IbLb0EEEEDaS16_S17_EUlS16_E_NS1_11comp_targetILNS1_3genE3ELNS1_11target_archE908ELNS1_3gpuE7ELNS1_3repE0EEENS1_30default_config_static_selectorELNS0_4arch9wavefront6targetE0EEEvT1_.has_recursion, 0
	.set _ZN7rocprim17ROCPRIM_400000_NS6detail17trampoline_kernelINS0_14default_configENS1_25partition_config_selectorILNS1_17partition_subalgoE5EtNS0_10empty_typeEbEEZZNS1_14partition_implILS5_5ELb0ES3_mN6thrust23THRUST_200600_302600_NS6detail15normal_iteratorINSA_10device_ptrItEEEEPS6_NSA_18transform_iteratorINSB_9not_fun_tI7is_trueItEEESF_NSA_11use_defaultESM_EENS0_5tupleIJSF_S6_EEENSO_IJSG_SG_EEES6_PlJS6_EEE10hipError_tPvRmT3_T4_T5_T6_T7_T9_mT8_P12ihipStream_tbDpT10_ENKUlT_T0_E_clISt17integral_constantIbLb1EES1A_IbLb0EEEEDaS16_S17_EUlS16_E_NS1_11comp_targetILNS1_3genE3ELNS1_11target_archE908ELNS1_3gpuE7ELNS1_3repE0EEENS1_30default_config_static_selectorELNS0_4arch9wavefront6targetE0EEEvT1_.has_indirect_call, 0
	.section	.AMDGPU.csdata,"",@progbits
; Kernel info:
; codeLenInByte = 0
; TotalNumSgprs: 0
; NumVgprs: 0
; ScratchSize: 0
; MemoryBound: 0
; FloatMode: 240
; IeeeMode: 1
; LDSByteSize: 0 bytes/workgroup (compile time only)
; SGPRBlocks: 0
; VGPRBlocks: 0
; NumSGPRsForWavesPerEU: 1
; NumVGPRsForWavesPerEU: 1
; Occupancy: 16
; WaveLimiterHint : 0
; COMPUTE_PGM_RSRC2:SCRATCH_EN: 0
; COMPUTE_PGM_RSRC2:USER_SGPR: 2
; COMPUTE_PGM_RSRC2:TRAP_HANDLER: 0
; COMPUTE_PGM_RSRC2:TGID_X_EN: 1
; COMPUTE_PGM_RSRC2:TGID_Y_EN: 0
; COMPUTE_PGM_RSRC2:TGID_Z_EN: 0
; COMPUTE_PGM_RSRC2:TIDIG_COMP_CNT: 0
	.section	.text._ZN7rocprim17ROCPRIM_400000_NS6detail17trampoline_kernelINS0_14default_configENS1_25partition_config_selectorILNS1_17partition_subalgoE5EtNS0_10empty_typeEbEEZZNS1_14partition_implILS5_5ELb0ES3_mN6thrust23THRUST_200600_302600_NS6detail15normal_iteratorINSA_10device_ptrItEEEEPS6_NSA_18transform_iteratorINSB_9not_fun_tI7is_trueItEEESF_NSA_11use_defaultESM_EENS0_5tupleIJSF_S6_EEENSO_IJSG_SG_EEES6_PlJS6_EEE10hipError_tPvRmT3_T4_T5_T6_T7_T9_mT8_P12ihipStream_tbDpT10_ENKUlT_T0_E_clISt17integral_constantIbLb1EES1A_IbLb0EEEEDaS16_S17_EUlS16_E_NS1_11comp_targetILNS1_3genE2ELNS1_11target_archE906ELNS1_3gpuE6ELNS1_3repE0EEENS1_30default_config_static_selectorELNS0_4arch9wavefront6targetE0EEEvT1_,"axG",@progbits,_ZN7rocprim17ROCPRIM_400000_NS6detail17trampoline_kernelINS0_14default_configENS1_25partition_config_selectorILNS1_17partition_subalgoE5EtNS0_10empty_typeEbEEZZNS1_14partition_implILS5_5ELb0ES3_mN6thrust23THRUST_200600_302600_NS6detail15normal_iteratorINSA_10device_ptrItEEEEPS6_NSA_18transform_iteratorINSB_9not_fun_tI7is_trueItEEESF_NSA_11use_defaultESM_EENS0_5tupleIJSF_S6_EEENSO_IJSG_SG_EEES6_PlJS6_EEE10hipError_tPvRmT3_T4_T5_T6_T7_T9_mT8_P12ihipStream_tbDpT10_ENKUlT_T0_E_clISt17integral_constantIbLb1EES1A_IbLb0EEEEDaS16_S17_EUlS16_E_NS1_11comp_targetILNS1_3genE2ELNS1_11target_archE906ELNS1_3gpuE6ELNS1_3repE0EEENS1_30default_config_static_selectorELNS0_4arch9wavefront6targetE0EEEvT1_,comdat
	.protected	_ZN7rocprim17ROCPRIM_400000_NS6detail17trampoline_kernelINS0_14default_configENS1_25partition_config_selectorILNS1_17partition_subalgoE5EtNS0_10empty_typeEbEEZZNS1_14partition_implILS5_5ELb0ES3_mN6thrust23THRUST_200600_302600_NS6detail15normal_iteratorINSA_10device_ptrItEEEEPS6_NSA_18transform_iteratorINSB_9not_fun_tI7is_trueItEEESF_NSA_11use_defaultESM_EENS0_5tupleIJSF_S6_EEENSO_IJSG_SG_EEES6_PlJS6_EEE10hipError_tPvRmT3_T4_T5_T6_T7_T9_mT8_P12ihipStream_tbDpT10_ENKUlT_T0_E_clISt17integral_constantIbLb1EES1A_IbLb0EEEEDaS16_S17_EUlS16_E_NS1_11comp_targetILNS1_3genE2ELNS1_11target_archE906ELNS1_3gpuE6ELNS1_3repE0EEENS1_30default_config_static_selectorELNS0_4arch9wavefront6targetE0EEEvT1_ ; -- Begin function _ZN7rocprim17ROCPRIM_400000_NS6detail17trampoline_kernelINS0_14default_configENS1_25partition_config_selectorILNS1_17partition_subalgoE5EtNS0_10empty_typeEbEEZZNS1_14partition_implILS5_5ELb0ES3_mN6thrust23THRUST_200600_302600_NS6detail15normal_iteratorINSA_10device_ptrItEEEEPS6_NSA_18transform_iteratorINSB_9not_fun_tI7is_trueItEEESF_NSA_11use_defaultESM_EENS0_5tupleIJSF_S6_EEENSO_IJSG_SG_EEES6_PlJS6_EEE10hipError_tPvRmT3_T4_T5_T6_T7_T9_mT8_P12ihipStream_tbDpT10_ENKUlT_T0_E_clISt17integral_constantIbLb1EES1A_IbLb0EEEEDaS16_S17_EUlS16_E_NS1_11comp_targetILNS1_3genE2ELNS1_11target_archE906ELNS1_3gpuE6ELNS1_3repE0EEENS1_30default_config_static_selectorELNS0_4arch9wavefront6targetE0EEEvT1_
	.globl	_ZN7rocprim17ROCPRIM_400000_NS6detail17trampoline_kernelINS0_14default_configENS1_25partition_config_selectorILNS1_17partition_subalgoE5EtNS0_10empty_typeEbEEZZNS1_14partition_implILS5_5ELb0ES3_mN6thrust23THRUST_200600_302600_NS6detail15normal_iteratorINSA_10device_ptrItEEEEPS6_NSA_18transform_iteratorINSB_9not_fun_tI7is_trueItEEESF_NSA_11use_defaultESM_EENS0_5tupleIJSF_S6_EEENSO_IJSG_SG_EEES6_PlJS6_EEE10hipError_tPvRmT3_T4_T5_T6_T7_T9_mT8_P12ihipStream_tbDpT10_ENKUlT_T0_E_clISt17integral_constantIbLb1EES1A_IbLb0EEEEDaS16_S17_EUlS16_E_NS1_11comp_targetILNS1_3genE2ELNS1_11target_archE906ELNS1_3gpuE6ELNS1_3repE0EEENS1_30default_config_static_selectorELNS0_4arch9wavefront6targetE0EEEvT1_
	.p2align	8
	.type	_ZN7rocprim17ROCPRIM_400000_NS6detail17trampoline_kernelINS0_14default_configENS1_25partition_config_selectorILNS1_17partition_subalgoE5EtNS0_10empty_typeEbEEZZNS1_14partition_implILS5_5ELb0ES3_mN6thrust23THRUST_200600_302600_NS6detail15normal_iteratorINSA_10device_ptrItEEEEPS6_NSA_18transform_iteratorINSB_9not_fun_tI7is_trueItEEESF_NSA_11use_defaultESM_EENS0_5tupleIJSF_S6_EEENSO_IJSG_SG_EEES6_PlJS6_EEE10hipError_tPvRmT3_T4_T5_T6_T7_T9_mT8_P12ihipStream_tbDpT10_ENKUlT_T0_E_clISt17integral_constantIbLb1EES1A_IbLb0EEEEDaS16_S17_EUlS16_E_NS1_11comp_targetILNS1_3genE2ELNS1_11target_archE906ELNS1_3gpuE6ELNS1_3repE0EEENS1_30default_config_static_selectorELNS0_4arch9wavefront6targetE0EEEvT1_,@function
_ZN7rocprim17ROCPRIM_400000_NS6detail17trampoline_kernelINS0_14default_configENS1_25partition_config_selectorILNS1_17partition_subalgoE5EtNS0_10empty_typeEbEEZZNS1_14partition_implILS5_5ELb0ES3_mN6thrust23THRUST_200600_302600_NS6detail15normal_iteratorINSA_10device_ptrItEEEEPS6_NSA_18transform_iteratorINSB_9not_fun_tI7is_trueItEEESF_NSA_11use_defaultESM_EENS0_5tupleIJSF_S6_EEENSO_IJSG_SG_EEES6_PlJS6_EEE10hipError_tPvRmT3_T4_T5_T6_T7_T9_mT8_P12ihipStream_tbDpT10_ENKUlT_T0_E_clISt17integral_constantIbLb1EES1A_IbLb0EEEEDaS16_S17_EUlS16_E_NS1_11comp_targetILNS1_3genE2ELNS1_11target_archE906ELNS1_3gpuE6ELNS1_3repE0EEENS1_30default_config_static_selectorELNS0_4arch9wavefront6targetE0EEEvT1_: ; @_ZN7rocprim17ROCPRIM_400000_NS6detail17trampoline_kernelINS0_14default_configENS1_25partition_config_selectorILNS1_17partition_subalgoE5EtNS0_10empty_typeEbEEZZNS1_14partition_implILS5_5ELb0ES3_mN6thrust23THRUST_200600_302600_NS6detail15normal_iteratorINSA_10device_ptrItEEEEPS6_NSA_18transform_iteratorINSB_9not_fun_tI7is_trueItEEESF_NSA_11use_defaultESM_EENS0_5tupleIJSF_S6_EEENSO_IJSG_SG_EEES6_PlJS6_EEE10hipError_tPvRmT3_T4_T5_T6_T7_T9_mT8_P12ihipStream_tbDpT10_ENKUlT_T0_E_clISt17integral_constantIbLb1EES1A_IbLb0EEEEDaS16_S17_EUlS16_E_NS1_11comp_targetILNS1_3genE2ELNS1_11target_archE906ELNS1_3gpuE6ELNS1_3repE0EEENS1_30default_config_static_selectorELNS0_4arch9wavefront6targetE0EEEvT1_
; %bb.0:
	.section	.rodata,"a",@progbits
	.p2align	6, 0x0
	.amdhsa_kernel _ZN7rocprim17ROCPRIM_400000_NS6detail17trampoline_kernelINS0_14default_configENS1_25partition_config_selectorILNS1_17partition_subalgoE5EtNS0_10empty_typeEbEEZZNS1_14partition_implILS5_5ELb0ES3_mN6thrust23THRUST_200600_302600_NS6detail15normal_iteratorINSA_10device_ptrItEEEEPS6_NSA_18transform_iteratorINSB_9not_fun_tI7is_trueItEEESF_NSA_11use_defaultESM_EENS0_5tupleIJSF_S6_EEENSO_IJSG_SG_EEES6_PlJS6_EEE10hipError_tPvRmT3_T4_T5_T6_T7_T9_mT8_P12ihipStream_tbDpT10_ENKUlT_T0_E_clISt17integral_constantIbLb1EES1A_IbLb0EEEEDaS16_S17_EUlS16_E_NS1_11comp_targetILNS1_3genE2ELNS1_11target_archE906ELNS1_3gpuE6ELNS1_3repE0EEENS1_30default_config_static_selectorELNS0_4arch9wavefront6targetE0EEEvT1_
		.amdhsa_group_segment_fixed_size 0
		.amdhsa_private_segment_fixed_size 0
		.amdhsa_kernarg_size 120
		.amdhsa_user_sgpr_count 2
		.amdhsa_user_sgpr_dispatch_ptr 0
		.amdhsa_user_sgpr_queue_ptr 0
		.amdhsa_user_sgpr_kernarg_segment_ptr 1
		.amdhsa_user_sgpr_dispatch_id 0
		.amdhsa_user_sgpr_private_segment_size 0
		.amdhsa_wavefront_size32 1
		.amdhsa_uses_dynamic_stack 0
		.amdhsa_enable_private_segment 0
		.amdhsa_system_sgpr_workgroup_id_x 1
		.amdhsa_system_sgpr_workgroup_id_y 0
		.amdhsa_system_sgpr_workgroup_id_z 0
		.amdhsa_system_sgpr_workgroup_info 0
		.amdhsa_system_vgpr_workitem_id 0
		.amdhsa_next_free_vgpr 1
		.amdhsa_next_free_sgpr 1
		.amdhsa_reserve_vcc 0
		.amdhsa_float_round_mode_32 0
		.amdhsa_float_round_mode_16_64 0
		.amdhsa_float_denorm_mode_32 3
		.amdhsa_float_denorm_mode_16_64 3
		.amdhsa_fp16_overflow 0
		.amdhsa_workgroup_processor_mode 1
		.amdhsa_memory_ordered 1
		.amdhsa_forward_progress 1
		.amdhsa_inst_pref_size 0
		.amdhsa_round_robin_scheduling 0
		.amdhsa_exception_fp_ieee_invalid_op 0
		.amdhsa_exception_fp_denorm_src 0
		.amdhsa_exception_fp_ieee_div_zero 0
		.amdhsa_exception_fp_ieee_overflow 0
		.amdhsa_exception_fp_ieee_underflow 0
		.amdhsa_exception_fp_ieee_inexact 0
		.amdhsa_exception_int_div_zero 0
	.end_amdhsa_kernel
	.section	.text._ZN7rocprim17ROCPRIM_400000_NS6detail17trampoline_kernelINS0_14default_configENS1_25partition_config_selectorILNS1_17partition_subalgoE5EtNS0_10empty_typeEbEEZZNS1_14partition_implILS5_5ELb0ES3_mN6thrust23THRUST_200600_302600_NS6detail15normal_iteratorINSA_10device_ptrItEEEEPS6_NSA_18transform_iteratorINSB_9not_fun_tI7is_trueItEEESF_NSA_11use_defaultESM_EENS0_5tupleIJSF_S6_EEENSO_IJSG_SG_EEES6_PlJS6_EEE10hipError_tPvRmT3_T4_T5_T6_T7_T9_mT8_P12ihipStream_tbDpT10_ENKUlT_T0_E_clISt17integral_constantIbLb1EES1A_IbLb0EEEEDaS16_S17_EUlS16_E_NS1_11comp_targetILNS1_3genE2ELNS1_11target_archE906ELNS1_3gpuE6ELNS1_3repE0EEENS1_30default_config_static_selectorELNS0_4arch9wavefront6targetE0EEEvT1_,"axG",@progbits,_ZN7rocprim17ROCPRIM_400000_NS6detail17trampoline_kernelINS0_14default_configENS1_25partition_config_selectorILNS1_17partition_subalgoE5EtNS0_10empty_typeEbEEZZNS1_14partition_implILS5_5ELb0ES3_mN6thrust23THRUST_200600_302600_NS6detail15normal_iteratorINSA_10device_ptrItEEEEPS6_NSA_18transform_iteratorINSB_9not_fun_tI7is_trueItEEESF_NSA_11use_defaultESM_EENS0_5tupleIJSF_S6_EEENSO_IJSG_SG_EEES6_PlJS6_EEE10hipError_tPvRmT3_T4_T5_T6_T7_T9_mT8_P12ihipStream_tbDpT10_ENKUlT_T0_E_clISt17integral_constantIbLb1EES1A_IbLb0EEEEDaS16_S17_EUlS16_E_NS1_11comp_targetILNS1_3genE2ELNS1_11target_archE906ELNS1_3gpuE6ELNS1_3repE0EEENS1_30default_config_static_selectorELNS0_4arch9wavefront6targetE0EEEvT1_,comdat
.Lfunc_end1454:
	.size	_ZN7rocprim17ROCPRIM_400000_NS6detail17trampoline_kernelINS0_14default_configENS1_25partition_config_selectorILNS1_17partition_subalgoE5EtNS0_10empty_typeEbEEZZNS1_14partition_implILS5_5ELb0ES3_mN6thrust23THRUST_200600_302600_NS6detail15normal_iteratorINSA_10device_ptrItEEEEPS6_NSA_18transform_iteratorINSB_9not_fun_tI7is_trueItEEESF_NSA_11use_defaultESM_EENS0_5tupleIJSF_S6_EEENSO_IJSG_SG_EEES6_PlJS6_EEE10hipError_tPvRmT3_T4_T5_T6_T7_T9_mT8_P12ihipStream_tbDpT10_ENKUlT_T0_E_clISt17integral_constantIbLb1EES1A_IbLb0EEEEDaS16_S17_EUlS16_E_NS1_11comp_targetILNS1_3genE2ELNS1_11target_archE906ELNS1_3gpuE6ELNS1_3repE0EEENS1_30default_config_static_selectorELNS0_4arch9wavefront6targetE0EEEvT1_, .Lfunc_end1454-_ZN7rocprim17ROCPRIM_400000_NS6detail17trampoline_kernelINS0_14default_configENS1_25partition_config_selectorILNS1_17partition_subalgoE5EtNS0_10empty_typeEbEEZZNS1_14partition_implILS5_5ELb0ES3_mN6thrust23THRUST_200600_302600_NS6detail15normal_iteratorINSA_10device_ptrItEEEEPS6_NSA_18transform_iteratorINSB_9not_fun_tI7is_trueItEEESF_NSA_11use_defaultESM_EENS0_5tupleIJSF_S6_EEENSO_IJSG_SG_EEES6_PlJS6_EEE10hipError_tPvRmT3_T4_T5_T6_T7_T9_mT8_P12ihipStream_tbDpT10_ENKUlT_T0_E_clISt17integral_constantIbLb1EES1A_IbLb0EEEEDaS16_S17_EUlS16_E_NS1_11comp_targetILNS1_3genE2ELNS1_11target_archE906ELNS1_3gpuE6ELNS1_3repE0EEENS1_30default_config_static_selectorELNS0_4arch9wavefront6targetE0EEEvT1_
                                        ; -- End function
	.set _ZN7rocprim17ROCPRIM_400000_NS6detail17trampoline_kernelINS0_14default_configENS1_25partition_config_selectorILNS1_17partition_subalgoE5EtNS0_10empty_typeEbEEZZNS1_14partition_implILS5_5ELb0ES3_mN6thrust23THRUST_200600_302600_NS6detail15normal_iteratorINSA_10device_ptrItEEEEPS6_NSA_18transform_iteratorINSB_9not_fun_tI7is_trueItEEESF_NSA_11use_defaultESM_EENS0_5tupleIJSF_S6_EEENSO_IJSG_SG_EEES6_PlJS6_EEE10hipError_tPvRmT3_T4_T5_T6_T7_T9_mT8_P12ihipStream_tbDpT10_ENKUlT_T0_E_clISt17integral_constantIbLb1EES1A_IbLb0EEEEDaS16_S17_EUlS16_E_NS1_11comp_targetILNS1_3genE2ELNS1_11target_archE906ELNS1_3gpuE6ELNS1_3repE0EEENS1_30default_config_static_selectorELNS0_4arch9wavefront6targetE0EEEvT1_.num_vgpr, 0
	.set _ZN7rocprim17ROCPRIM_400000_NS6detail17trampoline_kernelINS0_14default_configENS1_25partition_config_selectorILNS1_17partition_subalgoE5EtNS0_10empty_typeEbEEZZNS1_14partition_implILS5_5ELb0ES3_mN6thrust23THRUST_200600_302600_NS6detail15normal_iteratorINSA_10device_ptrItEEEEPS6_NSA_18transform_iteratorINSB_9not_fun_tI7is_trueItEEESF_NSA_11use_defaultESM_EENS0_5tupleIJSF_S6_EEENSO_IJSG_SG_EEES6_PlJS6_EEE10hipError_tPvRmT3_T4_T5_T6_T7_T9_mT8_P12ihipStream_tbDpT10_ENKUlT_T0_E_clISt17integral_constantIbLb1EES1A_IbLb0EEEEDaS16_S17_EUlS16_E_NS1_11comp_targetILNS1_3genE2ELNS1_11target_archE906ELNS1_3gpuE6ELNS1_3repE0EEENS1_30default_config_static_selectorELNS0_4arch9wavefront6targetE0EEEvT1_.num_agpr, 0
	.set _ZN7rocprim17ROCPRIM_400000_NS6detail17trampoline_kernelINS0_14default_configENS1_25partition_config_selectorILNS1_17partition_subalgoE5EtNS0_10empty_typeEbEEZZNS1_14partition_implILS5_5ELb0ES3_mN6thrust23THRUST_200600_302600_NS6detail15normal_iteratorINSA_10device_ptrItEEEEPS6_NSA_18transform_iteratorINSB_9not_fun_tI7is_trueItEEESF_NSA_11use_defaultESM_EENS0_5tupleIJSF_S6_EEENSO_IJSG_SG_EEES6_PlJS6_EEE10hipError_tPvRmT3_T4_T5_T6_T7_T9_mT8_P12ihipStream_tbDpT10_ENKUlT_T0_E_clISt17integral_constantIbLb1EES1A_IbLb0EEEEDaS16_S17_EUlS16_E_NS1_11comp_targetILNS1_3genE2ELNS1_11target_archE906ELNS1_3gpuE6ELNS1_3repE0EEENS1_30default_config_static_selectorELNS0_4arch9wavefront6targetE0EEEvT1_.numbered_sgpr, 0
	.set _ZN7rocprim17ROCPRIM_400000_NS6detail17trampoline_kernelINS0_14default_configENS1_25partition_config_selectorILNS1_17partition_subalgoE5EtNS0_10empty_typeEbEEZZNS1_14partition_implILS5_5ELb0ES3_mN6thrust23THRUST_200600_302600_NS6detail15normal_iteratorINSA_10device_ptrItEEEEPS6_NSA_18transform_iteratorINSB_9not_fun_tI7is_trueItEEESF_NSA_11use_defaultESM_EENS0_5tupleIJSF_S6_EEENSO_IJSG_SG_EEES6_PlJS6_EEE10hipError_tPvRmT3_T4_T5_T6_T7_T9_mT8_P12ihipStream_tbDpT10_ENKUlT_T0_E_clISt17integral_constantIbLb1EES1A_IbLb0EEEEDaS16_S17_EUlS16_E_NS1_11comp_targetILNS1_3genE2ELNS1_11target_archE906ELNS1_3gpuE6ELNS1_3repE0EEENS1_30default_config_static_selectorELNS0_4arch9wavefront6targetE0EEEvT1_.num_named_barrier, 0
	.set _ZN7rocprim17ROCPRIM_400000_NS6detail17trampoline_kernelINS0_14default_configENS1_25partition_config_selectorILNS1_17partition_subalgoE5EtNS0_10empty_typeEbEEZZNS1_14partition_implILS5_5ELb0ES3_mN6thrust23THRUST_200600_302600_NS6detail15normal_iteratorINSA_10device_ptrItEEEEPS6_NSA_18transform_iteratorINSB_9not_fun_tI7is_trueItEEESF_NSA_11use_defaultESM_EENS0_5tupleIJSF_S6_EEENSO_IJSG_SG_EEES6_PlJS6_EEE10hipError_tPvRmT3_T4_T5_T6_T7_T9_mT8_P12ihipStream_tbDpT10_ENKUlT_T0_E_clISt17integral_constantIbLb1EES1A_IbLb0EEEEDaS16_S17_EUlS16_E_NS1_11comp_targetILNS1_3genE2ELNS1_11target_archE906ELNS1_3gpuE6ELNS1_3repE0EEENS1_30default_config_static_selectorELNS0_4arch9wavefront6targetE0EEEvT1_.private_seg_size, 0
	.set _ZN7rocprim17ROCPRIM_400000_NS6detail17trampoline_kernelINS0_14default_configENS1_25partition_config_selectorILNS1_17partition_subalgoE5EtNS0_10empty_typeEbEEZZNS1_14partition_implILS5_5ELb0ES3_mN6thrust23THRUST_200600_302600_NS6detail15normal_iteratorINSA_10device_ptrItEEEEPS6_NSA_18transform_iteratorINSB_9not_fun_tI7is_trueItEEESF_NSA_11use_defaultESM_EENS0_5tupleIJSF_S6_EEENSO_IJSG_SG_EEES6_PlJS6_EEE10hipError_tPvRmT3_T4_T5_T6_T7_T9_mT8_P12ihipStream_tbDpT10_ENKUlT_T0_E_clISt17integral_constantIbLb1EES1A_IbLb0EEEEDaS16_S17_EUlS16_E_NS1_11comp_targetILNS1_3genE2ELNS1_11target_archE906ELNS1_3gpuE6ELNS1_3repE0EEENS1_30default_config_static_selectorELNS0_4arch9wavefront6targetE0EEEvT1_.uses_vcc, 0
	.set _ZN7rocprim17ROCPRIM_400000_NS6detail17trampoline_kernelINS0_14default_configENS1_25partition_config_selectorILNS1_17partition_subalgoE5EtNS0_10empty_typeEbEEZZNS1_14partition_implILS5_5ELb0ES3_mN6thrust23THRUST_200600_302600_NS6detail15normal_iteratorINSA_10device_ptrItEEEEPS6_NSA_18transform_iteratorINSB_9not_fun_tI7is_trueItEEESF_NSA_11use_defaultESM_EENS0_5tupleIJSF_S6_EEENSO_IJSG_SG_EEES6_PlJS6_EEE10hipError_tPvRmT3_T4_T5_T6_T7_T9_mT8_P12ihipStream_tbDpT10_ENKUlT_T0_E_clISt17integral_constantIbLb1EES1A_IbLb0EEEEDaS16_S17_EUlS16_E_NS1_11comp_targetILNS1_3genE2ELNS1_11target_archE906ELNS1_3gpuE6ELNS1_3repE0EEENS1_30default_config_static_selectorELNS0_4arch9wavefront6targetE0EEEvT1_.uses_flat_scratch, 0
	.set _ZN7rocprim17ROCPRIM_400000_NS6detail17trampoline_kernelINS0_14default_configENS1_25partition_config_selectorILNS1_17partition_subalgoE5EtNS0_10empty_typeEbEEZZNS1_14partition_implILS5_5ELb0ES3_mN6thrust23THRUST_200600_302600_NS6detail15normal_iteratorINSA_10device_ptrItEEEEPS6_NSA_18transform_iteratorINSB_9not_fun_tI7is_trueItEEESF_NSA_11use_defaultESM_EENS0_5tupleIJSF_S6_EEENSO_IJSG_SG_EEES6_PlJS6_EEE10hipError_tPvRmT3_T4_T5_T6_T7_T9_mT8_P12ihipStream_tbDpT10_ENKUlT_T0_E_clISt17integral_constantIbLb1EES1A_IbLb0EEEEDaS16_S17_EUlS16_E_NS1_11comp_targetILNS1_3genE2ELNS1_11target_archE906ELNS1_3gpuE6ELNS1_3repE0EEENS1_30default_config_static_selectorELNS0_4arch9wavefront6targetE0EEEvT1_.has_dyn_sized_stack, 0
	.set _ZN7rocprim17ROCPRIM_400000_NS6detail17trampoline_kernelINS0_14default_configENS1_25partition_config_selectorILNS1_17partition_subalgoE5EtNS0_10empty_typeEbEEZZNS1_14partition_implILS5_5ELb0ES3_mN6thrust23THRUST_200600_302600_NS6detail15normal_iteratorINSA_10device_ptrItEEEEPS6_NSA_18transform_iteratorINSB_9not_fun_tI7is_trueItEEESF_NSA_11use_defaultESM_EENS0_5tupleIJSF_S6_EEENSO_IJSG_SG_EEES6_PlJS6_EEE10hipError_tPvRmT3_T4_T5_T6_T7_T9_mT8_P12ihipStream_tbDpT10_ENKUlT_T0_E_clISt17integral_constantIbLb1EES1A_IbLb0EEEEDaS16_S17_EUlS16_E_NS1_11comp_targetILNS1_3genE2ELNS1_11target_archE906ELNS1_3gpuE6ELNS1_3repE0EEENS1_30default_config_static_selectorELNS0_4arch9wavefront6targetE0EEEvT1_.has_recursion, 0
	.set _ZN7rocprim17ROCPRIM_400000_NS6detail17trampoline_kernelINS0_14default_configENS1_25partition_config_selectorILNS1_17partition_subalgoE5EtNS0_10empty_typeEbEEZZNS1_14partition_implILS5_5ELb0ES3_mN6thrust23THRUST_200600_302600_NS6detail15normal_iteratorINSA_10device_ptrItEEEEPS6_NSA_18transform_iteratorINSB_9not_fun_tI7is_trueItEEESF_NSA_11use_defaultESM_EENS0_5tupleIJSF_S6_EEENSO_IJSG_SG_EEES6_PlJS6_EEE10hipError_tPvRmT3_T4_T5_T6_T7_T9_mT8_P12ihipStream_tbDpT10_ENKUlT_T0_E_clISt17integral_constantIbLb1EES1A_IbLb0EEEEDaS16_S17_EUlS16_E_NS1_11comp_targetILNS1_3genE2ELNS1_11target_archE906ELNS1_3gpuE6ELNS1_3repE0EEENS1_30default_config_static_selectorELNS0_4arch9wavefront6targetE0EEEvT1_.has_indirect_call, 0
	.section	.AMDGPU.csdata,"",@progbits
; Kernel info:
; codeLenInByte = 0
; TotalNumSgprs: 0
; NumVgprs: 0
; ScratchSize: 0
; MemoryBound: 0
; FloatMode: 240
; IeeeMode: 1
; LDSByteSize: 0 bytes/workgroup (compile time only)
; SGPRBlocks: 0
; VGPRBlocks: 0
; NumSGPRsForWavesPerEU: 1
; NumVGPRsForWavesPerEU: 1
; Occupancy: 16
; WaveLimiterHint : 0
; COMPUTE_PGM_RSRC2:SCRATCH_EN: 0
; COMPUTE_PGM_RSRC2:USER_SGPR: 2
; COMPUTE_PGM_RSRC2:TRAP_HANDLER: 0
; COMPUTE_PGM_RSRC2:TGID_X_EN: 1
; COMPUTE_PGM_RSRC2:TGID_Y_EN: 0
; COMPUTE_PGM_RSRC2:TGID_Z_EN: 0
; COMPUTE_PGM_RSRC2:TIDIG_COMP_CNT: 0
	.section	.text._ZN7rocprim17ROCPRIM_400000_NS6detail17trampoline_kernelINS0_14default_configENS1_25partition_config_selectorILNS1_17partition_subalgoE5EtNS0_10empty_typeEbEEZZNS1_14partition_implILS5_5ELb0ES3_mN6thrust23THRUST_200600_302600_NS6detail15normal_iteratorINSA_10device_ptrItEEEEPS6_NSA_18transform_iteratorINSB_9not_fun_tI7is_trueItEEESF_NSA_11use_defaultESM_EENS0_5tupleIJSF_S6_EEENSO_IJSG_SG_EEES6_PlJS6_EEE10hipError_tPvRmT3_T4_T5_T6_T7_T9_mT8_P12ihipStream_tbDpT10_ENKUlT_T0_E_clISt17integral_constantIbLb1EES1A_IbLb0EEEEDaS16_S17_EUlS16_E_NS1_11comp_targetILNS1_3genE10ELNS1_11target_archE1200ELNS1_3gpuE4ELNS1_3repE0EEENS1_30default_config_static_selectorELNS0_4arch9wavefront6targetE0EEEvT1_,"axG",@progbits,_ZN7rocprim17ROCPRIM_400000_NS6detail17trampoline_kernelINS0_14default_configENS1_25partition_config_selectorILNS1_17partition_subalgoE5EtNS0_10empty_typeEbEEZZNS1_14partition_implILS5_5ELb0ES3_mN6thrust23THRUST_200600_302600_NS6detail15normal_iteratorINSA_10device_ptrItEEEEPS6_NSA_18transform_iteratorINSB_9not_fun_tI7is_trueItEEESF_NSA_11use_defaultESM_EENS0_5tupleIJSF_S6_EEENSO_IJSG_SG_EEES6_PlJS6_EEE10hipError_tPvRmT3_T4_T5_T6_T7_T9_mT8_P12ihipStream_tbDpT10_ENKUlT_T0_E_clISt17integral_constantIbLb1EES1A_IbLb0EEEEDaS16_S17_EUlS16_E_NS1_11comp_targetILNS1_3genE10ELNS1_11target_archE1200ELNS1_3gpuE4ELNS1_3repE0EEENS1_30default_config_static_selectorELNS0_4arch9wavefront6targetE0EEEvT1_,comdat
	.protected	_ZN7rocprim17ROCPRIM_400000_NS6detail17trampoline_kernelINS0_14default_configENS1_25partition_config_selectorILNS1_17partition_subalgoE5EtNS0_10empty_typeEbEEZZNS1_14partition_implILS5_5ELb0ES3_mN6thrust23THRUST_200600_302600_NS6detail15normal_iteratorINSA_10device_ptrItEEEEPS6_NSA_18transform_iteratorINSB_9not_fun_tI7is_trueItEEESF_NSA_11use_defaultESM_EENS0_5tupleIJSF_S6_EEENSO_IJSG_SG_EEES6_PlJS6_EEE10hipError_tPvRmT3_T4_T5_T6_T7_T9_mT8_P12ihipStream_tbDpT10_ENKUlT_T0_E_clISt17integral_constantIbLb1EES1A_IbLb0EEEEDaS16_S17_EUlS16_E_NS1_11comp_targetILNS1_3genE10ELNS1_11target_archE1200ELNS1_3gpuE4ELNS1_3repE0EEENS1_30default_config_static_selectorELNS0_4arch9wavefront6targetE0EEEvT1_ ; -- Begin function _ZN7rocprim17ROCPRIM_400000_NS6detail17trampoline_kernelINS0_14default_configENS1_25partition_config_selectorILNS1_17partition_subalgoE5EtNS0_10empty_typeEbEEZZNS1_14partition_implILS5_5ELb0ES3_mN6thrust23THRUST_200600_302600_NS6detail15normal_iteratorINSA_10device_ptrItEEEEPS6_NSA_18transform_iteratorINSB_9not_fun_tI7is_trueItEEESF_NSA_11use_defaultESM_EENS0_5tupleIJSF_S6_EEENSO_IJSG_SG_EEES6_PlJS6_EEE10hipError_tPvRmT3_T4_T5_T6_T7_T9_mT8_P12ihipStream_tbDpT10_ENKUlT_T0_E_clISt17integral_constantIbLb1EES1A_IbLb0EEEEDaS16_S17_EUlS16_E_NS1_11comp_targetILNS1_3genE10ELNS1_11target_archE1200ELNS1_3gpuE4ELNS1_3repE0EEENS1_30default_config_static_selectorELNS0_4arch9wavefront6targetE0EEEvT1_
	.globl	_ZN7rocprim17ROCPRIM_400000_NS6detail17trampoline_kernelINS0_14default_configENS1_25partition_config_selectorILNS1_17partition_subalgoE5EtNS0_10empty_typeEbEEZZNS1_14partition_implILS5_5ELb0ES3_mN6thrust23THRUST_200600_302600_NS6detail15normal_iteratorINSA_10device_ptrItEEEEPS6_NSA_18transform_iteratorINSB_9not_fun_tI7is_trueItEEESF_NSA_11use_defaultESM_EENS0_5tupleIJSF_S6_EEENSO_IJSG_SG_EEES6_PlJS6_EEE10hipError_tPvRmT3_T4_T5_T6_T7_T9_mT8_P12ihipStream_tbDpT10_ENKUlT_T0_E_clISt17integral_constantIbLb1EES1A_IbLb0EEEEDaS16_S17_EUlS16_E_NS1_11comp_targetILNS1_3genE10ELNS1_11target_archE1200ELNS1_3gpuE4ELNS1_3repE0EEENS1_30default_config_static_selectorELNS0_4arch9wavefront6targetE0EEEvT1_
	.p2align	8
	.type	_ZN7rocprim17ROCPRIM_400000_NS6detail17trampoline_kernelINS0_14default_configENS1_25partition_config_selectorILNS1_17partition_subalgoE5EtNS0_10empty_typeEbEEZZNS1_14partition_implILS5_5ELb0ES3_mN6thrust23THRUST_200600_302600_NS6detail15normal_iteratorINSA_10device_ptrItEEEEPS6_NSA_18transform_iteratorINSB_9not_fun_tI7is_trueItEEESF_NSA_11use_defaultESM_EENS0_5tupleIJSF_S6_EEENSO_IJSG_SG_EEES6_PlJS6_EEE10hipError_tPvRmT3_T4_T5_T6_T7_T9_mT8_P12ihipStream_tbDpT10_ENKUlT_T0_E_clISt17integral_constantIbLb1EES1A_IbLb0EEEEDaS16_S17_EUlS16_E_NS1_11comp_targetILNS1_3genE10ELNS1_11target_archE1200ELNS1_3gpuE4ELNS1_3repE0EEENS1_30default_config_static_selectorELNS0_4arch9wavefront6targetE0EEEvT1_,@function
_ZN7rocprim17ROCPRIM_400000_NS6detail17trampoline_kernelINS0_14default_configENS1_25partition_config_selectorILNS1_17partition_subalgoE5EtNS0_10empty_typeEbEEZZNS1_14partition_implILS5_5ELb0ES3_mN6thrust23THRUST_200600_302600_NS6detail15normal_iteratorINSA_10device_ptrItEEEEPS6_NSA_18transform_iteratorINSB_9not_fun_tI7is_trueItEEESF_NSA_11use_defaultESM_EENS0_5tupleIJSF_S6_EEENSO_IJSG_SG_EEES6_PlJS6_EEE10hipError_tPvRmT3_T4_T5_T6_T7_T9_mT8_P12ihipStream_tbDpT10_ENKUlT_T0_E_clISt17integral_constantIbLb1EES1A_IbLb0EEEEDaS16_S17_EUlS16_E_NS1_11comp_targetILNS1_3genE10ELNS1_11target_archE1200ELNS1_3gpuE4ELNS1_3repE0EEENS1_30default_config_static_selectorELNS0_4arch9wavefront6targetE0EEEvT1_: ; @_ZN7rocprim17ROCPRIM_400000_NS6detail17trampoline_kernelINS0_14default_configENS1_25partition_config_selectorILNS1_17partition_subalgoE5EtNS0_10empty_typeEbEEZZNS1_14partition_implILS5_5ELb0ES3_mN6thrust23THRUST_200600_302600_NS6detail15normal_iteratorINSA_10device_ptrItEEEEPS6_NSA_18transform_iteratorINSB_9not_fun_tI7is_trueItEEESF_NSA_11use_defaultESM_EENS0_5tupleIJSF_S6_EEENSO_IJSG_SG_EEES6_PlJS6_EEE10hipError_tPvRmT3_T4_T5_T6_T7_T9_mT8_P12ihipStream_tbDpT10_ENKUlT_T0_E_clISt17integral_constantIbLb1EES1A_IbLb0EEEEDaS16_S17_EUlS16_E_NS1_11comp_targetILNS1_3genE10ELNS1_11target_archE1200ELNS1_3gpuE4ELNS1_3repE0EEENS1_30default_config_static_selectorELNS0_4arch9wavefront6targetE0EEEvT1_
; %bb.0:
	s_endpgm
	.section	.rodata,"a",@progbits
	.p2align	6, 0x0
	.amdhsa_kernel _ZN7rocprim17ROCPRIM_400000_NS6detail17trampoline_kernelINS0_14default_configENS1_25partition_config_selectorILNS1_17partition_subalgoE5EtNS0_10empty_typeEbEEZZNS1_14partition_implILS5_5ELb0ES3_mN6thrust23THRUST_200600_302600_NS6detail15normal_iteratorINSA_10device_ptrItEEEEPS6_NSA_18transform_iteratorINSB_9not_fun_tI7is_trueItEEESF_NSA_11use_defaultESM_EENS0_5tupleIJSF_S6_EEENSO_IJSG_SG_EEES6_PlJS6_EEE10hipError_tPvRmT3_T4_T5_T6_T7_T9_mT8_P12ihipStream_tbDpT10_ENKUlT_T0_E_clISt17integral_constantIbLb1EES1A_IbLb0EEEEDaS16_S17_EUlS16_E_NS1_11comp_targetILNS1_3genE10ELNS1_11target_archE1200ELNS1_3gpuE4ELNS1_3repE0EEENS1_30default_config_static_selectorELNS0_4arch9wavefront6targetE0EEEvT1_
		.amdhsa_group_segment_fixed_size 0
		.amdhsa_private_segment_fixed_size 0
		.amdhsa_kernarg_size 120
		.amdhsa_user_sgpr_count 2
		.amdhsa_user_sgpr_dispatch_ptr 0
		.amdhsa_user_sgpr_queue_ptr 0
		.amdhsa_user_sgpr_kernarg_segment_ptr 1
		.amdhsa_user_sgpr_dispatch_id 0
		.amdhsa_user_sgpr_private_segment_size 0
		.amdhsa_wavefront_size32 1
		.amdhsa_uses_dynamic_stack 0
		.amdhsa_enable_private_segment 0
		.amdhsa_system_sgpr_workgroup_id_x 1
		.amdhsa_system_sgpr_workgroup_id_y 0
		.amdhsa_system_sgpr_workgroup_id_z 0
		.amdhsa_system_sgpr_workgroup_info 0
		.amdhsa_system_vgpr_workitem_id 0
		.amdhsa_next_free_vgpr 1
		.amdhsa_next_free_sgpr 1
		.amdhsa_reserve_vcc 0
		.amdhsa_float_round_mode_32 0
		.amdhsa_float_round_mode_16_64 0
		.amdhsa_float_denorm_mode_32 3
		.amdhsa_float_denorm_mode_16_64 3
		.amdhsa_fp16_overflow 0
		.amdhsa_workgroup_processor_mode 1
		.amdhsa_memory_ordered 1
		.amdhsa_forward_progress 1
		.amdhsa_inst_pref_size 1
		.amdhsa_round_robin_scheduling 0
		.amdhsa_exception_fp_ieee_invalid_op 0
		.amdhsa_exception_fp_denorm_src 0
		.amdhsa_exception_fp_ieee_div_zero 0
		.amdhsa_exception_fp_ieee_overflow 0
		.amdhsa_exception_fp_ieee_underflow 0
		.amdhsa_exception_fp_ieee_inexact 0
		.amdhsa_exception_int_div_zero 0
	.end_amdhsa_kernel
	.section	.text._ZN7rocprim17ROCPRIM_400000_NS6detail17trampoline_kernelINS0_14default_configENS1_25partition_config_selectorILNS1_17partition_subalgoE5EtNS0_10empty_typeEbEEZZNS1_14partition_implILS5_5ELb0ES3_mN6thrust23THRUST_200600_302600_NS6detail15normal_iteratorINSA_10device_ptrItEEEEPS6_NSA_18transform_iteratorINSB_9not_fun_tI7is_trueItEEESF_NSA_11use_defaultESM_EENS0_5tupleIJSF_S6_EEENSO_IJSG_SG_EEES6_PlJS6_EEE10hipError_tPvRmT3_T4_T5_T6_T7_T9_mT8_P12ihipStream_tbDpT10_ENKUlT_T0_E_clISt17integral_constantIbLb1EES1A_IbLb0EEEEDaS16_S17_EUlS16_E_NS1_11comp_targetILNS1_3genE10ELNS1_11target_archE1200ELNS1_3gpuE4ELNS1_3repE0EEENS1_30default_config_static_selectorELNS0_4arch9wavefront6targetE0EEEvT1_,"axG",@progbits,_ZN7rocprim17ROCPRIM_400000_NS6detail17trampoline_kernelINS0_14default_configENS1_25partition_config_selectorILNS1_17partition_subalgoE5EtNS0_10empty_typeEbEEZZNS1_14partition_implILS5_5ELb0ES3_mN6thrust23THRUST_200600_302600_NS6detail15normal_iteratorINSA_10device_ptrItEEEEPS6_NSA_18transform_iteratorINSB_9not_fun_tI7is_trueItEEESF_NSA_11use_defaultESM_EENS0_5tupleIJSF_S6_EEENSO_IJSG_SG_EEES6_PlJS6_EEE10hipError_tPvRmT3_T4_T5_T6_T7_T9_mT8_P12ihipStream_tbDpT10_ENKUlT_T0_E_clISt17integral_constantIbLb1EES1A_IbLb0EEEEDaS16_S17_EUlS16_E_NS1_11comp_targetILNS1_3genE10ELNS1_11target_archE1200ELNS1_3gpuE4ELNS1_3repE0EEENS1_30default_config_static_selectorELNS0_4arch9wavefront6targetE0EEEvT1_,comdat
.Lfunc_end1455:
	.size	_ZN7rocprim17ROCPRIM_400000_NS6detail17trampoline_kernelINS0_14default_configENS1_25partition_config_selectorILNS1_17partition_subalgoE5EtNS0_10empty_typeEbEEZZNS1_14partition_implILS5_5ELb0ES3_mN6thrust23THRUST_200600_302600_NS6detail15normal_iteratorINSA_10device_ptrItEEEEPS6_NSA_18transform_iteratorINSB_9not_fun_tI7is_trueItEEESF_NSA_11use_defaultESM_EENS0_5tupleIJSF_S6_EEENSO_IJSG_SG_EEES6_PlJS6_EEE10hipError_tPvRmT3_T4_T5_T6_T7_T9_mT8_P12ihipStream_tbDpT10_ENKUlT_T0_E_clISt17integral_constantIbLb1EES1A_IbLb0EEEEDaS16_S17_EUlS16_E_NS1_11comp_targetILNS1_3genE10ELNS1_11target_archE1200ELNS1_3gpuE4ELNS1_3repE0EEENS1_30default_config_static_selectorELNS0_4arch9wavefront6targetE0EEEvT1_, .Lfunc_end1455-_ZN7rocprim17ROCPRIM_400000_NS6detail17trampoline_kernelINS0_14default_configENS1_25partition_config_selectorILNS1_17partition_subalgoE5EtNS0_10empty_typeEbEEZZNS1_14partition_implILS5_5ELb0ES3_mN6thrust23THRUST_200600_302600_NS6detail15normal_iteratorINSA_10device_ptrItEEEEPS6_NSA_18transform_iteratorINSB_9not_fun_tI7is_trueItEEESF_NSA_11use_defaultESM_EENS0_5tupleIJSF_S6_EEENSO_IJSG_SG_EEES6_PlJS6_EEE10hipError_tPvRmT3_T4_T5_T6_T7_T9_mT8_P12ihipStream_tbDpT10_ENKUlT_T0_E_clISt17integral_constantIbLb1EES1A_IbLb0EEEEDaS16_S17_EUlS16_E_NS1_11comp_targetILNS1_3genE10ELNS1_11target_archE1200ELNS1_3gpuE4ELNS1_3repE0EEENS1_30default_config_static_selectorELNS0_4arch9wavefront6targetE0EEEvT1_
                                        ; -- End function
	.set _ZN7rocprim17ROCPRIM_400000_NS6detail17trampoline_kernelINS0_14default_configENS1_25partition_config_selectorILNS1_17partition_subalgoE5EtNS0_10empty_typeEbEEZZNS1_14partition_implILS5_5ELb0ES3_mN6thrust23THRUST_200600_302600_NS6detail15normal_iteratorINSA_10device_ptrItEEEEPS6_NSA_18transform_iteratorINSB_9not_fun_tI7is_trueItEEESF_NSA_11use_defaultESM_EENS0_5tupleIJSF_S6_EEENSO_IJSG_SG_EEES6_PlJS6_EEE10hipError_tPvRmT3_T4_T5_T6_T7_T9_mT8_P12ihipStream_tbDpT10_ENKUlT_T0_E_clISt17integral_constantIbLb1EES1A_IbLb0EEEEDaS16_S17_EUlS16_E_NS1_11comp_targetILNS1_3genE10ELNS1_11target_archE1200ELNS1_3gpuE4ELNS1_3repE0EEENS1_30default_config_static_selectorELNS0_4arch9wavefront6targetE0EEEvT1_.num_vgpr, 0
	.set _ZN7rocprim17ROCPRIM_400000_NS6detail17trampoline_kernelINS0_14default_configENS1_25partition_config_selectorILNS1_17partition_subalgoE5EtNS0_10empty_typeEbEEZZNS1_14partition_implILS5_5ELb0ES3_mN6thrust23THRUST_200600_302600_NS6detail15normal_iteratorINSA_10device_ptrItEEEEPS6_NSA_18transform_iteratorINSB_9not_fun_tI7is_trueItEEESF_NSA_11use_defaultESM_EENS0_5tupleIJSF_S6_EEENSO_IJSG_SG_EEES6_PlJS6_EEE10hipError_tPvRmT3_T4_T5_T6_T7_T9_mT8_P12ihipStream_tbDpT10_ENKUlT_T0_E_clISt17integral_constantIbLb1EES1A_IbLb0EEEEDaS16_S17_EUlS16_E_NS1_11comp_targetILNS1_3genE10ELNS1_11target_archE1200ELNS1_3gpuE4ELNS1_3repE0EEENS1_30default_config_static_selectorELNS0_4arch9wavefront6targetE0EEEvT1_.num_agpr, 0
	.set _ZN7rocprim17ROCPRIM_400000_NS6detail17trampoline_kernelINS0_14default_configENS1_25partition_config_selectorILNS1_17partition_subalgoE5EtNS0_10empty_typeEbEEZZNS1_14partition_implILS5_5ELb0ES3_mN6thrust23THRUST_200600_302600_NS6detail15normal_iteratorINSA_10device_ptrItEEEEPS6_NSA_18transform_iteratorINSB_9not_fun_tI7is_trueItEEESF_NSA_11use_defaultESM_EENS0_5tupleIJSF_S6_EEENSO_IJSG_SG_EEES6_PlJS6_EEE10hipError_tPvRmT3_T4_T5_T6_T7_T9_mT8_P12ihipStream_tbDpT10_ENKUlT_T0_E_clISt17integral_constantIbLb1EES1A_IbLb0EEEEDaS16_S17_EUlS16_E_NS1_11comp_targetILNS1_3genE10ELNS1_11target_archE1200ELNS1_3gpuE4ELNS1_3repE0EEENS1_30default_config_static_selectorELNS0_4arch9wavefront6targetE0EEEvT1_.numbered_sgpr, 0
	.set _ZN7rocprim17ROCPRIM_400000_NS6detail17trampoline_kernelINS0_14default_configENS1_25partition_config_selectorILNS1_17partition_subalgoE5EtNS0_10empty_typeEbEEZZNS1_14partition_implILS5_5ELb0ES3_mN6thrust23THRUST_200600_302600_NS6detail15normal_iteratorINSA_10device_ptrItEEEEPS6_NSA_18transform_iteratorINSB_9not_fun_tI7is_trueItEEESF_NSA_11use_defaultESM_EENS0_5tupleIJSF_S6_EEENSO_IJSG_SG_EEES6_PlJS6_EEE10hipError_tPvRmT3_T4_T5_T6_T7_T9_mT8_P12ihipStream_tbDpT10_ENKUlT_T0_E_clISt17integral_constantIbLb1EES1A_IbLb0EEEEDaS16_S17_EUlS16_E_NS1_11comp_targetILNS1_3genE10ELNS1_11target_archE1200ELNS1_3gpuE4ELNS1_3repE0EEENS1_30default_config_static_selectorELNS0_4arch9wavefront6targetE0EEEvT1_.num_named_barrier, 0
	.set _ZN7rocprim17ROCPRIM_400000_NS6detail17trampoline_kernelINS0_14default_configENS1_25partition_config_selectorILNS1_17partition_subalgoE5EtNS0_10empty_typeEbEEZZNS1_14partition_implILS5_5ELb0ES3_mN6thrust23THRUST_200600_302600_NS6detail15normal_iteratorINSA_10device_ptrItEEEEPS6_NSA_18transform_iteratorINSB_9not_fun_tI7is_trueItEEESF_NSA_11use_defaultESM_EENS0_5tupleIJSF_S6_EEENSO_IJSG_SG_EEES6_PlJS6_EEE10hipError_tPvRmT3_T4_T5_T6_T7_T9_mT8_P12ihipStream_tbDpT10_ENKUlT_T0_E_clISt17integral_constantIbLb1EES1A_IbLb0EEEEDaS16_S17_EUlS16_E_NS1_11comp_targetILNS1_3genE10ELNS1_11target_archE1200ELNS1_3gpuE4ELNS1_3repE0EEENS1_30default_config_static_selectorELNS0_4arch9wavefront6targetE0EEEvT1_.private_seg_size, 0
	.set _ZN7rocprim17ROCPRIM_400000_NS6detail17trampoline_kernelINS0_14default_configENS1_25partition_config_selectorILNS1_17partition_subalgoE5EtNS0_10empty_typeEbEEZZNS1_14partition_implILS5_5ELb0ES3_mN6thrust23THRUST_200600_302600_NS6detail15normal_iteratorINSA_10device_ptrItEEEEPS6_NSA_18transform_iteratorINSB_9not_fun_tI7is_trueItEEESF_NSA_11use_defaultESM_EENS0_5tupleIJSF_S6_EEENSO_IJSG_SG_EEES6_PlJS6_EEE10hipError_tPvRmT3_T4_T5_T6_T7_T9_mT8_P12ihipStream_tbDpT10_ENKUlT_T0_E_clISt17integral_constantIbLb1EES1A_IbLb0EEEEDaS16_S17_EUlS16_E_NS1_11comp_targetILNS1_3genE10ELNS1_11target_archE1200ELNS1_3gpuE4ELNS1_3repE0EEENS1_30default_config_static_selectorELNS0_4arch9wavefront6targetE0EEEvT1_.uses_vcc, 0
	.set _ZN7rocprim17ROCPRIM_400000_NS6detail17trampoline_kernelINS0_14default_configENS1_25partition_config_selectorILNS1_17partition_subalgoE5EtNS0_10empty_typeEbEEZZNS1_14partition_implILS5_5ELb0ES3_mN6thrust23THRUST_200600_302600_NS6detail15normal_iteratorINSA_10device_ptrItEEEEPS6_NSA_18transform_iteratorINSB_9not_fun_tI7is_trueItEEESF_NSA_11use_defaultESM_EENS0_5tupleIJSF_S6_EEENSO_IJSG_SG_EEES6_PlJS6_EEE10hipError_tPvRmT3_T4_T5_T6_T7_T9_mT8_P12ihipStream_tbDpT10_ENKUlT_T0_E_clISt17integral_constantIbLb1EES1A_IbLb0EEEEDaS16_S17_EUlS16_E_NS1_11comp_targetILNS1_3genE10ELNS1_11target_archE1200ELNS1_3gpuE4ELNS1_3repE0EEENS1_30default_config_static_selectorELNS0_4arch9wavefront6targetE0EEEvT1_.uses_flat_scratch, 0
	.set _ZN7rocprim17ROCPRIM_400000_NS6detail17trampoline_kernelINS0_14default_configENS1_25partition_config_selectorILNS1_17partition_subalgoE5EtNS0_10empty_typeEbEEZZNS1_14partition_implILS5_5ELb0ES3_mN6thrust23THRUST_200600_302600_NS6detail15normal_iteratorINSA_10device_ptrItEEEEPS6_NSA_18transform_iteratorINSB_9not_fun_tI7is_trueItEEESF_NSA_11use_defaultESM_EENS0_5tupleIJSF_S6_EEENSO_IJSG_SG_EEES6_PlJS6_EEE10hipError_tPvRmT3_T4_T5_T6_T7_T9_mT8_P12ihipStream_tbDpT10_ENKUlT_T0_E_clISt17integral_constantIbLb1EES1A_IbLb0EEEEDaS16_S17_EUlS16_E_NS1_11comp_targetILNS1_3genE10ELNS1_11target_archE1200ELNS1_3gpuE4ELNS1_3repE0EEENS1_30default_config_static_selectorELNS0_4arch9wavefront6targetE0EEEvT1_.has_dyn_sized_stack, 0
	.set _ZN7rocprim17ROCPRIM_400000_NS6detail17trampoline_kernelINS0_14default_configENS1_25partition_config_selectorILNS1_17partition_subalgoE5EtNS0_10empty_typeEbEEZZNS1_14partition_implILS5_5ELb0ES3_mN6thrust23THRUST_200600_302600_NS6detail15normal_iteratorINSA_10device_ptrItEEEEPS6_NSA_18transform_iteratorINSB_9not_fun_tI7is_trueItEEESF_NSA_11use_defaultESM_EENS0_5tupleIJSF_S6_EEENSO_IJSG_SG_EEES6_PlJS6_EEE10hipError_tPvRmT3_T4_T5_T6_T7_T9_mT8_P12ihipStream_tbDpT10_ENKUlT_T0_E_clISt17integral_constantIbLb1EES1A_IbLb0EEEEDaS16_S17_EUlS16_E_NS1_11comp_targetILNS1_3genE10ELNS1_11target_archE1200ELNS1_3gpuE4ELNS1_3repE0EEENS1_30default_config_static_selectorELNS0_4arch9wavefront6targetE0EEEvT1_.has_recursion, 0
	.set _ZN7rocprim17ROCPRIM_400000_NS6detail17trampoline_kernelINS0_14default_configENS1_25partition_config_selectorILNS1_17partition_subalgoE5EtNS0_10empty_typeEbEEZZNS1_14partition_implILS5_5ELb0ES3_mN6thrust23THRUST_200600_302600_NS6detail15normal_iteratorINSA_10device_ptrItEEEEPS6_NSA_18transform_iteratorINSB_9not_fun_tI7is_trueItEEESF_NSA_11use_defaultESM_EENS0_5tupleIJSF_S6_EEENSO_IJSG_SG_EEES6_PlJS6_EEE10hipError_tPvRmT3_T4_T5_T6_T7_T9_mT8_P12ihipStream_tbDpT10_ENKUlT_T0_E_clISt17integral_constantIbLb1EES1A_IbLb0EEEEDaS16_S17_EUlS16_E_NS1_11comp_targetILNS1_3genE10ELNS1_11target_archE1200ELNS1_3gpuE4ELNS1_3repE0EEENS1_30default_config_static_selectorELNS0_4arch9wavefront6targetE0EEEvT1_.has_indirect_call, 0
	.section	.AMDGPU.csdata,"",@progbits
; Kernel info:
; codeLenInByte = 4
; TotalNumSgprs: 0
; NumVgprs: 0
; ScratchSize: 0
; MemoryBound: 0
; FloatMode: 240
; IeeeMode: 1
; LDSByteSize: 0 bytes/workgroup (compile time only)
; SGPRBlocks: 0
; VGPRBlocks: 0
; NumSGPRsForWavesPerEU: 1
; NumVGPRsForWavesPerEU: 1
; Occupancy: 16
; WaveLimiterHint : 0
; COMPUTE_PGM_RSRC2:SCRATCH_EN: 0
; COMPUTE_PGM_RSRC2:USER_SGPR: 2
; COMPUTE_PGM_RSRC2:TRAP_HANDLER: 0
; COMPUTE_PGM_RSRC2:TGID_X_EN: 1
; COMPUTE_PGM_RSRC2:TGID_Y_EN: 0
; COMPUTE_PGM_RSRC2:TGID_Z_EN: 0
; COMPUTE_PGM_RSRC2:TIDIG_COMP_CNT: 0
	.section	.text._ZN7rocprim17ROCPRIM_400000_NS6detail17trampoline_kernelINS0_14default_configENS1_25partition_config_selectorILNS1_17partition_subalgoE5EtNS0_10empty_typeEbEEZZNS1_14partition_implILS5_5ELb0ES3_mN6thrust23THRUST_200600_302600_NS6detail15normal_iteratorINSA_10device_ptrItEEEEPS6_NSA_18transform_iteratorINSB_9not_fun_tI7is_trueItEEESF_NSA_11use_defaultESM_EENS0_5tupleIJSF_S6_EEENSO_IJSG_SG_EEES6_PlJS6_EEE10hipError_tPvRmT3_T4_T5_T6_T7_T9_mT8_P12ihipStream_tbDpT10_ENKUlT_T0_E_clISt17integral_constantIbLb1EES1A_IbLb0EEEEDaS16_S17_EUlS16_E_NS1_11comp_targetILNS1_3genE9ELNS1_11target_archE1100ELNS1_3gpuE3ELNS1_3repE0EEENS1_30default_config_static_selectorELNS0_4arch9wavefront6targetE0EEEvT1_,"axG",@progbits,_ZN7rocprim17ROCPRIM_400000_NS6detail17trampoline_kernelINS0_14default_configENS1_25partition_config_selectorILNS1_17partition_subalgoE5EtNS0_10empty_typeEbEEZZNS1_14partition_implILS5_5ELb0ES3_mN6thrust23THRUST_200600_302600_NS6detail15normal_iteratorINSA_10device_ptrItEEEEPS6_NSA_18transform_iteratorINSB_9not_fun_tI7is_trueItEEESF_NSA_11use_defaultESM_EENS0_5tupleIJSF_S6_EEENSO_IJSG_SG_EEES6_PlJS6_EEE10hipError_tPvRmT3_T4_T5_T6_T7_T9_mT8_P12ihipStream_tbDpT10_ENKUlT_T0_E_clISt17integral_constantIbLb1EES1A_IbLb0EEEEDaS16_S17_EUlS16_E_NS1_11comp_targetILNS1_3genE9ELNS1_11target_archE1100ELNS1_3gpuE3ELNS1_3repE0EEENS1_30default_config_static_selectorELNS0_4arch9wavefront6targetE0EEEvT1_,comdat
	.protected	_ZN7rocprim17ROCPRIM_400000_NS6detail17trampoline_kernelINS0_14default_configENS1_25partition_config_selectorILNS1_17partition_subalgoE5EtNS0_10empty_typeEbEEZZNS1_14partition_implILS5_5ELb0ES3_mN6thrust23THRUST_200600_302600_NS6detail15normal_iteratorINSA_10device_ptrItEEEEPS6_NSA_18transform_iteratorINSB_9not_fun_tI7is_trueItEEESF_NSA_11use_defaultESM_EENS0_5tupleIJSF_S6_EEENSO_IJSG_SG_EEES6_PlJS6_EEE10hipError_tPvRmT3_T4_T5_T6_T7_T9_mT8_P12ihipStream_tbDpT10_ENKUlT_T0_E_clISt17integral_constantIbLb1EES1A_IbLb0EEEEDaS16_S17_EUlS16_E_NS1_11comp_targetILNS1_3genE9ELNS1_11target_archE1100ELNS1_3gpuE3ELNS1_3repE0EEENS1_30default_config_static_selectorELNS0_4arch9wavefront6targetE0EEEvT1_ ; -- Begin function _ZN7rocprim17ROCPRIM_400000_NS6detail17trampoline_kernelINS0_14default_configENS1_25partition_config_selectorILNS1_17partition_subalgoE5EtNS0_10empty_typeEbEEZZNS1_14partition_implILS5_5ELb0ES3_mN6thrust23THRUST_200600_302600_NS6detail15normal_iteratorINSA_10device_ptrItEEEEPS6_NSA_18transform_iteratorINSB_9not_fun_tI7is_trueItEEESF_NSA_11use_defaultESM_EENS0_5tupleIJSF_S6_EEENSO_IJSG_SG_EEES6_PlJS6_EEE10hipError_tPvRmT3_T4_T5_T6_T7_T9_mT8_P12ihipStream_tbDpT10_ENKUlT_T0_E_clISt17integral_constantIbLb1EES1A_IbLb0EEEEDaS16_S17_EUlS16_E_NS1_11comp_targetILNS1_3genE9ELNS1_11target_archE1100ELNS1_3gpuE3ELNS1_3repE0EEENS1_30default_config_static_selectorELNS0_4arch9wavefront6targetE0EEEvT1_
	.globl	_ZN7rocprim17ROCPRIM_400000_NS6detail17trampoline_kernelINS0_14default_configENS1_25partition_config_selectorILNS1_17partition_subalgoE5EtNS0_10empty_typeEbEEZZNS1_14partition_implILS5_5ELb0ES3_mN6thrust23THRUST_200600_302600_NS6detail15normal_iteratorINSA_10device_ptrItEEEEPS6_NSA_18transform_iteratorINSB_9not_fun_tI7is_trueItEEESF_NSA_11use_defaultESM_EENS0_5tupleIJSF_S6_EEENSO_IJSG_SG_EEES6_PlJS6_EEE10hipError_tPvRmT3_T4_T5_T6_T7_T9_mT8_P12ihipStream_tbDpT10_ENKUlT_T0_E_clISt17integral_constantIbLb1EES1A_IbLb0EEEEDaS16_S17_EUlS16_E_NS1_11comp_targetILNS1_3genE9ELNS1_11target_archE1100ELNS1_3gpuE3ELNS1_3repE0EEENS1_30default_config_static_selectorELNS0_4arch9wavefront6targetE0EEEvT1_
	.p2align	8
	.type	_ZN7rocprim17ROCPRIM_400000_NS6detail17trampoline_kernelINS0_14default_configENS1_25partition_config_selectorILNS1_17partition_subalgoE5EtNS0_10empty_typeEbEEZZNS1_14partition_implILS5_5ELb0ES3_mN6thrust23THRUST_200600_302600_NS6detail15normal_iteratorINSA_10device_ptrItEEEEPS6_NSA_18transform_iteratorINSB_9not_fun_tI7is_trueItEEESF_NSA_11use_defaultESM_EENS0_5tupleIJSF_S6_EEENSO_IJSG_SG_EEES6_PlJS6_EEE10hipError_tPvRmT3_T4_T5_T6_T7_T9_mT8_P12ihipStream_tbDpT10_ENKUlT_T0_E_clISt17integral_constantIbLb1EES1A_IbLb0EEEEDaS16_S17_EUlS16_E_NS1_11comp_targetILNS1_3genE9ELNS1_11target_archE1100ELNS1_3gpuE3ELNS1_3repE0EEENS1_30default_config_static_selectorELNS0_4arch9wavefront6targetE0EEEvT1_,@function
_ZN7rocprim17ROCPRIM_400000_NS6detail17trampoline_kernelINS0_14default_configENS1_25partition_config_selectorILNS1_17partition_subalgoE5EtNS0_10empty_typeEbEEZZNS1_14partition_implILS5_5ELb0ES3_mN6thrust23THRUST_200600_302600_NS6detail15normal_iteratorINSA_10device_ptrItEEEEPS6_NSA_18transform_iteratorINSB_9not_fun_tI7is_trueItEEESF_NSA_11use_defaultESM_EENS0_5tupleIJSF_S6_EEENSO_IJSG_SG_EEES6_PlJS6_EEE10hipError_tPvRmT3_T4_T5_T6_T7_T9_mT8_P12ihipStream_tbDpT10_ENKUlT_T0_E_clISt17integral_constantIbLb1EES1A_IbLb0EEEEDaS16_S17_EUlS16_E_NS1_11comp_targetILNS1_3genE9ELNS1_11target_archE1100ELNS1_3gpuE3ELNS1_3repE0EEENS1_30default_config_static_selectorELNS0_4arch9wavefront6targetE0EEEvT1_: ; @_ZN7rocprim17ROCPRIM_400000_NS6detail17trampoline_kernelINS0_14default_configENS1_25partition_config_selectorILNS1_17partition_subalgoE5EtNS0_10empty_typeEbEEZZNS1_14partition_implILS5_5ELb0ES3_mN6thrust23THRUST_200600_302600_NS6detail15normal_iteratorINSA_10device_ptrItEEEEPS6_NSA_18transform_iteratorINSB_9not_fun_tI7is_trueItEEESF_NSA_11use_defaultESM_EENS0_5tupleIJSF_S6_EEENSO_IJSG_SG_EEES6_PlJS6_EEE10hipError_tPvRmT3_T4_T5_T6_T7_T9_mT8_P12ihipStream_tbDpT10_ENKUlT_T0_E_clISt17integral_constantIbLb1EES1A_IbLb0EEEEDaS16_S17_EUlS16_E_NS1_11comp_targetILNS1_3genE9ELNS1_11target_archE1100ELNS1_3gpuE3ELNS1_3repE0EEENS1_30default_config_static_selectorELNS0_4arch9wavefront6targetE0EEEvT1_
; %bb.0:
	.section	.rodata,"a",@progbits
	.p2align	6, 0x0
	.amdhsa_kernel _ZN7rocprim17ROCPRIM_400000_NS6detail17trampoline_kernelINS0_14default_configENS1_25partition_config_selectorILNS1_17partition_subalgoE5EtNS0_10empty_typeEbEEZZNS1_14partition_implILS5_5ELb0ES3_mN6thrust23THRUST_200600_302600_NS6detail15normal_iteratorINSA_10device_ptrItEEEEPS6_NSA_18transform_iteratorINSB_9not_fun_tI7is_trueItEEESF_NSA_11use_defaultESM_EENS0_5tupleIJSF_S6_EEENSO_IJSG_SG_EEES6_PlJS6_EEE10hipError_tPvRmT3_T4_T5_T6_T7_T9_mT8_P12ihipStream_tbDpT10_ENKUlT_T0_E_clISt17integral_constantIbLb1EES1A_IbLb0EEEEDaS16_S17_EUlS16_E_NS1_11comp_targetILNS1_3genE9ELNS1_11target_archE1100ELNS1_3gpuE3ELNS1_3repE0EEENS1_30default_config_static_selectorELNS0_4arch9wavefront6targetE0EEEvT1_
		.amdhsa_group_segment_fixed_size 0
		.amdhsa_private_segment_fixed_size 0
		.amdhsa_kernarg_size 120
		.amdhsa_user_sgpr_count 2
		.amdhsa_user_sgpr_dispatch_ptr 0
		.amdhsa_user_sgpr_queue_ptr 0
		.amdhsa_user_sgpr_kernarg_segment_ptr 1
		.amdhsa_user_sgpr_dispatch_id 0
		.amdhsa_user_sgpr_private_segment_size 0
		.amdhsa_wavefront_size32 1
		.amdhsa_uses_dynamic_stack 0
		.amdhsa_enable_private_segment 0
		.amdhsa_system_sgpr_workgroup_id_x 1
		.amdhsa_system_sgpr_workgroup_id_y 0
		.amdhsa_system_sgpr_workgroup_id_z 0
		.amdhsa_system_sgpr_workgroup_info 0
		.amdhsa_system_vgpr_workitem_id 0
		.amdhsa_next_free_vgpr 1
		.amdhsa_next_free_sgpr 1
		.amdhsa_reserve_vcc 0
		.amdhsa_float_round_mode_32 0
		.amdhsa_float_round_mode_16_64 0
		.amdhsa_float_denorm_mode_32 3
		.amdhsa_float_denorm_mode_16_64 3
		.amdhsa_fp16_overflow 0
		.amdhsa_workgroup_processor_mode 1
		.amdhsa_memory_ordered 1
		.amdhsa_forward_progress 1
		.amdhsa_inst_pref_size 0
		.amdhsa_round_robin_scheduling 0
		.amdhsa_exception_fp_ieee_invalid_op 0
		.amdhsa_exception_fp_denorm_src 0
		.amdhsa_exception_fp_ieee_div_zero 0
		.amdhsa_exception_fp_ieee_overflow 0
		.amdhsa_exception_fp_ieee_underflow 0
		.amdhsa_exception_fp_ieee_inexact 0
		.amdhsa_exception_int_div_zero 0
	.end_amdhsa_kernel
	.section	.text._ZN7rocprim17ROCPRIM_400000_NS6detail17trampoline_kernelINS0_14default_configENS1_25partition_config_selectorILNS1_17partition_subalgoE5EtNS0_10empty_typeEbEEZZNS1_14partition_implILS5_5ELb0ES3_mN6thrust23THRUST_200600_302600_NS6detail15normal_iteratorINSA_10device_ptrItEEEEPS6_NSA_18transform_iteratorINSB_9not_fun_tI7is_trueItEEESF_NSA_11use_defaultESM_EENS0_5tupleIJSF_S6_EEENSO_IJSG_SG_EEES6_PlJS6_EEE10hipError_tPvRmT3_T4_T5_T6_T7_T9_mT8_P12ihipStream_tbDpT10_ENKUlT_T0_E_clISt17integral_constantIbLb1EES1A_IbLb0EEEEDaS16_S17_EUlS16_E_NS1_11comp_targetILNS1_3genE9ELNS1_11target_archE1100ELNS1_3gpuE3ELNS1_3repE0EEENS1_30default_config_static_selectorELNS0_4arch9wavefront6targetE0EEEvT1_,"axG",@progbits,_ZN7rocprim17ROCPRIM_400000_NS6detail17trampoline_kernelINS0_14default_configENS1_25partition_config_selectorILNS1_17partition_subalgoE5EtNS0_10empty_typeEbEEZZNS1_14partition_implILS5_5ELb0ES3_mN6thrust23THRUST_200600_302600_NS6detail15normal_iteratorINSA_10device_ptrItEEEEPS6_NSA_18transform_iteratorINSB_9not_fun_tI7is_trueItEEESF_NSA_11use_defaultESM_EENS0_5tupleIJSF_S6_EEENSO_IJSG_SG_EEES6_PlJS6_EEE10hipError_tPvRmT3_T4_T5_T6_T7_T9_mT8_P12ihipStream_tbDpT10_ENKUlT_T0_E_clISt17integral_constantIbLb1EES1A_IbLb0EEEEDaS16_S17_EUlS16_E_NS1_11comp_targetILNS1_3genE9ELNS1_11target_archE1100ELNS1_3gpuE3ELNS1_3repE0EEENS1_30default_config_static_selectorELNS0_4arch9wavefront6targetE0EEEvT1_,comdat
.Lfunc_end1456:
	.size	_ZN7rocprim17ROCPRIM_400000_NS6detail17trampoline_kernelINS0_14default_configENS1_25partition_config_selectorILNS1_17partition_subalgoE5EtNS0_10empty_typeEbEEZZNS1_14partition_implILS5_5ELb0ES3_mN6thrust23THRUST_200600_302600_NS6detail15normal_iteratorINSA_10device_ptrItEEEEPS6_NSA_18transform_iteratorINSB_9not_fun_tI7is_trueItEEESF_NSA_11use_defaultESM_EENS0_5tupleIJSF_S6_EEENSO_IJSG_SG_EEES6_PlJS6_EEE10hipError_tPvRmT3_T4_T5_T6_T7_T9_mT8_P12ihipStream_tbDpT10_ENKUlT_T0_E_clISt17integral_constantIbLb1EES1A_IbLb0EEEEDaS16_S17_EUlS16_E_NS1_11comp_targetILNS1_3genE9ELNS1_11target_archE1100ELNS1_3gpuE3ELNS1_3repE0EEENS1_30default_config_static_selectorELNS0_4arch9wavefront6targetE0EEEvT1_, .Lfunc_end1456-_ZN7rocprim17ROCPRIM_400000_NS6detail17trampoline_kernelINS0_14default_configENS1_25partition_config_selectorILNS1_17partition_subalgoE5EtNS0_10empty_typeEbEEZZNS1_14partition_implILS5_5ELb0ES3_mN6thrust23THRUST_200600_302600_NS6detail15normal_iteratorINSA_10device_ptrItEEEEPS6_NSA_18transform_iteratorINSB_9not_fun_tI7is_trueItEEESF_NSA_11use_defaultESM_EENS0_5tupleIJSF_S6_EEENSO_IJSG_SG_EEES6_PlJS6_EEE10hipError_tPvRmT3_T4_T5_T6_T7_T9_mT8_P12ihipStream_tbDpT10_ENKUlT_T0_E_clISt17integral_constantIbLb1EES1A_IbLb0EEEEDaS16_S17_EUlS16_E_NS1_11comp_targetILNS1_3genE9ELNS1_11target_archE1100ELNS1_3gpuE3ELNS1_3repE0EEENS1_30default_config_static_selectorELNS0_4arch9wavefront6targetE0EEEvT1_
                                        ; -- End function
	.set _ZN7rocprim17ROCPRIM_400000_NS6detail17trampoline_kernelINS0_14default_configENS1_25partition_config_selectorILNS1_17partition_subalgoE5EtNS0_10empty_typeEbEEZZNS1_14partition_implILS5_5ELb0ES3_mN6thrust23THRUST_200600_302600_NS6detail15normal_iteratorINSA_10device_ptrItEEEEPS6_NSA_18transform_iteratorINSB_9not_fun_tI7is_trueItEEESF_NSA_11use_defaultESM_EENS0_5tupleIJSF_S6_EEENSO_IJSG_SG_EEES6_PlJS6_EEE10hipError_tPvRmT3_T4_T5_T6_T7_T9_mT8_P12ihipStream_tbDpT10_ENKUlT_T0_E_clISt17integral_constantIbLb1EES1A_IbLb0EEEEDaS16_S17_EUlS16_E_NS1_11comp_targetILNS1_3genE9ELNS1_11target_archE1100ELNS1_3gpuE3ELNS1_3repE0EEENS1_30default_config_static_selectorELNS0_4arch9wavefront6targetE0EEEvT1_.num_vgpr, 0
	.set _ZN7rocprim17ROCPRIM_400000_NS6detail17trampoline_kernelINS0_14default_configENS1_25partition_config_selectorILNS1_17partition_subalgoE5EtNS0_10empty_typeEbEEZZNS1_14partition_implILS5_5ELb0ES3_mN6thrust23THRUST_200600_302600_NS6detail15normal_iteratorINSA_10device_ptrItEEEEPS6_NSA_18transform_iteratorINSB_9not_fun_tI7is_trueItEEESF_NSA_11use_defaultESM_EENS0_5tupleIJSF_S6_EEENSO_IJSG_SG_EEES6_PlJS6_EEE10hipError_tPvRmT3_T4_T5_T6_T7_T9_mT8_P12ihipStream_tbDpT10_ENKUlT_T0_E_clISt17integral_constantIbLb1EES1A_IbLb0EEEEDaS16_S17_EUlS16_E_NS1_11comp_targetILNS1_3genE9ELNS1_11target_archE1100ELNS1_3gpuE3ELNS1_3repE0EEENS1_30default_config_static_selectorELNS0_4arch9wavefront6targetE0EEEvT1_.num_agpr, 0
	.set _ZN7rocprim17ROCPRIM_400000_NS6detail17trampoline_kernelINS0_14default_configENS1_25partition_config_selectorILNS1_17partition_subalgoE5EtNS0_10empty_typeEbEEZZNS1_14partition_implILS5_5ELb0ES3_mN6thrust23THRUST_200600_302600_NS6detail15normal_iteratorINSA_10device_ptrItEEEEPS6_NSA_18transform_iteratorINSB_9not_fun_tI7is_trueItEEESF_NSA_11use_defaultESM_EENS0_5tupleIJSF_S6_EEENSO_IJSG_SG_EEES6_PlJS6_EEE10hipError_tPvRmT3_T4_T5_T6_T7_T9_mT8_P12ihipStream_tbDpT10_ENKUlT_T0_E_clISt17integral_constantIbLb1EES1A_IbLb0EEEEDaS16_S17_EUlS16_E_NS1_11comp_targetILNS1_3genE9ELNS1_11target_archE1100ELNS1_3gpuE3ELNS1_3repE0EEENS1_30default_config_static_selectorELNS0_4arch9wavefront6targetE0EEEvT1_.numbered_sgpr, 0
	.set _ZN7rocprim17ROCPRIM_400000_NS6detail17trampoline_kernelINS0_14default_configENS1_25partition_config_selectorILNS1_17partition_subalgoE5EtNS0_10empty_typeEbEEZZNS1_14partition_implILS5_5ELb0ES3_mN6thrust23THRUST_200600_302600_NS6detail15normal_iteratorINSA_10device_ptrItEEEEPS6_NSA_18transform_iteratorINSB_9not_fun_tI7is_trueItEEESF_NSA_11use_defaultESM_EENS0_5tupleIJSF_S6_EEENSO_IJSG_SG_EEES6_PlJS6_EEE10hipError_tPvRmT3_T4_T5_T6_T7_T9_mT8_P12ihipStream_tbDpT10_ENKUlT_T0_E_clISt17integral_constantIbLb1EES1A_IbLb0EEEEDaS16_S17_EUlS16_E_NS1_11comp_targetILNS1_3genE9ELNS1_11target_archE1100ELNS1_3gpuE3ELNS1_3repE0EEENS1_30default_config_static_selectorELNS0_4arch9wavefront6targetE0EEEvT1_.num_named_barrier, 0
	.set _ZN7rocprim17ROCPRIM_400000_NS6detail17trampoline_kernelINS0_14default_configENS1_25partition_config_selectorILNS1_17partition_subalgoE5EtNS0_10empty_typeEbEEZZNS1_14partition_implILS5_5ELb0ES3_mN6thrust23THRUST_200600_302600_NS6detail15normal_iteratorINSA_10device_ptrItEEEEPS6_NSA_18transform_iteratorINSB_9not_fun_tI7is_trueItEEESF_NSA_11use_defaultESM_EENS0_5tupleIJSF_S6_EEENSO_IJSG_SG_EEES6_PlJS6_EEE10hipError_tPvRmT3_T4_T5_T6_T7_T9_mT8_P12ihipStream_tbDpT10_ENKUlT_T0_E_clISt17integral_constantIbLb1EES1A_IbLb0EEEEDaS16_S17_EUlS16_E_NS1_11comp_targetILNS1_3genE9ELNS1_11target_archE1100ELNS1_3gpuE3ELNS1_3repE0EEENS1_30default_config_static_selectorELNS0_4arch9wavefront6targetE0EEEvT1_.private_seg_size, 0
	.set _ZN7rocprim17ROCPRIM_400000_NS6detail17trampoline_kernelINS0_14default_configENS1_25partition_config_selectorILNS1_17partition_subalgoE5EtNS0_10empty_typeEbEEZZNS1_14partition_implILS5_5ELb0ES3_mN6thrust23THRUST_200600_302600_NS6detail15normal_iteratorINSA_10device_ptrItEEEEPS6_NSA_18transform_iteratorINSB_9not_fun_tI7is_trueItEEESF_NSA_11use_defaultESM_EENS0_5tupleIJSF_S6_EEENSO_IJSG_SG_EEES6_PlJS6_EEE10hipError_tPvRmT3_T4_T5_T6_T7_T9_mT8_P12ihipStream_tbDpT10_ENKUlT_T0_E_clISt17integral_constantIbLb1EES1A_IbLb0EEEEDaS16_S17_EUlS16_E_NS1_11comp_targetILNS1_3genE9ELNS1_11target_archE1100ELNS1_3gpuE3ELNS1_3repE0EEENS1_30default_config_static_selectorELNS0_4arch9wavefront6targetE0EEEvT1_.uses_vcc, 0
	.set _ZN7rocprim17ROCPRIM_400000_NS6detail17trampoline_kernelINS0_14default_configENS1_25partition_config_selectorILNS1_17partition_subalgoE5EtNS0_10empty_typeEbEEZZNS1_14partition_implILS5_5ELb0ES3_mN6thrust23THRUST_200600_302600_NS6detail15normal_iteratorINSA_10device_ptrItEEEEPS6_NSA_18transform_iteratorINSB_9not_fun_tI7is_trueItEEESF_NSA_11use_defaultESM_EENS0_5tupleIJSF_S6_EEENSO_IJSG_SG_EEES6_PlJS6_EEE10hipError_tPvRmT3_T4_T5_T6_T7_T9_mT8_P12ihipStream_tbDpT10_ENKUlT_T0_E_clISt17integral_constantIbLb1EES1A_IbLb0EEEEDaS16_S17_EUlS16_E_NS1_11comp_targetILNS1_3genE9ELNS1_11target_archE1100ELNS1_3gpuE3ELNS1_3repE0EEENS1_30default_config_static_selectorELNS0_4arch9wavefront6targetE0EEEvT1_.uses_flat_scratch, 0
	.set _ZN7rocprim17ROCPRIM_400000_NS6detail17trampoline_kernelINS0_14default_configENS1_25partition_config_selectorILNS1_17partition_subalgoE5EtNS0_10empty_typeEbEEZZNS1_14partition_implILS5_5ELb0ES3_mN6thrust23THRUST_200600_302600_NS6detail15normal_iteratorINSA_10device_ptrItEEEEPS6_NSA_18transform_iteratorINSB_9not_fun_tI7is_trueItEEESF_NSA_11use_defaultESM_EENS0_5tupleIJSF_S6_EEENSO_IJSG_SG_EEES6_PlJS6_EEE10hipError_tPvRmT3_T4_T5_T6_T7_T9_mT8_P12ihipStream_tbDpT10_ENKUlT_T0_E_clISt17integral_constantIbLb1EES1A_IbLb0EEEEDaS16_S17_EUlS16_E_NS1_11comp_targetILNS1_3genE9ELNS1_11target_archE1100ELNS1_3gpuE3ELNS1_3repE0EEENS1_30default_config_static_selectorELNS0_4arch9wavefront6targetE0EEEvT1_.has_dyn_sized_stack, 0
	.set _ZN7rocprim17ROCPRIM_400000_NS6detail17trampoline_kernelINS0_14default_configENS1_25partition_config_selectorILNS1_17partition_subalgoE5EtNS0_10empty_typeEbEEZZNS1_14partition_implILS5_5ELb0ES3_mN6thrust23THRUST_200600_302600_NS6detail15normal_iteratorINSA_10device_ptrItEEEEPS6_NSA_18transform_iteratorINSB_9not_fun_tI7is_trueItEEESF_NSA_11use_defaultESM_EENS0_5tupleIJSF_S6_EEENSO_IJSG_SG_EEES6_PlJS6_EEE10hipError_tPvRmT3_T4_T5_T6_T7_T9_mT8_P12ihipStream_tbDpT10_ENKUlT_T0_E_clISt17integral_constantIbLb1EES1A_IbLb0EEEEDaS16_S17_EUlS16_E_NS1_11comp_targetILNS1_3genE9ELNS1_11target_archE1100ELNS1_3gpuE3ELNS1_3repE0EEENS1_30default_config_static_selectorELNS0_4arch9wavefront6targetE0EEEvT1_.has_recursion, 0
	.set _ZN7rocprim17ROCPRIM_400000_NS6detail17trampoline_kernelINS0_14default_configENS1_25partition_config_selectorILNS1_17partition_subalgoE5EtNS0_10empty_typeEbEEZZNS1_14partition_implILS5_5ELb0ES3_mN6thrust23THRUST_200600_302600_NS6detail15normal_iteratorINSA_10device_ptrItEEEEPS6_NSA_18transform_iteratorINSB_9not_fun_tI7is_trueItEEESF_NSA_11use_defaultESM_EENS0_5tupleIJSF_S6_EEENSO_IJSG_SG_EEES6_PlJS6_EEE10hipError_tPvRmT3_T4_T5_T6_T7_T9_mT8_P12ihipStream_tbDpT10_ENKUlT_T0_E_clISt17integral_constantIbLb1EES1A_IbLb0EEEEDaS16_S17_EUlS16_E_NS1_11comp_targetILNS1_3genE9ELNS1_11target_archE1100ELNS1_3gpuE3ELNS1_3repE0EEENS1_30default_config_static_selectorELNS0_4arch9wavefront6targetE0EEEvT1_.has_indirect_call, 0
	.section	.AMDGPU.csdata,"",@progbits
; Kernel info:
; codeLenInByte = 0
; TotalNumSgprs: 0
; NumVgprs: 0
; ScratchSize: 0
; MemoryBound: 0
; FloatMode: 240
; IeeeMode: 1
; LDSByteSize: 0 bytes/workgroup (compile time only)
; SGPRBlocks: 0
; VGPRBlocks: 0
; NumSGPRsForWavesPerEU: 1
; NumVGPRsForWavesPerEU: 1
; Occupancy: 16
; WaveLimiterHint : 0
; COMPUTE_PGM_RSRC2:SCRATCH_EN: 0
; COMPUTE_PGM_RSRC2:USER_SGPR: 2
; COMPUTE_PGM_RSRC2:TRAP_HANDLER: 0
; COMPUTE_PGM_RSRC2:TGID_X_EN: 1
; COMPUTE_PGM_RSRC2:TGID_Y_EN: 0
; COMPUTE_PGM_RSRC2:TGID_Z_EN: 0
; COMPUTE_PGM_RSRC2:TIDIG_COMP_CNT: 0
	.section	.text._ZN7rocprim17ROCPRIM_400000_NS6detail17trampoline_kernelINS0_14default_configENS1_25partition_config_selectorILNS1_17partition_subalgoE5EtNS0_10empty_typeEbEEZZNS1_14partition_implILS5_5ELb0ES3_mN6thrust23THRUST_200600_302600_NS6detail15normal_iteratorINSA_10device_ptrItEEEEPS6_NSA_18transform_iteratorINSB_9not_fun_tI7is_trueItEEESF_NSA_11use_defaultESM_EENS0_5tupleIJSF_S6_EEENSO_IJSG_SG_EEES6_PlJS6_EEE10hipError_tPvRmT3_T4_T5_T6_T7_T9_mT8_P12ihipStream_tbDpT10_ENKUlT_T0_E_clISt17integral_constantIbLb1EES1A_IbLb0EEEEDaS16_S17_EUlS16_E_NS1_11comp_targetILNS1_3genE8ELNS1_11target_archE1030ELNS1_3gpuE2ELNS1_3repE0EEENS1_30default_config_static_selectorELNS0_4arch9wavefront6targetE0EEEvT1_,"axG",@progbits,_ZN7rocprim17ROCPRIM_400000_NS6detail17trampoline_kernelINS0_14default_configENS1_25partition_config_selectorILNS1_17partition_subalgoE5EtNS0_10empty_typeEbEEZZNS1_14partition_implILS5_5ELb0ES3_mN6thrust23THRUST_200600_302600_NS6detail15normal_iteratorINSA_10device_ptrItEEEEPS6_NSA_18transform_iteratorINSB_9not_fun_tI7is_trueItEEESF_NSA_11use_defaultESM_EENS0_5tupleIJSF_S6_EEENSO_IJSG_SG_EEES6_PlJS6_EEE10hipError_tPvRmT3_T4_T5_T6_T7_T9_mT8_P12ihipStream_tbDpT10_ENKUlT_T0_E_clISt17integral_constantIbLb1EES1A_IbLb0EEEEDaS16_S17_EUlS16_E_NS1_11comp_targetILNS1_3genE8ELNS1_11target_archE1030ELNS1_3gpuE2ELNS1_3repE0EEENS1_30default_config_static_selectorELNS0_4arch9wavefront6targetE0EEEvT1_,comdat
	.protected	_ZN7rocprim17ROCPRIM_400000_NS6detail17trampoline_kernelINS0_14default_configENS1_25partition_config_selectorILNS1_17partition_subalgoE5EtNS0_10empty_typeEbEEZZNS1_14partition_implILS5_5ELb0ES3_mN6thrust23THRUST_200600_302600_NS6detail15normal_iteratorINSA_10device_ptrItEEEEPS6_NSA_18transform_iteratorINSB_9not_fun_tI7is_trueItEEESF_NSA_11use_defaultESM_EENS0_5tupleIJSF_S6_EEENSO_IJSG_SG_EEES6_PlJS6_EEE10hipError_tPvRmT3_T4_T5_T6_T7_T9_mT8_P12ihipStream_tbDpT10_ENKUlT_T0_E_clISt17integral_constantIbLb1EES1A_IbLb0EEEEDaS16_S17_EUlS16_E_NS1_11comp_targetILNS1_3genE8ELNS1_11target_archE1030ELNS1_3gpuE2ELNS1_3repE0EEENS1_30default_config_static_selectorELNS0_4arch9wavefront6targetE0EEEvT1_ ; -- Begin function _ZN7rocprim17ROCPRIM_400000_NS6detail17trampoline_kernelINS0_14default_configENS1_25partition_config_selectorILNS1_17partition_subalgoE5EtNS0_10empty_typeEbEEZZNS1_14partition_implILS5_5ELb0ES3_mN6thrust23THRUST_200600_302600_NS6detail15normal_iteratorINSA_10device_ptrItEEEEPS6_NSA_18transform_iteratorINSB_9not_fun_tI7is_trueItEEESF_NSA_11use_defaultESM_EENS0_5tupleIJSF_S6_EEENSO_IJSG_SG_EEES6_PlJS6_EEE10hipError_tPvRmT3_T4_T5_T6_T7_T9_mT8_P12ihipStream_tbDpT10_ENKUlT_T0_E_clISt17integral_constantIbLb1EES1A_IbLb0EEEEDaS16_S17_EUlS16_E_NS1_11comp_targetILNS1_3genE8ELNS1_11target_archE1030ELNS1_3gpuE2ELNS1_3repE0EEENS1_30default_config_static_selectorELNS0_4arch9wavefront6targetE0EEEvT1_
	.globl	_ZN7rocprim17ROCPRIM_400000_NS6detail17trampoline_kernelINS0_14default_configENS1_25partition_config_selectorILNS1_17partition_subalgoE5EtNS0_10empty_typeEbEEZZNS1_14partition_implILS5_5ELb0ES3_mN6thrust23THRUST_200600_302600_NS6detail15normal_iteratorINSA_10device_ptrItEEEEPS6_NSA_18transform_iteratorINSB_9not_fun_tI7is_trueItEEESF_NSA_11use_defaultESM_EENS0_5tupleIJSF_S6_EEENSO_IJSG_SG_EEES6_PlJS6_EEE10hipError_tPvRmT3_T4_T5_T6_T7_T9_mT8_P12ihipStream_tbDpT10_ENKUlT_T0_E_clISt17integral_constantIbLb1EES1A_IbLb0EEEEDaS16_S17_EUlS16_E_NS1_11comp_targetILNS1_3genE8ELNS1_11target_archE1030ELNS1_3gpuE2ELNS1_3repE0EEENS1_30default_config_static_selectorELNS0_4arch9wavefront6targetE0EEEvT1_
	.p2align	8
	.type	_ZN7rocprim17ROCPRIM_400000_NS6detail17trampoline_kernelINS0_14default_configENS1_25partition_config_selectorILNS1_17partition_subalgoE5EtNS0_10empty_typeEbEEZZNS1_14partition_implILS5_5ELb0ES3_mN6thrust23THRUST_200600_302600_NS6detail15normal_iteratorINSA_10device_ptrItEEEEPS6_NSA_18transform_iteratorINSB_9not_fun_tI7is_trueItEEESF_NSA_11use_defaultESM_EENS0_5tupleIJSF_S6_EEENSO_IJSG_SG_EEES6_PlJS6_EEE10hipError_tPvRmT3_T4_T5_T6_T7_T9_mT8_P12ihipStream_tbDpT10_ENKUlT_T0_E_clISt17integral_constantIbLb1EES1A_IbLb0EEEEDaS16_S17_EUlS16_E_NS1_11comp_targetILNS1_3genE8ELNS1_11target_archE1030ELNS1_3gpuE2ELNS1_3repE0EEENS1_30default_config_static_selectorELNS0_4arch9wavefront6targetE0EEEvT1_,@function
_ZN7rocprim17ROCPRIM_400000_NS6detail17trampoline_kernelINS0_14default_configENS1_25partition_config_selectorILNS1_17partition_subalgoE5EtNS0_10empty_typeEbEEZZNS1_14partition_implILS5_5ELb0ES3_mN6thrust23THRUST_200600_302600_NS6detail15normal_iteratorINSA_10device_ptrItEEEEPS6_NSA_18transform_iteratorINSB_9not_fun_tI7is_trueItEEESF_NSA_11use_defaultESM_EENS0_5tupleIJSF_S6_EEENSO_IJSG_SG_EEES6_PlJS6_EEE10hipError_tPvRmT3_T4_T5_T6_T7_T9_mT8_P12ihipStream_tbDpT10_ENKUlT_T0_E_clISt17integral_constantIbLb1EES1A_IbLb0EEEEDaS16_S17_EUlS16_E_NS1_11comp_targetILNS1_3genE8ELNS1_11target_archE1030ELNS1_3gpuE2ELNS1_3repE0EEENS1_30default_config_static_selectorELNS0_4arch9wavefront6targetE0EEEvT1_: ; @_ZN7rocprim17ROCPRIM_400000_NS6detail17trampoline_kernelINS0_14default_configENS1_25partition_config_selectorILNS1_17partition_subalgoE5EtNS0_10empty_typeEbEEZZNS1_14partition_implILS5_5ELb0ES3_mN6thrust23THRUST_200600_302600_NS6detail15normal_iteratorINSA_10device_ptrItEEEEPS6_NSA_18transform_iteratorINSB_9not_fun_tI7is_trueItEEESF_NSA_11use_defaultESM_EENS0_5tupleIJSF_S6_EEENSO_IJSG_SG_EEES6_PlJS6_EEE10hipError_tPvRmT3_T4_T5_T6_T7_T9_mT8_P12ihipStream_tbDpT10_ENKUlT_T0_E_clISt17integral_constantIbLb1EES1A_IbLb0EEEEDaS16_S17_EUlS16_E_NS1_11comp_targetILNS1_3genE8ELNS1_11target_archE1030ELNS1_3gpuE2ELNS1_3repE0EEENS1_30default_config_static_selectorELNS0_4arch9wavefront6targetE0EEEvT1_
; %bb.0:
	.section	.rodata,"a",@progbits
	.p2align	6, 0x0
	.amdhsa_kernel _ZN7rocprim17ROCPRIM_400000_NS6detail17trampoline_kernelINS0_14default_configENS1_25partition_config_selectorILNS1_17partition_subalgoE5EtNS0_10empty_typeEbEEZZNS1_14partition_implILS5_5ELb0ES3_mN6thrust23THRUST_200600_302600_NS6detail15normal_iteratorINSA_10device_ptrItEEEEPS6_NSA_18transform_iteratorINSB_9not_fun_tI7is_trueItEEESF_NSA_11use_defaultESM_EENS0_5tupleIJSF_S6_EEENSO_IJSG_SG_EEES6_PlJS6_EEE10hipError_tPvRmT3_T4_T5_T6_T7_T9_mT8_P12ihipStream_tbDpT10_ENKUlT_T0_E_clISt17integral_constantIbLb1EES1A_IbLb0EEEEDaS16_S17_EUlS16_E_NS1_11comp_targetILNS1_3genE8ELNS1_11target_archE1030ELNS1_3gpuE2ELNS1_3repE0EEENS1_30default_config_static_selectorELNS0_4arch9wavefront6targetE0EEEvT1_
		.amdhsa_group_segment_fixed_size 0
		.amdhsa_private_segment_fixed_size 0
		.amdhsa_kernarg_size 120
		.amdhsa_user_sgpr_count 2
		.amdhsa_user_sgpr_dispatch_ptr 0
		.amdhsa_user_sgpr_queue_ptr 0
		.amdhsa_user_sgpr_kernarg_segment_ptr 1
		.amdhsa_user_sgpr_dispatch_id 0
		.amdhsa_user_sgpr_private_segment_size 0
		.amdhsa_wavefront_size32 1
		.amdhsa_uses_dynamic_stack 0
		.amdhsa_enable_private_segment 0
		.amdhsa_system_sgpr_workgroup_id_x 1
		.amdhsa_system_sgpr_workgroup_id_y 0
		.amdhsa_system_sgpr_workgroup_id_z 0
		.amdhsa_system_sgpr_workgroup_info 0
		.amdhsa_system_vgpr_workitem_id 0
		.amdhsa_next_free_vgpr 1
		.amdhsa_next_free_sgpr 1
		.amdhsa_reserve_vcc 0
		.amdhsa_float_round_mode_32 0
		.amdhsa_float_round_mode_16_64 0
		.amdhsa_float_denorm_mode_32 3
		.amdhsa_float_denorm_mode_16_64 3
		.amdhsa_fp16_overflow 0
		.amdhsa_workgroup_processor_mode 1
		.amdhsa_memory_ordered 1
		.amdhsa_forward_progress 1
		.amdhsa_inst_pref_size 0
		.amdhsa_round_robin_scheduling 0
		.amdhsa_exception_fp_ieee_invalid_op 0
		.amdhsa_exception_fp_denorm_src 0
		.amdhsa_exception_fp_ieee_div_zero 0
		.amdhsa_exception_fp_ieee_overflow 0
		.amdhsa_exception_fp_ieee_underflow 0
		.amdhsa_exception_fp_ieee_inexact 0
		.amdhsa_exception_int_div_zero 0
	.end_amdhsa_kernel
	.section	.text._ZN7rocprim17ROCPRIM_400000_NS6detail17trampoline_kernelINS0_14default_configENS1_25partition_config_selectorILNS1_17partition_subalgoE5EtNS0_10empty_typeEbEEZZNS1_14partition_implILS5_5ELb0ES3_mN6thrust23THRUST_200600_302600_NS6detail15normal_iteratorINSA_10device_ptrItEEEEPS6_NSA_18transform_iteratorINSB_9not_fun_tI7is_trueItEEESF_NSA_11use_defaultESM_EENS0_5tupleIJSF_S6_EEENSO_IJSG_SG_EEES6_PlJS6_EEE10hipError_tPvRmT3_T4_T5_T6_T7_T9_mT8_P12ihipStream_tbDpT10_ENKUlT_T0_E_clISt17integral_constantIbLb1EES1A_IbLb0EEEEDaS16_S17_EUlS16_E_NS1_11comp_targetILNS1_3genE8ELNS1_11target_archE1030ELNS1_3gpuE2ELNS1_3repE0EEENS1_30default_config_static_selectorELNS0_4arch9wavefront6targetE0EEEvT1_,"axG",@progbits,_ZN7rocprim17ROCPRIM_400000_NS6detail17trampoline_kernelINS0_14default_configENS1_25partition_config_selectorILNS1_17partition_subalgoE5EtNS0_10empty_typeEbEEZZNS1_14partition_implILS5_5ELb0ES3_mN6thrust23THRUST_200600_302600_NS6detail15normal_iteratorINSA_10device_ptrItEEEEPS6_NSA_18transform_iteratorINSB_9not_fun_tI7is_trueItEEESF_NSA_11use_defaultESM_EENS0_5tupleIJSF_S6_EEENSO_IJSG_SG_EEES6_PlJS6_EEE10hipError_tPvRmT3_T4_T5_T6_T7_T9_mT8_P12ihipStream_tbDpT10_ENKUlT_T0_E_clISt17integral_constantIbLb1EES1A_IbLb0EEEEDaS16_S17_EUlS16_E_NS1_11comp_targetILNS1_3genE8ELNS1_11target_archE1030ELNS1_3gpuE2ELNS1_3repE0EEENS1_30default_config_static_selectorELNS0_4arch9wavefront6targetE0EEEvT1_,comdat
.Lfunc_end1457:
	.size	_ZN7rocprim17ROCPRIM_400000_NS6detail17trampoline_kernelINS0_14default_configENS1_25partition_config_selectorILNS1_17partition_subalgoE5EtNS0_10empty_typeEbEEZZNS1_14partition_implILS5_5ELb0ES3_mN6thrust23THRUST_200600_302600_NS6detail15normal_iteratorINSA_10device_ptrItEEEEPS6_NSA_18transform_iteratorINSB_9not_fun_tI7is_trueItEEESF_NSA_11use_defaultESM_EENS0_5tupleIJSF_S6_EEENSO_IJSG_SG_EEES6_PlJS6_EEE10hipError_tPvRmT3_T4_T5_T6_T7_T9_mT8_P12ihipStream_tbDpT10_ENKUlT_T0_E_clISt17integral_constantIbLb1EES1A_IbLb0EEEEDaS16_S17_EUlS16_E_NS1_11comp_targetILNS1_3genE8ELNS1_11target_archE1030ELNS1_3gpuE2ELNS1_3repE0EEENS1_30default_config_static_selectorELNS0_4arch9wavefront6targetE0EEEvT1_, .Lfunc_end1457-_ZN7rocprim17ROCPRIM_400000_NS6detail17trampoline_kernelINS0_14default_configENS1_25partition_config_selectorILNS1_17partition_subalgoE5EtNS0_10empty_typeEbEEZZNS1_14partition_implILS5_5ELb0ES3_mN6thrust23THRUST_200600_302600_NS6detail15normal_iteratorINSA_10device_ptrItEEEEPS6_NSA_18transform_iteratorINSB_9not_fun_tI7is_trueItEEESF_NSA_11use_defaultESM_EENS0_5tupleIJSF_S6_EEENSO_IJSG_SG_EEES6_PlJS6_EEE10hipError_tPvRmT3_T4_T5_T6_T7_T9_mT8_P12ihipStream_tbDpT10_ENKUlT_T0_E_clISt17integral_constantIbLb1EES1A_IbLb0EEEEDaS16_S17_EUlS16_E_NS1_11comp_targetILNS1_3genE8ELNS1_11target_archE1030ELNS1_3gpuE2ELNS1_3repE0EEENS1_30default_config_static_selectorELNS0_4arch9wavefront6targetE0EEEvT1_
                                        ; -- End function
	.set _ZN7rocprim17ROCPRIM_400000_NS6detail17trampoline_kernelINS0_14default_configENS1_25partition_config_selectorILNS1_17partition_subalgoE5EtNS0_10empty_typeEbEEZZNS1_14partition_implILS5_5ELb0ES3_mN6thrust23THRUST_200600_302600_NS6detail15normal_iteratorINSA_10device_ptrItEEEEPS6_NSA_18transform_iteratorINSB_9not_fun_tI7is_trueItEEESF_NSA_11use_defaultESM_EENS0_5tupleIJSF_S6_EEENSO_IJSG_SG_EEES6_PlJS6_EEE10hipError_tPvRmT3_T4_T5_T6_T7_T9_mT8_P12ihipStream_tbDpT10_ENKUlT_T0_E_clISt17integral_constantIbLb1EES1A_IbLb0EEEEDaS16_S17_EUlS16_E_NS1_11comp_targetILNS1_3genE8ELNS1_11target_archE1030ELNS1_3gpuE2ELNS1_3repE0EEENS1_30default_config_static_selectorELNS0_4arch9wavefront6targetE0EEEvT1_.num_vgpr, 0
	.set _ZN7rocprim17ROCPRIM_400000_NS6detail17trampoline_kernelINS0_14default_configENS1_25partition_config_selectorILNS1_17partition_subalgoE5EtNS0_10empty_typeEbEEZZNS1_14partition_implILS5_5ELb0ES3_mN6thrust23THRUST_200600_302600_NS6detail15normal_iteratorINSA_10device_ptrItEEEEPS6_NSA_18transform_iteratorINSB_9not_fun_tI7is_trueItEEESF_NSA_11use_defaultESM_EENS0_5tupleIJSF_S6_EEENSO_IJSG_SG_EEES6_PlJS6_EEE10hipError_tPvRmT3_T4_T5_T6_T7_T9_mT8_P12ihipStream_tbDpT10_ENKUlT_T0_E_clISt17integral_constantIbLb1EES1A_IbLb0EEEEDaS16_S17_EUlS16_E_NS1_11comp_targetILNS1_3genE8ELNS1_11target_archE1030ELNS1_3gpuE2ELNS1_3repE0EEENS1_30default_config_static_selectorELNS0_4arch9wavefront6targetE0EEEvT1_.num_agpr, 0
	.set _ZN7rocprim17ROCPRIM_400000_NS6detail17trampoline_kernelINS0_14default_configENS1_25partition_config_selectorILNS1_17partition_subalgoE5EtNS0_10empty_typeEbEEZZNS1_14partition_implILS5_5ELb0ES3_mN6thrust23THRUST_200600_302600_NS6detail15normal_iteratorINSA_10device_ptrItEEEEPS6_NSA_18transform_iteratorINSB_9not_fun_tI7is_trueItEEESF_NSA_11use_defaultESM_EENS0_5tupleIJSF_S6_EEENSO_IJSG_SG_EEES6_PlJS6_EEE10hipError_tPvRmT3_T4_T5_T6_T7_T9_mT8_P12ihipStream_tbDpT10_ENKUlT_T0_E_clISt17integral_constantIbLb1EES1A_IbLb0EEEEDaS16_S17_EUlS16_E_NS1_11comp_targetILNS1_3genE8ELNS1_11target_archE1030ELNS1_3gpuE2ELNS1_3repE0EEENS1_30default_config_static_selectorELNS0_4arch9wavefront6targetE0EEEvT1_.numbered_sgpr, 0
	.set _ZN7rocprim17ROCPRIM_400000_NS6detail17trampoline_kernelINS0_14default_configENS1_25partition_config_selectorILNS1_17partition_subalgoE5EtNS0_10empty_typeEbEEZZNS1_14partition_implILS5_5ELb0ES3_mN6thrust23THRUST_200600_302600_NS6detail15normal_iteratorINSA_10device_ptrItEEEEPS6_NSA_18transform_iteratorINSB_9not_fun_tI7is_trueItEEESF_NSA_11use_defaultESM_EENS0_5tupleIJSF_S6_EEENSO_IJSG_SG_EEES6_PlJS6_EEE10hipError_tPvRmT3_T4_T5_T6_T7_T9_mT8_P12ihipStream_tbDpT10_ENKUlT_T0_E_clISt17integral_constantIbLb1EES1A_IbLb0EEEEDaS16_S17_EUlS16_E_NS1_11comp_targetILNS1_3genE8ELNS1_11target_archE1030ELNS1_3gpuE2ELNS1_3repE0EEENS1_30default_config_static_selectorELNS0_4arch9wavefront6targetE0EEEvT1_.num_named_barrier, 0
	.set _ZN7rocprim17ROCPRIM_400000_NS6detail17trampoline_kernelINS0_14default_configENS1_25partition_config_selectorILNS1_17partition_subalgoE5EtNS0_10empty_typeEbEEZZNS1_14partition_implILS5_5ELb0ES3_mN6thrust23THRUST_200600_302600_NS6detail15normal_iteratorINSA_10device_ptrItEEEEPS6_NSA_18transform_iteratorINSB_9not_fun_tI7is_trueItEEESF_NSA_11use_defaultESM_EENS0_5tupleIJSF_S6_EEENSO_IJSG_SG_EEES6_PlJS6_EEE10hipError_tPvRmT3_T4_T5_T6_T7_T9_mT8_P12ihipStream_tbDpT10_ENKUlT_T0_E_clISt17integral_constantIbLb1EES1A_IbLb0EEEEDaS16_S17_EUlS16_E_NS1_11comp_targetILNS1_3genE8ELNS1_11target_archE1030ELNS1_3gpuE2ELNS1_3repE0EEENS1_30default_config_static_selectorELNS0_4arch9wavefront6targetE0EEEvT1_.private_seg_size, 0
	.set _ZN7rocprim17ROCPRIM_400000_NS6detail17trampoline_kernelINS0_14default_configENS1_25partition_config_selectorILNS1_17partition_subalgoE5EtNS0_10empty_typeEbEEZZNS1_14partition_implILS5_5ELb0ES3_mN6thrust23THRUST_200600_302600_NS6detail15normal_iteratorINSA_10device_ptrItEEEEPS6_NSA_18transform_iteratorINSB_9not_fun_tI7is_trueItEEESF_NSA_11use_defaultESM_EENS0_5tupleIJSF_S6_EEENSO_IJSG_SG_EEES6_PlJS6_EEE10hipError_tPvRmT3_T4_T5_T6_T7_T9_mT8_P12ihipStream_tbDpT10_ENKUlT_T0_E_clISt17integral_constantIbLb1EES1A_IbLb0EEEEDaS16_S17_EUlS16_E_NS1_11comp_targetILNS1_3genE8ELNS1_11target_archE1030ELNS1_3gpuE2ELNS1_3repE0EEENS1_30default_config_static_selectorELNS0_4arch9wavefront6targetE0EEEvT1_.uses_vcc, 0
	.set _ZN7rocprim17ROCPRIM_400000_NS6detail17trampoline_kernelINS0_14default_configENS1_25partition_config_selectorILNS1_17partition_subalgoE5EtNS0_10empty_typeEbEEZZNS1_14partition_implILS5_5ELb0ES3_mN6thrust23THRUST_200600_302600_NS6detail15normal_iteratorINSA_10device_ptrItEEEEPS6_NSA_18transform_iteratorINSB_9not_fun_tI7is_trueItEEESF_NSA_11use_defaultESM_EENS0_5tupleIJSF_S6_EEENSO_IJSG_SG_EEES6_PlJS6_EEE10hipError_tPvRmT3_T4_T5_T6_T7_T9_mT8_P12ihipStream_tbDpT10_ENKUlT_T0_E_clISt17integral_constantIbLb1EES1A_IbLb0EEEEDaS16_S17_EUlS16_E_NS1_11comp_targetILNS1_3genE8ELNS1_11target_archE1030ELNS1_3gpuE2ELNS1_3repE0EEENS1_30default_config_static_selectorELNS0_4arch9wavefront6targetE0EEEvT1_.uses_flat_scratch, 0
	.set _ZN7rocprim17ROCPRIM_400000_NS6detail17trampoline_kernelINS0_14default_configENS1_25partition_config_selectorILNS1_17partition_subalgoE5EtNS0_10empty_typeEbEEZZNS1_14partition_implILS5_5ELb0ES3_mN6thrust23THRUST_200600_302600_NS6detail15normal_iteratorINSA_10device_ptrItEEEEPS6_NSA_18transform_iteratorINSB_9not_fun_tI7is_trueItEEESF_NSA_11use_defaultESM_EENS0_5tupleIJSF_S6_EEENSO_IJSG_SG_EEES6_PlJS6_EEE10hipError_tPvRmT3_T4_T5_T6_T7_T9_mT8_P12ihipStream_tbDpT10_ENKUlT_T0_E_clISt17integral_constantIbLb1EES1A_IbLb0EEEEDaS16_S17_EUlS16_E_NS1_11comp_targetILNS1_3genE8ELNS1_11target_archE1030ELNS1_3gpuE2ELNS1_3repE0EEENS1_30default_config_static_selectorELNS0_4arch9wavefront6targetE0EEEvT1_.has_dyn_sized_stack, 0
	.set _ZN7rocprim17ROCPRIM_400000_NS6detail17trampoline_kernelINS0_14default_configENS1_25partition_config_selectorILNS1_17partition_subalgoE5EtNS0_10empty_typeEbEEZZNS1_14partition_implILS5_5ELb0ES3_mN6thrust23THRUST_200600_302600_NS6detail15normal_iteratorINSA_10device_ptrItEEEEPS6_NSA_18transform_iteratorINSB_9not_fun_tI7is_trueItEEESF_NSA_11use_defaultESM_EENS0_5tupleIJSF_S6_EEENSO_IJSG_SG_EEES6_PlJS6_EEE10hipError_tPvRmT3_T4_T5_T6_T7_T9_mT8_P12ihipStream_tbDpT10_ENKUlT_T0_E_clISt17integral_constantIbLb1EES1A_IbLb0EEEEDaS16_S17_EUlS16_E_NS1_11comp_targetILNS1_3genE8ELNS1_11target_archE1030ELNS1_3gpuE2ELNS1_3repE0EEENS1_30default_config_static_selectorELNS0_4arch9wavefront6targetE0EEEvT1_.has_recursion, 0
	.set _ZN7rocprim17ROCPRIM_400000_NS6detail17trampoline_kernelINS0_14default_configENS1_25partition_config_selectorILNS1_17partition_subalgoE5EtNS0_10empty_typeEbEEZZNS1_14partition_implILS5_5ELb0ES3_mN6thrust23THRUST_200600_302600_NS6detail15normal_iteratorINSA_10device_ptrItEEEEPS6_NSA_18transform_iteratorINSB_9not_fun_tI7is_trueItEEESF_NSA_11use_defaultESM_EENS0_5tupleIJSF_S6_EEENSO_IJSG_SG_EEES6_PlJS6_EEE10hipError_tPvRmT3_T4_T5_T6_T7_T9_mT8_P12ihipStream_tbDpT10_ENKUlT_T0_E_clISt17integral_constantIbLb1EES1A_IbLb0EEEEDaS16_S17_EUlS16_E_NS1_11comp_targetILNS1_3genE8ELNS1_11target_archE1030ELNS1_3gpuE2ELNS1_3repE0EEENS1_30default_config_static_selectorELNS0_4arch9wavefront6targetE0EEEvT1_.has_indirect_call, 0
	.section	.AMDGPU.csdata,"",@progbits
; Kernel info:
; codeLenInByte = 0
; TotalNumSgprs: 0
; NumVgprs: 0
; ScratchSize: 0
; MemoryBound: 0
; FloatMode: 240
; IeeeMode: 1
; LDSByteSize: 0 bytes/workgroup (compile time only)
; SGPRBlocks: 0
; VGPRBlocks: 0
; NumSGPRsForWavesPerEU: 1
; NumVGPRsForWavesPerEU: 1
; Occupancy: 16
; WaveLimiterHint : 0
; COMPUTE_PGM_RSRC2:SCRATCH_EN: 0
; COMPUTE_PGM_RSRC2:USER_SGPR: 2
; COMPUTE_PGM_RSRC2:TRAP_HANDLER: 0
; COMPUTE_PGM_RSRC2:TGID_X_EN: 1
; COMPUTE_PGM_RSRC2:TGID_Y_EN: 0
; COMPUTE_PGM_RSRC2:TGID_Z_EN: 0
; COMPUTE_PGM_RSRC2:TIDIG_COMP_CNT: 0
	.section	.text._ZN7rocprim17ROCPRIM_400000_NS6detail17trampoline_kernelINS0_14default_configENS1_25partition_config_selectorILNS1_17partition_subalgoE5EtNS0_10empty_typeEbEEZZNS1_14partition_implILS5_5ELb0ES3_mN6thrust23THRUST_200600_302600_NS6detail15normal_iteratorINSA_10device_ptrItEEEEPS6_NSA_18transform_iteratorINSB_9not_fun_tI7is_trueItEEESF_NSA_11use_defaultESM_EENS0_5tupleIJSF_S6_EEENSO_IJSG_SG_EEES6_PlJS6_EEE10hipError_tPvRmT3_T4_T5_T6_T7_T9_mT8_P12ihipStream_tbDpT10_ENKUlT_T0_E_clISt17integral_constantIbLb0EES1A_IbLb1EEEEDaS16_S17_EUlS16_E_NS1_11comp_targetILNS1_3genE0ELNS1_11target_archE4294967295ELNS1_3gpuE0ELNS1_3repE0EEENS1_30default_config_static_selectorELNS0_4arch9wavefront6targetE0EEEvT1_,"axG",@progbits,_ZN7rocprim17ROCPRIM_400000_NS6detail17trampoline_kernelINS0_14default_configENS1_25partition_config_selectorILNS1_17partition_subalgoE5EtNS0_10empty_typeEbEEZZNS1_14partition_implILS5_5ELb0ES3_mN6thrust23THRUST_200600_302600_NS6detail15normal_iteratorINSA_10device_ptrItEEEEPS6_NSA_18transform_iteratorINSB_9not_fun_tI7is_trueItEEESF_NSA_11use_defaultESM_EENS0_5tupleIJSF_S6_EEENSO_IJSG_SG_EEES6_PlJS6_EEE10hipError_tPvRmT3_T4_T5_T6_T7_T9_mT8_P12ihipStream_tbDpT10_ENKUlT_T0_E_clISt17integral_constantIbLb0EES1A_IbLb1EEEEDaS16_S17_EUlS16_E_NS1_11comp_targetILNS1_3genE0ELNS1_11target_archE4294967295ELNS1_3gpuE0ELNS1_3repE0EEENS1_30default_config_static_selectorELNS0_4arch9wavefront6targetE0EEEvT1_,comdat
	.protected	_ZN7rocprim17ROCPRIM_400000_NS6detail17trampoline_kernelINS0_14default_configENS1_25partition_config_selectorILNS1_17partition_subalgoE5EtNS0_10empty_typeEbEEZZNS1_14partition_implILS5_5ELb0ES3_mN6thrust23THRUST_200600_302600_NS6detail15normal_iteratorINSA_10device_ptrItEEEEPS6_NSA_18transform_iteratorINSB_9not_fun_tI7is_trueItEEESF_NSA_11use_defaultESM_EENS0_5tupleIJSF_S6_EEENSO_IJSG_SG_EEES6_PlJS6_EEE10hipError_tPvRmT3_T4_T5_T6_T7_T9_mT8_P12ihipStream_tbDpT10_ENKUlT_T0_E_clISt17integral_constantIbLb0EES1A_IbLb1EEEEDaS16_S17_EUlS16_E_NS1_11comp_targetILNS1_3genE0ELNS1_11target_archE4294967295ELNS1_3gpuE0ELNS1_3repE0EEENS1_30default_config_static_selectorELNS0_4arch9wavefront6targetE0EEEvT1_ ; -- Begin function _ZN7rocprim17ROCPRIM_400000_NS6detail17trampoline_kernelINS0_14default_configENS1_25partition_config_selectorILNS1_17partition_subalgoE5EtNS0_10empty_typeEbEEZZNS1_14partition_implILS5_5ELb0ES3_mN6thrust23THRUST_200600_302600_NS6detail15normal_iteratorINSA_10device_ptrItEEEEPS6_NSA_18transform_iteratorINSB_9not_fun_tI7is_trueItEEESF_NSA_11use_defaultESM_EENS0_5tupleIJSF_S6_EEENSO_IJSG_SG_EEES6_PlJS6_EEE10hipError_tPvRmT3_T4_T5_T6_T7_T9_mT8_P12ihipStream_tbDpT10_ENKUlT_T0_E_clISt17integral_constantIbLb0EES1A_IbLb1EEEEDaS16_S17_EUlS16_E_NS1_11comp_targetILNS1_3genE0ELNS1_11target_archE4294967295ELNS1_3gpuE0ELNS1_3repE0EEENS1_30default_config_static_selectorELNS0_4arch9wavefront6targetE0EEEvT1_
	.globl	_ZN7rocprim17ROCPRIM_400000_NS6detail17trampoline_kernelINS0_14default_configENS1_25partition_config_selectorILNS1_17partition_subalgoE5EtNS0_10empty_typeEbEEZZNS1_14partition_implILS5_5ELb0ES3_mN6thrust23THRUST_200600_302600_NS6detail15normal_iteratorINSA_10device_ptrItEEEEPS6_NSA_18transform_iteratorINSB_9not_fun_tI7is_trueItEEESF_NSA_11use_defaultESM_EENS0_5tupleIJSF_S6_EEENSO_IJSG_SG_EEES6_PlJS6_EEE10hipError_tPvRmT3_T4_T5_T6_T7_T9_mT8_P12ihipStream_tbDpT10_ENKUlT_T0_E_clISt17integral_constantIbLb0EES1A_IbLb1EEEEDaS16_S17_EUlS16_E_NS1_11comp_targetILNS1_3genE0ELNS1_11target_archE4294967295ELNS1_3gpuE0ELNS1_3repE0EEENS1_30default_config_static_selectorELNS0_4arch9wavefront6targetE0EEEvT1_
	.p2align	8
	.type	_ZN7rocprim17ROCPRIM_400000_NS6detail17trampoline_kernelINS0_14default_configENS1_25partition_config_selectorILNS1_17partition_subalgoE5EtNS0_10empty_typeEbEEZZNS1_14partition_implILS5_5ELb0ES3_mN6thrust23THRUST_200600_302600_NS6detail15normal_iteratorINSA_10device_ptrItEEEEPS6_NSA_18transform_iteratorINSB_9not_fun_tI7is_trueItEEESF_NSA_11use_defaultESM_EENS0_5tupleIJSF_S6_EEENSO_IJSG_SG_EEES6_PlJS6_EEE10hipError_tPvRmT3_T4_T5_T6_T7_T9_mT8_P12ihipStream_tbDpT10_ENKUlT_T0_E_clISt17integral_constantIbLb0EES1A_IbLb1EEEEDaS16_S17_EUlS16_E_NS1_11comp_targetILNS1_3genE0ELNS1_11target_archE4294967295ELNS1_3gpuE0ELNS1_3repE0EEENS1_30default_config_static_selectorELNS0_4arch9wavefront6targetE0EEEvT1_,@function
_ZN7rocprim17ROCPRIM_400000_NS6detail17trampoline_kernelINS0_14default_configENS1_25partition_config_selectorILNS1_17partition_subalgoE5EtNS0_10empty_typeEbEEZZNS1_14partition_implILS5_5ELb0ES3_mN6thrust23THRUST_200600_302600_NS6detail15normal_iteratorINSA_10device_ptrItEEEEPS6_NSA_18transform_iteratorINSB_9not_fun_tI7is_trueItEEESF_NSA_11use_defaultESM_EENS0_5tupleIJSF_S6_EEENSO_IJSG_SG_EEES6_PlJS6_EEE10hipError_tPvRmT3_T4_T5_T6_T7_T9_mT8_P12ihipStream_tbDpT10_ENKUlT_T0_E_clISt17integral_constantIbLb0EES1A_IbLb1EEEEDaS16_S17_EUlS16_E_NS1_11comp_targetILNS1_3genE0ELNS1_11target_archE4294967295ELNS1_3gpuE0ELNS1_3repE0EEENS1_30default_config_static_selectorELNS0_4arch9wavefront6targetE0EEEvT1_: ; @_ZN7rocprim17ROCPRIM_400000_NS6detail17trampoline_kernelINS0_14default_configENS1_25partition_config_selectorILNS1_17partition_subalgoE5EtNS0_10empty_typeEbEEZZNS1_14partition_implILS5_5ELb0ES3_mN6thrust23THRUST_200600_302600_NS6detail15normal_iteratorINSA_10device_ptrItEEEEPS6_NSA_18transform_iteratorINSB_9not_fun_tI7is_trueItEEESF_NSA_11use_defaultESM_EENS0_5tupleIJSF_S6_EEENSO_IJSG_SG_EEES6_PlJS6_EEE10hipError_tPvRmT3_T4_T5_T6_T7_T9_mT8_P12ihipStream_tbDpT10_ENKUlT_T0_E_clISt17integral_constantIbLb0EES1A_IbLb1EEEEDaS16_S17_EUlS16_E_NS1_11comp_targetILNS1_3genE0ELNS1_11target_archE4294967295ELNS1_3gpuE0ELNS1_3repE0EEENS1_30default_config_static_selectorELNS0_4arch9wavefront6targetE0EEEvT1_
; %bb.0:
	.section	.rodata,"a",@progbits
	.p2align	6, 0x0
	.amdhsa_kernel _ZN7rocprim17ROCPRIM_400000_NS6detail17trampoline_kernelINS0_14default_configENS1_25partition_config_selectorILNS1_17partition_subalgoE5EtNS0_10empty_typeEbEEZZNS1_14partition_implILS5_5ELb0ES3_mN6thrust23THRUST_200600_302600_NS6detail15normal_iteratorINSA_10device_ptrItEEEEPS6_NSA_18transform_iteratorINSB_9not_fun_tI7is_trueItEEESF_NSA_11use_defaultESM_EENS0_5tupleIJSF_S6_EEENSO_IJSG_SG_EEES6_PlJS6_EEE10hipError_tPvRmT3_T4_T5_T6_T7_T9_mT8_P12ihipStream_tbDpT10_ENKUlT_T0_E_clISt17integral_constantIbLb0EES1A_IbLb1EEEEDaS16_S17_EUlS16_E_NS1_11comp_targetILNS1_3genE0ELNS1_11target_archE4294967295ELNS1_3gpuE0ELNS1_3repE0EEENS1_30default_config_static_selectorELNS0_4arch9wavefront6targetE0EEEvT1_
		.amdhsa_group_segment_fixed_size 0
		.amdhsa_private_segment_fixed_size 0
		.amdhsa_kernarg_size 136
		.amdhsa_user_sgpr_count 2
		.amdhsa_user_sgpr_dispatch_ptr 0
		.amdhsa_user_sgpr_queue_ptr 0
		.amdhsa_user_sgpr_kernarg_segment_ptr 1
		.amdhsa_user_sgpr_dispatch_id 0
		.amdhsa_user_sgpr_private_segment_size 0
		.amdhsa_wavefront_size32 1
		.amdhsa_uses_dynamic_stack 0
		.amdhsa_enable_private_segment 0
		.amdhsa_system_sgpr_workgroup_id_x 1
		.amdhsa_system_sgpr_workgroup_id_y 0
		.amdhsa_system_sgpr_workgroup_id_z 0
		.amdhsa_system_sgpr_workgroup_info 0
		.amdhsa_system_vgpr_workitem_id 0
		.amdhsa_next_free_vgpr 1
		.amdhsa_next_free_sgpr 1
		.amdhsa_reserve_vcc 0
		.amdhsa_float_round_mode_32 0
		.amdhsa_float_round_mode_16_64 0
		.amdhsa_float_denorm_mode_32 3
		.amdhsa_float_denorm_mode_16_64 3
		.amdhsa_fp16_overflow 0
		.amdhsa_workgroup_processor_mode 1
		.amdhsa_memory_ordered 1
		.amdhsa_forward_progress 1
		.amdhsa_inst_pref_size 0
		.amdhsa_round_robin_scheduling 0
		.amdhsa_exception_fp_ieee_invalid_op 0
		.amdhsa_exception_fp_denorm_src 0
		.amdhsa_exception_fp_ieee_div_zero 0
		.amdhsa_exception_fp_ieee_overflow 0
		.amdhsa_exception_fp_ieee_underflow 0
		.amdhsa_exception_fp_ieee_inexact 0
		.amdhsa_exception_int_div_zero 0
	.end_amdhsa_kernel
	.section	.text._ZN7rocprim17ROCPRIM_400000_NS6detail17trampoline_kernelINS0_14default_configENS1_25partition_config_selectorILNS1_17partition_subalgoE5EtNS0_10empty_typeEbEEZZNS1_14partition_implILS5_5ELb0ES3_mN6thrust23THRUST_200600_302600_NS6detail15normal_iteratorINSA_10device_ptrItEEEEPS6_NSA_18transform_iteratorINSB_9not_fun_tI7is_trueItEEESF_NSA_11use_defaultESM_EENS0_5tupleIJSF_S6_EEENSO_IJSG_SG_EEES6_PlJS6_EEE10hipError_tPvRmT3_T4_T5_T6_T7_T9_mT8_P12ihipStream_tbDpT10_ENKUlT_T0_E_clISt17integral_constantIbLb0EES1A_IbLb1EEEEDaS16_S17_EUlS16_E_NS1_11comp_targetILNS1_3genE0ELNS1_11target_archE4294967295ELNS1_3gpuE0ELNS1_3repE0EEENS1_30default_config_static_selectorELNS0_4arch9wavefront6targetE0EEEvT1_,"axG",@progbits,_ZN7rocprim17ROCPRIM_400000_NS6detail17trampoline_kernelINS0_14default_configENS1_25partition_config_selectorILNS1_17partition_subalgoE5EtNS0_10empty_typeEbEEZZNS1_14partition_implILS5_5ELb0ES3_mN6thrust23THRUST_200600_302600_NS6detail15normal_iteratorINSA_10device_ptrItEEEEPS6_NSA_18transform_iteratorINSB_9not_fun_tI7is_trueItEEESF_NSA_11use_defaultESM_EENS0_5tupleIJSF_S6_EEENSO_IJSG_SG_EEES6_PlJS6_EEE10hipError_tPvRmT3_T4_T5_T6_T7_T9_mT8_P12ihipStream_tbDpT10_ENKUlT_T0_E_clISt17integral_constantIbLb0EES1A_IbLb1EEEEDaS16_S17_EUlS16_E_NS1_11comp_targetILNS1_3genE0ELNS1_11target_archE4294967295ELNS1_3gpuE0ELNS1_3repE0EEENS1_30default_config_static_selectorELNS0_4arch9wavefront6targetE0EEEvT1_,comdat
.Lfunc_end1458:
	.size	_ZN7rocprim17ROCPRIM_400000_NS6detail17trampoline_kernelINS0_14default_configENS1_25partition_config_selectorILNS1_17partition_subalgoE5EtNS0_10empty_typeEbEEZZNS1_14partition_implILS5_5ELb0ES3_mN6thrust23THRUST_200600_302600_NS6detail15normal_iteratorINSA_10device_ptrItEEEEPS6_NSA_18transform_iteratorINSB_9not_fun_tI7is_trueItEEESF_NSA_11use_defaultESM_EENS0_5tupleIJSF_S6_EEENSO_IJSG_SG_EEES6_PlJS6_EEE10hipError_tPvRmT3_T4_T5_T6_T7_T9_mT8_P12ihipStream_tbDpT10_ENKUlT_T0_E_clISt17integral_constantIbLb0EES1A_IbLb1EEEEDaS16_S17_EUlS16_E_NS1_11comp_targetILNS1_3genE0ELNS1_11target_archE4294967295ELNS1_3gpuE0ELNS1_3repE0EEENS1_30default_config_static_selectorELNS0_4arch9wavefront6targetE0EEEvT1_, .Lfunc_end1458-_ZN7rocprim17ROCPRIM_400000_NS6detail17trampoline_kernelINS0_14default_configENS1_25partition_config_selectorILNS1_17partition_subalgoE5EtNS0_10empty_typeEbEEZZNS1_14partition_implILS5_5ELb0ES3_mN6thrust23THRUST_200600_302600_NS6detail15normal_iteratorINSA_10device_ptrItEEEEPS6_NSA_18transform_iteratorINSB_9not_fun_tI7is_trueItEEESF_NSA_11use_defaultESM_EENS0_5tupleIJSF_S6_EEENSO_IJSG_SG_EEES6_PlJS6_EEE10hipError_tPvRmT3_T4_T5_T6_T7_T9_mT8_P12ihipStream_tbDpT10_ENKUlT_T0_E_clISt17integral_constantIbLb0EES1A_IbLb1EEEEDaS16_S17_EUlS16_E_NS1_11comp_targetILNS1_3genE0ELNS1_11target_archE4294967295ELNS1_3gpuE0ELNS1_3repE0EEENS1_30default_config_static_selectorELNS0_4arch9wavefront6targetE0EEEvT1_
                                        ; -- End function
	.set _ZN7rocprim17ROCPRIM_400000_NS6detail17trampoline_kernelINS0_14default_configENS1_25partition_config_selectorILNS1_17partition_subalgoE5EtNS0_10empty_typeEbEEZZNS1_14partition_implILS5_5ELb0ES3_mN6thrust23THRUST_200600_302600_NS6detail15normal_iteratorINSA_10device_ptrItEEEEPS6_NSA_18transform_iteratorINSB_9not_fun_tI7is_trueItEEESF_NSA_11use_defaultESM_EENS0_5tupleIJSF_S6_EEENSO_IJSG_SG_EEES6_PlJS6_EEE10hipError_tPvRmT3_T4_T5_T6_T7_T9_mT8_P12ihipStream_tbDpT10_ENKUlT_T0_E_clISt17integral_constantIbLb0EES1A_IbLb1EEEEDaS16_S17_EUlS16_E_NS1_11comp_targetILNS1_3genE0ELNS1_11target_archE4294967295ELNS1_3gpuE0ELNS1_3repE0EEENS1_30default_config_static_selectorELNS0_4arch9wavefront6targetE0EEEvT1_.num_vgpr, 0
	.set _ZN7rocprim17ROCPRIM_400000_NS6detail17trampoline_kernelINS0_14default_configENS1_25partition_config_selectorILNS1_17partition_subalgoE5EtNS0_10empty_typeEbEEZZNS1_14partition_implILS5_5ELb0ES3_mN6thrust23THRUST_200600_302600_NS6detail15normal_iteratorINSA_10device_ptrItEEEEPS6_NSA_18transform_iteratorINSB_9not_fun_tI7is_trueItEEESF_NSA_11use_defaultESM_EENS0_5tupleIJSF_S6_EEENSO_IJSG_SG_EEES6_PlJS6_EEE10hipError_tPvRmT3_T4_T5_T6_T7_T9_mT8_P12ihipStream_tbDpT10_ENKUlT_T0_E_clISt17integral_constantIbLb0EES1A_IbLb1EEEEDaS16_S17_EUlS16_E_NS1_11comp_targetILNS1_3genE0ELNS1_11target_archE4294967295ELNS1_3gpuE0ELNS1_3repE0EEENS1_30default_config_static_selectorELNS0_4arch9wavefront6targetE0EEEvT1_.num_agpr, 0
	.set _ZN7rocprim17ROCPRIM_400000_NS6detail17trampoline_kernelINS0_14default_configENS1_25partition_config_selectorILNS1_17partition_subalgoE5EtNS0_10empty_typeEbEEZZNS1_14partition_implILS5_5ELb0ES3_mN6thrust23THRUST_200600_302600_NS6detail15normal_iteratorINSA_10device_ptrItEEEEPS6_NSA_18transform_iteratorINSB_9not_fun_tI7is_trueItEEESF_NSA_11use_defaultESM_EENS0_5tupleIJSF_S6_EEENSO_IJSG_SG_EEES6_PlJS6_EEE10hipError_tPvRmT3_T4_T5_T6_T7_T9_mT8_P12ihipStream_tbDpT10_ENKUlT_T0_E_clISt17integral_constantIbLb0EES1A_IbLb1EEEEDaS16_S17_EUlS16_E_NS1_11comp_targetILNS1_3genE0ELNS1_11target_archE4294967295ELNS1_3gpuE0ELNS1_3repE0EEENS1_30default_config_static_selectorELNS0_4arch9wavefront6targetE0EEEvT1_.numbered_sgpr, 0
	.set _ZN7rocprim17ROCPRIM_400000_NS6detail17trampoline_kernelINS0_14default_configENS1_25partition_config_selectorILNS1_17partition_subalgoE5EtNS0_10empty_typeEbEEZZNS1_14partition_implILS5_5ELb0ES3_mN6thrust23THRUST_200600_302600_NS6detail15normal_iteratorINSA_10device_ptrItEEEEPS6_NSA_18transform_iteratorINSB_9not_fun_tI7is_trueItEEESF_NSA_11use_defaultESM_EENS0_5tupleIJSF_S6_EEENSO_IJSG_SG_EEES6_PlJS6_EEE10hipError_tPvRmT3_T4_T5_T6_T7_T9_mT8_P12ihipStream_tbDpT10_ENKUlT_T0_E_clISt17integral_constantIbLb0EES1A_IbLb1EEEEDaS16_S17_EUlS16_E_NS1_11comp_targetILNS1_3genE0ELNS1_11target_archE4294967295ELNS1_3gpuE0ELNS1_3repE0EEENS1_30default_config_static_selectorELNS0_4arch9wavefront6targetE0EEEvT1_.num_named_barrier, 0
	.set _ZN7rocprim17ROCPRIM_400000_NS6detail17trampoline_kernelINS0_14default_configENS1_25partition_config_selectorILNS1_17partition_subalgoE5EtNS0_10empty_typeEbEEZZNS1_14partition_implILS5_5ELb0ES3_mN6thrust23THRUST_200600_302600_NS6detail15normal_iteratorINSA_10device_ptrItEEEEPS6_NSA_18transform_iteratorINSB_9not_fun_tI7is_trueItEEESF_NSA_11use_defaultESM_EENS0_5tupleIJSF_S6_EEENSO_IJSG_SG_EEES6_PlJS6_EEE10hipError_tPvRmT3_T4_T5_T6_T7_T9_mT8_P12ihipStream_tbDpT10_ENKUlT_T0_E_clISt17integral_constantIbLb0EES1A_IbLb1EEEEDaS16_S17_EUlS16_E_NS1_11comp_targetILNS1_3genE0ELNS1_11target_archE4294967295ELNS1_3gpuE0ELNS1_3repE0EEENS1_30default_config_static_selectorELNS0_4arch9wavefront6targetE0EEEvT1_.private_seg_size, 0
	.set _ZN7rocprim17ROCPRIM_400000_NS6detail17trampoline_kernelINS0_14default_configENS1_25partition_config_selectorILNS1_17partition_subalgoE5EtNS0_10empty_typeEbEEZZNS1_14partition_implILS5_5ELb0ES3_mN6thrust23THRUST_200600_302600_NS6detail15normal_iteratorINSA_10device_ptrItEEEEPS6_NSA_18transform_iteratorINSB_9not_fun_tI7is_trueItEEESF_NSA_11use_defaultESM_EENS0_5tupleIJSF_S6_EEENSO_IJSG_SG_EEES6_PlJS6_EEE10hipError_tPvRmT3_T4_T5_T6_T7_T9_mT8_P12ihipStream_tbDpT10_ENKUlT_T0_E_clISt17integral_constantIbLb0EES1A_IbLb1EEEEDaS16_S17_EUlS16_E_NS1_11comp_targetILNS1_3genE0ELNS1_11target_archE4294967295ELNS1_3gpuE0ELNS1_3repE0EEENS1_30default_config_static_selectorELNS0_4arch9wavefront6targetE0EEEvT1_.uses_vcc, 0
	.set _ZN7rocprim17ROCPRIM_400000_NS6detail17trampoline_kernelINS0_14default_configENS1_25partition_config_selectorILNS1_17partition_subalgoE5EtNS0_10empty_typeEbEEZZNS1_14partition_implILS5_5ELb0ES3_mN6thrust23THRUST_200600_302600_NS6detail15normal_iteratorINSA_10device_ptrItEEEEPS6_NSA_18transform_iteratorINSB_9not_fun_tI7is_trueItEEESF_NSA_11use_defaultESM_EENS0_5tupleIJSF_S6_EEENSO_IJSG_SG_EEES6_PlJS6_EEE10hipError_tPvRmT3_T4_T5_T6_T7_T9_mT8_P12ihipStream_tbDpT10_ENKUlT_T0_E_clISt17integral_constantIbLb0EES1A_IbLb1EEEEDaS16_S17_EUlS16_E_NS1_11comp_targetILNS1_3genE0ELNS1_11target_archE4294967295ELNS1_3gpuE0ELNS1_3repE0EEENS1_30default_config_static_selectorELNS0_4arch9wavefront6targetE0EEEvT1_.uses_flat_scratch, 0
	.set _ZN7rocprim17ROCPRIM_400000_NS6detail17trampoline_kernelINS0_14default_configENS1_25partition_config_selectorILNS1_17partition_subalgoE5EtNS0_10empty_typeEbEEZZNS1_14partition_implILS5_5ELb0ES3_mN6thrust23THRUST_200600_302600_NS6detail15normal_iteratorINSA_10device_ptrItEEEEPS6_NSA_18transform_iteratorINSB_9not_fun_tI7is_trueItEEESF_NSA_11use_defaultESM_EENS0_5tupleIJSF_S6_EEENSO_IJSG_SG_EEES6_PlJS6_EEE10hipError_tPvRmT3_T4_T5_T6_T7_T9_mT8_P12ihipStream_tbDpT10_ENKUlT_T0_E_clISt17integral_constantIbLb0EES1A_IbLb1EEEEDaS16_S17_EUlS16_E_NS1_11comp_targetILNS1_3genE0ELNS1_11target_archE4294967295ELNS1_3gpuE0ELNS1_3repE0EEENS1_30default_config_static_selectorELNS0_4arch9wavefront6targetE0EEEvT1_.has_dyn_sized_stack, 0
	.set _ZN7rocprim17ROCPRIM_400000_NS6detail17trampoline_kernelINS0_14default_configENS1_25partition_config_selectorILNS1_17partition_subalgoE5EtNS0_10empty_typeEbEEZZNS1_14partition_implILS5_5ELb0ES3_mN6thrust23THRUST_200600_302600_NS6detail15normal_iteratorINSA_10device_ptrItEEEEPS6_NSA_18transform_iteratorINSB_9not_fun_tI7is_trueItEEESF_NSA_11use_defaultESM_EENS0_5tupleIJSF_S6_EEENSO_IJSG_SG_EEES6_PlJS6_EEE10hipError_tPvRmT3_T4_T5_T6_T7_T9_mT8_P12ihipStream_tbDpT10_ENKUlT_T0_E_clISt17integral_constantIbLb0EES1A_IbLb1EEEEDaS16_S17_EUlS16_E_NS1_11comp_targetILNS1_3genE0ELNS1_11target_archE4294967295ELNS1_3gpuE0ELNS1_3repE0EEENS1_30default_config_static_selectorELNS0_4arch9wavefront6targetE0EEEvT1_.has_recursion, 0
	.set _ZN7rocprim17ROCPRIM_400000_NS6detail17trampoline_kernelINS0_14default_configENS1_25partition_config_selectorILNS1_17partition_subalgoE5EtNS0_10empty_typeEbEEZZNS1_14partition_implILS5_5ELb0ES3_mN6thrust23THRUST_200600_302600_NS6detail15normal_iteratorINSA_10device_ptrItEEEEPS6_NSA_18transform_iteratorINSB_9not_fun_tI7is_trueItEEESF_NSA_11use_defaultESM_EENS0_5tupleIJSF_S6_EEENSO_IJSG_SG_EEES6_PlJS6_EEE10hipError_tPvRmT3_T4_T5_T6_T7_T9_mT8_P12ihipStream_tbDpT10_ENKUlT_T0_E_clISt17integral_constantIbLb0EES1A_IbLb1EEEEDaS16_S17_EUlS16_E_NS1_11comp_targetILNS1_3genE0ELNS1_11target_archE4294967295ELNS1_3gpuE0ELNS1_3repE0EEENS1_30default_config_static_selectorELNS0_4arch9wavefront6targetE0EEEvT1_.has_indirect_call, 0
	.section	.AMDGPU.csdata,"",@progbits
; Kernel info:
; codeLenInByte = 0
; TotalNumSgprs: 0
; NumVgprs: 0
; ScratchSize: 0
; MemoryBound: 0
; FloatMode: 240
; IeeeMode: 1
; LDSByteSize: 0 bytes/workgroup (compile time only)
; SGPRBlocks: 0
; VGPRBlocks: 0
; NumSGPRsForWavesPerEU: 1
; NumVGPRsForWavesPerEU: 1
; Occupancy: 16
; WaveLimiterHint : 0
; COMPUTE_PGM_RSRC2:SCRATCH_EN: 0
; COMPUTE_PGM_RSRC2:USER_SGPR: 2
; COMPUTE_PGM_RSRC2:TRAP_HANDLER: 0
; COMPUTE_PGM_RSRC2:TGID_X_EN: 1
; COMPUTE_PGM_RSRC2:TGID_Y_EN: 0
; COMPUTE_PGM_RSRC2:TGID_Z_EN: 0
; COMPUTE_PGM_RSRC2:TIDIG_COMP_CNT: 0
	.section	.text._ZN7rocprim17ROCPRIM_400000_NS6detail17trampoline_kernelINS0_14default_configENS1_25partition_config_selectorILNS1_17partition_subalgoE5EtNS0_10empty_typeEbEEZZNS1_14partition_implILS5_5ELb0ES3_mN6thrust23THRUST_200600_302600_NS6detail15normal_iteratorINSA_10device_ptrItEEEEPS6_NSA_18transform_iteratorINSB_9not_fun_tI7is_trueItEEESF_NSA_11use_defaultESM_EENS0_5tupleIJSF_S6_EEENSO_IJSG_SG_EEES6_PlJS6_EEE10hipError_tPvRmT3_T4_T5_T6_T7_T9_mT8_P12ihipStream_tbDpT10_ENKUlT_T0_E_clISt17integral_constantIbLb0EES1A_IbLb1EEEEDaS16_S17_EUlS16_E_NS1_11comp_targetILNS1_3genE5ELNS1_11target_archE942ELNS1_3gpuE9ELNS1_3repE0EEENS1_30default_config_static_selectorELNS0_4arch9wavefront6targetE0EEEvT1_,"axG",@progbits,_ZN7rocprim17ROCPRIM_400000_NS6detail17trampoline_kernelINS0_14default_configENS1_25partition_config_selectorILNS1_17partition_subalgoE5EtNS0_10empty_typeEbEEZZNS1_14partition_implILS5_5ELb0ES3_mN6thrust23THRUST_200600_302600_NS6detail15normal_iteratorINSA_10device_ptrItEEEEPS6_NSA_18transform_iteratorINSB_9not_fun_tI7is_trueItEEESF_NSA_11use_defaultESM_EENS0_5tupleIJSF_S6_EEENSO_IJSG_SG_EEES6_PlJS6_EEE10hipError_tPvRmT3_T4_T5_T6_T7_T9_mT8_P12ihipStream_tbDpT10_ENKUlT_T0_E_clISt17integral_constantIbLb0EES1A_IbLb1EEEEDaS16_S17_EUlS16_E_NS1_11comp_targetILNS1_3genE5ELNS1_11target_archE942ELNS1_3gpuE9ELNS1_3repE0EEENS1_30default_config_static_selectorELNS0_4arch9wavefront6targetE0EEEvT1_,comdat
	.protected	_ZN7rocprim17ROCPRIM_400000_NS6detail17trampoline_kernelINS0_14default_configENS1_25partition_config_selectorILNS1_17partition_subalgoE5EtNS0_10empty_typeEbEEZZNS1_14partition_implILS5_5ELb0ES3_mN6thrust23THRUST_200600_302600_NS6detail15normal_iteratorINSA_10device_ptrItEEEEPS6_NSA_18transform_iteratorINSB_9not_fun_tI7is_trueItEEESF_NSA_11use_defaultESM_EENS0_5tupleIJSF_S6_EEENSO_IJSG_SG_EEES6_PlJS6_EEE10hipError_tPvRmT3_T4_T5_T6_T7_T9_mT8_P12ihipStream_tbDpT10_ENKUlT_T0_E_clISt17integral_constantIbLb0EES1A_IbLb1EEEEDaS16_S17_EUlS16_E_NS1_11comp_targetILNS1_3genE5ELNS1_11target_archE942ELNS1_3gpuE9ELNS1_3repE0EEENS1_30default_config_static_selectorELNS0_4arch9wavefront6targetE0EEEvT1_ ; -- Begin function _ZN7rocprim17ROCPRIM_400000_NS6detail17trampoline_kernelINS0_14default_configENS1_25partition_config_selectorILNS1_17partition_subalgoE5EtNS0_10empty_typeEbEEZZNS1_14partition_implILS5_5ELb0ES3_mN6thrust23THRUST_200600_302600_NS6detail15normal_iteratorINSA_10device_ptrItEEEEPS6_NSA_18transform_iteratorINSB_9not_fun_tI7is_trueItEEESF_NSA_11use_defaultESM_EENS0_5tupleIJSF_S6_EEENSO_IJSG_SG_EEES6_PlJS6_EEE10hipError_tPvRmT3_T4_T5_T6_T7_T9_mT8_P12ihipStream_tbDpT10_ENKUlT_T0_E_clISt17integral_constantIbLb0EES1A_IbLb1EEEEDaS16_S17_EUlS16_E_NS1_11comp_targetILNS1_3genE5ELNS1_11target_archE942ELNS1_3gpuE9ELNS1_3repE0EEENS1_30default_config_static_selectorELNS0_4arch9wavefront6targetE0EEEvT1_
	.globl	_ZN7rocprim17ROCPRIM_400000_NS6detail17trampoline_kernelINS0_14default_configENS1_25partition_config_selectorILNS1_17partition_subalgoE5EtNS0_10empty_typeEbEEZZNS1_14partition_implILS5_5ELb0ES3_mN6thrust23THRUST_200600_302600_NS6detail15normal_iteratorINSA_10device_ptrItEEEEPS6_NSA_18transform_iteratorINSB_9not_fun_tI7is_trueItEEESF_NSA_11use_defaultESM_EENS0_5tupleIJSF_S6_EEENSO_IJSG_SG_EEES6_PlJS6_EEE10hipError_tPvRmT3_T4_T5_T6_T7_T9_mT8_P12ihipStream_tbDpT10_ENKUlT_T0_E_clISt17integral_constantIbLb0EES1A_IbLb1EEEEDaS16_S17_EUlS16_E_NS1_11comp_targetILNS1_3genE5ELNS1_11target_archE942ELNS1_3gpuE9ELNS1_3repE0EEENS1_30default_config_static_selectorELNS0_4arch9wavefront6targetE0EEEvT1_
	.p2align	8
	.type	_ZN7rocprim17ROCPRIM_400000_NS6detail17trampoline_kernelINS0_14default_configENS1_25partition_config_selectorILNS1_17partition_subalgoE5EtNS0_10empty_typeEbEEZZNS1_14partition_implILS5_5ELb0ES3_mN6thrust23THRUST_200600_302600_NS6detail15normal_iteratorINSA_10device_ptrItEEEEPS6_NSA_18transform_iteratorINSB_9not_fun_tI7is_trueItEEESF_NSA_11use_defaultESM_EENS0_5tupleIJSF_S6_EEENSO_IJSG_SG_EEES6_PlJS6_EEE10hipError_tPvRmT3_T4_T5_T6_T7_T9_mT8_P12ihipStream_tbDpT10_ENKUlT_T0_E_clISt17integral_constantIbLb0EES1A_IbLb1EEEEDaS16_S17_EUlS16_E_NS1_11comp_targetILNS1_3genE5ELNS1_11target_archE942ELNS1_3gpuE9ELNS1_3repE0EEENS1_30default_config_static_selectorELNS0_4arch9wavefront6targetE0EEEvT1_,@function
_ZN7rocprim17ROCPRIM_400000_NS6detail17trampoline_kernelINS0_14default_configENS1_25partition_config_selectorILNS1_17partition_subalgoE5EtNS0_10empty_typeEbEEZZNS1_14partition_implILS5_5ELb0ES3_mN6thrust23THRUST_200600_302600_NS6detail15normal_iteratorINSA_10device_ptrItEEEEPS6_NSA_18transform_iteratorINSB_9not_fun_tI7is_trueItEEESF_NSA_11use_defaultESM_EENS0_5tupleIJSF_S6_EEENSO_IJSG_SG_EEES6_PlJS6_EEE10hipError_tPvRmT3_T4_T5_T6_T7_T9_mT8_P12ihipStream_tbDpT10_ENKUlT_T0_E_clISt17integral_constantIbLb0EES1A_IbLb1EEEEDaS16_S17_EUlS16_E_NS1_11comp_targetILNS1_3genE5ELNS1_11target_archE942ELNS1_3gpuE9ELNS1_3repE0EEENS1_30default_config_static_selectorELNS0_4arch9wavefront6targetE0EEEvT1_: ; @_ZN7rocprim17ROCPRIM_400000_NS6detail17trampoline_kernelINS0_14default_configENS1_25partition_config_selectorILNS1_17partition_subalgoE5EtNS0_10empty_typeEbEEZZNS1_14partition_implILS5_5ELb0ES3_mN6thrust23THRUST_200600_302600_NS6detail15normal_iteratorINSA_10device_ptrItEEEEPS6_NSA_18transform_iteratorINSB_9not_fun_tI7is_trueItEEESF_NSA_11use_defaultESM_EENS0_5tupleIJSF_S6_EEENSO_IJSG_SG_EEES6_PlJS6_EEE10hipError_tPvRmT3_T4_T5_T6_T7_T9_mT8_P12ihipStream_tbDpT10_ENKUlT_T0_E_clISt17integral_constantIbLb0EES1A_IbLb1EEEEDaS16_S17_EUlS16_E_NS1_11comp_targetILNS1_3genE5ELNS1_11target_archE942ELNS1_3gpuE9ELNS1_3repE0EEENS1_30default_config_static_selectorELNS0_4arch9wavefront6targetE0EEEvT1_
; %bb.0:
	.section	.rodata,"a",@progbits
	.p2align	6, 0x0
	.amdhsa_kernel _ZN7rocprim17ROCPRIM_400000_NS6detail17trampoline_kernelINS0_14default_configENS1_25partition_config_selectorILNS1_17partition_subalgoE5EtNS0_10empty_typeEbEEZZNS1_14partition_implILS5_5ELb0ES3_mN6thrust23THRUST_200600_302600_NS6detail15normal_iteratorINSA_10device_ptrItEEEEPS6_NSA_18transform_iteratorINSB_9not_fun_tI7is_trueItEEESF_NSA_11use_defaultESM_EENS0_5tupleIJSF_S6_EEENSO_IJSG_SG_EEES6_PlJS6_EEE10hipError_tPvRmT3_T4_T5_T6_T7_T9_mT8_P12ihipStream_tbDpT10_ENKUlT_T0_E_clISt17integral_constantIbLb0EES1A_IbLb1EEEEDaS16_S17_EUlS16_E_NS1_11comp_targetILNS1_3genE5ELNS1_11target_archE942ELNS1_3gpuE9ELNS1_3repE0EEENS1_30default_config_static_selectorELNS0_4arch9wavefront6targetE0EEEvT1_
		.amdhsa_group_segment_fixed_size 0
		.amdhsa_private_segment_fixed_size 0
		.amdhsa_kernarg_size 136
		.amdhsa_user_sgpr_count 2
		.amdhsa_user_sgpr_dispatch_ptr 0
		.amdhsa_user_sgpr_queue_ptr 0
		.amdhsa_user_sgpr_kernarg_segment_ptr 1
		.amdhsa_user_sgpr_dispatch_id 0
		.amdhsa_user_sgpr_private_segment_size 0
		.amdhsa_wavefront_size32 1
		.amdhsa_uses_dynamic_stack 0
		.amdhsa_enable_private_segment 0
		.amdhsa_system_sgpr_workgroup_id_x 1
		.amdhsa_system_sgpr_workgroup_id_y 0
		.amdhsa_system_sgpr_workgroup_id_z 0
		.amdhsa_system_sgpr_workgroup_info 0
		.amdhsa_system_vgpr_workitem_id 0
		.amdhsa_next_free_vgpr 1
		.amdhsa_next_free_sgpr 1
		.amdhsa_reserve_vcc 0
		.amdhsa_float_round_mode_32 0
		.amdhsa_float_round_mode_16_64 0
		.amdhsa_float_denorm_mode_32 3
		.amdhsa_float_denorm_mode_16_64 3
		.amdhsa_fp16_overflow 0
		.amdhsa_workgroup_processor_mode 1
		.amdhsa_memory_ordered 1
		.amdhsa_forward_progress 1
		.amdhsa_inst_pref_size 0
		.amdhsa_round_robin_scheduling 0
		.amdhsa_exception_fp_ieee_invalid_op 0
		.amdhsa_exception_fp_denorm_src 0
		.amdhsa_exception_fp_ieee_div_zero 0
		.amdhsa_exception_fp_ieee_overflow 0
		.amdhsa_exception_fp_ieee_underflow 0
		.amdhsa_exception_fp_ieee_inexact 0
		.amdhsa_exception_int_div_zero 0
	.end_amdhsa_kernel
	.section	.text._ZN7rocprim17ROCPRIM_400000_NS6detail17trampoline_kernelINS0_14default_configENS1_25partition_config_selectorILNS1_17partition_subalgoE5EtNS0_10empty_typeEbEEZZNS1_14partition_implILS5_5ELb0ES3_mN6thrust23THRUST_200600_302600_NS6detail15normal_iteratorINSA_10device_ptrItEEEEPS6_NSA_18transform_iteratorINSB_9not_fun_tI7is_trueItEEESF_NSA_11use_defaultESM_EENS0_5tupleIJSF_S6_EEENSO_IJSG_SG_EEES6_PlJS6_EEE10hipError_tPvRmT3_T4_T5_T6_T7_T9_mT8_P12ihipStream_tbDpT10_ENKUlT_T0_E_clISt17integral_constantIbLb0EES1A_IbLb1EEEEDaS16_S17_EUlS16_E_NS1_11comp_targetILNS1_3genE5ELNS1_11target_archE942ELNS1_3gpuE9ELNS1_3repE0EEENS1_30default_config_static_selectorELNS0_4arch9wavefront6targetE0EEEvT1_,"axG",@progbits,_ZN7rocprim17ROCPRIM_400000_NS6detail17trampoline_kernelINS0_14default_configENS1_25partition_config_selectorILNS1_17partition_subalgoE5EtNS0_10empty_typeEbEEZZNS1_14partition_implILS5_5ELb0ES3_mN6thrust23THRUST_200600_302600_NS6detail15normal_iteratorINSA_10device_ptrItEEEEPS6_NSA_18transform_iteratorINSB_9not_fun_tI7is_trueItEEESF_NSA_11use_defaultESM_EENS0_5tupleIJSF_S6_EEENSO_IJSG_SG_EEES6_PlJS6_EEE10hipError_tPvRmT3_T4_T5_T6_T7_T9_mT8_P12ihipStream_tbDpT10_ENKUlT_T0_E_clISt17integral_constantIbLb0EES1A_IbLb1EEEEDaS16_S17_EUlS16_E_NS1_11comp_targetILNS1_3genE5ELNS1_11target_archE942ELNS1_3gpuE9ELNS1_3repE0EEENS1_30default_config_static_selectorELNS0_4arch9wavefront6targetE0EEEvT1_,comdat
.Lfunc_end1459:
	.size	_ZN7rocprim17ROCPRIM_400000_NS6detail17trampoline_kernelINS0_14default_configENS1_25partition_config_selectorILNS1_17partition_subalgoE5EtNS0_10empty_typeEbEEZZNS1_14partition_implILS5_5ELb0ES3_mN6thrust23THRUST_200600_302600_NS6detail15normal_iteratorINSA_10device_ptrItEEEEPS6_NSA_18transform_iteratorINSB_9not_fun_tI7is_trueItEEESF_NSA_11use_defaultESM_EENS0_5tupleIJSF_S6_EEENSO_IJSG_SG_EEES6_PlJS6_EEE10hipError_tPvRmT3_T4_T5_T6_T7_T9_mT8_P12ihipStream_tbDpT10_ENKUlT_T0_E_clISt17integral_constantIbLb0EES1A_IbLb1EEEEDaS16_S17_EUlS16_E_NS1_11comp_targetILNS1_3genE5ELNS1_11target_archE942ELNS1_3gpuE9ELNS1_3repE0EEENS1_30default_config_static_selectorELNS0_4arch9wavefront6targetE0EEEvT1_, .Lfunc_end1459-_ZN7rocprim17ROCPRIM_400000_NS6detail17trampoline_kernelINS0_14default_configENS1_25partition_config_selectorILNS1_17partition_subalgoE5EtNS0_10empty_typeEbEEZZNS1_14partition_implILS5_5ELb0ES3_mN6thrust23THRUST_200600_302600_NS6detail15normal_iteratorINSA_10device_ptrItEEEEPS6_NSA_18transform_iteratorINSB_9not_fun_tI7is_trueItEEESF_NSA_11use_defaultESM_EENS0_5tupleIJSF_S6_EEENSO_IJSG_SG_EEES6_PlJS6_EEE10hipError_tPvRmT3_T4_T5_T6_T7_T9_mT8_P12ihipStream_tbDpT10_ENKUlT_T0_E_clISt17integral_constantIbLb0EES1A_IbLb1EEEEDaS16_S17_EUlS16_E_NS1_11comp_targetILNS1_3genE5ELNS1_11target_archE942ELNS1_3gpuE9ELNS1_3repE0EEENS1_30default_config_static_selectorELNS0_4arch9wavefront6targetE0EEEvT1_
                                        ; -- End function
	.set _ZN7rocprim17ROCPRIM_400000_NS6detail17trampoline_kernelINS0_14default_configENS1_25partition_config_selectorILNS1_17partition_subalgoE5EtNS0_10empty_typeEbEEZZNS1_14partition_implILS5_5ELb0ES3_mN6thrust23THRUST_200600_302600_NS6detail15normal_iteratorINSA_10device_ptrItEEEEPS6_NSA_18transform_iteratorINSB_9not_fun_tI7is_trueItEEESF_NSA_11use_defaultESM_EENS0_5tupleIJSF_S6_EEENSO_IJSG_SG_EEES6_PlJS6_EEE10hipError_tPvRmT3_T4_T5_T6_T7_T9_mT8_P12ihipStream_tbDpT10_ENKUlT_T0_E_clISt17integral_constantIbLb0EES1A_IbLb1EEEEDaS16_S17_EUlS16_E_NS1_11comp_targetILNS1_3genE5ELNS1_11target_archE942ELNS1_3gpuE9ELNS1_3repE0EEENS1_30default_config_static_selectorELNS0_4arch9wavefront6targetE0EEEvT1_.num_vgpr, 0
	.set _ZN7rocprim17ROCPRIM_400000_NS6detail17trampoline_kernelINS0_14default_configENS1_25partition_config_selectorILNS1_17partition_subalgoE5EtNS0_10empty_typeEbEEZZNS1_14partition_implILS5_5ELb0ES3_mN6thrust23THRUST_200600_302600_NS6detail15normal_iteratorINSA_10device_ptrItEEEEPS6_NSA_18transform_iteratorINSB_9not_fun_tI7is_trueItEEESF_NSA_11use_defaultESM_EENS0_5tupleIJSF_S6_EEENSO_IJSG_SG_EEES6_PlJS6_EEE10hipError_tPvRmT3_T4_T5_T6_T7_T9_mT8_P12ihipStream_tbDpT10_ENKUlT_T0_E_clISt17integral_constantIbLb0EES1A_IbLb1EEEEDaS16_S17_EUlS16_E_NS1_11comp_targetILNS1_3genE5ELNS1_11target_archE942ELNS1_3gpuE9ELNS1_3repE0EEENS1_30default_config_static_selectorELNS0_4arch9wavefront6targetE0EEEvT1_.num_agpr, 0
	.set _ZN7rocprim17ROCPRIM_400000_NS6detail17trampoline_kernelINS0_14default_configENS1_25partition_config_selectorILNS1_17partition_subalgoE5EtNS0_10empty_typeEbEEZZNS1_14partition_implILS5_5ELb0ES3_mN6thrust23THRUST_200600_302600_NS6detail15normal_iteratorINSA_10device_ptrItEEEEPS6_NSA_18transform_iteratorINSB_9not_fun_tI7is_trueItEEESF_NSA_11use_defaultESM_EENS0_5tupleIJSF_S6_EEENSO_IJSG_SG_EEES6_PlJS6_EEE10hipError_tPvRmT3_T4_T5_T6_T7_T9_mT8_P12ihipStream_tbDpT10_ENKUlT_T0_E_clISt17integral_constantIbLb0EES1A_IbLb1EEEEDaS16_S17_EUlS16_E_NS1_11comp_targetILNS1_3genE5ELNS1_11target_archE942ELNS1_3gpuE9ELNS1_3repE0EEENS1_30default_config_static_selectorELNS0_4arch9wavefront6targetE0EEEvT1_.numbered_sgpr, 0
	.set _ZN7rocprim17ROCPRIM_400000_NS6detail17trampoline_kernelINS0_14default_configENS1_25partition_config_selectorILNS1_17partition_subalgoE5EtNS0_10empty_typeEbEEZZNS1_14partition_implILS5_5ELb0ES3_mN6thrust23THRUST_200600_302600_NS6detail15normal_iteratorINSA_10device_ptrItEEEEPS6_NSA_18transform_iteratorINSB_9not_fun_tI7is_trueItEEESF_NSA_11use_defaultESM_EENS0_5tupleIJSF_S6_EEENSO_IJSG_SG_EEES6_PlJS6_EEE10hipError_tPvRmT3_T4_T5_T6_T7_T9_mT8_P12ihipStream_tbDpT10_ENKUlT_T0_E_clISt17integral_constantIbLb0EES1A_IbLb1EEEEDaS16_S17_EUlS16_E_NS1_11comp_targetILNS1_3genE5ELNS1_11target_archE942ELNS1_3gpuE9ELNS1_3repE0EEENS1_30default_config_static_selectorELNS0_4arch9wavefront6targetE0EEEvT1_.num_named_barrier, 0
	.set _ZN7rocprim17ROCPRIM_400000_NS6detail17trampoline_kernelINS0_14default_configENS1_25partition_config_selectorILNS1_17partition_subalgoE5EtNS0_10empty_typeEbEEZZNS1_14partition_implILS5_5ELb0ES3_mN6thrust23THRUST_200600_302600_NS6detail15normal_iteratorINSA_10device_ptrItEEEEPS6_NSA_18transform_iteratorINSB_9not_fun_tI7is_trueItEEESF_NSA_11use_defaultESM_EENS0_5tupleIJSF_S6_EEENSO_IJSG_SG_EEES6_PlJS6_EEE10hipError_tPvRmT3_T4_T5_T6_T7_T9_mT8_P12ihipStream_tbDpT10_ENKUlT_T0_E_clISt17integral_constantIbLb0EES1A_IbLb1EEEEDaS16_S17_EUlS16_E_NS1_11comp_targetILNS1_3genE5ELNS1_11target_archE942ELNS1_3gpuE9ELNS1_3repE0EEENS1_30default_config_static_selectorELNS0_4arch9wavefront6targetE0EEEvT1_.private_seg_size, 0
	.set _ZN7rocprim17ROCPRIM_400000_NS6detail17trampoline_kernelINS0_14default_configENS1_25partition_config_selectorILNS1_17partition_subalgoE5EtNS0_10empty_typeEbEEZZNS1_14partition_implILS5_5ELb0ES3_mN6thrust23THRUST_200600_302600_NS6detail15normal_iteratorINSA_10device_ptrItEEEEPS6_NSA_18transform_iteratorINSB_9not_fun_tI7is_trueItEEESF_NSA_11use_defaultESM_EENS0_5tupleIJSF_S6_EEENSO_IJSG_SG_EEES6_PlJS6_EEE10hipError_tPvRmT3_T4_T5_T6_T7_T9_mT8_P12ihipStream_tbDpT10_ENKUlT_T0_E_clISt17integral_constantIbLb0EES1A_IbLb1EEEEDaS16_S17_EUlS16_E_NS1_11comp_targetILNS1_3genE5ELNS1_11target_archE942ELNS1_3gpuE9ELNS1_3repE0EEENS1_30default_config_static_selectorELNS0_4arch9wavefront6targetE0EEEvT1_.uses_vcc, 0
	.set _ZN7rocprim17ROCPRIM_400000_NS6detail17trampoline_kernelINS0_14default_configENS1_25partition_config_selectorILNS1_17partition_subalgoE5EtNS0_10empty_typeEbEEZZNS1_14partition_implILS5_5ELb0ES3_mN6thrust23THRUST_200600_302600_NS6detail15normal_iteratorINSA_10device_ptrItEEEEPS6_NSA_18transform_iteratorINSB_9not_fun_tI7is_trueItEEESF_NSA_11use_defaultESM_EENS0_5tupleIJSF_S6_EEENSO_IJSG_SG_EEES6_PlJS6_EEE10hipError_tPvRmT3_T4_T5_T6_T7_T9_mT8_P12ihipStream_tbDpT10_ENKUlT_T0_E_clISt17integral_constantIbLb0EES1A_IbLb1EEEEDaS16_S17_EUlS16_E_NS1_11comp_targetILNS1_3genE5ELNS1_11target_archE942ELNS1_3gpuE9ELNS1_3repE0EEENS1_30default_config_static_selectorELNS0_4arch9wavefront6targetE0EEEvT1_.uses_flat_scratch, 0
	.set _ZN7rocprim17ROCPRIM_400000_NS6detail17trampoline_kernelINS0_14default_configENS1_25partition_config_selectorILNS1_17partition_subalgoE5EtNS0_10empty_typeEbEEZZNS1_14partition_implILS5_5ELb0ES3_mN6thrust23THRUST_200600_302600_NS6detail15normal_iteratorINSA_10device_ptrItEEEEPS6_NSA_18transform_iteratorINSB_9not_fun_tI7is_trueItEEESF_NSA_11use_defaultESM_EENS0_5tupleIJSF_S6_EEENSO_IJSG_SG_EEES6_PlJS6_EEE10hipError_tPvRmT3_T4_T5_T6_T7_T9_mT8_P12ihipStream_tbDpT10_ENKUlT_T0_E_clISt17integral_constantIbLb0EES1A_IbLb1EEEEDaS16_S17_EUlS16_E_NS1_11comp_targetILNS1_3genE5ELNS1_11target_archE942ELNS1_3gpuE9ELNS1_3repE0EEENS1_30default_config_static_selectorELNS0_4arch9wavefront6targetE0EEEvT1_.has_dyn_sized_stack, 0
	.set _ZN7rocprim17ROCPRIM_400000_NS6detail17trampoline_kernelINS0_14default_configENS1_25partition_config_selectorILNS1_17partition_subalgoE5EtNS0_10empty_typeEbEEZZNS1_14partition_implILS5_5ELb0ES3_mN6thrust23THRUST_200600_302600_NS6detail15normal_iteratorINSA_10device_ptrItEEEEPS6_NSA_18transform_iteratorINSB_9not_fun_tI7is_trueItEEESF_NSA_11use_defaultESM_EENS0_5tupleIJSF_S6_EEENSO_IJSG_SG_EEES6_PlJS6_EEE10hipError_tPvRmT3_T4_T5_T6_T7_T9_mT8_P12ihipStream_tbDpT10_ENKUlT_T0_E_clISt17integral_constantIbLb0EES1A_IbLb1EEEEDaS16_S17_EUlS16_E_NS1_11comp_targetILNS1_3genE5ELNS1_11target_archE942ELNS1_3gpuE9ELNS1_3repE0EEENS1_30default_config_static_selectorELNS0_4arch9wavefront6targetE0EEEvT1_.has_recursion, 0
	.set _ZN7rocprim17ROCPRIM_400000_NS6detail17trampoline_kernelINS0_14default_configENS1_25partition_config_selectorILNS1_17partition_subalgoE5EtNS0_10empty_typeEbEEZZNS1_14partition_implILS5_5ELb0ES3_mN6thrust23THRUST_200600_302600_NS6detail15normal_iteratorINSA_10device_ptrItEEEEPS6_NSA_18transform_iteratorINSB_9not_fun_tI7is_trueItEEESF_NSA_11use_defaultESM_EENS0_5tupleIJSF_S6_EEENSO_IJSG_SG_EEES6_PlJS6_EEE10hipError_tPvRmT3_T4_T5_T6_T7_T9_mT8_P12ihipStream_tbDpT10_ENKUlT_T0_E_clISt17integral_constantIbLb0EES1A_IbLb1EEEEDaS16_S17_EUlS16_E_NS1_11comp_targetILNS1_3genE5ELNS1_11target_archE942ELNS1_3gpuE9ELNS1_3repE0EEENS1_30default_config_static_selectorELNS0_4arch9wavefront6targetE0EEEvT1_.has_indirect_call, 0
	.section	.AMDGPU.csdata,"",@progbits
; Kernel info:
; codeLenInByte = 0
; TotalNumSgprs: 0
; NumVgprs: 0
; ScratchSize: 0
; MemoryBound: 0
; FloatMode: 240
; IeeeMode: 1
; LDSByteSize: 0 bytes/workgroup (compile time only)
; SGPRBlocks: 0
; VGPRBlocks: 0
; NumSGPRsForWavesPerEU: 1
; NumVGPRsForWavesPerEU: 1
; Occupancy: 16
; WaveLimiterHint : 0
; COMPUTE_PGM_RSRC2:SCRATCH_EN: 0
; COMPUTE_PGM_RSRC2:USER_SGPR: 2
; COMPUTE_PGM_RSRC2:TRAP_HANDLER: 0
; COMPUTE_PGM_RSRC2:TGID_X_EN: 1
; COMPUTE_PGM_RSRC2:TGID_Y_EN: 0
; COMPUTE_PGM_RSRC2:TGID_Z_EN: 0
; COMPUTE_PGM_RSRC2:TIDIG_COMP_CNT: 0
	.section	.text._ZN7rocprim17ROCPRIM_400000_NS6detail17trampoline_kernelINS0_14default_configENS1_25partition_config_selectorILNS1_17partition_subalgoE5EtNS0_10empty_typeEbEEZZNS1_14partition_implILS5_5ELb0ES3_mN6thrust23THRUST_200600_302600_NS6detail15normal_iteratorINSA_10device_ptrItEEEEPS6_NSA_18transform_iteratorINSB_9not_fun_tI7is_trueItEEESF_NSA_11use_defaultESM_EENS0_5tupleIJSF_S6_EEENSO_IJSG_SG_EEES6_PlJS6_EEE10hipError_tPvRmT3_T4_T5_T6_T7_T9_mT8_P12ihipStream_tbDpT10_ENKUlT_T0_E_clISt17integral_constantIbLb0EES1A_IbLb1EEEEDaS16_S17_EUlS16_E_NS1_11comp_targetILNS1_3genE4ELNS1_11target_archE910ELNS1_3gpuE8ELNS1_3repE0EEENS1_30default_config_static_selectorELNS0_4arch9wavefront6targetE0EEEvT1_,"axG",@progbits,_ZN7rocprim17ROCPRIM_400000_NS6detail17trampoline_kernelINS0_14default_configENS1_25partition_config_selectorILNS1_17partition_subalgoE5EtNS0_10empty_typeEbEEZZNS1_14partition_implILS5_5ELb0ES3_mN6thrust23THRUST_200600_302600_NS6detail15normal_iteratorINSA_10device_ptrItEEEEPS6_NSA_18transform_iteratorINSB_9not_fun_tI7is_trueItEEESF_NSA_11use_defaultESM_EENS0_5tupleIJSF_S6_EEENSO_IJSG_SG_EEES6_PlJS6_EEE10hipError_tPvRmT3_T4_T5_T6_T7_T9_mT8_P12ihipStream_tbDpT10_ENKUlT_T0_E_clISt17integral_constantIbLb0EES1A_IbLb1EEEEDaS16_S17_EUlS16_E_NS1_11comp_targetILNS1_3genE4ELNS1_11target_archE910ELNS1_3gpuE8ELNS1_3repE0EEENS1_30default_config_static_selectorELNS0_4arch9wavefront6targetE0EEEvT1_,comdat
	.protected	_ZN7rocprim17ROCPRIM_400000_NS6detail17trampoline_kernelINS0_14default_configENS1_25partition_config_selectorILNS1_17partition_subalgoE5EtNS0_10empty_typeEbEEZZNS1_14partition_implILS5_5ELb0ES3_mN6thrust23THRUST_200600_302600_NS6detail15normal_iteratorINSA_10device_ptrItEEEEPS6_NSA_18transform_iteratorINSB_9not_fun_tI7is_trueItEEESF_NSA_11use_defaultESM_EENS0_5tupleIJSF_S6_EEENSO_IJSG_SG_EEES6_PlJS6_EEE10hipError_tPvRmT3_T4_T5_T6_T7_T9_mT8_P12ihipStream_tbDpT10_ENKUlT_T0_E_clISt17integral_constantIbLb0EES1A_IbLb1EEEEDaS16_S17_EUlS16_E_NS1_11comp_targetILNS1_3genE4ELNS1_11target_archE910ELNS1_3gpuE8ELNS1_3repE0EEENS1_30default_config_static_selectorELNS0_4arch9wavefront6targetE0EEEvT1_ ; -- Begin function _ZN7rocprim17ROCPRIM_400000_NS6detail17trampoline_kernelINS0_14default_configENS1_25partition_config_selectorILNS1_17partition_subalgoE5EtNS0_10empty_typeEbEEZZNS1_14partition_implILS5_5ELb0ES3_mN6thrust23THRUST_200600_302600_NS6detail15normal_iteratorINSA_10device_ptrItEEEEPS6_NSA_18transform_iteratorINSB_9not_fun_tI7is_trueItEEESF_NSA_11use_defaultESM_EENS0_5tupleIJSF_S6_EEENSO_IJSG_SG_EEES6_PlJS6_EEE10hipError_tPvRmT3_T4_T5_T6_T7_T9_mT8_P12ihipStream_tbDpT10_ENKUlT_T0_E_clISt17integral_constantIbLb0EES1A_IbLb1EEEEDaS16_S17_EUlS16_E_NS1_11comp_targetILNS1_3genE4ELNS1_11target_archE910ELNS1_3gpuE8ELNS1_3repE0EEENS1_30default_config_static_selectorELNS0_4arch9wavefront6targetE0EEEvT1_
	.globl	_ZN7rocprim17ROCPRIM_400000_NS6detail17trampoline_kernelINS0_14default_configENS1_25partition_config_selectorILNS1_17partition_subalgoE5EtNS0_10empty_typeEbEEZZNS1_14partition_implILS5_5ELb0ES3_mN6thrust23THRUST_200600_302600_NS6detail15normal_iteratorINSA_10device_ptrItEEEEPS6_NSA_18transform_iteratorINSB_9not_fun_tI7is_trueItEEESF_NSA_11use_defaultESM_EENS0_5tupleIJSF_S6_EEENSO_IJSG_SG_EEES6_PlJS6_EEE10hipError_tPvRmT3_T4_T5_T6_T7_T9_mT8_P12ihipStream_tbDpT10_ENKUlT_T0_E_clISt17integral_constantIbLb0EES1A_IbLb1EEEEDaS16_S17_EUlS16_E_NS1_11comp_targetILNS1_3genE4ELNS1_11target_archE910ELNS1_3gpuE8ELNS1_3repE0EEENS1_30default_config_static_selectorELNS0_4arch9wavefront6targetE0EEEvT1_
	.p2align	8
	.type	_ZN7rocprim17ROCPRIM_400000_NS6detail17trampoline_kernelINS0_14default_configENS1_25partition_config_selectorILNS1_17partition_subalgoE5EtNS0_10empty_typeEbEEZZNS1_14partition_implILS5_5ELb0ES3_mN6thrust23THRUST_200600_302600_NS6detail15normal_iteratorINSA_10device_ptrItEEEEPS6_NSA_18transform_iteratorINSB_9not_fun_tI7is_trueItEEESF_NSA_11use_defaultESM_EENS0_5tupleIJSF_S6_EEENSO_IJSG_SG_EEES6_PlJS6_EEE10hipError_tPvRmT3_T4_T5_T6_T7_T9_mT8_P12ihipStream_tbDpT10_ENKUlT_T0_E_clISt17integral_constantIbLb0EES1A_IbLb1EEEEDaS16_S17_EUlS16_E_NS1_11comp_targetILNS1_3genE4ELNS1_11target_archE910ELNS1_3gpuE8ELNS1_3repE0EEENS1_30default_config_static_selectorELNS0_4arch9wavefront6targetE0EEEvT1_,@function
_ZN7rocprim17ROCPRIM_400000_NS6detail17trampoline_kernelINS0_14default_configENS1_25partition_config_selectorILNS1_17partition_subalgoE5EtNS0_10empty_typeEbEEZZNS1_14partition_implILS5_5ELb0ES3_mN6thrust23THRUST_200600_302600_NS6detail15normal_iteratorINSA_10device_ptrItEEEEPS6_NSA_18transform_iteratorINSB_9not_fun_tI7is_trueItEEESF_NSA_11use_defaultESM_EENS0_5tupleIJSF_S6_EEENSO_IJSG_SG_EEES6_PlJS6_EEE10hipError_tPvRmT3_T4_T5_T6_T7_T9_mT8_P12ihipStream_tbDpT10_ENKUlT_T0_E_clISt17integral_constantIbLb0EES1A_IbLb1EEEEDaS16_S17_EUlS16_E_NS1_11comp_targetILNS1_3genE4ELNS1_11target_archE910ELNS1_3gpuE8ELNS1_3repE0EEENS1_30default_config_static_selectorELNS0_4arch9wavefront6targetE0EEEvT1_: ; @_ZN7rocprim17ROCPRIM_400000_NS6detail17trampoline_kernelINS0_14default_configENS1_25partition_config_selectorILNS1_17partition_subalgoE5EtNS0_10empty_typeEbEEZZNS1_14partition_implILS5_5ELb0ES3_mN6thrust23THRUST_200600_302600_NS6detail15normal_iteratorINSA_10device_ptrItEEEEPS6_NSA_18transform_iteratorINSB_9not_fun_tI7is_trueItEEESF_NSA_11use_defaultESM_EENS0_5tupleIJSF_S6_EEENSO_IJSG_SG_EEES6_PlJS6_EEE10hipError_tPvRmT3_T4_T5_T6_T7_T9_mT8_P12ihipStream_tbDpT10_ENKUlT_T0_E_clISt17integral_constantIbLb0EES1A_IbLb1EEEEDaS16_S17_EUlS16_E_NS1_11comp_targetILNS1_3genE4ELNS1_11target_archE910ELNS1_3gpuE8ELNS1_3repE0EEENS1_30default_config_static_selectorELNS0_4arch9wavefront6targetE0EEEvT1_
; %bb.0:
	.section	.rodata,"a",@progbits
	.p2align	6, 0x0
	.amdhsa_kernel _ZN7rocprim17ROCPRIM_400000_NS6detail17trampoline_kernelINS0_14default_configENS1_25partition_config_selectorILNS1_17partition_subalgoE5EtNS0_10empty_typeEbEEZZNS1_14partition_implILS5_5ELb0ES3_mN6thrust23THRUST_200600_302600_NS6detail15normal_iteratorINSA_10device_ptrItEEEEPS6_NSA_18transform_iteratorINSB_9not_fun_tI7is_trueItEEESF_NSA_11use_defaultESM_EENS0_5tupleIJSF_S6_EEENSO_IJSG_SG_EEES6_PlJS6_EEE10hipError_tPvRmT3_T4_T5_T6_T7_T9_mT8_P12ihipStream_tbDpT10_ENKUlT_T0_E_clISt17integral_constantIbLb0EES1A_IbLb1EEEEDaS16_S17_EUlS16_E_NS1_11comp_targetILNS1_3genE4ELNS1_11target_archE910ELNS1_3gpuE8ELNS1_3repE0EEENS1_30default_config_static_selectorELNS0_4arch9wavefront6targetE0EEEvT1_
		.amdhsa_group_segment_fixed_size 0
		.amdhsa_private_segment_fixed_size 0
		.amdhsa_kernarg_size 136
		.amdhsa_user_sgpr_count 2
		.amdhsa_user_sgpr_dispatch_ptr 0
		.amdhsa_user_sgpr_queue_ptr 0
		.amdhsa_user_sgpr_kernarg_segment_ptr 1
		.amdhsa_user_sgpr_dispatch_id 0
		.amdhsa_user_sgpr_private_segment_size 0
		.amdhsa_wavefront_size32 1
		.amdhsa_uses_dynamic_stack 0
		.amdhsa_enable_private_segment 0
		.amdhsa_system_sgpr_workgroup_id_x 1
		.amdhsa_system_sgpr_workgroup_id_y 0
		.amdhsa_system_sgpr_workgroup_id_z 0
		.amdhsa_system_sgpr_workgroup_info 0
		.amdhsa_system_vgpr_workitem_id 0
		.amdhsa_next_free_vgpr 1
		.amdhsa_next_free_sgpr 1
		.amdhsa_reserve_vcc 0
		.amdhsa_float_round_mode_32 0
		.amdhsa_float_round_mode_16_64 0
		.amdhsa_float_denorm_mode_32 3
		.amdhsa_float_denorm_mode_16_64 3
		.amdhsa_fp16_overflow 0
		.amdhsa_workgroup_processor_mode 1
		.amdhsa_memory_ordered 1
		.amdhsa_forward_progress 1
		.amdhsa_inst_pref_size 0
		.amdhsa_round_robin_scheduling 0
		.amdhsa_exception_fp_ieee_invalid_op 0
		.amdhsa_exception_fp_denorm_src 0
		.amdhsa_exception_fp_ieee_div_zero 0
		.amdhsa_exception_fp_ieee_overflow 0
		.amdhsa_exception_fp_ieee_underflow 0
		.amdhsa_exception_fp_ieee_inexact 0
		.amdhsa_exception_int_div_zero 0
	.end_amdhsa_kernel
	.section	.text._ZN7rocprim17ROCPRIM_400000_NS6detail17trampoline_kernelINS0_14default_configENS1_25partition_config_selectorILNS1_17partition_subalgoE5EtNS0_10empty_typeEbEEZZNS1_14partition_implILS5_5ELb0ES3_mN6thrust23THRUST_200600_302600_NS6detail15normal_iteratorINSA_10device_ptrItEEEEPS6_NSA_18transform_iteratorINSB_9not_fun_tI7is_trueItEEESF_NSA_11use_defaultESM_EENS0_5tupleIJSF_S6_EEENSO_IJSG_SG_EEES6_PlJS6_EEE10hipError_tPvRmT3_T4_T5_T6_T7_T9_mT8_P12ihipStream_tbDpT10_ENKUlT_T0_E_clISt17integral_constantIbLb0EES1A_IbLb1EEEEDaS16_S17_EUlS16_E_NS1_11comp_targetILNS1_3genE4ELNS1_11target_archE910ELNS1_3gpuE8ELNS1_3repE0EEENS1_30default_config_static_selectorELNS0_4arch9wavefront6targetE0EEEvT1_,"axG",@progbits,_ZN7rocprim17ROCPRIM_400000_NS6detail17trampoline_kernelINS0_14default_configENS1_25partition_config_selectorILNS1_17partition_subalgoE5EtNS0_10empty_typeEbEEZZNS1_14partition_implILS5_5ELb0ES3_mN6thrust23THRUST_200600_302600_NS6detail15normal_iteratorINSA_10device_ptrItEEEEPS6_NSA_18transform_iteratorINSB_9not_fun_tI7is_trueItEEESF_NSA_11use_defaultESM_EENS0_5tupleIJSF_S6_EEENSO_IJSG_SG_EEES6_PlJS6_EEE10hipError_tPvRmT3_T4_T5_T6_T7_T9_mT8_P12ihipStream_tbDpT10_ENKUlT_T0_E_clISt17integral_constantIbLb0EES1A_IbLb1EEEEDaS16_S17_EUlS16_E_NS1_11comp_targetILNS1_3genE4ELNS1_11target_archE910ELNS1_3gpuE8ELNS1_3repE0EEENS1_30default_config_static_selectorELNS0_4arch9wavefront6targetE0EEEvT1_,comdat
.Lfunc_end1460:
	.size	_ZN7rocprim17ROCPRIM_400000_NS6detail17trampoline_kernelINS0_14default_configENS1_25partition_config_selectorILNS1_17partition_subalgoE5EtNS0_10empty_typeEbEEZZNS1_14partition_implILS5_5ELb0ES3_mN6thrust23THRUST_200600_302600_NS6detail15normal_iteratorINSA_10device_ptrItEEEEPS6_NSA_18transform_iteratorINSB_9not_fun_tI7is_trueItEEESF_NSA_11use_defaultESM_EENS0_5tupleIJSF_S6_EEENSO_IJSG_SG_EEES6_PlJS6_EEE10hipError_tPvRmT3_T4_T5_T6_T7_T9_mT8_P12ihipStream_tbDpT10_ENKUlT_T0_E_clISt17integral_constantIbLb0EES1A_IbLb1EEEEDaS16_S17_EUlS16_E_NS1_11comp_targetILNS1_3genE4ELNS1_11target_archE910ELNS1_3gpuE8ELNS1_3repE0EEENS1_30default_config_static_selectorELNS0_4arch9wavefront6targetE0EEEvT1_, .Lfunc_end1460-_ZN7rocprim17ROCPRIM_400000_NS6detail17trampoline_kernelINS0_14default_configENS1_25partition_config_selectorILNS1_17partition_subalgoE5EtNS0_10empty_typeEbEEZZNS1_14partition_implILS5_5ELb0ES3_mN6thrust23THRUST_200600_302600_NS6detail15normal_iteratorINSA_10device_ptrItEEEEPS6_NSA_18transform_iteratorINSB_9not_fun_tI7is_trueItEEESF_NSA_11use_defaultESM_EENS0_5tupleIJSF_S6_EEENSO_IJSG_SG_EEES6_PlJS6_EEE10hipError_tPvRmT3_T4_T5_T6_T7_T9_mT8_P12ihipStream_tbDpT10_ENKUlT_T0_E_clISt17integral_constantIbLb0EES1A_IbLb1EEEEDaS16_S17_EUlS16_E_NS1_11comp_targetILNS1_3genE4ELNS1_11target_archE910ELNS1_3gpuE8ELNS1_3repE0EEENS1_30default_config_static_selectorELNS0_4arch9wavefront6targetE0EEEvT1_
                                        ; -- End function
	.set _ZN7rocprim17ROCPRIM_400000_NS6detail17trampoline_kernelINS0_14default_configENS1_25partition_config_selectorILNS1_17partition_subalgoE5EtNS0_10empty_typeEbEEZZNS1_14partition_implILS5_5ELb0ES3_mN6thrust23THRUST_200600_302600_NS6detail15normal_iteratorINSA_10device_ptrItEEEEPS6_NSA_18transform_iteratorINSB_9not_fun_tI7is_trueItEEESF_NSA_11use_defaultESM_EENS0_5tupleIJSF_S6_EEENSO_IJSG_SG_EEES6_PlJS6_EEE10hipError_tPvRmT3_T4_T5_T6_T7_T9_mT8_P12ihipStream_tbDpT10_ENKUlT_T0_E_clISt17integral_constantIbLb0EES1A_IbLb1EEEEDaS16_S17_EUlS16_E_NS1_11comp_targetILNS1_3genE4ELNS1_11target_archE910ELNS1_3gpuE8ELNS1_3repE0EEENS1_30default_config_static_selectorELNS0_4arch9wavefront6targetE0EEEvT1_.num_vgpr, 0
	.set _ZN7rocprim17ROCPRIM_400000_NS6detail17trampoline_kernelINS0_14default_configENS1_25partition_config_selectorILNS1_17partition_subalgoE5EtNS0_10empty_typeEbEEZZNS1_14partition_implILS5_5ELb0ES3_mN6thrust23THRUST_200600_302600_NS6detail15normal_iteratorINSA_10device_ptrItEEEEPS6_NSA_18transform_iteratorINSB_9not_fun_tI7is_trueItEEESF_NSA_11use_defaultESM_EENS0_5tupleIJSF_S6_EEENSO_IJSG_SG_EEES6_PlJS6_EEE10hipError_tPvRmT3_T4_T5_T6_T7_T9_mT8_P12ihipStream_tbDpT10_ENKUlT_T0_E_clISt17integral_constantIbLb0EES1A_IbLb1EEEEDaS16_S17_EUlS16_E_NS1_11comp_targetILNS1_3genE4ELNS1_11target_archE910ELNS1_3gpuE8ELNS1_3repE0EEENS1_30default_config_static_selectorELNS0_4arch9wavefront6targetE0EEEvT1_.num_agpr, 0
	.set _ZN7rocprim17ROCPRIM_400000_NS6detail17trampoline_kernelINS0_14default_configENS1_25partition_config_selectorILNS1_17partition_subalgoE5EtNS0_10empty_typeEbEEZZNS1_14partition_implILS5_5ELb0ES3_mN6thrust23THRUST_200600_302600_NS6detail15normal_iteratorINSA_10device_ptrItEEEEPS6_NSA_18transform_iteratorINSB_9not_fun_tI7is_trueItEEESF_NSA_11use_defaultESM_EENS0_5tupleIJSF_S6_EEENSO_IJSG_SG_EEES6_PlJS6_EEE10hipError_tPvRmT3_T4_T5_T6_T7_T9_mT8_P12ihipStream_tbDpT10_ENKUlT_T0_E_clISt17integral_constantIbLb0EES1A_IbLb1EEEEDaS16_S17_EUlS16_E_NS1_11comp_targetILNS1_3genE4ELNS1_11target_archE910ELNS1_3gpuE8ELNS1_3repE0EEENS1_30default_config_static_selectorELNS0_4arch9wavefront6targetE0EEEvT1_.numbered_sgpr, 0
	.set _ZN7rocprim17ROCPRIM_400000_NS6detail17trampoline_kernelINS0_14default_configENS1_25partition_config_selectorILNS1_17partition_subalgoE5EtNS0_10empty_typeEbEEZZNS1_14partition_implILS5_5ELb0ES3_mN6thrust23THRUST_200600_302600_NS6detail15normal_iteratorINSA_10device_ptrItEEEEPS6_NSA_18transform_iteratorINSB_9not_fun_tI7is_trueItEEESF_NSA_11use_defaultESM_EENS0_5tupleIJSF_S6_EEENSO_IJSG_SG_EEES6_PlJS6_EEE10hipError_tPvRmT3_T4_T5_T6_T7_T9_mT8_P12ihipStream_tbDpT10_ENKUlT_T0_E_clISt17integral_constantIbLb0EES1A_IbLb1EEEEDaS16_S17_EUlS16_E_NS1_11comp_targetILNS1_3genE4ELNS1_11target_archE910ELNS1_3gpuE8ELNS1_3repE0EEENS1_30default_config_static_selectorELNS0_4arch9wavefront6targetE0EEEvT1_.num_named_barrier, 0
	.set _ZN7rocprim17ROCPRIM_400000_NS6detail17trampoline_kernelINS0_14default_configENS1_25partition_config_selectorILNS1_17partition_subalgoE5EtNS0_10empty_typeEbEEZZNS1_14partition_implILS5_5ELb0ES3_mN6thrust23THRUST_200600_302600_NS6detail15normal_iteratorINSA_10device_ptrItEEEEPS6_NSA_18transform_iteratorINSB_9not_fun_tI7is_trueItEEESF_NSA_11use_defaultESM_EENS0_5tupleIJSF_S6_EEENSO_IJSG_SG_EEES6_PlJS6_EEE10hipError_tPvRmT3_T4_T5_T6_T7_T9_mT8_P12ihipStream_tbDpT10_ENKUlT_T0_E_clISt17integral_constantIbLb0EES1A_IbLb1EEEEDaS16_S17_EUlS16_E_NS1_11comp_targetILNS1_3genE4ELNS1_11target_archE910ELNS1_3gpuE8ELNS1_3repE0EEENS1_30default_config_static_selectorELNS0_4arch9wavefront6targetE0EEEvT1_.private_seg_size, 0
	.set _ZN7rocprim17ROCPRIM_400000_NS6detail17trampoline_kernelINS0_14default_configENS1_25partition_config_selectorILNS1_17partition_subalgoE5EtNS0_10empty_typeEbEEZZNS1_14partition_implILS5_5ELb0ES3_mN6thrust23THRUST_200600_302600_NS6detail15normal_iteratorINSA_10device_ptrItEEEEPS6_NSA_18transform_iteratorINSB_9not_fun_tI7is_trueItEEESF_NSA_11use_defaultESM_EENS0_5tupleIJSF_S6_EEENSO_IJSG_SG_EEES6_PlJS6_EEE10hipError_tPvRmT3_T4_T5_T6_T7_T9_mT8_P12ihipStream_tbDpT10_ENKUlT_T0_E_clISt17integral_constantIbLb0EES1A_IbLb1EEEEDaS16_S17_EUlS16_E_NS1_11comp_targetILNS1_3genE4ELNS1_11target_archE910ELNS1_3gpuE8ELNS1_3repE0EEENS1_30default_config_static_selectorELNS0_4arch9wavefront6targetE0EEEvT1_.uses_vcc, 0
	.set _ZN7rocprim17ROCPRIM_400000_NS6detail17trampoline_kernelINS0_14default_configENS1_25partition_config_selectorILNS1_17partition_subalgoE5EtNS0_10empty_typeEbEEZZNS1_14partition_implILS5_5ELb0ES3_mN6thrust23THRUST_200600_302600_NS6detail15normal_iteratorINSA_10device_ptrItEEEEPS6_NSA_18transform_iteratorINSB_9not_fun_tI7is_trueItEEESF_NSA_11use_defaultESM_EENS0_5tupleIJSF_S6_EEENSO_IJSG_SG_EEES6_PlJS6_EEE10hipError_tPvRmT3_T4_T5_T6_T7_T9_mT8_P12ihipStream_tbDpT10_ENKUlT_T0_E_clISt17integral_constantIbLb0EES1A_IbLb1EEEEDaS16_S17_EUlS16_E_NS1_11comp_targetILNS1_3genE4ELNS1_11target_archE910ELNS1_3gpuE8ELNS1_3repE0EEENS1_30default_config_static_selectorELNS0_4arch9wavefront6targetE0EEEvT1_.uses_flat_scratch, 0
	.set _ZN7rocprim17ROCPRIM_400000_NS6detail17trampoline_kernelINS0_14default_configENS1_25partition_config_selectorILNS1_17partition_subalgoE5EtNS0_10empty_typeEbEEZZNS1_14partition_implILS5_5ELb0ES3_mN6thrust23THRUST_200600_302600_NS6detail15normal_iteratorINSA_10device_ptrItEEEEPS6_NSA_18transform_iteratorINSB_9not_fun_tI7is_trueItEEESF_NSA_11use_defaultESM_EENS0_5tupleIJSF_S6_EEENSO_IJSG_SG_EEES6_PlJS6_EEE10hipError_tPvRmT3_T4_T5_T6_T7_T9_mT8_P12ihipStream_tbDpT10_ENKUlT_T0_E_clISt17integral_constantIbLb0EES1A_IbLb1EEEEDaS16_S17_EUlS16_E_NS1_11comp_targetILNS1_3genE4ELNS1_11target_archE910ELNS1_3gpuE8ELNS1_3repE0EEENS1_30default_config_static_selectorELNS0_4arch9wavefront6targetE0EEEvT1_.has_dyn_sized_stack, 0
	.set _ZN7rocprim17ROCPRIM_400000_NS6detail17trampoline_kernelINS0_14default_configENS1_25partition_config_selectorILNS1_17partition_subalgoE5EtNS0_10empty_typeEbEEZZNS1_14partition_implILS5_5ELb0ES3_mN6thrust23THRUST_200600_302600_NS6detail15normal_iteratorINSA_10device_ptrItEEEEPS6_NSA_18transform_iteratorINSB_9not_fun_tI7is_trueItEEESF_NSA_11use_defaultESM_EENS0_5tupleIJSF_S6_EEENSO_IJSG_SG_EEES6_PlJS6_EEE10hipError_tPvRmT3_T4_T5_T6_T7_T9_mT8_P12ihipStream_tbDpT10_ENKUlT_T0_E_clISt17integral_constantIbLb0EES1A_IbLb1EEEEDaS16_S17_EUlS16_E_NS1_11comp_targetILNS1_3genE4ELNS1_11target_archE910ELNS1_3gpuE8ELNS1_3repE0EEENS1_30default_config_static_selectorELNS0_4arch9wavefront6targetE0EEEvT1_.has_recursion, 0
	.set _ZN7rocprim17ROCPRIM_400000_NS6detail17trampoline_kernelINS0_14default_configENS1_25partition_config_selectorILNS1_17partition_subalgoE5EtNS0_10empty_typeEbEEZZNS1_14partition_implILS5_5ELb0ES3_mN6thrust23THRUST_200600_302600_NS6detail15normal_iteratorINSA_10device_ptrItEEEEPS6_NSA_18transform_iteratorINSB_9not_fun_tI7is_trueItEEESF_NSA_11use_defaultESM_EENS0_5tupleIJSF_S6_EEENSO_IJSG_SG_EEES6_PlJS6_EEE10hipError_tPvRmT3_T4_T5_T6_T7_T9_mT8_P12ihipStream_tbDpT10_ENKUlT_T0_E_clISt17integral_constantIbLb0EES1A_IbLb1EEEEDaS16_S17_EUlS16_E_NS1_11comp_targetILNS1_3genE4ELNS1_11target_archE910ELNS1_3gpuE8ELNS1_3repE0EEENS1_30default_config_static_selectorELNS0_4arch9wavefront6targetE0EEEvT1_.has_indirect_call, 0
	.section	.AMDGPU.csdata,"",@progbits
; Kernel info:
; codeLenInByte = 0
; TotalNumSgprs: 0
; NumVgprs: 0
; ScratchSize: 0
; MemoryBound: 0
; FloatMode: 240
; IeeeMode: 1
; LDSByteSize: 0 bytes/workgroup (compile time only)
; SGPRBlocks: 0
; VGPRBlocks: 0
; NumSGPRsForWavesPerEU: 1
; NumVGPRsForWavesPerEU: 1
; Occupancy: 16
; WaveLimiterHint : 0
; COMPUTE_PGM_RSRC2:SCRATCH_EN: 0
; COMPUTE_PGM_RSRC2:USER_SGPR: 2
; COMPUTE_PGM_RSRC2:TRAP_HANDLER: 0
; COMPUTE_PGM_RSRC2:TGID_X_EN: 1
; COMPUTE_PGM_RSRC2:TGID_Y_EN: 0
; COMPUTE_PGM_RSRC2:TGID_Z_EN: 0
; COMPUTE_PGM_RSRC2:TIDIG_COMP_CNT: 0
	.section	.text._ZN7rocprim17ROCPRIM_400000_NS6detail17trampoline_kernelINS0_14default_configENS1_25partition_config_selectorILNS1_17partition_subalgoE5EtNS0_10empty_typeEbEEZZNS1_14partition_implILS5_5ELb0ES3_mN6thrust23THRUST_200600_302600_NS6detail15normal_iteratorINSA_10device_ptrItEEEEPS6_NSA_18transform_iteratorINSB_9not_fun_tI7is_trueItEEESF_NSA_11use_defaultESM_EENS0_5tupleIJSF_S6_EEENSO_IJSG_SG_EEES6_PlJS6_EEE10hipError_tPvRmT3_T4_T5_T6_T7_T9_mT8_P12ihipStream_tbDpT10_ENKUlT_T0_E_clISt17integral_constantIbLb0EES1A_IbLb1EEEEDaS16_S17_EUlS16_E_NS1_11comp_targetILNS1_3genE3ELNS1_11target_archE908ELNS1_3gpuE7ELNS1_3repE0EEENS1_30default_config_static_selectorELNS0_4arch9wavefront6targetE0EEEvT1_,"axG",@progbits,_ZN7rocprim17ROCPRIM_400000_NS6detail17trampoline_kernelINS0_14default_configENS1_25partition_config_selectorILNS1_17partition_subalgoE5EtNS0_10empty_typeEbEEZZNS1_14partition_implILS5_5ELb0ES3_mN6thrust23THRUST_200600_302600_NS6detail15normal_iteratorINSA_10device_ptrItEEEEPS6_NSA_18transform_iteratorINSB_9not_fun_tI7is_trueItEEESF_NSA_11use_defaultESM_EENS0_5tupleIJSF_S6_EEENSO_IJSG_SG_EEES6_PlJS6_EEE10hipError_tPvRmT3_T4_T5_T6_T7_T9_mT8_P12ihipStream_tbDpT10_ENKUlT_T0_E_clISt17integral_constantIbLb0EES1A_IbLb1EEEEDaS16_S17_EUlS16_E_NS1_11comp_targetILNS1_3genE3ELNS1_11target_archE908ELNS1_3gpuE7ELNS1_3repE0EEENS1_30default_config_static_selectorELNS0_4arch9wavefront6targetE0EEEvT1_,comdat
	.protected	_ZN7rocprim17ROCPRIM_400000_NS6detail17trampoline_kernelINS0_14default_configENS1_25partition_config_selectorILNS1_17partition_subalgoE5EtNS0_10empty_typeEbEEZZNS1_14partition_implILS5_5ELb0ES3_mN6thrust23THRUST_200600_302600_NS6detail15normal_iteratorINSA_10device_ptrItEEEEPS6_NSA_18transform_iteratorINSB_9not_fun_tI7is_trueItEEESF_NSA_11use_defaultESM_EENS0_5tupleIJSF_S6_EEENSO_IJSG_SG_EEES6_PlJS6_EEE10hipError_tPvRmT3_T4_T5_T6_T7_T9_mT8_P12ihipStream_tbDpT10_ENKUlT_T0_E_clISt17integral_constantIbLb0EES1A_IbLb1EEEEDaS16_S17_EUlS16_E_NS1_11comp_targetILNS1_3genE3ELNS1_11target_archE908ELNS1_3gpuE7ELNS1_3repE0EEENS1_30default_config_static_selectorELNS0_4arch9wavefront6targetE0EEEvT1_ ; -- Begin function _ZN7rocprim17ROCPRIM_400000_NS6detail17trampoline_kernelINS0_14default_configENS1_25partition_config_selectorILNS1_17partition_subalgoE5EtNS0_10empty_typeEbEEZZNS1_14partition_implILS5_5ELb0ES3_mN6thrust23THRUST_200600_302600_NS6detail15normal_iteratorINSA_10device_ptrItEEEEPS6_NSA_18transform_iteratorINSB_9not_fun_tI7is_trueItEEESF_NSA_11use_defaultESM_EENS0_5tupleIJSF_S6_EEENSO_IJSG_SG_EEES6_PlJS6_EEE10hipError_tPvRmT3_T4_T5_T6_T7_T9_mT8_P12ihipStream_tbDpT10_ENKUlT_T0_E_clISt17integral_constantIbLb0EES1A_IbLb1EEEEDaS16_S17_EUlS16_E_NS1_11comp_targetILNS1_3genE3ELNS1_11target_archE908ELNS1_3gpuE7ELNS1_3repE0EEENS1_30default_config_static_selectorELNS0_4arch9wavefront6targetE0EEEvT1_
	.globl	_ZN7rocprim17ROCPRIM_400000_NS6detail17trampoline_kernelINS0_14default_configENS1_25partition_config_selectorILNS1_17partition_subalgoE5EtNS0_10empty_typeEbEEZZNS1_14partition_implILS5_5ELb0ES3_mN6thrust23THRUST_200600_302600_NS6detail15normal_iteratorINSA_10device_ptrItEEEEPS6_NSA_18transform_iteratorINSB_9not_fun_tI7is_trueItEEESF_NSA_11use_defaultESM_EENS0_5tupleIJSF_S6_EEENSO_IJSG_SG_EEES6_PlJS6_EEE10hipError_tPvRmT3_T4_T5_T6_T7_T9_mT8_P12ihipStream_tbDpT10_ENKUlT_T0_E_clISt17integral_constantIbLb0EES1A_IbLb1EEEEDaS16_S17_EUlS16_E_NS1_11comp_targetILNS1_3genE3ELNS1_11target_archE908ELNS1_3gpuE7ELNS1_3repE0EEENS1_30default_config_static_selectorELNS0_4arch9wavefront6targetE0EEEvT1_
	.p2align	8
	.type	_ZN7rocprim17ROCPRIM_400000_NS6detail17trampoline_kernelINS0_14default_configENS1_25partition_config_selectorILNS1_17partition_subalgoE5EtNS0_10empty_typeEbEEZZNS1_14partition_implILS5_5ELb0ES3_mN6thrust23THRUST_200600_302600_NS6detail15normal_iteratorINSA_10device_ptrItEEEEPS6_NSA_18transform_iteratorINSB_9not_fun_tI7is_trueItEEESF_NSA_11use_defaultESM_EENS0_5tupleIJSF_S6_EEENSO_IJSG_SG_EEES6_PlJS6_EEE10hipError_tPvRmT3_T4_T5_T6_T7_T9_mT8_P12ihipStream_tbDpT10_ENKUlT_T0_E_clISt17integral_constantIbLb0EES1A_IbLb1EEEEDaS16_S17_EUlS16_E_NS1_11comp_targetILNS1_3genE3ELNS1_11target_archE908ELNS1_3gpuE7ELNS1_3repE0EEENS1_30default_config_static_selectorELNS0_4arch9wavefront6targetE0EEEvT1_,@function
_ZN7rocprim17ROCPRIM_400000_NS6detail17trampoline_kernelINS0_14default_configENS1_25partition_config_selectorILNS1_17partition_subalgoE5EtNS0_10empty_typeEbEEZZNS1_14partition_implILS5_5ELb0ES3_mN6thrust23THRUST_200600_302600_NS6detail15normal_iteratorINSA_10device_ptrItEEEEPS6_NSA_18transform_iteratorINSB_9not_fun_tI7is_trueItEEESF_NSA_11use_defaultESM_EENS0_5tupleIJSF_S6_EEENSO_IJSG_SG_EEES6_PlJS6_EEE10hipError_tPvRmT3_T4_T5_T6_T7_T9_mT8_P12ihipStream_tbDpT10_ENKUlT_T0_E_clISt17integral_constantIbLb0EES1A_IbLb1EEEEDaS16_S17_EUlS16_E_NS1_11comp_targetILNS1_3genE3ELNS1_11target_archE908ELNS1_3gpuE7ELNS1_3repE0EEENS1_30default_config_static_selectorELNS0_4arch9wavefront6targetE0EEEvT1_: ; @_ZN7rocprim17ROCPRIM_400000_NS6detail17trampoline_kernelINS0_14default_configENS1_25partition_config_selectorILNS1_17partition_subalgoE5EtNS0_10empty_typeEbEEZZNS1_14partition_implILS5_5ELb0ES3_mN6thrust23THRUST_200600_302600_NS6detail15normal_iteratorINSA_10device_ptrItEEEEPS6_NSA_18transform_iteratorINSB_9not_fun_tI7is_trueItEEESF_NSA_11use_defaultESM_EENS0_5tupleIJSF_S6_EEENSO_IJSG_SG_EEES6_PlJS6_EEE10hipError_tPvRmT3_T4_T5_T6_T7_T9_mT8_P12ihipStream_tbDpT10_ENKUlT_T0_E_clISt17integral_constantIbLb0EES1A_IbLb1EEEEDaS16_S17_EUlS16_E_NS1_11comp_targetILNS1_3genE3ELNS1_11target_archE908ELNS1_3gpuE7ELNS1_3repE0EEENS1_30default_config_static_selectorELNS0_4arch9wavefront6targetE0EEEvT1_
; %bb.0:
	.section	.rodata,"a",@progbits
	.p2align	6, 0x0
	.amdhsa_kernel _ZN7rocprim17ROCPRIM_400000_NS6detail17trampoline_kernelINS0_14default_configENS1_25partition_config_selectorILNS1_17partition_subalgoE5EtNS0_10empty_typeEbEEZZNS1_14partition_implILS5_5ELb0ES3_mN6thrust23THRUST_200600_302600_NS6detail15normal_iteratorINSA_10device_ptrItEEEEPS6_NSA_18transform_iteratorINSB_9not_fun_tI7is_trueItEEESF_NSA_11use_defaultESM_EENS0_5tupleIJSF_S6_EEENSO_IJSG_SG_EEES6_PlJS6_EEE10hipError_tPvRmT3_T4_T5_T6_T7_T9_mT8_P12ihipStream_tbDpT10_ENKUlT_T0_E_clISt17integral_constantIbLb0EES1A_IbLb1EEEEDaS16_S17_EUlS16_E_NS1_11comp_targetILNS1_3genE3ELNS1_11target_archE908ELNS1_3gpuE7ELNS1_3repE0EEENS1_30default_config_static_selectorELNS0_4arch9wavefront6targetE0EEEvT1_
		.amdhsa_group_segment_fixed_size 0
		.amdhsa_private_segment_fixed_size 0
		.amdhsa_kernarg_size 136
		.amdhsa_user_sgpr_count 2
		.amdhsa_user_sgpr_dispatch_ptr 0
		.amdhsa_user_sgpr_queue_ptr 0
		.amdhsa_user_sgpr_kernarg_segment_ptr 1
		.amdhsa_user_sgpr_dispatch_id 0
		.amdhsa_user_sgpr_private_segment_size 0
		.amdhsa_wavefront_size32 1
		.amdhsa_uses_dynamic_stack 0
		.amdhsa_enable_private_segment 0
		.amdhsa_system_sgpr_workgroup_id_x 1
		.amdhsa_system_sgpr_workgroup_id_y 0
		.amdhsa_system_sgpr_workgroup_id_z 0
		.amdhsa_system_sgpr_workgroup_info 0
		.amdhsa_system_vgpr_workitem_id 0
		.amdhsa_next_free_vgpr 1
		.amdhsa_next_free_sgpr 1
		.amdhsa_reserve_vcc 0
		.amdhsa_float_round_mode_32 0
		.amdhsa_float_round_mode_16_64 0
		.amdhsa_float_denorm_mode_32 3
		.amdhsa_float_denorm_mode_16_64 3
		.amdhsa_fp16_overflow 0
		.amdhsa_workgroup_processor_mode 1
		.amdhsa_memory_ordered 1
		.amdhsa_forward_progress 1
		.amdhsa_inst_pref_size 0
		.amdhsa_round_robin_scheduling 0
		.amdhsa_exception_fp_ieee_invalid_op 0
		.amdhsa_exception_fp_denorm_src 0
		.amdhsa_exception_fp_ieee_div_zero 0
		.amdhsa_exception_fp_ieee_overflow 0
		.amdhsa_exception_fp_ieee_underflow 0
		.amdhsa_exception_fp_ieee_inexact 0
		.amdhsa_exception_int_div_zero 0
	.end_amdhsa_kernel
	.section	.text._ZN7rocprim17ROCPRIM_400000_NS6detail17trampoline_kernelINS0_14default_configENS1_25partition_config_selectorILNS1_17partition_subalgoE5EtNS0_10empty_typeEbEEZZNS1_14partition_implILS5_5ELb0ES3_mN6thrust23THRUST_200600_302600_NS6detail15normal_iteratorINSA_10device_ptrItEEEEPS6_NSA_18transform_iteratorINSB_9not_fun_tI7is_trueItEEESF_NSA_11use_defaultESM_EENS0_5tupleIJSF_S6_EEENSO_IJSG_SG_EEES6_PlJS6_EEE10hipError_tPvRmT3_T4_T5_T6_T7_T9_mT8_P12ihipStream_tbDpT10_ENKUlT_T0_E_clISt17integral_constantIbLb0EES1A_IbLb1EEEEDaS16_S17_EUlS16_E_NS1_11comp_targetILNS1_3genE3ELNS1_11target_archE908ELNS1_3gpuE7ELNS1_3repE0EEENS1_30default_config_static_selectorELNS0_4arch9wavefront6targetE0EEEvT1_,"axG",@progbits,_ZN7rocprim17ROCPRIM_400000_NS6detail17trampoline_kernelINS0_14default_configENS1_25partition_config_selectorILNS1_17partition_subalgoE5EtNS0_10empty_typeEbEEZZNS1_14partition_implILS5_5ELb0ES3_mN6thrust23THRUST_200600_302600_NS6detail15normal_iteratorINSA_10device_ptrItEEEEPS6_NSA_18transform_iteratorINSB_9not_fun_tI7is_trueItEEESF_NSA_11use_defaultESM_EENS0_5tupleIJSF_S6_EEENSO_IJSG_SG_EEES6_PlJS6_EEE10hipError_tPvRmT3_T4_T5_T6_T7_T9_mT8_P12ihipStream_tbDpT10_ENKUlT_T0_E_clISt17integral_constantIbLb0EES1A_IbLb1EEEEDaS16_S17_EUlS16_E_NS1_11comp_targetILNS1_3genE3ELNS1_11target_archE908ELNS1_3gpuE7ELNS1_3repE0EEENS1_30default_config_static_selectorELNS0_4arch9wavefront6targetE0EEEvT1_,comdat
.Lfunc_end1461:
	.size	_ZN7rocprim17ROCPRIM_400000_NS6detail17trampoline_kernelINS0_14default_configENS1_25partition_config_selectorILNS1_17partition_subalgoE5EtNS0_10empty_typeEbEEZZNS1_14partition_implILS5_5ELb0ES3_mN6thrust23THRUST_200600_302600_NS6detail15normal_iteratorINSA_10device_ptrItEEEEPS6_NSA_18transform_iteratorINSB_9not_fun_tI7is_trueItEEESF_NSA_11use_defaultESM_EENS0_5tupleIJSF_S6_EEENSO_IJSG_SG_EEES6_PlJS6_EEE10hipError_tPvRmT3_T4_T5_T6_T7_T9_mT8_P12ihipStream_tbDpT10_ENKUlT_T0_E_clISt17integral_constantIbLb0EES1A_IbLb1EEEEDaS16_S17_EUlS16_E_NS1_11comp_targetILNS1_3genE3ELNS1_11target_archE908ELNS1_3gpuE7ELNS1_3repE0EEENS1_30default_config_static_selectorELNS0_4arch9wavefront6targetE0EEEvT1_, .Lfunc_end1461-_ZN7rocprim17ROCPRIM_400000_NS6detail17trampoline_kernelINS0_14default_configENS1_25partition_config_selectorILNS1_17partition_subalgoE5EtNS0_10empty_typeEbEEZZNS1_14partition_implILS5_5ELb0ES3_mN6thrust23THRUST_200600_302600_NS6detail15normal_iteratorINSA_10device_ptrItEEEEPS6_NSA_18transform_iteratorINSB_9not_fun_tI7is_trueItEEESF_NSA_11use_defaultESM_EENS0_5tupleIJSF_S6_EEENSO_IJSG_SG_EEES6_PlJS6_EEE10hipError_tPvRmT3_T4_T5_T6_T7_T9_mT8_P12ihipStream_tbDpT10_ENKUlT_T0_E_clISt17integral_constantIbLb0EES1A_IbLb1EEEEDaS16_S17_EUlS16_E_NS1_11comp_targetILNS1_3genE3ELNS1_11target_archE908ELNS1_3gpuE7ELNS1_3repE0EEENS1_30default_config_static_selectorELNS0_4arch9wavefront6targetE0EEEvT1_
                                        ; -- End function
	.set _ZN7rocprim17ROCPRIM_400000_NS6detail17trampoline_kernelINS0_14default_configENS1_25partition_config_selectorILNS1_17partition_subalgoE5EtNS0_10empty_typeEbEEZZNS1_14partition_implILS5_5ELb0ES3_mN6thrust23THRUST_200600_302600_NS6detail15normal_iteratorINSA_10device_ptrItEEEEPS6_NSA_18transform_iteratorINSB_9not_fun_tI7is_trueItEEESF_NSA_11use_defaultESM_EENS0_5tupleIJSF_S6_EEENSO_IJSG_SG_EEES6_PlJS6_EEE10hipError_tPvRmT3_T4_T5_T6_T7_T9_mT8_P12ihipStream_tbDpT10_ENKUlT_T0_E_clISt17integral_constantIbLb0EES1A_IbLb1EEEEDaS16_S17_EUlS16_E_NS1_11comp_targetILNS1_3genE3ELNS1_11target_archE908ELNS1_3gpuE7ELNS1_3repE0EEENS1_30default_config_static_selectorELNS0_4arch9wavefront6targetE0EEEvT1_.num_vgpr, 0
	.set _ZN7rocprim17ROCPRIM_400000_NS6detail17trampoline_kernelINS0_14default_configENS1_25partition_config_selectorILNS1_17partition_subalgoE5EtNS0_10empty_typeEbEEZZNS1_14partition_implILS5_5ELb0ES3_mN6thrust23THRUST_200600_302600_NS6detail15normal_iteratorINSA_10device_ptrItEEEEPS6_NSA_18transform_iteratorINSB_9not_fun_tI7is_trueItEEESF_NSA_11use_defaultESM_EENS0_5tupleIJSF_S6_EEENSO_IJSG_SG_EEES6_PlJS6_EEE10hipError_tPvRmT3_T4_T5_T6_T7_T9_mT8_P12ihipStream_tbDpT10_ENKUlT_T0_E_clISt17integral_constantIbLb0EES1A_IbLb1EEEEDaS16_S17_EUlS16_E_NS1_11comp_targetILNS1_3genE3ELNS1_11target_archE908ELNS1_3gpuE7ELNS1_3repE0EEENS1_30default_config_static_selectorELNS0_4arch9wavefront6targetE0EEEvT1_.num_agpr, 0
	.set _ZN7rocprim17ROCPRIM_400000_NS6detail17trampoline_kernelINS0_14default_configENS1_25partition_config_selectorILNS1_17partition_subalgoE5EtNS0_10empty_typeEbEEZZNS1_14partition_implILS5_5ELb0ES3_mN6thrust23THRUST_200600_302600_NS6detail15normal_iteratorINSA_10device_ptrItEEEEPS6_NSA_18transform_iteratorINSB_9not_fun_tI7is_trueItEEESF_NSA_11use_defaultESM_EENS0_5tupleIJSF_S6_EEENSO_IJSG_SG_EEES6_PlJS6_EEE10hipError_tPvRmT3_T4_T5_T6_T7_T9_mT8_P12ihipStream_tbDpT10_ENKUlT_T0_E_clISt17integral_constantIbLb0EES1A_IbLb1EEEEDaS16_S17_EUlS16_E_NS1_11comp_targetILNS1_3genE3ELNS1_11target_archE908ELNS1_3gpuE7ELNS1_3repE0EEENS1_30default_config_static_selectorELNS0_4arch9wavefront6targetE0EEEvT1_.numbered_sgpr, 0
	.set _ZN7rocprim17ROCPRIM_400000_NS6detail17trampoline_kernelINS0_14default_configENS1_25partition_config_selectorILNS1_17partition_subalgoE5EtNS0_10empty_typeEbEEZZNS1_14partition_implILS5_5ELb0ES3_mN6thrust23THRUST_200600_302600_NS6detail15normal_iteratorINSA_10device_ptrItEEEEPS6_NSA_18transform_iteratorINSB_9not_fun_tI7is_trueItEEESF_NSA_11use_defaultESM_EENS0_5tupleIJSF_S6_EEENSO_IJSG_SG_EEES6_PlJS6_EEE10hipError_tPvRmT3_T4_T5_T6_T7_T9_mT8_P12ihipStream_tbDpT10_ENKUlT_T0_E_clISt17integral_constantIbLb0EES1A_IbLb1EEEEDaS16_S17_EUlS16_E_NS1_11comp_targetILNS1_3genE3ELNS1_11target_archE908ELNS1_3gpuE7ELNS1_3repE0EEENS1_30default_config_static_selectorELNS0_4arch9wavefront6targetE0EEEvT1_.num_named_barrier, 0
	.set _ZN7rocprim17ROCPRIM_400000_NS6detail17trampoline_kernelINS0_14default_configENS1_25partition_config_selectorILNS1_17partition_subalgoE5EtNS0_10empty_typeEbEEZZNS1_14partition_implILS5_5ELb0ES3_mN6thrust23THRUST_200600_302600_NS6detail15normal_iteratorINSA_10device_ptrItEEEEPS6_NSA_18transform_iteratorINSB_9not_fun_tI7is_trueItEEESF_NSA_11use_defaultESM_EENS0_5tupleIJSF_S6_EEENSO_IJSG_SG_EEES6_PlJS6_EEE10hipError_tPvRmT3_T4_T5_T6_T7_T9_mT8_P12ihipStream_tbDpT10_ENKUlT_T0_E_clISt17integral_constantIbLb0EES1A_IbLb1EEEEDaS16_S17_EUlS16_E_NS1_11comp_targetILNS1_3genE3ELNS1_11target_archE908ELNS1_3gpuE7ELNS1_3repE0EEENS1_30default_config_static_selectorELNS0_4arch9wavefront6targetE0EEEvT1_.private_seg_size, 0
	.set _ZN7rocprim17ROCPRIM_400000_NS6detail17trampoline_kernelINS0_14default_configENS1_25partition_config_selectorILNS1_17partition_subalgoE5EtNS0_10empty_typeEbEEZZNS1_14partition_implILS5_5ELb0ES3_mN6thrust23THRUST_200600_302600_NS6detail15normal_iteratorINSA_10device_ptrItEEEEPS6_NSA_18transform_iteratorINSB_9not_fun_tI7is_trueItEEESF_NSA_11use_defaultESM_EENS0_5tupleIJSF_S6_EEENSO_IJSG_SG_EEES6_PlJS6_EEE10hipError_tPvRmT3_T4_T5_T6_T7_T9_mT8_P12ihipStream_tbDpT10_ENKUlT_T0_E_clISt17integral_constantIbLb0EES1A_IbLb1EEEEDaS16_S17_EUlS16_E_NS1_11comp_targetILNS1_3genE3ELNS1_11target_archE908ELNS1_3gpuE7ELNS1_3repE0EEENS1_30default_config_static_selectorELNS0_4arch9wavefront6targetE0EEEvT1_.uses_vcc, 0
	.set _ZN7rocprim17ROCPRIM_400000_NS6detail17trampoline_kernelINS0_14default_configENS1_25partition_config_selectorILNS1_17partition_subalgoE5EtNS0_10empty_typeEbEEZZNS1_14partition_implILS5_5ELb0ES3_mN6thrust23THRUST_200600_302600_NS6detail15normal_iteratorINSA_10device_ptrItEEEEPS6_NSA_18transform_iteratorINSB_9not_fun_tI7is_trueItEEESF_NSA_11use_defaultESM_EENS0_5tupleIJSF_S6_EEENSO_IJSG_SG_EEES6_PlJS6_EEE10hipError_tPvRmT3_T4_T5_T6_T7_T9_mT8_P12ihipStream_tbDpT10_ENKUlT_T0_E_clISt17integral_constantIbLb0EES1A_IbLb1EEEEDaS16_S17_EUlS16_E_NS1_11comp_targetILNS1_3genE3ELNS1_11target_archE908ELNS1_3gpuE7ELNS1_3repE0EEENS1_30default_config_static_selectorELNS0_4arch9wavefront6targetE0EEEvT1_.uses_flat_scratch, 0
	.set _ZN7rocprim17ROCPRIM_400000_NS6detail17trampoline_kernelINS0_14default_configENS1_25partition_config_selectorILNS1_17partition_subalgoE5EtNS0_10empty_typeEbEEZZNS1_14partition_implILS5_5ELb0ES3_mN6thrust23THRUST_200600_302600_NS6detail15normal_iteratorINSA_10device_ptrItEEEEPS6_NSA_18transform_iteratorINSB_9not_fun_tI7is_trueItEEESF_NSA_11use_defaultESM_EENS0_5tupleIJSF_S6_EEENSO_IJSG_SG_EEES6_PlJS6_EEE10hipError_tPvRmT3_T4_T5_T6_T7_T9_mT8_P12ihipStream_tbDpT10_ENKUlT_T0_E_clISt17integral_constantIbLb0EES1A_IbLb1EEEEDaS16_S17_EUlS16_E_NS1_11comp_targetILNS1_3genE3ELNS1_11target_archE908ELNS1_3gpuE7ELNS1_3repE0EEENS1_30default_config_static_selectorELNS0_4arch9wavefront6targetE0EEEvT1_.has_dyn_sized_stack, 0
	.set _ZN7rocprim17ROCPRIM_400000_NS6detail17trampoline_kernelINS0_14default_configENS1_25partition_config_selectorILNS1_17partition_subalgoE5EtNS0_10empty_typeEbEEZZNS1_14partition_implILS5_5ELb0ES3_mN6thrust23THRUST_200600_302600_NS6detail15normal_iteratorINSA_10device_ptrItEEEEPS6_NSA_18transform_iteratorINSB_9not_fun_tI7is_trueItEEESF_NSA_11use_defaultESM_EENS0_5tupleIJSF_S6_EEENSO_IJSG_SG_EEES6_PlJS6_EEE10hipError_tPvRmT3_T4_T5_T6_T7_T9_mT8_P12ihipStream_tbDpT10_ENKUlT_T0_E_clISt17integral_constantIbLb0EES1A_IbLb1EEEEDaS16_S17_EUlS16_E_NS1_11comp_targetILNS1_3genE3ELNS1_11target_archE908ELNS1_3gpuE7ELNS1_3repE0EEENS1_30default_config_static_selectorELNS0_4arch9wavefront6targetE0EEEvT1_.has_recursion, 0
	.set _ZN7rocprim17ROCPRIM_400000_NS6detail17trampoline_kernelINS0_14default_configENS1_25partition_config_selectorILNS1_17partition_subalgoE5EtNS0_10empty_typeEbEEZZNS1_14partition_implILS5_5ELb0ES3_mN6thrust23THRUST_200600_302600_NS6detail15normal_iteratorINSA_10device_ptrItEEEEPS6_NSA_18transform_iteratorINSB_9not_fun_tI7is_trueItEEESF_NSA_11use_defaultESM_EENS0_5tupleIJSF_S6_EEENSO_IJSG_SG_EEES6_PlJS6_EEE10hipError_tPvRmT3_T4_T5_T6_T7_T9_mT8_P12ihipStream_tbDpT10_ENKUlT_T0_E_clISt17integral_constantIbLb0EES1A_IbLb1EEEEDaS16_S17_EUlS16_E_NS1_11comp_targetILNS1_3genE3ELNS1_11target_archE908ELNS1_3gpuE7ELNS1_3repE0EEENS1_30default_config_static_selectorELNS0_4arch9wavefront6targetE0EEEvT1_.has_indirect_call, 0
	.section	.AMDGPU.csdata,"",@progbits
; Kernel info:
; codeLenInByte = 0
; TotalNumSgprs: 0
; NumVgprs: 0
; ScratchSize: 0
; MemoryBound: 0
; FloatMode: 240
; IeeeMode: 1
; LDSByteSize: 0 bytes/workgroup (compile time only)
; SGPRBlocks: 0
; VGPRBlocks: 0
; NumSGPRsForWavesPerEU: 1
; NumVGPRsForWavesPerEU: 1
; Occupancy: 16
; WaveLimiterHint : 0
; COMPUTE_PGM_RSRC2:SCRATCH_EN: 0
; COMPUTE_PGM_RSRC2:USER_SGPR: 2
; COMPUTE_PGM_RSRC2:TRAP_HANDLER: 0
; COMPUTE_PGM_RSRC2:TGID_X_EN: 1
; COMPUTE_PGM_RSRC2:TGID_Y_EN: 0
; COMPUTE_PGM_RSRC2:TGID_Z_EN: 0
; COMPUTE_PGM_RSRC2:TIDIG_COMP_CNT: 0
	.section	.text._ZN7rocprim17ROCPRIM_400000_NS6detail17trampoline_kernelINS0_14default_configENS1_25partition_config_selectorILNS1_17partition_subalgoE5EtNS0_10empty_typeEbEEZZNS1_14partition_implILS5_5ELb0ES3_mN6thrust23THRUST_200600_302600_NS6detail15normal_iteratorINSA_10device_ptrItEEEEPS6_NSA_18transform_iteratorINSB_9not_fun_tI7is_trueItEEESF_NSA_11use_defaultESM_EENS0_5tupleIJSF_S6_EEENSO_IJSG_SG_EEES6_PlJS6_EEE10hipError_tPvRmT3_T4_T5_T6_T7_T9_mT8_P12ihipStream_tbDpT10_ENKUlT_T0_E_clISt17integral_constantIbLb0EES1A_IbLb1EEEEDaS16_S17_EUlS16_E_NS1_11comp_targetILNS1_3genE2ELNS1_11target_archE906ELNS1_3gpuE6ELNS1_3repE0EEENS1_30default_config_static_selectorELNS0_4arch9wavefront6targetE0EEEvT1_,"axG",@progbits,_ZN7rocprim17ROCPRIM_400000_NS6detail17trampoline_kernelINS0_14default_configENS1_25partition_config_selectorILNS1_17partition_subalgoE5EtNS0_10empty_typeEbEEZZNS1_14partition_implILS5_5ELb0ES3_mN6thrust23THRUST_200600_302600_NS6detail15normal_iteratorINSA_10device_ptrItEEEEPS6_NSA_18transform_iteratorINSB_9not_fun_tI7is_trueItEEESF_NSA_11use_defaultESM_EENS0_5tupleIJSF_S6_EEENSO_IJSG_SG_EEES6_PlJS6_EEE10hipError_tPvRmT3_T4_T5_T6_T7_T9_mT8_P12ihipStream_tbDpT10_ENKUlT_T0_E_clISt17integral_constantIbLb0EES1A_IbLb1EEEEDaS16_S17_EUlS16_E_NS1_11comp_targetILNS1_3genE2ELNS1_11target_archE906ELNS1_3gpuE6ELNS1_3repE0EEENS1_30default_config_static_selectorELNS0_4arch9wavefront6targetE0EEEvT1_,comdat
	.protected	_ZN7rocprim17ROCPRIM_400000_NS6detail17trampoline_kernelINS0_14default_configENS1_25partition_config_selectorILNS1_17partition_subalgoE5EtNS0_10empty_typeEbEEZZNS1_14partition_implILS5_5ELb0ES3_mN6thrust23THRUST_200600_302600_NS6detail15normal_iteratorINSA_10device_ptrItEEEEPS6_NSA_18transform_iteratorINSB_9not_fun_tI7is_trueItEEESF_NSA_11use_defaultESM_EENS0_5tupleIJSF_S6_EEENSO_IJSG_SG_EEES6_PlJS6_EEE10hipError_tPvRmT3_T4_T5_T6_T7_T9_mT8_P12ihipStream_tbDpT10_ENKUlT_T0_E_clISt17integral_constantIbLb0EES1A_IbLb1EEEEDaS16_S17_EUlS16_E_NS1_11comp_targetILNS1_3genE2ELNS1_11target_archE906ELNS1_3gpuE6ELNS1_3repE0EEENS1_30default_config_static_selectorELNS0_4arch9wavefront6targetE0EEEvT1_ ; -- Begin function _ZN7rocprim17ROCPRIM_400000_NS6detail17trampoline_kernelINS0_14default_configENS1_25partition_config_selectorILNS1_17partition_subalgoE5EtNS0_10empty_typeEbEEZZNS1_14partition_implILS5_5ELb0ES3_mN6thrust23THRUST_200600_302600_NS6detail15normal_iteratorINSA_10device_ptrItEEEEPS6_NSA_18transform_iteratorINSB_9not_fun_tI7is_trueItEEESF_NSA_11use_defaultESM_EENS0_5tupleIJSF_S6_EEENSO_IJSG_SG_EEES6_PlJS6_EEE10hipError_tPvRmT3_T4_T5_T6_T7_T9_mT8_P12ihipStream_tbDpT10_ENKUlT_T0_E_clISt17integral_constantIbLb0EES1A_IbLb1EEEEDaS16_S17_EUlS16_E_NS1_11comp_targetILNS1_3genE2ELNS1_11target_archE906ELNS1_3gpuE6ELNS1_3repE0EEENS1_30default_config_static_selectorELNS0_4arch9wavefront6targetE0EEEvT1_
	.globl	_ZN7rocprim17ROCPRIM_400000_NS6detail17trampoline_kernelINS0_14default_configENS1_25partition_config_selectorILNS1_17partition_subalgoE5EtNS0_10empty_typeEbEEZZNS1_14partition_implILS5_5ELb0ES3_mN6thrust23THRUST_200600_302600_NS6detail15normal_iteratorINSA_10device_ptrItEEEEPS6_NSA_18transform_iteratorINSB_9not_fun_tI7is_trueItEEESF_NSA_11use_defaultESM_EENS0_5tupleIJSF_S6_EEENSO_IJSG_SG_EEES6_PlJS6_EEE10hipError_tPvRmT3_T4_T5_T6_T7_T9_mT8_P12ihipStream_tbDpT10_ENKUlT_T0_E_clISt17integral_constantIbLb0EES1A_IbLb1EEEEDaS16_S17_EUlS16_E_NS1_11comp_targetILNS1_3genE2ELNS1_11target_archE906ELNS1_3gpuE6ELNS1_3repE0EEENS1_30default_config_static_selectorELNS0_4arch9wavefront6targetE0EEEvT1_
	.p2align	8
	.type	_ZN7rocprim17ROCPRIM_400000_NS6detail17trampoline_kernelINS0_14default_configENS1_25partition_config_selectorILNS1_17partition_subalgoE5EtNS0_10empty_typeEbEEZZNS1_14partition_implILS5_5ELb0ES3_mN6thrust23THRUST_200600_302600_NS6detail15normal_iteratorINSA_10device_ptrItEEEEPS6_NSA_18transform_iteratorINSB_9not_fun_tI7is_trueItEEESF_NSA_11use_defaultESM_EENS0_5tupleIJSF_S6_EEENSO_IJSG_SG_EEES6_PlJS6_EEE10hipError_tPvRmT3_T4_T5_T6_T7_T9_mT8_P12ihipStream_tbDpT10_ENKUlT_T0_E_clISt17integral_constantIbLb0EES1A_IbLb1EEEEDaS16_S17_EUlS16_E_NS1_11comp_targetILNS1_3genE2ELNS1_11target_archE906ELNS1_3gpuE6ELNS1_3repE0EEENS1_30default_config_static_selectorELNS0_4arch9wavefront6targetE0EEEvT1_,@function
_ZN7rocprim17ROCPRIM_400000_NS6detail17trampoline_kernelINS0_14default_configENS1_25partition_config_selectorILNS1_17partition_subalgoE5EtNS0_10empty_typeEbEEZZNS1_14partition_implILS5_5ELb0ES3_mN6thrust23THRUST_200600_302600_NS6detail15normal_iteratorINSA_10device_ptrItEEEEPS6_NSA_18transform_iteratorINSB_9not_fun_tI7is_trueItEEESF_NSA_11use_defaultESM_EENS0_5tupleIJSF_S6_EEENSO_IJSG_SG_EEES6_PlJS6_EEE10hipError_tPvRmT3_T4_T5_T6_T7_T9_mT8_P12ihipStream_tbDpT10_ENKUlT_T0_E_clISt17integral_constantIbLb0EES1A_IbLb1EEEEDaS16_S17_EUlS16_E_NS1_11comp_targetILNS1_3genE2ELNS1_11target_archE906ELNS1_3gpuE6ELNS1_3repE0EEENS1_30default_config_static_selectorELNS0_4arch9wavefront6targetE0EEEvT1_: ; @_ZN7rocprim17ROCPRIM_400000_NS6detail17trampoline_kernelINS0_14default_configENS1_25partition_config_selectorILNS1_17partition_subalgoE5EtNS0_10empty_typeEbEEZZNS1_14partition_implILS5_5ELb0ES3_mN6thrust23THRUST_200600_302600_NS6detail15normal_iteratorINSA_10device_ptrItEEEEPS6_NSA_18transform_iteratorINSB_9not_fun_tI7is_trueItEEESF_NSA_11use_defaultESM_EENS0_5tupleIJSF_S6_EEENSO_IJSG_SG_EEES6_PlJS6_EEE10hipError_tPvRmT3_T4_T5_T6_T7_T9_mT8_P12ihipStream_tbDpT10_ENKUlT_T0_E_clISt17integral_constantIbLb0EES1A_IbLb1EEEEDaS16_S17_EUlS16_E_NS1_11comp_targetILNS1_3genE2ELNS1_11target_archE906ELNS1_3gpuE6ELNS1_3repE0EEENS1_30default_config_static_selectorELNS0_4arch9wavefront6targetE0EEEvT1_
; %bb.0:
	.section	.rodata,"a",@progbits
	.p2align	6, 0x0
	.amdhsa_kernel _ZN7rocprim17ROCPRIM_400000_NS6detail17trampoline_kernelINS0_14default_configENS1_25partition_config_selectorILNS1_17partition_subalgoE5EtNS0_10empty_typeEbEEZZNS1_14partition_implILS5_5ELb0ES3_mN6thrust23THRUST_200600_302600_NS6detail15normal_iteratorINSA_10device_ptrItEEEEPS6_NSA_18transform_iteratorINSB_9not_fun_tI7is_trueItEEESF_NSA_11use_defaultESM_EENS0_5tupleIJSF_S6_EEENSO_IJSG_SG_EEES6_PlJS6_EEE10hipError_tPvRmT3_T4_T5_T6_T7_T9_mT8_P12ihipStream_tbDpT10_ENKUlT_T0_E_clISt17integral_constantIbLb0EES1A_IbLb1EEEEDaS16_S17_EUlS16_E_NS1_11comp_targetILNS1_3genE2ELNS1_11target_archE906ELNS1_3gpuE6ELNS1_3repE0EEENS1_30default_config_static_selectorELNS0_4arch9wavefront6targetE0EEEvT1_
		.amdhsa_group_segment_fixed_size 0
		.amdhsa_private_segment_fixed_size 0
		.amdhsa_kernarg_size 136
		.amdhsa_user_sgpr_count 2
		.amdhsa_user_sgpr_dispatch_ptr 0
		.amdhsa_user_sgpr_queue_ptr 0
		.amdhsa_user_sgpr_kernarg_segment_ptr 1
		.amdhsa_user_sgpr_dispatch_id 0
		.amdhsa_user_sgpr_private_segment_size 0
		.amdhsa_wavefront_size32 1
		.amdhsa_uses_dynamic_stack 0
		.amdhsa_enable_private_segment 0
		.amdhsa_system_sgpr_workgroup_id_x 1
		.amdhsa_system_sgpr_workgroup_id_y 0
		.amdhsa_system_sgpr_workgroup_id_z 0
		.amdhsa_system_sgpr_workgroup_info 0
		.amdhsa_system_vgpr_workitem_id 0
		.amdhsa_next_free_vgpr 1
		.amdhsa_next_free_sgpr 1
		.amdhsa_reserve_vcc 0
		.amdhsa_float_round_mode_32 0
		.amdhsa_float_round_mode_16_64 0
		.amdhsa_float_denorm_mode_32 3
		.amdhsa_float_denorm_mode_16_64 3
		.amdhsa_fp16_overflow 0
		.amdhsa_workgroup_processor_mode 1
		.amdhsa_memory_ordered 1
		.amdhsa_forward_progress 1
		.amdhsa_inst_pref_size 0
		.amdhsa_round_robin_scheduling 0
		.amdhsa_exception_fp_ieee_invalid_op 0
		.amdhsa_exception_fp_denorm_src 0
		.amdhsa_exception_fp_ieee_div_zero 0
		.amdhsa_exception_fp_ieee_overflow 0
		.amdhsa_exception_fp_ieee_underflow 0
		.amdhsa_exception_fp_ieee_inexact 0
		.amdhsa_exception_int_div_zero 0
	.end_amdhsa_kernel
	.section	.text._ZN7rocprim17ROCPRIM_400000_NS6detail17trampoline_kernelINS0_14default_configENS1_25partition_config_selectorILNS1_17partition_subalgoE5EtNS0_10empty_typeEbEEZZNS1_14partition_implILS5_5ELb0ES3_mN6thrust23THRUST_200600_302600_NS6detail15normal_iteratorINSA_10device_ptrItEEEEPS6_NSA_18transform_iteratorINSB_9not_fun_tI7is_trueItEEESF_NSA_11use_defaultESM_EENS0_5tupleIJSF_S6_EEENSO_IJSG_SG_EEES6_PlJS6_EEE10hipError_tPvRmT3_T4_T5_T6_T7_T9_mT8_P12ihipStream_tbDpT10_ENKUlT_T0_E_clISt17integral_constantIbLb0EES1A_IbLb1EEEEDaS16_S17_EUlS16_E_NS1_11comp_targetILNS1_3genE2ELNS1_11target_archE906ELNS1_3gpuE6ELNS1_3repE0EEENS1_30default_config_static_selectorELNS0_4arch9wavefront6targetE0EEEvT1_,"axG",@progbits,_ZN7rocprim17ROCPRIM_400000_NS6detail17trampoline_kernelINS0_14default_configENS1_25partition_config_selectorILNS1_17partition_subalgoE5EtNS0_10empty_typeEbEEZZNS1_14partition_implILS5_5ELb0ES3_mN6thrust23THRUST_200600_302600_NS6detail15normal_iteratorINSA_10device_ptrItEEEEPS6_NSA_18transform_iteratorINSB_9not_fun_tI7is_trueItEEESF_NSA_11use_defaultESM_EENS0_5tupleIJSF_S6_EEENSO_IJSG_SG_EEES6_PlJS6_EEE10hipError_tPvRmT3_T4_T5_T6_T7_T9_mT8_P12ihipStream_tbDpT10_ENKUlT_T0_E_clISt17integral_constantIbLb0EES1A_IbLb1EEEEDaS16_S17_EUlS16_E_NS1_11comp_targetILNS1_3genE2ELNS1_11target_archE906ELNS1_3gpuE6ELNS1_3repE0EEENS1_30default_config_static_selectorELNS0_4arch9wavefront6targetE0EEEvT1_,comdat
.Lfunc_end1462:
	.size	_ZN7rocprim17ROCPRIM_400000_NS6detail17trampoline_kernelINS0_14default_configENS1_25partition_config_selectorILNS1_17partition_subalgoE5EtNS0_10empty_typeEbEEZZNS1_14partition_implILS5_5ELb0ES3_mN6thrust23THRUST_200600_302600_NS6detail15normal_iteratorINSA_10device_ptrItEEEEPS6_NSA_18transform_iteratorINSB_9not_fun_tI7is_trueItEEESF_NSA_11use_defaultESM_EENS0_5tupleIJSF_S6_EEENSO_IJSG_SG_EEES6_PlJS6_EEE10hipError_tPvRmT3_T4_T5_T6_T7_T9_mT8_P12ihipStream_tbDpT10_ENKUlT_T0_E_clISt17integral_constantIbLb0EES1A_IbLb1EEEEDaS16_S17_EUlS16_E_NS1_11comp_targetILNS1_3genE2ELNS1_11target_archE906ELNS1_3gpuE6ELNS1_3repE0EEENS1_30default_config_static_selectorELNS0_4arch9wavefront6targetE0EEEvT1_, .Lfunc_end1462-_ZN7rocprim17ROCPRIM_400000_NS6detail17trampoline_kernelINS0_14default_configENS1_25partition_config_selectorILNS1_17partition_subalgoE5EtNS0_10empty_typeEbEEZZNS1_14partition_implILS5_5ELb0ES3_mN6thrust23THRUST_200600_302600_NS6detail15normal_iteratorINSA_10device_ptrItEEEEPS6_NSA_18transform_iteratorINSB_9not_fun_tI7is_trueItEEESF_NSA_11use_defaultESM_EENS0_5tupleIJSF_S6_EEENSO_IJSG_SG_EEES6_PlJS6_EEE10hipError_tPvRmT3_T4_T5_T6_T7_T9_mT8_P12ihipStream_tbDpT10_ENKUlT_T0_E_clISt17integral_constantIbLb0EES1A_IbLb1EEEEDaS16_S17_EUlS16_E_NS1_11comp_targetILNS1_3genE2ELNS1_11target_archE906ELNS1_3gpuE6ELNS1_3repE0EEENS1_30default_config_static_selectorELNS0_4arch9wavefront6targetE0EEEvT1_
                                        ; -- End function
	.set _ZN7rocprim17ROCPRIM_400000_NS6detail17trampoline_kernelINS0_14default_configENS1_25partition_config_selectorILNS1_17partition_subalgoE5EtNS0_10empty_typeEbEEZZNS1_14partition_implILS5_5ELb0ES3_mN6thrust23THRUST_200600_302600_NS6detail15normal_iteratorINSA_10device_ptrItEEEEPS6_NSA_18transform_iteratorINSB_9not_fun_tI7is_trueItEEESF_NSA_11use_defaultESM_EENS0_5tupleIJSF_S6_EEENSO_IJSG_SG_EEES6_PlJS6_EEE10hipError_tPvRmT3_T4_T5_T6_T7_T9_mT8_P12ihipStream_tbDpT10_ENKUlT_T0_E_clISt17integral_constantIbLb0EES1A_IbLb1EEEEDaS16_S17_EUlS16_E_NS1_11comp_targetILNS1_3genE2ELNS1_11target_archE906ELNS1_3gpuE6ELNS1_3repE0EEENS1_30default_config_static_selectorELNS0_4arch9wavefront6targetE0EEEvT1_.num_vgpr, 0
	.set _ZN7rocprim17ROCPRIM_400000_NS6detail17trampoline_kernelINS0_14default_configENS1_25partition_config_selectorILNS1_17partition_subalgoE5EtNS0_10empty_typeEbEEZZNS1_14partition_implILS5_5ELb0ES3_mN6thrust23THRUST_200600_302600_NS6detail15normal_iteratorINSA_10device_ptrItEEEEPS6_NSA_18transform_iteratorINSB_9not_fun_tI7is_trueItEEESF_NSA_11use_defaultESM_EENS0_5tupleIJSF_S6_EEENSO_IJSG_SG_EEES6_PlJS6_EEE10hipError_tPvRmT3_T4_T5_T6_T7_T9_mT8_P12ihipStream_tbDpT10_ENKUlT_T0_E_clISt17integral_constantIbLb0EES1A_IbLb1EEEEDaS16_S17_EUlS16_E_NS1_11comp_targetILNS1_3genE2ELNS1_11target_archE906ELNS1_3gpuE6ELNS1_3repE0EEENS1_30default_config_static_selectorELNS0_4arch9wavefront6targetE0EEEvT1_.num_agpr, 0
	.set _ZN7rocprim17ROCPRIM_400000_NS6detail17trampoline_kernelINS0_14default_configENS1_25partition_config_selectorILNS1_17partition_subalgoE5EtNS0_10empty_typeEbEEZZNS1_14partition_implILS5_5ELb0ES3_mN6thrust23THRUST_200600_302600_NS6detail15normal_iteratorINSA_10device_ptrItEEEEPS6_NSA_18transform_iteratorINSB_9not_fun_tI7is_trueItEEESF_NSA_11use_defaultESM_EENS0_5tupleIJSF_S6_EEENSO_IJSG_SG_EEES6_PlJS6_EEE10hipError_tPvRmT3_T4_T5_T6_T7_T9_mT8_P12ihipStream_tbDpT10_ENKUlT_T0_E_clISt17integral_constantIbLb0EES1A_IbLb1EEEEDaS16_S17_EUlS16_E_NS1_11comp_targetILNS1_3genE2ELNS1_11target_archE906ELNS1_3gpuE6ELNS1_3repE0EEENS1_30default_config_static_selectorELNS0_4arch9wavefront6targetE0EEEvT1_.numbered_sgpr, 0
	.set _ZN7rocprim17ROCPRIM_400000_NS6detail17trampoline_kernelINS0_14default_configENS1_25partition_config_selectorILNS1_17partition_subalgoE5EtNS0_10empty_typeEbEEZZNS1_14partition_implILS5_5ELb0ES3_mN6thrust23THRUST_200600_302600_NS6detail15normal_iteratorINSA_10device_ptrItEEEEPS6_NSA_18transform_iteratorINSB_9not_fun_tI7is_trueItEEESF_NSA_11use_defaultESM_EENS0_5tupleIJSF_S6_EEENSO_IJSG_SG_EEES6_PlJS6_EEE10hipError_tPvRmT3_T4_T5_T6_T7_T9_mT8_P12ihipStream_tbDpT10_ENKUlT_T0_E_clISt17integral_constantIbLb0EES1A_IbLb1EEEEDaS16_S17_EUlS16_E_NS1_11comp_targetILNS1_3genE2ELNS1_11target_archE906ELNS1_3gpuE6ELNS1_3repE0EEENS1_30default_config_static_selectorELNS0_4arch9wavefront6targetE0EEEvT1_.num_named_barrier, 0
	.set _ZN7rocprim17ROCPRIM_400000_NS6detail17trampoline_kernelINS0_14default_configENS1_25partition_config_selectorILNS1_17partition_subalgoE5EtNS0_10empty_typeEbEEZZNS1_14partition_implILS5_5ELb0ES3_mN6thrust23THRUST_200600_302600_NS6detail15normal_iteratorINSA_10device_ptrItEEEEPS6_NSA_18transform_iteratorINSB_9not_fun_tI7is_trueItEEESF_NSA_11use_defaultESM_EENS0_5tupleIJSF_S6_EEENSO_IJSG_SG_EEES6_PlJS6_EEE10hipError_tPvRmT3_T4_T5_T6_T7_T9_mT8_P12ihipStream_tbDpT10_ENKUlT_T0_E_clISt17integral_constantIbLb0EES1A_IbLb1EEEEDaS16_S17_EUlS16_E_NS1_11comp_targetILNS1_3genE2ELNS1_11target_archE906ELNS1_3gpuE6ELNS1_3repE0EEENS1_30default_config_static_selectorELNS0_4arch9wavefront6targetE0EEEvT1_.private_seg_size, 0
	.set _ZN7rocprim17ROCPRIM_400000_NS6detail17trampoline_kernelINS0_14default_configENS1_25partition_config_selectorILNS1_17partition_subalgoE5EtNS0_10empty_typeEbEEZZNS1_14partition_implILS5_5ELb0ES3_mN6thrust23THRUST_200600_302600_NS6detail15normal_iteratorINSA_10device_ptrItEEEEPS6_NSA_18transform_iteratorINSB_9not_fun_tI7is_trueItEEESF_NSA_11use_defaultESM_EENS0_5tupleIJSF_S6_EEENSO_IJSG_SG_EEES6_PlJS6_EEE10hipError_tPvRmT3_T4_T5_T6_T7_T9_mT8_P12ihipStream_tbDpT10_ENKUlT_T0_E_clISt17integral_constantIbLb0EES1A_IbLb1EEEEDaS16_S17_EUlS16_E_NS1_11comp_targetILNS1_3genE2ELNS1_11target_archE906ELNS1_3gpuE6ELNS1_3repE0EEENS1_30default_config_static_selectorELNS0_4arch9wavefront6targetE0EEEvT1_.uses_vcc, 0
	.set _ZN7rocprim17ROCPRIM_400000_NS6detail17trampoline_kernelINS0_14default_configENS1_25partition_config_selectorILNS1_17partition_subalgoE5EtNS0_10empty_typeEbEEZZNS1_14partition_implILS5_5ELb0ES3_mN6thrust23THRUST_200600_302600_NS6detail15normal_iteratorINSA_10device_ptrItEEEEPS6_NSA_18transform_iteratorINSB_9not_fun_tI7is_trueItEEESF_NSA_11use_defaultESM_EENS0_5tupleIJSF_S6_EEENSO_IJSG_SG_EEES6_PlJS6_EEE10hipError_tPvRmT3_T4_T5_T6_T7_T9_mT8_P12ihipStream_tbDpT10_ENKUlT_T0_E_clISt17integral_constantIbLb0EES1A_IbLb1EEEEDaS16_S17_EUlS16_E_NS1_11comp_targetILNS1_3genE2ELNS1_11target_archE906ELNS1_3gpuE6ELNS1_3repE0EEENS1_30default_config_static_selectorELNS0_4arch9wavefront6targetE0EEEvT1_.uses_flat_scratch, 0
	.set _ZN7rocprim17ROCPRIM_400000_NS6detail17trampoline_kernelINS0_14default_configENS1_25partition_config_selectorILNS1_17partition_subalgoE5EtNS0_10empty_typeEbEEZZNS1_14partition_implILS5_5ELb0ES3_mN6thrust23THRUST_200600_302600_NS6detail15normal_iteratorINSA_10device_ptrItEEEEPS6_NSA_18transform_iteratorINSB_9not_fun_tI7is_trueItEEESF_NSA_11use_defaultESM_EENS0_5tupleIJSF_S6_EEENSO_IJSG_SG_EEES6_PlJS6_EEE10hipError_tPvRmT3_T4_T5_T6_T7_T9_mT8_P12ihipStream_tbDpT10_ENKUlT_T0_E_clISt17integral_constantIbLb0EES1A_IbLb1EEEEDaS16_S17_EUlS16_E_NS1_11comp_targetILNS1_3genE2ELNS1_11target_archE906ELNS1_3gpuE6ELNS1_3repE0EEENS1_30default_config_static_selectorELNS0_4arch9wavefront6targetE0EEEvT1_.has_dyn_sized_stack, 0
	.set _ZN7rocprim17ROCPRIM_400000_NS6detail17trampoline_kernelINS0_14default_configENS1_25partition_config_selectorILNS1_17partition_subalgoE5EtNS0_10empty_typeEbEEZZNS1_14partition_implILS5_5ELb0ES3_mN6thrust23THRUST_200600_302600_NS6detail15normal_iteratorINSA_10device_ptrItEEEEPS6_NSA_18transform_iteratorINSB_9not_fun_tI7is_trueItEEESF_NSA_11use_defaultESM_EENS0_5tupleIJSF_S6_EEENSO_IJSG_SG_EEES6_PlJS6_EEE10hipError_tPvRmT3_T4_T5_T6_T7_T9_mT8_P12ihipStream_tbDpT10_ENKUlT_T0_E_clISt17integral_constantIbLb0EES1A_IbLb1EEEEDaS16_S17_EUlS16_E_NS1_11comp_targetILNS1_3genE2ELNS1_11target_archE906ELNS1_3gpuE6ELNS1_3repE0EEENS1_30default_config_static_selectorELNS0_4arch9wavefront6targetE0EEEvT1_.has_recursion, 0
	.set _ZN7rocprim17ROCPRIM_400000_NS6detail17trampoline_kernelINS0_14default_configENS1_25partition_config_selectorILNS1_17partition_subalgoE5EtNS0_10empty_typeEbEEZZNS1_14partition_implILS5_5ELb0ES3_mN6thrust23THRUST_200600_302600_NS6detail15normal_iteratorINSA_10device_ptrItEEEEPS6_NSA_18transform_iteratorINSB_9not_fun_tI7is_trueItEEESF_NSA_11use_defaultESM_EENS0_5tupleIJSF_S6_EEENSO_IJSG_SG_EEES6_PlJS6_EEE10hipError_tPvRmT3_T4_T5_T6_T7_T9_mT8_P12ihipStream_tbDpT10_ENKUlT_T0_E_clISt17integral_constantIbLb0EES1A_IbLb1EEEEDaS16_S17_EUlS16_E_NS1_11comp_targetILNS1_3genE2ELNS1_11target_archE906ELNS1_3gpuE6ELNS1_3repE0EEENS1_30default_config_static_selectorELNS0_4arch9wavefront6targetE0EEEvT1_.has_indirect_call, 0
	.section	.AMDGPU.csdata,"",@progbits
; Kernel info:
; codeLenInByte = 0
; TotalNumSgprs: 0
; NumVgprs: 0
; ScratchSize: 0
; MemoryBound: 0
; FloatMode: 240
; IeeeMode: 1
; LDSByteSize: 0 bytes/workgroup (compile time only)
; SGPRBlocks: 0
; VGPRBlocks: 0
; NumSGPRsForWavesPerEU: 1
; NumVGPRsForWavesPerEU: 1
; Occupancy: 16
; WaveLimiterHint : 0
; COMPUTE_PGM_RSRC2:SCRATCH_EN: 0
; COMPUTE_PGM_RSRC2:USER_SGPR: 2
; COMPUTE_PGM_RSRC2:TRAP_HANDLER: 0
; COMPUTE_PGM_RSRC2:TGID_X_EN: 1
; COMPUTE_PGM_RSRC2:TGID_Y_EN: 0
; COMPUTE_PGM_RSRC2:TGID_Z_EN: 0
; COMPUTE_PGM_RSRC2:TIDIG_COMP_CNT: 0
	.section	.text._ZN7rocprim17ROCPRIM_400000_NS6detail17trampoline_kernelINS0_14default_configENS1_25partition_config_selectorILNS1_17partition_subalgoE5EtNS0_10empty_typeEbEEZZNS1_14partition_implILS5_5ELb0ES3_mN6thrust23THRUST_200600_302600_NS6detail15normal_iteratorINSA_10device_ptrItEEEEPS6_NSA_18transform_iteratorINSB_9not_fun_tI7is_trueItEEESF_NSA_11use_defaultESM_EENS0_5tupleIJSF_S6_EEENSO_IJSG_SG_EEES6_PlJS6_EEE10hipError_tPvRmT3_T4_T5_T6_T7_T9_mT8_P12ihipStream_tbDpT10_ENKUlT_T0_E_clISt17integral_constantIbLb0EES1A_IbLb1EEEEDaS16_S17_EUlS16_E_NS1_11comp_targetILNS1_3genE10ELNS1_11target_archE1200ELNS1_3gpuE4ELNS1_3repE0EEENS1_30default_config_static_selectorELNS0_4arch9wavefront6targetE0EEEvT1_,"axG",@progbits,_ZN7rocprim17ROCPRIM_400000_NS6detail17trampoline_kernelINS0_14default_configENS1_25partition_config_selectorILNS1_17partition_subalgoE5EtNS0_10empty_typeEbEEZZNS1_14partition_implILS5_5ELb0ES3_mN6thrust23THRUST_200600_302600_NS6detail15normal_iteratorINSA_10device_ptrItEEEEPS6_NSA_18transform_iteratorINSB_9not_fun_tI7is_trueItEEESF_NSA_11use_defaultESM_EENS0_5tupleIJSF_S6_EEENSO_IJSG_SG_EEES6_PlJS6_EEE10hipError_tPvRmT3_T4_T5_T6_T7_T9_mT8_P12ihipStream_tbDpT10_ENKUlT_T0_E_clISt17integral_constantIbLb0EES1A_IbLb1EEEEDaS16_S17_EUlS16_E_NS1_11comp_targetILNS1_3genE10ELNS1_11target_archE1200ELNS1_3gpuE4ELNS1_3repE0EEENS1_30default_config_static_selectorELNS0_4arch9wavefront6targetE0EEEvT1_,comdat
	.protected	_ZN7rocprim17ROCPRIM_400000_NS6detail17trampoline_kernelINS0_14default_configENS1_25partition_config_selectorILNS1_17partition_subalgoE5EtNS0_10empty_typeEbEEZZNS1_14partition_implILS5_5ELb0ES3_mN6thrust23THRUST_200600_302600_NS6detail15normal_iteratorINSA_10device_ptrItEEEEPS6_NSA_18transform_iteratorINSB_9not_fun_tI7is_trueItEEESF_NSA_11use_defaultESM_EENS0_5tupleIJSF_S6_EEENSO_IJSG_SG_EEES6_PlJS6_EEE10hipError_tPvRmT3_T4_T5_T6_T7_T9_mT8_P12ihipStream_tbDpT10_ENKUlT_T0_E_clISt17integral_constantIbLb0EES1A_IbLb1EEEEDaS16_S17_EUlS16_E_NS1_11comp_targetILNS1_3genE10ELNS1_11target_archE1200ELNS1_3gpuE4ELNS1_3repE0EEENS1_30default_config_static_selectorELNS0_4arch9wavefront6targetE0EEEvT1_ ; -- Begin function _ZN7rocprim17ROCPRIM_400000_NS6detail17trampoline_kernelINS0_14default_configENS1_25partition_config_selectorILNS1_17partition_subalgoE5EtNS0_10empty_typeEbEEZZNS1_14partition_implILS5_5ELb0ES3_mN6thrust23THRUST_200600_302600_NS6detail15normal_iteratorINSA_10device_ptrItEEEEPS6_NSA_18transform_iteratorINSB_9not_fun_tI7is_trueItEEESF_NSA_11use_defaultESM_EENS0_5tupleIJSF_S6_EEENSO_IJSG_SG_EEES6_PlJS6_EEE10hipError_tPvRmT3_T4_T5_T6_T7_T9_mT8_P12ihipStream_tbDpT10_ENKUlT_T0_E_clISt17integral_constantIbLb0EES1A_IbLb1EEEEDaS16_S17_EUlS16_E_NS1_11comp_targetILNS1_3genE10ELNS1_11target_archE1200ELNS1_3gpuE4ELNS1_3repE0EEENS1_30default_config_static_selectorELNS0_4arch9wavefront6targetE0EEEvT1_
	.globl	_ZN7rocprim17ROCPRIM_400000_NS6detail17trampoline_kernelINS0_14default_configENS1_25partition_config_selectorILNS1_17partition_subalgoE5EtNS0_10empty_typeEbEEZZNS1_14partition_implILS5_5ELb0ES3_mN6thrust23THRUST_200600_302600_NS6detail15normal_iteratorINSA_10device_ptrItEEEEPS6_NSA_18transform_iteratorINSB_9not_fun_tI7is_trueItEEESF_NSA_11use_defaultESM_EENS0_5tupleIJSF_S6_EEENSO_IJSG_SG_EEES6_PlJS6_EEE10hipError_tPvRmT3_T4_T5_T6_T7_T9_mT8_P12ihipStream_tbDpT10_ENKUlT_T0_E_clISt17integral_constantIbLb0EES1A_IbLb1EEEEDaS16_S17_EUlS16_E_NS1_11comp_targetILNS1_3genE10ELNS1_11target_archE1200ELNS1_3gpuE4ELNS1_3repE0EEENS1_30default_config_static_selectorELNS0_4arch9wavefront6targetE0EEEvT1_
	.p2align	8
	.type	_ZN7rocprim17ROCPRIM_400000_NS6detail17trampoline_kernelINS0_14default_configENS1_25partition_config_selectorILNS1_17partition_subalgoE5EtNS0_10empty_typeEbEEZZNS1_14partition_implILS5_5ELb0ES3_mN6thrust23THRUST_200600_302600_NS6detail15normal_iteratorINSA_10device_ptrItEEEEPS6_NSA_18transform_iteratorINSB_9not_fun_tI7is_trueItEEESF_NSA_11use_defaultESM_EENS0_5tupleIJSF_S6_EEENSO_IJSG_SG_EEES6_PlJS6_EEE10hipError_tPvRmT3_T4_T5_T6_T7_T9_mT8_P12ihipStream_tbDpT10_ENKUlT_T0_E_clISt17integral_constantIbLb0EES1A_IbLb1EEEEDaS16_S17_EUlS16_E_NS1_11comp_targetILNS1_3genE10ELNS1_11target_archE1200ELNS1_3gpuE4ELNS1_3repE0EEENS1_30default_config_static_selectorELNS0_4arch9wavefront6targetE0EEEvT1_,@function
_ZN7rocprim17ROCPRIM_400000_NS6detail17trampoline_kernelINS0_14default_configENS1_25partition_config_selectorILNS1_17partition_subalgoE5EtNS0_10empty_typeEbEEZZNS1_14partition_implILS5_5ELb0ES3_mN6thrust23THRUST_200600_302600_NS6detail15normal_iteratorINSA_10device_ptrItEEEEPS6_NSA_18transform_iteratorINSB_9not_fun_tI7is_trueItEEESF_NSA_11use_defaultESM_EENS0_5tupleIJSF_S6_EEENSO_IJSG_SG_EEES6_PlJS6_EEE10hipError_tPvRmT3_T4_T5_T6_T7_T9_mT8_P12ihipStream_tbDpT10_ENKUlT_T0_E_clISt17integral_constantIbLb0EES1A_IbLb1EEEEDaS16_S17_EUlS16_E_NS1_11comp_targetILNS1_3genE10ELNS1_11target_archE1200ELNS1_3gpuE4ELNS1_3repE0EEENS1_30default_config_static_selectorELNS0_4arch9wavefront6targetE0EEEvT1_: ; @_ZN7rocprim17ROCPRIM_400000_NS6detail17trampoline_kernelINS0_14default_configENS1_25partition_config_selectorILNS1_17partition_subalgoE5EtNS0_10empty_typeEbEEZZNS1_14partition_implILS5_5ELb0ES3_mN6thrust23THRUST_200600_302600_NS6detail15normal_iteratorINSA_10device_ptrItEEEEPS6_NSA_18transform_iteratorINSB_9not_fun_tI7is_trueItEEESF_NSA_11use_defaultESM_EENS0_5tupleIJSF_S6_EEENSO_IJSG_SG_EEES6_PlJS6_EEE10hipError_tPvRmT3_T4_T5_T6_T7_T9_mT8_P12ihipStream_tbDpT10_ENKUlT_T0_E_clISt17integral_constantIbLb0EES1A_IbLb1EEEEDaS16_S17_EUlS16_E_NS1_11comp_targetILNS1_3genE10ELNS1_11target_archE1200ELNS1_3gpuE4ELNS1_3repE0EEENS1_30default_config_static_selectorELNS0_4arch9wavefront6targetE0EEEvT1_
; %bb.0:
	s_clause 0x3
	s_load_b64 s[12:13], s[0:1], 0x30
	s_load_b128 s[4:7], s[0:1], 0x48
	s_load_b64 s[18:19], s[0:1], 0x58
	s_load_b64 s[14:15], s[0:1], 0x68
	v_cmp_eq_u32_e64 s2, 0, v0
	s_and_saveexec_b32 s3, s2
	s_cbranch_execz .LBB1463_4
; %bb.1:
	s_mov_b32 s9, exec_lo
	s_mov_b32 s8, exec_lo
	v_mbcnt_lo_u32_b32 v1, s9, 0
                                        ; implicit-def: $vgpr2
	s_delay_alu instid0(VALU_DEP_1)
	v_cmpx_eq_u32_e32 0, v1
	s_cbranch_execz .LBB1463_3
; %bb.2:
	s_load_b64 s[10:11], s[0:1], 0x78
	s_bcnt1_i32_b32 s9, s9
	s_wait_alu 0xfffe
	v_dual_mov_b32 v2, 0 :: v_dual_mov_b32 v3, s9
	s_wait_kmcnt 0x0
	global_atomic_add_u32 v2, v2, v3, s[10:11] th:TH_ATOMIC_RETURN scope:SCOPE_DEV
.LBB1463_3:
	s_or_b32 exec_lo, exec_lo, s8
	s_wait_loadcnt 0x0
	v_readfirstlane_b32 s8, v2
	s_wait_alu 0xf1ff
	s_delay_alu instid0(VALU_DEP_1)
	v_dual_mov_b32 v2, 0 :: v_dual_add_nc_u32 v1, s8, v1
	ds_store_b32 v2, v1
.LBB1463_4:
	s_or_b32 exec_lo, exec_lo, s3
	v_mov_b32_e32 v1, 0
	s_clause 0x2
	s_load_b128 s[8:11], s[0:1], 0x8
	s_load_b64 s[16:17], s[0:1], 0x20
	s_load_b32 s0, s[0:1], 0x70
	s_wait_dscnt 0x0
	s_barrier_signal -1
	s_barrier_wait -1
	global_inv scope:SCOPE_SE
	ds_load_b32 v2, v1
	s_wait_loadcnt_dscnt 0x0
	s_barrier_signal -1
	s_barrier_wait -1
	global_inv scope:SCOPE_SE
	s_wait_kmcnt 0x0
	global_load_b64 v[41:42], v1, s[6:7]
	v_lshlrev_b32_e32 v9, 1, v0
	s_lshl_b64 s[6:7], s[10:11], 1
	s_delay_alu instid0(SALU_CYCLE_1)
	s_add_nc_u64 s[22:23], s[8:9], s[6:7]
	s_mul_i32 s8, s0, 0xc00
	s_mov_b32 s9, 0
	s_wait_alu 0xfffe
	s_add_co_i32 s3, s8, s10
	s_add_co_i32 s21, s0, -1
	v_readfirstlane_b32 s20, v2
	s_add_nc_u64 s[0:1], s[10:11], s[8:9]
	s_sub_co_i32 s3, s18, s3
	v_cmp_le_u64_e64 s0, s[18:19], s[0:1]
	s_addk_co_i32 s3, 0xc00
	s_cmp_eq_u32 s20, s21
	s_mul_i32 s8, s20, 0xc00
	s_cselect_b32 s18, -1, 0
	s_wait_alu 0xfffe
	s_lshl_b64 s[8:9], s[8:9], 1
	s_and_b32 s0, s0, s18
	s_mov_b32 s1, -1
	s_wait_alu 0xfffe
	s_xor_b32 s19, s0, -1
	s_add_nc_u64 s[10:11], s[22:23], s[8:9]
	s_wait_alu 0xfffe
	s_and_b32 vcc_lo, exec_lo, s19
	s_cbranch_vccz .LBB1463_6
; %bb.5:
	v_add_co_u32 v1, s0, s10, v9
	s_wait_alu 0xf1ff
	v_add_co_ci_u32_e64 v2, null, s11, 0, s0
	s_mov_b32 s1, 0
	s_clause 0xb
	flat_load_u16 v3, v[1:2]
	flat_load_u16 v4, v[1:2] offset:512
	flat_load_u16 v5, v[1:2] offset:1024
	;; [unrolled: 1-line block ×11, first 2 shown]
	s_wait_loadcnt_dscnt 0xb0b
	ds_store_b16 v9, v3
	s_wait_loadcnt_dscnt 0xa0b
	ds_store_b16 v9, v4 offset:512
	s_wait_loadcnt_dscnt 0x90b
	ds_store_b16 v9, v5 offset:1024
	;; [unrolled: 2-line block ×11, first 2 shown]
	s_wait_dscnt 0x0
	s_barrier_signal -1
	s_barrier_wait -1
.LBB1463_6:
	v_cmp_gt_u32_e64 s0, s3, v0
	s_wait_alu 0xfffe
	s_and_not1_b32 vcc_lo, exec_lo, s1
	s_cbranch_vccnz .LBB1463_32
; %bb.7:
	v_mov_b32_e32 v1, 0
	s_delay_alu instid0(VALU_DEP_1)
	v_dual_mov_b32 v2, v1 :: v_dual_mov_b32 v3, v1
	v_dual_mov_b32 v4, v1 :: v_dual_mov_b32 v5, v1
	v_mov_b32_e32 v6, v1
	s_and_saveexec_b32 s1, s0
	s_cbranch_execz .LBB1463_9
; %bb.8:
	v_add_co_u32 v3, s0, s10, v9
	s_wait_alu 0xf1ff
	v_add_co_ci_u32_e64 v4, null, s11, 0, s0
	v_mov_b32_e32 v2, v1
	v_dual_mov_b32 v6, v1 :: v_dual_mov_b32 v7, v1
	v_mov_b32_e32 v5, v1
	flat_load_d16_b16 v2, v[3:4]
	v_dual_mov_b32 v3, v1 :: v_dual_mov_b32 v4, v1
	s_wait_loadcnt_dscnt 0x0
	v_mov_b32_e32 v1, v2
	s_delay_alu instid0(VALU_DEP_2) | instskip(NEXT) | instid1(VALU_DEP_3)
	v_mov_b32_e32 v2, v3
	v_mov_b32_e32 v3, v4
	;; [unrolled: 1-line block ×7, first 2 shown]
.LBB1463_9:
	s_wait_alu 0xfffe
	s_or_b32 exec_lo, exec_lo, s1
	v_or_b32_e32 v7, 0x100, v0
	s_mov_b32 s0, exec_lo
	s_delay_alu instid0(VALU_DEP_1)
	v_cmpx_gt_u32_e64 s3, v7
	s_cbranch_execz .LBB1463_11
; %bb.10:
	v_add_co_u32 v7, s1, s10, v9
	s_wait_alu 0xf1ff
	v_add_co_ci_u32_e64 v8, null, s11, 0, s1
	flat_load_d16_hi_b16 v1, v[7:8] offset:512
.LBB1463_11:
	s_wait_alu 0xfffe
	s_or_b32 exec_lo, exec_lo, s0
	v_or_b32_e32 v7, 0x200, v0
	s_mov_b32 s0, exec_lo
	s_delay_alu instid0(VALU_DEP_1)
	v_cmpx_gt_u32_e64 s3, v7
	s_cbranch_execz .LBB1463_13
; %bb.12:
	v_add_co_u32 v7, s1, s10, v9
	s_wait_alu 0xf1ff
	v_add_co_ci_u32_e64 v8, null, s11, 0, s1
	flat_load_d16_b16 v2, v[7:8] offset:1024
.LBB1463_13:
	s_wait_alu 0xfffe
	s_or_b32 exec_lo, exec_lo, s0
	v_or_b32_e32 v7, 0x300, v0
	s_mov_b32 s0, exec_lo
	s_delay_alu instid0(VALU_DEP_1)
	v_cmpx_gt_u32_e64 s3, v7
	s_cbranch_execz .LBB1463_15
; %bb.14:
	v_add_co_u32 v7, s1, s10, v9
	s_wait_alu 0xf1ff
	v_add_co_ci_u32_e64 v8, null, s11, 0, s1
	s_wait_loadcnt_dscnt 0x0
	flat_load_d16_hi_b16 v2, v[7:8] offset:1536
.LBB1463_15:
	s_wait_alu 0xfffe
	s_or_b32 exec_lo, exec_lo, s0
	v_or_b32_e32 v7, 0x400, v0
	s_mov_b32 s0, exec_lo
	s_delay_alu instid0(VALU_DEP_1)
	v_cmpx_gt_u32_e64 s3, v7
	s_cbranch_execz .LBB1463_17
; %bb.16:
	v_add_co_u32 v7, s1, s10, v9
	s_wait_alu 0xf1ff
	v_add_co_ci_u32_e64 v8, null, s11, 0, s1
	flat_load_d16_b16 v3, v[7:8] offset:2048
.LBB1463_17:
	s_wait_alu 0xfffe
	s_or_b32 exec_lo, exec_lo, s0
	v_or_b32_e32 v7, 0x500, v0
	s_mov_b32 s0, exec_lo
	s_delay_alu instid0(VALU_DEP_1)
	v_cmpx_gt_u32_e64 s3, v7
	s_cbranch_execz .LBB1463_19
; %bb.18:
	v_add_co_u32 v7, s1, s10, v9
	s_wait_alu 0xf1ff
	v_add_co_ci_u32_e64 v8, null, s11, 0, s1
	s_wait_loadcnt_dscnt 0x0
	flat_load_d16_hi_b16 v3, v[7:8] offset:2560
.LBB1463_19:
	;; [unrolled: 27-line block ×5, first 2 shown]
	s_wait_alu 0xfffe
	s_or_b32 exec_lo, exec_lo, s0
	s_wait_loadcnt_dscnt 0x0
	ds_store_b16 v9, v1
	ds_store_b16_d16_hi v9, v1 offset:512
	ds_store_b16 v9, v2 offset:1024
	ds_store_b16_d16_hi v9, v2 offset:1536
	ds_store_b16 v9, v3 offset:2048
	;; [unrolled: 2-line block ×5, first 2 shown]
	ds_store_b16_d16_hi v9, v6 offset:5632
	s_wait_dscnt 0x0
	s_barrier_signal -1
	s_barrier_wait -1
.LBB1463_32:
	v_mul_u32_u24_e32 v53, 12, v0
	s_wait_loadcnt 0x0
	global_inv scope:SCOPE_SE
	s_add_nc_u64 s[0:1], s[16:17], s[6:7]
	s_and_b32 vcc_lo, exec_lo, s19
	s_wait_alu 0xfffe
	s_add_nc_u64 s[0:1], s[0:1], s[8:9]
	v_lshlrev_b32_e32 v1, 1, v53
	s_mov_b32 s6, -1
	ds_load_2addr_b64 v[33:36], v1 offset1:1
	ds_load_b64 v[43:44], v1 offset:16
	s_wait_loadcnt_dscnt 0x0
	s_barrier_signal -1
	s_barrier_wait -1
	global_inv scope:SCOPE_SE
	s_cbranch_vccz .LBB1463_34
; %bb.33:
	s_clause 0xb
	global_load_u16 v1, v9, s[0:1]
	global_load_u16 v2, v9, s[0:1] offset:512
	global_load_u16 v3, v9, s[0:1] offset:1024
	;; [unrolled: 1-line block ×11, first 2 shown]
	s_mov_b32 s6, 0
	s_wait_loadcnt 0xb
	v_cmp_eq_u16_e32 vcc_lo, 0, v1
	v_cndmask_b32_e64 v1, 0, 1, vcc_lo
	s_wait_loadcnt 0xa
	v_cmp_eq_u16_e32 vcc_lo, 0, v2
	s_wait_alu 0xfffd
	v_cndmask_b32_e64 v2, 0, 1, vcc_lo
	s_wait_loadcnt 0x9
	v_cmp_eq_u16_e32 vcc_lo, 0, v3
	s_wait_alu 0xfffd
	;; [unrolled: 4-line block ×11, first 2 shown]
	v_cndmask_b32_e64 v13, 0, 1, vcc_lo
	ds_store_b8 v0, v1
	ds_store_b8 v0, v2 offset:256
	ds_store_b8 v0, v3 offset:512
	;; [unrolled: 1-line block ×11, first 2 shown]
	s_wait_dscnt 0x0
	s_barrier_signal -1
	s_barrier_wait -1
.LBB1463_34:
	s_and_not1_b32 vcc_lo, exec_lo, s6
	s_wait_alu 0xfffe
	s_cbranch_vccnz .LBB1463_60
; %bb.35:
	v_mov_b32_e32 v3, 0
	s_mov_b32 s6, exec_lo
	s_delay_alu instid0(VALU_DEP_1)
	v_dual_mov_b32 v1, v3 :: v_dual_mov_b32 v2, v3
	v_mov_b32_e32 v4, v3
	v_cmpx_gt_u32_e64 s3, v0
	s_cbranch_execz .LBB1463_37
; %bb.36:
	global_load_u16 v1, v9, s[0:1]
	s_wait_loadcnt 0x0
	v_cmp_eq_u16_e32 vcc_lo, 0, v1
	v_mov_b32_e32 v1, 0
	s_wait_alu 0xfffd
	v_cndmask_b32_e64 v4, 0, 1, vcc_lo
	s_delay_alu instid0(VALU_DEP_1)
	v_dual_mov_b32 v2, v1 :: v_dual_and_b32 v3, 0xffff, v4
.LBB1463_37:
	s_or_b32 exec_lo, exec_lo, s6
	v_or_b32_e32 v5, 0x100, v0
	s_mov_b32 s6, exec_lo
	s_delay_alu instid0(VALU_DEP_1)
	v_cmpx_gt_u32_e64 s3, v5
	s_cbranch_execz .LBB1463_39
; %bb.38:
	global_load_u16 v5, v9, s[0:1] offset:512
	v_and_b32_e32 v6, 0xff, v3
	s_wait_loadcnt 0x0
	v_cmp_eq_u16_e32 vcc_lo, 0, v5
	s_wait_alu 0xfffd
	v_cndmask_b32_e64 v5, 0, 1, vcc_lo
	s_delay_alu instid0(VALU_DEP_1) | instskip(NEXT) | instid1(VALU_DEP_1)
	v_lshlrev_b16 v5, 8, v5
	v_or_b32_e32 v5, v6, v5
	s_delay_alu instid0(VALU_DEP_1) | instskip(NEXT) | instid1(VALU_DEP_1)
	v_and_b32_e32 v5, 0xffff, v5
	v_and_or_b32 v3, 0xffff0000, v3, v5
.LBB1463_39:
	s_or_b32 exec_lo, exec_lo, s6
	v_or_b32_e32 v5, 0x200, v0
	s_mov_b32 s6, exec_lo
	s_delay_alu instid0(VALU_DEP_1)
	v_cmpx_gt_u32_e64 s3, v5
	s_cbranch_execz .LBB1463_41
; %bb.40:
	global_load_u16 v5, v9, s[0:1] offset:1024
	v_lshrrev_b32_e32 v6, 16, v3
	s_delay_alu instid0(VALU_DEP_1) | instskip(SKIP_4) | instid1(VALU_DEP_1)
	v_and_b32_e32 v6, 0xffffff00, v6
	s_wait_loadcnt 0x0
	v_cmp_eq_u16_e32 vcc_lo, 0, v5
	s_wait_alu 0xfffd
	v_cndmask_b32_e64 v5, 0, 1, vcc_lo
	v_or_b32_e32 v5, v5, v6
	s_delay_alu instid0(VALU_DEP_1) | instskip(NEXT) | instid1(VALU_DEP_1)
	v_lshlrev_b32_e32 v5, 16, v5
	v_and_or_b32 v3, 0xffff, v3, v5
.LBB1463_41:
	s_or_b32 exec_lo, exec_lo, s6
	v_or_b32_e32 v5, 0x300, v0
	s_mov_b32 s6, exec_lo
	s_delay_alu instid0(VALU_DEP_1)
	v_cmpx_gt_u32_e64 s3, v5
	s_cbranch_execz .LBB1463_43
; %bb.42:
	global_load_u16 v5, v9, s[0:1] offset:1536
	v_lshrrev_b32_e32 v6, 16, v3
	s_delay_alu instid0(VALU_DEP_1) | instskip(SKIP_4) | instid1(VALU_DEP_1)
	v_and_b32_e32 v6, 0xff, v6
	s_wait_loadcnt 0x0
	v_cmp_eq_u16_e32 vcc_lo, 0, v5
	s_wait_alu 0xfffd
	v_cndmask_b32_e64 v5, 0, 1, vcc_lo
	v_lshlrev_b16 v5, 8, v5
	s_delay_alu instid0(VALU_DEP_1) | instskip(NEXT) | instid1(VALU_DEP_1)
	v_or_b32_e32 v5, v6, v5
	v_lshlrev_b32_e32 v5, 16, v5
	s_delay_alu instid0(VALU_DEP_1)
	v_and_or_b32 v3, 0xffff, v3, v5
.LBB1463_43:
	s_or_b32 exec_lo, exec_lo, s6
	v_or_b32_e32 v5, 0x400, v0
	s_mov_b32 s6, exec_lo
	s_delay_alu instid0(VALU_DEP_1)
	v_cmpx_gt_u32_e64 s3, v5
	s_cbranch_execz .LBB1463_45
; %bb.44:
	global_load_u16 v5, v9, s[0:1] offset:2048
	v_and_b32_e32 v6, 0xffffff00, v1
	s_wait_loadcnt 0x0
	v_cmp_eq_u16_e32 vcc_lo, 0, v5
	s_wait_alu 0xfffd
	v_cndmask_b32_e64 v5, 0, 1, vcc_lo
	s_delay_alu instid0(VALU_DEP_1) | instskip(NEXT) | instid1(VALU_DEP_1)
	v_or_b32_e32 v5, v5, v6
	v_and_b32_e32 v5, 0xffff, v5
	s_delay_alu instid0(VALU_DEP_1)
	v_and_or_b32 v1, 0xffff0000, v1, v5
.LBB1463_45:
	s_or_b32 exec_lo, exec_lo, s6
	v_or_b32_e32 v5, 0x500, v0
	s_mov_b32 s6, exec_lo
	s_delay_alu instid0(VALU_DEP_1)
	v_cmpx_gt_u32_e64 s3, v5
	s_cbranch_execz .LBB1463_47
; %bb.46:
	global_load_u16 v5, v9, s[0:1] offset:2560
	v_and_b32_e32 v6, 0xff, v1
	s_wait_loadcnt 0x0
	v_cmp_eq_u16_e32 vcc_lo, 0, v5
	s_wait_alu 0xfffd
	v_cndmask_b32_e64 v5, 0, 1, vcc_lo
	s_delay_alu instid0(VALU_DEP_1) | instskip(NEXT) | instid1(VALU_DEP_1)
	v_lshlrev_b16 v5, 8, v5
	v_or_b32_e32 v5, v6, v5
	s_delay_alu instid0(VALU_DEP_1) | instskip(NEXT) | instid1(VALU_DEP_1)
	v_and_b32_e32 v5, 0xffff, v5
	v_and_or_b32 v1, 0xffff0000, v1, v5
.LBB1463_47:
	s_or_b32 exec_lo, exec_lo, s6
	v_or_b32_e32 v5, 0x600, v0
	s_mov_b32 s6, exec_lo
	s_delay_alu instid0(VALU_DEP_1)
	v_cmpx_gt_u32_e64 s3, v5
	s_cbranch_execz .LBB1463_49
; %bb.48:
	global_load_u16 v5, v9, s[0:1] offset:3072
	v_lshrrev_b32_e32 v6, 16, v1
	s_delay_alu instid0(VALU_DEP_1) | instskip(SKIP_4) | instid1(VALU_DEP_1)
	v_and_b32_e32 v6, 0xffffff00, v6
	s_wait_loadcnt 0x0
	v_cmp_eq_u16_e32 vcc_lo, 0, v5
	s_wait_alu 0xfffd
	v_cndmask_b32_e64 v5, 0, 1, vcc_lo
	v_or_b32_e32 v5, v5, v6
	s_delay_alu instid0(VALU_DEP_1) | instskip(NEXT) | instid1(VALU_DEP_1)
	v_lshlrev_b32_e32 v5, 16, v5
	v_and_or_b32 v1, 0xffff, v1, v5
.LBB1463_49:
	s_or_b32 exec_lo, exec_lo, s6
	v_or_b32_e32 v5, 0x700, v0
	s_mov_b32 s6, exec_lo
	s_delay_alu instid0(VALU_DEP_1)
	v_cmpx_gt_u32_e64 s3, v5
	s_cbranch_execz .LBB1463_51
; %bb.50:
	global_load_u16 v5, v9, s[0:1] offset:3584
	v_lshrrev_b32_e32 v6, 16, v1
	s_delay_alu instid0(VALU_DEP_1) | instskip(SKIP_4) | instid1(VALU_DEP_1)
	v_and_b32_e32 v6, 0xff, v6
	s_wait_loadcnt 0x0
	v_cmp_eq_u16_e32 vcc_lo, 0, v5
	s_wait_alu 0xfffd
	v_cndmask_b32_e64 v5, 0, 1, vcc_lo
	v_lshlrev_b16 v5, 8, v5
	s_delay_alu instid0(VALU_DEP_1) | instskip(NEXT) | instid1(VALU_DEP_1)
	v_or_b32_e32 v5, v6, v5
	v_lshlrev_b32_e32 v5, 16, v5
	s_delay_alu instid0(VALU_DEP_1)
	v_and_or_b32 v1, 0xffff, v1, v5
.LBB1463_51:
	s_or_b32 exec_lo, exec_lo, s6
	v_or_b32_e32 v5, 0x800, v0
	s_mov_b32 s6, exec_lo
	s_delay_alu instid0(VALU_DEP_1)
	v_cmpx_gt_u32_e64 s3, v5
	s_cbranch_execz .LBB1463_53
; %bb.52:
	global_load_u16 v5, v9, s[0:1] offset:4096
	v_and_b32_e32 v6, 0xffffff00, v2
	s_wait_loadcnt 0x0
	v_cmp_eq_u16_e32 vcc_lo, 0, v5
	s_wait_alu 0xfffd
	v_cndmask_b32_e64 v5, 0, 1, vcc_lo
	s_delay_alu instid0(VALU_DEP_1) | instskip(NEXT) | instid1(VALU_DEP_1)
	v_or_b32_e32 v5, v5, v6
	v_and_b32_e32 v5, 0xffff, v5
	s_delay_alu instid0(VALU_DEP_1)
	v_and_or_b32 v2, 0xffff0000, v2, v5
.LBB1463_53:
	s_or_b32 exec_lo, exec_lo, s6
	v_or_b32_e32 v5, 0x900, v0
	s_mov_b32 s6, exec_lo
	s_delay_alu instid0(VALU_DEP_1)
	v_cmpx_gt_u32_e64 s3, v5
	s_cbranch_execz .LBB1463_55
; %bb.54:
	global_load_u16 v5, v9, s[0:1] offset:4608
	v_and_b32_e32 v6, 0xff, v2
	s_wait_loadcnt 0x0
	v_cmp_eq_u16_e32 vcc_lo, 0, v5
	s_wait_alu 0xfffd
	v_cndmask_b32_e64 v5, 0, 1, vcc_lo
	s_delay_alu instid0(VALU_DEP_1) | instskip(NEXT) | instid1(VALU_DEP_1)
	v_lshlrev_b16 v5, 8, v5
	v_or_b32_e32 v5, v6, v5
	s_delay_alu instid0(VALU_DEP_1) | instskip(NEXT) | instid1(VALU_DEP_1)
	v_and_b32_e32 v5, 0xffff, v5
	v_and_or_b32 v2, 0xffff0000, v2, v5
.LBB1463_55:
	s_or_b32 exec_lo, exec_lo, s6
	v_or_b32_e32 v5, 0xa00, v0
	s_mov_b32 s6, exec_lo
	s_delay_alu instid0(VALU_DEP_1)
	v_cmpx_gt_u32_e64 s3, v5
	s_cbranch_execz .LBB1463_57
; %bb.56:
	global_load_u16 v5, v9, s[0:1] offset:5120
	v_lshrrev_b32_e32 v6, 16, v2
	s_delay_alu instid0(VALU_DEP_1) | instskip(SKIP_4) | instid1(VALU_DEP_1)
	v_and_b32_e32 v6, 0xffffff00, v6
	s_wait_loadcnt 0x0
	v_cmp_eq_u16_e32 vcc_lo, 0, v5
	s_wait_alu 0xfffd
	v_cndmask_b32_e64 v5, 0, 1, vcc_lo
	v_or_b32_e32 v5, v5, v6
	s_delay_alu instid0(VALU_DEP_1) | instskip(NEXT) | instid1(VALU_DEP_1)
	v_lshlrev_b32_e32 v5, 16, v5
	v_and_or_b32 v2, 0xffff, v2, v5
.LBB1463_57:
	s_or_b32 exec_lo, exec_lo, s6
	v_or_b32_e32 v5, 0xb00, v0
	s_delay_alu instid0(VALU_DEP_1)
	v_cmp_gt_u32_e32 vcc_lo, s3, v5
	s_and_saveexec_b32 s3, vcc_lo
	s_cbranch_execz .LBB1463_59
; %bb.58:
	global_load_u16 v5, v9, s[0:1] offset:5632
	v_lshrrev_b32_e32 v6, 16, v2
	s_delay_alu instid0(VALU_DEP_1) | instskip(SKIP_4) | instid1(VALU_DEP_1)
	v_and_b32_e32 v6, 0xff, v6
	s_wait_loadcnt 0x0
	v_cmp_eq_u16_e32 vcc_lo, 0, v5
	s_wait_alu 0xfffd
	v_cndmask_b32_e64 v5, 0, 1, vcc_lo
	v_lshlrev_b16 v5, 8, v5
	s_delay_alu instid0(VALU_DEP_1) | instskip(NEXT) | instid1(VALU_DEP_1)
	v_or_b32_e32 v5, v6, v5
	v_lshlrev_b32_e32 v5, 16, v5
	s_delay_alu instid0(VALU_DEP_1)
	v_and_or_b32 v2, 0xffff, v2, v5
.LBB1463_59:
	s_wait_alu 0xfffe
	s_or_b32 exec_lo, exec_lo, s3
	v_lshrrev_b32_e32 v5, 8, v3
	v_lshrrev_b32_e32 v6, 24, v3
	;; [unrolled: 1-line block ×6, first 2 shown]
	ds_store_b8 v0, v4
	ds_store_b8 v0, v5 offset:256
	ds_store_b8_d16_hi v0, v3 offset:512
	ds_store_b8 v0, v6 offset:768
	ds_store_b8 v0, v1 offset:1024
	;; [unrolled: 1-line block ×3, first 2 shown]
	ds_store_b8_d16_hi v0, v1 offset:1536
	ds_store_b8 v0, v8 offset:1792
	ds_store_b8 v0, v2 offset:2048
	;; [unrolled: 1-line block ×3, first 2 shown]
	ds_store_b8_d16_hi v0, v2 offset:2560
	ds_store_b8 v0, v10 offset:2816
	s_wait_loadcnt_dscnt 0x0
	s_barrier_signal -1
	s_barrier_wait -1
.LBB1463_60:
	s_wait_loadcnt 0x0
	global_inv scope:SCOPE_SE
	ds_load_2addr_b32 v[45:46], v53 offset1:1
	ds_load_b32 v49, v53 offset:8
	v_mbcnt_lo_u32_b32 v63, -1, 0
	s_cmp_lg_u32 s20, 0
	s_mov_b32 s1, -1
	s_wait_loadcnt_dscnt 0x0
	s_barrier_signal -1
	v_and_b32_e32 v64, 15, v63
	s_barrier_wait -1
	global_inv scope:SCOPE_SE
	v_dual_mov_b32 v2, 0 :: v_dual_and_b32 v55, 0xff, v45
	v_bfe_u32 v56, v45, 8, 8
	v_bfe_u32 v54, v45, 16, 8
	v_lshrrev_b32_e32 v52, 24, v45
	v_and_b32_e32 v58, 0xff, v46
	v_bfe_u32 v59, v46, 8, 8
	v_bfe_u32 v60, v46, 16, 8
	v_add3_u32 v1, v56, v55, v54
	v_lshrrev_b32_e32 v51, 24, v46
	v_and_b32_e32 v61, 0xff, v49
	v_bfe_u32 v62, v49, 8, 8
	v_bfe_u32 v57, v49, 16, 8
	v_add_co_u32 v1, s0, v1, v52
	s_wait_alu 0xf1ff
	v_add_co_ci_u32_e64 v3, null, 0, 0, s0
	v_lshrrev_b32_e32 v50, 24, v49
	s_delay_alu instid0(VALU_DEP_3) | instskip(SKIP_1) | instid1(VALU_DEP_3)
	v_add_co_u32 v1, vcc_lo, v1, v58
	s_wait_alu 0xfffd
	v_add_co_ci_u32_e64 v3, null, 0, v3, vcc_lo
	v_cmp_ne_u32_e64 s0, 0, v64
	s_delay_alu instid0(VALU_DEP_3) | instskip(SKIP_1) | instid1(VALU_DEP_3)
	v_add_co_u32 v1, vcc_lo, v1, v59
	s_wait_alu 0xfffd
	v_add_co_ci_u32_e64 v3, null, 0, v3, vcc_lo
	s_delay_alu instid0(VALU_DEP_2) | instskip(SKIP_1) | instid1(VALU_DEP_2)
	v_add_co_u32 v1, vcc_lo, v1, v60
	s_wait_alu 0xfffd
	v_add_co_ci_u32_e64 v3, null, 0, v3, vcc_lo
	s_delay_alu instid0(VALU_DEP_2) | instskip(SKIP_1) | instid1(VALU_DEP_2)
	;; [unrolled: 4-line block ×6, first 2 shown]
	v_add_co_u32 v47, vcc_lo, v1, v50
	s_wait_alu 0xfffd
	v_add_co_ci_u32_e64 v48, null, 0, v3, vcc_lo
	s_cbranch_scc0 .LBB1463_117
; %bb.61:
	v_mov_b32_e32 v3, v47
	v_mov_b32_dpp v1, v47 row_shr:1 row_mask:0xf bank_mask:0xf
	v_mov_b32_dpp v6, v2 row_shr:1 row_mask:0xf bank_mask:0xf
	v_dual_mov_b32 v5, v47 :: v_dual_mov_b32 v4, v48
	s_and_saveexec_b32 s1, s0
; %bb.62:
	s_delay_alu instid0(VALU_DEP_3) | instskip(SKIP_2) | instid1(VALU_DEP_2)
	v_add_co_u32 v5, vcc_lo, v47, v1
	s_wait_alu 0xfffd
	v_add_co_ci_u32_e64 v2, null, 0, v48, vcc_lo
	v_add_co_u32 v1, vcc_lo, 0, v5
	s_wait_alu 0xfffd
	s_delay_alu instid0(VALU_DEP_2) | instskip(NEXT) | instid1(VALU_DEP_1)
	v_add_co_ci_u32_e64 v2, null, v6, v2, vcc_lo
	v_dual_mov_b32 v4, v2 :: v_dual_mov_b32 v3, v1
; %bb.63:
	s_wait_alu 0xfffe
	s_or_b32 exec_lo, exec_lo, s1
	v_mov_b32_dpp v1, v5 row_shr:2 row_mask:0xf bank_mask:0xf
	v_mov_b32_dpp v6, v2 row_shr:2 row_mask:0xf bank_mask:0xf
	s_mov_b32 s1, exec_lo
	v_cmpx_lt_u32_e32 1, v64
; %bb.64:
	s_delay_alu instid0(VALU_DEP_3) | instskip(SKIP_2) | instid1(VALU_DEP_2)
	v_add_co_u32 v5, vcc_lo, v3, v1
	s_wait_alu 0xfffd
	v_add_co_ci_u32_e64 v2, null, 0, v4, vcc_lo
	v_add_co_u32 v1, vcc_lo, 0, v5
	s_wait_alu 0xfffd
	s_delay_alu instid0(VALU_DEP_2) | instskip(NEXT) | instid1(VALU_DEP_1)
	v_add_co_ci_u32_e64 v2, null, v6, v2, vcc_lo
	v_dual_mov_b32 v4, v2 :: v_dual_mov_b32 v3, v1
; %bb.65:
	s_wait_alu 0xfffe
	s_or_b32 exec_lo, exec_lo, s1
	v_mov_b32_dpp v1, v5 row_shr:4 row_mask:0xf bank_mask:0xf
	v_mov_b32_dpp v6, v2 row_shr:4 row_mask:0xf bank_mask:0xf
	s_mov_b32 s1, exec_lo
	v_cmpx_lt_u32_e32 3, v64
	;; [unrolled: 17-line block ×3, first 2 shown]
; %bb.68:
	s_delay_alu instid0(VALU_DEP_3) | instskip(SKIP_2) | instid1(VALU_DEP_2)
	v_add_co_u32 v5, vcc_lo, v3, v6
	s_wait_alu 0xfffd
	v_add_co_ci_u32_e64 v2, null, 0, v4, vcc_lo
	v_add_co_u32 v3, vcc_lo, 0, v5
	s_wait_alu 0xfffd
	s_delay_alu instid0(VALU_DEP_2) | instskip(NEXT) | instid1(VALU_DEP_1)
	v_add_co_ci_u32_e64 v4, null, v1, v2, vcc_lo
	v_mov_b32_e32 v2, v4
; %bb.69:
	s_wait_alu 0xfffe
	s_or_b32 exec_lo, exec_lo, s1
	ds_swizzle_b32 v1, v5 offset:swizzle(BROADCAST,32,15)
	ds_swizzle_b32 v6, v2 offset:swizzle(BROADCAST,32,15)
	v_and_b32_e32 v7, 16, v63
	s_mov_b32 s1, exec_lo
	s_delay_alu instid0(VALU_DEP_1)
	v_cmpx_ne_u32_e32 0, v7
	s_cbranch_execz .LBB1463_71
; %bb.70:
	s_wait_dscnt 0x1
	v_add_co_u32 v5, vcc_lo, v3, v1
	s_wait_alu 0xfffd
	v_add_co_ci_u32_e64 v2, null, 0, v4, vcc_lo
	s_delay_alu instid0(VALU_DEP_2) | instskip(SKIP_2) | instid1(VALU_DEP_2)
	v_add_co_u32 v1, vcc_lo, 0, v5
	s_wait_dscnt 0x0
	s_wait_alu 0xfffd
	v_add_co_ci_u32_e64 v2, null, v6, v2, vcc_lo
	s_delay_alu instid0(VALU_DEP_1)
	v_dual_mov_b32 v4, v2 :: v_dual_mov_b32 v3, v1
.LBB1463_71:
	s_wait_alu 0xfffe
	s_or_b32 exec_lo, exec_lo, s1
	s_wait_dscnt 0x0
	v_or_b32_e32 v6, 31, v0
	v_lshrrev_b32_e32 v1, 5, v0
	s_mov_b32 s1, exec_lo
	s_delay_alu instid0(VALU_DEP_2)
	v_cmpx_eq_u32_e64 v0, v6
; %bb.72:
	s_delay_alu instid0(VALU_DEP_2)
	v_lshlrev_b32_e32 v6, 3, v1
	ds_store_b64 v6, v[3:4]
; %bb.73:
	s_wait_alu 0xfffe
	s_or_b32 exec_lo, exec_lo, s1
	s_delay_alu instid0(SALU_CYCLE_1)
	s_mov_b32 s1, exec_lo
	s_wait_loadcnt_dscnt 0x0
	s_barrier_signal -1
	s_barrier_wait -1
	global_inv scope:SCOPE_SE
	v_cmpx_gt_u32_e32 8, v0
	s_cbranch_execz .LBB1463_81
; %bb.74:
	v_lshlrev_b32_e32 v6, 3, v0
	s_mov_b32 s3, exec_lo
	ds_load_b64 v[3:4], v6
	s_wait_dscnt 0x0
	v_dual_mov_b32 v8, v3 :: v_dual_and_b32 v7, 7, v63
	v_mov_b32_dpp v10, v3 row_shr:1 row_mask:0xf bank_mask:0xf
	v_mov_b32_dpp v9, v4 row_shr:1 row_mask:0xf bank_mask:0xf
	s_delay_alu instid0(VALU_DEP_3)
	v_cmpx_ne_u32_e32 0, v7
; %bb.75:
	s_delay_alu instid0(VALU_DEP_3) | instskip(SKIP_2) | instid1(VALU_DEP_2)
	v_add_co_u32 v8, vcc_lo, v3, v10
	s_wait_alu 0xfffd
	v_add_co_ci_u32_e64 v4, null, 0, v4, vcc_lo
	v_add_co_u32 v3, vcc_lo, 0, v8
	s_wait_alu 0xfffd
	s_delay_alu instid0(VALU_DEP_2)
	v_add_co_ci_u32_e64 v4, null, v9, v4, vcc_lo
; %bb.76:
	s_wait_alu 0xfffe
	s_or_b32 exec_lo, exec_lo, s3
	v_mov_b32_dpp v10, v8 row_shr:2 row_mask:0xf bank_mask:0xf
	s_delay_alu instid0(VALU_DEP_2)
	v_mov_b32_dpp v9, v4 row_shr:2 row_mask:0xf bank_mask:0xf
	s_mov_b32 s3, exec_lo
	v_cmpx_lt_u32_e32 1, v7
; %bb.77:
	s_delay_alu instid0(VALU_DEP_3) | instskip(SKIP_2) | instid1(VALU_DEP_2)
	v_add_co_u32 v8, vcc_lo, v3, v10
	s_wait_alu 0xfffd
	v_add_co_ci_u32_e64 v4, null, 0, v4, vcc_lo
	v_add_co_u32 v3, vcc_lo, 0, v8
	s_wait_alu 0xfffd
	s_delay_alu instid0(VALU_DEP_2)
	v_add_co_ci_u32_e64 v4, null, v9, v4, vcc_lo
; %bb.78:
	s_wait_alu 0xfffe
	s_or_b32 exec_lo, exec_lo, s3
	v_mov_b32_dpp v9, v8 row_shr:4 row_mask:0xf bank_mask:0xf
	s_delay_alu instid0(VALU_DEP_2)
	v_mov_b32_dpp v8, v4 row_shr:4 row_mask:0xf bank_mask:0xf
	s_mov_b32 s3, exec_lo
	v_cmpx_lt_u32_e32 3, v7
; %bb.79:
	s_delay_alu instid0(VALU_DEP_3) | instskip(SKIP_2) | instid1(VALU_DEP_2)
	v_add_co_u32 v3, vcc_lo, v3, v9
	s_wait_alu 0xfffd
	v_add_co_ci_u32_e64 v4, null, 0, v4, vcc_lo
	v_add_co_u32 v3, vcc_lo, v3, 0
	s_wait_alu 0xfffd
	s_delay_alu instid0(VALU_DEP_2)
	v_add_co_ci_u32_e64 v4, null, v4, v8, vcc_lo
; %bb.80:
	s_wait_alu 0xfffe
	s_or_b32 exec_lo, exec_lo, s3
	ds_store_b64 v6, v[3:4]
.LBB1463_81:
	s_wait_alu 0xfffe
	s_or_b32 exec_lo, exec_lo, s1
	s_delay_alu instid0(SALU_CYCLE_1)
	s_mov_b32 s3, exec_lo
	v_cmp_gt_u32_e32 vcc_lo, 32, v0
	s_wait_loadcnt_dscnt 0x0
	s_barrier_signal -1
	s_barrier_wait -1
	global_inv scope:SCOPE_SE
                                        ; implicit-def: $vgpr9_vgpr10
	v_cmpx_lt_u32_e32 31, v0
	s_cbranch_execz .LBB1463_83
; %bb.82:
	v_lshl_add_u32 v1, v1, 3, -8
	ds_load_b64 v[9:10], v1
	s_wait_dscnt 0x0
	v_add_co_u32 v5, s1, v5, v9
	s_wait_alu 0xf1ff
	v_add_co_ci_u32_e64 v2, null, v2, v10, s1
.LBB1463_83:
	s_wait_alu 0xfffe
	s_or_b32 exec_lo, exec_lo, s3
	v_sub_co_u32 v1, s1, v63, 1
	s_delay_alu instid0(VALU_DEP_1) | instskip(SKIP_1) | instid1(VALU_DEP_1)
	v_cmp_gt_i32_e64 s3, 0, v1
	s_wait_alu 0xf1ff
	v_cndmask_b32_e64 v1, v1, v63, s3
	s_delay_alu instid0(VALU_DEP_1)
	v_lshlrev_b32_e32 v1, 2, v1
	ds_bpermute_b32 v15, v1, v5
	ds_bpermute_b32 v16, v1, v2
	s_and_saveexec_b32 s3, vcc_lo
	s_cbranch_execz .LBB1463_122
; %bb.84:
	v_mov_b32_e32 v4, 0
	ds_load_b64 v[1:2], v4 offset:56
	s_and_saveexec_b32 s6, s1
	s_cbranch_execz .LBB1463_86
; %bb.85:
	s_add_co_i32 s8, s20, 32
	s_mov_b32 s9, 0
	s_wait_alu 0xfffe
	s_lshl_b64 s[8:9], s[8:9], 4
	s_wait_alu 0xfffe
	s_add_nc_u64 s[8:9], s[14:15], s[8:9]
	v_mov_b32_e32 v3, 1
	s_wait_alu 0xfffe
	v_dual_mov_b32 v5, s8 :: v_dual_mov_b32 v6, s9
	s_wait_dscnt 0x0
	;;#ASMSTART
	global_store_b128 v[5:6], v[1:4] off scope:SCOPE_DEV	
s_wait_storecnt 0x0
	;;#ASMEND
.LBB1463_86:
	s_or_b32 exec_lo, exec_lo, s6
	v_xad_u32 v11, v63, -1, s20
	s_mov_b32 s7, 0
	s_mov_b32 s6, exec_lo
	s_delay_alu instid0(VALU_DEP_1) | instskip(NEXT) | instid1(VALU_DEP_1)
	v_add_nc_u32_e32 v3, 32, v11
	v_lshlrev_b64_e32 v[3:4], 4, v[3:4]
	s_delay_alu instid0(VALU_DEP_1) | instskip(SKIP_1) | instid1(VALU_DEP_2)
	v_add_co_u32 v3, vcc_lo, s14, v3
	s_wait_alu 0xfffd
	v_add_co_ci_u32_e64 v4, null, s15, v4, vcc_lo
	;;#ASMSTART
	global_load_b128 v[5:8], v[3:4] off scope:SCOPE_DEV	
s_wait_loadcnt 0x0
	;;#ASMEND
	v_and_b32_e32 v8, 0xff, v7
	s_delay_alu instid0(VALU_DEP_1)
	v_cmpx_eq_u16_e32 0, v8
	s_cbranch_execz .LBB1463_89
.LBB1463_87:                            ; =>This Inner Loop Header: Depth=1
	;;#ASMSTART
	global_load_b128 v[5:8], v[3:4] off scope:SCOPE_DEV	
s_wait_loadcnt 0x0
	;;#ASMEND
	v_and_b32_e32 v8, 0xff, v7
	s_delay_alu instid0(VALU_DEP_1) | instskip(SKIP_1) | instid1(SALU_CYCLE_1)
	v_cmp_ne_u16_e32 vcc_lo, 0, v8
	s_or_b32 s7, vcc_lo, s7
	s_and_not1_b32 exec_lo, exec_lo, s7
	s_cbranch_execnz .LBB1463_87
; %bb.88:
	s_or_b32 exec_lo, exec_lo, s7
.LBB1463_89:
	s_delay_alu instid0(SALU_CYCLE_1)
	s_or_b32 exec_lo, exec_lo, s6
	v_cmp_ne_u32_e32 vcc_lo, 31, v63
	v_and_b32_e32 v4, 0xff, v7
	v_lshlrev_b32_e64 v18, v63, -1
	s_mov_b32 s6, exec_lo
	s_wait_alu 0xfffd
	v_add_co_ci_u32_e64 v3, null, 0, v63, vcc_lo
	v_cmp_eq_u16_e32 vcc_lo, 2, v4
	s_delay_alu instid0(VALU_DEP_2)
	v_dual_mov_b32 v4, v5 :: v_dual_lshlrev_b32 v17, 2, v3
	s_wait_alu 0xfffd
	v_and_or_b32 v3, vcc_lo, v18, 0x80000000
	ds_bpermute_b32 v12, v17, v5
	ds_bpermute_b32 v8, v17, v6
	v_ctz_i32_b32_e32 v3, v3
	s_delay_alu instid0(VALU_DEP_1)
	v_cmpx_lt_u32_e64 v63, v3
	s_cbranch_execz .LBB1463_91
; %bb.90:
	s_wait_dscnt 0x1
	v_add_co_u32 v4, vcc_lo, v5, v12
	s_wait_alu 0xfffd
	v_add_co_ci_u32_e64 v6, null, 0, v6, vcc_lo
	s_delay_alu instid0(VALU_DEP_2) | instskip(SKIP_2) | instid1(VALU_DEP_2)
	v_add_co_u32 v5, vcc_lo, 0, v4
	s_wait_dscnt 0x0
	s_wait_alu 0xfffd
	v_add_co_ci_u32_e64 v6, null, v8, v6, vcc_lo
.LBB1463_91:
	s_or_b32 exec_lo, exec_lo, s6
	v_cmp_gt_u32_e32 vcc_lo, 30, v63
	v_add_nc_u32_e32 v20, 2, v63
	s_mov_b32 s6, exec_lo
	s_wait_dscnt 0x0
	s_wait_alu 0xfffd
	v_cndmask_b32_e64 v8, 0, 2, vcc_lo
	s_delay_alu instid0(VALU_DEP_1)
	v_add_lshl_u32 v19, v8, v63, 2
	ds_bpermute_b32 v12, v19, v4
	ds_bpermute_b32 v8, v19, v6
	v_cmpx_le_u32_e64 v20, v3
	s_cbranch_execz .LBB1463_93
; %bb.92:
	s_wait_dscnt 0x1
	v_add_co_u32 v4, vcc_lo, v5, v12
	s_wait_alu 0xfffd
	v_add_co_ci_u32_e64 v6, null, 0, v6, vcc_lo
	s_delay_alu instid0(VALU_DEP_2) | instskip(SKIP_2) | instid1(VALU_DEP_2)
	v_add_co_u32 v5, vcc_lo, 0, v4
	s_wait_dscnt 0x0
	s_wait_alu 0xfffd
	v_add_co_ci_u32_e64 v6, null, v8, v6, vcc_lo
.LBB1463_93:
	s_or_b32 exec_lo, exec_lo, s6
	v_cmp_gt_u32_e32 vcc_lo, 28, v63
	v_add_nc_u32_e32 v22, 4, v63
	s_mov_b32 s6, exec_lo
	s_wait_dscnt 0x0
	s_wait_alu 0xfffd
	v_cndmask_b32_e64 v8, 0, 4, vcc_lo
	s_delay_alu instid0(VALU_DEP_1)
	v_add_lshl_u32 v21, v8, v63, 2
	ds_bpermute_b32 v12, v21, v4
	ds_bpermute_b32 v8, v21, v6
	v_cmpx_le_u32_e64 v22, v3
	;; [unrolled: 24-line block ×3, first 2 shown]
	s_cbranch_execz .LBB1463_97
; %bb.96:
	s_wait_dscnt 0x1
	v_add_co_u32 v4, vcc_lo, v5, v12
	s_wait_alu 0xfffd
	v_add_co_ci_u32_e64 v6, null, 0, v6, vcc_lo
	s_delay_alu instid0(VALU_DEP_2) | instskip(SKIP_2) | instid1(VALU_DEP_2)
	v_add_co_u32 v5, vcc_lo, 0, v4
	s_wait_dscnt 0x0
	s_wait_alu 0xfffd
	v_add_co_ci_u32_e64 v6, null, v8, v6, vcc_lo
.LBB1463_97:
	s_or_b32 exec_lo, exec_lo, s6
	v_lshl_or_b32 v25, v63, 2, 64
	v_add_nc_u32_e32 v26, 16, v63
	s_mov_b32 s6, exec_lo
	s_wait_dscnt 0x0
	ds_bpermute_b32 v8, v25, v4
	ds_bpermute_b32 v4, v25, v6
	v_cmpx_le_u32_e64 v26, v3
	s_cbranch_execz .LBB1463_99
; %bb.98:
	s_wait_dscnt 0x1
	v_add_co_u32 v3, vcc_lo, v5, v8
	s_wait_alu 0xfffd
	v_add_co_ci_u32_e64 v6, null, 0, v6, vcc_lo
	s_delay_alu instid0(VALU_DEP_2) | instskip(SKIP_2) | instid1(VALU_DEP_2)
	v_add_co_u32 v5, vcc_lo, v3, 0
	s_wait_dscnt 0x0
	s_wait_alu 0xfffd
	v_add_co_ci_u32_e64 v6, null, v6, v4, vcc_lo
.LBB1463_99:
	s_or_b32 exec_lo, exec_lo, s6
	v_mov_b32_e32 v12, 0
	s_branch .LBB1463_102
.LBB1463_100:                           ;   in Loop: Header=BB1463_102 Depth=1
	s_or_b32 exec_lo, exec_lo, s6
	v_add_co_u32 v5, vcc_lo, v5, v3
	v_subrev_nc_u32_e32 v11, 32, v11
	s_wait_alu 0xfffd
	v_add_co_ci_u32_e64 v6, null, v6, v4, vcc_lo
	s_mov_b32 s6, 0
.LBB1463_101:                           ;   in Loop: Header=BB1463_102 Depth=1
	s_delay_alu instid0(SALU_CYCLE_1)
	s_and_b32 vcc_lo, exec_lo, s6
	s_wait_alu 0xfffe
	s_cbranch_vccnz .LBB1463_118
.LBB1463_102:                           ; =>This Loop Header: Depth=1
                                        ;     Child Loop BB1463_105 Depth 2
	v_and_b32_e32 v3, 0xff, v7
	s_mov_b32 s6, -1
	s_delay_alu instid0(VALU_DEP_1)
	v_cmp_ne_u16_e32 vcc_lo, 2, v3
	s_wait_dscnt 0x0
	v_dual_mov_b32 v3, v5 :: v_dual_mov_b32 v4, v6
                                        ; implicit-def: $vgpr5_vgpr6
	s_cmp_lg_u32 vcc_lo, exec_lo
	s_cbranch_scc1 .LBB1463_101
; %bb.103:                              ;   in Loop: Header=BB1463_102 Depth=1
	v_lshlrev_b64_e32 v[5:6], 4, v[11:12]
	s_mov_b32 s6, exec_lo
	s_delay_alu instid0(VALU_DEP_1) | instskip(SKIP_1) | instid1(VALU_DEP_2)
	v_add_co_u32 v13, vcc_lo, s14, v5
	s_wait_alu 0xfffd
	v_add_co_ci_u32_e64 v14, null, s15, v6, vcc_lo
	;;#ASMSTART
	global_load_b128 v[5:8], v[13:14] off scope:SCOPE_DEV	
s_wait_loadcnt 0x0
	;;#ASMEND
	v_and_b32_e32 v8, 0xff, v7
	s_delay_alu instid0(VALU_DEP_1)
	v_cmpx_eq_u16_e32 0, v8
	s_cbranch_execz .LBB1463_107
; %bb.104:                              ;   in Loop: Header=BB1463_102 Depth=1
	s_mov_b32 s7, 0
.LBB1463_105:                           ;   Parent Loop BB1463_102 Depth=1
                                        ; =>  This Inner Loop Header: Depth=2
	;;#ASMSTART
	global_load_b128 v[5:8], v[13:14] off scope:SCOPE_DEV	
s_wait_loadcnt 0x0
	;;#ASMEND
	v_and_b32_e32 v8, 0xff, v7
	s_delay_alu instid0(VALU_DEP_1) | instskip(SKIP_1) | instid1(SALU_CYCLE_1)
	v_cmp_ne_u16_e32 vcc_lo, 0, v8
	s_or_b32 s7, vcc_lo, s7
	s_and_not1_b32 exec_lo, exec_lo, s7
	s_cbranch_execnz .LBB1463_105
; %bb.106:                              ;   in Loop: Header=BB1463_102 Depth=1
	s_or_b32 exec_lo, exec_lo, s7
.LBB1463_107:                           ;   in Loop: Header=BB1463_102 Depth=1
	s_delay_alu instid0(SALU_CYCLE_1)
	s_or_b32 exec_lo, exec_lo, s6
	v_dual_mov_b32 v13, v5 :: v_dual_and_b32 v8, 0xff, v7
	ds_bpermute_b32 v27, v17, v5
	ds_bpermute_b32 v14, v17, v6
	s_mov_b32 s6, exec_lo
	v_cmp_eq_u16_e32 vcc_lo, 2, v8
	s_wait_alu 0xfffd
	v_and_or_b32 v8, vcc_lo, v18, 0x80000000
	s_delay_alu instid0(VALU_DEP_1) | instskip(NEXT) | instid1(VALU_DEP_1)
	v_ctz_i32_b32_e32 v8, v8
	v_cmpx_lt_u32_e64 v63, v8
	s_cbranch_execz .LBB1463_109
; %bb.108:                              ;   in Loop: Header=BB1463_102 Depth=1
	s_wait_dscnt 0x1
	v_add_co_u32 v13, vcc_lo, v5, v27
	s_wait_alu 0xfffd
	v_add_co_ci_u32_e64 v6, null, 0, v6, vcc_lo
	s_delay_alu instid0(VALU_DEP_2) | instskip(SKIP_2) | instid1(VALU_DEP_2)
	v_add_co_u32 v5, vcc_lo, 0, v13
	s_wait_dscnt 0x0
	s_wait_alu 0xfffd
	v_add_co_ci_u32_e64 v6, null, v14, v6, vcc_lo
.LBB1463_109:                           ;   in Loop: Header=BB1463_102 Depth=1
	s_or_b32 exec_lo, exec_lo, s6
	s_wait_dscnt 0x1
	ds_bpermute_b32 v27, v19, v13
	s_wait_dscnt 0x1
	ds_bpermute_b32 v14, v19, v6
	s_mov_b32 s6, exec_lo
	v_cmpx_le_u32_e64 v20, v8
	s_cbranch_execz .LBB1463_111
; %bb.110:                              ;   in Loop: Header=BB1463_102 Depth=1
	s_wait_dscnt 0x1
	v_add_co_u32 v13, vcc_lo, v5, v27
	s_wait_alu 0xfffd
	v_add_co_ci_u32_e64 v6, null, 0, v6, vcc_lo
	s_delay_alu instid0(VALU_DEP_2) | instskip(SKIP_2) | instid1(VALU_DEP_2)
	v_add_co_u32 v5, vcc_lo, 0, v13
	s_wait_dscnt 0x0
	s_wait_alu 0xfffd
	v_add_co_ci_u32_e64 v6, null, v14, v6, vcc_lo
.LBB1463_111:                           ;   in Loop: Header=BB1463_102 Depth=1
	s_or_b32 exec_lo, exec_lo, s6
	s_wait_dscnt 0x1
	ds_bpermute_b32 v27, v21, v13
	s_wait_dscnt 0x1
	ds_bpermute_b32 v14, v21, v6
	s_mov_b32 s6, exec_lo
	v_cmpx_le_u32_e64 v22, v8
	;; [unrolled: 19-line block ×3, first 2 shown]
	s_cbranch_execz .LBB1463_115
; %bb.114:                              ;   in Loop: Header=BB1463_102 Depth=1
	s_wait_dscnt 0x1
	v_add_co_u32 v13, vcc_lo, v5, v27
	s_wait_alu 0xfffd
	v_add_co_ci_u32_e64 v6, null, 0, v6, vcc_lo
	s_delay_alu instid0(VALU_DEP_2) | instskip(SKIP_2) | instid1(VALU_DEP_2)
	v_add_co_u32 v5, vcc_lo, 0, v13
	s_wait_dscnt 0x0
	s_wait_alu 0xfffd
	v_add_co_ci_u32_e64 v6, null, v14, v6, vcc_lo
.LBB1463_115:                           ;   in Loop: Header=BB1463_102 Depth=1
	s_or_b32 exec_lo, exec_lo, s6
	s_wait_dscnt 0x0
	ds_bpermute_b32 v14, v25, v13
	ds_bpermute_b32 v13, v25, v6
	s_mov_b32 s6, exec_lo
	v_cmpx_le_u32_e64 v26, v8
	s_cbranch_execz .LBB1463_100
; %bb.116:                              ;   in Loop: Header=BB1463_102 Depth=1
	s_wait_dscnt 0x1
	v_add_co_u32 v5, vcc_lo, v5, v14
	s_wait_alu 0xfffd
	v_add_co_ci_u32_e64 v6, null, 0, v6, vcc_lo
	s_delay_alu instid0(VALU_DEP_2) | instskip(SKIP_2) | instid1(VALU_DEP_2)
	v_add_co_u32 v5, vcc_lo, v5, 0
	s_wait_dscnt 0x0
	s_wait_alu 0xfffd
	v_add_co_ci_u32_e64 v6, null, v6, v13, vcc_lo
	s_branch .LBB1463_100
.LBB1463_117:
                                        ; implicit-def: $vgpr39_vgpr40
                                        ; implicit-def: $vgpr1_vgpr2_vgpr3_vgpr4_vgpr5_vgpr6_vgpr7_vgpr8_vgpr9_vgpr10_vgpr11_vgpr12_vgpr13_vgpr14_vgpr15_vgpr16_vgpr17_vgpr18_vgpr19_vgpr20_vgpr21_vgpr22_vgpr23_vgpr24_vgpr25_vgpr26_vgpr27_vgpr28_vgpr29_vgpr30_vgpr31_vgpr32
	s_wait_alu 0xfffe
	s_and_b32 vcc_lo, exec_lo, s1
	s_wait_alu 0xfffe
	s_cbranch_vccnz .LBB1463_123
	s_branch .LBB1463_148
.LBB1463_118:
	s_and_saveexec_b32 s6, s1
	s_cbranch_execz .LBB1463_120
; %bb.119:
	s_add_co_i32 s8, s20, 32
	s_mov_b32 s9, 0
	v_add_co_u32 v5, vcc_lo, v3, v1
	s_wait_alu 0xfffe
	s_lshl_b64 s[8:9], s[8:9], 4
	v_dual_mov_b32 v7, 2 :: v_dual_mov_b32 v8, 0
	s_wait_alu 0xfffe
	s_add_nc_u64 s[8:9], s[14:15], s[8:9]
	s_wait_alu 0xfffd
	v_add_co_ci_u32_e64 v6, null, v4, v2, vcc_lo
	s_wait_alu 0xfffe
	v_dual_mov_b32 v12, s9 :: v_dual_mov_b32 v11, s8
	;;#ASMSTART
	global_store_b128 v[11:12], v[5:8] off scope:SCOPE_DEV	
s_wait_storecnt 0x0
	;;#ASMEND
	ds_store_b128 v8, v[1:4] offset:6144
.LBB1463_120:
	s_or_b32 exec_lo, exec_lo, s6
	s_delay_alu instid0(SALU_CYCLE_1)
	s_and_b32 exec_lo, exec_lo, s2
; %bb.121:
	v_mov_b32_e32 v1, 0
	ds_store_b64 v1, v[3:4] offset:56
.LBB1463_122:
	s_wait_alu 0xfffe
	s_or_b32 exec_lo, exec_lo, s3
	v_mov_b32_e32 v17, 0
	s_wait_loadcnt_dscnt 0x0
	s_barrier_signal -1
	s_barrier_wait -1
	global_inv scope:SCOPE_SE
	ds_load_b64 v[1:2], v17 offset:56
	v_cndmask_b32_e64 v3, v15, v9, s1
	v_cndmask_b32_e64 v4, v16, v10, s1
	s_wait_loadcnt_dscnt 0x0
	s_barrier_signal -1
	s_barrier_wait -1
	v_cndmask_b32_e64 v3, v3, 0, s2
	v_cndmask_b32_e64 v4, v4, 0, s2
	global_inv scope:SCOPE_SE
	ds_load_b128 v[37:40], v17 offset:6144
	v_add_co_u32 v1, vcc_lo, v1, v3
	s_wait_alu 0xfffd
	v_add_co_ci_u32_e64 v2, null, v2, v4, vcc_lo
	s_delay_alu instid0(VALU_DEP_2) | instskip(SKIP_1) | instid1(VALU_DEP_2)
	v_add_co_u32 v3, vcc_lo, v1, v55
	s_wait_alu 0xfffd
	v_add_co_ci_u32_e64 v4, null, 0, v2, vcc_lo
	s_delay_alu instid0(VALU_DEP_2) | instskip(SKIP_1) | instid1(VALU_DEP_2)
	;; [unrolled: 4-line block ×11, first 2 shown]
	v_add_co_u32 v23, vcc_lo, v21, v57
	s_wait_alu 0xfffd
	v_add_co_ci_u32_e64 v24, null, 0, v22, vcc_lo
	s_branch .LBB1463_148
.LBB1463_123:
	v_dual_mov_b32 v2, 0 :: v_dual_mov_b32 v3, v47
	v_mov_b32_dpp v4, v47 row_shr:1 row_mask:0xf bank_mask:0xf
	s_delay_alu instid0(VALU_DEP_2)
	v_mov_b32_dpp v1, v2 row_shr:1 row_mask:0xf bank_mask:0xf
	s_and_saveexec_b32 s1, s0
; %bb.124:
	s_delay_alu instid0(VALU_DEP_2) | instskip(SKIP_2) | instid1(VALU_DEP_2)
	v_add_co_u32 v3, vcc_lo, v47, v4
	s_wait_alu 0xfffd
	v_add_co_ci_u32_e64 v2, null, 0, v48, vcc_lo
	v_add_co_u32 v47, vcc_lo, 0, v3
	s_wait_alu 0xfffd
	s_delay_alu instid0(VALU_DEP_2) | instskip(NEXT) | instid1(VALU_DEP_1)
	v_add_co_ci_u32_e64 v48, null, v1, v2, vcc_lo
	v_mov_b32_e32 v2, v48
; %bb.125:
	s_wait_alu 0xfffe
	s_or_b32 exec_lo, exec_lo, s1
	v_mov_b32_dpp v1, v3 row_shr:2 row_mask:0xf bank_mask:0xf
	s_delay_alu instid0(VALU_DEP_2)
	v_mov_b32_dpp v4, v2 row_shr:2 row_mask:0xf bank_mask:0xf
	s_mov_b32 s0, exec_lo
	v_cmpx_lt_u32_e32 1, v64
; %bb.126:
	s_delay_alu instid0(VALU_DEP_3) | instskip(SKIP_2) | instid1(VALU_DEP_2)
	v_add_co_u32 v3, vcc_lo, v47, v1
	s_wait_alu 0xfffd
	v_add_co_ci_u32_e64 v2, null, 0, v48, vcc_lo
	v_add_co_u32 v1, vcc_lo, 0, v3
	s_wait_alu 0xfffd
	s_delay_alu instid0(VALU_DEP_2) | instskip(NEXT) | instid1(VALU_DEP_1)
	v_add_co_ci_u32_e64 v2, null, v4, v2, vcc_lo
	v_dual_mov_b32 v48, v2 :: v_dual_mov_b32 v47, v1
; %bb.127:
	s_wait_alu 0xfffe
	s_or_b32 exec_lo, exec_lo, s0
	v_mov_b32_dpp v1, v3 row_shr:4 row_mask:0xf bank_mask:0xf
	v_mov_b32_dpp v4, v2 row_shr:4 row_mask:0xf bank_mask:0xf
	s_mov_b32 s0, exec_lo
	v_cmpx_lt_u32_e32 3, v64
; %bb.128:
	s_delay_alu instid0(VALU_DEP_3) | instskip(SKIP_2) | instid1(VALU_DEP_2)
	v_add_co_u32 v3, vcc_lo, v47, v1
	s_wait_alu 0xfffd
	v_add_co_ci_u32_e64 v2, null, 0, v48, vcc_lo
	v_add_co_u32 v1, vcc_lo, 0, v3
	s_wait_alu 0xfffd
	s_delay_alu instid0(VALU_DEP_2) | instskip(NEXT) | instid1(VALU_DEP_1)
	v_add_co_ci_u32_e64 v2, null, v4, v2, vcc_lo
	v_dual_mov_b32 v48, v2 :: v_dual_mov_b32 v47, v1
; %bb.129:
	s_wait_alu 0xfffe
	s_or_b32 exec_lo, exec_lo, s0
	v_mov_b32_dpp v4, v3 row_shr:8 row_mask:0xf bank_mask:0xf
	v_mov_b32_dpp v1, v2 row_shr:8 row_mask:0xf bank_mask:0xf
	s_mov_b32 s0, exec_lo
	v_cmpx_lt_u32_e32 7, v64
; %bb.130:
	s_delay_alu instid0(VALU_DEP_3) | instskip(SKIP_2) | instid1(VALU_DEP_2)
	v_add_co_u32 v3, vcc_lo, v47, v4
	s_wait_alu 0xfffd
	v_add_co_ci_u32_e64 v2, null, 0, v48, vcc_lo
	v_add_co_u32 v47, vcc_lo, 0, v3
	s_wait_alu 0xfffd
	s_delay_alu instid0(VALU_DEP_2) | instskip(NEXT) | instid1(VALU_DEP_1)
	v_add_co_ci_u32_e64 v48, null, v1, v2, vcc_lo
	v_mov_b32_e32 v2, v48
; %bb.131:
	s_wait_alu 0xfffe
	s_or_b32 exec_lo, exec_lo, s0
	ds_swizzle_b32 v3, v3 offset:swizzle(BROADCAST,32,15)
	ds_swizzle_b32 v1, v2 offset:swizzle(BROADCAST,32,15)
	v_and_b32_e32 v2, 16, v63
	s_mov_b32 s0, exec_lo
	s_delay_alu instid0(VALU_DEP_1)
	v_cmpx_ne_u32_e32 0, v2
	s_cbranch_execz .LBB1463_133
; %bb.132:
	s_wait_dscnt 0x1
	v_add_co_u32 v2, vcc_lo, v47, v3
	s_wait_alu 0xfffd
	v_add_co_ci_u32_e64 v3, null, 0, v48, vcc_lo
	s_delay_alu instid0(VALU_DEP_2) | instskip(SKIP_2) | instid1(VALU_DEP_2)
	v_add_co_u32 v47, vcc_lo, v2, 0
	s_wait_dscnt 0x0
	s_wait_alu 0xfffd
	v_add_co_ci_u32_e64 v48, null, v3, v1, vcc_lo
.LBB1463_133:
	s_wait_alu 0xfffe
	s_or_b32 exec_lo, exec_lo, s0
	s_wait_dscnt 0x0
	v_or_b32_e32 v1, 31, v0
	v_lshrrev_b32_e32 v3, 5, v0
	s_mov_b32 s0, exec_lo
	s_delay_alu instid0(VALU_DEP_2)
	v_cmpx_eq_u32_e64 v0, v1
; %bb.134:
	s_delay_alu instid0(VALU_DEP_2)
	v_lshlrev_b32_e32 v1, 3, v3
	ds_store_b64 v1, v[47:48]
; %bb.135:
	s_wait_alu 0xfffe
	s_or_b32 exec_lo, exec_lo, s0
	s_delay_alu instid0(SALU_CYCLE_1)
	s_mov_b32 s0, exec_lo
	s_wait_loadcnt_dscnt 0x0
	s_barrier_signal -1
	s_barrier_wait -1
	global_inv scope:SCOPE_SE
	v_cmpx_gt_u32_e32 8, v0
	s_cbranch_execz .LBB1463_143
; %bb.136:
	v_lshlrev_b32_e32 v4, 2, v0
	s_mov_b32 s1, exec_lo
	s_delay_alu instid0(VALU_DEP_1)
	v_sub_nc_u32_e32 v1, v53, v4
	ds_load_b64 v[1:2], v1
	s_wait_dscnt 0x0
	v_dual_mov_b32 v6, v1 :: v_dual_and_b32 v5, 7, v63
	v_mov_b32_dpp v8, v1 row_shr:1 row_mask:0xf bank_mask:0xf
	v_mov_b32_dpp v7, v2 row_shr:1 row_mask:0xf bank_mask:0xf
	s_delay_alu instid0(VALU_DEP_3)
	v_cmpx_ne_u32_e32 0, v5
; %bb.137:
	s_delay_alu instid0(VALU_DEP_3) | instskip(SKIP_2) | instid1(VALU_DEP_2)
	v_add_co_u32 v6, vcc_lo, v1, v8
	s_wait_alu 0xfffd
	v_add_co_ci_u32_e64 v2, null, 0, v2, vcc_lo
	v_add_co_u32 v1, vcc_lo, 0, v6
	s_wait_alu 0xfffd
	s_delay_alu instid0(VALU_DEP_2)
	v_add_co_ci_u32_e64 v2, null, v7, v2, vcc_lo
; %bb.138:
	s_wait_alu 0xfffe
	s_or_b32 exec_lo, exec_lo, s1
	v_mov_b32_dpp v8, v6 row_shr:2 row_mask:0xf bank_mask:0xf
	s_delay_alu instid0(VALU_DEP_2)
	v_mov_b32_dpp v7, v2 row_shr:2 row_mask:0xf bank_mask:0xf
	s_mov_b32 s1, exec_lo
	v_cmpx_lt_u32_e32 1, v5
; %bb.139:
	s_delay_alu instid0(VALU_DEP_3) | instskip(SKIP_2) | instid1(VALU_DEP_2)
	v_add_co_u32 v6, vcc_lo, v1, v8
	s_wait_alu 0xfffd
	v_add_co_ci_u32_e64 v2, null, 0, v2, vcc_lo
	v_add_co_u32 v1, vcc_lo, 0, v6
	s_wait_alu 0xfffd
	s_delay_alu instid0(VALU_DEP_2)
	v_add_co_ci_u32_e64 v2, null, v7, v2, vcc_lo
; %bb.140:
	s_wait_alu 0xfffe
	s_or_b32 exec_lo, exec_lo, s1
	v_sub_nc_u32_e32 v4, 0, v4
	v_mov_b32_dpp v7, v6 row_shr:4 row_mask:0xf bank_mask:0xf
	v_mov_b32_dpp v6, v2 row_shr:4 row_mask:0xf bank_mask:0xf
	s_mov_b32 s1, exec_lo
	v_cmpx_lt_u32_e32 3, v5
; %bb.141:
	s_delay_alu instid0(VALU_DEP_3) | instskip(SKIP_2) | instid1(VALU_DEP_2)
	v_add_co_u32 v1, vcc_lo, v1, v7
	s_wait_alu 0xfffd
	v_add_co_ci_u32_e64 v2, null, 0, v2, vcc_lo
	v_add_co_u32 v1, vcc_lo, v1, 0
	s_wait_alu 0xfffd
	s_delay_alu instid0(VALU_DEP_2)
	v_add_co_ci_u32_e64 v2, null, v2, v6, vcc_lo
; %bb.142:
	s_wait_alu 0xfffe
	s_or_b32 exec_lo, exec_lo, s1
	v_add_nc_u32_e32 v4, v53, v4
	ds_store_b64 v4, v[1:2]
.LBB1463_143:
	s_wait_alu 0xfffe
	s_or_b32 exec_lo, exec_lo, s0
	v_mov_b32_e32 v1, 0
	v_mov_b32_e32 v2, 0
	s_mov_b32 s0, exec_lo
	s_wait_loadcnt_dscnt 0x0
	s_barrier_signal -1
	s_barrier_wait -1
	global_inv scope:SCOPE_SE
	v_cmpx_lt_u32_e32 31, v0
; %bb.144:
	v_lshl_add_u32 v1, v3, 3, -8
	ds_load_b64 v[1:2], v1
; %bb.145:
	s_wait_alu 0xfffe
	s_or_b32 exec_lo, exec_lo, s0
	v_sub_co_u32 v3, vcc_lo, v63, 1
	v_mov_b32_e32 v40, 0
	s_delay_alu instid0(VALU_DEP_2) | instskip(SKIP_3) | instid1(VALU_DEP_1)
	v_cmp_gt_i32_e64 s0, 0, v3
	ds_load_b64 v[37:38], v40 offset:56
	s_wait_alu 0xf1ff
	v_cndmask_b32_e64 v3, v3, v63, s0
	v_lshlrev_b32_e32 v4, 2, v3
	s_wait_dscnt 0x1
	v_add_co_u32 v3, s0, v1, v47
	s_wait_alu 0xf1ff
	v_add_co_ci_u32_e64 v5, null, v2, v48, s0
	ds_bpermute_b32 v3, v4, v3
	ds_bpermute_b32 v4, v4, v5
	s_and_saveexec_b32 s0, s2
	s_cbranch_execz .LBB1463_147
; %bb.146:
	s_add_nc_u64 s[6:7], s[14:15], 0x200
	v_mov_b32_e32 v39, 2
	v_dual_mov_b32 v5, s6 :: v_dual_mov_b32 v6, s7
	s_wait_dscnt 0x2
	;;#ASMSTART
	global_store_b128 v[5:6], v[37:40] off scope:SCOPE_DEV	
s_wait_storecnt 0x0
	;;#ASMEND
.LBB1463_147:
	s_wait_alu 0xfffe
	s_or_b32 exec_lo, exec_lo, s0
	s_wait_dscnt 0x0
	s_wait_alu 0xfffd
	v_dual_cndmask_b32 v1, v3, v1 :: v_dual_cndmask_b32 v2, v4, v2
	v_mov_b32_e32 v39, 0
	v_mov_b32_e32 v40, 0
	s_wait_loadcnt 0x0
	s_delay_alu instid0(VALU_DEP_3)
	v_cndmask_b32_e64 v1, v1, 0, s2
	v_cndmask_b32_e64 v2, v2, 0, s2
	s_barrier_signal -1
	s_barrier_wait -1
	global_inv scope:SCOPE_SE
	v_add_co_u32 v3, vcc_lo, v1, v55
	s_wait_alu 0xfffd
	v_add_co_ci_u32_e64 v4, null, 0, v2, vcc_lo
	s_delay_alu instid0(VALU_DEP_2) | instskip(SKIP_1) | instid1(VALU_DEP_2)
	v_add_co_u32 v5, vcc_lo, v3, v56
	s_wait_alu 0xfffd
	v_add_co_ci_u32_e64 v6, null, 0, v4, vcc_lo
	s_delay_alu instid0(VALU_DEP_2) | instskip(SKIP_1) | instid1(VALU_DEP_2)
	;; [unrolled: 4-line block ×10, first 2 shown]
	v_add_co_u32 v23, vcc_lo, v21, v57
	s_wait_alu 0xfffd
	v_add_co_ci_u32_e64 v24, null, 0, v22, vcc_lo
.LBB1463_148:
	v_lshrrev_b32_e32 v58, 8, v45
	v_lshrrev_b32_e32 v56, 16, v45
	v_and_b32_e32 v45, 1, v45
	s_wait_dscnt 0x0
	v_cmp_gt_u64_e32 vcc_lo, 0x101, v[37:38]
	v_lshlrev_b64_e32 v[25:26], 1, v[41:42]
	v_lshrrev_b32_e32 v53, 8, v46
	v_lshrrev_b32_e32 v48, 16, v46
	;; [unrolled: 1-line block ×10, first 2 shown]
	v_cmp_eq_u32_e64 s0, 1, v45
	s_mov_b32 s1, -1
	s_cbranch_vccnz .LBB1463_152
; %bb.149:
	s_wait_alu 0xfffe
	s_and_b32 vcc_lo, exec_lo, s1
	s_wait_alu 0xfffe
	s_cbranch_vccnz .LBB1463_177
.LBB1463_150:
	s_and_b32 s0, s2, s18
	s_wait_alu 0xfffe
	s_and_saveexec_b32 s1, s0
	s_cbranch_execnz .LBB1463_204
.LBB1463_151:
	s_endpgm
.LBB1463_152:
	v_add_co_u32 v27, vcc_lo, v39, v37
	s_wait_alu 0xfffd
	v_add_co_ci_u32_e64 v28, null, v40, v38, vcc_lo
	v_add_co_u32 v59, s1, s12, v25
	s_wait_alu 0xf1fe
	v_add_co_ci_u32_e64 v60, null, s13, v26, s1
	s_delay_alu instid0(VALU_DEP_3)
	v_cmp_lt_u64_e32 vcc_lo, v[1:2], v[27:28]
	s_or_b32 s1, s19, vcc_lo
	s_wait_alu 0xfffe
	s_and_b32 s1, s1, s0
	s_wait_alu 0xfffe
	s_and_saveexec_b32 s0, s1
	s_cbranch_execz .LBB1463_154
; %bb.153:
	v_lshlrev_b64_e32 v[61:62], 1, v[1:2]
	s_delay_alu instid0(VALU_DEP_1) | instskip(SKIP_1) | instid1(VALU_DEP_2)
	v_add_co_u32 v61, vcc_lo, v59, v61
	s_wait_alu 0xfffd
	v_add_co_ci_u32_e64 v62, null, v60, v62, vcc_lo
	global_store_b16 v[61:62], v33, off
.LBB1463_154:
	s_wait_alu 0xfffe
	s_or_b32 exec_lo, exec_lo, s0
	v_and_b32_e32 v2, 1, v58
	v_cmp_lt_u64_e32 vcc_lo, v[3:4], v[27:28]
	s_delay_alu instid0(VALU_DEP_2)
	v_cmp_eq_u32_e64 s0, 1, v2
	s_or_b32 s1, s19, vcc_lo
	s_wait_alu 0xfffe
	s_and_b32 s1, s1, s0
	s_wait_alu 0xfffe
	s_and_saveexec_b32 s0, s1
	s_cbranch_execz .LBB1463_156
; %bb.155:
	v_lshlrev_b64_e32 v[61:62], 1, v[3:4]
	s_delay_alu instid0(VALU_DEP_1) | instskip(SKIP_1) | instid1(VALU_DEP_2)
	v_add_co_u32 v61, vcc_lo, v59, v61
	s_wait_alu 0xfffd
	v_add_co_ci_u32_e64 v62, null, v60, v62, vcc_lo
	global_store_b16 v[61:62], v57, off
.LBB1463_156:
	s_wait_alu 0xfffe
	s_or_b32 exec_lo, exec_lo, s0
	v_and_b32_e32 v2, 1, v56
	v_cmp_lt_u64_e32 vcc_lo, v[5:6], v[27:28]
	s_delay_alu instid0(VALU_DEP_2)
	v_cmp_eq_u32_e64 s0, 1, v2
	;; [unrolled: 20-line block ×11, first 2 shown]
	s_or_b32 s1, s19, vcc_lo
	s_wait_alu 0xfffe
	s_and_b32 s1, s1, s0
	s_wait_alu 0xfffe
	s_and_saveexec_b32 s0, s1
	s_cbranch_execz .LBB1463_176
; %bb.175:
	v_lshlrev_b64_e32 v[27:28], 1, v[23:24]
	s_delay_alu instid0(VALU_DEP_1) | instskip(SKIP_1) | instid1(VALU_DEP_2)
	v_add_co_u32 v27, vcc_lo, v59, v27
	s_wait_alu 0xfffd
	v_add_co_ci_u32_e64 v28, null, v60, v28, vcc_lo
	global_store_b16 v[27:28], v29, off
.LBB1463_176:
	s_wait_alu 0xfffe
	s_or_b32 exec_lo, exec_lo, s0
	s_branch .LBB1463_150
.LBB1463_177:
	s_mov_b32 s0, exec_lo
	v_cmpx_eq_u32_e32 1, v45
; %bb.178:
	v_sub_nc_u32_e32 v1, v1, v39
	s_delay_alu instid0(VALU_DEP_1)
	v_lshlrev_b32_e32 v1, 1, v1
	ds_store_b16 v1, v33
; %bb.179:
	s_wait_alu 0xfffe
	s_or_b32 exec_lo, exec_lo, s0
	v_and_b32_e32 v1, 1, v58
	s_mov_b32 s0, exec_lo
	s_delay_alu instid0(VALU_DEP_1)
	v_cmpx_eq_u32_e32 1, v1
; %bb.180:
	v_sub_nc_u32_e32 v1, v3, v39
	s_delay_alu instid0(VALU_DEP_1)
	v_lshlrev_b32_e32 v1, 1, v1
	ds_store_b16 v1, v57
; %bb.181:
	s_wait_alu 0xfffe
	s_or_b32 exec_lo, exec_lo, s0
	v_and_b32_e32 v1, 1, v56
	s_mov_b32 s0, exec_lo
	s_delay_alu instid0(VALU_DEP_1)
	;; [unrolled: 12-line block ×11, first 2 shown]
	v_cmpx_eq_u32_e32 1, v1
; %bb.200:
	v_sub_nc_u32_e32 v1, v23, v39
	s_delay_alu instid0(VALU_DEP_1)
	v_lshlrev_b32_e32 v1, 1, v1
	ds_store_b16 v1, v29
; %bb.201:
	s_wait_alu 0xfffe
	s_or_b32 exec_lo, exec_lo, s0
	v_lshlrev_b64_e32 v[2:3], 1, v[39:40]
	v_mov_b32_e32 v1, 0
	s_mov_b32 s1, 0
	s_wait_storecnt 0x0
	s_wait_loadcnt_dscnt 0x0
	s_barrier_signal -1
	s_barrier_wait -1
	v_add_co_u32 v4, vcc_lo, s12, v2
	s_wait_alu 0xfffd
	v_add_co_ci_u32_e64 v5, null, s13, v3, vcc_lo
	v_dual_mov_b32 v3, v1 :: v_dual_mov_b32 v2, v0
	s_delay_alu instid0(VALU_DEP_3) | instskip(SKIP_1) | instid1(VALU_DEP_3)
	v_add_co_u32 v4, vcc_lo, v4, v25
	s_wait_alu 0xfffd
	v_add_co_ci_u32_e64 v5, null, v5, v26, vcc_lo
	v_or_b32_e32 v0, 0x100, v0
	global_inv scope:SCOPE_SE
.LBB1463_202:                           ; =>This Inner Loop Header: Depth=1
	v_lshlrev_b32_e32 v6, 1, v2
	v_cmp_le_u64_e32 vcc_lo, v[37:38], v[0:1]
	ds_load_u16 v8, v6
	v_lshlrev_b64_e32 v[6:7], 1, v[2:3]
	v_dual_mov_b32 v3, v1 :: v_dual_mov_b32 v2, v0
	v_add_nc_u32_e32 v0, 0x100, v0
	s_wait_alu 0xfffe
	s_or_b32 s1, vcc_lo, s1
	s_delay_alu instid0(VALU_DEP_3)
	v_add_co_u32 v6, s0, v4, v6
	s_wait_alu 0xf1ff
	v_add_co_ci_u32_e64 v7, null, v5, v7, s0
	s_wait_dscnt 0x0
	global_store_b16 v[6:7], v8, off
	s_wait_alu 0xfffe
	s_and_not1_b32 exec_lo, exec_lo, s1
	s_cbranch_execnz .LBB1463_202
; %bb.203:
	s_or_b32 exec_lo, exec_lo, s1
	s_and_b32 s0, s2, s18
	s_wait_alu 0xfffe
	s_and_saveexec_b32 s1, s0
	s_cbranch_execz .LBB1463_151
.LBB1463_204:
	v_add_co_u32 v0, vcc_lo, v39, v37
	s_wait_alu 0xfffd
	v_add_co_ci_u32_e64 v1, null, v40, v38, vcc_lo
	v_mov_b32_e32 v2, 0
	s_delay_alu instid0(VALU_DEP_3) | instskip(SKIP_1) | instid1(VALU_DEP_3)
	v_add_co_u32 v0, vcc_lo, v0, v41
	s_wait_alu 0xfffd
	v_add_co_ci_u32_e64 v1, null, v1, v42, vcc_lo
	global_store_b64 v2, v[0:1], s[4:5]
	s_endpgm
	.section	.rodata,"a",@progbits
	.p2align	6, 0x0
	.amdhsa_kernel _ZN7rocprim17ROCPRIM_400000_NS6detail17trampoline_kernelINS0_14default_configENS1_25partition_config_selectorILNS1_17partition_subalgoE5EtNS0_10empty_typeEbEEZZNS1_14partition_implILS5_5ELb0ES3_mN6thrust23THRUST_200600_302600_NS6detail15normal_iteratorINSA_10device_ptrItEEEEPS6_NSA_18transform_iteratorINSB_9not_fun_tI7is_trueItEEESF_NSA_11use_defaultESM_EENS0_5tupleIJSF_S6_EEENSO_IJSG_SG_EEES6_PlJS6_EEE10hipError_tPvRmT3_T4_T5_T6_T7_T9_mT8_P12ihipStream_tbDpT10_ENKUlT_T0_E_clISt17integral_constantIbLb0EES1A_IbLb1EEEEDaS16_S17_EUlS16_E_NS1_11comp_targetILNS1_3genE10ELNS1_11target_archE1200ELNS1_3gpuE4ELNS1_3repE0EEENS1_30default_config_static_selectorELNS0_4arch9wavefront6targetE0EEEvT1_
		.amdhsa_group_segment_fixed_size 6160
		.amdhsa_private_segment_fixed_size 0
		.amdhsa_kernarg_size 136
		.amdhsa_user_sgpr_count 2
		.amdhsa_user_sgpr_dispatch_ptr 0
		.amdhsa_user_sgpr_queue_ptr 0
		.amdhsa_user_sgpr_kernarg_segment_ptr 1
		.amdhsa_user_sgpr_dispatch_id 0
		.amdhsa_user_sgpr_private_segment_size 0
		.amdhsa_wavefront_size32 1
		.amdhsa_uses_dynamic_stack 0
		.amdhsa_enable_private_segment 0
		.amdhsa_system_sgpr_workgroup_id_x 1
		.amdhsa_system_sgpr_workgroup_id_y 0
		.amdhsa_system_sgpr_workgroup_id_z 0
		.amdhsa_system_sgpr_workgroup_info 0
		.amdhsa_system_vgpr_workitem_id 0
		.amdhsa_next_free_vgpr 65
		.amdhsa_next_free_sgpr 24
		.amdhsa_reserve_vcc 1
		.amdhsa_float_round_mode_32 0
		.amdhsa_float_round_mode_16_64 0
		.amdhsa_float_denorm_mode_32 3
		.amdhsa_float_denorm_mode_16_64 3
		.amdhsa_fp16_overflow 0
		.amdhsa_workgroup_processor_mode 1
		.amdhsa_memory_ordered 1
		.amdhsa_forward_progress 1
		.amdhsa_inst_pref_size 84
		.amdhsa_round_robin_scheduling 0
		.amdhsa_exception_fp_ieee_invalid_op 0
		.amdhsa_exception_fp_denorm_src 0
		.amdhsa_exception_fp_ieee_div_zero 0
		.amdhsa_exception_fp_ieee_overflow 0
		.amdhsa_exception_fp_ieee_underflow 0
		.amdhsa_exception_fp_ieee_inexact 0
		.amdhsa_exception_int_div_zero 0
	.end_amdhsa_kernel
	.section	.text._ZN7rocprim17ROCPRIM_400000_NS6detail17trampoline_kernelINS0_14default_configENS1_25partition_config_selectorILNS1_17partition_subalgoE5EtNS0_10empty_typeEbEEZZNS1_14partition_implILS5_5ELb0ES3_mN6thrust23THRUST_200600_302600_NS6detail15normal_iteratorINSA_10device_ptrItEEEEPS6_NSA_18transform_iteratorINSB_9not_fun_tI7is_trueItEEESF_NSA_11use_defaultESM_EENS0_5tupleIJSF_S6_EEENSO_IJSG_SG_EEES6_PlJS6_EEE10hipError_tPvRmT3_T4_T5_T6_T7_T9_mT8_P12ihipStream_tbDpT10_ENKUlT_T0_E_clISt17integral_constantIbLb0EES1A_IbLb1EEEEDaS16_S17_EUlS16_E_NS1_11comp_targetILNS1_3genE10ELNS1_11target_archE1200ELNS1_3gpuE4ELNS1_3repE0EEENS1_30default_config_static_selectorELNS0_4arch9wavefront6targetE0EEEvT1_,"axG",@progbits,_ZN7rocprim17ROCPRIM_400000_NS6detail17trampoline_kernelINS0_14default_configENS1_25partition_config_selectorILNS1_17partition_subalgoE5EtNS0_10empty_typeEbEEZZNS1_14partition_implILS5_5ELb0ES3_mN6thrust23THRUST_200600_302600_NS6detail15normal_iteratorINSA_10device_ptrItEEEEPS6_NSA_18transform_iteratorINSB_9not_fun_tI7is_trueItEEESF_NSA_11use_defaultESM_EENS0_5tupleIJSF_S6_EEENSO_IJSG_SG_EEES6_PlJS6_EEE10hipError_tPvRmT3_T4_T5_T6_T7_T9_mT8_P12ihipStream_tbDpT10_ENKUlT_T0_E_clISt17integral_constantIbLb0EES1A_IbLb1EEEEDaS16_S17_EUlS16_E_NS1_11comp_targetILNS1_3genE10ELNS1_11target_archE1200ELNS1_3gpuE4ELNS1_3repE0EEENS1_30default_config_static_selectorELNS0_4arch9wavefront6targetE0EEEvT1_,comdat
.Lfunc_end1463:
	.size	_ZN7rocprim17ROCPRIM_400000_NS6detail17trampoline_kernelINS0_14default_configENS1_25partition_config_selectorILNS1_17partition_subalgoE5EtNS0_10empty_typeEbEEZZNS1_14partition_implILS5_5ELb0ES3_mN6thrust23THRUST_200600_302600_NS6detail15normal_iteratorINSA_10device_ptrItEEEEPS6_NSA_18transform_iteratorINSB_9not_fun_tI7is_trueItEEESF_NSA_11use_defaultESM_EENS0_5tupleIJSF_S6_EEENSO_IJSG_SG_EEES6_PlJS6_EEE10hipError_tPvRmT3_T4_T5_T6_T7_T9_mT8_P12ihipStream_tbDpT10_ENKUlT_T0_E_clISt17integral_constantIbLb0EES1A_IbLb1EEEEDaS16_S17_EUlS16_E_NS1_11comp_targetILNS1_3genE10ELNS1_11target_archE1200ELNS1_3gpuE4ELNS1_3repE0EEENS1_30default_config_static_selectorELNS0_4arch9wavefront6targetE0EEEvT1_, .Lfunc_end1463-_ZN7rocprim17ROCPRIM_400000_NS6detail17trampoline_kernelINS0_14default_configENS1_25partition_config_selectorILNS1_17partition_subalgoE5EtNS0_10empty_typeEbEEZZNS1_14partition_implILS5_5ELb0ES3_mN6thrust23THRUST_200600_302600_NS6detail15normal_iteratorINSA_10device_ptrItEEEEPS6_NSA_18transform_iteratorINSB_9not_fun_tI7is_trueItEEESF_NSA_11use_defaultESM_EENS0_5tupleIJSF_S6_EEENSO_IJSG_SG_EEES6_PlJS6_EEE10hipError_tPvRmT3_T4_T5_T6_T7_T9_mT8_P12ihipStream_tbDpT10_ENKUlT_T0_E_clISt17integral_constantIbLb0EES1A_IbLb1EEEEDaS16_S17_EUlS16_E_NS1_11comp_targetILNS1_3genE10ELNS1_11target_archE1200ELNS1_3gpuE4ELNS1_3repE0EEENS1_30default_config_static_selectorELNS0_4arch9wavefront6targetE0EEEvT1_
                                        ; -- End function
	.set _ZN7rocprim17ROCPRIM_400000_NS6detail17trampoline_kernelINS0_14default_configENS1_25partition_config_selectorILNS1_17partition_subalgoE5EtNS0_10empty_typeEbEEZZNS1_14partition_implILS5_5ELb0ES3_mN6thrust23THRUST_200600_302600_NS6detail15normal_iteratorINSA_10device_ptrItEEEEPS6_NSA_18transform_iteratorINSB_9not_fun_tI7is_trueItEEESF_NSA_11use_defaultESM_EENS0_5tupleIJSF_S6_EEENSO_IJSG_SG_EEES6_PlJS6_EEE10hipError_tPvRmT3_T4_T5_T6_T7_T9_mT8_P12ihipStream_tbDpT10_ENKUlT_T0_E_clISt17integral_constantIbLb0EES1A_IbLb1EEEEDaS16_S17_EUlS16_E_NS1_11comp_targetILNS1_3genE10ELNS1_11target_archE1200ELNS1_3gpuE4ELNS1_3repE0EEENS1_30default_config_static_selectorELNS0_4arch9wavefront6targetE0EEEvT1_.num_vgpr, 65
	.set _ZN7rocprim17ROCPRIM_400000_NS6detail17trampoline_kernelINS0_14default_configENS1_25partition_config_selectorILNS1_17partition_subalgoE5EtNS0_10empty_typeEbEEZZNS1_14partition_implILS5_5ELb0ES3_mN6thrust23THRUST_200600_302600_NS6detail15normal_iteratorINSA_10device_ptrItEEEEPS6_NSA_18transform_iteratorINSB_9not_fun_tI7is_trueItEEESF_NSA_11use_defaultESM_EENS0_5tupleIJSF_S6_EEENSO_IJSG_SG_EEES6_PlJS6_EEE10hipError_tPvRmT3_T4_T5_T6_T7_T9_mT8_P12ihipStream_tbDpT10_ENKUlT_T0_E_clISt17integral_constantIbLb0EES1A_IbLb1EEEEDaS16_S17_EUlS16_E_NS1_11comp_targetILNS1_3genE10ELNS1_11target_archE1200ELNS1_3gpuE4ELNS1_3repE0EEENS1_30default_config_static_selectorELNS0_4arch9wavefront6targetE0EEEvT1_.num_agpr, 0
	.set _ZN7rocprim17ROCPRIM_400000_NS6detail17trampoline_kernelINS0_14default_configENS1_25partition_config_selectorILNS1_17partition_subalgoE5EtNS0_10empty_typeEbEEZZNS1_14partition_implILS5_5ELb0ES3_mN6thrust23THRUST_200600_302600_NS6detail15normal_iteratorINSA_10device_ptrItEEEEPS6_NSA_18transform_iteratorINSB_9not_fun_tI7is_trueItEEESF_NSA_11use_defaultESM_EENS0_5tupleIJSF_S6_EEENSO_IJSG_SG_EEES6_PlJS6_EEE10hipError_tPvRmT3_T4_T5_T6_T7_T9_mT8_P12ihipStream_tbDpT10_ENKUlT_T0_E_clISt17integral_constantIbLb0EES1A_IbLb1EEEEDaS16_S17_EUlS16_E_NS1_11comp_targetILNS1_3genE10ELNS1_11target_archE1200ELNS1_3gpuE4ELNS1_3repE0EEENS1_30default_config_static_selectorELNS0_4arch9wavefront6targetE0EEEvT1_.numbered_sgpr, 24
	.set _ZN7rocprim17ROCPRIM_400000_NS6detail17trampoline_kernelINS0_14default_configENS1_25partition_config_selectorILNS1_17partition_subalgoE5EtNS0_10empty_typeEbEEZZNS1_14partition_implILS5_5ELb0ES3_mN6thrust23THRUST_200600_302600_NS6detail15normal_iteratorINSA_10device_ptrItEEEEPS6_NSA_18transform_iteratorINSB_9not_fun_tI7is_trueItEEESF_NSA_11use_defaultESM_EENS0_5tupleIJSF_S6_EEENSO_IJSG_SG_EEES6_PlJS6_EEE10hipError_tPvRmT3_T4_T5_T6_T7_T9_mT8_P12ihipStream_tbDpT10_ENKUlT_T0_E_clISt17integral_constantIbLb0EES1A_IbLb1EEEEDaS16_S17_EUlS16_E_NS1_11comp_targetILNS1_3genE10ELNS1_11target_archE1200ELNS1_3gpuE4ELNS1_3repE0EEENS1_30default_config_static_selectorELNS0_4arch9wavefront6targetE0EEEvT1_.num_named_barrier, 0
	.set _ZN7rocprim17ROCPRIM_400000_NS6detail17trampoline_kernelINS0_14default_configENS1_25partition_config_selectorILNS1_17partition_subalgoE5EtNS0_10empty_typeEbEEZZNS1_14partition_implILS5_5ELb0ES3_mN6thrust23THRUST_200600_302600_NS6detail15normal_iteratorINSA_10device_ptrItEEEEPS6_NSA_18transform_iteratorINSB_9not_fun_tI7is_trueItEEESF_NSA_11use_defaultESM_EENS0_5tupleIJSF_S6_EEENSO_IJSG_SG_EEES6_PlJS6_EEE10hipError_tPvRmT3_T4_T5_T6_T7_T9_mT8_P12ihipStream_tbDpT10_ENKUlT_T0_E_clISt17integral_constantIbLb0EES1A_IbLb1EEEEDaS16_S17_EUlS16_E_NS1_11comp_targetILNS1_3genE10ELNS1_11target_archE1200ELNS1_3gpuE4ELNS1_3repE0EEENS1_30default_config_static_selectorELNS0_4arch9wavefront6targetE0EEEvT1_.private_seg_size, 0
	.set _ZN7rocprim17ROCPRIM_400000_NS6detail17trampoline_kernelINS0_14default_configENS1_25partition_config_selectorILNS1_17partition_subalgoE5EtNS0_10empty_typeEbEEZZNS1_14partition_implILS5_5ELb0ES3_mN6thrust23THRUST_200600_302600_NS6detail15normal_iteratorINSA_10device_ptrItEEEEPS6_NSA_18transform_iteratorINSB_9not_fun_tI7is_trueItEEESF_NSA_11use_defaultESM_EENS0_5tupleIJSF_S6_EEENSO_IJSG_SG_EEES6_PlJS6_EEE10hipError_tPvRmT3_T4_T5_T6_T7_T9_mT8_P12ihipStream_tbDpT10_ENKUlT_T0_E_clISt17integral_constantIbLb0EES1A_IbLb1EEEEDaS16_S17_EUlS16_E_NS1_11comp_targetILNS1_3genE10ELNS1_11target_archE1200ELNS1_3gpuE4ELNS1_3repE0EEENS1_30default_config_static_selectorELNS0_4arch9wavefront6targetE0EEEvT1_.uses_vcc, 1
	.set _ZN7rocprim17ROCPRIM_400000_NS6detail17trampoline_kernelINS0_14default_configENS1_25partition_config_selectorILNS1_17partition_subalgoE5EtNS0_10empty_typeEbEEZZNS1_14partition_implILS5_5ELb0ES3_mN6thrust23THRUST_200600_302600_NS6detail15normal_iteratorINSA_10device_ptrItEEEEPS6_NSA_18transform_iteratorINSB_9not_fun_tI7is_trueItEEESF_NSA_11use_defaultESM_EENS0_5tupleIJSF_S6_EEENSO_IJSG_SG_EEES6_PlJS6_EEE10hipError_tPvRmT3_T4_T5_T6_T7_T9_mT8_P12ihipStream_tbDpT10_ENKUlT_T0_E_clISt17integral_constantIbLb0EES1A_IbLb1EEEEDaS16_S17_EUlS16_E_NS1_11comp_targetILNS1_3genE10ELNS1_11target_archE1200ELNS1_3gpuE4ELNS1_3repE0EEENS1_30default_config_static_selectorELNS0_4arch9wavefront6targetE0EEEvT1_.uses_flat_scratch, 1
	.set _ZN7rocprim17ROCPRIM_400000_NS6detail17trampoline_kernelINS0_14default_configENS1_25partition_config_selectorILNS1_17partition_subalgoE5EtNS0_10empty_typeEbEEZZNS1_14partition_implILS5_5ELb0ES3_mN6thrust23THRUST_200600_302600_NS6detail15normal_iteratorINSA_10device_ptrItEEEEPS6_NSA_18transform_iteratorINSB_9not_fun_tI7is_trueItEEESF_NSA_11use_defaultESM_EENS0_5tupleIJSF_S6_EEENSO_IJSG_SG_EEES6_PlJS6_EEE10hipError_tPvRmT3_T4_T5_T6_T7_T9_mT8_P12ihipStream_tbDpT10_ENKUlT_T0_E_clISt17integral_constantIbLb0EES1A_IbLb1EEEEDaS16_S17_EUlS16_E_NS1_11comp_targetILNS1_3genE10ELNS1_11target_archE1200ELNS1_3gpuE4ELNS1_3repE0EEENS1_30default_config_static_selectorELNS0_4arch9wavefront6targetE0EEEvT1_.has_dyn_sized_stack, 0
	.set _ZN7rocprim17ROCPRIM_400000_NS6detail17trampoline_kernelINS0_14default_configENS1_25partition_config_selectorILNS1_17partition_subalgoE5EtNS0_10empty_typeEbEEZZNS1_14partition_implILS5_5ELb0ES3_mN6thrust23THRUST_200600_302600_NS6detail15normal_iteratorINSA_10device_ptrItEEEEPS6_NSA_18transform_iteratorINSB_9not_fun_tI7is_trueItEEESF_NSA_11use_defaultESM_EENS0_5tupleIJSF_S6_EEENSO_IJSG_SG_EEES6_PlJS6_EEE10hipError_tPvRmT3_T4_T5_T6_T7_T9_mT8_P12ihipStream_tbDpT10_ENKUlT_T0_E_clISt17integral_constantIbLb0EES1A_IbLb1EEEEDaS16_S17_EUlS16_E_NS1_11comp_targetILNS1_3genE10ELNS1_11target_archE1200ELNS1_3gpuE4ELNS1_3repE0EEENS1_30default_config_static_selectorELNS0_4arch9wavefront6targetE0EEEvT1_.has_recursion, 0
	.set _ZN7rocprim17ROCPRIM_400000_NS6detail17trampoline_kernelINS0_14default_configENS1_25partition_config_selectorILNS1_17partition_subalgoE5EtNS0_10empty_typeEbEEZZNS1_14partition_implILS5_5ELb0ES3_mN6thrust23THRUST_200600_302600_NS6detail15normal_iteratorINSA_10device_ptrItEEEEPS6_NSA_18transform_iteratorINSB_9not_fun_tI7is_trueItEEESF_NSA_11use_defaultESM_EENS0_5tupleIJSF_S6_EEENSO_IJSG_SG_EEES6_PlJS6_EEE10hipError_tPvRmT3_T4_T5_T6_T7_T9_mT8_P12ihipStream_tbDpT10_ENKUlT_T0_E_clISt17integral_constantIbLb0EES1A_IbLb1EEEEDaS16_S17_EUlS16_E_NS1_11comp_targetILNS1_3genE10ELNS1_11target_archE1200ELNS1_3gpuE4ELNS1_3repE0EEENS1_30default_config_static_selectorELNS0_4arch9wavefront6targetE0EEEvT1_.has_indirect_call, 0
	.section	.AMDGPU.csdata,"",@progbits
; Kernel info:
; codeLenInByte = 10636
; TotalNumSgprs: 26
; NumVgprs: 65
; ScratchSize: 0
; MemoryBound: 0
; FloatMode: 240
; IeeeMode: 1
; LDSByteSize: 6160 bytes/workgroup (compile time only)
; SGPRBlocks: 0
; VGPRBlocks: 8
; NumSGPRsForWavesPerEU: 26
; NumVGPRsForWavesPerEU: 65
; Occupancy: 16
; WaveLimiterHint : 1
; COMPUTE_PGM_RSRC2:SCRATCH_EN: 0
; COMPUTE_PGM_RSRC2:USER_SGPR: 2
; COMPUTE_PGM_RSRC2:TRAP_HANDLER: 0
; COMPUTE_PGM_RSRC2:TGID_X_EN: 1
; COMPUTE_PGM_RSRC2:TGID_Y_EN: 0
; COMPUTE_PGM_RSRC2:TGID_Z_EN: 0
; COMPUTE_PGM_RSRC2:TIDIG_COMP_CNT: 0
	.section	.text._ZN7rocprim17ROCPRIM_400000_NS6detail17trampoline_kernelINS0_14default_configENS1_25partition_config_selectorILNS1_17partition_subalgoE5EtNS0_10empty_typeEbEEZZNS1_14partition_implILS5_5ELb0ES3_mN6thrust23THRUST_200600_302600_NS6detail15normal_iteratorINSA_10device_ptrItEEEEPS6_NSA_18transform_iteratorINSB_9not_fun_tI7is_trueItEEESF_NSA_11use_defaultESM_EENS0_5tupleIJSF_S6_EEENSO_IJSG_SG_EEES6_PlJS6_EEE10hipError_tPvRmT3_T4_T5_T6_T7_T9_mT8_P12ihipStream_tbDpT10_ENKUlT_T0_E_clISt17integral_constantIbLb0EES1A_IbLb1EEEEDaS16_S17_EUlS16_E_NS1_11comp_targetILNS1_3genE9ELNS1_11target_archE1100ELNS1_3gpuE3ELNS1_3repE0EEENS1_30default_config_static_selectorELNS0_4arch9wavefront6targetE0EEEvT1_,"axG",@progbits,_ZN7rocprim17ROCPRIM_400000_NS6detail17trampoline_kernelINS0_14default_configENS1_25partition_config_selectorILNS1_17partition_subalgoE5EtNS0_10empty_typeEbEEZZNS1_14partition_implILS5_5ELb0ES3_mN6thrust23THRUST_200600_302600_NS6detail15normal_iteratorINSA_10device_ptrItEEEEPS6_NSA_18transform_iteratorINSB_9not_fun_tI7is_trueItEEESF_NSA_11use_defaultESM_EENS0_5tupleIJSF_S6_EEENSO_IJSG_SG_EEES6_PlJS6_EEE10hipError_tPvRmT3_T4_T5_T6_T7_T9_mT8_P12ihipStream_tbDpT10_ENKUlT_T0_E_clISt17integral_constantIbLb0EES1A_IbLb1EEEEDaS16_S17_EUlS16_E_NS1_11comp_targetILNS1_3genE9ELNS1_11target_archE1100ELNS1_3gpuE3ELNS1_3repE0EEENS1_30default_config_static_selectorELNS0_4arch9wavefront6targetE0EEEvT1_,comdat
	.protected	_ZN7rocprim17ROCPRIM_400000_NS6detail17trampoline_kernelINS0_14default_configENS1_25partition_config_selectorILNS1_17partition_subalgoE5EtNS0_10empty_typeEbEEZZNS1_14partition_implILS5_5ELb0ES3_mN6thrust23THRUST_200600_302600_NS6detail15normal_iteratorINSA_10device_ptrItEEEEPS6_NSA_18transform_iteratorINSB_9not_fun_tI7is_trueItEEESF_NSA_11use_defaultESM_EENS0_5tupleIJSF_S6_EEENSO_IJSG_SG_EEES6_PlJS6_EEE10hipError_tPvRmT3_T4_T5_T6_T7_T9_mT8_P12ihipStream_tbDpT10_ENKUlT_T0_E_clISt17integral_constantIbLb0EES1A_IbLb1EEEEDaS16_S17_EUlS16_E_NS1_11comp_targetILNS1_3genE9ELNS1_11target_archE1100ELNS1_3gpuE3ELNS1_3repE0EEENS1_30default_config_static_selectorELNS0_4arch9wavefront6targetE0EEEvT1_ ; -- Begin function _ZN7rocprim17ROCPRIM_400000_NS6detail17trampoline_kernelINS0_14default_configENS1_25partition_config_selectorILNS1_17partition_subalgoE5EtNS0_10empty_typeEbEEZZNS1_14partition_implILS5_5ELb0ES3_mN6thrust23THRUST_200600_302600_NS6detail15normal_iteratorINSA_10device_ptrItEEEEPS6_NSA_18transform_iteratorINSB_9not_fun_tI7is_trueItEEESF_NSA_11use_defaultESM_EENS0_5tupleIJSF_S6_EEENSO_IJSG_SG_EEES6_PlJS6_EEE10hipError_tPvRmT3_T4_T5_T6_T7_T9_mT8_P12ihipStream_tbDpT10_ENKUlT_T0_E_clISt17integral_constantIbLb0EES1A_IbLb1EEEEDaS16_S17_EUlS16_E_NS1_11comp_targetILNS1_3genE9ELNS1_11target_archE1100ELNS1_3gpuE3ELNS1_3repE0EEENS1_30default_config_static_selectorELNS0_4arch9wavefront6targetE0EEEvT1_
	.globl	_ZN7rocprim17ROCPRIM_400000_NS6detail17trampoline_kernelINS0_14default_configENS1_25partition_config_selectorILNS1_17partition_subalgoE5EtNS0_10empty_typeEbEEZZNS1_14partition_implILS5_5ELb0ES3_mN6thrust23THRUST_200600_302600_NS6detail15normal_iteratorINSA_10device_ptrItEEEEPS6_NSA_18transform_iteratorINSB_9not_fun_tI7is_trueItEEESF_NSA_11use_defaultESM_EENS0_5tupleIJSF_S6_EEENSO_IJSG_SG_EEES6_PlJS6_EEE10hipError_tPvRmT3_T4_T5_T6_T7_T9_mT8_P12ihipStream_tbDpT10_ENKUlT_T0_E_clISt17integral_constantIbLb0EES1A_IbLb1EEEEDaS16_S17_EUlS16_E_NS1_11comp_targetILNS1_3genE9ELNS1_11target_archE1100ELNS1_3gpuE3ELNS1_3repE0EEENS1_30default_config_static_selectorELNS0_4arch9wavefront6targetE0EEEvT1_
	.p2align	8
	.type	_ZN7rocprim17ROCPRIM_400000_NS6detail17trampoline_kernelINS0_14default_configENS1_25partition_config_selectorILNS1_17partition_subalgoE5EtNS0_10empty_typeEbEEZZNS1_14partition_implILS5_5ELb0ES3_mN6thrust23THRUST_200600_302600_NS6detail15normal_iteratorINSA_10device_ptrItEEEEPS6_NSA_18transform_iteratorINSB_9not_fun_tI7is_trueItEEESF_NSA_11use_defaultESM_EENS0_5tupleIJSF_S6_EEENSO_IJSG_SG_EEES6_PlJS6_EEE10hipError_tPvRmT3_T4_T5_T6_T7_T9_mT8_P12ihipStream_tbDpT10_ENKUlT_T0_E_clISt17integral_constantIbLb0EES1A_IbLb1EEEEDaS16_S17_EUlS16_E_NS1_11comp_targetILNS1_3genE9ELNS1_11target_archE1100ELNS1_3gpuE3ELNS1_3repE0EEENS1_30default_config_static_selectorELNS0_4arch9wavefront6targetE0EEEvT1_,@function
_ZN7rocprim17ROCPRIM_400000_NS6detail17trampoline_kernelINS0_14default_configENS1_25partition_config_selectorILNS1_17partition_subalgoE5EtNS0_10empty_typeEbEEZZNS1_14partition_implILS5_5ELb0ES3_mN6thrust23THRUST_200600_302600_NS6detail15normal_iteratorINSA_10device_ptrItEEEEPS6_NSA_18transform_iteratorINSB_9not_fun_tI7is_trueItEEESF_NSA_11use_defaultESM_EENS0_5tupleIJSF_S6_EEENSO_IJSG_SG_EEES6_PlJS6_EEE10hipError_tPvRmT3_T4_T5_T6_T7_T9_mT8_P12ihipStream_tbDpT10_ENKUlT_T0_E_clISt17integral_constantIbLb0EES1A_IbLb1EEEEDaS16_S17_EUlS16_E_NS1_11comp_targetILNS1_3genE9ELNS1_11target_archE1100ELNS1_3gpuE3ELNS1_3repE0EEENS1_30default_config_static_selectorELNS0_4arch9wavefront6targetE0EEEvT1_: ; @_ZN7rocprim17ROCPRIM_400000_NS6detail17trampoline_kernelINS0_14default_configENS1_25partition_config_selectorILNS1_17partition_subalgoE5EtNS0_10empty_typeEbEEZZNS1_14partition_implILS5_5ELb0ES3_mN6thrust23THRUST_200600_302600_NS6detail15normal_iteratorINSA_10device_ptrItEEEEPS6_NSA_18transform_iteratorINSB_9not_fun_tI7is_trueItEEESF_NSA_11use_defaultESM_EENS0_5tupleIJSF_S6_EEENSO_IJSG_SG_EEES6_PlJS6_EEE10hipError_tPvRmT3_T4_T5_T6_T7_T9_mT8_P12ihipStream_tbDpT10_ENKUlT_T0_E_clISt17integral_constantIbLb0EES1A_IbLb1EEEEDaS16_S17_EUlS16_E_NS1_11comp_targetILNS1_3genE9ELNS1_11target_archE1100ELNS1_3gpuE3ELNS1_3repE0EEENS1_30default_config_static_selectorELNS0_4arch9wavefront6targetE0EEEvT1_
; %bb.0:
	.section	.rodata,"a",@progbits
	.p2align	6, 0x0
	.amdhsa_kernel _ZN7rocprim17ROCPRIM_400000_NS6detail17trampoline_kernelINS0_14default_configENS1_25partition_config_selectorILNS1_17partition_subalgoE5EtNS0_10empty_typeEbEEZZNS1_14partition_implILS5_5ELb0ES3_mN6thrust23THRUST_200600_302600_NS6detail15normal_iteratorINSA_10device_ptrItEEEEPS6_NSA_18transform_iteratorINSB_9not_fun_tI7is_trueItEEESF_NSA_11use_defaultESM_EENS0_5tupleIJSF_S6_EEENSO_IJSG_SG_EEES6_PlJS6_EEE10hipError_tPvRmT3_T4_T5_T6_T7_T9_mT8_P12ihipStream_tbDpT10_ENKUlT_T0_E_clISt17integral_constantIbLb0EES1A_IbLb1EEEEDaS16_S17_EUlS16_E_NS1_11comp_targetILNS1_3genE9ELNS1_11target_archE1100ELNS1_3gpuE3ELNS1_3repE0EEENS1_30default_config_static_selectorELNS0_4arch9wavefront6targetE0EEEvT1_
		.amdhsa_group_segment_fixed_size 0
		.amdhsa_private_segment_fixed_size 0
		.amdhsa_kernarg_size 136
		.amdhsa_user_sgpr_count 2
		.amdhsa_user_sgpr_dispatch_ptr 0
		.amdhsa_user_sgpr_queue_ptr 0
		.amdhsa_user_sgpr_kernarg_segment_ptr 1
		.amdhsa_user_sgpr_dispatch_id 0
		.amdhsa_user_sgpr_private_segment_size 0
		.amdhsa_wavefront_size32 1
		.amdhsa_uses_dynamic_stack 0
		.amdhsa_enable_private_segment 0
		.amdhsa_system_sgpr_workgroup_id_x 1
		.amdhsa_system_sgpr_workgroup_id_y 0
		.amdhsa_system_sgpr_workgroup_id_z 0
		.amdhsa_system_sgpr_workgroup_info 0
		.amdhsa_system_vgpr_workitem_id 0
		.amdhsa_next_free_vgpr 1
		.amdhsa_next_free_sgpr 1
		.amdhsa_reserve_vcc 0
		.amdhsa_float_round_mode_32 0
		.amdhsa_float_round_mode_16_64 0
		.amdhsa_float_denorm_mode_32 3
		.amdhsa_float_denorm_mode_16_64 3
		.amdhsa_fp16_overflow 0
		.amdhsa_workgroup_processor_mode 1
		.amdhsa_memory_ordered 1
		.amdhsa_forward_progress 1
		.amdhsa_inst_pref_size 0
		.amdhsa_round_robin_scheduling 0
		.amdhsa_exception_fp_ieee_invalid_op 0
		.amdhsa_exception_fp_denorm_src 0
		.amdhsa_exception_fp_ieee_div_zero 0
		.amdhsa_exception_fp_ieee_overflow 0
		.amdhsa_exception_fp_ieee_underflow 0
		.amdhsa_exception_fp_ieee_inexact 0
		.amdhsa_exception_int_div_zero 0
	.end_amdhsa_kernel
	.section	.text._ZN7rocprim17ROCPRIM_400000_NS6detail17trampoline_kernelINS0_14default_configENS1_25partition_config_selectorILNS1_17partition_subalgoE5EtNS0_10empty_typeEbEEZZNS1_14partition_implILS5_5ELb0ES3_mN6thrust23THRUST_200600_302600_NS6detail15normal_iteratorINSA_10device_ptrItEEEEPS6_NSA_18transform_iteratorINSB_9not_fun_tI7is_trueItEEESF_NSA_11use_defaultESM_EENS0_5tupleIJSF_S6_EEENSO_IJSG_SG_EEES6_PlJS6_EEE10hipError_tPvRmT3_T4_T5_T6_T7_T9_mT8_P12ihipStream_tbDpT10_ENKUlT_T0_E_clISt17integral_constantIbLb0EES1A_IbLb1EEEEDaS16_S17_EUlS16_E_NS1_11comp_targetILNS1_3genE9ELNS1_11target_archE1100ELNS1_3gpuE3ELNS1_3repE0EEENS1_30default_config_static_selectorELNS0_4arch9wavefront6targetE0EEEvT1_,"axG",@progbits,_ZN7rocprim17ROCPRIM_400000_NS6detail17trampoline_kernelINS0_14default_configENS1_25partition_config_selectorILNS1_17partition_subalgoE5EtNS0_10empty_typeEbEEZZNS1_14partition_implILS5_5ELb0ES3_mN6thrust23THRUST_200600_302600_NS6detail15normal_iteratorINSA_10device_ptrItEEEEPS6_NSA_18transform_iteratorINSB_9not_fun_tI7is_trueItEEESF_NSA_11use_defaultESM_EENS0_5tupleIJSF_S6_EEENSO_IJSG_SG_EEES6_PlJS6_EEE10hipError_tPvRmT3_T4_T5_T6_T7_T9_mT8_P12ihipStream_tbDpT10_ENKUlT_T0_E_clISt17integral_constantIbLb0EES1A_IbLb1EEEEDaS16_S17_EUlS16_E_NS1_11comp_targetILNS1_3genE9ELNS1_11target_archE1100ELNS1_3gpuE3ELNS1_3repE0EEENS1_30default_config_static_selectorELNS0_4arch9wavefront6targetE0EEEvT1_,comdat
.Lfunc_end1464:
	.size	_ZN7rocprim17ROCPRIM_400000_NS6detail17trampoline_kernelINS0_14default_configENS1_25partition_config_selectorILNS1_17partition_subalgoE5EtNS0_10empty_typeEbEEZZNS1_14partition_implILS5_5ELb0ES3_mN6thrust23THRUST_200600_302600_NS6detail15normal_iteratorINSA_10device_ptrItEEEEPS6_NSA_18transform_iteratorINSB_9not_fun_tI7is_trueItEEESF_NSA_11use_defaultESM_EENS0_5tupleIJSF_S6_EEENSO_IJSG_SG_EEES6_PlJS6_EEE10hipError_tPvRmT3_T4_T5_T6_T7_T9_mT8_P12ihipStream_tbDpT10_ENKUlT_T0_E_clISt17integral_constantIbLb0EES1A_IbLb1EEEEDaS16_S17_EUlS16_E_NS1_11comp_targetILNS1_3genE9ELNS1_11target_archE1100ELNS1_3gpuE3ELNS1_3repE0EEENS1_30default_config_static_selectorELNS0_4arch9wavefront6targetE0EEEvT1_, .Lfunc_end1464-_ZN7rocprim17ROCPRIM_400000_NS6detail17trampoline_kernelINS0_14default_configENS1_25partition_config_selectorILNS1_17partition_subalgoE5EtNS0_10empty_typeEbEEZZNS1_14partition_implILS5_5ELb0ES3_mN6thrust23THRUST_200600_302600_NS6detail15normal_iteratorINSA_10device_ptrItEEEEPS6_NSA_18transform_iteratorINSB_9not_fun_tI7is_trueItEEESF_NSA_11use_defaultESM_EENS0_5tupleIJSF_S6_EEENSO_IJSG_SG_EEES6_PlJS6_EEE10hipError_tPvRmT3_T4_T5_T6_T7_T9_mT8_P12ihipStream_tbDpT10_ENKUlT_T0_E_clISt17integral_constantIbLb0EES1A_IbLb1EEEEDaS16_S17_EUlS16_E_NS1_11comp_targetILNS1_3genE9ELNS1_11target_archE1100ELNS1_3gpuE3ELNS1_3repE0EEENS1_30default_config_static_selectorELNS0_4arch9wavefront6targetE0EEEvT1_
                                        ; -- End function
	.set _ZN7rocprim17ROCPRIM_400000_NS6detail17trampoline_kernelINS0_14default_configENS1_25partition_config_selectorILNS1_17partition_subalgoE5EtNS0_10empty_typeEbEEZZNS1_14partition_implILS5_5ELb0ES3_mN6thrust23THRUST_200600_302600_NS6detail15normal_iteratorINSA_10device_ptrItEEEEPS6_NSA_18transform_iteratorINSB_9not_fun_tI7is_trueItEEESF_NSA_11use_defaultESM_EENS0_5tupleIJSF_S6_EEENSO_IJSG_SG_EEES6_PlJS6_EEE10hipError_tPvRmT3_T4_T5_T6_T7_T9_mT8_P12ihipStream_tbDpT10_ENKUlT_T0_E_clISt17integral_constantIbLb0EES1A_IbLb1EEEEDaS16_S17_EUlS16_E_NS1_11comp_targetILNS1_3genE9ELNS1_11target_archE1100ELNS1_3gpuE3ELNS1_3repE0EEENS1_30default_config_static_selectorELNS0_4arch9wavefront6targetE0EEEvT1_.num_vgpr, 0
	.set _ZN7rocprim17ROCPRIM_400000_NS6detail17trampoline_kernelINS0_14default_configENS1_25partition_config_selectorILNS1_17partition_subalgoE5EtNS0_10empty_typeEbEEZZNS1_14partition_implILS5_5ELb0ES3_mN6thrust23THRUST_200600_302600_NS6detail15normal_iteratorINSA_10device_ptrItEEEEPS6_NSA_18transform_iteratorINSB_9not_fun_tI7is_trueItEEESF_NSA_11use_defaultESM_EENS0_5tupleIJSF_S6_EEENSO_IJSG_SG_EEES6_PlJS6_EEE10hipError_tPvRmT3_T4_T5_T6_T7_T9_mT8_P12ihipStream_tbDpT10_ENKUlT_T0_E_clISt17integral_constantIbLb0EES1A_IbLb1EEEEDaS16_S17_EUlS16_E_NS1_11comp_targetILNS1_3genE9ELNS1_11target_archE1100ELNS1_3gpuE3ELNS1_3repE0EEENS1_30default_config_static_selectorELNS0_4arch9wavefront6targetE0EEEvT1_.num_agpr, 0
	.set _ZN7rocprim17ROCPRIM_400000_NS6detail17trampoline_kernelINS0_14default_configENS1_25partition_config_selectorILNS1_17partition_subalgoE5EtNS0_10empty_typeEbEEZZNS1_14partition_implILS5_5ELb0ES3_mN6thrust23THRUST_200600_302600_NS6detail15normal_iteratorINSA_10device_ptrItEEEEPS6_NSA_18transform_iteratorINSB_9not_fun_tI7is_trueItEEESF_NSA_11use_defaultESM_EENS0_5tupleIJSF_S6_EEENSO_IJSG_SG_EEES6_PlJS6_EEE10hipError_tPvRmT3_T4_T5_T6_T7_T9_mT8_P12ihipStream_tbDpT10_ENKUlT_T0_E_clISt17integral_constantIbLb0EES1A_IbLb1EEEEDaS16_S17_EUlS16_E_NS1_11comp_targetILNS1_3genE9ELNS1_11target_archE1100ELNS1_3gpuE3ELNS1_3repE0EEENS1_30default_config_static_selectorELNS0_4arch9wavefront6targetE0EEEvT1_.numbered_sgpr, 0
	.set _ZN7rocprim17ROCPRIM_400000_NS6detail17trampoline_kernelINS0_14default_configENS1_25partition_config_selectorILNS1_17partition_subalgoE5EtNS0_10empty_typeEbEEZZNS1_14partition_implILS5_5ELb0ES3_mN6thrust23THRUST_200600_302600_NS6detail15normal_iteratorINSA_10device_ptrItEEEEPS6_NSA_18transform_iteratorINSB_9not_fun_tI7is_trueItEEESF_NSA_11use_defaultESM_EENS0_5tupleIJSF_S6_EEENSO_IJSG_SG_EEES6_PlJS6_EEE10hipError_tPvRmT3_T4_T5_T6_T7_T9_mT8_P12ihipStream_tbDpT10_ENKUlT_T0_E_clISt17integral_constantIbLb0EES1A_IbLb1EEEEDaS16_S17_EUlS16_E_NS1_11comp_targetILNS1_3genE9ELNS1_11target_archE1100ELNS1_3gpuE3ELNS1_3repE0EEENS1_30default_config_static_selectorELNS0_4arch9wavefront6targetE0EEEvT1_.num_named_barrier, 0
	.set _ZN7rocprim17ROCPRIM_400000_NS6detail17trampoline_kernelINS0_14default_configENS1_25partition_config_selectorILNS1_17partition_subalgoE5EtNS0_10empty_typeEbEEZZNS1_14partition_implILS5_5ELb0ES3_mN6thrust23THRUST_200600_302600_NS6detail15normal_iteratorINSA_10device_ptrItEEEEPS6_NSA_18transform_iteratorINSB_9not_fun_tI7is_trueItEEESF_NSA_11use_defaultESM_EENS0_5tupleIJSF_S6_EEENSO_IJSG_SG_EEES6_PlJS6_EEE10hipError_tPvRmT3_T4_T5_T6_T7_T9_mT8_P12ihipStream_tbDpT10_ENKUlT_T0_E_clISt17integral_constantIbLb0EES1A_IbLb1EEEEDaS16_S17_EUlS16_E_NS1_11comp_targetILNS1_3genE9ELNS1_11target_archE1100ELNS1_3gpuE3ELNS1_3repE0EEENS1_30default_config_static_selectorELNS0_4arch9wavefront6targetE0EEEvT1_.private_seg_size, 0
	.set _ZN7rocprim17ROCPRIM_400000_NS6detail17trampoline_kernelINS0_14default_configENS1_25partition_config_selectorILNS1_17partition_subalgoE5EtNS0_10empty_typeEbEEZZNS1_14partition_implILS5_5ELb0ES3_mN6thrust23THRUST_200600_302600_NS6detail15normal_iteratorINSA_10device_ptrItEEEEPS6_NSA_18transform_iteratorINSB_9not_fun_tI7is_trueItEEESF_NSA_11use_defaultESM_EENS0_5tupleIJSF_S6_EEENSO_IJSG_SG_EEES6_PlJS6_EEE10hipError_tPvRmT3_T4_T5_T6_T7_T9_mT8_P12ihipStream_tbDpT10_ENKUlT_T0_E_clISt17integral_constantIbLb0EES1A_IbLb1EEEEDaS16_S17_EUlS16_E_NS1_11comp_targetILNS1_3genE9ELNS1_11target_archE1100ELNS1_3gpuE3ELNS1_3repE0EEENS1_30default_config_static_selectorELNS0_4arch9wavefront6targetE0EEEvT1_.uses_vcc, 0
	.set _ZN7rocprim17ROCPRIM_400000_NS6detail17trampoline_kernelINS0_14default_configENS1_25partition_config_selectorILNS1_17partition_subalgoE5EtNS0_10empty_typeEbEEZZNS1_14partition_implILS5_5ELb0ES3_mN6thrust23THRUST_200600_302600_NS6detail15normal_iteratorINSA_10device_ptrItEEEEPS6_NSA_18transform_iteratorINSB_9not_fun_tI7is_trueItEEESF_NSA_11use_defaultESM_EENS0_5tupleIJSF_S6_EEENSO_IJSG_SG_EEES6_PlJS6_EEE10hipError_tPvRmT3_T4_T5_T6_T7_T9_mT8_P12ihipStream_tbDpT10_ENKUlT_T0_E_clISt17integral_constantIbLb0EES1A_IbLb1EEEEDaS16_S17_EUlS16_E_NS1_11comp_targetILNS1_3genE9ELNS1_11target_archE1100ELNS1_3gpuE3ELNS1_3repE0EEENS1_30default_config_static_selectorELNS0_4arch9wavefront6targetE0EEEvT1_.uses_flat_scratch, 0
	.set _ZN7rocprim17ROCPRIM_400000_NS6detail17trampoline_kernelINS0_14default_configENS1_25partition_config_selectorILNS1_17partition_subalgoE5EtNS0_10empty_typeEbEEZZNS1_14partition_implILS5_5ELb0ES3_mN6thrust23THRUST_200600_302600_NS6detail15normal_iteratorINSA_10device_ptrItEEEEPS6_NSA_18transform_iteratorINSB_9not_fun_tI7is_trueItEEESF_NSA_11use_defaultESM_EENS0_5tupleIJSF_S6_EEENSO_IJSG_SG_EEES6_PlJS6_EEE10hipError_tPvRmT3_T4_T5_T6_T7_T9_mT8_P12ihipStream_tbDpT10_ENKUlT_T0_E_clISt17integral_constantIbLb0EES1A_IbLb1EEEEDaS16_S17_EUlS16_E_NS1_11comp_targetILNS1_3genE9ELNS1_11target_archE1100ELNS1_3gpuE3ELNS1_3repE0EEENS1_30default_config_static_selectorELNS0_4arch9wavefront6targetE0EEEvT1_.has_dyn_sized_stack, 0
	.set _ZN7rocprim17ROCPRIM_400000_NS6detail17trampoline_kernelINS0_14default_configENS1_25partition_config_selectorILNS1_17partition_subalgoE5EtNS0_10empty_typeEbEEZZNS1_14partition_implILS5_5ELb0ES3_mN6thrust23THRUST_200600_302600_NS6detail15normal_iteratorINSA_10device_ptrItEEEEPS6_NSA_18transform_iteratorINSB_9not_fun_tI7is_trueItEEESF_NSA_11use_defaultESM_EENS0_5tupleIJSF_S6_EEENSO_IJSG_SG_EEES6_PlJS6_EEE10hipError_tPvRmT3_T4_T5_T6_T7_T9_mT8_P12ihipStream_tbDpT10_ENKUlT_T0_E_clISt17integral_constantIbLb0EES1A_IbLb1EEEEDaS16_S17_EUlS16_E_NS1_11comp_targetILNS1_3genE9ELNS1_11target_archE1100ELNS1_3gpuE3ELNS1_3repE0EEENS1_30default_config_static_selectorELNS0_4arch9wavefront6targetE0EEEvT1_.has_recursion, 0
	.set _ZN7rocprim17ROCPRIM_400000_NS6detail17trampoline_kernelINS0_14default_configENS1_25partition_config_selectorILNS1_17partition_subalgoE5EtNS0_10empty_typeEbEEZZNS1_14partition_implILS5_5ELb0ES3_mN6thrust23THRUST_200600_302600_NS6detail15normal_iteratorINSA_10device_ptrItEEEEPS6_NSA_18transform_iteratorINSB_9not_fun_tI7is_trueItEEESF_NSA_11use_defaultESM_EENS0_5tupleIJSF_S6_EEENSO_IJSG_SG_EEES6_PlJS6_EEE10hipError_tPvRmT3_T4_T5_T6_T7_T9_mT8_P12ihipStream_tbDpT10_ENKUlT_T0_E_clISt17integral_constantIbLb0EES1A_IbLb1EEEEDaS16_S17_EUlS16_E_NS1_11comp_targetILNS1_3genE9ELNS1_11target_archE1100ELNS1_3gpuE3ELNS1_3repE0EEENS1_30default_config_static_selectorELNS0_4arch9wavefront6targetE0EEEvT1_.has_indirect_call, 0
	.section	.AMDGPU.csdata,"",@progbits
; Kernel info:
; codeLenInByte = 0
; TotalNumSgprs: 0
; NumVgprs: 0
; ScratchSize: 0
; MemoryBound: 0
; FloatMode: 240
; IeeeMode: 1
; LDSByteSize: 0 bytes/workgroup (compile time only)
; SGPRBlocks: 0
; VGPRBlocks: 0
; NumSGPRsForWavesPerEU: 1
; NumVGPRsForWavesPerEU: 1
; Occupancy: 16
; WaveLimiterHint : 0
; COMPUTE_PGM_RSRC2:SCRATCH_EN: 0
; COMPUTE_PGM_RSRC2:USER_SGPR: 2
; COMPUTE_PGM_RSRC2:TRAP_HANDLER: 0
; COMPUTE_PGM_RSRC2:TGID_X_EN: 1
; COMPUTE_PGM_RSRC2:TGID_Y_EN: 0
; COMPUTE_PGM_RSRC2:TGID_Z_EN: 0
; COMPUTE_PGM_RSRC2:TIDIG_COMP_CNT: 0
	.section	.text._ZN7rocprim17ROCPRIM_400000_NS6detail17trampoline_kernelINS0_14default_configENS1_25partition_config_selectorILNS1_17partition_subalgoE5EtNS0_10empty_typeEbEEZZNS1_14partition_implILS5_5ELb0ES3_mN6thrust23THRUST_200600_302600_NS6detail15normal_iteratorINSA_10device_ptrItEEEEPS6_NSA_18transform_iteratorINSB_9not_fun_tI7is_trueItEEESF_NSA_11use_defaultESM_EENS0_5tupleIJSF_S6_EEENSO_IJSG_SG_EEES6_PlJS6_EEE10hipError_tPvRmT3_T4_T5_T6_T7_T9_mT8_P12ihipStream_tbDpT10_ENKUlT_T0_E_clISt17integral_constantIbLb0EES1A_IbLb1EEEEDaS16_S17_EUlS16_E_NS1_11comp_targetILNS1_3genE8ELNS1_11target_archE1030ELNS1_3gpuE2ELNS1_3repE0EEENS1_30default_config_static_selectorELNS0_4arch9wavefront6targetE0EEEvT1_,"axG",@progbits,_ZN7rocprim17ROCPRIM_400000_NS6detail17trampoline_kernelINS0_14default_configENS1_25partition_config_selectorILNS1_17partition_subalgoE5EtNS0_10empty_typeEbEEZZNS1_14partition_implILS5_5ELb0ES3_mN6thrust23THRUST_200600_302600_NS6detail15normal_iteratorINSA_10device_ptrItEEEEPS6_NSA_18transform_iteratorINSB_9not_fun_tI7is_trueItEEESF_NSA_11use_defaultESM_EENS0_5tupleIJSF_S6_EEENSO_IJSG_SG_EEES6_PlJS6_EEE10hipError_tPvRmT3_T4_T5_T6_T7_T9_mT8_P12ihipStream_tbDpT10_ENKUlT_T0_E_clISt17integral_constantIbLb0EES1A_IbLb1EEEEDaS16_S17_EUlS16_E_NS1_11comp_targetILNS1_3genE8ELNS1_11target_archE1030ELNS1_3gpuE2ELNS1_3repE0EEENS1_30default_config_static_selectorELNS0_4arch9wavefront6targetE0EEEvT1_,comdat
	.protected	_ZN7rocprim17ROCPRIM_400000_NS6detail17trampoline_kernelINS0_14default_configENS1_25partition_config_selectorILNS1_17partition_subalgoE5EtNS0_10empty_typeEbEEZZNS1_14partition_implILS5_5ELb0ES3_mN6thrust23THRUST_200600_302600_NS6detail15normal_iteratorINSA_10device_ptrItEEEEPS6_NSA_18transform_iteratorINSB_9not_fun_tI7is_trueItEEESF_NSA_11use_defaultESM_EENS0_5tupleIJSF_S6_EEENSO_IJSG_SG_EEES6_PlJS6_EEE10hipError_tPvRmT3_T4_T5_T6_T7_T9_mT8_P12ihipStream_tbDpT10_ENKUlT_T0_E_clISt17integral_constantIbLb0EES1A_IbLb1EEEEDaS16_S17_EUlS16_E_NS1_11comp_targetILNS1_3genE8ELNS1_11target_archE1030ELNS1_3gpuE2ELNS1_3repE0EEENS1_30default_config_static_selectorELNS0_4arch9wavefront6targetE0EEEvT1_ ; -- Begin function _ZN7rocprim17ROCPRIM_400000_NS6detail17trampoline_kernelINS0_14default_configENS1_25partition_config_selectorILNS1_17partition_subalgoE5EtNS0_10empty_typeEbEEZZNS1_14partition_implILS5_5ELb0ES3_mN6thrust23THRUST_200600_302600_NS6detail15normal_iteratorINSA_10device_ptrItEEEEPS6_NSA_18transform_iteratorINSB_9not_fun_tI7is_trueItEEESF_NSA_11use_defaultESM_EENS0_5tupleIJSF_S6_EEENSO_IJSG_SG_EEES6_PlJS6_EEE10hipError_tPvRmT3_T4_T5_T6_T7_T9_mT8_P12ihipStream_tbDpT10_ENKUlT_T0_E_clISt17integral_constantIbLb0EES1A_IbLb1EEEEDaS16_S17_EUlS16_E_NS1_11comp_targetILNS1_3genE8ELNS1_11target_archE1030ELNS1_3gpuE2ELNS1_3repE0EEENS1_30default_config_static_selectorELNS0_4arch9wavefront6targetE0EEEvT1_
	.globl	_ZN7rocprim17ROCPRIM_400000_NS6detail17trampoline_kernelINS0_14default_configENS1_25partition_config_selectorILNS1_17partition_subalgoE5EtNS0_10empty_typeEbEEZZNS1_14partition_implILS5_5ELb0ES3_mN6thrust23THRUST_200600_302600_NS6detail15normal_iteratorINSA_10device_ptrItEEEEPS6_NSA_18transform_iteratorINSB_9not_fun_tI7is_trueItEEESF_NSA_11use_defaultESM_EENS0_5tupleIJSF_S6_EEENSO_IJSG_SG_EEES6_PlJS6_EEE10hipError_tPvRmT3_T4_T5_T6_T7_T9_mT8_P12ihipStream_tbDpT10_ENKUlT_T0_E_clISt17integral_constantIbLb0EES1A_IbLb1EEEEDaS16_S17_EUlS16_E_NS1_11comp_targetILNS1_3genE8ELNS1_11target_archE1030ELNS1_3gpuE2ELNS1_3repE0EEENS1_30default_config_static_selectorELNS0_4arch9wavefront6targetE0EEEvT1_
	.p2align	8
	.type	_ZN7rocprim17ROCPRIM_400000_NS6detail17trampoline_kernelINS0_14default_configENS1_25partition_config_selectorILNS1_17partition_subalgoE5EtNS0_10empty_typeEbEEZZNS1_14partition_implILS5_5ELb0ES3_mN6thrust23THRUST_200600_302600_NS6detail15normal_iteratorINSA_10device_ptrItEEEEPS6_NSA_18transform_iteratorINSB_9not_fun_tI7is_trueItEEESF_NSA_11use_defaultESM_EENS0_5tupleIJSF_S6_EEENSO_IJSG_SG_EEES6_PlJS6_EEE10hipError_tPvRmT3_T4_T5_T6_T7_T9_mT8_P12ihipStream_tbDpT10_ENKUlT_T0_E_clISt17integral_constantIbLb0EES1A_IbLb1EEEEDaS16_S17_EUlS16_E_NS1_11comp_targetILNS1_3genE8ELNS1_11target_archE1030ELNS1_3gpuE2ELNS1_3repE0EEENS1_30default_config_static_selectorELNS0_4arch9wavefront6targetE0EEEvT1_,@function
_ZN7rocprim17ROCPRIM_400000_NS6detail17trampoline_kernelINS0_14default_configENS1_25partition_config_selectorILNS1_17partition_subalgoE5EtNS0_10empty_typeEbEEZZNS1_14partition_implILS5_5ELb0ES3_mN6thrust23THRUST_200600_302600_NS6detail15normal_iteratorINSA_10device_ptrItEEEEPS6_NSA_18transform_iteratorINSB_9not_fun_tI7is_trueItEEESF_NSA_11use_defaultESM_EENS0_5tupleIJSF_S6_EEENSO_IJSG_SG_EEES6_PlJS6_EEE10hipError_tPvRmT3_T4_T5_T6_T7_T9_mT8_P12ihipStream_tbDpT10_ENKUlT_T0_E_clISt17integral_constantIbLb0EES1A_IbLb1EEEEDaS16_S17_EUlS16_E_NS1_11comp_targetILNS1_3genE8ELNS1_11target_archE1030ELNS1_3gpuE2ELNS1_3repE0EEENS1_30default_config_static_selectorELNS0_4arch9wavefront6targetE0EEEvT1_: ; @_ZN7rocprim17ROCPRIM_400000_NS6detail17trampoline_kernelINS0_14default_configENS1_25partition_config_selectorILNS1_17partition_subalgoE5EtNS0_10empty_typeEbEEZZNS1_14partition_implILS5_5ELb0ES3_mN6thrust23THRUST_200600_302600_NS6detail15normal_iteratorINSA_10device_ptrItEEEEPS6_NSA_18transform_iteratorINSB_9not_fun_tI7is_trueItEEESF_NSA_11use_defaultESM_EENS0_5tupleIJSF_S6_EEENSO_IJSG_SG_EEES6_PlJS6_EEE10hipError_tPvRmT3_T4_T5_T6_T7_T9_mT8_P12ihipStream_tbDpT10_ENKUlT_T0_E_clISt17integral_constantIbLb0EES1A_IbLb1EEEEDaS16_S17_EUlS16_E_NS1_11comp_targetILNS1_3genE8ELNS1_11target_archE1030ELNS1_3gpuE2ELNS1_3repE0EEENS1_30default_config_static_selectorELNS0_4arch9wavefront6targetE0EEEvT1_
; %bb.0:
	.section	.rodata,"a",@progbits
	.p2align	6, 0x0
	.amdhsa_kernel _ZN7rocprim17ROCPRIM_400000_NS6detail17trampoline_kernelINS0_14default_configENS1_25partition_config_selectorILNS1_17partition_subalgoE5EtNS0_10empty_typeEbEEZZNS1_14partition_implILS5_5ELb0ES3_mN6thrust23THRUST_200600_302600_NS6detail15normal_iteratorINSA_10device_ptrItEEEEPS6_NSA_18transform_iteratorINSB_9not_fun_tI7is_trueItEEESF_NSA_11use_defaultESM_EENS0_5tupleIJSF_S6_EEENSO_IJSG_SG_EEES6_PlJS6_EEE10hipError_tPvRmT3_T4_T5_T6_T7_T9_mT8_P12ihipStream_tbDpT10_ENKUlT_T0_E_clISt17integral_constantIbLb0EES1A_IbLb1EEEEDaS16_S17_EUlS16_E_NS1_11comp_targetILNS1_3genE8ELNS1_11target_archE1030ELNS1_3gpuE2ELNS1_3repE0EEENS1_30default_config_static_selectorELNS0_4arch9wavefront6targetE0EEEvT1_
		.amdhsa_group_segment_fixed_size 0
		.amdhsa_private_segment_fixed_size 0
		.amdhsa_kernarg_size 136
		.amdhsa_user_sgpr_count 2
		.amdhsa_user_sgpr_dispatch_ptr 0
		.amdhsa_user_sgpr_queue_ptr 0
		.amdhsa_user_sgpr_kernarg_segment_ptr 1
		.amdhsa_user_sgpr_dispatch_id 0
		.amdhsa_user_sgpr_private_segment_size 0
		.amdhsa_wavefront_size32 1
		.amdhsa_uses_dynamic_stack 0
		.amdhsa_enable_private_segment 0
		.amdhsa_system_sgpr_workgroup_id_x 1
		.amdhsa_system_sgpr_workgroup_id_y 0
		.amdhsa_system_sgpr_workgroup_id_z 0
		.amdhsa_system_sgpr_workgroup_info 0
		.amdhsa_system_vgpr_workitem_id 0
		.amdhsa_next_free_vgpr 1
		.amdhsa_next_free_sgpr 1
		.amdhsa_reserve_vcc 0
		.amdhsa_float_round_mode_32 0
		.amdhsa_float_round_mode_16_64 0
		.amdhsa_float_denorm_mode_32 3
		.amdhsa_float_denorm_mode_16_64 3
		.amdhsa_fp16_overflow 0
		.amdhsa_workgroup_processor_mode 1
		.amdhsa_memory_ordered 1
		.amdhsa_forward_progress 1
		.amdhsa_inst_pref_size 0
		.amdhsa_round_robin_scheduling 0
		.amdhsa_exception_fp_ieee_invalid_op 0
		.amdhsa_exception_fp_denorm_src 0
		.amdhsa_exception_fp_ieee_div_zero 0
		.amdhsa_exception_fp_ieee_overflow 0
		.amdhsa_exception_fp_ieee_underflow 0
		.amdhsa_exception_fp_ieee_inexact 0
		.amdhsa_exception_int_div_zero 0
	.end_amdhsa_kernel
	.section	.text._ZN7rocprim17ROCPRIM_400000_NS6detail17trampoline_kernelINS0_14default_configENS1_25partition_config_selectorILNS1_17partition_subalgoE5EtNS0_10empty_typeEbEEZZNS1_14partition_implILS5_5ELb0ES3_mN6thrust23THRUST_200600_302600_NS6detail15normal_iteratorINSA_10device_ptrItEEEEPS6_NSA_18transform_iteratorINSB_9not_fun_tI7is_trueItEEESF_NSA_11use_defaultESM_EENS0_5tupleIJSF_S6_EEENSO_IJSG_SG_EEES6_PlJS6_EEE10hipError_tPvRmT3_T4_T5_T6_T7_T9_mT8_P12ihipStream_tbDpT10_ENKUlT_T0_E_clISt17integral_constantIbLb0EES1A_IbLb1EEEEDaS16_S17_EUlS16_E_NS1_11comp_targetILNS1_3genE8ELNS1_11target_archE1030ELNS1_3gpuE2ELNS1_3repE0EEENS1_30default_config_static_selectorELNS0_4arch9wavefront6targetE0EEEvT1_,"axG",@progbits,_ZN7rocprim17ROCPRIM_400000_NS6detail17trampoline_kernelINS0_14default_configENS1_25partition_config_selectorILNS1_17partition_subalgoE5EtNS0_10empty_typeEbEEZZNS1_14partition_implILS5_5ELb0ES3_mN6thrust23THRUST_200600_302600_NS6detail15normal_iteratorINSA_10device_ptrItEEEEPS6_NSA_18transform_iteratorINSB_9not_fun_tI7is_trueItEEESF_NSA_11use_defaultESM_EENS0_5tupleIJSF_S6_EEENSO_IJSG_SG_EEES6_PlJS6_EEE10hipError_tPvRmT3_T4_T5_T6_T7_T9_mT8_P12ihipStream_tbDpT10_ENKUlT_T0_E_clISt17integral_constantIbLb0EES1A_IbLb1EEEEDaS16_S17_EUlS16_E_NS1_11comp_targetILNS1_3genE8ELNS1_11target_archE1030ELNS1_3gpuE2ELNS1_3repE0EEENS1_30default_config_static_selectorELNS0_4arch9wavefront6targetE0EEEvT1_,comdat
.Lfunc_end1465:
	.size	_ZN7rocprim17ROCPRIM_400000_NS6detail17trampoline_kernelINS0_14default_configENS1_25partition_config_selectorILNS1_17partition_subalgoE5EtNS0_10empty_typeEbEEZZNS1_14partition_implILS5_5ELb0ES3_mN6thrust23THRUST_200600_302600_NS6detail15normal_iteratorINSA_10device_ptrItEEEEPS6_NSA_18transform_iteratorINSB_9not_fun_tI7is_trueItEEESF_NSA_11use_defaultESM_EENS0_5tupleIJSF_S6_EEENSO_IJSG_SG_EEES6_PlJS6_EEE10hipError_tPvRmT3_T4_T5_T6_T7_T9_mT8_P12ihipStream_tbDpT10_ENKUlT_T0_E_clISt17integral_constantIbLb0EES1A_IbLb1EEEEDaS16_S17_EUlS16_E_NS1_11comp_targetILNS1_3genE8ELNS1_11target_archE1030ELNS1_3gpuE2ELNS1_3repE0EEENS1_30default_config_static_selectorELNS0_4arch9wavefront6targetE0EEEvT1_, .Lfunc_end1465-_ZN7rocprim17ROCPRIM_400000_NS6detail17trampoline_kernelINS0_14default_configENS1_25partition_config_selectorILNS1_17partition_subalgoE5EtNS0_10empty_typeEbEEZZNS1_14partition_implILS5_5ELb0ES3_mN6thrust23THRUST_200600_302600_NS6detail15normal_iteratorINSA_10device_ptrItEEEEPS6_NSA_18transform_iteratorINSB_9not_fun_tI7is_trueItEEESF_NSA_11use_defaultESM_EENS0_5tupleIJSF_S6_EEENSO_IJSG_SG_EEES6_PlJS6_EEE10hipError_tPvRmT3_T4_T5_T6_T7_T9_mT8_P12ihipStream_tbDpT10_ENKUlT_T0_E_clISt17integral_constantIbLb0EES1A_IbLb1EEEEDaS16_S17_EUlS16_E_NS1_11comp_targetILNS1_3genE8ELNS1_11target_archE1030ELNS1_3gpuE2ELNS1_3repE0EEENS1_30default_config_static_selectorELNS0_4arch9wavefront6targetE0EEEvT1_
                                        ; -- End function
	.set _ZN7rocprim17ROCPRIM_400000_NS6detail17trampoline_kernelINS0_14default_configENS1_25partition_config_selectorILNS1_17partition_subalgoE5EtNS0_10empty_typeEbEEZZNS1_14partition_implILS5_5ELb0ES3_mN6thrust23THRUST_200600_302600_NS6detail15normal_iteratorINSA_10device_ptrItEEEEPS6_NSA_18transform_iteratorINSB_9not_fun_tI7is_trueItEEESF_NSA_11use_defaultESM_EENS0_5tupleIJSF_S6_EEENSO_IJSG_SG_EEES6_PlJS6_EEE10hipError_tPvRmT3_T4_T5_T6_T7_T9_mT8_P12ihipStream_tbDpT10_ENKUlT_T0_E_clISt17integral_constantIbLb0EES1A_IbLb1EEEEDaS16_S17_EUlS16_E_NS1_11comp_targetILNS1_3genE8ELNS1_11target_archE1030ELNS1_3gpuE2ELNS1_3repE0EEENS1_30default_config_static_selectorELNS0_4arch9wavefront6targetE0EEEvT1_.num_vgpr, 0
	.set _ZN7rocprim17ROCPRIM_400000_NS6detail17trampoline_kernelINS0_14default_configENS1_25partition_config_selectorILNS1_17partition_subalgoE5EtNS0_10empty_typeEbEEZZNS1_14partition_implILS5_5ELb0ES3_mN6thrust23THRUST_200600_302600_NS6detail15normal_iteratorINSA_10device_ptrItEEEEPS6_NSA_18transform_iteratorINSB_9not_fun_tI7is_trueItEEESF_NSA_11use_defaultESM_EENS0_5tupleIJSF_S6_EEENSO_IJSG_SG_EEES6_PlJS6_EEE10hipError_tPvRmT3_T4_T5_T6_T7_T9_mT8_P12ihipStream_tbDpT10_ENKUlT_T0_E_clISt17integral_constantIbLb0EES1A_IbLb1EEEEDaS16_S17_EUlS16_E_NS1_11comp_targetILNS1_3genE8ELNS1_11target_archE1030ELNS1_3gpuE2ELNS1_3repE0EEENS1_30default_config_static_selectorELNS0_4arch9wavefront6targetE0EEEvT1_.num_agpr, 0
	.set _ZN7rocprim17ROCPRIM_400000_NS6detail17trampoline_kernelINS0_14default_configENS1_25partition_config_selectorILNS1_17partition_subalgoE5EtNS0_10empty_typeEbEEZZNS1_14partition_implILS5_5ELb0ES3_mN6thrust23THRUST_200600_302600_NS6detail15normal_iteratorINSA_10device_ptrItEEEEPS6_NSA_18transform_iteratorINSB_9not_fun_tI7is_trueItEEESF_NSA_11use_defaultESM_EENS0_5tupleIJSF_S6_EEENSO_IJSG_SG_EEES6_PlJS6_EEE10hipError_tPvRmT3_T4_T5_T6_T7_T9_mT8_P12ihipStream_tbDpT10_ENKUlT_T0_E_clISt17integral_constantIbLb0EES1A_IbLb1EEEEDaS16_S17_EUlS16_E_NS1_11comp_targetILNS1_3genE8ELNS1_11target_archE1030ELNS1_3gpuE2ELNS1_3repE0EEENS1_30default_config_static_selectorELNS0_4arch9wavefront6targetE0EEEvT1_.numbered_sgpr, 0
	.set _ZN7rocprim17ROCPRIM_400000_NS6detail17trampoline_kernelINS0_14default_configENS1_25partition_config_selectorILNS1_17partition_subalgoE5EtNS0_10empty_typeEbEEZZNS1_14partition_implILS5_5ELb0ES3_mN6thrust23THRUST_200600_302600_NS6detail15normal_iteratorINSA_10device_ptrItEEEEPS6_NSA_18transform_iteratorINSB_9not_fun_tI7is_trueItEEESF_NSA_11use_defaultESM_EENS0_5tupleIJSF_S6_EEENSO_IJSG_SG_EEES6_PlJS6_EEE10hipError_tPvRmT3_T4_T5_T6_T7_T9_mT8_P12ihipStream_tbDpT10_ENKUlT_T0_E_clISt17integral_constantIbLb0EES1A_IbLb1EEEEDaS16_S17_EUlS16_E_NS1_11comp_targetILNS1_3genE8ELNS1_11target_archE1030ELNS1_3gpuE2ELNS1_3repE0EEENS1_30default_config_static_selectorELNS0_4arch9wavefront6targetE0EEEvT1_.num_named_barrier, 0
	.set _ZN7rocprim17ROCPRIM_400000_NS6detail17trampoline_kernelINS0_14default_configENS1_25partition_config_selectorILNS1_17partition_subalgoE5EtNS0_10empty_typeEbEEZZNS1_14partition_implILS5_5ELb0ES3_mN6thrust23THRUST_200600_302600_NS6detail15normal_iteratorINSA_10device_ptrItEEEEPS6_NSA_18transform_iteratorINSB_9not_fun_tI7is_trueItEEESF_NSA_11use_defaultESM_EENS0_5tupleIJSF_S6_EEENSO_IJSG_SG_EEES6_PlJS6_EEE10hipError_tPvRmT3_T4_T5_T6_T7_T9_mT8_P12ihipStream_tbDpT10_ENKUlT_T0_E_clISt17integral_constantIbLb0EES1A_IbLb1EEEEDaS16_S17_EUlS16_E_NS1_11comp_targetILNS1_3genE8ELNS1_11target_archE1030ELNS1_3gpuE2ELNS1_3repE0EEENS1_30default_config_static_selectorELNS0_4arch9wavefront6targetE0EEEvT1_.private_seg_size, 0
	.set _ZN7rocprim17ROCPRIM_400000_NS6detail17trampoline_kernelINS0_14default_configENS1_25partition_config_selectorILNS1_17partition_subalgoE5EtNS0_10empty_typeEbEEZZNS1_14partition_implILS5_5ELb0ES3_mN6thrust23THRUST_200600_302600_NS6detail15normal_iteratorINSA_10device_ptrItEEEEPS6_NSA_18transform_iteratorINSB_9not_fun_tI7is_trueItEEESF_NSA_11use_defaultESM_EENS0_5tupleIJSF_S6_EEENSO_IJSG_SG_EEES6_PlJS6_EEE10hipError_tPvRmT3_T4_T5_T6_T7_T9_mT8_P12ihipStream_tbDpT10_ENKUlT_T0_E_clISt17integral_constantIbLb0EES1A_IbLb1EEEEDaS16_S17_EUlS16_E_NS1_11comp_targetILNS1_3genE8ELNS1_11target_archE1030ELNS1_3gpuE2ELNS1_3repE0EEENS1_30default_config_static_selectorELNS0_4arch9wavefront6targetE0EEEvT1_.uses_vcc, 0
	.set _ZN7rocprim17ROCPRIM_400000_NS6detail17trampoline_kernelINS0_14default_configENS1_25partition_config_selectorILNS1_17partition_subalgoE5EtNS0_10empty_typeEbEEZZNS1_14partition_implILS5_5ELb0ES3_mN6thrust23THRUST_200600_302600_NS6detail15normal_iteratorINSA_10device_ptrItEEEEPS6_NSA_18transform_iteratorINSB_9not_fun_tI7is_trueItEEESF_NSA_11use_defaultESM_EENS0_5tupleIJSF_S6_EEENSO_IJSG_SG_EEES6_PlJS6_EEE10hipError_tPvRmT3_T4_T5_T6_T7_T9_mT8_P12ihipStream_tbDpT10_ENKUlT_T0_E_clISt17integral_constantIbLb0EES1A_IbLb1EEEEDaS16_S17_EUlS16_E_NS1_11comp_targetILNS1_3genE8ELNS1_11target_archE1030ELNS1_3gpuE2ELNS1_3repE0EEENS1_30default_config_static_selectorELNS0_4arch9wavefront6targetE0EEEvT1_.uses_flat_scratch, 0
	.set _ZN7rocprim17ROCPRIM_400000_NS6detail17trampoline_kernelINS0_14default_configENS1_25partition_config_selectorILNS1_17partition_subalgoE5EtNS0_10empty_typeEbEEZZNS1_14partition_implILS5_5ELb0ES3_mN6thrust23THRUST_200600_302600_NS6detail15normal_iteratorINSA_10device_ptrItEEEEPS6_NSA_18transform_iteratorINSB_9not_fun_tI7is_trueItEEESF_NSA_11use_defaultESM_EENS0_5tupleIJSF_S6_EEENSO_IJSG_SG_EEES6_PlJS6_EEE10hipError_tPvRmT3_T4_T5_T6_T7_T9_mT8_P12ihipStream_tbDpT10_ENKUlT_T0_E_clISt17integral_constantIbLb0EES1A_IbLb1EEEEDaS16_S17_EUlS16_E_NS1_11comp_targetILNS1_3genE8ELNS1_11target_archE1030ELNS1_3gpuE2ELNS1_3repE0EEENS1_30default_config_static_selectorELNS0_4arch9wavefront6targetE0EEEvT1_.has_dyn_sized_stack, 0
	.set _ZN7rocprim17ROCPRIM_400000_NS6detail17trampoline_kernelINS0_14default_configENS1_25partition_config_selectorILNS1_17partition_subalgoE5EtNS0_10empty_typeEbEEZZNS1_14partition_implILS5_5ELb0ES3_mN6thrust23THRUST_200600_302600_NS6detail15normal_iteratorINSA_10device_ptrItEEEEPS6_NSA_18transform_iteratorINSB_9not_fun_tI7is_trueItEEESF_NSA_11use_defaultESM_EENS0_5tupleIJSF_S6_EEENSO_IJSG_SG_EEES6_PlJS6_EEE10hipError_tPvRmT3_T4_T5_T6_T7_T9_mT8_P12ihipStream_tbDpT10_ENKUlT_T0_E_clISt17integral_constantIbLb0EES1A_IbLb1EEEEDaS16_S17_EUlS16_E_NS1_11comp_targetILNS1_3genE8ELNS1_11target_archE1030ELNS1_3gpuE2ELNS1_3repE0EEENS1_30default_config_static_selectorELNS0_4arch9wavefront6targetE0EEEvT1_.has_recursion, 0
	.set _ZN7rocprim17ROCPRIM_400000_NS6detail17trampoline_kernelINS0_14default_configENS1_25partition_config_selectorILNS1_17partition_subalgoE5EtNS0_10empty_typeEbEEZZNS1_14partition_implILS5_5ELb0ES3_mN6thrust23THRUST_200600_302600_NS6detail15normal_iteratorINSA_10device_ptrItEEEEPS6_NSA_18transform_iteratorINSB_9not_fun_tI7is_trueItEEESF_NSA_11use_defaultESM_EENS0_5tupleIJSF_S6_EEENSO_IJSG_SG_EEES6_PlJS6_EEE10hipError_tPvRmT3_T4_T5_T6_T7_T9_mT8_P12ihipStream_tbDpT10_ENKUlT_T0_E_clISt17integral_constantIbLb0EES1A_IbLb1EEEEDaS16_S17_EUlS16_E_NS1_11comp_targetILNS1_3genE8ELNS1_11target_archE1030ELNS1_3gpuE2ELNS1_3repE0EEENS1_30default_config_static_selectorELNS0_4arch9wavefront6targetE0EEEvT1_.has_indirect_call, 0
	.section	.AMDGPU.csdata,"",@progbits
; Kernel info:
; codeLenInByte = 0
; TotalNumSgprs: 0
; NumVgprs: 0
; ScratchSize: 0
; MemoryBound: 0
; FloatMode: 240
; IeeeMode: 1
; LDSByteSize: 0 bytes/workgroup (compile time only)
; SGPRBlocks: 0
; VGPRBlocks: 0
; NumSGPRsForWavesPerEU: 1
; NumVGPRsForWavesPerEU: 1
; Occupancy: 16
; WaveLimiterHint : 0
; COMPUTE_PGM_RSRC2:SCRATCH_EN: 0
; COMPUTE_PGM_RSRC2:USER_SGPR: 2
; COMPUTE_PGM_RSRC2:TRAP_HANDLER: 0
; COMPUTE_PGM_RSRC2:TGID_X_EN: 1
; COMPUTE_PGM_RSRC2:TGID_Y_EN: 0
; COMPUTE_PGM_RSRC2:TGID_Z_EN: 0
; COMPUTE_PGM_RSRC2:TIDIG_COMP_CNT: 0
	.section	.text._ZN6thrust23THRUST_200600_302600_NS11hip_rocprim14__parallel_for6kernelILj256ENS1_11__transform17unary_transform_fINS0_7pointerIbNS1_3tagENS0_11use_defaultES8_EENS0_10device_ptrIxEENS4_14no_stencil_tagENS0_8identityIbEENS4_21always_true_predicateEEElLj1EEEvT0_T1_SI_,"axG",@progbits,_ZN6thrust23THRUST_200600_302600_NS11hip_rocprim14__parallel_for6kernelILj256ENS1_11__transform17unary_transform_fINS0_7pointerIbNS1_3tagENS0_11use_defaultES8_EENS0_10device_ptrIxEENS4_14no_stencil_tagENS0_8identityIbEENS4_21always_true_predicateEEElLj1EEEvT0_T1_SI_,comdat
	.protected	_ZN6thrust23THRUST_200600_302600_NS11hip_rocprim14__parallel_for6kernelILj256ENS1_11__transform17unary_transform_fINS0_7pointerIbNS1_3tagENS0_11use_defaultES8_EENS0_10device_ptrIxEENS4_14no_stencil_tagENS0_8identityIbEENS4_21always_true_predicateEEElLj1EEEvT0_T1_SI_ ; -- Begin function _ZN6thrust23THRUST_200600_302600_NS11hip_rocprim14__parallel_for6kernelILj256ENS1_11__transform17unary_transform_fINS0_7pointerIbNS1_3tagENS0_11use_defaultES8_EENS0_10device_ptrIxEENS4_14no_stencil_tagENS0_8identityIbEENS4_21always_true_predicateEEElLj1EEEvT0_T1_SI_
	.globl	_ZN6thrust23THRUST_200600_302600_NS11hip_rocprim14__parallel_for6kernelILj256ENS1_11__transform17unary_transform_fINS0_7pointerIbNS1_3tagENS0_11use_defaultES8_EENS0_10device_ptrIxEENS4_14no_stencil_tagENS0_8identityIbEENS4_21always_true_predicateEEElLj1EEEvT0_T1_SI_
	.p2align	8
	.type	_ZN6thrust23THRUST_200600_302600_NS11hip_rocprim14__parallel_for6kernelILj256ENS1_11__transform17unary_transform_fINS0_7pointerIbNS1_3tagENS0_11use_defaultES8_EENS0_10device_ptrIxEENS4_14no_stencil_tagENS0_8identityIbEENS4_21always_true_predicateEEElLj1EEEvT0_T1_SI_,@function
_ZN6thrust23THRUST_200600_302600_NS11hip_rocprim14__parallel_for6kernelILj256ENS1_11__transform17unary_transform_fINS0_7pointerIbNS1_3tagENS0_11use_defaultES8_EENS0_10device_ptrIxEENS4_14no_stencil_tagENS0_8identityIbEENS4_21always_true_predicateEEElLj1EEEvT0_T1_SI_: ; @_ZN6thrust23THRUST_200600_302600_NS11hip_rocprim14__parallel_for6kernelILj256ENS1_11__transform17unary_transform_fINS0_7pointerIbNS1_3tagENS0_11use_defaultES8_EENS0_10device_ptrIxEENS4_14no_stencil_tagENS0_8identityIbEENS4_21always_true_predicateEEElLj1EEEvT0_T1_SI_
; %bb.0:
	s_clause 0x1
	s_load_b128 s[8:11], s[0:1], 0x18
	s_load_b128 s[0:3], s[0:1], 0x0
	s_lshl_b32 s4, ttmp9, 8
	s_mov_b32 s5, 0
	s_wait_kmcnt 0x0
	s_add_nc_u64 s[4:5], s[10:11], s[4:5]
	s_delay_alu instid0(SALU_CYCLE_1) | instskip(NEXT) | instid1(SALU_CYCLE_1)
	s_sub_nc_u64 s[6:7], s[8:9], s[4:5]
	v_cmp_gt_i64_e64 s7, 0x100, s[6:7]
	s_and_b32 s7, s7, exec_lo
	s_cselect_b32 s7, s6, 0x100
	s_mov_b32 s6, -1
	s_wait_alu 0xfffe
	s_cmp_eq_u32 s7, 0x100
	s_cbranch_scc0 .LBB1466_3
; %bb.1:
	s_and_not1_b32 vcc_lo, exec_lo, s6
	s_cbranch_vccz .LBB1466_6
.LBB1466_2:
	s_endpgm
.LBB1466_3:
	s_mov_b32 s6, exec_lo
	v_cmpx_gt_u32_e64 s7, v0
	s_cbranch_execz .LBB1466_5
; %bb.4:
	v_add_co_u32 v1, s7, s4, v0
	s_wait_alu 0xf1ff
	v_add_co_ci_u32_e64 v2, null, s5, 0, s7
	s_mov_b32 s7, 0
	v_add_co_u32 v3, vcc_lo, s0, v1
	s_delay_alu instid0(VALU_DEP_1)
	v_add_co_ci_u32_e64 v4, null, s1, v2, vcc_lo
	v_lshlrev_b64_e32 v[1:2], 3, v[1:2]
	flat_load_u8 v3, v[3:4]
	s_wait_alu 0xfffe
	v_mov_b32_e32 v4, s7
	v_add_co_u32 v1, vcc_lo, s2, v1
	s_wait_alu 0xfffd
	v_add_co_ci_u32_e64 v2, null, s3, v2, vcc_lo
	s_wait_loadcnt_dscnt 0x0
	v_and_b32_e32 v3, 0xffff, v3
	flat_store_b64 v[1:2], v[3:4]
.LBB1466_5:
	s_wait_alu 0xfffe
	s_or_b32 exec_lo, exec_lo, s6
	s_cbranch_execnz .LBB1466_2
.LBB1466_6:
	v_add_co_u32 v0, s4, s4, v0
	s_wait_alu 0xf1ff
	v_add_co_ci_u32_e64 v1, null, s5, 0, s4
	s_delay_alu instid0(VALU_DEP_2) | instskip(SKIP_1) | instid1(VALU_DEP_2)
	v_add_co_u32 v2, vcc_lo, s0, v0
	s_wait_alu 0xfffd
	v_add_co_ci_u32_e64 v3, null, s1, v1, vcc_lo
	v_lshlrev_b64_e32 v[0:1], 3, v[0:1]
	s_mov_b32 s0, 0
	flat_load_u8 v2, v[2:3]
	s_wait_alu 0xfffe
	v_mov_b32_e32 v3, s0
	v_add_co_u32 v0, vcc_lo, s2, v0
	s_wait_alu 0xfffd
	v_add_co_ci_u32_e64 v1, null, s3, v1, vcc_lo
	s_wait_loadcnt_dscnt 0x0
	v_and_b32_e32 v2, 0xffff, v2
	flat_store_b64 v[0:1], v[2:3]
	s_endpgm
	.section	.rodata,"a",@progbits
	.p2align	6, 0x0
	.amdhsa_kernel _ZN6thrust23THRUST_200600_302600_NS11hip_rocprim14__parallel_for6kernelILj256ENS1_11__transform17unary_transform_fINS0_7pointerIbNS1_3tagENS0_11use_defaultES8_EENS0_10device_ptrIxEENS4_14no_stencil_tagENS0_8identityIbEENS4_21always_true_predicateEEElLj1EEEvT0_T1_SI_
		.amdhsa_group_segment_fixed_size 0
		.amdhsa_private_segment_fixed_size 0
		.amdhsa_kernarg_size 40
		.amdhsa_user_sgpr_count 2
		.amdhsa_user_sgpr_dispatch_ptr 0
		.amdhsa_user_sgpr_queue_ptr 0
		.amdhsa_user_sgpr_kernarg_segment_ptr 1
		.amdhsa_user_sgpr_dispatch_id 0
		.amdhsa_user_sgpr_private_segment_size 0
		.amdhsa_wavefront_size32 1
		.amdhsa_uses_dynamic_stack 0
		.amdhsa_enable_private_segment 0
		.amdhsa_system_sgpr_workgroup_id_x 1
		.amdhsa_system_sgpr_workgroup_id_y 0
		.amdhsa_system_sgpr_workgroup_id_z 0
		.amdhsa_system_sgpr_workgroup_info 0
		.amdhsa_system_vgpr_workitem_id 0
		.amdhsa_next_free_vgpr 5
		.amdhsa_next_free_sgpr 12
		.amdhsa_reserve_vcc 1
		.amdhsa_float_round_mode_32 0
		.amdhsa_float_round_mode_16_64 0
		.amdhsa_float_denorm_mode_32 3
		.amdhsa_float_denorm_mode_16_64 3
		.amdhsa_fp16_overflow 0
		.amdhsa_workgroup_processor_mode 1
		.amdhsa_memory_ordered 1
		.amdhsa_forward_progress 1
		.amdhsa_inst_pref_size 3
		.amdhsa_round_robin_scheduling 0
		.amdhsa_exception_fp_ieee_invalid_op 0
		.amdhsa_exception_fp_denorm_src 0
		.amdhsa_exception_fp_ieee_div_zero 0
		.amdhsa_exception_fp_ieee_overflow 0
		.amdhsa_exception_fp_ieee_underflow 0
		.amdhsa_exception_fp_ieee_inexact 0
		.amdhsa_exception_int_div_zero 0
	.end_amdhsa_kernel
	.section	.text._ZN6thrust23THRUST_200600_302600_NS11hip_rocprim14__parallel_for6kernelILj256ENS1_11__transform17unary_transform_fINS0_7pointerIbNS1_3tagENS0_11use_defaultES8_EENS0_10device_ptrIxEENS4_14no_stencil_tagENS0_8identityIbEENS4_21always_true_predicateEEElLj1EEEvT0_T1_SI_,"axG",@progbits,_ZN6thrust23THRUST_200600_302600_NS11hip_rocprim14__parallel_for6kernelILj256ENS1_11__transform17unary_transform_fINS0_7pointerIbNS1_3tagENS0_11use_defaultES8_EENS0_10device_ptrIxEENS4_14no_stencil_tagENS0_8identityIbEENS4_21always_true_predicateEEElLj1EEEvT0_T1_SI_,comdat
.Lfunc_end1466:
	.size	_ZN6thrust23THRUST_200600_302600_NS11hip_rocprim14__parallel_for6kernelILj256ENS1_11__transform17unary_transform_fINS0_7pointerIbNS1_3tagENS0_11use_defaultES8_EENS0_10device_ptrIxEENS4_14no_stencil_tagENS0_8identityIbEENS4_21always_true_predicateEEElLj1EEEvT0_T1_SI_, .Lfunc_end1466-_ZN6thrust23THRUST_200600_302600_NS11hip_rocprim14__parallel_for6kernelILj256ENS1_11__transform17unary_transform_fINS0_7pointerIbNS1_3tagENS0_11use_defaultES8_EENS0_10device_ptrIxEENS4_14no_stencil_tagENS0_8identityIbEENS4_21always_true_predicateEEElLj1EEEvT0_T1_SI_
                                        ; -- End function
	.set _ZN6thrust23THRUST_200600_302600_NS11hip_rocprim14__parallel_for6kernelILj256ENS1_11__transform17unary_transform_fINS0_7pointerIbNS1_3tagENS0_11use_defaultES8_EENS0_10device_ptrIxEENS4_14no_stencil_tagENS0_8identityIbEENS4_21always_true_predicateEEElLj1EEEvT0_T1_SI_.num_vgpr, 5
	.set _ZN6thrust23THRUST_200600_302600_NS11hip_rocprim14__parallel_for6kernelILj256ENS1_11__transform17unary_transform_fINS0_7pointerIbNS1_3tagENS0_11use_defaultES8_EENS0_10device_ptrIxEENS4_14no_stencil_tagENS0_8identityIbEENS4_21always_true_predicateEEElLj1EEEvT0_T1_SI_.num_agpr, 0
	.set _ZN6thrust23THRUST_200600_302600_NS11hip_rocprim14__parallel_for6kernelILj256ENS1_11__transform17unary_transform_fINS0_7pointerIbNS1_3tagENS0_11use_defaultES8_EENS0_10device_ptrIxEENS4_14no_stencil_tagENS0_8identityIbEENS4_21always_true_predicateEEElLj1EEEvT0_T1_SI_.numbered_sgpr, 12
	.set _ZN6thrust23THRUST_200600_302600_NS11hip_rocprim14__parallel_for6kernelILj256ENS1_11__transform17unary_transform_fINS0_7pointerIbNS1_3tagENS0_11use_defaultES8_EENS0_10device_ptrIxEENS4_14no_stencil_tagENS0_8identityIbEENS4_21always_true_predicateEEElLj1EEEvT0_T1_SI_.num_named_barrier, 0
	.set _ZN6thrust23THRUST_200600_302600_NS11hip_rocprim14__parallel_for6kernelILj256ENS1_11__transform17unary_transform_fINS0_7pointerIbNS1_3tagENS0_11use_defaultES8_EENS0_10device_ptrIxEENS4_14no_stencil_tagENS0_8identityIbEENS4_21always_true_predicateEEElLj1EEEvT0_T1_SI_.private_seg_size, 0
	.set _ZN6thrust23THRUST_200600_302600_NS11hip_rocprim14__parallel_for6kernelILj256ENS1_11__transform17unary_transform_fINS0_7pointerIbNS1_3tagENS0_11use_defaultES8_EENS0_10device_ptrIxEENS4_14no_stencil_tagENS0_8identityIbEENS4_21always_true_predicateEEElLj1EEEvT0_T1_SI_.uses_vcc, 1
	.set _ZN6thrust23THRUST_200600_302600_NS11hip_rocprim14__parallel_for6kernelILj256ENS1_11__transform17unary_transform_fINS0_7pointerIbNS1_3tagENS0_11use_defaultES8_EENS0_10device_ptrIxEENS4_14no_stencil_tagENS0_8identityIbEENS4_21always_true_predicateEEElLj1EEEvT0_T1_SI_.uses_flat_scratch, 0
	.set _ZN6thrust23THRUST_200600_302600_NS11hip_rocprim14__parallel_for6kernelILj256ENS1_11__transform17unary_transform_fINS0_7pointerIbNS1_3tagENS0_11use_defaultES8_EENS0_10device_ptrIxEENS4_14no_stencil_tagENS0_8identityIbEENS4_21always_true_predicateEEElLj1EEEvT0_T1_SI_.has_dyn_sized_stack, 0
	.set _ZN6thrust23THRUST_200600_302600_NS11hip_rocprim14__parallel_for6kernelILj256ENS1_11__transform17unary_transform_fINS0_7pointerIbNS1_3tagENS0_11use_defaultES8_EENS0_10device_ptrIxEENS4_14no_stencil_tagENS0_8identityIbEENS4_21always_true_predicateEEElLj1EEEvT0_T1_SI_.has_recursion, 0
	.set _ZN6thrust23THRUST_200600_302600_NS11hip_rocprim14__parallel_for6kernelILj256ENS1_11__transform17unary_transform_fINS0_7pointerIbNS1_3tagENS0_11use_defaultES8_EENS0_10device_ptrIxEENS4_14no_stencil_tagENS0_8identityIbEENS4_21always_true_predicateEEElLj1EEEvT0_T1_SI_.has_indirect_call, 0
	.section	.AMDGPU.csdata,"",@progbits
; Kernel info:
; codeLenInByte = 360
; TotalNumSgprs: 14
; NumVgprs: 5
; ScratchSize: 0
; MemoryBound: 0
; FloatMode: 240
; IeeeMode: 1
; LDSByteSize: 0 bytes/workgroup (compile time only)
; SGPRBlocks: 0
; VGPRBlocks: 0
; NumSGPRsForWavesPerEU: 14
; NumVGPRsForWavesPerEU: 5
; Occupancy: 16
; WaveLimiterHint : 0
; COMPUTE_PGM_RSRC2:SCRATCH_EN: 0
; COMPUTE_PGM_RSRC2:USER_SGPR: 2
; COMPUTE_PGM_RSRC2:TRAP_HANDLER: 0
; COMPUTE_PGM_RSRC2:TGID_X_EN: 1
; COMPUTE_PGM_RSRC2:TGID_Y_EN: 0
; COMPUTE_PGM_RSRC2:TGID_Z_EN: 0
; COMPUTE_PGM_RSRC2:TIDIG_COMP_CNT: 0
	.section	.text._ZN7rocprim17ROCPRIM_400000_NS6detail17trampoline_kernelINS0_14default_configENS1_25partition_config_selectorILNS1_17partition_subalgoE5ExNS0_10empty_typeEbEEZZNS1_14partition_implILS5_5ELb0ES3_mN6thrust23THRUST_200600_302600_NS6detail15normal_iteratorINSA_10device_ptrIxEEEEPS6_NSA_18transform_iteratorINSB_9not_fun_tI7is_trueIxEEESF_NSA_11use_defaultESM_EENS0_5tupleIJSF_S6_EEENSO_IJSG_SG_EEES6_PlJS6_EEE10hipError_tPvRmT3_T4_T5_T6_T7_T9_mT8_P12ihipStream_tbDpT10_ENKUlT_T0_E_clISt17integral_constantIbLb0EES1B_EEDaS16_S17_EUlS16_E_NS1_11comp_targetILNS1_3genE0ELNS1_11target_archE4294967295ELNS1_3gpuE0ELNS1_3repE0EEENS1_30default_config_static_selectorELNS0_4arch9wavefront6targetE0EEEvT1_,"axG",@progbits,_ZN7rocprim17ROCPRIM_400000_NS6detail17trampoline_kernelINS0_14default_configENS1_25partition_config_selectorILNS1_17partition_subalgoE5ExNS0_10empty_typeEbEEZZNS1_14partition_implILS5_5ELb0ES3_mN6thrust23THRUST_200600_302600_NS6detail15normal_iteratorINSA_10device_ptrIxEEEEPS6_NSA_18transform_iteratorINSB_9not_fun_tI7is_trueIxEEESF_NSA_11use_defaultESM_EENS0_5tupleIJSF_S6_EEENSO_IJSG_SG_EEES6_PlJS6_EEE10hipError_tPvRmT3_T4_T5_T6_T7_T9_mT8_P12ihipStream_tbDpT10_ENKUlT_T0_E_clISt17integral_constantIbLb0EES1B_EEDaS16_S17_EUlS16_E_NS1_11comp_targetILNS1_3genE0ELNS1_11target_archE4294967295ELNS1_3gpuE0ELNS1_3repE0EEENS1_30default_config_static_selectorELNS0_4arch9wavefront6targetE0EEEvT1_,comdat
	.protected	_ZN7rocprim17ROCPRIM_400000_NS6detail17trampoline_kernelINS0_14default_configENS1_25partition_config_selectorILNS1_17partition_subalgoE5ExNS0_10empty_typeEbEEZZNS1_14partition_implILS5_5ELb0ES3_mN6thrust23THRUST_200600_302600_NS6detail15normal_iteratorINSA_10device_ptrIxEEEEPS6_NSA_18transform_iteratorINSB_9not_fun_tI7is_trueIxEEESF_NSA_11use_defaultESM_EENS0_5tupleIJSF_S6_EEENSO_IJSG_SG_EEES6_PlJS6_EEE10hipError_tPvRmT3_T4_T5_T6_T7_T9_mT8_P12ihipStream_tbDpT10_ENKUlT_T0_E_clISt17integral_constantIbLb0EES1B_EEDaS16_S17_EUlS16_E_NS1_11comp_targetILNS1_3genE0ELNS1_11target_archE4294967295ELNS1_3gpuE0ELNS1_3repE0EEENS1_30default_config_static_selectorELNS0_4arch9wavefront6targetE0EEEvT1_ ; -- Begin function _ZN7rocprim17ROCPRIM_400000_NS6detail17trampoline_kernelINS0_14default_configENS1_25partition_config_selectorILNS1_17partition_subalgoE5ExNS0_10empty_typeEbEEZZNS1_14partition_implILS5_5ELb0ES3_mN6thrust23THRUST_200600_302600_NS6detail15normal_iteratorINSA_10device_ptrIxEEEEPS6_NSA_18transform_iteratorINSB_9not_fun_tI7is_trueIxEEESF_NSA_11use_defaultESM_EENS0_5tupleIJSF_S6_EEENSO_IJSG_SG_EEES6_PlJS6_EEE10hipError_tPvRmT3_T4_T5_T6_T7_T9_mT8_P12ihipStream_tbDpT10_ENKUlT_T0_E_clISt17integral_constantIbLb0EES1B_EEDaS16_S17_EUlS16_E_NS1_11comp_targetILNS1_3genE0ELNS1_11target_archE4294967295ELNS1_3gpuE0ELNS1_3repE0EEENS1_30default_config_static_selectorELNS0_4arch9wavefront6targetE0EEEvT1_
	.globl	_ZN7rocprim17ROCPRIM_400000_NS6detail17trampoline_kernelINS0_14default_configENS1_25partition_config_selectorILNS1_17partition_subalgoE5ExNS0_10empty_typeEbEEZZNS1_14partition_implILS5_5ELb0ES3_mN6thrust23THRUST_200600_302600_NS6detail15normal_iteratorINSA_10device_ptrIxEEEEPS6_NSA_18transform_iteratorINSB_9not_fun_tI7is_trueIxEEESF_NSA_11use_defaultESM_EENS0_5tupleIJSF_S6_EEENSO_IJSG_SG_EEES6_PlJS6_EEE10hipError_tPvRmT3_T4_T5_T6_T7_T9_mT8_P12ihipStream_tbDpT10_ENKUlT_T0_E_clISt17integral_constantIbLb0EES1B_EEDaS16_S17_EUlS16_E_NS1_11comp_targetILNS1_3genE0ELNS1_11target_archE4294967295ELNS1_3gpuE0ELNS1_3repE0EEENS1_30default_config_static_selectorELNS0_4arch9wavefront6targetE0EEEvT1_
	.p2align	8
	.type	_ZN7rocprim17ROCPRIM_400000_NS6detail17trampoline_kernelINS0_14default_configENS1_25partition_config_selectorILNS1_17partition_subalgoE5ExNS0_10empty_typeEbEEZZNS1_14partition_implILS5_5ELb0ES3_mN6thrust23THRUST_200600_302600_NS6detail15normal_iteratorINSA_10device_ptrIxEEEEPS6_NSA_18transform_iteratorINSB_9not_fun_tI7is_trueIxEEESF_NSA_11use_defaultESM_EENS0_5tupleIJSF_S6_EEENSO_IJSG_SG_EEES6_PlJS6_EEE10hipError_tPvRmT3_T4_T5_T6_T7_T9_mT8_P12ihipStream_tbDpT10_ENKUlT_T0_E_clISt17integral_constantIbLb0EES1B_EEDaS16_S17_EUlS16_E_NS1_11comp_targetILNS1_3genE0ELNS1_11target_archE4294967295ELNS1_3gpuE0ELNS1_3repE0EEENS1_30default_config_static_selectorELNS0_4arch9wavefront6targetE0EEEvT1_,@function
_ZN7rocprim17ROCPRIM_400000_NS6detail17trampoline_kernelINS0_14default_configENS1_25partition_config_selectorILNS1_17partition_subalgoE5ExNS0_10empty_typeEbEEZZNS1_14partition_implILS5_5ELb0ES3_mN6thrust23THRUST_200600_302600_NS6detail15normal_iteratorINSA_10device_ptrIxEEEEPS6_NSA_18transform_iteratorINSB_9not_fun_tI7is_trueIxEEESF_NSA_11use_defaultESM_EENS0_5tupleIJSF_S6_EEENSO_IJSG_SG_EEES6_PlJS6_EEE10hipError_tPvRmT3_T4_T5_T6_T7_T9_mT8_P12ihipStream_tbDpT10_ENKUlT_T0_E_clISt17integral_constantIbLb0EES1B_EEDaS16_S17_EUlS16_E_NS1_11comp_targetILNS1_3genE0ELNS1_11target_archE4294967295ELNS1_3gpuE0ELNS1_3repE0EEENS1_30default_config_static_selectorELNS0_4arch9wavefront6targetE0EEEvT1_: ; @_ZN7rocprim17ROCPRIM_400000_NS6detail17trampoline_kernelINS0_14default_configENS1_25partition_config_selectorILNS1_17partition_subalgoE5ExNS0_10empty_typeEbEEZZNS1_14partition_implILS5_5ELb0ES3_mN6thrust23THRUST_200600_302600_NS6detail15normal_iteratorINSA_10device_ptrIxEEEEPS6_NSA_18transform_iteratorINSB_9not_fun_tI7is_trueIxEEESF_NSA_11use_defaultESM_EENS0_5tupleIJSF_S6_EEENSO_IJSG_SG_EEES6_PlJS6_EEE10hipError_tPvRmT3_T4_T5_T6_T7_T9_mT8_P12ihipStream_tbDpT10_ENKUlT_T0_E_clISt17integral_constantIbLb0EES1B_EEDaS16_S17_EUlS16_E_NS1_11comp_targetILNS1_3genE0ELNS1_11target_archE4294967295ELNS1_3gpuE0ELNS1_3repE0EEENS1_30default_config_static_selectorELNS0_4arch9wavefront6targetE0EEEvT1_
; %bb.0:
	.section	.rodata,"a",@progbits
	.p2align	6, 0x0
	.amdhsa_kernel _ZN7rocprim17ROCPRIM_400000_NS6detail17trampoline_kernelINS0_14default_configENS1_25partition_config_selectorILNS1_17partition_subalgoE5ExNS0_10empty_typeEbEEZZNS1_14partition_implILS5_5ELb0ES3_mN6thrust23THRUST_200600_302600_NS6detail15normal_iteratorINSA_10device_ptrIxEEEEPS6_NSA_18transform_iteratorINSB_9not_fun_tI7is_trueIxEEESF_NSA_11use_defaultESM_EENS0_5tupleIJSF_S6_EEENSO_IJSG_SG_EEES6_PlJS6_EEE10hipError_tPvRmT3_T4_T5_T6_T7_T9_mT8_P12ihipStream_tbDpT10_ENKUlT_T0_E_clISt17integral_constantIbLb0EES1B_EEDaS16_S17_EUlS16_E_NS1_11comp_targetILNS1_3genE0ELNS1_11target_archE4294967295ELNS1_3gpuE0ELNS1_3repE0EEENS1_30default_config_static_selectorELNS0_4arch9wavefront6targetE0EEEvT1_
		.amdhsa_group_segment_fixed_size 0
		.amdhsa_private_segment_fixed_size 0
		.amdhsa_kernarg_size 120
		.amdhsa_user_sgpr_count 2
		.amdhsa_user_sgpr_dispatch_ptr 0
		.amdhsa_user_sgpr_queue_ptr 0
		.amdhsa_user_sgpr_kernarg_segment_ptr 1
		.amdhsa_user_sgpr_dispatch_id 0
		.amdhsa_user_sgpr_private_segment_size 0
		.amdhsa_wavefront_size32 1
		.amdhsa_uses_dynamic_stack 0
		.amdhsa_enable_private_segment 0
		.amdhsa_system_sgpr_workgroup_id_x 1
		.amdhsa_system_sgpr_workgroup_id_y 0
		.amdhsa_system_sgpr_workgroup_id_z 0
		.amdhsa_system_sgpr_workgroup_info 0
		.amdhsa_system_vgpr_workitem_id 0
		.amdhsa_next_free_vgpr 1
		.amdhsa_next_free_sgpr 1
		.amdhsa_reserve_vcc 0
		.amdhsa_float_round_mode_32 0
		.amdhsa_float_round_mode_16_64 0
		.amdhsa_float_denorm_mode_32 3
		.amdhsa_float_denorm_mode_16_64 3
		.amdhsa_fp16_overflow 0
		.amdhsa_workgroup_processor_mode 1
		.amdhsa_memory_ordered 1
		.amdhsa_forward_progress 1
		.amdhsa_inst_pref_size 0
		.amdhsa_round_robin_scheduling 0
		.amdhsa_exception_fp_ieee_invalid_op 0
		.amdhsa_exception_fp_denorm_src 0
		.amdhsa_exception_fp_ieee_div_zero 0
		.amdhsa_exception_fp_ieee_overflow 0
		.amdhsa_exception_fp_ieee_underflow 0
		.amdhsa_exception_fp_ieee_inexact 0
		.amdhsa_exception_int_div_zero 0
	.end_amdhsa_kernel
	.section	.text._ZN7rocprim17ROCPRIM_400000_NS6detail17trampoline_kernelINS0_14default_configENS1_25partition_config_selectorILNS1_17partition_subalgoE5ExNS0_10empty_typeEbEEZZNS1_14partition_implILS5_5ELb0ES3_mN6thrust23THRUST_200600_302600_NS6detail15normal_iteratorINSA_10device_ptrIxEEEEPS6_NSA_18transform_iteratorINSB_9not_fun_tI7is_trueIxEEESF_NSA_11use_defaultESM_EENS0_5tupleIJSF_S6_EEENSO_IJSG_SG_EEES6_PlJS6_EEE10hipError_tPvRmT3_T4_T5_T6_T7_T9_mT8_P12ihipStream_tbDpT10_ENKUlT_T0_E_clISt17integral_constantIbLb0EES1B_EEDaS16_S17_EUlS16_E_NS1_11comp_targetILNS1_3genE0ELNS1_11target_archE4294967295ELNS1_3gpuE0ELNS1_3repE0EEENS1_30default_config_static_selectorELNS0_4arch9wavefront6targetE0EEEvT1_,"axG",@progbits,_ZN7rocprim17ROCPRIM_400000_NS6detail17trampoline_kernelINS0_14default_configENS1_25partition_config_selectorILNS1_17partition_subalgoE5ExNS0_10empty_typeEbEEZZNS1_14partition_implILS5_5ELb0ES3_mN6thrust23THRUST_200600_302600_NS6detail15normal_iteratorINSA_10device_ptrIxEEEEPS6_NSA_18transform_iteratorINSB_9not_fun_tI7is_trueIxEEESF_NSA_11use_defaultESM_EENS0_5tupleIJSF_S6_EEENSO_IJSG_SG_EEES6_PlJS6_EEE10hipError_tPvRmT3_T4_T5_T6_T7_T9_mT8_P12ihipStream_tbDpT10_ENKUlT_T0_E_clISt17integral_constantIbLb0EES1B_EEDaS16_S17_EUlS16_E_NS1_11comp_targetILNS1_3genE0ELNS1_11target_archE4294967295ELNS1_3gpuE0ELNS1_3repE0EEENS1_30default_config_static_selectorELNS0_4arch9wavefront6targetE0EEEvT1_,comdat
.Lfunc_end1467:
	.size	_ZN7rocprim17ROCPRIM_400000_NS6detail17trampoline_kernelINS0_14default_configENS1_25partition_config_selectorILNS1_17partition_subalgoE5ExNS0_10empty_typeEbEEZZNS1_14partition_implILS5_5ELb0ES3_mN6thrust23THRUST_200600_302600_NS6detail15normal_iteratorINSA_10device_ptrIxEEEEPS6_NSA_18transform_iteratorINSB_9not_fun_tI7is_trueIxEEESF_NSA_11use_defaultESM_EENS0_5tupleIJSF_S6_EEENSO_IJSG_SG_EEES6_PlJS6_EEE10hipError_tPvRmT3_T4_T5_T6_T7_T9_mT8_P12ihipStream_tbDpT10_ENKUlT_T0_E_clISt17integral_constantIbLb0EES1B_EEDaS16_S17_EUlS16_E_NS1_11comp_targetILNS1_3genE0ELNS1_11target_archE4294967295ELNS1_3gpuE0ELNS1_3repE0EEENS1_30default_config_static_selectorELNS0_4arch9wavefront6targetE0EEEvT1_, .Lfunc_end1467-_ZN7rocprim17ROCPRIM_400000_NS6detail17trampoline_kernelINS0_14default_configENS1_25partition_config_selectorILNS1_17partition_subalgoE5ExNS0_10empty_typeEbEEZZNS1_14partition_implILS5_5ELb0ES3_mN6thrust23THRUST_200600_302600_NS6detail15normal_iteratorINSA_10device_ptrIxEEEEPS6_NSA_18transform_iteratorINSB_9not_fun_tI7is_trueIxEEESF_NSA_11use_defaultESM_EENS0_5tupleIJSF_S6_EEENSO_IJSG_SG_EEES6_PlJS6_EEE10hipError_tPvRmT3_T4_T5_T6_T7_T9_mT8_P12ihipStream_tbDpT10_ENKUlT_T0_E_clISt17integral_constantIbLb0EES1B_EEDaS16_S17_EUlS16_E_NS1_11comp_targetILNS1_3genE0ELNS1_11target_archE4294967295ELNS1_3gpuE0ELNS1_3repE0EEENS1_30default_config_static_selectorELNS0_4arch9wavefront6targetE0EEEvT1_
                                        ; -- End function
	.set _ZN7rocprim17ROCPRIM_400000_NS6detail17trampoline_kernelINS0_14default_configENS1_25partition_config_selectorILNS1_17partition_subalgoE5ExNS0_10empty_typeEbEEZZNS1_14partition_implILS5_5ELb0ES3_mN6thrust23THRUST_200600_302600_NS6detail15normal_iteratorINSA_10device_ptrIxEEEEPS6_NSA_18transform_iteratorINSB_9not_fun_tI7is_trueIxEEESF_NSA_11use_defaultESM_EENS0_5tupleIJSF_S6_EEENSO_IJSG_SG_EEES6_PlJS6_EEE10hipError_tPvRmT3_T4_T5_T6_T7_T9_mT8_P12ihipStream_tbDpT10_ENKUlT_T0_E_clISt17integral_constantIbLb0EES1B_EEDaS16_S17_EUlS16_E_NS1_11comp_targetILNS1_3genE0ELNS1_11target_archE4294967295ELNS1_3gpuE0ELNS1_3repE0EEENS1_30default_config_static_selectorELNS0_4arch9wavefront6targetE0EEEvT1_.num_vgpr, 0
	.set _ZN7rocprim17ROCPRIM_400000_NS6detail17trampoline_kernelINS0_14default_configENS1_25partition_config_selectorILNS1_17partition_subalgoE5ExNS0_10empty_typeEbEEZZNS1_14partition_implILS5_5ELb0ES3_mN6thrust23THRUST_200600_302600_NS6detail15normal_iteratorINSA_10device_ptrIxEEEEPS6_NSA_18transform_iteratorINSB_9not_fun_tI7is_trueIxEEESF_NSA_11use_defaultESM_EENS0_5tupleIJSF_S6_EEENSO_IJSG_SG_EEES6_PlJS6_EEE10hipError_tPvRmT3_T4_T5_T6_T7_T9_mT8_P12ihipStream_tbDpT10_ENKUlT_T0_E_clISt17integral_constantIbLb0EES1B_EEDaS16_S17_EUlS16_E_NS1_11comp_targetILNS1_3genE0ELNS1_11target_archE4294967295ELNS1_3gpuE0ELNS1_3repE0EEENS1_30default_config_static_selectorELNS0_4arch9wavefront6targetE0EEEvT1_.num_agpr, 0
	.set _ZN7rocprim17ROCPRIM_400000_NS6detail17trampoline_kernelINS0_14default_configENS1_25partition_config_selectorILNS1_17partition_subalgoE5ExNS0_10empty_typeEbEEZZNS1_14partition_implILS5_5ELb0ES3_mN6thrust23THRUST_200600_302600_NS6detail15normal_iteratorINSA_10device_ptrIxEEEEPS6_NSA_18transform_iteratorINSB_9not_fun_tI7is_trueIxEEESF_NSA_11use_defaultESM_EENS0_5tupleIJSF_S6_EEENSO_IJSG_SG_EEES6_PlJS6_EEE10hipError_tPvRmT3_T4_T5_T6_T7_T9_mT8_P12ihipStream_tbDpT10_ENKUlT_T0_E_clISt17integral_constantIbLb0EES1B_EEDaS16_S17_EUlS16_E_NS1_11comp_targetILNS1_3genE0ELNS1_11target_archE4294967295ELNS1_3gpuE0ELNS1_3repE0EEENS1_30default_config_static_selectorELNS0_4arch9wavefront6targetE0EEEvT1_.numbered_sgpr, 0
	.set _ZN7rocprim17ROCPRIM_400000_NS6detail17trampoline_kernelINS0_14default_configENS1_25partition_config_selectorILNS1_17partition_subalgoE5ExNS0_10empty_typeEbEEZZNS1_14partition_implILS5_5ELb0ES3_mN6thrust23THRUST_200600_302600_NS6detail15normal_iteratorINSA_10device_ptrIxEEEEPS6_NSA_18transform_iteratorINSB_9not_fun_tI7is_trueIxEEESF_NSA_11use_defaultESM_EENS0_5tupleIJSF_S6_EEENSO_IJSG_SG_EEES6_PlJS6_EEE10hipError_tPvRmT3_T4_T5_T6_T7_T9_mT8_P12ihipStream_tbDpT10_ENKUlT_T0_E_clISt17integral_constantIbLb0EES1B_EEDaS16_S17_EUlS16_E_NS1_11comp_targetILNS1_3genE0ELNS1_11target_archE4294967295ELNS1_3gpuE0ELNS1_3repE0EEENS1_30default_config_static_selectorELNS0_4arch9wavefront6targetE0EEEvT1_.num_named_barrier, 0
	.set _ZN7rocprim17ROCPRIM_400000_NS6detail17trampoline_kernelINS0_14default_configENS1_25partition_config_selectorILNS1_17partition_subalgoE5ExNS0_10empty_typeEbEEZZNS1_14partition_implILS5_5ELb0ES3_mN6thrust23THRUST_200600_302600_NS6detail15normal_iteratorINSA_10device_ptrIxEEEEPS6_NSA_18transform_iteratorINSB_9not_fun_tI7is_trueIxEEESF_NSA_11use_defaultESM_EENS0_5tupleIJSF_S6_EEENSO_IJSG_SG_EEES6_PlJS6_EEE10hipError_tPvRmT3_T4_T5_T6_T7_T9_mT8_P12ihipStream_tbDpT10_ENKUlT_T0_E_clISt17integral_constantIbLb0EES1B_EEDaS16_S17_EUlS16_E_NS1_11comp_targetILNS1_3genE0ELNS1_11target_archE4294967295ELNS1_3gpuE0ELNS1_3repE0EEENS1_30default_config_static_selectorELNS0_4arch9wavefront6targetE0EEEvT1_.private_seg_size, 0
	.set _ZN7rocprim17ROCPRIM_400000_NS6detail17trampoline_kernelINS0_14default_configENS1_25partition_config_selectorILNS1_17partition_subalgoE5ExNS0_10empty_typeEbEEZZNS1_14partition_implILS5_5ELb0ES3_mN6thrust23THRUST_200600_302600_NS6detail15normal_iteratorINSA_10device_ptrIxEEEEPS6_NSA_18transform_iteratorINSB_9not_fun_tI7is_trueIxEEESF_NSA_11use_defaultESM_EENS0_5tupleIJSF_S6_EEENSO_IJSG_SG_EEES6_PlJS6_EEE10hipError_tPvRmT3_T4_T5_T6_T7_T9_mT8_P12ihipStream_tbDpT10_ENKUlT_T0_E_clISt17integral_constantIbLb0EES1B_EEDaS16_S17_EUlS16_E_NS1_11comp_targetILNS1_3genE0ELNS1_11target_archE4294967295ELNS1_3gpuE0ELNS1_3repE0EEENS1_30default_config_static_selectorELNS0_4arch9wavefront6targetE0EEEvT1_.uses_vcc, 0
	.set _ZN7rocprim17ROCPRIM_400000_NS6detail17trampoline_kernelINS0_14default_configENS1_25partition_config_selectorILNS1_17partition_subalgoE5ExNS0_10empty_typeEbEEZZNS1_14partition_implILS5_5ELb0ES3_mN6thrust23THRUST_200600_302600_NS6detail15normal_iteratorINSA_10device_ptrIxEEEEPS6_NSA_18transform_iteratorINSB_9not_fun_tI7is_trueIxEEESF_NSA_11use_defaultESM_EENS0_5tupleIJSF_S6_EEENSO_IJSG_SG_EEES6_PlJS6_EEE10hipError_tPvRmT3_T4_T5_T6_T7_T9_mT8_P12ihipStream_tbDpT10_ENKUlT_T0_E_clISt17integral_constantIbLb0EES1B_EEDaS16_S17_EUlS16_E_NS1_11comp_targetILNS1_3genE0ELNS1_11target_archE4294967295ELNS1_3gpuE0ELNS1_3repE0EEENS1_30default_config_static_selectorELNS0_4arch9wavefront6targetE0EEEvT1_.uses_flat_scratch, 0
	.set _ZN7rocprim17ROCPRIM_400000_NS6detail17trampoline_kernelINS0_14default_configENS1_25partition_config_selectorILNS1_17partition_subalgoE5ExNS0_10empty_typeEbEEZZNS1_14partition_implILS5_5ELb0ES3_mN6thrust23THRUST_200600_302600_NS6detail15normal_iteratorINSA_10device_ptrIxEEEEPS6_NSA_18transform_iteratorINSB_9not_fun_tI7is_trueIxEEESF_NSA_11use_defaultESM_EENS0_5tupleIJSF_S6_EEENSO_IJSG_SG_EEES6_PlJS6_EEE10hipError_tPvRmT3_T4_T5_T6_T7_T9_mT8_P12ihipStream_tbDpT10_ENKUlT_T0_E_clISt17integral_constantIbLb0EES1B_EEDaS16_S17_EUlS16_E_NS1_11comp_targetILNS1_3genE0ELNS1_11target_archE4294967295ELNS1_3gpuE0ELNS1_3repE0EEENS1_30default_config_static_selectorELNS0_4arch9wavefront6targetE0EEEvT1_.has_dyn_sized_stack, 0
	.set _ZN7rocprim17ROCPRIM_400000_NS6detail17trampoline_kernelINS0_14default_configENS1_25partition_config_selectorILNS1_17partition_subalgoE5ExNS0_10empty_typeEbEEZZNS1_14partition_implILS5_5ELb0ES3_mN6thrust23THRUST_200600_302600_NS6detail15normal_iteratorINSA_10device_ptrIxEEEEPS6_NSA_18transform_iteratorINSB_9not_fun_tI7is_trueIxEEESF_NSA_11use_defaultESM_EENS0_5tupleIJSF_S6_EEENSO_IJSG_SG_EEES6_PlJS6_EEE10hipError_tPvRmT3_T4_T5_T6_T7_T9_mT8_P12ihipStream_tbDpT10_ENKUlT_T0_E_clISt17integral_constantIbLb0EES1B_EEDaS16_S17_EUlS16_E_NS1_11comp_targetILNS1_3genE0ELNS1_11target_archE4294967295ELNS1_3gpuE0ELNS1_3repE0EEENS1_30default_config_static_selectorELNS0_4arch9wavefront6targetE0EEEvT1_.has_recursion, 0
	.set _ZN7rocprim17ROCPRIM_400000_NS6detail17trampoline_kernelINS0_14default_configENS1_25partition_config_selectorILNS1_17partition_subalgoE5ExNS0_10empty_typeEbEEZZNS1_14partition_implILS5_5ELb0ES3_mN6thrust23THRUST_200600_302600_NS6detail15normal_iteratorINSA_10device_ptrIxEEEEPS6_NSA_18transform_iteratorINSB_9not_fun_tI7is_trueIxEEESF_NSA_11use_defaultESM_EENS0_5tupleIJSF_S6_EEENSO_IJSG_SG_EEES6_PlJS6_EEE10hipError_tPvRmT3_T4_T5_T6_T7_T9_mT8_P12ihipStream_tbDpT10_ENKUlT_T0_E_clISt17integral_constantIbLb0EES1B_EEDaS16_S17_EUlS16_E_NS1_11comp_targetILNS1_3genE0ELNS1_11target_archE4294967295ELNS1_3gpuE0ELNS1_3repE0EEENS1_30default_config_static_selectorELNS0_4arch9wavefront6targetE0EEEvT1_.has_indirect_call, 0
	.section	.AMDGPU.csdata,"",@progbits
; Kernel info:
; codeLenInByte = 0
; TotalNumSgprs: 0
; NumVgprs: 0
; ScratchSize: 0
; MemoryBound: 0
; FloatMode: 240
; IeeeMode: 1
; LDSByteSize: 0 bytes/workgroup (compile time only)
; SGPRBlocks: 0
; VGPRBlocks: 0
; NumSGPRsForWavesPerEU: 1
; NumVGPRsForWavesPerEU: 1
; Occupancy: 16
; WaveLimiterHint : 0
; COMPUTE_PGM_RSRC2:SCRATCH_EN: 0
; COMPUTE_PGM_RSRC2:USER_SGPR: 2
; COMPUTE_PGM_RSRC2:TRAP_HANDLER: 0
; COMPUTE_PGM_RSRC2:TGID_X_EN: 1
; COMPUTE_PGM_RSRC2:TGID_Y_EN: 0
; COMPUTE_PGM_RSRC2:TGID_Z_EN: 0
; COMPUTE_PGM_RSRC2:TIDIG_COMP_CNT: 0
	.section	.text._ZN7rocprim17ROCPRIM_400000_NS6detail17trampoline_kernelINS0_14default_configENS1_25partition_config_selectorILNS1_17partition_subalgoE5ExNS0_10empty_typeEbEEZZNS1_14partition_implILS5_5ELb0ES3_mN6thrust23THRUST_200600_302600_NS6detail15normal_iteratorINSA_10device_ptrIxEEEEPS6_NSA_18transform_iteratorINSB_9not_fun_tI7is_trueIxEEESF_NSA_11use_defaultESM_EENS0_5tupleIJSF_S6_EEENSO_IJSG_SG_EEES6_PlJS6_EEE10hipError_tPvRmT3_T4_T5_T6_T7_T9_mT8_P12ihipStream_tbDpT10_ENKUlT_T0_E_clISt17integral_constantIbLb0EES1B_EEDaS16_S17_EUlS16_E_NS1_11comp_targetILNS1_3genE5ELNS1_11target_archE942ELNS1_3gpuE9ELNS1_3repE0EEENS1_30default_config_static_selectorELNS0_4arch9wavefront6targetE0EEEvT1_,"axG",@progbits,_ZN7rocprim17ROCPRIM_400000_NS6detail17trampoline_kernelINS0_14default_configENS1_25partition_config_selectorILNS1_17partition_subalgoE5ExNS0_10empty_typeEbEEZZNS1_14partition_implILS5_5ELb0ES3_mN6thrust23THRUST_200600_302600_NS6detail15normal_iteratorINSA_10device_ptrIxEEEEPS6_NSA_18transform_iteratorINSB_9not_fun_tI7is_trueIxEEESF_NSA_11use_defaultESM_EENS0_5tupleIJSF_S6_EEENSO_IJSG_SG_EEES6_PlJS6_EEE10hipError_tPvRmT3_T4_T5_T6_T7_T9_mT8_P12ihipStream_tbDpT10_ENKUlT_T0_E_clISt17integral_constantIbLb0EES1B_EEDaS16_S17_EUlS16_E_NS1_11comp_targetILNS1_3genE5ELNS1_11target_archE942ELNS1_3gpuE9ELNS1_3repE0EEENS1_30default_config_static_selectorELNS0_4arch9wavefront6targetE0EEEvT1_,comdat
	.protected	_ZN7rocprim17ROCPRIM_400000_NS6detail17trampoline_kernelINS0_14default_configENS1_25partition_config_selectorILNS1_17partition_subalgoE5ExNS0_10empty_typeEbEEZZNS1_14partition_implILS5_5ELb0ES3_mN6thrust23THRUST_200600_302600_NS6detail15normal_iteratorINSA_10device_ptrIxEEEEPS6_NSA_18transform_iteratorINSB_9not_fun_tI7is_trueIxEEESF_NSA_11use_defaultESM_EENS0_5tupleIJSF_S6_EEENSO_IJSG_SG_EEES6_PlJS6_EEE10hipError_tPvRmT3_T4_T5_T6_T7_T9_mT8_P12ihipStream_tbDpT10_ENKUlT_T0_E_clISt17integral_constantIbLb0EES1B_EEDaS16_S17_EUlS16_E_NS1_11comp_targetILNS1_3genE5ELNS1_11target_archE942ELNS1_3gpuE9ELNS1_3repE0EEENS1_30default_config_static_selectorELNS0_4arch9wavefront6targetE0EEEvT1_ ; -- Begin function _ZN7rocprim17ROCPRIM_400000_NS6detail17trampoline_kernelINS0_14default_configENS1_25partition_config_selectorILNS1_17partition_subalgoE5ExNS0_10empty_typeEbEEZZNS1_14partition_implILS5_5ELb0ES3_mN6thrust23THRUST_200600_302600_NS6detail15normal_iteratorINSA_10device_ptrIxEEEEPS6_NSA_18transform_iteratorINSB_9not_fun_tI7is_trueIxEEESF_NSA_11use_defaultESM_EENS0_5tupleIJSF_S6_EEENSO_IJSG_SG_EEES6_PlJS6_EEE10hipError_tPvRmT3_T4_T5_T6_T7_T9_mT8_P12ihipStream_tbDpT10_ENKUlT_T0_E_clISt17integral_constantIbLb0EES1B_EEDaS16_S17_EUlS16_E_NS1_11comp_targetILNS1_3genE5ELNS1_11target_archE942ELNS1_3gpuE9ELNS1_3repE0EEENS1_30default_config_static_selectorELNS0_4arch9wavefront6targetE0EEEvT1_
	.globl	_ZN7rocprim17ROCPRIM_400000_NS6detail17trampoline_kernelINS0_14default_configENS1_25partition_config_selectorILNS1_17partition_subalgoE5ExNS0_10empty_typeEbEEZZNS1_14partition_implILS5_5ELb0ES3_mN6thrust23THRUST_200600_302600_NS6detail15normal_iteratorINSA_10device_ptrIxEEEEPS6_NSA_18transform_iteratorINSB_9not_fun_tI7is_trueIxEEESF_NSA_11use_defaultESM_EENS0_5tupleIJSF_S6_EEENSO_IJSG_SG_EEES6_PlJS6_EEE10hipError_tPvRmT3_T4_T5_T6_T7_T9_mT8_P12ihipStream_tbDpT10_ENKUlT_T0_E_clISt17integral_constantIbLb0EES1B_EEDaS16_S17_EUlS16_E_NS1_11comp_targetILNS1_3genE5ELNS1_11target_archE942ELNS1_3gpuE9ELNS1_3repE0EEENS1_30default_config_static_selectorELNS0_4arch9wavefront6targetE0EEEvT1_
	.p2align	8
	.type	_ZN7rocprim17ROCPRIM_400000_NS6detail17trampoline_kernelINS0_14default_configENS1_25partition_config_selectorILNS1_17partition_subalgoE5ExNS0_10empty_typeEbEEZZNS1_14partition_implILS5_5ELb0ES3_mN6thrust23THRUST_200600_302600_NS6detail15normal_iteratorINSA_10device_ptrIxEEEEPS6_NSA_18transform_iteratorINSB_9not_fun_tI7is_trueIxEEESF_NSA_11use_defaultESM_EENS0_5tupleIJSF_S6_EEENSO_IJSG_SG_EEES6_PlJS6_EEE10hipError_tPvRmT3_T4_T5_T6_T7_T9_mT8_P12ihipStream_tbDpT10_ENKUlT_T0_E_clISt17integral_constantIbLb0EES1B_EEDaS16_S17_EUlS16_E_NS1_11comp_targetILNS1_3genE5ELNS1_11target_archE942ELNS1_3gpuE9ELNS1_3repE0EEENS1_30default_config_static_selectorELNS0_4arch9wavefront6targetE0EEEvT1_,@function
_ZN7rocprim17ROCPRIM_400000_NS6detail17trampoline_kernelINS0_14default_configENS1_25partition_config_selectorILNS1_17partition_subalgoE5ExNS0_10empty_typeEbEEZZNS1_14partition_implILS5_5ELb0ES3_mN6thrust23THRUST_200600_302600_NS6detail15normal_iteratorINSA_10device_ptrIxEEEEPS6_NSA_18transform_iteratorINSB_9not_fun_tI7is_trueIxEEESF_NSA_11use_defaultESM_EENS0_5tupleIJSF_S6_EEENSO_IJSG_SG_EEES6_PlJS6_EEE10hipError_tPvRmT3_T4_T5_T6_T7_T9_mT8_P12ihipStream_tbDpT10_ENKUlT_T0_E_clISt17integral_constantIbLb0EES1B_EEDaS16_S17_EUlS16_E_NS1_11comp_targetILNS1_3genE5ELNS1_11target_archE942ELNS1_3gpuE9ELNS1_3repE0EEENS1_30default_config_static_selectorELNS0_4arch9wavefront6targetE0EEEvT1_: ; @_ZN7rocprim17ROCPRIM_400000_NS6detail17trampoline_kernelINS0_14default_configENS1_25partition_config_selectorILNS1_17partition_subalgoE5ExNS0_10empty_typeEbEEZZNS1_14partition_implILS5_5ELb0ES3_mN6thrust23THRUST_200600_302600_NS6detail15normal_iteratorINSA_10device_ptrIxEEEEPS6_NSA_18transform_iteratorINSB_9not_fun_tI7is_trueIxEEESF_NSA_11use_defaultESM_EENS0_5tupleIJSF_S6_EEENSO_IJSG_SG_EEES6_PlJS6_EEE10hipError_tPvRmT3_T4_T5_T6_T7_T9_mT8_P12ihipStream_tbDpT10_ENKUlT_T0_E_clISt17integral_constantIbLb0EES1B_EEDaS16_S17_EUlS16_E_NS1_11comp_targetILNS1_3genE5ELNS1_11target_archE942ELNS1_3gpuE9ELNS1_3repE0EEENS1_30default_config_static_selectorELNS0_4arch9wavefront6targetE0EEEvT1_
; %bb.0:
	.section	.rodata,"a",@progbits
	.p2align	6, 0x0
	.amdhsa_kernel _ZN7rocprim17ROCPRIM_400000_NS6detail17trampoline_kernelINS0_14default_configENS1_25partition_config_selectorILNS1_17partition_subalgoE5ExNS0_10empty_typeEbEEZZNS1_14partition_implILS5_5ELb0ES3_mN6thrust23THRUST_200600_302600_NS6detail15normal_iteratorINSA_10device_ptrIxEEEEPS6_NSA_18transform_iteratorINSB_9not_fun_tI7is_trueIxEEESF_NSA_11use_defaultESM_EENS0_5tupleIJSF_S6_EEENSO_IJSG_SG_EEES6_PlJS6_EEE10hipError_tPvRmT3_T4_T5_T6_T7_T9_mT8_P12ihipStream_tbDpT10_ENKUlT_T0_E_clISt17integral_constantIbLb0EES1B_EEDaS16_S17_EUlS16_E_NS1_11comp_targetILNS1_3genE5ELNS1_11target_archE942ELNS1_3gpuE9ELNS1_3repE0EEENS1_30default_config_static_selectorELNS0_4arch9wavefront6targetE0EEEvT1_
		.amdhsa_group_segment_fixed_size 0
		.amdhsa_private_segment_fixed_size 0
		.amdhsa_kernarg_size 120
		.amdhsa_user_sgpr_count 2
		.amdhsa_user_sgpr_dispatch_ptr 0
		.amdhsa_user_sgpr_queue_ptr 0
		.amdhsa_user_sgpr_kernarg_segment_ptr 1
		.amdhsa_user_sgpr_dispatch_id 0
		.amdhsa_user_sgpr_private_segment_size 0
		.amdhsa_wavefront_size32 1
		.amdhsa_uses_dynamic_stack 0
		.amdhsa_enable_private_segment 0
		.amdhsa_system_sgpr_workgroup_id_x 1
		.amdhsa_system_sgpr_workgroup_id_y 0
		.amdhsa_system_sgpr_workgroup_id_z 0
		.amdhsa_system_sgpr_workgroup_info 0
		.amdhsa_system_vgpr_workitem_id 0
		.amdhsa_next_free_vgpr 1
		.amdhsa_next_free_sgpr 1
		.amdhsa_reserve_vcc 0
		.amdhsa_float_round_mode_32 0
		.amdhsa_float_round_mode_16_64 0
		.amdhsa_float_denorm_mode_32 3
		.amdhsa_float_denorm_mode_16_64 3
		.amdhsa_fp16_overflow 0
		.amdhsa_workgroup_processor_mode 1
		.amdhsa_memory_ordered 1
		.amdhsa_forward_progress 1
		.amdhsa_inst_pref_size 0
		.amdhsa_round_robin_scheduling 0
		.amdhsa_exception_fp_ieee_invalid_op 0
		.amdhsa_exception_fp_denorm_src 0
		.amdhsa_exception_fp_ieee_div_zero 0
		.amdhsa_exception_fp_ieee_overflow 0
		.amdhsa_exception_fp_ieee_underflow 0
		.amdhsa_exception_fp_ieee_inexact 0
		.amdhsa_exception_int_div_zero 0
	.end_amdhsa_kernel
	.section	.text._ZN7rocprim17ROCPRIM_400000_NS6detail17trampoline_kernelINS0_14default_configENS1_25partition_config_selectorILNS1_17partition_subalgoE5ExNS0_10empty_typeEbEEZZNS1_14partition_implILS5_5ELb0ES3_mN6thrust23THRUST_200600_302600_NS6detail15normal_iteratorINSA_10device_ptrIxEEEEPS6_NSA_18transform_iteratorINSB_9not_fun_tI7is_trueIxEEESF_NSA_11use_defaultESM_EENS0_5tupleIJSF_S6_EEENSO_IJSG_SG_EEES6_PlJS6_EEE10hipError_tPvRmT3_T4_T5_T6_T7_T9_mT8_P12ihipStream_tbDpT10_ENKUlT_T0_E_clISt17integral_constantIbLb0EES1B_EEDaS16_S17_EUlS16_E_NS1_11comp_targetILNS1_3genE5ELNS1_11target_archE942ELNS1_3gpuE9ELNS1_3repE0EEENS1_30default_config_static_selectorELNS0_4arch9wavefront6targetE0EEEvT1_,"axG",@progbits,_ZN7rocprim17ROCPRIM_400000_NS6detail17trampoline_kernelINS0_14default_configENS1_25partition_config_selectorILNS1_17partition_subalgoE5ExNS0_10empty_typeEbEEZZNS1_14partition_implILS5_5ELb0ES3_mN6thrust23THRUST_200600_302600_NS6detail15normal_iteratorINSA_10device_ptrIxEEEEPS6_NSA_18transform_iteratorINSB_9not_fun_tI7is_trueIxEEESF_NSA_11use_defaultESM_EENS0_5tupleIJSF_S6_EEENSO_IJSG_SG_EEES6_PlJS6_EEE10hipError_tPvRmT3_T4_T5_T6_T7_T9_mT8_P12ihipStream_tbDpT10_ENKUlT_T0_E_clISt17integral_constantIbLb0EES1B_EEDaS16_S17_EUlS16_E_NS1_11comp_targetILNS1_3genE5ELNS1_11target_archE942ELNS1_3gpuE9ELNS1_3repE0EEENS1_30default_config_static_selectorELNS0_4arch9wavefront6targetE0EEEvT1_,comdat
.Lfunc_end1468:
	.size	_ZN7rocprim17ROCPRIM_400000_NS6detail17trampoline_kernelINS0_14default_configENS1_25partition_config_selectorILNS1_17partition_subalgoE5ExNS0_10empty_typeEbEEZZNS1_14partition_implILS5_5ELb0ES3_mN6thrust23THRUST_200600_302600_NS6detail15normal_iteratorINSA_10device_ptrIxEEEEPS6_NSA_18transform_iteratorINSB_9not_fun_tI7is_trueIxEEESF_NSA_11use_defaultESM_EENS0_5tupleIJSF_S6_EEENSO_IJSG_SG_EEES6_PlJS6_EEE10hipError_tPvRmT3_T4_T5_T6_T7_T9_mT8_P12ihipStream_tbDpT10_ENKUlT_T0_E_clISt17integral_constantIbLb0EES1B_EEDaS16_S17_EUlS16_E_NS1_11comp_targetILNS1_3genE5ELNS1_11target_archE942ELNS1_3gpuE9ELNS1_3repE0EEENS1_30default_config_static_selectorELNS0_4arch9wavefront6targetE0EEEvT1_, .Lfunc_end1468-_ZN7rocprim17ROCPRIM_400000_NS6detail17trampoline_kernelINS0_14default_configENS1_25partition_config_selectorILNS1_17partition_subalgoE5ExNS0_10empty_typeEbEEZZNS1_14partition_implILS5_5ELb0ES3_mN6thrust23THRUST_200600_302600_NS6detail15normal_iteratorINSA_10device_ptrIxEEEEPS6_NSA_18transform_iteratorINSB_9not_fun_tI7is_trueIxEEESF_NSA_11use_defaultESM_EENS0_5tupleIJSF_S6_EEENSO_IJSG_SG_EEES6_PlJS6_EEE10hipError_tPvRmT3_T4_T5_T6_T7_T9_mT8_P12ihipStream_tbDpT10_ENKUlT_T0_E_clISt17integral_constantIbLb0EES1B_EEDaS16_S17_EUlS16_E_NS1_11comp_targetILNS1_3genE5ELNS1_11target_archE942ELNS1_3gpuE9ELNS1_3repE0EEENS1_30default_config_static_selectorELNS0_4arch9wavefront6targetE0EEEvT1_
                                        ; -- End function
	.set _ZN7rocprim17ROCPRIM_400000_NS6detail17trampoline_kernelINS0_14default_configENS1_25partition_config_selectorILNS1_17partition_subalgoE5ExNS0_10empty_typeEbEEZZNS1_14partition_implILS5_5ELb0ES3_mN6thrust23THRUST_200600_302600_NS6detail15normal_iteratorINSA_10device_ptrIxEEEEPS6_NSA_18transform_iteratorINSB_9not_fun_tI7is_trueIxEEESF_NSA_11use_defaultESM_EENS0_5tupleIJSF_S6_EEENSO_IJSG_SG_EEES6_PlJS6_EEE10hipError_tPvRmT3_T4_T5_T6_T7_T9_mT8_P12ihipStream_tbDpT10_ENKUlT_T0_E_clISt17integral_constantIbLb0EES1B_EEDaS16_S17_EUlS16_E_NS1_11comp_targetILNS1_3genE5ELNS1_11target_archE942ELNS1_3gpuE9ELNS1_3repE0EEENS1_30default_config_static_selectorELNS0_4arch9wavefront6targetE0EEEvT1_.num_vgpr, 0
	.set _ZN7rocprim17ROCPRIM_400000_NS6detail17trampoline_kernelINS0_14default_configENS1_25partition_config_selectorILNS1_17partition_subalgoE5ExNS0_10empty_typeEbEEZZNS1_14partition_implILS5_5ELb0ES3_mN6thrust23THRUST_200600_302600_NS6detail15normal_iteratorINSA_10device_ptrIxEEEEPS6_NSA_18transform_iteratorINSB_9not_fun_tI7is_trueIxEEESF_NSA_11use_defaultESM_EENS0_5tupleIJSF_S6_EEENSO_IJSG_SG_EEES6_PlJS6_EEE10hipError_tPvRmT3_T4_T5_T6_T7_T9_mT8_P12ihipStream_tbDpT10_ENKUlT_T0_E_clISt17integral_constantIbLb0EES1B_EEDaS16_S17_EUlS16_E_NS1_11comp_targetILNS1_3genE5ELNS1_11target_archE942ELNS1_3gpuE9ELNS1_3repE0EEENS1_30default_config_static_selectorELNS0_4arch9wavefront6targetE0EEEvT1_.num_agpr, 0
	.set _ZN7rocprim17ROCPRIM_400000_NS6detail17trampoline_kernelINS0_14default_configENS1_25partition_config_selectorILNS1_17partition_subalgoE5ExNS0_10empty_typeEbEEZZNS1_14partition_implILS5_5ELb0ES3_mN6thrust23THRUST_200600_302600_NS6detail15normal_iteratorINSA_10device_ptrIxEEEEPS6_NSA_18transform_iteratorINSB_9not_fun_tI7is_trueIxEEESF_NSA_11use_defaultESM_EENS0_5tupleIJSF_S6_EEENSO_IJSG_SG_EEES6_PlJS6_EEE10hipError_tPvRmT3_T4_T5_T6_T7_T9_mT8_P12ihipStream_tbDpT10_ENKUlT_T0_E_clISt17integral_constantIbLb0EES1B_EEDaS16_S17_EUlS16_E_NS1_11comp_targetILNS1_3genE5ELNS1_11target_archE942ELNS1_3gpuE9ELNS1_3repE0EEENS1_30default_config_static_selectorELNS0_4arch9wavefront6targetE0EEEvT1_.numbered_sgpr, 0
	.set _ZN7rocprim17ROCPRIM_400000_NS6detail17trampoline_kernelINS0_14default_configENS1_25partition_config_selectorILNS1_17partition_subalgoE5ExNS0_10empty_typeEbEEZZNS1_14partition_implILS5_5ELb0ES3_mN6thrust23THRUST_200600_302600_NS6detail15normal_iteratorINSA_10device_ptrIxEEEEPS6_NSA_18transform_iteratorINSB_9not_fun_tI7is_trueIxEEESF_NSA_11use_defaultESM_EENS0_5tupleIJSF_S6_EEENSO_IJSG_SG_EEES6_PlJS6_EEE10hipError_tPvRmT3_T4_T5_T6_T7_T9_mT8_P12ihipStream_tbDpT10_ENKUlT_T0_E_clISt17integral_constantIbLb0EES1B_EEDaS16_S17_EUlS16_E_NS1_11comp_targetILNS1_3genE5ELNS1_11target_archE942ELNS1_3gpuE9ELNS1_3repE0EEENS1_30default_config_static_selectorELNS0_4arch9wavefront6targetE0EEEvT1_.num_named_barrier, 0
	.set _ZN7rocprim17ROCPRIM_400000_NS6detail17trampoline_kernelINS0_14default_configENS1_25partition_config_selectorILNS1_17partition_subalgoE5ExNS0_10empty_typeEbEEZZNS1_14partition_implILS5_5ELb0ES3_mN6thrust23THRUST_200600_302600_NS6detail15normal_iteratorINSA_10device_ptrIxEEEEPS6_NSA_18transform_iteratorINSB_9not_fun_tI7is_trueIxEEESF_NSA_11use_defaultESM_EENS0_5tupleIJSF_S6_EEENSO_IJSG_SG_EEES6_PlJS6_EEE10hipError_tPvRmT3_T4_T5_T6_T7_T9_mT8_P12ihipStream_tbDpT10_ENKUlT_T0_E_clISt17integral_constantIbLb0EES1B_EEDaS16_S17_EUlS16_E_NS1_11comp_targetILNS1_3genE5ELNS1_11target_archE942ELNS1_3gpuE9ELNS1_3repE0EEENS1_30default_config_static_selectorELNS0_4arch9wavefront6targetE0EEEvT1_.private_seg_size, 0
	.set _ZN7rocprim17ROCPRIM_400000_NS6detail17trampoline_kernelINS0_14default_configENS1_25partition_config_selectorILNS1_17partition_subalgoE5ExNS0_10empty_typeEbEEZZNS1_14partition_implILS5_5ELb0ES3_mN6thrust23THRUST_200600_302600_NS6detail15normal_iteratorINSA_10device_ptrIxEEEEPS6_NSA_18transform_iteratorINSB_9not_fun_tI7is_trueIxEEESF_NSA_11use_defaultESM_EENS0_5tupleIJSF_S6_EEENSO_IJSG_SG_EEES6_PlJS6_EEE10hipError_tPvRmT3_T4_T5_T6_T7_T9_mT8_P12ihipStream_tbDpT10_ENKUlT_T0_E_clISt17integral_constantIbLb0EES1B_EEDaS16_S17_EUlS16_E_NS1_11comp_targetILNS1_3genE5ELNS1_11target_archE942ELNS1_3gpuE9ELNS1_3repE0EEENS1_30default_config_static_selectorELNS0_4arch9wavefront6targetE0EEEvT1_.uses_vcc, 0
	.set _ZN7rocprim17ROCPRIM_400000_NS6detail17trampoline_kernelINS0_14default_configENS1_25partition_config_selectorILNS1_17partition_subalgoE5ExNS0_10empty_typeEbEEZZNS1_14partition_implILS5_5ELb0ES3_mN6thrust23THRUST_200600_302600_NS6detail15normal_iteratorINSA_10device_ptrIxEEEEPS6_NSA_18transform_iteratorINSB_9not_fun_tI7is_trueIxEEESF_NSA_11use_defaultESM_EENS0_5tupleIJSF_S6_EEENSO_IJSG_SG_EEES6_PlJS6_EEE10hipError_tPvRmT3_T4_T5_T6_T7_T9_mT8_P12ihipStream_tbDpT10_ENKUlT_T0_E_clISt17integral_constantIbLb0EES1B_EEDaS16_S17_EUlS16_E_NS1_11comp_targetILNS1_3genE5ELNS1_11target_archE942ELNS1_3gpuE9ELNS1_3repE0EEENS1_30default_config_static_selectorELNS0_4arch9wavefront6targetE0EEEvT1_.uses_flat_scratch, 0
	.set _ZN7rocprim17ROCPRIM_400000_NS6detail17trampoline_kernelINS0_14default_configENS1_25partition_config_selectorILNS1_17partition_subalgoE5ExNS0_10empty_typeEbEEZZNS1_14partition_implILS5_5ELb0ES3_mN6thrust23THRUST_200600_302600_NS6detail15normal_iteratorINSA_10device_ptrIxEEEEPS6_NSA_18transform_iteratorINSB_9not_fun_tI7is_trueIxEEESF_NSA_11use_defaultESM_EENS0_5tupleIJSF_S6_EEENSO_IJSG_SG_EEES6_PlJS6_EEE10hipError_tPvRmT3_T4_T5_T6_T7_T9_mT8_P12ihipStream_tbDpT10_ENKUlT_T0_E_clISt17integral_constantIbLb0EES1B_EEDaS16_S17_EUlS16_E_NS1_11comp_targetILNS1_3genE5ELNS1_11target_archE942ELNS1_3gpuE9ELNS1_3repE0EEENS1_30default_config_static_selectorELNS0_4arch9wavefront6targetE0EEEvT1_.has_dyn_sized_stack, 0
	.set _ZN7rocprim17ROCPRIM_400000_NS6detail17trampoline_kernelINS0_14default_configENS1_25partition_config_selectorILNS1_17partition_subalgoE5ExNS0_10empty_typeEbEEZZNS1_14partition_implILS5_5ELb0ES3_mN6thrust23THRUST_200600_302600_NS6detail15normal_iteratorINSA_10device_ptrIxEEEEPS6_NSA_18transform_iteratorINSB_9not_fun_tI7is_trueIxEEESF_NSA_11use_defaultESM_EENS0_5tupleIJSF_S6_EEENSO_IJSG_SG_EEES6_PlJS6_EEE10hipError_tPvRmT3_T4_T5_T6_T7_T9_mT8_P12ihipStream_tbDpT10_ENKUlT_T0_E_clISt17integral_constantIbLb0EES1B_EEDaS16_S17_EUlS16_E_NS1_11comp_targetILNS1_3genE5ELNS1_11target_archE942ELNS1_3gpuE9ELNS1_3repE0EEENS1_30default_config_static_selectorELNS0_4arch9wavefront6targetE0EEEvT1_.has_recursion, 0
	.set _ZN7rocprim17ROCPRIM_400000_NS6detail17trampoline_kernelINS0_14default_configENS1_25partition_config_selectorILNS1_17partition_subalgoE5ExNS0_10empty_typeEbEEZZNS1_14partition_implILS5_5ELb0ES3_mN6thrust23THRUST_200600_302600_NS6detail15normal_iteratorINSA_10device_ptrIxEEEEPS6_NSA_18transform_iteratorINSB_9not_fun_tI7is_trueIxEEESF_NSA_11use_defaultESM_EENS0_5tupleIJSF_S6_EEENSO_IJSG_SG_EEES6_PlJS6_EEE10hipError_tPvRmT3_T4_T5_T6_T7_T9_mT8_P12ihipStream_tbDpT10_ENKUlT_T0_E_clISt17integral_constantIbLb0EES1B_EEDaS16_S17_EUlS16_E_NS1_11comp_targetILNS1_3genE5ELNS1_11target_archE942ELNS1_3gpuE9ELNS1_3repE0EEENS1_30default_config_static_selectorELNS0_4arch9wavefront6targetE0EEEvT1_.has_indirect_call, 0
	.section	.AMDGPU.csdata,"",@progbits
; Kernel info:
; codeLenInByte = 0
; TotalNumSgprs: 0
; NumVgprs: 0
; ScratchSize: 0
; MemoryBound: 0
; FloatMode: 240
; IeeeMode: 1
; LDSByteSize: 0 bytes/workgroup (compile time only)
; SGPRBlocks: 0
; VGPRBlocks: 0
; NumSGPRsForWavesPerEU: 1
; NumVGPRsForWavesPerEU: 1
; Occupancy: 16
; WaveLimiterHint : 0
; COMPUTE_PGM_RSRC2:SCRATCH_EN: 0
; COMPUTE_PGM_RSRC2:USER_SGPR: 2
; COMPUTE_PGM_RSRC2:TRAP_HANDLER: 0
; COMPUTE_PGM_RSRC2:TGID_X_EN: 1
; COMPUTE_PGM_RSRC2:TGID_Y_EN: 0
; COMPUTE_PGM_RSRC2:TGID_Z_EN: 0
; COMPUTE_PGM_RSRC2:TIDIG_COMP_CNT: 0
	.section	.text._ZN7rocprim17ROCPRIM_400000_NS6detail17trampoline_kernelINS0_14default_configENS1_25partition_config_selectorILNS1_17partition_subalgoE5ExNS0_10empty_typeEbEEZZNS1_14partition_implILS5_5ELb0ES3_mN6thrust23THRUST_200600_302600_NS6detail15normal_iteratorINSA_10device_ptrIxEEEEPS6_NSA_18transform_iteratorINSB_9not_fun_tI7is_trueIxEEESF_NSA_11use_defaultESM_EENS0_5tupleIJSF_S6_EEENSO_IJSG_SG_EEES6_PlJS6_EEE10hipError_tPvRmT3_T4_T5_T6_T7_T9_mT8_P12ihipStream_tbDpT10_ENKUlT_T0_E_clISt17integral_constantIbLb0EES1B_EEDaS16_S17_EUlS16_E_NS1_11comp_targetILNS1_3genE4ELNS1_11target_archE910ELNS1_3gpuE8ELNS1_3repE0EEENS1_30default_config_static_selectorELNS0_4arch9wavefront6targetE0EEEvT1_,"axG",@progbits,_ZN7rocprim17ROCPRIM_400000_NS6detail17trampoline_kernelINS0_14default_configENS1_25partition_config_selectorILNS1_17partition_subalgoE5ExNS0_10empty_typeEbEEZZNS1_14partition_implILS5_5ELb0ES3_mN6thrust23THRUST_200600_302600_NS6detail15normal_iteratorINSA_10device_ptrIxEEEEPS6_NSA_18transform_iteratorINSB_9not_fun_tI7is_trueIxEEESF_NSA_11use_defaultESM_EENS0_5tupleIJSF_S6_EEENSO_IJSG_SG_EEES6_PlJS6_EEE10hipError_tPvRmT3_T4_T5_T6_T7_T9_mT8_P12ihipStream_tbDpT10_ENKUlT_T0_E_clISt17integral_constantIbLb0EES1B_EEDaS16_S17_EUlS16_E_NS1_11comp_targetILNS1_3genE4ELNS1_11target_archE910ELNS1_3gpuE8ELNS1_3repE0EEENS1_30default_config_static_selectorELNS0_4arch9wavefront6targetE0EEEvT1_,comdat
	.protected	_ZN7rocprim17ROCPRIM_400000_NS6detail17trampoline_kernelINS0_14default_configENS1_25partition_config_selectorILNS1_17partition_subalgoE5ExNS0_10empty_typeEbEEZZNS1_14partition_implILS5_5ELb0ES3_mN6thrust23THRUST_200600_302600_NS6detail15normal_iteratorINSA_10device_ptrIxEEEEPS6_NSA_18transform_iteratorINSB_9not_fun_tI7is_trueIxEEESF_NSA_11use_defaultESM_EENS0_5tupleIJSF_S6_EEENSO_IJSG_SG_EEES6_PlJS6_EEE10hipError_tPvRmT3_T4_T5_T6_T7_T9_mT8_P12ihipStream_tbDpT10_ENKUlT_T0_E_clISt17integral_constantIbLb0EES1B_EEDaS16_S17_EUlS16_E_NS1_11comp_targetILNS1_3genE4ELNS1_11target_archE910ELNS1_3gpuE8ELNS1_3repE0EEENS1_30default_config_static_selectorELNS0_4arch9wavefront6targetE0EEEvT1_ ; -- Begin function _ZN7rocprim17ROCPRIM_400000_NS6detail17trampoline_kernelINS0_14default_configENS1_25partition_config_selectorILNS1_17partition_subalgoE5ExNS0_10empty_typeEbEEZZNS1_14partition_implILS5_5ELb0ES3_mN6thrust23THRUST_200600_302600_NS6detail15normal_iteratorINSA_10device_ptrIxEEEEPS6_NSA_18transform_iteratorINSB_9not_fun_tI7is_trueIxEEESF_NSA_11use_defaultESM_EENS0_5tupleIJSF_S6_EEENSO_IJSG_SG_EEES6_PlJS6_EEE10hipError_tPvRmT3_T4_T5_T6_T7_T9_mT8_P12ihipStream_tbDpT10_ENKUlT_T0_E_clISt17integral_constantIbLb0EES1B_EEDaS16_S17_EUlS16_E_NS1_11comp_targetILNS1_3genE4ELNS1_11target_archE910ELNS1_3gpuE8ELNS1_3repE0EEENS1_30default_config_static_selectorELNS0_4arch9wavefront6targetE0EEEvT1_
	.globl	_ZN7rocprim17ROCPRIM_400000_NS6detail17trampoline_kernelINS0_14default_configENS1_25partition_config_selectorILNS1_17partition_subalgoE5ExNS0_10empty_typeEbEEZZNS1_14partition_implILS5_5ELb0ES3_mN6thrust23THRUST_200600_302600_NS6detail15normal_iteratorINSA_10device_ptrIxEEEEPS6_NSA_18transform_iteratorINSB_9not_fun_tI7is_trueIxEEESF_NSA_11use_defaultESM_EENS0_5tupleIJSF_S6_EEENSO_IJSG_SG_EEES6_PlJS6_EEE10hipError_tPvRmT3_T4_T5_T6_T7_T9_mT8_P12ihipStream_tbDpT10_ENKUlT_T0_E_clISt17integral_constantIbLb0EES1B_EEDaS16_S17_EUlS16_E_NS1_11comp_targetILNS1_3genE4ELNS1_11target_archE910ELNS1_3gpuE8ELNS1_3repE0EEENS1_30default_config_static_selectorELNS0_4arch9wavefront6targetE0EEEvT1_
	.p2align	8
	.type	_ZN7rocprim17ROCPRIM_400000_NS6detail17trampoline_kernelINS0_14default_configENS1_25partition_config_selectorILNS1_17partition_subalgoE5ExNS0_10empty_typeEbEEZZNS1_14partition_implILS5_5ELb0ES3_mN6thrust23THRUST_200600_302600_NS6detail15normal_iteratorINSA_10device_ptrIxEEEEPS6_NSA_18transform_iteratorINSB_9not_fun_tI7is_trueIxEEESF_NSA_11use_defaultESM_EENS0_5tupleIJSF_S6_EEENSO_IJSG_SG_EEES6_PlJS6_EEE10hipError_tPvRmT3_T4_T5_T6_T7_T9_mT8_P12ihipStream_tbDpT10_ENKUlT_T0_E_clISt17integral_constantIbLb0EES1B_EEDaS16_S17_EUlS16_E_NS1_11comp_targetILNS1_3genE4ELNS1_11target_archE910ELNS1_3gpuE8ELNS1_3repE0EEENS1_30default_config_static_selectorELNS0_4arch9wavefront6targetE0EEEvT1_,@function
_ZN7rocprim17ROCPRIM_400000_NS6detail17trampoline_kernelINS0_14default_configENS1_25partition_config_selectorILNS1_17partition_subalgoE5ExNS0_10empty_typeEbEEZZNS1_14partition_implILS5_5ELb0ES3_mN6thrust23THRUST_200600_302600_NS6detail15normal_iteratorINSA_10device_ptrIxEEEEPS6_NSA_18transform_iteratorINSB_9not_fun_tI7is_trueIxEEESF_NSA_11use_defaultESM_EENS0_5tupleIJSF_S6_EEENSO_IJSG_SG_EEES6_PlJS6_EEE10hipError_tPvRmT3_T4_T5_T6_T7_T9_mT8_P12ihipStream_tbDpT10_ENKUlT_T0_E_clISt17integral_constantIbLb0EES1B_EEDaS16_S17_EUlS16_E_NS1_11comp_targetILNS1_3genE4ELNS1_11target_archE910ELNS1_3gpuE8ELNS1_3repE0EEENS1_30default_config_static_selectorELNS0_4arch9wavefront6targetE0EEEvT1_: ; @_ZN7rocprim17ROCPRIM_400000_NS6detail17trampoline_kernelINS0_14default_configENS1_25partition_config_selectorILNS1_17partition_subalgoE5ExNS0_10empty_typeEbEEZZNS1_14partition_implILS5_5ELb0ES3_mN6thrust23THRUST_200600_302600_NS6detail15normal_iteratorINSA_10device_ptrIxEEEEPS6_NSA_18transform_iteratorINSB_9not_fun_tI7is_trueIxEEESF_NSA_11use_defaultESM_EENS0_5tupleIJSF_S6_EEENSO_IJSG_SG_EEES6_PlJS6_EEE10hipError_tPvRmT3_T4_T5_T6_T7_T9_mT8_P12ihipStream_tbDpT10_ENKUlT_T0_E_clISt17integral_constantIbLb0EES1B_EEDaS16_S17_EUlS16_E_NS1_11comp_targetILNS1_3genE4ELNS1_11target_archE910ELNS1_3gpuE8ELNS1_3repE0EEENS1_30default_config_static_selectorELNS0_4arch9wavefront6targetE0EEEvT1_
; %bb.0:
	.section	.rodata,"a",@progbits
	.p2align	6, 0x0
	.amdhsa_kernel _ZN7rocprim17ROCPRIM_400000_NS6detail17trampoline_kernelINS0_14default_configENS1_25partition_config_selectorILNS1_17partition_subalgoE5ExNS0_10empty_typeEbEEZZNS1_14partition_implILS5_5ELb0ES3_mN6thrust23THRUST_200600_302600_NS6detail15normal_iteratorINSA_10device_ptrIxEEEEPS6_NSA_18transform_iteratorINSB_9not_fun_tI7is_trueIxEEESF_NSA_11use_defaultESM_EENS0_5tupleIJSF_S6_EEENSO_IJSG_SG_EEES6_PlJS6_EEE10hipError_tPvRmT3_T4_T5_T6_T7_T9_mT8_P12ihipStream_tbDpT10_ENKUlT_T0_E_clISt17integral_constantIbLb0EES1B_EEDaS16_S17_EUlS16_E_NS1_11comp_targetILNS1_3genE4ELNS1_11target_archE910ELNS1_3gpuE8ELNS1_3repE0EEENS1_30default_config_static_selectorELNS0_4arch9wavefront6targetE0EEEvT1_
		.amdhsa_group_segment_fixed_size 0
		.amdhsa_private_segment_fixed_size 0
		.amdhsa_kernarg_size 120
		.amdhsa_user_sgpr_count 2
		.amdhsa_user_sgpr_dispatch_ptr 0
		.amdhsa_user_sgpr_queue_ptr 0
		.amdhsa_user_sgpr_kernarg_segment_ptr 1
		.amdhsa_user_sgpr_dispatch_id 0
		.amdhsa_user_sgpr_private_segment_size 0
		.amdhsa_wavefront_size32 1
		.amdhsa_uses_dynamic_stack 0
		.amdhsa_enable_private_segment 0
		.amdhsa_system_sgpr_workgroup_id_x 1
		.amdhsa_system_sgpr_workgroup_id_y 0
		.amdhsa_system_sgpr_workgroup_id_z 0
		.amdhsa_system_sgpr_workgroup_info 0
		.amdhsa_system_vgpr_workitem_id 0
		.amdhsa_next_free_vgpr 1
		.amdhsa_next_free_sgpr 1
		.amdhsa_reserve_vcc 0
		.amdhsa_float_round_mode_32 0
		.amdhsa_float_round_mode_16_64 0
		.amdhsa_float_denorm_mode_32 3
		.amdhsa_float_denorm_mode_16_64 3
		.amdhsa_fp16_overflow 0
		.amdhsa_workgroup_processor_mode 1
		.amdhsa_memory_ordered 1
		.amdhsa_forward_progress 1
		.amdhsa_inst_pref_size 0
		.amdhsa_round_robin_scheduling 0
		.amdhsa_exception_fp_ieee_invalid_op 0
		.amdhsa_exception_fp_denorm_src 0
		.amdhsa_exception_fp_ieee_div_zero 0
		.amdhsa_exception_fp_ieee_overflow 0
		.amdhsa_exception_fp_ieee_underflow 0
		.amdhsa_exception_fp_ieee_inexact 0
		.amdhsa_exception_int_div_zero 0
	.end_amdhsa_kernel
	.section	.text._ZN7rocprim17ROCPRIM_400000_NS6detail17trampoline_kernelINS0_14default_configENS1_25partition_config_selectorILNS1_17partition_subalgoE5ExNS0_10empty_typeEbEEZZNS1_14partition_implILS5_5ELb0ES3_mN6thrust23THRUST_200600_302600_NS6detail15normal_iteratorINSA_10device_ptrIxEEEEPS6_NSA_18transform_iteratorINSB_9not_fun_tI7is_trueIxEEESF_NSA_11use_defaultESM_EENS0_5tupleIJSF_S6_EEENSO_IJSG_SG_EEES6_PlJS6_EEE10hipError_tPvRmT3_T4_T5_T6_T7_T9_mT8_P12ihipStream_tbDpT10_ENKUlT_T0_E_clISt17integral_constantIbLb0EES1B_EEDaS16_S17_EUlS16_E_NS1_11comp_targetILNS1_3genE4ELNS1_11target_archE910ELNS1_3gpuE8ELNS1_3repE0EEENS1_30default_config_static_selectorELNS0_4arch9wavefront6targetE0EEEvT1_,"axG",@progbits,_ZN7rocprim17ROCPRIM_400000_NS6detail17trampoline_kernelINS0_14default_configENS1_25partition_config_selectorILNS1_17partition_subalgoE5ExNS0_10empty_typeEbEEZZNS1_14partition_implILS5_5ELb0ES3_mN6thrust23THRUST_200600_302600_NS6detail15normal_iteratorINSA_10device_ptrIxEEEEPS6_NSA_18transform_iteratorINSB_9not_fun_tI7is_trueIxEEESF_NSA_11use_defaultESM_EENS0_5tupleIJSF_S6_EEENSO_IJSG_SG_EEES6_PlJS6_EEE10hipError_tPvRmT3_T4_T5_T6_T7_T9_mT8_P12ihipStream_tbDpT10_ENKUlT_T0_E_clISt17integral_constantIbLb0EES1B_EEDaS16_S17_EUlS16_E_NS1_11comp_targetILNS1_3genE4ELNS1_11target_archE910ELNS1_3gpuE8ELNS1_3repE0EEENS1_30default_config_static_selectorELNS0_4arch9wavefront6targetE0EEEvT1_,comdat
.Lfunc_end1469:
	.size	_ZN7rocprim17ROCPRIM_400000_NS6detail17trampoline_kernelINS0_14default_configENS1_25partition_config_selectorILNS1_17partition_subalgoE5ExNS0_10empty_typeEbEEZZNS1_14partition_implILS5_5ELb0ES3_mN6thrust23THRUST_200600_302600_NS6detail15normal_iteratorINSA_10device_ptrIxEEEEPS6_NSA_18transform_iteratorINSB_9not_fun_tI7is_trueIxEEESF_NSA_11use_defaultESM_EENS0_5tupleIJSF_S6_EEENSO_IJSG_SG_EEES6_PlJS6_EEE10hipError_tPvRmT3_T4_T5_T6_T7_T9_mT8_P12ihipStream_tbDpT10_ENKUlT_T0_E_clISt17integral_constantIbLb0EES1B_EEDaS16_S17_EUlS16_E_NS1_11comp_targetILNS1_3genE4ELNS1_11target_archE910ELNS1_3gpuE8ELNS1_3repE0EEENS1_30default_config_static_selectorELNS0_4arch9wavefront6targetE0EEEvT1_, .Lfunc_end1469-_ZN7rocprim17ROCPRIM_400000_NS6detail17trampoline_kernelINS0_14default_configENS1_25partition_config_selectorILNS1_17partition_subalgoE5ExNS0_10empty_typeEbEEZZNS1_14partition_implILS5_5ELb0ES3_mN6thrust23THRUST_200600_302600_NS6detail15normal_iteratorINSA_10device_ptrIxEEEEPS6_NSA_18transform_iteratorINSB_9not_fun_tI7is_trueIxEEESF_NSA_11use_defaultESM_EENS0_5tupleIJSF_S6_EEENSO_IJSG_SG_EEES6_PlJS6_EEE10hipError_tPvRmT3_T4_T5_T6_T7_T9_mT8_P12ihipStream_tbDpT10_ENKUlT_T0_E_clISt17integral_constantIbLb0EES1B_EEDaS16_S17_EUlS16_E_NS1_11comp_targetILNS1_3genE4ELNS1_11target_archE910ELNS1_3gpuE8ELNS1_3repE0EEENS1_30default_config_static_selectorELNS0_4arch9wavefront6targetE0EEEvT1_
                                        ; -- End function
	.set _ZN7rocprim17ROCPRIM_400000_NS6detail17trampoline_kernelINS0_14default_configENS1_25partition_config_selectorILNS1_17partition_subalgoE5ExNS0_10empty_typeEbEEZZNS1_14partition_implILS5_5ELb0ES3_mN6thrust23THRUST_200600_302600_NS6detail15normal_iteratorINSA_10device_ptrIxEEEEPS6_NSA_18transform_iteratorINSB_9not_fun_tI7is_trueIxEEESF_NSA_11use_defaultESM_EENS0_5tupleIJSF_S6_EEENSO_IJSG_SG_EEES6_PlJS6_EEE10hipError_tPvRmT3_T4_T5_T6_T7_T9_mT8_P12ihipStream_tbDpT10_ENKUlT_T0_E_clISt17integral_constantIbLb0EES1B_EEDaS16_S17_EUlS16_E_NS1_11comp_targetILNS1_3genE4ELNS1_11target_archE910ELNS1_3gpuE8ELNS1_3repE0EEENS1_30default_config_static_selectorELNS0_4arch9wavefront6targetE0EEEvT1_.num_vgpr, 0
	.set _ZN7rocprim17ROCPRIM_400000_NS6detail17trampoline_kernelINS0_14default_configENS1_25partition_config_selectorILNS1_17partition_subalgoE5ExNS0_10empty_typeEbEEZZNS1_14partition_implILS5_5ELb0ES3_mN6thrust23THRUST_200600_302600_NS6detail15normal_iteratorINSA_10device_ptrIxEEEEPS6_NSA_18transform_iteratorINSB_9not_fun_tI7is_trueIxEEESF_NSA_11use_defaultESM_EENS0_5tupleIJSF_S6_EEENSO_IJSG_SG_EEES6_PlJS6_EEE10hipError_tPvRmT3_T4_T5_T6_T7_T9_mT8_P12ihipStream_tbDpT10_ENKUlT_T0_E_clISt17integral_constantIbLb0EES1B_EEDaS16_S17_EUlS16_E_NS1_11comp_targetILNS1_3genE4ELNS1_11target_archE910ELNS1_3gpuE8ELNS1_3repE0EEENS1_30default_config_static_selectorELNS0_4arch9wavefront6targetE0EEEvT1_.num_agpr, 0
	.set _ZN7rocprim17ROCPRIM_400000_NS6detail17trampoline_kernelINS0_14default_configENS1_25partition_config_selectorILNS1_17partition_subalgoE5ExNS0_10empty_typeEbEEZZNS1_14partition_implILS5_5ELb0ES3_mN6thrust23THRUST_200600_302600_NS6detail15normal_iteratorINSA_10device_ptrIxEEEEPS6_NSA_18transform_iteratorINSB_9not_fun_tI7is_trueIxEEESF_NSA_11use_defaultESM_EENS0_5tupleIJSF_S6_EEENSO_IJSG_SG_EEES6_PlJS6_EEE10hipError_tPvRmT3_T4_T5_T6_T7_T9_mT8_P12ihipStream_tbDpT10_ENKUlT_T0_E_clISt17integral_constantIbLb0EES1B_EEDaS16_S17_EUlS16_E_NS1_11comp_targetILNS1_3genE4ELNS1_11target_archE910ELNS1_3gpuE8ELNS1_3repE0EEENS1_30default_config_static_selectorELNS0_4arch9wavefront6targetE0EEEvT1_.numbered_sgpr, 0
	.set _ZN7rocprim17ROCPRIM_400000_NS6detail17trampoline_kernelINS0_14default_configENS1_25partition_config_selectorILNS1_17partition_subalgoE5ExNS0_10empty_typeEbEEZZNS1_14partition_implILS5_5ELb0ES3_mN6thrust23THRUST_200600_302600_NS6detail15normal_iteratorINSA_10device_ptrIxEEEEPS6_NSA_18transform_iteratorINSB_9not_fun_tI7is_trueIxEEESF_NSA_11use_defaultESM_EENS0_5tupleIJSF_S6_EEENSO_IJSG_SG_EEES6_PlJS6_EEE10hipError_tPvRmT3_T4_T5_T6_T7_T9_mT8_P12ihipStream_tbDpT10_ENKUlT_T0_E_clISt17integral_constantIbLb0EES1B_EEDaS16_S17_EUlS16_E_NS1_11comp_targetILNS1_3genE4ELNS1_11target_archE910ELNS1_3gpuE8ELNS1_3repE0EEENS1_30default_config_static_selectorELNS0_4arch9wavefront6targetE0EEEvT1_.num_named_barrier, 0
	.set _ZN7rocprim17ROCPRIM_400000_NS6detail17trampoline_kernelINS0_14default_configENS1_25partition_config_selectorILNS1_17partition_subalgoE5ExNS0_10empty_typeEbEEZZNS1_14partition_implILS5_5ELb0ES3_mN6thrust23THRUST_200600_302600_NS6detail15normal_iteratorINSA_10device_ptrIxEEEEPS6_NSA_18transform_iteratorINSB_9not_fun_tI7is_trueIxEEESF_NSA_11use_defaultESM_EENS0_5tupleIJSF_S6_EEENSO_IJSG_SG_EEES6_PlJS6_EEE10hipError_tPvRmT3_T4_T5_T6_T7_T9_mT8_P12ihipStream_tbDpT10_ENKUlT_T0_E_clISt17integral_constantIbLb0EES1B_EEDaS16_S17_EUlS16_E_NS1_11comp_targetILNS1_3genE4ELNS1_11target_archE910ELNS1_3gpuE8ELNS1_3repE0EEENS1_30default_config_static_selectorELNS0_4arch9wavefront6targetE0EEEvT1_.private_seg_size, 0
	.set _ZN7rocprim17ROCPRIM_400000_NS6detail17trampoline_kernelINS0_14default_configENS1_25partition_config_selectorILNS1_17partition_subalgoE5ExNS0_10empty_typeEbEEZZNS1_14partition_implILS5_5ELb0ES3_mN6thrust23THRUST_200600_302600_NS6detail15normal_iteratorINSA_10device_ptrIxEEEEPS6_NSA_18transform_iteratorINSB_9not_fun_tI7is_trueIxEEESF_NSA_11use_defaultESM_EENS0_5tupleIJSF_S6_EEENSO_IJSG_SG_EEES6_PlJS6_EEE10hipError_tPvRmT3_T4_T5_T6_T7_T9_mT8_P12ihipStream_tbDpT10_ENKUlT_T0_E_clISt17integral_constantIbLb0EES1B_EEDaS16_S17_EUlS16_E_NS1_11comp_targetILNS1_3genE4ELNS1_11target_archE910ELNS1_3gpuE8ELNS1_3repE0EEENS1_30default_config_static_selectorELNS0_4arch9wavefront6targetE0EEEvT1_.uses_vcc, 0
	.set _ZN7rocprim17ROCPRIM_400000_NS6detail17trampoline_kernelINS0_14default_configENS1_25partition_config_selectorILNS1_17partition_subalgoE5ExNS0_10empty_typeEbEEZZNS1_14partition_implILS5_5ELb0ES3_mN6thrust23THRUST_200600_302600_NS6detail15normal_iteratorINSA_10device_ptrIxEEEEPS6_NSA_18transform_iteratorINSB_9not_fun_tI7is_trueIxEEESF_NSA_11use_defaultESM_EENS0_5tupleIJSF_S6_EEENSO_IJSG_SG_EEES6_PlJS6_EEE10hipError_tPvRmT3_T4_T5_T6_T7_T9_mT8_P12ihipStream_tbDpT10_ENKUlT_T0_E_clISt17integral_constantIbLb0EES1B_EEDaS16_S17_EUlS16_E_NS1_11comp_targetILNS1_3genE4ELNS1_11target_archE910ELNS1_3gpuE8ELNS1_3repE0EEENS1_30default_config_static_selectorELNS0_4arch9wavefront6targetE0EEEvT1_.uses_flat_scratch, 0
	.set _ZN7rocprim17ROCPRIM_400000_NS6detail17trampoline_kernelINS0_14default_configENS1_25partition_config_selectorILNS1_17partition_subalgoE5ExNS0_10empty_typeEbEEZZNS1_14partition_implILS5_5ELb0ES3_mN6thrust23THRUST_200600_302600_NS6detail15normal_iteratorINSA_10device_ptrIxEEEEPS6_NSA_18transform_iteratorINSB_9not_fun_tI7is_trueIxEEESF_NSA_11use_defaultESM_EENS0_5tupleIJSF_S6_EEENSO_IJSG_SG_EEES6_PlJS6_EEE10hipError_tPvRmT3_T4_T5_T6_T7_T9_mT8_P12ihipStream_tbDpT10_ENKUlT_T0_E_clISt17integral_constantIbLb0EES1B_EEDaS16_S17_EUlS16_E_NS1_11comp_targetILNS1_3genE4ELNS1_11target_archE910ELNS1_3gpuE8ELNS1_3repE0EEENS1_30default_config_static_selectorELNS0_4arch9wavefront6targetE0EEEvT1_.has_dyn_sized_stack, 0
	.set _ZN7rocprim17ROCPRIM_400000_NS6detail17trampoline_kernelINS0_14default_configENS1_25partition_config_selectorILNS1_17partition_subalgoE5ExNS0_10empty_typeEbEEZZNS1_14partition_implILS5_5ELb0ES3_mN6thrust23THRUST_200600_302600_NS6detail15normal_iteratorINSA_10device_ptrIxEEEEPS6_NSA_18transform_iteratorINSB_9not_fun_tI7is_trueIxEEESF_NSA_11use_defaultESM_EENS0_5tupleIJSF_S6_EEENSO_IJSG_SG_EEES6_PlJS6_EEE10hipError_tPvRmT3_T4_T5_T6_T7_T9_mT8_P12ihipStream_tbDpT10_ENKUlT_T0_E_clISt17integral_constantIbLb0EES1B_EEDaS16_S17_EUlS16_E_NS1_11comp_targetILNS1_3genE4ELNS1_11target_archE910ELNS1_3gpuE8ELNS1_3repE0EEENS1_30default_config_static_selectorELNS0_4arch9wavefront6targetE0EEEvT1_.has_recursion, 0
	.set _ZN7rocprim17ROCPRIM_400000_NS6detail17trampoline_kernelINS0_14default_configENS1_25partition_config_selectorILNS1_17partition_subalgoE5ExNS0_10empty_typeEbEEZZNS1_14partition_implILS5_5ELb0ES3_mN6thrust23THRUST_200600_302600_NS6detail15normal_iteratorINSA_10device_ptrIxEEEEPS6_NSA_18transform_iteratorINSB_9not_fun_tI7is_trueIxEEESF_NSA_11use_defaultESM_EENS0_5tupleIJSF_S6_EEENSO_IJSG_SG_EEES6_PlJS6_EEE10hipError_tPvRmT3_T4_T5_T6_T7_T9_mT8_P12ihipStream_tbDpT10_ENKUlT_T0_E_clISt17integral_constantIbLb0EES1B_EEDaS16_S17_EUlS16_E_NS1_11comp_targetILNS1_3genE4ELNS1_11target_archE910ELNS1_3gpuE8ELNS1_3repE0EEENS1_30default_config_static_selectorELNS0_4arch9wavefront6targetE0EEEvT1_.has_indirect_call, 0
	.section	.AMDGPU.csdata,"",@progbits
; Kernel info:
; codeLenInByte = 0
; TotalNumSgprs: 0
; NumVgprs: 0
; ScratchSize: 0
; MemoryBound: 0
; FloatMode: 240
; IeeeMode: 1
; LDSByteSize: 0 bytes/workgroup (compile time only)
; SGPRBlocks: 0
; VGPRBlocks: 0
; NumSGPRsForWavesPerEU: 1
; NumVGPRsForWavesPerEU: 1
; Occupancy: 16
; WaveLimiterHint : 0
; COMPUTE_PGM_RSRC2:SCRATCH_EN: 0
; COMPUTE_PGM_RSRC2:USER_SGPR: 2
; COMPUTE_PGM_RSRC2:TRAP_HANDLER: 0
; COMPUTE_PGM_RSRC2:TGID_X_EN: 1
; COMPUTE_PGM_RSRC2:TGID_Y_EN: 0
; COMPUTE_PGM_RSRC2:TGID_Z_EN: 0
; COMPUTE_PGM_RSRC2:TIDIG_COMP_CNT: 0
	.section	.text._ZN7rocprim17ROCPRIM_400000_NS6detail17trampoline_kernelINS0_14default_configENS1_25partition_config_selectorILNS1_17partition_subalgoE5ExNS0_10empty_typeEbEEZZNS1_14partition_implILS5_5ELb0ES3_mN6thrust23THRUST_200600_302600_NS6detail15normal_iteratorINSA_10device_ptrIxEEEEPS6_NSA_18transform_iteratorINSB_9not_fun_tI7is_trueIxEEESF_NSA_11use_defaultESM_EENS0_5tupleIJSF_S6_EEENSO_IJSG_SG_EEES6_PlJS6_EEE10hipError_tPvRmT3_T4_T5_T6_T7_T9_mT8_P12ihipStream_tbDpT10_ENKUlT_T0_E_clISt17integral_constantIbLb0EES1B_EEDaS16_S17_EUlS16_E_NS1_11comp_targetILNS1_3genE3ELNS1_11target_archE908ELNS1_3gpuE7ELNS1_3repE0EEENS1_30default_config_static_selectorELNS0_4arch9wavefront6targetE0EEEvT1_,"axG",@progbits,_ZN7rocprim17ROCPRIM_400000_NS6detail17trampoline_kernelINS0_14default_configENS1_25partition_config_selectorILNS1_17partition_subalgoE5ExNS0_10empty_typeEbEEZZNS1_14partition_implILS5_5ELb0ES3_mN6thrust23THRUST_200600_302600_NS6detail15normal_iteratorINSA_10device_ptrIxEEEEPS6_NSA_18transform_iteratorINSB_9not_fun_tI7is_trueIxEEESF_NSA_11use_defaultESM_EENS0_5tupleIJSF_S6_EEENSO_IJSG_SG_EEES6_PlJS6_EEE10hipError_tPvRmT3_T4_T5_T6_T7_T9_mT8_P12ihipStream_tbDpT10_ENKUlT_T0_E_clISt17integral_constantIbLb0EES1B_EEDaS16_S17_EUlS16_E_NS1_11comp_targetILNS1_3genE3ELNS1_11target_archE908ELNS1_3gpuE7ELNS1_3repE0EEENS1_30default_config_static_selectorELNS0_4arch9wavefront6targetE0EEEvT1_,comdat
	.protected	_ZN7rocprim17ROCPRIM_400000_NS6detail17trampoline_kernelINS0_14default_configENS1_25partition_config_selectorILNS1_17partition_subalgoE5ExNS0_10empty_typeEbEEZZNS1_14partition_implILS5_5ELb0ES3_mN6thrust23THRUST_200600_302600_NS6detail15normal_iteratorINSA_10device_ptrIxEEEEPS6_NSA_18transform_iteratorINSB_9not_fun_tI7is_trueIxEEESF_NSA_11use_defaultESM_EENS0_5tupleIJSF_S6_EEENSO_IJSG_SG_EEES6_PlJS6_EEE10hipError_tPvRmT3_T4_T5_T6_T7_T9_mT8_P12ihipStream_tbDpT10_ENKUlT_T0_E_clISt17integral_constantIbLb0EES1B_EEDaS16_S17_EUlS16_E_NS1_11comp_targetILNS1_3genE3ELNS1_11target_archE908ELNS1_3gpuE7ELNS1_3repE0EEENS1_30default_config_static_selectorELNS0_4arch9wavefront6targetE0EEEvT1_ ; -- Begin function _ZN7rocprim17ROCPRIM_400000_NS6detail17trampoline_kernelINS0_14default_configENS1_25partition_config_selectorILNS1_17partition_subalgoE5ExNS0_10empty_typeEbEEZZNS1_14partition_implILS5_5ELb0ES3_mN6thrust23THRUST_200600_302600_NS6detail15normal_iteratorINSA_10device_ptrIxEEEEPS6_NSA_18transform_iteratorINSB_9not_fun_tI7is_trueIxEEESF_NSA_11use_defaultESM_EENS0_5tupleIJSF_S6_EEENSO_IJSG_SG_EEES6_PlJS6_EEE10hipError_tPvRmT3_T4_T5_T6_T7_T9_mT8_P12ihipStream_tbDpT10_ENKUlT_T0_E_clISt17integral_constantIbLb0EES1B_EEDaS16_S17_EUlS16_E_NS1_11comp_targetILNS1_3genE3ELNS1_11target_archE908ELNS1_3gpuE7ELNS1_3repE0EEENS1_30default_config_static_selectorELNS0_4arch9wavefront6targetE0EEEvT1_
	.globl	_ZN7rocprim17ROCPRIM_400000_NS6detail17trampoline_kernelINS0_14default_configENS1_25partition_config_selectorILNS1_17partition_subalgoE5ExNS0_10empty_typeEbEEZZNS1_14partition_implILS5_5ELb0ES3_mN6thrust23THRUST_200600_302600_NS6detail15normal_iteratorINSA_10device_ptrIxEEEEPS6_NSA_18transform_iteratorINSB_9not_fun_tI7is_trueIxEEESF_NSA_11use_defaultESM_EENS0_5tupleIJSF_S6_EEENSO_IJSG_SG_EEES6_PlJS6_EEE10hipError_tPvRmT3_T4_T5_T6_T7_T9_mT8_P12ihipStream_tbDpT10_ENKUlT_T0_E_clISt17integral_constantIbLb0EES1B_EEDaS16_S17_EUlS16_E_NS1_11comp_targetILNS1_3genE3ELNS1_11target_archE908ELNS1_3gpuE7ELNS1_3repE0EEENS1_30default_config_static_selectorELNS0_4arch9wavefront6targetE0EEEvT1_
	.p2align	8
	.type	_ZN7rocprim17ROCPRIM_400000_NS6detail17trampoline_kernelINS0_14default_configENS1_25partition_config_selectorILNS1_17partition_subalgoE5ExNS0_10empty_typeEbEEZZNS1_14partition_implILS5_5ELb0ES3_mN6thrust23THRUST_200600_302600_NS6detail15normal_iteratorINSA_10device_ptrIxEEEEPS6_NSA_18transform_iteratorINSB_9not_fun_tI7is_trueIxEEESF_NSA_11use_defaultESM_EENS0_5tupleIJSF_S6_EEENSO_IJSG_SG_EEES6_PlJS6_EEE10hipError_tPvRmT3_T4_T5_T6_T7_T9_mT8_P12ihipStream_tbDpT10_ENKUlT_T0_E_clISt17integral_constantIbLb0EES1B_EEDaS16_S17_EUlS16_E_NS1_11comp_targetILNS1_3genE3ELNS1_11target_archE908ELNS1_3gpuE7ELNS1_3repE0EEENS1_30default_config_static_selectorELNS0_4arch9wavefront6targetE0EEEvT1_,@function
_ZN7rocprim17ROCPRIM_400000_NS6detail17trampoline_kernelINS0_14default_configENS1_25partition_config_selectorILNS1_17partition_subalgoE5ExNS0_10empty_typeEbEEZZNS1_14partition_implILS5_5ELb0ES3_mN6thrust23THRUST_200600_302600_NS6detail15normal_iteratorINSA_10device_ptrIxEEEEPS6_NSA_18transform_iteratorINSB_9not_fun_tI7is_trueIxEEESF_NSA_11use_defaultESM_EENS0_5tupleIJSF_S6_EEENSO_IJSG_SG_EEES6_PlJS6_EEE10hipError_tPvRmT3_T4_T5_T6_T7_T9_mT8_P12ihipStream_tbDpT10_ENKUlT_T0_E_clISt17integral_constantIbLb0EES1B_EEDaS16_S17_EUlS16_E_NS1_11comp_targetILNS1_3genE3ELNS1_11target_archE908ELNS1_3gpuE7ELNS1_3repE0EEENS1_30default_config_static_selectorELNS0_4arch9wavefront6targetE0EEEvT1_: ; @_ZN7rocprim17ROCPRIM_400000_NS6detail17trampoline_kernelINS0_14default_configENS1_25partition_config_selectorILNS1_17partition_subalgoE5ExNS0_10empty_typeEbEEZZNS1_14partition_implILS5_5ELb0ES3_mN6thrust23THRUST_200600_302600_NS6detail15normal_iteratorINSA_10device_ptrIxEEEEPS6_NSA_18transform_iteratorINSB_9not_fun_tI7is_trueIxEEESF_NSA_11use_defaultESM_EENS0_5tupleIJSF_S6_EEENSO_IJSG_SG_EEES6_PlJS6_EEE10hipError_tPvRmT3_T4_T5_T6_T7_T9_mT8_P12ihipStream_tbDpT10_ENKUlT_T0_E_clISt17integral_constantIbLb0EES1B_EEDaS16_S17_EUlS16_E_NS1_11comp_targetILNS1_3genE3ELNS1_11target_archE908ELNS1_3gpuE7ELNS1_3repE0EEENS1_30default_config_static_selectorELNS0_4arch9wavefront6targetE0EEEvT1_
; %bb.0:
	.section	.rodata,"a",@progbits
	.p2align	6, 0x0
	.amdhsa_kernel _ZN7rocprim17ROCPRIM_400000_NS6detail17trampoline_kernelINS0_14default_configENS1_25partition_config_selectorILNS1_17partition_subalgoE5ExNS0_10empty_typeEbEEZZNS1_14partition_implILS5_5ELb0ES3_mN6thrust23THRUST_200600_302600_NS6detail15normal_iteratorINSA_10device_ptrIxEEEEPS6_NSA_18transform_iteratorINSB_9not_fun_tI7is_trueIxEEESF_NSA_11use_defaultESM_EENS0_5tupleIJSF_S6_EEENSO_IJSG_SG_EEES6_PlJS6_EEE10hipError_tPvRmT3_T4_T5_T6_T7_T9_mT8_P12ihipStream_tbDpT10_ENKUlT_T0_E_clISt17integral_constantIbLb0EES1B_EEDaS16_S17_EUlS16_E_NS1_11comp_targetILNS1_3genE3ELNS1_11target_archE908ELNS1_3gpuE7ELNS1_3repE0EEENS1_30default_config_static_selectorELNS0_4arch9wavefront6targetE0EEEvT1_
		.amdhsa_group_segment_fixed_size 0
		.amdhsa_private_segment_fixed_size 0
		.amdhsa_kernarg_size 120
		.amdhsa_user_sgpr_count 2
		.amdhsa_user_sgpr_dispatch_ptr 0
		.amdhsa_user_sgpr_queue_ptr 0
		.amdhsa_user_sgpr_kernarg_segment_ptr 1
		.amdhsa_user_sgpr_dispatch_id 0
		.amdhsa_user_sgpr_private_segment_size 0
		.amdhsa_wavefront_size32 1
		.amdhsa_uses_dynamic_stack 0
		.amdhsa_enable_private_segment 0
		.amdhsa_system_sgpr_workgroup_id_x 1
		.amdhsa_system_sgpr_workgroup_id_y 0
		.amdhsa_system_sgpr_workgroup_id_z 0
		.amdhsa_system_sgpr_workgroup_info 0
		.amdhsa_system_vgpr_workitem_id 0
		.amdhsa_next_free_vgpr 1
		.amdhsa_next_free_sgpr 1
		.amdhsa_reserve_vcc 0
		.amdhsa_float_round_mode_32 0
		.amdhsa_float_round_mode_16_64 0
		.amdhsa_float_denorm_mode_32 3
		.amdhsa_float_denorm_mode_16_64 3
		.amdhsa_fp16_overflow 0
		.amdhsa_workgroup_processor_mode 1
		.amdhsa_memory_ordered 1
		.amdhsa_forward_progress 1
		.amdhsa_inst_pref_size 0
		.amdhsa_round_robin_scheduling 0
		.amdhsa_exception_fp_ieee_invalid_op 0
		.amdhsa_exception_fp_denorm_src 0
		.amdhsa_exception_fp_ieee_div_zero 0
		.amdhsa_exception_fp_ieee_overflow 0
		.amdhsa_exception_fp_ieee_underflow 0
		.amdhsa_exception_fp_ieee_inexact 0
		.amdhsa_exception_int_div_zero 0
	.end_amdhsa_kernel
	.section	.text._ZN7rocprim17ROCPRIM_400000_NS6detail17trampoline_kernelINS0_14default_configENS1_25partition_config_selectorILNS1_17partition_subalgoE5ExNS0_10empty_typeEbEEZZNS1_14partition_implILS5_5ELb0ES3_mN6thrust23THRUST_200600_302600_NS6detail15normal_iteratorINSA_10device_ptrIxEEEEPS6_NSA_18transform_iteratorINSB_9not_fun_tI7is_trueIxEEESF_NSA_11use_defaultESM_EENS0_5tupleIJSF_S6_EEENSO_IJSG_SG_EEES6_PlJS6_EEE10hipError_tPvRmT3_T4_T5_T6_T7_T9_mT8_P12ihipStream_tbDpT10_ENKUlT_T0_E_clISt17integral_constantIbLb0EES1B_EEDaS16_S17_EUlS16_E_NS1_11comp_targetILNS1_3genE3ELNS1_11target_archE908ELNS1_3gpuE7ELNS1_3repE0EEENS1_30default_config_static_selectorELNS0_4arch9wavefront6targetE0EEEvT1_,"axG",@progbits,_ZN7rocprim17ROCPRIM_400000_NS6detail17trampoline_kernelINS0_14default_configENS1_25partition_config_selectorILNS1_17partition_subalgoE5ExNS0_10empty_typeEbEEZZNS1_14partition_implILS5_5ELb0ES3_mN6thrust23THRUST_200600_302600_NS6detail15normal_iteratorINSA_10device_ptrIxEEEEPS6_NSA_18transform_iteratorINSB_9not_fun_tI7is_trueIxEEESF_NSA_11use_defaultESM_EENS0_5tupleIJSF_S6_EEENSO_IJSG_SG_EEES6_PlJS6_EEE10hipError_tPvRmT3_T4_T5_T6_T7_T9_mT8_P12ihipStream_tbDpT10_ENKUlT_T0_E_clISt17integral_constantIbLb0EES1B_EEDaS16_S17_EUlS16_E_NS1_11comp_targetILNS1_3genE3ELNS1_11target_archE908ELNS1_3gpuE7ELNS1_3repE0EEENS1_30default_config_static_selectorELNS0_4arch9wavefront6targetE0EEEvT1_,comdat
.Lfunc_end1470:
	.size	_ZN7rocprim17ROCPRIM_400000_NS6detail17trampoline_kernelINS0_14default_configENS1_25partition_config_selectorILNS1_17partition_subalgoE5ExNS0_10empty_typeEbEEZZNS1_14partition_implILS5_5ELb0ES3_mN6thrust23THRUST_200600_302600_NS6detail15normal_iteratorINSA_10device_ptrIxEEEEPS6_NSA_18transform_iteratorINSB_9not_fun_tI7is_trueIxEEESF_NSA_11use_defaultESM_EENS0_5tupleIJSF_S6_EEENSO_IJSG_SG_EEES6_PlJS6_EEE10hipError_tPvRmT3_T4_T5_T6_T7_T9_mT8_P12ihipStream_tbDpT10_ENKUlT_T0_E_clISt17integral_constantIbLb0EES1B_EEDaS16_S17_EUlS16_E_NS1_11comp_targetILNS1_3genE3ELNS1_11target_archE908ELNS1_3gpuE7ELNS1_3repE0EEENS1_30default_config_static_selectorELNS0_4arch9wavefront6targetE0EEEvT1_, .Lfunc_end1470-_ZN7rocprim17ROCPRIM_400000_NS6detail17trampoline_kernelINS0_14default_configENS1_25partition_config_selectorILNS1_17partition_subalgoE5ExNS0_10empty_typeEbEEZZNS1_14partition_implILS5_5ELb0ES3_mN6thrust23THRUST_200600_302600_NS6detail15normal_iteratorINSA_10device_ptrIxEEEEPS6_NSA_18transform_iteratorINSB_9not_fun_tI7is_trueIxEEESF_NSA_11use_defaultESM_EENS0_5tupleIJSF_S6_EEENSO_IJSG_SG_EEES6_PlJS6_EEE10hipError_tPvRmT3_T4_T5_T6_T7_T9_mT8_P12ihipStream_tbDpT10_ENKUlT_T0_E_clISt17integral_constantIbLb0EES1B_EEDaS16_S17_EUlS16_E_NS1_11comp_targetILNS1_3genE3ELNS1_11target_archE908ELNS1_3gpuE7ELNS1_3repE0EEENS1_30default_config_static_selectorELNS0_4arch9wavefront6targetE0EEEvT1_
                                        ; -- End function
	.set _ZN7rocprim17ROCPRIM_400000_NS6detail17trampoline_kernelINS0_14default_configENS1_25partition_config_selectorILNS1_17partition_subalgoE5ExNS0_10empty_typeEbEEZZNS1_14partition_implILS5_5ELb0ES3_mN6thrust23THRUST_200600_302600_NS6detail15normal_iteratorINSA_10device_ptrIxEEEEPS6_NSA_18transform_iteratorINSB_9not_fun_tI7is_trueIxEEESF_NSA_11use_defaultESM_EENS0_5tupleIJSF_S6_EEENSO_IJSG_SG_EEES6_PlJS6_EEE10hipError_tPvRmT3_T4_T5_T6_T7_T9_mT8_P12ihipStream_tbDpT10_ENKUlT_T0_E_clISt17integral_constantIbLb0EES1B_EEDaS16_S17_EUlS16_E_NS1_11comp_targetILNS1_3genE3ELNS1_11target_archE908ELNS1_3gpuE7ELNS1_3repE0EEENS1_30default_config_static_selectorELNS0_4arch9wavefront6targetE0EEEvT1_.num_vgpr, 0
	.set _ZN7rocprim17ROCPRIM_400000_NS6detail17trampoline_kernelINS0_14default_configENS1_25partition_config_selectorILNS1_17partition_subalgoE5ExNS0_10empty_typeEbEEZZNS1_14partition_implILS5_5ELb0ES3_mN6thrust23THRUST_200600_302600_NS6detail15normal_iteratorINSA_10device_ptrIxEEEEPS6_NSA_18transform_iteratorINSB_9not_fun_tI7is_trueIxEEESF_NSA_11use_defaultESM_EENS0_5tupleIJSF_S6_EEENSO_IJSG_SG_EEES6_PlJS6_EEE10hipError_tPvRmT3_T4_T5_T6_T7_T9_mT8_P12ihipStream_tbDpT10_ENKUlT_T0_E_clISt17integral_constantIbLb0EES1B_EEDaS16_S17_EUlS16_E_NS1_11comp_targetILNS1_3genE3ELNS1_11target_archE908ELNS1_3gpuE7ELNS1_3repE0EEENS1_30default_config_static_selectorELNS0_4arch9wavefront6targetE0EEEvT1_.num_agpr, 0
	.set _ZN7rocprim17ROCPRIM_400000_NS6detail17trampoline_kernelINS0_14default_configENS1_25partition_config_selectorILNS1_17partition_subalgoE5ExNS0_10empty_typeEbEEZZNS1_14partition_implILS5_5ELb0ES3_mN6thrust23THRUST_200600_302600_NS6detail15normal_iteratorINSA_10device_ptrIxEEEEPS6_NSA_18transform_iteratorINSB_9not_fun_tI7is_trueIxEEESF_NSA_11use_defaultESM_EENS0_5tupleIJSF_S6_EEENSO_IJSG_SG_EEES6_PlJS6_EEE10hipError_tPvRmT3_T4_T5_T6_T7_T9_mT8_P12ihipStream_tbDpT10_ENKUlT_T0_E_clISt17integral_constantIbLb0EES1B_EEDaS16_S17_EUlS16_E_NS1_11comp_targetILNS1_3genE3ELNS1_11target_archE908ELNS1_3gpuE7ELNS1_3repE0EEENS1_30default_config_static_selectorELNS0_4arch9wavefront6targetE0EEEvT1_.numbered_sgpr, 0
	.set _ZN7rocprim17ROCPRIM_400000_NS6detail17trampoline_kernelINS0_14default_configENS1_25partition_config_selectorILNS1_17partition_subalgoE5ExNS0_10empty_typeEbEEZZNS1_14partition_implILS5_5ELb0ES3_mN6thrust23THRUST_200600_302600_NS6detail15normal_iteratorINSA_10device_ptrIxEEEEPS6_NSA_18transform_iteratorINSB_9not_fun_tI7is_trueIxEEESF_NSA_11use_defaultESM_EENS0_5tupleIJSF_S6_EEENSO_IJSG_SG_EEES6_PlJS6_EEE10hipError_tPvRmT3_T4_T5_T6_T7_T9_mT8_P12ihipStream_tbDpT10_ENKUlT_T0_E_clISt17integral_constantIbLb0EES1B_EEDaS16_S17_EUlS16_E_NS1_11comp_targetILNS1_3genE3ELNS1_11target_archE908ELNS1_3gpuE7ELNS1_3repE0EEENS1_30default_config_static_selectorELNS0_4arch9wavefront6targetE0EEEvT1_.num_named_barrier, 0
	.set _ZN7rocprim17ROCPRIM_400000_NS6detail17trampoline_kernelINS0_14default_configENS1_25partition_config_selectorILNS1_17partition_subalgoE5ExNS0_10empty_typeEbEEZZNS1_14partition_implILS5_5ELb0ES3_mN6thrust23THRUST_200600_302600_NS6detail15normal_iteratorINSA_10device_ptrIxEEEEPS6_NSA_18transform_iteratorINSB_9not_fun_tI7is_trueIxEEESF_NSA_11use_defaultESM_EENS0_5tupleIJSF_S6_EEENSO_IJSG_SG_EEES6_PlJS6_EEE10hipError_tPvRmT3_T4_T5_T6_T7_T9_mT8_P12ihipStream_tbDpT10_ENKUlT_T0_E_clISt17integral_constantIbLb0EES1B_EEDaS16_S17_EUlS16_E_NS1_11comp_targetILNS1_3genE3ELNS1_11target_archE908ELNS1_3gpuE7ELNS1_3repE0EEENS1_30default_config_static_selectorELNS0_4arch9wavefront6targetE0EEEvT1_.private_seg_size, 0
	.set _ZN7rocprim17ROCPRIM_400000_NS6detail17trampoline_kernelINS0_14default_configENS1_25partition_config_selectorILNS1_17partition_subalgoE5ExNS0_10empty_typeEbEEZZNS1_14partition_implILS5_5ELb0ES3_mN6thrust23THRUST_200600_302600_NS6detail15normal_iteratorINSA_10device_ptrIxEEEEPS6_NSA_18transform_iteratorINSB_9not_fun_tI7is_trueIxEEESF_NSA_11use_defaultESM_EENS0_5tupleIJSF_S6_EEENSO_IJSG_SG_EEES6_PlJS6_EEE10hipError_tPvRmT3_T4_T5_T6_T7_T9_mT8_P12ihipStream_tbDpT10_ENKUlT_T0_E_clISt17integral_constantIbLb0EES1B_EEDaS16_S17_EUlS16_E_NS1_11comp_targetILNS1_3genE3ELNS1_11target_archE908ELNS1_3gpuE7ELNS1_3repE0EEENS1_30default_config_static_selectorELNS0_4arch9wavefront6targetE0EEEvT1_.uses_vcc, 0
	.set _ZN7rocprim17ROCPRIM_400000_NS6detail17trampoline_kernelINS0_14default_configENS1_25partition_config_selectorILNS1_17partition_subalgoE5ExNS0_10empty_typeEbEEZZNS1_14partition_implILS5_5ELb0ES3_mN6thrust23THRUST_200600_302600_NS6detail15normal_iteratorINSA_10device_ptrIxEEEEPS6_NSA_18transform_iteratorINSB_9not_fun_tI7is_trueIxEEESF_NSA_11use_defaultESM_EENS0_5tupleIJSF_S6_EEENSO_IJSG_SG_EEES6_PlJS6_EEE10hipError_tPvRmT3_T4_T5_T6_T7_T9_mT8_P12ihipStream_tbDpT10_ENKUlT_T0_E_clISt17integral_constantIbLb0EES1B_EEDaS16_S17_EUlS16_E_NS1_11comp_targetILNS1_3genE3ELNS1_11target_archE908ELNS1_3gpuE7ELNS1_3repE0EEENS1_30default_config_static_selectorELNS0_4arch9wavefront6targetE0EEEvT1_.uses_flat_scratch, 0
	.set _ZN7rocprim17ROCPRIM_400000_NS6detail17trampoline_kernelINS0_14default_configENS1_25partition_config_selectorILNS1_17partition_subalgoE5ExNS0_10empty_typeEbEEZZNS1_14partition_implILS5_5ELb0ES3_mN6thrust23THRUST_200600_302600_NS6detail15normal_iteratorINSA_10device_ptrIxEEEEPS6_NSA_18transform_iteratorINSB_9not_fun_tI7is_trueIxEEESF_NSA_11use_defaultESM_EENS0_5tupleIJSF_S6_EEENSO_IJSG_SG_EEES6_PlJS6_EEE10hipError_tPvRmT3_T4_T5_T6_T7_T9_mT8_P12ihipStream_tbDpT10_ENKUlT_T0_E_clISt17integral_constantIbLb0EES1B_EEDaS16_S17_EUlS16_E_NS1_11comp_targetILNS1_3genE3ELNS1_11target_archE908ELNS1_3gpuE7ELNS1_3repE0EEENS1_30default_config_static_selectorELNS0_4arch9wavefront6targetE0EEEvT1_.has_dyn_sized_stack, 0
	.set _ZN7rocprim17ROCPRIM_400000_NS6detail17trampoline_kernelINS0_14default_configENS1_25partition_config_selectorILNS1_17partition_subalgoE5ExNS0_10empty_typeEbEEZZNS1_14partition_implILS5_5ELb0ES3_mN6thrust23THRUST_200600_302600_NS6detail15normal_iteratorINSA_10device_ptrIxEEEEPS6_NSA_18transform_iteratorINSB_9not_fun_tI7is_trueIxEEESF_NSA_11use_defaultESM_EENS0_5tupleIJSF_S6_EEENSO_IJSG_SG_EEES6_PlJS6_EEE10hipError_tPvRmT3_T4_T5_T6_T7_T9_mT8_P12ihipStream_tbDpT10_ENKUlT_T0_E_clISt17integral_constantIbLb0EES1B_EEDaS16_S17_EUlS16_E_NS1_11comp_targetILNS1_3genE3ELNS1_11target_archE908ELNS1_3gpuE7ELNS1_3repE0EEENS1_30default_config_static_selectorELNS0_4arch9wavefront6targetE0EEEvT1_.has_recursion, 0
	.set _ZN7rocprim17ROCPRIM_400000_NS6detail17trampoline_kernelINS0_14default_configENS1_25partition_config_selectorILNS1_17partition_subalgoE5ExNS0_10empty_typeEbEEZZNS1_14partition_implILS5_5ELb0ES3_mN6thrust23THRUST_200600_302600_NS6detail15normal_iteratorINSA_10device_ptrIxEEEEPS6_NSA_18transform_iteratorINSB_9not_fun_tI7is_trueIxEEESF_NSA_11use_defaultESM_EENS0_5tupleIJSF_S6_EEENSO_IJSG_SG_EEES6_PlJS6_EEE10hipError_tPvRmT3_T4_T5_T6_T7_T9_mT8_P12ihipStream_tbDpT10_ENKUlT_T0_E_clISt17integral_constantIbLb0EES1B_EEDaS16_S17_EUlS16_E_NS1_11comp_targetILNS1_3genE3ELNS1_11target_archE908ELNS1_3gpuE7ELNS1_3repE0EEENS1_30default_config_static_selectorELNS0_4arch9wavefront6targetE0EEEvT1_.has_indirect_call, 0
	.section	.AMDGPU.csdata,"",@progbits
; Kernel info:
; codeLenInByte = 0
; TotalNumSgprs: 0
; NumVgprs: 0
; ScratchSize: 0
; MemoryBound: 0
; FloatMode: 240
; IeeeMode: 1
; LDSByteSize: 0 bytes/workgroup (compile time only)
; SGPRBlocks: 0
; VGPRBlocks: 0
; NumSGPRsForWavesPerEU: 1
; NumVGPRsForWavesPerEU: 1
; Occupancy: 16
; WaveLimiterHint : 0
; COMPUTE_PGM_RSRC2:SCRATCH_EN: 0
; COMPUTE_PGM_RSRC2:USER_SGPR: 2
; COMPUTE_PGM_RSRC2:TRAP_HANDLER: 0
; COMPUTE_PGM_RSRC2:TGID_X_EN: 1
; COMPUTE_PGM_RSRC2:TGID_Y_EN: 0
; COMPUTE_PGM_RSRC2:TGID_Z_EN: 0
; COMPUTE_PGM_RSRC2:TIDIG_COMP_CNT: 0
	.section	.text._ZN7rocprim17ROCPRIM_400000_NS6detail17trampoline_kernelINS0_14default_configENS1_25partition_config_selectorILNS1_17partition_subalgoE5ExNS0_10empty_typeEbEEZZNS1_14partition_implILS5_5ELb0ES3_mN6thrust23THRUST_200600_302600_NS6detail15normal_iteratorINSA_10device_ptrIxEEEEPS6_NSA_18transform_iteratorINSB_9not_fun_tI7is_trueIxEEESF_NSA_11use_defaultESM_EENS0_5tupleIJSF_S6_EEENSO_IJSG_SG_EEES6_PlJS6_EEE10hipError_tPvRmT3_T4_T5_T6_T7_T9_mT8_P12ihipStream_tbDpT10_ENKUlT_T0_E_clISt17integral_constantIbLb0EES1B_EEDaS16_S17_EUlS16_E_NS1_11comp_targetILNS1_3genE2ELNS1_11target_archE906ELNS1_3gpuE6ELNS1_3repE0EEENS1_30default_config_static_selectorELNS0_4arch9wavefront6targetE0EEEvT1_,"axG",@progbits,_ZN7rocprim17ROCPRIM_400000_NS6detail17trampoline_kernelINS0_14default_configENS1_25partition_config_selectorILNS1_17partition_subalgoE5ExNS0_10empty_typeEbEEZZNS1_14partition_implILS5_5ELb0ES3_mN6thrust23THRUST_200600_302600_NS6detail15normal_iteratorINSA_10device_ptrIxEEEEPS6_NSA_18transform_iteratorINSB_9not_fun_tI7is_trueIxEEESF_NSA_11use_defaultESM_EENS0_5tupleIJSF_S6_EEENSO_IJSG_SG_EEES6_PlJS6_EEE10hipError_tPvRmT3_T4_T5_T6_T7_T9_mT8_P12ihipStream_tbDpT10_ENKUlT_T0_E_clISt17integral_constantIbLb0EES1B_EEDaS16_S17_EUlS16_E_NS1_11comp_targetILNS1_3genE2ELNS1_11target_archE906ELNS1_3gpuE6ELNS1_3repE0EEENS1_30default_config_static_selectorELNS0_4arch9wavefront6targetE0EEEvT1_,comdat
	.protected	_ZN7rocprim17ROCPRIM_400000_NS6detail17trampoline_kernelINS0_14default_configENS1_25partition_config_selectorILNS1_17partition_subalgoE5ExNS0_10empty_typeEbEEZZNS1_14partition_implILS5_5ELb0ES3_mN6thrust23THRUST_200600_302600_NS6detail15normal_iteratorINSA_10device_ptrIxEEEEPS6_NSA_18transform_iteratorINSB_9not_fun_tI7is_trueIxEEESF_NSA_11use_defaultESM_EENS0_5tupleIJSF_S6_EEENSO_IJSG_SG_EEES6_PlJS6_EEE10hipError_tPvRmT3_T4_T5_T6_T7_T9_mT8_P12ihipStream_tbDpT10_ENKUlT_T0_E_clISt17integral_constantIbLb0EES1B_EEDaS16_S17_EUlS16_E_NS1_11comp_targetILNS1_3genE2ELNS1_11target_archE906ELNS1_3gpuE6ELNS1_3repE0EEENS1_30default_config_static_selectorELNS0_4arch9wavefront6targetE0EEEvT1_ ; -- Begin function _ZN7rocprim17ROCPRIM_400000_NS6detail17trampoline_kernelINS0_14default_configENS1_25partition_config_selectorILNS1_17partition_subalgoE5ExNS0_10empty_typeEbEEZZNS1_14partition_implILS5_5ELb0ES3_mN6thrust23THRUST_200600_302600_NS6detail15normal_iteratorINSA_10device_ptrIxEEEEPS6_NSA_18transform_iteratorINSB_9not_fun_tI7is_trueIxEEESF_NSA_11use_defaultESM_EENS0_5tupleIJSF_S6_EEENSO_IJSG_SG_EEES6_PlJS6_EEE10hipError_tPvRmT3_T4_T5_T6_T7_T9_mT8_P12ihipStream_tbDpT10_ENKUlT_T0_E_clISt17integral_constantIbLb0EES1B_EEDaS16_S17_EUlS16_E_NS1_11comp_targetILNS1_3genE2ELNS1_11target_archE906ELNS1_3gpuE6ELNS1_3repE0EEENS1_30default_config_static_selectorELNS0_4arch9wavefront6targetE0EEEvT1_
	.globl	_ZN7rocprim17ROCPRIM_400000_NS6detail17trampoline_kernelINS0_14default_configENS1_25partition_config_selectorILNS1_17partition_subalgoE5ExNS0_10empty_typeEbEEZZNS1_14partition_implILS5_5ELb0ES3_mN6thrust23THRUST_200600_302600_NS6detail15normal_iteratorINSA_10device_ptrIxEEEEPS6_NSA_18transform_iteratorINSB_9not_fun_tI7is_trueIxEEESF_NSA_11use_defaultESM_EENS0_5tupleIJSF_S6_EEENSO_IJSG_SG_EEES6_PlJS6_EEE10hipError_tPvRmT3_T4_T5_T6_T7_T9_mT8_P12ihipStream_tbDpT10_ENKUlT_T0_E_clISt17integral_constantIbLb0EES1B_EEDaS16_S17_EUlS16_E_NS1_11comp_targetILNS1_3genE2ELNS1_11target_archE906ELNS1_3gpuE6ELNS1_3repE0EEENS1_30default_config_static_selectorELNS0_4arch9wavefront6targetE0EEEvT1_
	.p2align	8
	.type	_ZN7rocprim17ROCPRIM_400000_NS6detail17trampoline_kernelINS0_14default_configENS1_25partition_config_selectorILNS1_17partition_subalgoE5ExNS0_10empty_typeEbEEZZNS1_14partition_implILS5_5ELb0ES3_mN6thrust23THRUST_200600_302600_NS6detail15normal_iteratorINSA_10device_ptrIxEEEEPS6_NSA_18transform_iteratorINSB_9not_fun_tI7is_trueIxEEESF_NSA_11use_defaultESM_EENS0_5tupleIJSF_S6_EEENSO_IJSG_SG_EEES6_PlJS6_EEE10hipError_tPvRmT3_T4_T5_T6_T7_T9_mT8_P12ihipStream_tbDpT10_ENKUlT_T0_E_clISt17integral_constantIbLb0EES1B_EEDaS16_S17_EUlS16_E_NS1_11comp_targetILNS1_3genE2ELNS1_11target_archE906ELNS1_3gpuE6ELNS1_3repE0EEENS1_30default_config_static_selectorELNS0_4arch9wavefront6targetE0EEEvT1_,@function
_ZN7rocprim17ROCPRIM_400000_NS6detail17trampoline_kernelINS0_14default_configENS1_25partition_config_selectorILNS1_17partition_subalgoE5ExNS0_10empty_typeEbEEZZNS1_14partition_implILS5_5ELb0ES3_mN6thrust23THRUST_200600_302600_NS6detail15normal_iteratorINSA_10device_ptrIxEEEEPS6_NSA_18transform_iteratorINSB_9not_fun_tI7is_trueIxEEESF_NSA_11use_defaultESM_EENS0_5tupleIJSF_S6_EEENSO_IJSG_SG_EEES6_PlJS6_EEE10hipError_tPvRmT3_T4_T5_T6_T7_T9_mT8_P12ihipStream_tbDpT10_ENKUlT_T0_E_clISt17integral_constantIbLb0EES1B_EEDaS16_S17_EUlS16_E_NS1_11comp_targetILNS1_3genE2ELNS1_11target_archE906ELNS1_3gpuE6ELNS1_3repE0EEENS1_30default_config_static_selectorELNS0_4arch9wavefront6targetE0EEEvT1_: ; @_ZN7rocprim17ROCPRIM_400000_NS6detail17trampoline_kernelINS0_14default_configENS1_25partition_config_selectorILNS1_17partition_subalgoE5ExNS0_10empty_typeEbEEZZNS1_14partition_implILS5_5ELb0ES3_mN6thrust23THRUST_200600_302600_NS6detail15normal_iteratorINSA_10device_ptrIxEEEEPS6_NSA_18transform_iteratorINSB_9not_fun_tI7is_trueIxEEESF_NSA_11use_defaultESM_EENS0_5tupleIJSF_S6_EEENSO_IJSG_SG_EEES6_PlJS6_EEE10hipError_tPvRmT3_T4_T5_T6_T7_T9_mT8_P12ihipStream_tbDpT10_ENKUlT_T0_E_clISt17integral_constantIbLb0EES1B_EEDaS16_S17_EUlS16_E_NS1_11comp_targetILNS1_3genE2ELNS1_11target_archE906ELNS1_3gpuE6ELNS1_3repE0EEENS1_30default_config_static_selectorELNS0_4arch9wavefront6targetE0EEEvT1_
; %bb.0:
	.section	.rodata,"a",@progbits
	.p2align	6, 0x0
	.amdhsa_kernel _ZN7rocprim17ROCPRIM_400000_NS6detail17trampoline_kernelINS0_14default_configENS1_25partition_config_selectorILNS1_17partition_subalgoE5ExNS0_10empty_typeEbEEZZNS1_14partition_implILS5_5ELb0ES3_mN6thrust23THRUST_200600_302600_NS6detail15normal_iteratorINSA_10device_ptrIxEEEEPS6_NSA_18transform_iteratorINSB_9not_fun_tI7is_trueIxEEESF_NSA_11use_defaultESM_EENS0_5tupleIJSF_S6_EEENSO_IJSG_SG_EEES6_PlJS6_EEE10hipError_tPvRmT3_T4_T5_T6_T7_T9_mT8_P12ihipStream_tbDpT10_ENKUlT_T0_E_clISt17integral_constantIbLb0EES1B_EEDaS16_S17_EUlS16_E_NS1_11comp_targetILNS1_3genE2ELNS1_11target_archE906ELNS1_3gpuE6ELNS1_3repE0EEENS1_30default_config_static_selectorELNS0_4arch9wavefront6targetE0EEEvT1_
		.amdhsa_group_segment_fixed_size 0
		.amdhsa_private_segment_fixed_size 0
		.amdhsa_kernarg_size 120
		.amdhsa_user_sgpr_count 2
		.amdhsa_user_sgpr_dispatch_ptr 0
		.amdhsa_user_sgpr_queue_ptr 0
		.amdhsa_user_sgpr_kernarg_segment_ptr 1
		.amdhsa_user_sgpr_dispatch_id 0
		.amdhsa_user_sgpr_private_segment_size 0
		.amdhsa_wavefront_size32 1
		.amdhsa_uses_dynamic_stack 0
		.amdhsa_enable_private_segment 0
		.amdhsa_system_sgpr_workgroup_id_x 1
		.amdhsa_system_sgpr_workgroup_id_y 0
		.amdhsa_system_sgpr_workgroup_id_z 0
		.amdhsa_system_sgpr_workgroup_info 0
		.amdhsa_system_vgpr_workitem_id 0
		.amdhsa_next_free_vgpr 1
		.amdhsa_next_free_sgpr 1
		.amdhsa_reserve_vcc 0
		.amdhsa_float_round_mode_32 0
		.amdhsa_float_round_mode_16_64 0
		.amdhsa_float_denorm_mode_32 3
		.amdhsa_float_denorm_mode_16_64 3
		.amdhsa_fp16_overflow 0
		.amdhsa_workgroup_processor_mode 1
		.amdhsa_memory_ordered 1
		.amdhsa_forward_progress 1
		.amdhsa_inst_pref_size 0
		.amdhsa_round_robin_scheduling 0
		.amdhsa_exception_fp_ieee_invalid_op 0
		.amdhsa_exception_fp_denorm_src 0
		.amdhsa_exception_fp_ieee_div_zero 0
		.amdhsa_exception_fp_ieee_overflow 0
		.amdhsa_exception_fp_ieee_underflow 0
		.amdhsa_exception_fp_ieee_inexact 0
		.amdhsa_exception_int_div_zero 0
	.end_amdhsa_kernel
	.section	.text._ZN7rocprim17ROCPRIM_400000_NS6detail17trampoline_kernelINS0_14default_configENS1_25partition_config_selectorILNS1_17partition_subalgoE5ExNS0_10empty_typeEbEEZZNS1_14partition_implILS5_5ELb0ES3_mN6thrust23THRUST_200600_302600_NS6detail15normal_iteratorINSA_10device_ptrIxEEEEPS6_NSA_18transform_iteratorINSB_9not_fun_tI7is_trueIxEEESF_NSA_11use_defaultESM_EENS0_5tupleIJSF_S6_EEENSO_IJSG_SG_EEES6_PlJS6_EEE10hipError_tPvRmT3_T4_T5_T6_T7_T9_mT8_P12ihipStream_tbDpT10_ENKUlT_T0_E_clISt17integral_constantIbLb0EES1B_EEDaS16_S17_EUlS16_E_NS1_11comp_targetILNS1_3genE2ELNS1_11target_archE906ELNS1_3gpuE6ELNS1_3repE0EEENS1_30default_config_static_selectorELNS0_4arch9wavefront6targetE0EEEvT1_,"axG",@progbits,_ZN7rocprim17ROCPRIM_400000_NS6detail17trampoline_kernelINS0_14default_configENS1_25partition_config_selectorILNS1_17partition_subalgoE5ExNS0_10empty_typeEbEEZZNS1_14partition_implILS5_5ELb0ES3_mN6thrust23THRUST_200600_302600_NS6detail15normal_iteratorINSA_10device_ptrIxEEEEPS6_NSA_18transform_iteratorINSB_9not_fun_tI7is_trueIxEEESF_NSA_11use_defaultESM_EENS0_5tupleIJSF_S6_EEENSO_IJSG_SG_EEES6_PlJS6_EEE10hipError_tPvRmT3_T4_T5_T6_T7_T9_mT8_P12ihipStream_tbDpT10_ENKUlT_T0_E_clISt17integral_constantIbLb0EES1B_EEDaS16_S17_EUlS16_E_NS1_11comp_targetILNS1_3genE2ELNS1_11target_archE906ELNS1_3gpuE6ELNS1_3repE0EEENS1_30default_config_static_selectorELNS0_4arch9wavefront6targetE0EEEvT1_,comdat
.Lfunc_end1471:
	.size	_ZN7rocprim17ROCPRIM_400000_NS6detail17trampoline_kernelINS0_14default_configENS1_25partition_config_selectorILNS1_17partition_subalgoE5ExNS0_10empty_typeEbEEZZNS1_14partition_implILS5_5ELb0ES3_mN6thrust23THRUST_200600_302600_NS6detail15normal_iteratorINSA_10device_ptrIxEEEEPS6_NSA_18transform_iteratorINSB_9not_fun_tI7is_trueIxEEESF_NSA_11use_defaultESM_EENS0_5tupleIJSF_S6_EEENSO_IJSG_SG_EEES6_PlJS6_EEE10hipError_tPvRmT3_T4_T5_T6_T7_T9_mT8_P12ihipStream_tbDpT10_ENKUlT_T0_E_clISt17integral_constantIbLb0EES1B_EEDaS16_S17_EUlS16_E_NS1_11comp_targetILNS1_3genE2ELNS1_11target_archE906ELNS1_3gpuE6ELNS1_3repE0EEENS1_30default_config_static_selectorELNS0_4arch9wavefront6targetE0EEEvT1_, .Lfunc_end1471-_ZN7rocprim17ROCPRIM_400000_NS6detail17trampoline_kernelINS0_14default_configENS1_25partition_config_selectorILNS1_17partition_subalgoE5ExNS0_10empty_typeEbEEZZNS1_14partition_implILS5_5ELb0ES3_mN6thrust23THRUST_200600_302600_NS6detail15normal_iteratorINSA_10device_ptrIxEEEEPS6_NSA_18transform_iteratorINSB_9not_fun_tI7is_trueIxEEESF_NSA_11use_defaultESM_EENS0_5tupleIJSF_S6_EEENSO_IJSG_SG_EEES6_PlJS6_EEE10hipError_tPvRmT3_T4_T5_T6_T7_T9_mT8_P12ihipStream_tbDpT10_ENKUlT_T0_E_clISt17integral_constantIbLb0EES1B_EEDaS16_S17_EUlS16_E_NS1_11comp_targetILNS1_3genE2ELNS1_11target_archE906ELNS1_3gpuE6ELNS1_3repE0EEENS1_30default_config_static_selectorELNS0_4arch9wavefront6targetE0EEEvT1_
                                        ; -- End function
	.set _ZN7rocprim17ROCPRIM_400000_NS6detail17trampoline_kernelINS0_14default_configENS1_25partition_config_selectorILNS1_17partition_subalgoE5ExNS0_10empty_typeEbEEZZNS1_14partition_implILS5_5ELb0ES3_mN6thrust23THRUST_200600_302600_NS6detail15normal_iteratorINSA_10device_ptrIxEEEEPS6_NSA_18transform_iteratorINSB_9not_fun_tI7is_trueIxEEESF_NSA_11use_defaultESM_EENS0_5tupleIJSF_S6_EEENSO_IJSG_SG_EEES6_PlJS6_EEE10hipError_tPvRmT3_T4_T5_T6_T7_T9_mT8_P12ihipStream_tbDpT10_ENKUlT_T0_E_clISt17integral_constantIbLb0EES1B_EEDaS16_S17_EUlS16_E_NS1_11comp_targetILNS1_3genE2ELNS1_11target_archE906ELNS1_3gpuE6ELNS1_3repE0EEENS1_30default_config_static_selectorELNS0_4arch9wavefront6targetE0EEEvT1_.num_vgpr, 0
	.set _ZN7rocprim17ROCPRIM_400000_NS6detail17trampoline_kernelINS0_14default_configENS1_25partition_config_selectorILNS1_17partition_subalgoE5ExNS0_10empty_typeEbEEZZNS1_14partition_implILS5_5ELb0ES3_mN6thrust23THRUST_200600_302600_NS6detail15normal_iteratorINSA_10device_ptrIxEEEEPS6_NSA_18transform_iteratorINSB_9not_fun_tI7is_trueIxEEESF_NSA_11use_defaultESM_EENS0_5tupleIJSF_S6_EEENSO_IJSG_SG_EEES6_PlJS6_EEE10hipError_tPvRmT3_T4_T5_T6_T7_T9_mT8_P12ihipStream_tbDpT10_ENKUlT_T0_E_clISt17integral_constantIbLb0EES1B_EEDaS16_S17_EUlS16_E_NS1_11comp_targetILNS1_3genE2ELNS1_11target_archE906ELNS1_3gpuE6ELNS1_3repE0EEENS1_30default_config_static_selectorELNS0_4arch9wavefront6targetE0EEEvT1_.num_agpr, 0
	.set _ZN7rocprim17ROCPRIM_400000_NS6detail17trampoline_kernelINS0_14default_configENS1_25partition_config_selectorILNS1_17partition_subalgoE5ExNS0_10empty_typeEbEEZZNS1_14partition_implILS5_5ELb0ES3_mN6thrust23THRUST_200600_302600_NS6detail15normal_iteratorINSA_10device_ptrIxEEEEPS6_NSA_18transform_iteratorINSB_9not_fun_tI7is_trueIxEEESF_NSA_11use_defaultESM_EENS0_5tupleIJSF_S6_EEENSO_IJSG_SG_EEES6_PlJS6_EEE10hipError_tPvRmT3_T4_T5_T6_T7_T9_mT8_P12ihipStream_tbDpT10_ENKUlT_T0_E_clISt17integral_constantIbLb0EES1B_EEDaS16_S17_EUlS16_E_NS1_11comp_targetILNS1_3genE2ELNS1_11target_archE906ELNS1_3gpuE6ELNS1_3repE0EEENS1_30default_config_static_selectorELNS0_4arch9wavefront6targetE0EEEvT1_.numbered_sgpr, 0
	.set _ZN7rocprim17ROCPRIM_400000_NS6detail17trampoline_kernelINS0_14default_configENS1_25partition_config_selectorILNS1_17partition_subalgoE5ExNS0_10empty_typeEbEEZZNS1_14partition_implILS5_5ELb0ES3_mN6thrust23THRUST_200600_302600_NS6detail15normal_iteratorINSA_10device_ptrIxEEEEPS6_NSA_18transform_iteratorINSB_9not_fun_tI7is_trueIxEEESF_NSA_11use_defaultESM_EENS0_5tupleIJSF_S6_EEENSO_IJSG_SG_EEES6_PlJS6_EEE10hipError_tPvRmT3_T4_T5_T6_T7_T9_mT8_P12ihipStream_tbDpT10_ENKUlT_T0_E_clISt17integral_constantIbLb0EES1B_EEDaS16_S17_EUlS16_E_NS1_11comp_targetILNS1_3genE2ELNS1_11target_archE906ELNS1_3gpuE6ELNS1_3repE0EEENS1_30default_config_static_selectorELNS0_4arch9wavefront6targetE0EEEvT1_.num_named_barrier, 0
	.set _ZN7rocprim17ROCPRIM_400000_NS6detail17trampoline_kernelINS0_14default_configENS1_25partition_config_selectorILNS1_17partition_subalgoE5ExNS0_10empty_typeEbEEZZNS1_14partition_implILS5_5ELb0ES3_mN6thrust23THRUST_200600_302600_NS6detail15normal_iteratorINSA_10device_ptrIxEEEEPS6_NSA_18transform_iteratorINSB_9not_fun_tI7is_trueIxEEESF_NSA_11use_defaultESM_EENS0_5tupleIJSF_S6_EEENSO_IJSG_SG_EEES6_PlJS6_EEE10hipError_tPvRmT3_T4_T5_T6_T7_T9_mT8_P12ihipStream_tbDpT10_ENKUlT_T0_E_clISt17integral_constantIbLb0EES1B_EEDaS16_S17_EUlS16_E_NS1_11comp_targetILNS1_3genE2ELNS1_11target_archE906ELNS1_3gpuE6ELNS1_3repE0EEENS1_30default_config_static_selectorELNS0_4arch9wavefront6targetE0EEEvT1_.private_seg_size, 0
	.set _ZN7rocprim17ROCPRIM_400000_NS6detail17trampoline_kernelINS0_14default_configENS1_25partition_config_selectorILNS1_17partition_subalgoE5ExNS0_10empty_typeEbEEZZNS1_14partition_implILS5_5ELb0ES3_mN6thrust23THRUST_200600_302600_NS6detail15normal_iteratorINSA_10device_ptrIxEEEEPS6_NSA_18transform_iteratorINSB_9not_fun_tI7is_trueIxEEESF_NSA_11use_defaultESM_EENS0_5tupleIJSF_S6_EEENSO_IJSG_SG_EEES6_PlJS6_EEE10hipError_tPvRmT3_T4_T5_T6_T7_T9_mT8_P12ihipStream_tbDpT10_ENKUlT_T0_E_clISt17integral_constantIbLb0EES1B_EEDaS16_S17_EUlS16_E_NS1_11comp_targetILNS1_3genE2ELNS1_11target_archE906ELNS1_3gpuE6ELNS1_3repE0EEENS1_30default_config_static_selectorELNS0_4arch9wavefront6targetE0EEEvT1_.uses_vcc, 0
	.set _ZN7rocprim17ROCPRIM_400000_NS6detail17trampoline_kernelINS0_14default_configENS1_25partition_config_selectorILNS1_17partition_subalgoE5ExNS0_10empty_typeEbEEZZNS1_14partition_implILS5_5ELb0ES3_mN6thrust23THRUST_200600_302600_NS6detail15normal_iteratorINSA_10device_ptrIxEEEEPS6_NSA_18transform_iteratorINSB_9not_fun_tI7is_trueIxEEESF_NSA_11use_defaultESM_EENS0_5tupleIJSF_S6_EEENSO_IJSG_SG_EEES6_PlJS6_EEE10hipError_tPvRmT3_T4_T5_T6_T7_T9_mT8_P12ihipStream_tbDpT10_ENKUlT_T0_E_clISt17integral_constantIbLb0EES1B_EEDaS16_S17_EUlS16_E_NS1_11comp_targetILNS1_3genE2ELNS1_11target_archE906ELNS1_3gpuE6ELNS1_3repE0EEENS1_30default_config_static_selectorELNS0_4arch9wavefront6targetE0EEEvT1_.uses_flat_scratch, 0
	.set _ZN7rocprim17ROCPRIM_400000_NS6detail17trampoline_kernelINS0_14default_configENS1_25partition_config_selectorILNS1_17partition_subalgoE5ExNS0_10empty_typeEbEEZZNS1_14partition_implILS5_5ELb0ES3_mN6thrust23THRUST_200600_302600_NS6detail15normal_iteratorINSA_10device_ptrIxEEEEPS6_NSA_18transform_iteratorINSB_9not_fun_tI7is_trueIxEEESF_NSA_11use_defaultESM_EENS0_5tupleIJSF_S6_EEENSO_IJSG_SG_EEES6_PlJS6_EEE10hipError_tPvRmT3_T4_T5_T6_T7_T9_mT8_P12ihipStream_tbDpT10_ENKUlT_T0_E_clISt17integral_constantIbLb0EES1B_EEDaS16_S17_EUlS16_E_NS1_11comp_targetILNS1_3genE2ELNS1_11target_archE906ELNS1_3gpuE6ELNS1_3repE0EEENS1_30default_config_static_selectorELNS0_4arch9wavefront6targetE0EEEvT1_.has_dyn_sized_stack, 0
	.set _ZN7rocprim17ROCPRIM_400000_NS6detail17trampoline_kernelINS0_14default_configENS1_25partition_config_selectorILNS1_17partition_subalgoE5ExNS0_10empty_typeEbEEZZNS1_14partition_implILS5_5ELb0ES3_mN6thrust23THRUST_200600_302600_NS6detail15normal_iteratorINSA_10device_ptrIxEEEEPS6_NSA_18transform_iteratorINSB_9not_fun_tI7is_trueIxEEESF_NSA_11use_defaultESM_EENS0_5tupleIJSF_S6_EEENSO_IJSG_SG_EEES6_PlJS6_EEE10hipError_tPvRmT3_T4_T5_T6_T7_T9_mT8_P12ihipStream_tbDpT10_ENKUlT_T0_E_clISt17integral_constantIbLb0EES1B_EEDaS16_S17_EUlS16_E_NS1_11comp_targetILNS1_3genE2ELNS1_11target_archE906ELNS1_3gpuE6ELNS1_3repE0EEENS1_30default_config_static_selectorELNS0_4arch9wavefront6targetE0EEEvT1_.has_recursion, 0
	.set _ZN7rocprim17ROCPRIM_400000_NS6detail17trampoline_kernelINS0_14default_configENS1_25partition_config_selectorILNS1_17partition_subalgoE5ExNS0_10empty_typeEbEEZZNS1_14partition_implILS5_5ELb0ES3_mN6thrust23THRUST_200600_302600_NS6detail15normal_iteratorINSA_10device_ptrIxEEEEPS6_NSA_18transform_iteratorINSB_9not_fun_tI7is_trueIxEEESF_NSA_11use_defaultESM_EENS0_5tupleIJSF_S6_EEENSO_IJSG_SG_EEES6_PlJS6_EEE10hipError_tPvRmT3_T4_T5_T6_T7_T9_mT8_P12ihipStream_tbDpT10_ENKUlT_T0_E_clISt17integral_constantIbLb0EES1B_EEDaS16_S17_EUlS16_E_NS1_11comp_targetILNS1_3genE2ELNS1_11target_archE906ELNS1_3gpuE6ELNS1_3repE0EEENS1_30default_config_static_selectorELNS0_4arch9wavefront6targetE0EEEvT1_.has_indirect_call, 0
	.section	.AMDGPU.csdata,"",@progbits
; Kernel info:
; codeLenInByte = 0
; TotalNumSgprs: 0
; NumVgprs: 0
; ScratchSize: 0
; MemoryBound: 0
; FloatMode: 240
; IeeeMode: 1
; LDSByteSize: 0 bytes/workgroup (compile time only)
; SGPRBlocks: 0
; VGPRBlocks: 0
; NumSGPRsForWavesPerEU: 1
; NumVGPRsForWavesPerEU: 1
; Occupancy: 16
; WaveLimiterHint : 0
; COMPUTE_PGM_RSRC2:SCRATCH_EN: 0
; COMPUTE_PGM_RSRC2:USER_SGPR: 2
; COMPUTE_PGM_RSRC2:TRAP_HANDLER: 0
; COMPUTE_PGM_RSRC2:TGID_X_EN: 1
; COMPUTE_PGM_RSRC2:TGID_Y_EN: 0
; COMPUTE_PGM_RSRC2:TGID_Z_EN: 0
; COMPUTE_PGM_RSRC2:TIDIG_COMP_CNT: 0
	.section	.text._ZN7rocprim17ROCPRIM_400000_NS6detail17trampoline_kernelINS0_14default_configENS1_25partition_config_selectorILNS1_17partition_subalgoE5ExNS0_10empty_typeEbEEZZNS1_14partition_implILS5_5ELb0ES3_mN6thrust23THRUST_200600_302600_NS6detail15normal_iteratorINSA_10device_ptrIxEEEEPS6_NSA_18transform_iteratorINSB_9not_fun_tI7is_trueIxEEESF_NSA_11use_defaultESM_EENS0_5tupleIJSF_S6_EEENSO_IJSG_SG_EEES6_PlJS6_EEE10hipError_tPvRmT3_T4_T5_T6_T7_T9_mT8_P12ihipStream_tbDpT10_ENKUlT_T0_E_clISt17integral_constantIbLb0EES1B_EEDaS16_S17_EUlS16_E_NS1_11comp_targetILNS1_3genE10ELNS1_11target_archE1200ELNS1_3gpuE4ELNS1_3repE0EEENS1_30default_config_static_selectorELNS0_4arch9wavefront6targetE0EEEvT1_,"axG",@progbits,_ZN7rocprim17ROCPRIM_400000_NS6detail17trampoline_kernelINS0_14default_configENS1_25partition_config_selectorILNS1_17partition_subalgoE5ExNS0_10empty_typeEbEEZZNS1_14partition_implILS5_5ELb0ES3_mN6thrust23THRUST_200600_302600_NS6detail15normal_iteratorINSA_10device_ptrIxEEEEPS6_NSA_18transform_iteratorINSB_9not_fun_tI7is_trueIxEEESF_NSA_11use_defaultESM_EENS0_5tupleIJSF_S6_EEENSO_IJSG_SG_EEES6_PlJS6_EEE10hipError_tPvRmT3_T4_T5_T6_T7_T9_mT8_P12ihipStream_tbDpT10_ENKUlT_T0_E_clISt17integral_constantIbLb0EES1B_EEDaS16_S17_EUlS16_E_NS1_11comp_targetILNS1_3genE10ELNS1_11target_archE1200ELNS1_3gpuE4ELNS1_3repE0EEENS1_30default_config_static_selectorELNS0_4arch9wavefront6targetE0EEEvT1_,comdat
	.protected	_ZN7rocprim17ROCPRIM_400000_NS6detail17trampoline_kernelINS0_14default_configENS1_25partition_config_selectorILNS1_17partition_subalgoE5ExNS0_10empty_typeEbEEZZNS1_14partition_implILS5_5ELb0ES3_mN6thrust23THRUST_200600_302600_NS6detail15normal_iteratorINSA_10device_ptrIxEEEEPS6_NSA_18transform_iteratorINSB_9not_fun_tI7is_trueIxEEESF_NSA_11use_defaultESM_EENS0_5tupleIJSF_S6_EEENSO_IJSG_SG_EEES6_PlJS6_EEE10hipError_tPvRmT3_T4_T5_T6_T7_T9_mT8_P12ihipStream_tbDpT10_ENKUlT_T0_E_clISt17integral_constantIbLb0EES1B_EEDaS16_S17_EUlS16_E_NS1_11comp_targetILNS1_3genE10ELNS1_11target_archE1200ELNS1_3gpuE4ELNS1_3repE0EEENS1_30default_config_static_selectorELNS0_4arch9wavefront6targetE0EEEvT1_ ; -- Begin function _ZN7rocprim17ROCPRIM_400000_NS6detail17trampoline_kernelINS0_14default_configENS1_25partition_config_selectorILNS1_17partition_subalgoE5ExNS0_10empty_typeEbEEZZNS1_14partition_implILS5_5ELb0ES3_mN6thrust23THRUST_200600_302600_NS6detail15normal_iteratorINSA_10device_ptrIxEEEEPS6_NSA_18transform_iteratorINSB_9not_fun_tI7is_trueIxEEESF_NSA_11use_defaultESM_EENS0_5tupleIJSF_S6_EEENSO_IJSG_SG_EEES6_PlJS6_EEE10hipError_tPvRmT3_T4_T5_T6_T7_T9_mT8_P12ihipStream_tbDpT10_ENKUlT_T0_E_clISt17integral_constantIbLb0EES1B_EEDaS16_S17_EUlS16_E_NS1_11comp_targetILNS1_3genE10ELNS1_11target_archE1200ELNS1_3gpuE4ELNS1_3repE0EEENS1_30default_config_static_selectorELNS0_4arch9wavefront6targetE0EEEvT1_
	.globl	_ZN7rocprim17ROCPRIM_400000_NS6detail17trampoline_kernelINS0_14default_configENS1_25partition_config_selectorILNS1_17partition_subalgoE5ExNS0_10empty_typeEbEEZZNS1_14partition_implILS5_5ELb0ES3_mN6thrust23THRUST_200600_302600_NS6detail15normal_iteratorINSA_10device_ptrIxEEEEPS6_NSA_18transform_iteratorINSB_9not_fun_tI7is_trueIxEEESF_NSA_11use_defaultESM_EENS0_5tupleIJSF_S6_EEENSO_IJSG_SG_EEES6_PlJS6_EEE10hipError_tPvRmT3_T4_T5_T6_T7_T9_mT8_P12ihipStream_tbDpT10_ENKUlT_T0_E_clISt17integral_constantIbLb0EES1B_EEDaS16_S17_EUlS16_E_NS1_11comp_targetILNS1_3genE10ELNS1_11target_archE1200ELNS1_3gpuE4ELNS1_3repE0EEENS1_30default_config_static_selectorELNS0_4arch9wavefront6targetE0EEEvT1_
	.p2align	8
	.type	_ZN7rocprim17ROCPRIM_400000_NS6detail17trampoline_kernelINS0_14default_configENS1_25partition_config_selectorILNS1_17partition_subalgoE5ExNS0_10empty_typeEbEEZZNS1_14partition_implILS5_5ELb0ES3_mN6thrust23THRUST_200600_302600_NS6detail15normal_iteratorINSA_10device_ptrIxEEEEPS6_NSA_18transform_iteratorINSB_9not_fun_tI7is_trueIxEEESF_NSA_11use_defaultESM_EENS0_5tupleIJSF_S6_EEENSO_IJSG_SG_EEES6_PlJS6_EEE10hipError_tPvRmT3_T4_T5_T6_T7_T9_mT8_P12ihipStream_tbDpT10_ENKUlT_T0_E_clISt17integral_constantIbLb0EES1B_EEDaS16_S17_EUlS16_E_NS1_11comp_targetILNS1_3genE10ELNS1_11target_archE1200ELNS1_3gpuE4ELNS1_3repE0EEENS1_30default_config_static_selectorELNS0_4arch9wavefront6targetE0EEEvT1_,@function
_ZN7rocprim17ROCPRIM_400000_NS6detail17trampoline_kernelINS0_14default_configENS1_25partition_config_selectorILNS1_17partition_subalgoE5ExNS0_10empty_typeEbEEZZNS1_14partition_implILS5_5ELb0ES3_mN6thrust23THRUST_200600_302600_NS6detail15normal_iteratorINSA_10device_ptrIxEEEEPS6_NSA_18transform_iteratorINSB_9not_fun_tI7is_trueIxEEESF_NSA_11use_defaultESM_EENS0_5tupleIJSF_S6_EEENSO_IJSG_SG_EEES6_PlJS6_EEE10hipError_tPvRmT3_T4_T5_T6_T7_T9_mT8_P12ihipStream_tbDpT10_ENKUlT_T0_E_clISt17integral_constantIbLb0EES1B_EEDaS16_S17_EUlS16_E_NS1_11comp_targetILNS1_3genE10ELNS1_11target_archE1200ELNS1_3gpuE4ELNS1_3repE0EEENS1_30default_config_static_selectorELNS0_4arch9wavefront6targetE0EEEvT1_: ; @_ZN7rocprim17ROCPRIM_400000_NS6detail17trampoline_kernelINS0_14default_configENS1_25partition_config_selectorILNS1_17partition_subalgoE5ExNS0_10empty_typeEbEEZZNS1_14partition_implILS5_5ELb0ES3_mN6thrust23THRUST_200600_302600_NS6detail15normal_iteratorINSA_10device_ptrIxEEEEPS6_NSA_18transform_iteratorINSB_9not_fun_tI7is_trueIxEEESF_NSA_11use_defaultESM_EENS0_5tupleIJSF_S6_EEENSO_IJSG_SG_EEES6_PlJS6_EEE10hipError_tPvRmT3_T4_T5_T6_T7_T9_mT8_P12ihipStream_tbDpT10_ENKUlT_T0_E_clISt17integral_constantIbLb0EES1B_EEDaS16_S17_EUlS16_E_NS1_11comp_targetILNS1_3genE10ELNS1_11target_archE1200ELNS1_3gpuE4ELNS1_3repE0EEENS1_30default_config_static_selectorELNS0_4arch9wavefront6targetE0EEEvT1_
; %bb.0:
	s_clause 0x3
	s_load_b128 s[4:7], s[0:1], 0x8
	s_load_b128 s[8:11], s[0:1], 0x48
	s_load_b32 s2, s[0:1], 0x70
	s_load_b64 s[14:15], s[0:1], 0x58
	s_mov_b32 s17, 0
	s_lshl_b32 s20, ttmp9, 10
	s_mov_b32 s21, s17
	v_lshrrev_b32_e32 v11, 2, v0
	v_or_b32_e32 v9, 0x200, v0
	v_or_b32_e32 v10, 0x300, v0
	s_mov_b32 s3, -1
	s_wait_kmcnt 0x0
	s_lshl_b64 s[12:13], s[6:7], 3
	s_load_b64 s[10:11], s[10:11], 0x0
	s_add_co_i32 s19, s2, -1
	s_lshl_b32 s16, s2, 10
	s_lshl_b32 s2, s19, 10
	s_add_nc_u64 s[16:17], s[6:7], s[16:17]
	s_add_co_i32 s2, s6, s2
	v_cmp_le_u64_e64 s6, s[14:15], s[16:17]
	s_sub_co_i32 s18, s14, s2
	s_cmp_eq_u32 ttmp9, s19
	s_cselect_b32 s16, -1, 0
	s_wait_alu 0xfffe
	s_and_b32 s2, s16, s6
	s_add_nc_u64 s[6:7], s[4:5], s[12:13]
	s_xor_b32 s17, s2, -1
	s_lshl_b64 s[4:5], s[20:21], 3
	s_wait_alu 0xfffe
	s_and_b32 vcc_lo, exec_lo, s17
	s_add_nc_u64 s[14:15], s[6:7], s[4:5]
	s_cbranch_vccz .LBB1472_2
; %bb.1:
	v_lshlrev_b32_e32 v12, 3, v0
	v_or_b32_e32 v13, 0x100, v0
	v_lshrrev_b32_e32 v14, 2, v9
	v_lshrrev_b32_e32 v15, 2, v10
	v_and_b32_e32 v16, 56, v11
	s_wait_alu 0xfffe
	v_add_co_u32 v1, s2, s14, v12
	s_delay_alu instid0(VALU_DEP_1)
	v_add_co_ci_u32_e64 v2, null, s15, 0, s2
	v_lshrrev_b32_e32 v13, 2, v13
	v_and_b32_e32 v14, 0xb8, v14
	v_and_b32_e32 v15, 0xf8, v15
	s_clause 0x3
	flat_load_b64 v[3:4], v[1:2]
	flat_load_b64 v[5:6], v[1:2] offset:2048
	flat_load_b64 v[7:8], v[1:2] offset:4096
	;; [unrolled: 1-line block ×3, first 2 shown]
	v_add_nc_u32_e32 v16, v16, v12
	v_and_b32_e32 v13, 0x78, v13
	v_add_nc_u32_e32 v14, v14, v12
	s_mov_b32 s3, 0
	s_delay_alu instid0(VALU_DEP_2)
	v_add_nc_u32_e32 v13, v13, v12
	v_add_nc_u32_e32 v12, v15, v12
	s_wait_loadcnt_dscnt 0x303
	ds_store_b64 v16, v[3:4]
	s_wait_loadcnt_dscnt 0x203
	ds_store_b64 v13, v[5:6] offset:2048
	s_wait_loadcnt_dscnt 0x103
	ds_store_b64 v14, v[7:8] offset:4096
	;; [unrolled: 2-line block ×3, first 2 shown]
	s_wait_dscnt 0x0
	s_barrier_signal -1
	s_barrier_wait -1
.LBB1472_2:
	s_load_b64 s[6:7], s[0:1], 0x20
	v_cmp_gt_u32_e64 s2, s18, v0
	s_and_not1_b32 vcc_lo, exec_lo, s3
	s_cbranch_vccnz .LBB1472_10
; %bb.3:
	v_mov_b32_e32 v1, 0
	s_delay_alu instid0(VALU_DEP_1)
	v_dual_mov_b32 v2, v1 :: v_dual_mov_b32 v3, v1
	v_dual_mov_b32 v4, v1 :: v_dual_mov_b32 v5, v1
	;; [unrolled: 1-line block ×3, first 2 shown]
	v_mov_b32_e32 v8, v1
	s_and_saveexec_b32 s3, s2
	s_cbranch_execz .LBB1472_5
; %bb.4:
	v_dual_mov_b32 v15, v1 :: v_dual_lshlrev_b32 v2, 3, v0
	v_dual_mov_b32 v14, v1 :: v_dual_mov_b32 v17, v1
	v_dual_mov_b32 v16, v1 :: v_dual_mov_b32 v19, v1
	s_delay_alu instid0(VALU_DEP_3)
	v_add_co_u32 v2, s2, s14, v2
	s_wait_alu 0xf1ff
	v_add_co_ci_u32_e64 v3, null, s15, 0, s2
	v_mov_b32_e32 v18, v1
	flat_load_b64 v[12:13], v[2:3]
	s_wait_loadcnt_dscnt 0x0
	v_dual_mov_b32 v1, v12 :: v_dual_mov_b32 v2, v13
	v_dual_mov_b32 v3, v14 :: v_dual_mov_b32 v4, v15
	;; [unrolled: 1-line block ×4, first 2 shown]
.LBB1472_5:
	s_wait_alu 0xfffe
	s_or_b32 exec_lo, exec_lo, s3
	v_or_b32_e32 v12, 0x100, v0
	s_mov_b32 s2, exec_lo
	s_delay_alu instid0(VALU_DEP_1)
	v_cmpx_gt_u32_e64 s18, v12
	s_cbranch_execnz .LBB1472_134
; %bb.6:
	s_wait_alu 0xfffe
	s_or_b32 exec_lo, exec_lo, s2
	s_delay_alu instid0(SALU_CYCLE_1)
	s_mov_b32 s2, exec_lo
	v_cmpx_gt_u32_e64 s18, v9
	s_cbranch_execnz .LBB1472_135
.LBB1472_7:
	s_wait_alu 0xfffe
	s_or_b32 exec_lo, exec_lo, s2
	s_delay_alu instid0(SALU_CYCLE_1)
	s_mov_b32 s2, exec_lo
	v_cmpx_gt_u32_e64 s18, v10
	s_cbranch_execz .LBB1472_9
.LBB1472_8:
	v_lshlrev_b32_e32 v7, 3, v0
	s_delay_alu instid0(VALU_DEP_1)
	v_add_co_u32 v7, s3, s14, v7
	s_wait_alu 0xf1ff
	v_add_co_ci_u32_e64 v8, null, s15, 0, s3
	flat_load_b64 v[7:8], v[7:8] offset:6144
.LBB1472_9:
	s_wait_alu 0xfffe
	s_or_b32 exec_lo, exec_lo, s2
	v_lshrrev_b32_e32 v12, 2, v12
	v_lshrrev_b32_e32 v13, 2, v9
	;; [unrolled: 1-line block ×3, first 2 shown]
	v_and_b32_e32 v11, 56, v11
	v_lshlrev_b32_e32 v15, 3, v0
	v_and_b32_e32 v12, 0x78, v12
	v_and_b32_e32 v13, 0xf8, v13
	;; [unrolled: 1-line block ×3, first 2 shown]
	s_delay_alu instid0(VALU_DEP_4) | instskip(NEXT) | instid1(VALU_DEP_4)
	v_add_nc_u32_e32 v11, v11, v15
	v_add_nc_u32_e32 v12, v12, v15
	s_delay_alu instid0(VALU_DEP_4) | instskip(NEXT) | instid1(VALU_DEP_4)
	v_add_nc_u32_e32 v13, v13, v15
	v_add_nc_u32_e32 v14, v14, v15
	ds_store_b64 v11, v[1:2]
	s_wait_loadcnt_dscnt 0x1
	ds_store_b64 v12, v[3:4] offset:2048
	ds_store_b64 v13, v[5:6] offset:4096
	;; [unrolled: 1-line block ×3, first 2 shown]
	s_wait_dscnt 0x0
	s_barrier_signal -1
	s_barrier_wait -1
.LBB1472_10:
	v_and_b32_e32 v1, 0xf8, v0
	global_inv scope:SCOPE_SE
	v_lshrrev_b32_e32 v26, 5, v0
	s_wait_kmcnt 0x0
	s_add_nc_u64 s[2:3], s[6:7], s[12:13]
	s_and_b32 vcc_lo, exec_lo, s17
	v_lshl_add_u32 v1, v0, 5, v1
	s_wait_alu 0xfffe
	s_add_nc_u64 s[2:3], s[2:3], s[4:5]
	s_mov_b32 s4, -1
	ds_load_2addr_b64 v[5:8], v1 offset1:1
	ds_load_2addr_b64 v[1:4], v1 offset0:2 offset1:3
	s_wait_loadcnt_dscnt 0x0
	s_barrier_signal -1
	s_barrier_wait -1
	global_inv scope:SCOPE_SE
	s_cbranch_vccz .LBB1472_12
; %bb.11:
	v_lshlrev_b32_e32 v17, 3, v0
	v_or_b32_e32 v19, 0x100, v0
	v_lshrrev_b32_e32 v20, 5, v9
	v_lshrrev_b32_e32 v21, 5, v10
	v_and_b32_e32 v22, 4, v26
	s_clause 0x3
	global_load_b64 v[11:12], v17, s[2:3]
	global_load_b64 v[13:14], v17, s[2:3] offset:2048
	global_load_b64 v[15:16], v17, s[2:3] offset:4096
	;; [unrolled: 1-line block ×3, first 2 shown]
	v_lshrrev_b32_e32 v19, 5, v19
	v_and_b32_e32 v20, 20, v20
	v_and_b32_e32 v21, 28, v21
	v_add_nc_u32_e32 v22, v22, v0
	s_mov_b32 s4, 0
	v_and_b32_e32 v19, 12, v19
	v_add_nc_u32_e32 v20, v20, v0
	v_add_nc_u32_e32 v21, v21, v0
	s_delay_alu instid0(VALU_DEP_3)
	v_add_nc_u32_e32 v19, v19, v0
	s_wait_loadcnt 0x3
	v_cmp_eq_u64_e32 vcc_lo, 0, v[11:12]
	v_cndmask_b32_e64 v11, 0, 1, vcc_lo
	s_wait_loadcnt 0x2
	v_cmp_eq_u64_e32 vcc_lo, 0, v[13:14]
	s_wait_alu 0xfffd
	v_cndmask_b32_e64 v12, 0, 1, vcc_lo
	s_wait_loadcnt 0x1
	v_cmp_eq_u64_e32 vcc_lo, 0, v[15:16]
	s_wait_alu 0xfffd
	;; [unrolled: 4-line block ×3, first 2 shown]
	v_cndmask_b32_e64 v14, 0, 1, vcc_lo
	ds_store_b8 v22, v11
	ds_store_b8 v19, v12 offset:256
	ds_store_b8 v20, v13 offset:512
	;; [unrolled: 1-line block ×3, first 2 shown]
	s_wait_dscnt 0x0
	s_barrier_signal -1
	s_barrier_wait -1
.LBB1472_12:
	v_lshlrev_b32_e32 v11, 2, v0
	v_lshrrev_b32_e32 v12, 3, v0
	s_and_not1_b32 vcc_lo, exec_lo, s4
	s_wait_alu 0xfffe
	s_cbranch_vccnz .LBB1472_20
; %bb.13:
	v_dual_mov_b32 v13, 0 :: v_dual_mov_b32 v14, 0
	s_mov_b32 s4, exec_lo
	v_cmpx_gt_u32_e64 s18, v0
	s_cbranch_execz .LBB1472_15
; %bb.14:
	v_lshlrev_b32_e32 v13, 3, v0
	global_load_b64 v[13:14], v13, s[2:3]
	s_wait_loadcnt 0x0
	v_cmp_eq_u64_e32 vcc_lo, 0, v[13:14]
	s_wait_alu 0xfffd
	v_cndmask_b32_e64 v13, 0, 1, vcc_lo
	v_cndmask_b32_e64 v14, 0, 1, vcc_lo
.LBB1472_15:
	s_or_b32 exec_lo, exec_lo, s4
	v_or_b32_e32 v15, 0x100, v0
	s_mov_b32 s4, exec_lo
	s_delay_alu instid0(VALU_DEP_1)
	v_cmpx_gt_u32_e64 s18, v15
	s_cbranch_execnz .LBB1472_136
; %bb.16:
	s_or_b32 exec_lo, exec_lo, s4
	s_delay_alu instid0(SALU_CYCLE_1)
	s_mov_b32 s4, exec_lo
	v_cmpx_gt_u32_e64 s18, v9
	s_cbranch_execnz .LBB1472_137
.LBB1472_17:
	s_or_b32 exec_lo, exec_lo, s4
	s_delay_alu instid0(SALU_CYCLE_1)
	s_mov_b32 s4, exec_lo
	v_cmpx_gt_u32_e64 s18, v10
	s_cbranch_execz .LBB1472_19
.LBB1472_18:
	v_lshlrev_b32_e32 v16, 3, v0
	global_load_b64 v[16:17], v16, s[2:3] offset:6144
	s_wait_loadcnt 0x0
	v_cmp_eq_u64_e32 vcc_lo, 0, v[16:17]
	v_lshrrev_b32_e32 v17, 16, v14
	s_wait_alu 0xfffd
	v_cndmask_b32_e64 v16, 0, 1, vcc_lo
	s_delay_alu instid0(VALU_DEP_1) | instskip(NEXT) | instid1(VALU_DEP_1)
	v_lshlrev_b16 v16, 8, v16
	v_or_b32_e32 v16, v17, v16
	s_delay_alu instid0(VALU_DEP_1) | instskip(NEXT) | instid1(VALU_DEP_1)
	v_lshlrev_b32_e32 v16, 16, v16
	v_and_or_b32 v14, 0xffff, v14, v16
.LBB1472_19:
	s_or_b32 exec_lo, exec_lo, s4
	v_lshrrev_b32_e32 v15, 5, v15
	v_lshrrev_b32_e32 v9, 5, v9
	;; [unrolled: 1-line block ×3, first 2 shown]
	v_and_b32_e32 v16, 4, v26
	v_lshrrev_b32_e32 v17, 8, v14
	v_and_b32_e32 v15, 12, v15
	v_and_b32_e32 v9, 28, v9
	;; [unrolled: 1-line block ×3, first 2 shown]
	v_add_nc_u32_e32 v16, v16, v0
	v_lshrrev_b32_e32 v18, 24, v14
	v_add_nc_u32_e32 v15, v15, v0
	v_add_nc_u32_e32 v9, v9, v0
	;; [unrolled: 1-line block ×3, first 2 shown]
	ds_store_b8 v16, v13
	ds_store_b8 v15, v17 offset:256
	ds_store_b8_d16_hi v9, v14 offset:512
	ds_store_b8 v10, v18 offset:768
	s_wait_loadcnt_dscnt 0x0
	s_barrier_signal -1
	s_barrier_wait -1
.LBB1472_20:
	s_delay_alu instid0(VALU_DEP_1)
	v_dual_mov_b32 v10, 0 :: v_dual_and_b32 v9, 28, v12
	s_wait_loadcnt 0x0
	global_inv scope:SCOPE_SE
	s_load_b64 s[6:7], s[0:1], 0x68
	v_mbcnt_lo_u32_b32 v31, -1, 0
	v_add_nc_u32_e32 v9, v9, v11
	s_cmp_lg_u32 ttmp9, 0
	s_mov_b32 s3, -1
	s_delay_alu instid0(VALU_DEP_2)
	v_and_b32_e32 v32, 15, v31
	ds_load_b32 v27, v9
	s_wait_loadcnt_dscnt 0x0
	s_barrier_signal -1
	s_barrier_wait -1
	global_inv scope:SCOPE_SE
	v_and_b32_e32 v30, 0xff, v27
	v_bfe_u32 v29, v27, 8, 8
	v_bfe_u32 v28, v27, 16, 8
	v_lshrrev_b32_e32 v25, 24, v27
	s_delay_alu instid0(VALU_DEP_2) | instskip(NEXT) | instid1(VALU_DEP_1)
	v_add3_u32 v9, v29, v30, v28
	v_add_co_u32 v17, s2, v9, v25
	s_wait_alu 0xf1ff
	v_add_co_ci_u32_e64 v18, null, 0, 0, s2
	v_cmp_ne_u32_e64 s2, 0, v32
	s_cbranch_scc0 .LBB1472_77
; %bb.21:
	v_mov_b32_e32 v11, v17
	v_mov_b32_dpp v9, v17 row_shr:1 row_mask:0xf bank_mask:0xf
	v_mov_b32_dpp v14, v10 row_shr:1 row_mask:0xf bank_mask:0xf
	v_dual_mov_b32 v13, v17 :: v_dual_mov_b32 v12, v18
	s_and_saveexec_b32 s3, s2
; %bb.22:
	s_delay_alu instid0(VALU_DEP_3) | instskip(SKIP_2) | instid1(VALU_DEP_2)
	v_add_co_u32 v13, vcc_lo, v17, v9
	s_wait_alu 0xfffd
	v_add_co_ci_u32_e64 v10, null, 0, v18, vcc_lo
	v_add_co_u32 v9, vcc_lo, 0, v13
	s_wait_alu 0xfffd
	s_delay_alu instid0(VALU_DEP_2) | instskip(NEXT) | instid1(VALU_DEP_1)
	v_add_co_ci_u32_e64 v10, null, v14, v10, vcc_lo
	v_dual_mov_b32 v12, v10 :: v_dual_mov_b32 v11, v9
; %bb.23:
	s_wait_alu 0xfffe
	s_or_b32 exec_lo, exec_lo, s3
	v_mov_b32_dpp v9, v13 row_shr:2 row_mask:0xf bank_mask:0xf
	v_mov_b32_dpp v14, v10 row_shr:2 row_mask:0xf bank_mask:0xf
	s_mov_b32 s3, exec_lo
	v_cmpx_lt_u32_e32 1, v32
; %bb.24:
	s_delay_alu instid0(VALU_DEP_3) | instskip(SKIP_2) | instid1(VALU_DEP_2)
	v_add_co_u32 v13, vcc_lo, v11, v9
	s_wait_alu 0xfffd
	v_add_co_ci_u32_e64 v10, null, 0, v12, vcc_lo
	v_add_co_u32 v9, vcc_lo, 0, v13
	s_wait_alu 0xfffd
	s_delay_alu instid0(VALU_DEP_2) | instskip(NEXT) | instid1(VALU_DEP_1)
	v_add_co_ci_u32_e64 v10, null, v14, v10, vcc_lo
	v_dual_mov_b32 v12, v10 :: v_dual_mov_b32 v11, v9
; %bb.25:
	s_wait_alu 0xfffe
	s_or_b32 exec_lo, exec_lo, s3
	v_mov_b32_dpp v9, v13 row_shr:4 row_mask:0xf bank_mask:0xf
	v_mov_b32_dpp v14, v10 row_shr:4 row_mask:0xf bank_mask:0xf
	s_mov_b32 s3, exec_lo
	v_cmpx_lt_u32_e32 3, v32
	;; [unrolled: 17-line block ×3, first 2 shown]
; %bb.28:
	s_delay_alu instid0(VALU_DEP_3) | instskip(SKIP_2) | instid1(VALU_DEP_2)
	v_add_co_u32 v13, vcc_lo, v11, v14
	s_wait_alu 0xfffd
	v_add_co_ci_u32_e64 v10, null, 0, v12, vcc_lo
	v_add_co_u32 v11, vcc_lo, 0, v13
	s_wait_alu 0xfffd
	s_delay_alu instid0(VALU_DEP_2) | instskip(NEXT) | instid1(VALU_DEP_1)
	v_add_co_ci_u32_e64 v12, null, v9, v10, vcc_lo
	v_mov_b32_e32 v10, v12
; %bb.29:
	s_wait_alu 0xfffe
	s_or_b32 exec_lo, exec_lo, s3
	ds_swizzle_b32 v9, v13 offset:swizzle(BROADCAST,32,15)
	ds_swizzle_b32 v14, v10 offset:swizzle(BROADCAST,32,15)
	v_and_b32_e32 v15, 16, v31
	s_mov_b32 s3, exec_lo
	s_delay_alu instid0(VALU_DEP_1)
	v_cmpx_ne_u32_e32 0, v15
	s_cbranch_execz .LBB1472_31
; %bb.30:
	s_wait_dscnt 0x1
	v_add_co_u32 v13, vcc_lo, v11, v9
	s_wait_alu 0xfffd
	v_add_co_ci_u32_e64 v10, null, 0, v12, vcc_lo
	s_delay_alu instid0(VALU_DEP_2) | instskip(SKIP_2) | instid1(VALU_DEP_2)
	v_add_co_u32 v9, vcc_lo, 0, v13
	s_wait_dscnt 0x0
	s_wait_alu 0xfffd
	v_add_co_ci_u32_e64 v10, null, v14, v10, vcc_lo
	s_delay_alu instid0(VALU_DEP_1)
	v_dual_mov_b32 v12, v10 :: v_dual_mov_b32 v11, v9
.LBB1472_31:
	s_wait_alu 0xfffe
	s_or_b32 exec_lo, exec_lo, s3
	s_wait_dscnt 0x1
	v_or_b32_e32 v9, 31, v0
	s_mov_b32 s3, exec_lo
	s_delay_alu instid0(VALU_DEP_1)
	v_cmpx_eq_u32_e64 v0, v9
; %bb.32:
	v_lshlrev_b32_e32 v9, 3, v26
	ds_store_b64 v9, v[11:12]
; %bb.33:
	s_wait_alu 0xfffe
	s_or_b32 exec_lo, exec_lo, s3
	s_delay_alu instid0(SALU_CYCLE_1)
	s_mov_b32 s3, exec_lo
	s_wait_loadcnt_dscnt 0x0
	s_barrier_signal -1
	s_barrier_wait -1
	global_inv scope:SCOPE_SE
	v_cmpx_gt_u32_e32 8, v0
	s_cbranch_execz .LBB1472_41
; %bb.34:
	v_lshlrev_b32_e32 v9, 3, v0
	s_mov_b32 s4, exec_lo
	ds_load_b64 v[11:12], v9
	s_wait_dscnt 0x0
	v_dual_mov_b32 v15, v11 :: v_dual_and_b32 v14, 7, v31
	v_mov_b32_dpp v19, v11 row_shr:1 row_mask:0xf bank_mask:0xf
	v_mov_b32_dpp v16, v12 row_shr:1 row_mask:0xf bank_mask:0xf
	s_delay_alu instid0(VALU_DEP_3)
	v_cmpx_ne_u32_e32 0, v14
; %bb.35:
	s_delay_alu instid0(VALU_DEP_3) | instskip(SKIP_2) | instid1(VALU_DEP_2)
	v_add_co_u32 v15, vcc_lo, v11, v19
	s_wait_alu 0xfffd
	v_add_co_ci_u32_e64 v12, null, 0, v12, vcc_lo
	v_add_co_u32 v11, vcc_lo, 0, v15
	s_wait_alu 0xfffd
	s_delay_alu instid0(VALU_DEP_2)
	v_add_co_ci_u32_e64 v12, null, v16, v12, vcc_lo
; %bb.36:
	s_or_b32 exec_lo, exec_lo, s4
	v_mov_b32_dpp v19, v15 row_shr:2 row_mask:0xf bank_mask:0xf
	s_delay_alu instid0(VALU_DEP_2)
	v_mov_b32_dpp v16, v12 row_shr:2 row_mask:0xf bank_mask:0xf
	s_mov_b32 s4, exec_lo
	v_cmpx_lt_u32_e32 1, v14
; %bb.37:
	s_delay_alu instid0(VALU_DEP_3) | instskip(SKIP_2) | instid1(VALU_DEP_2)
	v_add_co_u32 v15, vcc_lo, v11, v19
	s_wait_alu 0xfffd
	v_add_co_ci_u32_e64 v12, null, 0, v12, vcc_lo
	v_add_co_u32 v11, vcc_lo, 0, v15
	s_wait_alu 0xfffd
	s_delay_alu instid0(VALU_DEP_2)
	v_add_co_ci_u32_e64 v12, null, v16, v12, vcc_lo
; %bb.38:
	s_or_b32 exec_lo, exec_lo, s4
	v_mov_b32_dpp v16, v15 row_shr:4 row_mask:0xf bank_mask:0xf
	s_delay_alu instid0(VALU_DEP_2)
	v_mov_b32_dpp v15, v12 row_shr:4 row_mask:0xf bank_mask:0xf
	s_mov_b32 s4, exec_lo
	v_cmpx_lt_u32_e32 3, v14
; %bb.39:
	s_delay_alu instid0(VALU_DEP_3) | instskip(SKIP_2) | instid1(VALU_DEP_2)
	v_add_co_u32 v11, vcc_lo, v11, v16
	s_wait_alu 0xfffd
	v_add_co_ci_u32_e64 v12, null, 0, v12, vcc_lo
	v_add_co_u32 v11, vcc_lo, v11, 0
	s_wait_alu 0xfffd
	s_delay_alu instid0(VALU_DEP_2)
	v_add_co_ci_u32_e64 v12, null, v12, v15, vcc_lo
; %bb.40:
	s_or_b32 exec_lo, exec_lo, s4
	ds_store_b64 v9, v[11:12]
.LBB1472_41:
	s_wait_alu 0xfffe
	s_or_b32 exec_lo, exec_lo, s3
	s_delay_alu instid0(SALU_CYCLE_1)
	s_mov_b32 s4, exec_lo
	v_cmp_gt_u32_e32 vcc_lo, 32, v0
	s_wait_loadcnt_dscnt 0x0
	s_barrier_signal -1
	s_barrier_wait -1
	global_inv scope:SCOPE_SE
                                        ; implicit-def: $vgpr19_vgpr20
	v_cmpx_lt_u32_e32 31, v0
	s_cbranch_execz .LBB1472_43
; %bb.42:
	v_lshl_add_u32 v9, v26, 3, -8
	ds_load_b64 v[19:20], v9
	s_wait_dscnt 0x0
	v_add_co_u32 v13, s3, v13, v19
	s_wait_alu 0xf1ff
	v_add_co_ci_u32_e64 v10, null, v10, v20, s3
.LBB1472_43:
	s_or_b32 exec_lo, exec_lo, s4
	v_sub_co_u32 v9, s3, v31, 1
	s_delay_alu instid0(VALU_DEP_1) | instskip(NEXT) | instid1(VALU_DEP_1)
	v_cmp_gt_i32_e64 s4, 0, v9
	v_cndmask_b32_e64 v9, v9, v31, s4
	s_delay_alu instid0(VALU_DEP_1)
	v_lshlrev_b32_e32 v9, 2, v9
	ds_bpermute_b32 v33, v9, v13
	ds_bpermute_b32 v34, v9, v10
	s_and_saveexec_b32 s4, vcc_lo
	s_cbranch_execz .LBB1472_82
; %bb.44:
	v_mov_b32_e32 v12, 0
	ds_load_b64 v[9:10], v12 offset:56
	s_and_saveexec_b32 s5, s3
	s_cbranch_execz .LBB1472_46
; %bb.45:
	s_add_co_i32 s12, ttmp9, 32
	s_mov_b32 s13, 0
	s_delay_alu instid0(SALU_CYCLE_1) | instskip(SKIP_2) | instid1(SALU_CYCLE_1)
	s_lshl_b64 s[12:13], s[12:13], 4
	s_wait_kmcnt 0x0
	s_add_nc_u64 s[12:13], s[6:7], s[12:13]
	v_dual_mov_b32 v11, 1 :: v_dual_mov_b32 v14, s13
	v_mov_b32_e32 v13, s12
	s_wait_dscnt 0x0
	;;#ASMSTART
	global_store_b128 v[13:14], v[9:12] off scope:SCOPE_DEV	
s_wait_storecnt 0x0
	;;#ASMEND
.LBB1472_46:
	s_wait_alu 0xfffe
	s_or_b32 exec_lo, exec_lo, s5
	v_xad_u32 v21, v31, -1, ttmp9
	s_mov_b32 s12, 0
	s_mov_b32 s5, exec_lo
	s_delay_alu instid0(VALU_DEP_1) | instskip(NEXT) | instid1(VALU_DEP_1)
	v_add_nc_u32_e32 v11, 32, v21
	v_lshlrev_b64_e32 v[11:12], 4, v[11:12]
	s_wait_kmcnt 0x0
	s_delay_alu instid0(VALU_DEP_1) | instskip(SKIP_1) | instid1(VALU_DEP_2)
	v_add_co_u32 v11, vcc_lo, s6, v11
	s_wait_alu 0xfffd
	v_add_co_ci_u32_e64 v12, null, s7, v12, vcc_lo
	;;#ASMSTART
	global_load_b128 v[13:16], v[11:12] off scope:SCOPE_DEV	
s_wait_loadcnt 0x0
	;;#ASMEND
	v_and_b32_e32 v16, 0xff, v15
	s_delay_alu instid0(VALU_DEP_1)
	v_cmpx_eq_u16_e32 0, v16
	s_cbranch_execz .LBB1472_49
.LBB1472_47:                            ; =>This Inner Loop Header: Depth=1
	;;#ASMSTART
	global_load_b128 v[13:16], v[11:12] off scope:SCOPE_DEV	
s_wait_loadcnt 0x0
	;;#ASMEND
	v_and_b32_e32 v16, 0xff, v15
	s_delay_alu instid0(VALU_DEP_1)
	v_cmp_ne_u16_e32 vcc_lo, 0, v16
	s_wait_alu 0xfffe
	s_or_b32 s12, vcc_lo, s12
	s_wait_alu 0xfffe
	s_and_not1_b32 exec_lo, exec_lo, s12
	s_cbranch_execnz .LBB1472_47
; %bb.48:
	s_or_b32 exec_lo, exec_lo, s12
.LBB1472_49:
	s_wait_alu 0xfffe
	s_or_b32 exec_lo, exec_lo, s5
	v_cmp_ne_u32_e32 vcc_lo, 31, v31
	v_and_b32_e32 v12, 0xff, v15
	v_lshlrev_b32_e64 v36, v31, -1
	s_mov_b32 s5, exec_lo
	s_wait_alu 0xfffd
	v_add_co_ci_u32_e64 v11, null, 0, v31, vcc_lo
	v_cmp_eq_u16_e32 vcc_lo, 2, v12
	s_delay_alu instid0(VALU_DEP_2)
	v_dual_mov_b32 v12, v13 :: v_dual_lshlrev_b32 v35, 2, v11
	s_wait_alu 0xfffd
	v_and_or_b32 v11, vcc_lo, v36, 0x80000000
	ds_bpermute_b32 v22, v35, v13
	ds_bpermute_b32 v16, v35, v14
	v_ctz_i32_b32_e32 v11, v11
	s_delay_alu instid0(VALU_DEP_1)
	v_cmpx_lt_u32_e64 v31, v11
	s_cbranch_execz .LBB1472_51
; %bb.50:
	s_wait_dscnt 0x1
	v_add_co_u32 v12, vcc_lo, v13, v22
	s_wait_alu 0xfffd
	v_add_co_ci_u32_e64 v14, null, 0, v14, vcc_lo
	s_delay_alu instid0(VALU_DEP_2) | instskip(SKIP_2) | instid1(VALU_DEP_2)
	v_add_co_u32 v13, vcc_lo, 0, v12
	s_wait_dscnt 0x0
	s_wait_alu 0xfffd
	v_add_co_ci_u32_e64 v14, null, v16, v14, vcc_lo
.LBB1472_51:
	s_wait_alu 0xfffe
	s_or_b32 exec_lo, exec_lo, s5
	v_cmp_gt_u32_e32 vcc_lo, 30, v31
	v_add_nc_u32_e32 v38, 2, v31
	s_mov_b32 s5, exec_lo
	s_wait_dscnt 0x0
	s_wait_alu 0xfffd
	v_cndmask_b32_e64 v16, 0, 2, vcc_lo
	s_delay_alu instid0(VALU_DEP_1)
	v_add_lshl_u32 v37, v16, v31, 2
	ds_bpermute_b32 v22, v37, v12
	ds_bpermute_b32 v16, v37, v14
	v_cmpx_le_u32_e64 v38, v11
	s_cbranch_execz .LBB1472_53
; %bb.52:
	s_wait_dscnt 0x1
	v_add_co_u32 v12, vcc_lo, v13, v22
	s_wait_alu 0xfffd
	v_add_co_ci_u32_e64 v14, null, 0, v14, vcc_lo
	s_delay_alu instid0(VALU_DEP_2) | instskip(SKIP_2) | instid1(VALU_DEP_2)
	v_add_co_u32 v13, vcc_lo, 0, v12
	s_wait_dscnt 0x0
	s_wait_alu 0xfffd
	v_add_co_ci_u32_e64 v14, null, v16, v14, vcc_lo
.LBB1472_53:
	s_wait_alu 0xfffe
	s_or_b32 exec_lo, exec_lo, s5
	v_cmp_gt_u32_e32 vcc_lo, 28, v31
	v_add_nc_u32_e32 v40, 4, v31
	s_mov_b32 s5, exec_lo
	s_wait_dscnt 0x0
	s_wait_alu 0xfffd
	v_cndmask_b32_e64 v16, 0, 4, vcc_lo
	s_delay_alu instid0(VALU_DEP_1)
	v_add_lshl_u32 v39, v16, v31, 2
	ds_bpermute_b32 v22, v39, v12
	ds_bpermute_b32 v16, v39, v14
	v_cmpx_le_u32_e64 v40, v11
	;; [unrolled: 25-line block ×3, first 2 shown]
	s_cbranch_execz .LBB1472_57
; %bb.56:
	s_wait_dscnt 0x1
	v_add_co_u32 v12, vcc_lo, v13, v22
	s_wait_alu 0xfffd
	v_add_co_ci_u32_e64 v14, null, 0, v14, vcc_lo
	s_delay_alu instid0(VALU_DEP_2) | instskip(SKIP_2) | instid1(VALU_DEP_2)
	v_add_co_u32 v13, vcc_lo, 0, v12
	s_wait_dscnt 0x0
	s_wait_alu 0xfffd
	v_add_co_ci_u32_e64 v14, null, v16, v14, vcc_lo
.LBB1472_57:
	s_wait_alu 0xfffe
	s_or_b32 exec_lo, exec_lo, s5
	v_lshl_or_b32 v43, v31, 2, 64
	v_add_nc_u32_e32 v44, 16, v31
	s_mov_b32 s5, exec_lo
	s_wait_dscnt 0x0
	ds_bpermute_b32 v16, v43, v12
	ds_bpermute_b32 v12, v43, v14
	v_cmpx_le_u32_e64 v44, v11
	s_cbranch_execz .LBB1472_59
; %bb.58:
	s_wait_dscnt 0x1
	v_add_co_u32 v11, vcc_lo, v13, v16
	s_wait_alu 0xfffd
	v_add_co_ci_u32_e64 v14, null, 0, v14, vcc_lo
	s_delay_alu instid0(VALU_DEP_2) | instskip(SKIP_2) | instid1(VALU_DEP_2)
	v_add_co_u32 v13, vcc_lo, v11, 0
	s_wait_dscnt 0x0
	s_wait_alu 0xfffd
	v_add_co_ci_u32_e64 v14, null, v14, v12, vcc_lo
.LBB1472_59:
	s_wait_alu 0xfffe
	s_or_b32 exec_lo, exec_lo, s5
	v_mov_b32_e32 v22, 0
	s_branch .LBB1472_62
.LBB1472_60:                            ;   in Loop: Header=BB1472_62 Depth=1
	s_wait_alu 0xfffe
	s_or_b32 exec_lo, exec_lo, s5
	v_add_co_u32 v13, vcc_lo, v13, v11
	v_subrev_nc_u32_e32 v21, 32, v21
	s_wait_alu 0xfffd
	v_add_co_ci_u32_e64 v14, null, v14, v12, vcc_lo
	s_mov_b32 s5, 0
.LBB1472_61:                            ;   in Loop: Header=BB1472_62 Depth=1
	s_wait_alu 0xfffe
	s_and_b32 vcc_lo, exec_lo, s5
	s_wait_alu 0xfffe
	s_cbranch_vccnz .LBB1472_78
.LBB1472_62:                            ; =>This Loop Header: Depth=1
                                        ;     Child Loop BB1472_65 Depth 2
	v_and_b32_e32 v11, 0xff, v15
	s_mov_b32 s5, -1
	s_delay_alu instid0(VALU_DEP_1)
	v_cmp_ne_u16_e32 vcc_lo, 2, v11
	s_wait_dscnt 0x0
	v_dual_mov_b32 v11, v13 :: v_dual_mov_b32 v12, v14
                                        ; implicit-def: $vgpr13_vgpr14
	s_cmp_lg_u32 vcc_lo, exec_lo
	s_cbranch_scc1 .LBB1472_61
; %bb.63:                               ;   in Loop: Header=BB1472_62 Depth=1
	v_lshlrev_b64_e32 v[13:14], 4, v[21:22]
	s_mov_b32 s5, exec_lo
	s_delay_alu instid0(VALU_DEP_1) | instskip(SKIP_1) | instid1(VALU_DEP_2)
	v_add_co_u32 v23, vcc_lo, s6, v13
	s_wait_alu 0xfffd
	v_add_co_ci_u32_e64 v24, null, s7, v14, vcc_lo
	;;#ASMSTART
	global_load_b128 v[13:16], v[23:24] off scope:SCOPE_DEV	
s_wait_loadcnt 0x0
	;;#ASMEND
	v_and_b32_e32 v16, 0xff, v15
	s_delay_alu instid0(VALU_DEP_1)
	v_cmpx_eq_u16_e32 0, v16
	s_cbranch_execz .LBB1472_67
; %bb.64:                               ;   in Loop: Header=BB1472_62 Depth=1
	s_mov_b32 s12, 0
.LBB1472_65:                            ;   Parent Loop BB1472_62 Depth=1
                                        ; =>  This Inner Loop Header: Depth=2
	;;#ASMSTART
	global_load_b128 v[13:16], v[23:24] off scope:SCOPE_DEV	
s_wait_loadcnt 0x0
	;;#ASMEND
	v_and_b32_e32 v16, 0xff, v15
	s_delay_alu instid0(VALU_DEP_1)
	v_cmp_ne_u16_e32 vcc_lo, 0, v16
	s_wait_alu 0xfffe
	s_or_b32 s12, vcc_lo, s12
	s_wait_alu 0xfffe
	s_and_not1_b32 exec_lo, exec_lo, s12
	s_cbranch_execnz .LBB1472_65
; %bb.66:                               ;   in Loop: Header=BB1472_62 Depth=1
	s_or_b32 exec_lo, exec_lo, s12
.LBB1472_67:                            ;   in Loop: Header=BB1472_62 Depth=1
	s_wait_alu 0xfffe
	s_or_b32 exec_lo, exec_lo, s5
	v_dual_mov_b32 v23, v13 :: v_dual_and_b32 v16, 0xff, v15
	ds_bpermute_b32 v45, v35, v13
	ds_bpermute_b32 v24, v35, v14
	s_mov_b32 s5, exec_lo
	v_cmp_eq_u16_e32 vcc_lo, 2, v16
	s_wait_alu 0xfffd
	v_and_or_b32 v16, vcc_lo, v36, 0x80000000
	s_delay_alu instid0(VALU_DEP_1) | instskip(NEXT) | instid1(VALU_DEP_1)
	v_ctz_i32_b32_e32 v16, v16
	v_cmpx_lt_u32_e64 v31, v16
	s_cbranch_execz .LBB1472_69
; %bb.68:                               ;   in Loop: Header=BB1472_62 Depth=1
	s_wait_dscnt 0x1
	v_add_co_u32 v23, vcc_lo, v13, v45
	s_wait_alu 0xfffd
	v_add_co_ci_u32_e64 v14, null, 0, v14, vcc_lo
	s_delay_alu instid0(VALU_DEP_2) | instskip(SKIP_2) | instid1(VALU_DEP_2)
	v_add_co_u32 v13, vcc_lo, 0, v23
	s_wait_dscnt 0x0
	s_wait_alu 0xfffd
	v_add_co_ci_u32_e64 v14, null, v24, v14, vcc_lo
.LBB1472_69:                            ;   in Loop: Header=BB1472_62 Depth=1
	s_wait_alu 0xfffe
	s_or_b32 exec_lo, exec_lo, s5
	s_wait_dscnt 0x1
	ds_bpermute_b32 v45, v37, v23
	s_wait_dscnt 0x1
	ds_bpermute_b32 v24, v37, v14
	s_mov_b32 s5, exec_lo
	v_cmpx_le_u32_e64 v38, v16
	s_cbranch_execz .LBB1472_71
; %bb.70:                               ;   in Loop: Header=BB1472_62 Depth=1
	s_wait_dscnt 0x1
	v_add_co_u32 v23, vcc_lo, v13, v45
	s_wait_alu 0xfffd
	v_add_co_ci_u32_e64 v14, null, 0, v14, vcc_lo
	s_delay_alu instid0(VALU_DEP_2) | instskip(SKIP_2) | instid1(VALU_DEP_2)
	v_add_co_u32 v13, vcc_lo, 0, v23
	s_wait_dscnt 0x0
	s_wait_alu 0xfffd
	v_add_co_ci_u32_e64 v14, null, v24, v14, vcc_lo
.LBB1472_71:                            ;   in Loop: Header=BB1472_62 Depth=1
	s_wait_alu 0xfffe
	s_or_b32 exec_lo, exec_lo, s5
	s_wait_dscnt 0x1
	ds_bpermute_b32 v45, v39, v23
	s_wait_dscnt 0x1
	ds_bpermute_b32 v24, v39, v14
	s_mov_b32 s5, exec_lo
	v_cmpx_le_u32_e64 v40, v16
	;; [unrolled: 20-line block ×3, first 2 shown]
	s_cbranch_execz .LBB1472_75
; %bb.74:                               ;   in Loop: Header=BB1472_62 Depth=1
	s_wait_dscnt 0x1
	v_add_co_u32 v23, vcc_lo, v13, v45
	s_wait_alu 0xfffd
	v_add_co_ci_u32_e64 v14, null, 0, v14, vcc_lo
	s_delay_alu instid0(VALU_DEP_2) | instskip(SKIP_2) | instid1(VALU_DEP_2)
	v_add_co_u32 v13, vcc_lo, 0, v23
	s_wait_dscnt 0x0
	s_wait_alu 0xfffd
	v_add_co_ci_u32_e64 v14, null, v24, v14, vcc_lo
.LBB1472_75:                            ;   in Loop: Header=BB1472_62 Depth=1
	s_wait_alu 0xfffe
	s_or_b32 exec_lo, exec_lo, s5
	s_wait_dscnt 0x0
	ds_bpermute_b32 v24, v43, v23
	ds_bpermute_b32 v23, v43, v14
	s_mov_b32 s5, exec_lo
	v_cmpx_le_u32_e64 v44, v16
	s_cbranch_execz .LBB1472_60
; %bb.76:                               ;   in Loop: Header=BB1472_62 Depth=1
	s_wait_dscnt 0x1
	v_add_co_u32 v13, vcc_lo, v13, v24
	s_wait_alu 0xfffd
	v_add_co_ci_u32_e64 v14, null, 0, v14, vcc_lo
	s_delay_alu instid0(VALU_DEP_2) | instskip(SKIP_2) | instid1(VALU_DEP_2)
	v_add_co_u32 v13, vcc_lo, v13, 0
	s_wait_dscnt 0x0
	s_wait_alu 0xfffd
	v_add_co_ci_u32_e64 v14, null, v14, v23, vcc_lo
	s_branch .LBB1472_60
.LBB1472_77:
                                        ; implicit-def: $vgpr15_vgpr16
                                        ; implicit-def: $vgpr13_vgpr14
                                        ; implicit-def: $vgpr19_vgpr20
                                        ; implicit-def: $vgpr21_vgpr22
                                        ; implicit-def: $vgpr11_vgpr12
	s_wait_alu 0xfffe
	s_and_b32 vcc_lo, exec_lo, s3
	s_wait_alu 0xfffe
	s_cbranch_vccnz .LBB1472_83
	s_branch .LBB1472_108
.LBB1472_78:
	s_and_saveexec_b32 s5, s3
	s_cbranch_execz .LBB1472_80
; %bb.79:
	s_add_co_i32 s12, ttmp9, 32
	s_mov_b32 s13, 0
	v_add_co_u32 v13, vcc_lo, v11, v9
	s_wait_alu 0xfffe
	s_lshl_b64 s[12:13], s[12:13], 4
	v_dual_mov_b32 v15, 2 :: v_dual_mov_b32 v16, 0
	s_wait_alu 0xfffe
	s_add_nc_u64 s[12:13], s[6:7], s[12:13]
	s_wait_alu 0xfffd
	v_add_co_ci_u32_e64 v14, null, v12, v10, vcc_lo
	s_wait_alu 0xfffe
	v_dual_mov_b32 v22, s13 :: v_dual_mov_b32 v21, s12
	;;#ASMSTART
	global_store_b128 v[21:22], v[13:16] off scope:SCOPE_DEV	
s_wait_storecnt 0x0
	;;#ASMEND
	ds_store_b128 v16, v[9:12] offset:8448
.LBB1472_80:
	s_wait_alu 0xfffe
	s_or_b32 exec_lo, exec_lo, s5
	v_cmp_eq_u32_e32 vcc_lo, 0, v0
	s_and_b32 exec_lo, exec_lo, vcc_lo
; %bb.81:
	v_mov_b32_e32 v9, 0
	ds_store_b64 v9, v[11:12] offset:56
.LBB1472_82:
	s_wait_alu 0xfffe
	s_or_b32 exec_lo, exec_lo, s4
	s_wait_dscnt 0x1
	v_cndmask_b32_e64 v10, v33, v19, s3
	v_cmp_ne_u32_e32 vcc_lo, 0, v0
	v_mov_b32_e32 v9, 0
	s_wait_loadcnt_dscnt 0x0
	s_barrier_signal -1
	s_barrier_wait -1
	global_inv scope:SCOPE_SE
	s_wait_alu 0xfffd
	v_cndmask_b32_e32 v16, 0, v10, vcc_lo
	ds_load_b64 v[13:14], v9 offset:56
	v_cndmask_b32_e64 v11, v34, v20, s3
	s_wait_loadcnt_dscnt 0x0
	s_barrier_signal -1
	s_barrier_wait -1
	global_inv scope:SCOPE_SE
	v_cndmask_b32_e32 v15, 0, v11, vcc_lo
	ds_load_b128 v[9:12], v9 offset:8448
	v_add_co_u32 v21, vcc_lo, v13, v16
	s_wait_alu 0xfffd
	v_add_co_ci_u32_e64 v22, null, v14, v15, vcc_lo
	s_delay_alu instid0(VALU_DEP_2) | instskip(SKIP_1) | instid1(VALU_DEP_2)
	v_add_co_u32 v19, vcc_lo, v21, v30
	s_wait_alu 0xfffd
	v_add_co_ci_u32_e64 v20, null, 0, v22, vcc_lo
	s_delay_alu instid0(VALU_DEP_2) | instskip(SKIP_1) | instid1(VALU_DEP_2)
	;; [unrolled: 4-line block ×3, first 2 shown]
	v_add_co_u32 v15, vcc_lo, v13, v28
	s_wait_alu 0xfffd
	v_add_co_ci_u32_e64 v16, null, 0, v14, vcc_lo
	s_branch .LBB1472_108
.LBB1472_83:
	s_wait_dscnt 0x0
	v_dual_mov_b32 v10, 0 :: v_dual_mov_b32 v11, v17
	v_mov_b32_dpp v12, v17 row_shr:1 row_mask:0xf bank_mask:0xf
	s_delay_alu instid0(VALU_DEP_2)
	v_mov_b32_dpp v9, v10 row_shr:1 row_mask:0xf bank_mask:0xf
	s_and_saveexec_b32 s3, s2
; %bb.84:
	s_delay_alu instid0(VALU_DEP_2) | instskip(SKIP_2) | instid1(VALU_DEP_2)
	v_add_co_u32 v11, vcc_lo, v17, v12
	s_wait_alu 0xfffd
	v_add_co_ci_u32_e64 v10, null, 0, v18, vcc_lo
	v_add_co_u32 v17, vcc_lo, 0, v11
	s_wait_alu 0xfffd
	s_delay_alu instid0(VALU_DEP_2) | instskip(NEXT) | instid1(VALU_DEP_1)
	v_add_co_ci_u32_e64 v18, null, v9, v10, vcc_lo
	v_mov_b32_e32 v10, v18
; %bb.85:
	s_wait_alu 0xfffe
	s_or_b32 exec_lo, exec_lo, s3
	v_mov_b32_dpp v9, v11 row_shr:2 row_mask:0xf bank_mask:0xf
	s_delay_alu instid0(VALU_DEP_2)
	v_mov_b32_dpp v12, v10 row_shr:2 row_mask:0xf bank_mask:0xf
	s_mov_b32 s2, exec_lo
	v_cmpx_lt_u32_e32 1, v32
; %bb.86:
	s_delay_alu instid0(VALU_DEP_3) | instskip(SKIP_2) | instid1(VALU_DEP_2)
	v_add_co_u32 v11, vcc_lo, v17, v9
	s_wait_alu 0xfffd
	v_add_co_ci_u32_e64 v10, null, 0, v18, vcc_lo
	v_add_co_u32 v9, vcc_lo, 0, v11
	s_wait_alu 0xfffd
	s_delay_alu instid0(VALU_DEP_2) | instskip(NEXT) | instid1(VALU_DEP_1)
	v_add_co_ci_u32_e64 v10, null, v12, v10, vcc_lo
	v_dual_mov_b32 v18, v10 :: v_dual_mov_b32 v17, v9
; %bb.87:
	s_wait_alu 0xfffe
	s_or_b32 exec_lo, exec_lo, s2
	v_mov_b32_dpp v9, v11 row_shr:4 row_mask:0xf bank_mask:0xf
	v_mov_b32_dpp v12, v10 row_shr:4 row_mask:0xf bank_mask:0xf
	s_mov_b32 s2, exec_lo
	v_cmpx_lt_u32_e32 3, v32
; %bb.88:
	s_delay_alu instid0(VALU_DEP_3) | instskip(SKIP_2) | instid1(VALU_DEP_2)
	v_add_co_u32 v11, vcc_lo, v17, v9
	s_wait_alu 0xfffd
	v_add_co_ci_u32_e64 v10, null, 0, v18, vcc_lo
	v_add_co_u32 v9, vcc_lo, 0, v11
	s_wait_alu 0xfffd
	s_delay_alu instid0(VALU_DEP_2) | instskip(NEXT) | instid1(VALU_DEP_1)
	v_add_co_ci_u32_e64 v10, null, v12, v10, vcc_lo
	v_dual_mov_b32 v18, v10 :: v_dual_mov_b32 v17, v9
; %bb.89:
	s_wait_alu 0xfffe
	s_or_b32 exec_lo, exec_lo, s2
	v_mov_b32_dpp v12, v11 row_shr:8 row_mask:0xf bank_mask:0xf
	v_mov_b32_dpp v9, v10 row_shr:8 row_mask:0xf bank_mask:0xf
	s_mov_b32 s2, exec_lo
	v_cmpx_lt_u32_e32 7, v32
; %bb.90:
	s_delay_alu instid0(VALU_DEP_3) | instskip(SKIP_2) | instid1(VALU_DEP_2)
	v_add_co_u32 v11, vcc_lo, v17, v12
	s_wait_alu 0xfffd
	v_add_co_ci_u32_e64 v10, null, 0, v18, vcc_lo
	v_add_co_u32 v17, vcc_lo, 0, v11
	s_wait_alu 0xfffd
	s_delay_alu instid0(VALU_DEP_2) | instskip(NEXT) | instid1(VALU_DEP_1)
	v_add_co_ci_u32_e64 v18, null, v9, v10, vcc_lo
	v_mov_b32_e32 v10, v18
; %bb.91:
	s_wait_alu 0xfffe
	s_or_b32 exec_lo, exec_lo, s2
	ds_swizzle_b32 v11, v11 offset:swizzle(BROADCAST,32,15)
	ds_swizzle_b32 v9, v10 offset:swizzle(BROADCAST,32,15)
	v_and_b32_e32 v10, 16, v31
	s_mov_b32 s2, exec_lo
	s_delay_alu instid0(VALU_DEP_1)
	v_cmpx_ne_u32_e32 0, v10
	s_cbranch_execz .LBB1472_93
; %bb.92:
	s_wait_dscnt 0x1
	v_add_co_u32 v10, vcc_lo, v17, v11
	s_wait_alu 0xfffd
	v_add_co_ci_u32_e64 v11, null, 0, v18, vcc_lo
	s_delay_alu instid0(VALU_DEP_2) | instskip(SKIP_2) | instid1(VALU_DEP_2)
	v_add_co_u32 v17, vcc_lo, v10, 0
	s_wait_dscnt 0x0
	s_wait_alu 0xfffd
	v_add_co_ci_u32_e64 v18, null, v11, v9, vcc_lo
.LBB1472_93:
	s_wait_alu 0xfffe
	s_or_b32 exec_lo, exec_lo, s2
	s_wait_dscnt 0x0
	v_or_b32_e32 v9, 31, v0
	s_mov_b32 s2, exec_lo
	s_delay_alu instid0(VALU_DEP_1)
	v_cmpx_eq_u32_e64 v0, v9
; %bb.94:
	v_lshlrev_b32_e32 v9, 3, v26
	ds_store_b64 v9, v[17:18]
; %bb.95:
	s_wait_alu 0xfffe
	s_or_b32 exec_lo, exec_lo, s2
	s_delay_alu instid0(SALU_CYCLE_1)
	s_mov_b32 s2, exec_lo
	s_wait_loadcnt_dscnt 0x0
	s_barrier_signal -1
	s_barrier_wait -1
	global_inv scope:SCOPE_SE
	v_cmpx_gt_u32_e32 8, v0
	s_cbranch_execz .LBB1472_103
; %bb.96:
	v_lshlrev_b32_e32 v11, 3, v0
	s_mov_b32 s3, exec_lo
	ds_load_b64 v[9:10], v11
	s_wait_dscnt 0x0
	v_dual_mov_b32 v13, v9 :: v_dual_and_b32 v12, 7, v31
	v_mov_b32_dpp v15, v9 row_shr:1 row_mask:0xf bank_mask:0xf
	v_mov_b32_dpp v14, v10 row_shr:1 row_mask:0xf bank_mask:0xf
	s_delay_alu instid0(VALU_DEP_3)
	v_cmpx_ne_u32_e32 0, v12
; %bb.97:
	s_delay_alu instid0(VALU_DEP_3) | instskip(SKIP_2) | instid1(VALU_DEP_2)
	v_add_co_u32 v13, vcc_lo, v9, v15
	s_wait_alu 0xfffd
	v_add_co_ci_u32_e64 v10, null, 0, v10, vcc_lo
	v_add_co_u32 v9, vcc_lo, 0, v13
	s_wait_alu 0xfffd
	s_delay_alu instid0(VALU_DEP_2)
	v_add_co_ci_u32_e64 v10, null, v14, v10, vcc_lo
; %bb.98:
	s_wait_alu 0xfffe
	s_or_b32 exec_lo, exec_lo, s3
	v_mov_b32_dpp v15, v13 row_shr:2 row_mask:0xf bank_mask:0xf
	s_delay_alu instid0(VALU_DEP_2)
	v_mov_b32_dpp v14, v10 row_shr:2 row_mask:0xf bank_mask:0xf
	s_mov_b32 s3, exec_lo
	v_cmpx_lt_u32_e32 1, v12
; %bb.99:
	s_delay_alu instid0(VALU_DEP_3) | instskip(SKIP_2) | instid1(VALU_DEP_2)
	v_add_co_u32 v13, vcc_lo, v9, v15
	s_wait_alu 0xfffd
	v_add_co_ci_u32_e64 v10, null, 0, v10, vcc_lo
	v_add_co_u32 v9, vcc_lo, 0, v13
	s_wait_alu 0xfffd
	s_delay_alu instid0(VALU_DEP_2)
	v_add_co_ci_u32_e64 v10, null, v14, v10, vcc_lo
; %bb.100:
	s_wait_alu 0xfffe
	s_or_b32 exec_lo, exec_lo, s3
	v_mov_b32_dpp v14, v13 row_shr:4 row_mask:0xf bank_mask:0xf
	s_delay_alu instid0(VALU_DEP_2)
	v_mov_b32_dpp v13, v10 row_shr:4 row_mask:0xf bank_mask:0xf
	s_mov_b32 s3, exec_lo
	v_cmpx_lt_u32_e32 3, v12
; %bb.101:
	s_delay_alu instid0(VALU_DEP_3) | instskip(SKIP_2) | instid1(VALU_DEP_2)
	v_add_co_u32 v9, vcc_lo, v9, v14
	s_wait_alu 0xfffd
	v_add_co_ci_u32_e64 v10, null, 0, v10, vcc_lo
	v_add_co_u32 v9, vcc_lo, v9, 0
	s_wait_alu 0xfffd
	s_delay_alu instid0(VALU_DEP_2)
	v_add_co_ci_u32_e64 v10, null, v10, v13, vcc_lo
; %bb.102:
	s_wait_alu 0xfffe
	s_or_b32 exec_lo, exec_lo, s3
	ds_store_b64 v11, v[9:10]
.LBB1472_103:
	s_wait_alu 0xfffe
	s_or_b32 exec_lo, exec_lo, s2
	v_mov_b32_e32 v13, 0
	v_mov_b32_e32 v14, 0
	s_mov_b32 s2, exec_lo
	s_wait_loadcnt_dscnt 0x0
	s_barrier_signal -1
	s_barrier_wait -1
	global_inv scope:SCOPE_SE
	v_cmpx_lt_u32_e32 31, v0
; %bb.104:
	v_lshl_add_u32 v9, v26, 3, -8
	ds_load_b64 v[13:14], v9
; %bb.105:
	s_wait_alu 0xfffe
	s_or_b32 exec_lo, exec_lo, s2
	v_sub_co_u32 v9, vcc_lo, v31, 1
	v_mov_b32_e32 v12, 0
	s_delay_alu instid0(VALU_DEP_2) | instskip(SKIP_1) | instid1(VALU_DEP_1)
	v_cmp_gt_i32_e64 s2, 0, v9
	s_wait_alu 0xf1ff
	v_cndmask_b32_e64 v9, v9, v31, s2
	s_wait_dscnt 0x0
	v_add_co_u32 v10, s2, v13, v17
	s_wait_alu 0xf1ff
	v_add_co_ci_u32_e64 v11, null, v14, v18, s2
	v_lshlrev_b32_e32 v9, 2, v9
	v_cmp_eq_u32_e64 s2, 0, v0
	ds_bpermute_b32 v15, v9, v10
	ds_bpermute_b32 v16, v9, v11
	ds_load_b64 v[9:10], v12 offset:56
	s_and_saveexec_b32 s3, s2
	s_cbranch_execz .LBB1472_107
; %bb.106:
	s_wait_kmcnt 0x0
	s_add_nc_u64 s[4:5], s[6:7], 0x200
	s_delay_alu instid0(SALU_CYCLE_1)
	v_dual_mov_b32 v11, 2 :: v_dual_mov_b32 v18, s5
	v_mov_b32_e32 v17, s4
	s_wait_dscnt 0x0
	;;#ASMSTART
	global_store_b128 v[17:18], v[9:12] off scope:SCOPE_DEV	
s_wait_storecnt 0x0
	;;#ASMEND
.LBB1472_107:
	s_wait_alu 0xfffe
	s_or_b32 exec_lo, exec_lo, s3
	s_wait_dscnt 0x1
	s_wait_alu 0xfffd
	v_dual_cndmask_b32 v11, v15, v13 :: v_dual_cndmask_b32 v12, v16, v14
	s_wait_loadcnt_dscnt 0x0
	s_barrier_signal -1
	s_barrier_wait -1
	s_delay_alu instid0(VALU_DEP_1)
	v_cndmask_b32_e64 v21, v11, 0, s2
	v_cndmask_b32_e64 v22, v12, 0, s2
	v_mov_b32_e32 v11, 0
	v_mov_b32_e32 v12, 0
	global_inv scope:SCOPE_SE
	v_add_co_u32 v19, vcc_lo, v21, v30
	s_wait_alu 0xfffd
	v_add_co_ci_u32_e64 v20, null, 0, v22, vcc_lo
	s_delay_alu instid0(VALU_DEP_2) | instskip(SKIP_1) | instid1(VALU_DEP_2)
	v_add_co_u32 v13, vcc_lo, v19, v29
	s_wait_alu 0xfffd
	v_add_co_ci_u32_e64 v14, null, 0, v20, vcc_lo
	s_delay_alu instid0(VALU_DEP_2) | instskip(SKIP_1) | instid1(VALU_DEP_2)
	v_add_co_u32 v15, vcc_lo, v13, v28
	s_wait_alu 0xfffd
	v_add_co_ci_u32_e64 v16, null, 0, v14, vcc_lo
.LBB1472_108:
	s_load_b64 s[2:3], s[0:1], 0x30
	v_and_b32_e32 v26, 1, v27
	s_wait_dscnt 0x0
	v_cmp_gt_u64_e32 vcc_lo, 0x101, v[9:10]
	v_lshrrev_b32_e32 v23, 16, v27
	v_lshrrev_b32_e32 v24, 8, v27
	s_mov_b32 s1, -1
	v_cmp_eq_u32_e64 s0, 1, v26
	s_cbranch_vccnz .LBB1472_112
; %bb.109:
	s_wait_alu 0xfffe
	s_and_b32 vcc_lo, exec_lo, s1
	s_wait_alu 0xfffe
	s_cbranch_vccnz .LBB1472_121
.LBB1472_110:
	v_cmp_eq_u32_e32 vcc_lo, 0, v0
	s_and_b32 s0, vcc_lo, s16
	s_wait_alu 0xfffe
	s_and_saveexec_b32 s1, s0
	s_cbranch_execnz .LBB1472_133
.LBB1472_111:
	s_endpgm
.LBB1472_112:
	v_add_co_u32 v17, vcc_lo, v11, v9
	s_wait_alu 0xfffd
	v_add_co_ci_u32_e64 v18, null, v12, v10, vcc_lo
	s_lshl_b64 s[4:5], s[10:11], 3
	s_wait_kmcnt 0x0
	s_wait_alu 0xfffe
	s_add_nc_u64 s[4:5], s[2:3], s[4:5]
	v_cmp_lt_u64_e32 vcc_lo, v[21:22], v[17:18]
	s_or_b32 s1, s17, vcc_lo
	s_wait_alu 0xfffe
	s_and_b32 s1, s1, s0
	s_wait_alu 0xfffe
	s_and_saveexec_b32 s0, s1
	s_cbranch_execz .LBB1472_114
; %bb.113:
	v_lshlrev_b64_e32 v[27:28], 3, v[21:22]
	s_delay_alu instid0(VALU_DEP_1) | instskip(SKIP_1) | instid1(VALU_DEP_2)
	v_add_co_u32 v27, vcc_lo, s4, v27
	s_wait_alu 0xfffd
	v_add_co_ci_u32_e64 v28, null, s5, v28, vcc_lo
	global_store_b64 v[27:28], v[5:6], off
.LBB1472_114:
	s_wait_alu 0xfffe
	s_or_b32 exec_lo, exec_lo, s0
	v_and_b32_e32 v22, 1, v24
	v_cmp_lt_u64_e32 vcc_lo, v[19:20], v[17:18]
	s_delay_alu instid0(VALU_DEP_2)
	v_cmp_eq_u32_e64 s0, 1, v22
	s_or_b32 s1, s17, vcc_lo
	s_wait_alu 0xfffe
	s_and_b32 s1, s1, s0
	s_wait_alu 0xfffe
	s_and_saveexec_b32 s0, s1
	s_cbranch_execz .LBB1472_116
; %bb.115:
	v_lshlrev_b64_e32 v[27:28], 3, v[19:20]
	s_delay_alu instid0(VALU_DEP_1) | instskip(SKIP_1) | instid1(VALU_DEP_2)
	v_add_co_u32 v27, vcc_lo, s4, v27
	s_wait_alu 0xfffd
	v_add_co_ci_u32_e64 v28, null, s5, v28, vcc_lo
	global_store_b64 v[27:28], v[7:8], off
.LBB1472_116:
	s_wait_alu 0xfffe
	s_or_b32 exec_lo, exec_lo, s0
	v_and_b32_e32 v20, 1, v23
	v_cmp_lt_u64_e32 vcc_lo, v[13:14], v[17:18]
	s_delay_alu instid0(VALU_DEP_2)
	v_cmp_eq_u32_e64 s0, 1, v20
	;; [unrolled: 20-line block ×3, first 2 shown]
	s_or_b32 s1, s17, vcc_lo
	s_wait_alu 0xfffe
	s_and_b32 s1, s1, s0
	s_wait_alu 0xfffe
	s_and_saveexec_b32 s0, s1
	s_cbranch_execz .LBB1472_120
; %bb.119:
	v_lshlrev_b64_e32 v[16:17], 3, v[15:16]
	s_delay_alu instid0(VALU_DEP_1) | instskip(SKIP_1) | instid1(VALU_DEP_2)
	v_add_co_u32 v16, vcc_lo, s4, v16
	s_wait_alu 0xfffd
	v_add_co_ci_u32_e64 v17, null, s5, v17, vcc_lo
	global_store_b64 v[16:17], v[3:4], off
.LBB1472_120:
	s_wait_alu 0xfffe
	s_or_b32 exec_lo, exec_lo, s0
	s_branch .LBB1472_110
.LBB1472_121:
	s_mov_b32 s0, exec_lo
	v_cmpx_eq_u32_e32 1, v26
; %bb.122:
	v_sub_nc_u32_e32 v14, v21, v11
	s_delay_alu instid0(VALU_DEP_1)
	v_lshlrev_b32_e32 v14, 3, v14
	ds_store_b64 v14, v[5:6]
; %bb.123:
	s_wait_alu 0xfffe
	s_or_b32 exec_lo, exec_lo, s0
	v_and_b32_e32 v5, 1, v24
	s_mov_b32 s0, exec_lo
	s_delay_alu instid0(VALU_DEP_1)
	v_cmpx_eq_u32_e32 1, v5
; %bb.124:
	v_sub_nc_u32_e32 v5, v19, v11
	s_delay_alu instid0(VALU_DEP_1)
	v_lshlrev_b32_e32 v5, 3, v5
	ds_store_b64 v5, v[7:8]
; %bb.125:
	s_wait_alu 0xfffe
	s_or_b32 exec_lo, exec_lo, s0
	v_and_b32_e32 v5, 1, v23
	s_mov_b32 s0, exec_lo
	s_delay_alu instid0(VALU_DEP_1)
	;; [unrolled: 12-line block ×3, first 2 shown]
	v_cmpx_eq_u32_e32 1, v1
; %bb.128:
	v_sub_nc_u32_e32 v1, v15, v11
	s_delay_alu instid0(VALU_DEP_1)
	v_lshlrev_b32_e32 v1, 3, v1
	ds_store_b64 v1, v[3:4]
; %bb.129:
	s_wait_alu 0xfffe
	s_or_b32 exec_lo, exec_lo, s0
	v_mov_b32_e32 v3, 0
	s_mov_b32 s1, exec_lo
	s_wait_storecnt 0x0
	s_wait_loadcnt_dscnt 0x0
	s_barrier_signal -1
	s_barrier_wait -1
	v_mov_b32_e32 v1, v3
	global_inv scope:SCOPE_SE
	v_cmpx_gt_u64_e64 v[9:10], v[0:1]
	s_cbranch_execz .LBB1472_132
; %bb.130:
	v_lshlrev_b64_e32 v[4:5], 3, v[11:12]
	s_lshl_b64 s[4:5], s[10:11], 3
	v_or_b32_e32 v2, 0x100, v0
	s_wait_kmcnt 0x0
	s_wait_alu 0xfffe
	s_add_nc_u64 s[2:3], s[2:3], s[4:5]
	s_wait_alu 0xfffe
	v_add_co_u32 v6, vcc_lo, s2, v4
	s_wait_alu 0xfffd
	v_add_co_ci_u32_e64 v7, null, s3, v5, vcc_lo
	v_dual_mov_b32 v5, v1 :: v_dual_mov_b32 v4, v0
	s_mov_b32 s2, 0
.LBB1472_131:                           ; =>This Inner Loop Header: Depth=1
	s_delay_alu instid0(VALU_DEP_1) | instskip(NEXT) | instid1(VALU_DEP_2)
	v_lshlrev_b32_e32 v1, 3, v4
	v_lshlrev_b64_e32 v[15:16], 3, v[4:5]
	v_dual_mov_b32 v5, v3 :: v_dual_mov_b32 v4, v2
	v_cmp_le_u64_e32 vcc_lo, v[9:10], v[2:3]
	ds_load_b64 v[13:14], v1
	v_add_nc_u32_e32 v2, 0x100, v2
	v_add_co_u32 v15, s0, v6, v15
	s_wait_alu 0xf1ff
	v_add_co_ci_u32_e64 v16, null, v7, v16, s0
	s_wait_alu 0xfffe
	s_or_b32 s2, vcc_lo, s2
	s_wait_dscnt 0x0
	global_store_b64 v[15:16], v[13:14], off
	s_wait_alu 0xfffe
	s_and_not1_b32 exec_lo, exec_lo, s2
	s_cbranch_execnz .LBB1472_131
.LBB1472_132:
	s_wait_alu 0xfffe
	s_or_b32 exec_lo, exec_lo, s1
	v_cmp_eq_u32_e32 vcc_lo, 0, v0
	s_and_b32 s0, vcc_lo, s16
	s_wait_alu 0xfffe
	s_and_saveexec_b32 s1, s0
	s_cbranch_execz .LBB1472_111
.LBB1472_133:
	v_add_co_u32 v0, vcc_lo, v11, v9
	s_wait_alu 0xfffd
	v_add_co_ci_u32_e64 v1, null, v12, v10, vcc_lo
	v_mov_b32_e32 v2, 0
	s_delay_alu instid0(VALU_DEP_3) | instskip(SKIP_1) | instid1(VALU_DEP_3)
	v_add_co_u32 v0, vcc_lo, v0, s10
	s_wait_alu 0xfffd
	v_add_co_ci_u32_e64 v1, null, s11, v1, vcc_lo
	global_store_b64 v2, v[0:1], s[8:9]
	s_endpgm
.LBB1472_134:
	v_lshlrev_b32_e32 v3, 3, v0
	s_delay_alu instid0(VALU_DEP_1)
	v_add_co_u32 v3, s3, s14, v3
	s_wait_alu 0xf1ff
	v_add_co_ci_u32_e64 v4, null, s15, 0, s3
	flat_load_b64 v[3:4], v[3:4] offset:2048
	s_wait_alu 0xfffe
	s_or_b32 exec_lo, exec_lo, s2
	s_delay_alu instid0(SALU_CYCLE_1)
	s_mov_b32 s2, exec_lo
	v_cmpx_gt_u32_e64 s18, v9
	s_cbranch_execz .LBB1472_7
.LBB1472_135:
	v_lshlrev_b32_e32 v5, 3, v0
	s_delay_alu instid0(VALU_DEP_1)
	v_add_co_u32 v5, s3, s14, v5
	s_wait_alu 0xf1ff
	v_add_co_ci_u32_e64 v6, null, s15, 0, s3
	flat_load_b64 v[5:6], v[5:6] offset:4096
	s_wait_alu 0xfffe
	s_or_b32 exec_lo, exec_lo, s2
	s_delay_alu instid0(SALU_CYCLE_1)
	s_mov_b32 s2, exec_lo
	v_cmpx_gt_u32_e64 s18, v10
	s_cbranch_execnz .LBB1472_8
	s_branch .LBB1472_9
.LBB1472_136:
	v_lshlrev_b32_e32 v16, 3, v0
	global_load_b64 v[16:17], v16, s[2:3] offset:2048
	s_wait_loadcnt 0x0
	v_cmp_eq_u64_e32 vcc_lo, 0, v[16:17]
	s_wait_alu 0xfffd
	v_cndmask_b32_e64 v16, 0, 1, vcc_lo
	s_delay_alu instid0(VALU_DEP_1) | instskip(NEXT) | instid1(VALU_DEP_1)
	v_lshlrev_b16 v16, 8, v16
	v_or_b32_e32 v14, v14, v16
	s_delay_alu instid0(VALU_DEP_1) | instskip(SKIP_1) | instid1(SALU_CYCLE_1)
	v_and_b32_e32 v14, 0xffff, v14
	s_or_b32 exec_lo, exec_lo, s4
	s_mov_b32 s4, exec_lo
	v_cmpx_gt_u32_e64 s18, v9
	s_cbranch_execz .LBB1472_17
.LBB1472_137:
	v_lshlrev_b32_e32 v16, 3, v0
	global_load_b64 v[16:17], v16, s[2:3] offset:4096
	s_wait_loadcnt 0x0
	v_cmp_eq_u64_e32 vcc_lo, 0, v[16:17]
	s_wait_alu 0xfffd
	v_cndmask_b32_e64 v16, 0, 1, vcc_lo
	s_delay_alu instid0(VALU_DEP_1) | instskip(SKIP_1) | instid1(SALU_CYCLE_1)
	v_lshl_or_b32 v14, v16, 16, v14
	s_or_b32 exec_lo, exec_lo, s4
	s_mov_b32 s4, exec_lo
	v_cmpx_gt_u32_e64 s18, v10
	s_cbranch_execnz .LBB1472_18
	s_branch .LBB1472_19
	.section	.rodata,"a",@progbits
	.p2align	6, 0x0
	.amdhsa_kernel _ZN7rocprim17ROCPRIM_400000_NS6detail17trampoline_kernelINS0_14default_configENS1_25partition_config_selectorILNS1_17partition_subalgoE5ExNS0_10empty_typeEbEEZZNS1_14partition_implILS5_5ELb0ES3_mN6thrust23THRUST_200600_302600_NS6detail15normal_iteratorINSA_10device_ptrIxEEEEPS6_NSA_18transform_iteratorINSB_9not_fun_tI7is_trueIxEEESF_NSA_11use_defaultESM_EENS0_5tupleIJSF_S6_EEENSO_IJSG_SG_EEES6_PlJS6_EEE10hipError_tPvRmT3_T4_T5_T6_T7_T9_mT8_P12ihipStream_tbDpT10_ENKUlT_T0_E_clISt17integral_constantIbLb0EES1B_EEDaS16_S17_EUlS16_E_NS1_11comp_targetILNS1_3genE10ELNS1_11target_archE1200ELNS1_3gpuE4ELNS1_3repE0EEENS1_30default_config_static_selectorELNS0_4arch9wavefront6targetE0EEEvT1_
		.amdhsa_group_segment_fixed_size 8464
		.amdhsa_private_segment_fixed_size 0
		.amdhsa_kernarg_size 120
		.amdhsa_user_sgpr_count 2
		.amdhsa_user_sgpr_dispatch_ptr 0
		.amdhsa_user_sgpr_queue_ptr 0
		.amdhsa_user_sgpr_kernarg_segment_ptr 1
		.amdhsa_user_sgpr_dispatch_id 0
		.amdhsa_user_sgpr_private_segment_size 0
		.amdhsa_wavefront_size32 1
		.amdhsa_uses_dynamic_stack 0
		.amdhsa_enable_private_segment 0
		.amdhsa_system_sgpr_workgroup_id_x 1
		.amdhsa_system_sgpr_workgroup_id_y 0
		.amdhsa_system_sgpr_workgroup_id_z 0
		.amdhsa_system_sgpr_workgroup_info 0
		.amdhsa_system_vgpr_workitem_id 0
		.amdhsa_next_free_vgpr 46
		.amdhsa_next_free_sgpr 22
		.amdhsa_reserve_vcc 1
		.amdhsa_float_round_mode_32 0
		.amdhsa_float_round_mode_16_64 0
		.amdhsa_float_denorm_mode_32 3
		.amdhsa_float_denorm_mode_16_64 3
		.amdhsa_fp16_overflow 0
		.amdhsa_workgroup_processor_mode 1
		.amdhsa_memory_ordered 1
		.amdhsa_forward_progress 1
		.amdhsa_inst_pref_size 55
		.amdhsa_round_robin_scheduling 0
		.amdhsa_exception_fp_ieee_invalid_op 0
		.amdhsa_exception_fp_denorm_src 0
		.amdhsa_exception_fp_ieee_div_zero 0
		.amdhsa_exception_fp_ieee_overflow 0
		.amdhsa_exception_fp_ieee_underflow 0
		.amdhsa_exception_fp_ieee_inexact 0
		.amdhsa_exception_int_div_zero 0
	.end_amdhsa_kernel
	.section	.text._ZN7rocprim17ROCPRIM_400000_NS6detail17trampoline_kernelINS0_14default_configENS1_25partition_config_selectorILNS1_17partition_subalgoE5ExNS0_10empty_typeEbEEZZNS1_14partition_implILS5_5ELb0ES3_mN6thrust23THRUST_200600_302600_NS6detail15normal_iteratorINSA_10device_ptrIxEEEEPS6_NSA_18transform_iteratorINSB_9not_fun_tI7is_trueIxEEESF_NSA_11use_defaultESM_EENS0_5tupleIJSF_S6_EEENSO_IJSG_SG_EEES6_PlJS6_EEE10hipError_tPvRmT3_T4_T5_T6_T7_T9_mT8_P12ihipStream_tbDpT10_ENKUlT_T0_E_clISt17integral_constantIbLb0EES1B_EEDaS16_S17_EUlS16_E_NS1_11comp_targetILNS1_3genE10ELNS1_11target_archE1200ELNS1_3gpuE4ELNS1_3repE0EEENS1_30default_config_static_selectorELNS0_4arch9wavefront6targetE0EEEvT1_,"axG",@progbits,_ZN7rocprim17ROCPRIM_400000_NS6detail17trampoline_kernelINS0_14default_configENS1_25partition_config_selectorILNS1_17partition_subalgoE5ExNS0_10empty_typeEbEEZZNS1_14partition_implILS5_5ELb0ES3_mN6thrust23THRUST_200600_302600_NS6detail15normal_iteratorINSA_10device_ptrIxEEEEPS6_NSA_18transform_iteratorINSB_9not_fun_tI7is_trueIxEEESF_NSA_11use_defaultESM_EENS0_5tupleIJSF_S6_EEENSO_IJSG_SG_EEES6_PlJS6_EEE10hipError_tPvRmT3_T4_T5_T6_T7_T9_mT8_P12ihipStream_tbDpT10_ENKUlT_T0_E_clISt17integral_constantIbLb0EES1B_EEDaS16_S17_EUlS16_E_NS1_11comp_targetILNS1_3genE10ELNS1_11target_archE1200ELNS1_3gpuE4ELNS1_3repE0EEENS1_30default_config_static_selectorELNS0_4arch9wavefront6targetE0EEEvT1_,comdat
.Lfunc_end1472:
	.size	_ZN7rocprim17ROCPRIM_400000_NS6detail17trampoline_kernelINS0_14default_configENS1_25partition_config_selectorILNS1_17partition_subalgoE5ExNS0_10empty_typeEbEEZZNS1_14partition_implILS5_5ELb0ES3_mN6thrust23THRUST_200600_302600_NS6detail15normal_iteratorINSA_10device_ptrIxEEEEPS6_NSA_18transform_iteratorINSB_9not_fun_tI7is_trueIxEEESF_NSA_11use_defaultESM_EENS0_5tupleIJSF_S6_EEENSO_IJSG_SG_EEES6_PlJS6_EEE10hipError_tPvRmT3_T4_T5_T6_T7_T9_mT8_P12ihipStream_tbDpT10_ENKUlT_T0_E_clISt17integral_constantIbLb0EES1B_EEDaS16_S17_EUlS16_E_NS1_11comp_targetILNS1_3genE10ELNS1_11target_archE1200ELNS1_3gpuE4ELNS1_3repE0EEENS1_30default_config_static_selectorELNS0_4arch9wavefront6targetE0EEEvT1_, .Lfunc_end1472-_ZN7rocprim17ROCPRIM_400000_NS6detail17trampoline_kernelINS0_14default_configENS1_25partition_config_selectorILNS1_17partition_subalgoE5ExNS0_10empty_typeEbEEZZNS1_14partition_implILS5_5ELb0ES3_mN6thrust23THRUST_200600_302600_NS6detail15normal_iteratorINSA_10device_ptrIxEEEEPS6_NSA_18transform_iteratorINSB_9not_fun_tI7is_trueIxEEESF_NSA_11use_defaultESM_EENS0_5tupleIJSF_S6_EEENSO_IJSG_SG_EEES6_PlJS6_EEE10hipError_tPvRmT3_T4_T5_T6_T7_T9_mT8_P12ihipStream_tbDpT10_ENKUlT_T0_E_clISt17integral_constantIbLb0EES1B_EEDaS16_S17_EUlS16_E_NS1_11comp_targetILNS1_3genE10ELNS1_11target_archE1200ELNS1_3gpuE4ELNS1_3repE0EEENS1_30default_config_static_selectorELNS0_4arch9wavefront6targetE0EEEvT1_
                                        ; -- End function
	.set _ZN7rocprim17ROCPRIM_400000_NS6detail17trampoline_kernelINS0_14default_configENS1_25partition_config_selectorILNS1_17partition_subalgoE5ExNS0_10empty_typeEbEEZZNS1_14partition_implILS5_5ELb0ES3_mN6thrust23THRUST_200600_302600_NS6detail15normal_iteratorINSA_10device_ptrIxEEEEPS6_NSA_18transform_iteratorINSB_9not_fun_tI7is_trueIxEEESF_NSA_11use_defaultESM_EENS0_5tupleIJSF_S6_EEENSO_IJSG_SG_EEES6_PlJS6_EEE10hipError_tPvRmT3_T4_T5_T6_T7_T9_mT8_P12ihipStream_tbDpT10_ENKUlT_T0_E_clISt17integral_constantIbLb0EES1B_EEDaS16_S17_EUlS16_E_NS1_11comp_targetILNS1_3genE10ELNS1_11target_archE1200ELNS1_3gpuE4ELNS1_3repE0EEENS1_30default_config_static_selectorELNS0_4arch9wavefront6targetE0EEEvT1_.num_vgpr, 46
	.set _ZN7rocprim17ROCPRIM_400000_NS6detail17trampoline_kernelINS0_14default_configENS1_25partition_config_selectorILNS1_17partition_subalgoE5ExNS0_10empty_typeEbEEZZNS1_14partition_implILS5_5ELb0ES3_mN6thrust23THRUST_200600_302600_NS6detail15normal_iteratorINSA_10device_ptrIxEEEEPS6_NSA_18transform_iteratorINSB_9not_fun_tI7is_trueIxEEESF_NSA_11use_defaultESM_EENS0_5tupleIJSF_S6_EEENSO_IJSG_SG_EEES6_PlJS6_EEE10hipError_tPvRmT3_T4_T5_T6_T7_T9_mT8_P12ihipStream_tbDpT10_ENKUlT_T0_E_clISt17integral_constantIbLb0EES1B_EEDaS16_S17_EUlS16_E_NS1_11comp_targetILNS1_3genE10ELNS1_11target_archE1200ELNS1_3gpuE4ELNS1_3repE0EEENS1_30default_config_static_selectorELNS0_4arch9wavefront6targetE0EEEvT1_.num_agpr, 0
	.set _ZN7rocprim17ROCPRIM_400000_NS6detail17trampoline_kernelINS0_14default_configENS1_25partition_config_selectorILNS1_17partition_subalgoE5ExNS0_10empty_typeEbEEZZNS1_14partition_implILS5_5ELb0ES3_mN6thrust23THRUST_200600_302600_NS6detail15normal_iteratorINSA_10device_ptrIxEEEEPS6_NSA_18transform_iteratorINSB_9not_fun_tI7is_trueIxEEESF_NSA_11use_defaultESM_EENS0_5tupleIJSF_S6_EEENSO_IJSG_SG_EEES6_PlJS6_EEE10hipError_tPvRmT3_T4_T5_T6_T7_T9_mT8_P12ihipStream_tbDpT10_ENKUlT_T0_E_clISt17integral_constantIbLb0EES1B_EEDaS16_S17_EUlS16_E_NS1_11comp_targetILNS1_3genE10ELNS1_11target_archE1200ELNS1_3gpuE4ELNS1_3repE0EEENS1_30default_config_static_selectorELNS0_4arch9wavefront6targetE0EEEvT1_.numbered_sgpr, 22
	.set _ZN7rocprim17ROCPRIM_400000_NS6detail17trampoline_kernelINS0_14default_configENS1_25partition_config_selectorILNS1_17partition_subalgoE5ExNS0_10empty_typeEbEEZZNS1_14partition_implILS5_5ELb0ES3_mN6thrust23THRUST_200600_302600_NS6detail15normal_iteratorINSA_10device_ptrIxEEEEPS6_NSA_18transform_iteratorINSB_9not_fun_tI7is_trueIxEEESF_NSA_11use_defaultESM_EENS0_5tupleIJSF_S6_EEENSO_IJSG_SG_EEES6_PlJS6_EEE10hipError_tPvRmT3_T4_T5_T6_T7_T9_mT8_P12ihipStream_tbDpT10_ENKUlT_T0_E_clISt17integral_constantIbLb0EES1B_EEDaS16_S17_EUlS16_E_NS1_11comp_targetILNS1_3genE10ELNS1_11target_archE1200ELNS1_3gpuE4ELNS1_3repE0EEENS1_30default_config_static_selectorELNS0_4arch9wavefront6targetE0EEEvT1_.num_named_barrier, 0
	.set _ZN7rocprim17ROCPRIM_400000_NS6detail17trampoline_kernelINS0_14default_configENS1_25partition_config_selectorILNS1_17partition_subalgoE5ExNS0_10empty_typeEbEEZZNS1_14partition_implILS5_5ELb0ES3_mN6thrust23THRUST_200600_302600_NS6detail15normal_iteratorINSA_10device_ptrIxEEEEPS6_NSA_18transform_iteratorINSB_9not_fun_tI7is_trueIxEEESF_NSA_11use_defaultESM_EENS0_5tupleIJSF_S6_EEENSO_IJSG_SG_EEES6_PlJS6_EEE10hipError_tPvRmT3_T4_T5_T6_T7_T9_mT8_P12ihipStream_tbDpT10_ENKUlT_T0_E_clISt17integral_constantIbLb0EES1B_EEDaS16_S17_EUlS16_E_NS1_11comp_targetILNS1_3genE10ELNS1_11target_archE1200ELNS1_3gpuE4ELNS1_3repE0EEENS1_30default_config_static_selectorELNS0_4arch9wavefront6targetE0EEEvT1_.private_seg_size, 0
	.set _ZN7rocprim17ROCPRIM_400000_NS6detail17trampoline_kernelINS0_14default_configENS1_25partition_config_selectorILNS1_17partition_subalgoE5ExNS0_10empty_typeEbEEZZNS1_14partition_implILS5_5ELb0ES3_mN6thrust23THRUST_200600_302600_NS6detail15normal_iteratorINSA_10device_ptrIxEEEEPS6_NSA_18transform_iteratorINSB_9not_fun_tI7is_trueIxEEESF_NSA_11use_defaultESM_EENS0_5tupleIJSF_S6_EEENSO_IJSG_SG_EEES6_PlJS6_EEE10hipError_tPvRmT3_T4_T5_T6_T7_T9_mT8_P12ihipStream_tbDpT10_ENKUlT_T0_E_clISt17integral_constantIbLb0EES1B_EEDaS16_S17_EUlS16_E_NS1_11comp_targetILNS1_3genE10ELNS1_11target_archE1200ELNS1_3gpuE4ELNS1_3repE0EEENS1_30default_config_static_selectorELNS0_4arch9wavefront6targetE0EEEvT1_.uses_vcc, 1
	.set _ZN7rocprim17ROCPRIM_400000_NS6detail17trampoline_kernelINS0_14default_configENS1_25partition_config_selectorILNS1_17partition_subalgoE5ExNS0_10empty_typeEbEEZZNS1_14partition_implILS5_5ELb0ES3_mN6thrust23THRUST_200600_302600_NS6detail15normal_iteratorINSA_10device_ptrIxEEEEPS6_NSA_18transform_iteratorINSB_9not_fun_tI7is_trueIxEEESF_NSA_11use_defaultESM_EENS0_5tupleIJSF_S6_EEENSO_IJSG_SG_EEES6_PlJS6_EEE10hipError_tPvRmT3_T4_T5_T6_T7_T9_mT8_P12ihipStream_tbDpT10_ENKUlT_T0_E_clISt17integral_constantIbLb0EES1B_EEDaS16_S17_EUlS16_E_NS1_11comp_targetILNS1_3genE10ELNS1_11target_archE1200ELNS1_3gpuE4ELNS1_3repE0EEENS1_30default_config_static_selectorELNS0_4arch9wavefront6targetE0EEEvT1_.uses_flat_scratch, 1
	.set _ZN7rocprim17ROCPRIM_400000_NS6detail17trampoline_kernelINS0_14default_configENS1_25partition_config_selectorILNS1_17partition_subalgoE5ExNS0_10empty_typeEbEEZZNS1_14partition_implILS5_5ELb0ES3_mN6thrust23THRUST_200600_302600_NS6detail15normal_iteratorINSA_10device_ptrIxEEEEPS6_NSA_18transform_iteratorINSB_9not_fun_tI7is_trueIxEEESF_NSA_11use_defaultESM_EENS0_5tupleIJSF_S6_EEENSO_IJSG_SG_EEES6_PlJS6_EEE10hipError_tPvRmT3_T4_T5_T6_T7_T9_mT8_P12ihipStream_tbDpT10_ENKUlT_T0_E_clISt17integral_constantIbLb0EES1B_EEDaS16_S17_EUlS16_E_NS1_11comp_targetILNS1_3genE10ELNS1_11target_archE1200ELNS1_3gpuE4ELNS1_3repE0EEENS1_30default_config_static_selectorELNS0_4arch9wavefront6targetE0EEEvT1_.has_dyn_sized_stack, 0
	.set _ZN7rocprim17ROCPRIM_400000_NS6detail17trampoline_kernelINS0_14default_configENS1_25partition_config_selectorILNS1_17partition_subalgoE5ExNS0_10empty_typeEbEEZZNS1_14partition_implILS5_5ELb0ES3_mN6thrust23THRUST_200600_302600_NS6detail15normal_iteratorINSA_10device_ptrIxEEEEPS6_NSA_18transform_iteratorINSB_9not_fun_tI7is_trueIxEEESF_NSA_11use_defaultESM_EENS0_5tupleIJSF_S6_EEENSO_IJSG_SG_EEES6_PlJS6_EEE10hipError_tPvRmT3_T4_T5_T6_T7_T9_mT8_P12ihipStream_tbDpT10_ENKUlT_T0_E_clISt17integral_constantIbLb0EES1B_EEDaS16_S17_EUlS16_E_NS1_11comp_targetILNS1_3genE10ELNS1_11target_archE1200ELNS1_3gpuE4ELNS1_3repE0EEENS1_30default_config_static_selectorELNS0_4arch9wavefront6targetE0EEEvT1_.has_recursion, 0
	.set _ZN7rocprim17ROCPRIM_400000_NS6detail17trampoline_kernelINS0_14default_configENS1_25partition_config_selectorILNS1_17partition_subalgoE5ExNS0_10empty_typeEbEEZZNS1_14partition_implILS5_5ELb0ES3_mN6thrust23THRUST_200600_302600_NS6detail15normal_iteratorINSA_10device_ptrIxEEEEPS6_NSA_18transform_iteratorINSB_9not_fun_tI7is_trueIxEEESF_NSA_11use_defaultESM_EENS0_5tupleIJSF_S6_EEENSO_IJSG_SG_EEES6_PlJS6_EEE10hipError_tPvRmT3_T4_T5_T6_T7_T9_mT8_P12ihipStream_tbDpT10_ENKUlT_T0_E_clISt17integral_constantIbLb0EES1B_EEDaS16_S17_EUlS16_E_NS1_11comp_targetILNS1_3genE10ELNS1_11target_archE1200ELNS1_3gpuE4ELNS1_3repE0EEENS1_30default_config_static_selectorELNS0_4arch9wavefront6targetE0EEEvT1_.has_indirect_call, 0
	.section	.AMDGPU.csdata,"",@progbits
; Kernel info:
; codeLenInByte = 6960
; TotalNumSgprs: 24
; NumVgprs: 46
; ScratchSize: 0
; MemoryBound: 0
; FloatMode: 240
; IeeeMode: 1
; LDSByteSize: 8464 bytes/workgroup (compile time only)
; SGPRBlocks: 0
; VGPRBlocks: 5
; NumSGPRsForWavesPerEU: 24
; NumVGPRsForWavesPerEU: 46
; Occupancy: 16
; WaveLimiterHint : 1
; COMPUTE_PGM_RSRC2:SCRATCH_EN: 0
; COMPUTE_PGM_RSRC2:USER_SGPR: 2
; COMPUTE_PGM_RSRC2:TRAP_HANDLER: 0
; COMPUTE_PGM_RSRC2:TGID_X_EN: 1
; COMPUTE_PGM_RSRC2:TGID_Y_EN: 0
; COMPUTE_PGM_RSRC2:TGID_Z_EN: 0
; COMPUTE_PGM_RSRC2:TIDIG_COMP_CNT: 0
	.section	.text._ZN7rocprim17ROCPRIM_400000_NS6detail17trampoline_kernelINS0_14default_configENS1_25partition_config_selectorILNS1_17partition_subalgoE5ExNS0_10empty_typeEbEEZZNS1_14partition_implILS5_5ELb0ES3_mN6thrust23THRUST_200600_302600_NS6detail15normal_iteratorINSA_10device_ptrIxEEEEPS6_NSA_18transform_iteratorINSB_9not_fun_tI7is_trueIxEEESF_NSA_11use_defaultESM_EENS0_5tupleIJSF_S6_EEENSO_IJSG_SG_EEES6_PlJS6_EEE10hipError_tPvRmT3_T4_T5_T6_T7_T9_mT8_P12ihipStream_tbDpT10_ENKUlT_T0_E_clISt17integral_constantIbLb0EES1B_EEDaS16_S17_EUlS16_E_NS1_11comp_targetILNS1_3genE9ELNS1_11target_archE1100ELNS1_3gpuE3ELNS1_3repE0EEENS1_30default_config_static_selectorELNS0_4arch9wavefront6targetE0EEEvT1_,"axG",@progbits,_ZN7rocprim17ROCPRIM_400000_NS6detail17trampoline_kernelINS0_14default_configENS1_25partition_config_selectorILNS1_17partition_subalgoE5ExNS0_10empty_typeEbEEZZNS1_14partition_implILS5_5ELb0ES3_mN6thrust23THRUST_200600_302600_NS6detail15normal_iteratorINSA_10device_ptrIxEEEEPS6_NSA_18transform_iteratorINSB_9not_fun_tI7is_trueIxEEESF_NSA_11use_defaultESM_EENS0_5tupleIJSF_S6_EEENSO_IJSG_SG_EEES6_PlJS6_EEE10hipError_tPvRmT3_T4_T5_T6_T7_T9_mT8_P12ihipStream_tbDpT10_ENKUlT_T0_E_clISt17integral_constantIbLb0EES1B_EEDaS16_S17_EUlS16_E_NS1_11comp_targetILNS1_3genE9ELNS1_11target_archE1100ELNS1_3gpuE3ELNS1_3repE0EEENS1_30default_config_static_selectorELNS0_4arch9wavefront6targetE0EEEvT1_,comdat
	.protected	_ZN7rocprim17ROCPRIM_400000_NS6detail17trampoline_kernelINS0_14default_configENS1_25partition_config_selectorILNS1_17partition_subalgoE5ExNS0_10empty_typeEbEEZZNS1_14partition_implILS5_5ELb0ES3_mN6thrust23THRUST_200600_302600_NS6detail15normal_iteratorINSA_10device_ptrIxEEEEPS6_NSA_18transform_iteratorINSB_9not_fun_tI7is_trueIxEEESF_NSA_11use_defaultESM_EENS0_5tupleIJSF_S6_EEENSO_IJSG_SG_EEES6_PlJS6_EEE10hipError_tPvRmT3_T4_T5_T6_T7_T9_mT8_P12ihipStream_tbDpT10_ENKUlT_T0_E_clISt17integral_constantIbLb0EES1B_EEDaS16_S17_EUlS16_E_NS1_11comp_targetILNS1_3genE9ELNS1_11target_archE1100ELNS1_3gpuE3ELNS1_3repE0EEENS1_30default_config_static_selectorELNS0_4arch9wavefront6targetE0EEEvT1_ ; -- Begin function _ZN7rocprim17ROCPRIM_400000_NS6detail17trampoline_kernelINS0_14default_configENS1_25partition_config_selectorILNS1_17partition_subalgoE5ExNS0_10empty_typeEbEEZZNS1_14partition_implILS5_5ELb0ES3_mN6thrust23THRUST_200600_302600_NS6detail15normal_iteratorINSA_10device_ptrIxEEEEPS6_NSA_18transform_iteratorINSB_9not_fun_tI7is_trueIxEEESF_NSA_11use_defaultESM_EENS0_5tupleIJSF_S6_EEENSO_IJSG_SG_EEES6_PlJS6_EEE10hipError_tPvRmT3_T4_T5_T6_T7_T9_mT8_P12ihipStream_tbDpT10_ENKUlT_T0_E_clISt17integral_constantIbLb0EES1B_EEDaS16_S17_EUlS16_E_NS1_11comp_targetILNS1_3genE9ELNS1_11target_archE1100ELNS1_3gpuE3ELNS1_3repE0EEENS1_30default_config_static_selectorELNS0_4arch9wavefront6targetE0EEEvT1_
	.globl	_ZN7rocprim17ROCPRIM_400000_NS6detail17trampoline_kernelINS0_14default_configENS1_25partition_config_selectorILNS1_17partition_subalgoE5ExNS0_10empty_typeEbEEZZNS1_14partition_implILS5_5ELb0ES3_mN6thrust23THRUST_200600_302600_NS6detail15normal_iteratorINSA_10device_ptrIxEEEEPS6_NSA_18transform_iteratorINSB_9not_fun_tI7is_trueIxEEESF_NSA_11use_defaultESM_EENS0_5tupleIJSF_S6_EEENSO_IJSG_SG_EEES6_PlJS6_EEE10hipError_tPvRmT3_T4_T5_T6_T7_T9_mT8_P12ihipStream_tbDpT10_ENKUlT_T0_E_clISt17integral_constantIbLb0EES1B_EEDaS16_S17_EUlS16_E_NS1_11comp_targetILNS1_3genE9ELNS1_11target_archE1100ELNS1_3gpuE3ELNS1_3repE0EEENS1_30default_config_static_selectorELNS0_4arch9wavefront6targetE0EEEvT1_
	.p2align	8
	.type	_ZN7rocprim17ROCPRIM_400000_NS6detail17trampoline_kernelINS0_14default_configENS1_25partition_config_selectorILNS1_17partition_subalgoE5ExNS0_10empty_typeEbEEZZNS1_14partition_implILS5_5ELb0ES3_mN6thrust23THRUST_200600_302600_NS6detail15normal_iteratorINSA_10device_ptrIxEEEEPS6_NSA_18transform_iteratorINSB_9not_fun_tI7is_trueIxEEESF_NSA_11use_defaultESM_EENS0_5tupleIJSF_S6_EEENSO_IJSG_SG_EEES6_PlJS6_EEE10hipError_tPvRmT3_T4_T5_T6_T7_T9_mT8_P12ihipStream_tbDpT10_ENKUlT_T0_E_clISt17integral_constantIbLb0EES1B_EEDaS16_S17_EUlS16_E_NS1_11comp_targetILNS1_3genE9ELNS1_11target_archE1100ELNS1_3gpuE3ELNS1_3repE0EEENS1_30default_config_static_selectorELNS0_4arch9wavefront6targetE0EEEvT1_,@function
_ZN7rocprim17ROCPRIM_400000_NS6detail17trampoline_kernelINS0_14default_configENS1_25partition_config_selectorILNS1_17partition_subalgoE5ExNS0_10empty_typeEbEEZZNS1_14partition_implILS5_5ELb0ES3_mN6thrust23THRUST_200600_302600_NS6detail15normal_iteratorINSA_10device_ptrIxEEEEPS6_NSA_18transform_iteratorINSB_9not_fun_tI7is_trueIxEEESF_NSA_11use_defaultESM_EENS0_5tupleIJSF_S6_EEENSO_IJSG_SG_EEES6_PlJS6_EEE10hipError_tPvRmT3_T4_T5_T6_T7_T9_mT8_P12ihipStream_tbDpT10_ENKUlT_T0_E_clISt17integral_constantIbLb0EES1B_EEDaS16_S17_EUlS16_E_NS1_11comp_targetILNS1_3genE9ELNS1_11target_archE1100ELNS1_3gpuE3ELNS1_3repE0EEENS1_30default_config_static_selectorELNS0_4arch9wavefront6targetE0EEEvT1_: ; @_ZN7rocprim17ROCPRIM_400000_NS6detail17trampoline_kernelINS0_14default_configENS1_25partition_config_selectorILNS1_17partition_subalgoE5ExNS0_10empty_typeEbEEZZNS1_14partition_implILS5_5ELb0ES3_mN6thrust23THRUST_200600_302600_NS6detail15normal_iteratorINSA_10device_ptrIxEEEEPS6_NSA_18transform_iteratorINSB_9not_fun_tI7is_trueIxEEESF_NSA_11use_defaultESM_EENS0_5tupleIJSF_S6_EEENSO_IJSG_SG_EEES6_PlJS6_EEE10hipError_tPvRmT3_T4_T5_T6_T7_T9_mT8_P12ihipStream_tbDpT10_ENKUlT_T0_E_clISt17integral_constantIbLb0EES1B_EEDaS16_S17_EUlS16_E_NS1_11comp_targetILNS1_3genE9ELNS1_11target_archE1100ELNS1_3gpuE3ELNS1_3repE0EEENS1_30default_config_static_selectorELNS0_4arch9wavefront6targetE0EEEvT1_
; %bb.0:
	.section	.rodata,"a",@progbits
	.p2align	6, 0x0
	.amdhsa_kernel _ZN7rocprim17ROCPRIM_400000_NS6detail17trampoline_kernelINS0_14default_configENS1_25partition_config_selectorILNS1_17partition_subalgoE5ExNS0_10empty_typeEbEEZZNS1_14partition_implILS5_5ELb0ES3_mN6thrust23THRUST_200600_302600_NS6detail15normal_iteratorINSA_10device_ptrIxEEEEPS6_NSA_18transform_iteratorINSB_9not_fun_tI7is_trueIxEEESF_NSA_11use_defaultESM_EENS0_5tupleIJSF_S6_EEENSO_IJSG_SG_EEES6_PlJS6_EEE10hipError_tPvRmT3_T4_T5_T6_T7_T9_mT8_P12ihipStream_tbDpT10_ENKUlT_T0_E_clISt17integral_constantIbLb0EES1B_EEDaS16_S17_EUlS16_E_NS1_11comp_targetILNS1_3genE9ELNS1_11target_archE1100ELNS1_3gpuE3ELNS1_3repE0EEENS1_30default_config_static_selectorELNS0_4arch9wavefront6targetE0EEEvT1_
		.amdhsa_group_segment_fixed_size 0
		.amdhsa_private_segment_fixed_size 0
		.amdhsa_kernarg_size 120
		.amdhsa_user_sgpr_count 2
		.amdhsa_user_sgpr_dispatch_ptr 0
		.amdhsa_user_sgpr_queue_ptr 0
		.amdhsa_user_sgpr_kernarg_segment_ptr 1
		.amdhsa_user_sgpr_dispatch_id 0
		.amdhsa_user_sgpr_private_segment_size 0
		.amdhsa_wavefront_size32 1
		.amdhsa_uses_dynamic_stack 0
		.amdhsa_enable_private_segment 0
		.amdhsa_system_sgpr_workgroup_id_x 1
		.amdhsa_system_sgpr_workgroup_id_y 0
		.amdhsa_system_sgpr_workgroup_id_z 0
		.amdhsa_system_sgpr_workgroup_info 0
		.amdhsa_system_vgpr_workitem_id 0
		.amdhsa_next_free_vgpr 1
		.amdhsa_next_free_sgpr 1
		.amdhsa_reserve_vcc 0
		.amdhsa_float_round_mode_32 0
		.amdhsa_float_round_mode_16_64 0
		.amdhsa_float_denorm_mode_32 3
		.amdhsa_float_denorm_mode_16_64 3
		.amdhsa_fp16_overflow 0
		.amdhsa_workgroup_processor_mode 1
		.amdhsa_memory_ordered 1
		.amdhsa_forward_progress 1
		.amdhsa_inst_pref_size 0
		.amdhsa_round_robin_scheduling 0
		.amdhsa_exception_fp_ieee_invalid_op 0
		.amdhsa_exception_fp_denorm_src 0
		.amdhsa_exception_fp_ieee_div_zero 0
		.amdhsa_exception_fp_ieee_overflow 0
		.amdhsa_exception_fp_ieee_underflow 0
		.amdhsa_exception_fp_ieee_inexact 0
		.amdhsa_exception_int_div_zero 0
	.end_amdhsa_kernel
	.section	.text._ZN7rocprim17ROCPRIM_400000_NS6detail17trampoline_kernelINS0_14default_configENS1_25partition_config_selectorILNS1_17partition_subalgoE5ExNS0_10empty_typeEbEEZZNS1_14partition_implILS5_5ELb0ES3_mN6thrust23THRUST_200600_302600_NS6detail15normal_iteratorINSA_10device_ptrIxEEEEPS6_NSA_18transform_iteratorINSB_9not_fun_tI7is_trueIxEEESF_NSA_11use_defaultESM_EENS0_5tupleIJSF_S6_EEENSO_IJSG_SG_EEES6_PlJS6_EEE10hipError_tPvRmT3_T4_T5_T6_T7_T9_mT8_P12ihipStream_tbDpT10_ENKUlT_T0_E_clISt17integral_constantIbLb0EES1B_EEDaS16_S17_EUlS16_E_NS1_11comp_targetILNS1_3genE9ELNS1_11target_archE1100ELNS1_3gpuE3ELNS1_3repE0EEENS1_30default_config_static_selectorELNS0_4arch9wavefront6targetE0EEEvT1_,"axG",@progbits,_ZN7rocprim17ROCPRIM_400000_NS6detail17trampoline_kernelINS0_14default_configENS1_25partition_config_selectorILNS1_17partition_subalgoE5ExNS0_10empty_typeEbEEZZNS1_14partition_implILS5_5ELb0ES3_mN6thrust23THRUST_200600_302600_NS6detail15normal_iteratorINSA_10device_ptrIxEEEEPS6_NSA_18transform_iteratorINSB_9not_fun_tI7is_trueIxEEESF_NSA_11use_defaultESM_EENS0_5tupleIJSF_S6_EEENSO_IJSG_SG_EEES6_PlJS6_EEE10hipError_tPvRmT3_T4_T5_T6_T7_T9_mT8_P12ihipStream_tbDpT10_ENKUlT_T0_E_clISt17integral_constantIbLb0EES1B_EEDaS16_S17_EUlS16_E_NS1_11comp_targetILNS1_3genE9ELNS1_11target_archE1100ELNS1_3gpuE3ELNS1_3repE0EEENS1_30default_config_static_selectorELNS0_4arch9wavefront6targetE0EEEvT1_,comdat
.Lfunc_end1473:
	.size	_ZN7rocprim17ROCPRIM_400000_NS6detail17trampoline_kernelINS0_14default_configENS1_25partition_config_selectorILNS1_17partition_subalgoE5ExNS0_10empty_typeEbEEZZNS1_14partition_implILS5_5ELb0ES3_mN6thrust23THRUST_200600_302600_NS6detail15normal_iteratorINSA_10device_ptrIxEEEEPS6_NSA_18transform_iteratorINSB_9not_fun_tI7is_trueIxEEESF_NSA_11use_defaultESM_EENS0_5tupleIJSF_S6_EEENSO_IJSG_SG_EEES6_PlJS6_EEE10hipError_tPvRmT3_T4_T5_T6_T7_T9_mT8_P12ihipStream_tbDpT10_ENKUlT_T0_E_clISt17integral_constantIbLb0EES1B_EEDaS16_S17_EUlS16_E_NS1_11comp_targetILNS1_3genE9ELNS1_11target_archE1100ELNS1_3gpuE3ELNS1_3repE0EEENS1_30default_config_static_selectorELNS0_4arch9wavefront6targetE0EEEvT1_, .Lfunc_end1473-_ZN7rocprim17ROCPRIM_400000_NS6detail17trampoline_kernelINS0_14default_configENS1_25partition_config_selectorILNS1_17partition_subalgoE5ExNS0_10empty_typeEbEEZZNS1_14partition_implILS5_5ELb0ES3_mN6thrust23THRUST_200600_302600_NS6detail15normal_iteratorINSA_10device_ptrIxEEEEPS6_NSA_18transform_iteratorINSB_9not_fun_tI7is_trueIxEEESF_NSA_11use_defaultESM_EENS0_5tupleIJSF_S6_EEENSO_IJSG_SG_EEES6_PlJS6_EEE10hipError_tPvRmT3_T4_T5_T6_T7_T9_mT8_P12ihipStream_tbDpT10_ENKUlT_T0_E_clISt17integral_constantIbLb0EES1B_EEDaS16_S17_EUlS16_E_NS1_11comp_targetILNS1_3genE9ELNS1_11target_archE1100ELNS1_3gpuE3ELNS1_3repE0EEENS1_30default_config_static_selectorELNS0_4arch9wavefront6targetE0EEEvT1_
                                        ; -- End function
	.set _ZN7rocprim17ROCPRIM_400000_NS6detail17trampoline_kernelINS0_14default_configENS1_25partition_config_selectorILNS1_17partition_subalgoE5ExNS0_10empty_typeEbEEZZNS1_14partition_implILS5_5ELb0ES3_mN6thrust23THRUST_200600_302600_NS6detail15normal_iteratorINSA_10device_ptrIxEEEEPS6_NSA_18transform_iteratorINSB_9not_fun_tI7is_trueIxEEESF_NSA_11use_defaultESM_EENS0_5tupleIJSF_S6_EEENSO_IJSG_SG_EEES6_PlJS6_EEE10hipError_tPvRmT3_T4_T5_T6_T7_T9_mT8_P12ihipStream_tbDpT10_ENKUlT_T0_E_clISt17integral_constantIbLb0EES1B_EEDaS16_S17_EUlS16_E_NS1_11comp_targetILNS1_3genE9ELNS1_11target_archE1100ELNS1_3gpuE3ELNS1_3repE0EEENS1_30default_config_static_selectorELNS0_4arch9wavefront6targetE0EEEvT1_.num_vgpr, 0
	.set _ZN7rocprim17ROCPRIM_400000_NS6detail17trampoline_kernelINS0_14default_configENS1_25partition_config_selectorILNS1_17partition_subalgoE5ExNS0_10empty_typeEbEEZZNS1_14partition_implILS5_5ELb0ES3_mN6thrust23THRUST_200600_302600_NS6detail15normal_iteratorINSA_10device_ptrIxEEEEPS6_NSA_18transform_iteratorINSB_9not_fun_tI7is_trueIxEEESF_NSA_11use_defaultESM_EENS0_5tupleIJSF_S6_EEENSO_IJSG_SG_EEES6_PlJS6_EEE10hipError_tPvRmT3_T4_T5_T6_T7_T9_mT8_P12ihipStream_tbDpT10_ENKUlT_T0_E_clISt17integral_constantIbLb0EES1B_EEDaS16_S17_EUlS16_E_NS1_11comp_targetILNS1_3genE9ELNS1_11target_archE1100ELNS1_3gpuE3ELNS1_3repE0EEENS1_30default_config_static_selectorELNS0_4arch9wavefront6targetE0EEEvT1_.num_agpr, 0
	.set _ZN7rocprim17ROCPRIM_400000_NS6detail17trampoline_kernelINS0_14default_configENS1_25partition_config_selectorILNS1_17partition_subalgoE5ExNS0_10empty_typeEbEEZZNS1_14partition_implILS5_5ELb0ES3_mN6thrust23THRUST_200600_302600_NS6detail15normal_iteratorINSA_10device_ptrIxEEEEPS6_NSA_18transform_iteratorINSB_9not_fun_tI7is_trueIxEEESF_NSA_11use_defaultESM_EENS0_5tupleIJSF_S6_EEENSO_IJSG_SG_EEES6_PlJS6_EEE10hipError_tPvRmT3_T4_T5_T6_T7_T9_mT8_P12ihipStream_tbDpT10_ENKUlT_T0_E_clISt17integral_constantIbLb0EES1B_EEDaS16_S17_EUlS16_E_NS1_11comp_targetILNS1_3genE9ELNS1_11target_archE1100ELNS1_3gpuE3ELNS1_3repE0EEENS1_30default_config_static_selectorELNS0_4arch9wavefront6targetE0EEEvT1_.numbered_sgpr, 0
	.set _ZN7rocprim17ROCPRIM_400000_NS6detail17trampoline_kernelINS0_14default_configENS1_25partition_config_selectorILNS1_17partition_subalgoE5ExNS0_10empty_typeEbEEZZNS1_14partition_implILS5_5ELb0ES3_mN6thrust23THRUST_200600_302600_NS6detail15normal_iteratorINSA_10device_ptrIxEEEEPS6_NSA_18transform_iteratorINSB_9not_fun_tI7is_trueIxEEESF_NSA_11use_defaultESM_EENS0_5tupleIJSF_S6_EEENSO_IJSG_SG_EEES6_PlJS6_EEE10hipError_tPvRmT3_T4_T5_T6_T7_T9_mT8_P12ihipStream_tbDpT10_ENKUlT_T0_E_clISt17integral_constantIbLb0EES1B_EEDaS16_S17_EUlS16_E_NS1_11comp_targetILNS1_3genE9ELNS1_11target_archE1100ELNS1_3gpuE3ELNS1_3repE0EEENS1_30default_config_static_selectorELNS0_4arch9wavefront6targetE0EEEvT1_.num_named_barrier, 0
	.set _ZN7rocprim17ROCPRIM_400000_NS6detail17trampoline_kernelINS0_14default_configENS1_25partition_config_selectorILNS1_17partition_subalgoE5ExNS0_10empty_typeEbEEZZNS1_14partition_implILS5_5ELb0ES3_mN6thrust23THRUST_200600_302600_NS6detail15normal_iteratorINSA_10device_ptrIxEEEEPS6_NSA_18transform_iteratorINSB_9not_fun_tI7is_trueIxEEESF_NSA_11use_defaultESM_EENS0_5tupleIJSF_S6_EEENSO_IJSG_SG_EEES6_PlJS6_EEE10hipError_tPvRmT3_T4_T5_T6_T7_T9_mT8_P12ihipStream_tbDpT10_ENKUlT_T0_E_clISt17integral_constantIbLb0EES1B_EEDaS16_S17_EUlS16_E_NS1_11comp_targetILNS1_3genE9ELNS1_11target_archE1100ELNS1_3gpuE3ELNS1_3repE0EEENS1_30default_config_static_selectorELNS0_4arch9wavefront6targetE0EEEvT1_.private_seg_size, 0
	.set _ZN7rocprim17ROCPRIM_400000_NS6detail17trampoline_kernelINS0_14default_configENS1_25partition_config_selectorILNS1_17partition_subalgoE5ExNS0_10empty_typeEbEEZZNS1_14partition_implILS5_5ELb0ES3_mN6thrust23THRUST_200600_302600_NS6detail15normal_iteratorINSA_10device_ptrIxEEEEPS6_NSA_18transform_iteratorINSB_9not_fun_tI7is_trueIxEEESF_NSA_11use_defaultESM_EENS0_5tupleIJSF_S6_EEENSO_IJSG_SG_EEES6_PlJS6_EEE10hipError_tPvRmT3_T4_T5_T6_T7_T9_mT8_P12ihipStream_tbDpT10_ENKUlT_T0_E_clISt17integral_constantIbLb0EES1B_EEDaS16_S17_EUlS16_E_NS1_11comp_targetILNS1_3genE9ELNS1_11target_archE1100ELNS1_3gpuE3ELNS1_3repE0EEENS1_30default_config_static_selectorELNS0_4arch9wavefront6targetE0EEEvT1_.uses_vcc, 0
	.set _ZN7rocprim17ROCPRIM_400000_NS6detail17trampoline_kernelINS0_14default_configENS1_25partition_config_selectorILNS1_17partition_subalgoE5ExNS0_10empty_typeEbEEZZNS1_14partition_implILS5_5ELb0ES3_mN6thrust23THRUST_200600_302600_NS6detail15normal_iteratorINSA_10device_ptrIxEEEEPS6_NSA_18transform_iteratorINSB_9not_fun_tI7is_trueIxEEESF_NSA_11use_defaultESM_EENS0_5tupleIJSF_S6_EEENSO_IJSG_SG_EEES6_PlJS6_EEE10hipError_tPvRmT3_T4_T5_T6_T7_T9_mT8_P12ihipStream_tbDpT10_ENKUlT_T0_E_clISt17integral_constantIbLb0EES1B_EEDaS16_S17_EUlS16_E_NS1_11comp_targetILNS1_3genE9ELNS1_11target_archE1100ELNS1_3gpuE3ELNS1_3repE0EEENS1_30default_config_static_selectorELNS0_4arch9wavefront6targetE0EEEvT1_.uses_flat_scratch, 0
	.set _ZN7rocprim17ROCPRIM_400000_NS6detail17trampoline_kernelINS0_14default_configENS1_25partition_config_selectorILNS1_17partition_subalgoE5ExNS0_10empty_typeEbEEZZNS1_14partition_implILS5_5ELb0ES3_mN6thrust23THRUST_200600_302600_NS6detail15normal_iteratorINSA_10device_ptrIxEEEEPS6_NSA_18transform_iteratorINSB_9not_fun_tI7is_trueIxEEESF_NSA_11use_defaultESM_EENS0_5tupleIJSF_S6_EEENSO_IJSG_SG_EEES6_PlJS6_EEE10hipError_tPvRmT3_T4_T5_T6_T7_T9_mT8_P12ihipStream_tbDpT10_ENKUlT_T0_E_clISt17integral_constantIbLb0EES1B_EEDaS16_S17_EUlS16_E_NS1_11comp_targetILNS1_3genE9ELNS1_11target_archE1100ELNS1_3gpuE3ELNS1_3repE0EEENS1_30default_config_static_selectorELNS0_4arch9wavefront6targetE0EEEvT1_.has_dyn_sized_stack, 0
	.set _ZN7rocprim17ROCPRIM_400000_NS6detail17trampoline_kernelINS0_14default_configENS1_25partition_config_selectorILNS1_17partition_subalgoE5ExNS0_10empty_typeEbEEZZNS1_14partition_implILS5_5ELb0ES3_mN6thrust23THRUST_200600_302600_NS6detail15normal_iteratorINSA_10device_ptrIxEEEEPS6_NSA_18transform_iteratorINSB_9not_fun_tI7is_trueIxEEESF_NSA_11use_defaultESM_EENS0_5tupleIJSF_S6_EEENSO_IJSG_SG_EEES6_PlJS6_EEE10hipError_tPvRmT3_T4_T5_T6_T7_T9_mT8_P12ihipStream_tbDpT10_ENKUlT_T0_E_clISt17integral_constantIbLb0EES1B_EEDaS16_S17_EUlS16_E_NS1_11comp_targetILNS1_3genE9ELNS1_11target_archE1100ELNS1_3gpuE3ELNS1_3repE0EEENS1_30default_config_static_selectorELNS0_4arch9wavefront6targetE0EEEvT1_.has_recursion, 0
	.set _ZN7rocprim17ROCPRIM_400000_NS6detail17trampoline_kernelINS0_14default_configENS1_25partition_config_selectorILNS1_17partition_subalgoE5ExNS0_10empty_typeEbEEZZNS1_14partition_implILS5_5ELb0ES3_mN6thrust23THRUST_200600_302600_NS6detail15normal_iteratorINSA_10device_ptrIxEEEEPS6_NSA_18transform_iteratorINSB_9not_fun_tI7is_trueIxEEESF_NSA_11use_defaultESM_EENS0_5tupleIJSF_S6_EEENSO_IJSG_SG_EEES6_PlJS6_EEE10hipError_tPvRmT3_T4_T5_T6_T7_T9_mT8_P12ihipStream_tbDpT10_ENKUlT_T0_E_clISt17integral_constantIbLb0EES1B_EEDaS16_S17_EUlS16_E_NS1_11comp_targetILNS1_3genE9ELNS1_11target_archE1100ELNS1_3gpuE3ELNS1_3repE0EEENS1_30default_config_static_selectorELNS0_4arch9wavefront6targetE0EEEvT1_.has_indirect_call, 0
	.section	.AMDGPU.csdata,"",@progbits
; Kernel info:
; codeLenInByte = 0
; TotalNumSgprs: 0
; NumVgprs: 0
; ScratchSize: 0
; MemoryBound: 0
; FloatMode: 240
; IeeeMode: 1
; LDSByteSize: 0 bytes/workgroup (compile time only)
; SGPRBlocks: 0
; VGPRBlocks: 0
; NumSGPRsForWavesPerEU: 1
; NumVGPRsForWavesPerEU: 1
; Occupancy: 16
; WaveLimiterHint : 0
; COMPUTE_PGM_RSRC2:SCRATCH_EN: 0
; COMPUTE_PGM_RSRC2:USER_SGPR: 2
; COMPUTE_PGM_RSRC2:TRAP_HANDLER: 0
; COMPUTE_PGM_RSRC2:TGID_X_EN: 1
; COMPUTE_PGM_RSRC2:TGID_Y_EN: 0
; COMPUTE_PGM_RSRC2:TGID_Z_EN: 0
; COMPUTE_PGM_RSRC2:TIDIG_COMP_CNT: 0
	.section	.text._ZN7rocprim17ROCPRIM_400000_NS6detail17trampoline_kernelINS0_14default_configENS1_25partition_config_selectorILNS1_17partition_subalgoE5ExNS0_10empty_typeEbEEZZNS1_14partition_implILS5_5ELb0ES3_mN6thrust23THRUST_200600_302600_NS6detail15normal_iteratorINSA_10device_ptrIxEEEEPS6_NSA_18transform_iteratorINSB_9not_fun_tI7is_trueIxEEESF_NSA_11use_defaultESM_EENS0_5tupleIJSF_S6_EEENSO_IJSG_SG_EEES6_PlJS6_EEE10hipError_tPvRmT3_T4_T5_T6_T7_T9_mT8_P12ihipStream_tbDpT10_ENKUlT_T0_E_clISt17integral_constantIbLb0EES1B_EEDaS16_S17_EUlS16_E_NS1_11comp_targetILNS1_3genE8ELNS1_11target_archE1030ELNS1_3gpuE2ELNS1_3repE0EEENS1_30default_config_static_selectorELNS0_4arch9wavefront6targetE0EEEvT1_,"axG",@progbits,_ZN7rocprim17ROCPRIM_400000_NS6detail17trampoline_kernelINS0_14default_configENS1_25partition_config_selectorILNS1_17partition_subalgoE5ExNS0_10empty_typeEbEEZZNS1_14partition_implILS5_5ELb0ES3_mN6thrust23THRUST_200600_302600_NS6detail15normal_iteratorINSA_10device_ptrIxEEEEPS6_NSA_18transform_iteratorINSB_9not_fun_tI7is_trueIxEEESF_NSA_11use_defaultESM_EENS0_5tupleIJSF_S6_EEENSO_IJSG_SG_EEES6_PlJS6_EEE10hipError_tPvRmT3_T4_T5_T6_T7_T9_mT8_P12ihipStream_tbDpT10_ENKUlT_T0_E_clISt17integral_constantIbLb0EES1B_EEDaS16_S17_EUlS16_E_NS1_11comp_targetILNS1_3genE8ELNS1_11target_archE1030ELNS1_3gpuE2ELNS1_3repE0EEENS1_30default_config_static_selectorELNS0_4arch9wavefront6targetE0EEEvT1_,comdat
	.protected	_ZN7rocprim17ROCPRIM_400000_NS6detail17trampoline_kernelINS0_14default_configENS1_25partition_config_selectorILNS1_17partition_subalgoE5ExNS0_10empty_typeEbEEZZNS1_14partition_implILS5_5ELb0ES3_mN6thrust23THRUST_200600_302600_NS6detail15normal_iteratorINSA_10device_ptrIxEEEEPS6_NSA_18transform_iteratorINSB_9not_fun_tI7is_trueIxEEESF_NSA_11use_defaultESM_EENS0_5tupleIJSF_S6_EEENSO_IJSG_SG_EEES6_PlJS6_EEE10hipError_tPvRmT3_T4_T5_T6_T7_T9_mT8_P12ihipStream_tbDpT10_ENKUlT_T0_E_clISt17integral_constantIbLb0EES1B_EEDaS16_S17_EUlS16_E_NS1_11comp_targetILNS1_3genE8ELNS1_11target_archE1030ELNS1_3gpuE2ELNS1_3repE0EEENS1_30default_config_static_selectorELNS0_4arch9wavefront6targetE0EEEvT1_ ; -- Begin function _ZN7rocprim17ROCPRIM_400000_NS6detail17trampoline_kernelINS0_14default_configENS1_25partition_config_selectorILNS1_17partition_subalgoE5ExNS0_10empty_typeEbEEZZNS1_14partition_implILS5_5ELb0ES3_mN6thrust23THRUST_200600_302600_NS6detail15normal_iteratorINSA_10device_ptrIxEEEEPS6_NSA_18transform_iteratorINSB_9not_fun_tI7is_trueIxEEESF_NSA_11use_defaultESM_EENS0_5tupleIJSF_S6_EEENSO_IJSG_SG_EEES6_PlJS6_EEE10hipError_tPvRmT3_T4_T5_T6_T7_T9_mT8_P12ihipStream_tbDpT10_ENKUlT_T0_E_clISt17integral_constantIbLb0EES1B_EEDaS16_S17_EUlS16_E_NS1_11comp_targetILNS1_3genE8ELNS1_11target_archE1030ELNS1_3gpuE2ELNS1_3repE0EEENS1_30default_config_static_selectorELNS0_4arch9wavefront6targetE0EEEvT1_
	.globl	_ZN7rocprim17ROCPRIM_400000_NS6detail17trampoline_kernelINS0_14default_configENS1_25partition_config_selectorILNS1_17partition_subalgoE5ExNS0_10empty_typeEbEEZZNS1_14partition_implILS5_5ELb0ES3_mN6thrust23THRUST_200600_302600_NS6detail15normal_iteratorINSA_10device_ptrIxEEEEPS6_NSA_18transform_iteratorINSB_9not_fun_tI7is_trueIxEEESF_NSA_11use_defaultESM_EENS0_5tupleIJSF_S6_EEENSO_IJSG_SG_EEES6_PlJS6_EEE10hipError_tPvRmT3_T4_T5_T6_T7_T9_mT8_P12ihipStream_tbDpT10_ENKUlT_T0_E_clISt17integral_constantIbLb0EES1B_EEDaS16_S17_EUlS16_E_NS1_11comp_targetILNS1_3genE8ELNS1_11target_archE1030ELNS1_3gpuE2ELNS1_3repE0EEENS1_30default_config_static_selectorELNS0_4arch9wavefront6targetE0EEEvT1_
	.p2align	8
	.type	_ZN7rocprim17ROCPRIM_400000_NS6detail17trampoline_kernelINS0_14default_configENS1_25partition_config_selectorILNS1_17partition_subalgoE5ExNS0_10empty_typeEbEEZZNS1_14partition_implILS5_5ELb0ES3_mN6thrust23THRUST_200600_302600_NS6detail15normal_iteratorINSA_10device_ptrIxEEEEPS6_NSA_18transform_iteratorINSB_9not_fun_tI7is_trueIxEEESF_NSA_11use_defaultESM_EENS0_5tupleIJSF_S6_EEENSO_IJSG_SG_EEES6_PlJS6_EEE10hipError_tPvRmT3_T4_T5_T6_T7_T9_mT8_P12ihipStream_tbDpT10_ENKUlT_T0_E_clISt17integral_constantIbLb0EES1B_EEDaS16_S17_EUlS16_E_NS1_11comp_targetILNS1_3genE8ELNS1_11target_archE1030ELNS1_3gpuE2ELNS1_3repE0EEENS1_30default_config_static_selectorELNS0_4arch9wavefront6targetE0EEEvT1_,@function
_ZN7rocprim17ROCPRIM_400000_NS6detail17trampoline_kernelINS0_14default_configENS1_25partition_config_selectorILNS1_17partition_subalgoE5ExNS0_10empty_typeEbEEZZNS1_14partition_implILS5_5ELb0ES3_mN6thrust23THRUST_200600_302600_NS6detail15normal_iteratorINSA_10device_ptrIxEEEEPS6_NSA_18transform_iteratorINSB_9not_fun_tI7is_trueIxEEESF_NSA_11use_defaultESM_EENS0_5tupleIJSF_S6_EEENSO_IJSG_SG_EEES6_PlJS6_EEE10hipError_tPvRmT3_T4_T5_T6_T7_T9_mT8_P12ihipStream_tbDpT10_ENKUlT_T0_E_clISt17integral_constantIbLb0EES1B_EEDaS16_S17_EUlS16_E_NS1_11comp_targetILNS1_3genE8ELNS1_11target_archE1030ELNS1_3gpuE2ELNS1_3repE0EEENS1_30default_config_static_selectorELNS0_4arch9wavefront6targetE0EEEvT1_: ; @_ZN7rocprim17ROCPRIM_400000_NS6detail17trampoline_kernelINS0_14default_configENS1_25partition_config_selectorILNS1_17partition_subalgoE5ExNS0_10empty_typeEbEEZZNS1_14partition_implILS5_5ELb0ES3_mN6thrust23THRUST_200600_302600_NS6detail15normal_iteratorINSA_10device_ptrIxEEEEPS6_NSA_18transform_iteratorINSB_9not_fun_tI7is_trueIxEEESF_NSA_11use_defaultESM_EENS0_5tupleIJSF_S6_EEENSO_IJSG_SG_EEES6_PlJS6_EEE10hipError_tPvRmT3_T4_T5_T6_T7_T9_mT8_P12ihipStream_tbDpT10_ENKUlT_T0_E_clISt17integral_constantIbLb0EES1B_EEDaS16_S17_EUlS16_E_NS1_11comp_targetILNS1_3genE8ELNS1_11target_archE1030ELNS1_3gpuE2ELNS1_3repE0EEENS1_30default_config_static_selectorELNS0_4arch9wavefront6targetE0EEEvT1_
; %bb.0:
	.section	.rodata,"a",@progbits
	.p2align	6, 0x0
	.amdhsa_kernel _ZN7rocprim17ROCPRIM_400000_NS6detail17trampoline_kernelINS0_14default_configENS1_25partition_config_selectorILNS1_17partition_subalgoE5ExNS0_10empty_typeEbEEZZNS1_14partition_implILS5_5ELb0ES3_mN6thrust23THRUST_200600_302600_NS6detail15normal_iteratorINSA_10device_ptrIxEEEEPS6_NSA_18transform_iteratorINSB_9not_fun_tI7is_trueIxEEESF_NSA_11use_defaultESM_EENS0_5tupleIJSF_S6_EEENSO_IJSG_SG_EEES6_PlJS6_EEE10hipError_tPvRmT3_T4_T5_T6_T7_T9_mT8_P12ihipStream_tbDpT10_ENKUlT_T0_E_clISt17integral_constantIbLb0EES1B_EEDaS16_S17_EUlS16_E_NS1_11comp_targetILNS1_3genE8ELNS1_11target_archE1030ELNS1_3gpuE2ELNS1_3repE0EEENS1_30default_config_static_selectorELNS0_4arch9wavefront6targetE0EEEvT1_
		.amdhsa_group_segment_fixed_size 0
		.amdhsa_private_segment_fixed_size 0
		.amdhsa_kernarg_size 120
		.amdhsa_user_sgpr_count 2
		.amdhsa_user_sgpr_dispatch_ptr 0
		.amdhsa_user_sgpr_queue_ptr 0
		.amdhsa_user_sgpr_kernarg_segment_ptr 1
		.amdhsa_user_sgpr_dispatch_id 0
		.amdhsa_user_sgpr_private_segment_size 0
		.amdhsa_wavefront_size32 1
		.amdhsa_uses_dynamic_stack 0
		.amdhsa_enable_private_segment 0
		.amdhsa_system_sgpr_workgroup_id_x 1
		.amdhsa_system_sgpr_workgroup_id_y 0
		.amdhsa_system_sgpr_workgroup_id_z 0
		.amdhsa_system_sgpr_workgroup_info 0
		.amdhsa_system_vgpr_workitem_id 0
		.amdhsa_next_free_vgpr 1
		.amdhsa_next_free_sgpr 1
		.amdhsa_reserve_vcc 0
		.amdhsa_float_round_mode_32 0
		.amdhsa_float_round_mode_16_64 0
		.amdhsa_float_denorm_mode_32 3
		.amdhsa_float_denorm_mode_16_64 3
		.amdhsa_fp16_overflow 0
		.amdhsa_workgroup_processor_mode 1
		.amdhsa_memory_ordered 1
		.amdhsa_forward_progress 1
		.amdhsa_inst_pref_size 0
		.amdhsa_round_robin_scheduling 0
		.amdhsa_exception_fp_ieee_invalid_op 0
		.amdhsa_exception_fp_denorm_src 0
		.amdhsa_exception_fp_ieee_div_zero 0
		.amdhsa_exception_fp_ieee_overflow 0
		.amdhsa_exception_fp_ieee_underflow 0
		.amdhsa_exception_fp_ieee_inexact 0
		.amdhsa_exception_int_div_zero 0
	.end_amdhsa_kernel
	.section	.text._ZN7rocprim17ROCPRIM_400000_NS6detail17trampoline_kernelINS0_14default_configENS1_25partition_config_selectorILNS1_17partition_subalgoE5ExNS0_10empty_typeEbEEZZNS1_14partition_implILS5_5ELb0ES3_mN6thrust23THRUST_200600_302600_NS6detail15normal_iteratorINSA_10device_ptrIxEEEEPS6_NSA_18transform_iteratorINSB_9not_fun_tI7is_trueIxEEESF_NSA_11use_defaultESM_EENS0_5tupleIJSF_S6_EEENSO_IJSG_SG_EEES6_PlJS6_EEE10hipError_tPvRmT3_T4_T5_T6_T7_T9_mT8_P12ihipStream_tbDpT10_ENKUlT_T0_E_clISt17integral_constantIbLb0EES1B_EEDaS16_S17_EUlS16_E_NS1_11comp_targetILNS1_3genE8ELNS1_11target_archE1030ELNS1_3gpuE2ELNS1_3repE0EEENS1_30default_config_static_selectorELNS0_4arch9wavefront6targetE0EEEvT1_,"axG",@progbits,_ZN7rocprim17ROCPRIM_400000_NS6detail17trampoline_kernelINS0_14default_configENS1_25partition_config_selectorILNS1_17partition_subalgoE5ExNS0_10empty_typeEbEEZZNS1_14partition_implILS5_5ELb0ES3_mN6thrust23THRUST_200600_302600_NS6detail15normal_iteratorINSA_10device_ptrIxEEEEPS6_NSA_18transform_iteratorINSB_9not_fun_tI7is_trueIxEEESF_NSA_11use_defaultESM_EENS0_5tupleIJSF_S6_EEENSO_IJSG_SG_EEES6_PlJS6_EEE10hipError_tPvRmT3_T4_T5_T6_T7_T9_mT8_P12ihipStream_tbDpT10_ENKUlT_T0_E_clISt17integral_constantIbLb0EES1B_EEDaS16_S17_EUlS16_E_NS1_11comp_targetILNS1_3genE8ELNS1_11target_archE1030ELNS1_3gpuE2ELNS1_3repE0EEENS1_30default_config_static_selectorELNS0_4arch9wavefront6targetE0EEEvT1_,comdat
.Lfunc_end1474:
	.size	_ZN7rocprim17ROCPRIM_400000_NS6detail17trampoline_kernelINS0_14default_configENS1_25partition_config_selectorILNS1_17partition_subalgoE5ExNS0_10empty_typeEbEEZZNS1_14partition_implILS5_5ELb0ES3_mN6thrust23THRUST_200600_302600_NS6detail15normal_iteratorINSA_10device_ptrIxEEEEPS6_NSA_18transform_iteratorINSB_9not_fun_tI7is_trueIxEEESF_NSA_11use_defaultESM_EENS0_5tupleIJSF_S6_EEENSO_IJSG_SG_EEES6_PlJS6_EEE10hipError_tPvRmT3_T4_T5_T6_T7_T9_mT8_P12ihipStream_tbDpT10_ENKUlT_T0_E_clISt17integral_constantIbLb0EES1B_EEDaS16_S17_EUlS16_E_NS1_11comp_targetILNS1_3genE8ELNS1_11target_archE1030ELNS1_3gpuE2ELNS1_3repE0EEENS1_30default_config_static_selectorELNS0_4arch9wavefront6targetE0EEEvT1_, .Lfunc_end1474-_ZN7rocprim17ROCPRIM_400000_NS6detail17trampoline_kernelINS0_14default_configENS1_25partition_config_selectorILNS1_17partition_subalgoE5ExNS0_10empty_typeEbEEZZNS1_14partition_implILS5_5ELb0ES3_mN6thrust23THRUST_200600_302600_NS6detail15normal_iteratorINSA_10device_ptrIxEEEEPS6_NSA_18transform_iteratorINSB_9not_fun_tI7is_trueIxEEESF_NSA_11use_defaultESM_EENS0_5tupleIJSF_S6_EEENSO_IJSG_SG_EEES6_PlJS6_EEE10hipError_tPvRmT3_T4_T5_T6_T7_T9_mT8_P12ihipStream_tbDpT10_ENKUlT_T0_E_clISt17integral_constantIbLb0EES1B_EEDaS16_S17_EUlS16_E_NS1_11comp_targetILNS1_3genE8ELNS1_11target_archE1030ELNS1_3gpuE2ELNS1_3repE0EEENS1_30default_config_static_selectorELNS0_4arch9wavefront6targetE0EEEvT1_
                                        ; -- End function
	.set _ZN7rocprim17ROCPRIM_400000_NS6detail17trampoline_kernelINS0_14default_configENS1_25partition_config_selectorILNS1_17partition_subalgoE5ExNS0_10empty_typeEbEEZZNS1_14partition_implILS5_5ELb0ES3_mN6thrust23THRUST_200600_302600_NS6detail15normal_iteratorINSA_10device_ptrIxEEEEPS6_NSA_18transform_iteratorINSB_9not_fun_tI7is_trueIxEEESF_NSA_11use_defaultESM_EENS0_5tupleIJSF_S6_EEENSO_IJSG_SG_EEES6_PlJS6_EEE10hipError_tPvRmT3_T4_T5_T6_T7_T9_mT8_P12ihipStream_tbDpT10_ENKUlT_T0_E_clISt17integral_constantIbLb0EES1B_EEDaS16_S17_EUlS16_E_NS1_11comp_targetILNS1_3genE8ELNS1_11target_archE1030ELNS1_3gpuE2ELNS1_3repE0EEENS1_30default_config_static_selectorELNS0_4arch9wavefront6targetE0EEEvT1_.num_vgpr, 0
	.set _ZN7rocprim17ROCPRIM_400000_NS6detail17trampoline_kernelINS0_14default_configENS1_25partition_config_selectorILNS1_17partition_subalgoE5ExNS0_10empty_typeEbEEZZNS1_14partition_implILS5_5ELb0ES3_mN6thrust23THRUST_200600_302600_NS6detail15normal_iteratorINSA_10device_ptrIxEEEEPS6_NSA_18transform_iteratorINSB_9not_fun_tI7is_trueIxEEESF_NSA_11use_defaultESM_EENS0_5tupleIJSF_S6_EEENSO_IJSG_SG_EEES6_PlJS6_EEE10hipError_tPvRmT3_T4_T5_T6_T7_T9_mT8_P12ihipStream_tbDpT10_ENKUlT_T0_E_clISt17integral_constantIbLb0EES1B_EEDaS16_S17_EUlS16_E_NS1_11comp_targetILNS1_3genE8ELNS1_11target_archE1030ELNS1_3gpuE2ELNS1_3repE0EEENS1_30default_config_static_selectorELNS0_4arch9wavefront6targetE0EEEvT1_.num_agpr, 0
	.set _ZN7rocprim17ROCPRIM_400000_NS6detail17trampoline_kernelINS0_14default_configENS1_25partition_config_selectorILNS1_17partition_subalgoE5ExNS0_10empty_typeEbEEZZNS1_14partition_implILS5_5ELb0ES3_mN6thrust23THRUST_200600_302600_NS6detail15normal_iteratorINSA_10device_ptrIxEEEEPS6_NSA_18transform_iteratorINSB_9not_fun_tI7is_trueIxEEESF_NSA_11use_defaultESM_EENS0_5tupleIJSF_S6_EEENSO_IJSG_SG_EEES6_PlJS6_EEE10hipError_tPvRmT3_T4_T5_T6_T7_T9_mT8_P12ihipStream_tbDpT10_ENKUlT_T0_E_clISt17integral_constantIbLb0EES1B_EEDaS16_S17_EUlS16_E_NS1_11comp_targetILNS1_3genE8ELNS1_11target_archE1030ELNS1_3gpuE2ELNS1_3repE0EEENS1_30default_config_static_selectorELNS0_4arch9wavefront6targetE0EEEvT1_.numbered_sgpr, 0
	.set _ZN7rocprim17ROCPRIM_400000_NS6detail17trampoline_kernelINS0_14default_configENS1_25partition_config_selectorILNS1_17partition_subalgoE5ExNS0_10empty_typeEbEEZZNS1_14partition_implILS5_5ELb0ES3_mN6thrust23THRUST_200600_302600_NS6detail15normal_iteratorINSA_10device_ptrIxEEEEPS6_NSA_18transform_iteratorINSB_9not_fun_tI7is_trueIxEEESF_NSA_11use_defaultESM_EENS0_5tupleIJSF_S6_EEENSO_IJSG_SG_EEES6_PlJS6_EEE10hipError_tPvRmT3_T4_T5_T6_T7_T9_mT8_P12ihipStream_tbDpT10_ENKUlT_T0_E_clISt17integral_constantIbLb0EES1B_EEDaS16_S17_EUlS16_E_NS1_11comp_targetILNS1_3genE8ELNS1_11target_archE1030ELNS1_3gpuE2ELNS1_3repE0EEENS1_30default_config_static_selectorELNS0_4arch9wavefront6targetE0EEEvT1_.num_named_barrier, 0
	.set _ZN7rocprim17ROCPRIM_400000_NS6detail17trampoline_kernelINS0_14default_configENS1_25partition_config_selectorILNS1_17partition_subalgoE5ExNS0_10empty_typeEbEEZZNS1_14partition_implILS5_5ELb0ES3_mN6thrust23THRUST_200600_302600_NS6detail15normal_iteratorINSA_10device_ptrIxEEEEPS6_NSA_18transform_iteratorINSB_9not_fun_tI7is_trueIxEEESF_NSA_11use_defaultESM_EENS0_5tupleIJSF_S6_EEENSO_IJSG_SG_EEES6_PlJS6_EEE10hipError_tPvRmT3_T4_T5_T6_T7_T9_mT8_P12ihipStream_tbDpT10_ENKUlT_T0_E_clISt17integral_constantIbLb0EES1B_EEDaS16_S17_EUlS16_E_NS1_11comp_targetILNS1_3genE8ELNS1_11target_archE1030ELNS1_3gpuE2ELNS1_3repE0EEENS1_30default_config_static_selectorELNS0_4arch9wavefront6targetE0EEEvT1_.private_seg_size, 0
	.set _ZN7rocprim17ROCPRIM_400000_NS6detail17trampoline_kernelINS0_14default_configENS1_25partition_config_selectorILNS1_17partition_subalgoE5ExNS0_10empty_typeEbEEZZNS1_14partition_implILS5_5ELb0ES3_mN6thrust23THRUST_200600_302600_NS6detail15normal_iteratorINSA_10device_ptrIxEEEEPS6_NSA_18transform_iteratorINSB_9not_fun_tI7is_trueIxEEESF_NSA_11use_defaultESM_EENS0_5tupleIJSF_S6_EEENSO_IJSG_SG_EEES6_PlJS6_EEE10hipError_tPvRmT3_T4_T5_T6_T7_T9_mT8_P12ihipStream_tbDpT10_ENKUlT_T0_E_clISt17integral_constantIbLb0EES1B_EEDaS16_S17_EUlS16_E_NS1_11comp_targetILNS1_3genE8ELNS1_11target_archE1030ELNS1_3gpuE2ELNS1_3repE0EEENS1_30default_config_static_selectorELNS0_4arch9wavefront6targetE0EEEvT1_.uses_vcc, 0
	.set _ZN7rocprim17ROCPRIM_400000_NS6detail17trampoline_kernelINS0_14default_configENS1_25partition_config_selectorILNS1_17partition_subalgoE5ExNS0_10empty_typeEbEEZZNS1_14partition_implILS5_5ELb0ES3_mN6thrust23THRUST_200600_302600_NS6detail15normal_iteratorINSA_10device_ptrIxEEEEPS6_NSA_18transform_iteratorINSB_9not_fun_tI7is_trueIxEEESF_NSA_11use_defaultESM_EENS0_5tupleIJSF_S6_EEENSO_IJSG_SG_EEES6_PlJS6_EEE10hipError_tPvRmT3_T4_T5_T6_T7_T9_mT8_P12ihipStream_tbDpT10_ENKUlT_T0_E_clISt17integral_constantIbLb0EES1B_EEDaS16_S17_EUlS16_E_NS1_11comp_targetILNS1_3genE8ELNS1_11target_archE1030ELNS1_3gpuE2ELNS1_3repE0EEENS1_30default_config_static_selectorELNS0_4arch9wavefront6targetE0EEEvT1_.uses_flat_scratch, 0
	.set _ZN7rocprim17ROCPRIM_400000_NS6detail17trampoline_kernelINS0_14default_configENS1_25partition_config_selectorILNS1_17partition_subalgoE5ExNS0_10empty_typeEbEEZZNS1_14partition_implILS5_5ELb0ES3_mN6thrust23THRUST_200600_302600_NS6detail15normal_iteratorINSA_10device_ptrIxEEEEPS6_NSA_18transform_iteratorINSB_9not_fun_tI7is_trueIxEEESF_NSA_11use_defaultESM_EENS0_5tupleIJSF_S6_EEENSO_IJSG_SG_EEES6_PlJS6_EEE10hipError_tPvRmT3_T4_T5_T6_T7_T9_mT8_P12ihipStream_tbDpT10_ENKUlT_T0_E_clISt17integral_constantIbLb0EES1B_EEDaS16_S17_EUlS16_E_NS1_11comp_targetILNS1_3genE8ELNS1_11target_archE1030ELNS1_3gpuE2ELNS1_3repE0EEENS1_30default_config_static_selectorELNS0_4arch9wavefront6targetE0EEEvT1_.has_dyn_sized_stack, 0
	.set _ZN7rocprim17ROCPRIM_400000_NS6detail17trampoline_kernelINS0_14default_configENS1_25partition_config_selectorILNS1_17partition_subalgoE5ExNS0_10empty_typeEbEEZZNS1_14partition_implILS5_5ELb0ES3_mN6thrust23THRUST_200600_302600_NS6detail15normal_iteratorINSA_10device_ptrIxEEEEPS6_NSA_18transform_iteratorINSB_9not_fun_tI7is_trueIxEEESF_NSA_11use_defaultESM_EENS0_5tupleIJSF_S6_EEENSO_IJSG_SG_EEES6_PlJS6_EEE10hipError_tPvRmT3_T4_T5_T6_T7_T9_mT8_P12ihipStream_tbDpT10_ENKUlT_T0_E_clISt17integral_constantIbLb0EES1B_EEDaS16_S17_EUlS16_E_NS1_11comp_targetILNS1_3genE8ELNS1_11target_archE1030ELNS1_3gpuE2ELNS1_3repE0EEENS1_30default_config_static_selectorELNS0_4arch9wavefront6targetE0EEEvT1_.has_recursion, 0
	.set _ZN7rocprim17ROCPRIM_400000_NS6detail17trampoline_kernelINS0_14default_configENS1_25partition_config_selectorILNS1_17partition_subalgoE5ExNS0_10empty_typeEbEEZZNS1_14partition_implILS5_5ELb0ES3_mN6thrust23THRUST_200600_302600_NS6detail15normal_iteratorINSA_10device_ptrIxEEEEPS6_NSA_18transform_iteratorINSB_9not_fun_tI7is_trueIxEEESF_NSA_11use_defaultESM_EENS0_5tupleIJSF_S6_EEENSO_IJSG_SG_EEES6_PlJS6_EEE10hipError_tPvRmT3_T4_T5_T6_T7_T9_mT8_P12ihipStream_tbDpT10_ENKUlT_T0_E_clISt17integral_constantIbLb0EES1B_EEDaS16_S17_EUlS16_E_NS1_11comp_targetILNS1_3genE8ELNS1_11target_archE1030ELNS1_3gpuE2ELNS1_3repE0EEENS1_30default_config_static_selectorELNS0_4arch9wavefront6targetE0EEEvT1_.has_indirect_call, 0
	.section	.AMDGPU.csdata,"",@progbits
; Kernel info:
; codeLenInByte = 0
; TotalNumSgprs: 0
; NumVgprs: 0
; ScratchSize: 0
; MemoryBound: 0
; FloatMode: 240
; IeeeMode: 1
; LDSByteSize: 0 bytes/workgroup (compile time only)
; SGPRBlocks: 0
; VGPRBlocks: 0
; NumSGPRsForWavesPerEU: 1
; NumVGPRsForWavesPerEU: 1
; Occupancy: 16
; WaveLimiterHint : 0
; COMPUTE_PGM_RSRC2:SCRATCH_EN: 0
; COMPUTE_PGM_RSRC2:USER_SGPR: 2
; COMPUTE_PGM_RSRC2:TRAP_HANDLER: 0
; COMPUTE_PGM_RSRC2:TGID_X_EN: 1
; COMPUTE_PGM_RSRC2:TGID_Y_EN: 0
; COMPUTE_PGM_RSRC2:TGID_Z_EN: 0
; COMPUTE_PGM_RSRC2:TIDIG_COMP_CNT: 0
	.section	.text._ZN7rocprim17ROCPRIM_400000_NS6detail17trampoline_kernelINS0_14default_configENS1_25partition_config_selectorILNS1_17partition_subalgoE5ExNS0_10empty_typeEbEEZZNS1_14partition_implILS5_5ELb0ES3_mN6thrust23THRUST_200600_302600_NS6detail15normal_iteratorINSA_10device_ptrIxEEEEPS6_NSA_18transform_iteratorINSB_9not_fun_tI7is_trueIxEEESF_NSA_11use_defaultESM_EENS0_5tupleIJSF_S6_EEENSO_IJSG_SG_EEES6_PlJS6_EEE10hipError_tPvRmT3_T4_T5_T6_T7_T9_mT8_P12ihipStream_tbDpT10_ENKUlT_T0_E_clISt17integral_constantIbLb1EES1B_EEDaS16_S17_EUlS16_E_NS1_11comp_targetILNS1_3genE0ELNS1_11target_archE4294967295ELNS1_3gpuE0ELNS1_3repE0EEENS1_30default_config_static_selectorELNS0_4arch9wavefront6targetE0EEEvT1_,"axG",@progbits,_ZN7rocprim17ROCPRIM_400000_NS6detail17trampoline_kernelINS0_14default_configENS1_25partition_config_selectorILNS1_17partition_subalgoE5ExNS0_10empty_typeEbEEZZNS1_14partition_implILS5_5ELb0ES3_mN6thrust23THRUST_200600_302600_NS6detail15normal_iteratorINSA_10device_ptrIxEEEEPS6_NSA_18transform_iteratorINSB_9not_fun_tI7is_trueIxEEESF_NSA_11use_defaultESM_EENS0_5tupleIJSF_S6_EEENSO_IJSG_SG_EEES6_PlJS6_EEE10hipError_tPvRmT3_T4_T5_T6_T7_T9_mT8_P12ihipStream_tbDpT10_ENKUlT_T0_E_clISt17integral_constantIbLb1EES1B_EEDaS16_S17_EUlS16_E_NS1_11comp_targetILNS1_3genE0ELNS1_11target_archE4294967295ELNS1_3gpuE0ELNS1_3repE0EEENS1_30default_config_static_selectorELNS0_4arch9wavefront6targetE0EEEvT1_,comdat
	.protected	_ZN7rocprim17ROCPRIM_400000_NS6detail17trampoline_kernelINS0_14default_configENS1_25partition_config_selectorILNS1_17partition_subalgoE5ExNS0_10empty_typeEbEEZZNS1_14partition_implILS5_5ELb0ES3_mN6thrust23THRUST_200600_302600_NS6detail15normal_iteratorINSA_10device_ptrIxEEEEPS6_NSA_18transform_iteratorINSB_9not_fun_tI7is_trueIxEEESF_NSA_11use_defaultESM_EENS0_5tupleIJSF_S6_EEENSO_IJSG_SG_EEES6_PlJS6_EEE10hipError_tPvRmT3_T4_T5_T6_T7_T9_mT8_P12ihipStream_tbDpT10_ENKUlT_T0_E_clISt17integral_constantIbLb1EES1B_EEDaS16_S17_EUlS16_E_NS1_11comp_targetILNS1_3genE0ELNS1_11target_archE4294967295ELNS1_3gpuE0ELNS1_3repE0EEENS1_30default_config_static_selectorELNS0_4arch9wavefront6targetE0EEEvT1_ ; -- Begin function _ZN7rocprim17ROCPRIM_400000_NS6detail17trampoline_kernelINS0_14default_configENS1_25partition_config_selectorILNS1_17partition_subalgoE5ExNS0_10empty_typeEbEEZZNS1_14partition_implILS5_5ELb0ES3_mN6thrust23THRUST_200600_302600_NS6detail15normal_iteratorINSA_10device_ptrIxEEEEPS6_NSA_18transform_iteratorINSB_9not_fun_tI7is_trueIxEEESF_NSA_11use_defaultESM_EENS0_5tupleIJSF_S6_EEENSO_IJSG_SG_EEES6_PlJS6_EEE10hipError_tPvRmT3_T4_T5_T6_T7_T9_mT8_P12ihipStream_tbDpT10_ENKUlT_T0_E_clISt17integral_constantIbLb1EES1B_EEDaS16_S17_EUlS16_E_NS1_11comp_targetILNS1_3genE0ELNS1_11target_archE4294967295ELNS1_3gpuE0ELNS1_3repE0EEENS1_30default_config_static_selectorELNS0_4arch9wavefront6targetE0EEEvT1_
	.globl	_ZN7rocprim17ROCPRIM_400000_NS6detail17trampoline_kernelINS0_14default_configENS1_25partition_config_selectorILNS1_17partition_subalgoE5ExNS0_10empty_typeEbEEZZNS1_14partition_implILS5_5ELb0ES3_mN6thrust23THRUST_200600_302600_NS6detail15normal_iteratorINSA_10device_ptrIxEEEEPS6_NSA_18transform_iteratorINSB_9not_fun_tI7is_trueIxEEESF_NSA_11use_defaultESM_EENS0_5tupleIJSF_S6_EEENSO_IJSG_SG_EEES6_PlJS6_EEE10hipError_tPvRmT3_T4_T5_T6_T7_T9_mT8_P12ihipStream_tbDpT10_ENKUlT_T0_E_clISt17integral_constantIbLb1EES1B_EEDaS16_S17_EUlS16_E_NS1_11comp_targetILNS1_3genE0ELNS1_11target_archE4294967295ELNS1_3gpuE0ELNS1_3repE0EEENS1_30default_config_static_selectorELNS0_4arch9wavefront6targetE0EEEvT1_
	.p2align	8
	.type	_ZN7rocprim17ROCPRIM_400000_NS6detail17trampoline_kernelINS0_14default_configENS1_25partition_config_selectorILNS1_17partition_subalgoE5ExNS0_10empty_typeEbEEZZNS1_14partition_implILS5_5ELb0ES3_mN6thrust23THRUST_200600_302600_NS6detail15normal_iteratorINSA_10device_ptrIxEEEEPS6_NSA_18transform_iteratorINSB_9not_fun_tI7is_trueIxEEESF_NSA_11use_defaultESM_EENS0_5tupleIJSF_S6_EEENSO_IJSG_SG_EEES6_PlJS6_EEE10hipError_tPvRmT3_T4_T5_T6_T7_T9_mT8_P12ihipStream_tbDpT10_ENKUlT_T0_E_clISt17integral_constantIbLb1EES1B_EEDaS16_S17_EUlS16_E_NS1_11comp_targetILNS1_3genE0ELNS1_11target_archE4294967295ELNS1_3gpuE0ELNS1_3repE0EEENS1_30default_config_static_selectorELNS0_4arch9wavefront6targetE0EEEvT1_,@function
_ZN7rocprim17ROCPRIM_400000_NS6detail17trampoline_kernelINS0_14default_configENS1_25partition_config_selectorILNS1_17partition_subalgoE5ExNS0_10empty_typeEbEEZZNS1_14partition_implILS5_5ELb0ES3_mN6thrust23THRUST_200600_302600_NS6detail15normal_iteratorINSA_10device_ptrIxEEEEPS6_NSA_18transform_iteratorINSB_9not_fun_tI7is_trueIxEEESF_NSA_11use_defaultESM_EENS0_5tupleIJSF_S6_EEENSO_IJSG_SG_EEES6_PlJS6_EEE10hipError_tPvRmT3_T4_T5_T6_T7_T9_mT8_P12ihipStream_tbDpT10_ENKUlT_T0_E_clISt17integral_constantIbLb1EES1B_EEDaS16_S17_EUlS16_E_NS1_11comp_targetILNS1_3genE0ELNS1_11target_archE4294967295ELNS1_3gpuE0ELNS1_3repE0EEENS1_30default_config_static_selectorELNS0_4arch9wavefront6targetE0EEEvT1_: ; @_ZN7rocprim17ROCPRIM_400000_NS6detail17trampoline_kernelINS0_14default_configENS1_25partition_config_selectorILNS1_17partition_subalgoE5ExNS0_10empty_typeEbEEZZNS1_14partition_implILS5_5ELb0ES3_mN6thrust23THRUST_200600_302600_NS6detail15normal_iteratorINSA_10device_ptrIxEEEEPS6_NSA_18transform_iteratorINSB_9not_fun_tI7is_trueIxEEESF_NSA_11use_defaultESM_EENS0_5tupleIJSF_S6_EEENSO_IJSG_SG_EEES6_PlJS6_EEE10hipError_tPvRmT3_T4_T5_T6_T7_T9_mT8_P12ihipStream_tbDpT10_ENKUlT_T0_E_clISt17integral_constantIbLb1EES1B_EEDaS16_S17_EUlS16_E_NS1_11comp_targetILNS1_3genE0ELNS1_11target_archE4294967295ELNS1_3gpuE0ELNS1_3repE0EEENS1_30default_config_static_selectorELNS0_4arch9wavefront6targetE0EEEvT1_
; %bb.0:
	.section	.rodata,"a",@progbits
	.p2align	6, 0x0
	.amdhsa_kernel _ZN7rocprim17ROCPRIM_400000_NS6detail17trampoline_kernelINS0_14default_configENS1_25partition_config_selectorILNS1_17partition_subalgoE5ExNS0_10empty_typeEbEEZZNS1_14partition_implILS5_5ELb0ES3_mN6thrust23THRUST_200600_302600_NS6detail15normal_iteratorINSA_10device_ptrIxEEEEPS6_NSA_18transform_iteratorINSB_9not_fun_tI7is_trueIxEEESF_NSA_11use_defaultESM_EENS0_5tupleIJSF_S6_EEENSO_IJSG_SG_EEES6_PlJS6_EEE10hipError_tPvRmT3_T4_T5_T6_T7_T9_mT8_P12ihipStream_tbDpT10_ENKUlT_T0_E_clISt17integral_constantIbLb1EES1B_EEDaS16_S17_EUlS16_E_NS1_11comp_targetILNS1_3genE0ELNS1_11target_archE4294967295ELNS1_3gpuE0ELNS1_3repE0EEENS1_30default_config_static_selectorELNS0_4arch9wavefront6targetE0EEEvT1_
		.amdhsa_group_segment_fixed_size 0
		.amdhsa_private_segment_fixed_size 0
		.amdhsa_kernarg_size 136
		.amdhsa_user_sgpr_count 2
		.amdhsa_user_sgpr_dispatch_ptr 0
		.amdhsa_user_sgpr_queue_ptr 0
		.amdhsa_user_sgpr_kernarg_segment_ptr 1
		.amdhsa_user_sgpr_dispatch_id 0
		.amdhsa_user_sgpr_private_segment_size 0
		.amdhsa_wavefront_size32 1
		.amdhsa_uses_dynamic_stack 0
		.amdhsa_enable_private_segment 0
		.amdhsa_system_sgpr_workgroup_id_x 1
		.amdhsa_system_sgpr_workgroup_id_y 0
		.amdhsa_system_sgpr_workgroup_id_z 0
		.amdhsa_system_sgpr_workgroup_info 0
		.amdhsa_system_vgpr_workitem_id 0
		.amdhsa_next_free_vgpr 1
		.amdhsa_next_free_sgpr 1
		.amdhsa_reserve_vcc 0
		.amdhsa_float_round_mode_32 0
		.amdhsa_float_round_mode_16_64 0
		.amdhsa_float_denorm_mode_32 3
		.amdhsa_float_denorm_mode_16_64 3
		.amdhsa_fp16_overflow 0
		.amdhsa_workgroup_processor_mode 1
		.amdhsa_memory_ordered 1
		.amdhsa_forward_progress 1
		.amdhsa_inst_pref_size 0
		.amdhsa_round_robin_scheduling 0
		.amdhsa_exception_fp_ieee_invalid_op 0
		.amdhsa_exception_fp_denorm_src 0
		.amdhsa_exception_fp_ieee_div_zero 0
		.amdhsa_exception_fp_ieee_overflow 0
		.amdhsa_exception_fp_ieee_underflow 0
		.amdhsa_exception_fp_ieee_inexact 0
		.amdhsa_exception_int_div_zero 0
	.end_amdhsa_kernel
	.section	.text._ZN7rocprim17ROCPRIM_400000_NS6detail17trampoline_kernelINS0_14default_configENS1_25partition_config_selectorILNS1_17partition_subalgoE5ExNS0_10empty_typeEbEEZZNS1_14partition_implILS5_5ELb0ES3_mN6thrust23THRUST_200600_302600_NS6detail15normal_iteratorINSA_10device_ptrIxEEEEPS6_NSA_18transform_iteratorINSB_9not_fun_tI7is_trueIxEEESF_NSA_11use_defaultESM_EENS0_5tupleIJSF_S6_EEENSO_IJSG_SG_EEES6_PlJS6_EEE10hipError_tPvRmT3_T4_T5_T6_T7_T9_mT8_P12ihipStream_tbDpT10_ENKUlT_T0_E_clISt17integral_constantIbLb1EES1B_EEDaS16_S17_EUlS16_E_NS1_11comp_targetILNS1_3genE0ELNS1_11target_archE4294967295ELNS1_3gpuE0ELNS1_3repE0EEENS1_30default_config_static_selectorELNS0_4arch9wavefront6targetE0EEEvT1_,"axG",@progbits,_ZN7rocprim17ROCPRIM_400000_NS6detail17trampoline_kernelINS0_14default_configENS1_25partition_config_selectorILNS1_17partition_subalgoE5ExNS0_10empty_typeEbEEZZNS1_14partition_implILS5_5ELb0ES3_mN6thrust23THRUST_200600_302600_NS6detail15normal_iteratorINSA_10device_ptrIxEEEEPS6_NSA_18transform_iteratorINSB_9not_fun_tI7is_trueIxEEESF_NSA_11use_defaultESM_EENS0_5tupleIJSF_S6_EEENSO_IJSG_SG_EEES6_PlJS6_EEE10hipError_tPvRmT3_T4_T5_T6_T7_T9_mT8_P12ihipStream_tbDpT10_ENKUlT_T0_E_clISt17integral_constantIbLb1EES1B_EEDaS16_S17_EUlS16_E_NS1_11comp_targetILNS1_3genE0ELNS1_11target_archE4294967295ELNS1_3gpuE0ELNS1_3repE0EEENS1_30default_config_static_selectorELNS0_4arch9wavefront6targetE0EEEvT1_,comdat
.Lfunc_end1475:
	.size	_ZN7rocprim17ROCPRIM_400000_NS6detail17trampoline_kernelINS0_14default_configENS1_25partition_config_selectorILNS1_17partition_subalgoE5ExNS0_10empty_typeEbEEZZNS1_14partition_implILS5_5ELb0ES3_mN6thrust23THRUST_200600_302600_NS6detail15normal_iteratorINSA_10device_ptrIxEEEEPS6_NSA_18transform_iteratorINSB_9not_fun_tI7is_trueIxEEESF_NSA_11use_defaultESM_EENS0_5tupleIJSF_S6_EEENSO_IJSG_SG_EEES6_PlJS6_EEE10hipError_tPvRmT3_T4_T5_T6_T7_T9_mT8_P12ihipStream_tbDpT10_ENKUlT_T0_E_clISt17integral_constantIbLb1EES1B_EEDaS16_S17_EUlS16_E_NS1_11comp_targetILNS1_3genE0ELNS1_11target_archE4294967295ELNS1_3gpuE0ELNS1_3repE0EEENS1_30default_config_static_selectorELNS0_4arch9wavefront6targetE0EEEvT1_, .Lfunc_end1475-_ZN7rocprim17ROCPRIM_400000_NS6detail17trampoline_kernelINS0_14default_configENS1_25partition_config_selectorILNS1_17partition_subalgoE5ExNS0_10empty_typeEbEEZZNS1_14partition_implILS5_5ELb0ES3_mN6thrust23THRUST_200600_302600_NS6detail15normal_iteratorINSA_10device_ptrIxEEEEPS6_NSA_18transform_iteratorINSB_9not_fun_tI7is_trueIxEEESF_NSA_11use_defaultESM_EENS0_5tupleIJSF_S6_EEENSO_IJSG_SG_EEES6_PlJS6_EEE10hipError_tPvRmT3_T4_T5_T6_T7_T9_mT8_P12ihipStream_tbDpT10_ENKUlT_T0_E_clISt17integral_constantIbLb1EES1B_EEDaS16_S17_EUlS16_E_NS1_11comp_targetILNS1_3genE0ELNS1_11target_archE4294967295ELNS1_3gpuE0ELNS1_3repE0EEENS1_30default_config_static_selectorELNS0_4arch9wavefront6targetE0EEEvT1_
                                        ; -- End function
	.set _ZN7rocprim17ROCPRIM_400000_NS6detail17trampoline_kernelINS0_14default_configENS1_25partition_config_selectorILNS1_17partition_subalgoE5ExNS0_10empty_typeEbEEZZNS1_14partition_implILS5_5ELb0ES3_mN6thrust23THRUST_200600_302600_NS6detail15normal_iteratorINSA_10device_ptrIxEEEEPS6_NSA_18transform_iteratorINSB_9not_fun_tI7is_trueIxEEESF_NSA_11use_defaultESM_EENS0_5tupleIJSF_S6_EEENSO_IJSG_SG_EEES6_PlJS6_EEE10hipError_tPvRmT3_T4_T5_T6_T7_T9_mT8_P12ihipStream_tbDpT10_ENKUlT_T0_E_clISt17integral_constantIbLb1EES1B_EEDaS16_S17_EUlS16_E_NS1_11comp_targetILNS1_3genE0ELNS1_11target_archE4294967295ELNS1_3gpuE0ELNS1_3repE0EEENS1_30default_config_static_selectorELNS0_4arch9wavefront6targetE0EEEvT1_.num_vgpr, 0
	.set _ZN7rocprim17ROCPRIM_400000_NS6detail17trampoline_kernelINS0_14default_configENS1_25partition_config_selectorILNS1_17partition_subalgoE5ExNS0_10empty_typeEbEEZZNS1_14partition_implILS5_5ELb0ES3_mN6thrust23THRUST_200600_302600_NS6detail15normal_iteratorINSA_10device_ptrIxEEEEPS6_NSA_18transform_iteratorINSB_9not_fun_tI7is_trueIxEEESF_NSA_11use_defaultESM_EENS0_5tupleIJSF_S6_EEENSO_IJSG_SG_EEES6_PlJS6_EEE10hipError_tPvRmT3_T4_T5_T6_T7_T9_mT8_P12ihipStream_tbDpT10_ENKUlT_T0_E_clISt17integral_constantIbLb1EES1B_EEDaS16_S17_EUlS16_E_NS1_11comp_targetILNS1_3genE0ELNS1_11target_archE4294967295ELNS1_3gpuE0ELNS1_3repE0EEENS1_30default_config_static_selectorELNS0_4arch9wavefront6targetE0EEEvT1_.num_agpr, 0
	.set _ZN7rocprim17ROCPRIM_400000_NS6detail17trampoline_kernelINS0_14default_configENS1_25partition_config_selectorILNS1_17partition_subalgoE5ExNS0_10empty_typeEbEEZZNS1_14partition_implILS5_5ELb0ES3_mN6thrust23THRUST_200600_302600_NS6detail15normal_iteratorINSA_10device_ptrIxEEEEPS6_NSA_18transform_iteratorINSB_9not_fun_tI7is_trueIxEEESF_NSA_11use_defaultESM_EENS0_5tupleIJSF_S6_EEENSO_IJSG_SG_EEES6_PlJS6_EEE10hipError_tPvRmT3_T4_T5_T6_T7_T9_mT8_P12ihipStream_tbDpT10_ENKUlT_T0_E_clISt17integral_constantIbLb1EES1B_EEDaS16_S17_EUlS16_E_NS1_11comp_targetILNS1_3genE0ELNS1_11target_archE4294967295ELNS1_3gpuE0ELNS1_3repE0EEENS1_30default_config_static_selectorELNS0_4arch9wavefront6targetE0EEEvT1_.numbered_sgpr, 0
	.set _ZN7rocprim17ROCPRIM_400000_NS6detail17trampoline_kernelINS0_14default_configENS1_25partition_config_selectorILNS1_17partition_subalgoE5ExNS0_10empty_typeEbEEZZNS1_14partition_implILS5_5ELb0ES3_mN6thrust23THRUST_200600_302600_NS6detail15normal_iteratorINSA_10device_ptrIxEEEEPS6_NSA_18transform_iteratorINSB_9not_fun_tI7is_trueIxEEESF_NSA_11use_defaultESM_EENS0_5tupleIJSF_S6_EEENSO_IJSG_SG_EEES6_PlJS6_EEE10hipError_tPvRmT3_T4_T5_T6_T7_T9_mT8_P12ihipStream_tbDpT10_ENKUlT_T0_E_clISt17integral_constantIbLb1EES1B_EEDaS16_S17_EUlS16_E_NS1_11comp_targetILNS1_3genE0ELNS1_11target_archE4294967295ELNS1_3gpuE0ELNS1_3repE0EEENS1_30default_config_static_selectorELNS0_4arch9wavefront6targetE0EEEvT1_.num_named_barrier, 0
	.set _ZN7rocprim17ROCPRIM_400000_NS6detail17trampoline_kernelINS0_14default_configENS1_25partition_config_selectorILNS1_17partition_subalgoE5ExNS0_10empty_typeEbEEZZNS1_14partition_implILS5_5ELb0ES3_mN6thrust23THRUST_200600_302600_NS6detail15normal_iteratorINSA_10device_ptrIxEEEEPS6_NSA_18transform_iteratorINSB_9not_fun_tI7is_trueIxEEESF_NSA_11use_defaultESM_EENS0_5tupleIJSF_S6_EEENSO_IJSG_SG_EEES6_PlJS6_EEE10hipError_tPvRmT3_T4_T5_T6_T7_T9_mT8_P12ihipStream_tbDpT10_ENKUlT_T0_E_clISt17integral_constantIbLb1EES1B_EEDaS16_S17_EUlS16_E_NS1_11comp_targetILNS1_3genE0ELNS1_11target_archE4294967295ELNS1_3gpuE0ELNS1_3repE0EEENS1_30default_config_static_selectorELNS0_4arch9wavefront6targetE0EEEvT1_.private_seg_size, 0
	.set _ZN7rocprim17ROCPRIM_400000_NS6detail17trampoline_kernelINS0_14default_configENS1_25partition_config_selectorILNS1_17partition_subalgoE5ExNS0_10empty_typeEbEEZZNS1_14partition_implILS5_5ELb0ES3_mN6thrust23THRUST_200600_302600_NS6detail15normal_iteratorINSA_10device_ptrIxEEEEPS6_NSA_18transform_iteratorINSB_9not_fun_tI7is_trueIxEEESF_NSA_11use_defaultESM_EENS0_5tupleIJSF_S6_EEENSO_IJSG_SG_EEES6_PlJS6_EEE10hipError_tPvRmT3_T4_T5_T6_T7_T9_mT8_P12ihipStream_tbDpT10_ENKUlT_T0_E_clISt17integral_constantIbLb1EES1B_EEDaS16_S17_EUlS16_E_NS1_11comp_targetILNS1_3genE0ELNS1_11target_archE4294967295ELNS1_3gpuE0ELNS1_3repE0EEENS1_30default_config_static_selectorELNS0_4arch9wavefront6targetE0EEEvT1_.uses_vcc, 0
	.set _ZN7rocprim17ROCPRIM_400000_NS6detail17trampoline_kernelINS0_14default_configENS1_25partition_config_selectorILNS1_17partition_subalgoE5ExNS0_10empty_typeEbEEZZNS1_14partition_implILS5_5ELb0ES3_mN6thrust23THRUST_200600_302600_NS6detail15normal_iteratorINSA_10device_ptrIxEEEEPS6_NSA_18transform_iteratorINSB_9not_fun_tI7is_trueIxEEESF_NSA_11use_defaultESM_EENS0_5tupleIJSF_S6_EEENSO_IJSG_SG_EEES6_PlJS6_EEE10hipError_tPvRmT3_T4_T5_T6_T7_T9_mT8_P12ihipStream_tbDpT10_ENKUlT_T0_E_clISt17integral_constantIbLb1EES1B_EEDaS16_S17_EUlS16_E_NS1_11comp_targetILNS1_3genE0ELNS1_11target_archE4294967295ELNS1_3gpuE0ELNS1_3repE0EEENS1_30default_config_static_selectorELNS0_4arch9wavefront6targetE0EEEvT1_.uses_flat_scratch, 0
	.set _ZN7rocprim17ROCPRIM_400000_NS6detail17trampoline_kernelINS0_14default_configENS1_25partition_config_selectorILNS1_17partition_subalgoE5ExNS0_10empty_typeEbEEZZNS1_14partition_implILS5_5ELb0ES3_mN6thrust23THRUST_200600_302600_NS6detail15normal_iteratorINSA_10device_ptrIxEEEEPS6_NSA_18transform_iteratorINSB_9not_fun_tI7is_trueIxEEESF_NSA_11use_defaultESM_EENS0_5tupleIJSF_S6_EEENSO_IJSG_SG_EEES6_PlJS6_EEE10hipError_tPvRmT3_T4_T5_T6_T7_T9_mT8_P12ihipStream_tbDpT10_ENKUlT_T0_E_clISt17integral_constantIbLb1EES1B_EEDaS16_S17_EUlS16_E_NS1_11comp_targetILNS1_3genE0ELNS1_11target_archE4294967295ELNS1_3gpuE0ELNS1_3repE0EEENS1_30default_config_static_selectorELNS0_4arch9wavefront6targetE0EEEvT1_.has_dyn_sized_stack, 0
	.set _ZN7rocprim17ROCPRIM_400000_NS6detail17trampoline_kernelINS0_14default_configENS1_25partition_config_selectorILNS1_17partition_subalgoE5ExNS0_10empty_typeEbEEZZNS1_14partition_implILS5_5ELb0ES3_mN6thrust23THRUST_200600_302600_NS6detail15normal_iteratorINSA_10device_ptrIxEEEEPS6_NSA_18transform_iteratorINSB_9not_fun_tI7is_trueIxEEESF_NSA_11use_defaultESM_EENS0_5tupleIJSF_S6_EEENSO_IJSG_SG_EEES6_PlJS6_EEE10hipError_tPvRmT3_T4_T5_T6_T7_T9_mT8_P12ihipStream_tbDpT10_ENKUlT_T0_E_clISt17integral_constantIbLb1EES1B_EEDaS16_S17_EUlS16_E_NS1_11comp_targetILNS1_3genE0ELNS1_11target_archE4294967295ELNS1_3gpuE0ELNS1_3repE0EEENS1_30default_config_static_selectorELNS0_4arch9wavefront6targetE0EEEvT1_.has_recursion, 0
	.set _ZN7rocprim17ROCPRIM_400000_NS6detail17trampoline_kernelINS0_14default_configENS1_25partition_config_selectorILNS1_17partition_subalgoE5ExNS0_10empty_typeEbEEZZNS1_14partition_implILS5_5ELb0ES3_mN6thrust23THRUST_200600_302600_NS6detail15normal_iteratorINSA_10device_ptrIxEEEEPS6_NSA_18transform_iteratorINSB_9not_fun_tI7is_trueIxEEESF_NSA_11use_defaultESM_EENS0_5tupleIJSF_S6_EEENSO_IJSG_SG_EEES6_PlJS6_EEE10hipError_tPvRmT3_T4_T5_T6_T7_T9_mT8_P12ihipStream_tbDpT10_ENKUlT_T0_E_clISt17integral_constantIbLb1EES1B_EEDaS16_S17_EUlS16_E_NS1_11comp_targetILNS1_3genE0ELNS1_11target_archE4294967295ELNS1_3gpuE0ELNS1_3repE0EEENS1_30default_config_static_selectorELNS0_4arch9wavefront6targetE0EEEvT1_.has_indirect_call, 0
	.section	.AMDGPU.csdata,"",@progbits
; Kernel info:
; codeLenInByte = 0
; TotalNumSgprs: 0
; NumVgprs: 0
; ScratchSize: 0
; MemoryBound: 0
; FloatMode: 240
; IeeeMode: 1
; LDSByteSize: 0 bytes/workgroup (compile time only)
; SGPRBlocks: 0
; VGPRBlocks: 0
; NumSGPRsForWavesPerEU: 1
; NumVGPRsForWavesPerEU: 1
; Occupancy: 16
; WaveLimiterHint : 0
; COMPUTE_PGM_RSRC2:SCRATCH_EN: 0
; COMPUTE_PGM_RSRC2:USER_SGPR: 2
; COMPUTE_PGM_RSRC2:TRAP_HANDLER: 0
; COMPUTE_PGM_RSRC2:TGID_X_EN: 1
; COMPUTE_PGM_RSRC2:TGID_Y_EN: 0
; COMPUTE_PGM_RSRC2:TGID_Z_EN: 0
; COMPUTE_PGM_RSRC2:TIDIG_COMP_CNT: 0
	.section	.text._ZN7rocprim17ROCPRIM_400000_NS6detail17trampoline_kernelINS0_14default_configENS1_25partition_config_selectorILNS1_17partition_subalgoE5ExNS0_10empty_typeEbEEZZNS1_14partition_implILS5_5ELb0ES3_mN6thrust23THRUST_200600_302600_NS6detail15normal_iteratorINSA_10device_ptrIxEEEEPS6_NSA_18transform_iteratorINSB_9not_fun_tI7is_trueIxEEESF_NSA_11use_defaultESM_EENS0_5tupleIJSF_S6_EEENSO_IJSG_SG_EEES6_PlJS6_EEE10hipError_tPvRmT3_T4_T5_T6_T7_T9_mT8_P12ihipStream_tbDpT10_ENKUlT_T0_E_clISt17integral_constantIbLb1EES1B_EEDaS16_S17_EUlS16_E_NS1_11comp_targetILNS1_3genE5ELNS1_11target_archE942ELNS1_3gpuE9ELNS1_3repE0EEENS1_30default_config_static_selectorELNS0_4arch9wavefront6targetE0EEEvT1_,"axG",@progbits,_ZN7rocprim17ROCPRIM_400000_NS6detail17trampoline_kernelINS0_14default_configENS1_25partition_config_selectorILNS1_17partition_subalgoE5ExNS0_10empty_typeEbEEZZNS1_14partition_implILS5_5ELb0ES3_mN6thrust23THRUST_200600_302600_NS6detail15normal_iteratorINSA_10device_ptrIxEEEEPS6_NSA_18transform_iteratorINSB_9not_fun_tI7is_trueIxEEESF_NSA_11use_defaultESM_EENS0_5tupleIJSF_S6_EEENSO_IJSG_SG_EEES6_PlJS6_EEE10hipError_tPvRmT3_T4_T5_T6_T7_T9_mT8_P12ihipStream_tbDpT10_ENKUlT_T0_E_clISt17integral_constantIbLb1EES1B_EEDaS16_S17_EUlS16_E_NS1_11comp_targetILNS1_3genE5ELNS1_11target_archE942ELNS1_3gpuE9ELNS1_3repE0EEENS1_30default_config_static_selectorELNS0_4arch9wavefront6targetE0EEEvT1_,comdat
	.protected	_ZN7rocprim17ROCPRIM_400000_NS6detail17trampoline_kernelINS0_14default_configENS1_25partition_config_selectorILNS1_17partition_subalgoE5ExNS0_10empty_typeEbEEZZNS1_14partition_implILS5_5ELb0ES3_mN6thrust23THRUST_200600_302600_NS6detail15normal_iteratorINSA_10device_ptrIxEEEEPS6_NSA_18transform_iteratorINSB_9not_fun_tI7is_trueIxEEESF_NSA_11use_defaultESM_EENS0_5tupleIJSF_S6_EEENSO_IJSG_SG_EEES6_PlJS6_EEE10hipError_tPvRmT3_T4_T5_T6_T7_T9_mT8_P12ihipStream_tbDpT10_ENKUlT_T0_E_clISt17integral_constantIbLb1EES1B_EEDaS16_S17_EUlS16_E_NS1_11comp_targetILNS1_3genE5ELNS1_11target_archE942ELNS1_3gpuE9ELNS1_3repE0EEENS1_30default_config_static_selectorELNS0_4arch9wavefront6targetE0EEEvT1_ ; -- Begin function _ZN7rocprim17ROCPRIM_400000_NS6detail17trampoline_kernelINS0_14default_configENS1_25partition_config_selectorILNS1_17partition_subalgoE5ExNS0_10empty_typeEbEEZZNS1_14partition_implILS5_5ELb0ES3_mN6thrust23THRUST_200600_302600_NS6detail15normal_iteratorINSA_10device_ptrIxEEEEPS6_NSA_18transform_iteratorINSB_9not_fun_tI7is_trueIxEEESF_NSA_11use_defaultESM_EENS0_5tupleIJSF_S6_EEENSO_IJSG_SG_EEES6_PlJS6_EEE10hipError_tPvRmT3_T4_T5_T6_T7_T9_mT8_P12ihipStream_tbDpT10_ENKUlT_T0_E_clISt17integral_constantIbLb1EES1B_EEDaS16_S17_EUlS16_E_NS1_11comp_targetILNS1_3genE5ELNS1_11target_archE942ELNS1_3gpuE9ELNS1_3repE0EEENS1_30default_config_static_selectorELNS0_4arch9wavefront6targetE0EEEvT1_
	.globl	_ZN7rocprim17ROCPRIM_400000_NS6detail17trampoline_kernelINS0_14default_configENS1_25partition_config_selectorILNS1_17partition_subalgoE5ExNS0_10empty_typeEbEEZZNS1_14partition_implILS5_5ELb0ES3_mN6thrust23THRUST_200600_302600_NS6detail15normal_iteratorINSA_10device_ptrIxEEEEPS6_NSA_18transform_iteratorINSB_9not_fun_tI7is_trueIxEEESF_NSA_11use_defaultESM_EENS0_5tupleIJSF_S6_EEENSO_IJSG_SG_EEES6_PlJS6_EEE10hipError_tPvRmT3_T4_T5_T6_T7_T9_mT8_P12ihipStream_tbDpT10_ENKUlT_T0_E_clISt17integral_constantIbLb1EES1B_EEDaS16_S17_EUlS16_E_NS1_11comp_targetILNS1_3genE5ELNS1_11target_archE942ELNS1_3gpuE9ELNS1_3repE0EEENS1_30default_config_static_selectorELNS0_4arch9wavefront6targetE0EEEvT1_
	.p2align	8
	.type	_ZN7rocprim17ROCPRIM_400000_NS6detail17trampoline_kernelINS0_14default_configENS1_25partition_config_selectorILNS1_17partition_subalgoE5ExNS0_10empty_typeEbEEZZNS1_14partition_implILS5_5ELb0ES3_mN6thrust23THRUST_200600_302600_NS6detail15normal_iteratorINSA_10device_ptrIxEEEEPS6_NSA_18transform_iteratorINSB_9not_fun_tI7is_trueIxEEESF_NSA_11use_defaultESM_EENS0_5tupleIJSF_S6_EEENSO_IJSG_SG_EEES6_PlJS6_EEE10hipError_tPvRmT3_T4_T5_T6_T7_T9_mT8_P12ihipStream_tbDpT10_ENKUlT_T0_E_clISt17integral_constantIbLb1EES1B_EEDaS16_S17_EUlS16_E_NS1_11comp_targetILNS1_3genE5ELNS1_11target_archE942ELNS1_3gpuE9ELNS1_3repE0EEENS1_30default_config_static_selectorELNS0_4arch9wavefront6targetE0EEEvT1_,@function
_ZN7rocprim17ROCPRIM_400000_NS6detail17trampoline_kernelINS0_14default_configENS1_25partition_config_selectorILNS1_17partition_subalgoE5ExNS0_10empty_typeEbEEZZNS1_14partition_implILS5_5ELb0ES3_mN6thrust23THRUST_200600_302600_NS6detail15normal_iteratorINSA_10device_ptrIxEEEEPS6_NSA_18transform_iteratorINSB_9not_fun_tI7is_trueIxEEESF_NSA_11use_defaultESM_EENS0_5tupleIJSF_S6_EEENSO_IJSG_SG_EEES6_PlJS6_EEE10hipError_tPvRmT3_T4_T5_T6_T7_T9_mT8_P12ihipStream_tbDpT10_ENKUlT_T0_E_clISt17integral_constantIbLb1EES1B_EEDaS16_S17_EUlS16_E_NS1_11comp_targetILNS1_3genE5ELNS1_11target_archE942ELNS1_3gpuE9ELNS1_3repE0EEENS1_30default_config_static_selectorELNS0_4arch9wavefront6targetE0EEEvT1_: ; @_ZN7rocprim17ROCPRIM_400000_NS6detail17trampoline_kernelINS0_14default_configENS1_25partition_config_selectorILNS1_17partition_subalgoE5ExNS0_10empty_typeEbEEZZNS1_14partition_implILS5_5ELb0ES3_mN6thrust23THRUST_200600_302600_NS6detail15normal_iteratorINSA_10device_ptrIxEEEEPS6_NSA_18transform_iteratorINSB_9not_fun_tI7is_trueIxEEESF_NSA_11use_defaultESM_EENS0_5tupleIJSF_S6_EEENSO_IJSG_SG_EEES6_PlJS6_EEE10hipError_tPvRmT3_T4_T5_T6_T7_T9_mT8_P12ihipStream_tbDpT10_ENKUlT_T0_E_clISt17integral_constantIbLb1EES1B_EEDaS16_S17_EUlS16_E_NS1_11comp_targetILNS1_3genE5ELNS1_11target_archE942ELNS1_3gpuE9ELNS1_3repE0EEENS1_30default_config_static_selectorELNS0_4arch9wavefront6targetE0EEEvT1_
; %bb.0:
	.section	.rodata,"a",@progbits
	.p2align	6, 0x0
	.amdhsa_kernel _ZN7rocprim17ROCPRIM_400000_NS6detail17trampoline_kernelINS0_14default_configENS1_25partition_config_selectorILNS1_17partition_subalgoE5ExNS0_10empty_typeEbEEZZNS1_14partition_implILS5_5ELb0ES3_mN6thrust23THRUST_200600_302600_NS6detail15normal_iteratorINSA_10device_ptrIxEEEEPS6_NSA_18transform_iteratorINSB_9not_fun_tI7is_trueIxEEESF_NSA_11use_defaultESM_EENS0_5tupleIJSF_S6_EEENSO_IJSG_SG_EEES6_PlJS6_EEE10hipError_tPvRmT3_T4_T5_T6_T7_T9_mT8_P12ihipStream_tbDpT10_ENKUlT_T0_E_clISt17integral_constantIbLb1EES1B_EEDaS16_S17_EUlS16_E_NS1_11comp_targetILNS1_3genE5ELNS1_11target_archE942ELNS1_3gpuE9ELNS1_3repE0EEENS1_30default_config_static_selectorELNS0_4arch9wavefront6targetE0EEEvT1_
		.amdhsa_group_segment_fixed_size 0
		.amdhsa_private_segment_fixed_size 0
		.amdhsa_kernarg_size 136
		.amdhsa_user_sgpr_count 2
		.amdhsa_user_sgpr_dispatch_ptr 0
		.amdhsa_user_sgpr_queue_ptr 0
		.amdhsa_user_sgpr_kernarg_segment_ptr 1
		.amdhsa_user_sgpr_dispatch_id 0
		.amdhsa_user_sgpr_private_segment_size 0
		.amdhsa_wavefront_size32 1
		.amdhsa_uses_dynamic_stack 0
		.amdhsa_enable_private_segment 0
		.amdhsa_system_sgpr_workgroup_id_x 1
		.amdhsa_system_sgpr_workgroup_id_y 0
		.amdhsa_system_sgpr_workgroup_id_z 0
		.amdhsa_system_sgpr_workgroup_info 0
		.amdhsa_system_vgpr_workitem_id 0
		.amdhsa_next_free_vgpr 1
		.amdhsa_next_free_sgpr 1
		.amdhsa_reserve_vcc 0
		.amdhsa_float_round_mode_32 0
		.amdhsa_float_round_mode_16_64 0
		.amdhsa_float_denorm_mode_32 3
		.amdhsa_float_denorm_mode_16_64 3
		.amdhsa_fp16_overflow 0
		.amdhsa_workgroup_processor_mode 1
		.amdhsa_memory_ordered 1
		.amdhsa_forward_progress 1
		.amdhsa_inst_pref_size 0
		.amdhsa_round_robin_scheduling 0
		.amdhsa_exception_fp_ieee_invalid_op 0
		.amdhsa_exception_fp_denorm_src 0
		.amdhsa_exception_fp_ieee_div_zero 0
		.amdhsa_exception_fp_ieee_overflow 0
		.amdhsa_exception_fp_ieee_underflow 0
		.amdhsa_exception_fp_ieee_inexact 0
		.amdhsa_exception_int_div_zero 0
	.end_amdhsa_kernel
	.section	.text._ZN7rocprim17ROCPRIM_400000_NS6detail17trampoline_kernelINS0_14default_configENS1_25partition_config_selectorILNS1_17partition_subalgoE5ExNS0_10empty_typeEbEEZZNS1_14partition_implILS5_5ELb0ES3_mN6thrust23THRUST_200600_302600_NS6detail15normal_iteratorINSA_10device_ptrIxEEEEPS6_NSA_18transform_iteratorINSB_9not_fun_tI7is_trueIxEEESF_NSA_11use_defaultESM_EENS0_5tupleIJSF_S6_EEENSO_IJSG_SG_EEES6_PlJS6_EEE10hipError_tPvRmT3_T4_T5_T6_T7_T9_mT8_P12ihipStream_tbDpT10_ENKUlT_T0_E_clISt17integral_constantIbLb1EES1B_EEDaS16_S17_EUlS16_E_NS1_11comp_targetILNS1_3genE5ELNS1_11target_archE942ELNS1_3gpuE9ELNS1_3repE0EEENS1_30default_config_static_selectorELNS0_4arch9wavefront6targetE0EEEvT1_,"axG",@progbits,_ZN7rocprim17ROCPRIM_400000_NS6detail17trampoline_kernelINS0_14default_configENS1_25partition_config_selectorILNS1_17partition_subalgoE5ExNS0_10empty_typeEbEEZZNS1_14partition_implILS5_5ELb0ES3_mN6thrust23THRUST_200600_302600_NS6detail15normal_iteratorINSA_10device_ptrIxEEEEPS6_NSA_18transform_iteratorINSB_9not_fun_tI7is_trueIxEEESF_NSA_11use_defaultESM_EENS0_5tupleIJSF_S6_EEENSO_IJSG_SG_EEES6_PlJS6_EEE10hipError_tPvRmT3_T4_T5_T6_T7_T9_mT8_P12ihipStream_tbDpT10_ENKUlT_T0_E_clISt17integral_constantIbLb1EES1B_EEDaS16_S17_EUlS16_E_NS1_11comp_targetILNS1_3genE5ELNS1_11target_archE942ELNS1_3gpuE9ELNS1_3repE0EEENS1_30default_config_static_selectorELNS0_4arch9wavefront6targetE0EEEvT1_,comdat
.Lfunc_end1476:
	.size	_ZN7rocprim17ROCPRIM_400000_NS6detail17trampoline_kernelINS0_14default_configENS1_25partition_config_selectorILNS1_17partition_subalgoE5ExNS0_10empty_typeEbEEZZNS1_14partition_implILS5_5ELb0ES3_mN6thrust23THRUST_200600_302600_NS6detail15normal_iteratorINSA_10device_ptrIxEEEEPS6_NSA_18transform_iteratorINSB_9not_fun_tI7is_trueIxEEESF_NSA_11use_defaultESM_EENS0_5tupleIJSF_S6_EEENSO_IJSG_SG_EEES6_PlJS6_EEE10hipError_tPvRmT3_T4_T5_T6_T7_T9_mT8_P12ihipStream_tbDpT10_ENKUlT_T0_E_clISt17integral_constantIbLb1EES1B_EEDaS16_S17_EUlS16_E_NS1_11comp_targetILNS1_3genE5ELNS1_11target_archE942ELNS1_3gpuE9ELNS1_3repE0EEENS1_30default_config_static_selectorELNS0_4arch9wavefront6targetE0EEEvT1_, .Lfunc_end1476-_ZN7rocprim17ROCPRIM_400000_NS6detail17trampoline_kernelINS0_14default_configENS1_25partition_config_selectorILNS1_17partition_subalgoE5ExNS0_10empty_typeEbEEZZNS1_14partition_implILS5_5ELb0ES3_mN6thrust23THRUST_200600_302600_NS6detail15normal_iteratorINSA_10device_ptrIxEEEEPS6_NSA_18transform_iteratorINSB_9not_fun_tI7is_trueIxEEESF_NSA_11use_defaultESM_EENS0_5tupleIJSF_S6_EEENSO_IJSG_SG_EEES6_PlJS6_EEE10hipError_tPvRmT3_T4_T5_T6_T7_T9_mT8_P12ihipStream_tbDpT10_ENKUlT_T0_E_clISt17integral_constantIbLb1EES1B_EEDaS16_S17_EUlS16_E_NS1_11comp_targetILNS1_3genE5ELNS1_11target_archE942ELNS1_3gpuE9ELNS1_3repE0EEENS1_30default_config_static_selectorELNS0_4arch9wavefront6targetE0EEEvT1_
                                        ; -- End function
	.set _ZN7rocprim17ROCPRIM_400000_NS6detail17trampoline_kernelINS0_14default_configENS1_25partition_config_selectorILNS1_17partition_subalgoE5ExNS0_10empty_typeEbEEZZNS1_14partition_implILS5_5ELb0ES3_mN6thrust23THRUST_200600_302600_NS6detail15normal_iteratorINSA_10device_ptrIxEEEEPS6_NSA_18transform_iteratorINSB_9not_fun_tI7is_trueIxEEESF_NSA_11use_defaultESM_EENS0_5tupleIJSF_S6_EEENSO_IJSG_SG_EEES6_PlJS6_EEE10hipError_tPvRmT3_T4_T5_T6_T7_T9_mT8_P12ihipStream_tbDpT10_ENKUlT_T0_E_clISt17integral_constantIbLb1EES1B_EEDaS16_S17_EUlS16_E_NS1_11comp_targetILNS1_3genE5ELNS1_11target_archE942ELNS1_3gpuE9ELNS1_3repE0EEENS1_30default_config_static_selectorELNS0_4arch9wavefront6targetE0EEEvT1_.num_vgpr, 0
	.set _ZN7rocprim17ROCPRIM_400000_NS6detail17trampoline_kernelINS0_14default_configENS1_25partition_config_selectorILNS1_17partition_subalgoE5ExNS0_10empty_typeEbEEZZNS1_14partition_implILS5_5ELb0ES3_mN6thrust23THRUST_200600_302600_NS6detail15normal_iteratorINSA_10device_ptrIxEEEEPS6_NSA_18transform_iteratorINSB_9not_fun_tI7is_trueIxEEESF_NSA_11use_defaultESM_EENS0_5tupleIJSF_S6_EEENSO_IJSG_SG_EEES6_PlJS6_EEE10hipError_tPvRmT3_T4_T5_T6_T7_T9_mT8_P12ihipStream_tbDpT10_ENKUlT_T0_E_clISt17integral_constantIbLb1EES1B_EEDaS16_S17_EUlS16_E_NS1_11comp_targetILNS1_3genE5ELNS1_11target_archE942ELNS1_3gpuE9ELNS1_3repE0EEENS1_30default_config_static_selectorELNS0_4arch9wavefront6targetE0EEEvT1_.num_agpr, 0
	.set _ZN7rocprim17ROCPRIM_400000_NS6detail17trampoline_kernelINS0_14default_configENS1_25partition_config_selectorILNS1_17partition_subalgoE5ExNS0_10empty_typeEbEEZZNS1_14partition_implILS5_5ELb0ES3_mN6thrust23THRUST_200600_302600_NS6detail15normal_iteratorINSA_10device_ptrIxEEEEPS6_NSA_18transform_iteratorINSB_9not_fun_tI7is_trueIxEEESF_NSA_11use_defaultESM_EENS0_5tupleIJSF_S6_EEENSO_IJSG_SG_EEES6_PlJS6_EEE10hipError_tPvRmT3_T4_T5_T6_T7_T9_mT8_P12ihipStream_tbDpT10_ENKUlT_T0_E_clISt17integral_constantIbLb1EES1B_EEDaS16_S17_EUlS16_E_NS1_11comp_targetILNS1_3genE5ELNS1_11target_archE942ELNS1_3gpuE9ELNS1_3repE0EEENS1_30default_config_static_selectorELNS0_4arch9wavefront6targetE0EEEvT1_.numbered_sgpr, 0
	.set _ZN7rocprim17ROCPRIM_400000_NS6detail17trampoline_kernelINS0_14default_configENS1_25partition_config_selectorILNS1_17partition_subalgoE5ExNS0_10empty_typeEbEEZZNS1_14partition_implILS5_5ELb0ES3_mN6thrust23THRUST_200600_302600_NS6detail15normal_iteratorINSA_10device_ptrIxEEEEPS6_NSA_18transform_iteratorINSB_9not_fun_tI7is_trueIxEEESF_NSA_11use_defaultESM_EENS0_5tupleIJSF_S6_EEENSO_IJSG_SG_EEES6_PlJS6_EEE10hipError_tPvRmT3_T4_T5_T6_T7_T9_mT8_P12ihipStream_tbDpT10_ENKUlT_T0_E_clISt17integral_constantIbLb1EES1B_EEDaS16_S17_EUlS16_E_NS1_11comp_targetILNS1_3genE5ELNS1_11target_archE942ELNS1_3gpuE9ELNS1_3repE0EEENS1_30default_config_static_selectorELNS0_4arch9wavefront6targetE0EEEvT1_.num_named_barrier, 0
	.set _ZN7rocprim17ROCPRIM_400000_NS6detail17trampoline_kernelINS0_14default_configENS1_25partition_config_selectorILNS1_17partition_subalgoE5ExNS0_10empty_typeEbEEZZNS1_14partition_implILS5_5ELb0ES3_mN6thrust23THRUST_200600_302600_NS6detail15normal_iteratorINSA_10device_ptrIxEEEEPS6_NSA_18transform_iteratorINSB_9not_fun_tI7is_trueIxEEESF_NSA_11use_defaultESM_EENS0_5tupleIJSF_S6_EEENSO_IJSG_SG_EEES6_PlJS6_EEE10hipError_tPvRmT3_T4_T5_T6_T7_T9_mT8_P12ihipStream_tbDpT10_ENKUlT_T0_E_clISt17integral_constantIbLb1EES1B_EEDaS16_S17_EUlS16_E_NS1_11comp_targetILNS1_3genE5ELNS1_11target_archE942ELNS1_3gpuE9ELNS1_3repE0EEENS1_30default_config_static_selectorELNS0_4arch9wavefront6targetE0EEEvT1_.private_seg_size, 0
	.set _ZN7rocprim17ROCPRIM_400000_NS6detail17trampoline_kernelINS0_14default_configENS1_25partition_config_selectorILNS1_17partition_subalgoE5ExNS0_10empty_typeEbEEZZNS1_14partition_implILS5_5ELb0ES3_mN6thrust23THRUST_200600_302600_NS6detail15normal_iteratorINSA_10device_ptrIxEEEEPS6_NSA_18transform_iteratorINSB_9not_fun_tI7is_trueIxEEESF_NSA_11use_defaultESM_EENS0_5tupleIJSF_S6_EEENSO_IJSG_SG_EEES6_PlJS6_EEE10hipError_tPvRmT3_T4_T5_T6_T7_T9_mT8_P12ihipStream_tbDpT10_ENKUlT_T0_E_clISt17integral_constantIbLb1EES1B_EEDaS16_S17_EUlS16_E_NS1_11comp_targetILNS1_3genE5ELNS1_11target_archE942ELNS1_3gpuE9ELNS1_3repE0EEENS1_30default_config_static_selectorELNS0_4arch9wavefront6targetE0EEEvT1_.uses_vcc, 0
	.set _ZN7rocprim17ROCPRIM_400000_NS6detail17trampoline_kernelINS0_14default_configENS1_25partition_config_selectorILNS1_17partition_subalgoE5ExNS0_10empty_typeEbEEZZNS1_14partition_implILS5_5ELb0ES3_mN6thrust23THRUST_200600_302600_NS6detail15normal_iteratorINSA_10device_ptrIxEEEEPS6_NSA_18transform_iteratorINSB_9not_fun_tI7is_trueIxEEESF_NSA_11use_defaultESM_EENS0_5tupleIJSF_S6_EEENSO_IJSG_SG_EEES6_PlJS6_EEE10hipError_tPvRmT3_T4_T5_T6_T7_T9_mT8_P12ihipStream_tbDpT10_ENKUlT_T0_E_clISt17integral_constantIbLb1EES1B_EEDaS16_S17_EUlS16_E_NS1_11comp_targetILNS1_3genE5ELNS1_11target_archE942ELNS1_3gpuE9ELNS1_3repE0EEENS1_30default_config_static_selectorELNS0_4arch9wavefront6targetE0EEEvT1_.uses_flat_scratch, 0
	.set _ZN7rocprim17ROCPRIM_400000_NS6detail17trampoline_kernelINS0_14default_configENS1_25partition_config_selectorILNS1_17partition_subalgoE5ExNS0_10empty_typeEbEEZZNS1_14partition_implILS5_5ELb0ES3_mN6thrust23THRUST_200600_302600_NS6detail15normal_iteratorINSA_10device_ptrIxEEEEPS6_NSA_18transform_iteratorINSB_9not_fun_tI7is_trueIxEEESF_NSA_11use_defaultESM_EENS0_5tupleIJSF_S6_EEENSO_IJSG_SG_EEES6_PlJS6_EEE10hipError_tPvRmT3_T4_T5_T6_T7_T9_mT8_P12ihipStream_tbDpT10_ENKUlT_T0_E_clISt17integral_constantIbLb1EES1B_EEDaS16_S17_EUlS16_E_NS1_11comp_targetILNS1_3genE5ELNS1_11target_archE942ELNS1_3gpuE9ELNS1_3repE0EEENS1_30default_config_static_selectorELNS0_4arch9wavefront6targetE0EEEvT1_.has_dyn_sized_stack, 0
	.set _ZN7rocprim17ROCPRIM_400000_NS6detail17trampoline_kernelINS0_14default_configENS1_25partition_config_selectorILNS1_17partition_subalgoE5ExNS0_10empty_typeEbEEZZNS1_14partition_implILS5_5ELb0ES3_mN6thrust23THRUST_200600_302600_NS6detail15normal_iteratorINSA_10device_ptrIxEEEEPS6_NSA_18transform_iteratorINSB_9not_fun_tI7is_trueIxEEESF_NSA_11use_defaultESM_EENS0_5tupleIJSF_S6_EEENSO_IJSG_SG_EEES6_PlJS6_EEE10hipError_tPvRmT3_T4_T5_T6_T7_T9_mT8_P12ihipStream_tbDpT10_ENKUlT_T0_E_clISt17integral_constantIbLb1EES1B_EEDaS16_S17_EUlS16_E_NS1_11comp_targetILNS1_3genE5ELNS1_11target_archE942ELNS1_3gpuE9ELNS1_3repE0EEENS1_30default_config_static_selectorELNS0_4arch9wavefront6targetE0EEEvT1_.has_recursion, 0
	.set _ZN7rocprim17ROCPRIM_400000_NS6detail17trampoline_kernelINS0_14default_configENS1_25partition_config_selectorILNS1_17partition_subalgoE5ExNS0_10empty_typeEbEEZZNS1_14partition_implILS5_5ELb0ES3_mN6thrust23THRUST_200600_302600_NS6detail15normal_iteratorINSA_10device_ptrIxEEEEPS6_NSA_18transform_iteratorINSB_9not_fun_tI7is_trueIxEEESF_NSA_11use_defaultESM_EENS0_5tupleIJSF_S6_EEENSO_IJSG_SG_EEES6_PlJS6_EEE10hipError_tPvRmT3_T4_T5_T6_T7_T9_mT8_P12ihipStream_tbDpT10_ENKUlT_T0_E_clISt17integral_constantIbLb1EES1B_EEDaS16_S17_EUlS16_E_NS1_11comp_targetILNS1_3genE5ELNS1_11target_archE942ELNS1_3gpuE9ELNS1_3repE0EEENS1_30default_config_static_selectorELNS0_4arch9wavefront6targetE0EEEvT1_.has_indirect_call, 0
	.section	.AMDGPU.csdata,"",@progbits
; Kernel info:
; codeLenInByte = 0
; TotalNumSgprs: 0
; NumVgprs: 0
; ScratchSize: 0
; MemoryBound: 0
; FloatMode: 240
; IeeeMode: 1
; LDSByteSize: 0 bytes/workgroup (compile time only)
; SGPRBlocks: 0
; VGPRBlocks: 0
; NumSGPRsForWavesPerEU: 1
; NumVGPRsForWavesPerEU: 1
; Occupancy: 16
; WaveLimiterHint : 0
; COMPUTE_PGM_RSRC2:SCRATCH_EN: 0
; COMPUTE_PGM_RSRC2:USER_SGPR: 2
; COMPUTE_PGM_RSRC2:TRAP_HANDLER: 0
; COMPUTE_PGM_RSRC2:TGID_X_EN: 1
; COMPUTE_PGM_RSRC2:TGID_Y_EN: 0
; COMPUTE_PGM_RSRC2:TGID_Z_EN: 0
; COMPUTE_PGM_RSRC2:TIDIG_COMP_CNT: 0
	.section	.text._ZN7rocprim17ROCPRIM_400000_NS6detail17trampoline_kernelINS0_14default_configENS1_25partition_config_selectorILNS1_17partition_subalgoE5ExNS0_10empty_typeEbEEZZNS1_14partition_implILS5_5ELb0ES3_mN6thrust23THRUST_200600_302600_NS6detail15normal_iteratorINSA_10device_ptrIxEEEEPS6_NSA_18transform_iteratorINSB_9not_fun_tI7is_trueIxEEESF_NSA_11use_defaultESM_EENS0_5tupleIJSF_S6_EEENSO_IJSG_SG_EEES6_PlJS6_EEE10hipError_tPvRmT3_T4_T5_T6_T7_T9_mT8_P12ihipStream_tbDpT10_ENKUlT_T0_E_clISt17integral_constantIbLb1EES1B_EEDaS16_S17_EUlS16_E_NS1_11comp_targetILNS1_3genE4ELNS1_11target_archE910ELNS1_3gpuE8ELNS1_3repE0EEENS1_30default_config_static_selectorELNS0_4arch9wavefront6targetE0EEEvT1_,"axG",@progbits,_ZN7rocprim17ROCPRIM_400000_NS6detail17trampoline_kernelINS0_14default_configENS1_25partition_config_selectorILNS1_17partition_subalgoE5ExNS0_10empty_typeEbEEZZNS1_14partition_implILS5_5ELb0ES3_mN6thrust23THRUST_200600_302600_NS6detail15normal_iteratorINSA_10device_ptrIxEEEEPS6_NSA_18transform_iteratorINSB_9not_fun_tI7is_trueIxEEESF_NSA_11use_defaultESM_EENS0_5tupleIJSF_S6_EEENSO_IJSG_SG_EEES6_PlJS6_EEE10hipError_tPvRmT3_T4_T5_T6_T7_T9_mT8_P12ihipStream_tbDpT10_ENKUlT_T0_E_clISt17integral_constantIbLb1EES1B_EEDaS16_S17_EUlS16_E_NS1_11comp_targetILNS1_3genE4ELNS1_11target_archE910ELNS1_3gpuE8ELNS1_3repE0EEENS1_30default_config_static_selectorELNS0_4arch9wavefront6targetE0EEEvT1_,comdat
	.protected	_ZN7rocprim17ROCPRIM_400000_NS6detail17trampoline_kernelINS0_14default_configENS1_25partition_config_selectorILNS1_17partition_subalgoE5ExNS0_10empty_typeEbEEZZNS1_14partition_implILS5_5ELb0ES3_mN6thrust23THRUST_200600_302600_NS6detail15normal_iteratorINSA_10device_ptrIxEEEEPS6_NSA_18transform_iteratorINSB_9not_fun_tI7is_trueIxEEESF_NSA_11use_defaultESM_EENS0_5tupleIJSF_S6_EEENSO_IJSG_SG_EEES6_PlJS6_EEE10hipError_tPvRmT3_T4_T5_T6_T7_T9_mT8_P12ihipStream_tbDpT10_ENKUlT_T0_E_clISt17integral_constantIbLb1EES1B_EEDaS16_S17_EUlS16_E_NS1_11comp_targetILNS1_3genE4ELNS1_11target_archE910ELNS1_3gpuE8ELNS1_3repE0EEENS1_30default_config_static_selectorELNS0_4arch9wavefront6targetE0EEEvT1_ ; -- Begin function _ZN7rocprim17ROCPRIM_400000_NS6detail17trampoline_kernelINS0_14default_configENS1_25partition_config_selectorILNS1_17partition_subalgoE5ExNS0_10empty_typeEbEEZZNS1_14partition_implILS5_5ELb0ES3_mN6thrust23THRUST_200600_302600_NS6detail15normal_iteratorINSA_10device_ptrIxEEEEPS6_NSA_18transform_iteratorINSB_9not_fun_tI7is_trueIxEEESF_NSA_11use_defaultESM_EENS0_5tupleIJSF_S6_EEENSO_IJSG_SG_EEES6_PlJS6_EEE10hipError_tPvRmT3_T4_T5_T6_T7_T9_mT8_P12ihipStream_tbDpT10_ENKUlT_T0_E_clISt17integral_constantIbLb1EES1B_EEDaS16_S17_EUlS16_E_NS1_11comp_targetILNS1_3genE4ELNS1_11target_archE910ELNS1_3gpuE8ELNS1_3repE0EEENS1_30default_config_static_selectorELNS0_4arch9wavefront6targetE0EEEvT1_
	.globl	_ZN7rocprim17ROCPRIM_400000_NS6detail17trampoline_kernelINS0_14default_configENS1_25partition_config_selectorILNS1_17partition_subalgoE5ExNS0_10empty_typeEbEEZZNS1_14partition_implILS5_5ELb0ES3_mN6thrust23THRUST_200600_302600_NS6detail15normal_iteratorINSA_10device_ptrIxEEEEPS6_NSA_18transform_iteratorINSB_9not_fun_tI7is_trueIxEEESF_NSA_11use_defaultESM_EENS0_5tupleIJSF_S6_EEENSO_IJSG_SG_EEES6_PlJS6_EEE10hipError_tPvRmT3_T4_T5_T6_T7_T9_mT8_P12ihipStream_tbDpT10_ENKUlT_T0_E_clISt17integral_constantIbLb1EES1B_EEDaS16_S17_EUlS16_E_NS1_11comp_targetILNS1_3genE4ELNS1_11target_archE910ELNS1_3gpuE8ELNS1_3repE0EEENS1_30default_config_static_selectorELNS0_4arch9wavefront6targetE0EEEvT1_
	.p2align	8
	.type	_ZN7rocprim17ROCPRIM_400000_NS6detail17trampoline_kernelINS0_14default_configENS1_25partition_config_selectorILNS1_17partition_subalgoE5ExNS0_10empty_typeEbEEZZNS1_14partition_implILS5_5ELb0ES3_mN6thrust23THRUST_200600_302600_NS6detail15normal_iteratorINSA_10device_ptrIxEEEEPS6_NSA_18transform_iteratorINSB_9not_fun_tI7is_trueIxEEESF_NSA_11use_defaultESM_EENS0_5tupleIJSF_S6_EEENSO_IJSG_SG_EEES6_PlJS6_EEE10hipError_tPvRmT3_T4_T5_T6_T7_T9_mT8_P12ihipStream_tbDpT10_ENKUlT_T0_E_clISt17integral_constantIbLb1EES1B_EEDaS16_S17_EUlS16_E_NS1_11comp_targetILNS1_3genE4ELNS1_11target_archE910ELNS1_3gpuE8ELNS1_3repE0EEENS1_30default_config_static_selectorELNS0_4arch9wavefront6targetE0EEEvT1_,@function
_ZN7rocprim17ROCPRIM_400000_NS6detail17trampoline_kernelINS0_14default_configENS1_25partition_config_selectorILNS1_17partition_subalgoE5ExNS0_10empty_typeEbEEZZNS1_14partition_implILS5_5ELb0ES3_mN6thrust23THRUST_200600_302600_NS6detail15normal_iteratorINSA_10device_ptrIxEEEEPS6_NSA_18transform_iteratorINSB_9not_fun_tI7is_trueIxEEESF_NSA_11use_defaultESM_EENS0_5tupleIJSF_S6_EEENSO_IJSG_SG_EEES6_PlJS6_EEE10hipError_tPvRmT3_T4_T5_T6_T7_T9_mT8_P12ihipStream_tbDpT10_ENKUlT_T0_E_clISt17integral_constantIbLb1EES1B_EEDaS16_S17_EUlS16_E_NS1_11comp_targetILNS1_3genE4ELNS1_11target_archE910ELNS1_3gpuE8ELNS1_3repE0EEENS1_30default_config_static_selectorELNS0_4arch9wavefront6targetE0EEEvT1_: ; @_ZN7rocprim17ROCPRIM_400000_NS6detail17trampoline_kernelINS0_14default_configENS1_25partition_config_selectorILNS1_17partition_subalgoE5ExNS0_10empty_typeEbEEZZNS1_14partition_implILS5_5ELb0ES3_mN6thrust23THRUST_200600_302600_NS6detail15normal_iteratorINSA_10device_ptrIxEEEEPS6_NSA_18transform_iteratorINSB_9not_fun_tI7is_trueIxEEESF_NSA_11use_defaultESM_EENS0_5tupleIJSF_S6_EEENSO_IJSG_SG_EEES6_PlJS6_EEE10hipError_tPvRmT3_T4_T5_T6_T7_T9_mT8_P12ihipStream_tbDpT10_ENKUlT_T0_E_clISt17integral_constantIbLb1EES1B_EEDaS16_S17_EUlS16_E_NS1_11comp_targetILNS1_3genE4ELNS1_11target_archE910ELNS1_3gpuE8ELNS1_3repE0EEENS1_30default_config_static_selectorELNS0_4arch9wavefront6targetE0EEEvT1_
; %bb.0:
	.section	.rodata,"a",@progbits
	.p2align	6, 0x0
	.amdhsa_kernel _ZN7rocprim17ROCPRIM_400000_NS6detail17trampoline_kernelINS0_14default_configENS1_25partition_config_selectorILNS1_17partition_subalgoE5ExNS0_10empty_typeEbEEZZNS1_14partition_implILS5_5ELb0ES3_mN6thrust23THRUST_200600_302600_NS6detail15normal_iteratorINSA_10device_ptrIxEEEEPS6_NSA_18transform_iteratorINSB_9not_fun_tI7is_trueIxEEESF_NSA_11use_defaultESM_EENS0_5tupleIJSF_S6_EEENSO_IJSG_SG_EEES6_PlJS6_EEE10hipError_tPvRmT3_T4_T5_T6_T7_T9_mT8_P12ihipStream_tbDpT10_ENKUlT_T0_E_clISt17integral_constantIbLb1EES1B_EEDaS16_S17_EUlS16_E_NS1_11comp_targetILNS1_3genE4ELNS1_11target_archE910ELNS1_3gpuE8ELNS1_3repE0EEENS1_30default_config_static_selectorELNS0_4arch9wavefront6targetE0EEEvT1_
		.amdhsa_group_segment_fixed_size 0
		.amdhsa_private_segment_fixed_size 0
		.amdhsa_kernarg_size 136
		.amdhsa_user_sgpr_count 2
		.amdhsa_user_sgpr_dispatch_ptr 0
		.amdhsa_user_sgpr_queue_ptr 0
		.amdhsa_user_sgpr_kernarg_segment_ptr 1
		.amdhsa_user_sgpr_dispatch_id 0
		.amdhsa_user_sgpr_private_segment_size 0
		.amdhsa_wavefront_size32 1
		.amdhsa_uses_dynamic_stack 0
		.amdhsa_enable_private_segment 0
		.amdhsa_system_sgpr_workgroup_id_x 1
		.amdhsa_system_sgpr_workgroup_id_y 0
		.amdhsa_system_sgpr_workgroup_id_z 0
		.amdhsa_system_sgpr_workgroup_info 0
		.amdhsa_system_vgpr_workitem_id 0
		.amdhsa_next_free_vgpr 1
		.amdhsa_next_free_sgpr 1
		.amdhsa_reserve_vcc 0
		.amdhsa_float_round_mode_32 0
		.amdhsa_float_round_mode_16_64 0
		.amdhsa_float_denorm_mode_32 3
		.amdhsa_float_denorm_mode_16_64 3
		.amdhsa_fp16_overflow 0
		.amdhsa_workgroup_processor_mode 1
		.amdhsa_memory_ordered 1
		.amdhsa_forward_progress 1
		.amdhsa_inst_pref_size 0
		.amdhsa_round_robin_scheduling 0
		.amdhsa_exception_fp_ieee_invalid_op 0
		.amdhsa_exception_fp_denorm_src 0
		.amdhsa_exception_fp_ieee_div_zero 0
		.amdhsa_exception_fp_ieee_overflow 0
		.amdhsa_exception_fp_ieee_underflow 0
		.amdhsa_exception_fp_ieee_inexact 0
		.amdhsa_exception_int_div_zero 0
	.end_amdhsa_kernel
	.section	.text._ZN7rocprim17ROCPRIM_400000_NS6detail17trampoline_kernelINS0_14default_configENS1_25partition_config_selectorILNS1_17partition_subalgoE5ExNS0_10empty_typeEbEEZZNS1_14partition_implILS5_5ELb0ES3_mN6thrust23THRUST_200600_302600_NS6detail15normal_iteratorINSA_10device_ptrIxEEEEPS6_NSA_18transform_iteratorINSB_9not_fun_tI7is_trueIxEEESF_NSA_11use_defaultESM_EENS0_5tupleIJSF_S6_EEENSO_IJSG_SG_EEES6_PlJS6_EEE10hipError_tPvRmT3_T4_T5_T6_T7_T9_mT8_P12ihipStream_tbDpT10_ENKUlT_T0_E_clISt17integral_constantIbLb1EES1B_EEDaS16_S17_EUlS16_E_NS1_11comp_targetILNS1_3genE4ELNS1_11target_archE910ELNS1_3gpuE8ELNS1_3repE0EEENS1_30default_config_static_selectorELNS0_4arch9wavefront6targetE0EEEvT1_,"axG",@progbits,_ZN7rocprim17ROCPRIM_400000_NS6detail17trampoline_kernelINS0_14default_configENS1_25partition_config_selectorILNS1_17partition_subalgoE5ExNS0_10empty_typeEbEEZZNS1_14partition_implILS5_5ELb0ES3_mN6thrust23THRUST_200600_302600_NS6detail15normal_iteratorINSA_10device_ptrIxEEEEPS6_NSA_18transform_iteratorINSB_9not_fun_tI7is_trueIxEEESF_NSA_11use_defaultESM_EENS0_5tupleIJSF_S6_EEENSO_IJSG_SG_EEES6_PlJS6_EEE10hipError_tPvRmT3_T4_T5_T6_T7_T9_mT8_P12ihipStream_tbDpT10_ENKUlT_T0_E_clISt17integral_constantIbLb1EES1B_EEDaS16_S17_EUlS16_E_NS1_11comp_targetILNS1_3genE4ELNS1_11target_archE910ELNS1_3gpuE8ELNS1_3repE0EEENS1_30default_config_static_selectorELNS0_4arch9wavefront6targetE0EEEvT1_,comdat
.Lfunc_end1477:
	.size	_ZN7rocprim17ROCPRIM_400000_NS6detail17trampoline_kernelINS0_14default_configENS1_25partition_config_selectorILNS1_17partition_subalgoE5ExNS0_10empty_typeEbEEZZNS1_14partition_implILS5_5ELb0ES3_mN6thrust23THRUST_200600_302600_NS6detail15normal_iteratorINSA_10device_ptrIxEEEEPS6_NSA_18transform_iteratorINSB_9not_fun_tI7is_trueIxEEESF_NSA_11use_defaultESM_EENS0_5tupleIJSF_S6_EEENSO_IJSG_SG_EEES6_PlJS6_EEE10hipError_tPvRmT3_T4_T5_T6_T7_T9_mT8_P12ihipStream_tbDpT10_ENKUlT_T0_E_clISt17integral_constantIbLb1EES1B_EEDaS16_S17_EUlS16_E_NS1_11comp_targetILNS1_3genE4ELNS1_11target_archE910ELNS1_3gpuE8ELNS1_3repE0EEENS1_30default_config_static_selectorELNS0_4arch9wavefront6targetE0EEEvT1_, .Lfunc_end1477-_ZN7rocprim17ROCPRIM_400000_NS6detail17trampoline_kernelINS0_14default_configENS1_25partition_config_selectorILNS1_17partition_subalgoE5ExNS0_10empty_typeEbEEZZNS1_14partition_implILS5_5ELb0ES3_mN6thrust23THRUST_200600_302600_NS6detail15normal_iteratorINSA_10device_ptrIxEEEEPS6_NSA_18transform_iteratorINSB_9not_fun_tI7is_trueIxEEESF_NSA_11use_defaultESM_EENS0_5tupleIJSF_S6_EEENSO_IJSG_SG_EEES6_PlJS6_EEE10hipError_tPvRmT3_T4_T5_T6_T7_T9_mT8_P12ihipStream_tbDpT10_ENKUlT_T0_E_clISt17integral_constantIbLb1EES1B_EEDaS16_S17_EUlS16_E_NS1_11comp_targetILNS1_3genE4ELNS1_11target_archE910ELNS1_3gpuE8ELNS1_3repE0EEENS1_30default_config_static_selectorELNS0_4arch9wavefront6targetE0EEEvT1_
                                        ; -- End function
	.set _ZN7rocprim17ROCPRIM_400000_NS6detail17trampoline_kernelINS0_14default_configENS1_25partition_config_selectorILNS1_17partition_subalgoE5ExNS0_10empty_typeEbEEZZNS1_14partition_implILS5_5ELb0ES3_mN6thrust23THRUST_200600_302600_NS6detail15normal_iteratorINSA_10device_ptrIxEEEEPS6_NSA_18transform_iteratorINSB_9not_fun_tI7is_trueIxEEESF_NSA_11use_defaultESM_EENS0_5tupleIJSF_S6_EEENSO_IJSG_SG_EEES6_PlJS6_EEE10hipError_tPvRmT3_T4_T5_T6_T7_T9_mT8_P12ihipStream_tbDpT10_ENKUlT_T0_E_clISt17integral_constantIbLb1EES1B_EEDaS16_S17_EUlS16_E_NS1_11comp_targetILNS1_3genE4ELNS1_11target_archE910ELNS1_3gpuE8ELNS1_3repE0EEENS1_30default_config_static_selectorELNS0_4arch9wavefront6targetE0EEEvT1_.num_vgpr, 0
	.set _ZN7rocprim17ROCPRIM_400000_NS6detail17trampoline_kernelINS0_14default_configENS1_25partition_config_selectorILNS1_17partition_subalgoE5ExNS0_10empty_typeEbEEZZNS1_14partition_implILS5_5ELb0ES3_mN6thrust23THRUST_200600_302600_NS6detail15normal_iteratorINSA_10device_ptrIxEEEEPS6_NSA_18transform_iteratorINSB_9not_fun_tI7is_trueIxEEESF_NSA_11use_defaultESM_EENS0_5tupleIJSF_S6_EEENSO_IJSG_SG_EEES6_PlJS6_EEE10hipError_tPvRmT3_T4_T5_T6_T7_T9_mT8_P12ihipStream_tbDpT10_ENKUlT_T0_E_clISt17integral_constantIbLb1EES1B_EEDaS16_S17_EUlS16_E_NS1_11comp_targetILNS1_3genE4ELNS1_11target_archE910ELNS1_3gpuE8ELNS1_3repE0EEENS1_30default_config_static_selectorELNS0_4arch9wavefront6targetE0EEEvT1_.num_agpr, 0
	.set _ZN7rocprim17ROCPRIM_400000_NS6detail17trampoline_kernelINS0_14default_configENS1_25partition_config_selectorILNS1_17partition_subalgoE5ExNS0_10empty_typeEbEEZZNS1_14partition_implILS5_5ELb0ES3_mN6thrust23THRUST_200600_302600_NS6detail15normal_iteratorINSA_10device_ptrIxEEEEPS6_NSA_18transform_iteratorINSB_9not_fun_tI7is_trueIxEEESF_NSA_11use_defaultESM_EENS0_5tupleIJSF_S6_EEENSO_IJSG_SG_EEES6_PlJS6_EEE10hipError_tPvRmT3_T4_T5_T6_T7_T9_mT8_P12ihipStream_tbDpT10_ENKUlT_T0_E_clISt17integral_constantIbLb1EES1B_EEDaS16_S17_EUlS16_E_NS1_11comp_targetILNS1_3genE4ELNS1_11target_archE910ELNS1_3gpuE8ELNS1_3repE0EEENS1_30default_config_static_selectorELNS0_4arch9wavefront6targetE0EEEvT1_.numbered_sgpr, 0
	.set _ZN7rocprim17ROCPRIM_400000_NS6detail17trampoline_kernelINS0_14default_configENS1_25partition_config_selectorILNS1_17partition_subalgoE5ExNS0_10empty_typeEbEEZZNS1_14partition_implILS5_5ELb0ES3_mN6thrust23THRUST_200600_302600_NS6detail15normal_iteratorINSA_10device_ptrIxEEEEPS6_NSA_18transform_iteratorINSB_9not_fun_tI7is_trueIxEEESF_NSA_11use_defaultESM_EENS0_5tupleIJSF_S6_EEENSO_IJSG_SG_EEES6_PlJS6_EEE10hipError_tPvRmT3_T4_T5_T6_T7_T9_mT8_P12ihipStream_tbDpT10_ENKUlT_T0_E_clISt17integral_constantIbLb1EES1B_EEDaS16_S17_EUlS16_E_NS1_11comp_targetILNS1_3genE4ELNS1_11target_archE910ELNS1_3gpuE8ELNS1_3repE0EEENS1_30default_config_static_selectorELNS0_4arch9wavefront6targetE0EEEvT1_.num_named_barrier, 0
	.set _ZN7rocprim17ROCPRIM_400000_NS6detail17trampoline_kernelINS0_14default_configENS1_25partition_config_selectorILNS1_17partition_subalgoE5ExNS0_10empty_typeEbEEZZNS1_14partition_implILS5_5ELb0ES3_mN6thrust23THRUST_200600_302600_NS6detail15normal_iteratorINSA_10device_ptrIxEEEEPS6_NSA_18transform_iteratorINSB_9not_fun_tI7is_trueIxEEESF_NSA_11use_defaultESM_EENS0_5tupleIJSF_S6_EEENSO_IJSG_SG_EEES6_PlJS6_EEE10hipError_tPvRmT3_T4_T5_T6_T7_T9_mT8_P12ihipStream_tbDpT10_ENKUlT_T0_E_clISt17integral_constantIbLb1EES1B_EEDaS16_S17_EUlS16_E_NS1_11comp_targetILNS1_3genE4ELNS1_11target_archE910ELNS1_3gpuE8ELNS1_3repE0EEENS1_30default_config_static_selectorELNS0_4arch9wavefront6targetE0EEEvT1_.private_seg_size, 0
	.set _ZN7rocprim17ROCPRIM_400000_NS6detail17trampoline_kernelINS0_14default_configENS1_25partition_config_selectorILNS1_17partition_subalgoE5ExNS0_10empty_typeEbEEZZNS1_14partition_implILS5_5ELb0ES3_mN6thrust23THRUST_200600_302600_NS6detail15normal_iteratorINSA_10device_ptrIxEEEEPS6_NSA_18transform_iteratorINSB_9not_fun_tI7is_trueIxEEESF_NSA_11use_defaultESM_EENS0_5tupleIJSF_S6_EEENSO_IJSG_SG_EEES6_PlJS6_EEE10hipError_tPvRmT3_T4_T5_T6_T7_T9_mT8_P12ihipStream_tbDpT10_ENKUlT_T0_E_clISt17integral_constantIbLb1EES1B_EEDaS16_S17_EUlS16_E_NS1_11comp_targetILNS1_3genE4ELNS1_11target_archE910ELNS1_3gpuE8ELNS1_3repE0EEENS1_30default_config_static_selectorELNS0_4arch9wavefront6targetE0EEEvT1_.uses_vcc, 0
	.set _ZN7rocprim17ROCPRIM_400000_NS6detail17trampoline_kernelINS0_14default_configENS1_25partition_config_selectorILNS1_17partition_subalgoE5ExNS0_10empty_typeEbEEZZNS1_14partition_implILS5_5ELb0ES3_mN6thrust23THRUST_200600_302600_NS6detail15normal_iteratorINSA_10device_ptrIxEEEEPS6_NSA_18transform_iteratorINSB_9not_fun_tI7is_trueIxEEESF_NSA_11use_defaultESM_EENS0_5tupleIJSF_S6_EEENSO_IJSG_SG_EEES6_PlJS6_EEE10hipError_tPvRmT3_T4_T5_T6_T7_T9_mT8_P12ihipStream_tbDpT10_ENKUlT_T0_E_clISt17integral_constantIbLb1EES1B_EEDaS16_S17_EUlS16_E_NS1_11comp_targetILNS1_3genE4ELNS1_11target_archE910ELNS1_3gpuE8ELNS1_3repE0EEENS1_30default_config_static_selectorELNS0_4arch9wavefront6targetE0EEEvT1_.uses_flat_scratch, 0
	.set _ZN7rocprim17ROCPRIM_400000_NS6detail17trampoline_kernelINS0_14default_configENS1_25partition_config_selectorILNS1_17partition_subalgoE5ExNS0_10empty_typeEbEEZZNS1_14partition_implILS5_5ELb0ES3_mN6thrust23THRUST_200600_302600_NS6detail15normal_iteratorINSA_10device_ptrIxEEEEPS6_NSA_18transform_iteratorINSB_9not_fun_tI7is_trueIxEEESF_NSA_11use_defaultESM_EENS0_5tupleIJSF_S6_EEENSO_IJSG_SG_EEES6_PlJS6_EEE10hipError_tPvRmT3_T4_T5_T6_T7_T9_mT8_P12ihipStream_tbDpT10_ENKUlT_T0_E_clISt17integral_constantIbLb1EES1B_EEDaS16_S17_EUlS16_E_NS1_11comp_targetILNS1_3genE4ELNS1_11target_archE910ELNS1_3gpuE8ELNS1_3repE0EEENS1_30default_config_static_selectorELNS0_4arch9wavefront6targetE0EEEvT1_.has_dyn_sized_stack, 0
	.set _ZN7rocprim17ROCPRIM_400000_NS6detail17trampoline_kernelINS0_14default_configENS1_25partition_config_selectorILNS1_17partition_subalgoE5ExNS0_10empty_typeEbEEZZNS1_14partition_implILS5_5ELb0ES3_mN6thrust23THRUST_200600_302600_NS6detail15normal_iteratorINSA_10device_ptrIxEEEEPS6_NSA_18transform_iteratorINSB_9not_fun_tI7is_trueIxEEESF_NSA_11use_defaultESM_EENS0_5tupleIJSF_S6_EEENSO_IJSG_SG_EEES6_PlJS6_EEE10hipError_tPvRmT3_T4_T5_T6_T7_T9_mT8_P12ihipStream_tbDpT10_ENKUlT_T0_E_clISt17integral_constantIbLb1EES1B_EEDaS16_S17_EUlS16_E_NS1_11comp_targetILNS1_3genE4ELNS1_11target_archE910ELNS1_3gpuE8ELNS1_3repE0EEENS1_30default_config_static_selectorELNS0_4arch9wavefront6targetE0EEEvT1_.has_recursion, 0
	.set _ZN7rocprim17ROCPRIM_400000_NS6detail17trampoline_kernelINS0_14default_configENS1_25partition_config_selectorILNS1_17partition_subalgoE5ExNS0_10empty_typeEbEEZZNS1_14partition_implILS5_5ELb0ES3_mN6thrust23THRUST_200600_302600_NS6detail15normal_iteratorINSA_10device_ptrIxEEEEPS6_NSA_18transform_iteratorINSB_9not_fun_tI7is_trueIxEEESF_NSA_11use_defaultESM_EENS0_5tupleIJSF_S6_EEENSO_IJSG_SG_EEES6_PlJS6_EEE10hipError_tPvRmT3_T4_T5_T6_T7_T9_mT8_P12ihipStream_tbDpT10_ENKUlT_T0_E_clISt17integral_constantIbLb1EES1B_EEDaS16_S17_EUlS16_E_NS1_11comp_targetILNS1_3genE4ELNS1_11target_archE910ELNS1_3gpuE8ELNS1_3repE0EEENS1_30default_config_static_selectorELNS0_4arch9wavefront6targetE0EEEvT1_.has_indirect_call, 0
	.section	.AMDGPU.csdata,"",@progbits
; Kernel info:
; codeLenInByte = 0
; TotalNumSgprs: 0
; NumVgprs: 0
; ScratchSize: 0
; MemoryBound: 0
; FloatMode: 240
; IeeeMode: 1
; LDSByteSize: 0 bytes/workgroup (compile time only)
; SGPRBlocks: 0
; VGPRBlocks: 0
; NumSGPRsForWavesPerEU: 1
; NumVGPRsForWavesPerEU: 1
; Occupancy: 16
; WaveLimiterHint : 0
; COMPUTE_PGM_RSRC2:SCRATCH_EN: 0
; COMPUTE_PGM_RSRC2:USER_SGPR: 2
; COMPUTE_PGM_RSRC2:TRAP_HANDLER: 0
; COMPUTE_PGM_RSRC2:TGID_X_EN: 1
; COMPUTE_PGM_RSRC2:TGID_Y_EN: 0
; COMPUTE_PGM_RSRC2:TGID_Z_EN: 0
; COMPUTE_PGM_RSRC2:TIDIG_COMP_CNT: 0
	.section	.text._ZN7rocprim17ROCPRIM_400000_NS6detail17trampoline_kernelINS0_14default_configENS1_25partition_config_selectorILNS1_17partition_subalgoE5ExNS0_10empty_typeEbEEZZNS1_14partition_implILS5_5ELb0ES3_mN6thrust23THRUST_200600_302600_NS6detail15normal_iteratorINSA_10device_ptrIxEEEEPS6_NSA_18transform_iteratorINSB_9not_fun_tI7is_trueIxEEESF_NSA_11use_defaultESM_EENS0_5tupleIJSF_S6_EEENSO_IJSG_SG_EEES6_PlJS6_EEE10hipError_tPvRmT3_T4_T5_T6_T7_T9_mT8_P12ihipStream_tbDpT10_ENKUlT_T0_E_clISt17integral_constantIbLb1EES1B_EEDaS16_S17_EUlS16_E_NS1_11comp_targetILNS1_3genE3ELNS1_11target_archE908ELNS1_3gpuE7ELNS1_3repE0EEENS1_30default_config_static_selectorELNS0_4arch9wavefront6targetE0EEEvT1_,"axG",@progbits,_ZN7rocprim17ROCPRIM_400000_NS6detail17trampoline_kernelINS0_14default_configENS1_25partition_config_selectorILNS1_17partition_subalgoE5ExNS0_10empty_typeEbEEZZNS1_14partition_implILS5_5ELb0ES3_mN6thrust23THRUST_200600_302600_NS6detail15normal_iteratorINSA_10device_ptrIxEEEEPS6_NSA_18transform_iteratorINSB_9not_fun_tI7is_trueIxEEESF_NSA_11use_defaultESM_EENS0_5tupleIJSF_S6_EEENSO_IJSG_SG_EEES6_PlJS6_EEE10hipError_tPvRmT3_T4_T5_T6_T7_T9_mT8_P12ihipStream_tbDpT10_ENKUlT_T0_E_clISt17integral_constantIbLb1EES1B_EEDaS16_S17_EUlS16_E_NS1_11comp_targetILNS1_3genE3ELNS1_11target_archE908ELNS1_3gpuE7ELNS1_3repE0EEENS1_30default_config_static_selectorELNS0_4arch9wavefront6targetE0EEEvT1_,comdat
	.protected	_ZN7rocprim17ROCPRIM_400000_NS6detail17trampoline_kernelINS0_14default_configENS1_25partition_config_selectorILNS1_17partition_subalgoE5ExNS0_10empty_typeEbEEZZNS1_14partition_implILS5_5ELb0ES3_mN6thrust23THRUST_200600_302600_NS6detail15normal_iteratorINSA_10device_ptrIxEEEEPS6_NSA_18transform_iteratorINSB_9not_fun_tI7is_trueIxEEESF_NSA_11use_defaultESM_EENS0_5tupleIJSF_S6_EEENSO_IJSG_SG_EEES6_PlJS6_EEE10hipError_tPvRmT3_T4_T5_T6_T7_T9_mT8_P12ihipStream_tbDpT10_ENKUlT_T0_E_clISt17integral_constantIbLb1EES1B_EEDaS16_S17_EUlS16_E_NS1_11comp_targetILNS1_3genE3ELNS1_11target_archE908ELNS1_3gpuE7ELNS1_3repE0EEENS1_30default_config_static_selectorELNS0_4arch9wavefront6targetE0EEEvT1_ ; -- Begin function _ZN7rocprim17ROCPRIM_400000_NS6detail17trampoline_kernelINS0_14default_configENS1_25partition_config_selectorILNS1_17partition_subalgoE5ExNS0_10empty_typeEbEEZZNS1_14partition_implILS5_5ELb0ES3_mN6thrust23THRUST_200600_302600_NS6detail15normal_iteratorINSA_10device_ptrIxEEEEPS6_NSA_18transform_iteratorINSB_9not_fun_tI7is_trueIxEEESF_NSA_11use_defaultESM_EENS0_5tupleIJSF_S6_EEENSO_IJSG_SG_EEES6_PlJS6_EEE10hipError_tPvRmT3_T4_T5_T6_T7_T9_mT8_P12ihipStream_tbDpT10_ENKUlT_T0_E_clISt17integral_constantIbLb1EES1B_EEDaS16_S17_EUlS16_E_NS1_11comp_targetILNS1_3genE3ELNS1_11target_archE908ELNS1_3gpuE7ELNS1_3repE0EEENS1_30default_config_static_selectorELNS0_4arch9wavefront6targetE0EEEvT1_
	.globl	_ZN7rocprim17ROCPRIM_400000_NS6detail17trampoline_kernelINS0_14default_configENS1_25partition_config_selectorILNS1_17partition_subalgoE5ExNS0_10empty_typeEbEEZZNS1_14partition_implILS5_5ELb0ES3_mN6thrust23THRUST_200600_302600_NS6detail15normal_iteratorINSA_10device_ptrIxEEEEPS6_NSA_18transform_iteratorINSB_9not_fun_tI7is_trueIxEEESF_NSA_11use_defaultESM_EENS0_5tupleIJSF_S6_EEENSO_IJSG_SG_EEES6_PlJS6_EEE10hipError_tPvRmT3_T4_T5_T6_T7_T9_mT8_P12ihipStream_tbDpT10_ENKUlT_T0_E_clISt17integral_constantIbLb1EES1B_EEDaS16_S17_EUlS16_E_NS1_11comp_targetILNS1_3genE3ELNS1_11target_archE908ELNS1_3gpuE7ELNS1_3repE0EEENS1_30default_config_static_selectorELNS0_4arch9wavefront6targetE0EEEvT1_
	.p2align	8
	.type	_ZN7rocprim17ROCPRIM_400000_NS6detail17trampoline_kernelINS0_14default_configENS1_25partition_config_selectorILNS1_17partition_subalgoE5ExNS0_10empty_typeEbEEZZNS1_14partition_implILS5_5ELb0ES3_mN6thrust23THRUST_200600_302600_NS6detail15normal_iteratorINSA_10device_ptrIxEEEEPS6_NSA_18transform_iteratorINSB_9not_fun_tI7is_trueIxEEESF_NSA_11use_defaultESM_EENS0_5tupleIJSF_S6_EEENSO_IJSG_SG_EEES6_PlJS6_EEE10hipError_tPvRmT3_T4_T5_T6_T7_T9_mT8_P12ihipStream_tbDpT10_ENKUlT_T0_E_clISt17integral_constantIbLb1EES1B_EEDaS16_S17_EUlS16_E_NS1_11comp_targetILNS1_3genE3ELNS1_11target_archE908ELNS1_3gpuE7ELNS1_3repE0EEENS1_30default_config_static_selectorELNS0_4arch9wavefront6targetE0EEEvT1_,@function
_ZN7rocprim17ROCPRIM_400000_NS6detail17trampoline_kernelINS0_14default_configENS1_25partition_config_selectorILNS1_17partition_subalgoE5ExNS0_10empty_typeEbEEZZNS1_14partition_implILS5_5ELb0ES3_mN6thrust23THRUST_200600_302600_NS6detail15normal_iteratorINSA_10device_ptrIxEEEEPS6_NSA_18transform_iteratorINSB_9not_fun_tI7is_trueIxEEESF_NSA_11use_defaultESM_EENS0_5tupleIJSF_S6_EEENSO_IJSG_SG_EEES6_PlJS6_EEE10hipError_tPvRmT3_T4_T5_T6_T7_T9_mT8_P12ihipStream_tbDpT10_ENKUlT_T0_E_clISt17integral_constantIbLb1EES1B_EEDaS16_S17_EUlS16_E_NS1_11comp_targetILNS1_3genE3ELNS1_11target_archE908ELNS1_3gpuE7ELNS1_3repE0EEENS1_30default_config_static_selectorELNS0_4arch9wavefront6targetE0EEEvT1_: ; @_ZN7rocprim17ROCPRIM_400000_NS6detail17trampoline_kernelINS0_14default_configENS1_25partition_config_selectorILNS1_17partition_subalgoE5ExNS0_10empty_typeEbEEZZNS1_14partition_implILS5_5ELb0ES3_mN6thrust23THRUST_200600_302600_NS6detail15normal_iteratorINSA_10device_ptrIxEEEEPS6_NSA_18transform_iteratorINSB_9not_fun_tI7is_trueIxEEESF_NSA_11use_defaultESM_EENS0_5tupleIJSF_S6_EEENSO_IJSG_SG_EEES6_PlJS6_EEE10hipError_tPvRmT3_T4_T5_T6_T7_T9_mT8_P12ihipStream_tbDpT10_ENKUlT_T0_E_clISt17integral_constantIbLb1EES1B_EEDaS16_S17_EUlS16_E_NS1_11comp_targetILNS1_3genE3ELNS1_11target_archE908ELNS1_3gpuE7ELNS1_3repE0EEENS1_30default_config_static_selectorELNS0_4arch9wavefront6targetE0EEEvT1_
; %bb.0:
	.section	.rodata,"a",@progbits
	.p2align	6, 0x0
	.amdhsa_kernel _ZN7rocprim17ROCPRIM_400000_NS6detail17trampoline_kernelINS0_14default_configENS1_25partition_config_selectorILNS1_17partition_subalgoE5ExNS0_10empty_typeEbEEZZNS1_14partition_implILS5_5ELb0ES3_mN6thrust23THRUST_200600_302600_NS6detail15normal_iteratorINSA_10device_ptrIxEEEEPS6_NSA_18transform_iteratorINSB_9not_fun_tI7is_trueIxEEESF_NSA_11use_defaultESM_EENS0_5tupleIJSF_S6_EEENSO_IJSG_SG_EEES6_PlJS6_EEE10hipError_tPvRmT3_T4_T5_T6_T7_T9_mT8_P12ihipStream_tbDpT10_ENKUlT_T0_E_clISt17integral_constantIbLb1EES1B_EEDaS16_S17_EUlS16_E_NS1_11comp_targetILNS1_3genE3ELNS1_11target_archE908ELNS1_3gpuE7ELNS1_3repE0EEENS1_30default_config_static_selectorELNS0_4arch9wavefront6targetE0EEEvT1_
		.amdhsa_group_segment_fixed_size 0
		.amdhsa_private_segment_fixed_size 0
		.amdhsa_kernarg_size 136
		.amdhsa_user_sgpr_count 2
		.amdhsa_user_sgpr_dispatch_ptr 0
		.amdhsa_user_sgpr_queue_ptr 0
		.amdhsa_user_sgpr_kernarg_segment_ptr 1
		.amdhsa_user_sgpr_dispatch_id 0
		.amdhsa_user_sgpr_private_segment_size 0
		.amdhsa_wavefront_size32 1
		.amdhsa_uses_dynamic_stack 0
		.amdhsa_enable_private_segment 0
		.amdhsa_system_sgpr_workgroup_id_x 1
		.amdhsa_system_sgpr_workgroup_id_y 0
		.amdhsa_system_sgpr_workgroup_id_z 0
		.amdhsa_system_sgpr_workgroup_info 0
		.amdhsa_system_vgpr_workitem_id 0
		.amdhsa_next_free_vgpr 1
		.amdhsa_next_free_sgpr 1
		.amdhsa_reserve_vcc 0
		.amdhsa_float_round_mode_32 0
		.amdhsa_float_round_mode_16_64 0
		.amdhsa_float_denorm_mode_32 3
		.amdhsa_float_denorm_mode_16_64 3
		.amdhsa_fp16_overflow 0
		.amdhsa_workgroup_processor_mode 1
		.amdhsa_memory_ordered 1
		.amdhsa_forward_progress 1
		.amdhsa_inst_pref_size 0
		.amdhsa_round_robin_scheduling 0
		.amdhsa_exception_fp_ieee_invalid_op 0
		.amdhsa_exception_fp_denorm_src 0
		.amdhsa_exception_fp_ieee_div_zero 0
		.amdhsa_exception_fp_ieee_overflow 0
		.amdhsa_exception_fp_ieee_underflow 0
		.amdhsa_exception_fp_ieee_inexact 0
		.amdhsa_exception_int_div_zero 0
	.end_amdhsa_kernel
	.section	.text._ZN7rocprim17ROCPRIM_400000_NS6detail17trampoline_kernelINS0_14default_configENS1_25partition_config_selectorILNS1_17partition_subalgoE5ExNS0_10empty_typeEbEEZZNS1_14partition_implILS5_5ELb0ES3_mN6thrust23THRUST_200600_302600_NS6detail15normal_iteratorINSA_10device_ptrIxEEEEPS6_NSA_18transform_iteratorINSB_9not_fun_tI7is_trueIxEEESF_NSA_11use_defaultESM_EENS0_5tupleIJSF_S6_EEENSO_IJSG_SG_EEES6_PlJS6_EEE10hipError_tPvRmT3_T4_T5_T6_T7_T9_mT8_P12ihipStream_tbDpT10_ENKUlT_T0_E_clISt17integral_constantIbLb1EES1B_EEDaS16_S17_EUlS16_E_NS1_11comp_targetILNS1_3genE3ELNS1_11target_archE908ELNS1_3gpuE7ELNS1_3repE0EEENS1_30default_config_static_selectorELNS0_4arch9wavefront6targetE0EEEvT1_,"axG",@progbits,_ZN7rocprim17ROCPRIM_400000_NS6detail17trampoline_kernelINS0_14default_configENS1_25partition_config_selectorILNS1_17partition_subalgoE5ExNS0_10empty_typeEbEEZZNS1_14partition_implILS5_5ELb0ES3_mN6thrust23THRUST_200600_302600_NS6detail15normal_iteratorINSA_10device_ptrIxEEEEPS6_NSA_18transform_iteratorINSB_9not_fun_tI7is_trueIxEEESF_NSA_11use_defaultESM_EENS0_5tupleIJSF_S6_EEENSO_IJSG_SG_EEES6_PlJS6_EEE10hipError_tPvRmT3_T4_T5_T6_T7_T9_mT8_P12ihipStream_tbDpT10_ENKUlT_T0_E_clISt17integral_constantIbLb1EES1B_EEDaS16_S17_EUlS16_E_NS1_11comp_targetILNS1_3genE3ELNS1_11target_archE908ELNS1_3gpuE7ELNS1_3repE0EEENS1_30default_config_static_selectorELNS0_4arch9wavefront6targetE0EEEvT1_,comdat
.Lfunc_end1478:
	.size	_ZN7rocprim17ROCPRIM_400000_NS6detail17trampoline_kernelINS0_14default_configENS1_25partition_config_selectorILNS1_17partition_subalgoE5ExNS0_10empty_typeEbEEZZNS1_14partition_implILS5_5ELb0ES3_mN6thrust23THRUST_200600_302600_NS6detail15normal_iteratorINSA_10device_ptrIxEEEEPS6_NSA_18transform_iteratorINSB_9not_fun_tI7is_trueIxEEESF_NSA_11use_defaultESM_EENS0_5tupleIJSF_S6_EEENSO_IJSG_SG_EEES6_PlJS6_EEE10hipError_tPvRmT3_T4_T5_T6_T7_T9_mT8_P12ihipStream_tbDpT10_ENKUlT_T0_E_clISt17integral_constantIbLb1EES1B_EEDaS16_S17_EUlS16_E_NS1_11comp_targetILNS1_3genE3ELNS1_11target_archE908ELNS1_3gpuE7ELNS1_3repE0EEENS1_30default_config_static_selectorELNS0_4arch9wavefront6targetE0EEEvT1_, .Lfunc_end1478-_ZN7rocprim17ROCPRIM_400000_NS6detail17trampoline_kernelINS0_14default_configENS1_25partition_config_selectorILNS1_17partition_subalgoE5ExNS0_10empty_typeEbEEZZNS1_14partition_implILS5_5ELb0ES3_mN6thrust23THRUST_200600_302600_NS6detail15normal_iteratorINSA_10device_ptrIxEEEEPS6_NSA_18transform_iteratorINSB_9not_fun_tI7is_trueIxEEESF_NSA_11use_defaultESM_EENS0_5tupleIJSF_S6_EEENSO_IJSG_SG_EEES6_PlJS6_EEE10hipError_tPvRmT3_T4_T5_T6_T7_T9_mT8_P12ihipStream_tbDpT10_ENKUlT_T0_E_clISt17integral_constantIbLb1EES1B_EEDaS16_S17_EUlS16_E_NS1_11comp_targetILNS1_3genE3ELNS1_11target_archE908ELNS1_3gpuE7ELNS1_3repE0EEENS1_30default_config_static_selectorELNS0_4arch9wavefront6targetE0EEEvT1_
                                        ; -- End function
	.set _ZN7rocprim17ROCPRIM_400000_NS6detail17trampoline_kernelINS0_14default_configENS1_25partition_config_selectorILNS1_17partition_subalgoE5ExNS0_10empty_typeEbEEZZNS1_14partition_implILS5_5ELb0ES3_mN6thrust23THRUST_200600_302600_NS6detail15normal_iteratorINSA_10device_ptrIxEEEEPS6_NSA_18transform_iteratorINSB_9not_fun_tI7is_trueIxEEESF_NSA_11use_defaultESM_EENS0_5tupleIJSF_S6_EEENSO_IJSG_SG_EEES6_PlJS6_EEE10hipError_tPvRmT3_T4_T5_T6_T7_T9_mT8_P12ihipStream_tbDpT10_ENKUlT_T0_E_clISt17integral_constantIbLb1EES1B_EEDaS16_S17_EUlS16_E_NS1_11comp_targetILNS1_3genE3ELNS1_11target_archE908ELNS1_3gpuE7ELNS1_3repE0EEENS1_30default_config_static_selectorELNS0_4arch9wavefront6targetE0EEEvT1_.num_vgpr, 0
	.set _ZN7rocprim17ROCPRIM_400000_NS6detail17trampoline_kernelINS0_14default_configENS1_25partition_config_selectorILNS1_17partition_subalgoE5ExNS0_10empty_typeEbEEZZNS1_14partition_implILS5_5ELb0ES3_mN6thrust23THRUST_200600_302600_NS6detail15normal_iteratorINSA_10device_ptrIxEEEEPS6_NSA_18transform_iteratorINSB_9not_fun_tI7is_trueIxEEESF_NSA_11use_defaultESM_EENS0_5tupleIJSF_S6_EEENSO_IJSG_SG_EEES6_PlJS6_EEE10hipError_tPvRmT3_T4_T5_T6_T7_T9_mT8_P12ihipStream_tbDpT10_ENKUlT_T0_E_clISt17integral_constantIbLb1EES1B_EEDaS16_S17_EUlS16_E_NS1_11comp_targetILNS1_3genE3ELNS1_11target_archE908ELNS1_3gpuE7ELNS1_3repE0EEENS1_30default_config_static_selectorELNS0_4arch9wavefront6targetE0EEEvT1_.num_agpr, 0
	.set _ZN7rocprim17ROCPRIM_400000_NS6detail17trampoline_kernelINS0_14default_configENS1_25partition_config_selectorILNS1_17partition_subalgoE5ExNS0_10empty_typeEbEEZZNS1_14partition_implILS5_5ELb0ES3_mN6thrust23THRUST_200600_302600_NS6detail15normal_iteratorINSA_10device_ptrIxEEEEPS6_NSA_18transform_iteratorINSB_9not_fun_tI7is_trueIxEEESF_NSA_11use_defaultESM_EENS0_5tupleIJSF_S6_EEENSO_IJSG_SG_EEES6_PlJS6_EEE10hipError_tPvRmT3_T4_T5_T6_T7_T9_mT8_P12ihipStream_tbDpT10_ENKUlT_T0_E_clISt17integral_constantIbLb1EES1B_EEDaS16_S17_EUlS16_E_NS1_11comp_targetILNS1_3genE3ELNS1_11target_archE908ELNS1_3gpuE7ELNS1_3repE0EEENS1_30default_config_static_selectorELNS0_4arch9wavefront6targetE0EEEvT1_.numbered_sgpr, 0
	.set _ZN7rocprim17ROCPRIM_400000_NS6detail17trampoline_kernelINS0_14default_configENS1_25partition_config_selectorILNS1_17partition_subalgoE5ExNS0_10empty_typeEbEEZZNS1_14partition_implILS5_5ELb0ES3_mN6thrust23THRUST_200600_302600_NS6detail15normal_iteratorINSA_10device_ptrIxEEEEPS6_NSA_18transform_iteratorINSB_9not_fun_tI7is_trueIxEEESF_NSA_11use_defaultESM_EENS0_5tupleIJSF_S6_EEENSO_IJSG_SG_EEES6_PlJS6_EEE10hipError_tPvRmT3_T4_T5_T6_T7_T9_mT8_P12ihipStream_tbDpT10_ENKUlT_T0_E_clISt17integral_constantIbLb1EES1B_EEDaS16_S17_EUlS16_E_NS1_11comp_targetILNS1_3genE3ELNS1_11target_archE908ELNS1_3gpuE7ELNS1_3repE0EEENS1_30default_config_static_selectorELNS0_4arch9wavefront6targetE0EEEvT1_.num_named_barrier, 0
	.set _ZN7rocprim17ROCPRIM_400000_NS6detail17trampoline_kernelINS0_14default_configENS1_25partition_config_selectorILNS1_17partition_subalgoE5ExNS0_10empty_typeEbEEZZNS1_14partition_implILS5_5ELb0ES3_mN6thrust23THRUST_200600_302600_NS6detail15normal_iteratorINSA_10device_ptrIxEEEEPS6_NSA_18transform_iteratorINSB_9not_fun_tI7is_trueIxEEESF_NSA_11use_defaultESM_EENS0_5tupleIJSF_S6_EEENSO_IJSG_SG_EEES6_PlJS6_EEE10hipError_tPvRmT3_T4_T5_T6_T7_T9_mT8_P12ihipStream_tbDpT10_ENKUlT_T0_E_clISt17integral_constantIbLb1EES1B_EEDaS16_S17_EUlS16_E_NS1_11comp_targetILNS1_3genE3ELNS1_11target_archE908ELNS1_3gpuE7ELNS1_3repE0EEENS1_30default_config_static_selectorELNS0_4arch9wavefront6targetE0EEEvT1_.private_seg_size, 0
	.set _ZN7rocprim17ROCPRIM_400000_NS6detail17trampoline_kernelINS0_14default_configENS1_25partition_config_selectorILNS1_17partition_subalgoE5ExNS0_10empty_typeEbEEZZNS1_14partition_implILS5_5ELb0ES3_mN6thrust23THRUST_200600_302600_NS6detail15normal_iteratorINSA_10device_ptrIxEEEEPS6_NSA_18transform_iteratorINSB_9not_fun_tI7is_trueIxEEESF_NSA_11use_defaultESM_EENS0_5tupleIJSF_S6_EEENSO_IJSG_SG_EEES6_PlJS6_EEE10hipError_tPvRmT3_T4_T5_T6_T7_T9_mT8_P12ihipStream_tbDpT10_ENKUlT_T0_E_clISt17integral_constantIbLb1EES1B_EEDaS16_S17_EUlS16_E_NS1_11comp_targetILNS1_3genE3ELNS1_11target_archE908ELNS1_3gpuE7ELNS1_3repE0EEENS1_30default_config_static_selectorELNS0_4arch9wavefront6targetE0EEEvT1_.uses_vcc, 0
	.set _ZN7rocprim17ROCPRIM_400000_NS6detail17trampoline_kernelINS0_14default_configENS1_25partition_config_selectorILNS1_17partition_subalgoE5ExNS0_10empty_typeEbEEZZNS1_14partition_implILS5_5ELb0ES3_mN6thrust23THRUST_200600_302600_NS6detail15normal_iteratorINSA_10device_ptrIxEEEEPS6_NSA_18transform_iteratorINSB_9not_fun_tI7is_trueIxEEESF_NSA_11use_defaultESM_EENS0_5tupleIJSF_S6_EEENSO_IJSG_SG_EEES6_PlJS6_EEE10hipError_tPvRmT3_T4_T5_T6_T7_T9_mT8_P12ihipStream_tbDpT10_ENKUlT_T0_E_clISt17integral_constantIbLb1EES1B_EEDaS16_S17_EUlS16_E_NS1_11comp_targetILNS1_3genE3ELNS1_11target_archE908ELNS1_3gpuE7ELNS1_3repE0EEENS1_30default_config_static_selectorELNS0_4arch9wavefront6targetE0EEEvT1_.uses_flat_scratch, 0
	.set _ZN7rocprim17ROCPRIM_400000_NS6detail17trampoline_kernelINS0_14default_configENS1_25partition_config_selectorILNS1_17partition_subalgoE5ExNS0_10empty_typeEbEEZZNS1_14partition_implILS5_5ELb0ES3_mN6thrust23THRUST_200600_302600_NS6detail15normal_iteratorINSA_10device_ptrIxEEEEPS6_NSA_18transform_iteratorINSB_9not_fun_tI7is_trueIxEEESF_NSA_11use_defaultESM_EENS0_5tupleIJSF_S6_EEENSO_IJSG_SG_EEES6_PlJS6_EEE10hipError_tPvRmT3_T4_T5_T6_T7_T9_mT8_P12ihipStream_tbDpT10_ENKUlT_T0_E_clISt17integral_constantIbLb1EES1B_EEDaS16_S17_EUlS16_E_NS1_11comp_targetILNS1_3genE3ELNS1_11target_archE908ELNS1_3gpuE7ELNS1_3repE0EEENS1_30default_config_static_selectorELNS0_4arch9wavefront6targetE0EEEvT1_.has_dyn_sized_stack, 0
	.set _ZN7rocprim17ROCPRIM_400000_NS6detail17trampoline_kernelINS0_14default_configENS1_25partition_config_selectorILNS1_17partition_subalgoE5ExNS0_10empty_typeEbEEZZNS1_14partition_implILS5_5ELb0ES3_mN6thrust23THRUST_200600_302600_NS6detail15normal_iteratorINSA_10device_ptrIxEEEEPS6_NSA_18transform_iteratorINSB_9not_fun_tI7is_trueIxEEESF_NSA_11use_defaultESM_EENS0_5tupleIJSF_S6_EEENSO_IJSG_SG_EEES6_PlJS6_EEE10hipError_tPvRmT3_T4_T5_T6_T7_T9_mT8_P12ihipStream_tbDpT10_ENKUlT_T0_E_clISt17integral_constantIbLb1EES1B_EEDaS16_S17_EUlS16_E_NS1_11comp_targetILNS1_3genE3ELNS1_11target_archE908ELNS1_3gpuE7ELNS1_3repE0EEENS1_30default_config_static_selectorELNS0_4arch9wavefront6targetE0EEEvT1_.has_recursion, 0
	.set _ZN7rocprim17ROCPRIM_400000_NS6detail17trampoline_kernelINS0_14default_configENS1_25partition_config_selectorILNS1_17partition_subalgoE5ExNS0_10empty_typeEbEEZZNS1_14partition_implILS5_5ELb0ES3_mN6thrust23THRUST_200600_302600_NS6detail15normal_iteratorINSA_10device_ptrIxEEEEPS6_NSA_18transform_iteratorINSB_9not_fun_tI7is_trueIxEEESF_NSA_11use_defaultESM_EENS0_5tupleIJSF_S6_EEENSO_IJSG_SG_EEES6_PlJS6_EEE10hipError_tPvRmT3_T4_T5_T6_T7_T9_mT8_P12ihipStream_tbDpT10_ENKUlT_T0_E_clISt17integral_constantIbLb1EES1B_EEDaS16_S17_EUlS16_E_NS1_11comp_targetILNS1_3genE3ELNS1_11target_archE908ELNS1_3gpuE7ELNS1_3repE0EEENS1_30default_config_static_selectorELNS0_4arch9wavefront6targetE0EEEvT1_.has_indirect_call, 0
	.section	.AMDGPU.csdata,"",@progbits
; Kernel info:
; codeLenInByte = 0
; TotalNumSgprs: 0
; NumVgprs: 0
; ScratchSize: 0
; MemoryBound: 0
; FloatMode: 240
; IeeeMode: 1
; LDSByteSize: 0 bytes/workgroup (compile time only)
; SGPRBlocks: 0
; VGPRBlocks: 0
; NumSGPRsForWavesPerEU: 1
; NumVGPRsForWavesPerEU: 1
; Occupancy: 16
; WaveLimiterHint : 0
; COMPUTE_PGM_RSRC2:SCRATCH_EN: 0
; COMPUTE_PGM_RSRC2:USER_SGPR: 2
; COMPUTE_PGM_RSRC2:TRAP_HANDLER: 0
; COMPUTE_PGM_RSRC2:TGID_X_EN: 1
; COMPUTE_PGM_RSRC2:TGID_Y_EN: 0
; COMPUTE_PGM_RSRC2:TGID_Z_EN: 0
; COMPUTE_PGM_RSRC2:TIDIG_COMP_CNT: 0
	.section	.text._ZN7rocprim17ROCPRIM_400000_NS6detail17trampoline_kernelINS0_14default_configENS1_25partition_config_selectorILNS1_17partition_subalgoE5ExNS0_10empty_typeEbEEZZNS1_14partition_implILS5_5ELb0ES3_mN6thrust23THRUST_200600_302600_NS6detail15normal_iteratorINSA_10device_ptrIxEEEEPS6_NSA_18transform_iteratorINSB_9not_fun_tI7is_trueIxEEESF_NSA_11use_defaultESM_EENS0_5tupleIJSF_S6_EEENSO_IJSG_SG_EEES6_PlJS6_EEE10hipError_tPvRmT3_T4_T5_T6_T7_T9_mT8_P12ihipStream_tbDpT10_ENKUlT_T0_E_clISt17integral_constantIbLb1EES1B_EEDaS16_S17_EUlS16_E_NS1_11comp_targetILNS1_3genE2ELNS1_11target_archE906ELNS1_3gpuE6ELNS1_3repE0EEENS1_30default_config_static_selectorELNS0_4arch9wavefront6targetE0EEEvT1_,"axG",@progbits,_ZN7rocprim17ROCPRIM_400000_NS6detail17trampoline_kernelINS0_14default_configENS1_25partition_config_selectorILNS1_17partition_subalgoE5ExNS0_10empty_typeEbEEZZNS1_14partition_implILS5_5ELb0ES3_mN6thrust23THRUST_200600_302600_NS6detail15normal_iteratorINSA_10device_ptrIxEEEEPS6_NSA_18transform_iteratorINSB_9not_fun_tI7is_trueIxEEESF_NSA_11use_defaultESM_EENS0_5tupleIJSF_S6_EEENSO_IJSG_SG_EEES6_PlJS6_EEE10hipError_tPvRmT3_T4_T5_T6_T7_T9_mT8_P12ihipStream_tbDpT10_ENKUlT_T0_E_clISt17integral_constantIbLb1EES1B_EEDaS16_S17_EUlS16_E_NS1_11comp_targetILNS1_3genE2ELNS1_11target_archE906ELNS1_3gpuE6ELNS1_3repE0EEENS1_30default_config_static_selectorELNS0_4arch9wavefront6targetE0EEEvT1_,comdat
	.protected	_ZN7rocprim17ROCPRIM_400000_NS6detail17trampoline_kernelINS0_14default_configENS1_25partition_config_selectorILNS1_17partition_subalgoE5ExNS0_10empty_typeEbEEZZNS1_14partition_implILS5_5ELb0ES3_mN6thrust23THRUST_200600_302600_NS6detail15normal_iteratorINSA_10device_ptrIxEEEEPS6_NSA_18transform_iteratorINSB_9not_fun_tI7is_trueIxEEESF_NSA_11use_defaultESM_EENS0_5tupleIJSF_S6_EEENSO_IJSG_SG_EEES6_PlJS6_EEE10hipError_tPvRmT3_T4_T5_T6_T7_T9_mT8_P12ihipStream_tbDpT10_ENKUlT_T0_E_clISt17integral_constantIbLb1EES1B_EEDaS16_S17_EUlS16_E_NS1_11comp_targetILNS1_3genE2ELNS1_11target_archE906ELNS1_3gpuE6ELNS1_3repE0EEENS1_30default_config_static_selectorELNS0_4arch9wavefront6targetE0EEEvT1_ ; -- Begin function _ZN7rocprim17ROCPRIM_400000_NS6detail17trampoline_kernelINS0_14default_configENS1_25partition_config_selectorILNS1_17partition_subalgoE5ExNS0_10empty_typeEbEEZZNS1_14partition_implILS5_5ELb0ES3_mN6thrust23THRUST_200600_302600_NS6detail15normal_iteratorINSA_10device_ptrIxEEEEPS6_NSA_18transform_iteratorINSB_9not_fun_tI7is_trueIxEEESF_NSA_11use_defaultESM_EENS0_5tupleIJSF_S6_EEENSO_IJSG_SG_EEES6_PlJS6_EEE10hipError_tPvRmT3_T4_T5_T6_T7_T9_mT8_P12ihipStream_tbDpT10_ENKUlT_T0_E_clISt17integral_constantIbLb1EES1B_EEDaS16_S17_EUlS16_E_NS1_11comp_targetILNS1_3genE2ELNS1_11target_archE906ELNS1_3gpuE6ELNS1_3repE0EEENS1_30default_config_static_selectorELNS0_4arch9wavefront6targetE0EEEvT1_
	.globl	_ZN7rocprim17ROCPRIM_400000_NS6detail17trampoline_kernelINS0_14default_configENS1_25partition_config_selectorILNS1_17partition_subalgoE5ExNS0_10empty_typeEbEEZZNS1_14partition_implILS5_5ELb0ES3_mN6thrust23THRUST_200600_302600_NS6detail15normal_iteratorINSA_10device_ptrIxEEEEPS6_NSA_18transform_iteratorINSB_9not_fun_tI7is_trueIxEEESF_NSA_11use_defaultESM_EENS0_5tupleIJSF_S6_EEENSO_IJSG_SG_EEES6_PlJS6_EEE10hipError_tPvRmT3_T4_T5_T6_T7_T9_mT8_P12ihipStream_tbDpT10_ENKUlT_T0_E_clISt17integral_constantIbLb1EES1B_EEDaS16_S17_EUlS16_E_NS1_11comp_targetILNS1_3genE2ELNS1_11target_archE906ELNS1_3gpuE6ELNS1_3repE0EEENS1_30default_config_static_selectorELNS0_4arch9wavefront6targetE0EEEvT1_
	.p2align	8
	.type	_ZN7rocprim17ROCPRIM_400000_NS6detail17trampoline_kernelINS0_14default_configENS1_25partition_config_selectorILNS1_17partition_subalgoE5ExNS0_10empty_typeEbEEZZNS1_14partition_implILS5_5ELb0ES3_mN6thrust23THRUST_200600_302600_NS6detail15normal_iteratorINSA_10device_ptrIxEEEEPS6_NSA_18transform_iteratorINSB_9not_fun_tI7is_trueIxEEESF_NSA_11use_defaultESM_EENS0_5tupleIJSF_S6_EEENSO_IJSG_SG_EEES6_PlJS6_EEE10hipError_tPvRmT3_T4_T5_T6_T7_T9_mT8_P12ihipStream_tbDpT10_ENKUlT_T0_E_clISt17integral_constantIbLb1EES1B_EEDaS16_S17_EUlS16_E_NS1_11comp_targetILNS1_3genE2ELNS1_11target_archE906ELNS1_3gpuE6ELNS1_3repE0EEENS1_30default_config_static_selectorELNS0_4arch9wavefront6targetE0EEEvT1_,@function
_ZN7rocprim17ROCPRIM_400000_NS6detail17trampoline_kernelINS0_14default_configENS1_25partition_config_selectorILNS1_17partition_subalgoE5ExNS0_10empty_typeEbEEZZNS1_14partition_implILS5_5ELb0ES3_mN6thrust23THRUST_200600_302600_NS6detail15normal_iteratorINSA_10device_ptrIxEEEEPS6_NSA_18transform_iteratorINSB_9not_fun_tI7is_trueIxEEESF_NSA_11use_defaultESM_EENS0_5tupleIJSF_S6_EEENSO_IJSG_SG_EEES6_PlJS6_EEE10hipError_tPvRmT3_T4_T5_T6_T7_T9_mT8_P12ihipStream_tbDpT10_ENKUlT_T0_E_clISt17integral_constantIbLb1EES1B_EEDaS16_S17_EUlS16_E_NS1_11comp_targetILNS1_3genE2ELNS1_11target_archE906ELNS1_3gpuE6ELNS1_3repE0EEENS1_30default_config_static_selectorELNS0_4arch9wavefront6targetE0EEEvT1_: ; @_ZN7rocprim17ROCPRIM_400000_NS6detail17trampoline_kernelINS0_14default_configENS1_25partition_config_selectorILNS1_17partition_subalgoE5ExNS0_10empty_typeEbEEZZNS1_14partition_implILS5_5ELb0ES3_mN6thrust23THRUST_200600_302600_NS6detail15normal_iteratorINSA_10device_ptrIxEEEEPS6_NSA_18transform_iteratorINSB_9not_fun_tI7is_trueIxEEESF_NSA_11use_defaultESM_EENS0_5tupleIJSF_S6_EEENSO_IJSG_SG_EEES6_PlJS6_EEE10hipError_tPvRmT3_T4_T5_T6_T7_T9_mT8_P12ihipStream_tbDpT10_ENKUlT_T0_E_clISt17integral_constantIbLb1EES1B_EEDaS16_S17_EUlS16_E_NS1_11comp_targetILNS1_3genE2ELNS1_11target_archE906ELNS1_3gpuE6ELNS1_3repE0EEENS1_30default_config_static_selectorELNS0_4arch9wavefront6targetE0EEEvT1_
; %bb.0:
	.section	.rodata,"a",@progbits
	.p2align	6, 0x0
	.amdhsa_kernel _ZN7rocprim17ROCPRIM_400000_NS6detail17trampoline_kernelINS0_14default_configENS1_25partition_config_selectorILNS1_17partition_subalgoE5ExNS0_10empty_typeEbEEZZNS1_14partition_implILS5_5ELb0ES3_mN6thrust23THRUST_200600_302600_NS6detail15normal_iteratorINSA_10device_ptrIxEEEEPS6_NSA_18transform_iteratorINSB_9not_fun_tI7is_trueIxEEESF_NSA_11use_defaultESM_EENS0_5tupleIJSF_S6_EEENSO_IJSG_SG_EEES6_PlJS6_EEE10hipError_tPvRmT3_T4_T5_T6_T7_T9_mT8_P12ihipStream_tbDpT10_ENKUlT_T0_E_clISt17integral_constantIbLb1EES1B_EEDaS16_S17_EUlS16_E_NS1_11comp_targetILNS1_3genE2ELNS1_11target_archE906ELNS1_3gpuE6ELNS1_3repE0EEENS1_30default_config_static_selectorELNS0_4arch9wavefront6targetE0EEEvT1_
		.amdhsa_group_segment_fixed_size 0
		.amdhsa_private_segment_fixed_size 0
		.amdhsa_kernarg_size 136
		.amdhsa_user_sgpr_count 2
		.amdhsa_user_sgpr_dispatch_ptr 0
		.amdhsa_user_sgpr_queue_ptr 0
		.amdhsa_user_sgpr_kernarg_segment_ptr 1
		.amdhsa_user_sgpr_dispatch_id 0
		.amdhsa_user_sgpr_private_segment_size 0
		.amdhsa_wavefront_size32 1
		.amdhsa_uses_dynamic_stack 0
		.amdhsa_enable_private_segment 0
		.amdhsa_system_sgpr_workgroup_id_x 1
		.amdhsa_system_sgpr_workgroup_id_y 0
		.amdhsa_system_sgpr_workgroup_id_z 0
		.amdhsa_system_sgpr_workgroup_info 0
		.amdhsa_system_vgpr_workitem_id 0
		.amdhsa_next_free_vgpr 1
		.amdhsa_next_free_sgpr 1
		.amdhsa_reserve_vcc 0
		.amdhsa_float_round_mode_32 0
		.amdhsa_float_round_mode_16_64 0
		.amdhsa_float_denorm_mode_32 3
		.amdhsa_float_denorm_mode_16_64 3
		.amdhsa_fp16_overflow 0
		.amdhsa_workgroup_processor_mode 1
		.amdhsa_memory_ordered 1
		.amdhsa_forward_progress 1
		.amdhsa_inst_pref_size 0
		.amdhsa_round_robin_scheduling 0
		.amdhsa_exception_fp_ieee_invalid_op 0
		.amdhsa_exception_fp_denorm_src 0
		.amdhsa_exception_fp_ieee_div_zero 0
		.amdhsa_exception_fp_ieee_overflow 0
		.amdhsa_exception_fp_ieee_underflow 0
		.amdhsa_exception_fp_ieee_inexact 0
		.amdhsa_exception_int_div_zero 0
	.end_amdhsa_kernel
	.section	.text._ZN7rocprim17ROCPRIM_400000_NS6detail17trampoline_kernelINS0_14default_configENS1_25partition_config_selectorILNS1_17partition_subalgoE5ExNS0_10empty_typeEbEEZZNS1_14partition_implILS5_5ELb0ES3_mN6thrust23THRUST_200600_302600_NS6detail15normal_iteratorINSA_10device_ptrIxEEEEPS6_NSA_18transform_iteratorINSB_9not_fun_tI7is_trueIxEEESF_NSA_11use_defaultESM_EENS0_5tupleIJSF_S6_EEENSO_IJSG_SG_EEES6_PlJS6_EEE10hipError_tPvRmT3_T4_T5_T6_T7_T9_mT8_P12ihipStream_tbDpT10_ENKUlT_T0_E_clISt17integral_constantIbLb1EES1B_EEDaS16_S17_EUlS16_E_NS1_11comp_targetILNS1_3genE2ELNS1_11target_archE906ELNS1_3gpuE6ELNS1_3repE0EEENS1_30default_config_static_selectorELNS0_4arch9wavefront6targetE0EEEvT1_,"axG",@progbits,_ZN7rocprim17ROCPRIM_400000_NS6detail17trampoline_kernelINS0_14default_configENS1_25partition_config_selectorILNS1_17partition_subalgoE5ExNS0_10empty_typeEbEEZZNS1_14partition_implILS5_5ELb0ES3_mN6thrust23THRUST_200600_302600_NS6detail15normal_iteratorINSA_10device_ptrIxEEEEPS6_NSA_18transform_iteratorINSB_9not_fun_tI7is_trueIxEEESF_NSA_11use_defaultESM_EENS0_5tupleIJSF_S6_EEENSO_IJSG_SG_EEES6_PlJS6_EEE10hipError_tPvRmT3_T4_T5_T6_T7_T9_mT8_P12ihipStream_tbDpT10_ENKUlT_T0_E_clISt17integral_constantIbLb1EES1B_EEDaS16_S17_EUlS16_E_NS1_11comp_targetILNS1_3genE2ELNS1_11target_archE906ELNS1_3gpuE6ELNS1_3repE0EEENS1_30default_config_static_selectorELNS0_4arch9wavefront6targetE0EEEvT1_,comdat
.Lfunc_end1479:
	.size	_ZN7rocprim17ROCPRIM_400000_NS6detail17trampoline_kernelINS0_14default_configENS1_25partition_config_selectorILNS1_17partition_subalgoE5ExNS0_10empty_typeEbEEZZNS1_14partition_implILS5_5ELb0ES3_mN6thrust23THRUST_200600_302600_NS6detail15normal_iteratorINSA_10device_ptrIxEEEEPS6_NSA_18transform_iteratorINSB_9not_fun_tI7is_trueIxEEESF_NSA_11use_defaultESM_EENS0_5tupleIJSF_S6_EEENSO_IJSG_SG_EEES6_PlJS6_EEE10hipError_tPvRmT3_T4_T5_T6_T7_T9_mT8_P12ihipStream_tbDpT10_ENKUlT_T0_E_clISt17integral_constantIbLb1EES1B_EEDaS16_S17_EUlS16_E_NS1_11comp_targetILNS1_3genE2ELNS1_11target_archE906ELNS1_3gpuE6ELNS1_3repE0EEENS1_30default_config_static_selectorELNS0_4arch9wavefront6targetE0EEEvT1_, .Lfunc_end1479-_ZN7rocprim17ROCPRIM_400000_NS6detail17trampoline_kernelINS0_14default_configENS1_25partition_config_selectorILNS1_17partition_subalgoE5ExNS0_10empty_typeEbEEZZNS1_14partition_implILS5_5ELb0ES3_mN6thrust23THRUST_200600_302600_NS6detail15normal_iteratorINSA_10device_ptrIxEEEEPS6_NSA_18transform_iteratorINSB_9not_fun_tI7is_trueIxEEESF_NSA_11use_defaultESM_EENS0_5tupleIJSF_S6_EEENSO_IJSG_SG_EEES6_PlJS6_EEE10hipError_tPvRmT3_T4_T5_T6_T7_T9_mT8_P12ihipStream_tbDpT10_ENKUlT_T0_E_clISt17integral_constantIbLb1EES1B_EEDaS16_S17_EUlS16_E_NS1_11comp_targetILNS1_3genE2ELNS1_11target_archE906ELNS1_3gpuE6ELNS1_3repE0EEENS1_30default_config_static_selectorELNS0_4arch9wavefront6targetE0EEEvT1_
                                        ; -- End function
	.set _ZN7rocprim17ROCPRIM_400000_NS6detail17trampoline_kernelINS0_14default_configENS1_25partition_config_selectorILNS1_17partition_subalgoE5ExNS0_10empty_typeEbEEZZNS1_14partition_implILS5_5ELb0ES3_mN6thrust23THRUST_200600_302600_NS6detail15normal_iteratorINSA_10device_ptrIxEEEEPS6_NSA_18transform_iteratorINSB_9not_fun_tI7is_trueIxEEESF_NSA_11use_defaultESM_EENS0_5tupleIJSF_S6_EEENSO_IJSG_SG_EEES6_PlJS6_EEE10hipError_tPvRmT3_T4_T5_T6_T7_T9_mT8_P12ihipStream_tbDpT10_ENKUlT_T0_E_clISt17integral_constantIbLb1EES1B_EEDaS16_S17_EUlS16_E_NS1_11comp_targetILNS1_3genE2ELNS1_11target_archE906ELNS1_3gpuE6ELNS1_3repE0EEENS1_30default_config_static_selectorELNS0_4arch9wavefront6targetE0EEEvT1_.num_vgpr, 0
	.set _ZN7rocprim17ROCPRIM_400000_NS6detail17trampoline_kernelINS0_14default_configENS1_25partition_config_selectorILNS1_17partition_subalgoE5ExNS0_10empty_typeEbEEZZNS1_14partition_implILS5_5ELb0ES3_mN6thrust23THRUST_200600_302600_NS6detail15normal_iteratorINSA_10device_ptrIxEEEEPS6_NSA_18transform_iteratorINSB_9not_fun_tI7is_trueIxEEESF_NSA_11use_defaultESM_EENS0_5tupleIJSF_S6_EEENSO_IJSG_SG_EEES6_PlJS6_EEE10hipError_tPvRmT3_T4_T5_T6_T7_T9_mT8_P12ihipStream_tbDpT10_ENKUlT_T0_E_clISt17integral_constantIbLb1EES1B_EEDaS16_S17_EUlS16_E_NS1_11comp_targetILNS1_3genE2ELNS1_11target_archE906ELNS1_3gpuE6ELNS1_3repE0EEENS1_30default_config_static_selectorELNS0_4arch9wavefront6targetE0EEEvT1_.num_agpr, 0
	.set _ZN7rocprim17ROCPRIM_400000_NS6detail17trampoline_kernelINS0_14default_configENS1_25partition_config_selectorILNS1_17partition_subalgoE5ExNS0_10empty_typeEbEEZZNS1_14partition_implILS5_5ELb0ES3_mN6thrust23THRUST_200600_302600_NS6detail15normal_iteratorINSA_10device_ptrIxEEEEPS6_NSA_18transform_iteratorINSB_9not_fun_tI7is_trueIxEEESF_NSA_11use_defaultESM_EENS0_5tupleIJSF_S6_EEENSO_IJSG_SG_EEES6_PlJS6_EEE10hipError_tPvRmT3_T4_T5_T6_T7_T9_mT8_P12ihipStream_tbDpT10_ENKUlT_T0_E_clISt17integral_constantIbLb1EES1B_EEDaS16_S17_EUlS16_E_NS1_11comp_targetILNS1_3genE2ELNS1_11target_archE906ELNS1_3gpuE6ELNS1_3repE0EEENS1_30default_config_static_selectorELNS0_4arch9wavefront6targetE0EEEvT1_.numbered_sgpr, 0
	.set _ZN7rocprim17ROCPRIM_400000_NS6detail17trampoline_kernelINS0_14default_configENS1_25partition_config_selectorILNS1_17partition_subalgoE5ExNS0_10empty_typeEbEEZZNS1_14partition_implILS5_5ELb0ES3_mN6thrust23THRUST_200600_302600_NS6detail15normal_iteratorINSA_10device_ptrIxEEEEPS6_NSA_18transform_iteratorINSB_9not_fun_tI7is_trueIxEEESF_NSA_11use_defaultESM_EENS0_5tupleIJSF_S6_EEENSO_IJSG_SG_EEES6_PlJS6_EEE10hipError_tPvRmT3_T4_T5_T6_T7_T9_mT8_P12ihipStream_tbDpT10_ENKUlT_T0_E_clISt17integral_constantIbLb1EES1B_EEDaS16_S17_EUlS16_E_NS1_11comp_targetILNS1_3genE2ELNS1_11target_archE906ELNS1_3gpuE6ELNS1_3repE0EEENS1_30default_config_static_selectorELNS0_4arch9wavefront6targetE0EEEvT1_.num_named_barrier, 0
	.set _ZN7rocprim17ROCPRIM_400000_NS6detail17trampoline_kernelINS0_14default_configENS1_25partition_config_selectorILNS1_17partition_subalgoE5ExNS0_10empty_typeEbEEZZNS1_14partition_implILS5_5ELb0ES3_mN6thrust23THRUST_200600_302600_NS6detail15normal_iteratorINSA_10device_ptrIxEEEEPS6_NSA_18transform_iteratorINSB_9not_fun_tI7is_trueIxEEESF_NSA_11use_defaultESM_EENS0_5tupleIJSF_S6_EEENSO_IJSG_SG_EEES6_PlJS6_EEE10hipError_tPvRmT3_T4_T5_T6_T7_T9_mT8_P12ihipStream_tbDpT10_ENKUlT_T0_E_clISt17integral_constantIbLb1EES1B_EEDaS16_S17_EUlS16_E_NS1_11comp_targetILNS1_3genE2ELNS1_11target_archE906ELNS1_3gpuE6ELNS1_3repE0EEENS1_30default_config_static_selectorELNS0_4arch9wavefront6targetE0EEEvT1_.private_seg_size, 0
	.set _ZN7rocprim17ROCPRIM_400000_NS6detail17trampoline_kernelINS0_14default_configENS1_25partition_config_selectorILNS1_17partition_subalgoE5ExNS0_10empty_typeEbEEZZNS1_14partition_implILS5_5ELb0ES3_mN6thrust23THRUST_200600_302600_NS6detail15normal_iteratorINSA_10device_ptrIxEEEEPS6_NSA_18transform_iteratorINSB_9not_fun_tI7is_trueIxEEESF_NSA_11use_defaultESM_EENS0_5tupleIJSF_S6_EEENSO_IJSG_SG_EEES6_PlJS6_EEE10hipError_tPvRmT3_T4_T5_T6_T7_T9_mT8_P12ihipStream_tbDpT10_ENKUlT_T0_E_clISt17integral_constantIbLb1EES1B_EEDaS16_S17_EUlS16_E_NS1_11comp_targetILNS1_3genE2ELNS1_11target_archE906ELNS1_3gpuE6ELNS1_3repE0EEENS1_30default_config_static_selectorELNS0_4arch9wavefront6targetE0EEEvT1_.uses_vcc, 0
	.set _ZN7rocprim17ROCPRIM_400000_NS6detail17trampoline_kernelINS0_14default_configENS1_25partition_config_selectorILNS1_17partition_subalgoE5ExNS0_10empty_typeEbEEZZNS1_14partition_implILS5_5ELb0ES3_mN6thrust23THRUST_200600_302600_NS6detail15normal_iteratorINSA_10device_ptrIxEEEEPS6_NSA_18transform_iteratorINSB_9not_fun_tI7is_trueIxEEESF_NSA_11use_defaultESM_EENS0_5tupleIJSF_S6_EEENSO_IJSG_SG_EEES6_PlJS6_EEE10hipError_tPvRmT3_T4_T5_T6_T7_T9_mT8_P12ihipStream_tbDpT10_ENKUlT_T0_E_clISt17integral_constantIbLb1EES1B_EEDaS16_S17_EUlS16_E_NS1_11comp_targetILNS1_3genE2ELNS1_11target_archE906ELNS1_3gpuE6ELNS1_3repE0EEENS1_30default_config_static_selectorELNS0_4arch9wavefront6targetE0EEEvT1_.uses_flat_scratch, 0
	.set _ZN7rocprim17ROCPRIM_400000_NS6detail17trampoline_kernelINS0_14default_configENS1_25partition_config_selectorILNS1_17partition_subalgoE5ExNS0_10empty_typeEbEEZZNS1_14partition_implILS5_5ELb0ES3_mN6thrust23THRUST_200600_302600_NS6detail15normal_iteratorINSA_10device_ptrIxEEEEPS6_NSA_18transform_iteratorINSB_9not_fun_tI7is_trueIxEEESF_NSA_11use_defaultESM_EENS0_5tupleIJSF_S6_EEENSO_IJSG_SG_EEES6_PlJS6_EEE10hipError_tPvRmT3_T4_T5_T6_T7_T9_mT8_P12ihipStream_tbDpT10_ENKUlT_T0_E_clISt17integral_constantIbLb1EES1B_EEDaS16_S17_EUlS16_E_NS1_11comp_targetILNS1_3genE2ELNS1_11target_archE906ELNS1_3gpuE6ELNS1_3repE0EEENS1_30default_config_static_selectorELNS0_4arch9wavefront6targetE0EEEvT1_.has_dyn_sized_stack, 0
	.set _ZN7rocprim17ROCPRIM_400000_NS6detail17trampoline_kernelINS0_14default_configENS1_25partition_config_selectorILNS1_17partition_subalgoE5ExNS0_10empty_typeEbEEZZNS1_14partition_implILS5_5ELb0ES3_mN6thrust23THRUST_200600_302600_NS6detail15normal_iteratorINSA_10device_ptrIxEEEEPS6_NSA_18transform_iteratorINSB_9not_fun_tI7is_trueIxEEESF_NSA_11use_defaultESM_EENS0_5tupleIJSF_S6_EEENSO_IJSG_SG_EEES6_PlJS6_EEE10hipError_tPvRmT3_T4_T5_T6_T7_T9_mT8_P12ihipStream_tbDpT10_ENKUlT_T0_E_clISt17integral_constantIbLb1EES1B_EEDaS16_S17_EUlS16_E_NS1_11comp_targetILNS1_3genE2ELNS1_11target_archE906ELNS1_3gpuE6ELNS1_3repE0EEENS1_30default_config_static_selectorELNS0_4arch9wavefront6targetE0EEEvT1_.has_recursion, 0
	.set _ZN7rocprim17ROCPRIM_400000_NS6detail17trampoline_kernelINS0_14default_configENS1_25partition_config_selectorILNS1_17partition_subalgoE5ExNS0_10empty_typeEbEEZZNS1_14partition_implILS5_5ELb0ES3_mN6thrust23THRUST_200600_302600_NS6detail15normal_iteratorINSA_10device_ptrIxEEEEPS6_NSA_18transform_iteratorINSB_9not_fun_tI7is_trueIxEEESF_NSA_11use_defaultESM_EENS0_5tupleIJSF_S6_EEENSO_IJSG_SG_EEES6_PlJS6_EEE10hipError_tPvRmT3_T4_T5_T6_T7_T9_mT8_P12ihipStream_tbDpT10_ENKUlT_T0_E_clISt17integral_constantIbLb1EES1B_EEDaS16_S17_EUlS16_E_NS1_11comp_targetILNS1_3genE2ELNS1_11target_archE906ELNS1_3gpuE6ELNS1_3repE0EEENS1_30default_config_static_selectorELNS0_4arch9wavefront6targetE0EEEvT1_.has_indirect_call, 0
	.section	.AMDGPU.csdata,"",@progbits
; Kernel info:
; codeLenInByte = 0
; TotalNumSgprs: 0
; NumVgprs: 0
; ScratchSize: 0
; MemoryBound: 0
; FloatMode: 240
; IeeeMode: 1
; LDSByteSize: 0 bytes/workgroup (compile time only)
; SGPRBlocks: 0
; VGPRBlocks: 0
; NumSGPRsForWavesPerEU: 1
; NumVGPRsForWavesPerEU: 1
; Occupancy: 16
; WaveLimiterHint : 0
; COMPUTE_PGM_RSRC2:SCRATCH_EN: 0
; COMPUTE_PGM_RSRC2:USER_SGPR: 2
; COMPUTE_PGM_RSRC2:TRAP_HANDLER: 0
; COMPUTE_PGM_RSRC2:TGID_X_EN: 1
; COMPUTE_PGM_RSRC2:TGID_Y_EN: 0
; COMPUTE_PGM_RSRC2:TGID_Z_EN: 0
; COMPUTE_PGM_RSRC2:TIDIG_COMP_CNT: 0
	.section	.text._ZN7rocprim17ROCPRIM_400000_NS6detail17trampoline_kernelINS0_14default_configENS1_25partition_config_selectorILNS1_17partition_subalgoE5ExNS0_10empty_typeEbEEZZNS1_14partition_implILS5_5ELb0ES3_mN6thrust23THRUST_200600_302600_NS6detail15normal_iteratorINSA_10device_ptrIxEEEEPS6_NSA_18transform_iteratorINSB_9not_fun_tI7is_trueIxEEESF_NSA_11use_defaultESM_EENS0_5tupleIJSF_S6_EEENSO_IJSG_SG_EEES6_PlJS6_EEE10hipError_tPvRmT3_T4_T5_T6_T7_T9_mT8_P12ihipStream_tbDpT10_ENKUlT_T0_E_clISt17integral_constantIbLb1EES1B_EEDaS16_S17_EUlS16_E_NS1_11comp_targetILNS1_3genE10ELNS1_11target_archE1200ELNS1_3gpuE4ELNS1_3repE0EEENS1_30default_config_static_selectorELNS0_4arch9wavefront6targetE0EEEvT1_,"axG",@progbits,_ZN7rocprim17ROCPRIM_400000_NS6detail17trampoline_kernelINS0_14default_configENS1_25partition_config_selectorILNS1_17partition_subalgoE5ExNS0_10empty_typeEbEEZZNS1_14partition_implILS5_5ELb0ES3_mN6thrust23THRUST_200600_302600_NS6detail15normal_iteratorINSA_10device_ptrIxEEEEPS6_NSA_18transform_iteratorINSB_9not_fun_tI7is_trueIxEEESF_NSA_11use_defaultESM_EENS0_5tupleIJSF_S6_EEENSO_IJSG_SG_EEES6_PlJS6_EEE10hipError_tPvRmT3_T4_T5_T6_T7_T9_mT8_P12ihipStream_tbDpT10_ENKUlT_T0_E_clISt17integral_constantIbLb1EES1B_EEDaS16_S17_EUlS16_E_NS1_11comp_targetILNS1_3genE10ELNS1_11target_archE1200ELNS1_3gpuE4ELNS1_3repE0EEENS1_30default_config_static_selectorELNS0_4arch9wavefront6targetE0EEEvT1_,comdat
	.protected	_ZN7rocprim17ROCPRIM_400000_NS6detail17trampoline_kernelINS0_14default_configENS1_25partition_config_selectorILNS1_17partition_subalgoE5ExNS0_10empty_typeEbEEZZNS1_14partition_implILS5_5ELb0ES3_mN6thrust23THRUST_200600_302600_NS6detail15normal_iteratorINSA_10device_ptrIxEEEEPS6_NSA_18transform_iteratorINSB_9not_fun_tI7is_trueIxEEESF_NSA_11use_defaultESM_EENS0_5tupleIJSF_S6_EEENSO_IJSG_SG_EEES6_PlJS6_EEE10hipError_tPvRmT3_T4_T5_T6_T7_T9_mT8_P12ihipStream_tbDpT10_ENKUlT_T0_E_clISt17integral_constantIbLb1EES1B_EEDaS16_S17_EUlS16_E_NS1_11comp_targetILNS1_3genE10ELNS1_11target_archE1200ELNS1_3gpuE4ELNS1_3repE0EEENS1_30default_config_static_selectorELNS0_4arch9wavefront6targetE0EEEvT1_ ; -- Begin function _ZN7rocprim17ROCPRIM_400000_NS6detail17trampoline_kernelINS0_14default_configENS1_25partition_config_selectorILNS1_17partition_subalgoE5ExNS0_10empty_typeEbEEZZNS1_14partition_implILS5_5ELb0ES3_mN6thrust23THRUST_200600_302600_NS6detail15normal_iteratorINSA_10device_ptrIxEEEEPS6_NSA_18transform_iteratorINSB_9not_fun_tI7is_trueIxEEESF_NSA_11use_defaultESM_EENS0_5tupleIJSF_S6_EEENSO_IJSG_SG_EEES6_PlJS6_EEE10hipError_tPvRmT3_T4_T5_T6_T7_T9_mT8_P12ihipStream_tbDpT10_ENKUlT_T0_E_clISt17integral_constantIbLb1EES1B_EEDaS16_S17_EUlS16_E_NS1_11comp_targetILNS1_3genE10ELNS1_11target_archE1200ELNS1_3gpuE4ELNS1_3repE0EEENS1_30default_config_static_selectorELNS0_4arch9wavefront6targetE0EEEvT1_
	.globl	_ZN7rocprim17ROCPRIM_400000_NS6detail17trampoline_kernelINS0_14default_configENS1_25partition_config_selectorILNS1_17partition_subalgoE5ExNS0_10empty_typeEbEEZZNS1_14partition_implILS5_5ELb0ES3_mN6thrust23THRUST_200600_302600_NS6detail15normal_iteratorINSA_10device_ptrIxEEEEPS6_NSA_18transform_iteratorINSB_9not_fun_tI7is_trueIxEEESF_NSA_11use_defaultESM_EENS0_5tupleIJSF_S6_EEENSO_IJSG_SG_EEES6_PlJS6_EEE10hipError_tPvRmT3_T4_T5_T6_T7_T9_mT8_P12ihipStream_tbDpT10_ENKUlT_T0_E_clISt17integral_constantIbLb1EES1B_EEDaS16_S17_EUlS16_E_NS1_11comp_targetILNS1_3genE10ELNS1_11target_archE1200ELNS1_3gpuE4ELNS1_3repE0EEENS1_30default_config_static_selectorELNS0_4arch9wavefront6targetE0EEEvT1_
	.p2align	8
	.type	_ZN7rocprim17ROCPRIM_400000_NS6detail17trampoline_kernelINS0_14default_configENS1_25partition_config_selectorILNS1_17partition_subalgoE5ExNS0_10empty_typeEbEEZZNS1_14partition_implILS5_5ELb0ES3_mN6thrust23THRUST_200600_302600_NS6detail15normal_iteratorINSA_10device_ptrIxEEEEPS6_NSA_18transform_iteratorINSB_9not_fun_tI7is_trueIxEEESF_NSA_11use_defaultESM_EENS0_5tupleIJSF_S6_EEENSO_IJSG_SG_EEES6_PlJS6_EEE10hipError_tPvRmT3_T4_T5_T6_T7_T9_mT8_P12ihipStream_tbDpT10_ENKUlT_T0_E_clISt17integral_constantIbLb1EES1B_EEDaS16_S17_EUlS16_E_NS1_11comp_targetILNS1_3genE10ELNS1_11target_archE1200ELNS1_3gpuE4ELNS1_3repE0EEENS1_30default_config_static_selectorELNS0_4arch9wavefront6targetE0EEEvT1_,@function
_ZN7rocprim17ROCPRIM_400000_NS6detail17trampoline_kernelINS0_14default_configENS1_25partition_config_selectorILNS1_17partition_subalgoE5ExNS0_10empty_typeEbEEZZNS1_14partition_implILS5_5ELb0ES3_mN6thrust23THRUST_200600_302600_NS6detail15normal_iteratorINSA_10device_ptrIxEEEEPS6_NSA_18transform_iteratorINSB_9not_fun_tI7is_trueIxEEESF_NSA_11use_defaultESM_EENS0_5tupleIJSF_S6_EEENSO_IJSG_SG_EEES6_PlJS6_EEE10hipError_tPvRmT3_T4_T5_T6_T7_T9_mT8_P12ihipStream_tbDpT10_ENKUlT_T0_E_clISt17integral_constantIbLb1EES1B_EEDaS16_S17_EUlS16_E_NS1_11comp_targetILNS1_3genE10ELNS1_11target_archE1200ELNS1_3gpuE4ELNS1_3repE0EEENS1_30default_config_static_selectorELNS0_4arch9wavefront6targetE0EEEvT1_: ; @_ZN7rocprim17ROCPRIM_400000_NS6detail17trampoline_kernelINS0_14default_configENS1_25partition_config_selectorILNS1_17partition_subalgoE5ExNS0_10empty_typeEbEEZZNS1_14partition_implILS5_5ELb0ES3_mN6thrust23THRUST_200600_302600_NS6detail15normal_iteratorINSA_10device_ptrIxEEEEPS6_NSA_18transform_iteratorINSB_9not_fun_tI7is_trueIxEEESF_NSA_11use_defaultESM_EENS0_5tupleIJSF_S6_EEENSO_IJSG_SG_EEES6_PlJS6_EEE10hipError_tPvRmT3_T4_T5_T6_T7_T9_mT8_P12ihipStream_tbDpT10_ENKUlT_T0_E_clISt17integral_constantIbLb1EES1B_EEDaS16_S17_EUlS16_E_NS1_11comp_targetILNS1_3genE10ELNS1_11target_archE1200ELNS1_3gpuE4ELNS1_3repE0EEENS1_30default_config_static_selectorELNS0_4arch9wavefront6targetE0EEEvT1_
; %bb.0:
	s_endpgm
	.section	.rodata,"a",@progbits
	.p2align	6, 0x0
	.amdhsa_kernel _ZN7rocprim17ROCPRIM_400000_NS6detail17trampoline_kernelINS0_14default_configENS1_25partition_config_selectorILNS1_17partition_subalgoE5ExNS0_10empty_typeEbEEZZNS1_14partition_implILS5_5ELb0ES3_mN6thrust23THRUST_200600_302600_NS6detail15normal_iteratorINSA_10device_ptrIxEEEEPS6_NSA_18transform_iteratorINSB_9not_fun_tI7is_trueIxEEESF_NSA_11use_defaultESM_EENS0_5tupleIJSF_S6_EEENSO_IJSG_SG_EEES6_PlJS6_EEE10hipError_tPvRmT3_T4_T5_T6_T7_T9_mT8_P12ihipStream_tbDpT10_ENKUlT_T0_E_clISt17integral_constantIbLb1EES1B_EEDaS16_S17_EUlS16_E_NS1_11comp_targetILNS1_3genE10ELNS1_11target_archE1200ELNS1_3gpuE4ELNS1_3repE0EEENS1_30default_config_static_selectorELNS0_4arch9wavefront6targetE0EEEvT1_
		.amdhsa_group_segment_fixed_size 0
		.amdhsa_private_segment_fixed_size 0
		.amdhsa_kernarg_size 136
		.amdhsa_user_sgpr_count 2
		.amdhsa_user_sgpr_dispatch_ptr 0
		.amdhsa_user_sgpr_queue_ptr 0
		.amdhsa_user_sgpr_kernarg_segment_ptr 1
		.amdhsa_user_sgpr_dispatch_id 0
		.amdhsa_user_sgpr_private_segment_size 0
		.amdhsa_wavefront_size32 1
		.amdhsa_uses_dynamic_stack 0
		.amdhsa_enable_private_segment 0
		.amdhsa_system_sgpr_workgroup_id_x 1
		.amdhsa_system_sgpr_workgroup_id_y 0
		.amdhsa_system_sgpr_workgroup_id_z 0
		.amdhsa_system_sgpr_workgroup_info 0
		.amdhsa_system_vgpr_workitem_id 0
		.amdhsa_next_free_vgpr 1
		.amdhsa_next_free_sgpr 1
		.amdhsa_reserve_vcc 0
		.amdhsa_float_round_mode_32 0
		.amdhsa_float_round_mode_16_64 0
		.amdhsa_float_denorm_mode_32 3
		.amdhsa_float_denorm_mode_16_64 3
		.amdhsa_fp16_overflow 0
		.amdhsa_workgroup_processor_mode 1
		.amdhsa_memory_ordered 1
		.amdhsa_forward_progress 1
		.amdhsa_inst_pref_size 1
		.amdhsa_round_robin_scheduling 0
		.amdhsa_exception_fp_ieee_invalid_op 0
		.amdhsa_exception_fp_denorm_src 0
		.amdhsa_exception_fp_ieee_div_zero 0
		.amdhsa_exception_fp_ieee_overflow 0
		.amdhsa_exception_fp_ieee_underflow 0
		.amdhsa_exception_fp_ieee_inexact 0
		.amdhsa_exception_int_div_zero 0
	.end_amdhsa_kernel
	.section	.text._ZN7rocprim17ROCPRIM_400000_NS6detail17trampoline_kernelINS0_14default_configENS1_25partition_config_selectorILNS1_17partition_subalgoE5ExNS0_10empty_typeEbEEZZNS1_14partition_implILS5_5ELb0ES3_mN6thrust23THRUST_200600_302600_NS6detail15normal_iteratorINSA_10device_ptrIxEEEEPS6_NSA_18transform_iteratorINSB_9not_fun_tI7is_trueIxEEESF_NSA_11use_defaultESM_EENS0_5tupleIJSF_S6_EEENSO_IJSG_SG_EEES6_PlJS6_EEE10hipError_tPvRmT3_T4_T5_T6_T7_T9_mT8_P12ihipStream_tbDpT10_ENKUlT_T0_E_clISt17integral_constantIbLb1EES1B_EEDaS16_S17_EUlS16_E_NS1_11comp_targetILNS1_3genE10ELNS1_11target_archE1200ELNS1_3gpuE4ELNS1_3repE0EEENS1_30default_config_static_selectorELNS0_4arch9wavefront6targetE0EEEvT1_,"axG",@progbits,_ZN7rocprim17ROCPRIM_400000_NS6detail17trampoline_kernelINS0_14default_configENS1_25partition_config_selectorILNS1_17partition_subalgoE5ExNS0_10empty_typeEbEEZZNS1_14partition_implILS5_5ELb0ES3_mN6thrust23THRUST_200600_302600_NS6detail15normal_iteratorINSA_10device_ptrIxEEEEPS6_NSA_18transform_iteratorINSB_9not_fun_tI7is_trueIxEEESF_NSA_11use_defaultESM_EENS0_5tupleIJSF_S6_EEENSO_IJSG_SG_EEES6_PlJS6_EEE10hipError_tPvRmT3_T4_T5_T6_T7_T9_mT8_P12ihipStream_tbDpT10_ENKUlT_T0_E_clISt17integral_constantIbLb1EES1B_EEDaS16_S17_EUlS16_E_NS1_11comp_targetILNS1_3genE10ELNS1_11target_archE1200ELNS1_3gpuE4ELNS1_3repE0EEENS1_30default_config_static_selectorELNS0_4arch9wavefront6targetE0EEEvT1_,comdat
.Lfunc_end1480:
	.size	_ZN7rocprim17ROCPRIM_400000_NS6detail17trampoline_kernelINS0_14default_configENS1_25partition_config_selectorILNS1_17partition_subalgoE5ExNS0_10empty_typeEbEEZZNS1_14partition_implILS5_5ELb0ES3_mN6thrust23THRUST_200600_302600_NS6detail15normal_iteratorINSA_10device_ptrIxEEEEPS6_NSA_18transform_iteratorINSB_9not_fun_tI7is_trueIxEEESF_NSA_11use_defaultESM_EENS0_5tupleIJSF_S6_EEENSO_IJSG_SG_EEES6_PlJS6_EEE10hipError_tPvRmT3_T4_T5_T6_T7_T9_mT8_P12ihipStream_tbDpT10_ENKUlT_T0_E_clISt17integral_constantIbLb1EES1B_EEDaS16_S17_EUlS16_E_NS1_11comp_targetILNS1_3genE10ELNS1_11target_archE1200ELNS1_3gpuE4ELNS1_3repE0EEENS1_30default_config_static_selectorELNS0_4arch9wavefront6targetE0EEEvT1_, .Lfunc_end1480-_ZN7rocprim17ROCPRIM_400000_NS6detail17trampoline_kernelINS0_14default_configENS1_25partition_config_selectorILNS1_17partition_subalgoE5ExNS0_10empty_typeEbEEZZNS1_14partition_implILS5_5ELb0ES3_mN6thrust23THRUST_200600_302600_NS6detail15normal_iteratorINSA_10device_ptrIxEEEEPS6_NSA_18transform_iteratorINSB_9not_fun_tI7is_trueIxEEESF_NSA_11use_defaultESM_EENS0_5tupleIJSF_S6_EEENSO_IJSG_SG_EEES6_PlJS6_EEE10hipError_tPvRmT3_T4_T5_T6_T7_T9_mT8_P12ihipStream_tbDpT10_ENKUlT_T0_E_clISt17integral_constantIbLb1EES1B_EEDaS16_S17_EUlS16_E_NS1_11comp_targetILNS1_3genE10ELNS1_11target_archE1200ELNS1_3gpuE4ELNS1_3repE0EEENS1_30default_config_static_selectorELNS0_4arch9wavefront6targetE0EEEvT1_
                                        ; -- End function
	.set _ZN7rocprim17ROCPRIM_400000_NS6detail17trampoline_kernelINS0_14default_configENS1_25partition_config_selectorILNS1_17partition_subalgoE5ExNS0_10empty_typeEbEEZZNS1_14partition_implILS5_5ELb0ES3_mN6thrust23THRUST_200600_302600_NS6detail15normal_iteratorINSA_10device_ptrIxEEEEPS6_NSA_18transform_iteratorINSB_9not_fun_tI7is_trueIxEEESF_NSA_11use_defaultESM_EENS0_5tupleIJSF_S6_EEENSO_IJSG_SG_EEES6_PlJS6_EEE10hipError_tPvRmT3_T4_T5_T6_T7_T9_mT8_P12ihipStream_tbDpT10_ENKUlT_T0_E_clISt17integral_constantIbLb1EES1B_EEDaS16_S17_EUlS16_E_NS1_11comp_targetILNS1_3genE10ELNS1_11target_archE1200ELNS1_3gpuE4ELNS1_3repE0EEENS1_30default_config_static_selectorELNS0_4arch9wavefront6targetE0EEEvT1_.num_vgpr, 0
	.set _ZN7rocprim17ROCPRIM_400000_NS6detail17trampoline_kernelINS0_14default_configENS1_25partition_config_selectorILNS1_17partition_subalgoE5ExNS0_10empty_typeEbEEZZNS1_14partition_implILS5_5ELb0ES3_mN6thrust23THRUST_200600_302600_NS6detail15normal_iteratorINSA_10device_ptrIxEEEEPS6_NSA_18transform_iteratorINSB_9not_fun_tI7is_trueIxEEESF_NSA_11use_defaultESM_EENS0_5tupleIJSF_S6_EEENSO_IJSG_SG_EEES6_PlJS6_EEE10hipError_tPvRmT3_T4_T5_T6_T7_T9_mT8_P12ihipStream_tbDpT10_ENKUlT_T0_E_clISt17integral_constantIbLb1EES1B_EEDaS16_S17_EUlS16_E_NS1_11comp_targetILNS1_3genE10ELNS1_11target_archE1200ELNS1_3gpuE4ELNS1_3repE0EEENS1_30default_config_static_selectorELNS0_4arch9wavefront6targetE0EEEvT1_.num_agpr, 0
	.set _ZN7rocprim17ROCPRIM_400000_NS6detail17trampoline_kernelINS0_14default_configENS1_25partition_config_selectorILNS1_17partition_subalgoE5ExNS0_10empty_typeEbEEZZNS1_14partition_implILS5_5ELb0ES3_mN6thrust23THRUST_200600_302600_NS6detail15normal_iteratorINSA_10device_ptrIxEEEEPS6_NSA_18transform_iteratorINSB_9not_fun_tI7is_trueIxEEESF_NSA_11use_defaultESM_EENS0_5tupleIJSF_S6_EEENSO_IJSG_SG_EEES6_PlJS6_EEE10hipError_tPvRmT3_T4_T5_T6_T7_T9_mT8_P12ihipStream_tbDpT10_ENKUlT_T0_E_clISt17integral_constantIbLb1EES1B_EEDaS16_S17_EUlS16_E_NS1_11comp_targetILNS1_3genE10ELNS1_11target_archE1200ELNS1_3gpuE4ELNS1_3repE0EEENS1_30default_config_static_selectorELNS0_4arch9wavefront6targetE0EEEvT1_.numbered_sgpr, 0
	.set _ZN7rocprim17ROCPRIM_400000_NS6detail17trampoline_kernelINS0_14default_configENS1_25partition_config_selectorILNS1_17partition_subalgoE5ExNS0_10empty_typeEbEEZZNS1_14partition_implILS5_5ELb0ES3_mN6thrust23THRUST_200600_302600_NS6detail15normal_iteratorINSA_10device_ptrIxEEEEPS6_NSA_18transform_iteratorINSB_9not_fun_tI7is_trueIxEEESF_NSA_11use_defaultESM_EENS0_5tupleIJSF_S6_EEENSO_IJSG_SG_EEES6_PlJS6_EEE10hipError_tPvRmT3_T4_T5_T6_T7_T9_mT8_P12ihipStream_tbDpT10_ENKUlT_T0_E_clISt17integral_constantIbLb1EES1B_EEDaS16_S17_EUlS16_E_NS1_11comp_targetILNS1_3genE10ELNS1_11target_archE1200ELNS1_3gpuE4ELNS1_3repE0EEENS1_30default_config_static_selectorELNS0_4arch9wavefront6targetE0EEEvT1_.num_named_barrier, 0
	.set _ZN7rocprim17ROCPRIM_400000_NS6detail17trampoline_kernelINS0_14default_configENS1_25partition_config_selectorILNS1_17partition_subalgoE5ExNS0_10empty_typeEbEEZZNS1_14partition_implILS5_5ELb0ES3_mN6thrust23THRUST_200600_302600_NS6detail15normal_iteratorINSA_10device_ptrIxEEEEPS6_NSA_18transform_iteratorINSB_9not_fun_tI7is_trueIxEEESF_NSA_11use_defaultESM_EENS0_5tupleIJSF_S6_EEENSO_IJSG_SG_EEES6_PlJS6_EEE10hipError_tPvRmT3_T4_T5_T6_T7_T9_mT8_P12ihipStream_tbDpT10_ENKUlT_T0_E_clISt17integral_constantIbLb1EES1B_EEDaS16_S17_EUlS16_E_NS1_11comp_targetILNS1_3genE10ELNS1_11target_archE1200ELNS1_3gpuE4ELNS1_3repE0EEENS1_30default_config_static_selectorELNS0_4arch9wavefront6targetE0EEEvT1_.private_seg_size, 0
	.set _ZN7rocprim17ROCPRIM_400000_NS6detail17trampoline_kernelINS0_14default_configENS1_25partition_config_selectorILNS1_17partition_subalgoE5ExNS0_10empty_typeEbEEZZNS1_14partition_implILS5_5ELb0ES3_mN6thrust23THRUST_200600_302600_NS6detail15normal_iteratorINSA_10device_ptrIxEEEEPS6_NSA_18transform_iteratorINSB_9not_fun_tI7is_trueIxEEESF_NSA_11use_defaultESM_EENS0_5tupleIJSF_S6_EEENSO_IJSG_SG_EEES6_PlJS6_EEE10hipError_tPvRmT3_T4_T5_T6_T7_T9_mT8_P12ihipStream_tbDpT10_ENKUlT_T0_E_clISt17integral_constantIbLb1EES1B_EEDaS16_S17_EUlS16_E_NS1_11comp_targetILNS1_3genE10ELNS1_11target_archE1200ELNS1_3gpuE4ELNS1_3repE0EEENS1_30default_config_static_selectorELNS0_4arch9wavefront6targetE0EEEvT1_.uses_vcc, 0
	.set _ZN7rocprim17ROCPRIM_400000_NS6detail17trampoline_kernelINS0_14default_configENS1_25partition_config_selectorILNS1_17partition_subalgoE5ExNS0_10empty_typeEbEEZZNS1_14partition_implILS5_5ELb0ES3_mN6thrust23THRUST_200600_302600_NS6detail15normal_iteratorINSA_10device_ptrIxEEEEPS6_NSA_18transform_iteratorINSB_9not_fun_tI7is_trueIxEEESF_NSA_11use_defaultESM_EENS0_5tupleIJSF_S6_EEENSO_IJSG_SG_EEES6_PlJS6_EEE10hipError_tPvRmT3_T4_T5_T6_T7_T9_mT8_P12ihipStream_tbDpT10_ENKUlT_T0_E_clISt17integral_constantIbLb1EES1B_EEDaS16_S17_EUlS16_E_NS1_11comp_targetILNS1_3genE10ELNS1_11target_archE1200ELNS1_3gpuE4ELNS1_3repE0EEENS1_30default_config_static_selectorELNS0_4arch9wavefront6targetE0EEEvT1_.uses_flat_scratch, 0
	.set _ZN7rocprim17ROCPRIM_400000_NS6detail17trampoline_kernelINS0_14default_configENS1_25partition_config_selectorILNS1_17partition_subalgoE5ExNS0_10empty_typeEbEEZZNS1_14partition_implILS5_5ELb0ES3_mN6thrust23THRUST_200600_302600_NS6detail15normal_iteratorINSA_10device_ptrIxEEEEPS6_NSA_18transform_iteratorINSB_9not_fun_tI7is_trueIxEEESF_NSA_11use_defaultESM_EENS0_5tupleIJSF_S6_EEENSO_IJSG_SG_EEES6_PlJS6_EEE10hipError_tPvRmT3_T4_T5_T6_T7_T9_mT8_P12ihipStream_tbDpT10_ENKUlT_T0_E_clISt17integral_constantIbLb1EES1B_EEDaS16_S17_EUlS16_E_NS1_11comp_targetILNS1_3genE10ELNS1_11target_archE1200ELNS1_3gpuE4ELNS1_3repE0EEENS1_30default_config_static_selectorELNS0_4arch9wavefront6targetE0EEEvT1_.has_dyn_sized_stack, 0
	.set _ZN7rocprim17ROCPRIM_400000_NS6detail17trampoline_kernelINS0_14default_configENS1_25partition_config_selectorILNS1_17partition_subalgoE5ExNS0_10empty_typeEbEEZZNS1_14partition_implILS5_5ELb0ES3_mN6thrust23THRUST_200600_302600_NS6detail15normal_iteratorINSA_10device_ptrIxEEEEPS6_NSA_18transform_iteratorINSB_9not_fun_tI7is_trueIxEEESF_NSA_11use_defaultESM_EENS0_5tupleIJSF_S6_EEENSO_IJSG_SG_EEES6_PlJS6_EEE10hipError_tPvRmT3_T4_T5_T6_T7_T9_mT8_P12ihipStream_tbDpT10_ENKUlT_T0_E_clISt17integral_constantIbLb1EES1B_EEDaS16_S17_EUlS16_E_NS1_11comp_targetILNS1_3genE10ELNS1_11target_archE1200ELNS1_3gpuE4ELNS1_3repE0EEENS1_30default_config_static_selectorELNS0_4arch9wavefront6targetE0EEEvT1_.has_recursion, 0
	.set _ZN7rocprim17ROCPRIM_400000_NS6detail17trampoline_kernelINS0_14default_configENS1_25partition_config_selectorILNS1_17partition_subalgoE5ExNS0_10empty_typeEbEEZZNS1_14partition_implILS5_5ELb0ES3_mN6thrust23THRUST_200600_302600_NS6detail15normal_iteratorINSA_10device_ptrIxEEEEPS6_NSA_18transform_iteratorINSB_9not_fun_tI7is_trueIxEEESF_NSA_11use_defaultESM_EENS0_5tupleIJSF_S6_EEENSO_IJSG_SG_EEES6_PlJS6_EEE10hipError_tPvRmT3_T4_T5_T6_T7_T9_mT8_P12ihipStream_tbDpT10_ENKUlT_T0_E_clISt17integral_constantIbLb1EES1B_EEDaS16_S17_EUlS16_E_NS1_11comp_targetILNS1_3genE10ELNS1_11target_archE1200ELNS1_3gpuE4ELNS1_3repE0EEENS1_30default_config_static_selectorELNS0_4arch9wavefront6targetE0EEEvT1_.has_indirect_call, 0
	.section	.AMDGPU.csdata,"",@progbits
; Kernel info:
; codeLenInByte = 4
; TotalNumSgprs: 0
; NumVgprs: 0
; ScratchSize: 0
; MemoryBound: 0
; FloatMode: 240
; IeeeMode: 1
; LDSByteSize: 0 bytes/workgroup (compile time only)
; SGPRBlocks: 0
; VGPRBlocks: 0
; NumSGPRsForWavesPerEU: 1
; NumVGPRsForWavesPerEU: 1
; Occupancy: 16
; WaveLimiterHint : 0
; COMPUTE_PGM_RSRC2:SCRATCH_EN: 0
; COMPUTE_PGM_RSRC2:USER_SGPR: 2
; COMPUTE_PGM_RSRC2:TRAP_HANDLER: 0
; COMPUTE_PGM_RSRC2:TGID_X_EN: 1
; COMPUTE_PGM_RSRC2:TGID_Y_EN: 0
; COMPUTE_PGM_RSRC2:TGID_Z_EN: 0
; COMPUTE_PGM_RSRC2:TIDIG_COMP_CNT: 0
	.section	.text._ZN7rocprim17ROCPRIM_400000_NS6detail17trampoline_kernelINS0_14default_configENS1_25partition_config_selectorILNS1_17partition_subalgoE5ExNS0_10empty_typeEbEEZZNS1_14partition_implILS5_5ELb0ES3_mN6thrust23THRUST_200600_302600_NS6detail15normal_iteratorINSA_10device_ptrIxEEEEPS6_NSA_18transform_iteratorINSB_9not_fun_tI7is_trueIxEEESF_NSA_11use_defaultESM_EENS0_5tupleIJSF_S6_EEENSO_IJSG_SG_EEES6_PlJS6_EEE10hipError_tPvRmT3_T4_T5_T6_T7_T9_mT8_P12ihipStream_tbDpT10_ENKUlT_T0_E_clISt17integral_constantIbLb1EES1B_EEDaS16_S17_EUlS16_E_NS1_11comp_targetILNS1_3genE9ELNS1_11target_archE1100ELNS1_3gpuE3ELNS1_3repE0EEENS1_30default_config_static_selectorELNS0_4arch9wavefront6targetE0EEEvT1_,"axG",@progbits,_ZN7rocprim17ROCPRIM_400000_NS6detail17trampoline_kernelINS0_14default_configENS1_25partition_config_selectorILNS1_17partition_subalgoE5ExNS0_10empty_typeEbEEZZNS1_14partition_implILS5_5ELb0ES3_mN6thrust23THRUST_200600_302600_NS6detail15normal_iteratorINSA_10device_ptrIxEEEEPS6_NSA_18transform_iteratorINSB_9not_fun_tI7is_trueIxEEESF_NSA_11use_defaultESM_EENS0_5tupleIJSF_S6_EEENSO_IJSG_SG_EEES6_PlJS6_EEE10hipError_tPvRmT3_T4_T5_T6_T7_T9_mT8_P12ihipStream_tbDpT10_ENKUlT_T0_E_clISt17integral_constantIbLb1EES1B_EEDaS16_S17_EUlS16_E_NS1_11comp_targetILNS1_3genE9ELNS1_11target_archE1100ELNS1_3gpuE3ELNS1_3repE0EEENS1_30default_config_static_selectorELNS0_4arch9wavefront6targetE0EEEvT1_,comdat
	.protected	_ZN7rocprim17ROCPRIM_400000_NS6detail17trampoline_kernelINS0_14default_configENS1_25partition_config_selectorILNS1_17partition_subalgoE5ExNS0_10empty_typeEbEEZZNS1_14partition_implILS5_5ELb0ES3_mN6thrust23THRUST_200600_302600_NS6detail15normal_iteratorINSA_10device_ptrIxEEEEPS6_NSA_18transform_iteratorINSB_9not_fun_tI7is_trueIxEEESF_NSA_11use_defaultESM_EENS0_5tupleIJSF_S6_EEENSO_IJSG_SG_EEES6_PlJS6_EEE10hipError_tPvRmT3_T4_T5_T6_T7_T9_mT8_P12ihipStream_tbDpT10_ENKUlT_T0_E_clISt17integral_constantIbLb1EES1B_EEDaS16_S17_EUlS16_E_NS1_11comp_targetILNS1_3genE9ELNS1_11target_archE1100ELNS1_3gpuE3ELNS1_3repE0EEENS1_30default_config_static_selectorELNS0_4arch9wavefront6targetE0EEEvT1_ ; -- Begin function _ZN7rocprim17ROCPRIM_400000_NS6detail17trampoline_kernelINS0_14default_configENS1_25partition_config_selectorILNS1_17partition_subalgoE5ExNS0_10empty_typeEbEEZZNS1_14partition_implILS5_5ELb0ES3_mN6thrust23THRUST_200600_302600_NS6detail15normal_iteratorINSA_10device_ptrIxEEEEPS6_NSA_18transform_iteratorINSB_9not_fun_tI7is_trueIxEEESF_NSA_11use_defaultESM_EENS0_5tupleIJSF_S6_EEENSO_IJSG_SG_EEES6_PlJS6_EEE10hipError_tPvRmT3_T4_T5_T6_T7_T9_mT8_P12ihipStream_tbDpT10_ENKUlT_T0_E_clISt17integral_constantIbLb1EES1B_EEDaS16_S17_EUlS16_E_NS1_11comp_targetILNS1_3genE9ELNS1_11target_archE1100ELNS1_3gpuE3ELNS1_3repE0EEENS1_30default_config_static_selectorELNS0_4arch9wavefront6targetE0EEEvT1_
	.globl	_ZN7rocprim17ROCPRIM_400000_NS6detail17trampoline_kernelINS0_14default_configENS1_25partition_config_selectorILNS1_17partition_subalgoE5ExNS0_10empty_typeEbEEZZNS1_14partition_implILS5_5ELb0ES3_mN6thrust23THRUST_200600_302600_NS6detail15normal_iteratorINSA_10device_ptrIxEEEEPS6_NSA_18transform_iteratorINSB_9not_fun_tI7is_trueIxEEESF_NSA_11use_defaultESM_EENS0_5tupleIJSF_S6_EEENSO_IJSG_SG_EEES6_PlJS6_EEE10hipError_tPvRmT3_T4_T5_T6_T7_T9_mT8_P12ihipStream_tbDpT10_ENKUlT_T0_E_clISt17integral_constantIbLb1EES1B_EEDaS16_S17_EUlS16_E_NS1_11comp_targetILNS1_3genE9ELNS1_11target_archE1100ELNS1_3gpuE3ELNS1_3repE0EEENS1_30default_config_static_selectorELNS0_4arch9wavefront6targetE0EEEvT1_
	.p2align	8
	.type	_ZN7rocprim17ROCPRIM_400000_NS6detail17trampoline_kernelINS0_14default_configENS1_25partition_config_selectorILNS1_17partition_subalgoE5ExNS0_10empty_typeEbEEZZNS1_14partition_implILS5_5ELb0ES3_mN6thrust23THRUST_200600_302600_NS6detail15normal_iteratorINSA_10device_ptrIxEEEEPS6_NSA_18transform_iteratorINSB_9not_fun_tI7is_trueIxEEESF_NSA_11use_defaultESM_EENS0_5tupleIJSF_S6_EEENSO_IJSG_SG_EEES6_PlJS6_EEE10hipError_tPvRmT3_T4_T5_T6_T7_T9_mT8_P12ihipStream_tbDpT10_ENKUlT_T0_E_clISt17integral_constantIbLb1EES1B_EEDaS16_S17_EUlS16_E_NS1_11comp_targetILNS1_3genE9ELNS1_11target_archE1100ELNS1_3gpuE3ELNS1_3repE0EEENS1_30default_config_static_selectorELNS0_4arch9wavefront6targetE0EEEvT1_,@function
_ZN7rocprim17ROCPRIM_400000_NS6detail17trampoline_kernelINS0_14default_configENS1_25partition_config_selectorILNS1_17partition_subalgoE5ExNS0_10empty_typeEbEEZZNS1_14partition_implILS5_5ELb0ES3_mN6thrust23THRUST_200600_302600_NS6detail15normal_iteratorINSA_10device_ptrIxEEEEPS6_NSA_18transform_iteratorINSB_9not_fun_tI7is_trueIxEEESF_NSA_11use_defaultESM_EENS0_5tupleIJSF_S6_EEENSO_IJSG_SG_EEES6_PlJS6_EEE10hipError_tPvRmT3_T4_T5_T6_T7_T9_mT8_P12ihipStream_tbDpT10_ENKUlT_T0_E_clISt17integral_constantIbLb1EES1B_EEDaS16_S17_EUlS16_E_NS1_11comp_targetILNS1_3genE9ELNS1_11target_archE1100ELNS1_3gpuE3ELNS1_3repE0EEENS1_30default_config_static_selectorELNS0_4arch9wavefront6targetE0EEEvT1_: ; @_ZN7rocprim17ROCPRIM_400000_NS6detail17trampoline_kernelINS0_14default_configENS1_25partition_config_selectorILNS1_17partition_subalgoE5ExNS0_10empty_typeEbEEZZNS1_14partition_implILS5_5ELb0ES3_mN6thrust23THRUST_200600_302600_NS6detail15normal_iteratorINSA_10device_ptrIxEEEEPS6_NSA_18transform_iteratorINSB_9not_fun_tI7is_trueIxEEESF_NSA_11use_defaultESM_EENS0_5tupleIJSF_S6_EEENSO_IJSG_SG_EEES6_PlJS6_EEE10hipError_tPvRmT3_T4_T5_T6_T7_T9_mT8_P12ihipStream_tbDpT10_ENKUlT_T0_E_clISt17integral_constantIbLb1EES1B_EEDaS16_S17_EUlS16_E_NS1_11comp_targetILNS1_3genE9ELNS1_11target_archE1100ELNS1_3gpuE3ELNS1_3repE0EEENS1_30default_config_static_selectorELNS0_4arch9wavefront6targetE0EEEvT1_
; %bb.0:
	.section	.rodata,"a",@progbits
	.p2align	6, 0x0
	.amdhsa_kernel _ZN7rocprim17ROCPRIM_400000_NS6detail17trampoline_kernelINS0_14default_configENS1_25partition_config_selectorILNS1_17partition_subalgoE5ExNS0_10empty_typeEbEEZZNS1_14partition_implILS5_5ELb0ES3_mN6thrust23THRUST_200600_302600_NS6detail15normal_iteratorINSA_10device_ptrIxEEEEPS6_NSA_18transform_iteratorINSB_9not_fun_tI7is_trueIxEEESF_NSA_11use_defaultESM_EENS0_5tupleIJSF_S6_EEENSO_IJSG_SG_EEES6_PlJS6_EEE10hipError_tPvRmT3_T4_T5_T6_T7_T9_mT8_P12ihipStream_tbDpT10_ENKUlT_T0_E_clISt17integral_constantIbLb1EES1B_EEDaS16_S17_EUlS16_E_NS1_11comp_targetILNS1_3genE9ELNS1_11target_archE1100ELNS1_3gpuE3ELNS1_3repE0EEENS1_30default_config_static_selectorELNS0_4arch9wavefront6targetE0EEEvT1_
		.amdhsa_group_segment_fixed_size 0
		.amdhsa_private_segment_fixed_size 0
		.amdhsa_kernarg_size 136
		.amdhsa_user_sgpr_count 2
		.amdhsa_user_sgpr_dispatch_ptr 0
		.amdhsa_user_sgpr_queue_ptr 0
		.amdhsa_user_sgpr_kernarg_segment_ptr 1
		.amdhsa_user_sgpr_dispatch_id 0
		.amdhsa_user_sgpr_private_segment_size 0
		.amdhsa_wavefront_size32 1
		.amdhsa_uses_dynamic_stack 0
		.amdhsa_enable_private_segment 0
		.amdhsa_system_sgpr_workgroup_id_x 1
		.amdhsa_system_sgpr_workgroup_id_y 0
		.amdhsa_system_sgpr_workgroup_id_z 0
		.amdhsa_system_sgpr_workgroup_info 0
		.amdhsa_system_vgpr_workitem_id 0
		.amdhsa_next_free_vgpr 1
		.amdhsa_next_free_sgpr 1
		.amdhsa_reserve_vcc 0
		.amdhsa_float_round_mode_32 0
		.amdhsa_float_round_mode_16_64 0
		.amdhsa_float_denorm_mode_32 3
		.amdhsa_float_denorm_mode_16_64 3
		.amdhsa_fp16_overflow 0
		.amdhsa_workgroup_processor_mode 1
		.amdhsa_memory_ordered 1
		.amdhsa_forward_progress 1
		.amdhsa_inst_pref_size 0
		.amdhsa_round_robin_scheduling 0
		.amdhsa_exception_fp_ieee_invalid_op 0
		.amdhsa_exception_fp_denorm_src 0
		.amdhsa_exception_fp_ieee_div_zero 0
		.amdhsa_exception_fp_ieee_overflow 0
		.amdhsa_exception_fp_ieee_underflow 0
		.amdhsa_exception_fp_ieee_inexact 0
		.amdhsa_exception_int_div_zero 0
	.end_amdhsa_kernel
	.section	.text._ZN7rocprim17ROCPRIM_400000_NS6detail17trampoline_kernelINS0_14default_configENS1_25partition_config_selectorILNS1_17partition_subalgoE5ExNS0_10empty_typeEbEEZZNS1_14partition_implILS5_5ELb0ES3_mN6thrust23THRUST_200600_302600_NS6detail15normal_iteratorINSA_10device_ptrIxEEEEPS6_NSA_18transform_iteratorINSB_9not_fun_tI7is_trueIxEEESF_NSA_11use_defaultESM_EENS0_5tupleIJSF_S6_EEENSO_IJSG_SG_EEES6_PlJS6_EEE10hipError_tPvRmT3_T4_T5_T6_T7_T9_mT8_P12ihipStream_tbDpT10_ENKUlT_T0_E_clISt17integral_constantIbLb1EES1B_EEDaS16_S17_EUlS16_E_NS1_11comp_targetILNS1_3genE9ELNS1_11target_archE1100ELNS1_3gpuE3ELNS1_3repE0EEENS1_30default_config_static_selectorELNS0_4arch9wavefront6targetE0EEEvT1_,"axG",@progbits,_ZN7rocprim17ROCPRIM_400000_NS6detail17trampoline_kernelINS0_14default_configENS1_25partition_config_selectorILNS1_17partition_subalgoE5ExNS0_10empty_typeEbEEZZNS1_14partition_implILS5_5ELb0ES3_mN6thrust23THRUST_200600_302600_NS6detail15normal_iteratorINSA_10device_ptrIxEEEEPS6_NSA_18transform_iteratorINSB_9not_fun_tI7is_trueIxEEESF_NSA_11use_defaultESM_EENS0_5tupleIJSF_S6_EEENSO_IJSG_SG_EEES6_PlJS6_EEE10hipError_tPvRmT3_T4_T5_T6_T7_T9_mT8_P12ihipStream_tbDpT10_ENKUlT_T0_E_clISt17integral_constantIbLb1EES1B_EEDaS16_S17_EUlS16_E_NS1_11comp_targetILNS1_3genE9ELNS1_11target_archE1100ELNS1_3gpuE3ELNS1_3repE0EEENS1_30default_config_static_selectorELNS0_4arch9wavefront6targetE0EEEvT1_,comdat
.Lfunc_end1481:
	.size	_ZN7rocprim17ROCPRIM_400000_NS6detail17trampoline_kernelINS0_14default_configENS1_25partition_config_selectorILNS1_17partition_subalgoE5ExNS0_10empty_typeEbEEZZNS1_14partition_implILS5_5ELb0ES3_mN6thrust23THRUST_200600_302600_NS6detail15normal_iteratorINSA_10device_ptrIxEEEEPS6_NSA_18transform_iteratorINSB_9not_fun_tI7is_trueIxEEESF_NSA_11use_defaultESM_EENS0_5tupleIJSF_S6_EEENSO_IJSG_SG_EEES6_PlJS6_EEE10hipError_tPvRmT3_T4_T5_T6_T7_T9_mT8_P12ihipStream_tbDpT10_ENKUlT_T0_E_clISt17integral_constantIbLb1EES1B_EEDaS16_S17_EUlS16_E_NS1_11comp_targetILNS1_3genE9ELNS1_11target_archE1100ELNS1_3gpuE3ELNS1_3repE0EEENS1_30default_config_static_selectorELNS0_4arch9wavefront6targetE0EEEvT1_, .Lfunc_end1481-_ZN7rocprim17ROCPRIM_400000_NS6detail17trampoline_kernelINS0_14default_configENS1_25partition_config_selectorILNS1_17partition_subalgoE5ExNS0_10empty_typeEbEEZZNS1_14partition_implILS5_5ELb0ES3_mN6thrust23THRUST_200600_302600_NS6detail15normal_iteratorINSA_10device_ptrIxEEEEPS6_NSA_18transform_iteratorINSB_9not_fun_tI7is_trueIxEEESF_NSA_11use_defaultESM_EENS0_5tupleIJSF_S6_EEENSO_IJSG_SG_EEES6_PlJS6_EEE10hipError_tPvRmT3_T4_T5_T6_T7_T9_mT8_P12ihipStream_tbDpT10_ENKUlT_T0_E_clISt17integral_constantIbLb1EES1B_EEDaS16_S17_EUlS16_E_NS1_11comp_targetILNS1_3genE9ELNS1_11target_archE1100ELNS1_3gpuE3ELNS1_3repE0EEENS1_30default_config_static_selectorELNS0_4arch9wavefront6targetE0EEEvT1_
                                        ; -- End function
	.set _ZN7rocprim17ROCPRIM_400000_NS6detail17trampoline_kernelINS0_14default_configENS1_25partition_config_selectorILNS1_17partition_subalgoE5ExNS0_10empty_typeEbEEZZNS1_14partition_implILS5_5ELb0ES3_mN6thrust23THRUST_200600_302600_NS6detail15normal_iteratorINSA_10device_ptrIxEEEEPS6_NSA_18transform_iteratorINSB_9not_fun_tI7is_trueIxEEESF_NSA_11use_defaultESM_EENS0_5tupleIJSF_S6_EEENSO_IJSG_SG_EEES6_PlJS6_EEE10hipError_tPvRmT3_T4_T5_T6_T7_T9_mT8_P12ihipStream_tbDpT10_ENKUlT_T0_E_clISt17integral_constantIbLb1EES1B_EEDaS16_S17_EUlS16_E_NS1_11comp_targetILNS1_3genE9ELNS1_11target_archE1100ELNS1_3gpuE3ELNS1_3repE0EEENS1_30default_config_static_selectorELNS0_4arch9wavefront6targetE0EEEvT1_.num_vgpr, 0
	.set _ZN7rocprim17ROCPRIM_400000_NS6detail17trampoline_kernelINS0_14default_configENS1_25partition_config_selectorILNS1_17partition_subalgoE5ExNS0_10empty_typeEbEEZZNS1_14partition_implILS5_5ELb0ES3_mN6thrust23THRUST_200600_302600_NS6detail15normal_iteratorINSA_10device_ptrIxEEEEPS6_NSA_18transform_iteratorINSB_9not_fun_tI7is_trueIxEEESF_NSA_11use_defaultESM_EENS0_5tupleIJSF_S6_EEENSO_IJSG_SG_EEES6_PlJS6_EEE10hipError_tPvRmT3_T4_T5_T6_T7_T9_mT8_P12ihipStream_tbDpT10_ENKUlT_T0_E_clISt17integral_constantIbLb1EES1B_EEDaS16_S17_EUlS16_E_NS1_11comp_targetILNS1_3genE9ELNS1_11target_archE1100ELNS1_3gpuE3ELNS1_3repE0EEENS1_30default_config_static_selectorELNS0_4arch9wavefront6targetE0EEEvT1_.num_agpr, 0
	.set _ZN7rocprim17ROCPRIM_400000_NS6detail17trampoline_kernelINS0_14default_configENS1_25partition_config_selectorILNS1_17partition_subalgoE5ExNS0_10empty_typeEbEEZZNS1_14partition_implILS5_5ELb0ES3_mN6thrust23THRUST_200600_302600_NS6detail15normal_iteratorINSA_10device_ptrIxEEEEPS6_NSA_18transform_iteratorINSB_9not_fun_tI7is_trueIxEEESF_NSA_11use_defaultESM_EENS0_5tupleIJSF_S6_EEENSO_IJSG_SG_EEES6_PlJS6_EEE10hipError_tPvRmT3_T4_T5_T6_T7_T9_mT8_P12ihipStream_tbDpT10_ENKUlT_T0_E_clISt17integral_constantIbLb1EES1B_EEDaS16_S17_EUlS16_E_NS1_11comp_targetILNS1_3genE9ELNS1_11target_archE1100ELNS1_3gpuE3ELNS1_3repE0EEENS1_30default_config_static_selectorELNS0_4arch9wavefront6targetE0EEEvT1_.numbered_sgpr, 0
	.set _ZN7rocprim17ROCPRIM_400000_NS6detail17trampoline_kernelINS0_14default_configENS1_25partition_config_selectorILNS1_17partition_subalgoE5ExNS0_10empty_typeEbEEZZNS1_14partition_implILS5_5ELb0ES3_mN6thrust23THRUST_200600_302600_NS6detail15normal_iteratorINSA_10device_ptrIxEEEEPS6_NSA_18transform_iteratorINSB_9not_fun_tI7is_trueIxEEESF_NSA_11use_defaultESM_EENS0_5tupleIJSF_S6_EEENSO_IJSG_SG_EEES6_PlJS6_EEE10hipError_tPvRmT3_T4_T5_T6_T7_T9_mT8_P12ihipStream_tbDpT10_ENKUlT_T0_E_clISt17integral_constantIbLb1EES1B_EEDaS16_S17_EUlS16_E_NS1_11comp_targetILNS1_3genE9ELNS1_11target_archE1100ELNS1_3gpuE3ELNS1_3repE0EEENS1_30default_config_static_selectorELNS0_4arch9wavefront6targetE0EEEvT1_.num_named_barrier, 0
	.set _ZN7rocprim17ROCPRIM_400000_NS6detail17trampoline_kernelINS0_14default_configENS1_25partition_config_selectorILNS1_17partition_subalgoE5ExNS0_10empty_typeEbEEZZNS1_14partition_implILS5_5ELb0ES3_mN6thrust23THRUST_200600_302600_NS6detail15normal_iteratorINSA_10device_ptrIxEEEEPS6_NSA_18transform_iteratorINSB_9not_fun_tI7is_trueIxEEESF_NSA_11use_defaultESM_EENS0_5tupleIJSF_S6_EEENSO_IJSG_SG_EEES6_PlJS6_EEE10hipError_tPvRmT3_T4_T5_T6_T7_T9_mT8_P12ihipStream_tbDpT10_ENKUlT_T0_E_clISt17integral_constantIbLb1EES1B_EEDaS16_S17_EUlS16_E_NS1_11comp_targetILNS1_3genE9ELNS1_11target_archE1100ELNS1_3gpuE3ELNS1_3repE0EEENS1_30default_config_static_selectorELNS0_4arch9wavefront6targetE0EEEvT1_.private_seg_size, 0
	.set _ZN7rocprim17ROCPRIM_400000_NS6detail17trampoline_kernelINS0_14default_configENS1_25partition_config_selectorILNS1_17partition_subalgoE5ExNS0_10empty_typeEbEEZZNS1_14partition_implILS5_5ELb0ES3_mN6thrust23THRUST_200600_302600_NS6detail15normal_iteratorINSA_10device_ptrIxEEEEPS6_NSA_18transform_iteratorINSB_9not_fun_tI7is_trueIxEEESF_NSA_11use_defaultESM_EENS0_5tupleIJSF_S6_EEENSO_IJSG_SG_EEES6_PlJS6_EEE10hipError_tPvRmT3_T4_T5_T6_T7_T9_mT8_P12ihipStream_tbDpT10_ENKUlT_T0_E_clISt17integral_constantIbLb1EES1B_EEDaS16_S17_EUlS16_E_NS1_11comp_targetILNS1_3genE9ELNS1_11target_archE1100ELNS1_3gpuE3ELNS1_3repE0EEENS1_30default_config_static_selectorELNS0_4arch9wavefront6targetE0EEEvT1_.uses_vcc, 0
	.set _ZN7rocprim17ROCPRIM_400000_NS6detail17trampoline_kernelINS0_14default_configENS1_25partition_config_selectorILNS1_17partition_subalgoE5ExNS0_10empty_typeEbEEZZNS1_14partition_implILS5_5ELb0ES3_mN6thrust23THRUST_200600_302600_NS6detail15normal_iteratorINSA_10device_ptrIxEEEEPS6_NSA_18transform_iteratorINSB_9not_fun_tI7is_trueIxEEESF_NSA_11use_defaultESM_EENS0_5tupleIJSF_S6_EEENSO_IJSG_SG_EEES6_PlJS6_EEE10hipError_tPvRmT3_T4_T5_T6_T7_T9_mT8_P12ihipStream_tbDpT10_ENKUlT_T0_E_clISt17integral_constantIbLb1EES1B_EEDaS16_S17_EUlS16_E_NS1_11comp_targetILNS1_3genE9ELNS1_11target_archE1100ELNS1_3gpuE3ELNS1_3repE0EEENS1_30default_config_static_selectorELNS0_4arch9wavefront6targetE0EEEvT1_.uses_flat_scratch, 0
	.set _ZN7rocprim17ROCPRIM_400000_NS6detail17trampoline_kernelINS0_14default_configENS1_25partition_config_selectorILNS1_17partition_subalgoE5ExNS0_10empty_typeEbEEZZNS1_14partition_implILS5_5ELb0ES3_mN6thrust23THRUST_200600_302600_NS6detail15normal_iteratorINSA_10device_ptrIxEEEEPS6_NSA_18transform_iteratorINSB_9not_fun_tI7is_trueIxEEESF_NSA_11use_defaultESM_EENS0_5tupleIJSF_S6_EEENSO_IJSG_SG_EEES6_PlJS6_EEE10hipError_tPvRmT3_T4_T5_T6_T7_T9_mT8_P12ihipStream_tbDpT10_ENKUlT_T0_E_clISt17integral_constantIbLb1EES1B_EEDaS16_S17_EUlS16_E_NS1_11comp_targetILNS1_3genE9ELNS1_11target_archE1100ELNS1_3gpuE3ELNS1_3repE0EEENS1_30default_config_static_selectorELNS0_4arch9wavefront6targetE0EEEvT1_.has_dyn_sized_stack, 0
	.set _ZN7rocprim17ROCPRIM_400000_NS6detail17trampoline_kernelINS0_14default_configENS1_25partition_config_selectorILNS1_17partition_subalgoE5ExNS0_10empty_typeEbEEZZNS1_14partition_implILS5_5ELb0ES3_mN6thrust23THRUST_200600_302600_NS6detail15normal_iteratorINSA_10device_ptrIxEEEEPS6_NSA_18transform_iteratorINSB_9not_fun_tI7is_trueIxEEESF_NSA_11use_defaultESM_EENS0_5tupleIJSF_S6_EEENSO_IJSG_SG_EEES6_PlJS6_EEE10hipError_tPvRmT3_T4_T5_T6_T7_T9_mT8_P12ihipStream_tbDpT10_ENKUlT_T0_E_clISt17integral_constantIbLb1EES1B_EEDaS16_S17_EUlS16_E_NS1_11comp_targetILNS1_3genE9ELNS1_11target_archE1100ELNS1_3gpuE3ELNS1_3repE0EEENS1_30default_config_static_selectorELNS0_4arch9wavefront6targetE0EEEvT1_.has_recursion, 0
	.set _ZN7rocprim17ROCPRIM_400000_NS6detail17trampoline_kernelINS0_14default_configENS1_25partition_config_selectorILNS1_17partition_subalgoE5ExNS0_10empty_typeEbEEZZNS1_14partition_implILS5_5ELb0ES3_mN6thrust23THRUST_200600_302600_NS6detail15normal_iteratorINSA_10device_ptrIxEEEEPS6_NSA_18transform_iteratorINSB_9not_fun_tI7is_trueIxEEESF_NSA_11use_defaultESM_EENS0_5tupleIJSF_S6_EEENSO_IJSG_SG_EEES6_PlJS6_EEE10hipError_tPvRmT3_T4_T5_T6_T7_T9_mT8_P12ihipStream_tbDpT10_ENKUlT_T0_E_clISt17integral_constantIbLb1EES1B_EEDaS16_S17_EUlS16_E_NS1_11comp_targetILNS1_3genE9ELNS1_11target_archE1100ELNS1_3gpuE3ELNS1_3repE0EEENS1_30default_config_static_selectorELNS0_4arch9wavefront6targetE0EEEvT1_.has_indirect_call, 0
	.section	.AMDGPU.csdata,"",@progbits
; Kernel info:
; codeLenInByte = 0
; TotalNumSgprs: 0
; NumVgprs: 0
; ScratchSize: 0
; MemoryBound: 0
; FloatMode: 240
; IeeeMode: 1
; LDSByteSize: 0 bytes/workgroup (compile time only)
; SGPRBlocks: 0
; VGPRBlocks: 0
; NumSGPRsForWavesPerEU: 1
; NumVGPRsForWavesPerEU: 1
; Occupancy: 16
; WaveLimiterHint : 0
; COMPUTE_PGM_RSRC2:SCRATCH_EN: 0
; COMPUTE_PGM_RSRC2:USER_SGPR: 2
; COMPUTE_PGM_RSRC2:TRAP_HANDLER: 0
; COMPUTE_PGM_RSRC2:TGID_X_EN: 1
; COMPUTE_PGM_RSRC2:TGID_Y_EN: 0
; COMPUTE_PGM_RSRC2:TGID_Z_EN: 0
; COMPUTE_PGM_RSRC2:TIDIG_COMP_CNT: 0
	.section	.text._ZN7rocprim17ROCPRIM_400000_NS6detail17trampoline_kernelINS0_14default_configENS1_25partition_config_selectorILNS1_17partition_subalgoE5ExNS0_10empty_typeEbEEZZNS1_14partition_implILS5_5ELb0ES3_mN6thrust23THRUST_200600_302600_NS6detail15normal_iteratorINSA_10device_ptrIxEEEEPS6_NSA_18transform_iteratorINSB_9not_fun_tI7is_trueIxEEESF_NSA_11use_defaultESM_EENS0_5tupleIJSF_S6_EEENSO_IJSG_SG_EEES6_PlJS6_EEE10hipError_tPvRmT3_T4_T5_T6_T7_T9_mT8_P12ihipStream_tbDpT10_ENKUlT_T0_E_clISt17integral_constantIbLb1EES1B_EEDaS16_S17_EUlS16_E_NS1_11comp_targetILNS1_3genE8ELNS1_11target_archE1030ELNS1_3gpuE2ELNS1_3repE0EEENS1_30default_config_static_selectorELNS0_4arch9wavefront6targetE0EEEvT1_,"axG",@progbits,_ZN7rocprim17ROCPRIM_400000_NS6detail17trampoline_kernelINS0_14default_configENS1_25partition_config_selectorILNS1_17partition_subalgoE5ExNS0_10empty_typeEbEEZZNS1_14partition_implILS5_5ELb0ES3_mN6thrust23THRUST_200600_302600_NS6detail15normal_iteratorINSA_10device_ptrIxEEEEPS6_NSA_18transform_iteratorINSB_9not_fun_tI7is_trueIxEEESF_NSA_11use_defaultESM_EENS0_5tupleIJSF_S6_EEENSO_IJSG_SG_EEES6_PlJS6_EEE10hipError_tPvRmT3_T4_T5_T6_T7_T9_mT8_P12ihipStream_tbDpT10_ENKUlT_T0_E_clISt17integral_constantIbLb1EES1B_EEDaS16_S17_EUlS16_E_NS1_11comp_targetILNS1_3genE8ELNS1_11target_archE1030ELNS1_3gpuE2ELNS1_3repE0EEENS1_30default_config_static_selectorELNS0_4arch9wavefront6targetE0EEEvT1_,comdat
	.protected	_ZN7rocprim17ROCPRIM_400000_NS6detail17trampoline_kernelINS0_14default_configENS1_25partition_config_selectorILNS1_17partition_subalgoE5ExNS0_10empty_typeEbEEZZNS1_14partition_implILS5_5ELb0ES3_mN6thrust23THRUST_200600_302600_NS6detail15normal_iteratorINSA_10device_ptrIxEEEEPS6_NSA_18transform_iteratorINSB_9not_fun_tI7is_trueIxEEESF_NSA_11use_defaultESM_EENS0_5tupleIJSF_S6_EEENSO_IJSG_SG_EEES6_PlJS6_EEE10hipError_tPvRmT3_T4_T5_T6_T7_T9_mT8_P12ihipStream_tbDpT10_ENKUlT_T0_E_clISt17integral_constantIbLb1EES1B_EEDaS16_S17_EUlS16_E_NS1_11comp_targetILNS1_3genE8ELNS1_11target_archE1030ELNS1_3gpuE2ELNS1_3repE0EEENS1_30default_config_static_selectorELNS0_4arch9wavefront6targetE0EEEvT1_ ; -- Begin function _ZN7rocprim17ROCPRIM_400000_NS6detail17trampoline_kernelINS0_14default_configENS1_25partition_config_selectorILNS1_17partition_subalgoE5ExNS0_10empty_typeEbEEZZNS1_14partition_implILS5_5ELb0ES3_mN6thrust23THRUST_200600_302600_NS6detail15normal_iteratorINSA_10device_ptrIxEEEEPS6_NSA_18transform_iteratorINSB_9not_fun_tI7is_trueIxEEESF_NSA_11use_defaultESM_EENS0_5tupleIJSF_S6_EEENSO_IJSG_SG_EEES6_PlJS6_EEE10hipError_tPvRmT3_T4_T5_T6_T7_T9_mT8_P12ihipStream_tbDpT10_ENKUlT_T0_E_clISt17integral_constantIbLb1EES1B_EEDaS16_S17_EUlS16_E_NS1_11comp_targetILNS1_3genE8ELNS1_11target_archE1030ELNS1_3gpuE2ELNS1_3repE0EEENS1_30default_config_static_selectorELNS0_4arch9wavefront6targetE0EEEvT1_
	.globl	_ZN7rocprim17ROCPRIM_400000_NS6detail17trampoline_kernelINS0_14default_configENS1_25partition_config_selectorILNS1_17partition_subalgoE5ExNS0_10empty_typeEbEEZZNS1_14partition_implILS5_5ELb0ES3_mN6thrust23THRUST_200600_302600_NS6detail15normal_iteratorINSA_10device_ptrIxEEEEPS6_NSA_18transform_iteratorINSB_9not_fun_tI7is_trueIxEEESF_NSA_11use_defaultESM_EENS0_5tupleIJSF_S6_EEENSO_IJSG_SG_EEES6_PlJS6_EEE10hipError_tPvRmT3_T4_T5_T6_T7_T9_mT8_P12ihipStream_tbDpT10_ENKUlT_T0_E_clISt17integral_constantIbLb1EES1B_EEDaS16_S17_EUlS16_E_NS1_11comp_targetILNS1_3genE8ELNS1_11target_archE1030ELNS1_3gpuE2ELNS1_3repE0EEENS1_30default_config_static_selectorELNS0_4arch9wavefront6targetE0EEEvT1_
	.p2align	8
	.type	_ZN7rocprim17ROCPRIM_400000_NS6detail17trampoline_kernelINS0_14default_configENS1_25partition_config_selectorILNS1_17partition_subalgoE5ExNS0_10empty_typeEbEEZZNS1_14partition_implILS5_5ELb0ES3_mN6thrust23THRUST_200600_302600_NS6detail15normal_iteratorINSA_10device_ptrIxEEEEPS6_NSA_18transform_iteratorINSB_9not_fun_tI7is_trueIxEEESF_NSA_11use_defaultESM_EENS0_5tupleIJSF_S6_EEENSO_IJSG_SG_EEES6_PlJS6_EEE10hipError_tPvRmT3_T4_T5_T6_T7_T9_mT8_P12ihipStream_tbDpT10_ENKUlT_T0_E_clISt17integral_constantIbLb1EES1B_EEDaS16_S17_EUlS16_E_NS1_11comp_targetILNS1_3genE8ELNS1_11target_archE1030ELNS1_3gpuE2ELNS1_3repE0EEENS1_30default_config_static_selectorELNS0_4arch9wavefront6targetE0EEEvT1_,@function
_ZN7rocprim17ROCPRIM_400000_NS6detail17trampoline_kernelINS0_14default_configENS1_25partition_config_selectorILNS1_17partition_subalgoE5ExNS0_10empty_typeEbEEZZNS1_14partition_implILS5_5ELb0ES3_mN6thrust23THRUST_200600_302600_NS6detail15normal_iteratorINSA_10device_ptrIxEEEEPS6_NSA_18transform_iteratorINSB_9not_fun_tI7is_trueIxEEESF_NSA_11use_defaultESM_EENS0_5tupleIJSF_S6_EEENSO_IJSG_SG_EEES6_PlJS6_EEE10hipError_tPvRmT3_T4_T5_T6_T7_T9_mT8_P12ihipStream_tbDpT10_ENKUlT_T0_E_clISt17integral_constantIbLb1EES1B_EEDaS16_S17_EUlS16_E_NS1_11comp_targetILNS1_3genE8ELNS1_11target_archE1030ELNS1_3gpuE2ELNS1_3repE0EEENS1_30default_config_static_selectorELNS0_4arch9wavefront6targetE0EEEvT1_: ; @_ZN7rocprim17ROCPRIM_400000_NS6detail17trampoline_kernelINS0_14default_configENS1_25partition_config_selectorILNS1_17partition_subalgoE5ExNS0_10empty_typeEbEEZZNS1_14partition_implILS5_5ELb0ES3_mN6thrust23THRUST_200600_302600_NS6detail15normal_iteratorINSA_10device_ptrIxEEEEPS6_NSA_18transform_iteratorINSB_9not_fun_tI7is_trueIxEEESF_NSA_11use_defaultESM_EENS0_5tupleIJSF_S6_EEENSO_IJSG_SG_EEES6_PlJS6_EEE10hipError_tPvRmT3_T4_T5_T6_T7_T9_mT8_P12ihipStream_tbDpT10_ENKUlT_T0_E_clISt17integral_constantIbLb1EES1B_EEDaS16_S17_EUlS16_E_NS1_11comp_targetILNS1_3genE8ELNS1_11target_archE1030ELNS1_3gpuE2ELNS1_3repE0EEENS1_30default_config_static_selectorELNS0_4arch9wavefront6targetE0EEEvT1_
; %bb.0:
	.section	.rodata,"a",@progbits
	.p2align	6, 0x0
	.amdhsa_kernel _ZN7rocprim17ROCPRIM_400000_NS6detail17trampoline_kernelINS0_14default_configENS1_25partition_config_selectorILNS1_17partition_subalgoE5ExNS0_10empty_typeEbEEZZNS1_14partition_implILS5_5ELb0ES3_mN6thrust23THRUST_200600_302600_NS6detail15normal_iteratorINSA_10device_ptrIxEEEEPS6_NSA_18transform_iteratorINSB_9not_fun_tI7is_trueIxEEESF_NSA_11use_defaultESM_EENS0_5tupleIJSF_S6_EEENSO_IJSG_SG_EEES6_PlJS6_EEE10hipError_tPvRmT3_T4_T5_T6_T7_T9_mT8_P12ihipStream_tbDpT10_ENKUlT_T0_E_clISt17integral_constantIbLb1EES1B_EEDaS16_S17_EUlS16_E_NS1_11comp_targetILNS1_3genE8ELNS1_11target_archE1030ELNS1_3gpuE2ELNS1_3repE0EEENS1_30default_config_static_selectorELNS0_4arch9wavefront6targetE0EEEvT1_
		.amdhsa_group_segment_fixed_size 0
		.amdhsa_private_segment_fixed_size 0
		.amdhsa_kernarg_size 136
		.amdhsa_user_sgpr_count 2
		.amdhsa_user_sgpr_dispatch_ptr 0
		.amdhsa_user_sgpr_queue_ptr 0
		.amdhsa_user_sgpr_kernarg_segment_ptr 1
		.amdhsa_user_sgpr_dispatch_id 0
		.amdhsa_user_sgpr_private_segment_size 0
		.amdhsa_wavefront_size32 1
		.amdhsa_uses_dynamic_stack 0
		.amdhsa_enable_private_segment 0
		.amdhsa_system_sgpr_workgroup_id_x 1
		.amdhsa_system_sgpr_workgroup_id_y 0
		.amdhsa_system_sgpr_workgroup_id_z 0
		.amdhsa_system_sgpr_workgroup_info 0
		.amdhsa_system_vgpr_workitem_id 0
		.amdhsa_next_free_vgpr 1
		.amdhsa_next_free_sgpr 1
		.amdhsa_reserve_vcc 0
		.amdhsa_float_round_mode_32 0
		.amdhsa_float_round_mode_16_64 0
		.amdhsa_float_denorm_mode_32 3
		.amdhsa_float_denorm_mode_16_64 3
		.amdhsa_fp16_overflow 0
		.amdhsa_workgroup_processor_mode 1
		.amdhsa_memory_ordered 1
		.amdhsa_forward_progress 1
		.amdhsa_inst_pref_size 0
		.amdhsa_round_robin_scheduling 0
		.amdhsa_exception_fp_ieee_invalid_op 0
		.amdhsa_exception_fp_denorm_src 0
		.amdhsa_exception_fp_ieee_div_zero 0
		.amdhsa_exception_fp_ieee_overflow 0
		.amdhsa_exception_fp_ieee_underflow 0
		.amdhsa_exception_fp_ieee_inexact 0
		.amdhsa_exception_int_div_zero 0
	.end_amdhsa_kernel
	.section	.text._ZN7rocprim17ROCPRIM_400000_NS6detail17trampoline_kernelINS0_14default_configENS1_25partition_config_selectorILNS1_17partition_subalgoE5ExNS0_10empty_typeEbEEZZNS1_14partition_implILS5_5ELb0ES3_mN6thrust23THRUST_200600_302600_NS6detail15normal_iteratorINSA_10device_ptrIxEEEEPS6_NSA_18transform_iteratorINSB_9not_fun_tI7is_trueIxEEESF_NSA_11use_defaultESM_EENS0_5tupleIJSF_S6_EEENSO_IJSG_SG_EEES6_PlJS6_EEE10hipError_tPvRmT3_T4_T5_T6_T7_T9_mT8_P12ihipStream_tbDpT10_ENKUlT_T0_E_clISt17integral_constantIbLb1EES1B_EEDaS16_S17_EUlS16_E_NS1_11comp_targetILNS1_3genE8ELNS1_11target_archE1030ELNS1_3gpuE2ELNS1_3repE0EEENS1_30default_config_static_selectorELNS0_4arch9wavefront6targetE0EEEvT1_,"axG",@progbits,_ZN7rocprim17ROCPRIM_400000_NS6detail17trampoline_kernelINS0_14default_configENS1_25partition_config_selectorILNS1_17partition_subalgoE5ExNS0_10empty_typeEbEEZZNS1_14partition_implILS5_5ELb0ES3_mN6thrust23THRUST_200600_302600_NS6detail15normal_iteratorINSA_10device_ptrIxEEEEPS6_NSA_18transform_iteratorINSB_9not_fun_tI7is_trueIxEEESF_NSA_11use_defaultESM_EENS0_5tupleIJSF_S6_EEENSO_IJSG_SG_EEES6_PlJS6_EEE10hipError_tPvRmT3_T4_T5_T6_T7_T9_mT8_P12ihipStream_tbDpT10_ENKUlT_T0_E_clISt17integral_constantIbLb1EES1B_EEDaS16_S17_EUlS16_E_NS1_11comp_targetILNS1_3genE8ELNS1_11target_archE1030ELNS1_3gpuE2ELNS1_3repE0EEENS1_30default_config_static_selectorELNS0_4arch9wavefront6targetE0EEEvT1_,comdat
.Lfunc_end1482:
	.size	_ZN7rocprim17ROCPRIM_400000_NS6detail17trampoline_kernelINS0_14default_configENS1_25partition_config_selectorILNS1_17partition_subalgoE5ExNS0_10empty_typeEbEEZZNS1_14partition_implILS5_5ELb0ES3_mN6thrust23THRUST_200600_302600_NS6detail15normal_iteratorINSA_10device_ptrIxEEEEPS6_NSA_18transform_iteratorINSB_9not_fun_tI7is_trueIxEEESF_NSA_11use_defaultESM_EENS0_5tupleIJSF_S6_EEENSO_IJSG_SG_EEES6_PlJS6_EEE10hipError_tPvRmT3_T4_T5_T6_T7_T9_mT8_P12ihipStream_tbDpT10_ENKUlT_T0_E_clISt17integral_constantIbLb1EES1B_EEDaS16_S17_EUlS16_E_NS1_11comp_targetILNS1_3genE8ELNS1_11target_archE1030ELNS1_3gpuE2ELNS1_3repE0EEENS1_30default_config_static_selectorELNS0_4arch9wavefront6targetE0EEEvT1_, .Lfunc_end1482-_ZN7rocprim17ROCPRIM_400000_NS6detail17trampoline_kernelINS0_14default_configENS1_25partition_config_selectorILNS1_17partition_subalgoE5ExNS0_10empty_typeEbEEZZNS1_14partition_implILS5_5ELb0ES3_mN6thrust23THRUST_200600_302600_NS6detail15normal_iteratorINSA_10device_ptrIxEEEEPS6_NSA_18transform_iteratorINSB_9not_fun_tI7is_trueIxEEESF_NSA_11use_defaultESM_EENS0_5tupleIJSF_S6_EEENSO_IJSG_SG_EEES6_PlJS6_EEE10hipError_tPvRmT3_T4_T5_T6_T7_T9_mT8_P12ihipStream_tbDpT10_ENKUlT_T0_E_clISt17integral_constantIbLb1EES1B_EEDaS16_S17_EUlS16_E_NS1_11comp_targetILNS1_3genE8ELNS1_11target_archE1030ELNS1_3gpuE2ELNS1_3repE0EEENS1_30default_config_static_selectorELNS0_4arch9wavefront6targetE0EEEvT1_
                                        ; -- End function
	.set _ZN7rocprim17ROCPRIM_400000_NS6detail17trampoline_kernelINS0_14default_configENS1_25partition_config_selectorILNS1_17partition_subalgoE5ExNS0_10empty_typeEbEEZZNS1_14partition_implILS5_5ELb0ES3_mN6thrust23THRUST_200600_302600_NS6detail15normal_iteratorINSA_10device_ptrIxEEEEPS6_NSA_18transform_iteratorINSB_9not_fun_tI7is_trueIxEEESF_NSA_11use_defaultESM_EENS0_5tupleIJSF_S6_EEENSO_IJSG_SG_EEES6_PlJS6_EEE10hipError_tPvRmT3_T4_T5_T6_T7_T9_mT8_P12ihipStream_tbDpT10_ENKUlT_T0_E_clISt17integral_constantIbLb1EES1B_EEDaS16_S17_EUlS16_E_NS1_11comp_targetILNS1_3genE8ELNS1_11target_archE1030ELNS1_3gpuE2ELNS1_3repE0EEENS1_30default_config_static_selectorELNS0_4arch9wavefront6targetE0EEEvT1_.num_vgpr, 0
	.set _ZN7rocprim17ROCPRIM_400000_NS6detail17trampoline_kernelINS0_14default_configENS1_25partition_config_selectorILNS1_17partition_subalgoE5ExNS0_10empty_typeEbEEZZNS1_14partition_implILS5_5ELb0ES3_mN6thrust23THRUST_200600_302600_NS6detail15normal_iteratorINSA_10device_ptrIxEEEEPS6_NSA_18transform_iteratorINSB_9not_fun_tI7is_trueIxEEESF_NSA_11use_defaultESM_EENS0_5tupleIJSF_S6_EEENSO_IJSG_SG_EEES6_PlJS6_EEE10hipError_tPvRmT3_T4_T5_T6_T7_T9_mT8_P12ihipStream_tbDpT10_ENKUlT_T0_E_clISt17integral_constantIbLb1EES1B_EEDaS16_S17_EUlS16_E_NS1_11comp_targetILNS1_3genE8ELNS1_11target_archE1030ELNS1_3gpuE2ELNS1_3repE0EEENS1_30default_config_static_selectorELNS0_4arch9wavefront6targetE0EEEvT1_.num_agpr, 0
	.set _ZN7rocprim17ROCPRIM_400000_NS6detail17trampoline_kernelINS0_14default_configENS1_25partition_config_selectorILNS1_17partition_subalgoE5ExNS0_10empty_typeEbEEZZNS1_14partition_implILS5_5ELb0ES3_mN6thrust23THRUST_200600_302600_NS6detail15normal_iteratorINSA_10device_ptrIxEEEEPS6_NSA_18transform_iteratorINSB_9not_fun_tI7is_trueIxEEESF_NSA_11use_defaultESM_EENS0_5tupleIJSF_S6_EEENSO_IJSG_SG_EEES6_PlJS6_EEE10hipError_tPvRmT3_T4_T5_T6_T7_T9_mT8_P12ihipStream_tbDpT10_ENKUlT_T0_E_clISt17integral_constantIbLb1EES1B_EEDaS16_S17_EUlS16_E_NS1_11comp_targetILNS1_3genE8ELNS1_11target_archE1030ELNS1_3gpuE2ELNS1_3repE0EEENS1_30default_config_static_selectorELNS0_4arch9wavefront6targetE0EEEvT1_.numbered_sgpr, 0
	.set _ZN7rocprim17ROCPRIM_400000_NS6detail17trampoline_kernelINS0_14default_configENS1_25partition_config_selectorILNS1_17partition_subalgoE5ExNS0_10empty_typeEbEEZZNS1_14partition_implILS5_5ELb0ES3_mN6thrust23THRUST_200600_302600_NS6detail15normal_iteratorINSA_10device_ptrIxEEEEPS6_NSA_18transform_iteratorINSB_9not_fun_tI7is_trueIxEEESF_NSA_11use_defaultESM_EENS0_5tupleIJSF_S6_EEENSO_IJSG_SG_EEES6_PlJS6_EEE10hipError_tPvRmT3_T4_T5_T6_T7_T9_mT8_P12ihipStream_tbDpT10_ENKUlT_T0_E_clISt17integral_constantIbLb1EES1B_EEDaS16_S17_EUlS16_E_NS1_11comp_targetILNS1_3genE8ELNS1_11target_archE1030ELNS1_3gpuE2ELNS1_3repE0EEENS1_30default_config_static_selectorELNS0_4arch9wavefront6targetE0EEEvT1_.num_named_barrier, 0
	.set _ZN7rocprim17ROCPRIM_400000_NS6detail17trampoline_kernelINS0_14default_configENS1_25partition_config_selectorILNS1_17partition_subalgoE5ExNS0_10empty_typeEbEEZZNS1_14partition_implILS5_5ELb0ES3_mN6thrust23THRUST_200600_302600_NS6detail15normal_iteratorINSA_10device_ptrIxEEEEPS6_NSA_18transform_iteratorINSB_9not_fun_tI7is_trueIxEEESF_NSA_11use_defaultESM_EENS0_5tupleIJSF_S6_EEENSO_IJSG_SG_EEES6_PlJS6_EEE10hipError_tPvRmT3_T4_T5_T6_T7_T9_mT8_P12ihipStream_tbDpT10_ENKUlT_T0_E_clISt17integral_constantIbLb1EES1B_EEDaS16_S17_EUlS16_E_NS1_11comp_targetILNS1_3genE8ELNS1_11target_archE1030ELNS1_3gpuE2ELNS1_3repE0EEENS1_30default_config_static_selectorELNS0_4arch9wavefront6targetE0EEEvT1_.private_seg_size, 0
	.set _ZN7rocprim17ROCPRIM_400000_NS6detail17trampoline_kernelINS0_14default_configENS1_25partition_config_selectorILNS1_17partition_subalgoE5ExNS0_10empty_typeEbEEZZNS1_14partition_implILS5_5ELb0ES3_mN6thrust23THRUST_200600_302600_NS6detail15normal_iteratorINSA_10device_ptrIxEEEEPS6_NSA_18transform_iteratorINSB_9not_fun_tI7is_trueIxEEESF_NSA_11use_defaultESM_EENS0_5tupleIJSF_S6_EEENSO_IJSG_SG_EEES6_PlJS6_EEE10hipError_tPvRmT3_T4_T5_T6_T7_T9_mT8_P12ihipStream_tbDpT10_ENKUlT_T0_E_clISt17integral_constantIbLb1EES1B_EEDaS16_S17_EUlS16_E_NS1_11comp_targetILNS1_3genE8ELNS1_11target_archE1030ELNS1_3gpuE2ELNS1_3repE0EEENS1_30default_config_static_selectorELNS0_4arch9wavefront6targetE0EEEvT1_.uses_vcc, 0
	.set _ZN7rocprim17ROCPRIM_400000_NS6detail17trampoline_kernelINS0_14default_configENS1_25partition_config_selectorILNS1_17partition_subalgoE5ExNS0_10empty_typeEbEEZZNS1_14partition_implILS5_5ELb0ES3_mN6thrust23THRUST_200600_302600_NS6detail15normal_iteratorINSA_10device_ptrIxEEEEPS6_NSA_18transform_iteratorINSB_9not_fun_tI7is_trueIxEEESF_NSA_11use_defaultESM_EENS0_5tupleIJSF_S6_EEENSO_IJSG_SG_EEES6_PlJS6_EEE10hipError_tPvRmT3_T4_T5_T6_T7_T9_mT8_P12ihipStream_tbDpT10_ENKUlT_T0_E_clISt17integral_constantIbLb1EES1B_EEDaS16_S17_EUlS16_E_NS1_11comp_targetILNS1_3genE8ELNS1_11target_archE1030ELNS1_3gpuE2ELNS1_3repE0EEENS1_30default_config_static_selectorELNS0_4arch9wavefront6targetE0EEEvT1_.uses_flat_scratch, 0
	.set _ZN7rocprim17ROCPRIM_400000_NS6detail17trampoline_kernelINS0_14default_configENS1_25partition_config_selectorILNS1_17partition_subalgoE5ExNS0_10empty_typeEbEEZZNS1_14partition_implILS5_5ELb0ES3_mN6thrust23THRUST_200600_302600_NS6detail15normal_iteratorINSA_10device_ptrIxEEEEPS6_NSA_18transform_iteratorINSB_9not_fun_tI7is_trueIxEEESF_NSA_11use_defaultESM_EENS0_5tupleIJSF_S6_EEENSO_IJSG_SG_EEES6_PlJS6_EEE10hipError_tPvRmT3_T4_T5_T6_T7_T9_mT8_P12ihipStream_tbDpT10_ENKUlT_T0_E_clISt17integral_constantIbLb1EES1B_EEDaS16_S17_EUlS16_E_NS1_11comp_targetILNS1_3genE8ELNS1_11target_archE1030ELNS1_3gpuE2ELNS1_3repE0EEENS1_30default_config_static_selectorELNS0_4arch9wavefront6targetE0EEEvT1_.has_dyn_sized_stack, 0
	.set _ZN7rocprim17ROCPRIM_400000_NS6detail17trampoline_kernelINS0_14default_configENS1_25partition_config_selectorILNS1_17partition_subalgoE5ExNS0_10empty_typeEbEEZZNS1_14partition_implILS5_5ELb0ES3_mN6thrust23THRUST_200600_302600_NS6detail15normal_iteratorINSA_10device_ptrIxEEEEPS6_NSA_18transform_iteratorINSB_9not_fun_tI7is_trueIxEEESF_NSA_11use_defaultESM_EENS0_5tupleIJSF_S6_EEENSO_IJSG_SG_EEES6_PlJS6_EEE10hipError_tPvRmT3_T4_T5_T6_T7_T9_mT8_P12ihipStream_tbDpT10_ENKUlT_T0_E_clISt17integral_constantIbLb1EES1B_EEDaS16_S17_EUlS16_E_NS1_11comp_targetILNS1_3genE8ELNS1_11target_archE1030ELNS1_3gpuE2ELNS1_3repE0EEENS1_30default_config_static_selectorELNS0_4arch9wavefront6targetE0EEEvT1_.has_recursion, 0
	.set _ZN7rocprim17ROCPRIM_400000_NS6detail17trampoline_kernelINS0_14default_configENS1_25partition_config_selectorILNS1_17partition_subalgoE5ExNS0_10empty_typeEbEEZZNS1_14partition_implILS5_5ELb0ES3_mN6thrust23THRUST_200600_302600_NS6detail15normal_iteratorINSA_10device_ptrIxEEEEPS6_NSA_18transform_iteratorINSB_9not_fun_tI7is_trueIxEEESF_NSA_11use_defaultESM_EENS0_5tupleIJSF_S6_EEENSO_IJSG_SG_EEES6_PlJS6_EEE10hipError_tPvRmT3_T4_T5_T6_T7_T9_mT8_P12ihipStream_tbDpT10_ENKUlT_T0_E_clISt17integral_constantIbLb1EES1B_EEDaS16_S17_EUlS16_E_NS1_11comp_targetILNS1_3genE8ELNS1_11target_archE1030ELNS1_3gpuE2ELNS1_3repE0EEENS1_30default_config_static_selectorELNS0_4arch9wavefront6targetE0EEEvT1_.has_indirect_call, 0
	.section	.AMDGPU.csdata,"",@progbits
; Kernel info:
; codeLenInByte = 0
; TotalNumSgprs: 0
; NumVgprs: 0
; ScratchSize: 0
; MemoryBound: 0
; FloatMode: 240
; IeeeMode: 1
; LDSByteSize: 0 bytes/workgroup (compile time only)
; SGPRBlocks: 0
; VGPRBlocks: 0
; NumSGPRsForWavesPerEU: 1
; NumVGPRsForWavesPerEU: 1
; Occupancy: 16
; WaveLimiterHint : 0
; COMPUTE_PGM_RSRC2:SCRATCH_EN: 0
; COMPUTE_PGM_RSRC2:USER_SGPR: 2
; COMPUTE_PGM_RSRC2:TRAP_HANDLER: 0
; COMPUTE_PGM_RSRC2:TGID_X_EN: 1
; COMPUTE_PGM_RSRC2:TGID_Y_EN: 0
; COMPUTE_PGM_RSRC2:TGID_Z_EN: 0
; COMPUTE_PGM_RSRC2:TIDIG_COMP_CNT: 0
	.section	.text._ZN7rocprim17ROCPRIM_400000_NS6detail17trampoline_kernelINS0_14default_configENS1_25partition_config_selectorILNS1_17partition_subalgoE5ExNS0_10empty_typeEbEEZZNS1_14partition_implILS5_5ELb0ES3_mN6thrust23THRUST_200600_302600_NS6detail15normal_iteratorINSA_10device_ptrIxEEEEPS6_NSA_18transform_iteratorINSB_9not_fun_tI7is_trueIxEEESF_NSA_11use_defaultESM_EENS0_5tupleIJSF_S6_EEENSO_IJSG_SG_EEES6_PlJS6_EEE10hipError_tPvRmT3_T4_T5_T6_T7_T9_mT8_P12ihipStream_tbDpT10_ENKUlT_T0_E_clISt17integral_constantIbLb1EES1A_IbLb0EEEEDaS16_S17_EUlS16_E_NS1_11comp_targetILNS1_3genE0ELNS1_11target_archE4294967295ELNS1_3gpuE0ELNS1_3repE0EEENS1_30default_config_static_selectorELNS0_4arch9wavefront6targetE0EEEvT1_,"axG",@progbits,_ZN7rocprim17ROCPRIM_400000_NS6detail17trampoline_kernelINS0_14default_configENS1_25partition_config_selectorILNS1_17partition_subalgoE5ExNS0_10empty_typeEbEEZZNS1_14partition_implILS5_5ELb0ES3_mN6thrust23THRUST_200600_302600_NS6detail15normal_iteratorINSA_10device_ptrIxEEEEPS6_NSA_18transform_iteratorINSB_9not_fun_tI7is_trueIxEEESF_NSA_11use_defaultESM_EENS0_5tupleIJSF_S6_EEENSO_IJSG_SG_EEES6_PlJS6_EEE10hipError_tPvRmT3_T4_T5_T6_T7_T9_mT8_P12ihipStream_tbDpT10_ENKUlT_T0_E_clISt17integral_constantIbLb1EES1A_IbLb0EEEEDaS16_S17_EUlS16_E_NS1_11comp_targetILNS1_3genE0ELNS1_11target_archE4294967295ELNS1_3gpuE0ELNS1_3repE0EEENS1_30default_config_static_selectorELNS0_4arch9wavefront6targetE0EEEvT1_,comdat
	.protected	_ZN7rocprim17ROCPRIM_400000_NS6detail17trampoline_kernelINS0_14default_configENS1_25partition_config_selectorILNS1_17partition_subalgoE5ExNS0_10empty_typeEbEEZZNS1_14partition_implILS5_5ELb0ES3_mN6thrust23THRUST_200600_302600_NS6detail15normal_iteratorINSA_10device_ptrIxEEEEPS6_NSA_18transform_iteratorINSB_9not_fun_tI7is_trueIxEEESF_NSA_11use_defaultESM_EENS0_5tupleIJSF_S6_EEENSO_IJSG_SG_EEES6_PlJS6_EEE10hipError_tPvRmT3_T4_T5_T6_T7_T9_mT8_P12ihipStream_tbDpT10_ENKUlT_T0_E_clISt17integral_constantIbLb1EES1A_IbLb0EEEEDaS16_S17_EUlS16_E_NS1_11comp_targetILNS1_3genE0ELNS1_11target_archE4294967295ELNS1_3gpuE0ELNS1_3repE0EEENS1_30default_config_static_selectorELNS0_4arch9wavefront6targetE0EEEvT1_ ; -- Begin function _ZN7rocprim17ROCPRIM_400000_NS6detail17trampoline_kernelINS0_14default_configENS1_25partition_config_selectorILNS1_17partition_subalgoE5ExNS0_10empty_typeEbEEZZNS1_14partition_implILS5_5ELb0ES3_mN6thrust23THRUST_200600_302600_NS6detail15normal_iteratorINSA_10device_ptrIxEEEEPS6_NSA_18transform_iteratorINSB_9not_fun_tI7is_trueIxEEESF_NSA_11use_defaultESM_EENS0_5tupleIJSF_S6_EEENSO_IJSG_SG_EEES6_PlJS6_EEE10hipError_tPvRmT3_T4_T5_T6_T7_T9_mT8_P12ihipStream_tbDpT10_ENKUlT_T0_E_clISt17integral_constantIbLb1EES1A_IbLb0EEEEDaS16_S17_EUlS16_E_NS1_11comp_targetILNS1_3genE0ELNS1_11target_archE4294967295ELNS1_3gpuE0ELNS1_3repE0EEENS1_30default_config_static_selectorELNS0_4arch9wavefront6targetE0EEEvT1_
	.globl	_ZN7rocprim17ROCPRIM_400000_NS6detail17trampoline_kernelINS0_14default_configENS1_25partition_config_selectorILNS1_17partition_subalgoE5ExNS0_10empty_typeEbEEZZNS1_14partition_implILS5_5ELb0ES3_mN6thrust23THRUST_200600_302600_NS6detail15normal_iteratorINSA_10device_ptrIxEEEEPS6_NSA_18transform_iteratorINSB_9not_fun_tI7is_trueIxEEESF_NSA_11use_defaultESM_EENS0_5tupleIJSF_S6_EEENSO_IJSG_SG_EEES6_PlJS6_EEE10hipError_tPvRmT3_T4_T5_T6_T7_T9_mT8_P12ihipStream_tbDpT10_ENKUlT_T0_E_clISt17integral_constantIbLb1EES1A_IbLb0EEEEDaS16_S17_EUlS16_E_NS1_11comp_targetILNS1_3genE0ELNS1_11target_archE4294967295ELNS1_3gpuE0ELNS1_3repE0EEENS1_30default_config_static_selectorELNS0_4arch9wavefront6targetE0EEEvT1_
	.p2align	8
	.type	_ZN7rocprim17ROCPRIM_400000_NS6detail17trampoline_kernelINS0_14default_configENS1_25partition_config_selectorILNS1_17partition_subalgoE5ExNS0_10empty_typeEbEEZZNS1_14partition_implILS5_5ELb0ES3_mN6thrust23THRUST_200600_302600_NS6detail15normal_iteratorINSA_10device_ptrIxEEEEPS6_NSA_18transform_iteratorINSB_9not_fun_tI7is_trueIxEEESF_NSA_11use_defaultESM_EENS0_5tupleIJSF_S6_EEENSO_IJSG_SG_EEES6_PlJS6_EEE10hipError_tPvRmT3_T4_T5_T6_T7_T9_mT8_P12ihipStream_tbDpT10_ENKUlT_T0_E_clISt17integral_constantIbLb1EES1A_IbLb0EEEEDaS16_S17_EUlS16_E_NS1_11comp_targetILNS1_3genE0ELNS1_11target_archE4294967295ELNS1_3gpuE0ELNS1_3repE0EEENS1_30default_config_static_selectorELNS0_4arch9wavefront6targetE0EEEvT1_,@function
_ZN7rocprim17ROCPRIM_400000_NS6detail17trampoline_kernelINS0_14default_configENS1_25partition_config_selectorILNS1_17partition_subalgoE5ExNS0_10empty_typeEbEEZZNS1_14partition_implILS5_5ELb0ES3_mN6thrust23THRUST_200600_302600_NS6detail15normal_iteratorINSA_10device_ptrIxEEEEPS6_NSA_18transform_iteratorINSB_9not_fun_tI7is_trueIxEEESF_NSA_11use_defaultESM_EENS0_5tupleIJSF_S6_EEENSO_IJSG_SG_EEES6_PlJS6_EEE10hipError_tPvRmT3_T4_T5_T6_T7_T9_mT8_P12ihipStream_tbDpT10_ENKUlT_T0_E_clISt17integral_constantIbLb1EES1A_IbLb0EEEEDaS16_S17_EUlS16_E_NS1_11comp_targetILNS1_3genE0ELNS1_11target_archE4294967295ELNS1_3gpuE0ELNS1_3repE0EEENS1_30default_config_static_selectorELNS0_4arch9wavefront6targetE0EEEvT1_: ; @_ZN7rocprim17ROCPRIM_400000_NS6detail17trampoline_kernelINS0_14default_configENS1_25partition_config_selectorILNS1_17partition_subalgoE5ExNS0_10empty_typeEbEEZZNS1_14partition_implILS5_5ELb0ES3_mN6thrust23THRUST_200600_302600_NS6detail15normal_iteratorINSA_10device_ptrIxEEEEPS6_NSA_18transform_iteratorINSB_9not_fun_tI7is_trueIxEEESF_NSA_11use_defaultESM_EENS0_5tupleIJSF_S6_EEENSO_IJSG_SG_EEES6_PlJS6_EEE10hipError_tPvRmT3_T4_T5_T6_T7_T9_mT8_P12ihipStream_tbDpT10_ENKUlT_T0_E_clISt17integral_constantIbLb1EES1A_IbLb0EEEEDaS16_S17_EUlS16_E_NS1_11comp_targetILNS1_3genE0ELNS1_11target_archE4294967295ELNS1_3gpuE0ELNS1_3repE0EEENS1_30default_config_static_selectorELNS0_4arch9wavefront6targetE0EEEvT1_
; %bb.0:
	.section	.rodata,"a",@progbits
	.p2align	6, 0x0
	.amdhsa_kernel _ZN7rocprim17ROCPRIM_400000_NS6detail17trampoline_kernelINS0_14default_configENS1_25partition_config_selectorILNS1_17partition_subalgoE5ExNS0_10empty_typeEbEEZZNS1_14partition_implILS5_5ELb0ES3_mN6thrust23THRUST_200600_302600_NS6detail15normal_iteratorINSA_10device_ptrIxEEEEPS6_NSA_18transform_iteratorINSB_9not_fun_tI7is_trueIxEEESF_NSA_11use_defaultESM_EENS0_5tupleIJSF_S6_EEENSO_IJSG_SG_EEES6_PlJS6_EEE10hipError_tPvRmT3_T4_T5_T6_T7_T9_mT8_P12ihipStream_tbDpT10_ENKUlT_T0_E_clISt17integral_constantIbLb1EES1A_IbLb0EEEEDaS16_S17_EUlS16_E_NS1_11comp_targetILNS1_3genE0ELNS1_11target_archE4294967295ELNS1_3gpuE0ELNS1_3repE0EEENS1_30default_config_static_selectorELNS0_4arch9wavefront6targetE0EEEvT1_
		.amdhsa_group_segment_fixed_size 0
		.amdhsa_private_segment_fixed_size 0
		.amdhsa_kernarg_size 120
		.amdhsa_user_sgpr_count 2
		.amdhsa_user_sgpr_dispatch_ptr 0
		.amdhsa_user_sgpr_queue_ptr 0
		.amdhsa_user_sgpr_kernarg_segment_ptr 1
		.amdhsa_user_sgpr_dispatch_id 0
		.amdhsa_user_sgpr_private_segment_size 0
		.amdhsa_wavefront_size32 1
		.amdhsa_uses_dynamic_stack 0
		.amdhsa_enable_private_segment 0
		.amdhsa_system_sgpr_workgroup_id_x 1
		.amdhsa_system_sgpr_workgroup_id_y 0
		.amdhsa_system_sgpr_workgroup_id_z 0
		.amdhsa_system_sgpr_workgroup_info 0
		.amdhsa_system_vgpr_workitem_id 0
		.amdhsa_next_free_vgpr 1
		.amdhsa_next_free_sgpr 1
		.amdhsa_reserve_vcc 0
		.amdhsa_float_round_mode_32 0
		.amdhsa_float_round_mode_16_64 0
		.amdhsa_float_denorm_mode_32 3
		.amdhsa_float_denorm_mode_16_64 3
		.amdhsa_fp16_overflow 0
		.amdhsa_workgroup_processor_mode 1
		.amdhsa_memory_ordered 1
		.amdhsa_forward_progress 1
		.amdhsa_inst_pref_size 0
		.amdhsa_round_robin_scheduling 0
		.amdhsa_exception_fp_ieee_invalid_op 0
		.amdhsa_exception_fp_denorm_src 0
		.amdhsa_exception_fp_ieee_div_zero 0
		.amdhsa_exception_fp_ieee_overflow 0
		.amdhsa_exception_fp_ieee_underflow 0
		.amdhsa_exception_fp_ieee_inexact 0
		.amdhsa_exception_int_div_zero 0
	.end_amdhsa_kernel
	.section	.text._ZN7rocprim17ROCPRIM_400000_NS6detail17trampoline_kernelINS0_14default_configENS1_25partition_config_selectorILNS1_17partition_subalgoE5ExNS0_10empty_typeEbEEZZNS1_14partition_implILS5_5ELb0ES3_mN6thrust23THRUST_200600_302600_NS6detail15normal_iteratorINSA_10device_ptrIxEEEEPS6_NSA_18transform_iteratorINSB_9not_fun_tI7is_trueIxEEESF_NSA_11use_defaultESM_EENS0_5tupleIJSF_S6_EEENSO_IJSG_SG_EEES6_PlJS6_EEE10hipError_tPvRmT3_T4_T5_T6_T7_T9_mT8_P12ihipStream_tbDpT10_ENKUlT_T0_E_clISt17integral_constantIbLb1EES1A_IbLb0EEEEDaS16_S17_EUlS16_E_NS1_11comp_targetILNS1_3genE0ELNS1_11target_archE4294967295ELNS1_3gpuE0ELNS1_3repE0EEENS1_30default_config_static_selectorELNS0_4arch9wavefront6targetE0EEEvT1_,"axG",@progbits,_ZN7rocprim17ROCPRIM_400000_NS6detail17trampoline_kernelINS0_14default_configENS1_25partition_config_selectorILNS1_17partition_subalgoE5ExNS0_10empty_typeEbEEZZNS1_14partition_implILS5_5ELb0ES3_mN6thrust23THRUST_200600_302600_NS6detail15normal_iteratorINSA_10device_ptrIxEEEEPS6_NSA_18transform_iteratorINSB_9not_fun_tI7is_trueIxEEESF_NSA_11use_defaultESM_EENS0_5tupleIJSF_S6_EEENSO_IJSG_SG_EEES6_PlJS6_EEE10hipError_tPvRmT3_T4_T5_T6_T7_T9_mT8_P12ihipStream_tbDpT10_ENKUlT_T0_E_clISt17integral_constantIbLb1EES1A_IbLb0EEEEDaS16_S17_EUlS16_E_NS1_11comp_targetILNS1_3genE0ELNS1_11target_archE4294967295ELNS1_3gpuE0ELNS1_3repE0EEENS1_30default_config_static_selectorELNS0_4arch9wavefront6targetE0EEEvT1_,comdat
.Lfunc_end1483:
	.size	_ZN7rocprim17ROCPRIM_400000_NS6detail17trampoline_kernelINS0_14default_configENS1_25partition_config_selectorILNS1_17partition_subalgoE5ExNS0_10empty_typeEbEEZZNS1_14partition_implILS5_5ELb0ES3_mN6thrust23THRUST_200600_302600_NS6detail15normal_iteratorINSA_10device_ptrIxEEEEPS6_NSA_18transform_iteratorINSB_9not_fun_tI7is_trueIxEEESF_NSA_11use_defaultESM_EENS0_5tupleIJSF_S6_EEENSO_IJSG_SG_EEES6_PlJS6_EEE10hipError_tPvRmT3_T4_T5_T6_T7_T9_mT8_P12ihipStream_tbDpT10_ENKUlT_T0_E_clISt17integral_constantIbLb1EES1A_IbLb0EEEEDaS16_S17_EUlS16_E_NS1_11comp_targetILNS1_3genE0ELNS1_11target_archE4294967295ELNS1_3gpuE0ELNS1_3repE0EEENS1_30default_config_static_selectorELNS0_4arch9wavefront6targetE0EEEvT1_, .Lfunc_end1483-_ZN7rocprim17ROCPRIM_400000_NS6detail17trampoline_kernelINS0_14default_configENS1_25partition_config_selectorILNS1_17partition_subalgoE5ExNS0_10empty_typeEbEEZZNS1_14partition_implILS5_5ELb0ES3_mN6thrust23THRUST_200600_302600_NS6detail15normal_iteratorINSA_10device_ptrIxEEEEPS6_NSA_18transform_iteratorINSB_9not_fun_tI7is_trueIxEEESF_NSA_11use_defaultESM_EENS0_5tupleIJSF_S6_EEENSO_IJSG_SG_EEES6_PlJS6_EEE10hipError_tPvRmT3_T4_T5_T6_T7_T9_mT8_P12ihipStream_tbDpT10_ENKUlT_T0_E_clISt17integral_constantIbLb1EES1A_IbLb0EEEEDaS16_S17_EUlS16_E_NS1_11comp_targetILNS1_3genE0ELNS1_11target_archE4294967295ELNS1_3gpuE0ELNS1_3repE0EEENS1_30default_config_static_selectorELNS0_4arch9wavefront6targetE0EEEvT1_
                                        ; -- End function
	.set _ZN7rocprim17ROCPRIM_400000_NS6detail17trampoline_kernelINS0_14default_configENS1_25partition_config_selectorILNS1_17partition_subalgoE5ExNS0_10empty_typeEbEEZZNS1_14partition_implILS5_5ELb0ES3_mN6thrust23THRUST_200600_302600_NS6detail15normal_iteratorINSA_10device_ptrIxEEEEPS6_NSA_18transform_iteratorINSB_9not_fun_tI7is_trueIxEEESF_NSA_11use_defaultESM_EENS0_5tupleIJSF_S6_EEENSO_IJSG_SG_EEES6_PlJS6_EEE10hipError_tPvRmT3_T4_T5_T6_T7_T9_mT8_P12ihipStream_tbDpT10_ENKUlT_T0_E_clISt17integral_constantIbLb1EES1A_IbLb0EEEEDaS16_S17_EUlS16_E_NS1_11comp_targetILNS1_3genE0ELNS1_11target_archE4294967295ELNS1_3gpuE0ELNS1_3repE0EEENS1_30default_config_static_selectorELNS0_4arch9wavefront6targetE0EEEvT1_.num_vgpr, 0
	.set _ZN7rocprim17ROCPRIM_400000_NS6detail17trampoline_kernelINS0_14default_configENS1_25partition_config_selectorILNS1_17partition_subalgoE5ExNS0_10empty_typeEbEEZZNS1_14partition_implILS5_5ELb0ES3_mN6thrust23THRUST_200600_302600_NS6detail15normal_iteratorINSA_10device_ptrIxEEEEPS6_NSA_18transform_iteratorINSB_9not_fun_tI7is_trueIxEEESF_NSA_11use_defaultESM_EENS0_5tupleIJSF_S6_EEENSO_IJSG_SG_EEES6_PlJS6_EEE10hipError_tPvRmT3_T4_T5_T6_T7_T9_mT8_P12ihipStream_tbDpT10_ENKUlT_T0_E_clISt17integral_constantIbLb1EES1A_IbLb0EEEEDaS16_S17_EUlS16_E_NS1_11comp_targetILNS1_3genE0ELNS1_11target_archE4294967295ELNS1_3gpuE0ELNS1_3repE0EEENS1_30default_config_static_selectorELNS0_4arch9wavefront6targetE0EEEvT1_.num_agpr, 0
	.set _ZN7rocprim17ROCPRIM_400000_NS6detail17trampoline_kernelINS0_14default_configENS1_25partition_config_selectorILNS1_17partition_subalgoE5ExNS0_10empty_typeEbEEZZNS1_14partition_implILS5_5ELb0ES3_mN6thrust23THRUST_200600_302600_NS6detail15normal_iteratorINSA_10device_ptrIxEEEEPS6_NSA_18transform_iteratorINSB_9not_fun_tI7is_trueIxEEESF_NSA_11use_defaultESM_EENS0_5tupleIJSF_S6_EEENSO_IJSG_SG_EEES6_PlJS6_EEE10hipError_tPvRmT3_T4_T5_T6_T7_T9_mT8_P12ihipStream_tbDpT10_ENKUlT_T0_E_clISt17integral_constantIbLb1EES1A_IbLb0EEEEDaS16_S17_EUlS16_E_NS1_11comp_targetILNS1_3genE0ELNS1_11target_archE4294967295ELNS1_3gpuE0ELNS1_3repE0EEENS1_30default_config_static_selectorELNS0_4arch9wavefront6targetE0EEEvT1_.numbered_sgpr, 0
	.set _ZN7rocprim17ROCPRIM_400000_NS6detail17trampoline_kernelINS0_14default_configENS1_25partition_config_selectorILNS1_17partition_subalgoE5ExNS0_10empty_typeEbEEZZNS1_14partition_implILS5_5ELb0ES3_mN6thrust23THRUST_200600_302600_NS6detail15normal_iteratorINSA_10device_ptrIxEEEEPS6_NSA_18transform_iteratorINSB_9not_fun_tI7is_trueIxEEESF_NSA_11use_defaultESM_EENS0_5tupleIJSF_S6_EEENSO_IJSG_SG_EEES6_PlJS6_EEE10hipError_tPvRmT3_T4_T5_T6_T7_T9_mT8_P12ihipStream_tbDpT10_ENKUlT_T0_E_clISt17integral_constantIbLb1EES1A_IbLb0EEEEDaS16_S17_EUlS16_E_NS1_11comp_targetILNS1_3genE0ELNS1_11target_archE4294967295ELNS1_3gpuE0ELNS1_3repE0EEENS1_30default_config_static_selectorELNS0_4arch9wavefront6targetE0EEEvT1_.num_named_barrier, 0
	.set _ZN7rocprim17ROCPRIM_400000_NS6detail17trampoline_kernelINS0_14default_configENS1_25partition_config_selectorILNS1_17partition_subalgoE5ExNS0_10empty_typeEbEEZZNS1_14partition_implILS5_5ELb0ES3_mN6thrust23THRUST_200600_302600_NS6detail15normal_iteratorINSA_10device_ptrIxEEEEPS6_NSA_18transform_iteratorINSB_9not_fun_tI7is_trueIxEEESF_NSA_11use_defaultESM_EENS0_5tupleIJSF_S6_EEENSO_IJSG_SG_EEES6_PlJS6_EEE10hipError_tPvRmT3_T4_T5_T6_T7_T9_mT8_P12ihipStream_tbDpT10_ENKUlT_T0_E_clISt17integral_constantIbLb1EES1A_IbLb0EEEEDaS16_S17_EUlS16_E_NS1_11comp_targetILNS1_3genE0ELNS1_11target_archE4294967295ELNS1_3gpuE0ELNS1_3repE0EEENS1_30default_config_static_selectorELNS0_4arch9wavefront6targetE0EEEvT1_.private_seg_size, 0
	.set _ZN7rocprim17ROCPRIM_400000_NS6detail17trampoline_kernelINS0_14default_configENS1_25partition_config_selectorILNS1_17partition_subalgoE5ExNS0_10empty_typeEbEEZZNS1_14partition_implILS5_5ELb0ES3_mN6thrust23THRUST_200600_302600_NS6detail15normal_iteratorINSA_10device_ptrIxEEEEPS6_NSA_18transform_iteratorINSB_9not_fun_tI7is_trueIxEEESF_NSA_11use_defaultESM_EENS0_5tupleIJSF_S6_EEENSO_IJSG_SG_EEES6_PlJS6_EEE10hipError_tPvRmT3_T4_T5_T6_T7_T9_mT8_P12ihipStream_tbDpT10_ENKUlT_T0_E_clISt17integral_constantIbLb1EES1A_IbLb0EEEEDaS16_S17_EUlS16_E_NS1_11comp_targetILNS1_3genE0ELNS1_11target_archE4294967295ELNS1_3gpuE0ELNS1_3repE0EEENS1_30default_config_static_selectorELNS0_4arch9wavefront6targetE0EEEvT1_.uses_vcc, 0
	.set _ZN7rocprim17ROCPRIM_400000_NS6detail17trampoline_kernelINS0_14default_configENS1_25partition_config_selectorILNS1_17partition_subalgoE5ExNS0_10empty_typeEbEEZZNS1_14partition_implILS5_5ELb0ES3_mN6thrust23THRUST_200600_302600_NS6detail15normal_iteratorINSA_10device_ptrIxEEEEPS6_NSA_18transform_iteratorINSB_9not_fun_tI7is_trueIxEEESF_NSA_11use_defaultESM_EENS0_5tupleIJSF_S6_EEENSO_IJSG_SG_EEES6_PlJS6_EEE10hipError_tPvRmT3_T4_T5_T6_T7_T9_mT8_P12ihipStream_tbDpT10_ENKUlT_T0_E_clISt17integral_constantIbLb1EES1A_IbLb0EEEEDaS16_S17_EUlS16_E_NS1_11comp_targetILNS1_3genE0ELNS1_11target_archE4294967295ELNS1_3gpuE0ELNS1_3repE0EEENS1_30default_config_static_selectorELNS0_4arch9wavefront6targetE0EEEvT1_.uses_flat_scratch, 0
	.set _ZN7rocprim17ROCPRIM_400000_NS6detail17trampoline_kernelINS0_14default_configENS1_25partition_config_selectorILNS1_17partition_subalgoE5ExNS0_10empty_typeEbEEZZNS1_14partition_implILS5_5ELb0ES3_mN6thrust23THRUST_200600_302600_NS6detail15normal_iteratorINSA_10device_ptrIxEEEEPS6_NSA_18transform_iteratorINSB_9not_fun_tI7is_trueIxEEESF_NSA_11use_defaultESM_EENS0_5tupleIJSF_S6_EEENSO_IJSG_SG_EEES6_PlJS6_EEE10hipError_tPvRmT3_T4_T5_T6_T7_T9_mT8_P12ihipStream_tbDpT10_ENKUlT_T0_E_clISt17integral_constantIbLb1EES1A_IbLb0EEEEDaS16_S17_EUlS16_E_NS1_11comp_targetILNS1_3genE0ELNS1_11target_archE4294967295ELNS1_3gpuE0ELNS1_3repE0EEENS1_30default_config_static_selectorELNS0_4arch9wavefront6targetE0EEEvT1_.has_dyn_sized_stack, 0
	.set _ZN7rocprim17ROCPRIM_400000_NS6detail17trampoline_kernelINS0_14default_configENS1_25partition_config_selectorILNS1_17partition_subalgoE5ExNS0_10empty_typeEbEEZZNS1_14partition_implILS5_5ELb0ES3_mN6thrust23THRUST_200600_302600_NS6detail15normal_iteratorINSA_10device_ptrIxEEEEPS6_NSA_18transform_iteratorINSB_9not_fun_tI7is_trueIxEEESF_NSA_11use_defaultESM_EENS0_5tupleIJSF_S6_EEENSO_IJSG_SG_EEES6_PlJS6_EEE10hipError_tPvRmT3_T4_T5_T6_T7_T9_mT8_P12ihipStream_tbDpT10_ENKUlT_T0_E_clISt17integral_constantIbLb1EES1A_IbLb0EEEEDaS16_S17_EUlS16_E_NS1_11comp_targetILNS1_3genE0ELNS1_11target_archE4294967295ELNS1_3gpuE0ELNS1_3repE0EEENS1_30default_config_static_selectorELNS0_4arch9wavefront6targetE0EEEvT1_.has_recursion, 0
	.set _ZN7rocprim17ROCPRIM_400000_NS6detail17trampoline_kernelINS0_14default_configENS1_25partition_config_selectorILNS1_17partition_subalgoE5ExNS0_10empty_typeEbEEZZNS1_14partition_implILS5_5ELb0ES3_mN6thrust23THRUST_200600_302600_NS6detail15normal_iteratorINSA_10device_ptrIxEEEEPS6_NSA_18transform_iteratorINSB_9not_fun_tI7is_trueIxEEESF_NSA_11use_defaultESM_EENS0_5tupleIJSF_S6_EEENSO_IJSG_SG_EEES6_PlJS6_EEE10hipError_tPvRmT3_T4_T5_T6_T7_T9_mT8_P12ihipStream_tbDpT10_ENKUlT_T0_E_clISt17integral_constantIbLb1EES1A_IbLb0EEEEDaS16_S17_EUlS16_E_NS1_11comp_targetILNS1_3genE0ELNS1_11target_archE4294967295ELNS1_3gpuE0ELNS1_3repE0EEENS1_30default_config_static_selectorELNS0_4arch9wavefront6targetE0EEEvT1_.has_indirect_call, 0
	.section	.AMDGPU.csdata,"",@progbits
; Kernel info:
; codeLenInByte = 0
; TotalNumSgprs: 0
; NumVgprs: 0
; ScratchSize: 0
; MemoryBound: 0
; FloatMode: 240
; IeeeMode: 1
; LDSByteSize: 0 bytes/workgroup (compile time only)
; SGPRBlocks: 0
; VGPRBlocks: 0
; NumSGPRsForWavesPerEU: 1
; NumVGPRsForWavesPerEU: 1
; Occupancy: 16
; WaveLimiterHint : 0
; COMPUTE_PGM_RSRC2:SCRATCH_EN: 0
; COMPUTE_PGM_RSRC2:USER_SGPR: 2
; COMPUTE_PGM_RSRC2:TRAP_HANDLER: 0
; COMPUTE_PGM_RSRC2:TGID_X_EN: 1
; COMPUTE_PGM_RSRC2:TGID_Y_EN: 0
; COMPUTE_PGM_RSRC2:TGID_Z_EN: 0
; COMPUTE_PGM_RSRC2:TIDIG_COMP_CNT: 0
	.section	.text._ZN7rocprim17ROCPRIM_400000_NS6detail17trampoline_kernelINS0_14default_configENS1_25partition_config_selectorILNS1_17partition_subalgoE5ExNS0_10empty_typeEbEEZZNS1_14partition_implILS5_5ELb0ES3_mN6thrust23THRUST_200600_302600_NS6detail15normal_iteratorINSA_10device_ptrIxEEEEPS6_NSA_18transform_iteratorINSB_9not_fun_tI7is_trueIxEEESF_NSA_11use_defaultESM_EENS0_5tupleIJSF_S6_EEENSO_IJSG_SG_EEES6_PlJS6_EEE10hipError_tPvRmT3_T4_T5_T6_T7_T9_mT8_P12ihipStream_tbDpT10_ENKUlT_T0_E_clISt17integral_constantIbLb1EES1A_IbLb0EEEEDaS16_S17_EUlS16_E_NS1_11comp_targetILNS1_3genE5ELNS1_11target_archE942ELNS1_3gpuE9ELNS1_3repE0EEENS1_30default_config_static_selectorELNS0_4arch9wavefront6targetE0EEEvT1_,"axG",@progbits,_ZN7rocprim17ROCPRIM_400000_NS6detail17trampoline_kernelINS0_14default_configENS1_25partition_config_selectorILNS1_17partition_subalgoE5ExNS0_10empty_typeEbEEZZNS1_14partition_implILS5_5ELb0ES3_mN6thrust23THRUST_200600_302600_NS6detail15normal_iteratorINSA_10device_ptrIxEEEEPS6_NSA_18transform_iteratorINSB_9not_fun_tI7is_trueIxEEESF_NSA_11use_defaultESM_EENS0_5tupleIJSF_S6_EEENSO_IJSG_SG_EEES6_PlJS6_EEE10hipError_tPvRmT3_T4_T5_T6_T7_T9_mT8_P12ihipStream_tbDpT10_ENKUlT_T0_E_clISt17integral_constantIbLb1EES1A_IbLb0EEEEDaS16_S17_EUlS16_E_NS1_11comp_targetILNS1_3genE5ELNS1_11target_archE942ELNS1_3gpuE9ELNS1_3repE0EEENS1_30default_config_static_selectorELNS0_4arch9wavefront6targetE0EEEvT1_,comdat
	.protected	_ZN7rocprim17ROCPRIM_400000_NS6detail17trampoline_kernelINS0_14default_configENS1_25partition_config_selectorILNS1_17partition_subalgoE5ExNS0_10empty_typeEbEEZZNS1_14partition_implILS5_5ELb0ES3_mN6thrust23THRUST_200600_302600_NS6detail15normal_iteratorINSA_10device_ptrIxEEEEPS6_NSA_18transform_iteratorINSB_9not_fun_tI7is_trueIxEEESF_NSA_11use_defaultESM_EENS0_5tupleIJSF_S6_EEENSO_IJSG_SG_EEES6_PlJS6_EEE10hipError_tPvRmT3_T4_T5_T6_T7_T9_mT8_P12ihipStream_tbDpT10_ENKUlT_T0_E_clISt17integral_constantIbLb1EES1A_IbLb0EEEEDaS16_S17_EUlS16_E_NS1_11comp_targetILNS1_3genE5ELNS1_11target_archE942ELNS1_3gpuE9ELNS1_3repE0EEENS1_30default_config_static_selectorELNS0_4arch9wavefront6targetE0EEEvT1_ ; -- Begin function _ZN7rocprim17ROCPRIM_400000_NS6detail17trampoline_kernelINS0_14default_configENS1_25partition_config_selectorILNS1_17partition_subalgoE5ExNS0_10empty_typeEbEEZZNS1_14partition_implILS5_5ELb0ES3_mN6thrust23THRUST_200600_302600_NS6detail15normal_iteratorINSA_10device_ptrIxEEEEPS6_NSA_18transform_iteratorINSB_9not_fun_tI7is_trueIxEEESF_NSA_11use_defaultESM_EENS0_5tupleIJSF_S6_EEENSO_IJSG_SG_EEES6_PlJS6_EEE10hipError_tPvRmT3_T4_T5_T6_T7_T9_mT8_P12ihipStream_tbDpT10_ENKUlT_T0_E_clISt17integral_constantIbLb1EES1A_IbLb0EEEEDaS16_S17_EUlS16_E_NS1_11comp_targetILNS1_3genE5ELNS1_11target_archE942ELNS1_3gpuE9ELNS1_3repE0EEENS1_30default_config_static_selectorELNS0_4arch9wavefront6targetE0EEEvT1_
	.globl	_ZN7rocprim17ROCPRIM_400000_NS6detail17trampoline_kernelINS0_14default_configENS1_25partition_config_selectorILNS1_17partition_subalgoE5ExNS0_10empty_typeEbEEZZNS1_14partition_implILS5_5ELb0ES3_mN6thrust23THRUST_200600_302600_NS6detail15normal_iteratorINSA_10device_ptrIxEEEEPS6_NSA_18transform_iteratorINSB_9not_fun_tI7is_trueIxEEESF_NSA_11use_defaultESM_EENS0_5tupleIJSF_S6_EEENSO_IJSG_SG_EEES6_PlJS6_EEE10hipError_tPvRmT3_T4_T5_T6_T7_T9_mT8_P12ihipStream_tbDpT10_ENKUlT_T0_E_clISt17integral_constantIbLb1EES1A_IbLb0EEEEDaS16_S17_EUlS16_E_NS1_11comp_targetILNS1_3genE5ELNS1_11target_archE942ELNS1_3gpuE9ELNS1_3repE0EEENS1_30default_config_static_selectorELNS0_4arch9wavefront6targetE0EEEvT1_
	.p2align	8
	.type	_ZN7rocprim17ROCPRIM_400000_NS6detail17trampoline_kernelINS0_14default_configENS1_25partition_config_selectorILNS1_17partition_subalgoE5ExNS0_10empty_typeEbEEZZNS1_14partition_implILS5_5ELb0ES3_mN6thrust23THRUST_200600_302600_NS6detail15normal_iteratorINSA_10device_ptrIxEEEEPS6_NSA_18transform_iteratorINSB_9not_fun_tI7is_trueIxEEESF_NSA_11use_defaultESM_EENS0_5tupleIJSF_S6_EEENSO_IJSG_SG_EEES6_PlJS6_EEE10hipError_tPvRmT3_T4_T5_T6_T7_T9_mT8_P12ihipStream_tbDpT10_ENKUlT_T0_E_clISt17integral_constantIbLb1EES1A_IbLb0EEEEDaS16_S17_EUlS16_E_NS1_11comp_targetILNS1_3genE5ELNS1_11target_archE942ELNS1_3gpuE9ELNS1_3repE0EEENS1_30default_config_static_selectorELNS0_4arch9wavefront6targetE0EEEvT1_,@function
_ZN7rocprim17ROCPRIM_400000_NS6detail17trampoline_kernelINS0_14default_configENS1_25partition_config_selectorILNS1_17partition_subalgoE5ExNS0_10empty_typeEbEEZZNS1_14partition_implILS5_5ELb0ES3_mN6thrust23THRUST_200600_302600_NS6detail15normal_iteratorINSA_10device_ptrIxEEEEPS6_NSA_18transform_iteratorINSB_9not_fun_tI7is_trueIxEEESF_NSA_11use_defaultESM_EENS0_5tupleIJSF_S6_EEENSO_IJSG_SG_EEES6_PlJS6_EEE10hipError_tPvRmT3_T4_T5_T6_T7_T9_mT8_P12ihipStream_tbDpT10_ENKUlT_T0_E_clISt17integral_constantIbLb1EES1A_IbLb0EEEEDaS16_S17_EUlS16_E_NS1_11comp_targetILNS1_3genE5ELNS1_11target_archE942ELNS1_3gpuE9ELNS1_3repE0EEENS1_30default_config_static_selectorELNS0_4arch9wavefront6targetE0EEEvT1_: ; @_ZN7rocprim17ROCPRIM_400000_NS6detail17trampoline_kernelINS0_14default_configENS1_25partition_config_selectorILNS1_17partition_subalgoE5ExNS0_10empty_typeEbEEZZNS1_14partition_implILS5_5ELb0ES3_mN6thrust23THRUST_200600_302600_NS6detail15normal_iteratorINSA_10device_ptrIxEEEEPS6_NSA_18transform_iteratorINSB_9not_fun_tI7is_trueIxEEESF_NSA_11use_defaultESM_EENS0_5tupleIJSF_S6_EEENSO_IJSG_SG_EEES6_PlJS6_EEE10hipError_tPvRmT3_T4_T5_T6_T7_T9_mT8_P12ihipStream_tbDpT10_ENKUlT_T0_E_clISt17integral_constantIbLb1EES1A_IbLb0EEEEDaS16_S17_EUlS16_E_NS1_11comp_targetILNS1_3genE5ELNS1_11target_archE942ELNS1_3gpuE9ELNS1_3repE0EEENS1_30default_config_static_selectorELNS0_4arch9wavefront6targetE0EEEvT1_
; %bb.0:
	.section	.rodata,"a",@progbits
	.p2align	6, 0x0
	.amdhsa_kernel _ZN7rocprim17ROCPRIM_400000_NS6detail17trampoline_kernelINS0_14default_configENS1_25partition_config_selectorILNS1_17partition_subalgoE5ExNS0_10empty_typeEbEEZZNS1_14partition_implILS5_5ELb0ES3_mN6thrust23THRUST_200600_302600_NS6detail15normal_iteratorINSA_10device_ptrIxEEEEPS6_NSA_18transform_iteratorINSB_9not_fun_tI7is_trueIxEEESF_NSA_11use_defaultESM_EENS0_5tupleIJSF_S6_EEENSO_IJSG_SG_EEES6_PlJS6_EEE10hipError_tPvRmT3_T4_T5_T6_T7_T9_mT8_P12ihipStream_tbDpT10_ENKUlT_T0_E_clISt17integral_constantIbLb1EES1A_IbLb0EEEEDaS16_S17_EUlS16_E_NS1_11comp_targetILNS1_3genE5ELNS1_11target_archE942ELNS1_3gpuE9ELNS1_3repE0EEENS1_30default_config_static_selectorELNS0_4arch9wavefront6targetE0EEEvT1_
		.amdhsa_group_segment_fixed_size 0
		.amdhsa_private_segment_fixed_size 0
		.amdhsa_kernarg_size 120
		.amdhsa_user_sgpr_count 2
		.amdhsa_user_sgpr_dispatch_ptr 0
		.amdhsa_user_sgpr_queue_ptr 0
		.amdhsa_user_sgpr_kernarg_segment_ptr 1
		.amdhsa_user_sgpr_dispatch_id 0
		.amdhsa_user_sgpr_private_segment_size 0
		.amdhsa_wavefront_size32 1
		.amdhsa_uses_dynamic_stack 0
		.amdhsa_enable_private_segment 0
		.amdhsa_system_sgpr_workgroup_id_x 1
		.amdhsa_system_sgpr_workgroup_id_y 0
		.amdhsa_system_sgpr_workgroup_id_z 0
		.amdhsa_system_sgpr_workgroup_info 0
		.amdhsa_system_vgpr_workitem_id 0
		.amdhsa_next_free_vgpr 1
		.amdhsa_next_free_sgpr 1
		.amdhsa_reserve_vcc 0
		.amdhsa_float_round_mode_32 0
		.amdhsa_float_round_mode_16_64 0
		.amdhsa_float_denorm_mode_32 3
		.amdhsa_float_denorm_mode_16_64 3
		.amdhsa_fp16_overflow 0
		.amdhsa_workgroup_processor_mode 1
		.amdhsa_memory_ordered 1
		.amdhsa_forward_progress 1
		.amdhsa_inst_pref_size 0
		.amdhsa_round_robin_scheduling 0
		.amdhsa_exception_fp_ieee_invalid_op 0
		.amdhsa_exception_fp_denorm_src 0
		.amdhsa_exception_fp_ieee_div_zero 0
		.amdhsa_exception_fp_ieee_overflow 0
		.amdhsa_exception_fp_ieee_underflow 0
		.amdhsa_exception_fp_ieee_inexact 0
		.amdhsa_exception_int_div_zero 0
	.end_amdhsa_kernel
	.section	.text._ZN7rocprim17ROCPRIM_400000_NS6detail17trampoline_kernelINS0_14default_configENS1_25partition_config_selectorILNS1_17partition_subalgoE5ExNS0_10empty_typeEbEEZZNS1_14partition_implILS5_5ELb0ES3_mN6thrust23THRUST_200600_302600_NS6detail15normal_iteratorINSA_10device_ptrIxEEEEPS6_NSA_18transform_iteratorINSB_9not_fun_tI7is_trueIxEEESF_NSA_11use_defaultESM_EENS0_5tupleIJSF_S6_EEENSO_IJSG_SG_EEES6_PlJS6_EEE10hipError_tPvRmT3_T4_T5_T6_T7_T9_mT8_P12ihipStream_tbDpT10_ENKUlT_T0_E_clISt17integral_constantIbLb1EES1A_IbLb0EEEEDaS16_S17_EUlS16_E_NS1_11comp_targetILNS1_3genE5ELNS1_11target_archE942ELNS1_3gpuE9ELNS1_3repE0EEENS1_30default_config_static_selectorELNS0_4arch9wavefront6targetE0EEEvT1_,"axG",@progbits,_ZN7rocprim17ROCPRIM_400000_NS6detail17trampoline_kernelINS0_14default_configENS1_25partition_config_selectorILNS1_17partition_subalgoE5ExNS0_10empty_typeEbEEZZNS1_14partition_implILS5_5ELb0ES3_mN6thrust23THRUST_200600_302600_NS6detail15normal_iteratorINSA_10device_ptrIxEEEEPS6_NSA_18transform_iteratorINSB_9not_fun_tI7is_trueIxEEESF_NSA_11use_defaultESM_EENS0_5tupleIJSF_S6_EEENSO_IJSG_SG_EEES6_PlJS6_EEE10hipError_tPvRmT3_T4_T5_T6_T7_T9_mT8_P12ihipStream_tbDpT10_ENKUlT_T0_E_clISt17integral_constantIbLb1EES1A_IbLb0EEEEDaS16_S17_EUlS16_E_NS1_11comp_targetILNS1_3genE5ELNS1_11target_archE942ELNS1_3gpuE9ELNS1_3repE0EEENS1_30default_config_static_selectorELNS0_4arch9wavefront6targetE0EEEvT1_,comdat
.Lfunc_end1484:
	.size	_ZN7rocprim17ROCPRIM_400000_NS6detail17trampoline_kernelINS0_14default_configENS1_25partition_config_selectorILNS1_17partition_subalgoE5ExNS0_10empty_typeEbEEZZNS1_14partition_implILS5_5ELb0ES3_mN6thrust23THRUST_200600_302600_NS6detail15normal_iteratorINSA_10device_ptrIxEEEEPS6_NSA_18transform_iteratorINSB_9not_fun_tI7is_trueIxEEESF_NSA_11use_defaultESM_EENS0_5tupleIJSF_S6_EEENSO_IJSG_SG_EEES6_PlJS6_EEE10hipError_tPvRmT3_T4_T5_T6_T7_T9_mT8_P12ihipStream_tbDpT10_ENKUlT_T0_E_clISt17integral_constantIbLb1EES1A_IbLb0EEEEDaS16_S17_EUlS16_E_NS1_11comp_targetILNS1_3genE5ELNS1_11target_archE942ELNS1_3gpuE9ELNS1_3repE0EEENS1_30default_config_static_selectorELNS0_4arch9wavefront6targetE0EEEvT1_, .Lfunc_end1484-_ZN7rocprim17ROCPRIM_400000_NS6detail17trampoline_kernelINS0_14default_configENS1_25partition_config_selectorILNS1_17partition_subalgoE5ExNS0_10empty_typeEbEEZZNS1_14partition_implILS5_5ELb0ES3_mN6thrust23THRUST_200600_302600_NS6detail15normal_iteratorINSA_10device_ptrIxEEEEPS6_NSA_18transform_iteratorINSB_9not_fun_tI7is_trueIxEEESF_NSA_11use_defaultESM_EENS0_5tupleIJSF_S6_EEENSO_IJSG_SG_EEES6_PlJS6_EEE10hipError_tPvRmT3_T4_T5_T6_T7_T9_mT8_P12ihipStream_tbDpT10_ENKUlT_T0_E_clISt17integral_constantIbLb1EES1A_IbLb0EEEEDaS16_S17_EUlS16_E_NS1_11comp_targetILNS1_3genE5ELNS1_11target_archE942ELNS1_3gpuE9ELNS1_3repE0EEENS1_30default_config_static_selectorELNS0_4arch9wavefront6targetE0EEEvT1_
                                        ; -- End function
	.set _ZN7rocprim17ROCPRIM_400000_NS6detail17trampoline_kernelINS0_14default_configENS1_25partition_config_selectorILNS1_17partition_subalgoE5ExNS0_10empty_typeEbEEZZNS1_14partition_implILS5_5ELb0ES3_mN6thrust23THRUST_200600_302600_NS6detail15normal_iteratorINSA_10device_ptrIxEEEEPS6_NSA_18transform_iteratorINSB_9not_fun_tI7is_trueIxEEESF_NSA_11use_defaultESM_EENS0_5tupleIJSF_S6_EEENSO_IJSG_SG_EEES6_PlJS6_EEE10hipError_tPvRmT3_T4_T5_T6_T7_T9_mT8_P12ihipStream_tbDpT10_ENKUlT_T0_E_clISt17integral_constantIbLb1EES1A_IbLb0EEEEDaS16_S17_EUlS16_E_NS1_11comp_targetILNS1_3genE5ELNS1_11target_archE942ELNS1_3gpuE9ELNS1_3repE0EEENS1_30default_config_static_selectorELNS0_4arch9wavefront6targetE0EEEvT1_.num_vgpr, 0
	.set _ZN7rocprim17ROCPRIM_400000_NS6detail17trampoline_kernelINS0_14default_configENS1_25partition_config_selectorILNS1_17partition_subalgoE5ExNS0_10empty_typeEbEEZZNS1_14partition_implILS5_5ELb0ES3_mN6thrust23THRUST_200600_302600_NS6detail15normal_iteratorINSA_10device_ptrIxEEEEPS6_NSA_18transform_iteratorINSB_9not_fun_tI7is_trueIxEEESF_NSA_11use_defaultESM_EENS0_5tupleIJSF_S6_EEENSO_IJSG_SG_EEES6_PlJS6_EEE10hipError_tPvRmT3_T4_T5_T6_T7_T9_mT8_P12ihipStream_tbDpT10_ENKUlT_T0_E_clISt17integral_constantIbLb1EES1A_IbLb0EEEEDaS16_S17_EUlS16_E_NS1_11comp_targetILNS1_3genE5ELNS1_11target_archE942ELNS1_3gpuE9ELNS1_3repE0EEENS1_30default_config_static_selectorELNS0_4arch9wavefront6targetE0EEEvT1_.num_agpr, 0
	.set _ZN7rocprim17ROCPRIM_400000_NS6detail17trampoline_kernelINS0_14default_configENS1_25partition_config_selectorILNS1_17partition_subalgoE5ExNS0_10empty_typeEbEEZZNS1_14partition_implILS5_5ELb0ES3_mN6thrust23THRUST_200600_302600_NS6detail15normal_iteratorINSA_10device_ptrIxEEEEPS6_NSA_18transform_iteratorINSB_9not_fun_tI7is_trueIxEEESF_NSA_11use_defaultESM_EENS0_5tupleIJSF_S6_EEENSO_IJSG_SG_EEES6_PlJS6_EEE10hipError_tPvRmT3_T4_T5_T6_T7_T9_mT8_P12ihipStream_tbDpT10_ENKUlT_T0_E_clISt17integral_constantIbLb1EES1A_IbLb0EEEEDaS16_S17_EUlS16_E_NS1_11comp_targetILNS1_3genE5ELNS1_11target_archE942ELNS1_3gpuE9ELNS1_3repE0EEENS1_30default_config_static_selectorELNS0_4arch9wavefront6targetE0EEEvT1_.numbered_sgpr, 0
	.set _ZN7rocprim17ROCPRIM_400000_NS6detail17trampoline_kernelINS0_14default_configENS1_25partition_config_selectorILNS1_17partition_subalgoE5ExNS0_10empty_typeEbEEZZNS1_14partition_implILS5_5ELb0ES3_mN6thrust23THRUST_200600_302600_NS6detail15normal_iteratorINSA_10device_ptrIxEEEEPS6_NSA_18transform_iteratorINSB_9not_fun_tI7is_trueIxEEESF_NSA_11use_defaultESM_EENS0_5tupleIJSF_S6_EEENSO_IJSG_SG_EEES6_PlJS6_EEE10hipError_tPvRmT3_T4_T5_T6_T7_T9_mT8_P12ihipStream_tbDpT10_ENKUlT_T0_E_clISt17integral_constantIbLb1EES1A_IbLb0EEEEDaS16_S17_EUlS16_E_NS1_11comp_targetILNS1_3genE5ELNS1_11target_archE942ELNS1_3gpuE9ELNS1_3repE0EEENS1_30default_config_static_selectorELNS0_4arch9wavefront6targetE0EEEvT1_.num_named_barrier, 0
	.set _ZN7rocprim17ROCPRIM_400000_NS6detail17trampoline_kernelINS0_14default_configENS1_25partition_config_selectorILNS1_17partition_subalgoE5ExNS0_10empty_typeEbEEZZNS1_14partition_implILS5_5ELb0ES3_mN6thrust23THRUST_200600_302600_NS6detail15normal_iteratorINSA_10device_ptrIxEEEEPS6_NSA_18transform_iteratorINSB_9not_fun_tI7is_trueIxEEESF_NSA_11use_defaultESM_EENS0_5tupleIJSF_S6_EEENSO_IJSG_SG_EEES6_PlJS6_EEE10hipError_tPvRmT3_T4_T5_T6_T7_T9_mT8_P12ihipStream_tbDpT10_ENKUlT_T0_E_clISt17integral_constantIbLb1EES1A_IbLb0EEEEDaS16_S17_EUlS16_E_NS1_11comp_targetILNS1_3genE5ELNS1_11target_archE942ELNS1_3gpuE9ELNS1_3repE0EEENS1_30default_config_static_selectorELNS0_4arch9wavefront6targetE0EEEvT1_.private_seg_size, 0
	.set _ZN7rocprim17ROCPRIM_400000_NS6detail17trampoline_kernelINS0_14default_configENS1_25partition_config_selectorILNS1_17partition_subalgoE5ExNS0_10empty_typeEbEEZZNS1_14partition_implILS5_5ELb0ES3_mN6thrust23THRUST_200600_302600_NS6detail15normal_iteratorINSA_10device_ptrIxEEEEPS6_NSA_18transform_iteratorINSB_9not_fun_tI7is_trueIxEEESF_NSA_11use_defaultESM_EENS0_5tupleIJSF_S6_EEENSO_IJSG_SG_EEES6_PlJS6_EEE10hipError_tPvRmT3_T4_T5_T6_T7_T9_mT8_P12ihipStream_tbDpT10_ENKUlT_T0_E_clISt17integral_constantIbLb1EES1A_IbLb0EEEEDaS16_S17_EUlS16_E_NS1_11comp_targetILNS1_3genE5ELNS1_11target_archE942ELNS1_3gpuE9ELNS1_3repE0EEENS1_30default_config_static_selectorELNS0_4arch9wavefront6targetE0EEEvT1_.uses_vcc, 0
	.set _ZN7rocprim17ROCPRIM_400000_NS6detail17trampoline_kernelINS0_14default_configENS1_25partition_config_selectorILNS1_17partition_subalgoE5ExNS0_10empty_typeEbEEZZNS1_14partition_implILS5_5ELb0ES3_mN6thrust23THRUST_200600_302600_NS6detail15normal_iteratorINSA_10device_ptrIxEEEEPS6_NSA_18transform_iteratorINSB_9not_fun_tI7is_trueIxEEESF_NSA_11use_defaultESM_EENS0_5tupleIJSF_S6_EEENSO_IJSG_SG_EEES6_PlJS6_EEE10hipError_tPvRmT3_T4_T5_T6_T7_T9_mT8_P12ihipStream_tbDpT10_ENKUlT_T0_E_clISt17integral_constantIbLb1EES1A_IbLb0EEEEDaS16_S17_EUlS16_E_NS1_11comp_targetILNS1_3genE5ELNS1_11target_archE942ELNS1_3gpuE9ELNS1_3repE0EEENS1_30default_config_static_selectorELNS0_4arch9wavefront6targetE0EEEvT1_.uses_flat_scratch, 0
	.set _ZN7rocprim17ROCPRIM_400000_NS6detail17trampoline_kernelINS0_14default_configENS1_25partition_config_selectorILNS1_17partition_subalgoE5ExNS0_10empty_typeEbEEZZNS1_14partition_implILS5_5ELb0ES3_mN6thrust23THRUST_200600_302600_NS6detail15normal_iteratorINSA_10device_ptrIxEEEEPS6_NSA_18transform_iteratorINSB_9not_fun_tI7is_trueIxEEESF_NSA_11use_defaultESM_EENS0_5tupleIJSF_S6_EEENSO_IJSG_SG_EEES6_PlJS6_EEE10hipError_tPvRmT3_T4_T5_T6_T7_T9_mT8_P12ihipStream_tbDpT10_ENKUlT_T0_E_clISt17integral_constantIbLb1EES1A_IbLb0EEEEDaS16_S17_EUlS16_E_NS1_11comp_targetILNS1_3genE5ELNS1_11target_archE942ELNS1_3gpuE9ELNS1_3repE0EEENS1_30default_config_static_selectorELNS0_4arch9wavefront6targetE0EEEvT1_.has_dyn_sized_stack, 0
	.set _ZN7rocprim17ROCPRIM_400000_NS6detail17trampoline_kernelINS0_14default_configENS1_25partition_config_selectorILNS1_17partition_subalgoE5ExNS0_10empty_typeEbEEZZNS1_14partition_implILS5_5ELb0ES3_mN6thrust23THRUST_200600_302600_NS6detail15normal_iteratorINSA_10device_ptrIxEEEEPS6_NSA_18transform_iteratorINSB_9not_fun_tI7is_trueIxEEESF_NSA_11use_defaultESM_EENS0_5tupleIJSF_S6_EEENSO_IJSG_SG_EEES6_PlJS6_EEE10hipError_tPvRmT3_T4_T5_T6_T7_T9_mT8_P12ihipStream_tbDpT10_ENKUlT_T0_E_clISt17integral_constantIbLb1EES1A_IbLb0EEEEDaS16_S17_EUlS16_E_NS1_11comp_targetILNS1_3genE5ELNS1_11target_archE942ELNS1_3gpuE9ELNS1_3repE0EEENS1_30default_config_static_selectorELNS0_4arch9wavefront6targetE0EEEvT1_.has_recursion, 0
	.set _ZN7rocprim17ROCPRIM_400000_NS6detail17trampoline_kernelINS0_14default_configENS1_25partition_config_selectorILNS1_17partition_subalgoE5ExNS0_10empty_typeEbEEZZNS1_14partition_implILS5_5ELb0ES3_mN6thrust23THRUST_200600_302600_NS6detail15normal_iteratorINSA_10device_ptrIxEEEEPS6_NSA_18transform_iteratorINSB_9not_fun_tI7is_trueIxEEESF_NSA_11use_defaultESM_EENS0_5tupleIJSF_S6_EEENSO_IJSG_SG_EEES6_PlJS6_EEE10hipError_tPvRmT3_T4_T5_T6_T7_T9_mT8_P12ihipStream_tbDpT10_ENKUlT_T0_E_clISt17integral_constantIbLb1EES1A_IbLb0EEEEDaS16_S17_EUlS16_E_NS1_11comp_targetILNS1_3genE5ELNS1_11target_archE942ELNS1_3gpuE9ELNS1_3repE0EEENS1_30default_config_static_selectorELNS0_4arch9wavefront6targetE0EEEvT1_.has_indirect_call, 0
	.section	.AMDGPU.csdata,"",@progbits
; Kernel info:
; codeLenInByte = 0
; TotalNumSgprs: 0
; NumVgprs: 0
; ScratchSize: 0
; MemoryBound: 0
; FloatMode: 240
; IeeeMode: 1
; LDSByteSize: 0 bytes/workgroup (compile time only)
; SGPRBlocks: 0
; VGPRBlocks: 0
; NumSGPRsForWavesPerEU: 1
; NumVGPRsForWavesPerEU: 1
; Occupancy: 16
; WaveLimiterHint : 0
; COMPUTE_PGM_RSRC2:SCRATCH_EN: 0
; COMPUTE_PGM_RSRC2:USER_SGPR: 2
; COMPUTE_PGM_RSRC2:TRAP_HANDLER: 0
; COMPUTE_PGM_RSRC2:TGID_X_EN: 1
; COMPUTE_PGM_RSRC2:TGID_Y_EN: 0
; COMPUTE_PGM_RSRC2:TGID_Z_EN: 0
; COMPUTE_PGM_RSRC2:TIDIG_COMP_CNT: 0
	.section	.text._ZN7rocprim17ROCPRIM_400000_NS6detail17trampoline_kernelINS0_14default_configENS1_25partition_config_selectorILNS1_17partition_subalgoE5ExNS0_10empty_typeEbEEZZNS1_14partition_implILS5_5ELb0ES3_mN6thrust23THRUST_200600_302600_NS6detail15normal_iteratorINSA_10device_ptrIxEEEEPS6_NSA_18transform_iteratorINSB_9not_fun_tI7is_trueIxEEESF_NSA_11use_defaultESM_EENS0_5tupleIJSF_S6_EEENSO_IJSG_SG_EEES6_PlJS6_EEE10hipError_tPvRmT3_T4_T5_T6_T7_T9_mT8_P12ihipStream_tbDpT10_ENKUlT_T0_E_clISt17integral_constantIbLb1EES1A_IbLb0EEEEDaS16_S17_EUlS16_E_NS1_11comp_targetILNS1_3genE4ELNS1_11target_archE910ELNS1_3gpuE8ELNS1_3repE0EEENS1_30default_config_static_selectorELNS0_4arch9wavefront6targetE0EEEvT1_,"axG",@progbits,_ZN7rocprim17ROCPRIM_400000_NS6detail17trampoline_kernelINS0_14default_configENS1_25partition_config_selectorILNS1_17partition_subalgoE5ExNS0_10empty_typeEbEEZZNS1_14partition_implILS5_5ELb0ES3_mN6thrust23THRUST_200600_302600_NS6detail15normal_iteratorINSA_10device_ptrIxEEEEPS6_NSA_18transform_iteratorINSB_9not_fun_tI7is_trueIxEEESF_NSA_11use_defaultESM_EENS0_5tupleIJSF_S6_EEENSO_IJSG_SG_EEES6_PlJS6_EEE10hipError_tPvRmT3_T4_T5_T6_T7_T9_mT8_P12ihipStream_tbDpT10_ENKUlT_T0_E_clISt17integral_constantIbLb1EES1A_IbLb0EEEEDaS16_S17_EUlS16_E_NS1_11comp_targetILNS1_3genE4ELNS1_11target_archE910ELNS1_3gpuE8ELNS1_3repE0EEENS1_30default_config_static_selectorELNS0_4arch9wavefront6targetE0EEEvT1_,comdat
	.protected	_ZN7rocprim17ROCPRIM_400000_NS6detail17trampoline_kernelINS0_14default_configENS1_25partition_config_selectorILNS1_17partition_subalgoE5ExNS0_10empty_typeEbEEZZNS1_14partition_implILS5_5ELb0ES3_mN6thrust23THRUST_200600_302600_NS6detail15normal_iteratorINSA_10device_ptrIxEEEEPS6_NSA_18transform_iteratorINSB_9not_fun_tI7is_trueIxEEESF_NSA_11use_defaultESM_EENS0_5tupleIJSF_S6_EEENSO_IJSG_SG_EEES6_PlJS6_EEE10hipError_tPvRmT3_T4_T5_T6_T7_T9_mT8_P12ihipStream_tbDpT10_ENKUlT_T0_E_clISt17integral_constantIbLb1EES1A_IbLb0EEEEDaS16_S17_EUlS16_E_NS1_11comp_targetILNS1_3genE4ELNS1_11target_archE910ELNS1_3gpuE8ELNS1_3repE0EEENS1_30default_config_static_selectorELNS0_4arch9wavefront6targetE0EEEvT1_ ; -- Begin function _ZN7rocprim17ROCPRIM_400000_NS6detail17trampoline_kernelINS0_14default_configENS1_25partition_config_selectorILNS1_17partition_subalgoE5ExNS0_10empty_typeEbEEZZNS1_14partition_implILS5_5ELb0ES3_mN6thrust23THRUST_200600_302600_NS6detail15normal_iteratorINSA_10device_ptrIxEEEEPS6_NSA_18transform_iteratorINSB_9not_fun_tI7is_trueIxEEESF_NSA_11use_defaultESM_EENS0_5tupleIJSF_S6_EEENSO_IJSG_SG_EEES6_PlJS6_EEE10hipError_tPvRmT3_T4_T5_T6_T7_T9_mT8_P12ihipStream_tbDpT10_ENKUlT_T0_E_clISt17integral_constantIbLb1EES1A_IbLb0EEEEDaS16_S17_EUlS16_E_NS1_11comp_targetILNS1_3genE4ELNS1_11target_archE910ELNS1_3gpuE8ELNS1_3repE0EEENS1_30default_config_static_selectorELNS0_4arch9wavefront6targetE0EEEvT1_
	.globl	_ZN7rocprim17ROCPRIM_400000_NS6detail17trampoline_kernelINS0_14default_configENS1_25partition_config_selectorILNS1_17partition_subalgoE5ExNS0_10empty_typeEbEEZZNS1_14partition_implILS5_5ELb0ES3_mN6thrust23THRUST_200600_302600_NS6detail15normal_iteratorINSA_10device_ptrIxEEEEPS6_NSA_18transform_iteratorINSB_9not_fun_tI7is_trueIxEEESF_NSA_11use_defaultESM_EENS0_5tupleIJSF_S6_EEENSO_IJSG_SG_EEES6_PlJS6_EEE10hipError_tPvRmT3_T4_T5_T6_T7_T9_mT8_P12ihipStream_tbDpT10_ENKUlT_T0_E_clISt17integral_constantIbLb1EES1A_IbLb0EEEEDaS16_S17_EUlS16_E_NS1_11comp_targetILNS1_3genE4ELNS1_11target_archE910ELNS1_3gpuE8ELNS1_3repE0EEENS1_30default_config_static_selectorELNS0_4arch9wavefront6targetE0EEEvT1_
	.p2align	8
	.type	_ZN7rocprim17ROCPRIM_400000_NS6detail17trampoline_kernelINS0_14default_configENS1_25partition_config_selectorILNS1_17partition_subalgoE5ExNS0_10empty_typeEbEEZZNS1_14partition_implILS5_5ELb0ES3_mN6thrust23THRUST_200600_302600_NS6detail15normal_iteratorINSA_10device_ptrIxEEEEPS6_NSA_18transform_iteratorINSB_9not_fun_tI7is_trueIxEEESF_NSA_11use_defaultESM_EENS0_5tupleIJSF_S6_EEENSO_IJSG_SG_EEES6_PlJS6_EEE10hipError_tPvRmT3_T4_T5_T6_T7_T9_mT8_P12ihipStream_tbDpT10_ENKUlT_T0_E_clISt17integral_constantIbLb1EES1A_IbLb0EEEEDaS16_S17_EUlS16_E_NS1_11comp_targetILNS1_3genE4ELNS1_11target_archE910ELNS1_3gpuE8ELNS1_3repE0EEENS1_30default_config_static_selectorELNS0_4arch9wavefront6targetE0EEEvT1_,@function
_ZN7rocprim17ROCPRIM_400000_NS6detail17trampoline_kernelINS0_14default_configENS1_25partition_config_selectorILNS1_17partition_subalgoE5ExNS0_10empty_typeEbEEZZNS1_14partition_implILS5_5ELb0ES3_mN6thrust23THRUST_200600_302600_NS6detail15normal_iteratorINSA_10device_ptrIxEEEEPS6_NSA_18transform_iteratorINSB_9not_fun_tI7is_trueIxEEESF_NSA_11use_defaultESM_EENS0_5tupleIJSF_S6_EEENSO_IJSG_SG_EEES6_PlJS6_EEE10hipError_tPvRmT3_T4_T5_T6_T7_T9_mT8_P12ihipStream_tbDpT10_ENKUlT_T0_E_clISt17integral_constantIbLb1EES1A_IbLb0EEEEDaS16_S17_EUlS16_E_NS1_11comp_targetILNS1_3genE4ELNS1_11target_archE910ELNS1_3gpuE8ELNS1_3repE0EEENS1_30default_config_static_selectorELNS0_4arch9wavefront6targetE0EEEvT1_: ; @_ZN7rocprim17ROCPRIM_400000_NS6detail17trampoline_kernelINS0_14default_configENS1_25partition_config_selectorILNS1_17partition_subalgoE5ExNS0_10empty_typeEbEEZZNS1_14partition_implILS5_5ELb0ES3_mN6thrust23THRUST_200600_302600_NS6detail15normal_iteratorINSA_10device_ptrIxEEEEPS6_NSA_18transform_iteratorINSB_9not_fun_tI7is_trueIxEEESF_NSA_11use_defaultESM_EENS0_5tupleIJSF_S6_EEENSO_IJSG_SG_EEES6_PlJS6_EEE10hipError_tPvRmT3_T4_T5_T6_T7_T9_mT8_P12ihipStream_tbDpT10_ENKUlT_T0_E_clISt17integral_constantIbLb1EES1A_IbLb0EEEEDaS16_S17_EUlS16_E_NS1_11comp_targetILNS1_3genE4ELNS1_11target_archE910ELNS1_3gpuE8ELNS1_3repE0EEENS1_30default_config_static_selectorELNS0_4arch9wavefront6targetE0EEEvT1_
; %bb.0:
	.section	.rodata,"a",@progbits
	.p2align	6, 0x0
	.amdhsa_kernel _ZN7rocprim17ROCPRIM_400000_NS6detail17trampoline_kernelINS0_14default_configENS1_25partition_config_selectorILNS1_17partition_subalgoE5ExNS0_10empty_typeEbEEZZNS1_14partition_implILS5_5ELb0ES3_mN6thrust23THRUST_200600_302600_NS6detail15normal_iteratorINSA_10device_ptrIxEEEEPS6_NSA_18transform_iteratorINSB_9not_fun_tI7is_trueIxEEESF_NSA_11use_defaultESM_EENS0_5tupleIJSF_S6_EEENSO_IJSG_SG_EEES6_PlJS6_EEE10hipError_tPvRmT3_T4_T5_T6_T7_T9_mT8_P12ihipStream_tbDpT10_ENKUlT_T0_E_clISt17integral_constantIbLb1EES1A_IbLb0EEEEDaS16_S17_EUlS16_E_NS1_11comp_targetILNS1_3genE4ELNS1_11target_archE910ELNS1_3gpuE8ELNS1_3repE0EEENS1_30default_config_static_selectorELNS0_4arch9wavefront6targetE0EEEvT1_
		.amdhsa_group_segment_fixed_size 0
		.amdhsa_private_segment_fixed_size 0
		.amdhsa_kernarg_size 120
		.amdhsa_user_sgpr_count 2
		.amdhsa_user_sgpr_dispatch_ptr 0
		.amdhsa_user_sgpr_queue_ptr 0
		.amdhsa_user_sgpr_kernarg_segment_ptr 1
		.amdhsa_user_sgpr_dispatch_id 0
		.amdhsa_user_sgpr_private_segment_size 0
		.amdhsa_wavefront_size32 1
		.amdhsa_uses_dynamic_stack 0
		.amdhsa_enable_private_segment 0
		.amdhsa_system_sgpr_workgroup_id_x 1
		.amdhsa_system_sgpr_workgroup_id_y 0
		.amdhsa_system_sgpr_workgroup_id_z 0
		.amdhsa_system_sgpr_workgroup_info 0
		.amdhsa_system_vgpr_workitem_id 0
		.amdhsa_next_free_vgpr 1
		.amdhsa_next_free_sgpr 1
		.amdhsa_reserve_vcc 0
		.amdhsa_float_round_mode_32 0
		.amdhsa_float_round_mode_16_64 0
		.amdhsa_float_denorm_mode_32 3
		.amdhsa_float_denorm_mode_16_64 3
		.amdhsa_fp16_overflow 0
		.amdhsa_workgroup_processor_mode 1
		.amdhsa_memory_ordered 1
		.amdhsa_forward_progress 1
		.amdhsa_inst_pref_size 0
		.amdhsa_round_robin_scheduling 0
		.amdhsa_exception_fp_ieee_invalid_op 0
		.amdhsa_exception_fp_denorm_src 0
		.amdhsa_exception_fp_ieee_div_zero 0
		.amdhsa_exception_fp_ieee_overflow 0
		.amdhsa_exception_fp_ieee_underflow 0
		.amdhsa_exception_fp_ieee_inexact 0
		.amdhsa_exception_int_div_zero 0
	.end_amdhsa_kernel
	.section	.text._ZN7rocprim17ROCPRIM_400000_NS6detail17trampoline_kernelINS0_14default_configENS1_25partition_config_selectorILNS1_17partition_subalgoE5ExNS0_10empty_typeEbEEZZNS1_14partition_implILS5_5ELb0ES3_mN6thrust23THRUST_200600_302600_NS6detail15normal_iteratorINSA_10device_ptrIxEEEEPS6_NSA_18transform_iteratorINSB_9not_fun_tI7is_trueIxEEESF_NSA_11use_defaultESM_EENS0_5tupleIJSF_S6_EEENSO_IJSG_SG_EEES6_PlJS6_EEE10hipError_tPvRmT3_T4_T5_T6_T7_T9_mT8_P12ihipStream_tbDpT10_ENKUlT_T0_E_clISt17integral_constantIbLb1EES1A_IbLb0EEEEDaS16_S17_EUlS16_E_NS1_11comp_targetILNS1_3genE4ELNS1_11target_archE910ELNS1_3gpuE8ELNS1_3repE0EEENS1_30default_config_static_selectorELNS0_4arch9wavefront6targetE0EEEvT1_,"axG",@progbits,_ZN7rocprim17ROCPRIM_400000_NS6detail17trampoline_kernelINS0_14default_configENS1_25partition_config_selectorILNS1_17partition_subalgoE5ExNS0_10empty_typeEbEEZZNS1_14partition_implILS5_5ELb0ES3_mN6thrust23THRUST_200600_302600_NS6detail15normal_iteratorINSA_10device_ptrIxEEEEPS6_NSA_18transform_iteratorINSB_9not_fun_tI7is_trueIxEEESF_NSA_11use_defaultESM_EENS0_5tupleIJSF_S6_EEENSO_IJSG_SG_EEES6_PlJS6_EEE10hipError_tPvRmT3_T4_T5_T6_T7_T9_mT8_P12ihipStream_tbDpT10_ENKUlT_T0_E_clISt17integral_constantIbLb1EES1A_IbLb0EEEEDaS16_S17_EUlS16_E_NS1_11comp_targetILNS1_3genE4ELNS1_11target_archE910ELNS1_3gpuE8ELNS1_3repE0EEENS1_30default_config_static_selectorELNS0_4arch9wavefront6targetE0EEEvT1_,comdat
.Lfunc_end1485:
	.size	_ZN7rocprim17ROCPRIM_400000_NS6detail17trampoline_kernelINS0_14default_configENS1_25partition_config_selectorILNS1_17partition_subalgoE5ExNS0_10empty_typeEbEEZZNS1_14partition_implILS5_5ELb0ES3_mN6thrust23THRUST_200600_302600_NS6detail15normal_iteratorINSA_10device_ptrIxEEEEPS6_NSA_18transform_iteratorINSB_9not_fun_tI7is_trueIxEEESF_NSA_11use_defaultESM_EENS0_5tupleIJSF_S6_EEENSO_IJSG_SG_EEES6_PlJS6_EEE10hipError_tPvRmT3_T4_T5_T6_T7_T9_mT8_P12ihipStream_tbDpT10_ENKUlT_T0_E_clISt17integral_constantIbLb1EES1A_IbLb0EEEEDaS16_S17_EUlS16_E_NS1_11comp_targetILNS1_3genE4ELNS1_11target_archE910ELNS1_3gpuE8ELNS1_3repE0EEENS1_30default_config_static_selectorELNS0_4arch9wavefront6targetE0EEEvT1_, .Lfunc_end1485-_ZN7rocprim17ROCPRIM_400000_NS6detail17trampoline_kernelINS0_14default_configENS1_25partition_config_selectorILNS1_17partition_subalgoE5ExNS0_10empty_typeEbEEZZNS1_14partition_implILS5_5ELb0ES3_mN6thrust23THRUST_200600_302600_NS6detail15normal_iteratorINSA_10device_ptrIxEEEEPS6_NSA_18transform_iteratorINSB_9not_fun_tI7is_trueIxEEESF_NSA_11use_defaultESM_EENS0_5tupleIJSF_S6_EEENSO_IJSG_SG_EEES6_PlJS6_EEE10hipError_tPvRmT3_T4_T5_T6_T7_T9_mT8_P12ihipStream_tbDpT10_ENKUlT_T0_E_clISt17integral_constantIbLb1EES1A_IbLb0EEEEDaS16_S17_EUlS16_E_NS1_11comp_targetILNS1_3genE4ELNS1_11target_archE910ELNS1_3gpuE8ELNS1_3repE0EEENS1_30default_config_static_selectorELNS0_4arch9wavefront6targetE0EEEvT1_
                                        ; -- End function
	.set _ZN7rocprim17ROCPRIM_400000_NS6detail17trampoline_kernelINS0_14default_configENS1_25partition_config_selectorILNS1_17partition_subalgoE5ExNS0_10empty_typeEbEEZZNS1_14partition_implILS5_5ELb0ES3_mN6thrust23THRUST_200600_302600_NS6detail15normal_iteratorINSA_10device_ptrIxEEEEPS6_NSA_18transform_iteratorINSB_9not_fun_tI7is_trueIxEEESF_NSA_11use_defaultESM_EENS0_5tupleIJSF_S6_EEENSO_IJSG_SG_EEES6_PlJS6_EEE10hipError_tPvRmT3_T4_T5_T6_T7_T9_mT8_P12ihipStream_tbDpT10_ENKUlT_T0_E_clISt17integral_constantIbLb1EES1A_IbLb0EEEEDaS16_S17_EUlS16_E_NS1_11comp_targetILNS1_3genE4ELNS1_11target_archE910ELNS1_3gpuE8ELNS1_3repE0EEENS1_30default_config_static_selectorELNS0_4arch9wavefront6targetE0EEEvT1_.num_vgpr, 0
	.set _ZN7rocprim17ROCPRIM_400000_NS6detail17trampoline_kernelINS0_14default_configENS1_25partition_config_selectorILNS1_17partition_subalgoE5ExNS0_10empty_typeEbEEZZNS1_14partition_implILS5_5ELb0ES3_mN6thrust23THRUST_200600_302600_NS6detail15normal_iteratorINSA_10device_ptrIxEEEEPS6_NSA_18transform_iteratorINSB_9not_fun_tI7is_trueIxEEESF_NSA_11use_defaultESM_EENS0_5tupleIJSF_S6_EEENSO_IJSG_SG_EEES6_PlJS6_EEE10hipError_tPvRmT3_T4_T5_T6_T7_T9_mT8_P12ihipStream_tbDpT10_ENKUlT_T0_E_clISt17integral_constantIbLb1EES1A_IbLb0EEEEDaS16_S17_EUlS16_E_NS1_11comp_targetILNS1_3genE4ELNS1_11target_archE910ELNS1_3gpuE8ELNS1_3repE0EEENS1_30default_config_static_selectorELNS0_4arch9wavefront6targetE0EEEvT1_.num_agpr, 0
	.set _ZN7rocprim17ROCPRIM_400000_NS6detail17trampoline_kernelINS0_14default_configENS1_25partition_config_selectorILNS1_17partition_subalgoE5ExNS0_10empty_typeEbEEZZNS1_14partition_implILS5_5ELb0ES3_mN6thrust23THRUST_200600_302600_NS6detail15normal_iteratorINSA_10device_ptrIxEEEEPS6_NSA_18transform_iteratorINSB_9not_fun_tI7is_trueIxEEESF_NSA_11use_defaultESM_EENS0_5tupleIJSF_S6_EEENSO_IJSG_SG_EEES6_PlJS6_EEE10hipError_tPvRmT3_T4_T5_T6_T7_T9_mT8_P12ihipStream_tbDpT10_ENKUlT_T0_E_clISt17integral_constantIbLb1EES1A_IbLb0EEEEDaS16_S17_EUlS16_E_NS1_11comp_targetILNS1_3genE4ELNS1_11target_archE910ELNS1_3gpuE8ELNS1_3repE0EEENS1_30default_config_static_selectorELNS0_4arch9wavefront6targetE0EEEvT1_.numbered_sgpr, 0
	.set _ZN7rocprim17ROCPRIM_400000_NS6detail17trampoline_kernelINS0_14default_configENS1_25partition_config_selectorILNS1_17partition_subalgoE5ExNS0_10empty_typeEbEEZZNS1_14partition_implILS5_5ELb0ES3_mN6thrust23THRUST_200600_302600_NS6detail15normal_iteratorINSA_10device_ptrIxEEEEPS6_NSA_18transform_iteratorINSB_9not_fun_tI7is_trueIxEEESF_NSA_11use_defaultESM_EENS0_5tupleIJSF_S6_EEENSO_IJSG_SG_EEES6_PlJS6_EEE10hipError_tPvRmT3_T4_T5_T6_T7_T9_mT8_P12ihipStream_tbDpT10_ENKUlT_T0_E_clISt17integral_constantIbLb1EES1A_IbLb0EEEEDaS16_S17_EUlS16_E_NS1_11comp_targetILNS1_3genE4ELNS1_11target_archE910ELNS1_3gpuE8ELNS1_3repE0EEENS1_30default_config_static_selectorELNS0_4arch9wavefront6targetE0EEEvT1_.num_named_barrier, 0
	.set _ZN7rocprim17ROCPRIM_400000_NS6detail17trampoline_kernelINS0_14default_configENS1_25partition_config_selectorILNS1_17partition_subalgoE5ExNS0_10empty_typeEbEEZZNS1_14partition_implILS5_5ELb0ES3_mN6thrust23THRUST_200600_302600_NS6detail15normal_iteratorINSA_10device_ptrIxEEEEPS6_NSA_18transform_iteratorINSB_9not_fun_tI7is_trueIxEEESF_NSA_11use_defaultESM_EENS0_5tupleIJSF_S6_EEENSO_IJSG_SG_EEES6_PlJS6_EEE10hipError_tPvRmT3_T4_T5_T6_T7_T9_mT8_P12ihipStream_tbDpT10_ENKUlT_T0_E_clISt17integral_constantIbLb1EES1A_IbLb0EEEEDaS16_S17_EUlS16_E_NS1_11comp_targetILNS1_3genE4ELNS1_11target_archE910ELNS1_3gpuE8ELNS1_3repE0EEENS1_30default_config_static_selectorELNS0_4arch9wavefront6targetE0EEEvT1_.private_seg_size, 0
	.set _ZN7rocprim17ROCPRIM_400000_NS6detail17trampoline_kernelINS0_14default_configENS1_25partition_config_selectorILNS1_17partition_subalgoE5ExNS0_10empty_typeEbEEZZNS1_14partition_implILS5_5ELb0ES3_mN6thrust23THRUST_200600_302600_NS6detail15normal_iteratorINSA_10device_ptrIxEEEEPS6_NSA_18transform_iteratorINSB_9not_fun_tI7is_trueIxEEESF_NSA_11use_defaultESM_EENS0_5tupleIJSF_S6_EEENSO_IJSG_SG_EEES6_PlJS6_EEE10hipError_tPvRmT3_T4_T5_T6_T7_T9_mT8_P12ihipStream_tbDpT10_ENKUlT_T0_E_clISt17integral_constantIbLb1EES1A_IbLb0EEEEDaS16_S17_EUlS16_E_NS1_11comp_targetILNS1_3genE4ELNS1_11target_archE910ELNS1_3gpuE8ELNS1_3repE0EEENS1_30default_config_static_selectorELNS0_4arch9wavefront6targetE0EEEvT1_.uses_vcc, 0
	.set _ZN7rocprim17ROCPRIM_400000_NS6detail17trampoline_kernelINS0_14default_configENS1_25partition_config_selectorILNS1_17partition_subalgoE5ExNS0_10empty_typeEbEEZZNS1_14partition_implILS5_5ELb0ES3_mN6thrust23THRUST_200600_302600_NS6detail15normal_iteratorINSA_10device_ptrIxEEEEPS6_NSA_18transform_iteratorINSB_9not_fun_tI7is_trueIxEEESF_NSA_11use_defaultESM_EENS0_5tupleIJSF_S6_EEENSO_IJSG_SG_EEES6_PlJS6_EEE10hipError_tPvRmT3_T4_T5_T6_T7_T9_mT8_P12ihipStream_tbDpT10_ENKUlT_T0_E_clISt17integral_constantIbLb1EES1A_IbLb0EEEEDaS16_S17_EUlS16_E_NS1_11comp_targetILNS1_3genE4ELNS1_11target_archE910ELNS1_3gpuE8ELNS1_3repE0EEENS1_30default_config_static_selectorELNS0_4arch9wavefront6targetE0EEEvT1_.uses_flat_scratch, 0
	.set _ZN7rocprim17ROCPRIM_400000_NS6detail17trampoline_kernelINS0_14default_configENS1_25partition_config_selectorILNS1_17partition_subalgoE5ExNS0_10empty_typeEbEEZZNS1_14partition_implILS5_5ELb0ES3_mN6thrust23THRUST_200600_302600_NS6detail15normal_iteratorINSA_10device_ptrIxEEEEPS6_NSA_18transform_iteratorINSB_9not_fun_tI7is_trueIxEEESF_NSA_11use_defaultESM_EENS0_5tupleIJSF_S6_EEENSO_IJSG_SG_EEES6_PlJS6_EEE10hipError_tPvRmT3_T4_T5_T6_T7_T9_mT8_P12ihipStream_tbDpT10_ENKUlT_T0_E_clISt17integral_constantIbLb1EES1A_IbLb0EEEEDaS16_S17_EUlS16_E_NS1_11comp_targetILNS1_3genE4ELNS1_11target_archE910ELNS1_3gpuE8ELNS1_3repE0EEENS1_30default_config_static_selectorELNS0_4arch9wavefront6targetE0EEEvT1_.has_dyn_sized_stack, 0
	.set _ZN7rocprim17ROCPRIM_400000_NS6detail17trampoline_kernelINS0_14default_configENS1_25partition_config_selectorILNS1_17partition_subalgoE5ExNS0_10empty_typeEbEEZZNS1_14partition_implILS5_5ELb0ES3_mN6thrust23THRUST_200600_302600_NS6detail15normal_iteratorINSA_10device_ptrIxEEEEPS6_NSA_18transform_iteratorINSB_9not_fun_tI7is_trueIxEEESF_NSA_11use_defaultESM_EENS0_5tupleIJSF_S6_EEENSO_IJSG_SG_EEES6_PlJS6_EEE10hipError_tPvRmT3_T4_T5_T6_T7_T9_mT8_P12ihipStream_tbDpT10_ENKUlT_T0_E_clISt17integral_constantIbLb1EES1A_IbLb0EEEEDaS16_S17_EUlS16_E_NS1_11comp_targetILNS1_3genE4ELNS1_11target_archE910ELNS1_3gpuE8ELNS1_3repE0EEENS1_30default_config_static_selectorELNS0_4arch9wavefront6targetE0EEEvT1_.has_recursion, 0
	.set _ZN7rocprim17ROCPRIM_400000_NS6detail17trampoline_kernelINS0_14default_configENS1_25partition_config_selectorILNS1_17partition_subalgoE5ExNS0_10empty_typeEbEEZZNS1_14partition_implILS5_5ELb0ES3_mN6thrust23THRUST_200600_302600_NS6detail15normal_iteratorINSA_10device_ptrIxEEEEPS6_NSA_18transform_iteratorINSB_9not_fun_tI7is_trueIxEEESF_NSA_11use_defaultESM_EENS0_5tupleIJSF_S6_EEENSO_IJSG_SG_EEES6_PlJS6_EEE10hipError_tPvRmT3_T4_T5_T6_T7_T9_mT8_P12ihipStream_tbDpT10_ENKUlT_T0_E_clISt17integral_constantIbLb1EES1A_IbLb0EEEEDaS16_S17_EUlS16_E_NS1_11comp_targetILNS1_3genE4ELNS1_11target_archE910ELNS1_3gpuE8ELNS1_3repE0EEENS1_30default_config_static_selectorELNS0_4arch9wavefront6targetE0EEEvT1_.has_indirect_call, 0
	.section	.AMDGPU.csdata,"",@progbits
; Kernel info:
; codeLenInByte = 0
; TotalNumSgprs: 0
; NumVgprs: 0
; ScratchSize: 0
; MemoryBound: 0
; FloatMode: 240
; IeeeMode: 1
; LDSByteSize: 0 bytes/workgroup (compile time only)
; SGPRBlocks: 0
; VGPRBlocks: 0
; NumSGPRsForWavesPerEU: 1
; NumVGPRsForWavesPerEU: 1
; Occupancy: 16
; WaveLimiterHint : 0
; COMPUTE_PGM_RSRC2:SCRATCH_EN: 0
; COMPUTE_PGM_RSRC2:USER_SGPR: 2
; COMPUTE_PGM_RSRC2:TRAP_HANDLER: 0
; COMPUTE_PGM_RSRC2:TGID_X_EN: 1
; COMPUTE_PGM_RSRC2:TGID_Y_EN: 0
; COMPUTE_PGM_RSRC2:TGID_Z_EN: 0
; COMPUTE_PGM_RSRC2:TIDIG_COMP_CNT: 0
	.section	.text._ZN7rocprim17ROCPRIM_400000_NS6detail17trampoline_kernelINS0_14default_configENS1_25partition_config_selectorILNS1_17partition_subalgoE5ExNS0_10empty_typeEbEEZZNS1_14partition_implILS5_5ELb0ES3_mN6thrust23THRUST_200600_302600_NS6detail15normal_iteratorINSA_10device_ptrIxEEEEPS6_NSA_18transform_iteratorINSB_9not_fun_tI7is_trueIxEEESF_NSA_11use_defaultESM_EENS0_5tupleIJSF_S6_EEENSO_IJSG_SG_EEES6_PlJS6_EEE10hipError_tPvRmT3_T4_T5_T6_T7_T9_mT8_P12ihipStream_tbDpT10_ENKUlT_T0_E_clISt17integral_constantIbLb1EES1A_IbLb0EEEEDaS16_S17_EUlS16_E_NS1_11comp_targetILNS1_3genE3ELNS1_11target_archE908ELNS1_3gpuE7ELNS1_3repE0EEENS1_30default_config_static_selectorELNS0_4arch9wavefront6targetE0EEEvT1_,"axG",@progbits,_ZN7rocprim17ROCPRIM_400000_NS6detail17trampoline_kernelINS0_14default_configENS1_25partition_config_selectorILNS1_17partition_subalgoE5ExNS0_10empty_typeEbEEZZNS1_14partition_implILS5_5ELb0ES3_mN6thrust23THRUST_200600_302600_NS6detail15normal_iteratorINSA_10device_ptrIxEEEEPS6_NSA_18transform_iteratorINSB_9not_fun_tI7is_trueIxEEESF_NSA_11use_defaultESM_EENS0_5tupleIJSF_S6_EEENSO_IJSG_SG_EEES6_PlJS6_EEE10hipError_tPvRmT3_T4_T5_T6_T7_T9_mT8_P12ihipStream_tbDpT10_ENKUlT_T0_E_clISt17integral_constantIbLb1EES1A_IbLb0EEEEDaS16_S17_EUlS16_E_NS1_11comp_targetILNS1_3genE3ELNS1_11target_archE908ELNS1_3gpuE7ELNS1_3repE0EEENS1_30default_config_static_selectorELNS0_4arch9wavefront6targetE0EEEvT1_,comdat
	.protected	_ZN7rocprim17ROCPRIM_400000_NS6detail17trampoline_kernelINS0_14default_configENS1_25partition_config_selectorILNS1_17partition_subalgoE5ExNS0_10empty_typeEbEEZZNS1_14partition_implILS5_5ELb0ES3_mN6thrust23THRUST_200600_302600_NS6detail15normal_iteratorINSA_10device_ptrIxEEEEPS6_NSA_18transform_iteratorINSB_9not_fun_tI7is_trueIxEEESF_NSA_11use_defaultESM_EENS0_5tupleIJSF_S6_EEENSO_IJSG_SG_EEES6_PlJS6_EEE10hipError_tPvRmT3_T4_T5_T6_T7_T9_mT8_P12ihipStream_tbDpT10_ENKUlT_T0_E_clISt17integral_constantIbLb1EES1A_IbLb0EEEEDaS16_S17_EUlS16_E_NS1_11comp_targetILNS1_3genE3ELNS1_11target_archE908ELNS1_3gpuE7ELNS1_3repE0EEENS1_30default_config_static_selectorELNS0_4arch9wavefront6targetE0EEEvT1_ ; -- Begin function _ZN7rocprim17ROCPRIM_400000_NS6detail17trampoline_kernelINS0_14default_configENS1_25partition_config_selectorILNS1_17partition_subalgoE5ExNS0_10empty_typeEbEEZZNS1_14partition_implILS5_5ELb0ES3_mN6thrust23THRUST_200600_302600_NS6detail15normal_iteratorINSA_10device_ptrIxEEEEPS6_NSA_18transform_iteratorINSB_9not_fun_tI7is_trueIxEEESF_NSA_11use_defaultESM_EENS0_5tupleIJSF_S6_EEENSO_IJSG_SG_EEES6_PlJS6_EEE10hipError_tPvRmT3_T4_T5_T6_T7_T9_mT8_P12ihipStream_tbDpT10_ENKUlT_T0_E_clISt17integral_constantIbLb1EES1A_IbLb0EEEEDaS16_S17_EUlS16_E_NS1_11comp_targetILNS1_3genE3ELNS1_11target_archE908ELNS1_3gpuE7ELNS1_3repE0EEENS1_30default_config_static_selectorELNS0_4arch9wavefront6targetE0EEEvT1_
	.globl	_ZN7rocprim17ROCPRIM_400000_NS6detail17trampoline_kernelINS0_14default_configENS1_25partition_config_selectorILNS1_17partition_subalgoE5ExNS0_10empty_typeEbEEZZNS1_14partition_implILS5_5ELb0ES3_mN6thrust23THRUST_200600_302600_NS6detail15normal_iteratorINSA_10device_ptrIxEEEEPS6_NSA_18transform_iteratorINSB_9not_fun_tI7is_trueIxEEESF_NSA_11use_defaultESM_EENS0_5tupleIJSF_S6_EEENSO_IJSG_SG_EEES6_PlJS6_EEE10hipError_tPvRmT3_T4_T5_T6_T7_T9_mT8_P12ihipStream_tbDpT10_ENKUlT_T0_E_clISt17integral_constantIbLb1EES1A_IbLb0EEEEDaS16_S17_EUlS16_E_NS1_11comp_targetILNS1_3genE3ELNS1_11target_archE908ELNS1_3gpuE7ELNS1_3repE0EEENS1_30default_config_static_selectorELNS0_4arch9wavefront6targetE0EEEvT1_
	.p2align	8
	.type	_ZN7rocprim17ROCPRIM_400000_NS6detail17trampoline_kernelINS0_14default_configENS1_25partition_config_selectorILNS1_17partition_subalgoE5ExNS0_10empty_typeEbEEZZNS1_14partition_implILS5_5ELb0ES3_mN6thrust23THRUST_200600_302600_NS6detail15normal_iteratorINSA_10device_ptrIxEEEEPS6_NSA_18transform_iteratorINSB_9not_fun_tI7is_trueIxEEESF_NSA_11use_defaultESM_EENS0_5tupleIJSF_S6_EEENSO_IJSG_SG_EEES6_PlJS6_EEE10hipError_tPvRmT3_T4_T5_T6_T7_T9_mT8_P12ihipStream_tbDpT10_ENKUlT_T0_E_clISt17integral_constantIbLb1EES1A_IbLb0EEEEDaS16_S17_EUlS16_E_NS1_11comp_targetILNS1_3genE3ELNS1_11target_archE908ELNS1_3gpuE7ELNS1_3repE0EEENS1_30default_config_static_selectorELNS0_4arch9wavefront6targetE0EEEvT1_,@function
_ZN7rocprim17ROCPRIM_400000_NS6detail17trampoline_kernelINS0_14default_configENS1_25partition_config_selectorILNS1_17partition_subalgoE5ExNS0_10empty_typeEbEEZZNS1_14partition_implILS5_5ELb0ES3_mN6thrust23THRUST_200600_302600_NS6detail15normal_iteratorINSA_10device_ptrIxEEEEPS6_NSA_18transform_iteratorINSB_9not_fun_tI7is_trueIxEEESF_NSA_11use_defaultESM_EENS0_5tupleIJSF_S6_EEENSO_IJSG_SG_EEES6_PlJS6_EEE10hipError_tPvRmT3_T4_T5_T6_T7_T9_mT8_P12ihipStream_tbDpT10_ENKUlT_T0_E_clISt17integral_constantIbLb1EES1A_IbLb0EEEEDaS16_S17_EUlS16_E_NS1_11comp_targetILNS1_3genE3ELNS1_11target_archE908ELNS1_3gpuE7ELNS1_3repE0EEENS1_30default_config_static_selectorELNS0_4arch9wavefront6targetE0EEEvT1_: ; @_ZN7rocprim17ROCPRIM_400000_NS6detail17trampoline_kernelINS0_14default_configENS1_25partition_config_selectorILNS1_17partition_subalgoE5ExNS0_10empty_typeEbEEZZNS1_14partition_implILS5_5ELb0ES3_mN6thrust23THRUST_200600_302600_NS6detail15normal_iteratorINSA_10device_ptrIxEEEEPS6_NSA_18transform_iteratorINSB_9not_fun_tI7is_trueIxEEESF_NSA_11use_defaultESM_EENS0_5tupleIJSF_S6_EEENSO_IJSG_SG_EEES6_PlJS6_EEE10hipError_tPvRmT3_T4_T5_T6_T7_T9_mT8_P12ihipStream_tbDpT10_ENKUlT_T0_E_clISt17integral_constantIbLb1EES1A_IbLb0EEEEDaS16_S17_EUlS16_E_NS1_11comp_targetILNS1_3genE3ELNS1_11target_archE908ELNS1_3gpuE7ELNS1_3repE0EEENS1_30default_config_static_selectorELNS0_4arch9wavefront6targetE0EEEvT1_
; %bb.0:
	.section	.rodata,"a",@progbits
	.p2align	6, 0x0
	.amdhsa_kernel _ZN7rocprim17ROCPRIM_400000_NS6detail17trampoline_kernelINS0_14default_configENS1_25partition_config_selectorILNS1_17partition_subalgoE5ExNS0_10empty_typeEbEEZZNS1_14partition_implILS5_5ELb0ES3_mN6thrust23THRUST_200600_302600_NS6detail15normal_iteratorINSA_10device_ptrIxEEEEPS6_NSA_18transform_iteratorINSB_9not_fun_tI7is_trueIxEEESF_NSA_11use_defaultESM_EENS0_5tupleIJSF_S6_EEENSO_IJSG_SG_EEES6_PlJS6_EEE10hipError_tPvRmT3_T4_T5_T6_T7_T9_mT8_P12ihipStream_tbDpT10_ENKUlT_T0_E_clISt17integral_constantIbLb1EES1A_IbLb0EEEEDaS16_S17_EUlS16_E_NS1_11comp_targetILNS1_3genE3ELNS1_11target_archE908ELNS1_3gpuE7ELNS1_3repE0EEENS1_30default_config_static_selectorELNS0_4arch9wavefront6targetE0EEEvT1_
		.amdhsa_group_segment_fixed_size 0
		.amdhsa_private_segment_fixed_size 0
		.amdhsa_kernarg_size 120
		.amdhsa_user_sgpr_count 2
		.amdhsa_user_sgpr_dispatch_ptr 0
		.amdhsa_user_sgpr_queue_ptr 0
		.amdhsa_user_sgpr_kernarg_segment_ptr 1
		.amdhsa_user_sgpr_dispatch_id 0
		.amdhsa_user_sgpr_private_segment_size 0
		.amdhsa_wavefront_size32 1
		.amdhsa_uses_dynamic_stack 0
		.amdhsa_enable_private_segment 0
		.amdhsa_system_sgpr_workgroup_id_x 1
		.amdhsa_system_sgpr_workgroup_id_y 0
		.amdhsa_system_sgpr_workgroup_id_z 0
		.amdhsa_system_sgpr_workgroup_info 0
		.amdhsa_system_vgpr_workitem_id 0
		.amdhsa_next_free_vgpr 1
		.amdhsa_next_free_sgpr 1
		.amdhsa_reserve_vcc 0
		.amdhsa_float_round_mode_32 0
		.amdhsa_float_round_mode_16_64 0
		.amdhsa_float_denorm_mode_32 3
		.amdhsa_float_denorm_mode_16_64 3
		.amdhsa_fp16_overflow 0
		.amdhsa_workgroup_processor_mode 1
		.amdhsa_memory_ordered 1
		.amdhsa_forward_progress 1
		.amdhsa_inst_pref_size 0
		.amdhsa_round_robin_scheduling 0
		.amdhsa_exception_fp_ieee_invalid_op 0
		.amdhsa_exception_fp_denorm_src 0
		.amdhsa_exception_fp_ieee_div_zero 0
		.amdhsa_exception_fp_ieee_overflow 0
		.amdhsa_exception_fp_ieee_underflow 0
		.amdhsa_exception_fp_ieee_inexact 0
		.amdhsa_exception_int_div_zero 0
	.end_amdhsa_kernel
	.section	.text._ZN7rocprim17ROCPRIM_400000_NS6detail17trampoline_kernelINS0_14default_configENS1_25partition_config_selectorILNS1_17partition_subalgoE5ExNS0_10empty_typeEbEEZZNS1_14partition_implILS5_5ELb0ES3_mN6thrust23THRUST_200600_302600_NS6detail15normal_iteratorINSA_10device_ptrIxEEEEPS6_NSA_18transform_iteratorINSB_9not_fun_tI7is_trueIxEEESF_NSA_11use_defaultESM_EENS0_5tupleIJSF_S6_EEENSO_IJSG_SG_EEES6_PlJS6_EEE10hipError_tPvRmT3_T4_T5_T6_T7_T9_mT8_P12ihipStream_tbDpT10_ENKUlT_T0_E_clISt17integral_constantIbLb1EES1A_IbLb0EEEEDaS16_S17_EUlS16_E_NS1_11comp_targetILNS1_3genE3ELNS1_11target_archE908ELNS1_3gpuE7ELNS1_3repE0EEENS1_30default_config_static_selectorELNS0_4arch9wavefront6targetE0EEEvT1_,"axG",@progbits,_ZN7rocprim17ROCPRIM_400000_NS6detail17trampoline_kernelINS0_14default_configENS1_25partition_config_selectorILNS1_17partition_subalgoE5ExNS0_10empty_typeEbEEZZNS1_14partition_implILS5_5ELb0ES3_mN6thrust23THRUST_200600_302600_NS6detail15normal_iteratorINSA_10device_ptrIxEEEEPS6_NSA_18transform_iteratorINSB_9not_fun_tI7is_trueIxEEESF_NSA_11use_defaultESM_EENS0_5tupleIJSF_S6_EEENSO_IJSG_SG_EEES6_PlJS6_EEE10hipError_tPvRmT3_T4_T5_T6_T7_T9_mT8_P12ihipStream_tbDpT10_ENKUlT_T0_E_clISt17integral_constantIbLb1EES1A_IbLb0EEEEDaS16_S17_EUlS16_E_NS1_11comp_targetILNS1_3genE3ELNS1_11target_archE908ELNS1_3gpuE7ELNS1_3repE0EEENS1_30default_config_static_selectorELNS0_4arch9wavefront6targetE0EEEvT1_,comdat
.Lfunc_end1486:
	.size	_ZN7rocprim17ROCPRIM_400000_NS6detail17trampoline_kernelINS0_14default_configENS1_25partition_config_selectorILNS1_17partition_subalgoE5ExNS0_10empty_typeEbEEZZNS1_14partition_implILS5_5ELb0ES3_mN6thrust23THRUST_200600_302600_NS6detail15normal_iteratorINSA_10device_ptrIxEEEEPS6_NSA_18transform_iteratorINSB_9not_fun_tI7is_trueIxEEESF_NSA_11use_defaultESM_EENS0_5tupleIJSF_S6_EEENSO_IJSG_SG_EEES6_PlJS6_EEE10hipError_tPvRmT3_T4_T5_T6_T7_T9_mT8_P12ihipStream_tbDpT10_ENKUlT_T0_E_clISt17integral_constantIbLb1EES1A_IbLb0EEEEDaS16_S17_EUlS16_E_NS1_11comp_targetILNS1_3genE3ELNS1_11target_archE908ELNS1_3gpuE7ELNS1_3repE0EEENS1_30default_config_static_selectorELNS0_4arch9wavefront6targetE0EEEvT1_, .Lfunc_end1486-_ZN7rocprim17ROCPRIM_400000_NS6detail17trampoline_kernelINS0_14default_configENS1_25partition_config_selectorILNS1_17partition_subalgoE5ExNS0_10empty_typeEbEEZZNS1_14partition_implILS5_5ELb0ES3_mN6thrust23THRUST_200600_302600_NS6detail15normal_iteratorINSA_10device_ptrIxEEEEPS6_NSA_18transform_iteratorINSB_9not_fun_tI7is_trueIxEEESF_NSA_11use_defaultESM_EENS0_5tupleIJSF_S6_EEENSO_IJSG_SG_EEES6_PlJS6_EEE10hipError_tPvRmT3_T4_T5_T6_T7_T9_mT8_P12ihipStream_tbDpT10_ENKUlT_T0_E_clISt17integral_constantIbLb1EES1A_IbLb0EEEEDaS16_S17_EUlS16_E_NS1_11comp_targetILNS1_3genE3ELNS1_11target_archE908ELNS1_3gpuE7ELNS1_3repE0EEENS1_30default_config_static_selectorELNS0_4arch9wavefront6targetE0EEEvT1_
                                        ; -- End function
	.set _ZN7rocprim17ROCPRIM_400000_NS6detail17trampoline_kernelINS0_14default_configENS1_25partition_config_selectorILNS1_17partition_subalgoE5ExNS0_10empty_typeEbEEZZNS1_14partition_implILS5_5ELb0ES3_mN6thrust23THRUST_200600_302600_NS6detail15normal_iteratorINSA_10device_ptrIxEEEEPS6_NSA_18transform_iteratorINSB_9not_fun_tI7is_trueIxEEESF_NSA_11use_defaultESM_EENS0_5tupleIJSF_S6_EEENSO_IJSG_SG_EEES6_PlJS6_EEE10hipError_tPvRmT3_T4_T5_T6_T7_T9_mT8_P12ihipStream_tbDpT10_ENKUlT_T0_E_clISt17integral_constantIbLb1EES1A_IbLb0EEEEDaS16_S17_EUlS16_E_NS1_11comp_targetILNS1_3genE3ELNS1_11target_archE908ELNS1_3gpuE7ELNS1_3repE0EEENS1_30default_config_static_selectorELNS0_4arch9wavefront6targetE0EEEvT1_.num_vgpr, 0
	.set _ZN7rocprim17ROCPRIM_400000_NS6detail17trampoline_kernelINS0_14default_configENS1_25partition_config_selectorILNS1_17partition_subalgoE5ExNS0_10empty_typeEbEEZZNS1_14partition_implILS5_5ELb0ES3_mN6thrust23THRUST_200600_302600_NS6detail15normal_iteratorINSA_10device_ptrIxEEEEPS6_NSA_18transform_iteratorINSB_9not_fun_tI7is_trueIxEEESF_NSA_11use_defaultESM_EENS0_5tupleIJSF_S6_EEENSO_IJSG_SG_EEES6_PlJS6_EEE10hipError_tPvRmT3_T4_T5_T6_T7_T9_mT8_P12ihipStream_tbDpT10_ENKUlT_T0_E_clISt17integral_constantIbLb1EES1A_IbLb0EEEEDaS16_S17_EUlS16_E_NS1_11comp_targetILNS1_3genE3ELNS1_11target_archE908ELNS1_3gpuE7ELNS1_3repE0EEENS1_30default_config_static_selectorELNS0_4arch9wavefront6targetE0EEEvT1_.num_agpr, 0
	.set _ZN7rocprim17ROCPRIM_400000_NS6detail17trampoline_kernelINS0_14default_configENS1_25partition_config_selectorILNS1_17partition_subalgoE5ExNS0_10empty_typeEbEEZZNS1_14partition_implILS5_5ELb0ES3_mN6thrust23THRUST_200600_302600_NS6detail15normal_iteratorINSA_10device_ptrIxEEEEPS6_NSA_18transform_iteratorINSB_9not_fun_tI7is_trueIxEEESF_NSA_11use_defaultESM_EENS0_5tupleIJSF_S6_EEENSO_IJSG_SG_EEES6_PlJS6_EEE10hipError_tPvRmT3_T4_T5_T6_T7_T9_mT8_P12ihipStream_tbDpT10_ENKUlT_T0_E_clISt17integral_constantIbLb1EES1A_IbLb0EEEEDaS16_S17_EUlS16_E_NS1_11comp_targetILNS1_3genE3ELNS1_11target_archE908ELNS1_3gpuE7ELNS1_3repE0EEENS1_30default_config_static_selectorELNS0_4arch9wavefront6targetE0EEEvT1_.numbered_sgpr, 0
	.set _ZN7rocprim17ROCPRIM_400000_NS6detail17trampoline_kernelINS0_14default_configENS1_25partition_config_selectorILNS1_17partition_subalgoE5ExNS0_10empty_typeEbEEZZNS1_14partition_implILS5_5ELb0ES3_mN6thrust23THRUST_200600_302600_NS6detail15normal_iteratorINSA_10device_ptrIxEEEEPS6_NSA_18transform_iteratorINSB_9not_fun_tI7is_trueIxEEESF_NSA_11use_defaultESM_EENS0_5tupleIJSF_S6_EEENSO_IJSG_SG_EEES6_PlJS6_EEE10hipError_tPvRmT3_T4_T5_T6_T7_T9_mT8_P12ihipStream_tbDpT10_ENKUlT_T0_E_clISt17integral_constantIbLb1EES1A_IbLb0EEEEDaS16_S17_EUlS16_E_NS1_11comp_targetILNS1_3genE3ELNS1_11target_archE908ELNS1_3gpuE7ELNS1_3repE0EEENS1_30default_config_static_selectorELNS0_4arch9wavefront6targetE0EEEvT1_.num_named_barrier, 0
	.set _ZN7rocprim17ROCPRIM_400000_NS6detail17trampoline_kernelINS0_14default_configENS1_25partition_config_selectorILNS1_17partition_subalgoE5ExNS0_10empty_typeEbEEZZNS1_14partition_implILS5_5ELb0ES3_mN6thrust23THRUST_200600_302600_NS6detail15normal_iteratorINSA_10device_ptrIxEEEEPS6_NSA_18transform_iteratorINSB_9not_fun_tI7is_trueIxEEESF_NSA_11use_defaultESM_EENS0_5tupleIJSF_S6_EEENSO_IJSG_SG_EEES6_PlJS6_EEE10hipError_tPvRmT3_T4_T5_T6_T7_T9_mT8_P12ihipStream_tbDpT10_ENKUlT_T0_E_clISt17integral_constantIbLb1EES1A_IbLb0EEEEDaS16_S17_EUlS16_E_NS1_11comp_targetILNS1_3genE3ELNS1_11target_archE908ELNS1_3gpuE7ELNS1_3repE0EEENS1_30default_config_static_selectorELNS0_4arch9wavefront6targetE0EEEvT1_.private_seg_size, 0
	.set _ZN7rocprim17ROCPRIM_400000_NS6detail17trampoline_kernelINS0_14default_configENS1_25partition_config_selectorILNS1_17partition_subalgoE5ExNS0_10empty_typeEbEEZZNS1_14partition_implILS5_5ELb0ES3_mN6thrust23THRUST_200600_302600_NS6detail15normal_iteratorINSA_10device_ptrIxEEEEPS6_NSA_18transform_iteratorINSB_9not_fun_tI7is_trueIxEEESF_NSA_11use_defaultESM_EENS0_5tupleIJSF_S6_EEENSO_IJSG_SG_EEES6_PlJS6_EEE10hipError_tPvRmT3_T4_T5_T6_T7_T9_mT8_P12ihipStream_tbDpT10_ENKUlT_T0_E_clISt17integral_constantIbLb1EES1A_IbLb0EEEEDaS16_S17_EUlS16_E_NS1_11comp_targetILNS1_3genE3ELNS1_11target_archE908ELNS1_3gpuE7ELNS1_3repE0EEENS1_30default_config_static_selectorELNS0_4arch9wavefront6targetE0EEEvT1_.uses_vcc, 0
	.set _ZN7rocprim17ROCPRIM_400000_NS6detail17trampoline_kernelINS0_14default_configENS1_25partition_config_selectorILNS1_17partition_subalgoE5ExNS0_10empty_typeEbEEZZNS1_14partition_implILS5_5ELb0ES3_mN6thrust23THRUST_200600_302600_NS6detail15normal_iteratorINSA_10device_ptrIxEEEEPS6_NSA_18transform_iteratorINSB_9not_fun_tI7is_trueIxEEESF_NSA_11use_defaultESM_EENS0_5tupleIJSF_S6_EEENSO_IJSG_SG_EEES6_PlJS6_EEE10hipError_tPvRmT3_T4_T5_T6_T7_T9_mT8_P12ihipStream_tbDpT10_ENKUlT_T0_E_clISt17integral_constantIbLb1EES1A_IbLb0EEEEDaS16_S17_EUlS16_E_NS1_11comp_targetILNS1_3genE3ELNS1_11target_archE908ELNS1_3gpuE7ELNS1_3repE0EEENS1_30default_config_static_selectorELNS0_4arch9wavefront6targetE0EEEvT1_.uses_flat_scratch, 0
	.set _ZN7rocprim17ROCPRIM_400000_NS6detail17trampoline_kernelINS0_14default_configENS1_25partition_config_selectorILNS1_17partition_subalgoE5ExNS0_10empty_typeEbEEZZNS1_14partition_implILS5_5ELb0ES3_mN6thrust23THRUST_200600_302600_NS6detail15normal_iteratorINSA_10device_ptrIxEEEEPS6_NSA_18transform_iteratorINSB_9not_fun_tI7is_trueIxEEESF_NSA_11use_defaultESM_EENS0_5tupleIJSF_S6_EEENSO_IJSG_SG_EEES6_PlJS6_EEE10hipError_tPvRmT3_T4_T5_T6_T7_T9_mT8_P12ihipStream_tbDpT10_ENKUlT_T0_E_clISt17integral_constantIbLb1EES1A_IbLb0EEEEDaS16_S17_EUlS16_E_NS1_11comp_targetILNS1_3genE3ELNS1_11target_archE908ELNS1_3gpuE7ELNS1_3repE0EEENS1_30default_config_static_selectorELNS0_4arch9wavefront6targetE0EEEvT1_.has_dyn_sized_stack, 0
	.set _ZN7rocprim17ROCPRIM_400000_NS6detail17trampoline_kernelINS0_14default_configENS1_25partition_config_selectorILNS1_17partition_subalgoE5ExNS0_10empty_typeEbEEZZNS1_14partition_implILS5_5ELb0ES3_mN6thrust23THRUST_200600_302600_NS6detail15normal_iteratorINSA_10device_ptrIxEEEEPS6_NSA_18transform_iteratorINSB_9not_fun_tI7is_trueIxEEESF_NSA_11use_defaultESM_EENS0_5tupleIJSF_S6_EEENSO_IJSG_SG_EEES6_PlJS6_EEE10hipError_tPvRmT3_T4_T5_T6_T7_T9_mT8_P12ihipStream_tbDpT10_ENKUlT_T0_E_clISt17integral_constantIbLb1EES1A_IbLb0EEEEDaS16_S17_EUlS16_E_NS1_11comp_targetILNS1_3genE3ELNS1_11target_archE908ELNS1_3gpuE7ELNS1_3repE0EEENS1_30default_config_static_selectorELNS0_4arch9wavefront6targetE0EEEvT1_.has_recursion, 0
	.set _ZN7rocprim17ROCPRIM_400000_NS6detail17trampoline_kernelINS0_14default_configENS1_25partition_config_selectorILNS1_17partition_subalgoE5ExNS0_10empty_typeEbEEZZNS1_14partition_implILS5_5ELb0ES3_mN6thrust23THRUST_200600_302600_NS6detail15normal_iteratorINSA_10device_ptrIxEEEEPS6_NSA_18transform_iteratorINSB_9not_fun_tI7is_trueIxEEESF_NSA_11use_defaultESM_EENS0_5tupleIJSF_S6_EEENSO_IJSG_SG_EEES6_PlJS6_EEE10hipError_tPvRmT3_T4_T5_T6_T7_T9_mT8_P12ihipStream_tbDpT10_ENKUlT_T0_E_clISt17integral_constantIbLb1EES1A_IbLb0EEEEDaS16_S17_EUlS16_E_NS1_11comp_targetILNS1_3genE3ELNS1_11target_archE908ELNS1_3gpuE7ELNS1_3repE0EEENS1_30default_config_static_selectorELNS0_4arch9wavefront6targetE0EEEvT1_.has_indirect_call, 0
	.section	.AMDGPU.csdata,"",@progbits
; Kernel info:
; codeLenInByte = 0
; TotalNumSgprs: 0
; NumVgprs: 0
; ScratchSize: 0
; MemoryBound: 0
; FloatMode: 240
; IeeeMode: 1
; LDSByteSize: 0 bytes/workgroup (compile time only)
; SGPRBlocks: 0
; VGPRBlocks: 0
; NumSGPRsForWavesPerEU: 1
; NumVGPRsForWavesPerEU: 1
; Occupancy: 16
; WaveLimiterHint : 0
; COMPUTE_PGM_RSRC2:SCRATCH_EN: 0
; COMPUTE_PGM_RSRC2:USER_SGPR: 2
; COMPUTE_PGM_RSRC2:TRAP_HANDLER: 0
; COMPUTE_PGM_RSRC2:TGID_X_EN: 1
; COMPUTE_PGM_RSRC2:TGID_Y_EN: 0
; COMPUTE_PGM_RSRC2:TGID_Z_EN: 0
; COMPUTE_PGM_RSRC2:TIDIG_COMP_CNT: 0
	.section	.text._ZN7rocprim17ROCPRIM_400000_NS6detail17trampoline_kernelINS0_14default_configENS1_25partition_config_selectorILNS1_17partition_subalgoE5ExNS0_10empty_typeEbEEZZNS1_14partition_implILS5_5ELb0ES3_mN6thrust23THRUST_200600_302600_NS6detail15normal_iteratorINSA_10device_ptrIxEEEEPS6_NSA_18transform_iteratorINSB_9not_fun_tI7is_trueIxEEESF_NSA_11use_defaultESM_EENS0_5tupleIJSF_S6_EEENSO_IJSG_SG_EEES6_PlJS6_EEE10hipError_tPvRmT3_T4_T5_T6_T7_T9_mT8_P12ihipStream_tbDpT10_ENKUlT_T0_E_clISt17integral_constantIbLb1EES1A_IbLb0EEEEDaS16_S17_EUlS16_E_NS1_11comp_targetILNS1_3genE2ELNS1_11target_archE906ELNS1_3gpuE6ELNS1_3repE0EEENS1_30default_config_static_selectorELNS0_4arch9wavefront6targetE0EEEvT1_,"axG",@progbits,_ZN7rocprim17ROCPRIM_400000_NS6detail17trampoline_kernelINS0_14default_configENS1_25partition_config_selectorILNS1_17partition_subalgoE5ExNS0_10empty_typeEbEEZZNS1_14partition_implILS5_5ELb0ES3_mN6thrust23THRUST_200600_302600_NS6detail15normal_iteratorINSA_10device_ptrIxEEEEPS6_NSA_18transform_iteratorINSB_9not_fun_tI7is_trueIxEEESF_NSA_11use_defaultESM_EENS0_5tupleIJSF_S6_EEENSO_IJSG_SG_EEES6_PlJS6_EEE10hipError_tPvRmT3_T4_T5_T6_T7_T9_mT8_P12ihipStream_tbDpT10_ENKUlT_T0_E_clISt17integral_constantIbLb1EES1A_IbLb0EEEEDaS16_S17_EUlS16_E_NS1_11comp_targetILNS1_3genE2ELNS1_11target_archE906ELNS1_3gpuE6ELNS1_3repE0EEENS1_30default_config_static_selectorELNS0_4arch9wavefront6targetE0EEEvT1_,comdat
	.protected	_ZN7rocprim17ROCPRIM_400000_NS6detail17trampoline_kernelINS0_14default_configENS1_25partition_config_selectorILNS1_17partition_subalgoE5ExNS0_10empty_typeEbEEZZNS1_14partition_implILS5_5ELb0ES3_mN6thrust23THRUST_200600_302600_NS6detail15normal_iteratorINSA_10device_ptrIxEEEEPS6_NSA_18transform_iteratorINSB_9not_fun_tI7is_trueIxEEESF_NSA_11use_defaultESM_EENS0_5tupleIJSF_S6_EEENSO_IJSG_SG_EEES6_PlJS6_EEE10hipError_tPvRmT3_T4_T5_T6_T7_T9_mT8_P12ihipStream_tbDpT10_ENKUlT_T0_E_clISt17integral_constantIbLb1EES1A_IbLb0EEEEDaS16_S17_EUlS16_E_NS1_11comp_targetILNS1_3genE2ELNS1_11target_archE906ELNS1_3gpuE6ELNS1_3repE0EEENS1_30default_config_static_selectorELNS0_4arch9wavefront6targetE0EEEvT1_ ; -- Begin function _ZN7rocprim17ROCPRIM_400000_NS6detail17trampoline_kernelINS0_14default_configENS1_25partition_config_selectorILNS1_17partition_subalgoE5ExNS0_10empty_typeEbEEZZNS1_14partition_implILS5_5ELb0ES3_mN6thrust23THRUST_200600_302600_NS6detail15normal_iteratorINSA_10device_ptrIxEEEEPS6_NSA_18transform_iteratorINSB_9not_fun_tI7is_trueIxEEESF_NSA_11use_defaultESM_EENS0_5tupleIJSF_S6_EEENSO_IJSG_SG_EEES6_PlJS6_EEE10hipError_tPvRmT3_T4_T5_T6_T7_T9_mT8_P12ihipStream_tbDpT10_ENKUlT_T0_E_clISt17integral_constantIbLb1EES1A_IbLb0EEEEDaS16_S17_EUlS16_E_NS1_11comp_targetILNS1_3genE2ELNS1_11target_archE906ELNS1_3gpuE6ELNS1_3repE0EEENS1_30default_config_static_selectorELNS0_4arch9wavefront6targetE0EEEvT1_
	.globl	_ZN7rocprim17ROCPRIM_400000_NS6detail17trampoline_kernelINS0_14default_configENS1_25partition_config_selectorILNS1_17partition_subalgoE5ExNS0_10empty_typeEbEEZZNS1_14partition_implILS5_5ELb0ES3_mN6thrust23THRUST_200600_302600_NS6detail15normal_iteratorINSA_10device_ptrIxEEEEPS6_NSA_18transform_iteratorINSB_9not_fun_tI7is_trueIxEEESF_NSA_11use_defaultESM_EENS0_5tupleIJSF_S6_EEENSO_IJSG_SG_EEES6_PlJS6_EEE10hipError_tPvRmT3_T4_T5_T6_T7_T9_mT8_P12ihipStream_tbDpT10_ENKUlT_T0_E_clISt17integral_constantIbLb1EES1A_IbLb0EEEEDaS16_S17_EUlS16_E_NS1_11comp_targetILNS1_3genE2ELNS1_11target_archE906ELNS1_3gpuE6ELNS1_3repE0EEENS1_30default_config_static_selectorELNS0_4arch9wavefront6targetE0EEEvT1_
	.p2align	8
	.type	_ZN7rocprim17ROCPRIM_400000_NS6detail17trampoline_kernelINS0_14default_configENS1_25partition_config_selectorILNS1_17partition_subalgoE5ExNS0_10empty_typeEbEEZZNS1_14partition_implILS5_5ELb0ES3_mN6thrust23THRUST_200600_302600_NS6detail15normal_iteratorINSA_10device_ptrIxEEEEPS6_NSA_18transform_iteratorINSB_9not_fun_tI7is_trueIxEEESF_NSA_11use_defaultESM_EENS0_5tupleIJSF_S6_EEENSO_IJSG_SG_EEES6_PlJS6_EEE10hipError_tPvRmT3_T4_T5_T6_T7_T9_mT8_P12ihipStream_tbDpT10_ENKUlT_T0_E_clISt17integral_constantIbLb1EES1A_IbLb0EEEEDaS16_S17_EUlS16_E_NS1_11comp_targetILNS1_3genE2ELNS1_11target_archE906ELNS1_3gpuE6ELNS1_3repE0EEENS1_30default_config_static_selectorELNS0_4arch9wavefront6targetE0EEEvT1_,@function
_ZN7rocprim17ROCPRIM_400000_NS6detail17trampoline_kernelINS0_14default_configENS1_25partition_config_selectorILNS1_17partition_subalgoE5ExNS0_10empty_typeEbEEZZNS1_14partition_implILS5_5ELb0ES3_mN6thrust23THRUST_200600_302600_NS6detail15normal_iteratorINSA_10device_ptrIxEEEEPS6_NSA_18transform_iteratorINSB_9not_fun_tI7is_trueIxEEESF_NSA_11use_defaultESM_EENS0_5tupleIJSF_S6_EEENSO_IJSG_SG_EEES6_PlJS6_EEE10hipError_tPvRmT3_T4_T5_T6_T7_T9_mT8_P12ihipStream_tbDpT10_ENKUlT_T0_E_clISt17integral_constantIbLb1EES1A_IbLb0EEEEDaS16_S17_EUlS16_E_NS1_11comp_targetILNS1_3genE2ELNS1_11target_archE906ELNS1_3gpuE6ELNS1_3repE0EEENS1_30default_config_static_selectorELNS0_4arch9wavefront6targetE0EEEvT1_: ; @_ZN7rocprim17ROCPRIM_400000_NS6detail17trampoline_kernelINS0_14default_configENS1_25partition_config_selectorILNS1_17partition_subalgoE5ExNS0_10empty_typeEbEEZZNS1_14partition_implILS5_5ELb0ES3_mN6thrust23THRUST_200600_302600_NS6detail15normal_iteratorINSA_10device_ptrIxEEEEPS6_NSA_18transform_iteratorINSB_9not_fun_tI7is_trueIxEEESF_NSA_11use_defaultESM_EENS0_5tupleIJSF_S6_EEENSO_IJSG_SG_EEES6_PlJS6_EEE10hipError_tPvRmT3_T4_T5_T6_T7_T9_mT8_P12ihipStream_tbDpT10_ENKUlT_T0_E_clISt17integral_constantIbLb1EES1A_IbLb0EEEEDaS16_S17_EUlS16_E_NS1_11comp_targetILNS1_3genE2ELNS1_11target_archE906ELNS1_3gpuE6ELNS1_3repE0EEENS1_30default_config_static_selectorELNS0_4arch9wavefront6targetE0EEEvT1_
; %bb.0:
	.section	.rodata,"a",@progbits
	.p2align	6, 0x0
	.amdhsa_kernel _ZN7rocprim17ROCPRIM_400000_NS6detail17trampoline_kernelINS0_14default_configENS1_25partition_config_selectorILNS1_17partition_subalgoE5ExNS0_10empty_typeEbEEZZNS1_14partition_implILS5_5ELb0ES3_mN6thrust23THRUST_200600_302600_NS6detail15normal_iteratorINSA_10device_ptrIxEEEEPS6_NSA_18transform_iteratorINSB_9not_fun_tI7is_trueIxEEESF_NSA_11use_defaultESM_EENS0_5tupleIJSF_S6_EEENSO_IJSG_SG_EEES6_PlJS6_EEE10hipError_tPvRmT3_T4_T5_T6_T7_T9_mT8_P12ihipStream_tbDpT10_ENKUlT_T0_E_clISt17integral_constantIbLb1EES1A_IbLb0EEEEDaS16_S17_EUlS16_E_NS1_11comp_targetILNS1_3genE2ELNS1_11target_archE906ELNS1_3gpuE6ELNS1_3repE0EEENS1_30default_config_static_selectorELNS0_4arch9wavefront6targetE0EEEvT1_
		.amdhsa_group_segment_fixed_size 0
		.amdhsa_private_segment_fixed_size 0
		.amdhsa_kernarg_size 120
		.amdhsa_user_sgpr_count 2
		.amdhsa_user_sgpr_dispatch_ptr 0
		.amdhsa_user_sgpr_queue_ptr 0
		.amdhsa_user_sgpr_kernarg_segment_ptr 1
		.amdhsa_user_sgpr_dispatch_id 0
		.amdhsa_user_sgpr_private_segment_size 0
		.amdhsa_wavefront_size32 1
		.amdhsa_uses_dynamic_stack 0
		.amdhsa_enable_private_segment 0
		.amdhsa_system_sgpr_workgroup_id_x 1
		.amdhsa_system_sgpr_workgroup_id_y 0
		.amdhsa_system_sgpr_workgroup_id_z 0
		.amdhsa_system_sgpr_workgroup_info 0
		.amdhsa_system_vgpr_workitem_id 0
		.amdhsa_next_free_vgpr 1
		.amdhsa_next_free_sgpr 1
		.amdhsa_reserve_vcc 0
		.amdhsa_float_round_mode_32 0
		.amdhsa_float_round_mode_16_64 0
		.amdhsa_float_denorm_mode_32 3
		.amdhsa_float_denorm_mode_16_64 3
		.amdhsa_fp16_overflow 0
		.amdhsa_workgroup_processor_mode 1
		.amdhsa_memory_ordered 1
		.amdhsa_forward_progress 1
		.amdhsa_inst_pref_size 0
		.amdhsa_round_robin_scheduling 0
		.amdhsa_exception_fp_ieee_invalid_op 0
		.amdhsa_exception_fp_denorm_src 0
		.amdhsa_exception_fp_ieee_div_zero 0
		.amdhsa_exception_fp_ieee_overflow 0
		.amdhsa_exception_fp_ieee_underflow 0
		.amdhsa_exception_fp_ieee_inexact 0
		.amdhsa_exception_int_div_zero 0
	.end_amdhsa_kernel
	.section	.text._ZN7rocprim17ROCPRIM_400000_NS6detail17trampoline_kernelINS0_14default_configENS1_25partition_config_selectorILNS1_17partition_subalgoE5ExNS0_10empty_typeEbEEZZNS1_14partition_implILS5_5ELb0ES3_mN6thrust23THRUST_200600_302600_NS6detail15normal_iteratorINSA_10device_ptrIxEEEEPS6_NSA_18transform_iteratorINSB_9not_fun_tI7is_trueIxEEESF_NSA_11use_defaultESM_EENS0_5tupleIJSF_S6_EEENSO_IJSG_SG_EEES6_PlJS6_EEE10hipError_tPvRmT3_T4_T5_T6_T7_T9_mT8_P12ihipStream_tbDpT10_ENKUlT_T0_E_clISt17integral_constantIbLb1EES1A_IbLb0EEEEDaS16_S17_EUlS16_E_NS1_11comp_targetILNS1_3genE2ELNS1_11target_archE906ELNS1_3gpuE6ELNS1_3repE0EEENS1_30default_config_static_selectorELNS0_4arch9wavefront6targetE0EEEvT1_,"axG",@progbits,_ZN7rocprim17ROCPRIM_400000_NS6detail17trampoline_kernelINS0_14default_configENS1_25partition_config_selectorILNS1_17partition_subalgoE5ExNS0_10empty_typeEbEEZZNS1_14partition_implILS5_5ELb0ES3_mN6thrust23THRUST_200600_302600_NS6detail15normal_iteratorINSA_10device_ptrIxEEEEPS6_NSA_18transform_iteratorINSB_9not_fun_tI7is_trueIxEEESF_NSA_11use_defaultESM_EENS0_5tupleIJSF_S6_EEENSO_IJSG_SG_EEES6_PlJS6_EEE10hipError_tPvRmT3_T4_T5_T6_T7_T9_mT8_P12ihipStream_tbDpT10_ENKUlT_T0_E_clISt17integral_constantIbLb1EES1A_IbLb0EEEEDaS16_S17_EUlS16_E_NS1_11comp_targetILNS1_3genE2ELNS1_11target_archE906ELNS1_3gpuE6ELNS1_3repE0EEENS1_30default_config_static_selectorELNS0_4arch9wavefront6targetE0EEEvT1_,comdat
.Lfunc_end1487:
	.size	_ZN7rocprim17ROCPRIM_400000_NS6detail17trampoline_kernelINS0_14default_configENS1_25partition_config_selectorILNS1_17partition_subalgoE5ExNS0_10empty_typeEbEEZZNS1_14partition_implILS5_5ELb0ES3_mN6thrust23THRUST_200600_302600_NS6detail15normal_iteratorINSA_10device_ptrIxEEEEPS6_NSA_18transform_iteratorINSB_9not_fun_tI7is_trueIxEEESF_NSA_11use_defaultESM_EENS0_5tupleIJSF_S6_EEENSO_IJSG_SG_EEES6_PlJS6_EEE10hipError_tPvRmT3_T4_T5_T6_T7_T9_mT8_P12ihipStream_tbDpT10_ENKUlT_T0_E_clISt17integral_constantIbLb1EES1A_IbLb0EEEEDaS16_S17_EUlS16_E_NS1_11comp_targetILNS1_3genE2ELNS1_11target_archE906ELNS1_3gpuE6ELNS1_3repE0EEENS1_30default_config_static_selectorELNS0_4arch9wavefront6targetE0EEEvT1_, .Lfunc_end1487-_ZN7rocprim17ROCPRIM_400000_NS6detail17trampoline_kernelINS0_14default_configENS1_25partition_config_selectorILNS1_17partition_subalgoE5ExNS0_10empty_typeEbEEZZNS1_14partition_implILS5_5ELb0ES3_mN6thrust23THRUST_200600_302600_NS6detail15normal_iteratorINSA_10device_ptrIxEEEEPS6_NSA_18transform_iteratorINSB_9not_fun_tI7is_trueIxEEESF_NSA_11use_defaultESM_EENS0_5tupleIJSF_S6_EEENSO_IJSG_SG_EEES6_PlJS6_EEE10hipError_tPvRmT3_T4_T5_T6_T7_T9_mT8_P12ihipStream_tbDpT10_ENKUlT_T0_E_clISt17integral_constantIbLb1EES1A_IbLb0EEEEDaS16_S17_EUlS16_E_NS1_11comp_targetILNS1_3genE2ELNS1_11target_archE906ELNS1_3gpuE6ELNS1_3repE0EEENS1_30default_config_static_selectorELNS0_4arch9wavefront6targetE0EEEvT1_
                                        ; -- End function
	.set _ZN7rocprim17ROCPRIM_400000_NS6detail17trampoline_kernelINS0_14default_configENS1_25partition_config_selectorILNS1_17partition_subalgoE5ExNS0_10empty_typeEbEEZZNS1_14partition_implILS5_5ELb0ES3_mN6thrust23THRUST_200600_302600_NS6detail15normal_iteratorINSA_10device_ptrIxEEEEPS6_NSA_18transform_iteratorINSB_9not_fun_tI7is_trueIxEEESF_NSA_11use_defaultESM_EENS0_5tupleIJSF_S6_EEENSO_IJSG_SG_EEES6_PlJS6_EEE10hipError_tPvRmT3_T4_T5_T6_T7_T9_mT8_P12ihipStream_tbDpT10_ENKUlT_T0_E_clISt17integral_constantIbLb1EES1A_IbLb0EEEEDaS16_S17_EUlS16_E_NS1_11comp_targetILNS1_3genE2ELNS1_11target_archE906ELNS1_3gpuE6ELNS1_3repE0EEENS1_30default_config_static_selectorELNS0_4arch9wavefront6targetE0EEEvT1_.num_vgpr, 0
	.set _ZN7rocprim17ROCPRIM_400000_NS6detail17trampoline_kernelINS0_14default_configENS1_25partition_config_selectorILNS1_17partition_subalgoE5ExNS0_10empty_typeEbEEZZNS1_14partition_implILS5_5ELb0ES3_mN6thrust23THRUST_200600_302600_NS6detail15normal_iteratorINSA_10device_ptrIxEEEEPS6_NSA_18transform_iteratorINSB_9not_fun_tI7is_trueIxEEESF_NSA_11use_defaultESM_EENS0_5tupleIJSF_S6_EEENSO_IJSG_SG_EEES6_PlJS6_EEE10hipError_tPvRmT3_T4_T5_T6_T7_T9_mT8_P12ihipStream_tbDpT10_ENKUlT_T0_E_clISt17integral_constantIbLb1EES1A_IbLb0EEEEDaS16_S17_EUlS16_E_NS1_11comp_targetILNS1_3genE2ELNS1_11target_archE906ELNS1_3gpuE6ELNS1_3repE0EEENS1_30default_config_static_selectorELNS0_4arch9wavefront6targetE0EEEvT1_.num_agpr, 0
	.set _ZN7rocprim17ROCPRIM_400000_NS6detail17trampoline_kernelINS0_14default_configENS1_25partition_config_selectorILNS1_17partition_subalgoE5ExNS0_10empty_typeEbEEZZNS1_14partition_implILS5_5ELb0ES3_mN6thrust23THRUST_200600_302600_NS6detail15normal_iteratorINSA_10device_ptrIxEEEEPS6_NSA_18transform_iteratorINSB_9not_fun_tI7is_trueIxEEESF_NSA_11use_defaultESM_EENS0_5tupleIJSF_S6_EEENSO_IJSG_SG_EEES6_PlJS6_EEE10hipError_tPvRmT3_T4_T5_T6_T7_T9_mT8_P12ihipStream_tbDpT10_ENKUlT_T0_E_clISt17integral_constantIbLb1EES1A_IbLb0EEEEDaS16_S17_EUlS16_E_NS1_11comp_targetILNS1_3genE2ELNS1_11target_archE906ELNS1_3gpuE6ELNS1_3repE0EEENS1_30default_config_static_selectorELNS0_4arch9wavefront6targetE0EEEvT1_.numbered_sgpr, 0
	.set _ZN7rocprim17ROCPRIM_400000_NS6detail17trampoline_kernelINS0_14default_configENS1_25partition_config_selectorILNS1_17partition_subalgoE5ExNS0_10empty_typeEbEEZZNS1_14partition_implILS5_5ELb0ES3_mN6thrust23THRUST_200600_302600_NS6detail15normal_iteratorINSA_10device_ptrIxEEEEPS6_NSA_18transform_iteratorINSB_9not_fun_tI7is_trueIxEEESF_NSA_11use_defaultESM_EENS0_5tupleIJSF_S6_EEENSO_IJSG_SG_EEES6_PlJS6_EEE10hipError_tPvRmT3_T4_T5_T6_T7_T9_mT8_P12ihipStream_tbDpT10_ENKUlT_T0_E_clISt17integral_constantIbLb1EES1A_IbLb0EEEEDaS16_S17_EUlS16_E_NS1_11comp_targetILNS1_3genE2ELNS1_11target_archE906ELNS1_3gpuE6ELNS1_3repE0EEENS1_30default_config_static_selectorELNS0_4arch9wavefront6targetE0EEEvT1_.num_named_barrier, 0
	.set _ZN7rocprim17ROCPRIM_400000_NS6detail17trampoline_kernelINS0_14default_configENS1_25partition_config_selectorILNS1_17partition_subalgoE5ExNS0_10empty_typeEbEEZZNS1_14partition_implILS5_5ELb0ES3_mN6thrust23THRUST_200600_302600_NS6detail15normal_iteratorINSA_10device_ptrIxEEEEPS6_NSA_18transform_iteratorINSB_9not_fun_tI7is_trueIxEEESF_NSA_11use_defaultESM_EENS0_5tupleIJSF_S6_EEENSO_IJSG_SG_EEES6_PlJS6_EEE10hipError_tPvRmT3_T4_T5_T6_T7_T9_mT8_P12ihipStream_tbDpT10_ENKUlT_T0_E_clISt17integral_constantIbLb1EES1A_IbLb0EEEEDaS16_S17_EUlS16_E_NS1_11comp_targetILNS1_3genE2ELNS1_11target_archE906ELNS1_3gpuE6ELNS1_3repE0EEENS1_30default_config_static_selectorELNS0_4arch9wavefront6targetE0EEEvT1_.private_seg_size, 0
	.set _ZN7rocprim17ROCPRIM_400000_NS6detail17trampoline_kernelINS0_14default_configENS1_25partition_config_selectorILNS1_17partition_subalgoE5ExNS0_10empty_typeEbEEZZNS1_14partition_implILS5_5ELb0ES3_mN6thrust23THRUST_200600_302600_NS6detail15normal_iteratorINSA_10device_ptrIxEEEEPS6_NSA_18transform_iteratorINSB_9not_fun_tI7is_trueIxEEESF_NSA_11use_defaultESM_EENS0_5tupleIJSF_S6_EEENSO_IJSG_SG_EEES6_PlJS6_EEE10hipError_tPvRmT3_T4_T5_T6_T7_T9_mT8_P12ihipStream_tbDpT10_ENKUlT_T0_E_clISt17integral_constantIbLb1EES1A_IbLb0EEEEDaS16_S17_EUlS16_E_NS1_11comp_targetILNS1_3genE2ELNS1_11target_archE906ELNS1_3gpuE6ELNS1_3repE0EEENS1_30default_config_static_selectorELNS0_4arch9wavefront6targetE0EEEvT1_.uses_vcc, 0
	.set _ZN7rocprim17ROCPRIM_400000_NS6detail17trampoline_kernelINS0_14default_configENS1_25partition_config_selectorILNS1_17partition_subalgoE5ExNS0_10empty_typeEbEEZZNS1_14partition_implILS5_5ELb0ES3_mN6thrust23THRUST_200600_302600_NS6detail15normal_iteratorINSA_10device_ptrIxEEEEPS6_NSA_18transform_iteratorINSB_9not_fun_tI7is_trueIxEEESF_NSA_11use_defaultESM_EENS0_5tupleIJSF_S6_EEENSO_IJSG_SG_EEES6_PlJS6_EEE10hipError_tPvRmT3_T4_T5_T6_T7_T9_mT8_P12ihipStream_tbDpT10_ENKUlT_T0_E_clISt17integral_constantIbLb1EES1A_IbLb0EEEEDaS16_S17_EUlS16_E_NS1_11comp_targetILNS1_3genE2ELNS1_11target_archE906ELNS1_3gpuE6ELNS1_3repE0EEENS1_30default_config_static_selectorELNS0_4arch9wavefront6targetE0EEEvT1_.uses_flat_scratch, 0
	.set _ZN7rocprim17ROCPRIM_400000_NS6detail17trampoline_kernelINS0_14default_configENS1_25partition_config_selectorILNS1_17partition_subalgoE5ExNS0_10empty_typeEbEEZZNS1_14partition_implILS5_5ELb0ES3_mN6thrust23THRUST_200600_302600_NS6detail15normal_iteratorINSA_10device_ptrIxEEEEPS6_NSA_18transform_iteratorINSB_9not_fun_tI7is_trueIxEEESF_NSA_11use_defaultESM_EENS0_5tupleIJSF_S6_EEENSO_IJSG_SG_EEES6_PlJS6_EEE10hipError_tPvRmT3_T4_T5_T6_T7_T9_mT8_P12ihipStream_tbDpT10_ENKUlT_T0_E_clISt17integral_constantIbLb1EES1A_IbLb0EEEEDaS16_S17_EUlS16_E_NS1_11comp_targetILNS1_3genE2ELNS1_11target_archE906ELNS1_3gpuE6ELNS1_3repE0EEENS1_30default_config_static_selectorELNS0_4arch9wavefront6targetE0EEEvT1_.has_dyn_sized_stack, 0
	.set _ZN7rocprim17ROCPRIM_400000_NS6detail17trampoline_kernelINS0_14default_configENS1_25partition_config_selectorILNS1_17partition_subalgoE5ExNS0_10empty_typeEbEEZZNS1_14partition_implILS5_5ELb0ES3_mN6thrust23THRUST_200600_302600_NS6detail15normal_iteratorINSA_10device_ptrIxEEEEPS6_NSA_18transform_iteratorINSB_9not_fun_tI7is_trueIxEEESF_NSA_11use_defaultESM_EENS0_5tupleIJSF_S6_EEENSO_IJSG_SG_EEES6_PlJS6_EEE10hipError_tPvRmT3_T4_T5_T6_T7_T9_mT8_P12ihipStream_tbDpT10_ENKUlT_T0_E_clISt17integral_constantIbLb1EES1A_IbLb0EEEEDaS16_S17_EUlS16_E_NS1_11comp_targetILNS1_3genE2ELNS1_11target_archE906ELNS1_3gpuE6ELNS1_3repE0EEENS1_30default_config_static_selectorELNS0_4arch9wavefront6targetE0EEEvT1_.has_recursion, 0
	.set _ZN7rocprim17ROCPRIM_400000_NS6detail17trampoline_kernelINS0_14default_configENS1_25partition_config_selectorILNS1_17partition_subalgoE5ExNS0_10empty_typeEbEEZZNS1_14partition_implILS5_5ELb0ES3_mN6thrust23THRUST_200600_302600_NS6detail15normal_iteratorINSA_10device_ptrIxEEEEPS6_NSA_18transform_iteratorINSB_9not_fun_tI7is_trueIxEEESF_NSA_11use_defaultESM_EENS0_5tupleIJSF_S6_EEENSO_IJSG_SG_EEES6_PlJS6_EEE10hipError_tPvRmT3_T4_T5_T6_T7_T9_mT8_P12ihipStream_tbDpT10_ENKUlT_T0_E_clISt17integral_constantIbLb1EES1A_IbLb0EEEEDaS16_S17_EUlS16_E_NS1_11comp_targetILNS1_3genE2ELNS1_11target_archE906ELNS1_3gpuE6ELNS1_3repE0EEENS1_30default_config_static_selectorELNS0_4arch9wavefront6targetE0EEEvT1_.has_indirect_call, 0
	.section	.AMDGPU.csdata,"",@progbits
; Kernel info:
; codeLenInByte = 0
; TotalNumSgprs: 0
; NumVgprs: 0
; ScratchSize: 0
; MemoryBound: 0
; FloatMode: 240
; IeeeMode: 1
; LDSByteSize: 0 bytes/workgroup (compile time only)
; SGPRBlocks: 0
; VGPRBlocks: 0
; NumSGPRsForWavesPerEU: 1
; NumVGPRsForWavesPerEU: 1
; Occupancy: 16
; WaveLimiterHint : 0
; COMPUTE_PGM_RSRC2:SCRATCH_EN: 0
; COMPUTE_PGM_RSRC2:USER_SGPR: 2
; COMPUTE_PGM_RSRC2:TRAP_HANDLER: 0
; COMPUTE_PGM_RSRC2:TGID_X_EN: 1
; COMPUTE_PGM_RSRC2:TGID_Y_EN: 0
; COMPUTE_PGM_RSRC2:TGID_Z_EN: 0
; COMPUTE_PGM_RSRC2:TIDIG_COMP_CNT: 0
	.section	.text._ZN7rocprim17ROCPRIM_400000_NS6detail17trampoline_kernelINS0_14default_configENS1_25partition_config_selectorILNS1_17partition_subalgoE5ExNS0_10empty_typeEbEEZZNS1_14partition_implILS5_5ELb0ES3_mN6thrust23THRUST_200600_302600_NS6detail15normal_iteratorINSA_10device_ptrIxEEEEPS6_NSA_18transform_iteratorINSB_9not_fun_tI7is_trueIxEEESF_NSA_11use_defaultESM_EENS0_5tupleIJSF_S6_EEENSO_IJSG_SG_EEES6_PlJS6_EEE10hipError_tPvRmT3_T4_T5_T6_T7_T9_mT8_P12ihipStream_tbDpT10_ENKUlT_T0_E_clISt17integral_constantIbLb1EES1A_IbLb0EEEEDaS16_S17_EUlS16_E_NS1_11comp_targetILNS1_3genE10ELNS1_11target_archE1200ELNS1_3gpuE4ELNS1_3repE0EEENS1_30default_config_static_selectorELNS0_4arch9wavefront6targetE0EEEvT1_,"axG",@progbits,_ZN7rocprim17ROCPRIM_400000_NS6detail17trampoline_kernelINS0_14default_configENS1_25partition_config_selectorILNS1_17partition_subalgoE5ExNS0_10empty_typeEbEEZZNS1_14partition_implILS5_5ELb0ES3_mN6thrust23THRUST_200600_302600_NS6detail15normal_iteratorINSA_10device_ptrIxEEEEPS6_NSA_18transform_iteratorINSB_9not_fun_tI7is_trueIxEEESF_NSA_11use_defaultESM_EENS0_5tupleIJSF_S6_EEENSO_IJSG_SG_EEES6_PlJS6_EEE10hipError_tPvRmT3_T4_T5_T6_T7_T9_mT8_P12ihipStream_tbDpT10_ENKUlT_T0_E_clISt17integral_constantIbLb1EES1A_IbLb0EEEEDaS16_S17_EUlS16_E_NS1_11comp_targetILNS1_3genE10ELNS1_11target_archE1200ELNS1_3gpuE4ELNS1_3repE0EEENS1_30default_config_static_selectorELNS0_4arch9wavefront6targetE0EEEvT1_,comdat
	.protected	_ZN7rocprim17ROCPRIM_400000_NS6detail17trampoline_kernelINS0_14default_configENS1_25partition_config_selectorILNS1_17partition_subalgoE5ExNS0_10empty_typeEbEEZZNS1_14partition_implILS5_5ELb0ES3_mN6thrust23THRUST_200600_302600_NS6detail15normal_iteratorINSA_10device_ptrIxEEEEPS6_NSA_18transform_iteratorINSB_9not_fun_tI7is_trueIxEEESF_NSA_11use_defaultESM_EENS0_5tupleIJSF_S6_EEENSO_IJSG_SG_EEES6_PlJS6_EEE10hipError_tPvRmT3_T4_T5_T6_T7_T9_mT8_P12ihipStream_tbDpT10_ENKUlT_T0_E_clISt17integral_constantIbLb1EES1A_IbLb0EEEEDaS16_S17_EUlS16_E_NS1_11comp_targetILNS1_3genE10ELNS1_11target_archE1200ELNS1_3gpuE4ELNS1_3repE0EEENS1_30default_config_static_selectorELNS0_4arch9wavefront6targetE0EEEvT1_ ; -- Begin function _ZN7rocprim17ROCPRIM_400000_NS6detail17trampoline_kernelINS0_14default_configENS1_25partition_config_selectorILNS1_17partition_subalgoE5ExNS0_10empty_typeEbEEZZNS1_14partition_implILS5_5ELb0ES3_mN6thrust23THRUST_200600_302600_NS6detail15normal_iteratorINSA_10device_ptrIxEEEEPS6_NSA_18transform_iteratorINSB_9not_fun_tI7is_trueIxEEESF_NSA_11use_defaultESM_EENS0_5tupleIJSF_S6_EEENSO_IJSG_SG_EEES6_PlJS6_EEE10hipError_tPvRmT3_T4_T5_T6_T7_T9_mT8_P12ihipStream_tbDpT10_ENKUlT_T0_E_clISt17integral_constantIbLb1EES1A_IbLb0EEEEDaS16_S17_EUlS16_E_NS1_11comp_targetILNS1_3genE10ELNS1_11target_archE1200ELNS1_3gpuE4ELNS1_3repE0EEENS1_30default_config_static_selectorELNS0_4arch9wavefront6targetE0EEEvT1_
	.globl	_ZN7rocprim17ROCPRIM_400000_NS6detail17trampoline_kernelINS0_14default_configENS1_25partition_config_selectorILNS1_17partition_subalgoE5ExNS0_10empty_typeEbEEZZNS1_14partition_implILS5_5ELb0ES3_mN6thrust23THRUST_200600_302600_NS6detail15normal_iteratorINSA_10device_ptrIxEEEEPS6_NSA_18transform_iteratorINSB_9not_fun_tI7is_trueIxEEESF_NSA_11use_defaultESM_EENS0_5tupleIJSF_S6_EEENSO_IJSG_SG_EEES6_PlJS6_EEE10hipError_tPvRmT3_T4_T5_T6_T7_T9_mT8_P12ihipStream_tbDpT10_ENKUlT_T0_E_clISt17integral_constantIbLb1EES1A_IbLb0EEEEDaS16_S17_EUlS16_E_NS1_11comp_targetILNS1_3genE10ELNS1_11target_archE1200ELNS1_3gpuE4ELNS1_3repE0EEENS1_30default_config_static_selectorELNS0_4arch9wavefront6targetE0EEEvT1_
	.p2align	8
	.type	_ZN7rocprim17ROCPRIM_400000_NS6detail17trampoline_kernelINS0_14default_configENS1_25partition_config_selectorILNS1_17partition_subalgoE5ExNS0_10empty_typeEbEEZZNS1_14partition_implILS5_5ELb0ES3_mN6thrust23THRUST_200600_302600_NS6detail15normal_iteratorINSA_10device_ptrIxEEEEPS6_NSA_18transform_iteratorINSB_9not_fun_tI7is_trueIxEEESF_NSA_11use_defaultESM_EENS0_5tupleIJSF_S6_EEENSO_IJSG_SG_EEES6_PlJS6_EEE10hipError_tPvRmT3_T4_T5_T6_T7_T9_mT8_P12ihipStream_tbDpT10_ENKUlT_T0_E_clISt17integral_constantIbLb1EES1A_IbLb0EEEEDaS16_S17_EUlS16_E_NS1_11comp_targetILNS1_3genE10ELNS1_11target_archE1200ELNS1_3gpuE4ELNS1_3repE0EEENS1_30default_config_static_selectorELNS0_4arch9wavefront6targetE0EEEvT1_,@function
_ZN7rocprim17ROCPRIM_400000_NS6detail17trampoline_kernelINS0_14default_configENS1_25partition_config_selectorILNS1_17partition_subalgoE5ExNS0_10empty_typeEbEEZZNS1_14partition_implILS5_5ELb0ES3_mN6thrust23THRUST_200600_302600_NS6detail15normal_iteratorINSA_10device_ptrIxEEEEPS6_NSA_18transform_iteratorINSB_9not_fun_tI7is_trueIxEEESF_NSA_11use_defaultESM_EENS0_5tupleIJSF_S6_EEENSO_IJSG_SG_EEES6_PlJS6_EEE10hipError_tPvRmT3_T4_T5_T6_T7_T9_mT8_P12ihipStream_tbDpT10_ENKUlT_T0_E_clISt17integral_constantIbLb1EES1A_IbLb0EEEEDaS16_S17_EUlS16_E_NS1_11comp_targetILNS1_3genE10ELNS1_11target_archE1200ELNS1_3gpuE4ELNS1_3repE0EEENS1_30default_config_static_selectorELNS0_4arch9wavefront6targetE0EEEvT1_: ; @_ZN7rocprim17ROCPRIM_400000_NS6detail17trampoline_kernelINS0_14default_configENS1_25partition_config_selectorILNS1_17partition_subalgoE5ExNS0_10empty_typeEbEEZZNS1_14partition_implILS5_5ELb0ES3_mN6thrust23THRUST_200600_302600_NS6detail15normal_iteratorINSA_10device_ptrIxEEEEPS6_NSA_18transform_iteratorINSB_9not_fun_tI7is_trueIxEEESF_NSA_11use_defaultESM_EENS0_5tupleIJSF_S6_EEENSO_IJSG_SG_EEES6_PlJS6_EEE10hipError_tPvRmT3_T4_T5_T6_T7_T9_mT8_P12ihipStream_tbDpT10_ENKUlT_T0_E_clISt17integral_constantIbLb1EES1A_IbLb0EEEEDaS16_S17_EUlS16_E_NS1_11comp_targetILNS1_3genE10ELNS1_11target_archE1200ELNS1_3gpuE4ELNS1_3repE0EEENS1_30default_config_static_selectorELNS0_4arch9wavefront6targetE0EEEvT1_
; %bb.0:
	s_endpgm
	.section	.rodata,"a",@progbits
	.p2align	6, 0x0
	.amdhsa_kernel _ZN7rocprim17ROCPRIM_400000_NS6detail17trampoline_kernelINS0_14default_configENS1_25partition_config_selectorILNS1_17partition_subalgoE5ExNS0_10empty_typeEbEEZZNS1_14partition_implILS5_5ELb0ES3_mN6thrust23THRUST_200600_302600_NS6detail15normal_iteratorINSA_10device_ptrIxEEEEPS6_NSA_18transform_iteratorINSB_9not_fun_tI7is_trueIxEEESF_NSA_11use_defaultESM_EENS0_5tupleIJSF_S6_EEENSO_IJSG_SG_EEES6_PlJS6_EEE10hipError_tPvRmT3_T4_T5_T6_T7_T9_mT8_P12ihipStream_tbDpT10_ENKUlT_T0_E_clISt17integral_constantIbLb1EES1A_IbLb0EEEEDaS16_S17_EUlS16_E_NS1_11comp_targetILNS1_3genE10ELNS1_11target_archE1200ELNS1_3gpuE4ELNS1_3repE0EEENS1_30default_config_static_selectorELNS0_4arch9wavefront6targetE0EEEvT1_
		.amdhsa_group_segment_fixed_size 0
		.amdhsa_private_segment_fixed_size 0
		.amdhsa_kernarg_size 120
		.amdhsa_user_sgpr_count 2
		.amdhsa_user_sgpr_dispatch_ptr 0
		.amdhsa_user_sgpr_queue_ptr 0
		.amdhsa_user_sgpr_kernarg_segment_ptr 1
		.amdhsa_user_sgpr_dispatch_id 0
		.amdhsa_user_sgpr_private_segment_size 0
		.amdhsa_wavefront_size32 1
		.amdhsa_uses_dynamic_stack 0
		.amdhsa_enable_private_segment 0
		.amdhsa_system_sgpr_workgroup_id_x 1
		.amdhsa_system_sgpr_workgroup_id_y 0
		.amdhsa_system_sgpr_workgroup_id_z 0
		.amdhsa_system_sgpr_workgroup_info 0
		.amdhsa_system_vgpr_workitem_id 0
		.amdhsa_next_free_vgpr 1
		.amdhsa_next_free_sgpr 1
		.amdhsa_reserve_vcc 0
		.amdhsa_float_round_mode_32 0
		.amdhsa_float_round_mode_16_64 0
		.amdhsa_float_denorm_mode_32 3
		.amdhsa_float_denorm_mode_16_64 3
		.amdhsa_fp16_overflow 0
		.amdhsa_workgroup_processor_mode 1
		.amdhsa_memory_ordered 1
		.amdhsa_forward_progress 1
		.amdhsa_inst_pref_size 1
		.amdhsa_round_robin_scheduling 0
		.amdhsa_exception_fp_ieee_invalid_op 0
		.amdhsa_exception_fp_denorm_src 0
		.amdhsa_exception_fp_ieee_div_zero 0
		.amdhsa_exception_fp_ieee_overflow 0
		.amdhsa_exception_fp_ieee_underflow 0
		.amdhsa_exception_fp_ieee_inexact 0
		.amdhsa_exception_int_div_zero 0
	.end_amdhsa_kernel
	.section	.text._ZN7rocprim17ROCPRIM_400000_NS6detail17trampoline_kernelINS0_14default_configENS1_25partition_config_selectorILNS1_17partition_subalgoE5ExNS0_10empty_typeEbEEZZNS1_14partition_implILS5_5ELb0ES3_mN6thrust23THRUST_200600_302600_NS6detail15normal_iteratorINSA_10device_ptrIxEEEEPS6_NSA_18transform_iteratorINSB_9not_fun_tI7is_trueIxEEESF_NSA_11use_defaultESM_EENS0_5tupleIJSF_S6_EEENSO_IJSG_SG_EEES6_PlJS6_EEE10hipError_tPvRmT3_T4_T5_T6_T7_T9_mT8_P12ihipStream_tbDpT10_ENKUlT_T0_E_clISt17integral_constantIbLb1EES1A_IbLb0EEEEDaS16_S17_EUlS16_E_NS1_11comp_targetILNS1_3genE10ELNS1_11target_archE1200ELNS1_3gpuE4ELNS1_3repE0EEENS1_30default_config_static_selectorELNS0_4arch9wavefront6targetE0EEEvT1_,"axG",@progbits,_ZN7rocprim17ROCPRIM_400000_NS6detail17trampoline_kernelINS0_14default_configENS1_25partition_config_selectorILNS1_17partition_subalgoE5ExNS0_10empty_typeEbEEZZNS1_14partition_implILS5_5ELb0ES3_mN6thrust23THRUST_200600_302600_NS6detail15normal_iteratorINSA_10device_ptrIxEEEEPS6_NSA_18transform_iteratorINSB_9not_fun_tI7is_trueIxEEESF_NSA_11use_defaultESM_EENS0_5tupleIJSF_S6_EEENSO_IJSG_SG_EEES6_PlJS6_EEE10hipError_tPvRmT3_T4_T5_T6_T7_T9_mT8_P12ihipStream_tbDpT10_ENKUlT_T0_E_clISt17integral_constantIbLb1EES1A_IbLb0EEEEDaS16_S17_EUlS16_E_NS1_11comp_targetILNS1_3genE10ELNS1_11target_archE1200ELNS1_3gpuE4ELNS1_3repE0EEENS1_30default_config_static_selectorELNS0_4arch9wavefront6targetE0EEEvT1_,comdat
.Lfunc_end1488:
	.size	_ZN7rocprim17ROCPRIM_400000_NS6detail17trampoline_kernelINS0_14default_configENS1_25partition_config_selectorILNS1_17partition_subalgoE5ExNS0_10empty_typeEbEEZZNS1_14partition_implILS5_5ELb0ES3_mN6thrust23THRUST_200600_302600_NS6detail15normal_iteratorINSA_10device_ptrIxEEEEPS6_NSA_18transform_iteratorINSB_9not_fun_tI7is_trueIxEEESF_NSA_11use_defaultESM_EENS0_5tupleIJSF_S6_EEENSO_IJSG_SG_EEES6_PlJS6_EEE10hipError_tPvRmT3_T4_T5_T6_T7_T9_mT8_P12ihipStream_tbDpT10_ENKUlT_T0_E_clISt17integral_constantIbLb1EES1A_IbLb0EEEEDaS16_S17_EUlS16_E_NS1_11comp_targetILNS1_3genE10ELNS1_11target_archE1200ELNS1_3gpuE4ELNS1_3repE0EEENS1_30default_config_static_selectorELNS0_4arch9wavefront6targetE0EEEvT1_, .Lfunc_end1488-_ZN7rocprim17ROCPRIM_400000_NS6detail17trampoline_kernelINS0_14default_configENS1_25partition_config_selectorILNS1_17partition_subalgoE5ExNS0_10empty_typeEbEEZZNS1_14partition_implILS5_5ELb0ES3_mN6thrust23THRUST_200600_302600_NS6detail15normal_iteratorINSA_10device_ptrIxEEEEPS6_NSA_18transform_iteratorINSB_9not_fun_tI7is_trueIxEEESF_NSA_11use_defaultESM_EENS0_5tupleIJSF_S6_EEENSO_IJSG_SG_EEES6_PlJS6_EEE10hipError_tPvRmT3_T4_T5_T6_T7_T9_mT8_P12ihipStream_tbDpT10_ENKUlT_T0_E_clISt17integral_constantIbLb1EES1A_IbLb0EEEEDaS16_S17_EUlS16_E_NS1_11comp_targetILNS1_3genE10ELNS1_11target_archE1200ELNS1_3gpuE4ELNS1_3repE0EEENS1_30default_config_static_selectorELNS0_4arch9wavefront6targetE0EEEvT1_
                                        ; -- End function
	.set _ZN7rocprim17ROCPRIM_400000_NS6detail17trampoline_kernelINS0_14default_configENS1_25partition_config_selectorILNS1_17partition_subalgoE5ExNS0_10empty_typeEbEEZZNS1_14partition_implILS5_5ELb0ES3_mN6thrust23THRUST_200600_302600_NS6detail15normal_iteratorINSA_10device_ptrIxEEEEPS6_NSA_18transform_iteratorINSB_9not_fun_tI7is_trueIxEEESF_NSA_11use_defaultESM_EENS0_5tupleIJSF_S6_EEENSO_IJSG_SG_EEES6_PlJS6_EEE10hipError_tPvRmT3_T4_T5_T6_T7_T9_mT8_P12ihipStream_tbDpT10_ENKUlT_T0_E_clISt17integral_constantIbLb1EES1A_IbLb0EEEEDaS16_S17_EUlS16_E_NS1_11comp_targetILNS1_3genE10ELNS1_11target_archE1200ELNS1_3gpuE4ELNS1_3repE0EEENS1_30default_config_static_selectorELNS0_4arch9wavefront6targetE0EEEvT1_.num_vgpr, 0
	.set _ZN7rocprim17ROCPRIM_400000_NS6detail17trampoline_kernelINS0_14default_configENS1_25partition_config_selectorILNS1_17partition_subalgoE5ExNS0_10empty_typeEbEEZZNS1_14partition_implILS5_5ELb0ES3_mN6thrust23THRUST_200600_302600_NS6detail15normal_iteratorINSA_10device_ptrIxEEEEPS6_NSA_18transform_iteratorINSB_9not_fun_tI7is_trueIxEEESF_NSA_11use_defaultESM_EENS0_5tupleIJSF_S6_EEENSO_IJSG_SG_EEES6_PlJS6_EEE10hipError_tPvRmT3_T4_T5_T6_T7_T9_mT8_P12ihipStream_tbDpT10_ENKUlT_T0_E_clISt17integral_constantIbLb1EES1A_IbLb0EEEEDaS16_S17_EUlS16_E_NS1_11comp_targetILNS1_3genE10ELNS1_11target_archE1200ELNS1_3gpuE4ELNS1_3repE0EEENS1_30default_config_static_selectorELNS0_4arch9wavefront6targetE0EEEvT1_.num_agpr, 0
	.set _ZN7rocprim17ROCPRIM_400000_NS6detail17trampoline_kernelINS0_14default_configENS1_25partition_config_selectorILNS1_17partition_subalgoE5ExNS0_10empty_typeEbEEZZNS1_14partition_implILS5_5ELb0ES3_mN6thrust23THRUST_200600_302600_NS6detail15normal_iteratorINSA_10device_ptrIxEEEEPS6_NSA_18transform_iteratorINSB_9not_fun_tI7is_trueIxEEESF_NSA_11use_defaultESM_EENS0_5tupleIJSF_S6_EEENSO_IJSG_SG_EEES6_PlJS6_EEE10hipError_tPvRmT3_T4_T5_T6_T7_T9_mT8_P12ihipStream_tbDpT10_ENKUlT_T0_E_clISt17integral_constantIbLb1EES1A_IbLb0EEEEDaS16_S17_EUlS16_E_NS1_11comp_targetILNS1_3genE10ELNS1_11target_archE1200ELNS1_3gpuE4ELNS1_3repE0EEENS1_30default_config_static_selectorELNS0_4arch9wavefront6targetE0EEEvT1_.numbered_sgpr, 0
	.set _ZN7rocprim17ROCPRIM_400000_NS6detail17trampoline_kernelINS0_14default_configENS1_25partition_config_selectorILNS1_17partition_subalgoE5ExNS0_10empty_typeEbEEZZNS1_14partition_implILS5_5ELb0ES3_mN6thrust23THRUST_200600_302600_NS6detail15normal_iteratorINSA_10device_ptrIxEEEEPS6_NSA_18transform_iteratorINSB_9not_fun_tI7is_trueIxEEESF_NSA_11use_defaultESM_EENS0_5tupleIJSF_S6_EEENSO_IJSG_SG_EEES6_PlJS6_EEE10hipError_tPvRmT3_T4_T5_T6_T7_T9_mT8_P12ihipStream_tbDpT10_ENKUlT_T0_E_clISt17integral_constantIbLb1EES1A_IbLb0EEEEDaS16_S17_EUlS16_E_NS1_11comp_targetILNS1_3genE10ELNS1_11target_archE1200ELNS1_3gpuE4ELNS1_3repE0EEENS1_30default_config_static_selectorELNS0_4arch9wavefront6targetE0EEEvT1_.num_named_barrier, 0
	.set _ZN7rocprim17ROCPRIM_400000_NS6detail17trampoline_kernelINS0_14default_configENS1_25partition_config_selectorILNS1_17partition_subalgoE5ExNS0_10empty_typeEbEEZZNS1_14partition_implILS5_5ELb0ES3_mN6thrust23THRUST_200600_302600_NS6detail15normal_iteratorINSA_10device_ptrIxEEEEPS6_NSA_18transform_iteratorINSB_9not_fun_tI7is_trueIxEEESF_NSA_11use_defaultESM_EENS0_5tupleIJSF_S6_EEENSO_IJSG_SG_EEES6_PlJS6_EEE10hipError_tPvRmT3_T4_T5_T6_T7_T9_mT8_P12ihipStream_tbDpT10_ENKUlT_T0_E_clISt17integral_constantIbLb1EES1A_IbLb0EEEEDaS16_S17_EUlS16_E_NS1_11comp_targetILNS1_3genE10ELNS1_11target_archE1200ELNS1_3gpuE4ELNS1_3repE0EEENS1_30default_config_static_selectorELNS0_4arch9wavefront6targetE0EEEvT1_.private_seg_size, 0
	.set _ZN7rocprim17ROCPRIM_400000_NS6detail17trampoline_kernelINS0_14default_configENS1_25partition_config_selectorILNS1_17partition_subalgoE5ExNS0_10empty_typeEbEEZZNS1_14partition_implILS5_5ELb0ES3_mN6thrust23THRUST_200600_302600_NS6detail15normal_iteratorINSA_10device_ptrIxEEEEPS6_NSA_18transform_iteratorINSB_9not_fun_tI7is_trueIxEEESF_NSA_11use_defaultESM_EENS0_5tupleIJSF_S6_EEENSO_IJSG_SG_EEES6_PlJS6_EEE10hipError_tPvRmT3_T4_T5_T6_T7_T9_mT8_P12ihipStream_tbDpT10_ENKUlT_T0_E_clISt17integral_constantIbLb1EES1A_IbLb0EEEEDaS16_S17_EUlS16_E_NS1_11comp_targetILNS1_3genE10ELNS1_11target_archE1200ELNS1_3gpuE4ELNS1_3repE0EEENS1_30default_config_static_selectorELNS0_4arch9wavefront6targetE0EEEvT1_.uses_vcc, 0
	.set _ZN7rocprim17ROCPRIM_400000_NS6detail17trampoline_kernelINS0_14default_configENS1_25partition_config_selectorILNS1_17partition_subalgoE5ExNS0_10empty_typeEbEEZZNS1_14partition_implILS5_5ELb0ES3_mN6thrust23THRUST_200600_302600_NS6detail15normal_iteratorINSA_10device_ptrIxEEEEPS6_NSA_18transform_iteratorINSB_9not_fun_tI7is_trueIxEEESF_NSA_11use_defaultESM_EENS0_5tupleIJSF_S6_EEENSO_IJSG_SG_EEES6_PlJS6_EEE10hipError_tPvRmT3_T4_T5_T6_T7_T9_mT8_P12ihipStream_tbDpT10_ENKUlT_T0_E_clISt17integral_constantIbLb1EES1A_IbLb0EEEEDaS16_S17_EUlS16_E_NS1_11comp_targetILNS1_3genE10ELNS1_11target_archE1200ELNS1_3gpuE4ELNS1_3repE0EEENS1_30default_config_static_selectorELNS0_4arch9wavefront6targetE0EEEvT1_.uses_flat_scratch, 0
	.set _ZN7rocprim17ROCPRIM_400000_NS6detail17trampoline_kernelINS0_14default_configENS1_25partition_config_selectorILNS1_17partition_subalgoE5ExNS0_10empty_typeEbEEZZNS1_14partition_implILS5_5ELb0ES3_mN6thrust23THRUST_200600_302600_NS6detail15normal_iteratorINSA_10device_ptrIxEEEEPS6_NSA_18transform_iteratorINSB_9not_fun_tI7is_trueIxEEESF_NSA_11use_defaultESM_EENS0_5tupleIJSF_S6_EEENSO_IJSG_SG_EEES6_PlJS6_EEE10hipError_tPvRmT3_T4_T5_T6_T7_T9_mT8_P12ihipStream_tbDpT10_ENKUlT_T0_E_clISt17integral_constantIbLb1EES1A_IbLb0EEEEDaS16_S17_EUlS16_E_NS1_11comp_targetILNS1_3genE10ELNS1_11target_archE1200ELNS1_3gpuE4ELNS1_3repE0EEENS1_30default_config_static_selectorELNS0_4arch9wavefront6targetE0EEEvT1_.has_dyn_sized_stack, 0
	.set _ZN7rocprim17ROCPRIM_400000_NS6detail17trampoline_kernelINS0_14default_configENS1_25partition_config_selectorILNS1_17partition_subalgoE5ExNS0_10empty_typeEbEEZZNS1_14partition_implILS5_5ELb0ES3_mN6thrust23THRUST_200600_302600_NS6detail15normal_iteratorINSA_10device_ptrIxEEEEPS6_NSA_18transform_iteratorINSB_9not_fun_tI7is_trueIxEEESF_NSA_11use_defaultESM_EENS0_5tupleIJSF_S6_EEENSO_IJSG_SG_EEES6_PlJS6_EEE10hipError_tPvRmT3_T4_T5_T6_T7_T9_mT8_P12ihipStream_tbDpT10_ENKUlT_T0_E_clISt17integral_constantIbLb1EES1A_IbLb0EEEEDaS16_S17_EUlS16_E_NS1_11comp_targetILNS1_3genE10ELNS1_11target_archE1200ELNS1_3gpuE4ELNS1_3repE0EEENS1_30default_config_static_selectorELNS0_4arch9wavefront6targetE0EEEvT1_.has_recursion, 0
	.set _ZN7rocprim17ROCPRIM_400000_NS6detail17trampoline_kernelINS0_14default_configENS1_25partition_config_selectorILNS1_17partition_subalgoE5ExNS0_10empty_typeEbEEZZNS1_14partition_implILS5_5ELb0ES3_mN6thrust23THRUST_200600_302600_NS6detail15normal_iteratorINSA_10device_ptrIxEEEEPS6_NSA_18transform_iteratorINSB_9not_fun_tI7is_trueIxEEESF_NSA_11use_defaultESM_EENS0_5tupleIJSF_S6_EEENSO_IJSG_SG_EEES6_PlJS6_EEE10hipError_tPvRmT3_T4_T5_T6_T7_T9_mT8_P12ihipStream_tbDpT10_ENKUlT_T0_E_clISt17integral_constantIbLb1EES1A_IbLb0EEEEDaS16_S17_EUlS16_E_NS1_11comp_targetILNS1_3genE10ELNS1_11target_archE1200ELNS1_3gpuE4ELNS1_3repE0EEENS1_30default_config_static_selectorELNS0_4arch9wavefront6targetE0EEEvT1_.has_indirect_call, 0
	.section	.AMDGPU.csdata,"",@progbits
; Kernel info:
; codeLenInByte = 4
; TotalNumSgprs: 0
; NumVgprs: 0
; ScratchSize: 0
; MemoryBound: 0
; FloatMode: 240
; IeeeMode: 1
; LDSByteSize: 0 bytes/workgroup (compile time only)
; SGPRBlocks: 0
; VGPRBlocks: 0
; NumSGPRsForWavesPerEU: 1
; NumVGPRsForWavesPerEU: 1
; Occupancy: 16
; WaveLimiterHint : 0
; COMPUTE_PGM_RSRC2:SCRATCH_EN: 0
; COMPUTE_PGM_RSRC2:USER_SGPR: 2
; COMPUTE_PGM_RSRC2:TRAP_HANDLER: 0
; COMPUTE_PGM_RSRC2:TGID_X_EN: 1
; COMPUTE_PGM_RSRC2:TGID_Y_EN: 0
; COMPUTE_PGM_RSRC2:TGID_Z_EN: 0
; COMPUTE_PGM_RSRC2:TIDIG_COMP_CNT: 0
	.section	.text._ZN7rocprim17ROCPRIM_400000_NS6detail17trampoline_kernelINS0_14default_configENS1_25partition_config_selectorILNS1_17partition_subalgoE5ExNS0_10empty_typeEbEEZZNS1_14partition_implILS5_5ELb0ES3_mN6thrust23THRUST_200600_302600_NS6detail15normal_iteratorINSA_10device_ptrIxEEEEPS6_NSA_18transform_iteratorINSB_9not_fun_tI7is_trueIxEEESF_NSA_11use_defaultESM_EENS0_5tupleIJSF_S6_EEENSO_IJSG_SG_EEES6_PlJS6_EEE10hipError_tPvRmT3_T4_T5_T6_T7_T9_mT8_P12ihipStream_tbDpT10_ENKUlT_T0_E_clISt17integral_constantIbLb1EES1A_IbLb0EEEEDaS16_S17_EUlS16_E_NS1_11comp_targetILNS1_3genE9ELNS1_11target_archE1100ELNS1_3gpuE3ELNS1_3repE0EEENS1_30default_config_static_selectorELNS0_4arch9wavefront6targetE0EEEvT1_,"axG",@progbits,_ZN7rocprim17ROCPRIM_400000_NS6detail17trampoline_kernelINS0_14default_configENS1_25partition_config_selectorILNS1_17partition_subalgoE5ExNS0_10empty_typeEbEEZZNS1_14partition_implILS5_5ELb0ES3_mN6thrust23THRUST_200600_302600_NS6detail15normal_iteratorINSA_10device_ptrIxEEEEPS6_NSA_18transform_iteratorINSB_9not_fun_tI7is_trueIxEEESF_NSA_11use_defaultESM_EENS0_5tupleIJSF_S6_EEENSO_IJSG_SG_EEES6_PlJS6_EEE10hipError_tPvRmT3_T4_T5_T6_T7_T9_mT8_P12ihipStream_tbDpT10_ENKUlT_T0_E_clISt17integral_constantIbLb1EES1A_IbLb0EEEEDaS16_S17_EUlS16_E_NS1_11comp_targetILNS1_3genE9ELNS1_11target_archE1100ELNS1_3gpuE3ELNS1_3repE0EEENS1_30default_config_static_selectorELNS0_4arch9wavefront6targetE0EEEvT1_,comdat
	.protected	_ZN7rocprim17ROCPRIM_400000_NS6detail17trampoline_kernelINS0_14default_configENS1_25partition_config_selectorILNS1_17partition_subalgoE5ExNS0_10empty_typeEbEEZZNS1_14partition_implILS5_5ELb0ES3_mN6thrust23THRUST_200600_302600_NS6detail15normal_iteratorINSA_10device_ptrIxEEEEPS6_NSA_18transform_iteratorINSB_9not_fun_tI7is_trueIxEEESF_NSA_11use_defaultESM_EENS0_5tupleIJSF_S6_EEENSO_IJSG_SG_EEES6_PlJS6_EEE10hipError_tPvRmT3_T4_T5_T6_T7_T9_mT8_P12ihipStream_tbDpT10_ENKUlT_T0_E_clISt17integral_constantIbLb1EES1A_IbLb0EEEEDaS16_S17_EUlS16_E_NS1_11comp_targetILNS1_3genE9ELNS1_11target_archE1100ELNS1_3gpuE3ELNS1_3repE0EEENS1_30default_config_static_selectorELNS0_4arch9wavefront6targetE0EEEvT1_ ; -- Begin function _ZN7rocprim17ROCPRIM_400000_NS6detail17trampoline_kernelINS0_14default_configENS1_25partition_config_selectorILNS1_17partition_subalgoE5ExNS0_10empty_typeEbEEZZNS1_14partition_implILS5_5ELb0ES3_mN6thrust23THRUST_200600_302600_NS6detail15normal_iteratorINSA_10device_ptrIxEEEEPS6_NSA_18transform_iteratorINSB_9not_fun_tI7is_trueIxEEESF_NSA_11use_defaultESM_EENS0_5tupleIJSF_S6_EEENSO_IJSG_SG_EEES6_PlJS6_EEE10hipError_tPvRmT3_T4_T5_T6_T7_T9_mT8_P12ihipStream_tbDpT10_ENKUlT_T0_E_clISt17integral_constantIbLb1EES1A_IbLb0EEEEDaS16_S17_EUlS16_E_NS1_11comp_targetILNS1_3genE9ELNS1_11target_archE1100ELNS1_3gpuE3ELNS1_3repE0EEENS1_30default_config_static_selectorELNS0_4arch9wavefront6targetE0EEEvT1_
	.globl	_ZN7rocprim17ROCPRIM_400000_NS6detail17trampoline_kernelINS0_14default_configENS1_25partition_config_selectorILNS1_17partition_subalgoE5ExNS0_10empty_typeEbEEZZNS1_14partition_implILS5_5ELb0ES3_mN6thrust23THRUST_200600_302600_NS6detail15normal_iteratorINSA_10device_ptrIxEEEEPS6_NSA_18transform_iteratorINSB_9not_fun_tI7is_trueIxEEESF_NSA_11use_defaultESM_EENS0_5tupleIJSF_S6_EEENSO_IJSG_SG_EEES6_PlJS6_EEE10hipError_tPvRmT3_T4_T5_T6_T7_T9_mT8_P12ihipStream_tbDpT10_ENKUlT_T0_E_clISt17integral_constantIbLb1EES1A_IbLb0EEEEDaS16_S17_EUlS16_E_NS1_11comp_targetILNS1_3genE9ELNS1_11target_archE1100ELNS1_3gpuE3ELNS1_3repE0EEENS1_30default_config_static_selectorELNS0_4arch9wavefront6targetE0EEEvT1_
	.p2align	8
	.type	_ZN7rocprim17ROCPRIM_400000_NS6detail17trampoline_kernelINS0_14default_configENS1_25partition_config_selectorILNS1_17partition_subalgoE5ExNS0_10empty_typeEbEEZZNS1_14partition_implILS5_5ELb0ES3_mN6thrust23THRUST_200600_302600_NS6detail15normal_iteratorINSA_10device_ptrIxEEEEPS6_NSA_18transform_iteratorINSB_9not_fun_tI7is_trueIxEEESF_NSA_11use_defaultESM_EENS0_5tupleIJSF_S6_EEENSO_IJSG_SG_EEES6_PlJS6_EEE10hipError_tPvRmT3_T4_T5_T6_T7_T9_mT8_P12ihipStream_tbDpT10_ENKUlT_T0_E_clISt17integral_constantIbLb1EES1A_IbLb0EEEEDaS16_S17_EUlS16_E_NS1_11comp_targetILNS1_3genE9ELNS1_11target_archE1100ELNS1_3gpuE3ELNS1_3repE0EEENS1_30default_config_static_selectorELNS0_4arch9wavefront6targetE0EEEvT1_,@function
_ZN7rocprim17ROCPRIM_400000_NS6detail17trampoline_kernelINS0_14default_configENS1_25partition_config_selectorILNS1_17partition_subalgoE5ExNS0_10empty_typeEbEEZZNS1_14partition_implILS5_5ELb0ES3_mN6thrust23THRUST_200600_302600_NS6detail15normal_iteratorINSA_10device_ptrIxEEEEPS6_NSA_18transform_iteratorINSB_9not_fun_tI7is_trueIxEEESF_NSA_11use_defaultESM_EENS0_5tupleIJSF_S6_EEENSO_IJSG_SG_EEES6_PlJS6_EEE10hipError_tPvRmT3_T4_T5_T6_T7_T9_mT8_P12ihipStream_tbDpT10_ENKUlT_T0_E_clISt17integral_constantIbLb1EES1A_IbLb0EEEEDaS16_S17_EUlS16_E_NS1_11comp_targetILNS1_3genE9ELNS1_11target_archE1100ELNS1_3gpuE3ELNS1_3repE0EEENS1_30default_config_static_selectorELNS0_4arch9wavefront6targetE0EEEvT1_: ; @_ZN7rocprim17ROCPRIM_400000_NS6detail17trampoline_kernelINS0_14default_configENS1_25partition_config_selectorILNS1_17partition_subalgoE5ExNS0_10empty_typeEbEEZZNS1_14partition_implILS5_5ELb0ES3_mN6thrust23THRUST_200600_302600_NS6detail15normal_iteratorINSA_10device_ptrIxEEEEPS6_NSA_18transform_iteratorINSB_9not_fun_tI7is_trueIxEEESF_NSA_11use_defaultESM_EENS0_5tupleIJSF_S6_EEENSO_IJSG_SG_EEES6_PlJS6_EEE10hipError_tPvRmT3_T4_T5_T6_T7_T9_mT8_P12ihipStream_tbDpT10_ENKUlT_T0_E_clISt17integral_constantIbLb1EES1A_IbLb0EEEEDaS16_S17_EUlS16_E_NS1_11comp_targetILNS1_3genE9ELNS1_11target_archE1100ELNS1_3gpuE3ELNS1_3repE0EEENS1_30default_config_static_selectorELNS0_4arch9wavefront6targetE0EEEvT1_
; %bb.0:
	.section	.rodata,"a",@progbits
	.p2align	6, 0x0
	.amdhsa_kernel _ZN7rocprim17ROCPRIM_400000_NS6detail17trampoline_kernelINS0_14default_configENS1_25partition_config_selectorILNS1_17partition_subalgoE5ExNS0_10empty_typeEbEEZZNS1_14partition_implILS5_5ELb0ES3_mN6thrust23THRUST_200600_302600_NS6detail15normal_iteratorINSA_10device_ptrIxEEEEPS6_NSA_18transform_iteratorINSB_9not_fun_tI7is_trueIxEEESF_NSA_11use_defaultESM_EENS0_5tupleIJSF_S6_EEENSO_IJSG_SG_EEES6_PlJS6_EEE10hipError_tPvRmT3_T4_T5_T6_T7_T9_mT8_P12ihipStream_tbDpT10_ENKUlT_T0_E_clISt17integral_constantIbLb1EES1A_IbLb0EEEEDaS16_S17_EUlS16_E_NS1_11comp_targetILNS1_3genE9ELNS1_11target_archE1100ELNS1_3gpuE3ELNS1_3repE0EEENS1_30default_config_static_selectorELNS0_4arch9wavefront6targetE0EEEvT1_
		.amdhsa_group_segment_fixed_size 0
		.amdhsa_private_segment_fixed_size 0
		.amdhsa_kernarg_size 120
		.amdhsa_user_sgpr_count 2
		.amdhsa_user_sgpr_dispatch_ptr 0
		.amdhsa_user_sgpr_queue_ptr 0
		.amdhsa_user_sgpr_kernarg_segment_ptr 1
		.amdhsa_user_sgpr_dispatch_id 0
		.amdhsa_user_sgpr_private_segment_size 0
		.amdhsa_wavefront_size32 1
		.amdhsa_uses_dynamic_stack 0
		.amdhsa_enable_private_segment 0
		.amdhsa_system_sgpr_workgroup_id_x 1
		.amdhsa_system_sgpr_workgroup_id_y 0
		.amdhsa_system_sgpr_workgroup_id_z 0
		.amdhsa_system_sgpr_workgroup_info 0
		.amdhsa_system_vgpr_workitem_id 0
		.amdhsa_next_free_vgpr 1
		.amdhsa_next_free_sgpr 1
		.amdhsa_reserve_vcc 0
		.amdhsa_float_round_mode_32 0
		.amdhsa_float_round_mode_16_64 0
		.amdhsa_float_denorm_mode_32 3
		.amdhsa_float_denorm_mode_16_64 3
		.amdhsa_fp16_overflow 0
		.amdhsa_workgroup_processor_mode 1
		.amdhsa_memory_ordered 1
		.amdhsa_forward_progress 1
		.amdhsa_inst_pref_size 0
		.amdhsa_round_robin_scheduling 0
		.amdhsa_exception_fp_ieee_invalid_op 0
		.amdhsa_exception_fp_denorm_src 0
		.amdhsa_exception_fp_ieee_div_zero 0
		.amdhsa_exception_fp_ieee_overflow 0
		.amdhsa_exception_fp_ieee_underflow 0
		.amdhsa_exception_fp_ieee_inexact 0
		.amdhsa_exception_int_div_zero 0
	.end_amdhsa_kernel
	.section	.text._ZN7rocprim17ROCPRIM_400000_NS6detail17trampoline_kernelINS0_14default_configENS1_25partition_config_selectorILNS1_17partition_subalgoE5ExNS0_10empty_typeEbEEZZNS1_14partition_implILS5_5ELb0ES3_mN6thrust23THRUST_200600_302600_NS6detail15normal_iteratorINSA_10device_ptrIxEEEEPS6_NSA_18transform_iteratorINSB_9not_fun_tI7is_trueIxEEESF_NSA_11use_defaultESM_EENS0_5tupleIJSF_S6_EEENSO_IJSG_SG_EEES6_PlJS6_EEE10hipError_tPvRmT3_T4_T5_T6_T7_T9_mT8_P12ihipStream_tbDpT10_ENKUlT_T0_E_clISt17integral_constantIbLb1EES1A_IbLb0EEEEDaS16_S17_EUlS16_E_NS1_11comp_targetILNS1_3genE9ELNS1_11target_archE1100ELNS1_3gpuE3ELNS1_3repE0EEENS1_30default_config_static_selectorELNS0_4arch9wavefront6targetE0EEEvT1_,"axG",@progbits,_ZN7rocprim17ROCPRIM_400000_NS6detail17trampoline_kernelINS0_14default_configENS1_25partition_config_selectorILNS1_17partition_subalgoE5ExNS0_10empty_typeEbEEZZNS1_14partition_implILS5_5ELb0ES3_mN6thrust23THRUST_200600_302600_NS6detail15normal_iteratorINSA_10device_ptrIxEEEEPS6_NSA_18transform_iteratorINSB_9not_fun_tI7is_trueIxEEESF_NSA_11use_defaultESM_EENS0_5tupleIJSF_S6_EEENSO_IJSG_SG_EEES6_PlJS6_EEE10hipError_tPvRmT3_T4_T5_T6_T7_T9_mT8_P12ihipStream_tbDpT10_ENKUlT_T0_E_clISt17integral_constantIbLb1EES1A_IbLb0EEEEDaS16_S17_EUlS16_E_NS1_11comp_targetILNS1_3genE9ELNS1_11target_archE1100ELNS1_3gpuE3ELNS1_3repE0EEENS1_30default_config_static_selectorELNS0_4arch9wavefront6targetE0EEEvT1_,comdat
.Lfunc_end1489:
	.size	_ZN7rocprim17ROCPRIM_400000_NS6detail17trampoline_kernelINS0_14default_configENS1_25partition_config_selectorILNS1_17partition_subalgoE5ExNS0_10empty_typeEbEEZZNS1_14partition_implILS5_5ELb0ES3_mN6thrust23THRUST_200600_302600_NS6detail15normal_iteratorINSA_10device_ptrIxEEEEPS6_NSA_18transform_iteratorINSB_9not_fun_tI7is_trueIxEEESF_NSA_11use_defaultESM_EENS0_5tupleIJSF_S6_EEENSO_IJSG_SG_EEES6_PlJS6_EEE10hipError_tPvRmT3_T4_T5_T6_T7_T9_mT8_P12ihipStream_tbDpT10_ENKUlT_T0_E_clISt17integral_constantIbLb1EES1A_IbLb0EEEEDaS16_S17_EUlS16_E_NS1_11comp_targetILNS1_3genE9ELNS1_11target_archE1100ELNS1_3gpuE3ELNS1_3repE0EEENS1_30default_config_static_selectorELNS0_4arch9wavefront6targetE0EEEvT1_, .Lfunc_end1489-_ZN7rocprim17ROCPRIM_400000_NS6detail17trampoline_kernelINS0_14default_configENS1_25partition_config_selectorILNS1_17partition_subalgoE5ExNS0_10empty_typeEbEEZZNS1_14partition_implILS5_5ELb0ES3_mN6thrust23THRUST_200600_302600_NS6detail15normal_iteratorINSA_10device_ptrIxEEEEPS6_NSA_18transform_iteratorINSB_9not_fun_tI7is_trueIxEEESF_NSA_11use_defaultESM_EENS0_5tupleIJSF_S6_EEENSO_IJSG_SG_EEES6_PlJS6_EEE10hipError_tPvRmT3_T4_T5_T6_T7_T9_mT8_P12ihipStream_tbDpT10_ENKUlT_T0_E_clISt17integral_constantIbLb1EES1A_IbLb0EEEEDaS16_S17_EUlS16_E_NS1_11comp_targetILNS1_3genE9ELNS1_11target_archE1100ELNS1_3gpuE3ELNS1_3repE0EEENS1_30default_config_static_selectorELNS0_4arch9wavefront6targetE0EEEvT1_
                                        ; -- End function
	.set _ZN7rocprim17ROCPRIM_400000_NS6detail17trampoline_kernelINS0_14default_configENS1_25partition_config_selectorILNS1_17partition_subalgoE5ExNS0_10empty_typeEbEEZZNS1_14partition_implILS5_5ELb0ES3_mN6thrust23THRUST_200600_302600_NS6detail15normal_iteratorINSA_10device_ptrIxEEEEPS6_NSA_18transform_iteratorINSB_9not_fun_tI7is_trueIxEEESF_NSA_11use_defaultESM_EENS0_5tupleIJSF_S6_EEENSO_IJSG_SG_EEES6_PlJS6_EEE10hipError_tPvRmT3_T4_T5_T6_T7_T9_mT8_P12ihipStream_tbDpT10_ENKUlT_T0_E_clISt17integral_constantIbLb1EES1A_IbLb0EEEEDaS16_S17_EUlS16_E_NS1_11comp_targetILNS1_3genE9ELNS1_11target_archE1100ELNS1_3gpuE3ELNS1_3repE0EEENS1_30default_config_static_selectorELNS0_4arch9wavefront6targetE0EEEvT1_.num_vgpr, 0
	.set _ZN7rocprim17ROCPRIM_400000_NS6detail17trampoline_kernelINS0_14default_configENS1_25partition_config_selectorILNS1_17partition_subalgoE5ExNS0_10empty_typeEbEEZZNS1_14partition_implILS5_5ELb0ES3_mN6thrust23THRUST_200600_302600_NS6detail15normal_iteratorINSA_10device_ptrIxEEEEPS6_NSA_18transform_iteratorINSB_9not_fun_tI7is_trueIxEEESF_NSA_11use_defaultESM_EENS0_5tupleIJSF_S6_EEENSO_IJSG_SG_EEES6_PlJS6_EEE10hipError_tPvRmT3_T4_T5_T6_T7_T9_mT8_P12ihipStream_tbDpT10_ENKUlT_T0_E_clISt17integral_constantIbLb1EES1A_IbLb0EEEEDaS16_S17_EUlS16_E_NS1_11comp_targetILNS1_3genE9ELNS1_11target_archE1100ELNS1_3gpuE3ELNS1_3repE0EEENS1_30default_config_static_selectorELNS0_4arch9wavefront6targetE0EEEvT1_.num_agpr, 0
	.set _ZN7rocprim17ROCPRIM_400000_NS6detail17trampoline_kernelINS0_14default_configENS1_25partition_config_selectorILNS1_17partition_subalgoE5ExNS0_10empty_typeEbEEZZNS1_14partition_implILS5_5ELb0ES3_mN6thrust23THRUST_200600_302600_NS6detail15normal_iteratorINSA_10device_ptrIxEEEEPS6_NSA_18transform_iteratorINSB_9not_fun_tI7is_trueIxEEESF_NSA_11use_defaultESM_EENS0_5tupleIJSF_S6_EEENSO_IJSG_SG_EEES6_PlJS6_EEE10hipError_tPvRmT3_T4_T5_T6_T7_T9_mT8_P12ihipStream_tbDpT10_ENKUlT_T0_E_clISt17integral_constantIbLb1EES1A_IbLb0EEEEDaS16_S17_EUlS16_E_NS1_11comp_targetILNS1_3genE9ELNS1_11target_archE1100ELNS1_3gpuE3ELNS1_3repE0EEENS1_30default_config_static_selectorELNS0_4arch9wavefront6targetE0EEEvT1_.numbered_sgpr, 0
	.set _ZN7rocprim17ROCPRIM_400000_NS6detail17trampoline_kernelINS0_14default_configENS1_25partition_config_selectorILNS1_17partition_subalgoE5ExNS0_10empty_typeEbEEZZNS1_14partition_implILS5_5ELb0ES3_mN6thrust23THRUST_200600_302600_NS6detail15normal_iteratorINSA_10device_ptrIxEEEEPS6_NSA_18transform_iteratorINSB_9not_fun_tI7is_trueIxEEESF_NSA_11use_defaultESM_EENS0_5tupleIJSF_S6_EEENSO_IJSG_SG_EEES6_PlJS6_EEE10hipError_tPvRmT3_T4_T5_T6_T7_T9_mT8_P12ihipStream_tbDpT10_ENKUlT_T0_E_clISt17integral_constantIbLb1EES1A_IbLb0EEEEDaS16_S17_EUlS16_E_NS1_11comp_targetILNS1_3genE9ELNS1_11target_archE1100ELNS1_3gpuE3ELNS1_3repE0EEENS1_30default_config_static_selectorELNS0_4arch9wavefront6targetE0EEEvT1_.num_named_barrier, 0
	.set _ZN7rocprim17ROCPRIM_400000_NS6detail17trampoline_kernelINS0_14default_configENS1_25partition_config_selectorILNS1_17partition_subalgoE5ExNS0_10empty_typeEbEEZZNS1_14partition_implILS5_5ELb0ES3_mN6thrust23THRUST_200600_302600_NS6detail15normal_iteratorINSA_10device_ptrIxEEEEPS6_NSA_18transform_iteratorINSB_9not_fun_tI7is_trueIxEEESF_NSA_11use_defaultESM_EENS0_5tupleIJSF_S6_EEENSO_IJSG_SG_EEES6_PlJS6_EEE10hipError_tPvRmT3_T4_T5_T6_T7_T9_mT8_P12ihipStream_tbDpT10_ENKUlT_T0_E_clISt17integral_constantIbLb1EES1A_IbLb0EEEEDaS16_S17_EUlS16_E_NS1_11comp_targetILNS1_3genE9ELNS1_11target_archE1100ELNS1_3gpuE3ELNS1_3repE0EEENS1_30default_config_static_selectorELNS0_4arch9wavefront6targetE0EEEvT1_.private_seg_size, 0
	.set _ZN7rocprim17ROCPRIM_400000_NS6detail17trampoline_kernelINS0_14default_configENS1_25partition_config_selectorILNS1_17partition_subalgoE5ExNS0_10empty_typeEbEEZZNS1_14partition_implILS5_5ELb0ES3_mN6thrust23THRUST_200600_302600_NS6detail15normal_iteratorINSA_10device_ptrIxEEEEPS6_NSA_18transform_iteratorINSB_9not_fun_tI7is_trueIxEEESF_NSA_11use_defaultESM_EENS0_5tupleIJSF_S6_EEENSO_IJSG_SG_EEES6_PlJS6_EEE10hipError_tPvRmT3_T4_T5_T6_T7_T9_mT8_P12ihipStream_tbDpT10_ENKUlT_T0_E_clISt17integral_constantIbLb1EES1A_IbLb0EEEEDaS16_S17_EUlS16_E_NS1_11comp_targetILNS1_3genE9ELNS1_11target_archE1100ELNS1_3gpuE3ELNS1_3repE0EEENS1_30default_config_static_selectorELNS0_4arch9wavefront6targetE0EEEvT1_.uses_vcc, 0
	.set _ZN7rocprim17ROCPRIM_400000_NS6detail17trampoline_kernelINS0_14default_configENS1_25partition_config_selectorILNS1_17partition_subalgoE5ExNS0_10empty_typeEbEEZZNS1_14partition_implILS5_5ELb0ES3_mN6thrust23THRUST_200600_302600_NS6detail15normal_iteratorINSA_10device_ptrIxEEEEPS6_NSA_18transform_iteratorINSB_9not_fun_tI7is_trueIxEEESF_NSA_11use_defaultESM_EENS0_5tupleIJSF_S6_EEENSO_IJSG_SG_EEES6_PlJS6_EEE10hipError_tPvRmT3_T4_T5_T6_T7_T9_mT8_P12ihipStream_tbDpT10_ENKUlT_T0_E_clISt17integral_constantIbLb1EES1A_IbLb0EEEEDaS16_S17_EUlS16_E_NS1_11comp_targetILNS1_3genE9ELNS1_11target_archE1100ELNS1_3gpuE3ELNS1_3repE0EEENS1_30default_config_static_selectorELNS0_4arch9wavefront6targetE0EEEvT1_.uses_flat_scratch, 0
	.set _ZN7rocprim17ROCPRIM_400000_NS6detail17trampoline_kernelINS0_14default_configENS1_25partition_config_selectorILNS1_17partition_subalgoE5ExNS0_10empty_typeEbEEZZNS1_14partition_implILS5_5ELb0ES3_mN6thrust23THRUST_200600_302600_NS6detail15normal_iteratorINSA_10device_ptrIxEEEEPS6_NSA_18transform_iteratorINSB_9not_fun_tI7is_trueIxEEESF_NSA_11use_defaultESM_EENS0_5tupleIJSF_S6_EEENSO_IJSG_SG_EEES6_PlJS6_EEE10hipError_tPvRmT3_T4_T5_T6_T7_T9_mT8_P12ihipStream_tbDpT10_ENKUlT_T0_E_clISt17integral_constantIbLb1EES1A_IbLb0EEEEDaS16_S17_EUlS16_E_NS1_11comp_targetILNS1_3genE9ELNS1_11target_archE1100ELNS1_3gpuE3ELNS1_3repE0EEENS1_30default_config_static_selectorELNS0_4arch9wavefront6targetE0EEEvT1_.has_dyn_sized_stack, 0
	.set _ZN7rocprim17ROCPRIM_400000_NS6detail17trampoline_kernelINS0_14default_configENS1_25partition_config_selectorILNS1_17partition_subalgoE5ExNS0_10empty_typeEbEEZZNS1_14partition_implILS5_5ELb0ES3_mN6thrust23THRUST_200600_302600_NS6detail15normal_iteratorINSA_10device_ptrIxEEEEPS6_NSA_18transform_iteratorINSB_9not_fun_tI7is_trueIxEEESF_NSA_11use_defaultESM_EENS0_5tupleIJSF_S6_EEENSO_IJSG_SG_EEES6_PlJS6_EEE10hipError_tPvRmT3_T4_T5_T6_T7_T9_mT8_P12ihipStream_tbDpT10_ENKUlT_T0_E_clISt17integral_constantIbLb1EES1A_IbLb0EEEEDaS16_S17_EUlS16_E_NS1_11comp_targetILNS1_3genE9ELNS1_11target_archE1100ELNS1_3gpuE3ELNS1_3repE0EEENS1_30default_config_static_selectorELNS0_4arch9wavefront6targetE0EEEvT1_.has_recursion, 0
	.set _ZN7rocprim17ROCPRIM_400000_NS6detail17trampoline_kernelINS0_14default_configENS1_25partition_config_selectorILNS1_17partition_subalgoE5ExNS0_10empty_typeEbEEZZNS1_14partition_implILS5_5ELb0ES3_mN6thrust23THRUST_200600_302600_NS6detail15normal_iteratorINSA_10device_ptrIxEEEEPS6_NSA_18transform_iteratorINSB_9not_fun_tI7is_trueIxEEESF_NSA_11use_defaultESM_EENS0_5tupleIJSF_S6_EEENSO_IJSG_SG_EEES6_PlJS6_EEE10hipError_tPvRmT3_T4_T5_T6_T7_T9_mT8_P12ihipStream_tbDpT10_ENKUlT_T0_E_clISt17integral_constantIbLb1EES1A_IbLb0EEEEDaS16_S17_EUlS16_E_NS1_11comp_targetILNS1_3genE9ELNS1_11target_archE1100ELNS1_3gpuE3ELNS1_3repE0EEENS1_30default_config_static_selectorELNS0_4arch9wavefront6targetE0EEEvT1_.has_indirect_call, 0
	.section	.AMDGPU.csdata,"",@progbits
; Kernel info:
; codeLenInByte = 0
; TotalNumSgprs: 0
; NumVgprs: 0
; ScratchSize: 0
; MemoryBound: 0
; FloatMode: 240
; IeeeMode: 1
; LDSByteSize: 0 bytes/workgroup (compile time only)
; SGPRBlocks: 0
; VGPRBlocks: 0
; NumSGPRsForWavesPerEU: 1
; NumVGPRsForWavesPerEU: 1
; Occupancy: 16
; WaveLimiterHint : 0
; COMPUTE_PGM_RSRC2:SCRATCH_EN: 0
; COMPUTE_PGM_RSRC2:USER_SGPR: 2
; COMPUTE_PGM_RSRC2:TRAP_HANDLER: 0
; COMPUTE_PGM_RSRC2:TGID_X_EN: 1
; COMPUTE_PGM_RSRC2:TGID_Y_EN: 0
; COMPUTE_PGM_RSRC2:TGID_Z_EN: 0
; COMPUTE_PGM_RSRC2:TIDIG_COMP_CNT: 0
	.section	.text._ZN7rocprim17ROCPRIM_400000_NS6detail17trampoline_kernelINS0_14default_configENS1_25partition_config_selectorILNS1_17partition_subalgoE5ExNS0_10empty_typeEbEEZZNS1_14partition_implILS5_5ELb0ES3_mN6thrust23THRUST_200600_302600_NS6detail15normal_iteratorINSA_10device_ptrIxEEEEPS6_NSA_18transform_iteratorINSB_9not_fun_tI7is_trueIxEEESF_NSA_11use_defaultESM_EENS0_5tupleIJSF_S6_EEENSO_IJSG_SG_EEES6_PlJS6_EEE10hipError_tPvRmT3_T4_T5_T6_T7_T9_mT8_P12ihipStream_tbDpT10_ENKUlT_T0_E_clISt17integral_constantIbLb1EES1A_IbLb0EEEEDaS16_S17_EUlS16_E_NS1_11comp_targetILNS1_3genE8ELNS1_11target_archE1030ELNS1_3gpuE2ELNS1_3repE0EEENS1_30default_config_static_selectorELNS0_4arch9wavefront6targetE0EEEvT1_,"axG",@progbits,_ZN7rocprim17ROCPRIM_400000_NS6detail17trampoline_kernelINS0_14default_configENS1_25partition_config_selectorILNS1_17partition_subalgoE5ExNS0_10empty_typeEbEEZZNS1_14partition_implILS5_5ELb0ES3_mN6thrust23THRUST_200600_302600_NS6detail15normal_iteratorINSA_10device_ptrIxEEEEPS6_NSA_18transform_iteratorINSB_9not_fun_tI7is_trueIxEEESF_NSA_11use_defaultESM_EENS0_5tupleIJSF_S6_EEENSO_IJSG_SG_EEES6_PlJS6_EEE10hipError_tPvRmT3_T4_T5_T6_T7_T9_mT8_P12ihipStream_tbDpT10_ENKUlT_T0_E_clISt17integral_constantIbLb1EES1A_IbLb0EEEEDaS16_S17_EUlS16_E_NS1_11comp_targetILNS1_3genE8ELNS1_11target_archE1030ELNS1_3gpuE2ELNS1_3repE0EEENS1_30default_config_static_selectorELNS0_4arch9wavefront6targetE0EEEvT1_,comdat
	.protected	_ZN7rocprim17ROCPRIM_400000_NS6detail17trampoline_kernelINS0_14default_configENS1_25partition_config_selectorILNS1_17partition_subalgoE5ExNS0_10empty_typeEbEEZZNS1_14partition_implILS5_5ELb0ES3_mN6thrust23THRUST_200600_302600_NS6detail15normal_iteratorINSA_10device_ptrIxEEEEPS6_NSA_18transform_iteratorINSB_9not_fun_tI7is_trueIxEEESF_NSA_11use_defaultESM_EENS0_5tupleIJSF_S6_EEENSO_IJSG_SG_EEES6_PlJS6_EEE10hipError_tPvRmT3_T4_T5_T6_T7_T9_mT8_P12ihipStream_tbDpT10_ENKUlT_T0_E_clISt17integral_constantIbLb1EES1A_IbLb0EEEEDaS16_S17_EUlS16_E_NS1_11comp_targetILNS1_3genE8ELNS1_11target_archE1030ELNS1_3gpuE2ELNS1_3repE0EEENS1_30default_config_static_selectorELNS0_4arch9wavefront6targetE0EEEvT1_ ; -- Begin function _ZN7rocprim17ROCPRIM_400000_NS6detail17trampoline_kernelINS0_14default_configENS1_25partition_config_selectorILNS1_17partition_subalgoE5ExNS0_10empty_typeEbEEZZNS1_14partition_implILS5_5ELb0ES3_mN6thrust23THRUST_200600_302600_NS6detail15normal_iteratorINSA_10device_ptrIxEEEEPS6_NSA_18transform_iteratorINSB_9not_fun_tI7is_trueIxEEESF_NSA_11use_defaultESM_EENS0_5tupleIJSF_S6_EEENSO_IJSG_SG_EEES6_PlJS6_EEE10hipError_tPvRmT3_T4_T5_T6_T7_T9_mT8_P12ihipStream_tbDpT10_ENKUlT_T0_E_clISt17integral_constantIbLb1EES1A_IbLb0EEEEDaS16_S17_EUlS16_E_NS1_11comp_targetILNS1_3genE8ELNS1_11target_archE1030ELNS1_3gpuE2ELNS1_3repE0EEENS1_30default_config_static_selectorELNS0_4arch9wavefront6targetE0EEEvT1_
	.globl	_ZN7rocprim17ROCPRIM_400000_NS6detail17trampoline_kernelINS0_14default_configENS1_25partition_config_selectorILNS1_17partition_subalgoE5ExNS0_10empty_typeEbEEZZNS1_14partition_implILS5_5ELb0ES3_mN6thrust23THRUST_200600_302600_NS6detail15normal_iteratorINSA_10device_ptrIxEEEEPS6_NSA_18transform_iteratorINSB_9not_fun_tI7is_trueIxEEESF_NSA_11use_defaultESM_EENS0_5tupleIJSF_S6_EEENSO_IJSG_SG_EEES6_PlJS6_EEE10hipError_tPvRmT3_T4_T5_T6_T7_T9_mT8_P12ihipStream_tbDpT10_ENKUlT_T0_E_clISt17integral_constantIbLb1EES1A_IbLb0EEEEDaS16_S17_EUlS16_E_NS1_11comp_targetILNS1_3genE8ELNS1_11target_archE1030ELNS1_3gpuE2ELNS1_3repE0EEENS1_30default_config_static_selectorELNS0_4arch9wavefront6targetE0EEEvT1_
	.p2align	8
	.type	_ZN7rocprim17ROCPRIM_400000_NS6detail17trampoline_kernelINS0_14default_configENS1_25partition_config_selectorILNS1_17partition_subalgoE5ExNS0_10empty_typeEbEEZZNS1_14partition_implILS5_5ELb0ES3_mN6thrust23THRUST_200600_302600_NS6detail15normal_iteratorINSA_10device_ptrIxEEEEPS6_NSA_18transform_iteratorINSB_9not_fun_tI7is_trueIxEEESF_NSA_11use_defaultESM_EENS0_5tupleIJSF_S6_EEENSO_IJSG_SG_EEES6_PlJS6_EEE10hipError_tPvRmT3_T4_T5_T6_T7_T9_mT8_P12ihipStream_tbDpT10_ENKUlT_T0_E_clISt17integral_constantIbLb1EES1A_IbLb0EEEEDaS16_S17_EUlS16_E_NS1_11comp_targetILNS1_3genE8ELNS1_11target_archE1030ELNS1_3gpuE2ELNS1_3repE0EEENS1_30default_config_static_selectorELNS0_4arch9wavefront6targetE0EEEvT1_,@function
_ZN7rocprim17ROCPRIM_400000_NS6detail17trampoline_kernelINS0_14default_configENS1_25partition_config_selectorILNS1_17partition_subalgoE5ExNS0_10empty_typeEbEEZZNS1_14partition_implILS5_5ELb0ES3_mN6thrust23THRUST_200600_302600_NS6detail15normal_iteratorINSA_10device_ptrIxEEEEPS6_NSA_18transform_iteratorINSB_9not_fun_tI7is_trueIxEEESF_NSA_11use_defaultESM_EENS0_5tupleIJSF_S6_EEENSO_IJSG_SG_EEES6_PlJS6_EEE10hipError_tPvRmT3_T4_T5_T6_T7_T9_mT8_P12ihipStream_tbDpT10_ENKUlT_T0_E_clISt17integral_constantIbLb1EES1A_IbLb0EEEEDaS16_S17_EUlS16_E_NS1_11comp_targetILNS1_3genE8ELNS1_11target_archE1030ELNS1_3gpuE2ELNS1_3repE0EEENS1_30default_config_static_selectorELNS0_4arch9wavefront6targetE0EEEvT1_: ; @_ZN7rocprim17ROCPRIM_400000_NS6detail17trampoline_kernelINS0_14default_configENS1_25partition_config_selectorILNS1_17partition_subalgoE5ExNS0_10empty_typeEbEEZZNS1_14partition_implILS5_5ELb0ES3_mN6thrust23THRUST_200600_302600_NS6detail15normal_iteratorINSA_10device_ptrIxEEEEPS6_NSA_18transform_iteratorINSB_9not_fun_tI7is_trueIxEEESF_NSA_11use_defaultESM_EENS0_5tupleIJSF_S6_EEENSO_IJSG_SG_EEES6_PlJS6_EEE10hipError_tPvRmT3_T4_T5_T6_T7_T9_mT8_P12ihipStream_tbDpT10_ENKUlT_T0_E_clISt17integral_constantIbLb1EES1A_IbLb0EEEEDaS16_S17_EUlS16_E_NS1_11comp_targetILNS1_3genE8ELNS1_11target_archE1030ELNS1_3gpuE2ELNS1_3repE0EEENS1_30default_config_static_selectorELNS0_4arch9wavefront6targetE0EEEvT1_
; %bb.0:
	.section	.rodata,"a",@progbits
	.p2align	6, 0x0
	.amdhsa_kernel _ZN7rocprim17ROCPRIM_400000_NS6detail17trampoline_kernelINS0_14default_configENS1_25partition_config_selectorILNS1_17partition_subalgoE5ExNS0_10empty_typeEbEEZZNS1_14partition_implILS5_5ELb0ES3_mN6thrust23THRUST_200600_302600_NS6detail15normal_iteratorINSA_10device_ptrIxEEEEPS6_NSA_18transform_iteratorINSB_9not_fun_tI7is_trueIxEEESF_NSA_11use_defaultESM_EENS0_5tupleIJSF_S6_EEENSO_IJSG_SG_EEES6_PlJS6_EEE10hipError_tPvRmT3_T4_T5_T6_T7_T9_mT8_P12ihipStream_tbDpT10_ENKUlT_T0_E_clISt17integral_constantIbLb1EES1A_IbLb0EEEEDaS16_S17_EUlS16_E_NS1_11comp_targetILNS1_3genE8ELNS1_11target_archE1030ELNS1_3gpuE2ELNS1_3repE0EEENS1_30default_config_static_selectorELNS0_4arch9wavefront6targetE0EEEvT1_
		.amdhsa_group_segment_fixed_size 0
		.amdhsa_private_segment_fixed_size 0
		.amdhsa_kernarg_size 120
		.amdhsa_user_sgpr_count 2
		.amdhsa_user_sgpr_dispatch_ptr 0
		.amdhsa_user_sgpr_queue_ptr 0
		.amdhsa_user_sgpr_kernarg_segment_ptr 1
		.amdhsa_user_sgpr_dispatch_id 0
		.amdhsa_user_sgpr_private_segment_size 0
		.amdhsa_wavefront_size32 1
		.amdhsa_uses_dynamic_stack 0
		.amdhsa_enable_private_segment 0
		.amdhsa_system_sgpr_workgroup_id_x 1
		.amdhsa_system_sgpr_workgroup_id_y 0
		.amdhsa_system_sgpr_workgroup_id_z 0
		.amdhsa_system_sgpr_workgroup_info 0
		.amdhsa_system_vgpr_workitem_id 0
		.amdhsa_next_free_vgpr 1
		.amdhsa_next_free_sgpr 1
		.amdhsa_reserve_vcc 0
		.amdhsa_float_round_mode_32 0
		.amdhsa_float_round_mode_16_64 0
		.amdhsa_float_denorm_mode_32 3
		.amdhsa_float_denorm_mode_16_64 3
		.amdhsa_fp16_overflow 0
		.amdhsa_workgroup_processor_mode 1
		.amdhsa_memory_ordered 1
		.amdhsa_forward_progress 1
		.amdhsa_inst_pref_size 0
		.amdhsa_round_robin_scheduling 0
		.amdhsa_exception_fp_ieee_invalid_op 0
		.amdhsa_exception_fp_denorm_src 0
		.amdhsa_exception_fp_ieee_div_zero 0
		.amdhsa_exception_fp_ieee_overflow 0
		.amdhsa_exception_fp_ieee_underflow 0
		.amdhsa_exception_fp_ieee_inexact 0
		.amdhsa_exception_int_div_zero 0
	.end_amdhsa_kernel
	.section	.text._ZN7rocprim17ROCPRIM_400000_NS6detail17trampoline_kernelINS0_14default_configENS1_25partition_config_selectorILNS1_17partition_subalgoE5ExNS0_10empty_typeEbEEZZNS1_14partition_implILS5_5ELb0ES3_mN6thrust23THRUST_200600_302600_NS6detail15normal_iteratorINSA_10device_ptrIxEEEEPS6_NSA_18transform_iteratorINSB_9not_fun_tI7is_trueIxEEESF_NSA_11use_defaultESM_EENS0_5tupleIJSF_S6_EEENSO_IJSG_SG_EEES6_PlJS6_EEE10hipError_tPvRmT3_T4_T5_T6_T7_T9_mT8_P12ihipStream_tbDpT10_ENKUlT_T0_E_clISt17integral_constantIbLb1EES1A_IbLb0EEEEDaS16_S17_EUlS16_E_NS1_11comp_targetILNS1_3genE8ELNS1_11target_archE1030ELNS1_3gpuE2ELNS1_3repE0EEENS1_30default_config_static_selectorELNS0_4arch9wavefront6targetE0EEEvT1_,"axG",@progbits,_ZN7rocprim17ROCPRIM_400000_NS6detail17trampoline_kernelINS0_14default_configENS1_25partition_config_selectorILNS1_17partition_subalgoE5ExNS0_10empty_typeEbEEZZNS1_14partition_implILS5_5ELb0ES3_mN6thrust23THRUST_200600_302600_NS6detail15normal_iteratorINSA_10device_ptrIxEEEEPS6_NSA_18transform_iteratorINSB_9not_fun_tI7is_trueIxEEESF_NSA_11use_defaultESM_EENS0_5tupleIJSF_S6_EEENSO_IJSG_SG_EEES6_PlJS6_EEE10hipError_tPvRmT3_T4_T5_T6_T7_T9_mT8_P12ihipStream_tbDpT10_ENKUlT_T0_E_clISt17integral_constantIbLb1EES1A_IbLb0EEEEDaS16_S17_EUlS16_E_NS1_11comp_targetILNS1_3genE8ELNS1_11target_archE1030ELNS1_3gpuE2ELNS1_3repE0EEENS1_30default_config_static_selectorELNS0_4arch9wavefront6targetE0EEEvT1_,comdat
.Lfunc_end1490:
	.size	_ZN7rocprim17ROCPRIM_400000_NS6detail17trampoline_kernelINS0_14default_configENS1_25partition_config_selectorILNS1_17partition_subalgoE5ExNS0_10empty_typeEbEEZZNS1_14partition_implILS5_5ELb0ES3_mN6thrust23THRUST_200600_302600_NS6detail15normal_iteratorINSA_10device_ptrIxEEEEPS6_NSA_18transform_iteratorINSB_9not_fun_tI7is_trueIxEEESF_NSA_11use_defaultESM_EENS0_5tupleIJSF_S6_EEENSO_IJSG_SG_EEES6_PlJS6_EEE10hipError_tPvRmT3_T4_T5_T6_T7_T9_mT8_P12ihipStream_tbDpT10_ENKUlT_T0_E_clISt17integral_constantIbLb1EES1A_IbLb0EEEEDaS16_S17_EUlS16_E_NS1_11comp_targetILNS1_3genE8ELNS1_11target_archE1030ELNS1_3gpuE2ELNS1_3repE0EEENS1_30default_config_static_selectorELNS0_4arch9wavefront6targetE0EEEvT1_, .Lfunc_end1490-_ZN7rocprim17ROCPRIM_400000_NS6detail17trampoline_kernelINS0_14default_configENS1_25partition_config_selectorILNS1_17partition_subalgoE5ExNS0_10empty_typeEbEEZZNS1_14partition_implILS5_5ELb0ES3_mN6thrust23THRUST_200600_302600_NS6detail15normal_iteratorINSA_10device_ptrIxEEEEPS6_NSA_18transform_iteratorINSB_9not_fun_tI7is_trueIxEEESF_NSA_11use_defaultESM_EENS0_5tupleIJSF_S6_EEENSO_IJSG_SG_EEES6_PlJS6_EEE10hipError_tPvRmT3_T4_T5_T6_T7_T9_mT8_P12ihipStream_tbDpT10_ENKUlT_T0_E_clISt17integral_constantIbLb1EES1A_IbLb0EEEEDaS16_S17_EUlS16_E_NS1_11comp_targetILNS1_3genE8ELNS1_11target_archE1030ELNS1_3gpuE2ELNS1_3repE0EEENS1_30default_config_static_selectorELNS0_4arch9wavefront6targetE0EEEvT1_
                                        ; -- End function
	.set _ZN7rocprim17ROCPRIM_400000_NS6detail17trampoline_kernelINS0_14default_configENS1_25partition_config_selectorILNS1_17partition_subalgoE5ExNS0_10empty_typeEbEEZZNS1_14partition_implILS5_5ELb0ES3_mN6thrust23THRUST_200600_302600_NS6detail15normal_iteratorINSA_10device_ptrIxEEEEPS6_NSA_18transform_iteratorINSB_9not_fun_tI7is_trueIxEEESF_NSA_11use_defaultESM_EENS0_5tupleIJSF_S6_EEENSO_IJSG_SG_EEES6_PlJS6_EEE10hipError_tPvRmT3_T4_T5_T6_T7_T9_mT8_P12ihipStream_tbDpT10_ENKUlT_T0_E_clISt17integral_constantIbLb1EES1A_IbLb0EEEEDaS16_S17_EUlS16_E_NS1_11comp_targetILNS1_3genE8ELNS1_11target_archE1030ELNS1_3gpuE2ELNS1_3repE0EEENS1_30default_config_static_selectorELNS0_4arch9wavefront6targetE0EEEvT1_.num_vgpr, 0
	.set _ZN7rocprim17ROCPRIM_400000_NS6detail17trampoline_kernelINS0_14default_configENS1_25partition_config_selectorILNS1_17partition_subalgoE5ExNS0_10empty_typeEbEEZZNS1_14partition_implILS5_5ELb0ES3_mN6thrust23THRUST_200600_302600_NS6detail15normal_iteratorINSA_10device_ptrIxEEEEPS6_NSA_18transform_iteratorINSB_9not_fun_tI7is_trueIxEEESF_NSA_11use_defaultESM_EENS0_5tupleIJSF_S6_EEENSO_IJSG_SG_EEES6_PlJS6_EEE10hipError_tPvRmT3_T4_T5_T6_T7_T9_mT8_P12ihipStream_tbDpT10_ENKUlT_T0_E_clISt17integral_constantIbLb1EES1A_IbLb0EEEEDaS16_S17_EUlS16_E_NS1_11comp_targetILNS1_3genE8ELNS1_11target_archE1030ELNS1_3gpuE2ELNS1_3repE0EEENS1_30default_config_static_selectorELNS0_4arch9wavefront6targetE0EEEvT1_.num_agpr, 0
	.set _ZN7rocprim17ROCPRIM_400000_NS6detail17trampoline_kernelINS0_14default_configENS1_25partition_config_selectorILNS1_17partition_subalgoE5ExNS0_10empty_typeEbEEZZNS1_14partition_implILS5_5ELb0ES3_mN6thrust23THRUST_200600_302600_NS6detail15normal_iteratorINSA_10device_ptrIxEEEEPS6_NSA_18transform_iteratorINSB_9not_fun_tI7is_trueIxEEESF_NSA_11use_defaultESM_EENS0_5tupleIJSF_S6_EEENSO_IJSG_SG_EEES6_PlJS6_EEE10hipError_tPvRmT3_T4_T5_T6_T7_T9_mT8_P12ihipStream_tbDpT10_ENKUlT_T0_E_clISt17integral_constantIbLb1EES1A_IbLb0EEEEDaS16_S17_EUlS16_E_NS1_11comp_targetILNS1_3genE8ELNS1_11target_archE1030ELNS1_3gpuE2ELNS1_3repE0EEENS1_30default_config_static_selectorELNS0_4arch9wavefront6targetE0EEEvT1_.numbered_sgpr, 0
	.set _ZN7rocprim17ROCPRIM_400000_NS6detail17trampoline_kernelINS0_14default_configENS1_25partition_config_selectorILNS1_17partition_subalgoE5ExNS0_10empty_typeEbEEZZNS1_14partition_implILS5_5ELb0ES3_mN6thrust23THRUST_200600_302600_NS6detail15normal_iteratorINSA_10device_ptrIxEEEEPS6_NSA_18transform_iteratorINSB_9not_fun_tI7is_trueIxEEESF_NSA_11use_defaultESM_EENS0_5tupleIJSF_S6_EEENSO_IJSG_SG_EEES6_PlJS6_EEE10hipError_tPvRmT3_T4_T5_T6_T7_T9_mT8_P12ihipStream_tbDpT10_ENKUlT_T0_E_clISt17integral_constantIbLb1EES1A_IbLb0EEEEDaS16_S17_EUlS16_E_NS1_11comp_targetILNS1_3genE8ELNS1_11target_archE1030ELNS1_3gpuE2ELNS1_3repE0EEENS1_30default_config_static_selectorELNS0_4arch9wavefront6targetE0EEEvT1_.num_named_barrier, 0
	.set _ZN7rocprim17ROCPRIM_400000_NS6detail17trampoline_kernelINS0_14default_configENS1_25partition_config_selectorILNS1_17partition_subalgoE5ExNS0_10empty_typeEbEEZZNS1_14partition_implILS5_5ELb0ES3_mN6thrust23THRUST_200600_302600_NS6detail15normal_iteratorINSA_10device_ptrIxEEEEPS6_NSA_18transform_iteratorINSB_9not_fun_tI7is_trueIxEEESF_NSA_11use_defaultESM_EENS0_5tupleIJSF_S6_EEENSO_IJSG_SG_EEES6_PlJS6_EEE10hipError_tPvRmT3_T4_T5_T6_T7_T9_mT8_P12ihipStream_tbDpT10_ENKUlT_T0_E_clISt17integral_constantIbLb1EES1A_IbLb0EEEEDaS16_S17_EUlS16_E_NS1_11comp_targetILNS1_3genE8ELNS1_11target_archE1030ELNS1_3gpuE2ELNS1_3repE0EEENS1_30default_config_static_selectorELNS0_4arch9wavefront6targetE0EEEvT1_.private_seg_size, 0
	.set _ZN7rocprim17ROCPRIM_400000_NS6detail17trampoline_kernelINS0_14default_configENS1_25partition_config_selectorILNS1_17partition_subalgoE5ExNS0_10empty_typeEbEEZZNS1_14partition_implILS5_5ELb0ES3_mN6thrust23THRUST_200600_302600_NS6detail15normal_iteratorINSA_10device_ptrIxEEEEPS6_NSA_18transform_iteratorINSB_9not_fun_tI7is_trueIxEEESF_NSA_11use_defaultESM_EENS0_5tupleIJSF_S6_EEENSO_IJSG_SG_EEES6_PlJS6_EEE10hipError_tPvRmT3_T4_T5_T6_T7_T9_mT8_P12ihipStream_tbDpT10_ENKUlT_T0_E_clISt17integral_constantIbLb1EES1A_IbLb0EEEEDaS16_S17_EUlS16_E_NS1_11comp_targetILNS1_3genE8ELNS1_11target_archE1030ELNS1_3gpuE2ELNS1_3repE0EEENS1_30default_config_static_selectorELNS0_4arch9wavefront6targetE0EEEvT1_.uses_vcc, 0
	.set _ZN7rocprim17ROCPRIM_400000_NS6detail17trampoline_kernelINS0_14default_configENS1_25partition_config_selectorILNS1_17partition_subalgoE5ExNS0_10empty_typeEbEEZZNS1_14partition_implILS5_5ELb0ES3_mN6thrust23THRUST_200600_302600_NS6detail15normal_iteratorINSA_10device_ptrIxEEEEPS6_NSA_18transform_iteratorINSB_9not_fun_tI7is_trueIxEEESF_NSA_11use_defaultESM_EENS0_5tupleIJSF_S6_EEENSO_IJSG_SG_EEES6_PlJS6_EEE10hipError_tPvRmT3_T4_T5_T6_T7_T9_mT8_P12ihipStream_tbDpT10_ENKUlT_T0_E_clISt17integral_constantIbLb1EES1A_IbLb0EEEEDaS16_S17_EUlS16_E_NS1_11comp_targetILNS1_3genE8ELNS1_11target_archE1030ELNS1_3gpuE2ELNS1_3repE0EEENS1_30default_config_static_selectorELNS0_4arch9wavefront6targetE0EEEvT1_.uses_flat_scratch, 0
	.set _ZN7rocprim17ROCPRIM_400000_NS6detail17trampoline_kernelINS0_14default_configENS1_25partition_config_selectorILNS1_17partition_subalgoE5ExNS0_10empty_typeEbEEZZNS1_14partition_implILS5_5ELb0ES3_mN6thrust23THRUST_200600_302600_NS6detail15normal_iteratorINSA_10device_ptrIxEEEEPS6_NSA_18transform_iteratorINSB_9not_fun_tI7is_trueIxEEESF_NSA_11use_defaultESM_EENS0_5tupleIJSF_S6_EEENSO_IJSG_SG_EEES6_PlJS6_EEE10hipError_tPvRmT3_T4_T5_T6_T7_T9_mT8_P12ihipStream_tbDpT10_ENKUlT_T0_E_clISt17integral_constantIbLb1EES1A_IbLb0EEEEDaS16_S17_EUlS16_E_NS1_11comp_targetILNS1_3genE8ELNS1_11target_archE1030ELNS1_3gpuE2ELNS1_3repE0EEENS1_30default_config_static_selectorELNS0_4arch9wavefront6targetE0EEEvT1_.has_dyn_sized_stack, 0
	.set _ZN7rocprim17ROCPRIM_400000_NS6detail17trampoline_kernelINS0_14default_configENS1_25partition_config_selectorILNS1_17partition_subalgoE5ExNS0_10empty_typeEbEEZZNS1_14partition_implILS5_5ELb0ES3_mN6thrust23THRUST_200600_302600_NS6detail15normal_iteratorINSA_10device_ptrIxEEEEPS6_NSA_18transform_iteratorINSB_9not_fun_tI7is_trueIxEEESF_NSA_11use_defaultESM_EENS0_5tupleIJSF_S6_EEENSO_IJSG_SG_EEES6_PlJS6_EEE10hipError_tPvRmT3_T4_T5_T6_T7_T9_mT8_P12ihipStream_tbDpT10_ENKUlT_T0_E_clISt17integral_constantIbLb1EES1A_IbLb0EEEEDaS16_S17_EUlS16_E_NS1_11comp_targetILNS1_3genE8ELNS1_11target_archE1030ELNS1_3gpuE2ELNS1_3repE0EEENS1_30default_config_static_selectorELNS0_4arch9wavefront6targetE0EEEvT1_.has_recursion, 0
	.set _ZN7rocprim17ROCPRIM_400000_NS6detail17trampoline_kernelINS0_14default_configENS1_25partition_config_selectorILNS1_17partition_subalgoE5ExNS0_10empty_typeEbEEZZNS1_14partition_implILS5_5ELb0ES3_mN6thrust23THRUST_200600_302600_NS6detail15normal_iteratorINSA_10device_ptrIxEEEEPS6_NSA_18transform_iteratorINSB_9not_fun_tI7is_trueIxEEESF_NSA_11use_defaultESM_EENS0_5tupleIJSF_S6_EEENSO_IJSG_SG_EEES6_PlJS6_EEE10hipError_tPvRmT3_T4_T5_T6_T7_T9_mT8_P12ihipStream_tbDpT10_ENKUlT_T0_E_clISt17integral_constantIbLb1EES1A_IbLb0EEEEDaS16_S17_EUlS16_E_NS1_11comp_targetILNS1_3genE8ELNS1_11target_archE1030ELNS1_3gpuE2ELNS1_3repE0EEENS1_30default_config_static_selectorELNS0_4arch9wavefront6targetE0EEEvT1_.has_indirect_call, 0
	.section	.AMDGPU.csdata,"",@progbits
; Kernel info:
; codeLenInByte = 0
; TotalNumSgprs: 0
; NumVgprs: 0
; ScratchSize: 0
; MemoryBound: 0
; FloatMode: 240
; IeeeMode: 1
; LDSByteSize: 0 bytes/workgroup (compile time only)
; SGPRBlocks: 0
; VGPRBlocks: 0
; NumSGPRsForWavesPerEU: 1
; NumVGPRsForWavesPerEU: 1
; Occupancy: 16
; WaveLimiterHint : 0
; COMPUTE_PGM_RSRC2:SCRATCH_EN: 0
; COMPUTE_PGM_RSRC2:USER_SGPR: 2
; COMPUTE_PGM_RSRC2:TRAP_HANDLER: 0
; COMPUTE_PGM_RSRC2:TGID_X_EN: 1
; COMPUTE_PGM_RSRC2:TGID_Y_EN: 0
; COMPUTE_PGM_RSRC2:TGID_Z_EN: 0
; COMPUTE_PGM_RSRC2:TIDIG_COMP_CNT: 0
	.section	.text._ZN7rocprim17ROCPRIM_400000_NS6detail17trampoline_kernelINS0_14default_configENS1_25partition_config_selectorILNS1_17partition_subalgoE5ExNS0_10empty_typeEbEEZZNS1_14partition_implILS5_5ELb0ES3_mN6thrust23THRUST_200600_302600_NS6detail15normal_iteratorINSA_10device_ptrIxEEEEPS6_NSA_18transform_iteratorINSB_9not_fun_tI7is_trueIxEEESF_NSA_11use_defaultESM_EENS0_5tupleIJSF_S6_EEENSO_IJSG_SG_EEES6_PlJS6_EEE10hipError_tPvRmT3_T4_T5_T6_T7_T9_mT8_P12ihipStream_tbDpT10_ENKUlT_T0_E_clISt17integral_constantIbLb0EES1A_IbLb1EEEEDaS16_S17_EUlS16_E_NS1_11comp_targetILNS1_3genE0ELNS1_11target_archE4294967295ELNS1_3gpuE0ELNS1_3repE0EEENS1_30default_config_static_selectorELNS0_4arch9wavefront6targetE0EEEvT1_,"axG",@progbits,_ZN7rocprim17ROCPRIM_400000_NS6detail17trampoline_kernelINS0_14default_configENS1_25partition_config_selectorILNS1_17partition_subalgoE5ExNS0_10empty_typeEbEEZZNS1_14partition_implILS5_5ELb0ES3_mN6thrust23THRUST_200600_302600_NS6detail15normal_iteratorINSA_10device_ptrIxEEEEPS6_NSA_18transform_iteratorINSB_9not_fun_tI7is_trueIxEEESF_NSA_11use_defaultESM_EENS0_5tupleIJSF_S6_EEENSO_IJSG_SG_EEES6_PlJS6_EEE10hipError_tPvRmT3_T4_T5_T6_T7_T9_mT8_P12ihipStream_tbDpT10_ENKUlT_T0_E_clISt17integral_constantIbLb0EES1A_IbLb1EEEEDaS16_S17_EUlS16_E_NS1_11comp_targetILNS1_3genE0ELNS1_11target_archE4294967295ELNS1_3gpuE0ELNS1_3repE0EEENS1_30default_config_static_selectorELNS0_4arch9wavefront6targetE0EEEvT1_,comdat
	.protected	_ZN7rocprim17ROCPRIM_400000_NS6detail17trampoline_kernelINS0_14default_configENS1_25partition_config_selectorILNS1_17partition_subalgoE5ExNS0_10empty_typeEbEEZZNS1_14partition_implILS5_5ELb0ES3_mN6thrust23THRUST_200600_302600_NS6detail15normal_iteratorINSA_10device_ptrIxEEEEPS6_NSA_18transform_iteratorINSB_9not_fun_tI7is_trueIxEEESF_NSA_11use_defaultESM_EENS0_5tupleIJSF_S6_EEENSO_IJSG_SG_EEES6_PlJS6_EEE10hipError_tPvRmT3_T4_T5_T6_T7_T9_mT8_P12ihipStream_tbDpT10_ENKUlT_T0_E_clISt17integral_constantIbLb0EES1A_IbLb1EEEEDaS16_S17_EUlS16_E_NS1_11comp_targetILNS1_3genE0ELNS1_11target_archE4294967295ELNS1_3gpuE0ELNS1_3repE0EEENS1_30default_config_static_selectorELNS0_4arch9wavefront6targetE0EEEvT1_ ; -- Begin function _ZN7rocprim17ROCPRIM_400000_NS6detail17trampoline_kernelINS0_14default_configENS1_25partition_config_selectorILNS1_17partition_subalgoE5ExNS0_10empty_typeEbEEZZNS1_14partition_implILS5_5ELb0ES3_mN6thrust23THRUST_200600_302600_NS6detail15normal_iteratorINSA_10device_ptrIxEEEEPS6_NSA_18transform_iteratorINSB_9not_fun_tI7is_trueIxEEESF_NSA_11use_defaultESM_EENS0_5tupleIJSF_S6_EEENSO_IJSG_SG_EEES6_PlJS6_EEE10hipError_tPvRmT3_T4_T5_T6_T7_T9_mT8_P12ihipStream_tbDpT10_ENKUlT_T0_E_clISt17integral_constantIbLb0EES1A_IbLb1EEEEDaS16_S17_EUlS16_E_NS1_11comp_targetILNS1_3genE0ELNS1_11target_archE4294967295ELNS1_3gpuE0ELNS1_3repE0EEENS1_30default_config_static_selectorELNS0_4arch9wavefront6targetE0EEEvT1_
	.globl	_ZN7rocprim17ROCPRIM_400000_NS6detail17trampoline_kernelINS0_14default_configENS1_25partition_config_selectorILNS1_17partition_subalgoE5ExNS0_10empty_typeEbEEZZNS1_14partition_implILS5_5ELb0ES3_mN6thrust23THRUST_200600_302600_NS6detail15normal_iteratorINSA_10device_ptrIxEEEEPS6_NSA_18transform_iteratorINSB_9not_fun_tI7is_trueIxEEESF_NSA_11use_defaultESM_EENS0_5tupleIJSF_S6_EEENSO_IJSG_SG_EEES6_PlJS6_EEE10hipError_tPvRmT3_T4_T5_T6_T7_T9_mT8_P12ihipStream_tbDpT10_ENKUlT_T0_E_clISt17integral_constantIbLb0EES1A_IbLb1EEEEDaS16_S17_EUlS16_E_NS1_11comp_targetILNS1_3genE0ELNS1_11target_archE4294967295ELNS1_3gpuE0ELNS1_3repE0EEENS1_30default_config_static_selectorELNS0_4arch9wavefront6targetE0EEEvT1_
	.p2align	8
	.type	_ZN7rocprim17ROCPRIM_400000_NS6detail17trampoline_kernelINS0_14default_configENS1_25partition_config_selectorILNS1_17partition_subalgoE5ExNS0_10empty_typeEbEEZZNS1_14partition_implILS5_5ELb0ES3_mN6thrust23THRUST_200600_302600_NS6detail15normal_iteratorINSA_10device_ptrIxEEEEPS6_NSA_18transform_iteratorINSB_9not_fun_tI7is_trueIxEEESF_NSA_11use_defaultESM_EENS0_5tupleIJSF_S6_EEENSO_IJSG_SG_EEES6_PlJS6_EEE10hipError_tPvRmT3_T4_T5_T6_T7_T9_mT8_P12ihipStream_tbDpT10_ENKUlT_T0_E_clISt17integral_constantIbLb0EES1A_IbLb1EEEEDaS16_S17_EUlS16_E_NS1_11comp_targetILNS1_3genE0ELNS1_11target_archE4294967295ELNS1_3gpuE0ELNS1_3repE0EEENS1_30default_config_static_selectorELNS0_4arch9wavefront6targetE0EEEvT1_,@function
_ZN7rocprim17ROCPRIM_400000_NS6detail17trampoline_kernelINS0_14default_configENS1_25partition_config_selectorILNS1_17partition_subalgoE5ExNS0_10empty_typeEbEEZZNS1_14partition_implILS5_5ELb0ES3_mN6thrust23THRUST_200600_302600_NS6detail15normal_iteratorINSA_10device_ptrIxEEEEPS6_NSA_18transform_iteratorINSB_9not_fun_tI7is_trueIxEEESF_NSA_11use_defaultESM_EENS0_5tupleIJSF_S6_EEENSO_IJSG_SG_EEES6_PlJS6_EEE10hipError_tPvRmT3_T4_T5_T6_T7_T9_mT8_P12ihipStream_tbDpT10_ENKUlT_T0_E_clISt17integral_constantIbLb0EES1A_IbLb1EEEEDaS16_S17_EUlS16_E_NS1_11comp_targetILNS1_3genE0ELNS1_11target_archE4294967295ELNS1_3gpuE0ELNS1_3repE0EEENS1_30default_config_static_selectorELNS0_4arch9wavefront6targetE0EEEvT1_: ; @_ZN7rocprim17ROCPRIM_400000_NS6detail17trampoline_kernelINS0_14default_configENS1_25partition_config_selectorILNS1_17partition_subalgoE5ExNS0_10empty_typeEbEEZZNS1_14partition_implILS5_5ELb0ES3_mN6thrust23THRUST_200600_302600_NS6detail15normal_iteratorINSA_10device_ptrIxEEEEPS6_NSA_18transform_iteratorINSB_9not_fun_tI7is_trueIxEEESF_NSA_11use_defaultESM_EENS0_5tupleIJSF_S6_EEENSO_IJSG_SG_EEES6_PlJS6_EEE10hipError_tPvRmT3_T4_T5_T6_T7_T9_mT8_P12ihipStream_tbDpT10_ENKUlT_T0_E_clISt17integral_constantIbLb0EES1A_IbLb1EEEEDaS16_S17_EUlS16_E_NS1_11comp_targetILNS1_3genE0ELNS1_11target_archE4294967295ELNS1_3gpuE0ELNS1_3repE0EEENS1_30default_config_static_selectorELNS0_4arch9wavefront6targetE0EEEvT1_
; %bb.0:
	.section	.rodata,"a",@progbits
	.p2align	6, 0x0
	.amdhsa_kernel _ZN7rocprim17ROCPRIM_400000_NS6detail17trampoline_kernelINS0_14default_configENS1_25partition_config_selectorILNS1_17partition_subalgoE5ExNS0_10empty_typeEbEEZZNS1_14partition_implILS5_5ELb0ES3_mN6thrust23THRUST_200600_302600_NS6detail15normal_iteratorINSA_10device_ptrIxEEEEPS6_NSA_18transform_iteratorINSB_9not_fun_tI7is_trueIxEEESF_NSA_11use_defaultESM_EENS0_5tupleIJSF_S6_EEENSO_IJSG_SG_EEES6_PlJS6_EEE10hipError_tPvRmT3_T4_T5_T6_T7_T9_mT8_P12ihipStream_tbDpT10_ENKUlT_T0_E_clISt17integral_constantIbLb0EES1A_IbLb1EEEEDaS16_S17_EUlS16_E_NS1_11comp_targetILNS1_3genE0ELNS1_11target_archE4294967295ELNS1_3gpuE0ELNS1_3repE0EEENS1_30default_config_static_selectorELNS0_4arch9wavefront6targetE0EEEvT1_
		.amdhsa_group_segment_fixed_size 0
		.amdhsa_private_segment_fixed_size 0
		.amdhsa_kernarg_size 136
		.amdhsa_user_sgpr_count 2
		.amdhsa_user_sgpr_dispatch_ptr 0
		.amdhsa_user_sgpr_queue_ptr 0
		.amdhsa_user_sgpr_kernarg_segment_ptr 1
		.amdhsa_user_sgpr_dispatch_id 0
		.amdhsa_user_sgpr_private_segment_size 0
		.amdhsa_wavefront_size32 1
		.amdhsa_uses_dynamic_stack 0
		.amdhsa_enable_private_segment 0
		.amdhsa_system_sgpr_workgroup_id_x 1
		.amdhsa_system_sgpr_workgroup_id_y 0
		.amdhsa_system_sgpr_workgroup_id_z 0
		.amdhsa_system_sgpr_workgroup_info 0
		.amdhsa_system_vgpr_workitem_id 0
		.amdhsa_next_free_vgpr 1
		.amdhsa_next_free_sgpr 1
		.amdhsa_reserve_vcc 0
		.amdhsa_float_round_mode_32 0
		.amdhsa_float_round_mode_16_64 0
		.amdhsa_float_denorm_mode_32 3
		.amdhsa_float_denorm_mode_16_64 3
		.amdhsa_fp16_overflow 0
		.amdhsa_workgroup_processor_mode 1
		.amdhsa_memory_ordered 1
		.amdhsa_forward_progress 1
		.amdhsa_inst_pref_size 0
		.amdhsa_round_robin_scheduling 0
		.amdhsa_exception_fp_ieee_invalid_op 0
		.amdhsa_exception_fp_denorm_src 0
		.amdhsa_exception_fp_ieee_div_zero 0
		.amdhsa_exception_fp_ieee_overflow 0
		.amdhsa_exception_fp_ieee_underflow 0
		.amdhsa_exception_fp_ieee_inexact 0
		.amdhsa_exception_int_div_zero 0
	.end_amdhsa_kernel
	.section	.text._ZN7rocprim17ROCPRIM_400000_NS6detail17trampoline_kernelINS0_14default_configENS1_25partition_config_selectorILNS1_17partition_subalgoE5ExNS0_10empty_typeEbEEZZNS1_14partition_implILS5_5ELb0ES3_mN6thrust23THRUST_200600_302600_NS6detail15normal_iteratorINSA_10device_ptrIxEEEEPS6_NSA_18transform_iteratorINSB_9not_fun_tI7is_trueIxEEESF_NSA_11use_defaultESM_EENS0_5tupleIJSF_S6_EEENSO_IJSG_SG_EEES6_PlJS6_EEE10hipError_tPvRmT3_T4_T5_T6_T7_T9_mT8_P12ihipStream_tbDpT10_ENKUlT_T0_E_clISt17integral_constantIbLb0EES1A_IbLb1EEEEDaS16_S17_EUlS16_E_NS1_11comp_targetILNS1_3genE0ELNS1_11target_archE4294967295ELNS1_3gpuE0ELNS1_3repE0EEENS1_30default_config_static_selectorELNS0_4arch9wavefront6targetE0EEEvT1_,"axG",@progbits,_ZN7rocprim17ROCPRIM_400000_NS6detail17trampoline_kernelINS0_14default_configENS1_25partition_config_selectorILNS1_17partition_subalgoE5ExNS0_10empty_typeEbEEZZNS1_14partition_implILS5_5ELb0ES3_mN6thrust23THRUST_200600_302600_NS6detail15normal_iteratorINSA_10device_ptrIxEEEEPS6_NSA_18transform_iteratorINSB_9not_fun_tI7is_trueIxEEESF_NSA_11use_defaultESM_EENS0_5tupleIJSF_S6_EEENSO_IJSG_SG_EEES6_PlJS6_EEE10hipError_tPvRmT3_T4_T5_T6_T7_T9_mT8_P12ihipStream_tbDpT10_ENKUlT_T0_E_clISt17integral_constantIbLb0EES1A_IbLb1EEEEDaS16_S17_EUlS16_E_NS1_11comp_targetILNS1_3genE0ELNS1_11target_archE4294967295ELNS1_3gpuE0ELNS1_3repE0EEENS1_30default_config_static_selectorELNS0_4arch9wavefront6targetE0EEEvT1_,comdat
.Lfunc_end1491:
	.size	_ZN7rocprim17ROCPRIM_400000_NS6detail17trampoline_kernelINS0_14default_configENS1_25partition_config_selectorILNS1_17partition_subalgoE5ExNS0_10empty_typeEbEEZZNS1_14partition_implILS5_5ELb0ES3_mN6thrust23THRUST_200600_302600_NS6detail15normal_iteratorINSA_10device_ptrIxEEEEPS6_NSA_18transform_iteratorINSB_9not_fun_tI7is_trueIxEEESF_NSA_11use_defaultESM_EENS0_5tupleIJSF_S6_EEENSO_IJSG_SG_EEES6_PlJS6_EEE10hipError_tPvRmT3_T4_T5_T6_T7_T9_mT8_P12ihipStream_tbDpT10_ENKUlT_T0_E_clISt17integral_constantIbLb0EES1A_IbLb1EEEEDaS16_S17_EUlS16_E_NS1_11comp_targetILNS1_3genE0ELNS1_11target_archE4294967295ELNS1_3gpuE0ELNS1_3repE0EEENS1_30default_config_static_selectorELNS0_4arch9wavefront6targetE0EEEvT1_, .Lfunc_end1491-_ZN7rocprim17ROCPRIM_400000_NS6detail17trampoline_kernelINS0_14default_configENS1_25partition_config_selectorILNS1_17partition_subalgoE5ExNS0_10empty_typeEbEEZZNS1_14partition_implILS5_5ELb0ES3_mN6thrust23THRUST_200600_302600_NS6detail15normal_iteratorINSA_10device_ptrIxEEEEPS6_NSA_18transform_iteratorINSB_9not_fun_tI7is_trueIxEEESF_NSA_11use_defaultESM_EENS0_5tupleIJSF_S6_EEENSO_IJSG_SG_EEES6_PlJS6_EEE10hipError_tPvRmT3_T4_T5_T6_T7_T9_mT8_P12ihipStream_tbDpT10_ENKUlT_T0_E_clISt17integral_constantIbLb0EES1A_IbLb1EEEEDaS16_S17_EUlS16_E_NS1_11comp_targetILNS1_3genE0ELNS1_11target_archE4294967295ELNS1_3gpuE0ELNS1_3repE0EEENS1_30default_config_static_selectorELNS0_4arch9wavefront6targetE0EEEvT1_
                                        ; -- End function
	.set _ZN7rocprim17ROCPRIM_400000_NS6detail17trampoline_kernelINS0_14default_configENS1_25partition_config_selectorILNS1_17partition_subalgoE5ExNS0_10empty_typeEbEEZZNS1_14partition_implILS5_5ELb0ES3_mN6thrust23THRUST_200600_302600_NS6detail15normal_iteratorINSA_10device_ptrIxEEEEPS6_NSA_18transform_iteratorINSB_9not_fun_tI7is_trueIxEEESF_NSA_11use_defaultESM_EENS0_5tupleIJSF_S6_EEENSO_IJSG_SG_EEES6_PlJS6_EEE10hipError_tPvRmT3_T4_T5_T6_T7_T9_mT8_P12ihipStream_tbDpT10_ENKUlT_T0_E_clISt17integral_constantIbLb0EES1A_IbLb1EEEEDaS16_S17_EUlS16_E_NS1_11comp_targetILNS1_3genE0ELNS1_11target_archE4294967295ELNS1_3gpuE0ELNS1_3repE0EEENS1_30default_config_static_selectorELNS0_4arch9wavefront6targetE0EEEvT1_.num_vgpr, 0
	.set _ZN7rocprim17ROCPRIM_400000_NS6detail17trampoline_kernelINS0_14default_configENS1_25partition_config_selectorILNS1_17partition_subalgoE5ExNS0_10empty_typeEbEEZZNS1_14partition_implILS5_5ELb0ES3_mN6thrust23THRUST_200600_302600_NS6detail15normal_iteratorINSA_10device_ptrIxEEEEPS6_NSA_18transform_iteratorINSB_9not_fun_tI7is_trueIxEEESF_NSA_11use_defaultESM_EENS0_5tupleIJSF_S6_EEENSO_IJSG_SG_EEES6_PlJS6_EEE10hipError_tPvRmT3_T4_T5_T6_T7_T9_mT8_P12ihipStream_tbDpT10_ENKUlT_T0_E_clISt17integral_constantIbLb0EES1A_IbLb1EEEEDaS16_S17_EUlS16_E_NS1_11comp_targetILNS1_3genE0ELNS1_11target_archE4294967295ELNS1_3gpuE0ELNS1_3repE0EEENS1_30default_config_static_selectorELNS0_4arch9wavefront6targetE0EEEvT1_.num_agpr, 0
	.set _ZN7rocprim17ROCPRIM_400000_NS6detail17trampoline_kernelINS0_14default_configENS1_25partition_config_selectorILNS1_17partition_subalgoE5ExNS0_10empty_typeEbEEZZNS1_14partition_implILS5_5ELb0ES3_mN6thrust23THRUST_200600_302600_NS6detail15normal_iteratorINSA_10device_ptrIxEEEEPS6_NSA_18transform_iteratorINSB_9not_fun_tI7is_trueIxEEESF_NSA_11use_defaultESM_EENS0_5tupleIJSF_S6_EEENSO_IJSG_SG_EEES6_PlJS6_EEE10hipError_tPvRmT3_T4_T5_T6_T7_T9_mT8_P12ihipStream_tbDpT10_ENKUlT_T0_E_clISt17integral_constantIbLb0EES1A_IbLb1EEEEDaS16_S17_EUlS16_E_NS1_11comp_targetILNS1_3genE0ELNS1_11target_archE4294967295ELNS1_3gpuE0ELNS1_3repE0EEENS1_30default_config_static_selectorELNS0_4arch9wavefront6targetE0EEEvT1_.numbered_sgpr, 0
	.set _ZN7rocprim17ROCPRIM_400000_NS6detail17trampoline_kernelINS0_14default_configENS1_25partition_config_selectorILNS1_17partition_subalgoE5ExNS0_10empty_typeEbEEZZNS1_14partition_implILS5_5ELb0ES3_mN6thrust23THRUST_200600_302600_NS6detail15normal_iteratorINSA_10device_ptrIxEEEEPS6_NSA_18transform_iteratorINSB_9not_fun_tI7is_trueIxEEESF_NSA_11use_defaultESM_EENS0_5tupleIJSF_S6_EEENSO_IJSG_SG_EEES6_PlJS6_EEE10hipError_tPvRmT3_T4_T5_T6_T7_T9_mT8_P12ihipStream_tbDpT10_ENKUlT_T0_E_clISt17integral_constantIbLb0EES1A_IbLb1EEEEDaS16_S17_EUlS16_E_NS1_11comp_targetILNS1_3genE0ELNS1_11target_archE4294967295ELNS1_3gpuE0ELNS1_3repE0EEENS1_30default_config_static_selectorELNS0_4arch9wavefront6targetE0EEEvT1_.num_named_barrier, 0
	.set _ZN7rocprim17ROCPRIM_400000_NS6detail17trampoline_kernelINS0_14default_configENS1_25partition_config_selectorILNS1_17partition_subalgoE5ExNS0_10empty_typeEbEEZZNS1_14partition_implILS5_5ELb0ES3_mN6thrust23THRUST_200600_302600_NS6detail15normal_iteratorINSA_10device_ptrIxEEEEPS6_NSA_18transform_iteratorINSB_9not_fun_tI7is_trueIxEEESF_NSA_11use_defaultESM_EENS0_5tupleIJSF_S6_EEENSO_IJSG_SG_EEES6_PlJS6_EEE10hipError_tPvRmT3_T4_T5_T6_T7_T9_mT8_P12ihipStream_tbDpT10_ENKUlT_T0_E_clISt17integral_constantIbLb0EES1A_IbLb1EEEEDaS16_S17_EUlS16_E_NS1_11comp_targetILNS1_3genE0ELNS1_11target_archE4294967295ELNS1_3gpuE0ELNS1_3repE0EEENS1_30default_config_static_selectorELNS0_4arch9wavefront6targetE0EEEvT1_.private_seg_size, 0
	.set _ZN7rocprim17ROCPRIM_400000_NS6detail17trampoline_kernelINS0_14default_configENS1_25partition_config_selectorILNS1_17partition_subalgoE5ExNS0_10empty_typeEbEEZZNS1_14partition_implILS5_5ELb0ES3_mN6thrust23THRUST_200600_302600_NS6detail15normal_iteratorINSA_10device_ptrIxEEEEPS6_NSA_18transform_iteratorINSB_9not_fun_tI7is_trueIxEEESF_NSA_11use_defaultESM_EENS0_5tupleIJSF_S6_EEENSO_IJSG_SG_EEES6_PlJS6_EEE10hipError_tPvRmT3_T4_T5_T6_T7_T9_mT8_P12ihipStream_tbDpT10_ENKUlT_T0_E_clISt17integral_constantIbLb0EES1A_IbLb1EEEEDaS16_S17_EUlS16_E_NS1_11comp_targetILNS1_3genE0ELNS1_11target_archE4294967295ELNS1_3gpuE0ELNS1_3repE0EEENS1_30default_config_static_selectorELNS0_4arch9wavefront6targetE0EEEvT1_.uses_vcc, 0
	.set _ZN7rocprim17ROCPRIM_400000_NS6detail17trampoline_kernelINS0_14default_configENS1_25partition_config_selectorILNS1_17partition_subalgoE5ExNS0_10empty_typeEbEEZZNS1_14partition_implILS5_5ELb0ES3_mN6thrust23THRUST_200600_302600_NS6detail15normal_iteratorINSA_10device_ptrIxEEEEPS6_NSA_18transform_iteratorINSB_9not_fun_tI7is_trueIxEEESF_NSA_11use_defaultESM_EENS0_5tupleIJSF_S6_EEENSO_IJSG_SG_EEES6_PlJS6_EEE10hipError_tPvRmT3_T4_T5_T6_T7_T9_mT8_P12ihipStream_tbDpT10_ENKUlT_T0_E_clISt17integral_constantIbLb0EES1A_IbLb1EEEEDaS16_S17_EUlS16_E_NS1_11comp_targetILNS1_3genE0ELNS1_11target_archE4294967295ELNS1_3gpuE0ELNS1_3repE0EEENS1_30default_config_static_selectorELNS0_4arch9wavefront6targetE0EEEvT1_.uses_flat_scratch, 0
	.set _ZN7rocprim17ROCPRIM_400000_NS6detail17trampoline_kernelINS0_14default_configENS1_25partition_config_selectorILNS1_17partition_subalgoE5ExNS0_10empty_typeEbEEZZNS1_14partition_implILS5_5ELb0ES3_mN6thrust23THRUST_200600_302600_NS6detail15normal_iteratorINSA_10device_ptrIxEEEEPS6_NSA_18transform_iteratorINSB_9not_fun_tI7is_trueIxEEESF_NSA_11use_defaultESM_EENS0_5tupleIJSF_S6_EEENSO_IJSG_SG_EEES6_PlJS6_EEE10hipError_tPvRmT3_T4_T5_T6_T7_T9_mT8_P12ihipStream_tbDpT10_ENKUlT_T0_E_clISt17integral_constantIbLb0EES1A_IbLb1EEEEDaS16_S17_EUlS16_E_NS1_11comp_targetILNS1_3genE0ELNS1_11target_archE4294967295ELNS1_3gpuE0ELNS1_3repE0EEENS1_30default_config_static_selectorELNS0_4arch9wavefront6targetE0EEEvT1_.has_dyn_sized_stack, 0
	.set _ZN7rocprim17ROCPRIM_400000_NS6detail17trampoline_kernelINS0_14default_configENS1_25partition_config_selectorILNS1_17partition_subalgoE5ExNS0_10empty_typeEbEEZZNS1_14partition_implILS5_5ELb0ES3_mN6thrust23THRUST_200600_302600_NS6detail15normal_iteratorINSA_10device_ptrIxEEEEPS6_NSA_18transform_iteratorINSB_9not_fun_tI7is_trueIxEEESF_NSA_11use_defaultESM_EENS0_5tupleIJSF_S6_EEENSO_IJSG_SG_EEES6_PlJS6_EEE10hipError_tPvRmT3_T4_T5_T6_T7_T9_mT8_P12ihipStream_tbDpT10_ENKUlT_T0_E_clISt17integral_constantIbLb0EES1A_IbLb1EEEEDaS16_S17_EUlS16_E_NS1_11comp_targetILNS1_3genE0ELNS1_11target_archE4294967295ELNS1_3gpuE0ELNS1_3repE0EEENS1_30default_config_static_selectorELNS0_4arch9wavefront6targetE0EEEvT1_.has_recursion, 0
	.set _ZN7rocprim17ROCPRIM_400000_NS6detail17trampoline_kernelINS0_14default_configENS1_25partition_config_selectorILNS1_17partition_subalgoE5ExNS0_10empty_typeEbEEZZNS1_14partition_implILS5_5ELb0ES3_mN6thrust23THRUST_200600_302600_NS6detail15normal_iteratorINSA_10device_ptrIxEEEEPS6_NSA_18transform_iteratorINSB_9not_fun_tI7is_trueIxEEESF_NSA_11use_defaultESM_EENS0_5tupleIJSF_S6_EEENSO_IJSG_SG_EEES6_PlJS6_EEE10hipError_tPvRmT3_T4_T5_T6_T7_T9_mT8_P12ihipStream_tbDpT10_ENKUlT_T0_E_clISt17integral_constantIbLb0EES1A_IbLb1EEEEDaS16_S17_EUlS16_E_NS1_11comp_targetILNS1_3genE0ELNS1_11target_archE4294967295ELNS1_3gpuE0ELNS1_3repE0EEENS1_30default_config_static_selectorELNS0_4arch9wavefront6targetE0EEEvT1_.has_indirect_call, 0
	.section	.AMDGPU.csdata,"",@progbits
; Kernel info:
; codeLenInByte = 0
; TotalNumSgprs: 0
; NumVgprs: 0
; ScratchSize: 0
; MemoryBound: 0
; FloatMode: 240
; IeeeMode: 1
; LDSByteSize: 0 bytes/workgroup (compile time only)
; SGPRBlocks: 0
; VGPRBlocks: 0
; NumSGPRsForWavesPerEU: 1
; NumVGPRsForWavesPerEU: 1
; Occupancy: 16
; WaveLimiterHint : 0
; COMPUTE_PGM_RSRC2:SCRATCH_EN: 0
; COMPUTE_PGM_RSRC2:USER_SGPR: 2
; COMPUTE_PGM_RSRC2:TRAP_HANDLER: 0
; COMPUTE_PGM_RSRC2:TGID_X_EN: 1
; COMPUTE_PGM_RSRC2:TGID_Y_EN: 0
; COMPUTE_PGM_RSRC2:TGID_Z_EN: 0
; COMPUTE_PGM_RSRC2:TIDIG_COMP_CNT: 0
	.section	.text._ZN7rocprim17ROCPRIM_400000_NS6detail17trampoline_kernelINS0_14default_configENS1_25partition_config_selectorILNS1_17partition_subalgoE5ExNS0_10empty_typeEbEEZZNS1_14partition_implILS5_5ELb0ES3_mN6thrust23THRUST_200600_302600_NS6detail15normal_iteratorINSA_10device_ptrIxEEEEPS6_NSA_18transform_iteratorINSB_9not_fun_tI7is_trueIxEEESF_NSA_11use_defaultESM_EENS0_5tupleIJSF_S6_EEENSO_IJSG_SG_EEES6_PlJS6_EEE10hipError_tPvRmT3_T4_T5_T6_T7_T9_mT8_P12ihipStream_tbDpT10_ENKUlT_T0_E_clISt17integral_constantIbLb0EES1A_IbLb1EEEEDaS16_S17_EUlS16_E_NS1_11comp_targetILNS1_3genE5ELNS1_11target_archE942ELNS1_3gpuE9ELNS1_3repE0EEENS1_30default_config_static_selectorELNS0_4arch9wavefront6targetE0EEEvT1_,"axG",@progbits,_ZN7rocprim17ROCPRIM_400000_NS6detail17trampoline_kernelINS0_14default_configENS1_25partition_config_selectorILNS1_17partition_subalgoE5ExNS0_10empty_typeEbEEZZNS1_14partition_implILS5_5ELb0ES3_mN6thrust23THRUST_200600_302600_NS6detail15normal_iteratorINSA_10device_ptrIxEEEEPS6_NSA_18transform_iteratorINSB_9not_fun_tI7is_trueIxEEESF_NSA_11use_defaultESM_EENS0_5tupleIJSF_S6_EEENSO_IJSG_SG_EEES6_PlJS6_EEE10hipError_tPvRmT3_T4_T5_T6_T7_T9_mT8_P12ihipStream_tbDpT10_ENKUlT_T0_E_clISt17integral_constantIbLb0EES1A_IbLb1EEEEDaS16_S17_EUlS16_E_NS1_11comp_targetILNS1_3genE5ELNS1_11target_archE942ELNS1_3gpuE9ELNS1_3repE0EEENS1_30default_config_static_selectorELNS0_4arch9wavefront6targetE0EEEvT1_,comdat
	.protected	_ZN7rocprim17ROCPRIM_400000_NS6detail17trampoline_kernelINS0_14default_configENS1_25partition_config_selectorILNS1_17partition_subalgoE5ExNS0_10empty_typeEbEEZZNS1_14partition_implILS5_5ELb0ES3_mN6thrust23THRUST_200600_302600_NS6detail15normal_iteratorINSA_10device_ptrIxEEEEPS6_NSA_18transform_iteratorINSB_9not_fun_tI7is_trueIxEEESF_NSA_11use_defaultESM_EENS0_5tupleIJSF_S6_EEENSO_IJSG_SG_EEES6_PlJS6_EEE10hipError_tPvRmT3_T4_T5_T6_T7_T9_mT8_P12ihipStream_tbDpT10_ENKUlT_T0_E_clISt17integral_constantIbLb0EES1A_IbLb1EEEEDaS16_S17_EUlS16_E_NS1_11comp_targetILNS1_3genE5ELNS1_11target_archE942ELNS1_3gpuE9ELNS1_3repE0EEENS1_30default_config_static_selectorELNS0_4arch9wavefront6targetE0EEEvT1_ ; -- Begin function _ZN7rocprim17ROCPRIM_400000_NS6detail17trampoline_kernelINS0_14default_configENS1_25partition_config_selectorILNS1_17partition_subalgoE5ExNS0_10empty_typeEbEEZZNS1_14partition_implILS5_5ELb0ES3_mN6thrust23THRUST_200600_302600_NS6detail15normal_iteratorINSA_10device_ptrIxEEEEPS6_NSA_18transform_iteratorINSB_9not_fun_tI7is_trueIxEEESF_NSA_11use_defaultESM_EENS0_5tupleIJSF_S6_EEENSO_IJSG_SG_EEES6_PlJS6_EEE10hipError_tPvRmT3_T4_T5_T6_T7_T9_mT8_P12ihipStream_tbDpT10_ENKUlT_T0_E_clISt17integral_constantIbLb0EES1A_IbLb1EEEEDaS16_S17_EUlS16_E_NS1_11comp_targetILNS1_3genE5ELNS1_11target_archE942ELNS1_3gpuE9ELNS1_3repE0EEENS1_30default_config_static_selectorELNS0_4arch9wavefront6targetE0EEEvT1_
	.globl	_ZN7rocprim17ROCPRIM_400000_NS6detail17trampoline_kernelINS0_14default_configENS1_25partition_config_selectorILNS1_17partition_subalgoE5ExNS0_10empty_typeEbEEZZNS1_14partition_implILS5_5ELb0ES3_mN6thrust23THRUST_200600_302600_NS6detail15normal_iteratorINSA_10device_ptrIxEEEEPS6_NSA_18transform_iteratorINSB_9not_fun_tI7is_trueIxEEESF_NSA_11use_defaultESM_EENS0_5tupleIJSF_S6_EEENSO_IJSG_SG_EEES6_PlJS6_EEE10hipError_tPvRmT3_T4_T5_T6_T7_T9_mT8_P12ihipStream_tbDpT10_ENKUlT_T0_E_clISt17integral_constantIbLb0EES1A_IbLb1EEEEDaS16_S17_EUlS16_E_NS1_11comp_targetILNS1_3genE5ELNS1_11target_archE942ELNS1_3gpuE9ELNS1_3repE0EEENS1_30default_config_static_selectorELNS0_4arch9wavefront6targetE0EEEvT1_
	.p2align	8
	.type	_ZN7rocprim17ROCPRIM_400000_NS6detail17trampoline_kernelINS0_14default_configENS1_25partition_config_selectorILNS1_17partition_subalgoE5ExNS0_10empty_typeEbEEZZNS1_14partition_implILS5_5ELb0ES3_mN6thrust23THRUST_200600_302600_NS6detail15normal_iteratorINSA_10device_ptrIxEEEEPS6_NSA_18transform_iteratorINSB_9not_fun_tI7is_trueIxEEESF_NSA_11use_defaultESM_EENS0_5tupleIJSF_S6_EEENSO_IJSG_SG_EEES6_PlJS6_EEE10hipError_tPvRmT3_T4_T5_T6_T7_T9_mT8_P12ihipStream_tbDpT10_ENKUlT_T0_E_clISt17integral_constantIbLb0EES1A_IbLb1EEEEDaS16_S17_EUlS16_E_NS1_11comp_targetILNS1_3genE5ELNS1_11target_archE942ELNS1_3gpuE9ELNS1_3repE0EEENS1_30default_config_static_selectorELNS0_4arch9wavefront6targetE0EEEvT1_,@function
_ZN7rocprim17ROCPRIM_400000_NS6detail17trampoline_kernelINS0_14default_configENS1_25partition_config_selectorILNS1_17partition_subalgoE5ExNS0_10empty_typeEbEEZZNS1_14partition_implILS5_5ELb0ES3_mN6thrust23THRUST_200600_302600_NS6detail15normal_iteratorINSA_10device_ptrIxEEEEPS6_NSA_18transform_iteratorINSB_9not_fun_tI7is_trueIxEEESF_NSA_11use_defaultESM_EENS0_5tupleIJSF_S6_EEENSO_IJSG_SG_EEES6_PlJS6_EEE10hipError_tPvRmT3_T4_T5_T6_T7_T9_mT8_P12ihipStream_tbDpT10_ENKUlT_T0_E_clISt17integral_constantIbLb0EES1A_IbLb1EEEEDaS16_S17_EUlS16_E_NS1_11comp_targetILNS1_3genE5ELNS1_11target_archE942ELNS1_3gpuE9ELNS1_3repE0EEENS1_30default_config_static_selectorELNS0_4arch9wavefront6targetE0EEEvT1_: ; @_ZN7rocprim17ROCPRIM_400000_NS6detail17trampoline_kernelINS0_14default_configENS1_25partition_config_selectorILNS1_17partition_subalgoE5ExNS0_10empty_typeEbEEZZNS1_14partition_implILS5_5ELb0ES3_mN6thrust23THRUST_200600_302600_NS6detail15normal_iteratorINSA_10device_ptrIxEEEEPS6_NSA_18transform_iteratorINSB_9not_fun_tI7is_trueIxEEESF_NSA_11use_defaultESM_EENS0_5tupleIJSF_S6_EEENSO_IJSG_SG_EEES6_PlJS6_EEE10hipError_tPvRmT3_T4_T5_T6_T7_T9_mT8_P12ihipStream_tbDpT10_ENKUlT_T0_E_clISt17integral_constantIbLb0EES1A_IbLb1EEEEDaS16_S17_EUlS16_E_NS1_11comp_targetILNS1_3genE5ELNS1_11target_archE942ELNS1_3gpuE9ELNS1_3repE0EEENS1_30default_config_static_selectorELNS0_4arch9wavefront6targetE0EEEvT1_
; %bb.0:
	.section	.rodata,"a",@progbits
	.p2align	6, 0x0
	.amdhsa_kernel _ZN7rocprim17ROCPRIM_400000_NS6detail17trampoline_kernelINS0_14default_configENS1_25partition_config_selectorILNS1_17partition_subalgoE5ExNS0_10empty_typeEbEEZZNS1_14partition_implILS5_5ELb0ES3_mN6thrust23THRUST_200600_302600_NS6detail15normal_iteratorINSA_10device_ptrIxEEEEPS6_NSA_18transform_iteratorINSB_9not_fun_tI7is_trueIxEEESF_NSA_11use_defaultESM_EENS0_5tupleIJSF_S6_EEENSO_IJSG_SG_EEES6_PlJS6_EEE10hipError_tPvRmT3_T4_T5_T6_T7_T9_mT8_P12ihipStream_tbDpT10_ENKUlT_T0_E_clISt17integral_constantIbLb0EES1A_IbLb1EEEEDaS16_S17_EUlS16_E_NS1_11comp_targetILNS1_3genE5ELNS1_11target_archE942ELNS1_3gpuE9ELNS1_3repE0EEENS1_30default_config_static_selectorELNS0_4arch9wavefront6targetE0EEEvT1_
		.amdhsa_group_segment_fixed_size 0
		.amdhsa_private_segment_fixed_size 0
		.amdhsa_kernarg_size 136
		.amdhsa_user_sgpr_count 2
		.amdhsa_user_sgpr_dispatch_ptr 0
		.amdhsa_user_sgpr_queue_ptr 0
		.amdhsa_user_sgpr_kernarg_segment_ptr 1
		.amdhsa_user_sgpr_dispatch_id 0
		.amdhsa_user_sgpr_private_segment_size 0
		.amdhsa_wavefront_size32 1
		.amdhsa_uses_dynamic_stack 0
		.amdhsa_enable_private_segment 0
		.amdhsa_system_sgpr_workgroup_id_x 1
		.amdhsa_system_sgpr_workgroup_id_y 0
		.amdhsa_system_sgpr_workgroup_id_z 0
		.amdhsa_system_sgpr_workgroup_info 0
		.amdhsa_system_vgpr_workitem_id 0
		.amdhsa_next_free_vgpr 1
		.amdhsa_next_free_sgpr 1
		.amdhsa_reserve_vcc 0
		.amdhsa_float_round_mode_32 0
		.amdhsa_float_round_mode_16_64 0
		.amdhsa_float_denorm_mode_32 3
		.amdhsa_float_denorm_mode_16_64 3
		.amdhsa_fp16_overflow 0
		.amdhsa_workgroup_processor_mode 1
		.amdhsa_memory_ordered 1
		.amdhsa_forward_progress 1
		.amdhsa_inst_pref_size 0
		.amdhsa_round_robin_scheduling 0
		.amdhsa_exception_fp_ieee_invalid_op 0
		.amdhsa_exception_fp_denorm_src 0
		.amdhsa_exception_fp_ieee_div_zero 0
		.amdhsa_exception_fp_ieee_overflow 0
		.amdhsa_exception_fp_ieee_underflow 0
		.amdhsa_exception_fp_ieee_inexact 0
		.amdhsa_exception_int_div_zero 0
	.end_amdhsa_kernel
	.section	.text._ZN7rocprim17ROCPRIM_400000_NS6detail17trampoline_kernelINS0_14default_configENS1_25partition_config_selectorILNS1_17partition_subalgoE5ExNS0_10empty_typeEbEEZZNS1_14partition_implILS5_5ELb0ES3_mN6thrust23THRUST_200600_302600_NS6detail15normal_iteratorINSA_10device_ptrIxEEEEPS6_NSA_18transform_iteratorINSB_9not_fun_tI7is_trueIxEEESF_NSA_11use_defaultESM_EENS0_5tupleIJSF_S6_EEENSO_IJSG_SG_EEES6_PlJS6_EEE10hipError_tPvRmT3_T4_T5_T6_T7_T9_mT8_P12ihipStream_tbDpT10_ENKUlT_T0_E_clISt17integral_constantIbLb0EES1A_IbLb1EEEEDaS16_S17_EUlS16_E_NS1_11comp_targetILNS1_3genE5ELNS1_11target_archE942ELNS1_3gpuE9ELNS1_3repE0EEENS1_30default_config_static_selectorELNS0_4arch9wavefront6targetE0EEEvT1_,"axG",@progbits,_ZN7rocprim17ROCPRIM_400000_NS6detail17trampoline_kernelINS0_14default_configENS1_25partition_config_selectorILNS1_17partition_subalgoE5ExNS0_10empty_typeEbEEZZNS1_14partition_implILS5_5ELb0ES3_mN6thrust23THRUST_200600_302600_NS6detail15normal_iteratorINSA_10device_ptrIxEEEEPS6_NSA_18transform_iteratorINSB_9not_fun_tI7is_trueIxEEESF_NSA_11use_defaultESM_EENS0_5tupleIJSF_S6_EEENSO_IJSG_SG_EEES6_PlJS6_EEE10hipError_tPvRmT3_T4_T5_T6_T7_T9_mT8_P12ihipStream_tbDpT10_ENKUlT_T0_E_clISt17integral_constantIbLb0EES1A_IbLb1EEEEDaS16_S17_EUlS16_E_NS1_11comp_targetILNS1_3genE5ELNS1_11target_archE942ELNS1_3gpuE9ELNS1_3repE0EEENS1_30default_config_static_selectorELNS0_4arch9wavefront6targetE0EEEvT1_,comdat
.Lfunc_end1492:
	.size	_ZN7rocprim17ROCPRIM_400000_NS6detail17trampoline_kernelINS0_14default_configENS1_25partition_config_selectorILNS1_17partition_subalgoE5ExNS0_10empty_typeEbEEZZNS1_14partition_implILS5_5ELb0ES3_mN6thrust23THRUST_200600_302600_NS6detail15normal_iteratorINSA_10device_ptrIxEEEEPS6_NSA_18transform_iteratorINSB_9not_fun_tI7is_trueIxEEESF_NSA_11use_defaultESM_EENS0_5tupleIJSF_S6_EEENSO_IJSG_SG_EEES6_PlJS6_EEE10hipError_tPvRmT3_T4_T5_T6_T7_T9_mT8_P12ihipStream_tbDpT10_ENKUlT_T0_E_clISt17integral_constantIbLb0EES1A_IbLb1EEEEDaS16_S17_EUlS16_E_NS1_11comp_targetILNS1_3genE5ELNS1_11target_archE942ELNS1_3gpuE9ELNS1_3repE0EEENS1_30default_config_static_selectorELNS0_4arch9wavefront6targetE0EEEvT1_, .Lfunc_end1492-_ZN7rocprim17ROCPRIM_400000_NS6detail17trampoline_kernelINS0_14default_configENS1_25partition_config_selectorILNS1_17partition_subalgoE5ExNS0_10empty_typeEbEEZZNS1_14partition_implILS5_5ELb0ES3_mN6thrust23THRUST_200600_302600_NS6detail15normal_iteratorINSA_10device_ptrIxEEEEPS6_NSA_18transform_iteratorINSB_9not_fun_tI7is_trueIxEEESF_NSA_11use_defaultESM_EENS0_5tupleIJSF_S6_EEENSO_IJSG_SG_EEES6_PlJS6_EEE10hipError_tPvRmT3_T4_T5_T6_T7_T9_mT8_P12ihipStream_tbDpT10_ENKUlT_T0_E_clISt17integral_constantIbLb0EES1A_IbLb1EEEEDaS16_S17_EUlS16_E_NS1_11comp_targetILNS1_3genE5ELNS1_11target_archE942ELNS1_3gpuE9ELNS1_3repE0EEENS1_30default_config_static_selectorELNS0_4arch9wavefront6targetE0EEEvT1_
                                        ; -- End function
	.set _ZN7rocprim17ROCPRIM_400000_NS6detail17trampoline_kernelINS0_14default_configENS1_25partition_config_selectorILNS1_17partition_subalgoE5ExNS0_10empty_typeEbEEZZNS1_14partition_implILS5_5ELb0ES3_mN6thrust23THRUST_200600_302600_NS6detail15normal_iteratorINSA_10device_ptrIxEEEEPS6_NSA_18transform_iteratorINSB_9not_fun_tI7is_trueIxEEESF_NSA_11use_defaultESM_EENS0_5tupleIJSF_S6_EEENSO_IJSG_SG_EEES6_PlJS6_EEE10hipError_tPvRmT3_T4_T5_T6_T7_T9_mT8_P12ihipStream_tbDpT10_ENKUlT_T0_E_clISt17integral_constantIbLb0EES1A_IbLb1EEEEDaS16_S17_EUlS16_E_NS1_11comp_targetILNS1_3genE5ELNS1_11target_archE942ELNS1_3gpuE9ELNS1_3repE0EEENS1_30default_config_static_selectorELNS0_4arch9wavefront6targetE0EEEvT1_.num_vgpr, 0
	.set _ZN7rocprim17ROCPRIM_400000_NS6detail17trampoline_kernelINS0_14default_configENS1_25partition_config_selectorILNS1_17partition_subalgoE5ExNS0_10empty_typeEbEEZZNS1_14partition_implILS5_5ELb0ES3_mN6thrust23THRUST_200600_302600_NS6detail15normal_iteratorINSA_10device_ptrIxEEEEPS6_NSA_18transform_iteratorINSB_9not_fun_tI7is_trueIxEEESF_NSA_11use_defaultESM_EENS0_5tupleIJSF_S6_EEENSO_IJSG_SG_EEES6_PlJS6_EEE10hipError_tPvRmT3_T4_T5_T6_T7_T9_mT8_P12ihipStream_tbDpT10_ENKUlT_T0_E_clISt17integral_constantIbLb0EES1A_IbLb1EEEEDaS16_S17_EUlS16_E_NS1_11comp_targetILNS1_3genE5ELNS1_11target_archE942ELNS1_3gpuE9ELNS1_3repE0EEENS1_30default_config_static_selectorELNS0_4arch9wavefront6targetE0EEEvT1_.num_agpr, 0
	.set _ZN7rocprim17ROCPRIM_400000_NS6detail17trampoline_kernelINS0_14default_configENS1_25partition_config_selectorILNS1_17partition_subalgoE5ExNS0_10empty_typeEbEEZZNS1_14partition_implILS5_5ELb0ES3_mN6thrust23THRUST_200600_302600_NS6detail15normal_iteratorINSA_10device_ptrIxEEEEPS6_NSA_18transform_iteratorINSB_9not_fun_tI7is_trueIxEEESF_NSA_11use_defaultESM_EENS0_5tupleIJSF_S6_EEENSO_IJSG_SG_EEES6_PlJS6_EEE10hipError_tPvRmT3_T4_T5_T6_T7_T9_mT8_P12ihipStream_tbDpT10_ENKUlT_T0_E_clISt17integral_constantIbLb0EES1A_IbLb1EEEEDaS16_S17_EUlS16_E_NS1_11comp_targetILNS1_3genE5ELNS1_11target_archE942ELNS1_3gpuE9ELNS1_3repE0EEENS1_30default_config_static_selectorELNS0_4arch9wavefront6targetE0EEEvT1_.numbered_sgpr, 0
	.set _ZN7rocprim17ROCPRIM_400000_NS6detail17trampoline_kernelINS0_14default_configENS1_25partition_config_selectorILNS1_17partition_subalgoE5ExNS0_10empty_typeEbEEZZNS1_14partition_implILS5_5ELb0ES3_mN6thrust23THRUST_200600_302600_NS6detail15normal_iteratorINSA_10device_ptrIxEEEEPS6_NSA_18transform_iteratorINSB_9not_fun_tI7is_trueIxEEESF_NSA_11use_defaultESM_EENS0_5tupleIJSF_S6_EEENSO_IJSG_SG_EEES6_PlJS6_EEE10hipError_tPvRmT3_T4_T5_T6_T7_T9_mT8_P12ihipStream_tbDpT10_ENKUlT_T0_E_clISt17integral_constantIbLb0EES1A_IbLb1EEEEDaS16_S17_EUlS16_E_NS1_11comp_targetILNS1_3genE5ELNS1_11target_archE942ELNS1_3gpuE9ELNS1_3repE0EEENS1_30default_config_static_selectorELNS0_4arch9wavefront6targetE0EEEvT1_.num_named_barrier, 0
	.set _ZN7rocprim17ROCPRIM_400000_NS6detail17trampoline_kernelINS0_14default_configENS1_25partition_config_selectorILNS1_17partition_subalgoE5ExNS0_10empty_typeEbEEZZNS1_14partition_implILS5_5ELb0ES3_mN6thrust23THRUST_200600_302600_NS6detail15normal_iteratorINSA_10device_ptrIxEEEEPS6_NSA_18transform_iteratorINSB_9not_fun_tI7is_trueIxEEESF_NSA_11use_defaultESM_EENS0_5tupleIJSF_S6_EEENSO_IJSG_SG_EEES6_PlJS6_EEE10hipError_tPvRmT3_T4_T5_T6_T7_T9_mT8_P12ihipStream_tbDpT10_ENKUlT_T0_E_clISt17integral_constantIbLb0EES1A_IbLb1EEEEDaS16_S17_EUlS16_E_NS1_11comp_targetILNS1_3genE5ELNS1_11target_archE942ELNS1_3gpuE9ELNS1_3repE0EEENS1_30default_config_static_selectorELNS0_4arch9wavefront6targetE0EEEvT1_.private_seg_size, 0
	.set _ZN7rocprim17ROCPRIM_400000_NS6detail17trampoline_kernelINS0_14default_configENS1_25partition_config_selectorILNS1_17partition_subalgoE5ExNS0_10empty_typeEbEEZZNS1_14partition_implILS5_5ELb0ES3_mN6thrust23THRUST_200600_302600_NS6detail15normal_iteratorINSA_10device_ptrIxEEEEPS6_NSA_18transform_iteratorINSB_9not_fun_tI7is_trueIxEEESF_NSA_11use_defaultESM_EENS0_5tupleIJSF_S6_EEENSO_IJSG_SG_EEES6_PlJS6_EEE10hipError_tPvRmT3_T4_T5_T6_T7_T9_mT8_P12ihipStream_tbDpT10_ENKUlT_T0_E_clISt17integral_constantIbLb0EES1A_IbLb1EEEEDaS16_S17_EUlS16_E_NS1_11comp_targetILNS1_3genE5ELNS1_11target_archE942ELNS1_3gpuE9ELNS1_3repE0EEENS1_30default_config_static_selectorELNS0_4arch9wavefront6targetE0EEEvT1_.uses_vcc, 0
	.set _ZN7rocprim17ROCPRIM_400000_NS6detail17trampoline_kernelINS0_14default_configENS1_25partition_config_selectorILNS1_17partition_subalgoE5ExNS0_10empty_typeEbEEZZNS1_14partition_implILS5_5ELb0ES3_mN6thrust23THRUST_200600_302600_NS6detail15normal_iteratorINSA_10device_ptrIxEEEEPS6_NSA_18transform_iteratorINSB_9not_fun_tI7is_trueIxEEESF_NSA_11use_defaultESM_EENS0_5tupleIJSF_S6_EEENSO_IJSG_SG_EEES6_PlJS6_EEE10hipError_tPvRmT3_T4_T5_T6_T7_T9_mT8_P12ihipStream_tbDpT10_ENKUlT_T0_E_clISt17integral_constantIbLb0EES1A_IbLb1EEEEDaS16_S17_EUlS16_E_NS1_11comp_targetILNS1_3genE5ELNS1_11target_archE942ELNS1_3gpuE9ELNS1_3repE0EEENS1_30default_config_static_selectorELNS0_4arch9wavefront6targetE0EEEvT1_.uses_flat_scratch, 0
	.set _ZN7rocprim17ROCPRIM_400000_NS6detail17trampoline_kernelINS0_14default_configENS1_25partition_config_selectorILNS1_17partition_subalgoE5ExNS0_10empty_typeEbEEZZNS1_14partition_implILS5_5ELb0ES3_mN6thrust23THRUST_200600_302600_NS6detail15normal_iteratorINSA_10device_ptrIxEEEEPS6_NSA_18transform_iteratorINSB_9not_fun_tI7is_trueIxEEESF_NSA_11use_defaultESM_EENS0_5tupleIJSF_S6_EEENSO_IJSG_SG_EEES6_PlJS6_EEE10hipError_tPvRmT3_T4_T5_T6_T7_T9_mT8_P12ihipStream_tbDpT10_ENKUlT_T0_E_clISt17integral_constantIbLb0EES1A_IbLb1EEEEDaS16_S17_EUlS16_E_NS1_11comp_targetILNS1_3genE5ELNS1_11target_archE942ELNS1_3gpuE9ELNS1_3repE0EEENS1_30default_config_static_selectorELNS0_4arch9wavefront6targetE0EEEvT1_.has_dyn_sized_stack, 0
	.set _ZN7rocprim17ROCPRIM_400000_NS6detail17trampoline_kernelINS0_14default_configENS1_25partition_config_selectorILNS1_17partition_subalgoE5ExNS0_10empty_typeEbEEZZNS1_14partition_implILS5_5ELb0ES3_mN6thrust23THRUST_200600_302600_NS6detail15normal_iteratorINSA_10device_ptrIxEEEEPS6_NSA_18transform_iteratorINSB_9not_fun_tI7is_trueIxEEESF_NSA_11use_defaultESM_EENS0_5tupleIJSF_S6_EEENSO_IJSG_SG_EEES6_PlJS6_EEE10hipError_tPvRmT3_T4_T5_T6_T7_T9_mT8_P12ihipStream_tbDpT10_ENKUlT_T0_E_clISt17integral_constantIbLb0EES1A_IbLb1EEEEDaS16_S17_EUlS16_E_NS1_11comp_targetILNS1_3genE5ELNS1_11target_archE942ELNS1_3gpuE9ELNS1_3repE0EEENS1_30default_config_static_selectorELNS0_4arch9wavefront6targetE0EEEvT1_.has_recursion, 0
	.set _ZN7rocprim17ROCPRIM_400000_NS6detail17trampoline_kernelINS0_14default_configENS1_25partition_config_selectorILNS1_17partition_subalgoE5ExNS0_10empty_typeEbEEZZNS1_14partition_implILS5_5ELb0ES3_mN6thrust23THRUST_200600_302600_NS6detail15normal_iteratorINSA_10device_ptrIxEEEEPS6_NSA_18transform_iteratorINSB_9not_fun_tI7is_trueIxEEESF_NSA_11use_defaultESM_EENS0_5tupleIJSF_S6_EEENSO_IJSG_SG_EEES6_PlJS6_EEE10hipError_tPvRmT3_T4_T5_T6_T7_T9_mT8_P12ihipStream_tbDpT10_ENKUlT_T0_E_clISt17integral_constantIbLb0EES1A_IbLb1EEEEDaS16_S17_EUlS16_E_NS1_11comp_targetILNS1_3genE5ELNS1_11target_archE942ELNS1_3gpuE9ELNS1_3repE0EEENS1_30default_config_static_selectorELNS0_4arch9wavefront6targetE0EEEvT1_.has_indirect_call, 0
	.section	.AMDGPU.csdata,"",@progbits
; Kernel info:
; codeLenInByte = 0
; TotalNumSgprs: 0
; NumVgprs: 0
; ScratchSize: 0
; MemoryBound: 0
; FloatMode: 240
; IeeeMode: 1
; LDSByteSize: 0 bytes/workgroup (compile time only)
; SGPRBlocks: 0
; VGPRBlocks: 0
; NumSGPRsForWavesPerEU: 1
; NumVGPRsForWavesPerEU: 1
; Occupancy: 16
; WaveLimiterHint : 0
; COMPUTE_PGM_RSRC2:SCRATCH_EN: 0
; COMPUTE_PGM_RSRC2:USER_SGPR: 2
; COMPUTE_PGM_RSRC2:TRAP_HANDLER: 0
; COMPUTE_PGM_RSRC2:TGID_X_EN: 1
; COMPUTE_PGM_RSRC2:TGID_Y_EN: 0
; COMPUTE_PGM_RSRC2:TGID_Z_EN: 0
; COMPUTE_PGM_RSRC2:TIDIG_COMP_CNT: 0
	.section	.text._ZN7rocprim17ROCPRIM_400000_NS6detail17trampoline_kernelINS0_14default_configENS1_25partition_config_selectorILNS1_17partition_subalgoE5ExNS0_10empty_typeEbEEZZNS1_14partition_implILS5_5ELb0ES3_mN6thrust23THRUST_200600_302600_NS6detail15normal_iteratorINSA_10device_ptrIxEEEEPS6_NSA_18transform_iteratorINSB_9not_fun_tI7is_trueIxEEESF_NSA_11use_defaultESM_EENS0_5tupleIJSF_S6_EEENSO_IJSG_SG_EEES6_PlJS6_EEE10hipError_tPvRmT3_T4_T5_T6_T7_T9_mT8_P12ihipStream_tbDpT10_ENKUlT_T0_E_clISt17integral_constantIbLb0EES1A_IbLb1EEEEDaS16_S17_EUlS16_E_NS1_11comp_targetILNS1_3genE4ELNS1_11target_archE910ELNS1_3gpuE8ELNS1_3repE0EEENS1_30default_config_static_selectorELNS0_4arch9wavefront6targetE0EEEvT1_,"axG",@progbits,_ZN7rocprim17ROCPRIM_400000_NS6detail17trampoline_kernelINS0_14default_configENS1_25partition_config_selectorILNS1_17partition_subalgoE5ExNS0_10empty_typeEbEEZZNS1_14partition_implILS5_5ELb0ES3_mN6thrust23THRUST_200600_302600_NS6detail15normal_iteratorINSA_10device_ptrIxEEEEPS6_NSA_18transform_iteratorINSB_9not_fun_tI7is_trueIxEEESF_NSA_11use_defaultESM_EENS0_5tupleIJSF_S6_EEENSO_IJSG_SG_EEES6_PlJS6_EEE10hipError_tPvRmT3_T4_T5_T6_T7_T9_mT8_P12ihipStream_tbDpT10_ENKUlT_T0_E_clISt17integral_constantIbLb0EES1A_IbLb1EEEEDaS16_S17_EUlS16_E_NS1_11comp_targetILNS1_3genE4ELNS1_11target_archE910ELNS1_3gpuE8ELNS1_3repE0EEENS1_30default_config_static_selectorELNS0_4arch9wavefront6targetE0EEEvT1_,comdat
	.protected	_ZN7rocprim17ROCPRIM_400000_NS6detail17trampoline_kernelINS0_14default_configENS1_25partition_config_selectorILNS1_17partition_subalgoE5ExNS0_10empty_typeEbEEZZNS1_14partition_implILS5_5ELb0ES3_mN6thrust23THRUST_200600_302600_NS6detail15normal_iteratorINSA_10device_ptrIxEEEEPS6_NSA_18transform_iteratorINSB_9not_fun_tI7is_trueIxEEESF_NSA_11use_defaultESM_EENS0_5tupleIJSF_S6_EEENSO_IJSG_SG_EEES6_PlJS6_EEE10hipError_tPvRmT3_T4_T5_T6_T7_T9_mT8_P12ihipStream_tbDpT10_ENKUlT_T0_E_clISt17integral_constantIbLb0EES1A_IbLb1EEEEDaS16_S17_EUlS16_E_NS1_11comp_targetILNS1_3genE4ELNS1_11target_archE910ELNS1_3gpuE8ELNS1_3repE0EEENS1_30default_config_static_selectorELNS0_4arch9wavefront6targetE0EEEvT1_ ; -- Begin function _ZN7rocprim17ROCPRIM_400000_NS6detail17trampoline_kernelINS0_14default_configENS1_25partition_config_selectorILNS1_17partition_subalgoE5ExNS0_10empty_typeEbEEZZNS1_14partition_implILS5_5ELb0ES3_mN6thrust23THRUST_200600_302600_NS6detail15normal_iteratorINSA_10device_ptrIxEEEEPS6_NSA_18transform_iteratorINSB_9not_fun_tI7is_trueIxEEESF_NSA_11use_defaultESM_EENS0_5tupleIJSF_S6_EEENSO_IJSG_SG_EEES6_PlJS6_EEE10hipError_tPvRmT3_T4_T5_T6_T7_T9_mT8_P12ihipStream_tbDpT10_ENKUlT_T0_E_clISt17integral_constantIbLb0EES1A_IbLb1EEEEDaS16_S17_EUlS16_E_NS1_11comp_targetILNS1_3genE4ELNS1_11target_archE910ELNS1_3gpuE8ELNS1_3repE0EEENS1_30default_config_static_selectorELNS0_4arch9wavefront6targetE0EEEvT1_
	.globl	_ZN7rocprim17ROCPRIM_400000_NS6detail17trampoline_kernelINS0_14default_configENS1_25partition_config_selectorILNS1_17partition_subalgoE5ExNS0_10empty_typeEbEEZZNS1_14partition_implILS5_5ELb0ES3_mN6thrust23THRUST_200600_302600_NS6detail15normal_iteratorINSA_10device_ptrIxEEEEPS6_NSA_18transform_iteratorINSB_9not_fun_tI7is_trueIxEEESF_NSA_11use_defaultESM_EENS0_5tupleIJSF_S6_EEENSO_IJSG_SG_EEES6_PlJS6_EEE10hipError_tPvRmT3_T4_T5_T6_T7_T9_mT8_P12ihipStream_tbDpT10_ENKUlT_T0_E_clISt17integral_constantIbLb0EES1A_IbLb1EEEEDaS16_S17_EUlS16_E_NS1_11comp_targetILNS1_3genE4ELNS1_11target_archE910ELNS1_3gpuE8ELNS1_3repE0EEENS1_30default_config_static_selectorELNS0_4arch9wavefront6targetE0EEEvT1_
	.p2align	8
	.type	_ZN7rocprim17ROCPRIM_400000_NS6detail17trampoline_kernelINS0_14default_configENS1_25partition_config_selectorILNS1_17partition_subalgoE5ExNS0_10empty_typeEbEEZZNS1_14partition_implILS5_5ELb0ES3_mN6thrust23THRUST_200600_302600_NS6detail15normal_iteratorINSA_10device_ptrIxEEEEPS6_NSA_18transform_iteratorINSB_9not_fun_tI7is_trueIxEEESF_NSA_11use_defaultESM_EENS0_5tupleIJSF_S6_EEENSO_IJSG_SG_EEES6_PlJS6_EEE10hipError_tPvRmT3_T4_T5_T6_T7_T9_mT8_P12ihipStream_tbDpT10_ENKUlT_T0_E_clISt17integral_constantIbLb0EES1A_IbLb1EEEEDaS16_S17_EUlS16_E_NS1_11comp_targetILNS1_3genE4ELNS1_11target_archE910ELNS1_3gpuE8ELNS1_3repE0EEENS1_30default_config_static_selectorELNS0_4arch9wavefront6targetE0EEEvT1_,@function
_ZN7rocprim17ROCPRIM_400000_NS6detail17trampoline_kernelINS0_14default_configENS1_25partition_config_selectorILNS1_17partition_subalgoE5ExNS0_10empty_typeEbEEZZNS1_14partition_implILS5_5ELb0ES3_mN6thrust23THRUST_200600_302600_NS6detail15normal_iteratorINSA_10device_ptrIxEEEEPS6_NSA_18transform_iteratorINSB_9not_fun_tI7is_trueIxEEESF_NSA_11use_defaultESM_EENS0_5tupleIJSF_S6_EEENSO_IJSG_SG_EEES6_PlJS6_EEE10hipError_tPvRmT3_T4_T5_T6_T7_T9_mT8_P12ihipStream_tbDpT10_ENKUlT_T0_E_clISt17integral_constantIbLb0EES1A_IbLb1EEEEDaS16_S17_EUlS16_E_NS1_11comp_targetILNS1_3genE4ELNS1_11target_archE910ELNS1_3gpuE8ELNS1_3repE0EEENS1_30default_config_static_selectorELNS0_4arch9wavefront6targetE0EEEvT1_: ; @_ZN7rocprim17ROCPRIM_400000_NS6detail17trampoline_kernelINS0_14default_configENS1_25partition_config_selectorILNS1_17partition_subalgoE5ExNS0_10empty_typeEbEEZZNS1_14partition_implILS5_5ELb0ES3_mN6thrust23THRUST_200600_302600_NS6detail15normal_iteratorINSA_10device_ptrIxEEEEPS6_NSA_18transform_iteratorINSB_9not_fun_tI7is_trueIxEEESF_NSA_11use_defaultESM_EENS0_5tupleIJSF_S6_EEENSO_IJSG_SG_EEES6_PlJS6_EEE10hipError_tPvRmT3_T4_T5_T6_T7_T9_mT8_P12ihipStream_tbDpT10_ENKUlT_T0_E_clISt17integral_constantIbLb0EES1A_IbLb1EEEEDaS16_S17_EUlS16_E_NS1_11comp_targetILNS1_3genE4ELNS1_11target_archE910ELNS1_3gpuE8ELNS1_3repE0EEENS1_30default_config_static_selectorELNS0_4arch9wavefront6targetE0EEEvT1_
; %bb.0:
	.section	.rodata,"a",@progbits
	.p2align	6, 0x0
	.amdhsa_kernel _ZN7rocprim17ROCPRIM_400000_NS6detail17trampoline_kernelINS0_14default_configENS1_25partition_config_selectorILNS1_17partition_subalgoE5ExNS0_10empty_typeEbEEZZNS1_14partition_implILS5_5ELb0ES3_mN6thrust23THRUST_200600_302600_NS6detail15normal_iteratorINSA_10device_ptrIxEEEEPS6_NSA_18transform_iteratorINSB_9not_fun_tI7is_trueIxEEESF_NSA_11use_defaultESM_EENS0_5tupleIJSF_S6_EEENSO_IJSG_SG_EEES6_PlJS6_EEE10hipError_tPvRmT3_T4_T5_T6_T7_T9_mT8_P12ihipStream_tbDpT10_ENKUlT_T0_E_clISt17integral_constantIbLb0EES1A_IbLb1EEEEDaS16_S17_EUlS16_E_NS1_11comp_targetILNS1_3genE4ELNS1_11target_archE910ELNS1_3gpuE8ELNS1_3repE0EEENS1_30default_config_static_selectorELNS0_4arch9wavefront6targetE0EEEvT1_
		.amdhsa_group_segment_fixed_size 0
		.amdhsa_private_segment_fixed_size 0
		.amdhsa_kernarg_size 136
		.amdhsa_user_sgpr_count 2
		.amdhsa_user_sgpr_dispatch_ptr 0
		.amdhsa_user_sgpr_queue_ptr 0
		.amdhsa_user_sgpr_kernarg_segment_ptr 1
		.amdhsa_user_sgpr_dispatch_id 0
		.amdhsa_user_sgpr_private_segment_size 0
		.amdhsa_wavefront_size32 1
		.amdhsa_uses_dynamic_stack 0
		.amdhsa_enable_private_segment 0
		.amdhsa_system_sgpr_workgroup_id_x 1
		.amdhsa_system_sgpr_workgroup_id_y 0
		.amdhsa_system_sgpr_workgroup_id_z 0
		.amdhsa_system_sgpr_workgroup_info 0
		.amdhsa_system_vgpr_workitem_id 0
		.amdhsa_next_free_vgpr 1
		.amdhsa_next_free_sgpr 1
		.amdhsa_reserve_vcc 0
		.amdhsa_float_round_mode_32 0
		.amdhsa_float_round_mode_16_64 0
		.amdhsa_float_denorm_mode_32 3
		.amdhsa_float_denorm_mode_16_64 3
		.amdhsa_fp16_overflow 0
		.amdhsa_workgroup_processor_mode 1
		.amdhsa_memory_ordered 1
		.amdhsa_forward_progress 1
		.amdhsa_inst_pref_size 0
		.amdhsa_round_robin_scheduling 0
		.amdhsa_exception_fp_ieee_invalid_op 0
		.amdhsa_exception_fp_denorm_src 0
		.amdhsa_exception_fp_ieee_div_zero 0
		.amdhsa_exception_fp_ieee_overflow 0
		.amdhsa_exception_fp_ieee_underflow 0
		.amdhsa_exception_fp_ieee_inexact 0
		.amdhsa_exception_int_div_zero 0
	.end_amdhsa_kernel
	.section	.text._ZN7rocprim17ROCPRIM_400000_NS6detail17trampoline_kernelINS0_14default_configENS1_25partition_config_selectorILNS1_17partition_subalgoE5ExNS0_10empty_typeEbEEZZNS1_14partition_implILS5_5ELb0ES3_mN6thrust23THRUST_200600_302600_NS6detail15normal_iteratorINSA_10device_ptrIxEEEEPS6_NSA_18transform_iteratorINSB_9not_fun_tI7is_trueIxEEESF_NSA_11use_defaultESM_EENS0_5tupleIJSF_S6_EEENSO_IJSG_SG_EEES6_PlJS6_EEE10hipError_tPvRmT3_T4_T5_T6_T7_T9_mT8_P12ihipStream_tbDpT10_ENKUlT_T0_E_clISt17integral_constantIbLb0EES1A_IbLb1EEEEDaS16_S17_EUlS16_E_NS1_11comp_targetILNS1_3genE4ELNS1_11target_archE910ELNS1_3gpuE8ELNS1_3repE0EEENS1_30default_config_static_selectorELNS0_4arch9wavefront6targetE0EEEvT1_,"axG",@progbits,_ZN7rocprim17ROCPRIM_400000_NS6detail17trampoline_kernelINS0_14default_configENS1_25partition_config_selectorILNS1_17partition_subalgoE5ExNS0_10empty_typeEbEEZZNS1_14partition_implILS5_5ELb0ES3_mN6thrust23THRUST_200600_302600_NS6detail15normal_iteratorINSA_10device_ptrIxEEEEPS6_NSA_18transform_iteratorINSB_9not_fun_tI7is_trueIxEEESF_NSA_11use_defaultESM_EENS0_5tupleIJSF_S6_EEENSO_IJSG_SG_EEES6_PlJS6_EEE10hipError_tPvRmT3_T4_T5_T6_T7_T9_mT8_P12ihipStream_tbDpT10_ENKUlT_T0_E_clISt17integral_constantIbLb0EES1A_IbLb1EEEEDaS16_S17_EUlS16_E_NS1_11comp_targetILNS1_3genE4ELNS1_11target_archE910ELNS1_3gpuE8ELNS1_3repE0EEENS1_30default_config_static_selectorELNS0_4arch9wavefront6targetE0EEEvT1_,comdat
.Lfunc_end1493:
	.size	_ZN7rocprim17ROCPRIM_400000_NS6detail17trampoline_kernelINS0_14default_configENS1_25partition_config_selectorILNS1_17partition_subalgoE5ExNS0_10empty_typeEbEEZZNS1_14partition_implILS5_5ELb0ES3_mN6thrust23THRUST_200600_302600_NS6detail15normal_iteratorINSA_10device_ptrIxEEEEPS6_NSA_18transform_iteratorINSB_9not_fun_tI7is_trueIxEEESF_NSA_11use_defaultESM_EENS0_5tupleIJSF_S6_EEENSO_IJSG_SG_EEES6_PlJS6_EEE10hipError_tPvRmT3_T4_T5_T6_T7_T9_mT8_P12ihipStream_tbDpT10_ENKUlT_T0_E_clISt17integral_constantIbLb0EES1A_IbLb1EEEEDaS16_S17_EUlS16_E_NS1_11comp_targetILNS1_3genE4ELNS1_11target_archE910ELNS1_3gpuE8ELNS1_3repE0EEENS1_30default_config_static_selectorELNS0_4arch9wavefront6targetE0EEEvT1_, .Lfunc_end1493-_ZN7rocprim17ROCPRIM_400000_NS6detail17trampoline_kernelINS0_14default_configENS1_25partition_config_selectorILNS1_17partition_subalgoE5ExNS0_10empty_typeEbEEZZNS1_14partition_implILS5_5ELb0ES3_mN6thrust23THRUST_200600_302600_NS6detail15normal_iteratorINSA_10device_ptrIxEEEEPS6_NSA_18transform_iteratorINSB_9not_fun_tI7is_trueIxEEESF_NSA_11use_defaultESM_EENS0_5tupleIJSF_S6_EEENSO_IJSG_SG_EEES6_PlJS6_EEE10hipError_tPvRmT3_T4_T5_T6_T7_T9_mT8_P12ihipStream_tbDpT10_ENKUlT_T0_E_clISt17integral_constantIbLb0EES1A_IbLb1EEEEDaS16_S17_EUlS16_E_NS1_11comp_targetILNS1_3genE4ELNS1_11target_archE910ELNS1_3gpuE8ELNS1_3repE0EEENS1_30default_config_static_selectorELNS0_4arch9wavefront6targetE0EEEvT1_
                                        ; -- End function
	.set _ZN7rocprim17ROCPRIM_400000_NS6detail17trampoline_kernelINS0_14default_configENS1_25partition_config_selectorILNS1_17partition_subalgoE5ExNS0_10empty_typeEbEEZZNS1_14partition_implILS5_5ELb0ES3_mN6thrust23THRUST_200600_302600_NS6detail15normal_iteratorINSA_10device_ptrIxEEEEPS6_NSA_18transform_iteratorINSB_9not_fun_tI7is_trueIxEEESF_NSA_11use_defaultESM_EENS0_5tupleIJSF_S6_EEENSO_IJSG_SG_EEES6_PlJS6_EEE10hipError_tPvRmT3_T4_T5_T6_T7_T9_mT8_P12ihipStream_tbDpT10_ENKUlT_T0_E_clISt17integral_constantIbLb0EES1A_IbLb1EEEEDaS16_S17_EUlS16_E_NS1_11comp_targetILNS1_3genE4ELNS1_11target_archE910ELNS1_3gpuE8ELNS1_3repE0EEENS1_30default_config_static_selectorELNS0_4arch9wavefront6targetE0EEEvT1_.num_vgpr, 0
	.set _ZN7rocprim17ROCPRIM_400000_NS6detail17trampoline_kernelINS0_14default_configENS1_25partition_config_selectorILNS1_17partition_subalgoE5ExNS0_10empty_typeEbEEZZNS1_14partition_implILS5_5ELb0ES3_mN6thrust23THRUST_200600_302600_NS6detail15normal_iteratorINSA_10device_ptrIxEEEEPS6_NSA_18transform_iteratorINSB_9not_fun_tI7is_trueIxEEESF_NSA_11use_defaultESM_EENS0_5tupleIJSF_S6_EEENSO_IJSG_SG_EEES6_PlJS6_EEE10hipError_tPvRmT3_T4_T5_T6_T7_T9_mT8_P12ihipStream_tbDpT10_ENKUlT_T0_E_clISt17integral_constantIbLb0EES1A_IbLb1EEEEDaS16_S17_EUlS16_E_NS1_11comp_targetILNS1_3genE4ELNS1_11target_archE910ELNS1_3gpuE8ELNS1_3repE0EEENS1_30default_config_static_selectorELNS0_4arch9wavefront6targetE0EEEvT1_.num_agpr, 0
	.set _ZN7rocprim17ROCPRIM_400000_NS6detail17trampoline_kernelINS0_14default_configENS1_25partition_config_selectorILNS1_17partition_subalgoE5ExNS0_10empty_typeEbEEZZNS1_14partition_implILS5_5ELb0ES3_mN6thrust23THRUST_200600_302600_NS6detail15normal_iteratorINSA_10device_ptrIxEEEEPS6_NSA_18transform_iteratorINSB_9not_fun_tI7is_trueIxEEESF_NSA_11use_defaultESM_EENS0_5tupleIJSF_S6_EEENSO_IJSG_SG_EEES6_PlJS6_EEE10hipError_tPvRmT3_T4_T5_T6_T7_T9_mT8_P12ihipStream_tbDpT10_ENKUlT_T0_E_clISt17integral_constantIbLb0EES1A_IbLb1EEEEDaS16_S17_EUlS16_E_NS1_11comp_targetILNS1_3genE4ELNS1_11target_archE910ELNS1_3gpuE8ELNS1_3repE0EEENS1_30default_config_static_selectorELNS0_4arch9wavefront6targetE0EEEvT1_.numbered_sgpr, 0
	.set _ZN7rocprim17ROCPRIM_400000_NS6detail17trampoline_kernelINS0_14default_configENS1_25partition_config_selectorILNS1_17partition_subalgoE5ExNS0_10empty_typeEbEEZZNS1_14partition_implILS5_5ELb0ES3_mN6thrust23THRUST_200600_302600_NS6detail15normal_iteratorINSA_10device_ptrIxEEEEPS6_NSA_18transform_iteratorINSB_9not_fun_tI7is_trueIxEEESF_NSA_11use_defaultESM_EENS0_5tupleIJSF_S6_EEENSO_IJSG_SG_EEES6_PlJS6_EEE10hipError_tPvRmT3_T4_T5_T6_T7_T9_mT8_P12ihipStream_tbDpT10_ENKUlT_T0_E_clISt17integral_constantIbLb0EES1A_IbLb1EEEEDaS16_S17_EUlS16_E_NS1_11comp_targetILNS1_3genE4ELNS1_11target_archE910ELNS1_3gpuE8ELNS1_3repE0EEENS1_30default_config_static_selectorELNS0_4arch9wavefront6targetE0EEEvT1_.num_named_barrier, 0
	.set _ZN7rocprim17ROCPRIM_400000_NS6detail17trampoline_kernelINS0_14default_configENS1_25partition_config_selectorILNS1_17partition_subalgoE5ExNS0_10empty_typeEbEEZZNS1_14partition_implILS5_5ELb0ES3_mN6thrust23THRUST_200600_302600_NS6detail15normal_iteratorINSA_10device_ptrIxEEEEPS6_NSA_18transform_iteratorINSB_9not_fun_tI7is_trueIxEEESF_NSA_11use_defaultESM_EENS0_5tupleIJSF_S6_EEENSO_IJSG_SG_EEES6_PlJS6_EEE10hipError_tPvRmT3_T4_T5_T6_T7_T9_mT8_P12ihipStream_tbDpT10_ENKUlT_T0_E_clISt17integral_constantIbLb0EES1A_IbLb1EEEEDaS16_S17_EUlS16_E_NS1_11comp_targetILNS1_3genE4ELNS1_11target_archE910ELNS1_3gpuE8ELNS1_3repE0EEENS1_30default_config_static_selectorELNS0_4arch9wavefront6targetE0EEEvT1_.private_seg_size, 0
	.set _ZN7rocprim17ROCPRIM_400000_NS6detail17trampoline_kernelINS0_14default_configENS1_25partition_config_selectorILNS1_17partition_subalgoE5ExNS0_10empty_typeEbEEZZNS1_14partition_implILS5_5ELb0ES3_mN6thrust23THRUST_200600_302600_NS6detail15normal_iteratorINSA_10device_ptrIxEEEEPS6_NSA_18transform_iteratorINSB_9not_fun_tI7is_trueIxEEESF_NSA_11use_defaultESM_EENS0_5tupleIJSF_S6_EEENSO_IJSG_SG_EEES6_PlJS6_EEE10hipError_tPvRmT3_T4_T5_T6_T7_T9_mT8_P12ihipStream_tbDpT10_ENKUlT_T0_E_clISt17integral_constantIbLb0EES1A_IbLb1EEEEDaS16_S17_EUlS16_E_NS1_11comp_targetILNS1_3genE4ELNS1_11target_archE910ELNS1_3gpuE8ELNS1_3repE0EEENS1_30default_config_static_selectorELNS0_4arch9wavefront6targetE0EEEvT1_.uses_vcc, 0
	.set _ZN7rocprim17ROCPRIM_400000_NS6detail17trampoline_kernelINS0_14default_configENS1_25partition_config_selectorILNS1_17partition_subalgoE5ExNS0_10empty_typeEbEEZZNS1_14partition_implILS5_5ELb0ES3_mN6thrust23THRUST_200600_302600_NS6detail15normal_iteratorINSA_10device_ptrIxEEEEPS6_NSA_18transform_iteratorINSB_9not_fun_tI7is_trueIxEEESF_NSA_11use_defaultESM_EENS0_5tupleIJSF_S6_EEENSO_IJSG_SG_EEES6_PlJS6_EEE10hipError_tPvRmT3_T4_T5_T6_T7_T9_mT8_P12ihipStream_tbDpT10_ENKUlT_T0_E_clISt17integral_constantIbLb0EES1A_IbLb1EEEEDaS16_S17_EUlS16_E_NS1_11comp_targetILNS1_3genE4ELNS1_11target_archE910ELNS1_3gpuE8ELNS1_3repE0EEENS1_30default_config_static_selectorELNS0_4arch9wavefront6targetE0EEEvT1_.uses_flat_scratch, 0
	.set _ZN7rocprim17ROCPRIM_400000_NS6detail17trampoline_kernelINS0_14default_configENS1_25partition_config_selectorILNS1_17partition_subalgoE5ExNS0_10empty_typeEbEEZZNS1_14partition_implILS5_5ELb0ES3_mN6thrust23THRUST_200600_302600_NS6detail15normal_iteratorINSA_10device_ptrIxEEEEPS6_NSA_18transform_iteratorINSB_9not_fun_tI7is_trueIxEEESF_NSA_11use_defaultESM_EENS0_5tupleIJSF_S6_EEENSO_IJSG_SG_EEES6_PlJS6_EEE10hipError_tPvRmT3_T4_T5_T6_T7_T9_mT8_P12ihipStream_tbDpT10_ENKUlT_T0_E_clISt17integral_constantIbLb0EES1A_IbLb1EEEEDaS16_S17_EUlS16_E_NS1_11comp_targetILNS1_3genE4ELNS1_11target_archE910ELNS1_3gpuE8ELNS1_3repE0EEENS1_30default_config_static_selectorELNS0_4arch9wavefront6targetE0EEEvT1_.has_dyn_sized_stack, 0
	.set _ZN7rocprim17ROCPRIM_400000_NS6detail17trampoline_kernelINS0_14default_configENS1_25partition_config_selectorILNS1_17partition_subalgoE5ExNS0_10empty_typeEbEEZZNS1_14partition_implILS5_5ELb0ES3_mN6thrust23THRUST_200600_302600_NS6detail15normal_iteratorINSA_10device_ptrIxEEEEPS6_NSA_18transform_iteratorINSB_9not_fun_tI7is_trueIxEEESF_NSA_11use_defaultESM_EENS0_5tupleIJSF_S6_EEENSO_IJSG_SG_EEES6_PlJS6_EEE10hipError_tPvRmT3_T4_T5_T6_T7_T9_mT8_P12ihipStream_tbDpT10_ENKUlT_T0_E_clISt17integral_constantIbLb0EES1A_IbLb1EEEEDaS16_S17_EUlS16_E_NS1_11comp_targetILNS1_3genE4ELNS1_11target_archE910ELNS1_3gpuE8ELNS1_3repE0EEENS1_30default_config_static_selectorELNS0_4arch9wavefront6targetE0EEEvT1_.has_recursion, 0
	.set _ZN7rocprim17ROCPRIM_400000_NS6detail17trampoline_kernelINS0_14default_configENS1_25partition_config_selectorILNS1_17partition_subalgoE5ExNS0_10empty_typeEbEEZZNS1_14partition_implILS5_5ELb0ES3_mN6thrust23THRUST_200600_302600_NS6detail15normal_iteratorINSA_10device_ptrIxEEEEPS6_NSA_18transform_iteratorINSB_9not_fun_tI7is_trueIxEEESF_NSA_11use_defaultESM_EENS0_5tupleIJSF_S6_EEENSO_IJSG_SG_EEES6_PlJS6_EEE10hipError_tPvRmT3_T4_T5_T6_T7_T9_mT8_P12ihipStream_tbDpT10_ENKUlT_T0_E_clISt17integral_constantIbLb0EES1A_IbLb1EEEEDaS16_S17_EUlS16_E_NS1_11comp_targetILNS1_3genE4ELNS1_11target_archE910ELNS1_3gpuE8ELNS1_3repE0EEENS1_30default_config_static_selectorELNS0_4arch9wavefront6targetE0EEEvT1_.has_indirect_call, 0
	.section	.AMDGPU.csdata,"",@progbits
; Kernel info:
; codeLenInByte = 0
; TotalNumSgprs: 0
; NumVgprs: 0
; ScratchSize: 0
; MemoryBound: 0
; FloatMode: 240
; IeeeMode: 1
; LDSByteSize: 0 bytes/workgroup (compile time only)
; SGPRBlocks: 0
; VGPRBlocks: 0
; NumSGPRsForWavesPerEU: 1
; NumVGPRsForWavesPerEU: 1
; Occupancy: 16
; WaveLimiterHint : 0
; COMPUTE_PGM_RSRC2:SCRATCH_EN: 0
; COMPUTE_PGM_RSRC2:USER_SGPR: 2
; COMPUTE_PGM_RSRC2:TRAP_HANDLER: 0
; COMPUTE_PGM_RSRC2:TGID_X_EN: 1
; COMPUTE_PGM_RSRC2:TGID_Y_EN: 0
; COMPUTE_PGM_RSRC2:TGID_Z_EN: 0
; COMPUTE_PGM_RSRC2:TIDIG_COMP_CNT: 0
	.section	.text._ZN7rocprim17ROCPRIM_400000_NS6detail17trampoline_kernelINS0_14default_configENS1_25partition_config_selectorILNS1_17partition_subalgoE5ExNS0_10empty_typeEbEEZZNS1_14partition_implILS5_5ELb0ES3_mN6thrust23THRUST_200600_302600_NS6detail15normal_iteratorINSA_10device_ptrIxEEEEPS6_NSA_18transform_iteratorINSB_9not_fun_tI7is_trueIxEEESF_NSA_11use_defaultESM_EENS0_5tupleIJSF_S6_EEENSO_IJSG_SG_EEES6_PlJS6_EEE10hipError_tPvRmT3_T4_T5_T6_T7_T9_mT8_P12ihipStream_tbDpT10_ENKUlT_T0_E_clISt17integral_constantIbLb0EES1A_IbLb1EEEEDaS16_S17_EUlS16_E_NS1_11comp_targetILNS1_3genE3ELNS1_11target_archE908ELNS1_3gpuE7ELNS1_3repE0EEENS1_30default_config_static_selectorELNS0_4arch9wavefront6targetE0EEEvT1_,"axG",@progbits,_ZN7rocprim17ROCPRIM_400000_NS6detail17trampoline_kernelINS0_14default_configENS1_25partition_config_selectorILNS1_17partition_subalgoE5ExNS0_10empty_typeEbEEZZNS1_14partition_implILS5_5ELb0ES3_mN6thrust23THRUST_200600_302600_NS6detail15normal_iteratorINSA_10device_ptrIxEEEEPS6_NSA_18transform_iteratorINSB_9not_fun_tI7is_trueIxEEESF_NSA_11use_defaultESM_EENS0_5tupleIJSF_S6_EEENSO_IJSG_SG_EEES6_PlJS6_EEE10hipError_tPvRmT3_T4_T5_T6_T7_T9_mT8_P12ihipStream_tbDpT10_ENKUlT_T0_E_clISt17integral_constantIbLb0EES1A_IbLb1EEEEDaS16_S17_EUlS16_E_NS1_11comp_targetILNS1_3genE3ELNS1_11target_archE908ELNS1_3gpuE7ELNS1_3repE0EEENS1_30default_config_static_selectorELNS0_4arch9wavefront6targetE0EEEvT1_,comdat
	.protected	_ZN7rocprim17ROCPRIM_400000_NS6detail17trampoline_kernelINS0_14default_configENS1_25partition_config_selectorILNS1_17partition_subalgoE5ExNS0_10empty_typeEbEEZZNS1_14partition_implILS5_5ELb0ES3_mN6thrust23THRUST_200600_302600_NS6detail15normal_iteratorINSA_10device_ptrIxEEEEPS6_NSA_18transform_iteratorINSB_9not_fun_tI7is_trueIxEEESF_NSA_11use_defaultESM_EENS0_5tupleIJSF_S6_EEENSO_IJSG_SG_EEES6_PlJS6_EEE10hipError_tPvRmT3_T4_T5_T6_T7_T9_mT8_P12ihipStream_tbDpT10_ENKUlT_T0_E_clISt17integral_constantIbLb0EES1A_IbLb1EEEEDaS16_S17_EUlS16_E_NS1_11comp_targetILNS1_3genE3ELNS1_11target_archE908ELNS1_3gpuE7ELNS1_3repE0EEENS1_30default_config_static_selectorELNS0_4arch9wavefront6targetE0EEEvT1_ ; -- Begin function _ZN7rocprim17ROCPRIM_400000_NS6detail17trampoline_kernelINS0_14default_configENS1_25partition_config_selectorILNS1_17partition_subalgoE5ExNS0_10empty_typeEbEEZZNS1_14partition_implILS5_5ELb0ES3_mN6thrust23THRUST_200600_302600_NS6detail15normal_iteratorINSA_10device_ptrIxEEEEPS6_NSA_18transform_iteratorINSB_9not_fun_tI7is_trueIxEEESF_NSA_11use_defaultESM_EENS0_5tupleIJSF_S6_EEENSO_IJSG_SG_EEES6_PlJS6_EEE10hipError_tPvRmT3_T4_T5_T6_T7_T9_mT8_P12ihipStream_tbDpT10_ENKUlT_T0_E_clISt17integral_constantIbLb0EES1A_IbLb1EEEEDaS16_S17_EUlS16_E_NS1_11comp_targetILNS1_3genE3ELNS1_11target_archE908ELNS1_3gpuE7ELNS1_3repE0EEENS1_30default_config_static_selectorELNS0_4arch9wavefront6targetE0EEEvT1_
	.globl	_ZN7rocprim17ROCPRIM_400000_NS6detail17trampoline_kernelINS0_14default_configENS1_25partition_config_selectorILNS1_17partition_subalgoE5ExNS0_10empty_typeEbEEZZNS1_14partition_implILS5_5ELb0ES3_mN6thrust23THRUST_200600_302600_NS6detail15normal_iteratorINSA_10device_ptrIxEEEEPS6_NSA_18transform_iteratorINSB_9not_fun_tI7is_trueIxEEESF_NSA_11use_defaultESM_EENS0_5tupleIJSF_S6_EEENSO_IJSG_SG_EEES6_PlJS6_EEE10hipError_tPvRmT3_T4_T5_T6_T7_T9_mT8_P12ihipStream_tbDpT10_ENKUlT_T0_E_clISt17integral_constantIbLb0EES1A_IbLb1EEEEDaS16_S17_EUlS16_E_NS1_11comp_targetILNS1_3genE3ELNS1_11target_archE908ELNS1_3gpuE7ELNS1_3repE0EEENS1_30default_config_static_selectorELNS0_4arch9wavefront6targetE0EEEvT1_
	.p2align	8
	.type	_ZN7rocprim17ROCPRIM_400000_NS6detail17trampoline_kernelINS0_14default_configENS1_25partition_config_selectorILNS1_17partition_subalgoE5ExNS0_10empty_typeEbEEZZNS1_14partition_implILS5_5ELb0ES3_mN6thrust23THRUST_200600_302600_NS6detail15normal_iteratorINSA_10device_ptrIxEEEEPS6_NSA_18transform_iteratorINSB_9not_fun_tI7is_trueIxEEESF_NSA_11use_defaultESM_EENS0_5tupleIJSF_S6_EEENSO_IJSG_SG_EEES6_PlJS6_EEE10hipError_tPvRmT3_T4_T5_T6_T7_T9_mT8_P12ihipStream_tbDpT10_ENKUlT_T0_E_clISt17integral_constantIbLb0EES1A_IbLb1EEEEDaS16_S17_EUlS16_E_NS1_11comp_targetILNS1_3genE3ELNS1_11target_archE908ELNS1_3gpuE7ELNS1_3repE0EEENS1_30default_config_static_selectorELNS0_4arch9wavefront6targetE0EEEvT1_,@function
_ZN7rocprim17ROCPRIM_400000_NS6detail17trampoline_kernelINS0_14default_configENS1_25partition_config_selectorILNS1_17partition_subalgoE5ExNS0_10empty_typeEbEEZZNS1_14partition_implILS5_5ELb0ES3_mN6thrust23THRUST_200600_302600_NS6detail15normal_iteratorINSA_10device_ptrIxEEEEPS6_NSA_18transform_iteratorINSB_9not_fun_tI7is_trueIxEEESF_NSA_11use_defaultESM_EENS0_5tupleIJSF_S6_EEENSO_IJSG_SG_EEES6_PlJS6_EEE10hipError_tPvRmT3_T4_T5_T6_T7_T9_mT8_P12ihipStream_tbDpT10_ENKUlT_T0_E_clISt17integral_constantIbLb0EES1A_IbLb1EEEEDaS16_S17_EUlS16_E_NS1_11comp_targetILNS1_3genE3ELNS1_11target_archE908ELNS1_3gpuE7ELNS1_3repE0EEENS1_30default_config_static_selectorELNS0_4arch9wavefront6targetE0EEEvT1_: ; @_ZN7rocprim17ROCPRIM_400000_NS6detail17trampoline_kernelINS0_14default_configENS1_25partition_config_selectorILNS1_17partition_subalgoE5ExNS0_10empty_typeEbEEZZNS1_14partition_implILS5_5ELb0ES3_mN6thrust23THRUST_200600_302600_NS6detail15normal_iteratorINSA_10device_ptrIxEEEEPS6_NSA_18transform_iteratorINSB_9not_fun_tI7is_trueIxEEESF_NSA_11use_defaultESM_EENS0_5tupleIJSF_S6_EEENSO_IJSG_SG_EEES6_PlJS6_EEE10hipError_tPvRmT3_T4_T5_T6_T7_T9_mT8_P12ihipStream_tbDpT10_ENKUlT_T0_E_clISt17integral_constantIbLb0EES1A_IbLb1EEEEDaS16_S17_EUlS16_E_NS1_11comp_targetILNS1_3genE3ELNS1_11target_archE908ELNS1_3gpuE7ELNS1_3repE0EEENS1_30default_config_static_selectorELNS0_4arch9wavefront6targetE0EEEvT1_
; %bb.0:
	.section	.rodata,"a",@progbits
	.p2align	6, 0x0
	.amdhsa_kernel _ZN7rocprim17ROCPRIM_400000_NS6detail17trampoline_kernelINS0_14default_configENS1_25partition_config_selectorILNS1_17partition_subalgoE5ExNS0_10empty_typeEbEEZZNS1_14partition_implILS5_5ELb0ES3_mN6thrust23THRUST_200600_302600_NS6detail15normal_iteratorINSA_10device_ptrIxEEEEPS6_NSA_18transform_iteratorINSB_9not_fun_tI7is_trueIxEEESF_NSA_11use_defaultESM_EENS0_5tupleIJSF_S6_EEENSO_IJSG_SG_EEES6_PlJS6_EEE10hipError_tPvRmT3_T4_T5_T6_T7_T9_mT8_P12ihipStream_tbDpT10_ENKUlT_T0_E_clISt17integral_constantIbLb0EES1A_IbLb1EEEEDaS16_S17_EUlS16_E_NS1_11comp_targetILNS1_3genE3ELNS1_11target_archE908ELNS1_3gpuE7ELNS1_3repE0EEENS1_30default_config_static_selectorELNS0_4arch9wavefront6targetE0EEEvT1_
		.amdhsa_group_segment_fixed_size 0
		.amdhsa_private_segment_fixed_size 0
		.amdhsa_kernarg_size 136
		.amdhsa_user_sgpr_count 2
		.amdhsa_user_sgpr_dispatch_ptr 0
		.amdhsa_user_sgpr_queue_ptr 0
		.amdhsa_user_sgpr_kernarg_segment_ptr 1
		.amdhsa_user_sgpr_dispatch_id 0
		.amdhsa_user_sgpr_private_segment_size 0
		.amdhsa_wavefront_size32 1
		.amdhsa_uses_dynamic_stack 0
		.amdhsa_enable_private_segment 0
		.amdhsa_system_sgpr_workgroup_id_x 1
		.amdhsa_system_sgpr_workgroup_id_y 0
		.amdhsa_system_sgpr_workgroup_id_z 0
		.amdhsa_system_sgpr_workgroup_info 0
		.amdhsa_system_vgpr_workitem_id 0
		.amdhsa_next_free_vgpr 1
		.amdhsa_next_free_sgpr 1
		.amdhsa_reserve_vcc 0
		.amdhsa_float_round_mode_32 0
		.amdhsa_float_round_mode_16_64 0
		.amdhsa_float_denorm_mode_32 3
		.amdhsa_float_denorm_mode_16_64 3
		.amdhsa_fp16_overflow 0
		.amdhsa_workgroup_processor_mode 1
		.amdhsa_memory_ordered 1
		.amdhsa_forward_progress 1
		.amdhsa_inst_pref_size 0
		.amdhsa_round_robin_scheduling 0
		.amdhsa_exception_fp_ieee_invalid_op 0
		.amdhsa_exception_fp_denorm_src 0
		.amdhsa_exception_fp_ieee_div_zero 0
		.amdhsa_exception_fp_ieee_overflow 0
		.amdhsa_exception_fp_ieee_underflow 0
		.amdhsa_exception_fp_ieee_inexact 0
		.amdhsa_exception_int_div_zero 0
	.end_amdhsa_kernel
	.section	.text._ZN7rocprim17ROCPRIM_400000_NS6detail17trampoline_kernelINS0_14default_configENS1_25partition_config_selectorILNS1_17partition_subalgoE5ExNS0_10empty_typeEbEEZZNS1_14partition_implILS5_5ELb0ES3_mN6thrust23THRUST_200600_302600_NS6detail15normal_iteratorINSA_10device_ptrIxEEEEPS6_NSA_18transform_iteratorINSB_9not_fun_tI7is_trueIxEEESF_NSA_11use_defaultESM_EENS0_5tupleIJSF_S6_EEENSO_IJSG_SG_EEES6_PlJS6_EEE10hipError_tPvRmT3_T4_T5_T6_T7_T9_mT8_P12ihipStream_tbDpT10_ENKUlT_T0_E_clISt17integral_constantIbLb0EES1A_IbLb1EEEEDaS16_S17_EUlS16_E_NS1_11comp_targetILNS1_3genE3ELNS1_11target_archE908ELNS1_3gpuE7ELNS1_3repE0EEENS1_30default_config_static_selectorELNS0_4arch9wavefront6targetE0EEEvT1_,"axG",@progbits,_ZN7rocprim17ROCPRIM_400000_NS6detail17trampoline_kernelINS0_14default_configENS1_25partition_config_selectorILNS1_17partition_subalgoE5ExNS0_10empty_typeEbEEZZNS1_14partition_implILS5_5ELb0ES3_mN6thrust23THRUST_200600_302600_NS6detail15normal_iteratorINSA_10device_ptrIxEEEEPS6_NSA_18transform_iteratorINSB_9not_fun_tI7is_trueIxEEESF_NSA_11use_defaultESM_EENS0_5tupleIJSF_S6_EEENSO_IJSG_SG_EEES6_PlJS6_EEE10hipError_tPvRmT3_T4_T5_T6_T7_T9_mT8_P12ihipStream_tbDpT10_ENKUlT_T0_E_clISt17integral_constantIbLb0EES1A_IbLb1EEEEDaS16_S17_EUlS16_E_NS1_11comp_targetILNS1_3genE3ELNS1_11target_archE908ELNS1_3gpuE7ELNS1_3repE0EEENS1_30default_config_static_selectorELNS0_4arch9wavefront6targetE0EEEvT1_,comdat
.Lfunc_end1494:
	.size	_ZN7rocprim17ROCPRIM_400000_NS6detail17trampoline_kernelINS0_14default_configENS1_25partition_config_selectorILNS1_17partition_subalgoE5ExNS0_10empty_typeEbEEZZNS1_14partition_implILS5_5ELb0ES3_mN6thrust23THRUST_200600_302600_NS6detail15normal_iteratorINSA_10device_ptrIxEEEEPS6_NSA_18transform_iteratorINSB_9not_fun_tI7is_trueIxEEESF_NSA_11use_defaultESM_EENS0_5tupleIJSF_S6_EEENSO_IJSG_SG_EEES6_PlJS6_EEE10hipError_tPvRmT3_T4_T5_T6_T7_T9_mT8_P12ihipStream_tbDpT10_ENKUlT_T0_E_clISt17integral_constantIbLb0EES1A_IbLb1EEEEDaS16_S17_EUlS16_E_NS1_11comp_targetILNS1_3genE3ELNS1_11target_archE908ELNS1_3gpuE7ELNS1_3repE0EEENS1_30default_config_static_selectorELNS0_4arch9wavefront6targetE0EEEvT1_, .Lfunc_end1494-_ZN7rocprim17ROCPRIM_400000_NS6detail17trampoline_kernelINS0_14default_configENS1_25partition_config_selectorILNS1_17partition_subalgoE5ExNS0_10empty_typeEbEEZZNS1_14partition_implILS5_5ELb0ES3_mN6thrust23THRUST_200600_302600_NS6detail15normal_iteratorINSA_10device_ptrIxEEEEPS6_NSA_18transform_iteratorINSB_9not_fun_tI7is_trueIxEEESF_NSA_11use_defaultESM_EENS0_5tupleIJSF_S6_EEENSO_IJSG_SG_EEES6_PlJS6_EEE10hipError_tPvRmT3_T4_T5_T6_T7_T9_mT8_P12ihipStream_tbDpT10_ENKUlT_T0_E_clISt17integral_constantIbLb0EES1A_IbLb1EEEEDaS16_S17_EUlS16_E_NS1_11comp_targetILNS1_3genE3ELNS1_11target_archE908ELNS1_3gpuE7ELNS1_3repE0EEENS1_30default_config_static_selectorELNS0_4arch9wavefront6targetE0EEEvT1_
                                        ; -- End function
	.set _ZN7rocprim17ROCPRIM_400000_NS6detail17trampoline_kernelINS0_14default_configENS1_25partition_config_selectorILNS1_17partition_subalgoE5ExNS0_10empty_typeEbEEZZNS1_14partition_implILS5_5ELb0ES3_mN6thrust23THRUST_200600_302600_NS6detail15normal_iteratorINSA_10device_ptrIxEEEEPS6_NSA_18transform_iteratorINSB_9not_fun_tI7is_trueIxEEESF_NSA_11use_defaultESM_EENS0_5tupleIJSF_S6_EEENSO_IJSG_SG_EEES6_PlJS6_EEE10hipError_tPvRmT3_T4_T5_T6_T7_T9_mT8_P12ihipStream_tbDpT10_ENKUlT_T0_E_clISt17integral_constantIbLb0EES1A_IbLb1EEEEDaS16_S17_EUlS16_E_NS1_11comp_targetILNS1_3genE3ELNS1_11target_archE908ELNS1_3gpuE7ELNS1_3repE0EEENS1_30default_config_static_selectorELNS0_4arch9wavefront6targetE0EEEvT1_.num_vgpr, 0
	.set _ZN7rocprim17ROCPRIM_400000_NS6detail17trampoline_kernelINS0_14default_configENS1_25partition_config_selectorILNS1_17partition_subalgoE5ExNS0_10empty_typeEbEEZZNS1_14partition_implILS5_5ELb0ES3_mN6thrust23THRUST_200600_302600_NS6detail15normal_iteratorINSA_10device_ptrIxEEEEPS6_NSA_18transform_iteratorINSB_9not_fun_tI7is_trueIxEEESF_NSA_11use_defaultESM_EENS0_5tupleIJSF_S6_EEENSO_IJSG_SG_EEES6_PlJS6_EEE10hipError_tPvRmT3_T4_T5_T6_T7_T9_mT8_P12ihipStream_tbDpT10_ENKUlT_T0_E_clISt17integral_constantIbLb0EES1A_IbLb1EEEEDaS16_S17_EUlS16_E_NS1_11comp_targetILNS1_3genE3ELNS1_11target_archE908ELNS1_3gpuE7ELNS1_3repE0EEENS1_30default_config_static_selectorELNS0_4arch9wavefront6targetE0EEEvT1_.num_agpr, 0
	.set _ZN7rocprim17ROCPRIM_400000_NS6detail17trampoline_kernelINS0_14default_configENS1_25partition_config_selectorILNS1_17partition_subalgoE5ExNS0_10empty_typeEbEEZZNS1_14partition_implILS5_5ELb0ES3_mN6thrust23THRUST_200600_302600_NS6detail15normal_iteratorINSA_10device_ptrIxEEEEPS6_NSA_18transform_iteratorINSB_9not_fun_tI7is_trueIxEEESF_NSA_11use_defaultESM_EENS0_5tupleIJSF_S6_EEENSO_IJSG_SG_EEES6_PlJS6_EEE10hipError_tPvRmT3_T4_T5_T6_T7_T9_mT8_P12ihipStream_tbDpT10_ENKUlT_T0_E_clISt17integral_constantIbLb0EES1A_IbLb1EEEEDaS16_S17_EUlS16_E_NS1_11comp_targetILNS1_3genE3ELNS1_11target_archE908ELNS1_3gpuE7ELNS1_3repE0EEENS1_30default_config_static_selectorELNS0_4arch9wavefront6targetE0EEEvT1_.numbered_sgpr, 0
	.set _ZN7rocprim17ROCPRIM_400000_NS6detail17trampoline_kernelINS0_14default_configENS1_25partition_config_selectorILNS1_17partition_subalgoE5ExNS0_10empty_typeEbEEZZNS1_14partition_implILS5_5ELb0ES3_mN6thrust23THRUST_200600_302600_NS6detail15normal_iteratorINSA_10device_ptrIxEEEEPS6_NSA_18transform_iteratorINSB_9not_fun_tI7is_trueIxEEESF_NSA_11use_defaultESM_EENS0_5tupleIJSF_S6_EEENSO_IJSG_SG_EEES6_PlJS6_EEE10hipError_tPvRmT3_T4_T5_T6_T7_T9_mT8_P12ihipStream_tbDpT10_ENKUlT_T0_E_clISt17integral_constantIbLb0EES1A_IbLb1EEEEDaS16_S17_EUlS16_E_NS1_11comp_targetILNS1_3genE3ELNS1_11target_archE908ELNS1_3gpuE7ELNS1_3repE0EEENS1_30default_config_static_selectorELNS0_4arch9wavefront6targetE0EEEvT1_.num_named_barrier, 0
	.set _ZN7rocprim17ROCPRIM_400000_NS6detail17trampoline_kernelINS0_14default_configENS1_25partition_config_selectorILNS1_17partition_subalgoE5ExNS0_10empty_typeEbEEZZNS1_14partition_implILS5_5ELb0ES3_mN6thrust23THRUST_200600_302600_NS6detail15normal_iteratorINSA_10device_ptrIxEEEEPS6_NSA_18transform_iteratorINSB_9not_fun_tI7is_trueIxEEESF_NSA_11use_defaultESM_EENS0_5tupleIJSF_S6_EEENSO_IJSG_SG_EEES6_PlJS6_EEE10hipError_tPvRmT3_T4_T5_T6_T7_T9_mT8_P12ihipStream_tbDpT10_ENKUlT_T0_E_clISt17integral_constantIbLb0EES1A_IbLb1EEEEDaS16_S17_EUlS16_E_NS1_11comp_targetILNS1_3genE3ELNS1_11target_archE908ELNS1_3gpuE7ELNS1_3repE0EEENS1_30default_config_static_selectorELNS0_4arch9wavefront6targetE0EEEvT1_.private_seg_size, 0
	.set _ZN7rocprim17ROCPRIM_400000_NS6detail17trampoline_kernelINS0_14default_configENS1_25partition_config_selectorILNS1_17partition_subalgoE5ExNS0_10empty_typeEbEEZZNS1_14partition_implILS5_5ELb0ES3_mN6thrust23THRUST_200600_302600_NS6detail15normal_iteratorINSA_10device_ptrIxEEEEPS6_NSA_18transform_iteratorINSB_9not_fun_tI7is_trueIxEEESF_NSA_11use_defaultESM_EENS0_5tupleIJSF_S6_EEENSO_IJSG_SG_EEES6_PlJS6_EEE10hipError_tPvRmT3_T4_T5_T6_T7_T9_mT8_P12ihipStream_tbDpT10_ENKUlT_T0_E_clISt17integral_constantIbLb0EES1A_IbLb1EEEEDaS16_S17_EUlS16_E_NS1_11comp_targetILNS1_3genE3ELNS1_11target_archE908ELNS1_3gpuE7ELNS1_3repE0EEENS1_30default_config_static_selectorELNS0_4arch9wavefront6targetE0EEEvT1_.uses_vcc, 0
	.set _ZN7rocprim17ROCPRIM_400000_NS6detail17trampoline_kernelINS0_14default_configENS1_25partition_config_selectorILNS1_17partition_subalgoE5ExNS0_10empty_typeEbEEZZNS1_14partition_implILS5_5ELb0ES3_mN6thrust23THRUST_200600_302600_NS6detail15normal_iteratorINSA_10device_ptrIxEEEEPS6_NSA_18transform_iteratorINSB_9not_fun_tI7is_trueIxEEESF_NSA_11use_defaultESM_EENS0_5tupleIJSF_S6_EEENSO_IJSG_SG_EEES6_PlJS6_EEE10hipError_tPvRmT3_T4_T5_T6_T7_T9_mT8_P12ihipStream_tbDpT10_ENKUlT_T0_E_clISt17integral_constantIbLb0EES1A_IbLb1EEEEDaS16_S17_EUlS16_E_NS1_11comp_targetILNS1_3genE3ELNS1_11target_archE908ELNS1_3gpuE7ELNS1_3repE0EEENS1_30default_config_static_selectorELNS0_4arch9wavefront6targetE0EEEvT1_.uses_flat_scratch, 0
	.set _ZN7rocprim17ROCPRIM_400000_NS6detail17trampoline_kernelINS0_14default_configENS1_25partition_config_selectorILNS1_17partition_subalgoE5ExNS0_10empty_typeEbEEZZNS1_14partition_implILS5_5ELb0ES3_mN6thrust23THRUST_200600_302600_NS6detail15normal_iteratorINSA_10device_ptrIxEEEEPS6_NSA_18transform_iteratorINSB_9not_fun_tI7is_trueIxEEESF_NSA_11use_defaultESM_EENS0_5tupleIJSF_S6_EEENSO_IJSG_SG_EEES6_PlJS6_EEE10hipError_tPvRmT3_T4_T5_T6_T7_T9_mT8_P12ihipStream_tbDpT10_ENKUlT_T0_E_clISt17integral_constantIbLb0EES1A_IbLb1EEEEDaS16_S17_EUlS16_E_NS1_11comp_targetILNS1_3genE3ELNS1_11target_archE908ELNS1_3gpuE7ELNS1_3repE0EEENS1_30default_config_static_selectorELNS0_4arch9wavefront6targetE0EEEvT1_.has_dyn_sized_stack, 0
	.set _ZN7rocprim17ROCPRIM_400000_NS6detail17trampoline_kernelINS0_14default_configENS1_25partition_config_selectorILNS1_17partition_subalgoE5ExNS0_10empty_typeEbEEZZNS1_14partition_implILS5_5ELb0ES3_mN6thrust23THRUST_200600_302600_NS6detail15normal_iteratorINSA_10device_ptrIxEEEEPS6_NSA_18transform_iteratorINSB_9not_fun_tI7is_trueIxEEESF_NSA_11use_defaultESM_EENS0_5tupleIJSF_S6_EEENSO_IJSG_SG_EEES6_PlJS6_EEE10hipError_tPvRmT3_T4_T5_T6_T7_T9_mT8_P12ihipStream_tbDpT10_ENKUlT_T0_E_clISt17integral_constantIbLb0EES1A_IbLb1EEEEDaS16_S17_EUlS16_E_NS1_11comp_targetILNS1_3genE3ELNS1_11target_archE908ELNS1_3gpuE7ELNS1_3repE0EEENS1_30default_config_static_selectorELNS0_4arch9wavefront6targetE0EEEvT1_.has_recursion, 0
	.set _ZN7rocprim17ROCPRIM_400000_NS6detail17trampoline_kernelINS0_14default_configENS1_25partition_config_selectorILNS1_17partition_subalgoE5ExNS0_10empty_typeEbEEZZNS1_14partition_implILS5_5ELb0ES3_mN6thrust23THRUST_200600_302600_NS6detail15normal_iteratorINSA_10device_ptrIxEEEEPS6_NSA_18transform_iteratorINSB_9not_fun_tI7is_trueIxEEESF_NSA_11use_defaultESM_EENS0_5tupleIJSF_S6_EEENSO_IJSG_SG_EEES6_PlJS6_EEE10hipError_tPvRmT3_T4_T5_T6_T7_T9_mT8_P12ihipStream_tbDpT10_ENKUlT_T0_E_clISt17integral_constantIbLb0EES1A_IbLb1EEEEDaS16_S17_EUlS16_E_NS1_11comp_targetILNS1_3genE3ELNS1_11target_archE908ELNS1_3gpuE7ELNS1_3repE0EEENS1_30default_config_static_selectorELNS0_4arch9wavefront6targetE0EEEvT1_.has_indirect_call, 0
	.section	.AMDGPU.csdata,"",@progbits
; Kernel info:
; codeLenInByte = 0
; TotalNumSgprs: 0
; NumVgprs: 0
; ScratchSize: 0
; MemoryBound: 0
; FloatMode: 240
; IeeeMode: 1
; LDSByteSize: 0 bytes/workgroup (compile time only)
; SGPRBlocks: 0
; VGPRBlocks: 0
; NumSGPRsForWavesPerEU: 1
; NumVGPRsForWavesPerEU: 1
; Occupancy: 16
; WaveLimiterHint : 0
; COMPUTE_PGM_RSRC2:SCRATCH_EN: 0
; COMPUTE_PGM_RSRC2:USER_SGPR: 2
; COMPUTE_PGM_RSRC2:TRAP_HANDLER: 0
; COMPUTE_PGM_RSRC2:TGID_X_EN: 1
; COMPUTE_PGM_RSRC2:TGID_Y_EN: 0
; COMPUTE_PGM_RSRC2:TGID_Z_EN: 0
; COMPUTE_PGM_RSRC2:TIDIG_COMP_CNT: 0
	.section	.text._ZN7rocprim17ROCPRIM_400000_NS6detail17trampoline_kernelINS0_14default_configENS1_25partition_config_selectorILNS1_17partition_subalgoE5ExNS0_10empty_typeEbEEZZNS1_14partition_implILS5_5ELb0ES3_mN6thrust23THRUST_200600_302600_NS6detail15normal_iteratorINSA_10device_ptrIxEEEEPS6_NSA_18transform_iteratorINSB_9not_fun_tI7is_trueIxEEESF_NSA_11use_defaultESM_EENS0_5tupleIJSF_S6_EEENSO_IJSG_SG_EEES6_PlJS6_EEE10hipError_tPvRmT3_T4_T5_T6_T7_T9_mT8_P12ihipStream_tbDpT10_ENKUlT_T0_E_clISt17integral_constantIbLb0EES1A_IbLb1EEEEDaS16_S17_EUlS16_E_NS1_11comp_targetILNS1_3genE2ELNS1_11target_archE906ELNS1_3gpuE6ELNS1_3repE0EEENS1_30default_config_static_selectorELNS0_4arch9wavefront6targetE0EEEvT1_,"axG",@progbits,_ZN7rocprim17ROCPRIM_400000_NS6detail17trampoline_kernelINS0_14default_configENS1_25partition_config_selectorILNS1_17partition_subalgoE5ExNS0_10empty_typeEbEEZZNS1_14partition_implILS5_5ELb0ES3_mN6thrust23THRUST_200600_302600_NS6detail15normal_iteratorINSA_10device_ptrIxEEEEPS6_NSA_18transform_iteratorINSB_9not_fun_tI7is_trueIxEEESF_NSA_11use_defaultESM_EENS0_5tupleIJSF_S6_EEENSO_IJSG_SG_EEES6_PlJS6_EEE10hipError_tPvRmT3_T4_T5_T6_T7_T9_mT8_P12ihipStream_tbDpT10_ENKUlT_T0_E_clISt17integral_constantIbLb0EES1A_IbLb1EEEEDaS16_S17_EUlS16_E_NS1_11comp_targetILNS1_3genE2ELNS1_11target_archE906ELNS1_3gpuE6ELNS1_3repE0EEENS1_30default_config_static_selectorELNS0_4arch9wavefront6targetE0EEEvT1_,comdat
	.protected	_ZN7rocprim17ROCPRIM_400000_NS6detail17trampoline_kernelINS0_14default_configENS1_25partition_config_selectorILNS1_17partition_subalgoE5ExNS0_10empty_typeEbEEZZNS1_14partition_implILS5_5ELb0ES3_mN6thrust23THRUST_200600_302600_NS6detail15normal_iteratorINSA_10device_ptrIxEEEEPS6_NSA_18transform_iteratorINSB_9not_fun_tI7is_trueIxEEESF_NSA_11use_defaultESM_EENS0_5tupleIJSF_S6_EEENSO_IJSG_SG_EEES6_PlJS6_EEE10hipError_tPvRmT3_T4_T5_T6_T7_T9_mT8_P12ihipStream_tbDpT10_ENKUlT_T0_E_clISt17integral_constantIbLb0EES1A_IbLb1EEEEDaS16_S17_EUlS16_E_NS1_11comp_targetILNS1_3genE2ELNS1_11target_archE906ELNS1_3gpuE6ELNS1_3repE0EEENS1_30default_config_static_selectorELNS0_4arch9wavefront6targetE0EEEvT1_ ; -- Begin function _ZN7rocprim17ROCPRIM_400000_NS6detail17trampoline_kernelINS0_14default_configENS1_25partition_config_selectorILNS1_17partition_subalgoE5ExNS0_10empty_typeEbEEZZNS1_14partition_implILS5_5ELb0ES3_mN6thrust23THRUST_200600_302600_NS6detail15normal_iteratorINSA_10device_ptrIxEEEEPS6_NSA_18transform_iteratorINSB_9not_fun_tI7is_trueIxEEESF_NSA_11use_defaultESM_EENS0_5tupleIJSF_S6_EEENSO_IJSG_SG_EEES6_PlJS6_EEE10hipError_tPvRmT3_T4_T5_T6_T7_T9_mT8_P12ihipStream_tbDpT10_ENKUlT_T0_E_clISt17integral_constantIbLb0EES1A_IbLb1EEEEDaS16_S17_EUlS16_E_NS1_11comp_targetILNS1_3genE2ELNS1_11target_archE906ELNS1_3gpuE6ELNS1_3repE0EEENS1_30default_config_static_selectorELNS0_4arch9wavefront6targetE0EEEvT1_
	.globl	_ZN7rocprim17ROCPRIM_400000_NS6detail17trampoline_kernelINS0_14default_configENS1_25partition_config_selectorILNS1_17partition_subalgoE5ExNS0_10empty_typeEbEEZZNS1_14partition_implILS5_5ELb0ES3_mN6thrust23THRUST_200600_302600_NS6detail15normal_iteratorINSA_10device_ptrIxEEEEPS6_NSA_18transform_iteratorINSB_9not_fun_tI7is_trueIxEEESF_NSA_11use_defaultESM_EENS0_5tupleIJSF_S6_EEENSO_IJSG_SG_EEES6_PlJS6_EEE10hipError_tPvRmT3_T4_T5_T6_T7_T9_mT8_P12ihipStream_tbDpT10_ENKUlT_T0_E_clISt17integral_constantIbLb0EES1A_IbLb1EEEEDaS16_S17_EUlS16_E_NS1_11comp_targetILNS1_3genE2ELNS1_11target_archE906ELNS1_3gpuE6ELNS1_3repE0EEENS1_30default_config_static_selectorELNS0_4arch9wavefront6targetE0EEEvT1_
	.p2align	8
	.type	_ZN7rocprim17ROCPRIM_400000_NS6detail17trampoline_kernelINS0_14default_configENS1_25partition_config_selectorILNS1_17partition_subalgoE5ExNS0_10empty_typeEbEEZZNS1_14partition_implILS5_5ELb0ES3_mN6thrust23THRUST_200600_302600_NS6detail15normal_iteratorINSA_10device_ptrIxEEEEPS6_NSA_18transform_iteratorINSB_9not_fun_tI7is_trueIxEEESF_NSA_11use_defaultESM_EENS0_5tupleIJSF_S6_EEENSO_IJSG_SG_EEES6_PlJS6_EEE10hipError_tPvRmT3_T4_T5_T6_T7_T9_mT8_P12ihipStream_tbDpT10_ENKUlT_T0_E_clISt17integral_constantIbLb0EES1A_IbLb1EEEEDaS16_S17_EUlS16_E_NS1_11comp_targetILNS1_3genE2ELNS1_11target_archE906ELNS1_3gpuE6ELNS1_3repE0EEENS1_30default_config_static_selectorELNS0_4arch9wavefront6targetE0EEEvT1_,@function
_ZN7rocprim17ROCPRIM_400000_NS6detail17trampoline_kernelINS0_14default_configENS1_25partition_config_selectorILNS1_17partition_subalgoE5ExNS0_10empty_typeEbEEZZNS1_14partition_implILS5_5ELb0ES3_mN6thrust23THRUST_200600_302600_NS6detail15normal_iteratorINSA_10device_ptrIxEEEEPS6_NSA_18transform_iteratorINSB_9not_fun_tI7is_trueIxEEESF_NSA_11use_defaultESM_EENS0_5tupleIJSF_S6_EEENSO_IJSG_SG_EEES6_PlJS6_EEE10hipError_tPvRmT3_T4_T5_T6_T7_T9_mT8_P12ihipStream_tbDpT10_ENKUlT_T0_E_clISt17integral_constantIbLb0EES1A_IbLb1EEEEDaS16_S17_EUlS16_E_NS1_11comp_targetILNS1_3genE2ELNS1_11target_archE906ELNS1_3gpuE6ELNS1_3repE0EEENS1_30default_config_static_selectorELNS0_4arch9wavefront6targetE0EEEvT1_: ; @_ZN7rocprim17ROCPRIM_400000_NS6detail17trampoline_kernelINS0_14default_configENS1_25partition_config_selectorILNS1_17partition_subalgoE5ExNS0_10empty_typeEbEEZZNS1_14partition_implILS5_5ELb0ES3_mN6thrust23THRUST_200600_302600_NS6detail15normal_iteratorINSA_10device_ptrIxEEEEPS6_NSA_18transform_iteratorINSB_9not_fun_tI7is_trueIxEEESF_NSA_11use_defaultESM_EENS0_5tupleIJSF_S6_EEENSO_IJSG_SG_EEES6_PlJS6_EEE10hipError_tPvRmT3_T4_T5_T6_T7_T9_mT8_P12ihipStream_tbDpT10_ENKUlT_T0_E_clISt17integral_constantIbLb0EES1A_IbLb1EEEEDaS16_S17_EUlS16_E_NS1_11comp_targetILNS1_3genE2ELNS1_11target_archE906ELNS1_3gpuE6ELNS1_3repE0EEENS1_30default_config_static_selectorELNS0_4arch9wavefront6targetE0EEEvT1_
; %bb.0:
	.section	.rodata,"a",@progbits
	.p2align	6, 0x0
	.amdhsa_kernel _ZN7rocprim17ROCPRIM_400000_NS6detail17trampoline_kernelINS0_14default_configENS1_25partition_config_selectorILNS1_17partition_subalgoE5ExNS0_10empty_typeEbEEZZNS1_14partition_implILS5_5ELb0ES3_mN6thrust23THRUST_200600_302600_NS6detail15normal_iteratorINSA_10device_ptrIxEEEEPS6_NSA_18transform_iteratorINSB_9not_fun_tI7is_trueIxEEESF_NSA_11use_defaultESM_EENS0_5tupleIJSF_S6_EEENSO_IJSG_SG_EEES6_PlJS6_EEE10hipError_tPvRmT3_T4_T5_T6_T7_T9_mT8_P12ihipStream_tbDpT10_ENKUlT_T0_E_clISt17integral_constantIbLb0EES1A_IbLb1EEEEDaS16_S17_EUlS16_E_NS1_11comp_targetILNS1_3genE2ELNS1_11target_archE906ELNS1_3gpuE6ELNS1_3repE0EEENS1_30default_config_static_selectorELNS0_4arch9wavefront6targetE0EEEvT1_
		.amdhsa_group_segment_fixed_size 0
		.amdhsa_private_segment_fixed_size 0
		.amdhsa_kernarg_size 136
		.amdhsa_user_sgpr_count 2
		.amdhsa_user_sgpr_dispatch_ptr 0
		.amdhsa_user_sgpr_queue_ptr 0
		.amdhsa_user_sgpr_kernarg_segment_ptr 1
		.amdhsa_user_sgpr_dispatch_id 0
		.amdhsa_user_sgpr_private_segment_size 0
		.amdhsa_wavefront_size32 1
		.amdhsa_uses_dynamic_stack 0
		.amdhsa_enable_private_segment 0
		.amdhsa_system_sgpr_workgroup_id_x 1
		.amdhsa_system_sgpr_workgroup_id_y 0
		.amdhsa_system_sgpr_workgroup_id_z 0
		.amdhsa_system_sgpr_workgroup_info 0
		.amdhsa_system_vgpr_workitem_id 0
		.amdhsa_next_free_vgpr 1
		.amdhsa_next_free_sgpr 1
		.amdhsa_reserve_vcc 0
		.amdhsa_float_round_mode_32 0
		.amdhsa_float_round_mode_16_64 0
		.amdhsa_float_denorm_mode_32 3
		.amdhsa_float_denorm_mode_16_64 3
		.amdhsa_fp16_overflow 0
		.amdhsa_workgroup_processor_mode 1
		.amdhsa_memory_ordered 1
		.amdhsa_forward_progress 1
		.amdhsa_inst_pref_size 0
		.amdhsa_round_robin_scheduling 0
		.amdhsa_exception_fp_ieee_invalid_op 0
		.amdhsa_exception_fp_denorm_src 0
		.amdhsa_exception_fp_ieee_div_zero 0
		.amdhsa_exception_fp_ieee_overflow 0
		.amdhsa_exception_fp_ieee_underflow 0
		.amdhsa_exception_fp_ieee_inexact 0
		.amdhsa_exception_int_div_zero 0
	.end_amdhsa_kernel
	.section	.text._ZN7rocprim17ROCPRIM_400000_NS6detail17trampoline_kernelINS0_14default_configENS1_25partition_config_selectorILNS1_17partition_subalgoE5ExNS0_10empty_typeEbEEZZNS1_14partition_implILS5_5ELb0ES3_mN6thrust23THRUST_200600_302600_NS6detail15normal_iteratorINSA_10device_ptrIxEEEEPS6_NSA_18transform_iteratorINSB_9not_fun_tI7is_trueIxEEESF_NSA_11use_defaultESM_EENS0_5tupleIJSF_S6_EEENSO_IJSG_SG_EEES6_PlJS6_EEE10hipError_tPvRmT3_T4_T5_T6_T7_T9_mT8_P12ihipStream_tbDpT10_ENKUlT_T0_E_clISt17integral_constantIbLb0EES1A_IbLb1EEEEDaS16_S17_EUlS16_E_NS1_11comp_targetILNS1_3genE2ELNS1_11target_archE906ELNS1_3gpuE6ELNS1_3repE0EEENS1_30default_config_static_selectorELNS0_4arch9wavefront6targetE0EEEvT1_,"axG",@progbits,_ZN7rocprim17ROCPRIM_400000_NS6detail17trampoline_kernelINS0_14default_configENS1_25partition_config_selectorILNS1_17partition_subalgoE5ExNS0_10empty_typeEbEEZZNS1_14partition_implILS5_5ELb0ES3_mN6thrust23THRUST_200600_302600_NS6detail15normal_iteratorINSA_10device_ptrIxEEEEPS6_NSA_18transform_iteratorINSB_9not_fun_tI7is_trueIxEEESF_NSA_11use_defaultESM_EENS0_5tupleIJSF_S6_EEENSO_IJSG_SG_EEES6_PlJS6_EEE10hipError_tPvRmT3_T4_T5_T6_T7_T9_mT8_P12ihipStream_tbDpT10_ENKUlT_T0_E_clISt17integral_constantIbLb0EES1A_IbLb1EEEEDaS16_S17_EUlS16_E_NS1_11comp_targetILNS1_3genE2ELNS1_11target_archE906ELNS1_3gpuE6ELNS1_3repE0EEENS1_30default_config_static_selectorELNS0_4arch9wavefront6targetE0EEEvT1_,comdat
.Lfunc_end1495:
	.size	_ZN7rocprim17ROCPRIM_400000_NS6detail17trampoline_kernelINS0_14default_configENS1_25partition_config_selectorILNS1_17partition_subalgoE5ExNS0_10empty_typeEbEEZZNS1_14partition_implILS5_5ELb0ES3_mN6thrust23THRUST_200600_302600_NS6detail15normal_iteratorINSA_10device_ptrIxEEEEPS6_NSA_18transform_iteratorINSB_9not_fun_tI7is_trueIxEEESF_NSA_11use_defaultESM_EENS0_5tupleIJSF_S6_EEENSO_IJSG_SG_EEES6_PlJS6_EEE10hipError_tPvRmT3_T4_T5_T6_T7_T9_mT8_P12ihipStream_tbDpT10_ENKUlT_T0_E_clISt17integral_constantIbLb0EES1A_IbLb1EEEEDaS16_S17_EUlS16_E_NS1_11comp_targetILNS1_3genE2ELNS1_11target_archE906ELNS1_3gpuE6ELNS1_3repE0EEENS1_30default_config_static_selectorELNS0_4arch9wavefront6targetE0EEEvT1_, .Lfunc_end1495-_ZN7rocprim17ROCPRIM_400000_NS6detail17trampoline_kernelINS0_14default_configENS1_25partition_config_selectorILNS1_17partition_subalgoE5ExNS0_10empty_typeEbEEZZNS1_14partition_implILS5_5ELb0ES3_mN6thrust23THRUST_200600_302600_NS6detail15normal_iteratorINSA_10device_ptrIxEEEEPS6_NSA_18transform_iteratorINSB_9not_fun_tI7is_trueIxEEESF_NSA_11use_defaultESM_EENS0_5tupleIJSF_S6_EEENSO_IJSG_SG_EEES6_PlJS6_EEE10hipError_tPvRmT3_T4_T5_T6_T7_T9_mT8_P12ihipStream_tbDpT10_ENKUlT_T0_E_clISt17integral_constantIbLb0EES1A_IbLb1EEEEDaS16_S17_EUlS16_E_NS1_11comp_targetILNS1_3genE2ELNS1_11target_archE906ELNS1_3gpuE6ELNS1_3repE0EEENS1_30default_config_static_selectorELNS0_4arch9wavefront6targetE0EEEvT1_
                                        ; -- End function
	.set _ZN7rocprim17ROCPRIM_400000_NS6detail17trampoline_kernelINS0_14default_configENS1_25partition_config_selectorILNS1_17partition_subalgoE5ExNS0_10empty_typeEbEEZZNS1_14partition_implILS5_5ELb0ES3_mN6thrust23THRUST_200600_302600_NS6detail15normal_iteratorINSA_10device_ptrIxEEEEPS6_NSA_18transform_iteratorINSB_9not_fun_tI7is_trueIxEEESF_NSA_11use_defaultESM_EENS0_5tupleIJSF_S6_EEENSO_IJSG_SG_EEES6_PlJS6_EEE10hipError_tPvRmT3_T4_T5_T6_T7_T9_mT8_P12ihipStream_tbDpT10_ENKUlT_T0_E_clISt17integral_constantIbLb0EES1A_IbLb1EEEEDaS16_S17_EUlS16_E_NS1_11comp_targetILNS1_3genE2ELNS1_11target_archE906ELNS1_3gpuE6ELNS1_3repE0EEENS1_30default_config_static_selectorELNS0_4arch9wavefront6targetE0EEEvT1_.num_vgpr, 0
	.set _ZN7rocprim17ROCPRIM_400000_NS6detail17trampoline_kernelINS0_14default_configENS1_25partition_config_selectorILNS1_17partition_subalgoE5ExNS0_10empty_typeEbEEZZNS1_14partition_implILS5_5ELb0ES3_mN6thrust23THRUST_200600_302600_NS6detail15normal_iteratorINSA_10device_ptrIxEEEEPS6_NSA_18transform_iteratorINSB_9not_fun_tI7is_trueIxEEESF_NSA_11use_defaultESM_EENS0_5tupleIJSF_S6_EEENSO_IJSG_SG_EEES6_PlJS6_EEE10hipError_tPvRmT3_T4_T5_T6_T7_T9_mT8_P12ihipStream_tbDpT10_ENKUlT_T0_E_clISt17integral_constantIbLb0EES1A_IbLb1EEEEDaS16_S17_EUlS16_E_NS1_11comp_targetILNS1_3genE2ELNS1_11target_archE906ELNS1_3gpuE6ELNS1_3repE0EEENS1_30default_config_static_selectorELNS0_4arch9wavefront6targetE0EEEvT1_.num_agpr, 0
	.set _ZN7rocprim17ROCPRIM_400000_NS6detail17trampoline_kernelINS0_14default_configENS1_25partition_config_selectorILNS1_17partition_subalgoE5ExNS0_10empty_typeEbEEZZNS1_14partition_implILS5_5ELb0ES3_mN6thrust23THRUST_200600_302600_NS6detail15normal_iteratorINSA_10device_ptrIxEEEEPS6_NSA_18transform_iteratorINSB_9not_fun_tI7is_trueIxEEESF_NSA_11use_defaultESM_EENS0_5tupleIJSF_S6_EEENSO_IJSG_SG_EEES6_PlJS6_EEE10hipError_tPvRmT3_T4_T5_T6_T7_T9_mT8_P12ihipStream_tbDpT10_ENKUlT_T0_E_clISt17integral_constantIbLb0EES1A_IbLb1EEEEDaS16_S17_EUlS16_E_NS1_11comp_targetILNS1_3genE2ELNS1_11target_archE906ELNS1_3gpuE6ELNS1_3repE0EEENS1_30default_config_static_selectorELNS0_4arch9wavefront6targetE0EEEvT1_.numbered_sgpr, 0
	.set _ZN7rocprim17ROCPRIM_400000_NS6detail17trampoline_kernelINS0_14default_configENS1_25partition_config_selectorILNS1_17partition_subalgoE5ExNS0_10empty_typeEbEEZZNS1_14partition_implILS5_5ELb0ES3_mN6thrust23THRUST_200600_302600_NS6detail15normal_iteratorINSA_10device_ptrIxEEEEPS6_NSA_18transform_iteratorINSB_9not_fun_tI7is_trueIxEEESF_NSA_11use_defaultESM_EENS0_5tupleIJSF_S6_EEENSO_IJSG_SG_EEES6_PlJS6_EEE10hipError_tPvRmT3_T4_T5_T6_T7_T9_mT8_P12ihipStream_tbDpT10_ENKUlT_T0_E_clISt17integral_constantIbLb0EES1A_IbLb1EEEEDaS16_S17_EUlS16_E_NS1_11comp_targetILNS1_3genE2ELNS1_11target_archE906ELNS1_3gpuE6ELNS1_3repE0EEENS1_30default_config_static_selectorELNS0_4arch9wavefront6targetE0EEEvT1_.num_named_barrier, 0
	.set _ZN7rocprim17ROCPRIM_400000_NS6detail17trampoline_kernelINS0_14default_configENS1_25partition_config_selectorILNS1_17partition_subalgoE5ExNS0_10empty_typeEbEEZZNS1_14partition_implILS5_5ELb0ES3_mN6thrust23THRUST_200600_302600_NS6detail15normal_iteratorINSA_10device_ptrIxEEEEPS6_NSA_18transform_iteratorINSB_9not_fun_tI7is_trueIxEEESF_NSA_11use_defaultESM_EENS0_5tupleIJSF_S6_EEENSO_IJSG_SG_EEES6_PlJS6_EEE10hipError_tPvRmT3_T4_T5_T6_T7_T9_mT8_P12ihipStream_tbDpT10_ENKUlT_T0_E_clISt17integral_constantIbLb0EES1A_IbLb1EEEEDaS16_S17_EUlS16_E_NS1_11comp_targetILNS1_3genE2ELNS1_11target_archE906ELNS1_3gpuE6ELNS1_3repE0EEENS1_30default_config_static_selectorELNS0_4arch9wavefront6targetE0EEEvT1_.private_seg_size, 0
	.set _ZN7rocprim17ROCPRIM_400000_NS6detail17trampoline_kernelINS0_14default_configENS1_25partition_config_selectorILNS1_17partition_subalgoE5ExNS0_10empty_typeEbEEZZNS1_14partition_implILS5_5ELb0ES3_mN6thrust23THRUST_200600_302600_NS6detail15normal_iteratorINSA_10device_ptrIxEEEEPS6_NSA_18transform_iteratorINSB_9not_fun_tI7is_trueIxEEESF_NSA_11use_defaultESM_EENS0_5tupleIJSF_S6_EEENSO_IJSG_SG_EEES6_PlJS6_EEE10hipError_tPvRmT3_T4_T5_T6_T7_T9_mT8_P12ihipStream_tbDpT10_ENKUlT_T0_E_clISt17integral_constantIbLb0EES1A_IbLb1EEEEDaS16_S17_EUlS16_E_NS1_11comp_targetILNS1_3genE2ELNS1_11target_archE906ELNS1_3gpuE6ELNS1_3repE0EEENS1_30default_config_static_selectorELNS0_4arch9wavefront6targetE0EEEvT1_.uses_vcc, 0
	.set _ZN7rocprim17ROCPRIM_400000_NS6detail17trampoline_kernelINS0_14default_configENS1_25partition_config_selectorILNS1_17partition_subalgoE5ExNS0_10empty_typeEbEEZZNS1_14partition_implILS5_5ELb0ES3_mN6thrust23THRUST_200600_302600_NS6detail15normal_iteratorINSA_10device_ptrIxEEEEPS6_NSA_18transform_iteratorINSB_9not_fun_tI7is_trueIxEEESF_NSA_11use_defaultESM_EENS0_5tupleIJSF_S6_EEENSO_IJSG_SG_EEES6_PlJS6_EEE10hipError_tPvRmT3_T4_T5_T6_T7_T9_mT8_P12ihipStream_tbDpT10_ENKUlT_T0_E_clISt17integral_constantIbLb0EES1A_IbLb1EEEEDaS16_S17_EUlS16_E_NS1_11comp_targetILNS1_3genE2ELNS1_11target_archE906ELNS1_3gpuE6ELNS1_3repE0EEENS1_30default_config_static_selectorELNS0_4arch9wavefront6targetE0EEEvT1_.uses_flat_scratch, 0
	.set _ZN7rocprim17ROCPRIM_400000_NS6detail17trampoline_kernelINS0_14default_configENS1_25partition_config_selectorILNS1_17partition_subalgoE5ExNS0_10empty_typeEbEEZZNS1_14partition_implILS5_5ELb0ES3_mN6thrust23THRUST_200600_302600_NS6detail15normal_iteratorINSA_10device_ptrIxEEEEPS6_NSA_18transform_iteratorINSB_9not_fun_tI7is_trueIxEEESF_NSA_11use_defaultESM_EENS0_5tupleIJSF_S6_EEENSO_IJSG_SG_EEES6_PlJS6_EEE10hipError_tPvRmT3_T4_T5_T6_T7_T9_mT8_P12ihipStream_tbDpT10_ENKUlT_T0_E_clISt17integral_constantIbLb0EES1A_IbLb1EEEEDaS16_S17_EUlS16_E_NS1_11comp_targetILNS1_3genE2ELNS1_11target_archE906ELNS1_3gpuE6ELNS1_3repE0EEENS1_30default_config_static_selectorELNS0_4arch9wavefront6targetE0EEEvT1_.has_dyn_sized_stack, 0
	.set _ZN7rocprim17ROCPRIM_400000_NS6detail17trampoline_kernelINS0_14default_configENS1_25partition_config_selectorILNS1_17partition_subalgoE5ExNS0_10empty_typeEbEEZZNS1_14partition_implILS5_5ELb0ES3_mN6thrust23THRUST_200600_302600_NS6detail15normal_iteratorINSA_10device_ptrIxEEEEPS6_NSA_18transform_iteratorINSB_9not_fun_tI7is_trueIxEEESF_NSA_11use_defaultESM_EENS0_5tupleIJSF_S6_EEENSO_IJSG_SG_EEES6_PlJS6_EEE10hipError_tPvRmT3_T4_T5_T6_T7_T9_mT8_P12ihipStream_tbDpT10_ENKUlT_T0_E_clISt17integral_constantIbLb0EES1A_IbLb1EEEEDaS16_S17_EUlS16_E_NS1_11comp_targetILNS1_3genE2ELNS1_11target_archE906ELNS1_3gpuE6ELNS1_3repE0EEENS1_30default_config_static_selectorELNS0_4arch9wavefront6targetE0EEEvT1_.has_recursion, 0
	.set _ZN7rocprim17ROCPRIM_400000_NS6detail17trampoline_kernelINS0_14default_configENS1_25partition_config_selectorILNS1_17partition_subalgoE5ExNS0_10empty_typeEbEEZZNS1_14partition_implILS5_5ELb0ES3_mN6thrust23THRUST_200600_302600_NS6detail15normal_iteratorINSA_10device_ptrIxEEEEPS6_NSA_18transform_iteratorINSB_9not_fun_tI7is_trueIxEEESF_NSA_11use_defaultESM_EENS0_5tupleIJSF_S6_EEENSO_IJSG_SG_EEES6_PlJS6_EEE10hipError_tPvRmT3_T4_T5_T6_T7_T9_mT8_P12ihipStream_tbDpT10_ENKUlT_T0_E_clISt17integral_constantIbLb0EES1A_IbLb1EEEEDaS16_S17_EUlS16_E_NS1_11comp_targetILNS1_3genE2ELNS1_11target_archE906ELNS1_3gpuE6ELNS1_3repE0EEENS1_30default_config_static_selectorELNS0_4arch9wavefront6targetE0EEEvT1_.has_indirect_call, 0
	.section	.AMDGPU.csdata,"",@progbits
; Kernel info:
; codeLenInByte = 0
; TotalNumSgprs: 0
; NumVgprs: 0
; ScratchSize: 0
; MemoryBound: 0
; FloatMode: 240
; IeeeMode: 1
; LDSByteSize: 0 bytes/workgroup (compile time only)
; SGPRBlocks: 0
; VGPRBlocks: 0
; NumSGPRsForWavesPerEU: 1
; NumVGPRsForWavesPerEU: 1
; Occupancy: 16
; WaveLimiterHint : 0
; COMPUTE_PGM_RSRC2:SCRATCH_EN: 0
; COMPUTE_PGM_RSRC2:USER_SGPR: 2
; COMPUTE_PGM_RSRC2:TRAP_HANDLER: 0
; COMPUTE_PGM_RSRC2:TGID_X_EN: 1
; COMPUTE_PGM_RSRC2:TGID_Y_EN: 0
; COMPUTE_PGM_RSRC2:TGID_Z_EN: 0
; COMPUTE_PGM_RSRC2:TIDIG_COMP_CNT: 0
	.section	.text._ZN7rocprim17ROCPRIM_400000_NS6detail17trampoline_kernelINS0_14default_configENS1_25partition_config_selectorILNS1_17partition_subalgoE5ExNS0_10empty_typeEbEEZZNS1_14partition_implILS5_5ELb0ES3_mN6thrust23THRUST_200600_302600_NS6detail15normal_iteratorINSA_10device_ptrIxEEEEPS6_NSA_18transform_iteratorINSB_9not_fun_tI7is_trueIxEEESF_NSA_11use_defaultESM_EENS0_5tupleIJSF_S6_EEENSO_IJSG_SG_EEES6_PlJS6_EEE10hipError_tPvRmT3_T4_T5_T6_T7_T9_mT8_P12ihipStream_tbDpT10_ENKUlT_T0_E_clISt17integral_constantIbLb0EES1A_IbLb1EEEEDaS16_S17_EUlS16_E_NS1_11comp_targetILNS1_3genE10ELNS1_11target_archE1200ELNS1_3gpuE4ELNS1_3repE0EEENS1_30default_config_static_selectorELNS0_4arch9wavefront6targetE0EEEvT1_,"axG",@progbits,_ZN7rocprim17ROCPRIM_400000_NS6detail17trampoline_kernelINS0_14default_configENS1_25partition_config_selectorILNS1_17partition_subalgoE5ExNS0_10empty_typeEbEEZZNS1_14partition_implILS5_5ELb0ES3_mN6thrust23THRUST_200600_302600_NS6detail15normal_iteratorINSA_10device_ptrIxEEEEPS6_NSA_18transform_iteratorINSB_9not_fun_tI7is_trueIxEEESF_NSA_11use_defaultESM_EENS0_5tupleIJSF_S6_EEENSO_IJSG_SG_EEES6_PlJS6_EEE10hipError_tPvRmT3_T4_T5_T6_T7_T9_mT8_P12ihipStream_tbDpT10_ENKUlT_T0_E_clISt17integral_constantIbLb0EES1A_IbLb1EEEEDaS16_S17_EUlS16_E_NS1_11comp_targetILNS1_3genE10ELNS1_11target_archE1200ELNS1_3gpuE4ELNS1_3repE0EEENS1_30default_config_static_selectorELNS0_4arch9wavefront6targetE0EEEvT1_,comdat
	.protected	_ZN7rocprim17ROCPRIM_400000_NS6detail17trampoline_kernelINS0_14default_configENS1_25partition_config_selectorILNS1_17partition_subalgoE5ExNS0_10empty_typeEbEEZZNS1_14partition_implILS5_5ELb0ES3_mN6thrust23THRUST_200600_302600_NS6detail15normal_iteratorINSA_10device_ptrIxEEEEPS6_NSA_18transform_iteratorINSB_9not_fun_tI7is_trueIxEEESF_NSA_11use_defaultESM_EENS0_5tupleIJSF_S6_EEENSO_IJSG_SG_EEES6_PlJS6_EEE10hipError_tPvRmT3_T4_T5_T6_T7_T9_mT8_P12ihipStream_tbDpT10_ENKUlT_T0_E_clISt17integral_constantIbLb0EES1A_IbLb1EEEEDaS16_S17_EUlS16_E_NS1_11comp_targetILNS1_3genE10ELNS1_11target_archE1200ELNS1_3gpuE4ELNS1_3repE0EEENS1_30default_config_static_selectorELNS0_4arch9wavefront6targetE0EEEvT1_ ; -- Begin function _ZN7rocprim17ROCPRIM_400000_NS6detail17trampoline_kernelINS0_14default_configENS1_25partition_config_selectorILNS1_17partition_subalgoE5ExNS0_10empty_typeEbEEZZNS1_14partition_implILS5_5ELb0ES3_mN6thrust23THRUST_200600_302600_NS6detail15normal_iteratorINSA_10device_ptrIxEEEEPS6_NSA_18transform_iteratorINSB_9not_fun_tI7is_trueIxEEESF_NSA_11use_defaultESM_EENS0_5tupleIJSF_S6_EEENSO_IJSG_SG_EEES6_PlJS6_EEE10hipError_tPvRmT3_T4_T5_T6_T7_T9_mT8_P12ihipStream_tbDpT10_ENKUlT_T0_E_clISt17integral_constantIbLb0EES1A_IbLb1EEEEDaS16_S17_EUlS16_E_NS1_11comp_targetILNS1_3genE10ELNS1_11target_archE1200ELNS1_3gpuE4ELNS1_3repE0EEENS1_30default_config_static_selectorELNS0_4arch9wavefront6targetE0EEEvT1_
	.globl	_ZN7rocprim17ROCPRIM_400000_NS6detail17trampoline_kernelINS0_14default_configENS1_25partition_config_selectorILNS1_17partition_subalgoE5ExNS0_10empty_typeEbEEZZNS1_14partition_implILS5_5ELb0ES3_mN6thrust23THRUST_200600_302600_NS6detail15normal_iteratorINSA_10device_ptrIxEEEEPS6_NSA_18transform_iteratorINSB_9not_fun_tI7is_trueIxEEESF_NSA_11use_defaultESM_EENS0_5tupleIJSF_S6_EEENSO_IJSG_SG_EEES6_PlJS6_EEE10hipError_tPvRmT3_T4_T5_T6_T7_T9_mT8_P12ihipStream_tbDpT10_ENKUlT_T0_E_clISt17integral_constantIbLb0EES1A_IbLb1EEEEDaS16_S17_EUlS16_E_NS1_11comp_targetILNS1_3genE10ELNS1_11target_archE1200ELNS1_3gpuE4ELNS1_3repE0EEENS1_30default_config_static_selectorELNS0_4arch9wavefront6targetE0EEEvT1_
	.p2align	8
	.type	_ZN7rocprim17ROCPRIM_400000_NS6detail17trampoline_kernelINS0_14default_configENS1_25partition_config_selectorILNS1_17partition_subalgoE5ExNS0_10empty_typeEbEEZZNS1_14partition_implILS5_5ELb0ES3_mN6thrust23THRUST_200600_302600_NS6detail15normal_iteratorINSA_10device_ptrIxEEEEPS6_NSA_18transform_iteratorINSB_9not_fun_tI7is_trueIxEEESF_NSA_11use_defaultESM_EENS0_5tupleIJSF_S6_EEENSO_IJSG_SG_EEES6_PlJS6_EEE10hipError_tPvRmT3_T4_T5_T6_T7_T9_mT8_P12ihipStream_tbDpT10_ENKUlT_T0_E_clISt17integral_constantIbLb0EES1A_IbLb1EEEEDaS16_S17_EUlS16_E_NS1_11comp_targetILNS1_3genE10ELNS1_11target_archE1200ELNS1_3gpuE4ELNS1_3repE0EEENS1_30default_config_static_selectorELNS0_4arch9wavefront6targetE0EEEvT1_,@function
_ZN7rocprim17ROCPRIM_400000_NS6detail17trampoline_kernelINS0_14default_configENS1_25partition_config_selectorILNS1_17partition_subalgoE5ExNS0_10empty_typeEbEEZZNS1_14partition_implILS5_5ELb0ES3_mN6thrust23THRUST_200600_302600_NS6detail15normal_iteratorINSA_10device_ptrIxEEEEPS6_NSA_18transform_iteratorINSB_9not_fun_tI7is_trueIxEEESF_NSA_11use_defaultESM_EENS0_5tupleIJSF_S6_EEENSO_IJSG_SG_EEES6_PlJS6_EEE10hipError_tPvRmT3_T4_T5_T6_T7_T9_mT8_P12ihipStream_tbDpT10_ENKUlT_T0_E_clISt17integral_constantIbLb0EES1A_IbLb1EEEEDaS16_S17_EUlS16_E_NS1_11comp_targetILNS1_3genE10ELNS1_11target_archE1200ELNS1_3gpuE4ELNS1_3repE0EEENS1_30default_config_static_selectorELNS0_4arch9wavefront6targetE0EEEvT1_: ; @_ZN7rocprim17ROCPRIM_400000_NS6detail17trampoline_kernelINS0_14default_configENS1_25partition_config_selectorILNS1_17partition_subalgoE5ExNS0_10empty_typeEbEEZZNS1_14partition_implILS5_5ELb0ES3_mN6thrust23THRUST_200600_302600_NS6detail15normal_iteratorINSA_10device_ptrIxEEEEPS6_NSA_18transform_iteratorINSB_9not_fun_tI7is_trueIxEEESF_NSA_11use_defaultESM_EENS0_5tupleIJSF_S6_EEENSO_IJSG_SG_EEES6_PlJS6_EEE10hipError_tPvRmT3_T4_T5_T6_T7_T9_mT8_P12ihipStream_tbDpT10_ENKUlT_T0_E_clISt17integral_constantIbLb0EES1A_IbLb1EEEEDaS16_S17_EUlS16_E_NS1_11comp_targetILNS1_3genE10ELNS1_11target_archE1200ELNS1_3gpuE4ELNS1_3repE0EEENS1_30default_config_static_selectorELNS0_4arch9wavefront6targetE0EEEvT1_
; %bb.0:
	s_clause 0x3
	s_load_b64 s[12:13], s[0:1], 0x30
	s_load_b128 s[4:7], s[0:1], 0x48
	s_load_b64 s[18:19], s[0:1], 0x58
	s_load_b64 s[14:15], s[0:1], 0x68
	v_cmp_eq_u32_e64 s2, 0, v0
	s_and_saveexec_b32 s3, s2
	s_cbranch_execz .LBB1496_4
; %bb.1:
	s_mov_b32 s9, exec_lo
	s_mov_b32 s8, exec_lo
	v_mbcnt_lo_u32_b32 v1, s9, 0
                                        ; implicit-def: $vgpr2
	s_delay_alu instid0(VALU_DEP_1)
	v_cmpx_eq_u32_e32 0, v1
	s_cbranch_execz .LBB1496_3
; %bb.2:
	s_load_b64 s[10:11], s[0:1], 0x78
	s_bcnt1_i32_b32 s9, s9
	s_wait_alu 0xfffe
	v_dual_mov_b32 v2, 0 :: v_dual_mov_b32 v3, s9
	s_wait_kmcnt 0x0
	global_atomic_add_u32 v2, v2, v3, s[10:11] th:TH_ATOMIC_RETURN scope:SCOPE_DEV
.LBB1496_3:
	s_or_b32 exec_lo, exec_lo, s8
	s_wait_loadcnt 0x0
	v_readfirstlane_b32 s8, v2
	s_wait_alu 0xf1ff
	s_delay_alu instid0(VALU_DEP_1)
	v_dual_mov_b32 v2, 0 :: v_dual_add_nc_u32 v1, s8, v1
	ds_store_b32 v2, v1
.LBB1496_4:
	s_or_b32 exec_lo, exec_lo, s3
	v_mov_b32_e32 v1, 0
	s_clause 0x2
	s_load_b128 s[8:11], s[0:1], 0x8
	s_load_b64 s[16:17], s[0:1], 0x20
	s_load_b32 s0, s[0:1], 0x70
	s_wait_dscnt 0x0
	s_barrier_signal -1
	s_barrier_wait -1
	global_inv scope:SCOPE_SE
	ds_load_b32 v2, v1
	s_wait_loadcnt_dscnt 0x0
	s_barrier_signal -1
	s_barrier_wait -1
	global_inv scope:SCOPE_SE
	s_wait_kmcnt 0x0
	global_load_b64 v[17:18], v1, s[6:7]
	s_mov_b32 s25, 0
	v_lshrrev_b32_e32 v11, 2, v0
	s_mov_b32 s23, s25
	v_or_b32_e32 v10, 0x200, v0
	v_or_b32_e32 v9, 0x300, v0
	s_lshl_b64 s[6:7], s[10:11], 3
	s_add_co_i32 s21, s0, -1
	s_lshl_b32 s24, s0, 10
	s_lshl_b32 s3, s21, 10
	s_add_nc_u64 s[0:1], s[10:11], s[24:25]
	s_add_co_i32 s3, s10, s3
	v_readfirstlane_b32 s20, v2
	v_cmp_le_u64_e64 s0, s[18:19], s[0:1]
	s_sub_co_i32 s3, s18, s3
	s_add_nc_u64 s[10:11], s[8:9], s[6:7]
	s_mov_b32 s1, -1
	s_lshl_b32 s22, s20, 10
	s_cmp_eq_u32 s20, s21
	s_cselect_b32 s18, -1, 0
	s_lshl_b64 s[8:9], s[22:23], 3
	s_wait_alu 0xfffe
	s_and_b32 s0, s0, s18
	s_add_nc_u64 s[10:11], s[10:11], s[8:9]
	s_wait_alu 0xfffe
	s_xor_b32 s19, s0, -1
	s_wait_alu 0xfffe
	s_and_b32 vcc_lo, exec_lo, s19
	s_cbranch_vccz .LBB1496_6
; %bb.5:
	v_lshlrev_b32_e32 v12, 3, v0
	v_or_b32_e32 v13, 0x100, v0
	v_lshrrev_b32_e32 v14, 2, v10
	v_lshrrev_b32_e32 v15, 2, v9
	v_and_b32_e32 v16, 56, v11
	v_add_co_u32 v1, s0, s10, v12
	s_wait_alu 0xf1ff
	v_add_co_ci_u32_e64 v2, null, s11, 0, s0
	v_lshrrev_b32_e32 v13, 2, v13
	v_and_b32_e32 v14, 0xb8, v14
	v_and_b32_e32 v15, 0xf8, v15
	s_clause 0x3
	flat_load_b64 v[3:4], v[1:2]
	flat_load_b64 v[5:6], v[1:2] offset:2048
	flat_load_b64 v[7:8], v[1:2] offset:4096
	;; [unrolled: 1-line block ×3, first 2 shown]
	v_add_nc_u32_e32 v16, v16, v12
	v_and_b32_e32 v13, 0x78, v13
	v_add_nc_u32_e32 v14, v14, v12
	s_mov_b32 s1, 0
	s_delay_alu instid0(VALU_DEP_2)
	v_add_nc_u32_e32 v13, v13, v12
	v_add_nc_u32_e32 v12, v15, v12
	s_wait_loadcnt_dscnt 0x303
	ds_store_b64 v16, v[3:4]
	s_wait_loadcnt_dscnt 0x203
	ds_store_b64 v13, v[5:6] offset:2048
	s_wait_loadcnt_dscnt 0x103
	ds_store_b64 v14, v[7:8] offset:4096
	;; [unrolled: 2-line block ×3, first 2 shown]
	s_wait_dscnt 0x0
	s_barrier_signal -1
	s_barrier_wait -1
.LBB1496_6:
	v_cmp_gt_u32_e64 s0, s3, v0
	s_wait_alu 0xfffe
	s_and_not1_b32 vcc_lo, exec_lo, s1
	s_cbranch_vccnz .LBB1496_14
; %bb.7:
	v_mov_b32_e32 v1, 0
	s_delay_alu instid0(VALU_DEP_1)
	v_dual_mov_b32 v2, v1 :: v_dual_mov_b32 v3, v1
	v_dual_mov_b32 v4, v1 :: v_dual_mov_b32 v5, v1
	;; [unrolled: 1-line block ×3, first 2 shown]
	v_mov_b32_e32 v8, v1
	s_and_saveexec_b32 s1, s0
	s_cbranch_execz .LBB1496_9
; %bb.8:
	v_dual_mov_b32 v21, v1 :: v_dual_lshlrev_b32 v2, 3, v0
	v_dual_mov_b32 v22, v1 :: v_dual_mov_b32 v23, v1
	v_dual_mov_b32 v24, v1 :: v_dual_mov_b32 v25, v1
	s_delay_alu instid0(VALU_DEP_3)
	v_add_co_u32 v2, s0, s10, v2
	s_wait_alu 0xf1ff
	v_add_co_ci_u32_e64 v3, null, s11, 0, s0
	v_mov_b32_e32 v26, v1
	flat_load_b64 v[19:20], v[2:3]
	s_wait_loadcnt_dscnt 0x0
	v_dual_mov_b32 v1, v19 :: v_dual_mov_b32 v2, v20
	v_dual_mov_b32 v3, v21 :: v_dual_mov_b32 v4, v22
	;; [unrolled: 1-line block ×4, first 2 shown]
.LBB1496_9:
	s_wait_alu 0xfffe
	s_or_b32 exec_lo, exec_lo, s1
	v_or_b32_e32 v12, 0x100, v0
	s_mov_b32 s0, exec_lo
	s_delay_alu instid0(VALU_DEP_1)
	v_cmpx_gt_u32_e64 s3, v12
	s_cbranch_execnz .LBB1496_138
; %bb.10:
	s_wait_alu 0xfffe
	s_or_b32 exec_lo, exec_lo, s0
	s_delay_alu instid0(SALU_CYCLE_1)
	s_mov_b32 s0, exec_lo
	v_cmpx_gt_u32_e64 s3, v10
	s_cbranch_execnz .LBB1496_139
.LBB1496_11:
	s_wait_alu 0xfffe
	s_or_b32 exec_lo, exec_lo, s0
	s_delay_alu instid0(SALU_CYCLE_1)
	s_mov_b32 s0, exec_lo
	v_cmpx_gt_u32_e64 s3, v9
	s_cbranch_execz .LBB1496_13
.LBB1496_12:
	v_lshlrev_b32_e32 v7, 3, v0
	s_delay_alu instid0(VALU_DEP_1)
	v_add_co_u32 v7, s1, s10, v7
	s_wait_alu 0xf1ff
	v_add_co_ci_u32_e64 v8, null, s11, 0, s1
	flat_load_b64 v[7:8], v[7:8] offset:6144
.LBB1496_13:
	s_wait_alu 0xfffe
	s_or_b32 exec_lo, exec_lo, s0
	v_lshrrev_b32_e32 v12, 2, v12
	v_lshrrev_b32_e32 v13, 2, v10
	;; [unrolled: 1-line block ×3, first 2 shown]
	v_and_b32_e32 v11, 56, v11
	v_lshlrev_b32_e32 v15, 3, v0
	v_and_b32_e32 v12, 0x78, v12
	v_and_b32_e32 v13, 0xf8, v13
	;; [unrolled: 1-line block ×3, first 2 shown]
	s_delay_alu instid0(VALU_DEP_4) | instskip(NEXT) | instid1(VALU_DEP_4)
	v_add_nc_u32_e32 v11, v11, v15
	v_add_nc_u32_e32 v12, v12, v15
	s_delay_alu instid0(VALU_DEP_4) | instskip(NEXT) | instid1(VALU_DEP_4)
	v_add_nc_u32_e32 v13, v13, v15
	v_add_nc_u32_e32 v14, v14, v15
	ds_store_b64 v11, v[1:2]
	s_wait_loadcnt_dscnt 0x1
	ds_store_b64 v12, v[3:4] offset:2048
	ds_store_b64 v13, v[5:6] offset:4096
	;; [unrolled: 1-line block ×3, first 2 shown]
	s_wait_dscnt 0x0
	s_barrier_signal -1
	s_barrier_wait -1
.LBB1496_14:
	v_and_b32_e32 v1, 0xf8, v0
	s_wait_loadcnt 0x0
	global_inv scope:SCOPE_SE
	v_lshrrev_b32_e32 v28, 5, v0
	s_add_nc_u64 s[0:1], s[16:17], s[6:7]
	s_and_b32 vcc_lo, exec_lo, s19
	v_lshl_add_u32 v1, v0, 5, v1
	s_wait_alu 0xfffe
	s_add_nc_u64 s[0:1], s[0:1], s[8:9]
	s_mov_b32 s6, -1
	ds_load_2addr_b64 v[5:8], v1 offset1:1
	ds_load_2addr_b64 v[1:4], v1 offset0:2 offset1:3
	s_wait_loadcnt_dscnt 0x0
	s_barrier_signal -1
	s_barrier_wait -1
	global_inv scope:SCOPE_SE
	s_cbranch_vccz .LBB1496_16
; %bb.15:
	v_lshlrev_b32_e32 v19, 3, v0
	v_or_b32_e32 v21, 0x100, v0
	v_lshrrev_b32_e32 v22, 5, v10
	v_lshrrev_b32_e32 v23, 5, v9
	v_and_b32_e32 v24, 4, v28
	s_clause 0x3
	global_load_b64 v[11:12], v19, s[0:1]
	global_load_b64 v[13:14], v19, s[0:1] offset:2048
	global_load_b64 v[15:16], v19, s[0:1] offset:4096
	;; [unrolled: 1-line block ×3, first 2 shown]
	v_lshrrev_b32_e32 v21, 5, v21
	v_and_b32_e32 v22, 20, v22
	v_and_b32_e32 v23, 28, v23
	v_add_nc_u32_e32 v24, v24, v0
	s_mov_b32 s6, 0
	v_and_b32_e32 v21, 12, v21
	v_add_nc_u32_e32 v22, v22, v0
	v_add_nc_u32_e32 v23, v23, v0
	s_delay_alu instid0(VALU_DEP_3)
	v_add_nc_u32_e32 v21, v21, v0
	s_wait_loadcnt 0x3
	v_cmp_eq_u64_e32 vcc_lo, 0, v[11:12]
	v_cndmask_b32_e64 v11, 0, 1, vcc_lo
	s_wait_loadcnt 0x2
	v_cmp_eq_u64_e32 vcc_lo, 0, v[13:14]
	s_wait_alu 0xfffd
	v_cndmask_b32_e64 v12, 0, 1, vcc_lo
	s_wait_loadcnt 0x1
	v_cmp_eq_u64_e32 vcc_lo, 0, v[15:16]
	s_wait_alu 0xfffd
	;; [unrolled: 4-line block ×3, first 2 shown]
	v_cndmask_b32_e64 v14, 0, 1, vcc_lo
	ds_store_b8 v24, v11
	ds_store_b8 v21, v12 offset:256
	ds_store_b8 v22, v13 offset:512
	;; [unrolled: 1-line block ×3, first 2 shown]
	s_wait_dscnt 0x0
	s_barrier_signal -1
	s_barrier_wait -1
.LBB1496_16:
	v_lshlrev_b32_e32 v11, 2, v0
	v_lshrrev_b32_e32 v12, 3, v0
	s_and_not1_b32 vcc_lo, exec_lo, s6
	s_wait_alu 0xfffe
	s_cbranch_vccnz .LBB1496_24
; %bb.17:
	v_dual_mov_b32 v13, 0 :: v_dual_mov_b32 v14, 0
	s_mov_b32 s6, exec_lo
	v_cmpx_gt_u32_e64 s3, v0
	s_cbranch_execz .LBB1496_19
; %bb.18:
	v_lshlrev_b32_e32 v13, 3, v0
	global_load_b64 v[13:14], v13, s[0:1]
	s_wait_loadcnt 0x0
	v_cmp_eq_u64_e32 vcc_lo, 0, v[13:14]
	s_wait_alu 0xfffd
	v_cndmask_b32_e64 v13, 0, 1, vcc_lo
	v_cndmask_b32_e64 v14, 0, 1, vcc_lo
.LBB1496_19:
	s_or_b32 exec_lo, exec_lo, s6
	v_or_b32_e32 v15, 0x100, v0
	s_mov_b32 s6, exec_lo
	s_delay_alu instid0(VALU_DEP_1)
	v_cmpx_gt_u32_e64 s3, v15
	s_cbranch_execnz .LBB1496_140
; %bb.20:
	s_or_b32 exec_lo, exec_lo, s6
	s_delay_alu instid0(SALU_CYCLE_1)
	s_mov_b32 s6, exec_lo
	v_cmpx_gt_u32_e64 s3, v10
	s_cbranch_execnz .LBB1496_141
.LBB1496_21:
	s_or_b32 exec_lo, exec_lo, s6
	v_cmp_gt_u32_e32 vcc_lo, s3, v9
	s_and_saveexec_b32 s3, vcc_lo
	s_cbranch_execz .LBB1496_23
.LBB1496_22:
	v_lshlrev_b32_e32 v16, 3, v0
	global_load_b64 v[19:20], v16, s[0:1] offset:6144
	s_wait_loadcnt 0x0
	v_cmp_eq_u64_e32 vcc_lo, 0, v[19:20]
	v_lshrrev_b32_e32 v19, 16, v14
	s_wait_alu 0xfffd
	v_cndmask_b32_e64 v16, 0, 1, vcc_lo
	s_delay_alu instid0(VALU_DEP_1) | instskip(NEXT) | instid1(VALU_DEP_1)
	v_lshlrev_b16 v16, 8, v16
	v_or_b32_e32 v16, v19, v16
	s_delay_alu instid0(VALU_DEP_1) | instskip(NEXT) | instid1(VALU_DEP_1)
	v_lshlrev_b32_e32 v16, 16, v16
	v_and_or_b32 v14, 0xffff, v14, v16
.LBB1496_23:
	s_wait_alu 0xfffe
	s_or_b32 exec_lo, exec_lo, s3
	v_lshrrev_b32_e32 v15, 5, v15
	v_lshrrev_b32_e32 v10, 5, v10
	;; [unrolled: 1-line block ×3, first 2 shown]
	v_and_b32_e32 v16, 4, v28
	v_lshrrev_b32_e32 v19, 8, v14
	v_and_b32_e32 v15, 12, v15
	v_and_b32_e32 v10, 28, v10
	;; [unrolled: 1-line block ×3, first 2 shown]
	v_add_nc_u32_e32 v16, v16, v0
	v_lshrrev_b32_e32 v20, 24, v14
	v_add_nc_u32_e32 v15, v15, v0
	v_add_nc_u32_e32 v10, v10, v0
	;; [unrolled: 1-line block ×3, first 2 shown]
	ds_store_b8 v16, v13
	ds_store_b8 v15, v19 offset:256
	ds_store_b8_d16_hi v10, v14 offset:512
	ds_store_b8 v9, v20 offset:768
	s_wait_loadcnt_dscnt 0x0
	s_barrier_signal -1
	s_barrier_wait -1
.LBB1496_24:
	s_delay_alu instid0(VALU_DEP_1)
	v_dual_mov_b32 v10, 0 :: v_dual_and_b32 v9, 28, v12
	s_wait_loadcnt 0x0
	global_inv scope:SCOPE_SE
	v_mbcnt_lo_u32_b32 v33, -1, 0
	s_cmp_lg_u32 s20, 0
	v_add_nc_u32_e32 v9, v9, v11
	s_mov_b32 s1, -1
	s_delay_alu instid0(VALU_DEP_2)
	v_and_b32_e32 v34, 15, v33
	ds_load_b32 v29, v9
	s_wait_loadcnt_dscnt 0x0
	s_barrier_signal -1
	s_barrier_wait -1
	global_inv scope:SCOPE_SE
	v_and_b32_e32 v32, 0xff, v29
	v_bfe_u32 v31, v29, 8, 8
	v_bfe_u32 v30, v29, 16, 8
	v_lshrrev_b32_e32 v27, 24, v29
	s_delay_alu instid0(VALU_DEP_2) | instskip(NEXT) | instid1(VALU_DEP_1)
	v_add3_u32 v9, v31, v32, v30
	v_add_co_u32 v19, s0, v9, v27
	s_wait_alu 0xf1ff
	v_add_co_ci_u32_e64 v20, null, 0, 0, s0
	v_cmp_ne_u32_e64 s0, 0, v34
	s_cbranch_scc0 .LBB1496_81
; %bb.25:
	v_mov_b32_e32 v11, v19
	v_mov_b32_dpp v9, v19 row_shr:1 row_mask:0xf bank_mask:0xf
	v_mov_b32_dpp v14, v10 row_shr:1 row_mask:0xf bank_mask:0xf
	v_dual_mov_b32 v13, v19 :: v_dual_mov_b32 v12, v20
	s_and_saveexec_b32 s1, s0
; %bb.26:
	s_delay_alu instid0(VALU_DEP_3) | instskip(SKIP_2) | instid1(VALU_DEP_2)
	v_add_co_u32 v13, vcc_lo, v19, v9
	s_wait_alu 0xfffd
	v_add_co_ci_u32_e64 v10, null, 0, v20, vcc_lo
	v_add_co_u32 v9, vcc_lo, 0, v13
	s_wait_alu 0xfffd
	s_delay_alu instid0(VALU_DEP_2) | instskip(NEXT) | instid1(VALU_DEP_1)
	v_add_co_ci_u32_e64 v10, null, v14, v10, vcc_lo
	v_dual_mov_b32 v12, v10 :: v_dual_mov_b32 v11, v9
; %bb.27:
	s_wait_alu 0xfffe
	s_or_b32 exec_lo, exec_lo, s1
	v_mov_b32_dpp v9, v13 row_shr:2 row_mask:0xf bank_mask:0xf
	v_mov_b32_dpp v14, v10 row_shr:2 row_mask:0xf bank_mask:0xf
	s_mov_b32 s1, exec_lo
	v_cmpx_lt_u32_e32 1, v34
; %bb.28:
	s_delay_alu instid0(VALU_DEP_3) | instskip(SKIP_2) | instid1(VALU_DEP_2)
	v_add_co_u32 v13, vcc_lo, v11, v9
	s_wait_alu 0xfffd
	v_add_co_ci_u32_e64 v10, null, 0, v12, vcc_lo
	v_add_co_u32 v9, vcc_lo, 0, v13
	s_wait_alu 0xfffd
	s_delay_alu instid0(VALU_DEP_2) | instskip(NEXT) | instid1(VALU_DEP_1)
	v_add_co_ci_u32_e64 v10, null, v14, v10, vcc_lo
	v_dual_mov_b32 v12, v10 :: v_dual_mov_b32 v11, v9
; %bb.29:
	s_wait_alu 0xfffe
	s_or_b32 exec_lo, exec_lo, s1
	v_mov_b32_dpp v9, v13 row_shr:4 row_mask:0xf bank_mask:0xf
	v_mov_b32_dpp v14, v10 row_shr:4 row_mask:0xf bank_mask:0xf
	s_mov_b32 s1, exec_lo
	v_cmpx_lt_u32_e32 3, v34
	;; [unrolled: 17-line block ×3, first 2 shown]
; %bb.32:
	s_delay_alu instid0(VALU_DEP_3) | instskip(SKIP_2) | instid1(VALU_DEP_2)
	v_add_co_u32 v13, vcc_lo, v11, v14
	s_wait_alu 0xfffd
	v_add_co_ci_u32_e64 v10, null, 0, v12, vcc_lo
	v_add_co_u32 v11, vcc_lo, 0, v13
	s_wait_alu 0xfffd
	s_delay_alu instid0(VALU_DEP_2) | instskip(NEXT) | instid1(VALU_DEP_1)
	v_add_co_ci_u32_e64 v12, null, v9, v10, vcc_lo
	v_mov_b32_e32 v10, v12
; %bb.33:
	s_wait_alu 0xfffe
	s_or_b32 exec_lo, exec_lo, s1
	ds_swizzle_b32 v9, v13 offset:swizzle(BROADCAST,32,15)
	ds_swizzle_b32 v14, v10 offset:swizzle(BROADCAST,32,15)
	v_and_b32_e32 v15, 16, v33
	s_mov_b32 s1, exec_lo
	s_delay_alu instid0(VALU_DEP_1)
	v_cmpx_ne_u32_e32 0, v15
	s_cbranch_execz .LBB1496_35
; %bb.34:
	s_wait_dscnt 0x1
	v_add_co_u32 v13, vcc_lo, v11, v9
	s_wait_alu 0xfffd
	v_add_co_ci_u32_e64 v10, null, 0, v12, vcc_lo
	s_delay_alu instid0(VALU_DEP_2) | instskip(SKIP_2) | instid1(VALU_DEP_2)
	v_add_co_u32 v9, vcc_lo, 0, v13
	s_wait_dscnt 0x0
	s_wait_alu 0xfffd
	v_add_co_ci_u32_e64 v10, null, v14, v10, vcc_lo
	s_delay_alu instid0(VALU_DEP_1)
	v_dual_mov_b32 v12, v10 :: v_dual_mov_b32 v11, v9
.LBB1496_35:
	s_wait_alu 0xfffe
	s_or_b32 exec_lo, exec_lo, s1
	s_wait_dscnt 0x1
	v_or_b32_e32 v9, 31, v0
	s_mov_b32 s1, exec_lo
	s_delay_alu instid0(VALU_DEP_1)
	v_cmpx_eq_u32_e64 v0, v9
; %bb.36:
	v_lshlrev_b32_e32 v9, 3, v28
	ds_store_b64 v9, v[11:12]
; %bb.37:
	s_wait_alu 0xfffe
	s_or_b32 exec_lo, exec_lo, s1
	s_delay_alu instid0(SALU_CYCLE_1)
	s_mov_b32 s1, exec_lo
	s_wait_loadcnt_dscnt 0x0
	s_barrier_signal -1
	s_barrier_wait -1
	global_inv scope:SCOPE_SE
	v_cmpx_gt_u32_e32 8, v0
	s_cbranch_execz .LBB1496_45
; %bb.38:
	v_lshlrev_b32_e32 v9, 3, v0
	s_mov_b32 s3, exec_lo
	ds_load_b64 v[11:12], v9
	s_wait_dscnt 0x0
	v_dual_mov_b32 v15, v11 :: v_dual_and_b32 v14, 7, v33
	v_mov_b32_dpp v21, v11 row_shr:1 row_mask:0xf bank_mask:0xf
	v_mov_b32_dpp v16, v12 row_shr:1 row_mask:0xf bank_mask:0xf
	s_delay_alu instid0(VALU_DEP_3)
	v_cmpx_ne_u32_e32 0, v14
; %bb.39:
	s_delay_alu instid0(VALU_DEP_3) | instskip(SKIP_2) | instid1(VALU_DEP_2)
	v_add_co_u32 v15, vcc_lo, v11, v21
	s_wait_alu 0xfffd
	v_add_co_ci_u32_e64 v12, null, 0, v12, vcc_lo
	v_add_co_u32 v11, vcc_lo, 0, v15
	s_wait_alu 0xfffd
	s_delay_alu instid0(VALU_DEP_2)
	v_add_co_ci_u32_e64 v12, null, v16, v12, vcc_lo
; %bb.40:
	s_wait_alu 0xfffe
	s_or_b32 exec_lo, exec_lo, s3
	v_mov_b32_dpp v21, v15 row_shr:2 row_mask:0xf bank_mask:0xf
	s_delay_alu instid0(VALU_DEP_2)
	v_mov_b32_dpp v16, v12 row_shr:2 row_mask:0xf bank_mask:0xf
	s_mov_b32 s3, exec_lo
	v_cmpx_lt_u32_e32 1, v14
; %bb.41:
	s_delay_alu instid0(VALU_DEP_3) | instskip(SKIP_2) | instid1(VALU_DEP_2)
	v_add_co_u32 v15, vcc_lo, v11, v21
	s_wait_alu 0xfffd
	v_add_co_ci_u32_e64 v12, null, 0, v12, vcc_lo
	v_add_co_u32 v11, vcc_lo, 0, v15
	s_wait_alu 0xfffd
	s_delay_alu instid0(VALU_DEP_2)
	v_add_co_ci_u32_e64 v12, null, v16, v12, vcc_lo
; %bb.42:
	s_wait_alu 0xfffe
	s_or_b32 exec_lo, exec_lo, s3
	v_mov_b32_dpp v16, v15 row_shr:4 row_mask:0xf bank_mask:0xf
	s_delay_alu instid0(VALU_DEP_2)
	v_mov_b32_dpp v15, v12 row_shr:4 row_mask:0xf bank_mask:0xf
	s_mov_b32 s3, exec_lo
	v_cmpx_lt_u32_e32 3, v14
; %bb.43:
	s_delay_alu instid0(VALU_DEP_3) | instskip(SKIP_2) | instid1(VALU_DEP_2)
	v_add_co_u32 v11, vcc_lo, v11, v16
	s_wait_alu 0xfffd
	v_add_co_ci_u32_e64 v12, null, 0, v12, vcc_lo
	v_add_co_u32 v11, vcc_lo, v11, 0
	s_wait_alu 0xfffd
	s_delay_alu instid0(VALU_DEP_2)
	v_add_co_ci_u32_e64 v12, null, v12, v15, vcc_lo
; %bb.44:
	s_wait_alu 0xfffe
	s_or_b32 exec_lo, exec_lo, s3
	ds_store_b64 v9, v[11:12]
.LBB1496_45:
	s_wait_alu 0xfffe
	s_or_b32 exec_lo, exec_lo, s1
	s_delay_alu instid0(SALU_CYCLE_1)
	s_mov_b32 s3, exec_lo
	v_cmp_gt_u32_e32 vcc_lo, 32, v0
	s_wait_loadcnt_dscnt 0x0
	s_barrier_signal -1
	s_barrier_wait -1
	global_inv scope:SCOPE_SE
                                        ; implicit-def: $vgpr21_vgpr22
	v_cmpx_lt_u32_e32 31, v0
	s_cbranch_execz .LBB1496_47
; %bb.46:
	v_lshl_add_u32 v9, v28, 3, -8
	ds_load_b64 v[21:22], v9
	s_wait_dscnt 0x0
	v_add_co_u32 v13, s1, v13, v21
	s_wait_alu 0xf1ff
	v_add_co_ci_u32_e64 v10, null, v10, v22, s1
.LBB1496_47:
	s_wait_alu 0xfffe
	s_or_b32 exec_lo, exec_lo, s3
	v_sub_co_u32 v9, s1, v33, 1
	s_delay_alu instid0(VALU_DEP_1) | instskip(SKIP_1) | instid1(VALU_DEP_1)
	v_cmp_gt_i32_e64 s3, 0, v9
	s_wait_alu 0xf1ff
	v_cndmask_b32_e64 v9, v9, v33, s3
	s_delay_alu instid0(VALU_DEP_1)
	v_lshlrev_b32_e32 v9, 2, v9
	ds_bpermute_b32 v35, v9, v13
	ds_bpermute_b32 v36, v9, v10
	s_and_saveexec_b32 s3, vcc_lo
	s_cbranch_execz .LBB1496_86
; %bb.48:
	v_mov_b32_e32 v12, 0
	ds_load_b64 v[9:10], v12 offset:56
	s_and_saveexec_b32 s6, s1
	s_cbranch_execz .LBB1496_50
; %bb.49:
	s_add_co_i32 s8, s20, 32
	s_mov_b32 s9, 0
	s_wait_alu 0xfffe
	s_lshl_b64 s[8:9], s[8:9], 4
	s_wait_alu 0xfffe
	s_add_nc_u64 s[8:9], s[14:15], s[8:9]
	s_wait_alu 0xfffe
	v_dual_mov_b32 v11, 1 :: v_dual_mov_b32 v14, s9
	v_mov_b32_e32 v13, s8
	s_wait_dscnt 0x0
	;;#ASMSTART
	global_store_b128 v[13:14], v[9:12] off scope:SCOPE_DEV	
s_wait_storecnt 0x0
	;;#ASMEND
.LBB1496_50:
	s_or_b32 exec_lo, exec_lo, s6
	v_xad_u32 v23, v33, -1, s20
	s_mov_b32 s7, 0
	s_mov_b32 s6, exec_lo
	s_delay_alu instid0(VALU_DEP_1) | instskip(NEXT) | instid1(VALU_DEP_1)
	v_add_nc_u32_e32 v11, 32, v23
	v_lshlrev_b64_e32 v[11:12], 4, v[11:12]
	s_delay_alu instid0(VALU_DEP_1) | instskip(SKIP_1) | instid1(VALU_DEP_2)
	v_add_co_u32 v11, vcc_lo, s14, v11
	s_wait_alu 0xfffd
	v_add_co_ci_u32_e64 v12, null, s15, v12, vcc_lo
	;;#ASMSTART
	global_load_b128 v[13:16], v[11:12] off scope:SCOPE_DEV	
s_wait_loadcnt 0x0
	;;#ASMEND
	v_and_b32_e32 v16, 0xff, v15
	s_delay_alu instid0(VALU_DEP_1)
	v_cmpx_eq_u16_e32 0, v16
	s_cbranch_execz .LBB1496_53
.LBB1496_51:                            ; =>This Inner Loop Header: Depth=1
	;;#ASMSTART
	global_load_b128 v[13:16], v[11:12] off scope:SCOPE_DEV	
s_wait_loadcnt 0x0
	;;#ASMEND
	v_and_b32_e32 v16, 0xff, v15
	s_delay_alu instid0(VALU_DEP_1) | instskip(SKIP_1) | instid1(SALU_CYCLE_1)
	v_cmp_ne_u16_e32 vcc_lo, 0, v16
	s_or_b32 s7, vcc_lo, s7
	s_and_not1_b32 exec_lo, exec_lo, s7
	s_cbranch_execnz .LBB1496_51
; %bb.52:
	s_or_b32 exec_lo, exec_lo, s7
.LBB1496_53:
	s_delay_alu instid0(SALU_CYCLE_1)
	s_or_b32 exec_lo, exec_lo, s6
	v_cmp_ne_u32_e32 vcc_lo, 31, v33
	v_and_b32_e32 v12, 0xff, v15
	v_lshlrev_b32_e64 v38, v33, -1
	s_mov_b32 s6, exec_lo
	s_wait_alu 0xfffd
	v_add_co_ci_u32_e64 v11, null, 0, v33, vcc_lo
	v_cmp_eq_u16_e32 vcc_lo, 2, v12
	s_delay_alu instid0(VALU_DEP_2)
	v_dual_mov_b32 v12, v13 :: v_dual_lshlrev_b32 v37, 2, v11
	s_wait_alu 0xfffd
	v_and_or_b32 v11, vcc_lo, v38, 0x80000000
	ds_bpermute_b32 v24, v37, v13
	ds_bpermute_b32 v16, v37, v14
	v_ctz_i32_b32_e32 v11, v11
	s_delay_alu instid0(VALU_DEP_1)
	v_cmpx_lt_u32_e64 v33, v11
	s_cbranch_execz .LBB1496_55
; %bb.54:
	s_wait_dscnt 0x1
	v_add_co_u32 v12, vcc_lo, v13, v24
	s_wait_alu 0xfffd
	v_add_co_ci_u32_e64 v14, null, 0, v14, vcc_lo
	s_delay_alu instid0(VALU_DEP_2) | instskip(SKIP_2) | instid1(VALU_DEP_2)
	v_add_co_u32 v13, vcc_lo, 0, v12
	s_wait_dscnt 0x0
	s_wait_alu 0xfffd
	v_add_co_ci_u32_e64 v14, null, v16, v14, vcc_lo
.LBB1496_55:
	s_or_b32 exec_lo, exec_lo, s6
	v_cmp_gt_u32_e32 vcc_lo, 30, v33
	v_add_nc_u32_e32 v40, 2, v33
	s_mov_b32 s6, exec_lo
	s_wait_dscnt 0x0
	s_wait_alu 0xfffd
	v_cndmask_b32_e64 v16, 0, 2, vcc_lo
	s_delay_alu instid0(VALU_DEP_1)
	v_add_lshl_u32 v39, v16, v33, 2
	ds_bpermute_b32 v24, v39, v12
	ds_bpermute_b32 v16, v39, v14
	v_cmpx_le_u32_e64 v40, v11
	s_cbranch_execz .LBB1496_57
; %bb.56:
	s_wait_dscnt 0x1
	v_add_co_u32 v12, vcc_lo, v13, v24
	s_wait_alu 0xfffd
	v_add_co_ci_u32_e64 v14, null, 0, v14, vcc_lo
	s_delay_alu instid0(VALU_DEP_2) | instskip(SKIP_2) | instid1(VALU_DEP_2)
	v_add_co_u32 v13, vcc_lo, 0, v12
	s_wait_dscnt 0x0
	s_wait_alu 0xfffd
	v_add_co_ci_u32_e64 v14, null, v16, v14, vcc_lo
.LBB1496_57:
	s_or_b32 exec_lo, exec_lo, s6
	v_cmp_gt_u32_e32 vcc_lo, 28, v33
	v_add_nc_u32_e32 v42, 4, v33
	s_mov_b32 s6, exec_lo
	s_wait_dscnt 0x0
	s_wait_alu 0xfffd
	v_cndmask_b32_e64 v16, 0, 4, vcc_lo
	s_delay_alu instid0(VALU_DEP_1)
	v_add_lshl_u32 v41, v16, v33, 2
	ds_bpermute_b32 v24, v41, v12
	ds_bpermute_b32 v16, v41, v14
	v_cmpx_le_u32_e64 v42, v11
	;; [unrolled: 24-line block ×3, first 2 shown]
	s_cbranch_execz .LBB1496_61
; %bb.60:
	s_wait_dscnt 0x1
	v_add_co_u32 v12, vcc_lo, v13, v24
	s_wait_alu 0xfffd
	v_add_co_ci_u32_e64 v14, null, 0, v14, vcc_lo
	s_delay_alu instid0(VALU_DEP_2) | instskip(SKIP_2) | instid1(VALU_DEP_2)
	v_add_co_u32 v13, vcc_lo, 0, v12
	s_wait_dscnt 0x0
	s_wait_alu 0xfffd
	v_add_co_ci_u32_e64 v14, null, v16, v14, vcc_lo
.LBB1496_61:
	s_or_b32 exec_lo, exec_lo, s6
	v_lshl_or_b32 v45, v33, 2, 64
	v_add_nc_u32_e32 v46, 16, v33
	s_mov_b32 s6, exec_lo
	s_wait_dscnt 0x0
	ds_bpermute_b32 v16, v45, v12
	ds_bpermute_b32 v12, v45, v14
	v_cmpx_le_u32_e64 v46, v11
	s_cbranch_execz .LBB1496_63
; %bb.62:
	s_wait_dscnt 0x1
	v_add_co_u32 v11, vcc_lo, v13, v16
	s_wait_alu 0xfffd
	v_add_co_ci_u32_e64 v14, null, 0, v14, vcc_lo
	s_delay_alu instid0(VALU_DEP_2) | instskip(SKIP_2) | instid1(VALU_DEP_2)
	v_add_co_u32 v13, vcc_lo, v11, 0
	s_wait_dscnt 0x0
	s_wait_alu 0xfffd
	v_add_co_ci_u32_e64 v14, null, v14, v12, vcc_lo
.LBB1496_63:
	s_or_b32 exec_lo, exec_lo, s6
	v_mov_b32_e32 v24, 0
	s_branch .LBB1496_66
.LBB1496_64:                            ;   in Loop: Header=BB1496_66 Depth=1
	s_or_b32 exec_lo, exec_lo, s6
	v_add_co_u32 v13, vcc_lo, v13, v11
	v_subrev_nc_u32_e32 v23, 32, v23
	s_wait_alu 0xfffd
	v_add_co_ci_u32_e64 v14, null, v14, v12, vcc_lo
	s_mov_b32 s6, 0
.LBB1496_65:                            ;   in Loop: Header=BB1496_66 Depth=1
	s_delay_alu instid0(SALU_CYCLE_1)
	s_and_b32 vcc_lo, exec_lo, s6
	s_wait_alu 0xfffe
	s_cbranch_vccnz .LBB1496_82
.LBB1496_66:                            ; =>This Loop Header: Depth=1
                                        ;     Child Loop BB1496_69 Depth 2
	v_and_b32_e32 v11, 0xff, v15
	s_mov_b32 s6, -1
	s_delay_alu instid0(VALU_DEP_1)
	v_cmp_ne_u16_e32 vcc_lo, 2, v11
	s_wait_dscnt 0x0
	v_dual_mov_b32 v11, v13 :: v_dual_mov_b32 v12, v14
                                        ; implicit-def: $vgpr13_vgpr14
	s_cmp_lg_u32 vcc_lo, exec_lo
	s_cbranch_scc1 .LBB1496_65
; %bb.67:                               ;   in Loop: Header=BB1496_66 Depth=1
	v_lshlrev_b64_e32 v[13:14], 4, v[23:24]
	s_mov_b32 s6, exec_lo
	s_delay_alu instid0(VALU_DEP_1) | instskip(SKIP_1) | instid1(VALU_DEP_2)
	v_add_co_u32 v25, vcc_lo, s14, v13
	s_wait_alu 0xfffd
	v_add_co_ci_u32_e64 v26, null, s15, v14, vcc_lo
	;;#ASMSTART
	global_load_b128 v[13:16], v[25:26] off scope:SCOPE_DEV	
s_wait_loadcnt 0x0
	;;#ASMEND
	v_and_b32_e32 v16, 0xff, v15
	s_delay_alu instid0(VALU_DEP_1)
	v_cmpx_eq_u16_e32 0, v16
	s_cbranch_execz .LBB1496_71
; %bb.68:                               ;   in Loop: Header=BB1496_66 Depth=1
	s_mov_b32 s7, 0
.LBB1496_69:                            ;   Parent Loop BB1496_66 Depth=1
                                        ; =>  This Inner Loop Header: Depth=2
	;;#ASMSTART
	global_load_b128 v[13:16], v[25:26] off scope:SCOPE_DEV	
s_wait_loadcnt 0x0
	;;#ASMEND
	v_and_b32_e32 v16, 0xff, v15
	s_delay_alu instid0(VALU_DEP_1) | instskip(SKIP_1) | instid1(SALU_CYCLE_1)
	v_cmp_ne_u16_e32 vcc_lo, 0, v16
	s_or_b32 s7, vcc_lo, s7
	s_and_not1_b32 exec_lo, exec_lo, s7
	s_cbranch_execnz .LBB1496_69
; %bb.70:                               ;   in Loop: Header=BB1496_66 Depth=1
	s_or_b32 exec_lo, exec_lo, s7
.LBB1496_71:                            ;   in Loop: Header=BB1496_66 Depth=1
	s_delay_alu instid0(SALU_CYCLE_1)
	s_or_b32 exec_lo, exec_lo, s6
	v_dual_mov_b32 v25, v13 :: v_dual_and_b32 v16, 0xff, v15
	ds_bpermute_b32 v47, v37, v13
	ds_bpermute_b32 v26, v37, v14
	s_mov_b32 s6, exec_lo
	v_cmp_eq_u16_e32 vcc_lo, 2, v16
	s_wait_alu 0xfffd
	v_and_or_b32 v16, vcc_lo, v38, 0x80000000
	s_delay_alu instid0(VALU_DEP_1) | instskip(NEXT) | instid1(VALU_DEP_1)
	v_ctz_i32_b32_e32 v16, v16
	v_cmpx_lt_u32_e64 v33, v16
	s_cbranch_execz .LBB1496_73
; %bb.72:                               ;   in Loop: Header=BB1496_66 Depth=1
	s_wait_dscnt 0x1
	v_add_co_u32 v25, vcc_lo, v13, v47
	s_wait_alu 0xfffd
	v_add_co_ci_u32_e64 v14, null, 0, v14, vcc_lo
	s_delay_alu instid0(VALU_DEP_2) | instskip(SKIP_2) | instid1(VALU_DEP_2)
	v_add_co_u32 v13, vcc_lo, 0, v25
	s_wait_dscnt 0x0
	s_wait_alu 0xfffd
	v_add_co_ci_u32_e64 v14, null, v26, v14, vcc_lo
.LBB1496_73:                            ;   in Loop: Header=BB1496_66 Depth=1
	s_or_b32 exec_lo, exec_lo, s6
	s_wait_dscnt 0x1
	ds_bpermute_b32 v47, v39, v25
	s_wait_dscnt 0x1
	ds_bpermute_b32 v26, v39, v14
	s_mov_b32 s6, exec_lo
	v_cmpx_le_u32_e64 v40, v16
	s_cbranch_execz .LBB1496_75
; %bb.74:                               ;   in Loop: Header=BB1496_66 Depth=1
	s_wait_dscnt 0x1
	v_add_co_u32 v25, vcc_lo, v13, v47
	s_wait_alu 0xfffd
	v_add_co_ci_u32_e64 v14, null, 0, v14, vcc_lo
	s_delay_alu instid0(VALU_DEP_2) | instskip(SKIP_2) | instid1(VALU_DEP_2)
	v_add_co_u32 v13, vcc_lo, 0, v25
	s_wait_dscnt 0x0
	s_wait_alu 0xfffd
	v_add_co_ci_u32_e64 v14, null, v26, v14, vcc_lo
.LBB1496_75:                            ;   in Loop: Header=BB1496_66 Depth=1
	s_or_b32 exec_lo, exec_lo, s6
	s_wait_dscnt 0x1
	ds_bpermute_b32 v47, v41, v25
	s_wait_dscnt 0x1
	ds_bpermute_b32 v26, v41, v14
	s_mov_b32 s6, exec_lo
	v_cmpx_le_u32_e64 v42, v16
	;; [unrolled: 19-line block ×3, first 2 shown]
	s_cbranch_execz .LBB1496_79
; %bb.78:                               ;   in Loop: Header=BB1496_66 Depth=1
	s_wait_dscnt 0x1
	v_add_co_u32 v25, vcc_lo, v13, v47
	s_wait_alu 0xfffd
	v_add_co_ci_u32_e64 v14, null, 0, v14, vcc_lo
	s_delay_alu instid0(VALU_DEP_2) | instskip(SKIP_2) | instid1(VALU_DEP_2)
	v_add_co_u32 v13, vcc_lo, 0, v25
	s_wait_dscnt 0x0
	s_wait_alu 0xfffd
	v_add_co_ci_u32_e64 v14, null, v26, v14, vcc_lo
.LBB1496_79:                            ;   in Loop: Header=BB1496_66 Depth=1
	s_or_b32 exec_lo, exec_lo, s6
	s_wait_dscnt 0x0
	ds_bpermute_b32 v26, v45, v25
	ds_bpermute_b32 v25, v45, v14
	s_mov_b32 s6, exec_lo
	v_cmpx_le_u32_e64 v46, v16
	s_cbranch_execz .LBB1496_64
; %bb.80:                               ;   in Loop: Header=BB1496_66 Depth=1
	s_wait_dscnt 0x1
	v_add_co_u32 v13, vcc_lo, v13, v26
	s_wait_alu 0xfffd
	v_add_co_ci_u32_e64 v14, null, 0, v14, vcc_lo
	s_delay_alu instid0(VALU_DEP_2) | instskip(SKIP_2) | instid1(VALU_DEP_2)
	v_add_co_u32 v13, vcc_lo, v13, 0
	s_wait_dscnt 0x0
	s_wait_alu 0xfffd
	v_add_co_ci_u32_e64 v14, null, v14, v25, vcc_lo
	s_branch .LBB1496_64
.LBB1496_81:
                                        ; implicit-def: $vgpr15_vgpr16
                                        ; implicit-def: $vgpr13_vgpr14
                                        ; implicit-def: $vgpr21_vgpr22
                                        ; implicit-def: $vgpr23_vgpr24
                                        ; implicit-def: $vgpr11_vgpr12
	s_wait_alu 0xfffe
	s_and_b32 vcc_lo, exec_lo, s1
	s_wait_alu 0xfffe
	s_cbranch_vccnz .LBB1496_87
	s_branch .LBB1496_112
.LBB1496_82:
	s_and_saveexec_b32 s6, s1
	s_cbranch_execz .LBB1496_84
; %bb.83:
	s_add_co_i32 s8, s20, 32
	s_mov_b32 s9, 0
	v_add_co_u32 v13, vcc_lo, v11, v9
	s_wait_alu 0xfffe
	s_lshl_b64 s[8:9], s[8:9], 4
	v_dual_mov_b32 v15, 2 :: v_dual_mov_b32 v16, 0
	s_wait_alu 0xfffe
	s_add_nc_u64 s[8:9], s[14:15], s[8:9]
	s_wait_alu 0xfffd
	v_add_co_ci_u32_e64 v14, null, v12, v10, vcc_lo
	s_wait_alu 0xfffe
	v_dual_mov_b32 v24, s9 :: v_dual_mov_b32 v23, s8
	;;#ASMSTART
	global_store_b128 v[23:24], v[13:16] off scope:SCOPE_DEV	
s_wait_storecnt 0x0
	;;#ASMEND
	ds_store_b128 v16, v[9:12] offset:8448
.LBB1496_84:
	s_or_b32 exec_lo, exec_lo, s6
	s_delay_alu instid0(SALU_CYCLE_1)
	s_and_b32 exec_lo, exec_lo, s2
; %bb.85:
	v_mov_b32_e32 v9, 0
	ds_store_b64 v9, v[11:12] offset:56
.LBB1496_86:
	s_wait_alu 0xfffe
	s_or_b32 exec_lo, exec_lo, s3
	v_mov_b32_e32 v9, 0
	s_wait_loadcnt_dscnt 0x0
	s_barrier_signal -1
	s_barrier_wait -1
	global_inv scope:SCOPE_SE
	ds_load_b64 v[13:14], v9 offset:56
	v_cndmask_b32_e64 v11, v35, v21, s1
	v_cndmask_b32_e64 v10, v36, v22, s1
	s_wait_loadcnt_dscnt 0x0
	s_barrier_signal -1
	s_barrier_wait -1
	v_cndmask_b32_e64 v16, v11, 0, s2
	v_cndmask_b32_e64 v15, v10, 0, s2
	global_inv scope:SCOPE_SE
	ds_load_b128 v[9:12], v9 offset:8448
	v_add_co_u32 v23, vcc_lo, v13, v16
	s_wait_alu 0xfffd
	v_add_co_ci_u32_e64 v24, null, v14, v15, vcc_lo
	s_delay_alu instid0(VALU_DEP_2) | instskip(SKIP_1) | instid1(VALU_DEP_2)
	v_add_co_u32 v21, vcc_lo, v23, v32
	s_wait_alu 0xfffd
	v_add_co_ci_u32_e64 v22, null, 0, v24, vcc_lo
	s_delay_alu instid0(VALU_DEP_2) | instskip(SKIP_1) | instid1(VALU_DEP_2)
	;; [unrolled: 4-line block ×3, first 2 shown]
	v_add_co_u32 v15, vcc_lo, v13, v30
	s_wait_alu 0xfffd
	v_add_co_ci_u32_e64 v16, null, 0, v14, vcc_lo
	s_branch .LBB1496_112
.LBB1496_87:
	s_wait_dscnt 0x0
	v_dual_mov_b32 v10, 0 :: v_dual_mov_b32 v11, v19
	v_mov_b32_dpp v12, v19 row_shr:1 row_mask:0xf bank_mask:0xf
	s_delay_alu instid0(VALU_DEP_2)
	v_mov_b32_dpp v9, v10 row_shr:1 row_mask:0xf bank_mask:0xf
	s_and_saveexec_b32 s1, s0
; %bb.88:
	s_delay_alu instid0(VALU_DEP_2) | instskip(SKIP_2) | instid1(VALU_DEP_2)
	v_add_co_u32 v11, vcc_lo, v19, v12
	s_wait_alu 0xfffd
	v_add_co_ci_u32_e64 v10, null, 0, v20, vcc_lo
	v_add_co_u32 v19, vcc_lo, 0, v11
	s_wait_alu 0xfffd
	s_delay_alu instid0(VALU_DEP_2) | instskip(NEXT) | instid1(VALU_DEP_1)
	v_add_co_ci_u32_e64 v20, null, v9, v10, vcc_lo
	v_mov_b32_e32 v10, v20
; %bb.89:
	s_wait_alu 0xfffe
	s_or_b32 exec_lo, exec_lo, s1
	v_mov_b32_dpp v9, v11 row_shr:2 row_mask:0xf bank_mask:0xf
	s_delay_alu instid0(VALU_DEP_2)
	v_mov_b32_dpp v12, v10 row_shr:2 row_mask:0xf bank_mask:0xf
	s_mov_b32 s0, exec_lo
	v_cmpx_lt_u32_e32 1, v34
; %bb.90:
	s_delay_alu instid0(VALU_DEP_3) | instskip(SKIP_2) | instid1(VALU_DEP_2)
	v_add_co_u32 v11, vcc_lo, v19, v9
	s_wait_alu 0xfffd
	v_add_co_ci_u32_e64 v10, null, 0, v20, vcc_lo
	v_add_co_u32 v9, vcc_lo, 0, v11
	s_wait_alu 0xfffd
	s_delay_alu instid0(VALU_DEP_2) | instskip(NEXT) | instid1(VALU_DEP_1)
	v_add_co_ci_u32_e64 v10, null, v12, v10, vcc_lo
	v_dual_mov_b32 v20, v10 :: v_dual_mov_b32 v19, v9
; %bb.91:
	s_wait_alu 0xfffe
	s_or_b32 exec_lo, exec_lo, s0
	v_mov_b32_dpp v9, v11 row_shr:4 row_mask:0xf bank_mask:0xf
	v_mov_b32_dpp v12, v10 row_shr:4 row_mask:0xf bank_mask:0xf
	s_mov_b32 s0, exec_lo
	v_cmpx_lt_u32_e32 3, v34
; %bb.92:
	s_delay_alu instid0(VALU_DEP_3) | instskip(SKIP_2) | instid1(VALU_DEP_2)
	v_add_co_u32 v11, vcc_lo, v19, v9
	s_wait_alu 0xfffd
	v_add_co_ci_u32_e64 v10, null, 0, v20, vcc_lo
	v_add_co_u32 v9, vcc_lo, 0, v11
	s_wait_alu 0xfffd
	s_delay_alu instid0(VALU_DEP_2) | instskip(NEXT) | instid1(VALU_DEP_1)
	v_add_co_ci_u32_e64 v10, null, v12, v10, vcc_lo
	v_dual_mov_b32 v20, v10 :: v_dual_mov_b32 v19, v9
; %bb.93:
	s_wait_alu 0xfffe
	s_or_b32 exec_lo, exec_lo, s0
	v_mov_b32_dpp v12, v11 row_shr:8 row_mask:0xf bank_mask:0xf
	v_mov_b32_dpp v9, v10 row_shr:8 row_mask:0xf bank_mask:0xf
	s_mov_b32 s0, exec_lo
	v_cmpx_lt_u32_e32 7, v34
; %bb.94:
	s_delay_alu instid0(VALU_DEP_3) | instskip(SKIP_2) | instid1(VALU_DEP_2)
	v_add_co_u32 v11, vcc_lo, v19, v12
	s_wait_alu 0xfffd
	v_add_co_ci_u32_e64 v10, null, 0, v20, vcc_lo
	v_add_co_u32 v19, vcc_lo, 0, v11
	s_wait_alu 0xfffd
	s_delay_alu instid0(VALU_DEP_2) | instskip(NEXT) | instid1(VALU_DEP_1)
	v_add_co_ci_u32_e64 v20, null, v9, v10, vcc_lo
	v_mov_b32_e32 v10, v20
; %bb.95:
	s_wait_alu 0xfffe
	s_or_b32 exec_lo, exec_lo, s0
	ds_swizzle_b32 v11, v11 offset:swizzle(BROADCAST,32,15)
	ds_swizzle_b32 v9, v10 offset:swizzle(BROADCAST,32,15)
	v_and_b32_e32 v10, 16, v33
	s_mov_b32 s0, exec_lo
	s_delay_alu instid0(VALU_DEP_1)
	v_cmpx_ne_u32_e32 0, v10
	s_cbranch_execz .LBB1496_97
; %bb.96:
	s_wait_dscnt 0x1
	v_add_co_u32 v10, vcc_lo, v19, v11
	s_wait_alu 0xfffd
	v_add_co_ci_u32_e64 v11, null, 0, v20, vcc_lo
	s_delay_alu instid0(VALU_DEP_2) | instskip(SKIP_2) | instid1(VALU_DEP_2)
	v_add_co_u32 v19, vcc_lo, v10, 0
	s_wait_dscnt 0x0
	s_wait_alu 0xfffd
	v_add_co_ci_u32_e64 v20, null, v11, v9, vcc_lo
.LBB1496_97:
	s_wait_alu 0xfffe
	s_or_b32 exec_lo, exec_lo, s0
	s_wait_dscnt 0x0
	v_or_b32_e32 v9, 31, v0
	s_mov_b32 s0, exec_lo
	s_delay_alu instid0(VALU_DEP_1)
	v_cmpx_eq_u32_e64 v0, v9
; %bb.98:
	v_lshlrev_b32_e32 v9, 3, v28
	ds_store_b64 v9, v[19:20]
; %bb.99:
	s_wait_alu 0xfffe
	s_or_b32 exec_lo, exec_lo, s0
	s_delay_alu instid0(SALU_CYCLE_1)
	s_mov_b32 s0, exec_lo
	s_wait_loadcnt_dscnt 0x0
	s_barrier_signal -1
	s_barrier_wait -1
	global_inv scope:SCOPE_SE
	v_cmpx_gt_u32_e32 8, v0
	s_cbranch_execz .LBB1496_107
; %bb.100:
	v_lshlrev_b32_e32 v11, 3, v0
	s_mov_b32 s1, exec_lo
	ds_load_b64 v[9:10], v11
	s_wait_dscnt 0x0
	v_dual_mov_b32 v13, v9 :: v_dual_and_b32 v12, 7, v33
	v_mov_b32_dpp v15, v9 row_shr:1 row_mask:0xf bank_mask:0xf
	v_mov_b32_dpp v14, v10 row_shr:1 row_mask:0xf bank_mask:0xf
	s_delay_alu instid0(VALU_DEP_3)
	v_cmpx_ne_u32_e32 0, v12
; %bb.101:
	s_delay_alu instid0(VALU_DEP_3) | instskip(SKIP_2) | instid1(VALU_DEP_2)
	v_add_co_u32 v13, vcc_lo, v9, v15
	s_wait_alu 0xfffd
	v_add_co_ci_u32_e64 v10, null, 0, v10, vcc_lo
	v_add_co_u32 v9, vcc_lo, 0, v13
	s_wait_alu 0xfffd
	s_delay_alu instid0(VALU_DEP_2)
	v_add_co_ci_u32_e64 v10, null, v14, v10, vcc_lo
; %bb.102:
	s_wait_alu 0xfffe
	s_or_b32 exec_lo, exec_lo, s1
	v_mov_b32_dpp v15, v13 row_shr:2 row_mask:0xf bank_mask:0xf
	s_delay_alu instid0(VALU_DEP_2)
	v_mov_b32_dpp v14, v10 row_shr:2 row_mask:0xf bank_mask:0xf
	s_mov_b32 s1, exec_lo
	v_cmpx_lt_u32_e32 1, v12
; %bb.103:
	s_delay_alu instid0(VALU_DEP_3) | instskip(SKIP_2) | instid1(VALU_DEP_2)
	v_add_co_u32 v13, vcc_lo, v9, v15
	s_wait_alu 0xfffd
	v_add_co_ci_u32_e64 v10, null, 0, v10, vcc_lo
	v_add_co_u32 v9, vcc_lo, 0, v13
	s_wait_alu 0xfffd
	s_delay_alu instid0(VALU_DEP_2)
	v_add_co_ci_u32_e64 v10, null, v14, v10, vcc_lo
; %bb.104:
	s_wait_alu 0xfffe
	s_or_b32 exec_lo, exec_lo, s1
	v_mov_b32_dpp v14, v13 row_shr:4 row_mask:0xf bank_mask:0xf
	s_delay_alu instid0(VALU_DEP_2)
	v_mov_b32_dpp v13, v10 row_shr:4 row_mask:0xf bank_mask:0xf
	s_mov_b32 s1, exec_lo
	v_cmpx_lt_u32_e32 3, v12
; %bb.105:
	s_delay_alu instid0(VALU_DEP_3) | instskip(SKIP_2) | instid1(VALU_DEP_2)
	v_add_co_u32 v9, vcc_lo, v9, v14
	s_wait_alu 0xfffd
	v_add_co_ci_u32_e64 v10, null, 0, v10, vcc_lo
	v_add_co_u32 v9, vcc_lo, v9, 0
	s_wait_alu 0xfffd
	s_delay_alu instid0(VALU_DEP_2)
	v_add_co_ci_u32_e64 v10, null, v10, v13, vcc_lo
; %bb.106:
	s_wait_alu 0xfffe
	s_or_b32 exec_lo, exec_lo, s1
	ds_store_b64 v11, v[9:10]
.LBB1496_107:
	s_wait_alu 0xfffe
	s_or_b32 exec_lo, exec_lo, s0
	v_mov_b32_e32 v13, 0
	v_mov_b32_e32 v14, 0
	s_mov_b32 s0, exec_lo
	s_wait_loadcnt_dscnt 0x0
	s_barrier_signal -1
	s_barrier_wait -1
	global_inv scope:SCOPE_SE
	v_cmpx_lt_u32_e32 31, v0
; %bb.108:
	v_lshl_add_u32 v9, v28, 3, -8
	ds_load_b64 v[13:14], v9
; %bb.109:
	s_wait_alu 0xfffe
	s_or_b32 exec_lo, exec_lo, s0
	v_sub_co_u32 v9, vcc_lo, v33, 1
	v_mov_b32_e32 v12, 0
	s_delay_alu instid0(VALU_DEP_2) | instskip(SKIP_1) | instid1(VALU_DEP_1)
	v_cmp_gt_i32_e64 s0, 0, v9
	s_wait_alu 0xf1ff
	v_cndmask_b32_e64 v9, v9, v33, s0
	s_wait_dscnt 0x0
	v_add_co_u32 v10, s0, v13, v19
	s_wait_alu 0xf1ff
	v_add_co_ci_u32_e64 v11, null, v14, v20, s0
	v_lshlrev_b32_e32 v9, 2, v9
	ds_bpermute_b32 v15, v9, v10
	ds_bpermute_b32 v16, v9, v11
	ds_load_b64 v[9:10], v12 offset:56
	s_and_saveexec_b32 s0, s2
	s_cbranch_execz .LBB1496_111
; %bb.110:
	s_add_nc_u64 s[6:7], s[14:15], 0x200
	s_delay_alu instid0(SALU_CYCLE_1)
	v_dual_mov_b32 v11, 2 :: v_dual_mov_b32 v20, s7
	v_mov_b32_e32 v19, s6
	s_wait_dscnt 0x0
	;;#ASMSTART
	global_store_b128 v[19:20], v[9:12] off scope:SCOPE_DEV	
s_wait_storecnt 0x0
	;;#ASMEND
.LBB1496_111:
	s_wait_alu 0xfffe
	s_or_b32 exec_lo, exec_lo, s0
	s_wait_dscnt 0x1
	s_wait_alu 0xfffd
	v_dual_cndmask_b32 v11, v15, v13 :: v_dual_cndmask_b32 v12, v16, v14
	s_wait_loadcnt_dscnt 0x0
	s_barrier_signal -1
	s_barrier_wait -1
	s_delay_alu instid0(VALU_DEP_1)
	v_cndmask_b32_e64 v23, v11, 0, s2
	v_cndmask_b32_e64 v24, v12, 0, s2
	v_mov_b32_e32 v11, 0
	v_mov_b32_e32 v12, 0
	global_inv scope:SCOPE_SE
	v_add_co_u32 v21, vcc_lo, v23, v32
	s_wait_alu 0xfffd
	v_add_co_ci_u32_e64 v22, null, 0, v24, vcc_lo
	s_delay_alu instid0(VALU_DEP_2) | instskip(SKIP_1) | instid1(VALU_DEP_2)
	v_add_co_u32 v13, vcc_lo, v21, v31
	s_wait_alu 0xfffd
	v_add_co_ci_u32_e64 v14, null, 0, v22, vcc_lo
	s_delay_alu instid0(VALU_DEP_2) | instskip(SKIP_1) | instid1(VALU_DEP_2)
	v_add_co_u32 v15, vcc_lo, v13, v30
	s_wait_alu 0xfffd
	v_add_co_ci_u32_e64 v16, null, 0, v14, vcc_lo
.LBB1496_112:
	v_and_b32_e32 v28, 1, v29
	s_wait_dscnt 0x0
	v_cmp_gt_u64_e32 vcc_lo, 0x101, v[9:10]
	v_lshrrev_b32_e32 v25, 16, v29
	v_lshrrev_b32_e32 v26, 8, v29
	s_mov_b32 s1, -1
	v_cmp_eq_u32_e64 s0, 1, v28
	s_cbranch_vccnz .LBB1496_116
; %bb.113:
	s_wait_alu 0xfffe
	s_and_b32 vcc_lo, exec_lo, s1
	s_wait_alu 0xfffe
	s_cbranch_vccnz .LBB1496_125
.LBB1496_114:
	s_and_b32 s0, s2, s18
	s_wait_alu 0xfffe
	s_and_saveexec_b32 s1, s0
	s_cbranch_execnz .LBB1496_137
.LBB1496_115:
	s_endpgm
.LBB1496_116:
	v_add_co_u32 v19, vcc_lo, v11, v9
	s_wait_alu 0xfffd
	v_add_co_ci_u32_e64 v20, null, v12, v10, vcc_lo
	v_lshlrev_b64_e32 v[29:30], 3, v[17:18]
	s_delay_alu instid0(VALU_DEP_2) | instskip(NEXT) | instid1(VALU_DEP_2)
	v_cmp_lt_u64_e32 vcc_lo, v[23:24], v[19:20]
	v_add_co_u32 v29, s1, s12, v29
	s_wait_alu 0xf1fe
	s_delay_alu instid0(VALU_DEP_3)
	v_add_co_ci_u32_e64 v30, null, s13, v30, s1
	s_or_b32 s1, s19, vcc_lo
	s_wait_alu 0xfffe
	s_and_b32 s1, s1, s0
	s_wait_alu 0xfffe
	s_and_saveexec_b32 s0, s1
	s_cbranch_execz .LBB1496_118
; %bb.117:
	v_lshlrev_b64_e32 v[31:32], 3, v[23:24]
	s_delay_alu instid0(VALU_DEP_1) | instskip(SKIP_1) | instid1(VALU_DEP_2)
	v_add_co_u32 v31, vcc_lo, v29, v31
	s_wait_alu 0xfffd
	v_add_co_ci_u32_e64 v32, null, v30, v32, vcc_lo
	global_store_b64 v[31:32], v[5:6], off
.LBB1496_118:
	s_wait_alu 0xfffe
	s_or_b32 exec_lo, exec_lo, s0
	v_and_b32_e32 v24, 1, v26
	v_cmp_lt_u64_e32 vcc_lo, v[21:22], v[19:20]
	s_delay_alu instid0(VALU_DEP_2)
	v_cmp_eq_u32_e64 s0, 1, v24
	s_or_b32 s1, s19, vcc_lo
	s_wait_alu 0xfffe
	s_and_b32 s1, s1, s0
	s_wait_alu 0xfffe
	s_and_saveexec_b32 s0, s1
	s_cbranch_execz .LBB1496_120
; %bb.119:
	v_lshlrev_b64_e32 v[31:32], 3, v[21:22]
	s_delay_alu instid0(VALU_DEP_1) | instskip(SKIP_1) | instid1(VALU_DEP_2)
	v_add_co_u32 v31, vcc_lo, v29, v31
	s_wait_alu 0xfffd
	v_add_co_ci_u32_e64 v32, null, v30, v32, vcc_lo
	global_store_b64 v[31:32], v[7:8], off
.LBB1496_120:
	s_wait_alu 0xfffe
	s_or_b32 exec_lo, exec_lo, s0
	v_and_b32_e32 v22, 1, v25
	v_cmp_lt_u64_e32 vcc_lo, v[13:14], v[19:20]
	s_delay_alu instid0(VALU_DEP_2)
	v_cmp_eq_u32_e64 s0, 1, v22
	;; [unrolled: 20-line block ×3, first 2 shown]
	s_or_b32 s1, s19, vcc_lo
	s_wait_alu 0xfffe
	s_and_b32 s1, s1, s0
	s_wait_alu 0xfffe
	s_and_saveexec_b32 s0, s1
	s_cbranch_execz .LBB1496_124
; %bb.123:
	v_lshlrev_b64_e32 v[19:20], 3, v[15:16]
	s_delay_alu instid0(VALU_DEP_1) | instskip(SKIP_1) | instid1(VALU_DEP_2)
	v_add_co_u32 v19, vcc_lo, v29, v19
	s_wait_alu 0xfffd
	v_add_co_ci_u32_e64 v20, null, v30, v20, vcc_lo
	global_store_b64 v[19:20], v[3:4], off
.LBB1496_124:
	s_wait_alu 0xfffe
	s_or_b32 exec_lo, exec_lo, s0
	s_branch .LBB1496_114
.LBB1496_125:
	s_mov_b32 s0, exec_lo
	v_cmpx_eq_u32_e32 1, v28
; %bb.126:
	v_sub_nc_u32_e32 v14, v23, v11
	s_delay_alu instid0(VALU_DEP_1)
	v_lshlrev_b32_e32 v14, 3, v14
	ds_store_b64 v14, v[5:6]
; %bb.127:
	s_wait_alu 0xfffe
	s_or_b32 exec_lo, exec_lo, s0
	v_and_b32_e32 v5, 1, v26
	s_mov_b32 s0, exec_lo
	s_delay_alu instid0(VALU_DEP_1)
	v_cmpx_eq_u32_e32 1, v5
; %bb.128:
	v_sub_nc_u32_e32 v5, v21, v11
	s_delay_alu instid0(VALU_DEP_1)
	v_lshlrev_b32_e32 v5, 3, v5
	ds_store_b64 v5, v[7:8]
; %bb.129:
	s_wait_alu 0xfffe
	s_or_b32 exec_lo, exec_lo, s0
	v_and_b32_e32 v5, 1, v25
	s_mov_b32 s0, exec_lo
	s_delay_alu instid0(VALU_DEP_1)
	;; [unrolled: 12-line block ×3, first 2 shown]
	v_cmpx_eq_u32_e32 1, v1
; %bb.132:
	v_sub_nc_u32_e32 v1, v15, v11
	s_delay_alu instid0(VALU_DEP_1)
	v_lshlrev_b32_e32 v1, 3, v1
	ds_store_b64 v1, v[3:4]
; %bb.133:
	s_wait_alu 0xfffe
	s_or_b32 exec_lo, exec_lo, s0
	v_mov_b32_e32 v1, 0
	s_mov_b32 s1, exec_lo
	s_wait_storecnt 0x0
	s_wait_loadcnt_dscnt 0x0
	s_barrier_signal -1
	s_barrier_wait -1
	global_inv scope:SCOPE_SE
	v_cmpx_gt_u64_e64 v[9:10], v[0:1]
	s_cbranch_execz .LBB1496_136
; %bb.134:
	v_lshlrev_b64_e32 v[2:3], 3, v[17:18]
	v_lshlrev_b64_e32 v[4:5], 3, v[11:12]
	s_mov_b32 s3, 0
	s_delay_alu instid0(VALU_DEP_2) | instskip(SKIP_1) | instid1(VALU_DEP_3)
	v_add_co_u32 v6, vcc_lo, s12, v2
	s_wait_alu 0xfffd
	v_add_co_ci_u32_e64 v7, null, s13, v3, vcc_lo
	v_dual_mov_b32 v3, v1 :: v_dual_mov_b32 v2, v0
	s_delay_alu instid0(VALU_DEP_3) | instskip(SKIP_1) | instid1(VALU_DEP_3)
	v_add_co_u32 v4, vcc_lo, v6, v4
	s_wait_alu 0xfffd
	v_add_co_ci_u32_e64 v5, null, v7, v5, vcc_lo
	v_or_b32_e32 v0, 0x100, v0
.LBB1496_135:                           ; =>This Inner Loop Header: Depth=1
	v_lshlrev_b32_e32 v6, 3, v2
	v_lshlrev_b64_e32 v[13:14], 3, v[2:3]
	v_mov_b32_e32 v3, v1
	s_delay_alu instid0(VALU_DEP_4)
	v_cmp_le_u64_e32 vcc_lo, v[9:10], v[0:1]
	v_mov_b32_e32 v2, v0
	ds_load_b64 v[6:7], v6
	v_add_nc_u32_e32 v0, 0x100, v0
	v_add_co_u32 v13, s0, v4, v13
	s_wait_alu 0xf1ff
	v_add_co_ci_u32_e64 v14, null, v5, v14, s0
	s_wait_alu 0xfffe
	s_or_b32 s3, vcc_lo, s3
	s_wait_dscnt 0x0
	global_store_b64 v[13:14], v[6:7], off
	s_wait_alu 0xfffe
	s_and_not1_b32 exec_lo, exec_lo, s3
	s_cbranch_execnz .LBB1496_135
.LBB1496_136:
	s_wait_alu 0xfffe
	s_or_b32 exec_lo, exec_lo, s1
	s_and_b32 s0, s2, s18
	s_wait_alu 0xfffe
	s_and_saveexec_b32 s1, s0
	s_cbranch_execz .LBB1496_115
.LBB1496_137:
	v_add_co_u32 v0, vcc_lo, v11, v9
	s_wait_alu 0xfffd
	v_add_co_ci_u32_e64 v1, null, v12, v10, vcc_lo
	v_mov_b32_e32 v2, 0
	s_delay_alu instid0(VALU_DEP_3) | instskip(SKIP_1) | instid1(VALU_DEP_3)
	v_add_co_u32 v0, vcc_lo, v0, v17
	s_wait_alu 0xfffd
	v_add_co_ci_u32_e64 v1, null, v1, v18, vcc_lo
	global_store_b64 v2, v[0:1], s[4:5]
	s_endpgm
.LBB1496_138:
	v_lshlrev_b32_e32 v3, 3, v0
	s_delay_alu instid0(VALU_DEP_1)
	v_add_co_u32 v3, s1, s10, v3
	s_wait_alu 0xf1ff
	v_add_co_ci_u32_e64 v4, null, s11, 0, s1
	flat_load_b64 v[3:4], v[3:4] offset:2048
	s_wait_alu 0xfffe
	s_or_b32 exec_lo, exec_lo, s0
	s_delay_alu instid0(SALU_CYCLE_1)
	s_mov_b32 s0, exec_lo
	v_cmpx_gt_u32_e64 s3, v10
	s_cbranch_execz .LBB1496_11
.LBB1496_139:
	v_lshlrev_b32_e32 v5, 3, v0
	s_delay_alu instid0(VALU_DEP_1)
	v_add_co_u32 v5, s1, s10, v5
	s_wait_alu 0xf1ff
	v_add_co_ci_u32_e64 v6, null, s11, 0, s1
	flat_load_b64 v[5:6], v[5:6] offset:4096
	s_wait_alu 0xfffe
	s_or_b32 exec_lo, exec_lo, s0
	s_delay_alu instid0(SALU_CYCLE_1)
	s_mov_b32 s0, exec_lo
	v_cmpx_gt_u32_e64 s3, v9
	s_cbranch_execnz .LBB1496_12
	s_branch .LBB1496_13
.LBB1496_140:
	v_lshlrev_b32_e32 v16, 3, v0
	global_load_b64 v[19:20], v16, s[0:1] offset:2048
	s_wait_loadcnt 0x0
	v_cmp_eq_u64_e32 vcc_lo, 0, v[19:20]
	s_wait_alu 0xfffd
	v_cndmask_b32_e64 v16, 0, 1, vcc_lo
	s_delay_alu instid0(VALU_DEP_1) | instskip(NEXT) | instid1(VALU_DEP_1)
	v_lshlrev_b16 v16, 8, v16
	v_or_b32_e32 v14, v14, v16
	s_delay_alu instid0(VALU_DEP_1) | instskip(SKIP_1) | instid1(SALU_CYCLE_1)
	v_and_b32_e32 v14, 0xffff, v14
	s_or_b32 exec_lo, exec_lo, s6
	s_mov_b32 s6, exec_lo
	v_cmpx_gt_u32_e64 s3, v10
	s_cbranch_execz .LBB1496_21
.LBB1496_141:
	v_lshlrev_b32_e32 v16, 3, v0
	global_load_b64 v[19:20], v16, s[0:1] offset:4096
	s_wait_loadcnt 0x0
	v_cmp_eq_u64_e32 vcc_lo, 0, v[19:20]
	s_wait_alu 0xfffd
	v_cndmask_b32_e64 v16, 0, 1, vcc_lo
	s_delay_alu instid0(VALU_DEP_1)
	v_lshl_or_b32 v14, v16, 16, v14
	s_or_b32 exec_lo, exec_lo, s6
	v_cmp_gt_u32_e32 vcc_lo, s3, v9
	s_and_saveexec_b32 s3, vcc_lo
	s_cbranch_execnz .LBB1496_22
	s_branch .LBB1496_23
	.section	.rodata,"a",@progbits
	.p2align	6, 0x0
	.amdhsa_kernel _ZN7rocprim17ROCPRIM_400000_NS6detail17trampoline_kernelINS0_14default_configENS1_25partition_config_selectorILNS1_17partition_subalgoE5ExNS0_10empty_typeEbEEZZNS1_14partition_implILS5_5ELb0ES3_mN6thrust23THRUST_200600_302600_NS6detail15normal_iteratorINSA_10device_ptrIxEEEEPS6_NSA_18transform_iteratorINSB_9not_fun_tI7is_trueIxEEESF_NSA_11use_defaultESM_EENS0_5tupleIJSF_S6_EEENSO_IJSG_SG_EEES6_PlJS6_EEE10hipError_tPvRmT3_T4_T5_T6_T7_T9_mT8_P12ihipStream_tbDpT10_ENKUlT_T0_E_clISt17integral_constantIbLb0EES1A_IbLb1EEEEDaS16_S17_EUlS16_E_NS1_11comp_targetILNS1_3genE10ELNS1_11target_archE1200ELNS1_3gpuE4ELNS1_3repE0EEENS1_30default_config_static_selectorELNS0_4arch9wavefront6targetE0EEEvT1_
		.amdhsa_group_segment_fixed_size 8464
		.amdhsa_private_segment_fixed_size 0
		.amdhsa_kernarg_size 136
		.amdhsa_user_sgpr_count 2
		.amdhsa_user_sgpr_dispatch_ptr 0
		.amdhsa_user_sgpr_queue_ptr 0
		.amdhsa_user_sgpr_kernarg_segment_ptr 1
		.amdhsa_user_sgpr_dispatch_id 0
		.amdhsa_user_sgpr_private_segment_size 0
		.amdhsa_wavefront_size32 1
		.amdhsa_uses_dynamic_stack 0
		.amdhsa_enable_private_segment 0
		.amdhsa_system_sgpr_workgroup_id_x 1
		.amdhsa_system_sgpr_workgroup_id_y 0
		.amdhsa_system_sgpr_workgroup_id_z 0
		.amdhsa_system_sgpr_workgroup_info 0
		.amdhsa_system_vgpr_workitem_id 0
		.amdhsa_next_free_vgpr 48
		.amdhsa_next_free_sgpr 26
		.amdhsa_reserve_vcc 1
		.amdhsa_float_round_mode_32 0
		.amdhsa_float_round_mode_16_64 0
		.amdhsa_float_denorm_mode_32 3
		.amdhsa_float_denorm_mode_16_64 3
		.amdhsa_fp16_overflow 0
		.amdhsa_workgroup_processor_mode 1
		.amdhsa_memory_ordered 1
		.amdhsa_forward_progress 1
		.amdhsa_inst_pref_size 56
		.amdhsa_round_robin_scheduling 0
		.amdhsa_exception_fp_ieee_invalid_op 0
		.amdhsa_exception_fp_denorm_src 0
		.amdhsa_exception_fp_ieee_div_zero 0
		.amdhsa_exception_fp_ieee_overflow 0
		.amdhsa_exception_fp_ieee_underflow 0
		.amdhsa_exception_fp_ieee_inexact 0
		.amdhsa_exception_int_div_zero 0
	.end_amdhsa_kernel
	.section	.text._ZN7rocprim17ROCPRIM_400000_NS6detail17trampoline_kernelINS0_14default_configENS1_25partition_config_selectorILNS1_17partition_subalgoE5ExNS0_10empty_typeEbEEZZNS1_14partition_implILS5_5ELb0ES3_mN6thrust23THRUST_200600_302600_NS6detail15normal_iteratorINSA_10device_ptrIxEEEEPS6_NSA_18transform_iteratorINSB_9not_fun_tI7is_trueIxEEESF_NSA_11use_defaultESM_EENS0_5tupleIJSF_S6_EEENSO_IJSG_SG_EEES6_PlJS6_EEE10hipError_tPvRmT3_T4_T5_T6_T7_T9_mT8_P12ihipStream_tbDpT10_ENKUlT_T0_E_clISt17integral_constantIbLb0EES1A_IbLb1EEEEDaS16_S17_EUlS16_E_NS1_11comp_targetILNS1_3genE10ELNS1_11target_archE1200ELNS1_3gpuE4ELNS1_3repE0EEENS1_30default_config_static_selectorELNS0_4arch9wavefront6targetE0EEEvT1_,"axG",@progbits,_ZN7rocprim17ROCPRIM_400000_NS6detail17trampoline_kernelINS0_14default_configENS1_25partition_config_selectorILNS1_17partition_subalgoE5ExNS0_10empty_typeEbEEZZNS1_14partition_implILS5_5ELb0ES3_mN6thrust23THRUST_200600_302600_NS6detail15normal_iteratorINSA_10device_ptrIxEEEEPS6_NSA_18transform_iteratorINSB_9not_fun_tI7is_trueIxEEESF_NSA_11use_defaultESM_EENS0_5tupleIJSF_S6_EEENSO_IJSG_SG_EEES6_PlJS6_EEE10hipError_tPvRmT3_T4_T5_T6_T7_T9_mT8_P12ihipStream_tbDpT10_ENKUlT_T0_E_clISt17integral_constantIbLb0EES1A_IbLb1EEEEDaS16_S17_EUlS16_E_NS1_11comp_targetILNS1_3genE10ELNS1_11target_archE1200ELNS1_3gpuE4ELNS1_3repE0EEENS1_30default_config_static_selectorELNS0_4arch9wavefront6targetE0EEEvT1_,comdat
.Lfunc_end1496:
	.size	_ZN7rocprim17ROCPRIM_400000_NS6detail17trampoline_kernelINS0_14default_configENS1_25partition_config_selectorILNS1_17partition_subalgoE5ExNS0_10empty_typeEbEEZZNS1_14partition_implILS5_5ELb0ES3_mN6thrust23THRUST_200600_302600_NS6detail15normal_iteratorINSA_10device_ptrIxEEEEPS6_NSA_18transform_iteratorINSB_9not_fun_tI7is_trueIxEEESF_NSA_11use_defaultESM_EENS0_5tupleIJSF_S6_EEENSO_IJSG_SG_EEES6_PlJS6_EEE10hipError_tPvRmT3_T4_T5_T6_T7_T9_mT8_P12ihipStream_tbDpT10_ENKUlT_T0_E_clISt17integral_constantIbLb0EES1A_IbLb1EEEEDaS16_S17_EUlS16_E_NS1_11comp_targetILNS1_3genE10ELNS1_11target_archE1200ELNS1_3gpuE4ELNS1_3repE0EEENS1_30default_config_static_selectorELNS0_4arch9wavefront6targetE0EEEvT1_, .Lfunc_end1496-_ZN7rocprim17ROCPRIM_400000_NS6detail17trampoline_kernelINS0_14default_configENS1_25partition_config_selectorILNS1_17partition_subalgoE5ExNS0_10empty_typeEbEEZZNS1_14partition_implILS5_5ELb0ES3_mN6thrust23THRUST_200600_302600_NS6detail15normal_iteratorINSA_10device_ptrIxEEEEPS6_NSA_18transform_iteratorINSB_9not_fun_tI7is_trueIxEEESF_NSA_11use_defaultESM_EENS0_5tupleIJSF_S6_EEENSO_IJSG_SG_EEES6_PlJS6_EEE10hipError_tPvRmT3_T4_T5_T6_T7_T9_mT8_P12ihipStream_tbDpT10_ENKUlT_T0_E_clISt17integral_constantIbLb0EES1A_IbLb1EEEEDaS16_S17_EUlS16_E_NS1_11comp_targetILNS1_3genE10ELNS1_11target_archE1200ELNS1_3gpuE4ELNS1_3repE0EEENS1_30default_config_static_selectorELNS0_4arch9wavefront6targetE0EEEvT1_
                                        ; -- End function
	.set _ZN7rocprim17ROCPRIM_400000_NS6detail17trampoline_kernelINS0_14default_configENS1_25partition_config_selectorILNS1_17partition_subalgoE5ExNS0_10empty_typeEbEEZZNS1_14partition_implILS5_5ELb0ES3_mN6thrust23THRUST_200600_302600_NS6detail15normal_iteratorINSA_10device_ptrIxEEEEPS6_NSA_18transform_iteratorINSB_9not_fun_tI7is_trueIxEEESF_NSA_11use_defaultESM_EENS0_5tupleIJSF_S6_EEENSO_IJSG_SG_EEES6_PlJS6_EEE10hipError_tPvRmT3_T4_T5_T6_T7_T9_mT8_P12ihipStream_tbDpT10_ENKUlT_T0_E_clISt17integral_constantIbLb0EES1A_IbLb1EEEEDaS16_S17_EUlS16_E_NS1_11comp_targetILNS1_3genE10ELNS1_11target_archE1200ELNS1_3gpuE4ELNS1_3repE0EEENS1_30default_config_static_selectorELNS0_4arch9wavefront6targetE0EEEvT1_.num_vgpr, 48
	.set _ZN7rocprim17ROCPRIM_400000_NS6detail17trampoline_kernelINS0_14default_configENS1_25partition_config_selectorILNS1_17partition_subalgoE5ExNS0_10empty_typeEbEEZZNS1_14partition_implILS5_5ELb0ES3_mN6thrust23THRUST_200600_302600_NS6detail15normal_iteratorINSA_10device_ptrIxEEEEPS6_NSA_18transform_iteratorINSB_9not_fun_tI7is_trueIxEEESF_NSA_11use_defaultESM_EENS0_5tupleIJSF_S6_EEENSO_IJSG_SG_EEES6_PlJS6_EEE10hipError_tPvRmT3_T4_T5_T6_T7_T9_mT8_P12ihipStream_tbDpT10_ENKUlT_T0_E_clISt17integral_constantIbLb0EES1A_IbLb1EEEEDaS16_S17_EUlS16_E_NS1_11comp_targetILNS1_3genE10ELNS1_11target_archE1200ELNS1_3gpuE4ELNS1_3repE0EEENS1_30default_config_static_selectorELNS0_4arch9wavefront6targetE0EEEvT1_.num_agpr, 0
	.set _ZN7rocprim17ROCPRIM_400000_NS6detail17trampoline_kernelINS0_14default_configENS1_25partition_config_selectorILNS1_17partition_subalgoE5ExNS0_10empty_typeEbEEZZNS1_14partition_implILS5_5ELb0ES3_mN6thrust23THRUST_200600_302600_NS6detail15normal_iteratorINSA_10device_ptrIxEEEEPS6_NSA_18transform_iteratorINSB_9not_fun_tI7is_trueIxEEESF_NSA_11use_defaultESM_EENS0_5tupleIJSF_S6_EEENSO_IJSG_SG_EEES6_PlJS6_EEE10hipError_tPvRmT3_T4_T5_T6_T7_T9_mT8_P12ihipStream_tbDpT10_ENKUlT_T0_E_clISt17integral_constantIbLb0EES1A_IbLb1EEEEDaS16_S17_EUlS16_E_NS1_11comp_targetILNS1_3genE10ELNS1_11target_archE1200ELNS1_3gpuE4ELNS1_3repE0EEENS1_30default_config_static_selectorELNS0_4arch9wavefront6targetE0EEEvT1_.numbered_sgpr, 26
	.set _ZN7rocprim17ROCPRIM_400000_NS6detail17trampoline_kernelINS0_14default_configENS1_25partition_config_selectorILNS1_17partition_subalgoE5ExNS0_10empty_typeEbEEZZNS1_14partition_implILS5_5ELb0ES3_mN6thrust23THRUST_200600_302600_NS6detail15normal_iteratorINSA_10device_ptrIxEEEEPS6_NSA_18transform_iteratorINSB_9not_fun_tI7is_trueIxEEESF_NSA_11use_defaultESM_EENS0_5tupleIJSF_S6_EEENSO_IJSG_SG_EEES6_PlJS6_EEE10hipError_tPvRmT3_T4_T5_T6_T7_T9_mT8_P12ihipStream_tbDpT10_ENKUlT_T0_E_clISt17integral_constantIbLb0EES1A_IbLb1EEEEDaS16_S17_EUlS16_E_NS1_11comp_targetILNS1_3genE10ELNS1_11target_archE1200ELNS1_3gpuE4ELNS1_3repE0EEENS1_30default_config_static_selectorELNS0_4arch9wavefront6targetE0EEEvT1_.num_named_barrier, 0
	.set _ZN7rocprim17ROCPRIM_400000_NS6detail17trampoline_kernelINS0_14default_configENS1_25partition_config_selectorILNS1_17partition_subalgoE5ExNS0_10empty_typeEbEEZZNS1_14partition_implILS5_5ELb0ES3_mN6thrust23THRUST_200600_302600_NS6detail15normal_iteratorINSA_10device_ptrIxEEEEPS6_NSA_18transform_iteratorINSB_9not_fun_tI7is_trueIxEEESF_NSA_11use_defaultESM_EENS0_5tupleIJSF_S6_EEENSO_IJSG_SG_EEES6_PlJS6_EEE10hipError_tPvRmT3_T4_T5_T6_T7_T9_mT8_P12ihipStream_tbDpT10_ENKUlT_T0_E_clISt17integral_constantIbLb0EES1A_IbLb1EEEEDaS16_S17_EUlS16_E_NS1_11comp_targetILNS1_3genE10ELNS1_11target_archE1200ELNS1_3gpuE4ELNS1_3repE0EEENS1_30default_config_static_selectorELNS0_4arch9wavefront6targetE0EEEvT1_.private_seg_size, 0
	.set _ZN7rocprim17ROCPRIM_400000_NS6detail17trampoline_kernelINS0_14default_configENS1_25partition_config_selectorILNS1_17partition_subalgoE5ExNS0_10empty_typeEbEEZZNS1_14partition_implILS5_5ELb0ES3_mN6thrust23THRUST_200600_302600_NS6detail15normal_iteratorINSA_10device_ptrIxEEEEPS6_NSA_18transform_iteratorINSB_9not_fun_tI7is_trueIxEEESF_NSA_11use_defaultESM_EENS0_5tupleIJSF_S6_EEENSO_IJSG_SG_EEES6_PlJS6_EEE10hipError_tPvRmT3_T4_T5_T6_T7_T9_mT8_P12ihipStream_tbDpT10_ENKUlT_T0_E_clISt17integral_constantIbLb0EES1A_IbLb1EEEEDaS16_S17_EUlS16_E_NS1_11comp_targetILNS1_3genE10ELNS1_11target_archE1200ELNS1_3gpuE4ELNS1_3repE0EEENS1_30default_config_static_selectorELNS0_4arch9wavefront6targetE0EEEvT1_.uses_vcc, 1
	.set _ZN7rocprim17ROCPRIM_400000_NS6detail17trampoline_kernelINS0_14default_configENS1_25partition_config_selectorILNS1_17partition_subalgoE5ExNS0_10empty_typeEbEEZZNS1_14partition_implILS5_5ELb0ES3_mN6thrust23THRUST_200600_302600_NS6detail15normal_iteratorINSA_10device_ptrIxEEEEPS6_NSA_18transform_iteratorINSB_9not_fun_tI7is_trueIxEEESF_NSA_11use_defaultESM_EENS0_5tupleIJSF_S6_EEENSO_IJSG_SG_EEES6_PlJS6_EEE10hipError_tPvRmT3_T4_T5_T6_T7_T9_mT8_P12ihipStream_tbDpT10_ENKUlT_T0_E_clISt17integral_constantIbLb0EES1A_IbLb1EEEEDaS16_S17_EUlS16_E_NS1_11comp_targetILNS1_3genE10ELNS1_11target_archE1200ELNS1_3gpuE4ELNS1_3repE0EEENS1_30default_config_static_selectorELNS0_4arch9wavefront6targetE0EEEvT1_.uses_flat_scratch, 1
	.set _ZN7rocprim17ROCPRIM_400000_NS6detail17trampoline_kernelINS0_14default_configENS1_25partition_config_selectorILNS1_17partition_subalgoE5ExNS0_10empty_typeEbEEZZNS1_14partition_implILS5_5ELb0ES3_mN6thrust23THRUST_200600_302600_NS6detail15normal_iteratorINSA_10device_ptrIxEEEEPS6_NSA_18transform_iteratorINSB_9not_fun_tI7is_trueIxEEESF_NSA_11use_defaultESM_EENS0_5tupleIJSF_S6_EEENSO_IJSG_SG_EEES6_PlJS6_EEE10hipError_tPvRmT3_T4_T5_T6_T7_T9_mT8_P12ihipStream_tbDpT10_ENKUlT_T0_E_clISt17integral_constantIbLb0EES1A_IbLb1EEEEDaS16_S17_EUlS16_E_NS1_11comp_targetILNS1_3genE10ELNS1_11target_archE1200ELNS1_3gpuE4ELNS1_3repE0EEENS1_30default_config_static_selectorELNS0_4arch9wavefront6targetE0EEEvT1_.has_dyn_sized_stack, 0
	.set _ZN7rocprim17ROCPRIM_400000_NS6detail17trampoline_kernelINS0_14default_configENS1_25partition_config_selectorILNS1_17partition_subalgoE5ExNS0_10empty_typeEbEEZZNS1_14partition_implILS5_5ELb0ES3_mN6thrust23THRUST_200600_302600_NS6detail15normal_iteratorINSA_10device_ptrIxEEEEPS6_NSA_18transform_iteratorINSB_9not_fun_tI7is_trueIxEEESF_NSA_11use_defaultESM_EENS0_5tupleIJSF_S6_EEENSO_IJSG_SG_EEES6_PlJS6_EEE10hipError_tPvRmT3_T4_T5_T6_T7_T9_mT8_P12ihipStream_tbDpT10_ENKUlT_T0_E_clISt17integral_constantIbLb0EES1A_IbLb1EEEEDaS16_S17_EUlS16_E_NS1_11comp_targetILNS1_3genE10ELNS1_11target_archE1200ELNS1_3gpuE4ELNS1_3repE0EEENS1_30default_config_static_selectorELNS0_4arch9wavefront6targetE0EEEvT1_.has_recursion, 0
	.set _ZN7rocprim17ROCPRIM_400000_NS6detail17trampoline_kernelINS0_14default_configENS1_25partition_config_selectorILNS1_17partition_subalgoE5ExNS0_10empty_typeEbEEZZNS1_14partition_implILS5_5ELb0ES3_mN6thrust23THRUST_200600_302600_NS6detail15normal_iteratorINSA_10device_ptrIxEEEEPS6_NSA_18transform_iteratorINSB_9not_fun_tI7is_trueIxEEESF_NSA_11use_defaultESM_EENS0_5tupleIJSF_S6_EEENSO_IJSG_SG_EEES6_PlJS6_EEE10hipError_tPvRmT3_T4_T5_T6_T7_T9_mT8_P12ihipStream_tbDpT10_ENKUlT_T0_E_clISt17integral_constantIbLb0EES1A_IbLb1EEEEDaS16_S17_EUlS16_E_NS1_11comp_targetILNS1_3genE10ELNS1_11target_archE1200ELNS1_3gpuE4ELNS1_3repE0EEENS1_30default_config_static_selectorELNS0_4arch9wavefront6targetE0EEEvT1_.has_indirect_call, 0
	.section	.AMDGPU.csdata,"",@progbits
; Kernel info:
; codeLenInByte = 7108
; TotalNumSgprs: 28
; NumVgprs: 48
; ScratchSize: 0
; MemoryBound: 0
; FloatMode: 240
; IeeeMode: 1
; LDSByteSize: 8464 bytes/workgroup (compile time only)
; SGPRBlocks: 0
; VGPRBlocks: 5
; NumSGPRsForWavesPerEU: 28
; NumVGPRsForWavesPerEU: 48
; Occupancy: 16
; WaveLimiterHint : 1
; COMPUTE_PGM_RSRC2:SCRATCH_EN: 0
; COMPUTE_PGM_RSRC2:USER_SGPR: 2
; COMPUTE_PGM_RSRC2:TRAP_HANDLER: 0
; COMPUTE_PGM_RSRC2:TGID_X_EN: 1
; COMPUTE_PGM_RSRC2:TGID_Y_EN: 0
; COMPUTE_PGM_RSRC2:TGID_Z_EN: 0
; COMPUTE_PGM_RSRC2:TIDIG_COMP_CNT: 0
	.section	.text._ZN7rocprim17ROCPRIM_400000_NS6detail17trampoline_kernelINS0_14default_configENS1_25partition_config_selectorILNS1_17partition_subalgoE5ExNS0_10empty_typeEbEEZZNS1_14partition_implILS5_5ELb0ES3_mN6thrust23THRUST_200600_302600_NS6detail15normal_iteratorINSA_10device_ptrIxEEEEPS6_NSA_18transform_iteratorINSB_9not_fun_tI7is_trueIxEEESF_NSA_11use_defaultESM_EENS0_5tupleIJSF_S6_EEENSO_IJSG_SG_EEES6_PlJS6_EEE10hipError_tPvRmT3_T4_T5_T6_T7_T9_mT8_P12ihipStream_tbDpT10_ENKUlT_T0_E_clISt17integral_constantIbLb0EES1A_IbLb1EEEEDaS16_S17_EUlS16_E_NS1_11comp_targetILNS1_3genE9ELNS1_11target_archE1100ELNS1_3gpuE3ELNS1_3repE0EEENS1_30default_config_static_selectorELNS0_4arch9wavefront6targetE0EEEvT1_,"axG",@progbits,_ZN7rocprim17ROCPRIM_400000_NS6detail17trampoline_kernelINS0_14default_configENS1_25partition_config_selectorILNS1_17partition_subalgoE5ExNS0_10empty_typeEbEEZZNS1_14partition_implILS5_5ELb0ES3_mN6thrust23THRUST_200600_302600_NS6detail15normal_iteratorINSA_10device_ptrIxEEEEPS6_NSA_18transform_iteratorINSB_9not_fun_tI7is_trueIxEEESF_NSA_11use_defaultESM_EENS0_5tupleIJSF_S6_EEENSO_IJSG_SG_EEES6_PlJS6_EEE10hipError_tPvRmT3_T4_T5_T6_T7_T9_mT8_P12ihipStream_tbDpT10_ENKUlT_T0_E_clISt17integral_constantIbLb0EES1A_IbLb1EEEEDaS16_S17_EUlS16_E_NS1_11comp_targetILNS1_3genE9ELNS1_11target_archE1100ELNS1_3gpuE3ELNS1_3repE0EEENS1_30default_config_static_selectorELNS0_4arch9wavefront6targetE0EEEvT1_,comdat
	.protected	_ZN7rocprim17ROCPRIM_400000_NS6detail17trampoline_kernelINS0_14default_configENS1_25partition_config_selectorILNS1_17partition_subalgoE5ExNS0_10empty_typeEbEEZZNS1_14partition_implILS5_5ELb0ES3_mN6thrust23THRUST_200600_302600_NS6detail15normal_iteratorINSA_10device_ptrIxEEEEPS6_NSA_18transform_iteratorINSB_9not_fun_tI7is_trueIxEEESF_NSA_11use_defaultESM_EENS0_5tupleIJSF_S6_EEENSO_IJSG_SG_EEES6_PlJS6_EEE10hipError_tPvRmT3_T4_T5_T6_T7_T9_mT8_P12ihipStream_tbDpT10_ENKUlT_T0_E_clISt17integral_constantIbLb0EES1A_IbLb1EEEEDaS16_S17_EUlS16_E_NS1_11comp_targetILNS1_3genE9ELNS1_11target_archE1100ELNS1_3gpuE3ELNS1_3repE0EEENS1_30default_config_static_selectorELNS0_4arch9wavefront6targetE0EEEvT1_ ; -- Begin function _ZN7rocprim17ROCPRIM_400000_NS6detail17trampoline_kernelINS0_14default_configENS1_25partition_config_selectorILNS1_17partition_subalgoE5ExNS0_10empty_typeEbEEZZNS1_14partition_implILS5_5ELb0ES3_mN6thrust23THRUST_200600_302600_NS6detail15normal_iteratorINSA_10device_ptrIxEEEEPS6_NSA_18transform_iteratorINSB_9not_fun_tI7is_trueIxEEESF_NSA_11use_defaultESM_EENS0_5tupleIJSF_S6_EEENSO_IJSG_SG_EEES6_PlJS6_EEE10hipError_tPvRmT3_T4_T5_T6_T7_T9_mT8_P12ihipStream_tbDpT10_ENKUlT_T0_E_clISt17integral_constantIbLb0EES1A_IbLb1EEEEDaS16_S17_EUlS16_E_NS1_11comp_targetILNS1_3genE9ELNS1_11target_archE1100ELNS1_3gpuE3ELNS1_3repE0EEENS1_30default_config_static_selectorELNS0_4arch9wavefront6targetE0EEEvT1_
	.globl	_ZN7rocprim17ROCPRIM_400000_NS6detail17trampoline_kernelINS0_14default_configENS1_25partition_config_selectorILNS1_17partition_subalgoE5ExNS0_10empty_typeEbEEZZNS1_14partition_implILS5_5ELb0ES3_mN6thrust23THRUST_200600_302600_NS6detail15normal_iteratorINSA_10device_ptrIxEEEEPS6_NSA_18transform_iteratorINSB_9not_fun_tI7is_trueIxEEESF_NSA_11use_defaultESM_EENS0_5tupleIJSF_S6_EEENSO_IJSG_SG_EEES6_PlJS6_EEE10hipError_tPvRmT3_T4_T5_T6_T7_T9_mT8_P12ihipStream_tbDpT10_ENKUlT_T0_E_clISt17integral_constantIbLb0EES1A_IbLb1EEEEDaS16_S17_EUlS16_E_NS1_11comp_targetILNS1_3genE9ELNS1_11target_archE1100ELNS1_3gpuE3ELNS1_3repE0EEENS1_30default_config_static_selectorELNS0_4arch9wavefront6targetE0EEEvT1_
	.p2align	8
	.type	_ZN7rocprim17ROCPRIM_400000_NS6detail17trampoline_kernelINS0_14default_configENS1_25partition_config_selectorILNS1_17partition_subalgoE5ExNS0_10empty_typeEbEEZZNS1_14partition_implILS5_5ELb0ES3_mN6thrust23THRUST_200600_302600_NS6detail15normal_iteratorINSA_10device_ptrIxEEEEPS6_NSA_18transform_iteratorINSB_9not_fun_tI7is_trueIxEEESF_NSA_11use_defaultESM_EENS0_5tupleIJSF_S6_EEENSO_IJSG_SG_EEES6_PlJS6_EEE10hipError_tPvRmT3_T4_T5_T6_T7_T9_mT8_P12ihipStream_tbDpT10_ENKUlT_T0_E_clISt17integral_constantIbLb0EES1A_IbLb1EEEEDaS16_S17_EUlS16_E_NS1_11comp_targetILNS1_3genE9ELNS1_11target_archE1100ELNS1_3gpuE3ELNS1_3repE0EEENS1_30default_config_static_selectorELNS0_4arch9wavefront6targetE0EEEvT1_,@function
_ZN7rocprim17ROCPRIM_400000_NS6detail17trampoline_kernelINS0_14default_configENS1_25partition_config_selectorILNS1_17partition_subalgoE5ExNS0_10empty_typeEbEEZZNS1_14partition_implILS5_5ELb0ES3_mN6thrust23THRUST_200600_302600_NS6detail15normal_iteratorINSA_10device_ptrIxEEEEPS6_NSA_18transform_iteratorINSB_9not_fun_tI7is_trueIxEEESF_NSA_11use_defaultESM_EENS0_5tupleIJSF_S6_EEENSO_IJSG_SG_EEES6_PlJS6_EEE10hipError_tPvRmT3_T4_T5_T6_T7_T9_mT8_P12ihipStream_tbDpT10_ENKUlT_T0_E_clISt17integral_constantIbLb0EES1A_IbLb1EEEEDaS16_S17_EUlS16_E_NS1_11comp_targetILNS1_3genE9ELNS1_11target_archE1100ELNS1_3gpuE3ELNS1_3repE0EEENS1_30default_config_static_selectorELNS0_4arch9wavefront6targetE0EEEvT1_: ; @_ZN7rocprim17ROCPRIM_400000_NS6detail17trampoline_kernelINS0_14default_configENS1_25partition_config_selectorILNS1_17partition_subalgoE5ExNS0_10empty_typeEbEEZZNS1_14partition_implILS5_5ELb0ES3_mN6thrust23THRUST_200600_302600_NS6detail15normal_iteratorINSA_10device_ptrIxEEEEPS6_NSA_18transform_iteratorINSB_9not_fun_tI7is_trueIxEEESF_NSA_11use_defaultESM_EENS0_5tupleIJSF_S6_EEENSO_IJSG_SG_EEES6_PlJS6_EEE10hipError_tPvRmT3_T4_T5_T6_T7_T9_mT8_P12ihipStream_tbDpT10_ENKUlT_T0_E_clISt17integral_constantIbLb0EES1A_IbLb1EEEEDaS16_S17_EUlS16_E_NS1_11comp_targetILNS1_3genE9ELNS1_11target_archE1100ELNS1_3gpuE3ELNS1_3repE0EEENS1_30default_config_static_selectorELNS0_4arch9wavefront6targetE0EEEvT1_
; %bb.0:
	.section	.rodata,"a",@progbits
	.p2align	6, 0x0
	.amdhsa_kernel _ZN7rocprim17ROCPRIM_400000_NS6detail17trampoline_kernelINS0_14default_configENS1_25partition_config_selectorILNS1_17partition_subalgoE5ExNS0_10empty_typeEbEEZZNS1_14partition_implILS5_5ELb0ES3_mN6thrust23THRUST_200600_302600_NS6detail15normal_iteratorINSA_10device_ptrIxEEEEPS6_NSA_18transform_iteratorINSB_9not_fun_tI7is_trueIxEEESF_NSA_11use_defaultESM_EENS0_5tupleIJSF_S6_EEENSO_IJSG_SG_EEES6_PlJS6_EEE10hipError_tPvRmT3_T4_T5_T6_T7_T9_mT8_P12ihipStream_tbDpT10_ENKUlT_T0_E_clISt17integral_constantIbLb0EES1A_IbLb1EEEEDaS16_S17_EUlS16_E_NS1_11comp_targetILNS1_3genE9ELNS1_11target_archE1100ELNS1_3gpuE3ELNS1_3repE0EEENS1_30default_config_static_selectorELNS0_4arch9wavefront6targetE0EEEvT1_
		.amdhsa_group_segment_fixed_size 0
		.amdhsa_private_segment_fixed_size 0
		.amdhsa_kernarg_size 136
		.amdhsa_user_sgpr_count 2
		.amdhsa_user_sgpr_dispatch_ptr 0
		.amdhsa_user_sgpr_queue_ptr 0
		.amdhsa_user_sgpr_kernarg_segment_ptr 1
		.amdhsa_user_sgpr_dispatch_id 0
		.amdhsa_user_sgpr_private_segment_size 0
		.amdhsa_wavefront_size32 1
		.amdhsa_uses_dynamic_stack 0
		.amdhsa_enable_private_segment 0
		.amdhsa_system_sgpr_workgroup_id_x 1
		.amdhsa_system_sgpr_workgroup_id_y 0
		.amdhsa_system_sgpr_workgroup_id_z 0
		.amdhsa_system_sgpr_workgroup_info 0
		.amdhsa_system_vgpr_workitem_id 0
		.amdhsa_next_free_vgpr 1
		.amdhsa_next_free_sgpr 1
		.amdhsa_reserve_vcc 0
		.amdhsa_float_round_mode_32 0
		.amdhsa_float_round_mode_16_64 0
		.amdhsa_float_denorm_mode_32 3
		.amdhsa_float_denorm_mode_16_64 3
		.amdhsa_fp16_overflow 0
		.amdhsa_workgroup_processor_mode 1
		.amdhsa_memory_ordered 1
		.amdhsa_forward_progress 1
		.amdhsa_inst_pref_size 0
		.amdhsa_round_robin_scheduling 0
		.amdhsa_exception_fp_ieee_invalid_op 0
		.amdhsa_exception_fp_denorm_src 0
		.amdhsa_exception_fp_ieee_div_zero 0
		.amdhsa_exception_fp_ieee_overflow 0
		.amdhsa_exception_fp_ieee_underflow 0
		.amdhsa_exception_fp_ieee_inexact 0
		.amdhsa_exception_int_div_zero 0
	.end_amdhsa_kernel
	.section	.text._ZN7rocprim17ROCPRIM_400000_NS6detail17trampoline_kernelINS0_14default_configENS1_25partition_config_selectorILNS1_17partition_subalgoE5ExNS0_10empty_typeEbEEZZNS1_14partition_implILS5_5ELb0ES3_mN6thrust23THRUST_200600_302600_NS6detail15normal_iteratorINSA_10device_ptrIxEEEEPS6_NSA_18transform_iteratorINSB_9not_fun_tI7is_trueIxEEESF_NSA_11use_defaultESM_EENS0_5tupleIJSF_S6_EEENSO_IJSG_SG_EEES6_PlJS6_EEE10hipError_tPvRmT3_T4_T5_T6_T7_T9_mT8_P12ihipStream_tbDpT10_ENKUlT_T0_E_clISt17integral_constantIbLb0EES1A_IbLb1EEEEDaS16_S17_EUlS16_E_NS1_11comp_targetILNS1_3genE9ELNS1_11target_archE1100ELNS1_3gpuE3ELNS1_3repE0EEENS1_30default_config_static_selectorELNS0_4arch9wavefront6targetE0EEEvT1_,"axG",@progbits,_ZN7rocprim17ROCPRIM_400000_NS6detail17trampoline_kernelINS0_14default_configENS1_25partition_config_selectorILNS1_17partition_subalgoE5ExNS0_10empty_typeEbEEZZNS1_14partition_implILS5_5ELb0ES3_mN6thrust23THRUST_200600_302600_NS6detail15normal_iteratorINSA_10device_ptrIxEEEEPS6_NSA_18transform_iteratorINSB_9not_fun_tI7is_trueIxEEESF_NSA_11use_defaultESM_EENS0_5tupleIJSF_S6_EEENSO_IJSG_SG_EEES6_PlJS6_EEE10hipError_tPvRmT3_T4_T5_T6_T7_T9_mT8_P12ihipStream_tbDpT10_ENKUlT_T0_E_clISt17integral_constantIbLb0EES1A_IbLb1EEEEDaS16_S17_EUlS16_E_NS1_11comp_targetILNS1_3genE9ELNS1_11target_archE1100ELNS1_3gpuE3ELNS1_3repE0EEENS1_30default_config_static_selectorELNS0_4arch9wavefront6targetE0EEEvT1_,comdat
.Lfunc_end1497:
	.size	_ZN7rocprim17ROCPRIM_400000_NS6detail17trampoline_kernelINS0_14default_configENS1_25partition_config_selectorILNS1_17partition_subalgoE5ExNS0_10empty_typeEbEEZZNS1_14partition_implILS5_5ELb0ES3_mN6thrust23THRUST_200600_302600_NS6detail15normal_iteratorINSA_10device_ptrIxEEEEPS6_NSA_18transform_iteratorINSB_9not_fun_tI7is_trueIxEEESF_NSA_11use_defaultESM_EENS0_5tupleIJSF_S6_EEENSO_IJSG_SG_EEES6_PlJS6_EEE10hipError_tPvRmT3_T4_T5_T6_T7_T9_mT8_P12ihipStream_tbDpT10_ENKUlT_T0_E_clISt17integral_constantIbLb0EES1A_IbLb1EEEEDaS16_S17_EUlS16_E_NS1_11comp_targetILNS1_3genE9ELNS1_11target_archE1100ELNS1_3gpuE3ELNS1_3repE0EEENS1_30default_config_static_selectorELNS0_4arch9wavefront6targetE0EEEvT1_, .Lfunc_end1497-_ZN7rocprim17ROCPRIM_400000_NS6detail17trampoline_kernelINS0_14default_configENS1_25partition_config_selectorILNS1_17partition_subalgoE5ExNS0_10empty_typeEbEEZZNS1_14partition_implILS5_5ELb0ES3_mN6thrust23THRUST_200600_302600_NS6detail15normal_iteratorINSA_10device_ptrIxEEEEPS6_NSA_18transform_iteratorINSB_9not_fun_tI7is_trueIxEEESF_NSA_11use_defaultESM_EENS0_5tupleIJSF_S6_EEENSO_IJSG_SG_EEES6_PlJS6_EEE10hipError_tPvRmT3_T4_T5_T6_T7_T9_mT8_P12ihipStream_tbDpT10_ENKUlT_T0_E_clISt17integral_constantIbLb0EES1A_IbLb1EEEEDaS16_S17_EUlS16_E_NS1_11comp_targetILNS1_3genE9ELNS1_11target_archE1100ELNS1_3gpuE3ELNS1_3repE0EEENS1_30default_config_static_selectorELNS0_4arch9wavefront6targetE0EEEvT1_
                                        ; -- End function
	.set _ZN7rocprim17ROCPRIM_400000_NS6detail17trampoline_kernelINS0_14default_configENS1_25partition_config_selectorILNS1_17partition_subalgoE5ExNS0_10empty_typeEbEEZZNS1_14partition_implILS5_5ELb0ES3_mN6thrust23THRUST_200600_302600_NS6detail15normal_iteratorINSA_10device_ptrIxEEEEPS6_NSA_18transform_iteratorINSB_9not_fun_tI7is_trueIxEEESF_NSA_11use_defaultESM_EENS0_5tupleIJSF_S6_EEENSO_IJSG_SG_EEES6_PlJS6_EEE10hipError_tPvRmT3_T4_T5_T6_T7_T9_mT8_P12ihipStream_tbDpT10_ENKUlT_T0_E_clISt17integral_constantIbLb0EES1A_IbLb1EEEEDaS16_S17_EUlS16_E_NS1_11comp_targetILNS1_3genE9ELNS1_11target_archE1100ELNS1_3gpuE3ELNS1_3repE0EEENS1_30default_config_static_selectorELNS0_4arch9wavefront6targetE0EEEvT1_.num_vgpr, 0
	.set _ZN7rocprim17ROCPRIM_400000_NS6detail17trampoline_kernelINS0_14default_configENS1_25partition_config_selectorILNS1_17partition_subalgoE5ExNS0_10empty_typeEbEEZZNS1_14partition_implILS5_5ELb0ES3_mN6thrust23THRUST_200600_302600_NS6detail15normal_iteratorINSA_10device_ptrIxEEEEPS6_NSA_18transform_iteratorINSB_9not_fun_tI7is_trueIxEEESF_NSA_11use_defaultESM_EENS0_5tupleIJSF_S6_EEENSO_IJSG_SG_EEES6_PlJS6_EEE10hipError_tPvRmT3_T4_T5_T6_T7_T9_mT8_P12ihipStream_tbDpT10_ENKUlT_T0_E_clISt17integral_constantIbLb0EES1A_IbLb1EEEEDaS16_S17_EUlS16_E_NS1_11comp_targetILNS1_3genE9ELNS1_11target_archE1100ELNS1_3gpuE3ELNS1_3repE0EEENS1_30default_config_static_selectorELNS0_4arch9wavefront6targetE0EEEvT1_.num_agpr, 0
	.set _ZN7rocprim17ROCPRIM_400000_NS6detail17trampoline_kernelINS0_14default_configENS1_25partition_config_selectorILNS1_17partition_subalgoE5ExNS0_10empty_typeEbEEZZNS1_14partition_implILS5_5ELb0ES3_mN6thrust23THRUST_200600_302600_NS6detail15normal_iteratorINSA_10device_ptrIxEEEEPS6_NSA_18transform_iteratorINSB_9not_fun_tI7is_trueIxEEESF_NSA_11use_defaultESM_EENS0_5tupleIJSF_S6_EEENSO_IJSG_SG_EEES6_PlJS6_EEE10hipError_tPvRmT3_T4_T5_T6_T7_T9_mT8_P12ihipStream_tbDpT10_ENKUlT_T0_E_clISt17integral_constantIbLb0EES1A_IbLb1EEEEDaS16_S17_EUlS16_E_NS1_11comp_targetILNS1_3genE9ELNS1_11target_archE1100ELNS1_3gpuE3ELNS1_3repE0EEENS1_30default_config_static_selectorELNS0_4arch9wavefront6targetE0EEEvT1_.numbered_sgpr, 0
	.set _ZN7rocprim17ROCPRIM_400000_NS6detail17trampoline_kernelINS0_14default_configENS1_25partition_config_selectorILNS1_17partition_subalgoE5ExNS0_10empty_typeEbEEZZNS1_14partition_implILS5_5ELb0ES3_mN6thrust23THRUST_200600_302600_NS6detail15normal_iteratorINSA_10device_ptrIxEEEEPS6_NSA_18transform_iteratorINSB_9not_fun_tI7is_trueIxEEESF_NSA_11use_defaultESM_EENS0_5tupleIJSF_S6_EEENSO_IJSG_SG_EEES6_PlJS6_EEE10hipError_tPvRmT3_T4_T5_T6_T7_T9_mT8_P12ihipStream_tbDpT10_ENKUlT_T0_E_clISt17integral_constantIbLb0EES1A_IbLb1EEEEDaS16_S17_EUlS16_E_NS1_11comp_targetILNS1_3genE9ELNS1_11target_archE1100ELNS1_3gpuE3ELNS1_3repE0EEENS1_30default_config_static_selectorELNS0_4arch9wavefront6targetE0EEEvT1_.num_named_barrier, 0
	.set _ZN7rocprim17ROCPRIM_400000_NS6detail17trampoline_kernelINS0_14default_configENS1_25partition_config_selectorILNS1_17partition_subalgoE5ExNS0_10empty_typeEbEEZZNS1_14partition_implILS5_5ELb0ES3_mN6thrust23THRUST_200600_302600_NS6detail15normal_iteratorINSA_10device_ptrIxEEEEPS6_NSA_18transform_iteratorINSB_9not_fun_tI7is_trueIxEEESF_NSA_11use_defaultESM_EENS0_5tupleIJSF_S6_EEENSO_IJSG_SG_EEES6_PlJS6_EEE10hipError_tPvRmT3_T4_T5_T6_T7_T9_mT8_P12ihipStream_tbDpT10_ENKUlT_T0_E_clISt17integral_constantIbLb0EES1A_IbLb1EEEEDaS16_S17_EUlS16_E_NS1_11comp_targetILNS1_3genE9ELNS1_11target_archE1100ELNS1_3gpuE3ELNS1_3repE0EEENS1_30default_config_static_selectorELNS0_4arch9wavefront6targetE0EEEvT1_.private_seg_size, 0
	.set _ZN7rocprim17ROCPRIM_400000_NS6detail17trampoline_kernelINS0_14default_configENS1_25partition_config_selectorILNS1_17partition_subalgoE5ExNS0_10empty_typeEbEEZZNS1_14partition_implILS5_5ELb0ES3_mN6thrust23THRUST_200600_302600_NS6detail15normal_iteratorINSA_10device_ptrIxEEEEPS6_NSA_18transform_iteratorINSB_9not_fun_tI7is_trueIxEEESF_NSA_11use_defaultESM_EENS0_5tupleIJSF_S6_EEENSO_IJSG_SG_EEES6_PlJS6_EEE10hipError_tPvRmT3_T4_T5_T6_T7_T9_mT8_P12ihipStream_tbDpT10_ENKUlT_T0_E_clISt17integral_constantIbLb0EES1A_IbLb1EEEEDaS16_S17_EUlS16_E_NS1_11comp_targetILNS1_3genE9ELNS1_11target_archE1100ELNS1_3gpuE3ELNS1_3repE0EEENS1_30default_config_static_selectorELNS0_4arch9wavefront6targetE0EEEvT1_.uses_vcc, 0
	.set _ZN7rocprim17ROCPRIM_400000_NS6detail17trampoline_kernelINS0_14default_configENS1_25partition_config_selectorILNS1_17partition_subalgoE5ExNS0_10empty_typeEbEEZZNS1_14partition_implILS5_5ELb0ES3_mN6thrust23THRUST_200600_302600_NS6detail15normal_iteratorINSA_10device_ptrIxEEEEPS6_NSA_18transform_iteratorINSB_9not_fun_tI7is_trueIxEEESF_NSA_11use_defaultESM_EENS0_5tupleIJSF_S6_EEENSO_IJSG_SG_EEES6_PlJS6_EEE10hipError_tPvRmT3_T4_T5_T6_T7_T9_mT8_P12ihipStream_tbDpT10_ENKUlT_T0_E_clISt17integral_constantIbLb0EES1A_IbLb1EEEEDaS16_S17_EUlS16_E_NS1_11comp_targetILNS1_3genE9ELNS1_11target_archE1100ELNS1_3gpuE3ELNS1_3repE0EEENS1_30default_config_static_selectorELNS0_4arch9wavefront6targetE0EEEvT1_.uses_flat_scratch, 0
	.set _ZN7rocprim17ROCPRIM_400000_NS6detail17trampoline_kernelINS0_14default_configENS1_25partition_config_selectorILNS1_17partition_subalgoE5ExNS0_10empty_typeEbEEZZNS1_14partition_implILS5_5ELb0ES3_mN6thrust23THRUST_200600_302600_NS6detail15normal_iteratorINSA_10device_ptrIxEEEEPS6_NSA_18transform_iteratorINSB_9not_fun_tI7is_trueIxEEESF_NSA_11use_defaultESM_EENS0_5tupleIJSF_S6_EEENSO_IJSG_SG_EEES6_PlJS6_EEE10hipError_tPvRmT3_T4_T5_T6_T7_T9_mT8_P12ihipStream_tbDpT10_ENKUlT_T0_E_clISt17integral_constantIbLb0EES1A_IbLb1EEEEDaS16_S17_EUlS16_E_NS1_11comp_targetILNS1_3genE9ELNS1_11target_archE1100ELNS1_3gpuE3ELNS1_3repE0EEENS1_30default_config_static_selectorELNS0_4arch9wavefront6targetE0EEEvT1_.has_dyn_sized_stack, 0
	.set _ZN7rocprim17ROCPRIM_400000_NS6detail17trampoline_kernelINS0_14default_configENS1_25partition_config_selectorILNS1_17partition_subalgoE5ExNS0_10empty_typeEbEEZZNS1_14partition_implILS5_5ELb0ES3_mN6thrust23THRUST_200600_302600_NS6detail15normal_iteratorINSA_10device_ptrIxEEEEPS6_NSA_18transform_iteratorINSB_9not_fun_tI7is_trueIxEEESF_NSA_11use_defaultESM_EENS0_5tupleIJSF_S6_EEENSO_IJSG_SG_EEES6_PlJS6_EEE10hipError_tPvRmT3_T4_T5_T6_T7_T9_mT8_P12ihipStream_tbDpT10_ENKUlT_T0_E_clISt17integral_constantIbLb0EES1A_IbLb1EEEEDaS16_S17_EUlS16_E_NS1_11comp_targetILNS1_3genE9ELNS1_11target_archE1100ELNS1_3gpuE3ELNS1_3repE0EEENS1_30default_config_static_selectorELNS0_4arch9wavefront6targetE0EEEvT1_.has_recursion, 0
	.set _ZN7rocprim17ROCPRIM_400000_NS6detail17trampoline_kernelINS0_14default_configENS1_25partition_config_selectorILNS1_17partition_subalgoE5ExNS0_10empty_typeEbEEZZNS1_14partition_implILS5_5ELb0ES3_mN6thrust23THRUST_200600_302600_NS6detail15normal_iteratorINSA_10device_ptrIxEEEEPS6_NSA_18transform_iteratorINSB_9not_fun_tI7is_trueIxEEESF_NSA_11use_defaultESM_EENS0_5tupleIJSF_S6_EEENSO_IJSG_SG_EEES6_PlJS6_EEE10hipError_tPvRmT3_T4_T5_T6_T7_T9_mT8_P12ihipStream_tbDpT10_ENKUlT_T0_E_clISt17integral_constantIbLb0EES1A_IbLb1EEEEDaS16_S17_EUlS16_E_NS1_11comp_targetILNS1_3genE9ELNS1_11target_archE1100ELNS1_3gpuE3ELNS1_3repE0EEENS1_30default_config_static_selectorELNS0_4arch9wavefront6targetE0EEEvT1_.has_indirect_call, 0
	.section	.AMDGPU.csdata,"",@progbits
; Kernel info:
; codeLenInByte = 0
; TotalNumSgprs: 0
; NumVgprs: 0
; ScratchSize: 0
; MemoryBound: 0
; FloatMode: 240
; IeeeMode: 1
; LDSByteSize: 0 bytes/workgroup (compile time only)
; SGPRBlocks: 0
; VGPRBlocks: 0
; NumSGPRsForWavesPerEU: 1
; NumVGPRsForWavesPerEU: 1
; Occupancy: 16
; WaveLimiterHint : 0
; COMPUTE_PGM_RSRC2:SCRATCH_EN: 0
; COMPUTE_PGM_RSRC2:USER_SGPR: 2
; COMPUTE_PGM_RSRC2:TRAP_HANDLER: 0
; COMPUTE_PGM_RSRC2:TGID_X_EN: 1
; COMPUTE_PGM_RSRC2:TGID_Y_EN: 0
; COMPUTE_PGM_RSRC2:TGID_Z_EN: 0
; COMPUTE_PGM_RSRC2:TIDIG_COMP_CNT: 0
	.section	.text._ZN7rocprim17ROCPRIM_400000_NS6detail17trampoline_kernelINS0_14default_configENS1_25partition_config_selectorILNS1_17partition_subalgoE5ExNS0_10empty_typeEbEEZZNS1_14partition_implILS5_5ELb0ES3_mN6thrust23THRUST_200600_302600_NS6detail15normal_iteratorINSA_10device_ptrIxEEEEPS6_NSA_18transform_iteratorINSB_9not_fun_tI7is_trueIxEEESF_NSA_11use_defaultESM_EENS0_5tupleIJSF_S6_EEENSO_IJSG_SG_EEES6_PlJS6_EEE10hipError_tPvRmT3_T4_T5_T6_T7_T9_mT8_P12ihipStream_tbDpT10_ENKUlT_T0_E_clISt17integral_constantIbLb0EES1A_IbLb1EEEEDaS16_S17_EUlS16_E_NS1_11comp_targetILNS1_3genE8ELNS1_11target_archE1030ELNS1_3gpuE2ELNS1_3repE0EEENS1_30default_config_static_selectorELNS0_4arch9wavefront6targetE0EEEvT1_,"axG",@progbits,_ZN7rocprim17ROCPRIM_400000_NS6detail17trampoline_kernelINS0_14default_configENS1_25partition_config_selectorILNS1_17partition_subalgoE5ExNS0_10empty_typeEbEEZZNS1_14partition_implILS5_5ELb0ES3_mN6thrust23THRUST_200600_302600_NS6detail15normal_iteratorINSA_10device_ptrIxEEEEPS6_NSA_18transform_iteratorINSB_9not_fun_tI7is_trueIxEEESF_NSA_11use_defaultESM_EENS0_5tupleIJSF_S6_EEENSO_IJSG_SG_EEES6_PlJS6_EEE10hipError_tPvRmT3_T4_T5_T6_T7_T9_mT8_P12ihipStream_tbDpT10_ENKUlT_T0_E_clISt17integral_constantIbLb0EES1A_IbLb1EEEEDaS16_S17_EUlS16_E_NS1_11comp_targetILNS1_3genE8ELNS1_11target_archE1030ELNS1_3gpuE2ELNS1_3repE0EEENS1_30default_config_static_selectorELNS0_4arch9wavefront6targetE0EEEvT1_,comdat
	.protected	_ZN7rocprim17ROCPRIM_400000_NS6detail17trampoline_kernelINS0_14default_configENS1_25partition_config_selectorILNS1_17partition_subalgoE5ExNS0_10empty_typeEbEEZZNS1_14partition_implILS5_5ELb0ES3_mN6thrust23THRUST_200600_302600_NS6detail15normal_iteratorINSA_10device_ptrIxEEEEPS6_NSA_18transform_iteratorINSB_9not_fun_tI7is_trueIxEEESF_NSA_11use_defaultESM_EENS0_5tupleIJSF_S6_EEENSO_IJSG_SG_EEES6_PlJS6_EEE10hipError_tPvRmT3_T4_T5_T6_T7_T9_mT8_P12ihipStream_tbDpT10_ENKUlT_T0_E_clISt17integral_constantIbLb0EES1A_IbLb1EEEEDaS16_S17_EUlS16_E_NS1_11comp_targetILNS1_3genE8ELNS1_11target_archE1030ELNS1_3gpuE2ELNS1_3repE0EEENS1_30default_config_static_selectorELNS0_4arch9wavefront6targetE0EEEvT1_ ; -- Begin function _ZN7rocprim17ROCPRIM_400000_NS6detail17trampoline_kernelINS0_14default_configENS1_25partition_config_selectorILNS1_17partition_subalgoE5ExNS0_10empty_typeEbEEZZNS1_14partition_implILS5_5ELb0ES3_mN6thrust23THRUST_200600_302600_NS6detail15normal_iteratorINSA_10device_ptrIxEEEEPS6_NSA_18transform_iteratorINSB_9not_fun_tI7is_trueIxEEESF_NSA_11use_defaultESM_EENS0_5tupleIJSF_S6_EEENSO_IJSG_SG_EEES6_PlJS6_EEE10hipError_tPvRmT3_T4_T5_T6_T7_T9_mT8_P12ihipStream_tbDpT10_ENKUlT_T0_E_clISt17integral_constantIbLb0EES1A_IbLb1EEEEDaS16_S17_EUlS16_E_NS1_11comp_targetILNS1_3genE8ELNS1_11target_archE1030ELNS1_3gpuE2ELNS1_3repE0EEENS1_30default_config_static_selectorELNS0_4arch9wavefront6targetE0EEEvT1_
	.globl	_ZN7rocprim17ROCPRIM_400000_NS6detail17trampoline_kernelINS0_14default_configENS1_25partition_config_selectorILNS1_17partition_subalgoE5ExNS0_10empty_typeEbEEZZNS1_14partition_implILS5_5ELb0ES3_mN6thrust23THRUST_200600_302600_NS6detail15normal_iteratorINSA_10device_ptrIxEEEEPS6_NSA_18transform_iteratorINSB_9not_fun_tI7is_trueIxEEESF_NSA_11use_defaultESM_EENS0_5tupleIJSF_S6_EEENSO_IJSG_SG_EEES6_PlJS6_EEE10hipError_tPvRmT3_T4_T5_T6_T7_T9_mT8_P12ihipStream_tbDpT10_ENKUlT_T0_E_clISt17integral_constantIbLb0EES1A_IbLb1EEEEDaS16_S17_EUlS16_E_NS1_11comp_targetILNS1_3genE8ELNS1_11target_archE1030ELNS1_3gpuE2ELNS1_3repE0EEENS1_30default_config_static_selectorELNS0_4arch9wavefront6targetE0EEEvT1_
	.p2align	8
	.type	_ZN7rocprim17ROCPRIM_400000_NS6detail17trampoline_kernelINS0_14default_configENS1_25partition_config_selectorILNS1_17partition_subalgoE5ExNS0_10empty_typeEbEEZZNS1_14partition_implILS5_5ELb0ES3_mN6thrust23THRUST_200600_302600_NS6detail15normal_iteratorINSA_10device_ptrIxEEEEPS6_NSA_18transform_iteratorINSB_9not_fun_tI7is_trueIxEEESF_NSA_11use_defaultESM_EENS0_5tupleIJSF_S6_EEENSO_IJSG_SG_EEES6_PlJS6_EEE10hipError_tPvRmT3_T4_T5_T6_T7_T9_mT8_P12ihipStream_tbDpT10_ENKUlT_T0_E_clISt17integral_constantIbLb0EES1A_IbLb1EEEEDaS16_S17_EUlS16_E_NS1_11comp_targetILNS1_3genE8ELNS1_11target_archE1030ELNS1_3gpuE2ELNS1_3repE0EEENS1_30default_config_static_selectorELNS0_4arch9wavefront6targetE0EEEvT1_,@function
_ZN7rocprim17ROCPRIM_400000_NS6detail17trampoline_kernelINS0_14default_configENS1_25partition_config_selectorILNS1_17partition_subalgoE5ExNS0_10empty_typeEbEEZZNS1_14partition_implILS5_5ELb0ES3_mN6thrust23THRUST_200600_302600_NS6detail15normal_iteratorINSA_10device_ptrIxEEEEPS6_NSA_18transform_iteratorINSB_9not_fun_tI7is_trueIxEEESF_NSA_11use_defaultESM_EENS0_5tupleIJSF_S6_EEENSO_IJSG_SG_EEES6_PlJS6_EEE10hipError_tPvRmT3_T4_T5_T6_T7_T9_mT8_P12ihipStream_tbDpT10_ENKUlT_T0_E_clISt17integral_constantIbLb0EES1A_IbLb1EEEEDaS16_S17_EUlS16_E_NS1_11comp_targetILNS1_3genE8ELNS1_11target_archE1030ELNS1_3gpuE2ELNS1_3repE0EEENS1_30default_config_static_selectorELNS0_4arch9wavefront6targetE0EEEvT1_: ; @_ZN7rocprim17ROCPRIM_400000_NS6detail17trampoline_kernelINS0_14default_configENS1_25partition_config_selectorILNS1_17partition_subalgoE5ExNS0_10empty_typeEbEEZZNS1_14partition_implILS5_5ELb0ES3_mN6thrust23THRUST_200600_302600_NS6detail15normal_iteratorINSA_10device_ptrIxEEEEPS6_NSA_18transform_iteratorINSB_9not_fun_tI7is_trueIxEEESF_NSA_11use_defaultESM_EENS0_5tupleIJSF_S6_EEENSO_IJSG_SG_EEES6_PlJS6_EEE10hipError_tPvRmT3_T4_T5_T6_T7_T9_mT8_P12ihipStream_tbDpT10_ENKUlT_T0_E_clISt17integral_constantIbLb0EES1A_IbLb1EEEEDaS16_S17_EUlS16_E_NS1_11comp_targetILNS1_3genE8ELNS1_11target_archE1030ELNS1_3gpuE2ELNS1_3repE0EEENS1_30default_config_static_selectorELNS0_4arch9wavefront6targetE0EEEvT1_
; %bb.0:
	.section	.rodata,"a",@progbits
	.p2align	6, 0x0
	.amdhsa_kernel _ZN7rocprim17ROCPRIM_400000_NS6detail17trampoline_kernelINS0_14default_configENS1_25partition_config_selectorILNS1_17partition_subalgoE5ExNS0_10empty_typeEbEEZZNS1_14partition_implILS5_5ELb0ES3_mN6thrust23THRUST_200600_302600_NS6detail15normal_iteratorINSA_10device_ptrIxEEEEPS6_NSA_18transform_iteratorINSB_9not_fun_tI7is_trueIxEEESF_NSA_11use_defaultESM_EENS0_5tupleIJSF_S6_EEENSO_IJSG_SG_EEES6_PlJS6_EEE10hipError_tPvRmT3_T4_T5_T6_T7_T9_mT8_P12ihipStream_tbDpT10_ENKUlT_T0_E_clISt17integral_constantIbLb0EES1A_IbLb1EEEEDaS16_S17_EUlS16_E_NS1_11comp_targetILNS1_3genE8ELNS1_11target_archE1030ELNS1_3gpuE2ELNS1_3repE0EEENS1_30default_config_static_selectorELNS0_4arch9wavefront6targetE0EEEvT1_
		.amdhsa_group_segment_fixed_size 0
		.amdhsa_private_segment_fixed_size 0
		.amdhsa_kernarg_size 136
		.amdhsa_user_sgpr_count 2
		.amdhsa_user_sgpr_dispatch_ptr 0
		.amdhsa_user_sgpr_queue_ptr 0
		.amdhsa_user_sgpr_kernarg_segment_ptr 1
		.amdhsa_user_sgpr_dispatch_id 0
		.amdhsa_user_sgpr_private_segment_size 0
		.amdhsa_wavefront_size32 1
		.amdhsa_uses_dynamic_stack 0
		.amdhsa_enable_private_segment 0
		.amdhsa_system_sgpr_workgroup_id_x 1
		.amdhsa_system_sgpr_workgroup_id_y 0
		.amdhsa_system_sgpr_workgroup_id_z 0
		.amdhsa_system_sgpr_workgroup_info 0
		.amdhsa_system_vgpr_workitem_id 0
		.amdhsa_next_free_vgpr 1
		.amdhsa_next_free_sgpr 1
		.amdhsa_reserve_vcc 0
		.amdhsa_float_round_mode_32 0
		.amdhsa_float_round_mode_16_64 0
		.amdhsa_float_denorm_mode_32 3
		.amdhsa_float_denorm_mode_16_64 3
		.amdhsa_fp16_overflow 0
		.amdhsa_workgroup_processor_mode 1
		.amdhsa_memory_ordered 1
		.amdhsa_forward_progress 1
		.amdhsa_inst_pref_size 0
		.amdhsa_round_robin_scheduling 0
		.amdhsa_exception_fp_ieee_invalid_op 0
		.amdhsa_exception_fp_denorm_src 0
		.amdhsa_exception_fp_ieee_div_zero 0
		.amdhsa_exception_fp_ieee_overflow 0
		.amdhsa_exception_fp_ieee_underflow 0
		.amdhsa_exception_fp_ieee_inexact 0
		.amdhsa_exception_int_div_zero 0
	.end_amdhsa_kernel
	.section	.text._ZN7rocprim17ROCPRIM_400000_NS6detail17trampoline_kernelINS0_14default_configENS1_25partition_config_selectorILNS1_17partition_subalgoE5ExNS0_10empty_typeEbEEZZNS1_14partition_implILS5_5ELb0ES3_mN6thrust23THRUST_200600_302600_NS6detail15normal_iteratorINSA_10device_ptrIxEEEEPS6_NSA_18transform_iteratorINSB_9not_fun_tI7is_trueIxEEESF_NSA_11use_defaultESM_EENS0_5tupleIJSF_S6_EEENSO_IJSG_SG_EEES6_PlJS6_EEE10hipError_tPvRmT3_T4_T5_T6_T7_T9_mT8_P12ihipStream_tbDpT10_ENKUlT_T0_E_clISt17integral_constantIbLb0EES1A_IbLb1EEEEDaS16_S17_EUlS16_E_NS1_11comp_targetILNS1_3genE8ELNS1_11target_archE1030ELNS1_3gpuE2ELNS1_3repE0EEENS1_30default_config_static_selectorELNS0_4arch9wavefront6targetE0EEEvT1_,"axG",@progbits,_ZN7rocprim17ROCPRIM_400000_NS6detail17trampoline_kernelINS0_14default_configENS1_25partition_config_selectorILNS1_17partition_subalgoE5ExNS0_10empty_typeEbEEZZNS1_14partition_implILS5_5ELb0ES3_mN6thrust23THRUST_200600_302600_NS6detail15normal_iteratorINSA_10device_ptrIxEEEEPS6_NSA_18transform_iteratorINSB_9not_fun_tI7is_trueIxEEESF_NSA_11use_defaultESM_EENS0_5tupleIJSF_S6_EEENSO_IJSG_SG_EEES6_PlJS6_EEE10hipError_tPvRmT3_T4_T5_T6_T7_T9_mT8_P12ihipStream_tbDpT10_ENKUlT_T0_E_clISt17integral_constantIbLb0EES1A_IbLb1EEEEDaS16_S17_EUlS16_E_NS1_11comp_targetILNS1_3genE8ELNS1_11target_archE1030ELNS1_3gpuE2ELNS1_3repE0EEENS1_30default_config_static_selectorELNS0_4arch9wavefront6targetE0EEEvT1_,comdat
.Lfunc_end1498:
	.size	_ZN7rocprim17ROCPRIM_400000_NS6detail17trampoline_kernelINS0_14default_configENS1_25partition_config_selectorILNS1_17partition_subalgoE5ExNS0_10empty_typeEbEEZZNS1_14partition_implILS5_5ELb0ES3_mN6thrust23THRUST_200600_302600_NS6detail15normal_iteratorINSA_10device_ptrIxEEEEPS6_NSA_18transform_iteratorINSB_9not_fun_tI7is_trueIxEEESF_NSA_11use_defaultESM_EENS0_5tupleIJSF_S6_EEENSO_IJSG_SG_EEES6_PlJS6_EEE10hipError_tPvRmT3_T4_T5_T6_T7_T9_mT8_P12ihipStream_tbDpT10_ENKUlT_T0_E_clISt17integral_constantIbLb0EES1A_IbLb1EEEEDaS16_S17_EUlS16_E_NS1_11comp_targetILNS1_3genE8ELNS1_11target_archE1030ELNS1_3gpuE2ELNS1_3repE0EEENS1_30default_config_static_selectorELNS0_4arch9wavefront6targetE0EEEvT1_, .Lfunc_end1498-_ZN7rocprim17ROCPRIM_400000_NS6detail17trampoline_kernelINS0_14default_configENS1_25partition_config_selectorILNS1_17partition_subalgoE5ExNS0_10empty_typeEbEEZZNS1_14partition_implILS5_5ELb0ES3_mN6thrust23THRUST_200600_302600_NS6detail15normal_iteratorINSA_10device_ptrIxEEEEPS6_NSA_18transform_iteratorINSB_9not_fun_tI7is_trueIxEEESF_NSA_11use_defaultESM_EENS0_5tupleIJSF_S6_EEENSO_IJSG_SG_EEES6_PlJS6_EEE10hipError_tPvRmT3_T4_T5_T6_T7_T9_mT8_P12ihipStream_tbDpT10_ENKUlT_T0_E_clISt17integral_constantIbLb0EES1A_IbLb1EEEEDaS16_S17_EUlS16_E_NS1_11comp_targetILNS1_3genE8ELNS1_11target_archE1030ELNS1_3gpuE2ELNS1_3repE0EEENS1_30default_config_static_selectorELNS0_4arch9wavefront6targetE0EEEvT1_
                                        ; -- End function
	.set _ZN7rocprim17ROCPRIM_400000_NS6detail17trampoline_kernelINS0_14default_configENS1_25partition_config_selectorILNS1_17partition_subalgoE5ExNS0_10empty_typeEbEEZZNS1_14partition_implILS5_5ELb0ES3_mN6thrust23THRUST_200600_302600_NS6detail15normal_iteratorINSA_10device_ptrIxEEEEPS6_NSA_18transform_iteratorINSB_9not_fun_tI7is_trueIxEEESF_NSA_11use_defaultESM_EENS0_5tupleIJSF_S6_EEENSO_IJSG_SG_EEES6_PlJS6_EEE10hipError_tPvRmT3_T4_T5_T6_T7_T9_mT8_P12ihipStream_tbDpT10_ENKUlT_T0_E_clISt17integral_constantIbLb0EES1A_IbLb1EEEEDaS16_S17_EUlS16_E_NS1_11comp_targetILNS1_3genE8ELNS1_11target_archE1030ELNS1_3gpuE2ELNS1_3repE0EEENS1_30default_config_static_selectorELNS0_4arch9wavefront6targetE0EEEvT1_.num_vgpr, 0
	.set _ZN7rocprim17ROCPRIM_400000_NS6detail17trampoline_kernelINS0_14default_configENS1_25partition_config_selectorILNS1_17partition_subalgoE5ExNS0_10empty_typeEbEEZZNS1_14partition_implILS5_5ELb0ES3_mN6thrust23THRUST_200600_302600_NS6detail15normal_iteratorINSA_10device_ptrIxEEEEPS6_NSA_18transform_iteratorINSB_9not_fun_tI7is_trueIxEEESF_NSA_11use_defaultESM_EENS0_5tupleIJSF_S6_EEENSO_IJSG_SG_EEES6_PlJS6_EEE10hipError_tPvRmT3_T4_T5_T6_T7_T9_mT8_P12ihipStream_tbDpT10_ENKUlT_T0_E_clISt17integral_constantIbLb0EES1A_IbLb1EEEEDaS16_S17_EUlS16_E_NS1_11comp_targetILNS1_3genE8ELNS1_11target_archE1030ELNS1_3gpuE2ELNS1_3repE0EEENS1_30default_config_static_selectorELNS0_4arch9wavefront6targetE0EEEvT1_.num_agpr, 0
	.set _ZN7rocprim17ROCPRIM_400000_NS6detail17trampoline_kernelINS0_14default_configENS1_25partition_config_selectorILNS1_17partition_subalgoE5ExNS0_10empty_typeEbEEZZNS1_14partition_implILS5_5ELb0ES3_mN6thrust23THRUST_200600_302600_NS6detail15normal_iteratorINSA_10device_ptrIxEEEEPS6_NSA_18transform_iteratorINSB_9not_fun_tI7is_trueIxEEESF_NSA_11use_defaultESM_EENS0_5tupleIJSF_S6_EEENSO_IJSG_SG_EEES6_PlJS6_EEE10hipError_tPvRmT3_T4_T5_T6_T7_T9_mT8_P12ihipStream_tbDpT10_ENKUlT_T0_E_clISt17integral_constantIbLb0EES1A_IbLb1EEEEDaS16_S17_EUlS16_E_NS1_11comp_targetILNS1_3genE8ELNS1_11target_archE1030ELNS1_3gpuE2ELNS1_3repE0EEENS1_30default_config_static_selectorELNS0_4arch9wavefront6targetE0EEEvT1_.numbered_sgpr, 0
	.set _ZN7rocprim17ROCPRIM_400000_NS6detail17trampoline_kernelINS0_14default_configENS1_25partition_config_selectorILNS1_17partition_subalgoE5ExNS0_10empty_typeEbEEZZNS1_14partition_implILS5_5ELb0ES3_mN6thrust23THRUST_200600_302600_NS6detail15normal_iteratorINSA_10device_ptrIxEEEEPS6_NSA_18transform_iteratorINSB_9not_fun_tI7is_trueIxEEESF_NSA_11use_defaultESM_EENS0_5tupleIJSF_S6_EEENSO_IJSG_SG_EEES6_PlJS6_EEE10hipError_tPvRmT3_T4_T5_T6_T7_T9_mT8_P12ihipStream_tbDpT10_ENKUlT_T0_E_clISt17integral_constantIbLb0EES1A_IbLb1EEEEDaS16_S17_EUlS16_E_NS1_11comp_targetILNS1_3genE8ELNS1_11target_archE1030ELNS1_3gpuE2ELNS1_3repE0EEENS1_30default_config_static_selectorELNS0_4arch9wavefront6targetE0EEEvT1_.num_named_barrier, 0
	.set _ZN7rocprim17ROCPRIM_400000_NS6detail17trampoline_kernelINS0_14default_configENS1_25partition_config_selectorILNS1_17partition_subalgoE5ExNS0_10empty_typeEbEEZZNS1_14partition_implILS5_5ELb0ES3_mN6thrust23THRUST_200600_302600_NS6detail15normal_iteratorINSA_10device_ptrIxEEEEPS6_NSA_18transform_iteratorINSB_9not_fun_tI7is_trueIxEEESF_NSA_11use_defaultESM_EENS0_5tupleIJSF_S6_EEENSO_IJSG_SG_EEES6_PlJS6_EEE10hipError_tPvRmT3_T4_T5_T6_T7_T9_mT8_P12ihipStream_tbDpT10_ENKUlT_T0_E_clISt17integral_constantIbLb0EES1A_IbLb1EEEEDaS16_S17_EUlS16_E_NS1_11comp_targetILNS1_3genE8ELNS1_11target_archE1030ELNS1_3gpuE2ELNS1_3repE0EEENS1_30default_config_static_selectorELNS0_4arch9wavefront6targetE0EEEvT1_.private_seg_size, 0
	.set _ZN7rocprim17ROCPRIM_400000_NS6detail17trampoline_kernelINS0_14default_configENS1_25partition_config_selectorILNS1_17partition_subalgoE5ExNS0_10empty_typeEbEEZZNS1_14partition_implILS5_5ELb0ES3_mN6thrust23THRUST_200600_302600_NS6detail15normal_iteratorINSA_10device_ptrIxEEEEPS6_NSA_18transform_iteratorINSB_9not_fun_tI7is_trueIxEEESF_NSA_11use_defaultESM_EENS0_5tupleIJSF_S6_EEENSO_IJSG_SG_EEES6_PlJS6_EEE10hipError_tPvRmT3_T4_T5_T6_T7_T9_mT8_P12ihipStream_tbDpT10_ENKUlT_T0_E_clISt17integral_constantIbLb0EES1A_IbLb1EEEEDaS16_S17_EUlS16_E_NS1_11comp_targetILNS1_3genE8ELNS1_11target_archE1030ELNS1_3gpuE2ELNS1_3repE0EEENS1_30default_config_static_selectorELNS0_4arch9wavefront6targetE0EEEvT1_.uses_vcc, 0
	.set _ZN7rocprim17ROCPRIM_400000_NS6detail17trampoline_kernelINS0_14default_configENS1_25partition_config_selectorILNS1_17partition_subalgoE5ExNS0_10empty_typeEbEEZZNS1_14partition_implILS5_5ELb0ES3_mN6thrust23THRUST_200600_302600_NS6detail15normal_iteratorINSA_10device_ptrIxEEEEPS6_NSA_18transform_iteratorINSB_9not_fun_tI7is_trueIxEEESF_NSA_11use_defaultESM_EENS0_5tupleIJSF_S6_EEENSO_IJSG_SG_EEES6_PlJS6_EEE10hipError_tPvRmT3_T4_T5_T6_T7_T9_mT8_P12ihipStream_tbDpT10_ENKUlT_T0_E_clISt17integral_constantIbLb0EES1A_IbLb1EEEEDaS16_S17_EUlS16_E_NS1_11comp_targetILNS1_3genE8ELNS1_11target_archE1030ELNS1_3gpuE2ELNS1_3repE0EEENS1_30default_config_static_selectorELNS0_4arch9wavefront6targetE0EEEvT1_.uses_flat_scratch, 0
	.set _ZN7rocprim17ROCPRIM_400000_NS6detail17trampoline_kernelINS0_14default_configENS1_25partition_config_selectorILNS1_17partition_subalgoE5ExNS0_10empty_typeEbEEZZNS1_14partition_implILS5_5ELb0ES3_mN6thrust23THRUST_200600_302600_NS6detail15normal_iteratorINSA_10device_ptrIxEEEEPS6_NSA_18transform_iteratorINSB_9not_fun_tI7is_trueIxEEESF_NSA_11use_defaultESM_EENS0_5tupleIJSF_S6_EEENSO_IJSG_SG_EEES6_PlJS6_EEE10hipError_tPvRmT3_T4_T5_T6_T7_T9_mT8_P12ihipStream_tbDpT10_ENKUlT_T0_E_clISt17integral_constantIbLb0EES1A_IbLb1EEEEDaS16_S17_EUlS16_E_NS1_11comp_targetILNS1_3genE8ELNS1_11target_archE1030ELNS1_3gpuE2ELNS1_3repE0EEENS1_30default_config_static_selectorELNS0_4arch9wavefront6targetE0EEEvT1_.has_dyn_sized_stack, 0
	.set _ZN7rocprim17ROCPRIM_400000_NS6detail17trampoline_kernelINS0_14default_configENS1_25partition_config_selectorILNS1_17partition_subalgoE5ExNS0_10empty_typeEbEEZZNS1_14partition_implILS5_5ELb0ES3_mN6thrust23THRUST_200600_302600_NS6detail15normal_iteratorINSA_10device_ptrIxEEEEPS6_NSA_18transform_iteratorINSB_9not_fun_tI7is_trueIxEEESF_NSA_11use_defaultESM_EENS0_5tupleIJSF_S6_EEENSO_IJSG_SG_EEES6_PlJS6_EEE10hipError_tPvRmT3_T4_T5_T6_T7_T9_mT8_P12ihipStream_tbDpT10_ENKUlT_T0_E_clISt17integral_constantIbLb0EES1A_IbLb1EEEEDaS16_S17_EUlS16_E_NS1_11comp_targetILNS1_3genE8ELNS1_11target_archE1030ELNS1_3gpuE2ELNS1_3repE0EEENS1_30default_config_static_selectorELNS0_4arch9wavefront6targetE0EEEvT1_.has_recursion, 0
	.set _ZN7rocprim17ROCPRIM_400000_NS6detail17trampoline_kernelINS0_14default_configENS1_25partition_config_selectorILNS1_17partition_subalgoE5ExNS0_10empty_typeEbEEZZNS1_14partition_implILS5_5ELb0ES3_mN6thrust23THRUST_200600_302600_NS6detail15normal_iteratorINSA_10device_ptrIxEEEEPS6_NSA_18transform_iteratorINSB_9not_fun_tI7is_trueIxEEESF_NSA_11use_defaultESM_EENS0_5tupleIJSF_S6_EEENSO_IJSG_SG_EEES6_PlJS6_EEE10hipError_tPvRmT3_T4_T5_T6_T7_T9_mT8_P12ihipStream_tbDpT10_ENKUlT_T0_E_clISt17integral_constantIbLb0EES1A_IbLb1EEEEDaS16_S17_EUlS16_E_NS1_11comp_targetILNS1_3genE8ELNS1_11target_archE1030ELNS1_3gpuE2ELNS1_3repE0EEENS1_30default_config_static_selectorELNS0_4arch9wavefront6targetE0EEEvT1_.has_indirect_call, 0
	.section	.AMDGPU.csdata,"",@progbits
; Kernel info:
; codeLenInByte = 0
; TotalNumSgprs: 0
; NumVgprs: 0
; ScratchSize: 0
; MemoryBound: 0
; FloatMode: 240
; IeeeMode: 1
; LDSByteSize: 0 bytes/workgroup (compile time only)
; SGPRBlocks: 0
; VGPRBlocks: 0
; NumSGPRsForWavesPerEU: 1
; NumVGPRsForWavesPerEU: 1
; Occupancy: 16
; WaveLimiterHint : 0
; COMPUTE_PGM_RSRC2:SCRATCH_EN: 0
; COMPUTE_PGM_RSRC2:USER_SGPR: 2
; COMPUTE_PGM_RSRC2:TRAP_HANDLER: 0
; COMPUTE_PGM_RSRC2:TGID_X_EN: 1
; COMPUTE_PGM_RSRC2:TGID_Y_EN: 0
; COMPUTE_PGM_RSRC2:TGID_Z_EN: 0
; COMPUTE_PGM_RSRC2:TIDIG_COMP_CNT: 0
	.section	.text._ZN6thrust23THRUST_200600_302600_NS11hip_rocprim14__parallel_for6kernelILj256ENS1_11__transform17unary_transform_fINS0_7pointerIbNS1_3tagENS0_11use_defaultES8_EENS0_10device_ptrIiEENS4_14no_stencil_tagENS0_8identityIbEENS4_21always_true_predicateEEElLj1EEEvT0_T1_SI_,"axG",@progbits,_ZN6thrust23THRUST_200600_302600_NS11hip_rocprim14__parallel_for6kernelILj256ENS1_11__transform17unary_transform_fINS0_7pointerIbNS1_3tagENS0_11use_defaultES8_EENS0_10device_ptrIiEENS4_14no_stencil_tagENS0_8identityIbEENS4_21always_true_predicateEEElLj1EEEvT0_T1_SI_,comdat
	.protected	_ZN6thrust23THRUST_200600_302600_NS11hip_rocprim14__parallel_for6kernelILj256ENS1_11__transform17unary_transform_fINS0_7pointerIbNS1_3tagENS0_11use_defaultES8_EENS0_10device_ptrIiEENS4_14no_stencil_tagENS0_8identityIbEENS4_21always_true_predicateEEElLj1EEEvT0_T1_SI_ ; -- Begin function _ZN6thrust23THRUST_200600_302600_NS11hip_rocprim14__parallel_for6kernelILj256ENS1_11__transform17unary_transform_fINS0_7pointerIbNS1_3tagENS0_11use_defaultES8_EENS0_10device_ptrIiEENS4_14no_stencil_tagENS0_8identityIbEENS4_21always_true_predicateEEElLj1EEEvT0_T1_SI_
	.globl	_ZN6thrust23THRUST_200600_302600_NS11hip_rocprim14__parallel_for6kernelILj256ENS1_11__transform17unary_transform_fINS0_7pointerIbNS1_3tagENS0_11use_defaultES8_EENS0_10device_ptrIiEENS4_14no_stencil_tagENS0_8identityIbEENS4_21always_true_predicateEEElLj1EEEvT0_T1_SI_
	.p2align	8
	.type	_ZN6thrust23THRUST_200600_302600_NS11hip_rocprim14__parallel_for6kernelILj256ENS1_11__transform17unary_transform_fINS0_7pointerIbNS1_3tagENS0_11use_defaultES8_EENS0_10device_ptrIiEENS4_14no_stencil_tagENS0_8identityIbEENS4_21always_true_predicateEEElLj1EEEvT0_T1_SI_,@function
_ZN6thrust23THRUST_200600_302600_NS11hip_rocprim14__parallel_for6kernelILj256ENS1_11__transform17unary_transform_fINS0_7pointerIbNS1_3tagENS0_11use_defaultES8_EENS0_10device_ptrIiEENS4_14no_stencil_tagENS0_8identityIbEENS4_21always_true_predicateEEElLj1EEEvT0_T1_SI_: ; @_ZN6thrust23THRUST_200600_302600_NS11hip_rocprim14__parallel_for6kernelILj256ENS1_11__transform17unary_transform_fINS0_7pointerIbNS1_3tagENS0_11use_defaultES8_EENS0_10device_ptrIiEENS4_14no_stencil_tagENS0_8identityIbEENS4_21always_true_predicateEEElLj1EEEvT0_T1_SI_
; %bb.0:
	s_clause 0x1
	s_load_b128 s[8:11], s[0:1], 0x18
	s_load_b128 s[0:3], s[0:1], 0x0
	s_lshl_b32 s4, ttmp9, 8
	s_mov_b32 s5, 0
	s_wait_kmcnt 0x0
	s_add_nc_u64 s[4:5], s[10:11], s[4:5]
	s_delay_alu instid0(SALU_CYCLE_1) | instskip(NEXT) | instid1(SALU_CYCLE_1)
	s_sub_nc_u64 s[6:7], s[8:9], s[4:5]
	v_cmp_gt_i64_e64 s7, 0x100, s[6:7]
	s_and_b32 s7, s7, exec_lo
	s_cselect_b32 s7, s6, 0x100
	s_mov_b32 s6, -1
	s_wait_alu 0xfffe
	s_cmp_eq_u32 s7, 0x100
	s_cbranch_scc0 .LBB1499_3
; %bb.1:
	s_and_not1_b32 vcc_lo, exec_lo, s6
	s_cbranch_vccz .LBB1499_6
.LBB1499_2:
	s_endpgm
.LBB1499_3:
	s_mov_b32 s6, exec_lo
	v_cmpx_gt_u32_e64 s7, v0
	s_cbranch_execz .LBB1499_5
; %bb.4:
	v_add_co_u32 v1, s7, s4, v0
	s_wait_alu 0xf1ff
	v_add_co_ci_u32_e64 v2, null, s5, 0, s7
	s_delay_alu instid0(VALU_DEP_2) | instskip(NEXT) | instid1(VALU_DEP_1)
	v_add_co_u32 v3, vcc_lo, s0, v1
	v_add_co_ci_u32_e64 v4, null, s1, v2, vcc_lo
	v_lshlrev_b64_e32 v[1:2], 2, v[1:2]
	flat_load_u8 v3, v[3:4]
	v_add_co_u32 v1, vcc_lo, s2, v1
	s_wait_alu 0xfffd
	v_add_co_ci_u32_e64 v2, null, s3, v2, vcc_lo
	s_wait_loadcnt_dscnt 0x0
	flat_store_b32 v[1:2], v3
.LBB1499_5:
	s_wait_alu 0xfffe
	s_or_b32 exec_lo, exec_lo, s6
	s_cbranch_execnz .LBB1499_2
.LBB1499_6:
	v_add_co_u32 v0, s4, s4, v0
	s_wait_alu 0xf1ff
	v_add_co_ci_u32_e64 v1, null, s5, 0, s4
	s_delay_alu instid0(VALU_DEP_2) | instskip(SKIP_1) | instid1(VALU_DEP_2)
	v_add_co_u32 v2, vcc_lo, s0, v0
	s_wait_alu 0xfffd
	v_add_co_ci_u32_e64 v3, null, s1, v1, vcc_lo
	v_lshlrev_b64_e32 v[0:1], 2, v[0:1]
	flat_load_u8 v2, v[2:3]
	v_add_co_u32 v0, vcc_lo, s2, v0
	s_wait_alu 0xfffd
	v_add_co_ci_u32_e64 v1, null, s3, v1, vcc_lo
	s_wait_loadcnt_dscnt 0x0
	flat_store_b32 v[0:1], v2
	s_endpgm
	.section	.rodata,"a",@progbits
	.p2align	6, 0x0
	.amdhsa_kernel _ZN6thrust23THRUST_200600_302600_NS11hip_rocprim14__parallel_for6kernelILj256ENS1_11__transform17unary_transform_fINS0_7pointerIbNS1_3tagENS0_11use_defaultES8_EENS0_10device_ptrIiEENS4_14no_stencil_tagENS0_8identityIbEENS4_21always_true_predicateEEElLj1EEEvT0_T1_SI_
		.amdhsa_group_segment_fixed_size 0
		.amdhsa_private_segment_fixed_size 0
		.amdhsa_kernarg_size 40
		.amdhsa_user_sgpr_count 2
		.amdhsa_user_sgpr_dispatch_ptr 0
		.amdhsa_user_sgpr_queue_ptr 0
		.amdhsa_user_sgpr_kernarg_segment_ptr 1
		.amdhsa_user_sgpr_dispatch_id 0
		.amdhsa_user_sgpr_private_segment_size 0
		.amdhsa_wavefront_size32 1
		.amdhsa_uses_dynamic_stack 0
		.amdhsa_enable_private_segment 0
		.amdhsa_system_sgpr_workgroup_id_x 1
		.amdhsa_system_sgpr_workgroup_id_y 0
		.amdhsa_system_sgpr_workgroup_id_z 0
		.amdhsa_system_sgpr_workgroup_info 0
		.amdhsa_system_vgpr_workitem_id 0
		.amdhsa_next_free_vgpr 5
		.amdhsa_next_free_sgpr 12
		.amdhsa_reserve_vcc 1
		.amdhsa_float_round_mode_32 0
		.amdhsa_float_round_mode_16_64 0
		.amdhsa_float_denorm_mode_32 3
		.amdhsa_float_denorm_mode_16_64 3
		.amdhsa_fp16_overflow 0
		.amdhsa_workgroup_processor_mode 1
		.amdhsa_memory_ordered 1
		.amdhsa_forward_progress 1
		.amdhsa_inst_pref_size 3
		.amdhsa_round_robin_scheduling 0
		.amdhsa_exception_fp_ieee_invalid_op 0
		.amdhsa_exception_fp_denorm_src 0
		.amdhsa_exception_fp_ieee_div_zero 0
		.amdhsa_exception_fp_ieee_overflow 0
		.amdhsa_exception_fp_ieee_underflow 0
		.amdhsa_exception_fp_ieee_inexact 0
		.amdhsa_exception_int_div_zero 0
	.end_amdhsa_kernel
	.section	.text._ZN6thrust23THRUST_200600_302600_NS11hip_rocprim14__parallel_for6kernelILj256ENS1_11__transform17unary_transform_fINS0_7pointerIbNS1_3tagENS0_11use_defaultES8_EENS0_10device_ptrIiEENS4_14no_stencil_tagENS0_8identityIbEENS4_21always_true_predicateEEElLj1EEEvT0_T1_SI_,"axG",@progbits,_ZN6thrust23THRUST_200600_302600_NS11hip_rocprim14__parallel_for6kernelILj256ENS1_11__transform17unary_transform_fINS0_7pointerIbNS1_3tagENS0_11use_defaultES8_EENS0_10device_ptrIiEENS4_14no_stencil_tagENS0_8identityIbEENS4_21always_true_predicateEEElLj1EEEvT0_T1_SI_,comdat
.Lfunc_end1499:
	.size	_ZN6thrust23THRUST_200600_302600_NS11hip_rocprim14__parallel_for6kernelILj256ENS1_11__transform17unary_transform_fINS0_7pointerIbNS1_3tagENS0_11use_defaultES8_EENS0_10device_ptrIiEENS4_14no_stencil_tagENS0_8identityIbEENS4_21always_true_predicateEEElLj1EEEvT0_T1_SI_, .Lfunc_end1499-_ZN6thrust23THRUST_200600_302600_NS11hip_rocprim14__parallel_for6kernelILj256ENS1_11__transform17unary_transform_fINS0_7pointerIbNS1_3tagENS0_11use_defaultES8_EENS0_10device_ptrIiEENS4_14no_stencil_tagENS0_8identityIbEENS4_21always_true_predicateEEElLj1EEEvT0_T1_SI_
                                        ; -- End function
	.set _ZN6thrust23THRUST_200600_302600_NS11hip_rocprim14__parallel_for6kernelILj256ENS1_11__transform17unary_transform_fINS0_7pointerIbNS1_3tagENS0_11use_defaultES8_EENS0_10device_ptrIiEENS4_14no_stencil_tagENS0_8identityIbEENS4_21always_true_predicateEEElLj1EEEvT0_T1_SI_.num_vgpr, 5
	.set _ZN6thrust23THRUST_200600_302600_NS11hip_rocprim14__parallel_for6kernelILj256ENS1_11__transform17unary_transform_fINS0_7pointerIbNS1_3tagENS0_11use_defaultES8_EENS0_10device_ptrIiEENS4_14no_stencil_tagENS0_8identityIbEENS4_21always_true_predicateEEElLj1EEEvT0_T1_SI_.num_agpr, 0
	.set _ZN6thrust23THRUST_200600_302600_NS11hip_rocprim14__parallel_for6kernelILj256ENS1_11__transform17unary_transform_fINS0_7pointerIbNS1_3tagENS0_11use_defaultES8_EENS0_10device_ptrIiEENS4_14no_stencil_tagENS0_8identityIbEENS4_21always_true_predicateEEElLj1EEEvT0_T1_SI_.numbered_sgpr, 12
	.set _ZN6thrust23THRUST_200600_302600_NS11hip_rocprim14__parallel_for6kernelILj256ENS1_11__transform17unary_transform_fINS0_7pointerIbNS1_3tagENS0_11use_defaultES8_EENS0_10device_ptrIiEENS4_14no_stencil_tagENS0_8identityIbEENS4_21always_true_predicateEEElLj1EEEvT0_T1_SI_.num_named_barrier, 0
	.set _ZN6thrust23THRUST_200600_302600_NS11hip_rocprim14__parallel_for6kernelILj256ENS1_11__transform17unary_transform_fINS0_7pointerIbNS1_3tagENS0_11use_defaultES8_EENS0_10device_ptrIiEENS4_14no_stencil_tagENS0_8identityIbEENS4_21always_true_predicateEEElLj1EEEvT0_T1_SI_.private_seg_size, 0
	.set _ZN6thrust23THRUST_200600_302600_NS11hip_rocprim14__parallel_for6kernelILj256ENS1_11__transform17unary_transform_fINS0_7pointerIbNS1_3tagENS0_11use_defaultES8_EENS0_10device_ptrIiEENS4_14no_stencil_tagENS0_8identityIbEENS4_21always_true_predicateEEElLj1EEEvT0_T1_SI_.uses_vcc, 1
	.set _ZN6thrust23THRUST_200600_302600_NS11hip_rocprim14__parallel_for6kernelILj256ENS1_11__transform17unary_transform_fINS0_7pointerIbNS1_3tagENS0_11use_defaultES8_EENS0_10device_ptrIiEENS4_14no_stencil_tagENS0_8identityIbEENS4_21always_true_predicateEEElLj1EEEvT0_T1_SI_.uses_flat_scratch, 0
	.set _ZN6thrust23THRUST_200600_302600_NS11hip_rocprim14__parallel_for6kernelILj256ENS1_11__transform17unary_transform_fINS0_7pointerIbNS1_3tagENS0_11use_defaultES8_EENS0_10device_ptrIiEENS4_14no_stencil_tagENS0_8identityIbEENS4_21always_true_predicateEEElLj1EEEvT0_T1_SI_.has_dyn_sized_stack, 0
	.set _ZN6thrust23THRUST_200600_302600_NS11hip_rocprim14__parallel_for6kernelILj256ENS1_11__transform17unary_transform_fINS0_7pointerIbNS1_3tagENS0_11use_defaultES8_EENS0_10device_ptrIiEENS4_14no_stencil_tagENS0_8identityIbEENS4_21always_true_predicateEEElLj1EEEvT0_T1_SI_.has_recursion, 0
	.set _ZN6thrust23THRUST_200600_302600_NS11hip_rocprim14__parallel_for6kernelILj256ENS1_11__transform17unary_transform_fINS0_7pointerIbNS1_3tagENS0_11use_defaultES8_EENS0_10device_ptrIiEENS4_14no_stencil_tagENS0_8identityIbEENS4_21always_true_predicateEEElLj1EEEvT0_T1_SI_.has_indirect_call, 0
	.section	.AMDGPU.csdata,"",@progbits
; Kernel info:
; codeLenInByte = 320
; TotalNumSgprs: 14
; NumVgprs: 5
; ScratchSize: 0
; MemoryBound: 0
; FloatMode: 240
; IeeeMode: 1
; LDSByteSize: 0 bytes/workgroup (compile time only)
; SGPRBlocks: 0
; VGPRBlocks: 0
; NumSGPRsForWavesPerEU: 14
; NumVGPRsForWavesPerEU: 5
; Occupancy: 16
; WaveLimiterHint : 0
; COMPUTE_PGM_RSRC2:SCRATCH_EN: 0
; COMPUTE_PGM_RSRC2:USER_SGPR: 2
; COMPUTE_PGM_RSRC2:TRAP_HANDLER: 0
; COMPUTE_PGM_RSRC2:TGID_X_EN: 1
; COMPUTE_PGM_RSRC2:TGID_Y_EN: 0
; COMPUTE_PGM_RSRC2:TGID_Z_EN: 0
; COMPUTE_PGM_RSRC2:TIDIG_COMP_CNT: 0
	.section	.text._ZN7rocprim17ROCPRIM_400000_NS6detail17trampoline_kernelINS0_14default_configENS1_25partition_config_selectorILNS1_17partition_subalgoE5EiNS0_10empty_typeEbEEZZNS1_14partition_implILS5_5ELb0ES3_mN6thrust23THRUST_200600_302600_NS6detail15normal_iteratorINSA_10device_ptrIiEEEEPS6_NSA_18transform_iteratorINSB_9not_fun_tI7is_trueIiEEESF_NSA_11use_defaultESM_EENS0_5tupleIJSF_S6_EEENSO_IJSG_SG_EEES6_PlJS6_EEE10hipError_tPvRmT3_T4_T5_T6_T7_T9_mT8_P12ihipStream_tbDpT10_ENKUlT_T0_E_clISt17integral_constantIbLb0EES1B_EEDaS16_S17_EUlS16_E_NS1_11comp_targetILNS1_3genE0ELNS1_11target_archE4294967295ELNS1_3gpuE0ELNS1_3repE0EEENS1_30default_config_static_selectorELNS0_4arch9wavefront6targetE0EEEvT1_,"axG",@progbits,_ZN7rocprim17ROCPRIM_400000_NS6detail17trampoline_kernelINS0_14default_configENS1_25partition_config_selectorILNS1_17partition_subalgoE5EiNS0_10empty_typeEbEEZZNS1_14partition_implILS5_5ELb0ES3_mN6thrust23THRUST_200600_302600_NS6detail15normal_iteratorINSA_10device_ptrIiEEEEPS6_NSA_18transform_iteratorINSB_9not_fun_tI7is_trueIiEEESF_NSA_11use_defaultESM_EENS0_5tupleIJSF_S6_EEENSO_IJSG_SG_EEES6_PlJS6_EEE10hipError_tPvRmT3_T4_T5_T6_T7_T9_mT8_P12ihipStream_tbDpT10_ENKUlT_T0_E_clISt17integral_constantIbLb0EES1B_EEDaS16_S17_EUlS16_E_NS1_11comp_targetILNS1_3genE0ELNS1_11target_archE4294967295ELNS1_3gpuE0ELNS1_3repE0EEENS1_30default_config_static_selectorELNS0_4arch9wavefront6targetE0EEEvT1_,comdat
	.protected	_ZN7rocprim17ROCPRIM_400000_NS6detail17trampoline_kernelINS0_14default_configENS1_25partition_config_selectorILNS1_17partition_subalgoE5EiNS0_10empty_typeEbEEZZNS1_14partition_implILS5_5ELb0ES3_mN6thrust23THRUST_200600_302600_NS6detail15normal_iteratorINSA_10device_ptrIiEEEEPS6_NSA_18transform_iteratorINSB_9not_fun_tI7is_trueIiEEESF_NSA_11use_defaultESM_EENS0_5tupleIJSF_S6_EEENSO_IJSG_SG_EEES6_PlJS6_EEE10hipError_tPvRmT3_T4_T5_T6_T7_T9_mT8_P12ihipStream_tbDpT10_ENKUlT_T0_E_clISt17integral_constantIbLb0EES1B_EEDaS16_S17_EUlS16_E_NS1_11comp_targetILNS1_3genE0ELNS1_11target_archE4294967295ELNS1_3gpuE0ELNS1_3repE0EEENS1_30default_config_static_selectorELNS0_4arch9wavefront6targetE0EEEvT1_ ; -- Begin function _ZN7rocprim17ROCPRIM_400000_NS6detail17trampoline_kernelINS0_14default_configENS1_25partition_config_selectorILNS1_17partition_subalgoE5EiNS0_10empty_typeEbEEZZNS1_14partition_implILS5_5ELb0ES3_mN6thrust23THRUST_200600_302600_NS6detail15normal_iteratorINSA_10device_ptrIiEEEEPS6_NSA_18transform_iteratorINSB_9not_fun_tI7is_trueIiEEESF_NSA_11use_defaultESM_EENS0_5tupleIJSF_S6_EEENSO_IJSG_SG_EEES6_PlJS6_EEE10hipError_tPvRmT3_T4_T5_T6_T7_T9_mT8_P12ihipStream_tbDpT10_ENKUlT_T0_E_clISt17integral_constantIbLb0EES1B_EEDaS16_S17_EUlS16_E_NS1_11comp_targetILNS1_3genE0ELNS1_11target_archE4294967295ELNS1_3gpuE0ELNS1_3repE0EEENS1_30default_config_static_selectorELNS0_4arch9wavefront6targetE0EEEvT1_
	.globl	_ZN7rocprim17ROCPRIM_400000_NS6detail17trampoline_kernelINS0_14default_configENS1_25partition_config_selectorILNS1_17partition_subalgoE5EiNS0_10empty_typeEbEEZZNS1_14partition_implILS5_5ELb0ES3_mN6thrust23THRUST_200600_302600_NS6detail15normal_iteratorINSA_10device_ptrIiEEEEPS6_NSA_18transform_iteratorINSB_9not_fun_tI7is_trueIiEEESF_NSA_11use_defaultESM_EENS0_5tupleIJSF_S6_EEENSO_IJSG_SG_EEES6_PlJS6_EEE10hipError_tPvRmT3_T4_T5_T6_T7_T9_mT8_P12ihipStream_tbDpT10_ENKUlT_T0_E_clISt17integral_constantIbLb0EES1B_EEDaS16_S17_EUlS16_E_NS1_11comp_targetILNS1_3genE0ELNS1_11target_archE4294967295ELNS1_3gpuE0ELNS1_3repE0EEENS1_30default_config_static_selectorELNS0_4arch9wavefront6targetE0EEEvT1_
	.p2align	8
	.type	_ZN7rocprim17ROCPRIM_400000_NS6detail17trampoline_kernelINS0_14default_configENS1_25partition_config_selectorILNS1_17partition_subalgoE5EiNS0_10empty_typeEbEEZZNS1_14partition_implILS5_5ELb0ES3_mN6thrust23THRUST_200600_302600_NS6detail15normal_iteratorINSA_10device_ptrIiEEEEPS6_NSA_18transform_iteratorINSB_9not_fun_tI7is_trueIiEEESF_NSA_11use_defaultESM_EENS0_5tupleIJSF_S6_EEENSO_IJSG_SG_EEES6_PlJS6_EEE10hipError_tPvRmT3_T4_T5_T6_T7_T9_mT8_P12ihipStream_tbDpT10_ENKUlT_T0_E_clISt17integral_constantIbLb0EES1B_EEDaS16_S17_EUlS16_E_NS1_11comp_targetILNS1_3genE0ELNS1_11target_archE4294967295ELNS1_3gpuE0ELNS1_3repE0EEENS1_30default_config_static_selectorELNS0_4arch9wavefront6targetE0EEEvT1_,@function
_ZN7rocprim17ROCPRIM_400000_NS6detail17trampoline_kernelINS0_14default_configENS1_25partition_config_selectorILNS1_17partition_subalgoE5EiNS0_10empty_typeEbEEZZNS1_14partition_implILS5_5ELb0ES3_mN6thrust23THRUST_200600_302600_NS6detail15normal_iteratorINSA_10device_ptrIiEEEEPS6_NSA_18transform_iteratorINSB_9not_fun_tI7is_trueIiEEESF_NSA_11use_defaultESM_EENS0_5tupleIJSF_S6_EEENSO_IJSG_SG_EEES6_PlJS6_EEE10hipError_tPvRmT3_T4_T5_T6_T7_T9_mT8_P12ihipStream_tbDpT10_ENKUlT_T0_E_clISt17integral_constantIbLb0EES1B_EEDaS16_S17_EUlS16_E_NS1_11comp_targetILNS1_3genE0ELNS1_11target_archE4294967295ELNS1_3gpuE0ELNS1_3repE0EEENS1_30default_config_static_selectorELNS0_4arch9wavefront6targetE0EEEvT1_: ; @_ZN7rocprim17ROCPRIM_400000_NS6detail17trampoline_kernelINS0_14default_configENS1_25partition_config_selectorILNS1_17partition_subalgoE5EiNS0_10empty_typeEbEEZZNS1_14partition_implILS5_5ELb0ES3_mN6thrust23THRUST_200600_302600_NS6detail15normal_iteratorINSA_10device_ptrIiEEEEPS6_NSA_18transform_iteratorINSB_9not_fun_tI7is_trueIiEEESF_NSA_11use_defaultESM_EENS0_5tupleIJSF_S6_EEENSO_IJSG_SG_EEES6_PlJS6_EEE10hipError_tPvRmT3_T4_T5_T6_T7_T9_mT8_P12ihipStream_tbDpT10_ENKUlT_T0_E_clISt17integral_constantIbLb0EES1B_EEDaS16_S17_EUlS16_E_NS1_11comp_targetILNS1_3genE0ELNS1_11target_archE4294967295ELNS1_3gpuE0ELNS1_3repE0EEENS1_30default_config_static_selectorELNS0_4arch9wavefront6targetE0EEEvT1_
; %bb.0:
	.section	.rodata,"a",@progbits
	.p2align	6, 0x0
	.amdhsa_kernel _ZN7rocprim17ROCPRIM_400000_NS6detail17trampoline_kernelINS0_14default_configENS1_25partition_config_selectorILNS1_17partition_subalgoE5EiNS0_10empty_typeEbEEZZNS1_14partition_implILS5_5ELb0ES3_mN6thrust23THRUST_200600_302600_NS6detail15normal_iteratorINSA_10device_ptrIiEEEEPS6_NSA_18transform_iteratorINSB_9not_fun_tI7is_trueIiEEESF_NSA_11use_defaultESM_EENS0_5tupleIJSF_S6_EEENSO_IJSG_SG_EEES6_PlJS6_EEE10hipError_tPvRmT3_T4_T5_T6_T7_T9_mT8_P12ihipStream_tbDpT10_ENKUlT_T0_E_clISt17integral_constantIbLb0EES1B_EEDaS16_S17_EUlS16_E_NS1_11comp_targetILNS1_3genE0ELNS1_11target_archE4294967295ELNS1_3gpuE0ELNS1_3repE0EEENS1_30default_config_static_selectorELNS0_4arch9wavefront6targetE0EEEvT1_
		.amdhsa_group_segment_fixed_size 0
		.amdhsa_private_segment_fixed_size 0
		.amdhsa_kernarg_size 120
		.amdhsa_user_sgpr_count 2
		.amdhsa_user_sgpr_dispatch_ptr 0
		.amdhsa_user_sgpr_queue_ptr 0
		.amdhsa_user_sgpr_kernarg_segment_ptr 1
		.amdhsa_user_sgpr_dispatch_id 0
		.amdhsa_user_sgpr_private_segment_size 0
		.amdhsa_wavefront_size32 1
		.amdhsa_uses_dynamic_stack 0
		.amdhsa_enable_private_segment 0
		.amdhsa_system_sgpr_workgroup_id_x 1
		.amdhsa_system_sgpr_workgroup_id_y 0
		.amdhsa_system_sgpr_workgroup_id_z 0
		.amdhsa_system_sgpr_workgroup_info 0
		.amdhsa_system_vgpr_workitem_id 0
		.amdhsa_next_free_vgpr 1
		.amdhsa_next_free_sgpr 1
		.amdhsa_reserve_vcc 0
		.amdhsa_float_round_mode_32 0
		.amdhsa_float_round_mode_16_64 0
		.amdhsa_float_denorm_mode_32 3
		.amdhsa_float_denorm_mode_16_64 3
		.amdhsa_fp16_overflow 0
		.amdhsa_workgroup_processor_mode 1
		.amdhsa_memory_ordered 1
		.amdhsa_forward_progress 1
		.amdhsa_inst_pref_size 0
		.amdhsa_round_robin_scheduling 0
		.amdhsa_exception_fp_ieee_invalid_op 0
		.amdhsa_exception_fp_denorm_src 0
		.amdhsa_exception_fp_ieee_div_zero 0
		.amdhsa_exception_fp_ieee_overflow 0
		.amdhsa_exception_fp_ieee_underflow 0
		.amdhsa_exception_fp_ieee_inexact 0
		.amdhsa_exception_int_div_zero 0
	.end_amdhsa_kernel
	.section	.text._ZN7rocprim17ROCPRIM_400000_NS6detail17trampoline_kernelINS0_14default_configENS1_25partition_config_selectorILNS1_17partition_subalgoE5EiNS0_10empty_typeEbEEZZNS1_14partition_implILS5_5ELb0ES3_mN6thrust23THRUST_200600_302600_NS6detail15normal_iteratorINSA_10device_ptrIiEEEEPS6_NSA_18transform_iteratorINSB_9not_fun_tI7is_trueIiEEESF_NSA_11use_defaultESM_EENS0_5tupleIJSF_S6_EEENSO_IJSG_SG_EEES6_PlJS6_EEE10hipError_tPvRmT3_T4_T5_T6_T7_T9_mT8_P12ihipStream_tbDpT10_ENKUlT_T0_E_clISt17integral_constantIbLb0EES1B_EEDaS16_S17_EUlS16_E_NS1_11comp_targetILNS1_3genE0ELNS1_11target_archE4294967295ELNS1_3gpuE0ELNS1_3repE0EEENS1_30default_config_static_selectorELNS0_4arch9wavefront6targetE0EEEvT1_,"axG",@progbits,_ZN7rocprim17ROCPRIM_400000_NS6detail17trampoline_kernelINS0_14default_configENS1_25partition_config_selectorILNS1_17partition_subalgoE5EiNS0_10empty_typeEbEEZZNS1_14partition_implILS5_5ELb0ES3_mN6thrust23THRUST_200600_302600_NS6detail15normal_iteratorINSA_10device_ptrIiEEEEPS6_NSA_18transform_iteratorINSB_9not_fun_tI7is_trueIiEEESF_NSA_11use_defaultESM_EENS0_5tupleIJSF_S6_EEENSO_IJSG_SG_EEES6_PlJS6_EEE10hipError_tPvRmT3_T4_T5_T6_T7_T9_mT8_P12ihipStream_tbDpT10_ENKUlT_T0_E_clISt17integral_constantIbLb0EES1B_EEDaS16_S17_EUlS16_E_NS1_11comp_targetILNS1_3genE0ELNS1_11target_archE4294967295ELNS1_3gpuE0ELNS1_3repE0EEENS1_30default_config_static_selectorELNS0_4arch9wavefront6targetE0EEEvT1_,comdat
.Lfunc_end1500:
	.size	_ZN7rocprim17ROCPRIM_400000_NS6detail17trampoline_kernelINS0_14default_configENS1_25partition_config_selectorILNS1_17partition_subalgoE5EiNS0_10empty_typeEbEEZZNS1_14partition_implILS5_5ELb0ES3_mN6thrust23THRUST_200600_302600_NS6detail15normal_iteratorINSA_10device_ptrIiEEEEPS6_NSA_18transform_iteratorINSB_9not_fun_tI7is_trueIiEEESF_NSA_11use_defaultESM_EENS0_5tupleIJSF_S6_EEENSO_IJSG_SG_EEES6_PlJS6_EEE10hipError_tPvRmT3_T4_T5_T6_T7_T9_mT8_P12ihipStream_tbDpT10_ENKUlT_T0_E_clISt17integral_constantIbLb0EES1B_EEDaS16_S17_EUlS16_E_NS1_11comp_targetILNS1_3genE0ELNS1_11target_archE4294967295ELNS1_3gpuE0ELNS1_3repE0EEENS1_30default_config_static_selectorELNS0_4arch9wavefront6targetE0EEEvT1_, .Lfunc_end1500-_ZN7rocprim17ROCPRIM_400000_NS6detail17trampoline_kernelINS0_14default_configENS1_25partition_config_selectorILNS1_17partition_subalgoE5EiNS0_10empty_typeEbEEZZNS1_14partition_implILS5_5ELb0ES3_mN6thrust23THRUST_200600_302600_NS6detail15normal_iteratorINSA_10device_ptrIiEEEEPS6_NSA_18transform_iteratorINSB_9not_fun_tI7is_trueIiEEESF_NSA_11use_defaultESM_EENS0_5tupleIJSF_S6_EEENSO_IJSG_SG_EEES6_PlJS6_EEE10hipError_tPvRmT3_T4_T5_T6_T7_T9_mT8_P12ihipStream_tbDpT10_ENKUlT_T0_E_clISt17integral_constantIbLb0EES1B_EEDaS16_S17_EUlS16_E_NS1_11comp_targetILNS1_3genE0ELNS1_11target_archE4294967295ELNS1_3gpuE0ELNS1_3repE0EEENS1_30default_config_static_selectorELNS0_4arch9wavefront6targetE0EEEvT1_
                                        ; -- End function
	.set _ZN7rocprim17ROCPRIM_400000_NS6detail17trampoline_kernelINS0_14default_configENS1_25partition_config_selectorILNS1_17partition_subalgoE5EiNS0_10empty_typeEbEEZZNS1_14partition_implILS5_5ELb0ES3_mN6thrust23THRUST_200600_302600_NS6detail15normal_iteratorINSA_10device_ptrIiEEEEPS6_NSA_18transform_iteratorINSB_9not_fun_tI7is_trueIiEEESF_NSA_11use_defaultESM_EENS0_5tupleIJSF_S6_EEENSO_IJSG_SG_EEES6_PlJS6_EEE10hipError_tPvRmT3_T4_T5_T6_T7_T9_mT8_P12ihipStream_tbDpT10_ENKUlT_T0_E_clISt17integral_constantIbLb0EES1B_EEDaS16_S17_EUlS16_E_NS1_11comp_targetILNS1_3genE0ELNS1_11target_archE4294967295ELNS1_3gpuE0ELNS1_3repE0EEENS1_30default_config_static_selectorELNS0_4arch9wavefront6targetE0EEEvT1_.num_vgpr, 0
	.set _ZN7rocprim17ROCPRIM_400000_NS6detail17trampoline_kernelINS0_14default_configENS1_25partition_config_selectorILNS1_17partition_subalgoE5EiNS0_10empty_typeEbEEZZNS1_14partition_implILS5_5ELb0ES3_mN6thrust23THRUST_200600_302600_NS6detail15normal_iteratorINSA_10device_ptrIiEEEEPS6_NSA_18transform_iteratorINSB_9not_fun_tI7is_trueIiEEESF_NSA_11use_defaultESM_EENS0_5tupleIJSF_S6_EEENSO_IJSG_SG_EEES6_PlJS6_EEE10hipError_tPvRmT3_T4_T5_T6_T7_T9_mT8_P12ihipStream_tbDpT10_ENKUlT_T0_E_clISt17integral_constantIbLb0EES1B_EEDaS16_S17_EUlS16_E_NS1_11comp_targetILNS1_3genE0ELNS1_11target_archE4294967295ELNS1_3gpuE0ELNS1_3repE0EEENS1_30default_config_static_selectorELNS0_4arch9wavefront6targetE0EEEvT1_.num_agpr, 0
	.set _ZN7rocprim17ROCPRIM_400000_NS6detail17trampoline_kernelINS0_14default_configENS1_25partition_config_selectorILNS1_17partition_subalgoE5EiNS0_10empty_typeEbEEZZNS1_14partition_implILS5_5ELb0ES3_mN6thrust23THRUST_200600_302600_NS6detail15normal_iteratorINSA_10device_ptrIiEEEEPS6_NSA_18transform_iteratorINSB_9not_fun_tI7is_trueIiEEESF_NSA_11use_defaultESM_EENS0_5tupleIJSF_S6_EEENSO_IJSG_SG_EEES6_PlJS6_EEE10hipError_tPvRmT3_T4_T5_T6_T7_T9_mT8_P12ihipStream_tbDpT10_ENKUlT_T0_E_clISt17integral_constantIbLb0EES1B_EEDaS16_S17_EUlS16_E_NS1_11comp_targetILNS1_3genE0ELNS1_11target_archE4294967295ELNS1_3gpuE0ELNS1_3repE0EEENS1_30default_config_static_selectorELNS0_4arch9wavefront6targetE0EEEvT1_.numbered_sgpr, 0
	.set _ZN7rocprim17ROCPRIM_400000_NS6detail17trampoline_kernelINS0_14default_configENS1_25partition_config_selectorILNS1_17partition_subalgoE5EiNS0_10empty_typeEbEEZZNS1_14partition_implILS5_5ELb0ES3_mN6thrust23THRUST_200600_302600_NS6detail15normal_iteratorINSA_10device_ptrIiEEEEPS6_NSA_18transform_iteratorINSB_9not_fun_tI7is_trueIiEEESF_NSA_11use_defaultESM_EENS0_5tupleIJSF_S6_EEENSO_IJSG_SG_EEES6_PlJS6_EEE10hipError_tPvRmT3_T4_T5_T6_T7_T9_mT8_P12ihipStream_tbDpT10_ENKUlT_T0_E_clISt17integral_constantIbLb0EES1B_EEDaS16_S17_EUlS16_E_NS1_11comp_targetILNS1_3genE0ELNS1_11target_archE4294967295ELNS1_3gpuE0ELNS1_3repE0EEENS1_30default_config_static_selectorELNS0_4arch9wavefront6targetE0EEEvT1_.num_named_barrier, 0
	.set _ZN7rocprim17ROCPRIM_400000_NS6detail17trampoline_kernelINS0_14default_configENS1_25partition_config_selectorILNS1_17partition_subalgoE5EiNS0_10empty_typeEbEEZZNS1_14partition_implILS5_5ELb0ES3_mN6thrust23THRUST_200600_302600_NS6detail15normal_iteratorINSA_10device_ptrIiEEEEPS6_NSA_18transform_iteratorINSB_9not_fun_tI7is_trueIiEEESF_NSA_11use_defaultESM_EENS0_5tupleIJSF_S6_EEENSO_IJSG_SG_EEES6_PlJS6_EEE10hipError_tPvRmT3_T4_T5_T6_T7_T9_mT8_P12ihipStream_tbDpT10_ENKUlT_T0_E_clISt17integral_constantIbLb0EES1B_EEDaS16_S17_EUlS16_E_NS1_11comp_targetILNS1_3genE0ELNS1_11target_archE4294967295ELNS1_3gpuE0ELNS1_3repE0EEENS1_30default_config_static_selectorELNS0_4arch9wavefront6targetE0EEEvT1_.private_seg_size, 0
	.set _ZN7rocprim17ROCPRIM_400000_NS6detail17trampoline_kernelINS0_14default_configENS1_25partition_config_selectorILNS1_17partition_subalgoE5EiNS0_10empty_typeEbEEZZNS1_14partition_implILS5_5ELb0ES3_mN6thrust23THRUST_200600_302600_NS6detail15normal_iteratorINSA_10device_ptrIiEEEEPS6_NSA_18transform_iteratorINSB_9not_fun_tI7is_trueIiEEESF_NSA_11use_defaultESM_EENS0_5tupleIJSF_S6_EEENSO_IJSG_SG_EEES6_PlJS6_EEE10hipError_tPvRmT3_T4_T5_T6_T7_T9_mT8_P12ihipStream_tbDpT10_ENKUlT_T0_E_clISt17integral_constantIbLb0EES1B_EEDaS16_S17_EUlS16_E_NS1_11comp_targetILNS1_3genE0ELNS1_11target_archE4294967295ELNS1_3gpuE0ELNS1_3repE0EEENS1_30default_config_static_selectorELNS0_4arch9wavefront6targetE0EEEvT1_.uses_vcc, 0
	.set _ZN7rocprim17ROCPRIM_400000_NS6detail17trampoline_kernelINS0_14default_configENS1_25partition_config_selectorILNS1_17partition_subalgoE5EiNS0_10empty_typeEbEEZZNS1_14partition_implILS5_5ELb0ES3_mN6thrust23THRUST_200600_302600_NS6detail15normal_iteratorINSA_10device_ptrIiEEEEPS6_NSA_18transform_iteratorINSB_9not_fun_tI7is_trueIiEEESF_NSA_11use_defaultESM_EENS0_5tupleIJSF_S6_EEENSO_IJSG_SG_EEES6_PlJS6_EEE10hipError_tPvRmT3_T4_T5_T6_T7_T9_mT8_P12ihipStream_tbDpT10_ENKUlT_T0_E_clISt17integral_constantIbLb0EES1B_EEDaS16_S17_EUlS16_E_NS1_11comp_targetILNS1_3genE0ELNS1_11target_archE4294967295ELNS1_3gpuE0ELNS1_3repE0EEENS1_30default_config_static_selectorELNS0_4arch9wavefront6targetE0EEEvT1_.uses_flat_scratch, 0
	.set _ZN7rocprim17ROCPRIM_400000_NS6detail17trampoline_kernelINS0_14default_configENS1_25partition_config_selectorILNS1_17partition_subalgoE5EiNS0_10empty_typeEbEEZZNS1_14partition_implILS5_5ELb0ES3_mN6thrust23THRUST_200600_302600_NS6detail15normal_iteratorINSA_10device_ptrIiEEEEPS6_NSA_18transform_iteratorINSB_9not_fun_tI7is_trueIiEEESF_NSA_11use_defaultESM_EENS0_5tupleIJSF_S6_EEENSO_IJSG_SG_EEES6_PlJS6_EEE10hipError_tPvRmT3_T4_T5_T6_T7_T9_mT8_P12ihipStream_tbDpT10_ENKUlT_T0_E_clISt17integral_constantIbLb0EES1B_EEDaS16_S17_EUlS16_E_NS1_11comp_targetILNS1_3genE0ELNS1_11target_archE4294967295ELNS1_3gpuE0ELNS1_3repE0EEENS1_30default_config_static_selectorELNS0_4arch9wavefront6targetE0EEEvT1_.has_dyn_sized_stack, 0
	.set _ZN7rocprim17ROCPRIM_400000_NS6detail17trampoline_kernelINS0_14default_configENS1_25partition_config_selectorILNS1_17partition_subalgoE5EiNS0_10empty_typeEbEEZZNS1_14partition_implILS5_5ELb0ES3_mN6thrust23THRUST_200600_302600_NS6detail15normal_iteratorINSA_10device_ptrIiEEEEPS6_NSA_18transform_iteratorINSB_9not_fun_tI7is_trueIiEEESF_NSA_11use_defaultESM_EENS0_5tupleIJSF_S6_EEENSO_IJSG_SG_EEES6_PlJS6_EEE10hipError_tPvRmT3_T4_T5_T6_T7_T9_mT8_P12ihipStream_tbDpT10_ENKUlT_T0_E_clISt17integral_constantIbLb0EES1B_EEDaS16_S17_EUlS16_E_NS1_11comp_targetILNS1_3genE0ELNS1_11target_archE4294967295ELNS1_3gpuE0ELNS1_3repE0EEENS1_30default_config_static_selectorELNS0_4arch9wavefront6targetE0EEEvT1_.has_recursion, 0
	.set _ZN7rocprim17ROCPRIM_400000_NS6detail17trampoline_kernelINS0_14default_configENS1_25partition_config_selectorILNS1_17partition_subalgoE5EiNS0_10empty_typeEbEEZZNS1_14partition_implILS5_5ELb0ES3_mN6thrust23THRUST_200600_302600_NS6detail15normal_iteratorINSA_10device_ptrIiEEEEPS6_NSA_18transform_iteratorINSB_9not_fun_tI7is_trueIiEEESF_NSA_11use_defaultESM_EENS0_5tupleIJSF_S6_EEENSO_IJSG_SG_EEES6_PlJS6_EEE10hipError_tPvRmT3_T4_T5_T6_T7_T9_mT8_P12ihipStream_tbDpT10_ENKUlT_T0_E_clISt17integral_constantIbLb0EES1B_EEDaS16_S17_EUlS16_E_NS1_11comp_targetILNS1_3genE0ELNS1_11target_archE4294967295ELNS1_3gpuE0ELNS1_3repE0EEENS1_30default_config_static_selectorELNS0_4arch9wavefront6targetE0EEEvT1_.has_indirect_call, 0
	.section	.AMDGPU.csdata,"",@progbits
; Kernel info:
; codeLenInByte = 0
; TotalNumSgprs: 0
; NumVgprs: 0
; ScratchSize: 0
; MemoryBound: 0
; FloatMode: 240
; IeeeMode: 1
; LDSByteSize: 0 bytes/workgroup (compile time only)
; SGPRBlocks: 0
; VGPRBlocks: 0
; NumSGPRsForWavesPerEU: 1
; NumVGPRsForWavesPerEU: 1
; Occupancy: 16
; WaveLimiterHint : 0
; COMPUTE_PGM_RSRC2:SCRATCH_EN: 0
; COMPUTE_PGM_RSRC2:USER_SGPR: 2
; COMPUTE_PGM_RSRC2:TRAP_HANDLER: 0
; COMPUTE_PGM_RSRC2:TGID_X_EN: 1
; COMPUTE_PGM_RSRC2:TGID_Y_EN: 0
; COMPUTE_PGM_RSRC2:TGID_Z_EN: 0
; COMPUTE_PGM_RSRC2:TIDIG_COMP_CNT: 0
	.section	.text._ZN7rocprim17ROCPRIM_400000_NS6detail17trampoline_kernelINS0_14default_configENS1_25partition_config_selectorILNS1_17partition_subalgoE5EiNS0_10empty_typeEbEEZZNS1_14partition_implILS5_5ELb0ES3_mN6thrust23THRUST_200600_302600_NS6detail15normal_iteratorINSA_10device_ptrIiEEEEPS6_NSA_18transform_iteratorINSB_9not_fun_tI7is_trueIiEEESF_NSA_11use_defaultESM_EENS0_5tupleIJSF_S6_EEENSO_IJSG_SG_EEES6_PlJS6_EEE10hipError_tPvRmT3_T4_T5_T6_T7_T9_mT8_P12ihipStream_tbDpT10_ENKUlT_T0_E_clISt17integral_constantIbLb0EES1B_EEDaS16_S17_EUlS16_E_NS1_11comp_targetILNS1_3genE5ELNS1_11target_archE942ELNS1_3gpuE9ELNS1_3repE0EEENS1_30default_config_static_selectorELNS0_4arch9wavefront6targetE0EEEvT1_,"axG",@progbits,_ZN7rocprim17ROCPRIM_400000_NS6detail17trampoline_kernelINS0_14default_configENS1_25partition_config_selectorILNS1_17partition_subalgoE5EiNS0_10empty_typeEbEEZZNS1_14partition_implILS5_5ELb0ES3_mN6thrust23THRUST_200600_302600_NS6detail15normal_iteratorINSA_10device_ptrIiEEEEPS6_NSA_18transform_iteratorINSB_9not_fun_tI7is_trueIiEEESF_NSA_11use_defaultESM_EENS0_5tupleIJSF_S6_EEENSO_IJSG_SG_EEES6_PlJS6_EEE10hipError_tPvRmT3_T4_T5_T6_T7_T9_mT8_P12ihipStream_tbDpT10_ENKUlT_T0_E_clISt17integral_constantIbLb0EES1B_EEDaS16_S17_EUlS16_E_NS1_11comp_targetILNS1_3genE5ELNS1_11target_archE942ELNS1_3gpuE9ELNS1_3repE0EEENS1_30default_config_static_selectorELNS0_4arch9wavefront6targetE0EEEvT1_,comdat
	.protected	_ZN7rocprim17ROCPRIM_400000_NS6detail17trampoline_kernelINS0_14default_configENS1_25partition_config_selectorILNS1_17partition_subalgoE5EiNS0_10empty_typeEbEEZZNS1_14partition_implILS5_5ELb0ES3_mN6thrust23THRUST_200600_302600_NS6detail15normal_iteratorINSA_10device_ptrIiEEEEPS6_NSA_18transform_iteratorINSB_9not_fun_tI7is_trueIiEEESF_NSA_11use_defaultESM_EENS0_5tupleIJSF_S6_EEENSO_IJSG_SG_EEES6_PlJS6_EEE10hipError_tPvRmT3_T4_T5_T6_T7_T9_mT8_P12ihipStream_tbDpT10_ENKUlT_T0_E_clISt17integral_constantIbLb0EES1B_EEDaS16_S17_EUlS16_E_NS1_11comp_targetILNS1_3genE5ELNS1_11target_archE942ELNS1_3gpuE9ELNS1_3repE0EEENS1_30default_config_static_selectorELNS0_4arch9wavefront6targetE0EEEvT1_ ; -- Begin function _ZN7rocprim17ROCPRIM_400000_NS6detail17trampoline_kernelINS0_14default_configENS1_25partition_config_selectorILNS1_17partition_subalgoE5EiNS0_10empty_typeEbEEZZNS1_14partition_implILS5_5ELb0ES3_mN6thrust23THRUST_200600_302600_NS6detail15normal_iteratorINSA_10device_ptrIiEEEEPS6_NSA_18transform_iteratorINSB_9not_fun_tI7is_trueIiEEESF_NSA_11use_defaultESM_EENS0_5tupleIJSF_S6_EEENSO_IJSG_SG_EEES6_PlJS6_EEE10hipError_tPvRmT3_T4_T5_T6_T7_T9_mT8_P12ihipStream_tbDpT10_ENKUlT_T0_E_clISt17integral_constantIbLb0EES1B_EEDaS16_S17_EUlS16_E_NS1_11comp_targetILNS1_3genE5ELNS1_11target_archE942ELNS1_3gpuE9ELNS1_3repE0EEENS1_30default_config_static_selectorELNS0_4arch9wavefront6targetE0EEEvT1_
	.globl	_ZN7rocprim17ROCPRIM_400000_NS6detail17trampoline_kernelINS0_14default_configENS1_25partition_config_selectorILNS1_17partition_subalgoE5EiNS0_10empty_typeEbEEZZNS1_14partition_implILS5_5ELb0ES3_mN6thrust23THRUST_200600_302600_NS6detail15normal_iteratorINSA_10device_ptrIiEEEEPS6_NSA_18transform_iteratorINSB_9not_fun_tI7is_trueIiEEESF_NSA_11use_defaultESM_EENS0_5tupleIJSF_S6_EEENSO_IJSG_SG_EEES6_PlJS6_EEE10hipError_tPvRmT3_T4_T5_T6_T7_T9_mT8_P12ihipStream_tbDpT10_ENKUlT_T0_E_clISt17integral_constantIbLb0EES1B_EEDaS16_S17_EUlS16_E_NS1_11comp_targetILNS1_3genE5ELNS1_11target_archE942ELNS1_3gpuE9ELNS1_3repE0EEENS1_30default_config_static_selectorELNS0_4arch9wavefront6targetE0EEEvT1_
	.p2align	8
	.type	_ZN7rocprim17ROCPRIM_400000_NS6detail17trampoline_kernelINS0_14default_configENS1_25partition_config_selectorILNS1_17partition_subalgoE5EiNS0_10empty_typeEbEEZZNS1_14partition_implILS5_5ELb0ES3_mN6thrust23THRUST_200600_302600_NS6detail15normal_iteratorINSA_10device_ptrIiEEEEPS6_NSA_18transform_iteratorINSB_9not_fun_tI7is_trueIiEEESF_NSA_11use_defaultESM_EENS0_5tupleIJSF_S6_EEENSO_IJSG_SG_EEES6_PlJS6_EEE10hipError_tPvRmT3_T4_T5_T6_T7_T9_mT8_P12ihipStream_tbDpT10_ENKUlT_T0_E_clISt17integral_constantIbLb0EES1B_EEDaS16_S17_EUlS16_E_NS1_11comp_targetILNS1_3genE5ELNS1_11target_archE942ELNS1_3gpuE9ELNS1_3repE0EEENS1_30default_config_static_selectorELNS0_4arch9wavefront6targetE0EEEvT1_,@function
_ZN7rocprim17ROCPRIM_400000_NS6detail17trampoline_kernelINS0_14default_configENS1_25partition_config_selectorILNS1_17partition_subalgoE5EiNS0_10empty_typeEbEEZZNS1_14partition_implILS5_5ELb0ES3_mN6thrust23THRUST_200600_302600_NS6detail15normal_iteratorINSA_10device_ptrIiEEEEPS6_NSA_18transform_iteratorINSB_9not_fun_tI7is_trueIiEEESF_NSA_11use_defaultESM_EENS0_5tupleIJSF_S6_EEENSO_IJSG_SG_EEES6_PlJS6_EEE10hipError_tPvRmT3_T4_T5_T6_T7_T9_mT8_P12ihipStream_tbDpT10_ENKUlT_T0_E_clISt17integral_constantIbLb0EES1B_EEDaS16_S17_EUlS16_E_NS1_11comp_targetILNS1_3genE5ELNS1_11target_archE942ELNS1_3gpuE9ELNS1_3repE0EEENS1_30default_config_static_selectorELNS0_4arch9wavefront6targetE0EEEvT1_: ; @_ZN7rocprim17ROCPRIM_400000_NS6detail17trampoline_kernelINS0_14default_configENS1_25partition_config_selectorILNS1_17partition_subalgoE5EiNS0_10empty_typeEbEEZZNS1_14partition_implILS5_5ELb0ES3_mN6thrust23THRUST_200600_302600_NS6detail15normal_iteratorINSA_10device_ptrIiEEEEPS6_NSA_18transform_iteratorINSB_9not_fun_tI7is_trueIiEEESF_NSA_11use_defaultESM_EENS0_5tupleIJSF_S6_EEENSO_IJSG_SG_EEES6_PlJS6_EEE10hipError_tPvRmT3_T4_T5_T6_T7_T9_mT8_P12ihipStream_tbDpT10_ENKUlT_T0_E_clISt17integral_constantIbLb0EES1B_EEDaS16_S17_EUlS16_E_NS1_11comp_targetILNS1_3genE5ELNS1_11target_archE942ELNS1_3gpuE9ELNS1_3repE0EEENS1_30default_config_static_selectorELNS0_4arch9wavefront6targetE0EEEvT1_
; %bb.0:
	.section	.rodata,"a",@progbits
	.p2align	6, 0x0
	.amdhsa_kernel _ZN7rocprim17ROCPRIM_400000_NS6detail17trampoline_kernelINS0_14default_configENS1_25partition_config_selectorILNS1_17partition_subalgoE5EiNS0_10empty_typeEbEEZZNS1_14partition_implILS5_5ELb0ES3_mN6thrust23THRUST_200600_302600_NS6detail15normal_iteratorINSA_10device_ptrIiEEEEPS6_NSA_18transform_iteratorINSB_9not_fun_tI7is_trueIiEEESF_NSA_11use_defaultESM_EENS0_5tupleIJSF_S6_EEENSO_IJSG_SG_EEES6_PlJS6_EEE10hipError_tPvRmT3_T4_T5_T6_T7_T9_mT8_P12ihipStream_tbDpT10_ENKUlT_T0_E_clISt17integral_constantIbLb0EES1B_EEDaS16_S17_EUlS16_E_NS1_11comp_targetILNS1_3genE5ELNS1_11target_archE942ELNS1_3gpuE9ELNS1_3repE0EEENS1_30default_config_static_selectorELNS0_4arch9wavefront6targetE0EEEvT1_
		.amdhsa_group_segment_fixed_size 0
		.amdhsa_private_segment_fixed_size 0
		.amdhsa_kernarg_size 120
		.amdhsa_user_sgpr_count 2
		.amdhsa_user_sgpr_dispatch_ptr 0
		.amdhsa_user_sgpr_queue_ptr 0
		.amdhsa_user_sgpr_kernarg_segment_ptr 1
		.amdhsa_user_sgpr_dispatch_id 0
		.amdhsa_user_sgpr_private_segment_size 0
		.amdhsa_wavefront_size32 1
		.amdhsa_uses_dynamic_stack 0
		.amdhsa_enable_private_segment 0
		.amdhsa_system_sgpr_workgroup_id_x 1
		.amdhsa_system_sgpr_workgroup_id_y 0
		.amdhsa_system_sgpr_workgroup_id_z 0
		.amdhsa_system_sgpr_workgroup_info 0
		.amdhsa_system_vgpr_workitem_id 0
		.amdhsa_next_free_vgpr 1
		.amdhsa_next_free_sgpr 1
		.amdhsa_reserve_vcc 0
		.amdhsa_float_round_mode_32 0
		.amdhsa_float_round_mode_16_64 0
		.amdhsa_float_denorm_mode_32 3
		.amdhsa_float_denorm_mode_16_64 3
		.amdhsa_fp16_overflow 0
		.amdhsa_workgroup_processor_mode 1
		.amdhsa_memory_ordered 1
		.amdhsa_forward_progress 1
		.amdhsa_inst_pref_size 0
		.amdhsa_round_robin_scheduling 0
		.amdhsa_exception_fp_ieee_invalid_op 0
		.amdhsa_exception_fp_denorm_src 0
		.amdhsa_exception_fp_ieee_div_zero 0
		.amdhsa_exception_fp_ieee_overflow 0
		.amdhsa_exception_fp_ieee_underflow 0
		.amdhsa_exception_fp_ieee_inexact 0
		.amdhsa_exception_int_div_zero 0
	.end_amdhsa_kernel
	.section	.text._ZN7rocprim17ROCPRIM_400000_NS6detail17trampoline_kernelINS0_14default_configENS1_25partition_config_selectorILNS1_17partition_subalgoE5EiNS0_10empty_typeEbEEZZNS1_14partition_implILS5_5ELb0ES3_mN6thrust23THRUST_200600_302600_NS6detail15normal_iteratorINSA_10device_ptrIiEEEEPS6_NSA_18transform_iteratorINSB_9not_fun_tI7is_trueIiEEESF_NSA_11use_defaultESM_EENS0_5tupleIJSF_S6_EEENSO_IJSG_SG_EEES6_PlJS6_EEE10hipError_tPvRmT3_T4_T5_T6_T7_T9_mT8_P12ihipStream_tbDpT10_ENKUlT_T0_E_clISt17integral_constantIbLb0EES1B_EEDaS16_S17_EUlS16_E_NS1_11comp_targetILNS1_3genE5ELNS1_11target_archE942ELNS1_3gpuE9ELNS1_3repE0EEENS1_30default_config_static_selectorELNS0_4arch9wavefront6targetE0EEEvT1_,"axG",@progbits,_ZN7rocprim17ROCPRIM_400000_NS6detail17trampoline_kernelINS0_14default_configENS1_25partition_config_selectorILNS1_17partition_subalgoE5EiNS0_10empty_typeEbEEZZNS1_14partition_implILS5_5ELb0ES3_mN6thrust23THRUST_200600_302600_NS6detail15normal_iteratorINSA_10device_ptrIiEEEEPS6_NSA_18transform_iteratorINSB_9not_fun_tI7is_trueIiEEESF_NSA_11use_defaultESM_EENS0_5tupleIJSF_S6_EEENSO_IJSG_SG_EEES6_PlJS6_EEE10hipError_tPvRmT3_T4_T5_T6_T7_T9_mT8_P12ihipStream_tbDpT10_ENKUlT_T0_E_clISt17integral_constantIbLb0EES1B_EEDaS16_S17_EUlS16_E_NS1_11comp_targetILNS1_3genE5ELNS1_11target_archE942ELNS1_3gpuE9ELNS1_3repE0EEENS1_30default_config_static_selectorELNS0_4arch9wavefront6targetE0EEEvT1_,comdat
.Lfunc_end1501:
	.size	_ZN7rocprim17ROCPRIM_400000_NS6detail17trampoline_kernelINS0_14default_configENS1_25partition_config_selectorILNS1_17partition_subalgoE5EiNS0_10empty_typeEbEEZZNS1_14partition_implILS5_5ELb0ES3_mN6thrust23THRUST_200600_302600_NS6detail15normal_iteratorINSA_10device_ptrIiEEEEPS6_NSA_18transform_iteratorINSB_9not_fun_tI7is_trueIiEEESF_NSA_11use_defaultESM_EENS0_5tupleIJSF_S6_EEENSO_IJSG_SG_EEES6_PlJS6_EEE10hipError_tPvRmT3_T4_T5_T6_T7_T9_mT8_P12ihipStream_tbDpT10_ENKUlT_T0_E_clISt17integral_constantIbLb0EES1B_EEDaS16_S17_EUlS16_E_NS1_11comp_targetILNS1_3genE5ELNS1_11target_archE942ELNS1_3gpuE9ELNS1_3repE0EEENS1_30default_config_static_selectorELNS0_4arch9wavefront6targetE0EEEvT1_, .Lfunc_end1501-_ZN7rocprim17ROCPRIM_400000_NS6detail17trampoline_kernelINS0_14default_configENS1_25partition_config_selectorILNS1_17partition_subalgoE5EiNS0_10empty_typeEbEEZZNS1_14partition_implILS5_5ELb0ES3_mN6thrust23THRUST_200600_302600_NS6detail15normal_iteratorINSA_10device_ptrIiEEEEPS6_NSA_18transform_iteratorINSB_9not_fun_tI7is_trueIiEEESF_NSA_11use_defaultESM_EENS0_5tupleIJSF_S6_EEENSO_IJSG_SG_EEES6_PlJS6_EEE10hipError_tPvRmT3_T4_T5_T6_T7_T9_mT8_P12ihipStream_tbDpT10_ENKUlT_T0_E_clISt17integral_constantIbLb0EES1B_EEDaS16_S17_EUlS16_E_NS1_11comp_targetILNS1_3genE5ELNS1_11target_archE942ELNS1_3gpuE9ELNS1_3repE0EEENS1_30default_config_static_selectorELNS0_4arch9wavefront6targetE0EEEvT1_
                                        ; -- End function
	.set _ZN7rocprim17ROCPRIM_400000_NS6detail17trampoline_kernelINS0_14default_configENS1_25partition_config_selectorILNS1_17partition_subalgoE5EiNS0_10empty_typeEbEEZZNS1_14partition_implILS5_5ELb0ES3_mN6thrust23THRUST_200600_302600_NS6detail15normal_iteratorINSA_10device_ptrIiEEEEPS6_NSA_18transform_iteratorINSB_9not_fun_tI7is_trueIiEEESF_NSA_11use_defaultESM_EENS0_5tupleIJSF_S6_EEENSO_IJSG_SG_EEES6_PlJS6_EEE10hipError_tPvRmT3_T4_T5_T6_T7_T9_mT8_P12ihipStream_tbDpT10_ENKUlT_T0_E_clISt17integral_constantIbLb0EES1B_EEDaS16_S17_EUlS16_E_NS1_11comp_targetILNS1_3genE5ELNS1_11target_archE942ELNS1_3gpuE9ELNS1_3repE0EEENS1_30default_config_static_selectorELNS0_4arch9wavefront6targetE0EEEvT1_.num_vgpr, 0
	.set _ZN7rocprim17ROCPRIM_400000_NS6detail17trampoline_kernelINS0_14default_configENS1_25partition_config_selectorILNS1_17partition_subalgoE5EiNS0_10empty_typeEbEEZZNS1_14partition_implILS5_5ELb0ES3_mN6thrust23THRUST_200600_302600_NS6detail15normal_iteratorINSA_10device_ptrIiEEEEPS6_NSA_18transform_iteratorINSB_9not_fun_tI7is_trueIiEEESF_NSA_11use_defaultESM_EENS0_5tupleIJSF_S6_EEENSO_IJSG_SG_EEES6_PlJS6_EEE10hipError_tPvRmT3_T4_T5_T6_T7_T9_mT8_P12ihipStream_tbDpT10_ENKUlT_T0_E_clISt17integral_constantIbLb0EES1B_EEDaS16_S17_EUlS16_E_NS1_11comp_targetILNS1_3genE5ELNS1_11target_archE942ELNS1_3gpuE9ELNS1_3repE0EEENS1_30default_config_static_selectorELNS0_4arch9wavefront6targetE0EEEvT1_.num_agpr, 0
	.set _ZN7rocprim17ROCPRIM_400000_NS6detail17trampoline_kernelINS0_14default_configENS1_25partition_config_selectorILNS1_17partition_subalgoE5EiNS0_10empty_typeEbEEZZNS1_14partition_implILS5_5ELb0ES3_mN6thrust23THRUST_200600_302600_NS6detail15normal_iteratorINSA_10device_ptrIiEEEEPS6_NSA_18transform_iteratorINSB_9not_fun_tI7is_trueIiEEESF_NSA_11use_defaultESM_EENS0_5tupleIJSF_S6_EEENSO_IJSG_SG_EEES6_PlJS6_EEE10hipError_tPvRmT3_T4_T5_T6_T7_T9_mT8_P12ihipStream_tbDpT10_ENKUlT_T0_E_clISt17integral_constantIbLb0EES1B_EEDaS16_S17_EUlS16_E_NS1_11comp_targetILNS1_3genE5ELNS1_11target_archE942ELNS1_3gpuE9ELNS1_3repE0EEENS1_30default_config_static_selectorELNS0_4arch9wavefront6targetE0EEEvT1_.numbered_sgpr, 0
	.set _ZN7rocprim17ROCPRIM_400000_NS6detail17trampoline_kernelINS0_14default_configENS1_25partition_config_selectorILNS1_17partition_subalgoE5EiNS0_10empty_typeEbEEZZNS1_14partition_implILS5_5ELb0ES3_mN6thrust23THRUST_200600_302600_NS6detail15normal_iteratorINSA_10device_ptrIiEEEEPS6_NSA_18transform_iteratorINSB_9not_fun_tI7is_trueIiEEESF_NSA_11use_defaultESM_EENS0_5tupleIJSF_S6_EEENSO_IJSG_SG_EEES6_PlJS6_EEE10hipError_tPvRmT3_T4_T5_T6_T7_T9_mT8_P12ihipStream_tbDpT10_ENKUlT_T0_E_clISt17integral_constantIbLb0EES1B_EEDaS16_S17_EUlS16_E_NS1_11comp_targetILNS1_3genE5ELNS1_11target_archE942ELNS1_3gpuE9ELNS1_3repE0EEENS1_30default_config_static_selectorELNS0_4arch9wavefront6targetE0EEEvT1_.num_named_barrier, 0
	.set _ZN7rocprim17ROCPRIM_400000_NS6detail17trampoline_kernelINS0_14default_configENS1_25partition_config_selectorILNS1_17partition_subalgoE5EiNS0_10empty_typeEbEEZZNS1_14partition_implILS5_5ELb0ES3_mN6thrust23THRUST_200600_302600_NS6detail15normal_iteratorINSA_10device_ptrIiEEEEPS6_NSA_18transform_iteratorINSB_9not_fun_tI7is_trueIiEEESF_NSA_11use_defaultESM_EENS0_5tupleIJSF_S6_EEENSO_IJSG_SG_EEES6_PlJS6_EEE10hipError_tPvRmT3_T4_T5_T6_T7_T9_mT8_P12ihipStream_tbDpT10_ENKUlT_T0_E_clISt17integral_constantIbLb0EES1B_EEDaS16_S17_EUlS16_E_NS1_11comp_targetILNS1_3genE5ELNS1_11target_archE942ELNS1_3gpuE9ELNS1_3repE0EEENS1_30default_config_static_selectorELNS0_4arch9wavefront6targetE0EEEvT1_.private_seg_size, 0
	.set _ZN7rocprim17ROCPRIM_400000_NS6detail17trampoline_kernelINS0_14default_configENS1_25partition_config_selectorILNS1_17partition_subalgoE5EiNS0_10empty_typeEbEEZZNS1_14partition_implILS5_5ELb0ES3_mN6thrust23THRUST_200600_302600_NS6detail15normal_iteratorINSA_10device_ptrIiEEEEPS6_NSA_18transform_iteratorINSB_9not_fun_tI7is_trueIiEEESF_NSA_11use_defaultESM_EENS0_5tupleIJSF_S6_EEENSO_IJSG_SG_EEES6_PlJS6_EEE10hipError_tPvRmT3_T4_T5_T6_T7_T9_mT8_P12ihipStream_tbDpT10_ENKUlT_T0_E_clISt17integral_constantIbLb0EES1B_EEDaS16_S17_EUlS16_E_NS1_11comp_targetILNS1_3genE5ELNS1_11target_archE942ELNS1_3gpuE9ELNS1_3repE0EEENS1_30default_config_static_selectorELNS0_4arch9wavefront6targetE0EEEvT1_.uses_vcc, 0
	.set _ZN7rocprim17ROCPRIM_400000_NS6detail17trampoline_kernelINS0_14default_configENS1_25partition_config_selectorILNS1_17partition_subalgoE5EiNS0_10empty_typeEbEEZZNS1_14partition_implILS5_5ELb0ES3_mN6thrust23THRUST_200600_302600_NS6detail15normal_iteratorINSA_10device_ptrIiEEEEPS6_NSA_18transform_iteratorINSB_9not_fun_tI7is_trueIiEEESF_NSA_11use_defaultESM_EENS0_5tupleIJSF_S6_EEENSO_IJSG_SG_EEES6_PlJS6_EEE10hipError_tPvRmT3_T4_T5_T6_T7_T9_mT8_P12ihipStream_tbDpT10_ENKUlT_T0_E_clISt17integral_constantIbLb0EES1B_EEDaS16_S17_EUlS16_E_NS1_11comp_targetILNS1_3genE5ELNS1_11target_archE942ELNS1_3gpuE9ELNS1_3repE0EEENS1_30default_config_static_selectorELNS0_4arch9wavefront6targetE0EEEvT1_.uses_flat_scratch, 0
	.set _ZN7rocprim17ROCPRIM_400000_NS6detail17trampoline_kernelINS0_14default_configENS1_25partition_config_selectorILNS1_17partition_subalgoE5EiNS0_10empty_typeEbEEZZNS1_14partition_implILS5_5ELb0ES3_mN6thrust23THRUST_200600_302600_NS6detail15normal_iteratorINSA_10device_ptrIiEEEEPS6_NSA_18transform_iteratorINSB_9not_fun_tI7is_trueIiEEESF_NSA_11use_defaultESM_EENS0_5tupleIJSF_S6_EEENSO_IJSG_SG_EEES6_PlJS6_EEE10hipError_tPvRmT3_T4_T5_T6_T7_T9_mT8_P12ihipStream_tbDpT10_ENKUlT_T0_E_clISt17integral_constantIbLb0EES1B_EEDaS16_S17_EUlS16_E_NS1_11comp_targetILNS1_3genE5ELNS1_11target_archE942ELNS1_3gpuE9ELNS1_3repE0EEENS1_30default_config_static_selectorELNS0_4arch9wavefront6targetE0EEEvT1_.has_dyn_sized_stack, 0
	.set _ZN7rocprim17ROCPRIM_400000_NS6detail17trampoline_kernelINS0_14default_configENS1_25partition_config_selectorILNS1_17partition_subalgoE5EiNS0_10empty_typeEbEEZZNS1_14partition_implILS5_5ELb0ES3_mN6thrust23THRUST_200600_302600_NS6detail15normal_iteratorINSA_10device_ptrIiEEEEPS6_NSA_18transform_iteratorINSB_9not_fun_tI7is_trueIiEEESF_NSA_11use_defaultESM_EENS0_5tupleIJSF_S6_EEENSO_IJSG_SG_EEES6_PlJS6_EEE10hipError_tPvRmT3_T4_T5_T6_T7_T9_mT8_P12ihipStream_tbDpT10_ENKUlT_T0_E_clISt17integral_constantIbLb0EES1B_EEDaS16_S17_EUlS16_E_NS1_11comp_targetILNS1_3genE5ELNS1_11target_archE942ELNS1_3gpuE9ELNS1_3repE0EEENS1_30default_config_static_selectorELNS0_4arch9wavefront6targetE0EEEvT1_.has_recursion, 0
	.set _ZN7rocprim17ROCPRIM_400000_NS6detail17trampoline_kernelINS0_14default_configENS1_25partition_config_selectorILNS1_17partition_subalgoE5EiNS0_10empty_typeEbEEZZNS1_14partition_implILS5_5ELb0ES3_mN6thrust23THRUST_200600_302600_NS6detail15normal_iteratorINSA_10device_ptrIiEEEEPS6_NSA_18transform_iteratorINSB_9not_fun_tI7is_trueIiEEESF_NSA_11use_defaultESM_EENS0_5tupleIJSF_S6_EEENSO_IJSG_SG_EEES6_PlJS6_EEE10hipError_tPvRmT3_T4_T5_T6_T7_T9_mT8_P12ihipStream_tbDpT10_ENKUlT_T0_E_clISt17integral_constantIbLb0EES1B_EEDaS16_S17_EUlS16_E_NS1_11comp_targetILNS1_3genE5ELNS1_11target_archE942ELNS1_3gpuE9ELNS1_3repE0EEENS1_30default_config_static_selectorELNS0_4arch9wavefront6targetE0EEEvT1_.has_indirect_call, 0
	.section	.AMDGPU.csdata,"",@progbits
; Kernel info:
; codeLenInByte = 0
; TotalNumSgprs: 0
; NumVgprs: 0
; ScratchSize: 0
; MemoryBound: 0
; FloatMode: 240
; IeeeMode: 1
; LDSByteSize: 0 bytes/workgroup (compile time only)
; SGPRBlocks: 0
; VGPRBlocks: 0
; NumSGPRsForWavesPerEU: 1
; NumVGPRsForWavesPerEU: 1
; Occupancy: 16
; WaveLimiterHint : 0
; COMPUTE_PGM_RSRC2:SCRATCH_EN: 0
; COMPUTE_PGM_RSRC2:USER_SGPR: 2
; COMPUTE_PGM_RSRC2:TRAP_HANDLER: 0
; COMPUTE_PGM_RSRC2:TGID_X_EN: 1
; COMPUTE_PGM_RSRC2:TGID_Y_EN: 0
; COMPUTE_PGM_RSRC2:TGID_Z_EN: 0
; COMPUTE_PGM_RSRC2:TIDIG_COMP_CNT: 0
	.section	.text._ZN7rocprim17ROCPRIM_400000_NS6detail17trampoline_kernelINS0_14default_configENS1_25partition_config_selectorILNS1_17partition_subalgoE5EiNS0_10empty_typeEbEEZZNS1_14partition_implILS5_5ELb0ES3_mN6thrust23THRUST_200600_302600_NS6detail15normal_iteratorINSA_10device_ptrIiEEEEPS6_NSA_18transform_iteratorINSB_9not_fun_tI7is_trueIiEEESF_NSA_11use_defaultESM_EENS0_5tupleIJSF_S6_EEENSO_IJSG_SG_EEES6_PlJS6_EEE10hipError_tPvRmT3_T4_T5_T6_T7_T9_mT8_P12ihipStream_tbDpT10_ENKUlT_T0_E_clISt17integral_constantIbLb0EES1B_EEDaS16_S17_EUlS16_E_NS1_11comp_targetILNS1_3genE4ELNS1_11target_archE910ELNS1_3gpuE8ELNS1_3repE0EEENS1_30default_config_static_selectorELNS0_4arch9wavefront6targetE0EEEvT1_,"axG",@progbits,_ZN7rocprim17ROCPRIM_400000_NS6detail17trampoline_kernelINS0_14default_configENS1_25partition_config_selectorILNS1_17partition_subalgoE5EiNS0_10empty_typeEbEEZZNS1_14partition_implILS5_5ELb0ES3_mN6thrust23THRUST_200600_302600_NS6detail15normal_iteratorINSA_10device_ptrIiEEEEPS6_NSA_18transform_iteratorINSB_9not_fun_tI7is_trueIiEEESF_NSA_11use_defaultESM_EENS0_5tupleIJSF_S6_EEENSO_IJSG_SG_EEES6_PlJS6_EEE10hipError_tPvRmT3_T4_T5_T6_T7_T9_mT8_P12ihipStream_tbDpT10_ENKUlT_T0_E_clISt17integral_constantIbLb0EES1B_EEDaS16_S17_EUlS16_E_NS1_11comp_targetILNS1_3genE4ELNS1_11target_archE910ELNS1_3gpuE8ELNS1_3repE0EEENS1_30default_config_static_selectorELNS0_4arch9wavefront6targetE0EEEvT1_,comdat
	.protected	_ZN7rocprim17ROCPRIM_400000_NS6detail17trampoline_kernelINS0_14default_configENS1_25partition_config_selectorILNS1_17partition_subalgoE5EiNS0_10empty_typeEbEEZZNS1_14partition_implILS5_5ELb0ES3_mN6thrust23THRUST_200600_302600_NS6detail15normal_iteratorINSA_10device_ptrIiEEEEPS6_NSA_18transform_iteratorINSB_9not_fun_tI7is_trueIiEEESF_NSA_11use_defaultESM_EENS0_5tupleIJSF_S6_EEENSO_IJSG_SG_EEES6_PlJS6_EEE10hipError_tPvRmT3_T4_T5_T6_T7_T9_mT8_P12ihipStream_tbDpT10_ENKUlT_T0_E_clISt17integral_constantIbLb0EES1B_EEDaS16_S17_EUlS16_E_NS1_11comp_targetILNS1_3genE4ELNS1_11target_archE910ELNS1_3gpuE8ELNS1_3repE0EEENS1_30default_config_static_selectorELNS0_4arch9wavefront6targetE0EEEvT1_ ; -- Begin function _ZN7rocprim17ROCPRIM_400000_NS6detail17trampoline_kernelINS0_14default_configENS1_25partition_config_selectorILNS1_17partition_subalgoE5EiNS0_10empty_typeEbEEZZNS1_14partition_implILS5_5ELb0ES3_mN6thrust23THRUST_200600_302600_NS6detail15normal_iteratorINSA_10device_ptrIiEEEEPS6_NSA_18transform_iteratorINSB_9not_fun_tI7is_trueIiEEESF_NSA_11use_defaultESM_EENS0_5tupleIJSF_S6_EEENSO_IJSG_SG_EEES6_PlJS6_EEE10hipError_tPvRmT3_T4_T5_T6_T7_T9_mT8_P12ihipStream_tbDpT10_ENKUlT_T0_E_clISt17integral_constantIbLb0EES1B_EEDaS16_S17_EUlS16_E_NS1_11comp_targetILNS1_3genE4ELNS1_11target_archE910ELNS1_3gpuE8ELNS1_3repE0EEENS1_30default_config_static_selectorELNS0_4arch9wavefront6targetE0EEEvT1_
	.globl	_ZN7rocprim17ROCPRIM_400000_NS6detail17trampoline_kernelINS0_14default_configENS1_25partition_config_selectorILNS1_17partition_subalgoE5EiNS0_10empty_typeEbEEZZNS1_14partition_implILS5_5ELb0ES3_mN6thrust23THRUST_200600_302600_NS6detail15normal_iteratorINSA_10device_ptrIiEEEEPS6_NSA_18transform_iteratorINSB_9not_fun_tI7is_trueIiEEESF_NSA_11use_defaultESM_EENS0_5tupleIJSF_S6_EEENSO_IJSG_SG_EEES6_PlJS6_EEE10hipError_tPvRmT3_T4_T5_T6_T7_T9_mT8_P12ihipStream_tbDpT10_ENKUlT_T0_E_clISt17integral_constantIbLb0EES1B_EEDaS16_S17_EUlS16_E_NS1_11comp_targetILNS1_3genE4ELNS1_11target_archE910ELNS1_3gpuE8ELNS1_3repE0EEENS1_30default_config_static_selectorELNS0_4arch9wavefront6targetE0EEEvT1_
	.p2align	8
	.type	_ZN7rocprim17ROCPRIM_400000_NS6detail17trampoline_kernelINS0_14default_configENS1_25partition_config_selectorILNS1_17partition_subalgoE5EiNS0_10empty_typeEbEEZZNS1_14partition_implILS5_5ELb0ES3_mN6thrust23THRUST_200600_302600_NS6detail15normal_iteratorINSA_10device_ptrIiEEEEPS6_NSA_18transform_iteratorINSB_9not_fun_tI7is_trueIiEEESF_NSA_11use_defaultESM_EENS0_5tupleIJSF_S6_EEENSO_IJSG_SG_EEES6_PlJS6_EEE10hipError_tPvRmT3_T4_T5_T6_T7_T9_mT8_P12ihipStream_tbDpT10_ENKUlT_T0_E_clISt17integral_constantIbLb0EES1B_EEDaS16_S17_EUlS16_E_NS1_11comp_targetILNS1_3genE4ELNS1_11target_archE910ELNS1_3gpuE8ELNS1_3repE0EEENS1_30default_config_static_selectorELNS0_4arch9wavefront6targetE0EEEvT1_,@function
_ZN7rocprim17ROCPRIM_400000_NS6detail17trampoline_kernelINS0_14default_configENS1_25partition_config_selectorILNS1_17partition_subalgoE5EiNS0_10empty_typeEbEEZZNS1_14partition_implILS5_5ELb0ES3_mN6thrust23THRUST_200600_302600_NS6detail15normal_iteratorINSA_10device_ptrIiEEEEPS6_NSA_18transform_iteratorINSB_9not_fun_tI7is_trueIiEEESF_NSA_11use_defaultESM_EENS0_5tupleIJSF_S6_EEENSO_IJSG_SG_EEES6_PlJS6_EEE10hipError_tPvRmT3_T4_T5_T6_T7_T9_mT8_P12ihipStream_tbDpT10_ENKUlT_T0_E_clISt17integral_constantIbLb0EES1B_EEDaS16_S17_EUlS16_E_NS1_11comp_targetILNS1_3genE4ELNS1_11target_archE910ELNS1_3gpuE8ELNS1_3repE0EEENS1_30default_config_static_selectorELNS0_4arch9wavefront6targetE0EEEvT1_: ; @_ZN7rocprim17ROCPRIM_400000_NS6detail17trampoline_kernelINS0_14default_configENS1_25partition_config_selectorILNS1_17partition_subalgoE5EiNS0_10empty_typeEbEEZZNS1_14partition_implILS5_5ELb0ES3_mN6thrust23THRUST_200600_302600_NS6detail15normal_iteratorINSA_10device_ptrIiEEEEPS6_NSA_18transform_iteratorINSB_9not_fun_tI7is_trueIiEEESF_NSA_11use_defaultESM_EENS0_5tupleIJSF_S6_EEENSO_IJSG_SG_EEES6_PlJS6_EEE10hipError_tPvRmT3_T4_T5_T6_T7_T9_mT8_P12ihipStream_tbDpT10_ENKUlT_T0_E_clISt17integral_constantIbLb0EES1B_EEDaS16_S17_EUlS16_E_NS1_11comp_targetILNS1_3genE4ELNS1_11target_archE910ELNS1_3gpuE8ELNS1_3repE0EEENS1_30default_config_static_selectorELNS0_4arch9wavefront6targetE0EEEvT1_
; %bb.0:
	.section	.rodata,"a",@progbits
	.p2align	6, 0x0
	.amdhsa_kernel _ZN7rocprim17ROCPRIM_400000_NS6detail17trampoline_kernelINS0_14default_configENS1_25partition_config_selectorILNS1_17partition_subalgoE5EiNS0_10empty_typeEbEEZZNS1_14partition_implILS5_5ELb0ES3_mN6thrust23THRUST_200600_302600_NS6detail15normal_iteratorINSA_10device_ptrIiEEEEPS6_NSA_18transform_iteratorINSB_9not_fun_tI7is_trueIiEEESF_NSA_11use_defaultESM_EENS0_5tupleIJSF_S6_EEENSO_IJSG_SG_EEES6_PlJS6_EEE10hipError_tPvRmT3_T4_T5_T6_T7_T9_mT8_P12ihipStream_tbDpT10_ENKUlT_T0_E_clISt17integral_constantIbLb0EES1B_EEDaS16_S17_EUlS16_E_NS1_11comp_targetILNS1_3genE4ELNS1_11target_archE910ELNS1_3gpuE8ELNS1_3repE0EEENS1_30default_config_static_selectorELNS0_4arch9wavefront6targetE0EEEvT1_
		.amdhsa_group_segment_fixed_size 0
		.amdhsa_private_segment_fixed_size 0
		.amdhsa_kernarg_size 120
		.amdhsa_user_sgpr_count 2
		.amdhsa_user_sgpr_dispatch_ptr 0
		.amdhsa_user_sgpr_queue_ptr 0
		.amdhsa_user_sgpr_kernarg_segment_ptr 1
		.amdhsa_user_sgpr_dispatch_id 0
		.amdhsa_user_sgpr_private_segment_size 0
		.amdhsa_wavefront_size32 1
		.amdhsa_uses_dynamic_stack 0
		.amdhsa_enable_private_segment 0
		.amdhsa_system_sgpr_workgroup_id_x 1
		.amdhsa_system_sgpr_workgroup_id_y 0
		.amdhsa_system_sgpr_workgroup_id_z 0
		.amdhsa_system_sgpr_workgroup_info 0
		.amdhsa_system_vgpr_workitem_id 0
		.amdhsa_next_free_vgpr 1
		.amdhsa_next_free_sgpr 1
		.amdhsa_reserve_vcc 0
		.amdhsa_float_round_mode_32 0
		.amdhsa_float_round_mode_16_64 0
		.amdhsa_float_denorm_mode_32 3
		.amdhsa_float_denorm_mode_16_64 3
		.amdhsa_fp16_overflow 0
		.amdhsa_workgroup_processor_mode 1
		.amdhsa_memory_ordered 1
		.amdhsa_forward_progress 1
		.amdhsa_inst_pref_size 0
		.amdhsa_round_robin_scheduling 0
		.amdhsa_exception_fp_ieee_invalid_op 0
		.amdhsa_exception_fp_denorm_src 0
		.amdhsa_exception_fp_ieee_div_zero 0
		.amdhsa_exception_fp_ieee_overflow 0
		.amdhsa_exception_fp_ieee_underflow 0
		.amdhsa_exception_fp_ieee_inexact 0
		.amdhsa_exception_int_div_zero 0
	.end_amdhsa_kernel
	.section	.text._ZN7rocprim17ROCPRIM_400000_NS6detail17trampoline_kernelINS0_14default_configENS1_25partition_config_selectorILNS1_17partition_subalgoE5EiNS0_10empty_typeEbEEZZNS1_14partition_implILS5_5ELb0ES3_mN6thrust23THRUST_200600_302600_NS6detail15normal_iteratorINSA_10device_ptrIiEEEEPS6_NSA_18transform_iteratorINSB_9not_fun_tI7is_trueIiEEESF_NSA_11use_defaultESM_EENS0_5tupleIJSF_S6_EEENSO_IJSG_SG_EEES6_PlJS6_EEE10hipError_tPvRmT3_T4_T5_T6_T7_T9_mT8_P12ihipStream_tbDpT10_ENKUlT_T0_E_clISt17integral_constantIbLb0EES1B_EEDaS16_S17_EUlS16_E_NS1_11comp_targetILNS1_3genE4ELNS1_11target_archE910ELNS1_3gpuE8ELNS1_3repE0EEENS1_30default_config_static_selectorELNS0_4arch9wavefront6targetE0EEEvT1_,"axG",@progbits,_ZN7rocprim17ROCPRIM_400000_NS6detail17trampoline_kernelINS0_14default_configENS1_25partition_config_selectorILNS1_17partition_subalgoE5EiNS0_10empty_typeEbEEZZNS1_14partition_implILS5_5ELb0ES3_mN6thrust23THRUST_200600_302600_NS6detail15normal_iteratorINSA_10device_ptrIiEEEEPS6_NSA_18transform_iteratorINSB_9not_fun_tI7is_trueIiEEESF_NSA_11use_defaultESM_EENS0_5tupleIJSF_S6_EEENSO_IJSG_SG_EEES6_PlJS6_EEE10hipError_tPvRmT3_T4_T5_T6_T7_T9_mT8_P12ihipStream_tbDpT10_ENKUlT_T0_E_clISt17integral_constantIbLb0EES1B_EEDaS16_S17_EUlS16_E_NS1_11comp_targetILNS1_3genE4ELNS1_11target_archE910ELNS1_3gpuE8ELNS1_3repE0EEENS1_30default_config_static_selectorELNS0_4arch9wavefront6targetE0EEEvT1_,comdat
.Lfunc_end1502:
	.size	_ZN7rocprim17ROCPRIM_400000_NS6detail17trampoline_kernelINS0_14default_configENS1_25partition_config_selectorILNS1_17partition_subalgoE5EiNS0_10empty_typeEbEEZZNS1_14partition_implILS5_5ELb0ES3_mN6thrust23THRUST_200600_302600_NS6detail15normal_iteratorINSA_10device_ptrIiEEEEPS6_NSA_18transform_iteratorINSB_9not_fun_tI7is_trueIiEEESF_NSA_11use_defaultESM_EENS0_5tupleIJSF_S6_EEENSO_IJSG_SG_EEES6_PlJS6_EEE10hipError_tPvRmT3_T4_T5_T6_T7_T9_mT8_P12ihipStream_tbDpT10_ENKUlT_T0_E_clISt17integral_constantIbLb0EES1B_EEDaS16_S17_EUlS16_E_NS1_11comp_targetILNS1_3genE4ELNS1_11target_archE910ELNS1_3gpuE8ELNS1_3repE0EEENS1_30default_config_static_selectorELNS0_4arch9wavefront6targetE0EEEvT1_, .Lfunc_end1502-_ZN7rocprim17ROCPRIM_400000_NS6detail17trampoline_kernelINS0_14default_configENS1_25partition_config_selectorILNS1_17partition_subalgoE5EiNS0_10empty_typeEbEEZZNS1_14partition_implILS5_5ELb0ES3_mN6thrust23THRUST_200600_302600_NS6detail15normal_iteratorINSA_10device_ptrIiEEEEPS6_NSA_18transform_iteratorINSB_9not_fun_tI7is_trueIiEEESF_NSA_11use_defaultESM_EENS0_5tupleIJSF_S6_EEENSO_IJSG_SG_EEES6_PlJS6_EEE10hipError_tPvRmT3_T4_T5_T6_T7_T9_mT8_P12ihipStream_tbDpT10_ENKUlT_T0_E_clISt17integral_constantIbLb0EES1B_EEDaS16_S17_EUlS16_E_NS1_11comp_targetILNS1_3genE4ELNS1_11target_archE910ELNS1_3gpuE8ELNS1_3repE0EEENS1_30default_config_static_selectorELNS0_4arch9wavefront6targetE0EEEvT1_
                                        ; -- End function
	.set _ZN7rocprim17ROCPRIM_400000_NS6detail17trampoline_kernelINS0_14default_configENS1_25partition_config_selectorILNS1_17partition_subalgoE5EiNS0_10empty_typeEbEEZZNS1_14partition_implILS5_5ELb0ES3_mN6thrust23THRUST_200600_302600_NS6detail15normal_iteratorINSA_10device_ptrIiEEEEPS6_NSA_18transform_iteratorINSB_9not_fun_tI7is_trueIiEEESF_NSA_11use_defaultESM_EENS0_5tupleIJSF_S6_EEENSO_IJSG_SG_EEES6_PlJS6_EEE10hipError_tPvRmT3_T4_T5_T6_T7_T9_mT8_P12ihipStream_tbDpT10_ENKUlT_T0_E_clISt17integral_constantIbLb0EES1B_EEDaS16_S17_EUlS16_E_NS1_11comp_targetILNS1_3genE4ELNS1_11target_archE910ELNS1_3gpuE8ELNS1_3repE0EEENS1_30default_config_static_selectorELNS0_4arch9wavefront6targetE0EEEvT1_.num_vgpr, 0
	.set _ZN7rocprim17ROCPRIM_400000_NS6detail17trampoline_kernelINS0_14default_configENS1_25partition_config_selectorILNS1_17partition_subalgoE5EiNS0_10empty_typeEbEEZZNS1_14partition_implILS5_5ELb0ES3_mN6thrust23THRUST_200600_302600_NS6detail15normal_iteratorINSA_10device_ptrIiEEEEPS6_NSA_18transform_iteratorINSB_9not_fun_tI7is_trueIiEEESF_NSA_11use_defaultESM_EENS0_5tupleIJSF_S6_EEENSO_IJSG_SG_EEES6_PlJS6_EEE10hipError_tPvRmT3_T4_T5_T6_T7_T9_mT8_P12ihipStream_tbDpT10_ENKUlT_T0_E_clISt17integral_constantIbLb0EES1B_EEDaS16_S17_EUlS16_E_NS1_11comp_targetILNS1_3genE4ELNS1_11target_archE910ELNS1_3gpuE8ELNS1_3repE0EEENS1_30default_config_static_selectorELNS0_4arch9wavefront6targetE0EEEvT1_.num_agpr, 0
	.set _ZN7rocprim17ROCPRIM_400000_NS6detail17trampoline_kernelINS0_14default_configENS1_25partition_config_selectorILNS1_17partition_subalgoE5EiNS0_10empty_typeEbEEZZNS1_14partition_implILS5_5ELb0ES3_mN6thrust23THRUST_200600_302600_NS6detail15normal_iteratorINSA_10device_ptrIiEEEEPS6_NSA_18transform_iteratorINSB_9not_fun_tI7is_trueIiEEESF_NSA_11use_defaultESM_EENS0_5tupleIJSF_S6_EEENSO_IJSG_SG_EEES6_PlJS6_EEE10hipError_tPvRmT3_T4_T5_T6_T7_T9_mT8_P12ihipStream_tbDpT10_ENKUlT_T0_E_clISt17integral_constantIbLb0EES1B_EEDaS16_S17_EUlS16_E_NS1_11comp_targetILNS1_3genE4ELNS1_11target_archE910ELNS1_3gpuE8ELNS1_3repE0EEENS1_30default_config_static_selectorELNS0_4arch9wavefront6targetE0EEEvT1_.numbered_sgpr, 0
	.set _ZN7rocprim17ROCPRIM_400000_NS6detail17trampoline_kernelINS0_14default_configENS1_25partition_config_selectorILNS1_17partition_subalgoE5EiNS0_10empty_typeEbEEZZNS1_14partition_implILS5_5ELb0ES3_mN6thrust23THRUST_200600_302600_NS6detail15normal_iteratorINSA_10device_ptrIiEEEEPS6_NSA_18transform_iteratorINSB_9not_fun_tI7is_trueIiEEESF_NSA_11use_defaultESM_EENS0_5tupleIJSF_S6_EEENSO_IJSG_SG_EEES6_PlJS6_EEE10hipError_tPvRmT3_T4_T5_T6_T7_T9_mT8_P12ihipStream_tbDpT10_ENKUlT_T0_E_clISt17integral_constantIbLb0EES1B_EEDaS16_S17_EUlS16_E_NS1_11comp_targetILNS1_3genE4ELNS1_11target_archE910ELNS1_3gpuE8ELNS1_3repE0EEENS1_30default_config_static_selectorELNS0_4arch9wavefront6targetE0EEEvT1_.num_named_barrier, 0
	.set _ZN7rocprim17ROCPRIM_400000_NS6detail17trampoline_kernelINS0_14default_configENS1_25partition_config_selectorILNS1_17partition_subalgoE5EiNS0_10empty_typeEbEEZZNS1_14partition_implILS5_5ELb0ES3_mN6thrust23THRUST_200600_302600_NS6detail15normal_iteratorINSA_10device_ptrIiEEEEPS6_NSA_18transform_iteratorINSB_9not_fun_tI7is_trueIiEEESF_NSA_11use_defaultESM_EENS0_5tupleIJSF_S6_EEENSO_IJSG_SG_EEES6_PlJS6_EEE10hipError_tPvRmT3_T4_T5_T6_T7_T9_mT8_P12ihipStream_tbDpT10_ENKUlT_T0_E_clISt17integral_constantIbLb0EES1B_EEDaS16_S17_EUlS16_E_NS1_11comp_targetILNS1_3genE4ELNS1_11target_archE910ELNS1_3gpuE8ELNS1_3repE0EEENS1_30default_config_static_selectorELNS0_4arch9wavefront6targetE0EEEvT1_.private_seg_size, 0
	.set _ZN7rocprim17ROCPRIM_400000_NS6detail17trampoline_kernelINS0_14default_configENS1_25partition_config_selectorILNS1_17partition_subalgoE5EiNS0_10empty_typeEbEEZZNS1_14partition_implILS5_5ELb0ES3_mN6thrust23THRUST_200600_302600_NS6detail15normal_iteratorINSA_10device_ptrIiEEEEPS6_NSA_18transform_iteratorINSB_9not_fun_tI7is_trueIiEEESF_NSA_11use_defaultESM_EENS0_5tupleIJSF_S6_EEENSO_IJSG_SG_EEES6_PlJS6_EEE10hipError_tPvRmT3_T4_T5_T6_T7_T9_mT8_P12ihipStream_tbDpT10_ENKUlT_T0_E_clISt17integral_constantIbLb0EES1B_EEDaS16_S17_EUlS16_E_NS1_11comp_targetILNS1_3genE4ELNS1_11target_archE910ELNS1_3gpuE8ELNS1_3repE0EEENS1_30default_config_static_selectorELNS0_4arch9wavefront6targetE0EEEvT1_.uses_vcc, 0
	.set _ZN7rocprim17ROCPRIM_400000_NS6detail17trampoline_kernelINS0_14default_configENS1_25partition_config_selectorILNS1_17partition_subalgoE5EiNS0_10empty_typeEbEEZZNS1_14partition_implILS5_5ELb0ES3_mN6thrust23THRUST_200600_302600_NS6detail15normal_iteratorINSA_10device_ptrIiEEEEPS6_NSA_18transform_iteratorINSB_9not_fun_tI7is_trueIiEEESF_NSA_11use_defaultESM_EENS0_5tupleIJSF_S6_EEENSO_IJSG_SG_EEES6_PlJS6_EEE10hipError_tPvRmT3_T4_T5_T6_T7_T9_mT8_P12ihipStream_tbDpT10_ENKUlT_T0_E_clISt17integral_constantIbLb0EES1B_EEDaS16_S17_EUlS16_E_NS1_11comp_targetILNS1_3genE4ELNS1_11target_archE910ELNS1_3gpuE8ELNS1_3repE0EEENS1_30default_config_static_selectorELNS0_4arch9wavefront6targetE0EEEvT1_.uses_flat_scratch, 0
	.set _ZN7rocprim17ROCPRIM_400000_NS6detail17trampoline_kernelINS0_14default_configENS1_25partition_config_selectorILNS1_17partition_subalgoE5EiNS0_10empty_typeEbEEZZNS1_14partition_implILS5_5ELb0ES3_mN6thrust23THRUST_200600_302600_NS6detail15normal_iteratorINSA_10device_ptrIiEEEEPS6_NSA_18transform_iteratorINSB_9not_fun_tI7is_trueIiEEESF_NSA_11use_defaultESM_EENS0_5tupleIJSF_S6_EEENSO_IJSG_SG_EEES6_PlJS6_EEE10hipError_tPvRmT3_T4_T5_T6_T7_T9_mT8_P12ihipStream_tbDpT10_ENKUlT_T0_E_clISt17integral_constantIbLb0EES1B_EEDaS16_S17_EUlS16_E_NS1_11comp_targetILNS1_3genE4ELNS1_11target_archE910ELNS1_3gpuE8ELNS1_3repE0EEENS1_30default_config_static_selectorELNS0_4arch9wavefront6targetE0EEEvT1_.has_dyn_sized_stack, 0
	.set _ZN7rocprim17ROCPRIM_400000_NS6detail17trampoline_kernelINS0_14default_configENS1_25partition_config_selectorILNS1_17partition_subalgoE5EiNS0_10empty_typeEbEEZZNS1_14partition_implILS5_5ELb0ES3_mN6thrust23THRUST_200600_302600_NS6detail15normal_iteratorINSA_10device_ptrIiEEEEPS6_NSA_18transform_iteratorINSB_9not_fun_tI7is_trueIiEEESF_NSA_11use_defaultESM_EENS0_5tupleIJSF_S6_EEENSO_IJSG_SG_EEES6_PlJS6_EEE10hipError_tPvRmT3_T4_T5_T6_T7_T9_mT8_P12ihipStream_tbDpT10_ENKUlT_T0_E_clISt17integral_constantIbLb0EES1B_EEDaS16_S17_EUlS16_E_NS1_11comp_targetILNS1_3genE4ELNS1_11target_archE910ELNS1_3gpuE8ELNS1_3repE0EEENS1_30default_config_static_selectorELNS0_4arch9wavefront6targetE0EEEvT1_.has_recursion, 0
	.set _ZN7rocprim17ROCPRIM_400000_NS6detail17trampoline_kernelINS0_14default_configENS1_25partition_config_selectorILNS1_17partition_subalgoE5EiNS0_10empty_typeEbEEZZNS1_14partition_implILS5_5ELb0ES3_mN6thrust23THRUST_200600_302600_NS6detail15normal_iteratorINSA_10device_ptrIiEEEEPS6_NSA_18transform_iteratorINSB_9not_fun_tI7is_trueIiEEESF_NSA_11use_defaultESM_EENS0_5tupleIJSF_S6_EEENSO_IJSG_SG_EEES6_PlJS6_EEE10hipError_tPvRmT3_T4_T5_T6_T7_T9_mT8_P12ihipStream_tbDpT10_ENKUlT_T0_E_clISt17integral_constantIbLb0EES1B_EEDaS16_S17_EUlS16_E_NS1_11comp_targetILNS1_3genE4ELNS1_11target_archE910ELNS1_3gpuE8ELNS1_3repE0EEENS1_30default_config_static_selectorELNS0_4arch9wavefront6targetE0EEEvT1_.has_indirect_call, 0
	.section	.AMDGPU.csdata,"",@progbits
; Kernel info:
; codeLenInByte = 0
; TotalNumSgprs: 0
; NumVgprs: 0
; ScratchSize: 0
; MemoryBound: 0
; FloatMode: 240
; IeeeMode: 1
; LDSByteSize: 0 bytes/workgroup (compile time only)
; SGPRBlocks: 0
; VGPRBlocks: 0
; NumSGPRsForWavesPerEU: 1
; NumVGPRsForWavesPerEU: 1
; Occupancy: 16
; WaveLimiterHint : 0
; COMPUTE_PGM_RSRC2:SCRATCH_EN: 0
; COMPUTE_PGM_RSRC2:USER_SGPR: 2
; COMPUTE_PGM_RSRC2:TRAP_HANDLER: 0
; COMPUTE_PGM_RSRC2:TGID_X_EN: 1
; COMPUTE_PGM_RSRC2:TGID_Y_EN: 0
; COMPUTE_PGM_RSRC2:TGID_Z_EN: 0
; COMPUTE_PGM_RSRC2:TIDIG_COMP_CNT: 0
	.section	.text._ZN7rocprim17ROCPRIM_400000_NS6detail17trampoline_kernelINS0_14default_configENS1_25partition_config_selectorILNS1_17partition_subalgoE5EiNS0_10empty_typeEbEEZZNS1_14partition_implILS5_5ELb0ES3_mN6thrust23THRUST_200600_302600_NS6detail15normal_iteratorINSA_10device_ptrIiEEEEPS6_NSA_18transform_iteratorINSB_9not_fun_tI7is_trueIiEEESF_NSA_11use_defaultESM_EENS0_5tupleIJSF_S6_EEENSO_IJSG_SG_EEES6_PlJS6_EEE10hipError_tPvRmT3_T4_T5_T6_T7_T9_mT8_P12ihipStream_tbDpT10_ENKUlT_T0_E_clISt17integral_constantIbLb0EES1B_EEDaS16_S17_EUlS16_E_NS1_11comp_targetILNS1_3genE3ELNS1_11target_archE908ELNS1_3gpuE7ELNS1_3repE0EEENS1_30default_config_static_selectorELNS0_4arch9wavefront6targetE0EEEvT1_,"axG",@progbits,_ZN7rocprim17ROCPRIM_400000_NS6detail17trampoline_kernelINS0_14default_configENS1_25partition_config_selectorILNS1_17partition_subalgoE5EiNS0_10empty_typeEbEEZZNS1_14partition_implILS5_5ELb0ES3_mN6thrust23THRUST_200600_302600_NS6detail15normal_iteratorINSA_10device_ptrIiEEEEPS6_NSA_18transform_iteratorINSB_9not_fun_tI7is_trueIiEEESF_NSA_11use_defaultESM_EENS0_5tupleIJSF_S6_EEENSO_IJSG_SG_EEES6_PlJS6_EEE10hipError_tPvRmT3_T4_T5_T6_T7_T9_mT8_P12ihipStream_tbDpT10_ENKUlT_T0_E_clISt17integral_constantIbLb0EES1B_EEDaS16_S17_EUlS16_E_NS1_11comp_targetILNS1_3genE3ELNS1_11target_archE908ELNS1_3gpuE7ELNS1_3repE0EEENS1_30default_config_static_selectorELNS0_4arch9wavefront6targetE0EEEvT1_,comdat
	.protected	_ZN7rocprim17ROCPRIM_400000_NS6detail17trampoline_kernelINS0_14default_configENS1_25partition_config_selectorILNS1_17partition_subalgoE5EiNS0_10empty_typeEbEEZZNS1_14partition_implILS5_5ELb0ES3_mN6thrust23THRUST_200600_302600_NS6detail15normal_iteratorINSA_10device_ptrIiEEEEPS6_NSA_18transform_iteratorINSB_9not_fun_tI7is_trueIiEEESF_NSA_11use_defaultESM_EENS0_5tupleIJSF_S6_EEENSO_IJSG_SG_EEES6_PlJS6_EEE10hipError_tPvRmT3_T4_T5_T6_T7_T9_mT8_P12ihipStream_tbDpT10_ENKUlT_T0_E_clISt17integral_constantIbLb0EES1B_EEDaS16_S17_EUlS16_E_NS1_11comp_targetILNS1_3genE3ELNS1_11target_archE908ELNS1_3gpuE7ELNS1_3repE0EEENS1_30default_config_static_selectorELNS0_4arch9wavefront6targetE0EEEvT1_ ; -- Begin function _ZN7rocprim17ROCPRIM_400000_NS6detail17trampoline_kernelINS0_14default_configENS1_25partition_config_selectorILNS1_17partition_subalgoE5EiNS0_10empty_typeEbEEZZNS1_14partition_implILS5_5ELb0ES3_mN6thrust23THRUST_200600_302600_NS6detail15normal_iteratorINSA_10device_ptrIiEEEEPS6_NSA_18transform_iteratorINSB_9not_fun_tI7is_trueIiEEESF_NSA_11use_defaultESM_EENS0_5tupleIJSF_S6_EEENSO_IJSG_SG_EEES6_PlJS6_EEE10hipError_tPvRmT3_T4_T5_T6_T7_T9_mT8_P12ihipStream_tbDpT10_ENKUlT_T0_E_clISt17integral_constantIbLb0EES1B_EEDaS16_S17_EUlS16_E_NS1_11comp_targetILNS1_3genE3ELNS1_11target_archE908ELNS1_3gpuE7ELNS1_3repE0EEENS1_30default_config_static_selectorELNS0_4arch9wavefront6targetE0EEEvT1_
	.globl	_ZN7rocprim17ROCPRIM_400000_NS6detail17trampoline_kernelINS0_14default_configENS1_25partition_config_selectorILNS1_17partition_subalgoE5EiNS0_10empty_typeEbEEZZNS1_14partition_implILS5_5ELb0ES3_mN6thrust23THRUST_200600_302600_NS6detail15normal_iteratorINSA_10device_ptrIiEEEEPS6_NSA_18transform_iteratorINSB_9not_fun_tI7is_trueIiEEESF_NSA_11use_defaultESM_EENS0_5tupleIJSF_S6_EEENSO_IJSG_SG_EEES6_PlJS6_EEE10hipError_tPvRmT3_T4_T5_T6_T7_T9_mT8_P12ihipStream_tbDpT10_ENKUlT_T0_E_clISt17integral_constantIbLb0EES1B_EEDaS16_S17_EUlS16_E_NS1_11comp_targetILNS1_3genE3ELNS1_11target_archE908ELNS1_3gpuE7ELNS1_3repE0EEENS1_30default_config_static_selectorELNS0_4arch9wavefront6targetE0EEEvT1_
	.p2align	8
	.type	_ZN7rocprim17ROCPRIM_400000_NS6detail17trampoline_kernelINS0_14default_configENS1_25partition_config_selectorILNS1_17partition_subalgoE5EiNS0_10empty_typeEbEEZZNS1_14partition_implILS5_5ELb0ES3_mN6thrust23THRUST_200600_302600_NS6detail15normal_iteratorINSA_10device_ptrIiEEEEPS6_NSA_18transform_iteratorINSB_9not_fun_tI7is_trueIiEEESF_NSA_11use_defaultESM_EENS0_5tupleIJSF_S6_EEENSO_IJSG_SG_EEES6_PlJS6_EEE10hipError_tPvRmT3_T4_T5_T6_T7_T9_mT8_P12ihipStream_tbDpT10_ENKUlT_T0_E_clISt17integral_constantIbLb0EES1B_EEDaS16_S17_EUlS16_E_NS1_11comp_targetILNS1_3genE3ELNS1_11target_archE908ELNS1_3gpuE7ELNS1_3repE0EEENS1_30default_config_static_selectorELNS0_4arch9wavefront6targetE0EEEvT1_,@function
_ZN7rocprim17ROCPRIM_400000_NS6detail17trampoline_kernelINS0_14default_configENS1_25partition_config_selectorILNS1_17partition_subalgoE5EiNS0_10empty_typeEbEEZZNS1_14partition_implILS5_5ELb0ES3_mN6thrust23THRUST_200600_302600_NS6detail15normal_iteratorINSA_10device_ptrIiEEEEPS6_NSA_18transform_iteratorINSB_9not_fun_tI7is_trueIiEEESF_NSA_11use_defaultESM_EENS0_5tupleIJSF_S6_EEENSO_IJSG_SG_EEES6_PlJS6_EEE10hipError_tPvRmT3_T4_T5_T6_T7_T9_mT8_P12ihipStream_tbDpT10_ENKUlT_T0_E_clISt17integral_constantIbLb0EES1B_EEDaS16_S17_EUlS16_E_NS1_11comp_targetILNS1_3genE3ELNS1_11target_archE908ELNS1_3gpuE7ELNS1_3repE0EEENS1_30default_config_static_selectorELNS0_4arch9wavefront6targetE0EEEvT1_: ; @_ZN7rocprim17ROCPRIM_400000_NS6detail17trampoline_kernelINS0_14default_configENS1_25partition_config_selectorILNS1_17partition_subalgoE5EiNS0_10empty_typeEbEEZZNS1_14partition_implILS5_5ELb0ES3_mN6thrust23THRUST_200600_302600_NS6detail15normal_iteratorINSA_10device_ptrIiEEEEPS6_NSA_18transform_iteratorINSB_9not_fun_tI7is_trueIiEEESF_NSA_11use_defaultESM_EENS0_5tupleIJSF_S6_EEENSO_IJSG_SG_EEES6_PlJS6_EEE10hipError_tPvRmT3_T4_T5_T6_T7_T9_mT8_P12ihipStream_tbDpT10_ENKUlT_T0_E_clISt17integral_constantIbLb0EES1B_EEDaS16_S17_EUlS16_E_NS1_11comp_targetILNS1_3genE3ELNS1_11target_archE908ELNS1_3gpuE7ELNS1_3repE0EEENS1_30default_config_static_selectorELNS0_4arch9wavefront6targetE0EEEvT1_
; %bb.0:
	.section	.rodata,"a",@progbits
	.p2align	6, 0x0
	.amdhsa_kernel _ZN7rocprim17ROCPRIM_400000_NS6detail17trampoline_kernelINS0_14default_configENS1_25partition_config_selectorILNS1_17partition_subalgoE5EiNS0_10empty_typeEbEEZZNS1_14partition_implILS5_5ELb0ES3_mN6thrust23THRUST_200600_302600_NS6detail15normal_iteratorINSA_10device_ptrIiEEEEPS6_NSA_18transform_iteratorINSB_9not_fun_tI7is_trueIiEEESF_NSA_11use_defaultESM_EENS0_5tupleIJSF_S6_EEENSO_IJSG_SG_EEES6_PlJS6_EEE10hipError_tPvRmT3_T4_T5_T6_T7_T9_mT8_P12ihipStream_tbDpT10_ENKUlT_T0_E_clISt17integral_constantIbLb0EES1B_EEDaS16_S17_EUlS16_E_NS1_11comp_targetILNS1_3genE3ELNS1_11target_archE908ELNS1_3gpuE7ELNS1_3repE0EEENS1_30default_config_static_selectorELNS0_4arch9wavefront6targetE0EEEvT1_
		.amdhsa_group_segment_fixed_size 0
		.amdhsa_private_segment_fixed_size 0
		.amdhsa_kernarg_size 120
		.amdhsa_user_sgpr_count 2
		.amdhsa_user_sgpr_dispatch_ptr 0
		.amdhsa_user_sgpr_queue_ptr 0
		.amdhsa_user_sgpr_kernarg_segment_ptr 1
		.amdhsa_user_sgpr_dispatch_id 0
		.amdhsa_user_sgpr_private_segment_size 0
		.amdhsa_wavefront_size32 1
		.amdhsa_uses_dynamic_stack 0
		.amdhsa_enable_private_segment 0
		.amdhsa_system_sgpr_workgroup_id_x 1
		.amdhsa_system_sgpr_workgroup_id_y 0
		.amdhsa_system_sgpr_workgroup_id_z 0
		.amdhsa_system_sgpr_workgroup_info 0
		.amdhsa_system_vgpr_workitem_id 0
		.amdhsa_next_free_vgpr 1
		.amdhsa_next_free_sgpr 1
		.amdhsa_reserve_vcc 0
		.amdhsa_float_round_mode_32 0
		.amdhsa_float_round_mode_16_64 0
		.amdhsa_float_denorm_mode_32 3
		.amdhsa_float_denorm_mode_16_64 3
		.amdhsa_fp16_overflow 0
		.amdhsa_workgroup_processor_mode 1
		.amdhsa_memory_ordered 1
		.amdhsa_forward_progress 1
		.amdhsa_inst_pref_size 0
		.amdhsa_round_robin_scheduling 0
		.amdhsa_exception_fp_ieee_invalid_op 0
		.amdhsa_exception_fp_denorm_src 0
		.amdhsa_exception_fp_ieee_div_zero 0
		.amdhsa_exception_fp_ieee_overflow 0
		.amdhsa_exception_fp_ieee_underflow 0
		.amdhsa_exception_fp_ieee_inexact 0
		.amdhsa_exception_int_div_zero 0
	.end_amdhsa_kernel
	.section	.text._ZN7rocprim17ROCPRIM_400000_NS6detail17trampoline_kernelINS0_14default_configENS1_25partition_config_selectorILNS1_17partition_subalgoE5EiNS0_10empty_typeEbEEZZNS1_14partition_implILS5_5ELb0ES3_mN6thrust23THRUST_200600_302600_NS6detail15normal_iteratorINSA_10device_ptrIiEEEEPS6_NSA_18transform_iteratorINSB_9not_fun_tI7is_trueIiEEESF_NSA_11use_defaultESM_EENS0_5tupleIJSF_S6_EEENSO_IJSG_SG_EEES6_PlJS6_EEE10hipError_tPvRmT3_T4_T5_T6_T7_T9_mT8_P12ihipStream_tbDpT10_ENKUlT_T0_E_clISt17integral_constantIbLb0EES1B_EEDaS16_S17_EUlS16_E_NS1_11comp_targetILNS1_3genE3ELNS1_11target_archE908ELNS1_3gpuE7ELNS1_3repE0EEENS1_30default_config_static_selectorELNS0_4arch9wavefront6targetE0EEEvT1_,"axG",@progbits,_ZN7rocprim17ROCPRIM_400000_NS6detail17trampoline_kernelINS0_14default_configENS1_25partition_config_selectorILNS1_17partition_subalgoE5EiNS0_10empty_typeEbEEZZNS1_14partition_implILS5_5ELb0ES3_mN6thrust23THRUST_200600_302600_NS6detail15normal_iteratorINSA_10device_ptrIiEEEEPS6_NSA_18transform_iteratorINSB_9not_fun_tI7is_trueIiEEESF_NSA_11use_defaultESM_EENS0_5tupleIJSF_S6_EEENSO_IJSG_SG_EEES6_PlJS6_EEE10hipError_tPvRmT3_T4_T5_T6_T7_T9_mT8_P12ihipStream_tbDpT10_ENKUlT_T0_E_clISt17integral_constantIbLb0EES1B_EEDaS16_S17_EUlS16_E_NS1_11comp_targetILNS1_3genE3ELNS1_11target_archE908ELNS1_3gpuE7ELNS1_3repE0EEENS1_30default_config_static_selectorELNS0_4arch9wavefront6targetE0EEEvT1_,comdat
.Lfunc_end1503:
	.size	_ZN7rocprim17ROCPRIM_400000_NS6detail17trampoline_kernelINS0_14default_configENS1_25partition_config_selectorILNS1_17partition_subalgoE5EiNS0_10empty_typeEbEEZZNS1_14partition_implILS5_5ELb0ES3_mN6thrust23THRUST_200600_302600_NS6detail15normal_iteratorINSA_10device_ptrIiEEEEPS6_NSA_18transform_iteratorINSB_9not_fun_tI7is_trueIiEEESF_NSA_11use_defaultESM_EENS0_5tupleIJSF_S6_EEENSO_IJSG_SG_EEES6_PlJS6_EEE10hipError_tPvRmT3_T4_T5_T6_T7_T9_mT8_P12ihipStream_tbDpT10_ENKUlT_T0_E_clISt17integral_constantIbLb0EES1B_EEDaS16_S17_EUlS16_E_NS1_11comp_targetILNS1_3genE3ELNS1_11target_archE908ELNS1_3gpuE7ELNS1_3repE0EEENS1_30default_config_static_selectorELNS0_4arch9wavefront6targetE0EEEvT1_, .Lfunc_end1503-_ZN7rocprim17ROCPRIM_400000_NS6detail17trampoline_kernelINS0_14default_configENS1_25partition_config_selectorILNS1_17partition_subalgoE5EiNS0_10empty_typeEbEEZZNS1_14partition_implILS5_5ELb0ES3_mN6thrust23THRUST_200600_302600_NS6detail15normal_iteratorINSA_10device_ptrIiEEEEPS6_NSA_18transform_iteratorINSB_9not_fun_tI7is_trueIiEEESF_NSA_11use_defaultESM_EENS0_5tupleIJSF_S6_EEENSO_IJSG_SG_EEES6_PlJS6_EEE10hipError_tPvRmT3_T4_T5_T6_T7_T9_mT8_P12ihipStream_tbDpT10_ENKUlT_T0_E_clISt17integral_constantIbLb0EES1B_EEDaS16_S17_EUlS16_E_NS1_11comp_targetILNS1_3genE3ELNS1_11target_archE908ELNS1_3gpuE7ELNS1_3repE0EEENS1_30default_config_static_selectorELNS0_4arch9wavefront6targetE0EEEvT1_
                                        ; -- End function
	.set _ZN7rocprim17ROCPRIM_400000_NS6detail17trampoline_kernelINS0_14default_configENS1_25partition_config_selectorILNS1_17partition_subalgoE5EiNS0_10empty_typeEbEEZZNS1_14partition_implILS5_5ELb0ES3_mN6thrust23THRUST_200600_302600_NS6detail15normal_iteratorINSA_10device_ptrIiEEEEPS6_NSA_18transform_iteratorINSB_9not_fun_tI7is_trueIiEEESF_NSA_11use_defaultESM_EENS0_5tupleIJSF_S6_EEENSO_IJSG_SG_EEES6_PlJS6_EEE10hipError_tPvRmT3_T4_T5_T6_T7_T9_mT8_P12ihipStream_tbDpT10_ENKUlT_T0_E_clISt17integral_constantIbLb0EES1B_EEDaS16_S17_EUlS16_E_NS1_11comp_targetILNS1_3genE3ELNS1_11target_archE908ELNS1_3gpuE7ELNS1_3repE0EEENS1_30default_config_static_selectorELNS0_4arch9wavefront6targetE0EEEvT1_.num_vgpr, 0
	.set _ZN7rocprim17ROCPRIM_400000_NS6detail17trampoline_kernelINS0_14default_configENS1_25partition_config_selectorILNS1_17partition_subalgoE5EiNS0_10empty_typeEbEEZZNS1_14partition_implILS5_5ELb0ES3_mN6thrust23THRUST_200600_302600_NS6detail15normal_iteratorINSA_10device_ptrIiEEEEPS6_NSA_18transform_iteratorINSB_9not_fun_tI7is_trueIiEEESF_NSA_11use_defaultESM_EENS0_5tupleIJSF_S6_EEENSO_IJSG_SG_EEES6_PlJS6_EEE10hipError_tPvRmT3_T4_T5_T6_T7_T9_mT8_P12ihipStream_tbDpT10_ENKUlT_T0_E_clISt17integral_constantIbLb0EES1B_EEDaS16_S17_EUlS16_E_NS1_11comp_targetILNS1_3genE3ELNS1_11target_archE908ELNS1_3gpuE7ELNS1_3repE0EEENS1_30default_config_static_selectorELNS0_4arch9wavefront6targetE0EEEvT1_.num_agpr, 0
	.set _ZN7rocprim17ROCPRIM_400000_NS6detail17trampoline_kernelINS0_14default_configENS1_25partition_config_selectorILNS1_17partition_subalgoE5EiNS0_10empty_typeEbEEZZNS1_14partition_implILS5_5ELb0ES3_mN6thrust23THRUST_200600_302600_NS6detail15normal_iteratorINSA_10device_ptrIiEEEEPS6_NSA_18transform_iteratorINSB_9not_fun_tI7is_trueIiEEESF_NSA_11use_defaultESM_EENS0_5tupleIJSF_S6_EEENSO_IJSG_SG_EEES6_PlJS6_EEE10hipError_tPvRmT3_T4_T5_T6_T7_T9_mT8_P12ihipStream_tbDpT10_ENKUlT_T0_E_clISt17integral_constantIbLb0EES1B_EEDaS16_S17_EUlS16_E_NS1_11comp_targetILNS1_3genE3ELNS1_11target_archE908ELNS1_3gpuE7ELNS1_3repE0EEENS1_30default_config_static_selectorELNS0_4arch9wavefront6targetE0EEEvT1_.numbered_sgpr, 0
	.set _ZN7rocprim17ROCPRIM_400000_NS6detail17trampoline_kernelINS0_14default_configENS1_25partition_config_selectorILNS1_17partition_subalgoE5EiNS0_10empty_typeEbEEZZNS1_14partition_implILS5_5ELb0ES3_mN6thrust23THRUST_200600_302600_NS6detail15normal_iteratorINSA_10device_ptrIiEEEEPS6_NSA_18transform_iteratorINSB_9not_fun_tI7is_trueIiEEESF_NSA_11use_defaultESM_EENS0_5tupleIJSF_S6_EEENSO_IJSG_SG_EEES6_PlJS6_EEE10hipError_tPvRmT3_T4_T5_T6_T7_T9_mT8_P12ihipStream_tbDpT10_ENKUlT_T0_E_clISt17integral_constantIbLb0EES1B_EEDaS16_S17_EUlS16_E_NS1_11comp_targetILNS1_3genE3ELNS1_11target_archE908ELNS1_3gpuE7ELNS1_3repE0EEENS1_30default_config_static_selectorELNS0_4arch9wavefront6targetE0EEEvT1_.num_named_barrier, 0
	.set _ZN7rocprim17ROCPRIM_400000_NS6detail17trampoline_kernelINS0_14default_configENS1_25partition_config_selectorILNS1_17partition_subalgoE5EiNS0_10empty_typeEbEEZZNS1_14partition_implILS5_5ELb0ES3_mN6thrust23THRUST_200600_302600_NS6detail15normal_iteratorINSA_10device_ptrIiEEEEPS6_NSA_18transform_iteratorINSB_9not_fun_tI7is_trueIiEEESF_NSA_11use_defaultESM_EENS0_5tupleIJSF_S6_EEENSO_IJSG_SG_EEES6_PlJS6_EEE10hipError_tPvRmT3_T4_T5_T6_T7_T9_mT8_P12ihipStream_tbDpT10_ENKUlT_T0_E_clISt17integral_constantIbLb0EES1B_EEDaS16_S17_EUlS16_E_NS1_11comp_targetILNS1_3genE3ELNS1_11target_archE908ELNS1_3gpuE7ELNS1_3repE0EEENS1_30default_config_static_selectorELNS0_4arch9wavefront6targetE0EEEvT1_.private_seg_size, 0
	.set _ZN7rocprim17ROCPRIM_400000_NS6detail17trampoline_kernelINS0_14default_configENS1_25partition_config_selectorILNS1_17partition_subalgoE5EiNS0_10empty_typeEbEEZZNS1_14partition_implILS5_5ELb0ES3_mN6thrust23THRUST_200600_302600_NS6detail15normal_iteratorINSA_10device_ptrIiEEEEPS6_NSA_18transform_iteratorINSB_9not_fun_tI7is_trueIiEEESF_NSA_11use_defaultESM_EENS0_5tupleIJSF_S6_EEENSO_IJSG_SG_EEES6_PlJS6_EEE10hipError_tPvRmT3_T4_T5_T6_T7_T9_mT8_P12ihipStream_tbDpT10_ENKUlT_T0_E_clISt17integral_constantIbLb0EES1B_EEDaS16_S17_EUlS16_E_NS1_11comp_targetILNS1_3genE3ELNS1_11target_archE908ELNS1_3gpuE7ELNS1_3repE0EEENS1_30default_config_static_selectorELNS0_4arch9wavefront6targetE0EEEvT1_.uses_vcc, 0
	.set _ZN7rocprim17ROCPRIM_400000_NS6detail17trampoline_kernelINS0_14default_configENS1_25partition_config_selectorILNS1_17partition_subalgoE5EiNS0_10empty_typeEbEEZZNS1_14partition_implILS5_5ELb0ES3_mN6thrust23THRUST_200600_302600_NS6detail15normal_iteratorINSA_10device_ptrIiEEEEPS6_NSA_18transform_iteratorINSB_9not_fun_tI7is_trueIiEEESF_NSA_11use_defaultESM_EENS0_5tupleIJSF_S6_EEENSO_IJSG_SG_EEES6_PlJS6_EEE10hipError_tPvRmT3_T4_T5_T6_T7_T9_mT8_P12ihipStream_tbDpT10_ENKUlT_T0_E_clISt17integral_constantIbLb0EES1B_EEDaS16_S17_EUlS16_E_NS1_11comp_targetILNS1_3genE3ELNS1_11target_archE908ELNS1_3gpuE7ELNS1_3repE0EEENS1_30default_config_static_selectorELNS0_4arch9wavefront6targetE0EEEvT1_.uses_flat_scratch, 0
	.set _ZN7rocprim17ROCPRIM_400000_NS6detail17trampoline_kernelINS0_14default_configENS1_25partition_config_selectorILNS1_17partition_subalgoE5EiNS0_10empty_typeEbEEZZNS1_14partition_implILS5_5ELb0ES3_mN6thrust23THRUST_200600_302600_NS6detail15normal_iteratorINSA_10device_ptrIiEEEEPS6_NSA_18transform_iteratorINSB_9not_fun_tI7is_trueIiEEESF_NSA_11use_defaultESM_EENS0_5tupleIJSF_S6_EEENSO_IJSG_SG_EEES6_PlJS6_EEE10hipError_tPvRmT3_T4_T5_T6_T7_T9_mT8_P12ihipStream_tbDpT10_ENKUlT_T0_E_clISt17integral_constantIbLb0EES1B_EEDaS16_S17_EUlS16_E_NS1_11comp_targetILNS1_3genE3ELNS1_11target_archE908ELNS1_3gpuE7ELNS1_3repE0EEENS1_30default_config_static_selectorELNS0_4arch9wavefront6targetE0EEEvT1_.has_dyn_sized_stack, 0
	.set _ZN7rocprim17ROCPRIM_400000_NS6detail17trampoline_kernelINS0_14default_configENS1_25partition_config_selectorILNS1_17partition_subalgoE5EiNS0_10empty_typeEbEEZZNS1_14partition_implILS5_5ELb0ES3_mN6thrust23THRUST_200600_302600_NS6detail15normal_iteratorINSA_10device_ptrIiEEEEPS6_NSA_18transform_iteratorINSB_9not_fun_tI7is_trueIiEEESF_NSA_11use_defaultESM_EENS0_5tupleIJSF_S6_EEENSO_IJSG_SG_EEES6_PlJS6_EEE10hipError_tPvRmT3_T4_T5_T6_T7_T9_mT8_P12ihipStream_tbDpT10_ENKUlT_T0_E_clISt17integral_constantIbLb0EES1B_EEDaS16_S17_EUlS16_E_NS1_11comp_targetILNS1_3genE3ELNS1_11target_archE908ELNS1_3gpuE7ELNS1_3repE0EEENS1_30default_config_static_selectorELNS0_4arch9wavefront6targetE0EEEvT1_.has_recursion, 0
	.set _ZN7rocprim17ROCPRIM_400000_NS6detail17trampoline_kernelINS0_14default_configENS1_25partition_config_selectorILNS1_17partition_subalgoE5EiNS0_10empty_typeEbEEZZNS1_14partition_implILS5_5ELb0ES3_mN6thrust23THRUST_200600_302600_NS6detail15normal_iteratorINSA_10device_ptrIiEEEEPS6_NSA_18transform_iteratorINSB_9not_fun_tI7is_trueIiEEESF_NSA_11use_defaultESM_EENS0_5tupleIJSF_S6_EEENSO_IJSG_SG_EEES6_PlJS6_EEE10hipError_tPvRmT3_T4_T5_T6_T7_T9_mT8_P12ihipStream_tbDpT10_ENKUlT_T0_E_clISt17integral_constantIbLb0EES1B_EEDaS16_S17_EUlS16_E_NS1_11comp_targetILNS1_3genE3ELNS1_11target_archE908ELNS1_3gpuE7ELNS1_3repE0EEENS1_30default_config_static_selectorELNS0_4arch9wavefront6targetE0EEEvT1_.has_indirect_call, 0
	.section	.AMDGPU.csdata,"",@progbits
; Kernel info:
; codeLenInByte = 0
; TotalNumSgprs: 0
; NumVgprs: 0
; ScratchSize: 0
; MemoryBound: 0
; FloatMode: 240
; IeeeMode: 1
; LDSByteSize: 0 bytes/workgroup (compile time only)
; SGPRBlocks: 0
; VGPRBlocks: 0
; NumSGPRsForWavesPerEU: 1
; NumVGPRsForWavesPerEU: 1
; Occupancy: 16
; WaveLimiterHint : 0
; COMPUTE_PGM_RSRC2:SCRATCH_EN: 0
; COMPUTE_PGM_RSRC2:USER_SGPR: 2
; COMPUTE_PGM_RSRC2:TRAP_HANDLER: 0
; COMPUTE_PGM_RSRC2:TGID_X_EN: 1
; COMPUTE_PGM_RSRC2:TGID_Y_EN: 0
; COMPUTE_PGM_RSRC2:TGID_Z_EN: 0
; COMPUTE_PGM_RSRC2:TIDIG_COMP_CNT: 0
	.section	.text._ZN7rocprim17ROCPRIM_400000_NS6detail17trampoline_kernelINS0_14default_configENS1_25partition_config_selectorILNS1_17partition_subalgoE5EiNS0_10empty_typeEbEEZZNS1_14partition_implILS5_5ELb0ES3_mN6thrust23THRUST_200600_302600_NS6detail15normal_iteratorINSA_10device_ptrIiEEEEPS6_NSA_18transform_iteratorINSB_9not_fun_tI7is_trueIiEEESF_NSA_11use_defaultESM_EENS0_5tupleIJSF_S6_EEENSO_IJSG_SG_EEES6_PlJS6_EEE10hipError_tPvRmT3_T4_T5_T6_T7_T9_mT8_P12ihipStream_tbDpT10_ENKUlT_T0_E_clISt17integral_constantIbLb0EES1B_EEDaS16_S17_EUlS16_E_NS1_11comp_targetILNS1_3genE2ELNS1_11target_archE906ELNS1_3gpuE6ELNS1_3repE0EEENS1_30default_config_static_selectorELNS0_4arch9wavefront6targetE0EEEvT1_,"axG",@progbits,_ZN7rocprim17ROCPRIM_400000_NS6detail17trampoline_kernelINS0_14default_configENS1_25partition_config_selectorILNS1_17partition_subalgoE5EiNS0_10empty_typeEbEEZZNS1_14partition_implILS5_5ELb0ES3_mN6thrust23THRUST_200600_302600_NS6detail15normal_iteratorINSA_10device_ptrIiEEEEPS6_NSA_18transform_iteratorINSB_9not_fun_tI7is_trueIiEEESF_NSA_11use_defaultESM_EENS0_5tupleIJSF_S6_EEENSO_IJSG_SG_EEES6_PlJS6_EEE10hipError_tPvRmT3_T4_T5_T6_T7_T9_mT8_P12ihipStream_tbDpT10_ENKUlT_T0_E_clISt17integral_constantIbLb0EES1B_EEDaS16_S17_EUlS16_E_NS1_11comp_targetILNS1_3genE2ELNS1_11target_archE906ELNS1_3gpuE6ELNS1_3repE0EEENS1_30default_config_static_selectorELNS0_4arch9wavefront6targetE0EEEvT1_,comdat
	.protected	_ZN7rocprim17ROCPRIM_400000_NS6detail17trampoline_kernelINS0_14default_configENS1_25partition_config_selectorILNS1_17partition_subalgoE5EiNS0_10empty_typeEbEEZZNS1_14partition_implILS5_5ELb0ES3_mN6thrust23THRUST_200600_302600_NS6detail15normal_iteratorINSA_10device_ptrIiEEEEPS6_NSA_18transform_iteratorINSB_9not_fun_tI7is_trueIiEEESF_NSA_11use_defaultESM_EENS0_5tupleIJSF_S6_EEENSO_IJSG_SG_EEES6_PlJS6_EEE10hipError_tPvRmT3_T4_T5_T6_T7_T9_mT8_P12ihipStream_tbDpT10_ENKUlT_T0_E_clISt17integral_constantIbLb0EES1B_EEDaS16_S17_EUlS16_E_NS1_11comp_targetILNS1_3genE2ELNS1_11target_archE906ELNS1_3gpuE6ELNS1_3repE0EEENS1_30default_config_static_selectorELNS0_4arch9wavefront6targetE0EEEvT1_ ; -- Begin function _ZN7rocprim17ROCPRIM_400000_NS6detail17trampoline_kernelINS0_14default_configENS1_25partition_config_selectorILNS1_17partition_subalgoE5EiNS0_10empty_typeEbEEZZNS1_14partition_implILS5_5ELb0ES3_mN6thrust23THRUST_200600_302600_NS6detail15normal_iteratorINSA_10device_ptrIiEEEEPS6_NSA_18transform_iteratorINSB_9not_fun_tI7is_trueIiEEESF_NSA_11use_defaultESM_EENS0_5tupleIJSF_S6_EEENSO_IJSG_SG_EEES6_PlJS6_EEE10hipError_tPvRmT3_T4_T5_T6_T7_T9_mT8_P12ihipStream_tbDpT10_ENKUlT_T0_E_clISt17integral_constantIbLb0EES1B_EEDaS16_S17_EUlS16_E_NS1_11comp_targetILNS1_3genE2ELNS1_11target_archE906ELNS1_3gpuE6ELNS1_3repE0EEENS1_30default_config_static_selectorELNS0_4arch9wavefront6targetE0EEEvT1_
	.globl	_ZN7rocprim17ROCPRIM_400000_NS6detail17trampoline_kernelINS0_14default_configENS1_25partition_config_selectorILNS1_17partition_subalgoE5EiNS0_10empty_typeEbEEZZNS1_14partition_implILS5_5ELb0ES3_mN6thrust23THRUST_200600_302600_NS6detail15normal_iteratorINSA_10device_ptrIiEEEEPS6_NSA_18transform_iteratorINSB_9not_fun_tI7is_trueIiEEESF_NSA_11use_defaultESM_EENS0_5tupleIJSF_S6_EEENSO_IJSG_SG_EEES6_PlJS6_EEE10hipError_tPvRmT3_T4_T5_T6_T7_T9_mT8_P12ihipStream_tbDpT10_ENKUlT_T0_E_clISt17integral_constantIbLb0EES1B_EEDaS16_S17_EUlS16_E_NS1_11comp_targetILNS1_3genE2ELNS1_11target_archE906ELNS1_3gpuE6ELNS1_3repE0EEENS1_30default_config_static_selectorELNS0_4arch9wavefront6targetE0EEEvT1_
	.p2align	8
	.type	_ZN7rocprim17ROCPRIM_400000_NS6detail17trampoline_kernelINS0_14default_configENS1_25partition_config_selectorILNS1_17partition_subalgoE5EiNS0_10empty_typeEbEEZZNS1_14partition_implILS5_5ELb0ES3_mN6thrust23THRUST_200600_302600_NS6detail15normal_iteratorINSA_10device_ptrIiEEEEPS6_NSA_18transform_iteratorINSB_9not_fun_tI7is_trueIiEEESF_NSA_11use_defaultESM_EENS0_5tupleIJSF_S6_EEENSO_IJSG_SG_EEES6_PlJS6_EEE10hipError_tPvRmT3_T4_T5_T6_T7_T9_mT8_P12ihipStream_tbDpT10_ENKUlT_T0_E_clISt17integral_constantIbLb0EES1B_EEDaS16_S17_EUlS16_E_NS1_11comp_targetILNS1_3genE2ELNS1_11target_archE906ELNS1_3gpuE6ELNS1_3repE0EEENS1_30default_config_static_selectorELNS0_4arch9wavefront6targetE0EEEvT1_,@function
_ZN7rocprim17ROCPRIM_400000_NS6detail17trampoline_kernelINS0_14default_configENS1_25partition_config_selectorILNS1_17partition_subalgoE5EiNS0_10empty_typeEbEEZZNS1_14partition_implILS5_5ELb0ES3_mN6thrust23THRUST_200600_302600_NS6detail15normal_iteratorINSA_10device_ptrIiEEEEPS6_NSA_18transform_iteratorINSB_9not_fun_tI7is_trueIiEEESF_NSA_11use_defaultESM_EENS0_5tupleIJSF_S6_EEENSO_IJSG_SG_EEES6_PlJS6_EEE10hipError_tPvRmT3_T4_T5_T6_T7_T9_mT8_P12ihipStream_tbDpT10_ENKUlT_T0_E_clISt17integral_constantIbLb0EES1B_EEDaS16_S17_EUlS16_E_NS1_11comp_targetILNS1_3genE2ELNS1_11target_archE906ELNS1_3gpuE6ELNS1_3repE0EEENS1_30default_config_static_selectorELNS0_4arch9wavefront6targetE0EEEvT1_: ; @_ZN7rocprim17ROCPRIM_400000_NS6detail17trampoline_kernelINS0_14default_configENS1_25partition_config_selectorILNS1_17partition_subalgoE5EiNS0_10empty_typeEbEEZZNS1_14partition_implILS5_5ELb0ES3_mN6thrust23THRUST_200600_302600_NS6detail15normal_iteratorINSA_10device_ptrIiEEEEPS6_NSA_18transform_iteratorINSB_9not_fun_tI7is_trueIiEEESF_NSA_11use_defaultESM_EENS0_5tupleIJSF_S6_EEENSO_IJSG_SG_EEES6_PlJS6_EEE10hipError_tPvRmT3_T4_T5_T6_T7_T9_mT8_P12ihipStream_tbDpT10_ENKUlT_T0_E_clISt17integral_constantIbLb0EES1B_EEDaS16_S17_EUlS16_E_NS1_11comp_targetILNS1_3genE2ELNS1_11target_archE906ELNS1_3gpuE6ELNS1_3repE0EEENS1_30default_config_static_selectorELNS0_4arch9wavefront6targetE0EEEvT1_
; %bb.0:
	.section	.rodata,"a",@progbits
	.p2align	6, 0x0
	.amdhsa_kernel _ZN7rocprim17ROCPRIM_400000_NS6detail17trampoline_kernelINS0_14default_configENS1_25partition_config_selectorILNS1_17partition_subalgoE5EiNS0_10empty_typeEbEEZZNS1_14partition_implILS5_5ELb0ES3_mN6thrust23THRUST_200600_302600_NS6detail15normal_iteratorINSA_10device_ptrIiEEEEPS6_NSA_18transform_iteratorINSB_9not_fun_tI7is_trueIiEEESF_NSA_11use_defaultESM_EENS0_5tupleIJSF_S6_EEENSO_IJSG_SG_EEES6_PlJS6_EEE10hipError_tPvRmT3_T4_T5_T6_T7_T9_mT8_P12ihipStream_tbDpT10_ENKUlT_T0_E_clISt17integral_constantIbLb0EES1B_EEDaS16_S17_EUlS16_E_NS1_11comp_targetILNS1_3genE2ELNS1_11target_archE906ELNS1_3gpuE6ELNS1_3repE0EEENS1_30default_config_static_selectorELNS0_4arch9wavefront6targetE0EEEvT1_
		.amdhsa_group_segment_fixed_size 0
		.amdhsa_private_segment_fixed_size 0
		.amdhsa_kernarg_size 120
		.amdhsa_user_sgpr_count 2
		.amdhsa_user_sgpr_dispatch_ptr 0
		.amdhsa_user_sgpr_queue_ptr 0
		.amdhsa_user_sgpr_kernarg_segment_ptr 1
		.amdhsa_user_sgpr_dispatch_id 0
		.amdhsa_user_sgpr_private_segment_size 0
		.amdhsa_wavefront_size32 1
		.amdhsa_uses_dynamic_stack 0
		.amdhsa_enable_private_segment 0
		.amdhsa_system_sgpr_workgroup_id_x 1
		.amdhsa_system_sgpr_workgroup_id_y 0
		.amdhsa_system_sgpr_workgroup_id_z 0
		.amdhsa_system_sgpr_workgroup_info 0
		.amdhsa_system_vgpr_workitem_id 0
		.amdhsa_next_free_vgpr 1
		.amdhsa_next_free_sgpr 1
		.amdhsa_reserve_vcc 0
		.amdhsa_float_round_mode_32 0
		.amdhsa_float_round_mode_16_64 0
		.amdhsa_float_denorm_mode_32 3
		.amdhsa_float_denorm_mode_16_64 3
		.amdhsa_fp16_overflow 0
		.amdhsa_workgroup_processor_mode 1
		.amdhsa_memory_ordered 1
		.amdhsa_forward_progress 1
		.amdhsa_inst_pref_size 0
		.amdhsa_round_robin_scheduling 0
		.amdhsa_exception_fp_ieee_invalid_op 0
		.amdhsa_exception_fp_denorm_src 0
		.amdhsa_exception_fp_ieee_div_zero 0
		.amdhsa_exception_fp_ieee_overflow 0
		.amdhsa_exception_fp_ieee_underflow 0
		.amdhsa_exception_fp_ieee_inexact 0
		.amdhsa_exception_int_div_zero 0
	.end_amdhsa_kernel
	.section	.text._ZN7rocprim17ROCPRIM_400000_NS6detail17trampoline_kernelINS0_14default_configENS1_25partition_config_selectorILNS1_17partition_subalgoE5EiNS0_10empty_typeEbEEZZNS1_14partition_implILS5_5ELb0ES3_mN6thrust23THRUST_200600_302600_NS6detail15normal_iteratorINSA_10device_ptrIiEEEEPS6_NSA_18transform_iteratorINSB_9not_fun_tI7is_trueIiEEESF_NSA_11use_defaultESM_EENS0_5tupleIJSF_S6_EEENSO_IJSG_SG_EEES6_PlJS6_EEE10hipError_tPvRmT3_T4_T5_T6_T7_T9_mT8_P12ihipStream_tbDpT10_ENKUlT_T0_E_clISt17integral_constantIbLb0EES1B_EEDaS16_S17_EUlS16_E_NS1_11comp_targetILNS1_3genE2ELNS1_11target_archE906ELNS1_3gpuE6ELNS1_3repE0EEENS1_30default_config_static_selectorELNS0_4arch9wavefront6targetE0EEEvT1_,"axG",@progbits,_ZN7rocprim17ROCPRIM_400000_NS6detail17trampoline_kernelINS0_14default_configENS1_25partition_config_selectorILNS1_17partition_subalgoE5EiNS0_10empty_typeEbEEZZNS1_14partition_implILS5_5ELb0ES3_mN6thrust23THRUST_200600_302600_NS6detail15normal_iteratorINSA_10device_ptrIiEEEEPS6_NSA_18transform_iteratorINSB_9not_fun_tI7is_trueIiEEESF_NSA_11use_defaultESM_EENS0_5tupleIJSF_S6_EEENSO_IJSG_SG_EEES6_PlJS6_EEE10hipError_tPvRmT3_T4_T5_T6_T7_T9_mT8_P12ihipStream_tbDpT10_ENKUlT_T0_E_clISt17integral_constantIbLb0EES1B_EEDaS16_S17_EUlS16_E_NS1_11comp_targetILNS1_3genE2ELNS1_11target_archE906ELNS1_3gpuE6ELNS1_3repE0EEENS1_30default_config_static_selectorELNS0_4arch9wavefront6targetE0EEEvT1_,comdat
.Lfunc_end1504:
	.size	_ZN7rocprim17ROCPRIM_400000_NS6detail17trampoline_kernelINS0_14default_configENS1_25partition_config_selectorILNS1_17partition_subalgoE5EiNS0_10empty_typeEbEEZZNS1_14partition_implILS5_5ELb0ES3_mN6thrust23THRUST_200600_302600_NS6detail15normal_iteratorINSA_10device_ptrIiEEEEPS6_NSA_18transform_iteratorINSB_9not_fun_tI7is_trueIiEEESF_NSA_11use_defaultESM_EENS0_5tupleIJSF_S6_EEENSO_IJSG_SG_EEES6_PlJS6_EEE10hipError_tPvRmT3_T4_T5_T6_T7_T9_mT8_P12ihipStream_tbDpT10_ENKUlT_T0_E_clISt17integral_constantIbLb0EES1B_EEDaS16_S17_EUlS16_E_NS1_11comp_targetILNS1_3genE2ELNS1_11target_archE906ELNS1_3gpuE6ELNS1_3repE0EEENS1_30default_config_static_selectorELNS0_4arch9wavefront6targetE0EEEvT1_, .Lfunc_end1504-_ZN7rocprim17ROCPRIM_400000_NS6detail17trampoline_kernelINS0_14default_configENS1_25partition_config_selectorILNS1_17partition_subalgoE5EiNS0_10empty_typeEbEEZZNS1_14partition_implILS5_5ELb0ES3_mN6thrust23THRUST_200600_302600_NS6detail15normal_iteratorINSA_10device_ptrIiEEEEPS6_NSA_18transform_iteratorINSB_9not_fun_tI7is_trueIiEEESF_NSA_11use_defaultESM_EENS0_5tupleIJSF_S6_EEENSO_IJSG_SG_EEES6_PlJS6_EEE10hipError_tPvRmT3_T4_T5_T6_T7_T9_mT8_P12ihipStream_tbDpT10_ENKUlT_T0_E_clISt17integral_constantIbLb0EES1B_EEDaS16_S17_EUlS16_E_NS1_11comp_targetILNS1_3genE2ELNS1_11target_archE906ELNS1_3gpuE6ELNS1_3repE0EEENS1_30default_config_static_selectorELNS0_4arch9wavefront6targetE0EEEvT1_
                                        ; -- End function
	.set _ZN7rocprim17ROCPRIM_400000_NS6detail17trampoline_kernelINS0_14default_configENS1_25partition_config_selectorILNS1_17partition_subalgoE5EiNS0_10empty_typeEbEEZZNS1_14partition_implILS5_5ELb0ES3_mN6thrust23THRUST_200600_302600_NS6detail15normal_iteratorINSA_10device_ptrIiEEEEPS6_NSA_18transform_iteratorINSB_9not_fun_tI7is_trueIiEEESF_NSA_11use_defaultESM_EENS0_5tupleIJSF_S6_EEENSO_IJSG_SG_EEES6_PlJS6_EEE10hipError_tPvRmT3_T4_T5_T6_T7_T9_mT8_P12ihipStream_tbDpT10_ENKUlT_T0_E_clISt17integral_constantIbLb0EES1B_EEDaS16_S17_EUlS16_E_NS1_11comp_targetILNS1_3genE2ELNS1_11target_archE906ELNS1_3gpuE6ELNS1_3repE0EEENS1_30default_config_static_selectorELNS0_4arch9wavefront6targetE0EEEvT1_.num_vgpr, 0
	.set _ZN7rocprim17ROCPRIM_400000_NS6detail17trampoline_kernelINS0_14default_configENS1_25partition_config_selectorILNS1_17partition_subalgoE5EiNS0_10empty_typeEbEEZZNS1_14partition_implILS5_5ELb0ES3_mN6thrust23THRUST_200600_302600_NS6detail15normal_iteratorINSA_10device_ptrIiEEEEPS6_NSA_18transform_iteratorINSB_9not_fun_tI7is_trueIiEEESF_NSA_11use_defaultESM_EENS0_5tupleIJSF_S6_EEENSO_IJSG_SG_EEES6_PlJS6_EEE10hipError_tPvRmT3_T4_T5_T6_T7_T9_mT8_P12ihipStream_tbDpT10_ENKUlT_T0_E_clISt17integral_constantIbLb0EES1B_EEDaS16_S17_EUlS16_E_NS1_11comp_targetILNS1_3genE2ELNS1_11target_archE906ELNS1_3gpuE6ELNS1_3repE0EEENS1_30default_config_static_selectorELNS0_4arch9wavefront6targetE0EEEvT1_.num_agpr, 0
	.set _ZN7rocprim17ROCPRIM_400000_NS6detail17trampoline_kernelINS0_14default_configENS1_25partition_config_selectorILNS1_17partition_subalgoE5EiNS0_10empty_typeEbEEZZNS1_14partition_implILS5_5ELb0ES3_mN6thrust23THRUST_200600_302600_NS6detail15normal_iteratorINSA_10device_ptrIiEEEEPS6_NSA_18transform_iteratorINSB_9not_fun_tI7is_trueIiEEESF_NSA_11use_defaultESM_EENS0_5tupleIJSF_S6_EEENSO_IJSG_SG_EEES6_PlJS6_EEE10hipError_tPvRmT3_T4_T5_T6_T7_T9_mT8_P12ihipStream_tbDpT10_ENKUlT_T0_E_clISt17integral_constantIbLb0EES1B_EEDaS16_S17_EUlS16_E_NS1_11comp_targetILNS1_3genE2ELNS1_11target_archE906ELNS1_3gpuE6ELNS1_3repE0EEENS1_30default_config_static_selectorELNS0_4arch9wavefront6targetE0EEEvT1_.numbered_sgpr, 0
	.set _ZN7rocprim17ROCPRIM_400000_NS6detail17trampoline_kernelINS0_14default_configENS1_25partition_config_selectorILNS1_17partition_subalgoE5EiNS0_10empty_typeEbEEZZNS1_14partition_implILS5_5ELb0ES3_mN6thrust23THRUST_200600_302600_NS6detail15normal_iteratorINSA_10device_ptrIiEEEEPS6_NSA_18transform_iteratorINSB_9not_fun_tI7is_trueIiEEESF_NSA_11use_defaultESM_EENS0_5tupleIJSF_S6_EEENSO_IJSG_SG_EEES6_PlJS6_EEE10hipError_tPvRmT3_T4_T5_T6_T7_T9_mT8_P12ihipStream_tbDpT10_ENKUlT_T0_E_clISt17integral_constantIbLb0EES1B_EEDaS16_S17_EUlS16_E_NS1_11comp_targetILNS1_3genE2ELNS1_11target_archE906ELNS1_3gpuE6ELNS1_3repE0EEENS1_30default_config_static_selectorELNS0_4arch9wavefront6targetE0EEEvT1_.num_named_barrier, 0
	.set _ZN7rocprim17ROCPRIM_400000_NS6detail17trampoline_kernelINS0_14default_configENS1_25partition_config_selectorILNS1_17partition_subalgoE5EiNS0_10empty_typeEbEEZZNS1_14partition_implILS5_5ELb0ES3_mN6thrust23THRUST_200600_302600_NS6detail15normal_iteratorINSA_10device_ptrIiEEEEPS6_NSA_18transform_iteratorINSB_9not_fun_tI7is_trueIiEEESF_NSA_11use_defaultESM_EENS0_5tupleIJSF_S6_EEENSO_IJSG_SG_EEES6_PlJS6_EEE10hipError_tPvRmT3_T4_T5_T6_T7_T9_mT8_P12ihipStream_tbDpT10_ENKUlT_T0_E_clISt17integral_constantIbLb0EES1B_EEDaS16_S17_EUlS16_E_NS1_11comp_targetILNS1_3genE2ELNS1_11target_archE906ELNS1_3gpuE6ELNS1_3repE0EEENS1_30default_config_static_selectorELNS0_4arch9wavefront6targetE0EEEvT1_.private_seg_size, 0
	.set _ZN7rocprim17ROCPRIM_400000_NS6detail17trampoline_kernelINS0_14default_configENS1_25partition_config_selectorILNS1_17partition_subalgoE5EiNS0_10empty_typeEbEEZZNS1_14partition_implILS5_5ELb0ES3_mN6thrust23THRUST_200600_302600_NS6detail15normal_iteratorINSA_10device_ptrIiEEEEPS6_NSA_18transform_iteratorINSB_9not_fun_tI7is_trueIiEEESF_NSA_11use_defaultESM_EENS0_5tupleIJSF_S6_EEENSO_IJSG_SG_EEES6_PlJS6_EEE10hipError_tPvRmT3_T4_T5_T6_T7_T9_mT8_P12ihipStream_tbDpT10_ENKUlT_T0_E_clISt17integral_constantIbLb0EES1B_EEDaS16_S17_EUlS16_E_NS1_11comp_targetILNS1_3genE2ELNS1_11target_archE906ELNS1_3gpuE6ELNS1_3repE0EEENS1_30default_config_static_selectorELNS0_4arch9wavefront6targetE0EEEvT1_.uses_vcc, 0
	.set _ZN7rocprim17ROCPRIM_400000_NS6detail17trampoline_kernelINS0_14default_configENS1_25partition_config_selectorILNS1_17partition_subalgoE5EiNS0_10empty_typeEbEEZZNS1_14partition_implILS5_5ELb0ES3_mN6thrust23THRUST_200600_302600_NS6detail15normal_iteratorINSA_10device_ptrIiEEEEPS6_NSA_18transform_iteratorINSB_9not_fun_tI7is_trueIiEEESF_NSA_11use_defaultESM_EENS0_5tupleIJSF_S6_EEENSO_IJSG_SG_EEES6_PlJS6_EEE10hipError_tPvRmT3_T4_T5_T6_T7_T9_mT8_P12ihipStream_tbDpT10_ENKUlT_T0_E_clISt17integral_constantIbLb0EES1B_EEDaS16_S17_EUlS16_E_NS1_11comp_targetILNS1_3genE2ELNS1_11target_archE906ELNS1_3gpuE6ELNS1_3repE0EEENS1_30default_config_static_selectorELNS0_4arch9wavefront6targetE0EEEvT1_.uses_flat_scratch, 0
	.set _ZN7rocprim17ROCPRIM_400000_NS6detail17trampoline_kernelINS0_14default_configENS1_25partition_config_selectorILNS1_17partition_subalgoE5EiNS0_10empty_typeEbEEZZNS1_14partition_implILS5_5ELb0ES3_mN6thrust23THRUST_200600_302600_NS6detail15normal_iteratorINSA_10device_ptrIiEEEEPS6_NSA_18transform_iteratorINSB_9not_fun_tI7is_trueIiEEESF_NSA_11use_defaultESM_EENS0_5tupleIJSF_S6_EEENSO_IJSG_SG_EEES6_PlJS6_EEE10hipError_tPvRmT3_T4_T5_T6_T7_T9_mT8_P12ihipStream_tbDpT10_ENKUlT_T0_E_clISt17integral_constantIbLb0EES1B_EEDaS16_S17_EUlS16_E_NS1_11comp_targetILNS1_3genE2ELNS1_11target_archE906ELNS1_3gpuE6ELNS1_3repE0EEENS1_30default_config_static_selectorELNS0_4arch9wavefront6targetE0EEEvT1_.has_dyn_sized_stack, 0
	.set _ZN7rocprim17ROCPRIM_400000_NS6detail17trampoline_kernelINS0_14default_configENS1_25partition_config_selectorILNS1_17partition_subalgoE5EiNS0_10empty_typeEbEEZZNS1_14partition_implILS5_5ELb0ES3_mN6thrust23THRUST_200600_302600_NS6detail15normal_iteratorINSA_10device_ptrIiEEEEPS6_NSA_18transform_iteratorINSB_9not_fun_tI7is_trueIiEEESF_NSA_11use_defaultESM_EENS0_5tupleIJSF_S6_EEENSO_IJSG_SG_EEES6_PlJS6_EEE10hipError_tPvRmT3_T4_T5_T6_T7_T9_mT8_P12ihipStream_tbDpT10_ENKUlT_T0_E_clISt17integral_constantIbLb0EES1B_EEDaS16_S17_EUlS16_E_NS1_11comp_targetILNS1_3genE2ELNS1_11target_archE906ELNS1_3gpuE6ELNS1_3repE0EEENS1_30default_config_static_selectorELNS0_4arch9wavefront6targetE0EEEvT1_.has_recursion, 0
	.set _ZN7rocprim17ROCPRIM_400000_NS6detail17trampoline_kernelINS0_14default_configENS1_25partition_config_selectorILNS1_17partition_subalgoE5EiNS0_10empty_typeEbEEZZNS1_14partition_implILS5_5ELb0ES3_mN6thrust23THRUST_200600_302600_NS6detail15normal_iteratorINSA_10device_ptrIiEEEEPS6_NSA_18transform_iteratorINSB_9not_fun_tI7is_trueIiEEESF_NSA_11use_defaultESM_EENS0_5tupleIJSF_S6_EEENSO_IJSG_SG_EEES6_PlJS6_EEE10hipError_tPvRmT3_T4_T5_T6_T7_T9_mT8_P12ihipStream_tbDpT10_ENKUlT_T0_E_clISt17integral_constantIbLb0EES1B_EEDaS16_S17_EUlS16_E_NS1_11comp_targetILNS1_3genE2ELNS1_11target_archE906ELNS1_3gpuE6ELNS1_3repE0EEENS1_30default_config_static_selectorELNS0_4arch9wavefront6targetE0EEEvT1_.has_indirect_call, 0
	.section	.AMDGPU.csdata,"",@progbits
; Kernel info:
; codeLenInByte = 0
; TotalNumSgprs: 0
; NumVgprs: 0
; ScratchSize: 0
; MemoryBound: 0
; FloatMode: 240
; IeeeMode: 1
; LDSByteSize: 0 bytes/workgroup (compile time only)
; SGPRBlocks: 0
; VGPRBlocks: 0
; NumSGPRsForWavesPerEU: 1
; NumVGPRsForWavesPerEU: 1
; Occupancy: 16
; WaveLimiterHint : 0
; COMPUTE_PGM_RSRC2:SCRATCH_EN: 0
; COMPUTE_PGM_RSRC2:USER_SGPR: 2
; COMPUTE_PGM_RSRC2:TRAP_HANDLER: 0
; COMPUTE_PGM_RSRC2:TGID_X_EN: 1
; COMPUTE_PGM_RSRC2:TGID_Y_EN: 0
; COMPUTE_PGM_RSRC2:TGID_Z_EN: 0
; COMPUTE_PGM_RSRC2:TIDIG_COMP_CNT: 0
	.section	.text._ZN7rocprim17ROCPRIM_400000_NS6detail17trampoline_kernelINS0_14default_configENS1_25partition_config_selectorILNS1_17partition_subalgoE5EiNS0_10empty_typeEbEEZZNS1_14partition_implILS5_5ELb0ES3_mN6thrust23THRUST_200600_302600_NS6detail15normal_iteratorINSA_10device_ptrIiEEEEPS6_NSA_18transform_iteratorINSB_9not_fun_tI7is_trueIiEEESF_NSA_11use_defaultESM_EENS0_5tupleIJSF_S6_EEENSO_IJSG_SG_EEES6_PlJS6_EEE10hipError_tPvRmT3_T4_T5_T6_T7_T9_mT8_P12ihipStream_tbDpT10_ENKUlT_T0_E_clISt17integral_constantIbLb0EES1B_EEDaS16_S17_EUlS16_E_NS1_11comp_targetILNS1_3genE10ELNS1_11target_archE1200ELNS1_3gpuE4ELNS1_3repE0EEENS1_30default_config_static_selectorELNS0_4arch9wavefront6targetE0EEEvT1_,"axG",@progbits,_ZN7rocprim17ROCPRIM_400000_NS6detail17trampoline_kernelINS0_14default_configENS1_25partition_config_selectorILNS1_17partition_subalgoE5EiNS0_10empty_typeEbEEZZNS1_14partition_implILS5_5ELb0ES3_mN6thrust23THRUST_200600_302600_NS6detail15normal_iteratorINSA_10device_ptrIiEEEEPS6_NSA_18transform_iteratorINSB_9not_fun_tI7is_trueIiEEESF_NSA_11use_defaultESM_EENS0_5tupleIJSF_S6_EEENSO_IJSG_SG_EEES6_PlJS6_EEE10hipError_tPvRmT3_T4_T5_T6_T7_T9_mT8_P12ihipStream_tbDpT10_ENKUlT_T0_E_clISt17integral_constantIbLb0EES1B_EEDaS16_S17_EUlS16_E_NS1_11comp_targetILNS1_3genE10ELNS1_11target_archE1200ELNS1_3gpuE4ELNS1_3repE0EEENS1_30default_config_static_selectorELNS0_4arch9wavefront6targetE0EEEvT1_,comdat
	.protected	_ZN7rocprim17ROCPRIM_400000_NS6detail17trampoline_kernelINS0_14default_configENS1_25partition_config_selectorILNS1_17partition_subalgoE5EiNS0_10empty_typeEbEEZZNS1_14partition_implILS5_5ELb0ES3_mN6thrust23THRUST_200600_302600_NS6detail15normal_iteratorINSA_10device_ptrIiEEEEPS6_NSA_18transform_iteratorINSB_9not_fun_tI7is_trueIiEEESF_NSA_11use_defaultESM_EENS0_5tupleIJSF_S6_EEENSO_IJSG_SG_EEES6_PlJS6_EEE10hipError_tPvRmT3_T4_T5_T6_T7_T9_mT8_P12ihipStream_tbDpT10_ENKUlT_T0_E_clISt17integral_constantIbLb0EES1B_EEDaS16_S17_EUlS16_E_NS1_11comp_targetILNS1_3genE10ELNS1_11target_archE1200ELNS1_3gpuE4ELNS1_3repE0EEENS1_30default_config_static_selectorELNS0_4arch9wavefront6targetE0EEEvT1_ ; -- Begin function _ZN7rocprim17ROCPRIM_400000_NS6detail17trampoline_kernelINS0_14default_configENS1_25partition_config_selectorILNS1_17partition_subalgoE5EiNS0_10empty_typeEbEEZZNS1_14partition_implILS5_5ELb0ES3_mN6thrust23THRUST_200600_302600_NS6detail15normal_iteratorINSA_10device_ptrIiEEEEPS6_NSA_18transform_iteratorINSB_9not_fun_tI7is_trueIiEEESF_NSA_11use_defaultESM_EENS0_5tupleIJSF_S6_EEENSO_IJSG_SG_EEES6_PlJS6_EEE10hipError_tPvRmT3_T4_T5_T6_T7_T9_mT8_P12ihipStream_tbDpT10_ENKUlT_T0_E_clISt17integral_constantIbLb0EES1B_EEDaS16_S17_EUlS16_E_NS1_11comp_targetILNS1_3genE10ELNS1_11target_archE1200ELNS1_3gpuE4ELNS1_3repE0EEENS1_30default_config_static_selectorELNS0_4arch9wavefront6targetE0EEEvT1_
	.globl	_ZN7rocprim17ROCPRIM_400000_NS6detail17trampoline_kernelINS0_14default_configENS1_25partition_config_selectorILNS1_17partition_subalgoE5EiNS0_10empty_typeEbEEZZNS1_14partition_implILS5_5ELb0ES3_mN6thrust23THRUST_200600_302600_NS6detail15normal_iteratorINSA_10device_ptrIiEEEEPS6_NSA_18transform_iteratorINSB_9not_fun_tI7is_trueIiEEESF_NSA_11use_defaultESM_EENS0_5tupleIJSF_S6_EEENSO_IJSG_SG_EEES6_PlJS6_EEE10hipError_tPvRmT3_T4_T5_T6_T7_T9_mT8_P12ihipStream_tbDpT10_ENKUlT_T0_E_clISt17integral_constantIbLb0EES1B_EEDaS16_S17_EUlS16_E_NS1_11comp_targetILNS1_3genE10ELNS1_11target_archE1200ELNS1_3gpuE4ELNS1_3repE0EEENS1_30default_config_static_selectorELNS0_4arch9wavefront6targetE0EEEvT1_
	.p2align	8
	.type	_ZN7rocprim17ROCPRIM_400000_NS6detail17trampoline_kernelINS0_14default_configENS1_25partition_config_selectorILNS1_17partition_subalgoE5EiNS0_10empty_typeEbEEZZNS1_14partition_implILS5_5ELb0ES3_mN6thrust23THRUST_200600_302600_NS6detail15normal_iteratorINSA_10device_ptrIiEEEEPS6_NSA_18transform_iteratorINSB_9not_fun_tI7is_trueIiEEESF_NSA_11use_defaultESM_EENS0_5tupleIJSF_S6_EEENSO_IJSG_SG_EEES6_PlJS6_EEE10hipError_tPvRmT3_T4_T5_T6_T7_T9_mT8_P12ihipStream_tbDpT10_ENKUlT_T0_E_clISt17integral_constantIbLb0EES1B_EEDaS16_S17_EUlS16_E_NS1_11comp_targetILNS1_3genE10ELNS1_11target_archE1200ELNS1_3gpuE4ELNS1_3repE0EEENS1_30default_config_static_selectorELNS0_4arch9wavefront6targetE0EEEvT1_,@function
_ZN7rocprim17ROCPRIM_400000_NS6detail17trampoline_kernelINS0_14default_configENS1_25partition_config_selectorILNS1_17partition_subalgoE5EiNS0_10empty_typeEbEEZZNS1_14partition_implILS5_5ELb0ES3_mN6thrust23THRUST_200600_302600_NS6detail15normal_iteratorINSA_10device_ptrIiEEEEPS6_NSA_18transform_iteratorINSB_9not_fun_tI7is_trueIiEEESF_NSA_11use_defaultESM_EENS0_5tupleIJSF_S6_EEENSO_IJSG_SG_EEES6_PlJS6_EEE10hipError_tPvRmT3_T4_T5_T6_T7_T9_mT8_P12ihipStream_tbDpT10_ENKUlT_T0_E_clISt17integral_constantIbLb0EES1B_EEDaS16_S17_EUlS16_E_NS1_11comp_targetILNS1_3genE10ELNS1_11target_archE1200ELNS1_3gpuE4ELNS1_3repE0EEENS1_30default_config_static_selectorELNS0_4arch9wavefront6targetE0EEEvT1_: ; @_ZN7rocprim17ROCPRIM_400000_NS6detail17trampoline_kernelINS0_14default_configENS1_25partition_config_selectorILNS1_17partition_subalgoE5EiNS0_10empty_typeEbEEZZNS1_14partition_implILS5_5ELb0ES3_mN6thrust23THRUST_200600_302600_NS6detail15normal_iteratorINSA_10device_ptrIiEEEEPS6_NSA_18transform_iteratorINSB_9not_fun_tI7is_trueIiEEESF_NSA_11use_defaultESM_EENS0_5tupleIJSF_S6_EEENSO_IJSG_SG_EEES6_PlJS6_EEE10hipError_tPvRmT3_T4_T5_T6_T7_T9_mT8_P12ihipStream_tbDpT10_ENKUlT_T0_E_clISt17integral_constantIbLb0EES1B_EEDaS16_S17_EUlS16_E_NS1_11comp_targetILNS1_3genE10ELNS1_11target_archE1200ELNS1_3gpuE4ELNS1_3repE0EEENS1_30default_config_static_selectorELNS0_4arch9wavefront6targetE0EEEvT1_
; %bb.0:
	s_clause 0x3
	s_load_b128 s[4:7], s[0:1], 0x8
	s_load_b128 s[8:11], s[0:1], 0x48
	s_load_b32 s2, s[0:1], 0x70
	s_load_b64 s[14:15], s[0:1], 0x58
	s_mov_b32 s17, 0
	s_mul_i32 s20, ttmp9, 0x600
	s_mov_b32 s21, s17
	v_lshlrev_b32_e32 v23, 2, v0
	v_lshrrev_b32_e32 v9, 3, v0
	v_add_nc_u32_e32 v22, 0x180, v0
	v_add_nc_u32_e32 v21, 0x240, v0
	v_or_b32_e32 v18, 0x300, v0
	v_add_nc_u32_e32 v20, 0x3c0, v0
	v_add_nc_u32_e32 v17, 0x480, v0
	;; [unrolled: 1-line block ×3, first 2 shown]
	s_mov_b32 s3, -1
	s_wait_kmcnt 0x0
	s_lshl_b64 s[12:13], s[6:7], 2
	s_load_b64 s[10:11], s[10:11], 0x0
	s_mul_i32 s16, s2, 0x600
	s_add_co_i32 s2, s2, -1
	s_add_co_i32 s18, s16, s6
	s_add_nc_u64 s[6:7], s[6:7], s[16:17]
	s_sub_co_i32 s18, s14, s18
	v_cmp_le_u64_e64 s6, s[14:15], s[6:7]
	s_addk_co_i32 s18, 0x600
	s_cmp_eq_u32 ttmp9, s2
	s_cselect_b32 s16, -1, 0
	s_delay_alu instid0(SALU_CYCLE_1)
	s_and_b32 s2, s16, s6
	s_add_nc_u64 s[6:7], s[4:5], s[12:13]
	s_xor_b32 s17, s2, -1
	s_lshl_b64 s[4:5], s[20:21], 2
	s_and_b32 vcc_lo, exec_lo, s17
	s_wait_alu 0xfffe
	s_add_nc_u64 s[6:7], s[6:7], s[4:5]
	s_cbranch_vccz .LBB1505_2
; %bb.1:
	s_wait_alu 0xfffe
	v_add_co_u32 v1, s2, s6, v23
	s_delay_alu instid0(VALU_DEP_1)
	v_add_co_ci_u32_e64 v2, null, s7, 0, s2
	v_add_nc_u32_e32 v11, 0xc0, v0
	v_lshrrev_b32_e32 v12, 3, v22
	v_lshrrev_b32_e32 v13, 3, v21
	s_clause 0x7
	flat_load_b32 v3, v[1:2]
	flat_load_b32 v4, v[1:2] offset:768
	flat_load_b32 v5, v[1:2] offset:1536
	;; [unrolled: 1-line block ×7, first 2 shown]
	v_lshrrev_b32_e32 v14, 3, v18
	v_lshrrev_b32_e32 v11, 3, v11
	v_and_b32_e32 v2, 28, v9
	v_lshrrev_b32_e32 v15, 3, v20
	v_lshrrev_b32_e32 v16, 3, v17
	;; [unrolled: 1-line block ×3, first 2 shown]
	v_and_b32_e32 v11, 60, v11
	v_and_b32_e32 v12, 0x7c, v12
	;; [unrolled: 1-line block ×4, first 2 shown]
	v_add_nc_u32_e32 v2, v2, v23
	v_and_b32_e32 v15, 0xfc, v15
	v_and_b32_e32 v16, 0xbc, v16
	;; [unrolled: 1-line block ×3, first 2 shown]
	v_add_nc_u32_e32 v11, v11, v23
	v_add_nc_u32_e32 v12, v12, v23
	;; [unrolled: 1-line block ×4, first 2 shown]
	s_mov_b32 s3, 0
	v_add_nc_u32_e32 v15, v15, v23
	v_add_nc_u32_e32 v16, v16, v23
	;; [unrolled: 1-line block ×3, first 2 shown]
	s_wait_loadcnt_dscnt 0x707
	ds_store_b32 v2, v3
	s_wait_loadcnt_dscnt 0x607
	ds_store_b32 v11, v4 offset:768
	s_wait_loadcnt_dscnt 0x507
	ds_store_b32 v12, v5 offset:1536
	s_wait_loadcnt_dscnt 0x407
	ds_store_b32 v13, v6 offset:2304
	s_wait_loadcnt_dscnt 0x307
	ds_store_b32 v14, v7 offset:3072
	s_wait_loadcnt_dscnt 0x207
	ds_store_b32 v15, v8 offset:3840
	s_wait_loadcnt_dscnt 0x107
	ds_store_b32 v16, v10 offset:4608
	s_wait_loadcnt_dscnt 0x7
	ds_store_b32 v24, v1 offset:5376
	s_wait_dscnt 0x0
	s_barrier_signal -1
	s_barrier_wait -1
.LBB1505_2:
	s_load_b64 s[14:15], s[0:1], 0x20
	v_cmp_gt_u32_e64 s2, s18, v0
	s_and_not1_b32 vcc_lo, exec_lo, s3
	s_cbranch_vccnz .LBB1505_14
; %bb.3:
	v_mov_b32_e32 v1, 0
	s_delay_alu instid0(VALU_DEP_1)
	v_dual_mov_b32 v2, v1 :: v_dual_mov_b32 v3, v1
	v_dual_mov_b32 v4, v1 :: v_dual_mov_b32 v5, v1
	;; [unrolled: 1-line block ×3, first 2 shown]
	v_mov_b32_e32 v8, v1
	s_and_saveexec_b32 s3, s2
	s_cbranch_execz .LBB1505_5
; %bb.4:
	v_add_co_u32 v2, s2, s6, v23
	s_wait_alu 0xf1ff
	v_add_co_ci_u32_e64 v3, null, s7, 0, s2
	v_dual_mov_b32 v25, v1 :: v_dual_mov_b32 v26, v1
	v_dual_mov_b32 v27, v1 :: v_dual_mov_b32 v28, v1
	flat_load_b32 v24, v[2:3]
	v_dual_mov_b32 v29, v1 :: v_dual_mov_b32 v30, v1
	v_mov_b32_e32 v31, v1
	s_wait_loadcnt_dscnt 0x0
	v_dual_mov_b32 v1, v24 :: v_dual_mov_b32 v2, v25
	v_dual_mov_b32 v3, v26 :: v_dual_mov_b32 v4, v27
	;; [unrolled: 1-line block ×4, first 2 shown]
.LBB1505_5:
	s_wait_alu 0xfffe
	s_or_b32 exec_lo, exec_lo, s3
	v_add_nc_u32_e32 v10, 0xc0, v0
	s_mov_b32 s2, exec_lo
	s_delay_alu instid0(VALU_DEP_1)
	v_cmpx_gt_u32_e64 s18, v10
	s_cbranch_execnz .LBB1505_158
; %bb.6:
	s_wait_alu 0xfffe
	s_or_b32 exec_lo, exec_lo, s2
	s_delay_alu instid0(SALU_CYCLE_1)
	s_mov_b32 s2, exec_lo
	v_cmpx_gt_u32_e64 s18, v22
	s_cbranch_execnz .LBB1505_159
.LBB1505_7:
	s_wait_alu 0xfffe
	s_or_b32 exec_lo, exec_lo, s2
	s_delay_alu instid0(SALU_CYCLE_1)
	s_mov_b32 s2, exec_lo
	v_cmpx_gt_u32_e64 s18, v21
	s_cbranch_execnz .LBB1505_160
.LBB1505_8:
	s_wait_alu 0xfffe
	s_or_b32 exec_lo, exec_lo, s2
	s_delay_alu instid0(SALU_CYCLE_1)
	s_mov_b32 s2, exec_lo
	v_cmpx_gt_u32_e64 s18, v18
	s_cbranch_execnz .LBB1505_161
.LBB1505_9:
	s_wait_alu 0xfffe
	s_or_b32 exec_lo, exec_lo, s2
	s_delay_alu instid0(SALU_CYCLE_1)
	s_mov_b32 s2, exec_lo
	v_cmpx_gt_u32_e64 s18, v20
	s_cbranch_execnz .LBB1505_162
.LBB1505_10:
	s_wait_alu 0xfffe
	s_or_b32 exec_lo, exec_lo, s2
	s_delay_alu instid0(SALU_CYCLE_1)
	s_mov_b32 s2, exec_lo
	v_cmpx_gt_u32_e64 s18, v17
	s_cbranch_execnz .LBB1505_163
.LBB1505_11:
	s_wait_alu 0xfffe
	s_or_b32 exec_lo, exec_lo, s2
	s_delay_alu instid0(SALU_CYCLE_1)
	s_mov_b32 s2, exec_lo
	v_cmpx_gt_u32_e64 s18, v19
	s_cbranch_execz .LBB1505_13
.LBB1505_12:
	v_add_co_u32 v11, s3, s6, v23
	s_wait_alu 0xf1ff
	v_add_co_ci_u32_e64 v12, null, s7, 0, s3
	flat_load_b32 v8, v[11:12] offset:5376
.LBB1505_13:
	s_wait_alu 0xfffe
	s_or_b32 exec_lo, exec_lo, s2
	v_lshrrev_b32_e32 v10, 3, v10
	v_lshrrev_b32_e32 v11, 3, v22
	v_lshrrev_b32_e32 v12, 3, v21
	v_lshrrev_b32_e32 v13, 3, v18
	v_and_b32_e32 v9, 28, v9
	v_lshrrev_b32_e32 v14, 3, v20
	v_lshrrev_b32_e32 v15, 3, v17
	;; [unrolled: 1-line block ×3, first 2 shown]
	v_and_b32_e32 v10, 60, v10
	v_and_b32_e32 v11, 0x7c, v11
	;; [unrolled: 1-line block ×4, first 2 shown]
	v_add_nc_u32_e32 v9, v9, v23
	v_and_b32_e32 v14, 0xfc, v14
	v_and_b32_e32 v15, 0xfc, v15
	v_and_b32_e32 v16, 0xfc, v16
	v_add_nc_u32_e32 v10, v10, v23
	v_add_nc_u32_e32 v11, v11, v23
	;; [unrolled: 1-line block ×7, first 2 shown]
	ds_store_b32 v9, v1
	s_wait_loadcnt_dscnt 0x1
	ds_store_b32 v10, v2 offset:768
	ds_store_b32 v11, v3 offset:1536
	;; [unrolled: 1-line block ×7, first 2 shown]
	s_wait_dscnt 0x0
	s_barrier_signal -1
	s_barrier_wait -1
.LBB1505_14:
	v_and_b32_e32 v1, 0xfc, v0
	global_inv scope:SCOPE_SE
	v_lshrrev_b32_e32 v35, 5, v0
	s_wait_kmcnt 0x0
	s_add_nc_u64 s[2:3], s[14:15], s[12:13]
	s_and_b32 vcc_lo, exec_lo, s17
	v_lshl_add_u32 v1, v0, 5, v1
	s_wait_alu 0xfffe
	s_add_nc_u64 s[2:3], s[2:3], s[4:5]
	s_mov_b32 s4, -1
	ds_load_2addr_b32 v[15:16], v1 offset1:1
	ds_load_2addr_b32 v[13:14], v1 offset0:2 offset1:3
	ds_load_2addr_b32 v[11:12], v1 offset0:4 offset1:5
	;; [unrolled: 1-line block ×3, first 2 shown]
	s_wait_loadcnt_dscnt 0x0
	s_barrier_signal -1
	s_barrier_wait -1
	global_inv scope:SCOPE_SE
	s_cbranch_vccz .LBB1505_16
; %bb.15:
	s_clause 0x7
	global_load_b32 v1, v23, s[2:3]
	global_load_b32 v2, v23, s[2:3] offset:768
	global_load_b32 v3, v23, s[2:3] offset:1536
	;; [unrolled: 1-line block ×7, first 2 shown]
	v_add_nc_u32_e32 v25, 0xc0, v0
	v_lshrrev_b32_e32 v26, 5, v22
	v_lshrrev_b32_e32 v27, 5, v21
	;; [unrolled: 1-line block ×3, first 2 shown]
	v_and_b32_e32 v24, 4, v35
	v_lshrrev_b32_e32 v25, 5, v25
	v_lshrrev_b32_e32 v29, 5, v20
	;; [unrolled: 1-line block ×4, first 2 shown]
	v_and_b32_e32 v26, 28, v26
	v_and_b32_e32 v25, 12, v25
	;; [unrolled: 1-line block ×4, first 2 shown]
	v_add_nc_u32_e32 v24, v24, v0
	v_and_b32_e32 v29, 60, v29
	v_and_b32_e32 v30, 44, v30
	;; [unrolled: 1-line block ×3, first 2 shown]
	v_add_nc_u32_e32 v25, v25, v0
	v_add_nc_u32_e32 v26, v26, v0
	;; [unrolled: 1-line block ×4, first 2 shown]
	s_mov_b32 s4, 0
	v_add_nc_u32_e32 v29, v29, v0
	v_add_nc_u32_e32 v30, v30, v0
	;; [unrolled: 1-line block ×3, first 2 shown]
	s_wait_loadcnt 0x7
	v_cmp_eq_u32_e32 vcc_lo, 0, v1
	v_cndmask_b32_e64 v1, 0, 1, vcc_lo
	s_wait_loadcnt 0x6
	v_cmp_eq_u32_e32 vcc_lo, 0, v2
	s_wait_alu 0xfffd
	v_cndmask_b32_e64 v2, 0, 1, vcc_lo
	s_wait_loadcnt 0x5
	v_cmp_eq_u32_e32 vcc_lo, 0, v3
	s_wait_alu 0xfffd
	;; [unrolled: 4-line block ×7, first 2 shown]
	v_cndmask_b32_e64 v8, 0, 1, vcc_lo
	ds_store_b8 v24, v1
	ds_store_b8 v25, v2 offset:192
	ds_store_b8 v26, v3 offset:384
	;; [unrolled: 1-line block ×7, first 2 shown]
	s_wait_dscnt 0x0
	s_barrier_signal -1
	s_barrier_wait -1
.LBB1505_16:
	v_lshlrev_b32_e32 v38, 3, v0
	v_lshrrev_b32_e32 v1, 2, v0
	s_and_not1_b32 vcc_lo, exec_lo, s4
	s_wait_alu 0xfffe
	s_cbranch_vccnz .LBB1505_28
; %bb.17:
	v_mov_b32_e32 v2, 0
	s_mov_b32 s5, 0
	s_mov_b32 s4, exec_lo
	s_delay_alu instid0(VALU_DEP_1)
	v_dual_mov_b32 v3, v2 :: v_dual_mov_b32 v4, v2
	v_cmpx_gt_u32_e64 s18, v0
	s_cbranch_execz .LBB1505_19
; %bb.18:
	global_load_b32 v2, v23, s[2:3]
	s_wait_loadcnt 0x0
	v_cmp_eq_u32_e32 vcc_lo, 0, v2
	s_wait_alu 0xfffd
	v_cndmask_b32_e64 v2, 0, 1, vcc_lo
	s_delay_alu instid0(VALU_DEP_1)
	v_dual_mov_b32 v3, s5 :: v_dual_mov_b32 v4, v2
.LBB1505_19:
	s_or_b32 exec_lo, exec_lo, s4
	v_add_nc_u32_e32 v5, 0xc0, v0
	s_mov_b32 s4, exec_lo
	s_delay_alu instid0(VALU_DEP_1)
	v_cmpx_gt_u32_e64 s18, v5
	s_cbranch_execnz .LBB1505_164
; %bb.20:
	s_wait_alu 0xfffe
	s_or_b32 exec_lo, exec_lo, s4
	s_delay_alu instid0(SALU_CYCLE_1)
	s_mov_b32 s4, exec_lo
	v_cmpx_gt_u32_e64 s18, v22
	s_cbranch_execnz .LBB1505_165
.LBB1505_21:
	s_wait_alu 0xfffe
	s_or_b32 exec_lo, exec_lo, s4
	s_delay_alu instid0(SALU_CYCLE_1)
	s_mov_b32 s4, exec_lo
	v_cmpx_gt_u32_e64 s18, v21
	s_cbranch_execnz .LBB1505_166
.LBB1505_22:
	s_wait_alu 0xfffe
	s_or_b32 exec_lo, exec_lo, s4
	s_delay_alu instid0(SALU_CYCLE_1)
	s_mov_b32 s4, exec_lo
	v_cmpx_gt_u32_e64 s18, v18
	s_cbranch_execnz .LBB1505_167
.LBB1505_23:
	s_wait_alu 0xfffe
	s_or_b32 exec_lo, exec_lo, s4
	s_delay_alu instid0(SALU_CYCLE_1)
	s_mov_b32 s4, exec_lo
	v_cmpx_gt_u32_e64 s18, v20
	s_cbranch_execnz .LBB1505_168
.LBB1505_24:
	s_wait_alu 0xfffe
	s_or_b32 exec_lo, exec_lo, s4
	s_delay_alu instid0(SALU_CYCLE_1)
	s_mov_b32 s4, exec_lo
	v_cmpx_gt_u32_e64 s18, v17
	s_cbranch_execnz .LBB1505_169
.LBB1505_25:
	s_wait_alu 0xfffe
	s_or_b32 exec_lo, exec_lo, s4
	s_delay_alu instid0(SALU_CYCLE_1)
	s_mov_b32 s4, exec_lo
	v_cmpx_gt_u32_e64 s18, v19
	s_cbranch_execz .LBB1505_27
.LBB1505_26:
	global_load_b32 v6, v23, s[2:3] offset:5376
	v_lshrrev_b32_e32 v7, 16, v3
	s_delay_alu instid0(VALU_DEP_1) | instskip(SKIP_4) | instid1(VALU_DEP_1)
	v_and_b32_e32 v7, 0xff, v7
	s_wait_loadcnt 0x0
	v_cmp_eq_u32_e32 vcc_lo, 0, v6
	s_wait_alu 0xfffd
	v_cndmask_b32_e64 v6, 0, 1, vcc_lo
	v_lshlrev_b16 v6, 8, v6
	s_delay_alu instid0(VALU_DEP_1) | instskip(NEXT) | instid1(VALU_DEP_1)
	v_or_b32_e32 v6, v7, v6
	v_lshlrev_b32_e32 v6, 16, v6
	s_delay_alu instid0(VALU_DEP_1)
	v_and_or_b32 v3, 0xffff, v3, v6
.LBB1505_27:
	s_wait_alu 0xfffe
	s_or_b32 exec_lo, exec_lo, s4
	v_lshrrev_b32_e32 v5, 5, v5
	v_lshrrev_b32_e32 v6, 5, v22
	;; [unrolled: 1-line block ×4, first 2 shown]
	v_and_b32_e32 v7, 4, v35
	v_lshrrev_b32_e32 v20, 5, v20
	v_lshrrev_b32_e32 v17, 5, v17
	;; [unrolled: 1-line block ×3, first 2 shown]
	v_and_b32_e32 v5, 12, v5
	v_and_b32_e32 v6, 28, v6
	;; [unrolled: 1-line block ×4, first 2 shown]
	v_add_nc_u32_e32 v7, v7, v0
	v_and_b32_e32 v20, 60, v20
	v_and_b32_e32 v17, 60, v17
	;; [unrolled: 1-line block ×3, first 2 shown]
	v_lshrrev_b32_e32 v8, 8, v2
	v_add_nc_u32_e32 v5, v5, v0
	v_add_nc_u32_e32 v6, v6, v0
	v_lshrrev_b32_e32 v22, 24, v2
	v_add_nc_u32_e32 v21, v21, v0
	v_add_nc_u32_e32 v18, v18, v0
	;; [unrolled: 3-line block ×3, first 2 shown]
	v_lshrrev_b32_e32 v24, 24, v3
	v_add_nc_u32_e32 v19, v19, v0
	ds_store_b8 v7, v4
	ds_store_b8 v5, v8 offset:192
	ds_store_b8_d16_hi v6, v2 offset:384
	ds_store_b8 v21, v22 offset:576
	ds_store_b8 v18, v3 offset:768
	;; [unrolled: 1-line block ×3, first 2 shown]
	ds_store_b8_d16_hi v17, v3 offset:1152
	ds_store_b8 v19, v24 offset:1344
	s_wait_loadcnt_dscnt 0x0
	s_barrier_signal -1
	s_barrier_wait -1
.LBB1505_28:
	s_delay_alu instid0(VALU_DEP_1)
	v_dual_mov_b32 v2, 0 :: v_dual_and_b32 v1, 60, v1
	s_wait_loadcnt 0x0
	global_inv scope:SCOPE_SE
	s_load_b64 s[6:7], s[0:1], 0x68
	v_mbcnt_lo_u32_b32 v45, -1, 0
	v_add_nc_u32_e32 v1, v1, v38
	s_cmp_lg_u32 ttmp9, 0
	s_mov_b32 s3, -1
	s_delay_alu instid0(VALU_DEP_2)
	v_and_b32_e32 v46, 15, v45
	ds_load_2addr_b32 v[17:18], v1 offset1:1
	s_wait_loadcnt_dscnt 0x0
	s_barrier_signal -1
	s_barrier_wait -1
	global_inv scope:SCOPE_SE
	v_and_b32_e32 v41, 0xff, v17
	v_bfe_u32 v40, v17, 8, 8
	v_bfe_u32 v39, v17, 16, 8
	v_lshrrev_b32_e32 v37, 24, v17
	v_and_b32_e32 v44, 0xff, v18
	v_bfe_u32 v43, v18, 8, 8
	v_bfe_u32 v42, v18, 16, 8
	v_add3_u32 v1, v40, v41, v39
	v_lshrrev_b32_e32 v36, 24, v18
	s_delay_alu instid0(VALU_DEP_2) | instskip(SKIP_3) | instid1(VALU_DEP_3)
	v_add_co_u32 v1, s2, v1, v37
	s_wait_alu 0xf1ff
	v_add_co_ci_u32_e64 v3, null, 0, 0, s2
	v_cmp_ne_u32_e64 s2, 0, v46
	v_add_co_u32 v1, vcc_lo, v1, v44
	s_wait_alu 0xfffd
	s_delay_alu instid0(VALU_DEP_3) | instskip(NEXT) | instid1(VALU_DEP_2)
	v_add_co_ci_u32_e64 v3, null, 0, v3, vcc_lo
	v_add_co_u32 v1, vcc_lo, v1, v43
	s_wait_alu 0xfffd
	s_delay_alu instid0(VALU_DEP_2) | instskip(NEXT) | instid1(VALU_DEP_2)
	v_add_co_ci_u32_e64 v3, null, 0, v3, vcc_lo
	v_add_co_u32 v1, vcc_lo, v1, v42
	s_wait_alu 0xfffd
	s_delay_alu instid0(VALU_DEP_2) | instskip(NEXT) | instid1(VALU_DEP_2)
	v_add_co_ci_u32_e64 v3, null, 0, v3, vcc_lo
	v_add_co_u32 v19, vcc_lo, v1, v36
	s_wait_alu 0xfffd
	s_delay_alu instid0(VALU_DEP_2)
	v_add_co_ci_u32_e64 v20, null, 0, v3, vcc_lo
	s_cbranch_scc0 .LBB1505_85
; %bb.29:
	v_mov_b32_e32 v3, v19
	v_mov_b32_dpp v1, v19 row_shr:1 row_mask:0xf bank_mask:0xf
	v_mov_b32_dpp v6, v2 row_shr:1 row_mask:0xf bank_mask:0xf
	v_dual_mov_b32 v5, v19 :: v_dual_mov_b32 v4, v20
	s_and_saveexec_b32 s3, s2
; %bb.30:
	s_delay_alu instid0(VALU_DEP_3) | instskip(SKIP_2) | instid1(VALU_DEP_2)
	v_add_co_u32 v5, vcc_lo, v19, v1
	s_wait_alu 0xfffd
	v_add_co_ci_u32_e64 v2, null, 0, v20, vcc_lo
	v_add_co_u32 v1, vcc_lo, 0, v5
	s_wait_alu 0xfffd
	s_delay_alu instid0(VALU_DEP_2) | instskip(NEXT) | instid1(VALU_DEP_1)
	v_add_co_ci_u32_e64 v2, null, v6, v2, vcc_lo
	v_dual_mov_b32 v4, v2 :: v_dual_mov_b32 v3, v1
; %bb.31:
	s_wait_alu 0xfffe
	s_or_b32 exec_lo, exec_lo, s3
	v_mov_b32_dpp v1, v5 row_shr:2 row_mask:0xf bank_mask:0xf
	v_mov_b32_dpp v6, v2 row_shr:2 row_mask:0xf bank_mask:0xf
	s_mov_b32 s3, exec_lo
	v_cmpx_lt_u32_e32 1, v46
; %bb.32:
	s_delay_alu instid0(VALU_DEP_3) | instskip(SKIP_2) | instid1(VALU_DEP_2)
	v_add_co_u32 v5, vcc_lo, v3, v1
	s_wait_alu 0xfffd
	v_add_co_ci_u32_e64 v2, null, 0, v4, vcc_lo
	v_add_co_u32 v1, vcc_lo, 0, v5
	s_wait_alu 0xfffd
	s_delay_alu instid0(VALU_DEP_2) | instskip(NEXT) | instid1(VALU_DEP_1)
	v_add_co_ci_u32_e64 v2, null, v6, v2, vcc_lo
	v_dual_mov_b32 v4, v2 :: v_dual_mov_b32 v3, v1
; %bb.33:
	s_wait_alu 0xfffe
	s_or_b32 exec_lo, exec_lo, s3
	v_mov_b32_dpp v1, v5 row_shr:4 row_mask:0xf bank_mask:0xf
	v_mov_b32_dpp v6, v2 row_shr:4 row_mask:0xf bank_mask:0xf
	s_mov_b32 s3, exec_lo
	v_cmpx_lt_u32_e32 3, v46
	;; [unrolled: 17-line block ×3, first 2 shown]
; %bb.36:
	s_delay_alu instid0(VALU_DEP_3) | instskip(SKIP_2) | instid1(VALU_DEP_2)
	v_add_co_u32 v5, vcc_lo, v3, v6
	s_wait_alu 0xfffd
	v_add_co_ci_u32_e64 v2, null, 0, v4, vcc_lo
	v_add_co_u32 v3, vcc_lo, 0, v5
	s_wait_alu 0xfffd
	s_delay_alu instid0(VALU_DEP_2) | instskip(NEXT) | instid1(VALU_DEP_1)
	v_add_co_ci_u32_e64 v4, null, v1, v2, vcc_lo
	v_mov_b32_e32 v2, v4
; %bb.37:
	s_wait_alu 0xfffe
	s_or_b32 exec_lo, exec_lo, s3
	ds_swizzle_b32 v1, v5 offset:swizzle(BROADCAST,32,15)
	ds_swizzle_b32 v6, v2 offset:swizzle(BROADCAST,32,15)
	v_and_b32_e32 v7, 16, v45
	s_mov_b32 s3, exec_lo
	s_delay_alu instid0(VALU_DEP_1)
	v_cmpx_ne_u32_e32 0, v7
	s_cbranch_execz .LBB1505_39
; %bb.38:
	s_wait_dscnt 0x1
	v_add_co_u32 v5, vcc_lo, v3, v1
	s_wait_alu 0xfffd
	v_add_co_ci_u32_e64 v2, null, 0, v4, vcc_lo
	s_delay_alu instid0(VALU_DEP_2) | instskip(SKIP_2) | instid1(VALU_DEP_2)
	v_add_co_u32 v1, vcc_lo, 0, v5
	s_wait_dscnt 0x0
	s_wait_alu 0xfffd
	v_add_co_ci_u32_e64 v2, null, v6, v2, vcc_lo
	s_delay_alu instid0(VALU_DEP_1)
	v_dual_mov_b32 v4, v2 :: v_dual_mov_b32 v3, v1
.LBB1505_39:
	s_wait_alu 0xfffe
	s_or_b32 exec_lo, exec_lo, s3
	s_wait_dscnt 0x1
	v_and_b32_e32 v1, 0xe0, v0
	s_mov_b32 s3, exec_lo
	s_delay_alu instid0(VALU_DEP_1) | instskip(NEXT) | instid1(VALU_DEP_1)
	v_min_u32_e32 v1, 0xa0, v1
	v_or_b32_e32 v1, 31, v1
	s_delay_alu instid0(VALU_DEP_1)
	v_cmpx_eq_u32_e64 v0, v1
; %bb.40:
	v_lshlrev_b32_e32 v1, 3, v35
	ds_store_b64 v1, v[3:4]
; %bb.41:
	s_wait_alu 0xfffe
	s_or_b32 exec_lo, exec_lo, s3
	s_delay_alu instid0(SALU_CYCLE_1)
	s_mov_b32 s3, exec_lo
	s_wait_loadcnt_dscnt 0x0
	s_barrier_signal -1
	s_barrier_wait -1
	global_inv scope:SCOPE_SE
	v_cmpx_gt_u32_e32 6, v0
	s_cbranch_execz .LBB1505_49
; %bb.42:
	ds_load_b64 v[3:4], v38
	v_and_b32_e32 v1, 7, v45
	s_mov_b32 s4, exec_lo
	s_wait_dscnt 0x0
	v_mov_b32_dpp v8, v3 row_shr:1 row_mask:0xf bank_mask:0xf
	v_mov_b32_dpp v7, v4 row_shr:1 row_mask:0xf bank_mask:0xf
	v_mov_b32_e32 v6, v3
	v_cmpx_ne_u32_e32 0, v1
; %bb.43:
	s_delay_alu instid0(VALU_DEP_4) | instskip(SKIP_2) | instid1(VALU_DEP_2)
	v_add_co_u32 v6, vcc_lo, v3, v8
	s_wait_alu 0xfffd
	v_add_co_ci_u32_e64 v4, null, 0, v4, vcc_lo
	v_add_co_u32 v3, vcc_lo, 0, v6
	s_wait_alu 0xfffd
	s_delay_alu instid0(VALU_DEP_2)
	v_add_co_ci_u32_e64 v4, null, v7, v4, vcc_lo
; %bb.44:
	s_wait_alu 0xfffe
	s_or_b32 exec_lo, exec_lo, s4
	v_mov_b32_dpp v8, v6 row_shr:2 row_mask:0xf bank_mask:0xf
	s_delay_alu instid0(VALU_DEP_2)
	v_mov_b32_dpp v7, v4 row_shr:2 row_mask:0xf bank_mask:0xf
	s_mov_b32 s4, exec_lo
	v_cmpx_lt_u32_e32 1, v1
; %bb.45:
	s_delay_alu instid0(VALU_DEP_3) | instskip(SKIP_2) | instid1(VALU_DEP_2)
	v_add_co_u32 v6, vcc_lo, v3, v8
	s_wait_alu 0xfffd
	v_add_co_ci_u32_e64 v4, null, 0, v4, vcc_lo
	v_add_co_u32 v3, vcc_lo, 0, v6
	s_wait_alu 0xfffd
	s_delay_alu instid0(VALU_DEP_2)
	v_add_co_ci_u32_e64 v4, null, v7, v4, vcc_lo
; %bb.46:
	s_wait_alu 0xfffe
	s_or_b32 exec_lo, exec_lo, s4
	v_mov_b32_dpp v7, v6 row_shr:4 row_mask:0xf bank_mask:0xf
	s_delay_alu instid0(VALU_DEP_2)
	v_mov_b32_dpp v6, v4 row_shr:4 row_mask:0xf bank_mask:0xf
	s_mov_b32 s4, exec_lo
	v_cmpx_lt_u32_e32 3, v1
; %bb.47:
	s_delay_alu instid0(VALU_DEP_3) | instskip(SKIP_2) | instid1(VALU_DEP_2)
	v_add_co_u32 v1, vcc_lo, v3, v7
	s_wait_alu 0xfffd
	v_add_co_ci_u32_e64 v4, null, 0, v4, vcc_lo
	v_add_co_u32 v3, vcc_lo, v1, 0
	s_wait_alu 0xfffd
	s_delay_alu instid0(VALU_DEP_2)
	v_add_co_ci_u32_e64 v4, null, v4, v6, vcc_lo
; %bb.48:
	s_wait_alu 0xfffe
	s_or_b32 exec_lo, exec_lo, s4
	ds_store_b64 v38, v[3:4]
.LBB1505_49:
	s_wait_alu 0xfffe
	s_or_b32 exec_lo, exec_lo, s3
	s_delay_alu instid0(SALU_CYCLE_1)
	s_mov_b32 s4, exec_lo
	v_cmp_gt_u32_e32 vcc_lo, 32, v0
	s_wait_loadcnt_dscnt 0x0
	s_barrier_signal -1
	s_barrier_wait -1
	global_inv scope:SCOPE_SE
                                        ; implicit-def: $vgpr21_vgpr22
	v_cmpx_lt_u32_e32 31, v0
	s_cbranch_execz .LBB1505_51
; %bb.50:
	v_lshl_add_u32 v1, v35, 3, -8
	ds_load_b64 v[21:22], v1
	s_wait_dscnt 0x0
	v_add_co_u32 v5, s3, v5, v21
	s_wait_alu 0xf1ff
	v_add_co_ci_u32_e64 v2, null, v2, v22, s3
.LBB1505_51:
	s_wait_alu 0xfffe
	s_or_b32 exec_lo, exec_lo, s4
	v_sub_co_u32 v1, s3, v45, 1
	s_delay_alu instid0(VALU_DEP_1) | instskip(SKIP_1) | instid1(VALU_DEP_1)
	v_cmp_gt_i32_e64 s4, 0, v1
	s_wait_alu 0xf1ff
	v_cndmask_b32_e64 v1, v1, v45, s4
	s_delay_alu instid0(VALU_DEP_1)
	v_lshlrev_b32_e32 v1, 2, v1
	ds_bpermute_b32 v27, v1, v5
	ds_bpermute_b32 v28, v1, v2
	s_and_saveexec_b32 s4, vcc_lo
	s_cbranch_execz .LBB1505_90
; %bb.52:
	v_mov_b32_e32 v4, 0
	ds_load_b64 v[1:2], v4 offset:40
	s_and_saveexec_b32 s5, s3
	s_cbranch_execz .LBB1505_54
; %bb.53:
	s_add_co_i32 s12, ttmp9, 32
	s_mov_b32 s13, 0
	s_delay_alu instid0(SALU_CYCLE_1)
	s_lshl_b64 s[12:13], s[12:13], 4
	s_wait_kmcnt 0x0
	s_add_nc_u64 s[12:13], s[6:7], s[12:13]
	v_mov_b32_e32 v3, 1
	v_dual_mov_b32 v5, s12 :: v_dual_mov_b32 v6, s13
	s_wait_dscnt 0x0
	;;#ASMSTART
	global_store_b128 v[5:6], v[1:4] off scope:SCOPE_DEV	
s_wait_storecnt 0x0
	;;#ASMEND
.LBB1505_54:
	s_wait_alu 0xfffe
	s_or_b32 exec_lo, exec_lo, s5
	v_xad_u32 v23, v45, -1, ttmp9
	s_mov_b32 s12, 0
	s_mov_b32 s5, exec_lo
	s_delay_alu instid0(VALU_DEP_1) | instskip(NEXT) | instid1(VALU_DEP_1)
	v_add_nc_u32_e32 v3, 32, v23
	v_lshlrev_b64_e32 v[3:4], 4, v[3:4]
	s_wait_kmcnt 0x0
	s_delay_alu instid0(VALU_DEP_1) | instskip(SKIP_1) | instid1(VALU_DEP_2)
	v_add_co_u32 v3, vcc_lo, s6, v3
	s_wait_alu 0xfffd
	v_add_co_ci_u32_e64 v4, null, s7, v4, vcc_lo
	;;#ASMSTART
	global_load_b128 v[5:8], v[3:4] off scope:SCOPE_DEV	
s_wait_loadcnt 0x0
	;;#ASMEND
	v_and_b32_e32 v8, 0xff, v7
	s_delay_alu instid0(VALU_DEP_1)
	v_cmpx_eq_u16_e32 0, v8
	s_cbranch_execz .LBB1505_57
.LBB1505_55:                            ; =>This Inner Loop Header: Depth=1
	;;#ASMSTART
	global_load_b128 v[5:8], v[3:4] off scope:SCOPE_DEV	
s_wait_loadcnt 0x0
	;;#ASMEND
	v_and_b32_e32 v8, 0xff, v7
	s_delay_alu instid0(VALU_DEP_1)
	v_cmp_ne_u16_e32 vcc_lo, 0, v8
	s_wait_alu 0xfffe
	s_or_b32 s12, vcc_lo, s12
	s_wait_alu 0xfffe
	s_and_not1_b32 exec_lo, exec_lo, s12
	s_cbranch_execnz .LBB1505_55
; %bb.56:
	s_or_b32 exec_lo, exec_lo, s12
.LBB1505_57:
	s_wait_alu 0xfffe
	s_or_b32 exec_lo, exec_lo, s5
	v_cmp_ne_u32_e32 vcc_lo, 31, v45
	v_and_b32_e32 v4, 0xff, v7
	v_lshlrev_b32_e64 v30, v45, -1
	s_mov_b32 s5, exec_lo
	s_wait_alu 0xfffd
	v_add_co_ci_u32_e64 v3, null, 0, v45, vcc_lo
	v_cmp_eq_u16_e32 vcc_lo, 2, v4
	s_delay_alu instid0(VALU_DEP_2)
	v_dual_mov_b32 v4, v5 :: v_dual_lshlrev_b32 v29, 2, v3
	s_wait_alu 0xfffd
	v_and_or_b32 v3, vcc_lo, v30, 0x80000000
	ds_bpermute_b32 v24, v29, v5
	ds_bpermute_b32 v8, v29, v6
	v_ctz_i32_b32_e32 v3, v3
	s_delay_alu instid0(VALU_DEP_1)
	v_cmpx_lt_u32_e64 v45, v3
	s_cbranch_execz .LBB1505_59
; %bb.58:
	s_wait_dscnt 0x1
	v_add_co_u32 v4, vcc_lo, v5, v24
	s_wait_alu 0xfffd
	v_add_co_ci_u32_e64 v6, null, 0, v6, vcc_lo
	s_delay_alu instid0(VALU_DEP_2) | instskip(SKIP_2) | instid1(VALU_DEP_2)
	v_add_co_u32 v5, vcc_lo, 0, v4
	s_wait_dscnt 0x0
	s_wait_alu 0xfffd
	v_add_co_ci_u32_e64 v6, null, v8, v6, vcc_lo
.LBB1505_59:
	s_wait_alu 0xfffe
	s_or_b32 exec_lo, exec_lo, s5
	v_cmp_gt_u32_e32 vcc_lo, 30, v45
	v_add_nc_u32_e32 v32, 2, v45
	s_mov_b32 s5, exec_lo
	s_wait_dscnt 0x0
	s_wait_alu 0xfffd
	v_cndmask_b32_e64 v8, 0, 2, vcc_lo
	s_delay_alu instid0(VALU_DEP_1)
	v_add_lshl_u32 v31, v8, v45, 2
	ds_bpermute_b32 v24, v31, v4
	ds_bpermute_b32 v8, v31, v6
	v_cmpx_le_u32_e64 v32, v3
	s_cbranch_execz .LBB1505_61
; %bb.60:
	s_wait_dscnt 0x1
	v_add_co_u32 v4, vcc_lo, v5, v24
	s_wait_alu 0xfffd
	v_add_co_ci_u32_e64 v6, null, 0, v6, vcc_lo
	s_delay_alu instid0(VALU_DEP_2) | instskip(SKIP_2) | instid1(VALU_DEP_2)
	v_add_co_u32 v5, vcc_lo, 0, v4
	s_wait_dscnt 0x0
	s_wait_alu 0xfffd
	v_add_co_ci_u32_e64 v6, null, v8, v6, vcc_lo
.LBB1505_61:
	s_wait_alu 0xfffe
	s_or_b32 exec_lo, exec_lo, s5
	v_cmp_gt_u32_e32 vcc_lo, 28, v45
	v_add_nc_u32_e32 v34, 4, v45
	s_mov_b32 s5, exec_lo
	s_wait_dscnt 0x0
	s_wait_alu 0xfffd
	v_cndmask_b32_e64 v8, 0, 4, vcc_lo
	s_delay_alu instid0(VALU_DEP_1)
	v_add_lshl_u32 v33, v8, v45, 2
	ds_bpermute_b32 v24, v33, v4
	ds_bpermute_b32 v8, v33, v6
	v_cmpx_le_u32_e64 v34, v3
	;; [unrolled: 25-line block ×3, first 2 shown]
	s_cbranch_execz .LBB1505_65
; %bb.64:
	s_wait_dscnt 0x1
	v_add_co_u32 v4, vcc_lo, v5, v24
	s_wait_alu 0xfffd
	v_add_co_ci_u32_e64 v6, null, 0, v6, vcc_lo
	s_delay_alu instid0(VALU_DEP_2) | instskip(SKIP_2) | instid1(VALU_DEP_2)
	v_add_co_u32 v5, vcc_lo, 0, v4
	s_wait_dscnt 0x0
	s_wait_alu 0xfffd
	v_add_co_ci_u32_e64 v6, null, v8, v6, vcc_lo
.LBB1505_65:
	s_wait_alu 0xfffe
	s_or_b32 exec_lo, exec_lo, s5
	v_lshl_or_b32 v49, v45, 2, 64
	v_add_nc_u32_e32 v50, 16, v45
	s_mov_b32 s5, exec_lo
	s_wait_dscnt 0x0
	ds_bpermute_b32 v8, v49, v4
	ds_bpermute_b32 v4, v49, v6
	v_cmpx_le_u32_e64 v50, v3
	s_cbranch_execz .LBB1505_67
; %bb.66:
	s_wait_dscnt 0x1
	v_add_co_u32 v3, vcc_lo, v5, v8
	s_wait_alu 0xfffd
	v_add_co_ci_u32_e64 v6, null, 0, v6, vcc_lo
	s_delay_alu instid0(VALU_DEP_2) | instskip(SKIP_2) | instid1(VALU_DEP_2)
	v_add_co_u32 v5, vcc_lo, v3, 0
	s_wait_dscnt 0x0
	s_wait_alu 0xfffd
	v_add_co_ci_u32_e64 v6, null, v6, v4, vcc_lo
.LBB1505_67:
	s_wait_alu 0xfffe
	s_or_b32 exec_lo, exec_lo, s5
	v_mov_b32_e32 v24, 0
	s_branch .LBB1505_70
.LBB1505_68:                            ;   in Loop: Header=BB1505_70 Depth=1
	s_wait_alu 0xfffe
	s_or_b32 exec_lo, exec_lo, s5
	v_add_co_u32 v5, vcc_lo, v5, v3
	v_subrev_nc_u32_e32 v23, 32, v23
	s_wait_alu 0xfffd
	v_add_co_ci_u32_e64 v6, null, v6, v4, vcc_lo
	s_mov_b32 s5, 0
.LBB1505_69:                            ;   in Loop: Header=BB1505_70 Depth=1
	s_wait_alu 0xfffe
	s_and_b32 vcc_lo, exec_lo, s5
	s_wait_alu 0xfffe
	s_cbranch_vccnz .LBB1505_86
.LBB1505_70:                            ; =>This Loop Header: Depth=1
                                        ;     Child Loop BB1505_73 Depth 2
	v_and_b32_e32 v3, 0xff, v7
	s_mov_b32 s5, -1
	s_delay_alu instid0(VALU_DEP_1)
	v_cmp_ne_u16_e32 vcc_lo, 2, v3
	s_wait_dscnt 0x0
	v_dual_mov_b32 v3, v5 :: v_dual_mov_b32 v4, v6
                                        ; implicit-def: $vgpr5_vgpr6
	s_cmp_lg_u32 vcc_lo, exec_lo
	s_cbranch_scc1 .LBB1505_69
; %bb.71:                               ;   in Loop: Header=BB1505_70 Depth=1
	v_lshlrev_b64_e32 v[5:6], 4, v[23:24]
	s_mov_b32 s5, exec_lo
	s_delay_alu instid0(VALU_DEP_1) | instskip(SKIP_1) | instid1(VALU_DEP_2)
	v_add_co_u32 v25, vcc_lo, s6, v5
	s_wait_alu 0xfffd
	v_add_co_ci_u32_e64 v26, null, s7, v6, vcc_lo
	;;#ASMSTART
	global_load_b128 v[5:8], v[25:26] off scope:SCOPE_DEV	
s_wait_loadcnt 0x0
	;;#ASMEND
	v_and_b32_e32 v8, 0xff, v7
	s_delay_alu instid0(VALU_DEP_1)
	v_cmpx_eq_u16_e32 0, v8
	s_cbranch_execz .LBB1505_75
; %bb.72:                               ;   in Loop: Header=BB1505_70 Depth=1
	s_mov_b32 s12, 0
.LBB1505_73:                            ;   Parent Loop BB1505_70 Depth=1
                                        ; =>  This Inner Loop Header: Depth=2
	;;#ASMSTART
	global_load_b128 v[5:8], v[25:26] off scope:SCOPE_DEV	
s_wait_loadcnt 0x0
	;;#ASMEND
	v_and_b32_e32 v8, 0xff, v7
	s_delay_alu instid0(VALU_DEP_1)
	v_cmp_ne_u16_e32 vcc_lo, 0, v8
	s_wait_alu 0xfffe
	s_or_b32 s12, vcc_lo, s12
	s_wait_alu 0xfffe
	s_and_not1_b32 exec_lo, exec_lo, s12
	s_cbranch_execnz .LBB1505_73
; %bb.74:                               ;   in Loop: Header=BB1505_70 Depth=1
	s_or_b32 exec_lo, exec_lo, s12
.LBB1505_75:                            ;   in Loop: Header=BB1505_70 Depth=1
	s_wait_alu 0xfffe
	s_or_b32 exec_lo, exec_lo, s5
	v_dual_mov_b32 v25, v5 :: v_dual_and_b32 v8, 0xff, v7
	ds_bpermute_b32 v51, v29, v5
	ds_bpermute_b32 v26, v29, v6
	s_mov_b32 s5, exec_lo
	v_cmp_eq_u16_e32 vcc_lo, 2, v8
	s_wait_alu 0xfffd
	v_and_or_b32 v8, vcc_lo, v30, 0x80000000
	s_delay_alu instid0(VALU_DEP_1) | instskip(NEXT) | instid1(VALU_DEP_1)
	v_ctz_i32_b32_e32 v8, v8
	v_cmpx_lt_u32_e64 v45, v8
	s_cbranch_execz .LBB1505_77
; %bb.76:                               ;   in Loop: Header=BB1505_70 Depth=1
	s_wait_dscnt 0x1
	v_add_co_u32 v25, vcc_lo, v5, v51
	s_wait_alu 0xfffd
	v_add_co_ci_u32_e64 v6, null, 0, v6, vcc_lo
	s_delay_alu instid0(VALU_DEP_2) | instskip(SKIP_2) | instid1(VALU_DEP_2)
	v_add_co_u32 v5, vcc_lo, 0, v25
	s_wait_dscnt 0x0
	s_wait_alu 0xfffd
	v_add_co_ci_u32_e64 v6, null, v26, v6, vcc_lo
.LBB1505_77:                            ;   in Loop: Header=BB1505_70 Depth=1
	s_wait_alu 0xfffe
	s_or_b32 exec_lo, exec_lo, s5
	s_wait_dscnt 0x1
	ds_bpermute_b32 v51, v31, v25
	s_wait_dscnt 0x1
	ds_bpermute_b32 v26, v31, v6
	s_mov_b32 s5, exec_lo
	v_cmpx_le_u32_e64 v32, v8
	s_cbranch_execz .LBB1505_79
; %bb.78:                               ;   in Loop: Header=BB1505_70 Depth=1
	s_wait_dscnt 0x1
	v_add_co_u32 v25, vcc_lo, v5, v51
	s_wait_alu 0xfffd
	v_add_co_ci_u32_e64 v6, null, 0, v6, vcc_lo
	s_delay_alu instid0(VALU_DEP_2) | instskip(SKIP_2) | instid1(VALU_DEP_2)
	v_add_co_u32 v5, vcc_lo, 0, v25
	s_wait_dscnt 0x0
	s_wait_alu 0xfffd
	v_add_co_ci_u32_e64 v6, null, v26, v6, vcc_lo
.LBB1505_79:                            ;   in Loop: Header=BB1505_70 Depth=1
	s_wait_alu 0xfffe
	s_or_b32 exec_lo, exec_lo, s5
	s_wait_dscnt 0x1
	ds_bpermute_b32 v51, v33, v25
	s_wait_dscnt 0x1
	ds_bpermute_b32 v26, v33, v6
	s_mov_b32 s5, exec_lo
	v_cmpx_le_u32_e64 v34, v8
	;; [unrolled: 20-line block ×3, first 2 shown]
	s_cbranch_execz .LBB1505_83
; %bb.82:                               ;   in Loop: Header=BB1505_70 Depth=1
	s_wait_dscnt 0x1
	v_add_co_u32 v25, vcc_lo, v5, v51
	s_wait_alu 0xfffd
	v_add_co_ci_u32_e64 v6, null, 0, v6, vcc_lo
	s_delay_alu instid0(VALU_DEP_2) | instskip(SKIP_2) | instid1(VALU_DEP_2)
	v_add_co_u32 v5, vcc_lo, 0, v25
	s_wait_dscnt 0x0
	s_wait_alu 0xfffd
	v_add_co_ci_u32_e64 v6, null, v26, v6, vcc_lo
.LBB1505_83:                            ;   in Loop: Header=BB1505_70 Depth=1
	s_wait_alu 0xfffe
	s_or_b32 exec_lo, exec_lo, s5
	s_wait_dscnt 0x0
	ds_bpermute_b32 v26, v49, v25
	ds_bpermute_b32 v25, v49, v6
	s_mov_b32 s5, exec_lo
	v_cmpx_le_u32_e64 v50, v8
	s_cbranch_execz .LBB1505_68
; %bb.84:                               ;   in Loop: Header=BB1505_70 Depth=1
	s_wait_dscnt 0x1
	v_add_co_u32 v5, vcc_lo, v5, v26
	s_wait_alu 0xfffd
	v_add_co_ci_u32_e64 v6, null, 0, v6, vcc_lo
	s_delay_alu instid0(VALU_DEP_2) | instskip(SKIP_2) | instid1(VALU_DEP_2)
	v_add_co_u32 v5, vcc_lo, v5, 0
	s_wait_dscnt 0x0
	s_wait_alu 0xfffd
	v_add_co_ci_u32_e64 v6, null, v6, v25, vcc_lo
	s_branch .LBB1505_68
.LBB1505_85:
                                        ; implicit-def: $vgpr21_vgpr22
                                        ; implicit-def: $vgpr6_vgpr7
                                        ; implicit-def: $vgpr23_vgpr24
                                        ; implicit-def: $vgpr25_vgpr26
                                        ; implicit-def: $vgpr27_vgpr28
                                        ; implicit-def: $vgpr29_vgpr30
                                        ; implicit-def: $vgpr31_vgpr32
                                        ; implicit-def: $vgpr33_vgpr34
                                        ; implicit-def: $vgpr4_vgpr5
	s_wait_alu 0xfffe
	s_and_b32 vcc_lo, exec_lo, s3
	s_wait_alu 0xfffe
	s_cbranch_vccnz .LBB1505_91
	s_branch .LBB1505_116
.LBB1505_86:
	s_and_saveexec_b32 s5, s3
	s_cbranch_execz .LBB1505_88
; %bb.87:
	s_add_co_i32 s12, ttmp9, 32
	s_mov_b32 s13, 0
	v_add_co_u32 v5, vcc_lo, v3, v1
	s_wait_alu 0xfffe
	s_lshl_b64 s[12:13], s[12:13], 4
	v_dual_mov_b32 v7, 2 :: v_dual_mov_b32 v8, 0
	s_wait_alu 0xfffe
	s_add_nc_u64 s[12:13], s[6:7], s[12:13]
	s_wait_alu 0xfffd
	v_add_co_ci_u32_e64 v6, null, v4, v2, vcc_lo
	s_wait_alu 0xfffe
	v_dual_mov_b32 v24, s13 :: v_dual_mov_b32 v23, s12
	;;#ASMSTART
	global_store_b128 v[23:24], v[5:8] off scope:SCOPE_DEV	
s_wait_storecnt 0x0
	;;#ASMEND
	ds_store_b128 v8, v[1:4] offset:6336
.LBB1505_88:
	s_wait_alu 0xfffe
	s_or_b32 exec_lo, exec_lo, s5
	v_cmp_eq_u32_e32 vcc_lo, 0, v0
	s_and_b32 exec_lo, exec_lo, vcc_lo
; %bb.89:
	v_mov_b32_e32 v1, 0
	ds_store_b64 v1, v[3:4] offset:40
.LBB1505_90:
	s_wait_alu 0xfffe
	s_or_b32 exec_lo, exec_lo, s4
	s_wait_dscnt 0x1
	v_cndmask_b32_e64 v4, v27, v21, s3
	v_cmp_ne_u32_e32 vcc_lo, 0, v0
	v_mov_b32_e32 v3, 0
	s_wait_loadcnt_dscnt 0x0
	s_barrier_signal -1
	s_barrier_wait -1
	global_inv scope:SCOPE_SE
	s_wait_alu 0xfffd
	v_cndmask_b32_e32 v4, 0, v4, vcc_lo
	ds_load_b64 v[1:2], v3 offset:40
	v_cndmask_b32_e64 v5, v28, v22, s3
	s_wait_loadcnt_dscnt 0x0
	s_barrier_signal -1
	s_barrier_wait -1
	global_inv scope:SCOPE_SE
	v_cndmask_b32_e32 v5, 0, v5, vcc_lo
	v_add_co_u32 v33, vcc_lo, v1, v4
	s_wait_alu 0xfffd
	s_delay_alu instid0(VALU_DEP_2) | instskip(SKIP_4) | instid1(VALU_DEP_2)
	v_add_co_ci_u32_e64 v34, null, v2, v5, vcc_lo
	ds_load_b128 v[2:5], v3 offset:6336
	v_add_co_u32 v31, vcc_lo, v33, v41
	s_wait_alu 0xfffd
	v_add_co_ci_u32_e64 v32, null, 0, v34, vcc_lo
	v_add_co_u32 v29, vcc_lo, v31, v40
	s_wait_alu 0xfffd
	s_delay_alu instid0(VALU_DEP_2) | instskip(NEXT) | instid1(VALU_DEP_2)
	v_add_co_ci_u32_e64 v30, null, 0, v32, vcc_lo
	v_add_co_u32 v27, vcc_lo, v29, v39
	s_wait_alu 0xfffd
	s_delay_alu instid0(VALU_DEP_2) | instskip(NEXT) | instid1(VALU_DEP_2)
	;; [unrolled: 4-line block ×5, first 2 shown]
	v_add_co_ci_u32_e64 v7, null, 0, v24, vcc_lo
	v_add_co_u32 v21, vcc_lo, v6, v42
	s_wait_alu 0xfffd
	s_delay_alu instid0(VALU_DEP_2)
	v_add_co_ci_u32_e64 v22, null, 0, v7, vcc_lo
	s_branch .LBB1505_116
.LBB1505_91:
	s_wait_dscnt 0x0
	v_dual_mov_b32 v2, 0 :: v_dual_mov_b32 v3, v19
	v_mov_b32_dpp v4, v19 row_shr:1 row_mask:0xf bank_mask:0xf
	s_delay_alu instid0(VALU_DEP_2)
	v_mov_b32_dpp v1, v2 row_shr:1 row_mask:0xf bank_mask:0xf
	s_and_saveexec_b32 s3, s2
; %bb.92:
	s_delay_alu instid0(VALU_DEP_2) | instskip(SKIP_2) | instid1(VALU_DEP_2)
	v_add_co_u32 v3, vcc_lo, v19, v4
	s_wait_alu 0xfffd
	v_add_co_ci_u32_e64 v2, null, 0, v20, vcc_lo
	v_add_co_u32 v19, vcc_lo, 0, v3
	s_wait_alu 0xfffd
	s_delay_alu instid0(VALU_DEP_2) | instskip(NEXT) | instid1(VALU_DEP_1)
	v_add_co_ci_u32_e64 v20, null, v1, v2, vcc_lo
	v_mov_b32_e32 v2, v20
; %bb.93:
	s_wait_alu 0xfffe
	s_or_b32 exec_lo, exec_lo, s3
	v_mov_b32_dpp v1, v3 row_shr:2 row_mask:0xf bank_mask:0xf
	s_delay_alu instid0(VALU_DEP_2)
	v_mov_b32_dpp v4, v2 row_shr:2 row_mask:0xf bank_mask:0xf
	s_mov_b32 s2, exec_lo
	v_cmpx_lt_u32_e32 1, v46
; %bb.94:
	s_delay_alu instid0(VALU_DEP_3) | instskip(SKIP_2) | instid1(VALU_DEP_2)
	v_add_co_u32 v3, vcc_lo, v19, v1
	s_wait_alu 0xfffd
	v_add_co_ci_u32_e64 v2, null, 0, v20, vcc_lo
	v_add_co_u32 v1, vcc_lo, 0, v3
	s_wait_alu 0xfffd
	s_delay_alu instid0(VALU_DEP_2) | instskip(NEXT) | instid1(VALU_DEP_1)
	v_add_co_ci_u32_e64 v2, null, v4, v2, vcc_lo
	v_dual_mov_b32 v20, v2 :: v_dual_mov_b32 v19, v1
; %bb.95:
	s_wait_alu 0xfffe
	s_or_b32 exec_lo, exec_lo, s2
	v_mov_b32_dpp v1, v3 row_shr:4 row_mask:0xf bank_mask:0xf
	v_mov_b32_dpp v4, v2 row_shr:4 row_mask:0xf bank_mask:0xf
	s_mov_b32 s2, exec_lo
	v_cmpx_lt_u32_e32 3, v46
; %bb.96:
	s_delay_alu instid0(VALU_DEP_3) | instskip(SKIP_2) | instid1(VALU_DEP_2)
	v_add_co_u32 v3, vcc_lo, v19, v1
	s_wait_alu 0xfffd
	v_add_co_ci_u32_e64 v2, null, 0, v20, vcc_lo
	v_add_co_u32 v1, vcc_lo, 0, v3
	s_wait_alu 0xfffd
	s_delay_alu instid0(VALU_DEP_2) | instskip(NEXT) | instid1(VALU_DEP_1)
	v_add_co_ci_u32_e64 v2, null, v4, v2, vcc_lo
	v_dual_mov_b32 v20, v2 :: v_dual_mov_b32 v19, v1
; %bb.97:
	s_wait_alu 0xfffe
	s_or_b32 exec_lo, exec_lo, s2
	v_mov_b32_dpp v4, v3 row_shr:8 row_mask:0xf bank_mask:0xf
	v_mov_b32_dpp v1, v2 row_shr:8 row_mask:0xf bank_mask:0xf
	s_mov_b32 s2, exec_lo
	v_cmpx_lt_u32_e32 7, v46
; %bb.98:
	s_delay_alu instid0(VALU_DEP_3) | instskip(SKIP_2) | instid1(VALU_DEP_2)
	v_add_co_u32 v3, vcc_lo, v19, v4
	s_wait_alu 0xfffd
	v_add_co_ci_u32_e64 v2, null, 0, v20, vcc_lo
	v_add_co_u32 v19, vcc_lo, 0, v3
	s_wait_alu 0xfffd
	s_delay_alu instid0(VALU_DEP_2) | instskip(NEXT) | instid1(VALU_DEP_1)
	v_add_co_ci_u32_e64 v20, null, v1, v2, vcc_lo
	v_mov_b32_e32 v2, v20
; %bb.99:
	s_wait_alu 0xfffe
	s_or_b32 exec_lo, exec_lo, s2
	ds_swizzle_b32 v3, v3 offset:swizzle(BROADCAST,32,15)
	ds_swizzle_b32 v1, v2 offset:swizzle(BROADCAST,32,15)
	v_and_b32_e32 v2, 16, v45
	s_mov_b32 s2, exec_lo
	s_delay_alu instid0(VALU_DEP_1)
	v_cmpx_ne_u32_e32 0, v2
	s_cbranch_execz .LBB1505_101
; %bb.100:
	s_wait_dscnt 0x1
	v_add_co_u32 v2, vcc_lo, v19, v3
	s_wait_alu 0xfffd
	v_add_co_ci_u32_e64 v3, null, 0, v20, vcc_lo
	s_delay_alu instid0(VALU_DEP_2) | instskip(SKIP_2) | instid1(VALU_DEP_2)
	v_add_co_u32 v19, vcc_lo, v2, 0
	s_wait_dscnt 0x0
	s_wait_alu 0xfffd
	v_add_co_ci_u32_e64 v20, null, v3, v1, vcc_lo
.LBB1505_101:
	s_wait_alu 0xfffe
	s_or_b32 exec_lo, exec_lo, s2
	s_wait_dscnt 0x0
	v_and_b32_e32 v1, 0xe0, v0
	s_mov_b32 s2, exec_lo
	s_delay_alu instid0(VALU_DEP_1) | instskip(NEXT) | instid1(VALU_DEP_1)
	v_min_u32_e32 v1, 0xa0, v1
	v_or_b32_e32 v1, 31, v1
	s_delay_alu instid0(VALU_DEP_1)
	v_cmpx_eq_u32_e64 v0, v1
; %bb.102:
	v_lshlrev_b32_e32 v1, 3, v35
	ds_store_b64 v1, v[19:20]
; %bb.103:
	s_wait_alu 0xfffe
	s_or_b32 exec_lo, exec_lo, s2
	s_delay_alu instid0(SALU_CYCLE_1)
	s_mov_b32 s2, exec_lo
	s_wait_loadcnt_dscnt 0x0
	s_barrier_signal -1
	s_barrier_wait -1
	global_inv scope:SCOPE_SE
	v_cmpx_gt_u32_e32 6, v0
	s_cbranch_execz .LBB1505_111
; %bb.104:
	ds_load_b64 v[1:2], v38
	v_and_b32_e32 v3, 7, v45
	s_mov_b32 s3, exec_lo
	s_wait_dscnt 0x0
	v_mov_b32_dpp v6, v1 row_shr:1 row_mask:0xf bank_mask:0xf
	v_mov_b32_dpp v5, v2 row_shr:1 row_mask:0xf bank_mask:0xf
	v_mov_b32_e32 v4, v1
	v_cmpx_ne_u32_e32 0, v3
; %bb.105:
	s_delay_alu instid0(VALU_DEP_4) | instskip(SKIP_2) | instid1(VALU_DEP_2)
	v_add_co_u32 v4, vcc_lo, v1, v6
	s_wait_alu 0xfffd
	v_add_co_ci_u32_e64 v2, null, 0, v2, vcc_lo
	v_add_co_u32 v1, vcc_lo, 0, v4
	s_wait_alu 0xfffd
	s_delay_alu instid0(VALU_DEP_2)
	v_add_co_ci_u32_e64 v2, null, v5, v2, vcc_lo
; %bb.106:
	s_wait_alu 0xfffe
	s_or_b32 exec_lo, exec_lo, s3
	v_mov_b32_dpp v6, v4 row_shr:2 row_mask:0xf bank_mask:0xf
	s_delay_alu instid0(VALU_DEP_2)
	v_mov_b32_dpp v5, v2 row_shr:2 row_mask:0xf bank_mask:0xf
	s_mov_b32 s3, exec_lo
	v_cmpx_lt_u32_e32 1, v3
; %bb.107:
	s_delay_alu instid0(VALU_DEP_3) | instskip(SKIP_2) | instid1(VALU_DEP_2)
	v_add_co_u32 v4, vcc_lo, v1, v6
	s_wait_alu 0xfffd
	v_add_co_ci_u32_e64 v2, null, 0, v2, vcc_lo
	v_add_co_u32 v1, vcc_lo, 0, v4
	s_wait_alu 0xfffd
	s_delay_alu instid0(VALU_DEP_2)
	v_add_co_ci_u32_e64 v2, null, v5, v2, vcc_lo
; %bb.108:
	s_wait_alu 0xfffe
	s_or_b32 exec_lo, exec_lo, s3
	v_mov_b32_dpp v5, v4 row_shr:4 row_mask:0xf bank_mask:0xf
	s_delay_alu instid0(VALU_DEP_2)
	v_mov_b32_dpp v4, v2 row_shr:4 row_mask:0xf bank_mask:0xf
	s_mov_b32 s3, exec_lo
	v_cmpx_lt_u32_e32 3, v3
; %bb.109:
	s_delay_alu instid0(VALU_DEP_3) | instskip(SKIP_2) | instid1(VALU_DEP_2)
	v_add_co_u32 v1, vcc_lo, v1, v5
	s_wait_alu 0xfffd
	v_add_co_ci_u32_e64 v2, null, 0, v2, vcc_lo
	v_add_co_u32 v1, vcc_lo, v1, 0
	s_wait_alu 0xfffd
	s_delay_alu instid0(VALU_DEP_2)
	v_add_co_ci_u32_e64 v2, null, v2, v4, vcc_lo
; %bb.110:
	s_wait_alu 0xfffe
	s_or_b32 exec_lo, exec_lo, s3
	ds_store_b64 v38, v[1:2]
.LBB1505_111:
	s_wait_alu 0xfffe
	s_or_b32 exec_lo, exec_lo, s2
	v_mov_b32_e32 v6, 0
	v_mov_b32_e32 v7, 0
	s_mov_b32 s2, exec_lo
	s_wait_loadcnt_dscnt 0x0
	s_barrier_signal -1
	s_barrier_wait -1
	global_inv scope:SCOPE_SE
	v_cmpx_lt_u32_e32 31, v0
; %bb.112:
	v_lshl_add_u32 v1, v35, 3, -8
	ds_load_b64 v[6:7], v1
; %bb.113:
	s_wait_alu 0xfffe
	s_or_b32 exec_lo, exec_lo, s2
	v_sub_co_u32 v1, vcc_lo, v45, 1
	v_mov_b32_e32 v5, 0
	s_delay_alu instid0(VALU_DEP_2) | instskip(SKIP_1) | instid1(VALU_DEP_1)
	v_cmp_gt_i32_e64 s2, 0, v1
	s_wait_alu 0xf1ff
	v_cndmask_b32_e64 v1, v1, v45, s2
	s_delay_alu instid0(VALU_DEP_1)
	v_lshlrev_b32_e32 v2, 2, v1
	s_wait_dscnt 0x0
	v_add_co_u32 v1, s2, v6, v19
	s_wait_alu 0xf1ff
	v_add_co_ci_u32_e64 v3, null, v7, v20, s2
	v_cmp_eq_u32_e64 s2, 0, v0
	ds_bpermute_b32 v1, v2, v1
	ds_bpermute_b32 v8, v2, v3
	ds_load_b64 v[2:3], v5 offset:40
	s_and_saveexec_b32 s3, s2
	s_cbranch_execz .LBB1505_115
; %bb.114:
	s_wait_kmcnt 0x0
	s_add_nc_u64 s[4:5], s[6:7], 0x200
	v_mov_b32_e32 v4, 2
	s_wait_alu 0xfffe
	v_dual_mov_b32 v20, s5 :: v_dual_mov_b32 v19, s4
	s_wait_dscnt 0x0
	;;#ASMSTART
	global_store_b128 v[19:20], v[2:5] off scope:SCOPE_DEV	
s_wait_storecnt 0x0
	;;#ASMEND
.LBB1505_115:
	s_wait_alu 0xfffe
	s_or_b32 exec_lo, exec_lo, s3
	s_wait_dscnt 0x1
	s_wait_alu 0xfffd
	v_dual_cndmask_b32 v1, v1, v6 :: v_dual_cndmask_b32 v4, v8, v7
	s_wait_loadcnt_dscnt 0x0
	s_barrier_signal -1
	s_barrier_wait -1
	s_delay_alu instid0(VALU_DEP_1)
	v_cndmask_b32_e64 v33, v1, 0, s2
	v_cndmask_b32_e64 v34, v4, 0, s2
	v_mov_b32_e32 v4, 0
	v_mov_b32_e32 v5, 0
	global_inv scope:SCOPE_SE
	v_add_co_u32 v31, vcc_lo, v33, v41
	s_wait_alu 0xfffd
	v_add_co_ci_u32_e64 v32, null, 0, v34, vcc_lo
	s_delay_alu instid0(VALU_DEP_2) | instskip(SKIP_1) | instid1(VALU_DEP_2)
	v_add_co_u32 v29, vcc_lo, v31, v40
	s_wait_alu 0xfffd
	v_add_co_ci_u32_e64 v30, null, 0, v32, vcc_lo
	s_delay_alu instid0(VALU_DEP_2) | instskip(SKIP_1) | instid1(VALU_DEP_2)
	;; [unrolled: 4-line block ×6, first 2 shown]
	v_add_co_u32 v21, vcc_lo, v6, v42
	s_wait_alu 0xfffd
	v_add_co_ci_u32_e64 v22, null, 0, v7, vcc_lo
.LBB1505_116:
	s_load_b64 s[2:3], s[0:1], 0x30
	v_lshrrev_b32_e32 v38, 8, v17
	v_lshrrev_b32_e32 v35, 16, v17
	v_and_b32_e32 v17, 1, v17
	s_wait_dscnt 0x0
	v_cmp_gt_u64_e32 vcc_lo, 0xc1, v[2:3]
	v_lshrrev_b32_e32 v8, 8, v18
	v_lshrrev_b32_e32 v1, 16, v18
	s_mov_b32 s1, -1
	v_cmp_eq_u32_e64 s0, 1, v17
	s_cbranch_vccnz .LBB1505_120
; %bb.117:
	s_wait_alu 0xfffe
	s_and_b32 vcc_lo, exec_lo, s1
	s_wait_alu 0xfffe
	s_cbranch_vccnz .LBB1505_137
.LBB1505_118:
	v_cmp_eq_u32_e32 vcc_lo, 0, v0
	s_and_b32 s0, vcc_lo, s16
	s_wait_alu 0xfffe
	s_and_saveexec_b32 s1, s0
	s_cbranch_execnz .LBB1505_157
.LBB1505_119:
	s_endpgm
.LBB1505_120:
	v_add_co_u32 v19, vcc_lo, v4, v2
	s_wait_alu 0xfffd
	v_add_co_ci_u32_e64 v20, null, v5, v3, vcc_lo
	s_lshl_b64 s[4:5], s[10:11], 2
	s_wait_kmcnt 0x0
	s_wait_alu 0xfffe
	s_add_nc_u64 s[4:5], s[2:3], s[4:5]
	v_cmp_lt_u64_e32 vcc_lo, v[33:34], v[19:20]
	s_or_b32 s1, s17, vcc_lo
	s_wait_alu 0xfffe
	s_and_b32 s1, s1, s0
	s_wait_alu 0xfffe
	s_and_saveexec_b32 s0, s1
	s_cbranch_execz .LBB1505_122
; %bb.121:
	v_lshlrev_b64_e32 v[39:40], 2, v[33:34]
	s_delay_alu instid0(VALU_DEP_1) | instskip(SKIP_1) | instid1(VALU_DEP_2)
	v_add_co_u32 v39, vcc_lo, s4, v39
	s_wait_alu 0xfffd
	v_add_co_ci_u32_e64 v40, null, s5, v40, vcc_lo
	global_store_b32 v[39:40], v15, off
.LBB1505_122:
	s_wait_alu 0xfffe
	s_or_b32 exec_lo, exec_lo, s0
	v_and_b32_e32 v34, 1, v38
	v_cmp_lt_u64_e32 vcc_lo, v[31:32], v[19:20]
	s_delay_alu instid0(VALU_DEP_2)
	v_cmp_eq_u32_e64 s0, 1, v34
	s_or_b32 s1, s17, vcc_lo
	s_wait_alu 0xfffe
	s_and_b32 s1, s1, s0
	s_wait_alu 0xfffe
	s_and_saveexec_b32 s0, s1
	s_cbranch_execz .LBB1505_124
; %bb.123:
	v_lshlrev_b64_e32 v[39:40], 2, v[31:32]
	s_delay_alu instid0(VALU_DEP_1) | instskip(SKIP_1) | instid1(VALU_DEP_2)
	v_add_co_u32 v39, vcc_lo, s4, v39
	s_wait_alu 0xfffd
	v_add_co_ci_u32_e64 v40, null, s5, v40, vcc_lo
	global_store_b32 v[39:40], v16, off
.LBB1505_124:
	s_wait_alu 0xfffe
	s_or_b32 exec_lo, exec_lo, s0
	v_and_b32_e32 v32, 1, v35
	v_cmp_lt_u64_e32 vcc_lo, v[29:30], v[19:20]
	s_delay_alu instid0(VALU_DEP_2)
	v_cmp_eq_u32_e64 s0, 1, v32
	;; [unrolled: 20-line block ×7, first 2 shown]
	s_or_b32 s1, s17, vcc_lo
	s_wait_alu 0xfffe
	s_and_b32 s1, s1, s0
	s_wait_alu 0xfffe
	s_and_saveexec_b32 s0, s1
	s_cbranch_execz .LBB1505_136
; %bb.135:
	v_lshlrev_b64_e32 v[19:20], 2, v[21:22]
	s_delay_alu instid0(VALU_DEP_1) | instskip(SKIP_1) | instid1(VALU_DEP_2)
	v_add_co_u32 v19, vcc_lo, s4, v19
	s_wait_alu 0xfffd
	v_add_co_ci_u32_e64 v20, null, s5, v20, vcc_lo
	global_store_b32 v[19:20], v10, off
.LBB1505_136:
	s_wait_alu 0xfffe
	s_or_b32 exec_lo, exec_lo, s0
	s_branch .LBB1505_118
.LBB1505_137:
	s_mov_b32 s0, exec_lo
	v_cmpx_eq_u32_e32 1, v17
; %bb.138:
	v_sub_nc_u32_e32 v7, v33, v4
	s_delay_alu instid0(VALU_DEP_1)
	v_lshlrev_b32_e32 v7, 2, v7
	ds_store_b32 v7, v15
; %bb.139:
	s_wait_alu 0xfffe
	s_or_b32 exec_lo, exec_lo, s0
	v_and_b32_e32 v7, 1, v38
	s_mov_b32 s0, exec_lo
	s_delay_alu instid0(VALU_DEP_1)
	v_cmpx_eq_u32_e32 1, v7
; %bb.140:
	v_sub_nc_u32_e32 v7, v31, v4
	s_delay_alu instid0(VALU_DEP_1)
	v_lshlrev_b32_e32 v7, 2, v7
	ds_store_b32 v7, v16
; %bb.141:
	s_wait_alu 0xfffe
	s_or_b32 exec_lo, exec_lo, s0
	v_and_b32_e32 v7, 1, v35
	s_mov_b32 s0, exec_lo
	s_delay_alu instid0(VALU_DEP_1)
	;; [unrolled: 12-line block ×7, first 2 shown]
	v_cmpx_eq_u32_e32 1, v1
; %bb.152:
	v_sub_nc_u32_e32 v1, v21, v4
	s_delay_alu instid0(VALU_DEP_1)
	v_lshlrev_b32_e32 v1, 2, v1
	ds_store_b32 v1, v10
; %bb.153:
	s_wait_alu 0xfffe
	s_or_b32 exec_lo, exec_lo, s0
	v_mov_b32_e32 v7, 0
	s_mov_b32 s1, exec_lo
	s_wait_storecnt 0x0
	s_wait_loadcnt_dscnt 0x0
	s_barrier_signal -1
	s_barrier_wait -1
	v_mov_b32_e32 v1, v7
	global_inv scope:SCOPE_SE
	v_cmpx_gt_u64_e64 v[2:3], v[0:1]
	s_cbranch_execz .LBB1505_156
; %bb.154:
	v_lshlrev_b64_e32 v[8:9], 2, v[4:5]
	s_lshl_b64 s[4:5], s[10:11], 2
	v_add_nc_u32_e32 v6, 0xc0, v0
	s_wait_kmcnt 0x0
	s_wait_alu 0xfffe
	s_add_nc_u64 s[2:3], s[2:3], s[4:5]
	s_wait_alu 0xfffe
	v_add_co_u32 v10, vcc_lo, s2, v8
	s_wait_alu 0xfffd
	v_add_co_ci_u32_e64 v11, null, s3, v9, vcc_lo
	v_dual_mov_b32 v9, v1 :: v_dual_mov_b32 v8, v0
	s_mov_b32 s2, 0
.LBB1505_155:                           ; =>This Inner Loop Header: Depth=1
	s_delay_alu instid0(VALU_DEP_1) | instskip(NEXT) | instid1(VALU_DEP_2)
	v_lshlrev_b32_e32 v1, 2, v8
	v_lshlrev_b64_e32 v[12:13], 2, v[8:9]
	v_dual_mov_b32 v9, v7 :: v_dual_mov_b32 v8, v6
	v_cmp_le_u64_e32 vcc_lo, v[2:3], v[6:7]
	ds_load_b32 v1, v1
	v_add_nc_u32_e32 v6, 0xc0, v6
	v_add_co_u32 v12, s0, v10, v12
	s_wait_alu 0xf1ff
	v_add_co_ci_u32_e64 v13, null, v11, v13, s0
	s_wait_alu 0xfffe
	s_or_b32 s2, vcc_lo, s2
	s_wait_dscnt 0x0
	global_store_b32 v[12:13], v1, off
	s_wait_alu 0xfffe
	s_and_not1_b32 exec_lo, exec_lo, s2
	s_cbranch_execnz .LBB1505_155
.LBB1505_156:
	s_wait_alu 0xfffe
	s_or_b32 exec_lo, exec_lo, s1
	v_cmp_eq_u32_e32 vcc_lo, 0, v0
	s_and_b32 s0, vcc_lo, s16
	s_wait_alu 0xfffe
	s_and_saveexec_b32 s1, s0
	s_cbranch_execz .LBB1505_119
.LBB1505_157:
	v_add_co_u32 v0, vcc_lo, v4, v2
	s_wait_alu 0xfffd
	v_add_co_ci_u32_e64 v1, null, v5, v3, vcc_lo
	v_mov_b32_e32 v2, 0
	s_delay_alu instid0(VALU_DEP_3) | instskip(SKIP_1) | instid1(VALU_DEP_3)
	v_add_co_u32 v0, vcc_lo, v0, s10
	s_wait_alu 0xfffd
	v_add_co_ci_u32_e64 v1, null, s11, v1, vcc_lo
	global_store_b64 v2, v[0:1], s[8:9]
	s_endpgm
.LBB1505_158:
	v_add_co_u32 v11, s3, s6, v23
	s_wait_alu 0xf1ff
	v_add_co_ci_u32_e64 v12, null, s7, 0, s3
	flat_load_b32 v2, v[11:12] offset:768
	s_wait_alu 0xfffe
	s_or_b32 exec_lo, exec_lo, s2
	s_delay_alu instid0(SALU_CYCLE_1)
	s_mov_b32 s2, exec_lo
	v_cmpx_gt_u32_e64 s18, v22
	s_cbranch_execz .LBB1505_7
.LBB1505_159:
	v_add_co_u32 v11, s3, s6, v23
	s_wait_alu 0xf1ff
	v_add_co_ci_u32_e64 v12, null, s7, 0, s3
	flat_load_b32 v3, v[11:12] offset:1536
	s_wait_alu 0xfffe
	s_or_b32 exec_lo, exec_lo, s2
	s_delay_alu instid0(SALU_CYCLE_1)
	s_mov_b32 s2, exec_lo
	v_cmpx_gt_u32_e64 s18, v21
	s_cbranch_execz .LBB1505_8
.LBB1505_160:
	v_add_co_u32 v11, s3, s6, v23
	s_wait_alu 0xf1ff
	v_add_co_ci_u32_e64 v12, null, s7, 0, s3
	flat_load_b32 v4, v[11:12] offset:2304
	s_wait_alu 0xfffe
	s_or_b32 exec_lo, exec_lo, s2
	s_delay_alu instid0(SALU_CYCLE_1)
	s_mov_b32 s2, exec_lo
	v_cmpx_gt_u32_e64 s18, v18
	s_cbranch_execz .LBB1505_9
.LBB1505_161:
	v_add_co_u32 v11, s3, s6, v23
	s_wait_alu 0xf1ff
	v_add_co_ci_u32_e64 v12, null, s7, 0, s3
	flat_load_b32 v5, v[11:12] offset:3072
	s_wait_alu 0xfffe
	s_or_b32 exec_lo, exec_lo, s2
	s_delay_alu instid0(SALU_CYCLE_1)
	s_mov_b32 s2, exec_lo
	v_cmpx_gt_u32_e64 s18, v20
	s_cbranch_execz .LBB1505_10
.LBB1505_162:
	v_add_co_u32 v11, s3, s6, v23
	s_wait_alu 0xf1ff
	v_add_co_ci_u32_e64 v12, null, s7, 0, s3
	flat_load_b32 v6, v[11:12] offset:3840
	s_wait_alu 0xfffe
	s_or_b32 exec_lo, exec_lo, s2
	s_delay_alu instid0(SALU_CYCLE_1)
	s_mov_b32 s2, exec_lo
	v_cmpx_gt_u32_e64 s18, v17
	s_cbranch_execz .LBB1505_11
.LBB1505_163:
	v_add_co_u32 v11, s3, s6, v23
	s_wait_alu 0xf1ff
	v_add_co_ci_u32_e64 v12, null, s7, 0, s3
	flat_load_b32 v7, v[11:12] offset:4608
	s_wait_alu 0xfffe
	s_or_b32 exec_lo, exec_lo, s2
	s_delay_alu instid0(SALU_CYCLE_1)
	s_mov_b32 s2, exec_lo
	v_cmpx_gt_u32_e64 s18, v19
	s_cbranch_execnz .LBB1505_12
	s_branch .LBB1505_13
.LBB1505_164:
	global_load_b32 v6, v23, s[2:3] offset:768
	v_and_b32_e32 v7, 0xff, v2
	s_wait_loadcnt 0x0
	v_cmp_eq_u32_e32 vcc_lo, 0, v6
	s_wait_alu 0xfffd
	v_cndmask_b32_e64 v6, 0, 1, vcc_lo
	s_delay_alu instid0(VALU_DEP_1) | instskip(NEXT) | instid1(VALU_DEP_1)
	v_lshlrev_b16 v6, 8, v6
	v_or_b32_e32 v6, v7, v6
	s_delay_alu instid0(VALU_DEP_1) | instskip(NEXT) | instid1(VALU_DEP_1)
	v_and_b32_e32 v6, 0xffff, v6
	v_and_or_b32 v2, 0xffff0000, v2, v6
	s_wait_alu 0xfffe
	s_or_b32 exec_lo, exec_lo, s4
	s_delay_alu instid0(SALU_CYCLE_1)
	s_mov_b32 s4, exec_lo
	v_cmpx_gt_u32_e64 s18, v22
	s_cbranch_execz .LBB1505_21
.LBB1505_165:
	global_load_b32 v6, v23, s[2:3] offset:1536
	v_lshrrev_b32_e32 v7, 16, v2
	s_delay_alu instid0(VALU_DEP_1) | instskip(SKIP_4) | instid1(VALU_DEP_1)
	v_and_b32_e32 v7, 0xffffff00, v7
	s_wait_loadcnt 0x0
	v_cmp_eq_u32_e32 vcc_lo, 0, v6
	s_wait_alu 0xfffd
	v_cndmask_b32_e64 v6, 0, 1, vcc_lo
	v_or_b32_e32 v6, v6, v7
	s_delay_alu instid0(VALU_DEP_1) | instskip(NEXT) | instid1(VALU_DEP_1)
	v_lshlrev_b32_e32 v6, 16, v6
	v_and_or_b32 v2, 0xffff, v2, v6
	s_wait_alu 0xfffe
	s_or_b32 exec_lo, exec_lo, s4
	s_delay_alu instid0(SALU_CYCLE_1)
	s_mov_b32 s4, exec_lo
	v_cmpx_gt_u32_e64 s18, v21
	s_cbranch_execz .LBB1505_22
.LBB1505_166:
	global_load_b32 v6, v23, s[2:3] offset:2304
	v_lshrrev_b32_e32 v7, 16, v2
	s_delay_alu instid0(VALU_DEP_1) | instskip(SKIP_4) | instid1(VALU_DEP_1)
	v_and_b32_e32 v7, 0xff, v7
	s_wait_loadcnt 0x0
	v_cmp_eq_u32_e32 vcc_lo, 0, v6
	s_wait_alu 0xfffd
	v_cndmask_b32_e64 v6, 0, 1, vcc_lo
	v_lshlrev_b16 v6, 8, v6
	s_delay_alu instid0(VALU_DEP_1) | instskip(NEXT) | instid1(VALU_DEP_1)
	v_or_b32_e32 v6, v7, v6
	v_lshlrev_b32_e32 v6, 16, v6
	s_delay_alu instid0(VALU_DEP_1) | instskip(SKIP_2) | instid1(SALU_CYCLE_1)
	v_and_or_b32 v2, 0xffff, v2, v6
	s_wait_alu 0xfffe
	s_or_b32 exec_lo, exec_lo, s4
	s_mov_b32 s4, exec_lo
	v_cmpx_gt_u32_e64 s18, v18
	s_cbranch_execz .LBB1505_23
.LBB1505_167:
	global_load_b32 v6, v23, s[2:3] offset:3072
	v_and_b32_e32 v7, 0xffffff00, v3
	s_wait_loadcnt 0x0
	v_cmp_eq_u32_e32 vcc_lo, 0, v6
	s_wait_alu 0xfffd
	v_cndmask_b32_e64 v6, 0, 1, vcc_lo
	s_delay_alu instid0(VALU_DEP_1) | instskip(NEXT) | instid1(VALU_DEP_1)
	v_or_b32_e32 v6, v6, v7
	v_and_b32_e32 v6, 0xffff, v6
	s_delay_alu instid0(VALU_DEP_1) | instskip(SKIP_2) | instid1(SALU_CYCLE_1)
	v_and_or_b32 v3, 0xffff0000, v3, v6
	s_wait_alu 0xfffe
	s_or_b32 exec_lo, exec_lo, s4
	s_mov_b32 s4, exec_lo
	v_cmpx_gt_u32_e64 s18, v20
	s_cbranch_execz .LBB1505_24
.LBB1505_168:
	global_load_b32 v6, v23, s[2:3] offset:3840
	v_and_b32_e32 v7, 0xff, v3
	s_wait_loadcnt 0x0
	v_cmp_eq_u32_e32 vcc_lo, 0, v6
	s_wait_alu 0xfffd
	v_cndmask_b32_e64 v6, 0, 1, vcc_lo
	s_delay_alu instid0(VALU_DEP_1) | instskip(NEXT) | instid1(VALU_DEP_1)
	v_lshlrev_b16 v6, 8, v6
	v_or_b32_e32 v6, v7, v6
	s_delay_alu instid0(VALU_DEP_1) | instskip(NEXT) | instid1(VALU_DEP_1)
	v_and_b32_e32 v6, 0xffff, v6
	v_and_or_b32 v3, 0xffff0000, v3, v6
	s_wait_alu 0xfffe
	s_or_b32 exec_lo, exec_lo, s4
	s_delay_alu instid0(SALU_CYCLE_1)
	s_mov_b32 s4, exec_lo
	v_cmpx_gt_u32_e64 s18, v17
	s_cbranch_execz .LBB1505_25
.LBB1505_169:
	global_load_b32 v6, v23, s[2:3] offset:4608
	v_lshrrev_b32_e32 v7, 16, v3
	s_delay_alu instid0(VALU_DEP_1) | instskip(SKIP_4) | instid1(VALU_DEP_1)
	v_and_b32_e32 v7, 0xffffff00, v7
	s_wait_loadcnt 0x0
	v_cmp_eq_u32_e32 vcc_lo, 0, v6
	s_wait_alu 0xfffd
	v_cndmask_b32_e64 v6, 0, 1, vcc_lo
	v_or_b32_e32 v6, v6, v7
	s_delay_alu instid0(VALU_DEP_1) | instskip(NEXT) | instid1(VALU_DEP_1)
	v_lshlrev_b32_e32 v6, 16, v6
	v_and_or_b32 v3, 0xffff, v3, v6
	s_wait_alu 0xfffe
	s_or_b32 exec_lo, exec_lo, s4
	s_delay_alu instid0(SALU_CYCLE_1)
	s_mov_b32 s4, exec_lo
	v_cmpx_gt_u32_e64 s18, v19
	s_cbranch_execnz .LBB1505_26
	s_branch .LBB1505_27
	.section	.rodata,"a",@progbits
	.p2align	6, 0x0
	.amdhsa_kernel _ZN7rocprim17ROCPRIM_400000_NS6detail17trampoline_kernelINS0_14default_configENS1_25partition_config_selectorILNS1_17partition_subalgoE5EiNS0_10empty_typeEbEEZZNS1_14partition_implILS5_5ELb0ES3_mN6thrust23THRUST_200600_302600_NS6detail15normal_iteratorINSA_10device_ptrIiEEEEPS6_NSA_18transform_iteratorINSB_9not_fun_tI7is_trueIiEEESF_NSA_11use_defaultESM_EENS0_5tupleIJSF_S6_EEENSO_IJSG_SG_EEES6_PlJS6_EEE10hipError_tPvRmT3_T4_T5_T6_T7_T9_mT8_P12ihipStream_tbDpT10_ENKUlT_T0_E_clISt17integral_constantIbLb0EES1B_EEDaS16_S17_EUlS16_E_NS1_11comp_targetILNS1_3genE10ELNS1_11target_archE1200ELNS1_3gpuE4ELNS1_3repE0EEENS1_30default_config_static_selectorELNS0_4arch9wavefront6targetE0EEEvT1_
		.amdhsa_group_segment_fixed_size 6352
		.amdhsa_private_segment_fixed_size 0
		.amdhsa_kernarg_size 120
		.amdhsa_user_sgpr_count 2
		.amdhsa_user_sgpr_dispatch_ptr 0
		.amdhsa_user_sgpr_queue_ptr 0
		.amdhsa_user_sgpr_kernarg_segment_ptr 1
		.amdhsa_user_sgpr_dispatch_id 0
		.amdhsa_user_sgpr_private_segment_size 0
		.amdhsa_wavefront_size32 1
		.amdhsa_uses_dynamic_stack 0
		.amdhsa_enable_private_segment 0
		.amdhsa_system_sgpr_workgroup_id_x 1
		.amdhsa_system_sgpr_workgroup_id_y 0
		.amdhsa_system_sgpr_workgroup_id_z 0
		.amdhsa_system_sgpr_workgroup_info 0
		.amdhsa_system_vgpr_workitem_id 0
		.amdhsa_next_free_vgpr 52
		.amdhsa_next_free_sgpr 22
		.amdhsa_reserve_vcc 1
		.amdhsa_float_round_mode_32 0
		.amdhsa_float_round_mode_16_64 0
		.amdhsa_float_denorm_mode_32 3
		.amdhsa_float_denorm_mode_16_64 3
		.amdhsa_fp16_overflow 0
		.amdhsa_workgroup_processor_mode 1
		.amdhsa_memory_ordered 1
		.amdhsa_forward_progress 1
		.amdhsa_inst_pref_size 74
		.amdhsa_round_robin_scheduling 0
		.amdhsa_exception_fp_ieee_invalid_op 0
		.amdhsa_exception_fp_denorm_src 0
		.amdhsa_exception_fp_ieee_div_zero 0
		.amdhsa_exception_fp_ieee_overflow 0
		.amdhsa_exception_fp_ieee_underflow 0
		.amdhsa_exception_fp_ieee_inexact 0
		.amdhsa_exception_int_div_zero 0
	.end_amdhsa_kernel
	.section	.text._ZN7rocprim17ROCPRIM_400000_NS6detail17trampoline_kernelINS0_14default_configENS1_25partition_config_selectorILNS1_17partition_subalgoE5EiNS0_10empty_typeEbEEZZNS1_14partition_implILS5_5ELb0ES3_mN6thrust23THRUST_200600_302600_NS6detail15normal_iteratorINSA_10device_ptrIiEEEEPS6_NSA_18transform_iteratorINSB_9not_fun_tI7is_trueIiEEESF_NSA_11use_defaultESM_EENS0_5tupleIJSF_S6_EEENSO_IJSG_SG_EEES6_PlJS6_EEE10hipError_tPvRmT3_T4_T5_T6_T7_T9_mT8_P12ihipStream_tbDpT10_ENKUlT_T0_E_clISt17integral_constantIbLb0EES1B_EEDaS16_S17_EUlS16_E_NS1_11comp_targetILNS1_3genE10ELNS1_11target_archE1200ELNS1_3gpuE4ELNS1_3repE0EEENS1_30default_config_static_selectorELNS0_4arch9wavefront6targetE0EEEvT1_,"axG",@progbits,_ZN7rocprim17ROCPRIM_400000_NS6detail17trampoline_kernelINS0_14default_configENS1_25partition_config_selectorILNS1_17partition_subalgoE5EiNS0_10empty_typeEbEEZZNS1_14partition_implILS5_5ELb0ES3_mN6thrust23THRUST_200600_302600_NS6detail15normal_iteratorINSA_10device_ptrIiEEEEPS6_NSA_18transform_iteratorINSB_9not_fun_tI7is_trueIiEEESF_NSA_11use_defaultESM_EENS0_5tupleIJSF_S6_EEENSO_IJSG_SG_EEES6_PlJS6_EEE10hipError_tPvRmT3_T4_T5_T6_T7_T9_mT8_P12ihipStream_tbDpT10_ENKUlT_T0_E_clISt17integral_constantIbLb0EES1B_EEDaS16_S17_EUlS16_E_NS1_11comp_targetILNS1_3genE10ELNS1_11target_archE1200ELNS1_3gpuE4ELNS1_3repE0EEENS1_30default_config_static_selectorELNS0_4arch9wavefront6targetE0EEEvT1_,comdat
.Lfunc_end1505:
	.size	_ZN7rocprim17ROCPRIM_400000_NS6detail17trampoline_kernelINS0_14default_configENS1_25partition_config_selectorILNS1_17partition_subalgoE5EiNS0_10empty_typeEbEEZZNS1_14partition_implILS5_5ELb0ES3_mN6thrust23THRUST_200600_302600_NS6detail15normal_iteratorINSA_10device_ptrIiEEEEPS6_NSA_18transform_iteratorINSB_9not_fun_tI7is_trueIiEEESF_NSA_11use_defaultESM_EENS0_5tupleIJSF_S6_EEENSO_IJSG_SG_EEES6_PlJS6_EEE10hipError_tPvRmT3_T4_T5_T6_T7_T9_mT8_P12ihipStream_tbDpT10_ENKUlT_T0_E_clISt17integral_constantIbLb0EES1B_EEDaS16_S17_EUlS16_E_NS1_11comp_targetILNS1_3genE10ELNS1_11target_archE1200ELNS1_3gpuE4ELNS1_3repE0EEENS1_30default_config_static_selectorELNS0_4arch9wavefront6targetE0EEEvT1_, .Lfunc_end1505-_ZN7rocprim17ROCPRIM_400000_NS6detail17trampoline_kernelINS0_14default_configENS1_25partition_config_selectorILNS1_17partition_subalgoE5EiNS0_10empty_typeEbEEZZNS1_14partition_implILS5_5ELb0ES3_mN6thrust23THRUST_200600_302600_NS6detail15normal_iteratorINSA_10device_ptrIiEEEEPS6_NSA_18transform_iteratorINSB_9not_fun_tI7is_trueIiEEESF_NSA_11use_defaultESM_EENS0_5tupleIJSF_S6_EEENSO_IJSG_SG_EEES6_PlJS6_EEE10hipError_tPvRmT3_T4_T5_T6_T7_T9_mT8_P12ihipStream_tbDpT10_ENKUlT_T0_E_clISt17integral_constantIbLb0EES1B_EEDaS16_S17_EUlS16_E_NS1_11comp_targetILNS1_3genE10ELNS1_11target_archE1200ELNS1_3gpuE4ELNS1_3repE0EEENS1_30default_config_static_selectorELNS0_4arch9wavefront6targetE0EEEvT1_
                                        ; -- End function
	.set _ZN7rocprim17ROCPRIM_400000_NS6detail17trampoline_kernelINS0_14default_configENS1_25partition_config_selectorILNS1_17partition_subalgoE5EiNS0_10empty_typeEbEEZZNS1_14partition_implILS5_5ELb0ES3_mN6thrust23THRUST_200600_302600_NS6detail15normal_iteratorINSA_10device_ptrIiEEEEPS6_NSA_18transform_iteratorINSB_9not_fun_tI7is_trueIiEEESF_NSA_11use_defaultESM_EENS0_5tupleIJSF_S6_EEENSO_IJSG_SG_EEES6_PlJS6_EEE10hipError_tPvRmT3_T4_T5_T6_T7_T9_mT8_P12ihipStream_tbDpT10_ENKUlT_T0_E_clISt17integral_constantIbLb0EES1B_EEDaS16_S17_EUlS16_E_NS1_11comp_targetILNS1_3genE10ELNS1_11target_archE1200ELNS1_3gpuE4ELNS1_3repE0EEENS1_30default_config_static_selectorELNS0_4arch9wavefront6targetE0EEEvT1_.num_vgpr, 52
	.set _ZN7rocprim17ROCPRIM_400000_NS6detail17trampoline_kernelINS0_14default_configENS1_25partition_config_selectorILNS1_17partition_subalgoE5EiNS0_10empty_typeEbEEZZNS1_14partition_implILS5_5ELb0ES3_mN6thrust23THRUST_200600_302600_NS6detail15normal_iteratorINSA_10device_ptrIiEEEEPS6_NSA_18transform_iteratorINSB_9not_fun_tI7is_trueIiEEESF_NSA_11use_defaultESM_EENS0_5tupleIJSF_S6_EEENSO_IJSG_SG_EEES6_PlJS6_EEE10hipError_tPvRmT3_T4_T5_T6_T7_T9_mT8_P12ihipStream_tbDpT10_ENKUlT_T0_E_clISt17integral_constantIbLb0EES1B_EEDaS16_S17_EUlS16_E_NS1_11comp_targetILNS1_3genE10ELNS1_11target_archE1200ELNS1_3gpuE4ELNS1_3repE0EEENS1_30default_config_static_selectorELNS0_4arch9wavefront6targetE0EEEvT1_.num_agpr, 0
	.set _ZN7rocprim17ROCPRIM_400000_NS6detail17trampoline_kernelINS0_14default_configENS1_25partition_config_selectorILNS1_17partition_subalgoE5EiNS0_10empty_typeEbEEZZNS1_14partition_implILS5_5ELb0ES3_mN6thrust23THRUST_200600_302600_NS6detail15normal_iteratorINSA_10device_ptrIiEEEEPS6_NSA_18transform_iteratorINSB_9not_fun_tI7is_trueIiEEESF_NSA_11use_defaultESM_EENS0_5tupleIJSF_S6_EEENSO_IJSG_SG_EEES6_PlJS6_EEE10hipError_tPvRmT3_T4_T5_T6_T7_T9_mT8_P12ihipStream_tbDpT10_ENKUlT_T0_E_clISt17integral_constantIbLb0EES1B_EEDaS16_S17_EUlS16_E_NS1_11comp_targetILNS1_3genE10ELNS1_11target_archE1200ELNS1_3gpuE4ELNS1_3repE0EEENS1_30default_config_static_selectorELNS0_4arch9wavefront6targetE0EEEvT1_.numbered_sgpr, 22
	.set _ZN7rocprim17ROCPRIM_400000_NS6detail17trampoline_kernelINS0_14default_configENS1_25partition_config_selectorILNS1_17partition_subalgoE5EiNS0_10empty_typeEbEEZZNS1_14partition_implILS5_5ELb0ES3_mN6thrust23THRUST_200600_302600_NS6detail15normal_iteratorINSA_10device_ptrIiEEEEPS6_NSA_18transform_iteratorINSB_9not_fun_tI7is_trueIiEEESF_NSA_11use_defaultESM_EENS0_5tupleIJSF_S6_EEENSO_IJSG_SG_EEES6_PlJS6_EEE10hipError_tPvRmT3_T4_T5_T6_T7_T9_mT8_P12ihipStream_tbDpT10_ENKUlT_T0_E_clISt17integral_constantIbLb0EES1B_EEDaS16_S17_EUlS16_E_NS1_11comp_targetILNS1_3genE10ELNS1_11target_archE1200ELNS1_3gpuE4ELNS1_3repE0EEENS1_30default_config_static_selectorELNS0_4arch9wavefront6targetE0EEEvT1_.num_named_barrier, 0
	.set _ZN7rocprim17ROCPRIM_400000_NS6detail17trampoline_kernelINS0_14default_configENS1_25partition_config_selectorILNS1_17partition_subalgoE5EiNS0_10empty_typeEbEEZZNS1_14partition_implILS5_5ELb0ES3_mN6thrust23THRUST_200600_302600_NS6detail15normal_iteratorINSA_10device_ptrIiEEEEPS6_NSA_18transform_iteratorINSB_9not_fun_tI7is_trueIiEEESF_NSA_11use_defaultESM_EENS0_5tupleIJSF_S6_EEENSO_IJSG_SG_EEES6_PlJS6_EEE10hipError_tPvRmT3_T4_T5_T6_T7_T9_mT8_P12ihipStream_tbDpT10_ENKUlT_T0_E_clISt17integral_constantIbLb0EES1B_EEDaS16_S17_EUlS16_E_NS1_11comp_targetILNS1_3genE10ELNS1_11target_archE1200ELNS1_3gpuE4ELNS1_3repE0EEENS1_30default_config_static_selectorELNS0_4arch9wavefront6targetE0EEEvT1_.private_seg_size, 0
	.set _ZN7rocprim17ROCPRIM_400000_NS6detail17trampoline_kernelINS0_14default_configENS1_25partition_config_selectorILNS1_17partition_subalgoE5EiNS0_10empty_typeEbEEZZNS1_14partition_implILS5_5ELb0ES3_mN6thrust23THRUST_200600_302600_NS6detail15normal_iteratorINSA_10device_ptrIiEEEEPS6_NSA_18transform_iteratorINSB_9not_fun_tI7is_trueIiEEESF_NSA_11use_defaultESM_EENS0_5tupleIJSF_S6_EEENSO_IJSG_SG_EEES6_PlJS6_EEE10hipError_tPvRmT3_T4_T5_T6_T7_T9_mT8_P12ihipStream_tbDpT10_ENKUlT_T0_E_clISt17integral_constantIbLb0EES1B_EEDaS16_S17_EUlS16_E_NS1_11comp_targetILNS1_3genE10ELNS1_11target_archE1200ELNS1_3gpuE4ELNS1_3repE0EEENS1_30default_config_static_selectorELNS0_4arch9wavefront6targetE0EEEvT1_.uses_vcc, 1
	.set _ZN7rocprim17ROCPRIM_400000_NS6detail17trampoline_kernelINS0_14default_configENS1_25partition_config_selectorILNS1_17partition_subalgoE5EiNS0_10empty_typeEbEEZZNS1_14partition_implILS5_5ELb0ES3_mN6thrust23THRUST_200600_302600_NS6detail15normal_iteratorINSA_10device_ptrIiEEEEPS6_NSA_18transform_iteratorINSB_9not_fun_tI7is_trueIiEEESF_NSA_11use_defaultESM_EENS0_5tupleIJSF_S6_EEENSO_IJSG_SG_EEES6_PlJS6_EEE10hipError_tPvRmT3_T4_T5_T6_T7_T9_mT8_P12ihipStream_tbDpT10_ENKUlT_T0_E_clISt17integral_constantIbLb0EES1B_EEDaS16_S17_EUlS16_E_NS1_11comp_targetILNS1_3genE10ELNS1_11target_archE1200ELNS1_3gpuE4ELNS1_3repE0EEENS1_30default_config_static_selectorELNS0_4arch9wavefront6targetE0EEEvT1_.uses_flat_scratch, 1
	.set _ZN7rocprim17ROCPRIM_400000_NS6detail17trampoline_kernelINS0_14default_configENS1_25partition_config_selectorILNS1_17partition_subalgoE5EiNS0_10empty_typeEbEEZZNS1_14partition_implILS5_5ELb0ES3_mN6thrust23THRUST_200600_302600_NS6detail15normal_iteratorINSA_10device_ptrIiEEEEPS6_NSA_18transform_iteratorINSB_9not_fun_tI7is_trueIiEEESF_NSA_11use_defaultESM_EENS0_5tupleIJSF_S6_EEENSO_IJSG_SG_EEES6_PlJS6_EEE10hipError_tPvRmT3_T4_T5_T6_T7_T9_mT8_P12ihipStream_tbDpT10_ENKUlT_T0_E_clISt17integral_constantIbLb0EES1B_EEDaS16_S17_EUlS16_E_NS1_11comp_targetILNS1_3genE10ELNS1_11target_archE1200ELNS1_3gpuE4ELNS1_3repE0EEENS1_30default_config_static_selectorELNS0_4arch9wavefront6targetE0EEEvT1_.has_dyn_sized_stack, 0
	.set _ZN7rocprim17ROCPRIM_400000_NS6detail17trampoline_kernelINS0_14default_configENS1_25partition_config_selectorILNS1_17partition_subalgoE5EiNS0_10empty_typeEbEEZZNS1_14partition_implILS5_5ELb0ES3_mN6thrust23THRUST_200600_302600_NS6detail15normal_iteratorINSA_10device_ptrIiEEEEPS6_NSA_18transform_iteratorINSB_9not_fun_tI7is_trueIiEEESF_NSA_11use_defaultESM_EENS0_5tupleIJSF_S6_EEENSO_IJSG_SG_EEES6_PlJS6_EEE10hipError_tPvRmT3_T4_T5_T6_T7_T9_mT8_P12ihipStream_tbDpT10_ENKUlT_T0_E_clISt17integral_constantIbLb0EES1B_EEDaS16_S17_EUlS16_E_NS1_11comp_targetILNS1_3genE10ELNS1_11target_archE1200ELNS1_3gpuE4ELNS1_3repE0EEENS1_30default_config_static_selectorELNS0_4arch9wavefront6targetE0EEEvT1_.has_recursion, 0
	.set _ZN7rocprim17ROCPRIM_400000_NS6detail17trampoline_kernelINS0_14default_configENS1_25partition_config_selectorILNS1_17partition_subalgoE5EiNS0_10empty_typeEbEEZZNS1_14partition_implILS5_5ELb0ES3_mN6thrust23THRUST_200600_302600_NS6detail15normal_iteratorINSA_10device_ptrIiEEEEPS6_NSA_18transform_iteratorINSB_9not_fun_tI7is_trueIiEEESF_NSA_11use_defaultESM_EENS0_5tupleIJSF_S6_EEENSO_IJSG_SG_EEES6_PlJS6_EEE10hipError_tPvRmT3_T4_T5_T6_T7_T9_mT8_P12ihipStream_tbDpT10_ENKUlT_T0_E_clISt17integral_constantIbLb0EES1B_EEDaS16_S17_EUlS16_E_NS1_11comp_targetILNS1_3genE10ELNS1_11target_archE1200ELNS1_3gpuE4ELNS1_3repE0EEENS1_30default_config_static_selectorELNS0_4arch9wavefront6targetE0EEEvT1_.has_indirect_call, 0
	.section	.AMDGPU.csdata,"",@progbits
; Kernel info:
; codeLenInByte = 9388
; TotalNumSgprs: 24
; NumVgprs: 52
; ScratchSize: 0
; MemoryBound: 0
; FloatMode: 240
; IeeeMode: 1
; LDSByteSize: 6352 bytes/workgroup (compile time only)
; SGPRBlocks: 0
; VGPRBlocks: 6
; NumSGPRsForWavesPerEU: 24
; NumVGPRsForWavesPerEU: 52
; Occupancy: 15
; WaveLimiterHint : 1
; COMPUTE_PGM_RSRC2:SCRATCH_EN: 0
; COMPUTE_PGM_RSRC2:USER_SGPR: 2
; COMPUTE_PGM_RSRC2:TRAP_HANDLER: 0
; COMPUTE_PGM_RSRC2:TGID_X_EN: 1
; COMPUTE_PGM_RSRC2:TGID_Y_EN: 0
; COMPUTE_PGM_RSRC2:TGID_Z_EN: 0
; COMPUTE_PGM_RSRC2:TIDIG_COMP_CNT: 0
	.section	.text._ZN7rocprim17ROCPRIM_400000_NS6detail17trampoline_kernelINS0_14default_configENS1_25partition_config_selectorILNS1_17partition_subalgoE5EiNS0_10empty_typeEbEEZZNS1_14partition_implILS5_5ELb0ES3_mN6thrust23THRUST_200600_302600_NS6detail15normal_iteratorINSA_10device_ptrIiEEEEPS6_NSA_18transform_iteratorINSB_9not_fun_tI7is_trueIiEEESF_NSA_11use_defaultESM_EENS0_5tupleIJSF_S6_EEENSO_IJSG_SG_EEES6_PlJS6_EEE10hipError_tPvRmT3_T4_T5_T6_T7_T9_mT8_P12ihipStream_tbDpT10_ENKUlT_T0_E_clISt17integral_constantIbLb0EES1B_EEDaS16_S17_EUlS16_E_NS1_11comp_targetILNS1_3genE9ELNS1_11target_archE1100ELNS1_3gpuE3ELNS1_3repE0EEENS1_30default_config_static_selectorELNS0_4arch9wavefront6targetE0EEEvT1_,"axG",@progbits,_ZN7rocprim17ROCPRIM_400000_NS6detail17trampoline_kernelINS0_14default_configENS1_25partition_config_selectorILNS1_17partition_subalgoE5EiNS0_10empty_typeEbEEZZNS1_14partition_implILS5_5ELb0ES3_mN6thrust23THRUST_200600_302600_NS6detail15normal_iteratorINSA_10device_ptrIiEEEEPS6_NSA_18transform_iteratorINSB_9not_fun_tI7is_trueIiEEESF_NSA_11use_defaultESM_EENS0_5tupleIJSF_S6_EEENSO_IJSG_SG_EEES6_PlJS6_EEE10hipError_tPvRmT3_T4_T5_T6_T7_T9_mT8_P12ihipStream_tbDpT10_ENKUlT_T0_E_clISt17integral_constantIbLb0EES1B_EEDaS16_S17_EUlS16_E_NS1_11comp_targetILNS1_3genE9ELNS1_11target_archE1100ELNS1_3gpuE3ELNS1_3repE0EEENS1_30default_config_static_selectorELNS0_4arch9wavefront6targetE0EEEvT1_,comdat
	.protected	_ZN7rocprim17ROCPRIM_400000_NS6detail17trampoline_kernelINS0_14default_configENS1_25partition_config_selectorILNS1_17partition_subalgoE5EiNS0_10empty_typeEbEEZZNS1_14partition_implILS5_5ELb0ES3_mN6thrust23THRUST_200600_302600_NS6detail15normal_iteratorINSA_10device_ptrIiEEEEPS6_NSA_18transform_iteratorINSB_9not_fun_tI7is_trueIiEEESF_NSA_11use_defaultESM_EENS0_5tupleIJSF_S6_EEENSO_IJSG_SG_EEES6_PlJS6_EEE10hipError_tPvRmT3_T4_T5_T6_T7_T9_mT8_P12ihipStream_tbDpT10_ENKUlT_T0_E_clISt17integral_constantIbLb0EES1B_EEDaS16_S17_EUlS16_E_NS1_11comp_targetILNS1_3genE9ELNS1_11target_archE1100ELNS1_3gpuE3ELNS1_3repE0EEENS1_30default_config_static_selectorELNS0_4arch9wavefront6targetE0EEEvT1_ ; -- Begin function _ZN7rocprim17ROCPRIM_400000_NS6detail17trampoline_kernelINS0_14default_configENS1_25partition_config_selectorILNS1_17partition_subalgoE5EiNS0_10empty_typeEbEEZZNS1_14partition_implILS5_5ELb0ES3_mN6thrust23THRUST_200600_302600_NS6detail15normal_iteratorINSA_10device_ptrIiEEEEPS6_NSA_18transform_iteratorINSB_9not_fun_tI7is_trueIiEEESF_NSA_11use_defaultESM_EENS0_5tupleIJSF_S6_EEENSO_IJSG_SG_EEES6_PlJS6_EEE10hipError_tPvRmT3_T4_T5_T6_T7_T9_mT8_P12ihipStream_tbDpT10_ENKUlT_T0_E_clISt17integral_constantIbLb0EES1B_EEDaS16_S17_EUlS16_E_NS1_11comp_targetILNS1_3genE9ELNS1_11target_archE1100ELNS1_3gpuE3ELNS1_3repE0EEENS1_30default_config_static_selectorELNS0_4arch9wavefront6targetE0EEEvT1_
	.globl	_ZN7rocprim17ROCPRIM_400000_NS6detail17trampoline_kernelINS0_14default_configENS1_25partition_config_selectorILNS1_17partition_subalgoE5EiNS0_10empty_typeEbEEZZNS1_14partition_implILS5_5ELb0ES3_mN6thrust23THRUST_200600_302600_NS6detail15normal_iteratorINSA_10device_ptrIiEEEEPS6_NSA_18transform_iteratorINSB_9not_fun_tI7is_trueIiEEESF_NSA_11use_defaultESM_EENS0_5tupleIJSF_S6_EEENSO_IJSG_SG_EEES6_PlJS6_EEE10hipError_tPvRmT3_T4_T5_T6_T7_T9_mT8_P12ihipStream_tbDpT10_ENKUlT_T0_E_clISt17integral_constantIbLb0EES1B_EEDaS16_S17_EUlS16_E_NS1_11comp_targetILNS1_3genE9ELNS1_11target_archE1100ELNS1_3gpuE3ELNS1_3repE0EEENS1_30default_config_static_selectorELNS0_4arch9wavefront6targetE0EEEvT1_
	.p2align	8
	.type	_ZN7rocprim17ROCPRIM_400000_NS6detail17trampoline_kernelINS0_14default_configENS1_25partition_config_selectorILNS1_17partition_subalgoE5EiNS0_10empty_typeEbEEZZNS1_14partition_implILS5_5ELb0ES3_mN6thrust23THRUST_200600_302600_NS6detail15normal_iteratorINSA_10device_ptrIiEEEEPS6_NSA_18transform_iteratorINSB_9not_fun_tI7is_trueIiEEESF_NSA_11use_defaultESM_EENS0_5tupleIJSF_S6_EEENSO_IJSG_SG_EEES6_PlJS6_EEE10hipError_tPvRmT3_T4_T5_T6_T7_T9_mT8_P12ihipStream_tbDpT10_ENKUlT_T0_E_clISt17integral_constantIbLb0EES1B_EEDaS16_S17_EUlS16_E_NS1_11comp_targetILNS1_3genE9ELNS1_11target_archE1100ELNS1_3gpuE3ELNS1_3repE0EEENS1_30default_config_static_selectorELNS0_4arch9wavefront6targetE0EEEvT1_,@function
_ZN7rocprim17ROCPRIM_400000_NS6detail17trampoline_kernelINS0_14default_configENS1_25partition_config_selectorILNS1_17partition_subalgoE5EiNS0_10empty_typeEbEEZZNS1_14partition_implILS5_5ELb0ES3_mN6thrust23THRUST_200600_302600_NS6detail15normal_iteratorINSA_10device_ptrIiEEEEPS6_NSA_18transform_iteratorINSB_9not_fun_tI7is_trueIiEEESF_NSA_11use_defaultESM_EENS0_5tupleIJSF_S6_EEENSO_IJSG_SG_EEES6_PlJS6_EEE10hipError_tPvRmT3_T4_T5_T6_T7_T9_mT8_P12ihipStream_tbDpT10_ENKUlT_T0_E_clISt17integral_constantIbLb0EES1B_EEDaS16_S17_EUlS16_E_NS1_11comp_targetILNS1_3genE9ELNS1_11target_archE1100ELNS1_3gpuE3ELNS1_3repE0EEENS1_30default_config_static_selectorELNS0_4arch9wavefront6targetE0EEEvT1_: ; @_ZN7rocprim17ROCPRIM_400000_NS6detail17trampoline_kernelINS0_14default_configENS1_25partition_config_selectorILNS1_17partition_subalgoE5EiNS0_10empty_typeEbEEZZNS1_14partition_implILS5_5ELb0ES3_mN6thrust23THRUST_200600_302600_NS6detail15normal_iteratorINSA_10device_ptrIiEEEEPS6_NSA_18transform_iteratorINSB_9not_fun_tI7is_trueIiEEESF_NSA_11use_defaultESM_EENS0_5tupleIJSF_S6_EEENSO_IJSG_SG_EEES6_PlJS6_EEE10hipError_tPvRmT3_T4_T5_T6_T7_T9_mT8_P12ihipStream_tbDpT10_ENKUlT_T0_E_clISt17integral_constantIbLb0EES1B_EEDaS16_S17_EUlS16_E_NS1_11comp_targetILNS1_3genE9ELNS1_11target_archE1100ELNS1_3gpuE3ELNS1_3repE0EEENS1_30default_config_static_selectorELNS0_4arch9wavefront6targetE0EEEvT1_
; %bb.0:
	.section	.rodata,"a",@progbits
	.p2align	6, 0x0
	.amdhsa_kernel _ZN7rocprim17ROCPRIM_400000_NS6detail17trampoline_kernelINS0_14default_configENS1_25partition_config_selectorILNS1_17partition_subalgoE5EiNS0_10empty_typeEbEEZZNS1_14partition_implILS5_5ELb0ES3_mN6thrust23THRUST_200600_302600_NS6detail15normal_iteratorINSA_10device_ptrIiEEEEPS6_NSA_18transform_iteratorINSB_9not_fun_tI7is_trueIiEEESF_NSA_11use_defaultESM_EENS0_5tupleIJSF_S6_EEENSO_IJSG_SG_EEES6_PlJS6_EEE10hipError_tPvRmT3_T4_T5_T6_T7_T9_mT8_P12ihipStream_tbDpT10_ENKUlT_T0_E_clISt17integral_constantIbLb0EES1B_EEDaS16_S17_EUlS16_E_NS1_11comp_targetILNS1_3genE9ELNS1_11target_archE1100ELNS1_3gpuE3ELNS1_3repE0EEENS1_30default_config_static_selectorELNS0_4arch9wavefront6targetE0EEEvT1_
		.amdhsa_group_segment_fixed_size 0
		.amdhsa_private_segment_fixed_size 0
		.amdhsa_kernarg_size 120
		.amdhsa_user_sgpr_count 2
		.amdhsa_user_sgpr_dispatch_ptr 0
		.amdhsa_user_sgpr_queue_ptr 0
		.amdhsa_user_sgpr_kernarg_segment_ptr 1
		.amdhsa_user_sgpr_dispatch_id 0
		.amdhsa_user_sgpr_private_segment_size 0
		.amdhsa_wavefront_size32 1
		.amdhsa_uses_dynamic_stack 0
		.amdhsa_enable_private_segment 0
		.amdhsa_system_sgpr_workgroup_id_x 1
		.amdhsa_system_sgpr_workgroup_id_y 0
		.amdhsa_system_sgpr_workgroup_id_z 0
		.amdhsa_system_sgpr_workgroup_info 0
		.amdhsa_system_vgpr_workitem_id 0
		.amdhsa_next_free_vgpr 1
		.amdhsa_next_free_sgpr 1
		.amdhsa_reserve_vcc 0
		.amdhsa_float_round_mode_32 0
		.amdhsa_float_round_mode_16_64 0
		.amdhsa_float_denorm_mode_32 3
		.amdhsa_float_denorm_mode_16_64 3
		.amdhsa_fp16_overflow 0
		.amdhsa_workgroup_processor_mode 1
		.amdhsa_memory_ordered 1
		.amdhsa_forward_progress 1
		.amdhsa_inst_pref_size 0
		.amdhsa_round_robin_scheduling 0
		.amdhsa_exception_fp_ieee_invalid_op 0
		.amdhsa_exception_fp_denorm_src 0
		.amdhsa_exception_fp_ieee_div_zero 0
		.amdhsa_exception_fp_ieee_overflow 0
		.amdhsa_exception_fp_ieee_underflow 0
		.amdhsa_exception_fp_ieee_inexact 0
		.amdhsa_exception_int_div_zero 0
	.end_amdhsa_kernel
	.section	.text._ZN7rocprim17ROCPRIM_400000_NS6detail17trampoline_kernelINS0_14default_configENS1_25partition_config_selectorILNS1_17partition_subalgoE5EiNS0_10empty_typeEbEEZZNS1_14partition_implILS5_5ELb0ES3_mN6thrust23THRUST_200600_302600_NS6detail15normal_iteratorINSA_10device_ptrIiEEEEPS6_NSA_18transform_iteratorINSB_9not_fun_tI7is_trueIiEEESF_NSA_11use_defaultESM_EENS0_5tupleIJSF_S6_EEENSO_IJSG_SG_EEES6_PlJS6_EEE10hipError_tPvRmT3_T4_T5_T6_T7_T9_mT8_P12ihipStream_tbDpT10_ENKUlT_T0_E_clISt17integral_constantIbLb0EES1B_EEDaS16_S17_EUlS16_E_NS1_11comp_targetILNS1_3genE9ELNS1_11target_archE1100ELNS1_3gpuE3ELNS1_3repE0EEENS1_30default_config_static_selectorELNS0_4arch9wavefront6targetE0EEEvT1_,"axG",@progbits,_ZN7rocprim17ROCPRIM_400000_NS6detail17trampoline_kernelINS0_14default_configENS1_25partition_config_selectorILNS1_17partition_subalgoE5EiNS0_10empty_typeEbEEZZNS1_14partition_implILS5_5ELb0ES3_mN6thrust23THRUST_200600_302600_NS6detail15normal_iteratorINSA_10device_ptrIiEEEEPS6_NSA_18transform_iteratorINSB_9not_fun_tI7is_trueIiEEESF_NSA_11use_defaultESM_EENS0_5tupleIJSF_S6_EEENSO_IJSG_SG_EEES6_PlJS6_EEE10hipError_tPvRmT3_T4_T5_T6_T7_T9_mT8_P12ihipStream_tbDpT10_ENKUlT_T0_E_clISt17integral_constantIbLb0EES1B_EEDaS16_S17_EUlS16_E_NS1_11comp_targetILNS1_3genE9ELNS1_11target_archE1100ELNS1_3gpuE3ELNS1_3repE0EEENS1_30default_config_static_selectorELNS0_4arch9wavefront6targetE0EEEvT1_,comdat
.Lfunc_end1506:
	.size	_ZN7rocprim17ROCPRIM_400000_NS6detail17trampoline_kernelINS0_14default_configENS1_25partition_config_selectorILNS1_17partition_subalgoE5EiNS0_10empty_typeEbEEZZNS1_14partition_implILS5_5ELb0ES3_mN6thrust23THRUST_200600_302600_NS6detail15normal_iteratorINSA_10device_ptrIiEEEEPS6_NSA_18transform_iteratorINSB_9not_fun_tI7is_trueIiEEESF_NSA_11use_defaultESM_EENS0_5tupleIJSF_S6_EEENSO_IJSG_SG_EEES6_PlJS6_EEE10hipError_tPvRmT3_T4_T5_T6_T7_T9_mT8_P12ihipStream_tbDpT10_ENKUlT_T0_E_clISt17integral_constantIbLb0EES1B_EEDaS16_S17_EUlS16_E_NS1_11comp_targetILNS1_3genE9ELNS1_11target_archE1100ELNS1_3gpuE3ELNS1_3repE0EEENS1_30default_config_static_selectorELNS0_4arch9wavefront6targetE0EEEvT1_, .Lfunc_end1506-_ZN7rocprim17ROCPRIM_400000_NS6detail17trampoline_kernelINS0_14default_configENS1_25partition_config_selectorILNS1_17partition_subalgoE5EiNS0_10empty_typeEbEEZZNS1_14partition_implILS5_5ELb0ES3_mN6thrust23THRUST_200600_302600_NS6detail15normal_iteratorINSA_10device_ptrIiEEEEPS6_NSA_18transform_iteratorINSB_9not_fun_tI7is_trueIiEEESF_NSA_11use_defaultESM_EENS0_5tupleIJSF_S6_EEENSO_IJSG_SG_EEES6_PlJS6_EEE10hipError_tPvRmT3_T4_T5_T6_T7_T9_mT8_P12ihipStream_tbDpT10_ENKUlT_T0_E_clISt17integral_constantIbLb0EES1B_EEDaS16_S17_EUlS16_E_NS1_11comp_targetILNS1_3genE9ELNS1_11target_archE1100ELNS1_3gpuE3ELNS1_3repE0EEENS1_30default_config_static_selectorELNS0_4arch9wavefront6targetE0EEEvT1_
                                        ; -- End function
	.set _ZN7rocprim17ROCPRIM_400000_NS6detail17trampoline_kernelINS0_14default_configENS1_25partition_config_selectorILNS1_17partition_subalgoE5EiNS0_10empty_typeEbEEZZNS1_14partition_implILS5_5ELb0ES3_mN6thrust23THRUST_200600_302600_NS6detail15normal_iteratorINSA_10device_ptrIiEEEEPS6_NSA_18transform_iteratorINSB_9not_fun_tI7is_trueIiEEESF_NSA_11use_defaultESM_EENS0_5tupleIJSF_S6_EEENSO_IJSG_SG_EEES6_PlJS6_EEE10hipError_tPvRmT3_T4_T5_T6_T7_T9_mT8_P12ihipStream_tbDpT10_ENKUlT_T0_E_clISt17integral_constantIbLb0EES1B_EEDaS16_S17_EUlS16_E_NS1_11comp_targetILNS1_3genE9ELNS1_11target_archE1100ELNS1_3gpuE3ELNS1_3repE0EEENS1_30default_config_static_selectorELNS0_4arch9wavefront6targetE0EEEvT1_.num_vgpr, 0
	.set _ZN7rocprim17ROCPRIM_400000_NS6detail17trampoline_kernelINS0_14default_configENS1_25partition_config_selectorILNS1_17partition_subalgoE5EiNS0_10empty_typeEbEEZZNS1_14partition_implILS5_5ELb0ES3_mN6thrust23THRUST_200600_302600_NS6detail15normal_iteratorINSA_10device_ptrIiEEEEPS6_NSA_18transform_iteratorINSB_9not_fun_tI7is_trueIiEEESF_NSA_11use_defaultESM_EENS0_5tupleIJSF_S6_EEENSO_IJSG_SG_EEES6_PlJS6_EEE10hipError_tPvRmT3_T4_T5_T6_T7_T9_mT8_P12ihipStream_tbDpT10_ENKUlT_T0_E_clISt17integral_constantIbLb0EES1B_EEDaS16_S17_EUlS16_E_NS1_11comp_targetILNS1_3genE9ELNS1_11target_archE1100ELNS1_3gpuE3ELNS1_3repE0EEENS1_30default_config_static_selectorELNS0_4arch9wavefront6targetE0EEEvT1_.num_agpr, 0
	.set _ZN7rocprim17ROCPRIM_400000_NS6detail17trampoline_kernelINS0_14default_configENS1_25partition_config_selectorILNS1_17partition_subalgoE5EiNS0_10empty_typeEbEEZZNS1_14partition_implILS5_5ELb0ES3_mN6thrust23THRUST_200600_302600_NS6detail15normal_iteratorINSA_10device_ptrIiEEEEPS6_NSA_18transform_iteratorINSB_9not_fun_tI7is_trueIiEEESF_NSA_11use_defaultESM_EENS0_5tupleIJSF_S6_EEENSO_IJSG_SG_EEES6_PlJS6_EEE10hipError_tPvRmT3_T4_T5_T6_T7_T9_mT8_P12ihipStream_tbDpT10_ENKUlT_T0_E_clISt17integral_constantIbLb0EES1B_EEDaS16_S17_EUlS16_E_NS1_11comp_targetILNS1_3genE9ELNS1_11target_archE1100ELNS1_3gpuE3ELNS1_3repE0EEENS1_30default_config_static_selectorELNS0_4arch9wavefront6targetE0EEEvT1_.numbered_sgpr, 0
	.set _ZN7rocprim17ROCPRIM_400000_NS6detail17trampoline_kernelINS0_14default_configENS1_25partition_config_selectorILNS1_17partition_subalgoE5EiNS0_10empty_typeEbEEZZNS1_14partition_implILS5_5ELb0ES3_mN6thrust23THRUST_200600_302600_NS6detail15normal_iteratorINSA_10device_ptrIiEEEEPS6_NSA_18transform_iteratorINSB_9not_fun_tI7is_trueIiEEESF_NSA_11use_defaultESM_EENS0_5tupleIJSF_S6_EEENSO_IJSG_SG_EEES6_PlJS6_EEE10hipError_tPvRmT3_T4_T5_T6_T7_T9_mT8_P12ihipStream_tbDpT10_ENKUlT_T0_E_clISt17integral_constantIbLb0EES1B_EEDaS16_S17_EUlS16_E_NS1_11comp_targetILNS1_3genE9ELNS1_11target_archE1100ELNS1_3gpuE3ELNS1_3repE0EEENS1_30default_config_static_selectorELNS0_4arch9wavefront6targetE0EEEvT1_.num_named_barrier, 0
	.set _ZN7rocprim17ROCPRIM_400000_NS6detail17trampoline_kernelINS0_14default_configENS1_25partition_config_selectorILNS1_17partition_subalgoE5EiNS0_10empty_typeEbEEZZNS1_14partition_implILS5_5ELb0ES3_mN6thrust23THRUST_200600_302600_NS6detail15normal_iteratorINSA_10device_ptrIiEEEEPS6_NSA_18transform_iteratorINSB_9not_fun_tI7is_trueIiEEESF_NSA_11use_defaultESM_EENS0_5tupleIJSF_S6_EEENSO_IJSG_SG_EEES6_PlJS6_EEE10hipError_tPvRmT3_T4_T5_T6_T7_T9_mT8_P12ihipStream_tbDpT10_ENKUlT_T0_E_clISt17integral_constantIbLb0EES1B_EEDaS16_S17_EUlS16_E_NS1_11comp_targetILNS1_3genE9ELNS1_11target_archE1100ELNS1_3gpuE3ELNS1_3repE0EEENS1_30default_config_static_selectorELNS0_4arch9wavefront6targetE0EEEvT1_.private_seg_size, 0
	.set _ZN7rocprim17ROCPRIM_400000_NS6detail17trampoline_kernelINS0_14default_configENS1_25partition_config_selectorILNS1_17partition_subalgoE5EiNS0_10empty_typeEbEEZZNS1_14partition_implILS5_5ELb0ES3_mN6thrust23THRUST_200600_302600_NS6detail15normal_iteratorINSA_10device_ptrIiEEEEPS6_NSA_18transform_iteratorINSB_9not_fun_tI7is_trueIiEEESF_NSA_11use_defaultESM_EENS0_5tupleIJSF_S6_EEENSO_IJSG_SG_EEES6_PlJS6_EEE10hipError_tPvRmT3_T4_T5_T6_T7_T9_mT8_P12ihipStream_tbDpT10_ENKUlT_T0_E_clISt17integral_constantIbLb0EES1B_EEDaS16_S17_EUlS16_E_NS1_11comp_targetILNS1_3genE9ELNS1_11target_archE1100ELNS1_3gpuE3ELNS1_3repE0EEENS1_30default_config_static_selectorELNS0_4arch9wavefront6targetE0EEEvT1_.uses_vcc, 0
	.set _ZN7rocprim17ROCPRIM_400000_NS6detail17trampoline_kernelINS0_14default_configENS1_25partition_config_selectorILNS1_17partition_subalgoE5EiNS0_10empty_typeEbEEZZNS1_14partition_implILS5_5ELb0ES3_mN6thrust23THRUST_200600_302600_NS6detail15normal_iteratorINSA_10device_ptrIiEEEEPS6_NSA_18transform_iteratorINSB_9not_fun_tI7is_trueIiEEESF_NSA_11use_defaultESM_EENS0_5tupleIJSF_S6_EEENSO_IJSG_SG_EEES6_PlJS6_EEE10hipError_tPvRmT3_T4_T5_T6_T7_T9_mT8_P12ihipStream_tbDpT10_ENKUlT_T0_E_clISt17integral_constantIbLb0EES1B_EEDaS16_S17_EUlS16_E_NS1_11comp_targetILNS1_3genE9ELNS1_11target_archE1100ELNS1_3gpuE3ELNS1_3repE0EEENS1_30default_config_static_selectorELNS0_4arch9wavefront6targetE0EEEvT1_.uses_flat_scratch, 0
	.set _ZN7rocprim17ROCPRIM_400000_NS6detail17trampoline_kernelINS0_14default_configENS1_25partition_config_selectorILNS1_17partition_subalgoE5EiNS0_10empty_typeEbEEZZNS1_14partition_implILS5_5ELb0ES3_mN6thrust23THRUST_200600_302600_NS6detail15normal_iteratorINSA_10device_ptrIiEEEEPS6_NSA_18transform_iteratorINSB_9not_fun_tI7is_trueIiEEESF_NSA_11use_defaultESM_EENS0_5tupleIJSF_S6_EEENSO_IJSG_SG_EEES6_PlJS6_EEE10hipError_tPvRmT3_T4_T5_T6_T7_T9_mT8_P12ihipStream_tbDpT10_ENKUlT_T0_E_clISt17integral_constantIbLb0EES1B_EEDaS16_S17_EUlS16_E_NS1_11comp_targetILNS1_3genE9ELNS1_11target_archE1100ELNS1_3gpuE3ELNS1_3repE0EEENS1_30default_config_static_selectorELNS0_4arch9wavefront6targetE0EEEvT1_.has_dyn_sized_stack, 0
	.set _ZN7rocprim17ROCPRIM_400000_NS6detail17trampoline_kernelINS0_14default_configENS1_25partition_config_selectorILNS1_17partition_subalgoE5EiNS0_10empty_typeEbEEZZNS1_14partition_implILS5_5ELb0ES3_mN6thrust23THRUST_200600_302600_NS6detail15normal_iteratorINSA_10device_ptrIiEEEEPS6_NSA_18transform_iteratorINSB_9not_fun_tI7is_trueIiEEESF_NSA_11use_defaultESM_EENS0_5tupleIJSF_S6_EEENSO_IJSG_SG_EEES6_PlJS6_EEE10hipError_tPvRmT3_T4_T5_T6_T7_T9_mT8_P12ihipStream_tbDpT10_ENKUlT_T0_E_clISt17integral_constantIbLb0EES1B_EEDaS16_S17_EUlS16_E_NS1_11comp_targetILNS1_3genE9ELNS1_11target_archE1100ELNS1_3gpuE3ELNS1_3repE0EEENS1_30default_config_static_selectorELNS0_4arch9wavefront6targetE0EEEvT1_.has_recursion, 0
	.set _ZN7rocprim17ROCPRIM_400000_NS6detail17trampoline_kernelINS0_14default_configENS1_25partition_config_selectorILNS1_17partition_subalgoE5EiNS0_10empty_typeEbEEZZNS1_14partition_implILS5_5ELb0ES3_mN6thrust23THRUST_200600_302600_NS6detail15normal_iteratorINSA_10device_ptrIiEEEEPS6_NSA_18transform_iteratorINSB_9not_fun_tI7is_trueIiEEESF_NSA_11use_defaultESM_EENS0_5tupleIJSF_S6_EEENSO_IJSG_SG_EEES6_PlJS6_EEE10hipError_tPvRmT3_T4_T5_T6_T7_T9_mT8_P12ihipStream_tbDpT10_ENKUlT_T0_E_clISt17integral_constantIbLb0EES1B_EEDaS16_S17_EUlS16_E_NS1_11comp_targetILNS1_3genE9ELNS1_11target_archE1100ELNS1_3gpuE3ELNS1_3repE0EEENS1_30default_config_static_selectorELNS0_4arch9wavefront6targetE0EEEvT1_.has_indirect_call, 0
	.section	.AMDGPU.csdata,"",@progbits
; Kernel info:
; codeLenInByte = 0
; TotalNumSgprs: 0
; NumVgprs: 0
; ScratchSize: 0
; MemoryBound: 0
; FloatMode: 240
; IeeeMode: 1
; LDSByteSize: 0 bytes/workgroup (compile time only)
; SGPRBlocks: 0
; VGPRBlocks: 0
; NumSGPRsForWavesPerEU: 1
; NumVGPRsForWavesPerEU: 1
; Occupancy: 16
; WaveLimiterHint : 0
; COMPUTE_PGM_RSRC2:SCRATCH_EN: 0
; COMPUTE_PGM_RSRC2:USER_SGPR: 2
; COMPUTE_PGM_RSRC2:TRAP_HANDLER: 0
; COMPUTE_PGM_RSRC2:TGID_X_EN: 1
; COMPUTE_PGM_RSRC2:TGID_Y_EN: 0
; COMPUTE_PGM_RSRC2:TGID_Z_EN: 0
; COMPUTE_PGM_RSRC2:TIDIG_COMP_CNT: 0
	.section	.text._ZN7rocprim17ROCPRIM_400000_NS6detail17trampoline_kernelINS0_14default_configENS1_25partition_config_selectorILNS1_17partition_subalgoE5EiNS0_10empty_typeEbEEZZNS1_14partition_implILS5_5ELb0ES3_mN6thrust23THRUST_200600_302600_NS6detail15normal_iteratorINSA_10device_ptrIiEEEEPS6_NSA_18transform_iteratorINSB_9not_fun_tI7is_trueIiEEESF_NSA_11use_defaultESM_EENS0_5tupleIJSF_S6_EEENSO_IJSG_SG_EEES6_PlJS6_EEE10hipError_tPvRmT3_T4_T5_T6_T7_T9_mT8_P12ihipStream_tbDpT10_ENKUlT_T0_E_clISt17integral_constantIbLb0EES1B_EEDaS16_S17_EUlS16_E_NS1_11comp_targetILNS1_3genE8ELNS1_11target_archE1030ELNS1_3gpuE2ELNS1_3repE0EEENS1_30default_config_static_selectorELNS0_4arch9wavefront6targetE0EEEvT1_,"axG",@progbits,_ZN7rocprim17ROCPRIM_400000_NS6detail17trampoline_kernelINS0_14default_configENS1_25partition_config_selectorILNS1_17partition_subalgoE5EiNS0_10empty_typeEbEEZZNS1_14partition_implILS5_5ELb0ES3_mN6thrust23THRUST_200600_302600_NS6detail15normal_iteratorINSA_10device_ptrIiEEEEPS6_NSA_18transform_iteratorINSB_9not_fun_tI7is_trueIiEEESF_NSA_11use_defaultESM_EENS0_5tupleIJSF_S6_EEENSO_IJSG_SG_EEES6_PlJS6_EEE10hipError_tPvRmT3_T4_T5_T6_T7_T9_mT8_P12ihipStream_tbDpT10_ENKUlT_T0_E_clISt17integral_constantIbLb0EES1B_EEDaS16_S17_EUlS16_E_NS1_11comp_targetILNS1_3genE8ELNS1_11target_archE1030ELNS1_3gpuE2ELNS1_3repE0EEENS1_30default_config_static_selectorELNS0_4arch9wavefront6targetE0EEEvT1_,comdat
	.protected	_ZN7rocprim17ROCPRIM_400000_NS6detail17trampoline_kernelINS0_14default_configENS1_25partition_config_selectorILNS1_17partition_subalgoE5EiNS0_10empty_typeEbEEZZNS1_14partition_implILS5_5ELb0ES3_mN6thrust23THRUST_200600_302600_NS6detail15normal_iteratorINSA_10device_ptrIiEEEEPS6_NSA_18transform_iteratorINSB_9not_fun_tI7is_trueIiEEESF_NSA_11use_defaultESM_EENS0_5tupleIJSF_S6_EEENSO_IJSG_SG_EEES6_PlJS6_EEE10hipError_tPvRmT3_T4_T5_T6_T7_T9_mT8_P12ihipStream_tbDpT10_ENKUlT_T0_E_clISt17integral_constantIbLb0EES1B_EEDaS16_S17_EUlS16_E_NS1_11comp_targetILNS1_3genE8ELNS1_11target_archE1030ELNS1_3gpuE2ELNS1_3repE0EEENS1_30default_config_static_selectorELNS0_4arch9wavefront6targetE0EEEvT1_ ; -- Begin function _ZN7rocprim17ROCPRIM_400000_NS6detail17trampoline_kernelINS0_14default_configENS1_25partition_config_selectorILNS1_17partition_subalgoE5EiNS0_10empty_typeEbEEZZNS1_14partition_implILS5_5ELb0ES3_mN6thrust23THRUST_200600_302600_NS6detail15normal_iteratorINSA_10device_ptrIiEEEEPS6_NSA_18transform_iteratorINSB_9not_fun_tI7is_trueIiEEESF_NSA_11use_defaultESM_EENS0_5tupleIJSF_S6_EEENSO_IJSG_SG_EEES6_PlJS6_EEE10hipError_tPvRmT3_T4_T5_T6_T7_T9_mT8_P12ihipStream_tbDpT10_ENKUlT_T0_E_clISt17integral_constantIbLb0EES1B_EEDaS16_S17_EUlS16_E_NS1_11comp_targetILNS1_3genE8ELNS1_11target_archE1030ELNS1_3gpuE2ELNS1_3repE0EEENS1_30default_config_static_selectorELNS0_4arch9wavefront6targetE0EEEvT1_
	.globl	_ZN7rocprim17ROCPRIM_400000_NS6detail17trampoline_kernelINS0_14default_configENS1_25partition_config_selectorILNS1_17partition_subalgoE5EiNS0_10empty_typeEbEEZZNS1_14partition_implILS5_5ELb0ES3_mN6thrust23THRUST_200600_302600_NS6detail15normal_iteratorINSA_10device_ptrIiEEEEPS6_NSA_18transform_iteratorINSB_9not_fun_tI7is_trueIiEEESF_NSA_11use_defaultESM_EENS0_5tupleIJSF_S6_EEENSO_IJSG_SG_EEES6_PlJS6_EEE10hipError_tPvRmT3_T4_T5_T6_T7_T9_mT8_P12ihipStream_tbDpT10_ENKUlT_T0_E_clISt17integral_constantIbLb0EES1B_EEDaS16_S17_EUlS16_E_NS1_11comp_targetILNS1_3genE8ELNS1_11target_archE1030ELNS1_3gpuE2ELNS1_3repE0EEENS1_30default_config_static_selectorELNS0_4arch9wavefront6targetE0EEEvT1_
	.p2align	8
	.type	_ZN7rocprim17ROCPRIM_400000_NS6detail17trampoline_kernelINS0_14default_configENS1_25partition_config_selectorILNS1_17partition_subalgoE5EiNS0_10empty_typeEbEEZZNS1_14partition_implILS5_5ELb0ES3_mN6thrust23THRUST_200600_302600_NS6detail15normal_iteratorINSA_10device_ptrIiEEEEPS6_NSA_18transform_iteratorINSB_9not_fun_tI7is_trueIiEEESF_NSA_11use_defaultESM_EENS0_5tupleIJSF_S6_EEENSO_IJSG_SG_EEES6_PlJS6_EEE10hipError_tPvRmT3_T4_T5_T6_T7_T9_mT8_P12ihipStream_tbDpT10_ENKUlT_T0_E_clISt17integral_constantIbLb0EES1B_EEDaS16_S17_EUlS16_E_NS1_11comp_targetILNS1_3genE8ELNS1_11target_archE1030ELNS1_3gpuE2ELNS1_3repE0EEENS1_30default_config_static_selectorELNS0_4arch9wavefront6targetE0EEEvT1_,@function
_ZN7rocprim17ROCPRIM_400000_NS6detail17trampoline_kernelINS0_14default_configENS1_25partition_config_selectorILNS1_17partition_subalgoE5EiNS0_10empty_typeEbEEZZNS1_14partition_implILS5_5ELb0ES3_mN6thrust23THRUST_200600_302600_NS6detail15normal_iteratorINSA_10device_ptrIiEEEEPS6_NSA_18transform_iteratorINSB_9not_fun_tI7is_trueIiEEESF_NSA_11use_defaultESM_EENS0_5tupleIJSF_S6_EEENSO_IJSG_SG_EEES6_PlJS6_EEE10hipError_tPvRmT3_T4_T5_T6_T7_T9_mT8_P12ihipStream_tbDpT10_ENKUlT_T0_E_clISt17integral_constantIbLb0EES1B_EEDaS16_S17_EUlS16_E_NS1_11comp_targetILNS1_3genE8ELNS1_11target_archE1030ELNS1_3gpuE2ELNS1_3repE0EEENS1_30default_config_static_selectorELNS0_4arch9wavefront6targetE0EEEvT1_: ; @_ZN7rocprim17ROCPRIM_400000_NS6detail17trampoline_kernelINS0_14default_configENS1_25partition_config_selectorILNS1_17partition_subalgoE5EiNS0_10empty_typeEbEEZZNS1_14partition_implILS5_5ELb0ES3_mN6thrust23THRUST_200600_302600_NS6detail15normal_iteratorINSA_10device_ptrIiEEEEPS6_NSA_18transform_iteratorINSB_9not_fun_tI7is_trueIiEEESF_NSA_11use_defaultESM_EENS0_5tupleIJSF_S6_EEENSO_IJSG_SG_EEES6_PlJS6_EEE10hipError_tPvRmT3_T4_T5_T6_T7_T9_mT8_P12ihipStream_tbDpT10_ENKUlT_T0_E_clISt17integral_constantIbLb0EES1B_EEDaS16_S17_EUlS16_E_NS1_11comp_targetILNS1_3genE8ELNS1_11target_archE1030ELNS1_3gpuE2ELNS1_3repE0EEENS1_30default_config_static_selectorELNS0_4arch9wavefront6targetE0EEEvT1_
; %bb.0:
	.section	.rodata,"a",@progbits
	.p2align	6, 0x0
	.amdhsa_kernel _ZN7rocprim17ROCPRIM_400000_NS6detail17trampoline_kernelINS0_14default_configENS1_25partition_config_selectorILNS1_17partition_subalgoE5EiNS0_10empty_typeEbEEZZNS1_14partition_implILS5_5ELb0ES3_mN6thrust23THRUST_200600_302600_NS6detail15normal_iteratorINSA_10device_ptrIiEEEEPS6_NSA_18transform_iteratorINSB_9not_fun_tI7is_trueIiEEESF_NSA_11use_defaultESM_EENS0_5tupleIJSF_S6_EEENSO_IJSG_SG_EEES6_PlJS6_EEE10hipError_tPvRmT3_T4_T5_T6_T7_T9_mT8_P12ihipStream_tbDpT10_ENKUlT_T0_E_clISt17integral_constantIbLb0EES1B_EEDaS16_S17_EUlS16_E_NS1_11comp_targetILNS1_3genE8ELNS1_11target_archE1030ELNS1_3gpuE2ELNS1_3repE0EEENS1_30default_config_static_selectorELNS0_4arch9wavefront6targetE0EEEvT1_
		.amdhsa_group_segment_fixed_size 0
		.amdhsa_private_segment_fixed_size 0
		.amdhsa_kernarg_size 120
		.amdhsa_user_sgpr_count 2
		.amdhsa_user_sgpr_dispatch_ptr 0
		.amdhsa_user_sgpr_queue_ptr 0
		.amdhsa_user_sgpr_kernarg_segment_ptr 1
		.amdhsa_user_sgpr_dispatch_id 0
		.amdhsa_user_sgpr_private_segment_size 0
		.amdhsa_wavefront_size32 1
		.amdhsa_uses_dynamic_stack 0
		.amdhsa_enable_private_segment 0
		.amdhsa_system_sgpr_workgroup_id_x 1
		.amdhsa_system_sgpr_workgroup_id_y 0
		.amdhsa_system_sgpr_workgroup_id_z 0
		.amdhsa_system_sgpr_workgroup_info 0
		.amdhsa_system_vgpr_workitem_id 0
		.amdhsa_next_free_vgpr 1
		.amdhsa_next_free_sgpr 1
		.amdhsa_reserve_vcc 0
		.amdhsa_float_round_mode_32 0
		.amdhsa_float_round_mode_16_64 0
		.amdhsa_float_denorm_mode_32 3
		.amdhsa_float_denorm_mode_16_64 3
		.amdhsa_fp16_overflow 0
		.amdhsa_workgroup_processor_mode 1
		.amdhsa_memory_ordered 1
		.amdhsa_forward_progress 1
		.amdhsa_inst_pref_size 0
		.amdhsa_round_robin_scheduling 0
		.amdhsa_exception_fp_ieee_invalid_op 0
		.amdhsa_exception_fp_denorm_src 0
		.amdhsa_exception_fp_ieee_div_zero 0
		.amdhsa_exception_fp_ieee_overflow 0
		.amdhsa_exception_fp_ieee_underflow 0
		.amdhsa_exception_fp_ieee_inexact 0
		.amdhsa_exception_int_div_zero 0
	.end_amdhsa_kernel
	.section	.text._ZN7rocprim17ROCPRIM_400000_NS6detail17trampoline_kernelINS0_14default_configENS1_25partition_config_selectorILNS1_17partition_subalgoE5EiNS0_10empty_typeEbEEZZNS1_14partition_implILS5_5ELb0ES3_mN6thrust23THRUST_200600_302600_NS6detail15normal_iteratorINSA_10device_ptrIiEEEEPS6_NSA_18transform_iteratorINSB_9not_fun_tI7is_trueIiEEESF_NSA_11use_defaultESM_EENS0_5tupleIJSF_S6_EEENSO_IJSG_SG_EEES6_PlJS6_EEE10hipError_tPvRmT3_T4_T5_T6_T7_T9_mT8_P12ihipStream_tbDpT10_ENKUlT_T0_E_clISt17integral_constantIbLb0EES1B_EEDaS16_S17_EUlS16_E_NS1_11comp_targetILNS1_3genE8ELNS1_11target_archE1030ELNS1_3gpuE2ELNS1_3repE0EEENS1_30default_config_static_selectorELNS0_4arch9wavefront6targetE0EEEvT1_,"axG",@progbits,_ZN7rocprim17ROCPRIM_400000_NS6detail17trampoline_kernelINS0_14default_configENS1_25partition_config_selectorILNS1_17partition_subalgoE5EiNS0_10empty_typeEbEEZZNS1_14partition_implILS5_5ELb0ES3_mN6thrust23THRUST_200600_302600_NS6detail15normal_iteratorINSA_10device_ptrIiEEEEPS6_NSA_18transform_iteratorINSB_9not_fun_tI7is_trueIiEEESF_NSA_11use_defaultESM_EENS0_5tupleIJSF_S6_EEENSO_IJSG_SG_EEES6_PlJS6_EEE10hipError_tPvRmT3_T4_T5_T6_T7_T9_mT8_P12ihipStream_tbDpT10_ENKUlT_T0_E_clISt17integral_constantIbLb0EES1B_EEDaS16_S17_EUlS16_E_NS1_11comp_targetILNS1_3genE8ELNS1_11target_archE1030ELNS1_3gpuE2ELNS1_3repE0EEENS1_30default_config_static_selectorELNS0_4arch9wavefront6targetE0EEEvT1_,comdat
.Lfunc_end1507:
	.size	_ZN7rocprim17ROCPRIM_400000_NS6detail17trampoline_kernelINS0_14default_configENS1_25partition_config_selectorILNS1_17partition_subalgoE5EiNS0_10empty_typeEbEEZZNS1_14partition_implILS5_5ELb0ES3_mN6thrust23THRUST_200600_302600_NS6detail15normal_iteratorINSA_10device_ptrIiEEEEPS6_NSA_18transform_iteratorINSB_9not_fun_tI7is_trueIiEEESF_NSA_11use_defaultESM_EENS0_5tupleIJSF_S6_EEENSO_IJSG_SG_EEES6_PlJS6_EEE10hipError_tPvRmT3_T4_T5_T6_T7_T9_mT8_P12ihipStream_tbDpT10_ENKUlT_T0_E_clISt17integral_constantIbLb0EES1B_EEDaS16_S17_EUlS16_E_NS1_11comp_targetILNS1_3genE8ELNS1_11target_archE1030ELNS1_3gpuE2ELNS1_3repE0EEENS1_30default_config_static_selectorELNS0_4arch9wavefront6targetE0EEEvT1_, .Lfunc_end1507-_ZN7rocprim17ROCPRIM_400000_NS6detail17trampoline_kernelINS0_14default_configENS1_25partition_config_selectorILNS1_17partition_subalgoE5EiNS0_10empty_typeEbEEZZNS1_14partition_implILS5_5ELb0ES3_mN6thrust23THRUST_200600_302600_NS6detail15normal_iteratorINSA_10device_ptrIiEEEEPS6_NSA_18transform_iteratorINSB_9not_fun_tI7is_trueIiEEESF_NSA_11use_defaultESM_EENS0_5tupleIJSF_S6_EEENSO_IJSG_SG_EEES6_PlJS6_EEE10hipError_tPvRmT3_T4_T5_T6_T7_T9_mT8_P12ihipStream_tbDpT10_ENKUlT_T0_E_clISt17integral_constantIbLb0EES1B_EEDaS16_S17_EUlS16_E_NS1_11comp_targetILNS1_3genE8ELNS1_11target_archE1030ELNS1_3gpuE2ELNS1_3repE0EEENS1_30default_config_static_selectorELNS0_4arch9wavefront6targetE0EEEvT1_
                                        ; -- End function
	.set _ZN7rocprim17ROCPRIM_400000_NS6detail17trampoline_kernelINS0_14default_configENS1_25partition_config_selectorILNS1_17partition_subalgoE5EiNS0_10empty_typeEbEEZZNS1_14partition_implILS5_5ELb0ES3_mN6thrust23THRUST_200600_302600_NS6detail15normal_iteratorINSA_10device_ptrIiEEEEPS6_NSA_18transform_iteratorINSB_9not_fun_tI7is_trueIiEEESF_NSA_11use_defaultESM_EENS0_5tupleIJSF_S6_EEENSO_IJSG_SG_EEES6_PlJS6_EEE10hipError_tPvRmT3_T4_T5_T6_T7_T9_mT8_P12ihipStream_tbDpT10_ENKUlT_T0_E_clISt17integral_constantIbLb0EES1B_EEDaS16_S17_EUlS16_E_NS1_11comp_targetILNS1_3genE8ELNS1_11target_archE1030ELNS1_3gpuE2ELNS1_3repE0EEENS1_30default_config_static_selectorELNS0_4arch9wavefront6targetE0EEEvT1_.num_vgpr, 0
	.set _ZN7rocprim17ROCPRIM_400000_NS6detail17trampoline_kernelINS0_14default_configENS1_25partition_config_selectorILNS1_17partition_subalgoE5EiNS0_10empty_typeEbEEZZNS1_14partition_implILS5_5ELb0ES3_mN6thrust23THRUST_200600_302600_NS6detail15normal_iteratorINSA_10device_ptrIiEEEEPS6_NSA_18transform_iteratorINSB_9not_fun_tI7is_trueIiEEESF_NSA_11use_defaultESM_EENS0_5tupleIJSF_S6_EEENSO_IJSG_SG_EEES6_PlJS6_EEE10hipError_tPvRmT3_T4_T5_T6_T7_T9_mT8_P12ihipStream_tbDpT10_ENKUlT_T0_E_clISt17integral_constantIbLb0EES1B_EEDaS16_S17_EUlS16_E_NS1_11comp_targetILNS1_3genE8ELNS1_11target_archE1030ELNS1_3gpuE2ELNS1_3repE0EEENS1_30default_config_static_selectorELNS0_4arch9wavefront6targetE0EEEvT1_.num_agpr, 0
	.set _ZN7rocprim17ROCPRIM_400000_NS6detail17trampoline_kernelINS0_14default_configENS1_25partition_config_selectorILNS1_17partition_subalgoE5EiNS0_10empty_typeEbEEZZNS1_14partition_implILS5_5ELb0ES3_mN6thrust23THRUST_200600_302600_NS6detail15normal_iteratorINSA_10device_ptrIiEEEEPS6_NSA_18transform_iteratorINSB_9not_fun_tI7is_trueIiEEESF_NSA_11use_defaultESM_EENS0_5tupleIJSF_S6_EEENSO_IJSG_SG_EEES6_PlJS6_EEE10hipError_tPvRmT3_T4_T5_T6_T7_T9_mT8_P12ihipStream_tbDpT10_ENKUlT_T0_E_clISt17integral_constantIbLb0EES1B_EEDaS16_S17_EUlS16_E_NS1_11comp_targetILNS1_3genE8ELNS1_11target_archE1030ELNS1_3gpuE2ELNS1_3repE0EEENS1_30default_config_static_selectorELNS0_4arch9wavefront6targetE0EEEvT1_.numbered_sgpr, 0
	.set _ZN7rocprim17ROCPRIM_400000_NS6detail17trampoline_kernelINS0_14default_configENS1_25partition_config_selectorILNS1_17partition_subalgoE5EiNS0_10empty_typeEbEEZZNS1_14partition_implILS5_5ELb0ES3_mN6thrust23THRUST_200600_302600_NS6detail15normal_iteratorINSA_10device_ptrIiEEEEPS6_NSA_18transform_iteratorINSB_9not_fun_tI7is_trueIiEEESF_NSA_11use_defaultESM_EENS0_5tupleIJSF_S6_EEENSO_IJSG_SG_EEES6_PlJS6_EEE10hipError_tPvRmT3_T4_T5_T6_T7_T9_mT8_P12ihipStream_tbDpT10_ENKUlT_T0_E_clISt17integral_constantIbLb0EES1B_EEDaS16_S17_EUlS16_E_NS1_11comp_targetILNS1_3genE8ELNS1_11target_archE1030ELNS1_3gpuE2ELNS1_3repE0EEENS1_30default_config_static_selectorELNS0_4arch9wavefront6targetE0EEEvT1_.num_named_barrier, 0
	.set _ZN7rocprim17ROCPRIM_400000_NS6detail17trampoline_kernelINS0_14default_configENS1_25partition_config_selectorILNS1_17partition_subalgoE5EiNS0_10empty_typeEbEEZZNS1_14partition_implILS5_5ELb0ES3_mN6thrust23THRUST_200600_302600_NS6detail15normal_iteratorINSA_10device_ptrIiEEEEPS6_NSA_18transform_iteratorINSB_9not_fun_tI7is_trueIiEEESF_NSA_11use_defaultESM_EENS0_5tupleIJSF_S6_EEENSO_IJSG_SG_EEES6_PlJS6_EEE10hipError_tPvRmT3_T4_T5_T6_T7_T9_mT8_P12ihipStream_tbDpT10_ENKUlT_T0_E_clISt17integral_constantIbLb0EES1B_EEDaS16_S17_EUlS16_E_NS1_11comp_targetILNS1_3genE8ELNS1_11target_archE1030ELNS1_3gpuE2ELNS1_3repE0EEENS1_30default_config_static_selectorELNS0_4arch9wavefront6targetE0EEEvT1_.private_seg_size, 0
	.set _ZN7rocprim17ROCPRIM_400000_NS6detail17trampoline_kernelINS0_14default_configENS1_25partition_config_selectorILNS1_17partition_subalgoE5EiNS0_10empty_typeEbEEZZNS1_14partition_implILS5_5ELb0ES3_mN6thrust23THRUST_200600_302600_NS6detail15normal_iteratorINSA_10device_ptrIiEEEEPS6_NSA_18transform_iteratorINSB_9not_fun_tI7is_trueIiEEESF_NSA_11use_defaultESM_EENS0_5tupleIJSF_S6_EEENSO_IJSG_SG_EEES6_PlJS6_EEE10hipError_tPvRmT3_T4_T5_T6_T7_T9_mT8_P12ihipStream_tbDpT10_ENKUlT_T0_E_clISt17integral_constantIbLb0EES1B_EEDaS16_S17_EUlS16_E_NS1_11comp_targetILNS1_3genE8ELNS1_11target_archE1030ELNS1_3gpuE2ELNS1_3repE0EEENS1_30default_config_static_selectorELNS0_4arch9wavefront6targetE0EEEvT1_.uses_vcc, 0
	.set _ZN7rocprim17ROCPRIM_400000_NS6detail17trampoline_kernelINS0_14default_configENS1_25partition_config_selectorILNS1_17partition_subalgoE5EiNS0_10empty_typeEbEEZZNS1_14partition_implILS5_5ELb0ES3_mN6thrust23THRUST_200600_302600_NS6detail15normal_iteratorINSA_10device_ptrIiEEEEPS6_NSA_18transform_iteratorINSB_9not_fun_tI7is_trueIiEEESF_NSA_11use_defaultESM_EENS0_5tupleIJSF_S6_EEENSO_IJSG_SG_EEES6_PlJS6_EEE10hipError_tPvRmT3_T4_T5_T6_T7_T9_mT8_P12ihipStream_tbDpT10_ENKUlT_T0_E_clISt17integral_constantIbLb0EES1B_EEDaS16_S17_EUlS16_E_NS1_11comp_targetILNS1_3genE8ELNS1_11target_archE1030ELNS1_3gpuE2ELNS1_3repE0EEENS1_30default_config_static_selectorELNS0_4arch9wavefront6targetE0EEEvT1_.uses_flat_scratch, 0
	.set _ZN7rocprim17ROCPRIM_400000_NS6detail17trampoline_kernelINS0_14default_configENS1_25partition_config_selectorILNS1_17partition_subalgoE5EiNS0_10empty_typeEbEEZZNS1_14partition_implILS5_5ELb0ES3_mN6thrust23THRUST_200600_302600_NS6detail15normal_iteratorINSA_10device_ptrIiEEEEPS6_NSA_18transform_iteratorINSB_9not_fun_tI7is_trueIiEEESF_NSA_11use_defaultESM_EENS0_5tupleIJSF_S6_EEENSO_IJSG_SG_EEES6_PlJS6_EEE10hipError_tPvRmT3_T4_T5_T6_T7_T9_mT8_P12ihipStream_tbDpT10_ENKUlT_T0_E_clISt17integral_constantIbLb0EES1B_EEDaS16_S17_EUlS16_E_NS1_11comp_targetILNS1_3genE8ELNS1_11target_archE1030ELNS1_3gpuE2ELNS1_3repE0EEENS1_30default_config_static_selectorELNS0_4arch9wavefront6targetE0EEEvT1_.has_dyn_sized_stack, 0
	.set _ZN7rocprim17ROCPRIM_400000_NS6detail17trampoline_kernelINS0_14default_configENS1_25partition_config_selectorILNS1_17partition_subalgoE5EiNS0_10empty_typeEbEEZZNS1_14partition_implILS5_5ELb0ES3_mN6thrust23THRUST_200600_302600_NS6detail15normal_iteratorINSA_10device_ptrIiEEEEPS6_NSA_18transform_iteratorINSB_9not_fun_tI7is_trueIiEEESF_NSA_11use_defaultESM_EENS0_5tupleIJSF_S6_EEENSO_IJSG_SG_EEES6_PlJS6_EEE10hipError_tPvRmT3_T4_T5_T6_T7_T9_mT8_P12ihipStream_tbDpT10_ENKUlT_T0_E_clISt17integral_constantIbLb0EES1B_EEDaS16_S17_EUlS16_E_NS1_11comp_targetILNS1_3genE8ELNS1_11target_archE1030ELNS1_3gpuE2ELNS1_3repE0EEENS1_30default_config_static_selectorELNS0_4arch9wavefront6targetE0EEEvT1_.has_recursion, 0
	.set _ZN7rocprim17ROCPRIM_400000_NS6detail17trampoline_kernelINS0_14default_configENS1_25partition_config_selectorILNS1_17partition_subalgoE5EiNS0_10empty_typeEbEEZZNS1_14partition_implILS5_5ELb0ES3_mN6thrust23THRUST_200600_302600_NS6detail15normal_iteratorINSA_10device_ptrIiEEEEPS6_NSA_18transform_iteratorINSB_9not_fun_tI7is_trueIiEEESF_NSA_11use_defaultESM_EENS0_5tupleIJSF_S6_EEENSO_IJSG_SG_EEES6_PlJS6_EEE10hipError_tPvRmT3_T4_T5_T6_T7_T9_mT8_P12ihipStream_tbDpT10_ENKUlT_T0_E_clISt17integral_constantIbLb0EES1B_EEDaS16_S17_EUlS16_E_NS1_11comp_targetILNS1_3genE8ELNS1_11target_archE1030ELNS1_3gpuE2ELNS1_3repE0EEENS1_30default_config_static_selectorELNS0_4arch9wavefront6targetE0EEEvT1_.has_indirect_call, 0
	.section	.AMDGPU.csdata,"",@progbits
; Kernel info:
; codeLenInByte = 0
; TotalNumSgprs: 0
; NumVgprs: 0
; ScratchSize: 0
; MemoryBound: 0
; FloatMode: 240
; IeeeMode: 1
; LDSByteSize: 0 bytes/workgroup (compile time only)
; SGPRBlocks: 0
; VGPRBlocks: 0
; NumSGPRsForWavesPerEU: 1
; NumVGPRsForWavesPerEU: 1
; Occupancy: 16
; WaveLimiterHint : 0
; COMPUTE_PGM_RSRC2:SCRATCH_EN: 0
; COMPUTE_PGM_RSRC2:USER_SGPR: 2
; COMPUTE_PGM_RSRC2:TRAP_HANDLER: 0
; COMPUTE_PGM_RSRC2:TGID_X_EN: 1
; COMPUTE_PGM_RSRC2:TGID_Y_EN: 0
; COMPUTE_PGM_RSRC2:TGID_Z_EN: 0
; COMPUTE_PGM_RSRC2:TIDIG_COMP_CNT: 0
	.section	.text._ZN7rocprim17ROCPRIM_400000_NS6detail17trampoline_kernelINS0_14default_configENS1_25partition_config_selectorILNS1_17partition_subalgoE5EiNS0_10empty_typeEbEEZZNS1_14partition_implILS5_5ELb0ES3_mN6thrust23THRUST_200600_302600_NS6detail15normal_iteratorINSA_10device_ptrIiEEEEPS6_NSA_18transform_iteratorINSB_9not_fun_tI7is_trueIiEEESF_NSA_11use_defaultESM_EENS0_5tupleIJSF_S6_EEENSO_IJSG_SG_EEES6_PlJS6_EEE10hipError_tPvRmT3_T4_T5_T6_T7_T9_mT8_P12ihipStream_tbDpT10_ENKUlT_T0_E_clISt17integral_constantIbLb1EES1B_EEDaS16_S17_EUlS16_E_NS1_11comp_targetILNS1_3genE0ELNS1_11target_archE4294967295ELNS1_3gpuE0ELNS1_3repE0EEENS1_30default_config_static_selectorELNS0_4arch9wavefront6targetE0EEEvT1_,"axG",@progbits,_ZN7rocprim17ROCPRIM_400000_NS6detail17trampoline_kernelINS0_14default_configENS1_25partition_config_selectorILNS1_17partition_subalgoE5EiNS0_10empty_typeEbEEZZNS1_14partition_implILS5_5ELb0ES3_mN6thrust23THRUST_200600_302600_NS6detail15normal_iteratorINSA_10device_ptrIiEEEEPS6_NSA_18transform_iteratorINSB_9not_fun_tI7is_trueIiEEESF_NSA_11use_defaultESM_EENS0_5tupleIJSF_S6_EEENSO_IJSG_SG_EEES6_PlJS6_EEE10hipError_tPvRmT3_T4_T5_T6_T7_T9_mT8_P12ihipStream_tbDpT10_ENKUlT_T0_E_clISt17integral_constantIbLb1EES1B_EEDaS16_S17_EUlS16_E_NS1_11comp_targetILNS1_3genE0ELNS1_11target_archE4294967295ELNS1_3gpuE0ELNS1_3repE0EEENS1_30default_config_static_selectorELNS0_4arch9wavefront6targetE0EEEvT1_,comdat
	.protected	_ZN7rocprim17ROCPRIM_400000_NS6detail17trampoline_kernelINS0_14default_configENS1_25partition_config_selectorILNS1_17partition_subalgoE5EiNS0_10empty_typeEbEEZZNS1_14partition_implILS5_5ELb0ES3_mN6thrust23THRUST_200600_302600_NS6detail15normal_iteratorINSA_10device_ptrIiEEEEPS6_NSA_18transform_iteratorINSB_9not_fun_tI7is_trueIiEEESF_NSA_11use_defaultESM_EENS0_5tupleIJSF_S6_EEENSO_IJSG_SG_EEES6_PlJS6_EEE10hipError_tPvRmT3_T4_T5_T6_T7_T9_mT8_P12ihipStream_tbDpT10_ENKUlT_T0_E_clISt17integral_constantIbLb1EES1B_EEDaS16_S17_EUlS16_E_NS1_11comp_targetILNS1_3genE0ELNS1_11target_archE4294967295ELNS1_3gpuE0ELNS1_3repE0EEENS1_30default_config_static_selectorELNS0_4arch9wavefront6targetE0EEEvT1_ ; -- Begin function _ZN7rocprim17ROCPRIM_400000_NS6detail17trampoline_kernelINS0_14default_configENS1_25partition_config_selectorILNS1_17partition_subalgoE5EiNS0_10empty_typeEbEEZZNS1_14partition_implILS5_5ELb0ES3_mN6thrust23THRUST_200600_302600_NS6detail15normal_iteratorINSA_10device_ptrIiEEEEPS6_NSA_18transform_iteratorINSB_9not_fun_tI7is_trueIiEEESF_NSA_11use_defaultESM_EENS0_5tupleIJSF_S6_EEENSO_IJSG_SG_EEES6_PlJS6_EEE10hipError_tPvRmT3_T4_T5_T6_T7_T9_mT8_P12ihipStream_tbDpT10_ENKUlT_T0_E_clISt17integral_constantIbLb1EES1B_EEDaS16_S17_EUlS16_E_NS1_11comp_targetILNS1_3genE0ELNS1_11target_archE4294967295ELNS1_3gpuE0ELNS1_3repE0EEENS1_30default_config_static_selectorELNS0_4arch9wavefront6targetE0EEEvT1_
	.globl	_ZN7rocprim17ROCPRIM_400000_NS6detail17trampoline_kernelINS0_14default_configENS1_25partition_config_selectorILNS1_17partition_subalgoE5EiNS0_10empty_typeEbEEZZNS1_14partition_implILS5_5ELb0ES3_mN6thrust23THRUST_200600_302600_NS6detail15normal_iteratorINSA_10device_ptrIiEEEEPS6_NSA_18transform_iteratorINSB_9not_fun_tI7is_trueIiEEESF_NSA_11use_defaultESM_EENS0_5tupleIJSF_S6_EEENSO_IJSG_SG_EEES6_PlJS6_EEE10hipError_tPvRmT3_T4_T5_T6_T7_T9_mT8_P12ihipStream_tbDpT10_ENKUlT_T0_E_clISt17integral_constantIbLb1EES1B_EEDaS16_S17_EUlS16_E_NS1_11comp_targetILNS1_3genE0ELNS1_11target_archE4294967295ELNS1_3gpuE0ELNS1_3repE0EEENS1_30default_config_static_selectorELNS0_4arch9wavefront6targetE0EEEvT1_
	.p2align	8
	.type	_ZN7rocprim17ROCPRIM_400000_NS6detail17trampoline_kernelINS0_14default_configENS1_25partition_config_selectorILNS1_17partition_subalgoE5EiNS0_10empty_typeEbEEZZNS1_14partition_implILS5_5ELb0ES3_mN6thrust23THRUST_200600_302600_NS6detail15normal_iteratorINSA_10device_ptrIiEEEEPS6_NSA_18transform_iteratorINSB_9not_fun_tI7is_trueIiEEESF_NSA_11use_defaultESM_EENS0_5tupleIJSF_S6_EEENSO_IJSG_SG_EEES6_PlJS6_EEE10hipError_tPvRmT3_T4_T5_T6_T7_T9_mT8_P12ihipStream_tbDpT10_ENKUlT_T0_E_clISt17integral_constantIbLb1EES1B_EEDaS16_S17_EUlS16_E_NS1_11comp_targetILNS1_3genE0ELNS1_11target_archE4294967295ELNS1_3gpuE0ELNS1_3repE0EEENS1_30default_config_static_selectorELNS0_4arch9wavefront6targetE0EEEvT1_,@function
_ZN7rocprim17ROCPRIM_400000_NS6detail17trampoline_kernelINS0_14default_configENS1_25partition_config_selectorILNS1_17partition_subalgoE5EiNS0_10empty_typeEbEEZZNS1_14partition_implILS5_5ELb0ES3_mN6thrust23THRUST_200600_302600_NS6detail15normal_iteratorINSA_10device_ptrIiEEEEPS6_NSA_18transform_iteratorINSB_9not_fun_tI7is_trueIiEEESF_NSA_11use_defaultESM_EENS0_5tupleIJSF_S6_EEENSO_IJSG_SG_EEES6_PlJS6_EEE10hipError_tPvRmT3_T4_T5_T6_T7_T9_mT8_P12ihipStream_tbDpT10_ENKUlT_T0_E_clISt17integral_constantIbLb1EES1B_EEDaS16_S17_EUlS16_E_NS1_11comp_targetILNS1_3genE0ELNS1_11target_archE4294967295ELNS1_3gpuE0ELNS1_3repE0EEENS1_30default_config_static_selectorELNS0_4arch9wavefront6targetE0EEEvT1_: ; @_ZN7rocprim17ROCPRIM_400000_NS6detail17trampoline_kernelINS0_14default_configENS1_25partition_config_selectorILNS1_17partition_subalgoE5EiNS0_10empty_typeEbEEZZNS1_14partition_implILS5_5ELb0ES3_mN6thrust23THRUST_200600_302600_NS6detail15normal_iteratorINSA_10device_ptrIiEEEEPS6_NSA_18transform_iteratorINSB_9not_fun_tI7is_trueIiEEESF_NSA_11use_defaultESM_EENS0_5tupleIJSF_S6_EEENSO_IJSG_SG_EEES6_PlJS6_EEE10hipError_tPvRmT3_T4_T5_T6_T7_T9_mT8_P12ihipStream_tbDpT10_ENKUlT_T0_E_clISt17integral_constantIbLb1EES1B_EEDaS16_S17_EUlS16_E_NS1_11comp_targetILNS1_3genE0ELNS1_11target_archE4294967295ELNS1_3gpuE0ELNS1_3repE0EEENS1_30default_config_static_selectorELNS0_4arch9wavefront6targetE0EEEvT1_
; %bb.0:
	.section	.rodata,"a",@progbits
	.p2align	6, 0x0
	.amdhsa_kernel _ZN7rocprim17ROCPRIM_400000_NS6detail17trampoline_kernelINS0_14default_configENS1_25partition_config_selectorILNS1_17partition_subalgoE5EiNS0_10empty_typeEbEEZZNS1_14partition_implILS5_5ELb0ES3_mN6thrust23THRUST_200600_302600_NS6detail15normal_iteratorINSA_10device_ptrIiEEEEPS6_NSA_18transform_iteratorINSB_9not_fun_tI7is_trueIiEEESF_NSA_11use_defaultESM_EENS0_5tupleIJSF_S6_EEENSO_IJSG_SG_EEES6_PlJS6_EEE10hipError_tPvRmT3_T4_T5_T6_T7_T9_mT8_P12ihipStream_tbDpT10_ENKUlT_T0_E_clISt17integral_constantIbLb1EES1B_EEDaS16_S17_EUlS16_E_NS1_11comp_targetILNS1_3genE0ELNS1_11target_archE4294967295ELNS1_3gpuE0ELNS1_3repE0EEENS1_30default_config_static_selectorELNS0_4arch9wavefront6targetE0EEEvT1_
		.amdhsa_group_segment_fixed_size 0
		.amdhsa_private_segment_fixed_size 0
		.amdhsa_kernarg_size 136
		.amdhsa_user_sgpr_count 2
		.amdhsa_user_sgpr_dispatch_ptr 0
		.amdhsa_user_sgpr_queue_ptr 0
		.amdhsa_user_sgpr_kernarg_segment_ptr 1
		.amdhsa_user_sgpr_dispatch_id 0
		.amdhsa_user_sgpr_private_segment_size 0
		.amdhsa_wavefront_size32 1
		.amdhsa_uses_dynamic_stack 0
		.amdhsa_enable_private_segment 0
		.amdhsa_system_sgpr_workgroup_id_x 1
		.amdhsa_system_sgpr_workgroup_id_y 0
		.amdhsa_system_sgpr_workgroup_id_z 0
		.amdhsa_system_sgpr_workgroup_info 0
		.amdhsa_system_vgpr_workitem_id 0
		.amdhsa_next_free_vgpr 1
		.amdhsa_next_free_sgpr 1
		.amdhsa_reserve_vcc 0
		.amdhsa_float_round_mode_32 0
		.amdhsa_float_round_mode_16_64 0
		.amdhsa_float_denorm_mode_32 3
		.amdhsa_float_denorm_mode_16_64 3
		.amdhsa_fp16_overflow 0
		.amdhsa_workgroup_processor_mode 1
		.amdhsa_memory_ordered 1
		.amdhsa_forward_progress 1
		.amdhsa_inst_pref_size 0
		.amdhsa_round_robin_scheduling 0
		.amdhsa_exception_fp_ieee_invalid_op 0
		.amdhsa_exception_fp_denorm_src 0
		.amdhsa_exception_fp_ieee_div_zero 0
		.amdhsa_exception_fp_ieee_overflow 0
		.amdhsa_exception_fp_ieee_underflow 0
		.amdhsa_exception_fp_ieee_inexact 0
		.amdhsa_exception_int_div_zero 0
	.end_amdhsa_kernel
	.section	.text._ZN7rocprim17ROCPRIM_400000_NS6detail17trampoline_kernelINS0_14default_configENS1_25partition_config_selectorILNS1_17partition_subalgoE5EiNS0_10empty_typeEbEEZZNS1_14partition_implILS5_5ELb0ES3_mN6thrust23THRUST_200600_302600_NS6detail15normal_iteratorINSA_10device_ptrIiEEEEPS6_NSA_18transform_iteratorINSB_9not_fun_tI7is_trueIiEEESF_NSA_11use_defaultESM_EENS0_5tupleIJSF_S6_EEENSO_IJSG_SG_EEES6_PlJS6_EEE10hipError_tPvRmT3_T4_T5_T6_T7_T9_mT8_P12ihipStream_tbDpT10_ENKUlT_T0_E_clISt17integral_constantIbLb1EES1B_EEDaS16_S17_EUlS16_E_NS1_11comp_targetILNS1_3genE0ELNS1_11target_archE4294967295ELNS1_3gpuE0ELNS1_3repE0EEENS1_30default_config_static_selectorELNS0_4arch9wavefront6targetE0EEEvT1_,"axG",@progbits,_ZN7rocprim17ROCPRIM_400000_NS6detail17trampoline_kernelINS0_14default_configENS1_25partition_config_selectorILNS1_17partition_subalgoE5EiNS0_10empty_typeEbEEZZNS1_14partition_implILS5_5ELb0ES3_mN6thrust23THRUST_200600_302600_NS6detail15normal_iteratorINSA_10device_ptrIiEEEEPS6_NSA_18transform_iteratorINSB_9not_fun_tI7is_trueIiEEESF_NSA_11use_defaultESM_EENS0_5tupleIJSF_S6_EEENSO_IJSG_SG_EEES6_PlJS6_EEE10hipError_tPvRmT3_T4_T5_T6_T7_T9_mT8_P12ihipStream_tbDpT10_ENKUlT_T0_E_clISt17integral_constantIbLb1EES1B_EEDaS16_S17_EUlS16_E_NS1_11comp_targetILNS1_3genE0ELNS1_11target_archE4294967295ELNS1_3gpuE0ELNS1_3repE0EEENS1_30default_config_static_selectorELNS0_4arch9wavefront6targetE0EEEvT1_,comdat
.Lfunc_end1508:
	.size	_ZN7rocprim17ROCPRIM_400000_NS6detail17trampoline_kernelINS0_14default_configENS1_25partition_config_selectorILNS1_17partition_subalgoE5EiNS0_10empty_typeEbEEZZNS1_14partition_implILS5_5ELb0ES3_mN6thrust23THRUST_200600_302600_NS6detail15normal_iteratorINSA_10device_ptrIiEEEEPS6_NSA_18transform_iteratorINSB_9not_fun_tI7is_trueIiEEESF_NSA_11use_defaultESM_EENS0_5tupleIJSF_S6_EEENSO_IJSG_SG_EEES6_PlJS6_EEE10hipError_tPvRmT3_T4_T5_T6_T7_T9_mT8_P12ihipStream_tbDpT10_ENKUlT_T0_E_clISt17integral_constantIbLb1EES1B_EEDaS16_S17_EUlS16_E_NS1_11comp_targetILNS1_3genE0ELNS1_11target_archE4294967295ELNS1_3gpuE0ELNS1_3repE0EEENS1_30default_config_static_selectorELNS0_4arch9wavefront6targetE0EEEvT1_, .Lfunc_end1508-_ZN7rocprim17ROCPRIM_400000_NS6detail17trampoline_kernelINS0_14default_configENS1_25partition_config_selectorILNS1_17partition_subalgoE5EiNS0_10empty_typeEbEEZZNS1_14partition_implILS5_5ELb0ES3_mN6thrust23THRUST_200600_302600_NS6detail15normal_iteratorINSA_10device_ptrIiEEEEPS6_NSA_18transform_iteratorINSB_9not_fun_tI7is_trueIiEEESF_NSA_11use_defaultESM_EENS0_5tupleIJSF_S6_EEENSO_IJSG_SG_EEES6_PlJS6_EEE10hipError_tPvRmT3_T4_T5_T6_T7_T9_mT8_P12ihipStream_tbDpT10_ENKUlT_T0_E_clISt17integral_constantIbLb1EES1B_EEDaS16_S17_EUlS16_E_NS1_11comp_targetILNS1_3genE0ELNS1_11target_archE4294967295ELNS1_3gpuE0ELNS1_3repE0EEENS1_30default_config_static_selectorELNS0_4arch9wavefront6targetE0EEEvT1_
                                        ; -- End function
	.set _ZN7rocprim17ROCPRIM_400000_NS6detail17trampoline_kernelINS0_14default_configENS1_25partition_config_selectorILNS1_17partition_subalgoE5EiNS0_10empty_typeEbEEZZNS1_14partition_implILS5_5ELb0ES3_mN6thrust23THRUST_200600_302600_NS6detail15normal_iteratorINSA_10device_ptrIiEEEEPS6_NSA_18transform_iteratorINSB_9not_fun_tI7is_trueIiEEESF_NSA_11use_defaultESM_EENS0_5tupleIJSF_S6_EEENSO_IJSG_SG_EEES6_PlJS6_EEE10hipError_tPvRmT3_T4_T5_T6_T7_T9_mT8_P12ihipStream_tbDpT10_ENKUlT_T0_E_clISt17integral_constantIbLb1EES1B_EEDaS16_S17_EUlS16_E_NS1_11comp_targetILNS1_3genE0ELNS1_11target_archE4294967295ELNS1_3gpuE0ELNS1_3repE0EEENS1_30default_config_static_selectorELNS0_4arch9wavefront6targetE0EEEvT1_.num_vgpr, 0
	.set _ZN7rocprim17ROCPRIM_400000_NS6detail17trampoline_kernelINS0_14default_configENS1_25partition_config_selectorILNS1_17partition_subalgoE5EiNS0_10empty_typeEbEEZZNS1_14partition_implILS5_5ELb0ES3_mN6thrust23THRUST_200600_302600_NS6detail15normal_iteratorINSA_10device_ptrIiEEEEPS6_NSA_18transform_iteratorINSB_9not_fun_tI7is_trueIiEEESF_NSA_11use_defaultESM_EENS0_5tupleIJSF_S6_EEENSO_IJSG_SG_EEES6_PlJS6_EEE10hipError_tPvRmT3_T4_T5_T6_T7_T9_mT8_P12ihipStream_tbDpT10_ENKUlT_T0_E_clISt17integral_constantIbLb1EES1B_EEDaS16_S17_EUlS16_E_NS1_11comp_targetILNS1_3genE0ELNS1_11target_archE4294967295ELNS1_3gpuE0ELNS1_3repE0EEENS1_30default_config_static_selectorELNS0_4arch9wavefront6targetE0EEEvT1_.num_agpr, 0
	.set _ZN7rocprim17ROCPRIM_400000_NS6detail17trampoline_kernelINS0_14default_configENS1_25partition_config_selectorILNS1_17partition_subalgoE5EiNS0_10empty_typeEbEEZZNS1_14partition_implILS5_5ELb0ES3_mN6thrust23THRUST_200600_302600_NS6detail15normal_iteratorINSA_10device_ptrIiEEEEPS6_NSA_18transform_iteratorINSB_9not_fun_tI7is_trueIiEEESF_NSA_11use_defaultESM_EENS0_5tupleIJSF_S6_EEENSO_IJSG_SG_EEES6_PlJS6_EEE10hipError_tPvRmT3_T4_T5_T6_T7_T9_mT8_P12ihipStream_tbDpT10_ENKUlT_T0_E_clISt17integral_constantIbLb1EES1B_EEDaS16_S17_EUlS16_E_NS1_11comp_targetILNS1_3genE0ELNS1_11target_archE4294967295ELNS1_3gpuE0ELNS1_3repE0EEENS1_30default_config_static_selectorELNS0_4arch9wavefront6targetE0EEEvT1_.numbered_sgpr, 0
	.set _ZN7rocprim17ROCPRIM_400000_NS6detail17trampoline_kernelINS0_14default_configENS1_25partition_config_selectorILNS1_17partition_subalgoE5EiNS0_10empty_typeEbEEZZNS1_14partition_implILS5_5ELb0ES3_mN6thrust23THRUST_200600_302600_NS6detail15normal_iteratorINSA_10device_ptrIiEEEEPS6_NSA_18transform_iteratorINSB_9not_fun_tI7is_trueIiEEESF_NSA_11use_defaultESM_EENS0_5tupleIJSF_S6_EEENSO_IJSG_SG_EEES6_PlJS6_EEE10hipError_tPvRmT3_T4_T5_T6_T7_T9_mT8_P12ihipStream_tbDpT10_ENKUlT_T0_E_clISt17integral_constantIbLb1EES1B_EEDaS16_S17_EUlS16_E_NS1_11comp_targetILNS1_3genE0ELNS1_11target_archE4294967295ELNS1_3gpuE0ELNS1_3repE0EEENS1_30default_config_static_selectorELNS0_4arch9wavefront6targetE0EEEvT1_.num_named_barrier, 0
	.set _ZN7rocprim17ROCPRIM_400000_NS6detail17trampoline_kernelINS0_14default_configENS1_25partition_config_selectorILNS1_17partition_subalgoE5EiNS0_10empty_typeEbEEZZNS1_14partition_implILS5_5ELb0ES3_mN6thrust23THRUST_200600_302600_NS6detail15normal_iteratorINSA_10device_ptrIiEEEEPS6_NSA_18transform_iteratorINSB_9not_fun_tI7is_trueIiEEESF_NSA_11use_defaultESM_EENS0_5tupleIJSF_S6_EEENSO_IJSG_SG_EEES6_PlJS6_EEE10hipError_tPvRmT3_T4_T5_T6_T7_T9_mT8_P12ihipStream_tbDpT10_ENKUlT_T0_E_clISt17integral_constantIbLb1EES1B_EEDaS16_S17_EUlS16_E_NS1_11comp_targetILNS1_3genE0ELNS1_11target_archE4294967295ELNS1_3gpuE0ELNS1_3repE0EEENS1_30default_config_static_selectorELNS0_4arch9wavefront6targetE0EEEvT1_.private_seg_size, 0
	.set _ZN7rocprim17ROCPRIM_400000_NS6detail17trampoline_kernelINS0_14default_configENS1_25partition_config_selectorILNS1_17partition_subalgoE5EiNS0_10empty_typeEbEEZZNS1_14partition_implILS5_5ELb0ES3_mN6thrust23THRUST_200600_302600_NS6detail15normal_iteratorINSA_10device_ptrIiEEEEPS6_NSA_18transform_iteratorINSB_9not_fun_tI7is_trueIiEEESF_NSA_11use_defaultESM_EENS0_5tupleIJSF_S6_EEENSO_IJSG_SG_EEES6_PlJS6_EEE10hipError_tPvRmT3_T4_T5_T6_T7_T9_mT8_P12ihipStream_tbDpT10_ENKUlT_T0_E_clISt17integral_constantIbLb1EES1B_EEDaS16_S17_EUlS16_E_NS1_11comp_targetILNS1_3genE0ELNS1_11target_archE4294967295ELNS1_3gpuE0ELNS1_3repE0EEENS1_30default_config_static_selectorELNS0_4arch9wavefront6targetE0EEEvT1_.uses_vcc, 0
	.set _ZN7rocprim17ROCPRIM_400000_NS6detail17trampoline_kernelINS0_14default_configENS1_25partition_config_selectorILNS1_17partition_subalgoE5EiNS0_10empty_typeEbEEZZNS1_14partition_implILS5_5ELb0ES3_mN6thrust23THRUST_200600_302600_NS6detail15normal_iteratorINSA_10device_ptrIiEEEEPS6_NSA_18transform_iteratorINSB_9not_fun_tI7is_trueIiEEESF_NSA_11use_defaultESM_EENS0_5tupleIJSF_S6_EEENSO_IJSG_SG_EEES6_PlJS6_EEE10hipError_tPvRmT3_T4_T5_T6_T7_T9_mT8_P12ihipStream_tbDpT10_ENKUlT_T0_E_clISt17integral_constantIbLb1EES1B_EEDaS16_S17_EUlS16_E_NS1_11comp_targetILNS1_3genE0ELNS1_11target_archE4294967295ELNS1_3gpuE0ELNS1_3repE0EEENS1_30default_config_static_selectorELNS0_4arch9wavefront6targetE0EEEvT1_.uses_flat_scratch, 0
	.set _ZN7rocprim17ROCPRIM_400000_NS6detail17trampoline_kernelINS0_14default_configENS1_25partition_config_selectorILNS1_17partition_subalgoE5EiNS0_10empty_typeEbEEZZNS1_14partition_implILS5_5ELb0ES3_mN6thrust23THRUST_200600_302600_NS6detail15normal_iteratorINSA_10device_ptrIiEEEEPS6_NSA_18transform_iteratorINSB_9not_fun_tI7is_trueIiEEESF_NSA_11use_defaultESM_EENS0_5tupleIJSF_S6_EEENSO_IJSG_SG_EEES6_PlJS6_EEE10hipError_tPvRmT3_T4_T5_T6_T7_T9_mT8_P12ihipStream_tbDpT10_ENKUlT_T0_E_clISt17integral_constantIbLb1EES1B_EEDaS16_S17_EUlS16_E_NS1_11comp_targetILNS1_3genE0ELNS1_11target_archE4294967295ELNS1_3gpuE0ELNS1_3repE0EEENS1_30default_config_static_selectorELNS0_4arch9wavefront6targetE0EEEvT1_.has_dyn_sized_stack, 0
	.set _ZN7rocprim17ROCPRIM_400000_NS6detail17trampoline_kernelINS0_14default_configENS1_25partition_config_selectorILNS1_17partition_subalgoE5EiNS0_10empty_typeEbEEZZNS1_14partition_implILS5_5ELb0ES3_mN6thrust23THRUST_200600_302600_NS6detail15normal_iteratorINSA_10device_ptrIiEEEEPS6_NSA_18transform_iteratorINSB_9not_fun_tI7is_trueIiEEESF_NSA_11use_defaultESM_EENS0_5tupleIJSF_S6_EEENSO_IJSG_SG_EEES6_PlJS6_EEE10hipError_tPvRmT3_T4_T5_T6_T7_T9_mT8_P12ihipStream_tbDpT10_ENKUlT_T0_E_clISt17integral_constantIbLb1EES1B_EEDaS16_S17_EUlS16_E_NS1_11comp_targetILNS1_3genE0ELNS1_11target_archE4294967295ELNS1_3gpuE0ELNS1_3repE0EEENS1_30default_config_static_selectorELNS0_4arch9wavefront6targetE0EEEvT1_.has_recursion, 0
	.set _ZN7rocprim17ROCPRIM_400000_NS6detail17trampoline_kernelINS0_14default_configENS1_25partition_config_selectorILNS1_17partition_subalgoE5EiNS0_10empty_typeEbEEZZNS1_14partition_implILS5_5ELb0ES3_mN6thrust23THRUST_200600_302600_NS6detail15normal_iteratorINSA_10device_ptrIiEEEEPS6_NSA_18transform_iteratorINSB_9not_fun_tI7is_trueIiEEESF_NSA_11use_defaultESM_EENS0_5tupleIJSF_S6_EEENSO_IJSG_SG_EEES6_PlJS6_EEE10hipError_tPvRmT3_T4_T5_T6_T7_T9_mT8_P12ihipStream_tbDpT10_ENKUlT_T0_E_clISt17integral_constantIbLb1EES1B_EEDaS16_S17_EUlS16_E_NS1_11comp_targetILNS1_3genE0ELNS1_11target_archE4294967295ELNS1_3gpuE0ELNS1_3repE0EEENS1_30default_config_static_selectorELNS0_4arch9wavefront6targetE0EEEvT1_.has_indirect_call, 0
	.section	.AMDGPU.csdata,"",@progbits
; Kernel info:
; codeLenInByte = 0
; TotalNumSgprs: 0
; NumVgprs: 0
; ScratchSize: 0
; MemoryBound: 0
; FloatMode: 240
; IeeeMode: 1
; LDSByteSize: 0 bytes/workgroup (compile time only)
; SGPRBlocks: 0
; VGPRBlocks: 0
; NumSGPRsForWavesPerEU: 1
; NumVGPRsForWavesPerEU: 1
; Occupancy: 16
; WaveLimiterHint : 0
; COMPUTE_PGM_RSRC2:SCRATCH_EN: 0
; COMPUTE_PGM_RSRC2:USER_SGPR: 2
; COMPUTE_PGM_RSRC2:TRAP_HANDLER: 0
; COMPUTE_PGM_RSRC2:TGID_X_EN: 1
; COMPUTE_PGM_RSRC2:TGID_Y_EN: 0
; COMPUTE_PGM_RSRC2:TGID_Z_EN: 0
; COMPUTE_PGM_RSRC2:TIDIG_COMP_CNT: 0
	.section	.text._ZN7rocprim17ROCPRIM_400000_NS6detail17trampoline_kernelINS0_14default_configENS1_25partition_config_selectorILNS1_17partition_subalgoE5EiNS0_10empty_typeEbEEZZNS1_14partition_implILS5_5ELb0ES3_mN6thrust23THRUST_200600_302600_NS6detail15normal_iteratorINSA_10device_ptrIiEEEEPS6_NSA_18transform_iteratorINSB_9not_fun_tI7is_trueIiEEESF_NSA_11use_defaultESM_EENS0_5tupleIJSF_S6_EEENSO_IJSG_SG_EEES6_PlJS6_EEE10hipError_tPvRmT3_T4_T5_T6_T7_T9_mT8_P12ihipStream_tbDpT10_ENKUlT_T0_E_clISt17integral_constantIbLb1EES1B_EEDaS16_S17_EUlS16_E_NS1_11comp_targetILNS1_3genE5ELNS1_11target_archE942ELNS1_3gpuE9ELNS1_3repE0EEENS1_30default_config_static_selectorELNS0_4arch9wavefront6targetE0EEEvT1_,"axG",@progbits,_ZN7rocprim17ROCPRIM_400000_NS6detail17trampoline_kernelINS0_14default_configENS1_25partition_config_selectorILNS1_17partition_subalgoE5EiNS0_10empty_typeEbEEZZNS1_14partition_implILS5_5ELb0ES3_mN6thrust23THRUST_200600_302600_NS6detail15normal_iteratorINSA_10device_ptrIiEEEEPS6_NSA_18transform_iteratorINSB_9not_fun_tI7is_trueIiEEESF_NSA_11use_defaultESM_EENS0_5tupleIJSF_S6_EEENSO_IJSG_SG_EEES6_PlJS6_EEE10hipError_tPvRmT3_T4_T5_T6_T7_T9_mT8_P12ihipStream_tbDpT10_ENKUlT_T0_E_clISt17integral_constantIbLb1EES1B_EEDaS16_S17_EUlS16_E_NS1_11comp_targetILNS1_3genE5ELNS1_11target_archE942ELNS1_3gpuE9ELNS1_3repE0EEENS1_30default_config_static_selectorELNS0_4arch9wavefront6targetE0EEEvT1_,comdat
	.protected	_ZN7rocprim17ROCPRIM_400000_NS6detail17trampoline_kernelINS0_14default_configENS1_25partition_config_selectorILNS1_17partition_subalgoE5EiNS0_10empty_typeEbEEZZNS1_14partition_implILS5_5ELb0ES3_mN6thrust23THRUST_200600_302600_NS6detail15normal_iteratorINSA_10device_ptrIiEEEEPS6_NSA_18transform_iteratorINSB_9not_fun_tI7is_trueIiEEESF_NSA_11use_defaultESM_EENS0_5tupleIJSF_S6_EEENSO_IJSG_SG_EEES6_PlJS6_EEE10hipError_tPvRmT3_T4_T5_T6_T7_T9_mT8_P12ihipStream_tbDpT10_ENKUlT_T0_E_clISt17integral_constantIbLb1EES1B_EEDaS16_S17_EUlS16_E_NS1_11comp_targetILNS1_3genE5ELNS1_11target_archE942ELNS1_3gpuE9ELNS1_3repE0EEENS1_30default_config_static_selectorELNS0_4arch9wavefront6targetE0EEEvT1_ ; -- Begin function _ZN7rocprim17ROCPRIM_400000_NS6detail17trampoline_kernelINS0_14default_configENS1_25partition_config_selectorILNS1_17partition_subalgoE5EiNS0_10empty_typeEbEEZZNS1_14partition_implILS5_5ELb0ES3_mN6thrust23THRUST_200600_302600_NS6detail15normal_iteratorINSA_10device_ptrIiEEEEPS6_NSA_18transform_iteratorINSB_9not_fun_tI7is_trueIiEEESF_NSA_11use_defaultESM_EENS0_5tupleIJSF_S6_EEENSO_IJSG_SG_EEES6_PlJS6_EEE10hipError_tPvRmT3_T4_T5_T6_T7_T9_mT8_P12ihipStream_tbDpT10_ENKUlT_T0_E_clISt17integral_constantIbLb1EES1B_EEDaS16_S17_EUlS16_E_NS1_11comp_targetILNS1_3genE5ELNS1_11target_archE942ELNS1_3gpuE9ELNS1_3repE0EEENS1_30default_config_static_selectorELNS0_4arch9wavefront6targetE0EEEvT1_
	.globl	_ZN7rocprim17ROCPRIM_400000_NS6detail17trampoline_kernelINS0_14default_configENS1_25partition_config_selectorILNS1_17partition_subalgoE5EiNS0_10empty_typeEbEEZZNS1_14partition_implILS5_5ELb0ES3_mN6thrust23THRUST_200600_302600_NS6detail15normal_iteratorINSA_10device_ptrIiEEEEPS6_NSA_18transform_iteratorINSB_9not_fun_tI7is_trueIiEEESF_NSA_11use_defaultESM_EENS0_5tupleIJSF_S6_EEENSO_IJSG_SG_EEES6_PlJS6_EEE10hipError_tPvRmT3_T4_T5_T6_T7_T9_mT8_P12ihipStream_tbDpT10_ENKUlT_T0_E_clISt17integral_constantIbLb1EES1B_EEDaS16_S17_EUlS16_E_NS1_11comp_targetILNS1_3genE5ELNS1_11target_archE942ELNS1_3gpuE9ELNS1_3repE0EEENS1_30default_config_static_selectorELNS0_4arch9wavefront6targetE0EEEvT1_
	.p2align	8
	.type	_ZN7rocprim17ROCPRIM_400000_NS6detail17trampoline_kernelINS0_14default_configENS1_25partition_config_selectorILNS1_17partition_subalgoE5EiNS0_10empty_typeEbEEZZNS1_14partition_implILS5_5ELb0ES3_mN6thrust23THRUST_200600_302600_NS6detail15normal_iteratorINSA_10device_ptrIiEEEEPS6_NSA_18transform_iteratorINSB_9not_fun_tI7is_trueIiEEESF_NSA_11use_defaultESM_EENS0_5tupleIJSF_S6_EEENSO_IJSG_SG_EEES6_PlJS6_EEE10hipError_tPvRmT3_T4_T5_T6_T7_T9_mT8_P12ihipStream_tbDpT10_ENKUlT_T0_E_clISt17integral_constantIbLb1EES1B_EEDaS16_S17_EUlS16_E_NS1_11comp_targetILNS1_3genE5ELNS1_11target_archE942ELNS1_3gpuE9ELNS1_3repE0EEENS1_30default_config_static_selectorELNS0_4arch9wavefront6targetE0EEEvT1_,@function
_ZN7rocprim17ROCPRIM_400000_NS6detail17trampoline_kernelINS0_14default_configENS1_25partition_config_selectorILNS1_17partition_subalgoE5EiNS0_10empty_typeEbEEZZNS1_14partition_implILS5_5ELb0ES3_mN6thrust23THRUST_200600_302600_NS6detail15normal_iteratorINSA_10device_ptrIiEEEEPS6_NSA_18transform_iteratorINSB_9not_fun_tI7is_trueIiEEESF_NSA_11use_defaultESM_EENS0_5tupleIJSF_S6_EEENSO_IJSG_SG_EEES6_PlJS6_EEE10hipError_tPvRmT3_T4_T5_T6_T7_T9_mT8_P12ihipStream_tbDpT10_ENKUlT_T0_E_clISt17integral_constantIbLb1EES1B_EEDaS16_S17_EUlS16_E_NS1_11comp_targetILNS1_3genE5ELNS1_11target_archE942ELNS1_3gpuE9ELNS1_3repE0EEENS1_30default_config_static_selectorELNS0_4arch9wavefront6targetE0EEEvT1_: ; @_ZN7rocprim17ROCPRIM_400000_NS6detail17trampoline_kernelINS0_14default_configENS1_25partition_config_selectorILNS1_17partition_subalgoE5EiNS0_10empty_typeEbEEZZNS1_14partition_implILS5_5ELb0ES3_mN6thrust23THRUST_200600_302600_NS6detail15normal_iteratorINSA_10device_ptrIiEEEEPS6_NSA_18transform_iteratorINSB_9not_fun_tI7is_trueIiEEESF_NSA_11use_defaultESM_EENS0_5tupleIJSF_S6_EEENSO_IJSG_SG_EEES6_PlJS6_EEE10hipError_tPvRmT3_T4_T5_T6_T7_T9_mT8_P12ihipStream_tbDpT10_ENKUlT_T0_E_clISt17integral_constantIbLb1EES1B_EEDaS16_S17_EUlS16_E_NS1_11comp_targetILNS1_3genE5ELNS1_11target_archE942ELNS1_3gpuE9ELNS1_3repE0EEENS1_30default_config_static_selectorELNS0_4arch9wavefront6targetE0EEEvT1_
; %bb.0:
	.section	.rodata,"a",@progbits
	.p2align	6, 0x0
	.amdhsa_kernel _ZN7rocprim17ROCPRIM_400000_NS6detail17trampoline_kernelINS0_14default_configENS1_25partition_config_selectorILNS1_17partition_subalgoE5EiNS0_10empty_typeEbEEZZNS1_14partition_implILS5_5ELb0ES3_mN6thrust23THRUST_200600_302600_NS6detail15normal_iteratorINSA_10device_ptrIiEEEEPS6_NSA_18transform_iteratorINSB_9not_fun_tI7is_trueIiEEESF_NSA_11use_defaultESM_EENS0_5tupleIJSF_S6_EEENSO_IJSG_SG_EEES6_PlJS6_EEE10hipError_tPvRmT3_T4_T5_T6_T7_T9_mT8_P12ihipStream_tbDpT10_ENKUlT_T0_E_clISt17integral_constantIbLb1EES1B_EEDaS16_S17_EUlS16_E_NS1_11comp_targetILNS1_3genE5ELNS1_11target_archE942ELNS1_3gpuE9ELNS1_3repE0EEENS1_30default_config_static_selectorELNS0_4arch9wavefront6targetE0EEEvT1_
		.amdhsa_group_segment_fixed_size 0
		.amdhsa_private_segment_fixed_size 0
		.amdhsa_kernarg_size 136
		.amdhsa_user_sgpr_count 2
		.amdhsa_user_sgpr_dispatch_ptr 0
		.amdhsa_user_sgpr_queue_ptr 0
		.amdhsa_user_sgpr_kernarg_segment_ptr 1
		.amdhsa_user_sgpr_dispatch_id 0
		.amdhsa_user_sgpr_private_segment_size 0
		.amdhsa_wavefront_size32 1
		.amdhsa_uses_dynamic_stack 0
		.amdhsa_enable_private_segment 0
		.amdhsa_system_sgpr_workgroup_id_x 1
		.amdhsa_system_sgpr_workgroup_id_y 0
		.amdhsa_system_sgpr_workgroup_id_z 0
		.amdhsa_system_sgpr_workgroup_info 0
		.amdhsa_system_vgpr_workitem_id 0
		.amdhsa_next_free_vgpr 1
		.amdhsa_next_free_sgpr 1
		.amdhsa_reserve_vcc 0
		.amdhsa_float_round_mode_32 0
		.amdhsa_float_round_mode_16_64 0
		.amdhsa_float_denorm_mode_32 3
		.amdhsa_float_denorm_mode_16_64 3
		.amdhsa_fp16_overflow 0
		.amdhsa_workgroup_processor_mode 1
		.amdhsa_memory_ordered 1
		.amdhsa_forward_progress 1
		.amdhsa_inst_pref_size 0
		.amdhsa_round_robin_scheduling 0
		.amdhsa_exception_fp_ieee_invalid_op 0
		.amdhsa_exception_fp_denorm_src 0
		.amdhsa_exception_fp_ieee_div_zero 0
		.amdhsa_exception_fp_ieee_overflow 0
		.amdhsa_exception_fp_ieee_underflow 0
		.amdhsa_exception_fp_ieee_inexact 0
		.amdhsa_exception_int_div_zero 0
	.end_amdhsa_kernel
	.section	.text._ZN7rocprim17ROCPRIM_400000_NS6detail17trampoline_kernelINS0_14default_configENS1_25partition_config_selectorILNS1_17partition_subalgoE5EiNS0_10empty_typeEbEEZZNS1_14partition_implILS5_5ELb0ES3_mN6thrust23THRUST_200600_302600_NS6detail15normal_iteratorINSA_10device_ptrIiEEEEPS6_NSA_18transform_iteratorINSB_9not_fun_tI7is_trueIiEEESF_NSA_11use_defaultESM_EENS0_5tupleIJSF_S6_EEENSO_IJSG_SG_EEES6_PlJS6_EEE10hipError_tPvRmT3_T4_T5_T6_T7_T9_mT8_P12ihipStream_tbDpT10_ENKUlT_T0_E_clISt17integral_constantIbLb1EES1B_EEDaS16_S17_EUlS16_E_NS1_11comp_targetILNS1_3genE5ELNS1_11target_archE942ELNS1_3gpuE9ELNS1_3repE0EEENS1_30default_config_static_selectorELNS0_4arch9wavefront6targetE0EEEvT1_,"axG",@progbits,_ZN7rocprim17ROCPRIM_400000_NS6detail17trampoline_kernelINS0_14default_configENS1_25partition_config_selectorILNS1_17partition_subalgoE5EiNS0_10empty_typeEbEEZZNS1_14partition_implILS5_5ELb0ES3_mN6thrust23THRUST_200600_302600_NS6detail15normal_iteratorINSA_10device_ptrIiEEEEPS6_NSA_18transform_iteratorINSB_9not_fun_tI7is_trueIiEEESF_NSA_11use_defaultESM_EENS0_5tupleIJSF_S6_EEENSO_IJSG_SG_EEES6_PlJS6_EEE10hipError_tPvRmT3_T4_T5_T6_T7_T9_mT8_P12ihipStream_tbDpT10_ENKUlT_T0_E_clISt17integral_constantIbLb1EES1B_EEDaS16_S17_EUlS16_E_NS1_11comp_targetILNS1_3genE5ELNS1_11target_archE942ELNS1_3gpuE9ELNS1_3repE0EEENS1_30default_config_static_selectorELNS0_4arch9wavefront6targetE0EEEvT1_,comdat
.Lfunc_end1509:
	.size	_ZN7rocprim17ROCPRIM_400000_NS6detail17trampoline_kernelINS0_14default_configENS1_25partition_config_selectorILNS1_17partition_subalgoE5EiNS0_10empty_typeEbEEZZNS1_14partition_implILS5_5ELb0ES3_mN6thrust23THRUST_200600_302600_NS6detail15normal_iteratorINSA_10device_ptrIiEEEEPS6_NSA_18transform_iteratorINSB_9not_fun_tI7is_trueIiEEESF_NSA_11use_defaultESM_EENS0_5tupleIJSF_S6_EEENSO_IJSG_SG_EEES6_PlJS6_EEE10hipError_tPvRmT3_T4_T5_T6_T7_T9_mT8_P12ihipStream_tbDpT10_ENKUlT_T0_E_clISt17integral_constantIbLb1EES1B_EEDaS16_S17_EUlS16_E_NS1_11comp_targetILNS1_3genE5ELNS1_11target_archE942ELNS1_3gpuE9ELNS1_3repE0EEENS1_30default_config_static_selectorELNS0_4arch9wavefront6targetE0EEEvT1_, .Lfunc_end1509-_ZN7rocprim17ROCPRIM_400000_NS6detail17trampoline_kernelINS0_14default_configENS1_25partition_config_selectorILNS1_17partition_subalgoE5EiNS0_10empty_typeEbEEZZNS1_14partition_implILS5_5ELb0ES3_mN6thrust23THRUST_200600_302600_NS6detail15normal_iteratorINSA_10device_ptrIiEEEEPS6_NSA_18transform_iteratorINSB_9not_fun_tI7is_trueIiEEESF_NSA_11use_defaultESM_EENS0_5tupleIJSF_S6_EEENSO_IJSG_SG_EEES6_PlJS6_EEE10hipError_tPvRmT3_T4_T5_T6_T7_T9_mT8_P12ihipStream_tbDpT10_ENKUlT_T0_E_clISt17integral_constantIbLb1EES1B_EEDaS16_S17_EUlS16_E_NS1_11comp_targetILNS1_3genE5ELNS1_11target_archE942ELNS1_3gpuE9ELNS1_3repE0EEENS1_30default_config_static_selectorELNS0_4arch9wavefront6targetE0EEEvT1_
                                        ; -- End function
	.set _ZN7rocprim17ROCPRIM_400000_NS6detail17trampoline_kernelINS0_14default_configENS1_25partition_config_selectorILNS1_17partition_subalgoE5EiNS0_10empty_typeEbEEZZNS1_14partition_implILS5_5ELb0ES3_mN6thrust23THRUST_200600_302600_NS6detail15normal_iteratorINSA_10device_ptrIiEEEEPS6_NSA_18transform_iteratorINSB_9not_fun_tI7is_trueIiEEESF_NSA_11use_defaultESM_EENS0_5tupleIJSF_S6_EEENSO_IJSG_SG_EEES6_PlJS6_EEE10hipError_tPvRmT3_T4_T5_T6_T7_T9_mT8_P12ihipStream_tbDpT10_ENKUlT_T0_E_clISt17integral_constantIbLb1EES1B_EEDaS16_S17_EUlS16_E_NS1_11comp_targetILNS1_3genE5ELNS1_11target_archE942ELNS1_3gpuE9ELNS1_3repE0EEENS1_30default_config_static_selectorELNS0_4arch9wavefront6targetE0EEEvT1_.num_vgpr, 0
	.set _ZN7rocprim17ROCPRIM_400000_NS6detail17trampoline_kernelINS0_14default_configENS1_25partition_config_selectorILNS1_17partition_subalgoE5EiNS0_10empty_typeEbEEZZNS1_14partition_implILS5_5ELb0ES3_mN6thrust23THRUST_200600_302600_NS6detail15normal_iteratorINSA_10device_ptrIiEEEEPS6_NSA_18transform_iteratorINSB_9not_fun_tI7is_trueIiEEESF_NSA_11use_defaultESM_EENS0_5tupleIJSF_S6_EEENSO_IJSG_SG_EEES6_PlJS6_EEE10hipError_tPvRmT3_T4_T5_T6_T7_T9_mT8_P12ihipStream_tbDpT10_ENKUlT_T0_E_clISt17integral_constantIbLb1EES1B_EEDaS16_S17_EUlS16_E_NS1_11comp_targetILNS1_3genE5ELNS1_11target_archE942ELNS1_3gpuE9ELNS1_3repE0EEENS1_30default_config_static_selectorELNS0_4arch9wavefront6targetE0EEEvT1_.num_agpr, 0
	.set _ZN7rocprim17ROCPRIM_400000_NS6detail17trampoline_kernelINS0_14default_configENS1_25partition_config_selectorILNS1_17partition_subalgoE5EiNS0_10empty_typeEbEEZZNS1_14partition_implILS5_5ELb0ES3_mN6thrust23THRUST_200600_302600_NS6detail15normal_iteratorINSA_10device_ptrIiEEEEPS6_NSA_18transform_iteratorINSB_9not_fun_tI7is_trueIiEEESF_NSA_11use_defaultESM_EENS0_5tupleIJSF_S6_EEENSO_IJSG_SG_EEES6_PlJS6_EEE10hipError_tPvRmT3_T4_T5_T6_T7_T9_mT8_P12ihipStream_tbDpT10_ENKUlT_T0_E_clISt17integral_constantIbLb1EES1B_EEDaS16_S17_EUlS16_E_NS1_11comp_targetILNS1_3genE5ELNS1_11target_archE942ELNS1_3gpuE9ELNS1_3repE0EEENS1_30default_config_static_selectorELNS0_4arch9wavefront6targetE0EEEvT1_.numbered_sgpr, 0
	.set _ZN7rocprim17ROCPRIM_400000_NS6detail17trampoline_kernelINS0_14default_configENS1_25partition_config_selectorILNS1_17partition_subalgoE5EiNS0_10empty_typeEbEEZZNS1_14partition_implILS5_5ELb0ES3_mN6thrust23THRUST_200600_302600_NS6detail15normal_iteratorINSA_10device_ptrIiEEEEPS6_NSA_18transform_iteratorINSB_9not_fun_tI7is_trueIiEEESF_NSA_11use_defaultESM_EENS0_5tupleIJSF_S6_EEENSO_IJSG_SG_EEES6_PlJS6_EEE10hipError_tPvRmT3_T4_T5_T6_T7_T9_mT8_P12ihipStream_tbDpT10_ENKUlT_T0_E_clISt17integral_constantIbLb1EES1B_EEDaS16_S17_EUlS16_E_NS1_11comp_targetILNS1_3genE5ELNS1_11target_archE942ELNS1_3gpuE9ELNS1_3repE0EEENS1_30default_config_static_selectorELNS0_4arch9wavefront6targetE0EEEvT1_.num_named_barrier, 0
	.set _ZN7rocprim17ROCPRIM_400000_NS6detail17trampoline_kernelINS0_14default_configENS1_25partition_config_selectorILNS1_17partition_subalgoE5EiNS0_10empty_typeEbEEZZNS1_14partition_implILS5_5ELb0ES3_mN6thrust23THRUST_200600_302600_NS6detail15normal_iteratorINSA_10device_ptrIiEEEEPS6_NSA_18transform_iteratorINSB_9not_fun_tI7is_trueIiEEESF_NSA_11use_defaultESM_EENS0_5tupleIJSF_S6_EEENSO_IJSG_SG_EEES6_PlJS6_EEE10hipError_tPvRmT3_T4_T5_T6_T7_T9_mT8_P12ihipStream_tbDpT10_ENKUlT_T0_E_clISt17integral_constantIbLb1EES1B_EEDaS16_S17_EUlS16_E_NS1_11comp_targetILNS1_3genE5ELNS1_11target_archE942ELNS1_3gpuE9ELNS1_3repE0EEENS1_30default_config_static_selectorELNS0_4arch9wavefront6targetE0EEEvT1_.private_seg_size, 0
	.set _ZN7rocprim17ROCPRIM_400000_NS6detail17trampoline_kernelINS0_14default_configENS1_25partition_config_selectorILNS1_17partition_subalgoE5EiNS0_10empty_typeEbEEZZNS1_14partition_implILS5_5ELb0ES3_mN6thrust23THRUST_200600_302600_NS6detail15normal_iteratorINSA_10device_ptrIiEEEEPS6_NSA_18transform_iteratorINSB_9not_fun_tI7is_trueIiEEESF_NSA_11use_defaultESM_EENS0_5tupleIJSF_S6_EEENSO_IJSG_SG_EEES6_PlJS6_EEE10hipError_tPvRmT3_T4_T5_T6_T7_T9_mT8_P12ihipStream_tbDpT10_ENKUlT_T0_E_clISt17integral_constantIbLb1EES1B_EEDaS16_S17_EUlS16_E_NS1_11comp_targetILNS1_3genE5ELNS1_11target_archE942ELNS1_3gpuE9ELNS1_3repE0EEENS1_30default_config_static_selectorELNS0_4arch9wavefront6targetE0EEEvT1_.uses_vcc, 0
	.set _ZN7rocprim17ROCPRIM_400000_NS6detail17trampoline_kernelINS0_14default_configENS1_25partition_config_selectorILNS1_17partition_subalgoE5EiNS0_10empty_typeEbEEZZNS1_14partition_implILS5_5ELb0ES3_mN6thrust23THRUST_200600_302600_NS6detail15normal_iteratorINSA_10device_ptrIiEEEEPS6_NSA_18transform_iteratorINSB_9not_fun_tI7is_trueIiEEESF_NSA_11use_defaultESM_EENS0_5tupleIJSF_S6_EEENSO_IJSG_SG_EEES6_PlJS6_EEE10hipError_tPvRmT3_T4_T5_T6_T7_T9_mT8_P12ihipStream_tbDpT10_ENKUlT_T0_E_clISt17integral_constantIbLb1EES1B_EEDaS16_S17_EUlS16_E_NS1_11comp_targetILNS1_3genE5ELNS1_11target_archE942ELNS1_3gpuE9ELNS1_3repE0EEENS1_30default_config_static_selectorELNS0_4arch9wavefront6targetE0EEEvT1_.uses_flat_scratch, 0
	.set _ZN7rocprim17ROCPRIM_400000_NS6detail17trampoline_kernelINS0_14default_configENS1_25partition_config_selectorILNS1_17partition_subalgoE5EiNS0_10empty_typeEbEEZZNS1_14partition_implILS5_5ELb0ES3_mN6thrust23THRUST_200600_302600_NS6detail15normal_iteratorINSA_10device_ptrIiEEEEPS6_NSA_18transform_iteratorINSB_9not_fun_tI7is_trueIiEEESF_NSA_11use_defaultESM_EENS0_5tupleIJSF_S6_EEENSO_IJSG_SG_EEES6_PlJS6_EEE10hipError_tPvRmT3_T4_T5_T6_T7_T9_mT8_P12ihipStream_tbDpT10_ENKUlT_T0_E_clISt17integral_constantIbLb1EES1B_EEDaS16_S17_EUlS16_E_NS1_11comp_targetILNS1_3genE5ELNS1_11target_archE942ELNS1_3gpuE9ELNS1_3repE0EEENS1_30default_config_static_selectorELNS0_4arch9wavefront6targetE0EEEvT1_.has_dyn_sized_stack, 0
	.set _ZN7rocprim17ROCPRIM_400000_NS6detail17trampoline_kernelINS0_14default_configENS1_25partition_config_selectorILNS1_17partition_subalgoE5EiNS0_10empty_typeEbEEZZNS1_14partition_implILS5_5ELb0ES3_mN6thrust23THRUST_200600_302600_NS6detail15normal_iteratorINSA_10device_ptrIiEEEEPS6_NSA_18transform_iteratorINSB_9not_fun_tI7is_trueIiEEESF_NSA_11use_defaultESM_EENS0_5tupleIJSF_S6_EEENSO_IJSG_SG_EEES6_PlJS6_EEE10hipError_tPvRmT3_T4_T5_T6_T7_T9_mT8_P12ihipStream_tbDpT10_ENKUlT_T0_E_clISt17integral_constantIbLb1EES1B_EEDaS16_S17_EUlS16_E_NS1_11comp_targetILNS1_3genE5ELNS1_11target_archE942ELNS1_3gpuE9ELNS1_3repE0EEENS1_30default_config_static_selectorELNS0_4arch9wavefront6targetE0EEEvT1_.has_recursion, 0
	.set _ZN7rocprim17ROCPRIM_400000_NS6detail17trampoline_kernelINS0_14default_configENS1_25partition_config_selectorILNS1_17partition_subalgoE5EiNS0_10empty_typeEbEEZZNS1_14partition_implILS5_5ELb0ES3_mN6thrust23THRUST_200600_302600_NS6detail15normal_iteratorINSA_10device_ptrIiEEEEPS6_NSA_18transform_iteratorINSB_9not_fun_tI7is_trueIiEEESF_NSA_11use_defaultESM_EENS0_5tupleIJSF_S6_EEENSO_IJSG_SG_EEES6_PlJS6_EEE10hipError_tPvRmT3_T4_T5_T6_T7_T9_mT8_P12ihipStream_tbDpT10_ENKUlT_T0_E_clISt17integral_constantIbLb1EES1B_EEDaS16_S17_EUlS16_E_NS1_11comp_targetILNS1_3genE5ELNS1_11target_archE942ELNS1_3gpuE9ELNS1_3repE0EEENS1_30default_config_static_selectorELNS0_4arch9wavefront6targetE0EEEvT1_.has_indirect_call, 0
	.section	.AMDGPU.csdata,"",@progbits
; Kernel info:
; codeLenInByte = 0
; TotalNumSgprs: 0
; NumVgprs: 0
; ScratchSize: 0
; MemoryBound: 0
; FloatMode: 240
; IeeeMode: 1
; LDSByteSize: 0 bytes/workgroup (compile time only)
; SGPRBlocks: 0
; VGPRBlocks: 0
; NumSGPRsForWavesPerEU: 1
; NumVGPRsForWavesPerEU: 1
; Occupancy: 16
; WaveLimiterHint : 0
; COMPUTE_PGM_RSRC2:SCRATCH_EN: 0
; COMPUTE_PGM_RSRC2:USER_SGPR: 2
; COMPUTE_PGM_RSRC2:TRAP_HANDLER: 0
; COMPUTE_PGM_RSRC2:TGID_X_EN: 1
; COMPUTE_PGM_RSRC2:TGID_Y_EN: 0
; COMPUTE_PGM_RSRC2:TGID_Z_EN: 0
; COMPUTE_PGM_RSRC2:TIDIG_COMP_CNT: 0
	.section	.text._ZN7rocprim17ROCPRIM_400000_NS6detail17trampoline_kernelINS0_14default_configENS1_25partition_config_selectorILNS1_17partition_subalgoE5EiNS0_10empty_typeEbEEZZNS1_14partition_implILS5_5ELb0ES3_mN6thrust23THRUST_200600_302600_NS6detail15normal_iteratorINSA_10device_ptrIiEEEEPS6_NSA_18transform_iteratorINSB_9not_fun_tI7is_trueIiEEESF_NSA_11use_defaultESM_EENS0_5tupleIJSF_S6_EEENSO_IJSG_SG_EEES6_PlJS6_EEE10hipError_tPvRmT3_T4_T5_T6_T7_T9_mT8_P12ihipStream_tbDpT10_ENKUlT_T0_E_clISt17integral_constantIbLb1EES1B_EEDaS16_S17_EUlS16_E_NS1_11comp_targetILNS1_3genE4ELNS1_11target_archE910ELNS1_3gpuE8ELNS1_3repE0EEENS1_30default_config_static_selectorELNS0_4arch9wavefront6targetE0EEEvT1_,"axG",@progbits,_ZN7rocprim17ROCPRIM_400000_NS6detail17trampoline_kernelINS0_14default_configENS1_25partition_config_selectorILNS1_17partition_subalgoE5EiNS0_10empty_typeEbEEZZNS1_14partition_implILS5_5ELb0ES3_mN6thrust23THRUST_200600_302600_NS6detail15normal_iteratorINSA_10device_ptrIiEEEEPS6_NSA_18transform_iteratorINSB_9not_fun_tI7is_trueIiEEESF_NSA_11use_defaultESM_EENS0_5tupleIJSF_S6_EEENSO_IJSG_SG_EEES6_PlJS6_EEE10hipError_tPvRmT3_T4_T5_T6_T7_T9_mT8_P12ihipStream_tbDpT10_ENKUlT_T0_E_clISt17integral_constantIbLb1EES1B_EEDaS16_S17_EUlS16_E_NS1_11comp_targetILNS1_3genE4ELNS1_11target_archE910ELNS1_3gpuE8ELNS1_3repE0EEENS1_30default_config_static_selectorELNS0_4arch9wavefront6targetE0EEEvT1_,comdat
	.protected	_ZN7rocprim17ROCPRIM_400000_NS6detail17trampoline_kernelINS0_14default_configENS1_25partition_config_selectorILNS1_17partition_subalgoE5EiNS0_10empty_typeEbEEZZNS1_14partition_implILS5_5ELb0ES3_mN6thrust23THRUST_200600_302600_NS6detail15normal_iteratorINSA_10device_ptrIiEEEEPS6_NSA_18transform_iteratorINSB_9not_fun_tI7is_trueIiEEESF_NSA_11use_defaultESM_EENS0_5tupleIJSF_S6_EEENSO_IJSG_SG_EEES6_PlJS6_EEE10hipError_tPvRmT3_T4_T5_T6_T7_T9_mT8_P12ihipStream_tbDpT10_ENKUlT_T0_E_clISt17integral_constantIbLb1EES1B_EEDaS16_S17_EUlS16_E_NS1_11comp_targetILNS1_3genE4ELNS1_11target_archE910ELNS1_3gpuE8ELNS1_3repE0EEENS1_30default_config_static_selectorELNS0_4arch9wavefront6targetE0EEEvT1_ ; -- Begin function _ZN7rocprim17ROCPRIM_400000_NS6detail17trampoline_kernelINS0_14default_configENS1_25partition_config_selectorILNS1_17partition_subalgoE5EiNS0_10empty_typeEbEEZZNS1_14partition_implILS5_5ELb0ES3_mN6thrust23THRUST_200600_302600_NS6detail15normal_iteratorINSA_10device_ptrIiEEEEPS6_NSA_18transform_iteratorINSB_9not_fun_tI7is_trueIiEEESF_NSA_11use_defaultESM_EENS0_5tupleIJSF_S6_EEENSO_IJSG_SG_EEES6_PlJS6_EEE10hipError_tPvRmT3_T4_T5_T6_T7_T9_mT8_P12ihipStream_tbDpT10_ENKUlT_T0_E_clISt17integral_constantIbLb1EES1B_EEDaS16_S17_EUlS16_E_NS1_11comp_targetILNS1_3genE4ELNS1_11target_archE910ELNS1_3gpuE8ELNS1_3repE0EEENS1_30default_config_static_selectorELNS0_4arch9wavefront6targetE0EEEvT1_
	.globl	_ZN7rocprim17ROCPRIM_400000_NS6detail17trampoline_kernelINS0_14default_configENS1_25partition_config_selectorILNS1_17partition_subalgoE5EiNS0_10empty_typeEbEEZZNS1_14partition_implILS5_5ELb0ES3_mN6thrust23THRUST_200600_302600_NS6detail15normal_iteratorINSA_10device_ptrIiEEEEPS6_NSA_18transform_iteratorINSB_9not_fun_tI7is_trueIiEEESF_NSA_11use_defaultESM_EENS0_5tupleIJSF_S6_EEENSO_IJSG_SG_EEES6_PlJS6_EEE10hipError_tPvRmT3_T4_T5_T6_T7_T9_mT8_P12ihipStream_tbDpT10_ENKUlT_T0_E_clISt17integral_constantIbLb1EES1B_EEDaS16_S17_EUlS16_E_NS1_11comp_targetILNS1_3genE4ELNS1_11target_archE910ELNS1_3gpuE8ELNS1_3repE0EEENS1_30default_config_static_selectorELNS0_4arch9wavefront6targetE0EEEvT1_
	.p2align	8
	.type	_ZN7rocprim17ROCPRIM_400000_NS6detail17trampoline_kernelINS0_14default_configENS1_25partition_config_selectorILNS1_17partition_subalgoE5EiNS0_10empty_typeEbEEZZNS1_14partition_implILS5_5ELb0ES3_mN6thrust23THRUST_200600_302600_NS6detail15normal_iteratorINSA_10device_ptrIiEEEEPS6_NSA_18transform_iteratorINSB_9not_fun_tI7is_trueIiEEESF_NSA_11use_defaultESM_EENS0_5tupleIJSF_S6_EEENSO_IJSG_SG_EEES6_PlJS6_EEE10hipError_tPvRmT3_T4_T5_T6_T7_T9_mT8_P12ihipStream_tbDpT10_ENKUlT_T0_E_clISt17integral_constantIbLb1EES1B_EEDaS16_S17_EUlS16_E_NS1_11comp_targetILNS1_3genE4ELNS1_11target_archE910ELNS1_3gpuE8ELNS1_3repE0EEENS1_30default_config_static_selectorELNS0_4arch9wavefront6targetE0EEEvT1_,@function
_ZN7rocprim17ROCPRIM_400000_NS6detail17trampoline_kernelINS0_14default_configENS1_25partition_config_selectorILNS1_17partition_subalgoE5EiNS0_10empty_typeEbEEZZNS1_14partition_implILS5_5ELb0ES3_mN6thrust23THRUST_200600_302600_NS6detail15normal_iteratorINSA_10device_ptrIiEEEEPS6_NSA_18transform_iteratorINSB_9not_fun_tI7is_trueIiEEESF_NSA_11use_defaultESM_EENS0_5tupleIJSF_S6_EEENSO_IJSG_SG_EEES6_PlJS6_EEE10hipError_tPvRmT3_T4_T5_T6_T7_T9_mT8_P12ihipStream_tbDpT10_ENKUlT_T0_E_clISt17integral_constantIbLb1EES1B_EEDaS16_S17_EUlS16_E_NS1_11comp_targetILNS1_3genE4ELNS1_11target_archE910ELNS1_3gpuE8ELNS1_3repE0EEENS1_30default_config_static_selectorELNS0_4arch9wavefront6targetE0EEEvT1_: ; @_ZN7rocprim17ROCPRIM_400000_NS6detail17trampoline_kernelINS0_14default_configENS1_25partition_config_selectorILNS1_17partition_subalgoE5EiNS0_10empty_typeEbEEZZNS1_14partition_implILS5_5ELb0ES3_mN6thrust23THRUST_200600_302600_NS6detail15normal_iteratorINSA_10device_ptrIiEEEEPS6_NSA_18transform_iteratorINSB_9not_fun_tI7is_trueIiEEESF_NSA_11use_defaultESM_EENS0_5tupleIJSF_S6_EEENSO_IJSG_SG_EEES6_PlJS6_EEE10hipError_tPvRmT3_T4_T5_T6_T7_T9_mT8_P12ihipStream_tbDpT10_ENKUlT_T0_E_clISt17integral_constantIbLb1EES1B_EEDaS16_S17_EUlS16_E_NS1_11comp_targetILNS1_3genE4ELNS1_11target_archE910ELNS1_3gpuE8ELNS1_3repE0EEENS1_30default_config_static_selectorELNS0_4arch9wavefront6targetE0EEEvT1_
; %bb.0:
	.section	.rodata,"a",@progbits
	.p2align	6, 0x0
	.amdhsa_kernel _ZN7rocprim17ROCPRIM_400000_NS6detail17trampoline_kernelINS0_14default_configENS1_25partition_config_selectorILNS1_17partition_subalgoE5EiNS0_10empty_typeEbEEZZNS1_14partition_implILS5_5ELb0ES3_mN6thrust23THRUST_200600_302600_NS6detail15normal_iteratorINSA_10device_ptrIiEEEEPS6_NSA_18transform_iteratorINSB_9not_fun_tI7is_trueIiEEESF_NSA_11use_defaultESM_EENS0_5tupleIJSF_S6_EEENSO_IJSG_SG_EEES6_PlJS6_EEE10hipError_tPvRmT3_T4_T5_T6_T7_T9_mT8_P12ihipStream_tbDpT10_ENKUlT_T0_E_clISt17integral_constantIbLb1EES1B_EEDaS16_S17_EUlS16_E_NS1_11comp_targetILNS1_3genE4ELNS1_11target_archE910ELNS1_3gpuE8ELNS1_3repE0EEENS1_30default_config_static_selectorELNS0_4arch9wavefront6targetE0EEEvT1_
		.amdhsa_group_segment_fixed_size 0
		.amdhsa_private_segment_fixed_size 0
		.amdhsa_kernarg_size 136
		.amdhsa_user_sgpr_count 2
		.amdhsa_user_sgpr_dispatch_ptr 0
		.amdhsa_user_sgpr_queue_ptr 0
		.amdhsa_user_sgpr_kernarg_segment_ptr 1
		.amdhsa_user_sgpr_dispatch_id 0
		.amdhsa_user_sgpr_private_segment_size 0
		.amdhsa_wavefront_size32 1
		.amdhsa_uses_dynamic_stack 0
		.amdhsa_enable_private_segment 0
		.amdhsa_system_sgpr_workgroup_id_x 1
		.amdhsa_system_sgpr_workgroup_id_y 0
		.amdhsa_system_sgpr_workgroup_id_z 0
		.amdhsa_system_sgpr_workgroup_info 0
		.amdhsa_system_vgpr_workitem_id 0
		.amdhsa_next_free_vgpr 1
		.amdhsa_next_free_sgpr 1
		.amdhsa_reserve_vcc 0
		.amdhsa_float_round_mode_32 0
		.amdhsa_float_round_mode_16_64 0
		.amdhsa_float_denorm_mode_32 3
		.amdhsa_float_denorm_mode_16_64 3
		.amdhsa_fp16_overflow 0
		.amdhsa_workgroup_processor_mode 1
		.amdhsa_memory_ordered 1
		.amdhsa_forward_progress 1
		.amdhsa_inst_pref_size 0
		.amdhsa_round_robin_scheduling 0
		.amdhsa_exception_fp_ieee_invalid_op 0
		.amdhsa_exception_fp_denorm_src 0
		.amdhsa_exception_fp_ieee_div_zero 0
		.amdhsa_exception_fp_ieee_overflow 0
		.amdhsa_exception_fp_ieee_underflow 0
		.amdhsa_exception_fp_ieee_inexact 0
		.amdhsa_exception_int_div_zero 0
	.end_amdhsa_kernel
	.section	.text._ZN7rocprim17ROCPRIM_400000_NS6detail17trampoline_kernelINS0_14default_configENS1_25partition_config_selectorILNS1_17partition_subalgoE5EiNS0_10empty_typeEbEEZZNS1_14partition_implILS5_5ELb0ES3_mN6thrust23THRUST_200600_302600_NS6detail15normal_iteratorINSA_10device_ptrIiEEEEPS6_NSA_18transform_iteratorINSB_9not_fun_tI7is_trueIiEEESF_NSA_11use_defaultESM_EENS0_5tupleIJSF_S6_EEENSO_IJSG_SG_EEES6_PlJS6_EEE10hipError_tPvRmT3_T4_T5_T6_T7_T9_mT8_P12ihipStream_tbDpT10_ENKUlT_T0_E_clISt17integral_constantIbLb1EES1B_EEDaS16_S17_EUlS16_E_NS1_11comp_targetILNS1_3genE4ELNS1_11target_archE910ELNS1_3gpuE8ELNS1_3repE0EEENS1_30default_config_static_selectorELNS0_4arch9wavefront6targetE0EEEvT1_,"axG",@progbits,_ZN7rocprim17ROCPRIM_400000_NS6detail17trampoline_kernelINS0_14default_configENS1_25partition_config_selectorILNS1_17partition_subalgoE5EiNS0_10empty_typeEbEEZZNS1_14partition_implILS5_5ELb0ES3_mN6thrust23THRUST_200600_302600_NS6detail15normal_iteratorINSA_10device_ptrIiEEEEPS6_NSA_18transform_iteratorINSB_9not_fun_tI7is_trueIiEEESF_NSA_11use_defaultESM_EENS0_5tupleIJSF_S6_EEENSO_IJSG_SG_EEES6_PlJS6_EEE10hipError_tPvRmT3_T4_T5_T6_T7_T9_mT8_P12ihipStream_tbDpT10_ENKUlT_T0_E_clISt17integral_constantIbLb1EES1B_EEDaS16_S17_EUlS16_E_NS1_11comp_targetILNS1_3genE4ELNS1_11target_archE910ELNS1_3gpuE8ELNS1_3repE0EEENS1_30default_config_static_selectorELNS0_4arch9wavefront6targetE0EEEvT1_,comdat
.Lfunc_end1510:
	.size	_ZN7rocprim17ROCPRIM_400000_NS6detail17trampoline_kernelINS0_14default_configENS1_25partition_config_selectorILNS1_17partition_subalgoE5EiNS0_10empty_typeEbEEZZNS1_14partition_implILS5_5ELb0ES3_mN6thrust23THRUST_200600_302600_NS6detail15normal_iteratorINSA_10device_ptrIiEEEEPS6_NSA_18transform_iteratorINSB_9not_fun_tI7is_trueIiEEESF_NSA_11use_defaultESM_EENS0_5tupleIJSF_S6_EEENSO_IJSG_SG_EEES6_PlJS6_EEE10hipError_tPvRmT3_T4_T5_T6_T7_T9_mT8_P12ihipStream_tbDpT10_ENKUlT_T0_E_clISt17integral_constantIbLb1EES1B_EEDaS16_S17_EUlS16_E_NS1_11comp_targetILNS1_3genE4ELNS1_11target_archE910ELNS1_3gpuE8ELNS1_3repE0EEENS1_30default_config_static_selectorELNS0_4arch9wavefront6targetE0EEEvT1_, .Lfunc_end1510-_ZN7rocprim17ROCPRIM_400000_NS6detail17trampoline_kernelINS0_14default_configENS1_25partition_config_selectorILNS1_17partition_subalgoE5EiNS0_10empty_typeEbEEZZNS1_14partition_implILS5_5ELb0ES3_mN6thrust23THRUST_200600_302600_NS6detail15normal_iteratorINSA_10device_ptrIiEEEEPS6_NSA_18transform_iteratorINSB_9not_fun_tI7is_trueIiEEESF_NSA_11use_defaultESM_EENS0_5tupleIJSF_S6_EEENSO_IJSG_SG_EEES6_PlJS6_EEE10hipError_tPvRmT3_T4_T5_T6_T7_T9_mT8_P12ihipStream_tbDpT10_ENKUlT_T0_E_clISt17integral_constantIbLb1EES1B_EEDaS16_S17_EUlS16_E_NS1_11comp_targetILNS1_3genE4ELNS1_11target_archE910ELNS1_3gpuE8ELNS1_3repE0EEENS1_30default_config_static_selectorELNS0_4arch9wavefront6targetE0EEEvT1_
                                        ; -- End function
	.set _ZN7rocprim17ROCPRIM_400000_NS6detail17trampoline_kernelINS0_14default_configENS1_25partition_config_selectorILNS1_17partition_subalgoE5EiNS0_10empty_typeEbEEZZNS1_14partition_implILS5_5ELb0ES3_mN6thrust23THRUST_200600_302600_NS6detail15normal_iteratorINSA_10device_ptrIiEEEEPS6_NSA_18transform_iteratorINSB_9not_fun_tI7is_trueIiEEESF_NSA_11use_defaultESM_EENS0_5tupleIJSF_S6_EEENSO_IJSG_SG_EEES6_PlJS6_EEE10hipError_tPvRmT3_T4_T5_T6_T7_T9_mT8_P12ihipStream_tbDpT10_ENKUlT_T0_E_clISt17integral_constantIbLb1EES1B_EEDaS16_S17_EUlS16_E_NS1_11comp_targetILNS1_3genE4ELNS1_11target_archE910ELNS1_3gpuE8ELNS1_3repE0EEENS1_30default_config_static_selectorELNS0_4arch9wavefront6targetE0EEEvT1_.num_vgpr, 0
	.set _ZN7rocprim17ROCPRIM_400000_NS6detail17trampoline_kernelINS0_14default_configENS1_25partition_config_selectorILNS1_17partition_subalgoE5EiNS0_10empty_typeEbEEZZNS1_14partition_implILS5_5ELb0ES3_mN6thrust23THRUST_200600_302600_NS6detail15normal_iteratorINSA_10device_ptrIiEEEEPS6_NSA_18transform_iteratorINSB_9not_fun_tI7is_trueIiEEESF_NSA_11use_defaultESM_EENS0_5tupleIJSF_S6_EEENSO_IJSG_SG_EEES6_PlJS6_EEE10hipError_tPvRmT3_T4_T5_T6_T7_T9_mT8_P12ihipStream_tbDpT10_ENKUlT_T0_E_clISt17integral_constantIbLb1EES1B_EEDaS16_S17_EUlS16_E_NS1_11comp_targetILNS1_3genE4ELNS1_11target_archE910ELNS1_3gpuE8ELNS1_3repE0EEENS1_30default_config_static_selectorELNS0_4arch9wavefront6targetE0EEEvT1_.num_agpr, 0
	.set _ZN7rocprim17ROCPRIM_400000_NS6detail17trampoline_kernelINS0_14default_configENS1_25partition_config_selectorILNS1_17partition_subalgoE5EiNS0_10empty_typeEbEEZZNS1_14partition_implILS5_5ELb0ES3_mN6thrust23THRUST_200600_302600_NS6detail15normal_iteratorINSA_10device_ptrIiEEEEPS6_NSA_18transform_iteratorINSB_9not_fun_tI7is_trueIiEEESF_NSA_11use_defaultESM_EENS0_5tupleIJSF_S6_EEENSO_IJSG_SG_EEES6_PlJS6_EEE10hipError_tPvRmT3_T4_T5_T6_T7_T9_mT8_P12ihipStream_tbDpT10_ENKUlT_T0_E_clISt17integral_constantIbLb1EES1B_EEDaS16_S17_EUlS16_E_NS1_11comp_targetILNS1_3genE4ELNS1_11target_archE910ELNS1_3gpuE8ELNS1_3repE0EEENS1_30default_config_static_selectorELNS0_4arch9wavefront6targetE0EEEvT1_.numbered_sgpr, 0
	.set _ZN7rocprim17ROCPRIM_400000_NS6detail17trampoline_kernelINS0_14default_configENS1_25partition_config_selectorILNS1_17partition_subalgoE5EiNS0_10empty_typeEbEEZZNS1_14partition_implILS5_5ELb0ES3_mN6thrust23THRUST_200600_302600_NS6detail15normal_iteratorINSA_10device_ptrIiEEEEPS6_NSA_18transform_iteratorINSB_9not_fun_tI7is_trueIiEEESF_NSA_11use_defaultESM_EENS0_5tupleIJSF_S6_EEENSO_IJSG_SG_EEES6_PlJS6_EEE10hipError_tPvRmT3_T4_T5_T6_T7_T9_mT8_P12ihipStream_tbDpT10_ENKUlT_T0_E_clISt17integral_constantIbLb1EES1B_EEDaS16_S17_EUlS16_E_NS1_11comp_targetILNS1_3genE4ELNS1_11target_archE910ELNS1_3gpuE8ELNS1_3repE0EEENS1_30default_config_static_selectorELNS0_4arch9wavefront6targetE0EEEvT1_.num_named_barrier, 0
	.set _ZN7rocprim17ROCPRIM_400000_NS6detail17trampoline_kernelINS0_14default_configENS1_25partition_config_selectorILNS1_17partition_subalgoE5EiNS0_10empty_typeEbEEZZNS1_14partition_implILS5_5ELb0ES3_mN6thrust23THRUST_200600_302600_NS6detail15normal_iteratorINSA_10device_ptrIiEEEEPS6_NSA_18transform_iteratorINSB_9not_fun_tI7is_trueIiEEESF_NSA_11use_defaultESM_EENS0_5tupleIJSF_S6_EEENSO_IJSG_SG_EEES6_PlJS6_EEE10hipError_tPvRmT3_T4_T5_T6_T7_T9_mT8_P12ihipStream_tbDpT10_ENKUlT_T0_E_clISt17integral_constantIbLb1EES1B_EEDaS16_S17_EUlS16_E_NS1_11comp_targetILNS1_3genE4ELNS1_11target_archE910ELNS1_3gpuE8ELNS1_3repE0EEENS1_30default_config_static_selectorELNS0_4arch9wavefront6targetE0EEEvT1_.private_seg_size, 0
	.set _ZN7rocprim17ROCPRIM_400000_NS6detail17trampoline_kernelINS0_14default_configENS1_25partition_config_selectorILNS1_17partition_subalgoE5EiNS0_10empty_typeEbEEZZNS1_14partition_implILS5_5ELb0ES3_mN6thrust23THRUST_200600_302600_NS6detail15normal_iteratorINSA_10device_ptrIiEEEEPS6_NSA_18transform_iteratorINSB_9not_fun_tI7is_trueIiEEESF_NSA_11use_defaultESM_EENS0_5tupleIJSF_S6_EEENSO_IJSG_SG_EEES6_PlJS6_EEE10hipError_tPvRmT3_T4_T5_T6_T7_T9_mT8_P12ihipStream_tbDpT10_ENKUlT_T0_E_clISt17integral_constantIbLb1EES1B_EEDaS16_S17_EUlS16_E_NS1_11comp_targetILNS1_3genE4ELNS1_11target_archE910ELNS1_3gpuE8ELNS1_3repE0EEENS1_30default_config_static_selectorELNS0_4arch9wavefront6targetE0EEEvT1_.uses_vcc, 0
	.set _ZN7rocprim17ROCPRIM_400000_NS6detail17trampoline_kernelINS0_14default_configENS1_25partition_config_selectorILNS1_17partition_subalgoE5EiNS0_10empty_typeEbEEZZNS1_14partition_implILS5_5ELb0ES3_mN6thrust23THRUST_200600_302600_NS6detail15normal_iteratorINSA_10device_ptrIiEEEEPS6_NSA_18transform_iteratorINSB_9not_fun_tI7is_trueIiEEESF_NSA_11use_defaultESM_EENS0_5tupleIJSF_S6_EEENSO_IJSG_SG_EEES6_PlJS6_EEE10hipError_tPvRmT3_T4_T5_T6_T7_T9_mT8_P12ihipStream_tbDpT10_ENKUlT_T0_E_clISt17integral_constantIbLb1EES1B_EEDaS16_S17_EUlS16_E_NS1_11comp_targetILNS1_3genE4ELNS1_11target_archE910ELNS1_3gpuE8ELNS1_3repE0EEENS1_30default_config_static_selectorELNS0_4arch9wavefront6targetE0EEEvT1_.uses_flat_scratch, 0
	.set _ZN7rocprim17ROCPRIM_400000_NS6detail17trampoline_kernelINS0_14default_configENS1_25partition_config_selectorILNS1_17partition_subalgoE5EiNS0_10empty_typeEbEEZZNS1_14partition_implILS5_5ELb0ES3_mN6thrust23THRUST_200600_302600_NS6detail15normal_iteratorINSA_10device_ptrIiEEEEPS6_NSA_18transform_iteratorINSB_9not_fun_tI7is_trueIiEEESF_NSA_11use_defaultESM_EENS0_5tupleIJSF_S6_EEENSO_IJSG_SG_EEES6_PlJS6_EEE10hipError_tPvRmT3_T4_T5_T6_T7_T9_mT8_P12ihipStream_tbDpT10_ENKUlT_T0_E_clISt17integral_constantIbLb1EES1B_EEDaS16_S17_EUlS16_E_NS1_11comp_targetILNS1_3genE4ELNS1_11target_archE910ELNS1_3gpuE8ELNS1_3repE0EEENS1_30default_config_static_selectorELNS0_4arch9wavefront6targetE0EEEvT1_.has_dyn_sized_stack, 0
	.set _ZN7rocprim17ROCPRIM_400000_NS6detail17trampoline_kernelINS0_14default_configENS1_25partition_config_selectorILNS1_17partition_subalgoE5EiNS0_10empty_typeEbEEZZNS1_14partition_implILS5_5ELb0ES3_mN6thrust23THRUST_200600_302600_NS6detail15normal_iteratorINSA_10device_ptrIiEEEEPS6_NSA_18transform_iteratorINSB_9not_fun_tI7is_trueIiEEESF_NSA_11use_defaultESM_EENS0_5tupleIJSF_S6_EEENSO_IJSG_SG_EEES6_PlJS6_EEE10hipError_tPvRmT3_T4_T5_T6_T7_T9_mT8_P12ihipStream_tbDpT10_ENKUlT_T0_E_clISt17integral_constantIbLb1EES1B_EEDaS16_S17_EUlS16_E_NS1_11comp_targetILNS1_3genE4ELNS1_11target_archE910ELNS1_3gpuE8ELNS1_3repE0EEENS1_30default_config_static_selectorELNS0_4arch9wavefront6targetE0EEEvT1_.has_recursion, 0
	.set _ZN7rocprim17ROCPRIM_400000_NS6detail17trampoline_kernelINS0_14default_configENS1_25partition_config_selectorILNS1_17partition_subalgoE5EiNS0_10empty_typeEbEEZZNS1_14partition_implILS5_5ELb0ES3_mN6thrust23THRUST_200600_302600_NS6detail15normal_iteratorINSA_10device_ptrIiEEEEPS6_NSA_18transform_iteratorINSB_9not_fun_tI7is_trueIiEEESF_NSA_11use_defaultESM_EENS0_5tupleIJSF_S6_EEENSO_IJSG_SG_EEES6_PlJS6_EEE10hipError_tPvRmT3_T4_T5_T6_T7_T9_mT8_P12ihipStream_tbDpT10_ENKUlT_T0_E_clISt17integral_constantIbLb1EES1B_EEDaS16_S17_EUlS16_E_NS1_11comp_targetILNS1_3genE4ELNS1_11target_archE910ELNS1_3gpuE8ELNS1_3repE0EEENS1_30default_config_static_selectorELNS0_4arch9wavefront6targetE0EEEvT1_.has_indirect_call, 0
	.section	.AMDGPU.csdata,"",@progbits
; Kernel info:
; codeLenInByte = 0
; TotalNumSgprs: 0
; NumVgprs: 0
; ScratchSize: 0
; MemoryBound: 0
; FloatMode: 240
; IeeeMode: 1
; LDSByteSize: 0 bytes/workgroup (compile time only)
; SGPRBlocks: 0
; VGPRBlocks: 0
; NumSGPRsForWavesPerEU: 1
; NumVGPRsForWavesPerEU: 1
; Occupancy: 16
; WaveLimiterHint : 0
; COMPUTE_PGM_RSRC2:SCRATCH_EN: 0
; COMPUTE_PGM_RSRC2:USER_SGPR: 2
; COMPUTE_PGM_RSRC2:TRAP_HANDLER: 0
; COMPUTE_PGM_RSRC2:TGID_X_EN: 1
; COMPUTE_PGM_RSRC2:TGID_Y_EN: 0
; COMPUTE_PGM_RSRC2:TGID_Z_EN: 0
; COMPUTE_PGM_RSRC2:TIDIG_COMP_CNT: 0
	.section	.text._ZN7rocprim17ROCPRIM_400000_NS6detail17trampoline_kernelINS0_14default_configENS1_25partition_config_selectorILNS1_17partition_subalgoE5EiNS0_10empty_typeEbEEZZNS1_14partition_implILS5_5ELb0ES3_mN6thrust23THRUST_200600_302600_NS6detail15normal_iteratorINSA_10device_ptrIiEEEEPS6_NSA_18transform_iteratorINSB_9not_fun_tI7is_trueIiEEESF_NSA_11use_defaultESM_EENS0_5tupleIJSF_S6_EEENSO_IJSG_SG_EEES6_PlJS6_EEE10hipError_tPvRmT3_T4_T5_T6_T7_T9_mT8_P12ihipStream_tbDpT10_ENKUlT_T0_E_clISt17integral_constantIbLb1EES1B_EEDaS16_S17_EUlS16_E_NS1_11comp_targetILNS1_3genE3ELNS1_11target_archE908ELNS1_3gpuE7ELNS1_3repE0EEENS1_30default_config_static_selectorELNS0_4arch9wavefront6targetE0EEEvT1_,"axG",@progbits,_ZN7rocprim17ROCPRIM_400000_NS6detail17trampoline_kernelINS0_14default_configENS1_25partition_config_selectorILNS1_17partition_subalgoE5EiNS0_10empty_typeEbEEZZNS1_14partition_implILS5_5ELb0ES3_mN6thrust23THRUST_200600_302600_NS6detail15normal_iteratorINSA_10device_ptrIiEEEEPS6_NSA_18transform_iteratorINSB_9not_fun_tI7is_trueIiEEESF_NSA_11use_defaultESM_EENS0_5tupleIJSF_S6_EEENSO_IJSG_SG_EEES6_PlJS6_EEE10hipError_tPvRmT3_T4_T5_T6_T7_T9_mT8_P12ihipStream_tbDpT10_ENKUlT_T0_E_clISt17integral_constantIbLb1EES1B_EEDaS16_S17_EUlS16_E_NS1_11comp_targetILNS1_3genE3ELNS1_11target_archE908ELNS1_3gpuE7ELNS1_3repE0EEENS1_30default_config_static_selectorELNS0_4arch9wavefront6targetE0EEEvT1_,comdat
	.protected	_ZN7rocprim17ROCPRIM_400000_NS6detail17trampoline_kernelINS0_14default_configENS1_25partition_config_selectorILNS1_17partition_subalgoE5EiNS0_10empty_typeEbEEZZNS1_14partition_implILS5_5ELb0ES3_mN6thrust23THRUST_200600_302600_NS6detail15normal_iteratorINSA_10device_ptrIiEEEEPS6_NSA_18transform_iteratorINSB_9not_fun_tI7is_trueIiEEESF_NSA_11use_defaultESM_EENS0_5tupleIJSF_S6_EEENSO_IJSG_SG_EEES6_PlJS6_EEE10hipError_tPvRmT3_T4_T5_T6_T7_T9_mT8_P12ihipStream_tbDpT10_ENKUlT_T0_E_clISt17integral_constantIbLb1EES1B_EEDaS16_S17_EUlS16_E_NS1_11comp_targetILNS1_3genE3ELNS1_11target_archE908ELNS1_3gpuE7ELNS1_3repE0EEENS1_30default_config_static_selectorELNS0_4arch9wavefront6targetE0EEEvT1_ ; -- Begin function _ZN7rocprim17ROCPRIM_400000_NS6detail17trampoline_kernelINS0_14default_configENS1_25partition_config_selectorILNS1_17partition_subalgoE5EiNS0_10empty_typeEbEEZZNS1_14partition_implILS5_5ELb0ES3_mN6thrust23THRUST_200600_302600_NS6detail15normal_iteratorINSA_10device_ptrIiEEEEPS6_NSA_18transform_iteratorINSB_9not_fun_tI7is_trueIiEEESF_NSA_11use_defaultESM_EENS0_5tupleIJSF_S6_EEENSO_IJSG_SG_EEES6_PlJS6_EEE10hipError_tPvRmT3_T4_T5_T6_T7_T9_mT8_P12ihipStream_tbDpT10_ENKUlT_T0_E_clISt17integral_constantIbLb1EES1B_EEDaS16_S17_EUlS16_E_NS1_11comp_targetILNS1_3genE3ELNS1_11target_archE908ELNS1_3gpuE7ELNS1_3repE0EEENS1_30default_config_static_selectorELNS0_4arch9wavefront6targetE0EEEvT1_
	.globl	_ZN7rocprim17ROCPRIM_400000_NS6detail17trampoline_kernelINS0_14default_configENS1_25partition_config_selectorILNS1_17partition_subalgoE5EiNS0_10empty_typeEbEEZZNS1_14partition_implILS5_5ELb0ES3_mN6thrust23THRUST_200600_302600_NS6detail15normal_iteratorINSA_10device_ptrIiEEEEPS6_NSA_18transform_iteratorINSB_9not_fun_tI7is_trueIiEEESF_NSA_11use_defaultESM_EENS0_5tupleIJSF_S6_EEENSO_IJSG_SG_EEES6_PlJS6_EEE10hipError_tPvRmT3_T4_T5_T6_T7_T9_mT8_P12ihipStream_tbDpT10_ENKUlT_T0_E_clISt17integral_constantIbLb1EES1B_EEDaS16_S17_EUlS16_E_NS1_11comp_targetILNS1_3genE3ELNS1_11target_archE908ELNS1_3gpuE7ELNS1_3repE0EEENS1_30default_config_static_selectorELNS0_4arch9wavefront6targetE0EEEvT1_
	.p2align	8
	.type	_ZN7rocprim17ROCPRIM_400000_NS6detail17trampoline_kernelINS0_14default_configENS1_25partition_config_selectorILNS1_17partition_subalgoE5EiNS0_10empty_typeEbEEZZNS1_14partition_implILS5_5ELb0ES3_mN6thrust23THRUST_200600_302600_NS6detail15normal_iteratorINSA_10device_ptrIiEEEEPS6_NSA_18transform_iteratorINSB_9not_fun_tI7is_trueIiEEESF_NSA_11use_defaultESM_EENS0_5tupleIJSF_S6_EEENSO_IJSG_SG_EEES6_PlJS6_EEE10hipError_tPvRmT3_T4_T5_T6_T7_T9_mT8_P12ihipStream_tbDpT10_ENKUlT_T0_E_clISt17integral_constantIbLb1EES1B_EEDaS16_S17_EUlS16_E_NS1_11comp_targetILNS1_3genE3ELNS1_11target_archE908ELNS1_3gpuE7ELNS1_3repE0EEENS1_30default_config_static_selectorELNS0_4arch9wavefront6targetE0EEEvT1_,@function
_ZN7rocprim17ROCPRIM_400000_NS6detail17trampoline_kernelINS0_14default_configENS1_25partition_config_selectorILNS1_17partition_subalgoE5EiNS0_10empty_typeEbEEZZNS1_14partition_implILS5_5ELb0ES3_mN6thrust23THRUST_200600_302600_NS6detail15normal_iteratorINSA_10device_ptrIiEEEEPS6_NSA_18transform_iteratorINSB_9not_fun_tI7is_trueIiEEESF_NSA_11use_defaultESM_EENS0_5tupleIJSF_S6_EEENSO_IJSG_SG_EEES6_PlJS6_EEE10hipError_tPvRmT3_T4_T5_T6_T7_T9_mT8_P12ihipStream_tbDpT10_ENKUlT_T0_E_clISt17integral_constantIbLb1EES1B_EEDaS16_S17_EUlS16_E_NS1_11comp_targetILNS1_3genE3ELNS1_11target_archE908ELNS1_3gpuE7ELNS1_3repE0EEENS1_30default_config_static_selectorELNS0_4arch9wavefront6targetE0EEEvT1_: ; @_ZN7rocprim17ROCPRIM_400000_NS6detail17trampoline_kernelINS0_14default_configENS1_25partition_config_selectorILNS1_17partition_subalgoE5EiNS0_10empty_typeEbEEZZNS1_14partition_implILS5_5ELb0ES3_mN6thrust23THRUST_200600_302600_NS6detail15normal_iteratorINSA_10device_ptrIiEEEEPS6_NSA_18transform_iteratorINSB_9not_fun_tI7is_trueIiEEESF_NSA_11use_defaultESM_EENS0_5tupleIJSF_S6_EEENSO_IJSG_SG_EEES6_PlJS6_EEE10hipError_tPvRmT3_T4_T5_T6_T7_T9_mT8_P12ihipStream_tbDpT10_ENKUlT_T0_E_clISt17integral_constantIbLb1EES1B_EEDaS16_S17_EUlS16_E_NS1_11comp_targetILNS1_3genE3ELNS1_11target_archE908ELNS1_3gpuE7ELNS1_3repE0EEENS1_30default_config_static_selectorELNS0_4arch9wavefront6targetE0EEEvT1_
; %bb.0:
	.section	.rodata,"a",@progbits
	.p2align	6, 0x0
	.amdhsa_kernel _ZN7rocprim17ROCPRIM_400000_NS6detail17trampoline_kernelINS0_14default_configENS1_25partition_config_selectorILNS1_17partition_subalgoE5EiNS0_10empty_typeEbEEZZNS1_14partition_implILS5_5ELb0ES3_mN6thrust23THRUST_200600_302600_NS6detail15normal_iteratorINSA_10device_ptrIiEEEEPS6_NSA_18transform_iteratorINSB_9not_fun_tI7is_trueIiEEESF_NSA_11use_defaultESM_EENS0_5tupleIJSF_S6_EEENSO_IJSG_SG_EEES6_PlJS6_EEE10hipError_tPvRmT3_T4_T5_T6_T7_T9_mT8_P12ihipStream_tbDpT10_ENKUlT_T0_E_clISt17integral_constantIbLb1EES1B_EEDaS16_S17_EUlS16_E_NS1_11comp_targetILNS1_3genE3ELNS1_11target_archE908ELNS1_3gpuE7ELNS1_3repE0EEENS1_30default_config_static_selectorELNS0_4arch9wavefront6targetE0EEEvT1_
		.amdhsa_group_segment_fixed_size 0
		.amdhsa_private_segment_fixed_size 0
		.amdhsa_kernarg_size 136
		.amdhsa_user_sgpr_count 2
		.amdhsa_user_sgpr_dispatch_ptr 0
		.amdhsa_user_sgpr_queue_ptr 0
		.amdhsa_user_sgpr_kernarg_segment_ptr 1
		.amdhsa_user_sgpr_dispatch_id 0
		.amdhsa_user_sgpr_private_segment_size 0
		.amdhsa_wavefront_size32 1
		.amdhsa_uses_dynamic_stack 0
		.amdhsa_enable_private_segment 0
		.amdhsa_system_sgpr_workgroup_id_x 1
		.amdhsa_system_sgpr_workgroup_id_y 0
		.amdhsa_system_sgpr_workgroup_id_z 0
		.amdhsa_system_sgpr_workgroup_info 0
		.amdhsa_system_vgpr_workitem_id 0
		.amdhsa_next_free_vgpr 1
		.amdhsa_next_free_sgpr 1
		.amdhsa_reserve_vcc 0
		.amdhsa_float_round_mode_32 0
		.amdhsa_float_round_mode_16_64 0
		.amdhsa_float_denorm_mode_32 3
		.amdhsa_float_denorm_mode_16_64 3
		.amdhsa_fp16_overflow 0
		.amdhsa_workgroup_processor_mode 1
		.amdhsa_memory_ordered 1
		.amdhsa_forward_progress 1
		.amdhsa_inst_pref_size 0
		.amdhsa_round_robin_scheduling 0
		.amdhsa_exception_fp_ieee_invalid_op 0
		.amdhsa_exception_fp_denorm_src 0
		.amdhsa_exception_fp_ieee_div_zero 0
		.amdhsa_exception_fp_ieee_overflow 0
		.amdhsa_exception_fp_ieee_underflow 0
		.amdhsa_exception_fp_ieee_inexact 0
		.amdhsa_exception_int_div_zero 0
	.end_amdhsa_kernel
	.section	.text._ZN7rocprim17ROCPRIM_400000_NS6detail17trampoline_kernelINS0_14default_configENS1_25partition_config_selectorILNS1_17partition_subalgoE5EiNS0_10empty_typeEbEEZZNS1_14partition_implILS5_5ELb0ES3_mN6thrust23THRUST_200600_302600_NS6detail15normal_iteratorINSA_10device_ptrIiEEEEPS6_NSA_18transform_iteratorINSB_9not_fun_tI7is_trueIiEEESF_NSA_11use_defaultESM_EENS0_5tupleIJSF_S6_EEENSO_IJSG_SG_EEES6_PlJS6_EEE10hipError_tPvRmT3_T4_T5_T6_T7_T9_mT8_P12ihipStream_tbDpT10_ENKUlT_T0_E_clISt17integral_constantIbLb1EES1B_EEDaS16_S17_EUlS16_E_NS1_11comp_targetILNS1_3genE3ELNS1_11target_archE908ELNS1_3gpuE7ELNS1_3repE0EEENS1_30default_config_static_selectorELNS0_4arch9wavefront6targetE0EEEvT1_,"axG",@progbits,_ZN7rocprim17ROCPRIM_400000_NS6detail17trampoline_kernelINS0_14default_configENS1_25partition_config_selectorILNS1_17partition_subalgoE5EiNS0_10empty_typeEbEEZZNS1_14partition_implILS5_5ELb0ES3_mN6thrust23THRUST_200600_302600_NS6detail15normal_iteratorINSA_10device_ptrIiEEEEPS6_NSA_18transform_iteratorINSB_9not_fun_tI7is_trueIiEEESF_NSA_11use_defaultESM_EENS0_5tupleIJSF_S6_EEENSO_IJSG_SG_EEES6_PlJS6_EEE10hipError_tPvRmT3_T4_T5_T6_T7_T9_mT8_P12ihipStream_tbDpT10_ENKUlT_T0_E_clISt17integral_constantIbLb1EES1B_EEDaS16_S17_EUlS16_E_NS1_11comp_targetILNS1_3genE3ELNS1_11target_archE908ELNS1_3gpuE7ELNS1_3repE0EEENS1_30default_config_static_selectorELNS0_4arch9wavefront6targetE0EEEvT1_,comdat
.Lfunc_end1511:
	.size	_ZN7rocprim17ROCPRIM_400000_NS6detail17trampoline_kernelINS0_14default_configENS1_25partition_config_selectorILNS1_17partition_subalgoE5EiNS0_10empty_typeEbEEZZNS1_14partition_implILS5_5ELb0ES3_mN6thrust23THRUST_200600_302600_NS6detail15normal_iteratorINSA_10device_ptrIiEEEEPS6_NSA_18transform_iteratorINSB_9not_fun_tI7is_trueIiEEESF_NSA_11use_defaultESM_EENS0_5tupleIJSF_S6_EEENSO_IJSG_SG_EEES6_PlJS6_EEE10hipError_tPvRmT3_T4_T5_T6_T7_T9_mT8_P12ihipStream_tbDpT10_ENKUlT_T0_E_clISt17integral_constantIbLb1EES1B_EEDaS16_S17_EUlS16_E_NS1_11comp_targetILNS1_3genE3ELNS1_11target_archE908ELNS1_3gpuE7ELNS1_3repE0EEENS1_30default_config_static_selectorELNS0_4arch9wavefront6targetE0EEEvT1_, .Lfunc_end1511-_ZN7rocprim17ROCPRIM_400000_NS6detail17trampoline_kernelINS0_14default_configENS1_25partition_config_selectorILNS1_17partition_subalgoE5EiNS0_10empty_typeEbEEZZNS1_14partition_implILS5_5ELb0ES3_mN6thrust23THRUST_200600_302600_NS6detail15normal_iteratorINSA_10device_ptrIiEEEEPS6_NSA_18transform_iteratorINSB_9not_fun_tI7is_trueIiEEESF_NSA_11use_defaultESM_EENS0_5tupleIJSF_S6_EEENSO_IJSG_SG_EEES6_PlJS6_EEE10hipError_tPvRmT3_T4_T5_T6_T7_T9_mT8_P12ihipStream_tbDpT10_ENKUlT_T0_E_clISt17integral_constantIbLb1EES1B_EEDaS16_S17_EUlS16_E_NS1_11comp_targetILNS1_3genE3ELNS1_11target_archE908ELNS1_3gpuE7ELNS1_3repE0EEENS1_30default_config_static_selectorELNS0_4arch9wavefront6targetE0EEEvT1_
                                        ; -- End function
	.set _ZN7rocprim17ROCPRIM_400000_NS6detail17trampoline_kernelINS0_14default_configENS1_25partition_config_selectorILNS1_17partition_subalgoE5EiNS0_10empty_typeEbEEZZNS1_14partition_implILS5_5ELb0ES3_mN6thrust23THRUST_200600_302600_NS6detail15normal_iteratorINSA_10device_ptrIiEEEEPS6_NSA_18transform_iteratorINSB_9not_fun_tI7is_trueIiEEESF_NSA_11use_defaultESM_EENS0_5tupleIJSF_S6_EEENSO_IJSG_SG_EEES6_PlJS6_EEE10hipError_tPvRmT3_T4_T5_T6_T7_T9_mT8_P12ihipStream_tbDpT10_ENKUlT_T0_E_clISt17integral_constantIbLb1EES1B_EEDaS16_S17_EUlS16_E_NS1_11comp_targetILNS1_3genE3ELNS1_11target_archE908ELNS1_3gpuE7ELNS1_3repE0EEENS1_30default_config_static_selectorELNS0_4arch9wavefront6targetE0EEEvT1_.num_vgpr, 0
	.set _ZN7rocprim17ROCPRIM_400000_NS6detail17trampoline_kernelINS0_14default_configENS1_25partition_config_selectorILNS1_17partition_subalgoE5EiNS0_10empty_typeEbEEZZNS1_14partition_implILS5_5ELb0ES3_mN6thrust23THRUST_200600_302600_NS6detail15normal_iteratorINSA_10device_ptrIiEEEEPS6_NSA_18transform_iteratorINSB_9not_fun_tI7is_trueIiEEESF_NSA_11use_defaultESM_EENS0_5tupleIJSF_S6_EEENSO_IJSG_SG_EEES6_PlJS6_EEE10hipError_tPvRmT3_T4_T5_T6_T7_T9_mT8_P12ihipStream_tbDpT10_ENKUlT_T0_E_clISt17integral_constantIbLb1EES1B_EEDaS16_S17_EUlS16_E_NS1_11comp_targetILNS1_3genE3ELNS1_11target_archE908ELNS1_3gpuE7ELNS1_3repE0EEENS1_30default_config_static_selectorELNS0_4arch9wavefront6targetE0EEEvT1_.num_agpr, 0
	.set _ZN7rocprim17ROCPRIM_400000_NS6detail17trampoline_kernelINS0_14default_configENS1_25partition_config_selectorILNS1_17partition_subalgoE5EiNS0_10empty_typeEbEEZZNS1_14partition_implILS5_5ELb0ES3_mN6thrust23THRUST_200600_302600_NS6detail15normal_iteratorINSA_10device_ptrIiEEEEPS6_NSA_18transform_iteratorINSB_9not_fun_tI7is_trueIiEEESF_NSA_11use_defaultESM_EENS0_5tupleIJSF_S6_EEENSO_IJSG_SG_EEES6_PlJS6_EEE10hipError_tPvRmT3_T4_T5_T6_T7_T9_mT8_P12ihipStream_tbDpT10_ENKUlT_T0_E_clISt17integral_constantIbLb1EES1B_EEDaS16_S17_EUlS16_E_NS1_11comp_targetILNS1_3genE3ELNS1_11target_archE908ELNS1_3gpuE7ELNS1_3repE0EEENS1_30default_config_static_selectorELNS0_4arch9wavefront6targetE0EEEvT1_.numbered_sgpr, 0
	.set _ZN7rocprim17ROCPRIM_400000_NS6detail17trampoline_kernelINS0_14default_configENS1_25partition_config_selectorILNS1_17partition_subalgoE5EiNS0_10empty_typeEbEEZZNS1_14partition_implILS5_5ELb0ES3_mN6thrust23THRUST_200600_302600_NS6detail15normal_iteratorINSA_10device_ptrIiEEEEPS6_NSA_18transform_iteratorINSB_9not_fun_tI7is_trueIiEEESF_NSA_11use_defaultESM_EENS0_5tupleIJSF_S6_EEENSO_IJSG_SG_EEES6_PlJS6_EEE10hipError_tPvRmT3_T4_T5_T6_T7_T9_mT8_P12ihipStream_tbDpT10_ENKUlT_T0_E_clISt17integral_constantIbLb1EES1B_EEDaS16_S17_EUlS16_E_NS1_11comp_targetILNS1_3genE3ELNS1_11target_archE908ELNS1_3gpuE7ELNS1_3repE0EEENS1_30default_config_static_selectorELNS0_4arch9wavefront6targetE0EEEvT1_.num_named_barrier, 0
	.set _ZN7rocprim17ROCPRIM_400000_NS6detail17trampoline_kernelINS0_14default_configENS1_25partition_config_selectorILNS1_17partition_subalgoE5EiNS0_10empty_typeEbEEZZNS1_14partition_implILS5_5ELb0ES3_mN6thrust23THRUST_200600_302600_NS6detail15normal_iteratorINSA_10device_ptrIiEEEEPS6_NSA_18transform_iteratorINSB_9not_fun_tI7is_trueIiEEESF_NSA_11use_defaultESM_EENS0_5tupleIJSF_S6_EEENSO_IJSG_SG_EEES6_PlJS6_EEE10hipError_tPvRmT3_T4_T5_T6_T7_T9_mT8_P12ihipStream_tbDpT10_ENKUlT_T0_E_clISt17integral_constantIbLb1EES1B_EEDaS16_S17_EUlS16_E_NS1_11comp_targetILNS1_3genE3ELNS1_11target_archE908ELNS1_3gpuE7ELNS1_3repE0EEENS1_30default_config_static_selectorELNS0_4arch9wavefront6targetE0EEEvT1_.private_seg_size, 0
	.set _ZN7rocprim17ROCPRIM_400000_NS6detail17trampoline_kernelINS0_14default_configENS1_25partition_config_selectorILNS1_17partition_subalgoE5EiNS0_10empty_typeEbEEZZNS1_14partition_implILS5_5ELb0ES3_mN6thrust23THRUST_200600_302600_NS6detail15normal_iteratorINSA_10device_ptrIiEEEEPS6_NSA_18transform_iteratorINSB_9not_fun_tI7is_trueIiEEESF_NSA_11use_defaultESM_EENS0_5tupleIJSF_S6_EEENSO_IJSG_SG_EEES6_PlJS6_EEE10hipError_tPvRmT3_T4_T5_T6_T7_T9_mT8_P12ihipStream_tbDpT10_ENKUlT_T0_E_clISt17integral_constantIbLb1EES1B_EEDaS16_S17_EUlS16_E_NS1_11comp_targetILNS1_3genE3ELNS1_11target_archE908ELNS1_3gpuE7ELNS1_3repE0EEENS1_30default_config_static_selectorELNS0_4arch9wavefront6targetE0EEEvT1_.uses_vcc, 0
	.set _ZN7rocprim17ROCPRIM_400000_NS6detail17trampoline_kernelINS0_14default_configENS1_25partition_config_selectorILNS1_17partition_subalgoE5EiNS0_10empty_typeEbEEZZNS1_14partition_implILS5_5ELb0ES3_mN6thrust23THRUST_200600_302600_NS6detail15normal_iteratorINSA_10device_ptrIiEEEEPS6_NSA_18transform_iteratorINSB_9not_fun_tI7is_trueIiEEESF_NSA_11use_defaultESM_EENS0_5tupleIJSF_S6_EEENSO_IJSG_SG_EEES6_PlJS6_EEE10hipError_tPvRmT3_T4_T5_T6_T7_T9_mT8_P12ihipStream_tbDpT10_ENKUlT_T0_E_clISt17integral_constantIbLb1EES1B_EEDaS16_S17_EUlS16_E_NS1_11comp_targetILNS1_3genE3ELNS1_11target_archE908ELNS1_3gpuE7ELNS1_3repE0EEENS1_30default_config_static_selectorELNS0_4arch9wavefront6targetE0EEEvT1_.uses_flat_scratch, 0
	.set _ZN7rocprim17ROCPRIM_400000_NS6detail17trampoline_kernelINS0_14default_configENS1_25partition_config_selectorILNS1_17partition_subalgoE5EiNS0_10empty_typeEbEEZZNS1_14partition_implILS5_5ELb0ES3_mN6thrust23THRUST_200600_302600_NS6detail15normal_iteratorINSA_10device_ptrIiEEEEPS6_NSA_18transform_iteratorINSB_9not_fun_tI7is_trueIiEEESF_NSA_11use_defaultESM_EENS0_5tupleIJSF_S6_EEENSO_IJSG_SG_EEES6_PlJS6_EEE10hipError_tPvRmT3_T4_T5_T6_T7_T9_mT8_P12ihipStream_tbDpT10_ENKUlT_T0_E_clISt17integral_constantIbLb1EES1B_EEDaS16_S17_EUlS16_E_NS1_11comp_targetILNS1_3genE3ELNS1_11target_archE908ELNS1_3gpuE7ELNS1_3repE0EEENS1_30default_config_static_selectorELNS0_4arch9wavefront6targetE0EEEvT1_.has_dyn_sized_stack, 0
	.set _ZN7rocprim17ROCPRIM_400000_NS6detail17trampoline_kernelINS0_14default_configENS1_25partition_config_selectorILNS1_17partition_subalgoE5EiNS0_10empty_typeEbEEZZNS1_14partition_implILS5_5ELb0ES3_mN6thrust23THRUST_200600_302600_NS6detail15normal_iteratorINSA_10device_ptrIiEEEEPS6_NSA_18transform_iteratorINSB_9not_fun_tI7is_trueIiEEESF_NSA_11use_defaultESM_EENS0_5tupleIJSF_S6_EEENSO_IJSG_SG_EEES6_PlJS6_EEE10hipError_tPvRmT3_T4_T5_T6_T7_T9_mT8_P12ihipStream_tbDpT10_ENKUlT_T0_E_clISt17integral_constantIbLb1EES1B_EEDaS16_S17_EUlS16_E_NS1_11comp_targetILNS1_3genE3ELNS1_11target_archE908ELNS1_3gpuE7ELNS1_3repE0EEENS1_30default_config_static_selectorELNS0_4arch9wavefront6targetE0EEEvT1_.has_recursion, 0
	.set _ZN7rocprim17ROCPRIM_400000_NS6detail17trampoline_kernelINS0_14default_configENS1_25partition_config_selectorILNS1_17partition_subalgoE5EiNS0_10empty_typeEbEEZZNS1_14partition_implILS5_5ELb0ES3_mN6thrust23THRUST_200600_302600_NS6detail15normal_iteratorINSA_10device_ptrIiEEEEPS6_NSA_18transform_iteratorINSB_9not_fun_tI7is_trueIiEEESF_NSA_11use_defaultESM_EENS0_5tupleIJSF_S6_EEENSO_IJSG_SG_EEES6_PlJS6_EEE10hipError_tPvRmT3_T4_T5_T6_T7_T9_mT8_P12ihipStream_tbDpT10_ENKUlT_T0_E_clISt17integral_constantIbLb1EES1B_EEDaS16_S17_EUlS16_E_NS1_11comp_targetILNS1_3genE3ELNS1_11target_archE908ELNS1_3gpuE7ELNS1_3repE0EEENS1_30default_config_static_selectorELNS0_4arch9wavefront6targetE0EEEvT1_.has_indirect_call, 0
	.section	.AMDGPU.csdata,"",@progbits
; Kernel info:
; codeLenInByte = 0
; TotalNumSgprs: 0
; NumVgprs: 0
; ScratchSize: 0
; MemoryBound: 0
; FloatMode: 240
; IeeeMode: 1
; LDSByteSize: 0 bytes/workgroup (compile time only)
; SGPRBlocks: 0
; VGPRBlocks: 0
; NumSGPRsForWavesPerEU: 1
; NumVGPRsForWavesPerEU: 1
; Occupancy: 16
; WaveLimiterHint : 0
; COMPUTE_PGM_RSRC2:SCRATCH_EN: 0
; COMPUTE_PGM_RSRC2:USER_SGPR: 2
; COMPUTE_PGM_RSRC2:TRAP_HANDLER: 0
; COMPUTE_PGM_RSRC2:TGID_X_EN: 1
; COMPUTE_PGM_RSRC2:TGID_Y_EN: 0
; COMPUTE_PGM_RSRC2:TGID_Z_EN: 0
; COMPUTE_PGM_RSRC2:TIDIG_COMP_CNT: 0
	.section	.text._ZN7rocprim17ROCPRIM_400000_NS6detail17trampoline_kernelINS0_14default_configENS1_25partition_config_selectorILNS1_17partition_subalgoE5EiNS0_10empty_typeEbEEZZNS1_14partition_implILS5_5ELb0ES3_mN6thrust23THRUST_200600_302600_NS6detail15normal_iteratorINSA_10device_ptrIiEEEEPS6_NSA_18transform_iteratorINSB_9not_fun_tI7is_trueIiEEESF_NSA_11use_defaultESM_EENS0_5tupleIJSF_S6_EEENSO_IJSG_SG_EEES6_PlJS6_EEE10hipError_tPvRmT3_T4_T5_T6_T7_T9_mT8_P12ihipStream_tbDpT10_ENKUlT_T0_E_clISt17integral_constantIbLb1EES1B_EEDaS16_S17_EUlS16_E_NS1_11comp_targetILNS1_3genE2ELNS1_11target_archE906ELNS1_3gpuE6ELNS1_3repE0EEENS1_30default_config_static_selectorELNS0_4arch9wavefront6targetE0EEEvT1_,"axG",@progbits,_ZN7rocprim17ROCPRIM_400000_NS6detail17trampoline_kernelINS0_14default_configENS1_25partition_config_selectorILNS1_17partition_subalgoE5EiNS0_10empty_typeEbEEZZNS1_14partition_implILS5_5ELb0ES3_mN6thrust23THRUST_200600_302600_NS6detail15normal_iteratorINSA_10device_ptrIiEEEEPS6_NSA_18transform_iteratorINSB_9not_fun_tI7is_trueIiEEESF_NSA_11use_defaultESM_EENS0_5tupleIJSF_S6_EEENSO_IJSG_SG_EEES6_PlJS6_EEE10hipError_tPvRmT3_T4_T5_T6_T7_T9_mT8_P12ihipStream_tbDpT10_ENKUlT_T0_E_clISt17integral_constantIbLb1EES1B_EEDaS16_S17_EUlS16_E_NS1_11comp_targetILNS1_3genE2ELNS1_11target_archE906ELNS1_3gpuE6ELNS1_3repE0EEENS1_30default_config_static_selectorELNS0_4arch9wavefront6targetE0EEEvT1_,comdat
	.protected	_ZN7rocprim17ROCPRIM_400000_NS6detail17trampoline_kernelINS0_14default_configENS1_25partition_config_selectorILNS1_17partition_subalgoE5EiNS0_10empty_typeEbEEZZNS1_14partition_implILS5_5ELb0ES3_mN6thrust23THRUST_200600_302600_NS6detail15normal_iteratorINSA_10device_ptrIiEEEEPS6_NSA_18transform_iteratorINSB_9not_fun_tI7is_trueIiEEESF_NSA_11use_defaultESM_EENS0_5tupleIJSF_S6_EEENSO_IJSG_SG_EEES6_PlJS6_EEE10hipError_tPvRmT3_T4_T5_T6_T7_T9_mT8_P12ihipStream_tbDpT10_ENKUlT_T0_E_clISt17integral_constantIbLb1EES1B_EEDaS16_S17_EUlS16_E_NS1_11comp_targetILNS1_3genE2ELNS1_11target_archE906ELNS1_3gpuE6ELNS1_3repE0EEENS1_30default_config_static_selectorELNS0_4arch9wavefront6targetE0EEEvT1_ ; -- Begin function _ZN7rocprim17ROCPRIM_400000_NS6detail17trampoline_kernelINS0_14default_configENS1_25partition_config_selectorILNS1_17partition_subalgoE5EiNS0_10empty_typeEbEEZZNS1_14partition_implILS5_5ELb0ES3_mN6thrust23THRUST_200600_302600_NS6detail15normal_iteratorINSA_10device_ptrIiEEEEPS6_NSA_18transform_iteratorINSB_9not_fun_tI7is_trueIiEEESF_NSA_11use_defaultESM_EENS0_5tupleIJSF_S6_EEENSO_IJSG_SG_EEES6_PlJS6_EEE10hipError_tPvRmT3_T4_T5_T6_T7_T9_mT8_P12ihipStream_tbDpT10_ENKUlT_T0_E_clISt17integral_constantIbLb1EES1B_EEDaS16_S17_EUlS16_E_NS1_11comp_targetILNS1_3genE2ELNS1_11target_archE906ELNS1_3gpuE6ELNS1_3repE0EEENS1_30default_config_static_selectorELNS0_4arch9wavefront6targetE0EEEvT1_
	.globl	_ZN7rocprim17ROCPRIM_400000_NS6detail17trampoline_kernelINS0_14default_configENS1_25partition_config_selectorILNS1_17partition_subalgoE5EiNS0_10empty_typeEbEEZZNS1_14partition_implILS5_5ELb0ES3_mN6thrust23THRUST_200600_302600_NS6detail15normal_iteratorINSA_10device_ptrIiEEEEPS6_NSA_18transform_iteratorINSB_9not_fun_tI7is_trueIiEEESF_NSA_11use_defaultESM_EENS0_5tupleIJSF_S6_EEENSO_IJSG_SG_EEES6_PlJS6_EEE10hipError_tPvRmT3_T4_T5_T6_T7_T9_mT8_P12ihipStream_tbDpT10_ENKUlT_T0_E_clISt17integral_constantIbLb1EES1B_EEDaS16_S17_EUlS16_E_NS1_11comp_targetILNS1_3genE2ELNS1_11target_archE906ELNS1_3gpuE6ELNS1_3repE0EEENS1_30default_config_static_selectorELNS0_4arch9wavefront6targetE0EEEvT1_
	.p2align	8
	.type	_ZN7rocprim17ROCPRIM_400000_NS6detail17trampoline_kernelINS0_14default_configENS1_25partition_config_selectorILNS1_17partition_subalgoE5EiNS0_10empty_typeEbEEZZNS1_14partition_implILS5_5ELb0ES3_mN6thrust23THRUST_200600_302600_NS6detail15normal_iteratorINSA_10device_ptrIiEEEEPS6_NSA_18transform_iteratorINSB_9not_fun_tI7is_trueIiEEESF_NSA_11use_defaultESM_EENS0_5tupleIJSF_S6_EEENSO_IJSG_SG_EEES6_PlJS6_EEE10hipError_tPvRmT3_T4_T5_T6_T7_T9_mT8_P12ihipStream_tbDpT10_ENKUlT_T0_E_clISt17integral_constantIbLb1EES1B_EEDaS16_S17_EUlS16_E_NS1_11comp_targetILNS1_3genE2ELNS1_11target_archE906ELNS1_3gpuE6ELNS1_3repE0EEENS1_30default_config_static_selectorELNS0_4arch9wavefront6targetE0EEEvT1_,@function
_ZN7rocprim17ROCPRIM_400000_NS6detail17trampoline_kernelINS0_14default_configENS1_25partition_config_selectorILNS1_17partition_subalgoE5EiNS0_10empty_typeEbEEZZNS1_14partition_implILS5_5ELb0ES3_mN6thrust23THRUST_200600_302600_NS6detail15normal_iteratorINSA_10device_ptrIiEEEEPS6_NSA_18transform_iteratorINSB_9not_fun_tI7is_trueIiEEESF_NSA_11use_defaultESM_EENS0_5tupleIJSF_S6_EEENSO_IJSG_SG_EEES6_PlJS6_EEE10hipError_tPvRmT3_T4_T5_T6_T7_T9_mT8_P12ihipStream_tbDpT10_ENKUlT_T0_E_clISt17integral_constantIbLb1EES1B_EEDaS16_S17_EUlS16_E_NS1_11comp_targetILNS1_3genE2ELNS1_11target_archE906ELNS1_3gpuE6ELNS1_3repE0EEENS1_30default_config_static_selectorELNS0_4arch9wavefront6targetE0EEEvT1_: ; @_ZN7rocprim17ROCPRIM_400000_NS6detail17trampoline_kernelINS0_14default_configENS1_25partition_config_selectorILNS1_17partition_subalgoE5EiNS0_10empty_typeEbEEZZNS1_14partition_implILS5_5ELb0ES3_mN6thrust23THRUST_200600_302600_NS6detail15normal_iteratorINSA_10device_ptrIiEEEEPS6_NSA_18transform_iteratorINSB_9not_fun_tI7is_trueIiEEESF_NSA_11use_defaultESM_EENS0_5tupleIJSF_S6_EEENSO_IJSG_SG_EEES6_PlJS6_EEE10hipError_tPvRmT3_T4_T5_T6_T7_T9_mT8_P12ihipStream_tbDpT10_ENKUlT_T0_E_clISt17integral_constantIbLb1EES1B_EEDaS16_S17_EUlS16_E_NS1_11comp_targetILNS1_3genE2ELNS1_11target_archE906ELNS1_3gpuE6ELNS1_3repE0EEENS1_30default_config_static_selectorELNS0_4arch9wavefront6targetE0EEEvT1_
; %bb.0:
	.section	.rodata,"a",@progbits
	.p2align	6, 0x0
	.amdhsa_kernel _ZN7rocprim17ROCPRIM_400000_NS6detail17trampoline_kernelINS0_14default_configENS1_25partition_config_selectorILNS1_17partition_subalgoE5EiNS0_10empty_typeEbEEZZNS1_14partition_implILS5_5ELb0ES3_mN6thrust23THRUST_200600_302600_NS6detail15normal_iteratorINSA_10device_ptrIiEEEEPS6_NSA_18transform_iteratorINSB_9not_fun_tI7is_trueIiEEESF_NSA_11use_defaultESM_EENS0_5tupleIJSF_S6_EEENSO_IJSG_SG_EEES6_PlJS6_EEE10hipError_tPvRmT3_T4_T5_T6_T7_T9_mT8_P12ihipStream_tbDpT10_ENKUlT_T0_E_clISt17integral_constantIbLb1EES1B_EEDaS16_S17_EUlS16_E_NS1_11comp_targetILNS1_3genE2ELNS1_11target_archE906ELNS1_3gpuE6ELNS1_3repE0EEENS1_30default_config_static_selectorELNS0_4arch9wavefront6targetE0EEEvT1_
		.amdhsa_group_segment_fixed_size 0
		.amdhsa_private_segment_fixed_size 0
		.amdhsa_kernarg_size 136
		.amdhsa_user_sgpr_count 2
		.amdhsa_user_sgpr_dispatch_ptr 0
		.amdhsa_user_sgpr_queue_ptr 0
		.amdhsa_user_sgpr_kernarg_segment_ptr 1
		.amdhsa_user_sgpr_dispatch_id 0
		.amdhsa_user_sgpr_private_segment_size 0
		.amdhsa_wavefront_size32 1
		.amdhsa_uses_dynamic_stack 0
		.amdhsa_enable_private_segment 0
		.amdhsa_system_sgpr_workgroup_id_x 1
		.amdhsa_system_sgpr_workgroup_id_y 0
		.amdhsa_system_sgpr_workgroup_id_z 0
		.amdhsa_system_sgpr_workgroup_info 0
		.amdhsa_system_vgpr_workitem_id 0
		.amdhsa_next_free_vgpr 1
		.amdhsa_next_free_sgpr 1
		.amdhsa_reserve_vcc 0
		.amdhsa_float_round_mode_32 0
		.amdhsa_float_round_mode_16_64 0
		.amdhsa_float_denorm_mode_32 3
		.amdhsa_float_denorm_mode_16_64 3
		.amdhsa_fp16_overflow 0
		.amdhsa_workgroup_processor_mode 1
		.amdhsa_memory_ordered 1
		.amdhsa_forward_progress 1
		.amdhsa_inst_pref_size 0
		.amdhsa_round_robin_scheduling 0
		.amdhsa_exception_fp_ieee_invalid_op 0
		.amdhsa_exception_fp_denorm_src 0
		.amdhsa_exception_fp_ieee_div_zero 0
		.amdhsa_exception_fp_ieee_overflow 0
		.amdhsa_exception_fp_ieee_underflow 0
		.amdhsa_exception_fp_ieee_inexact 0
		.amdhsa_exception_int_div_zero 0
	.end_amdhsa_kernel
	.section	.text._ZN7rocprim17ROCPRIM_400000_NS6detail17trampoline_kernelINS0_14default_configENS1_25partition_config_selectorILNS1_17partition_subalgoE5EiNS0_10empty_typeEbEEZZNS1_14partition_implILS5_5ELb0ES3_mN6thrust23THRUST_200600_302600_NS6detail15normal_iteratorINSA_10device_ptrIiEEEEPS6_NSA_18transform_iteratorINSB_9not_fun_tI7is_trueIiEEESF_NSA_11use_defaultESM_EENS0_5tupleIJSF_S6_EEENSO_IJSG_SG_EEES6_PlJS6_EEE10hipError_tPvRmT3_T4_T5_T6_T7_T9_mT8_P12ihipStream_tbDpT10_ENKUlT_T0_E_clISt17integral_constantIbLb1EES1B_EEDaS16_S17_EUlS16_E_NS1_11comp_targetILNS1_3genE2ELNS1_11target_archE906ELNS1_3gpuE6ELNS1_3repE0EEENS1_30default_config_static_selectorELNS0_4arch9wavefront6targetE0EEEvT1_,"axG",@progbits,_ZN7rocprim17ROCPRIM_400000_NS6detail17trampoline_kernelINS0_14default_configENS1_25partition_config_selectorILNS1_17partition_subalgoE5EiNS0_10empty_typeEbEEZZNS1_14partition_implILS5_5ELb0ES3_mN6thrust23THRUST_200600_302600_NS6detail15normal_iteratorINSA_10device_ptrIiEEEEPS6_NSA_18transform_iteratorINSB_9not_fun_tI7is_trueIiEEESF_NSA_11use_defaultESM_EENS0_5tupleIJSF_S6_EEENSO_IJSG_SG_EEES6_PlJS6_EEE10hipError_tPvRmT3_T4_T5_T6_T7_T9_mT8_P12ihipStream_tbDpT10_ENKUlT_T0_E_clISt17integral_constantIbLb1EES1B_EEDaS16_S17_EUlS16_E_NS1_11comp_targetILNS1_3genE2ELNS1_11target_archE906ELNS1_3gpuE6ELNS1_3repE0EEENS1_30default_config_static_selectorELNS0_4arch9wavefront6targetE0EEEvT1_,comdat
.Lfunc_end1512:
	.size	_ZN7rocprim17ROCPRIM_400000_NS6detail17trampoline_kernelINS0_14default_configENS1_25partition_config_selectorILNS1_17partition_subalgoE5EiNS0_10empty_typeEbEEZZNS1_14partition_implILS5_5ELb0ES3_mN6thrust23THRUST_200600_302600_NS6detail15normal_iteratorINSA_10device_ptrIiEEEEPS6_NSA_18transform_iteratorINSB_9not_fun_tI7is_trueIiEEESF_NSA_11use_defaultESM_EENS0_5tupleIJSF_S6_EEENSO_IJSG_SG_EEES6_PlJS6_EEE10hipError_tPvRmT3_T4_T5_T6_T7_T9_mT8_P12ihipStream_tbDpT10_ENKUlT_T0_E_clISt17integral_constantIbLb1EES1B_EEDaS16_S17_EUlS16_E_NS1_11comp_targetILNS1_3genE2ELNS1_11target_archE906ELNS1_3gpuE6ELNS1_3repE0EEENS1_30default_config_static_selectorELNS0_4arch9wavefront6targetE0EEEvT1_, .Lfunc_end1512-_ZN7rocprim17ROCPRIM_400000_NS6detail17trampoline_kernelINS0_14default_configENS1_25partition_config_selectorILNS1_17partition_subalgoE5EiNS0_10empty_typeEbEEZZNS1_14partition_implILS5_5ELb0ES3_mN6thrust23THRUST_200600_302600_NS6detail15normal_iteratorINSA_10device_ptrIiEEEEPS6_NSA_18transform_iteratorINSB_9not_fun_tI7is_trueIiEEESF_NSA_11use_defaultESM_EENS0_5tupleIJSF_S6_EEENSO_IJSG_SG_EEES6_PlJS6_EEE10hipError_tPvRmT3_T4_T5_T6_T7_T9_mT8_P12ihipStream_tbDpT10_ENKUlT_T0_E_clISt17integral_constantIbLb1EES1B_EEDaS16_S17_EUlS16_E_NS1_11comp_targetILNS1_3genE2ELNS1_11target_archE906ELNS1_3gpuE6ELNS1_3repE0EEENS1_30default_config_static_selectorELNS0_4arch9wavefront6targetE0EEEvT1_
                                        ; -- End function
	.set _ZN7rocprim17ROCPRIM_400000_NS6detail17trampoline_kernelINS0_14default_configENS1_25partition_config_selectorILNS1_17partition_subalgoE5EiNS0_10empty_typeEbEEZZNS1_14partition_implILS5_5ELb0ES3_mN6thrust23THRUST_200600_302600_NS6detail15normal_iteratorINSA_10device_ptrIiEEEEPS6_NSA_18transform_iteratorINSB_9not_fun_tI7is_trueIiEEESF_NSA_11use_defaultESM_EENS0_5tupleIJSF_S6_EEENSO_IJSG_SG_EEES6_PlJS6_EEE10hipError_tPvRmT3_T4_T5_T6_T7_T9_mT8_P12ihipStream_tbDpT10_ENKUlT_T0_E_clISt17integral_constantIbLb1EES1B_EEDaS16_S17_EUlS16_E_NS1_11comp_targetILNS1_3genE2ELNS1_11target_archE906ELNS1_3gpuE6ELNS1_3repE0EEENS1_30default_config_static_selectorELNS0_4arch9wavefront6targetE0EEEvT1_.num_vgpr, 0
	.set _ZN7rocprim17ROCPRIM_400000_NS6detail17trampoline_kernelINS0_14default_configENS1_25partition_config_selectorILNS1_17partition_subalgoE5EiNS0_10empty_typeEbEEZZNS1_14partition_implILS5_5ELb0ES3_mN6thrust23THRUST_200600_302600_NS6detail15normal_iteratorINSA_10device_ptrIiEEEEPS6_NSA_18transform_iteratorINSB_9not_fun_tI7is_trueIiEEESF_NSA_11use_defaultESM_EENS0_5tupleIJSF_S6_EEENSO_IJSG_SG_EEES6_PlJS6_EEE10hipError_tPvRmT3_T4_T5_T6_T7_T9_mT8_P12ihipStream_tbDpT10_ENKUlT_T0_E_clISt17integral_constantIbLb1EES1B_EEDaS16_S17_EUlS16_E_NS1_11comp_targetILNS1_3genE2ELNS1_11target_archE906ELNS1_3gpuE6ELNS1_3repE0EEENS1_30default_config_static_selectorELNS0_4arch9wavefront6targetE0EEEvT1_.num_agpr, 0
	.set _ZN7rocprim17ROCPRIM_400000_NS6detail17trampoline_kernelINS0_14default_configENS1_25partition_config_selectorILNS1_17partition_subalgoE5EiNS0_10empty_typeEbEEZZNS1_14partition_implILS5_5ELb0ES3_mN6thrust23THRUST_200600_302600_NS6detail15normal_iteratorINSA_10device_ptrIiEEEEPS6_NSA_18transform_iteratorINSB_9not_fun_tI7is_trueIiEEESF_NSA_11use_defaultESM_EENS0_5tupleIJSF_S6_EEENSO_IJSG_SG_EEES6_PlJS6_EEE10hipError_tPvRmT3_T4_T5_T6_T7_T9_mT8_P12ihipStream_tbDpT10_ENKUlT_T0_E_clISt17integral_constantIbLb1EES1B_EEDaS16_S17_EUlS16_E_NS1_11comp_targetILNS1_3genE2ELNS1_11target_archE906ELNS1_3gpuE6ELNS1_3repE0EEENS1_30default_config_static_selectorELNS0_4arch9wavefront6targetE0EEEvT1_.numbered_sgpr, 0
	.set _ZN7rocprim17ROCPRIM_400000_NS6detail17trampoline_kernelINS0_14default_configENS1_25partition_config_selectorILNS1_17partition_subalgoE5EiNS0_10empty_typeEbEEZZNS1_14partition_implILS5_5ELb0ES3_mN6thrust23THRUST_200600_302600_NS6detail15normal_iteratorINSA_10device_ptrIiEEEEPS6_NSA_18transform_iteratorINSB_9not_fun_tI7is_trueIiEEESF_NSA_11use_defaultESM_EENS0_5tupleIJSF_S6_EEENSO_IJSG_SG_EEES6_PlJS6_EEE10hipError_tPvRmT3_T4_T5_T6_T7_T9_mT8_P12ihipStream_tbDpT10_ENKUlT_T0_E_clISt17integral_constantIbLb1EES1B_EEDaS16_S17_EUlS16_E_NS1_11comp_targetILNS1_3genE2ELNS1_11target_archE906ELNS1_3gpuE6ELNS1_3repE0EEENS1_30default_config_static_selectorELNS0_4arch9wavefront6targetE0EEEvT1_.num_named_barrier, 0
	.set _ZN7rocprim17ROCPRIM_400000_NS6detail17trampoline_kernelINS0_14default_configENS1_25partition_config_selectorILNS1_17partition_subalgoE5EiNS0_10empty_typeEbEEZZNS1_14partition_implILS5_5ELb0ES3_mN6thrust23THRUST_200600_302600_NS6detail15normal_iteratorINSA_10device_ptrIiEEEEPS6_NSA_18transform_iteratorINSB_9not_fun_tI7is_trueIiEEESF_NSA_11use_defaultESM_EENS0_5tupleIJSF_S6_EEENSO_IJSG_SG_EEES6_PlJS6_EEE10hipError_tPvRmT3_T4_T5_T6_T7_T9_mT8_P12ihipStream_tbDpT10_ENKUlT_T0_E_clISt17integral_constantIbLb1EES1B_EEDaS16_S17_EUlS16_E_NS1_11comp_targetILNS1_3genE2ELNS1_11target_archE906ELNS1_3gpuE6ELNS1_3repE0EEENS1_30default_config_static_selectorELNS0_4arch9wavefront6targetE0EEEvT1_.private_seg_size, 0
	.set _ZN7rocprim17ROCPRIM_400000_NS6detail17trampoline_kernelINS0_14default_configENS1_25partition_config_selectorILNS1_17partition_subalgoE5EiNS0_10empty_typeEbEEZZNS1_14partition_implILS5_5ELb0ES3_mN6thrust23THRUST_200600_302600_NS6detail15normal_iteratorINSA_10device_ptrIiEEEEPS6_NSA_18transform_iteratorINSB_9not_fun_tI7is_trueIiEEESF_NSA_11use_defaultESM_EENS0_5tupleIJSF_S6_EEENSO_IJSG_SG_EEES6_PlJS6_EEE10hipError_tPvRmT3_T4_T5_T6_T7_T9_mT8_P12ihipStream_tbDpT10_ENKUlT_T0_E_clISt17integral_constantIbLb1EES1B_EEDaS16_S17_EUlS16_E_NS1_11comp_targetILNS1_3genE2ELNS1_11target_archE906ELNS1_3gpuE6ELNS1_3repE0EEENS1_30default_config_static_selectorELNS0_4arch9wavefront6targetE0EEEvT1_.uses_vcc, 0
	.set _ZN7rocprim17ROCPRIM_400000_NS6detail17trampoline_kernelINS0_14default_configENS1_25partition_config_selectorILNS1_17partition_subalgoE5EiNS0_10empty_typeEbEEZZNS1_14partition_implILS5_5ELb0ES3_mN6thrust23THRUST_200600_302600_NS6detail15normal_iteratorINSA_10device_ptrIiEEEEPS6_NSA_18transform_iteratorINSB_9not_fun_tI7is_trueIiEEESF_NSA_11use_defaultESM_EENS0_5tupleIJSF_S6_EEENSO_IJSG_SG_EEES6_PlJS6_EEE10hipError_tPvRmT3_T4_T5_T6_T7_T9_mT8_P12ihipStream_tbDpT10_ENKUlT_T0_E_clISt17integral_constantIbLb1EES1B_EEDaS16_S17_EUlS16_E_NS1_11comp_targetILNS1_3genE2ELNS1_11target_archE906ELNS1_3gpuE6ELNS1_3repE0EEENS1_30default_config_static_selectorELNS0_4arch9wavefront6targetE0EEEvT1_.uses_flat_scratch, 0
	.set _ZN7rocprim17ROCPRIM_400000_NS6detail17trampoline_kernelINS0_14default_configENS1_25partition_config_selectorILNS1_17partition_subalgoE5EiNS0_10empty_typeEbEEZZNS1_14partition_implILS5_5ELb0ES3_mN6thrust23THRUST_200600_302600_NS6detail15normal_iteratorINSA_10device_ptrIiEEEEPS6_NSA_18transform_iteratorINSB_9not_fun_tI7is_trueIiEEESF_NSA_11use_defaultESM_EENS0_5tupleIJSF_S6_EEENSO_IJSG_SG_EEES6_PlJS6_EEE10hipError_tPvRmT3_T4_T5_T6_T7_T9_mT8_P12ihipStream_tbDpT10_ENKUlT_T0_E_clISt17integral_constantIbLb1EES1B_EEDaS16_S17_EUlS16_E_NS1_11comp_targetILNS1_3genE2ELNS1_11target_archE906ELNS1_3gpuE6ELNS1_3repE0EEENS1_30default_config_static_selectorELNS0_4arch9wavefront6targetE0EEEvT1_.has_dyn_sized_stack, 0
	.set _ZN7rocprim17ROCPRIM_400000_NS6detail17trampoline_kernelINS0_14default_configENS1_25partition_config_selectorILNS1_17partition_subalgoE5EiNS0_10empty_typeEbEEZZNS1_14partition_implILS5_5ELb0ES3_mN6thrust23THRUST_200600_302600_NS6detail15normal_iteratorINSA_10device_ptrIiEEEEPS6_NSA_18transform_iteratorINSB_9not_fun_tI7is_trueIiEEESF_NSA_11use_defaultESM_EENS0_5tupleIJSF_S6_EEENSO_IJSG_SG_EEES6_PlJS6_EEE10hipError_tPvRmT3_T4_T5_T6_T7_T9_mT8_P12ihipStream_tbDpT10_ENKUlT_T0_E_clISt17integral_constantIbLb1EES1B_EEDaS16_S17_EUlS16_E_NS1_11comp_targetILNS1_3genE2ELNS1_11target_archE906ELNS1_3gpuE6ELNS1_3repE0EEENS1_30default_config_static_selectorELNS0_4arch9wavefront6targetE0EEEvT1_.has_recursion, 0
	.set _ZN7rocprim17ROCPRIM_400000_NS6detail17trampoline_kernelINS0_14default_configENS1_25partition_config_selectorILNS1_17partition_subalgoE5EiNS0_10empty_typeEbEEZZNS1_14partition_implILS5_5ELb0ES3_mN6thrust23THRUST_200600_302600_NS6detail15normal_iteratorINSA_10device_ptrIiEEEEPS6_NSA_18transform_iteratorINSB_9not_fun_tI7is_trueIiEEESF_NSA_11use_defaultESM_EENS0_5tupleIJSF_S6_EEENSO_IJSG_SG_EEES6_PlJS6_EEE10hipError_tPvRmT3_T4_T5_T6_T7_T9_mT8_P12ihipStream_tbDpT10_ENKUlT_T0_E_clISt17integral_constantIbLb1EES1B_EEDaS16_S17_EUlS16_E_NS1_11comp_targetILNS1_3genE2ELNS1_11target_archE906ELNS1_3gpuE6ELNS1_3repE0EEENS1_30default_config_static_selectorELNS0_4arch9wavefront6targetE0EEEvT1_.has_indirect_call, 0
	.section	.AMDGPU.csdata,"",@progbits
; Kernel info:
; codeLenInByte = 0
; TotalNumSgprs: 0
; NumVgprs: 0
; ScratchSize: 0
; MemoryBound: 0
; FloatMode: 240
; IeeeMode: 1
; LDSByteSize: 0 bytes/workgroup (compile time only)
; SGPRBlocks: 0
; VGPRBlocks: 0
; NumSGPRsForWavesPerEU: 1
; NumVGPRsForWavesPerEU: 1
; Occupancy: 16
; WaveLimiterHint : 0
; COMPUTE_PGM_RSRC2:SCRATCH_EN: 0
; COMPUTE_PGM_RSRC2:USER_SGPR: 2
; COMPUTE_PGM_RSRC2:TRAP_HANDLER: 0
; COMPUTE_PGM_RSRC2:TGID_X_EN: 1
; COMPUTE_PGM_RSRC2:TGID_Y_EN: 0
; COMPUTE_PGM_RSRC2:TGID_Z_EN: 0
; COMPUTE_PGM_RSRC2:TIDIG_COMP_CNT: 0
	.section	.text._ZN7rocprim17ROCPRIM_400000_NS6detail17trampoline_kernelINS0_14default_configENS1_25partition_config_selectorILNS1_17partition_subalgoE5EiNS0_10empty_typeEbEEZZNS1_14partition_implILS5_5ELb0ES3_mN6thrust23THRUST_200600_302600_NS6detail15normal_iteratorINSA_10device_ptrIiEEEEPS6_NSA_18transform_iteratorINSB_9not_fun_tI7is_trueIiEEESF_NSA_11use_defaultESM_EENS0_5tupleIJSF_S6_EEENSO_IJSG_SG_EEES6_PlJS6_EEE10hipError_tPvRmT3_T4_T5_T6_T7_T9_mT8_P12ihipStream_tbDpT10_ENKUlT_T0_E_clISt17integral_constantIbLb1EES1B_EEDaS16_S17_EUlS16_E_NS1_11comp_targetILNS1_3genE10ELNS1_11target_archE1200ELNS1_3gpuE4ELNS1_3repE0EEENS1_30default_config_static_selectorELNS0_4arch9wavefront6targetE0EEEvT1_,"axG",@progbits,_ZN7rocprim17ROCPRIM_400000_NS6detail17trampoline_kernelINS0_14default_configENS1_25partition_config_selectorILNS1_17partition_subalgoE5EiNS0_10empty_typeEbEEZZNS1_14partition_implILS5_5ELb0ES3_mN6thrust23THRUST_200600_302600_NS6detail15normal_iteratorINSA_10device_ptrIiEEEEPS6_NSA_18transform_iteratorINSB_9not_fun_tI7is_trueIiEEESF_NSA_11use_defaultESM_EENS0_5tupleIJSF_S6_EEENSO_IJSG_SG_EEES6_PlJS6_EEE10hipError_tPvRmT3_T4_T5_T6_T7_T9_mT8_P12ihipStream_tbDpT10_ENKUlT_T0_E_clISt17integral_constantIbLb1EES1B_EEDaS16_S17_EUlS16_E_NS1_11comp_targetILNS1_3genE10ELNS1_11target_archE1200ELNS1_3gpuE4ELNS1_3repE0EEENS1_30default_config_static_selectorELNS0_4arch9wavefront6targetE0EEEvT1_,comdat
	.protected	_ZN7rocprim17ROCPRIM_400000_NS6detail17trampoline_kernelINS0_14default_configENS1_25partition_config_selectorILNS1_17partition_subalgoE5EiNS0_10empty_typeEbEEZZNS1_14partition_implILS5_5ELb0ES3_mN6thrust23THRUST_200600_302600_NS6detail15normal_iteratorINSA_10device_ptrIiEEEEPS6_NSA_18transform_iteratorINSB_9not_fun_tI7is_trueIiEEESF_NSA_11use_defaultESM_EENS0_5tupleIJSF_S6_EEENSO_IJSG_SG_EEES6_PlJS6_EEE10hipError_tPvRmT3_T4_T5_T6_T7_T9_mT8_P12ihipStream_tbDpT10_ENKUlT_T0_E_clISt17integral_constantIbLb1EES1B_EEDaS16_S17_EUlS16_E_NS1_11comp_targetILNS1_3genE10ELNS1_11target_archE1200ELNS1_3gpuE4ELNS1_3repE0EEENS1_30default_config_static_selectorELNS0_4arch9wavefront6targetE0EEEvT1_ ; -- Begin function _ZN7rocprim17ROCPRIM_400000_NS6detail17trampoline_kernelINS0_14default_configENS1_25partition_config_selectorILNS1_17partition_subalgoE5EiNS0_10empty_typeEbEEZZNS1_14partition_implILS5_5ELb0ES3_mN6thrust23THRUST_200600_302600_NS6detail15normal_iteratorINSA_10device_ptrIiEEEEPS6_NSA_18transform_iteratorINSB_9not_fun_tI7is_trueIiEEESF_NSA_11use_defaultESM_EENS0_5tupleIJSF_S6_EEENSO_IJSG_SG_EEES6_PlJS6_EEE10hipError_tPvRmT3_T4_T5_T6_T7_T9_mT8_P12ihipStream_tbDpT10_ENKUlT_T0_E_clISt17integral_constantIbLb1EES1B_EEDaS16_S17_EUlS16_E_NS1_11comp_targetILNS1_3genE10ELNS1_11target_archE1200ELNS1_3gpuE4ELNS1_3repE0EEENS1_30default_config_static_selectorELNS0_4arch9wavefront6targetE0EEEvT1_
	.globl	_ZN7rocprim17ROCPRIM_400000_NS6detail17trampoline_kernelINS0_14default_configENS1_25partition_config_selectorILNS1_17partition_subalgoE5EiNS0_10empty_typeEbEEZZNS1_14partition_implILS5_5ELb0ES3_mN6thrust23THRUST_200600_302600_NS6detail15normal_iteratorINSA_10device_ptrIiEEEEPS6_NSA_18transform_iteratorINSB_9not_fun_tI7is_trueIiEEESF_NSA_11use_defaultESM_EENS0_5tupleIJSF_S6_EEENSO_IJSG_SG_EEES6_PlJS6_EEE10hipError_tPvRmT3_T4_T5_T6_T7_T9_mT8_P12ihipStream_tbDpT10_ENKUlT_T0_E_clISt17integral_constantIbLb1EES1B_EEDaS16_S17_EUlS16_E_NS1_11comp_targetILNS1_3genE10ELNS1_11target_archE1200ELNS1_3gpuE4ELNS1_3repE0EEENS1_30default_config_static_selectorELNS0_4arch9wavefront6targetE0EEEvT1_
	.p2align	8
	.type	_ZN7rocprim17ROCPRIM_400000_NS6detail17trampoline_kernelINS0_14default_configENS1_25partition_config_selectorILNS1_17partition_subalgoE5EiNS0_10empty_typeEbEEZZNS1_14partition_implILS5_5ELb0ES3_mN6thrust23THRUST_200600_302600_NS6detail15normal_iteratorINSA_10device_ptrIiEEEEPS6_NSA_18transform_iteratorINSB_9not_fun_tI7is_trueIiEEESF_NSA_11use_defaultESM_EENS0_5tupleIJSF_S6_EEENSO_IJSG_SG_EEES6_PlJS6_EEE10hipError_tPvRmT3_T4_T5_T6_T7_T9_mT8_P12ihipStream_tbDpT10_ENKUlT_T0_E_clISt17integral_constantIbLb1EES1B_EEDaS16_S17_EUlS16_E_NS1_11comp_targetILNS1_3genE10ELNS1_11target_archE1200ELNS1_3gpuE4ELNS1_3repE0EEENS1_30default_config_static_selectorELNS0_4arch9wavefront6targetE0EEEvT1_,@function
_ZN7rocprim17ROCPRIM_400000_NS6detail17trampoline_kernelINS0_14default_configENS1_25partition_config_selectorILNS1_17partition_subalgoE5EiNS0_10empty_typeEbEEZZNS1_14partition_implILS5_5ELb0ES3_mN6thrust23THRUST_200600_302600_NS6detail15normal_iteratorINSA_10device_ptrIiEEEEPS6_NSA_18transform_iteratorINSB_9not_fun_tI7is_trueIiEEESF_NSA_11use_defaultESM_EENS0_5tupleIJSF_S6_EEENSO_IJSG_SG_EEES6_PlJS6_EEE10hipError_tPvRmT3_T4_T5_T6_T7_T9_mT8_P12ihipStream_tbDpT10_ENKUlT_T0_E_clISt17integral_constantIbLb1EES1B_EEDaS16_S17_EUlS16_E_NS1_11comp_targetILNS1_3genE10ELNS1_11target_archE1200ELNS1_3gpuE4ELNS1_3repE0EEENS1_30default_config_static_selectorELNS0_4arch9wavefront6targetE0EEEvT1_: ; @_ZN7rocprim17ROCPRIM_400000_NS6detail17trampoline_kernelINS0_14default_configENS1_25partition_config_selectorILNS1_17partition_subalgoE5EiNS0_10empty_typeEbEEZZNS1_14partition_implILS5_5ELb0ES3_mN6thrust23THRUST_200600_302600_NS6detail15normal_iteratorINSA_10device_ptrIiEEEEPS6_NSA_18transform_iteratorINSB_9not_fun_tI7is_trueIiEEESF_NSA_11use_defaultESM_EENS0_5tupleIJSF_S6_EEENSO_IJSG_SG_EEES6_PlJS6_EEE10hipError_tPvRmT3_T4_T5_T6_T7_T9_mT8_P12ihipStream_tbDpT10_ENKUlT_T0_E_clISt17integral_constantIbLb1EES1B_EEDaS16_S17_EUlS16_E_NS1_11comp_targetILNS1_3genE10ELNS1_11target_archE1200ELNS1_3gpuE4ELNS1_3repE0EEENS1_30default_config_static_selectorELNS0_4arch9wavefront6targetE0EEEvT1_
; %bb.0:
	s_endpgm
	.section	.rodata,"a",@progbits
	.p2align	6, 0x0
	.amdhsa_kernel _ZN7rocprim17ROCPRIM_400000_NS6detail17trampoline_kernelINS0_14default_configENS1_25partition_config_selectorILNS1_17partition_subalgoE5EiNS0_10empty_typeEbEEZZNS1_14partition_implILS5_5ELb0ES3_mN6thrust23THRUST_200600_302600_NS6detail15normal_iteratorINSA_10device_ptrIiEEEEPS6_NSA_18transform_iteratorINSB_9not_fun_tI7is_trueIiEEESF_NSA_11use_defaultESM_EENS0_5tupleIJSF_S6_EEENSO_IJSG_SG_EEES6_PlJS6_EEE10hipError_tPvRmT3_T4_T5_T6_T7_T9_mT8_P12ihipStream_tbDpT10_ENKUlT_T0_E_clISt17integral_constantIbLb1EES1B_EEDaS16_S17_EUlS16_E_NS1_11comp_targetILNS1_3genE10ELNS1_11target_archE1200ELNS1_3gpuE4ELNS1_3repE0EEENS1_30default_config_static_selectorELNS0_4arch9wavefront6targetE0EEEvT1_
		.amdhsa_group_segment_fixed_size 0
		.amdhsa_private_segment_fixed_size 0
		.amdhsa_kernarg_size 136
		.amdhsa_user_sgpr_count 2
		.amdhsa_user_sgpr_dispatch_ptr 0
		.amdhsa_user_sgpr_queue_ptr 0
		.amdhsa_user_sgpr_kernarg_segment_ptr 1
		.amdhsa_user_sgpr_dispatch_id 0
		.amdhsa_user_sgpr_private_segment_size 0
		.amdhsa_wavefront_size32 1
		.amdhsa_uses_dynamic_stack 0
		.amdhsa_enable_private_segment 0
		.amdhsa_system_sgpr_workgroup_id_x 1
		.amdhsa_system_sgpr_workgroup_id_y 0
		.amdhsa_system_sgpr_workgroup_id_z 0
		.amdhsa_system_sgpr_workgroup_info 0
		.amdhsa_system_vgpr_workitem_id 0
		.amdhsa_next_free_vgpr 1
		.amdhsa_next_free_sgpr 1
		.amdhsa_reserve_vcc 0
		.amdhsa_float_round_mode_32 0
		.amdhsa_float_round_mode_16_64 0
		.amdhsa_float_denorm_mode_32 3
		.amdhsa_float_denorm_mode_16_64 3
		.amdhsa_fp16_overflow 0
		.amdhsa_workgroup_processor_mode 1
		.amdhsa_memory_ordered 1
		.amdhsa_forward_progress 1
		.amdhsa_inst_pref_size 1
		.amdhsa_round_robin_scheduling 0
		.amdhsa_exception_fp_ieee_invalid_op 0
		.amdhsa_exception_fp_denorm_src 0
		.amdhsa_exception_fp_ieee_div_zero 0
		.amdhsa_exception_fp_ieee_overflow 0
		.amdhsa_exception_fp_ieee_underflow 0
		.amdhsa_exception_fp_ieee_inexact 0
		.amdhsa_exception_int_div_zero 0
	.end_amdhsa_kernel
	.section	.text._ZN7rocprim17ROCPRIM_400000_NS6detail17trampoline_kernelINS0_14default_configENS1_25partition_config_selectorILNS1_17partition_subalgoE5EiNS0_10empty_typeEbEEZZNS1_14partition_implILS5_5ELb0ES3_mN6thrust23THRUST_200600_302600_NS6detail15normal_iteratorINSA_10device_ptrIiEEEEPS6_NSA_18transform_iteratorINSB_9not_fun_tI7is_trueIiEEESF_NSA_11use_defaultESM_EENS0_5tupleIJSF_S6_EEENSO_IJSG_SG_EEES6_PlJS6_EEE10hipError_tPvRmT3_T4_T5_T6_T7_T9_mT8_P12ihipStream_tbDpT10_ENKUlT_T0_E_clISt17integral_constantIbLb1EES1B_EEDaS16_S17_EUlS16_E_NS1_11comp_targetILNS1_3genE10ELNS1_11target_archE1200ELNS1_3gpuE4ELNS1_3repE0EEENS1_30default_config_static_selectorELNS0_4arch9wavefront6targetE0EEEvT1_,"axG",@progbits,_ZN7rocprim17ROCPRIM_400000_NS6detail17trampoline_kernelINS0_14default_configENS1_25partition_config_selectorILNS1_17partition_subalgoE5EiNS0_10empty_typeEbEEZZNS1_14partition_implILS5_5ELb0ES3_mN6thrust23THRUST_200600_302600_NS6detail15normal_iteratorINSA_10device_ptrIiEEEEPS6_NSA_18transform_iteratorINSB_9not_fun_tI7is_trueIiEEESF_NSA_11use_defaultESM_EENS0_5tupleIJSF_S6_EEENSO_IJSG_SG_EEES6_PlJS6_EEE10hipError_tPvRmT3_T4_T5_T6_T7_T9_mT8_P12ihipStream_tbDpT10_ENKUlT_T0_E_clISt17integral_constantIbLb1EES1B_EEDaS16_S17_EUlS16_E_NS1_11comp_targetILNS1_3genE10ELNS1_11target_archE1200ELNS1_3gpuE4ELNS1_3repE0EEENS1_30default_config_static_selectorELNS0_4arch9wavefront6targetE0EEEvT1_,comdat
.Lfunc_end1513:
	.size	_ZN7rocprim17ROCPRIM_400000_NS6detail17trampoline_kernelINS0_14default_configENS1_25partition_config_selectorILNS1_17partition_subalgoE5EiNS0_10empty_typeEbEEZZNS1_14partition_implILS5_5ELb0ES3_mN6thrust23THRUST_200600_302600_NS6detail15normal_iteratorINSA_10device_ptrIiEEEEPS6_NSA_18transform_iteratorINSB_9not_fun_tI7is_trueIiEEESF_NSA_11use_defaultESM_EENS0_5tupleIJSF_S6_EEENSO_IJSG_SG_EEES6_PlJS6_EEE10hipError_tPvRmT3_T4_T5_T6_T7_T9_mT8_P12ihipStream_tbDpT10_ENKUlT_T0_E_clISt17integral_constantIbLb1EES1B_EEDaS16_S17_EUlS16_E_NS1_11comp_targetILNS1_3genE10ELNS1_11target_archE1200ELNS1_3gpuE4ELNS1_3repE0EEENS1_30default_config_static_selectorELNS0_4arch9wavefront6targetE0EEEvT1_, .Lfunc_end1513-_ZN7rocprim17ROCPRIM_400000_NS6detail17trampoline_kernelINS0_14default_configENS1_25partition_config_selectorILNS1_17partition_subalgoE5EiNS0_10empty_typeEbEEZZNS1_14partition_implILS5_5ELb0ES3_mN6thrust23THRUST_200600_302600_NS6detail15normal_iteratorINSA_10device_ptrIiEEEEPS6_NSA_18transform_iteratorINSB_9not_fun_tI7is_trueIiEEESF_NSA_11use_defaultESM_EENS0_5tupleIJSF_S6_EEENSO_IJSG_SG_EEES6_PlJS6_EEE10hipError_tPvRmT3_T4_T5_T6_T7_T9_mT8_P12ihipStream_tbDpT10_ENKUlT_T0_E_clISt17integral_constantIbLb1EES1B_EEDaS16_S17_EUlS16_E_NS1_11comp_targetILNS1_3genE10ELNS1_11target_archE1200ELNS1_3gpuE4ELNS1_3repE0EEENS1_30default_config_static_selectorELNS0_4arch9wavefront6targetE0EEEvT1_
                                        ; -- End function
	.set _ZN7rocprim17ROCPRIM_400000_NS6detail17trampoline_kernelINS0_14default_configENS1_25partition_config_selectorILNS1_17partition_subalgoE5EiNS0_10empty_typeEbEEZZNS1_14partition_implILS5_5ELb0ES3_mN6thrust23THRUST_200600_302600_NS6detail15normal_iteratorINSA_10device_ptrIiEEEEPS6_NSA_18transform_iteratorINSB_9not_fun_tI7is_trueIiEEESF_NSA_11use_defaultESM_EENS0_5tupleIJSF_S6_EEENSO_IJSG_SG_EEES6_PlJS6_EEE10hipError_tPvRmT3_T4_T5_T6_T7_T9_mT8_P12ihipStream_tbDpT10_ENKUlT_T0_E_clISt17integral_constantIbLb1EES1B_EEDaS16_S17_EUlS16_E_NS1_11comp_targetILNS1_3genE10ELNS1_11target_archE1200ELNS1_3gpuE4ELNS1_3repE0EEENS1_30default_config_static_selectorELNS0_4arch9wavefront6targetE0EEEvT1_.num_vgpr, 0
	.set _ZN7rocprim17ROCPRIM_400000_NS6detail17trampoline_kernelINS0_14default_configENS1_25partition_config_selectorILNS1_17partition_subalgoE5EiNS0_10empty_typeEbEEZZNS1_14partition_implILS5_5ELb0ES3_mN6thrust23THRUST_200600_302600_NS6detail15normal_iteratorINSA_10device_ptrIiEEEEPS6_NSA_18transform_iteratorINSB_9not_fun_tI7is_trueIiEEESF_NSA_11use_defaultESM_EENS0_5tupleIJSF_S6_EEENSO_IJSG_SG_EEES6_PlJS6_EEE10hipError_tPvRmT3_T4_T5_T6_T7_T9_mT8_P12ihipStream_tbDpT10_ENKUlT_T0_E_clISt17integral_constantIbLb1EES1B_EEDaS16_S17_EUlS16_E_NS1_11comp_targetILNS1_3genE10ELNS1_11target_archE1200ELNS1_3gpuE4ELNS1_3repE0EEENS1_30default_config_static_selectorELNS0_4arch9wavefront6targetE0EEEvT1_.num_agpr, 0
	.set _ZN7rocprim17ROCPRIM_400000_NS6detail17trampoline_kernelINS0_14default_configENS1_25partition_config_selectorILNS1_17partition_subalgoE5EiNS0_10empty_typeEbEEZZNS1_14partition_implILS5_5ELb0ES3_mN6thrust23THRUST_200600_302600_NS6detail15normal_iteratorINSA_10device_ptrIiEEEEPS6_NSA_18transform_iteratorINSB_9not_fun_tI7is_trueIiEEESF_NSA_11use_defaultESM_EENS0_5tupleIJSF_S6_EEENSO_IJSG_SG_EEES6_PlJS6_EEE10hipError_tPvRmT3_T4_T5_T6_T7_T9_mT8_P12ihipStream_tbDpT10_ENKUlT_T0_E_clISt17integral_constantIbLb1EES1B_EEDaS16_S17_EUlS16_E_NS1_11comp_targetILNS1_3genE10ELNS1_11target_archE1200ELNS1_3gpuE4ELNS1_3repE0EEENS1_30default_config_static_selectorELNS0_4arch9wavefront6targetE0EEEvT1_.numbered_sgpr, 0
	.set _ZN7rocprim17ROCPRIM_400000_NS6detail17trampoline_kernelINS0_14default_configENS1_25partition_config_selectorILNS1_17partition_subalgoE5EiNS0_10empty_typeEbEEZZNS1_14partition_implILS5_5ELb0ES3_mN6thrust23THRUST_200600_302600_NS6detail15normal_iteratorINSA_10device_ptrIiEEEEPS6_NSA_18transform_iteratorINSB_9not_fun_tI7is_trueIiEEESF_NSA_11use_defaultESM_EENS0_5tupleIJSF_S6_EEENSO_IJSG_SG_EEES6_PlJS6_EEE10hipError_tPvRmT3_T4_T5_T6_T7_T9_mT8_P12ihipStream_tbDpT10_ENKUlT_T0_E_clISt17integral_constantIbLb1EES1B_EEDaS16_S17_EUlS16_E_NS1_11comp_targetILNS1_3genE10ELNS1_11target_archE1200ELNS1_3gpuE4ELNS1_3repE0EEENS1_30default_config_static_selectorELNS0_4arch9wavefront6targetE0EEEvT1_.num_named_barrier, 0
	.set _ZN7rocprim17ROCPRIM_400000_NS6detail17trampoline_kernelINS0_14default_configENS1_25partition_config_selectorILNS1_17partition_subalgoE5EiNS0_10empty_typeEbEEZZNS1_14partition_implILS5_5ELb0ES3_mN6thrust23THRUST_200600_302600_NS6detail15normal_iteratorINSA_10device_ptrIiEEEEPS6_NSA_18transform_iteratorINSB_9not_fun_tI7is_trueIiEEESF_NSA_11use_defaultESM_EENS0_5tupleIJSF_S6_EEENSO_IJSG_SG_EEES6_PlJS6_EEE10hipError_tPvRmT3_T4_T5_T6_T7_T9_mT8_P12ihipStream_tbDpT10_ENKUlT_T0_E_clISt17integral_constantIbLb1EES1B_EEDaS16_S17_EUlS16_E_NS1_11comp_targetILNS1_3genE10ELNS1_11target_archE1200ELNS1_3gpuE4ELNS1_3repE0EEENS1_30default_config_static_selectorELNS0_4arch9wavefront6targetE0EEEvT1_.private_seg_size, 0
	.set _ZN7rocprim17ROCPRIM_400000_NS6detail17trampoline_kernelINS0_14default_configENS1_25partition_config_selectorILNS1_17partition_subalgoE5EiNS0_10empty_typeEbEEZZNS1_14partition_implILS5_5ELb0ES3_mN6thrust23THRUST_200600_302600_NS6detail15normal_iteratorINSA_10device_ptrIiEEEEPS6_NSA_18transform_iteratorINSB_9not_fun_tI7is_trueIiEEESF_NSA_11use_defaultESM_EENS0_5tupleIJSF_S6_EEENSO_IJSG_SG_EEES6_PlJS6_EEE10hipError_tPvRmT3_T4_T5_T6_T7_T9_mT8_P12ihipStream_tbDpT10_ENKUlT_T0_E_clISt17integral_constantIbLb1EES1B_EEDaS16_S17_EUlS16_E_NS1_11comp_targetILNS1_3genE10ELNS1_11target_archE1200ELNS1_3gpuE4ELNS1_3repE0EEENS1_30default_config_static_selectorELNS0_4arch9wavefront6targetE0EEEvT1_.uses_vcc, 0
	.set _ZN7rocprim17ROCPRIM_400000_NS6detail17trampoline_kernelINS0_14default_configENS1_25partition_config_selectorILNS1_17partition_subalgoE5EiNS0_10empty_typeEbEEZZNS1_14partition_implILS5_5ELb0ES3_mN6thrust23THRUST_200600_302600_NS6detail15normal_iteratorINSA_10device_ptrIiEEEEPS6_NSA_18transform_iteratorINSB_9not_fun_tI7is_trueIiEEESF_NSA_11use_defaultESM_EENS0_5tupleIJSF_S6_EEENSO_IJSG_SG_EEES6_PlJS6_EEE10hipError_tPvRmT3_T4_T5_T6_T7_T9_mT8_P12ihipStream_tbDpT10_ENKUlT_T0_E_clISt17integral_constantIbLb1EES1B_EEDaS16_S17_EUlS16_E_NS1_11comp_targetILNS1_3genE10ELNS1_11target_archE1200ELNS1_3gpuE4ELNS1_3repE0EEENS1_30default_config_static_selectorELNS0_4arch9wavefront6targetE0EEEvT1_.uses_flat_scratch, 0
	.set _ZN7rocprim17ROCPRIM_400000_NS6detail17trampoline_kernelINS0_14default_configENS1_25partition_config_selectorILNS1_17partition_subalgoE5EiNS0_10empty_typeEbEEZZNS1_14partition_implILS5_5ELb0ES3_mN6thrust23THRUST_200600_302600_NS6detail15normal_iteratorINSA_10device_ptrIiEEEEPS6_NSA_18transform_iteratorINSB_9not_fun_tI7is_trueIiEEESF_NSA_11use_defaultESM_EENS0_5tupleIJSF_S6_EEENSO_IJSG_SG_EEES6_PlJS6_EEE10hipError_tPvRmT3_T4_T5_T6_T7_T9_mT8_P12ihipStream_tbDpT10_ENKUlT_T0_E_clISt17integral_constantIbLb1EES1B_EEDaS16_S17_EUlS16_E_NS1_11comp_targetILNS1_3genE10ELNS1_11target_archE1200ELNS1_3gpuE4ELNS1_3repE0EEENS1_30default_config_static_selectorELNS0_4arch9wavefront6targetE0EEEvT1_.has_dyn_sized_stack, 0
	.set _ZN7rocprim17ROCPRIM_400000_NS6detail17trampoline_kernelINS0_14default_configENS1_25partition_config_selectorILNS1_17partition_subalgoE5EiNS0_10empty_typeEbEEZZNS1_14partition_implILS5_5ELb0ES3_mN6thrust23THRUST_200600_302600_NS6detail15normal_iteratorINSA_10device_ptrIiEEEEPS6_NSA_18transform_iteratorINSB_9not_fun_tI7is_trueIiEEESF_NSA_11use_defaultESM_EENS0_5tupleIJSF_S6_EEENSO_IJSG_SG_EEES6_PlJS6_EEE10hipError_tPvRmT3_T4_T5_T6_T7_T9_mT8_P12ihipStream_tbDpT10_ENKUlT_T0_E_clISt17integral_constantIbLb1EES1B_EEDaS16_S17_EUlS16_E_NS1_11comp_targetILNS1_3genE10ELNS1_11target_archE1200ELNS1_3gpuE4ELNS1_3repE0EEENS1_30default_config_static_selectorELNS0_4arch9wavefront6targetE0EEEvT1_.has_recursion, 0
	.set _ZN7rocprim17ROCPRIM_400000_NS6detail17trampoline_kernelINS0_14default_configENS1_25partition_config_selectorILNS1_17partition_subalgoE5EiNS0_10empty_typeEbEEZZNS1_14partition_implILS5_5ELb0ES3_mN6thrust23THRUST_200600_302600_NS6detail15normal_iteratorINSA_10device_ptrIiEEEEPS6_NSA_18transform_iteratorINSB_9not_fun_tI7is_trueIiEEESF_NSA_11use_defaultESM_EENS0_5tupleIJSF_S6_EEENSO_IJSG_SG_EEES6_PlJS6_EEE10hipError_tPvRmT3_T4_T5_T6_T7_T9_mT8_P12ihipStream_tbDpT10_ENKUlT_T0_E_clISt17integral_constantIbLb1EES1B_EEDaS16_S17_EUlS16_E_NS1_11comp_targetILNS1_3genE10ELNS1_11target_archE1200ELNS1_3gpuE4ELNS1_3repE0EEENS1_30default_config_static_selectorELNS0_4arch9wavefront6targetE0EEEvT1_.has_indirect_call, 0
	.section	.AMDGPU.csdata,"",@progbits
; Kernel info:
; codeLenInByte = 4
; TotalNumSgprs: 0
; NumVgprs: 0
; ScratchSize: 0
; MemoryBound: 0
; FloatMode: 240
; IeeeMode: 1
; LDSByteSize: 0 bytes/workgroup (compile time only)
; SGPRBlocks: 0
; VGPRBlocks: 0
; NumSGPRsForWavesPerEU: 1
; NumVGPRsForWavesPerEU: 1
; Occupancy: 16
; WaveLimiterHint : 0
; COMPUTE_PGM_RSRC2:SCRATCH_EN: 0
; COMPUTE_PGM_RSRC2:USER_SGPR: 2
; COMPUTE_PGM_RSRC2:TRAP_HANDLER: 0
; COMPUTE_PGM_RSRC2:TGID_X_EN: 1
; COMPUTE_PGM_RSRC2:TGID_Y_EN: 0
; COMPUTE_PGM_RSRC2:TGID_Z_EN: 0
; COMPUTE_PGM_RSRC2:TIDIG_COMP_CNT: 0
	.section	.text._ZN7rocprim17ROCPRIM_400000_NS6detail17trampoline_kernelINS0_14default_configENS1_25partition_config_selectorILNS1_17partition_subalgoE5EiNS0_10empty_typeEbEEZZNS1_14partition_implILS5_5ELb0ES3_mN6thrust23THRUST_200600_302600_NS6detail15normal_iteratorINSA_10device_ptrIiEEEEPS6_NSA_18transform_iteratorINSB_9not_fun_tI7is_trueIiEEESF_NSA_11use_defaultESM_EENS0_5tupleIJSF_S6_EEENSO_IJSG_SG_EEES6_PlJS6_EEE10hipError_tPvRmT3_T4_T5_T6_T7_T9_mT8_P12ihipStream_tbDpT10_ENKUlT_T0_E_clISt17integral_constantIbLb1EES1B_EEDaS16_S17_EUlS16_E_NS1_11comp_targetILNS1_3genE9ELNS1_11target_archE1100ELNS1_3gpuE3ELNS1_3repE0EEENS1_30default_config_static_selectorELNS0_4arch9wavefront6targetE0EEEvT1_,"axG",@progbits,_ZN7rocprim17ROCPRIM_400000_NS6detail17trampoline_kernelINS0_14default_configENS1_25partition_config_selectorILNS1_17partition_subalgoE5EiNS0_10empty_typeEbEEZZNS1_14partition_implILS5_5ELb0ES3_mN6thrust23THRUST_200600_302600_NS6detail15normal_iteratorINSA_10device_ptrIiEEEEPS6_NSA_18transform_iteratorINSB_9not_fun_tI7is_trueIiEEESF_NSA_11use_defaultESM_EENS0_5tupleIJSF_S6_EEENSO_IJSG_SG_EEES6_PlJS6_EEE10hipError_tPvRmT3_T4_T5_T6_T7_T9_mT8_P12ihipStream_tbDpT10_ENKUlT_T0_E_clISt17integral_constantIbLb1EES1B_EEDaS16_S17_EUlS16_E_NS1_11comp_targetILNS1_3genE9ELNS1_11target_archE1100ELNS1_3gpuE3ELNS1_3repE0EEENS1_30default_config_static_selectorELNS0_4arch9wavefront6targetE0EEEvT1_,comdat
	.protected	_ZN7rocprim17ROCPRIM_400000_NS6detail17trampoline_kernelINS0_14default_configENS1_25partition_config_selectorILNS1_17partition_subalgoE5EiNS0_10empty_typeEbEEZZNS1_14partition_implILS5_5ELb0ES3_mN6thrust23THRUST_200600_302600_NS6detail15normal_iteratorINSA_10device_ptrIiEEEEPS6_NSA_18transform_iteratorINSB_9not_fun_tI7is_trueIiEEESF_NSA_11use_defaultESM_EENS0_5tupleIJSF_S6_EEENSO_IJSG_SG_EEES6_PlJS6_EEE10hipError_tPvRmT3_T4_T5_T6_T7_T9_mT8_P12ihipStream_tbDpT10_ENKUlT_T0_E_clISt17integral_constantIbLb1EES1B_EEDaS16_S17_EUlS16_E_NS1_11comp_targetILNS1_3genE9ELNS1_11target_archE1100ELNS1_3gpuE3ELNS1_3repE0EEENS1_30default_config_static_selectorELNS0_4arch9wavefront6targetE0EEEvT1_ ; -- Begin function _ZN7rocprim17ROCPRIM_400000_NS6detail17trampoline_kernelINS0_14default_configENS1_25partition_config_selectorILNS1_17partition_subalgoE5EiNS0_10empty_typeEbEEZZNS1_14partition_implILS5_5ELb0ES3_mN6thrust23THRUST_200600_302600_NS6detail15normal_iteratorINSA_10device_ptrIiEEEEPS6_NSA_18transform_iteratorINSB_9not_fun_tI7is_trueIiEEESF_NSA_11use_defaultESM_EENS0_5tupleIJSF_S6_EEENSO_IJSG_SG_EEES6_PlJS6_EEE10hipError_tPvRmT3_T4_T5_T6_T7_T9_mT8_P12ihipStream_tbDpT10_ENKUlT_T0_E_clISt17integral_constantIbLb1EES1B_EEDaS16_S17_EUlS16_E_NS1_11comp_targetILNS1_3genE9ELNS1_11target_archE1100ELNS1_3gpuE3ELNS1_3repE0EEENS1_30default_config_static_selectorELNS0_4arch9wavefront6targetE0EEEvT1_
	.globl	_ZN7rocprim17ROCPRIM_400000_NS6detail17trampoline_kernelINS0_14default_configENS1_25partition_config_selectorILNS1_17partition_subalgoE5EiNS0_10empty_typeEbEEZZNS1_14partition_implILS5_5ELb0ES3_mN6thrust23THRUST_200600_302600_NS6detail15normal_iteratorINSA_10device_ptrIiEEEEPS6_NSA_18transform_iteratorINSB_9not_fun_tI7is_trueIiEEESF_NSA_11use_defaultESM_EENS0_5tupleIJSF_S6_EEENSO_IJSG_SG_EEES6_PlJS6_EEE10hipError_tPvRmT3_T4_T5_T6_T7_T9_mT8_P12ihipStream_tbDpT10_ENKUlT_T0_E_clISt17integral_constantIbLb1EES1B_EEDaS16_S17_EUlS16_E_NS1_11comp_targetILNS1_3genE9ELNS1_11target_archE1100ELNS1_3gpuE3ELNS1_3repE0EEENS1_30default_config_static_selectorELNS0_4arch9wavefront6targetE0EEEvT1_
	.p2align	8
	.type	_ZN7rocprim17ROCPRIM_400000_NS6detail17trampoline_kernelINS0_14default_configENS1_25partition_config_selectorILNS1_17partition_subalgoE5EiNS0_10empty_typeEbEEZZNS1_14partition_implILS5_5ELb0ES3_mN6thrust23THRUST_200600_302600_NS6detail15normal_iteratorINSA_10device_ptrIiEEEEPS6_NSA_18transform_iteratorINSB_9not_fun_tI7is_trueIiEEESF_NSA_11use_defaultESM_EENS0_5tupleIJSF_S6_EEENSO_IJSG_SG_EEES6_PlJS6_EEE10hipError_tPvRmT3_T4_T5_T6_T7_T9_mT8_P12ihipStream_tbDpT10_ENKUlT_T0_E_clISt17integral_constantIbLb1EES1B_EEDaS16_S17_EUlS16_E_NS1_11comp_targetILNS1_3genE9ELNS1_11target_archE1100ELNS1_3gpuE3ELNS1_3repE0EEENS1_30default_config_static_selectorELNS0_4arch9wavefront6targetE0EEEvT1_,@function
_ZN7rocprim17ROCPRIM_400000_NS6detail17trampoline_kernelINS0_14default_configENS1_25partition_config_selectorILNS1_17partition_subalgoE5EiNS0_10empty_typeEbEEZZNS1_14partition_implILS5_5ELb0ES3_mN6thrust23THRUST_200600_302600_NS6detail15normal_iteratorINSA_10device_ptrIiEEEEPS6_NSA_18transform_iteratorINSB_9not_fun_tI7is_trueIiEEESF_NSA_11use_defaultESM_EENS0_5tupleIJSF_S6_EEENSO_IJSG_SG_EEES6_PlJS6_EEE10hipError_tPvRmT3_T4_T5_T6_T7_T9_mT8_P12ihipStream_tbDpT10_ENKUlT_T0_E_clISt17integral_constantIbLb1EES1B_EEDaS16_S17_EUlS16_E_NS1_11comp_targetILNS1_3genE9ELNS1_11target_archE1100ELNS1_3gpuE3ELNS1_3repE0EEENS1_30default_config_static_selectorELNS0_4arch9wavefront6targetE0EEEvT1_: ; @_ZN7rocprim17ROCPRIM_400000_NS6detail17trampoline_kernelINS0_14default_configENS1_25partition_config_selectorILNS1_17partition_subalgoE5EiNS0_10empty_typeEbEEZZNS1_14partition_implILS5_5ELb0ES3_mN6thrust23THRUST_200600_302600_NS6detail15normal_iteratorINSA_10device_ptrIiEEEEPS6_NSA_18transform_iteratorINSB_9not_fun_tI7is_trueIiEEESF_NSA_11use_defaultESM_EENS0_5tupleIJSF_S6_EEENSO_IJSG_SG_EEES6_PlJS6_EEE10hipError_tPvRmT3_T4_T5_T6_T7_T9_mT8_P12ihipStream_tbDpT10_ENKUlT_T0_E_clISt17integral_constantIbLb1EES1B_EEDaS16_S17_EUlS16_E_NS1_11comp_targetILNS1_3genE9ELNS1_11target_archE1100ELNS1_3gpuE3ELNS1_3repE0EEENS1_30default_config_static_selectorELNS0_4arch9wavefront6targetE0EEEvT1_
; %bb.0:
	.section	.rodata,"a",@progbits
	.p2align	6, 0x0
	.amdhsa_kernel _ZN7rocprim17ROCPRIM_400000_NS6detail17trampoline_kernelINS0_14default_configENS1_25partition_config_selectorILNS1_17partition_subalgoE5EiNS0_10empty_typeEbEEZZNS1_14partition_implILS5_5ELb0ES3_mN6thrust23THRUST_200600_302600_NS6detail15normal_iteratorINSA_10device_ptrIiEEEEPS6_NSA_18transform_iteratorINSB_9not_fun_tI7is_trueIiEEESF_NSA_11use_defaultESM_EENS0_5tupleIJSF_S6_EEENSO_IJSG_SG_EEES6_PlJS6_EEE10hipError_tPvRmT3_T4_T5_T6_T7_T9_mT8_P12ihipStream_tbDpT10_ENKUlT_T0_E_clISt17integral_constantIbLb1EES1B_EEDaS16_S17_EUlS16_E_NS1_11comp_targetILNS1_3genE9ELNS1_11target_archE1100ELNS1_3gpuE3ELNS1_3repE0EEENS1_30default_config_static_selectorELNS0_4arch9wavefront6targetE0EEEvT1_
		.amdhsa_group_segment_fixed_size 0
		.amdhsa_private_segment_fixed_size 0
		.amdhsa_kernarg_size 136
		.amdhsa_user_sgpr_count 2
		.amdhsa_user_sgpr_dispatch_ptr 0
		.amdhsa_user_sgpr_queue_ptr 0
		.amdhsa_user_sgpr_kernarg_segment_ptr 1
		.amdhsa_user_sgpr_dispatch_id 0
		.amdhsa_user_sgpr_private_segment_size 0
		.amdhsa_wavefront_size32 1
		.amdhsa_uses_dynamic_stack 0
		.amdhsa_enable_private_segment 0
		.amdhsa_system_sgpr_workgroup_id_x 1
		.amdhsa_system_sgpr_workgroup_id_y 0
		.amdhsa_system_sgpr_workgroup_id_z 0
		.amdhsa_system_sgpr_workgroup_info 0
		.amdhsa_system_vgpr_workitem_id 0
		.amdhsa_next_free_vgpr 1
		.amdhsa_next_free_sgpr 1
		.amdhsa_reserve_vcc 0
		.amdhsa_float_round_mode_32 0
		.amdhsa_float_round_mode_16_64 0
		.amdhsa_float_denorm_mode_32 3
		.amdhsa_float_denorm_mode_16_64 3
		.amdhsa_fp16_overflow 0
		.amdhsa_workgroup_processor_mode 1
		.amdhsa_memory_ordered 1
		.amdhsa_forward_progress 1
		.amdhsa_inst_pref_size 0
		.amdhsa_round_robin_scheduling 0
		.amdhsa_exception_fp_ieee_invalid_op 0
		.amdhsa_exception_fp_denorm_src 0
		.amdhsa_exception_fp_ieee_div_zero 0
		.amdhsa_exception_fp_ieee_overflow 0
		.amdhsa_exception_fp_ieee_underflow 0
		.amdhsa_exception_fp_ieee_inexact 0
		.amdhsa_exception_int_div_zero 0
	.end_amdhsa_kernel
	.section	.text._ZN7rocprim17ROCPRIM_400000_NS6detail17trampoline_kernelINS0_14default_configENS1_25partition_config_selectorILNS1_17partition_subalgoE5EiNS0_10empty_typeEbEEZZNS1_14partition_implILS5_5ELb0ES3_mN6thrust23THRUST_200600_302600_NS6detail15normal_iteratorINSA_10device_ptrIiEEEEPS6_NSA_18transform_iteratorINSB_9not_fun_tI7is_trueIiEEESF_NSA_11use_defaultESM_EENS0_5tupleIJSF_S6_EEENSO_IJSG_SG_EEES6_PlJS6_EEE10hipError_tPvRmT3_T4_T5_T6_T7_T9_mT8_P12ihipStream_tbDpT10_ENKUlT_T0_E_clISt17integral_constantIbLb1EES1B_EEDaS16_S17_EUlS16_E_NS1_11comp_targetILNS1_3genE9ELNS1_11target_archE1100ELNS1_3gpuE3ELNS1_3repE0EEENS1_30default_config_static_selectorELNS0_4arch9wavefront6targetE0EEEvT1_,"axG",@progbits,_ZN7rocprim17ROCPRIM_400000_NS6detail17trampoline_kernelINS0_14default_configENS1_25partition_config_selectorILNS1_17partition_subalgoE5EiNS0_10empty_typeEbEEZZNS1_14partition_implILS5_5ELb0ES3_mN6thrust23THRUST_200600_302600_NS6detail15normal_iteratorINSA_10device_ptrIiEEEEPS6_NSA_18transform_iteratorINSB_9not_fun_tI7is_trueIiEEESF_NSA_11use_defaultESM_EENS0_5tupleIJSF_S6_EEENSO_IJSG_SG_EEES6_PlJS6_EEE10hipError_tPvRmT3_T4_T5_T6_T7_T9_mT8_P12ihipStream_tbDpT10_ENKUlT_T0_E_clISt17integral_constantIbLb1EES1B_EEDaS16_S17_EUlS16_E_NS1_11comp_targetILNS1_3genE9ELNS1_11target_archE1100ELNS1_3gpuE3ELNS1_3repE0EEENS1_30default_config_static_selectorELNS0_4arch9wavefront6targetE0EEEvT1_,comdat
.Lfunc_end1514:
	.size	_ZN7rocprim17ROCPRIM_400000_NS6detail17trampoline_kernelINS0_14default_configENS1_25partition_config_selectorILNS1_17partition_subalgoE5EiNS0_10empty_typeEbEEZZNS1_14partition_implILS5_5ELb0ES3_mN6thrust23THRUST_200600_302600_NS6detail15normal_iteratorINSA_10device_ptrIiEEEEPS6_NSA_18transform_iteratorINSB_9not_fun_tI7is_trueIiEEESF_NSA_11use_defaultESM_EENS0_5tupleIJSF_S6_EEENSO_IJSG_SG_EEES6_PlJS6_EEE10hipError_tPvRmT3_T4_T5_T6_T7_T9_mT8_P12ihipStream_tbDpT10_ENKUlT_T0_E_clISt17integral_constantIbLb1EES1B_EEDaS16_S17_EUlS16_E_NS1_11comp_targetILNS1_3genE9ELNS1_11target_archE1100ELNS1_3gpuE3ELNS1_3repE0EEENS1_30default_config_static_selectorELNS0_4arch9wavefront6targetE0EEEvT1_, .Lfunc_end1514-_ZN7rocprim17ROCPRIM_400000_NS6detail17trampoline_kernelINS0_14default_configENS1_25partition_config_selectorILNS1_17partition_subalgoE5EiNS0_10empty_typeEbEEZZNS1_14partition_implILS5_5ELb0ES3_mN6thrust23THRUST_200600_302600_NS6detail15normal_iteratorINSA_10device_ptrIiEEEEPS6_NSA_18transform_iteratorINSB_9not_fun_tI7is_trueIiEEESF_NSA_11use_defaultESM_EENS0_5tupleIJSF_S6_EEENSO_IJSG_SG_EEES6_PlJS6_EEE10hipError_tPvRmT3_T4_T5_T6_T7_T9_mT8_P12ihipStream_tbDpT10_ENKUlT_T0_E_clISt17integral_constantIbLb1EES1B_EEDaS16_S17_EUlS16_E_NS1_11comp_targetILNS1_3genE9ELNS1_11target_archE1100ELNS1_3gpuE3ELNS1_3repE0EEENS1_30default_config_static_selectorELNS0_4arch9wavefront6targetE0EEEvT1_
                                        ; -- End function
	.set _ZN7rocprim17ROCPRIM_400000_NS6detail17trampoline_kernelINS0_14default_configENS1_25partition_config_selectorILNS1_17partition_subalgoE5EiNS0_10empty_typeEbEEZZNS1_14partition_implILS5_5ELb0ES3_mN6thrust23THRUST_200600_302600_NS6detail15normal_iteratorINSA_10device_ptrIiEEEEPS6_NSA_18transform_iteratorINSB_9not_fun_tI7is_trueIiEEESF_NSA_11use_defaultESM_EENS0_5tupleIJSF_S6_EEENSO_IJSG_SG_EEES6_PlJS6_EEE10hipError_tPvRmT3_T4_T5_T6_T7_T9_mT8_P12ihipStream_tbDpT10_ENKUlT_T0_E_clISt17integral_constantIbLb1EES1B_EEDaS16_S17_EUlS16_E_NS1_11comp_targetILNS1_3genE9ELNS1_11target_archE1100ELNS1_3gpuE3ELNS1_3repE0EEENS1_30default_config_static_selectorELNS0_4arch9wavefront6targetE0EEEvT1_.num_vgpr, 0
	.set _ZN7rocprim17ROCPRIM_400000_NS6detail17trampoline_kernelINS0_14default_configENS1_25partition_config_selectorILNS1_17partition_subalgoE5EiNS0_10empty_typeEbEEZZNS1_14partition_implILS5_5ELb0ES3_mN6thrust23THRUST_200600_302600_NS6detail15normal_iteratorINSA_10device_ptrIiEEEEPS6_NSA_18transform_iteratorINSB_9not_fun_tI7is_trueIiEEESF_NSA_11use_defaultESM_EENS0_5tupleIJSF_S6_EEENSO_IJSG_SG_EEES6_PlJS6_EEE10hipError_tPvRmT3_T4_T5_T6_T7_T9_mT8_P12ihipStream_tbDpT10_ENKUlT_T0_E_clISt17integral_constantIbLb1EES1B_EEDaS16_S17_EUlS16_E_NS1_11comp_targetILNS1_3genE9ELNS1_11target_archE1100ELNS1_3gpuE3ELNS1_3repE0EEENS1_30default_config_static_selectorELNS0_4arch9wavefront6targetE0EEEvT1_.num_agpr, 0
	.set _ZN7rocprim17ROCPRIM_400000_NS6detail17trampoline_kernelINS0_14default_configENS1_25partition_config_selectorILNS1_17partition_subalgoE5EiNS0_10empty_typeEbEEZZNS1_14partition_implILS5_5ELb0ES3_mN6thrust23THRUST_200600_302600_NS6detail15normal_iteratorINSA_10device_ptrIiEEEEPS6_NSA_18transform_iteratorINSB_9not_fun_tI7is_trueIiEEESF_NSA_11use_defaultESM_EENS0_5tupleIJSF_S6_EEENSO_IJSG_SG_EEES6_PlJS6_EEE10hipError_tPvRmT3_T4_T5_T6_T7_T9_mT8_P12ihipStream_tbDpT10_ENKUlT_T0_E_clISt17integral_constantIbLb1EES1B_EEDaS16_S17_EUlS16_E_NS1_11comp_targetILNS1_3genE9ELNS1_11target_archE1100ELNS1_3gpuE3ELNS1_3repE0EEENS1_30default_config_static_selectorELNS0_4arch9wavefront6targetE0EEEvT1_.numbered_sgpr, 0
	.set _ZN7rocprim17ROCPRIM_400000_NS6detail17trampoline_kernelINS0_14default_configENS1_25partition_config_selectorILNS1_17partition_subalgoE5EiNS0_10empty_typeEbEEZZNS1_14partition_implILS5_5ELb0ES3_mN6thrust23THRUST_200600_302600_NS6detail15normal_iteratorINSA_10device_ptrIiEEEEPS6_NSA_18transform_iteratorINSB_9not_fun_tI7is_trueIiEEESF_NSA_11use_defaultESM_EENS0_5tupleIJSF_S6_EEENSO_IJSG_SG_EEES6_PlJS6_EEE10hipError_tPvRmT3_T4_T5_T6_T7_T9_mT8_P12ihipStream_tbDpT10_ENKUlT_T0_E_clISt17integral_constantIbLb1EES1B_EEDaS16_S17_EUlS16_E_NS1_11comp_targetILNS1_3genE9ELNS1_11target_archE1100ELNS1_3gpuE3ELNS1_3repE0EEENS1_30default_config_static_selectorELNS0_4arch9wavefront6targetE0EEEvT1_.num_named_barrier, 0
	.set _ZN7rocprim17ROCPRIM_400000_NS6detail17trampoline_kernelINS0_14default_configENS1_25partition_config_selectorILNS1_17partition_subalgoE5EiNS0_10empty_typeEbEEZZNS1_14partition_implILS5_5ELb0ES3_mN6thrust23THRUST_200600_302600_NS6detail15normal_iteratorINSA_10device_ptrIiEEEEPS6_NSA_18transform_iteratorINSB_9not_fun_tI7is_trueIiEEESF_NSA_11use_defaultESM_EENS0_5tupleIJSF_S6_EEENSO_IJSG_SG_EEES6_PlJS6_EEE10hipError_tPvRmT3_T4_T5_T6_T7_T9_mT8_P12ihipStream_tbDpT10_ENKUlT_T0_E_clISt17integral_constantIbLb1EES1B_EEDaS16_S17_EUlS16_E_NS1_11comp_targetILNS1_3genE9ELNS1_11target_archE1100ELNS1_3gpuE3ELNS1_3repE0EEENS1_30default_config_static_selectorELNS0_4arch9wavefront6targetE0EEEvT1_.private_seg_size, 0
	.set _ZN7rocprim17ROCPRIM_400000_NS6detail17trampoline_kernelINS0_14default_configENS1_25partition_config_selectorILNS1_17partition_subalgoE5EiNS0_10empty_typeEbEEZZNS1_14partition_implILS5_5ELb0ES3_mN6thrust23THRUST_200600_302600_NS6detail15normal_iteratorINSA_10device_ptrIiEEEEPS6_NSA_18transform_iteratorINSB_9not_fun_tI7is_trueIiEEESF_NSA_11use_defaultESM_EENS0_5tupleIJSF_S6_EEENSO_IJSG_SG_EEES6_PlJS6_EEE10hipError_tPvRmT3_T4_T5_T6_T7_T9_mT8_P12ihipStream_tbDpT10_ENKUlT_T0_E_clISt17integral_constantIbLb1EES1B_EEDaS16_S17_EUlS16_E_NS1_11comp_targetILNS1_3genE9ELNS1_11target_archE1100ELNS1_3gpuE3ELNS1_3repE0EEENS1_30default_config_static_selectorELNS0_4arch9wavefront6targetE0EEEvT1_.uses_vcc, 0
	.set _ZN7rocprim17ROCPRIM_400000_NS6detail17trampoline_kernelINS0_14default_configENS1_25partition_config_selectorILNS1_17partition_subalgoE5EiNS0_10empty_typeEbEEZZNS1_14partition_implILS5_5ELb0ES3_mN6thrust23THRUST_200600_302600_NS6detail15normal_iteratorINSA_10device_ptrIiEEEEPS6_NSA_18transform_iteratorINSB_9not_fun_tI7is_trueIiEEESF_NSA_11use_defaultESM_EENS0_5tupleIJSF_S6_EEENSO_IJSG_SG_EEES6_PlJS6_EEE10hipError_tPvRmT3_T4_T5_T6_T7_T9_mT8_P12ihipStream_tbDpT10_ENKUlT_T0_E_clISt17integral_constantIbLb1EES1B_EEDaS16_S17_EUlS16_E_NS1_11comp_targetILNS1_3genE9ELNS1_11target_archE1100ELNS1_3gpuE3ELNS1_3repE0EEENS1_30default_config_static_selectorELNS0_4arch9wavefront6targetE0EEEvT1_.uses_flat_scratch, 0
	.set _ZN7rocprim17ROCPRIM_400000_NS6detail17trampoline_kernelINS0_14default_configENS1_25partition_config_selectorILNS1_17partition_subalgoE5EiNS0_10empty_typeEbEEZZNS1_14partition_implILS5_5ELb0ES3_mN6thrust23THRUST_200600_302600_NS6detail15normal_iteratorINSA_10device_ptrIiEEEEPS6_NSA_18transform_iteratorINSB_9not_fun_tI7is_trueIiEEESF_NSA_11use_defaultESM_EENS0_5tupleIJSF_S6_EEENSO_IJSG_SG_EEES6_PlJS6_EEE10hipError_tPvRmT3_T4_T5_T6_T7_T9_mT8_P12ihipStream_tbDpT10_ENKUlT_T0_E_clISt17integral_constantIbLb1EES1B_EEDaS16_S17_EUlS16_E_NS1_11comp_targetILNS1_3genE9ELNS1_11target_archE1100ELNS1_3gpuE3ELNS1_3repE0EEENS1_30default_config_static_selectorELNS0_4arch9wavefront6targetE0EEEvT1_.has_dyn_sized_stack, 0
	.set _ZN7rocprim17ROCPRIM_400000_NS6detail17trampoline_kernelINS0_14default_configENS1_25partition_config_selectorILNS1_17partition_subalgoE5EiNS0_10empty_typeEbEEZZNS1_14partition_implILS5_5ELb0ES3_mN6thrust23THRUST_200600_302600_NS6detail15normal_iteratorINSA_10device_ptrIiEEEEPS6_NSA_18transform_iteratorINSB_9not_fun_tI7is_trueIiEEESF_NSA_11use_defaultESM_EENS0_5tupleIJSF_S6_EEENSO_IJSG_SG_EEES6_PlJS6_EEE10hipError_tPvRmT3_T4_T5_T6_T7_T9_mT8_P12ihipStream_tbDpT10_ENKUlT_T0_E_clISt17integral_constantIbLb1EES1B_EEDaS16_S17_EUlS16_E_NS1_11comp_targetILNS1_3genE9ELNS1_11target_archE1100ELNS1_3gpuE3ELNS1_3repE0EEENS1_30default_config_static_selectorELNS0_4arch9wavefront6targetE0EEEvT1_.has_recursion, 0
	.set _ZN7rocprim17ROCPRIM_400000_NS6detail17trampoline_kernelINS0_14default_configENS1_25partition_config_selectorILNS1_17partition_subalgoE5EiNS0_10empty_typeEbEEZZNS1_14partition_implILS5_5ELb0ES3_mN6thrust23THRUST_200600_302600_NS6detail15normal_iteratorINSA_10device_ptrIiEEEEPS6_NSA_18transform_iteratorINSB_9not_fun_tI7is_trueIiEEESF_NSA_11use_defaultESM_EENS0_5tupleIJSF_S6_EEENSO_IJSG_SG_EEES6_PlJS6_EEE10hipError_tPvRmT3_T4_T5_T6_T7_T9_mT8_P12ihipStream_tbDpT10_ENKUlT_T0_E_clISt17integral_constantIbLb1EES1B_EEDaS16_S17_EUlS16_E_NS1_11comp_targetILNS1_3genE9ELNS1_11target_archE1100ELNS1_3gpuE3ELNS1_3repE0EEENS1_30default_config_static_selectorELNS0_4arch9wavefront6targetE0EEEvT1_.has_indirect_call, 0
	.section	.AMDGPU.csdata,"",@progbits
; Kernel info:
; codeLenInByte = 0
; TotalNumSgprs: 0
; NumVgprs: 0
; ScratchSize: 0
; MemoryBound: 0
; FloatMode: 240
; IeeeMode: 1
; LDSByteSize: 0 bytes/workgroup (compile time only)
; SGPRBlocks: 0
; VGPRBlocks: 0
; NumSGPRsForWavesPerEU: 1
; NumVGPRsForWavesPerEU: 1
; Occupancy: 16
; WaveLimiterHint : 0
; COMPUTE_PGM_RSRC2:SCRATCH_EN: 0
; COMPUTE_PGM_RSRC2:USER_SGPR: 2
; COMPUTE_PGM_RSRC2:TRAP_HANDLER: 0
; COMPUTE_PGM_RSRC2:TGID_X_EN: 1
; COMPUTE_PGM_RSRC2:TGID_Y_EN: 0
; COMPUTE_PGM_RSRC2:TGID_Z_EN: 0
; COMPUTE_PGM_RSRC2:TIDIG_COMP_CNT: 0
	.section	.text._ZN7rocprim17ROCPRIM_400000_NS6detail17trampoline_kernelINS0_14default_configENS1_25partition_config_selectorILNS1_17partition_subalgoE5EiNS0_10empty_typeEbEEZZNS1_14partition_implILS5_5ELb0ES3_mN6thrust23THRUST_200600_302600_NS6detail15normal_iteratorINSA_10device_ptrIiEEEEPS6_NSA_18transform_iteratorINSB_9not_fun_tI7is_trueIiEEESF_NSA_11use_defaultESM_EENS0_5tupleIJSF_S6_EEENSO_IJSG_SG_EEES6_PlJS6_EEE10hipError_tPvRmT3_T4_T5_T6_T7_T9_mT8_P12ihipStream_tbDpT10_ENKUlT_T0_E_clISt17integral_constantIbLb1EES1B_EEDaS16_S17_EUlS16_E_NS1_11comp_targetILNS1_3genE8ELNS1_11target_archE1030ELNS1_3gpuE2ELNS1_3repE0EEENS1_30default_config_static_selectorELNS0_4arch9wavefront6targetE0EEEvT1_,"axG",@progbits,_ZN7rocprim17ROCPRIM_400000_NS6detail17trampoline_kernelINS0_14default_configENS1_25partition_config_selectorILNS1_17partition_subalgoE5EiNS0_10empty_typeEbEEZZNS1_14partition_implILS5_5ELb0ES3_mN6thrust23THRUST_200600_302600_NS6detail15normal_iteratorINSA_10device_ptrIiEEEEPS6_NSA_18transform_iteratorINSB_9not_fun_tI7is_trueIiEEESF_NSA_11use_defaultESM_EENS0_5tupleIJSF_S6_EEENSO_IJSG_SG_EEES6_PlJS6_EEE10hipError_tPvRmT3_T4_T5_T6_T7_T9_mT8_P12ihipStream_tbDpT10_ENKUlT_T0_E_clISt17integral_constantIbLb1EES1B_EEDaS16_S17_EUlS16_E_NS1_11comp_targetILNS1_3genE8ELNS1_11target_archE1030ELNS1_3gpuE2ELNS1_3repE0EEENS1_30default_config_static_selectorELNS0_4arch9wavefront6targetE0EEEvT1_,comdat
	.protected	_ZN7rocprim17ROCPRIM_400000_NS6detail17trampoline_kernelINS0_14default_configENS1_25partition_config_selectorILNS1_17partition_subalgoE5EiNS0_10empty_typeEbEEZZNS1_14partition_implILS5_5ELb0ES3_mN6thrust23THRUST_200600_302600_NS6detail15normal_iteratorINSA_10device_ptrIiEEEEPS6_NSA_18transform_iteratorINSB_9not_fun_tI7is_trueIiEEESF_NSA_11use_defaultESM_EENS0_5tupleIJSF_S6_EEENSO_IJSG_SG_EEES6_PlJS6_EEE10hipError_tPvRmT3_T4_T5_T6_T7_T9_mT8_P12ihipStream_tbDpT10_ENKUlT_T0_E_clISt17integral_constantIbLb1EES1B_EEDaS16_S17_EUlS16_E_NS1_11comp_targetILNS1_3genE8ELNS1_11target_archE1030ELNS1_3gpuE2ELNS1_3repE0EEENS1_30default_config_static_selectorELNS0_4arch9wavefront6targetE0EEEvT1_ ; -- Begin function _ZN7rocprim17ROCPRIM_400000_NS6detail17trampoline_kernelINS0_14default_configENS1_25partition_config_selectorILNS1_17partition_subalgoE5EiNS0_10empty_typeEbEEZZNS1_14partition_implILS5_5ELb0ES3_mN6thrust23THRUST_200600_302600_NS6detail15normal_iteratorINSA_10device_ptrIiEEEEPS6_NSA_18transform_iteratorINSB_9not_fun_tI7is_trueIiEEESF_NSA_11use_defaultESM_EENS0_5tupleIJSF_S6_EEENSO_IJSG_SG_EEES6_PlJS6_EEE10hipError_tPvRmT3_T4_T5_T6_T7_T9_mT8_P12ihipStream_tbDpT10_ENKUlT_T0_E_clISt17integral_constantIbLb1EES1B_EEDaS16_S17_EUlS16_E_NS1_11comp_targetILNS1_3genE8ELNS1_11target_archE1030ELNS1_3gpuE2ELNS1_3repE0EEENS1_30default_config_static_selectorELNS0_4arch9wavefront6targetE0EEEvT1_
	.globl	_ZN7rocprim17ROCPRIM_400000_NS6detail17trampoline_kernelINS0_14default_configENS1_25partition_config_selectorILNS1_17partition_subalgoE5EiNS0_10empty_typeEbEEZZNS1_14partition_implILS5_5ELb0ES3_mN6thrust23THRUST_200600_302600_NS6detail15normal_iteratorINSA_10device_ptrIiEEEEPS6_NSA_18transform_iteratorINSB_9not_fun_tI7is_trueIiEEESF_NSA_11use_defaultESM_EENS0_5tupleIJSF_S6_EEENSO_IJSG_SG_EEES6_PlJS6_EEE10hipError_tPvRmT3_T4_T5_T6_T7_T9_mT8_P12ihipStream_tbDpT10_ENKUlT_T0_E_clISt17integral_constantIbLb1EES1B_EEDaS16_S17_EUlS16_E_NS1_11comp_targetILNS1_3genE8ELNS1_11target_archE1030ELNS1_3gpuE2ELNS1_3repE0EEENS1_30default_config_static_selectorELNS0_4arch9wavefront6targetE0EEEvT1_
	.p2align	8
	.type	_ZN7rocprim17ROCPRIM_400000_NS6detail17trampoline_kernelINS0_14default_configENS1_25partition_config_selectorILNS1_17partition_subalgoE5EiNS0_10empty_typeEbEEZZNS1_14partition_implILS5_5ELb0ES3_mN6thrust23THRUST_200600_302600_NS6detail15normal_iteratorINSA_10device_ptrIiEEEEPS6_NSA_18transform_iteratorINSB_9not_fun_tI7is_trueIiEEESF_NSA_11use_defaultESM_EENS0_5tupleIJSF_S6_EEENSO_IJSG_SG_EEES6_PlJS6_EEE10hipError_tPvRmT3_T4_T5_T6_T7_T9_mT8_P12ihipStream_tbDpT10_ENKUlT_T0_E_clISt17integral_constantIbLb1EES1B_EEDaS16_S17_EUlS16_E_NS1_11comp_targetILNS1_3genE8ELNS1_11target_archE1030ELNS1_3gpuE2ELNS1_3repE0EEENS1_30default_config_static_selectorELNS0_4arch9wavefront6targetE0EEEvT1_,@function
_ZN7rocprim17ROCPRIM_400000_NS6detail17trampoline_kernelINS0_14default_configENS1_25partition_config_selectorILNS1_17partition_subalgoE5EiNS0_10empty_typeEbEEZZNS1_14partition_implILS5_5ELb0ES3_mN6thrust23THRUST_200600_302600_NS6detail15normal_iteratorINSA_10device_ptrIiEEEEPS6_NSA_18transform_iteratorINSB_9not_fun_tI7is_trueIiEEESF_NSA_11use_defaultESM_EENS0_5tupleIJSF_S6_EEENSO_IJSG_SG_EEES6_PlJS6_EEE10hipError_tPvRmT3_T4_T5_T6_T7_T9_mT8_P12ihipStream_tbDpT10_ENKUlT_T0_E_clISt17integral_constantIbLb1EES1B_EEDaS16_S17_EUlS16_E_NS1_11comp_targetILNS1_3genE8ELNS1_11target_archE1030ELNS1_3gpuE2ELNS1_3repE0EEENS1_30default_config_static_selectorELNS0_4arch9wavefront6targetE0EEEvT1_: ; @_ZN7rocprim17ROCPRIM_400000_NS6detail17trampoline_kernelINS0_14default_configENS1_25partition_config_selectorILNS1_17partition_subalgoE5EiNS0_10empty_typeEbEEZZNS1_14partition_implILS5_5ELb0ES3_mN6thrust23THRUST_200600_302600_NS6detail15normal_iteratorINSA_10device_ptrIiEEEEPS6_NSA_18transform_iteratorINSB_9not_fun_tI7is_trueIiEEESF_NSA_11use_defaultESM_EENS0_5tupleIJSF_S6_EEENSO_IJSG_SG_EEES6_PlJS6_EEE10hipError_tPvRmT3_T4_T5_T6_T7_T9_mT8_P12ihipStream_tbDpT10_ENKUlT_T0_E_clISt17integral_constantIbLb1EES1B_EEDaS16_S17_EUlS16_E_NS1_11comp_targetILNS1_3genE8ELNS1_11target_archE1030ELNS1_3gpuE2ELNS1_3repE0EEENS1_30default_config_static_selectorELNS0_4arch9wavefront6targetE0EEEvT1_
; %bb.0:
	.section	.rodata,"a",@progbits
	.p2align	6, 0x0
	.amdhsa_kernel _ZN7rocprim17ROCPRIM_400000_NS6detail17trampoline_kernelINS0_14default_configENS1_25partition_config_selectorILNS1_17partition_subalgoE5EiNS0_10empty_typeEbEEZZNS1_14partition_implILS5_5ELb0ES3_mN6thrust23THRUST_200600_302600_NS6detail15normal_iteratorINSA_10device_ptrIiEEEEPS6_NSA_18transform_iteratorINSB_9not_fun_tI7is_trueIiEEESF_NSA_11use_defaultESM_EENS0_5tupleIJSF_S6_EEENSO_IJSG_SG_EEES6_PlJS6_EEE10hipError_tPvRmT3_T4_T5_T6_T7_T9_mT8_P12ihipStream_tbDpT10_ENKUlT_T0_E_clISt17integral_constantIbLb1EES1B_EEDaS16_S17_EUlS16_E_NS1_11comp_targetILNS1_3genE8ELNS1_11target_archE1030ELNS1_3gpuE2ELNS1_3repE0EEENS1_30default_config_static_selectorELNS0_4arch9wavefront6targetE0EEEvT1_
		.amdhsa_group_segment_fixed_size 0
		.amdhsa_private_segment_fixed_size 0
		.amdhsa_kernarg_size 136
		.amdhsa_user_sgpr_count 2
		.amdhsa_user_sgpr_dispatch_ptr 0
		.amdhsa_user_sgpr_queue_ptr 0
		.amdhsa_user_sgpr_kernarg_segment_ptr 1
		.amdhsa_user_sgpr_dispatch_id 0
		.amdhsa_user_sgpr_private_segment_size 0
		.amdhsa_wavefront_size32 1
		.amdhsa_uses_dynamic_stack 0
		.amdhsa_enable_private_segment 0
		.amdhsa_system_sgpr_workgroup_id_x 1
		.amdhsa_system_sgpr_workgroup_id_y 0
		.amdhsa_system_sgpr_workgroup_id_z 0
		.amdhsa_system_sgpr_workgroup_info 0
		.amdhsa_system_vgpr_workitem_id 0
		.amdhsa_next_free_vgpr 1
		.amdhsa_next_free_sgpr 1
		.amdhsa_reserve_vcc 0
		.amdhsa_float_round_mode_32 0
		.amdhsa_float_round_mode_16_64 0
		.amdhsa_float_denorm_mode_32 3
		.amdhsa_float_denorm_mode_16_64 3
		.amdhsa_fp16_overflow 0
		.amdhsa_workgroup_processor_mode 1
		.amdhsa_memory_ordered 1
		.amdhsa_forward_progress 1
		.amdhsa_inst_pref_size 0
		.amdhsa_round_robin_scheduling 0
		.amdhsa_exception_fp_ieee_invalid_op 0
		.amdhsa_exception_fp_denorm_src 0
		.amdhsa_exception_fp_ieee_div_zero 0
		.amdhsa_exception_fp_ieee_overflow 0
		.amdhsa_exception_fp_ieee_underflow 0
		.amdhsa_exception_fp_ieee_inexact 0
		.amdhsa_exception_int_div_zero 0
	.end_amdhsa_kernel
	.section	.text._ZN7rocprim17ROCPRIM_400000_NS6detail17trampoline_kernelINS0_14default_configENS1_25partition_config_selectorILNS1_17partition_subalgoE5EiNS0_10empty_typeEbEEZZNS1_14partition_implILS5_5ELb0ES3_mN6thrust23THRUST_200600_302600_NS6detail15normal_iteratorINSA_10device_ptrIiEEEEPS6_NSA_18transform_iteratorINSB_9not_fun_tI7is_trueIiEEESF_NSA_11use_defaultESM_EENS0_5tupleIJSF_S6_EEENSO_IJSG_SG_EEES6_PlJS6_EEE10hipError_tPvRmT3_T4_T5_T6_T7_T9_mT8_P12ihipStream_tbDpT10_ENKUlT_T0_E_clISt17integral_constantIbLb1EES1B_EEDaS16_S17_EUlS16_E_NS1_11comp_targetILNS1_3genE8ELNS1_11target_archE1030ELNS1_3gpuE2ELNS1_3repE0EEENS1_30default_config_static_selectorELNS0_4arch9wavefront6targetE0EEEvT1_,"axG",@progbits,_ZN7rocprim17ROCPRIM_400000_NS6detail17trampoline_kernelINS0_14default_configENS1_25partition_config_selectorILNS1_17partition_subalgoE5EiNS0_10empty_typeEbEEZZNS1_14partition_implILS5_5ELb0ES3_mN6thrust23THRUST_200600_302600_NS6detail15normal_iteratorINSA_10device_ptrIiEEEEPS6_NSA_18transform_iteratorINSB_9not_fun_tI7is_trueIiEEESF_NSA_11use_defaultESM_EENS0_5tupleIJSF_S6_EEENSO_IJSG_SG_EEES6_PlJS6_EEE10hipError_tPvRmT3_T4_T5_T6_T7_T9_mT8_P12ihipStream_tbDpT10_ENKUlT_T0_E_clISt17integral_constantIbLb1EES1B_EEDaS16_S17_EUlS16_E_NS1_11comp_targetILNS1_3genE8ELNS1_11target_archE1030ELNS1_3gpuE2ELNS1_3repE0EEENS1_30default_config_static_selectorELNS0_4arch9wavefront6targetE0EEEvT1_,comdat
.Lfunc_end1515:
	.size	_ZN7rocprim17ROCPRIM_400000_NS6detail17trampoline_kernelINS0_14default_configENS1_25partition_config_selectorILNS1_17partition_subalgoE5EiNS0_10empty_typeEbEEZZNS1_14partition_implILS5_5ELb0ES3_mN6thrust23THRUST_200600_302600_NS6detail15normal_iteratorINSA_10device_ptrIiEEEEPS6_NSA_18transform_iteratorINSB_9not_fun_tI7is_trueIiEEESF_NSA_11use_defaultESM_EENS0_5tupleIJSF_S6_EEENSO_IJSG_SG_EEES6_PlJS6_EEE10hipError_tPvRmT3_T4_T5_T6_T7_T9_mT8_P12ihipStream_tbDpT10_ENKUlT_T0_E_clISt17integral_constantIbLb1EES1B_EEDaS16_S17_EUlS16_E_NS1_11comp_targetILNS1_3genE8ELNS1_11target_archE1030ELNS1_3gpuE2ELNS1_3repE0EEENS1_30default_config_static_selectorELNS0_4arch9wavefront6targetE0EEEvT1_, .Lfunc_end1515-_ZN7rocprim17ROCPRIM_400000_NS6detail17trampoline_kernelINS0_14default_configENS1_25partition_config_selectorILNS1_17partition_subalgoE5EiNS0_10empty_typeEbEEZZNS1_14partition_implILS5_5ELb0ES3_mN6thrust23THRUST_200600_302600_NS6detail15normal_iteratorINSA_10device_ptrIiEEEEPS6_NSA_18transform_iteratorINSB_9not_fun_tI7is_trueIiEEESF_NSA_11use_defaultESM_EENS0_5tupleIJSF_S6_EEENSO_IJSG_SG_EEES6_PlJS6_EEE10hipError_tPvRmT3_T4_T5_T6_T7_T9_mT8_P12ihipStream_tbDpT10_ENKUlT_T0_E_clISt17integral_constantIbLb1EES1B_EEDaS16_S17_EUlS16_E_NS1_11comp_targetILNS1_3genE8ELNS1_11target_archE1030ELNS1_3gpuE2ELNS1_3repE0EEENS1_30default_config_static_selectorELNS0_4arch9wavefront6targetE0EEEvT1_
                                        ; -- End function
	.set _ZN7rocprim17ROCPRIM_400000_NS6detail17trampoline_kernelINS0_14default_configENS1_25partition_config_selectorILNS1_17partition_subalgoE5EiNS0_10empty_typeEbEEZZNS1_14partition_implILS5_5ELb0ES3_mN6thrust23THRUST_200600_302600_NS6detail15normal_iteratorINSA_10device_ptrIiEEEEPS6_NSA_18transform_iteratorINSB_9not_fun_tI7is_trueIiEEESF_NSA_11use_defaultESM_EENS0_5tupleIJSF_S6_EEENSO_IJSG_SG_EEES6_PlJS6_EEE10hipError_tPvRmT3_T4_T5_T6_T7_T9_mT8_P12ihipStream_tbDpT10_ENKUlT_T0_E_clISt17integral_constantIbLb1EES1B_EEDaS16_S17_EUlS16_E_NS1_11comp_targetILNS1_3genE8ELNS1_11target_archE1030ELNS1_3gpuE2ELNS1_3repE0EEENS1_30default_config_static_selectorELNS0_4arch9wavefront6targetE0EEEvT1_.num_vgpr, 0
	.set _ZN7rocprim17ROCPRIM_400000_NS6detail17trampoline_kernelINS0_14default_configENS1_25partition_config_selectorILNS1_17partition_subalgoE5EiNS0_10empty_typeEbEEZZNS1_14partition_implILS5_5ELb0ES3_mN6thrust23THRUST_200600_302600_NS6detail15normal_iteratorINSA_10device_ptrIiEEEEPS6_NSA_18transform_iteratorINSB_9not_fun_tI7is_trueIiEEESF_NSA_11use_defaultESM_EENS0_5tupleIJSF_S6_EEENSO_IJSG_SG_EEES6_PlJS6_EEE10hipError_tPvRmT3_T4_T5_T6_T7_T9_mT8_P12ihipStream_tbDpT10_ENKUlT_T0_E_clISt17integral_constantIbLb1EES1B_EEDaS16_S17_EUlS16_E_NS1_11comp_targetILNS1_3genE8ELNS1_11target_archE1030ELNS1_3gpuE2ELNS1_3repE0EEENS1_30default_config_static_selectorELNS0_4arch9wavefront6targetE0EEEvT1_.num_agpr, 0
	.set _ZN7rocprim17ROCPRIM_400000_NS6detail17trampoline_kernelINS0_14default_configENS1_25partition_config_selectorILNS1_17partition_subalgoE5EiNS0_10empty_typeEbEEZZNS1_14partition_implILS5_5ELb0ES3_mN6thrust23THRUST_200600_302600_NS6detail15normal_iteratorINSA_10device_ptrIiEEEEPS6_NSA_18transform_iteratorINSB_9not_fun_tI7is_trueIiEEESF_NSA_11use_defaultESM_EENS0_5tupleIJSF_S6_EEENSO_IJSG_SG_EEES6_PlJS6_EEE10hipError_tPvRmT3_T4_T5_T6_T7_T9_mT8_P12ihipStream_tbDpT10_ENKUlT_T0_E_clISt17integral_constantIbLb1EES1B_EEDaS16_S17_EUlS16_E_NS1_11comp_targetILNS1_3genE8ELNS1_11target_archE1030ELNS1_3gpuE2ELNS1_3repE0EEENS1_30default_config_static_selectorELNS0_4arch9wavefront6targetE0EEEvT1_.numbered_sgpr, 0
	.set _ZN7rocprim17ROCPRIM_400000_NS6detail17trampoline_kernelINS0_14default_configENS1_25partition_config_selectorILNS1_17partition_subalgoE5EiNS0_10empty_typeEbEEZZNS1_14partition_implILS5_5ELb0ES3_mN6thrust23THRUST_200600_302600_NS6detail15normal_iteratorINSA_10device_ptrIiEEEEPS6_NSA_18transform_iteratorINSB_9not_fun_tI7is_trueIiEEESF_NSA_11use_defaultESM_EENS0_5tupleIJSF_S6_EEENSO_IJSG_SG_EEES6_PlJS6_EEE10hipError_tPvRmT3_T4_T5_T6_T7_T9_mT8_P12ihipStream_tbDpT10_ENKUlT_T0_E_clISt17integral_constantIbLb1EES1B_EEDaS16_S17_EUlS16_E_NS1_11comp_targetILNS1_3genE8ELNS1_11target_archE1030ELNS1_3gpuE2ELNS1_3repE0EEENS1_30default_config_static_selectorELNS0_4arch9wavefront6targetE0EEEvT1_.num_named_barrier, 0
	.set _ZN7rocprim17ROCPRIM_400000_NS6detail17trampoline_kernelINS0_14default_configENS1_25partition_config_selectorILNS1_17partition_subalgoE5EiNS0_10empty_typeEbEEZZNS1_14partition_implILS5_5ELb0ES3_mN6thrust23THRUST_200600_302600_NS6detail15normal_iteratorINSA_10device_ptrIiEEEEPS6_NSA_18transform_iteratorINSB_9not_fun_tI7is_trueIiEEESF_NSA_11use_defaultESM_EENS0_5tupleIJSF_S6_EEENSO_IJSG_SG_EEES6_PlJS6_EEE10hipError_tPvRmT3_T4_T5_T6_T7_T9_mT8_P12ihipStream_tbDpT10_ENKUlT_T0_E_clISt17integral_constantIbLb1EES1B_EEDaS16_S17_EUlS16_E_NS1_11comp_targetILNS1_3genE8ELNS1_11target_archE1030ELNS1_3gpuE2ELNS1_3repE0EEENS1_30default_config_static_selectorELNS0_4arch9wavefront6targetE0EEEvT1_.private_seg_size, 0
	.set _ZN7rocprim17ROCPRIM_400000_NS6detail17trampoline_kernelINS0_14default_configENS1_25partition_config_selectorILNS1_17partition_subalgoE5EiNS0_10empty_typeEbEEZZNS1_14partition_implILS5_5ELb0ES3_mN6thrust23THRUST_200600_302600_NS6detail15normal_iteratorINSA_10device_ptrIiEEEEPS6_NSA_18transform_iteratorINSB_9not_fun_tI7is_trueIiEEESF_NSA_11use_defaultESM_EENS0_5tupleIJSF_S6_EEENSO_IJSG_SG_EEES6_PlJS6_EEE10hipError_tPvRmT3_T4_T5_T6_T7_T9_mT8_P12ihipStream_tbDpT10_ENKUlT_T0_E_clISt17integral_constantIbLb1EES1B_EEDaS16_S17_EUlS16_E_NS1_11comp_targetILNS1_3genE8ELNS1_11target_archE1030ELNS1_3gpuE2ELNS1_3repE0EEENS1_30default_config_static_selectorELNS0_4arch9wavefront6targetE0EEEvT1_.uses_vcc, 0
	.set _ZN7rocprim17ROCPRIM_400000_NS6detail17trampoline_kernelINS0_14default_configENS1_25partition_config_selectorILNS1_17partition_subalgoE5EiNS0_10empty_typeEbEEZZNS1_14partition_implILS5_5ELb0ES3_mN6thrust23THRUST_200600_302600_NS6detail15normal_iteratorINSA_10device_ptrIiEEEEPS6_NSA_18transform_iteratorINSB_9not_fun_tI7is_trueIiEEESF_NSA_11use_defaultESM_EENS0_5tupleIJSF_S6_EEENSO_IJSG_SG_EEES6_PlJS6_EEE10hipError_tPvRmT3_T4_T5_T6_T7_T9_mT8_P12ihipStream_tbDpT10_ENKUlT_T0_E_clISt17integral_constantIbLb1EES1B_EEDaS16_S17_EUlS16_E_NS1_11comp_targetILNS1_3genE8ELNS1_11target_archE1030ELNS1_3gpuE2ELNS1_3repE0EEENS1_30default_config_static_selectorELNS0_4arch9wavefront6targetE0EEEvT1_.uses_flat_scratch, 0
	.set _ZN7rocprim17ROCPRIM_400000_NS6detail17trampoline_kernelINS0_14default_configENS1_25partition_config_selectorILNS1_17partition_subalgoE5EiNS0_10empty_typeEbEEZZNS1_14partition_implILS5_5ELb0ES3_mN6thrust23THRUST_200600_302600_NS6detail15normal_iteratorINSA_10device_ptrIiEEEEPS6_NSA_18transform_iteratorINSB_9not_fun_tI7is_trueIiEEESF_NSA_11use_defaultESM_EENS0_5tupleIJSF_S6_EEENSO_IJSG_SG_EEES6_PlJS6_EEE10hipError_tPvRmT3_T4_T5_T6_T7_T9_mT8_P12ihipStream_tbDpT10_ENKUlT_T0_E_clISt17integral_constantIbLb1EES1B_EEDaS16_S17_EUlS16_E_NS1_11comp_targetILNS1_3genE8ELNS1_11target_archE1030ELNS1_3gpuE2ELNS1_3repE0EEENS1_30default_config_static_selectorELNS0_4arch9wavefront6targetE0EEEvT1_.has_dyn_sized_stack, 0
	.set _ZN7rocprim17ROCPRIM_400000_NS6detail17trampoline_kernelINS0_14default_configENS1_25partition_config_selectorILNS1_17partition_subalgoE5EiNS0_10empty_typeEbEEZZNS1_14partition_implILS5_5ELb0ES3_mN6thrust23THRUST_200600_302600_NS6detail15normal_iteratorINSA_10device_ptrIiEEEEPS6_NSA_18transform_iteratorINSB_9not_fun_tI7is_trueIiEEESF_NSA_11use_defaultESM_EENS0_5tupleIJSF_S6_EEENSO_IJSG_SG_EEES6_PlJS6_EEE10hipError_tPvRmT3_T4_T5_T6_T7_T9_mT8_P12ihipStream_tbDpT10_ENKUlT_T0_E_clISt17integral_constantIbLb1EES1B_EEDaS16_S17_EUlS16_E_NS1_11comp_targetILNS1_3genE8ELNS1_11target_archE1030ELNS1_3gpuE2ELNS1_3repE0EEENS1_30default_config_static_selectorELNS0_4arch9wavefront6targetE0EEEvT1_.has_recursion, 0
	.set _ZN7rocprim17ROCPRIM_400000_NS6detail17trampoline_kernelINS0_14default_configENS1_25partition_config_selectorILNS1_17partition_subalgoE5EiNS0_10empty_typeEbEEZZNS1_14partition_implILS5_5ELb0ES3_mN6thrust23THRUST_200600_302600_NS6detail15normal_iteratorINSA_10device_ptrIiEEEEPS6_NSA_18transform_iteratorINSB_9not_fun_tI7is_trueIiEEESF_NSA_11use_defaultESM_EENS0_5tupleIJSF_S6_EEENSO_IJSG_SG_EEES6_PlJS6_EEE10hipError_tPvRmT3_T4_T5_T6_T7_T9_mT8_P12ihipStream_tbDpT10_ENKUlT_T0_E_clISt17integral_constantIbLb1EES1B_EEDaS16_S17_EUlS16_E_NS1_11comp_targetILNS1_3genE8ELNS1_11target_archE1030ELNS1_3gpuE2ELNS1_3repE0EEENS1_30default_config_static_selectorELNS0_4arch9wavefront6targetE0EEEvT1_.has_indirect_call, 0
	.section	.AMDGPU.csdata,"",@progbits
; Kernel info:
; codeLenInByte = 0
; TotalNumSgprs: 0
; NumVgprs: 0
; ScratchSize: 0
; MemoryBound: 0
; FloatMode: 240
; IeeeMode: 1
; LDSByteSize: 0 bytes/workgroup (compile time only)
; SGPRBlocks: 0
; VGPRBlocks: 0
; NumSGPRsForWavesPerEU: 1
; NumVGPRsForWavesPerEU: 1
; Occupancy: 16
; WaveLimiterHint : 0
; COMPUTE_PGM_RSRC2:SCRATCH_EN: 0
; COMPUTE_PGM_RSRC2:USER_SGPR: 2
; COMPUTE_PGM_RSRC2:TRAP_HANDLER: 0
; COMPUTE_PGM_RSRC2:TGID_X_EN: 1
; COMPUTE_PGM_RSRC2:TGID_Y_EN: 0
; COMPUTE_PGM_RSRC2:TGID_Z_EN: 0
; COMPUTE_PGM_RSRC2:TIDIG_COMP_CNT: 0
	.section	.text._ZN7rocprim17ROCPRIM_400000_NS6detail17trampoline_kernelINS0_14default_configENS1_25partition_config_selectorILNS1_17partition_subalgoE5EiNS0_10empty_typeEbEEZZNS1_14partition_implILS5_5ELb0ES3_mN6thrust23THRUST_200600_302600_NS6detail15normal_iteratorINSA_10device_ptrIiEEEEPS6_NSA_18transform_iteratorINSB_9not_fun_tI7is_trueIiEEESF_NSA_11use_defaultESM_EENS0_5tupleIJSF_S6_EEENSO_IJSG_SG_EEES6_PlJS6_EEE10hipError_tPvRmT3_T4_T5_T6_T7_T9_mT8_P12ihipStream_tbDpT10_ENKUlT_T0_E_clISt17integral_constantIbLb1EES1A_IbLb0EEEEDaS16_S17_EUlS16_E_NS1_11comp_targetILNS1_3genE0ELNS1_11target_archE4294967295ELNS1_3gpuE0ELNS1_3repE0EEENS1_30default_config_static_selectorELNS0_4arch9wavefront6targetE0EEEvT1_,"axG",@progbits,_ZN7rocprim17ROCPRIM_400000_NS6detail17trampoline_kernelINS0_14default_configENS1_25partition_config_selectorILNS1_17partition_subalgoE5EiNS0_10empty_typeEbEEZZNS1_14partition_implILS5_5ELb0ES3_mN6thrust23THRUST_200600_302600_NS6detail15normal_iteratorINSA_10device_ptrIiEEEEPS6_NSA_18transform_iteratorINSB_9not_fun_tI7is_trueIiEEESF_NSA_11use_defaultESM_EENS0_5tupleIJSF_S6_EEENSO_IJSG_SG_EEES6_PlJS6_EEE10hipError_tPvRmT3_T4_T5_T6_T7_T9_mT8_P12ihipStream_tbDpT10_ENKUlT_T0_E_clISt17integral_constantIbLb1EES1A_IbLb0EEEEDaS16_S17_EUlS16_E_NS1_11comp_targetILNS1_3genE0ELNS1_11target_archE4294967295ELNS1_3gpuE0ELNS1_3repE0EEENS1_30default_config_static_selectorELNS0_4arch9wavefront6targetE0EEEvT1_,comdat
	.protected	_ZN7rocprim17ROCPRIM_400000_NS6detail17trampoline_kernelINS0_14default_configENS1_25partition_config_selectorILNS1_17partition_subalgoE5EiNS0_10empty_typeEbEEZZNS1_14partition_implILS5_5ELb0ES3_mN6thrust23THRUST_200600_302600_NS6detail15normal_iteratorINSA_10device_ptrIiEEEEPS6_NSA_18transform_iteratorINSB_9not_fun_tI7is_trueIiEEESF_NSA_11use_defaultESM_EENS0_5tupleIJSF_S6_EEENSO_IJSG_SG_EEES6_PlJS6_EEE10hipError_tPvRmT3_T4_T5_T6_T7_T9_mT8_P12ihipStream_tbDpT10_ENKUlT_T0_E_clISt17integral_constantIbLb1EES1A_IbLb0EEEEDaS16_S17_EUlS16_E_NS1_11comp_targetILNS1_3genE0ELNS1_11target_archE4294967295ELNS1_3gpuE0ELNS1_3repE0EEENS1_30default_config_static_selectorELNS0_4arch9wavefront6targetE0EEEvT1_ ; -- Begin function _ZN7rocprim17ROCPRIM_400000_NS6detail17trampoline_kernelINS0_14default_configENS1_25partition_config_selectorILNS1_17partition_subalgoE5EiNS0_10empty_typeEbEEZZNS1_14partition_implILS5_5ELb0ES3_mN6thrust23THRUST_200600_302600_NS6detail15normal_iteratorINSA_10device_ptrIiEEEEPS6_NSA_18transform_iteratorINSB_9not_fun_tI7is_trueIiEEESF_NSA_11use_defaultESM_EENS0_5tupleIJSF_S6_EEENSO_IJSG_SG_EEES6_PlJS6_EEE10hipError_tPvRmT3_T4_T5_T6_T7_T9_mT8_P12ihipStream_tbDpT10_ENKUlT_T0_E_clISt17integral_constantIbLb1EES1A_IbLb0EEEEDaS16_S17_EUlS16_E_NS1_11comp_targetILNS1_3genE0ELNS1_11target_archE4294967295ELNS1_3gpuE0ELNS1_3repE0EEENS1_30default_config_static_selectorELNS0_4arch9wavefront6targetE0EEEvT1_
	.globl	_ZN7rocprim17ROCPRIM_400000_NS6detail17trampoline_kernelINS0_14default_configENS1_25partition_config_selectorILNS1_17partition_subalgoE5EiNS0_10empty_typeEbEEZZNS1_14partition_implILS5_5ELb0ES3_mN6thrust23THRUST_200600_302600_NS6detail15normal_iteratorINSA_10device_ptrIiEEEEPS6_NSA_18transform_iteratorINSB_9not_fun_tI7is_trueIiEEESF_NSA_11use_defaultESM_EENS0_5tupleIJSF_S6_EEENSO_IJSG_SG_EEES6_PlJS6_EEE10hipError_tPvRmT3_T4_T5_T6_T7_T9_mT8_P12ihipStream_tbDpT10_ENKUlT_T0_E_clISt17integral_constantIbLb1EES1A_IbLb0EEEEDaS16_S17_EUlS16_E_NS1_11comp_targetILNS1_3genE0ELNS1_11target_archE4294967295ELNS1_3gpuE0ELNS1_3repE0EEENS1_30default_config_static_selectorELNS0_4arch9wavefront6targetE0EEEvT1_
	.p2align	8
	.type	_ZN7rocprim17ROCPRIM_400000_NS6detail17trampoline_kernelINS0_14default_configENS1_25partition_config_selectorILNS1_17partition_subalgoE5EiNS0_10empty_typeEbEEZZNS1_14partition_implILS5_5ELb0ES3_mN6thrust23THRUST_200600_302600_NS6detail15normal_iteratorINSA_10device_ptrIiEEEEPS6_NSA_18transform_iteratorINSB_9not_fun_tI7is_trueIiEEESF_NSA_11use_defaultESM_EENS0_5tupleIJSF_S6_EEENSO_IJSG_SG_EEES6_PlJS6_EEE10hipError_tPvRmT3_T4_T5_T6_T7_T9_mT8_P12ihipStream_tbDpT10_ENKUlT_T0_E_clISt17integral_constantIbLb1EES1A_IbLb0EEEEDaS16_S17_EUlS16_E_NS1_11comp_targetILNS1_3genE0ELNS1_11target_archE4294967295ELNS1_3gpuE0ELNS1_3repE0EEENS1_30default_config_static_selectorELNS0_4arch9wavefront6targetE0EEEvT1_,@function
_ZN7rocprim17ROCPRIM_400000_NS6detail17trampoline_kernelINS0_14default_configENS1_25partition_config_selectorILNS1_17partition_subalgoE5EiNS0_10empty_typeEbEEZZNS1_14partition_implILS5_5ELb0ES3_mN6thrust23THRUST_200600_302600_NS6detail15normal_iteratorINSA_10device_ptrIiEEEEPS6_NSA_18transform_iteratorINSB_9not_fun_tI7is_trueIiEEESF_NSA_11use_defaultESM_EENS0_5tupleIJSF_S6_EEENSO_IJSG_SG_EEES6_PlJS6_EEE10hipError_tPvRmT3_T4_T5_T6_T7_T9_mT8_P12ihipStream_tbDpT10_ENKUlT_T0_E_clISt17integral_constantIbLb1EES1A_IbLb0EEEEDaS16_S17_EUlS16_E_NS1_11comp_targetILNS1_3genE0ELNS1_11target_archE4294967295ELNS1_3gpuE0ELNS1_3repE0EEENS1_30default_config_static_selectorELNS0_4arch9wavefront6targetE0EEEvT1_: ; @_ZN7rocprim17ROCPRIM_400000_NS6detail17trampoline_kernelINS0_14default_configENS1_25partition_config_selectorILNS1_17partition_subalgoE5EiNS0_10empty_typeEbEEZZNS1_14partition_implILS5_5ELb0ES3_mN6thrust23THRUST_200600_302600_NS6detail15normal_iteratorINSA_10device_ptrIiEEEEPS6_NSA_18transform_iteratorINSB_9not_fun_tI7is_trueIiEEESF_NSA_11use_defaultESM_EENS0_5tupleIJSF_S6_EEENSO_IJSG_SG_EEES6_PlJS6_EEE10hipError_tPvRmT3_T4_T5_T6_T7_T9_mT8_P12ihipStream_tbDpT10_ENKUlT_T0_E_clISt17integral_constantIbLb1EES1A_IbLb0EEEEDaS16_S17_EUlS16_E_NS1_11comp_targetILNS1_3genE0ELNS1_11target_archE4294967295ELNS1_3gpuE0ELNS1_3repE0EEENS1_30default_config_static_selectorELNS0_4arch9wavefront6targetE0EEEvT1_
; %bb.0:
	.section	.rodata,"a",@progbits
	.p2align	6, 0x0
	.amdhsa_kernel _ZN7rocprim17ROCPRIM_400000_NS6detail17trampoline_kernelINS0_14default_configENS1_25partition_config_selectorILNS1_17partition_subalgoE5EiNS0_10empty_typeEbEEZZNS1_14partition_implILS5_5ELb0ES3_mN6thrust23THRUST_200600_302600_NS6detail15normal_iteratorINSA_10device_ptrIiEEEEPS6_NSA_18transform_iteratorINSB_9not_fun_tI7is_trueIiEEESF_NSA_11use_defaultESM_EENS0_5tupleIJSF_S6_EEENSO_IJSG_SG_EEES6_PlJS6_EEE10hipError_tPvRmT3_T4_T5_T6_T7_T9_mT8_P12ihipStream_tbDpT10_ENKUlT_T0_E_clISt17integral_constantIbLb1EES1A_IbLb0EEEEDaS16_S17_EUlS16_E_NS1_11comp_targetILNS1_3genE0ELNS1_11target_archE4294967295ELNS1_3gpuE0ELNS1_3repE0EEENS1_30default_config_static_selectorELNS0_4arch9wavefront6targetE0EEEvT1_
		.amdhsa_group_segment_fixed_size 0
		.amdhsa_private_segment_fixed_size 0
		.amdhsa_kernarg_size 120
		.amdhsa_user_sgpr_count 2
		.amdhsa_user_sgpr_dispatch_ptr 0
		.amdhsa_user_sgpr_queue_ptr 0
		.amdhsa_user_sgpr_kernarg_segment_ptr 1
		.amdhsa_user_sgpr_dispatch_id 0
		.amdhsa_user_sgpr_private_segment_size 0
		.amdhsa_wavefront_size32 1
		.amdhsa_uses_dynamic_stack 0
		.amdhsa_enable_private_segment 0
		.amdhsa_system_sgpr_workgroup_id_x 1
		.amdhsa_system_sgpr_workgroup_id_y 0
		.amdhsa_system_sgpr_workgroup_id_z 0
		.amdhsa_system_sgpr_workgroup_info 0
		.amdhsa_system_vgpr_workitem_id 0
		.amdhsa_next_free_vgpr 1
		.amdhsa_next_free_sgpr 1
		.amdhsa_reserve_vcc 0
		.amdhsa_float_round_mode_32 0
		.amdhsa_float_round_mode_16_64 0
		.amdhsa_float_denorm_mode_32 3
		.amdhsa_float_denorm_mode_16_64 3
		.amdhsa_fp16_overflow 0
		.amdhsa_workgroup_processor_mode 1
		.amdhsa_memory_ordered 1
		.amdhsa_forward_progress 1
		.amdhsa_inst_pref_size 0
		.amdhsa_round_robin_scheduling 0
		.amdhsa_exception_fp_ieee_invalid_op 0
		.amdhsa_exception_fp_denorm_src 0
		.amdhsa_exception_fp_ieee_div_zero 0
		.amdhsa_exception_fp_ieee_overflow 0
		.amdhsa_exception_fp_ieee_underflow 0
		.amdhsa_exception_fp_ieee_inexact 0
		.amdhsa_exception_int_div_zero 0
	.end_amdhsa_kernel
	.section	.text._ZN7rocprim17ROCPRIM_400000_NS6detail17trampoline_kernelINS0_14default_configENS1_25partition_config_selectorILNS1_17partition_subalgoE5EiNS0_10empty_typeEbEEZZNS1_14partition_implILS5_5ELb0ES3_mN6thrust23THRUST_200600_302600_NS6detail15normal_iteratorINSA_10device_ptrIiEEEEPS6_NSA_18transform_iteratorINSB_9not_fun_tI7is_trueIiEEESF_NSA_11use_defaultESM_EENS0_5tupleIJSF_S6_EEENSO_IJSG_SG_EEES6_PlJS6_EEE10hipError_tPvRmT3_T4_T5_T6_T7_T9_mT8_P12ihipStream_tbDpT10_ENKUlT_T0_E_clISt17integral_constantIbLb1EES1A_IbLb0EEEEDaS16_S17_EUlS16_E_NS1_11comp_targetILNS1_3genE0ELNS1_11target_archE4294967295ELNS1_3gpuE0ELNS1_3repE0EEENS1_30default_config_static_selectorELNS0_4arch9wavefront6targetE0EEEvT1_,"axG",@progbits,_ZN7rocprim17ROCPRIM_400000_NS6detail17trampoline_kernelINS0_14default_configENS1_25partition_config_selectorILNS1_17partition_subalgoE5EiNS0_10empty_typeEbEEZZNS1_14partition_implILS5_5ELb0ES3_mN6thrust23THRUST_200600_302600_NS6detail15normal_iteratorINSA_10device_ptrIiEEEEPS6_NSA_18transform_iteratorINSB_9not_fun_tI7is_trueIiEEESF_NSA_11use_defaultESM_EENS0_5tupleIJSF_S6_EEENSO_IJSG_SG_EEES6_PlJS6_EEE10hipError_tPvRmT3_T4_T5_T6_T7_T9_mT8_P12ihipStream_tbDpT10_ENKUlT_T0_E_clISt17integral_constantIbLb1EES1A_IbLb0EEEEDaS16_S17_EUlS16_E_NS1_11comp_targetILNS1_3genE0ELNS1_11target_archE4294967295ELNS1_3gpuE0ELNS1_3repE0EEENS1_30default_config_static_selectorELNS0_4arch9wavefront6targetE0EEEvT1_,comdat
.Lfunc_end1516:
	.size	_ZN7rocprim17ROCPRIM_400000_NS6detail17trampoline_kernelINS0_14default_configENS1_25partition_config_selectorILNS1_17partition_subalgoE5EiNS0_10empty_typeEbEEZZNS1_14partition_implILS5_5ELb0ES3_mN6thrust23THRUST_200600_302600_NS6detail15normal_iteratorINSA_10device_ptrIiEEEEPS6_NSA_18transform_iteratorINSB_9not_fun_tI7is_trueIiEEESF_NSA_11use_defaultESM_EENS0_5tupleIJSF_S6_EEENSO_IJSG_SG_EEES6_PlJS6_EEE10hipError_tPvRmT3_T4_T5_T6_T7_T9_mT8_P12ihipStream_tbDpT10_ENKUlT_T0_E_clISt17integral_constantIbLb1EES1A_IbLb0EEEEDaS16_S17_EUlS16_E_NS1_11comp_targetILNS1_3genE0ELNS1_11target_archE4294967295ELNS1_3gpuE0ELNS1_3repE0EEENS1_30default_config_static_selectorELNS0_4arch9wavefront6targetE0EEEvT1_, .Lfunc_end1516-_ZN7rocprim17ROCPRIM_400000_NS6detail17trampoline_kernelINS0_14default_configENS1_25partition_config_selectorILNS1_17partition_subalgoE5EiNS0_10empty_typeEbEEZZNS1_14partition_implILS5_5ELb0ES3_mN6thrust23THRUST_200600_302600_NS6detail15normal_iteratorINSA_10device_ptrIiEEEEPS6_NSA_18transform_iteratorINSB_9not_fun_tI7is_trueIiEEESF_NSA_11use_defaultESM_EENS0_5tupleIJSF_S6_EEENSO_IJSG_SG_EEES6_PlJS6_EEE10hipError_tPvRmT3_T4_T5_T6_T7_T9_mT8_P12ihipStream_tbDpT10_ENKUlT_T0_E_clISt17integral_constantIbLb1EES1A_IbLb0EEEEDaS16_S17_EUlS16_E_NS1_11comp_targetILNS1_3genE0ELNS1_11target_archE4294967295ELNS1_3gpuE0ELNS1_3repE0EEENS1_30default_config_static_selectorELNS0_4arch9wavefront6targetE0EEEvT1_
                                        ; -- End function
	.set _ZN7rocprim17ROCPRIM_400000_NS6detail17trampoline_kernelINS0_14default_configENS1_25partition_config_selectorILNS1_17partition_subalgoE5EiNS0_10empty_typeEbEEZZNS1_14partition_implILS5_5ELb0ES3_mN6thrust23THRUST_200600_302600_NS6detail15normal_iteratorINSA_10device_ptrIiEEEEPS6_NSA_18transform_iteratorINSB_9not_fun_tI7is_trueIiEEESF_NSA_11use_defaultESM_EENS0_5tupleIJSF_S6_EEENSO_IJSG_SG_EEES6_PlJS6_EEE10hipError_tPvRmT3_T4_T5_T6_T7_T9_mT8_P12ihipStream_tbDpT10_ENKUlT_T0_E_clISt17integral_constantIbLb1EES1A_IbLb0EEEEDaS16_S17_EUlS16_E_NS1_11comp_targetILNS1_3genE0ELNS1_11target_archE4294967295ELNS1_3gpuE0ELNS1_3repE0EEENS1_30default_config_static_selectorELNS0_4arch9wavefront6targetE0EEEvT1_.num_vgpr, 0
	.set _ZN7rocprim17ROCPRIM_400000_NS6detail17trampoline_kernelINS0_14default_configENS1_25partition_config_selectorILNS1_17partition_subalgoE5EiNS0_10empty_typeEbEEZZNS1_14partition_implILS5_5ELb0ES3_mN6thrust23THRUST_200600_302600_NS6detail15normal_iteratorINSA_10device_ptrIiEEEEPS6_NSA_18transform_iteratorINSB_9not_fun_tI7is_trueIiEEESF_NSA_11use_defaultESM_EENS0_5tupleIJSF_S6_EEENSO_IJSG_SG_EEES6_PlJS6_EEE10hipError_tPvRmT3_T4_T5_T6_T7_T9_mT8_P12ihipStream_tbDpT10_ENKUlT_T0_E_clISt17integral_constantIbLb1EES1A_IbLb0EEEEDaS16_S17_EUlS16_E_NS1_11comp_targetILNS1_3genE0ELNS1_11target_archE4294967295ELNS1_3gpuE0ELNS1_3repE0EEENS1_30default_config_static_selectorELNS0_4arch9wavefront6targetE0EEEvT1_.num_agpr, 0
	.set _ZN7rocprim17ROCPRIM_400000_NS6detail17trampoline_kernelINS0_14default_configENS1_25partition_config_selectorILNS1_17partition_subalgoE5EiNS0_10empty_typeEbEEZZNS1_14partition_implILS5_5ELb0ES3_mN6thrust23THRUST_200600_302600_NS6detail15normal_iteratorINSA_10device_ptrIiEEEEPS6_NSA_18transform_iteratorINSB_9not_fun_tI7is_trueIiEEESF_NSA_11use_defaultESM_EENS0_5tupleIJSF_S6_EEENSO_IJSG_SG_EEES6_PlJS6_EEE10hipError_tPvRmT3_T4_T5_T6_T7_T9_mT8_P12ihipStream_tbDpT10_ENKUlT_T0_E_clISt17integral_constantIbLb1EES1A_IbLb0EEEEDaS16_S17_EUlS16_E_NS1_11comp_targetILNS1_3genE0ELNS1_11target_archE4294967295ELNS1_3gpuE0ELNS1_3repE0EEENS1_30default_config_static_selectorELNS0_4arch9wavefront6targetE0EEEvT1_.numbered_sgpr, 0
	.set _ZN7rocprim17ROCPRIM_400000_NS6detail17trampoline_kernelINS0_14default_configENS1_25partition_config_selectorILNS1_17partition_subalgoE5EiNS0_10empty_typeEbEEZZNS1_14partition_implILS5_5ELb0ES3_mN6thrust23THRUST_200600_302600_NS6detail15normal_iteratorINSA_10device_ptrIiEEEEPS6_NSA_18transform_iteratorINSB_9not_fun_tI7is_trueIiEEESF_NSA_11use_defaultESM_EENS0_5tupleIJSF_S6_EEENSO_IJSG_SG_EEES6_PlJS6_EEE10hipError_tPvRmT3_T4_T5_T6_T7_T9_mT8_P12ihipStream_tbDpT10_ENKUlT_T0_E_clISt17integral_constantIbLb1EES1A_IbLb0EEEEDaS16_S17_EUlS16_E_NS1_11comp_targetILNS1_3genE0ELNS1_11target_archE4294967295ELNS1_3gpuE0ELNS1_3repE0EEENS1_30default_config_static_selectorELNS0_4arch9wavefront6targetE0EEEvT1_.num_named_barrier, 0
	.set _ZN7rocprim17ROCPRIM_400000_NS6detail17trampoline_kernelINS0_14default_configENS1_25partition_config_selectorILNS1_17partition_subalgoE5EiNS0_10empty_typeEbEEZZNS1_14partition_implILS5_5ELb0ES3_mN6thrust23THRUST_200600_302600_NS6detail15normal_iteratorINSA_10device_ptrIiEEEEPS6_NSA_18transform_iteratorINSB_9not_fun_tI7is_trueIiEEESF_NSA_11use_defaultESM_EENS0_5tupleIJSF_S6_EEENSO_IJSG_SG_EEES6_PlJS6_EEE10hipError_tPvRmT3_T4_T5_T6_T7_T9_mT8_P12ihipStream_tbDpT10_ENKUlT_T0_E_clISt17integral_constantIbLb1EES1A_IbLb0EEEEDaS16_S17_EUlS16_E_NS1_11comp_targetILNS1_3genE0ELNS1_11target_archE4294967295ELNS1_3gpuE0ELNS1_3repE0EEENS1_30default_config_static_selectorELNS0_4arch9wavefront6targetE0EEEvT1_.private_seg_size, 0
	.set _ZN7rocprim17ROCPRIM_400000_NS6detail17trampoline_kernelINS0_14default_configENS1_25partition_config_selectorILNS1_17partition_subalgoE5EiNS0_10empty_typeEbEEZZNS1_14partition_implILS5_5ELb0ES3_mN6thrust23THRUST_200600_302600_NS6detail15normal_iteratorINSA_10device_ptrIiEEEEPS6_NSA_18transform_iteratorINSB_9not_fun_tI7is_trueIiEEESF_NSA_11use_defaultESM_EENS0_5tupleIJSF_S6_EEENSO_IJSG_SG_EEES6_PlJS6_EEE10hipError_tPvRmT3_T4_T5_T6_T7_T9_mT8_P12ihipStream_tbDpT10_ENKUlT_T0_E_clISt17integral_constantIbLb1EES1A_IbLb0EEEEDaS16_S17_EUlS16_E_NS1_11comp_targetILNS1_3genE0ELNS1_11target_archE4294967295ELNS1_3gpuE0ELNS1_3repE0EEENS1_30default_config_static_selectorELNS0_4arch9wavefront6targetE0EEEvT1_.uses_vcc, 0
	.set _ZN7rocprim17ROCPRIM_400000_NS6detail17trampoline_kernelINS0_14default_configENS1_25partition_config_selectorILNS1_17partition_subalgoE5EiNS0_10empty_typeEbEEZZNS1_14partition_implILS5_5ELb0ES3_mN6thrust23THRUST_200600_302600_NS6detail15normal_iteratorINSA_10device_ptrIiEEEEPS6_NSA_18transform_iteratorINSB_9not_fun_tI7is_trueIiEEESF_NSA_11use_defaultESM_EENS0_5tupleIJSF_S6_EEENSO_IJSG_SG_EEES6_PlJS6_EEE10hipError_tPvRmT3_T4_T5_T6_T7_T9_mT8_P12ihipStream_tbDpT10_ENKUlT_T0_E_clISt17integral_constantIbLb1EES1A_IbLb0EEEEDaS16_S17_EUlS16_E_NS1_11comp_targetILNS1_3genE0ELNS1_11target_archE4294967295ELNS1_3gpuE0ELNS1_3repE0EEENS1_30default_config_static_selectorELNS0_4arch9wavefront6targetE0EEEvT1_.uses_flat_scratch, 0
	.set _ZN7rocprim17ROCPRIM_400000_NS6detail17trampoline_kernelINS0_14default_configENS1_25partition_config_selectorILNS1_17partition_subalgoE5EiNS0_10empty_typeEbEEZZNS1_14partition_implILS5_5ELb0ES3_mN6thrust23THRUST_200600_302600_NS6detail15normal_iteratorINSA_10device_ptrIiEEEEPS6_NSA_18transform_iteratorINSB_9not_fun_tI7is_trueIiEEESF_NSA_11use_defaultESM_EENS0_5tupleIJSF_S6_EEENSO_IJSG_SG_EEES6_PlJS6_EEE10hipError_tPvRmT3_T4_T5_T6_T7_T9_mT8_P12ihipStream_tbDpT10_ENKUlT_T0_E_clISt17integral_constantIbLb1EES1A_IbLb0EEEEDaS16_S17_EUlS16_E_NS1_11comp_targetILNS1_3genE0ELNS1_11target_archE4294967295ELNS1_3gpuE0ELNS1_3repE0EEENS1_30default_config_static_selectorELNS0_4arch9wavefront6targetE0EEEvT1_.has_dyn_sized_stack, 0
	.set _ZN7rocprim17ROCPRIM_400000_NS6detail17trampoline_kernelINS0_14default_configENS1_25partition_config_selectorILNS1_17partition_subalgoE5EiNS0_10empty_typeEbEEZZNS1_14partition_implILS5_5ELb0ES3_mN6thrust23THRUST_200600_302600_NS6detail15normal_iteratorINSA_10device_ptrIiEEEEPS6_NSA_18transform_iteratorINSB_9not_fun_tI7is_trueIiEEESF_NSA_11use_defaultESM_EENS0_5tupleIJSF_S6_EEENSO_IJSG_SG_EEES6_PlJS6_EEE10hipError_tPvRmT3_T4_T5_T6_T7_T9_mT8_P12ihipStream_tbDpT10_ENKUlT_T0_E_clISt17integral_constantIbLb1EES1A_IbLb0EEEEDaS16_S17_EUlS16_E_NS1_11comp_targetILNS1_3genE0ELNS1_11target_archE4294967295ELNS1_3gpuE0ELNS1_3repE0EEENS1_30default_config_static_selectorELNS0_4arch9wavefront6targetE0EEEvT1_.has_recursion, 0
	.set _ZN7rocprim17ROCPRIM_400000_NS6detail17trampoline_kernelINS0_14default_configENS1_25partition_config_selectorILNS1_17partition_subalgoE5EiNS0_10empty_typeEbEEZZNS1_14partition_implILS5_5ELb0ES3_mN6thrust23THRUST_200600_302600_NS6detail15normal_iteratorINSA_10device_ptrIiEEEEPS6_NSA_18transform_iteratorINSB_9not_fun_tI7is_trueIiEEESF_NSA_11use_defaultESM_EENS0_5tupleIJSF_S6_EEENSO_IJSG_SG_EEES6_PlJS6_EEE10hipError_tPvRmT3_T4_T5_T6_T7_T9_mT8_P12ihipStream_tbDpT10_ENKUlT_T0_E_clISt17integral_constantIbLb1EES1A_IbLb0EEEEDaS16_S17_EUlS16_E_NS1_11comp_targetILNS1_3genE0ELNS1_11target_archE4294967295ELNS1_3gpuE0ELNS1_3repE0EEENS1_30default_config_static_selectorELNS0_4arch9wavefront6targetE0EEEvT1_.has_indirect_call, 0
	.section	.AMDGPU.csdata,"",@progbits
; Kernel info:
; codeLenInByte = 0
; TotalNumSgprs: 0
; NumVgprs: 0
; ScratchSize: 0
; MemoryBound: 0
; FloatMode: 240
; IeeeMode: 1
; LDSByteSize: 0 bytes/workgroup (compile time only)
; SGPRBlocks: 0
; VGPRBlocks: 0
; NumSGPRsForWavesPerEU: 1
; NumVGPRsForWavesPerEU: 1
; Occupancy: 16
; WaveLimiterHint : 0
; COMPUTE_PGM_RSRC2:SCRATCH_EN: 0
; COMPUTE_PGM_RSRC2:USER_SGPR: 2
; COMPUTE_PGM_RSRC2:TRAP_HANDLER: 0
; COMPUTE_PGM_RSRC2:TGID_X_EN: 1
; COMPUTE_PGM_RSRC2:TGID_Y_EN: 0
; COMPUTE_PGM_RSRC2:TGID_Z_EN: 0
; COMPUTE_PGM_RSRC2:TIDIG_COMP_CNT: 0
	.section	.text._ZN7rocprim17ROCPRIM_400000_NS6detail17trampoline_kernelINS0_14default_configENS1_25partition_config_selectorILNS1_17partition_subalgoE5EiNS0_10empty_typeEbEEZZNS1_14partition_implILS5_5ELb0ES3_mN6thrust23THRUST_200600_302600_NS6detail15normal_iteratorINSA_10device_ptrIiEEEEPS6_NSA_18transform_iteratorINSB_9not_fun_tI7is_trueIiEEESF_NSA_11use_defaultESM_EENS0_5tupleIJSF_S6_EEENSO_IJSG_SG_EEES6_PlJS6_EEE10hipError_tPvRmT3_T4_T5_T6_T7_T9_mT8_P12ihipStream_tbDpT10_ENKUlT_T0_E_clISt17integral_constantIbLb1EES1A_IbLb0EEEEDaS16_S17_EUlS16_E_NS1_11comp_targetILNS1_3genE5ELNS1_11target_archE942ELNS1_3gpuE9ELNS1_3repE0EEENS1_30default_config_static_selectorELNS0_4arch9wavefront6targetE0EEEvT1_,"axG",@progbits,_ZN7rocprim17ROCPRIM_400000_NS6detail17trampoline_kernelINS0_14default_configENS1_25partition_config_selectorILNS1_17partition_subalgoE5EiNS0_10empty_typeEbEEZZNS1_14partition_implILS5_5ELb0ES3_mN6thrust23THRUST_200600_302600_NS6detail15normal_iteratorINSA_10device_ptrIiEEEEPS6_NSA_18transform_iteratorINSB_9not_fun_tI7is_trueIiEEESF_NSA_11use_defaultESM_EENS0_5tupleIJSF_S6_EEENSO_IJSG_SG_EEES6_PlJS6_EEE10hipError_tPvRmT3_T4_T5_T6_T7_T9_mT8_P12ihipStream_tbDpT10_ENKUlT_T0_E_clISt17integral_constantIbLb1EES1A_IbLb0EEEEDaS16_S17_EUlS16_E_NS1_11comp_targetILNS1_3genE5ELNS1_11target_archE942ELNS1_3gpuE9ELNS1_3repE0EEENS1_30default_config_static_selectorELNS0_4arch9wavefront6targetE0EEEvT1_,comdat
	.protected	_ZN7rocprim17ROCPRIM_400000_NS6detail17trampoline_kernelINS0_14default_configENS1_25partition_config_selectorILNS1_17partition_subalgoE5EiNS0_10empty_typeEbEEZZNS1_14partition_implILS5_5ELb0ES3_mN6thrust23THRUST_200600_302600_NS6detail15normal_iteratorINSA_10device_ptrIiEEEEPS6_NSA_18transform_iteratorINSB_9not_fun_tI7is_trueIiEEESF_NSA_11use_defaultESM_EENS0_5tupleIJSF_S6_EEENSO_IJSG_SG_EEES6_PlJS6_EEE10hipError_tPvRmT3_T4_T5_T6_T7_T9_mT8_P12ihipStream_tbDpT10_ENKUlT_T0_E_clISt17integral_constantIbLb1EES1A_IbLb0EEEEDaS16_S17_EUlS16_E_NS1_11comp_targetILNS1_3genE5ELNS1_11target_archE942ELNS1_3gpuE9ELNS1_3repE0EEENS1_30default_config_static_selectorELNS0_4arch9wavefront6targetE0EEEvT1_ ; -- Begin function _ZN7rocprim17ROCPRIM_400000_NS6detail17trampoline_kernelINS0_14default_configENS1_25partition_config_selectorILNS1_17partition_subalgoE5EiNS0_10empty_typeEbEEZZNS1_14partition_implILS5_5ELb0ES3_mN6thrust23THRUST_200600_302600_NS6detail15normal_iteratorINSA_10device_ptrIiEEEEPS6_NSA_18transform_iteratorINSB_9not_fun_tI7is_trueIiEEESF_NSA_11use_defaultESM_EENS0_5tupleIJSF_S6_EEENSO_IJSG_SG_EEES6_PlJS6_EEE10hipError_tPvRmT3_T4_T5_T6_T7_T9_mT8_P12ihipStream_tbDpT10_ENKUlT_T0_E_clISt17integral_constantIbLb1EES1A_IbLb0EEEEDaS16_S17_EUlS16_E_NS1_11comp_targetILNS1_3genE5ELNS1_11target_archE942ELNS1_3gpuE9ELNS1_3repE0EEENS1_30default_config_static_selectorELNS0_4arch9wavefront6targetE0EEEvT1_
	.globl	_ZN7rocprim17ROCPRIM_400000_NS6detail17trampoline_kernelINS0_14default_configENS1_25partition_config_selectorILNS1_17partition_subalgoE5EiNS0_10empty_typeEbEEZZNS1_14partition_implILS5_5ELb0ES3_mN6thrust23THRUST_200600_302600_NS6detail15normal_iteratorINSA_10device_ptrIiEEEEPS6_NSA_18transform_iteratorINSB_9not_fun_tI7is_trueIiEEESF_NSA_11use_defaultESM_EENS0_5tupleIJSF_S6_EEENSO_IJSG_SG_EEES6_PlJS6_EEE10hipError_tPvRmT3_T4_T5_T6_T7_T9_mT8_P12ihipStream_tbDpT10_ENKUlT_T0_E_clISt17integral_constantIbLb1EES1A_IbLb0EEEEDaS16_S17_EUlS16_E_NS1_11comp_targetILNS1_3genE5ELNS1_11target_archE942ELNS1_3gpuE9ELNS1_3repE0EEENS1_30default_config_static_selectorELNS0_4arch9wavefront6targetE0EEEvT1_
	.p2align	8
	.type	_ZN7rocprim17ROCPRIM_400000_NS6detail17trampoline_kernelINS0_14default_configENS1_25partition_config_selectorILNS1_17partition_subalgoE5EiNS0_10empty_typeEbEEZZNS1_14partition_implILS5_5ELb0ES3_mN6thrust23THRUST_200600_302600_NS6detail15normal_iteratorINSA_10device_ptrIiEEEEPS6_NSA_18transform_iteratorINSB_9not_fun_tI7is_trueIiEEESF_NSA_11use_defaultESM_EENS0_5tupleIJSF_S6_EEENSO_IJSG_SG_EEES6_PlJS6_EEE10hipError_tPvRmT3_T4_T5_T6_T7_T9_mT8_P12ihipStream_tbDpT10_ENKUlT_T0_E_clISt17integral_constantIbLb1EES1A_IbLb0EEEEDaS16_S17_EUlS16_E_NS1_11comp_targetILNS1_3genE5ELNS1_11target_archE942ELNS1_3gpuE9ELNS1_3repE0EEENS1_30default_config_static_selectorELNS0_4arch9wavefront6targetE0EEEvT1_,@function
_ZN7rocprim17ROCPRIM_400000_NS6detail17trampoline_kernelINS0_14default_configENS1_25partition_config_selectorILNS1_17partition_subalgoE5EiNS0_10empty_typeEbEEZZNS1_14partition_implILS5_5ELb0ES3_mN6thrust23THRUST_200600_302600_NS6detail15normal_iteratorINSA_10device_ptrIiEEEEPS6_NSA_18transform_iteratorINSB_9not_fun_tI7is_trueIiEEESF_NSA_11use_defaultESM_EENS0_5tupleIJSF_S6_EEENSO_IJSG_SG_EEES6_PlJS6_EEE10hipError_tPvRmT3_T4_T5_T6_T7_T9_mT8_P12ihipStream_tbDpT10_ENKUlT_T0_E_clISt17integral_constantIbLb1EES1A_IbLb0EEEEDaS16_S17_EUlS16_E_NS1_11comp_targetILNS1_3genE5ELNS1_11target_archE942ELNS1_3gpuE9ELNS1_3repE0EEENS1_30default_config_static_selectorELNS0_4arch9wavefront6targetE0EEEvT1_: ; @_ZN7rocprim17ROCPRIM_400000_NS6detail17trampoline_kernelINS0_14default_configENS1_25partition_config_selectorILNS1_17partition_subalgoE5EiNS0_10empty_typeEbEEZZNS1_14partition_implILS5_5ELb0ES3_mN6thrust23THRUST_200600_302600_NS6detail15normal_iteratorINSA_10device_ptrIiEEEEPS6_NSA_18transform_iteratorINSB_9not_fun_tI7is_trueIiEEESF_NSA_11use_defaultESM_EENS0_5tupleIJSF_S6_EEENSO_IJSG_SG_EEES6_PlJS6_EEE10hipError_tPvRmT3_T4_T5_T6_T7_T9_mT8_P12ihipStream_tbDpT10_ENKUlT_T0_E_clISt17integral_constantIbLb1EES1A_IbLb0EEEEDaS16_S17_EUlS16_E_NS1_11comp_targetILNS1_3genE5ELNS1_11target_archE942ELNS1_3gpuE9ELNS1_3repE0EEENS1_30default_config_static_selectorELNS0_4arch9wavefront6targetE0EEEvT1_
; %bb.0:
	.section	.rodata,"a",@progbits
	.p2align	6, 0x0
	.amdhsa_kernel _ZN7rocprim17ROCPRIM_400000_NS6detail17trampoline_kernelINS0_14default_configENS1_25partition_config_selectorILNS1_17partition_subalgoE5EiNS0_10empty_typeEbEEZZNS1_14partition_implILS5_5ELb0ES3_mN6thrust23THRUST_200600_302600_NS6detail15normal_iteratorINSA_10device_ptrIiEEEEPS6_NSA_18transform_iteratorINSB_9not_fun_tI7is_trueIiEEESF_NSA_11use_defaultESM_EENS0_5tupleIJSF_S6_EEENSO_IJSG_SG_EEES6_PlJS6_EEE10hipError_tPvRmT3_T4_T5_T6_T7_T9_mT8_P12ihipStream_tbDpT10_ENKUlT_T0_E_clISt17integral_constantIbLb1EES1A_IbLb0EEEEDaS16_S17_EUlS16_E_NS1_11comp_targetILNS1_3genE5ELNS1_11target_archE942ELNS1_3gpuE9ELNS1_3repE0EEENS1_30default_config_static_selectorELNS0_4arch9wavefront6targetE0EEEvT1_
		.amdhsa_group_segment_fixed_size 0
		.amdhsa_private_segment_fixed_size 0
		.amdhsa_kernarg_size 120
		.amdhsa_user_sgpr_count 2
		.amdhsa_user_sgpr_dispatch_ptr 0
		.amdhsa_user_sgpr_queue_ptr 0
		.amdhsa_user_sgpr_kernarg_segment_ptr 1
		.amdhsa_user_sgpr_dispatch_id 0
		.amdhsa_user_sgpr_private_segment_size 0
		.amdhsa_wavefront_size32 1
		.amdhsa_uses_dynamic_stack 0
		.amdhsa_enable_private_segment 0
		.amdhsa_system_sgpr_workgroup_id_x 1
		.amdhsa_system_sgpr_workgroup_id_y 0
		.amdhsa_system_sgpr_workgroup_id_z 0
		.amdhsa_system_sgpr_workgroup_info 0
		.amdhsa_system_vgpr_workitem_id 0
		.amdhsa_next_free_vgpr 1
		.amdhsa_next_free_sgpr 1
		.amdhsa_reserve_vcc 0
		.amdhsa_float_round_mode_32 0
		.amdhsa_float_round_mode_16_64 0
		.amdhsa_float_denorm_mode_32 3
		.amdhsa_float_denorm_mode_16_64 3
		.amdhsa_fp16_overflow 0
		.amdhsa_workgroup_processor_mode 1
		.amdhsa_memory_ordered 1
		.amdhsa_forward_progress 1
		.amdhsa_inst_pref_size 0
		.amdhsa_round_robin_scheduling 0
		.amdhsa_exception_fp_ieee_invalid_op 0
		.amdhsa_exception_fp_denorm_src 0
		.amdhsa_exception_fp_ieee_div_zero 0
		.amdhsa_exception_fp_ieee_overflow 0
		.amdhsa_exception_fp_ieee_underflow 0
		.amdhsa_exception_fp_ieee_inexact 0
		.amdhsa_exception_int_div_zero 0
	.end_amdhsa_kernel
	.section	.text._ZN7rocprim17ROCPRIM_400000_NS6detail17trampoline_kernelINS0_14default_configENS1_25partition_config_selectorILNS1_17partition_subalgoE5EiNS0_10empty_typeEbEEZZNS1_14partition_implILS5_5ELb0ES3_mN6thrust23THRUST_200600_302600_NS6detail15normal_iteratorINSA_10device_ptrIiEEEEPS6_NSA_18transform_iteratorINSB_9not_fun_tI7is_trueIiEEESF_NSA_11use_defaultESM_EENS0_5tupleIJSF_S6_EEENSO_IJSG_SG_EEES6_PlJS6_EEE10hipError_tPvRmT3_T4_T5_T6_T7_T9_mT8_P12ihipStream_tbDpT10_ENKUlT_T0_E_clISt17integral_constantIbLb1EES1A_IbLb0EEEEDaS16_S17_EUlS16_E_NS1_11comp_targetILNS1_3genE5ELNS1_11target_archE942ELNS1_3gpuE9ELNS1_3repE0EEENS1_30default_config_static_selectorELNS0_4arch9wavefront6targetE0EEEvT1_,"axG",@progbits,_ZN7rocprim17ROCPRIM_400000_NS6detail17trampoline_kernelINS0_14default_configENS1_25partition_config_selectorILNS1_17partition_subalgoE5EiNS0_10empty_typeEbEEZZNS1_14partition_implILS5_5ELb0ES3_mN6thrust23THRUST_200600_302600_NS6detail15normal_iteratorINSA_10device_ptrIiEEEEPS6_NSA_18transform_iteratorINSB_9not_fun_tI7is_trueIiEEESF_NSA_11use_defaultESM_EENS0_5tupleIJSF_S6_EEENSO_IJSG_SG_EEES6_PlJS6_EEE10hipError_tPvRmT3_T4_T5_T6_T7_T9_mT8_P12ihipStream_tbDpT10_ENKUlT_T0_E_clISt17integral_constantIbLb1EES1A_IbLb0EEEEDaS16_S17_EUlS16_E_NS1_11comp_targetILNS1_3genE5ELNS1_11target_archE942ELNS1_3gpuE9ELNS1_3repE0EEENS1_30default_config_static_selectorELNS0_4arch9wavefront6targetE0EEEvT1_,comdat
.Lfunc_end1517:
	.size	_ZN7rocprim17ROCPRIM_400000_NS6detail17trampoline_kernelINS0_14default_configENS1_25partition_config_selectorILNS1_17partition_subalgoE5EiNS0_10empty_typeEbEEZZNS1_14partition_implILS5_5ELb0ES3_mN6thrust23THRUST_200600_302600_NS6detail15normal_iteratorINSA_10device_ptrIiEEEEPS6_NSA_18transform_iteratorINSB_9not_fun_tI7is_trueIiEEESF_NSA_11use_defaultESM_EENS0_5tupleIJSF_S6_EEENSO_IJSG_SG_EEES6_PlJS6_EEE10hipError_tPvRmT3_T4_T5_T6_T7_T9_mT8_P12ihipStream_tbDpT10_ENKUlT_T0_E_clISt17integral_constantIbLb1EES1A_IbLb0EEEEDaS16_S17_EUlS16_E_NS1_11comp_targetILNS1_3genE5ELNS1_11target_archE942ELNS1_3gpuE9ELNS1_3repE0EEENS1_30default_config_static_selectorELNS0_4arch9wavefront6targetE0EEEvT1_, .Lfunc_end1517-_ZN7rocprim17ROCPRIM_400000_NS6detail17trampoline_kernelINS0_14default_configENS1_25partition_config_selectorILNS1_17partition_subalgoE5EiNS0_10empty_typeEbEEZZNS1_14partition_implILS5_5ELb0ES3_mN6thrust23THRUST_200600_302600_NS6detail15normal_iteratorINSA_10device_ptrIiEEEEPS6_NSA_18transform_iteratorINSB_9not_fun_tI7is_trueIiEEESF_NSA_11use_defaultESM_EENS0_5tupleIJSF_S6_EEENSO_IJSG_SG_EEES6_PlJS6_EEE10hipError_tPvRmT3_T4_T5_T6_T7_T9_mT8_P12ihipStream_tbDpT10_ENKUlT_T0_E_clISt17integral_constantIbLb1EES1A_IbLb0EEEEDaS16_S17_EUlS16_E_NS1_11comp_targetILNS1_3genE5ELNS1_11target_archE942ELNS1_3gpuE9ELNS1_3repE0EEENS1_30default_config_static_selectorELNS0_4arch9wavefront6targetE0EEEvT1_
                                        ; -- End function
	.set _ZN7rocprim17ROCPRIM_400000_NS6detail17trampoline_kernelINS0_14default_configENS1_25partition_config_selectorILNS1_17partition_subalgoE5EiNS0_10empty_typeEbEEZZNS1_14partition_implILS5_5ELb0ES3_mN6thrust23THRUST_200600_302600_NS6detail15normal_iteratorINSA_10device_ptrIiEEEEPS6_NSA_18transform_iteratorINSB_9not_fun_tI7is_trueIiEEESF_NSA_11use_defaultESM_EENS0_5tupleIJSF_S6_EEENSO_IJSG_SG_EEES6_PlJS6_EEE10hipError_tPvRmT3_T4_T5_T6_T7_T9_mT8_P12ihipStream_tbDpT10_ENKUlT_T0_E_clISt17integral_constantIbLb1EES1A_IbLb0EEEEDaS16_S17_EUlS16_E_NS1_11comp_targetILNS1_3genE5ELNS1_11target_archE942ELNS1_3gpuE9ELNS1_3repE0EEENS1_30default_config_static_selectorELNS0_4arch9wavefront6targetE0EEEvT1_.num_vgpr, 0
	.set _ZN7rocprim17ROCPRIM_400000_NS6detail17trampoline_kernelINS0_14default_configENS1_25partition_config_selectorILNS1_17partition_subalgoE5EiNS0_10empty_typeEbEEZZNS1_14partition_implILS5_5ELb0ES3_mN6thrust23THRUST_200600_302600_NS6detail15normal_iteratorINSA_10device_ptrIiEEEEPS6_NSA_18transform_iteratorINSB_9not_fun_tI7is_trueIiEEESF_NSA_11use_defaultESM_EENS0_5tupleIJSF_S6_EEENSO_IJSG_SG_EEES6_PlJS6_EEE10hipError_tPvRmT3_T4_T5_T6_T7_T9_mT8_P12ihipStream_tbDpT10_ENKUlT_T0_E_clISt17integral_constantIbLb1EES1A_IbLb0EEEEDaS16_S17_EUlS16_E_NS1_11comp_targetILNS1_3genE5ELNS1_11target_archE942ELNS1_3gpuE9ELNS1_3repE0EEENS1_30default_config_static_selectorELNS0_4arch9wavefront6targetE0EEEvT1_.num_agpr, 0
	.set _ZN7rocprim17ROCPRIM_400000_NS6detail17trampoline_kernelINS0_14default_configENS1_25partition_config_selectorILNS1_17partition_subalgoE5EiNS0_10empty_typeEbEEZZNS1_14partition_implILS5_5ELb0ES3_mN6thrust23THRUST_200600_302600_NS6detail15normal_iteratorINSA_10device_ptrIiEEEEPS6_NSA_18transform_iteratorINSB_9not_fun_tI7is_trueIiEEESF_NSA_11use_defaultESM_EENS0_5tupleIJSF_S6_EEENSO_IJSG_SG_EEES6_PlJS6_EEE10hipError_tPvRmT3_T4_T5_T6_T7_T9_mT8_P12ihipStream_tbDpT10_ENKUlT_T0_E_clISt17integral_constantIbLb1EES1A_IbLb0EEEEDaS16_S17_EUlS16_E_NS1_11comp_targetILNS1_3genE5ELNS1_11target_archE942ELNS1_3gpuE9ELNS1_3repE0EEENS1_30default_config_static_selectorELNS0_4arch9wavefront6targetE0EEEvT1_.numbered_sgpr, 0
	.set _ZN7rocprim17ROCPRIM_400000_NS6detail17trampoline_kernelINS0_14default_configENS1_25partition_config_selectorILNS1_17partition_subalgoE5EiNS0_10empty_typeEbEEZZNS1_14partition_implILS5_5ELb0ES3_mN6thrust23THRUST_200600_302600_NS6detail15normal_iteratorINSA_10device_ptrIiEEEEPS6_NSA_18transform_iteratorINSB_9not_fun_tI7is_trueIiEEESF_NSA_11use_defaultESM_EENS0_5tupleIJSF_S6_EEENSO_IJSG_SG_EEES6_PlJS6_EEE10hipError_tPvRmT3_T4_T5_T6_T7_T9_mT8_P12ihipStream_tbDpT10_ENKUlT_T0_E_clISt17integral_constantIbLb1EES1A_IbLb0EEEEDaS16_S17_EUlS16_E_NS1_11comp_targetILNS1_3genE5ELNS1_11target_archE942ELNS1_3gpuE9ELNS1_3repE0EEENS1_30default_config_static_selectorELNS0_4arch9wavefront6targetE0EEEvT1_.num_named_barrier, 0
	.set _ZN7rocprim17ROCPRIM_400000_NS6detail17trampoline_kernelINS0_14default_configENS1_25partition_config_selectorILNS1_17partition_subalgoE5EiNS0_10empty_typeEbEEZZNS1_14partition_implILS5_5ELb0ES3_mN6thrust23THRUST_200600_302600_NS6detail15normal_iteratorINSA_10device_ptrIiEEEEPS6_NSA_18transform_iteratorINSB_9not_fun_tI7is_trueIiEEESF_NSA_11use_defaultESM_EENS0_5tupleIJSF_S6_EEENSO_IJSG_SG_EEES6_PlJS6_EEE10hipError_tPvRmT3_T4_T5_T6_T7_T9_mT8_P12ihipStream_tbDpT10_ENKUlT_T0_E_clISt17integral_constantIbLb1EES1A_IbLb0EEEEDaS16_S17_EUlS16_E_NS1_11comp_targetILNS1_3genE5ELNS1_11target_archE942ELNS1_3gpuE9ELNS1_3repE0EEENS1_30default_config_static_selectorELNS0_4arch9wavefront6targetE0EEEvT1_.private_seg_size, 0
	.set _ZN7rocprim17ROCPRIM_400000_NS6detail17trampoline_kernelINS0_14default_configENS1_25partition_config_selectorILNS1_17partition_subalgoE5EiNS0_10empty_typeEbEEZZNS1_14partition_implILS5_5ELb0ES3_mN6thrust23THRUST_200600_302600_NS6detail15normal_iteratorINSA_10device_ptrIiEEEEPS6_NSA_18transform_iteratorINSB_9not_fun_tI7is_trueIiEEESF_NSA_11use_defaultESM_EENS0_5tupleIJSF_S6_EEENSO_IJSG_SG_EEES6_PlJS6_EEE10hipError_tPvRmT3_T4_T5_T6_T7_T9_mT8_P12ihipStream_tbDpT10_ENKUlT_T0_E_clISt17integral_constantIbLb1EES1A_IbLb0EEEEDaS16_S17_EUlS16_E_NS1_11comp_targetILNS1_3genE5ELNS1_11target_archE942ELNS1_3gpuE9ELNS1_3repE0EEENS1_30default_config_static_selectorELNS0_4arch9wavefront6targetE0EEEvT1_.uses_vcc, 0
	.set _ZN7rocprim17ROCPRIM_400000_NS6detail17trampoline_kernelINS0_14default_configENS1_25partition_config_selectorILNS1_17partition_subalgoE5EiNS0_10empty_typeEbEEZZNS1_14partition_implILS5_5ELb0ES3_mN6thrust23THRUST_200600_302600_NS6detail15normal_iteratorINSA_10device_ptrIiEEEEPS6_NSA_18transform_iteratorINSB_9not_fun_tI7is_trueIiEEESF_NSA_11use_defaultESM_EENS0_5tupleIJSF_S6_EEENSO_IJSG_SG_EEES6_PlJS6_EEE10hipError_tPvRmT3_T4_T5_T6_T7_T9_mT8_P12ihipStream_tbDpT10_ENKUlT_T0_E_clISt17integral_constantIbLb1EES1A_IbLb0EEEEDaS16_S17_EUlS16_E_NS1_11comp_targetILNS1_3genE5ELNS1_11target_archE942ELNS1_3gpuE9ELNS1_3repE0EEENS1_30default_config_static_selectorELNS0_4arch9wavefront6targetE0EEEvT1_.uses_flat_scratch, 0
	.set _ZN7rocprim17ROCPRIM_400000_NS6detail17trampoline_kernelINS0_14default_configENS1_25partition_config_selectorILNS1_17partition_subalgoE5EiNS0_10empty_typeEbEEZZNS1_14partition_implILS5_5ELb0ES3_mN6thrust23THRUST_200600_302600_NS6detail15normal_iteratorINSA_10device_ptrIiEEEEPS6_NSA_18transform_iteratorINSB_9not_fun_tI7is_trueIiEEESF_NSA_11use_defaultESM_EENS0_5tupleIJSF_S6_EEENSO_IJSG_SG_EEES6_PlJS6_EEE10hipError_tPvRmT3_T4_T5_T6_T7_T9_mT8_P12ihipStream_tbDpT10_ENKUlT_T0_E_clISt17integral_constantIbLb1EES1A_IbLb0EEEEDaS16_S17_EUlS16_E_NS1_11comp_targetILNS1_3genE5ELNS1_11target_archE942ELNS1_3gpuE9ELNS1_3repE0EEENS1_30default_config_static_selectorELNS0_4arch9wavefront6targetE0EEEvT1_.has_dyn_sized_stack, 0
	.set _ZN7rocprim17ROCPRIM_400000_NS6detail17trampoline_kernelINS0_14default_configENS1_25partition_config_selectorILNS1_17partition_subalgoE5EiNS0_10empty_typeEbEEZZNS1_14partition_implILS5_5ELb0ES3_mN6thrust23THRUST_200600_302600_NS6detail15normal_iteratorINSA_10device_ptrIiEEEEPS6_NSA_18transform_iteratorINSB_9not_fun_tI7is_trueIiEEESF_NSA_11use_defaultESM_EENS0_5tupleIJSF_S6_EEENSO_IJSG_SG_EEES6_PlJS6_EEE10hipError_tPvRmT3_T4_T5_T6_T7_T9_mT8_P12ihipStream_tbDpT10_ENKUlT_T0_E_clISt17integral_constantIbLb1EES1A_IbLb0EEEEDaS16_S17_EUlS16_E_NS1_11comp_targetILNS1_3genE5ELNS1_11target_archE942ELNS1_3gpuE9ELNS1_3repE0EEENS1_30default_config_static_selectorELNS0_4arch9wavefront6targetE0EEEvT1_.has_recursion, 0
	.set _ZN7rocprim17ROCPRIM_400000_NS6detail17trampoline_kernelINS0_14default_configENS1_25partition_config_selectorILNS1_17partition_subalgoE5EiNS0_10empty_typeEbEEZZNS1_14partition_implILS5_5ELb0ES3_mN6thrust23THRUST_200600_302600_NS6detail15normal_iteratorINSA_10device_ptrIiEEEEPS6_NSA_18transform_iteratorINSB_9not_fun_tI7is_trueIiEEESF_NSA_11use_defaultESM_EENS0_5tupleIJSF_S6_EEENSO_IJSG_SG_EEES6_PlJS6_EEE10hipError_tPvRmT3_T4_T5_T6_T7_T9_mT8_P12ihipStream_tbDpT10_ENKUlT_T0_E_clISt17integral_constantIbLb1EES1A_IbLb0EEEEDaS16_S17_EUlS16_E_NS1_11comp_targetILNS1_3genE5ELNS1_11target_archE942ELNS1_3gpuE9ELNS1_3repE0EEENS1_30default_config_static_selectorELNS0_4arch9wavefront6targetE0EEEvT1_.has_indirect_call, 0
	.section	.AMDGPU.csdata,"",@progbits
; Kernel info:
; codeLenInByte = 0
; TotalNumSgprs: 0
; NumVgprs: 0
; ScratchSize: 0
; MemoryBound: 0
; FloatMode: 240
; IeeeMode: 1
; LDSByteSize: 0 bytes/workgroup (compile time only)
; SGPRBlocks: 0
; VGPRBlocks: 0
; NumSGPRsForWavesPerEU: 1
; NumVGPRsForWavesPerEU: 1
; Occupancy: 16
; WaveLimiterHint : 0
; COMPUTE_PGM_RSRC2:SCRATCH_EN: 0
; COMPUTE_PGM_RSRC2:USER_SGPR: 2
; COMPUTE_PGM_RSRC2:TRAP_HANDLER: 0
; COMPUTE_PGM_RSRC2:TGID_X_EN: 1
; COMPUTE_PGM_RSRC2:TGID_Y_EN: 0
; COMPUTE_PGM_RSRC2:TGID_Z_EN: 0
; COMPUTE_PGM_RSRC2:TIDIG_COMP_CNT: 0
	.section	.text._ZN7rocprim17ROCPRIM_400000_NS6detail17trampoline_kernelINS0_14default_configENS1_25partition_config_selectorILNS1_17partition_subalgoE5EiNS0_10empty_typeEbEEZZNS1_14partition_implILS5_5ELb0ES3_mN6thrust23THRUST_200600_302600_NS6detail15normal_iteratorINSA_10device_ptrIiEEEEPS6_NSA_18transform_iteratorINSB_9not_fun_tI7is_trueIiEEESF_NSA_11use_defaultESM_EENS0_5tupleIJSF_S6_EEENSO_IJSG_SG_EEES6_PlJS6_EEE10hipError_tPvRmT3_T4_T5_T6_T7_T9_mT8_P12ihipStream_tbDpT10_ENKUlT_T0_E_clISt17integral_constantIbLb1EES1A_IbLb0EEEEDaS16_S17_EUlS16_E_NS1_11comp_targetILNS1_3genE4ELNS1_11target_archE910ELNS1_3gpuE8ELNS1_3repE0EEENS1_30default_config_static_selectorELNS0_4arch9wavefront6targetE0EEEvT1_,"axG",@progbits,_ZN7rocprim17ROCPRIM_400000_NS6detail17trampoline_kernelINS0_14default_configENS1_25partition_config_selectorILNS1_17partition_subalgoE5EiNS0_10empty_typeEbEEZZNS1_14partition_implILS5_5ELb0ES3_mN6thrust23THRUST_200600_302600_NS6detail15normal_iteratorINSA_10device_ptrIiEEEEPS6_NSA_18transform_iteratorINSB_9not_fun_tI7is_trueIiEEESF_NSA_11use_defaultESM_EENS0_5tupleIJSF_S6_EEENSO_IJSG_SG_EEES6_PlJS6_EEE10hipError_tPvRmT3_T4_T5_T6_T7_T9_mT8_P12ihipStream_tbDpT10_ENKUlT_T0_E_clISt17integral_constantIbLb1EES1A_IbLb0EEEEDaS16_S17_EUlS16_E_NS1_11comp_targetILNS1_3genE4ELNS1_11target_archE910ELNS1_3gpuE8ELNS1_3repE0EEENS1_30default_config_static_selectorELNS0_4arch9wavefront6targetE0EEEvT1_,comdat
	.protected	_ZN7rocprim17ROCPRIM_400000_NS6detail17trampoline_kernelINS0_14default_configENS1_25partition_config_selectorILNS1_17partition_subalgoE5EiNS0_10empty_typeEbEEZZNS1_14partition_implILS5_5ELb0ES3_mN6thrust23THRUST_200600_302600_NS6detail15normal_iteratorINSA_10device_ptrIiEEEEPS6_NSA_18transform_iteratorINSB_9not_fun_tI7is_trueIiEEESF_NSA_11use_defaultESM_EENS0_5tupleIJSF_S6_EEENSO_IJSG_SG_EEES6_PlJS6_EEE10hipError_tPvRmT3_T4_T5_T6_T7_T9_mT8_P12ihipStream_tbDpT10_ENKUlT_T0_E_clISt17integral_constantIbLb1EES1A_IbLb0EEEEDaS16_S17_EUlS16_E_NS1_11comp_targetILNS1_3genE4ELNS1_11target_archE910ELNS1_3gpuE8ELNS1_3repE0EEENS1_30default_config_static_selectorELNS0_4arch9wavefront6targetE0EEEvT1_ ; -- Begin function _ZN7rocprim17ROCPRIM_400000_NS6detail17trampoline_kernelINS0_14default_configENS1_25partition_config_selectorILNS1_17partition_subalgoE5EiNS0_10empty_typeEbEEZZNS1_14partition_implILS5_5ELb0ES3_mN6thrust23THRUST_200600_302600_NS6detail15normal_iteratorINSA_10device_ptrIiEEEEPS6_NSA_18transform_iteratorINSB_9not_fun_tI7is_trueIiEEESF_NSA_11use_defaultESM_EENS0_5tupleIJSF_S6_EEENSO_IJSG_SG_EEES6_PlJS6_EEE10hipError_tPvRmT3_T4_T5_T6_T7_T9_mT8_P12ihipStream_tbDpT10_ENKUlT_T0_E_clISt17integral_constantIbLb1EES1A_IbLb0EEEEDaS16_S17_EUlS16_E_NS1_11comp_targetILNS1_3genE4ELNS1_11target_archE910ELNS1_3gpuE8ELNS1_3repE0EEENS1_30default_config_static_selectorELNS0_4arch9wavefront6targetE0EEEvT1_
	.globl	_ZN7rocprim17ROCPRIM_400000_NS6detail17trampoline_kernelINS0_14default_configENS1_25partition_config_selectorILNS1_17partition_subalgoE5EiNS0_10empty_typeEbEEZZNS1_14partition_implILS5_5ELb0ES3_mN6thrust23THRUST_200600_302600_NS6detail15normal_iteratorINSA_10device_ptrIiEEEEPS6_NSA_18transform_iteratorINSB_9not_fun_tI7is_trueIiEEESF_NSA_11use_defaultESM_EENS0_5tupleIJSF_S6_EEENSO_IJSG_SG_EEES6_PlJS6_EEE10hipError_tPvRmT3_T4_T5_T6_T7_T9_mT8_P12ihipStream_tbDpT10_ENKUlT_T0_E_clISt17integral_constantIbLb1EES1A_IbLb0EEEEDaS16_S17_EUlS16_E_NS1_11comp_targetILNS1_3genE4ELNS1_11target_archE910ELNS1_3gpuE8ELNS1_3repE0EEENS1_30default_config_static_selectorELNS0_4arch9wavefront6targetE0EEEvT1_
	.p2align	8
	.type	_ZN7rocprim17ROCPRIM_400000_NS6detail17trampoline_kernelINS0_14default_configENS1_25partition_config_selectorILNS1_17partition_subalgoE5EiNS0_10empty_typeEbEEZZNS1_14partition_implILS5_5ELb0ES3_mN6thrust23THRUST_200600_302600_NS6detail15normal_iteratorINSA_10device_ptrIiEEEEPS6_NSA_18transform_iteratorINSB_9not_fun_tI7is_trueIiEEESF_NSA_11use_defaultESM_EENS0_5tupleIJSF_S6_EEENSO_IJSG_SG_EEES6_PlJS6_EEE10hipError_tPvRmT3_T4_T5_T6_T7_T9_mT8_P12ihipStream_tbDpT10_ENKUlT_T0_E_clISt17integral_constantIbLb1EES1A_IbLb0EEEEDaS16_S17_EUlS16_E_NS1_11comp_targetILNS1_3genE4ELNS1_11target_archE910ELNS1_3gpuE8ELNS1_3repE0EEENS1_30default_config_static_selectorELNS0_4arch9wavefront6targetE0EEEvT1_,@function
_ZN7rocprim17ROCPRIM_400000_NS6detail17trampoline_kernelINS0_14default_configENS1_25partition_config_selectorILNS1_17partition_subalgoE5EiNS0_10empty_typeEbEEZZNS1_14partition_implILS5_5ELb0ES3_mN6thrust23THRUST_200600_302600_NS6detail15normal_iteratorINSA_10device_ptrIiEEEEPS6_NSA_18transform_iteratorINSB_9not_fun_tI7is_trueIiEEESF_NSA_11use_defaultESM_EENS0_5tupleIJSF_S6_EEENSO_IJSG_SG_EEES6_PlJS6_EEE10hipError_tPvRmT3_T4_T5_T6_T7_T9_mT8_P12ihipStream_tbDpT10_ENKUlT_T0_E_clISt17integral_constantIbLb1EES1A_IbLb0EEEEDaS16_S17_EUlS16_E_NS1_11comp_targetILNS1_3genE4ELNS1_11target_archE910ELNS1_3gpuE8ELNS1_3repE0EEENS1_30default_config_static_selectorELNS0_4arch9wavefront6targetE0EEEvT1_: ; @_ZN7rocprim17ROCPRIM_400000_NS6detail17trampoline_kernelINS0_14default_configENS1_25partition_config_selectorILNS1_17partition_subalgoE5EiNS0_10empty_typeEbEEZZNS1_14partition_implILS5_5ELb0ES3_mN6thrust23THRUST_200600_302600_NS6detail15normal_iteratorINSA_10device_ptrIiEEEEPS6_NSA_18transform_iteratorINSB_9not_fun_tI7is_trueIiEEESF_NSA_11use_defaultESM_EENS0_5tupleIJSF_S6_EEENSO_IJSG_SG_EEES6_PlJS6_EEE10hipError_tPvRmT3_T4_T5_T6_T7_T9_mT8_P12ihipStream_tbDpT10_ENKUlT_T0_E_clISt17integral_constantIbLb1EES1A_IbLb0EEEEDaS16_S17_EUlS16_E_NS1_11comp_targetILNS1_3genE4ELNS1_11target_archE910ELNS1_3gpuE8ELNS1_3repE0EEENS1_30default_config_static_selectorELNS0_4arch9wavefront6targetE0EEEvT1_
; %bb.0:
	.section	.rodata,"a",@progbits
	.p2align	6, 0x0
	.amdhsa_kernel _ZN7rocprim17ROCPRIM_400000_NS6detail17trampoline_kernelINS0_14default_configENS1_25partition_config_selectorILNS1_17partition_subalgoE5EiNS0_10empty_typeEbEEZZNS1_14partition_implILS5_5ELb0ES3_mN6thrust23THRUST_200600_302600_NS6detail15normal_iteratorINSA_10device_ptrIiEEEEPS6_NSA_18transform_iteratorINSB_9not_fun_tI7is_trueIiEEESF_NSA_11use_defaultESM_EENS0_5tupleIJSF_S6_EEENSO_IJSG_SG_EEES6_PlJS6_EEE10hipError_tPvRmT3_T4_T5_T6_T7_T9_mT8_P12ihipStream_tbDpT10_ENKUlT_T0_E_clISt17integral_constantIbLb1EES1A_IbLb0EEEEDaS16_S17_EUlS16_E_NS1_11comp_targetILNS1_3genE4ELNS1_11target_archE910ELNS1_3gpuE8ELNS1_3repE0EEENS1_30default_config_static_selectorELNS0_4arch9wavefront6targetE0EEEvT1_
		.amdhsa_group_segment_fixed_size 0
		.amdhsa_private_segment_fixed_size 0
		.amdhsa_kernarg_size 120
		.amdhsa_user_sgpr_count 2
		.amdhsa_user_sgpr_dispatch_ptr 0
		.amdhsa_user_sgpr_queue_ptr 0
		.amdhsa_user_sgpr_kernarg_segment_ptr 1
		.amdhsa_user_sgpr_dispatch_id 0
		.amdhsa_user_sgpr_private_segment_size 0
		.amdhsa_wavefront_size32 1
		.amdhsa_uses_dynamic_stack 0
		.amdhsa_enable_private_segment 0
		.amdhsa_system_sgpr_workgroup_id_x 1
		.amdhsa_system_sgpr_workgroup_id_y 0
		.amdhsa_system_sgpr_workgroup_id_z 0
		.amdhsa_system_sgpr_workgroup_info 0
		.amdhsa_system_vgpr_workitem_id 0
		.amdhsa_next_free_vgpr 1
		.amdhsa_next_free_sgpr 1
		.amdhsa_reserve_vcc 0
		.amdhsa_float_round_mode_32 0
		.amdhsa_float_round_mode_16_64 0
		.amdhsa_float_denorm_mode_32 3
		.amdhsa_float_denorm_mode_16_64 3
		.amdhsa_fp16_overflow 0
		.amdhsa_workgroup_processor_mode 1
		.amdhsa_memory_ordered 1
		.amdhsa_forward_progress 1
		.amdhsa_inst_pref_size 0
		.amdhsa_round_robin_scheduling 0
		.amdhsa_exception_fp_ieee_invalid_op 0
		.amdhsa_exception_fp_denorm_src 0
		.amdhsa_exception_fp_ieee_div_zero 0
		.amdhsa_exception_fp_ieee_overflow 0
		.amdhsa_exception_fp_ieee_underflow 0
		.amdhsa_exception_fp_ieee_inexact 0
		.amdhsa_exception_int_div_zero 0
	.end_amdhsa_kernel
	.section	.text._ZN7rocprim17ROCPRIM_400000_NS6detail17trampoline_kernelINS0_14default_configENS1_25partition_config_selectorILNS1_17partition_subalgoE5EiNS0_10empty_typeEbEEZZNS1_14partition_implILS5_5ELb0ES3_mN6thrust23THRUST_200600_302600_NS6detail15normal_iteratorINSA_10device_ptrIiEEEEPS6_NSA_18transform_iteratorINSB_9not_fun_tI7is_trueIiEEESF_NSA_11use_defaultESM_EENS0_5tupleIJSF_S6_EEENSO_IJSG_SG_EEES6_PlJS6_EEE10hipError_tPvRmT3_T4_T5_T6_T7_T9_mT8_P12ihipStream_tbDpT10_ENKUlT_T0_E_clISt17integral_constantIbLb1EES1A_IbLb0EEEEDaS16_S17_EUlS16_E_NS1_11comp_targetILNS1_3genE4ELNS1_11target_archE910ELNS1_3gpuE8ELNS1_3repE0EEENS1_30default_config_static_selectorELNS0_4arch9wavefront6targetE0EEEvT1_,"axG",@progbits,_ZN7rocprim17ROCPRIM_400000_NS6detail17trampoline_kernelINS0_14default_configENS1_25partition_config_selectorILNS1_17partition_subalgoE5EiNS0_10empty_typeEbEEZZNS1_14partition_implILS5_5ELb0ES3_mN6thrust23THRUST_200600_302600_NS6detail15normal_iteratorINSA_10device_ptrIiEEEEPS6_NSA_18transform_iteratorINSB_9not_fun_tI7is_trueIiEEESF_NSA_11use_defaultESM_EENS0_5tupleIJSF_S6_EEENSO_IJSG_SG_EEES6_PlJS6_EEE10hipError_tPvRmT3_T4_T5_T6_T7_T9_mT8_P12ihipStream_tbDpT10_ENKUlT_T0_E_clISt17integral_constantIbLb1EES1A_IbLb0EEEEDaS16_S17_EUlS16_E_NS1_11comp_targetILNS1_3genE4ELNS1_11target_archE910ELNS1_3gpuE8ELNS1_3repE0EEENS1_30default_config_static_selectorELNS0_4arch9wavefront6targetE0EEEvT1_,comdat
.Lfunc_end1518:
	.size	_ZN7rocprim17ROCPRIM_400000_NS6detail17trampoline_kernelINS0_14default_configENS1_25partition_config_selectorILNS1_17partition_subalgoE5EiNS0_10empty_typeEbEEZZNS1_14partition_implILS5_5ELb0ES3_mN6thrust23THRUST_200600_302600_NS6detail15normal_iteratorINSA_10device_ptrIiEEEEPS6_NSA_18transform_iteratorINSB_9not_fun_tI7is_trueIiEEESF_NSA_11use_defaultESM_EENS0_5tupleIJSF_S6_EEENSO_IJSG_SG_EEES6_PlJS6_EEE10hipError_tPvRmT3_T4_T5_T6_T7_T9_mT8_P12ihipStream_tbDpT10_ENKUlT_T0_E_clISt17integral_constantIbLb1EES1A_IbLb0EEEEDaS16_S17_EUlS16_E_NS1_11comp_targetILNS1_3genE4ELNS1_11target_archE910ELNS1_3gpuE8ELNS1_3repE0EEENS1_30default_config_static_selectorELNS0_4arch9wavefront6targetE0EEEvT1_, .Lfunc_end1518-_ZN7rocprim17ROCPRIM_400000_NS6detail17trampoline_kernelINS0_14default_configENS1_25partition_config_selectorILNS1_17partition_subalgoE5EiNS0_10empty_typeEbEEZZNS1_14partition_implILS5_5ELb0ES3_mN6thrust23THRUST_200600_302600_NS6detail15normal_iteratorINSA_10device_ptrIiEEEEPS6_NSA_18transform_iteratorINSB_9not_fun_tI7is_trueIiEEESF_NSA_11use_defaultESM_EENS0_5tupleIJSF_S6_EEENSO_IJSG_SG_EEES6_PlJS6_EEE10hipError_tPvRmT3_T4_T5_T6_T7_T9_mT8_P12ihipStream_tbDpT10_ENKUlT_T0_E_clISt17integral_constantIbLb1EES1A_IbLb0EEEEDaS16_S17_EUlS16_E_NS1_11comp_targetILNS1_3genE4ELNS1_11target_archE910ELNS1_3gpuE8ELNS1_3repE0EEENS1_30default_config_static_selectorELNS0_4arch9wavefront6targetE0EEEvT1_
                                        ; -- End function
	.set _ZN7rocprim17ROCPRIM_400000_NS6detail17trampoline_kernelINS0_14default_configENS1_25partition_config_selectorILNS1_17partition_subalgoE5EiNS0_10empty_typeEbEEZZNS1_14partition_implILS5_5ELb0ES3_mN6thrust23THRUST_200600_302600_NS6detail15normal_iteratorINSA_10device_ptrIiEEEEPS6_NSA_18transform_iteratorINSB_9not_fun_tI7is_trueIiEEESF_NSA_11use_defaultESM_EENS0_5tupleIJSF_S6_EEENSO_IJSG_SG_EEES6_PlJS6_EEE10hipError_tPvRmT3_T4_T5_T6_T7_T9_mT8_P12ihipStream_tbDpT10_ENKUlT_T0_E_clISt17integral_constantIbLb1EES1A_IbLb0EEEEDaS16_S17_EUlS16_E_NS1_11comp_targetILNS1_3genE4ELNS1_11target_archE910ELNS1_3gpuE8ELNS1_3repE0EEENS1_30default_config_static_selectorELNS0_4arch9wavefront6targetE0EEEvT1_.num_vgpr, 0
	.set _ZN7rocprim17ROCPRIM_400000_NS6detail17trampoline_kernelINS0_14default_configENS1_25partition_config_selectorILNS1_17partition_subalgoE5EiNS0_10empty_typeEbEEZZNS1_14partition_implILS5_5ELb0ES3_mN6thrust23THRUST_200600_302600_NS6detail15normal_iteratorINSA_10device_ptrIiEEEEPS6_NSA_18transform_iteratorINSB_9not_fun_tI7is_trueIiEEESF_NSA_11use_defaultESM_EENS0_5tupleIJSF_S6_EEENSO_IJSG_SG_EEES6_PlJS6_EEE10hipError_tPvRmT3_T4_T5_T6_T7_T9_mT8_P12ihipStream_tbDpT10_ENKUlT_T0_E_clISt17integral_constantIbLb1EES1A_IbLb0EEEEDaS16_S17_EUlS16_E_NS1_11comp_targetILNS1_3genE4ELNS1_11target_archE910ELNS1_3gpuE8ELNS1_3repE0EEENS1_30default_config_static_selectorELNS0_4arch9wavefront6targetE0EEEvT1_.num_agpr, 0
	.set _ZN7rocprim17ROCPRIM_400000_NS6detail17trampoline_kernelINS0_14default_configENS1_25partition_config_selectorILNS1_17partition_subalgoE5EiNS0_10empty_typeEbEEZZNS1_14partition_implILS5_5ELb0ES3_mN6thrust23THRUST_200600_302600_NS6detail15normal_iteratorINSA_10device_ptrIiEEEEPS6_NSA_18transform_iteratorINSB_9not_fun_tI7is_trueIiEEESF_NSA_11use_defaultESM_EENS0_5tupleIJSF_S6_EEENSO_IJSG_SG_EEES6_PlJS6_EEE10hipError_tPvRmT3_T4_T5_T6_T7_T9_mT8_P12ihipStream_tbDpT10_ENKUlT_T0_E_clISt17integral_constantIbLb1EES1A_IbLb0EEEEDaS16_S17_EUlS16_E_NS1_11comp_targetILNS1_3genE4ELNS1_11target_archE910ELNS1_3gpuE8ELNS1_3repE0EEENS1_30default_config_static_selectorELNS0_4arch9wavefront6targetE0EEEvT1_.numbered_sgpr, 0
	.set _ZN7rocprim17ROCPRIM_400000_NS6detail17trampoline_kernelINS0_14default_configENS1_25partition_config_selectorILNS1_17partition_subalgoE5EiNS0_10empty_typeEbEEZZNS1_14partition_implILS5_5ELb0ES3_mN6thrust23THRUST_200600_302600_NS6detail15normal_iteratorINSA_10device_ptrIiEEEEPS6_NSA_18transform_iteratorINSB_9not_fun_tI7is_trueIiEEESF_NSA_11use_defaultESM_EENS0_5tupleIJSF_S6_EEENSO_IJSG_SG_EEES6_PlJS6_EEE10hipError_tPvRmT3_T4_T5_T6_T7_T9_mT8_P12ihipStream_tbDpT10_ENKUlT_T0_E_clISt17integral_constantIbLb1EES1A_IbLb0EEEEDaS16_S17_EUlS16_E_NS1_11comp_targetILNS1_3genE4ELNS1_11target_archE910ELNS1_3gpuE8ELNS1_3repE0EEENS1_30default_config_static_selectorELNS0_4arch9wavefront6targetE0EEEvT1_.num_named_barrier, 0
	.set _ZN7rocprim17ROCPRIM_400000_NS6detail17trampoline_kernelINS0_14default_configENS1_25partition_config_selectorILNS1_17partition_subalgoE5EiNS0_10empty_typeEbEEZZNS1_14partition_implILS5_5ELb0ES3_mN6thrust23THRUST_200600_302600_NS6detail15normal_iteratorINSA_10device_ptrIiEEEEPS6_NSA_18transform_iteratorINSB_9not_fun_tI7is_trueIiEEESF_NSA_11use_defaultESM_EENS0_5tupleIJSF_S6_EEENSO_IJSG_SG_EEES6_PlJS6_EEE10hipError_tPvRmT3_T4_T5_T6_T7_T9_mT8_P12ihipStream_tbDpT10_ENKUlT_T0_E_clISt17integral_constantIbLb1EES1A_IbLb0EEEEDaS16_S17_EUlS16_E_NS1_11comp_targetILNS1_3genE4ELNS1_11target_archE910ELNS1_3gpuE8ELNS1_3repE0EEENS1_30default_config_static_selectorELNS0_4arch9wavefront6targetE0EEEvT1_.private_seg_size, 0
	.set _ZN7rocprim17ROCPRIM_400000_NS6detail17trampoline_kernelINS0_14default_configENS1_25partition_config_selectorILNS1_17partition_subalgoE5EiNS0_10empty_typeEbEEZZNS1_14partition_implILS5_5ELb0ES3_mN6thrust23THRUST_200600_302600_NS6detail15normal_iteratorINSA_10device_ptrIiEEEEPS6_NSA_18transform_iteratorINSB_9not_fun_tI7is_trueIiEEESF_NSA_11use_defaultESM_EENS0_5tupleIJSF_S6_EEENSO_IJSG_SG_EEES6_PlJS6_EEE10hipError_tPvRmT3_T4_T5_T6_T7_T9_mT8_P12ihipStream_tbDpT10_ENKUlT_T0_E_clISt17integral_constantIbLb1EES1A_IbLb0EEEEDaS16_S17_EUlS16_E_NS1_11comp_targetILNS1_3genE4ELNS1_11target_archE910ELNS1_3gpuE8ELNS1_3repE0EEENS1_30default_config_static_selectorELNS0_4arch9wavefront6targetE0EEEvT1_.uses_vcc, 0
	.set _ZN7rocprim17ROCPRIM_400000_NS6detail17trampoline_kernelINS0_14default_configENS1_25partition_config_selectorILNS1_17partition_subalgoE5EiNS0_10empty_typeEbEEZZNS1_14partition_implILS5_5ELb0ES3_mN6thrust23THRUST_200600_302600_NS6detail15normal_iteratorINSA_10device_ptrIiEEEEPS6_NSA_18transform_iteratorINSB_9not_fun_tI7is_trueIiEEESF_NSA_11use_defaultESM_EENS0_5tupleIJSF_S6_EEENSO_IJSG_SG_EEES6_PlJS6_EEE10hipError_tPvRmT3_T4_T5_T6_T7_T9_mT8_P12ihipStream_tbDpT10_ENKUlT_T0_E_clISt17integral_constantIbLb1EES1A_IbLb0EEEEDaS16_S17_EUlS16_E_NS1_11comp_targetILNS1_3genE4ELNS1_11target_archE910ELNS1_3gpuE8ELNS1_3repE0EEENS1_30default_config_static_selectorELNS0_4arch9wavefront6targetE0EEEvT1_.uses_flat_scratch, 0
	.set _ZN7rocprim17ROCPRIM_400000_NS6detail17trampoline_kernelINS0_14default_configENS1_25partition_config_selectorILNS1_17partition_subalgoE5EiNS0_10empty_typeEbEEZZNS1_14partition_implILS5_5ELb0ES3_mN6thrust23THRUST_200600_302600_NS6detail15normal_iteratorINSA_10device_ptrIiEEEEPS6_NSA_18transform_iteratorINSB_9not_fun_tI7is_trueIiEEESF_NSA_11use_defaultESM_EENS0_5tupleIJSF_S6_EEENSO_IJSG_SG_EEES6_PlJS6_EEE10hipError_tPvRmT3_T4_T5_T6_T7_T9_mT8_P12ihipStream_tbDpT10_ENKUlT_T0_E_clISt17integral_constantIbLb1EES1A_IbLb0EEEEDaS16_S17_EUlS16_E_NS1_11comp_targetILNS1_3genE4ELNS1_11target_archE910ELNS1_3gpuE8ELNS1_3repE0EEENS1_30default_config_static_selectorELNS0_4arch9wavefront6targetE0EEEvT1_.has_dyn_sized_stack, 0
	.set _ZN7rocprim17ROCPRIM_400000_NS6detail17trampoline_kernelINS0_14default_configENS1_25partition_config_selectorILNS1_17partition_subalgoE5EiNS0_10empty_typeEbEEZZNS1_14partition_implILS5_5ELb0ES3_mN6thrust23THRUST_200600_302600_NS6detail15normal_iteratorINSA_10device_ptrIiEEEEPS6_NSA_18transform_iteratorINSB_9not_fun_tI7is_trueIiEEESF_NSA_11use_defaultESM_EENS0_5tupleIJSF_S6_EEENSO_IJSG_SG_EEES6_PlJS6_EEE10hipError_tPvRmT3_T4_T5_T6_T7_T9_mT8_P12ihipStream_tbDpT10_ENKUlT_T0_E_clISt17integral_constantIbLb1EES1A_IbLb0EEEEDaS16_S17_EUlS16_E_NS1_11comp_targetILNS1_3genE4ELNS1_11target_archE910ELNS1_3gpuE8ELNS1_3repE0EEENS1_30default_config_static_selectorELNS0_4arch9wavefront6targetE0EEEvT1_.has_recursion, 0
	.set _ZN7rocprim17ROCPRIM_400000_NS6detail17trampoline_kernelINS0_14default_configENS1_25partition_config_selectorILNS1_17partition_subalgoE5EiNS0_10empty_typeEbEEZZNS1_14partition_implILS5_5ELb0ES3_mN6thrust23THRUST_200600_302600_NS6detail15normal_iteratorINSA_10device_ptrIiEEEEPS6_NSA_18transform_iteratorINSB_9not_fun_tI7is_trueIiEEESF_NSA_11use_defaultESM_EENS0_5tupleIJSF_S6_EEENSO_IJSG_SG_EEES6_PlJS6_EEE10hipError_tPvRmT3_T4_T5_T6_T7_T9_mT8_P12ihipStream_tbDpT10_ENKUlT_T0_E_clISt17integral_constantIbLb1EES1A_IbLb0EEEEDaS16_S17_EUlS16_E_NS1_11comp_targetILNS1_3genE4ELNS1_11target_archE910ELNS1_3gpuE8ELNS1_3repE0EEENS1_30default_config_static_selectorELNS0_4arch9wavefront6targetE0EEEvT1_.has_indirect_call, 0
	.section	.AMDGPU.csdata,"",@progbits
; Kernel info:
; codeLenInByte = 0
; TotalNumSgprs: 0
; NumVgprs: 0
; ScratchSize: 0
; MemoryBound: 0
; FloatMode: 240
; IeeeMode: 1
; LDSByteSize: 0 bytes/workgroup (compile time only)
; SGPRBlocks: 0
; VGPRBlocks: 0
; NumSGPRsForWavesPerEU: 1
; NumVGPRsForWavesPerEU: 1
; Occupancy: 16
; WaveLimiterHint : 0
; COMPUTE_PGM_RSRC2:SCRATCH_EN: 0
; COMPUTE_PGM_RSRC2:USER_SGPR: 2
; COMPUTE_PGM_RSRC2:TRAP_HANDLER: 0
; COMPUTE_PGM_RSRC2:TGID_X_EN: 1
; COMPUTE_PGM_RSRC2:TGID_Y_EN: 0
; COMPUTE_PGM_RSRC2:TGID_Z_EN: 0
; COMPUTE_PGM_RSRC2:TIDIG_COMP_CNT: 0
	.section	.text._ZN7rocprim17ROCPRIM_400000_NS6detail17trampoline_kernelINS0_14default_configENS1_25partition_config_selectorILNS1_17partition_subalgoE5EiNS0_10empty_typeEbEEZZNS1_14partition_implILS5_5ELb0ES3_mN6thrust23THRUST_200600_302600_NS6detail15normal_iteratorINSA_10device_ptrIiEEEEPS6_NSA_18transform_iteratorINSB_9not_fun_tI7is_trueIiEEESF_NSA_11use_defaultESM_EENS0_5tupleIJSF_S6_EEENSO_IJSG_SG_EEES6_PlJS6_EEE10hipError_tPvRmT3_T4_T5_T6_T7_T9_mT8_P12ihipStream_tbDpT10_ENKUlT_T0_E_clISt17integral_constantIbLb1EES1A_IbLb0EEEEDaS16_S17_EUlS16_E_NS1_11comp_targetILNS1_3genE3ELNS1_11target_archE908ELNS1_3gpuE7ELNS1_3repE0EEENS1_30default_config_static_selectorELNS0_4arch9wavefront6targetE0EEEvT1_,"axG",@progbits,_ZN7rocprim17ROCPRIM_400000_NS6detail17trampoline_kernelINS0_14default_configENS1_25partition_config_selectorILNS1_17partition_subalgoE5EiNS0_10empty_typeEbEEZZNS1_14partition_implILS5_5ELb0ES3_mN6thrust23THRUST_200600_302600_NS6detail15normal_iteratorINSA_10device_ptrIiEEEEPS6_NSA_18transform_iteratorINSB_9not_fun_tI7is_trueIiEEESF_NSA_11use_defaultESM_EENS0_5tupleIJSF_S6_EEENSO_IJSG_SG_EEES6_PlJS6_EEE10hipError_tPvRmT3_T4_T5_T6_T7_T9_mT8_P12ihipStream_tbDpT10_ENKUlT_T0_E_clISt17integral_constantIbLb1EES1A_IbLb0EEEEDaS16_S17_EUlS16_E_NS1_11comp_targetILNS1_3genE3ELNS1_11target_archE908ELNS1_3gpuE7ELNS1_3repE0EEENS1_30default_config_static_selectorELNS0_4arch9wavefront6targetE0EEEvT1_,comdat
	.protected	_ZN7rocprim17ROCPRIM_400000_NS6detail17trampoline_kernelINS0_14default_configENS1_25partition_config_selectorILNS1_17partition_subalgoE5EiNS0_10empty_typeEbEEZZNS1_14partition_implILS5_5ELb0ES3_mN6thrust23THRUST_200600_302600_NS6detail15normal_iteratorINSA_10device_ptrIiEEEEPS6_NSA_18transform_iteratorINSB_9not_fun_tI7is_trueIiEEESF_NSA_11use_defaultESM_EENS0_5tupleIJSF_S6_EEENSO_IJSG_SG_EEES6_PlJS6_EEE10hipError_tPvRmT3_T4_T5_T6_T7_T9_mT8_P12ihipStream_tbDpT10_ENKUlT_T0_E_clISt17integral_constantIbLb1EES1A_IbLb0EEEEDaS16_S17_EUlS16_E_NS1_11comp_targetILNS1_3genE3ELNS1_11target_archE908ELNS1_3gpuE7ELNS1_3repE0EEENS1_30default_config_static_selectorELNS0_4arch9wavefront6targetE0EEEvT1_ ; -- Begin function _ZN7rocprim17ROCPRIM_400000_NS6detail17trampoline_kernelINS0_14default_configENS1_25partition_config_selectorILNS1_17partition_subalgoE5EiNS0_10empty_typeEbEEZZNS1_14partition_implILS5_5ELb0ES3_mN6thrust23THRUST_200600_302600_NS6detail15normal_iteratorINSA_10device_ptrIiEEEEPS6_NSA_18transform_iteratorINSB_9not_fun_tI7is_trueIiEEESF_NSA_11use_defaultESM_EENS0_5tupleIJSF_S6_EEENSO_IJSG_SG_EEES6_PlJS6_EEE10hipError_tPvRmT3_T4_T5_T6_T7_T9_mT8_P12ihipStream_tbDpT10_ENKUlT_T0_E_clISt17integral_constantIbLb1EES1A_IbLb0EEEEDaS16_S17_EUlS16_E_NS1_11comp_targetILNS1_3genE3ELNS1_11target_archE908ELNS1_3gpuE7ELNS1_3repE0EEENS1_30default_config_static_selectorELNS0_4arch9wavefront6targetE0EEEvT1_
	.globl	_ZN7rocprim17ROCPRIM_400000_NS6detail17trampoline_kernelINS0_14default_configENS1_25partition_config_selectorILNS1_17partition_subalgoE5EiNS0_10empty_typeEbEEZZNS1_14partition_implILS5_5ELb0ES3_mN6thrust23THRUST_200600_302600_NS6detail15normal_iteratorINSA_10device_ptrIiEEEEPS6_NSA_18transform_iteratorINSB_9not_fun_tI7is_trueIiEEESF_NSA_11use_defaultESM_EENS0_5tupleIJSF_S6_EEENSO_IJSG_SG_EEES6_PlJS6_EEE10hipError_tPvRmT3_T4_T5_T6_T7_T9_mT8_P12ihipStream_tbDpT10_ENKUlT_T0_E_clISt17integral_constantIbLb1EES1A_IbLb0EEEEDaS16_S17_EUlS16_E_NS1_11comp_targetILNS1_3genE3ELNS1_11target_archE908ELNS1_3gpuE7ELNS1_3repE0EEENS1_30default_config_static_selectorELNS0_4arch9wavefront6targetE0EEEvT1_
	.p2align	8
	.type	_ZN7rocprim17ROCPRIM_400000_NS6detail17trampoline_kernelINS0_14default_configENS1_25partition_config_selectorILNS1_17partition_subalgoE5EiNS0_10empty_typeEbEEZZNS1_14partition_implILS5_5ELb0ES3_mN6thrust23THRUST_200600_302600_NS6detail15normal_iteratorINSA_10device_ptrIiEEEEPS6_NSA_18transform_iteratorINSB_9not_fun_tI7is_trueIiEEESF_NSA_11use_defaultESM_EENS0_5tupleIJSF_S6_EEENSO_IJSG_SG_EEES6_PlJS6_EEE10hipError_tPvRmT3_T4_T5_T6_T7_T9_mT8_P12ihipStream_tbDpT10_ENKUlT_T0_E_clISt17integral_constantIbLb1EES1A_IbLb0EEEEDaS16_S17_EUlS16_E_NS1_11comp_targetILNS1_3genE3ELNS1_11target_archE908ELNS1_3gpuE7ELNS1_3repE0EEENS1_30default_config_static_selectorELNS0_4arch9wavefront6targetE0EEEvT1_,@function
_ZN7rocprim17ROCPRIM_400000_NS6detail17trampoline_kernelINS0_14default_configENS1_25partition_config_selectorILNS1_17partition_subalgoE5EiNS0_10empty_typeEbEEZZNS1_14partition_implILS5_5ELb0ES3_mN6thrust23THRUST_200600_302600_NS6detail15normal_iteratorINSA_10device_ptrIiEEEEPS6_NSA_18transform_iteratorINSB_9not_fun_tI7is_trueIiEEESF_NSA_11use_defaultESM_EENS0_5tupleIJSF_S6_EEENSO_IJSG_SG_EEES6_PlJS6_EEE10hipError_tPvRmT3_T4_T5_T6_T7_T9_mT8_P12ihipStream_tbDpT10_ENKUlT_T0_E_clISt17integral_constantIbLb1EES1A_IbLb0EEEEDaS16_S17_EUlS16_E_NS1_11comp_targetILNS1_3genE3ELNS1_11target_archE908ELNS1_3gpuE7ELNS1_3repE0EEENS1_30default_config_static_selectorELNS0_4arch9wavefront6targetE0EEEvT1_: ; @_ZN7rocprim17ROCPRIM_400000_NS6detail17trampoline_kernelINS0_14default_configENS1_25partition_config_selectorILNS1_17partition_subalgoE5EiNS0_10empty_typeEbEEZZNS1_14partition_implILS5_5ELb0ES3_mN6thrust23THRUST_200600_302600_NS6detail15normal_iteratorINSA_10device_ptrIiEEEEPS6_NSA_18transform_iteratorINSB_9not_fun_tI7is_trueIiEEESF_NSA_11use_defaultESM_EENS0_5tupleIJSF_S6_EEENSO_IJSG_SG_EEES6_PlJS6_EEE10hipError_tPvRmT3_T4_T5_T6_T7_T9_mT8_P12ihipStream_tbDpT10_ENKUlT_T0_E_clISt17integral_constantIbLb1EES1A_IbLb0EEEEDaS16_S17_EUlS16_E_NS1_11comp_targetILNS1_3genE3ELNS1_11target_archE908ELNS1_3gpuE7ELNS1_3repE0EEENS1_30default_config_static_selectorELNS0_4arch9wavefront6targetE0EEEvT1_
; %bb.0:
	.section	.rodata,"a",@progbits
	.p2align	6, 0x0
	.amdhsa_kernel _ZN7rocprim17ROCPRIM_400000_NS6detail17trampoline_kernelINS0_14default_configENS1_25partition_config_selectorILNS1_17partition_subalgoE5EiNS0_10empty_typeEbEEZZNS1_14partition_implILS5_5ELb0ES3_mN6thrust23THRUST_200600_302600_NS6detail15normal_iteratorINSA_10device_ptrIiEEEEPS6_NSA_18transform_iteratorINSB_9not_fun_tI7is_trueIiEEESF_NSA_11use_defaultESM_EENS0_5tupleIJSF_S6_EEENSO_IJSG_SG_EEES6_PlJS6_EEE10hipError_tPvRmT3_T4_T5_T6_T7_T9_mT8_P12ihipStream_tbDpT10_ENKUlT_T0_E_clISt17integral_constantIbLb1EES1A_IbLb0EEEEDaS16_S17_EUlS16_E_NS1_11comp_targetILNS1_3genE3ELNS1_11target_archE908ELNS1_3gpuE7ELNS1_3repE0EEENS1_30default_config_static_selectorELNS0_4arch9wavefront6targetE0EEEvT1_
		.amdhsa_group_segment_fixed_size 0
		.amdhsa_private_segment_fixed_size 0
		.amdhsa_kernarg_size 120
		.amdhsa_user_sgpr_count 2
		.amdhsa_user_sgpr_dispatch_ptr 0
		.amdhsa_user_sgpr_queue_ptr 0
		.amdhsa_user_sgpr_kernarg_segment_ptr 1
		.amdhsa_user_sgpr_dispatch_id 0
		.amdhsa_user_sgpr_private_segment_size 0
		.amdhsa_wavefront_size32 1
		.amdhsa_uses_dynamic_stack 0
		.amdhsa_enable_private_segment 0
		.amdhsa_system_sgpr_workgroup_id_x 1
		.amdhsa_system_sgpr_workgroup_id_y 0
		.amdhsa_system_sgpr_workgroup_id_z 0
		.amdhsa_system_sgpr_workgroup_info 0
		.amdhsa_system_vgpr_workitem_id 0
		.amdhsa_next_free_vgpr 1
		.amdhsa_next_free_sgpr 1
		.amdhsa_reserve_vcc 0
		.amdhsa_float_round_mode_32 0
		.amdhsa_float_round_mode_16_64 0
		.amdhsa_float_denorm_mode_32 3
		.amdhsa_float_denorm_mode_16_64 3
		.amdhsa_fp16_overflow 0
		.amdhsa_workgroup_processor_mode 1
		.amdhsa_memory_ordered 1
		.amdhsa_forward_progress 1
		.amdhsa_inst_pref_size 0
		.amdhsa_round_robin_scheduling 0
		.amdhsa_exception_fp_ieee_invalid_op 0
		.amdhsa_exception_fp_denorm_src 0
		.amdhsa_exception_fp_ieee_div_zero 0
		.amdhsa_exception_fp_ieee_overflow 0
		.amdhsa_exception_fp_ieee_underflow 0
		.amdhsa_exception_fp_ieee_inexact 0
		.amdhsa_exception_int_div_zero 0
	.end_amdhsa_kernel
	.section	.text._ZN7rocprim17ROCPRIM_400000_NS6detail17trampoline_kernelINS0_14default_configENS1_25partition_config_selectorILNS1_17partition_subalgoE5EiNS0_10empty_typeEbEEZZNS1_14partition_implILS5_5ELb0ES3_mN6thrust23THRUST_200600_302600_NS6detail15normal_iteratorINSA_10device_ptrIiEEEEPS6_NSA_18transform_iteratorINSB_9not_fun_tI7is_trueIiEEESF_NSA_11use_defaultESM_EENS0_5tupleIJSF_S6_EEENSO_IJSG_SG_EEES6_PlJS6_EEE10hipError_tPvRmT3_T4_T5_T6_T7_T9_mT8_P12ihipStream_tbDpT10_ENKUlT_T0_E_clISt17integral_constantIbLb1EES1A_IbLb0EEEEDaS16_S17_EUlS16_E_NS1_11comp_targetILNS1_3genE3ELNS1_11target_archE908ELNS1_3gpuE7ELNS1_3repE0EEENS1_30default_config_static_selectorELNS0_4arch9wavefront6targetE0EEEvT1_,"axG",@progbits,_ZN7rocprim17ROCPRIM_400000_NS6detail17trampoline_kernelINS0_14default_configENS1_25partition_config_selectorILNS1_17partition_subalgoE5EiNS0_10empty_typeEbEEZZNS1_14partition_implILS5_5ELb0ES3_mN6thrust23THRUST_200600_302600_NS6detail15normal_iteratorINSA_10device_ptrIiEEEEPS6_NSA_18transform_iteratorINSB_9not_fun_tI7is_trueIiEEESF_NSA_11use_defaultESM_EENS0_5tupleIJSF_S6_EEENSO_IJSG_SG_EEES6_PlJS6_EEE10hipError_tPvRmT3_T4_T5_T6_T7_T9_mT8_P12ihipStream_tbDpT10_ENKUlT_T0_E_clISt17integral_constantIbLb1EES1A_IbLb0EEEEDaS16_S17_EUlS16_E_NS1_11comp_targetILNS1_3genE3ELNS1_11target_archE908ELNS1_3gpuE7ELNS1_3repE0EEENS1_30default_config_static_selectorELNS0_4arch9wavefront6targetE0EEEvT1_,comdat
.Lfunc_end1519:
	.size	_ZN7rocprim17ROCPRIM_400000_NS6detail17trampoline_kernelINS0_14default_configENS1_25partition_config_selectorILNS1_17partition_subalgoE5EiNS0_10empty_typeEbEEZZNS1_14partition_implILS5_5ELb0ES3_mN6thrust23THRUST_200600_302600_NS6detail15normal_iteratorINSA_10device_ptrIiEEEEPS6_NSA_18transform_iteratorINSB_9not_fun_tI7is_trueIiEEESF_NSA_11use_defaultESM_EENS0_5tupleIJSF_S6_EEENSO_IJSG_SG_EEES6_PlJS6_EEE10hipError_tPvRmT3_T4_T5_T6_T7_T9_mT8_P12ihipStream_tbDpT10_ENKUlT_T0_E_clISt17integral_constantIbLb1EES1A_IbLb0EEEEDaS16_S17_EUlS16_E_NS1_11comp_targetILNS1_3genE3ELNS1_11target_archE908ELNS1_3gpuE7ELNS1_3repE0EEENS1_30default_config_static_selectorELNS0_4arch9wavefront6targetE0EEEvT1_, .Lfunc_end1519-_ZN7rocprim17ROCPRIM_400000_NS6detail17trampoline_kernelINS0_14default_configENS1_25partition_config_selectorILNS1_17partition_subalgoE5EiNS0_10empty_typeEbEEZZNS1_14partition_implILS5_5ELb0ES3_mN6thrust23THRUST_200600_302600_NS6detail15normal_iteratorINSA_10device_ptrIiEEEEPS6_NSA_18transform_iteratorINSB_9not_fun_tI7is_trueIiEEESF_NSA_11use_defaultESM_EENS0_5tupleIJSF_S6_EEENSO_IJSG_SG_EEES6_PlJS6_EEE10hipError_tPvRmT3_T4_T5_T6_T7_T9_mT8_P12ihipStream_tbDpT10_ENKUlT_T0_E_clISt17integral_constantIbLb1EES1A_IbLb0EEEEDaS16_S17_EUlS16_E_NS1_11comp_targetILNS1_3genE3ELNS1_11target_archE908ELNS1_3gpuE7ELNS1_3repE0EEENS1_30default_config_static_selectorELNS0_4arch9wavefront6targetE0EEEvT1_
                                        ; -- End function
	.set _ZN7rocprim17ROCPRIM_400000_NS6detail17trampoline_kernelINS0_14default_configENS1_25partition_config_selectorILNS1_17partition_subalgoE5EiNS0_10empty_typeEbEEZZNS1_14partition_implILS5_5ELb0ES3_mN6thrust23THRUST_200600_302600_NS6detail15normal_iteratorINSA_10device_ptrIiEEEEPS6_NSA_18transform_iteratorINSB_9not_fun_tI7is_trueIiEEESF_NSA_11use_defaultESM_EENS0_5tupleIJSF_S6_EEENSO_IJSG_SG_EEES6_PlJS6_EEE10hipError_tPvRmT3_T4_T5_T6_T7_T9_mT8_P12ihipStream_tbDpT10_ENKUlT_T0_E_clISt17integral_constantIbLb1EES1A_IbLb0EEEEDaS16_S17_EUlS16_E_NS1_11comp_targetILNS1_3genE3ELNS1_11target_archE908ELNS1_3gpuE7ELNS1_3repE0EEENS1_30default_config_static_selectorELNS0_4arch9wavefront6targetE0EEEvT1_.num_vgpr, 0
	.set _ZN7rocprim17ROCPRIM_400000_NS6detail17trampoline_kernelINS0_14default_configENS1_25partition_config_selectorILNS1_17partition_subalgoE5EiNS0_10empty_typeEbEEZZNS1_14partition_implILS5_5ELb0ES3_mN6thrust23THRUST_200600_302600_NS6detail15normal_iteratorINSA_10device_ptrIiEEEEPS6_NSA_18transform_iteratorINSB_9not_fun_tI7is_trueIiEEESF_NSA_11use_defaultESM_EENS0_5tupleIJSF_S6_EEENSO_IJSG_SG_EEES6_PlJS6_EEE10hipError_tPvRmT3_T4_T5_T6_T7_T9_mT8_P12ihipStream_tbDpT10_ENKUlT_T0_E_clISt17integral_constantIbLb1EES1A_IbLb0EEEEDaS16_S17_EUlS16_E_NS1_11comp_targetILNS1_3genE3ELNS1_11target_archE908ELNS1_3gpuE7ELNS1_3repE0EEENS1_30default_config_static_selectorELNS0_4arch9wavefront6targetE0EEEvT1_.num_agpr, 0
	.set _ZN7rocprim17ROCPRIM_400000_NS6detail17trampoline_kernelINS0_14default_configENS1_25partition_config_selectorILNS1_17partition_subalgoE5EiNS0_10empty_typeEbEEZZNS1_14partition_implILS5_5ELb0ES3_mN6thrust23THRUST_200600_302600_NS6detail15normal_iteratorINSA_10device_ptrIiEEEEPS6_NSA_18transform_iteratorINSB_9not_fun_tI7is_trueIiEEESF_NSA_11use_defaultESM_EENS0_5tupleIJSF_S6_EEENSO_IJSG_SG_EEES6_PlJS6_EEE10hipError_tPvRmT3_T4_T5_T6_T7_T9_mT8_P12ihipStream_tbDpT10_ENKUlT_T0_E_clISt17integral_constantIbLb1EES1A_IbLb0EEEEDaS16_S17_EUlS16_E_NS1_11comp_targetILNS1_3genE3ELNS1_11target_archE908ELNS1_3gpuE7ELNS1_3repE0EEENS1_30default_config_static_selectorELNS0_4arch9wavefront6targetE0EEEvT1_.numbered_sgpr, 0
	.set _ZN7rocprim17ROCPRIM_400000_NS6detail17trampoline_kernelINS0_14default_configENS1_25partition_config_selectorILNS1_17partition_subalgoE5EiNS0_10empty_typeEbEEZZNS1_14partition_implILS5_5ELb0ES3_mN6thrust23THRUST_200600_302600_NS6detail15normal_iteratorINSA_10device_ptrIiEEEEPS6_NSA_18transform_iteratorINSB_9not_fun_tI7is_trueIiEEESF_NSA_11use_defaultESM_EENS0_5tupleIJSF_S6_EEENSO_IJSG_SG_EEES6_PlJS6_EEE10hipError_tPvRmT3_T4_T5_T6_T7_T9_mT8_P12ihipStream_tbDpT10_ENKUlT_T0_E_clISt17integral_constantIbLb1EES1A_IbLb0EEEEDaS16_S17_EUlS16_E_NS1_11comp_targetILNS1_3genE3ELNS1_11target_archE908ELNS1_3gpuE7ELNS1_3repE0EEENS1_30default_config_static_selectorELNS0_4arch9wavefront6targetE0EEEvT1_.num_named_barrier, 0
	.set _ZN7rocprim17ROCPRIM_400000_NS6detail17trampoline_kernelINS0_14default_configENS1_25partition_config_selectorILNS1_17partition_subalgoE5EiNS0_10empty_typeEbEEZZNS1_14partition_implILS5_5ELb0ES3_mN6thrust23THRUST_200600_302600_NS6detail15normal_iteratorINSA_10device_ptrIiEEEEPS6_NSA_18transform_iteratorINSB_9not_fun_tI7is_trueIiEEESF_NSA_11use_defaultESM_EENS0_5tupleIJSF_S6_EEENSO_IJSG_SG_EEES6_PlJS6_EEE10hipError_tPvRmT3_T4_T5_T6_T7_T9_mT8_P12ihipStream_tbDpT10_ENKUlT_T0_E_clISt17integral_constantIbLb1EES1A_IbLb0EEEEDaS16_S17_EUlS16_E_NS1_11comp_targetILNS1_3genE3ELNS1_11target_archE908ELNS1_3gpuE7ELNS1_3repE0EEENS1_30default_config_static_selectorELNS0_4arch9wavefront6targetE0EEEvT1_.private_seg_size, 0
	.set _ZN7rocprim17ROCPRIM_400000_NS6detail17trampoline_kernelINS0_14default_configENS1_25partition_config_selectorILNS1_17partition_subalgoE5EiNS0_10empty_typeEbEEZZNS1_14partition_implILS5_5ELb0ES3_mN6thrust23THRUST_200600_302600_NS6detail15normal_iteratorINSA_10device_ptrIiEEEEPS6_NSA_18transform_iteratorINSB_9not_fun_tI7is_trueIiEEESF_NSA_11use_defaultESM_EENS0_5tupleIJSF_S6_EEENSO_IJSG_SG_EEES6_PlJS6_EEE10hipError_tPvRmT3_T4_T5_T6_T7_T9_mT8_P12ihipStream_tbDpT10_ENKUlT_T0_E_clISt17integral_constantIbLb1EES1A_IbLb0EEEEDaS16_S17_EUlS16_E_NS1_11comp_targetILNS1_3genE3ELNS1_11target_archE908ELNS1_3gpuE7ELNS1_3repE0EEENS1_30default_config_static_selectorELNS0_4arch9wavefront6targetE0EEEvT1_.uses_vcc, 0
	.set _ZN7rocprim17ROCPRIM_400000_NS6detail17trampoline_kernelINS0_14default_configENS1_25partition_config_selectorILNS1_17partition_subalgoE5EiNS0_10empty_typeEbEEZZNS1_14partition_implILS5_5ELb0ES3_mN6thrust23THRUST_200600_302600_NS6detail15normal_iteratorINSA_10device_ptrIiEEEEPS6_NSA_18transform_iteratorINSB_9not_fun_tI7is_trueIiEEESF_NSA_11use_defaultESM_EENS0_5tupleIJSF_S6_EEENSO_IJSG_SG_EEES6_PlJS6_EEE10hipError_tPvRmT3_T4_T5_T6_T7_T9_mT8_P12ihipStream_tbDpT10_ENKUlT_T0_E_clISt17integral_constantIbLb1EES1A_IbLb0EEEEDaS16_S17_EUlS16_E_NS1_11comp_targetILNS1_3genE3ELNS1_11target_archE908ELNS1_3gpuE7ELNS1_3repE0EEENS1_30default_config_static_selectorELNS0_4arch9wavefront6targetE0EEEvT1_.uses_flat_scratch, 0
	.set _ZN7rocprim17ROCPRIM_400000_NS6detail17trampoline_kernelINS0_14default_configENS1_25partition_config_selectorILNS1_17partition_subalgoE5EiNS0_10empty_typeEbEEZZNS1_14partition_implILS5_5ELb0ES3_mN6thrust23THRUST_200600_302600_NS6detail15normal_iteratorINSA_10device_ptrIiEEEEPS6_NSA_18transform_iteratorINSB_9not_fun_tI7is_trueIiEEESF_NSA_11use_defaultESM_EENS0_5tupleIJSF_S6_EEENSO_IJSG_SG_EEES6_PlJS6_EEE10hipError_tPvRmT3_T4_T5_T6_T7_T9_mT8_P12ihipStream_tbDpT10_ENKUlT_T0_E_clISt17integral_constantIbLb1EES1A_IbLb0EEEEDaS16_S17_EUlS16_E_NS1_11comp_targetILNS1_3genE3ELNS1_11target_archE908ELNS1_3gpuE7ELNS1_3repE0EEENS1_30default_config_static_selectorELNS0_4arch9wavefront6targetE0EEEvT1_.has_dyn_sized_stack, 0
	.set _ZN7rocprim17ROCPRIM_400000_NS6detail17trampoline_kernelINS0_14default_configENS1_25partition_config_selectorILNS1_17partition_subalgoE5EiNS0_10empty_typeEbEEZZNS1_14partition_implILS5_5ELb0ES3_mN6thrust23THRUST_200600_302600_NS6detail15normal_iteratorINSA_10device_ptrIiEEEEPS6_NSA_18transform_iteratorINSB_9not_fun_tI7is_trueIiEEESF_NSA_11use_defaultESM_EENS0_5tupleIJSF_S6_EEENSO_IJSG_SG_EEES6_PlJS6_EEE10hipError_tPvRmT3_T4_T5_T6_T7_T9_mT8_P12ihipStream_tbDpT10_ENKUlT_T0_E_clISt17integral_constantIbLb1EES1A_IbLb0EEEEDaS16_S17_EUlS16_E_NS1_11comp_targetILNS1_3genE3ELNS1_11target_archE908ELNS1_3gpuE7ELNS1_3repE0EEENS1_30default_config_static_selectorELNS0_4arch9wavefront6targetE0EEEvT1_.has_recursion, 0
	.set _ZN7rocprim17ROCPRIM_400000_NS6detail17trampoline_kernelINS0_14default_configENS1_25partition_config_selectorILNS1_17partition_subalgoE5EiNS0_10empty_typeEbEEZZNS1_14partition_implILS5_5ELb0ES3_mN6thrust23THRUST_200600_302600_NS6detail15normal_iteratorINSA_10device_ptrIiEEEEPS6_NSA_18transform_iteratorINSB_9not_fun_tI7is_trueIiEEESF_NSA_11use_defaultESM_EENS0_5tupleIJSF_S6_EEENSO_IJSG_SG_EEES6_PlJS6_EEE10hipError_tPvRmT3_T4_T5_T6_T7_T9_mT8_P12ihipStream_tbDpT10_ENKUlT_T0_E_clISt17integral_constantIbLb1EES1A_IbLb0EEEEDaS16_S17_EUlS16_E_NS1_11comp_targetILNS1_3genE3ELNS1_11target_archE908ELNS1_3gpuE7ELNS1_3repE0EEENS1_30default_config_static_selectorELNS0_4arch9wavefront6targetE0EEEvT1_.has_indirect_call, 0
	.section	.AMDGPU.csdata,"",@progbits
; Kernel info:
; codeLenInByte = 0
; TotalNumSgprs: 0
; NumVgprs: 0
; ScratchSize: 0
; MemoryBound: 0
; FloatMode: 240
; IeeeMode: 1
; LDSByteSize: 0 bytes/workgroup (compile time only)
; SGPRBlocks: 0
; VGPRBlocks: 0
; NumSGPRsForWavesPerEU: 1
; NumVGPRsForWavesPerEU: 1
; Occupancy: 16
; WaveLimiterHint : 0
; COMPUTE_PGM_RSRC2:SCRATCH_EN: 0
; COMPUTE_PGM_RSRC2:USER_SGPR: 2
; COMPUTE_PGM_RSRC2:TRAP_HANDLER: 0
; COMPUTE_PGM_RSRC2:TGID_X_EN: 1
; COMPUTE_PGM_RSRC2:TGID_Y_EN: 0
; COMPUTE_PGM_RSRC2:TGID_Z_EN: 0
; COMPUTE_PGM_RSRC2:TIDIG_COMP_CNT: 0
	.section	.text._ZN7rocprim17ROCPRIM_400000_NS6detail17trampoline_kernelINS0_14default_configENS1_25partition_config_selectorILNS1_17partition_subalgoE5EiNS0_10empty_typeEbEEZZNS1_14partition_implILS5_5ELb0ES3_mN6thrust23THRUST_200600_302600_NS6detail15normal_iteratorINSA_10device_ptrIiEEEEPS6_NSA_18transform_iteratorINSB_9not_fun_tI7is_trueIiEEESF_NSA_11use_defaultESM_EENS0_5tupleIJSF_S6_EEENSO_IJSG_SG_EEES6_PlJS6_EEE10hipError_tPvRmT3_T4_T5_T6_T7_T9_mT8_P12ihipStream_tbDpT10_ENKUlT_T0_E_clISt17integral_constantIbLb1EES1A_IbLb0EEEEDaS16_S17_EUlS16_E_NS1_11comp_targetILNS1_3genE2ELNS1_11target_archE906ELNS1_3gpuE6ELNS1_3repE0EEENS1_30default_config_static_selectorELNS0_4arch9wavefront6targetE0EEEvT1_,"axG",@progbits,_ZN7rocprim17ROCPRIM_400000_NS6detail17trampoline_kernelINS0_14default_configENS1_25partition_config_selectorILNS1_17partition_subalgoE5EiNS0_10empty_typeEbEEZZNS1_14partition_implILS5_5ELb0ES3_mN6thrust23THRUST_200600_302600_NS6detail15normal_iteratorINSA_10device_ptrIiEEEEPS6_NSA_18transform_iteratorINSB_9not_fun_tI7is_trueIiEEESF_NSA_11use_defaultESM_EENS0_5tupleIJSF_S6_EEENSO_IJSG_SG_EEES6_PlJS6_EEE10hipError_tPvRmT3_T4_T5_T6_T7_T9_mT8_P12ihipStream_tbDpT10_ENKUlT_T0_E_clISt17integral_constantIbLb1EES1A_IbLb0EEEEDaS16_S17_EUlS16_E_NS1_11comp_targetILNS1_3genE2ELNS1_11target_archE906ELNS1_3gpuE6ELNS1_3repE0EEENS1_30default_config_static_selectorELNS0_4arch9wavefront6targetE0EEEvT1_,comdat
	.protected	_ZN7rocprim17ROCPRIM_400000_NS6detail17trampoline_kernelINS0_14default_configENS1_25partition_config_selectorILNS1_17partition_subalgoE5EiNS0_10empty_typeEbEEZZNS1_14partition_implILS5_5ELb0ES3_mN6thrust23THRUST_200600_302600_NS6detail15normal_iteratorINSA_10device_ptrIiEEEEPS6_NSA_18transform_iteratorINSB_9not_fun_tI7is_trueIiEEESF_NSA_11use_defaultESM_EENS0_5tupleIJSF_S6_EEENSO_IJSG_SG_EEES6_PlJS6_EEE10hipError_tPvRmT3_T4_T5_T6_T7_T9_mT8_P12ihipStream_tbDpT10_ENKUlT_T0_E_clISt17integral_constantIbLb1EES1A_IbLb0EEEEDaS16_S17_EUlS16_E_NS1_11comp_targetILNS1_3genE2ELNS1_11target_archE906ELNS1_3gpuE6ELNS1_3repE0EEENS1_30default_config_static_selectorELNS0_4arch9wavefront6targetE0EEEvT1_ ; -- Begin function _ZN7rocprim17ROCPRIM_400000_NS6detail17trampoline_kernelINS0_14default_configENS1_25partition_config_selectorILNS1_17partition_subalgoE5EiNS0_10empty_typeEbEEZZNS1_14partition_implILS5_5ELb0ES3_mN6thrust23THRUST_200600_302600_NS6detail15normal_iteratorINSA_10device_ptrIiEEEEPS6_NSA_18transform_iteratorINSB_9not_fun_tI7is_trueIiEEESF_NSA_11use_defaultESM_EENS0_5tupleIJSF_S6_EEENSO_IJSG_SG_EEES6_PlJS6_EEE10hipError_tPvRmT3_T4_T5_T6_T7_T9_mT8_P12ihipStream_tbDpT10_ENKUlT_T0_E_clISt17integral_constantIbLb1EES1A_IbLb0EEEEDaS16_S17_EUlS16_E_NS1_11comp_targetILNS1_3genE2ELNS1_11target_archE906ELNS1_3gpuE6ELNS1_3repE0EEENS1_30default_config_static_selectorELNS0_4arch9wavefront6targetE0EEEvT1_
	.globl	_ZN7rocprim17ROCPRIM_400000_NS6detail17trampoline_kernelINS0_14default_configENS1_25partition_config_selectorILNS1_17partition_subalgoE5EiNS0_10empty_typeEbEEZZNS1_14partition_implILS5_5ELb0ES3_mN6thrust23THRUST_200600_302600_NS6detail15normal_iteratorINSA_10device_ptrIiEEEEPS6_NSA_18transform_iteratorINSB_9not_fun_tI7is_trueIiEEESF_NSA_11use_defaultESM_EENS0_5tupleIJSF_S6_EEENSO_IJSG_SG_EEES6_PlJS6_EEE10hipError_tPvRmT3_T4_T5_T6_T7_T9_mT8_P12ihipStream_tbDpT10_ENKUlT_T0_E_clISt17integral_constantIbLb1EES1A_IbLb0EEEEDaS16_S17_EUlS16_E_NS1_11comp_targetILNS1_3genE2ELNS1_11target_archE906ELNS1_3gpuE6ELNS1_3repE0EEENS1_30default_config_static_selectorELNS0_4arch9wavefront6targetE0EEEvT1_
	.p2align	8
	.type	_ZN7rocprim17ROCPRIM_400000_NS6detail17trampoline_kernelINS0_14default_configENS1_25partition_config_selectorILNS1_17partition_subalgoE5EiNS0_10empty_typeEbEEZZNS1_14partition_implILS5_5ELb0ES3_mN6thrust23THRUST_200600_302600_NS6detail15normal_iteratorINSA_10device_ptrIiEEEEPS6_NSA_18transform_iteratorINSB_9not_fun_tI7is_trueIiEEESF_NSA_11use_defaultESM_EENS0_5tupleIJSF_S6_EEENSO_IJSG_SG_EEES6_PlJS6_EEE10hipError_tPvRmT3_T4_T5_T6_T7_T9_mT8_P12ihipStream_tbDpT10_ENKUlT_T0_E_clISt17integral_constantIbLb1EES1A_IbLb0EEEEDaS16_S17_EUlS16_E_NS1_11comp_targetILNS1_3genE2ELNS1_11target_archE906ELNS1_3gpuE6ELNS1_3repE0EEENS1_30default_config_static_selectorELNS0_4arch9wavefront6targetE0EEEvT1_,@function
_ZN7rocprim17ROCPRIM_400000_NS6detail17trampoline_kernelINS0_14default_configENS1_25partition_config_selectorILNS1_17partition_subalgoE5EiNS0_10empty_typeEbEEZZNS1_14partition_implILS5_5ELb0ES3_mN6thrust23THRUST_200600_302600_NS6detail15normal_iteratorINSA_10device_ptrIiEEEEPS6_NSA_18transform_iteratorINSB_9not_fun_tI7is_trueIiEEESF_NSA_11use_defaultESM_EENS0_5tupleIJSF_S6_EEENSO_IJSG_SG_EEES6_PlJS6_EEE10hipError_tPvRmT3_T4_T5_T6_T7_T9_mT8_P12ihipStream_tbDpT10_ENKUlT_T0_E_clISt17integral_constantIbLb1EES1A_IbLb0EEEEDaS16_S17_EUlS16_E_NS1_11comp_targetILNS1_3genE2ELNS1_11target_archE906ELNS1_3gpuE6ELNS1_3repE0EEENS1_30default_config_static_selectorELNS0_4arch9wavefront6targetE0EEEvT1_: ; @_ZN7rocprim17ROCPRIM_400000_NS6detail17trampoline_kernelINS0_14default_configENS1_25partition_config_selectorILNS1_17partition_subalgoE5EiNS0_10empty_typeEbEEZZNS1_14partition_implILS5_5ELb0ES3_mN6thrust23THRUST_200600_302600_NS6detail15normal_iteratorINSA_10device_ptrIiEEEEPS6_NSA_18transform_iteratorINSB_9not_fun_tI7is_trueIiEEESF_NSA_11use_defaultESM_EENS0_5tupleIJSF_S6_EEENSO_IJSG_SG_EEES6_PlJS6_EEE10hipError_tPvRmT3_T4_T5_T6_T7_T9_mT8_P12ihipStream_tbDpT10_ENKUlT_T0_E_clISt17integral_constantIbLb1EES1A_IbLb0EEEEDaS16_S17_EUlS16_E_NS1_11comp_targetILNS1_3genE2ELNS1_11target_archE906ELNS1_3gpuE6ELNS1_3repE0EEENS1_30default_config_static_selectorELNS0_4arch9wavefront6targetE0EEEvT1_
; %bb.0:
	.section	.rodata,"a",@progbits
	.p2align	6, 0x0
	.amdhsa_kernel _ZN7rocprim17ROCPRIM_400000_NS6detail17trampoline_kernelINS0_14default_configENS1_25partition_config_selectorILNS1_17partition_subalgoE5EiNS0_10empty_typeEbEEZZNS1_14partition_implILS5_5ELb0ES3_mN6thrust23THRUST_200600_302600_NS6detail15normal_iteratorINSA_10device_ptrIiEEEEPS6_NSA_18transform_iteratorINSB_9not_fun_tI7is_trueIiEEESF_NSA_11use_defaultESM_EENS0_5tupleIJSF_S6_EEENSO_IJSG_SG_EEES6_PlJS6_EEE10hipError_tPvRmT3_T4_T5_T6_T7_T9_mT8_P12ihipStream_tbDpT10_ENKUlT_T0_E_clISt17integral_constantIbLb1EES1A_IbLb0EEEEDaS16_S17_EUlS16_E_NS1_11comp_targetILNS1_3genE2ELNS1_11target_archE906ELNS1_3gpuE6ELNS1_3repE0EEENS1_30default_config_static_selectorELNS0_4arch9wavefront6targetE0EEEvT1_
		.amdhsa_group_segment_fixed_size 0
		.amdhsa_private_segment_fixed_size 0
		.amdhsa_kernarg_size 120
		.amdhsa_user_sgpr_count 2
		.amdhsa_user_sgpr_dispatch_ptr 0
		.amdhsa_user_sgpr_queue_ptr 0
		.amdhsa_user_sgpr_kernarg_segment_ptr 1
		.amdhsa_user_sgpr_dispatch_id 0
		.amdhsa_user_sgpr_private_segment_size 0
		.amdhsa_wavefront_size32 1
		.amdhsa_uses_dynamic_stack 0
		.amdhsa_enable_private_segment 0
		.amdhsa_system_sgpr_workgroup_id_x 1
		.amdhsa_system_sgpr_workgroup_id_y 0
		.amdhsa_system_sgpr_workgroup_id_z 0
		.amdhsa_system_sgpr_workgroup_info 0
		.amdhsa_system_vgpr_workitem_id 0
		.amdhsa_next_free_vgpr 1
		.amdhsa_next_free_sgpr 1
		.amdhsa_reserve_vcc 0
		.amdhsa_float_round_mode_32 0
		.amdhsa_float_round_mode_16_64 0
		.amdhsa_float_denorm_mode_32 3
		.amdhsa_float_denorm_mode_16_64 3
		.amdhsa_fp16_overflow 0
		.amdhsa_workgroup_processor_mode 1
		.amdhsa_memory_ordered 1
		.amdhsa_forward_progress 1
		.amdhsa_inst_pref_size 0
		.amdhsa_round_robin_scheduling 0
		.amdhsa_exception_fp_ieee_invalid_op 0
		.amdhsa_exception_fp_denorm_src 0
		.amdhsa_exception_fp_ieee_div_zero 0
		.amdhsa_exception_fp_ieee_overflow 0
		.amdhsa_exception_fp_ieee_underflow 0
		.amdhsa_exception_fp_ieee_inexact 0
		.amdhsa_exception_int_div_zero 0
	.end_amdhsa_kernel
	.section	.text._ZN7rocprim17ROCPRIM_400000_NS6detail17trampoline_kernelINS0_14default_configENS1_25partition_config_selectorILNS1_17partition_subalgoE5EiNS0_10empty_typeEbEEZZNS1_14partition_implILS5_5ELb0ES3_mN6thrust23THRUST_200600_302600_NS6detail15normal_iteratorINSA_10device_ptrIiEEEEPS6_NSA_18transform_iteratorINSB_9not_fun_tI7is_trueIiEEESF_NSA_11use_defaultESM_EENS0_5tupleIJSF_S6_EEENSO_IJSG_SG_EEES6_PlJS6_EEE10hipError_tPvRmT3_T4_T5_T6_T7_T9_mT8_P12ihipStream_tbDpT10_ENKUlT_T0_E_clISt17integral_constantIbLb1EES1A_IbLb0EEEEDaS16_S17_EUlS16_E_NS1_11comp_targetILNS1_3genE2ELNS1_11target_archE906ELNS1_3gpuE6ELNS1_3repE0EEENS1_30default_config_static_selectorELNS0_4arch9wavefront6targetE0EEEvT1_,"axG",@progbits,_ZN7rocprim17ROCPRIM_400000_NS6detail17trampoline_kernelINS0_14default_configENS1_25partition_config_selectorILNS1_17partition_subalgoE5EiNS0_10empty_typeEbEEZZNS1_14partition_implILS5_5ELb0ES3_mN6thrust23THRUST_200600_302600_NS6detail15normal_iteratorINSA_10device_ptrIiEEEEPS6_NSA_18transform_iteratorINSB_9not_fun_tI7is_trueIiEEESF_NSA_11use_defaultESM_EENS0_5tupleIJSF_S6_EEENSO_IJSG_SG_EEES6_PlJS6_EEE10hipError_tPvRmT3_T4_T5_T6_T7_T9_mT8_P12ihipStream_tbDpT10_ENKUlT_T0_E_clISt17integral_constantIbLb1EES1A_IbLb0EEEEDaS16_S17_EUlS16_E_NS1_11comp_targetILNS1_3genE2ELNS1_11target_archE906ELNS1_3gpuE6ELNS1_3repE0EEENS1_30default_config_static_selectorELNS0_4arch9wavefront6targetE0EEEvT1_,comdat
.Lfunc_end1520:
	.size	_ZN7rocprim17ROCPRIM_400000_NS6detail17trampoline_kernelINS0_14default_configENS1_25partition_config_selectorILNS1_17partition_subalgoE5EiNS0_10empty_typeEbEEZZNS1_14partition_implILS5_5ELb0ES3_mN6thrust23THRUST_200600_302600_NS6detail15normal_iteratorINSA_10device_ptrIiEEEEPS6_NSA_18transform_iteratorINSB_9not_fun_tI7is_trueIiEEESF_NSA_11use_defaultESM_EENS0_5tupleIJSF_S6_EEENSO_IJSG_SG_EEES6_PlJS6_EEE10hipError_tPvRmT3_T4_T5_T6_T7_T9_mT8_P12ihipStream_tbDpT10_ENKUlT_T0_E_clISt17integral_constantIbLb1EES1A_IbLb0EEEEDaS16_S17_EUlS16_E_NS1_11comp_targetILNS1_3genE2ELNS1_11target_archE906ELNS1_3gpuE6ELNS1_3repE0EEENS1_30default_config_static_selectorELNS0_4arch9wavefront6targetE0EEEvT1_, .Lfunc_end1520-_ZN7rocprim17ROCPRIM_400000_NS6detail17trampoline_kernelINS0_14default_configENS1_25partition_config_selectorILNS1_17partition_subalgoE5EiNS0_10empty_typeEbEEZZNS1_14partition_implILS5_5ELb0ES3_mN6thrust23THRUST_200600_302600_NS6detail15normal_iteratorINSA_10device_ptrIiEEEEPS6_NSA_18transform_iteratorINSB_9not_fun_tI7is_trueIiEEESF_NSA_11use_defaultESM_EENS0_5tupleIJSF_S6_EEENSO_IJSG_SG_EEES6_PlJS6_EEE10hipError_tPvRmT3_T4_T5_T6_T7_T9_mT8_P12ihipStream_tbDpT10_ENKUlT_T0_E_clISt17integral_constantIbLb1EES1A_IbLb0EEEEDaS16_S17_EUlS16_E_NS1_11comp_targetILNS1_3genE2ELNS1_11target_archE906ELNS1_3gpuE6ELNS1_3repE0EEENS1_30default_config_static_selectorELNS0_4arch9wavefront6targetE0EEEvT1_
                                        ; -- End function
	.set _ZN7rocprim17ROCPRIM_400000_NS6detail17trampoline_kernelINS0_14default_configENS1_25partition_config_selectorILNS1_17partition_subalgoE5EiNS0_10empty_typeEbEEZZNS1_14partition_implILS5_5ELb0ES3_mN6thrust23THRUST_200600_302600_NS6detail15normal_iteratorINSA_10device_ptrIiEEEEPS6_NSA_18transform_iteratorINSB_9not_fun_tI7is_trueIiEEESF_NSA_11use_defaultESM_EENS0_5tupleIJSF_S6_EEENSO_IJSG_SG_EEES6_PlJS6_EEE10hipError_tPvRmT3_T4_T5_T6_T7_T9_mT8_P12ihipStream_tbDpT10_ENKUlT_T0_E_clISt17integral_constantIbLb1EES1A_IbLb0EEEEDaS16_S17_EUlS16_E_NS1_11comp_targetILNS1_3genE2ELNS1_11target_archE906ELNS1_3gpuE6ELNS1_3repE0EEENS1_30default_config_static_selectorELNS0_4arch9wavefront6targetE0EEEvT1_.num_vgpr, 0
	.set _ZN7rocprim17ROCPRIM_400000_NS6detail17trampoline_kernelINS0_14default_configENS1_25partition_config_selectorILNS1_17partition_subalgoE5EiNS0_10empty_typeEbEEZZNS1_14partition_implILS5_5ELb0ES3_mN6thrust23THRUST_200600_302600_NS6detail15normal_iteratorINSA_10device_ptrIiEEEEPS6_NSA_18transform_iteratorINSB_9not_fun_tI7is_trueIiEEESF_NSA_11use_defaultESM_EENS0_5tupleIJSF_S6_EEENSO_IJSG_SG_EEES6_PlJS6_EEE10hipError_tPvRmT3_T4_T5_T6_T7_T9_mT8_P12ihipStream_tbDpT10_ENKUlT_T0_E_clISt17integral_constantIbLb1EES1A_IbLb0EEEEDaS16_S17_EUlS16_E_NS1_11comp_targetILNS1_3genE2ELNS1_11target_archE906ELNS1_3gpuE6ELNS1_3repE0EEENS1_30default_config_static_selectorELNS0_4arch9wavefront6targetE0EEEvT1_.num_agpr, 0
	.set _ZN7rocprim17ROCPRIM_400000_NS6detail17trampoline_kernelINS0_14default_configENS1_25partition_config_selectorILNS1_17partition_subalgoE5EiNS0_10empty_typeEbEEZZNS1_14partition_implILS5_5ELb0ES3_mN6thrust23THRUST_200600_302600_NS6detail15normal_iteratorINSA_10device_ptrIiEEEEPS6_NSA_18transform_iteratorINSB_9not_fun_tI7is_trueIiEEESF_NSA_11use_defaultESM_EENS0_5tupleIJSF_S6_EEENSO_IJSG_SG_EEES6_PlJS6_EEE10hipError_tPvRmT3_T4_T5_T6_T7_T9_mT8_P12ihipStream_tbDpT10_ENKUlT_T0_E_clISt17integral_constantIbLb1EES1A_IbLb0EEEEDaS16_S17_EUlS16_E_NS1_11comp_targetILNS1_3genE2ELNS1_11target_archE906ELNS1_3gpuE6ELNS1_3repE0EEENS1_30default_config_static_selectorELNS0_4arch9wavefront6targetE0EEEvT1_.numbered_sgpr, 0
	.set _ZN7rocprim17ROCPRIM_400000_NS6detail17trampoline_kernelINS0_14default_configENS1_25partition_config_selectorILNS1_17partition_subalgoE5EiNS0_10empty_typeEbEEZZNS1_14partition_implILS5_5ELb0ES3_mN6thrust23THRUST_200600_302600_NS6detail15normal_iteratorINSA_10device_ptrIiEEEEPS6_NSA_18transform_iteratorINSB_9not_fun_tI7is_trueIiEEESF_NSA_11use_defaultESM_EENS0_5tupleIJSF_S6_EEENSO_IJSG_SG_EEES6_PlJS6_EEE10hipError_tPvRmT3_T4_T5_T6_T7_T9_mT8_P12ihipStream_tbDpT10_ENKUlT_T0_E_clISt17integral_constantIbLb1EES1A_IbLb0EEEEDaS16_S17_EUlS16_E_NS1_11comp_targetILNS1_3genE2ELNS1_11target_archE906ELNS1_3gpuE6ELNS1_3repE0EEENS1_30default_config_static_selectorELNS0_4arch9wavefront6targetE0EEEvT1_.num_named_barrier, 0
	.set _ZN7rocprim17ROCPRIM_400000_NS6detail17trampoline_kernelINS0_14default_configENS1_25partition_config_selectorILNS1_17partition_subalgoE5EiNS0_10empty_typeEbEEZZNS1_14partition_implILS5_5ELb0ES3_mN6thrust23THRUST_200600_302600_NS6detail15normal_iteratorINSA_10device_ptrIiEEEEPS6_NSA_18transform_iteratorINSB_9not_fun_tI7is_trueIiEEESF_NSA_11use_defaultESM_EENS0_5tupleIJSF_S6_EEENSO_IJSG_SG_EEES6_PlJS6_EEE10hipError_tPvRmT3_T4_T5_T6_T7_T9_mT8_P12ihipStream_tbDpT10_ENKUlT_T0_E_clISt17integral_constantIbLb1EES1A_IbLb0EEEEDaS16_S17_EUlS16_E_NS1_11comp_targetILNS1_3genE2ELNS1_11target_archE906ELNS1_3gpuE6ELNS1_3repE0EEENS1_30default_config_static_selectorELNS0_4arch9wavefront6targetE0EEEvT1_.private_seg_size, 0
	.set _ZN7rocprim17ROCPRIM_400000_NS6detail17trampoline_kernelINS0_14default_configENS1_25partition_config_selectorILNS1_17partition_subalgoE5EiNS0_10empty_typeEbEEZZNS1_14partition_implILS5_5ELb0ES3_mN6thrust23THRUST_200600_302600_NS6detail15normal_iteratorINSA_10device_ptrIiEEEEPS6_NSA_18transform_iteratorINSB_9not_fun_tI7is_trueIiEEESF_NSA_11use_defaultESM_EENS0_5tupleIJSF_S6_EEENSO_IJSG_SG_EEES6_PlJS6_EEE10hipError_tPvRmT3_T4_T5_T6_T7_T9_mT8_P12ihipStream_tbDpT10_ENKUlT_T0_E_clISt17integral_constantIbLb1EES1A_IbLb0EEEEDaS16_S17_EUlS16_E_NS1_11comp_targetILNS1_3genE2ELNS1_11target_archE906ELNS1_3gpuE6ELNS1_3repE0EEENS1_30default_config_static_selectorELNS0_4arch9wavefront6targetE0EEEvT1_.uses_vcc, 0
	.set _ZN7rocprim17ROCPRIM_400000_NS6detail17trampoline_kernelINS0_14default_configENS1_25partition_config_selectorILNS1_17partition_subalgoE5EiNS0_10empty_typeEbEEZZNS1_14partition_implILS5_5ELb0ES3_mN6thrust23THRUST_200600_302600_NS6detail15normal_iteratorINSA_10device_ptrIiEEEEPS6_NSA_18transform_iteratorINSB_9not_fun_tI7is_trueIiEEESF_NSA_11use_defaultESM_EENS0_5tupleIJSF_S6_EEENSO_IJSG_SG_EEES6_PlJS6_EEE10hipError_tPvRmT3_T4_T5_T6_T7_T9_mT8_P12ihipStream_tbDpT10_ENKUlT_T0_E_clISt17integral_constantIbLb1EES1A_IbLb0EEEEDaS16_S17_EUlS16_E_NS1_11comp_targetILNS1_3genE2ELNS1_11target_archE906ELNS1_3gpuE6ELNS1_3repE0EEENS1_30default_config_static_selectorELNS0_4arch9wavefront6targetE0EEEvT1_.uses_flat_scratch, 0
	.set _ZN7rocprim17ROCPRIM_400000_NS6detail17trampoline_kernelINS0_14default_configENS1_25partition_config_selectorILNS1_17partition_subalgoE5EiNS0_10empty_typeEbEEZZNS1_14partition_implILS5_5ELb0ES3_mN6thrust23THRUST_200600_302600_NS6detail15normal_iteratorINSA_10device_ptrIiEEEEPS6_NSA_18transform_iteratorINSB_9not_fun_tI7is_trueIiEEESF_NSA_11use_defaultESM_EENS0_5tupleIJSF_S6_EEENSO_IJSG_SG_EEES6_PlJS6_EEE10hipError_tPvRmT3_T4_T5_T6_T7_T9_mT8_P12ihipStream_tbDpT10_ENKUlT_T0_E_clISt17integral_constantIbLb1EES1A_IbLb0EEEEDaS16_S17_EUlS16_E_NS1_11comp_targetILNS1_3genE2ELNS1_11target_archE906ELNS1_3gpuE6ELNS1_3repE0EEENS1_30default_config_static_selectorELNS0_4arch9wavefront6targetE0EEEvT1_.has_dyn_sized_stack, 0
	.set _ZN7rocprim17ROCPRIM_400000_NS6detail17trampoline_kernelINS0_14default_configENS1_25partition_config_selectorILNS1_17partition_subalgoE5EiNS0_10empty_typeEbEEZZNS1_14partition_implILS5_5ELb0ES3_mN6thrust23THRUST_200600_302600_NS6detail15normal_iteratorINSA_10device_ptrIiEEEEPS6_NSA_18transform_iteratorINSB_9not_fun_tI7is_trueIiEEESF_NSA_11use_defaultESM_EENS0_5tupleIJSF_S6_EEENSO_IJSG_SG_EEES6_PlJS6_EEE10hipError_tPvRmT3_T4_T5_T6_T7_T9_mT8_P12ihipStream_tbDpT10_ENKUlT_T0_E_clISt17integral_constantIbLb1EES1A_IbLb0EEEEDaS16_S17_EUlS16_E_NS1_11comp_targetILNS1_3genE2ELNS1_11target_archE906ELNS1_3gpuE6ELNS1_3repE0EEENS1_30default_config_static_selectorELNS0_4arch9wavefront6targetE0EEEvT1_.has_recursion, 0
	.set _ZN7rocprim17ROCPRIM_400000_NS6detail17trampoline_kernelINS0_14default_configENS1_25partition_config_selectorILNS1_17partition_subalgoE5EiNS0_10empty_typeEbEEZZNS1_14partition_implILS5_5ELb0ES3_mN6thrust23THRUST_200600_302600_NS6detail15normal_iteratorINSA_10device_ptrIiEEEEPS6_NSA_18transform_iteratorINSB_9not_fun_tI7is_trueIiEEESF_NSA_11use_defaultESM_EENS0_5tupleIJSF_S6_EEENSO_IJSG_SG_EEES6_PlJS6_EEE10hipError_tPvRmT3_T4_T5_T6_T7_T9_mT8_P12ihipStream_tbDpT10_ENKUlT_T0_E_clISt17integral_constantIbLb1EES1A_IbLb0EEEEDaS16_S17_EUlS16_E_NS1_11comp_targetILNS1_3genE2ELNS1_11target_archE906ELNS1_3gpuE6ELNS1_3repE0EEENS1_30default_config_static_selectorELNS0_4arch9wavefront6targetE0EEEvT1_.has_indirect_call, 0
	.section	.AMDGPU.csdata,"",@progbits
; Kernel info:
; codeLenInByte = 0
; TotalNumSgprs: 0
; NumVgprs: 0
; ScratchSize: 0
; MemoryBound: 0
; FloatMode: 240
; IeeeMode: 1
; LDSByteSize: 0 bytes/workgroup (compile time only)
; SGPRBlocks: 0
; VGPRBlocks: 0
; NumSGPRsForWavesPerEU: 1
; NumVGPRsForWavesPerEU: 1
; Occupancy: 16
; WaveLimiterHint : 0
; COMPUTE_PGM_RSRC2:SCRATCH_EN: 0
; COMPUTE_PGM_RSRC2:USER_SGPR: 2
; COMPUTE_PGM_RSRC2:TRAP_HANDLER: 0
; COMPUTE_PGM_RSRC2:TGID_X_EN: 1
; COMPUTE_PGM_RSRC2:TGID_Y_EN: 0
; COMPUTE_PGM_RSRC2:TGID_Z_EN: 0
; COMPUTE_PGM_RSRC2:TIDIG_COMP_CNT: 0
	.section	.text._ZN7rocprim17ROCPRIM_400000_NS6detail17trampoline_kernelINS0_14default_configENS1_25partition_config_selectorILNS1_17partition_subalgoE5EiNS0_10empty_typeEbEEZZNS1_14partition_implILS5_5ELb0ES3_mN6thrust23THRUST_200600_302600_NS6detail15normal_iteratorINSA_10device_ptrIiEEEEPS6_NSA_18transform_iteratorINSB_9not_fun_tI7is_trueIiEEESF_NSA_11use_defaultESM_EENS0_5tupleIJSF_S6_EEENSO_IJSG_SG_EEES6_PlJS6_EEE10hipError_tPvRmT3_T4_T5_T6_T7_T9_mT8_P12ihipStream_tbDpT10_ENKUlT_T0_E_clISt17integral_constantIbLb1EES1A_IbLb0EEEEDaS16_S17_EUlS16_E_NS1_11comp_targetILNS1_3genE10ELNS1_11target_archE1200ELNS1_3gpuE4ELNS1_3repE0EEENS1_30default_config_static_selectorELNS0_4arch9wavefront6targetE0EEEvT1_,"axG",@progbits,_ZN7rocprim17ROCPRIM_400000_NS6detail17trampoline_kernelINS0_14default_configENS1_25partition_config_selectorILNS1_17partition_subalgoE5EiNS0_10empty_typeEbEEZZNS1_14partition_implILS5_5ELb0ES3_mN6thrust23THRUST_200600_302600_NS6detail15normal_iteratorINSA_10device_ptrIiEEEEPS6_NSA_18transform_iteratorINSB_9not_fun_tI7is_trueIiEEESF_NSA_11use_defaultESM_EENS0_5tupleIJSF_S6_EEENSO_IJSG_SG_EEES6_PlJS6_EEE10hipError_tPvRmT3_T4_T5_T6_T7_T9_mT8_P12ihipStream_tbDpT10_ENKUlT_T0_E_clISt17integral_constantIbLb1EES1A_IbLb0EEEEDaS16_S17_EUlS16_E_NS1_11comp_targetILNS1_3genE10ELNS1_11target_archE1200ELNS1_3gpuE4ELNS1_3repE0EEENS1_30default_config_static_selectorELNS0_4arch9wavefront6targetE0EEEvT1_,comdat
	.protected	_ZN7rocprim17ROCPRIM_400000_NS6detail17trampoline_kernelINS0_14default_configENS1_25partition_config_selectorILNS1_17partition_subalgoE5EiNS0_10empty_typeEbEEZZNS1_14partition_implILS5_5ELb0ES3_mN6thrust23THRUST_200600_302600_NS6detail15normal_iteratorINSA_10device_ptrIiEEEEPS6_NSA_18transform_iteratorINSB_9not_fun_tI7is_trueIiEEESF_NSA_11use_defaultESM_EENS0_5tupleIJSF_S6_EEENSO_IJSG_SG_EEES6_PlJS6_EEE10hipError_tPvRmT3_T4_T5_T6_T7_T9_mT8_P12ihipStream_tbDpT10_ENKUlT_T0_E_clISt17integral_constantIbLb1EES1A_IbLb0EEEEDaS16_S17_EUlS16_E_NS1_11comp_targetILNS1_3genE10ELNS1_11target_archE1200ELNS1_3gpuE4ELNS1_3repE0EEENS1_30default_config_static_selectorELNS0_4arch9wavefront6targetE0EEEvT1_ ; -- Begin function _ZN7rocprim17ROCPRIM_400000_NS6detail17trampoline_kernelINS0_14default_configENS1_25partition_config_selectorILNS1_17partition_subalgoE5EiNS0_10empty_typeEbEEZZNS1_14partition_implILS5_5ELb0ES3_mN6thrust23THRUST_200600_302600_NS6detail15normal_iteratorINSA_10device_ptrIiEEEEPS6_NSA_18transform_iteratorINSB_9not_fun_tI7is_trueIiEEESF_NSA_11use_defaultESM_EENS0_5tupleIJSF_S6_EEENSO_IJSG_SG_EEES6_PlJS6_EEE10hipError_tPvRmT3_T4_T5_T6_T7_T9_mT8_P12ihipStream_tbDpT10_ENKUlT_T0_E_clISt17integral_constantIbLb1EES1A_IbLb0EEEEDaS16_S17_EUlS16_E_NS1_11comp_targetILNS1_3genE10ELNS1_11target_archE1200ELNS1_3gpuE4ELNS1_3repE0EEENS1_30default_config_static_selectorELNS0_4arch9wavefront6targetE0EEEvT1_
	.globl	_ZN7rocprim17ROCPRIM_400000_NS6detail17trampoline_kernelINS0_14default_configENS1_25partition_config_selectorILNS1_17partition_subalgoE5EiNS0_10empty_typeEbEEZZNS1_14partition_implILS5_5ELb0ES3_mN6thrust23THRUST_200600_302600_NS6detail15normal_iteratorINSA_10device_ptrIiEEEEPS6_NSA_18transform_iteratorINSB_9not_fun_tI7is_trueIiEEESF_NSA_11use_defaultESM_EENS0_5tupleIJSF_S6_EEENSO_IJSG_SG_EEES6_PlJS6_EEE10hipError_tPvRmT3_T4_T5_T6_T7_T9_mT8_P12ihipStream_tbDpT10_ENKUlT_T0_E_clISt17integral_constantIbLb1EES1A_IbLb0EEEEDaS16_S17_EUlS16_E_NS1_11comp_targetILNS1_3genE10ELNS1_11target_archE1200ELNS1_3gpuE4ELNS1_3repE0EEENS1_30default_config_static_selectorELNS0_4arch9wavefront6targetE0EEEvT1_
	.p2align	8
	.type	_ZN7rocprim17ROCPRIM_400000_NS6detail17trampoline_kernelINS0_14default_configENS1_25partition_config_selectorILNS1_17partition_subalgoE5EiNS0_10empty_typeEbEEZZNS1_14partition_implILS5_5ELb0ES3_mN6thrust23THRUST_200600_302600_NS6detail15normal_iteratorINSA_10device_ptrIiEEEEPS6_NSA_18transform_iteratorINSB_9not_fun_tI7is_trueIiEEESF_NSA_11use_defaultESM_EENS0_5tupleIJSF_S6_EEENSO_IJSG_SG_EEES6_PlJS6_EEE10hipError_tPvRmT3_T4_T5_T6_T7_T9_mT8_P12ihipStream_tbDpT10_ENKUlT_T0_E_clISt17integral_constantIbLb1EES1A_IbLb0EEEEDaS16_S17_EUlS16_E_NS1_11comp_targetILNS1_3genE10ELNS1_11target_archE1200ELNS1_3gpuE4ELNS1_3repE0EEENS1_30default_config_static_selectorELNS0_4arch9wavefront6targetE0EEEvT1_,@function
_ZN7rocprim17ROCPRIM_400000_NS6detail17trampoline_kernelINS0_14default_configENS1_25partition_config_selectorILNS1_17partition_subalgoE5EiNS0_10empty_typeEbEEZZNS1_14partition_implILS5_5ELb0ES3_mN6thrust23THRUST_200600_302600_NS6detail15normal_iteratorINSA_10device_ptrIiEEEEPS6_NSA_18transform_iteratorINSB_9not_fun_tI7is_trueIiEEESF_NSA_11use_defaultESM_EENS0_5tupleIJSF_S6_EEENSO_IJSG_SG_EEES6_PlJS6_EEE10hipError_tPvRmT3_T4_T5_T6_T7_T9_mT8_P12ihipStream_tbDpT10_ENKUlT_T0_E_clISt17integral_constantIbLb1EES1A_IbLb0EEEEDaS16_S17_EUlS16_E_NS1_11comp_targetILNS1_3genE10ELNS1_11target_archE1200ELNS1_3gpuE4ELNS1_3repE0EEENS1_30default_config_static_selectorELNS0_4arch9wavefront6targetE0EEEvT1_: ; @_ZN7rocprim17ROCPRIM_400000_NS6detail17trampoline_kernelINS0_14default_configENS1_25partition_config_selectorILNS1_17partition_subalgoE5EiNS0_10empty_typeEbEEZZNS1_14partition_implILS5_5ELb0ES3_mN6thrust23THRUST_200600_302600_NS6detail15normal_iteratorINSA_10device_ptrIiEEEEPS6_NSA_18transform_iteratorINSB_9not_fun_tI7is_trueIiEEESF_NSA_11use_defaultESM_EENS0_5tupleIJSF_S6_EEENSO_IJSG_SG_EEES6_PlJS6_EEE10hipError_tPvRmT3_T4_T5_T6_T7_T9_mT8_P12ihipStream_tbDpT10_ENKUlT_T0_E_clISt17integral_constantIbLb1EES1A_IbLb0EEEEDaS16_S17_EUlS16_E_NS1_11comp_targetILNS1_3genE10ELNS1_11target_archE1200ELNS1_3gpuE4ELNS1_3repE0EEENS1_30default_config_static_selectorELNS0_4arch9wavefront6targetE0EEEvT1_
; %bb.0:
	s_endpgm
	.section	.rodata,"a",@progbits
	.p2align	6, 0x0
	.amdhsa_kernel _ZN7rocprim17ROCPRIM_400000_NS6detail17trampoline_kernelINS0_14default_configENS1_25partition_config_selectorILNS1_17partition_subalgoE5EiNS0_10empty_typeEbEEZZNS1_14partition_implILS5_5ELb0ES3_mN6thrust23THRUST_200600_302600_NS6detail15normal_iteratorINSA_10device_ptrIiEEEEPS6_NSA_18transform_iteratorINSB_9not_fun_tI7is_trueIiEEESF_NSA_11use_defaultESM_EENS0_5tupleIJSF_S6_EEENSO_IJSG_SG_EEES6_PlJS6_EEE10hipError_tPvRmT3_T4_T5_T6_T7_T9_mT8_P12ihipStream_tbDpT10_ENKUlT_T0_E_clISt17integral_constantIbLb1EES1A_IbLb0EEEEDaS16_S17_EUlS16_E_NS1_11comp_targetILNS1_3genE10ELNS1_11target_archE1200ELNS1_3gpuE4ELNS1_3repE0EEENS1_30default_config_static_selectorELNS0_4arch9wavefront6targetE0EEEvT1_
		.amdhsa_group_segment_fixed_size 0
		.amdhsa_private_segment_fixed_size 0
		.amdhsa_kernarg_size 120
		.amdhsa_user_sgpr_count 2
		.amdhsa_user_sgpr_dispatch_ptr 0
		.amdhsa_user_sgpr_queue_ptr 0
		.amdhsa_user_sgpr_kernarg_segment_ptr 1
		.amdhsa_user_sgpr_dispatch_id 0
		.amdhsa_user_sgpr_private_segment_size 0
		.amdhsa_wavefront_size32 1
		.amdhsa_uses_dynamic_stack 0
		.amdhsa_enable_private_segment 0
		.amdhsa_system_sgpr_workgroup_id_x 1
		.amdhsa_system_sgpr_workgroup_id_y 0
		.amdhsa_system_sgpr_workgroup_id_z 0
		.amdhsa_system_sgpr_workgroup_info 0
		.amdhsa_system_vgpr_workitem_id 0
		.amdhsa_next_free_vgpr 1
		.amdhsa_next_free_sgpr 1
		.amdhsa_reserve_vcc 0
		.amdhsa_float_round_mode_32 0
		.amdhsa_float_round_mode_16_64 0
		.amdhsa_float_denorm_mode_32 3
		.amdhsa_float_denorm_mode_16_64 3
		.amdhsa_fp16_overflow 0
		.amdhsa_workgroup_processor_mode 1
		.amdhsa_memory_ordered 1
		.amdhsa_forward_progress 1
		.amdhsa_inst_pref_size 1
		.amdhsa_round_robin_scheduling 0
		.amdhsa_exception_fp_ieee_invalid_op 0
		.amdhsa_exception_fp_denorm_src 0
		.amdhsa_exception_fp_ieee_div_zero 0
		.amdhsa_exception_fp_ieee_overflow 0
		.amdhsa_exception_fp_ieee_underflow 0
		.amdhsa_exception_fp_ieee_inexact 0
		.amdhsa_exception_int_div_zero 0
	.end_amdhsa_kernel
	.section	.text._ZN7rocprim17ROCPRIM_400000_NS6detail17trampoline_kernelINS0_14default_configENS1_25partition_config_selectorILNS1_17partition_subalgoE5EiNS0_10empty_typeEbEEZZNS1_14partition_implILS5_5ELb0ES3_mN6thrust23THRUST_200600_302600_NS6detail15normal_iteratorINSA_10device_ptrIiEEEEPS6_NSA_18transform_iteratorINSB_9not_fun_tI7is_trueIiEEESF_NSA_11use_defaultESM_EENS0_5tupleIJSF_S6_EEENSO_IJSG_SG_EEES6_PlJS6_EEE10hipError_tPvRmT3_T4_T5_T6_T7_T9_mT8_P12ihipStream_tbDpT10_ENKUlT_T0_E_clISt17integral_constantIbLb1EES1A_IbLb0EEEEDaS16_S17_EUlS16_E_NS1_11comp_targetILNS1_3genE10ELNS1_11target_archE1200ELNS1_3gpuE4ELNS1_3repE0EEENS1_30default_config_static_selectorELNS0_4arch9wavefront6targetE0EEEvT1_,"axG",@progbits,_ZN7rocprim17ROCPRIM_400000_NS6detail17trampoline_kernelINS0_14default_configENS1_25partition_config_selectorILNS1_17partition_subalgoE5EiNS0_10empty_typeEbEEZZNS1_14partition_implILS5_5ELb0ES3_mN6thrust23THRUST_200600_302600_NS6detail15normal_iteratorINSA_10device_ptrIiEEEEPS6_NSA_18transform_iteratorINSB_9not_fun_tI7is_trueIiEEESF_NSA_11use_defaultESM_EENS0_5tupleIJSF_S6_EEENSO_IJSG_SG_EEES6_PlJS6_EEE10hipError_tPvRmT3_T4_T5_T6_T7_T9_mT8_P12ihipStream_tbDpT10_ENKUlT_T0_E_clISt17integral_constantIbLb1EES1A_IbLb0EEEEDaS16_S17_EUlS16_E_NS1_11comp_targetILNS1_3genE10ELNS1_11target_archE1200ELNS1_3gpuE4ELNS1_3repE0EEENS1_30default_config_static_selectorELNS0_4arch9wavefront6targetE0EEEvT1_,comdat
.Lfunc_end1521:
	.size	_ZN7rocprim17ROCPRIM_400000_NS6detail17trampoline_kernelINS0_14default_configENS1_25partition_config_selectorILNS1_17partition_subalgoE5EiNS0_10empty_typeEbEEZZNS1_14partition_implILS5_5ELb0ES3_mN6thrust23THRUST_200600_302600_NS6detail15normal_iteratorINSA_10device_ptrIiEEEEPS6_NSA_18transform_iteratorINSB_9not_fun_tI7is_trueIiEEESF_NSA_11use_defaultESM_EENS0_5tupleIJSF_S6_EEENSO_IJSG_SG_EEES6_PlJS6_EEE10hipError_tPvRmT3_T4_T5_T6_T7_T9_mT8_P12ihipStream_tbDpT10_ENKUlT_T0_E_clISt17integral_constantIbLb1EES1A_IbLb0EEEEDaS16_S17_EUlS16_E_NS1_11comp_targetILNS1_3genE10ELNS1_11target_archE1200ELNS1_3gpuE4ELNS1_3repE0EEENS1_30default_config_static_selectorELNS0_4arch9wavefront6targetE0EEEvT1_, .Lfunc_end1521-_ZN7rocprim17ROCPRIM_400000_NS6detail17trampoline_kernelINS0_14default_configENS1_25partition_config_selectorILNS1_17partition_subalgoE5EiNS0_10empty_typeEbEEZZNS1_14partition_implILS5_5ELb0ES3_mN6thrust23THRUST_200600_302600_NS6detail15normal_iteratorINSA_10device_ptrIiEEEEPS6_NSA_18transform_iteratorINSB_9not_fun_tI7is_trueIiEEESF_NSA_11use_defaultESM_EENS0_5tupleIJSF_S6_EEENSO_IJSG_SG_EEES6_PlJS6_EEE10hipError_tPvRmT3_T4_T5_T6_T7_T9_mT8_P12ihipStream_tbDpT10_ENKUlT_T0_E_clISt17integral_constantIbLb1EES1A_IbLb0EEEEDaS16_S17_EUlS16_E_NS1_11comp_targetILNS1_3genE10ELNS1_11target_archE1200ELNS1_3gpuE4ELNS1_3repE0EEENS1_30default_config_static_selectorELNS0_4arch9wavefront6targetE0EEEvT1_
                                        ; -- End function
	.set _ZN7rocprim17ROCPRIM_400000_NS6detail17trampoline_kernelINS0_14default_configENS1_25partition_config_selectorILNS1_17partition_subalgoE5EiNS0_10empty_typeEbEEZZNS1_14partition_implILS5_5ELb0ES3_mN6thrust23THRUST_200600_302600_NS6detail15normal_iteratorINSA_10device_ptrIiEEEEPS6_NSA_18transform_iteratorINSB_9not_fun_tI7is_trueIiEEESF_NSA_11use_defaultESM_EENS0_5tupleIJSF_S6_EEENSO_IJSG_SG_EEES6_PlJS6_EEE10hipError_tPvRmT3_T4_T5_T6_T7_T9_mT8_P12ihipStream_tbDpT10_ENKUlT_T0_E_clISt17integral_constantIbLb1EES1A_IbLb0EEEEDaS16_S17_EUlS16_E_NS1_11comp_targetILNS1_3genE10ELNS1_11target_archE1200ELNS1_3gpuE4ELNS1_3repE0EEENS1_30default_config_static_selectorELNS0_4arch9wavefront6targetE0EEEvT1_.num_vgpr, 0
	.set _ZN7rocprim17ROCPRIM_400000_NS6detail17trampoline_kernelINS0_14default_configENS1_25partition_config_selectorILNS1_17partition_subalgoE5EiNS0_10empty_typeEbEEZZNS1_14partition_implILS5_5ELb0ES3_mN6thrust23THRUST_200600_302600_NS6detail15normal_iteratorINSA_10device_ptrIiEEEEPS6_NSA_18transform_iteratorINSB_9not_fun_tI7is_trueIiEEESF_NSA_11use_defaultESM_EENS0_5tupleIJSF_S6_EEENSO_IJSG_SG_EEES6_PlJS6_EEE10hipError_tPvRmT3_T4_T5_T6_T7_T9_mT8_P12ihipStream_tbDpT10_ENKUlT_T0_E_clISt17integral_constantIbLb1EES1A_IbLb0EEEEDaS16_S17_EUlS16_E_NS1_11comp_targetILNS1_3genE10ELNS1_11target_archE1200ELNS1_3gpuE4ELNS1_3repE0EEENS1_30default_config_static_selectorELNS0_4arch9wavefront6targetE0EEEvT1_.num_agpr, 0
	.set _ZN7rocprim17ROCPRIM_400000_NS6detail17trampoline_kernelINS0_14default_configENS1_25partition_config_selectorILNS1_17partition_subalgoE5EiNS0_10empty_typeEbEEZZNS1_14partition_implILS5_5ELb0ES3_mN6thrust23THRUST_200600_302600_NS6detail15normal_iteratorINSA_10device_ptrIiEEEEPS6_NSA_18transform_iteratorINSB_9not_fun_tI7is_trueIiEEESF_NSA_11use_defaultESM_EENS0_5tupleIJSF_S6_EEENSO_IJSG_SG_EEES6_PlJS6_EEE10hipError_tPvRmT3_T4_T5_T6_T7_T9_mT8_P12ihipStream_tbDpT10_ENKUlT_T0_E_clISt17integral_constantIbLb1EES1A_IbLb0EEEEDaS16_S17_EUlS16_E_NS1_11comp_targetILNS1_3genE10ELNS1_11target_archE1200ELNS1_3gpuE4ELNS1_3repE0EEENS1_30default_config_static_selectorELNS0_4arch9wavefront6targetE0EEEvT1_.numbered_sgpr, 0
	.set _ZN7rocprim17ROCPRIM_400000_NS6detail17trampoline_kernelINS0_14default_configENS1_25partition_config_selectorILNS1_17partition_subalgoE5EiNS0_10empty_typeEbEEZZNS1_14partition_implILS5_5ELb0ES3_mN6thrust23THRUST_200600_302600_NS6detail15normal_iteratorINSA_10device_ptrIiEEEEPS6_NSA_18transform_iteratorINSB_9not_fun_tI7is_trueIiEEESF_NSA_11use_defaultESM_EENS0_5tupleIJSF_S6_EEENSO_IJSG_SG_EEES6_PlJS6_EEE10hipError_tPvRmT3_T4_T5_T6_T7_T9_mT8_P12ihipStream_tbDpT10_ENKUlT_T0_E_clISt17integral_constantIbLb1EES1A_IbLb0EEEEDaS16_S17_EUlS16_E_NS1_11comp_targetILNS1_3genE10ELNS1_11target_archE1200ELNS1_3gpuE4ELNS1_3repE0EEENS1_30default_config_static_selectorELNS0_4arch9wavefront6targetE0EEEvT1_.num_named_barrier, 0
	.set _ZN7rocprim17ROCPRIM_400000_NS6detail17trampoline_kernelINS0_14default_configENS1_25partition_config_selectorILNS1_17partition_subalgoE5EiNS0_10empty_typeEbEEZZNS1_14partition_implILS5_5ELb0ES3_mN6thrust23THRUST_200600_302600_NS6detail15normal_iteratorINSA_10device_ptrIiEEEEPS6_NSA_18transform_iteratorINSB_9not_fun_tI7is_trueIiEEESF_NSA_11use_defaultESM_EENS0_5tupleIJSF_S6_EEENSO_IJSG_SG_EEES6_PlJS6_EEE10hipError_tPvRmT3_T4_T5_T6_T7_T9_mT8_P12ihipStream_tbDpT10_ENKUlT_T0_E_clISt17integral_constantIbLb1EES1A_IbLb0EEEEDaS16_S17_EUlS16_E_NS1_11comp_targetILNS1_3genE10ELNS1_11target_archE1200ELNS1_3gpuE4ELNS1_3repE0EEENS1_30default_config_static_selectorELNS0_4arch9wavefront6targetE0EEEvT1_.private_seg_size, 0
	.set _ZN7rocprim17ROCPRIM_400000_NS6detail17trampoline_kernelINS0_14default_configENS1_25partition_config_selectorILNS1_17partition_subalgoE5EiNS0_10empty_typeEbEEZZNS1_14partition_implILS5_5ELb0ES3_mN6thrust23THRUST_200600_302600_NS6detail15normal_iteratorINSA_10device_ptrIiEEEEPS6_NSA_18transform_iteratorINSB_9not_fun_tI7is_trueIiEEESF_NSA_11use_defaultESM_EENS0_5tupleIJSF_S6_EEENSO_IJSG_SG_EEES6_PlJS6_EEE10hipError_tPvRmT3_T4_T5_T6_T7_T9_mT8_P12ihipStream_tbDpT10_ENKUlT_T0_E_clISt17integral_constantIbLb1EES1A_IbLb0EEEEDaS16_S17_EUlS16_E_NS1_11comp_targetILNS1_3genE10ELNS1_11target_archE1200ELNS1_3gpuE4ELNS1_3repE0EEENS1_30default_config_static_selectorELNS0_4arch9wavefront6targetE0EEEvT1_.uses_vcc, 0
	.set _ZN7rocprim17ROCPRIM_400000_NS6detail17trampoline_kernelINS0_14default_configENS1_25partition_config_selectorILNS1_17partition_subalgoE5EiNS0_10empty_typeEbEEZZNS1_14partition_implILS5_5ELb0ES3_mN6thrust23THRUST_200600_302600_NS6detail15normal_iteratorINSA_10device_ptrIiEEEEPS6_NSA_18transform_iteratorINSB_9not_fun_tI7is_trueIiEEESF_NSA_11use_defaultESM_EENS0_5tupleIJSF_S6_EEENSO_IJSG_SG_EEES6_PlJS6_EEE10hipError_tPvRmT3_T4_T5_T6_T7_T9_mT8_P12ihipStream_tbDpT10_ENKUlT_T0_E_clISt17integral_constantIbLb1EES1A_IbLb0EEEEDaS16_S17_EUlS16_E_NS1_11comp_targetILNS1_3genE10ELNS1_11target_archE1200ELNS1_3gpuE4ELNS1_3repE0EEENS1_30default_config_static_selectorELNS0_4arch9wavefront6targetE0EEEvT1_.uses_flat_scratch, 0
	.set _ZN7rocprim17ROCPRIM_400000_NS6detail17trampoline_kernelINS0_14default_configENS1_25partition_config_selectorILNS1_17partition_subalgoE5EiNS0_10empty_typeEbEEZZNS1_14partition_implILS5_5ELb0ES3_mN6thrust23THRUST_200600_302600_NS6detail15normal_iteratorINSA_10device_ptrIiEEEEPS6_NSA_18transform_iteratorINSB_9not_fun_tI7is_trueIiEEESF_NSA_11use_defaultESM_EENS0_5tupleIJSF_S6_EEENSO_IJSG_SG_EEES6_PlJS6_EEE10hipError_tPvRmT3_T4_T5_T6_T7_T9_mT8_P12ihipStream_tbDpT10_ENKUlT_T0_E_clISt17integral_constantIbLb1EES1A_IbLb0EEEEDaS16_S17_EUlS16_E_NS1_11comp_targetILNS1_3genE10ELNS1_11target_archE1200ELNS1_3gpuE4ELNS1_3repE0EEENS1_30default_config_static_selectorELNS0_4arch9wavefront6targetE0EEEvT1_.has_dyn_sized_stack, 0
	.set _ZN7rocprim17ROCPRIM_400000_NS6detail17trampoline_kernelINS0_14default_configENS1_25partition_config_selectorILNS1_17partition_subalgoE5EiNS0_10empty_typeEbEEZZNS1_14partition_implILS5_5ELb0ES3_mN6thrust23THRUST_200600_302600_NS6detail15normal_iteratorINSA_10device_ptrIiEEEEPS6_NSA_18transform_iteratorINSB_9not_fun_tI7is_trueIiEEESF_NSA_11use_defaultESM_EENS0_5tupleIJSF_S6_EEENSO_IJSG_SG_EEES6_PlJS6_EEE10hipError_tPvRmT3_T4_T5_T6_T7_T9_mT8_P12ihipStream_tbDpT10_ENKUlT_T0_E_clISt17integral_constantIbLb1EES1A_IbLb0EEEEDaS16_S17_EUlS16_E_NS1_11comp_targetILNS1_3genE10ELNS1_11target_archE1200ELNS1_3gpuE4ELNS1_3repE0EEENS1_30default_config_static_selectorELNS0_4arch9wavefront6targetE0EEEvT1_.has_recursion, 0
	.set _ZN7rocprim17ROCPRIM_400000_NS6detail17trampoline_kernelINS0_14default_configENS1_25partition_config_selectorILNS1_17partition_subalgoE5EiNS0_10empty_typeEbEEZZNS1_14partition_implILS5_5ELb0ES3_mN6thrust23THRUST_200600_302600_NS6detail15normal_iteratorINSA_10device_ptrIiEEEEPS6_NSA_18transform_iteratorINSB_9not_fun_tI7is_trueIiEEESF_NSA_11use_defaultESM_EENS0_5tupleIJSF_S6_EEENSO_IJSG_SG_EEES6_PlJS6_EEE10hipError_tPvRmT3_T4_T5_T6_T7_T9_mT8_P12ihipStream_tbDpT10_ENKUlT_T0_E_clISt17integral_constantIbLb1EES1A_IbLb0EEEEDaS16_S17_EUlS16_E_NS1_11comp_targetILNS1_3genE10ELNS1_11target_archE1200ELNS1_3gpuE4ELNS1_3repE0EEENS1_30default_config_static_selectorELNS0_4arch9wavefront6targetE0EEEvT1_.has_indirect_call, 0
	.section	.AMDGPU.csdata,"",@progbits
; Kernel info:
; codeLenInByte = 4
; TotalNumSgprs: 0
; NumVgprs: 0
; ScratchSize: 0
; MemoryBound: 0
; FloatMode: 240
; IeeeMode: 1
; LDSByteSize: 0 bytes/workgroup (compile time only)
; SGPRBlocks: 0
; VGPRBlocks: 0
; NumSGPRsForWavesPerEU: 1
; NumVGPRsForWavesPerEU: 1
; Occupancy: 16
; WaveLimiterHint : 0
; COMPUTE_PGM_RSRC2:SCRATCH_EN: 0
; COMPUTE_PGM_RSRC2:USER_SGPR: 2
; COMPUTE_PGM_RSRC2:TRAP_HANDLER: 0
; COMPUTE_PGM_RSRC2:TGID_X_EN: 1
; COMPUTE_PGM_RSRC2:TGID_Y_EN: 0
; COMPUTE_PGM_RSRC2:TGID_Z_EN: 0
; COMPUTE_PGM_RSRC2:TIDIG_COMP_CNT: 0
	.section	.text._ZN7rocprim17ROCPRIM_400000_NS6detail17trampoline_kernelINS0_14default_configENS1_25partition_config_selectorILNS1_17partition_subalgoE5EiNS0_10empty_typeEbEEZZNS1_14partition_implILS5_5ELb0ES3_mN6thrust23THRUST_200600_302600_NS6detail15normal_iteratorINSA_10device_ptrIiEEEEPS6_NSA_18transform_iteratorINSB_9not_fun_tI7is_trueIiEEESF_NSA_11use_defaultESM_EENS0_5tupleIJSF_S6_EEENSO_IJSG_SG_EEES6_PlJS6_EEE10hipError_tPvRmT3_T4_T5_T6_T7_T9_mT8_P12ihipStream_tbDpT10_ENKUlT_T0_E_clISt17integral_constantIbLb1EES1A_IbLb0EEEEDaS16_S17_EUlS16_E_NS1_11comp_targetILNS1_3genE9ELNS1_11target_archE1100ELNS1_3gpuE3ELNS1_3repE0EEENS1_30default_config_static_selectorELNS0_4arch9wavefront6targetE0EEEvT1_,"axG",@progbits,_ZN7rocprim17ROCPRIM_400000_NS6detail17trampoline_kernelINS0_14default_configENS1_25partition_config_selectorILNS1_17partition_subalgoE5EiNS0_10empty_typeEbEEZZNS1_14partition_implILS5_5ELb0ES3_mN6thrust23THRUST_200600_302600_NS6detail15normal_iteratorINSA_10device_ptrIiEEEEPS6_NSA_18transform_iteratorINSB_9not_fun_tI7is_trueIiEEESF_NSA_11use_defaultESM_EENS0_5tupleIJSF_S6_EEENSO_IJSG_SG_EEES6_PlJS6_EEE10hipError_tPvRmT3_T4_T5_T6_T7_T9_mT8_P12ihipStream_tbDpT10_ENKUlT_T0_E_clISt17integral_constantIbLb1EES1A_IbLb0EEEEDaS16_S17_EUlS16_E_NS1_11comp_targetILNS1_3genE9ELNS1_11target_archE1100ELNS1_3gpuE3ELNS1_3repE0EEENS1_30default_config_static_selectorELNS0_4arch9wavefront6targetE0EEEvT1_,comdat
	.protected	_ZN7rocprim17ROCPRIM_400000_NS6detail17trampoline_kernelINS0_14default_configENS1_25partition_config_selectorILNS1_17partition_subalgoE5EiNS0_10empty_typeEbEEZZNS1_14partition_implILS5_5ELb0ES3_mN6thrust23THRUST_200600_302600_NS6detail15normal_iteratorINSA_10device_ptrIiEEEEPS6_NSA_18transform_iteratorINSB_9not_fun_tI7is_trueIiEEESF_NSA_11use_defaultESM_EENS0_5tupleIJSF_S6_EEENSO_IJSG_SG_EEES6_PlJS6_EEE10hipError_tPvRmT3_T4_T5_T6_T7_T9_mT8_P12ihipStream_tbDpT10_ENKUlT_T0_E_clISt17integral_constantIbLb1EES1A_IbLb0EEEEDaS16_S17_EUlS16_E_NS1_11comp_targetILNS1_3genE9ELNS1_11target_archE1100ELNS1_3gpuE3ELNS1_3repE0EEENS1_30default_config_static_selectorELNS0_4arch9wavefront6targetE0EEEvT1_ ; -- Begin function _ZN7rocprim17ROCPRIM_400000_NS6detail17trampoline_kernelINS0_14default_configENS1_25partition_config_selectorILNS1_17partition_subalgoE5EiNS0_10empty_typeEbEEZZNS1_14partition_implILS5_5ELb0ES3_mN6thrust23THRUST_200600_302600_NS6detail15normal_iteratorINSA_10device_ptrIiEEEEPS6_NSA_18transform_iteratorINSB_9not_fun_tI7is_trueIiEEESF_NSA_11use_defaultESM_EENS0_5tupleIJSF_S6_EEENSO_IJSG_SG_EEES6_PlJS6_EEE10hipError_tPvRmT3_T4_T5_T6_T7_T9_mT8_P12ihipStream_tbDpT10_ENKUlT_T0_E_clISt17integral_constantIbLb1EES1A_IbLb0EEEEDaS16_S17_EUlS16_E_NS1_11comp_targetILNS1_3genE9ELNS1_11target_archE1100ELNS1_3gpuE3ELNS1_3repE0EEENS1_30default_config_static_selectorELNS0_4arch9wavefront6targetE0EEEvT1_
	.globl	_ZN7rocprim17ROCPRIM_400000_NS6detail17trampoline_kernelINS0_14default_configENS1_25partition_config_selectorILNS1_17partition_subalgoE5EiNS0_10empty_typeEbEEZZNS1_14partition_implILS5_5ELb0ES3_mN6thrust23THRUST_200600_302600_NS6detail15normal_iteratorINSA_10device_ptrIiEEEEPS6_NSA_18transform_iteratorINSB_9not_fun_tI7is_trueIiEEESF_NSA_11use_defaultESM_EENS0_5tupleIJSF_S6_EEENSO_IJSG_SG_EEES6_PlJS6_EEE10hipError_tPvRmT3_T4_T5_T6_T7_T9_mT8_P12ihipStream_tbDpT10_ENKUlT_T0_E_clISt17integral_constantIbLb1EES1A_IbLb0EEEEDaS16_S17_EUlS16_E_NS1_11comp_targetILNS1_3genE9ELNS1_11target_archE1100ELNS1_3gpuE3ELNS1_3repE0EEENS1_30default_config_static_selectorELNS0_4arch9wavefront6targetE0EEEvT1_
	.p2align	8
	.type	_ZN7rocprim17ROCPRIM_400000_NS6detail17trampoline_kernelINS0_14default_configENS1_25partition_config_selectorILNS1_17partition_subalgoE5EiNS0_10empty_typeEbEEZZNS1_14partition_implILS5_5ELb0ES3_mN6thrust23THRUST_200600_302600_NS6detail15normal_iteratorINSA_10device_ptrIiEEEEPS6_NSA_18transform_iteratorINSB_9not_fun_tI7is_trueIiEEESF_NSA_11use_defaultESM_EENS0_5tupleIJSF_S6_EEENSO_IJSG_SG_EEES6_PlJS6_EEE10hipError_tPvRmT3_T4_T5_T6_T7_T9_mT8_P12ihipStream_tbDpT10_ENKUlT_T0_E_clISt17integral_constantIbLb1EES1A_IbLb0EEEEDaS16_S17_EUlS16_E_NS1_11comp_targetILNS1_3genE9ELNS1_11target_archE1100ELNS1_3gpuE3ELNS1_3repE0EEENS1_30default_config_static_selectorELNS0_4arch9wavefront6targetE0EEEvT1_,@function
_ZN7rocprim17ROCPRIM_400000_NS6detail17trampoline_kernelINS0_14default_configENS1_25partition_config_selectorILNS1_17partition_subalgoE5EiNS0_10empty_typeEbEEZZNS1_14partition_implILS5_5ELb0ES3_mN6thrust23THRUST_200600_302600_NS6detail15normal_iteratorINSA_10device_ptrIiEEEEPS6_NSA_18transform_iteratorINSB_9not_fun_tI7is_trueIiEEESF_NSA_11use_defaultESM_EENS0_5tupleIJSF_S6_EEENSO_IJSG_SG_EEES6_PlJS6_EEE10hipError_tPvRmT3_T4_T5_T6_T7_T9_mT8_P12ihipStream_tbDpT10_ENKUlT_T0_E_clISt17integral_constantIbLb1EES1A_IbLb0EEEEDaS16_S17_EUlS16_E_NS1_11comp_targetILNS1_3genE9ELNS1_11target_archE1100ELNS1_3gpuE3ELNS1_3repE0EEENS1_30default_config_static_selectorELNS0_4arch9wavefront6targetE0EEEvT1_: ; @_ZN7rocprim17ROCPRIM_400000_NS6detail17trampoline_kernelINS0_14default_configENS1_25partition_config_selectorILNS1_17partition_subalgoE5EiNS0_10empty_typeEbEEZZNS1_14partition_implILS5_5ELb0ES3_mN6thrust23THRUST_200600_302600_NS6detail15normal_iteratorINSA_10device_ptrIiEEEEPS6_NSA_18transform_iteratorINSB_9not_fun_tI7is_trueIiEEESF_NSA_11use_defaultESM_EENS0_5tupleIJSF_S6_EEENSO_IJSG_SG_EEES6_PlJS6_EEE10hipError_tPvRmT3_T4_T5_T6_T7_T9_mT8_P12ihipStream_tbDpT10_ENKUlT_T0_E_clISt17integral_constantIbLb1EES1A_IbLb0EEEEDaS16_S17_EUlS16_E_NS1_11comp_targetILNS1_3genE9ELNS1_11target_archE1100ELNS1_3gpuE3ELNS1_3repE0EEENS1_30default_config_static_selectorELNS0_4arch9wavefront6targetE0EEEvT1_
; %bb.0:
	.section	.rodata,"a",@progbits
	.p2align	6, 0x0
	.amdhsa_kernel _ZN7rocprim17ROCPRIM_400000_NS6detail17trampoline_kernelINS0_14default_configENS1_25partition_config_selectorILNS1_17partition_subalgoE5EiNS0_10empty_typeEbEEZZNS1_14partition_implILS5_5ELb0ES3_mN6thrust23THRUST_200600_302600_NS6detail15normal_iteratorINSA_10device_ptrIiEEEEPS6_NSA_18transform_iteratorINSB_9not_fun_tI7is_trueIiEEESF_NSA_11use_defaultESM_EENS0_5tupleIJSF_S6_EEENSO_IJSG_SG_EEES6_PlJS6_EEE10hipError_tPvRmT3_T4_T5_T6_T7_T9_mT8_P12ihipStream_tbDpT10_ENKUlT_T0_E_clISt17integral_constantIbLb1EES1A_IbLb0EEEEDaS16_S17_EUlS16_E_NS1_11comp_targetILNS1_3genE9ELNS1_11target_archE1100ELNS1_3gpuE3ELNS1_3repE0EEENS1_30default_config_static_selectorELNS0_4arch9wavefront6targetE0EEEvT1_
		.amdhsa_group_segment_fixed_size 0
		.amdhsa_private_segment_fixed_size 0
		.amdhsa_kernarg_size 120
		.amdhsa_user_sgpr_count 2
		.amdhsa_user_sgpr_dispatch_ptr 0
		.amdhsa_user_sgpr_queue_ptr 0
		.amdhsa_user_sgpr_kernarg_segment_ptr 1
		.amdhsa_user_sgpr_dispatch_id 0
		.amdhsa_user_sgpr_private_segment_size 0
		.amdhsa_wavefront_size32 1
		.amdhsa_uses_dynamic_stack 0
		.amdhsa_enable_private_segment 0
		.amdhsa_system_sgpr_workgroup_id_x 1
		.amdhsa_system_sgpr_workgroup_id_y 0
		.amdhsa_system_sgpr_workgroup_id_z 0
		.amdhsa_system_sgpr_workgroup_info 0
		.amdhsa_system_vgpr_workitem_id 0
		.amdhsa_next_free_vgpr 1
		.amdhsa_next_free_sgpr 1
		.amdhsa_reserve_vcc 0
		.amdhsa_float_round_mode_32 0
		.amdhsa_float_round_mode_16_64 0
		.amdhsa_float_denorm_mode_32 3
		.amdhsa_float_denorm_mode_16_64 3
		.amdhsa_fp16_overflow 0
		.amdhsa_workgroup_processor_mode 1
		.amdhsa_memory_ordered 1
		.amdhsa_forward_progress 1
		.amdhsa_inst_pref_size 0
		.amdhsa_round_robin_scheduling 0
		.amdhsa_exception_fp_ieee_invalid_op 0
		.amdhsa_exception_fp_denorm_src 0
		.amdhsa_exception_fp_ieee_div_zero 0
		.amdhsa_exception_fp_ieee_overflow 0
		.amdhsa_exception_fp_ieee_underflow 0
		.amdhsa_exception_fp_ieee_inexact 0
		.amdhsa_exception_int_div_zero 0
	.end_amdhsa_kernel
	.section	.text._ZN7rocprim17ROCPRIM_400000_NS6detail17trampoline_kernelINS0_14default_configENS1_25partition_config_selectorILNS1_17partition_subalgoE5EiNS0_10empty_typeEbEEZZNS1_14partition_implILS5_5ELb0ES3_mN6thrust23THRUST_200600_302600_NS6detail15normal_iteratorINSA_10device_ptrIiEEEEPS6_NSA_18transform_iteratorINSB_9not_fun_tI7is_trueIiEEESF_NSA_11use_defaultESM_EENS0_5tupleIJSF_S6_EEENSO_IJSG_SG_EEES6_PlJS6_EEE10hipError_tPvRmT3_T4_T5_T6_T7_T9_mT8_P12ihipStream_tbDpT10_ENKUlT_T0_E_clISt17integral_constantIbLb1EES1A_IbLb0EEEEDaS16_S17_EUlS16_E_NS1_11comp_targetILNS1_3genE9ELNS1_11target_archE1100ELNS1_3gpuE3ELNS1_3repE0EEENS1_30default_config_static_selectorELNS0_4arch9wavefront6targetE0EEEvT1_,"axG",@progbits,_ZN7rocprim17ROCPRIM_400000_NS6detail17trampoline_kernelINS0_14default_configENS1_25partition_config_selectorILNS1_17partition_subalgoE5EiNS0_10empty_typeEbEEZZNS1_14partition_implILS5_5ELb0ES3_mN6thrust23THRUST_200600_302600_NS6detail15normal_iteratorINSA_10device_ptrIiEEEEPS6_NSA_18transform_iteratorINSB_9not_fun_tI7is_trueIiEEESF_NSA_11use_defaultESM_EENS0_5tupleIJSF_S6_EEENSO_IJSG_SG_EEES6_PlJS6_EEE10hipError_tPvRmT3_T4_T5_T6_T7_T9_mT8_P12ihipStream_tbDpT10_ENKUlT_T0_E_clISt17integral_constantIbLb1EES1A_IbLb0EEEEDaS16_S17_EUlS16_E_NS1_11comp_targetILNS1_3genE9ELNS1_11target_archE1100ELNS1_3gpuE3ELNS1_3repE0EEENS1_30default_config_static_selectorELNS0_4arch9wavefront6targetE0EEEvT1_,comdat
.Lfunc_end1522:
	.size	_ZN7rocprim17ROCPRIM_400000_NS6detail17trampoline_kernelINS0_14default_configENS1_25partition_config_selectorILNS1_17partition_subalgoE5EiNS0_10empty_typeEbEEZZNS1_14partition_implILS5_5ELb0ES3_mN6thrust23THRUST_200600_302600_NS6detail15normal_iteratorINSA_10device_ptrIiEEEEPS6_NSA_18transform_iteratorINSB_9not_fun_tI7is_trueIiEEESF_NSA_11use_defaultESM_EENS0_5tupleIJSF_S6_EEENSO_IJSG_SG_EEES6_PlJS6_EEE10hipError_tPvRmT3_T4_T5_T6_T7_T9_mT8_P12ihipStream_tbDpT10_ENKUlT_T0_E_clISt17integral_constantIbLb1EES1A_IbLb0EEEEDaS16_S17_EUlS16_E_NS1_11comp_targetILNS1_3genE9ELNS1_11target_archE1100ELNS1_3gpuE3ELNS1_3repE0EEENS1_30default_config_static_selectorELNS0_4arch9wavefront6targetE0EEEvT1_, .Lfunc_end1522-_ZN7rocprim17ROCPRIM_400000_NS6detail17trampoline_kernelINS0_14default_configENS1_25partition_config_selectorILNS1_17partition_subalgoE5EiNS0_10empty_typeEbEEZZNS1_14partition_implILS5_5ELb0ES3_mN6thrust23THRUST_200600_302600_NS6detail15normal_iteratorINSA_10device_ptrIiEEEEPS6_NSA_18transform_iteratorINSB_9not_fun_tI7is_trueIiEEESF_NSA_11use_defaultESM_EENS0_5tupleIJSF_S6_EEENSO_IJSG_SG_EEES6_PlJS6_EEE10hipError_tPvRmT3_T4_T5_T6_T7_T9_mT8_P12ihipStream_tbDpT10_ENKUlT_T0_E_clISt17integral_constantIbLb1EES1A_IbLb0EEEEDaS16_S17_EUlS16_E_NS1_11comp_targetILNS1_3genE9ELNS1_11target_archE1100ELNS1_3gpuE3ELNS1_3repE0EEENS1_30default_config_static_selectorELNS0_4arch9wavefront6targetE0EEEvT1_
                                        ; -- End function
	.set _ZN7rocprim17ROCPRIM_400000_NS6detail17trampoline_kernelINS0_14default_configENS1_25partition_config_selectorILNS1_17partition_subalgoE5EiNS0_10empty_typeEbEEZZNS1_14partition_implILS5_5ELb0ES3_mN6thrust23THRUST_200600_302600_NS6detail15normal_iteratorINSA_10device_ptrIiEEEEPS6_NSA_18transform_iteratorINSB_9not_fun_tI7is_trueIiEEESF_NSA_11use_defaultESM_EENS0_5tupleIJSF_S6_EEENSO_IJSG_SG_EEES6_PlJS6_EEE10hipError_tPvRmT3_T4_T5_T6_T7_T9_mT8_P12ihipStream_tbDpT10_ENKUlT_T0_E_clISt17integral_constantIbLb1EES1A_IbLb0EEEEDaS16_S17_EUlS16_E_NS1_11comp_targetILNS1_3genE9ELNS1_11target_archE1100ELNS1_3gpuE3ELNS1_3repE0EEENS1_30default_config_static_selectorELNS0_4arch9wavefront6targetE0EEEvT1_.num_vgpr, 0
	.set _ZN7rocprim17ROCPRIM_400000_NS6detail17trampoline_kernelINS0_14default_configENS1_25partition_config_selectorILNS1_17partition_subalgoE5EiNS0_10empty_typeEbEEZZNS1_14partition_implILS5_5ELb0ES3_mN6thrust23THRUST_200600_302600_NS6detail15normal_iteratorINSA_10device_ptrIiEEEEPS6_NSA_18transform_iteratorINSB_9not_fun_tI7is_trueIiEEESF_NSA_11use_defaultESM_EENS0_5tupleIJSF_S6_EEENSO_IJSG_SG_EEES6_PlJS6_EEE10hipError_tPvRmT3_T4_T5_T6_T7_T9_mT8_P12ihipStream_tbDpT10_ENKUlT_T0_E_clISt17integral_constantIbLb1EES1A_IbLb0EEEEDaS16_S17_EUlS16_E_NS1_11comp_targetILNS1_3genE9ELNS1_11target_archE1100ELNS1_3gpuE3ELNS1_3repE0EEENS1_30default_config_static_selectorELNS0_4arch9wavefront6targetE0EEEvT1_.num_agpr, 0
	.set _ZN7rocprim17ROCPRIM_400000_NS6detail17trampoline_kernelINS0_14default_configENS1_25partition_config_selectorILNS1_17partition_subalgoE5EiNS0_10empty_typeEbEEZZNS1_14partition_implILS5_5ELb0ES3_mN6thrust23THRUST_200600_302600_NS6detail15normal_iteratorINSA_10device_ptrIiEEEEPS6_NSA_18transform_iteratorINSB_9not_fun_tI7is_trueIiEEESF_NSA_11use_defaultESM_EENS0_5tupleIJSF_S6_EEENSO_IJSG_SG_EEES6_PlJS6_EEE10hipError_tPvRmT3_T4_T5_T6_T7_T9_mT8_P12ihipStream_tbDpT10_ENKUlT_T0_E_clISt17integral_constantIbLb1EES1A_IbLb0EEEEDaS16_S17_EUlS16_E_NS1_11comp_targetILNS1_3genE9ELNS1_11target_archE1100ELNS1_3gpuE3ELNS1_3repE0EEENS1_30default_config_static_selectorELNS0_4arch9wavefront6targetE0EEEvT1_.numbered_sgpr, 0
	.set _ZN7rocprim17ROCPRIM_400000_NS6detail17trampoline_kernelINS0_14default_configENS1_25partition_config_selectorILNS1_17partition_subalgoE5EiNS0_10empty_typeEbEEZZNS1_14partition_implILS5_5ELb0ES3_mN6thrust23THRUST_200600_302600_NS6detail15normal_iteratorINSA_10device_ptrIiEEEEPS6_NSA_18transform_iteratorINSB_9not_fun_tI7is_trueIiEEESF_NSA_11use_defaultESM_EENS0_5tupleIJSF_S6_EEENSO_IJSG_SG_EEES6_PlJS6_EEE10hipError_tPvRmT3_T4_T5_T6_T7_T9_mT8_P12ihipStream_tbDpT10_ENKUlT_T0_E_clISt17integral_constantIbLb1EES1A_IbLb0EEEEDaS16_S17_EUlS16_E_NS1_11comp_targetILNS1_3genE9ELNS1_11target_archE1100ELNS1_3gpuE3ELNS1_3repE0EEENS1_30default_config_static_selectorELNS0_4arch9wavefront6targetE0EEEvT1_.num_named_barrier, 0
	.set _ZN7rocprim17ROCPRIM_400000_NS6detail17trampoline_kernelINS0_14default_configENS1_25partition_config_selectorILNS1_17partition_subalgoE5EiNS0_10empty_typeEbEEZZNS1_14partition_implILS5_5ELb0ES3_mN6thrust23THRUST_200600_302600_NS6detail15normal_iteratorINSA_10device_ptrIiEEEEPS6_NSA_18transform_iteratorINSB_9not_fun_tI7is_trueIiEEESF_NSA_11use_defaultESM_EENS0_5tupleIJSF_S6_EEENSO_IJSG_SG_EEES6_PlJS6_EEE10hipError_tPvRmT3_T4_T5_T6_T7_T9_mT8_P12ihipStream_tbDpT10_ENKUlT_T0_E_clISt17integral_constantIbLb1EES1A_IbLb0EEEEDaS16_S17_EUlS16_E_NS1_11comp_targetILNS1_3genE9ELNS1_11target_archE1100ELNS1_3gpuE3ELNS1_3repE0EEENS1_30default_config_static_selectorELNS0_4arch9wavefront6targetE0EEEvT1_.private_seg_size, 0
	.set _ZN7rocprim17ROCPRIM_400000_NS6detail17trampoline_kernelINS0_14default_configENS1_25partition_config_selectorILNS1_17partition_subalgoE5EiNS0_10empty_typeEbEEZZNS1_14partition_implILS5_5ELb0ES3_mN6thrust23THRUST_200600_302600_NS6detail15normal_iteratorINSA_10device_ptrIiEEEEPS6_NSA_18transform_iteratorINSB_9not_fun_tI7is_trueIiEEESF_NSA_11use_defaultESM_EENS0_5tupleIJSF_S6_EEENSO_IJSG_SG_EEES6_PlJS6_EEE10hipError_tPvRmT3_T4_T5_T6_T7_T9_mT8_P12ihipStream_tbDpT10_ENKUlT_T0_E_clISt17integral_constantIbLb1EES1A_IbLb0EEEEDaS16_S17_EUlS16_E_NS1_11comp_targetILNS1_3genE9ELNS1_11target_archE1100ELNS1_3gpuE3ELNS1_3repE0EEENS1_30default_config_static_selectorELNS0_4arch9wavefront6targetE0EEEvT1_.uses_vcc, 0
	.set _ZN7rocprim17ROCPRIM_400000_NS6detail17trampoline_kernelINS0_14default_configENS1_25partition_config_selectorILNS1_17partition_subalgoE5EiNS0_10empty_typeEbEEZZNS1_14partition_implILS5_5ELb0ES3_mN6thrust23THRUST_200600_302600_NS6detail15normal_iteratorINSA_10device_ptrIiEEEEPS6_NSA_18transform_iteratorINSB_9not_fun_tI7is_trueIiEEESF_NSA_11use_defaultESM_EENS0_5tupleIJSF_S6_EEENSO_IJSG_SG_EEES6_PlJS6_EEE10hipError_tPvRmT3_T4_T5_T6_T7_T9_mT8_P12ihipStream_tbDpT10_ENKUlT_T0_E_clISt17integral_constantIbLb1EES1A_IbLb0EEEEDaS16_S17_EUlS16_E_NS1_11comp_targetILNS1_3genE9ELNS1_11target_archE1100ELNS1_3gpuE3ELNS1_3repE0EEENS1_30default_config_static_selectorELNS0_4arch9wavefront6targetE0EEEvT1_.uses_flat_scratch, 0
	.set _ZN7rocprim17ROCPRIM_400000_NS6detail17trampoline_kernelINS0_14default_configENS1_25partition_config_selectorILNS1_17partition_subalgoE5EiNS0_10empty_typeEbEEZZNS1_14partition_implILS5_5ELb0ES3_mN6thrust23THRUST_200600_302600_NS6detail15normal_iteratorINSA_10device_ptrIiEEEEPS6_NSA_18transform_iteratorINSB_9not_fun_tI7is_trueIiEEESF_NSA_11use_defaultESM_EENS0_5tupleIJSF_S6_EEENSO_IJSG_SG_EEES6_PlJS6_EEE10hipError_tPvRmT3_T4_T5_T6_T7_T9_mT8_P12ihipStream_tbDpT10_ENKUlT_T0_E_clISt17integral_constantIbLb1EES1A_IbLb0EEEEDaS16_S17_EUlS16_E_NS1_11comp_targetILNS1_3genE9ELNS1_11target_archE1100ELNS1_3gpuE3ELNS1_3repE0EEENS1_30default_config_static_selectorELNS0_4arch9wavefront6targetE0EEEvT1_.has_dyn_sized_stack, 0
	.set _ZN7rocprim17ROCPRIM_400000_NS6detail17trampoline_kernelINS0_14default_configENS1_25partition_config_selectorILNS1_17partition_subalgoE5EiNS0_10empty_typeEbEEZZNS1_14partition_implILS5_5ELb0ES3_mN6thrust23THRUST_200600_302600_NS6detail15normal_iteratorINSA_10device_ptrIiEEEEPS6_NSA_18transform_iteratorINSB_9not_fun_tI7is_trueIiEEESF_NSA_11use_defaultESM_EENS0_5tupleIJSF_S6_EEENSO_IJSG_SG_EEES6_PlJS6_EEE10hipError_tPvRmT3_T4_T5_T6_T7_T9_mT8_P12ihipStream_tbDpT10_ENKUlT_T0_E_clISt17integral_constantIbLb1EES1A_IbLb0EEEEDaS16_S17_EUlS16_E_NS1_11comp_targetILNS1_3genE9ELNS1_11target_archE1100ELNS1_3gpuE3ELNS1_3repE0EEENS1_30default_config_static_selectorELNS0_4arch9wavefront6targetE0EEEvT1_.has_recursion, 0
	.set _ZN7rocprim17ROCPRIM_400000_NS6detail17trampoline_kernelINS0_14default_configENS1_25partition_config_selectorILNS1_17partition_subalgoE5EiNS0_10empty_typeEbEEZZNS1_14partition_implILS5_5ELb0ES3_mN6thrust23THRUST_200600_302600_NS6detail15normal_iteratorINSA_10device_ptrIiEEEEPS6_NSA_18transform_iteratorINSB_9not_fun_tI7is_trueIiEEESF_NSA_11use_defaultESM_EENS0_5tupleIJSF_S6_EEENSO_IJSG_SG_EEES6_PlJS6_EEE10hipError_tPvRmT3_T4_T5_T6_T7_T9_mT8_P12ihipStream_tbDpT10_ENKUlT_T0_E_clISt17integral_constantIbLb1EES1A_IbLb0EEEEDaS16_S17_EUlS16_E_NS1_11comp_targetILNS1_3genE9ELNS1_11target_archE1100ELNS1_3gpuE3ELNS1_3repE0EEENS1_30default_config_static_selectorELNS0_4arch9wavefront6targetE0EEEvT1_.has_indirect_call, 0
	.section	.AMDGPU.csdata,"",@progbits
; Kernel info:
; codeLenInByte = 0
; TotalNumSgprs: 0
; NumVgprs: 0
; ScratchSize: 0
; MemoryBound: 0
; FloatMode: 240
; IeeeMode: 1
; LDSByteSize: 0 bytes/workgroup (compile time only)
; SGPRBlocks: 0
; VGPRBlocks: 0
; NumSGPRsForWavesPerEU: 1
; NumVGPRsForWavesPerEU: 1
; Occupancy: 16
; WaveLimiterHint : 0
; COMPUTE_PGM_RSRC2:SCRATCH_EN: 0
; COMPUTE_PGM_RSRC2:USER_SGPR: 2
; COMPUTE_PGM_RSRC2:TRAP_HANDLER: 0
; COMPUTE_PGM_RSRC2:TGID_X_EN: 1
; COMPUTE_PGM_RSRC2:TGID_Y_EN: 0
; COMPUTE_PGM_RSRC2:TGID_Z_EN: 0
; COMPUTE_PGM_RSRC2:TIDIG_COMP_CNT: 0
	.section	.text._ZN7rocprim17ROCPRIM_400000_NS6detail17trampoline_kernelINS0_14default_configENS1_25partition_config_selectorILNS1_17partition_subalgoE5EiNS0_10empty_typeEbEEZZNS1_14partition_implILS5_5ELb0ES3_mN6thrust23THRUST_200600_302600_NS6detail15normal_iteratorINSA_10device_ptrIiEEEEPS6_NSA_18transform_iteratorINSB_9not_fun_tI7is_trueIiEEESF_NSA_11use_defaultESM_EENS0_5tupleIJSF_S6_EEENSO_IJSG_SG_EEES6_PlJS6_EEE10hipError_tPvRmT3_T4_T5_T6_T7_T9_mT8_P12ihipStream_tbDpT10_ENKUlT_T0_E_clISt17integral_constantIbLb1EES1A_IbLb0EEEEDaS16_S17_EUlS16_E_NS1_11comp_targetILNS1_3genE8ELNS1_11target_archE1030ELNS1_3gpuE2ELNS1_3repE0EEENS1_30default_config_static_selectorELNS0_4arch9wavefront6targetE0EEEvT1_,"axG",@progbits,_ZN7rocprim17ROCPRIM_400000_NS6detail17trampoline_kernelINS0_14default_configENS1_25partition_config_selectorILNS1_17partition_subalgoE5EiNS0_10empty_typeEbEEZZNS1_14partition_implILS5_5ELb0ES3_mN6thrust23THRUST_200600_302600_NS6detail15normal_iteratorINSA_10device_ptrIiEEEEPS6_NSA_18transform_iteratorINSB_9not_fun_tI7is_trueIiEEESF_NSA_11use_defaultESM_EENS0_5tupleIJSF_S6_EEENSO_IJSG_SG_EEES6_PlJS6_EEE10hipError_tPvRmT3_T4_T5_T6_T7_T9_mT8_P12ihipStream_tbDpT10_ENKUlT_T0_E_clISt17integral_constantIbLb1EES1A_IbLb0EEEEDaS16_S17_EUlS16_E_NS1_11comp_targetILNS1_3genE8ELNS1_11target_archE1030ELNS1_3gpuE2ELNS1_3repE0EEENS1_30default_config_static_selectorELNS0_4arch9wavefront6targetE0EEEvT1_,comdat
	.protected	_ZN7rocprim17ROCPRIM_400000_NS6detail17trampoline_kernelINS0_14default_configENS1_25partition_config_selectorILNS1_17partition_subalgoE5EiNS0_10empty_typeEbEEZZNS1_14partition_implILS5_5ELb0ES3_mN6thrust23THRUST_200600_302600_NS6detail15normal_iteratorINSA_10device_ptrIiEEEEPS6_NSA_18transform_iteratorINSB_9not_fun_tI7is_trueIiEEESF_NSA_11use_defaultESM_EENS0_5tupleIJSF_S6_EEENSO_IJSG_SG_EEES6_PlJS6_EEE10hipError_tPvRmT3_T4_T5_T6_T7_T9_mT8_P12ihipStream_tbDpT10_ENKUlT_T0_E_clISt17integral_constantIbLb1EES1A_IbLb0EEEEDaS16_S17_EUlS16_E_NS1_11comp_targetILNS1_3genE8ELNS1_11target_archE1030ELNS1_3gpuE2ELNS1_3repE0EEENS1_30default_config_static_selectorELNS0_4arch9wavefront6targetE0EEEvT1_ ; -- Begin function _ZN7rocprim17ROCPRIM_400000_NS6detail17trampoline_kernelINS0_14default_configENS1_25partition_config_selectorILNS1_17partition_subalgoE5EiNS0_10empty_typeEbEEZZNS1_14partition_implILS5_5ELb0ES3_mN6thrust23THRUST_200600_302600_NS6detail15normal_iteratorINSA_10device_ptrIiEEEEPS6_NSA_18transform_iteratorINSB_9not_fun_tI7is_trueIiEEESF_NSA_11use_defaultESM_EENS0_5tupleIJSF_S6_EEENSO_IJSG_SG_EEES6_PlJS6_EEE10hipError_tPvRmT3_T4_T5_T6_T7_T9_mT8_P12ihipStream_tbDpT10_ENKUlT_T0_E_clISt17integral_constantIbLb1EES1A_IbLb0EEEEDaS16_S17_EUlS16_E_NS1_11comp_targetILNS1_3genE8ELNS1_11target_archE1030ELNS1_3gpuE2ELNS1_3repE0EEENS1_30default_config_static_selectorELNS0_4arch9wavefront6targetE0EEEvT1_
	.globl	_ZN7rocprim17ROCPRIM_400000_NS6detail17trampoline_kernelINS0_14default_configENS1_25partition_config_selectorILNS1_17partition_subalgoE5EiNS0_10empty_typeEbEEZZNS1_14partition_implILS5_5ELb0ES3_mN6thrust23THRUST_200600_302600_NS6detail15normal_iteratorINSA_10device_ptrIiEEEEPS6_NSA_18transform_iteratorINSB_9not_fun_tI7is_trueIiEEESF_NSA_11use_defaultESM_EENS0_5tupleIJSF_S6_EEENSO_IJSG_SG_EEES6_PlJS6_EEE10hipError_tPvRmT3_T4_T5_T6_T7_T9_mT8_P12ihipStream_tbDpT10_ENKUlT_T0_E_clISt17integral_constantIbLb1EES1A_IbLb0EEEEDaS16_S17_EUlS16_E_NS1_11comp_targetILNS1_3genE8ELNS1_11target_archE1030ELNS1_3gpuE2ELNS1_3repE0EEENS1_30default_config_static_selectorELNS0_4arch9wavefront6targetE0EEEvT1_
	.p2align	8
	.type	_ZN7rocprim17ROCPRIM_400000_NS6detail17trampoline_kernelINS0_14default_configENS1_25partition_config_selectorILNS1_17partition_subalgoE5EiNS0_10empty_typeEbEEZZNS1_14partition_implILS5_5ELb0ES3_mN6thrust23THRUST_200600_302600_NS6detail15normal_iteratorINSA_10device_ptrIiEEEEPS6_NSA_18transform_iteratorINSB_9not_fun_tI7is_trueIiEEESF_NSA_11use_defaultESM_EENS0_5tupleIJSF_S6_EEENSO_IJSG_SG_EEES6_PlJS6_EEE10hipError_tPvRmT3_T4_T5_T6_T7_T9_mT8_P12ihipStream_tbDpT10_ENKUlT_T0_E_clISt17integral_constantIbLb1EES1A_IbLb0EEEEDaS16_S17_EUlS16_E_NS1_11comp_targetILNS1_3genE8ELNS1_11target_archE1030ELNS1_3gpuE2ELNS1_3repE0EEENS1_30default_config_static_selectorELNS0_4arch9wavefront6targetE0EEEvT1_,@function
_ZN7rocprim17ROCPRIM_400000_NS6detail17trampoline_kernelINS0_14default_configENS1_25partition_config_selectorILNS1_17partition_subalgoE5EiNS0_10empty_typeEbEEZZNS1_14partition_implILS5_5ELb0ES3_mN6thrust23THRUST_200600_302600_NS6detail15normal_iteratorINSA_10device_ptrIiEEEEPS6_NSA_18transform_iteratorINSB_9not_fun_tI7is_trueIiEEESF_NSA_11use_defaultESM_EENS0_5tupleIJSF_S6_EEENSO_IJSG_SG_EEES6_PlJS6_EEE10hipError_tPvRmT3_T4_T5_T6_T7_T9_mT8_P12ihipStream_tbDpT10_ENKUlT_T0_E_clISt17integral_constantIbLb1EES1A_IbLb0EEEEDaS16_S17_EUlS16_E_NS1_11comp_targetILNS1_3genE8ELNS1_11target_archE1030ELNS1_3gpuE2ELNS1_3repE0EEENS1_30default_config_static_selectorELNS0_4arch9wavefront6targetE0EEEvT1_: ; @_ZN7rocprim17ROCPRIM_400000_NS6detail17trampoline_kernelINS0_14default_configENS1_25partition_config_selectorILNS1_17partition_subalgoE5EiNS0_10empty_typeEbEEZZNS1_14partition_implILS5_5ELb0ES3_mN6thrust23THRUST_200600_302600_NS6detail15normal_iteratorINSA_10device_ptrIiEEEEPS6_NSA_18transform_iteratorINSB_9not_fun_tI7is_trueIiEEESF_NSA_11use_defaultESM_EENS0_5tupleIJSF_S6_EEENSO_IJSG_SG_EEES6_PlJS6_EEE10hipError_tPvRmT3_T4_T5_T6_T7_T9_mT8_P12ihipStream_tbDpT10_ENKUlT_T0_E_clISt17integral_constantIbLb1EES1A_IbLb0EEEEDaS16_S17_EUlS16_E_NS1_11comp_targetILNS1_3genE8ELNS1_11target_archE1030ELNS1_3gpuE2ELNS1_3repE0EEENS1_30default_config_static_selectorELNS0_4arch9wavefront6targetE0EEEvT1_
; %bb.0:
	.section	.rodata,"a",@progbits
	.p2align	6, 0x0
	.amdhsa_kernel _ZN7rocprim17ROCPRIM_400000_NS6detail17trampoline_kernelINS0_14default_configENS1_25partition_config_selectorILNS1_17partition_subalgoE5EiNS0_10empty_typeEbEEZZNS1_14partition_implILS5_5ELb0ES3_mN6thrust23THRUST_200600_302600_NS6detail15normal_iteratorINSA_10device_ptrIiEEEEPS6_NSA_18transform_iteratorINSB_9not_fun_tI7is_trueIiEEESF_NSA_11use_defaultESM_EENS0_5tupleIJSF_S6_EEENSO_IJSG_SG_EEES6_PlJS6_EEE10hipError_tPvRmT3_T4_T5_T6_T7_T9_mT8_P12ihipStream_tbDpT10_ENKUlT_T0_E_clISt17integral_constantIbLb1EES1A_IbLb0EEEEDaS16_S17_EUlS16_E_NS1_11comp_targetILNS1_3genE8ELNS1_11target_archE1030ELNS1_3gpuE2ELNS1_3repE0EEENS1_30default_config_static_selectorELNS0_4arch9wavefront6targetE0EEEvT1_
		.amdhsa_group_segment_fixed_size 0
		.amdhsa_private_segment_fixed_size 0
		.amdhsa_kernarg_size 120
		.amdhsa_user_sgpr_count 2
		.amdhsa_user_sgpr_dispatch_ptr 0
		.amdhsa_user_sgpr_queue_ptr 0
		.amdhsa_user_sgpr_kernarg_segment_ptr 1
		.amdhsa_user_sgpr_dispatch_id 0
		.amdhsa_user_sgpr_private_segment_size 0
		.amdhsa_wavefront_size32 1
		.amdhsa_uses_dynamic_stack 0
		.amdhsa_enable_private_segment 0
		.amdhsa_system_sgpr_workgroup_id_x 1
		.amdhsa_system_sgpr_workgroup_id_y 0
		.amdhsa_system_sgpr_workgroup_id_z 0
		.amdhsa_system_sgpr_workgroup_info 0
		.amdhsa_system_vgpr_workitem_id 0
		.amdhsa_next_free_vgpr 1
		.amdhsa_next_free_sgpr 1
		.amdhsa_reserve_vcc 0
		.amdhsa_float_round_mode_32 0
		.amdhsa_float_round_mode_16_64 0
		.amdhsa_float_denorm_mode_32 3
		.amdhsa_float_denorm_mode_16_64 3
		.amdhsa_fp16_overflow 0
		.amdhsa_workgroup_processor_mode 1
		.amdhsa_memory_ordered 1
		.amdhsa_forward_progress 1
		.amdhsa_inst_pref_size 0
		.amdhsa_round_robin_scheduling 0
		.amdhsa_exception_fp_ieee_invalid_op 0
		.amdhsa_exception_fp_denorm_src 0
		.amdhsa_exception_fp_ieee_div_zero 0
		.amdhsa_exception_fp_ieee_overflow 0
		.amdhsa_exception_fp_ieee_underflow 0
		.amdhsa_exception_fp_ieee_inexact 0
		.amdhsa_exception_int_div_zero 0
	.end_amdhsa_kernel
	.section	.text._ZN7rocprim17ROCPRIM_400000_NS6detail17trampoline_kernelINS0_14default_configENS1_25partition_config_selectorILNS1_17partition_subalgoE5EiNS0_10empty_typeEbEEZZNS1_14partition_implILS5_5ELb0ES3_mN6thrust23THRUST_200600_302600_NS6detail15normal_iteratorINSA_10device_ptrIiEEEEPS6_NSA_18transform_iteratorINSB_9not_fun_tI7is_trueIiEEESF_NSA_11use_defaultESM_EENS0_5tupleIJSF_S6_EEENSO_IJSG_SG_EEES6_PlJS6_EEE10hipError_tPvRmT3_T4_T5_T6_T7_T9_mT8_P12ihipStream_tbDpT10_ENKUlT_T0_E_clISt17integral_constantIbLb1EES1A_IbLb0EEEEDaS16_S17_EUlS16_E_NS1_11comp_targetILNS1_3genE8ELNS1_11target_archE1030ELNS1_3gpuE2ELNS1_3repE0EEENS1_30default_config_static_selectorELNS0_4arch9wavefront6targetE0EEEvT1_,"axG",@progbits,_ZN7rocprim17ROCPRIM_400000_NS6detail17trampoline_kernelINS0_14default_configENS1_25partition_config_selectorILNS1_17partition_subalgoE5EiNS0_10empty_typeEbEEZZNS1_14partition_implILS5_5ELb0ES3_mN6thrust23THRUST_200600_302600_NS6detail15normal_iteratorINSA_10device_ptrIiEEEEPS6_NSA_18transform_iteratorINSB_9not_fun_tI7is_trueIiEEESF_NSA_11use_defaultESM_EENS0_5tupleIJSF_S6_EEENSO_IJSG_SG_EEES6_PlJS6_EEE10hipError_tPvRmT3_T4_T5_T6_T7_T9_mT8_P12ihipStream_tbDpT10_ENKUlT_T0_E_clISt17integral_constantIbLb1EES1A_IbLb0EEEEDaS16_S17_EUlS16_E_NS1_11comp_targetILNS1_3genE8ELNS1_11target_archE1030ELNS1_3gpuE2ELNS1_3repE0EEENS1_30default_config_static_selectorELNS0_4arch9wavefront6targetE0EEEvT1_,comdat
.Lfunc_end1523:
	.size	_ZN7rocprim17ROCPRIM_400000_NS6detail17trampoline_kernelINS0_14default_configENS1_25partition_config_selectorILNS1_17partition_subalgoE5EiNS0_10empty_typeEbEEZZNS1_14partition_implILS5_5ELb0ES3_mN6thrust23THRUST_200600_302600_NS6detail15normal_iteratorINSA_10device_ptrIiEEEEPS6_NSA_18transform_iteratorINSB_9not_fun_tI7is_trueIiEEESF_NSA_11use_defaultESM_EENS0_5tupleIJSF_S6_EEENSO_IJSG_SG_EEES6_PlJS6_EEE10hipError_tPvRmT3_T4_T5_T6_T7_T9_mT8_P12ihipStream_tbDpT10_ENKUlT_T0_E_clISt17integral_constantIbLb1EES1A_IbLb0EEEEDaS16_S17_EUlS16_E_NS1_11comp_targetILNS1_3genE8ELNS1_11target_archE1030ELNS1_3gpuE2ELNS1_3repE0EEENS1_30default_config_static_selectorELNS0_4arch9wavefront6targetE0EEEvT1_, .Lfunc_end1523-_ZN7rocprim17ROCPRIM_400000_NS6detail17trampoline_kernelINS0_14default_configENS1_25partition_config_selectorILNS1_17partition_subalgoE5EiNS0_10empty_typeEbEEZZNS1_14partition_implILS5_5ELb0ES3_mN6thrust23THRUST_200600_302600_NS6detail15normal_iteratorINSA_10device_ptrIiEEEEPS6_NSA_18transform_iteratorINSB_9not_fun_tI7is_trueIiEEESF_NSA_11use_defaultESM_EENS0_5tupleIJSF_S6_EEENSO_IJSG_SG_EEES6_PlJS6_EEE10hipError_tPvRmT3_T4_T5_T6_T7_T9_mT8_P12ihipStream_tbDpT10_ENKUlT_T0_E_clISt17integral_constantIbLb1EES1A_IbLb0EEEEDaS16_S17_EUlS16_E_NS1_11comp_targetILNS1_3genE8ELNS1_11target_archE1030ELNS1_3gpuE2ELNS1_3repE0EEENS1_30default_config_static_selectorELNS0_4arch9wavefront6targetE0EEEvT1_
                                        ; -- End function
	.set _ZN7rocprim17ROCPRIM_400000_NS6detail17trampoline_kernelINS0_14default_configENS1_25partition_config_selectorILNS1_17partition_subalgoE5EiNS0_10empty_typeEbEEZZNS1_14partition_implILS5_5ELb0ES3_mN6thrust23THRUST_200600_302600_NS6detail15normal_iteratorINSA_10device_ptrIiEEEEPS6_NSA_18transform_iteratorINSB_9not_fun_tI7is_trueIiEEESF_NSA_11use_defaultESM_EENS0_5tupleIJSF_S6_EEENSO_IJSG_SG_EEES6_PlJS6_EEE10hipError_tPvRmT3_T4_T5_T6_T7_T9_mT8_P12ihipStream_tbDpT10_ENKUlT_T0_E_clISt17integral_constantIbLb1EES1A_IbLb0EEEEDaS16_S17_EUlS16_E_NS1_11comp_targetILNS1_3genE8ELNS1_11target_archE1030ELNS1_3gpuE2ELNS1_3repE0EEENS1_30default_config_static_selectorELNS0_4arch9wavefront6targetE0EEEvT1_.num_vgpr, 0
	.set _ZN7rocprim17ROCPRIM_400000_NS6detail17trampoline_kernelINS0_14default_configENS1_25partition_config_selectorILNS1_17partition_subalgoE5EiNS0_10empty_typeEbEEZZNS1_14partition_implILS5_5ELb0ES3_mN6thrust23THRUST_200600_302600_NS6detail15normal_iteratorINSA_10device_ptrIiEEEEPS6_NSA_18transform_iteratorINSB_9not_fun_tI7is_trueIiEEESF_NSA_11use_defaultESM_EENS0_5tupleIJSF_S6_EEENSO_IJSG_SG_EEES6_PlJS6_EEE10hipError_tPvRmT3_T4_T5_T6_T7_T9_mT8_P12ihipStream_tbDpT10_ENKUlT_T0_E_clISt17integral_constantIbLb1EES1A_IbLb0EEEEDaS16_S17_EUlS16_E_NS1_11comp_targetILNS1_3genE8ELNS1_11target_archE1030ELNS1_3gpuE2ELNS1_3repE0EEENS1_30default_config_static_selectorELNS0_4arch9wavefront6targetE0EEEvT1_.num_agpr, 0
	.set _ZN7rocprim17ROCPRIM_400000_NS6detail17trampoline_kernelINS0_14default_configENS1_25partition_config_selectorILNS1_17partition_subalgoE5EiNS0_10empty_typeEbEEZZNS1_14partition_implILS5_5ELb0ES3_mN6thrust23THRUST_200600_302600_NS6detail15normal_iteratorINSA_10device_ptrIiEEEEPS6_NSA_18transform_iteratorINSB_9not_fun_tI7is_trueIiEEESF_NSA_11use_defaultESM_EENS0_5tupleIJSF_S6_EEENSO_IJSG_SG_EEES6_PlJS6_EEE10hipError_tPvRmT3_T4_T5_T6_T7_T9_mT8_P12ihipStream_tbDpT10_ENKUlT_T0_E_clISt17integral_constantIbLb1EES1A_IbLb0EEEEDaS16_S17_EUlS16_E_NS1_11comp_targetILNS1_3genE8ELNS1_11target_archE1030ELNS1_3gpuE2ELNS1_3repE0EEENS1_30default_config_static_selectorELNS0_4arch9wavefront6targetE0EEEvT1_.numbered_sgpr, 0
	.set _ZN7rocprim17ROCPRIM_400000_NS6detail17trampoline_kernelINS0_14default_configENS1_25partition_config_selectorILNS1_17partition_subalgoE5EiNS0_10empty_typeEbEEZZNS1_14partition_implILS5_5ELb0ES3_mN6thrust23THRUST_200600_302600_NS6detail15normal_iteratorINSA_10device_ptrIiEEEEPS6_NSA_18transform_iteratorINSB_9not_fun_tI7is_trueIiEEESF_NSA_11use_defaultESM_EENS0_5tupleIJSF_S6_EEENSO_IJSG_SG_EEES6_PlJS6_EEE10hipError_tPvRmT3_T4_T5_T6_T7_T9_mT8_P12ihipStream_tbDpT10_ENKUlT_T0_E_clISt17integral_constantIbLb1EES1A_IbLb0EEEEDaS16_S17_EUlS16_E_NS1_11comp_targetILNS1_3genE8ELNS1_11target_archE1030ELNS1_3gpuE2ELNS1_3repE0EEENS1_30default_config_static_selectorELNS0_4arch9wavefront6targetE0EEEvT1_.num_named_barrier, 0
	.set _ZN7rocprim17ROCPRIM_400000_NS6detail17trampoline_kernelINS0_14default_configENS1_25partition_config_selectorILNS1_17partition_subalgoE5EiNS0_10empty_typeEbEEZZNS1_14partition_implILS5_5ELb0ES3_mN6thrust23THRUST_200600_302600_NS6detail15normal_iteratorINSA_10device_ptrIiEEEEPS6_NSA_18transform_iteratorINSB_9not_fun_tI7is_trueIiEEESF_NSA_11use_defaultESM_EENS0_5tupleIJSF_S6_EEENSO_IJSG_SG_EEES6_PlJS6_EEE10hipError_tPvRmT3_T4_T5_T6_T7_T9_mT8_P12ihipStream_tbDpT10_ENKUlT_T0_E_clISt17integral_constantIbLb1EES1A_IbLb0EEEEDaS16_S17_EUlS16_E_NS1_11comp_targetILNS1_3genE8ELNS1_11target_archE1030ELNS1_3gpuE2ELNS1_3repE0EEENS1_30default_config_static_selectorELNS0_4arch9wavefront6targetE0EEEvT1_.private_seg_size, 0
	.set _ZN7rocprim17ROCPRIM_400000_NS6detail17trampoline_kernelINS0_14default_configENS1_25partition_config_selectorILNS1_17partition_subalgoE5EiNS0_10empty_typeEbEEZZNS1_14partition_implILS5_5ELb0ES3_mN6thrust23THRUST_200600_302600_NS6detail15normal_iteratorINSA_10device_ptrIiEEEEPS6_NSA_18transform_iteratorINSB_9not_fun_tI7is_trueIiEEESF_NSA_11use_defaultESM_EENS0_5tupleIJSF_S6_EEENSO_IJSG_SG_EEES6_PlJS6_EEE10hipError_tPvRmT3_T4_T5_T6_T7_T9_mT8_P12ihipStream_tbDpT10_ENKUlT_T0_E_clISt17integral_constantIbLb1EES1A_IbLb0EEEEDaS16_S17_EUlS16_E_NS1_11comp_targetILNS1_3genE8ELNS1_11target_archE1030ELNS1_3gpuE2ELNS1_3repE0EEENS1_30default_config_static_selectorELNS0_4arch9wavefront6targetE0EEEvT1_.uses_vcc, 0
	.set _ZN7rocprim17ROCPRIM_400000_NS6detail17trampoline_kernelINS0_14default_configENS1_25partition_config_selectorILNS1_17partition_subalgoE5EiNS0_10empty_typeEbEEZZNS1_14partition_implILS5_5ELb0ES3_mN6thrust23THRUST_200600_302600_NS6detail15normal_iteratorINSA_10device_ptrIiEEEEPS6_NSA_18transform_iteratorINSB_9not_fun_tI7is_trueIiEEESF_NSA_11use_defaultESM_EENS0_5tupleIJSF_S6_EEENSO_IJSG_SG_EEES6_PlJS6_EEE10hipError_tPvRmT3_T4_T5_T6_T7_T9_mT8_P12ihipStream_tbDpT10_ENKUlT_T0_E_clISt17integral_constantIbLb1EES1A_IbLb0EEEEDaS16_S17_EUlS16_E_NS1_11comp_targetILNS1_3genE8ELNS1_11target_archE1030ELNS1_3gpuE2ELNS1_3repE0EEENS1_30default_config_static_selectorELNS0_4arch9wavefront6targetE0EEEvT1_.uses_flat_scratch, 0
	.set _ZN7rocprim17ROCPRIM_400000_NS6detail17trampoline_kernelINS0_14default_configENS1_25partition_config_selectorILNS1_17partition_subalgoE5EiNS0_10empty_typeEbEEZZNS1_14partition_implILS5_5ELb0ES3_mN6thrust23THRUST_200600_302600_NS6detail15normal_iteratorINSA_10device_ptrIiEEEEPS6_NSA_18transform_iteratorINSB_9not_fun_tI7is_trueIiEEESF_NSA_11use_defaultESM_EENS0_5tupleIJSF_S6_EEENSO_IJSG_SG_EEES6_PlJS6_EEE10hipError_tPvRmT3_T4_T5_T6_T7_T9_mT8_P12ihipStream_tbDpT10_ENKUlT_T0_E_clISt17integral_constantIbLb1EES1A_IbLb0EEEEDaS16_S17_EUlS16_E_NS1_11comp_targetILNS1_3genE8ELNS1_11target_archE1030ELNS1_3gpuE2ELNS1_3repE0EEENS1_30default_config_static_selectorELNS0_4arch9wavefront6targetE0EEEvT1_.has_dyn_sized_stack, 0
	.set _ZN7rocprim17ROCPRIM_400000_NS6detail17trampoline_kernelINS0_14default_configENS1_25partition_config_selectorILNS1_17partition_subalgoE5EiNS0_10empty_typeEbEEZZNS1_14partition_implILS5_5ELb0ES3_mN6thrust23THRUST_200600_302600_NS6detail15normal_iteratorINSA_10device_ptrIiEEEEPS6_NSA_18transform_iteratorINSB_9not_fun_tI7is_trueIiEEESF_NSA_11use_defaultESM_EENS0_5tupleIJSF_S6_EEENSO_IJSG_SG_EEES6_PlJS6_EEE10hipError_tPvRmT3_T4_T5_T6_T7_T9_mT8_P12ihipStream_tbDpT10_ENKUlT_T0_E_clISt17integral_constantIbLb1EES1A_IbLb0EEEEDaS16_S17_EUlS16_E_NS1_11comp_targetILNS1_3genE8ELNS1_11target_archE1030ELNS1_3gpuE2ELNS1_3repE0EEENS1_30default_config_static_selectorELNS0_4arch9wavefront6targetE0EEEvT1_.has_recursion, 0
	.set _ZN7rocprim17ROCPRIM_400000_NS6detail17trampoline_kernelINS0_14default_configENS1_25partition_config_selectorILNS1_17partition_subalgoE5EiNS0_10empty_typeEbEEZZNS1_14partition_implILS5_5ELb0ES3_mN6thrust23THRUST_200600_302600_NS6detail15normal_iteratorINSA_10device_ptrIiEEEEPS6_NSA_18transform_iteratorINSB_9not_fun_tI7is_trueIiEEESF_NSA_11use_defaultESM_EENS0_5tupleIJSF_S6_EEENSO_IJSG_SG_EEES6_PlJS6_EEE10hipError_tPvRmT3_T4_T5_T6_T7_T9_mT8_P12ihipStream_tbDpT10_ENKUlT_T0_E_clISt17integral_constantIbLb1EES1A_IbLb0EEEEDaS16_S17_EUlS16_E_NS1_11comp_targetILNS1_3genE8ELNS1_11target_archE1030ELNS1_3gpuE2ELNS1_3repE0EEENS1_30default_config_static_selectorELNS0_4arch9wavefront6targetE0EEEvT1_.has_indirect_call, 0
	.section	.AMDGPU.csdata,"",@progbits
; Kernel info:
; codeLenInByte = 0
; TotalNumSgprs: 0
; NumVgprs: 0
; ScratchSize: 0
; MemoryBound: 0
; FloatMode: 240
; IeeeMode: 1
; LDSByteSize: 0 bytes/workgroup (compile time only)
; SGPRBlocks: 0
; VGPRBlocks: 0
; NumSGPRsForWavesPerEU: 1
; NumVGPRsForWavesPerEU: 1
; Occupancy: 16
; WaveLimiterHint : 0
; COMPUTE_PGM_RSRC2:SCRATCH_EN: 0
; COMPUTE_PGM_RSRC2:USER_SGPR: 2
; COMPUTE_PGM_RSRC2:TRAP_HANDLER: 0
; COMPUTE_PGM_RSRC2:TGID_X_EN: 1
; COMPUTE_PGM_RSRC2:TGID_Y_EN: 0
; COMPUTE_PGM_RSRC2:TGID_Z_EN: 0
; COMPUTE_PGM_RSRC2:TIDIG_COMP_CNT: 0
	.section	.text._ZN7rocprim17ROCPRIM_400000_NS6detail17trampoline_kernelINS0_14default_configENS1_25partition_config_selectorILNS1_17partition_subalgoE5EiNS0_10empty_typeEbEEZZNS1_14partition_implILS5_5ELb0ES3_mN6thrust23THRUST_200600_302600_NS6detail15normal_iteratorINSA_10device_ptrIiEEEEPS6_NSA_18transform_iteratorINSB_9not_fun_tI7is_trueIiEEESF_NSA_11use_defaultESM_EENS0_5tupleIJSF_S6_EEENSO_IJSG_SG_EEES6_PlJS6_EEE10hipError_tPvRmT3_T4_T5_T6_T7_T9_mT8_P12ihipStream_tbDpT10_ENKUlT_T0_E_clISt17integral_constantIbLb0EES1A_IbLb1EEEEDaS16_S17_EUlS16_E_NS1_11comp_targetILNS1_3genE0ELNS1_11target_archE4294967295ELNS1_3gpuE0ELNS1_3repE0EEENS1_30default_config_static_selectorELNS0_4arch9wavefront6targetE0EEEvT1_,"axG",@progbits,_ZN7rocprim17ROCPRIM_400000_NS6detail17trampoline_kernelINS0_14default_configENS1_25partition_config_selectorILNS1_17partition_subalgoE5EiNS0_10empty_typeEbEEZZNS1_14partition_implILS5_5ELb0ES3_mN6thrust23THRUST_200600_302600_NS6detail15normal_iteratorINSA_10device_ptrIiEEEEPS6_NSA_18transform_iteratorINSB_9not_fun_tI7is_trueIiEEESF_NSA_11use_defaultESM_EENS0_5tupleIJSF_S6_EEENSO_IJSG_SG_EEES6_PlJS6_EEE10hipError_tPvRmT3_T4_T5_T6_T7_T9_mT8_P12ihipStream_tbDpT10_ENKUlT_T0_E_clISt17integral_constantIbLb0EES1A_IbLb1EEEEDaS16_S17_EUlS16_E_NS1_11comp_targetILNS1_3genE0ELNS1_11target_archE4294967295ELNS1_3gpuE0ELNS1_3repE0EEENS1_30default_config_static_selectorELNS0_4arch9wavefront6targetE0EEEvT1_,comdat
	.protected	_ZN7rocprim17ROCPRIM_400000_NS6detail17trampoline_kernelINS0_14default_configENS1_25partition_config_selectorILNS1_17partition_subalgoE5EiNS0_10empty_typeEbEEZZNS1_14partition_implILS5_5ELb0ES3_mN6thrust23THRUST_200600_302600_NS6detail15normal_iteratorINSA_10device_ptrIiEEEEPS6_NSA_18transform_iteratorINSB_9not_fun_tI7is_trueIiEEESF_NSA_11use_defaultESM_EENS0_5tupleIJSF_S6_EEENSO_IJSG_SG_EEES6_PlJS6_EEE10hipError_tPvRmT3_T4_T5_T6_T7_T9_mT8_P12ihipStream_tbDpT10_ENKUlT_T0_E_clISt17integral_constantIbLb0EES1A_IbLb1EEEEDaS16_S17_EUlS16_E_NS1_11comp_targetILNS1_3genE0ELNS1_11target_archE4294967295ELNS1_3gpuE0ELNS1_3repE0EEENS1_30default_config_static_selectorELNS0_4arch9wavefront6targetE0EEEvT1_ ; -- Begin function _ZN7rocprim17ROCPRIM_400000_NS6detail17trampoline_kernelINS0_14default_configENS1_25partition_config_selectorILNS1_17partition_subalgoE5EiNS0_10empty_typeEbEEZZNS1_14partition_implILS5_5ELb0ES3_mN6thrust23THRUST_200600_302600_NS6detail15normal_iteratorINSA_10device_ptrIiEEEEPS6_NSA_18transform_iteratorINSB_9not_fun_tI7is_trueIiEEESF_NSA_11use_defaultESM_EENS0_5tupleIJSF_S6_EEENSO_IJSG_SG_EEES6_PlJS6_EEE10hipError_tPvRmT3_T4_T5_T6_T7_T9_mT8_P12ihipStream_tbDpT10_ENKUlT_T0_E_clISt17integral_constantIbLb0EES1A_IbLb1EEEEDaS16_S17_EUlS16_E_NS1_11comp_targetILNS1_3genE0ELNS1_11target_archE4294967295ELNS1_3gpuE0ELNS1_3repE0EEENS1_30default_config_static_selectorELNS0_4arch9wavefront6targetE0EEEvT1_
	.globl	_ZN7rocprim17ROCPRIM_400000_NS6detail17trampoline_kernelINS0_14default_configENS1_25partition_config_selectorILNS1_17partition_subalgoE5EiNS0_10empty_typeEbEEZZNS1_14partition_implILS5_5ELb0ES3_mN6thrust23THRUST_200600_302600_NS6detail15normal_iteratorINSA_10device_ptrIiEEEEPS6_NSA_18transform_iteratorINSB_9not_fun_tI7is_trueIiEEESF_NSA_11use_defaultESM_EENS0_5tupleIJSF_S6_EEENSO_IJSG_SG_EEES6_PlJS6_EEE10hipError_tPvRmT3_T4_T5_T6_T7_T9_mT8_P12ihipStream_tbDpT10_ENKUlT_T0_E_clISt17integral_constantIbLb0EES1A_IbLb1EEEEDaS16_S17_EUlS16_E_NS1_11comp_targetILNS1_3genE0ELNS1_11target_archE4294967295ELNS1_3gpuE0ELNS1_3repE0EEENS1_30default_config_static_selectorELNS0_4arch9wavefront6targetE0EEEvT1_
	.p2align	8
	.type	_ZN7rocprim17ROCPRIM_400000_NS6detail17trampoline_kernelINS0_14default_configENS1_25partition_config_selectorILNS1_17partition_subalgoE5EiNS0_10empty_typeEbEEZZNS1_14partition_implILS5_5ELb0ES3_mN6thrust23THRUST_200600_302600_NS6detail15normal_iteratorINSA_10device_ptrIiEEEEPS6_NSA_18transform_iteratorINSB_9not_fun_tI7is_trueIiEEESF_NSA_11use_defaultESM_EENS0_5tupleIJSF_S6_EEENSO_IJSG_SG_EEES6_PlJS6_EEE10hipError_tPvRmT3_T4_T5_T6_T7_T9_mT8_P12ihipStream_tbDpT10_ENKUlT_T0_E_clISt17integral_constantIbLb0EES1A_IbLb1EEEEDaS16_S17_EUlS16_E_NS1_11comp_targetILNS1_3genE0ELNS1_11target_archE4294967295ELNS1_3gpuE0ELNS1_3repE0EEENS1_30default_config_static_selectorELNS0_4arch9wavefront6targetE0EEEvT1_,@function
_ZN7rocprim17ROCPRIM_400000_NS6detail17trampoline_kernelINS0_14default_configENS1_25partition_config_selectorILNS1_17partition_subalgoE5EiNS0_10empty_typeEbEEZZNS1_14partition_implILS5_5ELb0ES3_mN6thrust23THRUST_200600_302600_NS6detail15normal_iteratorINSA_10device_ptrIiEEEEPS6_NSA_18transform_iteratorINSB_9not_fun_tI7is_trueIiEEESF_NSA_11use_defaultESM_EENS0_5tupleIJSF_S6_EEENSO_IJSG_SG_EEES6_PlJS6_EEE10hipError_tPvRmT3_T4_T5_T6_T7_T9_mT8_P12ihipStream_tbDpT10_ENKUlT_T0_E_clISt17integral_constantIbLb0EES1A_IbLb1EEEEDaS16_S17_EUlS16_E_NS1_11comp_targetILNS1_3genE0ELNS1_11target_archE4294967295ELNS1_3gpuE0ELNS1_3repE0EEENS1_30default_config_static_selectorELNS0_4arch9wavefront6targetE0EEEvT1_: ; @_ZN7rocprim17ROCPRIM_400000_NS6detail17trampoline_kernelINS0_14default_configENS1_25partition_config_selectorILNS1_17partition_subalgoE5EiNS0_10empty_typeEbEEZZNS1_14partition_implILS5_5ELb0ES3_mN6thrust23THRUST_200600_302600_NS6detail15normal_iteratorINSA_10device_ptrIiEEEEPS6_NSA_18transform_iteratorINSB_9not_fun_tI7is_trueIiEEESF_NSA_11use_defaultESM_EENS0_5tupleIJSF_S6_EEENSO_IJSG_SG_EEES6_PlJS6_EEE10hipError_tPvRmT3_T4_T5_T6_T7_T9_mT8_P12ihipStream_tbDpT10_ENKUlT_T0_E_clISt17integral_constantIbLb0EES1A_IbLb1EEEEDaS16_S17_EUlS16_E_NS1_11comp_targetILNS1_3genE0ELNS1_11target_archE4294967295ELNS1_3gpuE0ELNS1_3repE0EEENS1_30default_config_static_selectorELNS0_4arch9wavefront6targetE0EEEvT1_
; %bb.0:
	.section	.rodata,"a",@progbits
	.p2align	6, 0x0
	.amdhsa_kernel _ZN7rocprim17ROCPRIM_400000_NS6detail17trampoline_kernelINS0_14default_configENS1_25partition_config_selectorILNS1_17partition_subalgoE5EiNS0_10empty_typeEbEEZZNS1_14partition_implILS5_5ELb0ES3_mN6thrust23THRUST_200600_302600_NS6detail15normal_iteratorINSA_10device_ptrIiEEEEPS6_NSA_18transform_iteratorINSB_9not_fun_tI7is_trueIiEEESF_NSA_11use_defaultESM_EENS0_5tupleIJSF_S6_EEENSO_IJSG_SG_EEES6_PlJS6_EEE10hipError_tPvRmT3_T4_T5_T6_T7_T9_mT8_P12ihipStream_tbDpT10_ENKUlT_T0_E_clISt17integral_constantIbLb0EES1A_IbLb1EEEEDaS16_S17_EUlS16_E_NS1_11comp_targetILNS1_3genE0ELNS1_11target_archE4294967295ELNS1_3gpuE0ELNS1_3repE0EEENS1_30default_config_static_selectorELNS0_4arch9wavefront6targetE0EEEvT1_
		.amdhsa_group_segment_fixed_size 0
		.amdhsa_private_segment_fixed_size 0
		.amdhsa_kernarg_size 136
		.amdhsa_user_sgpr_count 2
		.amdhsa_user_sgpr_dispatch_ptr 0
		.amdhsa_user_sgpr_queue_ptr 0
		.amdhsa_user_sgpr_kernarg_segment_ptr 1
		.amdhsa_user_sgpr_dispatch_id 0
		.amdhsa_user_sgpr_private_segment_size 0
		.amdhsa_wavefront_size32 1
		.amdhsa_uses_dynamic_stack 0
		.amdhsa_enable_private_segment 0
		.amdhsa_system_sgpr_workgroup_id_x 1
		.amdhsa_system_sgpr_workgroup_id_y 0
		.amdhsa_system_sgpr_workgroup_id_z 0
		.amdhsa_system_sgpr_workgroup_info 0
		.amdhsa_system_vgpr_workitem_id 0
		.amdhsa_next_free_vgpr 1
		.amdhsa_next_free_sgpr 1
		.amdhsa_reserve_vcc 0
		.amdhsa_float_round_mode_32 0
		.amdhsa_float_round_mode_16_64 0
		.amdhsa_float_denorm_mode_32 3
		.amdhsa_float_denorm_mode_16_64 3
		.amdhsa_fp16_overflow 0
		.amdhsa_workgroup_processor_mode 1
		.amdhsa_memory_ordered 1
		.amdhsa_forward_progress 1
		.amdhsa_inst_pref_size 0
		.amdhsa_round_robin_scheduling 0
		.amdhsa_exception_fp_ieee_invalid_op 0
		.amdhsa_exception_fp_denorm_src 0
		.amdhsa_exception_fp_ieee_div_zero 0
		.amdhsa_exception_fp_ieee_overflow 0
		.amdhsa_exception_fp_ieee_underflow 0
		.amdhsa_exception_fp_ieee_inexact 0
		.amdhsa_exception_int_div_zero 0
	.end_amdhsa_kernel
	.section	.text._ZN7rocprim17ROCPRIM_400000_NS6detail17trampoline_kernelINS0_14default_configENS1_25partition_config_selectorILNS1_17partition_subalgoE5EiNS0_10empty_typeEbEEZZNS1_14partition_implILS5_5ELb0ES3_mN6thrust23THRUST_200600_302600_NS6detail15normal_iteratorINSA_10device_ptrIiEEEEPS6_NSA_18transform_iteratorINSB_9not_fun_tI7is_trueIiEEESF_NSA_11use_defaultESM_EENS0_5tupleIJSF_S6_EEENSO_IJSG_SG_EEES6_PlJS6_EEE10hipError_tPvRmT3_T4_T5_T6_T7_T9_mT8_P12ihipStream_tbDpT10_ENKUlT_T0_E_clISt17integral_constantIbLb0EES1A_IbLb1EEEEDaS16_S17_EUlS16_E_NS1_11comp_targetILNS1_3genE0ELNS1_11target_archE4294967295ELNS1_3gpuE0ELNS1_3repE0EEENS1_30default_config_static_selectorELNS0_4arch9wavefront6targetE0EEEvT1_,"axG",@progbits,_ZN7rocprim17ROCPRIM_400000_NS6detail17trampoline_kernelINS0_14default_configENS1_25partition_config_selectorILNS1_17partition_subalgoE5EiNS0_10empty_typeEbEEZZNS1_14partition_implILS5_5ELb0ES3_mN6thrust23THRUST_200600_302600_NS6detail15normal_iteratorINSA_10device_ptrIiEEEEPS6_NSA_18transform_iteratorINSB_9not_fun_tI7is_trueIiEEESF_NSA_11use_defaultESM_EENS0_5tupleIJSF_S6_EEENSO_IJSG_SG_EEES6_PlJS6_EEE10hipError_tPvRmT3_T4_T5_T6_T7_T9_mT8_P12ihipStream_tbDpT10_ENKUlT_T0_E_clISt17integral_constantIbLb0EES1A_IbLb1EEEEDaS16_S17_EUlS16_E_NS1_11comp_targetILNS1_3genE0ELNS1_11target_archE4294967295ELNS1_3gpuE0ELNS1_3repE0EEENS1_30default_config_static_selectorELNS0_4arch9wavefront6targetE0EEEvT1_,comdat
.Lfunc_end1524:
	.size	_ZN7rocprim17ROCPRIM_400000_NS6detail17trampoline_kernelINS0_14default_configENS1_25partition_config_selectorILNS1_17partition_subalgoE5EiNS0_10empty_typeEbEEZZNS1_14partition_implILS5_5ELb0ES3_mN6thrust23THRUST_200600_302600_NS6detail15normal_iteratorINSA_10device_ptrIiEEEEPS6_NSA_18transform_iteratorINSB_9not_fun_tI7is_trueIiEEESF_NSA_11use_defaultESM_EENS0_5tupleIJSF_S6_EEENSO_IJSG_SG_EEES6_PlJS6_EEE10hipError_tPvRmT3_T4_T5_T6_T7_T9_mT8_P12ihipStream_tbDpT10_ENKUlT_T0_E_clISt17integral_constantIbLb0EES1A_IbLb1EEEEDaS16_S17_EUlS16_E_NS1_11comp_targetILNS1_3genE0ELNS1_11target_archE4294967295ELNS1_3gpuE0ELNS1_3repE0EEENS1_30default_config_static_selectorELNS0_4arch9wavefront6targetE0EEEvT1_, .Lfunc_end1524-_ZN7rocprim17ROCPRIM_400000_NS6detail17trampoline_kernelINS0_14default_configENS1_25partition_config_selectorILNS1_17partition_subalgoE5EiNS0_10empty_typeEbEEZZNS1_14partition_implILS5_5ELb0ES3_mN6thrust23THRUST_200600_302600_NS6detail15normal_iteratorINSA_10device_ptrIiEEEEPS6_NSA_18transform_iteratorINSB_9not_fun_tI7is_trueIiEEESF_NSA_11use_defaultESM_EENS0_5tupleIJSF_S6_EEENSO_IJSG_SG_EEES6_PlJS6_EEE10hipError_tPvRmT3_T4_T5_T6_T7_T9_mT8_P12ihipStream_tbDpT10_ENKUlT_T0_E_clISt17integral_constantIbLb0EES1A_IbLb1EEEEDaS16_S17_EUlS16_E_NS1_11comp_targetILNS1_3genE0ELNS1_11target_archE4294967295ELNS1_3gpuE0ELNS1_3repE0EEENS1_30default_config_static_selectorELNS0_4arch9wavefront6targetE0EEEvT1_
                                        ; -- End function
	.set _ZN7rocprim17ROCPRIM_400000_NS6detail17trampoline_kernelINS0_14default_configENS1_25partition_config_selectorILNS1_17partition_subalgoE5EiNS0_10empty_typeEbEEZZNS1_14partition_implILS5_5ELb0ES3_mN6thrust23THRUST_200600_302600_NS6detail15normal_iteratorINSA_10device_ptrIiEEEEPS6_NSA_18transform_iteratorINSB_9not_fun_tI7is_trueIiEEESF_NSA_11use_defaultESM_EENS0_5tupleIJSF_S6_EEENSO_IJSG_SG_EEES6_PlJS6_EEE10hipError_tPvRmT3_T4_T5_T6_T7_T9_mT8_P12ihipStream_tbDpT10_ENKUlT_T0_E_clISt17integral_constantIbLb0EES1A_IbLb1EEEEDaS16_S17_EUlS16_E_NS1_11comp_targetILNS1_3genE0ELNS1_11target_archE4294967295ELNS1_3gpuE0ELNS1_3repE0EEENS1_30default_config_static_selectorELNS0_4arch9wavefront6targetE0EEEvT1_.num_vgpr, 0
	.set _ZN7rocprim17ROCPRIM_400000_NS6detail17trampoline_kernelINS0_14default_configENS1_25partition_config_selectorILNS1_17partition_subalgoE5EiNS0_10empty_typeEbEEZZNS1_14partition_implILS5_5ELb0ES3_mN6thrust23THRUST_200600_302600_NS6detail15normal_iteratorINSA_10device_ptrIiEEEEPS6_NSA_18transform_iteratorINSB_9not_fun_tI7is_trueIiEEESF_NSA_11use_defaultESM_EENS0_5tupleIJSF_S6_EEENSO_IJSG_SG_EEES6_PlJS6_EEE10hipError_tPvRmT3_T4_T5_T6_T7_T9_mT8_P12ihipStream_tbDpT10_ENKUlT_T0_E_clISt17integral_constantIbLb0EES1A_IbLb1EEEEDaS16_S17_EUlS16_E_NS1_11comp_targetILNS1_3genE0ELNS1_11target_archE4294967295ELNS1_3gpuE0ELNS1_3repE0EEENS1_30default_config_static_selectorELNS0_4arch9wavefront6targetE0EEEvT1_.num_agpr, 0
	.set _ZN7rocprim17ROCPRIM_400000_NS6detail17trampoline_kernelINS0_14default_configENS1_25partition_config_selectorILNS1_17partition_subalgoE5EiNS0_10empty_typeEbEEZZNS1_14partition_implILS5_5ELb0ES3_mN6thrust23THRUST_200600_302600_NS6detail15normal_iteratorINSA_10device_ptrIiEEEEPS6_NSA_18transform_iteratorINSB_9not_fun_tI7is_trueIiEEESF_NSA_11use_defaultESM_EENS0_5tupleIJSF_S6_EEENSO_IJSG_SG_EEES6_PlJS6_EEE10hipError_tPvRmT3_T4_T5_T6_T7_T9_mT8_P12ihipStream_tbDpT10_ENKUlT_T0_E_clISt17integral_constantIbLb0EES1A_IbLb1EEEEDaS16_S17_EUlS16_E_NS1_11comp_targetILNS1_3genE0ELNS1_11target_archE4294967295ELNS1_3gpuE0ELNS1_3repE0EEENS1_30default_config_static_selectorELNS0_4arch9wavefront6targetE0EEEvT1_.numbered_sgpr, 0
	.set _ZN7rocprim17ROCPRIM_400000_NS6detail17trampoline_kernelINS0_14default_configENS1_25partition_config_selectorILNS1_17partition_subalgoE5EiNS0_10empty_typeEbEEZZNS1_14partition_implILS5_5ELb0ES3_mN6thrust23THRUST_200600_302600_NS6detail15normal_iteratorINSA_10device_ptrIiEEEEPS6_NSA_18transform_iteratorINSB_9not_fun_tI7is_trueIiEEESF_NSA_11use_defaultESM_EENS0_5tupleIJSF_S6_EEENSO_IJSG_SG_EEES6_PlJS6_EEE10hipError_tPvRmT3_T4_T5_T6_T7_T9_mT8_P12ihipStream_tbDpT10_ENKUlT_T0_E_clISt17integral_constantIbLb0EES1A_IbLb1EEEEDaS16_S17_EUlS16_E_NS1_11comp_targetILNS1_3genE0ELNS1_11target_archE4294967295ELNS1_3gpuE0ELNS1_3repE0EEENS1_30default_config_static_selectorELNS0_4arch9wavefront6targetE0EEEvT1_.num_named_barrier, 0
	.set _ZN7rocprim17ROCPRIM_400000_NS6detail17trampoline_kernelINS0_14default_configENS1_25partition_config_selectorILNS1_17partition_subalgoE5EiNS0_10empty_typeEbEEZZNS1_14partition_implILS5_5ELb0ES3_mN6thrust23THRUST_200600_302600_NS6detail15normal_iteratorINSA_10device_ptrIiEEEEPS6_NSA_18transform_iteratorINSB_9not_fun_tI7is_trueIiEEESF_NSA_11use_defaultESM_EENS0_5tupleIJSF_S6_EEENSO_IJSG_SG_EEES6_PlJS6_EEE10hipError_tPvRmT3_T4_T5_T6_T7_T9_mT8_P12ihipStream_tbDpT10_ENKUlT_T0_E_clISt17integral_constantIbLb0EES1A_IbLb1EEEEDaS16_S17_EUlS16_E_NS1_11comp_targetILNS1_3genE0ELNS1_11target_archE4294967295ELNS1_3gpuE0ELNS1_3repE0EEENS1_30default_config_static_selectorELNS0_4arch9wavefront6targetE0EEEvT1_.private_seg_size, 0
	.set _ZN7rocprim17ROCPRIM_400000_NS6detail17trampoline_kernelINS0_14default_configENS1_25partition_config_selectorILNS1_17partition_subalgoE5EiNS0_10empty_typeEbEEZZNS1_14partition_implILS5_5ELb0ES3_mN6thrust23THRUST_200600_302600_NS6detail15normal_iteratorINSA_10device_ptrIiEEEEPS6_NSA_18transform_iteratorINSB_9not_fun_tI7is_trueIiEEESF_NSA_11use_defaultESM_EENS0_5tupleIJSF_S6_EEENSO_IJSG_SG_EEES6_PlJS6_EEE10hipError_tPvRmT3_T4_T5_T6_T7_T9_mT8_P12ihipStream_tbDpT10_ENKUlT_T0_E_clISt17integral_constantIbLb0EES1A_IbLb1EEEEDaS16_S17_EUlS16_E_NS1_11comp_targetILNS1_3genE0ELNS1_11target_archE4294967295ELNS1_3gpuE0ELNS1_3repE0EEENS1_30default_config_static_selectorELNS0_4arch9wavefront6targetE0EEEvT1_.uses_vcc, 0
	.set _ZN7rocprim17ROCPRIM_400000_NS6detail17trampoline_kernelINS0_14default_configENS1_25partition_config_selectorILNS1_17partition_subalgoE5EiNS0_10empty_typeEbEEZZNS1_14partition_implILS5_5ELb0ES3_mN6thrust23THRUST_200600_302600_NS6detail15normal_iteratorINSA_10device_ptrIiEEEEPS6_NSA_18transform_iteratorINSB_9not_fun_tI7is_trueIiEEESF_NSA_11use_defaultESM_EENS0_5tupleIJSF_S6_EEENSO_IJSG_SG_EEES6_PlJS6_EEE10hipError_tPvRmT3_T4_T5_T6_T7_T9_mT8_P12ihipStream_tbDpT10_ENKUlT_T0_E_clISt17integral_constantIbLb0EES1A_IbLb1EEEEDaS16_S17_EUlS16_E_NS1_11comp_targetILNS1_3genE0ELNS1_11target_archE4294967295ELNS1_3gpuE0ELNS1_3repE0EEENS1_30default_config_static_selectorELNS0_4arch9wavefront6targetE0EEEvT1_.uses_flat_scratch, 0
	.set _ZN7rocprim17ROCPRIM_400000_NS6detail17trampoline_kernelINS0_14default_configENS1_25partition_config_selectorILNS1_17partition_subalgoE5EiNS0_10empty_typeEbEEZZNS1_14partition_implILS5_5ELb0ES3_mN6thrust23THRUST_200600_302600_NS6detail15normal_iteratorINSA_10device_ptrIiEEEEPS6_NSA_18transform_iteratorINSB_9not_fun_tI7is_trueIiEEESF_NSA_11use_defaultESM_EENS0_5tupleIJSF_S6_EEENSO_IJSG_SG_EEES6_PlJS6_EEE10hipError_tPvRmT3_T4_T5_T6_T7_T9_mT8_P12ihipStream_tbDpT10_ENKUlT_T0_E_clISt17integral_constantIbLb0EES1A_IbLb1EEEEDaS16_S17_EUlS16_E_NS1_11comp_targetILNS1_3genE0ELNS1_11target_archE4294967295ELNS1_3gpuE0ELNS1_3repE0EEENS1_30default_config_static_selectorELNS0_4arch9wavefront6targetE0EEEvT1_.has_dyn_sized_stack, 0
	.set _ZN7rocprim17ROCPRIM_400000_NS6detail17trampoline_kernelINS0_14default_configENS1_25partition_config_selectorILNS1_17partition_subalgoE5EiNS0_10empty_typeEbEEZZNS1_14partition_implILS5_5ELb0ES3_mN6thrust23THRUST_200600_302600_NS6detail15normal_iteratorINSA_10device_ptrIiEEEEPS6_NSA_18transform_iteratorINSB_9not_fun_tI7is_trueIiEEESF_NSA_11use_defaultESM_EENS0_5tupleIJSF_S6_EEENSO_IJSG_SG_EEES6_PlJS6_EEE10hipError_tPvRmT3_T4_T5_T6_T7_T9_mT8_P12ihipStream_tbDpT10_ENKUlT_T0_E_clISt17integral_constantIbLb0EES1A_IbLb1EEEEDaS16_S17_EUlS16_E_NS1_11comp_targetILNS1_3genE0ELNS1_11target_archE4294967295ELNS1_3gpuE0ELNS1_3repE0EEENS1_30default_config_static_selectorELNS0_4arch9wavefront6targetE0EEEvT1_.has_recursion, 0
	.set _ZN7rocprim17ROCPRIM_400000_NS6detail17trampoline_kernelINS0_14default_configENS1_25partition_config_selectorILNS1_17partition_subalgoE5EiNS0_10empty_typeEbEEZZNS1_14partition_implILS5_5ELb0ES3_mN6thrust23THRUST_200600_302600_NS6detail15normal_iteratorINSA_10device_ptrIiEEEEPS6_NSA_18transform_iteratorINSB_9not_fun_tI7is_trueIiEEESF_NSA_11use_defaultESM_EENS0_5tupleIJSF_S6_EEENSO_IJSG_SG_EEES6_PlJS6_EEE10hipError_tPvRmT3_T4_T5_T6_T7_T9_mT8_P12ihipStream_tbDpT10_ENKUlT_T0_E_clISt17integral_constantIbLb0EES1A_IbLb1EEEEDaS16_S17_EUlS16_E_NS1_11comp_targetILNS1_3genE0ELNS1_11target_archE4294967295ELNS1_3gpuE0ELNS1_3repE0EEENS1_30default_config_static_selectorELNS0_4arch9wavefront6targetE0EEEvT1_.has_indirect_call, 0
	.section	.AMDGPU.csdata,"",@progbits
; Kernel info:
; codeLenInByte = 0
; TotalNumSgprs: 0
; NumVgprs: 0
; ScratchSize: 0
; MemoryBound: 0
; FloatMode: 240
; IeeeMode: 1
; LDSByteSize: 0 bytes/workgroup (compile time only)
; SGPRBlocks: 0
; VGPRBlocks: 0
; NumSGPRsForWavesPerEU: 1
; NumVGPRsForWavesPerEU: 1
; Occupancy: 16
; WaveLimiterHint : 0
; COMPUTE_PGM_RSRC2:SCRATCH_EN: 0
; COMPUTE_PGM_RSRC2:USER_SGPR: 2
; COMPUTE_PGM_RSRC2:TRAP_HANDLER: 0
; COMPUTE_PGM_RSRC2:TGID_X_EN: 1
; COMPUTE_PGM_RSRC2:TGID_Y_EN: 0
; COMPUTE_PGM_RSRC2:TGID_Z_EN: 0
; COMPUTE_PGM_RSRC2:TIDIG_COMP_CNT: 0
	.section	.text._ZN7rocprim17ROCPRIM_400000_NS6detail17trampoline_kernelINS0_14default_configENS1_25partition_config_selectorILNS1_17partition_subalgoE5EiNS0_10empty_typeEbEEZZNS1_14partition_implILS5_5ELb0ES3_mN6thrust23THRUST_200600_302600_NS6detail15normal_iteratorINSA_10device_ptrIiEEEEPS6_NSA_18transform_iteratorINSB_9not_fun_tI7is_trueIiEEESF_NSA_11use_defaultESM_EENS0_5tupleIJSF_S6_EEENSO_IJSG_SG_EEES6_PlJS6_EEE10hipError_tPvRmT3_T4_T5_T6_T7_T9_mT8_P12ihipStream_tbDpT10_ENKUlT_T0_E_clISt17integral_constantIbLb0EES1A_IbLb1EEEEDaS16_S17_EUlS16_E_NS1_11comp_targetILNS1_3genE5ELNS1_11target_archE942ELNS1_3gpuE9ELNS1_3repE0EEENS1_30default_config_static_selectorELNS0_4arch9wavefront6targetE0EEEvT1_,"axG",@progbits,_ZN7rocprim17ROCPRIM_400000_NS6detail17trampoline_kernelINS0_14default_configENS1_25partition_config_selectorILNS1_17partition_subalgoE5EiNS0_10empty_typeEbEEZZNS1_14partition_implILS5_5ELb0ES3_mN6thrust23THRUST_200600_302600_NS6detail15normal_iteratorINSA_10device_ptrIiEEEEPS6_NSA_18transform_iteratorINSB_9not_fun_tI7is_trueIiEEESF_NSA_11use_defaultESM_EENS0_5tupleIJSF_S6_EEENSO_IJSG_SG_EEES6_PlJS6_EEE10hipError_tPvRmT3_T4_T5_T6_T7_T9_mT8_P12ihipStream_tbDpT10_ENKUlT_T0_E_clISt17integral_constantIbLb0EES1A_IbLb1EEEEDaS16_S17_EUlS16_E_NS1_11comp_targetILNS1_3genE5ELNS1_11target_archE942ELNS1_3gpuE9ELNS1_3repE0EEENS1_30default_config_static_selectorELNS0_4arch9wavefront6targetE0EEEvT1_,comdat
	.protected	_ZN7rocprim17ROCPRIM_400000_NS6detail17trampoline_kernelINS0_14default_configENS1_25partition_config_selectorILNS1_17partition_subalgoE5EiNS0_10empty_typeEbEEZZNS1_14partition_implILS5_5ELb0ES3_mN6thrust23THRUST_200600_302600_NS6detail15normal_iteratorINSA_10device_ptrIiEEEEPS6_NSA_18transform_iteratorINSB_9not_fun_tI7is_trueIiEEESF_NSA_11use_defaultESM_EENS0_5tupleIJSF_S6_EEENSO_IJSG_SG_EEES6_PlJS6_EEE10hipError_tPvRmT3_T4_T5_T6_T7_T9_mT8_P12ihipStream_tbDpT10_ENKUlT_T0_E_clISt17integral_constantIbLb0EES1A_IbLb1EEEEDaS16_S17_EUlS16_E_NS1_11comp_targetILNS1_3genE5ELNS1_11target_archE942ELNS1_3gpuE9ELNS1_3repE0EEENS1_30default_config_static_selectorELNS0_4arch9wavefront6targetE0EEEvT1_ ; -- Begin function _ZN7rocprim17ROCPRIM_400000_NS6detail17trampoline_kernelINS0_14default_configENS1_25partition_config_selectorILNS1_17partition_subalgoE5EiNS0_10empty_typeEbEEZZNS1_14partition_implILS5_5ELb0ES3_mN6thrust23THRUST_200600_302600_NS6detail15normal_iteratorINSA_10device_ptrIiEEEEPS6_NSA_18transform_iteratorINSB_9not_fun_tI7is_trueIiEEESF_NSA_11use_defaultESM_EENS0_5tupleIJSF_S6_EEENSO_IJSG_SG_EEES6_PlJS6_EEE10hipError_tPvRmT3_T4_T5_T6_T7_T9_mT8_P12ihipStream_tbDpT10_ENKUlT_T0_E_clISt17integral_constantIbLb0EES1A_IbLb1EEEEDaS16_S17_EUlS16_E_NS1_11comp_targetILNS1_3genE5ELNS1_11target_archE942ELNS1_3gpuE9ELNS1_3repE0EEENS1_30default_config_static_selectorELNS0_4arch9wavefront6targetE0EEEvT1_
	.globl	_ZN7rocprim17ROCPRIM_400000_NS6detail17trampoline_kernelINS0_14default_configENS1_25partition_config_selectorILNS1_17partition_subalgoE5EiNS0_10empty_typeEbEEZZNS1_14partition_implILS5_5ELb0ES3_mN6thrust23THRUST_200600_302600_NS6detail15normal_iteratorINSA_10device_ptrIiEEEEPS6_NSA_18transform_iteratorINSB_9not_fun_tI7is_trueIiEEESF_NSA_11use_defaultESM_EENS0_5tupleIJSF_S6_EEENSO_IJSG_SG_EEES6_PlJS6_EEE10hipError_tPvRmT3_T4_T5_T6_T7_T9_mT8_P12ihipStream_tbDpT10_ENKUlT_T0_E_clISt17integral_constantIbLb0EES1A_IbLb1EEEEDaS16_S17_EUlS16_E_NS1_11comp_targetILNS1_3genE5ELNS1_11target_archE942ELNS1_3gpuE9ELNS1_3repE0EEENS1_30default_config_static_selectorELNS0_4arch9wavefront6targetE0EEEvT1_
	.p2align	8
	.type	_ZN7rocprim17ROCPRIM_400000_NS6detail17trampoline_kernelINS0_14default_configENS1_25partition_config_selectorILNS1_17partition_subalgoE5EiNS0_10empty_typeEbEEZZNS1_14partition_implILS5_5ELb0ES3_mN6thrust23THRUST_200600_302600_NS6detail15normal_iteratorINSA_10device_ptrIiEEEEPS6_NSA_18transform_iteratorINSB_9not_fun_tI7is_trueIiEEESF_NSA_11use_defaultESM_EENS0_5tupleIJSF_S6_EEENSO_IJSG_SG_EEES6_PlJS6_EEE10hipError_tPvRmT3_T4_T5_T6_T7_T9_mT8_P12ihipStream_tbDpT10_ENKUlT_T0_E_clISt17integral_constantIbLb0EES1A_IbLb1EEEEDaS16_S17_EUlS16_E_NS1_11comp_targetILNS1_3genE5ELNS1_11target_archE942ELNS1_3gpuE9ELNS1_3repE0EEENS1_30default_config_static_selectorELNS0_4arch9wavefront6targetE0EEEvT1_,@function
_ZN7rocprim17ROCPRIM_400000_NS6detail17trampoline_kernelINS0_14default_configENS1_25partition_config_selectorILNS1_17partition_subalgoE5EiNS0_10empty_typeEbEEZZNS1_14partition_implILS5_5ELb0ES3_mN6thrust23THRUST_200600_302600_NS6detail15normal_iteratorINSA_10device_ptrIiEEEEPS6_NSA_18transform_iteratorINSB_9not_fun_tI7is_trueIiEEESF_NSA_11use_defaultESM_EENS0_5tupleIJSF_S6_EEENSO_IJSG_SG_EEES6_PlJS6_EEE10hipError_tPvRmT3_T4_T5_T6_T7_T9_mT8_P12ihipStream_tbDpT10_ENKUlT_T0_E_clISt17integral_constantIbLb0EES1A_IbLb1EEEEDaS16_S17_EUlS16_E_NS1_11comp_targetILNS1_3genE5ELNS1_11target_archE942ELNS1_3gpuE9ELNS1_3repE0EEENS1_30default_config_static_selectorELNS0_4arch9wavefront6targetE0EEEvT1_: ; @_ZN7rocprim17ROCPRIM_400000_NS6detail17trampoline_kernelINS0_14default_configENS1_25partition_config_selectorILNS1_17partition_subalgoE5EiNS0_10empty_typeEbEEZZNS1_14partition_implILS5_5ELb0ES3_mN6thrust23THRUST_200600_302600_NS6detail15normal_iteratorINSA_10device_ptrIiEEEEPS6_NSA_18transform_iteratorINSB_9not_fun_tI7is_trueIiEEESF_NSA_11use_defaultESM_EENS0_5tupleIJSF_S6_EEENSO_IJSG_SG_EEES6_PlJS6_EEE10hipError_tPvRmT3_T4_T5_T6_T7_T9_mT8_P12ihipStream_tbDpT10_ENKUlT_T0_E_clISt17integral_constantIbLb0EES1A_IbLb1EEEEDaS16_S17_EUlS16_E_NS1_11comp_targetILNS1_3genE5ELNS1_11target_archE942ELNS1_3gpuE9ELNS1_3repE0EEENS1_30default_config_static_selectorELNS0_4arch9wavefront6targetE0EEEvT1_
; %bb.0:
	.section	.rodata,"a",@progbits
	.p2align	6, 0x0
	.amdhsa_kernel _ZN7rocprim17ROCPRIM_400000_NS6detail17trampoline_kernelINS0_14default_configENS1_25partition_config_selectorILNS1_17partition_subalgoE5EiNS0_10empty_typeEbEEZZNS1_14partition_implILS5_5ELb0ES3_mN6thrust23THRUST_200600_302600_NS6detail15normal_iteratorINSA_10device_ptrIiEEEEPS6_NSA_18transform_iteratorINSB_9not_fun_tI7is_trueIiEEESF_NSA_11use_defaultESM_EENS0_5tupleIJSF_S6_EEENSO_IJSG_SG_EEES6_PlJS6_EEE10hipError_tPvRmT3_T4_T5_T6_T7_T9_mT8_P12ihipStream_tbDpT10_ENKUlT_T0_E_clISt17integral_constantIbLb0EES1A_IbLb1EEEEDaS16_S17_EUlS16_E_NS1_11comp_targetILNS1_3genE5ELNS1_11target_archE942ELNS1_3gpuE9ELNS1_3repE0EEENS1_30default_config_static_selectorELNS0_4arch9wavefront6targetE0EEEvT1_
		.amdhsa_group_segment_fixed_size 0
		.amdhsa_private_segment_fixed_size 0
		.amdhsa_kernarg_size 136
		.amdhsa_user_sgpr_count 2
		.amdhsa_user_sgpr_dispatch_ptr 0
		.amdhsa_user_sgpr_queue_ptr 0
		.amdhsa_user_sgpr_kernarg_segment_ptr 1
		.amdhsa_user_sgpr_dispatch_id 0
		.amdhsa_user_sgpr_private_segment_size 0
		.amdhsa_wavefront_size32 1
		.amdhsa_uses_dynamic_stack 0
		.amdhsa_enable_private_segment 0
		.amdhsa_system_sgpr_workgroup_id_x 1
		.amdhsa_system_sgpr_workgroup_id_y 0
		.amdhsa_system_sgpr_workgroup_id_z 0
		.amdhsa_system_sgpr_workgroup_info 0
		.amdhsa_system_vgpr_workitem_id 0
		.amdhsa_next_free_vgpr 1
		.amdhsa_next_free_sgpr 1
		.amdhsa_reserve_vcc 0
		.amdhsa_float_round_mode_32 0
		.amdhsa_float_round_mode_16_64 0
		.amdhsa_float_denorm_mode_32 3
		.amdhsa_float_denorm_mode_16_64 3
		.amdhsa_fp16_overflow 0
		.amdhsa_workgroup_processor_mode 1
		.amdhsa_memory_ordered 1
		.amdhsa_forward_progress 1
		.amdhsa_inst_pref_size 0
		.amdhsa_round_robin_scheduling 0
		.amdhsa_exception_fp_ieee_invalid_op 0
		.amdhsa_exception_fp_denorm_src 0
		.amdhsa_exception_fp_ieee_div_zero 0
		.amdhsa_exception_fp_ieee_overflow 0
		.amdhsa_exception_fp_ieee_underflow 0
		.amdhsa_exception_fp_ieee_inexact 0
		.amdhsa_exception_int_div_zero 0
	.end_amdhsa_kernel
	.section	.text._ZN7rocprim17ROCPRIM_400000_NS6detail17trampoline_kernelINS0_14default_configENS1_25partition_config_selectorILNS1_17partition_subalgoE5EiNS0_10empty_typeEbEEZZNS1_14partition_implILS5_5ELb0ES3_mN6thrust23THRUST_200600_302600_NS6detail15normal_iteratorINSA_10device_ptrIiEEEEPS6_NSA_18transform_iteratorINSB_9not_fun_tI7is_trueIiEEESF_NSA_11use_defaultESM_EENS0_5tupleIJSF_S6_EEENSO_IJSG_SG_EEES6_PlJS6_EEE10hipError_tPvRmT3_T4_T5_T6_T7_T9_mT8_P12ihipStream_tbDpT10_ENKUlT_T0_E_clISt17integral_constantIbLb0EES1A_IbLb1EEEEDaS16_S17_EUlS16_E_NS1_11comp_targetILNS1_3genE5ELNS1_11target_archE942ELNS1_3gpuE9ELNS1_3repE0EEENS1_30default_config_static_selectorELNS0_4arch9wavefront6targetE0EEEvT1_,"axG",@progbits,_ZN7rocprim17ROCPRIM_400000_NS6detail17trampoline_kernelINS0_14default_configENS1_25partition_config_selectorILNS1_17partition_subalgoE5EiNS0_10empty_typeEbEEZZNS1_14partition_implILS5_5ELb0ES3_mN6thrust23THRUST_200600_302600_NS6detail15normal_iteratorINSA_10device_ptrIiEEEEPS6_NSA_18transform_iteratorINSB_9not_fun_tI7is_trueIiEEESF_NSA_11use_defaultESM_EENS0_5tupleIJSF_S6_EEENSO_IJSG_SG_EEES6_PlJS6_EEE10hipError_tPvRmT3_T4_T5_T6_T7_T9_mT8_P12ihipStream_tbDpT10_ENKUlT_T0_E_clISt17integral_constantIbLb0EES1A_IbLb1EEEEDaS16_S17_EUlS16_E_NS1_11comp_targetILNS1_3genE5ELNS1_11target_archE942ELNS1_3gpuE9ELNS1_3repE0EEENS1_30default_config_static_selectorELNS0_4arch9wavefront6targetE0EEEvT1_,comdat
.Lfunc_end1525:
	.size	_ZN7rocprim17ROCPRIM_400000_NS6detail17trampoline_kernelINS0_14default_configENS1_25partition_config_selectorILNS1_17partition_subalgoE5EiNS0_10empty_typeEbEEZZNS1_14partition_implILS5_5ELb0ES3_mN6thrust23THRUST_200600_302600_NS6detail15normal_iteratorINSA_10device_ptrIiEEEEPS6_NSA_18transform_iteratorINSB_9not_fun_tI7is_trueIiEEESF_NSA_11use_defaultESM_EENS0_5tupleIJSF_S6_EEENSO_IJSG_SG_EEES6_PlJS6_EEE10hipError_tPvRmT3_T4_T5_T6_T7_T9_mT8_P12ihipStream_tbDpT10_ENKUlT_T0_E_clISt17integral_constantIbLb0EES1A_IbLb1EEEEDaS16_S17_EUlS16_E_NS1_11comp_targetILNS1_3genE5ELNS1_11target_archE942ELNS1_3gpuE9ELNS1_3repE0EEENS1_30default_config_static_selectorELNS0_4arch9wavefront6targetE0EEEvT1_, .Lfunc_end1525-_ZN7rocprim17ROCPRIM_400000_NS6detail17trampoline_kernelINS0_14default_configENS1_25partition_config_selectorILNS1_17partition_subalgoE5EiNS0_10empty_typeEbEEZZNS1_14partition_implILS5_5ELb0ES3_mN6thrust23THRUST_200600_302600_NS6detail15normal_iteratorINSA_10device_ptrIiEEEEPS6_NSA_18transform_iteratorINSB_9not_fun_tI7is_trueIiEEESF_NSA_11use_defaultESM_EENS0_5tupleIJSF_S6_EEENSO_IJSG_SG_EEES6_PlJS6_EEE10hipError_tPvRmT3_T4_T5_T6_T7_T9_mT8_P12ihipStream_tbDpT10_ENKUlT_T0_E_clISt17integral_constantIbLb0EES1A_IbLb1EEEEDaS16_S17_EUlS16_E_NS1_11comp_targetILNS1_3genE5ELNS1_11target_archE942ELNS1_3gpuE9ELNS1_3repE0EEENS1_30default_config_static_selectorELNS0_4arch9wavefront6targetE0EEEvT1_
                                        ; -- End function
	.set _ZN7rocprim17ROCPRIM_400000_NS6detail17trampoline_kernelINS0_14default_configENS1_25partition_config_selectorILNS1_17partition_subalgoE5EiNS0_10empty_typeEbEEZZNS1_14partition_implILS5_5ELb0ES3_mN6thrust23THRUST_200600_302600_NS6detail15normal_iteratorINSA_10device_ptrIiEEEEPS6_NSA_18transform_iteratorINSB_9not_fun_tI7is_trueIiEEESF_NSA_11use_defaultESM_EENS0_5tupleIJSF_S6_EEENSO_IJSG_SG_EEES6_PlJS6_EEE10hipError_tPvRmT3_T4_T5_T6_T7_T9_mT8_P12ihipStream_tbDpT10_ENKUlT_T0_E_clISt17integral_constantIbLb0EES1A_IbLb1EEEEDaS16_S17_EUlS16_E_NS1_11comp_targetILNS1_3genE5ELNS1_11target_archE942ELNS1_3gpuE9ELNS1_3repE0EEENS1_30default_config_static_selectorELNS0_4arch9wavefront6targetE0EEEvT1_.num_vgpr, 0
	.set _ZN7rocprim17ROCPRIM_400000_NS6detail17trampoline_kernelINS0_14default_configENS1_25partition_config_selectorILNS1_17partition_subalgoE5EiNS0_10empty_typeEbEEZZNS1_14partition_implILS5_5ELb0ES3_mN6thrust23THRUST_200600_302600_NS6detail15normal_iteratorINSA_10device_ptrIiEEEEPS6_NSA_18transform_iteratorINSB_9not_fun_tI7is_trueIiEEESF_NSA_11use_defaultESM_EENS0_5tupleIJSF_S6_EEENSO_IJSG_SG_EEES6_PlJS6_EEE10hipError_tPvRmT3_T4_T5_T6_T7_T9_mT8_P12ihipStream_tbDpT10_ENKUlT_T0_E_clISt17integral_constantIbLb0EES1A_IbLb1EEEEDaS16_S17_EUlS16_E_NS1_11comp_targetILNS1_3genE5ELNS1_11target_archE942ELNS1_3gpuE9ELNS1_3repE0EEENS1_30default_config_static_selectorELNS0_4arch9wavefront6targetE0EEEvT1_.num_agpr, 0
	.set _ZN7rocprim17ROCPRIM_400000_NS6detail17trampoline_kernelINS0_14default_configENS1_25partition_config_selectorILNS1_17partition_subalgoE5EiNS0_10empty_typeEbEEZZNS1_14partition_implILS5_5ELb0ES3_mN6thrust23THRUST_200600_302600_NS6detail15normal_iteratorINSA_10device_ptrIiEEEEPS6_NSA_18transform_iteratorINSB_9not_fun_tI7is_trueIiEEESF_NSA_11use_defaultESM_EENS0_5tupleIJSF_S6_EEENSO_IJSG_SG_EEES6_PlJS6_EEE10hipError_tPvRmT3_T4_T5_T6_T7_T9_mT8_P12ihipStream_tbDpT10_ENKUlT_T0_E_clISt17integral_constantIbLb0EES1A_IbLb1EEEEDaS16_S17_EUlS16_E_NS1_11comp_targetILNS1_3genE5ELNS1_11target_archE942ELNS1_3gpuE9ELNS1_3repE0EEENS1_30default_config_static_selectorELNS0_4arch9wavefront6targetE0EEEvT1_.numbered_sgpr, 0
	.set _ZN7rocprim17ROCPRIM_400000_NS6detail17trampoline_kernelINS0_14default_configENS1_25partition_config_selectorILNS1_17partition_subalgoE5EiNS0_10empty_typeEbEEZZNS1_14partition_implILS5_5ELb0ES3_mN6thrust23THRUST_200600_302600_NS6detail15normal_iteratorINSA_10device_ptrIiEEEEPS6_NSA_18transform_iteratorINSB_9not_fun_tI7is_trueIiEEESF_NSA_11use_defaultESM_EENS0_5tupleIJSF_S6_EEENSO_IJSG_SG_EEES6_PlJS6_EEE10hipError_tPvRmT3_T4_T5_T6_T7_T9_mT8_P12ihipStream_tbDpT10_ENKUlT_T0_E_clISt17integral_constantIbLb0EES1A_IbLb1EEEEDaS16_S17_EUlS16_E_NS1_11comp_targetILNS1_3genE5ELNS1_11target_archE942ELNS1_3gpuE9ELNS1_3repE0EEENS1_30default_config_static_selectorELNS0_4arch9wavefront6targetE0EEEvT1_.num_named_barrier, 0
	.set _ZN7rocprim17ROCPRIM_400000_NS6detail17trampoline_kernelINS0_14default_configENS1_25partition_config_selectorILNS1_17partition_subalgoE5EiNS0_10empty_typeEbEEZZNS1_14partition_implILS5_5ELb0ES3_mN6thrust23THRUST_200600_302600_NS6detail15normal_iteratorINSA_10device_ptrIiEEEEPS6_NSA_18transform_iteratorINSB_9not_fun_tI7is_trueIiEEESF_NSA_11use_defaultESM_EENS0_5tupleIJSF_S6_EEENSO_IJSG_SG_EEES6_PlJS6_EEE10hipError_tPvRmT3_T4_T5_T6_T7_T9_mT8_P12ihipStream_tbDpT10_ENKUlT_T0_E_clISt17integral_constantIbLb0EES1A_IbLb1EEEEDaS16_S17_EUlS16_E_NS1_11comp_targetILNS1_3genE5ELNS1_11target_archE942ELNS1_3gpuE9ELNS1_3repE0EEENS1_30default_config_static_selectorELNS0_4arch9wavefront6targetE0EEEvT1_.private_seg_size, 0
	.set _ZN7rocprim17ROCPRIM_400000_NS6detail17trampoline_kernelINS0_14default_configENS1_25partition_config_selectorILNS1_17partition_subalgoE5EiNS0_10empty_typeEbEEZZNS1_14partition_implILS5_5ELb0ES3_mN6thrust23THRUST_200600_302600_NS6detail15normal_iteratorINSA_10device_ptrIiEEEEPS6_NSA_18transform_iteratorINSB_9not_fun_tI7is_trueIiEEESF_NSA_11use_defaultESM_EENS0_5tupleIJSF_S6_EEENSO_IJSG_SG_EEES6_PlJS6_EEE10hipError_tPvRmT3_T4_T5_T6_T7_T9_mT8_P12ihipStream_tbDpT10_ENKUlT_T0_E_clISt17integral_constantIbLb0EES1A_IbLb1EEEEDaS16_S17_EUlS16_E_NS1_11comp_targetILNS1_3genE5ELNS1_11target_archE942ELNS1_3gpuE9ELNS1_3repE0EEENS1_30default_config_static_selectorELNS0_4arch9wavefront6targetE0EEEvT1_.uses_vcc, 0
	.set _ZN7rocprim17ROCPRIM_400000_NS6detail17trampoline_kernelINS0_14default_configENS1_25partition_config_selectorILNS1_17partition_subalgoE5EiNS0_10empty_typeEbEEZZNS1_14partition_implILS5_5ELb0ES3_mN6thrust23THRUST_200600_302600_NS6detail15normal_iteratorINSA_10device_ptrIiEEEEPS6_NSA_18transform_iteratorINSB_9not_fun_tI7is_trueIiEEESF_NSA_11use_defaultESM_EENS0_5tupleIJSF_S6_EEENSO_IJSG_SG_EEES6_PlJS6_EEE10hipError_tPvRmT3_T4_T5_T6_T7_T9_mT8_P12ihipStream_tbDpT10_ENKUlT_T0_E_clISt17integral_constantIbLb0EES1A_IbLb1EEEEDaS16_S17_EUlS16_E_NS1_11comp_targetILNS1_3genE5ELNS1_11target_archE942ELNS1_3gpuE9ELNS1_3repE0EEENS1_30default_config_static_selectorELNS0_4arch9wavefront6targetE0EEEvT1_.uses_flat_scratch, 0
	.set _ZN7rocprim17ROCPRIM_400000_NS6detail17trampoline_kernelINS0_14default_configENS1_25partition_config_selectorILNS1_17partition_subalgoE5EiNS0_10empty_typeEbEEZZNS1_14partition_implILS5_5ELb0ES3_mN6thrust23THRUST_200600_302600_NS6detail15normal_iteratorINSA_10device_ptrIiEEEEPS6_NSA_18transform_iteratorINSB_9not_fun_tI7is_trueIiEEESF_NSA_11use_defaultESM_EENS0_5tupleIJSF_S6_EEENSO_IJSG_SG_EEES6_PlJS6_EEE10hipError_tPvRmT3_T4_T5_T6_T7_T9_mT8_P12ihipStream_tbDpT10_ENKUlT_T0_E_clISt17integral_constantIbLb0EES1A_IbLb1EEEEDaS16_S17_EUlS16_E_NS1_11comp_targetILNS1_3genE5ELNS1_11target_archE942ELNS1_3gpuE9ELNS1_3repE0EEENS1_30default_config_static_selectorELNS0_4arch9wavefront6targetE0EEEvT1_.has_dyn_sized_stack, 0
	.set _ZN7rocprim17ROCPRIM_400000_NS6detail17trampoline_kernelINS0_14default_configENS1_25partition_config_selectorILNS1_17partition_subalgoE5EiNS0_10empty_typeEbEEZZNS1_14partition_implILS5_5ELb0ES3_mN6thrust23THRUST_200600_302600_NS6detail15normal_iteratorINSA_10device_ptrIiEEEEPS6_NSA_18transform_iteratorINSB_9not_fun_tI7is_trueIiEEESF_NSA_11use_defaultESM_EENS0_5tupleIJSF_S6_EEENSO_IJSG_SG_EEES6_PlJS6_EEE10hipError_tPvRmT3_T4_T5_T6_T7_T9_mT8_P12ihipStream_tbDpT10_ENKUlT_T0_E_clISt17integral_constantIbLb0EES1A_IbLb1EEEEDaS16_S17_EUlS16_E_NS1_11comp_targetILNS1_3genE5ELNS1_11target_archE942ELNS1_3gpuE9ELNS1_3repE0EEENS1_30default_config_static_selectorELNS0_4arch9wavefront6targetE0EEEvT1_.has_recursion, 0
	.set _ZN7rocprim17ROCPRIM_400000_NS6detail17trampoline_kernelINS0_14default_configENS1_25partition_config_selectorILNS1_17partition_subalgoE5EiNS0_10empty_typeEbEEZZNS1_14partition_implILS5_5ELb0ES3_mN6thrust23THRUST_200600_302600_NS6detail15normal_iteratorINSA_10device_ptrIiEEEEPS6_NSA_18transform_iteratorINSB_9not_fun_tI7is_trueIiEEESF_NSA_11use_defaultESM_EENS0_5tupleIJSF_S6_EEENSO_IJSG_SG_EEES6_PlJS6_EEE10hipError_tPvRmT3_T4_T5_T6_T7_T9_mT8_P12ihipStream_tbDpT10_ENKUlT_T0_E_clISt17integral_constantIbLb0EES1A_IbLb1EEEEDaS16_S17_EUlS16_E_NS1_11comp_targetILNS1_3genE5ELNS1_11target_archE942ELNS1_3gpuE9ELNS1_3repE0EEENS1_30default_config_static_selectorELNS0_4arch9wavefront6targetE0EEEvT1_.has_indirect_call, 0
	.section	.AMDGPU.csdata,"",@progbits
; Kernel info:
; codeLenInByte = 0
; TotalNumSgprs: 0
; NumVgprs: 0
; ScratchSize: 0
; MemoryBound: 0
; FloatMode: 240
; IeeeMode: 1
; LDSByteSize: 0 bytes/workgroup (compile time only)
; SGPRBlocks: 0
; VGPRBlocks: 0
; NumSGPRsForWavesPerEU: 1
; NumVGPRsForWavesPerEU: 1
; Occupancy: 16
; WaveLimiterHint : 0
; COMPUTE_PGM_RSRC2:SCRATCH_EN: 0
; COMPUTE_PGM_RSRC2:USER_SGPR: 2
; COMPUTE_PGM_RSRC2:TRAP_HANDLER: 0
; COMPUTE_PGM_RSRC2:TGID_X_EN: 1
; COMPUTE_PGM_RSRC2:TGID_Y_EN: 0
; COMPUTE_PGM_RSRC2:TGID_Z_EN: 0
; COMPUTE_PGM_RSRC2:TIDIG_COMP_CNT: 0
	.section	.text._ZN7rocprim17ROCPRIM_400000_NS6detail17trampoline_kernelINS0_14default_configENS1_25partition_config_selectorILNS1_17partition_subalgoE5EiNS0_10empty_typeEbEEZZNS1_14partition_implILS5_5ELb0ES3_mN6thrust23THRUST_200600_302600_NS6detail15normal_iteratorINSA_10device_ptrIiEEEEPS6_NSA_18transform_iteratorINSB_9not_fun_tI7is_trueIiEEESF_NSA_11use_defaultESM_EENS0_5tupleIJSF_S6_EEENSO_IJSG_SG_EEES6_PlJS6_EEE10hipError_tPvRmT3_T4_T5_T6_T7_T9_mT8_P12ihipStream_tbDpT10_ENKUlT_T0_E_clISt17integral_constantIbLb0EES1A_IbLb1EEEEDaS16_S17_EUlS16_E_NS1_11comp_targetILNS1_3genE4ELNS1_11target_archE910ELNS1_3gpuE8ELNS1_3repE0EEENS1_30default_config_static_selectorELNS0_4arch9wavefront6targetE0EEEvT1_,"axG",@progbits,_ZN7rocprim17ROCPRIM_400000_NS6detail17trampoline_kernelINS0_14default_configENS1_25partition_config_selectorILNS1_17partition_subalgoE5EiNS0_10empty_typeEbEEZZNS1_14partition_implILS5_5ELb0ES3_mN6thrust23THRUST_200600_302600_NS6detail15normal_iteratorINSA_10device_ptrIiEEEEPS6_NSA_18transform_iteratorINSB_9not_fun_tI7is_trueIiEEESF_NSA_11use_defaultESM_EENS0_5tupleIJSF_S6_EEENSO_IJSG_SG_EEES6_PlJS6_EEE10hipError_tPvRmT3_T4_T5_T6_T7_T9_mT8_P12ihipStream_tbDpT10_ENKUlT_T0_E_clISt17integral_constantIbLb0EES1A_IbLb1EEEEDaS16_S17_EUlS16_E_NS1_11comp_targetILNS1_3genE4ELNS1_11target_archE910ELNS1_3gpuE8ELNS1_3repE0EEENS1_30default_config_static_selectorELNS0_4arch9wavefront6targetE0EEEvT1_,comdat
	.protected	_ZN7rocprim17ROCPRIM_400000_NS6detail17trampoline_kernelINS0_14default_configENS1_25partition_config_selectorILNS1_17partition_subalgoE5EiNS0_10empty_typeEbEEZZNS1_14partition_implILS5_5ELb0ES3_mN6thrust23THRUST_200600_302600_NS6detail15normal_iteratorINSA_10device_ptrIiEEEEPS6_NSA_18transform_iteratorINSB_9not_fun_tI7is_trueIiEEESF_NSA_11use_defaultESM_EENS0_5tupleIJSF_S6_EEENSO_IJSG_SG_EEES6_PlJS6_EEE10hipError_tPvRmT3_T4_T5_T6_T7_T9_mT8_P12ihipStream_tbDpT10_ENKUlT_T0_E_clISt17integral_constantIbLb0EES1A_IbLb1EEEEDaS16_S17_EUlS16_E_NS1_11comp_targetILNS1_3genE4ELNS1_11target_archE910ELNS1_3gpuE8ELNS1_3repE0EEENS1_30default_config_static_selectorELNS0_4arch9wavefront6targetE0EEEvT1_ ; -- Begin function _ZN7rocprim17ROCPRIM_400000_NS6detail17trampoline_kernelINS0_14default_configENS1_25partition_config_selectorILNS1_17partition_subalgoE5EiNS0_10empty_typeEbEEZZNS1_14partition_implILS5_5ELb0ES3_mN6thrust23THRUST_200600_302600_NS6detail15normal_iteratorINSA_10device_ptrIiEEEEPS6_NSA_18transform_iteratorINSB_9not_fun_tI7is_trueIiEEESF_NSA_11use_defaultESM_EENS0_5tupleIJSF_S6_EEENSO_IJSG_SG_EEES6_PlJS6_EEE10hipError_tPvRmT3_T4_T5_T6_T7_T9_mT8_P12ihipStream_tbDpT10_ENKUlT_T0_E_clISt17integral_constantIbLb0EES1A_IbLb1EEEEDaS16_S17_EUlS16_E_NS1_11comp_targetILNS1_3genE4ELNS1_11target_archE910ELNS1_3gpuE8ELNS1_3repE0EEENS1_30default_config_static_selectorELNS0_4arch9wavefront6targetE0EEEvT1_
	.globl	_ZN7rocprim17ROCPRIM_400000_NS6detail17trampoline_kernelINS0_14default_configENS1_25partition_config_selectorILNS1_17partition_subalgoE5EiNS0_10empty_typeEbEEZZNS1_14partition_implILS5_5ELb0ES3_mN6thrust23THRUST_200600_302600_NS6detail15normal_iteratorINSA_10device_ptrIiEEEEPS6_NSA_18transform_iteratorINSB_9not_fun_tI7is_trueIiEEESF_NSA_11use_defaultESM_EENS0_5tupleIJSF_S6_EEENSO_IJSG_SG_EEES6_PlJS6_EEE10hipError_tPvRmT3_T4_T5_T6_T7_T9_mT8_P12ihipStream_tbDpT10_ENKUlT_T0_E_clISt17integral_constantIbLb0EES1A_IbLb1EEEEDaS16_S17_EUlS16_E_NS1_11comp_targetILNS1_3genE4ELNS1_11target_archE910ELNS1_3gpuE8ELNS1_3repE0EEENS1_30default_config_static_selectorELNS0_4arch9wavefront6targetE0EEEvT1_
	.p2align	8
	.type	_ZN7rocprim17ROCPRIM_400000_NS6detail17trampoline_kernelINS0_14default_configENS1_25partition_config_selectorILNS1_17partition_subalgoE5EiNS0_10empty_typeEbEEZZNS1_14partition_implILS5_5ELb0ES3_mN6thrust23THRUST_200600_302600_NS6detail15normal_iteratorINSA_10device_ptrIiEEEEPS6_NSA_18transform_iteratorINSB_9not_fun_tI7is_trueIiEEESF_NSA_11use_defaultESM_EENS0_5tupleIJSF_S6_EEENSO_IJSG_SG_EEES6_PlJS6_EEE10hipError_tPvRmT3_T4_T5_T6_T7_T9_mT8_P12ihipStream_tbDpT10_ENKUlT_T0_E_clISt17integral_constantIbLb0EES1A_IbLb1EEEEDaS16_S17_EUlS16_E_NS1_11comp_targetILNS1_3genE4ELNS1_11target_archE910ELNS1_3gpuE8ELNS1_3repE0EEENS1_30default_config_static_selectorELNS0_4arch9wavefront6targetE0EEEvT1_,@function
_ZN7rocprim17ROCPRIM_400000_NS6detail17trampoline_kernelINS0_14default_configENS1_25partition_config_selectorILNS1_17partition_subalgoE5EiNS0_10empty_typeEbEEZZNS1_14partition_implILS5_5ELb0ES3_mN6thrust23THRUST_200600_302600_NS6detail15normal_iteratorINSA_10device_ptrIiEEEEPS6_NSA_18transform_iteratorINSB_9not_fun_tI7is_trueIiEEESF_NSA_11use_defaultESM_EENS0_5tupleIJSF_S6_EEENSO_IJSG_SG_EEES6_PlJS6_EEE10hipError_tPvRmT3_T4_T5_T6_T7_T9_mT8_P12ihipStream_tbDpT10_ENKUlT_T0_E_clISt17integral_constantIbLb0EES1A_IbLb1EEEEDaS16_S17_EUlS16_E_NS1_11comp_targetILNS1_3genE4ELNS1_11target_archE910ELNS1_3gpuE8ELNS1_3repE0EEENS1_30default_config_static_selectorELNS0_4arch9wavefront6targetE0EEEvT1_: ; @_ZN7rocprim17ROCPRIM_400000_NS6detail17trampoline_kernelINS0_14default_configENS1_25partition_config_selectorILNS1_17partition_subalgoE5EiNS0_10empty_typeEbEEZZNS1_14partition_implILS5_5ELb0ES3_mN6thrust23THRUST_200600_302600_NS6detail15normal_iteratorINSA_10device_ptrIiEEEEPS6_NSA_18transform_iteratorINSB_9not_fun_tI7is_trueIiEEESF_NSA_11use_defaultESM_EENS0_5tupleIJSF_S6_EEENSO_IJSG_SG_EEES6_PlJS6_EEE10hipError_tPvRmT3_T4_T5_T6_T7_T9_mT8_P12ihipStream_tbDpT10_ENKUlT_T0_E_clISt17integral_constantIbLb0EES1A_IbLb1EEEEDaS16_S17_EUlS16_E_NS1_11comp_targetILNS1_3genE4ELNS1_11target_archE910ELNS1_3gpuE8ELNS1_3repE0EEENS1_30default_config_static_selectorELNS0_4arch9wavefront6targetE0EEEvT1_
; %bb.0:
	.section	.rodata,"a",@progbits
	.p2align	6, 0x0
	.amdhsa_kernel _ZN7rocprim17ROCPRIM_400000_NS6detail17trampoline_kernelINS0_14default_configENS1_25partition_config_selectorILNS1_17partition_subalgoE5EiNS0_10empty_typeEbEEZZNS1_14partition_implILS5_5ELb0ES3_mN6thrust23THRUST_200600_302600_NS6detail15normal_iteratorINSA_10device_ptrIiEEEEPS6_NSA_18transform_iteratorINSB_9not_fun_tI7is_trueIiEEESF_NSA_11use_defaultESM_EENS0_5tupleIJSF_S6_EEENSO_IJSG_SG_EEES6_PlJS6_EEE10hipError_tPvRmT3_T4_T5_T6_T7_T9_mT8_P12ihipStream_tbDpT10_ENKUlT_T0_E_clISt17integral_constantIbLb0EES1A_IbLb1EEEEDaS16_S17_EUlS16_E_NS1_11comp_targetILNS1_3genE4ELNS1_11target_archE910ELNS1_3gpuE8ELNS1_3repE0EEENS1_30default_config_static_selectorELNS0_4arch9wavefront6targetE0EEEvT1_
		.amdhsa_group_segment_fixed_size 0
		.amdhsa_private_segment_fixed_size 0
		.amdhsa_kernarg_size 136
		.amdhsa_user_sgpr_count 2
		.amdhsa_user_sgpr_dispatch_ptr 0
		.amdhsa_user_sgpr_queue_ptr 0
		.amdhsa_user_sgpr_kernarg_segment_ptr 1
		.amdhsa_user_sgpr_dispatch_id 0
		.amdhsa_user_sgpr_private_segment_size 0
		.amdhsa_wavefront_size32 1
		.amdhsa_uses_dynamic_stack 0
		.amdhsa_enable_private_segment 0
		.amdhsa_system_sgpr_workgroup_id_x 1
		.amdhsa_system_sgpr_workgroup_id_y 0
		.amdhsa_system_sgpr_workgroup_id_z 0
		.amdhsa_system_sgpr_workgroup_info 0
		.amdhsa_system_vgpr_workitem_id 0
		.amdhsa_next_free_vgpr 1
		.amdhsa_next_free_sgpr 1
		.amdhsa_reserve_vcc 0
		.amdhsa_float_round_mode_32 0
		.amdhsa_float_round_mode_16_64 0
		.amdhsa_float_denorm_mode_32 3
		.amdhsa_float_denorm_mode_16_64 3
		.amdhsa_fp16_overflow 0
		.amdhsa_workgroup_processor_mode 1
		.amdhsa_memory_ordered 1
		.amdhsa_forward_progress 1
		.amdhsa_inst_pref_size 0
		.amdhsa_round_robin_scheduling 0
		.amdhsa_exception_fp_ieee_invalid_op 0
		.amdhsa_exception_fp_denorm_src 0
		.amdhsa_exception_fp_ieee_div_zero 0
		.amdhsa_exception_fp_ieee_overflow 0
		.amdhsa_exception_fp_ieee_underflow 0
		.amdhsa_exception_fp_ieee_inexact 0
		.amdhsa_exception_int_div_zero 0
	.end_amdhsa_kernel
	.section	.text._ZN7rocprim17ROCPRIM_400000_NS6detail17trampoline_kernelINS0_14default_configENS1_25partition_config_selectorILNS1_17partition_subalgoE5EiNS0_10empty_typeEbEEZZNS1_14partition_implILS5_5ELb0ES3_mN6thrust23THRUST_200600_302600_NS6detail15normal_iteratorINSA_10device_ptrIiEEEEPS6_NSA_18transform_iteratorINSB_9not_fun_tI7is_trueIiEEESF_NSA_11use_defaultESM_EENS0_5tupleIJSF_S6_EEENSO_IJSG_SG_EEES6_PlJS6_EEE10hipError_tPvRmT3_T4_T5_T6_T7_T9_mT8_P12ihipStream_tbDpT10_ENKUlT_T0_E_clISt17integral_constantIbLb0EES1A_IbLb1EEEEDaS16_S17_EUlS16_E_NS1_11comp_targetILNS1_3genE4ELNS1_11target_archE910ELNS1_3gpuE8ELNS1_3repE0EEENS1_30default_config_static_selectorELNS0_4arch9wavefront6targetE0EEEvT1_,"axG",@progbits,_ZN7rocprim17ROCPRIM_400000_NS6detail17trampoline_kernelINS0_14default_configENS1_25partition_config_selectorILNS1_17partition_subalgoE5EiNS0_10empty_typeEbEEZZNS1_14partition_implILS5_5ELb0ES3_mN6thrust23THRUST_200600_302600_NS6detail15normal_iteratorINSA_10device_ptrIiEEEEPS6_NSA_18transform_iteratorINSB_9not_fun_tI7is_trueIiEEESF_NSA_11use_defaultESM_EENS0_5tupleIJSF_S6_EEENSO_IJSG_SG_EEES6_PlJS6_EEE10hipError_tPvRmT3_T4_T5_T6_T7_T9_mT8_P12ihipStream_tbDpT10_ENKUlT_T0_E_clISt17integral_constantIbLb0EES1A_IbLb1EEEEDaS16_S17_EUlS16_E_NS1_11comp_targetILNS1_3genE4ELNS1_11target_archE910ELNS1_3gpuE8ELNS1_3repE0EEENS1_30default_config_static_selectorELNS0_4arch9wavefront6targetE0EEEvT1_,comdat
.Lfunc_end1526:
	.size	_ZN7rocprim17ROCPRIM_400000_NS6detail17trampoline_kernelINS0_14default_configENS1_25partition_config_selectorILNS1_17partition_subalgoE5EiNS0_10empty_typeEbEEZZNS1_14partition_implILS5_5ELb0ES3_mN6thrust23THRUST_200600_302600_NS6detail15normal_iteratorINSA_10device_ptrIiEEEEPS6_NSA_18transform_iteratorINSB_9not_fun_tI7is_trueIiEEESF_NSA_11use_defaultESM_EENS0_5tupleIJSF_S6_EEENSO_IJSG_SG_EEES6_PlJS6_EEE10hipError_tPvRmT3_T4_T5_T6_T7_T9_mT8_P12ihipStream_tbDpT10_ENKUlT_T0_E_clISt17integral_constantIbLb0EES1A_IbLb1EEEEDaS16_S17_EUlS16_E_NS1_11comp_targetILNS1_3genE4ELNS1_11target_archE910ELNS1_3gpuE8ELNS1_3repE0EEENS1_30default_config_static_selectorELNS0_4arch9wavefront6targetE0EEEvT1_, .Lfunc_end1526-_ZN7rocprim17ROCPRIM_400000_NS6detail17trampoline_kernelINS0_14default_configENS1_25partition_config_selectorILNS1_17partition_subalgoE5EiNS0_10empty_typeEbEEZZNS1_14partition_implILS5_5ELb0ES3_mN6thrust23THRUST_200600_302600_NS6detail15normal_iteratorINSA_10device_ptrIiEEEEPS6_NSA_18transform_iteratorINSB_9not_fun_tI7is_trueIiEEESF_NSA_11use_defaultESM_EENS0_5tupleIJSF_S6_EEENSO_IJSG_SG_EEES6_PlJS6_EEE10hipError_tPvRmT3_T4_T5_T6_T7_T9_mT8_P12ihipStream_tbDpT10_ENKUlT_T0_E_clISt17integral_constantIbLb0EES1A_IbLb1EEEEDaS16_S17_EUlS16_E_NS1_11comp_targetILNS1_3genE4ELNS1_11target_archE910ELNS1_3gpuE8ELNS1_3repE0EEENS1_30default_config_static_selectorELNS0_4arch9wavefront6targetE0EEEvT1_
                                        ; -- End function
	.set _ZN7rocprim17ROCPRIM_400000_NS6detail17trampoline_kernelINS0_14default_configENS1_25partition_config_selectorILNS1_17partition_subalgoE5EiNS0_10empty_typeEbEEZZNS1_14partition_implILS5_5ELb0ES3_mN6thrust23THRUST_200600_302600_NS6detail15normal_iteratorINSA_10device_ptrIiEEEEPS6_NSA_18transform_iteratorINSB_9not_fun_tI7is_trueIiEEESF_NSA_11use_defaultESM_EENS0_5tupleIJSF_S6_EEENSO_IJSG_SG_EEES6_PlJS6_EEE10hipError_tPvRmT3_T4_T5_T6_T7_T9_mT8_P12ihipStream_tbDpT10_ENKUlT_T0_E_clISt17integral_constantIbLb0EES1A_IbLb1EEEEDaS16_S17_EUlS16_E_NS1_11comp_targetILNS1_3genE4ELNS1_11target_archE910ELNS1_3gpuE8ELNS1_3repE0EEENS1_30default_config_static_selectorELNS0_4arch9wavefront6targetE0EEEvT1_.num_vgpr, 0
	.set _ZN7rocprim17ROCPRIM_400000_NS6detail17trampoline_kernelINS0_14default_configENS1_25partition_config_selectorILNS1_17partition_subalgoE5EiNS0_10empty_typeEbEEZZNS1_14partition_implILS5_5ELb0ES3_mN6thrust23THRUST_200600_302600_NS6detail15normal_iteratorINSA_10device_ptrIiEEEEPS6_NSA_18transform_iteratorINSB_9not_fun_tI7is_trueIiEEESF_NSA_11use_defaultESM_EENS0_5tupleIJSF_S6_EEENSO_IJSG_SG_EEES6_PlJS6_EEE10hipError_tPvRmT3_T4_T5_T6_T7_T9_mT8_P12ihipStream_tbDpT10_ENKUlT_T0_E_clISt17integral_constantIbLb0EES1A_IbLb1EEEEDaS16_S17_EUlS16_E_NS1_11comp_targetILNS1_3genE4ELNS1_11target_archE910ELNS1_3gpuE8ELNS1_3repE0EEENS1_30default_config_static_selectorELNS0_4arch9wavefront6targetE0EEEvT1_.num_agpr, 0
	.set _ZN7rocprim17ROCPRIM_400000_NS6detail17trampoline_kernelINS0_14default_configENS1_25partition_config_selectorILNS1_17partition_subalgoE5EiNS0_10empty_typeEbEEZZNS1_14partition_implILS5_5ELb0ES3_mN6thrust23THRUST_200600_302600_NS6detail15normal_iteratorINSA_10device_ptrIiEEEEPS6_NSA_18transform_iteratorINSB_9not_fun_tI7is_trueIiEEESF_NSA_11use_defaultESM_EENS0_5tupleIJSF_S6_EEENSO_IJSG_SG_EEES6_PlJS6_EEE10hipError_tPvRmT3_T4_T5_T6_T7_T9_mT8_P12ihipStream_tbDpT10_ENKUlT_T0_E_clISt17integral_constantIbLb0EES1A_IbLb1EEEEDaS16_S17_EUlS16_E_NS1_11comp_targetILNS1_3genE4ELNS1_11target_archE910ELNS1_3gpuE8ELNS1_3repE0EEENS1_30default_config_static_selectorELNS0_4arch9wavefront6targetE0EEEvT1_.numbered_sgpr, 0
	.set _ZN7rocprim17ROCPRIM_400000_NS6detail17trampoline_kernelINS0_14default_configENS1_25partition_config_selectorILNS1_17partition_subalgoE5EiNS0_10empty_typeEbEEZZNS1_14partition_implILS5_5ELb0ES3_mN6thrust23THRUST_200600_302600_NS6detail15normal_iteratorINSA_10device_ptrIiEEEEPS6_NSA_18transform_iteratorINSB_9not_fun_tI7is_trueIiEEESF_NSA_11use_defaultESM_EENS0_5tupleIJSF_S6_EEENSO_IJSG_SG_EEES6_PlJS6_EEE10hipError_tPvRmT3_T4_T5_T6_T7_T9_mT8_P12ihipStream_tbDpT10_ENKUlT_T0_E_clISt17integral_constantIbLb0EES1A_IbLb1EEEEDaS16_S17_EUlS16_E_NS1_11comp_targetILNS1_3genE4ELNS1_11target_archE910ELNS1_3gpuE8ELNS1_3repE0EEENS1_30default_config_static_selectorELNS0_4arch9wavefront6targetE0EEEvT1_.num_named_barrier, 0
	.set _ZN7rocprim17ROCPRIM_400000_NS6detail17trampoline_kernelINS0_14default_configENS1_25partition_config_selectorILNS1_17partition_subalgoE5EiNS0_10empty_typeEbEEZZNS1_14partition_implILS5_5ELb0ES3_mN6thrust23THRUST_200600_302600_NS6detail15normal_iteratorINSA_10device_ptrIiEEEEPS6_NSA_18transform_iteratorINSB_9not_fun_tI7is_trueIiEEESF_NSA_11use_defaultESM_EENS0_5tupleIJSF_S6_EEENSO_IJSG_SG_EEES6_PlJS6_EEE10hipError_tPvRmT3_T4_T5_T6_T7_T9_mT8_P12ihipStream_tbDpT10_ENKUlT_T0_E_clISt17integral_constantIbLb0EES1A_IbLb1EEEEDaS16_S17_EUlS16_E_NS1_11comp_targetILNS1_3genE4ELNS1_11target_archE910ELNS1_3gpuE8ELNS1_3repE0EEENS1_30default_config_static_selectorELNS0_4arch9wavefront6targetE0EEEvT1_.private_seg_size, 0
	.set _ZN7rocprim17ROCPRIM_400000_NS6detail17trampoline_kernelINS0_14default_configENS1_25partition_config_selectorILNS1_17partition_subalgoE5EiNS0_10empty_typeEbEEZZNS1_14partition_implILS5_5ELb0ES3_mN6thrust23THRUST_200600_302600_NS6detail15normal_iteratorINSA_10device_ptrIiEEEEPS6_NSA_18transform_iteratorINSB_9not_fun_tI7is_trueIiEEESF_NSA_11use_defaultESM_EENS0_5tupleIJSF_S6_EEENSO_IJSG_SG_EEES6_PlJS6_EEE10hipError_tPvRmT3_T4_T5_T6_T7_T9_mT8_P12ihipStream_tbDpT10_ENKUlT_T0_E_clISt17integral_constantIbLb0EES1A_IbLb1EEEEDaS16_S17_EUlS16_E_NS1_11comp_targetILNS1_3genE4ELNS1_11target_archE910ELNS1_3gpuE8ELNS1_3repE0EEENS1_30default_config_static_selectorELNS0_4arch9wavefront6targetE0EEEvT1_.uses_vcc, 0
	.set _ZN7rocprim17ROCPRIM_400000_NS6detail17trampoline_kernelINS0_14default_configENS1_25partition_config_selectorILNS1_17partition_subalgoE5EiNS0_10empty_typeEbEEZZNS1_14partition_implILS5_5ELb0ES3_mN6thrust23THRUST_200600_302600_NS6detail15normal_iteratorINSA_10device_ptrIiEEEEPS6_NSA_18transform_iteratorINSB_9not_fun_tI7is_trueIiEEESF_NSA_11use_defaultESM_EENS0_5tupleIJSF_S6_EEENSO_IJSG_SG_EEES6_PlJS6_EEE10hipError_tPvRmT3_T4_T5_T6_T7_T9_mT8_P12ihipStream_tbDpT10_ENKUlT_T0_E_clISt17integral_constantIbLb0EES1A_IbLb1EEEEDaS16_S17_EUlS16_E_NS1_11comp_targetILNS1_3genE4ELNS1_11target_archE910ELNS1_3gpuE8ELNS1_3repE0EEENS1_30default_config_static_selectorELNS0_4arch9wavefront6targetE0EEEvT1_.uses_flat_scratch, 0
	.set _ZN7rocprim17ROCPRIM_400000_NS6detail17trampoline_kernelINS0_14default_configENS1_25partition_config_selectorILNS1_17partition_subalgoE5EiNS0_10empty_typeEbEEZZNS1_14partition_implILS5_5ELb0ES3_mN6thrust23THRUST_200600_302600_NS6detail15normal_iteratorINSA_10device_ptrIiEEEEPS6_NSA_18transform_iteratorINSB_9not_fun_tI7is_trueIiEEESF_NSA_11use_defaultESM_EENS0_5tupleIJSF_S6_EEENSO_IJSG_SG_EEES6_PlJS6_EEE10hipError_tPvRmT3_T4_T5_T6_T7_T9_mT8_P12ihipStream_tbDpT10_ENKUlT_T0_E_clISt17integral_constantIbLb0EES1A_IbLb1EEEEDaS16_S17_EUlS16_E_NS1_11comp_targetILNS1_3genE4ELNS1_11target_archE910ELNS1_3gpuE8ELNS1_3repE0EEENS1_30default_config_static_selectorELNS0_4arch9wavefront6targetE0EEEvT1_.has_dyn_sized_stack, 0
	.set _ZN7rocprim17ROCPRIM_400000_NS6detail17trampoline_kernelINS0_14default_configENS1_25partition_config_selectorILNS1_17partition_subalgoE5EiNS0_10empty_typeEbEEZZNS1_14partition_implILS5_5ELb0ES3_mN6thrust23THRUST_200600_302600_NS6detail15normal_iteratorINSA_10device_ptrIiEEEEPS6_NSA_18transform_iteratorINSB_9not_fun_tI7is_trueIiEEESF_NSA_11use_defaultESM_EENS0_5tupleIJSF_S6_EEENSO_IJSG_SG_EEES6_PlJS6_EEE10hipError_tPvRmT3_T4_T5_T6_T7_T9_mT8_P12ihipStream_tbDpT10_ENKUlT_T0_E_clISt17integral_constantIbLb0EES1A_IbLb1EEEEDaS16_S17_EUlS16_E_NS1_11comp_targetILNS1_3genE4ELNS1_11target_archE910ELNS1_3gpuE8ELNS1_3repE0EEENS1_30default_config_static_selectorELNS0_4arch9wavefront6targetE0EEEvT1_.has_recursion, 0
	.set _ZN7rocprim17ROCPRIM_400000_NS6detail17trampoline_kernelINS0_14default_configENS1_25partition_config_selectorILNS1_17partition_subalgoE5EiNS0_10empty_typeEbEEZZNS1_14partition_implILS5_5ELb0ES3_mN6thrust23THRUST_200600_302600_NS6detail15normal_iteratorINSA_10device_ptrIiEEEEPS6_NSA_18transform_iteratorINSB_9not_fun_tI7is_trueIiEEESF_NSA_11use_defaultESM_EENS0_5tupleIJSF_S6_EEENSO_IJSG_SG_EEES6_PlJS6_EEE10hipError_tPvRmT3_T4_T5_T6_T7_T9_mT8_P12ihipStream_tbDpT10_ENKUlT_T0_E_clISt17integral_constantIbLb0EES1A_IbLb1EEEEDaS16_S17_EUlS16_E_NS1_11comp_targetILNS1_3genE4ELNS1_11target_archE910ELNS1_3gpuE8ELNS1_3repE0EEENS1_30default_config_static_selectorELNS0_4arch9wavefront6targetE0EEEvT1_.has_indirect_call, 0
	.section	.AMDGPU.csdata,"",@progbits
; Kernel info:
; codeLenInByte = 0
; TotalNumSgprs: 0
; NumVgprs: 0
; ScratchSize: 0
; MemoryBound: 0
; FloatMode: 240
; IeeeMode: 1
; LDSByteSize: 0 bytes/workgroup (compile time only)
; SGPRBlocks: 0
; VGPRBlocks: 0
; NumSGPRsForWavesPerEU: 1
; NumVGPRsForWavesPerEU: 1
; Occupancy: 16
; WaveLimiterHint : 0
; COMPUTE_PGM_RSRC2:SCRATCH_EN: 0
; COMPUTE_PGM_RSRC2:USER_SGPR: 2
; COMPUTE_PGM_RSRC2:TRAP_HANDLER: 0
; COMPUTE_PGM_RSRC2:TGID_X_EN: 1
; COMPUTE_PGM_RSRC2:TGID_Y_EN: 0
; COMPUTE_PGM_RSRC2:TGID_Z_EN: 0
; COMPUTE_PGM_RSRC2:TIDIG_COMP_CNT: 0
	.section	.text._ZN7rocprim17ROCPRIM_400000_NS6detail17trampoline_kernelINS0_14default_configENS1_25partition_config_selectorILNS1_17partition_subalgoE5EiNS0_10empty_typeEbEEZZNS1_14partition_implILS5_5ELb0ES3_mN6thrust23THRUST_200600_302600_NS6detail15normal_iteratorINSA_10device_ptrIiEEEEPS6_NSA_18transform_iteratorINSB_9not_fun_tI7is_trueIiEEESF_NSA_11use_defaultESM_EENS0_5tupleIJSF_S6_EEENSO_IJSG_SG_EEES6_PlJS6_EEE10hipError_tPvRmT3_T4_T5_T6_T7_T9_mT8_P12ihipStream_tbDpT10_ENKUlT_T0_E_clISt17integral_constantIbLb0EES1A_IbLb1EEEEDaS16_S17_EUlS16_E_NS1_11comp_targetILNS1_3genE3ELNS1_11target_archE908ELNS1_3gpuE7ELNS1_3repE0EEENS1_30default_config_static_selectorELNS0_4arch9wavefront6targetE0EEEvT1_,"axG",@progbits,_ZN7rocprim17ROCPRIM_400000_NS6detail17trampoline_kernelINS0_14default_configENS1_25partition_config_selectorILNS1_17partition_subalgoE5EiNS0_10empty_typeEbEEZZNS1_14partition_implILS5_5ELb0ES3_mN6thrust23THRUST_200600_302600_NS6detail15normal_iteratorINSA_10device_ptrIiEEEEPS6_NSA_18transform_iteratorINSB_9not_fun_tI7is_trueIiEEESF_NSA_11use_defaultESM_EENS0_5tupleIJSF_S6_EEENSO_IJSG_SG_EEES6_PlJS6_EEE10hipError_tPvRmT3_T4_T5_T6_T7_T9_mT8_P12ihipStream_tbDpT10_ENKUlT_T0_E_clISt17integral_constantIbLb0EES1A_IbLb1EEEEDaS16_S17_EUlS16_E_NS1_11comp_targetILNS1_3genE3ELNS1_11target_archE908ELNS1_3gpuE7ELNS1_3repE0EEENS1_30default_config_static_selectorELNS0_4arch9wavefront6targetE0EEEvT1_,comdat
	.protected	_ZN7rocprim17ROCPRIM_400000_NS6detail17trampoline_kernelINS0_14default_configENS1_25partition_config_selectorILNS1_17partition_subalgoE5EiNS0_10empty_typeEbEEZZNS1_14partition_implILS5_5ELb0ES3_mN6thrust23THRUST_200600_302600_NS6detail15normal_iteratorINSA_10device_ptrIiEEEEPS6_NSA_18transform_iteratorINSB_9not_fun_tI7is_trueIiEEESF_NSA_11use_defaultESM_EENS0_5tupleIJSF_S6_EEENSO_IJSG_SG_EEES6_PlJS6_EEE10hipError_tPvRmT3_T4_T5_T6_T7_T9_mT8_P12ihipStream_tbDpT10_ENKUlT_T0_E_clISt17integral_constantIbLb0EES1A_IbLb1EEEEDaS16_S17_EUlS16_E_NS1_11comp_targetILNS1_3genE3ELNS1_11target_archE908ELNS1_3gpuE7ELNS1_3repE0EEENS1_30default_config_static_selectorELNS0_4arch9wavefront6targetE0EEEvT1_ ; -- Begin function _ZN7rocprim17ROCPRIM_400000_NS6detail17trampoline_kernelINS0_14default_configENS1_25partition_config_selectorILNS1_17partition_subalgoE5EiNS0_10empty_typeEbEEZZNS1_14partition_implILS5_5ELb0ES3_mN6thrust23THRUST_200600_302600_NS6detail15normal_iteratorINSA_10device_ptrIiEEEEPS6_NSA_18transform_iteratorINSB_9not_fun_tI7is_trueIiEEESF_NSA_11use_defaultESM_EENS0_5tupleIJSF_S6_EEENSO_IJSG_SG_EEES6_PlJS6_EEE10hipError_tPvRmT3_T4_T5_T6_T7_T9_mT8_P12ihipStream_tbDpT10_ENKUlT_T0_E_clISt17integral_constantIbLb0EES1A_IbLb1EEEEDaS16_S17_EUlS16_E_NS1_11comp_targetILNS1_3genE3ELNS1_11target_archE908ELNS1_3gpuE7ELNS1_3repE0EEENS1_30default_config_static_selectorELNS0_4arch9wavefront6targetE0EEEvT1_
	.globl	_ZN7rocprim17ROCPRIM_400000_NS6detail17trampoline_kernelINS0_14default_configENS1_25partition_config_selectorILNS1_17partition_subalgoE5EiNS0_10empty_typeEbEEZZNS1_14partition_implILS5_5ELb0ES3_mN6thrust23THRUST_200600_302600_NS6detail15normal_iteratorINSA_10device_ptrIiEEEEPS6_NSA_18transform_iteratorINSB_9not_fun_tI7is_trueIiEEESF_NSA_11use_defaultESM_EENS0_5tupleIJSF_S6_EEENSO_IJSG_SG_EEES6_PlJS6_EEE10hipError_tPvRmT3_T4_T5_T6_T7_T9_mT8_P12ihipStream_tbDpT10_ENKUlT_T0_E_clISt17integral_constantIbLb0EES1A_IbLb1EEEEDaS16_S17_EUlS16_E_NS1_11comp_targetILNS1_3genE3ELNS1_11target_archE908ELNS1_3gpuE7ELNS1_3repE0EEENS1_30default_config_static_selectorELNS0_4arch9wavefront6targetE0EEEvT1_
	.p2align	8
	.type	_ZN7rocprim17ROCPRIM_400000_NS6detail17trampoline_kernelINS0_14default_configENS1_25partition_config_selectorILNS1_17partition_subalgoE5EiNS0_10empty_typeEbEEZZNS1_14partition_implILS5_5ELb0ES3_mN6thrust23THRUST_200600_302600_NS6detail15normal_iteratorINSA_10device_ptrIiEEEEPS6_NSA_18transform_iteratorINSB_9not_fun_tI7is_trueIiEEESF_NSA_11use_defaultESM_EENS0_5tupleIJSF_S6_EEENSO_IJSG_SG_EEES6_PlJS6_EEE10hipError_tPvRmT3_T4_T5_T6_T7_T9_mT8_P12ihipStream_tbDpT10_ENKUlT_T0_E_clISt17integral_constantIbLb0EES1A_IbLb1EEEEDaS16_S17_EUlS16_E_NS1_11comp_targetILNS1_3genE3ELNS1_11target_archE908ELNS1_3gpuE7ELNS1_3repE0EEENS1_30default_config_static_selectorELNS0_4arch9wavefront6targetE0EEEvT1_,@function
_ZN7rocprim17ROCPRIM_400000_NS6detail17trampoline_kernelINS0_14default_configENS1_25partition_config_selectorILNS1_17partition_subalgoE5EiNS0_10empty_typeEbEEZZNS1_14partition_implILS5_5ELb0ES3_mN6thrust23THRUST_200600_302600_NS6detail15normal_iteratorINSA_10device_ptrIiEEEEPS6_NSA_18transform_iteratorINSB_9not_fun_tI7is_trueIiEEESF_NSA_11use_defaultESM_EENS0_5tupleIJSF_S6_EEENSO_IJSG_SG_EEES6_PlJS6_EEE10hipError_tPvRmT3_T4_T5_T6_T7_T9_mT8_P12ihipStream_tbDpT10_ENKUlT_T0_E_clISt17integral_constantIbLb0EES1A_IbLb1EEEEDaS16_S17_EUlS16_E_NS1_11comp_targetILNS1_3genE3ELNS1_11target_archE908ELNS1_3gpuE7ELNS1_3repE0EEENS1_30default_config_static_selectorELNS0_4arch9wavefront6targetE0EEEvT1_: ; @_ZN7rocprim17ROCPRIM_400000_NS6detail17trampoline_kernelINS0_14default_configENS1_25partition_config_selectorILNS1_17partition_subalgoE5EiNS0_10empty_typeEbEEZZNS1_14partition_implILS5_5ELb0ES3_mN6thrust23THRUST_200600_302600_NS6detail15normal_iteratorINSA_10device_ptrIiEEEEPS6_NSA_18transform_iteratorINSB_9not_fun_tI7is_trueIiEEESF_NSA_11use_defaultESM_EENS0_5tupleIJSF_S6_EEENSO_IJSG_SG_EEES6_PlJS6_EEE10hipError_tPvRmT3_T4_T5_T6_T7_T9_mT8_P12ihipStream_tbDpT10_ENKUlT_T0_E_clISt17integral_constantIbLb0EES1A_IbLb1EEEEDaS16_S17_EUlS16_E_NS1_11comp_targetILNS1_3genE3ELNS1_11target_archE908ELNS1_3gpuE7ELNS1_3repE0EEENS1_30default_config_static_selectorELNS0_4arch9wavefront6targetE0EEEvT1_
; %bb.0:
	.section	.rodata,"a",@progbits
	.p2align	6, 0x0
	.amdhsa_kernel _ZN7rocprim17ROCPRIM_400000_NS6detail17trampoline_kernelINS0_14default_configENS1_25partition_config_selectorILNS1_17partition_subalgoE5EiNS0_10empty_typeEbEEZZNS1_14partition_implILS5_5ELb0ES3_mN6thrust23THRUST_200600_302600_NS6detail15normal_iteratorINSA_10device_ptrIiEEEEPS6_NSA_18transform_iteratorINSB_9not_fun_tI7is_trueIiEEESF_NSA_11use_defaultESM_EENS0_5tupleIJSF_S6_EEENSO_IJSG_SG_EEES6_PlJS6_EEE10hipError_tPvRmT3_T4_T5_T6_T7_T9_mT8_P12ihipStream_tbDpT10_ENKUlT_T0_E_clISt17integral_constantIbLb0EES1A_IbLb1EEEEDaS16_S17_EUlS16_E_NS1_11comp_targetILNS1_3genE3ELNS1_11target_archE908ELNS1_3gpuE7ELNS1_3repE0EEENS1_30default_config_static_selectorELNS0_4arch9wavefront6targetE0EEEvT1_
		.amdhsa_group_segment_fixed_size 0
		.amdhsa_private_segment_fixed_size 0
		.amdhsa_kernarg_size 136
		.amdhsa_user_sgpr_count 2
		.amdhsa_user_sgpr_dispatch_ptr 0
		.amdhsa_user_sgpr_queue_ptr 0
		.amdhsa_user_sgpr_kernarg_segment_ptr 1
		.amdhsa_user_sgpr_dispatch_id 0
		.amdhsa_user_sgpr_private_segment_size 0
		.amdhsa_wavefront_size32 1
		.amdhsa_uses_dynamic_stack 0
		.amdhsa_enable_private_segment 0
		.amdhsa_system_sgpr_workgroup_id_x 1
		.amdhsa_system_sgpr_workgroup_id_y 0
		.amdhsa_system_sgpr_workgroup_id_z 0
		.amdhsa_system_sgpr_workgroup_info 0
		.amdhsa_system_vgpr_workitem_id 0
		.amdhsa_next_free_vgpr 1
		.amdhsa_next_free_sgpr 1
		.amdhsa_reserve_vcc 0
		.amdhsa_float_round_mode_32 0
		.amdhsa_float_round_mode_16_64 0
		.amdhsa_float_denorm_mode_32 3
		.amdhsa_float_denorm_mode_16_64 3
		.amdhsa_fp16_overflow 0
		.amdhsa_workgroup_processor_mode 1
		.amdhsa_memory_ordered 1
		.amdhsa_forward_progress 1
		.amdhsa_inst_pref_size 0
		.amdhsa_round_robin_scheduling 0
		.amdhsa_exception_fp_ieee_invalid_op 0
		.amdhsa_exception_fp_denorm_src 0
		.amdhsa_exception_fp_ieee_div_zero 0
		.amdhsa_exception_fp_ieee_overflow 0
		.amdhsa_exception_fp_ieee_underflow 0
		.amdhsa_exception_fp_ieee_inexact 0
		.amdhsa_exception_int_div_zero 0
	.end_amdhsa_kernel
	.section	.text._ZN7rocprim17ROCPRIM_400000_NS6detail17trampoline_kernelINS0_14default_configENS1_25partition_config_selectorILNS1_17partition_subalgoE5EiNS0_10empty_typeEbEEZZNS1_14partition_implILS5_5ELb0ES3_mN6thrust23THRUST_200600_302600_NS6detail15normal_iteratorINSA_10device_ptrIiEEEEPS6_NSA_18transform_iteratorINSB_9not_fun_tI7is_trueIiEEESF_NSA_11use_defaultESM_EENS0_5tupleIJSF_S6_EEENSO_IJSG_SG_EEES6_PlJS6_EEE10hipError_tPvRmT3_T4_T5_T6_T7_T9_mT8_P12ihipStream_tbDpT10_ENKUlT_T0_E_clISt17integral_constantIbLb0EES1A_IbLb1EEEEDaS16_S17_EUlS16_E_NS1_11comp_targetILNS1_3genE3ELNS1_11target_archE908ELNS1_3gpuE7ELNS1_3repE0EEENS1_30default_config_static_selectorELNS0_4arch9wavefront6targetE0EEEvT1_,"axG",@progbits,_ZN7rocprim17ROCPRIM_400000_NS6detail17trampoline_kernelINS0_14default_configENS1_25partition_config_selectorILNS1_17partition_subalgoE5EiNS0_10empty_typeEbEEZZNS1_14partition_implILS5_5ELb0ES3_mN6thrust23THRUST_200600_302600_NS6detail15normal_iteratorINSA_10device_ptrIiEEEEPS6_NSA_18transform_iteratorINSB_9not_fun_tI7is_trueIiEEESF_NSA_11use_defaultESM_EENS0_5tupleIJSF_S6_EEENSO_IJSG_SG_EEES6_PlJS6_EEE10hipError_tPvRmT3_T4_T5_T6_T7_T9_mT8_P12ihipStream_tbDpT10_ENKUlT_T0_E_clISt17integral_constantIbLb0EES1A_IbLb1EEEEDaS16_S17_EUlS16_E_NS1_11comp_targetILNS1_3genE3ELNS1_11target_archE908ELNS1_3gpuE7ELNS1_3repE0EEENS1_30default_config_static_selectorELNS0_4arch9wavefront6targetE0EEEvT1_,comdat
.Lfunc_end1527:
	.size	_ZN7rocprim17ROCPRIM_400000_NS6detail17trampoline_kernelINS0_14default_configENS1_25partition_config_selectorILNS1_17partition_subalgoE5EiNS0_10empty_typeEbEEZZNS1_14partition_implILS5_5ELb0ES3_mN6thrust23THRUST_200600_302600_NS6detail15normal_iteratorINSA_10device_ptrIiEEEEPS6_NSA_18transform_iteratorINSB_9not_fun_tI7is_trueIiEEESF_NSA_11use_defaultESM_EENS0_5tupleIJSF_S6_EEENSO_IJSG_SG_EEES6_PlJS6_EEE10hipError_tPvRmT3_T4_T5_T6_T7_T9_mT8_P12ihipStream_tbDpT10_ENKUlT_T0_E_clISt17integral_constantIbLb0EES1A_IbLb1EEEEDaS16_S17_EUlS16_E_NS1_11comp_targetILNS1_3genE3ELNS1_11target_archE908ELNS1_3gpuE7ELNS1_3repE0EEENS1_30default_config_static_selectorELNS0_4arch9wavefront6targetE0EEEvT1_, .Lfunc_end1527-_ZN7rocprim17ROCPRIM_400000_NS6detail17trampoline_kernelINS0_14default_configENS1_25partition_config_selectorILNS1_17partition_subalgoE5EiNS0_10empty_typeEbEEZZNS1_14partition_implILS5_5ELb0ES3_mN6thrust23THRUST_200600_302600_NS6detail15normal_iteratorINSA_10device_ptrIiEEEEPS6_NSA_18transform_iteratorINSB_9not_fun_tI7is_trueIiEEESF_NSA_11use_defaultESM_EENS0_5tupleIJSF_S6_EEENSO_IJSG_SG_EEES6_PlJS6_EEE10hipError_tPvRmT3_T4_T5_T6_T7_T9_mT8_P12ihipStream_tbDpT10_ENKUlT_T0_E_clISt17integral_constantIbLb0EES1A_IbLb1EEEEDaS16_S17_EUlS16_E_NS1_11comp_targetILNS1_3genE3ELNS1_11target_archE908ELNS1_3gpuE7ELNS1_3repE0EEENS1_30default_config_static_selectorELNS0_4arch9wavefront6targetE0EEEvT1_
                                        ; -- End function
	.set _ZN7rocprim17ROCPRIM_400000_NS6detail17trampoline_kernelINS0_14default_configENS1_25partition_config_selectorILNS1_17partition_subalgoE5EiNS0_10empty_typeEbEEZZNS1_14partition_implILS5_5ELb0ES3_mN6thrust23THRUST_200600_302600_NS6detail15normal_iteratorINSA_10device_ptrIiEEEEPS6_NSA_18transform_iteratorINSB_9not_fun_tI7is_trueIiEEESF_NSA_11use_defaultESM_EENS0_5tupleIJSF_S6_EEENSO_IJSG_SG_EEES6_PlJS6_EEE10hipError_tPvRmT3_T4_T5_T6_T7_T9_mT8_P12ihipStream_tbDpT10_ENKUlT_T0_E_clISt17integral_constantIbLb0EES1A_IbLb1EEEEDaS16_S17_EUlS16_E_NS1_11comp_targetILNS1_3genE3ELNS1_11target_archE908ELNS1_3gpuE7ELNS1_3repE0EEENS1_30default_config_static_selectorELNS0_4arch9wavefront6targetE0EEEvT1_.num_vgpr, 0
	.set _ZN7rocprim17ROCPRIM_400000_NS6detail17trampoline_kernelINS0_14default_configENS1_25partition_config_selectorILNS1_17partition_subalgoE5EiNS0_10empty_typeEbEEZZNS1_14partition_implILS5_5ELb0ES3_mN6thrust23THRUST_200600_302600_NS6detail15normal_iteratorINSA_10device_ptrIiEEEEPS6_NSA_18transform_iteratorINSB_9not_fun_tI7is_trueIiEEESF_NSA_11use_defaultESM_EENS0_5tupleIJSF_S6_EEENSO_IJSG_SG_EEES6_PlJS6_EEE10hipError_tPvRmT3_T4_T5_T6_T7_T9_mT8_P12ihipStream_tbDpT10_ENKUlT_T0_E_clISt17integral_constantIbLb0EES1A_IbLb1EEEEDaS16_S17_EUlS16_E_NS1_11comp_targetILNS1_3genE3ELNS1_11target_archE908ELNS1_3gpuE7ELNS1_3repE0EEENS1_30default_config_static_selectorELNS0_4arch9wavefront6targetE0EEEvT1_.num_agpr, 0
	.set _ZN7rocprim17ROCPRIM_400000_NS6detail17trampoline_kernelINS0_14default_configENS1_25partition_config_selectorILNS1_17partition_subalgoE5EiNS0_10empty_typeEbEEZZNS1_14partition_implILS5_5ELb0ES3_mN6thrust23THRUST_200600_302600_NS6detail15normal_iteratorINSA_10device_ptrIiEEEEPS6_NSA_18transform_iteratorINSB_9not_fun_tI7is_trueIiEEESF_NSA_11use_defaultESM_EENS0_5tupleIJSF_S6_EEENSO_IJSG_SG_EEES6_PlJS6_EEE10hipError_tPvRmT3_T4_T5_T6_T7_T9_mT8_P12ihipStream_tbDpT10_ENKUlT_T0_E_clISt17integral_constantIbLb0EES1A_IbLb1EEEEDaS16_S17_EUlS16_E_NS1_11comp_targetILNS1_3genE3ELNS1_11target_archE908ELNS1_3gpuE7ELNS1_3repE0EEENS1_30default_config_static_selectorELNS0_4arch9wavefront6targetE0EEEvT1_.numbered_sgpr, 0
	.set _ZN7rocprim17ROCPRIM_400000_NS6detail17trampoline_kernelINS0_14default_configENS1_25partition_config_selectorILNS1_17partition_subalgoE5EiNS0_10empty_typeEbEEZZNS1_14partition_implILS5_5ELb0ES3_mN6thrust23THRUST_200600_302600_NS6detail15normal_iteratorINSA_10device_ptrIiEEEEPS6_NSA_18transform_iteratorINSB_9not_fun_tI7is_trueIiEEESF_NSA_11use_defaultESM_EENS0_5tupleIJSF_S6_EEENSO_IJSG_SG_EEES6_PlJS6_EEE10hipError_tPvRmT3_T4_T5_T6_T7_T9_mT8_P12ihipStream_tbDpT10_ENKUlT_T0_E_clISt17integral_constantIbLb0EES1A_IbLb1EEEEDaS16_S17_EUlS16_E_NS1_11comp_targetILNS1_3genE3ELNS1_11target_archE908ELNS1_3gpuE7ELNS1_3repE0EEENS1_30default_config_static_selectorELNS0_4arch9wavefront6targetE0EEEvT1_.num_named_barrier, 0
	.set _ZN7rocprim17ROCPRIM_400000_NS6detail17trampoline_kernelINS0_14default_configENS1_25partition_config_selectorILNS1_17partition_subalgoE5EiNS0_10empty_typeEbEEZZNS1_14partition_implILS5_5ELb0ES3_mN6thrust23THRUST_200600_302600_NS6detail15normal_iteratorINSA_10device_ptrIiEEEEPS6_NSA_18transform_iteratorINSB_9not_fun_tI7is_trueIiEEESF_NSA_11use_defaultESM_EENS0_5tupleIJSF_S6_EEENSO_IJSG_SG_EEES6_PlJS6_EEE10hipError_tPvRmT3_T4_T5_T6_T7_T9_mT8_P12ihipStream_tbDpT10_ENKUlT_T0_E_clISt17integral_constantIbLb0EES1A_IbLb1EEEEDaS16_S17_EUlS16_E_NS1_11comp_targetILNS1_3genE3ELNS1_11target_archE908ELNS1_3gpuE7ELNS1_3repE0EEENS1_30default_config_static_selectorELNS0_4arch9wavefront6targetE0EEEvT1_.private_seg_size, 0
	.set _ZN7rocprim17ROCPRIM_400000_NS6detail17trampoline_kernelINS0_14default_configENS1_25partition_config_selectorILNS1_17partition_subalgoE5EiNS0_10empty_typeEbEEZZNS1_14partition_implILS5_5ELb0ES3_mN6thrust23THRUST_200600_302600_NS6detail15normal_iteratorINSA_10device_ptrIiEEEEPS6_NSA_18transform_iteratorINSB_9not_fun_tI7is_trueIiEEESF_NSA_11use_defaultESM_EENS0_5tupleIJSF_S6_EEENSO_IJSG_SG_EEES6_PlJS6_EEE10hipError_tPvRmT3_T4_T5_T6_T7_T9_mT8_P12ihipStream_tbDpT10_ENKUlT_T0_E_clISt17integral_constantIbLb0EES1A_IbLb1EEEEDaS16_S17_EUlS16_E_NS1_11comp_targetILNS1_3genE3ELNS1_11target_archE908ELNS1_3gpuE7ELNS1_3repE0EEENS1_30default_config_static_selectorELNS0_4arch9wavefront6targetE0EEEvT1_.uses_vcc, 0
	.set _ZN7rocprim17ROCPRIM_400000_NS6detail17trampoline_kernelINS0_14default_configENS1_25partition_config_selectorILNS1_17partition_subalgoE5EiNS0_10empty_typeEbEEZZNS1_14partition_implILS5_5ELb0ES3_mN6thrust23THRUST_200600_302600_NS6detail15normal_iteratorINSA_10device_ptrIiEEEEPS6_NSA_18transform_iteratorINSB_9not_fun_tI7is_trueIiEEESF_NSA_11use_defaultESM_EENS0_5tupleIJSF_S6_EEENSO_IJSG_SG_EEES6_PlJS6_EEE10hipError_tPvRmT3_T4_T5_T6_T7_T9_mT8_P12ihipStream_tbDpT10_ENKUlT_T0_E_clISt17integral_constantIbLb0EES1A_IbLb1EEEEDaS16_S17_EUlS16_E_NS1_11comp_targetILNS1_3genE3ELNS1_11target_archE908ELNS1_3gpuE7ELNS1_3repE0EEENS1_30default_config_static_selectorELNS0_4arch9wavefront6targetE0EEEvT1_.uses_flat_scratch, 0
	.set _ZN7rocprim17ROCPRIM_400000_NS6detail17trampoline_kernelINS0_14default_configENS1_25partition_config_selectorILNS1_17partition_subalgoE5EiNS0_10empty_typeEbEEZZNS1_14partition_implILS5_5ELb0ES3_mN6thrust23THRUST_200600_302600_NS6detail15normal_iteratorINSA_10device_ptrIiEEEEPS6_NSA_18transform_iteratorINSB_9not_fun_tI7is_trueIiEEESF_NSA_11use_defaultESM_EENS0_5tupleIJSF_S6_EEENSO_IJSG_SG_EEES6_PlJS6_EEE10hipError_tPvRmT3_T4_T5_T6_T7_T9_mT8_P12ihipStream_tbDpT10_ENKUlT_T0_E_clISt17integral_constantIbLb0EES1A_IbLb1EEEEDaS16_S17_EUlS16_E_NS1_11comp_targetILNS1_3genE3ELNS1_11target_archE908ELNS1_3gpuE7ELNS1_3repE0EEENS1_30default_config_static_selectorELNS0_4arch9wavefront6targetE0EEEvT1_.has_dyn_sized_stack, 0
	.set _ZN7rocprim17ROCPRIM_400000_NS6detail17trampoline_kernelINS0_14default_configENS1_25partition_config_selectorILNS1_17partition_subalgoE5EiNS0_10empty_typeEbEEZZNS1_14partition_implILS5_5ELb0ES3_mN6thrust23THRUST_200600_302600_NS6detail15normal_iteratorINSA_10device_ptrIiEEEEPS6_NSA_18transform_iteratorINSB_9not_fun_tI7is_trueIiEEESF_NSA_11use_defaultESM_EENS0_5tupleIJSF_S6_EEENSO_IJSG_SG_EEES6_PlJS6_EEE10hipError_tPvRmT3_T4_T5_T6_T7_T9_mT8_P12ihipStream_tbDpT10_ENKUlT_T0_E_clISt17integral_constantIbLb0EES1A_IbLb1EEEEDaS16_S17_EUlS16_E_NS1_11comp_targetILNS1_3genE3ELNS1_11target_archE908ELNS1_3gpuE7ELNS1_3repE0EEENS1_30default_config_static_selectorELNS0_4arch9wavefront6targetE0EEEvT1_.has_recursion, 0
	.set _ZN7rocprim17ROCPRIM_400000_NS6detail17trampoline_kernelINS0_14default_configENS1_25partition_config_selectorILNS1_17partition_subalgoE5EiNS0_10empty_typeEbEEZZNS1_14partition_implILS5_5ELb0ES3_mN6thrust23THRUST_200600_302600_NS6detail15normal_iteratorINSA_10device_ptrIiEEEEPS6_NSA_18transform_iteratorINSB_9not_fun_tI7is_trueIiEEESF_NSA_11use_defaultESM_EENS0_5tupleIJSF_S6_EEENSO_IJSG_SG_EEES6_PlJS6_EEE10hipError_tPvRmT3_T4_T5_T6_T7_T9_mT8_P12ihipStream_tbDpT10_ENKUlT_T0_E_clISt17integral_constantIbLb0EES1A_IbLb1EEEEDaS16_S17_EUlS16_E_NS1_11comp_targetILNS1_3genE3ELNS1_11target_archE908ELNS1_3gpuE7ELNS1_3repE0EEENS1_30default_config_static_selectorELNS0_4arch9wavefront6targetE0EEEvT1_.has_indirect_call, 0
	.section	.AMDGPU.csdata,"",@progbits
; Kernel info:
; codeLenInByte = 0
; TotalNumSgprs: 0
; NumVgprs: 0
; ScratchSize: 0
; MemoryBound: 0
; FloatMode: 240
; IeeeMode: 1
; LDSByteSize: 0 bytes/workgroup (compile time only)
; SGPRBlocks: 0
; VGPRBlocks: 0
; NumSGPRsForWavesPerEU: 1
; NumVGPRsForWavesPerEU: 1
; Occupancy: 16
; WaveLimiterHint : 0
; COMPUTE_PGM_RSRC2:SCRATCH_EN: 0
; COMPUTE_PGM_RSRC2:USER_SGPR: 2
; COMPUTE_PGM_RSRC2:TRAP_HANDLER: 0
; COMPUTE_PGM_RSRC2:TGID_X_EN: 1
; COMPUTE_PGM_RSRC2:TGID_Y_EN: 0
; COMPUTE_PGM_RSRC2:TGID_Z_EN: 0
; COMPUTE_PGM_RSRC2:TIDIG_COMP_CNT: 0
	.section	.text._ZN7rocprim17ROCPRIM_400000_NS6detail17trampoline_kernelINS0_14default_configENS1_25partition_config_selectorILNS1_17partition_subalgoE5EiNS0_10empty_typeEbEEZZNS1_14partition_implILS5_5ELb0ES3_mN6thrust23THRUST_200600_302600_NS6detail15normal_iteratorINSA_10device_ptrIiEEEEPS6_NSA_18transform_iteratorINSB_9not_fun_tI7is_trueIiEEESF_NSA_11use_defaultESM_EENS0_5tupleIJSF_S6_EEENSO_IJSG_SG_EEES6_PlJS6_EEE10hipError_tPvRmT3_T4_T5_T6_T7_T9_mT8_P12ihipStream_tbDpT10_ENKUlT_T0_E_clISt17integral_constantIbLb0EES1A_IbLb1EEEEDaS16_S17_EUlS16_E_NS1_11comp_targetILNS1_3genE2ELNS1_11target_archE906ELNS1_3gpuE6ELNS1_3repE0EEENS1_30default_config_static_selectorELNS0_4arch9wavefront6targetE0EEEvT1_,"axG",@progbits,_ZN7rocprim17ROCPRIM_400000_NS6detail17trampoline_kernelINS0_14default_configENS1_25partition_config_selectorILNS1_17partition_subalgoE5EiNS0_10empty_typeEbEEZZNS1_14partition_implILS5_5ELb0ES3_mN6thrust23THRUST_200600_302600_NS6detail15normal_iteratorINSA_10device_ptrIiEEEEPS6_NSA_18transform_iteratorINSB_9not_fun_tI7is_trueIiEEESF_NSA_11use_defaultESM_EENS0_5tupleIJSF_S6_EEENSO_IJSG_SG_EEES6_PlJS6_EEE10hipError_tPvRmT3_T4_T5_T6_T7_T9_mT8_P12ihipStream_tbDpT10_ENKUlT_T0_E_clISt17integral_constantIbLb0EES1A_IbLb1EEEEDaS16_S17_EUlS16_E_NS1_11comp_targetILNS1_3genE2ELNS1_11target_archE906ELNS1_3gpuE6ELNS1_3repE0EEENS1_30default_config_static_selectorELNS0_4arch9wavefront6targetE0EEEvT1_,comdat
	.protected	_ZN7rocprim17ROCPRIM_400000_NS6detail17trampoline_kernelINS0_14default_configENS1_25partition_config_selectorILNS1_17partition_subalgoE5EiNS0_10empty_typeEbEEZZNS1_14partition_implILS5_5ELb0ES3_mN6thrust23THRUST_200600_302600_NS6detail15normal_iteratorINSA_10device_ptrIiEEEEPS6_NSA_18transform_iteratorINSB_9not_fun_tI7is_trueIiEEESF_NSA_11use_defaultESM_EENS0_5tupleIJSF_S6_EEENSO_IJSG_SG_EEES6_PlJS6_EEE10hipError_tPvRmT3_T4_T5_T6_T7_T9_mT8_P12ihipStream_tbDpT10_ENKUlT_T0_E_clISt17integral_constantIbLb0EES1A_IbLb1EEEEDaS16_S17_EUlS16_E_NS1_11comp_targetILNS1_3genE2ELNS1_11target_archE906ELNS1_3gpuE6ELNS1_3repE0EEENS1_30default_config_static_selectorELNS0_4arch9wavefront6targetE0EEEvT1_ ; -- Begin function _ZN7rocprim17ROCPRIM_400000_NS6detail17trampoline_kernelINS0_14default_configENS1_25partition_config_selectorILNS1_17partition_subalgoE5EiNS0_10empty_typeEbEEZZNS1_14partition_implILS5_5ELb0ES3_mN6thrust23THRUST_200600_302600_NS6detail15normal_iteratorINSA_10device_ptrIiEEEEPS6_NSA_18transform_iteratorINSB_9not_fun_tI7is_trueIiEEESF_NSA_11use_defaultESM_EENS0_5tupleIJSF_S6_EEENSO_IJSG_SG_EEES6_PlJS6_EEE10hipError_tPvRmT3_T4_T5_T6_T7_T9_mT8_P12ihipStream_tbDpT10_ENKUlT_T0_E_clISt17integral_constantIbLb0EES1A_IbLb1EEEEDaS16_S17_EUlS16_E_NS1_11comp_targetILNS1_3genE2ELNS1_11target_archE906ELNS1_3gpuE6ELNS1_3repE0EEENS1_30default_config_static_selectorELNS0_4arch9wavefront6targetE0EEEvT1_
	.globl	_ZN7rocprim17ROCPRIM_400000_NS6detail17trampoline_kernelINS0_14default_configENS1_25partition_config_selectorILNS1_17partition_subalgoE5EiNS0_10empty_typeEbEEZZNS1_14partition_implILS5_5ELb0ES3_mN6thrust23THRUST_200600_302600_NS6detail15normal_iteratorINSA_10device_ptrIiEEEEPS6_NSA_18transform_iteratorINSB_9not_fun_tI7is_trueIiEEESF_NSA_11use_defaultESM_EENS0_5tupleIJSF_S6_EEENSO_IJSG_SG_EEES6_PlJS6_EEE10hipError_tPvRmT3_T4_T5_T6_T7_T9_mT8_P12ihipStream_tbDpT10_ENKUlT_T0_E_clISt17integral_constantIbLb0EES1A_IbLb1EEEEDaS16_S17_EUlS16_E_NS1_11comp_targetILNS1_3genE2ELNS1_11target_archE906ELNS1_3gpuE6ELNS1_3repE0EEENS1_30default_config_static_selectorELNS0_4arch9wavefront6targetE0EEEvT1_
	.p2align	8
	.type	_ZN7rocprim17ROCPRIM_400000_NS6detail17trampoline_kernelINS0_14default_configENS1_25partition_config_selectorILNS1_17partition_subalgoE5EiNS0_10empty_typeEbEEZZNS1_14partition_implILS5_5ELb0ES3_mN6thrust23THRUST_200600_302600_NS6detail15normal_iteratorINSA_10device_ptrIiEEEEPS6_NSA_18transform_iteratorINSB_9not_fun_tI7is_trueIiEEESF_NSA_11use_defaultESM_EENS0_5tupleIJSF_S6_EEENSO_IJSG_SG_EEES6_PlJS6_EEE10hipError_tPvRmT3_T4_T5_T6_T7_T9_mT8_P12ihipStream_tbDpT10_ENKUlT_T0_E_clISt17integral_constantIbLb0EES1A_IbLb1EEEEDaS16_S17_EUlS16_E_NS1_11comp_targetILNS1_3genE2ELNS1_11target_archE906ELNS1_3gpuE6ELNS1_3repE0EEENS1_30default_config_static_selectorELNS0_4arch9wavefront6targetE0EEEvT1_,@function
_ZN7rocprim17ROCPRIM_400000_NS6detail17trampoline_kernelINS0_14default_configENS1_25partition_config_selectorILNS1_17partition_subalgoE5EiNS0_10empty_typeEbEEZZNS1_14partition_implILS5_5ELb0ES3_mN6thrust23THRUST_200600_302600_NS6detail15normal_iteratorINSA_10device_ptrIiEEEEPS6_NSA_18transform_iteratorINSB_9not_fun_tI7is_trueIiEEESF_NSA_11use_defaultESM_EENS0_5tupleIJSF_S6_EEENSO_IJSG_SG_EEES6_PlJS6_EEE10hipError_tPvRmT3_T4_T5_T6_T7_T9_mT8_P12ihipStream_tbDpT10_ENKUlT_T0_E_clISt17integral_constantIbLb0EES1A_IbLb1EEEEDaS16_S17_EUlS16_E_NS1_11comp_targetILNS1_3genE2ELNS1_11target_archE906ELNS1_3gpuE6ELNS1_3repE0EEENS1_30default_config_static_selectorELNS0_4arch9wavefront6targetE0EEEvT1_: ; @_ZN7rocprim17ROCPRIM_400000_NS6detail17trampoline_kernelINS0_14default_configENS1_25partition_config_selectorILNS1_17partition_subalgoE5EiNS0_10empty_typeEbEEZZNS1_14partition_implILS5_5ELb0ES3_mN6thrust23THRUST_200600_302600_NS6detail15normal_iteratorINSA_10device_ptrIiEEEEPS6_NSA_18transform_iteratorINSB_9not_fun_tI7is_trueIiEEESF_NSA_11use_defaultESM_EENS0_5tupleIJSF_S6_EEENSO_IJSG_SG_EEES6_PlJS6_EEE10hipError_tPvRmT3_T4_T5_T6_T7_T9_mT8_P12ihipStream_tbDpT10_ENKUlT_T0_E_clISt17integral_constantIbLb0EES1A_IbLb1EEEEDaS16_S17_EUlS16_E_NS1_11comp_targetILNS1_3genE2ELNS1_11target_archE906ELNS1_3gpuE6ELNS1_3repE0EEENS1_30default_config_static_selectorELNS0_4arch9wavefront6targetE0EEEvT1_
; %bb.0:
	.section	.rodata,"a",@progbits
	.p2align	6, 0x0
	.amdhsa_kernel _ZN7rocprim17ROCPRIM_400000_NS6detail17trampoline_kernelINS0_14default_configENS1_25partition_config_selectorILNS1_17partition_subalgoE5EiNS0_10empty_typeEbEEZZNS1_14partition_implILS5_5ELb0ES3_mN6thrust23THRUST_200600_302600_NS6detail15normal_iteratorINSA_10device_ptrIiEEEEPS6_NSA_18transform_iteratorINSB_9not_fun_tI7is_trueIiEEESF_NSA_11use_defaultESM_EENS0_5tupleIJSF_S6_EEENSO_IJSG_SG_EEES6_PlJS6_EEE10hipError_tPvRmT3_T4_T5_T6_T7_T9_mT8_P12ihipStream_tbDpT10_ENKUlT_T0_E_clISt17integral_constantIbLb0EES1A_IbLb1EEEEDaS16_S17_EUlS16_E_NS1_11comp_targetILNS1_3genE2ELNS1_11target_archE906ELNS1_3gpuE6ELNS1_3repE0EEENS1_30default_config_static_selectorELNS0_4arch9wavefront6targetE0EEEvT1_
		.amdhsa_group_segment_fixed_size 0
		.amdhsa_private_segment_fixed_size 0
		.amdhsa_kernarg_size 136
		.amdhsa_user_sgpr_count 2
		.amdhsa_user_sgpr_dispatch_ptr 0
		.amdhsa_user_sgpr_queue_ptr 0
		.amdhsa_user_sgpr_kernarg_segment_ptr 1
		.amdhsa_user_sgpr_dispatch_id 0
		.amdhsa_user_sgpr_private_segment_size 0
		.amdhsa_wavefront_size32 1
		.amdhsa_uses_dynamic_stack 0
		.amdhsa_enable_private_segment 0
		.amdhsa_system_sgpr_workgroup_id_x 1
		.amdhsa_system_sgpr_workgroup_id_y 0
		.amdhsa_system_sgpr_workgroup_id_z 0
		.amdhsa_system_sgpr_workgroup_info 0
		.amdhsa_system_vgpr_workitem_id 0
		.amdhsa_next_free_vgpr 1
		.amdhsa_next_free_sgpr 1
		.amdhsa_reserve_vcc 0
		.amdhsa_float_round_mode_32 0
		.amdhsa_float_round_mode_16_64 0
		.amdhsa_float_denorm_mode_32 3
		.amdhsa_float_denorm_mode_16_64 3
		.amdhsa_fp16_overflow 0
		.amdhsa_workgroup_processor_mode 1
		.amdhsa_memory_ordered 1
		.amdhsa_forward_progress 1
		.amdhsa_inst_pref_size 0
		.amdhsa_round_robin_scheduling 0
		.amdhsa_exception_fp_ieee_invalid_op 0
		.amdhsa_exception_fp_denorm_src 0
		.amdhsa_exception_fp_ieee_div_zero 0
		.amdhsa_exception_fp_ieee_overflow 0
		.amdhsa_exception_fp_ieee_underflow 0
		.amdhsa_exception_fp_ieee_inexact 0
		.amdhsa_exception_int_div_zero 0
	.end_amdhsa_kernel
	.section	.text._ZN7rocprim17ROCPRIM_400000_NS6detail17trampoline_kernelINS0_14default_configENS1_25partition_config_selectorILNS1_17partition_subalgoE5EiNS0_10empty_typeEbEEZZNS1_14partition_implILS5_5ELb0ES3_mN6thrust23THRUST_200600_302600_NS6detail15normal_iteratorINSA_10device_ptrIiEEEEPS6_NSA_18transform_iteratorINSB_9not_fun_tI7is_trueIiEEESF_NSA_11use_defaultESM_EENS0_5tupleIJSF_S6_EEENSO_IJSG_SG_EEES6_PlJS6_EEE10hipError_tPvRmT3_T4_T5_T6_T7_T9_mT8_P12ihipStream_tbDpT10_ENKUlT_T0_E_clISt17integral_constantIbLb0EES1A_IbLb1EEEEDaS16_S17_EUlS16_E_NS1_11comp_targetILNS1_3genE2ELNS1_11target_archE906ELNS1_3gpuE6ELNS1_3repE0EEENS1_30default_config_static_selectorELNS0_4arch9wavefront6targetE0EEEvT1_,"axG",@progbits,_ZN7rocprim17ROCPRIM_400000_NS6detail17trampoline_kernelINS0_14default_configENS1_25partition_config_selectorILNS1_17partition_subalgoE5EiNS0_10empty_typeEbEEZZNS1_14partition_implILS5_5ELb0ES3_mN6thrust23THRUST_200600_302600_NS6detail15normal_iteratorINSA_10device_ptrIiEEEEPS6_NSA_18transform_iteratorINSB_9not_fun_tI7is_trueIiEEESF_NSA_11use_defaultESM_EENS0_5tupleIJSF_S6_EEENSO_IJSG_SG_EEES6_PlJS6_EEE10hipError_tPvRmT3_T4_T5_T6_T7_T9_mT8_P12ihipStream_tbDpT10_ENKUlT_T0_E_clISt17integral_constantIbLb0EES1A_IbLb1EEEEDaS16_S17_EUlS16_E_NS1_11comp_targetILNS1_3genE2ELNS1_11target_archE906ELNS1_3gpuE6ELNS1_3repE0EEENS1_30default_config_static_selectorELNS0_4arch9wavefront6targetE0EEEvT1_,comdat
.Lfunc_end1528:
	.size	_ZN7rocprim17ROCPRIM_400000_NS6detail17trampoline_kernelINS0_14default_configENS1_25partition_config_selectorILNS1_17partition_subalgoE5EiNS0_10empty_typeEbEEZZNS1_14partition_implILS5_5ELb0ES3_mN6thrust23THRUST_200600_302600_NS6detail15normal_iteratorINSA_10device_ptrIiEEEEPS6_NSA_18transform_iteratorINSB_9not_fun_tI7is_trueIiEEESF_NSA_11use_defaultESM_EENS0_5tupleIJSF_S6_EEENSO_IJSG_SG_EEES6_PlJS6_EEE10hipError_tPvRmT3_T4_T5_T6_T7_T9_mT8_P12ihipStream_tbDpT10_ENKUlT_T0_E_clISt17integral_constantIbLb0EES1A_IbLb1EEEEDaS16_S17_EUlS16_E_NS1_11comp_targetILNS1_3genE2ELNS1_11target_archE906ELNS1_3gpuE6ELNS1_3repE0EEENS1_30default_config_static_selectorELNS0_4arch9wavefront6targetE0EEEvT1_, .Lfunc_end1528-_ZN7rocprim17ROCPRIM_400000_NS6detail17trampoline_kernelINS0_14default_configENS1_25partition_config_selectorILNS1_17partition_subalgoE5EiNS0_10empty_typeEbEEZZNS1_14partition_implILS5_5ELb0ES3_mN6thrust23THRUST_200600_302600_NS6detail15normal_iteratorINSA_10device_ptrIiEEEEPS6_NSA_18transform_iteratorINSB_9not_fun_tI7is_trueIiEEESF_NSA_11use_defaultESM_EENS0_5tupleIJSF_S6_EEENSO_IJSG_SG_EEES6_PlJS6_EEE10hipError_tPvRmT3_T4_T5_T6_T7_T9_mT8_P12ihipStream_tbDpT10_ENKUlT_T0_E_clISt17integral_constantIbLb0EES1A_IbLb1EEEEDaS16_S17_EUlS16_E_NS1_11comp_targetILNS1_3genE2ELNS1_11target_archE906ELNS1_3gpuE6ELNS1_3repE0EEENS1_30default_config_static_selectorELNS0_4arch9wavefront6targetE0EEEvT1_
                                        ; -- End function
	.set _ZN7rocprim17ROCPRIM_400000_NS6detail17trampoline_kernelINS0_14default_configENS1_25partition_config_selectorILNS1_17partition_subalgoE5EiNS0_10empty_typeEbEEZZNS1_14partition_implILS5_5ELb0ES3_mN6thrust23THRUST_200600_302600_NS6detail15normal_iteratorINSA_10device_ptrIiEEEEPS6_NSA_18transform_iteratorINSB_9not_fun_tI7is_trueIiEEESF_NSA_11use_defaultESM_EENS0_5tupleIJSF_S6_EEENSO_IJSG_SG_EEES6_PlJS6_EEE10hipError_tPvRmT3_T4_T5_T6_T7_T9_mT8_P12ihipStream_tbDpT10_ENKUlT_T0_E_clISt17integral_constantIbLb0EES1A_IbLb1EEEEDaS16_S17_EUlS16_E_NS1_11comp_targetILNS1_3genE2ELNS1_11target_archE906ELNS1_3gpuE6ELNS1_3repE0EEENS1_30default_config_static_selectorELNS0_4arch9wavefront6targetE0EEEvT1_.num_vgpr, 0
	.set _ZN7rocprim17ROCPRIM_400000_NS6detail17trampoline_kernelINS0_14default_configENS1_25partition_config_selectorILNS1_17partition_subalgoE5EiNS0_10empty_typeEbEEZZNS1_14partition_implILS5_5ELb0ES3_mN6thrust23THRUST_200600_302600_NS6detail15normal_iteratorINSA_10device_ptrIiEEEEPS6_NSA_18transform_iteratorINSB_9not_fun_tI7is_trueIiEEESF_NSA_11use_defaultESM_EENS0_5tupleIJSF_S6_EEENSO_IJSG_SG_EEES6_PlJS6_EEE10hipError_tPvRmT3_T4_T5_T6_T7_T9_mT8_P12ihipStream_tbDpT10_ENKUlT_T0_E_clISt17integral_constantIbLb0EES1A_IbLb1EEEEDaS16_S17_EUlS16_E_NS1_11comp_targetILNS1_3genE2ELNS1_11target_archE906ELNS1_3gpuE6ELNS1_3repE0EEENS1_30default_config_static_selectorELNS0_4arch9wavefront6targetE0EEEvT1_.num_agpr, 0
	.set _ZN7rocprim17ROCPRIM_400000_NS6detail17trampoline_kernelINS0_14default_configENS1_25partition_config_selectorILNS1_17partition_subalgoE5EiNS0_10empty_typeEbEEZZNS1_14partition_implILS5_5ELb0ES3_mN6thrust23THRUST_200600_302600_NS6detail15normal_iteratorINSA_10device_ptrIiEEEEPS6_NSA_18transform_iteratorINSB_9not_fun_tI7is_trueIiEEESF_NSA_11use_defaultESM_EENS0_5tupleIJSF_S6_EEENSO_IJSG_SG_EEES6_PlJS6_EEE10hipError_tPvRmT3_T4_T5_T6_T7_T9_mT8_P12ihipStream_tbDpT10_ENKUlT_T0_E_clISt17integral_constantIbLb0EES1A_IbLb1EEEEDaS16_S17_EUlS16_E_NS1_11comp_targetILNS1_3genE2ELNS1_11target_archE906ELNS1_3gpuE6ELNS1_3repE0EEENS1_30default_config_static_selectorELNS0_4arch9wavefront6targetE0EEEvT1_.numbered_sgpr, 0
	.set _ZN7rocprim17ROCPRIM_400000_NS6detail17trampoline_kernelINS0_14default_configENS1_25partition_config_selectorILNS1_17partition_subalgoE5EiNS0_10empty_typeEbEEZZNS1_14partition_implILS5_5ELb0ES3_mN6thrust23THRUST_200600_302600_NS6detail15normal_iteratorINSA_10device_ptrIiEEEEPS6_NSA_18transform_iteratorINSB_9not_fun_tI7is_trueIiEEESF_NSA_11use_defaultESM_EENS0_5tupleIJSF_S6_EEENSO_IJSG_SG_EEES6_PlJS6_EEE10hipError_tPvRmT3_T4_T5_T6_T7_T9_mT8_P12ihipStream_tbDpT10_ENKUlT_T0_E_clISt17integral_constantIbLb0EES1A_IbLb1EEEEDaS16_S17_EUlS16_E_NS1_11comp_targetILNS1_3genE2ELNS1_11target_archE906ELNS1_3gpuE6ELNS1_3repE0EEENS1_30default_config_static_selectorELNS0_4arch9wavefront6targetE0EEEvT1_.num_named_barrier, 0
	.set _ZN7rocprim17ROCPRIM_400000_NS6detail17trampoline_kernelINS0_14default_configENS1_25partition_config_selectorILNS1_17partition_subalgoE5EiNS0_10empty_typeEbEEZZNS1_14partition_implILS5_5ELb0ES3_mN6thrust23THRUST_200600_302600_NS6detail15normal_iteratorINSA_10device_ptrIiEEEEPS6_NSA_18transform_iteratorINSB_9not_fun_tI7is_trueIiEEESF_NSA_11use_defaultESM_EENS0_5tupleIJSF_S6_EEENSO_IJSG_SG_EEES6_PlJS6_EEE10hipError_tPvRmT3_T4_T5_T6_T7_T9_mT8_P12ihipStream_tbDpT10_ENKUlT_T0_E_clISt17integral_constantIbLb0EES1A_IbLb1EEEEDaS16_S17_EUlS16_E_NS1_11comp_targetILNS1_3genE2ELNS1_11target_archE906ELNS1_3gpuE6ELNS1_3repE0EEENS1_30default_config_static_selectorELNS0_4arch9wavefront6targetE0EEEvT1_.private_seg_size, 0
	.set _ZN7rocprim17ROCPRIM_400000_NS6detail17trampoline_kernelINS0_14default_configENS1_25partition_config_selectorILNS1_17partition_subalgoE5EiNS0_10empty_typeEbEEZZNS1_14partition_implILS5_5ELb0ES3_mN6thrust23THRUST_200600_302600_NS6detail15normal_iteratorINSA_10device_ptrIiEEEEPS6_NSA_18transform_iteratorINSB_9not_fun_tI7is_trueIiEEESF_NSA_11use_defaultESM_EENS0_5tupleIJSF_S6_EEENSO_IJSG_SG_EEES6_PlJS6_EEE10hipError_tPvRmT3_T4_T5_T6_T7_T9_mT8_P12ihipStream_tbDpT10_ENKUlT_T0_E_clISt17integral_constantIbLb0EES1A_IbLb1EEEEDaS16_S17_EUlS16_E_NS1_11comp_targetILNS1_3genE2ELNS1_11target_archE906ELNS1_3gpuE6ELNS1_3repE0EEENS1_30default_config_static_selectorELNS0_4arch9wavefront6targetE0EEEvT1_.uses_vcc, 0
	.set _ZN7rocprim17ROCPRIM_400000_NS6detail17trampoline_kernelINS0_14default_configENS1_25partition_config_selectorILNS1_17partition_subalgoE5EiNS0_10empty_typeEbEEZZNS1_14partition_implILS5_5ELb0ES3_mN6thrust23THRUST_200600_302600_NS6detail15normal_iteratorINSA_10device_ptrIiEEEEPS6_NSA_18transform_iteratorINSB_9not_fun_tI7is_trueIiEEESF_NSA_11use_defaultESM_EENS0_5tupleIJSF_S6_EEENSO_IJSG_SG_EEES6_PlJS6_EEE10hipError_tPvRmT3_T4_T5_T6_T7_T9_mT8_P12ihipStream_tbDpT10_ENKUlT_T0_E_clISt17integral_constantIbLb0EES1A_IbLb1EEEEDaS16_S17_EUlS16_E_NS1_11comp_targetILNS1_3genE2ELNS1_11target_archE906ELNS1_3gpuE6ELNS1_3repE0EEENS1_30default_config_static_selectorELNS0_4arch9wavefront6targetE0EEEvT1_.uses_flat_scratch, 0
	.set _ZN7rocprim17ROCPRIM_400000_NS6detail17trampoline_kernelINS0_14default_configENS1_25partition_config_selectorILNS1_17partition_subalgoE5EiNS0_10empty_typeEbEEZZNS1_14partition_implILS5_5ELb0ES3_mN6thrust23THRUST_200600_302600_NS6detail15normal_iteratorINSA_10device_ptrIiEEEEPS6_NSA_18transform_iteratorINSB_9not_fun_tI7is_trueIiEEESF_NSA_11use_defaultESM_EENS0_5tupleIJSF_S6_EEENSO_IJSG_SG_EEES6_PlJS6_EEE10hipError_tPvRmT3_T4_T5_T6_T7_T9_mT8_P12ihipStream_tbDpT10_ENKUlT_T0_E_clISt17integral_constantIbLb0EES1A_IbLb1EEEEDaS16_S17_EUlS16_E_NS1_11comp_targetILNS1_3genE2ELNS1_11target_archE906ELNS1_3gpuE6ELNS1_3repE0EEENS1_30default_config_static_selectorELNS0_4arch9wavefront6targetE0EEEvT1_.has_dyn_sized_stack, 0
	.set _ZN7rocprim17ROCPRIM_400000_NS6detail17trampoline_kernelINS0_14default_configENS1_25partition_config_selectorILNS1_17partition_subalgoE5EiNS0_10empty_typeEbEEZZNS1_14partition_implILS5_5ELb0ES3_mN6thrust23THRUST_200600_302600_NS6detail15normal_iteratorINSA_10device_ptrIiEEEEPS6_NSA_18transform_iteratorINSB_9not_fun_tI7is_trueIiEEESF_NSA_11use_defaultESM_EENS0_5tupleIJSF_S6_EEENSO_IJSG_SG_EEES6_PlJS6_EEE10hipError_tPvRmT3_T4_T5_T6_T7_T9_mT8_P12ihipStream_tbDpT10_ENKUlT_T0_E_clISt17integral_constantIbLb0EES1A_IbLb1EEEEDaS16_S17_EUlS16_E_NS1_11comp_targetILNS1_3genE2ELNS1_11target_archE906ELNS1_3gpuE6ELNS1_3repE0EEENS1_30default_config_static_selectorELNS0_4arch9wavefront6targetE0EEEvT1_.has_recursion, 0
	.set _ZN7rocprim17ROCPRIM_400000_NS6detail17trampoline_kernelINS0_14default_configENS1_25partition_config_selectorILNS1_17partition_subalgoE5EiNS0_10empty_typeEbEEZZNS1_14partition_implILS5_5ELb0ES3_mN6thrust23THRUST_200600_302600_NS6detail15normal_iteratorINSA_10device_ptrIiEEEEPS6_NSA_18transform_iteratorINSB_9not_fun_tI7is_trueIiEEESF_NSA_11use_defaultESM_EENS0_5tupleIJSF_S6_EEENSO_IJSG_SG_EEES6_PlJS6_EEE10hipError_tPvRmT3_T4_T5_T6_T7_T9_mT8_P12ihipStream_tbDpT10_ENKUlT_T0_E_clISt17integral_constantIbLb0EES1A_IbLb1EEEEDaS16_S17_EUlS16_E_NS1_11comp_targetILNS1_3genE2ELNS1_11target_archE906ELNS1_3gpuE6ELNS1_3repE0EEENS1_30default_config_static_selectorELNS0_4arch9wavefront6targetE0EEEvT1_.has_indirect_call, 0
	.section	.AMDGPU.csdata,"",@progbits
; Kernel info:
; codeLenInByte = 0
; TotalNumSgprs: 0
; NumVgprs: 0
; ScratchSize: 0
; MemoryBound: 0
; FloatMode: 240
; IeeeMode: 1
; LDSByteSize: 0 bytes/workgroup (compile time only)
; SGPRBlocks: 0
; VGPRBlocks: 0
; NumSGPRsForWavesPerEU: 1
; NumVGPRsForWavesPerEU: 1
; Occupancy: 16
; WaveLimiterHint : 0
; COMPUTE_PGM_RSRC2:SCRATCH_EN: 0
; COMPUTE_PGM_RSRC2:USER_SGPR: 2
; COMPUTE_PGM_RSRC2:TRAP_HANDLER: 0
; COMPUTE_PGM_RSRC2:TGID_X_EN: 1
; COMPUTE_PGM_RSRC2:TGID_Y_EN: 0
; COMPUTE_PGM_RSRC2:TGID_Z_EN: 0
; COMPUTE_PGM_RSRC2:TIDIG_COMP_CNT: 0
	.section	.text._ZN7rocprim17ROCPRIM_400000_NS6detail17trampoline_kernelINS0_14default_configENS1_25partition_config_selectorILNS1_17partition_subalgoE5EiNS0_10empty_typeEbEEZZNS1_14partition_implILS5_5ELb0ES3_mN6thrust23THRUST_200600_302600_NS6detail15normal_iteratorINSA_10device_ptrIiEEEEPS6_NSA_18transform_iteratorINSB_9not_fun_tI7is_trueIiEEESF_NSA_11use_defaultESM_EENS0_5tupleIJSF_S6_EEENSO_IJSG_SG_EEES6_PlJS6_EEE10hipError_tPvRmT3_T4_T5_T6_T7_T9_mT8_P12ihipStream_tbDpT10_ENKUlT_T0_E_clISt17integral_constantIbLb0EES1A_IbLb1EEEEDaS16_S17_EUlS16_E_NS1_11comp_targetILNS1_3genE10ELNS1_11target_archE1200ELNS1_3gpuE4ELNS1_3repE0EEENS1_30default_config_static_selectorELNS0_4arch9wavefront6targetE0EEEvT1_,"axG",@progbits,_ZN7rocprim17ROCPRIM_400000_NS6detail17trampoline_kernelINS0_14default_configENS1_25partition_config_selectorILNS1_17partition_subalgoE5EiNS0_10empty_typeEbEEZZNS1_14partition_implILS5_5ELb0ES3_mN6thrust23THRUST_200600_302600_NS6detail15normal_iteratorINSA_10device_ptrIiEEEEPS6_NSA_18transform_iteratorINSB_9not_fun_tI7is_trueIiEEESF_NSA_11use_defaultESM_EENS0_5tupleIJSF_S6_EEENSO_IJSG_SG_EEES6_PlJS6_EEE10hipError_tPvRmT3_T4_T5_T6_T7_T9_mT8_P12ihipStream_tbDpT10_ENKUlT_T0_E_clISt17integral_constantIbLb0EES1A_IbLb1EEEEDaS16_S17_EUlS16_E_NS1_11comp_targetILNS1_3genE10ELNS1_11target_archE1200ELNS1_3gpuE4ELNS1_3repE0EEENS1_30default_config_static_selectorELNS0_4arch9wavefront6targetE0EEEvT1_,comdat
	.protected	_ZN7rocprim17ROCPRIM_400000_NS6detail17trampoline_kernelINS0_14default_configENS1_25partition_config_selectorILNS1_17partition_subalgoE5EiNS0_10empty_typeEbEEZZNS1_14partition_implILS5_5ELb0ES3_mN6thrust23THRUST_200600_302600_NS6detail15normal_iteratorINSA_10device_ptrIiEEEEPS6_NSA_18transform_iteratorINSB_9not_fun_tI7is_trueIiEEESF_NSA_11use_defaultESM_EENS0_5tupleIJSF_S6_EEENSO_IJSG_SG_EEES6_PlJS6_EEE10hipError_tPvRmT3_T4_T5_T6_T7_T9_mT8_P12ihipStream_tbDpT10_ENKUlT_T0_E_clISt17integral_constantIbLb0EES1A_IbLb1EEEEDaS16_S17_EUlS16_E_NS1_11comp_targetILNS1_3genE10ELNS1_11target_archE1200ELNS1_3gpuE4ELNS1_3repE0EEENS1_30default_config_static_selectorELNS0_4arch9wavefront6targetE0EEEvT1_ ; -- Begin function _ZN7rocprim17ROCPRIM_400000_NS6detail17trampoline_kernelINS0_14default_configENS1_25partition_config_selectorILNS1_17partition_subalgoE5EiNS0_10empty_typeEbEEZZNS1_14partition_implILS5_5ELb0ES3_mN6thrust23THRUST_200600_302600_NS6detail15normal_iteratorINSA_10device_ptrIiEEEEPS6_NSA_18transform_iteratorINSB_9not_fun_tI7is_trueIiEEESF_NSA_11use_defaultESM_EENS0_5tupleIJSF_S6_EEENSO_IJSG_SG_EEES6_PlJS6_EEE10hipError_tPvRmT3_T4_T5_T6_T7_T9_mT8_P12ihipStream_tbDpT10_ENKUlT_T0_E_clISt17integral_constantIbLb0EES1A_IbLb1EEEEDaS16_S17_EUlS16_E_NS1_11comp_targetILNS1_3genE10ELNS1_11target_archE1200ELNS1_3gpuE4ELNS1_3repE0EEENS1_30default_config_static_selectorELNS0_4arch9wavefront6targetE0EEEvT1_
	.globl	_ZN7rocprim17ROCPRIM_400000_NS6detail17trampoline_kernelINS0_14default_configENS1_25partition_config_selectorILNS1_17partition_subalgoE5EiNS0_10empty_typeEbEEZZNS1_14partition_implILS5_5ELb0ES3_mN6thrust23THRUST_200600_302600_NS6detail15normal_iteratorINSA_10device_ptrIiEEEEPS6_NSA_18transform_iteratorINSB_9not_fun_tI7is_trueIiEEESF_NSA_11use_defaultESM_EENS0_5tupleIJSF_S6_EEENSO_IJSG_SG_EEES6_PlJS6_EEE10hipError_tPvRmT3_T4_T5_T6_T7_T9_mT8_P12ihipStream_tbDpT10_ENKUlT_T0_E_clISt17integral_constantIbLb0EES1A_IbLb1EEEEDaS16_S17_EUlS16_E_NS1_11comp_targetILNS1_3genE10ELNS1_11target_archE1200ELNS1_3gpuE4ELNS1_3repE0EEENS1_30default_config_static_selectorELNS0_4arch9wavefront6targetE0EEEvT1_
	.p2align	8
	.type	_ZN7rocprim17ROCPRIM_400000_NS6detail17trampoline_kernelINS0_14default_configENS1_25partition_config_selectorILNS1_17partition_subalgoE5EiNS0_10empty_typeEbEEZZNS1_14partition_implILS5_5ELb0ES3_mN6thrust23THRUST_200600_302600_NS6detail15normal_iteratorINSA_10device_ptrIiEEEEPS6_NSA_18transform_iteratorINSB_9not_fun_tI7is_trueIiEEESF_NSA_11use_defaultESM_EENS0_5tupleIJSF_S6_EEENSO_IJSG_SG_EEES6_PlJS6_EEE10hipError_tPvRmT3_T4_T5_T6_T7_T9_mT8_P12ihipStream_tbDpT10_ENKUlT_T0_E_clISt17integral_constantIbLb0EES1A_IbLb1EEEEDaS16_S17_EUlS16_E_NS1_11comp_targetILNS1_3genE10ELNS1_11target_archE1200ELNS1_3gpuE4ELNS1_3repE0EEENS1_30default_config_static_selectorELNS0_4arch9wavefront6targetE0EEEvT1_,@function
_ZN7rocprim17ROCPRIM_400000_NS6detail17trampoline_kernelINS0_14default_configENS1_25partition_config_selectorILNS1_17partition_subalgoE5EiNS0_10empty_typeEbEEZZNS1_14partition_implILS5_5ELb0ES3_mN6thrust23THRUST_200600_302600_NS6detail15normal_iteratorINSA_10device_ptrIiEEEEPS6_NSA_18transform_iteratorINSB_9not_fun_tI7is_trueIiEEESF_NSA_11use_defaultESM_EENS0_5tupleIJSF_S6_EEENSO_IJSG_SG_EEES6_PlJS6_EEE10hipError_tPvRmT3_T4_T5_T6_T7_T9_mT8_P12ihipStream_tbDpT10_ENKUlT_T0_E_clISt17integral_constantIbLb0EES1A_IbLb1EEEEDaS16_S17_EUlS16_E_NS1_11comp_targetILNS1_3genE10ELNS1_11target_archE1200ELNS1_3gpuE4ELNS1_3repE0EEENS1_30default_config_static_selectorELNS0_4arch9wavefront6targetE0EEEvT1_: ; @_ZN7rocprim17ROCPRIM_400000_NS6detail17trampoline_kernelINS0_14default_configENS1_25partition_config_selectorILNS1_17partition_subalgoE5EiNS0_10empty_typeEbEEZZNS1_14partition_implILS5_5ELb0ES3_mN6thrust23THRUST_200600_302600_NS6detail15normal_iteratorINSA_10device_ptrIiEEEEPS6_NSA_18transform_iteratorINSB_9not_fun_tI7is_trueIiEEESF_NSA_11use_defaultESM_EENS0_5tupleIJSF_S6_EEENSO_IJSG_SG_EEES6_PlJS6_EEE10hipError_tPvRmT3_T4_T5_T6_T7_T9_mT8_P12ihipStream_tbDpT10_ENKUlT_T0_E_clISt17integral_constantIbLb0EES1A_IbLb1EEEEDaS16_S17_EUlS16_E_NS1_11comp_targetILNS1_3genE10ELNS1_11target_archE1200ELNS1_3gpuE4ELNS1_3repE0EEENS1_30default_config_static_selectorELNS0_4arch9wavefront6targetE0EEEvT1_
; %bb.0:
	s_clause 0x3
	s_load_b64 s[12:13], s[0:1], 0x30
	s_load_b128 s[4:7], s[0:1], 0x48
	s_load_b64 s[18:19], s[0:1], 0x58
	s_load_b64 s[14:15], s[0:1], 0x68
	v_cmp_eq_u32_e64 s2, 0, v0
	s_and_saveexec_b32 s3, s2
	s_cbranch_execz .LBB1529_4
; %bb.1:
	s_mov_b32 s9, exec_lo
	s_mov_b32 s8, exec_lo
	v_mbcnt_lo_u32_b32 v1, s9, 0
                                        ; implicit-def: $vgpr2
	s_delay_alu instid0(VALU_DEP_1)
	v_cmpx_eq_u32_e32 0, v1
	s_cbranch_execz .LBB1529_3
; %bb.2:
	s_load_b64 s[10:11], s[0:1], 0x78
	s_bcnt1_i32_b32 s9, s9
	s_wait_alu 0xfffe
	v_dual_mov_b32 v2, 0 :: v_dual_mov_b32 v3, s9
	s_wait_kmcnt 0x0
	global_atomic_add_u32 v2, v2, v3, s[10:11] th:TH_ATOMIC_RETURN scope:SCOPE_DEV
.LBB1529_3:
	s_or_b32 exec_lo, exec_lo, s8
	s_wait_loadcnt 0x0
	v_readfirstlane_b32 s8, v2
	s_wait_alu 0xf1ff
	s_delay_alu instid0(VALU_DEP_1)
	v_dual_mov_b32 v2, 0 :: v_dual_add_nc_u32 v1, s8, v1
	ds_store_b32 v2, v1
.LBB1529_4:
	s_or_b32 exec_lo, exec_lo, s3
	v_dual_mov_b32 v1, 0 :: v_dual_add_nc_u32 v24, 0x180, v0
	s_clause 0x2
	s_load_b128 s[8:11], s[0:1], 0x8
	s_load_b64 s[16:17], s[0:1], 0x20
	s_load_b32 s0, s[0:1], 0x70
	s_wait_dscnt 0x0
	s_barrier_signal -1
	s_barrier_wait -1
	global_inv scope:SCOPE_SE
	ds_load_b32 v2, v1
	s_wait_loadcnt_dscnt 0x0
	s_barrier_signal -1
	s_barrier_wait -1
	global_inv scope:SCOPE_SE
	s_wait_kmcnt 0x0
	global_load_b64 v[9:10], v1, s[6:7]
	v_lshlrev_b32_e32 v25, 2, v0
	v_lshrrev_b32_e32 v11, 3, v0
	v_add_nc_u32_e32 v23, 0x240, v0
	v_or_b32_e32 v22, 0x300, v0
	v_add_nc_u32_e32 v21, 0x3c0, v0
	v_add_nc_u32_e32 v20, 0x480, v0
	;; [unrolled: 1-line block ×3, first 2 shown]
	s_lshl_b64 s[6:7], s[10:11], 2
	s_delay_alu instid0(SALU_CYCLE_1)
	s_add_nc_u64 s[22:23], s[8:9], s[6:7]
	s_mul_i32 s8, s0, 0x600
	s_mov_b32 s9, 0
	s_wait_alu 0xfffe
	s_add_co_i32 s3, s8, s10
	s_add_co_i32 s21, s0, -1
	v_readfirstlane_b32 s20, v2
	s_add_nc_u64 s[0:1], s[10:11], s[8:9]
	s_sub_co_i32 s3, s18, s3
	v_cmp_le_u64_e64 s0, s[18:19], s[0:1]
	s_addk_co_i32 s3, 0x600
	s_cmp_eq_u32 s20, s21
	s_mul_i32 s8, s20, 0x600
	s_cselect_b32 s18, -1, 0
	s_wait_alu 0xfffe
	s_lshl_b64 s[8:9], s[8:9], 2
	s_and_b32 s0, s0, s18
	s_mov_b32 s1, -1
	s_wait_alu 0xfffe
	s_xor_b32 s19, s0, -1
	s_add_nc_u64 s[10:11], s[22:23], s[8:9]
	s_wait_alu 0xfffe
	s_and_b32 vcc_lo, exec_lo, s19
	s_cbranch_vccz .LBB1529_6
; %bb.5:
	v_add_co_u32 v1, s0, s10, v25
	s_wait_alu 0xf1ff
	v_add_co_ci_u32_e64 v2, null, s11, 0, s0
	v_add_nc_u32_e32 v13, 0xc0, v0
	v_lshrrev_b32_e32 v14, 3, v24
	v_lshrrev_b32_e32 v15, 3, v23
	s_clause 0x7
	flat_load_b32 v3, v[1:2]
	flat_load_b32 v4, v[1:2] offset:768
	flat_load_b32 v5, v[1:2] offset:1536
	;; [unrolled: 1-line block ×7, first 2 shown]
	v_lshrrev_b32_e32 v16, 3, v22
	v_lshrrev_b32_e32 v13, 3, v13
	v_and_b32_e32 v2, 28, v11
	v_lshrrev_b32_e32 v17, 3, v21
	v_lshrrev_b32_e32 v18, 3, v20
	;; [unrolled: 1-line block ×3, first 2 shown]
	v_and_b32_e32 v13, 60, v13
	v_and_b32_e32 v14, 0x7c, v14
	;; [unrolled: 1-line block ×4, first 2 shown]
	v_add_nc_u32_e32 v2, v2, v25
	v_and_b32_e32 v17, 0xfc, v17
	v_and_b32_e32 v18, 0xbc, v18
	;; [unrolled: 1-line block ×3, first 2 shown]
	v_add_nc_u32_e32 v13, v13, v25
	v_add_nc_u32_e32 v14, v14, v25
	;; [unrolled: 1-line block ×4, first 2 shown]
	s_mov_b32 s1, 0
	v_add_nc_u32_e32 v17, v17, v25
	v_add_nc_u32_e32 v18, v18, v25
	;; [unrolled: 1-line block ×3, first 2 shown]
	s_wait_loadcnt_dscnt 0x707
	ds_store_b32 v2, v3
	s_wait_loadcnt_dscnt 0x607
	ds_store_b32 v13, v4 offset:768
	s_wait_loadcnt_dscnt 0x507
	ds_store_b32 v14, v5 offset:1536
	;; [unrolled: 2-line block ×7, first 2 shown]
	s_wait_dscnt 0x0
	s_barrier_signal -1
	s_barrier_wait -1
.LBB1529_6:
	v_cmp_gt_u32_e64 s0, s3, v0
	s_wait_alu 0xfffe
	s_and_not1_b32 vcc_lo, exec_lo, s1
	s_cbranch_vccnz .LBB1529_18
; %bb.7:
	v_mov_b32_e32 v1, 0
	s_delay_alu instid0(VALU_DEP_1)
	v_dual_mov_b32 v2, v1 :: v_dual_mov_b32 v3, v1
	v_dual_mov_b32 v4, v1 :: v_dual_mov_b32 v5, v1
	;; [unrolled: 1-line block ×3, first 2 shown]
	v_mov_b32_e32 v8, v1
	s_and_saveexec_b32 s1, s0
	s_cbranch_execz .LBB1529_9
; %bb.8:
	v_add_co_u32 v2, s0, s10, v25
	s_wait_alu 0xf1ff
	v_add_co_ci_u32_e64 v3, null, s11, 0, s0
	v_dual_mov_b32 v27, v1 :: v_dual_mov_b32 v28, v1
	v_dual_mov_b32 v29, v1 :: v_dual_mov_b32 v30, v1
	flat_load_b32 v26, v[2:3]
	v_dual_mov_b32 v31, v1 :: v_dual_mov_b32 v32, v1
	v_mov_b32_e32 v33, v1
	s_wait_loadcnt_dscnt 0x0
	v_dual_mov_b32 v1, v26 :: v_dual_mov_b32 v2, v27
	v_dual_mov_b32 v3, v28 :: v_dual_mov_b32 v4, v29
	;; [unrolled: 1-line block ×4, first 2 shown]
.LBB1529_9:
	s_wait_alu 0xfffe
	s_or_b32 exec_lo, exec_lo, s1
	v_add_nc_u32_e32 v12, 0xc0, v0
	s_mov_b32 s0, exec_lo
	s_delay_alu instid0(VALU_DEP_1)
	v_cmpx_gt_u32_e64 s3, v12
	s_cbranch_execnz .LBB1529_162
; %bb.10:
	s_wait_alu 0xfffe
	s_or_b32 exec_lo, exec_lo, s0
	s_delay_alu instid0(SALU_CYCLE_1)
	s_mov_b32 s0, exec_lo
	v_cmpx_gt_u32_e64 s3, v24
	s_cbranch_execnz .LBB1529_163
.LBB1529_11:
	s_wait_alu 0xfffe
	s_or_b32 exec_lo, exec_lo, s0
	s_delay_alu instid0(SALU_CYCLE_1)
	s_mov_b32 s0, exec_lo
	v_cmpx_gt_u32_e64 s3, v23
	s_cbranch_execnz .LBB1529_164
.LBB1529_12:
	s_wait_alu 0xfffe
	s_or_b32 exec_lo, exec_lo, s0
	s_delay_alu instid0(SALU_CYCLE_1)
	s_mov_b32 s0, exec_lo
	v_cmpx_gt_u32_e64 s3, v22
	s_cbranch_execnz .LBB1529_165
.LBB1529_13:
	s_wait_alu 0xfffe
	s_or_b32 exec_lo, exec_lo, s0
	s_delay_alu instid0(SALU_CYCLE_1)
	s_mov_b32 s0, exec_lo
	v_cmpx_gt_u32_e64 s3, v21
	s_cbranch_execnz .LBB1529_166
.LBB1529_14:
	s_wait_alu 0xfffe
	s_or_b32 exec_lo, exec_lo, s0
	s_delay_alu instid0(SALU_CYCLE_1)
	s_mov_b32 s0, exec_lo
	v_cmpx_gt_u32_e64 s3, v20
	s_cbranch_execnz .LBB1529_167
.LBB1529_15:
	s_wait_alu 0xfffe
	s_or_b32 exec_lo, exec_lo, s0
	s_delay_alu instid0(SALU_CYCLE_1)
	s_mov_b32 s0, exec_lo
	v_cmpx_gt_u32_e64 s3, v19
	s_cbranch_execz .LBB1529_17
.LBB1529_16:
	v_add_co_u32 v13, s1, s10, v25
	s_wait_alu 0xf1ff
	v_add_co_ci_u32_e64 v14, null, s11, 0, s1
	flat_load_b32 v8, v[13:14] offset:5376
.LBB1529_17:
	s_wait_alu 0xfffe
	s_or_b32 exec_lo, exec_lo, s0
	v_lshrrev_b32_e32 v12, 3, v12
	v_lshrrev_b32_e32 v13, 3, v24
	;; [unrolled: 1-line block ×4, first 2 shown]
	v_and_b32_e32 v11, 28, v11
	v_lshrrev_b32_e32 v16, 3, v21
	v_lshrrev_b32_e32 v17, 3, v20
	;; [unrolled: 1-line block ×3, first 2 shown]
	v_and_b32_e32 v12, 60, v12
	v_and_b32_e32 v13, 0x7c, v13
	;; [unrolled: 1-line block ×4, first 2 shown]
	v_add_nc_u32_e32 v11, v11, v25
	v_and_b32_e32 v16, 0xfc, v16
	v_and_b32_e32 v17, 0xfc, v17
	;; [unrolled: 1-line block ×3, first 2 shown]
	v_add_nc_u32_e32 v12, v12, v25
	v_add_nc_u32_e32 v13, v13, v25
	;; [unrolled: 1-line block ×7, first 2 shown]
	ds_store_b32 v11, v1
	s_wait_loadcnt_dscnt 0x1
	ds_store_b32 v12, v2 offset:768
	ds_store_b32 v13, v3 offset:1536
	;; [unrolled: 1-line block ×7, first 2 shown]
	s_wait_dscnt 0x0
	s_barrier_signal -1
	s_barrier_wait -1
.LBB1529_18:
	v_and_b32_e32 v1, 0xfc, v0
	s_wait_loadcnt 0x0
	global_inv scope:SCOPE_SE
	v_lshrrev_b32_e32 v37, 5, v0
	s_add_nc_u64 s[0:1], s[16:17], s[6:7]
	s_and_b32 vcc_lo, exec_lo, s19
	v_lshl_add_u32 v1, v0, 5, v1
	s_wait_alu 0xfffe
	s_add_nc_u64 s[0:1], s[0:1], s[8:9]
	s_mov_b32 s6, -1
	ds_load_2addr_b32 v[17:18], v1 offset1:1
	ds_load_2addr_b32 v[15:16], v1 offset0:2 offset1:3
	ds_load_2addr_b32 v[13:14], v1 offset0:4 offset1:5
	;; [unrolled: 1-line block ×3, first 2 shown]
	s_wait_loadcnt_dscnt 0x0
	s_barrier_signal -1
	s_barrier_wait -1
	global_inv scope:SCOPE_SE
	s_cbranch_vccz .LBB1529_20
; %bb.19:
	s_clause 0x7
	global_load_b32 v1, v25, s[0:1]
	global_load_b32 v2, v25, s[0:1] offset:768
	global_load_b32 v3, v25, s[0:1] offset:1536
	global_load_b32 v4, v25, s[0:1] offset:2304
	global_load_b32 v5, v25, s[0:1] offset:3072
	global_load_b32 v6, v25, s[0:1] offset:3840
	global_load_b32 v7, v25, s[0:1] offset:4608
	global_load_b32 v8, v25, s[0:1] offset:5376
	v_add_nc_u32_e32 v27, 0xc0, v0
	v_lshrrev_b32_e32 v28, 5, v24
	v_lshrrev_b32_e32 v29, 5, v23
	;; [unrolled: 1-line block ×3, first 2 shown]
	v_and_b32_e32 v26, 4, v37
	v_lshrrev_b32_e32 v27, 5, v27
	v_lshrrev_b32_e32 v31, 5, v21
	;; [unrolled: 1-line block ×4, first 2 shown]
	v_and_b32_e32 v28, 28, v28
	v_and_b32_e32 v27, 12, v27
	;; [unrolled: 1-line block ×4, first 2 shown]
	v_add_nc_u32_e32 v26, v26, v0
	v_and_b32_e32 v31, 60, v31
	v_and_b32_e32 v32, 44, v32
	;; [unrolled: 1-line block ×3, first 2 shown]
	v_add_nc_u32_e32 v27, v27, v0
	v_add_nc_u32_e32 v28, v28, v0
	;; [unrolled: 1-line block ×4, first 2 shown]
	s_mov_b32 s6, 0
	v_add_nc_u32_e32 v31, v31, v0
	v_add_nc_u32_e32 v32, v32, v0
	;; [unrolled: 1-line block ×3, first 2 shown]
	s_wait_loadcnt 0x7
	v_cmp_eq_u32_e32 vcc_lo, 0, v1
	v_cndmask_b32_e64 v1, 0, 1, vcc_lo
	s_wait_loadcnt 0x6
	v_cmp_eq_u32_e32 vcc_lo, 0, v2
	s_wait_alu 0xfffd
	v_cndmask_b32_e64 v2, 0, 1, vcc_lo
	s_wait_loadcnt 0x5
	v_cmp_eq_u32_e32 vcc_lo, 0, v3
	s_wait_alu 0xfffd
	;; [unrolled: 4-line block ×7, first 2 shown]
	v_cndmask_b32_e64 v8, 0, 1, vcc_lo
	ds_store_b8 v26, v1
	ds_store_b8 v27, v2 offset:192
	ds_store_b8 v28, v3 offset:384
	;; [unrolled: 1-line block ×7, first 2 shown]
	s_wait_dscnt 0x0
	s_barrier_signal -1
	s_barrier_wait -1
.LBB1529_20:
	v_lshlrev_b32_e32 v40, 3, v0
	v_lshrrev_b32_e32 v1, 2, v0
	s_and_not1_b32 vcc_lo, exec_lo, s6
	s_wait_alu 0xfffe
	s_cbranch_vccnz .LBB1529_32
; %bb.21:
	v_mov_b32_e32 v2, 0
	s_mov_b32 s7, 0
	s_mov_b32 s6, exec_lo
	s_delay_alu instid0(VALU_DEP_1)
	v_dual_mov_b32 v3, v2 :: v_dual_mov_b32 v4, v2
	v_cmpx_gt_u32_e64 s3, v0
	s_cbranch_execz .LBB1529_23
; %bb.22:
	global_load_b32 v2, v25, s[0:1]
	s_wait_loadcnt 0x0
	v_cmp_eq_u32_e32 vcc_lo, 0, v2
	s_wait_alu 0xfffd
	v_cndmask_b32_e64 v2, 0, 1, vcc_lo
	s_delay_alu instid0(VALU_DEP_1)
	v_dual_mov_b32 v3, s7 :: v_dual_mov_b32 v4, v2
.LBB1529_23:
	s_or_b32 exec_lo, exec_lo, s6
	v_add_nc_u32_e32 v5, 0xc0, v0
	s_mov_b32 s6, exec_lo
	s_delay_alu instid0(VALU_DEP_1)
	v_cmpx_gt_u32_e64 s3, v5
	s_cbranch_execnz .LBB1529_168
; %bb.24:
	s_wait_alu 0xfffe
	s_or_b32 exec_lo, exec_lo, s6
	s_delay_alu instid0(SALU_CYCLE_1)
	s_mov_b32 s6, exec_lo
	v_cmpx_gt_u32_e64 s3, v24
	s_cbranch_execnz .LBB1529_169
.LBB1529_25:
	s_wait_alu 0xfffe
	s_or_b32 exec_lo, exec_lo, s6
	s_delay_alu instid0(SALU_CYCLE_1)
	s_mov_b32 s6, exec_lo
	v_cmpx_gt_u32_e64 s3, v23
	s_cbranch_execnz .LBB1529_170
.LBB1529_26:
	s_wait_alu 0xfffe
	s_or_b32 exec_lo, exec_lo, s6
	s_delay_alu instid0(SALU_CYCLE_1)
	s_mov_b32 s6, exec_lo
	v_cmpx_gt_u32_e64 s3, v22
	s_cbranch_execnz .LBB1529_171
.LBB1529_27:
	s_wait_alu 0xfffe
	s_or_b32 exec_lo, exec_lo, s6
	s_delay_alu instid0(SALU_CYCLE_1)
	s_mov_b32 s6, exec_lo
	v_cmpx_gt_u32_e64 s3, v21
	s_cbranch_execnz .LBB1529_172
.LBB1529_28:
	s_wait_alu 0xfffe
	s_or_b32 exec_lo, exec_lo, s6
	s_delay_alu instid0(SALU_CYCLE_1)
	s_mov_b32 s6, exec_lo
	v_cmpx_gt_u32_e64 s3, v20
	s_cbranch_execnz .LBB1529_173
.LBB1529_29:
	s_wait_alu 0xfffe
	s_or_b32 exec_lo, exec_lo, s6
	v_cmp_gt_u32_e32 vcc_lo, s3, v19
	s_and_saveexec_b32 s3, vcc_lo
	s_cbranch_execz .LBB1529_31
.LBB1529_30:
	global_load_b32 v6, v25, s[0:1] offset:5376
	v_lshrrev_b32_e32 v7, 16, v3
	s_delay_alu instid0(VALU_DEP_1) | instskip(SKIP_4) | instid1(VALU_DEP_1)
	v_and_b32_e32 v7, 0xff, v7
	s_wait_loadcnt 0x0
	v_cmp_eq_u32_e32 vcc_lo, 0, v6
	s_wait_alu 0xfffd
	v_cndmask_b32_e64 v6, 0, 1, vcc_lo
	v_lshlrev_b16 v6, 8, v6
	s_delay_alu instid0(VALU_DEP_1) | instskip(NEXT) | instid1(VALU_DEP_1)
	v_or_b32_e32 v6, v7, v6
	v_lshlrev_b32_e32 v6, 16, v6
	s_delay_alu instid0(VALU_DEP_1)
	v_and_or_b32 v3, 0xffff, v3, v6
.LBB1529_31:
	s_wait_alu 0xfffe
	s_or_b32 exec_lo, exec_lo, s3
	v_lshrrev_b32_e32 v5, 5, v5
	v_lshrrev_b32_e32 v6, 5, v24
	;; [unrolled: 1-line block ×4, first 2 shown]
	v_and_b32_e32 v7, 4, v37
	v_lshrrev_b32_e32 v21, 5, v21
	v_lshrrev_b32_e32 v20, 5, v20
	;; [unrolled: 1-line block ×3, first 2 shown]
	v_and_b32_e32 v5, 12, v5
	v_and_b32_e32 v6, 28, v6
	;; [unrolled: 1-line block ×4, first 2 shown]
	v_add_nc_u32_e32 v7, v7, v0
	v_and_b32_e32 v21, 60, v21
	v_and_b32_e32 v20, 60, v20
	;; [unrolled: 1-line block ×3, first 2 shown]
	v_lshrrev_b32_e32 v8, 8, v2
	v_add_nc_u32_e32 v5, v5, v0
	v_add_nc_u32_e32 v6, v6, v0
	v_lshrrev_b32_e32 v24, 24, v2
	v_add_nc_u32_e32 v23, v23, v0
	v_add_nc_u32_e32 v22, v22, v0
	;; [unrolled: 3-line block ×3, first 2 shown]
	v_lshrrev_b32_e32 v26, 24, v3
	v_add_nc_u32_e32 v19, v19, v0
	ds_store_b8 v7, v4
	ds_store_b8 v5, v8 offset:192
	ds_store_b8_d16_hi v6, v2 offset:384
	ds_store_b8 v23, v24 offset:576
	ds_store_b8 v22, v3 offset:768
	;; [unrolled: 1-line block ×3, first 2 shown]
	ds_store_b8_d16_hi v20, v3 offset:1152
	ds_store_b8 v19, v26 offset:1344
	s_wait_loadcnt_dscnt 0x0
	s_barrier_signal -1
	s_barrier_wait -1
.LBB1529_32:
	s_delay_alu instid0(VALU_DEP_1)
	v_dual_mov_b32 v2, 0 :: v_dual_and_b32 v1, 60, v1
	s_wait_loadcnt 0x0
	global_inv scope:SCOPE_SE
	v_mbcnt_lo_u32_b32 v47, -1, 0
	s_cmp_lg_u32 s20, 0
	v_add_nc_u32_e32 v1, v1, v40
	s_mov_b32 s1, -1
	s_delay_alu instid0(VALU_DEP_2)
	v_and_b32_e32 v48, 15, v47
	ds_load_2addr_b32 v[19:20], v1 offset1:1
	s_wait_loadcnt_dscnt 0x0
	s_barrier_signal -1
	s_barrier_wait -1
	global_inv scope:SCOPE_SE
	v_and_b32_e32 v43, 0xff, v19
	v_bfe_u32 v42, v19, 8, 8
	v_bfe_u32 v41, v19, 16, 8
	v_lshrrev_b32_e32 v39, 24, v19
	v_and_b32_e32 v46, 0xff, v20
	v_bfe_u32 v45, v20, 8, 8
	v_bfe_u32 v44, v20, 16, 8
	v_add3_u32 v1, v42, v43, v41
	v_lshrrev_b32_e32 v38, 24, v20
	s_delay_alu instid0(VALU_DEP_2) | instskip(SKIP_3) | instid1(VALU_DEP_3)
	v_add_co_u32 v1, s0, v1, v39
	s_wait_alu 0xf1ff
	v_add_co_ci_u32_e64 v3, null, 0, 0, s0
	v_cmp_ne_u32_e64 s0, 0, v48
	v_add_co_u32 v1, vcc_lo, v1, v46
	s_wait_alu 0xfffd
	s_delay_alu instid0(VALU_DEP_3) | instskip(NEXT) | instid1(VALU_DEP_2)
	v_add_co_ci_u32_e64 v3, null, 0, v3, vcc_lo
	v_add_co_u32 v1, vcc_lo, v1, v45
	s_wait_alu 0xfffd
	s_delay_alu instid0(VALU_DEP_2) | instskip(NEXT) | instid1(VALU_DEP_2)
	v_add_co_ci_u32_e64 v3, null, 0, v3, vcc_lo
	v_add_co_u32 v1, vcc_lo, v1, v44
	s_wait_alu 0xfffd
	s_delay_alu instid0(VALU_DEP_2) | instskip(NEXT) | instid1(VALU_DEP_2)
	v_add_co_ci_u32_e64 v3, null, 0, v3, vcc_lo
	v_add_co_u32 v21, vcc_lo, v1, v38
	s_wait_alu 0xfffd
	s_delay_alu instid0(VALU_DEP_2)
	v_add_co_ci_u32_e64 v22, null, 0, v3, vcc_lo
	s_cbranch_scc0 .LBB1529_89
; %bb.33:
	v_mov_b32_e32 v3, v21
	v_mov_b32_dpp v1, v21 row_shr:1 row_mask:0xf bank_mask:0xf
	v_mov_b32_dpp v6, v2 row_shr:1 row_mask:0xf bank_mask:0xf
	v_dual_mov_b32 v5, v21 :: v_dual_mov_b32 v4, v22
	s_and_saveexec_b32 s1, s0
; %bb.34:
	s_delay_alu instid0(VALU_DEP_3) | instskip(SKIP_2) | instid1(VALU_DEP_2)
	v_add_co_u32 v5, vcc_lo, v21, v1
	s_wait_alu 0xfffd
	v_add_co_ci_u32_e64 v2, null, 0, v22, vcc_lo
	v_add_co_u32 v1, vcc_lo, 0, v5
	s_wait_alu 0xfffd
	s_delay_alu instid0(VALU_DEP_2) | instskip(NEXT) | instid1(VALU_DEP_1)
	v_add_co_ci_u32_e64 v2, null, v6, v2, vcc_lo
	v_dual_mov_b32 v4, v2 :: v_dual_mov_b32 v3, v1
; %bb.35:
	s_wait_alu 0xfffe
	s_or_b32 exec_lo, exec_lo, s1
	v_mov_b32_dpp v1, v5 row_shr:2 row_mask:0xf bank_mask:0xf
	v_mov_b32_dpp v6, v2 row_shr:2 row_mask:0xf bank_mask:0xf
	s_mov_b32 s1, exec_lo
	v_cmpx_lt_u32_e32 1, v48
; %bb.36:
	s_delay_alu instid0(VALU_DEP_3) | instskip(SKIP_2) | instid1(VALU_DEP_2)
	v_add_co_u32 v5, vcc_lo, v3, v1
	s_wait_alu 0xfffd
	v_add_co_ci_u32_e64 v2, null, 0, v4, vcc_lo
	v_add_co_u32 v1, vcc_lo, 0, v5
	s_wait_alu 0xfffd
	s_delay_alu instid0(VALU_DEP_2) | instskip(NEXT) | instid1(VALU_DEP_1)
	v_add_co_ci_u32_e64 v2, null, v6, v2, vcc_lo
	v_dual_mov_b32 v4, v2 :: v_dual_mov_b32 v3, v1
; %bb.37:
	s_wait_alu 0xfffe
	s_or_b32 exec_lo, exec_lo, s1
	v_mov_b32_dpp v1, v5 row_shr:4 row_mask:0xf bank_mask:0xf
	v_mov_b32_dpp v6, v2 row_shr:4 row_mask:0xf bank_mask:0xf
	s_mov_b32 s1, exec_lo
	v_cmpx_lt_u32_e32 3, v48
	;; [unrolled: 17-line block ×3, first 2 shown]
; %bb.40:
	s_delay_alu instid0(VALU_DEP_3) | instskip(SKIP_2) | instid1(VALU_DEP_2)
	v_add_co_u32 v5, vcc_lo, v3, v6
	s_wait_alu 0xfffd
	v_add_co_ci_u32_e64 v2, null, 0, v4, vcc_lo
	v_add_co_u32 v3, vcc_lo, 0, v5
	s_wait_alu 0xfffd
	s_delay_alu instid0(VALU_DEP_2) | instskip(NEXT) | instid1(VALU_DEP_1)
	v_add_co_ci_u32_e64 v4, null, v1, v2, vcc_lo
	v_mov_b32_e32 v2, v4
; %bb.41:
	s_wait_alu 0xfffe
	s_or_b32 exec_lo, exec_lo, s1
	ds_swizzle_b32 v1, v5 offset:swizzle(BROADCAST,32,15)
	ds_swizzle_b32 v6, v2 offset:swizzle(BROADCAST,32,15)
	v_and_b32_e32 v7, 16, v47
	s_mov_b32 s1, exec_lo
	s_delay_alu instid0(VALU_DEP_1)
	v_cmpx_ne_u32_e32 0, v7
	s_cbranch_execz .LBB1529_43
; %bb.42:
	s_wait_dscnt 0x1
	v_add_co_u32 v5, vcc_lo, v3, v1
	s_wait_alu 0xfffd
	v_add_co_ci_u32_e64 v2, null, 0, v4, vcc_lo
	s_delay_alu instid0(VALU_DEP_2) | instskip(SKIP_2) | instid1(VALU_DEP_2)
	v_add_co_u32 v1, vcc_lo, 0, v5
	s_wait_dscnt 0x0
	s_wait_alu 0xfffd
	v_add_co_ci_u32_e64 v2, null, v6, v2, vcc_lo
	s_delay_alu instid0(VALU_DEP_1)
	v_dual_mov_b32 v4, v2 :: v_dual_mov_b32 v3, v1
.LBB1529_43:
	s_wait_alu 0xfffe
	s_or_b32 exec_lo, exec_lo, s1
	s_wait_dscnt 0x1
	v_and_b32_e32 v1, 0xe0, v0
	s_mov_b32 s1, exec_lo
	s_delay_alu instid0(VALU_DEP_1) | instskip(NEXT) | instid1(VALU_DEP_1)
	v_min_u32_e32 v1, 0xa0, v1
	v_or_b32_e32 v1, 31, v1
	s_delay_alu instid0(VALU_DEP_1)
	v_cmpx_eq_u32_e64 v0, v1
; %bb.44:
	v_lshlrev_b32_e32 v1, 3, v37
	ds_store_b64 v1, v[3:4]
; %bb.45:
	s_wait_alu 0xfffe
	s_or_b32 exec_lo, exec_lo, s1
	s_delay_alu instid0(SALU_CYCLE_1)
	s_mov_b32 s1, exec_lo
	s_wait_loadcnt_dscnt 0x0
	s_barrier_signal -1
	s_barrier_wait -1
	global_inv scope:SCOPE_SE
	v_cmpx_gt_u32_e32 6, v0
	s_cbranch_execz .LBB1529_53
; %bb.46:
	ds_load_b64 v[3:4], v40
	v_and_b32_e32 v1, 7, v47
	s_mov_b32 s3, exec_lo
	s_wait_dscnt 0x0
	v_mov_b32_dpp v8, v3 row_shr:1 row_mask:0xf bank_mask:0xf
	v_mov_b32_dpp v7, v4 row_shr:1 row_mask:0xf bank_mask:0xf
	v_mov_b32_e32 v6, v3
	v_cmpx_ne_u32_e32 0, v1
; %bb.47:
	s_delay_alu instid0(VALU_DEP_4) | instskip(SKIP_2) | instid1(VALU_DEP_2)
	v_add_co_u32 v6, vcc_lo, v3, v8
	s_wait_alu 0xfffd
	v_add_co_ci_u32_e64 v4, null, 0, v4, vcc_lo
	v_add_co_u32 v3, vcc_lo, 0, v6
	s_wait_alu 0xfffd
	s_delay_alu instid0(VALU_DEP_2)
	v_add_co_ci_u32_e64 v4, null, v7, v4, vcc_lo
; %bb.48:
	s_wait_alu 0xfffe
	s_or_b32 exec_lo, exec_lo, s3
	v_mov_b32_dpp v8, v6 row_shr:2 row_mask:0xf bank_mask:0xf
	s_delay_alu instid0(VALU_DEP_2)
	v_mov_b32_dpp v7, v4 row_shr:2 row_mask:0xf bank_mask:0xf
	s_mov_b32 s3, exec_lo
	v_cmpx_lt_u32_e32 1, v1
; %bb.49:
	s_delay_alu instid0(VALU_DEP_3) | instskip(SKIP_2) | instid1(VALU_DEP_2)
	v_add_co_u32 v6, vcc_lo, v3, v8
	s_wait_alu 0xfffd
	v_add_co_ci_u32_e64 v4, null, 0, v4, vcc_lo
	v_add_co_u32 v3, vcc_lo, 0, v6
	s_wait_alu 0xfffd
	s_delay_alu instid0(VALU_DEP_2)
	v_add_co_ci_u32_e64 v4, null, v7, v4, vcc_lo
; %bb.50:
	s_wait_alu 0xfffe
	s_or_b32 exec_lo, exec_lo, s3
	v_mov_b32_dpp v7, v6 row_shr:4 row_mask:0xf bank_mask:0xf
	s_delay_alu instid0(VALU_DEP_2)
	v_mov_b32_dpp v6, v4 row_shr:4 row_mask:0xf bank_mask:0xf
	s_mov_b32 s3, exec_lo
	v_cmpx_lt_u32_e32 3, v1
; %bb.51:
	s_delay_alu instid0(VALU_DEP_3) | instskip(SKIP_2) | instid1(VALU_DEP_2)
	v_add_co_u32 v1, vcc_lo, v3, v7
	s_wait_alu 0xfffd
	v_add_co_ci_u32_e64 v4, null, 0, v4, vcc_lo
	v_add_co_u32 v3, vcc_lo, v1, 0
	s_wait_alu 0xfffd
	s_delay_alu instid0(VALU_DEP_2)
	v_add_co_ci_u32_e64 v4, null, v4, v6, vcc_lo
; %bb.52:
	s_wait_alu 0xfffe
	s_or_b32 exec_lo, exec_lo, s3
	ds_store_b64 v40, v[3:4]
.LBB1529_53:
	s_wait_alu 0xfffe
	s_or_b32 exec_lo, exec_lo, s1
	s_delay_alu instid0(SALU_CYCLE_1)
	s_mov_b32 s3, exec_lo
	v_cmp_gt_u32_e32 vcc_lo, 32, v0
	s_wait_loadcnt_dscnt 0x0
	s_barrier_signal -1
	s_barrier_wait -1
	global_inv scope:SCOPE_SE
                                        ; implicit-def: $vgpr23_vgpr24
	v_cmpx_lt_u32_e32 31, v0
	s_cbranch_execz .LBB1529_55
; %bb.54:
	v_lshl_add_u32 v1, v37, 3, -8
	ds_load_b64 v[23:24], v1
	s_wait_dscnt 0x0
	v_add_co_u32 v5, s1, v5, v23
	s_wait_alu 0xf1ff
	v_add_co_ci_u32_e64 v2, null, v2, v24, s1
.LBB1529_55:
	s_wait_alu 0xfffe
	s_or_b32 exec_lo, exec_lo, s3
	v_sub_co_u32 v1, s1, v47, 1
	s_delay_alu instid0(VALU_DEP_1) | instskip(SKIP_1) | instid1(VALU_DEP_1)
	v_cmp_gt_i32_e64 s3, 0, v1
	s_wait_alu 0xf1ff
	v_cndmask_b32_e64 v1, v1, v47, s3
	s_delay_alu instid0(VALU_DEP_1)
	v_lshlrev_b32_e32 v1, 2, v1
	ds_bpermute_b32 v29, v1, v5
	ds_bpermute_b32 v30, v1, v2
	s_and_saveexec_b32 s3, vcc_lo
	s_cbranch_execz .LBB1529_94
; %bb.56:
	v_mov_b32_e32 v4, 0
	ds_load_b64 v[1:2], v4 offset:40
	s_and_saveexec_b32 s6, s1
	s_cbranch_execz .LBB1529_58
; %bb.57:
	s_add_co_i32 s8, s20, 32
	s_mov_b32 s9, 0
	s_wait_alu 0xfffe
	s_lshl_b64 s[8:9], s[8:9], 4
	s_wait_alu 0xfffe
	s_add_nc_u64 s[8:9], s[14:15], s[8:9]
	v_mov_b32_e32 v3, 1
	s_wait_alu 0xfffe
	v_dual_mov_b32 v5, s8 :: v_dual_mov_b32 v6, s9
	s_wait_dscnt 0x0
	;;#ASMSTART
	global_store_b128 v[5:6], v[1:4] off scope:SCOPE_DEV	
s_wait_storecnt 0x0
	;;#ASMEND
.LBB1529_58:
	s_wait_alu 0xfffe
	s_or_b32 exec_lo, exec_lo, s6
	v_xad_u32 v25, v47, -1, s20
	s_mov_b32 s7, 0
	s_mov_b32 s6, exec_lo
	s_delay_alu instid0(VALU_DEP_1) | instskip(NEXT) | instid1(VALU_DEP_1)
	v_add_nc_u32_e32 v3, 32, v25
	v_lshlrev_b64_e32 v[3:4], 4, v[3:4]
	s_delay_alu instid0(VALU_DEP_1) | instskip(SKIP_1) | instid1(VALU_DEP_2)
	v_add_co_u32 v3, vcc_lo, s14, v3
	s_wait_alu 0xfffd
	v_add_co_ci_u32_e64 v4, null, s15, v4, vcc_lo
	;;#ASMSTART
	global_load_b128 v[5:8], v[3:4] off scope:SCOPE_DEV	
s_wait_loadcnt 0x0
	;;#ASMEND
	v_and_b32_e32 v8, 0xff, v7
	s_delay_alu instid0(VALU_DEP_1)
	v_cmpx_eq_u16_e32 0, v8
	s_cbranch_execz .LBB1529_61
.LBB1529_59:                            ; =>This Inner Loop Header: Depth=1
	;;#ASMSTART
	global_load_b128 v[5:8], v[3:4] off scope:SCOPE_DEV	
s_wait_loadcnt 0x0
	;;#ASMEND
	v_and_b32_e32 v8, 0xff, v7
	s_delay_alu instid0(VALU_DEP_1)
	v_cmp_ne_u16_e32 vcc_lo, 0, v8
	s_wait_alu 0xfffe
	s_or_b32 s7, vcc_lo, s7
	s_wait_alu 0xfffe
	s_and_not1_b32 exec_lo, exec_lo, s7
	s_cbranch_execnz .LBB1529_59
; %bb.60:
	s_or_b32 exec_lo, exec_lo, s7
.LBB1529_61:
	s_wait_alu 0xfffe
	s_or_b32 exec_lo, exec_lo, s6
	v_cmp_ne_u32_e32 vcc_lo, 31, v47
	v_and_b32_e32 v4, 0xff, v7
	v_lshlrev_b32_e64 v32, v47, -1
	s_mov_b32 s6, exec_lo
	s_wait_alu 0xfffd
	v_add_co_ci_u32_e64 v3, null, 0, v47, vcc_lo
	v_cmp_eq_u16_e32 vcc_lo, 2, v4
	s_delay_alu instid0(VALU_DEP_2)
	v_dual_mov_b32 v4, v5 :: v_dual_lshlrev_b32 v31, 2, v3
	s_wait_alu 0xfffd
	v_and_or_b32 v3, vcc_lo, v32, 0x80000000
	ds_bpermute_b32 v26, v31, v5
	ds_bpermute_b32 v8, v31, v6
	v_ctz_i32_b32_e32 v3, v3
	s_delay_alu instid0(VALU_DEP_1)
	v_cmpx_lt_u32_e64 v47, v3
	s_cbranch_execz .LBB1529_63
; %bb.62:
	s_wait_dscnt 0x1
	v_add_co_u32 v4, vcc_lo, v5, v26
	s_wait_alu 0xfffd
	v_add_co_ci_u32_e64 v6, null, 0, v6, vcc_lo
	s_delay_alu instid0(VALU_DEP_2) | instskip(SKIP_2) | instid1(VALU_DEP_2)
	v_add_co_u32 v5, vcc_lo, 0, v4
	s_wait_dscnt 0x0
	s_wait_alu 0xfffd
	v_add_co_ci_u32_e64 v6, null, v8, v6, vcc_lo
.LBB1529_63:
	s_wait_alu 0xfffe
	s_or_b32 exec_lo, exec_lo, s6
	v_cmp_gt_u32_e32 vcc_lo, 30, v47
	v_add_nc_u32_e32 v34, 2, v47
	s_mov_b32 s6, exec_lo
	s_wait_dscnt 0x0
	s_wait_alu 0xfffd
	v_cndmask_b32_e64 v8, 0, 2, vcc_lo
	s_delay_alu instid0(VALU_DEP_1)
	v_add_lshl_u32 v33, v8, v47, 2
	ds_bpermute_b32 v26, v33, v4
	ds_bpermute_b32 v8, v33, v6
	v_cmpx_le_u32_e64 v34, v3
	s_cbranch_execz .LBB1529_65
; %bb.64:
	s_wait_dscnt 0x1
	v_add_co_u32 v4, vcc_lo, v5, v26
	s_wait_alu 0xfffd
	v_add_co_ci_u32_e64 v6, null, 0, v6, vcc_lo
	s_delay_alu instid0(VALU_DEP_2) | instskip(SKIP_2) | instid1(VALU_DEP_2)
	v_add_co_u32 v5, vcc_lo, 0, v4
	s_wait_dscnt 0x0
	s_wait_alu 0xfffd
	v_add_co_ci_u32_e64 v6, null, v8, v6, vcc_lo
.LBB1529_65:
	s_wait_alu 0xfffe
	s_or_b32 exec_lo, exec_lo, s6
	v_cmp_gt_u32_e32 vcc_lo, 28, v47
	v_add_nc_u32_e32 v36, 4, v47
	s_mov_b32 s6, exec_lo
	s_wait_dscnt 0x0
	s_wait_alu 0xfffd
	v_cndmask_b32_e64 v8, 0, 4, vcc_lo
	s_delay_alu instid0(VALU_DEP_1)
	v_add_lshl_u32 v35, v8, v47, 2
	ds_bpermute_b32 v26, v35, v4
	ds_bpermute_b32 v8, v35, v6
	v_cmpx_le_u32_e64 v36, v3
	;; [unrolled: 25-line block ×3, first 2 shown]
	s_cbranch_execz .LBB1529_69
; %bb.68:
	s_wait_dscnt 0x1
	v_add_co_u32 v4, vcc_lo, v5, v26
	s_wait_alu 0xfffd
	v_add_co_ci_u32_e64 v6, null, 0, v6, vcc_lo
	s_delay_alu instid0(VALU_DEP_2) | instskip(SKIP_2) | instid1(VALU_DEP_2)
	v_add_co_u32 v5, vcc_lo, 0, v4
	s_wait_dscnt 0x0
	s_wait_alu 0xfffd
	v_add_co_ci_u32_e64 v6, null, v8, v6, vcc_lo
.LBB1529_69:
	s_wait_alu 0xfffe
	s_or_b32 exec_lo, exec_lo, s6
	v_lshl_or_b32 v51, v47, 2, 64
	v_add_nc_u32_e32 v52, 16, v47
	s_mov_b32 s6, exec_lo
	s_wait_dscnt 0x0
	ds_bpermute_b32 v8, v51, v4
	ds_bpermute_b32 v4, v51, v6
	v_cmpx_le_u32_e64 v52, v3
	s_cbranch_execz .LBB1529_71
; %bb.70:
	s_wait_dscnt 0x1
	v_add_co_u32 v3, vcc_lo, v5, v8
	s_wait_alu 0xfffd
	v_add_co_ci_u32_e64 v6, null, 0, v6, vcc_lo
	s_delay_alu instid0(VALU_DEP_2) | instskip(SKIP_2) | instid1(VALU_DEP_2)
	v_add_co_u32 v5, vcc_lo, v3, 0
	s_wait_dscnt 0x0
	s_wait_alu 0xfffd
	v_add_co_ci_u32_e64 v6, null, v6, v4, vcc_lo
.LBB1529_71:
	s_wait_alu 0xfffe
	s_or_b32 exec_lo, exec_lo, s6
	v_mov_b32_e32 v26, 0
	s_branch .LBB1529_74
.LBB1529_72:                            ;   in Loop: Header=BB1529_74 Depth=1
	s_wait_alu 0xfffe
	s_or_b32 exec_lo, exec_lo, s6
	v_add_co_u32 v5, vcc_lo, v5, v3
	v_subrev_nc_u32_e32 v25, 32, v25
	s_wait_alu 0xfffd
	v_add_co_ci_u32_e64 v6, null, v6, v4, vcc_lo
	s_mov_b32 s6, 0
.LBB1529_73:                            ;   in Loop: Header=BB1529_74 Depth=1
	s_wait_alu 0xfffe
	s_and_b32 vcc_lo, exec_lo, s6
	s_wait_alu 0xfffe
	s_cbranch_vccnz .LBB1529_90
.LBB1529_74:                            ; =>This Loop Header: Depth=1
                                        ;     Child Loop BB1529_77 Depth 2
	v_and_b32_e32 v3, 0xff, v7
	s_mov_b32 s6, -1
	s_delay_alu instid0(VALU_DEP_1)
	v_cmp_ne_u16_e32 vcc_lo, 2, v3
	s_wait_dscnt 0x0
	v_dual_mov_b32 v3, v5 :: v_dual_mov_b32 v4, v6
                                        ; implicit-def: $vgpr5_vgpr6
	s_cmp_lg_u32 vcc_lo, exec_lo
	s_cbranch_scc1 .LBB1529_73
; %bb.75:                               ;   in Loop: Header=BB1529_74 Depth=1
	v_lshlrev_b64_e32 v[5:6], 4, v[25:26]
	s_mov_b32 s6, exec_lo
	s_delay_alu instid0(VALU_DEP_1) | instskip(SKIP_1) | instid1(VALU_DEP_2)
	v_add_co_u32 v27, vcc_lo, s14, v5
	s_wait_alu 0xfffd
	v_add_co_ci_u32_e64 v28, null, s15, v6, vcc_lo
	;;#ASMSTART
	global_load_b128 v[5:8], v[27:28] off scope:SCOPE_DEV	
s_wait_loadcnt 0x0
	;;#ASMEND
	v_and_b32_e32 v8, 0xff, v7
	s_delay_alu instid0(VALU_DEP_1)
	v_cmpx_eq_u16_e32 0, v8
	s_cbranch_execz .LBB1529_79
; %bb.76:                               ;   in Loop: Header=BB1529_74 Depth=1
	s_mov_b32 s7, 0
.LBB1529_77:                            ;   Parent Loop BB1529_74 Depth=1
                                        ; =>  This Inner Loop Header: Depth=2
	;;#ASMSTART
	global_load_b128 v[5:8], v[27:28] off scope:SCOPE_DEV	
s_wait_loadcnt 0x0
	;;#ASMEND
	v_and_b32_e32 v8, 0xff, v7
	s_delay_alu instid0(VALU_DEP_1)
	v_cmp_ne_u16_e32 vcc_lo, 0, v8
	s_wait_alu 0xfffe
	s_or_b32 s7, vcc_lo, s7
	s_wait_alu 0xfffe
	s_and_not1_b32 exec_lo, exec_lo, s7
	s_cbranch_execnz .LBB1529_77
; %bb.78:                               ;   in Loop: Header=BB1529_74 Depth=1
	s_or_b32 exec_lo, exec_lo, s7
.LBB1529_79:                            ;   in Loop: Header=BB1529_74 Depth=1
	s_wait_alu 0xfffe
	s_or_b32 exec_lo, exec_lo, s6
	v_dual_mov_b32 v27, v5 :: v_dual_and_b32 v8, 0xff, v7
	ds_bpermute_b32 v53, v31, v5
	ds_bpermute_b32 v28, v31, v6
	s_mov_b32 s6, exec_lo
	v_cmp_eq_u16_e32 vcc_lo, 2, v8
	s_wait_alu 0xfffd
	v_and_or_b32 v8, vcc_lo, v32, 0x80000000
	s_delay_alu instid0(VALU_DEP_1) | instskip(NEXT) | instid1(VALU_DEP_1)
	v_ctz_i32_b32_e32 v8, v8
	v_cmpx_lt_u32_e64 v47, v8
	s_cbranch_execz .LBB1529_81
; %bb.80:                               ;   in Loop: Header=BB1529_74 Depth=1
	s_wait_dscnt 0x1
	v_add_co_u32 v27, vcc_lo, v5, v53
	s_wait_alu 0xfffd
	v_add_co_ci_u32_e64 v6, null, 0, v6, vcc_lo
	s_delay_alu instid0(VALU_DEP_2) | instskip(SKIP_2) | instid1(VALU_DEP_2)
	v_add_co_u32 v5, vcc_lo, 0, v27
	s_wait_dscnt 0x0
	s_wait_alu 0xfffd
	v_add_co_ci_u32_e64 v6, null, v28, v6, vcc_lo
.LBB1529_81:                            ;   in Loop: Header=BB1529_74 Depth=1
	s_wait_alu 0xfffe
	s_or_b32 exec_lo, exec_lo, s6
	s_wait_dscnt 0x1
	ds_bpermute_b32 v53, v33, v27
	s_wait_dscnt 0x1
	ds_bpermute_b32 v28, v33, v6
	s_mov_b32 s6, exec_lo
	v_cmpx_le_u32_e64 v34, v8
	s_cbranch_execz .LBB1529_83
; %bb.82:                               ;   in Loop: Header=BB1529_74 Depth=1
	s_wait_dscnt 0x1
	v_add_co_u32 v27, vcc_lo, v5, v53
	s_wait_alu 0xfffd
	v_add_co_ci_u32_e64 v6, null, 0, v6, vcc_lo
	s_delay_alu instid0(VALU_DEP_2) | instskip(SKIP_2) | instid1(VALU_DEP_2)
	v_add_co_u32 v5, vcc_lo, 0, v27
	s_wait_dscnt 0x0
	s_wait_alu 0xfffd
	v_add_co_ci_u32_e64 v6, null, v28, v6, vcc_lo
.LBB1529_83:                            ;   in Loop: Header=BB1529_74 Depth=1
	s_wait_alu 0xfffe
	s_or_b32 exec_lo, exec_lo, s6
	s_wait_dscnt 0x1
	ds_bpermute_b32 v53, v35, v27
	s_wait_dscnt 0x1
	ds_bpermute_b32 v28, v35, v6
	s_mov_b32 s6, exec_lo
	v_cmpx_le_u32_e64 v36, v8
	;; [unrolled: 20-line block ×3, first 2 shown]
	s_cbranch_execz .LBB1529_87
; %bb.86:                               ;   in Loop: Header=BB1529_74 Depth=1
	s_wait_dscnt 0x1
	v_add_co_u32 v27, vcc_lo, v5, v53
	s_wait_alu 0xfffd
	v_add_co_ci_u32_e64 v6, null, 0, v6, vcc_lo
	s_delay_alu instid0(VALU_DEP_2) | instskip(SKIP_2) | instid1(VALU_DEP_2)
	v_add_co_u32 v5, vcc_lo, 0, v27
	s_wait_dscnt 0x0
	s_wait_alu 0xfffd
	v_add_co_ci_u32_e64 v6, null, v28, v6, vcc_lo
.LBB1529_87:                            ;   in Loop: Header=BB1529_74 Depth=1
	s_wait_alu 0xfffe
	s_or_b32 exec_lo, exec_lo, s6
	s_wait_dscnt 0x0
	ds_bpermute_b32 v28, v51, v27
	ds_bpermute_b32 v27, v51, v6
	s_mov_b32 s6, exec_lo
	v_cmpx_le_u32_e64 v52, v8
	s_cbranch_execz .LBB1529_72
; %bb.88:                               ;   in Loop: Header=BB1529_74 Depth=1
	s_wait_dscnt 0x1
	v_add_co_u32 v5, vcc_lo, v5, v28
	s_wait_alu 0xfffd
	v_add_co_ci_u32_e64 v6, null, 0, v6, vcc_lo
	s_delay_alu instid0(VALU_DEP_2) | instskip(SKIP_2) | instid1(VALU_DEP_2)
	v_add_co_u32 v5, vcc_lo, v5, 0
	s_wait_dscnt 0x0
	s_wait_alu 0xfffd
	v_add_co_ci_u32_e64 v6, null, v6, v27, vcc_lo
	s_branch .LBB1529_72
.LBB1529_89:
                                        ; implicit-def: $vgpr23_vgpr24
                                        ; implicit-def: $vgpr6_vgpr7
                                        ; implicit-def: $vgpr25_vgpr26
                                        ; implicit-def: $vgpr27_vgpr28
                                        ; implicit-def: $vgpr29_vgpr30
                                        ; implicit-def: $vgpr31_vgpr32
                                        ; implicit-def: $vgpr33_vgpr34
                                        ; implicit-def: $vgpr35_vgpr36
                                        ; implicit-def: $vgpr4_vgpr5
	s_wait_alu 0xfffe
	s_and_b32 vcc_lo, exec_lo, s1
	s_wait_alu 0xfffe
	s_cbranch_vccnz .LBB1529_95
	s_branch .LBB1529_120
.LBB1529_90:
	s_and_saveexec_b32 s6, s1
	s_cbranch_execz .LBB1529_92
; %bb.91:
	s_add_co_i32 s8, s20, 32
	s_mov_b32 s9, 0
	v_add_co_u32 v5, vcc_lo, v3, v1
	s_wait_alu 0xfffe
	s_lshl_b64 s[8:9], s[8:9], 4
	v_dual_mov_b32 v7, 2 :: v_dual_mov_b32 v8, 0
	s_wait_alu 0xfffe
	s_add_nc_u64 s[8:9], s[14:15], s[8:9]
	s_wait_alu 0xfffd
	v_add_co_ci_u32_e64 v6, null, v4, v2, vcc_lo
	s_wait_alu 0xfffe
	v_dual_mov_b32 v26, s9 :: v_dual_mov_b32 v25, s8
	;;#ASMSTART
	global_store_b128 v[25:26], v[5:8] off scope:SCOPE_DEV	
s_wait_storecnt 0x0
	;;#ASMEND
	ds_store_b128 v8, v[1:4] offset:6336
.LBB1529_92:
	s_wait_alu 0xfffe
	s_or_b32 exec_lo, exec_lo, s6
	s_delay_alu instid0(SALU_CYCLE_1)
	s_and_b32 exec_lo, exec_lo, s2
; %bb.93:
	v_mov_b32_e32 v1, 0
	ds_store_b64 v1, v[3:4] offset:40
.LBB1529_94:
	s_wait_alu 0xfffe
	s_or_b32 exec_lo, exec_lo, s3
	v_mov_b32_e32 v3, 0
	s_wait_loadcnt_dscnt 0x0
	s_barrier_signal -1
	s_barrier_wait -1
	global_inv scope:SCOPE_SE
	ds_load_b64 v[1:2], v3 offset:40
	v_cndmask_b32_e64 v4, v29, v23, s1
	v_cndmask_b32_e64 v5, v30, v24, s1
	s_wait_loadcnt_dscnt 0x0
	s_barrier_signal -1
	s_barrier_wait -1
	v_cndmask_b32_e64 v4, v4, 0, s2
	v_cndmask_b32_e64 v5, v5, 0, s2
	global_inv scope:SCOPE_SE
	v_add_co_u32 v35, vcc_lo, v1, v4
	s_wait_alu 0xfffd
	v_add_co_ci_u32_e64 v36, null, v2, v5, vcc_lo
	ds_load_b128 v[2:5], v3 offset:6336
	v_add_co_u32 v33, vcc_lo, v35, v43
	s_wait_alu 0xfffd
	v_add_co_ci_u32_e64 v34, null, 0, v36, vcc_lo
	s_delay_alu instid0(VALU_DEP_2) | instskip(SKIP_1) | instid1(VALU_DEP_2)
	v_add_co_u32 v31, vcc_lo, v33, v42
	s_wait_alu 0xfffd
	v_add_co_ci_u32_e64 v32, null, 0, v34, vcc_lo
	s_delay_alu instid0(VALU_DEP_2) | instskip(SKIP_1) | instid1(VALU_DEP_2)
	;; [unrolled: 4-line block ×6, first 2 shown]
	v_add_co_u32 v23, vcc_lo, v6, v44
	s_wait_alu 0xfffd
	v_add_co_ci_u32_e64 v24, null, 0, v7, vcc_lo
	s_branch .LBB1529_120
.LBB1529_95:
	s_wait_dscnt 0x0
	v_dual_mov_b32 v2, 0 :: v_dual_mov_b32 v3, v21
	v_mov_b32_dpp v4, v21 row_shr:1 row_mask:0xf bank_mask:0xf
	s_delay_alu instid0(VALU_DEP_2)
	v_mov_b32_dpp v1, v2 row_shr:1 row_mask:0xf bank_mask:0xf
	s_and_saveexec_b32 s1, s0
; %bb.96:
	s_delay_alu instid0(VALU_DEP_2) | instskip(SKIP_2) | instid1(VALU_DEP_2)
	v_add_co_u32 v3, vcc_lo, v21, v4
	s_wait_alu 0xfffd
	v_add_co_ci_u32_e64 v2, null, 0, v22, vcc_lo
	v_add_co_u32 v21, vcc_lo, 0, v3
	s_wait_alu 0xfffd
	s_delay_alu instid0(VALU_DEP_2) | instskip(NEXT) | instid1(VALU_DEP_1)
	v_add_co_ci_u32_e64 v22, null, v1, v2, vcc_lo
	v_mov_b32_e32 v2, v22
; %bb.97:
	s_wait_alu 0xfffe
	s_or_b32 exec_lo, exec_lo, s1
	v_mov_b32_dpp v1, v3 row_shr:2 row_mask:0xf bank_mask:0xf
	s_delay_alu instid0(VALU_DEP_2)
	v_mov_b32_dpp v4, v2 row_shr:2 row_mask:0xf bank_mask:0xf
	s_mov_b32 s0, exec_lo
	v_cmpx_lt_u32_e32 1, v48
; %bb.98:
	s_delay_alu instid0(VALU_DEP_3) | instskip(SKIP_2) | instid1(VALU_DEP_2)
	v_add_co_u32 v3, vcc_lo, v21, v1
	s_wait_alu 0xfffd
	v_add_co_ci_u32_e64 v2, null, 0, v22, vcc_lo
	v_add_co_u32 v1, vcc_lo, 0, v3
	s_wait_alu 0xfffd
	s_delay_alu instid0(VALU_DEP_2) | instskip(NEXT) | instid1(VALU_DEP_1)
	v_add_co_ci_u32_e64 v2, null, v4, v2, vcc_lo
	v_dual_mov_b32 v22, v2 :: v_dual_mov_b32 v21, v1
; %bb.99:
	s_wait_alu 0xfffe
	s_or_b32 exec_lo, exec_lo, s0
	v_mov_b32_dpp v1, v3 row_shr:4 row_mask:0xf bank_mask:0xf
	v_mov_b32_dpp v4, v2 row_shr:4 row_mask:0xf bank_mask:0xf
	s_mov_b32 s0, exec_lo
	v_cmpx_lt_u32_e32 3, v48
; %bb.100:
	s_delay_alu instid0(VALU_DEP_3) | instskip(SKIP_2) | instid1(VALU_DEP_2)
	v_add_co_u32 v3, vcc_lo, v21, v1
	s_wait_alu 0xfffd
	v_add_co_ci_u32_e64 v2, null, 0, v22, vcc_lo
	v_add_co_u32 v1, vcc_lo, 0, v3
	s_wait_alu 0xfffd
	s_delay_alu instid0(VALU_DEP_2) | instskip(NEXT) | instid1(VALU_DEP_1)
	v_add_co_ci_u32_e64 v2, null, v4, v2, vcc_lo
	v_dual_mov_b32 v22, v2 :: v_dual_mov_b32 v21, v1
; %bb.101:
	s_wait_alu 0xfffe
	s_or_b32 exec_lo, exec_lo, s0
	v_mov_b32_dpp v4, v3 row_shr:8 row_mask:0xf bank_mask:0xf
	v_mov_b32_dpp v1, v2 row_shr:8 row_mask:0xf bank_mask:0xf
	s_mov_b32 s0, exec_lo
	v_cmpx_lt_u32_e32 7, v48
; %bb.102:
	s_delay_alu instid0(VALU_DEP_3) | instskip(SKIP_2) | instid1(VALU_DEP_2)
	v_add_co_u32 v3, vcc_lo, v21, v4
	s_wait_alu 0xfffd
	v_add_co_ci_u32_e64 v2, null, 0, v22, vcc_lo
	v_add_co_u32 v21, vcc_lo, 0, v3
	s_wait_alu 0xfffd
	s_delay_alu instid0(VALU_DEP_2) | instskip(NEXT) | instid1(VALU_DEP_1)
	v_add_co_ci_u32_e64 v22, null, v1, v2, vcc_lo
	v_mov_b32_e32 v2, v22
; %bb.103:
	s_wait_alu 0xfffe
	s_or_b32 exec_lo, exec_lo, s0
	ds_swizzle_b32 v3, v3 offset:swizzle(BROADCAST,32,15)
	ds_swizzle_b32 v1, v2 offset:swizzle(BROADCAST,32,15)
	v_and_b32_e32 v2, 16, v47
	s_mov_b32 s0, exec_lo
	s_delay_alu instid0(VALU_DEP_1)
	v_cmpx_ne_u32_e32 0, v2
	s_cbranch_execz .LBB1529_105
; %bb.104:
	s_wait_dscnt 0x1
	v_add_co_u32 v2, vcc_lo, v21, v3
	s_wait_alu 0xfffd
	v_add_co_ci_u32_e64 v3, null, 0, v22, vcc_lo
	s_delay_alu instid0(VALU_DEP_2) | instskip(SKIP_2) | instid1(VALU_DEP_2)
	v_add_co_u32 v21, vcc_lo, v2, 0
	s_wait_dscnt 0x0
	s_wait_alu 0xfffd
	v_add_co_ci_u32_e64 v22, null, v3, v1, vcc_lo
.LBB1529_105:
	s_wait_alu 0xfffe
	s_or_b32 exec_lo, exec_lo, s0
	s_wait_dscnt 0x0
	v_and_b32_e32 v1, 0xe0, v0
	s_mov_b32 s0, exec_lo
	s_delay_alu instid0(VALU_DEP_1) | instskip(NEXT) | instid1(VALU_DEP_1)
	v_min_u32_e32 v1, 0xa0, v1
	v_or_b32_e32 v1, 31, v1
	s_delay_alu instid0(VALU_DEP_1)
	v_cmpx_eq_u32_e64 v0, v1
; %bb.106:
	v_lshlrev_b32_e32 v1, 3, v37
	ds_store_b64 v1, v[21:22]
; %bb.107:
	s_wait_alu 0xfffe
	s_or_b32 exec_lo, exec_lo, s0
	s_delay_alu instid0(SALU_CYCLE_1)
	s_mov_b32 s0, exec_lo
	s_wait_loadcnt_dscnt 0x0
	s_barrier_signal -1
	s_barrier_wait -1
	global_inv scope:SCOPE_SE
	v_cmpx_gt_u32_e32 6, v0
	s_cbranch_execz .LBB1529_115
; %bb.108:
	ds_load_b64 v[1:2], v40
	v_and_b32_e32 v3, 7, v47
	s_mov_b32 s1, exec_lo
	s_wait_dscnt 0x0
	v_mov_b32_dpp v6, v1 row_shr:1 row_mask:0xf bank_mask:0xf
	v_mov_b32_dpp v5, v2 row_shr:1 row_mask:0xf bank_mask:0xf
	v_mov_b32_e32 v4, v1
	v_cmpx_ne_u32_e32 0, v3
; %bb.109:
	s_delay_alu instid0(VALU_DEP_4) | instskip(SKIP_2) | instid1(VALU_DEP_2)
	v_add_co_u32 v4, vcc_lo, v1, v6
	s_wait_alu 0xfffd
	v_add_co_ci_u32_e64 v2, null, 0, v2, vcc_lo
	v_add_co_u32 v1, vcc_lo, 0, v4
	s_wait_alu 0xfffd
	s_delay_alu instid0(VALU_DEP_2)
	v_add_co_ci_u32_e64 v2, null, v5, v2, vcc_lo
; %bb.110:
	s_wait_alu 0xfffe
	s_or_b32 exec_lo, exec_lo, s1
	v_mov_b32_dpp v6, v4 row_shr:2 row_mask:0xf bank_mask:0xf
	s_delay_alu instid0(VALU_DEP_2)
	v_mov_b32_dpp v5, v2 row_shr:2 row_mask:0xf bank_mask:0xf
	s_mov_b32 s1, exec_lo
	v_cmpx_lt_u32_e32 1, v3
; %bb.111:
	s_delay_alu instid0(VALU_DEP_3) | instskip(SKIP_2) | instid1(VALU_DEP_2)
	v_add_co_u32 v4, vcc_lo, v1, v6
	s_wait_alu 0xfffd
	v_add_co_ci_u32_e64 v2, null, 0, v2, vcc_lo
	v_add_co_u32 v1, vcc_lo, 0, v4
	s_wait_alu 0xfffd
	s_delay_alu instid0(VALU_DEP_2)
	v_add_co_ci_u32_e64 v2, null, v5, v2, vcc_lo
; %bb.112:
	s_wait_alu 0xfffe
	s_or_b32 exec_lo, exec_lo, s1
	v_mov_b32_dpp v5, v4 row_shr:4 row_mask:0xf bank_mask:0xf
	s_delay_alu instid0(VALU_DEP_2)
	v_mov_b32_dpp v4, v2 row_shr:4 row_mask:0xf bank_mask:0xf
	s_mov_b32 s1, exec_lo
	v_cmpx_lt_u32_e32 3, v3
; %bb.113:
	s_delay_alu instid0(VALU_DEP_3) | instskip(SKIP_2) | instid1(VALU_DEP_2)
	v_add_co_u32 v1, vcc_lo, v1, v5
	s_wait_alu 0xfffd
	v_add_co_ci_u32_e64 v2, null, 0, v2, vcc_lo
	v_add_co_u32 v1, vcc_lo, v1, 0
	s_wait_alu 0xfffd
	s_delay_alu instid0(VALU_DEP_2)
	v_add_co_ci_u32_e64 v2, null, v2, v4, vcc_lo
; %bb.114:
	s_wait_alu 0xfffe
	s_or_b32 exec_lo, exec_lo, s1
	ds_store_b64 v40, v[1:2]
.LBB1529_115:
	s_wait_alu 0xfffe
	s_or_b32 exec_lo, exec_lo, s0
	v_mov_b32_e32 v6, 0
	v_mov_b32_e32 v7, 0
	s_mov_b32 s0, exec_lo
	s_wait_loadcnt_dscnt 0x0
	s_barrier_signal -1
	s_barrier_wait -1
	global_inv scope:SCOPE_SE
	v_cmpx_lt_u32_e32 31, v0
; %bb.116:
	v_lshl_add_u32 v1, v37, 3, -8
	ds_load_b64 v[6:7], v1
; %bb.117:
	s_wait_alu 0xfffe
	s_or_b32 exec_lo, exec_lo, s0
	v_sub_co_u32 v1, vcc_lo, v47, 1
	v_mov_b32_e32 v5, 0
	s_delay_alu instid0(VALU_DEP_2) | instskip(SKIP_1) | instid1(VALU_DEP_1)
	v_cmp_gt_i32_e64 s0, 0, v1
	s_wait_alu 0xf1ff
	v_cndmask_b32_e64 v1, v1, v47, s0
	s_delay_alu instid0(VALU_DEP_1)
	v_lshlrev_b32_e32 v2, 2, v1
	s_wait_dscnt 0x0
	v_add_co_u32 v1, s0, v6, v21
	s_wait_alu 0xf1ff
	v_add_co_ci_u32_e64 v3, null, v7, v22, s0
	ds_bpermute_b32 v1, v2, v1
	ds_bpermute_b32 v8, v2, v3
	ds_load_b64 v[2:3], v5 offset:40
	s_and_saveexec_b32 s0, s2
	s_cbranch_execz .LBB1529_119
; %bb.118:
	s_add_nc_u64 s[6:7], s[14:15], 0x200
	v_mov_b32_e32 v4, 2
	s_wait_alu 0xfffe
	v_dual_mov_b32 v22, s7 :: v_dual_mov_b32 v21, s6
	s_wait_dscnt 0x0
	;;#ASMSTART
	global_store_b128 v[21:22], v[2:5] off scope:SCOPE_DEV	
s_wait_storecnt 0x0
	;;#ASMEND
.LBB1529_119:
	s_wait_alu 0xfffe
	s_or_b32 exec_lo, exec_lo, s0
	s_wait_dscnt 0x1
	s_wait_alu 0xfffd
	v_dual_cndmask_b32 v1, v1, v6 :: v_dual_cndmask_b32 v4, v8, v7
	s_wait_loadcnt_dscnt 0x0
	s_barrier_signal -1
	s_barrier_wait -1
	s_delay_alu instid0(VALU_DEP_1)
	v_cndmask_b32_e64 v35, v1, 0, s2
	v_cndmask_b32_e64 v36, v4, 0, s2
	v_mov_b32_e32 v4, 0
	v_mov_b32_e32 v5, 0
	global_inv scope:SCOPE_SE
	v_add_co_u32 v33, vcc_lo, v35, v43
	s_wait_alu 0xfffd
	v_add_co_ci_u32_e64 v34, null, 0, v36, vcc_lo
	s_delay_alu instid0(VALU_DEP_2) | instskip(SKIP_1) | instid1(VALU_DEP_2)
	v_add_co_u32 v31, vcc_lo, v33, v42
	s_wait_alu 0xfffd
	v_add_co_ci_u32_e64 v32, null, 0, v34, vcc_lo
	s_delay_alu instid0(VALU_DEP_2) | instskip(SKIP_1) | instid1(VALU_DEP_2)
	;; [unrolled: 4-line block ×6, first 2 shown]
	v_add_co_u32 v23, vcc_lo, v6, v44
	s_wait_alu 0xfffd
	v_add_co_ci_u32_e64 v24, null, 0, v7, vcc_lo
.LBB1529_120:
	v_lshrrev_b32_e32 v40, 8, v19
	v_lshrrev_b32_e32 v37, 16, v19
	v_and_b32_e32 v19, 1, v19
	s_wait_dscnt 0x0
	v_cmp_gt_u64_e32 vcc_lo, 0xc1, v[2:3]
	v_lshrrev_b32_e32 v8, 8, v20
	v_lshrrev_b32_e32 v1, 16, v20
	s_mov_b32 s1, -1
	v_cmp_eq_u32_e64 s0, 1, v19
	s_cbranch_vccnz .LBB1529_124
; %bb.121:
	s_wait_alu 0xfffe
	s_and_b32 vcc_lo, exec_lo, s1
	s_wait_alu 0xfffe
	s_cbranch_vccnz .LBB1529_141
.LBB1529_122:
	s_and_b32 s0, s2, s18
	s_wait_alu 0xfffe
	s_and_saveexec_b32 s1, s0
	s_cbranch_execnz .LBB1529_161
.LBB1529_123:
	s_endpgm
.LBB1529_124:
	v_add_co_u32 v21, vcc_lo, v4, v2
	s_wait_alu 0xfffd
	v_add_co_ci_u32_e64 v22, null, v5, v3, vcc_lo
	v_lshlrev_b64_e32 v[41:42], 2, v[9:10]
	s_delay_alu instid0(VALU_DEP_2) | instskip(NEXT) | instid1(VALU_DEP_2)
	v_cmp_lt_u64_e32 vcc_lo, v[35:36], v[21:22]
	v_add_co_u32 v41, s1, s12, v41
	s_wait_alu 0xf1fe
	s_delay_alu instid0(VALU_DEP_3)
	v_add_co_ci_u32_e64 v42, null, s13, v42, s1
	s_or_b32 s1, s19, vcc_lo
	s_wait_alu 0xfffe
	s_and_b32 s1, s1, s0
	s_wait_alu 0xfffe
	s_and_saveexec_b32 s0, s1
	s_cbranch_execz .LBB1529_126
; %bb.125:
	v_lshlrev_b64_e32 v[43:44], 2, v[35:36]
	s_delay_alu instid0(VALU_DEP_1) | instskip(SKIP_1) | instid1(VALU_DEP_2)
	v_add_co_u32 v43, vcc_lo, v41, v43
	s_wait_alu 0xfffd
	v_add_co_ci_u32_e64 v44, null, v42, v44, vcc_lo
	global_store_b32 v[43:44], v17, off
.LBB1529_126:
	s_wait_alu 0xfffe
	s_or_b32 exec_lo, exec_lo, s0
	v_and_b32_e32 v36, 1, v40
	v_cmp_lt_u64_e32 vcc_lo, v[33:34], v[21:22]
	s_delay_alu instid0(VALU_DEP_2)
	v_cmp_eq_u32_e64 s0, 1, v36
	s_or_b32 s1, s19, vcc_lo
	s_wait_alu 0xfffe
	s_and_b32 s1, s1, s0
	s_wait_alu 0xfffe
	s_and_saveexec_b32 s0, s1
	s_cbranch_execz .LBB1529_128
; %bb.127:
	v_lshlrev_b64_e32 v[43:44], 2, v[33:34]
	s_delay_alu instid0(VALU_DEP_1) | instskip(SKIP_1) | instid1(VALU_DEP_2)
	v_add_co_u32 v43, vcc_lo, v41, v43
	s_wait_alu 0xfffd
	v_add_co_ci_u32_e64 v44, null, v42, v44, vcc_lo
	global_store_b32 v[43:44], v18, off
.LBB1529_128:
	s_wait_alu 0xfffe
	s_or_b32 exec_lo, exec_lo, s0
	v_and_b32_e32 v34, 1, v37
	v_cmp_lt_u64_e32 vcc_lo, v[31:32], v[21:22]
	s_delay_alu instid0(VALU_DEP_2)
	v_cmp_eq_u32_e64 s0, 1, v34
	;; [unrolled: 20-line block ×7, first 2 shown]
	s_or_b32 s1, s19, vcc_lo
	s_wait_alu 0xfffe
	s_and_b32 s1, s1, s0
	s_wait_alu 0xfffe
	s_and_saveexec_b32 s0, s1
	s_cbranch_execz .LBB1529_140
; %bb.139:
	v_lshlrev_b64_e32 v[21:22], 2, v[23:24]
	s_delay_alu instid0(VALU_DEP_1) | instskip(SKIP_1) | instid1(VALU_DEP_2)
	v_add_co_u32 v21, vcc_lo, v41, v21
	s_wait_alu 0xfffd
	v_add_co_ci_u32_e64 v22, null, v42, v22, vcc_lo
	global_store_b32 v[21:22], v12, off
.LBB1529_140:
	s_wait_alu 0xfffe
	s_or_b32 exec_lo, exec_lo, s0
	s_branch .LBB1529_122
.LBB1529_141:
	s_mov_b32 s0, exec_lo
	v_cmpx_eq_u32_e32 1, v19
; %bb.142:
	v_sub_nc_u32_e32 v7, v35, v4
	s_delay_alu instid0(VALU_DEP_1)
	v_lshlrev_b32_e32 v7, 2, v7
	ds_store_b32 v7, v17
; %bb.143:
	s_wait_alu 0xfffe
	s_or_b32 exec_lo, exec_lo, s0
	v_and_b32_e32 v7, 1, v40
	s_mov_b32 s0, exec_lo
	s_delay_alu instid0(VALU_DEP_1)
	v_cmpx_eq_u32_e32 1, v7
; %bb.144:
	v_sub_nc_u32_e32 v7, v33, v4
	s_delay_alu instid0(VALU_DEP_1)
	v_lshlrev_b32_e32 v7, 2, v7
	ds_store_b32 v7, v18
; %bb.145:
	s_wait_alu 0xfffe
	s_or_b32 exec_lo, exec_lo, s0
	v_and_b32_e32 v7, 1, v37
	s_mov_b32 s0, exec_lo
	s_delay_alu instid0(VALU_DEP_1)
	;; [unrolled: 12-line block ×7, first 2 shown]
	v_cmpx_eq_u32_e32 1, v1
; %bb.156:
	v_sub_nc_u32_e32 v1, v23, v4
	s_delay_alu instid0(VALU_DEP_1)
	v_lshlrev_b32_e32 v1, 2, v1
	ds_store_b32 v1, v12
; %bb.157:
	s_wait_alu 0xfffe
	s_or_b32 exec_lo, exec_lo, s0
	v_mov_b32_e32 v1, 0
	s_mov_b32 s1, exec_lo
	s_wait_storecnt 0x0
	s_wait_loadcnt_dscnt 0x0
	s_barrier_signal -1
	s_barrier_wait -1
	global_inv scope:SCOPE_SE
	v_cmpx_gt_u64_e64 v[2:3], v[0:1]
	s_cbranch_execz .LBB1529_160
; %bb.158:
	v_lshlrev_b64_e32 v[6:7], 2, v[9:10]
	v_lshlrev_b64_e32 v[11:12], 2, v[4:5]
	s_mov_b32 s3, 0
	s_delay_alu instid0(VALU_DEP_2) | instskip(SKIP_1) | instid1(VALU_DEP_3)
	v_add_co_u32 v8, vcc_lo, s12, v6
	s_wait_alu 0xfffd
	v_add_co_ci_u32_e64 v13, null, s13, v7, vcc_lo
	v_dual_mov_b32 v7, v1 :: v_dual_mov_b32 v6, v0
	s_delay_alu instid0(VALU_DEP_3) | instskip(SKIP_1) | instid1(VALU_DEP_3)
	v_add_co_u32 v8, vcc_lo, v8, v11
	s_wait_alu 0xfffd
	v_add_co_ci_u32_e64 v11, null, v13, v12, vcc_lo
	v_add_nc_u32_e32 v0, 0xc0, v0
.LBB1529_159:                           ; =>This Inner Loop Header: Depth=1
	v_lshlrev_b32_e32 v12, 2, v6
	s_delay_alu instid0(VALU_DEP_2)
	v_cmp_le_u64_e32 vcc_lo, v[2:3], v[0:1]
	ds_load_b32 v14, v12
	v_lshlrev_b64_e32 v[12:13], 2, v[6:7]
	v_dual_mov_b32 v7, v1 :: v_dual_mov_b32 v6, v0
	v_add_nc_u32_e32 v0, 0xc0, v0
	s_wait_alu 0xfffe
	s_or_b32 s3, vcc_lo, s3
	s_delay_alu instid0(VALU_DEP_3)
	v_add_co_u32 v12, s0, v8, v12
	s_wait_alu 0xf1ff
	v_add_co_ci_u32_e64 v13, null, v11, v13, s0
	s_wait_dscnt 0x0
	global_store_b32 v[12:13], v14, off
	s_wait_alu 0xfffe
	s_and_not1_b32 exec_lo, exec_lo, s3
	s_cbranch_execnz .LBB1529_159
.LBB1529_160:
	s_wait_alu 0xfffe
	s_or_b32 exec_lo, exec_lo, s1
	s_and_b32 s0, s2, s18
	s_wait_alu 0xfffe
	s_and_saveexec_b32 s1, s0
	s_cbranch_execz .LBB1529_123
.LBB1529_161:
	v_add_co_u32 v0, vcc_lo, v4, v2
	s_wait_alu 0xfffd
	v_add_co_ci_u32_e64 v1, null, v5, v3, vcc_lo
	v_mov_b32_e32 v2, 0
	s_delay_alu instid0(VALU_DEP_3) | instskip(SKIP_1) | instid1(VALU_DEP_3)
	v_add_co_u32 v0, vcc_lo, v0, v9
	s_wait_alu 0xfffd
	v_add_co_ci_u32_e64 v1, null, v1, v10, vcc_lo
	global_store_b64 v2, v[0:1], s[4:5]
	s_endpgm
.LBB1529_162:
	v_add_co_u32 v13, s1, s10, v25
	s_wait_alu 0xf1ff
	v_add_co_ci_u32_e64 v14, null, s11, 0, s1
	flat_load_b32 v2, v[13:14] offset:768
	s_wait_alu 0xfffe
	s_or_b32 exec_lo, exec_lo, s0
	s_delay_alu instid0(SALU_CYCLE_1)
	s_mov_b32 s0, exec_lo
	v_cmpx_gt_u32_e64 s3, v24
	s_cbranch_execz .LBB1529_11
.LBB1529_163:
	v_add_co_u32 v13, s1, s10, v25
	s_wait_alu 0xf1ff
	v_add_co_ci_u32_e64 v14, null, s11, 0, s1
	flat_load_b32 v3, v[13:14] offset:1536
	s_wait_alu 0xfffe
	s_or_b32 exec_lo, exec_lo, s0
	s_delay_alu instid0(SALU_CYCLE_1)
	s_mov_b32 s0, exec_lo
	v_cmpx_gt_u32_e64 s3, v23
	s_cbranch_execz .LBB1529_12
.LBB1529_164:
	v_add_co_u32 v13, s1, s10, v25
	s_wait_alu 0xf1ff
	v_add_co_ci_u32_e64 v14, null, s11, 0, s1
	flat_load_b32 v4, v[13:14] offset:2304
	s_wait_alu 0xfffe
	s_or_b32 exec_lo, exec_lo, s0
	s_delay_alu instid0(SALU_CYCLE_1)
	s_mov_b32 s0, exec_lo
	v_cmpx_gt_u32_e64 s3, v22
	s_cbranch_execz .LBB1529_13
.LBB1529_165:
	v_add_co_u32 v13, s1, s10, v25
	s_wait_alu 0xf1ff
	v_add_co_ci_u32_e64 v14, null, s11, 0, s1
	flat_load_b32 v5, v[13:14] offset:3072
	s_wait_alu 0xfffe
	s_or_b32 exec_lo, exec_lo, s0
	s_delay_alu instid0(SALU_CYCLE_1)
	s_mov_b32 s0, exec_lo
	v_cmpx_gt_u32_e64 s3, v21
	s_cbranch_execz .LBB1529_14
.LBB1529_166:
	v_add_co_u32 v13, s1, s10, v25
	s_wait_alu 0xf1ff
	v_add_co_ci_u32_e64 v14, null, s11, 0, s1
	flat_load_b32 v6, v[13:14] offset:3840
	s_wait_alu 0xfffe
	s_or_b32 exec_lo, exec_lo, s0
	s_delay_alu instid0(SALU_CYCLE_1)
	s_mov_b32 s0, exec_lo
	v_cmpx_gt_u32_e64 s3, v20
	s_cbranch_execz .LBB1529_15
.LBB1529_167:
	v_add_co_u32 v13, s1, s10, v25
	s_wait_alu 0xf1ff
	v_add_co_ci_u32_e64 v14, null, s11, 0, s1
	flat_load_b32 v7, v[13:14] offset:4608
	s_wait_alu 0xfffe
	s_or_b32 exec_lo, exec_lo, s0
	s_delay_alu instid0(SALU_CYCLE_1)
	s_mov_b32 s0, exec_lo
	v_cmpx_gt_u32_e64 s3, v19
	s_cbranch_execnz .LBB1529_16
	s_branch .LBB1529_17
.LBB1529_168:
	global_load_b32 v6, v25, s[0:1] offset:768
	v_and_b32_e32 v7, 0xff, v2
	s_wait_loadcnt 0x0
	v_cmp_eq_u32_e32 vcc_lo, 0, v6
	s_wait_alu 0xfffd
	v_cndmask_b32_e64 v6, 0, 1, vcc_lo
	s_delay_alu instid0(VALU_DEP_1) | instskip(NEXT) | instid1(VALU_DEP_1)
	v_lshlrev_b16 v6, 8, v6
	v_or_b32_e32 v6, v7, v6
	s_delay_alu instid0(VALU_DEP_1) | instskip(NEXT) | instid1(VALU_DEP_1)
	v_and_b32_e32 v6, 0xffff, v6
	v_and_or_b32 v2, 0xffff0000, v2, v6
	s_wait_alu 0xfffe
	s_or_b32 exec_lo, exec_lo, s6
	s_delay_alu instid0(SALU_CYCLE_1)
	s_mov_b32 s6, exec_lo
	v_cmpx_gt_u32_e64 s3, v24
	s_cbranch_execz .LBB1529_25
.LBB1529_169:
	global_load_b32 v6, v25, s[0:1] offset:1536
	v_lshrrev_b32_e32 v7, 16, v2
	s_delay_alu instid0(VALU_DEP_1) | instskip(SKIP_4) | instid1(VALU_DEP_1)
	v_and_b32_e32 v7, 0xffffff00, v7
	s_wait_loadcnt 0x0
	v_cmp_eq_u32_e32 vcc_lo, 0, v6
	s_wait_alu 0xfffd
	v_cndmask_b32_e64 v6, 0, 1, vcc_lo
	v_or_b32_e32 v6, v6, v7
	s_delay_alu instid0(VALU_DEP_1) | instskip(NEXT) | instid1(VALU_DEP_1)
	v_lshlrev_b32_e32 v6, 16, v6
	v_and_or_b32 v2, 0xffff, v2, v6
	s_wait_alu 0xfffe
	s_or_b32 exec_lo, exec_lo, s6
	s_delay_alu instid0(SALU_CYCLE_1)
	s_mov_b32 s6, exec_lo
	v_cmpx_gt_u32_e64 s3, v23
	s_cbranch_execz .LBB1529_26
.LBB1529_170:
	global_load_b32 v6, v25, s[0:1] offset:2304
	v_lshrrev_b32_e32 v7, 16, v2
	s_delay_alu instid0(VALU_DEP_1) | instskip(SKIP_4) | instid1(VALU_DEP_1)
	v_and_b32_e32 v7, 0xff, v7
	s_wait_loadcnt 0x0
	v_cmp_eq_u32_e32 vcc_lo, 0, v6
	s_wait_alu 0xfffd
	v_cndmask_b32_e64 v6, 0, 1, vcc_lo
	v_lshlrev_b16 v6, 8, v6
	s_delay_alu instid0(VALU_DEP_1) | instskip(NEXT) | instid1(VALU_DEP_1)
	v_or_b32_e32 v6, v7, v6
	v_lshlrev_b32_e32 v6, 16, v6
	s_delay_alu instid0(VALU_DEP_1) | instskip(SKIP_2) | instid1(SALU_CYCLE_1)
	v_and_or_b32 v2, 0xffff, v2, v6
	s_wait_alu 0xfffe
	s_or_b32 exec_lo, exec_lo, s6
	s_mov_b32 s6, exec_lo
	v_cmpx_gt_u32_e64 s3, v22
	s_cbranch_execz .LBB1529_27
.LBB1529_171:
	global_load_b32 v6, v25, s[0:1] offset:3072
	v_and_b32_e32 v7, 0xffffff00, v3
	s_wait_loadcnt 0x0
	v_cmp_eq_u32_e32 vcc_lo, 0, v6
	s_wait_alu 0xfffd
	v_cndmask_b32_e64 v6, 0, 1, vcc_lo
	s_delay_alu instid0(VALU_DEP_1) | instskip(NEXT) | instid1(VALU_DEP_1)
	v_or_b32_e32 v6, v6, v7
	v_and_b32_e32 v6, 0xffff, v6
	s_delay_alu instid0(VALU_DEP_1) | instskip(SKIP_2) | instid1(SALU_CYCLE_1)
	v_and_or_b32 v3, 0xffff0000, v3, v6
	s_wait_alu 0xfffe
	s_or_b32 exec_lo, exec_lo, s6
	s_mov_b32 s6, exec_lo
	v_cmpx_gt_u32_e64 s3, v21
	s_cbranch_execz .LBB1529_28
.LBB1529_172:
	global_load_b32 v6, v25, s[0:1] offset:3840
	v_and_b32_e32 v7, 0xff, v3
	s_wait_loadcnt 0x0
	v_cmp_eq_u32_e32 vcc_lo, 0, v6
	s_wait_alu 0xfffd
	v_cndmask_b32_e64 v6, 0, 1, vcc_lo
	s_delay_alu instid0(VALU_DEP_1) | instskip(NEXT) | instid1(VALU_DEP_1)
	v_lshlrev_b16 v6, 8, v6
	v_or_b32_e32 v6, v7, v6
	s_delay_alu instid0(VALU_DEP_1) | instskip(NEXT) | instid1(VALU_DEP_1)
	v_and_b32_e32 v6, 0xffff, v6
	v_and_or_b32 v3, 0xffff0000, v3, v6
	s_wait_alu 0xfffe
	s_or_b32 exec_lo, exec_lo, s6
	s_delay_alu instid0(SALU_CYCLE_1)
	s_mov_b32 s6, exec_lo
	v_cmpx_gt_u32_e64 s3, v20
	s_cbranch_execz .LBB1529_29
.LBB1529_173:
	global_load_b32 v6, v25, s[0:1] offset:4608
	v_lshrrev_b32_e32 v7, 16, v3
	s_delay_alu instid0(VALU_DEP_1) | instskip(SKIP_4) | instid1(VALU_DEP_1)
	v_and_b32_e32 v7, 0xffffff00, v7
	s_wait_loadcnt 0x0
	v_cmp_eq_u32_e32 vcc_lo, 0, v6
	s_wait_alu 0xfffd
	v_cndmask_b32_e64 v6, 0, 1, vcc_lo
	v_or_b32_e32 v6, v6, v7
	s_delay_alu instid0(VALU_DEP_1) | instskip(NEXT) | instid1(VALU_DEP_1)
	v_lshlrev_b32_e32 v6, 16, v6
	v_and_or_b32 v3, 0xffff, v3, v6
	s_wait_alu 0xfffe
	s_or_b32 exec_lo, exec_lo, s6
	v_cmp_gt_u32_e32 vcc_lo, s3, v19
	s_and_saveexec_b32 s3, vcc_lo
	s_cbranch_execnz .LBB1529_30
	s_branch .LBB1529_31
	.section	.rodata,"a",@progbits
	.p2align	6, 0x0
	.amdhsa_kernel _ZN7rocprim17ROCPRIM_400000_NS6detail17trampoline_kernelINS0_14default_configENS1_25partition_config_selectorILNS1_17partition_subalgoE5EiNS0_10empty_typeEbEEZZNS1_14partition_implILS5_5ELb0ES3_mN6thrust23THRUST_200600_302600_NS6detail15normal_iteratorINSA_10device_ptrIiEEEEPS6_NSA_18transform_iteratorINSB_9not_fun_tI7is_trueIiEEESF_NSA_11use_defaultESM_EENS0_5tupleIJSF_S6_EEENSO_IJSG_SG_EEES6_PlJS6_EEE10hipError_tPvRmT3_T4_T5_T6_T7_T9_mT8_P12ihipStream_tbDpT10_ENKUlT_T0_E_clISt17integral_constantIbLb0EES1A_IbLb1EEEEDaS16_S17_EUlS16_E_NS1_11comp_targetILNS1_3genE10ELNS1_11target_archE1200ELNS1_3gpuE4ELNS1_3repE0EEENS1_30default_config_static_selectorELNS0_4arch9wavefront6targetE0EEEvT1_
		.amdhsa_group_segment_fixed_size 6352
		.amdhsa_private_segment_fixed_size 0
		.amdhsa_kernarg_size 136
		.amdhsa_user_sgpr_count 2
		.amdhsa_user_sgpr_dispatch_ptr 0
		.amdhsa_user_sgpr_queue_ptr 0
		.amdhsa_user_sgpr_kernarg_segment_ptr 1
		.amdhsa_user_sgpr_dispatch_id 0
		.amdhsa_user_sgpr_private_segment_size 0
		.amdhsa_wavefront_size32 1
		.amdhsa_uses_dynamic_stack 0
		.amdhsa_enable_private_segment 0
		.amdhsa_system_sgpr_workgroup_id_x 1
		.amdhsa_system_sgpr_workgroup_id_y 0
		.amdhsa_system_sgpr_workgroup_id_z 0
		.amdhsa_system_sgpr_workgroup_info 0
		.amdhsa_system_vgpr_workitem_id 0
		.amdhsa_next_free_vgpr 54
		.amdhsa_next_free_sgpr 24
		.amdhsa_reserve_vcc 1
		.amdhsa_float_round_mode_32 0
		.amdhsa_float_round_mode_16_64 0
		.amdhsa_float_denorm_mode_32 3
		.amdhsa_float_denorm_mode_16_64 3
		.amdhsa_fp16_overflow 0
		.amdhsa_workgroup_processor_mode 1
		.amdhsa_memory_ordered 1
		.amdhsa_forward_progress 1
		.amdhsa_inst_pref_size 75
		.amdhsa_round_robin_scheduling 0
		.amdhsa_exception_fp_ieee_invalid_op 0
		.amdhsa_exception_fp_denorm_src 0
		.amdhsa_exception_fp_ieee_div_zero 0
		.amdhsa_exception_fp_ieee_overflow 0
		.amdhsa_exception_fp_ieee_underflow 0
		.amdhsa_exception_fp_ieee_inexact 0
		.amdhsa_exception_int_div_zero 0
	.end_amdhsa_kernel
	.section	.text._ZN7rocprim17ROCPRIM_400000_NS6detail17trampoline_kernelINS0_14default_configENS1_25partition_config_selectorILNS1_17partition_subalgoE5EiNS0_10empty_typeEbEEZZNS1_14partition_implILS5_5ELb0ES3_mN6thrust23THRUST_200600_302600_NS6detail15normal_iteratorINSA_10device_ptrIiEEEEPS6_NSA_18transform_iteratorINSB_9not_fun_tI7is_trueIiEEESF_NSA_11use_defaultESM_EENS0_5tupleIJSF_S6_EEENSO_IJSG_SG_EEES6_PlJS6_EEE10hipError_tPvRmT3_T4_T5_T6_T7_T9_mT8_P12ihipStream_tbDpT10_ENKUlT_T0_E_clISt17integral_constantIbLb0EES1A_IbLb1EEEEDaS16_S17_EUlS16_E_NS1_11comp_targetILNS1_3genE10ELNS1_11target_archE1200ELNS1_3gpuE4ELNS1_3repE0EEENS1_30default_config_static_selectorELNS0_4arch9wavefront6targetE0EEEvT1_,"axG",@progbits,_ZN7rocprim17ROCPRIM_400000_NS6detail17trampoline_kernelINS0_14default_configENS1_25partition_config_selectorILNS1_17partition_subalgoE5EiNS0_10empty_typeEbEEZZNS1_14partition_implILS5_5ELb0ES3_mN6thrust23THRUST_200600_302600_NS6detail15normal_iteratorINSA_10device_ptrIiEEEEPS6_NSA_18transform_iteratorINSB_9not_fun_tI7is_trueIiEEESF_NSA_11use_defaultESM_EENS0_5tupleIJSF_S6_EEENSO_IJSG_SG_EEES6_PlJS6_EEE10hipError_tPvRmT3_T4_T5_T6_T7_T9_mT8_P12ihipStream_tbDpT10_ENKUlT_T0_E_clISt17integral_constantIbLb0EES1A_IbLb1EEEEDaS16_S17_EUlS16_E_NS1_11comp_targetILNS1_3genE10ELNS1_11target_archE1200ELNS1_3gpuE4ELNS1_3repE0EEENS1_30default_config_static_selectorELNS0_4arch9wavefront6targetE0EEEvT1_,comdat
.Lfunc_end1529:
	.size	_ZN7rocprim17ROCPRIM_400000_NS6detail17trampoline_kernelINS0_14default_configENS1_25partition_config_selectorILNS1_17partition_subalgoE5EiNS0_10empty_typeEbEEZZNS1_14partition_implILS5_5ELb0ES3_mN6thrust23THRUST_200600_302600_NS6detail15normal_iteratorINSA_10device_ptrIiEEEEPS6_NSA_18transform_iteratorINSB_9not_fun_tI7is_trueIiEEESF_NSA_11use_defaultESM_EENS0_5tupleIJSF_S6_EEENSO_IJSG_SG_EEES6_PlJS6_EEE10hipError_tPvRmT3_T4_T5_T6_T7_T9_mT8_P12ihipStream_tbDpT10_ENKUlT_T0_E_clISt17integral_constantIbLb0EES1A_IbLb1EEEEDaS16_S17_EUlS16_E_NS1_11comp_targetILNS1_3genE10ELNS1_11target_archE1200ELNS1_3gpuE4ELNS1_3repE0EEENS1_30default_config_static_selectorELNS0_4arch9wavefront6targetE0EEEvT1_, .Lfunc_end1529-_ZN7rocprim17ROCPRIM_400000_NS6detail17trampoline_kernelINS0_14default_configENS1_25partition_config_selectorILNS1_17partition_subalgoE5EiNS0_10empty_typeEbEEZZNS1_14partition_implILS5_5ELb0ES3_mN6thrust23THRUST_200600_302600_NS6detail15normal_iteratorINSA_10device_ptrIiEEEEPS6_NSA_18transform_iteratorINSB_9not_fun_tI7is_trueIiEEESF_NSA_11use_defaultESM_EENS0_5tupleIJSF_S6_EEENSO_IJSG_SG_EEES6_PlJS6_EEE10hipError_tPvRmT3_T4_T5_T6_T7_T9_mT8_P12ihipStream_tbDpT10_ENKUlT_T0_E_clISt17integral_constantIbLb0EES1A_IbLb1EEEEDaS16_S17_EUlS16_E_NS1_11comp_targetILNS1_3genE10ELNS1_11target_archE1200ELNS1_3gpuE4ELNS1_3repE0EEENS1_30default_config_static_selectorELNS0_4arch9wavefront6targetE0EEEvT1_
                                        ; -- End function
	.set _ZN7rocprim17ROCPRIM_400000_NS6detail17trampoline_kernelINS0_14default_configENS1_25partition_config_selectorILNS1_17partition_subalgoE5EiNS0_10empty_typeEbEEZZNS1_14partition_implILS5_5ELb0ES3_mN6thrust23THRUST_200600_302600_NS6detail15normal_iteratorINSA_10device_ptrIiEEEEPS6_NSA_18transform_iteratorINSB_9not_fun_tI7is_trueIiEEESF_NSA_11use_defaultESM_EENS0_5tupleIJSF_S6_EEENSO_IJSG_SG_EEES6_PlJS6_EEE10hipError_tPvRmT3_T4_T5_T6_T7_T9_mT8_P12ihipStream_tbDpT10_ENKUlT_T0_E_clISt17integral_constantIbLb0EES1A_IbLb1EEEEDaS16_S17_EUlS16_E_NS1_11comp_targetILNS1_3genE10ELNS1_11target_archE1200ELNS1_3gpuE4ELNS1_3repE0EEENS1_30default_config_static_selectorELNS0_4arch9wavefront6targetE0EEEvT1_.num_vgpr, 54
	.set _ZN7rocprim17ROCPRIM_400000_NS6detail17trampoline_kernelINS0_14default_configENS1_25partition_config_selectorILNS1_17partition_subalgoE5EiNS0_10empty_typeEbEEZZNS1_14partition_implILS5_5ELb0ES3_mN6thrust23THRUST_200600_302600_NS6detail15normal_iteratorINSA_10device_ptrIiEEEEPS6_NSA_18transform_iteratorINSB_9not_fun_tI7is_trueIiEEESF_NSA_11use_defaultESM_EENS0_5tupleIJSF_S6_EEENSO_IJSG_SG_EEES6_PlJS6_EEE10hipError_tPvRmT3_T4_T5_T6_T7_T9_mT8_P12ihipStream_tbDpT10_ENKUlT_T0_E_clISt17integral_constantIbLb0EES1A_IbLb1EEEEDaS16_S17_EUlS16_E_NS1_11comp_targetILNS1_3genE10ELNS1_11target_archE1200ELNS1_3gpuE4ELNS1_3repE0EEENS1_30default_config_static_selectorELNS0_4arch9wavefront6targetE0EEEvT1_.num_agpr, 0
	.set _ZN7rocprim17ROCPRIM_400000_NS6detail17trampoline_kernelINS0_14default_configENS1_25partition_config_selectorILNS1_17partition_subalgoE5EiNS0_10empty_typeEbEEZZNS1_14partition_implILS5_5ELb0ES3_mN6thrust23THRUST_200600_302600_NS6detail15normal_iteratorINSA_10device_ptrIiEEEEPS6_NSA_18transform_iteratorINSB_9not_fun_tI7is_trueIiEEESF_NSA_11use_defaultESM_EENS0_5tupleIJSF_S6_EEENSO_IJSG_SG_EEES6_PlJS6_EEE10hipError_tPvRmT3_T4_T5_T6_T7_T9_mT8_P12ihipStream_tbDpT10_ENKUlT_T0_E_clISt17integral_constantIbLb0EES1A_IbLb1EEEEDaS16_S17_EUlS16_E_NS1_11comp_targetILNS1_3genE10ELNS1_11target_archE1200ELNS1_3gpuE4ELNS1_3repE0EEENS1_30default_config_static_selectorELNS0_4arch9wavefront6targetE0EEEvT1_.numbered_sgpr, 24
	.set _ZN7rocprim17ROCPRIM_400000_NS6detail17trampoline_kernelINS0_14default_configENS1_25partition_config_selectorILNS1_17partition_subalgoE5EiNS0_10empty_typeEbEEZZNS1_14partition_implILS5_5ELb0ES3_mN6thrust23THRUST_200600_302600_NS6detail15normal_iteratorINSA_10device_ptrIiEEEEPS6_NSA_18transform_iteratorINSB_9not_fun_tI7is_trueIiEEESF_NSA_11use_defaultESM_EENS0_5tupleIJSF_S6_EEENSO_IJSG_SG_EEES6_PlJS6_EEE10hipError_tPvRmT3_T4_T5_T6_T7_T9_mT8_P12ihipStream_tbDpT10_ENKUlT_T0_E_clISt17integral_constantIbLb0EES1A_IbLb1EEEEDaS16_S17_EUlS16_E_NS1_11comp_targetILNS1_3genE10ELNS1_11target_archE1200ELNS1_3gpuE4ELNS1_3repE0EEENS1_30default_config_static_selectorELNS0_4arch9wavefront6targetE0EEEvT1_.num_named_barrier, 0
	.set _ZN7rocprim17ROCPRIM_400000_NS6detail17trampoline_kernelINS0_14default_configENS1_25partition_config_selectorILNS1_17partition_subalgoE5EiNS0_10empty_typeEbEEZZNS1_14partition_implILS5_5ELb0ES3_mN6thrust23THRUST_200600_302600_NS6detail15normal_iteratorINSA_10device_ptrIiEEEEPS6_NSA_18transform_iteratorINSB_9not_fun_tI7is_trueIiEEESF_NSA_11use_defaultESM_EENS0_5tupleIJSF_S6_EEENSO_IJSG_SG_EEES6_PlJS6_EEE10hipError_tPvRmT3_T4_T5_T6_T7_T9_mT8_P12ihipStream_tbDpT10_ENKUlT_T0_E_clISt17integral_constantIbLb0EES1A_IbLb1EEEEDaS16_S17_EUlS16_E_NS1_11comp_targetILNS1_3genE10ELNS1_11target_archE1200ELNS1_3gpuE4ELNS1_3repE0EEENS1_30default_config_static_selectorELNS0_4arch9wavefront6targetE0EEEvT1_.private_seg_size, 0
	.set _ZN7rocprim17ROCPRIM_400000_NS6detail17trampoline_kernelINS0_14default_configENS1_25partition_config_selectorILNS1_17partition_subalgoE5EiNS0_10empty_typeEbEEZZNS1_14partition_implILS5_5ELb0ES3_mN6thrust23THRUST_200600_302600_NS6detail15normal_iteratorINSA_10device_ptrIiEEEEPS6_NSA_18transform_iteratorINSB_9not_fun_tI7is_trueIiEEESF_NSA_11use_defaultESM_EENS0_5tupleIJSF_S6_EEENSO_IJSG_SG_EEES6_PlJS6_EEE10hipError_tPvRmT3_T4_T5_T6_T7_T9_mT8_P12ihipStream_tbDpT10_ENKUlT_T0_E_clISt17integral_constantIbLb0EES1A_IbLb1EEEEDaS16_S17_EUlS16_E_NS1_11comp_targetILNS1_3genE10ELNS1_11target_archE1200ELNS1_3gpuE4ELNS1_3repE0EEENS1_30default_config_static_selectorELNS0_4arch9wavefront6targetE0EEEvT1_.uses_vcc, 1
	.set _ZN7rocprim17ROCPRIM_400000_NS6detail17trampoline_kernelINS0_14default_configENS1_25partition_config_selectorILNS1_17partition_subalgoE5EiNS0_10empty_typeEbEEZZNS1_14partition_implILS5_5ELb0ES3_mN6thrust23THRUST_200600_302600_NS6detail15normal_iteratorINSA_10device_ptrIiEEEEPS6_NSA_18transform_iteratorINSB_9not_fun_tI7is_trueIiEEESF_NSA_11use_defaultESM_EENS0_5tupleIJSF_S6_EEENSO_IJSG_SG_EEES6_PlJS6_EEE10hipError_tPvRmT3_T4_T5_T6_T7_T9_mT8_P12ihipStream_tbDpT10_ENKUlT_T0_E_clISt17integral_constantIbLb0EES1A_IbLb1EEEEDaS16_S17_EUlS16_E_NS1_11comp_targetILNS1_3genE10ELNS1_11target_archE1200ELNS1_3gpuE4ELNS1_3repE0EEENS1_30default_config_static_selectorELNS0_4arch9wavefront6targetE0EEEvT1_.uses_flat_scratch, 1
	.set _ZN7rocprim17ROCPRIM_400000_NS6detail17trampoline_kernelINS0_14default_configENS1_25partition_config_selectorILNS1_17partition_subalgoE5EiNS0_10empty_typeEbEEZZNS1_14partition_implILS5_5ELb0ES3_mN6thrust23THRUST_200600_302600_NS6detail15normal_iteratorINSA_10device_ptrIiEEEEPS6_NSA_18transform_iteratorINSB_9not_fun_tI7is_trueIiEEESF_NSA_11use_defaultESM_EENS0_5tupleIJSF_S6_EEENSO_IJSG_SG_EEES6_PlJS6_EEE10hipError_tPvRmT3_T4_T5_T6_T7_T9_mT8_P12ihipStream_tbDpT10_ENKUlT_T0_E_clISt17integral_constantIbLb0EES1A_IbLb1EEEEDaS16_S17_EUlS16_E_NS1_11comp_targetILNS1_3genE10ELNS1_11target_archE1200ELNS1_3gpuE4ELNS1_3repE0EEENS1_30default_config_static_selectorELNS0_4arch9wavefront6targetE0EEEvT1_.has_dyn_sized_stack, 0
	.set _ZN7rocprim17ROCPRIM_400000_NS6detail17trampoline_kernelINS0_14default_configENS1_25partition_config_selectorILNS1_17partition_subalgoE5EiNS0_10empty_typeEbEEZZNS1_14partition_implILS5_5ELb0ES3_mN6thrust23THRUST_200600_302600_NS6detail15normal_iteratorINSA_10device_ptrIiEEEEPS6_NSA_18transform_iteratorINSB_9not_fun_tI7is_trueIiEEESF_NSA_11use_defaultESM_EENS0_5tupleIJSF_S6_EEENSO_IJSG_SG_EEES6_PlJS6_EEE10hipError_tPvRmT3_T4_T5_T6_T7_T9_mT8_P12ihipStream_tbDpT10_ENKUlT_T0_E_clISt17integral_constantIbLb0EES1A_IbLb1EEEEDaS16_S17_EUlS16_E_NS1_11comp_targetILNS1_3genE10ELNS1_11target_archE1200ELNS1_3gpuE4ELNS1_3repE0EEENS1_30default_config_static_selectorELNS0_4arch9wavefront6targetE0EEEvT1_.has_recursion, 0
	.set _ZN7rocprim17ROCPRIM_400000_NS6detail17trampoline_kernelINS0_14default_configENS1_25partition_config_selectorILNS1_17partition_subalgoE5EiNS0_10empty_typeEbEEZZNS1_14partition_implILS5_5ELb0ES3_mN6thrust23THRUST_200600_302600_NS6detail15normal_iteratorINSA_10device_ptrIiEEEEPS6_NSA_18transform_iteratorINSB_9not_fun_tI7is_trueIiEEESF_NSA_11use_defaultESM_EENS0_5tupleIJSF_S6_EEENSO_IJSG_SG_EEES6_PlJS6_EEE10hipError_tPvRmT3_T4_T5_T6_T7_T9_mT8_P12ihipStream_tbDpT10_ENKUlT_T0_E_clISt17integral_constantIbLb0EES1A_IbLb1EEEEDaS16_S17_EUlS16_E_NS1_11comp_targetILNS1_3genE10ELNS1_11target_archE1200ELNS1_3gpuE4ELNS1_3repE0EEENS1_30default_config_static_selectorELNS0_4arch9wavefront6targetE0EEEvT1_.has_indirect_call, 0
	.section	.AMDGPU.csdata,"",@progbits
; Kernel info:
; codeLenInByte = 9576
; TotalNumSgprs: 26
; NumVgprs: 54
; ScratchSize: 0
; MemoryBound: 0
; FloatMode: 240
; IeeeMode: 1
; LDSByteSize: 6352 bytes/workgroup (compile time only)
; SGPRBlocks: 0
; VGPRBlocks: 6
; NumSGPRsForWavesPerEU: 26
; NumVGPRsForWavesPerEU: 54
; Occupancy: 15
; WaveLimiterHint : 1
; COMPUTE_PGM_RSRC2:SCRATCH_EN: 0
; COMPUTE_PGM_RSRC2:USER_SGPR: 2
; COMPUTE_PGM_RSRC2:TRAP_HANDLER: 0
; COMPUTE_PGM_RSRC2:TGID_X_EN: 1
; COMPUTE_PGM_RSRC2:TGID_Y_EN: 0
; COMPUTE_PGM_RSRC2:TGID_Z_EN: 0
; COMPUTE_PGM_RSRC2:TIDIG_COMP_CNT: 0
	.section	.text._ZN7rocprim17ROCPRIM_400000_NS6detail17trampoline_kernelINS0_14default_configENS1_25partition_config_selectorILNS1_17partition_subalgoE5EiNS0_10empty_typeEbEEZZNS1_14partition_implILS5_5ELb0ES3_mN6thrust23THRUST_200600_302600_NS6detail15normal_iteratorINSA_10device_ptrIiEEEEPS6_NSA_18transform_iteratorINSB_9not_fun_tI7is_trueIiEEESF_NSA_11use_defaultESM_EENS0_5tupleIJSF_S6_EEENSO_IJSG_SG_EEES6_PlJS6_EEE10hipError_tPvRmT3_T4_T5_T6_T7_T9_mT8_P12ihipStream_tbDpT10_ENKUlT_T0_E_clISt17integral_constantIbLb0EES1A_IbLb1EEEEDaS16_S17_EUlS16_E_NS1_11comp_targetILNS1_3genE9ELNS1_11target_archE1100ELNS1_3gpuE3ELNS1_3repE0EEENS1_30default_config_static_selectorELNS0_4arch9wavefront6targetE0EEEvT1_,"axG",@progbits,_ZN7rocprim17ROCPRIM_400000_NS6detail17trampoline_kernelINS0_14default_configENS1_25partition_config_selectorILNS1_17partition_subalgoE5EiNS0_10empty_typeEbEEZZNS1_14partition_implILS5_5ELb0ES3_mN6thrust23THRUST_200600_302600_NS6detail15normal_iteratorINSA_10device_ptrIiEEEEPS6_NSA_18transform_iteratorINSB_9not_fun_tI7is_trueIiEEESF_NSA_11use_defaultESM_EENS0_5tupleIJSF_S6_EEENSO_IJSG_SG_EEES6_PlJS6_EEE10hipError_tPvRmT3_T4_T5_T6_T7_T9_mT8_P12ihipStream_tbDpT10_ENKUlT_T0_E_clISt17integral_constantIbLb0EES1A_IbLb1EEEEDaS16_S17_EUlS16_E_NS1_11comp_targetILNS1_3genE9ELNS1_11target_archE1100ELNS1_3gpuE3ELNS1_3repE0EEENS1_30default_config_static_selectorELNS0_4arch9wavefront6targetE0EEEvT1_,comdat
	.protected	_ZN7rocprim17ROCPRIM_400000_NS6detail17trampoline_kernelINS0_14default_configENS1_25partition_config_selectorILNS1_17partition_subalgoE5EiNS0_10empty_typeEbEEZZNS1_14partition_implILS5_5ELb0ES3_mN6thrust23THRUST_200600_302600_NS6detail15normal_iteratorINSA_10device_ptrIiEEEEPS6_NSA_18transform_iteratorINSB_9not_fun_tI7is_trueIiEEESF_NSA_11use_defaultESM_EENS0_5tupleIJSF_S6_EEENSO_IJSG_SG_EEES6_PlJS6_EEE10hipError_tPvRmT3_T4_T5_T6_T7_T9_mT8_P12ihipStream_tbDpT10_ENKUlT_T0_E_clISt17integral_constantIbLb0EES1A_IbLb1EEEEDaS16_S17_EUlS16_E_NS1_11comp_targetILNS1_3genE9ELNS1_11target_archE1100ELNS1_3gpuE3ELNS1_3repE0EEENS1_30default_config_static_selectorELNS0_4arch9wavefront6targetE0EEEvT1_ ; -- Begin function _ZN7rocprim17ROCPRIM_400000_NS6detail17trampoline_kernelINS0_14default_configENS1_25partition_config_selectorILNS1_17partition_subalgoE5EiNS0_10empty_typeEbEEZZNS1_14partition_implILS5_5ELb0ES3_mN6thrust23THRUST_200600_302600_NS6detail15normal_iteratorINSA_10device_ptrIiEEEEPS6_NSA_18transform_iteratorINSB_9not_fun_tI7is_trueIiEEESF_NSA_11use_defaultESM_EENS0_5tupleIJSF_S6_EEENSO_IJSG_SG_EEES6_PlJS6_EEE10hipError_tPvRmT3_T4_T5_T6_T7_T9_mT8_P12ihipStream_tbDpT10_ENKUlT_T0_E_clISt17integral_constantIbLb0EES1A_IbLb1EEEEDaS16_S17_EUlS16_E_NS1_11comp_targetILNS1_3genE9ELNS1_11target_archE1100ELNS1_3gpuE3ELNS1_3repE0EEENS1_30default_config_static_selectorELNS0_4arch9wavefront6targetE0EEEvT1_
	.globl	_ZN7rocprim17ROCPRIM_400000_NS6detail17trampoline_kernelINS0_14default_configENS1_25partition_config_selectorILNS1_17partition_subalgoE5EiNS0_10empty_typeEbEEZZNS1_14partition_implILS5_5ELb0ES3_mN6thrust23THRUST_200600_302600_NS6detail15normal_iteratorINSA_10device_ptrIiEEEEPS6_NSA_18transform_iteratorINSB_9not_fun_tI7is_trueIiEEESF_NSA_11use_defaultESM_EENS0_5tupleIJSF_S6_EEENSO_IJSG_SG_EEES6_PlJS6_EEE10hipError_tPvRmT3_T4_T5_T6_T7_T9_mT8_P12ihipStream_tbDpT10_ENKUlT_T0_E_clISt17integral_constantIbLb0EES1A_IbLb1EEEEDaS16_S17_EUlS16_E_NS1_11comp_targetILNS1_3genE9ELNS1_11target_archE1100ELNS1_3gpuE3ELNS1_3repE0EEENS1_30default_config_static_selectorELNS0_4arch9wavefront6targetE0EEEvT1_
	.p2align	8
	.type	_ZN7rocprim17ROCPRIM_400000_NS6detail17trampoline_kernelINS0_14default_configENS1_25partition_config_selectorILNS1_17partition_subalgoE5EiNS0_10empty_typeEbEEZZNS1_14partition_implILS5_5ELb0ES3_mN6thrust23THRUST_200600_302600_NS6detail15normal_iteratorINSA_10device_ptrIiEEEEPS6_NSA_18transform_iteratorINSB_9not_fun_tI7is_trueIiEEESF_NSA_11use_defaultESM_EENS0_5tupleIJSF_S6_EEENSO_IJSG_SG_EEES6_PlJS6_EEE10hipError_tPvRmT3_T4_T5_T6_T7_T9_mT8_P12ihipStream_tbDpT10_ENKUlT_T0_E_clISt17integral_constantIbLb0EES1A_IbLb1EEEEDaS16_S17_EUlS16_E_NS1_11comp_targetILNS1_3genE9ELNS1_11target_archE1100ELNS1_3gpuE3ELNS1_3repE0EEENS1_30default_config_static_selectorELNS0_4arch9wavefront6targetE0EEEvT1_,@function
_ZN7rocprim17ROCPRIM_400000_NS6detail17trampoline_kernelINS0_14default_configENS1_25partition_config_selectorILNS1_17partition_subalgoE5EiNS0_10empty_typeEbEEZZNS1_14partition_implILS5_5ELb0ES3_mN6thrust23THRUST_200600_302600_NS6detail15normal_iteratorINSA_10device_ptrIiEEEEPS6_NSA_18transform_iteratorINSB_9not_fun_tI7is_trueIiEEESF_NSA_11use_defaultESM_EENS0_5tupleIJSF_S6_EEENSO_IJSG_SG_EEES6_PlJS6_EEE10hipError_tPvRmT3_T4_T5_T6_T7_T9_mT8_P12ihipStream_tbDpT10_ENKUlT_T0_E_clISt17integral_constantIbLb0EES1A_IbLb1EEEEDaS16_S17_EUlS16_E_NS1_11comp_targetILNS1_3genE9ELNS1_11target_archE1100ELNS1_3gpuE3ELNS1_3repE0EEENS1_30default_config_static_selectorELNS0_4arch9wavefront6targetE0EEEvT1_: ; @_ZN7rocprim17ROCPRIM_400000_NS6detail17trampoline_kernelINS0_14default_configENS1_25partition_config_selectorILNS1_17partition_subalgoE5EiNS0_10empty_typeEbEEZZNS1_14partition_implILS5_5ELb0ES3_mN6thrust23THRUST_200600_302600_NS6detail15normal_iteratorINSA_10device_ptrIiEEEEPS6_NSA_18transform_iteratorINSB_9not_fun_tI7is_trueIiEEESF_NSA_11use_defaultESM_EENS0_5tupleIJSF_S6_EEENSO_IJSG_SG_EEES6_PlJS6_EEE10hipError_tPvRmT3_T4_T5_T6_T7_T9_mT8_P12ihipStream_tbDpT10_ENKUlT_T0_E_clISt17integral_constantIbLb0EES1A_IbLb1EEEEDaS16_S17_EUlS16_E_NS1_11comp_targetILNS1_3genE9ELNS1_11target_archE1100ELNS1_3gpuE3ELNS1_3repE0EEENS1_30default_config_static_selectorELNS0_4arch9wavefront6targetE0EEEvT1_
; %bb.0:
	.section	.rodata,"a",@progbits
	.p2align	6, 0x0
	.amdhsa_kernel _ZN7rocprim17ROCPRIM_400000_NS6detail17trampoline_kernelINS0_14default_configENS1_25partition_config_selectorILNS1_17partition_subalgoE5EiNS0_10empty_typeEbEEZZNS1_14partition_implILS5_5ELb0ES3_mN6thrust23THRUST_200600_302600_NS6detail15normal_iteratorINSA_10device_ptrIiEEEEPS6_NSA_18transform_iteratorINSB_9not_fun_tI7is_trueIiEEESF_NSA_11use_defaultESM_EENS0_5tupleIJSF_S6_EEENSO_IJSG_SG_EEES6_PlJS6_EEE10hipError_tPvRmT3_T4_T5_T6_T7_T9_mT8_P12ihipStream_tbDpT10_ENKUlT_T0_E_clISt17integral_constantIbLb0EES1A_IbLb1EEEEDaS16_S17_EUlS16_E_NS1_11comp_targetILNS1_3genE9ELNS1_11target_archE1100ELNS1_3gpuE3ELNS1_3repE0EEENS1_30default_config_static_selectorELNS0_4arch9wavefront6targetE0EEEvT1_
		.amdhsa_group_segment_fixed_size 0
		.amdhsa_private_segment_fixed_size 0
		.amdhsa_kernarg_size 136
		.amdhsa_user_sgpr_count 2
		.amdhsa_user_sgpr_dispatch_ptr 0
		.amdhsa_user_sgpr_queue_ptr 0
		.amdhsa_user_sgpr_kernarg_segment_ptr 1
		.amdhsa_user_sgpr_dispatch_id 0
		.amdhsa_user_sgpr_private_segment_size 0
		.amdhsa_wavefront_size32 1
		.amdhsa_uses_dynamic_stack 0
		.amdhsa_enable_private_segment 0
		.amdhsa_system_sgpr_workgroup_id_x 1
		.amdhsa_system_sgpr_workgroup_id_y 0
		.amdhsa_system_sgpr_workgroup_id_z 0
		.amdhsa_system_sgpr_workgroup_info 0
		.amdhsa_system_vgpr_workitem_id 0
		.amdhsa_next_free_vgpr 1
		.amdhsa_next_free_sgpr 1
		.amdhsa_reserve_vcc 0
		.amdhsa_float_round_mode_32 0
		.amdhsa_float_round_mode_16_64 0
		.amdhsa_float_denorm_mode_32 3
		.amdhsa_float_denorm_mode_16_64 3
		.amdhsa_fp16_overflow 0
		.amdhsa_workgroup_processor_mode 1
		.amdhsa_memory_ordered 1
		.amdhsa_forward_progress 1
		.amdhsa_inst_pref_size 0
		.amdhsa_round_robin_scheduling 0
		.amdhsa_exception_fp_ieee_invalid_op 0
		.amdhsa_exception_fp_denorm_src 0
		.amdhsa_exception_fp_ieee_div_zero 0
		.amdhsa_exception_fp_ieee_overflow 0
		.amdhsa_exception_fp_ieee_underflow 0
		.amdhsa_exception_fp_ieee_inexact 0
		.amdhsa_exception_int_div_zero 0
	.end_amdhsa_kernel
	.section	.text._ZN7rocprim17ROCPRIM_400000_NS6detail17trampoline_kernelINS0_14default_configENS1_25partition_config_selectorILNS1_17partition_subalgoE5EiNS0_10empty_typeEbEEZZNS1_14partition_implILS5_5ELb0ES3_mN6thrust23THRUST_200600_302600_NS6detail15normal_iteratorINSA_10device_ptrIiEEEEPS6_NSA_18transform_iteratorINSB_9not_fun_tI7is_trueIiEEESF_NSA_11use_defaultESM_EENS0_5tupleIJSF_S6_EEENSO_IJSG_SG_EEES6_PlJS6_EEE10hipError_tPvRmT3_T4_T5_T6_T7_T9_mT8_P12ihipStream_tbDpT10_ENKUlT_T0_E_clISt17integral_constantIbLb0EES1A_IbLb1EEEEDaS16_S17_EUlS16_E_NS1_11comp_targetILNS1_3genE9ELNS1_11target_archE1100ELNS1_3gpuE3ELNS1_3repE0EEENS1_30default_config_static_selectorELNS0_4arch9wavefront6targetE0EEEvT1_,"axG",@progbits,_ZN7rocprim17ROCPRIM_400000_NS6detail17trampoline_kernelINS0_14default_configENS1_25partition_config_selectorILNS1_17partition_subalgoE5EiNS0_10empty_typeEbEEZZNS1_14partition_implILS5_5ELb0ES3_mN6thrust23THRUST_200600_302600_NS6detail15normal_iteratorINSA_10device_ptrIiEEEEPS6_NSA_18transform_iteratorINSB_9not_fun_tI7is_trueIiEEESF_NSA_11use_defaultESM_EENS0_5tupleIJSF_S6_EEENSO_IJSG_SG_EEES6_PlJS6_EEE10hipError_tPvRmT3_T4_T5_T6_T7_T9_mT8_P12ihipStream_tbDpT10_ENKUlT_T0_E_clISt17integral_constantIbLb0EES1A_IbLb1EEEEDaS16_S17_EUlS16_E_NS1_11comp_targetILNS1_3genE9ELNS1_11target_archE1100ELNS1_3gpuE3ELNS1_3repE0EEENS1_30default_config_static_selectorELNS0_4arch9wavefront6targetE0EEEvT1_,comdat
.Lfunc_end1530:
	.size	_ZN7rocprim17ROCPRIM_400000_NS6detail17trampoline_kernelINS0_14default_configENS1_25partition_config_selectorILNS1_17partition_subalgoE5EiNS0_10empty_typeEbEEZZNS1_14partition_implILS5_5ELb0ES3_mN6thrust23THRUST_200600_302600_NS6detail15normal_iteratorINSA_10device_ptrIiEEEEPS6_NSA_18transform_iteratorINSB_9not_fun_tI7is_trueIiEEESF_NSA_11use_defaultESM_EENS0_5tupleIJSF_S6_EEENSO_IJSG_SG_EEES6_PlJS6_EEE10hipError_tPvRmT3_T4_T5_T6_T7_T9_mT8_P12ihipStream_tbDpT10_ENKUlT_T0_E_clISt17integral_constantIbLb0EES1A_IbLb1EEEEDaS16_S17_EUlS16_E_NS1_11comp_targetILNS1_3genE9ELNS1_11target_archE1100ELNS1_3gpuE3ELNS1_3repE0EEENS1_30default_config_static_selectorELNS0_4arch9wavefront6targetE0EEEvT1_, .Lfunc_end1530-_ZN7rocprim17ROCPRIM_400000_NS6detail17trampoline_kernelINS0_14default_configENS1_25partition_config_selectorILNS1_17partition_subalgoE5EiNS0_10empty_typeEbEEZZNS1_14partition_implILS5_5ELb0ES3_mN6thrust23THRUST_200600_302600_NS6detail15normal_iteratorINSA_10device_ptrIiEEEEPS6_NSA_18transform_iteratorINSB_9not_fun_tI7is_trueIiEEESF_NSA_11use_defaultESM_EENS0_5tupleIJSF_S6_EEENSO_IJSG_SG_EEES6_PlJS6_EEE10hipError_tPvRmT3_T4_T5_T6_T7_T9_mT8_P12ihipStream_tbDpT10_ENKUlT_T0_E_clISt17integral_constantIbLb0EES1A_IbLb1EEEEDaS16_S17_EUlS16_E_NS1_11comp_targetILNS1_3genE9ELNS1_11target_archE1100ELNS1_3gpuE3ELNS1_3repE0EEENS1_30default_config_static_selectorELNS0_4arch9wavefront6targetE0EEEvT1_
                                        ; -- End function
	.set _ZN7rocprim17ROCPRIM_400000_NS6detail17trampoline_kernelINS0_14default_configENS1_25partition_config_selectorILNS1_17partition_subalgoE5EiNS0_10empty_typeEbEEZZNS1_14partition_implILS5_5ELb0ES3_mN6thrust23THRUST_200600_302600_NS6detail15normal_iteratorINSA_10device_ptrIiEEEEPS6_NSA_18transform_iteratorINSB_9not_fun_tI7is_trueIiEEESF_NSA_11use_defaultESM_EENS0_5tupleIJSF_S6_EEENSO_IJSG_SG_EEES6_PlJS6_EEE10hipError_tPvRmT3_T4_T5_T6_T7_T9_mT8_P12ihipStream_tbDpT10_ENKUlT_T0_E_clISt17integral_constantIbLb0EES1A_IbLb1EEEEDaS16_S17_EUlS16_E_NS1_11comp_targetILNS1_3genE9ELNS1_11target_archE1100ELNS1_3gpuE3ELNS1_3repE0EEENS1_30default_config_static_selectorELNS0_4arch9wavefront6targetE0EEEvT1_.num_vgpr, 0
	.set _ZN7rocprim17ROCPRIM_400000_NS6detail17trampoline_kernelINS0_14default_configENS1_25partition_config_selectorILNS1_17partition_subalgoE5EiNS0_10empty_typeEbEEZZNS1_14partition_implILS5_5ELb0ES3_mN6thrust23THRUST_200600_302600_NS6detail15normal_iteratorINSA_10device_ptrIiEEEEPS6_NSA_18transform_iteratorINSB_9not_fun_tI7is_trueIiEEESF_NSA_11use_defaultESM_EENS0_5tupleIJSF_S6_EEENSO_IJSG_SG_EEES6_PlJS6_EEE10hipError_tPvRmT3_T4_T5_T6_T7_T9_mT8_P12ihipStream_tbDpT10_ENKUlT_T0_E_clISt17integral_constantIbLb0EES1A_IbLb1EEEEDaS16_S17_EUlS16_E_NS1_11comp_targetILNS1_3genE9ELNS1_11target_archE1100ELNS1_3gpuE3ELNS1_3repE0EEENS1_30default_config_static_selectorELNS0_4arch9wavefront6targetE0EEEvT1_.num_agpr, 0
	.set _ZN7rocprim17ROCPRIM_400000_NS6detail17trampoline_kernelINS0_14default_configENS1_25partition_config_selectorILNS1_17partition_subalgoE5EiNS0_10empty_typeEbEEZZNS1_14partition_implILS5_5ELb0ES3_mN6thrust23THRUST_200600_302600_NS6detail15normal_iteratorINSA_10device_ptrIiEEEEPS6_NSA_18transform_iteratorINSB_9not_fun_tI7is_trueIiEEESF_NSA_11use_defaultESM_EENS0_5tupleIJSF_S6_EEENSO_IJSG_SG_EEES6_PlJS6_EEE10hipError_tPvRmT3_T4_T5_T6_T7_T9_mT8_P12ihipStream_tbDpT10_ENKUlT_T0_E_clISt17integral_constantIbLb0EES1A_IbLb1EEEEDaS16_S17_EUlS16_E_NS1_11comp_targetILNS1_3genE9ELNS1_11target_archE1100ELNS1_3gpuE3ELNS1_3repE0EEENS1_30default_config_static_selectorELNS0_4arch9wavefront6targetE0EEEvT1_.numbered_sgpr, 0
	.set _ZN7rocprim17ROCPRIM_400000_NS6detail17trampoline_kernelINS0_14default_configENS1_25partition_config_selectorILNS1_17partition_subalgoE5EiNS0_10empty_typeEbEEZZNS1_14partition_implILS5_5ELb0ES3_mN6thrust23THRUST_200600_302600_NS6detail15normal_iteratorINSA_10device_ptrIiEEEEPS6_NSA_18transform_iteratorINSB_9not_fun_tI7is_trueIiEEESF_NSA_11use_defaultESM_EENS0_5tupleIJSF_S6_EEENSO_IJSG_SG_EEES6_PlJS6_EEE10hipError_tPvRmT3_T4_T5_T6_T7_T9_mT8_P12ihipStream_tbDpT10_ENKUlT_T0_E_clISt17integral_constantIbLb0EES1A_IbLb1EEEEDaS16_S17_EUlS16_E_NS1_11comp_targetILNS1_3genE9ELNS1_11target_archE1100ELNS1_3gpuE3ELNS1_3repE0EEENS1_30default_config_static_selectorELNS0_4arch9wavefront6targetE0EEEvT1_.num_named_barrier, 0
	.set _ZN7rocprim17ROCPRIM_400000_NS6detail17trampoline_kernelINS0_14default_configENS1_25partition_config_selectorILNS1_17partition_subalgoE5EiNS0_10empty_typeEbEEZZNS1_14partition_implILS5_5ELb0ES3_mN6thrust23THRUST_200600_302600_NS6detail15normal_iteratorINSA_10device_ptrIiEEEEPS6_NSA_18transform_iteratorINSB_9not_fun_tI7is_trueIiEEESF_NSA_11use_defaultESM_EENS0_5tupleIJSF_S6_EEENSO_IJSG_SG_EEES6_PlJS6_EEE10hipError_tPvRmT3_T4_T5_T6_T7_T9_mT8_P12ihipStream_tbDpT10_ENKUlT_T0_E_clISt17integral_constantIbLb0EES1A_IbLb1EEEEDaS16_S17_EUlS16_E_NS1_11comp_targetILNS1_3genE9ELNS1_11target_archE1100ELNS1_3gpuE3ELNS1_3repE0EEENS1_30default_config_static_selectorELNS0_4arch9wavefront6targetE0EEEvT1_.private_seg_size, 0
	.set _ZN7rocprim17ROCPRIM_400000_NS6detail17trampoline_kernelINS0_14default_configENS1_25partition_config_selectorILNS1_17partition_subalgoE5EiNS0_10empty_typeEbEEZZNS1_14partition_implILS5_5ELb0ES3_mN6thrust23THRUST_200600_302600_NS6detail15normal_iteratorINSA_10device_ptrIiEEEEPS6_NSA_18transform_iteratorINSB_9not_fun_tI7is_trueIiEEESF_NSA_11use_defaultESM_EENS0_5tupleIJSF_S6_EEENSO_IJSG_SG_EEES6_PlJS6_EEE10hipError_tPvRmT3_T4_T5_T6_T7_T9_mT8_P12ihipStream_tbDpT10_ENKUlT_T0_E_clISt17integral_constantIbLb0EES1A_IbLb1EEEEDaS16_S17_EUlS16_E_NS1_11comp_targetILNS1_3genE9ELNS1_11target_archE1100ELNS1_3gpuE3ELNS1_3repE0EEENS1_30default_config_static_selectorELNS0_4arch9wavefront6targetE0EEEvT1_.uses_vcc, 0
	.set _ZN7rocprim17ROCPRIM_400000_NS6detail17trampoline_kernelINS0_14default_configENS1_25partition_config_selectorILNS1_17partition_subalgoE5EiNS0_10empty_typeEbEEZZNS1_14partition_implILS5_5ELb0ES3_mN6thrust23THRUST_200600_302600_NS6detail15normal_iteratorINSA_10device_ptrIiEEEEPS6_NSA_18transform_iteratorINSB_9not_fun_tI7is_trueIiEEESF_NSA_11use_defaultESM_EENS0_5tupleIJSF_S6_EEENSO_IJSG_SG_EEES6_PlJS6_EEE10hipError_tPvRmT3_T4_T5_T6_T7_T9_mT8_P12ihipStream_tbDpT10_ENKUlT_T0_E_clISt17integral_constantIbLb0EES1A_IbLb1EEEEDaS16_S17_EUlS16_E_NS1_11comp_targetILNS1_3genE9ELNS1_11target_archE1100ELNS1_3gpuE3ELNS1_3repE0EEENS1_30default_config_static_selectorELNS0_4arch9wavefront6targetE0EEEvT1_.uses_flat_scratch, 0
	.set _ZN7rocprim17ROCPRIM_400000_NS6detail17trampoline_kernelINS0_14default_configENS1_25partition_config_selectorILNS1_17partition_subalgoE5EiNS0_10empty_typeEbEEZZNS1_14partition_implILS5_5ELb0ES3_mN6thrust23THRUST_200600_302600_NS6detail15normal_iteratorINSA_10device_ptrIiEEEEPS6_NSA_18transform_iteratorINSB_9not_fun_tI7is_trueIiEEESF_NSA_11use_defaultESM_EENS0_5tupleIJSF_S6_EEENSO_IJSG_SG_EEES6_PlJS6_EEE10hipError_tPvRmT3_T4_T5_T6_T7_T9_mT8_P12ihipStream_tbDpT10_ENKUlT_T0_E_clISt17integral_constantIbLb0EES1A_IbLb1EEEEDaS16_S17_EUlS16_E_NS1_11comp_targetILNS1_3genE9ELNS1_11target_archE1100ELNS1_3gpuE3ELNS1_3repE0EEENS1_30default_config_static_selectorELNS0_4arch9wavefront6targetE0EEEvT1_.has_dyn_sized_stack, 0
	.set _ZN7rocprim17ROCPRIM_400000_NS6detail17trampoline_kernelINS0_14default_configENS1_25partition_config_selectorILNS1_17partition_subalgoE5EiNS0_10empty_typeEbEEZZNS1_14partition_implILS5_5ELb0ES3_mN6thrust23THRUST_200600_302600_NS6detail15normal_iteratorINSA_10device_ptrIiEEEEPS6_NSA_18transform_iteratorINSB_9not_fun_tI7is_trueIiEEESF_NSA_11use_defaultESM_EENS0_5tupleIJSF_S6_EEENSO_IJSG_SG_EEES6_PlJS6_EEE10hipError_tPvRmT3_T4_T5_T6_T7_T9_mT8_P12ihipStream_tbDpT10_ENKUlT_T0_E_clISt17integral_constantIbLb0EES1A_IbLb1EEEEDaS16_S17_EUlS16_E_NS1_11comp_targetILNS1_3genE9ELNS1_11target_archE1100ELNS1_3gpuE3ELNS1_3repE0EEENS1_30default_config_static_selectorELNS0_4arch9wavefront6targetE0EEEvT1_.has_recursion, 0
	.set _ZN7rocprim17ROCPRIM_400000_NS6detail17trampoline_kernelINS0_14default_configENS1_25partition_config_selectorILNS1_17partition_subalgoE5EiNS0_10empty_typeEbEEZZNS1_14partition_implILS5_5ELb0ES3_mN6thrust23THRUST_200600_302600_NS6detail15normal_iteratorINSA_10device_ptrIiEEEEPS6_NSA_18transform_iteratorINSB_9not_fun_tI7is_trueIiEEESF_NSA_11use_defaultESM_EENS0_5tupleIJSF_S6_EEENSO_IJSG_SG_EEES6_PlJS6_EEE10hipError_tPvRmT3_T4_T5_T6_T7_T9_mT8_P12ihipStream_tbDpT10_ENKUlT_T0_E_clISt17integral_constantIbLb0EES1A_IbLb1EEEEDaS16_S17_EUlS16_E_NS1_11comp_targetILNS1_3genE9ELNS1_11target_archE1100ELNS1_3gpuE3ELNS1_3repE0EEENS1_30default_config_static_selectorELNS0_4arch9wavefront6targetE0EEEvT1_.has_indirect_call, 0
	.section	.AMDGPU.csdata,"",@progbits
; Kernel info:
; codeLenInByte = 0
; TotalNumSgprs: 0
; NumVgprs: 0
; ScratchSize: 0
; MemoryBound: 0
; FloatMode: 240
; IeeeMode: 1
; LDSByteSize: 0 bytes/workgroup (compile time only)
; SGPRBlocks: 0
; VGPRBlocks: 0
; NumSGPRsForWavesPerEU: 1
; NumVGPRsForWavesPerEU: 1
; Occupancy: 16
; WaveLimiterHint : 0
; COMPUTE_PGM_RSRC2:SCRATCH_EN: 0
; COMPUTE_PGM_RSRC2:USER_SGPR: 2
; COMPUTE_PGM_RSRC2:TRAP_HANDLER: 0
; COMPUTE_PGM_RSRC2:TGID_X_EN: 1
; COMPUTE_PGM_RSRC2:TGID_Y_EN: 0
; COMPUTE_PGM_RSRC2:TGID_Z_EN: 0
; COMPUTE_PGM_RSRC2:TIDIG_COMP_CNT: 0
	.section	.text._ZN7rocprim17ROCPRIM_400000_NS6detail17trampoline_kernelINS0_14default_configENS1_25partition_config_selectorILNS1_17partition_subalgoE5EiNS0_10empty_typeEbEEZZNS1_14partition_implILS5_5ELb0ES3_mN6thrust23THRUST_200600_302600_NS6detail15normal_iteratorINSA_10device_ptrIiEEEEPS6_NSA_18transform_iteratorINSB_9not_fun_tI7is_trueIiEEESF_NSA_11use_defaultESM_EENS0_5tupleIJSF_S6_EEENSO_IJSG_SG_EEES6_PlJS6_EEE10hipError_tPvRmT3_T4_T5_T6_T7_T9_mT8_P12ihipStream_tbDpT10_ENKUlT_T0_E_clISt17integral_constantIbLb0EES1A_IbLb1EEEEDaS16_S17_EUlS16_E_NS1_11comp_targetILNS1_3genE8ELNS1_11target_archE1030ELNS1_3gpuE2ELNS1_3repE0EEENS1_30default_config_static_selectorELNS0_4arch9wavefront6targetE0EEEvT1_,"axG",@progbits,_ZN7rocprim17ROCPRIM_400000_NS6detail17trampoline_kernelINS0_14default_configENS1_25partition_config_selectorILNS1_17partition_subalgoE5EiNS0_10empty_typeEbEEZZNS1_14partition_implILS5_5ELb0ES3_mN6thrust23THRUST_200600_302600_NS6detail15normal_iteratorINSA_10device_ptrIiEEEEPS6_NSA_18transform_iteratorINSB_9not_fun_tI7is_trueIiEEESF_NSA_11use_defaultESM_EENS0_5tupleIJSF_S6_EEENSO_IJSG_SG_EEES6_PlJS6_EEE10hipError_tPvRmT3_T4_T5_T6_T7_T9_mT8_P12ihipStream_tbDpT10_ENKUlT_T0_E_clISt17integral_constantIbLb0EES1A_IbLb1EEEEDaS16_S17_EUlS16_E_NS1_11comp_targetILNS1_3genE8ELNS1_11target_archE1030ELNS1_3gpuE2ELNS1_3repE0EEENS1_30default_config_static_selectorELNS0_4arch9wavefront6targetE0EEEvT1_,comdat
	.protected	_ZN7rocprim17ROCPRIM_400000_NS6detail17trampoline_kernelINS0_14default_configENS1_25partition_config_selectorILNS1_17partition_subalgoE5EiNS0_10empty_typeEbEEZZNS1_14partition_implILS5_5ELb0ES3_mN6thrust23THRUST_200600_302600_NS6detail15normal_iteratorINSA_10device_ptrIiEEEEPS6_NSA_18transform_iteratorINSB_9not_fun_tI7is_trueIiEEESF_NSA_11use_defaultESM_EENS0_5tupleIJSF_S6_EEENSO_IJSG_SG_EEES6_PlJS6_EEE10hipError_tPvRmT3_T4_T5_T6_T7_T9_mT8_P12ihipStream_tbDpT10_ENKUlT_T0_E_clISt17integral_constantIbLb0EES1A_IbLb1EEEEDaS16_S17_EUlS16_E_NS1_11comp_targetILNS1_3genE8ELNS1_11target_archE1030ELNS1_3gpuE2ELNS1_3repE0EEENS1_30default_config_static_selectorELNS0_4arch9wavefront6targetE0EEEvT1_ ; -- Begin function _ZN7rocprim17ROCPRIM_400000_NS6detail17trampoline_kernelINS0_14default_configENS1_25partition_config_selectorILNS1_17partition_subalgoE5EiNS0_10empty_typeEbEEZZNS1_14partition_implILS5_5ELb0ES3_mN6thrust23THRUST_200600_302600_NS6detail15normal_iteratorINSA_10device_ptrIiEEEEPS6_NSA_18transform_iteratorINSB_9not_fun_tI7is_trueIiEEESF_NSA_11use_defaultESM_EENS0_5tupleIJSF_S6_EEENSO_IJSG_SG_EEES6_PlJS6_EEE10hipError_tPvRmT3_T4_T5_T6_T7_T9_mT8_P12ihipStream_tbDpT10_ENKUlT_T0_E_clISt17integral_constantIbLb0EES1A_IbLb1EEEEDaS16_S17_EUlS16_E_NS1_11comp_targetILNS1_3genE8ELNS1_11target_archE1030ELNS1_3gpuE2ELNS1_3repE0EEENS1_30default_config_static_selectorELNS0_4arch9wavefront6targetE0EEEvT1_
	.globl	_ZN7rocprim17ROCPRIM_400000_NS6detail17trampoline_kernelINS0_14default_configENS1_25partition_config_selectorILNS1_17partition_subalgoE5EiNS0_10empty_typeEbEEZZNS1_14partition_implILS5_5ELb0ES3_mN6thrust23THRUST_200600_302600_NS6detail15normal_iteratorINSA_10device_ptrIiEEEEPS6_NSA_18transform_iteratorINSB_9not_fun_tI7is_trueIiEEESF_NSA_11use_defaultESM_EENS0_5tupleIJSF_S6_EEENSO_IJSG_SG_EEES6_PlJS6_EEE10hipError_tPvRmT3_T4_T5_T6_T7_T9_mT8_P12ihipStream_tbDpT10_ENKUlT_T0_E_clISt17integral_constantIbLb0EES1A_IbLb1EEEEDaS16_S17_EUlS16_E_NS1_11comp_targetILNS1_3genE8ELNS1_11target_archE1030ELNS1_3gpuE2ELNS1_3repE0EEENS1_30default_config_static_selectorELNS0_4arch9wavefront6targetE0EEEvT1_
	.p2align	8
	.type	_ZN7rocprim17ROCPRIM_400000_NS6detail17trampoline_kernelINS0_14default_configENS1_25partition_config_selectorILNS1_17partition_subalgoE5EiNS0_10empty_typeEbEEZZNS1_14partition_implILS5_5ELb0ES3_mN6thrust23THRUST_200600_302600_NS6detail15normal_iteratorINSA_10device_ptrIiEEEEPS6_NSA_18transform_iteratorINSB_9not_fun_tI7is_trueIiEEESF_NSA_11use_defaultESM_EENS0_5tupleIJSF_S6_EEENSO_IJSG_SG_EEES6_PlJS6_EEE10hipError_tPvRmT3_T4_T5_T6_T7_T9_mT8_P12ihipStream_tbDpT10_ENKUlT_T0_E_clISt17integral_constantIbLb0EES1A_IbLb1EEEEDaS16_S17_EUlS16_E_NS1_11comp_targetILNS1_3genE8ELNS1_11target_archE1030ELNS1_3gpuE2ELNS1_3repE0EEENS1_30default_config_static_selectorELNS0_4arch9wavefront6targetE0EEEvT1_,@function
_ZN7rocprim17ROCPRIM_400000_NS6detail17trampoline_kernelINS0_14default_configENS1_25partition_config_selectorILNS1_17partition_subalgoE5EiNS0_10empty_typeEbEEZZNS1_14partition_implILS5_5ELb0ES3_mN6thrust23THRUST_200600_302600_NS6detail15normal_iteratorINSA_10device_ptrIiEEEEPS6_NSA_18transform_iteratorINSB_9not_fun_tI7is_trueIiEEESF_NSA_11use_defaultESM_EENS0_5tupleIJSF_S6_EEENSO_IJSG_SG_EEES6_PlJS6_EEE10hipError_tPvRmT3_T4_T5_T6_T7_T9_mT8_P12ihipStream_tbDpT10_ENKUlT_T0_E_clISt17integral_constantIbLb0EES1A_IbLb1EEEEDaS16_S17_EUlS16_E_NS1_11comp_targetILNS1_3genE8ELNS1_11target_archE1030ELNS1_3gpuE2ELNS1_3repE0EEENS1_30default_config_static_selectorELNS0_4arch9wavefront6targetE0EEEvT1_: ; @_ZN7rocprim17ROCPRIM_400000_NS6detail17trampoline_kernelINS0_14default_configENS1_25partition_config_selectorILNS1_17partition_subalgoE5EiNS0_10empty_typeEbEEZZNS1_14partition_implILS5_5ELb0ES3_mN6thrust23THRUST_200600_302600_NS6detail15normal_iteratorINSA_10device_ptrIiEEEEPS6_NSA_18transform_iteratorINSB_9not_fun_tI7is_trueIiEEESF_NSA_11use_defaultESM_EENS0_5tupleIJSF_S6_EEENSO_IJSG_SG_EEES6_PlJS6_EEE10hipError_tPvRmT3_T4_T5_T6_T7_T9_mT8_P12ihipStream_tbDpT10_ENKUlT_T0_E_clISt17integral_constantIbLb0EES1A_IbLb1EEEEDaS16_S17_EUlS16_E_NS1_11comp_targetILNS1_3genE8ELNS1_11target_archE1030ELNS1_3gpuE2ELNS1_3repE0EEENS1_30default_config_static_selectorELNS0_4arch9wavefront6targetE0EEEvT1_
; %bb.0:
	.section	.rodata,"a",@progbits
	.p2align	6, 0x0
	.amdhsa_kernel _ZN7rocprim17ROCPRIM_400000_NS6detail17trampoline_kernelINS0_14default_configENS1_25partition_config_selectorILNS1_17partition_subalgoE5EiNS0_10empty_typeEbEEZZNS1_14partition_implILS5_5ELb0ES3_mN6thrust23THRUST_200600_302600_NS6detail15normal_iteratorINSA_10device_ptrIiEEEEPS6_NSA_18transform_iteratorINSB_9not_fun_tI7is_trueIiEEESF_NSA_11use_defaultESM_EENS0_5tupleIJSF_S6_EEENSO_IJSG_SG_EEES6_PlJS6_EEE10hipError_tPvRmT3_T4_T5_T6_T7_T9_mT8_P12ihipStream_tbDpT10_ENKUlT_T0_E_clISt17integral_constantIbLb0EES1A_IbLb1EEEEDaS16_S17_EUlS16_E_NS1_11comp_targetILNS1_3genE8ELNS1_11target_archE1030ELNS1_3gpuE2ELNS1_3repE0EEENS1_30default_config_static_selectorELNS0_4arch9wavefront6targetE0EEEvT1_
		.amdhsa_group_segment_fixed_size 0
		.amdhsa_private_segment_fixed_size 0
		.amdhsa_kernarg_size 136
		.amdhsa_user_sgpr_count 2
		.amdhsa_user_sgpr_dispatch_ptr 0
		.amdhsa_user_sgpr_queue_ptr 0
		.amdhsa_user_sgpr_kernarg_segment_ptr 1
		.amdhsa_user_sgpr_dispatch_id 0
		.amdhsa_user_sgpr_private_segment_size 0
		.amdhsa_wavefront_size32 1
		.amdhsa_uses_dynamic_stack 0
		.amdhsa_enable_private_segment 0
		.amdhsa_system_sgpr_workgroup_id_x 1
		.amdhsa_system_sgpr_workgroup_id_y 0
		.amdhsa_system_sgpr_workgroup_id_z 0
		.amdhsa_system_sgpr_workgroup_info 0
		.amdhsa_system_vgpr_workitem_id 0
		.amdhsa_next_free_vgpr 1
		.amdhsa_next_free_sgpr 1
		.amdhsa_reserve_vcc 0
		.amdhsa_float_round_mode_32 0
		.amdhsa_float_round_mode_16_64 0
		.amdhsa_float_denorm_mode_32 3
		.amdhsa_float_denorm_mode_16_64 3
		.amdhsa_fp16_overflow 0
		.amdhsa_workgroup_processor_mode 1
		.amdhsa_memory_ordered 1
		.amdhsa_forward_progress 1
		.amdhsa_inst_pref_size 0
		.amdhsa_round_robin_scheduling 0
		.amdhsa_exception_fp_ieee_invalid_op 0
		.amdhsa_exception_fp_denorm_src 0
		.amdhsa_exception_fp_ieee_div_zero 0
		.amdhsa_exception_fp_ieee_overflow 0
		.amdhsa_exception_fp_ieee_underflow 0
		.amdhsa_exception_fp_ieee_inexact 0
		.amdhsa_exception_int_div_zero 0
	.end_amdhsa_kernel
	.section	.text._ZN7rocprim17ROCPRIM_400000_NS6detail17trampoline_kernelINS0_14default_configENS1_25partition_config_selectorILNS1_17partition_subalgoE5EiNS0_10empty_typeEbEEZZNS1_14partition_implILS5_5ELb0ES3_mN6thrust23THRUST_200600_302600_NS6detail15normal_iteratorINSA_10device_ptrIiEEEEPS6_NSA_18transform_iteratorINSB_9not_fun_tI7is_trueIiEEESF_NSA_11use_defaultESM_EENS0_5tupleIJSF_S6_EEENSO_IJSG_SG_EEES6_PlJS6_EEE10hipError_tPvRmT3_T4_T5_T6_T7_T9_mT8_P12ihipStream_tbDpT10_ENKUlT_T0_E_clISt17integral_constantIbLb0EES1A_IbLb1EEEEDaS16_S17_EUlS16_E_NS1_11comp_targetILNS1_3genE8ELNS1_11target_archE1030ELNS1_3gpuE2ELNS1_3repE0EEENS1_30default_config_static_selectorELNS0_4arch9wavefront6targetE0EEEvT1_,"axG",@progbits,_ZN7rocprim17ROCPRIM_400000_NS6detail17trampoline_kernelINS0_14default_configENS1_25partition_config_selectorILNS1_17partition_subalgoE5EiNS0_10empty_typeEbEEZZNS1_14partition_implILS5_5ELb0ES3_mN6thrust23THRUST_200600_302600_NS6detail15normal_iteratorINSA_10device_ptrIiEEEEPS6_NSA_18transform_iteratorINSB_9not_fun_tI7is_trueIiEEESF_NSA_11use_defaultESM_EENS0_5tupleIJSF_S6_EEENSO_IJSG_SG_EEES6_PlJS6_EEE10hipError_tPvRmT3_T4_T5_T6_T7_T9_mT8_P12ihipStream_tbDpT10_ENKUlT_T0_E_clISt17integral_constantIbLb0EES1A_IbLb1EEEEDaS16_S17_EUlS16_E_NS1_11comp_targetILNS1_3genE8ELNS1_11target_archE1030ELNS1_3gpuE2ELNS1_3repE0EEENS1_30default_config_static_selectorELNS0_4arch9wavefront6targetE0EEEvT1_,comdat
.Lfunc_end1531:
	.size	_ZN7rocprim17ROCPRIM_400000_NS6detail17trampoline_kernelINS0_14default_configENS1_25partition_config_selectorILNS1_17partition_subalgoE5EiNS0_10empty_typeEbEEZZNS1_14partition_implILS5_5ELb0ES3_mN6thrust23THRUST_200600_302600_NS6detail15normal_iteratorINSA_10device_ptrIiEEEEPS6_NSA_18transform_iteratorINSB_9not_fun_tI7is_trueIiEEESF_NSA_11use_defaultESM_EENS0_5tupleIJSF_S6_EEENSO_IJSG_SG_EEES6_PlJS6_EEE10hipError_tPvRmT3_T4_T5_T6_T7_T9_mT8_P12ihipStream_tbDpT10_ENKUlT_T0_E_clISt17integral_constantIbLb0EES1A_IbLb1EEEEDaS16_S17_EUlS16_E_NS1_11comp_targetILNS1_3genE8ELNS1_11target_archE1030ELNS1_3gpuE2ELNS1_3repE0EEENS1_30default_config_static_selectorELNS0_4arch9wavefront6targetE0EEEvT1_, .Lfunc_end1531-_ZN7rocprim17ROCPRIM_400000_NS6detail17trampoline_kernelINS0_14default_configENS1_25partition_config_selectorILNS1_17partition_subalgoE5EiNS0_10empty_typeEbEEZZNS1_14partition_implILS5_5ELb0ES3_mN6thrust23THRUST_200600_302600_NS6detail15normal_iteratorINSA_10device_ptrIiEEEEPS6_NSA_18transform_iteratorINSB_9not_fun_tI7is_trueIiEEESF_NSA_11use_defaultESM_EENS0_5tupleIJSF_S6_EEENSO_IJSG_SG_EEES6_PlJS6_EEE10hipError_tPvRmT3_T4_T5_T6_T7_T9_mT8_P12ihipStream_tbDpT10_ENKUlT_T0_E_clISt17integral_constantIbLb0EES1A_IbLb1EEEEDaS16_S17_EUlS16_E_NS1_11comp_targetILNS1_3genE8ELNS1_11target_archE1030ELNS1_3gpuE2ELNS1_3repE0EEENS1_30default_config_static_selectorELNS0_4arch9wavefront6targetE0EEEvT1_
                                        ; -- End function
	.set _ZN7rocprim17ROCPRIM_400000_NS6detail17trampoline_kernelINS0_14default_configENS1_25partition_config_selectorILNS1_17partition_subalgoE5EiNS0_10empty_typeEbEEZZNS1_14partition_implILS5_5ELb0ES3_mN6thrust23THRUST_200600_302600_NS6detail15normal_iteratorINSA_10device_ptrIiEEEEPS6_NSA_18transform_iteratorINSB_9not_fun_tI7is_trueIiEEESF_NSA_11use_defaultESM_EENS0_5tupleIJSF_S6_EEENSO_IJSG_SG_EEES6_PlJS6_EEE10hipError_tPvRmT3_T4_T5_T6_T7_T9_mT8_P12ihipStream_tbDpT10_ENKUlT_T0_E_clISt17integral_constantIbLb0EES1A_IbLb1EEEEDaS16_S17_EUlS16_E_NS1_11comp_targetILNS1_3genE8ELNS1_11target_archE1030ELNS1_3gpuE2ELNS1_3repE0EEENS1_30default_config_static_selectorELNS0_4arch9wavefront6targetE0EEEvT1_.num_vgpr, 0
	.set _ZN7rocprim17ROCPRIM_400000_NS6detail17trampoline_kernelINS0_14default_configENS1_25partition_config_selectorILNS1_17partition_subalgoE5EiNS0_10empty_typeEbEEZZNS1_14partition_implILS5_5ELb0ES3_mN6thrust23THRUST_200600_302600_NS6detail15normal_iteratorINSA_10device_ptrIiEEEEPS6_NSA_18transform_iteratorINSB_9not_fun_tI7is_trueIiEEESF_NSA_11use_defaultESM_EENS0_5tupleIJSF_S6_EEENSO_IJSG_SG_EEES6_PlJS6_EEE10hipError_tPvRmT3_T4_T5_T6_T7_T9_mT8_P12ihipStream_tbDpT10_ENKUlT_T0_E_clISt17integral_constantIbLb0EES1A_IbLb1EEEEDaS16_S17_EUlS16_E_NS1_11comp_targetILNS1_3genE8ELNS1_11target_archE1030ELNS1_3gpuE2ELNS1_3repE0EEENS1_30default_config_static_selectorELNS0_4arch9wavefront6targetE0EEEvT1_.num_agpr, 0
	.set _ZN7rocprim17ROCPRIM_400000_NS6detail17trampoline_kernelINS0_14default_configENS1_25partition_config_selectorILNS1_17partition_subalgoE5EiNS0_10empty_typeEbEEZZNS1_14partition_implILS5_5ELb0ES3_mN6thrust23THRUST_200600_302600_NS6detail15normal_iteratorINSA_10device_ptrIiEEEEPS6_NSA_18transform_iteratorINSB_9not_fun_tI7is_trueIiEEESF_NSA_11use_defaultESM_EENS0_5tupleIJSF_S6_EEENSO_IJSG_SG_EEES6_PlJS6_EEE10hipError_tPvRmT3_T4_T5_T6_T7_T9_mT8_P12ihipStream_tbDpT10_ENKUlT_T0_E_clISt17integral_constantIbLb0EES1A_IbLb1EEEEDaS16_S17_EUlS16_E_NS1_11comp_targetILNS1_3genE8ELNS1_11target_archE1030ELNS1_3gpuE2ELNS1_3repE0EEENS1_30default_config_static_selectorELNS0_4arch9wavefront6targetE0EEEvT1_.numbered_sgpr, 0
	.set _ZN7rocprim17ROCPRIM_400000_NS6detail17trampoline_kernelINS0_14default_configENS1_25partition_config_selectorILNS1_17partition_subalgoE5EiNS0_10empty_typeEbEEZZNS1_14partition_implILS5_5ELb0ES3_mN6thrust23THRUST_200600_302600_NS6detail15normal_iteratorINSA_10device_ptrIiEEEEPS6_NSA_18transform_iteratorINSB_9not_fun_tI7is_trueIiEEESF_NSA_11use_defaultESM_EENS0_5tupleIJSF_S6_EEENSO_IJSG_SG_EEES6_PlJS6_EEE10hipError_tPvRmT3_T4_T5_T6_T7_T9_mT8_P12ihipStream_tbDpT10_ENKUlT_T0_E_clISt17integral_constantIbLb0EES1A_IbLb1EEEEDaS16_S17_EUlS16_E_NS1_11comp_targetILNS1_3genE8ELNS1_11target_archE1030ELNS1_3gpuE2ELNS1_3repE0EEENS1_30default_config_static_selectorELNS0_4arch9wavefront6targetE0EEEvT1_.num_named_barrier, 0
	.set _ZN7rocprim17ROCPRIM_400000_NS6detail17trampoline_kernelINS0_14default_configENS1_25partition_config_selectorILNS1_17partition_subalgoE5EiNS0_10empty_typeEbEEZZNS1_14partition_implILS5_5ELb0ES3_mN6thrust23THRUST_200600_302600_NS6detail15normal_iteratorINSA_10device_ptrIiEEEEPS6_NSA_18transform_iteratorINSB_9not_fun_tI7is_trueIiEEESF_NSA_11use_defaultESM_EENS0_5tupleIJSF_S6_EEENSO_IJSG_SG_EEES6_PlJS6_EEE10hipError_tPvRmT3_T4_T5_T6_T7_T9_mT8_P12ihipStream_tbDpT10_ENKUlT_T0_E_clISt17integral_constantIbLb0EES1A_IbLb1EEEEDaS16_S17_EUlS16_E_NS1_11comp_targetILNS1_3genE8ELNS1_11target_archE1030ELNS1_3gpuE2ELNS1_3repE0EEENS1_30default_config_static_selectorELNS0_4arch9wavefront6targetE0EEEvT1_.private_seg_size, 0
	.set _ZN7rocprim17ROCPRIM_400000_NS6detail17trampoline_kernelINS0_14default_configENS1_25partition_config_selectorILNS1_17partition_subalgoE5EiNS0_10empty_typeEbEEZZNS1_14partition_implILS5_5ELb0ES3_mN6thrust23THRUST_200600_302600_NS6detail15normal_iteratorINSA_10device_ptrIiEEEEPS6_NSA_18transform_iteratorINSB_9not_fun_tI7is_trueIiEEESF_NSA_11use_defaultESM_EENS0_5tupleIJSF_S6_EEENSO_IJSG_SG_EEES6_PlJS6_EEE10hipError_tPvRmT3_T4_T5_T6_T7_T9_mT8_P12ihipStream_tbDpT10_ENKUlT_T0_E_clISt17integral_constantIbLb0EES1A_IbLb1EEEEDaS16_S17_EUlS16_E_NS1_11comp_targetILNS1_3genE8ELNS1_11target_archE1030ELNS1_3gpuE2ELNS1_3repE0EEENS1_30default_config_static_selectorELNS0_4arch9wavefront6targetE0EEEvT1_.uses_vcc, 0
	.set _ZN7rocprim17ROCPRIM_400000_NS6detail17trampoline_kernelINS0_14default_configENS1_25partition_config_selectorILNS1_17partition_subalgoE5EiNS0_10empty_typeEbEEZZNS1_14partition_implILS5_5ELb0ES3_mN6thrust23THRUST_200600_302600_NS6detail15normal_iteratorINSA_10device_ptrIiEEEEPS6_NSA_18transform_iteratorINSB_9not_fun_tI7is_trueIiEEESF_NSA_11use_defaultESM_EENS0_5tupleIJSF_S6_EEENSO_IJSG_SG_EEES6_PlJS6_EEE10hipError_tPvRmT3_T4_T5_T6_T7_T9_mT8_P12ihipStream_tbDpT10_ENKUlT_T0_E_clISt17integral_constantIbLb0EES1A_IbLb1EEEEDaS16_S17_EUlS16_E_NS1_11comp_targetILNS1_3genE8ELNS1_11target_archE1030ELNS1_3gpuE2ELNS1_3repE0EEENS1_30default_config_static_selectorELNS0_4arch9wavefront6targetE0EEEvT1_.uses_flat_scratch, 0
	.set _ZN7rocprim17ROCPRIM_400000_NS6detail17trampoline_kernelINS0_14default_configENS1_25partition_config_selectorILNS1_17partition_subalgoE5EiNS0_10empty_typeEbEEZZNS1_14partition_implILS5_5ELb0ES3_mN6thrust23THRUST_200600_302600_NS6detail15normal_iteratorINSA_10device_ptrIiEEEEPS6_NSA_18transform_iteratorINSB_9not_fun_tI7is_trueIiEEESF_NSA_11use_defaultESM_EENS0_5tupleIJSF_S6_EEENSO_IJSG_SG_EEES6_PlJS6_EEE10hipError_tPvRmT3_T4_T5_T6_T7_T9_mT8_P12ihipStream_tbDpT10_ENKUlT_T0_E_clISt17integral_constantIbLb0EES1A_IbLb1EEEEDaS16_S17_EUlS16_E_NS1_11comp_targetILNS1_3genE8ELNS1_11target_archE1030ELNS1_3gpuE2ELNS1_3repE0EEENS1_30default_config_static_selectorELNS0_4arch9wavefront6targetE0EEEvT1_.has_dyn_sized_stack, 0
	.set _ZN7rocprim17ROCPRIM_400000_NS6detail17trampoline_kernelINS0_14default_configENS1_25partition_config_selectorILNS1_17partition_subalgoE5EiNS0_10empty_typeEbEEZZNS1_14partition_implILS5_5ELb0ES3_mN6thrust23THRUST_200600_302600_NS6detail15normal_iteratorINSA_10device_ptrIiEEEEPS6_NSA_18transform_iteratorINSB_9not_fun_tI7is_trueIiEEESF_NSA_11use_defaultESM_EENS0_5tupleIJSF_S6_EEENSO_IJSG_SG_EEES6_PlJS6_EEE10hipError_tPvRmT3_T4_T5_T6_T7_T9_mT8_P12ihipStream_tbDpT10_ENKUlT_T0_E_clISt17integral_constantIbLb0EES1A_IbLb1EEEEDaS16_S17_EUlS16_E_NS1_11comp_targetILNS1_3genE8ELNS1_11target_archE1030ELNS1_3gpuE2ELNS1_3repE0EEENS1_30default_config_static_selectorELNS0_4arch9wavefront6targetE0EEEvT1_.has_recursion, 0
	.set _ZN7rocprim17ROCPRIM_400000_NS6detail17trampoline_kernelINS0_14default_configENS1_25partition_config_selectorILNS1_17partition_subalgoE5EiNS0_10empty_typeEbEEZZNS1_14partition_implILS5_5ELb0ES3_mN6thrust23THRUST_200600_302600_NS6detail15normal_iteratorINSA_10device_ptrIiEEEEPS6_NSA_18transform_iteratorINSB_9not_fun_tI7is_trueIiEEESF_NSA_11use_defaultESM_EENS0_5tupleIJSF_S6_EEENSO_IJSG_SG_EEES6_PlJS6_EEE10hipError_tPvRmT3_T4_T5_T6_T7_T9_mT8_P12ihipStream_tbDpT10_ENKUlT_T0_E_clISt17integral_constantIbLb0EES1A_IbLb1EEEEDaS16_S17_EUlS16_E_NS1_11comp_targetILNS1_3genE8ELNS1_11target_archE1030ELNS1_3gpuE2ELNS1_3repE0EEENS1_30default_config_static_selectorELNS0_4arch9wavefront6targetE0EEEvT1_.has_indirect_call, 0
	.section	.AMDGPU.csdata,"",@progbits
; Kernel info:
; codeLenInByte = 0
; TotalNumSgprs: 0
; NumVgprs: 0
; ScratchSize: 0
; MemoryBound: 0
; FloatMode: 240
; IeeeMode: 1
; LDSByteSize: 0 bytes/workgroup (compile time only)
; SGPRBlocks: 0
; VGPRBlocks: 0
; NumSGPRsForWavesPerEU: 1
; NumVGPRsForWavesPerEU: 1
; Occupancy: 16
; WaveLimiterHint : 0
; COMPUTE_PGM_RSRC2:SCRATCH_EN: 0
; COMPUTE_PGM_RSRC2:USER_SGPR: 2
; COMPUTE_PGM_RSRC2:TRAP_HANDLER: 0
; COMPUTE_PGM_RSRC2:TGID_X_EN: 1
; COMPUTE_PGM_RSRC2:TGID_Y_EN: 0
; COMPUTE_PGM_RSRC2:TGID_Z_EN: 0
; COMPUTE_PGM_RSRC2:TIDIG_COMP_CNT: 0
	.section	.text._ZN6thrust23THRUST_200600_302600_NS11hip_rocprim14__parallel_for6kernelILj256ENS1_11__transform17unary_transform_fINS0_7pointerIbNS1_3tagENS0_11use_defaultES8_EENS0_10device_ptrIsEENS4_14no_stencil_tagENS0_8identityIbEENS4_21always_true_predicateEEElLj1EEEvT0_T1_SI_,"axG",@progbits,_ZN6thrust23THRUST_200600_302600_NS11hip_rocprim14__parallel_for6kernelILj256ENS1_11__transform17unary_transform_fINS0_7pointerIbNS1_3tagENS0_11use_defaultES8_EENS0_10device_ptrIsEENS4_14no_stencil_tagENS0_8identityIbEENS4_21always_true_predicateEEElLj1EEEvT0_T1_SI_,comdat
	.protected	_ZN6thrust23THRUST_200600_302600_NS11hip_rocprim14__parallel_for6kernelILj256ENS1_11__transform17unary_transform_fINS0_7pointerIbNS1_3tagENS0_11use_defaultES8_EENS0_10device_ptrIsEENS4_14no_stencil_tagENS0_8identityIbEENS4_21always_true_predicateEEElLj1EEEvT0_T1_SI_ ; -- Begin function _ZN6thrust23THRUST_200600_302600_NS11hip_rocprim14__parallel_for6kernelILj256ENS1_11__transform17unary_transform_fINS0_7pointerIbNS1_3tagENS0_11use_defaultES8_EENS0_10device_ptrIsEENS4_14no_stencil_tagENS0_8identityIbEENS4_21always_true_predicateEEElLj1EEEvT0_T1_SI_
	.globl	_ZN6thrust23THRUST_200600_302600_NS11hip_rocprim14__parallel_for6kernelILj256ENS1_11__transform17unary_transform_fINS0_7pointerIbNS1_3tagENS0_11use_defaultES8_EENS0_10device_ptrIsEENS4_14no_stencil_tagENS0_8identityIbEENS4_21always_true_predicateEEElLj1EEEvT0_T1_SI_
	.p2align	8
	.type	_ZN6thrust23THRUST_200600_302600_NS11hip_rocprim14__parallel_for6kernelILj256ENS1_11__transform17unary_transform_fINS0_7pointerIbNS1_3tagENS0_11use_defaultES8_EENS0_10device_ptrIsEENS4_14no_stencil_tagENS0_8identityIbEENS4_21always_true_predicateEEElLj1EEEvT0_T1_SI_,@function
_ZN6thrust23THRUST_200600_302600_NS11hip_rocprim14__parallel_for6kernelILj256ENS1_11__transform17unary_transform_fINS0_7pointerIbNS1_3tagENS0_11use_defaultES8_EENS0_10device_ptrIsEENS4_14no_stencil_tagENS0_8identityIbEENS4_21always_true_predicateEEElLj1EEEvT0_T1_SI_: ; @_ZN6thrust23THRUST_200600_302600_NS11hip_rocprim14__parallel_for6kernelILj256ENS1_11__transform17unary_transform_fINS0_7pointerIbNS1_3tagENS0_11use_defaultES8_EENS0_10device_ptrIsEENS4_14no_stencil_tagENS0_8identityIbEENS4_21always_true_predicateEEElLj1EEEvT0_T1_SI_
; %bb.0:
	s_clause 0x1
	s_load_b128 s[8:11], s[0:1], 0x18
	s_load_b128 s[0:3], s[0:1], 0x0
	s_lshl_b32 s4, ttmp9, 8
	s_mov_b32 s5, 0
	s_wait_kmcnt 0x0
	s_add_nc_u64 s[4:5], s[10:11], s[4:5]
	s_delay_alu instid0(SALU_CYCLE_1) | instskip(NEXT) | instid1(SALU_CYCLE_1)
	s_sub_nc_u64 s[6:7], s[8:9], s[4:5]
	v_cmp_gt_i64_e64 s7, 0x100, s[6:7]
	s_and_b32 s7, s7, exec_lo
	s_cselect_b32 s7, s6, 0x100
	s_mov_b32 s6, -1
	s_wait_alu 0xfffe
	s_cmp_eq_u32 s7, 0x100
	s_cbranch_scc0 .LBB1532_3
; %bb.1:
	s_and_not1_b32 vcc_lo, exec_lo, s6
	s_cbranch_vccz .LBB1532_6
.LBB1532_2:
	s_endpgm
.LBB1532_3:
	s_mov_b32 s6, exec_lo
	v_cmpx_gt_u32_e64 s7, v0
	s_cbranch_execz .LBB1532_5
; %bb.4:
	v_add_co_u32 v1, s7, s4, v0
	s_wait_alu 0xf1ff
	v_add_co_ci_u32_e64 v2, null, s5, 0, s7
	s_delay_alu instid0(VALU_DEP_2) | instskip(NEXT) | instid1(VALU_DEP_1)
	v_add_co_u32 v3, vcc_lo, s0, v1
	v_add_co_ci_u32_e64 v4, null, s1, v2, vcc_lo
	v_lshlrev_b64_e32 v[1:2], 1, v[1:2]
	flat_load_u8 v3, v[3:4]
	v_add_co_u32 v1, vcc_lo, s2, v1
	s_wait_alu 0xfffd
	v_add_co_ci_u32_e64 v2, null, s3, v2, vcc_lo
	s_wait_loadcnt_dscnt 0x0
	flat_store_b16 v[1:2], v3
.LBB1532_5:
	s_wait_alu 0xfffe
	s_or_b32 exec_lo, exec_lo, s6
	s_cbranch_execnz .LBB1532_2
.LBB1532_6:
	v_add_co_u32 v0, s4, s4, v0
	s_wait_alu 0xf1ff
	v_add_co_ci_u32_e64 v1, null, s5, 0, s4
	s_delay_alu instid0(VALU_DEP_2) | instskip(SKIP_1) | instid1(VALU_DEP_2)
	v_add_co_u32 v2, vcc_lo, s0, v0
	s_wait_alu 0xfffd
	v_add_co_ci_u32_e64 v3, null, s1, v1, vcc_lo
	v_lshlrev_b64_e32 v[0:1], 1, v[0:1]
	flat_load_u8 v2, v[2:3]
	v_add_co_u32 v0, vcc_lo, s2, v0
	s_wait_alu 0xfffd
	v_add_co_ci_u32_e64 v1, null, s3, v1, vcc_lo
	s_wait_loadcnt_dscnt 0x0
	flat_store_b16 v[0:1], v2
	s_endpgm
	.section	.rodata,"a",@progbits
	.p2align	6, 0x0
	.amdhsa_kernel _ZN6thrust23THRUST_200600_302600_NS11hip_rocprim14__parallel_for6kernelILj256ENS1_11__transform17unary_transform_fINS0_7pointerIbNS1_3tagENS0_11use_defaultES8_EENS0_10device_ptrIsEENS4_14no_stencil_tagENS0_8identityIbEENS4_21always_true_predicateEEElLj1EEEvT0_T1_SI_
		.amdhsa_group_segment_fixed_size 0
		.amdhsa_private_segment_fixed_size 0
		.amdhsa_kernarg_size 40
		.amdhsa_user_sgpr_count 2
		.amdhsa_user_sgpr_dispatch_ptr 0
		.amdhsa_user_sgpr_queue_ptr 0
		.amdhsa_user_sgpr_kernarg_segment_ptr 1
		.amdhsa_user_sgpr_dispatch_id 0
		.amdhsa_user_sgpr_private_segment_size 0
		.amdhsa_wavefront_size32 1
		.amdhsa_uses_dynamic_stack 0
		.amdhsa_enable_private_segment 0
		.amdhsa_system_sgpr_workgroup_id_x 1
		.amdhsa_system_sgpr_workgroup_id_y 0
		.amdhsa_system_sgpr_workgroup_id_z 0
		.amdhsa_system_sgpr_workgroup_info 0
		.amdhsa_system_vgpr_workitem_id 0
		.amdhsa_next_free_vgpr 5
		.amdhsa_next_free_sgpr 12
		.amdhsa_reserve_vcc 1
		.amdhsa_float_round_mode_32 0
		.amdhsa_float_round_mode_16_64 0
		.amdhsa_float_denorm_mode_32 3
		.amdhsa_float_denorm_mode_16_64 3
		.amdhsa_fp16_overflow 0
		.amdhsa_workgroup_processor_mode 1
		.amdhsa_memory_ordered 1
		.amdhsa_forward_progress 1
		.amdhsa_inst_pref_size 3
		.amdhsa_round_robin_scheduling 0
		.amdhsa_exception_fp_ieee_invalid_op 0
		.amdhsa_exception_fp_denorm_src 0
		.amdhsa_exception_fp_ieee_div_zero 0
		.amdhsa_exception_fp_ieee_overflow 0
		.amdhsa_exception_fp_ieee_underflow 0
		.amdhsa_exception_fp_ieee_inexact 0
		.amdhsa_exception_int_div_zero 0
	.end_amdhsa_kernel
	.section	.text._ZN6thrust23THRUST_200600_302600_NS11hip_rocprim14__parallel_for6kernelILj256ENS1_11__transform17unary_transform_fINS0_7pointerIbNS1_3tagENS0_11use_defaultES8_EENS0_10device_ptrIsEENS4_14no_stencil_tagENS0_8identityIbEENS4_21always_true_predicateEEElLj1EEEvT0_T1_SI_,"axG",@progbits,_ZN6thrust23THRUST_200600_302600_NS11hip_rocprim14__parallel_for6kernelILj256ENS1_11__transform17unary_transform_fINS0_7pointerIbNS1_3tagENS0_11use_defaultES8_EENS0_10device_ptrIsEENS4_14no_stencil_tagENS0_8identityIbEENS4_21always_true_predicateEEElLj1EEEvT0_T1_SI_,comdat
.Lfunc_end1532:
	.size	_ZN6thrust23THRUST_200600_302600_NS11hip_rocprim14__parallel_for6kernelILj256ENS1_11__transform17unary_transform_fINS0_7pointerIbNS1_3tagENS0_11use_defaultES8_EENS0_10device_ptrIsEENS4_14no_stencil_tagENS0_8identityIbEENS4_21always_true_predicateEEElLj1EEEvT0_T1_SI_, .Lfunc_end1532-_ZN6thrust23THRUST_200600_302600_NS11hip_rocprim14__parallel_for6kernelILj256ENS1_11__transform17unary_transform_fINS0_7pointerIbNS1_3tagENS0_11use_defaultES8_EENS0_10device_ptrIsEENS4_14no_stencil_tagENS0_8identityIbEENS4_21always_true_predicateEEElLj1EEEvT0_T1_SI_
                                        ; -- End function
	.set _ZN6thrust23THRUST_200600_302600_NS11hip_rocprim14__parallel_for6kernelILj256ENS1_11__transform17unary_transform_fINS0_7pointerIbNS1_3tagENS0_11use_defaultES8_EENS0_10device_ptrIsEENS4_14no_stencil_tagENS0_8identityIbEENS4_21always_true_predicateEEElLj1EEEvT0_T1_SI_.num_vgpr, 5
	.set _ZN6thrust23THRUST_200600_302600_NS11hip_rocprim14__parallel_for6kernelILj256ENS1_11__transform17unary_transform_fINS0_7pointerIbNS1_3tagENS0_11use_defaultES8_EENS0_10device_ptrIsEENS4_14no_stencil_tagENS0_8identityIbEENS4_21always_true_predicateEEElLj1EEEvT0_T1_SI_.num_agpr, 0
	.set _ZN6thrust23THRUST_200600_302600_NS11hip_rocprim14__parallel_for6kernelILj256ENS1_11__transform17unary_transform_fINS0_7pointerIbNS1_3tagENS0_11use_defaultES8_EENS0_10device_ptrIsEENS4_14no_stencil_tagENS0_8identityIbEENS4_21always_true_predicateEEElLj1EEEvT0_T1_SI_.numbered_sgpr, 12
	.set _ZN6thrust23THRUST_200600_302600_NS11hip_rocprim14__parallel_for6kernelILj256ENS1_11__transform17unary_transform_fINS0_7pointerIbNS1_3tagENS0_11use_defaultES8_EENS0_10device_ptrIsEENS4_14no_stencil_tagENS0_8identityIbEENS4_21always_true_predicateEEElLj1EEEvT0_T1_SI_.num_named_barrier, 0
	.set _ZN6thrust23THRUST_200600_302600_NS11hip_rocprim14__parallel_for6kernelILj256ENS1_11__transform17unary_transform_fINS0_7pointerIbNS1_3tagENS0_11use_defaultES8_EENS0_10device_ptrIsEENS4_14no_stencil_tagENS0_8identityIbEENS4_21always_true_predicateEEElLj1EEEvT0_T1_SI_.private_seg_size, 0
	.set _ZN6thrust23THRUST_200600_302600_NS11hip_rocprim14__parallel_for6kernelILj256ENS1_11__transform17unary_transform_fINS0_7pointerIbNS1_3tagENS0_11use_defaultES8_EENS0_10device_ptrIsEENS4_14no_stencil_tagENS0_8identityIbEENS4_21always_true_predicateEEElLj1EEEvT0_T1_SI_.uses_vcc, 1
	.set _ZN6thrust23THRUST_200600_302600_NS11hip_rocprim14__parallel_for6kernelILj256ENS1_11__transform17unary_transform_fINS0_7pointerIbNS1_3tagENS0_11use_defaultES8_EENS0_10device_ptrIsEENS4_14no_stencil_tagENS0_8identityIbEENS4_21always_true_predicateEEElLj1EEEvT0_T1_SI_.uses_flat_scratch, 0
	.set _ZN6thrust23THRUST_200600_302600_NS11hip_rocprim14__parallel_for6kernelILj256ENS1_11__transform17unary_transform_fINS0_7pointerIbNS1_3tagENS0_11use_defaultES8_EENS0_10device_ptrIsEENS4_14no_stencil_tagENS0_8identityIbEENS4_21always_true_predicateEEElLj1EEEvT0_T1_SI_.has_dyn_sized_stack, 0
	.set _ZN6thrust23THRUST_200600_302600_NS11hip_rocprim14__parallel_for6kernelILj256ENS1_11__transform17unary_transform_fINS0_7pointerIbNS1_3tagENS0_11use_defaultES8_EENS0_10device_ptrIsEENS4_14no_stencil_tagENS0_8identityIbEENS4_21always_true_predicateEEElLj1EEEvT0_T1_SI_.has_recursion, 0
	.set _ZN6thrust23THRUST_200600_302600_NS11hip_rocprim14__parallel_for6kernelILj256ENS1_11__transform17unary_transform_fINS0_7pointerIbNS1_3tagENS0_11use_defaultES8_EENS0_10device_ptrIsEENS4_14no_stencil_tagENS0_8identityIbEENS4_21always_true_predicateEEElLj1EEEvT0_T1_SI_.has_indirect_call, 0
	.section	.AMDGPU.csdata,"",@progbits
; Kernel info:
; codeLenInByte = 320
; TotalNumSgprs: 14
; NumVgprs: 5
; ScratchSize: 0
; MemoryBound: 0
; FloatMode: 240
; IeeeMode: 1
; LDSByteSize: 0 bytes/workgroup (compile time only)
; SGPRBlocks: 0
; VGPRBlocks: 0
; NumSGPRsForWavesPerEU: 14
; NumVGPRsForWavesPerEU: 5
; Occupancy: 16
; WaveLimiterHint : 0
; COMPUTE_PGM_RSRC2:SCRATCH_EN: 0
; COMPUTE_PGM_RSRC2:USER_SGPR: 2
; COMPUTE_PGM_RSRC2:TRAP_HANDLER: 0
; COMPUTE_PGM_RSRC2:TGID_X_EN: 1
; COMPUTE_PGM_RSRC2:TGID_Y_EN: 0
; COMPUTE_PGM_RSRC2:TGID_Z_EN: 0
; COMPUTE_PGM_RSRC2:TIDIG_COMP_CNT: 0
	.section	.text._ZN7rocprim17ROCPRIM_400000_NS6detail17trampoline_kernelINS0_14default_configENS1_25partition_config_selectorILNS1_17partition_subalgoE5EsNS0_10empty_typeEbEEZZNS1_14partition_implILS5_5ELb0ES3_mN6thrust23THRUST_200600_302600_NS6detail15normal_iteratorINSA_10device_ptrIsEEEEPS6_NSA_18transform_iteratorINSB_9not_fun_tI7is_trueIsEEESF_NSA_11use_defaultESM_EENS0_5tupleIJSF_S6_EEENSO_IJSG_SG_EEES6_PlJS6_EEE10hipError_tPvRmT3_T4_T5_T6_T7_T9_mT8_P12ihipStream_tbDpT10_ENKUlT_T0_E_clISt17integral_constantIbLb0EES1B_EEDaS16_S17_EUlS16_E_NS1_11comp_targetILNS1_3genE0ELNS1_11target_archE4294967295ELNS1_3gpuE0ELNS1_3repE0EEENS1_30default_config_static_selectorELNS0_4arch9wavefront6targetE0EEEvT1_,"axG",@progbits,_ZN7rocprim17ROCPRIM_400000_NS6detail17trampoline_kernelINS0_14default_configENS1_25partition_config_selectorILNS1_17partition_subalgoE5EsNS0_10empty_typeEbEEZZNS1_14partition_implILS5_5ELb0ES3_mN6thrust23THRUST_200600_302600_NS6detail15normal_iteratorINSA_10device_ptrIsEEEEPS6_NSA_18transform_iteratorINSB_9not_fun_tI7is_trueIsEEESF_NSA_11use_defaultESM_EENS0_5tupleIJSF_S6_EEENSO_IJSG_SG_EEES6_PlJS6_EEE10hipError_tPvRmT3_T4_T5_T6_T7_T9_mT8_P12ihipStream_tbDpT10_ENKUlT_T0_E_clISt17integral_constantIbLb0EES1B_EEDaS16_S17_EUlS16_E_NS1_11comp_targetILNS1_3genE0ELNS1_11target_archE4294967295ELNS1_3gpuE0ELNS1_3repE0EEENS1_30default_config_static_selectorELNS0_4arch9wavefront6targetE0EEEvT1_,comdat
	.protected	_ZN7rocprim17ROCPRIM_400000_NS6detail17trampoline_kernelINS0_14default_configENS1_25partition_config_selectorILNS1_17partition_subalgoE5EsNS0_10empty_typeEbEEZZNS1_14partition_implILS5_5ELb0ES3_mN6thrust23THRUST_200600_302600_NS6detail15normal_iteratorINSA_10device_ptrIsEEEEPS6_NSA_18transform_iteratorINSB_9not_fun_tI7is_trueIsEEESF_NSA_11use_defaultESM_EENS0_5tupleIJSF_S6_EEENSO_IJSG_SG_EEES6_PlJS6_EEE10hipError_tPvRmT3_T4_T5_T6_T7_T9_mT8_P12ihipStream_tbDpT10_ENKUlT_T0_E_clISt17integral_constantIbLb0EES1B_EEDaS16_S17_EUlS16_E_NS1_11comp_targetILNS1_3genE0ELNS1_11target_archE4294967295ELNS1_3gpuE0ELNS1_3repE0EEENS1_30default_config_static_selectorELNS0_4arch9wavefront6targetE0EEEvT1_ ; -- Begin function _ZN7rocprim17ROCPRIM_400000_NS6detail17trampoline_kernelINS0_14default_configENS1_25partition_config_selectorILNS1_17partition_subalgoE5EsNS0_10empty_typeEbEEZZNS1_14partition_implILS5_5ELb0ES3_mN6thrust23THRUST_200600_302600_NS6detail15normal_iteratorINSA_10device_ptrIsEEEEPS6_NSA_18transform_iteratorINSB_9not_fun_tI7is_trueIsEEESF_NSA_11use_defaultESM_EENS0_5tupleIJSF_S6_EEENSO_IJSG_SG_EEES6_PlJS6_EEE10hipError_tPvRmT3_T4_T5_T6_T7_T9_mT8_P12ihipStream_tbDpT10_ENKUlT_T0_E_clISt17integral_constantIbLb0EES1B_EEDaS16_S17_EUlS16_E_NS1_11comp_targetILNS1_3genE0ELNS1_11target_archE4294967295ELNS1_3gpuE0ELNS1_3repE0EEENS1_30default_config_static_selectorELNS0_4arch9wavefront6targetE0EEEvT1_
	.globl	_ZN7rocprim17ROCPRIM_400000_NS6detail17trampoline_kernelINS0_14default_configENS1_25partition_config_selectorILNS1_17partition_subalgoE5EsNS0_10empty_typeEbEEZZNS1_14partition_implILS5_5ELb0ES3_mN6thrust23THRUST_200600_302600_NS6detail15normal_iteratorINSA_10device_ptrIsEEEEPS6_NSA_18transform_iteratorINSB_9not_fun_tI7is_trueIsEEESF_NSA_11use_defaultESM_EENS0_5tupleIJSF_S6_EEENSO_IJSG_SG_EEES6_PlJS6_EEE10hipError_tPvRmT3_T4_T5_T6_T7_T9_mT8_P12ihipStream_tbDpT10_ENKUlT_T0_E_clISt17integral_constantIbLb0EES1B_EEDaS16_S17_EUlS16_E_NS1_11comp_targetILNS1_3genE0ELNS1_11target_archE4294967295ELNS1_3gpuE0ELNS1_3repE0EEENS1_30default_config_static_selectorELNS0_4arch9wavefront6targetE0EEEvT1_
	.p2align	8
	.type	_ZN7rocprim17ROCPRIM_400000_NS6detail17trampoline_kernelINS0_14default_configENS1_25partition_config_selectorILNS1_17partition_subalgoE5EsNS0_10empty_typeEbEEZZNS1_14partition_implILS5_5ELb0ES3_mN6thrust23THRUST_200600_302600_NS6detail15normal_iteratorINSA_10device_ptrIsEEEEPS6_NSA_18transform_iteratorINSB_9not_fun_tI7is_trueIsEEESF_NSA_11use_defaultESM_EENS0_5tupleIJSF_S6_EEENSO_IJSG_SG_EEES6_PlJS6_EEE10hipError_tPvRmT3_T4_T5_T6_T7_T9_mT8_P12ihipStream_tbDpT10_ENKUlT_T0_E_clISt17integral_constantIbLb0EES1B_EEDaS16_S17_EUlS16_E_NS1_11comp_targetILNS1_3genE0ELNS1_11target_archE4294967295ELNS1_3gpuE0ELNS1_3repE0EEENS1_30default_config_static_selectorELNS0_4arch9wavefront6targetE0EEEvT1_,@function
_ZN7rocprim17ROCPRIM_400000_NS6detail17trampoline_kernelINS0_14default_configENS1_25partition_config_selectorILNS1_17partition_subalgoE5EsNS0_10empty_typeEbEEZZNS1_14partition_implILS5_5ELb0ES3_mN6thrust23THRUST_200600_302600_NS6detail15normal_iteratorINSA_10device_ptrIsEEEEPS6_NSA_18transform_iteratorINSB_9not_fun_tI7is_trueIsEEESF_NSA_11use_defaultESM_EENS0_5tupleIJSF_S6_EEENSO_IJSG_SG_EEES6_PlJS6_EEE10hipError_tPvRmT3_T4_T5_T6_T7_T9_mT8_P12ihipStream_tbDpT10_ENKUlT_T0_E_clISt17integral_constantIbLb0EES1B_EEDaS16_S17_EUlS16_E_NS1_11comp_targetILNS1_3genE0ELNS1_11target_archE4294967295ELNS1_3gpuE0ELNS1_3repE0EEENS1_30default_config_static_selectorELNS0_4arch9wavefront6targetE0EEEvT1_: ; @_ZN7rocprim17ROCPRIM_400000_NS6detail17trampoline_kernelINS0_14default_configENS1_25partition_config_selectorILNS1_17partition_subalgoE5EsNS0_10empty_typeEbEEZZNS1_14partition_implILS5_5ELb0ES3_mN6thrust23THRUST_200600_302600_NS6detail15normal_iteratorINSA_10device_ptrIsEEEEPS6_NSA_18transform_iteratorINSB_9not_fun_tI7is_trueIsEEESF_NSA_11use_defaultESM_EENS0_5tupleIJSF_S6_EEENSO_IJSG_SG_EEES6_PlJS6_EEE10hipError_tPvRmT3_T4_T5_T6_T7_T9_mT8_P12ihipStream_tbDpT10_ENKUlT_T0_E_clISt17integral_constantIbLb0EES1B_EEDaS16_S17_EUlS16_E_NS1_11comp_targetILNS1_3genE0ELNS1_11target_archE4294967295ELNS1_3gpuE0ELNS1_3repE0EEENS1_30default_config_static_selectorELNS0_4arch9wavefront6targetE0EEEvT1_
; %bb.0:
	.section	.rodata,"a",@progbits
	.p2align	6, 0x0
	.amdhsa_kernel _ZN7rocprim17ROCPRIM_400000_NS6detail17trampoline_kernelINS0_14default_configENS1_25partition_config_selectorILNS1_17partition_subalgoE5EsNS0_10empty_typeEbEEZZNS1_14partition_implILS5_5ELb0ES3_mN6thrust23THRUST_200600_302600_NS6detail15normal_iteratorINSA_10device_ptrIsEEEEPS6_NSA_18transform_iteratorINSB_9not_fun_tI7is_trueIsEEESF_NSA_11use_defaultESM_EENS0_5tupleIJSF_S6_EEENSO_IJSG_SG_EEES6_PlJS6_EEE10hipError_tPvRmT3_T4_T5_T6_T7_T9_mT8_P12ihipStream_tbDpT10_ENKUlT_T0_E_clISt17integral_constantIbLb0EES1B_EEDaS16_S17_EUlS16_E_NS1_11comp_targetILNS1_3genE0ELNS1_11target_archE4294967295ELNS1_3gpuE0ELNS1_3repE0EEENS1_30default_config_static_selectorELNS0_4arch9wavefront6targetE0EEEvT1_
		.amdhsa_group_segment_fixed_size 0
		.amdhsa_private_segment_fixed_size 0
		.amdhsa_kernarg_size 120
		.amdhsa_user_sgpr_count 2
		.amdhsa_user_sgpr_dispatch_ptr 0
		.amdhsa_user_sgpr_queue_ptr 0
		.amdhsa_user_sgpr_kernarg_segment_ptr 1
		.amdhsa_user_sgpr_dispatch_id 0
		.amdhsa_user_sgpr_private_segment_size 0
		.amdhsa_wavefront_size32 1
		.amdhsa_uses_dynamic_stack 0
		.amdhsa_enable_private_segment 0
		.amdhsa_system_sgpr_workgroup_id_x 1
		.amdhsa_system_sgpr_workgroup_id_y 0
		.amdhsa_system_sgpr_workgroup_id_z 0
		.amdhsa_system_sgpr_workgroup_info 0
		.amdhsa_system_vgpr_workitem_id 0
		.amdhsa_next_free_vgpr 1
		.amdhsa_next_free_sgpr 1
		.amdhsa_reserve_vcc 0
		.amdhsa_float_round_mode_32 0
		.amdhsa_float_round_mode_16_64 0
		.amdhsa_float_denorm_mode_32 3
		.amdhsa_float_denorm_mode_16_64 3
		.amdhsa_fp16_overflow 0
		.amdhsa_workgroup_processor_mode 1
		.amdhsa_memory_ordered 1
		.amdhsa_forward_progress 1
		.amdhsa_inst_pref_size 0
		.amdhsa_round_robin_scheduling 0
		.amdhsa_exception_fp_ieee_invalid_op 0
		.amdhsa_exception_fp_denorm_src 0
		.amdhsa_exception_fp_ieee_div_zero 0
		.amdhsa_exception_fp_ieee_overflow 0
		.amdhsa_exception_fp_ieee_underflow 0
		.amdhsa_exception_fp_ieee_inexact 0
		.amdhsa_exception_int_div_zero 0
	.end_amdhsa_kernel
	.section	.text._ZN7rocprim17ROCPRIM_400000_NS6detail17trampoline_kernelINS0_14default_configENS1_25partition_config_selectorILNS1_17partition_subalgoE5EsNS0_10empty_typeEbEEZZNS1_14partition_implILS5_5ELb0ES3_mN6thrust23THRUST_200600_302600_NS6detail15normal_iteratorINSA_10device_ptrIsEEEEPS6_NSA_18transform_iteratorINSB_9not_fun_tI7is_trueIsEEESF_NSA_11use_defaultESM_EENS0_5tupleIJSF_S6_EEENSO_IJSG_SG_EEES6_PlJS6_EEE10hipError_tPvRmT3_T4_T5_T6_T7_T9_mT8_P12ihipStream_tbDpT10_ENKUlT_T0_E_clISt17integral_constantIbLb0EES1B_EEDaS16_S17_EUlS16_E_NS1_11comp_targetILNS1_3genE0ELNS1_11target_archE4294967295ELNS1_3gpuE0ELNS1_3repE0EEENS1_30default_config_static_selectorELNS0_4arch9wavefront6targetE0EEEvT1_,"axG",@progbits,_ZN7rocprim17ROCPRIM_400000_NS6detail17trampoline_kernelINS0_14default_configENS1_25partition_config_selectorILNS1_17partition_subalgoE5EsNS0_10empty_typeEbEEZZNS1_14partition_implILS5_5ELb0ES3_mN6thrust23THRUST_200600_302600_NS6detail15normal_iteratorINSA_10device_ptrIsEEEEPS6_NSA_18transform_iteratorINSB_9not_fun_tI7is_trueIsEEESF_NSA_11use_defaultESM_EENS0_5tupleIJSF_S6_EEENSO_IJSG_SG_EEES6_PlJS6_EEE10hipError_tPvRmT3_T4_T5_T6_T7_T9_mT8_P12ihipStream_tbDpT10_ENKUlT_T0_E_clISt17integral_constantIbLb0EES1B_EEDaS16_S17_EUlS16_E_NS1_11comp_targetILNS1_3genE0ELNS1_11target_archE4294967295ELNS1_3gpuE0ELNS1_3repE0EEENS1_30default_config_static_selectorELNS0_4arch9wavefront6targetE0EEEvT1_,comdat
.Lfunc_end1533:
	.size	_ZN7rocprim17ROCPRIM_400000_NS6detail17trampoline_kernelINS0_14default_configENS1_25partition_config_selectorILNS1_17partition_subalgoE5EsNS0_10empty_typeEbEEZZNS1_14partition_implILS5_5ELb0ES3_mN6thrust23THRUST_200600_302600_NS6detail15normal_iteratorINSA_10device_ptrIsEEEEPS6_NSA_18transform_iteratorINSB_9not_fun_tI7is_trueIsEEESF_NSA_11use_defaultESM_EENS0_5tupleIJSF_S6_EEENSO_IJSG_SG_EEES6_PlJS6_EEE10hipError_tPvRmT3_T4_T5_T6_T7_T9_mT8_P12ihipStream_tbDpT10_ENKUlT_T0_E_clISt17integral_constantIbLb0EES1B_EEDaS16_S17_EUlS16_E_NS1_11comp_targetILNS1_3genE0ELNS1_11target_archE4294967295ELNS1_3gpuE0ELNS1_3repE0EEENS1_30default_config_static_selectorELNS0_4arch9wavefront6targetE0EEEvT1_, .Lfunc_end1533-_ZN7rocprim17ROCPRIM_400000_NS6detail17trampoline_kernelINS0_14default_configENS1_25partition_config_selectorILNS1_17partition_subalgoE5EsNS0_10empty_typeEbEEZZNS1_14partition_implILS5_5ELb0ES3_mN6thrust23THRUST_200600_302600_NS6detail15normal_iteratorINSA_10device_ptrIsEEEEPS6_NSA_18transform_iteratorINSB_9not_fun_tI7is_trueIsEEESF_NSA_11use_defaultESM_EENS0_5tupleIJSF_S6_EEENSO_IJSG_SG_EEES6_PlJS6_EEE10hipError_tPvRmT3_T4_T5_T6_T7_T9_mT8_P12ihipStream_tbDpT10_ENKUlT_T0_E_clISt17integral_constantIbLb0EES1B_EEDaS16_S17_EUlS16_E_NS1_11comp_targetILNS1_3genE0ELNS1_11target_archE4294967295ELNS1_3gpuE0ELNS1_3repE0EEENS1_30default_config_static_selectorELNS0_4arch9wavefront6targetE0EEEvT1_
                                        ; -- End function
	.set _ZN7rocprim17ROCPRIM_400000_NS6detail17trampoline_kernelINS0_14default_configENS1_25partition_config_selectorILNS1_17partition_subalgoE5EsNS0_10empty_typeEbEEZZNS1_14partition_implILS5_5ELb0ES3_mN6thrust23THRUST_200600_302600_NS6detail15normal_iteratorINSA_10device_ptrIsEEEEPS6_NSA_18transform_iteratorINSB_9not_fun_tI7is_trueIsEEESF_NSA_11use_defaultESM_EENS0_5tupleIJSF_S6_EEENSO_IJSG_SG_EEES6_PlJS6_EEE10hipError_tPvRmT3_T4_T5_T6_T7_T9_mT8_P12ihipStream_tbDpT10_ENKUlT_T0_E_clISt17integral_constantIbLb0EES1B_EEDaS16_S17_EUlS16_E_NS1_11comp_targetILNS1_3genE0ELNS1_11target_archE4294967295ELNS1_3gpuE0ELNS1_3repE0EEENS1_30default_config_static_selectorELNS0_4arch9wavefront6targetE0EEEvT1_.num_vgpr, 0
	.set _ZN7rocprim17ROCPRIM_400000_NS6detail17trampoline_kernelINS0_14default_configENS1_25partition_config_selectorILNS1_17partition_subalgoE5EsNS0_10empty_typeEbEEZZNS1_14partition_implILS5_5ELb0ES3_mN6thrust23THRUST_200600_302600_NS6detail15normal_iteratorINSA_10device_ptrIsEEEEPS6_NSA_18transform_iteratorINSB_9not_fun_tI7is_trueIsEEESF_NSA_11use_defaultESM_EENS0_5tupleIJSF_S6_EEENSO_IJSG_SG_EEES6_PlJS6_EEE10hipError_tPvRmT3_T4_T5_T6_T7_T9_mT8_P12ihipStream_tbDpT10_ENKUlT_T0_E_clISt17integral_constantIbLb0EES1B_EEDaS16_S17_EUlS16_E_NS1_11comp_targetILNS1_3genE0ELNS1_11target_archE4294967295ELNS1_3gpuE0ELNS1_3repE0EEENS1_30default_config_static_selectorELNS0_4arch9wavefront6targetE0EEEvT1_.num_agpr, 0
	.set _ZN7rocprim17ROCPRIM_400000_NS6detail17trampoline_kernelINS0_14default_configENS1_25partition_config_selectorILNS1_17partition_subalgoE5EsNS0_10empty_typeEbEEZZNS1_14partition_implILS5_5ELb0ES3_mN6thrust23THRUST_200600_302600_NS6detail15normal_iteratorINSA_10device_ptrIsEEEEPS6_NSA_18transform_iteratorINSB_9not_fun_tI7is_trueIsEEESF_NSA_11use_defaultESM_EENS0_5tupleIJSF_S6_EEENSO_IJSG_SG_EEES6_PlJS6_EEE10hipError_tPvRmT3_T4_T5_T6_T7_T9_mT8_P12ihipStream_tbDpT10_ENKUlT_T0_E_clISt17integral_constantIbLb0EES1B_EEDaS16_S17_EUlS16_E_NS1_11comp_targetILNS1_3genE0ELNS1_11target_archE4294967295ELNS1_3gpuE0ELNS1_3repE0EEENS1_30default_config_static_selectorELNS0_4arch9wavefront6targetE0EEEvT1_.numbered_sgpr, 0
	.set _ZN7rocprim17ROCPRIM_400000_NS6detail17trampoline_kernelINS0_14default_configENS1_25partition_config_selectorILNS1_17partition_subalgoE5EsNS0_10empty_typeEbEEZZNS1_14partition_implILS5_5ELb0ES3_mN6thrust23THRUST_200600_302600_NS6detail15normal_iteratorINSA_10device_ptrIsEEEEPS6_NSA_18transform_iteratorINSB_9not_fun_tI7is_trueIsEEESF_NSA_11use_defaultESM_EENS0_5tupleIJSF_S6_EEENSO_IJSG_SG_EEES6_PlJS6_EEE10hipError_tPvRmT3_T4_T5_T6_T7_T9_mT8_P12ihipStream_tbDpT10_ENKUlT_T0_E_clISt17integral_constantIbLb0EES1B_EEDaS16_S17_EUlS16_E_NS1_11comp_targetILNS1_3genE0ELNS1_11target_archE4294967295ELNS1_3gpuE0ELNS1_3repE0EEENS1_30default_config_static_selectorELNS0_4arch9wavefront6targetE0EEEvT1_.num_named_barrier, 0
	.set _ZN7rocprim17ROCPRIM_400000_NS6detail17trampoline_kernelINS0_14default_configENS1_25partition_config_selectorILNS1_17partition_subalgoE5EsNS0_10empty_typeEbEEZZNS1_14partition_implILS5_5ELb0ES3_mN6thrust23THRUST_200600_302600_NS6detail15normal_iteratorINSA_10device_ptrIsEEEEPS6_NSA_18transform_iteratorINSB_9not_fun_tI7is_trueIsEEESF_NSA_11use_defaultESM_EENS0_5tupleIJSF_S6_EEENSO_IJSG_SG_EEES6_PlJS6_EEE10hipError_tPvRmT3_T4_T5_T6_T7_T9_mT8_P12ihipStream_tbDpT10_ENKUlT_T0_E_clISt17integral_constantIbLb0EES1B_EEDaS16_S17_EUlS16_E_NS1_11comp_targetILNS1_3genE0ELNS1_11target_archE4294967295ELNS1_3gpuE0ELNS1_3repE0EEENS1_30default_config_static_selectorELNS0_4arch9wavefront6targetE0EEEvT1_.private_seg_size, 0
	.set _ZN7rocprim17ROCPRIM_400000_NS6detail17trampoline_kernelINS0_14default_configENS1_25partition_config_selectorILNS1_17partition_subalgoE5EsNS0_10empty_typeEbEEZZNS1_14partition_implILS5_5ELb0ES3_mN6thrust23THRUST_200600_302600_NS6detail15normal_iteratorINSA_10device_ptrIsEEEEPS6_NSA_18transform_iteratorINSB_9not_fun_tI7is_trueIsEEESF_NSA_11use_defaultESM_EENS0_5tupleIJSF_S6_EEENSO_IJSG_SG_EEES6_PlJS6_EEE10hipError_tPvRmT3_T4_T5_T6_T7_T9_mT8_P12ihipStream_tbDpT10_ENKUlT_T0_E_clISt17integral_constantIbLb0EES1B_EEDaS16_S17_EUlS16_E_NS1_11comp_targetILNS1_3genE0ELNS1_11target_archE4294967295ELNS1_3gpuE0ELNS1_3repE0EEENS1_30default_config_static_selectorELNS0_4arch9wavefront6targetE0EEEvT1_.uses_vcc, 0
	.set _ZN7rocprim17ROCPRIM_400000_NS6detail17trampoline_kernelINS0_14default_configENS1_25partition_config_selectorILNS1_17partition_subalgoE5EsNS0_10empty_typeEbEEZZNS1_14partition_implILS5_5ELb0ES3_mN6thrust23THRUST_200600_302600_NS6detail15normal_iteratorINSA_10device_ptrIsEEEEPS6_NSA_18transform_iteratorINSB_9not_fun_tI7is_trueIsEEESF_NSA_11use_defaultESM_EENS0_5tupleIJSF_S6_EEENSO_IJSG_SG_EEES6_PlJS6_EEE10hipError_tPvRmT3_T4_T5_T6_T7_T9_mT8_P12ihipStream_tbDpT10_ENKUlT_T0_E_clISt17integral_constantIbLb0EES1B_EEDaS16_S17_EUlS16_E_NS1_11comp_targetILNS1_3genE0ELNS1_11target_archE4294967295ELNS1_3gpuE0ELNS1_3repE0EEENS1_30default_config_static_selectorELNS0_4arch9wavefront6targetE0EEEvT1_.uses_flat_scratch, 0
	.set _ZN7rocprim17ROCPRIM_400000_NS6detail17trampoline_kernelINS0_14default_configENS1_25partition_config_selectorILNS1_17partition_subalgoE5EsNS0_10empty_typeEbEEZZNS1_14partition_implILS5_5ELb0ES3_mN6thrust23THRUST_200600_302600_NS6detail15normal_iteratorINSA_10device_ptrIsEEEEPS6_NSA_18transform_iteratorINSB_9not_fun_tI7is_trueIsEEESF_NSA_11use_defaultESM_EENS0_5tupleIJSF_S6_EEENSO_IJSG_SG_EEES6_PlJS6_EEE10hipError_tPvRmT3_T4_T5_T6_T7_T9_mT8_P12ihipStream_tbDpT10_ENKUlT_T0_E_clISt17integral_constantIbLb0EES1B_EEDaS16_S17_EUlS16_E_NS1_11comp_targetILNS1_3genE0ELNS1_11target_archE4294967295ELNS1_3gpuE0ELNS1_3repE0EEENS1_30default_config_static_selectorELNS0_4arch9wavefront6targetE0EEEvT1_.has_dyn_sized_stack, 0
	.set _ZN7rocprim17ROCPRIM_400000_NS6detail17trampoline_kernelINS0_14default_configENS1_25partition_config_selectorILNS1_17partition_subalgoE5EsNS0_10empty_typeEbEEZZNS1_14partition_implILS5_5ELb0ES3_mN6thrust23THRUST_200600_302600_NS6detail15normal_iteratorINSA_10device_ptrIsEEEEPS6_NSA_18transform_iteratorINSB_9not_fun_tI7is_trueIsEEESF_NSA_11use_defaultESM_EENS0_5tupleIJSF_S6_EEENSO_IJSG_SG_EEES6_PlJS6_EEE10hipError_tPvRmT3_T4_T5_T6_T7_T9_mT8_P12ihipStream_tbDpT10_ENKUlT_T0_E_clISt17integral_constantIbLb0EES1B_EEDaS16_S17_EUlS16_E_NS1_11comp_targetILNS1_3genE0ELNS1_11target_archE4294967295ELNS1_3gpuE0ELNS1_3repE0EEENS1_30default_config_static_selectorELNS0_4arch9wavefront6targetE0EEEvT1_.has_recursion, 0
	.set _ZN7rocprim17ROCPRIM_400000_NS6detail17trampoline_kernelINS0_14default_configENS1_25partition_config_selectorILNS1_17partition_subalgoE5EsNS0_10empty_typeEbEEZZNS1_14partition_implILS5_5ELb0ES3_mN6thrust23THRUST_200600_302600_NS6detail15normal_iteratorINSA_10device_ptrIsEEEEPS6_NSA_18transform_iteratorINSB_9not_fun_tI7is_trueIsEEESF_NSA_11use_defaultESM_EENS0_5tupleIJSF_S6_EEENSO_IJSG_SG_EEES6_PlJS6_EEE10hipError_tPvRmT3_T4_T5_T6_T7_T9_mT8_P12ihipStream_tbDpT10_ENKUlT_T0_E_clISt17integral_constantIbLb0EES1B_EEDaS16_S17_EUlS16_E_NS1_11comp_targetILNS1_3genE0ELNS1_11target_archE4294967295ELNS1_3gpuE0ELNS1_3repE0EEENS1_30default_config_static_selectorELNS0_4arch9wavefront6targetE0EEEvT1_.has_indirect_call, 0
	.section	.AMDGPU.csdata,"",@progbits
; Kernel info:
; codeLenInByte = 0
; TotalNumSgprs: 0
; NumVgprs: 0
; ScratchSize: 0
; MemoryBound: 0
; FloatMode: 240
; IeeeMode: 1
; LDSByteSize: 0 bytes/workgroup (compile time only)
; SGPRBlocks: 0
; VGPRBlocks: 0
; NumSGPRsForWavesPerEU: 1
; NumVGPRsForWavesPerEU: 1
; Occupancy: 16
; WaveLimiterHint : 0
; COMPUTE_PGM_RSRC2:SCRATCH_EN: 0
; COMPUTE_PGM_RSRC2:USER_SGPR: 2
; COMPUTE_PGM_RSRC2:TRAP_HANDLER: 0
; COMPUTE_PGM_RSRC2:TGID_X_EN: 1
; COMPUTE_PGM_RSRC2:TGID_Y_EN: 0
; COMPUTE_PGM_RSRC2:TGID_Z_EN: 0
; COMPUTE_PGM_RSRC2:TIDIG_COMP_CNT: 0
	.section	.text._ZN7rocprim17ROCPRIM_400000_NS6detail17trampoline_kernelINS0_14default_configENS1_25partition_config_selectorILNS1_17partition_subalgoE5EsNS0_10empty_typeEbEEZZNS1_14partition_implILS5_5ELb0ES3_mN6thrust23THRUST_200600_302600_NS6detail15normal_iteratorINSA_10device_ptrIsEEEEPS6_NSA_18transform_iteratorINSB_9not_fun_tI7is_trueIsEEESF_NSA_11use_defaultESM_EENS0_5tupleIJSF_S6_EEENSO_IJSG_SG_EEES6_PlJS6_EEE10hipError_tPvRmT3_T4_T5_T6_T7_T9_mT8_P12ihipStream_tbDpT10_ENKUlT_T0_E_clISt17integral_constantIbLb0EES1B_EEDaS16_S17_EUlS16_E_NS1_11comp_targetILNS1_3genE5ELNS1_11target_archE942ELNS1_3gpuE9ELNS1_3repE0EEENS1_30default_config_static_selectorELNS0_4arch9wavefront6targetE0EEEvT1_,"axG",@progbits,_ZN7rocprim17ROCPRIM_400000_NS6detail17trampoline_kernelINS0_14default_configENS1_25partition_config_selectorILNS1_17partition_subalgoE5EsNS0_10empty_typeEbEEZZNS1_14partition_implILS5_5ELb0ES3_mN6thrust23THRUST_200600_302600_NS6detail15normal_iteratorINSA_10device_ptrIsEEEEPS6_NSA_18transform_iteratorINSB_9not_fun_tI7is_trueIsEEESF_NSA_11use_defaultESM_EENS0_5tupleIJSF_S6_EEENSO_IJSG_SG_EEES6_PlJS6_EEE10hipError_tPvRmT3_T4_T5_T6_T7_T9_mT8_P12ihipStream_tbDpT10_ENKUlT_T0_E_clISt17integral_constantIbLb0EES1B_EEDaS16_S17_EUlS16_E_NS1_11comp_targetILNS1_3genE5ELNS1_11target_archE942ELNS1_3gpuE9ELNS1_3repE0EEENS1_30default_config_static_selectorELNS0_4arch9wavefront6targetE0EEEvT1_,comdat
	.protected	_ZN7rocprim17ROCPRIM_400000_NS6detail17trampoline_kernelINS0_14default_configENS1_25partition_config_selectorILNS1_17partition_subalgoE5EsNS0_10empty_typeEbEEZZNS1_14partition_implILS5_5ELb0ES3_mN6thrust23THRUST_200600_302600_NS6detail15normal_iteratorINSA_10device_ptrIsEEEEPS6_NSA_18transform_iteratorINSB_9not_fun_tI7is_trueIsEEESF_NSA_11use_defaultESM_EENS0_5tupleIJSF_S6_EEENSO_IJSG_SG_EEES6_PlJS6_EEE10hipError_tPvRmT3_T4_T5_T6_T7_T9_mT8_P12ihipStream_tbDpT10_ENKUlT_T0_E_clISt17integral_constantIbLb0EES1B_EEDaS16_S17_EUlS16_E_NS1_11comp_targetILNS1_3genE5ELNS1_11target_archE942ELNS1_3gpuE9ELNS1_3repE0EEENS1_30default_config_static_selectorELNS0_4arch9wavefront6targetE0EEEvT1_ ; -- Begin function _ZN7rocprim17ROCPRIM_400000_NS6detail17trampoline_kernelINS0_14default_configENS1_25partition_config_selectorILNS1_17partition_subalgoE5EsNS0_10empty_typeEbEEZZNS1_14partition_implILS5_5ELb0ES3_mN6thrust23THRUST_200600_302600_NS6detail15normal_iteratorINSA_10device_ptrIsEEEEPS6_NSA_18transform_iteratorINSB_9not_fun_tI7is_trueIsEEESF_NSA_11use_defaultESM_EENS0_5tupleIJSF_S6_EEENSO_IJSG_SG_EEES6_PlJS6_EEE10hipError_tPvRmT3_T4_T5_T6_T7_T9_mT8_P12ihipStream_tbDpT10_ENKUlT_T0_E_clISt17integral_constantIbLb0EES1B_EEDaS16_S17_EUlS16_E_NS1_11comp_targetILNS1_3genE5ELNS1_11target_archE942ELNS1_3gpuE9ELNS1_3repE0EEENS1_30default_config_static_selectorELNS0_4arch9wavefront6targetE0EEEvT1_
	.globl	_ZN7rocprim17ROCPRIM_400000_NS6detail17trampoline_kernelINS0_14default_configENS1_25partition_config_selectorILNS1_17partition_subalgoE5EsNS0_10empty_typeEbEEZZNS1_14partition_implILS5_5ELb0ES3_mN6thrust23THRUST_200600_302600_NS6detail15normal_iteratorINSA_10device_ptrIsEEEEPS6_NSA_18transform_iteratorINSB_9not_fun_tI7is_trueIsEEESF_NSA_11use_defaultESM_EENS0_5tupleIJSF_S6_EEENSO_IJSG_SG_EEES6_PlJS6_EEE10hipError_tPvRmT3_T4_T5_T6_T7_T9_mT8_P12ihipStream_tbDpT10_ENKUlT_T0_E_clISt17integral_constantIbLb0EES1B_EEDaS16_S17_EUlS16_E_NS1_11comp_targetILNS1_3genE5ELNS1_11target_archE942ELNS1_3gpuE9ELNS1_3repE0EEENS1_30default_config_static_selectorELNS0_4arch9wavefront6targetE0EEEvT1_
	.p2align	8
	.type	_ZN7rocprim17ROCPRIM_400000_NS6detail17trampoline_kernelINS0_14default_configENS1_25partition_config_selectorILNS1_17partition_subalgoE5EsNS0_10empty_typeEbEEZZNS1_14partition_implILS5_5ELb0ES3_mN6thrust23THRUST_200600_302600_NS6detail15normal_iteratorINSA_10device_ptrIsEEEEPS6_NSA_18transform_iteratorINSB_9not_fun_tI7is_trueIsEEESF_NSA_11use_defaultESM_EENS0_5tupleIJSF_S6_EEENSO_IJSG_SG_EEES6_PlJS6_EEE10hipError_tPvRmT3_T4_T5_T6_T7_T9_mT8_P12ihipStream_tbDpT10_ENKUlT_T0_E_clISt17integral_constantIbLb0EES1B_EEDaS16_S17_EUlS16_E_NS1_11comp_targetILNS1_3genE5ELNS1_11target_archE942ELNS1_3gpuE9ELNS1_3repE0EEENS1_30default_config_static_selectorELNS0_4arch9wavefront6targetE0EEEvT1_,@function
_ZN7rocprim17ROCPRIM_400000_NS6detail17trampoline_kernelINS0_14default_configENS1_25partition_config_selectorILNS1_17partition_subalgoE5EsNS0_10empty_typeEbEEZZNS1_14partition_implILS5_5ELb0ES3_mN6thrust23THRUST_200600_302600_NS6detail15normal_iteratorINSA_10device_ptrIsEEEEPS6_NSA_18transform_iteratorINSB_9not_fun_tI7is_trueIsEEESF_NSA_11use_defaultESM_EENS0_5tupleIJSF_S6_EEENSO_IJSG_SG_EEES6_PlJS6_EEE10hipError_tPvRmT3_T4_T5_T6_T7_T9_mT8_P12ihipStream_tbDpT10_ENKUlT_T0_E_clISt17integral_constantIbLb0EES1B_EEDaS16_S17_EUlS16_E_NS1_11comp_targetILNS1_3genE5ELNS1_11target_archE942ELNS1_3gpuE9ELNS1_3repE0EEENS1_30default_config_static_selectorELNS0_4arch9wavefront6targetE0EEEvT1_: ; @_ZN7rocprim17ROCPRIM_400000_NS6detail17trampoline_kernelINS0_14default_configENS1_25partition_config_selectorILNS1_17partition_subalgoE5EsNS0_10empty_typeEbEEZZNS1_14partition_implILS5_5ELb0ES3_mN6thrust23THRUST_200600_302600_NS6detail15normal_iteratorINSA_10device_ptrIsEEEEPS6_NSA_18transform_iteratorINSB_9not_fun_tI7is_trueIsEEESF_NSA_11use_defaultESM_EENS0_5tupleIJSF_S6_EEENSO_IJSG_SG_EEES6_PlJS6_EEE10hipError_tPvRmT3_T4_T5_T6_T7_T9_mT8_P12ihipStream_tbDpT10_ENKUlT_T0_E_clISt17integral_constantIbLb0EES1B_EEDaS16_S17_EUlS16_E_NS1_11comp_targetILNS1_3genE5ELNS1_11target_archE942ELNS1_3gpuE9ELNS1_3repE0EEENS1_30default_config_static_selectorELNS0_4arch9wavefront6targetE0EEEvT1_
; %bb.0:
	.section	.rodata,"a",@progbits
	.p2align	6, 0x0
	.amdhsa_kernel _ZN7rocprim17ROCPRIM_400000_NS6detail17trampoline_kernelINS0_14default_configENS1_25partition_config_selectorILNS1_17partition_subalgoE5EsNS0_10empty_typeEbEEZZNS1_14partition_implILS5_5ELb0ES3_mN6thrust23THRUST_200600_302600_NS6detail15normal_iteratorINSA_10device_ptrIsEEEEPS6_NSA_18transform_iteratorINSB_9not_fun_tI7is_trueIsEEESF_NSA_11use_defaultESM_EENS0_5tupleIJSF_S6_EEENSO_IJSG_SG_EEES6_PlJS6_EEE10hipError_tPvRmT3_T4_T5_T6_T7_T9_mT8_P12ihipStream_tbDpT10_ENKUlT_T0_E_clISt17integral_constantIbLb0EES1B_EEDaS16_S17_EUlS16_E_NS1_11comp_targetILNS1_3genE5ELNS1_11target_archE942ELNS1_3gpuE9ELNS1_3repE0EEENS1_30default_config_static_selectorELNS0_4arch9wavefront6targetE0EEEvT1_
		.amdhsa_group_segment_fixed_size 0
		.amdhsa_private_segment_fixed_size 0
		.amdhsa_kernarg_size 120
		.amdhsa_user_sgpr_count 2
		.amdhsa_user_sgpr_dispatch_ptr 0
		.amdhsa_user_sgpr_queue_ptr 0
		.amdhsa_user_sgpr_kernarg_segment_ptr 1
		.amdhsa_user_sgpr_dispatch_id 0
		.amdhsa_user_sgpr_private_segment_size 0
		.amdhsa_wavefront_size32 1
		.amdhsa_uses_dynamic_stack 0
		.amdhsa_enable_private_segment 0
		.amdhsa_system_sgpr_workgroup_id_x 1
		.amdhsa_system_sgpr_workgroup_id_y 0
		.amdhsa_system_sgpr_workgroup_id_z 0
		.amdhsa_system_sgpr_workgroup_info 0
		.amdhsa_system_vgpr_workitem_id 0
		.amdhsa_next_free_vgpr 1
		.amdhsa_next_free_sgpr 1
		.amdhsa_reserve_vcc 0
		.amdhsa_float_round_mode_32 0
		.amdhsa_float_round_mode_16_64 0
		.amdhsa_float_denorm_mode_32 3
		.amdhsa_float_denorm_mode_16_64 3
		.amdhsa_fp16_overflow 0
		.amdhsa_workgroup_processor_mode 1
		.amdhsa_memory_ordered 1
		.amdhsa_forward_progress 1
		.amdhsa_inst_pref_size 0
		.amdhsa_round_robin_scheduling 0
		.amdhsa_exception_fp_ieee_invalid_op 0
		.amdhsa_exception_fp_denorm_src 0
		.amdhsa_exception_fp_ieee_div_zero 0
		.amdhsa_exception_fp_ieee_overflow 0
		.amdhsa_exception_fp_ieee_underflow 0
		.amdhsa_exception_fp_ieee_inexact 0
		.amdhsa_exception_int_div_zero 0
	.end_amdhsa_kernel
	.section	.text._ZN7rocprim17ROCPRIM_400000_NS6detail17trampoline_kernelINS0_14default_configENS1_25partition_config_selectorILNS1_17partition_subalgoE5EsNS0_10empty_typeEbEEZZNS1_14partition_implILS5_5ELb0ES3_mN6thrust23THRUST_200600_302600_NS6detail15normal_iteratorINSA_10device_ptrIsEEEEPS6_NSA_18transform_iteratorINSB_9not_fun_tI7is_trueIsEEESF_NSA_11use_defaultESM_EENS0_5tupleIJSF_S6_EEENSO_IJSG_SG_EEES6_PlJS6_EEE10hipError_tPvRmT3_T4_T5_T6_T7_T9_mT8_P12ihipStream_tbDpT10_ENKUlT_T0_E_clISt17integral_constantIbLb0EES1B_EEDaS16_S17_EUlS16_E_NS1_11comp_targetILNS1_3genE5ELNS1_11target_archE942ELNS1_3gpuE9ELNS1_3repE0EEENS1_30default_config_static_selectorELNS0_4arch9wavefront6targetE0EEEvT1_,"axG",@progbits,_ZN7rocprim17ROCPRIM_400000_NS6detail17trampoline_kernelINS0_14default_configENS1_25partition_config_selectorILNS1_17partition_subalgoE5EsNS0_10empty_typeEbEEZZNS1_14partition_implILS5_5ELb0ES3_mN6thrust23THRUST_200600_302600_NS6detail15normal_iteratorINSA_10device_ptrIsEEEEPS6_NSA_18transform_iteratorINSB_9not_fun_tI7is_trueIsEEESF_NSA_11use_defaultESM_EENS0_5tupleIJSF_S6_EEENSO_IJSG_SG_EEES6_PlJS6_EEE10hipError_tPvRmT3_T4_T5_T6_T7_T9_mT8_P12ihipStream_tbDpT10_ENKUlT_T0_E_clISt17integral_constantIbLb0EES1B_EEDaS16_S17_EUlS16_E_NS1_11comp_targetILNS1_3genE5ELNS1_11target_archE942ELNS1_3gpuE9ELNS1_3repE0EEENS1_30default_config_static_selectorELNS0_4arch9wavefront6targetE0EEEvT1_,comdat
.Lfunc_end1534:
	.size	_ZN7rocprim17ROCPRIM_400000_NS6detail17trampoline_kernelINS0_14default_configENS1_25partition_config_selectorILNS1_17partition_subalgoE5EsNS0_10empty_typeEbEEZZNS1_14partition_implILS5_5ELb0ES3_mN6thrust23THRUST_200600_302600_NS6detail15normal_iteratorINSA_10device_ptrIsEEEEPS6_NSA_18transform_iteratorINSB_9not_fun_tI7is_trueIsEEESF_NSA_11use_defaultESM_EENS0_5tupleIJSF_S6_EEENSO_IJSG_SG_EEES6_PlJS6_EEE10hipError_tPvRmT3_T4_T5_T6_T7_T9_mT8_P12ihipStream_tbDpT10_ENKUlT_T0_E_clISt17integral_constantIbLb0EES1B_EEDaS16_S17_EUlS16_E_NS1_11comp_targetILNS1_3genE5ELNS1_11target_archE942ELNS1_3gpuE9ELNS1_3repE0EEENS1_30default_config_static_selectorELNS0_4arch9wavefront6targetE0EEEvT1_, .Lfunc_end1534-_ZN7rocprim17ROCPRIM_400000_NS6detail17trampoline_kernelINS0_14default_configENS1_25partition_config_selectorILNS1_17partition_subalgoE5EsNS0_10empty_typeEbEEZZNS1_14partition_implILS5_5ELb0ES3_mN6thrust23THRUST_200600_302600_NS6detail15normal_iteratorINSA_10device_ptrIsEEEEPS6_NSA_18transform_iteratorINSB_9not_fun_tI7is_trueIsEEESF_NSA_11use_defaultESM_EENS0_5tupleIJSF_S6_EEENSO_IJSG_SG_EEES6_PlJS6_EEE10hipError_tPvRmT3_T4_T5_T6_T7_T9_mT8_P12ihipStream_tbDpT10_ENKUlT_T0_E_clISt17integral_constantIbLb0EES1B_EEDaS16_S17_EUlS16_E_NS1_11comp_targetILNS1_3genE5ELNS1_11target_archE942ELNS1_3gpuE9ELNS1_3repE0EEENS1_30default_config_static_selectorELNS0_4arch9wavefront6targetE0EEEvT1_
                                        ; -- End function
	.set _ZN7rocprim17ROCPRIM_400000_NS6detail17trampoline_kernelINS0_14default_configENS1_25partition_config_selectorILNS1_17partition_subalgoE5EsNS0_10empty_typeEbEEZZNS1_14partition_implILS5_5ELb0ES3_mN6thrust23THRUST_200600_302600_NS6detail15normal_iteratorINSA_10device_ptrIsEEEEPS6_NSA_18transform_iteratorINSB_9not_fun_tI7is_trueIsEEESF_NSA_11use_defaultESM_EENS0_5tupleIJSF_S6_EEENSO_IJSG_SG_EEES6_PlJS6_EEE10hipError_tPvRmT3_T4_T5_T6_T7_T9_mT8_P12ihipStream_tbDpT10_ENKUlT_T0_E_clISt17integral_constantIbLb0EES1B_EEDaS16_S17_EUlS16_E_NS1_11comp_targetILNS1_3genE5ELNS1_11target_archE942ELNS1_3gpuE9ELNS1_3repE0EEENS1_30default_config_static_selectorELNS0_4arch9wavefront6targetE0EEEvT1_.num_vgpr, 0
	.set _ZN7rocprim17ROCPRIM_400000_NS6detail17trampoline_kernelINS0_14default_configENS1_25partition_config_selectorILNS1_17partition_subalgoE5EsNS0_10empty_typeEbEEZZNS1_14partition_implILS5_5ELb0ES3_mN6thrust23THRUST_200600_302600_NS6detail15normal_iteratorINSA_10device_ptrIsEEEEPS6_NSA_18transform_iteratorINSB_9not_fun_tI7is_trueIsEEESF_NSA_11use_defaultESM_EENS0_5tupleIJSF_S6_EEENSO_IJSG_SG_EEES6_PlJS6_EEE10hipError_tPvRmT3_T4_T5_T6_T7_T9_mT8_P12ihipStream_tbDpT10_ENKUlT_T0_E_clISt17integral_constantIbLb0EES1B_EEDaS16_S17_EUlS16_E_NS1_11comp_targetILNS1_3genE5ELNS1_11target_archE942ELNS1_3gpuE9ELNS1_3repE0EEENS1_30default_config_static_selectorELNS0_4arch9wavefront6targetE0EEEvT1_.num_agpr, 0
	.set _ZN7rocprim17ROCPRIM_400000_NS6detail17trampoline_kernelINS0_14default_configENS1_25partition_config_selectorILNS1_17partition_subalgoE5EsNS0_10empty_typeEbEEZZNS1_14partition_implILS5_5ELb0ES3_mN6thrust23THRUST_200600_302600_NS6detail15normal_iteratorINSA_10device_ptrIsEEEEPS6_NSA_18transform_iteratorINSB_9not_fun_tI7is_trueIsEEESF_NSA_11use_defaultESM_EENS0_5tupleIJSF_S6_EEENSO_IJSG_SG_EEES6_PlJS6_EEE10hipError_tPvRmT3_T4_T5_T6_T7_T9_mT8_P12ihipStream_tbDpT10_ENKUlT_T0_E_clISt17integral_constantIbLb0EES1B_EEDaS16_S17_EUlS16_E_NS1_11comp_targetILNS1_3genE5ELNS1_11target_archE942ELNS1_3gpuE9ELNS1_3repE0EEENS1_30default_config_static_selectorELNS0_4arch9wavefront6targetE0EEEvT1_.numbered_sgpr, 0
	.set _ZN7rocprim17ROCPRIM_400000_NS6detail17trampoline_kernelINS0_14default_configENS1_25partition_config_selectorILNS1_17partition_subalgoE5EsNS0_10empty_typeEbEEZZNS1_14partition_implILS5_5ELb0ES3_mN6thrust23THRUST_200600_302600_NS6detail15normal_iteratorINSA_10device_ptrIsEEEEPS6_NSA_18transform_iteratorINSB_9not_fun_tI7is_trueIsEEESF_NSA_11use_defaultESM_EENS0_5tupleIJSF_S6_EEENSO_IJSG_SG_EEES6_PlJS6_EEE10hipError_tPvRmT3_T4_T5_T6_T7_T9_mT8_P12ihipStream_tbDpT10_ENKUlT_T0_E_clISt17integral_constantIbLb0EES1B_EEDaS16_S17_EUlS16_E_NS1_11comp_targetILNS1_3genE5ELNS1_11target_archE942ELNS1_3gpuE9ELNS1_3repE0EEENS1_30default_config_static_selectorELNS0_4arch9wavefront6targetE0EEEvT1_.num_named_barrier, 0
	.set _ZN7rocprim17ROCPRIM_400000_NS6detail17trampoline_kernelINS0_14default_configENS1_25partition_config_selectorILNS1_17partition_subalgoE5EsNS0_10empty_typeEbEEZZNS1_14partition_implILS5_5ELb0ES3_mN6thrust23THRUST_200600_302600_NS6detail15normal_iteratorINSA_10device_ptrIsEEEEPS6_NSA_18transform_iteratorINSB_9not_fun_tI7is_trueIsEEESF_NSA_11use_defaultESM_EENS0_5tupleIJSF_S6_EEENSO_IJSG_SG_EEES6_PlJS6_EEE10hipError_tPvRmT3_T4_T5_T6_T7_T9_mT8_P12ihipStream_tbDpT10_ENKUlT_T0_E_clISt17integral_constantIbLb0EES1B_EEDaS16_S17_EUlS16_E_NS1_11comp_targetILNS1_3genE5ELNS1_11target_archE942ELNS1_3gpuE9ELNS1_3repE0EEENS1_30default_config_static_selectorELNS0_4arch9wavefront6targetE0EEEvT1_.private_seg_size, 0
	.set _ZN7rocprim17ROCPRIM_400000_NS6detail17trampoline_kernelINS0_14default_configENS1_25partition_config_selectorILNS1_17partition_subalgoE5EsNS0_10empty_typeEbEEZZNS1_14partition_implILS5_5ELb0ES3_mN6thrust23THRUST_200600_302600_NS6detail15normal_iteratorINSA_10device_ptrIsEEEEPS6_NSA_18transform_iteratorINSB_9not_fun_tI7is_trueIsEEESF_NSA_11use_defaultESM_EENS0_5tupleIJSF_S6_EEENSO_IJSG_SG_EEES6_PlJS6_EEE10hipError_tPvRmT3_T4_T5_T6_T7_T9_mT8_P12ihipStream_tbDpT10_ENKUlT_T0_E_clISt17integral_constantIbLb0EES1B_EEDaS16_S17_EUlS16_E_NS1_11comp_targetILNS1_3genE5ELNS1_11target_archE942ELNS1_3gpuE9ELNS1_3repE0EEENS1_30default_config_static_selectorELNS0_4arch9wavefront6targetE0EEEvT1_.uses_vcc, 0
	.set _ZN7rocprim17ROCPRIM_400000_NS6detail17trampoline_kernelINS0_14default_configENS1_25partition_config_selectorILNS1_17partition_subalgoE5EsNS0_10empty_typeEbEEZZNS1_14partition_implILS5_5ELb0ES3_mN6thrust23THRUST_200600_302600_NS6detail15normal_iteratorINSA_10device_ptrIsEEEEPS6_NSA_18transform_iteratorINSB_9not_fun_tI7is_trueIsEEESF_NSA_11use_defaultESM_EENS0_5tupleIJSF_S6_EEENSO_IJSG_SG_EEES6_PlJS6_EEE10hipError_tPvRmT3_T4_T5_T6_T7_T9_mT8_P12ihipStream_tbDpT10_ENKUlT_T0_E_clISt17integral_constantIbLb0EES1B_EEDaS16_S17_EUlS16_E_NS1_11comp_targetILNS1_3genE5ELNS1_11target_archE942ELNS1_3gpuE9ELNS1_3repE0EEENS1_30default_config_static_selectorELNS0_4arch9wavefront6targetE0EEEvT1_.uses_flat_scratch, 0
	.set _ZN7rocprim17ROCPRIM_400000_NS6detail17trampoline_kernelINS0_14default_configENS1_25partition_config_selectorILNS1_17partition_subalgoE5EsNS0_10empty_typeEbEEZZNS1_14partition_implILS5_5ELb0ES3_mN6thrust23THRUST_200600_302600_NS6detail15normal_iteratorINSA_10device_ptrIsEEEEPS6_NSA_18transform_iteratorINSB_9not_fun_tI7is_trueIsEEESF_NSA_11use_defaultESM_EENS0_5tupleIJSF_S6_EEENSO_IJSG_SG_EEES6_PlJS6_EEE10hipError_tPvRmT3_T4_T5_T6_T7_T9_mT8_P12ihipStream_tbDpT10_ENKUlT_T0_E_clISt17integral_constantIbLb0EES1B_EEDaS16_S17_EUlS16_E_NS1_11comp_targetILNS1_3genE5ELNS1_11target_archE942ELNS1_3gpuE9ELNS1_3repE0EEENS1_30default_config_static_selectorELNS0_4arch9wavefront6targetE0EEEvT1_.has_dyn_sized_stack, 0
	.set _ZN7rocprim17ROCPRIM_400000_NS6detail17trampoline_kernelINS0_14default_configENS1_25partition_config_selectorILNS1_17partition_subalgoE5EsNS0_10empty_typeEbEEZZNS1_14partition_implILS5_5ELb0ES3_mN6thrust23THRUST_200600_302600_NS6detail15normal_iteratorINSA_10device_ptrIsEEEEPS6_NSA_18transform_iteratorINSB_9not_fun_tI7is_trueIsEEESF_NSA_11use_defaultESM_EENS0_5tupleIJSF_S6_EEENSO_IJSG_SG_EEES6_PlJS6_EEE10hipError_tPvRmT3_T4_T5_T6_T7_T9_mT8_P12ihipStream_tbDpT10_ENKUlT_T0_E_clISt17integral_constantIbLb0EES1B_EEDaS16_S17_EUlS16_E_NS1_11comp_targetILNS1_3genE5ELNS1_11target_archE942ELNS1_3gpuE9ELNS1_3repE0EEENS1_30default_config_static_selectorELNS0_4arch9wavefront6targetE0EEEvT1_.has_recursion, 0
	.set _ZN7rocprim17ROCPRIM_400000_NS6detail17trampoline_kernelINS0_14default_configENS1_25partition_config_selectorILNS1_17partition_subalgoE5EsNS0_10empty_typeEbEEZZNS1_14partition_implILS5_5ELb0ES3_mN6thrust23THRUST_200600_302600_NS6detail15normal_iteratorINSA_10device_ptrIsEEEEPS6_NSA_18transform_iteratorINSB_9not_fun_tI7is_trueIsEEESF_NSA_11use_defaultESM_EENS0_5tupleIJSF_S6_EEENSO_IJSG_SG_EEES6_PlJS6_EEE10hipError_tPvRmT3_T4_T5_T6_T7_T9_mT8_P12ihipStream_tbDpT10_ENKUlT_T0_E_clISt17integral_constantIbLb0EES1B_EEDaS16_S17_EUlS16_E_NS1_11comp_targetILNS1_3genE5ELNS1_11target_archE942ELNS1_3gpuE9ELNS1_3repE0EEENS1_30default_config_static_selectorELNS0_4arch9wavefront6targetE0EEEvT1_.has_indirect_call, 0
	.section	.AMDGPU.csdata,"",@progbits
; Kernel info:
; codeLenInByte = 0
; TotalNumSgprs: 0
; NumVgprs: 0
; ScratchSize: 0
; MemoryBound: 0
; FloatMode: 240
; IeeeMode: 1
; LDSByteSize: 0 bytes/workgroup (compile time only)
; SGPRBlocks: 0
; VGPRBlocks: 0
; NumSGPRsForWavesPerEU: 1
; NumVGPRsForWavesPerEU: 1
; Occupancy: 16
; WaveLimiterHint : 0
; COMPUTE_PGM_RSRC2:SCRATCH_EN: 0
; COMPUTE_PGM_RSRC2:USER_SGPR: 2
; COMPUTE_PGM_RSRC2:TRAP_HANDLER: 0
; COMPUTE_PGM_RSRC2:TGID_X_EN: 1
; COMPUTE_PGM_RSRC2:TGID_Y_EN: 0
; COMPUTE_PGM_RSRC2:TGID_Z_EN: 0
; COMPUTE_PGM_RSRC2:TIDIG_COMP_CNT: 0
	.section	.text._ZN7rocprim17ROCPRIM_400000_NS6detail17trampoline_kernelINS0_14default_configENS1_25partition_config_selectorILNS1_17partition_subalgoE5EsNS0_10empty_typeEbEEZZNS1_14partition_implILS5_5ELb0ES3_mN6thrust23THRUST_200600_302600_NS6detail15normal_iteratorINSA_10device_ptrIsEEEEPS6_NSA_18transform_iteratorINSB_9not_fun_tI7is_trueIsEEESF_NSA_11use_defaultESM_EENS0_5tupleIJSF_S6_EEENSO_IJSG_SG_EEES6_PlJS6_EEE10hipError_tPvRmT3_T4_T5_T6_T7_T9_mT8_P12ihipStream_tbDpT10_ENKUlT_T0_E_clISt17integral_constantIbLb0EES1B_EEDaS16_S17_EUlS16_E_NS1_11comp_targetILNS1_3genE4ELNS1_11target_archE910ELNS1_3gpuE8ELNS1_3repE0EEENS1_30default_config_static_selectorELNS0_4arch9wavefront6targetE0EEEvT1_,"axG",@progbits,_ZN7rocprim17ROCPRIM_400000_NS6detail17trampoline_kernelINS0_14default_configENS1_25partition_config_selectorILNS1_17partition_subalgoE5EsNS0_10empty_typeEbEEZZNS1_14partition_implILS5_5ELb0ES3_mN6thrust23THRUST_200600_302600_NS6detail15normal_iteratorINSA_10device_ptrIsEEEEPS6_NSA_18transform_iteratorINSB_9not_fun_tI7is_trueIsEEESF_NSA_11use_defaultESM_EENS0_5tupleIJSF_S6_EEENSO_IJSG_SG_EEES6_PlJS6_EEE10hipError_tPvRmT3_T4_T5_T6_T7_T9_mT8_P12ihipStream_tbDpT10_ENKUlT_T0_E_clISt17integral_constantIbLb0EES1B_EEDaS16_S17_EUlS16_E_NS1_11comp_targetILNS1_3genE4ELNS1_11target_archE910ELNS1_3gpuE8ELNS1_3repE0EEENS1_30default_config_static_selectorELNS0_4arch9wavefront6targetE0EEEvT1_,comdat
	.protected	_ZN7rocprim17ROCPRIM_400000_NS6detail17trampoline_kernelINS0_14default_configENS1_25partition_config_selectorILNS1_17partition_subalgoE5EsNS0_10empty_typeEbEEZZNS1_14partition_implILS5_5ELb0ES3_mN6thrust23THRUST_200600_302600_NS6detail15normal_iteratorINSA_10device_ptrIsEEEEPS6_NSA_18transform_iteratorINSB_9not_fun_tI7is_trueIsEEESF_NSA_11use_defaultESM_EENS0_5tupleIJSF_S6_EEENSO_IJSG_SG_EEES6_PlJS6_EEE10hipError_tPvRmT3_T4_T5_T6_T7_T9_mT8_P12ihipStream_tbDpT10_ENKUlT_T0_E_clISt17integral_constantIbLb0EES1B_EEDaS16_S17_EUlS16_E_NS1_11comp_targetILNS1_3genE4ELNS1_11target_archE910ELNS1_3gpuE8ELNS1_3repE0EEENS1_30default_config_static_selectorELNS0_4arch9wavefront6targetE0EEEvT1_ ; -- Begin function _ZN7rocprim17ROCPRIM_400000_NS6detail17trampoline_kernelINS0_14default_configENS1_25partition_config_selectorILNS1_17partition_subalgoE5EsNS0_10empty_typeEbEEZZNS1_14partition_implILS5_5ELb0ES3_mN6thrust23THRUST_200600_302600_NS6detail15normal_iteratorINSA_10device_ptrIsEEEEPS6_NSA_18transform_iteratorINSB_9not_fun_tI7is_trueIsEEESF_NSA_11use_defaultESM_EENS0_5tupleIJSF_S6_EEENSO_IJSG_SG_EEES6_PlJS6_EEE10hipError_tPvRmT3_T4_T5_T6_T7_T9_mT8_P12ihipStream_tbDpT10_ENKUlT_T0_E_clISt17integral_constantIbLb0EES1B_EEDaS16_S17_EUlS16_E_NS1_11comp_targetILNS1_3genE4ELNS1_11target_archE910ELNS1_3gpuE8ELNS1_3repE0EEENS1_30default_config_static_selectorELNS0_4arch9wavefront6targetE0EEEvT1_
	.globl	_ZN7rocprim17ROCPRIM_400000_NS6detail17trampoline_kernelINS0_14default_configENS1_25partition_config_selectorILNS1_17partition_subalgoE5EsNS0_10empty_typeEbEEZZNS1_14partition_implILS5_5ELb0ES3_mN6thrust23THRUST_200600_302600_NS6detail15normal_iteratorINSA_10device_ptrIsEEEEPS6_NSA_18transform_iteratorINSB_9not_fun_tI7is_trueIsEEESF_NSA_11use_defaultESM_EENS0_5tupleIJSF_S6_EEENSO_IJSG_SG_EEES6_PlJS6_EEE10hipError_tPvRmT3_T4_T5_T6_T7_T9_mT8_P12ihipStream_tbDpT10_ENKUlT_T0_E_clISt17integral_constantIbLb0EES1B_EEDaS16_S17_EUlS16_E_NS1_11comp_targetILNS1_3genE4ELNS1_11target_archE910ELNS1_3gpuE8ELNS1_3repE0EEENS1_30default_config_static_selectorELNS0_4arch9wavefront6targetE0EEEvT1_
	.p2align	8
	.type	_ZN7rocprim17ROCPRIM_400000_NS6detail17trampoline_kernelINS0_14default_configENS1_25partition_config_selectorILNS1_17partition_subalgoE5EsNS0_10empty_typeEbEEZZNS1_14partition_implILS5_5ELb0ES3_mN6thrust23THRUST_200600_302600_NS6detail15normal_iteratorINSA_10device_ptrIsEEEEPS6_NSA_18transform_iteratorINSB_9not_fun_tI7is_trueIsEEESF_NSA_11use_defaultESM_EENS0_5tupleIJSF_S6_EEENSO_IJSG_SG_EEES6_PlJS6_EEE10hipError_tPvRmT3_T4_T5_T6_T7_T9_mT8_P12ihipStream_tbDpT10_ENKUlT_T0_E_clISt17integral_constantIbLb0EES1B_EEDaS16_S17_EUlS16_E_NS1_11comp_targetILNS1_3genE4ELNS1_11target_archE910ELNS1_3gpuE8ELNS1_3repE0EEENS1_30default_config_static_selectorELNS0_4arch9wavefront6targetE0EEEvT1_,@function
_ZN7rocprim17ROCPRIM_400000_NS6detail17trampoline_kernelINS0_14default_configENS1_25partition_config_selectorILNS1_17partition_subalgoE5EsNS0_10empty_typeEbEEZZNS1_14partition_implILS5_5ELb0ES3_mN6thrust23THRUST_200600_302600_NS6detail15normal_iteratorINSA_10device_ptrIsEEEEPS6_NSA_18transform_iteratorINSB_9not_fun_tI7is_trueIsEEESF_NSA_11use_defaultESM_EENS0_5tupleIJSF_S6_EEENSO_IJSG_SG_EEES6_PlJS6_EEE10hipError_tPvRmT3_T4_T5_T6_T7_T9_mT8_P12ihipStream_tbDpT10_ENKUlT_T0_E_clISt17integral_constantIbLb0EES1B_EEDaS16_S17_EUlS16_E_NS1_11comp_targetILNS1_3genE4ELNS1_11target_archE910ELNS1_3gpuE8ELNS1_3repE0EEENS1_30default_config_static_selectorELNS0_4arch9wavefront6targetE0EEEvT1_: ; @_ZN7rocprim17ROCPRIM_400000_NS6detail17trampoline_kernelINS0_14default_configENS1_25partition_config_selectorILNS1_17partition_subalgoE5EsNS0_10empty_typeEbEEZZNS1_14partition_implILS5_5ELb0ES3_mN6thrust23THRUST_200600_302600_NS6detail15normal_iteratorINSA_10device_ptrIsEEEEPS6_NSA_18transform_iteratorINSB_9not_fun_tI7is_trueIsEEESF_NSA_11use_defaultESM_EENS0_5tupleIJSF_S6_EEENSO_IJSG_SG_EEES6_PlJS6_EEE10hipError_tPvRmT3_T4_T5_T6_T7_T9_mT8_P12ihipStream_tbDpT10_ENKUlT_T0_E_clISt17integral_constantIbLb0EES1B_EEDaS16_S17_EUlS16_E_NS1_11comp_targetILNS1_3genE4ELNS1_11target_archE910ELNS1_3gpuE8ELNS1_3repE0EEENS1_30default_config_static_selectorELNS0_4arch9wavefront6targetE0EEEvT1_
; %bb.0:
	.section	.rodata,"a",@progbits
	.p2align	6, 0x0
	.amdhsa_kernel _ZN7rocprim17ROCPRIM_400000_NS6detail17trampoline_kernelINS0_14default_configENS1_25partition_config_selectorILNS1_17partition_subalgoE5EsNS0_10empty_typeEbEEZZNS1_14partition_implILS5_5ELb0ES3_mN6thrust23THRUST_200600_302600_NS6detail15normal_iteratorINSA_10device_ptrIsEEEEPS6_NSA_18transform_iteratorINSB_9not_fun_tI7is_trueIsEEESF_NSA_11use_defaultESM_EENS0_5tupleIJSF_S6_EEENSO_IJSG_SG_EEES6_PlJS6_EEE10hipError_tPvRmT3_T4_T5_T6_T7_T9_mT8_P12ihipStream_tbDpT10_ENKUlT_T0_E_clISt17integral_constantIbLb0EES1B_EEDaS16_S17_EUlS16_E_NS1_11comp_targetILNS1_3genE4ELNS1_11target_archE910ELNS1_3gpuE8ELNS1_3repE0EEENS1_30default_config_static_selectorELNS0_4arch9wavefront6targetE0EEEvT1_
		.amdhsa_group_segment_fixed_size 0
		.amdhsa_private_segment_fixed_size 0
		.amdhsa_kernarg_size 120
		.amdhsa_user_sgpr_count 2
		.amdhsa_user_sgpr_dispatch_ptr 0
		.amdhsa_user_sgpr_queue_ptr 0
		.amdhsa_user_sgpr_kernarg_segment_ptr 1
		.amdhsa_user_sgpr_dispatch_id 0
		.amdhsa_user_sgpr_private_segment_size 0
		.amdhsa_wavefront_size32 1
		.amdhsa_uses_dynamic_stack 0
		.amdhsa_enable_private_segment 0
		.amdhsa_system_sgpr_workgroup_id_x 1
		.amdhsa_system_sgpr_workgroup_id_y 0
		.amdhsa_system_sgpr_workgroup_id_z 0
		.amdhsa_system_sgpr_workgroup_info 0
		.amdhsa_system_vgpr_workitem_id 0
		.amdhsa_next_free_vgpr 1
		.amdhsa_next_free_sgpr 1
		.amdhsa_reserve_vcc 0
		.amdhsa_float_round_mode_32 0
		.amdhsa_float_round_mode_16_64 0
		.amdhsa_float_denorm_mode_32 3
		.amdhsa_float_denorm_mode_16_64 3
		.amdhsa_fp16_overflow 0
		.amdhsa_workgroup_processor_mode 1
		.amdhsa_memory_ordered 1
		.amdhsa_forward_progress 1
		.amdhsa_inst_pref_size 0
		.amdhsa_round_robin_scheduling 0
		.amdhsa_exception_fp_ieee_invalid_op 0
		.amdhsa_exception_fp_denorm_src 0
		.amdhsa_exception_fp_ieee_div_zero 0
		.amdhsa_exception_fp_ieee_overflow 0
		.amdhsa_exception_fp_ieee_underflow 0
		.amdhsa_exception_fp_ieee_inexact 0
		.amdhsa_exception_int_div_zero 0
	.end_amdhsa_kernel
	.section	.text._ZN7rocprim17ROCPRIM_400000_NS6detail17trampoline_kernelINS0_14default_configENS1_25partition_config_selectorILNS1_17partition_subalgoE5EsNS0_10empty_typeEbEEZZNS1_14partition_implILS5_5ELb0ES3_mN6thrust23THRUST_200600_302600_NS6detail15normal_iteratorINSA_10device_ptrIsEEEEPS6_NSA_18transform_iteratorINSB_9not_fun_tI7is_trueIsEEESF_NSA_11use_defaultESM_EENS0_5tupleIJSF_S6_EEENSO_IJSG_SG_EEES6_PlJS6_EEE10hipError_tPvRmT3_T4_T5_T6_T7_T9_mT8_P12ihipStream_tbDpT10_ENKUlT_T0_E_clISt17integral_constantIbLb0EES1B_EEDaS16_S17_EUlS16_E_NS1_11comp_targetILNS1_3genE4ELNS1_11target_archE910ELNS1_3gpuE8ELNS1_3repE0EEENS1_30default_config_static_selectorELNS0_4arch9wavefront6targetE0EEEvT1_,"axG",@progbits,_ZN7rocprim17ROCPRIM_400000_NS6detail17trampoline_kernelINS0_14default_configENS1_25partition_config_selectorILNS1_17partition_subalgoE5EsNS0_10empty_typeEbEEZZNS1_14partition_implILS5_5ELb0ES3_mN6thrust23THRUST_200600_302600_NS6detail15normal_iteratorINSA_10device_ptrIsEEEEPS6_NSA_18transform_iteratorINSB_9not_fun_tI7is_trueIsEEESF_NSA_11use_defaultESM_EENS0_5tupleIJSF_S6_EEENSO_IJSG_SG_EEES6_PlJS6_EEE10hipError_tPvRmT3_T4_T5_T6_T7_T9_mT8_P12ihipStream_tbDpT10_ENKUlT_T0_E_clISt17integral_constantIbLb0EES1B_EEDaS16_S17_EUlS16_E_NS1_11comp_targetILNS1_3genE4ELNS1_11target_archE910ELNS1_3gpuE8ELNS1_3repE0EEENS1_30default_config_static_selectorELNS0_4arch9wavefront6targetE0EEEvT1_,comdat
.Lfunc_end1535:
	.size	_ZN7rocprim17ROCPRIM_400000_NS6detail17trampoline_kernelINS0_14default_configENS1_25partition_config_selectorILNS1_17partition_subalgoE5EsNS0_10empty_typeEbEEZZNS1_14partition_implILS5_5ELb0ES3_mN6thrust23THRUST_200600_302600_NS6detail15normal_iteratorINSA_10device_ptrIsEEEEPS6_NSA_18transform_iteratorINSB_9not_fun_tI7is_trueIsEEESF_NSA_11use_defaultESM_EENS0_5tupleIJSF_S6_EEENSO_IJSG_SG_EEES6_PlJS6_EEE10hipError_tPvRmT3_T4_T5_T6_T7_T9_mT8_P12ihipStream_tbDpT10_ENKUlT_T0_E_clISt17integral_constantIbLb0EES1B_EEDaS16_S17_EUlS16_E_NS1_11comp_targetILNS1_3genE4ELNS1_11target_archE910ELNS1_3gpuE8ELNS1_3repE0EEENS1_30default_config_static_selectorELNS0_4arch9wavefront6targetE0EEEvT1_, .Lfunc_end1535-_ZN7rocprim17ROCPRIM_400000_NS6detail17trampoline_kernelINS0_14default_configENS1_25partition_config_selectorILNS1_17partition_subalgoE5EsNS0_10empty_typeEbEEZZNS1_14partition_implILS5_5ELb0ES3_mN6thrust23THRUST_200600_302600_NS6detail15normal_iteratorINSA_10device_ptrIsEEEEPS6_NSA_18transform_iteratorINSB_9not_fun_tI7is_trueIsEEESF_NSA_11use_defaultESM_EENS0_5tupleIJSF_S6_EEENSO_IJSG_SG_EEES6_PlJS6_EEE10hipError_tPvRmT3_T4_T5_T6_T7_T9_mT8_P12ihipStream_tbDpT10_ENKUlT_T0_E_clISt17integral_constantIbLb0EES1B_EEDaS16_S17_EUlS16_E_NS1_11comp_targetILNS1_3genE4ELNS1_11target_archE910ELNS1_3gpuE8ELNS1_3repE0EEENS1_30default_config_static_selectorELNS0_4arch9wavefront6targetE0EEEvT1_
                                        ; -- End function
	.set _ZN7rocprim17ROCPRIM_400000_NS6detail17trampoline_kernelINS0_14default_configENS1_25partition_config_selectorILNS1_17partition_subalgoE5EsNS0_10empty_typeEbEEZZNS1_14partition_implILS5_5ELb0ES3_mN6thrust23THRUST_200600_302600_NS6detail15normal_iteratorINSA_10device_ptrIsEEEEPS6_NSA_18transform_iteratorINSB_9not_fun_tI7is_trueIsEEESF_NSA_11use_defaultESM_EENS0_5tupleIJSF_S6_EEENSO_IJSG_SG_EEES6_PlJS6_EEE10hipError_tPvRmT3_T4_T5_T6_T7_T9_mT8_P12ihipStream_tbDpT10_ENKUlT_T0_E_clISt17integral_constantIbLb0EES1B_EEDaS16_S17_EUlS16_E_NS1_11comp_targetILNS1_3genE4ELNS1_11target_archE910ELNS1_3gpuE8ELNS1_3repE0EEENS1_30default_config_static_selectorELNS0_4arch9wavefront6targetE0EEEvT1_.num_vgpr, 0
	.set _ZN7rocprim17ROCPRIM_400000_NS6detail17trampoline_kernelINS0_14default_configENS1_25partition_config_selectorILNS1_17partition_subalgoE5EsNS0_10empty_typeEbEEZZNS1_14partition_implILS5_5ELb0ES3_mN6thrust23THRUST_200600_302600_NS6detail15normal_iteratorINSA_10device_ptrIsEEEEPS6_NSA_18transform_iteratorINSB_9not_fun_tI7is_trueIsEEESF_NSA_11use_defaultESM_EENS0_5tupleIJSF_S6_EEENSO_IJSG_SG_EEES6_PlJS6_EEE10hipError_tPvRmT3_T4_T5_T6_T7_T9_mT8_P12ihipStream_tbDpT10_ENKUlT_T0_E_clISt17integral_constantIbLb0EES1B_EEDaS16_S17_EUlS16_E_NS1_11comp_targetILNS1_3genE4ELNS1_11target_archE910ELNS1_3gpuE8ELNS1_3repE0EEENS1_30default_config_static_selectorELNS0_4arch9wavefront6targetE0EEEvT1_.num_agpr, 0
	.set _ZN7rocprim17ROCPRIM_400000_NS6detail17trampoline_kernelINS0_14default_configENS1_25partition_config_selectorILNS1_17partition_subalgoE5EsNS0_10empty_typeEbEEZZNS1_14partition_implILS5_5ELb0ES3_mN6thrust23THRUST_200600_302600_NS6detail15normal_iteratorINSA_10device_ptrIsEEEEPS6_NSA_18transform_iteratorINSB_9not_fun_tI7is_trueIsEEESF_NSA_11use_defaultESM_EENS0_5tupleIJSF_S6_EEENSO_IJSG_SG_EEES6_PlJS6_EEE10hipError_tPvRmT3_T4_T5_T6_T7_T9_mT8_P12ihipStream_tbDpT10_ENKUlT_T0_E_clISt17integral_constantIbLb0EES1B_EEDaS16_S17_EUlS16_E_NS1_11comp_targetILNS1_3genE4ELNS1_11target_archE910ELNS1_3gpuE8ELNS1_3repE0EEENS1_30default_config_static_selectorELNS0_4arch9wavefront6targetE0EEEvT1_.numbered_sgpr, 0
	.set _ZN7rocprim17ROCPRIM_400000_NS6detail17trampoline_kernelINS0_14default_configENS1_25partition_config_selectorILNS1_17partition_subalgoE5EsNS0_10empty_typeEbEEZZNS1_14partition_implILS5_5ELb0ES3_mN6thrust23THRUST_200600_302600_NS6detail15normal_iteratorINSA_10device_ptrIsEEEEPS6_NSA_18transform_iteratorINSB_9not_fun_tI7is_trueIsEEESF_NSA_11use_defaultESM_EENS0_5tupleIJSF_S6_EEENSO_IJSG_SG_EEES6_PlJS6_EEE10hipError_tPvRmT3_T4_T5_T6_T7_T9_mT8_P12ihipStream_tbDpT10_ENKUlT_T0_E_clISt17integral_constantIbLb0EES1B_EEDaS16_S17_EUlS16_E_NS1_11comp_targetILNS1_3genE4ELNS1_11target_archE910ELNS1_3gpuE8ELNS1_3repE0EEENS1_30default_config_static_selectorELNS0_4arch9wavefront6targetE0EEEvT1_.num_named_barrier, 0
	.set _ZN7rocprim17ROCPRIM_400000_NS6detail17trampoline_kernelINS0_14default_configENS1_25partition_config_selectorILNS1_17partition_subalgoE5EsNS0_10empty_typeEbEEZZNS1_14partition_implILS5_5ELb0ES3_mN6thrust23THRUST_200600_302600_NS6detail15normal_iteratorINSA_10device_ptrIsEEEEPS6_NSA_18transform_iteratorINSB_9not_fun_tI7is_trueIsEEESF_NSA_11use_defaultESM_EENS0_5tupleIJSF_S6_EEENSO_IJSG_SG_EEES6_PlJS6_EEE10hipError_tPvRmT3_T4_T5_T6_T7_T9_mT8_P12ihipStream_tbDpT10_ENKUlT_T0_E_clISt17integral_constantIbLb0EES1B_EEDaS16_S17_EUlS16_E_NS1_11comp_targetILNS1_3genE4ELNS1_11target_archE910ELNS1_3gpuE8ELNS1_3repE0EEENS1_30default_config_static_selectorELNS0_4arch9wavefront6targetE0EEEvT1_.private_seg_size, 0
	.set _ZN7rocprim17ROCPRIM_400000_NS6detail17trampoline_kernelINS0_14default_configENS1_25partition_config_selectorILNS1_17partition_subalgoE5EsNS0_10empty_typeEbEEZZNS1_14partition_implILS5_5ELb0ES3_mN6thrust23THRUST_200600_302600_NS6detail15normal_iteratorINSA_10device_ptrIsEEEEPS6_NSA_18transform_iteratorINSB_9not_fun_tI7is_trueIsEEESF_NSA_11use_defaultESM_EENS0_5tupleIJSF_S6_EEENSO_IJSG_SG_EEES6_PlJS6_EEE10hipError_tPvRmT3_T4_T5_T6_T7_T9_mT8_P12ihipStream_tbDpT10_ENKUlT_T0_E_clISt17integral_constantIbLb0EES1B_EEDaS16_S17_EUlS16_E_NS1_11comp_targetILNS1_3genE4ELNS1_11target_archE910ELNS1_3gpuE8ELNS1_3repE0EEENS1_30default_config_static_selectorELNS0_4arch9wavefront6targetE0EEEvT1_.uses_vcc, 0
	.set _ZN7rocprim17ROCPRIM_400000_NS6detail17trampoline_kernelINS0_14default_configENS1_25partition_config_selectorILNS1_17partition_subalgoE5EsNS0_10empty_typeEbEEZZNS1_14partition_implILS5_5ELb0ES3_mN6thrust23THRUST_200600_302600_NS6detail15normal_iteratorINSA_10device_ptrIsEEEEPS6_NSA_18transform_iteratorINSB_9not_fun_tI7is_trueIsEEESF_NSA_11use_defaultESM_EENS0_5tupleIJSF_S6_EEENSO_IJSG_SG_EEES6_PlJS6_EEE10hipError_tPvRmT3_T4_T5_T6_T7_T9_mT8_P12ihipStream_tbDpT10_ENKUlT_T0_E_clISt17integral_constantIbLb0EES1B_EEDaS16_S17_EUlS16_E_NS1_11comp_targetILNS1_3genE4ELNS1_11target_archE910ELNS1_3gpuE8ELNS1_3repE0EEENS1_30default_config_static_selectorELNS0_4arch9wavefront6targetE0EEEvT1_.uses_flat_scratch, 0
	.set _ZN7rocprim17ROCPRIM_400000_NS6detail17trampoline_kernelINS0_14default_configENS1_25partition_config_selectorILNS1_17partition_subalgoE5EsNS0_10empty_typeEbEEZZNS1_14partition_implILS5_5ELb0ES3_mN6thrust23THRUST_200600_302600_NS6detail15normal_iteratorINSA_10device_ptrIsEEEEPS6_NSA_18transform_iteratorINSB_9not_fun_tI7is_trueIsEEESF_NSA_11use_defaultESM_EENS0_5tupleIJSF_S6_EEENSO_IJSG_SG_EEES6_PlJS6_EEE10hipError_tPvRmT3_T4_T5_T6_T7_T9_mT8_P12ihipStream_tbDpT10_ENKUlT_T0_E_clISt17integral_constantIbLb0EES1B_EEDaS16_S17_EUlS16_E_NS1_11comp_targetILNS1_3genE4ELNS1_11target_archE910ELNS1_3gpuE8ELNS1_3repE0EEENS1_30default_config_static_selectorELNS0_4arch9wavefront6targetE0EEEvT1_.has_dyn_sized_stack, 0
	.set _ZN7rocprim17ROCPRIM_400000_NS6detail17trampoline_kernelINS0_14default_configENS1_25partition_config_selectorILNS1_17partition_subalgoE5EsNS0_10empty_typeEbEEZZNS1_14partition_implILS5_5ELb0ES3_mN6thrust23THRUST_200600_302600_NS6detail15normal_iteratorINSA_10device_ptrIsEEEEPS6_NSA_18transform_iteratorINSB_9not_fun_tI7is_trueIsEEESF_NSA_11use_defaultESM_EENS0_5tupleIJSF_S6_EEENSO_IJSG_SG_EEES6_PlJS6_EEE10hipError_tPvRmT3_T4_T5_T6_T7_T9_mT8_P12ihipStream_tbDpT10_ENKUlT_T0_E_clISt17integral_constantIbLb0EES1B_EEDaS16_S17_EUlS16_E_NS1_11comp_targetILNS1_3genE4ELNS1_11target_archE910ELNS1_3gpuE8ELNS1_3repE0EEENS1_30default_config_static_selectorELNS0_4arch9wavefront6targetE0EEEvT1_.has_recursion, 0
	.set _ZN7rocprim17ROCPRIM_400000_NS6detail17trampoline_kernelINS0_14default_configENS1_25partition_config_selectorILNS1_17partition_subalgoE5EsNS0_10empty_typeEbEEZZNS1_14partition_implILS5_5ELb0ES3_mN6thrust23THRUST_200600_302600_NS6detail15normal_iteratorINSA_10device_ptrIsEEEEPS6_NSA_18transform_iteratorINSB_9not_fun_tI7is_trueIsEEESF_NSA_11use_defaultESM_EENS0_5tupleIJSF_S6_EEENSO_IJSG_SG_EEES6_PlJS6_EEE10hipError_tPvRmT3_T4_T5_T6_T7_T9_mT8_P12ihipStream_tbDpT10_ENKUlT_T0_E_clISt17integral_constantIbLb0EES1B_EEDaS16_S17_EUlS16_E_NS1_11comp_targetILNS1_3genE4ELNS1_11target_archE910ELNS1_3gpuE8ELNS1_3repE0EEENS1_30default_config_static_selectorELNS0_4arch9wavefront6targetE0EEEvT1_.has_indirect_call, 0
	.section	.AMDGPU.csdata,"",@progbits
; Kernel info:
; codeLenInByte = 0
; TotalNumSgprs: 0
; NumVgprs: 0
; ScratchSize: 0
; MemoryBound: 0
; FloatMode: 240
; IeeeMode: 1
; LDSByteSize: 0 bytes/workgroup (compile time only)
; SGPRBlocks: 0
; VGPRBlocks: 0
; NumSGPRsForWavesPerEU: 1
; NumVGPRsForWavesPerEU: 1
; Occupancy: 16
; WaveLimiterHint : 0
; COMPUTE_PGM_RSRC2:SCRATCH_EN: 0
; COMPUTE_PGM_RSRC2:USER_SGPR: 2
; COMPUTE_PGM_RSRC2:TRAP_HANDLER: 0
; COMPUTE_PGM_RSRC2:TGID_X_EN: 1
; COMPUTE_PGM_RSRC2:TGID_Y_EN: 0
; COMPUTE_PGM_RSRC2:TGID_Z_EN: 0
; COMPUTE_PGM_RSRC2:TIDIG_COMP_CNT: 0
	.section	.text._ZN7rocprim17ROCPRIM_400000_NS6detail17trampoline_kernelINS0_14default_configENS1_25partition_config_selectorILNS1_17partition_subalgoE5EsNS0_10empty_typeEbEEZZNS1_14partition_implILS5_5ELb0ES3_mN6thrust23THRUST_200600_302600_NS6detail15normal_iteratorINSA_10device_ptrIsEEEEPS6_NSA_18transform_iteratorINSB_9not_fun_tI7is_trueIsEEESF_NSA_11use_defaultESM_EENS0_5tupleIJSF_S6_EEENSO_IJSG_SG_EEES6_PlJS6_EEE10hipError_tPvRmT3_T4_T5_T6_T7_T9_mT8_P12ihipStream_tbDpT10_ENKUlT_T0_E_clISt17integral_constantIbLb0EES1B_EEDaS16_S17_EUlS16_E_NS1_11comp_targetILNS1_3genE3ELNS1_11target_archE908ELNS1_3gpuE7ELNS1_3repE0EEENS1_30default_config_static_selectorELNS0_4arch9wavefront6targetE0EEEvT1_,"axG",@progbits,_ZN7rocprim17ROCPRIM_400000_NS6detail17trampoline_kernelINS0_14default_configENS1_25partition_config_selectorILNS1_17partition_subalgoE5EsNS0_10empty_typeEbEEZZNS1_14partition_implILS5_5ELb0ES3_mN6thrust23THRUST_200600_302600_NS6detail15normal_iteratorINSA_10device_ptrIsEEEEPS6_NSA_18transform_iteratorINSB_9not_fun_tI7is_trueIsEEESF_NSA_11use_defaultESM_EENS0_5tupleIJSF_S6_EEENSO_IJSG_SG_EEES6_PlJS6_EEE10hipError_tPvRmT3_T4_T5_T6_T7_T9_mT8_P12ihipStream_tbDpT10_ENKUlT_T0_E_clISt17integral_constantIbLb0EES1B_EEDaS16_S17_EUlS16_E_NS1_11comp_targetILNS1_3genE3ELNS1_11target_archE908ELNS1_3gpuE7ELNS1_3repE0EEENS1_30default_config_static_selectorELNS0_4arch9wavefront6targetE0EEEvT1_,comdat
	.protected	_ZN7rocprim17ROCPRIM_400000_NS6detail17trampoline_kernelINS0_14default_configENS1_25partition_config_selectorILNS1_17partition_subalgoE5EsNS0_10empty_typeEbEEZZNS1_14partition_implILS5_5ELb0ES3_mN6thrust23THRUST_200600_302600_NS6detail15normal_iteratorINSA_10device_ptrIsEEEEPS6_NSA_18transform_iteratorINSB_9not_fun_tI7is_trueIsEEESF_NSA_11use_defaultESM_EENS0_5tupleIJSF_S6_EEENSO_IJSG_SG_EEES6_PlJS6_EEE10hipError_tPvRmT3_T4_T5_T6_T7_T9_mT8_P12ihipStream_tbDpT10_ENKUlT_T0_E_clISt17integral_constantIbLb0EES1B_EEDaS16_S17_EUlS16_E_NS1_11comp_targetILNS1_3genE3ELNS1_11target_archE908ELNS1_3gpuE7ELNS1_3repE0EEENS1_30default_config_static_selectorELNS0_4arch9wavefront6targetE0EEEvT1_ ; -- Begin function _ZN7rocprim17ROCPRIM_400000_NS6detail17trampoline_kernelINS0_14default_configENS1_25partition_config_selectorILNS1_17partition_subalgoE5EsNS0_10empty_typeEbEEZZNS1_14partition_implILS5_5ELb0ES3_mN6thrust23THRUST_200600_302600_NS6detail15normal_iteratorINSA_10device_ptrIsEEEEPS6_NSA_18transform_iteratorINSB_9not_fun_tI7is_trueIsEEESF_NSA_11use_defaultESM_EENS0_5tupleIJSF_S6_EEENSO_IJSG_SG_EEES6_PlJS6_EEE10hipError_tPvRmT3_T4_T5_T6_T7_T9_mT8_P12ihipStream_tbDpT10_ENKUlT_T0_E_clISt17integral_constantIbLb0EES1B_EEDaS16_S17_EUlS16_E_NS1_11comp_targetILNS1_3genE3ELNS1_11target_archE908ELNS1_3gpuE7ELNS1_3repE0EEENS1_30default_config_static_selectorELNS0_4arch9wavefront6targetE0EEEvT1_
	.globl	_ZN7rocprim17ROCPRIM_400000_NS6detail17trampoline_kernelINS0_14default_configENS1_25partition_config_selectorILNS1_17partition_subalgoE5EsNS0_10empty_typeEbEEZZNS1_14partition_implILS5_5ELb0ES3_mN6thrust23THRUST_200600_302600_NS6detail15normal_iteratorINSA_10device_ptrIsEEEEPS6_NSA_18transform_iteratorINSB_9not_fun_tI7is_trueIsEEESF_NSA_11use_defaultESM_EENS0_5tupleIJSF_S6_EEENSO_IJSG_SG_EEES6_PlJS6_EEE10hipError_tPvRmT3_T4_T5_T6_T7_T9_mT8_P12ihipStream_tbDpT10_ENKUlT_T0_E_clISt17integral_constantIbLb0EES1B_EEDaS16_S17_EUlS16_E_NS1_11comp_targetILNS1_3genE3ELNS1_11target_archE908ELNS1_3gpuE7ELNS1_3repE0EEENS1_30default_config_static_selectorELNS0_4arch9wavefront6targetE0EEEvT1_
	.p2align	8
	.type	_ZN7rocprim17ROCPRIM_400000_NS6detail17trampoline_kernelINS0_14default_configENS1_25partition_config_selectorILNS1_17partition_subalgoE5EsNS0_10empty_typeEbEEZZNS1_14partition_implILS5_5ELb0ES3_mN6thrust23THRUST_200600_302600_NS6detail15normal_iteratorINSA_10device_ptrIsEEEEPS6_NSA_18transform_iteratorINSB_9not_fun_tI7is_trueIsEEESF_NSA_11use_defaultESM_EENS0_5tupleIJSF_S6_EEENSO_IJSG_SG_EEES6_PlJS6_EEE10hipError_tPvRmT3_T4_T5_T6_T7_T9_mT8_P12ihipStream_tbDpT10_ENKUlT_T0_E_clISt17integral_constantIbLb0EES1B_EEDaS16_S17_EUlS16_E_NS1_11comp_targetILNS1_3genE3ELNS1_11target_archE908ELNS1_3gpuE7ELNS1_3repE0EEENS1_30default_config_static_selectorELNS0_4arch9wavefront6targetE0EEEvT1_,@function
_ZN7rocprim17ROCPRIM_400000_NS6detail17trampoline_kernelINS0_14default_configENS1_25partition_config_selectorILNS1_17partition_subalgoE5EsNS0_10empty_typeEbEEZZNS1_14partition_implILS5_5ELb0ES3_mN6thrust23THRUST_200600_302600_NS6detail15normal_iteratorINSA_10device_ptrIsEEEEPS6_NSA_18transform_iteratorINSB_9not_fun_tI7is_trueIsEEESF_NSA_11use_defaultESM_EENS0_5tupleIJSF_S6_EEENSO_IJSG_SG_EEES6_PlJS6_EEE10hipError_tPvRmT3_T4_T5_T6_T7_T9_mT8_P12ihipStream_tbDpT10_ENKUlT_T0_E_clISt17integral_constantIbLb0EES1B_EEDaS16_S17_EUlS16_E_NS1_11comp_targetILNS1_3genE3ELNS1_11target_archE908ELNS1_3gpuE7ELNS1_3repE0EEENS1_30default_config_static_selectorELNS0_4arch9wavefront6targetE0EEEvT1_: ; @_ZN7rocprim17ROCPRIM_400000_NS6detail17trampoline_kernelINS0_14default_configENS1_25partition_config_selectorILNS1_17partition_subalgoE5EsNS0_10empty_typeEbEEZZNS1_14partition_implILS5_5ELb0ES3_mN6thrust23THRUST_200600_302600_NS6detail15normal_iteratorINSA_10device_ptrIsEEEEPS6_NSA_18transform_iteratorINSB_9not_fun_tI7is_trueIsEEESF_NSA_11use_defaultESM_EENS0_5tupleIJSF_S6_EEENSO_IJSG_SG_EEES6_PlJS6_EEE10hipError_tPvRmT3_T4_T5_T6_T7_T9_mT8_P12ihipStream_tbDpT10_ENKUlT_T0_E_clISt17integral_constantIbLb0EES1B_EEDaS16_S17_EUlS16_E_NS1_11comp_targetILNS1_3genE3ELNS1_11target_archE908ELNS1_3gpuE7ELNS1_3repE0EEENS1_30default_config_static_selectorELNS0_4arch9wavefront6targetE0EEEvT1_
; %bb.0:
	.section	.rodata,"a",@progbits
	.p2align	6, 0x0
	.amdhsa_kernel _ZN7rocprim17ROCPRIM_400000_NS6detail17trampoline_kernelINS0_14default_configENS1_25partition_config_selectorILNS1_17partition_subalgoE5EsNS0_10empty_typeEbEEZZNS1_14partition_implILS5_5ELb0ES3_mN6thrust23THRUST_200600_302600_NS6detail15normal_iteratorINSA_10device_ptrIsEEEEPS6_NSA_18transform_iteratorINSB_9not_fun_tI7is_trueIsEEESF_NSA_11use_defaultESM_EENS0_5tupleIJSF_S6_EEENSO_IJSG_SG_EEES6_PlJS6_EEE10hipError_tPvRmT3_T4_T5_T6_T7_T9_mT8_P12ihipStream_tbDpT10_ENKUlT_T0_E_clISt17integral_constantIbLb0EES1B_EEDaS16_S17_EUlS16_E_NS1_11comp_targetILNS1_3genE3ELNS1_11target_archE908ELNS1_3gpuE7ELNS1_3repE0EEENS1_30default_config_static_selectorELNS0_4arch9wavefront6targetE0EEEvT1_
		.amdhsa_group_segment_fixed_size 0
		.amdhsa_private_segment_fixed_size 0
		.amdhsa_kernarg_size 120
		.amdhsa_user_sgpr_count 2
		.amdhsa_user_sgpr_dispatch_ptr 0
		.amdhsa_user_sgpr_queue_ptr 0
		.amdhsa_user_sgpr_kernarg_segment_ptr 1
		.amdhsa_user_sgpr_dispatch_id 0
		.amdhsa_user_sgpr_private_segment_size 0
		.amdhsa_wavefront_size32 1
		.amdhsa_uses_dynamic_stack 0
		.amdhsa_enable_private_segment 0
		.amdhsa_system_sgpr_workgroup_id_x 1
		.amdhsa_system_sgpr_workgroup_id_y 0
		.amdhsa_system_sgpr_workgroup_id_z 0
		.amdhsa_system_sgpr_workgroup_info 0
		.amdhsa_system_vgpr_workitem_id 0
		.amdhsa_next_free_vgpr 1
		.amdhsa_next_free_sgpr 1
		.amdhsa_reserve_vcc 0
		.amdhsa_float_round_mode_32 0
		.amdhsa_float_round_mode_16_64 0
		.amdhsa_float_denorm_mode_32 3
		.amdhsa_float_denorm_mode_16_64 3
		.amdhsa_fp16_overflow 0
		.amdhsa_workgroup_processor_mode 1
		.amdhsa_memory_ordered 1
		.amdhsa_forward_progress 1
		.amdhsa_inst_pref_size 0
		.amdhsa_round_robin_scheduling 0
		.amdhsa_exception_fp_ieee_invalid_op 0
		.amdhsa_exception_fp_denorm_src 0
		.amdhsa_exception_fp_ieee_div_zero 0
		.amdhsa_exception_fp_ieee_overflow 0
		.amdhsa_exception_fp_ieee_underflow 0
		.amdhsa_exception_fp_ieee_inexact 0
		.amdhsa_exception_int_div_zero 0
	.end_amdhsa_kernel
	.section	.text._ZN7rocprim17ROCPRIM_400000_NS6detail17trampoline_kernelINS0_14default_configENS1_25partition_config_selectorILNS1_17partition_subalgoE5EsNS0_10empty_typeEbEEZZNS1_14partition_implILS5_5ELb0ES3_mN6thrust23THRUST_200600_302600_NS6detail15normal_iteratorINSA_10device_ptrIsEEEEPS6_NSA_18transform_iteratorINSB_9not_fun_tI7is_trueIsEEESF_NSA_11use_defaultESM_EENS0_5tupleIJSF_S6_EEENSO_IJSG_SG_EEES6_PlJS6_EEE10hipError_tPvRmT3_T4_T5_T6_T7_T9_mT8_P12ihipStream_tbDpT10_ENKUlT_T0_E_clISt17integral_constantIbLb0EES1B_EEDaS16_S17_EUlS16_E_NS1_11comp_targetILNS1_3genE3ELNS1_11target_archE908ELNS1_3gpuE7ELNS1_3repE0EEENS1_30default_config_static_selectorELNS0_4arch9wavefront6targetE0EEEvT1_,"axG",@progbits,_ZN7rocprim17ROCPRIM_400000_NS6detail17trampoline_kernelINS0_14default_configENS1_25partition_config_selectorILNS1_17partition_subalgoE5EsNS0_10empty_typeEbEEZZNS1_14partition_implILS5_5ELb0ES3_mN6thrust23THRUST_200600_302600_NS6detail15normal_iteratorINSA_10device_ptrIsEEEEPS6_NSA_18transform_iteratorINSB_9not_fun_tI7is_trueIsEEESF_NSA_11use_defaultESM_EENS0_5tupleIJSF_S6_EEENSO_IJSG_SG_EEES6_PlJS6_EEE10hipError_tPvRmT3_T4_T5_T6_T7_T9_mT8_P12ihipStream_tbDpT10_ENKUlT_T0_E_clISt17integral_constantIbLb0EES1B_EEDaS16_S17_EUlS16_E_NS1_11comp_targetILNS1_3genE3ELNS1_11target_archE908ELNS1_3gpuE7ELNS1_3repE0EEENS1_30default_config_static_selectorELNS0_4arch9wavefront6targetE0EEEvT1_,comdat
.Lfunc_end1536:
	.size	_ZN7rocprim17ROCPRIM_400000_NS6detail17trampoline_kernelINS0_14default_configENS1_25partition_config_selectorILNS1_17partition_subalgoE5EsNS0_10empty_typeEbEEZZNS1_14partition_implILS5_5ELb0ES3_mN6thrust23THRUST_200600_302600_NS6detail15normal_iteratorINSA_10device_ptrIsEEEEPS6_NSA_18transform_iteratorINSB_9not_fun_tI7is_trueIsEEESF_NSA_11use_defaultESM_EENS0_5tupleIJSF_S6_EEENSO_IJSG_SG_EEES6_PlJS6_EEE10hipError_tPvRmT3_T4_T5_T6_T7_T9_mT8_P12ihipStream_tbDpT10_ENKUlT_T0_E_clISt17integral_constantIbLb0EES1B_EEDaS16_S17_EUlS16_E_NS1_11comp_targetILNS1_3genE3ELNS1_11target_archE908ELNS1_3gpuE7ELNS1_3repE0EEENS1_30default_config_static_selectorELNS0_4arch9wavefront6targetE0EEEvT1_, .Lfunc_end1536-_ZN7rocprim17ROCPRIM_400000_NS6detail17trampoline_kernelINS0_14default_configENS1_25partition_config_selectorILNS1_17partition_subalgoE5EsNS0_10empty_typeEbEEZZNS1_14partition_implILS5_5ELb0ES3_mN6thrust23THRUST_200600_302600_NS6detail15normal_iteratorINSA_10device_ptrIsEEEEPS6_NSA_18transform_iteratorINSB_9not_fun_tI7is_trueIsEEESF_NSA_11use_defaultESM_EENS0_5tupleIJSF_S6_EEENSO_IJSG_SG_EEES6_PlJS6_EEE10hipError_tPvRmT3_T4_T5_T6_T7_T9_mT8_P12ihipStream_tbDpT10_ENKUlT_T0_E_clISt17integral_constantIbLb0EES1B_EEDaS16_S17_EUlS16_E_NS1_11comp_targetILNS1_3genE3ELNS1_11target_archE908ELNS1_3gpuE7ELNS1_3repE0EEENS1_30default_config_static_selectorELNS0_4arch9wavefront6targetE0EEEvT1_
                                        ; -- End function
	.set _ZN7rocprim17ROCPRIM_400000_NS6detail17trampoline_kernelINS0_14default_configENS1_25partition_config_selectorILNS1_17partition_subalgoE5EsNS0_10empty_typeEbEEZZNS1_14partition_implILS5_5ELb0ES3_mN6thrust23THRUST_200600_302600_NS6detail15normal_iteratorINSA_10device_ptrIsEEEEPS6_NSA_18transform_iteratorINSB_9not_fun_tI7is_trueIsEEESF_NSA_11use_defaultESM_EENS0_5tupleIJSF_S6_EEENSO_IJSG_SG_EEES6_PlJS6_EEE10hipError_tPvRmT3_T4_T5_T6_T7_T9_mT8_P12ihipStream_tbDpT10_ENKUlT_T0_E_clISt17integral_constantIbLb0EES1B_EEDaS16_S17_EUlS16_E_NS1_11comp_targetILNS1_3genE3ELNS1_11target_archE908ELNS1_3gpuE7ELNS1_3repE0EEENS1_30default_config_static_selectorELNS0_4arch9wavefront6targetE0EEEvT1_.num_vgpr, 0
	.set _ZN7rocprim17ROCPRIM_400000_NS6detail17trampoline_kernelINS0_14default_configENS1_25partition_config_selectorILNS1_17partition_subalgoE5EsNS0_10empty_typeEbEEZZNS1_14partition_implILS5_5ELb0ES3_mN6thrust23THRUST_200600_302600_NS6detail15normal_iteratorINSA_10device_ptrIsEEEEPS6_NSA_18transform_iteratorINSB_9not_fun_tI7is_trueIsEEESF_NSA_11use_defaultESM_EENS0_5tupleIJSF_S6_EEENSO_IJSG_SG_EEES6_PlJS6_EEE10hipError_tPvRmT3_T4_T5_T6_T7_T9_mT8_P12ihipStream_tbDpT10_ENKUlT_T0_E_clISt17integral_constantIbLb0EES1B_EEDaS16_S17_EUlS16_E_NS1_11comp_targetILNS1_3genE3ELNS1_11target_archE908ELNS1_3gpuE7ELNS1_3repE0EEENS1_30default_config_static_selectorELNS0_4arch9wavefront6targetE0EEEvT1_.num_agpr, 0
	.set _ZN7rocprim17ROCPRIM_400000_NS6detail17trampoline_kernelINS0_14default_configENS1_25partition_config_selectorILNS1_17partition_subalgoE5EsNS0_10empty_typeEbEEZZNS1_14partition_implILS5_5ELb0ES3_mN6thrust23THRUST_200600_302600_NS6detail15normal_iteratorINSA_10device_ptrIsEEEEPS6_NSA_18transform_iteratorINSB_9not_fun_tI7is_trueIsEEESF_NSA_11use_defaultESM_EENS0_5tupleIJSF_S6_EEENSO_IJSG_SG_EEES6_PlJS6_EEE10hipError_tPvRmT3_T4_T5_T6_T7_T9_mT8_P12ihipStream_tbDpT10_ENKUlT_T0_E_clISt17integral_constantIbLb0EES1B_EEDaS16_S17_EUlS16_E_NS1_11comp_targetILNS1_3genE3ELNS1_11target_archE908ELNS1_3gpuE7ELNS1_3repE0EEENS1_30default_config_static_selectorELNS0_4arch9wavefront6targetE0EEEvT1_.numbered_sgpr, 0
	.set _ZN7rocprim17ROCPRIM_400000_NS6detail17trampoline_kernelINS0_14default_configENS1_25partition_config_selectorILNS1_17partition_subalgoE5EsNS0_10empty_typeEbEEZZNS1_14partition_implILS5_5ELb0ES3_mN6thrust23THRUST_200600_302600_NS6detail15normal_iteratorINSA_10device_ptrIsEEEEPS6_NSA_18transform_iteratorINSB_9not_fun_tI7is_trueIsEEESF_NSA_11use_defaultESM_EENS0_5tupleIJSF_S6_EEENSO_IJSG_SG_EEES6_PlJS6_EEE10hipError_tPvRmT3_T4_T5_T6_T7_T9_mT8_P12ihipStream_tbDpT10_ENKUlT_T0_E_clISt17integral_constantIbLb0EES1B_EEDaS16_S17_EUlS16_E_NS1_11comp_targetILNS1_3genE3ELNS1_11target_archE908ELNS1_3gpuE7ELNS1_3repE0EEENS1_30default_config_static_selectorELNS0_4arch9wavefront6targetE0EEEvT1_.num_named_barrier, 0
	.set _ZN7rocprim17ROCPRIM_400000_NS6detail17trampoline_kernelINS0_14default_configENS1_25partition_config_selectorILNS1_17partition_subalgoE5EsNS0_10empty_typeEbEEZZNS1_14partition_implILS5_5ELb0ES3_mN6thrust23THRUST_200600_302600_NS6detail15normal_iteratorINSA_10device_ptrIsEEEEPS6_NSA_18transform_iteratorINSB_9not_fun_tI7is_trueIsEEESF_NSA_11use_defaultESM_EENS0_5tupleIJSF_S6_EEENSO_IJSG_SG_EEES6_PlJS6_EEE10hipError_tPvRmT3_T4_T5_T6_T7_T9_mT8_P12ihipStream_tbDpT10_ENKUlT_T0_E_clISt17integral_constantIbLb0EES1B_EEDaS16_S17_EUlS16_E_NS1_11comp_targetILNS1_3genE3ELNS1_11target_archE908ELNS1_3gpuE7ELNS1_3repE0EEENS1_30default_config_static_selectorELNS0_4arch9wavefront6targetE0EEEvT1_.private_seg_size, 0
	.set _ZN7rocprim17ROCPRIM_400000_NS6detail17trampoline_kernelINS0_14default_configENS1_25partition_config_selectorILNS1_17partition_subalgoE5EsNS0_10empty_typeEbEEZZNS1_14partition_implILS5_5ELb0ES3_mN6thrust23THRUST_200600_302600_NS6detail15normal_iteratorINSA_10device_ptrIsEEEEPS6_NSA_18transform_iteratorINSB_9not_fun_tI7is_trueIsEEESF_NSA_11use_defaultESM_EENS0_5tupleIJSF_S6_EEENSO_IJSG_SG_EEES6_PlJS6_EEE10hipError_tPvRmT3_T4_T5_T6_T7_T9_mT8_P12ihipStream_tbDpT10_ENKUlT_T0_E_clISt17integral_constantIbLb0EES1B_EEDaS16_S17_EUlS16_E_NS1_11comp_targetILNS1_3genE3ELNS1_11target_archE908ELNS1_3gpuE7ELNS1_3repE0EEENS1_30default_config_static_selectorELNS0_4arch9wavefront6targetE0EEEvT1_.uses_vcc, 0
	.set _ZN7rocprim17ROCPRIM_400000_NS6detail17trampoline_kernelINS0_14default_configENS1_25partition_config_selectorILNS1_17partition_subalgoE5EsNS0_10empty_typeEbEEZZNS1_14partition_implILS5_5ELb0ES3_mN6thrust23THRUST_200600_302600_NS6detail15normal_iteratorINSA_10device_ptrIsEEEEPS6_NSA_18transform_iteratorINSB_9not_fun_tI7is_trueIsEEESF_NSA_11use_defaultESM_EENS0_5tupleIJSF_S6_EEENSO_IJSG_SG_EEES6_PlJS6_EEE10hipError_tPvRmT3_T4_T5_T6_T7_T9_mT8_P12ihipStream_tbDpT10_ENKUlT_T0_E_clISt17integral_constantIbLb0EES1B_EEDaS16_S17_EUlS16_E_NS1_11comp_targetILNS1_3genE3ELNS1_11target_archE908ELNS1_3gpuE7ELNS1_3repE0EEENS1_30default_config_static_selectorELNS0_4arch9wavefront6targetE0EEEvT1_.uses_flat_scratch, 0
	.set _ZN7rocprim17ROCPRIM_400000_NS6detail17trampoline_kernelINS0_14default_configENS1_25partition_config_selectorILNS1_17partition_subalgoE5EsNS0_10empty_typeEbEEZZNS1_14partition_implILS5_5ELb0ES3_mN6thrust23THRUST_200600_302600_NS6detail15normal_iteratorINSA_10device_ptrIsEEEEPS6_NSA_18transform_iteratorINSB_9not_fun_tI7is_trueIsEEESF_NSA_11use_defaultESM_EENS0_5tupleIJSF_S6_EEENSO_IJSG_SG_EEES6_PlJS6_EEE10hipError_tPvRmT3_T4_T5_T6_T7_T9_mT8_P12ihipStream_tbDpT10_ENKUlT_T0_E_clISt17integral_constantIbLb0EES1B_EEDaS16_S17_EUlS16_E_NS1_11comp_targetILNS1_3genE3ELNS1_11target_archE908ELNS1_3gpuE7ELNS1_3repE0EEENS1_30default_config_static_selectorELNS0_4arch9wavefront6targetE0EEEvT1_.has_dyn_sized_stack, 0
	.set _ZN7rocprim17ROCPRIM_400000_NS6detail17trampoline_kernelINS0_14default_configENS1_25partition_config_selectorILNS1_17partition_subalgoE5EsNS0_10empty_typeEbEEZZNS1_14partition_implILS5_5ELb0ES3_mN6thrust23THRUST_200600_302600_NS6detail15normal_iteratorINSA_10device_ptrIsEEEEPS6_NSA_18transform_iteratorINSB_9not_fun_tI7is_trueIsEEESF_NSA_11use_defaultESM_EENS0_5tupleIJSF_S6_EEENSO_IJSG_SG_EEES6_PlJS6_EEE10hipError_tPvRmT3_T4_T5_T6_T7_T9_mT8_P12ihipStream_tbDpT10_ENKUlT_T0_E_clISt17integral_constantIbLb0EES1B_EEDaS16_S17_EUlS16_E_NS1_11comp_targetILNS1_3genE3ELNS1_11target_archE908ELNS1_3gpuE7ELNS1_3repE0EEENS1_30default_config_static_selectorELNS0_4arch9wavefront6targetE0EEEvT1_.has_recursion, 0
	.set _ZN7rocprim17ROCPRIM_400000_NS6detail17trampoline_kernelINS0_14default_configENS1_25partition_config_selectorILNS1_17partition_subalgoE5EsNS0_10empty_typeEbEEZZNS1_14partition_implILS5_5ELb0ES3_mN6thrust23THRUST_200600_302600_NS6detail15normal_iteratorINSA_10device_ptrIsEEEEPS6_NSA_18transform_iteratorINSB_9not_fun_tI7is_trueIsEEESF_NSA_11use_defaultESM_EENS0_5tupleIJSF_S6_EEENSO_IJSG_SG_EEES6_PlJS6_EEE10hipError_tPvRmT3_T4_T5_T6_T7_T9_mT8_P12ihipStream_tbDpT10_ENKUlT_T0_E_clISt17integral_constantIbLb0EES1B_EEDaS16_S17_EUlS16_E_NS1_11comp_targetILNS1_3genE3ELNS1_11target_archE908ELNS1_3gpuE7ELNS1_3repE0EEENS1_30default_config_static_selectorELNS0_4arch9wavefront6targetE0EEEvT1_.has_indirect_call, 0
	.section	.AMDGPU.csdata,"",@progbits
; Kernel info:
; codeLenInByte = 0
; TotalNumSgprs: 0
; NumVgprs: 0
; ScratchSize: 0
; MemoryBound: 0
; FloatMode: 240
; IeeeMode: 1
; LDSByteSize: 0 bytes/workgroup (compile time only)
; SGPRBlocks: 0
; VGPRBlocks: 0
; NumSGPRsForWavesPerEU: 1
; NumVGPRsForWavesPerEU: 1
; Occupancy: 16
; WaveLimiterHint : 0
; COMPUTE_PGM_RSRC2:SCRATCH_EN: 0
; COMPUTE_PGM_RSRC2:USER_SGPR: 2
; COMPUTE_PGM_RSRC2:TRAP_HANDLER: 0
; COMPUTE_PGM_RSRC2:TGID_X_EN: 1
; COMPUTE_PGM_RSRC2:TGID_Y_EN: 0
; COMPUTE_PGM_RSRC2:TGID_Z_EN: 0
; COMPUTE_PGM_RSRC2:TIDIG_COMP_CNT: 0
	.section	.text._ZN7rocprim17ROCPRIM_400000_NS6detail17trampoline_kernelINS0_14default_configENS1_25partition_config_selectorILNS1_17partition_subalgoE5EsNS0_10empty_typeEbEEZZNS1_14partition_implILS5_5ELb0ES3_mN6thrust23THRUST_200600_302600_NS6detail15normal_iteratorINSA_10device_ptrIsEEEEPS6_NSA_18transform_iteratorINSB_9not_fun_tI7is_trueIsEEESF_NSA_11use_defaultESM_EENS0_5tupleIJSF_S6_EEENSO_IJSG_SG_EEES6_PlJS6_EEE10hipError_tPvRmT3_T4_T5_T6_T7_T9_mT8_P12ihipStream_tbDpT10_ENKUlT_T0_E_clISt17integral_constantIbLb0EES1B_EEDaS16_S17_EUlS16_E_NS1_11comp_targetILNS1_3genE2ELNS1_11target_archE906ELNS1_3gpuE6ELNS1_3repE0EEENS1_30default_config_static_selectorELNS0_4arch9wavefront6targetE0EEEvT1_,"axG",@progbits,_ZN7rocprim17ROCPRIM_400000_NS6detail17trampoline_kernelINS0_14default_configENS1_25partition_config_selectorILNS1_17partition_subalgoE5EsNS0_10empty_typeEbEEZZNS1_14partition_implILS5_5ELb0ES3_mN6thrust23THRUST_200600_302600_NS6detail15normal_iteratorINSA_10device_ptrIsEEEEPS6_NSA_18transform_iteratorINSB_9not_fun_tI7is_trueIsEEESF_NSA_11use_defaultESM_EENS0_5tupleIJSF_S6_EEENSO_IJSG_SG_EEES6_PlJS6_EEE10hipError_tPvRmT3_T4_T5_T6_T7_T9_mT8_P12ihipStream_tbDpT10_ENKUlT_T0_E_clISt17integral_constantIbLb0EES1B_EEDaS16_S17_EUlS16_E_NS1_11comp_targetILNS1_3genE2ELNS1_11target_archE906ELNS1_3gpuE6ELNS1_3repE0EEENS1_30default_config_static_selectorELNS0_4arch9wavefront6targetE0EEEvT1_,comdat
	.protected	_ZN7rocprim17ROCPRIM_400000_NS6detail17trampoline_kernelINS0_14default_configENS1_25partition_config_selectorILNS1_17partition_subalgoE5EsNS0_10empty_typeEbEEZZNS1_14partition_implILS5_5ELb0ES3_mN6thrust23THRUST_200600_302600_NS6detail15normal_iteratorINSA_10device_ptrIsEEEEPS6_NSA_18transform_iteratorINSB_9not_fun_tI7is_trueIsEEESF_NSA_11use_defaultESM_EENS0_5tupleIJSF_S6_EEENSO_IJSG_SG_EEES6_PlJS6_EEE10hipError_tPvRmT3_T4_T5_T6_T7_T9_mT8_P12ihipStream_tbDpT10_ENKUlT_T0_E_clISt17integral_constantIbLb0EES1B_EEDaS16_S17_EUlS16_E_NS1_11comp_targetILNS1_3genE2ELNS1_11target_archE906ELNS1_3gpuE6ELNS1_3repE0EEENS1_30default_config_static_selectorELNS0_4arch9wavefront6targetE0EEEvT1_ ; -- Begin function _ZN7rocprim17ROCPRIM_400000_NS6detail17trampoline_kernelINS0_14default_configENS1_25partition_config_selectorILNS1_17partition_subalgoE5EsNS0_10empty_typeEbEEZZNS1_14partition_implILS5_5ELb0ES3_mN6thrust23THRUST_200600_302600_NS6detail15normal_iteratorINSA_10device_ptrIsEEEEPS6_NSA_18transform_iteratorINSB_9not_fun_tI7is_trueIsEEESF_NSA_11use_defaultESM_EENS0_5tupleIJSF_S6_EEENSO_IJSG_SG_EEES6_PlJS6_EEE10hipError_tPvRmT3_T4_T5_T6_T7_T9_mT8_P12ihipStream_tbDpT10_ENKUlT_T0_E_clISt17integral_constantIbLb0EES1B_EEDaS16_S17_EUlS16_E_NS1_11comp_targetILNS1_3genE2ELNS1_11target_archE906ELNS1_3gpuE6ELNS1_3repE0EEENS1_30default_config_static_selectorELNS0_4arch9wavefront6targetE0EEEvT1_
	.globl	_ZN7rocprim17ROCPRIM_400000_NS6detail17trampoline_kernelINS0_14default_configENS1_25partition_config_selectorILNS1_17partition_subalgoE5EsNS0_10empty_typeEbEEZZNS1_14partition_implILS5_5ELb0ES3_mN6thrust23THRUST_200600_302600_NS6detail15normal_iteratorINSA_10device_ptrIsEEEEPS6_NSA_18transform_iteratorINSB_9not_fun_tI7is_trueIsEEESF_NSA_11use_defaultESM_EENS0_5tupleIJSF_S6_EEENSO_IJSG_SG_EEES6_PlJS6_EEE10hipError_tPvRmT3_T4_T5_T6_T7_T9_mT8_P12ihipStream_tbDpT10_ENKUlT_T0_E_clISt17integral_constantIbLb0EES1B_EEDaS16_S17_EUlS16_E_NS1_11comp_targetILNS1_3genE2ELNS1_11target_archE906ELNS1_3gpuE6ELNS1_3repE0EEENS1_30default_config_static_selectorELNS0_4arch9wavefront6targetE0EEEvT1_
	.p2align	8
	.type	_ZN7rocprim17ROCPRIM_400000_NS6detail17trampoline_kernelINS0_14default_configENS1_25partition_config_selectorILNS1_17partition_subalgoE5EsNS0_10empty_typeEbEEZZNS1_14partition_implILS5_5ELb0ES3_mN6thrust23THRUST_200600_302600_NS6detail15normal_iteratorINSA_10device_ptrIsEEEEPS6_NSA_18transform_iteratorINSB_9not_fun_tI7is_trueIsEEESF_NSA_11use_defaultESM_EENS0_5tupleIJSF_S6_EEENSO_IJSG_SG_EEES6_PlJS6_EEE10hipError_tPvRmT3_T4_T5_T6_T7_T9_mT8_P12ihipStream_tbDpT10_ENKUlT_T0_E_clISt17integral_constantIbLb0EES1B_EEDaS16_S17_EUlS16_E_NS1_11comp_targetILNS1_3genE2ELNS1_11target_archE906ELNS1_3gpuE6ELNS1_3repE0EEENS1_30default_config_static_selectorELNS0_4arch9wavefront6targetE0EEEvT1_,@function
_ZN7rocprim17ROCPRIM_400000_NS6detail17trampoline_kernelINS0_14default_configENS1_25partition_config_selectorILNS1_17partition_subalgoE5EsNS0_10empty_typeEbEEZZNS1_14partition_implILS5_5ELb0ES3_mN6thrust23THRUST_200600_302600_NS6detail15normal_iteratorINSA_10device_ptrIsEEEEPS6_NSA_18transform_iteratorINSB_9not_fun_tI7is_trueIsEEESF_NSA_11use_defaultESM_EENS0_5tupleIJSF_S6_EEENSO_IJSG_SG_EEES6_PlJS6_EEE10hipError_tPvRmT3_T4_T5_T6_T7_T9_mT8_P12ihipStream_tbDpT10_ENKUlT_T0_E_clISt17integral_constantIbLb0EES1B_EEDaS16_S17_EUlS16_E_NS1_11comp_targetILNS1_3genE2ELNS1_11target_archE906ELNS1_3gpuE6ELNS1_3repE0EEENS1_30default_config_static_selectorELNS0_4arch9wavefront6targetE0EEEvT1_: ; @_ZN7rocprim17ROCPRIM_400000_NS6detail17trampoline_kernelINS0_14default_configENS1_25partition_config_selectorILNS1_17partition_subalgoE5EsNS0_10empty_typeEbEEZZNS1_14partition_implILS5_5ELb0ES3_mN6thrust23THRUST_200600_302600_NS6detail15normal_iteratorINSA_10device_ptrIsEEEEPS6_NSA_18transform_iteratorINSB_9not_fun_tI7is_trueIsEEESF_NSA_11use_defaultESM_EENS0_5tupleIJSF_S6_EEENSO_IJSG_SG_EEES6_PlJS6_EEE10hipError_tPvRmT3_T4_T5_T6_T7_T9_mT8_P12ihipStream_tbDpT10_ENKUlT_T0_E_clISt17integral_constantIbLb0EES1B_EEDaS16_S17_EUlS16_E_NS1_11comp_targetILNS1_3genE2ELNS1_11target_archE906ELNS1_3gpuE6ELNS1_3repE0EEENS1_30default_config_static_selectorELNS0_4arch9wavefront6targetE0EEEvT1_
; %bb.0:
	.section	.rodata,"a",@progbits
	.p2align	6, 0x0
	.amdhsa_kernel _ZN7rocprim17ROCPRIM_400000_NS6detail17trampoline_kernelINS0_14default_configENS1_25partition_config_selectorILNS1_17partition_subalgoE5EsNS0_10empty_typeEbEEZZNS1_14partition_implILS5_5ELb0ES3_mN6thrust23THRUST_200600_302600_NS6detail15normal_iteratorINSA_10device_ptrIsEEEEPS6_NSA_18transform_iteratorINSB_9not_fun_tI7is_trueIsEEESF_NSA_11use_defaultESM_EENS0_5tupleIJSF_S6_EEENSO_IJSG_SG_EEES6_PlJS6_EEE10hipError_tPvRmT3_T4_T5_T6_T7_T9_mT8_P12ihipStream_tbDpT10_ENKUlT_T0_E_clISt17integral_constantIbLb0EES1B_EEDaS16_S17_EUlS16_E_NS1_11comp_targetILNS1_3genE2ELNS1_11target_archE906ELNS1_3gpuE6ELNS1_3repE0EEENS1_30default_config_static_selectorELNS0_4arch9wavefront6targetE0EEEvT1_
		.amdhsa_group_segment_fixed_size 0
		.amdhsa_private_segment_fixed_size 0
		.amdhsa_kernarg_size 120
		.amdhsa_user_sgpr_count 2
		.amdhsa_user_sgpr_dispatch_ptr 0
		.amdhsa_user_sgpr_queue_ptr 0
		.amdhsa_user_sgpr_kernarg_segment_ptr 1
		.amdhsa_user_sgpr_dispatch_id 0
		.amdhsa_user_sgpr_private_segment_size 0
		.amdhsa_wavefront_size32 1
		.amdhsa_uses_dynamic_stack 0
		.amdhsa_enable_private_segment 0
		.amdhsa_system_sgpr_workgroup_id_x 1
		.amdhsa_system_sgpr_workgroup_id_y 0
		.amdhsa_system_sgpr_workgroup_id_z 0
		.amdhsa_system_sgpr_workgroup_info 0
		.amdhsa_system_vgpr_workitem_id 0
		.amdhsa_next_free_vgpr 1
		.amdhsa_next_free_sgpr 1
		.amdhsa_reserve_vcc 0
		.amdhsa_float_round_mode_32 0
		.amdhsa_float_round_mode_16_64 0
		.amdhsa_float_denorm_mode_32 3
		.amdhsa_float_denorm_mode_16_64 3
		.amdhsa_fp16_overflow 0
		.amdhsa_workgroup_processor_mode 1
		.amdhsa_memory_ordered 1
		.amdhsa_forward_progress 1
		.amdhsa_inst_pref_size 0
		.amdhsa_round_robin_scheduling 0
		.amdhsa_exception_fp_ieee_invalid_op 0
		.amdhsa_exception_fp_denorm_src 0
		.amdhsa_exception_fp_ieee_div_zero 0
		.amdhsa_exception_fp_ieee_overflow 0
		.amdhsa_exception_fp_ieee_underflow 0
		.amdhsa_exception_fp_ieee_inexact 0
		.amdhsa_exception_int_div_zero 0
	.end_amdhsa_kernel
	.section	.text._ZN7rocprim17ROCPRIM_400000_NS6detail17trampoline_kernelINS0_14default_configENS1_25partition_config_selectorILNS1_17partition_subalgoE5EsNS0_10empty_typeEbEEZZNS1_14partition_implILS5_5ELb0ES3_mN6thrust23THRUST_200600_302600_NS6detail15normal_iteratorINSA_10device_ptrIsEEEEPS6_NSA_18transform_iteratorINSB_9not_fun_tI7is_trueIsEEESF_NSA_11use_defaultESM_EENS0_5tupleIJSF_S6_EEENSO_IJSG_SG_EEES6_PlJS6_EEE10hipError_tPvRmT3_T4_T5_T6_T7_T9_mT8_P12ihipStream_tbDpT10_ENKUlT_T0_E_clISt17integral_constantIbLb0EES1B_EEDaS16_S17_EUlS16_E_NS1_11comp_targetILNS1_3genE2ELNS1_11target_archE906ELNS1_3gpuE6ELNS1_3repE0EEENS1_30default_config_static_selectorELNS0_4arch9wavefront6targetE0EEEvT1_,"axG",@progbits,_ZN7rocprim17ROCPRIM_400000_NS6detail17trampoline_kernelINS0_14default_configENS1_25partition_config_selectorILNS1_17partition_subalgoE5EsNS0_10empty_typeEbEEZZNS1_14partition_implILS5_5ELb0ES3_mN6thrust23THRUST_200600_302600_NS6detail15normal_iteratorINSA_10device_ptrIsEEEEPS6_NSA_18transform_iteratorINSB_9not_fun_tI7is_trueIsEEESF_NSA_11use_defaultESM_EENS0_5tupleIJSF_S6_EEENSO_IJSG_SG_EEES6_PlJS6_EEE10hipError_tPvRmT3_T4_T5_T6_T7_T9_mT8_P12ihipStream_tbDpT10_ENKUlT_T0_E_clISt17integral_constantIbLb0EES1B_EEDaS16_S17_EUlS16_E_NS1_11comp_targetILNS1_3genE2ELNS1_11target_archE906ELNS1_3gpuE6ELNS1_3repE0EEENS1_30default_config_static_selectorELNS0_4arch9wavefront6targetE0EEEvT1_,comdat
.Lfunc_end1537:
	.size	_ZN7rocprim17ROCPRIM_400000_NS6detail17trampoline_kernelINS0_14default_configENS1_25partition_config_selectorILNS1_17partition_subalgoE5EsNS0_10empty_typeEbEEZZNS1_14partition_implILS5_5ELb0ES3_mN6thrust23THRUST_200600_302600_NS6detail15normal_iteratorINSA_10device_ptrIsEEEEPS6_NSA_18transform_iteratorINSB_9not_fun_tI7is_trueIsEEESF_NSA_11use_defaultESM_EENS0_5tupleIJSF_S6_EEENSO_IJSG_SG_EEES6_PlJS6_EEE10hipError_tPvRmT3_T4_T5_T6_T7_T9_mT8_P12ihipStream_tbDpT10_ENKUlT_T0_E_clISt17integral_constantIbLb0EES1B_EEDaS16_S17_EUlS16_E_NS1_11comp_targetILNS1_3genE2ELNS1_11target_archE906ELNS1_3gpuE6ELNS1_3repE0EEENS1_30default_config_static_selectorELNS0_4arch9wavefront6targetE0EEEvT1_, .Lfunc_end1537-_ZN7rocprim17ROCPRIM_400000_NS6detail17trampoline_kernelINS0_14default_configENS1_25partition_config_selectorILNS1_17partition_subalgoE5EsNS0_10empty_typeEbEEZZNS1_14partition_implILS5_5ELb0ES3_mN6thrust23THRUST_200600_302600_NS6detail15normal_iteratorINSA_10device_ptrIsEEEEPS6_NSA_18transform_iteratorINSB_9not_fun_tI7is_trueIsEEESF_NSA_11use_defaultESM_EENS0_5tupleIJSF_S6_EEENSO_IJSG_SG_EEES6_PlJS6_EEE10hipError_tPvRmT3_T4_T5_T6_T7_T9_mT8_P12ihipStream_tbDpT10_ENKUlT_T0_E_clISt17integral_constantIbLb0EES1B_EEDaS16_S17_EUlS16_E_NS1_11comp_targetILNS1_3genE2ELNS1_11target_archE906ELNS1_3gpuE6ELNS1_3repE0EEENS1_30default_config_static_selectorELNS0_4arch9wavefront6targetE0EEEvT1_
                                        ; -- End function
	.set _ZN7rocprim17ROCPRIM_400000_NS6detail17trampoline_kernelINS0_14default_configENS1_25partition_config_selectorILNS1_17partition_subalgoE5EsNS0_10empty_typeEbEEZZNS1_14partition_implILS5_5ELb0ES3_mN6thrust23THRUST_200600_302600_NS6detail15normal_iteratorINSA_10device_ptrIsEEEEPS6_NSA_18transform_iteratorINSB_9not_fun_tI7is_trueIsEEESF_NSA_11use_defaultESM_EENS0_5tupleIJSF_S6_EEENSO_IJSG_SG_EEES6_PlJS6_EEE10hipError_tPvRmT3_T4_T5_T6_T7_T9_mT8_P12ihipStream_tbDpT10_ENKUlT_T0_E_clISt17integral_constantIbLb0EES1B_EEDaS16_S17_EUlS16_E_NS1_11comp_targetILNS1_3genE2ELNS1_11target_archE906ELNS1_3gpuE6ELNS1_3repE0EEENS1_30default_config_static_selectorELNS0_4arch9wavefront6targetE0EEEvT1_.num_vgpr, 0
	.set _ZN7rocprim17ROCPRIM_400000_NS6detail17trampoline_kernelINS0_14default_configENS1_25partition_config_selectorILNS1_17partition_subalgoE5EsNS0_10empty_typeEbEEZZNS1_14partition_implILS5_5ELb0ES3_mN6thrust23THRUST_200600_302600_NS6detail15normal_iteratorINSA_10device_ptrIsEEEEPS6_NSA_18transform_iteratorINSB_9not_fun_tI7is_trueIsEEESF_NSA_11use_defaultESM_EENS0_5tupleIJSF_S6_EEENSO_IJSG_SG_EEES6_PlJS6_EEE10hipError_tPvRmT3_T4_T5_T6_T7_T9_mT8_P12ihipStream_tbDpT10_ENKUlT_T0_E_clISt17integral_constantIbLb0EES1B_EEDaS16_S17_EUlS16_E_NS1_11comp_targetILNS1_3genE2ELNS1_11target_archE906ELNS1_3gpuE6ELNS1_3repE0EEENS1_30default_config_static_selectorELNS0_4arch9wavefront6targetE0EEEvT1_.num_agpr, 0
	.set _ZN7rocprim17ROCPRIM_400000_NS6detail17trampoline_kernelINS0_14default_configENS1_25partition_config_selectorILNS1_17partition_subalgoE5EsNS0_10empty_typeEbEEZZNS1_14partition_implILS5_5ELb0ES3_mN6thrust23THRUST_200600_302600_NS6detail15normal_iteratorINSA_10device_ptrIsEEEEPS6_NSA_18transform_iteratorINSB_9not_fun_tI7is_trueIsEEESF_NSA_11use_defaultESM_EENS0_5tupleIJSF_S6_EEENSO_IJSG_SG_EEES6_PlJS6_EEE10hipError_tPvRmT3_T4_T5_T6_T7_T9_mT8_P12ihipStream_tbDpT10_ENKUlT_T0_E_clISt17integral_constantIbLb0EES1B_EEDaS16_S17_EUlS16_E_NS1_11comp_targetILNS1_3genE2ELNS1_11target_archE906ELNS1_3gpuE6ELNS1_3repE0EEENS1_30default_config_static_selectorELNS0_4arch9wavefront6targetE0EEEvT1_.numbered_sgpr, 0
	.set _ZN7rocprim17ROCPRIM_400000_NS6detail17trampoline_kernelINS0_14default_configENS1_25partition_config_selectorILNS1_17partition_subalgoE5EsNS0_10empty_typeEbEEZZNS1_14partition_implILS5_5ELb0ES3_mN6thrust23THRUST_200600_302600_NS6detail15normal_iteratorINSA_10device_ptrIsEEEEPS6_NSA_18transform_iteratorINSB_9not_fun_tI7is_trueIsEEESF_NSA_11use_defaultESM_EENS0_5tupleIJSF_S6_EEENSO_IJSG_SG_EEES6_PlJS6_EEE10hipError_tPvRmT3_T4_T5_T6_T7_T9_mT8_P12ihipStream_tbDpT10_ENKUlT_T0_E_clISt17integral_constantIbLb0EES1B_EEDaS16_S17_EUlS16_E_NS1_11comp_targetILNS1_3genE2ELNS1_11target_archE906ELNS1_3gpuE6ELNS1_3repE0EEENS1_30default_config_static_selectorELNS0_4arch9wavefront6targetE0EEEvT1_.num_named_barrier, 0
	.set _ZN7rocprim17ROCPRIM_400000_NS6detail17trampoline_kernelINS0_14default_configENS1_25partition_config_selectorILNS1_17partition_subalgoE5EsNS0_10empty_typeEbEEZZNS1_14partition_implILS5_5ELb0ES3_mN6thrust23THRUST_200600_302600_NS6detail15normal_iteratorINSA_10device_ptrIsEEEEPS6_NSA_18transform_iteratorINSB_9not_fun_tI7is_trueIsEEESF_NSA_11use_defaultESM_EENS0_5tupleIJSF_S6_EEENSO_IJSG_SG_EEES6_PlJS6_EEE10hipError_tPvRmT3_T4_T5_T6_T7_T9_mT8_P12ihipStream_tbDpT10_ENKUlT_T0_E_clISt17integral_constantIbLb0EES1B_EEDaS16_S17_EUlS16_E_NS1_11comp_targetILNS1_3genE2ELNS1_11target_archE906ELNS1_3gpuE6ELNS1_3repE0EEENS1_30default_config_static_selectorELNS0_4arch9wavefront6targetE0EEEvT1_.private_seg_size, 0
	.set _ZN7rocprim17ROCPRIM_400000_NS6detail17trampoline_kernelINS0_14default_configENS1_25partition_config_selectorILNS1_17partition_subalgoE5EsNS0_10empty_typeEbEEZZNS1_14partition_implILS5_5ELb0ES3_mN6thrust23THRUST_200600_302600_NS6detail15normal_iteratorINSA_10device_ptrIsEEEEPS6_NSA_18transform_iteratorINSB_9not_fun_tI7is_trueIsEEESF_NSA_11use_defaultESM_EENS0_5tupleIJSF_S6_EEENSO_IJSG_SG_EEES6_PlJS6_EEE10hipError_tPvRmT3_T4_T5_T6_T7_T9_mT8_P12ihipStream_tbDpT10_ENKUlT_T0_E_clISt17integral_constantIbLb0EES1B_EEDaS16_S17_EUlS16_E_NS1_11comp_targetILNS1_3genE2ELNS1_11target_archE906ELNS1_3gpuE6ELNS1_3repE0EEENS1_30default_config_static_selectorELNS0_4arch9wavefront6targetE0EEEvT1_.uses_vcc, 0
	.set _ZN7rocprim17ROCPRIM_400000_NS6detail17trampoline_kernelINS0_14default_configENS1_25partition_config_selectorILNS1_17partition_subalgoE5EsNS0_10empty_typeEbEEZZNS1_14partition_implILS5_5ELb0ES3_mN6thrust23THRUST_200600_302600_NS6detail15normal_iteratorINSA_10device_ptrIsEEEEPS6_NSA_18transform_iteratorINSB_9not_fun_tI7is_trueIsEEESF_NSA_11use_defaultESM_EENS0_5tupleIJSF_S6_EEENSO_IJSG_SG_EEES6_PlJS6_EEE10hipError_tPvRmT3_T4_T5_T6_T7_T9_mT8_P12ihipStream_tbDpT10_ENKUlT_T0_E_clISt17integral_constantIbLb0EES1B_EEDaS16_S17_EUlS16_E_NS1_11comp_targetILNS1_3genE2ELNS1_11target_archE906ELNS1_3gpuE6ELNS1_3repE0EEENS1_30default_config_static_selectorELNS0_4arch9wavefront6targetE0EEEvT1_.uses_flat_scratch, 0
	.set _ZN7rocprim17ROCPRIM_400000_NS6detail17trampoline_kernelINS0_14default_configENS1_25partition_config_selectorILNS1_17partition_subalgoE5EsNS0_10empty_typeEbEEZZNS1_14partition_implILS5_5ELb0ES3_mN6thrust23THRUST_200600_302600_NS6detail15normal_iteratorINSA_10device_ptrIsEEEEPS6_NSA_18transform_iteratorINSB_9not_fun_tI7is_trueIsEEESF_NSA_11use_defaultESM_EENS0_5tupleIJSF_S6_EEENSO_IJSG_SG_EEES6_PlJS6_EEE10hipError_tPvRmT3_T4_T5_T6_T7_T9_mT8_P12ihipStream_tbDpT10_ENKUlT_T0_E_clISt17integral_constantIbLb0EES1B_EEDaS16_S17_EUlS16_E_NS1_11comp_targetILNS1_3genE2ELNS1_11target_archE906ELNS1_3gpuE6ELNS1_3repE0EEENS1_30default_config_static_selectorELNS0_4arch9wavefront6targetE0EEEvT1_.has_dyn_sized_stack, 0
	.set _ZN7rocprim17ROCPRIM_400000_NS6detail17trampoline_kernelINS0_14default_configENS1_25partition_config_selectorILNS1_17partition_subalgoE5EsNS0_10empty_typeEbEEZZNS1_14partition_implILS5_5ELb0ES3_mN6thrust23THRUST_200600_302600_NS6detail15normal_iteratorINSA_10device_ptrIsEEEEPS6_NSA_18transform_iteratorINSB_9not_fun_tI7is_trueIsEEESF_NSA_11use_defaultESM_EENS0_5tupleIJSF_S6_EEENSO_IJSG_SG_EEES6_PlJS6_EEE10hipError_tPvRmT3_T4_T5_T6_T7_T9_mT8_P12ihipStream_tbDpT10_ENKUlT_T0_E_clISt17integral_constantIbLb0EES1B_EEDaS16_S17_EUlS16_E_NS1_11comp_targetILNS1_3genE2ELNS1_11target_archE906ELNS1_3gpuE6ELNS1_3repE0EEENS1_30default_config_static_selectorELNS0_4arch9wavefront6targetE0EEEvT1_.has_recursion, 0
	.set _ZN7rocprim17ROCPRIM_400000_NS6detail17trampoline_kernelINS0_14default_configENS1_25partition_config_selectorILNS1_17partition_subalgoE5EsNS0_10empty_typeEbEEZZNS1_14partition_implILS5_5ELb0ES3_mN6thrust23THRUST_200600_302600_NS6detail15normal_iteratorINSA_10device_ptrIsEEEEPS6_NSA_18transform_iteratorINSB_9not_fun_tI7is_trueIsEEESF_NSA_11use_defaultESM_EENS0_5tupleIJSF_S6_EEENSO_IJSG_SG_EEES6_PlJS6_EEE10hipError_tPvRmT3_T4_T5_T6_T7_T9_mT8_P12ihipStream_tbDpT10_ENKUlT_T0_E_clISt17integral_constantIbLb0EES1B_EEDaS16_S17_EUlS16_E_NS1_11comp_targetILNS1_3genE2ELNS1_11target_archE906ELNS1_3gpuE6ELNS1_3repE0EEENS1_30default_config_static_selectorELNS0_4arch9wavefront6targetE0EEEvT1_.has_indirect_call, 0
	.section	.AMDGPU.csdata,"",@progbits
; Kernel info:
; codeLenInByte = 0
; TotalNumSgprs: 0
; NumVgprs: 0
; ScratchSize: 0
; MemoryBound: 0
; FloatMode: 240
; IeeeMode: 1
; LDSByteSize: 0 bytes/workgroup (compile time only)
; SGPRBlocks: 0
; VGPRBlocks: 0
; NumSGPRsForWavesPerEU: 1
; NumVGPRsForWavesPerEU: 1
; Occupancy: 16
; WaveLimiterHint : 0
; COMPUTE_PGM_RSRC2:SCRATCH_EN: 0
; COMPUTE_PGM_RSRC2:USER_SGPR: 2
; COMPUTE_PGM_RSRC2:TRAP_HANDLER: 0
; COMPUTE_PGM_RSRC2:TGID_X_EN: 1
; COMPUTE_PGM_RSRC2:TGID_Y_EN: 0
; COMPUTE_PGM_RSRC2:TGID_Z_EN: 0
; COMPUTE_PGM_RSRC2:TIDIG_COMP_CNT: 0
	.section	.text._ZN7rocprim17ROCPRIM_400000_NS6detail17trampoline_kernelINS0_14default_configENS1_25partition_config_selectorILNS1_17partition_subalgoE5EsNS0_10empty_typeEbEEZZNS1_14partition_implILS5_5ELb0ES3_mN6thrust23THRUST_200600_302600_NS6detail15normal_iteratorINSA_10device_ptrIsEEEEPS6_NSA_18transform_iteratorINSB_9not_fun_tI7is_trueIsEEESF_NSA_11use_defaultESM_EENS0_5tupleIJSF_S6_EEENSO_IJSG_SG_EEES6_PlJS6_EEE10hipError_tPvRmT3_T4_T5_T6_T7_T9_mT8_P12ihipStream_tbDpT10_ENKUlT_T0_E_clISt17integral_constantIbLb0EES1B_EEDaS16_S17_EUlS16_E_NS1_11comp_targetILNS1_3genE10ELNS1_11target_archE1200ELNS1_3gpuE4ELNS1_3repE0EEENS1_30default_config_static_selectorELNS0_4arch9wavefront6targetE0EEEvT1_,"axG",@progbits,_ZN7rocprim17ROCPRIM_400000_NS6detail17trampoline_kernelINS0_14default_configENS1_25partition_config_selectorILNS1_17partition_subalgoE5EsNS0_10empty_typeEbEEZZNS1_14partition_implILS5_5ELb0ES3_mN6thrust23THRUST_200600_302600_NS6detail15normal_iteratorINSA_10device_ptrIsEEEEPS6_NSA_18transform_iteratorINSB_9not_fun_tI7is_trueIsEEESF_NSA_11use_defaultESM_EENS0_5tupleIJSF_S6_EEENSO_IJSG_SG_EEES6_PlJS6_EEE10hipError_tPvRmT3_T4_T5_T6_T7_T9_mT8_P12ihipStream_tbDpT10_ENKUlT_T0_E_clISt17integral_constantIbLb0EES1B_EEDaS16_S17_EUlS16_E_NS1_11comp_targetILNS1_3genE10ELNS1_11target_archE1200ELNS1_3gpuE4ELNS1_3repE0EEENS1_30default_config_static_selectorELNS0_4arch9wavefront6targetE0EEEvT1_,comdat
	.protected	_ZN7rocprim17ROCPRIM_400000_NS6detail17trampoline_kernelINS0_14default_configENS1_25partition_config_selectorILNS1_17partition_subalgoE5EsNS0_10empty_typeEbEEZZNS1_14partition_implILS5_5ELb0ES3_mN6thrust23THRUST_200600_302600_NS6detail15normal_iteratorINSA_10device_ptrIsEEEEPS6_NSA_18transform_iteratorINSB_9not_fun_tI7is_trueIsEEESF_NSA_11use_defaultESM_EENS0_5tupleIJSF_S6_EEENSO_IJSG_SG_EEES6_PlJS6_EEE10hipError_tPvRmT3_T4_T5_T6_T7_T9_mT8_P12ihipStream_tbDpT10_ENKUlT_T0_E_clISt17integral_constantIbLb0EES1B_EEDaS16_S17_EUlS16_E_NS1_11comp_targetILNS1_3genE10ELNS1_11target_archE1200ELNS1_3gpuE4ELNS1_3repE0EEENS1_30default_config_static_selectorELNS0_4arch9wavefront6targetE0EEEvT1_ ; -- Begin function _ZN7rocprim17ROCPRIM_400000_NS6detail17trampoline_kernelINS0_14default_configENS1_25partition_config_selectorILNS1_17partition_subalgoE5EsNS0_10empty_typeEbEEZZNS1_14partition_implILS5_5ELb0ES3_mN6thrust23THRUST_200600_302600_NS6detail15normal_iteratorINSA_10device_ptrIsEEEEPS6_NSA_18transform_iteratorINSB_9not_fun_tI7is_trueIsEEESF_NSA_11use_defaultESM_EENS0_5tupleIJSF_S6_EEENSO_IJSG_SG_EEES6_PlJS6_EEE10hipError_tPvRmT3_T4_T5_T6_T7_T9_mT8_P12ihipStream_tbDpT10_ENKUlT_T0_E_clISt17integral_constantIbLb0EES1B_EEDaS16_S17_EUlS16_E_NS1_11comp_targetILNS1_3genE10ELNS1_11target_archE1200ELNS1_3gpuE4ELNS1_3repE0EEENS1_30default_config_static_selectorELNS0_4arch9wavefront6targetE0EEEvT1_
	.globl	_ZN7rocprim17ROCPRIM_400000_NS6detail17trampoline_kernelINS0_14default_configENS1_25partition_config_selectorILNS1_17partition_subalgoE5EsNS0_10empty_typeEbEEZZNS1_14partition_implILS5_5ELb0ES3_mN6thrust23THRUST_200600_302600_NS6detail15normal_iteratorINSA_10device_ptrIsEEEEPS6_NSA_18transform_iteratorINSB_9not_fun_tI7is_trueIsEEESF_NSA_11use_defaultESM_EENS0_5tupleIJSF_S6_EEENSO_IJSG_SG_EEES6_PlJS6_EEE10hipError_tPvRmT3_T4_T5_T6_T7_T9_mT8_P12ihipStream_tbDpT10_ENKUlT_T0_E_clISt17integral_constantIbLb0EES1B_EEDaS16_S17_EUlS16_E_NS1_11comp_targetILNS1_3genE10ELNS1_11target_archE1200ELNS1_3gpuE4ELNS1_3repE0EEENS1_30default_config_static_selectorELNS0_4arch9wavefront6targetE0EEEvT1_
	.p2align	8
	.type	_ZN7rocprim17ROCPRIM_400000_NS6detail17trampoline_kernelINS0_14default_configENS1_25partition_config_selectorILNS1_17partition_subalgoE5EsNS0_10empty_typeEbEEZZNS1_14partition_implILS5_5ELb0ES3_mN6thrust23THRUST_200600_302600_NS6detail15normal_iteratorINSA_10device_ptrIsEEEEPS6_NSA_18transform_iteratorINSB_9not_fun_tI7is_trueIsEEESF_NSA_11use_defaultESM_EENS0_5tupleIJSF_S6_EEENSO_IJSG_SG_EEES6_PlJS6_EEE10hipError_tPvRmT3_T4_T5_T6_T7_T9_mT8_P12ihipStream_tbDpT10_ENKUlT_T0_E_clISt17integral_constantIbLb0EES1B_EEDaS16_S17_EUlS16_E_NS1_11comp_targetILNS1_3genE10ELNS1_11target_archE1200ELNS1_3gpuE4ELNS1_3repE0EEENS1_30default_config_static_selectorELNS0_4arch9wavefront6targetE0EEEvT1_,@function
_ZN7rocprim17ROCPRIM_400000_NS6detail17trampoline_kernelINS0_14default_configENS1_25partition_config_selectorILNS1_17partition_subalgoE5EsNS0_10empty_typeEbEEZZNS1_14partition_implILS5_5ELb0ES3_mN6thrust23THRUST_200600_302600_NS6detail15normal_iteratorINSA_10device_ptrIsEEEEPS6_NSA_18transform_iteratorINSB_9not_fun_tI7is_trueIsEEESF_NSA_11use_defaultESM_EENS0_5tupleIJSF_S6_EEENSO_IJSG_SG_EEES6_PlJS6_EEE10hipError_tPvRmT3_T4_T5_T6_T7_T9_mT8_P12ihipStream_tbDpT10_ENKUlT_T0_E_clISt17integral_constantIbLb0EES1B_EEDaS16_S17_EUlS16_E_NS1_11comp_targetILNS1_3genE10ELNS1_11target_archE1200ELNS1_3gpuE4ELNS1_3repE0EEENS1_30default_config_static_selectorELNS0_4arch9wavefront6targetE0EEEvT1_: ; @_ZN7rocprim17ROCPRIM_400000_NS6detail17trampoline_kernelINS0_14default_configENS1_25partition_config_selectorILNS1_17partition_subalgoE5EsNS0_10empty_typeEbEEZZNS1_14partition_implILS5_5ELb0ES3_mN6thrust23THRUST_200600_302600_NS6detail15normal_iteratorINSA_10device_ptrIsEEEEPS6_NSA_18transform_iteratorINSB_9not_fun_tI7is_trueIsEEESF_NSA_11use_defaultESM_EENS0_5tupleIJSF_S6_EEENSO_IJSG_SG_EEES6_PlJS6_EEE10hipError_tPvRmT3_T4_T5_T6_T7_T9_mT8_P12ihipStream_tbDpT10_ENKUlT_T0_E_clISt17integral_constantIbLb0EES1B_EEDaS16_S17_EUlS16_E_NS1_11comp_targetILNS1_3genE10ELNS1_11target_archE1200ELNS1_3gpuE4ELNS1_3repE0EEENS1_30default_config_static_selectorELNS0_4arch9wavefront6targetE0EEEvT1_
; %bb.0:
	s_clause 0x3
	s_load_b128 s[12:15], s[0:1], 0x8
	s_load_b128 s[8:11], s[0:1], 0x48
	s_load_b32 s18, s[0:1], 0x70
	s_load_b64 s[2:3], s[0:1], 0x58
	s_mov_b32 s17, 0
	s_mul_i32 s20, ttmp9, 0xc00
	s_mov_b32 s21, s17
	v_lshlrev_b32_e32 v9, 1, v0
	s_wait_kmcnt 0x0
	s_lshl_b64 s[4:5], s[14:15], 1
	s_load_b64 s[6:7], s[10:11], 0x0
	s_mul_i32 s16, s18, 0xc00
	s_add_co_i32 s19, s18, -1
	s_add_co_i32 s18, s16, s14
	s_add_nc_u64 s[10:11], s[14:15], s[16:17]
	s_sub_co_i32 s18, s2, s18
	v_cmp_le_u64_e64 s2, s[2:3], s[10:11]
	s_addk_co_i32 s18, 0xc00
	s_cmp_eq_u32 ttmp9, s19
	s_add_nc_u64 s[12:13], s[12:13], s[4:5]
	s_cselect_b32 s16, -1, 0
	s_lshl_b64 s[10:11], s[20:21], 1
	s_and_b32 s2, s16, s2
	s_mov_b32 s3, -1
	s_wait_alu 0xfffe
	s_xor_b32 s17, s2, -1
	s_add_nc_u64 s[12:13], s[12:13], s[10:11]
	s_and_b32 vcc_lo, exec_lo, s17
	s_cbranch_vccz .LBB1538_2
; %bb.1:
	v_add_co_u32 v1, s2, s12, v9
	s_wait_alu 0xf1ff
	v_add_co_ci_u32_e64 v2, null, s13, 0, s2
	s_mov_b32 s3, 0
	s_clause 0xb
	flat_load_u16 v3, v[1:2]
	flat_load_u16 v4, v[1:2] offset:512
	flat_load_u16 v5, v[1:2] offset:1024
	;; [unrolled: 1-line block ×11, first 2 shown]
	s_wait_loadcnt_dscnt 0xb0b
	ds_store_b16 v9, v3
	s_wait_loadcnt_dscnt 0xa0b
	ds_store_b16 v9, v4 offset:512
	s_wait_loadcnt_dscnt 0x90b
	ds_store_b16 v9, v5 offset:1024
	;; [unrolled: 2-line block ×11, first 2 shown]
	s_wait_dscnt 0x0
	s_barrier_signal -1
	s_barrier_wait -1
.LBB1538_2:
	s_load_b64 s[14:15], s[0:1], 0x20
	v_cmp_gt_u32_e64 s2, s18, v0
	s_and_not1_b32 vcc_lo, exec_lo, s3
	s_cbranch_vccnz .LBB1538_28
; %bb.3:
	v_mov_b32_e32 v1, 0
	s_delay_alu instid0(VALU_DEP_1)
	v_dual_mov_b32 v2, v1 :: v_dual_mov_b32 v3, v1
	v_dual_mov_b32 v4, v1 :: v_dual_mov_b32 v5, v1
	v_mov_b32_e32 v6, v1
	s_and_saveexec_b32 s3, s2
	s_cbranch_execz .LBB1538_5
; %bb.4:
	v_add_co_u32 v3, s2, s12, v9
	s_wait_alu 0xf1ff
	v_add_co_ci_u32_e64 v4, null, s13, 0, s2
	v_mov_b32_e32 v2, v1
	v_dual_mov_b32 v6, v1 :: v_dual_mov_b32 v7, v1
	v_mov_b32_e32 v5, v1
	flat_load_d16_b16 v2, v[3:4]
	v_dual_mov_b32 v3, v1 :: v_dual_mov_b32 v4, v1
	s_wait_loadcnt_dscnt 0x0
	v_mov_b32_e32 v1, v2
	s_delay_alu instid0(VALU_DEP_2) | instskip(NEXT) | instid1(VALU_DEP_3)
	v_mov_b32_e32 v2, v3
	v_mov_b32_e32 v3, v4
	;; [unrolled: 1-line block ×7, first 2 shown]
.LBB1538_5:
	s_wait_alu 0xfffe
	s_or_b32 exec_lo, exec_lo, s3
	v_or_b32_e32 v7, 0x100, v0
	s_mov_b32 s2, exec_lo
	s_delay_alu instid0(VALU_DEP_1)
	v_cmpx_gt_u32_e64 s18, v7
	s_cbranch_execz .LBB1538_7
; %bb.6:
	v_add_co_u32 v7, s3, s12, v9
	s_wait_alu 0xf1ff
	v_add_co_ci_u32_e64 v8, null, s13, 0, s3
	flat_load_d16_hi_b16 v1, v[7:8] offset:512
.LBB1538_7:
	s_wait_alu 0xfffe
	s_or_b32 exec_lo, exec_lo, s2
	v_or_b32_e32 v7, 0x200, v0
	s_mov_b32 s2, exec_lo
	s_delay_alu instid0(VALU_DEP_1)
	v_cmpx_gt_u32_e64 s18, v7
	s_cbranch_execz .LBB1538_9
; %bb.8:
	v_add_co_u32 v7, s3, s12, v9
	s_wait_alu 0xf1ff
	v_add_co_ci_u32_e64 v8, null, s13, 0, s3
	flat_load_d16_b16 v2, v[7:8] offset:1024
.LBB1538_9:
	s_wait_alu 0xfffe
	s_or_b32 exec_lo, exec_lo, s2
	v_or_b32_e32 v7, 0x300, v0
	s_mov_b32 s2, exec_lo
	s_delay_alu instid0(VALU_DEP_1)
	v_cmpx_gt_u32_e64 s18, v7
	s_cbranch_execz .LBB1538_11
; %bb.10:
	v_add_co_u32 v7, s3, s12, v9
	s_wait_alu 0xf1ff
	v_add_co_ci_u32_e64 v8, null, s13, 0, s3
	s_wait_loadcnt_dscnt 0x0
	flat_load_d16_hi_b16 v2, v[7:8] offset:1536
.LBB1538_11:
	s_wait_alu 0xfffe
	s_or_b32 exec_lo, exec_lo, s2
	v_or_b32_e32 v7, 0x400, v0
	s_mov_b32 s2, exec_lo
	s_delay_alu instid0(VALU_DEP_1)
	v_cmpx_gt_u32_e64 s18, v7
	s_cbranch_execz .LBB1538_13
; %bb.12:
	v_add_co_u32 v7, s3, s12, v9
	s_wait_alu 0xf1ff
	v_add_co_ci_u32_e64 v8, null, s13, 0, s3
	flat_load_d16_b16 v3, v[7:8] offset:2048
.LBB1538_13:
	s_wait_alu 0xfffe
	s_or_b32 exec_lo, exec_lo, s2
	v_or_b32_e32 v7, 0x500, v0
	s_mov_b32 s2, exec_lo
	s_delay_alu instid0(VALU_DEP_1)
	v_cmpx_gt_u32_e64 s18, v7
	s_cbranch_execz .LBB1538_15
; %bb.14:
	v_add_co_u32 v7, s3, s12, v9
	s_wait_alu 0xf1ff
	v_add_co_ci_u32_e64 v8, null, s13, 0, s3
	s_wait_loadcnt_dscnt 0x0
	flat_load_d16_hi_b16 v3, v[7:8] offset:2560
.LBB1538_15:
	;; [unrolled: 27-line block ×5, first 2 shown]
	s_wait_alu 0xfffe
	s_or_b32 exec_lo, exec_lo, s2
	s_wait_loadcnt_dscnt 0x0
	ds_store_b16 v9, v1
	ds_store_b16_d16_hi v9, v1 offset:512
	ds_store_b16 v9, v2 offset:1024
	ds_store_b16_d16_hi v9, v2 offset:1536
	ds_store_b16 v9, v3 offset:2048
	;; [unrolled: 2-line block ×5, first 2 shown]
	ds_store_b16_d16_hi v9, v6 offset:5632
	s_wait_dscnt 0x0
	s_barrier_signal -1
	s_barrier_wait -1
.LBB1538_28:
	v_mul_u32_u24_e32 v51, 12, v0
	global_inv scope:SCOPE_SE
	s_wait_kmcnt 0x0
	s_add_nc_u64 s[2:3], s[14:15], s[4:5]
	s_and_b32 vcc_lo, exec_lo, s17
	s_wait_alu 0xfffe
	s_add_nc_u64 s[2:3], s[2:3], s[10:11]
	v_lshlrev_b32_e32 v1, 1, v51
	s_mov_b32 s4, -1
	ds_load_2addr_b64 v[33:36], v1 offset1:1
	ds_load_b64 v[41:42], v1 offset:16
	s_wait_loadcnt_dscnt 0x0
	s_barrier_signal -1
	s_barrier_wait -1
	global_inv scope:SCOPE_SE
	s_cbranch_vccz .LBB1538_30
; %bb.29:
	s_clause 0xb
	global_load_u16 v1, v9, s[2:3]
	global_load_u16 v2, v9, s[2:3] offset:512
	global_load_u16 v3, v9, s[2:3] offset:1024
	;; [unrolled: 1-line block ×11, first 2 shown]
	s_mov_b32 s4, 0
	s_wait_loadcnt 0xb
	v_cmp_eq_u16_e32 vcc_lo, 0, v1
	v_cndmask_b32_e64 v1, 0, 1, vcc_lo
	s_wait_loadcnt 0xa
	v_cmp_eq_u16_e32 vcc_lo, 0, v2
	s_wait_alu 0xfffd
	v_cndmask_b32_e64 v2, 0, 1, vcc_lo
	s_wait_loadcnt 0x9
	v_cmp_eq_u16_e32 vcc_lo, 0, v3
	s_wait_alu 0xfffd
	v_cndmask_b32_e64 v3, 0, 1, vcc_lo
	s_wait_loadcnt 0x8
	v_cmp_eq_u16_e32 vcc_lo, 0, v4
	s_wait_alu 0xfffd
	v_cndmask_b32_e64 v4, 0, 1, vcc_lo
	s_wait_loadcnt 0x7
	v_cmp_eq_u16_e32 vcc_lo, 0, v5
	s_wait_alu 0xfffd
	v_cndmask_b32_e64 v5, 0, 1, vcc_lo
	s_wait_loadcnt 0x6
	v_cmp_eq_u16_e32 vcc_lo, 0, v6
	s_wait_alu 0xfffd
	v_cndmask_b32_e64 v6, 0, 1, vcc_lo
	s_wait_loadcnt 0x5
	v_cmp_eq_u16_e32 vcc_lo, 0, v7
	s_wait_alu 0xfffd
	v_cndmask_b32_e64 v7, 0, 1, vcc_lo
	s_wait_loadcnt 0x4
	v_cmp_eq_u16_e32 vcc_lo, 0, v8
	s_wait_alu 0xfffd
	v_cndmask_b32_e64 v8, 0, 1, vcc_lo
	s_wait_loadcnt 0x3
	v_cmp_eq_u16_e32 vcc_lo, 0, v10
	s_wait_alu 0xfffd
	v_cndmask_b32_e64 v10, 0, 1, vcc_lo
	s_wait_loadcnt 0x2
	v_cmp_eq_u16_e32 vcc_lo, 0, v11
	s_wait_alu 0xfffd
	v_cndmask_b32_e64 v11, 0, 1, vcc_lo
	s_wait_loadcnt 0x1
	v_cmp_eq_u16_e32 vcc_lo, 0, v12
	s_wait_alu 0xfffd
	v_cndmask_b32_e64 v12, 0, 1, vcc_lo
	s_wait_loadcnt 0x0
	v_cmp_eq_u16_e32 vcc_lo, 0, v13
	s_wait_alu 0xfffd
	v_cndmask_b32_e64 v13, 0, 1, vcc_lo
	ds_store_b8 v0, v1
	ds_store_b8 v0, v2 offset:256
	ds_store_b8 v0, v3 offset:512
	;; [unrolled: 1-line block ×11, first 2 shown]
	s_wait_dscnt 0x0
	s_barrier_signal -1
	s_barrier_wait -1
.LBB1538_30:
	s_and_not1_b32 vcc_lo, exec_lo, s4
	s_wait_alu 0xfffe
	s_cbranch_vccnz .LBB1538_56
; %bb.31:
	v_mov_b32_e32 v3, 0
	s_mov_b32 s4, exec_lo
	s_delay_alu instid0(VALU_DEP_1)
	v_dual_mov_b32 v1, v3 :: v_dual_mov_b32 v2, v3
	v_mov_b32_e32 v4, v3
	v_cmpx_gt_u32_e64 s18, v0
	s_cbranch_execz .LBB1538_33
; %bb.32:
	global_load_u16 v1, v9, s[2:3]
	s_wait_loadcnt 0x0
	v_cmp_eq_u16_e32 vcc_lo, 0, v1
	v_mov_b32_e32 v1, 0
	s_wait_alu 0xfffd
	v_cndmask_b32_e64 v4, 0, 1, vcc_lo
	s_delay_alu instid0(VALU_DEP_1)
	v_dual_mov_b32 v2, v1 :: v_dual_and_b32 v3, 0xffff, v4
.LBB1538_33:
	s_or_b32 exec_lo, exec_lo, s4
	v_or_b32_e32 v5, 0x100, v0
	s_mov_b32 s4, exec_lo
	s_delay_alu instid0(VALU_DEP_1)
	v_cmpx_gt_u32_e64 s18, v5
	s_cbranch_execz .LBB1538_35
; %bb.34:
	global_load_u16 v5, v9, s[2:3] offset:512
	v_and_b32_e32 v6, 0xff, v3
	s_wait_loadcnt 0x0
	v_cmp_eq_u16_e32 vcc_lo, 0, v5
	s_wait_alu 0xfffd
	v_cndmask_b32_e64 v5, 0, 1, vcc_lo
	s_delay_alu instid0(VALU_DEP_1) | instskip(NEXT) | instid1(VALU_DEP_1)
	v_lshlrev_b16 v5, 8, v5
	v_or_b32_e32 v5, v6, v5
	s_delay_alu instid0(VALU_DEP_1) | instskip(NEXT) | instid1(VALU_DEP_1)
	v_and_b32_e32 v5, 0xffff, v5
	v_and_or_b32 v3, 0xffff0000, v3, v5
.LBB1538_35:
	s_or_b32 exec_lo, exec_lo, s4
	v_or_b32_e32 v5, 0x200, v0
	s_mov_b32 s4, exec_lo
	s_delay_alu instid0(VALU_DEP_1)
	v_cmpx_gt_u32_e64 s18, v5
	s_cbranch_execz .LBB1538_37
; %bb.36:
	global_load_u16 v5, v9, s[2:3] offset:1024
	v_lshrrev_b32_e32 v6, 16, v3
	s_delay_alu instid0(VALU_DEP_1) | instskip(SKIP_4) | instid1(VALU_DEP_1)
	v_and_b32_e32 v6, 0xffffff00, v6
	s_wait_loadcnt 0x0
	v_cmp_eq_u16_e32 vcc_lo, 0, v5
	s_wait_alu 0xfffd
	v_cndmask_b32_e64 v5, 0, 1, vcc_lo
	v_or_b32_e32 v5, v5, v6
	s_delay_alu instid0(VALU_DEP_1) | instskip(NEXT) | instid1(VALU_DEP_1)
	v_lshlrev_b32_e32 v5, 16, v5
	v_and_or_b32 v3, 0xffff, v3, v5
.LBB1538_37:
	s_or_b32 exec_lo, exec_lo, s4
	v_or_b32_e32 v5, 0x300, v0
	s_mov_b32 s4, exec_lo
	s_delay_alu instid0(VALU_DEP_1)
	v_cmpx_gt_u32_e64 s18, v5
	s_cbranch_execz .LBB1538_39
; %bb.38:
	global_load_u16 v5, v9, s[2:3] offset:1536
	v_lshrrev_b32_e32 v6, 16, v3
	s_delay_alu instid0(VALU_DEP_1) | instskip(SKIP_4) | instid1(VALU_DEP_1)
	v_and_b32_e32 v6, 0xff, v6
	s_wait_loadcnt 0x0
	v_cmp_eq_u16_e32 vcc_lo, 0, v5
	s_wait_alu 0xfffd
	v_cndmask_b32_e64 v5, 0, 1, vcc_lo
	v_lshlrev_b16 v5, 8, v5
	s_delay_alu instid0(VALU_DEP_1) | instskip(NEXT) | instid1(VALU_DEP_1)
	v_or_b32_e32 v5, v6, v5
	v_lshlrev_b32_e32 v5, 16, v5
	s_delay_alu instid0(VALU_DEP_1)
	v_and_or_b32 v3, 0xffff, v3, v5
.LBB1538_39:
	s_or_b32 exec_lo, exec_lo, s4
	v_or_b32_e32 v5, 0x400, v0
	s_mov_b32 s4, exec_lo
	s_delay_alu instid0(VALU_DEP_1)
	v_cmpx_gt_u32_e64 s18, v5
	s_cbranch_execz .LBB1538_41
; %bb.40:
	global_load_u16 v5, v9, s[2:3] offset:2048
	v_and_b32_e32 v6, 0xffffff00, v1
	s_wait_loadcnt 0x0
	v_cmp_eq_u16_e32 vcc_lo, 0, v5
	s_wait_alu 0xfffd
	v_cndmask_b32_e64 v5, 0, 1, vcc_lo
	s_delay_alu instid0(VALU_DEP_1) | instskip(NEXT) | instid1(VALU_DEP_1)
	v_or_b32_e32 v5, v5, v6
	v_and_b32_e32 v5, 0xffff, v5
	s_delay_alu instid0(VALU_DEP_1)
	v_and_or_b32 v1, 0xffff0000, v1, v5
.LBB1538_41:
	s_or_b32 exec_lo, exec_lo, s4
	v_or_b32_e32 v5, 0x500, v0
	s_mov_b32 s4, exec_lo
	s_delay_alu instid0(VALU_DEP_1)
	v_cmpx_gt_u32_e64 s18, v5
	s_cbranch_execz .LBB1538_43
; %bb.42:
	global_load_u16 v5, v9, s[2:3] offset:2560
	v_and_b32_e32 v6, 0xff, v1
	s_wait_loadcnt 0x0
	v_cmp_eq_u16_e32 vcc_lo, 0, v5
	s_wait_alu 0xfffd
	v_cndmask_b32_e64 v5, 0, 1, vcc_lo
	s_delay_alu instid0(VALU_DEP_1) | instskip(NEXT) | instid1(VALU_DEP_1)
	v_lshlrev_b16 v5, 8, v5
	v_or_b32_e32 v5, v6, v5
	s_delay_alu instid0(VALU_DEP_1) | instskip(NEXT) | instid1(VALU_DEP_1)
	v_and_b32_e32 v5, 0xffff, v5
	v_and_or_b32 v1, 0xffff0000, v1, v5
.LBB1538_43:
	s_or_b32 exec_lo, exec_lo, s4
	v_or_b32_e32 v5, 0x600, v0
	s_mov_b32 s4, exec_lo
	s_delay_alu instid0(VALU_DEP_1)
	v_cmpx_gt_u32_e64 s18, v5
	s_cbranch_execz .LBB1538_45
; %bb.44:
	global_load_u16 v5, v9, s[2:3] offset:3072
	v_lshrrev_b32_e32 v6, 16, v1
	s_delay_alu instid0(VALU_DEP_1) | instskip(SKIP_4) | instid1(VALU_DEP_1)
	v_and_b32_e32 v6, 0xffffff00, v6
	s_wait_loadcnt 0x0
	v_cmp_eq_u16_e32 vcc_lo, 0, v5
	s_wait_alu 0xfffd
	v_cndmask_b32_e64 v5, 0, 1, vcc_lo
	v_or_b32_e32 v5, v5, v6
	s_delay_alu instid0(VALU_DEP_1) | instskip(NEXT) | instid1(VALU_DEP_1)
	v_lshlrev_b32_e32 v5, 16, v5
	v_and_or_b32 v1, 0xffff, v1, v5
.LBB1538_45:
	s_or_b32 exec_lo, exec_lo, s4
	v_or_b32_e32 v5, 0x700, v0
	s_mov_b32 s4, exec_lo
	s_delay_alu instid0(VALU_DEP_1)
	v_cmpx_gt_u32_e64 s18, v5
	s_cbranch_execz .LBB1538_47
; %bb.46:
	global_load_u16 v5, v9, s[2:3] offset:3584
	v_lshrrev_b32_e32 v6, 16, v1
	s_delay_alu instid0(VALU_DEP_1) | instskip(SKIP_4) | instid1(VALU_DEP_1)
	v_and_b32_e32 v6, 0xff, v6
	s_wait_loadcnt 0x0
	v_cmp_eq_u16_e32 vcc_lo, 0, v5
	s_wait_alu 0xfffd
	v_cndmask_b32_e64 v5, 0, 1, vcc_lo
	v_lshlrev_b16 v5, 8, v5
	s_delay_alu instid0(VALU_DEP_1) | instskip(NEXT) | instid1(VALU_DEP_1)
	v_or_b32_e32 v5, v6, v5
	v_lshlrev_b32_e32 v5, 16, v5
	s_delay_alu instid0(VALU_DEP_1)
	v_and_or_b32 v1, 0xffff, v1, v5
.LBB1538_47:
	s_or_b32 exec_lo, exec_lo, s4
	v_or_b32_e32 v5, 0x800, v0
	s_mov_b32 s4, exec_lo
	s_delay_alu instid0(VALU_DEP_1)
	v_cmpx_gt_u32_e64 s18, v5
	s_cbranch_execz .LBB1538_49
; %bb.48:
	global_load_u16 v5, v9, s[2:3] offset:4096
	v_and_b32_e32 v6, 0xffffff00, v2
	s_wait_loadcnt 0x0
	v_cmp_eq_u16_e32 vcc_lo, 0, v5
	s_wait_alu 0xfffd
	v_cndmask_b32_e64 v5, 0, 1, vcc_lo
	s_delay_alu instid0(VALU_DEP_1) | instskip(NEXT) | instid1(VALU_DEP_1)
	v_or_b32_e32 v5, v5, v6
	v_and_b32_e32 v5, 0xffff, v5
	s_delay_alu instid0(VALU_DEP_1)
	v_and_or_b32 v2, 0xffff0000, v2, v5
.LBB1538_49:
	s_or_b32 exec_lo, exec_lo, s4
	v_or_b32_e32 v5, 0x900, v0
	s_mov_b32 s4, exec_lo
	s_delay_alu instid0(VALU_DEP_1)
	v_cmpx_gt_u32_e64 s18, v5
	s_cbranch_execz .LBB1538_51
; %bb.50:
	global_load_u16 v5, v9, s[2:3] offset:4608
	v_and_b32_e32 v6, 0xff, v2
	s_wait_loadcnt 0x0
	v_cmp_eq_u16_e32 vcc_lo, 0, v5
	s_wait_alu 0xfffd
	v_cndmask_b32_e64 v5, 0, 1, vcc_lo
	s_delay_alu instid0(VALU_DEP_1) | instskip(NEXT) | instid1(VALU_DEP_1)
	v_lshlrev_b16 v5, 8, v5
	v_or_b32_e32 v5, v6, v5
	s_delay_alu instid0(VALU_DEP_1) | instskip(NEXT) | instid1(VALU_DEP_1)
	v_and_b32_e32 v5, 0xffff, v5
	v_and_or_b32 v2, 0xffff0000, v2, v5
.LBB1538_51:
	s_or_b32 exec_lo, exec_lo, s4
	v_or_b32_e32 v5, 0xa00, v0
	s_mov_b32 s4, exec_lo
	s_delay_alu instid0(VALU_DEP_1)
	v_cmpx_gt_u32_e64 s18, v5
	s_cbranch_execz .LBB1538_53
; %bb.52:
	global_load_u16 v5, v9, s[2:3] offset:5120
	v_lshrrev_b32_e32 v6, 16, v2
	s_delay_alu instid0(VALU_DEP_1) | instskip(SKIP_4) | instid1(VALU_DEP_1)
	v_and_b32_e32 v6, 0xffffff00, v6
	s_wait_loadcnt 0x0
	v_cmp_eq_u16_e32 vcc_lo, 0, v5
	s_wait_alu 0xfffd
	v_cndmask_b32_e64 v5, 0, 1, vcc_lo
	v_or_b32_e32 v5, v5, v6
	s_delay_alu instid0(VALU_DEP_1) | instskip(NEXT) | instid1(VALU_DEP_1)
	v_lshlrev_b32_e32 v5, 16, v5
	v_and_or_b32 v2, 0xffff, v2, v5
.LBB1538_53:
	s_or_b32 exec_lo, exec_lo, s4
	v_or_b32_e32 v5, 0xb00, v0
	s_mov_b32 s4, exec_lo
	s_delay_alu instid0(VALU_DEP_1)
	v_cmpx_gt_u32_e64 s18, v5
	s_cbranch_execz .LBB1538_55
; %bb.54:
	global_load_u16 v5, v9, s[2:3] offset:5632
	v_lshrrev_b32_e32 v6, 16, v2
	s_delay_alu instid0(VALU_DEP_1) | instskip(SKIP_4) | instid1(VALU_DEP_1)
	v_and_b32_e32 v6, 0xff, v6
	s_wait_loadcnt 0x0
	v_cmp_eq_u16_e32 vcc_lo, 0, v5
	s_wait_alu 0xfffd
	v_cndmask_b32_e64 v5, 0, 1, vcc_lo
	v_lshlrev_b16 v5, 8, v5
	s_delay_alu instid0(VALU_DEP_1) | instskip(NEXT) | instid1(VALU_DEP_1)
	v_or_b32_e32 v5, v6, v5
	v_lshlrev_b32_e32 v5, 16, v5
	s_delay_alu instid0(VALU_DEP_1)
	v_and_or_b32 v2, 0xffff, v2, v5
.LBB1538_55:
	s_or_b32 exec_lo, exec_lo, s4
	v_lshrrev_b32_e32 v5, 8, v3
	v_lshrrev_b32_e32 v6, 24, v3
	;; [unrolled: 1-line block ×6, first 2 shown]
	ds_store_b8 v0, v4
	ds_store_b8 v0, v5 offset:256
	ds_store_b8_d16_hi v0, v3 offset:512
	ds_store_b8 v0, v6 offset:768
	ds_store_b8 v0, v1 offset:1024
	;; [unrolled: 1-line block ×3, first 2 shown]
	ds_store_b8_d16_hi v0, v1 offset:1536
	ds_store_b8 v0, v8 offset:1792
	ds_store_b8 v0, v2 offset:2048
	;; [unrolled: 1-line block ×3, first 2 shown]
	ds_store_b8_d16_hi v0, v2 offset:2560
	ds_store_b8 v0, v10 offset:2816
	s_wait_loadcnt_dscnt 0x0
	s_barrier_signal -1
	s_barrier_wait -1
.LBB1538_56:
	s_wait_loadcnt 0x0
	global_inv scope:SCOPE_SE
	ds_load_2addr_b32 v[43:44], v51 offset1:1
	ds_load_b32 v47, v51 offset:8
	s_load_b64 s[10:11], s[0:1], 0x68
	v_mbcnt_lo_u32_b32 v61, -1, 0
	s_cmp_lg_u32 ttmp9, 0
	s_mov_b32 s3, -1
	s_wait_loadcnt_dscnt 0x0
	s_barrier_signal -1
	v_and_b32_e32 v62, 15, v61
	s_barrier_wait -1
	global_inv scope:SCOPE_SE
	v_dual_mov_b32 v2, 0 :: v_dual_and_b32 v53, 0xff, v43
	v_bfe_u32 v54, v43, 8, 8
	v_bfe_u32 v52, v43, 16, 8
	v_lshrrev_b32_e32 v50, 24, v43
	v_and_b32_e32 v56, 0xff, v44
	v_bfe_u32 v57, v44, 8, 8
	v_bfe_u32 v58, v44, 16, 8
	v_add3_u32 v1, v54, v53, v52
	v_lshrrev_b32_e32 v49, 24, v44
	v_and_b32_e32 v59, 0xff, v47
	v_bfe_u32 v60, v47, 8, 8
	v_bfe_u32 v55, v47, 16, 8
	v_add_co_u32 v1, s2, v1, v50
	s_wait_alu 0xf1ff
	v_add_co_ci_u32_e64 v3, null, 0, 0, s2
	v_lshrrev_b32_e32 v48, 24, v47
	s_delay_alu instid0(VALU_DEP_3) | instskip(SKIP_1) | instid1(VALU_DEP_3)
	v_add_co_u32 v1, vcc_lo, v1, v56
	s_wait_alu 0xfffd
	v_add_co_ci_u32_e64 v3, null, 0, v3, vcc_lo
	v_cmp_ne_u32_e64 s2, 0, v62
	s_delay_alu instid0(VALU_DEP_3) | instskip(SKIP_1) | instid1(VALU_DEP_3)
	v_add_co_u32 v1, vcc_lo, v1, v57
	s_wait_alu 0xfffd
	v_add_co_ci_u32_e64 v3, null, 0, v3, vcc_lo
	s_delay_alu instid0(VALU_DEP_2) | instskip(SKIP_1) | instid1(VALU_DEP_2)
	v_add_co_u32 v1, vcc_lo, v1, v58
	s_wait_alu 0xfffd
	v_add_co_ci_u32_e64 v3, null, 0, v3, vcc_lo
	s_delay_alu instid0(VALU_DEP_2) | instskip(SKIP_1) | instid1(VALU_DEP_2)
	;; [unrolled: 4-line block ×6, first 2 shown]
	v_add_co_u32 v45, vcc_lo, v1, v48
	s_wait_alu 0xfffd
	v_add_co_ci_u32_e64 v46, null, 0, v3, vcc_lo
	s_cbranch_scc0 .LBB1538_113
; %bb.57:
	v_mov_b32_e32 v3, v45
	v_mov_b32_dpp v1, v45 row_shr:1 row_mask:0xf bank_mask:0xf
	v_mov_b32_dpp v6, v2 row_shr:1 row_mask:0xf bank_mask:0xf
	v_dual_mov_b32 v5, v45 :: v_dual_mov_b32 v4, v46
	s_and_saveexec_b32 s3, s2
; %bb.58:
	s_delay_alu instid0(VALU_DEP_3) | instskip(SKIP_2) | instid1(VALU_DEP_2)
	v_add_co_u32 v5, vcc_lo, v45, v1
	s_wait_alu 0xfffd
	v_add_co_ci_u32_e64 v2, null, 0, v46, vcc_lo
	v_add_co_u32 v1, vcc_lo, 0, v5
	s_wait_alu 0xfffd
	s_delay_alu instid0(VALU_DEP_2) | instskip(NEXT) | instid1(VALU_DEP_1)
	v_add_co_ci_u32_e64 v2, null, v6, v2, vcc_lo
	v_dual_mov_b32 v4, v2 :: v_dual_mov_b32 v3, v1
; %bb.59:
	s_wait_alu 0xfffe
	s_or_b32 exec_lo, exec_lo, s3
	v_mov_b32_dpp v1, v5 row_shr:2 row_mask:0xf bank_mask:0xf
	v_mov_b32_dpp v6, v2 row_shr:2 row_mask:0xf bank_mask:0xf
	s_mov_b32 s3, exec_lo
	v_cmpx_lt_u32_e32 1, v62
; %bb.60:
	s_delay_alu instid0(VALU_DEP_3) | instskip(SKIP_2) | instid1(VALU_DEP_2)
	v_add_co_u32 v5, vcc_lo, v3, v1
	s_wait_alu 0xfffd
	v_add_co_ci_u32_e64 v2, null, 0, v4, vcc_lo
	v_add_co_u32 v1, vcc_lo, 0, v5
	s_wait_alu 0xfffd
	s_delay_alu instid0(VALU_DEP_2) | instskip(NEXT) | instid1(VALU_DEP_1)
	v_add_co_ci_u32_e64 v2, null, v6, v2, vcc_lo
	v_dual_mov_b32 v4, v2 :: v_dual_mov_b32 v3, v1
; %bb.61:
	s_wait_alu 0xfffe
	s_or_b32 exec_lo, exec_lo, s3
	v_mov_b32_dpp v1, v5 row_shr:4 row_mask:0xf bank_mask:0xf
	v_mov_b32_dpp v6, v2 row_shr:4 row_mask:0xf bank_mask:0xf
	s_mov_b32 s3, exec_lo
	v_cmpx_lt_u32_e32 3, v62
	;; [unrolled: 17-line block ×3, first 2 shown]
; %bb.64:
	s_delay_alu instid0(VALU_DEP_3) | instskip(SKIP_2) | instid1(VALU_DEP_2)
	v_add_co_u32 v5, vcc_lo, v3, v6
	s_wait_alu 0xfffd
	v_add_co_ci_u32_e64 v2, null, 0, v4, vcc_lo
	v_add_co_u32 v3, vcc_lo, 0, v5
	s_wait_alu 0xfffd
	s_delay_alu instid0(VALU_DEP_2) | instskip(NEXT) | instid1(VALU_DEP_1)
	v_add_co_ci_u32_e64 v4, null, v1, v2, vcc_lo
	v_mov_b32_e32 v2, v4
; %bb.65:
	s_wait_alu 0xfffe
	s_or_b32 exec_lo, exec_lo, s3
	ds_swizzle_b32 v1, v5 offset:swizzle(BROADCAST,32,15)
	ds_swizzle_b32 v6, v2 offset:swizzle(BROADCAST,32,15)
	v_and_b32_e32 v7, 16, v61
	s_mov_b32 s3, exec_lo
	s_delay_alu instid0(VALU_DEP_1)
	v_cmpx_ne_u32_e32 0, v7
	s_cbranch_execz .LBB1538_67
; %bb.66:
	s_wait_dscnt 0x1
	v_add_co_u32 v5, vcc_lo, v3, v1
	s_wait_alu 0xfffd
	v_add_co_ci_u32_e64 v2, null, 0, v4, vcc_lo
	s_delay_alu instid0(VALU_DEP_2) | instskip(SKIP_2) | instid1(VALU_DEP_2)
	v_add_co_u32 v1, vcc_lo, 0, v5
	s_wait_dscnt 0x0
	s_wait_alu 0xfffd
	v_add_co_ci_u32_e64 v2, null, v6, v2, vcc_lo
	s_delay_alu instid0(VALU_DEP_1)
	v_dual_mov_b32 v4, v2 :: v_dual_mov_b32 v3, v1
.LBB1538_67:
	s_wait_alu 0xfffe
	s_or_b32 exec_lo, exec_lo, s3
	s_wait_dscnt 0x0
	v_or_b32_e32 v6, 31, v0
	v_lshrrev_b32_e32 v1, 5, v0
	s_mov_b32 s3, exec_lo
	s_delay_alu instid0(VALU_DEP_2)
	v_cmpx_eq_u32_e64 v0, v6
; %bb.68:
	s_delay_alu instid0(VALU_DEP_2)
	v_lshlrev_b32_e32 v6, 3, v1
	ds_store_b64 v6, v[3:4]
; %bb.69:
	s_wait_alu 0xfffe
	s_or_b32 exec_lo, exec_lo, s3
	s_delay_alu instid0(SALU_CYCLE_1)
	s_mov_b32 s3, exec_lo
	s_wait_loadcnt_dscnt 0x0
	s_barrier_signal -1
	s_barrier_wait -1
	global_inv scope:SCOPE_SE
	v_cmpx_gt_u32_e32 8, v0
	s_cbranch_execz .LBB1538_77
; %bb.70:
	v_lshlrev_b32_e32 v6, 3, v0
	s_mov_b32 s4, exec_lo
	ds_load_b64 v[3:4], v6
	s_wait_dscnt 0x0
	v_dual_mov_b32 v8, v3 :: v_dual_and_b32 v7, 7, v61
	v_mov_b32_dpp v10, v3 row_shr:1 row_mask:0xf bank_mask:0xf
	v_mov_b32_dpp v9, v4 row_shr:1 row_mask:0xf bank_mask:0xf
	s_delay_alu instid0(VALU_DEP_3)
	v_cmpx_ne_u32_e32 0, v7
; %bb.71:
	s_delay_alu instid0(VALU_DEP_3) | instskip(SKIP_2) | instid1(VALU_DEP_2)
	v_add_co_u32 v8, vcc_lo, v3, v10
	s_wait_alu 0xfffd
	v_add_co_ci_u32_e64 v4, null, 0, v4, vcc_lo
	v_add_co_u32 v3, vcc_lo, 0, v8
	s_wait_alu 0xfffd
	s_delay_alu instid0(VALU_DEP_2)
	v_add_co_ci_u32_e64 v4, null, v9, v4, vcc_lo
; %bb.72:
	s_or_b32 exec_lo, exec_lo, s4
	v_mov_b32_dpp v10, v8 row_shr:2 row_mask:0xf bank_mask:0xf
	s_delay_alu instid0(VALU_DEP_2)
	v_mov_b32_dpp v9, v4 row_shr:2 row_mask:0xf bank_mask:0xf
	s_mov_b32 s4, exec_lo
	v_cmpx_lt_u32_e32 1, v7
; %bb.73:
	s_delay_alu instid0(VALU_DEP_3) | instskip(SKIP_2) | instid1(VALU_DEP_2)
	v_add_co_u32 v8, vcc_lo, v3, v10
	s_wait_alu 0xfffd
	v_add_co_ci_u32_e64 v4, null, 0, v4, vcc_lo
	v_add_co_u32 v3, vcc_lo, 0, v8
	s_wait_alu 0xfffd
	s_delay_alu instid0(VALU_DEP_2)
	v_add_co_ci_u32_e64 v4, null, v9, v4, vcc_lo
; %bb.74:
	s_or_b32 exec_lo, exec_lo, s4
	v_mov_b32_dpp v9, v8 row_shr:4 row_mask:0xf bank_mask:0xf
	s_delay_alu instid0(VALU_DEP_2)
	v_mov_b32_dpp v8, v4 row_shr:4 row_mask:0xf bank_mask:0xf
	s_mov_b32 s4, exec_lo
	v_cmpx_lt_u32_e32 3, v7
; %bb.75:
	s_delay_alu instid0(VALU_DEP_3) | instskip(SKIP_2) | instid1(VALU_DEP_2)
	v_add_co_u32 v3, vcc_lo, v3, v9
	s_wait_alu 0xfffd
	v_add_co_ci_u32_e64 v4, null, 0, v4, vcc_lo
	v_add_co_u32 v3, vcc_lo, v3, 0
	s_wait_alu 0xfffd
	s_delay_alu instid0(VALU_DEP_2)
	v_add_co_ci_u32_e64 v4, null, v4, v8, vcc_lo
; %bb.76:
	s_or_b32 exec_lo, exec_lo, s4
	ds_store_b64 v6, v[3:4]
.LBB1538_77:
	s_wait_alu 0xfffe
	s_or_b32 exec_lo, exec_lo, s3
	s_delay_alu instid0(SALU_CYCLE_1)
	s_mov_b32 s4, exec_lo
	v_cmp_gt_u32_e32 vcc_lo, 32, v0
	s_wait_loadcnt_dscnt 0x0
	s_barrier_signal -1
	s_barrier_wait -1
	global_inv scope:SCOPE_SE
                                        ; implicit-def: $vgpr9_vgpr10
	v_cmpx_lt_u32_e32 31, v0
	s_cbranch_execz .LBB1538_79
; %bb.78:
	v_lshl_add_u32 v1, v1, 3, -8
	ds_load_b64 v[9:10], v1
	s_wait_dscnt 0x0
	v_add_co_u32 v5, s3, v5, v9
	s_wait_alu 0xf1ff
	v_add_co_ci_u32_e64 v2, null, v2, v10, s3
.LBB1538_79:
	s_or_b32 exec_lo, exec_lo, s4
	v_sub_co_u32 v1, s3, v61, 1
	s_delay_alu instid0(VALU_DEP_1) | instskip(NEXT) | instid1(VALU_DEP_1)
	v_cmp_gt_i32_e64 s4, 0, v1
	v_cndmask_b32_e64 v1, v1, v61, s4
	s_delay_alu instid0(VALU_DEP_1)
	v_lshlrev_b32_e32 v1, 2, v1
	ds_bpermute_b32 v15, v1, v5
	ds_bpermute_b32 v16, v1, v2
	s_and_saveexec_b32 s4, vcc_lo
	s_cbranch_execz .LBB1538_118
; %bb.80:
	v_mov_b32_e32 v4, 0
	ds_load_b64 v[1:2], v4 offset:56
	s_and_saveexec_b32 s5, s3
	s_cbranch_execz .LBB1538_82
; %bb.81:
	s_add_co_i32 s12, ttmp9, 32
	s_mov_b32 s13, 0
	s_wait_alu 0xfffe
	s_lshl_b64 s[12:13], s[12:13], 4
	s_wait_kmcnt 0x0
	s_wait_alu 0xfffe
	s_add_nc_u64 s[12:13], s[10:11], s[12:13]
	v_mov_b32_e32 v3, 1
	s_wait_alu 0xfffe
	v_dual_mov_b32 v5, s12 :: v_dual_mov_b32 v6, s13
	s_wait_dscnt 0x0
	;;#ASMSTART
	global_store_b128 v[5:6], v[1:4] off scope:SCOPE_DEV	
s_wait_storecnt 0x0
	;;#ASMEND
.LBB1538_82:
	s_wait_alu 0xfffe
	s_or_b32 exec_lo, exec_lo, s5
	v_xad_u32 v11, v61, -1, ttmp9
	s_mov_b32 s12, 0
	s_mov_b32 s5, exec_lo
	s_delay_alu instid0(VALU_DEP_1) | instskip(NEXT) | instid1(VALU_DEP_1)
	v_add_nc_u32_e32 v3, 32, v11
	v_lshlrev_b64_e32 v[3:4], 4, v[3:4]
	s_wait_kmcnt 0x0
	s_delay_alu instid0(VALU_DEP_1) | instskip(SKIP_1) | instid1(VALU_DEP_2)
	v_add_co_u32 v3, vcc_lo, s10, v3
	s_wait_alu 0xfffd
	v_add_co_ci_u32_e64 v4, null, s11, v4, vcc_lo
	;;#ASMSTART
	global_load_b128 v[5:8], v[3:4] off scope:SCOPE_DEV	
s_wait_loadcnt 0x0
	;;#ASMEND
	v_and_b32_e32 v8, 0xff, v7
	s_delay_alu instid0(VALU_DEP_1)
	v_cmpx_eq_u16_e32 0, v8
	s_cbranch_execz .LBB1538_85
.LBB1538_83:                            ; =>This Inner Loop Header: Depth=1
	;;#ASMSTART
	global_load_b128 v[5:8], v[3:4] off scope:SCOPE_DEV	
s_wait_loadcnt 0x0
	;;#ASMEND
	v_and_b32_e32 v8, 0xff, v7
	s_delay_alu instid0(VALU_DEP_1)
	v_cmp_ne_u16_e32 vcc_lo, 0, v8
	s_wait_alu 0xfffe
	s_or_b32 s12, vcc_lo, s12
	s_wait_alu 0xfffe
	s_and_not1_b32 exec_lo, exec_lo, s12
	s_cbranch_execnz .LBB1538_83
; %bb.84:
	s_or_b32 exec_lo, exec_lo, s12
.LBB1538_85:
	s_wait_alu 0xfffe
	s_or_b32 exec_lo, exec_lo, s5
	v_cmp_ne_u32_e32 vcc_lo, 31, v61
	v_and_b32_e32 v4, 0xff, v7
	v_lshlrev_b32_e64 v18, v61, -1
	s_mov_b32 s5, exec_lo
	s_wait_alu 0xfffd
	v_add_co_ci_u32_e64 v3, null, 0, v61, vcc_lo
	v_cmp_eq_u16_e32 vcc_lo, 2, v4
	s_delay_alu instid0(VALU_DEP_2)
	v_dual_mov_b32 v4, v5 :: v_dual_lshlrev_b32 v17, 2, v3
	s_wait_alu 0xfffd
	v_and_or_b32 v3, vcc_lo, v18, 0x80000000
	ds_bpermute_b32 v12, v17, v5
	ds_bpermute_b32 v8, v17, v6
	v_ctz_i32_b32_e32 v3, v3
	s_delay_alu instid0(VALU_DEP_1)
	v_cmpx_lt_u32_e64 v61, v3
	s_cbranch_execz .LBB1538_87
; %bb.86:
	s_wait_dscnt 0x1
	v_add_co_u32 v4, vcc_lo, v5, v12
	s_wait_alu 0xfffd
	v_add_co_ci_u32_e64 v6, null, 0, v6, vcc_lo
	s_delay_alu instid0(VALU_DEP_2) | instskip(SKIP_2) | instid1(VALU_DEP_2)
	v_add_co_u32 v5, vcc_lo, 0, v4
	s_wait_dscnt 0x0
	s_wait_alu 0xfffd
	v_add_co_ci_u32_e64 v6, null, v8, v6, vcc_lo
.LBB1538_87:
	s_wait_alu 0xfffe
	s_or_b32 exec_lo, exec_lo, s5
	v_cmp_gt_u32_e32 vcc_lo, 30, v61
	v_add_nc_u32_e32 v20, 2, v61
	s_mov_b32 s5, exec_lo
	s_wait_dscnt 0x0
	s_wait_alu 0xfffd
	v_cndmask_b32_e64 v8, 0, 2, vcc_lo
	s_delay_alu instid0(VALU_DEP_1)
	v_add_lshl_u32 v19, v8, v61, 2
	ds_bpermute_b32 v12, v19, v4
	ds_bpermute_b32 v8, v19, v6
	v_cmpx_le_u32_e64 v20, v3
	s_cbranch_execz .LBB1538_89
; %bb.88:
	s_wait_dscnt 0x1
	v_add_co_u32 v4, vcc_lo, v5, v12
	s_wait_alu 0xfffd
	v_add_co_ci_u32_e64 v6, null, 0, v6, vcc_lo
	s_delay_alu instid0(VALU_DEP_2) | instskip(SKIP_2) | instid1(VALU_DEP_2)
	v_add_co_u32 v5, vcc_lo, 0, v4
	s_wait_dscnt 0x0
	s_wait_alu 0xfffd
	v_add_co_ci_u32_e64 v6, null, v8, v6, vcc_lo
.LBB1538_89:
	s_wait_alu 0xfffe
	s_or_b32 exec_lo, exec_lo, s5
	v_cmp_gt_u32_e32 vcc_lo, 28, v61
	v_add_nc_u32_e32 v22, 4, v61
	s_mov_b32 s5, exec_lo
	s_wait_dscnt 0x0
	s_wait_alu 0xfffd
	v_cndmask_b32_e64 v8, 0, 4, vcc_lo
	s_delay_alu instid0(VALU_DEP_1)
	v_add_lshl_u32 v21, v8, v61, 2
	ds_bpermute_b32 v12, v21, v4
	ds_bpermute_b32 v8, v21, v6
	v_cmpx_le_u32_e64 v22, v3
	;; [unrolled: 25-line block ×3, first 2 shown]
	s_cbranch_execz .LBB1538_93
; %bb.92:
	s_wait_dscnt 0x1
	v_add_co_u32 v4, vcc_lo, v5, v12
	s_wait_alu 0xfffd
	v_add_co_ci_u32_e64 v6, null, 0, v6, vcc_lo
	s_delay_alu instid0(VALU_DEP_2) | instskip(SKIP_2) | instid1(VALU_DEP_2)
	v_add_co_u32 v5, vcc_lo, 0, v4
	s_wait_dscnt 0x0
	s_wait_alu 0xfffd
	v_add_co_ci_u32_e64 v6, null, v8, v6, vcc_lo
.LBB1538_93:
	s_wait_alu 0xfffe
	s_or_b32 exec_lo, exec_lo, s5
	v_lshl_or_b32 v25, v61, 2, 64
	v_add_nc_u32_e32 v26, 16, v61
	s_mov_b32 s5, exec_lo
	s_wait_dscnt 0x0
	ds_bpermute_b32 v8, v25, v4
	ds_bpermute_b32 v4, v25, v6
	v_cmpx_le_u32_e64 v26, v3
	s_cbranch_execz .LBB1538_95
; %bb.94:
	s_wait_dscnt 0x1
	v_add_co_u32 v3, vcc_lo, v5, v8
	s_wait_alu 0xfffd
	v_add_co_ci_u32_e64 v6, null, 0, v6, vcc_lo
	s_delay_alu instid0(VALU_DEP_2) | instskip(SKIP_2) | instid1(VALU_DEP_2)
	v_add_co_u32 v5, vcc_lo, v3, 0
	s_wait_dscnt 0x0
	s_wait_alu 0xfffd
	v_add_co_ci_u32_e64 v6, null, v6, v4, vcc_lo
.LBB1538_95:
	s_wait_alu 0xfffe
	s_or_b32 exec_lo, exec_lo, s5
	v_mov_b32_e32 v12, 0
	s_branch .LBB1538_98
.LBB1538_96:                            ;   in Loop: Header=BB1538_98 Depth=1
	s_wait_alu 0xfffe
	s_or_b32 exec_lo, exec_lo, s5
	v_add_co_u32 v5, vcc_lo, v5, v3
	v_subrev_nc_u32_e32 v11, 32, v11
	s_wait_alu 0xfffd
	v_add_co_ci_u32_e64 v6, null, v6, v4, vcc_lo
	s_mov_b32 s5, 0
.LBB1538_97:                            ;   in Loop: Header=BB1538_98 Depth=1
	s_wait_alu 0xfffe
	s_and_b32 vcc_lo, exec_lo, s5
	s_wait_alu 0xfffe
	s_cbranch_vccnz .LBB1538_114
.LBB1538_98:                            ; =>This Loop Header: Depth=1
                                        ;     Child Loop BB1538_101 Depth 2
	v_and_b32_e32 v3, 0xff, v7
	s_mov_b32 s5, -1
	s_delay_alu instid0(VALU_DEP_1)
	v_cmp_ne_u16_e32 vcc_lo, 2, v3
	s_wait_dscnt 0x0
	v_dual_mov_b32 v3, v5 :: v_dual_mov_b32 v4, v6
                                        ; implicit-def: $vgpr5_vgpr6
	s_cmp_lg_u32 vcc_lo, exec_lo
	s_cbranch_scc1 .LBB1538_97
; %bb.99:                               ;   in Loop: Header=BB1538_98 Depth=1
	v_lshlrev_b64_e32 v[5:6], 4, v[11:12]
	s_mov_b32 s5, exec_lo
	s_delay_alu instid0(VALU_DEP_1) | instskip(SKIP_1) | instid1(VALU_DEP_2)
	v_add_co_u32 v13, vcc_lo, s10, v5
	s_wait_alu 0xfffd
	v_add_co_ci_u32_e64 v14, null, s11, v6, vcc_lo
	;;#ASMSTART
	global_load_b128 v[5:8], v[13:14] off scope:SCOPE_DEV	
s_wait_loadcnt 0x0
	;;#ASMEND
	v_and_b32_e32 v8, 0xff, v7
	s_delay_alu instid0(VALU_DEP_1)
	v_cmpx_eq_u16_e32 0, v8
	s_cbranch_execz .LBB1538_103
; %bb.100:                              ;   in Loop: Header=BB1538_98 Depth=1
	s_mov_b32 s12, 0
.LBB1538_101:                           ;   Parent Loop BB1538_98 Depth=1
                                        ; =>  This Inner Loop Header: Depth=2
	;;#ASMSTART
	global_load_b128 v[5:8], v[13:14] off scope:SCOPE_DEV	
s_wait_loadcnt 0x0
	;;#ASMEND
	v_and_b32_e32 v8, 0xff, v7
	s_delay_alu instid0(VALU_DEP_1)
	v_cmp_ne_u16_e32 vcc_lo, 0, v8
	s_wait_alu 0xfffe
	s_or_b32 s12, vcc_lo, s12
	s_wait_alu 0xfffe
	s_and_not1_b32 exec_lo, exec_lo, s12
	s_cbranch_execnz .LBB1538_101
; %bb.102:                              ;   in Loop: Header=BB1538_98 Depth=1
	s_or_b32 exec_lo, exec_lo, s12
.LBB1538_103:                           ;   in Loop: Header=BB1538_98 Depth=1
	s_wait_alu 0xfffe
	s_or_b32 exec_lo, exec_lo, s5
	v_dual_mov_b32 v13, v5 :: v_dual_and_b32 v8, 0xff, v7
	ds_bpermute_b32 v27, v17, v5
	ds_bpermute_b32 v14, v17, v6
	s_mov_b32 s5, exec_lo
	v_cmp_eq_u16_e32 vcc_lo, 2, v8
	s_wait_alu 0xfffd
	v_and_or_b32 v8, vcc_lo, v18, 0x80000000
	s_delay_alu instid0(VALU_DEP_1) | instskip(NEXT) | instid1(VALU_DEP_1)
	v_ctz_i32_b32_e32 v8, v8
	v_cmpx_lt_u32_e64 v61, v8
	s_cbranch_execz .LBB1538_105
; %bb.104:                              ;   in Loop: Header=BB1538_98 Depth=1
	s_wait_dscnt 0x1
	v_add_co_u32 v13, vcc_lo, v5, v27
	s_wait_alu 0xfffd
	v_add_co_ci_u32_e64 v6, null, 0, v6, vcc_lo
	s_delay_alu instid0(VALU_DEP_2) | instskip(SKIP_2) | instid1(VALU_DEP_2)
	v_add_co_u32 v5, vcc_lo, 0, v13
	s_wait_dscnt 0x0
	s_wait_alu 0xfffd
	v_add_co_ci_u32_e64 v6, null, v14, v6, vcc_lo
.LBB1538_105:                           ;   in Loop: Header=BB1538_98 Depth=1
	s_wait_alu 0xfffe
	s_or_b32 exec_lo, exec_lo, s5
	s_wait_dscnt 0x1
	ds_bpermute_b32 v27, v19, v13
	s_wait_dscnt 0x1
	ds_bpermute_b32 v14, v19, v6
	s_mov_b32 s5, exec_lo
	v_cmpx_le_u32_e64 v20, v8
	s_cbranch_execz .LBB1538_107
; %bb.106:                              ;   in Loop: Header=BB1538_98 Depth=1
	s_wait_dscnt 0x1
	v_add_co_u32 v13, vcc_lo, v5, v27
	s_wait_alu 0xfffd
	v_add_co_ci_u32_e64 v6, null, 0, v6, vcc_lo
	s_delay_alu instid0(VALU_DEP_2) | instskip(SKIP_2) | instid1(VALU_DEP_2)
	v_add_co_u32 v5, vcc_lo, 0, v13
	s_wait_dscnt 0x0
	s_wait_alu 0xfffd
	v_add_co_ci_u32_e64 v6, null, v14, v6, vcc_lo
.LBB1538_107:                           ;   in Loop: Header=BB1538_98 Depth=1
	s_wait_alu 0xfffe
	s_or_b32 exec_lo, exec_lo, s5
	s_wait_dscnt 0x1
	ds_bpermute_b32 v27, v21, v13
	s_wait_dscnt 0x1
	ds_bpermute_b32 v14, v21, v6
	s_mov_b32 s5, exec_lo
	v_cmpx_le_u32_e64 v22, v8
	;; [unrolled: 20-line block ×3, first 2 shown]
	s_cbranch_execz .LBB1538_111
; %bb.110:                              ;   in Loop: Header=BB1538_98 Depth=1
	s_wait_dscnt 0x1
	v_add_co_u32 v13, vcc_lo, v5, v27
	s_wait_alu 0xfffd
	v_add_co_ci_u32_e64 v6, null, 0, v6, vcc_lo
	s_delay_alu instid0(VALU_DEP_2) | instskip(SKIP_2) | instid1(VALU_DEP_2)
	v_add_co_u32 v5, vcc_lo, 0, v13
	s_wait_dscnt 0x0
	s_wait_alu 0xfffd
	v_add_co_ci_u32_e64 v6, null, v14, v6, vcc_lo
.LBB1538_111:                           ;   in Loop: Header=BB1538_98 Depth=1
	s_wait_alu 0xfffe
	s_or_b32 exec_lo, exec_lo, s5
	s_wait_dscnt 0x0
	ds_bpermute_b32 v14, v25, v13
	ds_bpermute_b32 v13, v25, v6
	s_mov_b32 s5, exec_lo
	v_cmpx_le_u32_e64 v26, v8
	s_cbranch_execz .LBB1538_96
; %bb.112:                              ;   in Loop: Header=BB1538_98 Depth=1
	s_wait_dscnt 0x1
	v_add_co_u32 v5, vcc_lo, v5, v14
	s_wait_alu 0xfffd
	v_add_co_ci_u32_e64 v6, null, 0, v6, vcc_lo
	s_delay_alu instid0(VALU_DEP_2) | instskip(SKIP_2) | instid1(VALU_DEP_2)
	v_add_co_u32 v5, vcc_lo, v5, 0
	s_wait_dscnt 0x0
	s_wait_alu 0xfffd
	v_add_co_ci_u32_e64 v6, null, v6, v13, vcc_lo
	s_branch .LBB1538_96
.LBB1538_113:
                                        ; implicit-def: $vgpr39_vgpr40
                                        ; implicit-def: $vgpr1_vgpr2_vgpr3_vgpr4_vgpr5_vgpr6_vgpr7_vgpr8_vgpr9_vgpr10_vgpr11_vgpr12_vgpr13_vgpr14_vgpr15_vgpr16_vgpr17_vgpr18_vgpr19_vgpr20_vgpr21_vgpr22_vgpr23_vgpr24_vgpr25_vgpr26_vgpr27_vgpr28_vgpr29_vgpr30_vgpr31_vgpr32
	s_wait_alu 0xfffe
	s_and_b32 vcc_lo, exec_lo, s3
	s_wait_alu 0xfffe
	s_cbranch_vccnz .LBB1538_119
	s_branch .LBB1538_144
.LBB1538_114:
	s_and_saveexec_b32 s5, s3
	s_cbranch_execz .LBB1538_116
; %bb.115:
	s_add_co_i32 s12, ttmp9, 32
	s_mov_b32 s13, 0
	v_add_co_u32 v5, vcc_lo, v3, v1
	s_wait_alu 0xfffe
	s_lshl_b64 s[12:13], s[12:13], 4
	v_dual_mov_b32 v7, 2 :: v_dual_mov_b32 v8, 0
	s_wait_alu 0xfffe
	s_add_nc_u64 s[12:13], s[10:11], s[12:13]
	s_wait_alu 0xfffd
	v_add_co_ci_u32_e64 v6, null, v4, v2, vcc_lo
	s_wait_alu 0xfffe
	v_dual_mov_b32 v11, s12 :: v_dual_mov_b32 v12, s13
	;;#ASMSTART
	global_store_b128 v[11:12], v[5:8] off scope:SCOPE_DEV	
s_wait_storecnt 0x0
	;;#ASMEND
	ds_store_b128 v8, v[1:4] offset:6144
.LBB1538_116:
	s_wait_alu 0xfffe
	s_or_b32 exec_lo, exec_lo, s5
	v_cmp_eq_u32_e32 vcc_lo, 0, v0
	s_and_b32 exec_lo, exec_lo, vcc_lo
; %bb.117:
	v_mov_b32_e32 v1, 0
	ds_store_b64 v1, v[3:4] offset:56
.LBB1538_118:
	s_wait_alu 0xfffe
	s_or_b32 exec_lo, exec_lo, s4
	s_wait_dscnt 0x0
	v_cndmask_b32_e64 v4, v16, v10, s3
	v_cmp_ne_u32_e32 vcc_lo, 0, v0
	v_mov_b32_e32 v17, 0
	s_wait_loadcnt 0x0
	s_barrier_signal -1
	s_barrier_wait -1
	global_inv scope:SCOPE_SE
	s_wait_alu 0xfffd
	v_cndmask_b32_e32 v4, 0, v4, vcc_lo
	ds_load_b64 v[1:2], v17 offset:56
	v_cndmask_b32_e64 v3, v15, v9, s3
	s_wait_loadcnt_dscnt 0x0
	s_barrier_signal -1
	s_barrier_wait -1
	global_inv scope:SCOPE_SE
	v_cndmask_b32_e32 v3, 0, v3, vcc_lo
	ds_load_b128 v[37:40], v17 offset:6144
	v_add_co_u32 v1, vcc_lo, v1, v3
	s_wait_alu 0xfffd
	v_add_co_ci_u32_e64 v2, null, v2, v4, vcc_lo
	s_delay_alu instid0(VALU_DEP_2) | instskip(SKIP_1) | instid1(VALU_DEP_2)
	v_add_co_u32 v3, vcc_lo, v1, v53
	s_wait_alu 0xfffd
	v_add_co_ci_u32_e64 v4, null, 0, v2, vcc_lo
	s_delay_alu instid0(VALU_DEP_2) | instskip(SKIP_1) | instid1(VALU_DEP_2)
	;; [unrolled: 4-line block ×11, first 2 shown]
	v_add_co_u32 v23, vcc_lo, v21, v55
	s_wait_alu 0xfffd
	v_add_co_ci_u32_e64 v24, null, 0, v22, vcc_lo
	s_branch .LBB1538_144
.LBB1538_119:
	v_dual_mov_b32 v2, 0 :: v_dual_mov_b32 v3, v45
	v_mov_b32_dpp v4, v45 row_shr:1 row_mask:0xf bank_mask:0xf
	s_delay_alu instid0(VALU_DEP_2)
	v_mov_b32_dpp v1, v2 row_shr:1 row_mask:0xf bank_mask:0xf
	s_and_saveexec_b32 s3, s2
; %bb.120:
	s_delay_alu instid0(VALU_DEP_2) | instskip(SKIP_2) | instid1(VALU_DEP_2)
	v_add_co_u32 v3, vcc_lo, v45, v4
	s_wait_alu 0xfffd
	v_add_co_ci_u32_e64 v2, null, 0, v46, vcc_lo
	v_add_co_u32 v45, vcc_lo, 0, v3
	s_wait_alu 0xfffd
	s_delay_alu instid0(VALU_DEP_2) | instskip(NEXT) | instid1(VALU_DEP_1)
	v_add_co_ci_u32_e64 v46, null, v1, v2, vcc_lo
	v_mov_b32_e32 v2, v46
; %bb.121:
	s_wait_alu 0xfffe
	s_or_b32 exec_lo, exec_lo, s3
	v_mov_b32_dpp v1, v3 row_shr:2 row_mask:0xf bank_mask:0xf
	s_delay_alu instid0(VALU_DEP_2)
	v_mov_b32_dpp v4, v2 row_shr:2 row_mask:0xf bank_mask:0xf
	s_mov_b32 s2, exec_lo
	v_cmpx_lt_u32_e32 1, v62
; %bb.122:
	s_delay_alu instid0(VALU_DEP_3) | instskip(SKIP_2) | instid1(VALU_DEP_2)
	v_add_co_u32 v3, vcc_lo, v45, v1
	s_wait_alu 0xfffd
	v_add_co_ci_u32_e64 v2, null, 0, v46, vcc_lo
	v_add_co_u32 v1, vcc_lo, 0, v3
	s_wait_alu 0xfffd
	s_delay_alu instid0(VALU_DEP_2) | instskip(NEXT) | instid1(VALU_DEP_1)
	v_add_co_ci_u32_e64 v2, null, v4, v2, vcc_lo
	v_dual_mov_b32 v46, v2 :: v_dual_mov_b32 v45, v1
; %bb.123:
	s_wait_alu 0xfffe
	s_or_b32 exec_lo, exec_lo, s2
	v_mov_b32_dpp v1, v3 row_shr:4 row_mask:0xf bank_mask:0xf
	v_mov_b32_dpp v4, v2 row_shr:4 row_mask:0xf bank_mask:0xf
	s_mov_b32 s2, exec_lo
	v_cmpx_lt_u32_e32 3, v62
; %bb.124:
	s_delay_alu instid0(VALU_DEP_3) | instskip(SKIP_2) | instid1(VALU_DEP_2)
	v_add_co_u32 v3, vcc_lo, v45, v1
	s_wait_alu 0xfffd
	v_add_co_ci_u32_e64 v2, null, 0, v46, vcc_lo
	v_add_co_u32 v1, vcc_lo, 0, v3
	s_wait_alu 0xfffd
	s_delay_alu instid0(VALU_DEP_2) | instskip(NEXT) | instid1(VALU_DEP_1)
	v_add_co_ci_u32_e64 v2, null, v4, v2, vcc_lo
	v_dual_mov_b32 v46, v2 :: v_dual_mov_b32 v45, v1
; %bb.125:
	s_wait_alu 0xfffe
	s_or_b32 exec_lo, exec_lo, s2
	v_mov_b32_dpp v4, v3 row_shr:8 row_mask:0xf bank_mask:0xf
	v_mov_b32_dpp v1, v2 row_shr:8 row_mask:0xf bank_mask:0xf
	s_mov_b32 s2, exec_lo
	v_cmpx_lt_u32_e32 7, v62
; %bb.126:
	s_delay_alu instid0(VALU_DEP_3) | instskip(SKIP_2) | instid1(VALU_DEP_2)
	v_add_co_u32 v3, vcc_lo, v45, v4
	s_wait_alu 0xfffd
	v_add_co_ci_u32_e64 v2, null, 0, v46, vcc_lo
	v_add_co_u32 v45, vcc_lo, 0, v3
	s_wait_alu 0xfffd
	s_delay_alu instid0(VALU_DEP_2) | instskip(NEXT) | instid1(VALU_DEP_1)
	v_add_co_ci_u32_e64 v46, null, v1, v2, vcc_lo
	v_mov_b32_e32 v2, v46
; %bb.127:
	s_wait_alu 0xfffe
	s_or_b32 exec_lo, exec_lo, s2
	ds_swizzle_b32 v3, v3 offset:swizzle(BROADCAST,32,15)
	ds_swizzle_b32 v1, v2 offset:swizzle(BROADCAST,32,15)
	v_and_b32_e32 v2, 16, v61
	s_mov_b32 s2, exec_lo
	s_delay_alu instid0(VALU_DEP_1)
	v_cmpx_ne_u32_e32 0, v2
	s_cbranch_execz .LBB1538_129
; %bb.128:
	s_wait_dscnt 0x1
	v_add_co_u32 v2, vcc_lo, v45, v3
	s_wait_alu 0xfffd
	v_add_co_ci_u32_e64 v3, null, 0, v46, vcc_lo
	s_delay_alu instid0(VALU_DEP_2) | instskip(SKIP_2) | instid1(VALU_DEP_2)
	v_add_co_u32 v45, vcc_lo, v2, 0
	s_wait_dscnt 0x0
	s_wait_alu 0xfffd
	v_add_co_ci_u32_e64 v46, null, v3, v1, vcc_lo
.LBB1538_129:
	s_wait_alu 0xfffe
	s_or_b32 exec_lo, exec_lo, s2
	s_wait_dscnt 0x0
	v_or_b32_e32 v1, 31, v0
	v_lshrrev_b32_e32 v3, 5, v0
	s_mov_b32 s2, exec_lo
	s_delay_alu instid0(VALU_DEP_2)
	v_cmpx_eq_u32_e64 v0, v1
; %bb.130:
	s_delay_alu instid0(VALU_DEP_2)
	v_lshlrev_b32_e32 v1, 3, v3
	ds_store_b64 v1, v[45:46]
; %bb.131:
	s_wait_alu 0xfffe
	s_or_b32 exec_lo, exec_lo, s2
	s_delay_alu instid0(SALU_CYCLE_1)
	s_mov_b32 s2, exec_lo
	s_wait_loadcnt_dscnt 0x0
	s_barrier_signal -1
	s_barrier_wait -1
	global_inv scope:SCOPE_SE
	v_cmpx_gt_u32_e32 8, v0
	s_cbranch_execz .LBB1538_139
; %bb.132:
	v_lshlrev_b32_e32 v4, 2, v0
	s_mov_b32 s3, exec_lo
	s_delay_alu instid0(VALU_DEP_1)
	v_sub_nc_u32_e32 v1, v51, v4
	ds_load_b64 v[1:2], v1
	s_wait_dscnt 0x0
	v_dual_mov_b32 v6, v1 :: v_dual_and_b32 v5, 7, v61
	v_mov_b32_dpp v8, v1 row_shr:1 row_mask:0xf bank_mask:0xf
	v_mov_b32_dpp v7, v2 row_shr:1 row_mask:0xf bank_mask:0xf
	s_delay_alu instid0(VALU_DEP_3)
	v_cmpx_ne_u32_e32 0, v5
; %bb.133:
	s_delay_alu instid0(VALU_DEP_3) | instskip(SKIP_2) | instid1(VALU_DEP_2)
	v_add_co_u32 v6, vcc_lo, v1, v8
	s_wait_alu 0xfffd
	v_add_co_ci_u32_e64 v2, null, 0, v2, vcc_lo
	v_add_co_u32 v1, vcc_lo, 0, v6
	s_wait_alu 0xfffd
	s_delay_alu instid0(VALU_DEP_2)
	v_add_co_ci_u32_e64 v2, null, v7, v2, vcc_lo
; %bb.134:
	s_wait_alu 0xfffe
	s_or_b32 exec_lo, exec_lo, s3
	v_mov_b32_dpp v8, v6 row_shr:2 row_mask:0xf bank_mask:0xf
	s_delay_alu instid0(VALU_DEP_2)
	v_mov_b32_dpp v7, v2 row_shr:2 row_mask:0xf bank_mask:0xf
	s_mov_b32 s3, exec_lo
	v_cmpx_lt_u32_e32 1, v5
; %bb.135:
	s_delay_alu instid0(VALU_DEP_3) | instskip(SKIP_2) | instid1(VALU_DEP_2)
	v_add_co_u32 v6, vcc_lo, v1, v8
	s_wait_alu 0xfffd
	v_add_co_ci_u32_e64 v2, null, 0, v2, vcc_lo
	v_add_co_u32 v1, vcc_lo, 0, v6
	s_wait_alu 0xfffd
	s_delay_alu instid0(VALU_DEP_2)
	v_add_co_ci_u32_e64 v2, null, v7, v2, vcc_lo
; %bb.136:
	s_wait_alu 0xfffe
	s_or_b32 exec_lo, exec_lo, s3
	v_sub_nc_u32_e32 v4, 0, v4
	v_mov_b32_dpp v7, v6 row_shr:4 row_mask:0xf bank_mask:0xf
	v_mov_b32_dpp v6, v2 row_shr:4 row_mask:0xf bank_mask:0xf
	s_mov_b32 s3, exec_lo
	v_cmpx_lt_u32_e32 3, v5
; %bb.137:
	s_delay_alu instid0(VALU_DEP_3) | instskip(SKIP_2) | instid1(VALU_DEP_2)
	v_add_co_u32 v1, vcc_lo, v1, v7
	s_wait_alu 0xfffd
	v_add_co_ci_u32_e64 v2, null, 0, v2, vcc_lo
	v_add_co_u32 v1, vcc_lo, v1, 0
	s_wait_alu 0xfffd
	s_delay_alu instid0(VALU_DEP_2)
	v_add_co_ci_u32_e64 v2, null, v2, v6, vcc_lo
; %bb.138:
	s_wait_alu 0xfffe
	s_or_b32 exec_lo, exec_lo, s3
	v_add_nc_u32_e32 v4, v51, v4
	ds_store_b64 v4, v[1:2]
.LBB1538_139:
	s_wait_alu 0xfffe
	s_or_b32 exec_lo, exec_lo, s2
	v_mov_b32_e32 v1, 0
	v_mov_b32_e32 v2, 0
	s_mov_b32 s2, exec_lo
	s_wait_loadcnt_dscnt 0x0
	s_barrier_signal -1
	s_barrier_wait -1
	global_inv scope:SCOPE_SE
	v_cmpx_lt_u32_e32 31, v0
; %bb.140:
	v_lshl_add_u32 v1, v3, 3, -8
	ds_load_b64 v[1:2], v1
; %bb.141:
	s_wait_alu 0xfffe
	s_or_b32 exec_lo, exec_lo, s2
	v_sub_co_u32 v3, vcc_lo, v61, 1
	v_mov_b32_e32 v40, 0
	s_delay_alu instid0(VALU_DEP_2) | instskip(SKIP_3) | instid1(VALU_DEP_1)
	v_cmp_gt_i32_e64 s2, 0, v3
	ds_load_b64 v[37:38], v40 offset:56
	s_wait_alu 0xf1ff
	v_cndmask_b32_e64 v3, v3, v61, s2
	v_lshlrev_b32_e32 v4, 2, v3
	s_wait_dscnt 0x1
	v_add_co_u32 v3, s2, v1, v45
	s_wait_alu 0xf1ff
	v_add_co_ci_u32_e64 v5, null, v2, v46, s2
	v_cmp_eq_u32_e64 s2, 0, v0
	ds_bpermute_b32 v3, v4, v3
	ds_bpermute_b32 v4, v4, v5
	s_and_saveexec_b32 s3, s2
	s_cbranch_execz .LBB1538_143
; %bb.142:
	s_wait_kmcnt 0x0
	s_add_nc_u64 s[4:5], s[10:11], 0x200
	s_delay_alu instid0(SALU_CYCLE_1)
	v_dual_mov_b32 v39, 2 :: v_dual_mov_b32 v6, s5
	v_mov_b32_e32 v5, s4
	s_wait_dscnt 0x2
	;;#ASMSTART
	global_store_b128 v[5:6], v[37:40] off scope:SCOPE_DEV	
s_wait_storecnt 0x0
	;;#ASMEND
.LBB1538_143:
	s_wait_alu 0xfffe
	s_or_b32 exec_lo, exec_lo, s3
	s_wait_dscnt 0x0
	s_wait_alu 0xfffd
	v_dual_cndmask_b32 v1, v3, v1 :: v_dual_cndmask_b32 v2, v4, v2
	v_mov_b32_e32 v39, 0
	v_mov_b32_e32 v40, 0
	s_wait_loadcnt 0x0
	s_delay_alu instid0(VALU_DEP_3)
	v_cndmask_b32_e64 v1, v1, 0, s2
	v_cndmask_b32_e64 v2, v2, 0, s2
	s_barrier_signal -1
	s_barrier_wait -1
	global_inv scope:SCOPE_SE
	v_add_co_u32 v3, vcc_lo, v1, v53
	s_wait_alu 0xfffd
	v_add_co_ci_u32_e64 v4, null, 0, v2, vcc_lo
	s_delay_alu instid0(VALU_DEP_2) | instskip(SKIP_1) | instid1(VALU_DEP_2)
	v_add_co_u32 v5, vcc_lo, v3, v54
	s_wait_alu 0xfffd
	v_add_co_ci_u32_e64 v6, null, 0, v4, vcc_lo
	s_delay_alu instid0(VALU_DEP_2) | instskip(SKIP_1) | instid1(VALU_DEP_2)
	;; [unrolled: 4-line block ×10, first 2 shown]
	v_add_co_u32 v23, vcc_lo, v21, v55
	s_wait_alu 0xfffd
	v_add_co_ci_u32_e64 v24, null, 0, v22, vcc_lo
.LBB1538_144:
	s_load_b64 s[2:3], s[0:1], 0x30
	v_lshrrev_b32_e32 v54, 8, v43
	v_lshrrev_b32_e32 v52, 16, v43
	v_and_b32_e32 v43, 1, v43
	s_wait_dscnt 0x0
	v_cmp_gt_u64_e32 vcc_lo, 0x101, v[37:38]
	v_lshrrev_b32_e32 v45, 8, v44
	v_lshrrev_b32_e32 v32, 16, v44
	;; [unrolled: 1-line block ×10, first 2 shown]
	v_cmp_eq_u32_e64 s0, 1, v43
	s_mov_b32 s1, -1
	s_cbranch_vccnz .LBB1538_148
; %bb.145:
	s_wait_alu 0xfffe
	s_and_b32 vcc_lo, exec_lo, s1
	s_wait_alu 0xfffe
	s_cbranch_vccnz .LBB1538_173
.LBB1538_146:
	v_cmp_eq_u32_e32 vcc_lo, 0, v0
	s_and_b32 s0, vcc_lo, s16
	s_wait_alu 0xfffe
	s_and_saveexec_b32 s1, s0
	s_cbranch_execnz .LBB1538_200
.LBB1538_147:
	s_endpgm
.LBB1538_148:
	v_add_co_u32 v25, vcc_lo, v39, v37
	s_wait_alu 0xfffd
	v_add_co_ci_u32_e64 v26, null, v40, v38, vcc_lo
	s_lshl_b64 s[4:5], s[6:7], 1
	s_wait_kmcnt 0x0
	s_wait_alu 0xfffe
	s_add_nc_u64 s[4:5], s[2:3], s[4:5]
	v_cmp_lt_u64_e32 vcc_lo, v[1:2], v[25:26]
	s_or_b32 s1, s17, vcc_lo
	s_wait_alu 0xfffe
	s_and_b32 s1, s1, s0
	s_wait_alu 0xfffe
	s_and_saveexec_b32 s0, s1
	s_cbranch_execz .LBB1538_150
; %bb.149:
	v_lshlrev_b64_e32 v[55:56], 1, v[1:2]
	s_delay_alu instid0(VALU_DEP_1) | instskip(SKIP_1) | instid1(VALU_DEP_2)
	v_add_co_u32 v55, vcc_lo, s4, v55
	s_wait_alu 0xfffd
	v_add_co_ci_u32_e64 v56, null, s5, v56, vcc_lo
	global_store_b16 v[55:56], v33, off
.LBB1538_150:
	s_wait_alu 0xfffe
	s_or_b32 exec_lo, exec_lo, s0
	v_and_b32_e32 v2, 1, v54
	v_cmp_lt_u64_e32 vcc_lo, v[3:4], v[25:26]
	s_delay_alu instid0(VALU_DEP_2)
	v_cmp_eq_u32_e64 s0, 1, v2
	s_or_b32 s1, s17, vcc_lo
	s_wait_alu 0xfffe
	s_and_b32 s1, s1, s0
	s_wait_alu 0xfffe
	s_and_saveexec_b32 s0, s1
	s_cbranch_execz .LBB1538_152
; %bb.151:
	v_lshlrev_b64_e32 v[55:56], 1, v[3:4]
	s_delay_alu instid0(VALU_DEP_1) | instskip(SKIP_1) | instid1(VALU_DEP_2)
	v_add_co_u32 v55, vcc_lo, s4, v55
	s_wait_alu 0xfffd
	v_add_co_ci_u32_e64 v56, null, s5, v56, vcc_lo
	global_store_b16 v[55:56], v53, off
.LBB1538_152:
	s_wait_alu 0xfffe
	s_or_b32 exec_lo, exec_lo, s0
	v_and_b32_e32 v2, 1, v52
	v_cmp_lt_u64_e32 vcc_lo, v[5:6], v[25:26]
	s_delay_alu instid0(VALU_DEP_2)
	v_cmp_eq_u32_e64 s0, 1, v2
	;; [unrolled: 20-line block ×11, first 2 shown]
	s_or_b32 s1, s17, vcc_lo
	s_wait_alu 0xfffe
	s_and_b32 s1, s1, s0
	s_wait_alu 0xfffe
	s_and_saveexec_b32 s0, s1
	s_cbranch_execz .LBB1538_172
; %bb.171:
	v_lshlrev_b64_e32 v[24:25], 1, v[23:24]
	s_delay_alu instid0(VALU_DEP_1) | instskip(SKIP_1) | instid1(VALU_DEP_2)
	v_add_co_u32 v24, vcc_lo, s4, v24
	s_wait_alu 0xfffd
	v_add_co_ci_u32_e64 v25, null, s5, v25, vcc_lo
	global_store_b16 v[24:25], v27, off
.LBB1538_172:
	s_wait_alu 0xfffe
	s_or_b32 exec_lo, exec_lo, s0
	s_branch .LBB1538_146
.LBB1538_173:
	s_mov_b32 s0, exec_lo
	v_cmpx_eq_u32_e32 1, v43
; %bb.174:
	v_sub_nc_u32_e32 v1, v1, v39
	s_delay_alu instid0(VALU_DEP_1)
	v_lshlrev_b32_e32 v1, 1, v1
	ds_store_b16 v1, v33
; %bb.175:
	s_wait_alu 0xfffe
	s_or_b32 exec_lo, exec_lo, s0
	v_and_b32_e32 v1, 1, v54
	s_mov_b32 s0, exec_lo
	s_delay_alu instid0(VALU_DEP_1)
	v_cmpx_eq_u32_e32 1, v1
; %bb.176:
	v_sub_nc_u32_e32 v1, v3, v39
	s_delay_alu instid0(VALU_DEP_1)
	v_lshlrev_b32_e32 v1, 1, v1
	ds_store_b16 v1, v53
; %bb.177:
	s_wait_alu 0xfffe
	s_or_b32 exec_lo, exec_lo, s0
	v_and_b32_e32 v1, 1, v52
	s_mov_b32 s0, exec_lo
	s_delay_alu instid0(VALU_DEP_1)
	;; [unrolled: 12-line block ×11, first 2 shown]
	v_cmpx_eq_u32_e32 1, v1
; %bb.196:
	v_sub_nc_u32_e32 v1, v23, v39
	s_delay_alu instid0(VALU_DEP_1)
	v_lshlrev_b32_e32 v1, 1, v1
	ds_store_b16 v1, v27
; %bb.197:
	s_wait_alu 0xfffe
	s_or_b32 exec_lo, exec_lo, s0
	v_mov_b32_e32 v3, 0
	v_lshlrev_b64_e32 v[4:5], 1, v[39:40]
	s_lshl_b64 s[0:1], s[6:7], 1
	v_or_b32_e32 v2, 0x100, v0
	s_wait_kmcnt 0x0
	s_wait_alu 0xfffe
	s_add_nc_u64 s[0:1], s[2:3], s[0:1]
	v_mov_b32_e32 v1, v3
	s_wait_storecnt 0x0
	s_wait_loadcnt_dscnt 0x0
	s_wait_alu 0xfffe
	v_add_co_u32 v6, vcc_lo, s0, v4
	s_wait_alu 0xfffd
	v_add_co_ci_u32_e64 v7, null, s1, v5, vcc_lo
	v_dual_mov_b32 v5, v1 :: v_dual_mov_b32 v4, v0
	s_mov_b32 s1, 0
	s_barrier_signal -1
	s_barrier_wait -1
	global_inv scope:SCOPE_SE
.LBB1538_198:                           ; =>This Inner Loop Header: Depth=1
	v_lshlrev_b32_e32 v1, 1, v4
	v_lshlrev_b64_e32 v[8:9], 1, v[4:5]
	v_dual_mov_b32 v5, v3 :: v_dual_mov_b32 v4, v2
	v_cmp_le_u64_e32 vcc_lo, v[37:38], v[2:3]
	ds_load_u16 v1, v1
	v_add_nc_u32_e32 v2, 0x100, v2
	v_add_co_u32 v8, s0, v6, v8
	s_wait_alu 0xf1ff
	v_add_co_ci_u32_e64 v9, null, v7, v9, s0
	s_wait_alu 0xfffe
	s_or_b32 s1, vcc_lo, s1
	s_wait_dscnt 0x0
	global_store_b16 v[8:9], v1, off
	s_wait_alu 0xfffe
	s_and_not1_b32 exec_lo, exec_lo, s1
	s_cbranch_execnz .LBB1538_198
; %bb.199:
	s_or_b32 exec_lo, exec_lo, s1
	v_cmp_eq_u32_e32 vcc_lo, 0, v0
	s_and_b32 s0, vcc_lo, s16
	s_wait_alu 0xfffe
	s_and_saveexec_b32 s1, s0
	s_cbranch_execz .LBB1538_147
.LBB1538_200:
	v_add_co_u32 v0, vcc_lo, v39, v37
	s_wait_alu 0xfffd
	v_add_co_ci_u32_e64 v1, null, v40, v38, vcc_lo
	v_mov_b32_e32 v2, 0
	s_delay_alu instid0(VALU_DEP_3) | instskip(SKIP_1) | instid1(VALU_DEP_3)
	v_add_co_u32 v0, vcc_lo, v0, s6
	s_wait_alu 0xfffd
	v_add_co_ci_u32_e64 v1, null, s7, v1, vcc_lo
	global_store_b64 v2, v[0:1], s[8:9]
	s_endpgm
	.section	.rodata,"a",@progbits
	.p2align	6, 0x0
	.amdhsa_kernel _ZN7rocprim17ROCPRIM_400000_NS6detail17trampoline_kernelINS0_14default_configENS1_25partition_config_selectorILNS1_17partition_subalgoE5EsNS0_10empty_typeEbEEZZNS1_14partition_implILS5_5ELb0ES3_mN6thrust23THRUST_200600_302600_NS6detail15normal_iteratorINSA_10device_ptrIsEEEEPS6_NSA_18transform_iteratorINSB_9not_fun_tI7is_trueIsEEESF_NSA_11use_defaultESM_EENS0_5tupleIJSF_S6_EEENSO_IJSG_SG_EEES6_PlJS6_EEE10hipError_tPvRmT3_T4_T5_T6_T7_T9_mT8_P12ihipStream_tbDpT10_ENKUlT_T0_E_clISt17integral_constantIbLb0EES1B_EEDaS16_S17_EUlS16_E_NS1_11comp_targetILNS1_3genE10ELNS1_11target_archE1200ELNS1_3gpuE4ELNS1_3repE0EEENS1_30default_config_static_selectorELNS0_4arch9wavefront6targetE0EEEvT1_
		.amdhsa_group_segment_fixed_size 6160
		.amdhsa_private_segment_fixed_size 0
		.amdhsa_kernarg_size 120
		.amdhsa_user_sgpr_count 2
		.amdhsa_user_sgpr_dispatch_ptr 0
		.amdhsa_user_sgpr_queue_ptr 0
		.amdhsa_user_sgpr_kernarg_segment_ptr 1
		.amdhsa_user_sgpr_dispatch_id 0
		.amdhsa_user_sgpr_private_segment_size 0
		.amdhsa_wavefront_size32 1
		.amdhsa_uses_dynamic_stack 0
		.amdhsa_enable_private_segment 0
		.amdhsa_system_sgpr_workgroup_id_x 1
		.amdhsa_system_sgpr_workgroup_id_y 0
		.amdhsa_system_sgpr_workgroup_id_z 0
		.amdhsa_system_sgpr_workgroup_info 0
		.amdhsa_system_vgpr_workitem_id 0
		.amdhsa_next_free_vgpr 63
		.amdhsa_next_free_sgpr 22
		.amdhsa_reserve_vcc 1
		.amdhsa_float_round_mode_32 0
		.amdhsa_float_round_mode_16_64 0
		.amdhsa_float_denorm_mode_32 3
		.amdhsa_float_denorm_mode_16_64 3
		.amdhsa_fp16_overflow 0
		.amdhsa_workgroup_processor_mode 1
		.amdhsa_memory_ordered 1
		.amdhsa_forward_progress 1
		.amdhsa_inst_pref_size 82
		.amdhsa_round_robin_scheduling 0
		.amdhsa_exception_fp_ieee_invalid_op 0
		.amdhsa_exception_fp_denorm_src 0
		.amdhsa_exception_fp_ieee_div_zero 0
		.amdhsa_exception_fp_ieee_overflow 0
		.amdhsa_exception_fp_ieee_underflow 0
		.amdhsa_exception_fp_ieee_inexact 0
		.amdhsa_exception_int_div_zero 0
	.end_amdhsa_kernel
	.section	.text._ZN7rocprim17ROCPRIM_400000_NS6detail17trampoline_kernelINS0_14default_configENS1_25partition_config_selectorILNS1_17partition_subalgoE5EsNS0_10empty_typeEbEEZZNS1_14partition_implILS5_5ELb0ES3_mN6thrust23THRUST_200600_302600_NS6detail15normal_iteratorINSA_10device_ptrIsEEEEPS6_NSA_18transform_iteratorINSB_9not_fun_tI7is_trueIsEEESF_NSA_11use_defaultESM_EENS0_5tupleIJSF_S6_EEENSO_IJSG_SG_EEES6_PlJS6_EEE10hipError_tPvRmT3_T4_T5_T6_T7_T9_mT8_P12ihipStream_tbDpT10_ENKUlT_T0_E_clISt17integral_constantIbLb0EES1B_EEDaS16_S17_EUlS16_E_NS1_11comp_targetILNS1_3genE10ELNS1_11target_archE1200ELNS1_3gpuE4ELNS1_3repE0EEENS1_30default_config_static_selectorELNS0_4arch9wavefront6targetE0EEEvT1_,"axG",@progbits,_ZN7rocprim17ROCPRIM_400000_NS6detail17trampoline_kernelINS0_14default_configENS1_25partition_config_selectorILNS1_17partition_subalgoE5EsNS0_10empty_typeEbEEZZNS1_14partition_implILS5_5ELb0ES3_mN6thrust23THRUST_200600_302600_NS6detail15normal_iteratorINSA_10device_ptrIsEEEEPS6_NSA_18transform_iteratorINSB_9not_fun_tI7is_trueIsEEESF_NSA_11use_defaultESM_EENS0_5tupleIJSF_S6_EEENSO_IJSG_SG_EEES6_PlJS6_EEE10hipError_tPvRmT3_T4_T5_T6_T7_T9_mT8_P12ihipStream_tbDpT10_ENKUlT_T0_E_clISt17integral_constantIbLb0EES1B_EEDaS16_S17_EUlS16_E_NS1_11comp_targetILNS1_3genE10ELNS1_11target_archE1200ELNS1_3gpuE4ELNS1_3repE0EEENS1_30default_config_static_selectorELNS0_4arch9wavefront6targetE0EEEvT1_,comdat
.Lfunc_end1538:
	.size	_ZN7rocprim17ROCPRIM_400000_NS6detail17trampoline_kernelINS0_14default_configENS1_25partition_config_selectorILNS1_17partition_subalgoE5EsNS0_10empty_typeEbEEZZNS1_14partition_implILS5_5ELb0ES3_mN6thrust23THRUST_200600_302600_NS6detail15normal_iteratorINSA_10device_ptrIsEEEEPS6_NSA_18transform_iteratorINSB_9not_fun_tI7is_trueIsEEESF_NSA_11use_defaultESM_EENS0_5tupleIJSF_S6_EEENSO_IJSG_SG_EEES6_PlJS6_EEE10hipError_tPvRmT3_T4_T5_T6_T7_T9_mT8_P12ihipStream_tbDpT10_ENKUlT_T0_E_clISt17integral_constantIbLb0EES1B_EEDaS16_S17_EUlS16_E_NS1_11comp_targetILNS1_3genE10ELNS1_11target_archE1200ELNS1_3gpuE4ELNS1_3repE0EEENS1_30default_config_static_selectorELNS0_4arch9wavefront6targetE0EEEvT1_, .Lfunc_end1538-_ZN7rocprim17ROCPRIM_400000_NS6detail17trampoline_kernelINS0_14default_configENS1_25partition_config_selectorILNS1_17partition_subalgoE5EsNS0_10empty_typeEbEEZZNS1_14partition_implILS5_5ELb0ES3_mN6thrust23THRUST_200600_302600_NS6detail15normal_iteratorINSA_10device_ptrIsEEEEPS6_NSA_18transform_iteratorINSB_9not_fun_tI7is_trueIsEEESF_NSA_11use_defaultESM_EENS0_5tupleIJSF_S6_EEENSO_IJSG_SG_EEES6_PlJS6_EEE10hipError_tPvRmT3_T4_T5_T6_T7_T9_mT8_P12ihipStream_tbDpT10_ENKUlT_T0_E_clISt17integral_constantIbLb0EES1B_EEDaS16_S17_EUlS16_E_NS1_11comp_targetILNS1_3genE10ELNS1_11target_archE1200ELNS1_3gpuE4ELNS1_3repE0EEENS1_30default_config_static_selectorELNS0_4arch9wavefront6targetE0EEEvT1_
                                        ; -- End function
	.set _ZN7rocprim17ROCPRIM_400000_NS6detail17trampoline_kernelINS0_14default_configENS1_25partition_config_selectorILNS1_17partition_subalgoE5EsNS0_10empty_typeEbEEZZNS1_14partition_implILS5_5ELb0ES3_mN6thrust23THRUST_200600_302600_NS6detail15normal_iteratorINSA_10device_ptrIsEEEEPS6_NSA_18transform_iteratorINSB_9not_fun_tI7is_trueIsEEESF_NSA_11use_defaultESM_EENS0_5tupleIJSF_S6_EEENSO_IJSG_SG_EEES6_PlJS6_EEE10hipError_tPvRmT3_T4_T5_T6_T7_T9_mT8_P12ihipStream_tbDpT10_ENKUlT_T0_E_clISt17integral_constantIbLb0EES1B_EEDaS16_S17_EUlS16_E_NS1_11comp_targetILNS1_3genE10ELNS1_11target_archE1200ELNS1_3gpuE4ELNS1_3repE0EEENS1_30default_config_static_selectorELNS0_4arch9wavefront6targetE0EEEvT1_.num_vgpr, 63
	.set _ZN7rocprim17ROCPRIM_400000_NS6detail17trampoline_kernelINS0_14default_configENS1_25partition_config_selectorILNS1_17partition_subalgoE5EsNS0_10empty_typeEbEEZZNS1_14partition_implILS5_5ELb0ES3_mN6thrust23THRUST_200600_302600_NS6detail15normal_iteratorINSA_10device_ptrIsEEEEPS6_NSA_18transform_iteratorINSB_9not_fun_tI7is_trueIsEEESF_NSA_11use_defaultESM_EENS0_5tupleIJSF_S6_EEENSO_IJSG_SG_EEES6_PlJS6_EEE10hipError_tPvRmT3_T4_T5_T6_T7_T9_mT8_P12ihipStream_tbDpT10_ENKUlT_T0_E_clISt17integral_constantIbLb0EES1B_EEDaS16_S17_EUlS16_E_NS1_11comp_targetILNS1_3genE10ELNS1_11target_archE1200ELNS1_3gpuE4ELNS1_3repE0EEENS1_30default_config_static_selectorELNS0_4arch9wavefront6targetE0EEEvT1_.num_agpr, 0
	.set _ZN7rocprim17ROCPRIM_400000_NS6detail17trampoline_kernelINS0_14default_configENS1_25partition_config_selectorILNS1_17partition_subalgoE5EsNS0_10empty_typeEbEEZZNS1_14partition_implILS5_5ELb0ES3_mN6thrust23THRUST_200600_302600_NS6detail15normal_iteratorINSA_10device_ptrIsEEEEPS6_NSA_18transform_iteratorINSB_9not_fun_tI7is_trueIsEEESF_NSA_11use_defaultESM_EENS0_5tupleIJSF_S6_EEENSO_IJSG_SG_EEES6_PlJS6_EEE10hipError_tPvRmT3_T4_T5_T6_T7_T9_mT8_P12ihipStream_tbDpT10_ENKUlT_T0_E_clISt17integral_constantIbLb0EES1B_EEDaS16_S17_EUlS16_E_NS1_11comp_targetILNS1_3genE10ELNS1_11target_archE1200ELNS1_3gpuE4ELNS1_3repE0EEENS1_30default_config_static_selectorELNS0_4arch9wavefront6targetE0EEEvT1_.numbered_sgpr, 22
	.set _ZN7rocprim17ROCPRIM_400000_NS6detail17trampoline_kernelINS0_14default_configENS1_25partition_config_selectorILNS1_17partition_subalgoE5EsNS0_10empty_typeEbEEZZNS1_14partition_implILS5_5ELb0ES3_mN6thrust23THRUST_200600_302600_NS6detail15normal_iteratorINSA_10device_ptrIsEEEEPS6_NSA_18transform_iteratorINSB_9not_fun_tI7is_trueIsEEESF_NSA_11use_defaultESM_EENS0_5tupleIJSF_S6_EEENSO_IJSG_SG_EEES6_PlJS6_EEE10hipError_tPvRmT3_T4_T5_T6_T7_T9_mT8_P12ihipStream_tbDpT10_ENKUlT_T0_E_clISt17integral_constantIbLb0EES1B_EEDaS16_S17_EUlS16_E_NS1_11comp_targetILNS1_3genE10ELNS1_11target_archE1200ELNS1_3gpuE4ELNS1_3repE0EEENS1_30default_config_static_selectorELNS0_4arch9wavefront6targetE0EEEvT1_.num_named_barrier, 0
	.set _ZN7rocprim17ROCPRIM_400000_NS6detail17trampoline_kernelINS0_14default_configENS1_25partition_config_selectorILNS1_17partition_subalgoE5EsNS0_10empty_typeEbEEZZNS1_14partition_implILS5_5ELb0ES3_mN6thrust23THRUST_200600_302600_NS6detail15normal_iteratorINSA_10device_ptrIsEEEEPS6_NSA_18transform_iteratorINSB_9not_fun_tI7is_trueIsEEESF_NSA_11use_defaultESM_EENS0_5tupleIJSF_S6_EEENSO_IJSG_SG_EEES6_PlJS6_EEE10hipError_tPvRmT3_T4_T5_T6_T7_T9_mT8_P12ihipStream_tbDpT10_ENKUlT_T0_E_clISt17integral_constantIbLb0EES1B_EEDaS16_S17_EUlS16_E_NS1_11comp_targetILNS1_3genE10ELNS1_11target_archE1200ELNS1_3gpuE4ELNS1_3repE0EEENS1_30default_config_static_selectorELNS0_4arch9wavefront6targetE0EEEvT1_.private_seg_size, 0
	.set _ZN7rocprim17ROCPRIM_400000_NS6detail17trampoline_kernelINS0_14default_configENS1_25partition_config_selectorILNS1_17partition_subalgoE5EsNS0_10empty_typeEbEEZZNS1_14partition_implILS5_5ELb0ES3_mN6thrust23THRUST_200600_302600_NS6detail15normal_iteratorINSA_10device_ptrIsEEEEPS6_NSA_18transform_iteratorINSB_9not_fun_tI7is_trueIsEEESF_NSA_11use_defaultESM_EENS0_5tupleIJSF_S6_EEENSO_IJSG_SG_EEES6_PlJS6_EEE10hipError_tPvRmT3_T4_T5_T6_T7_T9_mT8_P12ihipStream_tbDpT10_ENKUlT_T0_E_clISt17integral_constantIbLb0EES1B_EEDaS16_S17_EUlS16_E_NS1_11comp_targetILNS1_3genE10ELNS1_11target_archE1200ELNS1_3gpuE4ELNS1_3repE0EEENS1_30default_config_static_selectorELNS0_4arch9wavefront6targetE0EEEvT1_.uses_vcc, 1
	.set _ZN7rocprim17ROCPRIM_400000_NS6detail17trampoline_kernelINS0_14default_configENS1_25partition_config_selectorILNS1_17partition_subalgoE5EsNS0_10empty_typeEbEEZZNS1_14partition_implILS5_5ELb0ES3_mN6thrust23THRUST_200600_302600_NS6detail15normal_iteratorINSA_10device_ptrIsEEEEPS6_NSA_18transform_iteratorINSB_9not_fun_tI7is_trueIsEEESF_NSA_11use_defaultESM_EENS0_5tupleIJSF_S6_EEENSO_IJSG_SG_EEES6_PlJS6_EEE10hipError_tPvRmT3_T4_T5_T6_T7_T9_mT8_P12ihipStream_tbDpT10_ENKUlT_T0_E_clISt17integral_constantIbLb0EES1B_EEDaS16_S17_EUlS16_E_NS1_11comp_targetILNS1_3genE10ELNS1_11target_archE1200ELNS1_3gpuE4ELNS1_3repE0EEENS1_30default_config_static_selectorELNS0_4arch9wavefront6targetE0EEEvT1_.uses_flat_scratch, 1
	.set _ZN7rocprim17ROCPRIM_400000_NS6detail17trampoline_kernelINS0_14default_configENS1_25partition_config_selectorILNS1_17partition_subalgoE5EsNS0_10empty_typeEbEEZZNS1_14partition_implILS5_5ELb0ES3_mN6thrust23THRUST_200600_302600_NS6detail15normal_iteratorINSA_10device_ptrIsEEEEPS6_NSA_18transform_iteratorINSB_9not_fun_tI7is_trueIsEEESF_NSA_11use_defaultESM_EENS0_5tupleIJSF_S6_EEENSO_IJSG_SG_EEES6_PlJS6_EEE10hipError_tPvRmT3_T4_T5_T6_T7_T9_mT8_P12ihipStream_tbDpT10_ENKUlT_T0_E_clISt17integral_constantIbLb0EES1B_EEDaS16_S17_EUlS16_E_NS1_11comp_targetILNS1_3genE10ELNS1_11target_archE1200ELNS1_3gpuE4ELNS1_3repE0EEENS1_30default_config_static_selectorELNS0_4arch9wavefront6targetE0EEEvT1_.has_dyn_sized_stack, 0
	.set _ZN7rocprim17ROCPRIM_400000_NS6detail17trampoline_kernelINS0_14default_configENS1_25partition_config_selectorILNS1_17partition_subalgoE5EsNS0_10empty_typeEbEEZZNS1_14partition_implILS5_5ELb0ES3_mN6thrust23THRUST_200600_302600_NS6detail15normal_iteratorINSA_10device_ptrIsEEEEPS6_NSA_18transform_iteratorINSB_9not_fun_tI7is_trueIsEEESF_NSA_11use_defaultESM_EENS0_5tupleIJSF_S6_EEENSO_IJSG_SG_EEES6_PlJS6_EEE10hipError_tPvRmT3_T4_T5_T6_T7_T9_mT8_P12ihipStream_tbDpT10_ENKUlT_T0_E_clISt17integral_constantIbLb0EES1B_EEDaS16_S17_EUlS16_E_NS1_11comp_targetILNS1_3genE10ELNS1_11target_archE1200ELNS1_3gpuE4ELNS1_3repE0EEENS1_30default_config_static_selectorELNS0_4arch9wavefront6targetE0EEEvT1_.has_recursion, 0
	.set _ZN7rocprim17ROCPRIM_400000_NS6detail17trampoline_kernelINS0_14default_configENS1_25partition_config_selectorILNS1_17partition_subalgoE5EsNS0_10empty_typeEbEEZZNS1_14partition_implILS5_5ELb0ES3_mN6thrust23THRUST_200600_302600_NS6detail15normal_iteratorINSA_10device_ptrIsEEEEPS6_NSA_18transform_iteratorINSB_9not_fun_tI7is_trueIsEEESF_NSA_11use_defaultESM_EENS0_5tupleIJSF_S6_EEENSO_IJSG_SG_EEES6_PlJS6_EEE10hipError_tPvRmT3_T4_T5_T6_T7_T9_mT8_P12ihipStream_tbDpT10_ENKUlT_T0_E_clISt17integral_constantIbLb0EES1B_EEDaS16_S17_EUlS16_E_NS1_11comp_targetILNS1_3genE10ELNS1_11target_archE1200ELNS1_3gpuE4ELNS1_3repE0EEENS1_30default_config_static_selectorELNS0_4arch9wavefront6targetE0EEEvT1_.has_indirect_call, 0
	.section	.AMDGPU.csdata,"",@progbits
; Kernel info:
; codeLenInByte = 10488
; TotalNumSgprs: 24
; NumVgprs: 63
; ScratchSize: 0
; MemoryBound: 0
; FloatMode: 240
; IeeeMode: 1
; LDSByteSize: 6160 bytes/workgroup (compile time only)
; SGPRBlocks: 0
; VGPRBlocks: 7
; NumSGPRsForWavesPerEU: 24
; NumVGPRsForWavesPerEU: 63
; Occupancy: 16
; WaveLimiterHint : 1
; COMPUTE_PGM_RSRC2:SCRATCH_EN: 0
; COMPUTE_PGM_RSRC2:USER_SGPR: 2
; COMPUTE_PGM_RSRC2:TRAP_HANDLER: 0
; COMPUTE_PGM_RSRC2:TGID_X_EN: 1
; COMPUTE_PGM_RSRC2:TGID_Y_EN: 0
; COMPUTE_PGM_RSRC2:TGID_Z_EN: 0
; COMPUTE_PGM_RSRC2:TIDIG_COMP_CNT: 0
	.section	.text._ZN7rocprim17ROCPRIM_400000_NS6detail17trampoline_kernelINS0_14default_configENS1_25partition_config_selectorILNS1_17partition_subalgoE5EsNS0_10empty_typeEbEEZZNS1_14partition_implILS5_5ELb0ES3_mN6thrust23THRUST_200600_302600_NS6detail15normal_iteratorINSA_10device_ptrIsEEEEPS6_NSA_18transform_iteratorINSB_9not_fun_tI7is_trueIsEEESF_NSA_11use_defaultESM_EENS0_5tupleIJSF_S6_EEENSO_IJSG_SG_EEES6_PlJS6_EEE10hipError_tPvRmT3_T4_T5_T6_T7_T9_mT8_P12ihipStream_tbDpT10_ENKUlT_T0_E_clISt17integral_constantIbLb0EES1B_EEDaS16_S17_EUlS16_E_NS1_11comp_targetILNS1_3genE9ELNS1_11target_archE1100ELNS1_3gpuE3ELNS1_3repE0EEENS1_30default_config_static_selectorELNS0_4arch9wavefront6targetE0EEEvT1_,"axG",@progbits,_ZN7rocprim17ROCPRIM_400000_NS6detail17trampoline_kernelINS0_14default_configENS1_25partition_config_selectorILNS1_17partition_subalgoE5EsNS0_10empty_typeEbEEZZNS1_14partition_implILS5_5ELb0ES3_mN6thrust23THRUST_200600_302600_NS6detail15normal_iteratorINSA_10device_ptrIsEEEEPS6_NSA_18transform_iteratorINSB_9not_fun_tI7is_trueIsEEESF_NSA_11use_defaultESM_EENS0_5tupleIJSF_S6_EEENSO_IJSG_SG_EEES6_PlJS6_EEE10hipError_tPvRmT3_T4_T5_T6_T7_T9_mT8_P12ihipStream_tbDpT10_ENKUlT_T0_E_clISt17integral_constantIbLb0EES1B_EEDaS16_S17_EUlS16_E_NS1_11comp_targetILNS1_3genE9ELNS1_11target_archE1100ELNS1_3gpuE3ELNS1_3repE0EEENS1_30default_config_static_selectorELNS0_4arch9wavefront6targetE0EEEvT1_,comdat
	.protected	_ZN7rocprim17ROCPRIM_400000_NS6detail17trampoline_kernelINS0_14default_configENS1_25partition_config_selectorILNS1_17partition_subalgoE5EsNS0_10empty_typeEbEEZZNS1_14partition_implILS5_5ELb0ES3_mN6thrust23THRUST_200600_302600_NS6detail15normal_iteratorINSA_10device_ptrIsEEEEPS6_NSA_18transform_iteratorINSB_9not_fun_tI7is_trueIsEEESF_NSA_11use_defaultESM_EENS0_5tupleIJSF_S6_EEENSO_IJSG_SG_EEES6_PlJS6_EEE10hipError_tPvRmT3_T4_T5_T6_T7_T9_mT8_P12ihipStream_tbDpT10_ENKUlT_T0_E_clISt17integral_constantIbLb0EES1B_EEDaS16_S17_EUlS16_E_NS1_11comp_targetILNS1_3genE9ELNS1_11target_archE1100ELNS1_3gpuE3ELNS1_3repE0EEENS1_30default_config_static_selectorELNS0_4arch9wavefront6targetE0EEEvT1_ ; -- Begin function _ZN7rocprim17ROCPRIM_400000_NS6detail17trampoline_kernelINS0_14default_configENS1_25partition_config_selectorILNS1_17partition_subalgoE5EsNS0_10empty_typeEbEEZZNS1_14partition_implILS5_5ELb0ES3_mN6thrust23THRUST_200600_302600_NS6detail15normal_iteratorINSA_10device_ptrIsEEEEPS6_NSA_18transform_iteratorINSB_9not_fun_tI7is_trueIsEEESF_NSA_11use_defaultESM_EENS0_5tupleIJSF_S6_EEENSO_IJSG_SG_EEES6_PlJS6_EEE10hipError_tPvRmT3_T4_T5_T6_T7_T9_mT8_P12ihipStream_tbDpT10_ENKUlT_T0_E_clISt17integral_constantIbLb0EES1B_EEDaS16_S17_EUlS16_E_NS1_11comp_targetILNS1_3genE9ELNS1_11target_archE1100ELNS1_3gpuE3ELNS1_3repE0EEENS1_30default_config_static_selectorELNS0_4arch9wavefront6targetE0EEEvT1_
	.globl	_ZN7rocprim17ROCPRIM_400000_NS6detail17trampoline_kernelINS0_14default_configENS1_25partition_config_selectorILNS1_17partition_subalgoE5EsNS0_10empty_typeEbEEZZNS1_14partition_implILS5_5ELb0ES3_mN6thrust23THRUST_200600_302600_NS6detail15normal_iteratorINSA_10device_ptrIsEEEEPS6_NSA_18transform_iteratorINSB_9not_fun_tI7is_trueIsEEESF_NSA_11use_defaultESM_EENS0_5tupleIJSF_S6_EEENSO_IJSG_SG_EEES6_PlJS6_EEE10hipError_tPvRmT3_T4_T5_T6_T7_T9_mT8_P12ihipStream_tbDpT10_ENKUlT_T0_E_clISt17integral_constantIbLb0EES1B_EEDaS16_S17_EUlS16_E_NS1_11comp_targetILNS1_3genE9ELNS1_11target_archE1100ELNS1_3gpuE3ELNS1_3repE0EEENS1_30default_config_static_selectorELNS0_4arch9wavefront6targetE0EEEvT1_
	.p2align	8
	.type	_ZN7rocprim17ROCPRIM_400000_NS6detail17trampoline_kernelINS0_14default_configENS1_25partition_config_selectorILNS1_17partition_subalgoE5EsNS0_10empty_typeEbEEZZNS1_14partition_implILS5_5ELb0ES3_mN6thrust23THRUST_200600_302600_NS6detail15normal_iteratorINSA_10device_ptrIsEEEEPS6_NSA_18transform_iteratorINSB_9not_fun_tI7is_trueIsEEESF_NSA_11use_defaultESM_EENS0_5tupleIJSF_S6_EEENSO_IJSG_SG_EEES6_PlJS6_EEE10hipError_tPvRmT3_T4_T5_T6_T7_T9_mT8_P12ihipStream_tbDpT10_ENKUlT_T0_E_clISt17integral_constantIbLb0EES1B_EEDaS16_S17_EUlS16_E_NS1_11comp_targetILNS1_3genE9ELNS1_11target_archE1100ELNS1_3gpuE3ELNS1_3repE0EEENS1_30default_config_static_selectorELNS0_4arch9wavefront6targetE0EEEvT1_,@function
_ZN7rocprim17ROCPRIM_400000_NS6detail17trampoline_kernelINS0_14default_configENS1_25partition_config_selectorILNS1_17partition_subalgoE5EsNS0_10empty_typeEbEEZZNS1_14partition_implILS5_5ELb0ES3_mN6thrust23THRUST_200600_302600_NS6detail15normal_iteratorINSA_10device_ptrIsEEEEPS6_NSA_18transform_iteratorINSB_9not_fun_tI7is_trueIsEEESF_NSA_11use_defaultESM_EENS0_5tupleIJSF_S6_EEENSO_IJSG_SG_EEES6_PlJS6_EEE10hipError_tPvRmT3_T4_T5_T6_T7_T9_mT8_P12ihipStream_tbDpT10_ENKUlT_T0_E_clISt17integral_constantIbLb0EES1B_EEDaS16_S17_EUlS16_E_NS1_11comp_targetILNS1_3genE9ELNS1_11target_archE1100ELNS1_3gpuE3ELNS1_3repE0EEENS1_30default_config_static_selectorELNS0_4arch9wavefront6targetE0EEEvT1_: ; @_ZN7rocprim17ROCPRIM_400000_NS6detail17trampoline_kernelINS0_14default_configENS1_25partition_config_selectorILNS1_17partition_subalgoE5EsNS0_10empty_typeEbEEZZNS1_14partition_implILS5_5ELb0ES3_mN6thrust23THRUST_200600_302600_NS6detail15normal_iteratorINSA_10device_ptrIsEEEEPS6_NSA_18transform_iteratorINSB_9not_fun_tI7is_trueIsEEESF_NSA_11use_defaultESM_EENS0_5tupleIJSF_S6_EEENSO_IJSG_SG_EEES6_PlJS6_EEE10hipError_tPvRmT3_T4_T5_T6_T7_T9_mT8_P12ihipStream_tbDpT10_ENKUlT_T0_E_clISt17integral_constantIbLb0EES1B_EEDaS16_S17_EUlS16_E_NS1_11comp_targetILNS1_3genE9ELNS1_11target_archE1100ELNS1_3gpuE3ELNS1_3repE0EEENS1_30default_config_static_selectorELNS0_4arch9wavefront6targetE0EEEvT1_
; %bb.0:
	.section	.rodata,"a",@progbits
	.p2align	6, 0x0
	.amdhsa_kernel _ZN7rocprim17ROCPRIM_400000_NS6detail17trampoline_kernelINS0_14default_configENS1_25partition_config_selectorILNS1_17partition_subalgoE5EsNS0_10empty_typeEbEEZZNS1_14partition_implILS5_5ELb0ES3_mN6thrust23THRUST_200600_302600_NS6detail15normal_iteratorINSA_10device_ptrIsEEEEPS6_NSA_18transform_iteratorINSB_9not_fun_tI7is_trueIsEEESF_NSA_11use_defaultESM_EENS0_5tupleIJSF_S6_EEENSO_IJSG_SG_EEES6_PlJS6_EEE10hipError_tPvRmT3_T4_T5_T6_T7_T9_mT8_P12ihipStream_tbDpT10_ENKUlT_T0_E_clISt17integral_constantIbLb0EES1B_EEDaS16_S17_EUlS16_E_NS1_11comp_targetILNS1_3genE9ELNS1_11target_archE1100ELNS1_3gpuE3ELNS1_3repE0EEENS1_30default_config_static_selectorELNS0_4arch9wavefront6targetE0EEEvT1_
		.amdhsa_group_segment_fixed_size 0
		.amdhsa_private_segment_fixed_size 0
		.amdhsa_kernarg_size 120
		.amdhsa_user_sgpr_count 2
		.amdhsa_user_sgpr_dispatch_ptr 0
		.amdhsa_user_sgpr_queue_ptr 0
		.amdhsa_user_sgpr_kernarg_segment_ptr 1
		.amdhsa_user_sgpr_dispatch_id 0
		.amdhsa_user_sgpr_private_segment_size 0
		.amdhsa_wavefront_size32 1
		.amdhsa_uses_dynamic_stack 0
		.amdhsa_enable_private_segment 0
		.amdhsa_system_sgpr_workgroup_id_x 1
		.amdhsa_system_sgpr_workgroup_id_y 0
		.amdhsa_system_sgpr_workgroup_id_z 0
		.amdhsa_system_sgpr_workgroup_info 0
		.amdhsa_system_vgpr_workitem_id 0
		.amdhsa_next_free_vgpr 1
		.amdhsa_next_free_sgpr 1
		.amdhsa_reserve_vcc 0
		.amdhsa_float_round_mode_32 0
		.amdhsa_float_round_mode_16_64 0
		.amdhsa_float_denorm_mode_32 3
		.amdhsa_float_denorm_mode_16_64 3
		.amdhsa_fp16_overflow 0
		.amdhsa_workgroup_processor_mode 1
		.amdhsa_memory_ordered 1
		.amdhsa_forward_progress 1
		.amdhsa_inst_pref_size 0
		.amdhsa_round_robin_scheduling 0
		.amdhsa_exception_fp_ieee_invalid_op 0
		.amdhsa_exception_fp_denorm_src 0
		.amdhsa_exception_fp_ieee_div_zero 0
		.amdhsa_exception_fp_ieee_overflow 0
		.amdhsa_exception_fp_ieee_underflow 0
		.amdhsa_exception_fp_ieee_inexact 0
		.amdhsa_exception_int_div_zero 0
	.end_amdhsa_kernel
	.section	.text._ZN7rocprim17ROCPRIM_400000_NS6detail17trampoline_kernelINS0_14default_configENS1_25partition_config_selectorILNS1_17partition_subalgoE5EsNS0_10empty_typeEbEEZZNS1_14partition_implILS5_5ELb0ES3_mN6thrust23THRUST_200600_302600_NS6detail15normal_iteratorINSA_10device_ptrIsEEEEPS6_NSA_18transform_iteratorINSB_9not_fun_tI7is_trueIsEEESF_NSA_11use_defaultESM_EENS0_5tupleIJSF_S6_EEENSO_IJSG_SG_EEES6_PlJS6_EEE10hipError_tPvRmT3_T4_T5_T6_T7_T9_mT8_P12ihipStream_tbDpT10_ENKUlT_T0_E_clISt17integral_constantIbLb0EES1B_EEDaS16_S17_EUlS16_E_NS1_11comp_targetILNS1_3genE9ELNS1_11target_archE1100ELNS1_3gpuE3ELNS1_3repE0EEENS1_30default_config_static_selectorELNS0_4arch9wavefront6targetE0EEEvT1_,"axG",@progbits,_ZN7rocprim17ROCPRIM_400000_NS6detail17trampoline_kernelINS0_14default_configENS1_25partition_config_selectorILNS1_17partition_subalgoE5EsNS0_10empty_typeEbEEZZNS1_14partition_implILS5_5ELb0ES3_mN6thrust23THRUST_200600_302600_NS6detail15normal_iteratorINSA_10device_ptrIsEEEEPS6_NSA_18transform_iteratorINSB_9not_fun_tI7is_trueIsEEESF_NSA_11use_defaultESM_EENS0_5tupleIJSF_S6_EEENSO_IJSG_SG_EEES6_PlJS6_EEE10hipError_tPvRmT3_T4_T5_T6_T7_T9_mT8_P12ihipStream_tbDpT10_ENKUlT_T0_E_clISt17integral_constantIbLb0EES1B_EEDaS16_S17_EUlS16_E_NS1_11comp_targetILNS1_3genE9ELNS1_11target_archE1100ELNS1_3gpuE3ELNS1_3repE0EEENS1_30default_config_static_selectorELNS0_4arch9wavefront6targetE0EEEvT1_,comdat
.Lfunc_end1539:
	.size	_ZN7rocprim17ROCPRIM_400000_NS6detail17trampoline_kernelINS0_14default_configENS1_25partition_config_selectorILNS1_17partition_subalgoE5EsNS0_10empty_typeEbEEZZNS1_14partition_implILS5_5ELb0ES3_mN6thrust23THRUST_200600_302600_NS6detail15normal_iteratorINSA_10device_ptrIsEEEEPS6_NSA_18transform_iteratorINSB_9not_fun_tI7is_trueIsEEESF_NSA_11use_defaultESM_EENS0_5tupleIJSF_S6_EEENSO_IJSG_SG_EEES6_PlJS6_EEE10hipError_tPvRmT3_T4_T5_T6_T7_T9_mT8_P12ihipStream_tbDpT10_ENKUlT_T0_E_clISt17integral_constantIbLb0EES1B_EEDaS16_S17_EUlS16_E_NS1_11comp_targetILNS1_3genE9ELNS1_11target_archE1100ELNS1_3gpuE3ELNS1_3repE0EEENS1_30default_config_static_selectorELNS0_4arch9wavefront6targetE0EEEvT1_, .Lfunc_end1539-_ZN7rocprim17ROCPRIM_400000_NS6detail17trampoline_kernelINS0_14default_configENS1_25partition_config_selectorILNS1_17partition_subalgoE5EsNS0_10empty_typeEbEEZZNS1_14partition_implILS5_5ELb0ES3_mN6thrust23THRUST_200600_302600_NS6detail15normal_iteratorINSA_10device_ptrIsEEEEPS6_NSA_18transform_iteratorINSB_9not_fun_tI7is_trueIsEEESF_NSA_11use_defaultESM_EENS0_5tupleIJSF_S6_EEENSO_IJSG_SG_EEES6_PlJS6_EEE10hipError_tPvRmT3_T4_T5_T6_T7_T9_mT8_P12ihipStream_tbDpT10_ENKUlT_T0_E_clISt17integral_constantIbLb0EES1B_EEDaS16_S17_EUlS16_E_NS1_11comp_targetILNS1_3genE9ELNS1_11target_archE1100ELNS1_3gpuE3ELNS1_3repE0EEENS1_30default_config_static_selectorELNS0_4arch9wavefront6targetE0EEEvT1_
                                        ; -- End function
	.set _ZN7rocprim17ROCPRIM_400000_NS6detail17trampoline_kernelINS0_14default_configENS1_25partition_config_selectorILNS1_17partition_subalgoE5EsNS0_10empty_typeEbEEZZNS1_14partition_implILS5_5ELb0ES3_mN6thrust23THRUST_200600_302600_NS6detail15normal_iteratorINSA_10device_ptrIsEEEEPS6_NSA_18transform_iteratorINSB_9not_fun_tI7is_trueIsEEESF_NSA_11use_defaultESM_EENS0_5tupleIJSF_S6_EEENSO_IJSG_SG_EEES6_PlJS6_EEE10hipError_tPvRmT3_T4_T5_T6_T7_T9_mT8_P12ihipStream_tbDpT10_ENKUlT_T0_E_clISt17integral_constantIbLb0EES1B_EEDaS16_S17_EUlS16_E_NS1_11comp_targetILNS1_3genE9ELNS1_11target_archE1100ELNS1_3gpuE3ELNS1_3repE0EEENS1_30default_config_static_selectorELNS0_4arch9wavefront6targetE0EEEvT1_.num_vgpr, 0
	.set _ZN7rocprim17ROCPRIM_400000_NS6detail17trampoline_kernelINS0_14default_configENS1_25partition_config_selectorILNS1_17partition_subalgoE5EsNS0_10empty_typeEbEEZZNS1_14partition_implILS5_5ELb0ES3_mN6thrust23THRUST_200600_302600_NS6detail15normal_iteratorINSA_10device_ptrIsEEEEPS6_NSA_18transform_iteratorINSB_9not_fun_tI7is_trueIsEEESF_NSA_11use_defaultESM_EENS0_5tupleIJSF_S6_EEENSO_IJSG_SG_EEES6_PlJS6_EEE10hipError_tPvRmT3_T4_T5_T6_T7_T9_mT8_P12ihipStream_tbDpT10_ENKUlT_T0_E_clISt17integral_constantIbLb0EES1B_EEDaS16_S17_EUlS16_E_NS1_11comp_targetILNS1_3genE9ELNS1_11target_archE1100ELNS1_3gpuE3ELNS1_3repE0EEENS1_30default_config_static_selectorELNS0_4arch9wavefront6targetE0EEEvT1_.num_agpr, 0
	.set _ZN7rocprim17ROCPRIM_400000_NS6detail17trampoline_kernelINS0_14default_configENS1_25partition_config_selectorILNS1_17partition_subalgoE5EsNS0_10empty_typeEbEEZZNS1_14partition_implILS5_5ELb0ES3_mN6thrust23THRUST_200600_302600_NS6detail15normal_iteratorINSA_10device_ptrIsEEEEPS6_NSA_18transform_iteratorINSB_9not_fun_tI7is_trueIsEEESF_NSA_11use_defaultESM_EENS0_5tupleIJSF_S6_EEENSO_IJSG_SG_EEES6_PlJS6_EEE10hipError_tPvRmT3_T4_T5_T6_T7_T9_mT8_P12ihipStream_tbDpT10_ENKUlT_T0_E_clISt17integral_constantIbLb0EES1B_EEDaS16_S17_EUlS16_E_NS1_11comp_targetILNS1_3genE9ELNS1_11target_archE1100ELNS1_3gpuE3ELNS1_3repE0EEENS1_30default_config_static_selectorELNS0_4arch9wavefront6targetE0EEEvT1_.numbered_sgpr, 0
	.set _ZN7rocprim17ROCPRIM_400000_NS6detail17trampoline_kernelINS0_14default_configENS1_25partition_config_selectorILNS1_17partition_subalgoE5EsNS0_10empty_typeEbEEZZNS1_14partition_implILS5_5ELb0ES3_mN6thrust23THRUST_200600_302600_NS6detail15normal_iteratorINSA_10device_ptrIsEEEEPS6_NSA_18transform_iteratorINSB_9not_fun_tI7is_trueIsEEESF_NSA_11use_defaultESM_EENS0_5tupleIJSF_S6_EEENSO_IJSG_SG_EEES6_PlJS6_EEE10hipError_tPvRmT3_T4_T5_T6_T7_T9_mT8_P12ihipStream_tbDpT10_ENKUlT_T0_E_clISt17integral_constantIbLb0EES1B_EEDaS16_S17_EUlS16_E_NS1_11comp_targetILNS1_3genE9ELNS1_11target_archE1100ELNS1_3gpuE3ELNS1_3repE0EEENS1_30default_config_static_selectorELNS0_4arch9wavefront6targetE0EEEvT1_.num_named_barrier, 0
	.set _ZN7rocprim17ROCPRIM_400000_NS6detail17trampoline_kernelINS0_14default_configENS1_25partition_config_selectorILNS1_17partition_subalgoE5EsNS0_10empty_typeEbEEZZNS1_14partition_implILS5_5ELb0ES3_mN6thrust23THRUST_200600_302600_NS6detail15normal_iteratorINSA_10device_ptrIsEEEEPS6_NSA_18transform_iteratorINSB_9not_fun_tI7is_trueIsEEESF_NSA_11use_defaultESM_EENS0_5tupleIJSF_S6_EEENSO_IJSG_SG_EEES6_PlJS6_EEE10hipError_tPvRmT3_T4_T5_T6_T7_T9_mT8_P12ihipStream_tbDpT10_ENKUlT_T0_E_clISt17integral_constantIbLb0EES1B_EEDaS16_S17_EUlS16_E_NS1_11comp_targetILNS1_3genE9ELNS1_11target_archE1100ELNS1_3gpuE3ELNS1_3repE0EEENS1_30default_config_static_selectorELNS0_4arch9wavefront6targetE0EEEvT1_.private_seg_size, 0
	.set _ZN7rocprim17ROCPRIM_400000_NS6detail17trampoline_kernelINS0_14default_configENS1_25partition_config_selectorILNS1_17partition_subalgoE5EsNS0_10empty_typeEbEEZZNS1_14partition_implILS5_5ELb0ES3_mN6thrust23THRUST_200600_302600_NS6detail15normal_iteratorINSA_10device_ptrIsEEEEPS6_NSA_18transform_iteratorINSB_9not_fun_tI7is_trueIsEEESF_NSA_11use_defaultESM_EENS0_5tupleIJSF_S6_EEENSO_IJSG_SG_EEES6_PlJS6_EEE10hipError_tPvRmT3_T4_T5_T6_T7_T9_mT8_P12ihipStream_tbDpT10_ENKUlT_T0_E_clISt17integral_constantIbLb0EES1B_EEDaS16_S17_EUlS16_E_NS1_11comp_targetILNS1_3genE9ELNS1_11target_archE1100ELNS1_3gpuE3ELNS1_3repE0EEENS1_30default_config_static_selectorELNS0_4arch9wavefront6targetE0EEEvT1_.uses_vcc, 0
	.set _ZN7rocprim17ROCPRIM_400000_NS6detail17trampoline_kernelINS0_14default_configENS1_25partition_config_selectorILNS1_17partition_subalgoE5EsNS0_10empty_typeEbEEZZNS1_14partition_implILS5_5ELb0ES3_mN6thrust23THRUST_200600_302600_NS6detail15normal_iteratorINSA_10device_ptrIsEEEEPS6_NSA_18transform_iteratorINSB_9not_fun_tI7is_trueIsEEESF_NSA_11use_defaultESM_EENS0_5tupleIJSF_S6_EEENSO_IJSG_SG_EEES6_PlJS6_EEE10hipError_tPvRmT3_T4_T5_T6_T7_T9_mT8_P12ihipStream_tbDpT10_ENKUlT_T0_E_clISt17integral_constantIbLb0EES1B_EEDaS16_S17_EUlS16_E_NS1_11comp_targetILNS1_3genE9ELNS1_11target_archE1100ELNS1_3gpuE3ELNS1_3repE0EEENS1_30default_config_static_selectorELNS0_4arch9wavefront6targetE0EEEvT1_.uses_flat_scratch, 0
	.set _ZN7rocprim17ROCPRIM_400000_NS6detail17trampoline_kernelINS0_14default_configENS1_25partition_config_selectorILNS1_17partition_subalgoE5EsNS0_10empty_typeEbEEZZNS1_14partition_implILS5_5ELb0ES3_mN6thrust23THRUST_200600_302600_NS6detail15normal_iteratorINSA_10device_ptrIsEEEEPS6_NSA_18transform_iteratorINSB_9not_fun_tI7is_trueIsEEESF_NSA_11use_defaultESM_EENS0_5tupleIJSF_S6_EEENSO_IJSG_SG_EEES6_PlJS6_EEE10hipError_tPvRmT3_T4_T5_T6_T7_T9_mT8_P12ihipStream_tbDpT10_ENKUlT_T0_E_clISt17integral_constantIbLb0EES1B_EEDaS16_S17_EUlS16_E_NS1_11comp_targetILNS1_3genE9ELNS1_11target_archE1100ELNS1_3gpuE3ELNS1_3repE0EEENS1_30default_config_static_selectorELNS0_4arch9wavefront6targetE0EEEvT1_.has_dyn_sized_stack, 0
	.set _ZN7rocprim17ROCPRIM_400000_NS6detail17trampoline_kernelINS0_14default_configENS1_25partition_config_selectorILNS1_17partition_subalgoE5EsNS0_10empty_typeEbEEZZNS1_14partition_implILS5_5ELb0ES3_mN6thrust23THRUST_200600_302600_NS6detail15normal_iteratorINSA_10device_ptrIsEEEEPS6_NSA_18transform_iteratorINSB_9not_fun_tI7is_trueIsEEESF_NSA_11use_defaultESM_EENS0_5tupleIJSF_S6_EEENSO_IJSG_SG_EEES6_PlJS6_EEE10hipError_tPvRmT3_T4_T5_T6_T7_T9_mT8_P12ihipStream_tbDpT10_ENKUlT_T0_E_clISt17integral_constantIbLb0EES1B_EEDaS16_S17_EUlS16_E_NS1_11comp_targetILNS1_3genE9ELNS1_11target_archE1100ELNS1_3gpuE3ELNS1_3repE0EEENS1_30default_config_static_selectorELNS0_4arch9wavefront6targetE0EEEvT1_.has_recursion, 0
	.set _ZN7rocprim17ROCPRIM_400000_NS6detail17trampoline_kernelINS0_14default_configENS1_25partition_config_selectorILNS1_17partition_subalgoE5EsNS0_10empty_typeEbEEZZNS1_14partition_implILS5_5ELb0ES3_mN6thrust23THRUST_200600_302600_NS6detail15normal_iteratorINSA_10device_ptrIsEEEEPS6_NSA_18transform_iteratorINSB_9not_fun_tI7is_trueIsEEESF_NSA_11use_defaultESM_EENS0_5tupleIJSF_S6_EEENSO_IJSG_SG_EEES6_PlJS6_EEE10hipError_tPvRmT3_T4_T5_T6_T7_T9_mT8_P12ihipStream_tbDpT10_ENKUlT_T0_E_clISt17integral_constantIbLb0EES1B_EEDaS16_S17_EUlS16_E_NS1_11comp_targetILNS1_3genE9ELNS1_11target_archE1100ELNS1_3gpuE3ELNS1_3repE0EEENS1_30default_config_static_selectorELNS0_4arch9wavefront6targetE0EEEvT1_.has_indirect_call, 0
	.section	.AMDGPU.csdata,"",@progbits
; Kernel info:
; codeLenInByte = 0
; TotalNumSgprs: 0
; NumVgprs: 0
; ScratchSize: 0
; MemoryBound: 0
; FloatMode: 240
; IeeeMode: 1
; LDSByteSize: 0 bytes/workgroup (compile time only)
; SGPRBlocks: 0
; VGPRBlocks: 0
; NumSGPRsForWavesPerEU: 1
; NumVGPRsForWavesPerEU: 1
; Occupancy: 16
; WaveLimiterHint : 0
; COMPUTE_PGM_RSRC2:SCRATCH_EN: 0
; COMPUTE_PGM_RSRC2:USER_SGPR: 2
; COMPUTE_PGM_RSRC2:TRAP_HANDLER: 0
; COMPUTE_PGM_RSRC2:TGID_X_EN: 1
; COMPUTE_PGM_RSRC2:TGID_Y_EN: 0
; COMPUTE_PGM_RSRC2:TGID_Z_EN: 0
; COMPUTE_PGM_RSRC2:TIDIG_COMP_CNT: 0
	.section	.text._ZN7rocprim17ROCPRIM_400000_NS6detail17trampoline_kernelINS0_14default_configENS1_25partition_config_selectorILNS1_17partition_subalgoE5EsNS0_10empty_typeEbEEZZNS1_14partition_implILS5_5ELb0ES3_mN6thrust23THRUST_200600_302600_NS6detail15normal_iteratorINSA_10device_ptrIsEEEEPS6_NSA_18transform_iteratorINSB_9not_fun_tI7is_trueIsEEESF_NSA_11use_defaultESM_EENS0_5tupleIJSF_S6_EEENSO_IJSG_SG_EEES6_PlJS6_EEE10hipError_tPvRmT3_T4_T5_T6_T7_T9_mT8_P12ihipStream_tbDpT10_ENKUlT_T0_E_clISt17integral_constantIbLb0EES1B_EEDaS16_S17_EUlS16_E_NS1_11comp_targetILNS1_3genE8ELNS1_11target_archE1030ELNS1_3gpuE2ELNS1_3repE0EEENS1_30default_config_static_selectorELNS0_4arch9wavefront6targetE0EEEvT1_,"axG",@progbits,_ZN7rocprim17ROCPRIM_400000_NS6detail17trampoline_kernelINS0_14default_configENS1_25partition_config_selectorILNS1_17partition_subalgoE5EsNS0_10empty_typeEbEEZZNS1_14partition_implILS5_5ELb0ES3_mN6thrust23THRUST_200600_302600_NS6detail15normal_iteratorINSA_10device_ptrIsEEEEPS6_NSA_18transform_iteratorINSB_9not_fun_tI7is_trueIsEEESF_NSA_11use_defaultESM_EENS0_5tupleIJSF_S6_EEENSO_IJSG_SG_EEES6_PlJS6_EEE10hipError_tPvRmT3_T4_T5_T6_T7_T9_mT8_P12ihipStream_tbDpT10_ENKUlT_T0_E_clISt17integral_constantIbLb0EES1B_EEDaS16_S17_EUlS16_E_NS1_11comp_targetILNS1_3genE8ELNS1_11target_archE1030ELNS1_3gpuE2ELNS1_3repE0EEENS1_30default_config_static_selectorELNS0_4arch9wavefront6targetE0EEEvT1_,comdat
	.protected	_ZN7rocprim17ROCPRIM_400000_NS6detail17trampoline_kernelINS0_14default_configENS1_25partition_config_selectorILNS1_17partition_subalgoE5EsNS0_10empty_typeEbEEZZNS1_14partition_implILS5_5ELb0ES3_mN6thrust23THRUST_200600_302600_NS6detail15normal_iteratorINSA_10device_ptrIsEEEEPS6_NSA_18transform_iteratorINSB_9not_fun_tI7is_trueIsEEESF_NSA_11use_defaultESM_EENS0_5tupleIJSF_S6_EEENSO_IJSG_SG_EEES6_PlJS6_EEE10hipError_tPvRmT3_T4_T5_T6_T7_T9_mT8_P12ihipStream_tbDpT10_ENKUlT_T0_E_clISt17integral_constantIbLb0EES1B_EEDaS16_S17_EUlS16_E_NS1_11comp_targetILNS1_3genE8ELNS1_11target_archE1030ELNS1_3gpuE2ELNS1_3repE0EEENS1_30default_config_static_selectorELNS0_4arch9wavefront6targetE0EEEvT1_ ; -- Begin function _ZN7rocprim17ROCPRIM_400000_NS6detail17trampoline_kernelINS0_14default_configENS1_25partition_config_selectorILNS1_17partition_subalgoE5EsNS0_10empty_typeEbEEZZNS1_14partition_implILS5_5ELb0ES3_mN6thrust23THRUST_200600_302600_NS6detail15normal_iteratorINSA_10device_ptrIsEEEEPS6_NSA_18transform_iteratorINSB_9not_fun_tI7is_trueIsEEESF_NSA_11use_defaultESM_EENS0_5tupleIJSF_S6_EEENSO_IJSG_SG_EEES6_PlJS6_EEE10hipError_tPvRmT3_T4_T5_T6_T7_T9_mT8_P12ihipStream_tbDpT10_ENKUlT_T0_E_clISt17integral_constantIbLb0EES1B_EEDaS16_S17_EUlS16_E_NS1_11comp_targetILNS1_3genE8ELNS1_11target_archE1030ELNS1_3gpuE2ELNS1_3repE0EEENS1_30default_config_static_selectorELNS0_4arch9wavefront6targetE0EEEvT1_
	.globl	_ZN7rocprim17ROCPRIM_400000_NS6detail17trampoline_kernelINS0_14default_configENS1_25partition_config_selectorILNS1_17partition_subalgoE5EsNS0_10empty_typeEbEEZZNS1_14partition_implILS5_5ELb0ES3_mN6thrust23THRUST_200600_302600_NS6detail15normal_iteratorINSA_10device_ptrIsEEEEPS6_NSA_18transform_iteratorINSB_9not_fun_tI7is_trueIsEEESF_NSA_11use_defaultESM_EENS0_5tupleIJSF_S6_EEENSO_IJSG_SG_EEES6_PlJS6_EEE10hipError_tPvRmT3_T4_T5_T6_T7_T9_mT8_P12ihipStream_tbDpT10_ENKUlT_T0_E_clISt17integral_constantIbLb0EES1B_EEDaS16_S17_EUlS16_E_NS1_11comp_targetILNS1_3genE8ELNS1_11target_archE1030ELNS1_3gpuE2ELNS1_3repE0EEENS1_30default_config_static_selectorELNS0_4arch9wavefront6targetE0EEEvT1_
	.p2align	8
	.type	_ZN7rocprim17ROCPRIM_400000_NS6detail17trampoline_kernelINS0_14default_configENS1_25partition_config_selectorILNS1_17partition_subalgoE5EsNS0_10empty_typeEbEEZZNS1_14partition_implILS5_5ELb0ES3_mN6thrust23THRUST_200600_302600_NS6detail15normal_iteratorINSA_10device_ptrIsEEEEPS6_NSA_18transform_iteratorINSB_9not_fun_tI7is_trueIsEEESF_NSA_11use_defaultESM_EENS0_5tupleIJSF_S6_EEENSO_IJSG_SG_EEES6_PlJS6_EEE10hipError_tPvRmT3_T4_T5_T6_T7_T9_mT8_P12ihipStream_tbDpT10_ENKUlT_T0_E_clISt17integral_constantIbLb0EES1B_EEDaS16_S17_EUlS16_E_NS1_11comp_targetILNS1_3genE8ELNS1_11target_archE1030ELNS1_3gpuE2ELNS1_3repE0EEENS1_30default_config_static_selectorELNS0_4arch9wavefront6targetE0EEEvT1_,@function
_ZN7rocprim17ROCPRIM_400000_NS6detail17trampoline_kernelINS0_14default_configENS1_25partition_config_selectorILNS1_17partition_subalgoE5EsNS0_10empty_typeEbEEZZNS1_14partition_implILS5_5ELb0ES3_mN6thrust23THRUST_200600_302600_NS6detail15normal_iteratorINSA_10device_ptrIsEEEEPS6_NSA_18transform_iteratorINSB_9not_fun_tI7is_trueIsEEESF_NSA_11use_defaultESM_EENS0_5tupleIJSF_S6_EEENSO_IJSG_SG_EEES6_PlJS6_EEE10hipError_tPvRmT3_T4_T5_T6_T7_T9_mT8_P12ihipStream_tbDpT10_ENKUlT_T0_E_clISt17integral_constantIbLb0EES1B_EEDaS16_S17_EUlS16_E_NS1_11comp_targetILNS1_3genE8ELNS1_11target_archE1030ELNS1_3gpuE2ELNS1_3repE0EEENS1_30default_config_static_selectorELNS0_4arch9wavefront6targetE0EEEvT1_: ; @_ZN7rocprim17ROCPRIM_400000_NS6detail17trampoline_kernelINS0_14default_configENS1_25partition_config_selectorILNS1_17partition_subalgoE5EsNS0_10empty_typeEbEEZZNS1_14partition_implILS5_5ELb0ES3_mN6thrust23THRUST_200600_302600_NS6detail15normal_iteratorINSA_10device_ptrIsEEEEPS6_NSA_18transform_iteratorINSB_9not_fun_tI7is_trueIsEEESF_NSA_11use_defaultESM_EENS0_5tupleIJSF_S6_EEENSO_IJSG_SG_EEES6_PlJS6_EEE10hipError_tPvRmT3_T4_T5_T6_T7_T9_mT8_P12ihipStream_tbDpT10_ENKUlT_T0_E_clISt17integral_constantIbLb0EES1B_EEDaS16_S17_EUlS16_E_NS1_11comp_targetILNS1_3genE8ELNS1_11target_archE1030ELNS1_3gpuE2ELNS1_3repE0EEENS1_30default_config_static_selectorELNS0_4arch9wavefront6targetE0EEEvT1_
; %bb.0:
	.section	.rodata,"a",@progbits
	.p2align	6, 0x0
	.amdhsa_kernel _ZN7rocprim17ROCPRIM_400000_NS6detail17trampoline_kernelINS0_14default_configENS1_25partition_config_selectorILNS1_17partition_subalgoE5EsNS0_10empty_typeEbEEZZNS1_14partition_implILS5_5ELb0ES3_mN6thrust23THRUST_200600_302600_NS6detail15normal_iteratorINSA_10device_ptrIsEEEEPS6_NSA_18transform_iteratorINSB_9not_fun_tI7is_trueIsEEESF_NSA_11use_defaultESM_EENS0_5tupleIJSF_S6_EEENSO_IJSG_SG_EEES6_PlJS6_EEE10hipError_tPvRmT3_T4_T5_T6_T7_T9_mT8_P12ihipStream_tbDpT10_ENKUlT_T0_E_clISt17integral_constantIbLb0EES1B_EEDaS16_S17_EUlS16_E_NS1_11comp_targetILNS1_3genE8ELNS1_11target_archE1030ELNS1_3gpuE2ELNS1_3repE0EEENS1_30default_config_static_selectorELNS0_4arch9wavefront6targetE0EEEvT1_
		.amdhsa_group_segment_fixed_size 0
		.amdhsa_private_segment_fixed_size 0
		.amdhsa_kernarg_size 120
		.amdhsa_user_sgpr_count 2
		.amdhsa_user_sgpr_dispatch_ptr 0
		.amdhsa_user_sgpr_queue_ptr 0
		.amdhsa_user_sgpr_kernarg_segment_ptr 1
		.amdhsa_user_sgpr_dispatch_id 0
		.amdhsa_user_sgpr_private_segment_size 0
		.amdhsa_wavefront_size32 1
		.amdhsa_uses_dynamic_stack 0
		.amdhsa_enable_private_segment 0
		.amdhsa_system_sgpr_workgroup_id_x 1
		.amdhsa_system_sgpr_workgroup_id_y 0
		.amdhsa_system_sgpr_workgroup_id_z 0
		.amdhsa_system_sgpr_workgroup_info 0
		.amdhsa_system_vgpr_workitem_id 0
		.amdhsa_next_free_vgpr 1
		.amdhsa_next_free_sgpr 1
		.amdhsa_reserve_vcc 0
		.amdhsa_float_round_mode_32 0
		.amdhsa_float_round_mode_16_64 0
		.amdhsa_float_denorm_mode_32 3
		.amdhsa_float_denorm_mode_16_64 3
		.amdhsa_fp16_overflow 0
		.amdhsa_workgroup_processor_mode 1
		.amdhsa_memory_ordered 1
		.amdhsa_forward_progress 1
		.amdhsa_inst_pref_size 0
		.amdhsa_round_robin_scheduling 0
		.amdhsa_exception_fp_ieee_invalid_op 0
		.amdhsa_exception_fp_denorm_src 0
		.amdhsa_exception_fp_ieee_div_zero 0
		.amdhsa_exception_fp_ieee_overflow 0
		.amdhsa_exception_fp_ieee_underflow 0
		.amdhsa_exception_fp_ieee_inexact 0
		.amdhsa_exception_int_div_zero 0
	.end_amdhsa_kernel
	.section	.text._ZN7rocprim17ROCPRIM_400000_NS6detail17trampoline_kernelINS0_14default_configENS1_25partition_config_selectorILNS1_17partition_subalgoE5EsNS0_10empty_typeEbEEZZNS1_14partition_implILS5_5ELb0ES3_mN6thrust23THRUST_200600_302600_NS6detail15normal_iteratorINSA_10device_ptrIsEEEEPS6_NSA_18transform_iteratorINSB_9not_fun_tI7is_trueIsEEESF_NSA_11use_defaultESM_EENS0_5tupleIJSF_S6_EEENSO_IJSG_SG_EEES6_PlJS6_EEE10hipError_tPvRmT3_T4_T5_T6_T7_T9_mT8_P12ihipStream_tbDpT10_ENKUlT_T0_E_clISt17integral_constantIbLb0EES1B_EEDaS16_S17_EUlS16_E_NS1_11comp_targetILNS1_3genE8ELNS1_11target_archE1030ELNS1_3gpuE2ELNS1_3repE0EEENS1_30default_config_static_selectorELNS0_4arch9wavefront6targetE0EEEvT1_,"axG",@progbits,_ZN7rocprim17ROCPRIM_400000_NS6detail17trampoline_kernelINS0_14default_configENS1_25partition_config_selectorILNS1_17partition_subalgoE5EsNS0_10empty_typeEbEEZZNS1_14partition_implILS5_5ELb0ES3_mN6thrust23THRUST_200600_302600_NS6detail15normal_iteratorINSA_10device_ptrIsEEEEPS6_NSA_18transform_iteratorINSB_9not_fun_tI7is_trueIsEEESF_NSA_11use_defaultESM_EENS0_5tupleIJSF_S6_EEENSO_IJSG_SG_EEES6_PlJS6_EEE10hipError_tPvRmT3_T4_T5_T6_T7_T9_mT8_P12ihipStream_tbDpT10_ENKUlT_T0_E_clISt17integral_constantIbLb0EES1B_EEDaS16_S17_EUlS16_E_NS1_11comp_targetILNS1_3genE8ELNS1_11target_archE1030ELNS1_3gpuE2ELNS1_3repE0EEENS1_30default_config_static_selectorELNS0_4arch9wavefront6targetE0EEEvT1_,comdat
.Lfunc_end1540:
	.size	_ZN7rocprim17ROCPRIM_400000_NS6detail17trampoline_kernelINS0_14default_configENS1_25partition_config_selectorILNS1_17partition_subalgoE5EsNS0_10empty_typeEbEEZZNS1_14partition_implILS5_5ELb0ES3_mN6thrust23THRUST_200600_302600_NS6detail15normal_iteratorINSA_10device_ptrIsEEEEPS6_NSA_18transform_iteratorINSB_9not_fun_tI7is_trueIsEEESF_NSA_11use_defaultESM_EENS0_5tupleIJSF_S6_EEENSO_IJSG_SG_EEES6_PlJS6_EEE10hipError_tPvRmT3_T4_T5_T6_T7_T9_mT8_P12ihipStream_tbDpT10_ENKUlT_T0_E_clISt17integral_constantIbLb0EES1B_EEDaS16_S17_EUlS16_E_NS1_11comp_targetILNS1_3genE8ELNS1_11target_archE1030ELNS1_3gpuE2ELNS1_3repE0EEENS1_30default_config_static_selectorELNS0_4arch9wavefront6targetE0EEEvT1_, .Lfunc_end1540-_ZN7rocprim17ROCPRIM_400000_NS6detail17trampoline_kernelINS0_14default_configENS1_25partition_config_selectorILNS1_17partition_subalgoE5EsNS0_10empty_typeEbEEZZNS1_14partition_implILS5_5ELb0ES3_mN6thrust23THRUST_200600_302600_NS6detail15normal_iteratorINSA_10device_ptrIsEEEEPS6_NSA_18transform_iteratorINSB_9not_fun_tI7is_trueIsEEESF_NSA_11use_defaultESM_EENS0_5tupleIJSF_S6_EEENSO_IJSG_SG_EEES6_PlJS6_EEE10hipError_tPvRmT3_T4_T5_T6_T7_T9_mT8_P12ihipStream_tbDpT10_ENKUlT_T0_E_clISt17integral_constantIbLb0EES1B_EEDaS16_S17_EUlS16_E_NS1_11comp_targetILNS1_3genE8ELNS1_11target_archE1030ELNS1_3gpuE2ELNS1_3repE0EEENS1_30default_config_static_selectorELNS0_4arch9wavefront6targetE0EEEvT1_
                                        ; -- End function
	.set _ZN7rocprim17ROCPRIM_400000_NS6detail17trampoline_kernelINS0_14default_configENS1_25partition_config_selectorILNS1_17partition_subalgoE5EsNS0_10empty_typeEbEEZZNS1_14partition_implILS5_5ELb0ES3_mN6thrust23THRUST_200600_302600_NS6detail15normal_iteratorINSA_10device_ptrIsEEEEPS6_NSA_18transform_iteratorINSB_9not_fun_tI7is_trueIsEEESF_NSA_11use_defaultESM_EENS0_5tupleIJSF_S6_EEENSO_IJSG_SG_EEES6_PlJS6_EEE10hipError_tPvRmT3_T4_T5_T6_T7_T9_mT8_P12ihipStream_tbDpT10_ENKUlT_T0_E_clISt17integral_constantIbLb0EES1B_EEDaS16_S17_EUlS16_E_NS1_11comp_targetILNS1_3genE8ELNS1_11target_archE1030ELNS1_3gpuE2ELNS1_3repE0EEENS1_30default_config_static_selectorELNS0_4arch9wavefront6targetE0EEEvT1_.num_vgpr, 0
	.set _ZN7rocprim17ROCPRIM_400000_NS6detail17trampoline_kernelINS0_14default_configENS1_25partition_config_selectorILNS1_17partition_subalgoE5EsNS0_10empty_typeEbEEZZNS1_14partition_implILS5_5ELb0ES3_mN6thrust23THRUST_200600_302600_NS6detail15normal_iteratorINSA_10device_ptrIsEEEEPS6_NSA_18transform_iteratorINSB_9not_fun_tI7is_trueIsEEESF_NSA_11use_defaultESM_EENS0_5tupleIJSF_S6_EEENSO_IJSG_SG_EEES6_PlJS6_EEE10hipError_tPvRmT3_T4_T5_T6_T7_T9_mT8_P12ihipStream_tbDpT10_ENKUlT_T0_E_clISt17integral_constantIbLb0EES1B_EEDaS16_S17_EUlS16_E_NS1_11comp_targetILNS1_3genE8ELNS1_11target_archE1030ELNS1_3gpuE2ELNS1_3repE0EEENS1_30default_config_static_selectorELNS0_4arch9wavefront6targetE0EEEvT1_.num_agpr, 0
	.set _ZN7rocprim17ROCPRIM_400000_NS6detail17trampoline_kernelINS0_14default_configENS1_25partition_config_selectorILNS1_17partition_subalgoE5EsNS0_10empty_typeEbEEZZNS1_14partition_implILS5_5ELb0ES3_mN6thrust23THRUST_200600_302600_NS6detail15normal_iteratorINSA_10device_ptrIsEEEEPS6_NSA_18transform_iteratorINSB_9not_fun_tI7is_trueIsEEESF_NSA_11use_defaultESM_EENS0_5tupleIJSF_S6_EEENSO_IJSG_SG_EEES6_PlJS6_EEE10hipError_tPvRmT3_T4_T5_T6_T7_T9_mT8_P12ihipStream_tbDpT10_ENKUlT_T0_E_clISt17integral_constantIbLb0EES1B_EEDaS16_S17_EUlS16_E_NS1_11comp_targetILNS1_3genE8ELNS1_11target_archE1030ELNS1_3gpuE2ELNS1_3repE0EEENS1_30default_config_static_selectorELNS0_4arch9wavefront6targetE0EEEvT1_.numbered_sgpr, 0
	.set _ZN7rocprim17ROCPRIM_400000_NS6detail17trampoline_kernelINS0_14default_configENS1_25partition_config_selectorILNS1_17partition_subalgoE5EsNS0_10empty_typeEbEEZZNS1_14partition_implILS5_5ELb0ES3_mN6thrust23THRUST_200600_302600_NS6detail15normal_iteratorINSA_10device_ptrIsEEEEPS6_NSA_18transform_iteratorINSB_9not_fun_tI7is_trueIsEEESF_NSA_11use_defaultESM_EENS0_5tupleIJSF_S6_EEENSO_IJSG_SG_EEES6_PlJS6_EEE10hipError_tPvRmT3_T4_T5_T6_T7_T9_mT8_P12ihipStream_tbDpT10_ENKUlT_T0_E_clISt17integral_constantIbLb0EES1B_EEDaS16_S17_EUlS16_E_NS1_11comp_targetILNS1_3genE8ELNS1_11target_archE1030ELNS1_3gpuE2ELNS1_3repE0EEENS1_30default_config_static_selectorELNS0_4arch9wavefront6targetE0EEEvT1_.num_named_barrier, 0
	.set _ZN7rocprim17ROCPRIM_400000_NS6detail17trampoline_kernelINS0_14default_configENS1_25partition_config_selectorILNS1_17partition_subalgoE5EsNS0_10empty_typeEbEEZZNS1_14partition_implILS5_5ELb0ES3_mN6thrust23THRUST_200600_302600_NS6detail15normal_iteratorINSA_10device_ptrIsEEEEPS6_NSA_18transform_iteratorINSB_9not_fun_tI7is_trueIsEEESF_NSA_11use_defaultESM_EENS0_5tupleIJSF_S6_EEENSO_IJSG_SG_EEES6_PlJS6_EEE10hipError_tPvRmT3_T4_T5_T6_T7_T9_mT8_P12ihipStream_tbDpT10_ENKUlT_T0_E_clISt17integral_constantIbLb0EES1B_EEDaS16_S17_EUlS16_E_NS1_11comp_targetILNS1_3genE8ELNS1_11target_archE1030ELNS1_3gpuE2ELNS1_3repE0EEENS1_30default_config_static_selectorELNS0_4arch9wavefront6targetE0EEEvT1_.private_seg_size, 0
	.set _ZN7rocprim17ROCPRIM_400000_NS6detail17trampoline_kernelINS0_14default_configENS1_25partition_config_selectorILNS1_17partition_subalgoE5EsNS0_10empty_typeEbEEZZNS1_14partition_implILS5_5ELb0ES3_mN6thrust23THRUST_200600_302600_NS6detail15normal_iteratorINSA_10device_ptrIsEEEEPS6_NSA_18transform_iteratorINSB_9not_fun_tI7is_trueIsEEESF_NSA_11use_defaultESM_EENS0_5tupleIJSF_S6_EEENSO_IJSG_SG_EEES6_PlJS6_EEE10hipError_tPvRmT3_T4_T5_T6_T7_T9_mT8_P12ihipStream_tbDpT10_ENKUlT_T0_E_clISt17integral_constantIbLb0EES1B_EEDaS16_S17_EUlS16_E_NS1_11comp_targetILNS1_3genE8ELNS1_11target_archE1030ELNS1_3gpuE2ELNS1_3repE0EEENS1_30default_config_static_selectorELNS0_4arch9wavefront6targetE0EEEvT1_.uses_vcc, 0
	.set _ZN7rocprim17ROCPRIM_400000_NS6detail17trampoline_kernelINS0_14default_configENS1_25partition_config_selectorILNS1_17partition_subalgoE5EsNS0_10empty_typeEbEEZZNS1_14partition_implILS5_5ELb0ES3_mN6thrust23THRUST_200600_302600_NS6detail15normal_iteratorINSA_10device_ptrIsEEEEPS6_NSA_18transform_iteratorINSB_9not_fun_tI7is_trueIsEEESF_NSA_11use_defaultESM_EENS0_5tupleIJSF_S6_EEENSO_IJSG_SG_EEES6_PlJS6_EEE10hipError_tPvRmT3_T4_T5_T6_T7_T9_mT8_P12ihipStream_tbDpT10_ENKUlT_T0_E_clISt17integral_constantIbLb0EES1B_EEDaS16_S17_EUlS16_E_NS1_11comp_targetILNS1_3genE8ELNS1_11target_archE1030ELNS1_3gpuE2ELNS1_3repE0EEENS1_30default_config_static_selectorELNS0_4arch9wavefront6targetE0EEEvT1_.uses_flat_scratch, 0
	.set _ZN7rocprim17ROCPRIM_400000_NS6detail17trampoline_kernelINS0_14default_configENS1_25partition_config_selectorILNS1_17partition_subalgoE5EsNS0_10empty_typeEbEEZZNS1_14partition_implILS5_5ELb0ES3_mN6thrust23THRUST_200600_302600_NS6detail15normal_iteratorINSA_10device_ptrIsEEEEPS6_NSA_18transform_iteratorINSB_9not_fun_tI7is_trueIsEEESF_NSA_11use_defaultESM_EENS0_5tupleIJSF_S6_EEENSO_IJSG_SG_EEES6_PlJS6_EEE10hipError_tPvRmT3_T4_T5_T6_T7_T9_mT8_P12ihipStream_tbDpT10_ENKUlT_T0_E_clISt17integral_constantIbLb0EES1B_EEDaS16_S17_EUlS16_E_NS1_11comp_targetILNS1_3genE8ELNS1_11target_archE1030ELNS1_3gpuE2ELNS1_3repE0EEENS1_30default_config_static_selectorELNS0_4arch9wavefront6targetE0EEEvT1_.has_dyn_sized_stack, 0
	.set _ZN7rocprim17ROCPRIM_400000_NS6detail17trampoline_kernelINS0_14default_configENS1_25partition_config_selectorILNS1_17partition_subalgoE5EsNS0_10empty_typeEbEEZZNS1_14partition_implILS5_5ELb0ES3_mN6thrust23THRUST_200600_302600_NS6detail15normal_iteratorINSA_10device_ptrIsEEEEPS6_NSA_18transform_iteratorINSB_9not_fun_tI7is_trueIsEEESF_NSA_11use_defaultESM_EENS0_5tupleIJSF_S6_EEENSO_IJSG_SG_EEES6_PlJS6_EEE10hipError_tPvRmT3_T4_T5_T6_T7_T9_mT8_P12ihipStream_tbDpT10_ENKUlT_T0_E_clISt17integral_constantIbLb0EES1B_EEDaS16_S17_EUlS16_E_NS1_11comp_targetILNS1_3genE8ELNS1_11target_archE1030ELNS1_3gpuE2ELNS1_3repE0EEENS1_30default_config_static_selectorELNS0_4arch9wavefront6targetE0EEEvT1_.has_recursion, 0
	.set _ZN7rocprim17ROCPRIM_400000_NS6detail17trampoline_kernelINS0_14default_configENS1_25partition_config_selectorILNS1_17partition_subalgoE5EsNS0_10empty_typeEbEEZZNS1_14partition_implILS5_5ELb0ES3_mN6thrust23THRUST_200600_302600_NS6detail15normal_iteratorINSA_10device_ptrIsEEEEPS6_NSA_18transform_iteratorINSB_9not_fun_tI7is_trueIsEEESF_NSA_11use_defaultESM_EENS0_5tupleIJSF_S6_EEENSO_IJSG_SG_EEES6_PlJS6_EEE10hipError_tPvRmT3_T4_T5_T6_T7_T9_mT8_P12ihipStream_tbDpT10_ENKUlT_T0_E_clISt17integral_constantIbLb0EES1B_EEDaS16_S17_EUlS16_E_NS1_11comp_targetILNS1_3genE8ELNS1_11target_archE1030ELNS1_3gpuE2ELNS1_3repE0EEENS1_30default_config_static_selectorELNS0_4arch9wavefront6targetE0EEEvT1_.has_indirect_call, 0
	.section	.AMDGPU.csdata,"",@progbits
; Kernel info:
; codeLenInByte = 0
; TotalNumSgprs: 0
; NumVgprs: 0
; ScratchSize: 0
; MemoryBound: 0
; FloatMode: 240
; IeeeMode: 1
; LDSByteSize: 0 bytes/workgroup (compile time only)
; SGPRBlocks: 0
; VGPRBlocks: 0
; NumSGPRsForWavesPerEU: 1
; NumVGPRsForWavesPerEU: 1
; Occupancy: 16
; WaveLimiterHint : 0
; COMPUTE_PGM_RSRC2:SCRATCH_EN: 0
; COMPUTE_PGM_RSRC2:USER_SGPR: 2
; COMPUTE_PGM_RSRC2:TRAP_HANDLER: 0
; COMPUTE_PGM_RSRC2:TGID_X_EN: 1
; COMPUTE_PGM_RSRC2:TGID_Y_EN: 0
; COMPUTE_PGM_RSRC2:TGID_Z_EN: 0
; COMPUTE_PGM_RSRC2:TIDIG_COMP_CNT: 0
	.section	.text._ZN7rocprim17ROCPRIM_400000_NS6detail17trampoline_kernelINS0_14default_configENS1_25partition_config_selectorILNS1_17partition_subalgoE5EsNS0_10empty_typeEbEEZZNS1_14partition_implILS5_5ELb0ES3_mN6thrust23THRUST_200600_302600_NS6detail15normal_iteratorINSA_10device_ptrIsEEEEPS6_NSA_18transform_iteratorINSB_9not_fun_tI7is_trueIsEEESF_NSA_11use_defaultESM_EENS0_5tupleIJSF_S6_EEENSO_IJSG_SG_EEES6_PlJS6_EEE10hipError_tPvRmT3_T4_T5_T6_T7_T9_mT8_P12ihipStream_tbDpT10_ENKUlT_T0_E_clISt17integral_constantIbLb1EES1B_EEDaS16_S17_EUlS16_E_NS1_11comp_targetILNS1_3genE0ELNS1_11target_archE4294967295ELNS1_3gpuE0ELNS1_3repE0EEENS1_30default_config_static_selectorELNS0_4arch9wavefront6targetE0EEEvT1_,"axG",@progbits,_ZN7rocprim17ROCPRIM_400000_NS6detail17trampoline_kernelINS0_14default_configENS1_25partition_config_selectorILNS1_17partition_subalgoE5EsNS0_10empty_typeEbEEZZNS1_14partition_implILS5_5ELb0ES3_mN6thrust23THRUST_200600_302600_NS6detail15normal_iteratorINSA_10device_ptrIsEEEEPS6_NSA_18transform_iteratorINSB_9not_fun_tI7is_trueIsEEESF_NSA_11use_defaultESM_EENS0_5tupleIJSF_S6_EEENSO_IJSG_SG_EEES6_PlJS6_EEE10hipError_tPvRmT3_T4_T5_T6_T7_T9_mT8_P12ihipStream_tbDpT10_ENKUlT_T0_E_clISt17integral_constantIbLb1EES1B_EEDaS16_S17_EUlS16_E_NS1_11comp_targetILNS1_3genE0ELNS1_11target_archE4294967295ELNS1_3gpuE0ELNS1_3repE0EEENS1_30default_config_static_selectorELNS0_4arch9wavefront6targetE0EEEvT1_,comdat
	.protected	_ZN7rocprim17ROCPRIM_400000_NS6detail17trampoline_kernelINS0_14default_configENS1_25partition_config_selectorILNS1_17partition_subalgoE5EsNS0_10empty_typeEbEEZZNS1_14partition_implILS5_5ELb0ES3_mN6thrust23THRUST_200600_302600_NS6detail15normal_iteratorINSA_10device_ptrIsEEEEPS6_NSA_18transform_iteratorINSB_9not_fun_tI7is_trueIsEEESF_NSA_11use_defaultESM_EENS0_5tupleIJSF_S6_EEENSO_IJSG_SG_EEES6_PlJS6_EEE10hipError_tPvRmT3_T4_T5_T6_T7_T9_mT8_P12ihipStream_tbDpT10_ENKUlT_T0_E_clISt17integral_constantIbLb1EES1B_EEDaS16_S17_EUlS16_E_NS1_11comp_targetILNS1_3genE0ELNS1_11target_archE4294967295ELNS1_3gpuE0ELNS1_3repE0EEENS1_30default_config_static_selectorELNS0_4arch9wavefront6targetE0EEEvT1_ ; -- Begin function _ZN7rocprim17ROCPRIM_400000_NS6detail17trampoline_kernelINS0_14default_configENS1_25partition_config_selectorILNS1_17partition_subalgoE5EsNS0_10empty_typeEbEEZZNS1_14partition_implILS5_5ELb0ES3_mN6thrust23THRUST_200600_302600_NS6detail15normal_iteratorINSA_10device_ptrIsEEEEPS6_NSA_18transform_iteratorINSB_9not_fun_tI7is_trueIsEEESF_NSA_11use_defaultESM_EENS0_5tupleIJSF_S6_EEENSO_IJSG_SG_EEES6_PlJS6_EEE10hipError_tPvRmT3_T4_T5_T6_T7_T9_mT8_P12ihipStream_tbDpT10_ENKUlT_T0_E_clISt17integral_constantIbLb1EES1B_EEDaS16_S17_EUlS16_E_NS1_11comp_targetILNS1_3genE0ELNS1_11target_archE4294967295ELNS1_3gpuE0ELNS1_3repE0EEENS1_30default_config_static_selectorELNS0_4arch9wavefront6targetE0EEEvT1_
	.globl	_ZN7rocprim17ROCPRIM_400000_NS6detail17trampoline_kernelINS0_14default_configENS1_25partition_config_selectorILNS1_17partition_subalgoE5EsNS0_10empty_typeEbEEZZNS1_14partition_implILS5_5ELb0ES3_mN6thrust23THRUST_200600_302600_NS6detail15normal_iteratorINSA_10device_ptrIsEEEEPS6_NSA_18transform_iteratorINSB_9not_fun_tI7is_trueIsEEESF_NSA_11use_defaultESM_EENS0_5tupleIJSF_S6_EEENSO_IJSG_SG_EEES6_PlJS6_EEE10hipError_tPvRmT3_T4_T5_T6_T7_T9_mT8_P12ihipStream_tbDpT10_ENKUlT_T0_E_clISt17integral_constantIbLb1EES1B_EEDaS16_S17_EUlS16_E_NS1_11comp_targetILNS1_3genE0ELNS1_11target_archE4294967295ELNS1_3gpuE0ELNS1_3repE0EEENS1_30default_config_static_selectorELNS0_4arch9wavefront6targetE0EEEvT1_
	.p2align	8
	.type	_ZN7rocprim17ROCPRIM_400000_NS6detail17trampoline_kernelINS0_14default_configENS1_25partition_config_selectorILNS1_17partition_subalgoE5EsNS0_10empty_typeEbEEZZNS1_14partition_implILS5_5ELb0ES3_mN6thrust23THRUST_200600_302600_NS6detail15normal_iteratorINSA_10device_ptrIsEEEEPS6_NSA_18transform_iteratorINSB_9not_fun_tI7is_trueIsEEESF_NSA_11use_defaultESM_EENS0_5tupleIJSF_S6_EEENSO_IJSG_SG_EEES6_PlJS6_EEE10hipError_tPvRmT3_T4_T5_T6_T7_T9_mT8_P12ihipStream_tbDpT10_ENKUlT_T0_E_clISt17integral_constantIbLb1EES1B_EEDaS16_S17_EUlS16_E_NS1_11comp_targetILNS1_3genE0ELNS1_11target_archE4294967295ELNS1_3gpuE0ELNS1_3repE0EEENS1_30default_config_static_selectorELNS0_4arch9wavefront6targetE0EEEvT1_,@function
_ZN7rocprim17ROCPRIM_400000_NS6detail17trampoline_kernelINS0_14default_configENS1_25partition_config_selectorILNS1_17partition_subalgoE5EsNS0_10empty_typeEbEEZZNS1_14partition_implILS5_5ELb0ES3_mN6thrust23THRUST_200600_302600_NS6detail15normal_iteratorINSA_10device_ptrIsEEEEPS6_NSA_18transform_iteratorINSB_9not_fun_tI7is_trueIsEEESF_NSA_11use_defaultESM_EENS0_5tupleIJSF_S6_EEENSO_IJSG_SG_EEES6_PlJS6_EEE10hipError_tPvRmT3_T4_T5_T6_T7_T9_mT8_P12ihipStream_tbDpT10_ENKUlT_T0_E_clISt17integral_constantIbLb1EES1B_EEDaS16_S17_EUlS16_E_NS1_11comp_targetILNS1_3genE0ELNS1_11target_archE4294967295ELNS1_3gpuE0ELNS1_3repE0EEENS1_30default_config_static_selectorELNS0_4arch9wavefront6targetE0EEEvT1_: ; @_ZN7rocprim17ROCPRIM_400000_NS6detail17trampoline_kernelINS0_14default_configENS1_25partition_config_selectorILNS1_17partition_subalgoE5EsNS0_10empty_typeEbEEZZNS1_14partition_implILS5_5ELb0ES3_mN6thrust23THRUST_200600_302600_NS6detail15normal_iteratorINSA_10device_ptrIsEEEEPS6_NSA_18transform_iteratorINSB_9not_fun_tI7is_trueIsEEESF_NSA_11use_defaultESM_EENS0_5tupleIJSF_S6_EEENSO_IJSG_SG_EEES6_PlJS6_EEE10hipError_tPvRmT3_T4_T5_T6_T7_T9_mT8_P12ihipStream_tbDpT10_ENKUlT_T0_E_clISt17integral_constantIbLb1EES1B_EEDaS16_S17_EUlS16_E_NS1_11comp_targetILNS1_3genE0ELNS1_11target_archE4294967295ELNS1_3gpuE0ELNS1_3repE0EEENS1_30default_config_static_selectorELNS0_4arch9wavefront6targetE0EEEvT1_
; %bb.0:
	.section	.rodata,"a",@progbits
	.p2align	6, 0x0
	.amdhsa_kernel _ZN7rocprim17ROCPRIM_400000_NS6detail17trampoline_kernelINS0_14default_configENS1_25partition_config_selectorILNS1_17partition_subalgoE5EsNS0_10empty_typeEbEEZZNS1_14partition_implILS5_5ELb0ES3_mN6thrust23THRUST_200600_302600_NS6detail15normal_iteratorINSA_10device_ptrIsEEEEPS6_NSA_18transform_iteratorINSB_9not_fun_tI7is_trueIsEEESF_NSA_11use_defaultESM_EENS0_5tupleIJSF_S6_EEENSO_IJSG_SG_EEES6_PlJS6_EEE10hipError_tPvRmT3_T4_T5_T6_T7_T9_mT8_P12ihipStream_tbDpT10_ENKUlT_T0_E_clISt17integral_constantIbLb1EES1B_EEDaS16_S17_EUlS16_E_NS1_11comp_targetILNS1_3genE0ELNS1_11target_archE4294967295ELNS1_3gpuE0ELNS1_3repE0EEENS1_30default_config_static_selectorELNS0_4arch9wavefront6targetE0EEEvT1_
		.amdhsa_group_segment_fixed_size 0
		.amdhsa_private_segment_fixed_size 0
		.amdhsa_kernarg_size 136
		.amdhsa_user_sgpr_count 2
		.amdhsa_user_sgpr_dispatch_ptr 0
		.amdhsa_user_sgpr_queue_ptr 0
		.amdhsa_user_sgpr_kernarg_segment_ptr 1
		.amdhsa_user_sgpr_dispatch_id 0
		.amdhsa_user_sgpr_private_segment_size 0
		.amdhsa_wavefront_size32 1
		.amdhsa_uses_dynamic_stack 0
		.amdhsa_enable_private_segment 0
		.amdhsa_system_sgpr_workgroup_id_x 1
		.amdhsa_system_sgpr_workgroup_id_y 0
		.amdhsa_system_sgpr_workgroup_id_z 0
		.amdhsa_system_sgpr_workgroup_info 0
		.amdhsa_system_vgpr_workitem_id 0
		.amdhsa_next_free_vgpr 1
		.amdhsa_next_free_sgpr 1
		.amdhsa_reserve_vcc 0
		.amdhsa_float_round_mode_32 0
		.amdhsa_float_round_mode_16_64 0
		.amdhsa_float_denorm_mode_32 3
		.amdhsa_float_denorm_mode_16_64 3
		.amdhsa_fp16_overflow 0
		.amdhsa_workgroup_processor_mode 1
		.amdhsa_memory_ordered 1
		.amdhsa_forward_progress 1
		.amdhsa_inst_pref_size 0
		.amdhsa_round_robin_scheduling 0
		.amdhsa_exception_fp_ieee_invalid_op 0
		.amdhsa_exception_fp_denorm_src 0
		.amdhsa_exception_fp_ieee_div_zero 0
		.amdhsa_exception_fp_ieee_overflow 0
		.amdhsa_exception_fp_ieee_underflow 0
		.amdhsa_exception_fp_ieee_inexact 0
		.amdhsa_exception_int_div_zero 0
	.end_amdhsa_kernel
	.section	.text._ZN7rocprim17ROCPRIM_400000_NS6detail17trampoline_kernelINS0_14default_configENS1_25partition_config_selectorILNS1_17partition_subalgoE5EsNS0_10empty_typeEbEEZZNS1_14partition_implILS5_5ELb0ES3_mN6thrust23THRUST_200600_302600_NS6detail15normal_iteratorINSA_10device_ptrIsEEEEPS6_NSA_18transform_iteratorINSB_9not_fun_tI7is_trueIsEEESF_NSA_11use_defaultESM_EENS0_5tupleIJSF_S6_EEENSO_IJSG_SG_EEES6_PlJS6_EEE10hipError_tPvRmT3_T4_T5_T6_T7_T9_mT8_P12ihipStream_tbDpT10_ENKUlT_T0_E_clISt17integral_constantIbLb1EES1B_EEDaS16_S17_EUlS16_E_NS1_11comp_targetILNS1_3genE0ELNS1_11target_archE4294967295ELNS1_3gpuE0ELNS1_3repE0EEENS1_30default_config_static_selectorELNS0_4arch9wavefront6targetE0EEEvT1_,"axG",@progbits,_ZN7rocprim17ROCPRIM_400000_NS6detail17trampoline_kernelINS0_14default_configENS1_25partition_config_selectorILNS1_17partition_subalgoE5EsNS0_10empty_typeEbEEZZNS1_14partition_implILS5_5ELb0ES3_mN6thrust23THRUST_200600_302600_NS6detail15normal_iteratorINSA_10device_ptrIsEEEEPS6_NSA_18transform_iteratorINSB_9not_fun_tI7is_trueIsEEESF_NSA_11use_defaultESM_EENS0_5tupleIJSF_S6_EEENSO_IJSG_SG_EEES6_PlJS6_EEE10hipError_tPvRmT3_T4_T5_T6_T7_T9_mT8_P12ihipStream_tbDpT10_ENKUlT_T0_E_clISt17integral_constantIbLb1EES1B_EEDaS16_S17_EUlS16_E_NS1_11comp_targetILNS1_3genE0ELNS1_11target_archE4294967295ELNS1_3gpuE0ELNS1_3repE0EEENS1_30default_config_static_selectorELNS0_4arch9wavefront6targetE0EEEvT1_,comdat
.Lfunc_end1541:
	.size	_ZN7rocprim17ROCPRIM_400000_NS6detail17trampoline_kernelINS0_14default_configENS1_25partition_config_selectorILNS1_17partition_subalgoE5EsNS0_10empty_typeEbEEZZNS1_14partition_implILS5_5ELb0ES3_mN6thrust23THRUST_200600_302600_NS6detail15normal_iteratorINSA_10device_ptrIsEEEEPS6_NSA_18transform_iteratorINSB_9not_fun_tI7is_trueIsEEESF_NSA_11use_defaultESM_EENS0_5tupleIJSF_S6_EEENSO_IJSG_SG_EEES6_PlJS6_EEE10hipError_tPvRmT3_T4_T5_T6_T7_T9_mT8_P12ihipStream_tbDpT10_ENKUlT_T0_E_clISt17integral_constantIbLb1EES1B_EEDaS16_S17_EUlS16_E_NS1_11comp_targetILNS1_3genE0ELNS1_11target_archE4294967295ELNS1_3gpuE0ELNS1_3repE0EEENS1_30default_config_static_selectorELNS0_4arch9wavefront6targetE0EEEvT1_, .Lfunc_end1541-_ZN7rocprim17ROCPRIM_400000_NS6detail17trampoline_kernelINS0_14default_configENS1_25partition_config_selectorILNS1_17partition_subalgoE5EsNS0_10empty_typeEbEEZZNS1_14partition_implILS5_5ELb0ES3_mN6thrust23THRUST_200600_302600_NS6detail15normal_iteratorINSA_10device_ptrIsEEEEPS6_NSA_18transform_iteratorINSB_9not_fun_tI7is_trueIsEEESF_NSA_11use_defaultESM_EENS0_5tupleIJSF_S6_EEENSO_IJSG_SG_EEES6_PlJS6_EEE10hipError_tPvRmT3_T4_T5_T6_T7_T9_mT8_P12ihipStream_tbDpT10_ENKUlT_T0_E_clISt17integral_constantIbLb1EES1B_EEDaS16_S17_EUlS16_E_NS1_11comp_targetILNS1_3genE0ELNS1_11target_archE4294967295ELNS1_3gpuE0ELNS1_3repE0EEENS1_30default_config_static_selectorELNS0_4arch9wavefront6targetE0EEEvT1_
                                        ; -- End function
	.set _ZN7rocprim17ROCPRIM_400000_NS6detail17trampoline_kernelINS0_14default_configENS1_25partition_config_selectorILNS1_17partition_subalgoE5EsNS0_10empty_typeEbEEZZNS1_14partition_implILS5_5ELb0ES3_mN6thrust23THRUST_200600_302600_NS6detail15normal_iteratorINSA_10device_ptrIsEEEEPS6_NSA_18transform_iteratorINSB_9not_fun_tI7is_trueIsEEESF_NSA_11use_defaultESM_EENS0_5tupleIJSF_S6_EEENSO_IJSG_SG_EEES6_PlJS6_EEE10hipError_tPvRmT3_T4_T5_T6_T7_T9_mT8_P12ihipStream_tbDpT10_ENKUlT_T0_E_clISt17integral_constantIbLb1EES1B_EEDaS16_S17_EUlS16_E_NS1_11comp_targetILNS1_3genE0ELNS1_11target_archE4294967295ELNS1_3gpuE0ELNS1_3repE0EEENS1_30default_config_static_selectorELNS0_4arch9wavefront6targetE0EEEvT1_.num_vgpr, 0
	.set _ZN7rocprim17ROCPRIM_400000_NS6detail17trampoline_kernelINS0_14default_configENS1_25partition_config_selectorILNS1_17partition_subalgoE5EsNS0_10empty_typeEbEEZZNS1_14partition_implILS5_5ELb0ES3_mN6thrust23THRUST_200600_302600_NS6detail15normal_iteratorINSA_10device_ptrIsEEEEPS6_NSA_18transform_iteratorINSB_9not_fun_tI7is_trueIsEEESF_NSA_11use_defaultESM_EENS0_5tupleIJSF_S6_EEENSO_IJSG_SG_EEES6_PlJS6_EEE10hipError_tPvRmT3_T4_T5_T6_T7_T9_mT8_P12ihipStream_tbDpT10_ENKUlT_T0_E_clISt17integral_constantIbLb1EES1B_EEDaS16_S17_EUlS16_E_NS1_11comp_targetILNS1_3genE0ELNS1_11target_archE4294967295ELNS1_3gpuE0ELNS1_3repE0EEENS1_30default_config_static_selectorELNS0_4arch9wavefront6targetE0EEEvT1_.num_agpr, 0
	.set _ZN7rocprim17ROCPRIM_400000_NS6detail17trampoline_kernelINS0_14default_configENS1_25partition_config_selectorILNS1_17partition_subalgoE5EsNS0_10empty_typeEbEEZZNS1_14partition_implILS5_5ELb0ES3_mN6thrust23THRUST_200600_302600_NS6detail15normal_iteratorINSA_10device_ptrIsEEEEPS6_NSA_18transform_iteratorINSB_9not_fun_tI7is_trueIsEEESF_NSA_11use_defaultESM_EENS0_5tupleIJSF_S6_EEENSO_IJSG_SG_EEES6_PlJS6_EEE10hipError_tPvRmT3_T4_T5_T6_T7_T9_mT8_P12ihipStream_tbDpT10_ENKUlT_T0_E_clISt17integral_constantIbLb1EES1B_EEDaS16_S17_EUlS16_E_NS1_11comp_targetILNS1_3genE0ELNS1_11target_archE4294967295ELNS1_3gpuE0ELNS1_3repE0EEENS1_30default_config_static_selectorELNS0_4arch9wavefront6targetE0EEEvT1_.numbered_sgpr, 0
	.set _ZN7rocprim17ROCPRIM_400000_NS6detail17trampoline_kernelINS0_14default_configENS1_25partition_config_selectorILNS1_17partition_subalgoE5EsNS0_10empty_typeEbEEZZNS1_14partition_implILS5_5ELb0ES3_mN6thrust23THRUST_200600_302600_NS6detail15normal_iteratorINSA_10device_ptrIsEEEEPS6_NSA_18transform_iteratorINSB_9not_fun_tI7is_trueIsEEESF_NSA_11use_defaultESM_EENS0_5tupleIJSF_S6_EEENSO_IJSG_SG_EEES6_PlJS6_EEE10hipError_tPvRmT3_T4_T5_T6_T7_T9_mT8_P12ihipStream_tbDpT10_ENKUlT_T0_E_clISt17integral_constantIbLb1EES1B_EEDaS16_S17_EUlS16_E_NS1_11comp_targetILNS1_3genE0ELNS1_11target_archE4294967295ELNS1_3gpuE0ELNS1_3repE0EEENS1_30default_config_static_selectorELNS0_4arch9wavefront6targetE0EEEvT1_.num_named_barrier, 0
	.set _ZN7rocprim17ROCPRIM_400000_NS6detail17trampoline_kernelINS0_14default_configENS1_25partition_config_selectorILNS1_17partition_subalgoE5EsNS0_10empty_typeEbEEZZNS1_14partition_implILS5_5ELb0ES3_mN6thrust23THRUST_200600_302600_NS6detail15normal_iteratorINSA_10device_ptrIsEEEEPS6_NSA_18transform_iteratorINSB_9not_fun_tI7is_trueIsEEESF_NSA_11use_defaultESM_EENS0_5tupleIJSF_S6_EEENSO_IJSG_SG_EEES6_PlJS6_EEE10hipError_tPvRmT3_T4_T5_T6_T7_T9_mT8_P12ihipStream_tbDpT10_ENKUlT_T0_E_clISt17integral_constantIbLb1EES1B_EEDaS16_S17_EUlS16_E_NS1_11comp_targetILNS1_3genE0ELNS1_11target_archE4294967295ELNS1_3gpuE0ELNS1_3repE0EEENS1_30default_config_static_selectorELNS0_4arch9wavefront6targetE0EEEvT1_.private_seg_size, 0
	.set _ZN7rocprim17ROCPRIM_400000_NS6detail17trampoline_kernelINS0_14default_configENS1_25partition_config_selectorILNS1_17partition_subalgoE5EsNS0_10empty_typeEbEEZZNS1_14partition_implILS5_5ELb0ES3_mN6thrust23THRUST_200600_302600_NS6detail15normal_iteratorINSA_10device_ptrIsEEEEPS6_NSA_18transform_iteratorINSB_9not_fun_tI7is_trueIsEEESF_NSA_11use_defaultESM_EENS0_5tupleIJSF_S6_EEENSO_IJSG_SG_EEES6_PlJS6_EEE10hipError_tPvRmT3_T4_T5_T6_T7_T9_mT8_P12ihipStream_tbDpT10_ENKUlT_T0_E_clISt17integral_constantIbLb1EES1B_EEDaS16_S17_EUlS16_E_NS1_11comp_targetILNS1_3genE0ELNS1_11target_archE4294967295ELNS1_3gpuE0ELNS1_3repE0EEENS1_30default_config_static_selectorELNS0_4arch9wavefront6targetE0EEEvT1_.uses_vcc, 0
	.set _ZN7rocprim17ROCPRIM_400000_NS6detail17trampoline_kernelINS0_14default_configENS1_25partition_config_selectorILNS1_17partition_subalgoE5EsNS0_10empty_typeEbEEZZNS1_14partition_implILS5_5ELb0ES3_mN6thrust23THRUST_200600_302600_NS6detail15normal_iteratorINSA_10device_ptrIsEEEEPS6_NSA_18transform_iteratorINSB_9not_fun_tI7is_trueIsEEESF_NSA_11use_defaultESM_EENS0_5tupleIJSF_S6_EEENSO_IJSG_SG_EEES6_PlJS6_EEE10hipError_tPvRmT3_T4_T5_T6_T7_T9_mT8_P12ihipStream_tbDpT10_ENKUlT_T0_E_clISt17integral_constantIbLb1EES1B_EEDaS16_S17_EUlS16_E_NS1_11comp_targetILNS1_3genE0ELNS1_11target_archE4294967295ELNS1_3gpuE0ELNS1_3repE0EEENS1_30default_config_static_selectorELNS0_4arch9wavefront6targetE0EEEvT1_.uses_flat_scratch, 0
	.set _ZN7rocprim17ROCPRIM_400000_NS6detail17trampoline_kernelINS0_14default_configENS1_25partition_config_selectorILNS1_17partition_subalgoE5EsNS0_10empty_typeEbEEZZNS1_14partition_implILS5_5ELb0ES3_mN6thrust23THRUST_200600_302600_NS6detail15normal_iteratorINSA_10device_ptrIsEEEEPS6_NSA_18transform_iteratorINSB_9not_fun_tI7is_trueIsEEESF_NSA_11use_defaultESM_EENS0_5tupleIJSF_S6_EEENSO_IJSG_SG_EEES6_PlJS6_EEE10hipError_tPvRmT3_T4_T5_T6_T7_T9_mT8_P12ihipStream_tbDpT10_ENKUlT_T0_E_clISt17integral_constantIbLb1EES1B_EEDaS16_S17_EUlS16_E_NS1_11comp_targetILNS1_3genE0ELNS1_11target_archE4294967295ELNS1_3gpuE0ELNS1_3repE0EEENS1_30default_config_static_selectorELNS0_4arch9wavefront6targetE0EEEvT1_.has_dyn_sized_stack, 0
	.set _ZN7rocprim17ROCPRIM_400000_NS6detail17trampoline_kernelINS0_14default_configENS1_25partition_config_selectorILNS1_17partition_subalgoE5EsNS0_10empty_typeEbEEZZNS1_14partition_implILS5_5ELb0ES3_mN6thrust23THRUST_200600_302600_NS6detail15normal_iteratorINSA_10device_ptrIsEEEEPS6_NSA_18transform_iteratorINSB_9not_fun_tI7is_trueIsEEESF_NSA_11use_defaultESM_EENS0_5tupleIJSF_S6_EEENSO_IJSG_SG_EEES6_PlJS6_EEE10hipError_tPvRmT3_T4_T5_T6_T7_T9_mT8_P12ihipStream_tbDpT10_ENKUlT_T0_E_clISt17integral_constantIbLb1EES1B_EEDaS16_S17_EUlS16_E_NS1_11comp_targetILNS1_3genE0ELNS1_11target_archE4294967295ELNS1_3gpuE0ELNS1_3repE0EEENS1_30default_config_static_selectorELNS0_4arch9wavefront6targetE0EEEvT1_.has_recursion, 0
	.set _ZN7rocprim17ROCPRIM_400000_NS6detail17trampoline_kernelINS0_14default_configENS1_25partition_config_selectorILNS1_17partition_subalgoE5EsNS0_10empty_typeEbEEZZNS1_14partition_implILS5_5ELb0ES3_mN6thrust23THRUST_200600_302600_NS6detail15normal_iteratorINSA_10device_ptrIsEEEEPS6_NSA_18transform_iteratorINSB_9not_fun_tI7is_trueIsEEESF_NSA_11use_defaultESM_EENS0_5tupleIJSF_S6_EEENSO_IJSG_SG_EEES6_PlJS6_EEE10hipError_tPvRmT3_T4_T5_T6_T7_T9_mT8_P12ihipStream_tbDpT10_ENKUlT_T0_E_clISt17integral_constantIbLb1EES1B_EEDaS16_S17_EUlS16_E_NS1_11comp_targetILNS1_3genE0ELNS1_11target_archE4294967295ELNS1_3gpuE0ELNS1_3repE0EEENS1_30default_config_static_selectorELNS0_4arch9wavefront6targetE0EEEvT1_.has_indirect_call, 0
	.section	.AMDGPU.csdata,"",@progbits
; Kernel info:
; codeLenInByte = 0
; TotalNumSgprs: 0
; NumVgprs: 0
; ScratchSize: 0
; MemoryBound: 0
; FloatMode: 240
; IeeeMode: 1
; LDSByteSize: 0 bytes/workgroup (compile time only)
; SGPRBlocks: 0
; VGPRBlocks: 0
; NumSGPRsForWavesPerEU: 1
; NumVGPRsForWavesPerEU: 1
; Occupancy: 16
; WaveLimiterHint : 0
; COMPUTE_PGM_RSRC2:SCRATCH_EN: 0
; COMPUTE_PGM_RSRC2:USER_SGPR: 2
; COMPUTE_PGM_RSRC2:TRAP_HANDLER: 0
; COMPUTE_PGM_RSRC2:TGID_X_EN: 1
; COMPUTE_PGM_RSRC2:TGID_Y_EN: 0
; COMPUTE_PGM_RSRC2:TGID_Z_EN: 0
; COMPUTE_PGM_RSRC2:TIDIG_COMP_CNT: 0
	.section	.text._ZN7rocprim17ROCPRIM_400000_NS6detail17trampoline_kernelINS0_14default_configENS1_25partition_config_selectorILNS1_17partition_subalgoE5EsNS0_10empty_typeEbEEZZNS1_14partition_implILS5_5ELb0ES3_mN6thrust23THRUST_200600_302600_NS6detail15normal_iteratorINSA_10device_ptrIsEEEEPS6_NSA_18transform_iteratorINSB_9not_fun_tI7is_trueIsEEESF_NSA_11use_defaultESM_EENS0_5tupleIJSF_S6_EEENSO_IJSG_SG_EEES6_PlJS6_EEE10hipError_tPvRmT3_T4_T5_T6_T7_T9_mT8_P12ihipStream_tbDpT10_ENKUlT_T0_E_clISt17integral_constantIbLb1EES1B_EEDaS16_S17_EUlS16_E_NS1_11comp_targetILNS1_3genE5ELNS1_11target_archE942ELNS1_3gpuE9ELNS1_3repE0EEENS1_30default_config_static_selectorELNS0_4arch9wavefront6targetE0EEEvT1_,"axG",@progbits,_ZN7rocprim17ROCPRIM_400000_NS6detail17trampoline_kernelINS0_14default_configENS1_25partition_config_selectorILNS1_17partition_subalgoE5EsNS0_10empty_typeEbEEZZNS1_14partition_implILS5_5ELb0ES3_mN6thrust23THRUST_200600_302600_NS6detail15normal_iteratorINSA_10device_ptrIsEEEEPS6_NSA_18transform_iteratorINSB_9not_fun_tI7is_trueIsEEESF_NSA_11use_defaultESM_EENS0_5tupleIJSF_S6_EEENSO_IJSG_SG_EEES6_PlJS6_EEE10hipError_tPvRmT3_T4_T5_T6_T7_T9_mT8_P12ihipStream_tbDpT10_ENKUlT_T0_E_clISt17integral_constantIbLb1EES1B_EEDaS16_S17_EUlS16_E_NS1_11comp_targetILNS1_3genE5ELNS1_11target_archE942ELNS1_3gpuE9ELNS1_3repE0EEENS1_30default_config_static_selectorELNS0_4arch9wavefront6targetE0EEEvT1_,comdat
	.protected	_ZN7rocprim17ROCPRIM_400000_NS6detail17trampoline_kernelINS0_14default_configENS1_25partition_config_selectorILNS1_17partition_subalgoE5EsNS0_10empty_typeEbEEZZNS1_14partition_implILS5_5ELb0ES3_mN6thrust23THRUST_200600_302600_NS6detail15normal_iteratorINSA_10device_ptrIsEEEEPS6_NSA_18transform_iteratorINSB_9not_fun_tI7is_trueIsEEESF_NSA_11use_defaultESM_EENS0_5tupleIJSF_S6_EEENSO_IJSG_SG_EEES6_PlJS6_EEE10hipError_tPvRmT3_T4_T5_T6_T7_T9_mT8_P12ihipStream_tbDpT10_ENKUlT_T0_E_clISt17integral_constantIbLb1EES1B_EEDaS16_S17_EUlS16_E_NS1_11comp_targetILNS1_3genE5ELNS1_11target_archE942ELNS1_3gpuE9ELNS1_3repE0EEENS1_30default_config_static_selectorELNS0_4arch9wavefront6targetE0EEEvT1_ ; -- Begin function _ZN7rocprim17ROCPRIM_400000_NS6detail17trampoline_kernelINS0_14default_configENS1_25partition_config_selectorILNS1_17partition_subalgoE5EsNS0_10empty_typeEbEEZZNS1_14partition_implILS5_5ELb0ES3_mN6thrust23THRUST_200600_302600_NS6detail15normal_iteratorINSA_10device_ptrIsEEEEPS6_NSA_18transform_iteratorINSB_9not_fun_tI7is_trueIsEEESF_NSA_11use_defaultESM_EENS0_5tupleIJSF_S6_EEENSO_IJSG_SG_EEES6_PlJS6_EEE10hipError_tPvRmT3_T4_T5_T6_T7_T9_mT8_P12ihipStream_tbDpT10_ENKUlT_T0_E_clISt17integral_constantIbLb1EES1B_EEDaS16_S17_EUlS16_E_NS1_11comp_targetILNS1_3genE5ELNS1_11target_archE942ELNS1_3gpuE9ELNS1_3repE0EEENS1_30default_config_static_selectorELNS0_4arch9wavefront6targetE0EEEvT1_
	.globl	_ZN7rocprim17ROCPRIM_400000_NS6detail17trampoline_kernelINS0_14default_configENS1_25partition_config_selectorILNS1_17partition_subalgoE5EsNS0_10empty_typeEbEEZZNS1_14partition_implILS5_5ELb0ES3_mN6thrust23THRUST_200600_302600_NS6detail15normal_iteratorINSA_10device_ptrIsEEEEPS6_NSA_18transform_iteratorINSB_9not_fun_tI7is_trueIsEEESF_NSA_11use_defaultESM_EENS0_5tupleIJSF_S6_EEENSO_IJSG_SG_EEES6_PlJS6_EEE10hipError_tPvRmT3_T4_T5_T6_T7_T9_mT8_P12ihipStream_tbDpT10_ENKUlT_T0_E_clISt17integral_constantIbLb1EES1B_EEDaS16_S17_EUlS16_E_NS1_11comp_targetILNS1_3genE5ELNS1_11target_archE942ELNS1_3gpuE9ELNS1_3repE0EEENS1_30default_config_static_selectorELNS0_4arch9wavefront6targetE0EEEvT1_
	.p2align	8
	.type	_ZN7rocprim17ROCPRIM_400000_NS6detail17trampoline_kernelINS0_14default_configENS1_25partition_config_selectorILNS1_17partition_subalgoE5EsNS0_10empty_typeEbEEZZNS1_14partition_implILS5_5ELb0ES3_mN6thrust23THRUST_200600_302600_NS6detail15normal_iteratorINSA_10device_ptrIsEEEEPS6_NSA_18transform_iteratorINSB_9not_fun_tI7is_trueIsEEESF_NSA_11use_defaultESM_EENS0_5tupleIJSF_S6_EEENSO_IJSG_SG_EEES6_PlJS6_EEE10hipError_tPvRmT3_T4_T5_T6_T7_T9_mT8_P12ihipStream_tbDpT10_ENKUlT_T0_E_clISt17integral_constantIbLb1EES1B_EEDaS16_S17_EUlS16_E_NS1_11comp_targetILNS1_3genE5ELNS1_11target_archE942ELNS1_3gpuE9ELNS1_3repE0EEENS1_30default_config_static_selectorELNS0_4arch9wavefront6targetE0EEEvT1_,@function
_ZN7rocprim17ROCPRIM_400000_NS6detail17trampoline_kernelINS0_14default_configENS1_25partition_config_selectorILNS1_17partition_subalgoE5EsNS0_10empty_typeEbEEZZNS1_14partition_implILS5_5ELb0ES3_mN6thrust23THRUST_200600_302600_NS6detail15normal_iteratorINSA_10device_ptrIsEEEEPS6_NSA_18transform_iteratorINSB_9not_fun_tI7is_trueIsEEESF_NSA_11use_defaultESM_EENS0_5tupleIJSF_S6_EEENSO_IJSG_SG_EEES6_PlJS6_EEE10hipError_tPvRmT3_T4_T5_T6_T7_T9_mT8_P12ihipStream_tbDpT10_ENKUlT_T0_E_clISt17integral_constantIbLb1EES1B_EEDaS16_S17_EUlS16_E_NS1_11comp_targetILNS1_3genE5ELNS1_11target_archE942ELNS1_3gpuE9ELNS1_3repE0EEENS1_30default_config_static_selectorELNS0_4arch9wavefront6targetE0EEEvT1_: ; @_ZN7rocprim17ROCPRIM_400000_NS6detail17trampoline_kernelINS0_14default_configENS1_25partition_config_selectorILNS1_17partition_subalgoE5EsNS0_10empty_typeEbEEZZNS1_14partition_implILS5_5ELb0ES3_mN6thrust23THRUST_200600_302600_NS6detail15normal_iteratorINSA_10device_ptrIsEEEEPS6_NSA_18transform_iteratorINSB_9not_fun_tI7is_trueIsEEESF_NSA_11use_defaultESM_EENS0_5tupleIJSF_S6_EEENSO_IJSG_SG_EEES6_PlJS6_EEE10hipError_tPvRmT3_T4_T5_T6_T7_T9_mT8_P12ihipStream_tbDpT10_ENKUlT_T0_E_clISt17integral_constantIbLb1EES1B_EEDaS16_S17_EUlS16_E_NS1_11comp_targetILNS1_3genE5ELNS1_11target_archE942ELNS1_3gpuE9ELNS1_3repE0EEENS1_30default_config_static_selectorELNS0_4arch9wavefront6targetE0EEEvT1_
; %bb.0:
	.section	.rodata,"a",@progbits
	.p2align	6, 0x0
	.amdhsa_kernel _ZN7rocprim17ROCPRIM_400000_NS6detail17trampoline_kernelINS0_14default_configENS1_25partition_config_selectorILNS1_17partition_subalgoE5EsNS0_10empty_typeEbEEZZNS1_14partition_implILS5_5ELb0ES3_mN6thrust23THRUST_200600_302600_NS6detail15normal_iteratorINSA_10device_ptrIsEEEEPS6_NSA_18transform_iteratorINSB_9not_fun_tI7is_trueIsEEESF_NSA_11use_defaultESM_EENS0_5tupleIJSF_S6_EEENSO_IJSG_SG_EEES6_PlJS6_EEE10hipError_tPvRmT3_T4_T5_T6_T7_T9_mT8_P12ihipStream_tbDpT10_ENKUlT_T0_E_clISt17integral_constantIbLb1EES1B_EEDaS16_S17_EUlS16_E_NS1_11comp_targetILNS1_3genE5ELNS1_11target_archE942ELNS1_3gpuE9ELNS1_3repE0EEENS1_30default_config_static_selectorELNS0_4arch9wavefront6targetE0EEEvT1_
		.amdhsa_group_segment_fixed_size 0
		.amdhsa_private_segment_fixed_size 0
		.amdhsa_kernarg_size 136
		.amdhsa_user_sgpr_count 2
		.amdhsa_user_sgpr_dispatch_ptr 0
		.amdhsa_user_sgpr_queue_ptr 0
		.amdhsa_user_sgpr_kernarg_segment_ptr 1
		.amdhsa_user_sgpr_dispatch_id 0
		.amdhsa_user_sgpr_private_segment_size 0
		.amdhsa_wavefront_size32 1
		.amdhsa_uses_dynamic_stack 0
		.amdhsa_enable_private_segment 0
		.amdhsa_system_sgpr_workgroup_id_x 1
		.amdhsa_system_sgpr_workgroup_id_y 0
		.amdhsa_system_sgpr_workgroup_id_z 0
		.amdhsa_system_sgpr_workgroup_info 0
		.amdhsa_system_vgpr_workitem_id 0
		.amdhsa_next_free_vgpr 1
		.amdhsa_next_free_sgpr 1
		.amdhsa_reserve_vcc 0
		.amdhsa_float_round_mode_32 0
		.amdhsa_float_round_mode_16_64 0
		.amdhsa_float_denorm_mode_32 3
		.amdhsa_float_denorm_mode_16_64 3
		.amdhsa_fp16_overflow 0
		.amdhsa_workgroup_processor_mode 1
		.amdhsa_memory_ordered 1
		.amdhsa_forward_progress 1
		.amdhsa_inst_pref_size 0
		.amdhsa_round_robin_scheduling 0
		.amdhsa_exception_fp_ieee_invalid_op 0
		.amdhsa_exception_fp_denorm_src 0
		.amdhsa_exception_fp_ieee_div_zero 0
		.amdhsa_exception_fp_ieee_overflow 0
		.amdhsa_exception_fp_ieee_underflow 0
		.amdhsa_exception_fp_ieee_inexact 0
		.amdhsa_exception_int_div_zero 0
	.end_amdhsa_kernel
	.section	.text._ZN7rocprim17ROCPRIM_400000_NS6detail17trampoline_kernelINS0_14default_configENS1_25partition_config_selectorILNS1_17partition_subalgoE5EsNS0_10empty_typeEbEEZZNS1_14partition_implILS5_5ELb0ES3_mN6thrust23THRUST_200600_302600_NS6detail15normal_iteratorINSA_10device_ptrIsEEEEPS6_NSA_18transform_iteratorINSB_9not_fun_tI7is_trueIsEEESF_NSA_11use_defaultESM_EENS0_5tupleIJSF_S6_EEENSO_IJSG_SG_EEES6_PlJS6_EEE10hipError_tPvRmT3_T4_T5_T6_T7_T9_mT8_P12ihipStream_tbDpT10_ENKUlT_T0_E_clISt17integral_constantIbLb1EES1B_EEDaS16_S17_EUlS16_E_NS1_11comp_targetILNS1_3genE5ELNS1_11target_archE942ELNS1_3gpuE9ELNS1_3repE0EEENS1_30default_config_static_selectorELNS0_4arch9wavefront6targetE0EEEvT1_,"axG",@progbits,_ZN7rocprim17ROCPRIM_400000_NS6detail17trampoline_kernelINS0_14default_configENS1_25partition_config_selectorILNS1_17partition_subalgoE5EsNS0_10empty_typeEbEEZZNS1_14partition_implILS5_5ELb0ES3_mN6thrust23THRUST_200600_302600_NS6detail15normal_iteratorINSA_10device_ptrIsEEEEPS6_NSA_18transform_iteratorINSB_9not_fun_tI7is_trueIsEEESF_NSA_11use_defaultESM_EENS0_5tupleIJSF_S6_EEENSO_IJSG_SG_EEES6_PlJS6_EEE10hipError_tPvRmT3_T4_T5_T6_T7_T9_mT8_P12ihipStream_tbDpT10_ENKUlT_T0_E_clISt17integral_constantIbLb1EES1B_EEDaS16_S17_EUlS16_E_NS1_11comp_targetILNS1_3genE5ELNS1_11target_archE942ELNS1_3gpuE9ELNS1_3repE0EEENS1_30default_config_static_selectorELNS0_4arch9wavefront6targetE0EEEvT1_,comdat
.Lfunc_end1542:
	.size	_ZN7rocprim17ROCPRIM_400000_NS6detail17trampoline_kernelINS0_14default_configENS1_25partition_config_selectorILNS1_17partition_subalgoE5EsNS0_10empty_typeEbEEZZNS1_14partition_implILS5_5ELb0ES3_mN6thrust23THRUST_200600_302600_NS6detail15normal_iteratorINSA_10device_ptrIsEEEEPS6_NSA_18transform_iteratorINSB_9not_fun_tI7is_trueIsEEESF_NSA_11use_defaultESM_EENS0_5tupleIJSF_S6_EEENSO_IJSG_SG_EEES6_PlJS6_EEE10hipError_tPvRmT3_T4_T5_T6_T7_T9_mT8_P12ihipStream_tbDpT10_ENKUlT_T0_E_clISt17integral_constantIbLb1EES1B_EEDaS16_S17_EUlS16_E_NS1_11comp_targetILNS1_3genE5ELNS1_11target_archE942ELNS1_3gpuE9ELNS1_3repE0EEENS1_30default_config_static_selectorELNS0_4arch9wavefront6targetE0EEEvT1_, .Lfunc_end1542-_ZN7rocprim17ROCPRIM_400000_NS6detail17trampoline_kernelINS0_14default_configENS1_25partition_config_selectorILNS1_17partition_subalgoE5EsNS0_10empty_typeEbEEZZNS1_14partition_implILS5_5ELb0ES3_mN6thrust23THRUST_200600_302600_NS6detail15normal_iteratorINSA_10device_ptrIsEEEEPS6_NSA_18transform_iteratorINSB_9not_fun_tI7is_trueIsEEESF_NSA_11use_defaultESM_EENS0_5tupleIJSF_S6_EEENSO_IJSG_SG_EEES6_PlJS6_EEE10hipError_tPvRmT3_T4_T5_T6_T7_T9_mT8_P12ihipStream_tbDpT10_ENKUlT_T0_E_clISt17integral_constantIbLb1EES1B_EEDaS16_S17_EUlS16_E_NS1_11comp_targetILNS1_3genE5ELNS1_11target_archE942ELNS1_3gpuE9ELNS1_3repE0EEENS1_30default_config_static_selectorELNS0_4arch9wavefront6targetE0EEEvT1_
                                        ; -- End function
	.set _ZN7rocprim17ROCPRIM_400000_NS6detail17trampoline_kernelINS0_14default_configENS1_25partition_config_selectorILNS1_17partition_subalgoE5EsNS0_10empty_typeEbEEZZNS1_14partition_implILS5_5ELb0ES3_mN6thrust23THRUST_200600_302600_NS6detail15normal_iteratorINSA_10device_ptrIsEEEEPS6_NSA_18transform_iteratorINSB_9not_fun_tI7is_trueIsEEESF_NSA_11use_defaultESM_EENS0_5tupleIJSF_S6_EEENSO_IJSG_SG_EEES6_PlJS6_EEE10hipError_tPvRmT3_T4_T5_T6_T7_T9_mT8_P12ihipStream_tbDpT10_ENKUlT_T0_E_clISt17integral_constantIbLb1EES1B_EEDaS16_S17_EUlS16_E_NS1_11comp_targetILNS1_3genE5ELNS1_11target_archE942ELNS1_3gpuE9ELNS1_3repE0EEENS1_30default_config_static_selectorELNS0_4arch9wavefront6targetE0EEEvT1_.num_vgpr, 0
	.set _ZN7rocprim17ROCPRIM_400000_NS6detail17trampoline_kernelINS0_14default_configENS1_25partition_config_selectorILNS1_17partition_subalgoE5EsNS0_10empty_typeEbEEZZNS1_14partition_implILS5_5ELb0ES3_mN6thrust23THRUST_200600_302600_NS6detail15normal_iteratorINSA_10device_ptrIsEEEEPS6_NSA_18transform_iteratorINSB_9not_fun_tI7is_trueIsEEESF_NSA_11use_defaultESM_EENS0_5tupleIJSF_S6_EEENSO_IJSG_SG_EEES6_PlJS6_EEE10hipError_tPvRmT3_T4_T5_T6_T7_T9_mT8_P12ihipStream_tbDpT10_ENKUlT_T0_E_clISt17integral_constantIbLb1EES1B_EEDaS16_S17_EUlS16_E_NS1_11comp_targetILNS1_3genE5ELNS1_11target_archE942ELNS1_3gpuE9ELNS1_3repE0EEENS1_30default_config_static_selectorELNS0_4arch9wavefront6targetE0EEEvT1_.num_agpr, 0
	.set _ZN7rocprim17ROCPRIM_400000_NS6detail17trampoline_kernelINS0_14default_configENS1_25partition_config_selectorILNS1_17partition_subalgoE5EsNS0_10empty_typeEbEEZZNS1_14partition_implILS5_5ELb0ES3_mN6thrust23THRUST_200600_302600_NS6detail15normal_iteratorINSA_10device_ptrIsEEEEPS6_NSA_18transform_iteratorINSB_9not_fun_tI7is_trueIsEEESF_NSA_11use_defaultESM_EENS0_5tupleIJSF_S6_EEENSO_IJSG_SG_EEES6_PlJS6_EEE10hipError_tPvRmT3_T4_T5_T6_T7_T9_mT8_P12ihipStream_tbDpT10_ENKUlT_T0_E_clISt17integral_constantIbLb1EES1B_EEDaS16_S17_EUlS16_E_NS1_11comp_targetILNS1_3genE5ELNS1_11target_archE942ELNS1_3gpuE9ELNS1_3repE0EEENS1_30default_config_static_selectorELNS0_4arch9wavefront6targetE0EEEvT1_.numbered_sgpr, 0
	.set _ZN7rocprim17ROCPRIM_400000_NS6detail17trampoline_kernelINS0_14default_configENS1_25partition_config_selectorILNS1_17partition_subalgoE5EsNS0_10empty_typeEbEEZZNS1_14partition_implILS5_5ELb0ES3_mN6thrust23THRUST_200600_302600_NS6detail15normal_iteratorINSA_10device_ptrIsEEEEPS6_NSA_18transform_iteratorINSB_9not_fun_tI7is_trueIsEEESF_NSA_11use_defaultESM_EENS0_5tupleIJSF_S6_EEENSO_IJSG_SG_EEES6_PlJS6_EEE10hipError_tPvRmT3_T4_T5_T6_T7_T9_mT8_P12ihipStream_tbDpT10_ENKUlT_T0_E_clISt17integral_constantIbLb1EES1B_EEDaS16_S17_EUlS16_E_NS1_11comp_targetILNS1_3genE5ELNS1_11target_archE942ELNS1_3gpuE9ELNS1_3repE0EEENS1_30default_config_static_selectorELNS0_4arch9wavefront6targetE0EEEvT1_.num_named_barrier, 0
	.set _ZN7rocprim17ROCPRIM_400000_NS6detail17trampoline_kernelINS0_14default_configENS1_25partition_config_selectorILNS1_17partition_subalgoE5EsNS0_10empty_typeEbEEZZNS1_14partition_implILS5_5ELb0ES3_mN6thrust23THRUST_200600_302600_NS6detail15normal_iteratorINSA_10device_ptrIsEEEEPS6_NSA_18transform_iteratorINSB_9not_fun_tI7is_trueIsEEESF_NSA_11use_defaultESM_EENS0_5tupleIJSF_S6_EEENSO_IJSG_SG_EEES6_PlJS6_EEE10hipError_tPvRmT3_T4_T5_T6_T7_T9_mT8_P12ihipStream_tbDpT10_ENKUlT_T0_E_clISt17integral_constantIbLb1EES1B_EEDaS16_S17_EUlS16_E_NS1_11comp_targetILNS1_3genE5ELNS1_11target_archE942ELNS1_3gpuE9ELNS1_3repE0EEENS1_30default_config_static_selectorELNS0_4arch9wavefront6targetE0EEEvT1_.private_seg_size, 0
	.set _ZN7rocprim17ROCPRIM_400000_NS6detail17trampoline_kernelINS0_14default_configENS1_25partition_config_selectorILNS1_17partition_subalgoE5EsNS0_10empty_typeEbEEZZNS1_14partition_implILS5_5ELb0ES3_mN6thrust23THRUST_200600_302600_NS6detail15normal_iteratorINSA_10device_ptrIsEEEEPS6_NSA_18transform_iteratorINSB_9not_fun_tI7is_trueIsEEESF_NSA_11use_defaultESM_EENS0_5tupleIJSF_S6_EEENSO_IJSG_SG_EEES6_PlJS6_EEE10hipError_tPvRmT3_T4_T5_T6_T7_T9_mT8_P12ihipStream_tbDpT10_ENKUlT_T0_E_clISt17integral_constantIbLb1EES1B_EEDaS16_S17_EUlS16_E_NS1_11comp_targetILNS1_3genE5ELNS1_11target_archE942ELNS1_3gpuE9ELNS1_3repE0EEENS1_30default_config_static_selectorELNS0_4arch9wavefront6targetE0EEEvT1_.uses_vcc, 0
	.set _ZN7rocprim17ROCPRIM_400000_NS6detail17trampoline_kernelINS0_14default_configENS1_25partition_config_selectorILNS1_17partition_subalgoE5EsNS0_10empty_typeEbEEZZNS1_14partition_implILS5_5ELb0ES3_mN6thrust23THRUST_200600_302600_NS6detail15normal_iteratorINSA_10device_ptrIsEEEEPS6_NSA_18transform_iteratorINSB_9not_fun_tI7is_trueIsEEESF_NSA_11use_defaultESM_EENS0_5tupleIJSF_S6_EEENSO_IJSG_SG_EEES6_PlJS6_EEE10hipError_tPvRmT3_T4_T5_T6_T7_T9_mT8_P12ihipStream_tbDpT10_ENKUlT_T0_E_clISt17integral_constantIbLb1EES1B_EEDaS16_S17_EUlS16_E_NS1_11comp_targetILNS1_3genE5ELNS1_11target_archE942ELNS1_3gpuE9ELNS1_3repE0EEENS1_30default_config_static_selectorELNS0_4arch9wavefront6targetE0EEEvT1_.uses_flat_scratch, 0
	.set _ZN7rocprim17ROCPRIM_400000_NS6detail17trampoline_kernelINS0_14default_configENS1_25partition_config_selectorILNS1_17partition_subalgoE5EsNS0_10empty_typeEbEEZZNS1_14partition_implILS5_5ELb0ES3_mN6thrust23THRUST_200600_302600_NS6detail15normal_iteratorINSA_10device_ptrIsEEEEPS6_NSA_18transform_iteratorINSB_9not_fun_tI7is_trueIsEEESF_NSA_11use_defaultESM_EENS0_5tupleIJSF_S6_EEENSO_IJSG_SG_EEES6_PlJS6_EEE10hipError_tPvRmT3_T4_T5_T6_T7_T9_mT8_P12ihipStream_tbDpT10_ENKUlT_T0_E_clISt17integral_constantIbLb1EES1B_EEDaS16_S17_EUlS16_E_NS1_11comp_targetILNS1_3genE5ELNS1_11target_archE942ELNS1_3gpuE9ELNS1_3repE0EEENS1_30default_config_static_selectorELNS0_4arch9wavefront6targetE0EEEvT1_.has_dyn_sized_stack, 0
	.set _ZN7rocprim17ROCPRIM_400000_NS6detail17trampoline_kernelINS0_14default_configENS1_25partition_config_selectorILNS1_17partition_subalgoE5EsNS0_10empty_typeEbEEZZNS1_14partition_implILS5_5ELb0ES3_mN6thrust23THRUST_200600_302600_NS6detail15normal_iteratorINSA_10device_ptrIsEEEEPS6_NSA_18transform_iteratorINSB_9not_fun_tI7is_trueIsEEESF_NSA_11use_defaultESM_EENS0_5tupleIJSF_S6_EEENSO_IJSG_SG_EEES6_PlJS6_EEE10hipError_tPvRmT3_T4_T5_T6_T7_T9_mT8_P12ihipStream_tbDpT10_ENKUlT_T0_E_clISt17integral_constantIbLb1EES1B_EEDaS16_S17_EUlS16_E_NS1_11comp_targetILNS1_3genE5ELNS1_11target_archE942ELNS1_3gpuE9ELNS1_3repE0EEENS1_30default_config_static_selectorELNS0_4arch9wavefront6targetE0EEEvT1_.has_recursion, 0
	.set _ZN7rocprim17ROCPRIM_400000_NS6detail17trampoline_kernelINS0_14default_configENS1_25partition_config_selectorILNS1_17partition_subalgoE5EsNS0_10empty_typeEbEEZZNS1_14partition_implILS5_5ELb0ES3_mN6thrust23THRUST_200600_302600_NS6detail15normal_iteratorINSA_10device_ptrIsEEEEPS6_NSA_18transform_iteratorINSB_9not_fun_tI7is_trueIsEEESF_NSA_11use_defaultESM_EENS0_5tupleIJSF_S6_EEENSO_IJSG_SG_EEES6_PlJS6_EEE10hipError_tPvRmT3_T4_T5_T6_T7_T9_mT8_P12ihipStream_tbDpT10_ENKUlT_T0_E_clISt17integral_constantIbLb1EES1B_EEDaS16_S17_EUlS16_E_NS1_11comp_targetILNS1_3genE5ELNS1_11target_archE942ELNS1_3gpuE9ELNS1_3repE0EEENS1_30default_config_static_selectorELNS0_4arch9wavefront6targetE0EEEvT1_.has_indirect_call, 0
	.section	.AMDGPU.csdata,"",@progbits
; Kernel info:
; codeLenInByte = 0
; TotalNumSgprs: 0
; NumVgprs: 0
; ScratchSize: 0
; MemoryBound: 0
; FloatMode: 240
; IeeeMode: 1
; LDSByteSize: 0 bytes/workgroup (compile time only)
; SGPRBlocks: 0
; VGPRBlocks: 0
; NumSGPRsForWavesPerEU: 1
; NumVGPRsForWavesPerEU: 1
; Occupancy: 16
; WaveLimiterHint : 0
; COMPUTE_PGM_RSRC2:SCRATCH_EN: 0
; COMPUTE_PGM_RSRC2:USER_SGPR: 2
; COMPUTE_PGM_RSRC2:TRAP_HANDLER: 0
; COMPUTE_PGM_RSRC2:TGID_X_EN: 1
; COMPUTE_PGM_RSRC2:TGID_Y_EN: 0
; COMPUTE_PGM_RSRC2:TGID_Z_EN: 0
; COMPUTE_PGM_RSRC2:TIDIG_COMP_CNT: 0
	.section	.text._ZN7rocprim17ROCPRIM_400000_NS6detail17trampoline_kernelINS0_14default_configENS1_25partition_config_selectorILNS1_17partition_subalgoE5EsNS0_10empty_typeEbEEZZNS1_14partition_implILS5_5ELb0ES3_mN6thrust23THRUST_200600_302600_NS6detail15normal_iteratorINSA_10device_ptrIsEEEEPS6_NSA_18transform_iteratorINSB_9not_fun_tI7is_trueIsEEESF_NSA_11use_defaultESM_EENS0_5tupleIJSF_S6_EEENSO_IJSG_SG_EEES6_PlJS6_EEE10hipError_tPvRmT3_T4_T5_T6_T7_T9_mT8_P12ihipStream_tbDpT10_ENKUlT_T0_E_clISt17integral_constantIbLb1EES1B_EEDaS16_S17_EUlS16_E_NS1_11comp_targetILNS1_3genE4ELNS1_11target_archE910ELNS1_3gpuE8ELNS1_3repE0EEENS1_30default_config_static_selectorELNS0_4arch9wavefront6targetE0EEEvT1_,"axG",@progbits,_ZN7rocprim17ROCPRIM_400000_NS6detail17trampoline_kernelINS0_14default_configENS1_25partition_config_selectorILNS1_17partition_subalgoE5EsNS0_10empty_typeEbEEZZNS1_14partition_implILS5_5ELb0ES3_mN6thrust23THRUST_200600_302600_NS6detail15normal_iteratorINSA_10device_ptrIsEEEEPS6_NSA_18transform_iteratorINSB_9not_fun_tI7is_trueIsEEESF_NSA_11use_defaultESM_EENS0_5tupleIJSF_S6_EEENSO_IJSG_SG_EEES6_PlJS6_EEE10hipError_tPvRmT3_T4_T5_T6_T7_T9_mT8_P12ihipStream_tbDpT10_ENKUlT_T0_E_clISt17integral_constantIbLb1EES1B_EEDaS16_S17_EUlS16_E_NS1_11comp_targetILNS1_3genE4ELNS1_11target_archE910ELNS1_3gpuE8ELNS1_3repE0EEENS1_30default_config_static_selectorELNS0_4arch9wavefront6targetE0EEEvT1_,comdat
	.protected	_ZN7rocprim17ROCPRIM_400000_NS6detail17trampoline_kernelINS0_14default_configENS1_25partition_config_selectorILNS1_17partition_subalgoE5EsNS0_10empty_typeEbEEZZNS1_14partition_implILS5_5ELb0ES3_mN6thrust23THRUST_200600_302600_NS6detail15normal_iteratorINSA_10device_ptrIsEEEEPS6_NSA_18transform_iteratorINSB_9not_fun_tI7is_trueIsEEESF_NSA_11use_defaultESM_EENS0_5tupleIJSF_S6_EEENSO_IJSG_SG_EEES6_PlJS6_EEE10hipError_tPvRmT3_T4_T5_T6_T7_T9_mT8_P12ihipStream_tbDpT10_ENKUlT_T0_E_clISt17integral_constantIbLb1EES1B_EEDaS16_S17_EUlS16_E_NS1_11comp_targetILNS1_3genE4ELNS1_11target_archE910ELNS1_3gpuE8ELNS1_3repE0EEENS1_30default_config_static_selectorELNS0_4arch9wavefront6targetE0EEEvT1_ ; -- Begin function _ZN7rocprim17ROCPRIM_400000_NS6detail17trampoline_kernelINS0_14default_configENS1_25partition_config_selectorILNS1_17partition_subalgoE5EsNS0_10empty_typeEbEEZZNS1_14partition_implILS5_5ELb0ES3_mN6thrust23THRUST_200600_302600_NS6detail15normal_iteratorINSA_10device_ptrIsEEEEPS6_NSA_18transform_iteratorINSB_9not_fun_tI7is_trueIsEEESF_NSA_11use_defaultESM_EENS0_5tupleIJSF_S6_EEENSO_IJSG_SG_EEES6_PlJS6_EEE10hipError_tPvRmT3_T4_T5_T6_T7_T9_mT8_P12ihipStream_tbDpT10_ENKUlT_T0_E_clISt17integral_constantIbLb1EES1B_EEDaS16_S17_EUlS16_E_NS1_11comp_targetILNS1_3genE4ELNS1_11target_archE910ELNS1_3gpuE8ELNS1_3repE0EEENS1_30default_config_static_selectorELNS0_4arch9wavefront6targetE0EEEvT1_
	.globl	_ZN7rocprim17ROCPRIM_400000_NS6detail17trampoline_kernelINS0_14default_configENS1_25partition_config_selectorILNS1_17partition_subalgoE5EsNS0_10empty_typeEbEEZZNS1_14partition_implILS5_5ELb0ES3_mN6thrust23THRUST_200600_302600_NS6detail15normal_iteratorINSA_10device_ptrIsEEEEPS6_NSA_18transform_iteratorINSB_9not_fun_tI7is_trueIsEEESF_NSA_11use_defaultESM_EENS0_5tupleIJSF_S6_EEENSO_IJSG_SG_EEES6_PlJS6_EEE10hipError_tPvRmT3_T4_T5_T6_T7_T9_mT8_P12ihipStream_tbDpT10_ENKUlT_T0_E_clISt17integral_constantIbLb1EES1B_EEDaS16_S17_EUlS16_E_NS1_11comp_targetILNS1_3genE4ELNS1_11target_archE910ELNS1_3gpuE8ELNS1_3repE0EEENS1_30default_config_static_selectorELNS0_4arch9wavefront6targetE0EEEvT1_
	.p2align	8
	.type	_ZN7rocprim17ROCPRIM_400000_NS6detail17trampoline_kernelINS0_14default_configENS1_25partition_config_selectorILNS1_17partition_subalgoE5EsNS0_10empty_typeEbEEZZNS1_14partition_implILS5_5ELb0ES3_mN6thrust23THRUST_200600_302600_NS6detail15normal_iteratorINSA_10device_ptrIsEEEEPS6_NSA_18transform_iteratorINSB_9not_fun_tI7is_trueIsEEESF_NSA_11use_defaultESM_EENS0_5tupleIJSF_S6_EEENSO_IJSG_SG_EEES6_PlJS6_EEE10hipError_tPvRmT3_T4_T5_T6_T7_T9_mT8_P12ihipStream_tbDpT10_ENKUlT_T0_E_clISt17integral_constantIbLb1EES1B_EEDaS16_S17_EUlS16_E_NS1_11comp_targetILNS1_3genE4ELNS1_11target_archE910ELNS1_3gpuE8ELNS1_3repE0EEENS1_30default_config_static_selectorELNS0_4arch9wavefront6targetE0EEEvT1_,@function
_ZN7rocprim17ROCPRIM_400000_NS6detail17trampoline_kernelINS0_14default_configENS1_25partition_config_selectorILNS1_17partition_subalgoE5EsNS0_10empty_typeEbEEZZNS1_14partition_implILS5_5ELb0ES3_mN6thrust23THRUST_200600_302600_NS6detail15normal_iteratorINSA_10device_ptrIsEEEEPS6_NSA_18transform_iteratorINSB_9not_fun_tI7is_trueIsEEESF_NSA_11use_defaultESM_EENS0_5tupleIJSF_S6_EEENSO_IJSG_SG_EEES6_PlJS6_EEE10hipError_tPvRmT3_T4_T5_T6_T7_T9_mT8_P12ihipStream_tbDpT10_ENKUlT_T0_E_clISt17integral_constantIbLb1EES1B_EEDaS16_S17_EUlS16_E_NS1_11comp_targetILNS1_3genE4ELNS1_11target_archE910ELNS1_3gpuE8ELNS1_3repE0EEENS1_30default_config_static_selectorELNS0_4arch9wavefront6targetE0EEEvT1_: ; @_ZN7rocprim17ROCPRIM_400000_NS6detail17trampoline_kernelINS0_14default_configENS1_25partition_config_selectorILNS1_17partition_subalgoE5EsNS0_10empty_typeEbEEZZNS1_14partition_implILS5_5ELb0ES3_mN6thrust23THRUST_200600_302600_NS6detail15normal_iteratorINSA_10device_ptrIsEEEEPS6_NSA_18transform_iteratorINSB_9not_fun_tI7is_trueIsEEESF_NSA_11use_defaultESM_EENS0_5tupleIJSF_S6_EEENSO_IJSG_SG_EEES6_PlJS6_EEE10hipError_tPvRmT3_T4_T5_T6_T7_T9_mT8_P12ihipStream_tbDpT10_ENKUlT_T0_E_clISt17integral_constantIbLb1EES1B_EEDaS16_S17_EUlS16_E_NS1_11comp_targetILNS1_3genE4ELNS1_11target_archE910ELNS1_3gpuE8ELNS1_3repE0EEENS1_30default_config_static_selectorELNS0_4arch9wavefront6targetE0EEEvT1_
; %bb.0:
	.section	.rodata,"a",@progbits
	.p2align	6, 0x0
	.amdhsa_kernel _ZN7rocprim17ROCPRIM_400000_NS6detail17trampoline_kernelINS0_14default_configENS1_25partition_config_selectorILNS1_17partition_subalgoE5EsNS0_10empty_typeEbEEZZNS1_14partition_implILS5_5ELb0ES3_mN6thrust23THRUST_200600_302600_NS6detail15normal_iteratorINSA_10device_ptrIsEEEEPS6_NSA_18transform_iteratorINSB_9not_fun_tI7is_trueIsEEESF_NSA_11use_defaultESM_EENS0_5tupleIJSF_S6_EEENSO_IJSG_SG_EEES6_PlJS6_EEE10hipError_tPvRmT3_T4_T5_T6_T7_T9_mT8_P12ihipStream_tbDpT10_ENKUlT_T0_E_clISt17integral_constantIbLb1EES1B_EEDaS16_S17_EUlS16_E_NS1_11comp_targetILNS1_3genE4ELNS1_11target_archE910ELNS1_3gpuE8ELNS1_3repE0EEENS1_30default_config_static_selectorELNS0_4arch9wavefront6targetE0EEEvT1_
		.amdhsa_group_segment_fixed_size 0
		.amdhsa_private_segment_fixed_size 0
		.amdhsa_kernarg_size 136
		.amdhsa_user_sgpr_count 2
		.amdhsa_user_sgpr_dispatch_ptr 0
		.amdhsa_user_sgpr_queue_ptr 0
		.amdhsa_user_sgpr_kernarg_segment_ptr 1
		.amdhsa_user_sgpr_dispatch_id 0
		.amdhsa_user_sgpr_private_segment_size 0
		.amdhsa_wavefront_size32 1
		.amdhsa_uses_dynamic_stack 0
		.amdhsa_enable_private_segment 0
		.amdhsa_system_sgpr_workgroup_id_x 1
		.amdhsa_system_sgpr_workgroup_id_y 0
		.amdhsa_system_sgpr_workgroup_id_z 0
		.amdhsa_system_sgpr_workgroup_info 0
		.amdhsa_system_vgpr_workitem_id 0
		.amdhsa_next_free_vgpr 1
		.amdhsa_next_free_sgpr 1
		.amdhsa_reserve_vcc 0
		.amdhsa_float_round_mode_32 0
		.amdhsa_float_round_mode_16_64 0
		.amdhsa_float_denorm_mode_32 3
		.amdhsa_float_denorm_mode_16_64 3
		.amdhsa_fp16_overflow 0
		.amdhsa_workgroup_processor_mode 1
		.amdhsa_memory_ordered 1
		.amdhsa_forward_progress 1
		.amdhsa_inst_pref_size 0
		.amdhsa_round_robin_scheduling 0
		.amdhsa_exception_fp_ieee_invalid_op 0
		.amdhsa_exception_fp_denorm_src 0
		.amdhsa_exception_fp_ieee_div_zero 0
		.amdhsa_exception_fp_ieee_overflow 0
		.amdhsa_exception_fp_ieee_underflow 0
		.amdhsa_exception_fp_ieee_inexact 0
		.amdhsa_exception_int_div_zero 0
	.end_amdhsa_kernel
	.section	.text._ZN7rocprim17ROCPRIM_400000_NS6detail17trampoline_kernelINS0_14default_configENS1_25partition_config_selectorILNS1_17partition_subalgoE5EsNS0_10empty_typeEbEEZZNS1_14partition_implILS5_5ELb0ES3_mN6thrust23THRUST_200600_302600_NS6detail15normal_iteratorINSA_10device_ptrIsEEEEPS6_NSA_18transform_iteratorINSB_9not_fun_tI7is_trueIsEEESF_NSA_11use_defaultESM_EENS0_5tupleIJSF_S6_EEENSO_IJSG_SG_EEES6_PlJS6_EEE10hipError_tPvRmT3_T4_T5_T6_T7_T9_mT8_P12ihipStream_tbDpT10_ENKUlT_T0_E_clISt17integral_constantIbLb1EES1B_EEDaS16_S17_EUlS16_E_NS1_11comp_targetILNS1_3genE4ELNS1_11target_archE910ELNS1_3gpuE8ELNS1_3repE0EEENS1_30default_config_static_selectorELNS0_4arch9wavefront6targetE0EEEvT1_,"axG",@progbits,_ZN7rocprim17ROCPRIM_400000_NS6detail17trampoline_kernelINS0_14default_configENS1_25partition_config_selectorILNS1_17partition_subalgoE5EsNS0_10empty_typeEbEEZZNS1_14partition_implILS5_5ELb0ES3_mN6thrust23THRUST_200600_302600_NS6detail15normal_iteratorINSA_10device_ptrIsEEEEPS6_NSA_18transform_iteratorINSB_9not_fun_tI7is_trueIsEEESF_NSA_11use_defaultESM_EENS0_5tupleIJSF_S6_EEENSO_IJSG_SG_EEES6_PlJS6_EEE10hipError_tPvRmT3_T4_T5_T6_T7_T9_mT8_P12ihipStream_tbDpT10_ENKUlT_T0_E_clISt17integral_constantIbLb1EES1B_EEDaS16_S17_EUlS16_E_NS1_11comp_targetILNS1_3genE4ELNS1_11target_archE910ELNS1_3gpuE8ELNS1_3repE0EEENS1_30default_config_static_selectorELNS0_4arch9wavefront6targetE0EEEvT1_,comdat
.Lfunc_end1543:
	.size	_ZN7rocprim17ROCPRIM_400000_NS6detail17trampoline_kernelINS0_14default_configENS1_25partition_config_selectorILNS1_17partition_subalgoE5EsNS0_10empty_typeEbEEZZNS1_14partition_implILS5_5ELb0ES3_mN6thrust23THRUST_200600_302600_NS6detail15normal_iteratorINSA_10device_ptrIsEEEEPS6_NSA_18transform_iteratorINSB_9not_fun_tI7is_trueIsEEESF_NSA_11use_defaultESM_EENS0_5tupleIJSF_S6_EEENSO_IJSG_SG_EEES6_PlJS6_EEE10hipError_tPvRmT3_T4_T5_T6_T7_T9_mT8_P12ihipStream_tbDpT10_ENKUlT_T0_E_clISt17integral_constantIbLb1EES1B_EEDaS16_S17_EUlS16_E_NS1_11comp_targetILNS1_3genE4ELNS1_11target_archE910ELNS1_3gpuE8ELNS1_3repE0EEENS1_30default_config_static_selectorELNS0_4arch9wavefront6targetE0EEEvT1_, .Lfunc_end1543-_ZN7rocprim17ROCPRIM_400000_NS6detail17trampoline_kernelINS0_14default_configENS1_25partition_config_selectorILNS1_17partition_subalgoE5EsNS0_10empty_typeEbEEZZNS1_14partition_implILS5_5ELb0ES3_mN6thrust23THRUST_200600_302600_NS6detail15normal_iteratorINSA_10device_ptrIsEEEEPS6_NSA_18transform_iteratorINSB_9not_fun_tI7is_trueIsEEESF_NSA_11use_defaultESM_EENS0_5tupleIJSF_S6_EEENSO_IJSG_SG_EEES6_PlJS6_EEE10hipError_tPvRmT3_T4_T5_T6_T7_T9_mT8_P12ihipStream_tbDpT10_ENKUlT_T0_E_clISt17integral_constantIbLb1EES1B_EEDaS16_S17_EUlS16_E_NS1_11comp_targetILNS1_3genE4ELNS1_11target_archE910ELNS1_3gpuE8ELNS1_3repE0EEENS1_30default_config_static_selectorELNS0_4arch9wavefront6targetE0EEEvT1_
                                        ; -- End function
	.set _ZN7rocprim17ROCPRIM_400000_NS6detail17trampoline_kernelINS0_14default_configENS1_25partition_config_selectorILNS1_17partition_subalgoE5EsNS0_10empty_typeEbEEZZNS1_14partition_implILS5_5ELb0ES3_mN6thrust23THRUST_200600_302600_NS6detail15normal_iteratorINSA_10device_ptrIsEEEEPS6_NSA_18transform_iteratorINSB_9not_fun_tI7is_trueIsEEESF_NSA_11use_defaultESM_EENS0_5tupleIJSF_S6_EEENSO_IJSG_SG_EEES6_PlJS6_EEE10hipError_tPvRmT3_T4_T5_T6_T7_T9_mT8_P12ihipStream_tbDpT10_ENKUlT_T0_E_clISt17integral_constantIbLb1EES1B_EEDaS16_S17_EUlS16_E_NS1_11comp_targetILNS1_3genE4ELNS1_11target_archE910ELNS1_3gpuE8ELNS1_3repE0EEENS1_30default_config_static_selectorELNS0_4arch9wavefront6targetE0EEEvT1_.num_vgpr, 0
	.set _ZN7rocprim17ROCPRIM_400000_NS6detail17trampoline_kernelINS0_14default_configENS1_25partition_config_selectorILNS1_17partition_subalgoE5EsNS0_10empty_typeEbEEZZNS1_14partition_implILS5_5ELb0ES3_mN6thrust23THRUST_200600_302600_NS6detail15normal_iteratorINSA_10device_ptrIsEEEEPS6_NSA_18transform_iteratorINSB_9not_fun_tI7is_trueIsEEESF_NSA_11use_defaultESM_EENS0_5tupleIJSF_S6_EEENSO_IJSG_SG_EEES6_PlJS6_EEE10hipError_tPvRmT3_T4_T5_T6_T7_T9_mT8_P12ihipStream_tbDpT10_ENKUlT_T0_E_clISt17integral_constantIbLb1EES1B_EEDaS16_S17_EUlS16_E_NS1_11comp_targetILNS1_3genE4ELNS1_11target_archE910ELNS1_3gpuE8ELNS1_3repE0EEENS1_30default_config_static_selectorELNS0_4arch9wavefront6targetE0EEEvT1_.num_agpr, 0
	.set _ZN7rocprim17ROCPRIM_400000_NS6detail17trampoline_kernelINS0_14default_configENS1_25partition_config_selectorILNS1_17partition_subalgoE5EsNS0_10empty_typeEbEEZZNS1_14partition_implILS5_5ELb0ES3_mN6thrust23THRUST_200600_302600_NS6detail15normal_iteratorINSA_10device_ptrIsEEEEPS6_NSA_18transform_iteratorINSB_9not_fun_tI7is_trueIsEEESF_NSA_11use_defaultESM_EENS0_5tupleIJSF_S6_EEENSO_IJSG_SG_EEES6_PlJS6_EEE10hipError_tPvRmT3_T4_T5_T6_T7_T9_mT8_P12ihipStream_tbDpT10_ENKUlT_T0_E_clISt17integral_constantIbLb1EES1B_EEDaS16_S17_EUlS16_E_NS1_11comp_targetILNS1_3genE4ELNS1_11target_archE910ELNS1_3gpuE8ELNS1_3repE0EEENS1_30default_config_static_selectorELNS0_4arch9wavefront6targetE0EEEvT1_.numbered_sgpr, 0
	.set _ZN7rocprim17ROCPRIM_400000_NS6detail17trampoline_kernelINS0_14default_configENS1_25partition_config_selectorILNS1_17partition_subalgoE5EsNS0_10empty_typeEbEEZZNS1_14partition_implILS5_5ELb0ES3_mN6thrust23THRUST_200600_302600_NS6detail15normal_iteratorINSA_10device_ptrIsEEEEPS6_NSA_18transform_iteratorINSB_9not_fun_tI7is_trueIsEEESF_NSA_11use_defaultESM_EENS0_5tupleIJSF_S6_EEENSO_IJSG_SG_EEES6_PlJS6_EEE10hipError_tPvRmT3_T4_T5_T6_T7_T9_mT8_P12ihipStream_tbDpT10_ENKUlT_T0_E_clISt17integral_constantIbLb1EES1B_EEDaS16_S17_EUlS16_E_NS1_11comp_targetILNS1_3genE4ELNS1_11target_archE910ELNS1_3gpuE8ELNS1_3repE0EEENS1_30default_config_static_selectorELNS0_4arch9wavefront6targetE0EEEvT1_.num_named_barrier, 0
	.set _ZN7rocprim17ROCPRIM_400000_NS6detail17trampoline_kernelINS0_14default_configENS1_25partition_config_selectorILNS1_17partition_subalgoE5EsNS0_10empty_typeEbEEZZNS1_14partition_implILS5_5ELb0ES3_mN6thrust23THRUST_200600_302600_NS6detail15normal_iteratorINSA_10device_ptrIsEEEEPS6_NSA_18transform_iteratorINSB_9not_fun_tI7is_trueIsEEESF_NSA_11use_defaultESM_EENS0_5tupleIJSF_S6_EEENSO_IJSG_SG_EEES6_PlJS6_EEE10hipError_tPvRmT3_T4_T5_T6_T7_T9_mT8_P12ihipStream_tbDpT10_ENKUlT_T0_E_clISt17integral_constantIbLb1EES1B_EEDaS16_S17_EUlS16_E_NS1_11comp_targetILNS1_3genE4ELNS1_11target_archE910ELNS1_3gpuE8ELNS1_3repE0EEENS1_30default_config_static_selectorELNS0_4arch9wavefront6targetE0EEEvT1_.private_seg_size, 0
	.set _ZN7rocprim17ROCPRIM_400000_NS6detail17trampoline_kernelINS0_14default_configENS1_25partition_config_selectorILNS1_17partition_subalgoE5EsNS0_10empty_typeEbEEZZNS1_14partition_implILS5_5ELb0ES3_mN6thrust23THRUST_200600_302600_NS6detail15normal_iteratorINSA_10device_ptrIsEEEEPS6_NSA_18transform_iteratorINSB_9not_fun_tI7is_trueIsEEESF_NSA_11use_defaultESM_EENS0_5tupleIJSF_S6_EEENSO_IJSG_SG_EEES6_PlJS6_EEE10hipError_tPvRmT3_T4_T5_T6_T7_T9_mT8_P12ihipStream_tbDpT10_ENKUlT_T0_E_clISt17integral_constantIbLb1EES1B_EEDaS16_S17_EUlS16_E_NS1_11comp_targetILNS1_3genE4ELNS1_11target_archE910ELNS1_3gpuE8ELNS1_3repE0EEENS1_30default_config_static_selectorELNS0_4arch9wavefront6targetE0EEEvT1_.uses_vcc, 0
	.set _ZN7rocprim17ROCPRIM_400000_NS6detail17trampoline_kernelINS0_14default_configENS1_25partition_config_selectorILNS1_17partition_subalgoE5EsNS0_10empty_typeEbEEZZNS1_14partition_implILS5_5ELb0ES3_mN6thrust23THRUST_200600_302600_NS6detail15normal_iteratorINSA_10device_ptrIsEEEEPS6_NSA_18transform_iteratorINSB_9not_fun_tI7is_trueIsEEESF_NSA_11use_defaultESM_EENS0_5tupleIJSF_S6_EEENSO_IJSG_SG_EEES6_PlJS6_EEE10hipError_tPvRmT3_T4_T5_T6_T7_T9_mT8_P12ihipStream_tbDpT10_ENKUlT_T0_E_clISt17integral_constantIbLb1EES1B_EEDaS16_S17_EUlS16_E_NS1_11comp_targetILNS1_3genE4ELNS1_11target_archE910ELNS1_3gpuE8ELNS1_3repE0EEENS1_30default_config_static_selectorELNS0_4arch9wavefront6targetE0EEEvT1_.uses_flat_scratch, 0
	.set _ZN7rocprim17ROCPRIM_400000_NS6detail17trampoline_kernelINS0_14default_configENS1_25partition_config_selectorILNS1_17partition_subalgoE5EsNS0_10empty_typeEbEEZZNS1_14partition_implILS5_5ELb0ES3_mN6thrust23THRUST_200600_302600_NS6detail15normal_iteratorINSA_10device_ptrIsEEEEPS6_NSA_18transform_iteratorINSB_9not_fun_tI7is_trueIsEEESF_NSA_11use_defaultESM_EENS0_5tupleIJSF_S6_EEENSO_IJSG_SG_EEES6_PlJS6_EEE10hipError_tPvRmT3_T4_T5_T6_T7_T9_mT8_P12ihipStream_tbDpT10_ENKUlT_T0_E_clISt17integral_constantIbLb1EES1B_EEDaS16_S17_EUlS16_E_NS1_11comp_targetILNS1_3genE4ELNS1_11target_archE910ELNS1_3gpuE8ELNS1_3repE0EEENS1_30default_config_static_selectorELNS0_4arch9wavefront6targetE0EEEvT1_.has_dyn_sized_stack, 0
	.set _ZN7rocprim17ROCPRIM_400000_NS6detail17trampoline_kernelINS0_14default_configENS1_25partition_config_selectorILNS1_17partition_subalgoE5EsNS0_10empty_typeEbEEZZNS1_14partition_implILS5_5ELb0ES3_mN6thrust23THRUST_200600_302600_NS6detail15normal_iteratorINSA_10device_ptrIsEEEEPS6_NSA_18transform_iteratorINSB_9not_fun_tI7is_trueIsEEESF_NSA_11use_defaultESM_EENS0_5tupleIJSF_S6_EEENSO_IJSG_SG_EEES6_PlJS6_EEE10hipError_tPvRmT3_T4_T5_T6_T7_T9_mT8_P12ihipStream_tbDpT10_ENKUlT_T0_E_clISt17integral_constantIbLb1EES1B_EEDaS16_S17_EUlS16_E_NS1_11comp_targetILNS1_3genE4ELNS1_11target_archE910ELNS1_3gpuE8ELNS1_3repE0EEENS1_30default_config_static_selectorELNS0_4arch9wavefront6targetE0EEEvT1_.has_recursion, 0
	.set _ZN7rocprim17ROCPRIM_400000_NS6detail17trampoline_kernelINS0_14default_configENS1_25partition_config_selectorILNS1_17partition_subalgoE5EsNS0_10empty_typeEbEEZZNS1_14partition_implILS5_5ELb0ES3_mN6thrust23THRUST_200600_302600_NS6detail15normal_iteratorINSA_10device_ptrIsEEEEPS6_NSA_18transform_iteratorINSB_9not_fun_tI7is_trueIsEEESF_NSA_11use_defaultESM_EENS0_5tupleIJSF_S6_EEENSO_IJSG_SG_EEES6_PlJS6_EEE10hipError_tPvRmT3_T4_T5_T6_T7_T9_mT8_P12ihipStream_tbDpT10_ENKUlT_T0_E_clISt17integral_constantIbLb1EES1B_EEDaS16_S17_EUlS16_E_NS1_11comp_targetILNS1_3genE4ELNS1_11target_archE910ELNS1_3gpuE8ELNS1_3repE0EEENS1_30default_config_static_selectorELNS0_4arch9wavefront6targetE0EEEvT1_.has_indirect_call, 0
	.section	.AMDGPU.csdata,"",@progbits
; Kernel info:
; codeLenInByte = 0
; TotalNumSgprs: 0
; NumVgprs: 0
; ScratchSize: 0
; MemoryBound: 0
; FloatMode: 240
; IeeeMode: 1
; LDSByteSize: 0 bytes/workgroup (compile time only)
; SGPRBlocks: 0
; VGPRBlocks: 0
; NumSGPRsForWavesPerEU: 1
; NumVGPRsForWavesPerEU: 1
; Occupancy: 16
; WaveLimiterHint : 0
; COMPUTE_PGM_RSRC2:SCRATCH_EN: 0
; COMPUTE_PGM_RSRC2:USER_SGPR: 2
; COMPUTE_PGM_RSRC2:TRAP_HANDLER: 0
; COMPUTE_PGM_RSRC2:TGID_X_EN: 1
; COMPUTE_PGM_RSRC2:TGID_Y_EN: 0
; COMPUTE_PGM_RSRC2:TGID_Z_EN: 0
; COMPUTE_PGM_RSRC2:TIDIG_COMP_CNT: 0
	.section	.text._ZN7rocprim17ROCPRIM_400000_NS6detail17trampoline_kernelINS0_14default_configENS1_25partition_config_selectorILNS1_17partition_subalgoE5EsNS0_10empty_typeEbEEZZNS1_14partition_implILS5_5ELb0ES3_mN6thrust23THRUST_200600_302600_NS6detail15normal_iteratorINSA_10device_ptrIsEEEEPS6_NSA_18transform_iteratorINSB_9not_fun_tI7is_trueIsEEESF_NSA_11use_defaultESM_EENS0_5tupleIJSF_S6_EEENSO_IJSG_SG_EEES6_PlJS6_EEE10hipError_tPvRmT3_T4_T5_T6_T7_T9_mT8_P12ihipStream_tbDpT10_ENKUlT_T0_E_clISt17integral_constantIbLb1EES1B_EEDaS16_S17_EUlS16_E_NS1_11comp_targetILNS1_3genE3ELNS1_11target_archE908ELNS1_3gpuE7ELNS1_3repE0EEENS1_30default_config_static_selectorELNS0_4arch9wavefront6targetE0EEEvT1_,"axG",@progbits,_ZN7rocprim17ROCPRIM_400000_NS6detail17trampoline_kernelINS0_14default_configENS1_25partition_config_selectorILNS1_17partition_subalgoE5EsNS0_10empty_typeEbEEZZNS1_14partition_implILS5_5ELb0ES3_mN6thrust23THRUST_200600_302600_NS6detail15normal_iteratorINSA_10device_ptrIsEEEEPS6_NSA_18transform_iteratorINSB_9not_fun_tI7is_trueIsEEESF_NSA_11use_defaultESM_EENS0_5tupleIJSF_S6_EEENSO_IJSG_SG_EEES6_PlJS6_EEE10hipError_tPvRmT3_T4_T5_T6_T7_T9_mT8_P12ihipStream_tbDpT10_ENKUlT_T0_E_clISt17integral_constantIbLb1EES1B_EEDaS16_S17_EUlS16_E_NS1_11comp_targetILNS1_3genE3ELNS1_11target_archE908ELNS1_3gpuE7ELNS1_3repE0EEENS1_30default_config_static_selectorELNS0_4arch9wavefront6targetE0EEEvT1_,comdat
	.protected	_ZN7rocprim17ROCPRIM_400000_NS6detail17trampoline_kernelINS0_14default_configENS1_25partition_config_selectorILNS1_17partition_subalgoE5EsNS0_10empty_typeEbEEZZNS1_14partition_implILS5_5ELb0ES3_mN6thrust23THRUST_200600_302600_NS6detail15normal_iteratorINSA_10device_ptrIsEEEEPS6_NSA_18transform_iteratorINSB_9not_fun_tI7is_trueIsEEESF_NSA_11use_defaultESM_EENS0_5tupleIJSF_S6_EEENSO_IJSG_SG_EEES6_PlJS6_EEE10hipError_tPvRmT3_T4_T5_T6_T7_T9_mT8_P12ihipStream_tbDpT10_ENKUlT_T0_E_clISt17integral_constantIbLb1EES1B_EEDaS16_S17_EUlS16_E_NS1_11comp_targetILNS1_3genE3ELNS1_11target_archE908ELNS1_3gpuE7ELNS1_3repE0EEENS1_30default_config_static_selectorELNS0_4arch9wavefront6targetE0EEEvT1_ ; -- Begin function _ZN7rocprim17ROCPRIM_400000_NS6detail17trampoline_kernelINS0_14default_configENS1_25partition_config_selectorILNS1_17partition_subalgoE5EsNS0_10empty_typeEbEEZZNS1_14partition_implILS5_5ELb0ES3_mN6thrust23THRUST_200600_302600_NS6detail15normal_iteratorINSA_10device_ptrIsEEEEPS6_NSA_18transform_iteratorINSB_9not_fun_tI7is_trueIsEEESF_NSA_11use_defaultESM_EENS0_5tupleIJSF_S6_EEENSO_IJSG_SG_EEES6_PlJS6_EEE10hipError_tPvRmT3_T4_T5_T6_T7_T9_mT8_P12ihipStream_tbDpT10_ENKUlT_T0_E_clISt17integral_constantIbLb1EES1B_EEDaS16_S17_EUlS16_E_NS1_11comp_targetILNS1_3genE3ELNS1_11target_archE908ELNS1_3gpuE7ELNS1_3repE0EEENS1_30default_config_static_selectorELNS0_4arch9wavefront6targetE0EEEvT1_
	.globl	_ZN7rocprim17ROCPRIM_400000_NS6detail17trampoline_kernelINS0_14default_configENS1_25partition_config_selectorILNS1_17partition_subalgoE5EsNS0_10empty_typeEbEEZZNS1_14partition_implILS5_5ELb0ES3_mN6thrust23THRUST_200600_302600_NS6detail15normal_iteratorINSA_10device_ptrIsEEEEPS6_NSA_18transform_iteratorINSB_9not_fun_tI7is_trueIsEEESF_NSA_11use_defaultESM_EENS0_5tupleIJSF_S6_EEENSO_IJSG_SG_EEES6_PlJS6_EEE10hipError_tPvRmT3_T4_T5_T6_T7_T9_mT8_P12ihipStream_tbDpT10_ENKUlT_T0_E_clISt17integral_constantIbLb1EES1B_EEDaS16_S17_EUlS16_E_NS1_11comp_targetILNS1_3genE3ELNS1_11target_archE908ELNS1_3gpuE7ELNS1_3repE0EEENS1_30default_config_static_selectorELNS0_4arch9wavefront6targetE0EEEvT1_
	.p2align	8
	.type	_ZN7rocprim17ROCPRIM_400000_NS6detail17trampoline_kernelINS0_14default_configENS1_25partition_config_selectorILNS1_17partition_subalgoE5EsNS0_10empty_typeEbEEZZNS1_14partition_implILS5_5ELb0ES3_mN6thrust23THRUST_200600_302600_NS6detail15normal_iteratorINSA_10device_ptrIsEEEEPS6_NSA_18transform_iteratorINSB_9not_fun_tI7is_trueIsEEESF_NSA_11use_defaultESM_EENS0_5tupleIJSF_S6_EEENSO_IJSG_SG_EEES6_PlJS6_EEE10hipError_tPvRmT3_T4_T5_T6_T7_T9_mT8_P12ihipStream_tbDpT10_ENKUlT_T0_E_clISt17integral_constantIbLb1EES1B_EEDaS16_S17_EUlS16_E_NS1_11comp_targetILNS1_3genE3ELNS1_11target_archE908ELNS1_3gpuE7ELNS1_3repE0EEENS1_30default_config_static_selectorELNS0_4arch9wavefront6targetE0EEEvT1_,@function
_ZN7rocprim17ROCPRIM_400000_NS6detail17trampoline_kernelINS0_14default_configENS1_25partition_config_selectorILNS1_17partition_subalgoE5EsNS0_10empty_typeEbEEZZNS1_14partition_implILS5_5ELb0ES3_mN6thrust23THRUST_200600_302600_NS6detail15normal_iteratorINSA_10device_ptrIsEEEEPS6_NSA_18transform_iteratorINSB_9not_fun_tI7is_trueIsEEESF_NSA_11use_defaultESM_EENS0_5tupleIJSF_S6_EEENSO_IJSG_SG_EEES6_PlJS6_EEE10hipError_tPvRmT3_T4_T5_T6_T7_T9_mT8_P12ihipStream_tbDpT10_ENKUlT_T0_E_clISt17integral_constantIbLb1EES1B_EEDaS16_S17_EUlS16_E_NS1_11comp_targetILNS1_3genE3ELNS1_11target_archE908ELNS1_3gpuE7ELNS1_3repE0EEENS1_30default_config_static_selectorELNS0_4arch9wavefront6targetE0EEEvT1_: ; @_ZN7rocprim17ROCPRIM_400000_NS6detail17trampoline_kernelINS0_14default_configENS1_25partition_config_selectorILNS1_17partition_subalgoE5EsNS0_10empty_typeEbEEZZNS1_14partition_implILS5_5ELb0ES3_mN6thrust23THRUST_200600_302600_NS6detail15normal_iteratorINSA_10device_ptrIsEEEEPS6_NSA_18transform_iteratorINSB_9not_fun_tI7is_trueIsEEESF_NSA_11use_defaultESM_EENS0_5tupleIJSF_S6_EEENSO_IJSG_SG_EEES6_PlJS6_EEE10hipError_tPvRmT3_T4_T5_T6_T7_T9_mT8_P12ihipStream_tbDpT10_ENKUlT_T0_E_clISt17integral_constantIbLb1EES1B_EEDaS16_S17_EUlS16_E_NS1_11comp_targetILNS1_3genE3ELNS1_11target_archE908ELNS1_3gpuE7ELNS1_3repE0EEENS1_30default_config_static_selectorELNS0_4arch9wavefront6targetE0EEEvT1_
; %bb.0:
	.section	.rodata,"a",@progbits
	.p2align	6, 0x0
	.amdhsa_kernel _ZN7rocprim17ROCPRIM_400000_NS6detail17trampoline_kernelINS0_14default_configENS1_25partition_config_selectorILNS1_17partition_subalgoE5EsNS0_10empty_typeEbEEZZNS1_14partition_implILS5_5ELb0ES3_mN6thrust23THRUST_200600_302600_NS6detail15normal_iteratorINSA_10device_ptrIsEEEEPS6_NSA_18transform_iteratorINSB_9not_fun_tI7is_trueIsEEESF_NSA_11use_defaultESM_EENS0_5tupleIJSF_S6_EEENSO_IJSG_SG_EEES6_PlJS6_EEE10hipError_tPvRmT3_T4_T5_T6_T7_T9_mT8_P12ihipStream_tbDpT10_ENKUlT_T0_E_clISt17integral_constantIbLb1EES1B_EEDaS16_S17_EUlS16_E_NS1_11comp_targetILNS1_3genE3ELNS1_11target_archE908ELNS1_3gpuE7ELNS1_3repE0EEENS1_30default_config_static_selectorELNS0_4arch9wavefront6targetE0EEEvT1_
		.amdhsa_group_segment_fixed_size 0
		.amdhsa_private_segment_fixed_size 0
		.amdhsa_kernarg_size 136
		.amdhsa_user_sgpr_count 2
		.amdhsa_user_sgpr_dispatch_ptr 0
		.amdhsa_user_sgpr_queue_ptr 0
		.amdhsa_user_sgpr_kernarg_segment_ptr 1
		.amdhsa_user_sgpr_dispatch_id 0
		.amdhsa_user_sgpr_private_segment_size 0
		.amdhsa_wavefront_size32 1
		.amdhsa_uses_dynamic_stack 0
		.amdhsa_enable_private_segment 0
		.amdhsa_system_sgpr_workgroup_id_x 1
		.amdhsa_system_sgpr_workgroup_id_y 0
		.amdhsa_system_sgpr_workgroup_id_z 0
		.amdhsa_system_sgpr_workgroup_info 0
		.amdhsa_system_vgpr_workitem_id 0
		.amdhsa_next_free_vgpr 1
		.amdhsa_next_free_sgpr 1
		.amdhsa_reserve_vcc 0
		.amdhsa_float_round_mode_32 0
		.amdhsa_float_round_mode_16_64 0
		.amdhsa_float_denorm_mode_32 3
		.amdhsa_float_denorm_mode_16_64 3
		.amdhsa_fp16_overflow 0
		.amdhsa_workgroup_processor_mode 1
		.amdhsa_memory_ordered 1
		.amdhsa_forward_progress 1
		.amdhsa_inst_pref_size 0
		.amdhsa_round_robin_scheduling 0
		.amdhsa_exception_fp_ieee_invalid_op 0
		.amdhsa_exception_fp_denorm_src 0
		.amdhsa_exception_fp_ieee_div_zero 0
		.amdhsa_exception_fp_ieee_overflow 0
		.amdhsa_exception_fp_ieee_underflow 0
		.amdhsa_exception_fp_ieee_inexact 0
		.amdhsa_exception_int_div_zero 0
	.end_amdhsa_kernel
	.section	.text._ZN7rocprim17ROCPRIM_400000_NS6detail17trampoline_kernelINS0_14default_configENS1_25partition_config_selectorILNS1_17partition_subalgoE5EsNS0_10empty_typeEbEEZZNS1_14partition_implILS5_5ELb0ES3_mN6thrust23THRUST_200600_302600_NS6detail15normal_iteratorINSA_10device_ptrIsEEEEPS6_NSA_18transform_iteratorINSB_9not_fun_tI7is_trueIsEEESF_NSA_11use_defaultESM_EENS0_5tupleIJSF_S6_EEENSO_IJSG_SG_EEES6_PlJS6_EEE10hipError_tPvRmT3_T4_T5_T6_T7_T9_mT8_P12ihipStream_tbDpT10_ENKUlT_T0_E_clISt17integral_constantIbLb1EES1B_EEDaS16_S17_EUlS16_E_NS1_11comp_targetILNS1_3genE3ELNS1_11target_archE908ELNS1_3gpuE7ELNS1_3repE0EEENS1_30default_config_static_selectorELNS0_4arch9wavefront6targetE0EEEvT1_,"axG",@progbits,_ZN7rocprim17ROCPRIM_400000_NS6detail17trampoline_kernelINS0_14default_configENS1_25partition_config_selectorILNS1_17partition_subalgoE5EsNS0_10empty_typeEbEEZZNS1_14partition_implILS5_5ELb0ES3_mN6thrust23THRUST_200600_302600_NS6detail15normal_iteratorINSA_10device_ptrIsEEEEPS6_NSA_18transform_iteratorINSB_9not_fun_tI7is_trueIsEEESF_NSA_11use_defaultESM_EENS0_5tupleIJSF_S6_EEENSO_IJSG_SG_EEES6_PlJS6_EEE10hipError_tPvRmT3_T4_T5_T6_T7_T9_mT8_P12ihipStream_tbDpT10_ENKUlT_T0_E_clISt17integral_constantIbLb1EES1B_EEDaS16_S17_EUlS16_E_NS1_11comp_targetILNS1_3genE3ELNS1_11target_archE908ELNS1_3gpuE7ELNS1_3repE0EEENS1_30default_config_static_selectorELNS0_4arch9wavefront6targetE0EEEvT1_,comdat
.Lfunc_end1544:
	.size	_ZN7rocprim17ROCPRIM_400000_NS6detail17trampoline_kernelINS0_14default_configENS1_25partition_config_selectorILNS1_17partition_subalgoE5EsNS0_10empty_typeEbEEZZNS1_14partition_implILS5_5ELb0ES3_mN6thrust23THRUST_200600_302600_NS6detail15normal_iteratorINSA_10device_ptrIsEEEEPS6_NSA_18transform_iteratorINSB_9not_fun_tI7is_trueIsEEESF_NSA_11use_defaultESM_EENS0_5tupleIJSF_S6_EEENSO_IJSG_SG_EEES6_PlJS6_EEE10hipError_tPvRmT3_T4_T5_T6_T7_T9_mT8_P12ihipStream_tbDpT10_ENKUlT_T0_E_clISt17integral_constantIbLb1EES1B_EEDaS16_S17_EUlS16_E_NS1_11comp_targetILNS1_3genE3ELNS1_11target_archE908ELNS1_3gpuE7ELNS1_3repE0EEENS1_30default_config_static_selectorELNS0_4arch9wavefront6targetE0EEEvT1_, .Lfunc_end1544-_ZN7rocprim17ROCPRIM_400000_NS6detail17trampoline_kernelINS0_14default_configENS1_25partition_config_selectorILNS1_17partition_subalgoE5EsNS0_10empty_typeEbEEZZNS1_14partition_implILS5_5ELb0ES3_mN6thrust23THRUST_200600_302600_NS6detail15normal_iteratorINSA_10device_ptrIsEEEEPS6_NSA_18transform_iteratorINSB_9not_fun_tI7is_trueIsEEESF_NSA_11use_defaultESM_EENS0_5tupleIJSF_S6_EEENSO_IJSG_SG_EEES6_PlJS6_EEE10hipError_tPvRmT3_T4_T5_T6_T7_T9_mT8_P12ihipStream_tbDpT10_ENKUlT_T0_E_clISt17integral_constantIbLb1EES1B_EEDaS16_S17_EUlS16_E_NS1_11comp_targetILNS1_3genE3ELNS1_11target_archE908ELNS1_3gpuE7ELNS1_3repE0EEENS1_30default_config_static_selectorELNS0_4arch9wavefront6targetE0EEEvT1_
                                        ; -- End function
	.set _ZN7rocprim17ROCPRIM_400000_NS6detail17trampoline_kernelINS0_14default_configENS1_25partition_config_selectorILNS1_17partition_subalgoE5EsNS0_10empty_typeEbEEZZNS1_14partition_implILS5_5ELb0ES3_mN6thrust23THRUST_200600_302600_NS6detail15normal_iteratorINSA_10device_ptrIsEEEEPS6_NSA_18transform_iteratorINSB_9not_fun_tI7is_trueIsEEESF_NSA_11use_defaultESM_EENS0_5tupleIJSF_S6_EEENSO_IJSG_SG_EEES6_PlJS6_EEE10hipError_tPvRmT3_T4_T5_T6_T7_T9_mT8_P12ihipStream_tbDpT10_ENKUlT_T0_E_clISt17integral_constantIbLb1EES1B_EEDaS16_S17_EUlS16_E_NS1_11comp_targetILNS1_3genE3ELNS1_11target_archE908ELNS1_3gpuE7ELNS1_3repE0EEENS1_30default_config_static_selectorELNS0_4arch9wavefront6targetE0EEEvT1_.num_vgpr, 0
	.set _ZN7rocprim17ROCPRIM_400000_NS6detail17trampoline_kernelINS0_14default_configENS1_25partition_config_selectorILNS1_17partition_subalgoE5EsNS0_10empty_typeEbEEZZNS1_14partition_implILS5_5ELb0ES3_mN6thrust23THRUST_200600_302600_NS6detail15normal_iteratorINSA_10device_ptrIsEEEEPS6_NSA_18transform_iteratorINSB_9not_fun_tI7is_trueIsEEESF_NSA_11use_defaultESM_EENS0_5tupleIJSF_S6_EEENSO_IJSG_SG_EEES6_PlJS6_EEE10hipError_tPvRmT3_T4_T5_T6_T7_T9_mT8_P12ihipStream_tbDpT10_ENKUlT_T0_E_clISt17integral_constantIbLb1EES1B_EEDaS16_S17_EUlS16_E_NS1_11comp_targetILNS1_3genE3ELNS1_11target_archE908ELNS1_3gpuE7ELNS1_3repE0EEENS1_30default_config_static_selectorELNS0_4arch9wavefront6targetE0EEEvT1_.num_agpr, 0
	.set _ZN7rocprim17ROCPRIM_400000_NS6detail17trampoline_kernelINS0_14default_configENS1_25partition_config_selectorILNS1_17partition_subalgoE5EsNS0_10empty_typeEbEEZZNS1_14partition_implILS5_5ELb0ES3_mN6thrust23THRUST_200600_302600_NS6detail15normal_iteratorINSA_10device_ptrIsEEEEPS6_NSA_18transform_iteratorINSB_9not_fun_tI7is_trueIsEEESF_NSA_11use_defaultESM_EENS0_5tupleIJSF_S6_EEENSO_IJSG_SG_EEES6_PlJS6_EEE10hipError_tPvRmT3_T4_T5_T6_T7_T9_mT8_P12ihipStream_tbDpT10_ENKUlT_T0_E_clISt17integral_constantIbLb1EES1B_EEDaS16_S17_EUlS16_E_NS1_11comp_targetILNS1_3genE3ELNS1_11target_archE908ELNS1_3gpuE7ELNS1_3repE0EEENS1_30default_config_static_selectorELNS0_4arch9wavefront6targetE0EEEvT1_.numbered_sgpr, 0
	.set _ZN7rocprim17ROCPRIM_400000_NS6detail17trampoline_kernelINS0_14default_configENS1_25partition_config_selectorILNS1_17partition_subalgoE5EsNS0_10empty_typeEbEEZZNS1_14partition_implILS5_5ELb0ES3_mN6thrust23THRUST_200600_302600_NS6detail15normal_iteratorINSA_10device_ptrIsEEEEPS6_NSA_18transform_iteratorINSB_9not_fun_tI7is_trueIsEEESF_NSA_11use_defaultESM_EENS0_5tupleIJSF_S6_EEENSO_IJSG_SG_EEES6_PlJS6_EEE10hipError_tPvRmT3_T4_T5_T6_T7_T9_mT8_P12ihipStream_tbDpT10_ENKUlT_T0_E_clISt17integral_constantIbLb1EES1B_EEDaS16_S17_EUlS16_E_NS1_11comp_targetILNS1_3genE3ELNS1_11target_archE908ELNS1_3gpuE7ELNS1_3repE0EEENS1_30default_config_static_selectorELNS0_4arch9wavefront6targetE0EEEvT1_.num_named_barrier, 0
	.set _ZN7rocprim17ROCPRIM_400000_NS6detail17trampoline_kernelINS0_14default_configENS1_25partition_config_selectorILNS1_17partition_subalgoE5EsNS0_10empty_typeEbEEZZNS1_14partition_implILS5_5ELb0ES3_mN6thrust23THRUST_200600_302600_NS6detail15normal_iteratorINSA_10device_ptrIsEEEEPS6_NSA_18transform_iteratorINSB_9not_fun_tI7is_trueIsEEESF_NSA_11use_defaultESM_EENS0_5tupleIJSF_S6_EEENSO_IJSG_SG_EEES6_PlJS6_EEE10hipError_tPvRmT3_T4_T5_T6_T7_T9_mT8_P12ihipStream_tbDpT10_ENKUlT_T0_E_clISt17integral_constantIbLb1EES1B_EEDaS16_S17_EUlS16_E_NS1_11comp_targetILNS1_3genE3ELNS1_11target_archE908ELNS1_3gpuE7ELNS1_3repE0EEENS1_30default_config_static_selectorELNS0_4arch9wavefront6targetE0EEEvT1_.private_seg_size, 0
	.set _ZN7rocprim17ROCPRIM_400000_NS6detail17trampoline_kernelINS0_14default_configENS1_25partition_config_selectorILNS1_17partition_subalgoE5EsNS0_10empty_typeEbEEZZNS1_14partition_implILS5_5ELb0ES3_mN6thrust23THRUST_200600_302600_NS6detail15normal_iteratorINSA_10device_ptrIsEEEEPS6_NSA_18transform_iteratorINSB_9not_fun_tI7is_trueIsEEESF_NSA_11use_defaultESM_EENS0_5tupleIJSF_S6_EEENSO_IJSG_SG_EEES6_PlJS6_EEE10hipError_tPvRmT3_T4_T5_T6_T7_T9_mT8_P12ihipStream_tbDpT10_ENKUlT_T0_E_clISt17integral_constantIbLb1EES1B_EEDaS16_S17_EUlS16_E_NS1_11comp_targetILNS1_3genE3ELNS1_11target_archE908ELNS1_3gpuE7ELNS1_3repE0EEENS1_30default_config_static_selectorELNS0_4arch9wavefront6targetE0EEEvT1_.uses_vcc, 0
	.set _ZN7rocprim17ROCPRIM_400000_NS6detail17trampoline_kernelINS0_14default_configENS1_25partition_config_selectorILNS1_17partition_subalgoE5EsNS0_10empty_typeEbEEZZNS1_14partition_implILS5_5ELb0ES3_mN6thrust23THRUST_200600_302600_NS6detail15normal_iteratorINSA_10device_ptrIsEEEEPS6_NSA_18transform_iteratorINSB_9not_fun_tI7is_trueIsEEESF_NSA_11use_defaultESM_EENS0_5tupleIJSF_S6_EEENSO_IJSG_SG_EEES6_PlJS6_EEE10hipError_tPvRmT3_T4_T5_T6_T7_T9_mT8_P12ihipStream_tbDpT10_ENKUlT_T0_E_clISt17integral_constantIbLb1EES1B_EEDaS16_S17_EUlS16_E_NS1_11comp_targetILNS1_3genE3ELNS1_11target_archE908ELNS1_3gpuE7ELNS1_3repE0EEENS1_30default_config_static_selectorELNS0_4arch9wavefront6targetE0EEEvT1_.uses_flat_scratch, 0
	.set _ZN7rocprim17ROCPRIM_400000_NS6detail17trampoline_kernelINS0_14default_configENS1_25partition_config_selectorILNS1_17partition_subalgoE5EsNS0_10empty_typeEbEEZZNS1_14partition_implILS5_5ELb0ES3_mN6thrust23THRUST_200600_302600_NS6detail15normal_iteratorINSA_10device_ptrIsEEEEPS6_NSA_18transform_iteratorINSB_9not_fun_tI7is_trueIsEEESF_NSA_11use_defaultESM_EENS0_5tupleIJSF_S6_EEENSO_IJSG_SG_EEES6_PlJS6_EEE10hipError_tPvRmT3_T4_T5_T6_T7_T9_mT8_P12ihipStream_tbDpT10_ENKUlT_T0_E_clISt17integral_constantIbLb1EES1B_EEDaS16_S17_EUlS16_E_NS1_11comp_targetILNS1_3genE3ELNS1_11target_archE908ELNS1_3gpuE7ELNS1_3repE0EEENS1_30default_config_static_selectorELNS0_4arch9wavefront6targetE0EEEvT1_.has_dyn_sized_stack, 0
	.set _ZN7rocprim17ROCPRIM_400000_NS6detail17trampoline_kernelINS0_14default_configENS1_25partition_config_selectorILNS1_17partition_subalgoE5EsNS0_10empty_typeEbEEZZNS1_14partition_implILS5_5ELb0ES3_mN6thrust23THRUST_200600_302600_NS6detail15normal_iteratorINSA_10device_ptrIsEEEEPS6_NSA_18transform_iteratorINSB_9not_fun_tI7is_trueIsEEESF_NSA_11use_defaultESM_EENS0_5tupleIJSF_S6_EEENSO_IJSG_SG_EEES6_PlJS6_EEE10hipError_tPvRmT3_T4_T5_T6_T7_T9_mT8_P12ihipStream_tbDpT10_ENKUlT_T0_E_clISt17integral_constantIbLb1EES1B_EEDaS16_S17_EUlS16_E_NS1_11comp_targetILNS1_3genE3ELNS1_11target_archE908ELNS1_3gpuE7ELNS1_3repE0EEENS1_30default_config_static_selectorELNS0_4arch9wavefront6targetE0EEEvT1_.has_recursion, 0
	.set _ZN7rocprim17ROCPRIM_400000_NS6detail17trampoline_kernelINS0_14default_configENS1_25partition_config_selectorILNS1_17partition_subalgoE5EsNS0_10empty_typeEbEEZZNS1_14partition_implILS5_5ELb0ES3_mN6thrust23THRUST_200600_302600_NS6detail15normal_iteratorINSA_10device_ptrIsEEEEPS6_NSA_18transform_iteratorINSB_9not_fun_tI7is_trueIsEEESF_NSA_11use_defaultESM_EENS0_5tupleIJSF_S6_EEENSO_IJSG_SG_EEES6_PlJS6_EEE10hipError_tPvRmT3_T4_T5_T6_T7_T9_mT8_P12ihipStream_tbDpT10_ENKUlT_T0_E_clISt17integral_constantIbLb1EES1B_EEDaS16_S17_EUlS16_E_NS1_11comp_targetILNS1_3genE3ELNS1_11target_archE908ELNS1_3gpuE7ELNS1_3repE0EEENS1_30default_config_static_selectorELNS0_4arch9wavefront6targetE0EEEvT1_.has_indirect_call, 0
	.section	.AMDGPU.csdata,"",@progbits
; Kernel info:
; codeLenInByte = 0
; TotalNumSgprs: 0
; NumVgprs: 0
; ScratchSize: 0
; MemoryBound: 0
; FloatMode: 240
; IeeeMode: 1
; LDSByteSize: 0 bytes/workgroup (compile time only)
; SGPRBlocks: 0
; VGPRBlocks: 0
; NumSGPRsForWavesPerEU: 1
; NumVGPRsForWavesPerEU: 1
; Occupancy: 16
; WaveLimiterHint : 0
; COMPUTE_PGM_RSRC2:SCRATCH_EN: 0
; COMPUTE_PGM_RSRC2:USER_SGPR: 2
; COMPUTE_PGM_RSRC2:TRAP_HANDLER: 0
; COMPUTE_PGM_RSRC2:TGID_X_EN: 1
; COMPUTE_PGM_RSRC2:TGID_Y_EN: 0
; COMPUTE_PGM_RSRC2:TGID_Z_EN: 0
; COMPUTE_PGM_RSRC2:TIDIG_COMP_CNT: 0
	.section	.text._ZN7rocprim17ROCPRIM_400000_NS6detail17trampoline_kernelINS0_14default_configENS1_25partition_config_selectorILNS1_17partition_subalgoE5EsNS0_10empty_typeEbEEZZNS1_14partition_implILS5_5ELb0ES3_mN6thrust23THRUST_200600_302600_NS6detail15normal_iteratorINSA_10device_ptrIsEEEEPS6_NSA_18transform_iteratorINSB_9not_fun_tI7is_trueIsEEESF_NSA_11use_defaultESM_EENS0_5tupleIJSF_S6_EEENSO_IJSG_SG_EEES6_PlJS6_EEE10hipError_tPvRmT3_T4_T5_T6_T7_T9_mT8_P12ihipStream_tbDpT10_ENKUlT_T0_E_clISt17integral_constantIbLb1EES1B_EEDaS16_S17_EUlS16_E_NS1_11comp_targetILNS1_3genE2ELNS1_11target_archE906ELNS1_3gpuE6ELNS1_3repE0EEENS1_30default_config_static_selectorELNS0_4arch9wavefront6targetE0EEEvT1_,"axG",@progbits,_ZN7rocprim17ROCPRIM_400000_NS6detail17trampoline_kernelINS0_14default_configENS1_25partition_config_selectorILNS1_17partition_subalgoE5EsNS0_10empty_typeEbEEZZNS1_14partition_implILS5_5ELb0ES3_mN6thrust23THRUST_200600_302600_NS6detail15normal_iteratorINSA_10device_ptrIsEEEEPS6_NSA_18transform_iteratorINSB_9not_fun_tI7is_trueIsEEESF_NSA_11use_defaultESM_EENS0_5tupleIJSF_S6_EEENSO_IJSG_SG_EEES6_PlJS6_EEE10hipError_tPvRmT3_T4_T5_T6_T7_T9_mT8_P12ihipStream_tbDpT10_ENKUlT_T0_E_clISt17integral_constantIbLb1EES1B_EEDaS16_S17_EUlS16_E_NS1_11comp_targetILNS1_3genE2ELNS1_11target_archE906ELNS1_3gpuE6ELNS1_3repE0EEENS1_30default_config_static_selectorELNS0_4arch9wavefront6targetE0EEEvT1_,comdat
	.protected	_ZN7rocprim17ROCPRIM_400000_NS6detail17trampoline_kernelINS0_14default_configENS1_25partition_config_selectorILNS1_17partition_subalgoE5EsNS0_10empty_typeEbEEZZNS1_14partition_implILS5_5ELb0ES3_mN6thrust23THRUST_200600_302600_NS6detail15normal_iteratorINSA_10device_ptrIsEEEEPS6_NSA_18transform_iteratorINSB_9not_fun_tI7is_trueIsEEESF_NSA_11use_defaultESM_EENS0_5tupleIJSF_S6_EEENSO_IJSG_SG_EEES6_PlJS6_EEE10hipError_tPvRmT3_T4_T5_T6_T7_T9_mT8_P12ihipStream_tbDpT10_ENKUlT_T0_E_clISt17integral_constantIbLb1EES1B_EEDaS16_S17_EUlS16_E_NS1_11comp_targetILNS1_3genE2ELNS1_11target_archE906ELNS1_3gpuE6ELNS1_3repE0EEENS1_30default_config_static_selectorELNS0_4arch9wavefront6targetE0EEEvT1_ ; -- Begin function _ZN7rocprim17ROCPRIM_400000_NS6detail17trampoline_kernelINS0_14default_configENS1_25partition_config_selectorILNS1_17partition_subalgoE5EsNS0_10empty_typeEbEEZZNS1_14partition_implILS5_5ELb0ES3_mN6thrust23THRUST_200600_302600_NS6detail15normal_iteratorINSA_10device_ptrIsEEEEPS6_NSA_18transform_iteratorINSB_9not_fun_tI7is_trueIsEEESF_NSA_11use_defaultESM_EENS0_5tupleIJSF_S6_EEENSO_IJSG_SG_EEES6_PlJS6_EEE10hipError_tPvRmT3_T4_T5_T6_T7_T9_mT8_P12ihipStream_tbDpT10_ENKUlT_T0_E_clISt17integral_constantIbLb1EES1B_EEDaS16_S17_EUlS16_E_NS1_11comp_targetILNS1_3genE2ELNS1_11target_archE906ELNS1_3gpuE6ELNS1_3repE0EEENS1_30default_config_static_selectorELNS0_4arch9wavefront6targetE0EEEvT1_
	.globl	_ZN7rocprim17ROCPRIM_400000_NS6detail17trampoline_kernelINS0_14default_configENS1_25partition_config_selectorILNS1_17partition_subalgoE5EsNS0_10empty_typeEbEEZZNS1_14partition_implILS5_5ELb0ES3_mN6thrust23THRUST_200600_302600_NS6detail15normal_iteratorINSA_10device_ptrIsEEEEPS6_NSA_18transform_iteratorINSB_9not_fun_tI7is_trueIsEEESF_NSA_11use_defaultESM_EENS0_5tupleIJSF_S6_EEENSO_IJSG_SG_EEES6_PlJS6_EEE10hipError_tPvRmT3_T4_T5_T6_T7_T9_mT8_P12ihipStream_tbDpT10_ENKUlT_T0_E_clISt17integral_constantIbLb1EES1B_EEDaS16_S17_EUlS16_E_NS1_11comp_targetILNS1_3genE2ELNS1_11target_archE906ELNS1_3gpuE6ELNS1_3repE0EEENS1_30default_config_static_selectorELNS0_4arch9wavefront6targetE0EEEvT1_
	.p2align	8
	.type	_ZN7rocprim17ROCPRIM_400000_NS6detail17trampoline_kernelINS0_14default_configENS1_25partition_config_selectorILNS1_17partition_subalgoE5EsNS0_10empty_typeEbEEZZNS1_14partition_implILS5_5ELb0ES3_mN6thrust23THRUST_200600_302600_NS6detail15normal_iteratorINSA_10device_ptrIsEEEEPS6_NSA_18transform_iteratorINSB_9not_fun_tI7is_trueIsEEESF_NSA_11use_defaultESM_EENS0_5tupleIJSF_S6_EEENSO_IJSG_SG_EEES6_PlJS6_EEE10hipError_tPvRmT3_T4_T5_T6_T7_T9_mT8_P12ihipStream_tbDpT10_ENKUlT_T0_E_clISt17integral_constantIbLb1EES1B_EEDaS16_S17_EUlS16_E_NS1_11comp_targetILNS1_3genE2ELNS1_11target_archE906ELNS1_3gpuE6ELNS1_3repE0EEENS1_30default_config_static_selectorELNS0_4arch9wavefront6targetE0EEEvT1_,@function
_ZN7rocprim17ROCPRIM_400000_NS6detail17trampoline_kernelINS0_14default_configENS1_25partition_config_selectorILNS1_17partition_subalgoE5EsNS0_10empty_typeEbEEZZNS1_14partition_implILS5_5ELb0ES3_mN6thrust23THRUST_200600_302600_NS6detail15normal_iteratorINSA_10device_ptrIsEEEEPS6_NSA_18transform_iteratorINSB_9not_fun_tI7is_trueIsEEESF_NSA_11use_defaultESM_EENS0_5tupleIJSF_S6_EEENSO_IJSG_SG_EEES6_PlJS6_EEE10hipError_tPvRmT3_T4_T5_T6_T7_T9_mT8_P12ihipStream_tbDpT10_ENKUlT_T0_E_clISt17integral_constantIbLb1EES1B_EEDaS16_S17_EUlS16_E_NS1_11comp_targetILNS1_3genE2ELNS1_11target_archE906ELNS1_3gpuE6ELNS1_3repE0EEENS1_30default_config_static_selectorELNS0_4arch9wavefront6targetE0EEEvT1_: ; @_ZN7rocprim17ROCPRIM_400000_NS6detail17trampoline_kernelINS0_14default_configENS1_25partition_config_selectorILNS1_17partition_subalgoE5EsNS0_10empty_typeEbEEZZNS1_14partition_implILS5_5ELb0ES3_mN6thrust23THRUST_200600_302600_NS6detail15normal_iteratorINSA_10device_ptrIsEEEEPS6_NSA_18transform_iteratorINSB_9not_fun_tI7is_trueIsEEESF_NSA_11use_defaultESM_EENS0_5tupleIJSF_S6_EEENSO_IJSG_SG_EEES6_PlJS6_EEE10hipError_tPvRmT3_T4_T5_T6_T7_T9_mT8_P12ihipStream_tbDpT10_ENKUlT_T0_E_clISt17integral_constantIbLb1EES1B_EEDaS16_S17_EUlS16_E_NS1_11comp_targetILNS1_3genE2ELNS1_11target_archE906ELNS1_3gpuE6ELNS1_3repE0EEENS1_30default_config_static_selectorELNS0_4arch9wavefront6targetE0EEEvT1_
; %bb.0:
	.section	.rodata,"a",@progbits
	.p2align	6, 0x0
	.amdhsa_kernel _ZN7rocprim17ROCPRIM_400000_NS6detail17trampoline_kernelINS0_14default_configENS1_25partition_config_selectorILNS1_17partition_subalgoE5EsNS0_10empty_typeEbEEZZNS1_14partition_implILS5_5ELb0ES3_mN6thrust23THRUST_200600_302600_NS6detail15normal_iteratorINSA_10device_ptrIsEEEEPS6_NSA_18transform_iteratorINSB_9not_fun_tI7is_trueIsEEESF_NSA_11use_defaultESM_EENS0_5tupleIJSF_S6_EEENSO_IJSG_SG_EEES6_PlJS6_EEE10hipError_tPvRmT3_T4_T5_T6_T7_T9_mT8_P12ihipStream_tbDpT10_ENKUlT_T0_E_clISt17integral_constantIbLb1EES1B_EEDaS16_S17_EUlS16_E_NS1_11comp_targetILNS1_3genE2ELNS1_11target_archE906ELNS1_3gpuE6ELNS1_3repE0EEENS1_30default_config_static_selectorELNS0_4arch9wavefront6targetE0EEEvT1_
		.amdhsa_group_segment_fixed_size 0
		.amdhsa_private_segment_fixed_size 0
		.amdhsa_kernarg_size 136
		.amdhsa_user_sgpr_count 2
		.amdhsa_user_sgpr_dispatch_ptr 0
		.amdhsa_user_sgpr_queue_ptr 0
		.amdhsa_user_sgpr_kernarg_segment_ptr 1
		.amdhsa_user_sgpr_dispatch_id 0
		.amdhsa_user_sgpr_private_segment_size 0
		.amdhsa_wavefront_size32 1
		.amdhsa_uses_dynamic_stack 0
		.amdhsa_enable_private_segment 0
		.amdhsa_system_sgpr_workgroup_id_x 1
		.amdhsa_system_sgpr_workgroup_id_y 0
		.amdhsa_system_sgpr_workgroup_id_z 0
		.amdhsa_system_sgpr_workgroup_info 0
		.amdhsa_system_vgpr_workitem_id 0
		.amdhsa_next_free_vgpr 1
		.amdhsa_next_free_sgpr 1
		.amdhsa_reserve_vcc 0
		.amdhsa_float_round_mode_32 0
		.amdhsa_float_round_mode_16_64 0
		.amdhsa_float_denorm_mode_32 3
		.amdhsa_float_denorm_mode_16_64 3
		.amdhsa_fp16_overflow 0
		.amdhsa_workgroup_processor_mode 1
		.amdhsa_memory_ordered 1
		.amdhsa_forward_progress 1
		.amdhsa_inst_pref_size 0
		.amdhsa_round_robin_scheduling 0
		.amdhsa_exception_fp_ieee_invalid_op 0
		.amdhsa_exception_fp_denorm_src 0
		.amdhsa_exception_fp_ieee_div_zero 0
		.amdhsa_exception_fp_ieee_overflow 0
		.amdhsa_exception_fp_ieee_underflow 0
		.amdhsa_exception_fp_ieee_inexact 0
		.amdhsa_exception_int_div_zero 0
	.end_amdhsa_kernel
	.section	.text._ZN7rocprim17ROCPRIM_400000_NS6detail17trampoline_kernelINS0_14default_configENS1_25partition_config_selectorILNS1_17partition_subalgoE5EsNS0_10empty_typeEbEEZZNS1_14partition_implILS5_5ELb0ES3_mN6thrust23THRUST_200600_302600_NS6detail15normal_iteratorINSA_10device_ptrIsEEEEPS6_NSA_18transform_iteratorINSB_9not_fun_tI7is_trueIsEEESF_NSA_11use_defaultESM_EENS0_5tupleIJSF_S6_EEENSO_IJSG_SG_EEES6_PlJS6_EEE10hipError_tPvRmT3_T4_T5_T6_T7_T9_mT8_P12ihipStream_tbDpT10_ENKUlT_T0_E_clISt17integral_constantIbLb1EES1B_EEDaS16_S17_EUlS16_E_NS1_11comp_targetILNS1_3genE2ELNS1_11target_archE906ELNS1_3gpuE6ELNS1_3repE0EEENS1_30default_config_static_selectorELNS0_4arch9wavefront6targetE0EEEvT1_,"axG",@progbits,_ZN7rocprim17ROCPRIM_400000_NS6detail17trampoline_kernelINS0_14default_configENS1_25partition_config_selectorILNS1_17partition_subalgoE5EsNS0_10empty_typeEbEEZZNS1_14partition_implILS5_5ELb0ES3_mN6thrust23THRUST_200600_302600_NS6detail15normal_iteratorINSA_10device_ptrIsEEEEPS6_NSA_18transform_iteratorINSB_9not_fun_tI7is_trueIsEEESF_NSA_11use_defaultESM_EENS0_5tupleIJSF_S6_EEENSO_IJSG_SG_EEES6_PlJS6_EEE10hipError_tPvRmT3_T4_T5_T6_T7_T9_mT8_P12ihipStream_tbDpT10_ENKUlT_T0_E_clISt17integral_constantIbLb1EES1B_EEDaS16_S17_EUlS16_E_NS1_11comp_targetILNS1_3genE2ELNS1_11target_archE906ELNS1_3gpuE6ELNS1_3repE0EEENS1_30default_config_static_selectorELNS0_4arch9wavefront6targetE0EEEvT1_,comdat
.Lfunc_end1545:
	.size	_ZN7rocprim17ROCPRIM_400000_NS6detail17trampoline_kernelINS0_14default_configENS1_25partition_config_selectorILNS1_17partition_subalgoE5EsNS0_10empty_typeEbEEZZNS1_14partition_implILS5_5ELb0ES3_mN6thrust23THRUST_200600_302600_NS6detail15normal_iteratorINSA_10device_ptrIsEEEEPS6_NSA_18transform_iteratorINSB_9not_fun_tI7is_trueIsEEESF_NSA_11use_defaultESM_EENS0_5tupleIJSF_S6_EEENSO_IJSG_SG_EEES6_PlJS6_EEE10hipError_tPvRmT3_T4_T5_T6_T7_T9_mT8_P12ihipStream_tbDpT10_ENKUlT_T0_E_clISt17integral_constantIbLb1EES1B_EEDaS16_S17_EUlS16_E_NS1_11comp_targetILNS1_3genE2ELNS1_11target_archE906ELNS1_3gpuE6ELNS1_3repE0EEENS1_30default_config_static_selectorELNS0_4arch9wavefront6targetE0EEEvT1_, .Lfunc_end1545-_ZN7rocprim17ROCPRIM_400000_NS6detail17trampoline_kernelINS0_14default_configENS1_25partition_config_selectorILNS1_17partition_subalgoE5EsNS0_10empty_typeEbEEZZNS1_14partition_implILS5_5ELb0ES3_mN6thrust23THRUST_200600_302600_NS6detail15normal_iteratorINSA_10device_ptrIsEEEEPS6_NSA_18transform_iteratorINSB_9not_fun_tI7is_trueIsEEESF_NSA_11use_defaultESM_EENS0_5tupleIJSF_S6_EEENSO_IJSG_SG_EEES6_PlJS6_EEE10hipError_tPvRmT3_T4_T5_T6_T7_T9_mT8_P12ihipStream_tbDpT10_ENKUlT_T0_E_clISt17integral_constantIbLb1EES1B_EEDaS16_S17_EUlS16_E_NS1_11comp_targetILNS1_3genE2ELNS1_11target_archE906ELNS1_3gpuE6ELNS1_3repE0EEENS1_30default_config_static_selectorELNS0_4arch9wavefront6targetE0EEEvT1_
                                        ; -- End function
	.set _ZN7rocprim17ROCPRIM_400000_NS6detail17trampoline_kernelINS0_14default_configENS1_25partition_config_selectorILNS1_17partition_subalgoE5EsNS0_10empty_typeEbEEZZNS1_14partition_implILS5_5ELb0ES3_mN6thrust23THRUST_200600_302600_NS6detail15normal_iteratorINSA_10device_ptrIsEEEEPS6_NSA_18transform_iteratorINSB_9not_fun_tI7is_trueIsEEESF_NSA_11use_defaultESM_EENS0_5tupleIJSF_S6_EEENSO_IJSG_SG_EEES6_PlJS6_EEE10hipError_tPvRmT3_T4_T5_T6_T7_T9_mT8_P12ihipStream_tbDpT10_ENKUlT_T0_E_clISt17integral_constantIbLb1EES1B_EEDaS16_S17_EUlS16_E_NS1_11comp_targetILNS1_3genE2ELNS1_11target_archE906ELNS1_3gpuE6ELNS1_3repE0EEENS1_30default_config_static_selectorELNS0_4arch9wavefront6targetE0EEEvT1_.num_vgpr, 0
	.set _ZN7rocprim17ROCPRIM_400000_NS6detail17trampoline_kernelINS0_14default_configENS1_25partition_config_selectorILNS1_17partition_subalgoE5EsNS0_10empty_typeEbEEZZNS1_14partition_implILS5_5ELb0ES3_mN6thrust23THRUST_200600_302600_NS6detail15normal_iteratorINSA_10device_ptrIsEEEEPS6_NSA_18transform_iteratorINSB_9not_fun_tI7is_trueIsEEESF_NSA_11use_defaultESM_EENS0_5tupleIJSF_S6_EEENSO_IJSG_SG_EEES6_PlJS6_EEE10hipError_tPvRmT3_T4_T5_T6_T7_T9_mT8_P12ihipStream_tbDpT10_ENKUlT_T0_E_clISt17integral_constantIbLb1EES1B_EEDaS16_S17_EUlS16_E_NS1_11comp_targetILNS1_3genE2ELNS1_11target_archE906ELNS1_3gpuE6ELNS1_3repE0EEENS1_30default_config_static_selectorELNS0_4arch9wavefront6targetE0EEEvT1_.num_agpr, 0
	.set _ZN7rocprim17ROCPRIM_400000_NS6detail17trampoline_kernelINS0_14default_configENS1_25partition_config_selectorILNS1_17partition_subalgoE5EsNS0_10empty_typeEbEEZZNS1_14partition_implILS5_5ELb0ES3_mN6thrust23THRUST_200600_302600_NS6detail15normal_iteratorINSA_10device_ptrIsEEEEPS6_NSA_18transform_iteratorINSB_9not_fun_tI7is_trueIsEEESF_NSA_11use_defaultESM_EENS0_5tupleIJSF_S6_EEENSO_IJSG_SG_EEES6_PlJS6_EEE10hipError_tPvRmT3_T4_T5_T6_T7_T9_mT8_P12ihipStream_tbDpT10_ENKUlT_T0_E_clISt17integral_constantIbLb1EES1B_EEDaS16_S17_EUlS16_E_NS1_11comp_targetILNS1_3genE2ELNS1_11target_archE906ELNS1_3gpuE6ELNS1_3repE0EEENS1_30default_config_static_selectorELNS0_4arch9wavefront6targetE0EEEvT1_.numbered_sgpr, 0
	.set _ZN7rocprim17ROCPRIM_400000_NS6detail17trampoline_kernelINS0_14default_configENS1_25partition_config_selectorILNS1_17partition_subalgoE5EsNS0_10empty_typeEbEEZZNS1_14partition_implILS5_5ELb0ES3_mN6thrust23THRUST_200600_302600_NS6detail15normal_iteratorINSA_10device_ptrIsEEEEPS6_NSA_18transform_iteratorINSB_9not_fun_tI7is_trueIsEEESF_NSA_11use_defaultESM_EENS0_5tupleIJSF_S6_EEENSO_IJSG_SG_EEES6_PlJS6_EEE10hipError_tPvRmT3_T4_T5_T6_T7_T9_mT8_P12ihipStream_tbDpT10_ENKUlT_T0_E_clISt17integral_constantIbLb1EES1B_EEDaS16_S17_EUlS16_E_NS1_11comp_targetILNS1_3genE2ELNS1_11target_archE906ELNS1_3gpuE6ELNS1_3repE0EEENS1_30default_config_static_selectorELNS0_4arch9wavefront6targetE0EEEvT1_.num_named_barrier, 0
	.set _ZN7rocprim17ROCPRIM_400000_NS6detail17trampoline_kernelINS0_14default_configENS1_25partition_config_selectorILNS1_17partition_subalgoE5EsNS0_10empty_typeEbEEZZNS1_14partition_implILS5_5ELb0ES3_mN6thrust23THRUST_200600_302600_NS6detail15normal_iteratorINSA_10device_ptrIsEEEEPS6_NSA_18transform_iteratorINSB_9not_fun_tI7is_trueIsEEESF_NSA_11use_defaultESM_EENS0_5tupleIJSF_S6_EEENSO_IJSG_SG_EEES6_PlJS6_EEE10hipError_tPvRmT3_T4_T5_T6_T7_T9_mT8_P12ihipStream_tbDpT10_ENKUlT_T0_E_clISt17integral_constantIbLb1EES1B_EEDaS16_S17_EUlS16_E_NS1_11comp_targetILNS1_3genE2ELNS1_11target_archE906ELNS1_3gpuE6ELNS1_3repE0EEENS1_30default_config_static_selectorELNS0_4arch9wavefront6targetE0EEEvT1_.private_seg_size, 0
	.set _ZN7rocprim17ROCPRIM_400000_NS6detail17trampoline_kernelINS0_14default_configENS1_25partition_config_selectorILNS1_17partition_subalgoE5EsNS0_10empty_typeEbEEZZNS1_14partition_implILS5_5ELb0ES3_mN6thrust23THRUST_200600_302600_NS6detail15normal_iteratorINSA_10device_ptrIsEEEEPS6_NSA_18transform_iteratorINSB_9not_fun_tI7is_trueIsEEESF_NSA_11use_defaultESM_EENS0_5tupleIJSF_S6_EEENSO_IJSG_SG_EEES6_PlJS6_EEE10hipError_tPvRmT3_T4_T5_T6_T7_T9_mT8_P12ihipStream_tbDpT10_ENKUlT_T0_E_clISt17integral_constantIbLb1EES1B_EEDaS16_S17_EUlS16_E_NS1_11comp_targetILNS1_3genE2ELNS1_11target_archE906ELNS1_3gpuE6ELNS1_3repE0EEENS1_30default_config_static_selectorELNS0_4arch9wavefront6targetE0EEEvT1_.uses_vcc, 0
	.set _ZN7rocprim17ROCPRIM_400000_NS6detail17trampoline_kernelINS0_14default_configENS1_25partition_config_selectorILNS1_17partition_subalgoE5EsNS0_10empty_typeEbEEZZNS1_14partition_implILS5_5ELb0ES3_mN6thrust23THRUST_200600_302600_NS6detail15normal_iteratorINSA_10device_ptrIsEEEEPS6_NSA_18transform_iteratorINSB_9not_fun_tI7is_trueIsEEESF_NSA_11use_defaultESM_EENS0_5tupleIJSF_S6_EEENSO_IJSG_SG_EEES6_PlJS6_EEE10hipError_tPvRmT3_T4_T5_T6_T7_T9_mT8_P12ihipStream_tbDpT10_ENKUlT_T0_E_clISt17integral_constantIbLb1EES1B_EEDaS16_S17_EUlS16_E_NS1_11comp_targetILNS1_3genE2ELNS1_11target_archE906ELNS1_3gpuE6ELNS1_3repE0EEENS1_30default_config_static_selectorELNS0_4arch9wavefront6targetE0EEEvT1_.uses_flat_scratch, 0
	.set _ZN7rocprim17ROCPRIM_400000_NS6detail17trampoline_kernelINS0_14default_configENS1_25partition_config_selectorILNS1_17partition_subalgoE5EsNS0_10empty_typeEbEEZZNS1_14partition_implILS5_5ELb0ES3_mN6thrust23THRUST_200600_302600_NS6detail15normal_iteratorINSA_10device_ptrIsEEEEPS6_NSA_18transform_iteratorINSB_9not_fun_tI7is_trueIsEEESF_NSA_11use_defaultESM_EENS0_5tupleIJSF_S6_EEENSO_IJSG_SG_EEES6_PlJS6_EEE10hipError_tPvRmT3_T4_T5_T6_T7_T9_mT8_P12ihipStream_tbDpT10_ENKUlT_T0_E_clISt17integral_constantIbLb1EES1B_EEDaS16_S17_EUlS16_E_NS1_11comp_targetILNS1_3genE2ELNS1_11target_archE906ELNS1_3gpuE6ELNS1_3repE0EEENS1_30default_config_static_selectorELNS0_4arch9wavefront6targetE0EEEvT1_.has_dyn_sized_stack, 0
	.set _ZN7rocprim17ROCPRIM_400000_NS6detail17trampoline_kernelINS0_14default_configENS1_25partition_config_selectorILNS1_17partition_subalgoE5EsNS0_10empty_typeEbEEZZNS1_14partition_implILS5_5ELb0ES3_mN6thrust23THRUST_200600_302600_NS6detail15normal_iteratorINSA_10device_ptrIsEEEEPS6_NSA_18transform_iteratorINSB_9not_fun_tI7is_trueIsEEESF_NSA_11use_defaultESM_EENS0_5tupleIJSF_S6_EEENSO_IJSG_SG_EEES6_PlJS6_EEE10hipError_tPvRmT3_T4_T5_T6_T7_T9_mT8_P12ihipStream_tbDpT10_ENKUlT_T0_E_clISt17integral_constantIbLb1EES1B_EEDaS16_S17_EUlS16_E_NS1_11comp_targetILNS1_3genE2ELNS1_11target_archE906ELNS1_3gpuE6ELNS1_3repE0EEENS1_30default_config_static_selectorELNS0_4arch9wavefront6targetE0EEEvT1_.has_recursion, 0
	.set _ZN7rocprim17ROCPRIM_400000_NS6detail17trampoline_kernelINS0_14default_configENS1_25partition_config_selectorILNS1_17partition_subalgoE5EsNS0_10empty_typeEbEEZZNS1_14partition_implILS5_5ELb0ES3_mN6thrust23THRUST_200600_302600_NS6detail15normal_iteratorINSA_10device_ptrIsEEEEPS6_NSA_18transform_iteratorINSB_9not_fun_tI7is_trueIsEEESF_NSA_11use_defaultESM_EENS0_5tupleIJSF_S6_EEENSO_IJSG_SG_EEES6_PlJS6_EEE10hipError_tPvRmT3_T4_T5_T6_T7_T9_mT8_P12ihipStream_tbDpT10_ENKUlT_T0_E_clISt17integral_constantIbLb1EES1B_EEDaS16_S17_EUlS16_E_NS1_11comp_targetILNS1_3genE2ELNS1_11target_archE906ELNS1_3gpuE6ELNS1_3repE0EEENS1_30default_config_static_selectorELNS0_4arch9wavefront6targetE0EEEvT1_.has_indirect_call, 0
	.section	.AMDGPU.csdata,"",@progbits
; Kernel info:
; codeLenInByte = 0
; TotalNumSgprs: 0
; NumVgprs: 0
; ScratchSize: 0
; MemoryBound: 0
; FloatMode: 240
; IeeeMode: 1
; LDSByteSize: 0 bytes/workgroup (compile time only)
; SGPRBlocks: 0
; VGPRBlocks: 0
; NumSGPRsForWavesPerEU: 1
; NumVGPRsForWavesPerEU: 1
; Occupancy: 16
; WaveLimiterHint : 0
; COMPUTE_PGM_RSRC2:SCRATCH_EN: 0
; COMPUTE_PGM_RSRC2:USER_SGPR: 2
; COMPUTE_PGM_RSRC2:TRAP_HANDLER: 0
; COMPUTE_PGM_RSRC2:TGID_X_EN: 1
; COMPUTE_PGM_RSRC2:TGID_Y_EN: 0
; COMPUTE_PGM_RSRC2:TGID_Z_EN: 0
; COMPUTE_PGM_RSRC2:TIDIG_COMP_CNT: 0
	.section	.text._ZN7rocprim17ROCPRIM_400000_NS6detail17trampoline_kernelINS0_14default_configENS1_25partition_config_selectorILNS1_17partition_subalgoE5EsNS0_10empty_typeEbEEZZNS1_14partition_implILS5_5ELb0ES3_mN6thrust23THRUST_200600_302600_NS6detail15normal_iteratorINSA_10device_ptrIsEEEEPS6_NSA_18transform_iteratorINSB_9not_fun_tI7is_trueIsEEESF_NSA_11use_defaultESM_EENS0_5tupleIJSF_S6_EEENSO_IJSG_SG_EEES6_PlJS6_EEE10hipError_tPvRmT3_T4_T5_T6_T7_T9_mT8_P12ihipStream_tbDpT10_ENKUlT_T0_E_clISt17integral_constantIbLb1EES1B_EEDaS16_S17_EUlS16_E_NS1_11comp_targetILNS1_3genE10ELNS1_11target_archE1200ELNS1_3gpuE4ELNS1_3repE0EEENS1_30default_config_static_selectorELNS0_4arch9wavefront6targetE0EEEvT1_,"axG",@progbits,_ZN7rocprim17ROCPRIM_400000_NS6detail17trampoline_kernelINS0_14default_configENS1_25partition_config_selectorILNS1_17partition_subalgoE5EsNS0_10empty_typeEbEEZZNS1_14partition_implILS5_5ELb0ES3_mN6thrust23THRUST_200600_302600_NS6detail15normal_iteratorINSA_10device_ptrIsEEEEPS6_NSA_18transform_iteratorINSB_9not_fun_tI7is_trueIsEEESF_NSA_11use_defaultESM_EENS0_5tupleIJSF_S6_EEENSO_IJSG_SG_EEES6_PlJS6_EEE10hipError_tPvRmT3_T4_T5_T6_T7_T9_mT8_P12ihipStream_tbDpT10_ENKUlT_T0_E_clISt17integral_constantIbLb1EES1B_EEDaS16_S17_EUlS16_E_NS1_11comp_targetILNS1_3genE10ELNS1_11target_archE1200ELNS1_3gpuE4ELNS1_3repE0EEENS1_30default_config_static_selectorELNS0_4arch9wavefront6targetE0EEEvT1_,comdat
	.protected	_ZN7rocprim17ROCPRIM_400000_NS6detail17trampoline_kernelINS0_14default_configENS1_25partition_config_selectorILNS1_17partition_subalgoE5EsNS0_10empty_typeEbEEZZNS1_14partition_implILS5_5ELb0ES3_mN6thrust23THRUST_200600_302600_NS6detail15normal_iteratorINSA_10device_ptrIsEEEEPS6_NSA_18transform_iteratorINSB_9not_fun_tI7is_trueIsEEESF_NSA_11use_defaultESM_EENS0_5tupleIJSF_S6_EEENSO_IJSG_SG_EEES6_PlJS6_EEE10hipError_tPvRmT3_T4_T5_T6_T7_T9_mT8_P12ihipStream_tbDpT10_ENKUlT_T0_E_clISt17integral_constantIbLb1EES1B_EEDaS16_S17_EUlS16_E_NS1_11comp_targetILNS1_3genE10ELNS1_11target_archE1200ELNS1_3gpuE4ELNS1_3repE0EEENS1_30default_config_static_selectorELNS0_4arch9wavefront6targetE0EEEvT1_ ; -- Begin function _ZN7rocprim17ROCPRIM_400000_NS6detail17trampoline_kernelINS0_14default_configENS1_25partition_config_selectorILNS1_17partition_subalgoE5EsNS0_10empty_typeEbEEZZNS1_14partition_implILS5_5ELb0ES3_mN6thrust23THRUST_200600_302600_NS6detail15normal_iteratorINSA_10device_ptrIsEEEEPS6_NSA_18transform_iteratorINSB_9not_fun_tI7is_trueIsEEESF_NSA_11use_defaultESM_EENS0_5tupleIJSF_S6_EEENSO_IJSG_SG_EEES6_PlJS6_EEE10hipError_tPvRmT3_T4_T5_T6_T7_T9_mT8_P12ihipStream_tbDpT10_ENKUlT_T0_E_clISt17integral_constantIbLb1EES1B_EEDaS16_S17_EUlS16_E_NS1_11comp_targetILNS1_3genE10ELNS1_11target_archE1200ELNS1_3gpuE4ELNS1_3repE0EEENS1_30default_config_static_selectorELNS0_4arch9wavefront6targetE0EEEvT1_
	.globl	_ZN7rocprim17ROCPRIM_400000_NS6detail17trampoline_kernelINS0_14default_configENS1_25partition_config_selectorILNS1_17partition_subalgoE5EsNS0_10empty_typeEbEEZZNS1_14partition_implILS5_5ELb0ES3_mN6thrust23THRUST_200600_302600_NS6detail15normal_iteratorINSA_10device_ptrIsEEEEPS6_NSA_18transform_iteratorINSB_9not_fun_tI7is_trueIsEEESF_NSA_11use_defaultESM_EENS0_5tupleIJSF_S6_EEENSO_IJSG_SG_EEES6_PlJS6_EEE10hipError_tPvRmT3_T4_T5_T6_T7_T9_mT8_P12ihipStream_tbDpT10_ENKUlT_T0_E_clISt17integral_constantIbLb1EES1B_EEDaS16_S17_EUlS16_E_NS1_11comp_targetILNS1_3genE10ELNS1_11target_archE1200ELNS1_3gpuE4ELNS1_3repE0EEENS1_30default_config_static_selectorELNS0_4arch9wavefront6targetE0EEEvT1_
	.p2align	8
	.type	_ZN7rocprim17ROCPRIM_400000_NS6detail17trampoline_kernelINS0_14default_configENS1_25partition_config_selectorILNS1_17partition_subalgoE5EsNS0_10empty_typeEbEEZZNS1_14partition_implILS5_5ELb0ES3_mN6thrust23THRUST_200600_302600_NS6detail15normal_iteratorINSA_10device_ptrIsEEEEPS6_NSA_18transform_iteratorINSB_9not_fun_tI7is_trueIsEEESF_NSA_11use_defaultESM_EENS0_5tupleIJSF_S6_EEENSO_IJSG_SG_EEES6_PlJS6_EEE10hipError_tPvRmT3_T4_T5_T6_T7_T9_mT8_P12ihipStream_tbDpT10_ENKUlT_T0_E_clISt17integral_constantIbLb1EES1B_EEDaS16_S17_EUlS16_E_NS1_11comp_targetILNS1_3genE10ELNS1_11target_archE1200ELNS1_3gpuE4ELNS1_3repE0EEENS1_30default_config_static_selectorELNS0_4arch9wavefront6targetE0EEEvT1_,@function
_ZN7rocprim17ROCPRIM_400000_NS6detail17trampoline_kernelINS0_14default_configENS1_25partition_config_selectorILNS1_17partition_subalgoE5EsNS0_10empty_typeEbEEZZNS1_14partition_implILS5_5ELb0ES3_mN6thrust23THRUST_200600_302600_NS6detail15normal_iteratorINSA_10device_ptrIsEEEEPS6_NSA_18transform_iteratorINSB_9not_fun_tI7is_trueIsEEESF_NSA_11use_defaultESM_EENS0_5tupleIJSF_S6_EEENSO_IJSG_SG_EEES6_PlJS6_EEE10hipError_tPvRmT3_T4_T5_T6_T7_T9_mT8_P12ihipStream_tbDpT10_ENKUlT_T0_E_clISt17integral_constantIbLb1EES1B_EEDaS16_S17_EUlS16_E_NS1_11comp_targetILNS1_3genE10ELNS1_11target_archE1200ELNS1_3gpuE4ELNS1_3repE0EEENS1_30default_config_static_selectorELNS0_4arch9wavefront6targetE0EEEvT1_: ; @_ZN7rocprim17ROCPRIM_400000_NS6detail17trampoline_kernelINS0_14default_configENS1_25partition_config_selectorILNS1_17partition_subalgoE5EsNS0_10empty_typeEbEEZZNS1_14partition_implILS5_5ELb0ES3_mN6thrust23THRUST_200600_302600_NS6detail15normal_iteratorINSA_10device_ptrIsEEEEPS6_NSA_18transform_iteratorINSB_9not_fun_tI7is_trueIsEEESF_NSA_11use_defaultESM_EENS0_5tupleIJSF_S6_EEENSO_IJSG_SG_EEES6_PlJS6_EEE10hipError_tPvRmT3_T4_T5_T6_T7_T9_mT8_P12ihipStream_tbDpT10_ENKUlT_T0_E_clISt17integral_constantIbLb1EES1B_EEDaS16_S17_EUlS16_E_NS1_11comp_targetILNS1_3genE10ELNS1_11target_archE1200ELNS1_3gpuE4ELNS1_3repE0EEENS1_30default_config_static_selectorELNS0_4arch9wavefront6targetE0EEEvT1_
; %bb.0:
	s_endpgm
	.section	.rodata,"a",@progbits
	.p2align	6, 0x0
	.amdhsa_kernel _ZN7rocprim17ROCPRIM_400000_NS6detail17trampoline_kernelINS0_14default_configENS1_25partition_config_selectorILNS1_17partition_subalgoE5EsNS0_10empty_typeEbEEZZNS1_14partition_implILS5_5ELb0ES3_mN6thrust23THRUST_200600_302600_NS6detail15normal_iteratorINSA_10device_ptrIsEEEEPS6_NSA_18transform_iteratorINSB_9not_fun_tI7is_trueIsEEESF_NSA_11use_defaultESM_EENS0_5tupleIJSF_S6_EEENSO_IJSG_SG_EEES6_PlJS6_EEE10hipError_tPvRmT3_T4_T5_T6_T7_T9_mT8_P12ihipStream_tbDpT10_ENKUlT_T0_E_clISt17integral_constantIbLb1EES1B_EEDaS16_S17_EUlS16_E_NS1_11comp_targetILNS1_3genE10ELNS1_11target_archE1200ELNS1_3gpuE4ELNS1_3repE0EEENS1_30default_config_static_selectorELNS0_4arch9wavefront6targetE0EEEvT1_
		.amdhsa_group_segment_fixed_size 0
		.amdhsa_private_segment_fixed_size 0
		.amdhsa_kernarg_size 136
		.amdhsa_user_sgpr_count 2
		.amdhsa_user_sgpr_dispatch_ptr 0
		.amdhsa_user_sgpr_queue_ptr 0
		.amdhsa_user_sgpr_kernarg_segment_ptr 1
		.amdhsa_user_sgpr_dispatch_id 0
		.amdhsa_user_sgpr_private_segment_size 0
		.amdhsa_wavefront_size32 1
		.amdhsa_uses_dynamic_stack 0
		.amdhsa_enable_private_segment 0
		.amdhsa_system_sgpr_workgroup_id_x 1
		.amdhsa_system_sgpr_workgroup_id_y 0
		.amdhsa_system_sgpr_workgroup_id_z 0
		.amdhsa_system_sgpr_workgroup_info 0
		.amdhsa_system_vgpr_workitem_id 0
		.amdhsa_next_free_vgpr 1
		.amdhsa_next_free_sgpr 1
		.amdhsa_reserve_vcc 0
		.amdhsa_float_round_mode_32 0
		.amdhsa_float_round_mode_16_64 0
		.amdhsa_float_denorm_mode_32 3
		.amdhsa_float_denorm_mode_16_64 3
		.amdhsa_fp16_overflow 0
		.amdhsa_workgroup_processor_mode 1
		.amdhsa_memory_ordered 1
		.amdhsa_forward_progress 1
		.amdhsa_inst_pref_size 1
		.amdhsa_round_robin_scheduling 0
		.amdhsa_exception_fp_ieee_invalid_op 0
		.amdhsa_exception_fp_denorm_src 0
		.amdhsa_exception_fp_ieee_div_zero 0
		.amdhsa_exception_fp_ieee_overflow 0
		.amdhsa_exception_fp_ieee_underflow 0
		.amdhsa_exception_fp_ieee_inexact 0
		.amdhsa_exception_int_div_zero 0
	.end_amdhsa_kernel
	.section	.text._ZN7rocprim17ROCPRIM_400000_NS6detail17trampoline_kernelINS0_14default_configENS1_25partition_config_selectorILNS1_17partition_subalgoE5EsNS0_10empty_typeEbEEZZNS1_14partition_implILS5_5ELb0ES3_mN6thrust23THRUST_200600_302600_NS6detail15normal_iteratorINSA_10device_ptrIsEEEEPS6_NSA_18transform_iteratorINSB_9not_fun_tI7is_trueIsEEESF_NSA_11use_defaultESM_EENS0_5tupleIJSF_S6_EEENSO_IJSG_SG_EEES6_PlJS6_EEE10hipError_tPvRmT3_T4_T5_T6_T7_T9_mT8_P12ihipStream_tbDpT10_ENKUlT_T0_E_clISt17integral_constantIbLb1EES1B_EEDaS16_S17_EUlS16_E_NS1_11comp_targetILNS1_3genE10ELNS1_11target_archE1200ELNS1_3gpuE4ELNS1_3repE0EEENS1_30default_config_static_selectorELNS0_4arch9wavefront6targetE0EEEvT1_,"axG",@progbits,_ZN7rocprim17ROCPRIM_400000_NS6detail17trampoline_kernelINS0_14default_configENS1_25partition_config_selectorILNS1_17partition_subalgoE5EsNS0_10empty_typeEbEEZZNS1_14partition_implILS5_5ELb0ES3_mN6thrust23THRUST_200600_302600_NS6detail15normal_iteratorINSA_10device_ptrIsEEEEPS6_NSA_18transform_iteratorINSB_9not_fun_tI7is_trueIsEEESF_NSA_11use_defaultESM_EENS0_5tupleIJSF_S6_EEENSO_IJSG_SG_EEES6_PlJS6_EEE10hipError_tPvRmT3_T4_T5_T6_T7_T9_mT8_P12ihipStream_tbDpT10_ENKUlT_T0_E_clISt17integral_constantIbLb1EES1B_EEDaS16_S17_EUlS16_E_NS1_11comp_targetILNS1_3genE10ELNS1_11target_archE1200ELNS1_3gpuE4ELNS1_3repE0EEENS1_30default_config_static_selectorELNS0_4arch9wavefront6targetE0EEEvT1_,comdat
.Lfunc_end1546:
	.size	_ZN7rocprim17ROCPRIM_400000_NS6detail17trampoline_kernelINS0_14default_configENS1_25partition_config_selectorILNS1_17partition_subalgoE5EsNS0_10empty_typeEbEEZZNS1_14partition_implILS5_5ELb0ES3_mN6thrust23THRUST_200600_302600_NS6detail15normal_iteratorINSA_10device_ptrIsEEEEPS6_NSA_18transform_iteratorINSB_9not_fun_tI7is_trueIsEEESF_NSA_11use_defaultESM_EENS0_5tupleIJSF_S6_EEENSO_IJSG_SG_EEES6_PlJS6_EEE10hipError_tPvRmT3_T4_T5_T6_T7_T9_mT8_P12ihipStream_tbDpT10_ENKUlT_T0_E_clISt17integral_constantIbLb1EES1B_EEDaS16_S17_EUlS16_E_NS1_11comp_targetILNS1_3genE10ELNS1_11target_archE1200ELNS1_3gpuE4ELNS1_3repE0EEENS1_30default_config_static_selectorELNS0_4arch9wavefront6targetE0EEEvT1_, .Lfunc_end1546-_ZN7rocprim17ROCPRIM_400000_NS6detail17trampoline_kernelINS0_14default_configENS1_25partition_config_selectorILNS1_17partition_subalgoE5EsNS0_10empty_typeEbEEZZNS1_14partition_implILS5_5ELb0ES3_mN6thrust23THRUST_200600_302600_NS6detail15normal_iteratorINSA_10device_ptrIsEEEEPS6_NSA_18transform_iteratorINSB_9not_fun_tI7is_trueIsEEESF_NSA_11use_defaultESM_EENS0_5tupleIJSF_S6_EEENSO_IJSG_SG_EEES6_PlJS6_EEE10hipError_tPvRmT3_T4_T5_T6_T7_T9_mT8_P12ihipStream_tbDpT10_ENKUlT_T0_E_clISt17integral_constantIbLb1EES1B_EEDaS16_S17_EUlS16_E_NS1_11comp_targetILNS1_3genE10ELNS1_11target_archE1200ELNS1_3gpuE4ELNS1_3repE0EEENS1_30default_config_static_selectorELNS0_4arch9wavefront6targetE0EEEvT1_
                                        ; -- End function
	.set _ZN7rocprim17ROCPRIM_400000_NS6detail17trampoline_kernelINS0_14default_configENS1_25partition_config_selectorILNS1_17partition_subalgoE5EsNS0_10empty_typeEbEEZZNS1_14partition_implILS5_5ELb0ES3_mN6thrust23THRUST_200600_302600_NS6detail15normal_iteratorINSA_10device_ptrIsEEEEPS6_NSA_18transform_iteratorINSB_9not_fun_tI7is_trueIsEEESF_NSA_11use_defaultESM_EENS0_5tupleIJSF_S6_EEENSO_IJSG_SG_EEES6_PlJS6_EEE10hipError_tPvRmT3_T4_T5_T6_T7_T9_mT8_P12ihipStream_tbDpT10_ENKUlT_T0_E_clISt17integral_constantIbLb1EES1B_EEDaS16_S17_EUlS16_E_NS1_11comp_targetILNS1_3genE10ELNS1_11target_archE1200ELNS1_3gpuE4ELNS1_3repE0EEENS1_30default_config_static_selectorELNS0_4arch9wavefront6targetE0EEEvT1_.num_vgpr, 0
	.set _ZN7rocprim17ROCPRIM_400000_NS6detail17trampoline_kernelINS0_14default_configENS1_25partition_config_selectorILNS1_17partition_subalgoE5EsNS0_10empty_typeEbEEZZNS1_14partition_implILS5_5ELb0ES3_mN6thrust23THRUST_200600_302600_NS6detail15normal_iteratorINSA_10device_ptrIsEEEEPS6_NSA_18transform_iteratorINSB_9not_fun_tI7is_trueIsEEESF_NSA_11use_defaultESM_EENS0_5tupleIJSF_S6_EEENSO_IJSG_SG_EEES6_PlJS6_EEE10hipError_tPvRmT3_T4_T5_T6_T7_T9_mT8_P12ihipStream_tbDpT10_ENKUlT_T0_E_clISt17integral_constantIbLb1EES1B_EEDaS16_S17_EUlS16_E_NS1_11comp_targetILNS1_3genE10ELNS1_11target_archE1200ELNS1_3gpuE4ELNS1_3repE0EEENS1_30default_config_static_selectorELNS0_4arch9wavefront6targetE0EEEvT1_.num_agpr, 0
	.set _ZN7rocprim17ROCPRIM_400000_NS6detail17trampoline_kernelINS0_14default_configENS1_25partition_config_selectorILNS1_17partition_subalgoE5EsNS0_10empty_typeEbEEZZNS1_14partition_implILS5_5ELb0ES3_mN6thrust23THRUST_200600_302600_NS6detail15normal_iteratorINSA_10device_ptrIsEEEEPS6_NSA_18transform_iteratorINSB_9not_fun_tI7is_trueIsEEESF_NSA_11use_defaultESM_EENS0_5tupleIJSF_S6_EEENSO_IJSG_SG_EEES6_PlJS6_EEE10hipError_tPvRmT3_T4_T5_T6_T7_T9_mT8_P12ihipStream_tbDpT10_ENKUlT_T0_E_clISt17integral_constantIbLb1EES1B_EEDaS16_S17_EUlS16_E_NS1_11comp_targetILNS1_3genE10ELNS1_11target_archE1200ELNS1_3gpuE4ELNS1_3repE0EEENS1_30default_config_static_selectorELNS0_4arch9wavefront6targetE0EEEvT1_.numbered_sgpr, 0
	.set _ZN7rocprim17ROCPRIM_400000_NS6detail17trampoline_kernelINS0_14default_configENS1_25partition_config_selectorILNS1_17partition_subalgoE5EsNS0_10empty_typeEbEEZZNS1_14partition_implILS5_5ELb0ES3_mN6thrust23THRUST_200600_302600_NS6detail15normal_iteratorINSA_10device_ptrIsEEEEPS6_NSA_18transform_iteratorINSB_9not_fun_tI7is_trueIsEEESF_NSA_11use_defaultESM_EENS0_5tupleIJSF_S6_EEENSO_IJSG_SG_EEES6_PlJS6_EEE10hipError_tPvRmT3_T4_T5_T6_T7_T9_mT8_P12ihipStream_tbDpT10_ENKUlT_T0_E_clISt17integral_constantIbLb1EES1B_EEDaS16_S17_EUlS16_E_NS1_11comp_targetILNS1_3genE10ELNS1_11target_archE1200ELNS1_3gpuE4ELNS1_3repE0EEENS1_30default_config_static_selectorELNS0_4arch9wavefront6targetE0EEEvT1_.num_named_barrier, 0
	.set _ZN7rocprim17ROCPRIM_400000_NS6detail17trampoline_kernelINS0_14default_configENS1_25partition_config_selectorILNS1_17partition_subalgoE5EsNS0_10empty_typeEbEEZZNS1_14partition_implILS5_5ELb0ES3_mN6thrust23THRUST_200600_302600_NS6detail15normal_iteratorINSA_10device_ptrIsEEEEPS6_NSA_18transform_iteratorINSB_9not_fun_tI7is_trueIsEEESF_NSA_11use_defaultESM_EENS0_5tupleIJSF_S6_EEENSO_IJSG_SG_EEES6_PlJS6_EEE10hipError_tPvRmT3_T4_T5_T6_T7_T9_mT8_P12ihipStream_tbDpT10_ENKUlT_T0_E_clISt17integral_constantIbLb1EES1B_EEDaS16_S17_EUlS16_E_NS1_11comp_targetILNS1_3genE10ELNS1_11target_archE1200ELNS1_3gpuE4ELNS1_3repE0EEENS1_30default_config_static_selectorELNS0_4arch9wavefront6targetE0EEEvT1_.private_seg_size, 0
	.set _ZN7rocprim17ROCPRIM_400000_NS6detail17trampoline_kernelINS0_14default_configENS1_25partition_config_selectorILNS1_17partition_subalgoE5EsNS0_10empty_typeEbEEZZNS1_14partition_implILS5_5ELb0ES3_mN6thrust23THRUST_200600_302600_NS6detail15normal_iteratorINSA_10device_ptrIsEEEEPS6_NSA_18transform_iteratorINSB_9not_fun_tI7is_trueIsEEESF_NSA_11use_defaultESM_EENS0_5tupleIJSF_S6_EEENSO_IJSG_SG_EEES6_PlJS6_EEE10hipError_tPvRmT3_T4_T5_T6_T7_T9_mT8_P12ihipStream_tbDpT10_ENKUlT_T0_E_clISt17integral_constantIbLb1EES1B_EEDaS16_S17_EUlS16_E_NS1_11comp_targetILNS1_3genE10ELNS1_11target_archE1200ELNS1_3gpuE4ELNS1_3repE0EEENS1_30default_config_static_selectorELNS0_4arch9wavefront6targetE0EEEvT1_.uses_vcc, 0
	.set _ZN7rocprim17ROCPRIM_400000_NS6detail17trampoline_kernelINS0_14default_configENS1_25partition_config_selectorILNS1_17partition_subalgoE5EsNS0_10empty_typeEbEEZZNS1_14partition_implILS5_5ELb0ES3_mN6thrust23THRUST_200600_302600_NS6detail15normal_iteratorINSA_10device_ptrIsEEEEPS6_NSA_18transform_iteratorINSB_9not_fun_tI7is_trueIsEEESF_NSA_11use_defaultESM_EENS0_5tupleIJSF_S6_EEENSO_IJSG_SG_EEES6_PlJS6_EEE10hipError_tPvRmT3_T4_T5_T6_T7_T9_mT8_P12ihipStream_tbDpT10_ENKUlT_T0_E_clISt17integral_constantIbLb1EES1B_EEDaS16_S17_EUlS16_E_NS1_11comp_targetILNS1_3genE10ELNS1_11target_archE1200ELNS1_3gpuE4ELNS1_3repE0EEENS1_30default_config_static_selectorELNS0_4arch9wavefront6targetE0EEEvT1_.uses_flat_scratch, 0
	.set _ZN7rocprim17ROCPRIM_400000_NS6detail17trampoline_kernelINS0_14default_configENS1_25partition_config_selectorILNS1_17partition_subalgoE5EsNS0_10empty_typeEbEEZZNS1_14partition_implILS5_5ELb0ES3_mN6thrust23THRUST_200600_302600_NS6detail15normal_iteratorINSA_10device_ptrIsEEEEPS6_NSA_18transform_iteratorINSB_9not_fun_tI7is_trueIsEEESF_NSA_11use_defaultESM_EENS0_5tupleIJSF_S6_EEENSO_IJSG_SG_EEES6_PlJS6_EEE10hipError_tPvRmT3_T4_T5_T6_T7_T9_mT8_P12ihipStream_tbDpT10_ENKUlT_T0_E_clISt17integral_constantIbLb1EES1B_EEDaS16_S17_EUlS16_E_NS1_11comp_targetILNS1_3genE10ELNS1_11target_archE1200ELNS1_3gpuE4ELNS1_3repE0EEENS1_30default_config_static_selectorELNS0_4arch9wavefront6targetE0EEEvT1_.has_dyn_sized_stack, 0
	.set _ZN7rocprim17ROCPRIM_400000_NS6detail17trampoline_kernelINS0_14default_configENS1_25partition_config_selectorILNS1_17partition_subalgoE5EsNS0_10empty_typeEbEEZZNS1_14partition_implILS5_5ELb0ES3_mN6thrust23THRUST_200600_302600_NS6detail15normal_iteratorINSA_10device_ptrIsEEEEPS6_NSA_18transform_iteratorINSB_9not_fun_tI7is_trueIsEEESF_NSA_11use_defaultESM_EENS0_5tupleIJSF_S6_EEENSO_IJSG_SG_EEES6_PlJS6_EEE10hipError_tPvRmT3_T4_T5_T6_T7_T9_mT8_P12ihipStream_tbDpT10_ENKUlT_T0_E_clISt17integral_constantIbLb1EES1B_EEDaS16_S17_EUlS16_E_NS1_11comp_targetILNS1_3genE10ELNS1_11target_archE1200ELNS1_3gpuE4ELNS1_3repE0EEENS1_30default_config_static_selectorELNS0_4arch9wavefront6targetE0EEEvT1_.has_recursion, 0
	.set _ZN7rocprim17ROCPRIM_400000_NS6detail17trampoline_kernelINS0_14default_configENS1_25partition_config_selectorILNS1_17partition_subalgoE5EsNS0_10empty_typeEbEEZZNS1_14partition_implILS5_5ELb0ES3_mN6thrust23THRUST_200600_302600_NS6detail15normal_iteratorINSA_10device_ptrIsEEEEPS6_NSA_18transform_iteratorINSB_9not_fun_tI7is_trueIsEEESF_NSA_11use_defaultESM_EENS0_5tupleIJSF_S6_EEENSO_IJSG_SG_EEES6_PlJS6_EEE10hipError_tPvRmT3_T4_T5_T6_T7_T9_mT8_P12ihipStream_tbDpT10_ENKUlT_T0_E_clISt17integral_constantIbLb1EES1B_EEDaS16_S17_EUlS16_E_NS1_11comp_targetILNS1_3genE10ELNS1_11target_archE1200ELNS1_3gpuE4ELNS1_3repE0EEENS1_30default_config_static_selectorELNS0_4arch9wavefront6targetE0EEEvT1_.has_indirect_call, 0
	.section	.AMDGPU.csdata,"",@progbits
; Kernel info:
; codeLenInByte = 4
; TotalNumSgprs: 0
; NumVgprs: 0
; ScratchSize: 0
; MemoryBound: 0
; FloatMode: 240
; IeeeMode: 1
; LDSByteSize: 0 bytes/workgroup (compile time only)
; SGPRBlocks: 0
; VGPRBlocks: 0
; NumSGPRsForWavesPerEU: 1
; NumVGPRsForWavesPerEU: 1
; Occupancy: 16
; WaveLimiterHint : 0
; COMPUTE_PGM_RSRC2:SCRATCH_EN: 0
; COMPUTE_PGM_RSRC2:USER_SGPR: 2
; COMPUTE_PGM_RSRC2:TRAP_HANDLER: 0
; COMPUTE_PGM_RSRC2:TGID_X_EN: 1
; COMPUTE_PGM_RSRC2:TGID_Y_EN: 0
; COMPUTE_PGM_RSRC2:TGID_Z_EN: 0
; COMPUTE_PGM_RSRC2:TIDIG_COMP_CNT: 0
	.section	.text._ZN7rocprim17ROCPRIM_400000_NS6detail17trampoline_kernelINS0_14default_configENS1_25partition_config_selectorILNS1_17partition_subalgoE5EsNS0_10empty_typeEbEEZZNS1_14partition_implILS5_5ELb0ES3_mN6thrust23THRUST_200600_302600_NS6detail15normal_iteratorINSA_10device_ptrIsEEEEPS6_NSA_18transform_iteratorINSB_9not_fun_tI7is_trueIsEEESF_NSA_11use_defaultESM_EENS0_5tupleIJSF_S6_EEENSO_IJSG_SG_EEES6_PlJS6_EEE10hipError_tPvRmT3_T4_T5_T6_T7_T9_mT8_P12ihipStream_tbDpT10_ENKUlT_T0_E_clISt17integral_constantIbLb1EES1B_EEDaS16_S17_EUlS16_E_NS1_11comp_targetILNS1_3genE9ELNS1_11target_archE1100ELNS1_3gpuE3ELNS1_3repE0EEENS1_30default_config_static_selectorELNS0_4arch9wavefront6targetE0EEEvT1_,"axG",@progbits,_ZN7rocprim17ROCPRIM_400000_NS6detail17trampoline_kernelINS0_14default_configENS1_25partition_config_selectorILNS1_17partition_subalgoE5EsNS0_10empty_typeEbEEZZNS1_14partition_implILS5_5ELb0ES3_mN6thrust23THRUST_200600_302600_NS6detail15normal_iteratorINSA_10device_ptrIsEEEEPS6_NSA_18transform_iteratorINSB_9not_fun_tI7is_trueIsEEESF_NSA_11use_defaultESM_EENS0_5tupleIJSF_S6_EEENSO_IJSG_SG_EEES6_PlJS6_EEE10hipError_tPvRmT3_T4_T5_T6_T7_T9_mT8_P12ihipStream_tbDpT10_ENKUlT_T0_E_clISt17integral_constantIbLb1EES1B_EEDaS16_S17_EUlS16_E_NS1_11comp_targetILNS1_3genE9ELNS1_11target_archE1100ELNS1_3gpuE3ELNS1_3repE0EEENS1_30default_config_static_selectorELNS0_4arch9wavefront6targetE0EEEvT1_,comdat
	.protected	_ZN7rocprim17ROCPRIM_400000_NS6detail17trampoline_kernelINS0_14default_configENS1_25partition_config_selectorILNS1_17partition_subalgoE5EsNS0_10empty_typeEbEEZZNS1_14partition_implILS5_5ELb0ES3_mN6thrust23THRUST_200600_302600_NS6detail15normal_iteratorINSA_10device_ptrIsEEEEPS6_NSA_18transform_iteratorINSB_9not_fun_tI7is_trueIsEEESF_NSA_11use_defaultESM_EENS0_5tupleIJSF_S6_EEENSO_IJSG_SG_EEES6_PlJS6_EEE10hipError_tPvRmT3_T4_T5_T6_T7_T9_mT8_P12ihipStream_tbDpT10_ENKUlT_T0_E_clISt17integral_constantIbLb1EES1B_EEDaS16_S17_EUlS16_E_NS1_11comp_targetILNS1_3genE9ELNS1_11target_archE1100ELNS1_3gpuE3ELNS1_3repE0EEENS1_30default_config_static_selectorELNS0_4arch9wavefront6targetE0EEEvT1_ ; -- Begin function _ZN7rocprim17ROCPRIM_400000_NS6detail17trampoline_kernelINS0_14default_configENS1_25partition_config_selectorILNS1_17partition_subalgoE5EsNS0_10empty_typeEbEEZZNS1_14partition_implILS5_5ELb0ES3_mN6thrust23THRUST_200600_302600_NS6detail15normal_iteratorINSA_10device_ptrIsEEEEPS6_NSA_18transform_iteratorINSB_9not_fun_tI7is_trueIsEEESF_NSA_11use_defaultESM_EENS0_5tupleIJSF_S6_EEENSO_IJSG_SG_EEES6_PlJS6_EEE10hipError_tPvRmT3_T4_T5_T6_T7_T9_mT8_P12ihipStream_tbDpT10_ENKUlT_T0_E_clISt17integral_constantIbLb1EES1B_EEDaS16_S17_EUlS16_E_NS1_11comp_targetILNS1_3genE9ELNS1_11target_archE1100ELNS1_3gpuE3ELNS1_3repE0EEENS1_30default_config_static_selectorELNS0_4arch9wavefront6targetE0EEEvT1_
	.globl	_ZN7rocprim17ROCPRIM_400000_NS6detail17trampoline_kernelINS0_14default_configENS1_25partition_config_selectorILNS1_17partition_subalgoE5EsNS0_10empty_typeEbEEZZNS1_14partition_implILS5_5ELb0ES3_mN6thrust23THRUST_200600_302600_NS6detail15normal_iteratorINSA_10device_ptrIsEEEEPS6_NSA_18transform_iteratorINSB_9not_fun_tI7is_trueIsEEESF_NSA_11use_defaultESM_EENS0_5tupleIJSF_S6_EEENSO_IJSG_SG_EEES6_PlJS6_EEE10hipError_tPvRmT3_T4_T5_T6_T7_T9_mT8_P12ihipStream_tbDpT10_ENKUlT_T0_E_clISt17integral_constantIbLb1EES1B_EEDaS16_S17_EUlS16_E_NS1_11comp_targetILNS1_3genE9ELNS1_11target_archE1100ELNS1_3gpuE3ELNS1_3repE0EEENS1_30default_config_static_selectorELNS0_4arch9wavefront6targetE0EEEvT1_
	.p2align	8
	.type	_ZN7rocprim17ROCPRIM_400000_NS6detail17trampoline_kernelINS0_14default_configENS1_25partition_config_selectorILNS1_17partition_subalgoE5EsNS0_10empty_typeEbEEZZNS1_14partition_implILS5_5ELb0ES3_mN6thrust23THRUST_200600_302600_NS6detail15normal_iteratorINSA_10device_ptrIsEEEEPS6_NSA_18transform_iteratorINSB_9not_fun_tI7is_trueIsEEESF_NSA_11use_defaultESM_EENS0_5tupleIJSF_S6_EEENSO_IJSG_SG_EEES6_PlJS6_EEE10hipError_tPvRmT3_T4_T5_T6_T7_T9_mT8_P12ihipStream_tbDpT10_ENKUlT_T0_E_clISt17integral_constantIbLb1EES1B_EEDaS16_S17_EUlS16_E_NS1_11comp_targetILNS1_3genE9ELNS1_11target_archE1100ELNS1_3gpuE3ELNS1_3repE0EEENS1_30default_config_static_selectorELNS0_4arch9wavefront6targetE0EEEvT1_,@function
_ZN7rocprim17ROCPRIM_400000_NS6detail17trampoline_kernelINS0_14default_configENS1_25partition_config_selectorILNS1_17partition_subalgoE5EsNS0_10empty_typeEbEEZZNS1_14partition_implILS5_5ELb0ES3_mN6thrust23THRUST_200600_302600_NS6detail15normal_iteratorINSA_10device_ptrIsEEEEPS6_NSA_18transform_iteratorINSB_9not_fun_tI7is_trueIsEEESF_NSA_11use_defaultESM_EENS0_5tupleIJSF_S6_EEENSO_IJSG_SG_EEES6_PlJS6_EEE10hipError_tPvRmT3_T4_T5_T6_T7_T9_mT8_P12ihipStream_tbDpT10_ENKUlT_T0_E_clISt17integral_constantIbLb1EES1B_EEDaS16_S17_EUlS16_E_NS1_11comp_targetILNS1_3genE9ELNS1_11target_archE1100ELNS1_3gpuE3ELNS1_3repE0EEENS1_30default_config_static_selectorELNS0_4arch9wavefront6targetE0EEEvT1_: ; @_ZN7rocprim17ROCPRIM_400000_NS6detail17trampoline_kernelINS0_14default_configENS1_25partition_config_selectorILNS1_17partition_subalgoE5EsNS0_10empty_typeEbEEZZNS1_14partition_implILS5_5ELb0ES3_mN6thrust23THRUST_200600_302600_NS6detail15normal_iteratorINSA_10device_ptrIsEEEEPS6_NSA_18transform_iteratorINSB_9not_fun_tI7is_trueIsEEESF_NSA_11use_defaultESM_EENS0_5tupleIJSF_S6_EEENSO_IJSG_SG_EEES6_PlJS6_EEE10hipError_tPvRmT3_T4_T5_T6_T7_T9_mT8_P12ihipStream_tbDpT10_ENKUlT_T0_E_clISt17integral_constantIbLb1EES1B_EEDaS16_S17_EUlS16_E_NS1_11comp_targetILNS1_3genE9ELNS1_11target_archE1100ELNS1_3gpuE3ELNS1_3repE0EEENS1_30default_config_static_selectorELNS0_4arch9wavefront6targetE0EEEvT1_
; %bb.0:
	.section	.rodata,"a",@progbits
	.p2align	6, 0x0
	.amdhsa_kernel _ZN7rocprim17ROCPRIM_400000_NS6detail17trampoline_kernelINS0_14default_configENS1_25partition_config_selectorILNS1_17partition_subalgoE5EsNS0_10empty_typeEbEEZZNS1_14partition_implILS5_5ELb0ES3_mN6thrust23THRUST_200600_302600_NS6detail15normal_iteratorINSA_10device_ptrIsEEEEPS6_NSA_18transform_iteratorINSB_9not_fun_tI7is_trueIsEEESF_NSA_11use_defaultESM_EENS0_5tupleIJSF_S6_EEENSO_IJSG_SG_EEES6_PlJS6_EEE10hipError_tPvRmT3_T4_T5_T6_T7_T9_mT8_P12ihipStream_tbDpT10_ENKUlT_T0_E_clISt17integral_constantIbLb1EES1B_EEDaS16_S17_EUlS16_E_NS1_11comp_targetILNS1_3genE9ELNS1_11target_archE1100ELNS1_3gpuE3ELNS1_3repE0EEENS1_30default_config_static_selectorELNS0_4arch9wavefront6targetE0EEEvT1_
		.amdhsa_group_segment_fixed_size 0
		.amdhsa_private_segment_fixed_size 0
		.amdhsa_kernarg_size 136
		.amdhsa_user_sgpr_count 2
		.amdhsa_user_sgpr_dispatch_ptr 0
		.amdhsa_user_sgpr_queue_ptr 0
		.amdhsa_user_sgpr_kernarg_segment_ptr 1
		.amdhsa_user_sgpr_dispatch_id 0
		.amdhsa_user_sgpr_private_segment_size 0
		.amdhsa_wavefront_size32 1
		.amdhsa_uses_dynamic_stack 0
		.amdhsa_enable_private_segment 0
		.amdhsa_system_sgpr_workgroup_id_x 1
		.amdhsa_system_sgpr_workgroup_id_y 0
		.amdhsa_system_sgpr_workgroup_id_z 0
		.amdhsa_system_sgpr_workgroup_info 0
		.amdhsa_system_vgpr_workitem_id 0
		.amdhsa_next_free_vgpr 1
		.amdhsa_next_free_sgpr 1
		.amdhsa_reserve_vcc 0
		.amdhsa_float_round_mode_32 0
		.amdhsa_float_round_mode_16_64 0
		.amdhsa_float_denorm_mode_32 3
		.amdhsa_float_denorm_mode_16_64 3
		.amdhsa_fp16_overflow 0
		.amdhsa_workgroup_processor_mode 1
		.amdhsa_memory_ordered 1
		.amdhsa_forward_progress 1
		.amdhsa_inst_pref_size 0
		.amdhsa_round_robin_scheduling 0
		.amdhsa_exception_fp_ieee_invalid_op 0
		.amdhsa_exception_fp_denorm_src 0
		.amdhsa_exception_fp_ieee_div_zero 0
		.amdhsa_exception_fp_ieee_overflow 0
		.amdhsa_exception_fp_ieee_underflow 0
		.amdhsa_exception_fp_ieee_inexact 0
		.amdhsa_exception_int_div_zero 0
	.end_amdhsa_kernel
	.section	.text._ZN7rocprim17ROCPRIM_400000_NS6detail17trampoline_kernelINS0_14default_configENS1_25partition_config_selectorILNS1_17partition_subalgoE5EsNS0_10empty_typeEbEEZZNS1_14partition_implILS5_5ELb0ES3_mN6thrust23THRUST_200600_302600_NS6detail15normal_iteratorINSA_10device_ptrIsEEEEPS6_NSA_18transform_iteratorINSB_9not_fun_tI7is_trueIsEEESF_NSA_11use_defaultESM_EENS0_5tupleIJSF_S6_EEENSO_IJSG_SG_EEES6_PlJS6_EEE10hipError_tPvRmT3_T4_T5_T6_T7_T9_mT8_P12ihipStream_tbDpT10_ENKUlT_T0_E_clISt17integral_constantIbLb1EES1B_EEDaS16_S17_EUlS16_E_NS1_11comp_targetILNS1_3genE9ELNS1_11target_archE1100ELNS1_3gpuE3ELNS1_3repE0EEENS1_30default_config_static_selectorELNS0_4arch9wavefront6targetE0EEEvT1_,"axG",@progbits,_ZN7rocprim17ROCPRIM_400000_NS6detail17trampoline_kernelINS0_14default_configENS1_25partition_config_selectorILNS1_17partition_subalgoE5EsNS0_10empty_typeEbEEZZNS1_14partition_implILS5_5ELb0ES3_mN6thrust23THRUST_200600_302600_NS6detail15normal_iteratorINSA_10device_ptrIsEEEEPS6_NSA_18transform_iteratorINSB_9not_fun_tI7is_trueIsEEESF_NSA_11use_defaultESM_EENS0_5tupleIJSF_S6_EEENSO_IJSG_SG_EEES6_PlJS6_EEE10hipError_tPvRmT3_T4_T5_T6_T7_T9_mT8_P12ihipStream_tbDpT10_ENKUlT_T0_E_clISt17integral_constantIbLb1EES1B_EEDaS16_S17_EUlS16_E_NS1_11comp_targetILNS1_3genE9ELNS1_11target_archE1100ELNS1_3gpuE3ELNS1_3repE0EEENS1_30default_config_static_selectorELNS0_4arch9wavefront6targetE0EEEvT1_,comdat
.Lfunc_end1547:
	.size	_ZN7rocprim17ROCPRIM_400000_NS6detail17trampoline_kernelINS0_14default_configENS1_25partition_config_selectorILNS1_17partition_subalgoE5EsNS0_10empty_typeEbEEZZNS1_14partition_implILS5_5ELb0ES3_mN6thrust23THRUST_200600_302600_NS6detail15normal_iteratorINSA_10device_ptrIsEEEEPS6_NSA_18transform_iteratorINSB_9not_fun_tI7is_trueIsEEESF_NSA_11use_defaultESM_EENS0_5tupleIJSF_S6_EEENSO_IJSG_SG_EEES6_PlJS6_EEE10hipError_tPvRmT3_T4_T5_T6_T7_T9_mT8_P12ihipStream_tbDpT10_ENKUlT_T0_E_clISt17integral_constantIbLb1EES1B_EEDaS16_S17_EUlS16_E_NS1_11comp_targetILNS1_3genE9ELNS1_11target_archE1100ELNS1_3gpuE3ELNS1_3repE0EEENS1_30default_config_static_selectorELNS0_4arch9wavefront6targetE0EEEvT1_, .Lfunc_end1547-_ZN7rocprim17ROCPRIM_400000_NS6detail17trampoline_kernelINS0_14default_configENS1_25partition_config_selectorILNS1_17partition_subalgoE5EsNS0_10empty_typeEbEEZZNS1_14partition_implILS5_5ELb0ES3_mN6thrust23THRUST_200600_302600_NS6detail15normal_iteratorINSA_10device_ptrIsEEEEPS6_NSA_18transform_iteratorINSB_9not_fun_tI7is_trueIsEEESF_NSA_11use_defaultESM_EENS0_5tupleIJSF_S6_EEENSO_IJSG_SG_EEES6_PlJS6_EEE10hipError_tPvRmT3_T4_T5_T6_T7_T9_mT8_P12ihipStream_tbDpT10_ENKUlT_T0_E_clISt17integral_constantIbLb1EES1B_EEDaS16_S17_EUlS16_E_NS1_11comp_targetILNS1_3genE9ELNS1_11target_archE1100ELNS1_3gpuE3ELNS1_3repE0EEENS1_30default_config_static_selectorELNS0_4arch9wavefront6targetE0EEEvT1_
                                        ; -- End function
	.set _ZN7rocprim17ROCPRIM_400000_NS6detail17trampoline_kernelINS0_14default_configENS1_25partition_config_selectorILNS1_17partition_subalgoE5EsNS0_10empty_typeEbEEZZNS1_14partition_implILS5_5ELb0ES3_mN6thrust23THRUST_200600_302600_NS6detail15normal_iteratorINSA_10device_ptrIsEEEEPS6_NSA_18transform_iteratorINSB_9not_fun_tI7is_trueIsEEESF_NSA_11use_defaultESM_EENS0_5tupleIJSF_S6_EEENSO_IJSG_SG_EEES6_PlJS6_EEE10hipError_tPvRmT3_T4_T5_T6_T7_T9_mT8_P12ihipStream_tbDpT10_ENKUlT_T0_E_clISt17integral_constantIbLb1EES1B_EEDaS16_S17_EUlS16_E_NS1_11comp_targetILNS1_3genE9ELNS1_11target_archE1100ELNS1_3gpuE3ELNS1_3repE0EEENS1_30default_config_static_selectorELNS0_4arch9wavefront6targetE0EEEvT1_.num_vgpr, 0
	.set _ZN7rocprim17ROCPRIM_400000_NS6detail17trampoline_kernelINS0_14default_configENS1_25partition_config_selectorILNS1_17partition_subalgoE5EsNS0_10empty_typeEbEEZZNS1_14partition_implILS5_5ELb0ES3_mN6thrust23THRUST_200600_302600_NS6detail15normal_iteratorINSA_10device_ptrIsEEEEPS6_NSA_18transform_iteratorINSB_9not_fun_tI7is_trueIsEEESF_NSA_11use_defaultESM_EENS0_5tupleIJSF_S6_EEENSO_IJSG_SG_EEES6_PlJS6_EEE10hipError_tPvRmT3_T4_T5_T6_T7_T9_mT8_P12ihipStream_tbDpT10_ENKUlT_T0_E_clISt17integral_constantIbLb1EES1B_EEDaS16_S17_EUlS16_E_NS1_11comp_targetILNS1_3genE9ELNS1_11target_archE1100ELNS1_3gpuE3ELNS1_3repE0EEENS1_30default_config_static_selectorELNS0_4arch9wavefront6targetE0EEEvT1_.num_agpr, 0
	.set _ZN7rocprim17ROCPRIM_400000_NS6detail17trampoline_kernelINS0_14default_configENS1_25partition_config_selectorILNS1_17partition_subalgoE5EsNS0_10empty_typeEbEEZZNS1_14partition_implILS5_5ELb0ES3_mN6thrust23THRUST_200600_302600_NS6detail15normal_iteratorINSA_10device_ptrIsEEEEPS6_NSA_18transform_iteratorINSB_9not_fun_tI7is_trueIsEEESF_NSA_11use_defaultESM_EENS0_5tupleIJSF_S6_EEENSO_IJSG_SG_EEES6_PlJS6_EEE10hipError_tPvRmT3_T4_T5_T6_T7_T9_mT8_P12ihipStream_tbDpT10_ENKUlT_T0_E_clISt17integral_constantIbLb1EES1B_EEDaS16_S17_EUlS16_E_NS1_11comp_targetILNS1_3genE9ELNS1_11target_archE1100ELNS1_3gpuE3ELNS1_3repE0EEENS1_30default_config_static_selectorELNS0_4arch9wavefront6targetE0EEEvT1_.numbered_sgpr, 0
	.set _ZN7rocprim17ROCPRIM_400000_NS6detail17trampoline_kernelINS0_14default_configENS1_25partition_config_selectorILNS1_17partition_subalgoE5EsNS0_10empty_typeEbEEZZNS1_14partition_implILS5_5ELb0ES3_mN6thrust23THRUST_200600_302600_NS6detail15normal_iteratorINSA_10device_ptrIsEEEEPS6_NSA_18transform_iteratorINSB_9not_fun_tI7is_trueIsEEESF_NSA_11use_defaultESM_EENS0_5tupleIJSF_S6_EEENSO_IJSG_SG_EEES6_PlJS6_EEE10hipError_tPvRmT3_T4_T5_T6_T7_T9_mT8_P12ihipStream_tbDpT10_ENKUlT_T0_E_clISt17integral_constantIbLb1EES1B_EEDaS16_S17_EUlS16_E_NS1_11comp_targetILNS1_3genE9ELNS1_11target_archE1100ELNS1_3gpuE3ELNS1_3repE0EEENS1_30default_config_static_selectorELNS0_4arch9wavefront6targetE0EEEvT1_.num_named_barrier, 0
	.set _ZN7rocprim17ROCPRIM_400000_NS6detail17trampoline_kernelINS0_14default_configENS1_25partition_config_selectorILNS1_17partition_subalgoE5EsNS0_10empty_typeEbEEZZNS1_14partition_implILS5_5ELb0ES3_mN6thrust23THRUST_200600_302600_NS6detail15normal_iteratorINSA_10device_ptrIsEEEEPS6_NSA_18transform_iteratorINSB_9not_fun_tI7is_trueIsEEESF_NSA_11use_defaultESM_EENS0_5tupleIJSF_S6_EEENSO_IJSG_SG_EEES6_PlJS6_EEE10hipError_tPvRmT3_T4_T5_T6_T7_T9_mT8_P12ihipStream_tbDpT10_ENKUlT_T0_E_clISt17integral_constantIbLb1EES1B_EEDaS16_S17_EUlS16_E_NS1_11comp_targetILNS1_3genE9ELNS1_11target_archE1100ELNS1_3gpuE3ELNS1_3repE0EEENS1_30default_config_static_selectorELNS0_4arch9wavefront6targetE0EEEvT1_.private_seg_size, 0
	.set _ZN7rocprim17ROCPRIM_400000_NS6detail17trampoline_kernelINS0_14default_configENS1_25partition_config_selectorILNS1_17partition_subalgoE5EsNS0_10empty_typeEbEEZZNS1_14partition_implILS5_5ELb0ES3_mN6thrust23THRUST_200600_302600_NS6detail15normal_iteratorINSA_10device_ptrIsEEEEPS6_NSA_18transform_iteratorINSB_9not_fun_tI7is_trueIsEEESF_NSA_11use_defaultESM_EENS0_5tupleIJSF_S6_EEENSO_IJSG_SG_EEES6_PlJS6_EEE10hipError_tPvRmT3_T4_T5_T6_T7_T9_mT8_P12ihipStream_tbDpT10_ENKUlT_T0_E_clISt17integral_constantIbLb1EES1B_EEDaS16_S17_EUlS16_E_NS1_11comp_targetILNS1_3genE9ELNS1_11target_archE1100ELNS1_3gpuE3ELNS1_3repE0EEENS1_30default_config_static_selectorELNS0_4arch9wavefront6targetE0EEEvT1_.uses_vcc, 0
	.set _ZN7rocprim17ROCPRIM_400000_NS6detail17trampoline_kernelINS0_14default_configENS1_25partition_config_selectorILNS1_17partition_subalgoE5EsNS0_10empty_typeEbEEZZNS1_14partition_implILS5_5ELb0ES3_mN6thrust23THRUST_200600_302600_NS6detail15normal_iteratorINSA_10device_ptrIsEEEEPS6_NSA_18transform_iteratorINSB_9not_fun_tI7is_trueIsEEESF_NSA_11use_defaultESM_EENS0_5tupleIJSF_S6_EEENSO_IJSG_SG_EEES6_PlJS6_EEE10hipError_tPvRmT3_T4_T5_T6_T7_T9_mT8_P12ihipStream_tbDpT10_ENKUlT_T0_E_clISt17integral_constantIbLb1EES1B_EEDaS16_S17_EUlS16_E_NS1_11comp_targetILNS1_3genE9ELNS1_11target_archE1100ELNS1_3gpuE3ELNS1_3repE0EEENS1_30default_config_static_selectorELNS0_4arch9wavefront6targetE0EEEvT1_.uses_flat_scratch, 0
	.set _ZN7rocprim17ROCPRIM_400000_NS6detail17trampoline_kernelINS0_14default_configENS1_25partition_config_selectorILNS1_17partition_subalgoE5EsNS0_10empty_typeEbEEZZNS1_14partition_implILS5_5ELb0ES3_mN6thrust23THRUST_200600_302600_NS6detail15normal_iteratorINSA_10device_ptrIsEEEEPS6_NSA_18transform_iteratorINSB_9not_fun_tI7is_trueIsEEESF_NSA_11use_defaultESM_EENS0_5tupleIJSF_S6_EEENSO_IJSG_SG_EEES6_PlJS6_EEE10hipError_tPvRmT3_T4_T5_T6_T7_T9_mT8_P12ihipStream_tbDpT10_ENKUlT_T0_E_clISt17integral_constantIbLb1EES1B_EEDaS16_S17_EUlS16_E_NS1_11comp_targetILNS1_3genE9ELNS1_11target_archE1100ELNS1_3gpuE3ELNS1_3repE0EEENS1_30default_config_static_selectorELNS0_4arch9wavefront6targetE0EEEvT1_.has_dyn_sized_stack, 0
	.set _ZN7rocprim17ROCPRIM_400000_NS6detail17trampoline_kernelINS0_14default_configENS1_25partition_config_selectorILNS1_17partition_subalgoE5EsNS0_10empty_typeEbEEZZNS1_14partition_implILS5_5ELb0ES3_mN6thrust23THRUST_200600_302600_NS6detail15normal_iteratorINSA_10device_ptrIsEEEEPS6_NSA_18transform_iteratorINSB_9not_fun_tI7is_trueIsEEESF_NSA_11use_defaultESM_EENS0_5tupleIJSF_S6_EEENSO_IJSG_SG_EEES6_PlJS6_EEE10hipError_tPvRmT3_T4_T5_T6_T7_T9_mT8_P12ihipStream_tbDpT10_ENKUlT_T0_E_clISt17integral_constantIbLb1EES1B_EEDaS16_S17_EUlS16_E_NS1_11comp_targetILNS1_3genE9ELNS1_11target_archE1100ELNS1_3gpuE3ELNS1_3repE0EEENS1_30default_config_static_selectorELNS0_4arch9wavefront6targetE0EEEvT1_.has_recursion, 0
	.set _ZN7rocprim17ROCPRIM_400000_NS6detail17trampoline_kernelINS0_14default_configENS1_25partition_config_selectorILNS1_17partition_subalgoE5EsNS0_10empty_typeEbEEZZNS1_14partition_implILS5_5ELb0ES3_mN6thrust23THRUST_200600_302600_NS6detail15normal_iteratorINSA_10device_ptrIsEEEEPS6_NSA_18transform_iteratorINSB_9not_fun_tI7is_trueIsEEESF_NSA_11use_defaultESM_EENS0_5tupleIJSF_S6_EEENSO_IJSG_SG_EEES6_PlJS6_EEE10hipError_tPvRmT3_T4_T5_T6_T7_T9_mT8_P12ihipStream_tbDpT10_ENKUlT_T0_E_clISt17integral_constantIbLb1EES1B_EEDaS16_S17_EUlS16_E_NS1_11comp_targetILNS1_3genE9ELNS1_11target_archE1100ELNS1_3gpuE3ELNS1_3repE0EEENS1_30default_config_static_selectorELNS0_4arch9wavefront6targetE0EEEvT1_.has_indirect_call, 0
	.section	.AMDGPU.csdata,"",@progbits
; Kernel info:
; codeLenInByte = 0
; TotalNumSgprs: 0
; NumVgprs: 0
; ScratchSize: 0
; MemoryBound: 0
; FloatMode: 240
; IeeeMode: 1
; LDSByteSize: 0 bytes/workgroup (compile time only)
; SGPRBlocks: 0
; VGPRBlocks: 0
; NumSGPRsForWavesPerEU: 1
; NumVGPRsForWavesPerEU: 1
; Occupancy: 16
; WaveLimiterHint : 0
; COMPUTE_PGM_RSRC2:SCRATCH_EN: 0
; COMPUTE_PGM_RSRC2:USER_SGPR: 2
; COMPUTE_PGM_RSRC2:TRAP_HANDLER: 0
; COMPUTE_PGM_RSRC2:TGID_X_EN: 1
; COMPUTE_PGM_RSRC2:TGID_Y_EN: 0
; COMPUTE_PGM_RSRC2:TGID_Z_EN: 0
; COMPUTE_PGM_RSRC2:TIDIG_COMP_CNT: 0
	.section	.text._ZN7rocprim17ROCPRIM_400000_NS6detail17trampoline_kernelINS0_14default_configENS1_25partition_config_selectorILNS1_17partition_subalgoE5EsNS0_10empty_typeEbEEZZNS1_14partition_implILS5_5ELb0ES3_mN6thrust23THRUST_200600_302600_NS6detail15normal_iteratorINSA_10device_ptrIsEEEEPS6_NSA_18transform_iteratorINSB_9not_fun_tI7is_trueIsEEESF_NSA_11use_defaultESM_EENS0_5tupleIJSF_S6_EEENSO_IJSG_SG_EEES6_PlJS6_EEE10hipError_tPvRmT3_T4_T5_T6_T7_T9_mT8_P12ihipStream_tbDpT10_ENKUlT_T0_E_clISt17integral_constantIbLb1EES1B_EEDaS16_S17_EUlS16_E_NS1_11comp_targetILNS1_3genE8ELNS1_11target_archE1030ELNS1_3gpuE2ELNS1_3repE0EEENS1_30default_config_static_selectorELNS0_4arch9wavefront6targetE0EEEvT1_,"axG",@progbits,_ZN7rocprim17ROCPRIM_400000_NS6detail17trampoline_kernelINS0_14default_configENS1_25partition_config_selectorILNS1_17partition_subalgoE5EsNS0_10empty_typeEbEEZZNS1_14partition_implILS5_5ELb0ES3_mN6thrust23THRUST_200600_302600_NS6detail15normal_iteratorINSA_10device_ptrIsEEEEPS6_NSA_18transform_iteratorINSB_9not_fun_tI7is_trueIsEEESF_NSA_11use_defaultESM_EENS0_5tupleIJSF_S6_EEENSO_IJSG_SG_EEES6_PlJS6_EEE10hipError_tPvRmT3_T4_T5_T6_T7_T9_mT8_P12ihipStream_tbDpT10_ENKUlT_T0_E_clISt17integral_constantIbLb1EES1B_EEDaS16_S17_EUlS16_E_NS1_11comp_targetILNS1_3genE8ELNS1_11target_archE1030ELNS1_3gpuE2ELNS1_3repE0EEENS1_30default_config_static_selectorELNS0_4arch9wavefront6targetE0EEEvT1_,comdat
	.protected	_ZN7rocprim17ROCPRIM_400000_NS6detail17trampoline_kernelINS0_14default_configENS1_25partition_config_selectorILNS1_17partition_subalgoE5EsNS0_10empty_typeEbEEZZNS1_14partition_implILS5_5ELb0ES3_mN6thrust23THRUST_200600_302600_NS6detail15normal_iteratorINSA_10device_ptrIsEEEEPS6_NSA_18transform_iteratorINSB_9not_fun_tI7is_trueIsEEESF_NSA_11use_defaultESM_EENS0_5tupleIJSF_S6_EEENSO_IJSG_SG_EEES6_PlJS6_EEE10hipError_tPvRmT3_T4_T5_T6_T7_T9_mT8_P12ihipStream_tbDpT10_ENKUlT_T0_E_clISt17integral_constantIbLb1EES1B_EEDaS16_S17_EUlS16_E_NS1_11comp_targetILNS1_3genE8ELNS1_11target_archE1030ELNS1_3gpuE2ELNS1_3repE0EEENS1_30default_config_static_selectorELNS0_4arch9wavefront6targetE0EEEvT1_ ; -- Begin function _ZN7rocprim17ROCPRIM_400000_NS6detail17trampoline_kernelINS0_14default_configENS1_25partition_config_selectorILNS1_17partition_subalgoE5EsNS0_10empty_typeEbEEZZNS1_14partition_implILS5_5ELb0ES3_mN6thrust23THRUST_200600_302600_NS6detail15normal_iteratorINSA_10device_ptrIsEEEEPS6_NSA_18transform_iteratorINSB_9not_fun_tI7is_trueIsEEESF_NSA_11use_defaultESM_EENS0_5tupleIJSF_S6_EEENSO_IJSG_SG_EEES6_PlJS6_EEE10hipError_tPvRmT3_T4_T5_T6_T7_T9_mT8_P12ihipStream_tbDpT10_ENKUlT_T0_E_clISt17integral_constantIbLb1EES1B_EEDaS16_S17_EUlS16_E_NS1_11comp_targetILNS1_3genE8ELNS1_11target_archE1030ELNS1_3gpuE2ELNS1_3repE0EEENS1_30default_config_static_selectorELNS0_4arch9wavefront6targetE0EEEvT1_
	.globl	_ZN7rocprim17ROCPRIM_400000_NS6detail17trampoline_kernelINS0_14default_configENS1_25partition_config_selectorILNS1_17partition_subalgoE5EsNS0_10empty_typeEbEEZZNS1_14partition_implILS5_5ELb0ES3_mN6thrust23THRUST_200600_302600_NS6detail15normal_iteratorINSA_10device_ptrIsEEEEPS6_NSA_18transform_iteratorINSB_9not_fun_tI7is_trueIsEEESF_NSA_11use_defaultESM_EENS0_5tupleIJSF_S6_EEENSO_IJSG_SG_EEES6_PlJS6_EEE10hipError_tPvRmT3_T4_T5_T6_T7_T9_mT8_P12ihipStream_tbDpT10_ENKUlT_T0_E_clISt17integral_constantIbLb1EES1B_EEDaS16_S17_EUlS16_E_NS1_11comp_targetILNS1_3genE8ELNS1_11target_archE1030ELNS1_3gpuE2ELNS1_3repE0EEENS1_30default_config_static_selectorELNS0_4arch9wavefront6targetE0EEEvT1_
	.p2align	8
	.type	_ZN7rocprim17ROCPRIM_400000_NS6detail17trampoline_kernelINS0_14default_configENS1_25partition_config_selectorILNS1_17partition_subalgoE5EsNS0_10empty_typeEbEEZZNS1_14partition_implILS5_5ELb0ES3_mN6thrust23THRUST_200600_302600_NS6detail15normal_iteratorINSA_10device_ptrIsEEEEPS6_NSA_18transform_iteratorINSB_9not_fun_tI7is_trueIsEEESF_NSA_11use_defaultESM_EENS0_5tupleIJSF_S6_EEENSO_IJSG_SG_EEES6_PlJS6_EEE10hipError_tPvRmT3_T4_T5_T6_T7_T9_mT8_P12ihipStream_tbDpT10_ENKUlT_T0_E_clISt17integral_constantIbLb1EES1B_EEDaS16_S17_EUlS16_E_NS1_11comp_targetILNS1_3genE8ELNS1_11target_archE1030ELNS1_3gpuE2ELNS1_3repE0EEENS1_30default_config_static_selectorELNS0_4arch9wavefront6targetE0EEEvT1_,@function
_ZN7rocprim17ROCPRIM_400000_NS6detail17trampoline_kernelINS0_14default_configENS1_25partition_config_selectorILNS1_17partition_subalgoE5EsNS0_10empty_typeEbEEZZNS1_14partition_implILS5_5ELb0ES3_mN6thrust23THRUST_200600_302600_NS6detail15normal_iteratorINSA_10device_ptrIsEEEEPS6_NSA_18transform_iteratorINSB_9not_fun_tI7is_trueIsEEESF_NSA_11use_defaultESM_EENS0_5tupleIJSF_S6_EEENSO_IJSG_SG_EEES6_PlJS6_EEE10hipError_tPvRmT3_T4_T5_T6_T7_T9_mT8_P12ihipStream_tbDpT10_ENKUlT_T0_E_clISt17integral_constantIbLb1EES1B_EEDaS16_S17_EUlS16_E_NS1_11comp_targetILNS1_3genE8ELNS1_11target_archE1030ELNS1_3gpuE2ELNS1_3repE0EEENS1_30default_config_static_selectorELNS0_4arch9wavefront6targetE0EEEvT1_: ; @_ZN7rocprim17ROCPRIM_400000_NS6detail17trampoline_kernelINS0_14default_configENS1_25partition_config_selectorILNS1_17partition_subalgoE5EsNS0_10empty_typeEbEEZZNS1_14partition_implILS5_5ELb0ES3_mN6thrust23THRUST_200600_302600_NS6detail15normal_iteratorINSA_10device_ptrIsEEEEPS6_NSA_18transform_iteratorINSB_9not_fun_tI7is_trueIsEEESF_NSA_11use_defaultESM_EENS0_5tupleIJSF_S6_EEENSO_IJSG_SG_EEES6_PlJS6_EEE10hipError_tPvRmT3_T4_T5_T6_T7_T9_mT8_P12ihipStream_tbDpT10_ENKUlT_T0_E_clISt17integral_constantIbLb1EES1B_EEDaS16_S17_EUlS16_E_NS1_11comp_targetILNS1_3genE8ELNS1_11target_archE1030ELNS1_3gpuE2ELNS1_3repE0EEENS1_30default_config_static_selectorELNS0_4arch9wavefront6targetE0EEEvT1_
; %bb.0:
	.section	.rodata,"a",@progbits
	.p2align	6, 0x0
	.amdhsa_kernel _ZN7rocprim17ROCPRIM_400000_NS6detail17trampoline_kernelINS0_14default_configENS1_25partition_config_selectorILNS1_17partition_subalgoE5EsNS0_10empty_typeEbEEZZNS1_14partition_implILS5_5ELb0ES3_mN6thrust23THRUST_200600_302600_NS6detail15normal_iteratorINSA_10device_ptrIsEEEEPS6_NSA_18transform_iteratorINSB_9not_fun_tI7is_trueIsEEESF_NSA_11use_defaultESM_EENS0_5tupleIJSF_S6_EEENSO_IJSG_SG_EEES6_PlJS6_EEE10hipError_tPvRmT3_T4_T5_T6_T7_T9_mT8_P12ihipStream_tbDpT10_ENKUlT_T0_E_clISt17integral_constantIbLb1EES1B_EEDaS16_S17_EUlS16_E_NS1_11comp_targetILNS1_3genE8ELNS1_11target_archE1030ELNS1_3gpuE2ELNS1_3repE0EEENS1_30default_config_static_selectorELNS0_4arch9wavefront6targetE0EEEvT1_
		.amdhsa_group_segment_fixed_size 0
		.amdhsa_private_segment_fixed_size 0
		.amdhsa_kernarg_size 136
		.amdhsa_user_sgpr_count 2
		.amdhsa_user_sgpr_dispatch_ptr 0
		.amdhsa_user_sgpr_queue_ptr 0
		.amdhsa_user_sgpr_kernarg_segment_ptr 1
		.amdhsa_user_sgpr_dispatch_id 0
		.amdhsa_user_sgpr_private_segment_size 0
		.amdhsa_wavefront_size32 1
		.amdhsa_uses_dynamic_stack 0
		.amdhsa_enable_private_segment 0
		.amdhsa_system_sgpr_workgroup_id_x 1
		.amdhsa_system_sgpr_workgroup_id_y 0
		.amdhsa_system_sgpr_workgroup_id_z 0
		.amdhsa_system_sgpr_workgroup_info 0
		.amdhsa_system_vgpr_workitem_id 0
		.amdhsa_next_free_vgpr 1
		.amdhsa_next_free_sgpr 1
		.amdhsa_reserve_vcc 0
		.amdhsa_float_round_mode_32 0
		.amdhsa_float_round_mode_16_64 0
		.amdhsa_float_denorm_mode_32 3
		.amdhsa_float_denorm_mode_16_64 3
		.amdhsa_fp16_overflow 0
		.amdhsa_workgroup_processor_mode 1
		.amdhsa_memory_ordered 1
		.amdhsa_forward_progress 1
		.amdhsa_inst_pref_size 0
		.amdhsa_round_robin_scheduling 0
		.amdhsa_exception_fp_ieee_invalid_op 0
		.amdhsa_exception_fp_denorm_src 0
		.amdhsa_exception_fp_ieee_div_zero 0
		.amdhsa_exception_fp_ieee_overflow 0
		.amdhsa_exception_fp_ieee_underflow 0
		.amdhsa_exception_fp_ieee_inexact 0
		.amdhsa_exception_int_div_zero 0
	.end_amdhsa_kernel
	.section	.text._ZN7rocprim17ROCPRIM_400000_NS6detail17trampoline_kernelINS0_14default_configENS1_25partition_config_selectorILNS1_17partition_subalgoE5EsNS0_10empty_typeEbEEZZNS1_14partition_implILS5_5ELb0ES3_mN6thrust23THRUST_200600_302600_NS6detail15normal_iteratorINSA_10device_ptrIsEEEEPS6_NSA_18transform_iteratorINSB_9not_fun_tI7is_trueIsEEESF_NSA_11use_defaultESM_EENS0_5tupleIJSF_S6_EEENSO_IJSG_SG_EEES6_PlJS6_EEE10hipError_tPvRmT3_T4_T5_T6_T7_T9_mT8_P12ihipStream_tbDpT10_ENKUlT_T0_E_clISt17integral_constantIbLb1EES1B_EEDaS16_S17_EUlS16_E_NS1_11comp_targetILNS1_3genE8ELNS1_11target_archE1030ELNS1_3gpuE2ELNS1_3repE0EEENS1_30default_config_static_selectorELNS0_4arch9wavefront6targetE0EEEvT1_,"axG",@progbits,_ZN7rocprim17ROCPRIM_400000_NS6detail17trampoline_kernelINS0_14default_configENS1_25partition_config_selectorILNS1_17partition_subalgoE5EsNS0_10empty_typeEbEEZZNS1_14partition_implILS5_5ELb0ES3_mN6thrust23THRUST_200600_302600_NS6detail15normal_iteratorINSA_10device_ptrIsEEEEPS6_NSA_18transform_iteratorINSB_9not_fun_tI7is_trueIsEEESF_NSA_11use_defaultESM_EENS0_5tupleIJSF_S6_EEENSO_IJSG_SG_EEES6_PlJS6_EEE10hipError_tPvRmT3_T4_T5_T6_T7_T9_mT8_P12ihipStream_tbDpT10_ENKUlT_T0_E_clISt17integral_constantIbLb1EES1B_EEDaS16_S17_EUlS16_E_NS1_11comp_targetILNS1_3genE8ELNS1_11target_archE1030ELNS1_3gpuE2ELNS1_3repE0EEENS1_30default_config_static_selectorELNS0_4arch9wavefront6targetE0EEEvT1_,comdat
.Lfunc_end1548:
	.size	_ZN7rocprim17ROCPRIM_400000_NS6detail17trampoline_kernelINS0_14default_configENS1_25partition_config_selectorILNS1_17partition_subalgoE5EsNS0_10empty_typeEbEEZZNS1_14partition_implILS5_5ELb0ES3_mN6thrust23THRUST_200600_302600_NS6detail15normal_iteratorINSA_10device_ptrIsEEEEPS6_NSA_18transform_iteratorINSB_9not_fun_tI7is_trueIsEEESF_NSA_11use_defaultESM_EENS0_5tupleIJSF_S6_EEENSO_IJSG_SG_EEES6_PlJS6_EEE10hipError_tPvRmT3_T4_T5_T6_T7_T9_mT8_P12ihipStream_tbDpT10_ENKUlT_T0_E_clISt17integral_constantIbLb1EES1B_EEDaS16_S17_EUlS16_E_NS1_11comp_targetILNS1_3genE8ELNS1_11target_archE1030ELNS1_3gpuE2ELNS1_3repE0EEENS1_30default_config_static_selectorELNS0_4arch9wavefront6targetE0EEEvT1_, .Lfunc_end1548-_ZN7rocprim17ROCPRIM_400000_NS6detail17trampoline_kernelINS0_14default_configENS1_25partition_config_selectorILNS1_17partition_subalgoE5EsNS0_10empty_typeEbEEZZNS1_14partition_implILS5_5ELb0ES3_mN6thrust23THRUST_200600_302600_NS6detail15normal_iteratorINSA_10device_ptrIsEEEEPS6_NSA_18transform_iteratorINSB_9not_fun_tI7is_trueIsEEESF_NSA_11use_defaultESM_EENS0_5tupleIJSF_S6_EEENSO_IJSG_SG_EEES6_PlJS6_EEE10hipError_tPvRmT3_T4_T5_T6_T7_T9_mT8_P12ihipStream_tbDpT10_ENKUlT_T0_E_clISt17integral_constantIbLb1EES1B_EEDaS16_S17_EUlS16_E_NS1_11comp_targetILNS1_3genE8ELNS1_11target_archE1030ELNS1_3gpuE2ELNS1_3repE0EEENS1_30default_config_static_selectorELNS0_4arch9wavefront6targetE0EEEvT1_
                                        ; -- End function
	.set _ZN7rocprim17ROCPRIM_400000_NS6detail17trampoline_kernelINS0_14default_configENS1_25partition_config_selectorILNS1_17partition_subalgoE5EsNS0_10empty_typeEbEEZZNS1_14partition_implILS5_5ELb0ES3_mN6thrust23THRUST_200600_302600_NS6detail15normal_iteratorINSA_10device_ptrIsEEEEPS6_NSA_18transform_iteratorINSB_9not_fun_tI7is_trueIsEEESF_NSA_11use_defaultESM_EENS0_5tupleIJSF_S6_EEENSO_IJSG_SG_EEES6_PlJS6_EEE10hipError_tPvRmT3_T4_T5_T6_T7_T9_mT8_P12ihipStream_tbDpT10_ENKUlT_T0_E_clISt17integral_constantIbLb1EES1B_EEDaS16_S17_EUlS16_E_NS1_11comp_targetILNS1_3genE8ELNS1_11target_archE1030ELNS1_3gpuE2ELNS1_3repE0EEENS1_30default_config_static_selectorELNS0_4arch9wavefront6targetE0EEEvT1_.num_vgpr, 0
	.set _ZN7rocprim17ROCPRIM_400000_NS6detail17trampoline_kernelINS0_14default_configENS1_25partition_config_selectorILNS1_17partition_subalgoE5EsNS0_10empty_typeEbEEZZNS1_14partition_implILS5_5ELb0ES3_mN6thrust23THRUST_200600_302600_NS6detail15normal_iteratorINSA_10device_ptrIsEEEEPS6_NSA_18transform_iteratorINSB_9not_fun_tI7is_trueIsEEESF_NSA_11use_defaultESM_EENS0_5tupleIJSF_S6_EEENSO_IJSG_SG_EEES6_PlJS6_EEE10hipError_tPvRmT3_T4_T5_T6_T7_T9_mT8_P12ihipStream_tbDpT10_ENKUlT_T0_E_clISt17integral_constantIbLb1EES1B_EEDaS16_S17_EUlS16_E_NS1_11comp_targetILNS1_3genE8ELNS1_11target_archE1030ELNS1_3gpuE2ELNS1_3repE0EEENS1_30default_config_static_selectorELNS0_4arch9wavefront6targetE0EEEvT1_.num_agpr, 0
	.set _ZN7rocprim17ROCPRIM_400000_NS6detail17trampoline_kernelINS0_14default_configENS1_25partition_config_selectorILNS1_17partition_subalgoE5EsNS0_10empty_typeEbEEZZNS1_14partition_implILS5_5ELb0ES3_mN6thrust23THRUST_200600_302600_NS6detail15normal_iteratorINSA_10device_ptrIsEEEEPS6_NSA_18transform_iteratorINSB_9not_fun_tI7is_trueIsEEESF_NSA_11use_defaultESM_EENS0_5tupleIJSF_S6_EEENSO_IJSG_SG_EEES6_PlJS6_EEE10hipError_tPvRmT3_T4_T5_T6_T7_T9_mT8_P12ihipStream_tbDpT10_ENKUlT_T0_E_clISt17integral_constantIbLb1EES1B_EEDaS16_S17_EUlS16_E_NS1_11comp_targetILNS1_3genE8ELNS1_11target_archE1030ELNS1_3gpuE2ELNS1_3repE0EEENS1_30default_config_static_selectorELNS0_4arch9wavefront6targetE0EEEvT1_.numbered_sgpr, 0
	.set _ZN7rocprim17ROCPRIM_400000_NS6detail17trampoline_kernelINS0_14default_configENS1_25partition_config_selectorILNS1_17partition_subalgoE5EsNS0_10empty_typeEbEEZZNS1_14partition_implILS5_5ELb0ES3_mN6thrust23THRUST_200600_302600_NS6detail15normal_iteratorINSA_10device_ptrIsEEEEPS6_NSA_18transform_iteratorINSB_9not_fun_tI7is_trueIsEEESF_NSA_11use_defaultESM_EENS0_5tupleIJSF_S6_EEENSO_IJSG_SG_EEES6_PlJS6_EEE10hipError_tPvRmT3_T4_T5_T6_T7_T9_mT8_P12ihipStream_tbDpT10_ENKUlT_T0_E_clISt17integral_constantIbLb1EES1B_EEDaS16_S17_EUlS16_E_NS1_11comp_targetILNS1_3genE8ELNS1_11target_archE1030ELNS1_3gpuE2ELNS1_3repE0EEENS1_30default_config_static_selectorELNS0_4arch9wavefront6targetE0EEEvT1_.num_named_barrier, 0
	.set _ZN7rocprim17ROCPRIM_400000_NS6detail17trampoline_kernelINS0_14default_configENS1_25partition_config_selectorILNS1_17partition_subalgoE5EsNS0_10empty_typeEbEEZZNS1_14partition_implILS5_5ELb0ES3_mN6thrust23THRUST_200600_302600_NS6detail15normal_iteratorINSA_10device_ptrIsEEEEPS6_NSA_18transform_iteratorINSB_9not_fun_tI7is_trueIsEEESF_NSA_11use_defaultESM_EENS0_5tupleIJSF_S6_EEENSO_IJSG_SG_EEES6_PlJS6_EEE10hipError_tPvRmT3_T4_T5_T6_T7_T9_mT8_P12ihipStream_tbDpT10_ENKUlT_T0_E_clISt17integral_constantIbLb1EES1B_EEDaS16_S17_EUlS16_E_NS1_11comp_targetILNS1_3genE8ELNS1_11target_archE1030ELNS1_3gpuE2ELNS1_3repE0EEENS1_30default_config_static_selectorELNS0_4arch9wavefront6targetE0EEEvT1_.private_seg_size, 0
	.set _ZN7rocprim17ROCPRIM_400000_NS6detail17trampoline_kernelINS0_14default_configENS1_25partition_config_selectorILNS1_17partition_subalgoE5EsNS0_10empty_typeEbEEZZNS1_14partition_implILS5_5ELb0ES3_mN6thrust23THRUST_200600_302600_NS6detail15normal_iteratorINSA_10device_ptrIsEEEEPS6_NSA_18transform_iteratorINSB_9not_fun_tI7is_trueIsEEESF_NSA_11use_defaultESM_EENS0_5tupleIJSF_S6_EEENSO_IJSG_SG_EEES6_PlJS6_EEE10hipError_tPvRmT3_T4_T5_T6_T7_T9_mT8_P12ihipStream_tbDpT10_ENKUlT_T0_E_clISt17integral_constantIbLb1EES1B_EEDaS16_S17_EUlS16_E_NS1_11comp_targetILNS1_3genE8ELNS1_11target_archE1030ELNS1_3gpuE2ELNS1_3repE0EEENS1_30default_config_static_selectorELNS0_4arch9wavefront6targetE0EEEvT1_.uses_vcc, 0
	.set _ZN7rocprim17ROCPRIM_400000_NS6detail17trampoline_kernelINS0_14default_configENS1_25partition_config_selectorILNS1_17partition_subalgoE5EsNS0_10empty_typeEbEEZZNS1_14partition_implILS5_5ELb0ES3_mN6thrust23THRUST_200600_302600_NS6detail15normal_iteratorINSA_10device_ptrIsEEEEPS6_NSA_18transform_iteratorINSB_9not_fun_tI7is_trueIsEEESF_NSA_11use_defaultESM_EENS0_5tupleIJSF_S6_EEENSO_IJSG_SG_EEES6_PlJS6_EEE10hipError_tPvRmT3_T4_T5_T6_T7_T9_mT8_P12ihipStream_tbDpT10_ENKUlT_T0_E_clISt17integral_constantIbLb1EES1B_EEDaS16_S17_EUlS16_E_NS1_11comp_targetILNS1_3genE8ELNS1_11target_archE1030ELNS1_3gpuE2ELNS1_3repE0EEENS1_30default_config_static_selectorELNS0_4arch9wavefront6targetE0EEEvT1_.uses_flat_scratch, 0
	.set _ZN7rocprim17ROCPRIM_400000_NS6detail17trampoline_kernelINS0_14default_configENS1_25partition_config_selectorILNS1_17partition_subalgoE5EsNS0_10empty_typeEbEEZZNS1_14partition_implILS5_5ELb0ES3_mN6thrust23THRUST_200600_302600_NS6detail15normal_iteratorINSA_10device_ptrIsEEEEPS6_NSA_18transform_iteratorINSB_9not_fun_tI7is_trueIsEEESF_NSA_11use_defaultESM_EENS0_5tupleIJSF_S6_EEENSO_IJSG_SG_EEES6_PlJS6_EEE10hipError_tPvRmT3_T4_T5_T6_T7_T9_mT8_P12ihipStream_tbDpT10_ENKUlT_T0_E_clISt17integral_constantIbLb1EES1B_EEDaS16_S17_EUlS16_E_NS1_11comp_targetILNS1_3genE8ELNS1_11target_archE1030ELNS1_3gpuE2ELNS1_3repE0EEENS1_30default_config_static_selectorELNS0_4arch9wavefront6targetE0EEEvT1_.has_dyn_sized_stack, 0
	.set _ZN7rocprim17ROCPRIM_400000_NS6detail17trampoline_kernelINS0_14default_configENS1_25partition_config_selectorILNS1_17partition_subalgoE5EsNS0_10empty_typeEbEEZZNS1_14partition_implILS5_5ELb0ES3_mN6thrust23THRUST_200600_302600_NS6detail15normal_iteratorINSA_10device_ptrIsEEEEPS6_NSA_18transform_iteratorINSB_9not_fun_tI7is_trueIsEEESF_NSA_11use_defaultESM_EENS0_5tupleIJSF_S6_EEENSO_IJSG_SG_EEES6_PlJS6_EEE10hipError_tPvRmT3_T4_T5_T6_T7_T9_mT8_P12ihipStream_tbDpT10_ENKUlT_T0_E_clISt17integral_constantIbLb1EES1B_EEDaS16_S17_EUlS16_E_NS1_11comp_targetILNS1_3genE8ELNS1_11target_archE1030ELNS1_3gpuE2ELNS1_3repE0EEENS1_30default_config_static_selectorELNS0_4arch9wavefront6targetE0EEEvT1_.has_recursion, 0
	.set _ZN7rocprim17ROCPRIM_400000_NS6detail17trampoline_kernelINS0_14default_configENS1_25partition_config_selectorILNS1_17partition_subalgoE5EsNS0_10empty_typeEbEEZZNS1_14partition_implILS5_5ELb0ES3_mN6thrust23THRUST_200600_302600_NS6detail15normal_iteratorINSA_10device_ptrIsEEEEPS6_NSA_18transform_iteratorINSB_9not_fun_tI7is_trueIsEEESF_NSA_11use_defaultESM_EENS0_5tupleIJSF_S6_EEENSO_IJSG_SG_EEES6_PlJS6_EEE10hipError_tPvRmT3_T4_T5_T6_T7_T9_mT8_P12ihipStream_tbDpT10_ENKUlT_T0_E_clISt17integral_constantIbLb1EES1B_EEDaS16_S17_EUlS16_E_NS1_11comp_targetILNS1_3genE8ELNS1_11target_archE1030ELNS1_3gpuE2ELNS1_3repE0EEENS1_30default_config_static_selectorELNS0_4arch9wavefront6targetE0EEEvT1_.has_indirect_call, 0
	.section	.AMDGPU.csdata,"",@progbits
; Kernel info:
; codeLenInByte = 0
; TotalNumSgprs: 0
; NumVgprs: 0
; ScratchSize: 0
; MemoryBound: 0
; FloatMode: 240
; IeeeMode: 1
; LDSByteSize: 0 bytes/workgroup (compile time only)
; SGPRBlocks: 0
; VGPRBlocks: 0
; NumSGPRsForWavesPerEU: 1
; NumVGPRsForWavesPerEU: 1
; Occupancy: 16
; WaveLimiterHint : 0
; COMPUTE_PGM_RSRC2:SCRATCH_EN: 0
; COMPUTE_PGM_RSRC2:USER_SGPR: 2
; COMPUTE_PGM_RSRC2:TRAP_HANDLER: 0
; COMPUTE_PGM_RSRC2:TGID_X_EN: 1
; COMPUTE_PGM_RSRC2:TGID_Y_EN: 0
; COMPUTE_PGM_RSRC2:TGID_Z_EN: 0
; COMPUTE_PGM_RSRC2:TIDIG_COMP_CNT: 0
	.section	.text._ZN7rocprim17ROCPRIM_400000_NS6detail17trampoline_kernelINS0_14default_configENS1_25partition_config_selectorILNS1_17partition_subalgoE5EsNS0_10empty_typeEbEEZZNS1_14partition_implILS5_5ELb0ES3_mN6thrust23THRUST_200600_302600_NS6detail15normal_iteratorINSA_10device_ptrIsEEEEPS6_NSA_18transform_iteratorINSB_9not_fun_tI7is_trueIsEEESF_NSA_11use_defaultESM_EENS0_5tupleIJSF_S6_EEENSO_IJSG_SG_EEES6_PlJS6_EEE10hipError_tPvRmT3_T4_T5_T6_T7_T9_mT8_P12ihipStream_tbDpT10_ENKUlT_T0_E_clISt17integral_constantIbLb1EES1A_IbLb0EEEEDaS16_S17_EUlS16_E_NS1_11comp_targetILNS1_3genE0ELNS1_11target_archE4294967295ELNS1_3gpuE0ELNS1_3repE0EEENS1_30default_config_static_selectorELNS0_4arch9wavefront6targetE0EEEvT1_,"axG",@progbits,_ZN7rocprim17ROCPRIM_400000_NS6detail17trampoline_kernelINS0_14default_configENS1_25partition_config_selectorILNS1_17partition_subalgoE5EsNS0_10empty_typeEbEEZZNS1_14partition_implILS5_5ELb0ES3_mN6thrust23THRUST_200600_302600_NS6detail15normal_iteratorINSA_10device_ptrIsEEEEPS6_NSA_18transform_iteratorINSB_9not_fun_tI7is_trueIsEEESF_NSA_11use_defaultESM_EENS0_5tupleIJSF_S6_EEENSO_IJSG_SG_EEES6_PlJS6_EEE10hipError_tPvRmT3_T4_T5_T6_T7_T9_mT8_P12ihipStream_tbDpT10_ENKUlT_T0_E_clISt17integral_constantIbLb1EES1A_IbLb0EEEEDaS16_S17_EUlS16_E_NS1_11comp_targetILNS1_3genE0ELNS1_11target_archE4294967295ELNS1_3gpuE0ELNS1_3repE0EEENS1_30default_config_static_selectorELNS0_4arch9wavefront6targetE0EEEvT1_,comdat
	.protected	_ZN7rocprim17ROCPRIM_400000_NS6detail17trampoline_kernelINS0_14default_configENS1_25partition_config_selectorILNS1_17partition_subalgoE5EsNS0_10empty_typeEbEEZZNS1_14partition_implILS5_5ELb0ES3_mN6thrust23THRUST_200600_302600_NS6detail15normal_iteratorINSA_10device_ptrIsEEEEPS6_NSA_18transform_iteratorINSB_9not_fun_tI7is_trueIsEEESF_NSA_11use_defaultESM_EENS0_5tupleIJSF_S6_EEENSO_IJSG_SG_EEES6_PlJS6_EEE10hipError_tPvRmT3_T4_T5_T6_T7_T9_mT8_P12ihipStream_tbDpT10_ENKUlT_T0_E_clISt17integral_constantIbLb1EES1A_IbLb0EEEEDaS16_S17_EUlS16_E_NS1_11comp_targetILNS1_3genE0ELNS1_11target_archE4294967295ELNS1_3gpuE0ELNS1_3repE0EEENS1_30default_config_static_selectorELNS0_4arch9wavefront6targetE0EEEvT1_ ; -- Begin function _ZN7rocprim17ROCPRIM_400000_NS6detail17trampoline_kernelINS0_14default_configENS1_25partition_config_selectorILNS1_17partition_subalgoE5EsNS0_10empty_typeEbEEZZNS1_14partition_implILS5_5ELb0ES3_mN6thrust23THRUST_200600_302600_NS6detail15normal_iteratorINSA_10device_ptrIsEEEEPS6_NSA_18transform_iteratorINSB_9not_fun_tI7is_trueIsEEESF_NSA_11use_defaultESM_EENS0_5tupleIJSF_S6_EEENSO_IJSG_SG_EEES6_PlJS6_EEE10hipError_tPvRmT3_T4_T5_T6_T7_T9_mT8_P12ihipStream_tbDpT10_ENKUlT_T0_E_clISt17integral_constantIbLb1EES1A_IbLb0EEEEDaS16_S17_EUlS16_E_NS1_11comp_targetILNS1_3genE0ELNS1_11target_archE4294967295ELNS1_3gpuE0ELNS1_3repE0EEENS1_30default_config_static_selectorELNS0_4arch9wavefront6targetE0EEEvT1_
	.globl	_ZN7rocprim17ROCPRIM_400000_NS6detail17trampoline_kernelINS0_14default_configENS1_25partition_config_selectorILNS1_17partition_subalgoE5EsNS0_10empty_typeEbEEZZNS1_14partition_implILS5_5ELb0ES3_mN6thrust23THRUST_200600_302600_NS6detail15normal_iteratorINSA_10device_ptrIsEEEEPS6_NSA_18transform_iteratorINSB_9not_fun_tI7is_trueIsEEESF_NSA_11use_defaultESM_EENS0_5tupleIJSF_S6_EEENSO_IJSG_SG_EEES6_PlJS6_EEE10hipError_tPvRmT3_T4_T5_T6_T7_T9_mT8_P12ihipStream_tbDpT10_ENKUlT_T0_E_clISt17integral_constantIbLb1EES1A_IbLb0EEEEDaS16_S17_EUlS16_E_NS1_11comp_targetILNS1_3genE0ELNS1_11target_archE4294967295ELNS1_3gpuE0ELNS1_3repE0EEENS1_30default_config_static_selectorELNS0_4arch9wavefront6targetE0EEEvT1_
	.p2align	8
	.type	_ZN7rocprim17ROCPRIM_400000_NS6detail17trampoline_kernelINS0_14default_configENS1_25partition_config_selectorILNS1_17partition_subalgoE5EsNS0_10empty_typeEbEEZZNS1_14partition_implILS5_5ELb0ES3_mN6thrust23THRUST_200600_302600_NS6detail15normal_iteratorINSA_10device_ptrIsEEEEPS6_NSA_18transform_iteratorINSB_9not_fun_tI7is_trueIsEEESF_NSA_11use_defaultESM_EENS0_5tupleIJSF_S6_EEENSO_IJSG_SG_EEES6_PlJS6_EEE10hipError_tPvRmT3_T4_T5_T6_T7_T9_mT8_P12ihipStream_tbDpT10_ENKUlT_T0_E_clISt17integral_constantIbLb1EES1A_IbLb0EEEEDaS16_S17_EUlS16_E_NS1_11comp_targetILNS1_3genE0ELNS1_11target_archE4294967295ELNS1_3gpuE0ELNS1_3repE0EEENS1_30default_config_static_selectorELNS0_4arch9wavefront6targetE0EEEvT1_,@function
_ZN7rocprim17ROCPRIM_400000_NS6detail17trampoline_kernelINS0_14default_configENS1_25partition_config_selectorILNS1_17partition_subalgoE5EsNS0_10empty_typeEbEEZZNS1_14partition_implILS5_5ELb0ES3_mN6thrust23THRUST_200600_302600_NS6detail15normal_iteratorINSA_10device_ptrIsEEEEPS6_NSA_18transform_iteratorINSB_9not_fun_tI7is_trueIsEEESF_NSA_11use_defaultESM_EENS0_5tupleIJSF_S6_EEENSO_IJSG_SG_EEES6_PlJS6_EEE10hipError_tPvRmT3_T4_T5_T6_T7_T9_mT8_P12ihipStream_tbDpT10_ENKUlT_T0_E_clISt17integral_constantIbLb1EES1A_IbLb0EEEEDaS16_S17_EUlS16_E_NS1_11comp_targetILNS1_3genE0ELNS1_11target_archE4294967295ELNS1_3gpuE0ELNS1_3repE0EEENS1_30default_config_static_selectorELNS0_4arch9wavefront6targetE0EEEvT1_: ; @_ZN7rocprim17ROCPRIM_400000_NS6detail17trampoline_kernelINS0_14default_configENS1_25partition_config_selectorILNS1_17partition_subalgoE5EsNS0_10empty_typeEbEEZZNS1_14partition_implILS5_5ELb0ES3_mN6thrust23THRUST_200600_302600_NS6detail15normal_iteratorINSA_10device_ptrIsEEEEPS6_NSA_18transform_iteratorINSB_9not_fun_tI7is_trueIsEEESF_NSA_11use_defaultESM_EENS0_5tupleIJSF_S6_EEENSO_IJSG_SG_EEES6_PlJS6_EEE10hipError_tPvRmT3_T4_T5_T6_T7_T9_mT8_P12ihipStream_tbDpT10_ENKUlT_T0_E_clISt17integral_constantIbLb1EES1A_IbLb0EEEEDaS16_S17_EUlS16_E_NS1_11comp_targetILNS1_3genE0ELNS1_11target_archE4294967295ELNS1_3gpuE0ELNS1_3repE0EEENS1_30default_config_static_selectorELNS0_4arch9wavefront6targetE0EEEvT1_
; %bb.0:
	.section	.rodata,"a",@progbits
	.p2align	6, 0x0
	.amdhsa_kernel _ZN7rocprim17ROCPRIM_400000_NS6detail17trampoline_kernelINS0_14default_configENS1_25partition_config_selectorILNS1_17partition_subalgoE5EsNS0_10empty_typeEbEEZZNS1_14partition_implILS5_5ELb0ES3_mN6thrust23THRUST_200600_302600_NS6detail15normal_iteratorINSA_10device_ptrIsEEEEPS6_NSA_18transform_iteratorINSB_9not_fun_tI7is_trueIsEEESF_NSA_11use_defaultESM_EENS0_5tupleIJSF_S6_EEENSO_IJSG_SG_EEES6_PlJS6_EEE10hipError_tPvRmT3_T4_T5_T6_T7_T9_mT8_P12ihipStream_tbDpT10_ENKUlT_T0_E_clISt17integral_constantIbLb1EES1A_IbLb0EEEEDaS16_S17_EUlS16_E_NS1_11comp_targetILNS1_3genE0ELNS1_11target_archE4294967295ELNS1_3gpuE0ELNS1_3repE0EEENS1_30default_config_static_selectorELNS0_4arch9wavefront6targetE0EEEvT1_
		.amdhsa_group_segment_fixed_size 0
		.amdhsa_private_segment_fixed_size 0
		.amdhsa_kernarg_size 120
		.amdhsa_user_sgpr_count 2
		.amdhsa_user_sgpr_dispatch_ptr 0
		.amdhsa_user_sgpr_queue_ptr 0
		.amdhsa_user_sgpr_kernarg_segment_ptr 1
		.amdhsa_user_sgpr_dispatch_id 0
		.amdhsa_user_sgpr_private_segment_size 0
		.amdhsa_wavefront_size32 1
		.amdhsa_uses_dynamic_stack 0
		.amdhsa_enable_private_segment 0
		.amdhsa_system_sgpr_workgroup_id_x 1
		.amdhsa_system_sgpr_workgroup_id_y 0
		.amdhsa_system_sgpr_workgroup_id_z 0
		.amdhsa_system_sgpr_workgroup_info 0
		.amdhsa_system_vgpr_workitem_id 0
		.amdhsa_next_free_vgpr 1
		.amdhsa_next_free_sgpr 1
		.amdhsa_reserve_vcc 0
		.amdhsa_float_round_mode_32 0
		.amdhsa_float_round_mode_16_64 0
		.amdhsa_float_denorm_mode_32 3
		.amdhsa_float_denorm_mode_16_64 3
		.amdhsa_fp16_overflow 0
		.amdhsa_workgroup_processor_mode 1
		.amdhsa_memory_ordered 1
		.amdhsa_forward_progress 1
		.amdhsa_inst_pref_size 0
		.amdhsa_round_robin_scheduling 0
		.amdhsa_exception_fp_ieee_invalid_op 0
		.amdhsa_exception_fp_denorm_src 0
		.amdhsa_exception_fp_ieee_div_zero 0
		.amdhsa_exception_fp_ieee_overflow 0
		.amdhsa_exception_fp_ieee_underflow 0
		.amdhsa_exception_fp_ieee_inexact 0
		.amdhsa_exception_int_div_zero 0
	.end_amdhsa_kernel
	.section	.text._ZN7rocprim17ROCPRIM_400000_NS6detail17trampoline_kernelINS0_14default_configENS1_25partition_config_selectorILNS1_17partition_subalgoE5EsNS0_10empty_typeEbEEZZNS1_14partition_implILS5_5ELb0ES3_mN6thrust23THRUST_200600_302600_NS6detail15normal_iteratorINSA_10device_ptrIsEEEEPS6_NSA_18transform_iteratorINSB_9not_fun_tI7is_trueIsEEESF_NSA_11use_defaultESM_EENS0_5tupleIJSF_S6_EEENSO_IJSG_SG_EEES6_PlJS6_EEE10hipError_tPvRmT3_T4_T5_T6_T7_T9_mT8_P12ihipStream_tbDpT10_ENKUlT_T0_E_clISt17integral_constantIbLb1EES1A_IbLb0EEEEDaS16_S17_EUlS16_E_NS1_11comp_targetILNS1_3genE0ELNS1_11target_archE4294967295ELNS1_3gpuE0ELNS1_3repE0EEENS1_30default_config_static_selectorELNS0_4arch9wavefront6targetE0EEEvT1_,"axG",@progbits,_ZN7rocprim17ROCPRIM_400000_NS6detail17trampoline_kernelINS0_14default_configENS1_25partition_config_selectorILNS1_17partition_subalgoE5EsNS0_10empty_typeEbEEZZNS1_14partition_implILS5_5ELb0ES3_mN6thrust23THRUST_200600_302600_NS6detail15normal_iteratorINSA_10device_ptrIsEEEEPS6_NSA_18transform_iteratorINSB_9not_fun_tI7is_trueIsEEESF_NSA_11use_defaultESM_EENS0_5tupleIJSF_S6_EEENSO_IJSG_SG_EEES6_PlJS6_EEE10hipError_tPvRmT3_T4_T5_T6_T7_T9_mT8_P12ihipStream_tbDpT10_ENKUlT_T0_E_clISt17integral_constantIbLb1EES1A_IbLb0EEEEDaS16_S17_EUlS16_E_NS1_11comp_targetILNS1_3genE0ELNS1_11target_archE4294967295ELNS1_3gpuE0ELNS1_3repE0EEENS1_30default_config_static_selectorELNS0_4arch9wavefront6targetE0EEEvT1_,comdat
.Lfunc_end1549:
	.size	_ZN7rocprim17ROCPRIM_400000_NS6detail17trampoline_kernelINS0_14default_configENS1_25partition_config_selectorILNS1_17partition_subalgoE5EsNS0_10empty_typeEbEEZZNS1_14partition_implILS5_5ELb0ES3_mN6thrust23THRUST_200600_302600_NS6detail15normal_iteratorINSA_10device_ptrIsEEEEPS6_NSA_18transform_iteratorINSB_9not_fun_tI7is_trueIsEEESF_NSA_11use_defaultESM_EENS0_5tupleIJSF_S6_EEENSO_IJSG_SG_EEES6_PlJS6_EEE10hipError_tPvRmT3_T4_T5_T6_T7_T9_mT8_P12ihipStream_tbDpT10_ENKUlT_T0_E_clISt17integral_constantIbLb1EES1A_IbLb0EEEEDaS16_S17_EUlS16_E_NS1_11comp_targetILNS1_3genE0ELNS1_11target_archE4294967295ELNS1_3gpuE0ELNS1_3repE0EEENS1_30default_config_static_selectorELNS0_4arch9wavefront6targetE0EEEvT1_, .Lfunc_end1549-_ZN7rocprim17ROCPRIM_400000_NS6detail17trampoline_kernelINS0_14default_configENS1_25partition_config_selectorILNS1_17partition_subalgoE5EsNS0_10empty_typeEbEEZZNS1_14partition_implILS5_5ELb0ES3_mN6thrust23THRUST_200600_302600_NS6detail15normal_iteratorINSA_10device_ptrIsEEEEPS6_NSA_18transform_iteratorINSB_9not_fun_tI7is_trueIsEEESF_NSA_11use_defaultESM_EENS0_5tupleIJSF_S6_EEENSO_IJSG_SG_EEES6_PlJS6_EEE10hipError_tPvRmT3_T4_T5_T6_T7_T9_mT8_P12ihipStream_tbDpT10_ENKUlT_T0_E_clISt17integral_constantIbLb1EES1A_IbLb0EEEEDaS16_S17_EUlS16_E_NS1_11comp_targetILNS1_3genE0ELNS1_11target_archE4294967295ELNS1_3gpuE0ELNS1_3repE0EEENS1_30default_config_static_selectorELNS0_4arch9wavefront6targetE0EEEvT1_
                                        ; -- End function
	.set _ZN7rocprim17ROCPRIM_400000_NS6detail17trampoline_kernelINS0_14default_configENS1_25partition_config_selectorILNS1_17partition_subalgoE5EsNS0_10empty_typeEbEEZZNS1_14partition_implILS5_5ELb0ES3_mN6thrust23THRUST_200600_302600_NS6detail15normal_iteratorINSA_10device_ptrIsEEEEPS6_NSA_18transform_iteratorINSB_9not_fun_tI7is_trueIsEEESF_NSA_11use_defaultESM_EENS0_5tupleIJSF_S6_EEENSO_IJSG_SG_EEES6_PlJS6_EEE10hipError_tPvRmT3_T4_T5_T6_T7_T9_mT8_P12ihipStream_tbDpT10_ENKUlT_T0_E_clISt17integral_constantIbLb1EES1A_IbLb0EEEEDaS16_S17_EUlS16_E_NS1_11comp_targetILNS1_3genE0ELNS1_11target_archE4294967295ELNS1_3gpuE0ELNS1_3repE0EEENS1_30default_config_static_selectorELNS0_4arch9wavefront6targetE0EEEvT1_.num_vgpr, 0
	.set _ZN7rocprim17ROCPRIM_400000_NS6detail17trampoline_kernelINS0_14default_configENS1_25partition_config_selectorILNS1_17partition_subalgoE5EsNS0_10empty_typeEbEEZZNS1_14partition_implILS5_5ELb0ES3_mN6thrust23THRUST_200600_302600_NS6detail15normal_iteratorINSA_10device_ptrIsEEEEPS6_NSA_18transform_iteratorINSB_9not_fun_tI7is_trueIsEEESF_NSA_11use_defaultESM_EENS0_5tupleIJSF_S6_EEENSO_IJSG_SG_EEES6_PlJS6_EEE10hipError_tPvRmT3_T4_T5_T6_T7_T9_mT8_P12ihipStream_tbDpT10_ENKUlT_T0_E_clISt17integral_constantIbLb1EES1A_IbLb0EEEEDaS16_S17_EUlS16_E_NS1_11comp_targetILNS1_3genE0ELNS1_11target_archE4294967295ELNS1_3gpuE0ELNS1_3repE0EEENS1_30default_config_static_selectorELNS0_4arch9wavefront6targetE0EEEvT1_.num_agpr, 0
	.set _ZN7rocprim17ROCPRIM_400000_NS6detail17trampoline_kernelINS0_14default_configENS1_25partition_config_selectorILNS1_17partition_subalgoE5EsNS0_10empty_typeEbEEZZNS1_14partition_implILS5_5ELb0ES3_mN6thrust23THRUST_200600_302600_NS6detail15normal_iteratorINSA_10device_ptrIsEEEEPS6_NSA_18transform_iteratorINSB_9not_fun_tI7is_trueIsEEESF_NSA_11use_defaultESM_EENS0_5tupleIJSF_S6_EEENSO_IJSG_SG_EEES6_PlJS6_EEE10hipError_tPvRmT3_T4_T5_T6_T7_T9_mT8_P12ihipStream_tbDpT10_ENKUlT_T0_E_clISt17integral_constantIbLb1EES1A_IbLb0EEEEDaS16_S17_EUlS16_E_NS1_11comp_targetILNS1_3genE0ELNS1_11target_archE4294967295ELNS1_3gpuE0ELNS1_3repE0EEENS1_30default_config_static_selectorELNS0_4arch9wavefront6targetE0EEEvT1_.numbered_sgpr, 0
	.set _ZN7rocprim17ROCPRIM_400000_NS6detail17trampoline_kernelINS0_14default_configENS1_25partition_config_selectorILNS1_17partition_subalgoE5EsNS0_10empty_typeEbEEZZNS1_14partition_implILS5_5ELb0ES3_mN6thrust23THRUST_200600_302600_NS6detail15normal_iteratorINSA_10device_ptrIsEEEEPS6_NSA_18transform_iteratorINSB_9not_fun_tI7is_trueIsEEESF_NSA_11use_defaultESM_EENS0_5tupleIJSF_S6_EEENSO_IJSG_SG_EEES6_PlJS6_EEE10hipError_tPvRmT3_T4_T5_T6_T7_T9_mT8_P12ihipStream_tbDpT10_ENKUlT_T0_E_clISt17integral_constantIbLb1EES1A_IbLb0EEEEDaS16_S17_EUlS16_E_NS1_11comp_targetILNS1_3genE0ELNS1_11target_archE4294967295ELNS1_3gpuE0ELNS1_3repE0EEENS1_30default_config_static_selectorELNS0_4arch9wavefront6targetE0EEEvT1_.num_named_barrier, 0
	.set _ZN7rocprim17ROCPRIM_400000_NS6detail17trampoline_kernelINS0_14default_configENS1_25partition_config_selectorILNS1_17partition_subalgoE5EsNS0_10empty_typeEbEEZZNS1_14partition_implILS5_5ELb0ES3_mN6thrust23THRUST_200600_302600_NS6detail15normal_iteratorINSA_10device_ptrIsEEEEPS6_NSA_18transform_iteratorINSB_9not_fun_tI7is_trueIsEEESF_NSA_11use_defaultESM_EENS0_5tupleIJSF_S6_EEENSO_IJSG_SG_EEES6_PlJS6_EEE10hipError_tPvRmT3_T4_T5_T6_T7_T9_mT8_P12ihipStream_tbDpT10_ENKUlT_T0_E_clISt17integral_constantIbLb1EES1A_IbLb0EEEEDaS16_S17_EUlS16_E_NS1_11comp_targetILNS1_3genE0ELNS1_11target_archE4294967295ELNS1_3gpuE0ELNS1_3repE0EEENS1_30default_config_static_selectorELNS0_4arch9wavefront6targetE0EEEvT1_.private_seg_size, 0
	.set _ZN7rocprim17ROCPRIM_400000_NS6detail17trampoline_kernelINS0_14default_configENS1_25partition_config_selectorILNS1_17partition_subalgoE5EsNS0_10empty_typeEbEEZZNS1_14partition_implILS5_5ELb0ES3_mN6thrust23THRUST_200600_302600_NS6detail15normal_iteratorINSA_10device_ptrIsEEEEPS6_NSA_18transform_iteratorINSB_9not_fun_tI7is_trueIsEEESF_NSA_11use_defaultESM_EENS0_5tupleIJSF_S6_EEENSO_IJSG_SG_EEES6_PlJS6_EEE10hipError_tPvRmT3_T4_T5_T6_T7_T9_mT8_P12ihipStream_tbDpT10_ENKUlT_T0_E_clISt17integral_constantIbLb1EES1A_IbLb0EEEEDaS16_S17_EUlS16_E_NS1_11comp_targetILNS1_3genE0ELNS1_11target_archE4294967295ELNS1_3gpuE0ELNS1_3repE0EEENS1_30default_config_static_selectorELNS0_4arch9wavefront6targetE0EEEvT1_.uses_vcc, 0
	.set _ZN7rocprim17ROCPRIM_400000_NS6detail17trampoline_kernelINS0_14default_configENS1_25partition_config_selectorILNS1_17partition_subalgoE5EsNS0_10empty_typeEbEEZZNS1_14partition_implILS5_5ELb0ES3_mN6thrust23THRUST_200600_302600_NS6detail15normal_iteratorINSA_10device_ptrIsEEEEPS6_NSA_18transform_iteratorINSB_9not_fun_tI7is_trueIsEEESF_NSA_11use_defaultESM_EENS0_5tupleIJSF_S6_EEENSO_IJSG_SG_EEES6_PlJS6_EEE10hipError_tPvRmT3_T4_T5_T6_T7_T9_mT8_P12ihipStream_tbDpT10_ENKUlT_T0_E_clISt17integral_constantIbLb1EES1A_IbLb0EEEEDaS16_S17_EUlS16_E_NS1_11comp_targetILNS1_3genE0ELNS1_11target_archE4294967295ELNS1_3gpuE0ELNS1_3repE0EEENS1_30default_config_static_selectorELNS0_4arch9wavefront6targetE0EEEvT1_.uses_flat_scratch, 0
	.set _ZN7rocprim17ROCPRIM_400000_NS6detail17trampoline_kernelINS0_14default_configENS1_25partition_config_selectorILNS1_17partition_subalgoE5EsNS0_10empty_typeEbEEZZNS1_14partition_implILS5_5ELb0ES3_mN6thrust23THRUST_200600_302600_NS6detail15normal_iteratorINSA_10device_ptrIsEEEEPS6_NSA_18transform_iteratorINSB_9not_fun_tI7is_trueIsEEESF_NSA_11use_defaultESM_EENS0_5tupleIJSF_S6_EEENSO_IJSG_SG_EEES6_PlJS6_EEE10hipError_tPvRmT3_T4_T5_T6_T7_T9_mT8_P12ihipStream_tbDpT10_ENKUlT_T0_E_clISt17integral_constantIbLb1EES1A_IbLb0EEEEDaS16_S17_EUlS16_E_NS1_11comp_targetILNS1_3genE0ELNS1_11target_archE4294967295ELNS1_3gpuE0ELNS1_3repE0EEENS1_30default_config_static_selectorELNS0_4arch9wavefront6targetE0EEEvT1_.has_dyn_sized_stack, 0
	.set _ZN7rocprim17ROCPRIM_400000_NS6detail17trampoline_kernelINS0_14default_configENS1_25partition_config_selectorILNS1_17partition_subalgoE5EsNS0_10empty_typeEbEEZZNS1_14partition_implILS5_5ELb0ES3_mN6thrust23THRUST_200600_302600_NS6detail15normal_iteratorINSA_10device_ptrIsEEEEPS6_NSA_18transform_iteratorINSB_9not_fun_tI7is_trueIsEEESF_NSA_11use_defaultESM_EENS0_5tupleIJSF_S6_EEENSO_IJSG_SG_EEES6_PlJS6_EEE10hipError_tPvRmT3_T4_T5_T6_T7_T9_mT8_P12ihipStream_tbDpT10_ENKUlT_T0_E_clISt17integral_constantIbLb1EES1A_IbLb0EEEEDaS16_S17_EUlS16_E_NS1_11comp_targetILNS1_3genE0ELNS1_11target_archE4294967295ELNS1_3gpuE0ELNS1_3repE0EEENS1_30default_config_static_selectorELNS0_4arch9wavefront6targetE0EEEvT1_.has_recursion, 0
	.set _ZN7rocprim17ROCPRIM_400000_NS6detail17trampoline_kernelINS0_14default_configENS1_25partition_config_selectorILNS1_17partition_subalgoE5EsNS0_10empty_typeEbEEZZNS1_14partition_implILS5_5ELb0ES3_mN6thrust23THRUST_200600_302600_NS6detail15normal_iteratorINSA_10device_ptrIsEEEEPS6_NSA_18transform_iteratorINSB_9not_fun_tI7is_trueIsEEESF_NSA_11use_defaultESM_EENS0_5tupleIJSF_S6_EEENSO_IJSG_SG_EEES6_PlJS6_EEE10hipError_tPvRmT3_T4_T5_T6_T7_T9_mT8_P12ihipStream_tbDpT10_ENKUlT_T0_E_clISt17integral_constantIbLb1EES1A_IbLb0EEEEDaS16_S17_EUlS16_E_NS1_11comp_targetILNS1_3genE0ELNS1_11target_archE4294967295ELNS1_3gpuE0ELNS1_3repE0EEENS1_30default_config_static_selectorELNS0_4arch9wavefront6targetE0EEEvT1_.has_indirect_call, 0
	.section	.AMDGPU.csdata,"",@progbits
; Kernel info:
; codeLenInByte = 0
; TotalNumSgprs: 0
; NumVgprs: 0
; ScratchSize: 0
; MemoryBound: 0
; FloatMode: 240
; IeeeMode: 1
; LDSByteSize: 0 bytes/workgroup (compile time only)
; SGPRBlocks: 0
; VGPRBlocks: 0
; NumSGPRsForWavesPerEU: 1
; NumVGPRsForWavesPerEU: 1
; Occupancy: 16
; WaveLimiterHint : 0
; COMPUTE_PGM_RSRC2:SCRATCH_EN: 0
; COMPUTE_PGM_RSRC2:USER_SGPR: 2
; COMPUTE_PGM_RSRC2:TRAP_HANDLER: 0
; COMPUTE_PGM_RSRC2:TGID_X_EN: 1
; COMPUTE_PGM_RSRC2:TGID_Y_EN: 0
; COMPUTE_PGM_RSRC2:TGID_Z_EN: 0
; COMPUTE_PGM_RSRC2:TIDIG_COMP_CNT: 0
	.section	.text._ZN7rocprim17ROCPRIM_400000_NS6detail17trampoline_kernelINS0_14default_configENS1_25partition_config_selectorILNS1_17partition_subalgoE5EsNS0_10empty_typeEbEEZZNS1_14partition_implILS5_5ELb0ES3_mN6thrust23THRUST_200600_302600_NS6detail15normal_iteratorINSA_10device_ptrIsEEEEPS6_NSA_18transform_iteratorINSB_9not_fun_tI7is_trueIsEEESF_NSA_11use_defaultESM_EENS0_5tupleIJSF_S6_EEENSO_IJSG_SG_EEES6_PlJS6_EEE10hipError_tPvRmT3_T4_T5_T6_T7_T9_mT8_P12ihipStream_tbDpT10_ENKUlT_T0_E_clISt17integral_constantIbLb1EES1A_IbLb0EEEEDaS16_S17_EUlS16_E_NS1_11comp_targetILNS1_3genE5ELNS1_11target_archE942ELNS1_3gpuE9ELNS1_3repE0EEENS1_30default_config_static_selectorELNS0_4arch9wavefront6targetE0EEEvT1_,"axG",@progbits,_ZN7rocprim17ROCPRIM_400000_NS6detail17trampoline_kernelINS0_14default_configENS1_25partition_config_selectorILNS1_17partition_subalgoE5EsNS0_10empty_typeEbEEZZNS1_14partition_implILS5_5ELb0ES3_mN6thrust23THRUST_200600_302600_NS6detail15normal_iteratorINSA_10device_ptrIsEEEEPS6_NSA_18transform_iteratorINSB_9not_fun_tI7is_trueIsEEESF_NSA_11use_defaultESM_EENS0_5tupleIJSF_S6_EEENSO_IJSG_SG_EEES6_PlJS6_EEE10hipError_tPvRmT3_T4_T5_T6_T7_T9_mT8_P12ihipStream_tbDpT10_ENKUlT_T0_E_clISt17integral_constantIbLb1EES1A_IbLb0EEEEDaS16_S17_EUlS16_E_NS1_11comp_targetILNS1_3genE5ELNS1_11target_archE942ELNS1_3gpuE9ELNS1_3repE0EEENS1_30default_config_static_selectorELNS0_4arch9wavefront6targetE0EEEvT1_,comdat
	.protected	_ZN7rocprim17ROCPRIM_400000_NS6detail17trampoline_kernelINS0_14default_configENS1_25partition_config_selectorILNS1_17partition_subalgoE5EsNS0_10empty_typeEbEEZZNS1_14partition_implILS5_5ELb0ES3_mN6thrust23THRUST_200600_302600_NS6detail15normal_iteratorINSA_10device_ptrIsEEEEPS6_NSA_18transform_iteratorINSB_9not_fun_tI7is_trueIsEEESF_NSA_11use_defaultESM_EENS0_5tupleIJSF_S6_EEENSO_IJSG_SG_EEES6_PlJS6_EEE10hipError_tPvRmT3_T4_T5_T6_T7_T9_mT8_P12ihipStream_tbDpT10_ENKUlT_T0_E_clISt17integral_constantIbLb1EES1A_IbLb0EEEEDaS16_S17_EUlS16_E_NS1_11comp_targetILNS1_3genE5ELNS1_11target_archE942ELNS1_3gpuE9ELNS1_3repE0EEENS1_30default_config_static_selectorELNS0_4arch9wavefront6targetE0EEEvT1_ ; -- Begin function _ZN7rocprim17ROCPRIM_400000_NS6detail17trampoline_kernelINS0_14default_configENS1_25partition_config_selectorILNS1_17partition_subalgoE5EsNS0_10empty_typeEbEEZZNS1_14partition_implILS5_5ELb0ES3_mN6thrust23THRUST_200600_302600_NS6detail15normal_iteratorINSA_10device_ptrIsEEEEPS6_NSA_18transform_iteratorINSB_9not_fun_tI7is_trueIsEEESF_NSA_11use_defaultESM_EENS0_5tupleIJSF_S6_EEENSO_IJSG_SG_EEES6_PlJS6_EEE10hipError_tPvRmT3_T4_T5_T6_T7_T9_mT8_P12ihipStream_tbDpT10_ENKUlT_T0_E_clISt17integral_constantIbLb1EES1A_IbLb0EEEEDaS16_S17_EUlS16_E_NS1_11comp_targetILNS1_3genE5ELNS1_11target_archE942ELNS1_3gpuE9ELNS1_3repE0EEENS1_30default_config_static_selectorELNS0_4arch9wavefront6targetE0EEEvT1_
	.globl	_ZN7rocprim17ROCPRIM_400000_NS6detail17trampoline_kernelINS0_14default_configENS1_25partition_config_selectorILNS1_17partition_subalgoE5EsNS0_10empty_typeEbEEZZNS1_14partition_implILS5_5ELb0ES3_mN6thrust23THRUST_200600_302600_NS6detail15normal_iteratorINSA_10device_ptrIsEEEEPS6_NSA_18transform_iteratorINSB_9not_fun_tI7is_trueIsEEESF_NSA_11use_defaultESM_EENS0_5tupleIJSF_S6_EEENSO_IJSG_SG_EEES6_PlJS6_EEE10hipError_tPvRmT3_T4_T5_T6_T7_T9_mT8_P12ihipStream_tbDpT10_ENKUlT_T0_E_clISt17integral_constantIbLb1EES1A_IbLb0EEEEDaS16_S17_EUlS16_E_NS1_11comp_targetILNS1_3genE5ELNS1_11target_archE942ELNS1_3gpuE9ELNS1_3repE0EEENS1_30default_config_static_selectorELNS0_4arch9wavefront6targetE0EEEvT1_
	.p2align	8
	.type	_ZN7rocprim17ROCPRIM_400000_NS6detail17trampoline_kernelINS0_14default_configENS1_25partition_config_selectorILNS1_17partition_subalgoE5EsNS0_10empty_typeEbEEZZNS1_14partition_implILS5_5ELb0ES3_mN6thrust23THRUST_200600_302600_NS6detail15normal_iteratorINSA_10device_ptrIsEEEEPS6_NSA_18transform_iteratorINSB_9not_fun_tI7is_trueIsEEESF_NSA_11use_defaultESM_EENS0_5tupleIJSF_S6_EEENSO_IJSG_SG_EEES6_PlJS6_EEE10hipError_tPvRmT3_T4_T5_T6_T7_T9_mT8_P12ihipStream_tbDpT10_ENKUlT_T0_E_clISt17integral_constantIbLb1EES1A_IbLb0EEEEDaS16_S17_EUlS16_E_NS1_11comp_targetILNS1_3genE5ELNS1_11target_archE942ELNS1_3gpuE9ELNS1_3repE0EEENS1_30default_config_static_selectorELNS0_4arch9wavefront6targetE0EEEvT1_,@function
_ZN7rocprim17ROCPRIM_400000_NS6detail17trampoline_kernelINS0_14default_configENS1_25partition_config_selectorILNS1_17partition_subalgoE5EsNS0_10empty_typeEbEEZZNS1_14partition_implILS5_5ELb0ES3_mN6thrust23THRUST_200600_302600_NS6detail15normal_iteratorINSA_10device_ptrIsEEEEPS6_NSA_18transform_iteratorINSB_9not_fun_tI7is_trueIsEEESF_NSA_11use_defaultESM_EENS0_5tupleIJSF_S6_EEENSO_IJSG_SG_EEES6_PlJS6_EEE10hipError_tPvRmT3_T4_T5_T6_T7_T9_mT8_P12ihipStream_tbDpT10_ENKUlT_T0_E_clISt17integral_constantIbLb1EES1A_IbLb0EEEEDaS16_S17_EUlS16_E_NS1_11comp_targetILNS1_3genE5ELNS1_11target_archE942ELNS1_3gpuE9ELNS1_3repE0EEENS1_30default_config_static_selectorELNS0_4arch9wavefront6targetE0EEEvT1_: ; @_ZN7rocprim17ROCPRIM_400000_NS6detail17trampoline_kernelINS0_14default_configENS1_25partition_config_selectorILNS1_17partition_subalgoE5EsNS0_10empty_typeEbEEZZNS1_14partition_implILS5_5ELb0ES3_mN6thrust23THRUST_200600_302600_NS6detail15normal_iteratorINSA_10device_ptrIsEEEEPS6_NSA_18transform_iteratorINSB_9not_fun_tI7is_trueIsEEESF_NSA_11use_defaultESM_EENS0_5tupleIJSF_S6_EEENSO_IJSG_SG_EEES6_PlJS6_EEE10hipError_tPvRmT3_T4_T5_T6_T7_T9_mT8_P12ihipStream_tbDpT10_ENKUlT_T0_E_clISt17integral_constantIbLb1EES1A_IbLb0EEEEDaS16_S17_EUlS16_E_NS1_11comp_targetILNS1_3genE5ELNS1_11target_archE942ELNS1_3gpuE9ELNS1_3repE0EEENS1_30default_config_static_selectorELNS0_4arch9wavefront6targetE0EEEvT1_
; %bb.0:
	.section	.rodata,"a",@progbits
	.p2align	6, 0x0
	.amdhsa_kernel _ZN7rocprim17ROCPRIM_400000_NS6detail17trampoline_kernelINS0_14default_configENS1_25partition_config_selectorILNS1_17partition_subalgoE5EsNS0_10empty_typeEbEEZZNS1_14partition_implILS5_5ELb0ES3_mN6thrust23THRUST_200600_302600_NS6detail15normal_iteratorINSA_10device_ptrIsEEEEPS6_NSA_18transform_iteratorINSB_9not_fun_tI7is_trueIsEEESF_NSA_11use_defaultESM_EENS0_5tupleIJSF_S6_EEENSO_IJSG_SG_EEES6_PlJS6_EEE10hipError_tPvRmT3_T4_T5_T6_T7_T9_mT8_P12ihipStream_tbDpT10_ENKUlT_T0_E_clISt17integral_constantIbLb1EES1A_IbLb0EEEEDaS16_S17_EUlS16_E_NS1_11comp_targetILNS1_3genE5ELNS1_11target_archE942ELNS1_3gpuE9ELNS1_3repE0EEENS1_30default_config_static_selectorELNS0_4arch9wavefront6targetE0EEEvT1_
		.amdhsa_group_segment_fixed_size 0
		.amdhsa_private_segment_fixed_size 0
		.amdhsa_kernarg_size 120
		.amdhsa_user_sgpr_count 2
		.amdhsa_user_sgpr_dispatch_ptr 0
		.amdhsa_user_sgpr_queue_ptr 0
		.amdhsa_user_sgpr_kernarg_segment_ptr 1
		.amdhsa_user_sgpr_dispatch_id 0
		.amdhsa_user_sgpr_private_segment_size 0
		.amdhsa_wavefront_size32 1
		.amdhsa_uses_dynamic_stack 0
		.amdhsa_enable_private_segment 0
		.amdhsa_system_sgpr_workgroup_id_x 1
		.amdhsa_system_sgpr_workgroup_id_y 0
		.amdhsa_system_sgpr_workgroup_id_z 0
		.amdhsa_system_sgpr_workgroup_info 0
		.amdhsa_system_vgpr_workitem_id 0
		.amdhsa_next_free_vgpr 1
		.amdhsa_next_free_sgpr 1
		.amdhsa_reserve_vcc 0
		.amdhsa_float_round_mode_32 0
		.amdhsa_float_round_mode_16_64 0
		.amdhsa_float_denorm_mode_32 3
		.amdhsa_float_denorm_mode_16_64 3
		.amdhsa_fp16_overflow 0
		.amdhsa_workgroup_processor_mode 1
		.amdhsa_memory_ordered 1
		.amdhsa_forward_progress 1
		.amdhsa_inst_pref_size 0
		.amdhsa_round_robin_scheduling 0
		.amdhsa_exception_fp_ieee_invalid_op 0
		.amdhsa_exception_fp_denorm_src 0
		.amdhsa_exception_fp_ieee_div_zero 0
		.amdhsa_exception_fp_ieee_overflow 0
		.amdhsa_exception_fp_ieee_underflow 0
		.amdhsa_exception_fp_ieee_inexact 0
		.amdhsa_exception_int_div_zero 0
	.end_amdhsa_kernel
	.section	.text._ZN7rocprim17ROCPRIM_400000_NS6detail17trampoline_kernelINS0_14default_configENS1_25partition_config_selectorILNS1_17partition_subalgoE5EsNS0_10empty_typeEbEEZZNS1_14partition_implILS5_5ELb0ES3_mN6thrust23THRUST_200600_302600_NS6detail15normal_iteratorINSA_10device_ptrIsEEEEPS6_NSA_18transform_iteratorINSB_9not_fun_tI7is_trueIsEEESF_NSA_11use_defaultESM_EENS0_5tupleIJSF_S6_EEENSO_IJSG_SG_EEES6_PlJS6_EEE10hipError_tPvRmT3_T4_T5_T6_T7_T9_mT8_P12ihipStream_tbDpT10_ENKUlT_T0_E_clISt17integral_constantIbLb1EES1A_IbLb0EEEEDaS16_S17_EUlS16_E_NS1_11comp_targetILNS1_3genE5ELNS1_11target_archE942ELNS1_3gpuE9ELNS1_3repE0EEENS1_30default_config_static_selectorELNS0_4arch9wavefront6targetE0EEEvT1_,"axG",@progbits,_ZN7rocprim17ROCPRIM_400000_NS6detail17trampoline_kernelINS0_14default_configENS1_25partition_config_selectorILNS1_17partition_subalgoE5EsNS0_10empty_typeEbEEZZNS1_14partition_implILS5_5ELb0ES3_mN6thrust23THRUST_200600_302600_NS6detail15normal_iteratorINSA_10device_ptrIsEEEEPS6_NSA_18transform_iteratorINSB_9not_fun_tI7is_trueIsEEESF_NSA_11use_defaultESM_EENS0_5tupleIJSF_S6_EEENSO_IJSG_SG_EEES6_PlJS6_EEE10hipError_tPvRmT3_T4_T5_T6_T7_T9_mT8_P12ihipStream_tbDpT10_ENKUlT_T0_E_clISt17integral_constantIbLb1EES1A_IbLb0EEEEDaS16_S17_EUlS16_E_NS1_11comp_targetILNS1_3genE5ELNS1_11target_archE942ELNS1_3gpuE9ELNS1_3repE0EEENS1_30default_config_static_selectorELNS0_4arch9wavefront6targetE0EEEvT1_,comdat
.Lfunc_end1550:
	.size	_ZN7rocprim17ROCPRIM_400000_NS6detail17trampoline_kernelINS0_14default_configENS1_25partition_config_selectorILNS1_17partition_subalgoE5EsNS0_10empty_typeEbEEZZNS1_14partition_implILS5_5ELb0ES3_mN6thrust23THRUST_200600_302600_NS6detail15normal_iteratorINSA_10device_ptrIsEEEEPS6_NSA_18transform_iteratorINSB_9not_fun_tI7is_trueIsEEESF_NSA_11use_defaultESM_EENS0_5tupleIJSF_S6_EEENSO_IJSG_SG_EEES6_PlJS6_EEE10hipError_tPvRmT3_T4_T5_T6_T7_T9_mT8_P12ihipStream_tbDpT10_ENKUlT_T0_E_clISt17integral_constantIbLb1EES1A_IbLb0EEEEDaS16_S17_EUlS16_E_NS1_11comp_targetILNS1_3genE5ELNS1_11target_archE942ELNS1_3gpuE9ELNS1_3repE0EEENS1_30default_config_static_selectorELNS0_4arch9wavefront6targetE0EEEvT1_, .Lfunc_end1550-_ZN7rocprim17ROCPRIM_400000_NS6detail17trampoline_kernelINS0_14default_configENS1_25partition_config_selectorILNS1_17partition_subalgoE5EsNS0_10empty_typeEbEEZZNS1_14partition_implILS5_5ELb0ES3_mN6thrust23THRUST_200600_302600_NS6detail15normal_iteratorINSA_10device_ptrIsEEEEPS6_NSA_18transform_iteratorINSB_9not_fun_tI7is_trueIsEEESF_NSA_11use_defaultESM_EENS0_5tupleIJSF_S6_EEENSO_IJSG_SG_EEES6_PlJS6_EEE10hipError_tPvRmT3_T4_T5_T6_T7_T9_mT8_P12ihipStream_tbDpT10_ENKUlT_T0_E_clISt17integral_constantIbLb1EES1A_IbLb0EEEEDaS16_S17_EUlS16_E_NS1_11comp_targetILNS1_3genE5ELNS1_11target_archE942ELNS1_3gpuE9ELNS1_3repE0EEENS1_30default_config_static_selectorELNS0_4arch9wavefront6targetE0EEEvT1_
                                        ; -- End function
	.set _ZN7rocprim17ROCPRIM_400000_NS6detail17trampoline_kernelINS0_14default_configENS1_25partition_config_selectorILNS1_17partition_subalgoE5EsNS0_10empty_typeEbEEZZNS1_14partition_implILS5_5ELb0ES3_mN6thrust23THRUST_200600_302600_NS6detail15normal_iteratorINSA_10device_ptrIsEEEEPS6_NSA_18transform_iteratorINSB_9not_fun_tI7is_trueIsEEESF_NSA_11use_defaultESM_EENS0_5tupleIJSF_S6_EEENSO_IJSG_SG_EEES6_PlJS6_EEE10hipError_tPvRmT3_T4_T5_T6_T7_T9_mT8_P12ihipStream_tbDpT10_ENKUlT_T0_E_clISt17integral_constantIbLb1EES1A_IbLb0EEEEDaS16_S17_EUlS16_E_NS1_11comp_targetILNS1_3genE5ELNS1_11target_archE942ELNS1_3gpuE9ELNS1_3repE0EEENS1_30default_config_static_selectorELNS0_4arch9wavefront6targetE0EEEvT1_.num_vgpr, 0
	.set _ZN7rocprim17ROCPRIM_400000_NS6detail17trampoline_kernelINS0_14default_configENS1_25partition_config_selectorILNS1_17partition_subalgoE5EsNS0_10empty_typeEbEEZZNS1_14partition_implILS5_5ELb0ES3_mN6thrust23THRUST_200600_302600_NS6detail15normal_iteratorINSA_10device_ptrIsEEEEPS6_NSA_18transform_iteratorINSB_9not_fun_tI7is_trueIsEEESF_NSA_11use_defaultESM_EENS0_5tupleIJSF_S6_EEENSO_IJSG_SG_EEES6_PlJS6_EEE10hipError_tPvRmT3_T4_T5_T6_T7_T9_mT8_P12ihipStream_tbDpT10_ENKUlT_T0_E_clISt17integral_constantIbLb1EES1A_IbLb0EEEEDaS16_S17_EUlS16_E_NS1_11comp_targetILNS1_3genE5ELNS1_11target_archE942ELNS1_3gpuE9ELNS1_3repE0EEENS1_30default_config_static_selectorELNS0_4arch9wavefront6targetE0EEEvT1_.num_agpr, 0
	.set _ZN7rocprim17ROCPRIM_400000_NS6detail17trampoline_kernelINS0_14default_configENS1_25partition_config_selectorILNS1_17partition_subalgoE5EsNS0_10empty_typeEbEEZZNS1_14partition_implILS5_5ELb0ES3_mN6thrust23THRUST_200600_302600_NS6detail15normal_iteratorINSA_10device_ptrIsEEEEPS6_NSA_18transform_iteratorINSB_9not_fun_tI7is_trueIsEEESF_NSA_11use_defaultESM_EENS0_5tupleIJSF_S6_EEENSO_IJSG_SG_EEES6_PlJS6_EEE10hipError_tPvRmT3_T4_T5_T6_T7_T9_mT8_P12ihipStream_tbDpT10_ENKUlT_T0_E_clISt17integral_constantIbLb1EES1A_IbLb0EEEEDaS16_S17_EUlS16_E_NS1_11comp_targetILNS1_3genE5ELNS1_11target_archE942ELNS1_3gpuE9ELNS1_3repE0EEENS1_30default_config_static_selectorELNS0_4arch9wavefront6targetE0EEEvT1_.numbered_sgpr, 0
	.set _ZN7rocprim17ROCPRIM_400000_NS6detail17trampoline_kernelINS0_14default_configENS1_25partition_config_selectorILNS1_17partition_subalgoE5EsNS0_10empty_typeEbEEZZNS1_14partition_implILS5_5ELb0ES3_mN6thrust23THRUST_200600_302600_NS6detail15normal_iteratorINSA_10device_ptrIsEEEEPS6_NSA_18transform_iteratorINSB_9not_fun_tI7is_trueIsEEESF_NSA_11use_defaultESM_EENS0_5tupleIJSF_S6_EEENSO_IJSG_SG_EEES6_PlJS6_EEE10hipError_tPvRmT3_T4_T5_T6_T7_T9_mT8_P12ihipStream_tbDpT10_ENKUlT_T0_E_clISt17integral_constantIbLb1EES1A_IbLb0EEEEDaS16_S17_EUlS16_E_NS1_11comp_targetILNS1_3genE5ELNS1_11target_archE942ELNS1_3gpuE9ELNS1_3repE0EEENS1_30default_config_static_selectorELNS0_4arch9wavefront6targetE0EEEvT1_.num_named_barrier, 0
	.set _ZN7rocprim17ROCPRIM_400000_NS6detail17trampoline_kernelINS0_14default_configENS1_25partition_config_selectorILNS1_17partition_subalgoE5EsNS0_10empty_typeEbEEZZNS1_14partition_implILS5_5ELb0ES3_mN6thrust23THRUST_200600_302600_NS6detail15normal_iteratorINSA_10device_ptrIsEEEEPS6_NSA_18transform_iteratorINSB_9not_fun_tI7is_trueIsEEESF_NSA_11use_defaultESM_EENS0_5tupleIJSF_S6_EEENSO_IJSG_SG_EEES6_PlJS6_EEE10hipError_tPvRmT3_T4_T5_T6_T7_T9_mT8_P12ihipStream_tbDpT10_ENKUlT_T0_E_clISt17integral_constantIbLb1EES1A_IbLb0EEEEDaS16_S17_EUlS16_E_NS1_11comp_targetILNS1_3genE5ELNS1_11target_archE942ELNS1_3gpuE9ELNS1_3repE0EEENS1_30default_config_static_selectorELNS0_4arch9wavefront6targetE0EEEvT1_.private_seg_size, 0
	.set _ZN7rocprim17ROCPRIM_400000_NS6detail17trampoline_kernelINS0_14default_configENS1_25partition_config_selectorILNS1_17partition_subalgoE5EsNS0_10empty_typeEbEEZZNS1_14partition_implILS5_5ELb0ES3_mN6thrust23THRUST_200600_302600_NS6detail15normal_iteratorINSA_10device_ptrIsEEEEPS6_NSA_18transform_iteratorINSB_9not_fun_tI7is_trueIsEEESF_NSA_11use_defaultESM_EENS0_5tupleIJSF_S6_EEENSO_IJSG_SG_EEES6_PlJS6_EEE10hipError_tPvRmT3_T4_T5_T6_T7_T9_mT8_P12ihipStream_tbDpT10_ENKUlT_T0_E_clISt17integral_constantIbLb1EES1A_IbLb0EEEEDaS16_S17_EUlS16_E_NS1_11comp_targetILNS1_3genE5ELNS1_11target_archE942ELNS1_3gpuE9ELNS1_3repE0EEENS1_30default_config_static_selectorELNS0_4arch9wavefront6targetE0EEEvT1_.uses_vcc, 0
	.set _ZN7rocprim17ROCPRIM_400000_NS6detail17trampoline_kernelINS0_14default_configENS1_25partition_config_selectorILNS1_17partition_subalgoE5EsNS0_10empty_typeEbEEZZNS1_14partition_implILS5_5ELb0ES3_mN6thrust23THRUST_200600_302600_NS6detail15normal_iteratorINSA_10device_ptrIsEEEEPS6_NSA_18transform_iteratorINSB_9not_fun_tI7is_trueIsEEESF_NSA_11use_defaultESM_EENS0_5tupleIJSF_S6_EEENSO_IJSG_SG_EEES6_PlJS6_EEE10hipError_tPvRmT3_T4_T5_T6_T7_T9_mT8_P12ihipStream_tbDpT10_ENKUlT_T0_E_clISt17integral_constantIbLb1EES1A_IbLb0EEEEDaS16_S17_EUlS16_E_NS1_11comp_targetILNS1_3genE5ELNS1_11target_archE942ELNS1_3gpuE9ELNS1_3repE0EEENS1_30default_config_static_selectorELNS0_4arch9wavefront6targetE0EEEvT1_.uses_flat_scratch, 0
	.set _ZN7rocprim17ROCPRIM_400000_NS6detail17trampoline_kernelINS0_14default_configENS1_25partition_config_selectorILNS1_17partition_subalgoE5EsNS0_10empty_typeEbEEZZNS1_14partition_implILS5_5ELb0ES3_mN6thrust23THRUST_200600_302600_NS6detail15normal_iteratorINSA_10device_ptrIsEEEEPS6_NSA_18transform_iteratorINSB_9not_fun_tI7is_trueIsEEESF_NSA_11use_defaultESM_EENS0_5tupleIJSF_S6_EEENSO_IJSG_SG_EEES6_PlJS6_EEE10hipError_tPvRmT3_T4_T5_T6_T7_T9_mT8_P12ihipStream_tbDpT10_ENKUlT_T0_E_clISt17integral_constantIbLb1EES1A_IbLb0EEEEDaS16_S17_EUlS16_E_NS1_11comp_targetILNS1_3genE5ELNS1_11target_archE942ELNS1_3gpuE9ELNS1_3repE0EEENS1_30default_config_static_selectorELNS0_4arch9wavefront6targetE0EEEvT1_.has_dyn_sized_stack, 0
	.set _ZN7rocprim17ROCPRIM_400000_NS6detail17trampoline_kernelINS0_14default_configENS1_25partition_config_selectorILNS1_17partition_subalgoE5EsNS0_10empty_typeEbEEZZNS1_14partition_implILS5_5ELb0ES3_mN6thrust23THRUST_200600_302600_NS6detail15normal_iteratorINSA_10device_ptrIsEEEEPS6_NSA_18transform_iteratorINSB_9not_fun_tI7is_trueIsEEESF_NSA_11use_defaultESM_EENS0_5tupleIJSF_S6_EEENSO_IJSG_SG_EEES6_PlJS6_EEE10hipError_tPvRmT3_T4_T5_T6_T7_T9_mT8_P12ihipStream_tbDpT10_ENKUlT_T0_E_clISt17integral_constantIbLb1EES1A_IbLb0EEEEDaS16_S17_EUlS16_E_NS1_11comp_targetILNS1_3genE5ELNS1_11target_archE942ELNS1_3gpuE9ELNS1_3repE0EEENS1_30default_config_static_selectorELNS0_4arch9wavefront6targetE0EEEvT1_.has_recursion, 0
	.set _ZN7rocprim17ROCPRIM_400000_NS6detail17trampoline_kernelINS0_14default_configENS1_25partition_config_selectorILNS1_17partition_subalgoE5EsNS0_10empty_typeEbEEZZNS1_14partition_implILS5_5ELb0ES3_mN6thrust23THRUST_200600_302600_NS6detail15normal_iteratorINSA_10device_ptrIsEEEEPS6_NSA_18transform_iteratorINSB_9not_fun_tI7is_trueIsEEESF_NSA_11use_defaultESM_EENS0_5tupleIJSF_S6_EEENSO_IJSG_SG_EEES6_PlJS6_EEE10hipError_tPvRmT3_T4_T5_T6_T7_T9_mT8_P12ihipStream_tbDpT10_ENKUlT_T0_E_clISt17integral_constantIbLb1EES1A_IbLb0EEEEDaS16_S17_EUlS16_E_NS1_11comp_targetILNS1_3genE5ELNS1_11target_archE942ELNS1_3gpuE9ELNS1_3repE0EEENS1_30default_config_static_selectorELNS0_4arch9wavefront6targetE0EEEvT1_.has_indirect_call, 0
	.section	.AMDGPU.csdata,"",@progbits
; Kernel info:
; codeLenInByte = 0
; TotalNumSgprs: 0
; NumVgprs: 0
; ScratchSize: 0
; MemoryBound: 0
; FloatMode: 240
; IeeeMode: 1
; LDSByteSize: 0 bytes/workgroup (compile time only)
; SGPRBlocks: 0
; VGPRBlocks: 0
; NumSGPRsForWavesPerEU: 1
; NumVGPRsForWavesPerEU: 1
; Occupancy: 16
; WaveLimiterHint : 0
; COMPUTE_PGM_RSRC2:SCRATCH_EN: 0
; COMPUTE_PGM_RSRC2:USER_SGPR: 2
; COMPUTE_PGM_RSRC2:TRAP_HANDLER: 0
; COMPUTE_PGM_RSRC2:TGID_X_EN: 1
; COMPUTE_PGM_RSRC2:TGID_Y_EN: 0
; COMPUTE_PGM_RSRC2:TGID_Z_EN: 0
; COMPUTE_PGM_RSRC2:TIDIG_COMP_CNT: 0
	.section	.text._ZN7rocprim17ROCPRIM_400000_NS6detail17trampoline_kernelINS0_14default_configENS1_25partition_config_selectorILNS1_17partition_subalgoE5EsNS0_10empty_typeEbEEZZNS1_14partition_implILS5_5ELb0ES3_mN6thrust23THRUST_200600_302600_NS6detail15normal_iteratorINSA_10device_ptrIsEEEEPS6_NSA_18transform_iteratorINSB_9not_fun_tI7is_trueIsEEESF_NSA_11use_defaultESM_EENS0_5tupleIJSF_S6_EEENSO_IJSG_SG_EEES6_PlJS6_EEE10hipError_tPvRmT3_T4_T5_T6_T7_T9_mT8_P12ihipStream_tbDpT10_ENKUlT_T0_E_clISt17integral_constantIbLb1EES1A_IbLb0EEEEDaS16_S17_EUlS16_E_NS1_11comp_targetILNS1_3genE4ELNS1_11target_archE910ELNS1_3gpuE8ELNS1_3repE0EEENS1_30default_config_static_selectorELNS0_4arch9wavefront6targetE0EEEvT1_,"axG",@progbits,_ZN7rocprim17ROCPRIM_400000_NS6detail17trampoline_kernelINS0_14default_configENS1_25partition_config_selectorILNS1_17partition_subalgoE5EsNS0_10empty_typeEbEEZZNS1_14partition_implILS5_5ELb0ES3_mN6thrust23THRUST_200600_302600_NS6detail15normal_iteratorINSA_10device_ptrIsEEEEPS6_NSA_18transform_iteratorINSB_9not_fun_tI7is_trueIsEEESF_NSA_11use_defaultESM_EENS0_5tupleIJSF_S6_EEENSO_IJSG_SG_EEES6_PlJS6_EEE10hipError_tPvRmT3_T4_T5_T6_T7_T9_mT8_P12ihipStream_tbDpT10_ENKUlT_T0_E_clISt17integral_constantIbLb1EES1A_IbLb0EEEEDaS16_S17_EUlS16_E_NS1_11comp_targetILNS1_3genE4ELNS1_11target_archE910ELNS1_3gpuE8ELNS1_3repE0EEENS1_30default_config_static_selectorELNS0_4arch9wavefront6targetE0EEEvT1_,comdat
	.protected	_ZN7rocprim17ROCPRIM_400000_NS6detail17trampoline_kernelINS0_14default_configENS1_25partition_config_selectorILNS1_17partition_subalgoE5EsNS0_10empty_typeEbEEZZNS1_14partition_implILS5_5ELb0ES3_mN6thrust23THRUST_200600_302600_NS6detail15normal_iteratorINSA_10device_ptrIsEEEEPS6_NSA_18transform_iteratorINSB_9not_fun_tI7is_trueIsEEESF_NSA_11use_defaultESM_EENS0_5tupleIJSF_S6_EEENSO_IJSG_SG_EEES6_PlJS6_EEE10hipError_tPvRmT3_T4_T5_T6_T7_T9_mT8_P12ihipStream_tbDpT10_ENKUlT_T0_E_clISt17integral_constantIbLb1EES1A_IbLb0EEEEDaS16_S17_EUlS16_E_NS1_11comp_targetILNS1_3genE4ELNS1_11target_archE910ELNS1_3gpuE8ELNS1_3repE0EEENS1_30default_config_static_selectorELNS0_4arch9wavefront6targetE0EEEvT1_ ; -- Begin function _ZN7rocprim17ROCPRIM_400000_NS6detail17trampoline_kernelINS0_14default_configENS1_25partition_config_selectorILNS1_17partition_subalgoE5EsNS0_10empty_typeEbEEZZNS1_14partition_implILS5_5ELb0ES3_mN6thrust23THRUST_200600_302600_NS6detail15normal_iteratorINSA_10device_ptrIsEEEEPS6_NSA_18transform_iteratorINSB_9not_fun_tI7is_trueIsEEESF_NSA_11use_defaultESM_EENS0_5tupleIJSF_S6_EEENSO_IJSG_SG_EEES6_PlJS6_EEE10hipError_tPvRmT3_T4_T5_T6_T7_T9_mT8_P12ihipStream_tbDpT10_ENKUlT_T0_E_clISt17integral_constantIbLb1EES1A_IbLb0EEEEDaS16_S17_EUlS16_E_NS1_11comp_targetILNS1_3genE4ELNS1_11target_archE910ELNS1_3gpuE8ELNS1_3repE0EEENS1_30default_config_static_selectorELNS0_4arch9wavefront6targetE0EEEvT1_
	.globl	_ZN7rocprim17ROCPRIM_400000_NS6detail17trampoline_kernelINS0_14default_configENS1_25partition_config_selectorILNS1_17partition_subalgoE5EsNS0_10empty_typeEbEEZZNS1_14partition_implILS5_5ELb0ES3_mN6thrust23THRUST_200600_302600_NS6detail15normal_iteratorINSA_10device_ptrIsEEEEPS6_NSA_18transform_iteratorINSB_9not_fun_tI7is_trueIsEEESF_NSA_11use_defaultESM_EENS0_5tupleIJSF_S6_EEENSO_IJSG_SG_EEES6_PlJS6_EEE10hipError_tPvRmT3_T4_T5_T6_T7_T9_mT8_P12ihipStream_tbDpT10_ENKUlT_T0_E_clISt17integral_constantIbLb1EES1A_IbLb0EEEEDaS16_S17_EUlS16_E_NS1_11comp_targetILNS1_3genE4ELNS1_11target_archE910ELNS1_3gpuE8ELNS1_3repE0EEENS1_30default_config_static_selectorELNS0_4arch9wavefront6targetE0EEEvT1_
	.p2align	8
	.type	_ZN7rocprim17ROCPRIM_400000_NS6detail17trampoline_kernelINS0_14default_configENS1_25partition_config_selectorILNS1_17partition_subalgoE5EsNS0_10empty_typeEbEEZZNS1_14partition_implILS5_5ELb0ES3_mN6thrust23THRUST_200600_302600_NS6detail15normal_iteratorINSA_10device_ptrIsEEEEPS6_NSA_18transform_iteratorINSB_9not_fun_tI7is_trueIsEEESF_NSA_11use_defaultESM_EENS0_5tupleIJSF_S6_EEENSO_IJSG_SG_EEES6_PlJS6_EEE10hipError_tPvRmT3_T4_T5_T6_T7_T9_mT8_P12ihipStream_tbDpT10_ENKUlT_T0_E_clISt17integral_constantIbLb1EES1A_IbLb0EEEEDaS16_S17_EUlS16_E_NS1_11comp_targetILNS1_3genE4ELNS1_11target_archE910ELNS1_3gpuE8ELNS1_3repE0EEENS1_30default_config_static_selectorELNS0_4arch9wavefront6targetE0EEEvT1_,@function
_ZN7rocprim17ROCPRIM_400000_NS6detail17trampoline_kernelINS0_14default_configENS1_25partition_config_selectorILNS1_17partition_subalgoE5EsNS0_10empty_typeEbEEZZNS1_14partition_implILS5_5ELb0ES3_mN6thrust23THRUST_200600_302600_NS6detail15normal_iteratorINSA_10device_ptrIsEEEEPS6_NSA_18transform_iteratorINSB_9not_fun_tI7is_trueIsEEESF_NSA_11use_defaultESM_EENS0_5tupleIJSF_S6_EEENSO_IJSG_SG_EEES6_PlJS6_EEE10hipError_tPvRmT3_T4_T5_T6_T7_T9_mT8_P12ihipStream_tbDpT10_ENKUlT_T0_E_clISt17integral_constantIbLb1EES1A_IbLb0EEEEDaS16_S17_EUlS16_E_NS1_11comp_targetILNS1_3genE4ELNS1_11target_archE910ELNS1_3gpuE8ELNS1_3repE0EEENS1_30default_config_static_selectorELNS0_4arch9wavefront6targetE0EEEvT1_: ; @_ZN7rocprim17ROCPRIM_400000_NS6detail17trampoline_kernelINS0_14default_configENS1_25partition_config_selectorILNS1_17partition_subalgoE5EsNS0_10empty_typeEbEEZZNS1_14partition_implILS5_5ELb0ES3_mN6thrust23THRUST_200600_302600_NS6detail15normal_iteratorINSA_10device_ptrIsEEEEPS6_NSA_18transform_iteratorINSB_9not_fun_tI7is_trueIsEEESF_NSA_11use_defaultESM_EENS0_5tupleIJSF_S6_EEENSO_IJSG_SG_EEES6_PlJS6_EEE10hipError_tPvRmT3_T4_T5_T6_T7_T9_mT8_P12ihipStream_tbDpT10_ENKUlT_T0_E_clISt17integral_constantIbLb1EES1A_IbLb0EEEEDaS16_S17_EUlS16_E_NS1_11comp_targetILNS1_3genE4ELNS1_11target_archE910ELNS1_3gpuE8ELNS1_3repE0EEENS1_30default_config_static_selectorELNS0_4arch9wavefront6targetE0EEEvT1_
; %bb.0:
	.section	.rodata,"a",@progbits
	.p2align	6, 0x0
	.amdhsa_kernel _ZN7rocprim17ROCPRIM_400000_NS6detail17trampoline_kernelINS0_14default_configENS1_25partition_config_selectorILNS1_17partition_subalgoE5EsNS0_10empty_typeEbEEZZNS1_14partition_implILS5_5ELb0ES3_mN6thrust23THRUST_200600_302600_NS6detail15normal_iteratorINSA_10device_ptrIsEEEEPS6_NSA_18transform_iteratorINSB_9not_fun_tI7is_trueIsEEESF_NSA_11use_defaultESM_EENS0_5tupleIJSF_S6_EEENSO_IJSG_SG_EEES6_PlJS6_EEE10hipError_tPvRmT3_T4_T5_T6_T7_T9_mT8_P12ihipStream_tbDpT10_ENKUlT_T0_E_clISt17integral_constantIbLb1EES1A_IbLb0EEEEDaS16_S17_EUlS16_E_NS1_11comp_targetILNS1_3genE4ELNS1_11target_archE910ELNS1_3gpuE8ELNS1_3repE0EEENS1_30default_config_static_selectorELNS0_4arch9wavefront6targetE0EEEvT1_
		.amdhsa_group_segment_fixed_size 0
		.amdhsa_private_segment_fixed_size 0
		.amdhsa_kernarg_size 120
		.amdhsa_user_sgpr_count 2
		.amdhsa_user_sgpr_dispatch_ptr 0
		.amdhsa_user_sgpr_queue_ptr 0
		.amdhsa_user_sgpr_kernarg_segment_ptr 1
		.amdhsa_user_sgpr_dispatch_id 0
		.amdhsa_user_sgpr_private_segment_size 0
		.amdhsa_wavefront_size32 1
		.amdhsa_uses_dynamic_stack 0
		.amdhsa_enable_private_segment 0
		.amdhsa_system_sgpr_workgroup_id_x 1
		.amdhsa_system_sgpr_workgroup_id_y 0
		.amdhsa_system_sgpr_workgroup_id_z 0
		.amdhsa_system_sgpr_workgroup_info 0
		.amdhsa_system_vgpr_workitem_id 0
		.amdhsa_next_free_vgpr 1
		.amdhsa_next_free_sgpr 1
		.amdhsa_reserve_vcc 0
		.amdhsa_float_round_mode_32 0
		.amdhsa_float_round_mode_16_64 0
		.amdhsa_float_denorm_mode_32 3
		.amdhsa_float_denorm_mode_16_64 3
		.amdhsa_fp16_overflow 0
		.amdhsa_workgroup_processor_mode 1
		.amdhsa_memory_ordered 1
		.amdhsa_forward_progress 1
		.amdhsa_inst_pref_size 0
		.amdhsa_round_robin_scheduling 0
		.amdhsa_exception_fp_ieee_invalid_op 0
		.amdhsa_exception_fp_denorm_src 0
		.amdhsa_exception_fp_ieee_div_zero 0
		.amdhsa_exception_fp_ieee_overflow 0
		.amdhsa_exception_fp_ieee_underflow 0
		.amdhsa_exception_fp_ieee_inexact 0
		.amdhsa_exception_int_div_zero 0
	.end_amdhsa_kernel
	.section	.text._ZN7rocprim17ROCPRIM_400000_NS6detail17trampoline_kernelINS0_14default_configENS1_25partition_config_selectorILNS1_17partition_subalgoE5EsNS0_10empty_typeEbEEZZNS1_14partition_implILS5_5ELb0ES3_mN6thrust23THRUST_200600_302600_NS6detail15normal_iteratorINSA_10device_ptrIsEEEEPS6_NSA_18transform_iteratorINSB_9not_fun_tI7is_trueIsEEESF_NSA_11use_defaultESM_EENS0_5tupleIJSF_S6_EEENSO_IJSG_SG_EEES6_PlJS6_EEE10hipError_tPvRmT3_T4_T5_T6_T7_T9_mT8_P12ihipStream_tbDpT10_ENKUlT_T0_E_clISt17integral_constantIbLb1EES1A_IbLb0EEEEDaS16_S17_EUlS16_E_NS1_11comp_targetILNS1_3genE4ELNS1_11target_archE910ELNS1_3gpuE8ELNS1_3repE0EEENS1_30default_config_static_selectorELNS0_4arch9wavefront6targetE0EEEvT1_,"axG",@progbits,_ZN7rocprim17ROCPRIM_400000_NS6detail17trampoline_kernelINS0_14default_configENS1_25partition_config_selectorILNS1_17partition_subalgoE5EsNS0_10empty_typeEbEEZZNS1_14partition_implILS5_5ELb0ES3_mN6thrust23THRUST_200600_302600_NS6detail15normal_iteratorINSA_10device_ptrIsEEEEPS6_NSA_18transform_iteratorINSB_9not_fun_tI7is_trueIsEEESF_NSA_11use_defaultESM_EENS0_5tupleIJSF_S6_EEENSO_IJSG_SG_EEES6_PlJS6_EEE10hipError_tPvRmT3_T4_T5_T6_T7_T9_mT8_P12ihipStream_tbDpT10_ENKUlT_T0_E_clISt17integral_constantIbLb1EES1A_IbLb0EEEEDaS16_S17_EUlS16_E_NS1_11comp_targetILNS1_3genE4ELNS1_11target_archE910ELNS1_3gpuE8ELNS1_3repE0EEENS1_30default_config_static_selectorELNS0_4arch9wavefront6targetE0EEEvT1_,comdat
.Lfunc_end1551:
	.size	_ZN7rocprim17ROCPRIM_400000_NS6detail17trampoline_kernelINS0_14default_configENS1_25partition_config_selectorILNS1_17partition_subalgoE5EsNS0_10empty_typeEbEEZZNS1_14partition_implILS5_5ELb0ES3_mN6thrust23THRUST_200600_302600_NS6detail15normal_iteratorINSA_10device_ptrIsEEEEPS6_NSA_18transform_iteratorINSB_9not_fun_tI7is_trueIsEEESF_NSA_11use_defaultESM_EENS0_5tupleIJSF_S6_EEENSO_IJSG_SG_EEES6_PlJS6_EEE10hipError_tPvRmT3_T4_T5_T6_T7_T9_mT8_P12ihipStream_tbDpT10_ENKUlT_T0_E_clISt17integral_constantIbLb1EES1A_IbLb0EEEEDaS16_S17_EUlS16_E_NS1_11comp_targetILNS1_3genE4ELNS1_11target_archE910ELNS1_3gpuE8ELNS1_3repE0EEENS1_30default_config_static_selectorELNS0_4arch9wavefront6targetE0EEEvT1_, .Lfunc_end1551-_ZN7rocprim17ROCPRIM_400000_NS6detail17trampoline_kernelINS0_14default_configENS1_25partition_config_selectorILNS1_17partition_subalgoE5EsNS0_10empty_typeEbEEZZNS1_14partition_implILS5_5ELb0ES3_mN6thrust23THRUST_200600_302600_NS6detail15normal_iteratorINSA_10device_ptrIsEEEEPS6_NSA_18transform_iteratorINSB_9not_fun_tI7is_trueIsEEESF_NSA_11use_defaultESM_EENS0_5tupleIJSF_S6_EEENSO_IJSG_SG_EEES6_PlJS6_EEE10hipError_tPvRmT3_T4_T5_T6_T7_T9_mT8_P12ihipStream_tbDpT10_ENKUlT_T0_E_clISt17integral_constantIbLb1EES1A_IbLb0EEEEDaS16_S17_EUlS16_E_NS1_11comp_targetILNS1_3genE4ELNS1_11target_archE910ELNS1_3gpuE8ELNS1_3repE0EEENS1_30default_config_static_selectorELNS0_4arch9wavefront6targetE0EEEvT1_
                                        ; -- End function
	.set _ZN7rocprim17ROCPRIM_400000_NS6detail17trampoline_kernelINS0_14default_configENS1_25partition_config_selectorILNS1_17partition_subalgoE5EsNS0_10empty_typeEbEEZZNS1_14partition_implILS5_5ELb0ES3_mN6thrust23THRUST_200600_302600_NS6detail15normal_iteratorINSA_10device_ptrIsEEEEPS6_NSA_18transform_iteratorINSB_9not_fun_tI7is_trueIsEEESF_NSA_11use_defaultESM_EENS0_5tupleIJSF_S6_EEENSO_IJSG_SG_EEES6_PlJS6_EEE10hipError_tPvRmT3_T4_T5_T6_T7_T9_mT8_P12ihipStream_tbDpT10_ENKUlT_T0_E_clISt17integral_constantIbLb1EES1A_IbLb0EEEEDaS16_S17_EUlS16_E_NS1_11comp_targetILNS1_3genE4ELNS1_11target_archE910ELNS1_3gpuE8ELNS1_3repE0EEENS1_30default_config_static_selectorELNS0_4arch9wavefront6targetE0EEEvT1_.num_vgpr, 0
	.set _ZN7rocprim17ROCPRIM_400000_NS6detail17trampoline_kernelINS0_14default_configENS1_25partition_config_selectorILNS1_17partition_subalgoE5EsNS0_10empty_typeEbEEZZNS1_14partition_implILS5_5ELb0ES3_mN6thrust23THRUST_200600_302600_NS6detail15normal_iteratorINSA_10device_ptrIsEEEEPS6_NSA_18transform_iteratorINSB_9not_fun_tI7is_trueIsEEESF_NSA_11use_defaultESM_EENS0_5tupleIJSF_S6_EEENSO_IJSG_SG_EEES6_PlJS6_EEE10hipError_tPvRmT3_T4_T5_T6_T7_T9_mT8_P12ihipStream_tbDpT10_ENKUlT_T0_E_clISt17integral_constantIbLb1EES1A_IbLb0EEEEDaS16_S17_EUlS16_E_NS1_11comp_targetILNS1_3genE4ELNS1_11target_archE910ELNS1_3gpuE8ELNS1_3repE0EEENS1_30default_config_static_selectorELNS0_4arch9wavefront6targetE0EEEvT1_.num_agpr, 0
	.set _ZN7rocprim17ROCPRIM_400000_NS6detail17trampoline_kernelINS0_14default_configENS1_25partition_config_selectorILNS1_17partition_subalgoE5EsNS0_10empty_typeEbEEZZNS1_14partition_implILS5_5ELb0ES3_mN6thrust23THRUST_200600_302600_NS6detail15normal_iteratorINSA_10device_ptrIsEEEEPS6_NSA_18transform_iteratorINSB_9not_fun_tI7is_trueIsEEESF_NSA_11use_defaultESM_EENS0_5tupleIJSF_S6_EEENSO_IJSG_SG_EEES6_PlJS6_EEE10hipError_tPvRmT3_T4_T5_T6_T7_T9_mT8_P12ihipStream_tbDpT10_ENKUlT_T0_E_clISt17integral_constantIbLb1EES1A_IbLb0EEEEDaS16_S17_EUlS16_E_NS1_11comp_targetILNS1_3genE4ELNS1_11target_archE910ELNS1_3gpuE8ELNS1_3repE0EEENS1_30default_config_static_selectorELNS0_4arch9wavefront6targetE0EEEvT1_.numbered_sgpr, 0
	.set _ZN7rocprim17ROCPRIM_400000_NS6detail17trampoline_kernelINS0_14default_configENS1_25partition_config_selectorILNS1_17partition_subalgoE5EsNS0_10empty_typeEbEEZZNS1_14partition_implILS5_5ELb0ES3_mN6thrust23THRUST_200600_302600_NS6detail15normal_iteratorINSA_10device_ptrIsEEEEPS6_NSA_18transform_iteratorINSB_9not_fun_tI7is_trueIsEEESF_NSA_11use_defaultESM_EENS0_5tupleIJSF_S6_EEENSO_IJSG_SG_EEES6_PlJS6_EEE10hipError_tPvRmT3_T4_T5_T6_T7_T9_mT8_P12ihipStream_tbDpT10_ENKUlT_T0_E_clISt17integral_constantIbLb1EES1A_IbLb0EEEEDaS16_S17_EUlS16_E_NS1_11comp_targetILNS1_3genE4ELNS1_11target_archE910ELNS1_3gpuE8ELNS1_3repE0EEENS1_30default_config_static_selectorELNS0_4arch9wavefront6targetE0EEEvT1_.num_named_barrier, 0
	.set _ZN7rocprim17ROCPRIM_400000_NS6detail17trampoline_kernelINS0_14default_configENS1_25partition_config_selectorILNS1_17partition_subalgoE5EsNS0_10empty_typeEbEEZZNS1_14partition_implILS5_5ELb0ES3_mN6thrust23THRUST_200600_302600_NS6detail15normal_iteratorINSA_10device_ptrIsEEEEPS6_NSA_18transform_iteratorINSB_9not_fun_tI7is_trueIsEEESF_NSA_11use_defaultESM_EENS0_5tupleIJSF_S6_EEENSO_IJSG_SG_EEES6_PlJS6_EEE10hipError_tPvRmT3_T4_T5_T6_T7_T9_mT8_P12ihipStream_tbDpT10_ENKUlT_T0_E_clISt17integral_constantIbLb1EES1A_IbLb0EEEEDaS16_S17_EUlS16_E_NS1_11comp_targetILNS1_3genE4ELNS1_11target_archE910ELNS1_3gpuE8ELNS1_3repE0EEENS1_30default_config_static_selectorELNS0_4arch9wavefront6targetE0EEEvT1_.private_seg_size, 0
	.set _ZN7rocprim17ROCPRIM_400000_NS6detail17trampoline_kernelINS0_14default_configENS1_25partition_config_selectorILNS1_17partition_subalgoE5EsNS0_10empty_typeEbEEZZNS1_14partition_implILS5_5ELb0ES3_mN6thrust23THRUST_200600_302600_NS6detail15normal_iteratorINSA_10device_ptrIsEEEEPS6_NSA_18transform_iteratorINSB_9not_fun_tI7is_trueIsEEESF_NSA_11use_defaultESM_EENS0_5tupleIJSF_S6_EEENSO_IJSG_SG_EEES6_PlJS6_EEE10hipError_tPvRmT3_T4_T5_T6_T7_T9_mT8_P12ihipStream_tbDpT10_ENKUlT_T0_E_clISt17integral_constantIbLb1EES1A_IbLb0EEEEDaS16_S17_EUlS16_E_NS1_11comp_targetILNS1_3genE4ELNS1_11target_archE910ELNS1_3gpuE8ELNS1_3repE0EEENS1_30default_config_static_selectorELNS0_4arch9wavefront6targetE0EEEvT1_.uses_vcc, 0
	.set _ZN7rocprim17ROCPRIM_400000_NS6detail17trampoline_kernelINS0_14default_configENS1_25partition_config_selectorILNS1_17partition_subalgoE5EsNS0_10empty_typeEbEEZZNS1_14partition_implILS5_5ELb0ES3_mN6thrust23THRUST_200600_302600_NS6detail15normal_iteratorINSA_10device_ptrIsEEEEPS6_NSA_18transform_iteratorINSB_9not_fun_tI7is_trueIsEEESF_NSA_11use_defaultESM_EENS0_5tupleIJSF_S6_EEENSO_IJSG_SG_EEES6_PlJS6_EEE10hipError_tPvRmT3_T4_T5_T6_T7_T9_mT8_P12ihipStream_tbDpT10_ENKUlT_T0_E_clISt17integral_constantIbLb1EES1A_IbLb0EEEEDaS16_S17_EUlS16_E_NS1_11comp_targetILNS1_3genE4ELNS1_11target_archE910ELNS1_3gpuE8ELNS1_3repE0EEENS1_30default_config_static_selectorELNS0_4arch9wavefront6targetE0EEEvT1_.uses_flat_scratch, 0
	.set _ZN7rocprim17ROCPRIM_400000_NS6detail17trampoline_kernelINS0_14default_configENS1_25partition_config_selectorILNS1_17partition_subalgoE5EsNS0_10empty_typeEbEEZZNS1_14partition_implILS5_5ELb0ES3_mN6thrust23THRUST_200600_302600_NS6detail15normal_iteratorINSA_10device_ptrIsEEEEPS6_NSA_18transform_iteratorINSB_9not_fun_tI7is_trueIsEEESF_NSA_11use_defaultESM_EENS0_5tupleIJSF_S6_EEENSO_IJSG_SG_EEES6_PlJS6_EEE10hipError_tPvRmT3_T4_T5_T6_T7_T9_mT8_P12ihipStream_tbDpT10_ENKUlT_T0_E_clISt17integral_constantIbLb1EES1A_IbLb0EEEEDaS16_S17_EUlS16_E_NS1_11comp_targetILNS1_3genE4ELNS1_11target_archE910ELNS1_3gpuE8ELNS1_3repE0EEENS1_30default_config_static_selectorELNS0_4arch9wavefront6targetE0EEEvT1_.has_dyn_sized_stack, 0
	.set _ZN7rocprim17ROCPRIM_400000_NS6detail17trampoline_kernelINS0_14default_configENS1_25partition_config_selectorILNS1_17partition_subalgoE5EsNS0_10empty_typeEbEEZZNS1_14partition_implILS5_5ELb0ES3_mN6thrust23THRUST_200600_302600_NS6detail15normal_iteratorINSA_10device_ptrIsEEEEPS6_NSA_18transform_iteratorINSB_9not_fun_tI7is_trueIsEEESF_NSA_11use_defaultESM_EENS0_5tupleIJSF_S6_EEENSO_IJSG_SG_EEES6_PlJS6_EEE10hipError_tPvRmT3_T4_T5_T6_T7_T9_mT8_P12ihipStream_tbDpT10_ENKUlT_T0_E_clISt17integral_constantIbLb1EES1A_IbLb0EEEEDaS16_S17_EUlS16_E_NS1_11comp_targetILNS1_3genE4ELNS1_11target_archE910ELNS1_3gpuE8ELNS1_3repE0EEENS1_30default_config_static_selectorELNS0_4arch9wavefront6targetE0EEEvT1_.has_recursion, 0
	.set _ZN7rocprim17ROCPRIM_400000_NS6detail17trampoline_kernelINS0_14default_configENS1_25partition_config_selectorILNS1_17partition_subalgoE5EsNS0_10empty_typeEbEEZZNS1_14partition_implILS5_5ELb0ES3_mN6thrust23THRUST_200600_302600_NS6detail15normal_iteratorINSA_10device_ptrIsEEEEPS6_NSA_18transform_iteratorINSB_9not_fun_tI7is_trueIsEEESF_NSA_11use_defaultESM_EENS0_5tupleIJSF_S6_EEENSO_IJSG_SG_EEES6_PlJS6_EEE10hipError_tPvRmT3_T4_T5_T6_T7_T9_mT8_P12ihipStream_tbDpT10_ENKUlT_T0_E_clISt17integral_constantIbLb1EES1A_IbLb0EEEEDaS16_S17_EUlS16_E_NS1_11comp_targetILNS1_3genE4ELNS1_11target_archE910ELNS1_3gpuE8ELNS1_3repE0EEENS1_30default_config_static_selectorELNS0_4arch9wavefront6targetE0EEEvT1_.has_indirect_call, 0
	.section	.AMDGPU.csdata,"",@progbits
; Kernel info:
; codeLenInByte = 0
; TotalNumSgprs: 0
; NumVgprs: 0
; ScratchSize: 0
; MemoryBound: 0
; FloatMode: 240
; IeeeMode: 1
; LDSByteSize: 0 bytes/workgroup (compile time only)
; SGPRBlocks: 0
; VGPRBlocks: 0
; NumSGPRsForWavesPerEU: 1
; NumVGPRsForWavesPerEU: 1
; Occupancy: 16
; WaveLimiterHint : 0
; COMPUTE_PGM_RSRC2:SCRATCH_EN: 0
; COMPUTE_PGM_RSRC2:USER_SGPR: 2
; COMPUTE_PGM_RSRC2:TRAP_HANDLER: 0
; COMPUTE_PGM_RSRC2:TGID_X_EN: 1
; COMPUTE_PGM_RSRC2:TGID_Y_EN: 0
; COMPUTE_PGM_RSRC2:TGID_Z_EN: 0
; COMPUTE_PGM_RSRC2:TIDIG_COMP_CNT: 0
	.section	.text._ZN7rocprim17ROCPRIM_400000_NS6detail17trampoline_kernelINS0_14default_configENS1_25partition_config_selectorILNS1_17partition_subalgoE5EsNS0_10empty_typeEbEEZZNS1_14partition_implILS5_5ELb0ES3_mN6thrust23THRUST_200600_302600_NS6detail15normal_iteratorINSA_10device_ptrIsEEEEPS6_NSA_18transform_iteratorINSB_9not_fun_tI7is_trueIsEEESF_NSA_11use_defaultESM_EENS0_5tupleIJSF_S6_EEENSO_IJSG_SG_EEES6_PlJS6_EEE10hipError_tPvRmT3_T4_T5_T6_T7_T9_mT8_P12ihipStream_tbDpT10_ENKUlT_T0_E_clISt17integral_constantIbLb1EES1A_IbLb0EEEEDaS16_S17_EUlS16_E_NS1_11comp_targetILNS1_3genE3ELNS1_11target_archE908ELNS1_3gpuE7ELNS1_3repE0EEENS1_30default_config_static_selectorELNS0_4arch9wavefront6targetE0EEEvT1_,"axG",@progbits,_ZN7rocprim17ROCPRIM_400000_NS6detail17trampoline_kernelINS0_14default_configENS1_25partition_config_selectorILNS1_17partition_subalgoE5EsNS0_10empty_typeEbEEZZNS1_14partition_implILS5_5ELb0ES3_mN6thrust23THRUST_200600_302600_NS6detail15normal_iteratorINSA_10device_ptrIsEEEEPS6_NSA_18transform_iteratorINSB_9not_fun_tI7is_trueIsEEESF_NSA_11use_defaultESM_EENS0_5tupleIJSF_S6_EEENSO_IJSG_SG_EEES6_PlJS6_EEE10hipError_tPvRmT3_T4_T5_T6_T7_T9_mT8_P12ihipStream_tbDpT10_ENKUlT_T0_E_clISt17integral_constantIbLb1EES1A_IbLb0EEEEDaS16_S17_EUlS16_E_NS1_11comp_targetILNS1_3genE3ELNS1_11target_archE908ELNS1_3gpuE7ELNS1_3repE0EEENS1_30default_config_static_selectorELNS0_4arch9wavefront6targetE0EEEvT1_,comdat
	.protected	_ZN7rocprim17ROCPRIM_400000_NS6detail17trampoline_kernelINS0_14default_configENS1_25partition_config_selectorILNS1_17partition_subalgoE5EsNS0_10empty_typeEbEEZZNS1_14partition_implILS5_5ELb0ES3_mN6thrust23THRUST_200600_302600_NS6detail15normal_iteratorINSA_10device_ptrIsEEEEPS6_NSA_18transform_iteratorINSB_9not_fun_tI7is_trueIsEEESF_NSA_11use_defaultESM_EENS0_5tupleIJSF_S6_EEENSO_IJSG_SG_EEES6_PlJS6_EEE10hipError_tPvRmT3_T4_T5_T6_T7_T9_mT8_P12ihipStream_tbDpT10_ENKUlT_T0_E_clISt17integral_constantIbLb1EES1A_IbLb0EEEEDaS16_S17_EUlS16_E_NS1_11comp_targetILNS1_3genE3ELNS1_11target_archE908ELNS1_3gpuE7ELNS1_3repE0EEENS1_30default_config_static_selectorELNS0_4arch9wavefront6targetE0EEEvT1_ ; -- Begin function _ZN7rocprim17ROCPRIM_400000_NS6detail17trampoline_kernelINS0_14default_configENS1_25partition_config_selectorILNS1_17partition_subalgoE5EsNS0_10empty_typeEbEEZZNS1_14partition_implILS5_5ELb0ES3_mN6thrust23THRUST_200600_302600_NS6detail15normal_iteratorINSA_10device_ptrIsEEEEPS6_NSA_18transform_iteratorINSB_9not_fun_tI7is_trueIsEEESF_NSA_11use_defaultESM_EENS0_5tupleIJSF_S6_EEENSO_IJSG_SG_EEES6_PlJS6_EEE10hipError_tPvRmT3_T4_T5_T6_T7_T9_mT8_P12ihipStream_tbDpT10_ENKUlT_T0_E_clISt17integral_constantIbLb1EES1A_IbLb0EEEEDaS16_S17_EUlS16_E_NS1_11comp_targetILNS1_3genE3ELNS1_11target_archE908ELNS1_3gpuE7ELNS1_3repE0EEENS1_30default_config_static_selectorELNS0_4arch9wavefront6targetE0EEEvT1_
	.globl	_ZN7rocprim17ROCPRIM_400000_NS6detail17trampoline_kernelINS0_14default_configENS1_25partition_config_selectorILNS1_17partition_subalgoE5EsNS0_10empty_typeEbEEZZNS1_14partition_implILS5_5ELb0ES3_mN6thrust23THRUST_200600_302600_NS6detail15normal_iteratorINSA_10device_ptrIsEEEEPS6_NSA_18transform_iteratorINSB_9not_fun_tI7is_trueIsEEESF_NSA_11use_defaultESM_EENS0_5tupleIJSF_S6_EEENSO_IJSG_SG_EEES6_PlJS6_EEE10hipError_tPvRmT3_T4_T5_T6_T7_T9_mT8_P12ihipStream_tbDpT10_ENKUlT_T0_E_clISt17integral_constantIbLb1EES1A_IbLb0EEEEDaS16_S17_EUlS16_E_NS1_11comp_targetILNS1_3genE3ELNS1_11target_archE908ELNS1_3gpuE7ELNS1_3repE0EEENS1_30default_config_static_selectorELNS0_4arch9wavefront6targetE0EEEvT1_
	.p2align	8
	.type	_ZN7rocprim17ROCPRIM_400000_NS6detail17trampoline_kernelINS0_14default_configENS1_25partition_config_selectorILNS1_17partition_subalgoE5EsNS0_10empty_typeEbEEZZNS1_14partition_implILS5_5ELb0ES3_mN6thrust23THRUST_200600_302600_NS6detail15normal_iteratorINSA_10device_ptrIsEEEEPS6_NSA_18transform_iteratorINSB_9not_fun_tI7is_trueIsEEESF_NSA_11use_defaultESM_EENS0_5tupleIJSF_S6_EEENSO_IJSG_SG_EEES6_PlJS6_EEE10hipError_tPvRmT3_T4_T5_T6_T7_T9_mT8_P12ihipStream_tbDpT10_ENKUlT_T0_E_clISt17integral_constantIbLb1EES1A_IbLb0EEEEDaS16_S17_EUlS16_E_NS1_11comp_targetILNS1_3genE3ELNS1_11target_archE908ELNS1_3gpuE7ELNS1_3repE0EEENS1_30default_config_static_selectorELNS0_4arch9wavefront6targetE0EEEvT1_,@function
_ZN7rocprim17ROCPRIM_400000_NS6detail17trampoline_kernelINS0_14default_configENS1_25partition_config_selectorILNS1_17partition_subalgoE5EsNS0_10empty_typeEbEEZZNS1_14partition_implILS5_5ELb0ES3_mN6thrust23THRUST_200600_302600_NS6detail15normal_iteratorINSA_10device_ptrIsEEEEPS6_NSA_18transform_iteratorINSB_9not_fun_tI7is_trueIsEEESF_NSA_11use_defaultESM_EENS0_5tupleIJSF_S6_EEENSO_IJSG_SG_EEES6_PlJS6_EEE10hipError_tPvRmT3_T4_T5_T6_T7_T9_mT8_P12ihipStream_tbDpT10_ENKUlT_T0_E_clISt17integral_constantIbLb1EES1A_IbLb0EEEEDaS16_S17_EUlS16_E_NS1_11comp_targetILNS1_3genE3ELNS1_11target_archE908ELNS1_3gpuE7ELNS1_3repE0EEENS1_30default_config_static_selectorELNS0_4arch9wavefront6targetE0EEEvT1_: ; @_ZN7rocprim17ROCPRIM_400000_NS6detail17trampoline_kernelINS0_14default_configENS1_25partition_config_selectorILNS1_17partition_subalgoE5EsNS0_10empty_typeEbEEZZNS1_14partition_implILS5_5ELb0ES3_mN6thrust23THRUST_200600_302600_NS6detail15normal_iteratorINSA_10device_ptrIsEEEEPS6_NSA_18transform_iteratorINSB_9not_fun_tI7is_trueIsEEESF_NSA_11use_defaultESM_EENS0_5tupleIJSF_S6_EEENSO_IJSG_SG_EEES6_PlJS6_EEE10hipError_tPvRmT3_T4_T5_T6_T7_T9_mT8_P12ihipStream_tbDpT10_ENKUlT_T0_E_clISt17integral_constantIbLb1EES1A_IbLb0EEEEDaS16_S17_EUlS16_E_NS1_11comp_targetILNS1_3genE3ELNS1_11target_archE908ELNS1_3gpuE7ELNS1_3repE0EEENS1_30default_config_static_selectorELNS0_4arch9wavefront6targetE0EEEvT1_
; %bb.0:
	.section	.rodata,"a",@progbits
	.p2align	6, 0x0
	.amdhsa_kernel _ZN7rocprim17ROCPRIM_400000_NS6detail17trampoline_kernelINS0_14default_configENS1_25partition_config_selectorILNS1_17partition_subalgoE5EsNS0_10empty_typeEbEEZZNS1_14partition_implILS5_5ELb0ES3_mN6thrust23THRUST_200600_302600_NS6detail15normal_iteratorINSA_10device_ptrIsEEEEPS6_NSA_18transform_iteratorINSB_9not_fun_tI7is_trueIsEEESF_NSA_11use_defaultESM_EENS0_5tupleIJSF_S6_EEENSO_IJSG_SG_EEES6_PlJS6_EEE10hipError_tPvRmT3_T4_T5_T6_T7_T9_mT8_P12ihipStream_tbDpT10_ENKUlT_T0_E_clISt17integral_constantIbLb1EES1A_IbLb0EEEEDaS16_S17_EUlS16_E_NS1_11comp_targetILNS1_3genE3ELNS1_11target_archE908ELNS1_3gpuE7ELNS1_3repE0EEENS1_30default_config_static_selectorELNS0_4arch9wavefront6targetE0EEEvT1_
		.amdhsa_group_segment_fixed_size 0
		.amdhsa_private_segment_fixed_size 0
		.amdhsa_kernarg_size 120
		.amdhsa_user_sgpr_count 2
		.amdhsa_user_sgpr_dispatch_ptr 0
		.amdhsa_user_sgpr_queue_ptr 0
		.amdhsa_user_sgpr_kernarg_segment_ptr 1
		.amdhsa_user_sgpr_dispatch_id 0
		.amdhsa_user_sgpr_private_segment_size 0
		.amdhsa_wavefront_size32 1
		.amdhsa_uses_dynamic_stack 0
		.amdhsa_enable_private_segment 0
		.amdhsa_system_sgpr_workgroup_id_x 1
		.amdhsa_system_sgpr_workgroup_id_y 0
		.amdhsa_system_sgpr_workgroup_id_z 0
		.amdhsa_system_sgpr_workgroup_info 0
		.amdhsa_system_vgpr_workitem_id 0
		.amdhsa_next_free_vgpr 1
		.amdhsa_next_free_sgpr 1
		.amdhsa_reserve_vcc 0
		.amdhsa_float_round_mode_32 0
		.amdhsa_float_round_mode_16_64 0
		.amdhsa_float_denorm_mode_32 3
		.amdhsa_float_denorm_mode_16_64 3
		.amdhsa_fp16_overflow 0
		.amdhsa_workgroup_processor_mode 1
		.amdhsa_memory_ordered 1
		.amdhsa_forward_progress 1
		.amdhsa_inst_pref_size 0
		.amdhsa_round_robin_scheduling 0
		.amdhsa_exception_fp_ieee_invalid_op 0
		.amdhsa_exception_fp_denorm_src 0
		.amdhsa_exception_fp_ieee_div_zero 0
		.amdhsa_exception_fp_ieee_overflow 0
		.amdhsa_exception_fp_ieee_underflow 0
		.amdhsa_exception_fp_ieee_inexact 0
		.amdhsa_exception_int_div_zero 0
	.end_amdhsa_kernel
	.section	.text._ZN7rocprim17ROCPRIM_400000_NS6detail17trampoline_kernelINS0_14default_configENS1_25partition_config_selectorILNS1_17partition_subalgoE5EsNS0_10empty_typeEbEEZZNS1_14partition_implILS5_5ELb0ES3_mN6thrust23THRUST_200600_302600_NS6detail15normal_iteratorINSA_10device_ptrIsEEEEPS6_NSA_18transform_iteratorINSB_9not_fun_tI7is_trueIsEEESF_NSA_11use_defaultESM_EENS0_5tupleIJSF_S6_EEENSO_IJSG_SG_EEES6_PlJS6_EEE10hipError_tPvRmT3_T4_T5_T6_T7_T9_mT8_P12ihipStream_tbDpT10_ENKUlT_T0_E_clISt17integral_constantIbLb1EES1A_IbLb0EEEEDaS16_S17_EUlS16_E_NS1_11comp_targetILNS1_3genE3ELNS1_11target_archE908ELNS1_3gpuE7ELNS1_3repE0EEENS1_30default_config_static_selectorELNS0_4arch9wavefront6targetE0EEEvT1_,"axG",@progbits,_ZN7rocprim17ROCPRIM_400000_NS6detail17trampoline_kernelINS0_14default_configENS1_25partition_config_selectorILNS1_17partition_subalgoE5EsNS0_10empty_typeEbEEZZNS1_14partition_implILS5_5ELb0ES3_mN6thrust23THRUST_200600_302600_NS6detail15normal_iteratorINSA_10device_ptrIsEEEEPS6_NSA_18transform_iteratorINSB_9not_fun_tI7is_trueIsEEESF_NSA_11use_defaultESM_EENS0_5tupleIJSF_S6_EEENSO_IJSG_SG_EEES6_PlJS6_EEE10hipError_tPvRmT3_T4_T5_T6_T7_T9_mT8_P12ihipStream_tbDpT10_ENKUlT_T0_E_clISt17integral_constantIbLb1EES1A_IbLb0EEEEDaS16_S17_EUlS16_E_NS1_11comp_targetILNS1_3genE3ELNS1_11target_archE908ELNS1_3gpuE7ELNS1_3repE0EEENS1_30default_config_static_selectorELNS0_4arch9wavefront6targetE0EEEvT1_,comdat
.Lfunc_end1552:
	.size	_ZN7rocprim17ROCPRIM_400000_NS6detail17trampoline_kernelINS0_14default_configENS1_25partition_config_selectorILNS1_17partition_subalgoE5EsNS0_10empty_typeEbEEZZNS1_14partition_implILS5_5ELb0ES3_mN6thrust23THRUST_200600_302600_NS6detail15normal_iteratorINSA_10device_ptrIsEEEEPS6_NSA_18transform_iteratorINSB_9not_fun_tI7is_trueIsEEESF_NSA_11use_defaultESM_EENS0_5tupleIJSF_S6_EEENSO_IJSG_SG_EEES6_PlJS6_EEE10hipError_tPvRmT3_T4_T5_T6_T7_T9_mT8_P12ihipStream_tbDpT10_ENKUlT_T0_E_clISt17integral_constantIbLb1EES1A_IbLb0EEEEDaS16_S17_EUlS16_E_NS1_11comp_targetILNS1_3genE3ELNS1_11target_archE908ELNS1_3gpuE7ELNS1_3repE0EEENS1_30default_config_static_selectorELNS0_4arch9wavefront6targetE0EEEvT1_, .Lfunc_end1552-_ZN7rocprim17ROCPRIM_400000_NS6detail17trampoline_kernelINS0_14default_configENS1_25partition_config_selectorILNS1_17partition_subalgoE5EsNS0_10empty_typeEbEEZZNS1_14partition_implILS5_5ELb0ES3_mN6thrust23THRUST_200600_302600_NS6detail15normal_iteratorINSA_10device_ptrIsEEEEPS6_NSA_18transform_iteratorINSB_9not_fun_tI7is_trueIsEEESF_NSA_11use_defaultESM_EENS0_5tupleIJSF_S6_EEENSO_IJSG_SG_EEES6_PlJS6_EEE10hipError_tPvRmT3_T4_T5_T6_T7_T9_mT8_P12ihipStream_tbDpT10_ENKUlT_T0_E_clISt17integral_constantIbLb1EES1A_IbLb0EEEEDaS16_S17_EUlS16_E_NS1_11comp_targetILNS1_3genE3ELNS1_11target_archE908ELNS1_3gpuE7ELNS1_3repE0EEENS1_30default_config_static_selectorELNS0_4arch9wavefront6targetE0EEEvT1_
                                        ; -- End function
	.set _ZN7rocprim17ROCPRIM_400000_NS6detail17trampoline_kernelINS0_14default_configENS1_25partition_config_selectorILNS1_17partition_subalgoE5EsNS0_10empty_typeEbEEZZNS1_14partition_implILS5_5ELb0ES3_mN6thrust23THRUST_200600_302600_NS6detail15normal_iteratorINSA_10device_ptrIsEEEEPS6_NSA_18transform_iteratorINSB_9not_fun_tI7is_trueIsEEESF_NSA_11use_defaultESM_EENS0_5tupleIJSF_S6_EEENSO_IJSG_SG_EEES6_PlJS6_EEE10hipError_tPvRmT3_T4_T5_T6_T7_T9_mT8_P12ihipStream_tbDpT10_ENKUlT_T0_E_clISt17integral_constantIbLb1EES1A_IbLb0EEEEDaS16_S17_EUlS16_E_NS1_11comp_targetILNS1_3genE3ELNS1_11target_archE908ELNS1_3gpuE7ELNS1_3repE0EEENS1_30default_config_static_selectorELNS0_4arch9wavefront6targetE0EEEvT1_.num_vgpr, 0
	.set _ZN7rocprim17ROCPRIM_400000_NS6detail17trampoline_kernelINS0_14default_configENS1_25partition_config_selectorILNS1_17partition_subalgoE5EsNS0_10empty_typeEbEEZZNS1_14partition_implILS5_5ELb0ES3_mN6thrust23THRUST_200600_302600_NS6detail15normal_iteratorINSA_10device_ptrIsEEEEPS6_NSA_18transform_iteratorINSB_9not_fun_tI7is_trueIsEEESF_NSA_11use_defaultESM_EENS0_5tupleIJSF_S6_EEENSO_IJSG_SG_EEES6_PlJS6_EEE10hipError_tPvRmT3_T4_T5_T6_T7_T9_mT8_P12ihipStream_tbDpT10_ENKUlT_T0_E_clISt17integral_constantIbLb1EES1A_IbLb0EEEEDaS16_S17_EUlS16_E_NS1_11comp_targetILNS1_3genE3ELNS1_11target_archE908ELNS1_3gpuE7ELNS1_3repE0EEENS1_30default_config_static_selectorELNS0_4arch9wavefront6targetE0EEEvT1_.num_agpr, 0
	.set _ZN7rocprim17ROCPRIM_400000_NS6detail17trampoline_kernelINS0_14default_configENS1_25partition_config_selectorILNS1_17partition_subalgoE5EsNS0_10empty_typeEbEEZZNS1_14partition_implILS5_5ELb0ES3_mN6thrust23THRUST_200600_302600_NS6detail15normal_iteratorINSA_10device_ptrIsEEEEPS6_NSA_18transform_iteratorINSB_9not_fun_tI7is_trueIsEEESF_NSA_11use_defaultESM_EENS0_5tupleIJSF_S6_EEENSO_IJSG_SG_EEES6_PlJS6_EEE10hipError_tPvRmT3_T4_T5_T6_T7_T9_mT8_P12ihipStream_tbDpT10_ENKUlT_T0_E_clISt17integral_constantIbLb1EES1A_IbLb0EEEEDaS16_S17_EUlS16_E_NS1_11comp_targetILNS1_3genE3ELNS1_11target_archE908ELNS1_3gpuE7ELNS1_3repE0EEENS1_30default_config_static_selectorELNS0_4arch9wavefront6targetE0EEEvT1_.numbered_sgpr, 0
	.set _ZN7rocprim17ROCPRIM_400000_NS6detail17trampoline_kernelINS0_14default_configENS1_25partition_config_selectorILNS1_17partition_subalgoE5EsNS0_10empty_typeEbEEZZNS1_14partition_implILS5_5ELb0ES3_mN6thrust23THRUST_200600_302600_NS6detail15normal_iteratorINSA_10device_ptrIsEEEEPS6_NSA_18transform_iteratorINSB_9not_fun_tI7is_trueIsEEESF_NSA_11use_defaultESM_EENS0_5tupleIJSF_S6_EEENSO_IJSG_SG_EEES6_PlJS6_EEE10hipError_tPvRmT3_T4_T5_T6_T7_T9_mT8_P12ihipStream_tbDpT10_ENKUlT_T0_E_clISt17integral_constantIbLb1EES1A_IbLb0EEEEDaS16_S17_EUlS16_E_NS1_11comp_targetILNS1_3genE3ELNS1_11target_archE908ELNS1_3gpuE7ELNS1_3repE0EEENS1_30default_config_static_selectorELNS0_4arch9wavefront6targetE0EEEvT1_.num_named_barrier, 0
	.set _ZN7rocprim17ROCPRIM_400000_NS6detail17trampoline_kernelINS0_14default_configENS1_25partition_config_selectorILNS1_17partition_subalgoE5EsNS0_10empty_typeEbEEZZNS1_14partition_implILS5_5ELb0ES3_mN6thrust23THRUST_200600_302600_NS6detail15normal_iteratorINSA_10device_ptrIsEEEEPS6_NSA_18transform_iteratorINSB_9not_fun_tI7is_trueIsEEESF_NSA_11use_defaultESM_EENS0_5tupleIJSF_S6_EEENSO_IJSG_SG_EEES6_PlJS6_EEE10hipError_tPvRmT3_T4_T5_T6_T7_T9_mT8_P12ihipStream_tbDpT10_ENKUlT_T0_E_clISt17integral_constantIbLb1EES1A_IbLb0EEEEDaS16_S17_EUlS16_E_NS1_11comp_targetILNS1_3genE3ELNS1_11target_archE908ELNS1_3gpuE7ELNS1_3repE0EEENS1_30default_config_static_selectorELNS0_4arch9wavefront6targetE0EEEvT1_.private_seg_size, 0
	.set _ZN7rocprim17ROCPRIM_400000_NS6detail17trampoline_kernelINS0_14default_configENS1_25partition_config_selectorILNS1_17partition_subalgoE5EsNS0_10empty_typeEbEEZZNS1_14partition_implILS5_5ELb0ES3_mN6thrust23THRUST_200600_302600_NS6detail15normal_iteratorINSA_10device_ptrIsEEEEPS6_NSA_18transform_iteratorINSB_9not_fun_tI7is_trueIsEEESF_NSA_11use_defaultESM_EENS0_5tupleIJSF_S6_EEENSO_IJSG_SG_EEES6_PlJS6_EEE10hipError_tPvRmT3_T4_T5_T6_T7_T9_mT8_P12ihipStream_tbDpT10_ENKUlT_T0_E_clISt17integral_constantIbLb1EES1A_IbLb0EEEEDaS16_S17_EUlS16_E_NS1_11comp_targetILNS1_3genE3ELNS1_11target_archE908ELNS1_3gpuE7ELNS1_3repE0EEENS1_30default_config_static_selectorELNS0_4arch9wavefront6targetE0EEEvT1_.uses_vcc, 0
	.set _ZN7rocprim17ROCPRIM_400000_NS6detail17trampoline_kernelINS0_14default_configENS1_25partition_config_selectorILNS1_17partition_subalgoE5EsNS0_10empty_typeEbEEZZNS1_14partition_implILS5_5ELb0ES3_mN6thrust23THRUST_200600_302600_NS6detail15normal_iteratorINSA_10device_ptrIsEEEEPS6_NSA_18transform_iteratorINSB_9not_fun_tI7is_trueIsEEESF_NSA_11use_defaultESM_EENS0_5tupleIJSF_S6_EEENSO_IJSG_SG_EEES6_PlJS6_EEE10hipError_tPvRmT3_T4_T5_T6_T7_T9_mT8_P12ihipStream_tbDpT10_ENKUlT_T0_E_clISt17integral_constantIbLb1EES1A_IbLb0EEEEDaS16_S17_EUlS16_E_NS1_11comp_targetILNS1_3genE3ELNS1_11target_archE908ELNS1_3gpuE7ELNS1_3repE0EEENS1_30default_config_static_selectorELNS0_4arch9wavefront6targetE0EEEvT1_.uses_flat_scratch, 0
	.set _ZN7rocprim17ROCPRIM_400000_NS6detail17trampoline_kernelINS0_14default_configENS1_25partition_config_selectorILNS1_17partition_subalgoE5EsNS0_10empty_typeEbEEZZNS1_14partition_implILS5_5ELb0ES3_mN6thrust23THRUST_200600_302600_NS6detail15normal_iteratorINSA_10device_ptrIsEEEEPS6_NSA_18transform_iteratorINSB_9not_fun_tI7is_trueIsEEESF_NSA_11use_defaultESM_EENS0_5tupleIJSF_S6_EEENSO_IJSG_SG_EEES6_PlJS6_EEE10hipError_tPvRmT3_T4_T5_T6_T7_T9_mT8_P12ihipStream_tbDpT10_ENKUlT_T0_E_clISt17integral_constantIbLb1EES1A_IbLb0EEEEDaS16_S17_EUlS16_E_NS1_11comp_targetILNS1_3genE3ELNS1_11target_archE908ELNS1_3gpuE7ELNS1_3repE0EEENS1_30default_config_static_selectorELNS0_4arch9wavefront6targetE0EEEvT1_.has_dyn_sized_stack, 0
	.set _ZN7rocprim17ROCPRIM_400000_NS6detail17trampoline_kernelINS0_14default_configENS1_25partition_config_selectorILNS1_17partition_subalgoE5EsNS0_10empty_typeEbEEZZNS1_14partition_implILS5_5ELb0ES3_mN6thrust23THRUST_200600_302600_NS6detail15normal_iteratorINSA_10device_ptrIsEEEEPS6_NSA_18transform_iteratorINSB_9not_fun_tI7is_trueIsEEESF_NSA_11use_defaultESM_EENS0_5tupleIJSF_S6_EEENSO_IJSG_SG_EEES6_PlJS6_EEE10hipError_tPvRmT3_T4_T5_T6_T7_T9_mT8_P12ihipStream_tbDpT10_ENKUlT_T0_E_clISt17integral_constantIbLb1EES1A_IbLb0EEEEDaS16_S17_EUlS16_E_NS1_11comp_targetILNS1_3genE3ELNS1_11target_archE908ELNS1_3gpuE7ELNS1_3repE0EEENS1_30default_config_static_selectorELNS0_4arch9wavefront6targetE0EEEvT1_.has_recursion, 0
	.set _ZN7rocprim17ROCPRIM_400000_NS6detail17trampoline_kernelINS0_14default_configENS1_25partition_config_selectorILNS1_17partition_subalgoE5EsNS0_10empty_typeEbEEZZNS1_14partition_implILS5_5ELb0ES3_mN6thrust23THRUST_200600_302600_NS6detail15normal_iteratorINSA_10device_ptrIsEEEEPS6_NSA_18transform_iteratorINSB_9not_fun_tI7is_trueIsEEESF_NSA_11use_defaultESM_EENS0_5tupleIJSF_S6_EEENSO_IJSG_SG_EEES6_PlJS6_EEE10hipError_tPvRmT3_T4_T5_T6_T7_T9_mT8_P12ihipStream_tbDpT10_ENKUlT_T0_E_clISt17integral_constantIbLb1EES1A_IbLb0EEEEDaS16_S17_EUlS16_E_NS1_11comp_targetILNS1_3genE3ELNS1_11target_archE908ELNS1_3gpuE7ELNS1_3repE0EEENS1_30default_config_static_selectorELNS0_4arch9wavefront6targetE0EEEvT1_.has_indirect_call, 0
	.section	.AMDGPU.csdata,"",@progbits
; Kernel info:
; codeLenInByte = 0
; TotalNumSgprs: 0
; NumVgprs: 0
; ScratchSize: 0
; MemoryBound: 0
; FloatMode: 240
; IeeeMode: 1
; LDSByteSize: 0 bytes/workgroup (compile time only)
; SGPRBlocks: 0
; VGPRBlocks: 0
; NumSGPRsForWavesPerEU: 1
; NumVGPRsForWavesPerEU: 1
; Occupancy: 16
; WaveLimiterHint : 0
; COMPUTE_PGM_RSRC2:SCRATCH_EN: 0
; COMPUTE_PGM_RSRC2:USER_SGPR: 2
; COMPUTE_PGM_RSRC2:TRAP_HANDLER: 0
; COMPUTE_PGM_RSRC2:TGID_X_EN: 1
; COMPUTE_PGM_RSRC2:TGID_Y_EN: 0
; COMPUTE_PGM_RSRC2:TGID_Z_EN: 0
; COMPUTE_PGM_RSRC2:TIDIG_COMP_CNT: 0
	.section	.text._ZN7rocprim17ROCPRIM_400000_NS6detail17trampoline_kernelINS0_14default_configENS1_25partition_config_selectorILNS1_17partition_subalgoE5EsNS0_10empty_typeEbEEZZNS1_14partition_implILS5_5ELb0ES3_mN6thrust23THRUST_200600_302600_NS6detail15normal_iteratorINSA_10device_ptrIsEEEEPS6_NSA_18transform_iteratorINSB_9not_fun_tI7is_trueIsEEESF_NSA_11use_defaultESM_EENS0_5tupleIJSF_S6_EEENSO_IJSG_SG_EEES6_PlJS6_EEE10hipError_tPvRmT3_T4_T5_T6_T7_T9_mT8_P12ihipStream_tbDpT10_ENKUlT_T0_E_clISt17integral_constantIbLb1EES1A_IbLb0EEEEDaS16_S17_EUlS16_E_NS1_11comp_targetILNS1_3genE2ELNS1_11target_archE906ELNS1_3gpuE6ELNS1_3repE0EEENS1_30default_config_static_selectorELNS0_4arch9wavefront6targetE0EEEvT1_,"axG",@progbits,_ZN7rocprim17ROCPRIM_400000_NS6detail17trampoline_kernelINS0_14default_configENS1_25partition_config_selectorILNS1_17partition_subalgoE5EsNS0_10empty_typeEbEEZZNS1_14partition_implILS5_5ELb0ES3_mN6thrust23THRUST_200600_302600_NS6detail15normal_iteratorINSA_10device_ptrIsEEEEPS6_NSA_18transform_iteratorINSB_9not_fun_tI7is_trueIsEEESF_NSA_11use_defaultESM_EENS0_5tupleIJSF_S6_EEENSO_IJSG_SG_EEES6_PlJS6_EEE10hipError_tPvRmT3_T4_T5_T6_T7_T9_mT8_P12ihipStream_tbDpT10_ENKUlT_T0_E_clISt17integral_constantIbLb1EES1A_IbLb0EEEEDaS16_S17_EUlS16_E_NS1_11comp_targetILNS1_3genE2ELNS1_11target_archE906ELNS1_3gpuE6ELNS1_3repE0EEENS1_30default_config_static_selectorELNS0_4arch9wavefront6targetE0EEEvT1_,comdat
	.protected	_ZN7rocprim17ROCPRIM_400000_NS6detail17trampoline_kernelINS0_14default_configENS1_25partition_config_selectorILNS1_17partition_subalgoE5EsNS0_10empty_typeEbEEZZNS1_14partition_implILS5_5ELb0ES3_mN6thrust23THRUST_200600_302600_NS6detail15normal_iteratorINSA_10device_ptrIsEEEEPS6_NSA_18transform_iteratorINSB_9not_fun_tI7is_trueIsEEESF_NSA_11use_defaultESM_EENS0_5tupleIJSF_S6_EEENSO_IJSG_SG_EEES6_PlJS6_EEE10hipError_tPvRmT3_T4_T5_T6_T7_T9_mT8_P12ihipStream_tbDpT10_ENKUlT_T0_E_clISt17integral_constantIbLb1EES1A_IbLb0EEEEDaS16_S17_EUlS16_E_NS1_11comp_targetILNS1_3genE2ELNS1_11target_archE906ELNS1_3gpuE6ELNS1_3repE0EEENS1_30default_config_static_selectorELNS0_4arch9wavefront6targetE0EEEvT1_ ; -- Begin function _ZN7rocprim17ROCPRIM_400000_NS6detail17trampoline_kernelINS0_14default_configENS1_25partition_config_selectorILNS1_17partition_subalgoE5EsNS0_10empty_typeEbEEZZNS1_14partition_implILS5_5ELb0ES3_mN6thrust23THRUST_200600_302600_NS6detail15normal_iteratorINSA_10device_ptrIsEEEEPS6_NSA_18transform_iteratorINSB_9not_fun_tI7is_trueIsEEESF_NSA_11use_defaultESM_EENS0_5tupleIJSF_S6_EEENSO_IJSG_SG_EEES6_PlJS6_EEE10hipError_tPvRmT3_T4_T5_T6_T7_T9_mT8_P12ihipStream_tbDpT10_ENKUlT_T0_E_clISt17integral_constantIbLb1EES1A_IbLb0EEEEDaS16_S17_EUlS16_E_NS1_11comp_targetILNS1_3genE2ELNS1_11target_archE906ELNS1_3gpuE6ELNS1_3repE0EEENS1_30default_config_static_selectorELNS0_4arch9wavefront6targetE0EEEvT1_
	.globl	_ZN7rocprim17ROCPRIM_400000_NS6detail17trampoline_kernelINS0_14default_configENS1_25partition_config_selectorILNS1_17partition_subalgoE5EsNS0_10empty_typeEbEEZZNS1_14partition_implILS5_5ELb0ES3_mN6thrust23THRUST_200600_302600_NS6detail15normal_iteratorINSA_10device_ptrIsEEEEPS6_NSA_18transform_iteratorINSB_9not_fun_tI7is_trueIsEEESF_NSA_11use_defaultESM_EENS0_5tupleIJSF_S6_EEENSO_IJSG_SG_EEES6_PlJS6_EEE10hipError_tPvRmT3_T4_T5_T6_T7_T9_mT8_P12ihipStream_tbDpT10_ENKUlT_T0_E_clISt17integral_constantIbLb1EES1A_IbLb0EEEEDaS16_S17_EUlS16_E_NS1_11comp_targetILNS1_3genE2ELNS1_11target_archE906ELNS1_3gpuE6ELNS1_3repE0EEENS1_30default_config_static_selectorELNS0_4arch9wavefront6targetE0EEEvT1_
	.p2align	8
	.type	_ZN7rocprim17ROCPRIM_400000_NS6detail17trampoline_kernelINS0_14default_configENS1_25partition_config_selectorILNS1_17partition_subalgoE5EsNS0_10empty_typeEbEEZZNS1_14partition_implILS5_5ELb0ES3_mN6thrust23THRUST_200600_302600_NS6detail15normal_iteratorINSA_10device_ptrIsEEEEPS6_NSA_18transform_iteratorINSB_9not_fun_tI7is_trueIsEEESF_NSA_11use_defaultESM_EENS0_5tupleIJSF_S6_EEENSO_IJSG_SG_EEES6_PlJS6_EEE10hipError_tPvRmT3_T4_T5_T6_T7_T9_mT8_P12ihipStream_tbDpT10_ENKUlT_T0_E_clISt17integral_constantIbLb1EES1A_IbLb0EEEEDaS16_S17_EUlS16_E_NS1_11comp_targetILNS1_3genE2ELNS1_11target_archE906ELNS1_3gpuE6ELNS1_3repE0EEENS1_30default_config_static_selectorELNS0_4arch9wavefront6targetE0EEEvT1_,@function
_ZN7rocprim17ROCPRIM_400000_NS6detail17trampoline_kernelINS0_14default_configENS1_25partition_config_selectorILNS1_17partition_subalgoE5EsNS0_10empty_typeEbEEZZNS1_14partition_implILS5_5ELb0ES3_mN6thrust23THRUST_200600_302600_NS6detail15normal_iteratorINSA_10device_ptrIsEEEEPS6_NSA_18transform_iteratorINSB_9not_fun_tI7is_trueIsEEESF_NSA_11use_defaultESM_EENS0_5tupleIJSF_S6_EEENSO_IJSG_SG_EEES6_PlJS6_EEE10hipError_tPvRmT3_T4_T5_T6_T7_T9_mT8_P12ihipStream_tbDpT10_ENKUlT_T0_E_clISt17integral_constantIbLb1EES1A_IbLb0EEEEDaS16_S17_EUlS16_E_NS1_11comp_targetILNS1_3genE2ELNS1_11target_archE906ELNS1_3gpuE6ELNS1_3repE0EEENS1_30default_config_static_selectorELNS0_4arch9wavefront6targetE0EEEvT1_: ; @_ZN7rocprim17ROCPRIM_400000_NS6detail17trampoline_kernelINS0_14default_configENS1_25partition_config_selectorILNS1_17partition_subalgoE5EsNS0_10empty_typeEbEEZZNS1_14partition_implILS5_5ELb0ES3_mN6thrust23THRUST_200600_302600_NS6detail15normal_iteratorINSA_10device_ptrIsEEEEPS6_NSA_18transform_iteratorINSB_9not_fun_tI7is_trueIsEEESF_NSA_11use_defaultESM_EENS0_5tupleIJSF_S6_EEENSO_IJSG_SG_EEES6_PlJS6_EEE10hipError_tPvRmT3_T4_T5_T6_T7_T9_mT8_P12ihipStream_tbDpT10_ENKUlT_T0_E_clISt17integral_constantIbLb1EES1A_IbLb0EEEEDaS16_S17_EUlS16_E_NS1_11comp_targetILNS1_3genE2ELNS1_11target_archE906ELNS1_3gpuE6ELNS1_3repE0EEENS1_30default_config_static_selectorELNS0_4arch9wavefront6targetE0EEEvT1_
; %bb.0:
	.section	.rodata,"a",@progbits
	.p2align	6, 0x0
	.amdhsa_kernel _ZN7rocprim17ROCPRIM_400000_NS6detail17trampoline_kernelINS0_14default_configENS1_25partition_config_selectorILNS1_17partition_subalgoE5EsNS0_10empty_typeEbEEZZNS1_14partition_implILS5_5ELb0ES3_mN6thrust23THRUST_200600_302600_NS6detail15normal_iteratorINSA_10device_ptrIsEEEEPS6_NSA_18transform_iteratorINSB_9not_fun_tI7is_trueIsEEESF_NSA_11use_defaultESM_EENS0_5tupleIJSF_S6_EEENSO_IJSG_SG_EEES6_PlJS6_EEE10hipError_tPvRmT3_T4_T5_T6_T7_T9_mT8_P12ihipStream_tbDpT10_ENKUlT_T0_E_clISt17integral_constantIbLb1EES1A_IbLb0EEEEDaS16_S17_EUlS16_E_NS1_11comp_targetILNS1_3genE2ELNS1_11target_archE906ELNS1_3gpuE6ELNS1_3repE0EEENS1_30default_config_static_selectorELNS0_4arch9wavefront6targetE0EEEvT1_
		.amdhsa_group_segment_fixed_size 0
		.amdhsa_private_segment_fixed_size 0
		.amdhsa_kernarg_size 120
		.amdhsa_user_sgpr_count 2
		.amdhsa_user_sgpr_dispatch_ptr 0
		.amdhsa_user_sgpr_queue_ptr 0
		.amdhsa_user_sgpr_kernarg_segment_ptr 1
		.amdhsa_user_sgpr_dispatch_id 0
		.amdhsa_user_sgpr_private_segment_size 0
		.amdhsa_wavefront_size32 1
		.amdhsa_uses_dynamic_stack 0
		.amdhsa_enable_private_segment 0
		.amdhsa_system_sgpr_workgroup_id_x 1
		.amdhsa_system_sgpr_workgroup_id_y 0
		.amdhsa_system_sgpr_workgroup_id_z 0
		.amdhsa_system_sgpr_workgroup_info 0
		.amdhsa_system_vgpr_workitem_id 0
		.amdhsa_next_free_vgpr 1
		.amdhsa_next_free_sgpr 1
		.amdhsa_reserve_vcc 0
		.amdhsa_float_round_mode_32 0
		.amdhsa_float_round_mode_16_64 0
		.amdhsa_float_denorm_mode_32 3
		.amdhsa_float_denorm_mode_16_64 3
		.amdhsa_fp16_overflow 0
		.amdhsa_workgroup_processor_mode 1
		.amdhsa_memory_ordered 1
		.amdhsa_forward_progress 1
		.amdhsa_inst_pref_size 0
		.amdhsa_round_robin_scheduling 0
		.amdhsa_exception_fp_ieee_invalid_op 0
		.amdhsa_exception_fp_denorm_src 0
		.amdhsa_exception_fp_ieee_div_zero 0
		.amdhsa_exception_fp_ieee_overflow 0
		.amdhsa_exception_fp_ieee_underflow 0
		.amdhsa_exception_fp_ieee_inexact 0
		.amdhsa_exception_int_div_zero 0
	.end_amdhsa_kernel
	.section	.text._ZN7rocprim17ROCPRIM_400000_NS6detail17trampoline_kernelINS0_14default_configENS1_25partition_config_selectorILNS1_17partition_subalgoE5EsNS0_10empty_typeEbEEZZNS1_14partition_implILS5_5ELb0ES3_mN6thrust23THRUST_200600_302600_NS6detail15normal_iteratorINSA_10device_ptrIsEEEEPS6_NSA_18transform_iteratorINSB_9not_fun_tI7is_trueIsEEESF_NSA_11use_defaultESM_EENS0_5tupleIJSF_S6_EEENSO_IJSG_SG_EEES6_PlJS6_EEE10hipError_tPvRmT3_T4_T5_T6_T7_T9_mT8_P12ihipStream_tbDpT10_ENKUlT_T0_E_clISt17integral_constantIbLb1EES1A_IbLb0EEEEDaS16_S17_EUlS16_E_NS1_11comp_targetILNS1_3genE2ELNS1_11target_archE906ELNS1_3gpuE6ELNS1_3repE0EEENS1_30default_config_static_selectorELNS0_4arch9wavefront6targetE0EEEvT1_,"axG",@progbits,_ZN7rocprim17ROCPRIM_400000_NS6detail17trampoline_kernelINS0_14default_configENS1_25partition_config_selectorILNS1_17partition_subalgoE5EsNS0_10empty_typeEbEEZZNS1_14partition_implILS5_5ELb0ES3_mN6thrust23THRUST_200600_302600_NS6detail15normal_iteratorINSA_10device_ptrIsEEEEPS6_NSA_18transform_iteratorINSB_9not_fun_tI7is_trueIsEEESF_NSA_11use_defaultESM_EENS0_5tupleIJSF_S6_EEENSO_IJSG_SG_EEES6_PlJS6_EEE10hipError_tPvRmT3_T4_T5_T6_T7_T9_mT8_P12ihipStream_tbDpT10_ENKUlT_T0_E_clISt17integral_constantIbLb1EES1A_IbLb0EEEEDaS16_S17_EUlS16_E_NS1_11comp_targetILNS1_3genE2ELNS1_11target_archE906ELNS1_3gpuE6ELNS1_3repE0EEENS1_30default_config_static_selectorELNS0_4arch9wavefront6targetE0EEEvT1_,comdat
.Lfunc_end1553:
	.size	_ZN7rocprim17ROCPRIM_400000_NS6detail17trampoline_kernelINS0_14default_configENS1_25partition_config_selectorILNS1_17partition_subalgoE5EsNS0_10empty_typeEbEEZZNS1_14partition_implILS5_5ELb0ES3_mN6thrust23THRUST_200600_302600_NS6detail15normal_iteratorINSA_10device_ptrIsEEEEPS6_NSA_18transform_iteratorINSB_9not_fun_tI7is_trueIsEEESF_NSA_11use_defaultESM_EENS0_5tupleIJSF_S6_EEENSO_IJSG_SG_EEES6_PlJS6_EEE10hipError_tPvRmT3_T4_T5_T6_T7_T9_mT8_P12ihipStream_tbDpT10_ENKUlT_T0_E_clISt17integral_constantIbLb1EES1A_IbLb0EEEEDaS16_S17_EUlS16_E_NS1_11comp_targetILNS1_3genE2ELNS1_11target_archE906ELNS1_3gpuE6ELNS1_3repE0EEENS1_30default_config_static_selectorELNS0_4arch9wavefront6targetE0EEEvT1_, .Lfunc_end1553-_ZN7rocprim17ROCPRIM_400000_NS6detail17trampoline_kernelINS0_14default_configENS1_25partition_config_selectorILNS1_17partition_subalgoE5EsNS0_10empty_typeEbEEZZNS1_14partition_implILS5_5ELb0ES3_mN6thrust23THRUST_200600_302600_NS6detail15normal_iteratorINSA_10device_ptrIsEEEEPS6_NSA_18transform_iteratorINSB_9not_fun_tI7is_trueIsEEESF_NSA_11use_defaultESM_EENS0_5tupleIJSF_S6_EEENSO_IJSG_SG_EEES6_PlJS6_EEE10hipError_tPvRmT3_T4_T5_T6_T7_T9_mT8_P12ihipStream_tbDpT10_ENKUlT_T0_E_clISt17integral_constantIbLb1EES1A_IbLb0EEEEDaS16_S17_EUlS16_E_NS1_11comp_targetILNS1_3genE2ELNS1_11target_archE906ELNS1_3gpuE6ELNS1_3repE0EEENS1_30default_config_static_selectorELNS0_4arch9wavefront6targetE0EEEvT1_
                                        ; -- End function
	.set _ZN7rocprim17ROCPRIM_400000_NS6detail17trampoline_kernelINS0_14default_configENS1_25partition_config_selectorILNS1_17partition_subalgoE5EsNS0_10empty_typeEbEEZZNS1_14partition_implILS5_5ELb0ES3_mN6thrust23THRUST_200600_302600_NS6detail15normal_iteratorINSA_10device_ptrIsEEEEPS6_NSA_18transform_iteratorINSB_9not_fun_tI7is_trueIsEEESF_NSA_11use_defaultESM_EENS0_5tupleIJSF_S6_EEENSO_IJSG_SG_EEES6_PlJS6_EEE10hipError_tPvRmT3_T4_T5_T6_T7_T9_mT8_P12ihipStream_tbDpT10_ENKUlT_T0_E_clISt17integral_constantIbLb1EES1A_IbLb0EEEEDaS16_S17_EUlS16_E_NS1_11comp_targetILNS1_3genE2ELNS1_11target_archE906ELNS1_3gpuE6ELNS1_3repE0EEENS1_30default_config_static_selectorELNS0_4arch9wavefront6targetE0EEEvT1_.num_vgpr, 0
	.set _ZN7rocprim17ROCPRIM_400000_NS6detail17trampoline_kernelINS0_14default_configENS1_25partition_config_selectorILNS1_17partition_subalgoE5EsNS0_10empty_typeEbEEZZNS1_14partition_implILS5_5ELb0ES3_mN6thrust23THRUST_200600_302600_NS6detail15normal_iteratorINSA_10device_ptrIsEEEEPS6_NSA_18transform_iteratorINSB_9not_fun_tI7is_trueIsEEESF_NSA_11use_defaultESM_EENS0_5tupleIJSF_S6_EEENSO_IJSG_SG_EEES6_PlJS6_EEE10hipError_tPvRmT3_T4_T5_T6_T7_T9_mT8_P12ihipStream_tbDpT10_ENKUlT_T0_E_clISt17integral_constantIbLb1EES1A_IbLb0EEEEDaS16_S17_EUlS16_E_NS1_11comp_targetILNS1_3genE2ELNS1_11target_archE906ELNS1_3gpuE6ELNS1_3repE0EEENS1_30default_config_static_selectorELNS0_4arch9wavefront6targetE0EEEvT1_.num_agpr, 0
	.set _ZN7rocprim17ROCPRIM_400000_NS6detail17trampoline_kernelINS0_14default_configENS1_25partition_config_selectorILNS1_17partition_subalgoE5EsNS0_10empty_typeEbEEZZNS1_14partition_implILS5_5ELb0ES3_mN6thrust23THRUST_200600_302600_NS6detail15normal_iteratorINSA_10device_ptrIsEEEEPS6_NSA_18transform_iteratorINSB_9not_fun_tI7is_trueIsEEESF_NSA_11use_defaultESM_EENS0_5tupleIJSF_S6_EEENSO_IJSG_SG_EEES6_PlJS6_EEE10hipError_tPvRmT3_T4_T5_T6_T7_T9_mT8_P12ihipStream_tbDpT10_ENKUlT_T0_E_clISt17integral_constantIbLb1EES1A_IbLb0EEEEDaS16_S17_EUlS16_E_NS1_11comp_targetILNS1_3genE2ELNS1_11target_archE906ELNS1_3gpuE6ELNS1_3repE0EEENS1_30default_config_static_selectorELNS0_4arch9wavefront6targetE0EEEvT1_.numbered_sgpr, 0
	.set _ZN7rocprim17ROCPRIM_400000_NS6detail17trampoline_kernelINS0_14default_configENS1_25partition_config_selectorILNS1_17partition_subalgoE5EsNS0_10empty_typeEbEEZZNS1_14partition_implILS5_5ELb0ES3_mN6thrust23THRUST_200600_302600_NS6detail15normal_iteratorINSA_10device_ptrIsEEEEPS6_NSA_18transform_iteratorINSB_9not_fun_tI7is_trueIsEEESF_NSA_11use_defaultESM_EENS0_5tupleIJSF_S6_EEENSO_IJSG_SG_EEES6_PlJS6_EEE10hipError_tPvRmT3_T4_T5_T6_T7_T9_mT8_P12ihipStream_tbDpT10_ENKUlT_T0_E_clISt17integral_constantIbLb1EES1A_IbLb0EEEEDaS16_S17_EUlS16_E_NS1_11comp_targetILNS1_3genE2ELNS1_11target_archE906ELNS1_3gpuE6ELNS1_3repE0EEENS1_30default_config_static_selectorELNS0_4arch9wavefront6targetE0EEEvT1_.num_named_barrier, 0
	.set _ZN7rocprim17ROCPRIM_400000_NS6detail17trampoline_kernelINS0_14default_configENS1_25partition_config_selectorILNS1_17partition_subalgoE5EsNS0_10empty_typeEbEEZZNS1_14partition_implILS5_5ELb0ES3_mN6thrust23THRUST_200600_302600_NS6detail15normal_iteratorINSA_10device_ptrIsEEEEPS6_NSA_18transform_iteratorINSB_9not_fun_tI7is_trueIsEEESF_NSA_11use_defaultESM_EENS0_5tupleIJSF_S6_EEENSO_IJSG_SG_EEES6_PlJS6_EEE10hipError_tPvRmT3_T4_T5_T6_T7_T9_mT8_P12ihipStream_tbDpT10_ENKUlT_T0_E_clISt17integral_constantIbLb1EES1A_IbLb0EEEEDaS16_S17_EUlS16_E_NS1_11comp_targetILNS1_3genE2ELNS1_11target_archE906ELNS1_3gpuE6ELNS1_3repE0EEENS1_30default_config_static_selectorELNS0_4arch9wavefront6targetE0EEEvT1_.private_seg_size, 0
	.set _ZN7rocprim17ROCPRIM_400000_NS6detail17trampoline_kernelINS0_14default_configENS1_25partition_config_selectorILNS1_17partition_subalgoE5EsNS0_10empty_typeEbEEZZNS1_14partition_implILS5_5ELb0ES3_mN6thrust23THRUST_200600_302600_NS6detail15normal_iteratorINSA_10device_ptrIsEEEEPS6_NSA_18transform_iteratorINSB_9not_fun_tI7is_trueIsEEESF_NSA_11use_defaultESM_EENS0_5tupleIJSF_S6_EEENSO_IJSG_SG_EEES6_PlJS6_EEE10hipError_tPvRmT3_T4_T5_T6_T7_T9_mT8_P12ihipStream_tbDpT10_ENKUlT_T0_E_clISt17integral_constantIbLb1EES1A_IbLb0EEEEDaS16_S17_EUlS16_E_NS1_11comp_targetILNS1_3genE2ELNS1_11target_archE906ELNS1_3gpuE6ELNS1_3repE0EEENS1_30default_config_static_selectorELNS0_4arch9wavefront6targetE0EEEvT1_.uses_vcc, 0
	.set _ZN7rocprim17ROCPRIM_400000_NS6detail17trampoline_kernelINS0_14default_configENS1_25partition_config_selectorILNS1_17partition_subalgoE5EsNS0_10empty_typeEbEEZZNS1_14partition_implILS5_5ELb0ES3_mN6thrust23THRUST_200600_302600_NS6detail15normal_iteratorINSA_10device_ptrIsEEEEPS6_NSA_18transform_iteratorINSB_9not_fun_tI7is_trueIsEEESF_NSA_11use_defaultESM_EENS0_5tupleIJSF_S6_EEENSO_IJSG_SG_EEES6_PlJS6_EEE10hipError_tPvRmT3_T4_T5_T6_T7_T9_mT8_P12ihipStream_tbDpT10_ENKUlT_T0_E_clISt17integral_constantIbLb1EES1A_IbLb0EEEEDaS16_S17_EUlS16_E_NS1_11comp_targetILNS1_3genE2ELNS1_11target_archE906ELNS1_3gpuE6ELNS1_3repE0EEENS1_30default_config_static_selectorELNS0_4arch9wavefront6targetE0EEEvT1_.uses_flat_scratch, 0
	.set _ZN7rocprim17ROCPRIM_400000_NS6detail17trampoline_kernelINS0_14default_configENS1_25partition_config_selectorILNS1_17partition_subalgoE5EsNS0_10empty_typeEbEEZZNS1_14partition_implILS5_5ELb0ES3_mN6thrust23THRUST_200600_302600_NS6detail15normal_iteratorINSA_10device_ptrIsEEEEPS6_NSA_18transform_iteratorINSB_9not_fun_tI7is_trueIsEEESF_NSA_11use_defaultESM_EENS0_5tupleIJSF_S6_EEENSO_IJSG_SG_EEES6_PlJS6_EEE10hipError_tPvRmT3_T4_T5_T6_T7_T9_mT8_P12ihipStream_tbDpT10_ENKUlT_T0_E_clISt17integral_constantIbLb1EES1A_IbLb0EEEEDaS16_S17_EUlS16_E_NS1_11comp_targetILNS1_3genE2ELNS1_11target_archE906ELNS1_3gpuE6ELNS1_3repE0EEENS1_30default_config_static_selectorELNS0_4arch9wavefront6targetE0EEEvT1_.has_dyn_sized_stack, 0
	.set _ZN7rocprim17ROCPRIM_400000_NS6detail17trampoline_kernelINS0_14default_configENS1_25partition_config_selectorILNS1_17partition_subalgoE5EsNS0_10empty_typeEbEEZZNS1_14partition_implILS5_5ELb0ES3_mN6thrust23THRUST_200600_302600_NS6detail15normal_iteratorINSA_10device_ptrIsEEEEPS6_NSA_18transform_iteratorINSB_9not_fun_tI7is_trueIsEEESF_NSA_11use_defaultESM_EENS0_5tupleIJSF_S6_EEENSO_IJSG_SG_EEES6_PlJS6_EEE10hipError_tPvRmT3_T4_T5_T6_T7_T9_mT8_P12ihipStream_tbDpT10_ENKUlT_T0_E_clISt17integral_constantIbLb1EES1A_IbLb0EEEEDaS16_S17_EUlS16_E_NS1_11comp_targetILNS1_3genE2ELNS1_11target_archE906ELNS1_3gpuE6ELNS1_3repE0EEENS1_30default_config_static_selectorELNS0_4arch9wavefront6targetE0EEEvT1_.has_recursion, 0
	.set _ZN7rocprim17ROCPRIM_400000_NS6detail17trampoline_kernelINS0_14default_configENS1_25partition_config_selectorILNS1_17partition_subalgoE5EsNS0_10empty_typeEbEEZZNS1_14partition_implILS5_5ELb0ES3_mN6thrust23THRUST_200600_302600_NS6detail15normal_iteratorINSA_10device_ptrIsEEEEPS6_NSA_18transform_iteratorINSB_9not_fun_tI7is_trueIsEEESF_NSA_11use_defaultESM_EENS0_5tupleIJSF_S6_EEENSO_IJSG_SG_EEES6_PlJS6_EEE10hipError_tPvRmT3_T4_T5_T6_T7_T9_mT8_P12ihipStream_tbDpT10_ENKUlT_T0_E_clISt17integral_constantIbLb1EES1A_IbLb0EEEEDaS16_S17_EUlS16_E_NS1_11comp_targetILNS1_3genE2ELNS1_11target_archE906ELNS1_3gpuE6ELNS1_3repE0EEENS1_30default_config_static_selectorELNS0_4arch9wavefront6targetE0EEEvT1_.has_indirect_call, 0
	.section	.AMDGPU.csdata,"",@progbits
; Kernel info:
; codeLenInByte = 0
; TotalNumSgprs: 0
; NumVgprs: 0
; ScratchSize: 0
; MemoryBound: 0
; FloatMode: 240
; IeeeMode: 1
; LDSByteSize: 0 bytes/workgroup (compile time only)
; SGPRBlocks: 0
; VGPRBlocks: 0
; NumSGPRsForWavesPerEU: 1
; NumVGPRsForWavesPerEU: 1
; Occupancy: 16
; WaveLimiterHint : 0
; COMPUTE_PGM_RSRC2:SCRATCH_EN: 0
; COMPUTE_PGM_RSRC2:USER_SGPR: 2
; COMPUTE_PGM_RSRC2:TRAP_HANDLER: 0
; COMPUTE_PGM_RSRC2:TGID_X_EN: 1
; COMPUTE_PGM_RSRC2:TGID_Y_EN: 0
; COMPUTE_PGM_RSRC2:TGID_Z_EN: 0
; COMPUTE_PGM_RSRC2:TIDIG_COMP_CNT: 0
	.section	.text._ZN7rocprim17ROCPRIM_400000_NS6detail17trampoline_kernelINS0_14default_configENS1_25partition_config_selectorILNS1_17partition_subalgoE5EsNS0_10empty_typeEbEEZZNS1_14partition_implILS5_5ELb0ES3_mN6thrust23THRUST_200600_302600_NS6detail15normal_iteratorINSA_10device_ptrIsEEEEPS6_NSA_18transform_iteratorINSB_9not_fun_tI7is_trueIsEEESF_NSA_11use_defaultESM_EENS0_5tupleIJSF_S6_EEENSO_IJSG_SG_EEES6_PlJS6_EEE10hipError_tPvRmT3_T4_T5_T6_T7_T9_mT8_P12ihipStream_tbDpT10_ENKUlT_T0_E_clISt17integral_constantIbLb1EES1A_IbLb0EEEEDaS16_S17_EUlS16_E_NS1_11comp_targetILNS1_3genE10ELNS1_11target_archE1200ELNS1_3gpuE4ELNS1_3repE0EEENS1_30default_config_static_selectorELNS0_4arch9wavefront6targetE0EEEvT1_,"axG",@progbits,_ZN7rocprim17ROCPRIM_400000_NS6detail17trampoline_kernelINS0_14default_configENS1_25partition_config_selectorILNS1_17partition_subalgoE5EsNS0_10empty_typeEbEEZZNS1_14partition_implILS5_5ELb0ES3_mN6thrust23THRUST_200600_302600_NS6detail15normal_iteratorINSA_10device_ptrIsEEEEPS6_NSA_18transform_iteratorINSB_9not_fun_tI7is_trueIsEEESF_NSA_11use_defaultESM_EENS0_5tupleIJSF_S6_EEENSO_IJSG_SG_EEES6_PlJS6_EEE10hipError_tPvRmT3_T4_T5_T6_T7_T9_mT8_P12ihipStream_tbDpT10_ENKUlT_T0_E_clISt17integral_constantIbLb1EES1A_IbLb0EEEEDaS16_S17_EUlS16_E_NS1_11comp_targetILNS1_3genE10ELNS1_11target_archE1200ELNS1_3gpuE4ELNS1_3repE0EEENS1_30default_config_static_selectorELNS0_4arch9wavefront6targetE0EEEvT1_,comdat
	.protected	_ZN7rocprim17ROCPRIM_400000_NS6detail17trampoline_kernelINS0_14default_configENS1_25partition_config_selectorILNS1_17partition_subalgoE5EsNS0_10empty_typeEbEEZZNS1_14partition_implILS5_5ELb0ES3_mN6thrust23THRUST_200600_302600_NS6detail15normal_iteratorINSA_10device_ptrIsEEEEPS6_NSA_18transform_iteratorINSB_9not_fun_tI7is_trueIsEEESF_NSA_11use_defaultESM_EENS0_5tupleIJSF_S6_EEENSO_IJSG_SG_EEES6_PlJS6_EEE10hipError_tPvRmT3_T4_T5_T6_T7_T9_mT8_P12ihipStream_tbDpT10_ENKUlT_T0_E_clISt17integral_constantIbLb1EES1A_IbLb0EEEEDaS16_S17_EUlS16_E_NS1_11comp_targetILNS1_3genE10ELNS1_11target_archE1200ELNS1_3gpuE4ELNS1_3repE0EEENS1_30default_config_static_selectorELNS0_4arch9wavefront6targetE0EEEvT1_ ; -- Begin function _ZN7rocprim17ROCPRIM_400000_NS6detail17trampoline_kernelINS0_14default_configENS1_25partition_config_selectorILNS1_17partition_subalgoE5EsNS0_10empty_typeEbEEZZNS1_14partition_implILS5_5ELb0ES3_mN6thrust23THRUST_200600_302600_NS6detail15normal_iteratorINSA_10device_ptrIsEEEEPS6_NSA_18transform_iteratorINSB_9not_fun_tI7is_trueIsEEESF_NSA_11use_defaultESM_EENS0_5tupleIJSF_S6_EEENSO_IJSG_SG_EEES6_PlJS6_EEE10hipError_tPvRmT3_T4_T5_T6_T7_T9_mT8_P12ihipStream_tbDpT10_ENKUlT_T0_E_clISt17integral_constantIbLb1EES1A_IbLb0EEEEDaS16_S17_EUlS16_E_NS1_11comp_targetILNS1_3genE10ELNS1_11target_archE1200ELNS1_3gpuE4ELNS1_3repE0EEENS1_30default_config_static_selectorELNS0_4arch9wavefront6targetE0EEEvT1_
	.globl	_ZN7rocprim17ROCPRIM_400000_NS6detail17trampoline_kernelINS0_14default_configENS1_25partition_config_selectorILNS1_17partition_subalgoE5EsNS0_10empty_typeEbEEZZNS1_14partition_implILS5_5ELb0ES3_mN6thrust23THRUST_200600_302600_NS6detail15normal_iteratorINSA_10device_ptrIsEEEEPS6_NSA_18transform_iteratorINSB_9not_fun_tI7is_trueIsEEESF_NSA_11use_defaultESM_EENS0_5tupleIJSF_S6_EEENSO_IJSG_SG_EEES6_PlJS6_EEE10hipError_tPvRmT3_T4_T5_T6_T7_T9_mT8_P12ihipStream_tbDpT10_ENKUlT_T0_E_clISt17integral_constantIbLb1EES1A_IbLb0EEEEDaS16_S17_EUlS16_E_NS1_11comp_targetILNS1_3genE10ELNS1_11target_archE1200ELNS1_3gpuE4ELNS1_3repE0EEENS1_30default_config_static_selectorELNS0_4arch9wavefront6targetE0EEEvT1_
	.p2align	8
	.type	_ZN7rocprim17ROCPRIM_400000_NS6detail17trampoline_kernelINS0_14default_configENS1_25partition_config_selectorILNS1_17partition_subalgoE5EsNS0_10empty_typeEbEEZZNS1_14partition_implILS5_5ELb0ES3_mN6thrust23THRUST_200600_302600_NS6detail15normal_iteratorINSA_10device_ptrIsEEEEPS6_NSA_18transform_iteratorINSB_9not_fun_tI7is_trueIsEEESF_NSA_11use_defaultESM_EENS0_5tupleIJSF_S6_EEENSO_IJSG_SG_EEES6_PlJS6_EEE10hipError_tPvRmT3_T4_T5_T6_T7_T9_mT8_P12ihipStream_tbDpT10_ENKUlT_T0_E_clISt17integral_constantIbLb1EES1A_IbLb0EEEEDaS16_S17_EUlS16_E_NS1_11comp_targetILNS1_3genE10ELNS1_11target_archE1200ELNS1_3gpuE4ELNS1_3repE0EEENS1_30default_config_static_selectorELNS0_4arch9wavefront6targetE0EEEvT1_,@function
_ZN7rocprim17ROCPRIM_400000_NS6detail17trampoline_kernelINS0_14default_configENS1_25partition_config_selectorILNS1_17partition_subalgoE5EsNS0_10empty_typeEbEEZZNS1_14partition_implILS5_5ELb0ES3_mN6thrust23THRUST_200600_302600_NS6detail15normal_iteratorINSA_10device_ptrIsEEEEPS6_NSA_18transform_iteratorINSB_9not_fun_tI7is_trueIsEEESF_NSA_11use_defaultESM_EENS0_5tupleIJSF_S6_EEENSO_IJSG_SG_EEES6_PlJS6_EEE10hipError_tPvRmT3_T4_T5_T6_T7_T9_mT8_P12ihipStream_tbDpT10_ENKUlT_T0_E_clISt17integral_constantIbLb1EES1A_IbLb0EEEEDaS16_S17_EUlS16_E_NS1_11comp_targetILNS1_3genE10ELNS1_11target_archE1200ELNS1_3gpuE4ELNS1_3repE0EEENS1_30default_config_static_selectorELNS0_4arch9wavefront6targetE0EEEvT1_: ; @_ZN7rocprim17ROCPRIM_400000_NS6detail17trampoline_kernelINS0_14default_configENS1_25partition_config_selectorILNS1_17partition_subalgoE5EsNS0_10empty_typeEbEEZZNS1_14partition_implILS5_5ELb0ES3_mN6thrust23THRUST_200600_302600_NS6detail15normal_iteratorINSA_10device_ptrIsEEEEPS6_NSA_18transform_iteratorINSB_9not_fun_tI7is_trueIsEEESF_NSA_11use_defaultESM_EENS0_5tupleIJSF_S6_EEENSO_IJSG_SG_EEES6_PlJS6_EEE10hipError_tPvRmT3_T4_T5_T6_T7_T9_mT8_P12ihipStream_tbDpT10_ENKUlT_T0_E_clISt17integral_constantIbLb1EES1A_IbLb0EEEEDaS16_S17_EUlS16_E_NS1_11comp_targetILNS1_3genE10ELNS1_11target_archE1200ELNS1_3gpuE4ELNS1_3repE0EEENS1_30default_config_static_selectorELNS0_4arch9wavefront6targetE0EEEvT1_
; %bb.0:
	s_endpgm
	.section	.rodata,"a",@progbits
	.p2align	6, 0x0
	.amdhsa_kernel _ZN7rocprim17ROCPRIM_400000_NS6detail17trampoline_kernelINS0_14default_configENS1_25partition_config_selectorILNS1_17partition_subalgoE5EsNS0_10empty_typeEbEEZZNS1_14partition_implILS5_5ELb0ES3_mN6thrust23THRUST_200600_302600_NS6detail15normal_iteratorINSA_10device_ptrIsEEEEPS6_NSA_18transform_iteratorINSB_9not_fun_tI7is_trueIsEEESF_NSA_11use_defaultESM_EENS0_5tupleIJSF_S6_EEENSO_IJSG_SG_EEES6_PlJS6_EEE10hipError_tPvRmT3_T4_T5_T6_T7_T9_mT8_P12ihipStream_tbDpT10_ENKUlT_T0_E_clISt17integral_constantIbLb1EES1A_IbLb0EEEEDaS16_S17_EUlS16_E_NS1_11comp_targetILNS1_3genE10ELNS1_11target_archE1200ELNS1_3gpuE4ELNS1_3repE0EEENS1_30default_config_static_selectorELNS0_4arch9wavefront6targetE0EEEvT1_
		.amdhsa_group_segment_fixed_size 0
		.amdhsa_private_segment_fixed_size 0
		.amdhsa_kernarg_size 120
		.amdhsa_user_sgpr_count 2
		.amdhsa_user_sgpr_dispatch_ptr 0
		.amdhsa_user_sgpr_queue_ptr 0
		.amdhsa_user_sgpr_kernarg_segment_ptr 1
		.amdhsa_user_sgpr_dispatch_id 0
		.amdhsa_user_sgpr_private_segment_size 0
		.amdhsa_wavefront_size32 1
		.amdhsa_uses_dynamic_stack 0
		.amdhsa_enable_private_segment 0
		.amdhsa_system_sgpr_workgroup_id_x 1
		.amdhsa_system_sgpr_workgroup_id_y 0
		.amdhsa_system_sgpr_workgroup_id_z 0
		.amdhsa_system_sgpr_workgroup_info 0
		.amdhsa_system_vgpr_workitem_id 0
		.amdhsa_next_free_vgpr 1
		.amdhsa_next_free_sgpr 1
		.amdhsa_reserve_vcc 0
		.amdhsa_float_round_mode_32 0
		.amdhsa_float_round_mode_16_64 0
		.amdhsa_float_denorm_mode_32 3
		.amdhsa_float_denorm_mode_16_64 3
		.amdhsa_fp16_overflow 0
		.amdhsa_workgroup_processor_mode 1
		.amdhsa_memory_ordered 1
		.amdhsa_forward_progress 1
		.amdhsa_inst_pref_size 1
		.amdhsa_round_robin_scheduling 0
		.amdhsa_exception_fp_ieee_invalid_op 0
		.amdhsa_exception_fp_denorm_src 0
		.amdhsa_exception_fp_ieee_div_zero 0
		.amdhsa_exception_fp_ieee_overflow 0
		.amdhsa_exception_fp_ieee_underflow 0
		.amdhsa_exception_fp_ieee_inexact 0
		.amdhsa_exception_int_div_zero 0
	.end_amdhsa_kernel
	.section	.text._ZN7rocprim17ROCPRIM_400000_NS6detail17trampoline_kernelINS0_14default_configENS1_25partition_config_selectorILNS1_17partition_subalgoE5EsNS0_10empty_typeEbEEZZNS1_14partition_implILS5_5ELb0ES3_mN6thrust23THRUST_200600_302600_NS6detail15normal_iteratorINSA_10device_ptrIsEEEEPS6_NSA_18transform_iteratorINSB_9not_fun_tI7is_trueIsEEESF_NSA_11use_defaultESM_EENS0_5tupleIJSF_S6_EEENSO_IJSG_SG_EEES6_PlJS6_EEE10hipError_tPvRmT3_T4_T5_T6_T7_T9_mT8_P12ihipStream_tbDpT10_ENKUlT_T0_E_clISt17integral_constantIbLb1EES1A_IbLb0EEEEDaS16_S17_EUlS16_E_NS1_11comp_targetILNS1_3genE10ELNS1_11target_archE1200ELNS1_3gpuE4ELNS1_3repE0EEENS1_30default_config_static_selectorELNS0_4arch9wavefront6targetE0EEEvT1_,"axG",@progbits,_ZN7rocprim17ROCPRIM_400000_NS6detail17trampoline_kernelINS0_14default_configENS1_25partition_config_selectorILNS1_17partition_subalgoE5EsNS0_10empty_typeEbEEZZNS1_14partition_implILS5_5ELb0ES3_mN6thrust23THRUST_200600_302600_NS6detail15normal_iteratorINSA_10device_ptrIsEEEEPS6_NSA_18transform_iteratorINSB_9not_fun_tI7is_trueIsEEESF_NSA_11use_defaultESM_EENS0_5tupleIJSF_S6_EEENSO_IJSG_SG_EEES6_PlJS6_EEE10hipError_tPvRmT3_T4_T5_T6_T7_T9_mT8_P12ihipStream_tbDpT10_ENKUlT_T0_E_clISt17integral_constantIbLb1EES1A_IbLb0EEEEDaS16_S17_EUlS16_E_NS1_11comp_targetILNS1_3genE10ELNS1_11target_archE1200ELNS1_3gpuE4ELNS1_3repE0EEENS1_30default_config_static_selectorELNS0_4arch9wavefront6targetE0EEEvT1_,comdat
.Lfunc_end1554:
	.size	_ZN7rocprim17ROCPRIM_400000_NS6detail17trampoline_kernelINS0_14default_configENS1_25partition_config_selectorILNS1_17partition_subalgoE5EsNS0_10empty_typeEbEEZZNS1_14partition_implILS5_5ELb0ES3_mN6thrust23THRUST_200600_302600_NS6detail15normal_iteratorINSA_10device_ptrIsEEEEPS6_NSA_18transform_iteratorINSB_9not_fun_tI7is_trueIsEEESF_NSA_11use_defaultESM_EENS0_5tupleIJSF_S6_EEENSO_IJSG_SG_EEES6_PlJS6_EEE10hipError_tPvRmT3_T4_T5_T6_T7_T9_mT8_P12ihipStream_tbDpT10_ENKUlT_T0_E_clISt17integral_constantIbLb1EES1A_IbLb0EEEEDaS16_S17_EUlS16_E_NS1_11comp_targetILNS1_3genE10ELNS1_11target_archE1200ELNS1_3gpuE4ELNS1_3repE0EEENS1_30default_config_static_selectorELNS0_4arch9wavefront6targetE0EEEvT1_, .Lfunc_end1554-_ZN7rocprim17ROCPRIM_400000_NS6detail17trampoline_kernelINS0_14default_configENS1_25partition_config_selectorILNS1_17partition_subalgoE5EsNS0_10empty_typeEbEEZZNS1_14partition_implILS5_5ELb0ES3_mN6thrust23THRUST_200600_302600_NS6detail15normal_iteratorINSA_10device_ptrIsEEEEPS6_NSA_18transform_iteratorINSB_9not_fun_tI7is_trueIsEEESF_NSA_11use_defaultESM_EENS0_5tupleIJSF_S6_EEENSO_IJSG_SG_EEES6_PlJS6_EEE10hipError_tPvRmT3_T4_T5_T6_T7_T9_mT8_P12ihipStream_tbDpT10_ENKUlT_T0_E_clISt17integral_constantIbLb1EES1A_IbLb0EEEEDaS16_S17_EUlS16_E_NS1_11comp_targetILNS1_3genE10ELNS1_11target_archE1200ELNS1_3gpuE4ELNS1_3repE0EEENS1_30default_config_static_selectorELNS0_4arch9wavefront6targetE0EEEvT1_
                                        ; -- End function
	.set _ZN7rocprim17ROCPRIM_400000_NS6detail17trampoline_kernelINS0_14default_configENS1_25partition_config_selectorILNS1_17partition_subalgoE5EsNS0_10empty_typeEbEEZZNS1_14partition_implILS5_5ELb0ES3_mN6thrust23THRUST_200600_302600_NS6detail15normal_iteratorINSA_10device_ptrIsEEEEPS6_NSA_18transform_iteratorINSB_9not_fun_tI7is_trueIsEEESF_NSA_11use_defaultESM_EENS0_5tupleIJSF_S6_EEENSO_IJSG_SG_EEES6_PlJS6_EEE10hipError_tPvRmT3_T4_T5_T6_T7_T9_mT8_P12ihipStream_tbDpT10_ENKUlT_T0_E_clISt17integral_constantIbLb1EES1A_IbLb0EEEEDaS16_S17_EUlS16_E_NS1_11comp_targetILNS1_3genE10ELNS1_11target_archE1200ELNS1_3gpuE4ELNS1_3repE0EEENS1_30default_config_static_selectorELNS0_4arch9wavefront6targetE0EEEvT1_.num_vgpr, 0
	.set _ZN7rocprim17ROCPRIM_400000_NS6detail17trampoline_kernelINS0_14default_configENS1_25partition_config_selectorILNS1_17partition_subalgoE5EsNS0_10empty_typeEbEEZZNS1_14partition_implILS5_5ELb0ES3_mN6thrust23THRUST_200600_302600_NS6detail15normal_iteratorINSA_10device_ptrIsEEEEPS6_NSA_18transform_iteratorINSB_9not_fun_tI7is_trueIsEEESF_NSA_11use_defaultESM_EENS0_5tupleIJSF_S6_EEENSO_IJSG_SG_EEES6_PlJS6_EEE10hipError_tPvRmT3_T4_T5_T6_T7_T9_mT8_P12ihipStream_tbDpT10_ENKUlT_T0_E_clISt17integral_constantIbLb1EES1A_IbLb0EEEEDaS16_S17_EUlS16_E_NS1_11comp_targetILNS1_3genE10ELNS1_11target_archE1200ELNS1_3gpuE4ELNS1_3repE0EEENS1_30default_config_static_selectorELNS0_4arch9wavefront6targetE0EEEvT1_.num_agpr, 0
	.set _ZN7rocprim17ROCPRIM_400000_NS6detail17trampoline_kernelINS0_14default_configENS1_25partition_config_selectorILNS1_17partition_subalgoE5EsNS0_10empty_typeEbEEZZNS1_14partition_implILS5_5ELb0ES3_mN6thrust23THRUST_200600_302600_NS6detail15normal_iteratorINSA_10device_ptrIsEEEEPS6_NSA_18transform_iteratorINSB_9not_fun_tI7is_trueIsEEESF_NSA_11use_defaultESM_EENS0_5tupleIJSF_S6_EEENSO_IJSG_SG_EEES6_PlJS6_EEE10hipError_tPvRmT3_T4_T5_T6_T7_T9_mT8_P12ihipStream_tbDpT10_ENKUlT_T0_E_clISt17integral_constantIbLb1EES1A_IbLb0EEEEDaS16_S17_EUlS16_E_NS1_11comp_targetILNS1_3genE10ELNS1_11target_archE1200ELNS1_3gpuE4ELNS1_3repE0EEENS1_30default_config_static_selectorELNS0_4arch9wavefront6targetE0EEEvT1_.numbered_sgpr, 0
	.set _ZN7rocprim17ROCPRIM_400000_NS6detail17trampoline_kernelINS0_14default_configENS1_25partition_config_selectorILNS1_17partition_subalgoE5EsNS0_10empty_typeEbEEZZNS1_14partition_implILS5_5ELb0ES3_mN6thrust23THRUST_200600_302600_NS6detail15normal_iteratorINSA_10device_ptrIsEEEEPS6_NSA_18transform_iteratorINSB_9not_fun_tI7is_trueIsEEESF_NSA_11use_defaultESM_EENS0_5tupleIJSF_S6_EEENSO_IJSG_SG_EEES6_PlJS6_EEE10hipError_tPvRmT3_T4_T5_T6_T7_T9_mT8_P12ihipStream_tbDpT10_ENKUlT_T0_E_clISt17integral_constantIbLb1EES1A_IbLb0EEEEDaS16_S17_EUlS16_E_NS1_11comp_targetILNS1_3genE10ELNS1_11target_archE1200ELNS1_3gpuE4ELNS1_3repE0EEENS1_30default_config_static_selectorELNS0_4arch9wavefront6targetE0EEEvT1_.num_named_barrier, 0
	.set _ZN7rocprim17ROCPRIM_400000_NS6detail17trampoline_kernelINS0_14default_configENS1_25partition_config_selectorILNS1_17partition_subalgoE5EsNS0_10empty_typeEbEEZZNS1_14partition_implILS5_5ELb0ES3_mN6thrust23THRUST_200600_302600_NS6detail15normal_iteratorINSA_10device_ptrIsEEEEPS6_NSA_18transform_iteratorINSB_9not_fun_tI7is_trueIsEEESF_NSA_11use_defaultESM_EENS0_5tupleIJSF_S6_EEENSO_IJSG_SG_EEES6_PlJS6_EEE10hipError_tPvRmT3_T4_T5_T6_T7_T9_mT8_P12ihipStream_tbDpT10_ENKUlT_T0_E_clISt17integral_constantIbLb1EES1A_IbLb0EEEEDaS16_S17_EUlS16_E_NS1_11comp_targetILNS1_3genE10ELNS1_11target_archE1200ELNS1_3gpuE4ELNS1_3repE0EEENS1_30default_config_static_selectorELNS0_4arch9wavefront6targetE0EEEvT1_.private_seg_size, 0
	.set _ZN7rocprim17ROCPRIM_400000_NS6detail17trampoline_kernelINS0_14default_configENS1_25partition_config_selectorILNS1_17partition_subalgoE5EsNS0_10empty_typeEbEEZZNS1_14partition_implILS5_5ELb0ES3_mN6thrust23THRUST_200600_302600_NS6detail15normal_iteratorINSA_10device_ptrIsEEEEPS6_NSA_18transform_iteratorINSB_9not_fun_tI7is_trueIsEEESF_NSA_11use_defaultESM_EENS0_5tupleIJSF_S6_EEENSO_IJSG_SG_EEES6_PlJS6_EEE10hipError_tPvRmT3_T4_T5_T6_T7_T9_mT8_P12ihipStream_tbDpT10_ENKUlT_T0_E_clISt17integral_constantIbLb1EES1A_IbLb0EEEEDaS16_S17_EUlS16_E_NS1_11comp_targetILNS1_3genE10ELNS1_11target_archE1200ELNS1_3gpuE4ELNS1_3repE0EEENS1_30default_config_static_selectorELNS0_4arch9wavefront6targetE0EEEvT1_.uses_vcc, 0
	.set _ZN7rocprim17ROCPRIM_400000_NS6detail17trampoline_kernelINS0_14default_configENS1_25partition_config_selectorILNS1_17partition_subalgoE5EsNS0_10empty_typeEbEEZZNS1_14partition_implILS5_5ELb0ES3_mN6thrust23THRUST_200600_302600_NS6detail15normal_iteratorINSA_10device_ptrIsEEEEPS6_NSA_18transform_iteratorINSB_9not_fun_tI7is_trueIsEEESF_NSA_11use_defaultESM_EENS0_5tupleIJSF_S6_EEENSO_IJSG_SG_EEES6_PlJS6_EEE10hipError_tPvRmT3_T4_T5_T6_T7_T9_mT8_P12ihipStream_tbDpT10_ENKUlT_T0_E_clISt17integral_constantIbLb1EES1A_IbLb0EEEEDaS16_S17_EUlS16_E_NS1_11comp_targetILNS1_3genE10ELNS1_11target_archE1200ELNS1_3gpuE4ELNS1_3repE0EEENS1_30default_config_static_selectorELNS0_4arch9wavefront6targetE0EEEvT1_.uses_flat_scratch, 0
	.set _ZN7rocprim17ROCPRIM_400000_NS6detail17trampoline_kernelINS0_14default_configENS1_25partition_config_selectorILNS1_17partition_subalgoE5EsNS0_10empty_typeEbEEZZNS1_14partition_implILS5_5ELb0ES3_mN6thrust23THRUST_200600_302600_NS6detail15normal_iteratorINSA_10device_ptrIsEEEEPS6_NSA_18transform_iteratorINSB_9not_fun_tI7is_trueIsEEESF_NSA_11use_defaultESM_EENS0_5tupleIJSF_S6_EEENSO_IJSG_SG_EEES6_PlJS6_EEE10hipError_tPvRmT3_T4_T5_T6_T7_T9_mT8_P12ihipStream_tbDpT10_ENKUlT_T0_E_clISt17integral_constantIbLb1EES1A_IbLb0EEEEDaS16_S17_EUlS16_E_NS1_11comp_targetILNS1_3genE10ELNS1_11target_archE1200ELNS1_3gpuE4ELNS1_3repE0EEENS1_30default_config_static_selectorELNS0_4arch9wavefront6targetE0EEEvT1_.has_dyn_sized_stack, 0
	.set _ZN7rocprim17ROCPRIM_400000_NS6detail17trampoline_kernelINS0_14default_configENS1_25partition_config_selectorILNS1_17partition_subalgoE5EsNS0_10empty_typeEbEEZZNS1_14partition_implILS5_5ELb0ES3_mN6thrust23THRUST_200600_302600_NS6detail15normal_iteratorINSA_10device_ptrIsEEEEPS6_NSA_18transform_iteratorINSB_9not_fun_tI7is_trueIsEEESF_NSA_11use_defaultESM_EENS0_5tupleIJSF_S6_EEENSO_IJSG_SG_EEES6_PlJS6_EEE10hipError_tPvRmT3_T4_T5_T6_T7_T9_mT8_P12ihipStream_tbDpT10_ENKUlT_T0_E_clISt17integral_constantIbLb1EES1A_IbLb0EEEEDaS16_S17_EUlS16_E_NS1_11comp_targetILNS1_3genE10ELNS1_11target_archE1200ELNS1_3gpuE4ELNS1_3repE0EEENS1_30default_config_static_selectorELNS0_4arch9wavefront6targetE0EEEvT1_.has_recursion, 0
	.set _ZN7rocprim17ROCPRIM_400000_NS6detail17trampoline_kernelINS0_14default_configENS1_25partition_config_selectorILNS1_17partition_subalgoE5EsNS0_10empty_typeEbEEZZNS1_14partition_implILS5_5ELb0ES3_mN6thrust23THRUST_200600_302600_NS6detail15normal_iteratorINSA_10device_ptrIsEEEEPS6_NSA_18transform_iteratorINSB_9not_fun_tI7is_trueIsEEESF_NSA_11use_defaultESM_EENS0_5tupleIJSF_S6_EEENSO_IJSG_SG_EEES6_PlJS6_EEE10hipError_tPvRmT3_T4_T5_T6_T7_T9_mT8_P12ihipStream_tbDpT10_ENKUlT_T0_E_clISt17integral_constantIbLb1EES1A_IbLb0EEEEDaS16_S17_EUlS16_E_NS1_11comp_targetILNS1_3genE10ELNS1_11target_archE1200ELNS1_3gpuE4ELNS1_3repE0EEENS1_30default_config_static_selectorELNS0_4arch9wavefront6targetE0EEEvT1_.has_indirect_call, 0
	.section	.AMDGPU.csdata,"",@progbits
; Kernel info:
; codeLenInByte = 4
; TotalNumSgprs: 0
; NumVgprs: 0
; ScratchSize: 0
; MemoryBound: 0
; FloatMode: 240
; IeeeMode: 1
; LDSByteSize: 0 bytes/workgroup (compile time only)
; SGPRBlocks: 0
; VGPRBlocks: 0
; NumSGPRsForWavesPerEU: 1
; NumVGPRsForWavesPerEU: 1
; Occupancy: 16
; WaveLimiterHint : 0
; COMPUTE_PGM_RSRC2:SCRATCH_EN: 0
; COMPUTE_PGM_RSRC2:USER_SGPR: 2
; COMPUTE_PGM_RSRC2:TRAP_HANDLER: 0
; COMPUTE_PGM_RSRC2:TGID_X_EN: 1
; COMPUTE_PGM_RSRC2:TGID_Y_EN: 0
; COMPUTE_PGM_RSRC2:TGID_Z_EN: 0
; COMPUTE_PGM_RSRC2:TIDIG_COMP_CNT: 0
	.section	.text._ZN7rocprim17ROCPRIM_400000_NS6detail17trampoline_kernelINS0_14default_configENS1_25partition_config_selectorILNS1_17partition_subalgoE5EsNS0_10empty_typeEbEEZZNS1_14partition_implILS5_5ELb0ES3_mN6thrust23THRUST_200600_302600_NS6detail15normal_iteratorINSA_10device_ptrIsEEEEPS6_NSA_18transform_iteratorINSB_9not_fun_tI7is_trueIsEEESF_NSA_11use_defaultESM_EENS0_5tupleIJSF_S6_EEENSO_IJSG_SG_EEES6_PlJS6_EEE10hipError_tPvRmT3_T4_T5_T6_T7_T9_mT8_P12ihipStream_tbDpT10_ENKUlT_T0_E_clISt17integral_constantIbLb1EES1A_IbLb0EEEEDaS16_S17_EUlS16_E_NS1_11comp_targetILNS1_3genE9ELNS1_11target_archE1100ELNS1_3gpuE3ELNS1_3repE0EEENS1_30default_config_static_selectorELNS0_4arch9wavefront6targetE0EEEvT1_,"axG",@progbits,_ZN7rocprim17ROCPRIM_400000_NS6detail17trampoline_kernelINS0_14default_configENS1_25partition_config_selectorILNS1_17partition_subalgoE5EsNS0_10empty_typeEbEEZZNS1_14partition_implILS5_5ELb0ES3_mN6thrust23THRUST_200600_302600_NS6detail15normal_iteratorINSA_10device_ptrIsEEEEPS6_NSA_18transform_iteratorINSB_9not_fun_tI7is_trueIsEEESF_NSA_11use_defaultESM_EENS0_5tupleIJSF_S6_EEENSO_IJSG_SG_EEES6_PlJS6_EEE10hipError_tPvRmT3_T4_T5_T6_T7_T9_mT8_P12ihipStream_tbDpT10_ENKUlT_T0_E_clISt17integral_constantIbLb1EES1A_IbLb0EEEEDaS16_S17_EUlS16_E_NS1_11comp_targetILNS1_3genE9ELNS1_11target_archE1100ELNS1_3gpuE3ELNS1_3repE0EEENS1_30default_config_static_selectorELNS0_4arch9wavefront6targetE0EEEvT1_,comdat
	.protected	_ZN7rocprim17ROCPRIM_400000_NS6detail17trampoline_kernelINS0_14default_configENS1_25partition_config_selectorILNS1_17partition_subalgoE5EsNS0_10empty_typeEbEEZZNS1_14partition_implILS5_5ELb0ES3_mN6thrust23THRUST_200600_302600_NS6detail15normal_iteratorINSA_10device_ptrIsEEEEPS6_NSA_18transform_iteratorINSB_9not_fun_tI7is_trueIsEEESF_NSA_11use_defaultESM_EENS0_5tupleIJSF_S6_EEENSO_IJSG_SG_EEES6_PlJS6_EEE10hipError_tPvRmT3_T4_T5_T6_T7_T9_mT8_P12ihipStream_tbDpT10_ENKUlT_T0_E_clISt17integral_constantIbLb1EES1A_IbLb0EEEEDaS16_S17_EUlS16_E_NS1_11comp_targetILNS1_3genE9ELNS1_11target_archE1100ELNS1_3gpuE3ELNS1_3repE0EEENS1_30default_config_static_selectorELNS0_4arch9wavefront6targetE0EEEvT1_ ; -- Begin function _ZN7rocprim17ROCPRIM_400000_NS6detail17trampoline_kernelINS0_14default_configENS1_25partition_config_selectorILNS1_17partition_subalgoE5EsNS0_10empty_typeEbEEZZNS1_14partition_implILS5_5ELb0ES3_mN6thrust23THRUST_200600_302600_NS6detail15normal_iteratorINSA_10device_ptrIsEEEEPS6_NSA_18transform_iteratorINSB_9not_fun_tI7is_trueIsEEESF_NSA_11use_defaultESM_EENS0_5tupleIJSF_S6_EEENSO_IJSG_SG_EEES6_PlJS6_EEE10hipError_tPvRmT3_T4_T5_T6_T7_T9_mT8_P12ihipStream_tbDpT10_ENKUlT_T0_E_clISt17integral_constantIbLb1EES1A_IbLb0EEEEDaS16_S17_EUlS16_E_NS1_11comp_targetILNS1_3genE9ELNS1_11target_archE1100ELNS1_3gpuE3ELNS1_3repE0EEENS1_30default_config_static_selectorELNS0_4arch9wavefront6targetE0EEEvT1_
	.globl	_ZN7rocprim17ROCPRIM_400000_NS6detail17trampoline_kernelINS0_14default_configENS1_25partition_config_selectorILNS1_17partition_subalgoE5EsNS0_10empty_typeEbEEZZNS1_14partition_implILS5_5ELb0ES3_mN6thrust23THRUST_200600_302600_NS6detail15normal_iteratorINSA_10device_ptrIsEEEEPS6_NSA_18transform_iteratorINSB_9not_fun_tI7is_trueIsEEESF_NSA_11use_defaultESM_EENS0_5tupleIJSF_S6_EEENSO_IJSG_SG_EEES6_PlJS6_EEE10hipError_tPvRmT3_T4_T5_T6_T7_T9_mT8_P12ihipStream_tbDpT10_ENKUlT_T0_E_clISt17integral_constantIbLb1EES1A_IbLb0EEEEDaS16_S17_EUlS16_E_NS1_11comp_targetILNS1_3genE9ELNS1_11target_archE1100ELNS1_3gpuE3ELNS1_3repE0EEENS1_30default_config_static_selectorELNS0_4arch9wavefront6targetE0EEEvT1_
	.p2align	8
	.type	_ZN7rocprim17ROCPRIM_400000_NS6detail17trampoline_kernelINS0_14default_configENS1_25partition_config_selectorILNS1_17partition_subalgoE5EsNS0_10empty_typeEbEEZZNS1_14partition_implILS5_5ELb0ES3_mN6thrust23THRUST_200600_302600_NS6detail15normal_iteratorINSA_10device_ptrIsEEEEPS6_NSA_18transform_iteratorINSB_9not_fun_tI7is_trueIsEEESF_NSA_11use_defaultESM_EENS0_5tupleIJSF_S6_EEENSO_IJSG_SG_EEES6_PlJS6_EEE10hipError_tPvRmT3_T4_T5_T6_T7_T9_mT8_P12ihipStream_tbDpT10_ENKUlT_T0_E_clISt17integral_constantIbLb1EES1A_IbLb0EEEEDaS16_S17_EUlS16_E_NS1_11comp_targetILNS1_3genE9ELNS1_11target_archE1100ELNS1_3gpuE3ELNS1_3repE0EEENS1_30default_config_static_selectorELNS0_4arch9wavefront6targetE0EEEvT1_,@function
_ZN7rocprim17ROCPRIM_400000_NS6detail17trampoline_kernelINS0_14default_configENS1_25partition_config_selectorILNS1_17partition_subalgoE5EsNS0_10empty_typeEbEEZZNS1_14partition_implILS5_5ELb0ES3_mN6thrust23THRUST_200600_302600_NS6detail15normal_iteratorINSA_10device_ptrIsEEEEPS6_NSA_18transform_iteratorINSB_9not_fun_tI7is_trueIsEEESF_NSA_11use_defaultESM_EENS0_5tupleIJSF_S6_EEENSO_IJSG_SG_EEES6_PlJS6_EEE10hipError_tPvRmT3_T4_T5_T6_T7_T9_mT8_P12ihipStream_tbDpT10_ENKUlT_T0_E_clISt17integral_constantIbLb1EES1A_IbLb0EEEEDaS16_S17_EUlS16_E_NS1_11comp_targetILNS1_3genE9ELNS1_11target_archE1100ELNS1_3gpuE3ELNS1_3repE0EEENS1_30default_config_static_selectorELNS0_4arch9wavefront6targetE0EEEvT1_: ; @_ZN7rocprim17ROCPRIM_400000_NS6detail17trampoline_kernelINS0_14default_configENS1_25partition_config_selectorILNS1_17partition_subalgoE5EsNS0_10empty_typeEbEEZZNS1_14partition_implILS5_5ELb0ES3_mN6thrust23THRUST_200600_302600_NS6detail15normal_iteratorINSA_10device_ptrIsEEEEPS6_NSA_18transform_iteratorINSB_9not_fun_tI7is_trueIsEEESF_NSA_11use_defaultESM_EENS0_5tupleIJSF_S6_EEENSO_IJSG_SG_EEES6_PlJS6_EEE10hipError_tPvRmT3_T4_T5_T6_T7_T9_mT8_P12ihipStream_tbDpT10_ENKUlT_T0_E_clISt17integral_constantIbLb1EES1A_IbLb0EEEEDaS16_S17_EUlS16_E_NS1_11comp_targetILNS1_3genE9ELNS1_11target_archE1100ELNS1_3gpuE3ELNS1_3repE0EEENS1_30default_config_static_selectorELNS0_4arch9wavefront6targetE0EEEvT1_
; %bb.0:
	.section	.rodata,"a",@progbits
	.p2align	6, 0x0
	.amdhsa_kernel _ZN7rocprim17ROCPRIM_400000_NS6detail17trampoline_kernelINS0_14default_configENS1_25partition_config_selectorILNS1_17partition_subalgoE5EsNS0_10empty_typeEbEEZZNS1_14partition_implILS5_5ELb0ES3_mN6thrust23THRUST_200600_302600_NS6detail15normal_iteratorINSA_10device_ptrIsEEEEPS6_NSA_18transform_iteratorINSB_9not_fun_tI7is_trueIsEEESF_NSA_11use_defaultESM_EENS0_5tupleIJSF_S6_EEENSO_IJSG_SG_EEES6_PlJS6_EEE10hipError_tPvRmT3_T4_T5_T6_T7_T9_mT8_P12ihipStream_tbDpT10_ENKUlT_T0_E_clISt17integral_constantIbLb1EES1A_IbLb0EEEEDaS16_S17_EUlS16_E_NS1_11comp_targetILNS1_3genE9ELNS1_11target_archE1100ELNS1_3gpuE3ELNS1_3repE0EEENS1_30default_config_static_selectorELNS0_4arch9wavefront6targetE0EEEvT1_
		.amdhsa_group_segment_fixed_size 0
		.amdhsa_private_segment_fixed_size 0
		.amdhsa_kernarg_size 120
		.amdhsa_user_sgpr_count 2
		.amdhsa_user_sgpr_dispatch_ptr 0
		.amdhsa_user_sgpr_queue_ptr 0
		.amdhsa_user_sgpr_kernarg_segment_ptr 1
		.amdhsa_user_sgpr_dispatch_id 0
		.amdhsa_user_sgpr_private_segment_size 0
		.amdhsa_wavefront_size32 1
		.amdhsa_uses_dynamic_stack 0
		.amdhsa_enable_private_segment 0
		.amdhsa_system_sgpr_workgroup_id_x 1
		.amdhsa_system_sgpr_workgroup_id_y 0
		.amdhsa_system_sgpr_workgroup_id_z 0
		.amdhsa_system_sgpr_workgroup_info 0
		.amdhsa_system_vgpr_workitem_id 0
		.amdhsa_next_free_vgpr 1
		.amdhsa_next_free_sgpr 1
		.amdhsa_reserve_vcc 0
		.amdhsa_float_round_mode_32 0
		.amdhsa_float_round_mode_16_64 0
		.amdhsa_float_denorm_mode_32 3
		.amdhsa_float_denorm_mode_16_64 3
		.amdhsa_fp16_overflow 0
		.amdhsa_workgroup_processor_mode 1
		.amdhsa_memory_ordered 1
		.amdhsa_forward_progress 1
		.amdhsa_inst_pref_size 0
		.amdhsa_round_robin_scheduling 0
		.amdhsa_exception_fp_ieee_invalid_op 0
		.amdhsa_exception_fp_denorm_src 0
		.amdhsa_exception_fp_ieee_div_zero 0
		.amdhsa_exception_fp_ieee_overflow 0
		.amdhsa_exception_fp_ieee_underflow 0
		.amdhsa_exception_fp_ieee_inexact 0
		.amdhsa_exception_int_div_zero 0
	.end_amdhsa_kernel
	.section	.text._ZN7rocprim17ROCPRIM_400000_NS6detail17trampoline_kernelINS0_14default_configENS1_25partition_config_selectorILNS1_17partition_subalgoE5EsNS0_10empty_typeEbEEZZNS1_14partition_implILS5_5ELb0ES3_mN6thrust23THRUST_200600_302600_NS6detail15normal_iteratorINSA_10device_ptrIsEEEEPS6_NSA_18transform_iteratorINSB_9not_fun_tI7is_trueIsEEESF_NSA_11use_defaultESM_EENS0_5tupleIJSF_S6_EEENSO_IJSG_SG_EEES6_PlJS6_EEE10hipError_tPvRmT3_T4_T5_T6_T7_T9_mT8_P12ihipStream_tbDpT10_ENKUlT_T0_E_clISt17integral_constantIbLb1EES1A_IbLb0EEEEDaS16_S17_EUlS16_E_NS1_11comp_targetILNS1_3genE9ELNS1_11target_archE1100ELNS1_3gpuE3ELNS1_3repE0EEENS1_30default_config_static_selectorELNS0_4arch9wavefront6targetE0EEEvT1_,"axG",@progbits,_ZN7rocprim17ROCPRIM_400000_NS6detail17trampoline_kernelINS0_14default_configENS1_25partition_config_selectorILNS1_17partition_subalgoE5EsNS0_10empty_typeEbEEZZNS1_14partition_implILS5_5ELb0ES3_mN6thrust23THRUST_200600_302600_NS6detail15normal_iteratorINSA_10device_ptrIsEEEEPS6_NSA_18transform_iteratorINSB_9not_fun_tI7is_trueIsEEESF_NSA_11use_defaultESM_EENS0_5tupleIJSF_S6_EEENSO_IJSG_SG_EEES6_PlJS6_EEE10hipError_tPvRmT3_T4_T5_T6_T7_T9_mT8_P12ihipStream_tbDpT10_ENKUlT_T0_E_clISt17integral_constantIbLb1EES1A_IbLb0EEEEDaS16_S17_EUlS16_E_NS1_11comp_targetILNS1_3genE9ELNS1_11target_archE1100ELNS1_3gpuE3ELNS1_3repE0EEENS1_30default_config_static_selectorELNS0_4arch9wavefront6targetE0EEEvT1_,comdat
.Lfunc_end1555:
	.size	_ZN7rocprim17ROCPRIM_400000_NS6detail17trampoline_kernelINS0_14default_configENS1_25partition_config_selectorILNS1_17partition_subalgoE5EsNS0_10empty_typeEbEEZZNS1_14partition_implILS5_5ELb0ES3_mN6thrust23THRUST_200600_302600_NS6detail15normal_iteratorINSA_10device_ptrIsEEEEPS6_NSA_18transform_iteratorINSB_9not_fun_tI7is_trueIsEEESF_NSA_11use_defaultESM_EENS0_5tupleIJSF_S6_EEENSO_IJSG_SG_EEES6_PlJS6_EEE10hipError_tPvRmT3_T4_T5_T6_T7_T9_mT8_P12ihipStream_tbDpT10_ENKUlT_T0_E_clISt17integral_constantIbLb1EES1A_IbLb0EEEEDaS16_S17_EUlS16_E_NS1_11comp_targetILNS1_3genE9ELNS1_11target_archE1100ELNS1_3gpuE3ELNS1_3repE0EEENS1_30default_config_static_selectorELNS0_4arch9wavefront6targetE0EEEvT1_, .Lfunc_end1555-_ZN7rocprim17ROCPRIM_400000_NS6detail17trampoline_kernelINS0_14default_configENS1_25partition_config_selectorILNS1_17partition_subalgoE5EsNS0_10empty_typeEbEEZZNS1_14partition_implILS5_5ELb0ES3_mN6thrust23THRUST_200600_302600_NS6detail15normal_iteratorINSA_10device_ptrIsEEEEPS6_NSA_18transform_iteratorINSB_9not_fun_tI7is_trueIsEEESF_NSA_11use_defaultESM_EENS0_5tupleIJSF_S6_EEENSO_IJSG_SG_EEES6_PlJS6_EEE10hipError_tPvRmT3_T4_T5_T6_T7_T9_mT8_P12ihipStream_tbDpT10_ENKUlT_T0_E_clISt17integral_constantIbLb1EES1A_IbLb0EEEEDaS16_S17_EUlS16_E_NS1_11comp_targetILNS1_3genE9ELNS1_11target_archE1100ELNS1_3gpuE3ELNS1_3repE0EEENS1_30default_config_static_selectorELNS0_4arch9wavefront6targetE0EEEvT1_
                                        ; -- End function
	.set _ZN7rocprim17ROCPRIM_400000_NS6detail17trampoline_kernelINS0_14default_configENS1_25partition_config_selectorILNS1_17partition_subalgoE5EsNS0_10empty_typeEbEEZZNS1_14partition_implILS5_5ELb0ES3_mN6thrust23THRUST_200600_302600_NS6detail15normal_iteratorINSA_10device_ptrIsEEEEPS6_NSA_18transform_iteratorINSB_9not_fun_tI7is_trueIsEEESF_NSA_11use_defaultESM_EENS0_5tupleIJSF_S6_EEENSO_IJSG_SG_EEES6_PlJS6_EEE10hipError_tPvRmT3_T4_T5_T6_T7_T9_mT8_P12ihipStream_tbDpT10_ENKUlT_T0_E_clISt17integral_constantIbLb1EES1A_IbLb0EEEEDaS16_S17_EUlS16_E_NS1_11comp_targetILNS1_3genE9ELNS1_11target_archE1100ELNS1_3gpuE3ELNS1_3repE0EEENS1_30default_config_static_selectorELNS0_4arch9wavefront6targetE0EEEvT1_.num_vgpr, 0
	.set _ZN7rocprim17ROCPRIM_400000_NS6detail17trampoline_kernelINS0_14default_configENS1_25partition_config_selectorILNS1_17partition_subalgoE5EsNS0_10empty_typeEbEEZZNS1_14partition_implILS5_5ELb0ES3_mN6thrust23THRUST_200600_302600_NS6detail15normal_iteratorINSA_10device_ptrIsEEEEPS6_NSA_18transform_iteratorINSB_9not_fun_tI7is_trueIsEEESF_NSA_11use_defaultESM_EENS0_5tupleIJSF_S6_EEENSO_IJSG_SG_EEES6_PlJS6_EEE10hipError_tPvRmT3_T4_T5_T6_T7_T9_mT8_P12ihipStream_tbDpT10_ENKUlT_T0_E_clISt17integral_constantIbLb1EES1A_IbLb0EEEEDaS16_S17_EUlS16_E_NS1_11comp_targetILNS1_3genE9ELNS1_11target_archE1100ELNS1_3gpuE3ELNS1_3repE0EEENS1_30default_config_static_selectorELNS0_4arch9wavefront6targetE0EEEvT1_.num_agpr, 0
	.set _ZN7rocprim17ROCPRIM_400000_NS6detail17trampoline_kernelINS0_14default_configENS1_25partition_config_selectorILNS1_17partition_subalgoE5EsNS0_10empty_typeEbEEZZNS1_14partition_implILS5_5ELb0ES3_mN6thrust23THRUST_200600_302600_NS6detail15normal_iteratorINSA_10device_ptrIsEEEEPS6_NSA_18transform_iteratorINSB_9not_fun_tI7is_trueIsEEESF_NSA_11use_defaultESM_EENS0_5tupleIJSF_S6_EEENSO_IJSG_SG_EEES6_PlJS6_EEE10hipError_tPvRmT3_T4_T5_T6_T7_T9_mT8_P12ihipStream_tbDpT10_ENKUlT_T0_E_clISt17integral_constantIbLb1EES1A_IbLb0EEEEDaS16_S17_EUlS16_E_NS1_11comp_targetILNS1_3genE9ELNS1_11target_archE1100ELNS1_3gpuE3ELNS1_3repE0EEENS1_30default_config_static_selectorELNS0_4arch9wavefront6targetE0EEEvT1_.numbered_sgpr, 0
	.set _ZN7rocprim17ROCPRIM_400000_NS6detail17trampoline_kernelINS0_14default_configENS1_25partition_config_selectorILNS1_17partition_subalgoE5EsNS0_10empty_typeEbEEZZNS1_14partition_implILS5_5ELb0ES3_mN6thrust23THRUST_200600_302600_NS6detail15normal_iteratorINSA_10device_ptrIsEEEEPS6_NSA_18transform_iteratorINSB_9not_fun_tI7is_trueIsEEESF_NSA_11use_defaultESM_EENS0_5tupleIJSF_S6_EEENSO_IJSG_SG_EEES6_PlJS6_EEE10hipError_tPvRmT3_T4_T5_T6_T7_T9_mT8_P12ihipStream_tbDpT10_ENKUlT_T0_E_clISt17integral_constantIbLb1EES1A_IbLb0EEEEDaS16_S17_EUlS16_E_NS1_11comp_targetILNS1_3genE9ELNS1_11target_archE1100ELNS1_3gpuE3ELNS1_3repE0EEENS1_30default_config_static_selectorELNS0_4arch9wavefront6targetE0EEEvT1_.num_named_barrier, 0
	.set _ZN7rocprim17ROCPRIM_400000_NS6detail17trampoline_kernelINS0_14default_configENS1_25partition_config_selectorILNS1_17partition_subalgoE5EsNS0_10empty_typeEbEEZZNS1_14partition_implILS5_5ELb0ES3_mN6thrust23THRUST_200600_302600_NS6detail15normal_iteratorINSA_10device_ptrIsEEEEPS6_NSA_18transform_iteratorINSB_9not_fun_tI7is_trueIsEEESF_NSA_11use_defaultESM_EENS0_5tupleIJSF_S6_EEENSO_IJSG_SG_EEES6_PlJS6_EEE10hipError_tPvRmT3_T4_T5_T6_T7_T9_mT8_P12ihipStream_tbDpT10_ENKUlT_T0_E_clISt17integral_constantIbLb1EES1A_IbLb0EEEEDaS16_S17_EUlS16_E_NS1_11comp_targetILNS1_3genE9ELNS1_11target_archE1100ELNS1_3gpuE3ELNS1_3repE0EEENS1_30default_config_static_selectorELNS0_4arch9wavefront6targetE0EEEvT1_.private_seg_size, 0
	.set _ZN7rocprim17ROCPRIM_400000_NS6detail17trampoline_kernelINS0_14default_configENS1_25partition_config_selectorILNS1_17partition_subalgoE5EsNS0_10empty_typeEbEEZZNS1_14partition_implILS5_5ELb0ES3_mN6thrust23THRUST_200600_302600_NS6detail15normal_iteratorINSA_10device_ptrIsEEEEPS6_NSA_18transform_iteratorINSB_9not_fun_tI7is_trueIsEEESF_NSA_11use_defaultESM_EENS0_5tupleIJSF_S6_EEENSO_IJSG_SG_EEES6_PlJS6_EEE10hipError_tPvRmT3_T4_T5_T6_T7_T9_mT8_P12ihipStream_tbDpT10_ENKUlT_T0_E_clISt17integral_constantIbLb1EES1A_IbLb0EEEEDaS16_S17_EUlS16_E_NS1_11comp_targetILNS1_3genE9ELNS1_11target_archE1100ELNS1_3gpuE3ELNS1_3repE0EEENS1_30default_config_static_selectorELNS0_4arch9wavefront6targetE0EEEvT1_.uses_vcc, 0
	.set _ZN7rocprim17ROCPRIM_400000_NS6detail17trampoline_kernelINS0_14default_configENS1_25partition_config_selectorILNS1_17partition_subalgoE5EsNS0_10empty_typeEbEEZZNS1_14partition_implILS5_5ELb0ES3_mN6thrust23THRUST_200600_302600_NS6detail15normal_iteratorINSA_10device_ptrIsEEEEPS6_NSA_18transform_iteratorINSB_9not_fun_tI7is_trueIsEEESF_NSA_11use_defaultESM_EENS0_5tupleIJSF_S6_EEENSO_IJSG_SG_EEES6_PlJS6_EEE10hipError_tPvRmT3_T4_T5_T6_T7_T9_mT8_P12ihipStream_tbDpT10_ENKUlT_T0_E_clISt17integral_constantIbLb1EES1A_IbLb0EEEEDaS16_S17_EUlS16_E_NS1_11comp_targetILNS1_3genE9ELNS1_11target_archE1100ELNS1_3gpuE3ELNS1_3repE0EEENS1_30default_config_static_selectorELNS0_4arch9wavefront6targetE0EEEvT1_.uses_flat_scratch, 0
	.set _ZN7rocprim17ROCPRIM_400000_NS6detail17trampoline_kernelINS0_14default_configENS1_25partition_config_selectorILNS1_17partition_subalgoE5EsNS0_10empty_typeEbEEZZNS1_14partition_implILS5_5ELb0ES3_mN6thrust23THRUST_200600_302600_NS6detail15normal_iteratorINSA_10device_ptrIsEEEEPS6_NSA_18transform_iteratorINSB_9not_fun_tI7is_trueIsEEESF_NSA_11use_defaultESM_EENS0_5tupleIJSF_S6_EEENSO_IJSG_SG_EEES6_PlJS6_EEE10hipError_tPvRmT3_T4_T5_T6_T7_T9_mT8_P12ihipStream_tbDpT10_ENKUlT_T0_E_clISt17integral_constantIbLb1EES1A_IbLb0EEEEDaS16_S17_EUlS16_E_NS1_11comp_targetILNS1_3genE9ELNS1_11target_archE1100ELNS1_3gpuE3ELNS1_3repE0EEENS1_30default_config_static_selectorELNS0_4arch9wavefront6targetE0EEEvT1_.has_dyn_sized_stack, 0
	.set _ZN7rocprim17ROCPRIM_400000_NS6detail17trampoline_kernelINS0_14default_configENS1_25partition_config_selectorILNS1_17partition_subalgoE5EsNS0_10empty_typeEbEEZZNS1_14partition_implILS5_5ELb0ES3_mN6thrust23THRUST_200600_302600_NS6detail15normal_iteratorINSA_10device_ptrIsEEEEPS6_NSA_18transform_iteratorINSB_9not_fun_tI7is_trueIsEEESF_NSA_11use_defaultESM_EENS0_5tupleIJSF_S6_EEENSO_IJSG_SG_EEES6_PlJS6_EEE10hipError_tPvRmT3_T4_T5_T6_T7_T9_mT8_P12ihipStream_tbDpT10_ENKUlT_T0_E_clISt17integral_constantIbLb1EES1A_IbLb0EEEEDaS16_S17_EUlS16_E_NS1_11comp_targetILNS1_3genE9ELNS1_11target_archE1100ELNS1_3gpuE3ELNS1_3repE0EEENS1_30default_config_static_selectorELNS0_4arch9wavefront6targetE0EEEvT1_.has_recursion, 0
	.set _ZN7rocprim17ROCPRIM_400000_NS6detail17trampoline_kernelINS0_14default_configENS1_25partition_config_selectorILNS1_17partition_subalgoE5EsNS0_10empty_typeEbEEZZNS1_14partition_implILS5_5ELb0ES3_mN6thrust23THRUST_200600_302600_NS6detail15normal_iteratorINSA_10device_ptrIsEEEEPS6_NSA_18transform_iteratorINSB_9not_fun_tI7is_trueIsEEESF_NSA_11use_defaultESM_EENS0_5tupleIJSF_S6_EEENSO_IJSG_SG_EEES6_PlJS6_EEE10hipError_tPvRmT3_T4_T5_T6_T7_T9_mT8_P12ihipStream_tbDpT10_ENKUlT_T0_E_clISt17integral_constantIbLb1EES1A_IbLb0EEEEDaS16_S17_EUlS16_E_NS1_11comp_targetILNS1_3genE9ELNS1_11target_archE1100ELNS1_3gpuE3ELNS1_3repE0EEENS1_30default_config_static_selectorELNS0_4arch9wavefront6targetE0EEEvT1_.has_indirect_call, 0
	.section	.AMDGPU.csdata,"",@progbits
; Kernel info:
; codeLenInByte = 0
; TotalNumSgprs: 0
; NumVgprs: 0
; ScratchSize: 0
; MemoryBound: 0
; FloatMode: 240
; IeeeMode: 1
; LDSByteSize: 0 bytes/workgroup (compile time only)
; SGPRBlocks: 0
; VGPRBlocks: 0
; NumSGPRsForWavesPerEU: 1
; NumVGPRsForWavesPerEU: 1
; Occupancy: 16
; WaveLimiterHint : 0
; COMPUTE_PGM_RSRC2:SCRATCH_EN: 0
; COMPUTE_PGM_RSRC2:USER_SGPR: 2
; COMPUTE_PGM_RSRC2:TRAP_HANDLER: 0
; COMPUTE_PGM_RSRC2:TGID_X_EN: 1
; COMPUTE_PGM_RSRC2:TGID_Y_EN: 0
; COMPUTE_PGM_RSRC2:TGID_Z_EN: 0
; COMPUTE_PGM_RSRC2:TIDIG_COMP_CNT: 0
	.section	.text._ZN7rocprim17ROCPRIM_400000_NS6detail17trampoline_kernelINS0_14default_configENS1_25partition_config_selectorILNS1_17partition_subalgoE5EsNS0_10empty_typeEbEEZZNS1_14partition_implILS5_5ELb0ES3_mN6thrust23THRUST_200600_302600_NS6detail15normal_iteratorINSA_10device_ptrIsEEEEPS6_NSA_18transform_iteratorINSB_9not_fun_tI7is_trueIsEEESF_NSA_11use_defaultESM_EENS0_5tupleIJSF_S6_EEENSO_IJSG_SG_EEES6_PlJS6_EEE10hipError_tPvRmT3_T4_T5_T6_T7_T9_mT8_P12ihipStream_tbDpT10_ENKUlT_T0_E_clISt17integral_constantIbLb1EES1A_IbLb0EEEEDaS16_S17_EUlS16_E_NS1_11comp_targetILNS1_3genE8ELNS1_11target_archE1030ELNS1_3gpuE2ELNS1_3repE0EEENS1_30default_config_static_selectorELNS0_4arch9wavefront6targetE0EEEvT1_,"axG",@progbits,_ZN7rocprim17ROCPRIM_400000_NS6detail17trampoline_kernelINS0_14default_configENS1_25partition_config_selectorILNS1_17partition_subalgoE5EsNS0_10empty_typeEbEEZZNS1_14partition_implILS5_5ELb0ES3_mN6thrust23THRUST_200600_302600_NS6detail15normal_iteratorINSA_10device_ptrIsEEEEPS6_NSA_18transform_iteratorINSB_9not_fun_tI7is_trueIsEEESF_NSA_11use_defaultESM_EENS0_5tupleIJSF_S6_EEENSO_IJSG_SG_EEES6_PlJS6_EEE10hipError_tPvRmT3_T4_T5_T6_T7_T9_mT8_P12ihipStream_tbDpT10_ENKUlT_T0_E_clISt17integral_constantIbLb1EES1A_IbLb0EEEEDaS16_S17_EUlS16_E_NS1_11comp_targetILNS1_3genE8ELNS1_11target_archE1030ELNS1_3gpuE2ELNS1_3repE0EEENS1_30default_config_static_selectorELNS0_4arch9wavefront6targetE0EEEvT1_,comdat
	.protected	_ZN7rocprim17ROCPRIM_400000_NS6detail17trampoline_kernelINS0_14default_configENS1_25partition_config_selectorILNS1_17partition_subalgoE5EsNS0_10empty_typeEbEEZZNS1_14partition_implILS5_5ELb0ES3_mN6thrust23THRUST_200600_302600_NS6detail15normal_iteratorINSA_10device_ptrIsEEEEPS6_NSA_18transform_iteratorINSB_9not_fun_tI7is_trueIsEEESF_NSA_11use_defaultESM_EENS0_5tupleIJSF_S6_EEENSO_IJSG_SG_EEES6_PlJS6_EEE10hipError_tPvRmT3_T4_T5_T6_T7_T9_mT8_P12ihipStream_tbDpT10_ENKUlT_T0_E_clISt17integral_constantIbLb1EES1A_IbLb0EEEEDaS16_S17_EUlS16_E_NS1_11comp_targetILNS1_3genE8ELNS1_11target_archE1030ELNS1_3gpuE2ELNS1_3repE0EEENS1_30default_config_static_selectorELNS0_4arch9wavefront6targetE0EEEvT1_ ; -- Begin function _ZN7rocprim17ROCPRIM_400000_NS6detail17trampoline_kernelINS0_14default_configENS1_25partition_config_selectorILNS1_17partition_subalgoE5EsNS0_10empty_typeEbEEZZNS1_14partition_implILS5_5ELb0ES3_mN6thrust23THRUST_200600_302600_NS6detail15normal_iteratorINSA_10device_ptrIsEEEEPS6_NSA_18transform_iteratorINSB_9not_fun_tI7is_trueIsEEESF_NSA_11use_defaultESM_EENS0_5tupleIJSF_S6_EEENSO_IJSG_SG_EEES6_PlJS6_EEE10hipError_tPvRmT3_T4_T5_T6_T7_T9_mT8_P12ihipStream_tbDpT10_ENKUlT_T0_E_clISt17integral_constantIbLb1EES1A_IbLb0EEEEDaS16_S17_EUlS16_E_NS1_11comp_targetILNS1_3genE8ELNS1_11target_archE1030ELNS1_3gpuE2ELNS1_3repE0EEENS1_30default_config_static_selectorELNS0_4arch9wavefront6targetE0EEEvT1_
	.globl	_ZN7rocprim17ROCPRIM_400000_NS6detail17trampoline_kernelINS0_14default_configENS1_25partition_config_selectorILNS1_17partition_subalgoE5EsNS0_10empty_typeEbEEZZNS1_14partition_implILS5_5ELb0ES3_mN6thrust23THRUST_200600_302600_NS6detail15normal_iteratorINSA_10device_ptrIsEEEEPS6_NSA_18transform_iteratorINSB_9not_fun_tI7is_trueIsEEESF_NSA_11use_defaultESM_EENS0_5tupleIJSF_S6_EEENSO_IJSG_SG_EEES6_PlJS6_EEE10hipError_tPvRmT3_T4_T5_T6_T7_T9_mT8_P12ihipStream_tbDpT10_ENKUlT_T0_E_clISt17integral_constantIbLb1EES1A_IbLb0EEEEDaS16_S17_EUlS16_E_NS1_11comp_targetILNS1_3genE8ELNS1_11target_archE1030ELNS1_3gpuE2ELNS1_3repE0EEENS1_30default_config_static_selectorELNS0_4arch9wavefront6targetE0EEEvT1_
	.p2align	8
	.type	_ZN7rocprim17ROCPRIM_400000_NS6detail17trampoline_kernelINS0_14default_configENS1_25partition_config_selectorILNS1_17partition_subalgoE5EsNS0_10empty_typeEbEEZZNS1_14partition_implILS5_5ELb0ES3_mN6thrust23THRUST_200600_302600_NS6detail15normal_iteratorINSA_10device_ptrIsEEEEPS6_NSA_18transform_iteratorINSB_9not_fun_tI7is_trueIsEEESF_NSA_11use_defaultESM_EENS0_5tupleIJSF_S6_EEENSO_IJSG_SG_EEES6_PlJS6_EEE10hipError_tPvRmT3_T4_T5_T6_T7_T9_mT8_P12ihipStream_tbDpT10_ENKUlT_T0_E_clISt17integral_constantIbLb1EES1A_IbLb0EEEEDaS16_S17_EUlS16_E_NS1_11comp_targetILNS1_3genE8ELNS1_11target_archE1030ELNS1_3gpuE2ELNS1_3repE0EEENS1_30default_config_static_selectorELNS0_4arch9wavefront6targetE0EEEvT1_,@function
_ZN7rocprim17ROCPRIM_400000_NS6detail17trampoline_kernelINS0_14default_configENS1_25partition_config_selectorILNS1_17partition_subalgoE5EsNS0_10empty_typeEbEEZZNS1_14partition_implILS5_5ELb0ES3_mN6thrust23THRUST_200600_302600_NS6detail15normal_iteratorINSA_10device_ptrIsEEEEPS6_NSA_18transform_iteratorINSB_9not_fun_tI7is_trueIsEEESF_NSA_11use_defaultESM_EENS0_5tupleIJSF_S6_EEENSO_IJSG_SG_EEES6_PlJS6_EEE10hipError_tPvRmT3_T4_T5_T6_T7_T9_mT8_P12ihipStream_tbDpT10_ENKUlT_T0_E_clISt17integral_constantIbLb1EES1A_IbLb0EEEEDaS16_S17_EUlS16_E_NS1_11comp_targetILNS1_3genE8ELNS1_11target_archE1030ELNS1_3gpuE2ELNS1_3repE0EEENS1_30default_config_static_selectorELNS0_4arch9wavefront6targetE0EEEvT1_: ; @_ZN7rocprim17ROCPRIM_400000_NS6detail17trampoline_kernelINS0_14default_configENS1_25partition_config_selectorILNS1_17partition_subalgoE5EsNS0_10empty_typeEbEEZZNS1_14partition_implILS5_5ELb0ES3_mN6thrust23THRUST_200600_302600_NS6detail15normal_iteratorINSA_10device_ptrIsEEEEPS6_NSA_18transform_iteratorINSB_9not_fun_tI7is_trueIsEEESF_NSA_11use_defaultESM_EENS0_5tupleIJSF_S6_EEENSO_IJSG_SG_EEES6_PlJS6_EEE10hipError_tPvRmT3_T4_T5_T6_T7_T9_mT8_P12ihipStream_tbDpT10_ENKUlT_T0_E_clISt17integral_constantIbLb1EES1A_IbLb0EEEEDaS16_S17_EUlS16_E_NS1_11comp_targetILNS1_3genE8ELNS1_11target_archE1030ELNS1_3gpuE2ELNS1_3repE0EEENS1_30default_config_static_selectorELNS0_4arch9wavefront6targetE0EEEvT1_
; %bb.0:
	.section	.rodata,"a",@progbits
	.p2align	6, 0x0
	.amdhsa_kernel _ZN7rocprim17ROCPRIM_400000_NS6detail17trampoline_kernelINS0_14default_configENS1_25partition_config_selectorILNS1_17partition_subalgoE5EsNS0_10empty_typeEbEEZZNS1_14partition_implILS5_5ELb0ES3_mN6thrust23THRUST_200600_302600_NS6detail15normal_iteratorINSA_10device_ptrIsEEEEPS6_NSA_18transform_iteratorINSB_9not_fun_tI7is_trueIsEEESF_NSA_11use_defaultESM_EENS0_5tupleIJSF_S6_EEENSO_IJSG_SG_EEES6_PlJS6_EEE10hipError_tPvRmT3_T4_T5_T6_T7_T9_mT8_P12ihipStream_tbDpT10_ENKUlT_T0_E_clISt17integral_constantIbLb1EES1A_IbLb0EEEEDaS16_S17_EUlS16_E_NS1_11comp_targetILNS1_3genE8ELNS1_11target_archE1030ELNS1_3gpuE2ELNS1_3repE0EEENS1_30default_config_static_selectorELNS0_4arch9wavefront6targetE0EEEvT1_
		.amdhsa_group_segment_fixed_size 0
		.amdhsa_private_segment_fixed_size 0
		.amdhsa_kernarg_size 120
		.amdhsa_user_sgpr_count 2
		.amdhsa_user_sgpr_dispatch_ptr 0
		.amdhsa_user_sgpr_queue_ptr 0
		.amdhsa_user_sgpr_kernarg_segment_ptr 1
		.amdhsa_user_sgpr_dispatch_id 0
		.amdhsa_user_sgpr_private_segment_size 0
		.amdhsa_wavefront_size32 1
		.amdhsa_uses_dynamic_stack 0
		.amdhsa_enable_private_segment 0
		.amdhsa_system_sgpr_workgroup_id_x 1
		.amdhsa_system_sgpr_workgroup_id_y 0
		.amdhsa_system_sgpr_workgroup_id_z 0
		.amdhsa_system_sgpr_workgroup_info 0
		.amdhsa_system_vgpr_workitem_id 0
		.amdhsa_next_free_vgpr 1
		.amdhsa_next_free_sgpr 1
		.amdhsa_reserve_vcc 0
		.amdhsa_float_round_mode_32 0
		.amdhsa_float_round_mode_16_64 0
		.amdhsa_float_denorm_mode_32 3
		.amdhsa_float_denorm_mode_16_64 3
		.amdhsa_fp16_overflow 0
		.amdhsa_workgroup_processor_mode 1
		.amdhsa_memory_ordered 1
		.amdhsa_forward_progress 1
		.amdhsa_inst_pref_size 0
		.amdhsa_round_robin_scheduling 0
		.amdhsa_exception_fp_ieee_invalid_op 0
		.amdhsa_exception_fp_denorm_src 0
		.amdhsa_exception_fp_ieee_div_zero 0
		.amdhsa_exception_fp_ieee_overflow 0
		.amdhsa_exception_fp_ieee_underflow 0
		.amdhsa_exception_fp_ieee_inexact 0
		.amdhsa_exception_int_div_zero 0
	.end_amdhsa_kernel
	.section	.text._ZN7rocprim17ROCPRIM_400000_NS6detail17trampoline_kernelINS0_14default_configENS1_25partition_config_selectorILNS1_17partition_subalgoE5EsNS0_10empty_typeEbEEZZNS1_14partition_implILS5_5ELb0ES3_mN6thrust23THRUST_200600_302600_NS6detail15normal_iteratorINSA_10device_ptrIsEEEEPS6_NSA_18transform_iteratorINSB_9not_fun_tI7is_trueIsEEESF_NSA_11use_defaultESM_EENS0_5tupleIJSF_S6_EEENSO_IJSG_SG_EEES6_PlJS6_EEE10hipError_tPvRmT3_T4_T5_T6_T7_T9_mT8_P12ihipStream_tbDpT10_ENKUlT_T0_E_clISt17integral_constantIbLb1EES1A_IbLb0EEEEDaS16_S17_EUlS16_E_NS1_11comp_targetILNS1_3genE8ELNS1_11target_archE1030ELNS1_3gpuE2ELNS1_3repE0EEENS1_30default_config_static_selectorELNS0_4arch9wavefront6targetE0EEEvT1_,"axG",@progbits,_ZN7rocprim17ROCPRIM_400000_NS6detail17trampoline_kernelINS0_14default_configENS1_25partition_config_selectorILNS1_17partition_subalgoE5EsNS0_10empty_typeEbEEZZNS1_14partition_implILS5_5ELb0ES3_mN6thrust23THRUST_200600_302600_NS6detail15normal_iteratorINSA_10device_ptrIsEEEEPS6_NSA_18transform_iteratorINSB_9not_fun_tI7is_trueIsEEESF_NSA_11use_defaultESM_EENS0_5tupleIJSF_S6_EEENSO_IJSG_SG_EEES6_PlJS6_EEE10hipError_tPvRmT3_T4_T5_T6_T7_T9_mT8_P12ihipStream_tbDpT10_ENKUlT_T0_E_clISt17integral_constantIbLb1EES1A_IbLb0EEEEDaS16_S17_EUlS16_E_NS1_11comp_targetILNS1_3genE8ELNS1_11target_archE1030ELNS1_3gpuE2ELNS1_3repE0EEENS1_30default_config_static_selectorELNS0_4arch9wavefront6targetE0EEEvT1_,comdat
.Lfunc_end1556:
	.size	_ZN7rocprim17ROCPRIM_400000_NS6detail17trampoline_kernelINS0_14default_configENS1_25partition_config_selectorILNS1_17partition_subalgoE5EsNS0_10empty_typeEbEEZZNS1_14partition_implILS5_5ELb0ES3_mN6thrust23THRUST_200600_302600_NS6detail15normal_iteratorINSA_10device_ptrIsEEEEPS6_NSA_18transform_iteratorINSB_9not_fun_tI7is_trueIsEEESF_NSA_11use_defaultESM_EENS0_5tupleIJSF_S6_EEENSO_IJSG_SG_EEES6_PlJS6_EEE10hipError_tPvRmT3_T4_T5_T6_T7_T9_mT8_P12ihipStream_tbDpT10_ENKUlT_T0_E_clISt17integral_constantIbLb1EES1A_IbLb0EEEEDaS16_S17_EUlS16_E_NS1_11comp_targetILNS1_3genE8ELNS1_11target_archE1030ELNS1_3gpuE2ELNS1_3repE0EEENS1_30default_config_static_selectorELNS0_4arch9wavefront6targetE0EEEvT1_, .Lfunc_end1556-_ZN7rocprim17ROCPRIM_400000_NS6detail17trampoline_kernelINS0_14default_configENS1_25partition_config_selectorILNS1_17partition_subalgoE5EsNS0_10empty_typeEbEEZZNS1_14partition_implILS5_5ELb0ES3_mN6thrust23THRUST_200600_302600_NS6detail15normal_iteratorINSA_10device_ptrIsEEEEPS6_NSA_18transform_iteratorINSB_9not_fun_tI7is_trueIsEEESF_NSA_11use_defaultESM_EENS0_5tupleIJSF_S6_EEENSO_IJSG_SG_EEES6_PlJS6_EEE10hipError_tPvRmT3_T4_T5_T6_T7_T9_mT8_P12ihipStream_tbDpT10_ENKUlT_T0_E_clISt17integral_constantIbLb1EES1A_IbLb0EEEEDaS16_S17_EUlS16_E_NS1_11comp_targetILNS1_3genE8ELNS1_11target_archE1030ELNS1_3gpuE2ELNS1_3repE0EEENS1_30default_config_static_selectorELNS0_4arch9wavefront6targetE0EEEvT1_
                                        ; -- End function
	.set _ZN7rocprim17ROCPRIM_400000_NS6detail17trampoline_kernelINS0_14default_configENS1_25partition_config_selectorILNS1_17partition_subalgoE5EsNS0_10empty_typeEbEEZZNS1_14partition_implILS5_5ELb0ES3_mN6thrust23THRUST_200600_302600_NS6detail15normal_iteratorINSA_10device_ptrIsEEEEPS6_NSA_18transform_iteratorINSB_9not_fun_tI7is_trueIsEEESF_NSA_11use_defaultESM_EENS0_5tupleIJSF_S6_EEENSO_IJSG_SG_EEES6_PlJS6_EEE10hipError_tPvRmT3_T4_T5_T6_T7_T9_mT8_P12ihipStream_tbDpT10_ENKUlT_T0_E_clISt17integral_constantIbLb1EES1A_IbLb0EEEEDaS16_S17_EUlS16_E_NS1_11comp_targetILNS1_3genE8ELNS1_11target_archE1030ELNS1_3gpuE2ELNS1_3repE0EEENS1_30default_config_static_selectorELNS0_4arch9wavefront6targetE0EEEvT1_.num_vgpr, 0
	.set _ZN7rocprim17ROCPRIM_400000_NS6detail17trampoline_kernelINS0_14default_configENS1_25partition_config_selectorILNS1_17partition_subalgoE5EsNS0_10empty_typeEbEEZZNS1_14partition_implILS5_5ELb0ES3_mN6thrust23THRUST_200600_302600_NS6detail15normal_iteratorINSA_10device_ptrIsEEEEPS6_NSA_18transform_iteratorINSB_9not_fun_tI7is_trueIsEEESF_NSA_11use_defaultESM_EENS0_5tupleIJSF_S6_EEENSO_IJSG_SG_EEES6_PlJS6_EEE10hipError_tPvRmT3_T4_T5_T6_T7_T9_mT8_P12ihipStream_tbDpT10_ENKUlT_T0_E_clISt17integral_constantIbLb1EES1A_IbLb0EEEEDaS16_S17_EUlS16_E_NS1_11comp_targetILNS1_3genE8ELNS1_11target_archE1030ELNS1_3gpuE2ELNS1_3repE0EEENS1_30default_config_static_selectorELNS0_4arch9wavefront6targetE0EEEvT1_.num_agpr, 0
	.set _ZN7rocprim17ROCPRIM_400000_NS6detail17trampoline_kernelINS0_14default_configENS1_25partition_config_selectorILNS1_17partition_subalgoE5EsNS0_10empty_typeEbEEZZNS1_14partition_implILS5_5ELb0ES3_mN6thrust23THRUST_200600_302600_NS6detail15normal_iteratorINSA_10device_ptrIsEEEEPS6_NSA_18transform_iteratorINSB_9not_fun_tI7is_trueIsEEESF_NSA_11use_defaultESM_EENS0_5tupleIJSF_S6_EEENSO_IJSG_SG_EEES6_PlJS6_EEE10hipError_tPvRmT3_T4_T5_T6_T7_T9_mT8_P12ihipStream_tbDpT10_ENKUlT_T0_E_clISt17integral_constantIbLb1EES1A_IbLb0EEEEDaS16_S17_EUlS16_E_NS1_11comp_targetILNS1_3genE8ELNS1_11target_archE1030ELNS1_3gpuE2ELNS1_3repE0EEENS1_30default_config_static_selectorELNS0_4arch9wavefront6targetE0EEEvT1_.numbered_sgpr, 0
	.set _ZN7rocprim17ROCPRIM_400000_NS6detail17trampoline_kernelINS0_14default_configENS1_25partition_config_selectorILNS1_17partition_subalgoE5EsNS0_10empty_typeEbEEZZNS1_14partition_implILS5_5ELb0ES3_mN6thrust23THRUST_200600_302600_NS6detail15normal_iteratorINSA_10device_ptrIsEEEEPS6_NSA_18transform_iteratorINSB_9not_fun_tI7is_trueIsEEESF_NSA_11use_defaultESM_EENS0_5tupleIJSF_S6_EEENSO_IJSG_SG_EEES6_PlJS6_EEE10hipError_tPvRmT3_T4_T5_T6_T7_T9_mT8_P12ihipStream_tbDpT10_ENKUlT_T0_E_clISt17integral_constantIbLb1EES1A_IbLb0EEEEDaS16_S17_EUlS16_E_NS1_11comp_targetILNS1_3genE8ELNS1_11target_archE1030ELNS1_3gpuE2ELNS1_3repE0EEENS1_30default_config_static_selectorELNS0_4arch9wavefront6targetE0EEEvT1_.num_named_barrier, 0
	.set _ZN7rocprim17ROCPRIM_400000_NS6detail17trampoline_kernelINS0_14default_configENS1_25partition_config_selectorILNS1_17partition_subalgoE5EsNS0_10empty_typeEbEEZZNS1_14partition_implILS5_5ELb0ES3_mN6thrust23THRUST_200600_302600_NS6detail15normal_iteratorINSA_10device_ptrIsEEEEPS6_NSA_18transform_iteratorINSB_9not_fun_tI7is_trueIsEEESF_NSA_11use_defaultESM_EENS0_5tupleIJSF_S6_EEENSO_IJSG_SG_EEES6_PlJS6_EEE10hipError_tPvRmT3_T4_T5_T6_T7_T9_mT8_P12ihipStream_tbDpT10_ENKUlT_T0_E_clISt17integral_constantIbLb1EES1A_IbLb0EEEEDaS16_S17_EUlS16_E_NS1_11comp_targetILNS1_3genE8ELNS1_11target_archE1030ELNS1_3gpuE2ELNS1_3repE0EEENS1_30default_config_static_selectorELNS0_4arch9wavefront6targetE0EEEvT1_.private_seg_size, 0
	.set _ZN7rocprim17ROCPRIM_400000_NS6detail17trampoline_kernelINS0_14default_configENS1_25partition_config_selectorILNS1_17partition_subalgoE5EsNS0_10empty_typeEbEEZZNS1_14partition_implILS5_5ELb0ES3_mN6thrust23THRUST_200600_302600_NS6detail15normal_iteratorINSA_10device_ptrIsEEEEPS6_NSA_18transform_iteratorINSB_9not_fun_tI7is_trueIsEEESF_NSA_11use_defaultESM_EENS0_5tupleIJSF_S6_EEENSO_IJSG_SG_EEES6_PlJS6_EEE10hipError_tPvRmT3_T4_T5_T6_T7_T9_mT8_P12ihipStream_tbDpT10_ENKUlT_T0_E_clISt17integral_constantIbLb1EES1A_IbLb0EEEEDaS16_S17_EUlS16_E_NS1_11comp_targetILNS1_3genE8ELNS1_11target_archE1030ELNS1_3gpuE2ELNS1_3repE0EEENS1_30default_config_static_selectorELNS0_4arch9wavefront6targetE0EEEvT1_.uses_vcc, 0
	.set _ZN7rocprim17ROCPRIM_400000_NS6detail17trampoline_kernelINS0_14default_configENS1_25partition_config_selectorILNS1_17partition_subalgoE5EsNS0_10empty_typeEbEEZZNS1_14partition_implILS5_5ELb0ES3_mN6thrust23THRUST_200600_302600_NS6detail15normal_iteratorINSA_10device_ptrIsEEEEPS6_NSA_18transform_iteratorINSB_9not_fun_tI7is_trueIsEEESF_NSA_11use_defaultESM_EENS0_5tupleIJSF_S6_EEENSO_IJSG_SG_EEES6_PlJS6_EEE10hipError_tPvRmT3_T4_T5_T6_T7_T9_mT8_P12ihipStream_tbDpT10_ENKUlT_T0_E_clISt17integral_constantIbLb1EES1A_IbLb0EEEEDaS16_S17_EUlS16_E_NS1_11comp_targetILNS1_3genE8ELNS1_11target_archE1030ELNS1_3gpuE2ELNS1_3repE0EEENS1_30default_config_static_selectorELNS0_4arch9wavefront6targetE0EEEvT1_.uses_flat_scratch, 0
	.set _ZN7rocprim17ROCPRIM_400000_NS6detail17trampoline_kernelINS0_14default_configENS1_25partition_config_selectorILNS1_17partition_subalgoE5EsNS0_10empty_typeEbEEZZNS1_14partition_implILS5_5ELb0ES3_mN6thrust23THRUST_200600_302600_NS6detail15normal_iteratorINSA_10device_ptrIsEEEEPS6_NSA_18transform_iteratorINSB_9not_fun_tI7is_trueIsEEESF_NSA_11use_defaultESM_EENS0_5tupleIJSF_S6_EEENSO_IJSG_SG_EEES6_PlJS6_EEE10hipError_tPvRmT3_T4_T5_T6_T7_T9_mT8_P12ihipStream_tbDpT10_ENKUlT_T0_E_clISt17integral_constantIbLb1EES1A_IbLb0EEEEDaS16_S17_EUlS16_E_NS1_11comp_targetILNS1_3genE8ELNS1_11target_archE1030ELNS1_3gpuE2ELNS1_3repE0EEENS1_30default_config_static_selectorELNS0_4arch9wavefront6targetE0EEEvT1_.has_dyn_sized_stack, 0
	.set _ZN7rocprim17ROCPRIM_400000_NS6detail17trampoline_kernelINS0_14default_configENS1_25partition_config_selectorILNS1_17partition_subalgoE5EsNS0_10empty_typeEbEEZZNS1_14partition_implILS5_5ELb0ES3_mN6thrust23THRUST_200600_302600_NS6detail15normal_iteratorINSA_10device_ptrIsEEEEPS6_NSA_18transform_iteratorINSB_9not_fun_tI7is_trueIsEEESF_NSA_11use_defaultESM_EENS0_5tupleIJSF_S6_EEENSO_IJSG_SG_EEES6_PlJS6_EEE10hipError_tPvRmT3_T4_T5_T6_T7_T9_mT8_P12ihipStream_tbDpT10_ENKUlT_T0_E_clISt17integral_constantIbLb1EES1A_IbLb0EEEEDaS16_S17_EUlS16_E_NS1_11comp_targetILNS1_3genE8ELNS1_11target_archE1030ELNS1_3gpuE2ELNS1_3repE0EEENS1_30default_config_static_selectorELNS0_4arch9wavefront6targetE0EEEvT1_.has_recursion, 0
	.set _ZN7rocprim17ROCPRIM_400000_NS6detail17trampoline_kernelINS0_14default_configENS1_25partition_config_selectorILNS1_17partition_subalgoE5EsNS0_10empty_typeEbEEZZNS1_14partition_implILS5_5ELb0ES3_mN6thrust23THRUST_200600_302600_NS6detail15normal_iteratorINSA_10device_ptrIsEEEEPS6_NSA_18transform_iteratorINSB_9not_fun_tI7is_trueIsEEESF_NSA_11use_defaultESM_EENS0_5tupleIJSF_S6_EEENSO_IJSG_SG_EEES6_PlJS6_EEE10hipError_tPvRmT3_T4_T5_T6_T7_T9_mT8_P12ihipStream_tbDpT10_ENKUlT_T0_E_clISt17integral_constantIbLb1EES1A_IbLb0EEEEDaS16_S17_EUlS16_E_NS1_11comp_targetILNS1_3genE8ELNS1_11target_archE1030ELNS1_3gpuE2ELNS1_3repE0EEENS1_30default_config_static_selectorELNS0_4arch9wavefront6targetE0EEEvT1_.has_indirect_call, 0
	.section	.AMDGPU.csdata,"",@progbits
; Kernel info:
; codeLenInByte = 0
; TotalNumSgprs: 0
; NumVgprs: 0
; ScratchSize: 0
; MemoryBound: 0
; FloatMode: 240
; IeeeMode: 1
; LDSByteSize: 0 bytes/workgroup (compile time only)
; SGPRBlocks: 0
; VGPRBlocks: 0
; NumSGPRsForWavesPerEU: 1
; NumVGPRsForWavesPerEU: 1
; Occupancy: 16
; WaveLimiterHint : 0
; COMPUTE_PGM_RSRC2:SCRATCH_EN: 0
; COMPUTE_PGM_RSRC2:USER_SGPR: 2
; COMPUTE_PGM_RSRC2:TRAP_HANDLER: 0
; COMPUTE_PGM_RSRC2:TGID_X_EN: 1
; COMPUTE_PGM_RSRC2:TGID_Y_EN: 0
; COMPUTE_PGM_RSRC2:TGID_Z_EN: 0
; COMPUTE_PGM_RSRC2:TIDIG_COMP_CNT: 0
	.section	.text._ZN7rocprim17ROCPRIM_400000_NS6detail17trampoline_kernelINS0_14default_configENS1_25partition_config_selectorILNS1_17partition_subalgoE5EsNS0_10empty_typeEbEEZZNS1_14partition_implILS5_5ELb0ES3_mN6thrust23THRUST_200600_302600_NS6detail15normal_iteratorINSA_10device_ptrIsEEEEPS6_NSA_18transform_iteratorINSB_9not_fun_tI7is_trueIsEEESF_NSA_11use_defaultESM_EENS0_5tupleIJSF_S6_EEENSO_IJSG_SG_EEES6_PlJS6_EEE10hipError_tPvRmT3_T4_T5_T6_T7_T9_mT8_P12ihipStream_tbDpT10_ENKUlT_T0_E_clISt17integral_constantIbLb0EES1A_IbLb1EEEEDaS16_S17_EUlS16_E_NS1_11comp_targetILNS1_3genE0ELNS1_11target_archE4294967295ELNS1_3gpuE0ELNS1_3repE0EEENS1_30default_config_static_selectorELNS0_4arch9wavefront6targetE0EEEvT1_,"axG",@progbits,_ZN7rocprim17ROCPRIM_400000_NS6detail17trampoline_kernelINS0_14default_configENS1_25partition_config_selectorILNS1_17partition_subalgoE5EsNS0_10empty_typeEbEEZZNS1_14partition_implILS5_5ELb0ES3_mN6thrust23THRUST_200600_302600_NS6detail15normal_iteratorINSA_10device_ptrIsEEEEPS6_NSA_18transform_iteratorINSB_9not_fun_tI7is_trueIsEEESF_NSA_11use_defaultESM_EENS0_5tupleIJSF_S6_EEENSO_IJSG_SG_EEES6_PlJS6_EEE10hipError_tPvRmT3_T4_T5_T6_T7_T9_mT8_P12ihipStream_tbDpT10_ENKUlT_T0_E_clISt17integral_constantIbLb0EES1A_IbLb1EEEEDaS16_S17_EUlS16_E_NS1_11comp_targetILNS1_3genE0ELNS1_11target_archE4294967295ELNS1_3gpuE0ELNS1_3repE0EEENS1_30default_config_static_selectorELNS0_4arch9wavefront6targetE0EEEvT1_,comdat
	.protected	_ZN7rocprim17ROCPRIM_400000_NS6detail17trampoline_kernelINS0_14default_configENS1_25partition_config_selectorILNS1_17partition_subalgoE5EsNS0_10empty_typeEbEEZZNS1_14partition_implILS5_5ELb0ES3_mN6thrust23THRUST_200600_302600_NS6detail15normal_iteratorINSA_10device_ptrIsEEEEPS6_NSA_18transform_iteratorINSB_9not_fun_tI7is_trueIsEEESF_NSA_11use_defaultESM_EENS0_5tupleIJSF_S6_EEENSO_IJSG_SG_EEES6_PlJS6_EEE10hipError_tPvRmT3_T4_T5_T6_T7_T9_mT8_P12ihipStream_tbDpT10_ENKUlT_T0_E_clISt17integral_constantIbLb0EES1A_IbLb1EEEEDaS16_S17_EUlS16_E_NS1_11comp_targetILNS1_3genE0ELNS1_11target_archE4294967295ELNS1_3gpuE0ELNS1_3repE0EEENS1_30default_config_static_selectorELNS0_4arch9wavefront6targetE0EEEvT1_ ; -- Begin function _ZN7rocprim17ROCPRIM_400000_NS6detail17trampoline_kernelINS0_14default_configENS1_25partition_config_selectorILNS1_17partition_subalgoE5EsNS0_10empty_typeEbEEZZNS1_14partition_implILS5_5ELb0ES3_mN6thrust23THRUST_200600_302600_NS6detail15normal_iteratorINSA_10device_ptrIsEEEEPS6_NSA_18transform_iteratorINSB_9not_fun_tI7is_trueIsEEESF_NSA_11use_defaultESM_EENS0_5tupleIJSF_S6_EEENSO_IJSG_SG_EEES6_PlJS6_EEE10hipError_tPvRmT3_T4_T5_T6_T7_T9_mT8_P12ihipStream_tbDpT10_ENKUlT_T0_E_clISt17integral_constantIbLb0EES1A_IbLb1EEEEDaS16_S17_EUlS16_E_NS1_11comp_targetILNS1_3genE0ELNS1_11target_archE4294967295ELNS1_3gpuE0ELNS1_3repE0EEENS1_30default_config_static_selectorELNS0_4arch9wavefront6targetE0EEEvT1_
	.globl	_ZN7rocprim17ROCPRIM_400000_NS6detail17trampoline_kernelINS0_14default_configENS1_25partition_config_selectorILNS1_17partition_subalgoE5EsNS0_10empty_typeEbEEZZNS1_14partition_implILS5_5ELb0ES3_mN6thrust23THRUST_200600_302600_NS6detail15normal_iteratorINSA_10device_ptrIsEEEEPS6_NSA_18transform_iteratorINSB_9not_fun_tI7is_trueIsEEESF_NSA_11use_defaultESM_EENS0_5tupleIJSF_S6_EEENSO_IJSG_SG_EEES6_PlJS6_EEE10hipError_tPvRmT3_T4_T5_T6_T7_T9_mT8_P12ihipStream_tbDpT10_ENKUlT_T0_E_clISt17integral_constantIbLb0EES1A_IbLb1EEEEDaS16_S17_EUlS16_E_NS1_11comp_targetILNS1_3genE0ELNS1_11target_archE4294967295ELNS1_3gpuE0ELNS1_3repE0EEENS1_30default_config_static_selectorELNS0_4arch9wavefront6targetE0EEEvT1_
	.p2align	8
	.type	_ZN7rocprim17ROCPRIM_400000_NS6detail17trampoline_kernelINS0_14default_configENS1_25partition_config_selectorILNS1_17partition_subalgoE5EsNS0_10empty_typeEbEEZZNS1_14partition_implILS5_5ELb0ES3_mN6thrust23THRUST_200600_302600_NS6detail15normal_iteratorINSA_10device_ptrIsEEEEPS6_NSA_18transform_iteratorINSB_9not_fun_tI7is_trueIsEEESF_NSA_11use_defaultESM_EENS0_5tupleIJSF_S6_EEENSO_IJSG_SG_EEES6_PlJS6_EEE10hipError_tPvRmT3_T4_T5_T6_T7_T9_mT8_P12ihipStream_tbDpT10_ENKUlT_T0_E_clISt17integral_constantIbLb0EES1A_IbLb1EEEEDaS16_S17_EUlS16_E_NS1_11comp_targetILNS1_3genE0ELNS1_11target_archE4294967295ELNS1_3gpuE0ELNS1_3repE0EEENS1_30default_config_static_selectorELNS0_4arch9wavefront6targetE0EEEvT1_,@function
_ZN7rocprim17ROCPRIM_400000_NS6detail17trampoline_kernelINS0_14default_configENS1_25partition_config_selectorILNS1_17partition_subalgoE5EsNS0_10empty_typeEbEEZZNS1_14partition_implILS5_5ELb0ES3_mN6thrust23THRUST_200600_302600_NS6detail15normal_iteratorINSA_10device_ptrIsEEEEPS6_NSA_18transform_iteratorINSB_9not_fun_tI7is_trueIsEEESF_NSA_11use_defaultESM_EENS0_5tupleIJSF_S6_EEENSO_IJSG_SG_EEES6_PlJS6_EEE10hipError_tPvRmT3_T4_T5_T6_T7_T9_mT8_P12ihipStream_tbDpT10_ENKUlT_T0_E_clISt17integral_constantIbLb0EES1A_IbLb1EEEEDaS16_S17_EUlS16_E_NS1_11comp_targetILNS1_3genE0ELNS1_11target_archE4294967295ELNS1_3gpuE0ELNS1_3repE0EEENS1_30default_config_static_selectorELNS0_4arch9wavefront6targetE0EEEvT1_: ; @_ZN7rocprim17ROCPRIM_400000_NS6detail17trampoline_kernelINS0_14default_configENS1_25partition_config_selectorILNS1_17partition_subalgoE5EsNS0_10empty_typeEbEEZZNS1_14partition_implILS5_5ELb0ES3_mN6thrust23THRUST_200600_302600_NS6detail15normal_iteratorINSA_10device_ptrIsEEEEPS6_NSA_18transform_iteratorINSB_9not_fun_tI7is_trueIsEEESF_NSA_11use_defaultESM_EENS0_5tupleIJSF_S6_EEENSO_IJSG_SG_EEES6_PlJS6_EEE10hipError_tPvRmT3_T4_T5_T6_T7_T9_mT8_P12ihipStream_tbDpT10_ENKUlT_T0_E_clISt17integral_constantIbLb0EES1A_IbLb1EEEEDaS16_S17_EUlS16_E_NS1_11comp_targetILNS1_3genE0ELNS1_11target_archE4294967295ELNS1_3gpuE0ELNS1_3repE0EEENS1_30default_config_static_selectorELNS0_4arch9wavefront6targetE0EEEvT1_
; %bb.0:
	.section	.rodata,"a",@progbits
	.p2align	6, 0x0
	.amdhsa_kernel _ZN7rocprim17ROCPRIM_400000_NS6detail17trampoline_kernelINS0_14default_configENS1_25partition_config_selectorILNS1_17partition_subalgoE5EsNS0_10empty_typeEbEEZZNS1_14partition_implILS5_5ELb0ES3_mN6thrust23THRUST_200600_302600_NS6detail15normal_iteratorINSA_10device_ptrIsEEEEPS6_NSA_18transform_iteratorINSB_9not_fun_tI7is_trueIsEEESF_NSA_11use_defaultESM_EENS0_5tupleIJSF_S6_EEENSO_IJSG_SG_EEES6_PlJS6_EEE10hipError_tPvRmT3_T4_T5_T6_T7_T9_mT8_P12ihipStream_tbDpT10_ENKUlT_T0_E_clISt17integral_constantIbLb0EES1A_IbLb1EEEEDaS16_S17_EUlS16_E_NS1_11comp_targetILNS1_3genE0ELNS1_11target_archE4294967295ELNS1_3gpuE0ELNS1_3repE0EEENS1_30default_config_static_selectorELNS0_4arch9wavefront6targetE0EEEvT1_
		.amdhsa_group_segment_fixed_size 0
		.amdhsa_private_segment_fixed_size 0
		.amdhsa_kernarg_size 136
		.amdhsa_user_sgpr_count 2
		.amdhsa_user_sgpr_dispatch_ptr 0
		.amdhsa_user_sgpr_queue_ptr 0
		.amdhsa_user_sgpr_kernarg_segment_ptr 1
		.amdhsa_user_sgpr_dispatch_id 0
		.amdhsa_user_sgpr_private_segment_size 0
		.amdhsa_wavefront_size32 1
		.amdhsa_uses_dynamic_stack 0
		.amdhsa_enable_private_segment 0
		.amdhsa_system_sgpr_workgroup_id_x 1
		.amdhsa_system_sgpr_workgroup_id_y 0
		.amdhsa_system_sgpr_workgroup_id_z 0
		.amdhsa_system_sgpr_workgroup_info 0
		.amdhsa_system_vgpr_workitem_id 0
		.amdhsa_next_free_vgpr 1
		.amdhsa_next_free_sgpr 1
		.amdhsa_reserve_vcc 0
		.amdhsa_float_round_mode_32 0
		.amdhsa_float_round_mode_16_64 0
		.amdhsa_float_denorm_mode_32 3
		.amdhsa_float_denorm_mode_16_64 3
		.amdhsa_fp16_overflow 0
		.amdhsa_workgroup_processor_mode 1
		.amdhsa_memory_ordered 1
		.amdhsa_forward_progress 1
		.amdhsa_inst_pref_size 0
		.amdhsa_round_robin_scheduling 0
		.amdhsa_exception_fp_ieee_invalid_op 0
		.amdhsa_exception_fp_denorm_src 0
		.amdhsa_exception_fp_ieee_div_zero 0
		.amdhsa_exception_fp_ieee_overflow 0
		.amdhsa_exception_fp_ieee_underflow 0
		.amdhsa_exception_fp_ieee_inexact 0
		.amdhsa_exception_int_div_zero 0
	.end_amdhsa_kernel
	.section	.text._ZN7rocprim17ROCPRIM_400000_NS6detail17trampoline_kernelINS0_14default_configENS1_25partition_config_selectorILNS1_17partition_subalgoE5EsNS0_10empty_typeEbEEZZNS1_14partition_implILS5_5ELb0ES3_mN6thrust23THRUST_200600_302600_NS6detail15normal_iteratorINSA_10device_ptrIsEEEEPS6_NSA_18transform_iteratorINSB_9not_fun_tI7is_trueIsEEESF_NSA_11use_defaultESM_EENS0_5tupleIJSF_S6_EEENSO_IJSG_SG_EEES6_PlJS6_EEE10hipError_tPvRmT3_T4_T5_T6_T7_T9_mT8_P12ihipStream_tbDpT10_ENKUlT_T0_E_clISt17integral_constantIbLb0EES1A_IbLb1EEEEDaS16_S17_EUlS16_E_NS1_11comp_targetILNS1_3genE0ELNS1_11target_archE4294967295ELNS1_3gpuE0ELNS1_3repE0EEENS1_30default_config_static_selectorELNS0_4arch9wavefront6targetE0EEEvT1_,"axG",@progbits,_ZN7rocprim17ROCPRIM_400000_NS6detail17trampoline_kernelINS0_14default_configENS1_25partition_config_selectorILNS1_17partition_subalgoE5EsNS0_10empty_typeEbEEZZNS1_14partition_implILS5_5ELb0ES3_mN6thrust23THRUST_200600_302600_NS6detail15normal_iteratorINSA_10device_ptrIsEEEEPS6_NSA_18transform_iteratorINSB_9not_fun_tI7is_trueIsEEESF_NSA_11use_defaultESM_EENS0_5tupleIJSF_S6_EEENSO_IJSG_SG_EEES6_PlJS6_EEE10hipError_tPvRmT3_T4_T5_T6_T7_T9_mT8_P12ihipStream_tbDpT10_ENKUlT_T0_E_clISt17integral_constantIbLb0EES1A_IbLb1EEEEDaS16_S17_EUlS16_E_NS1_11comp_targetILNS1_3genE0ELNS1_11target_archE4294967295ELNS1_3gpuE0ELNS1_3repE0EEENS1_30default_config_static_selectorELNS0_4arch9wavefront6targetE0EEEvT1_,comdat
.Lfunc_end1557:
	.size	_ZN7rocprim17ROCPRIM_400000_NS6detail17trampoline_kernelINS0_14default_configENS1_25partition_config_selectorILNS1_17partition_subalgoE5EsNS0_10empty_typeEbEEZZNS1_14partition_implILS5_5ELb0ES3_mN6thrust23THRUST_200600_302600_NS6detail15normal_iteratorINSA_10device_ptrIsEEEEPS6_NSA_18transform_iteratorINSB_9not_fun_tI7is_trueIsEEESF_NSA_11use_defaultESM_EENS0_5tupleIJSF_S6_EEENSO_IJSG_SG_EEES6_PlJS6_EEE10hipError_tPvRmT3_T4_T5_T6_T7_T9_mT8_P12ihipStream_tbDpT10_ENKUlT_T0_E_clISt17integral_constantIbLb0EES1A_IbLb1EEEEDaS16_S17_EUlS16_E_NS1_11comp_targetILNS1_3genE0ELNS1_11target_archE4294967295ELNS1_3gpuE0ELNS1_3repE0EEENS1_30default_config_static_selectorELNS0_4arch9wavefront6targetE0EEEvT1_, .Lfunc_end1557-_ZN7rocprim17ROCPRIM_400000_NS6detail17trampoline_kernelINS0_14default_configENS1_25partition_config_selectorILNS1_17partition_subalgoE5EsNS0_10empty_typeEbEEZZNS1_14partition_implILS5_5ELb0ES3_mN6thrust23THRUST_200600_302600_NS6detail15normal_iteratorINSA_10device_ptrIsEEEEPS6_NSA_18transform_iteratorINSB_9not_fun_tI7is_trueIsEEESF_NSA_11use_defaultESM_EENS0_5tupleIJSF_S6_EEENSO_IJSG_SG_EEES6_PlJS6_EEE10hipError_tPvRmT3_T4_T5_T6_T7_T9_mT8_P12ihipStream_tbDpT10_ENKUlT_T0_E_clISt17integral_constantIbLb0EES1A_IbLb1EEEEDaS16_S17_EUlS16_E_NS1_11comp_targetILNS1_3genE0ELNS1_11target_archE4294967295ELNS1_3gpuE0ELNS1_3repE0EEENS1_30default_config_static_selectorELNS0_4arch9wavefront6targetE0EEEvT1_
                                        ; -- End function
	.set _ZN7rocprim17ROCPRIM_400000_NS6detail17trampoline_kernelINS0_14default_configENS1_25partition_config_selectorILNS1_17partition_subalgoE5EsNS0_10empty_typeEbEEZZNS1_14partition_implILS5_5ELb0ES3_mN6thrust23THRUST_200600_302600_NS6detail15normal_iteratorINSA_10device_ptrIsEEEEPS6_NSA_18transform_iteratorINSB_9not_fun_tI7is_trueIsEEESF_NSA_11use_defaultESM_EENS0_5tupleIJSF_S6_EEENSO_IJSG_SG_EEES6_PlJS6_EEE10hipError_tPvRmT3_T4_T5_T6_T7_T9_mT8_P12ihipStream_tbDpT10_ENKUlT_T0_E_clISt17integral_constantIbLb0EES1A_IbLb1EEEEDaS16_S17_EUlS16_E_NS1_11comp_targetILNS1_3genE0ELNS1_11target_archE4294967295ELNS1_3gpuE0ELNS1_3repE0EEENS1_30default_config_static_selectorELNS0_4arch9wavefront6targetE0EEEvT1_.num_vgpr, 0
	.set _ZN7rocprim17ROCPRIM_400000_NS6detail17trampoline_kernelINS0_14default_configENS1_25partition_config_selectorILNS1_17partition_subalgoE5EsNS0_10empty_typeEbEEZZNS1_14partition_implILS5_5ELb0ES3_mN6thrust23THRUST_200600_302600_NS6detail15normal_iteratorINSA_10device_ptrIsEEEEPS6_NSA_18transform_iteratorINSB_9not_fun_tI7is_trueIsEEESF_NSA_11use_defaultESM_EENS0_5tupleIJSF_S6_EEENSO_IJSG_SG_EEES6_PlJS6_EEE10hipError_tPvRmT3_T4_T5_T6_T7_T9_mT8_P12ihipStream_tbDpT10_ENKUlT_T0_E_clISt17integral_constantIbLb0EES1A_IbLb1EEEEDaS16_S17_EUlS16_E_NS1_11comp_targetILNS1_3genE0ELNS1_11target_archE4294967295ELNS1_3gpuE0ELNS1_3repE0EEENS1_30default_config_static_selectorELNS0_4arch9wavefront6targetE0EEEvT1_.num_agpr, 0
	.set _ZN7rocprim17ROCPRIM_400000_NS6detail17trampoline_kernelINS0_14default_configENS1_25partition_config_selectorILNS1_17partition_subalgoE5EsNS0_10empty_typeEbEEZZNS1_14partition_implILS5_5ELb0ES3_mN6thrust23THRUST_200600_302600_NS6detail15normal_iteratorINSA_10device_ptrIsEEEEPS6_NSA_18transform_iteratorINSB_9not_fun_tI7is_trueIsEEESF_NSA_11use_defaultESM_EENS0_5tupleIJSF_S6_EEENSO_IJSG_SG_EEES6_PlJS6_EEE10hipError_tPvRmT3_T4_T5_T6_T7_T9_mT8_P12ihipStream_tbDpT10_ENKUlT_T0_E_clISt17integral_constantIbLb0EES1A_IbLb1EEEEDaS16_S17_EUlS16_E_NS1_11comp_targetILNS1_3genE0ELNS1_11target_archE4294967295ELNS1_3gpuE0ELNS1_3repE0EEENS1_30default_config_static_selectorELNS0_4arch9wavefront6targetE0EEEvT1_.numbered_sgpr, 0
	.set _ZN7rocprim17ROCPRIM_400000_NS6detail17trampoline_kernelINS0_14default_configENS1_25partition_config_selectorILNS1_17partition_subalgoE5EsNS0_10empty_typeEbEEZZNS1_14partition_implILS5_5ELb0ES3_mN6thrust23THRUST_200600_302600_NS6detail15normal_iteratorINSA_10device_ptrIsEEEEPS6_NSA_18transform_iteratorINSB_9not_fun_tI7is_trueIsEEESF_NSA_11use_defaultESM_EENS0_5tupleIJSF_S6_EEENSO_IJSG_SG_EEES6_PlJS6_EEE10hipError_tPvRmT3_T4_T5_T6_T7_T9_mT8_P12ihipStream_tbDpT10_ENKUlT_T0_E_clISt17integral_constantIbLb0EES1A_IbLb1EEEEDaS16_S17_EUlS16_E_NS1_11comp_targetILNS1_3genE0ELNS1_11target_archE4294967295ELNS1_3gpuE0ELNS1_3repE0EEENS1_30default_config_static_selectorELNS0_4arch9wavefront6targetE0EEEvT1_.num_named_barrier, 0
	.set _ZN7rocprim17ROCPRIM_400000_NS6detail17trampoline_kernelINS0_14default_configENS1_25partition_config_selectorILNS1_17partition_subalgoE5EsNS0_10empty_typeEbEEZZNS1_14partition_implILS5_5ELb0ES3_mN6thrust23THRUST_200600_302600_NS6detail15normal_iteratorINSA_10device_ptrIsEEEEPS6_NSA_18transform_iteratorINSB_9not_fun_tI7is_trueIsEEESF_NSA_11use_defaultESM_EENS0_5tupleIJSF_S6_EEENSO_IJSG_SG_EEES6_PlJS6_EEE10hipError_tPvRmT3_T4_T5_T6_T7_T9_mT8_P12ihipStream_tbDpT10_ENKUlT_T0_E_clISt17integral_constantIbLb0EES1A_IbLb1EEEEDaS16_S17_EUlS16_E_NS1_11comp_targetILNS1_3genE0ELNS1_11target_archE4294967295ELNS1_3gpuE0ELNS1_3repE0EEENS1_30default_config_static_selectorELNS0_4arch9wavefront6targetE0EEEvT1_.private_seg_size, 0
	.set _ZN7rocprim17ROCPRIM_400000_NS6detail17trampoline_kernelINS0_14default_configENS1_25partition_config_selectorILNS1_17partition_subalgoE5EsNS0_10empty_typeEbEEZZNS1_14partition_implILS5_5ELb0ES3_mN6thrust23THRUST_200600_302600_NS6detail15normal_iteratorINSA_10device_ptrIsEEEEPS6_NSA_18transform_iteratorINSB_9not_fun_tI7is_trueIsEEESF_NSA_11use_defaultESM_EENS0_5tupleIJSF_S6_EEENSO_IJSG_SG_EEES6_PlJS6_EEE10hipError_tPvRmT3_T4_T5_T6_T7_T9_mT8_P12ihipStream_tbDpT10_ENKUlT_T0_E_clISt17integral_constantIbLb0EES1A_IbLb1EEEEDaS16_S17_EUlS16_E_NS1_11comp_targetILNS1_3genE0ELNS1_11target_archE4294967295ELNS1_3gpuE0ELNS1_3repE0EEENS1_30default_config_static_selectorELNS0_4arch9wavefront6targetE0EEEvT1_.uses_vcc, 0
	.set _ZN7rocprim17ROCPRIM_400000_NS6detail17trampoline_kernelINS0_14default_configENS1_25partition_config_selectorILNS1_17partition_subalgoE5EsNS0_10empty_typeEbEEZZNS1_14partition_implILS5_5ELb0ES3_mN6thrust23THRUST_200600_302600_NS6detail15normal_iteratorINSA_10device_ptrIsEEEEPS6_NSA_18transform_iteratorINSB_9not_fun_tI7is_trueIsEEESF_NSA_11use_defaultESM_EENS0_5tupleIJSF_S6_EEENSO_IJSG_SG_EEES6_PlJS6_EEE10hipError_tPvRmT3_T4_T5_T6_T7_T9_mT8_P12ihipStream_tbDpT10_ENKUlT_T0_E_clISt17integral_constantIbLb0EES1A_IbLb1EEEEDaS16_S17_EUlS16_E_NS1_11comp_targetILNS1_3genE0ELNS1_11target_archE4294967295ELNS1_3gpuE0ELNS1_3repE0EEENS1_30default_config_static_selectorELNS0_4arch9wavefront6targetE0EEEvT1_.uses_flat_scratch, 0
	.set _ZN7rocprim17ROCPRIM_400000_NS6detail17trampoline_kernelINS0_14default_configENS1_25partition_config_selectorILNS1_17partition_subalgoE5EsNS0_10empty_typeEbEEZZNS1_14partition_implILS5_5ELb0ES3_mN6thrust23THRUST_200600_302600_NS6detail15normal_iteratorINSA_10device_ptrIsEEEEPS6_NSA_18transform_iteratorINSB_9not_fun_tI7is_trueIsEEESF_NSA_11use_defaultESM_EENS0_5tupleIJSF_S6_EEENSO_IJSG_SG_EEES6_PlJS6_EEE10hipError_tPvRmT3_T4_T5_T6_T7_T9_mT8_P12ihipStream_tbDpT10_ENKUlT_T0_E_clISt17integral_constantIbLb0EES1A_IbLb1EEEEDaS16_S17_EUlS16_E_NS1_11comp_targetILNS1_3genE0ELNS1_11target_archE4294967295ELNS1_3gpuE0ELNS1_3repE0EEENS1_30default_config_static_selectorELNS0_4arch9wavefront6targetE0EEEvT1_.has_dyn_sized_stack, 0
	.set _ZN7rocprim17ROCPRIM_400000_NS6detail17trampoline_kernelINS0_14default_configENS1_25partition_config_selectorILNS1_17partition_subalgoE5EsNS0_10empty_typeEbEEZZNS1_14partition_implILS5_5ELb0ES3_mN6thrust23THRUST_200600_302600_NS6detail15normal_iteratorINSA_10device_ptrIsEEEEPS6_NSA_18transform_iteratorINSB_9not_fun_tI7is_trueIsEEESF_NSA_11use_defaultESM_EENS0_5tupleIJSF_S6_EEENSO_IJSG_SG_EEES6_PlJS6_EEE10hipError_tPvRmT3_T4_T5_T6_T7_T9_mT8_P12ihipStream_tbDpT10_ENKUlT_T0_E_clISt17integral_constantIbLb0EES1A_IbLb1EEEEDaS16_S17_EUlS16_E_NS1_11comp_targetILNS1_3genE0ELNS1_11target_archE4294967295ELNS1_3gpuE0ELNS1_3repE0EEENS1_30default_config_static_selectorELNS0_4arch9wavefront6targetE0EEEvT1_.has_recursion, 0
	.set _ZN7rocprim17ROCPRIM_400000_NS6detail17trampoline_kernelINS0_14default_configENS1_25partition_config_selectorILNS1_17partition_subalgoE5EsNS0_10empty_typeEbEEZZNS1_14partition_implILS5_5ELb0ES3_mN6thrust23THRUST_200600_302600_NS6detail15normal_iteratorINSA_10device_ptrIsEEEEPS6_NSA_18transform_iteratorINSB_9not_fun_tI7is_trueIsEEESF_NSA_11use_defaultESM_EENS0_5tupleIJSF_S6_EEENSO_IJSG_SG_EEES6_PlJS6_EEE10hipError_tPvRmT3_T4_T5_T6_T7_T9_mT8_P12ihipStream_tbDpT10_ENKUlT_T0_E_clISt17integral_constantIbLb0EES1A_IbLb1EEEEDaS16_S17_EUlS16_E_NS1_11comp_targetILNS1_3genE0ELNS1_11target_archE4294967295ELNS1_3gpuE0ELNS1_3repE0EEENS1_30default_config_static_selectorELNS0_4arch9wavefront6targetE0EEEvT1_.has_indirect_call, 0
	.section	.AMDGPU.csdata,"",@progbits
; Kernel info:
; codeLenInByte = 0
; TotalNumSgprs: 0
; NumVgprs: 0
; ScratchSize: 0
; MemoryBound: 0
; FloatMode: 240
; IeeeMode: 1
; LDSByteSize: 0 bytes/workgroup (compile time only)
; SGPRBlocks: 0
; VGPRBlocks: 0
; NumSGPRsForWavesPerEU: 1
; NumVGPRsForWavesPerEU: 1
; Occupancy: 16
; WaveLimiterHint : 0
; COMPUTE_PGM_RSRC2:SCRATCH_EN: 0
; COMPUTE_PGM_RSRC2:USER_SGPR: 2
; COMPUTE_PGM_RSRC2:TRAP_HANDLER: 0
; COMPUTE_PGM_RSRC2:TGID_X_EN: 1
; COMPUTE_PGM_RSRC2:TGID_Y_EN: 0
; COMPUTE_PGM_RSRC2:TGID_Z_EN: 0
; COMPUTE_PGM_RSRC2:TIDIG_COMP_CNT: 0
	.section	.text._ZN7rocprim17ROCPRIM_400000_NS6detail17trampoline_kernelINS0_14default_configENS1_25partition_config_selectorILNS1_17partition_subalgoE5EsNS0_10empty_typeEbEEZZNS1_14partition_implILS5_5ELb0ES3_mN6thrust23THRUST_200600_302600_NS6detail15normal_iteratorINSA_10device_ptrIsEEEEPS6_NSA_18transform_iteratorINSB_9not_fun_tI7is_trueIsEEESF_NSA_11use_defaultESM_EENS0_5tupleIJSF_S6_EEENSO_IJSG_SG_EEES6_PlJS6_EEE10hipError_tPvRmT3_T4_T5_T6_T7_T9_mT8_P12ihipStream_tbDpT10_ENKUlT_T0_E_clISt17integral_constantIbLb0EES1A_IbLb1EEEEDaS16_S17_EUlS16_E_NS1_11comp_targetILNS1_3genE5ELNS1_11target_archE942ELNS1_3gpuE9ELNS1_3repE0EEENS1_30default_config_static_selectorELNS0_4arch9wavefront6targetE0EEEvT1_,"axG",@progbits,_ZN7rocprim17ROCPRIM_400000_NS6detail17trampoline_kernelINS0_14default_configENS1_25partition_config_selectorILNS1_17partition_subalgoE5EsNS0_10empty_typeEbEEZZNS1_14partition_implILS5_5ELb0ES3_mN6thrust23THRUST_200600_302600_NS6detail15normal_iteratorINSA_10device_ptrIsEEEEPS6_NSA_18transform_iteratorINSB_9not_fun_tI7is_trueIsEEESF_NSA_11use_defaultESM_EENS0_5tupleIJSF_S6_EEENSO_IJSG_SG_EEES6_PlJS6_EEE10hipError_tPvRmT3_T4_T5_T6_T7_T9_mT8_P12ihipStream_tbDpT10_ENKUlT_T0_E_clISt17integral_constantIbLb0EES1A_IbLb1EEEEDaS16_S17_EUlS16_E_NS1_11comp_targetILNS1_3genE5ELNS1_11target_archE942ELNS1_3gpuE9ELNS1_3repE0EEENS1_30default_config_static_selectorELNS0_4arch9wavefront6targetE0EEEvT1_,comdat
	.protected	_ZN7rocprim17ROCPRIM_400000_NS6detail17trampoline_kernelINS0_14default_configENS1_25partition_config_selectorILNS1_17partition_subalgoE5EsNS0_10empty_typeEbEEZZNS1_14partition_implILS5_5ELb0ES3_mN6thrust23THRUST_200600_302600_NS6detail15normal_iteratorINSA_10device_ptrIsEEEEPS6_NSA_18transform_iteratorINSB_9not_fun_tI7is_trueIsEEESF_NSA_11use_defaultESM_EENS0_5tupleIJSF_S6_EEENSO_IJSG_SG_EEES6_PlJS6_EEE10hipError_tPvRmT3_T4_T5_T6_T7_T9_mT8_P12ihipStream_tbDpT10_ENKUlT_T0_E_clISt17integral_constantIbLb0EES1A_IbLb1EEEEDaS16_S17_EUlS16_E_NS1_11comp_targetILNS1_3genE5ELNS1_11target_archE942ELNS1_3gpuE9ELNS1_3repE0EEENS1_30default_config_static_selectorELNS0_4arch9wavefront6targetE0EEEvT1_ ; -- Begin function _ZN7rocprim17ROCPRIM_400000_NS6detail17trampoline_kernelINS0_14default_configENS1_25partition_config_selectorILNS1_17partition_subalgoE5EsNS0_10empty_typeEbEEZZNS1_14partition_implILS5_5ELb0ES3_mN6thrust23THRUST_200600_302600_NS6detail15normal_iteratorINSA_10device_ptrIsEEEEPS6_NSA_18transform_iteratorINSB_9not_fun_tI7is_trueIsEEESF_NSA_11use_defaultESM_EENS0_5tupleIJSF_S6_EEENSO_IJSG_SG_EEES6_PlJS6_EEE10hipError_tPvRmT3_T4_T5_T6_T7_T9_mT8_P12ihipStream_tbDpT10_ENKUlT_T0_E_clISt17integral_constantIbLb0EES1A_IbLb1EEEEDaS16_S17_EUlS16_E_NS1_11comp_targetILNS1_3genE5ELNS1_11target_archE942ELNS1_3gpuE9ELNS1_3repE0EEENS1_30default_config_static_selectorELNS0_4arch9wavefront6targetE0EEEvT1_
	.globl	_ZN7rocprim17ROCPRIM_400000_NS6detail17trampoline_kernelINS0_14default_configENS1_25partition_config_selectorILNS1_17partition_subalgoE5EsNS0_10empty_typeEbEEZZNS1_14partition_implILS5_5ELb0ES3_mN6thrust23THRUST_200600_302600_NS6detail15normal_iteratorINSA_10device_ptrIsEEEEPS6_NSA_18transform_iteratorINSB_9not_fun_tI7is_trueIsEEESF_NSA_11use_defaultESM_EENS0_5tupleIJSF_S6_EEENSO_IJSG_SG_EEES6_PlJS6_EEE10hipError_tPvRmT3_T4_T5_T6_T7_T9_mT8_P12ihipStream_tbDpT10_ENKUlT_T0_E_clISt17integral_constantIbLb0EES1A_IbLb1EEEEDaS16_S17_EUlS16_E_NS1_11comp_targetILNS1_3genE5ELNS1_11target_archE942ELNS1_3gpuE9ELNS1_3repE0EEENS1_30default_config_static_selectorELNS0_4arch9wavefront6targetE0EEEvT1_
	.p2align	8
	.type	_ZN7rocprim17ROCPRIM_400000_NS6detail17trampoline_kernelINS0_14default_configENS1_25partition_config_selectorILNS1_17partition_subalgoE5EsNS0_10empty_typeEbEEZZNS1_14partition_implILS5_5ELb0ES3_mN6thrust23THRUST_200600_302600_NS6detail15normal_iteratorINSA_10device_ptrIsEEEEPS6_NSA_18transform_iteratorINSB_9not_fun_tI7is_trueIsEEESF_NSA_11use_defaultESM_EENS0_5tupleIJSF_S6_EEENSO_IJSG_SG_EEES6_PlJS6_EEE10hipError_tPvRmT3_T4_T5_T6_T7_T9_mT8_P12ihipStream_tbDpT10_ENKUlT_T0_E_clISt17integral_constantIbLb0EES1A_IbLb1EEEEDaS16_S17_EUlS16_E_NS1_11comp_targetILNS1_3genE5ELNS1_11target_archE942ELNS1_3gpuE9ELNS1_3repE0EEENS1_30default_config_static_selectorELNS0_4arch9wavefront6targetE0EEEvT1_,@function
_ZN7rocprim17ROCPRIM_400000_NS6detail17trampoline_kernelINS0_14default_configENS1_25partition_config_selectorILNS1_17partition_subalgoE5EsNS0_10empty_typeEbEEZZNS1_14partition_implILS5_5ELb0ES3_mN6thrust23THRUST_200600_302600_NS6detail15normal_iteratorINSA_10device_ptrIsEEEEPS6_NSA_18transform_iteratorINSB_9not_fun_tI7is_trueIsEEESF_NSA_11use_defaultESM_EENS0_5tupleIJSF_S6_EEENSO_IJSG_SG_EEES6_PlJS6_EEE10hipError_tPvRmT3_T4_T5_T6_T7_T9_mT8_P12ihipStream_tbDpT10_ENKUlT_T0_E_clISt17integral_constantIbLb0EES1A_IbLb1EEEEDaS16_S17_EUlS16_E_NS1_11comp_targetILNS1_3genE5ELNS1_11target_archE942ELNS1_3gpuE9ELNS1_3repE0EEENS1_30default_config_static_selectorELNS0_4arch9wavefront6targetE0EEEvT1_: ; @_ZN7rocprim17ROCPRIM_400000_NS6detail17trampoline_kernelINS0_14default_configENS1_25partition_config_selectorILNS1_17partition_subalgoE5EsNS0_10empty_typeEbEEZZNS1_14partition_implILS5_5ELb0ES3_mN6thrust23THRUST_200600_302600_NS6detail15normal_iteratorINSA_10device_ptrIsEEEEPS6_NSA_18transform_iteratorINSB_9not_fun_tI7is_trueIsEEESF_NSA_11use_defaultESM_EENS0_5tupleIJSF_S6_EEENSO_IJSG_SG_EEES6_PlJS6_EEE10hipError_tPvRmT3_T4_T5_T6_T7_T9_mT8_P12ihipStream_tbDpT10_ENKUlT_T0_E_clISt17integral_constantIbLb0EES1A_IbLb1EEEEDaS16_S17_EUlS16_E_NS1_11comp_targetILNS1_3genE5ELNS1_11target_archE942ELNS1_3gpuE9ELNS1_3repE0EEENS1_30default_config_static_selectorELNS0_4arch9wavefront6targetE0EEEvT1_
; %bb.0:
	.section	.rodata,"a",@progbits
	.p2align	6, 0x0
	.amdhsa_kernel _ZN7rocprim17ROCPRIM_400000_NS6detail17trampoline_kernelINS0_14default_configENS1_25partition_config_selectorILNS1_17partition_subalgoE5EsNS0_10empty_typeEbEEZZNS1_14partition_implILS5_5ELb0ES3_mN6thrust23THRUST_200600_302600_NS6detail15normal_iteratorINSA_10device_ptrIsEEEEPS6_NSA_18transform_iteratorINSB_9not_fun_tI7is_trueIsEEESF_NSA_11use_defaultESM_EENS0_5tupleIJSF_S6_EEENSO_IJSG_SG_EEES6_PlJS6_EEE10hipError_tPvRmT3_T4_T5_T6_T7_T9_mT8_P12ihipStream_tbDpT10_ENKUlT_T0_E_clISt17integral_constantIbLb0EES1A_IbLb1EEEEDaS16_S17_EUlS16_E_NS1_11comp_targetILNS1_3genE5ELNS1_11target_archE942ELNS1_3gpuE9ELNS1_3repE0EEENS1_30default_config_static_selectorELNS0_4arch9wavefront6targetE0EEEvT1_
		.amdhsa_group_segment_fixed_size 0
		.amdhsa_private_segment_fixed_size 0
		.amdhsa_kernarg_size 136
		.amdhsa_user_sgpr_count 2
		.amdhsa_user_sgpr_dispatch_ptr 0
		.amdhsa_user_sgpr_queue_ptr 0
		.amdhsa_user_sgpr_kernarg_segment_ptr 1
		.amdhsa_user_sgpr_dispatch_id 0
		.amdhsa_user_sgpr_private_segment_size 0
		.amdhsa_wavefront_size32 1
		.amdhsa_uses_dynamic_stack 0
		.amdhsa_enable_private_segment 0
		.amdhsa_system_sgpr_workgroup_id_x 1
		.amdhsa_system_sgpr_workgroup_id_y 0
		.amdhsa_system_sgpr_workgroup_id_z 0
		.amdhsa_system_sgpr_workgroup_info 0
		.amdhsa_system_vgpr_workitem_id 0
		.amdhsa_next_free_vgpr 1
		.amdhsa_next_free_sgpr 1
		.amdhsa_reserve_vcc 0
		.amdhsa_float_round_mode_32 0
		.amdhsa_float_round_mode_16_64 0
		.amdhsa_float_denorm_mode_32 3
		.amdhsa_float_denorm_mode_16_64 3
		.amdhsa_fp16_overflow 0
		.amdhsa_workgroup_processor_mode 1
		.amdhsa_memory_ordered 1
		.amdhsa_forward_progress 1
		.amdhsa_inst_pref_size 0
		.amdhsa_round_robin_scheduling 0
		.amdhsa_exception_fp_ieee_invalid_op 0
		.amdhsa_exception_fp_denorm_src 0
		.amdhsa_exception_fp_ieee_div_zero 0
		.amdhsa_exception_fp_ieee_overflow 0
		.amdhsa_exception_fp_ieee_underflow 0
		.amdhsa_exception_fp_ieee_inexact 0
		.amdhsa_exception_int_div_zero 0
	.end_amdhsa_kernel
	.section	.text._ZN7rocprim17ROCPRIM_400000_NS6detail17trampoline_kernelINS0_14default_configENS1_25partition_config_selectorILNS1_17partition_subalgoE5EsNS0_10empty_typeEbEEZZNS1_14partition_implILS5_5ELb0ES3_mN6thrust23THRUST_200600_302600_NS6detail15normal_iteratorINSA_10device_ptrIsEEEEPS6_NSA_18transform_iteratorINSB_9not_fun_tI7is_trueIsEEESF_NSA_11use_defaultESM_EENS0_5tupleIJSF_S6_EEENSO_IJSG_SG_EEES6_PlJS6_EEE10hipError_tPvRmT3_T4_T5_T6_T7_T9_mT8_P12ihipStream_tbDpT10_ENKUlT_T0_E_clISt17integral_constantIbLb0EES1A_IbLb1EEEEDaS16_S17_EUlS16_E_NS1_11comp_targetILNS1_3genE5ELNS1_11target_archE942ELNS1_3gpuE9ELNS1_3repE0EEENS1_30default_config_static_selectorELNS0_4arch9wavefront6targetE0EEEvT1_,"axG",@progbits,_ZN7rocprim17ROCPRIM_400000_NS6detail17trampoline_kernelINS0_14default_configENS1_25partition_config_selectorILNS1_17partition_subalgoE5EsNS0_10empty_typeEbEEZZNS1_14partition_implILS5_5ELb0ES3_mN6thrust23THRUST_200600_302600_NS6detail15normal_iteratorINSA_10device_ptrIsEEEEPS6_NSA_18transform_iteratorINSB_9not_fun_tI7is_trueIsEEESF_NSA_11use_defaultESM_EENS0_5tupleIJSF_S6_EEENSO_IJSG_SG_EEES6_PlJS6_EEE10hipError_tPvRmT3_T4_T5_T6_T7_T9_mT8_P12ihipStream_tbDpT10_ENKUlT_T0_E_clISt17integral_constantIbLb0EES1A_IbLb1EEEEDaS16_S17_EUlS16_E_NS1_11comp_targetILNS1_3genE5ELNS1_11target_archE942ELNS1_3gpuE9ELNS1_3repE0EEENS1_30default_config_static_selectorELNS0_4arch9wavefront6targetE0EEEvT1_,comdat
.Lfunc_end1558:
	.size	_ZN7rocprim17ROCPRIM_400000_NS6detail17trampoline_kernelINS0_14default_configENS1_25partition_config_selectorILNS1_17partition_subalgoE5EsNS0_10empty_typeEbEEZZNS1_14partition_implILS5_5ELb0ES3_mN6thrust23THRUST_200600_302600_NS6detail15normal_iteratorINSA_10device_ptrIsEEEEPS6_NSA_18transform_iteratorINSB_9not_fun_tI7is_trueIsEEESF_NSA_11use_defaultESM_EENS0_5tupleIJSF_S6_EEENSO_IJSG_SG_EEES6_PlJS6_EEE10hipError_tPvRmT3_T4_T5_T6_T7_T9_mT8_P12ihipStream_tbDpT10_ENKUlT_T0_E_clISt17integral_constantIbLb0EES1A_IbLb1EEEEDaS16_S17_EUlS16_E_NS1_11comp_targetILNS1_3genE5ELNS1_11target_archE942ELNS1_3gpuE9ELNS1_3repE0EEENS1_30default_config_static_selectorELNS0_4arch9wavefront6targetE0EEEvT1_, .Lfunc_end1558-_ZN7rocprim17ROCPRIM_400000_NS6detail17trampoline_kernelINS0_14default_configENS1_25partition_config_selectorILNS1_17partition_subalgoE5EsNS0_10empty_typeEbEEZZNS1_14partition_implILS5_5ELb0ES3_mN6thrust23THRUST_200600_302600_NS6detail15normal_iteratorINSA_10device_ptrIsEEEEPS6_NSA_18transform_iteratorINSB_9not_fun_tI7is_trueIsEEESF_NSA_11use_defaultESM_EENS0_5tupleIJSF_S6_EEENSO_IJSG_SG_EEES6_PlJS6_EEE10hipError_tPvRmT3_T4_T5_T6_T7_T9_mT8_P12ihipStream_tbDpT10_ENKUlT_T0_E_clISt17integral_constantIbLb0EES1A_IbLb1EEEEDaS16_S17_EUlS16_E_NS1_11comp_targetILNS1_3genE5ELNS1_11target_archE942ELNS1_3gpuE9ELNS1_3repE0EEENS1_30default_config_static_selectorELNS0_4arch9wavefront6targetE0EEEvT1_
                                        ; -- End function
	.set _ZN7rocprim17ROCPRIM_400000_NS6detail17trampoline_kernelINS0_14default_configENS1_25partition_config_selectorILNS1_17partition_subalgoE5EsNS0_10empty_typeEbEEZZNS1_14partition_implILS5_5ELb0ES3_mN6thrust23THRUST_200600_302600_NS6detail15normal_iteratorINSA_10device_ptrIsEEEEPS6_NSA_18transform_iteratorINSB_9not_fun_tI7is_trueIsEEESF_NSA_11use_defaultESM_EENS0_5tupleIJSF_S6_EEENSO_IJSG_SG_EEES6_PlJS6_EEE10hipError_tPvRmT3_T4_T5_T6_T7_T9_mT8_P12ihipStream_tbDpT10_ENKUlT_T0_E_clISt17integral_constantIbLb0EES1A_IbLb1EEEEDaS16_S17_EUlS16_E_NS1_11comp_targetILNS1_3genE5ELNS1_11target_archE942ELNS1_3gpuE9ELNS1_3repE0EEENS1_30default_config_static_selectorELNS0_4arch9wavefront6targetE0EEEvT1_.num_vgpr, 0
	.set _ZN7rocprim17ROCPRIM_400000_NS6detail17trampoline_kernelINS0_14default_configENS1_25partition_config_selectorILNS1_17partition_subalgoE5EsNS0_10empty_typeEbEEZZNS1_14partition_implILS5_5ELb0ES3_mN6thrust23THRUST_200600_302600_NS6detail15normal_iteratorINSA_10device_ptrIsEEEEPS6_NSA_18transform_iteratorINSB_9not_fun_tI7is_trueIsEEESF_NSA_11use_defaultESM_EENS0_5tupleIJSF_S6_EEENSO_IJSG_SG_EEES6_PlJS6_EEE10hipError_tPvRmT3_T4_T5_T6_T7_T9_mT8_P12ihipStream_tbDpT10_ENKUlT_T0_E_clISt17integral_constantIbLb0EES1A_IbLb1EEEEDaS16_S17_EUlS16_E_NS1_11comp_targetILNS1_3genE5ELNS1_11target_archE942ELNS1_3gpuE9ELNS1_3repE0EEENS1_30default_config_static_selectorELNS0_4arch9wavefront6targetE0EEEvT1_.num_agpr, 0
	.set _ZN7rocprim17ROCPRIM_400000_NS6detail17trampoline_kernelINS0_14default_configENS1_25partition_config_selectorILNS1_17partition_subalgoE5EsNS0_10empty_typeEbEEZZNS1_14partition_implILS5_5ELb0ES3_mN6thrust23THRUST_200600_302600_NS6detail15normal_iteratorINSA_10device_ptrIsEEEEPS6_NSA_18transform_iteratorINSB_9not_fun_tI7is_trueIsEEESF_NSA_11use_defaultESM_EENS0_5tupleIJSF_S6_EEENSO_IJSG_SG_EEES6_PlJS6_EEE10hipError_tPvRmT3_T4_T5_T6_T7_T9_mT8_P12ihipStream_tbDpT10_ENKUlT_T0_E_clISt17integral_constantIbLb0EES1A_IbLb1EEEEDaS16_S17_EUlS16_E_NS1_11comp_targetILNS1_3genE5ELNS1_11target_archE942ELNS1_3gpuE9ELNS1_3repE0EEENS1_30default_config_static_selectorELNS0_4arch9wavefront6targetE0EEEvT1_.numbered_sgpr, 0
	.set _ZN7rocprim17ROCPRIM_400000_NS6detail17trampoline_kernelINS0_14default_configENS1_25partition_config_selectorILNS1_17partition_subalgoE5EsNS0_10empty_typeEbEEZZNS1_14partition_implILS5_5ELb0ES3_mN6thrust23THRUST_200600_302600_NS6detail15normal_iteratorINSA_10device_ptrIsEEEEPS6_NSA_18transform_iteratorINSB_9not_fun_tI7is_trueIsEEESF_NSA_11use_defaultESM_EENS0_5tupleIJSF_S6_EEENSO_IJSG_SG_EEES6_PlJS6_EEE10hipError_tPvRmT3_T4_T5_T6_T7_T9_mT8_P12ihipStream_tbDpT10_ENKUlT_T0_E_clISt17integral_constantIbLb0EES1A_IbLb1EEEEDaS16_S17_EUlS16_E_NS1_11comp_targetILNS1_3genE5ELNS1_11target_archE942ELNS1_3gpuE9ELNS1_3repE0EEENS1_30default_config_static_selectorELNS0_4arch9wavefront6targetE0EEEvT1_.num_named_barrier, 0
	.set _ZN7rocprim17ROCPRIM_400000_NS6detail17trampoline_kernelINS0_14default_configENS1_25partition_config_selectorILNS1_17partition_subalgoE5EsNS0_10empty_typeEbEEZZNS1_14partition_implILS5_5ELb0ES3_mN6thrust23THRUST_200600_302600_NS6detail15normal_iteratorINSA_10device_ptrIsEEEEPS6_NSA_18transform_iteratorINSB_9not_fun_tI7is_trueIsEEESF_NSA_11use_defaultESM_EENS0_5tupleIJSF_S6_EEENSO_IJSG_SG_EEES6_PlJS6_EEE10hipError_tPvRmT3_T4_T5_T6_T7_T9_mT8_P12ihipStream_tbDpT10_ENKUlT_T0_E_clISt17integral_constantIbLb0EES1A_IbLb1EEEEDaS16_S17_EUlS16_E_NS1_11comp_targetILNS1_3genE5ELNS1_11target_archE942ELNS1_3gpuE9ELNS1_3repE0EEENS1_30default_config_static_selectorELNS0_4arch9wavefront6targetE0EEEvT1_.private_seg_size, 0
	.set _ZN7rocprim17ROCPRIM_400000_NS6detail17trampoline_kernelINS0_14default_configENS1_25partition_config_selectorILNS1_17partition_subalgoE5EsNS0_10empty_typeEbEEZZNS1_14partition_implILS5_5ELb0ES3_mN6thrust23THRUST_200600_302600_NS6detail15normal_iteratorINSA_10device_ptrIsEEEEPS6_NSA_18transform_iteratorINSB_9not_fun_tI7is_trueIsEEESF_NSA_11use_defaultESM_EENS0_5tupleIJSF_S6_EEENSO_IJSG_SG_EEES6_PlJS6_EEE10hipError_tPvRmT3_T4_T5_T6_T7_T9_mT8_P12ihipStream_tbDpT10_ENKUlT_T0_E_clISt17integral_constantIbLb0EES1A_IbLb1EEEEDaS16_S17_EUlS16_E_NS1_11comp_targetILNS1_3genE5ELNS1_11target_archE942ELNS1_3gpuE9ELNS1_3repE0EEENS1_30default_config_static_selectorELNS0_4arch9wavefront6targetE0EEEvT1_.uses_vcc, 0
	.set _ZN7rocprim17ROCPRIM_400000_NS6detail17trampoline_kernelINS0_14default_configENS1_25partition_config_selectorILNS1_17partition_subalgoE5EsNS0_10empty_typeEbEEZZNS1_14partition_implILS5_5ELb0ES3_mN6thrust23THRUST_200600_302600_NS6detail15normal_iteratorINSA_10device_ptrIsEEEEPS6_NSA_18transform_iteratorINSB_9not_fun_tI7is_trueIsEEESF_NSA_11use_defaultESM_EENS0_5tupleIJSF_S6_EEENSO_IJSG_SG_EEES6_PlJS6_EEE10hipError_tPvRmT3_T4_T5_T6_T7_T9_mT8_P12ihipStream_tbDpT10_ENKUlT_T0_E_clISt17integral_constantIbLb0EES1A_IbLb1EEEEDaS16_S17_EUlS16_E_NS1_11comp_targetILNS1_3genE5ELNS1_11target_archE942ELNS1_3gpuE9ELNS1_3repE0EEENS1_30default_config_static_selectorELNS0_4arch9wavefront6targetE0EEEvT1_.uses_flat_scratch, 0
	.set _ZN7rocprim17ROCPRIM_400000_NS6detail17trampoline_kernelINS0_14default_configENS1_25partition_config_selectorILNS1_17partition_subalgoE5EsNS0_10empty_typeEbEEZZNS1_14partition_implILS5_5ELb0ES3_mN6thrust23THRUST_200600_302600_NS6detail15normal_iteratorINSA_10device_ptrIsEEEEPS6_NSA_18transform_iteratorINSB_9not_fun_tI7is_trueIsEEESF_NSA_11use_defaultESM_EENS0_5tupleIJSF_S6_EEENSO_IJSG_SG_EEES6_PlJS6_EEE10hipError_tPvRmT3_T4_T5_T6_T7_T9_mT8_P12ihipStream_tbDpT10_ENKUlT_T0_E_clISt17integral_constantIbLb0EES1A_IbLb1EEEEDaS16_S17_EUlS16_E_NS1_11comp_targetILNS1_3genE5ELNS1_11target_archE942ELNS1_3gpuE9ELNS1_3repE0EEENS1_30default_config_static_selectorELNS0_4arch9wavefront6targetE0EEEvT1_.has_dyn_sized_stack, 0
	.set _ZN7rocprim17ROCPRIM_400000_NS6detail17trampoline_kernelINS0_14default_configENS1_25partition_config_selectorILNS1_17partition_subalgoE5EsNS0_10empty_typeEbEEZZNS1_14partition_implILS5_5ELb0ES3_mN6thrust23THRUST_200600_302600_NS6detail15normal_iteratorINSA_10device_ptrIsEEEEPS6_NSA_18transform_iteratorINSB_9not_fun_tI7is_trueIsEEESF_NSA_11use_defaultESM_EENS0_5tupleIJSF_S6_EEENSO_IJSG_SG_EEES6_PlJS6_EEE10hipError_tPvRmT3_T4_T5_T6_T7_T9_mT8_P12ihipStream_tbDpT10_ENKUlT_T0_E_clISt17integral_constantIbLb0EES1A_IbLb1EEEEDaS16_S17_EUlS16_E_NS1_11comp_targetILNS1_3genE5ELNS1_11target_archE942ELNS1_3gpuE9ELNS1_3repE0EEENS1_30default_config_static_selectorELNS0_4arch9wavefront6targetE0EEEvT1_.has_recursion, 0
	.set _ZN7rocprim17ROCPRIM_400000_NS6detail17trampoline_kernelINS0_14default_configENS1_25partition_config_selectorILNS1_17partition_subalgoE5EsNS0_10empty_typeEbEEZZNS1_14partition_implILS5_5ELb0ES3_mN6thrust23THRUST_200600_302600_NS6detail15normal_iteratorINSA_10device_ptrIsEEEEPS6_NSA_18transform_iteratorINSB_9not_fun_tI7is_trueIsEEESF_NSA_11use_defaultESM_EENS0_5tupleIJSF_S6_EEENSO_IJSG_SG_EEES6_PlJS6_EEE10hipError_tPvRmT3_T4_T5_T6_T7_T9_mT8_P12ihipStream_tbDpT10_ENKUlT_T0_E_clISt17integral_constantIbLb0EES1A_IbLb1EEEEDaS16_S17_EUlS16_E_NS1_11comp_targetILNS1_3genE5ELNS1_11target_archE942ELNS1_3gpuE9ELNS1_3repE0EEENS1_30default_config_static_selectorELNS0_4arch9wavefront6targetE0EEEvT1_.has_indirect_call, 0
	.section	.AMDGPU.csdata,"",@progbits
; Kernel info:
; codeLenInByte = 0
; TotalNumSgprs: 0
; NumVgprs: 0
; ScratchSize: 0
; MemoryBound: 0
; FloatMode: 240
; IeeeMode: 1
; LDSByteSize: 0 bytes/workgroup (compile time only)
; SGPRBlocks: 0
; VGPRBlocks: 0
; NumSGPRsForWavesPerEU: 1
; NumVGPRsForWavesPerEU: 1
; Occupancy: 16
; WaveLimiterHint : 0
; COMPUTE_PGM_RSRC2:SCRATCH_EN: 0
; COMPUTE_PGM_RSRC2:USER_SGPR: 2
; COMPUTE_PGM_RSRC2:TRAP_HANDLER: 0
; COMPUTE_PGM_RSRC2:TGID_X_EN: 1
; COMPUTE_PGM_RSRC2:TGID_Y_EN: 0
; COMPUTE_PGM_RSRC2:TGID_Z_EN: 0
; COMPUTE_PGM_RSRC2:TIDIG_COMP_CNT: 0
	.section	.text._ZN7rocprim17ROCPRIM_400000_NS6detail17trampoline_kernelINS0_14default_configENS1_25partition_config_selectorILNS1_17partition_subalgoE5EsNS0_10empty_typeEbEEZZNS1_14partition_implILS5_5ELb0ES3_mN6thrust23THRUST_200600_302600_NS6detail15normal_iteratorINSA_10device_ptrIsEEEEPS6_NSA_18transform_iteratorINSB_9not_fun_tI7is_trueIsEEESF_NSA_11use_defaultESM_EENS0_5tupleIJSF_S6_EEENSO_IJSG_SG_EEES6_PlJS6_EEE10hipError_tPvRmT3_T4_T5_T6_T7_T9_mT8_P12ihipStream_tbDpT10_ENKUlT_T0_E_clISt17integral_constantIbLb0EES1A_IbLb1EEEEDaS16_S17_EUlS16_E_NS1_11comp_targetILNS1_3genE4ELNS1_11target_archE910ELNS1_3gpuE8ELNS1_3repE0EEENS1_30default_config_static_selectorELNS0_4arch9wavefront6targetE0EEEvT1_,"axG",@progbits,_ZN7rocprim17ROCPRIM_400000_NS6detail17trampoline_kernelINS0_14default_configENS1_25partition_config_selectorILNS1_17partition_subalgoE5EsNS0_10empty_typeEbEEZZNS1_14partition_implILS5_5ELb0ES3_mN6thrust23THRUST_200600_302600_NS6detail15normal_iteratorINSA_10device_ptrIsEEEEPS6_NSA_18transform_iteratorINSB_9not_fun_tI7is_trueIsEEESF_NSA_11use_defaultESM_EENS0_5tupleIJSF_S6_EEENSO_IJSG_SG_EEES6_PlJS6_EEE10hipError_tPvRmT3_T4_T5_T6_T7_T9_mT8_P12ihipStream_tbDpT10_ENKUlT_T0_E_clISt17integral_constantIbLb0EES1A_IbLb1EEEEDaS16_S17_EUlS16_E_NS1_11comp_targetILNS1_3genE4ELNS1_11target_archE910ELNS1_3gpuE8ELNS1_3repE0EEENS1_30default_config_static_selectorELNS0_4arch9wavefront6targetE0EEEvT1_,comdat
	.protected	_ZN7rocprim17ROCPRIM_400000_NS6detail17trampoline_kernelINS0_14default_configENS1_25partition_config_selectorILNS1_17partition_subalgoE5EsNS0_10empty_typeEbEEZZNS1_14partition_implILS5_5ELb0ES3_mN6thrust23THRUST_200600_302600_NS6detail15normal_iteratorINSA_10device_ptrIsEEEEPS6_NSA_18transform_iteratorINSB_9not_fun_tI7is_trueIsEEESF_NSA_11use_defaultESM_EENS0_5tupleIJSF_S6_EEENSO_IJSG_SG_EEES6_PlJS6_EEE10hipError_tPvRmT3_T4_T5_T6_T7_T9_mT8_P12ihipStream_tbDpT10_ENKUlT_T0_E_clISt17integral_constantIbLb0EES1A_IbLb1EEEEDaS16_S17_EUlS16_E_NS1_11comp_targetILNS1_3genE4ELNS1_11target_archE910ELNS1_3gpuE8ELNS1_3repE0EEENS1_30default_config_static_selectorELNS0_4arch9wavefront6targetE0EEEvT1_ ; -- Begin function _ZN7rocprim17ROCPRIM_400000_NS6detail17trampoline_kernelINS0_14default_configENS1_25partition_config_selectorILNS1_17partition_subalgoE5EsNS0_10empty_typeEbEEZZNS1_14partition_implILS5_5ELb0ES3_mN6thrust23THRUST_200600_302600_NS6detail15normal_iteratorINSA_10device_ptrIsEEEEPS6_NSA_18transform_iteratorINSB_9not_fun_tI7is_trueIsEEESF_NSA_11use_defaultESM_EENS0_5tupleIJSF_S6_EEENSO_IJSG_SG_EEES6_PlJS6_EEE10hipError_tPvRmT3_T4_T5_T6_T7_T9_mT8_P12ihipStream_tbDpT10_ENKUlT_T0_E_clISt17integral_constantIbLb0EES1A_IbLb1EEEEDaS16_S17_EUlS16_E_NS1_11comp_targetILNS1_3genE4ELNS1_11target_archE910ELNS1_3gpuE8ELNS1_3repE0EEENS1_30default_config_static_selectorELNS0_4arch9wavefront6targetE0EEEvT1_
	.globl	_ZN7rocprim17ROCPRIM_400000_NS6detail17trampoline_kernelINS0_14default_configENS1_25partition_config_selectorILNS1_17partition_subalgoE5EsNS0_10empty_typeEbEEZZNS1_14partition_implILS5_5ELb0ES3_mN6thrust23THRUST_200600_302600_NS6detail15normal_iteratorINSA_10device_ptrIsEEEEPS6_NSA_18transform_iteratorINSB_9not_fun_tI7is_trueIsEEESF_NSA_11use_defaultESM_EENS0_5tupleIJSF_S6_EEENSO_IJSG_SG_EEES6_PlJS6_EEE10hipError_tPvRmT3_T4_T5_T6_T7_T9_mT8_P12ihipStream_tbDpT10_ENKUlT_T0_E_clISt17integral_constantIbLb0EES1A_IbLb1EEEEDaS16_S17_EUlS16_E_NS1_11comp_targetILNS1_3genE4ELNS1_11target_archE910ELNS1_3gpuE8ELNS1_3repE0EEENS1_30default_config_static_selectorELNS0_4arch9wavefront6targetE0EEEvT1_
	.p2align	8
	.type	_ZN7rocprim17ROCPRIM_400000_NS6detail17trampoline_kernelINS0_14default_configENS1_25partition_config_selectorILNS1_17partition_subalgoE5EsNS0_10empty_typeEbEEZZNS1_14partition_implILS5_5ELb0ES3_mN6thrust23THRUST_200600_302600_NS6detail15normal_iteratorINSA_10device_ptrIsEEEEPS6_NSA_18transform_iteratorINSB_9not_fun_tI7is_trueIsEEESF_NSA_11use_defaultESM_EENS0_5tupleIJSF_S6_EEENSO_IJSG_SG_EEES6_PlJS6_EEE10hipError_tPvRmT3_T4_T5_T6_T7_T9_mT8_P12ihipStream_tbDpT10_ENKUlT_T0_E_clISt17integral_constantIbLb0EES1A_IbLb1EEEEDaS16_S17_EUlS16_E_NS1_11comp_targetILNS1_3genE4ELNS1_11target_archE910ELNS1_3gpuE8ELNS1_3repE0EEENS1_30default_config_static_selectorELNS0_4arch9wavefront6targetE0EEEvT1_,@function
_ZN7rocprim17ROCPRIM_400000_NS6detail17trampoline_kernelINS0_14default_configENS1_25partition_config_selectorILNS1_17partition_subalgoE5EsNS0_10empty_typeEbEEZZNS1_14partition_implILS5_5ELb0ES3_mN6thrust23THRUST_200600_302600_NS6detail15normal_iteratorINSA_10device_ptrIsEEEEPS6_NSA_18transform_iteratorINSB_9not_fun_tI7is_trueIsEEESF_NSA_11use_defaultESM_EENS0_5tupleIJSF_S6_EEENSO_IJSG_SG_EEES6_PlJS6_EEE10hipError_tPvRmT3_T4_T5_T6_T7_T9_mT8_P12ihipStream_tbDpT10_ENKUlT_T0_E_clISt17integral_constantIbLb0EES1A_IbLb1EEEEDaS16_S17_EUlS16_E_NS1_11comp_targetILNS1_3genE4ELNS1_11target_archE910ELNS1_3gpuE8ELNS1_3repE0EEENS1_30default_config_static_selectorELNS0_4arch9wavefront6targetE0EEEvT1_: ; @_ZN7rocprim17ROCPRIM_400000_NS6detail17trampoline_kernelINS0_14default_configENS1_25partition_config_selectorILNS1_17partition_subalgoE5EsNS0_10empty_typeEbEEZZNS1_14partition_implILS5_5ELb0ES3_mN6thrust23THRUST_200600_302600_NS6detail15normal_iteratorINSA_10device_ptrIsEEEEPS6_NSA_18transform_iteratorINSB_9not_fun_tI7is_trueIsEEESF_NSA_11use_defaultESM_EENS0_5tupleIJSF_S6_EEENSO_IJSG_SG_EEES6_PlJS6_EEE10hipError_tPvRmT3_T4_T5_T6_T7_T9_mT8_P12ihipStream_tbDpT10_ENKUlT_T0_E_clISt17integral_constantIbLb0EES1A_IbLb1EEEEDaS16_S17_EUlS16_E_NS1_11comp_targetILNS1_3genE4ELNS1_11target_archE910ELNS1_3gpuE8ELNS1_3repE0EEENS1_30default_config_static_selectorELNS0_4arch9wavefront6targetE0EEEvT1_
; %bb.0:
	.section	.rodata,"a",@progbits
	.p2align	6, 0x0
	.amdhsa_kernel _ZN7rocprim17ROCPRIM_400000_NS6detail17trampoline_kernelINS0_14default_configENS1_25partition_config_selectorILNS1_17partition_subalgoE5EsNS0_10empty_typeEbEEZZNS1_14partition_implILS5_5ELb0ES3_mN6thrust23THRUST_200600_302600_NS6detail15normal_iteratorINSA_10device_ptrIsEEEEPS6_NSA_18transform_iteratorINSB_9not_fun_tI7is_trueIsEEESF_NSA_11use_defaultESM_EENS0_5tupleIJSF_S6_EEENSO_IJSG_SG_EEES6_PlJS6_EEE10hipError_tPvRmT3_T4_T5_T6_T7_T9_mT8_P12ihipStream_tbDpT10_ENKUlT_T0_E_clISt17integral_constantIbLb0EES1A_IbLb1EEEEDaS16_S17_EUlS16_E_NS1_11comp_targetILNS1_3genE4ELNS1_11target_archE910ELNS1_3gpuE8ELNS1_3repE0EEENS1_30default_config_static_selectorELNS0_4arch9wavefront6targetE0EEEvT1_
		.amdhsa_group_segment_fixed_size 0
		.amdhsa_private_segment_fixed_size 0
		.amdhsa_kernarg_size 136
		.amdhsa_user_sgpr_count 2
		.amdhsa_user_sgpr_dispatch_ptr 0
		.amdhsa_user_sgpr_queue_ptr 0
		.amdhsa_user_sgpr_kernarg_segment_ptr 1
		.amdhsa_user_sgpr_dispatch_id 0
		.amdhsa_user_sgpr_private_segment_size 0
		.amdhsa_wavefront_size32 1
		.amdhsa_uses_dynamic_stack 0
		.amdhsa_enable_private_segment 0
		.amdhsa_system_sgpr_workgroup_id_x 1
		.amdhsa_system_sgpr_workgroup_id_y 0
		.amdhsa_system_sgpr_workgroup_id_z 0
		.amdhsa_system_sgpr_workgroup_info 0
		.amdhsa_system_vgpr_workitem_id 0
		.amdhsa_next_free_vgpr 1
		.amdhsa_next_free_sgpr 1
		.amdhsa_reserve_vcc 0
		.amdhsa_float_round_mode_32 0
		.amdhsa_float_round_mode_16_64 0
		.amdhsa_float_denorm_mode_32 3
		.amdhsa_float_denorm_mode_16_64 3
		.amdhsa_fp16_overflow 0
		.amdhsa_workgroup_processor_mode 1
		.amdhsa_memory_ordered 1
		.amdhsa_forward_progress 1
		.amdhsa_inst_pref_size 0
		.amdhsa_round_robin_scheduling 0
		.amdhsa_exception_fp_ieee_invalid_op 0
		.amdhsa_exception_fp_denorm_src 0
		.amdhsa_exception_fp_ieee_div_zero 0
		.amdhsa_exception_fp_ieee_overflow 0
		.amdhsa_exception_fp_ieee_underflow 0
		.amdhsa_exception_fp_ieee_inexact 0
		.amdhsa_exception_int_div_zero 0
	.end_amdhsa_kernel
	.section	.text._ZN7rocprim17ROCPRIM_400000_NS6detail17trampoline_kernelINS0_14default_configENS1_25partition_config_selectorILNS1_17partition_subalgoE5EsNS0_10empty_typeEbEEZZNS1_14partition_implILS5_5ELb0ES3_mN6thrust23THRUST_200600_302600_NS6detail15normal_iteratorINSA_10device_ptrIsEEEEPS6_NSA_18transform_iteratorINSB_9not_fun_tI7is_trueIsEEESF_NSA_11use_defaultESM_EENS0_5tupleIJSF_S6_EEENSO_IJSG_SG_EEES6_PlJS6_EEE10hipError_tPvRmT3_T4_T5_T6_T7_T9_mT8_P12ihipStream_tbDpT10_ENKUlT_T0_E_clISt17integral_constantIbLb0EES1A_IbLb1EEEEDaS16_S17_EUlS16_E_NS1_11comp_targetILNS1_3genE4ELNS1_11target_archE910ELNS1_3gpuE8ELNS1_3repE0EEENS1_30default_config_static_selectorELNS0_4arch9wavefront6targetE0EEEvT1_,"axG",@progbits,_ZN7rocprim17ROCPRIM_400000_NS6detail17trampoline_kernelINS0_14default_configENS1_25partition_config_selectorILNS1_17partition_subalgoE5EsNS0_10empty_typeEbEEZZNS1_14partition_implILS5_5ELb0ES3_mN6thrust23THRUST_200600_302600_NS6detail15normal_iteratorINSA_10device_ptrIsEEEEPS6_NSA_18transform_iteratorINSB_9not_fun_tI7is_trueIsEEESF_NSA_11use_defaultESM_EENS0_5tupleIJSF_S6_EEENSO_IJSG_SG_EEES6_PlJS6_EEE10hipError_tPvRmT3_T4_T5_T6_T7_T9_mT8_P12ihipStream_tbDpT10_ENKUlT_T0_E_clISt17integral_constantIbLb0EES1A_IbLb1EEEEDaS16_S17_EUlS16_E_NS1_11comp_targetILNS1_3genE4ELNS1_11target_archE910ELNS1_3gpuE8ELNS1_3repE0EEENS1_30default_config_static_selectorELNS0_4arch9wavefront6targetE0EEEvT1_,comdat
.Lfunc_end1559:
	.size	_ZN7rocprim17ROCPRIM_400000_NS6detail17trampoline_kernelINS0_14default_configENS1_25partition_config_selectorILNS1_17partition_subalgoE5EsNS0_10empty_typeEbEEZZNS1_14partition_implILS5_5ELb0ES3_mN6thrust23THRUST_200600_302600_NS6detail15normal_iteratorINSA_10device_ptrIsEEEEPS6_NSA_18transform_iteratorINSB_9not_fun_tI7is_trueIsEEESF_NSA_11use_defaultESM_EENS0_5tupleIJSF_S6_EEENSO_IJSG_SG_EEES6_PlJS6_EEE10hipError_tPvRmT3_T4_T5_T6_T7_T9_mT8_P12ihipStream_tbDpT10_ENKUlT_T0_E_clISt17integral_constantIbLb0EES1A_IbLb1EEEEDaS16_S17_EUlS16_E_NS1_11comp_targetILNS1_3genE4ELNS1_11target_archE910ELNS1_3gpuE8ELNS1_3repE0EEENS1_30default_config_static_selectorELNS0_4arch9wavefront6targetE0EEEvT1_, .Lfunc_end1559-_ZN7rocprim17ROCPRIM_400000_NS6detail17trampoline_kernelINS0_14default_configENS1_25partition_config_selectorILNS1_17partition_subalgoE5EsNS0_10empty_typeEbEEZZNS1_14partition_implILS5_5ELb0ES3_mN6thrust23THRUST_200600_302600_NS6detail15normal_iteratorINSA_10device_ptrIsEEEEPS6_NSA_18transform_iteratorINSB_9not_fun_tI7is_trueIsEEESF_NSA_11use_defaultESM_EENS0_5tupleIJSF_S6_EEENSO_IJSG_SG_EEES6_PlJS6_EEE10hipError_tPvRmT3_T4_T5_T6_T7_T9_mT8_P12ihipStream_tbDpT10_ENKUlT_T0_E_clISt17integral_constantIbLb0EES1A_IbLb1EEEEDaS16_S17_EUlS16_E_NS1_11comp_targetILNS1_3genE4ELNS1_11target_archE910ELNS1_3gpuE8ELNS1_3repE0EEENS1_30default_config_static_selectorELNS0_4arch9wavefront6targetE0EEEvT1_
                                        ; -- End function
	.set _ZN7rocprim17ROCPRIM_400000_NS6detail17trampoline_kernelINS0_14default_configENS1_25partition_config_selectorILNS1_17partition_subalgoE5EsNS0_10empty_typeEbEEZZNS1_14partition_implILS5_5ELb0ES3_mN6thrust23THRUST_200600_302600_NS6detail15normal_iteratorINSA_10device_ptrIsEEEEPS6_NSA_18transform_iteratorINSB_9not_fun_tI7is_trueIsEEESF_NSA_11use_defaultESM_EENS0_5tupleIJSF_S6_EEENSO_IJSG_SG_EEES6_PlJS6_EEE10hipError_tPvRmT3_T4_T5_T6_T7_T9_mT8_P12ihipStream_tbDpT10_ENKUlT_T0_E_clISt17integral_constantIbLb0EES1A_IbLb1EEEEDaS16_S17_EUlS16_E_NS1_11comp_targetILNS1_3genE4ELNS1_11target_archE910ELNS1_3gpuE8ELNS1_3repE0EEENS1_30default_config_static_selectorELNS0_4arch9wavefront6targetE0EEEvT1_.num_vgpr, 0
	.set _ZN7rocprim17ROCPRIM_400000_NS6detail17trampoline_kernelINS0_14default_configENS1_25partition_config_selectorILNS1_17partition_subalgoE5EsNS0_10empty_typeEbEEZZNS1_14partition_implILS5_5ELb0ES3_mN6thrust23THRUST_200600_302600_NS6detail15normal_iteratorINSA_10device_ptrIsEEEEPS6_NSA_18transform_iteratorINSB_9not_fun_tI7is_trueIsEEESF_NSA_11use_defaultESM_EENS0_5tupleIJSF_S6_EEENSO_IJSG_SG_EEES6_PlJS6_EEE10hipError_tPvRmT3_T4_T5_T6_T7_T9_mT8_P12ihipStream_tbDpT10_ENKUlT_T0_E_clISt17integral_constantIbLb0EES1A_IbLb1EEEEDaS16_S17_EUlS16_E_NS1_11comp_targetILNS1_3genE4ELNS1_11target_archE910ELNS1_3gpuE8ELNS1_3repE0EEENS1_30default_config_static_selectorELNS0_4arch9wavefront6targetE0EEEvT1_.num_agpr, 0
	.set _ZN7rocprim17ROCPRIM_400000_NS6detail17trampoline_kernelINS0_14default_configENS1_25partition_config_selectorILNS1_17partition_subalgoE5EsNS0_10empty_typeEbEEZZNS1_14partition_implILS5_5ELb0ES3_mN6thrust23THRUST_200600_302600_NS6detail15normal_iteratorINSA_10device_ptrIsEEEEPS6_NSA_18transform_iteratorINSB_9not_fun_tI7is_trueIsEEESF_NSA_11use_defaultESM_EENS0_5tupleIJSF_S6_EEENSO_IJSG_SG_EEES6_PlJS6_EEE10hipError_tPvRmT3_T4_T5_T6_T7_T9_mT8_P12ihipStream_tbDpT10_ENKUlT_T0_E_clISt17integral_constantIbLb0EES1A_IbLb1EEEEDaS16_S17_EUlS16_E_NS1_11comp_targetILNS1_3genE4ELNS1_11target_archE910ELNS1_3gpuE8ELNS1_3repE0EEENS1_30default_config_static_selectorELNS0_4arch9wavefront6targetE0EEEvT1_.numbered_sgpr, 0
	.set _ZN7rocprim17ROCPRIM_400000_NS6detail17trampoline_kernelINS0_14default_configENS1_25partition_config_selectorILNS1_17partition_subalgoE5EsNS0_10empty_typeEbEEZZNS1_14partition_implILS5_5ELb0ES3_mN6thrust23THRUST_200600_302600_NS6detail15normal_iteratorINSA_10device_ptrIsEEEEPS6_NSA_18transform_iteratorINSB_9not_fun_tI7is_trueIsEEESF_NSA_11use_defaultESM_EENS0_5tupleIJSF_S6_EEENSO_IJSG_SG_EEES6_PlJS6_EEE10hipError_tPvRmT3_T4_T5_T6_T7_T9_mT8_P12ihipStream_tbDpT10_ENKUlT_T0_E_clISt17integral_constantIbLb0EES1A_IbLb1EEEEDaS16_S17_EUlS16_E_NS1_11comp_targetILNS1_3genE4ELNS1_11target_archE910ELNS1_3gpuE8ELNS1_3repE0EEENS1_30default_config_static_selectorELNS0_4arch9wavefront6targetE0EEEvT1_.num_named_barrier, 0
	.set _ZN7rocprim17ROCPRIM_400000_NS6detail17trampoline_kernelINS0_14default_configENS1_25partition_config_selectorILNS1_17partition_subalgoE5EsNS0_10empty_typeEbEEZZNS1_14partition_implILS5_5ELb0ES3_mN6thrust23THRUST_200600_302600_NS6detail15normal_iteratorINSA_10device_ptrIsEEEEPS6_NSA_18transform_iteratorINSB_9not_fun_tI7is_trueIsEEESF_NSA_11use_defaultESM_EENS0_5tupleIJSF_S6_EEENSO_IJSG_SG_EEES6_PlJS6_EEE10hipError_tPvRmT3_T4_T5_T6_T7_T9_mT8_P12ihipStream_tbDpT10_ENKUlT_T0_E_clISt17integral_constantIbLb0EES1A_IbLb1EEEEDaS16_S17_EUlS16_E_NS1_11comp_targetILNS1_3genE4ELNS1_11target_archE910ELNS1_3gpuE8ELNS1_3repE0EEENS1_30default_config_static_selectorELNS0_4arch9wavefront6targetE0EEEvT1_.private_seg_size, 0
	.set _ZN7rocprim17ROCPRIM_400000_NS6detail17trampoline_kernelINS0_14default_configENS1_25partition_config_selectorILNS1_17partition_subalgoE5EsNS0_10empty_typeEbEEZZNS1_14partition_implILS5_5ELb0ES3_mN6thrust23THRUST_200600_302600_NS6detail15normal_iteratorINSA_10device_ptrIsEEEEPS6_NSA_18transform_iteratorINSB_9not_fun_tI7is_trueIsEEESF_NSA_11use_defaultESM_EENS0_5tupleIJSF_S6_EEENSO_IJSG_SG_EEES6_PlJS6_EEE10hipError_tPvRmT3_T4_T5_T6_T7_T9_mT8_P12ihipStream_tbDpT10_ENKUlT_T0_E_clISt17integral_constantIbLb0EES1A_IbLb1EEEEDaS16_S17_EUlS16_E_NS1_11comp_targetILNS1_3genE4ELNS1_11target_archE910ELNS1_3gpuE8ELNS1_3repE0EEENS1_30default_config_static_selectorELNS0_4arch9wavefront6targetE0EEEvT1_.uses_vcc, 0
	.set _ZN7rocprim17ROCPRIM_400000_NS6detail17trampoline_kernelINS0_14default_configENS1_25partition_config_selectorILNS1_17partition_subalgoE5EsNS0_10empty_typeEbEEZZNS1_14partition_implILS5_5ELb0ES3_mN6thrust23THRUST_200600_302600_NS6detail15normal_iteratorINSA_10device_ptrIsEEEEPS6_NSA_18transform_iteratorINSB_9not_fun_tI7is_trueIsEEESF_NSA_11use_defaultESM_EENS0_5tupleIJSF_S6_EEENSO_IJSG_SG_EEES6_PlJS6_EEE10hipError_tPvRmT3_T4_T5_T6_T7_T9_mT8_P12ihipStream_tbDpT10_ENKUlT_T0_E_clISt17integral_constantIbLb0EES1A_IbLb1EEEEDaS16_S17_EUlS16_E_NS1_11comp_targetILNS1_3genE4ELNS1_11target_archE910ELNS1_3gpuE8ELNS1_3repE0EEENS1_30default_config_static_selectorELNS0_4arch9wavefront6targetE0EEEvT1_.uses_flat_scratch, 0
	.set _ZN7rocprim17ROCPRIM_400000_NS6detail17trampoline_kernelINS0_14default_configENS1_25partition_config_selectorILNS1_17partition_subalgoE5EsNS0_10empty_typeEbEEZZNS1_14partition_implILS5_5ELb0ES3_mN6thrust23THRUST_200600_302600_NS6detail15normal_iteratorINSA_10device_ptrIsEEEEPS6_NSA_18transform_iteratorINSB_9not_fun_tI7is_trueIsEEESF_NSA_11use_defaultESM_EENS0_5tupleIJSF_S6_EEENSO_IJSG_SG_EEES6_PlJS6_EEE10hipError_tPvRmT3_T4_T5_T6_T7_T9_mT8_P12ihipStream_tbDpT10_ENKUlT_T0_E_clISt17integral_constantIbLb0EES1A_IbLb1EEEEDaS16_S17_EUlS16_E_NS1_11comp_targetILNS1_3genE4ELNS1_11target_archE910ELNS1_3gpuE8ELNS1_3repE0EEENS1_30default_config_static_selectorELNS0_4arch9wavefront6targetE0EEEvT1_.has_dyn_sized_stack, 0
	.set _ZN7rocprim17ROCPRIM_400000_NS6detail17trampoline_kernelINS0_14default_configENS1_25partition_config_selectorILNS1_17partition_subalgoE5EsNS0_10empty_typeEbEEZZNS1_14partition_implILS5_5ELb0ES3_mN6thrust23THRUST_200600_302600_NS6detail15normal_iteratorINSA_10device_ptrIsEEEEPS6_NSA_18transform_iteratorINSB_9not_fun_tI7is_trueIsEEESF_NSA_11use_defaultESM_EENS0_5tupleIJSF_S6_EEENSO_IJSG_SG_EEES6_PlJS6_EEE10hipError_tPvRmT3_T4_T5_T6_T7_T9_mT8_P12ihipStream_tbDpT10_ENKUlT_T0_E_clISt17integral_constantIbLb0EES1A_IbLb1EEEEDaS16_S17_EUlS16_E_NS1_11comp_targetILNS1_3genE4ELNS1_11target_archE910ELNS1_3gpuE8ELNS1_3repE0EEENS1_30default_config_static_selectorELNS0_4arch9wavefront6targetE0EEEvT1_.has_recursion, 0
	.set _ZN7rocprim17ROCPRIM_400000_NS6detail17trampoline_kernelINS0_14default_configENS1_25partition_config_selectorILNS1_17partition_subalgoE5EsNS0_10empty_typeEbEEZZNS1_14partition_implILS5_5ELb0ES3_mN6thrust23THRUST_200600_302600_NS6detail15normal_iteratorINSA_10device_ptrIsEEEEPS6_NSA_18transform_iteratorINSB_9not_fun_tI7is_trueIsEEESF_NSA_11use_defaultESM_EENS0_5tupleIJSF_S6_EEENSO_IJSG_SG_EEES6_PlJS6_EEE10hipError_tPvRmT3_T4_T5_T6_T7_T9_mT8_P12ihipStream_tbDpT10_ENKUlT_T0_E_clISt17integral_constantIbLb0EES1A_IbLb1EEEEDaS16_S17_EUlS16_E_NS1_11comp_targetILNS1_3genE4ELNS1_11target_archE910ELNS1_3gpuE8ELNS1_3repE0EEENS1_30default_config_static_selectorELNS0_4arch9wavefront6targetE0EEEvT1_.has_indirect_call, 0
	.section	.AMDGPU.csdata,"",@progbits
; Kernel info:
; codeLenInByte = 0
; TotalNumSgprs: 0
; NumVgprs: 0
; ScratchSize: 0
; MemoryBound: 0
; FloatMode: 240
; IeeeMode: 1
; LDSByteSize: 0 bytes/workgroup (compile time only)
; SGPRBlocks: 0
; VGPRBlocks: 0
; NumSGPRsForWavesPerEU: 1
; NumVGPRsForWavesPerEU: 1
; Occupancy: 16
; WaveLimiterHint : 0
; COMPUTE_PGM_RSRC2:SCRATCH_EN: 0
; COMPUTE_PGM_RSRC2:USER_SGPR: 2
; COMPUTE_PGM_RSRC2:TRAP_HANDLER: 0
; COMPUTE_PGM_RSRC2:TGID_X_EN: 1
; COMPUTE_PGM_RSRC2:TGID_Y_EN: 0
; COMPUTE_PGM_RSRC2:TGID_Z_EN: 0
; COMPUTE_PGM_RSRC2:TIDIG_COMP_CNT: 0
	.section	.text._ZN7rocprim17ROCPRIM_400000_NS6detail17trampoline_kernelINS0_14default_configENS1_25partition_config_selectorILNS1_17partition_subalgoE5EsNS0_10empty_typeEbEEZZNS1_14partition_implILS5_5ELb0ES3_mN6thrust23THRUST_200600_302600_NS6detail15normal_iteratorINSA_10device_ptrIsEEEEPS6_NSA_18transform_iteratorINSB_9not_fun_tI7is_trueIsEEESF_NSA_11use_defaultESM_EENS0_5tupleIJSF_S6_EEENSO_IJSG_SG_EEES6_PlJS6_EEE10hipError_tPvRmT3_T4_T5_T6_T7_T9_mT8_P12ihipStream_tbDpT10_ENKUlT_T0_E_clISt17integral_constantIbLb0EES1A_IbLb1EEEEDaS16_S17_EUlS16_E_NS1_11comp_targetILNS1_3genE3ELNS1_11target_archE908ELNS1_3gpuE7ELNS1_3repE0EEENS1_30default_config_static_selectorELNS0_4arch9wavefront6targetE0EEEvT1_,"axG",@progbits,_ZN7rocprim17ROCPRIM_400000_NS6detail17trampoline_kernelINS0_14default_configENS1_25partition_config_selectorILNS1_17partition_subalgoE5EsNS0_10empty_typeEbEEZZNS1_14partition_implILS5_5ELb0ES3_mN6thrust23THRUST_200600_302600_NS6detail15normal_iteratorINSA_10device_ptrIsEEEEPS6_NSA_18transform_iteratorINSB_9not_fun_tI7is_trueIsEEESF_NSA_11use_defaultESM_EENS0_5tupleIJSF_S6_EEENSO_IJSG_SG_EEES6_PlJS6_EEE10hipError_tPvRmT3_T4_T5_T6_T7_T9_mT8_P12ihipStream_tbDpT10_ENKUlT_T0_E_clISt17integral_constantIbLb0EES1A_IbLb1EEEEDaS16_S17_EUlS16_E_NS1_11comp_targetILNS1_3genE3ELNS1_11target_archE908ELNS1_3gpuE7ELNS1_3repE0EEENS1_30default_config_static_selectorELNS0_4arch9wavefront6targetE0EEEvT1_,comdat
	.protected	_ZN7rocprim17ROCPRIM_400000_NS6detail17trampoline_kernelINS0_14default_configENS1_25partition_config_selectorILNS1_17partition_subalgoE5EsNS0_10empty_typeEbEEZZNS1_14partition_implILS5_5ELb0ES3_mN6thrust23THRUST_200600_302600_NS6detail15normal_iteratorINSA_10device_ptrIsEEEEPS6_NSA_18transform_iteratorINSB_9not_fun_tI7is_trueIsEEESF_NSA_11use_defaultESM_EENS0_5tupleIJSF_S6_EEENSO_IJSG_SG_EEES6_PlJS6_EEE10hipError_tPvRmT3_T4_T5_T6_T7_T9_mT8_P12ihipStream_tbDpT10_ENKUlT_T0_E_clISt17integral_constantIbLb0EES1A_IbLb1EEEEDaS16_S17_EUlS16_E_NS1_11comp_targetILNS1_3genE3ELNS1_11target_archE908ELNS1_3gpuE7ELNS1_3repE0EEENS1_30default_config_static_selectorELNS0_4arch9wavefront6targetE0EEEvT1_ ; -- Begin function _ZN7rocprim17ROCPRIM_400000_NS6detail17trampoline_kernelINS0_14default_configENS1_25partition_config_selectorILNS1_17partition_subalgoE5EsNS0_10empty_typeEbEEZZNS1_14partition_implILS5_5ELb0ES3_mN6thrust23THRUST_200600_302600_NS6detail15normal_iteratorINSA_10device_ptrIsEEEEPS6_NSA_18transform_iteratorINSB_9not_fun_tI7is_trueIsEEESF_NSA_11use_defaultESM_EENS0_5tupleIJSF_S6_EEENSO_IJSG_SG_EEES6_PlJS6_EEE10hipError_tPvRmT3_T4_T5_T6_T7_T9_mT8_P12ihipStream_tbDpT10_ENKUlT_T0_E_clISt17integral_constantIbLb0EES1A_IbLb1EEEEDaS16_S17_EUlS16_E_NS1_11comp_targetILNS1_3genE3ELNS1_11target_archE908ELNS1_3gpuE7ELNS1_3repE0EEENS1_30default_config_static_selectorELNS0_4arch9wavefront6targetE0EEEvT1_
	.globl	_ZN7rocprim17ROCPRIM_400000_NS6detail17trampoline_kernelINS0_14default_configENS1_25partition_config_selectorILNS1_17partition_subalgoE5EsNS0_10empty_typeEbEEZZNS1_14partition_implILS5_5ELb0ES3_mN6thrust23THRUST_200600_302600_NS6detail15normal_iteratorINSA_10device_ptrIsEEEEPS6_NSA_18transform_iteratorINSB_9not_fun_tI7is_trueIsEEESF_NSA_11use_defaultESM_EENS0_5tupleIJSF_S6_EEENSO_IJSG_SG_EEES6_PlJS6_EEE10hipError_tPvRmT3_T4_T5_T6_T7_T9_mT8_P12ihipStream_tbDpT10_ENKUlT_T0_E_clISt17integral_constantIbLb0EES1A_IbLb1EEEEDaS16_S17_EUlS16_E_NS1_11comp_targetILNS1_3genE3ELNS1_11target_archE908ELNS1_3gpuE7ELNS1_3repE0EEENS1_30default_config_static_selectorELNS0_4arch9wavefront6targetE0EEEvT1_
	.p2align	8
	.type	_ZN7rocprim17ROCPRIM_400000_NS6detail17trampoline_kernelINS0_14default_configENS1_25partition_config_selectorILNS1_17partition_subalgoE5EsNS0_10empty_typeEbEEZZNS1_14partition_implILS5_5ELb0ES3_mN6thrust23THRUST_200600_302600_NS6detail15normal_iteratorINSA_10device_ptrIsEEEEPS6_NSA_18transform_iteratorINSB_9not_fun_tI7is_trueIsEEESF_NSA_11use_defaultESM_EENS0_5tupleIJSF_S6_EEENSO_IJSG_SG_EEES6_PlJS6_EEE10hipError_tPvRmT3_T4_T5_T6_T7_T9_mT8_P12ihipStream_tbDpT10_ENKUlT_T0_E_clISt17integral_constantIbLb0EES1A_IbLb1EEEEDaS16_S17_EUlS16_E_NS1_11comp_targetILNS1_3genE3ELNS1_11target_archE908ELNS1_3gpuE7ELNS1_3repE0EEENS1_30default_config_static_selectorELNS0_4arch9wavefront6targetE0EEEvT1_,@function
_ZN7rocprim17ROCPRIM_400000_NS6detail17trampoline_kernelINS0_14default_configENS1_25partition_config_selectorILNS1_17partition_subalgoE5EsNS0_10empty_typeEbEEZZNS1_14partition_implILS5_5ELb0ES3_mN6thrust23THRUST_200600_302600_NS6detail15normal_iteratorINSA_10device_ptrIsEEEEPS6_NSA_18transform_iteratorINSB_9not_fun_tI7is_trueIsEEESF_NSA_11use_defaultESM_EENS0_5tupleIJSF_S6_EEENSO_IJSG_SG_EEES6_PlJS6_EEE10hipError_tPvRmT3_T4_T5_T6_T7_T9_mT8_P12ihipStream_tbDpT10_ENKUlT_T0_E_clISt17integral_constantIbLb0EES1A_IbLb1EEEEDaS16_S17_EUlS16_E_NS1_11comp_targetILNS1_3genE3ELNS1_11target_archE908ELNS1_3gpuE7ELNS1_3repE0EEENS1_30default_config_static_selectorELNS0_4arch9wavefront6targetE0EEEvT1_: ; @_ZN7rocprim17ROCPRIM_400000_NS6detail17trampoline_kernelINS0_14default_configENS1_25partition_config_selectorILNS1_17partition_subalgoE5EsNS0_10empty_typeEbEEZZNS1_14partition_implILS5_5ELb0ES3_mN6thrust23THRUST_200600_302600_NS6detail15normal_iteratorINSA_10device_ptrIsEEEEPS6_NSA_18transform_iteratorINSB_9not_fun_tI7is_trueIsEEESF_NSA_11use_defaultESM_EENS0_5tupleIJSF_S6_EEENSO_IJSG_SG_EEES6_PlJS6_EEE10hipError_tPvRmT3_T4_T5_T6_T7_T9_mT8_P12ihipStream_tbDpT10_ENKUlT_T0_E_clISt17integral_constantIbLb0EES1A_IbLb1EEEEDaS16_S17_EUlS16_E_NS1_11comp_targetILNS1_3genE3ELNS1_11target_archE908ELNS1_3gpuE7ELNS1_3repE0EEENS1_30default_config_static_selectorELNS0_4arch9wavefront6targetE0EEEvT1_
; %bb.0:
	.section	.rodata,"a",@progbits
	.p2align	6, 0x0
	.amdhsa_kernel _ZN7rocprim17ROCPRIM_400000_NS6detail17trampoline_kernelINS0_14default_configENS1_25partition_config_selectorILNS1_17partition_subalgoE5EsNS0_10empty_typeEbEEZZNS1_14partition_implILS5_5ELb0ES3_mN6thrust23THRUST_200600_302600_NS6detail15normal_iteratorINSA_10device_ptrIsEEEEPS6_NSA_18transform_iteratorINSB_9not_fun_tI7is_trueIsEEESF_NSA_11use_defaultESM_EENS0_5tupleIJSF_S6_EEENSO_IJSG_SG_EEES6_PlJS6_EEE10hipError_tPvRmT3_T4_T5_T6_T7_T9_mT8_P12ihipStream_tbDpT10_ENKUlT_T0_E_clISt17integral_constantIbLb0EES1A_IbLb1EEEEDaS16_S17_EUlS16_E_NS1_11comp_targetILNS1_3genE3ELNS1_11target_archE908ELNS1_3gpuE7ELNS1_3repE0EEENS1_30default_config_static_selectorELNS0_4arch9wavefront6targetE0EEEvT1_
		.amdhsa_group_segment_fixed_size 0
		.amdhsa_private_segment_fixed_size 0
		.amdhsa_kernarg_size 136
		.amdhsa_user_sgpr_count 2
		.amdhsa_user_sgpr_dispatch_ptr 0
		.amdhsa_user_sgpr_queue_ptr 0
		.amdhsa_user_sgpr_kernarg_segment_ptr 1
		.amdhsa_user_sgpr_dispatch_id 0
		.amdhsa_user_sgpr_private_segment_size 0
		.amdhsa_wavefront_size32 1
		.amdhsa_uses_dynamic_stack 0
		.amdhsa_enable_private_segment 0
		.amdhsa_system_sgpr_workgroup_id_x 1
		.amdhsa_system_sgpr_workgroup_id_y 0
		.amdhsa_system_sgpr_workgroup_id_z 0
		.amdhsa_system_sgpr_workgroup_info 0
		.amdhsa_system_vgpr_workitem_id 0
		.amdhsa_next_free_vgpr 1
		.amdhsa_next_free_sgpr 1
		.amdhsa_reserve_vcc 0
		.amdhsa_float_round_mode_32 0
		.amdhsa_float_round_mode_16_64 0
		.amdhsa_float_denorm_mode_32 3
		.amdhsa_float_denorm_mode_16_64 3
		.amdhsa_fp16_overflow 0
		.amdhsa_workgroup_processor_mode 1
		.amdhsa_memory_ordered 1
		.amdhsa_forward_progress 1
		.amdhsa_inst_pref_size 0
		.amdhsa_round_robin_scheduling 0
		.amdhsa_exception_fp_ieee_invalid_op 0
		.amdhsa_exception_fp_denorm_src 0
		.amdhsa_exception_fp_ieee_div_zero 0
		.amdhsa_exception_fp_ieee_overflow 0
		.amdhsa_exception_fp_ieee_underflow 0
		.amdhsa_exception_fp_ieee_inexact 0
		.amdhsa_exception_int_div_zero 0
	.end_amdhsa_kernel
	.section	.text._ZN7rocprim17ROCPRIM_400000_NS6detail17trampoline_kernelINS0_14default_configENS1_25partition_config_selectorILNS1_17partition_subalgoE5EsNS0_10empty_typeEbEEZZNS1_14partition_implILS5_5ELb0ES3_mN6thrust23THRUST_200600_302600_NS6detail15normal_iteratorINSA_10device_ptrIsEEEEPS6_NSA_18transform_iteratorINSB_9not_fun_tI7is_trueIsEEESF_NSA_11use_defaultESM_EENS0_5tupleIJSF_S6_EEENSO_IJSG_SG_EEES6_PlJS6_EEE10hipError_tPvRmT3_T4_T5_T6_T7_T9_mT8_P12ihipStream_tbDpT10_ENKUlT_T0_E_clISt17integral_constantIbLb0EES1A_IbLb1EEEEDaS16_S17_EUlS16_E_NS1_11comp_targetILNS1_3genE3ELNS1_11target_archE908ELNS1_3gpuE7ELNS1_3repE0EEENS1_30default_config_static_selectorELNS0_4arch9wavefront6targetE0EEEvT1_,"axG",@progbits,_ZN7rocprim17ROCPRIM_400000_NS6detail17trampoline_kernelINS0_14default_configENS1_25partition_config_selectorILNS1_17partition_subalgoE5EsNS0_10empty_typeEbEEZZNS1_14partition_implILS5_5ELb0ES3_mN6thrust23THRUST_200600_302600_NS6detail15normal_iteratorINSA_10device_ptrIsEEEEPS6_NSA_18transform_iteratorINSB_9not_fun_tI7is_trueIsEEESF_NSA_11use_defaultESM_EENS0_5tupleIJSF_S6_EEENSO_IJSG_SG_EEES6_PlJS6_EEE10hipError_tPvRmT3_T4_T5_T6_T7_T9_mT8_P12ihipStream_tbDpT10_ENKUlT_T0_E_clISt17integral_constantIbLb0EES1A_IbLb1EEEEDaS16_S17_EUlS16_E_NS1_11comp_targetILNS1_3genE3ELNS1_11target_archE908ELNS1_3gpuE7ELNS1_3repE0EEENS1_30default_config_static_selectorELNS0_4arch9wavefront6targetE0EEEvT1_,comdat
.Lfunc_end1560:
	.size	_ZN7rocprim17ROCPRIM_400000_NS6detail17trampoline_kernelINS0_14default_configENS1_25partition_config_selectorILNS1_17partition_subalgoE5EsNS0_10empty_typeEbEEZZNS1_14partition_implILS5_5ELb0ES3_mN6thrust23THRUST_200600_302600_NS6detail15normal_iteratorINSA_10device_ptrIsEEEEPS6_NSA_18transform_iteratorINSB_9not_fun_tI7is_trueIsEEESF_NSA_11use_defaultESM_EENS0_5tupleIJSF_S6_EEENSO_IJSG_SG_EEES6_PlJS6_EEE10hipError_tPvRmT3_T4_T5_T6_T7_T9_mT8_P12ihipStream_tbDpT10_ENKUlT_T0_E_clISt17integral_constantIbLb0EES1A_IbLb1EEEEDaS16_S17_EUlS16_E_NS1_11comp_targetILNS1_3genE3ELNS1_11target_archE908ELNS1_3gpuE7ELNS1_3repE0EEENS1_30default_config_static_selectorELNS0_4arch9wavefront6targetE0EEEvT1_, .Lfunc_end1560-_ZN7rocprim17ROCPRIM_400000_NS6detail17trampoline_kernelINS0_14default_configENS1_25partition_config_selectorILNS1_17partition_subalgoE5EsNS0_10empty_typeEbEEZZNS1_14partition_implILS5_5ELb0ES3_mN6thrust23THRUST_200600_302600_NS6detail15normal_iteratorINSA_10device_ptrIsEEEEPS6_NSA_18transform_iteratorINSB_9not_fun_tI7is_trueIsEEESF_NSA_11use_defaultESM_EENS0_5tupleIJSF_S6_EEENSO_IJSG_SG_EEES6_PlJS6_EEE10hipError_tPvRmT3_T4_T5_T6_T7_T9_mT8_P12ihipStream_tbDpT10_ENKUlT_T0_E_clISt17integral_constantIbLb0EES1A_IbLb1EEEEDaS16_S17_EUlS16_E_NS1_11comp_targetILNS1_3genE3ELNS1_11target_archE908ELNS1_3gpuE7ELNS1_3repE0EEENS1_30default_config_static_selectorELNS0_4arch9wavefront6targetE0EEEvT1_
                                        ; -- End function
	.set _ZN7rocprim17ROCPRIM_400000_NS6detail17trampoline_kernelINS0_14default_configENS1_25partition_config_selectorILNS1_17partition_subalgoE5EsNS0_10empty_typeEbEEZZNS1_14partition_implILS5_5ELb0ES3_mN6thrust23THRUST_200600_302600_NS6detail15normal_iteratorINSA_10device_ptrIsEEEEPS6_NSA_18transform_iteratorINSB_9not_fun_tI7is_trueIsEEESF_NSA_11use_defaultESM_EENS0_5tupleIJSF_S6_EEENSO_IJSG_SG_EEES6_PlJS6_EEE10hipError_tPvRmT3_T4_T5_T6_T7_T9_mT8_P12ihipStream_tbDpT10_ENKUlT_T0_E_clISt17integral_constantIbLb0EES1A_IbLb1EEEEDaS16_S17_EUlS16_E_NS1_11comp_targetILNS1_3genE3ELNS1_11target_archE908ELNS1_3gpuE7ELNS1_3repE0EEENS1_30default_config_static_selectorELNS0_4arch9wavefront6targetE0EEEvT1_.num_vgpr, 0
	.set _ZN7rocprim17ROCPRIM_400000_NS6detail17trampoline_kernelINS0_14default_configENS1_25partition_config_selectorILNS1_17partition_subalgoE5EsNS0_10empty_typeEbEEZZNS1_14partition_implILS5_5ELb0ES3_mN6thrust23THRUST_200600_302600_NS6detail15normal_iteratorINSA_10device_ptrIsEEEEPS6_NSA_18transform_iteratorINSB_9not_fun_tI7is_trueIsEEESF_NSA_11use_defaultESM_EENS0_5tupleIJSF_S6_EEENSO_IJSG_SG_EEES6_PlJS6_EEE10hipError_tPvRmT3_T4_T5_T6_T7_T9_mT8_P12ihipStream_tbDpT10_ENKUlT_T0_E_clISt17integral_constantIbLb0EES1A_IbLb1EEEEDaS16_S17_EUlS16_E_NS1_11comp_targetILNS1_3genE3ELNS1_11target_archE908ELNS1_3gpuE7ELNS1_3repE0EEENS1_30default_config_static_selectorELNS0_4arch9wavefront6targetE0EEEvT1_.num_agpr, 0
	.set _ZN7rocprim17ROCPRIM_400000_NS6detail17trampoline_kernelINS0_14default_configENS1_25partition_config_selectorILNS1_17partition_subalgoE5EsNS0_10empty_typeEbEEZZNS1_14partition_implILS5_5ELb0ES3_mN6thrust23THRUST_200600_302600_NS6detail15normal_iteratorINSA_10device_ptrIsEEEEPS6_NSA_18transform_iteratorINSB_9not_fun_tI7is_trueIsEEESF_NSA_11use_defaultESM_EENS0_5tupleIJSF_S6_EEENSO_IJSG_SG_EEES6_PlJS6_EEE10hipError_tPvRmT3_T4_T5_T6_T7_T9_mT8_P12ihipStream_tbDpT10_ENKUlT_T0_E_clISt17integral_constantIbLb0EES1A_IbLb1EEEEDaS16_S17_EUlS16_E_NS1_11comp_targetILNS1_3genE3ELNS1_11target_archE908ELNS1_3gpuE7ELNS1_3repE0EEENS1_30default_config_static_selectorELNS0_4arch9wavefront6targetE0EEEvT1_.numbered_sgpr, 0
	.set _ZN7rocprim17ROCPRIM_400000_NS6detail17trampoline_kernelINS0_14default_configENS1_25partition_config_selectorILNS1_17partition_subalgoE5EsNS0_10empty_typeEbEEZZNS1_14partition_implILS5_5ELb0ES3_mN6thrust23THRUST_200600_302600_NS6detail15normal_iteratorINSA_10device_ptrIsEEEEPS6_NSA_18transform_iteratorINSB_9not_fun_tI7is_trueIsEEESF_NSA_11use_defaultESM_EENS0_5tupleIJSF_S6_EEENSO_IJSG_SG_EEES6_PlJS6_EEE10hipError_tPvRmT3_T4_T5_T6_T7_T9_mT8_P12ihipStream_tbDpT10_ENKUlT_T0_E_clISt17integral_constantIbLb0EES1A_IbLb1EEEEDaS16_S17_EUlS16_E_NS1_11comp_targetILNS1_3genE3ELNS1_11target_archE908ELNS1_3gpuE7ELNS1_3repE0EEENS1_30default_config_static_selectorELNS0_4arch9wavefront6targetE0EEEvT1_.num_named_barrier, 0
	.set _ZN7rocprim17ROCPRIM_400000_NS6detail17trampoline_kernelINS0_14default_configENS1_25partition_config_selectorILNS1_17partition_subalgoE5EsNS0_10empty_typeEbEEZZNS1_14partition_implILS5_5ELb0ES3_mN6thrust23THRUST_200600_302600_NS6detail15normal_iteratorINSA_10device_ptrIsEEEEPS6_NSA_18transform_iteratorINSB_9not_fun_tI7is_trueIsEEESF_NSA_11use_defaultESM_EENS0_5tupleIJSF_S6_EEENSO_IJSG_SG_EEES6_PlJS6_EEE10hipError_tPvRmT3_T4_T5_T6_T7_T9_mT8_P12ihipStream_tbDpT10_ENKUlT_T0_E_clISt17integral_constantIbLb0EES1A_IbLb1EEEEDaS16_S17_EUlS16_E_NS1_11comp_targetILNS1_3genE3ELNS1_11target_archE908ELNS1_3gpuE7ELNS1_3repE0EEENS1_30default_config_static_selectorELNS0_4arch9wavefront6targetE0EEEvT1_.private_seg_size, 0
	.set _ZN7rocprim17ROCPRIM_400000_NS6detail17trampoline_kernelINS0_14default_configENS1_25partition_config_selectorILNS1_17partition_subalgoE5EsNS0_10empty_typeEbEEZZNS1_14partition_implILS5_5ELb0ES3_mN6thrust23THRUST_200600_302600_NS6detail15normal_iteratorINSA_10device_ptrIsEEEEPS6_NSA_18transform_iteratorINSB_9not_fun_tI7is_trueIsEEESF_NSA_11use_defaultESM_EENS0_5tupleIJSF_S6_EEENSO_IJSG_SG_EEES6_PlJS6_EEE10hipError_tPvRmT3_T4_T5_T6_T7_T9_mT8_P12ihipStream_tbDpT10_ENKUlT_T0_E_clISt17integral_constantIbLb0EES1A_IbLb1EEEEDaS16_S17_EUlS16_E_NS1_11comp_targetILNS1_3genE3ELNS1_11target_archE908ELNS1_3gpuE7ELNS1_3repE0EEENS1_30default_config_static_selectorELNS0_4arch9wavefront6targetE0EEEvT1_.uses_vcc, 0
	.set _ZN7rocprim17ROCPRIM_400000_NS6detail17trampoline_kernelINS0_14default_configENS1_25partition_config_selectorILNS1_17partition_subalgoE5EsNS0_10empty_typeEbEEZZNS1_14partition_implILS5_5ELb0ES3_mN6thrust23THRUST_200600_302600_NS6detail15normal_iteratorINSA_10device_ptrIsEEEEPS6_NSA_18transform_iteratorINSB_9not_fun_tI7is_trueIsEEESF_NSA_11use_defaultESM_EENS0_5tupleIJSF_S6_EEENSO_IJSG_SG_EEES6_PlJS6_EEE10hipError_tPvRmT3_T4_T5_T6_T7_T9_mT8_P12ihipStream_tbDpT10_ENKUlT_T0_E_clISt17integral_constantIbLb0EES1A_IbLb1EEEEDaS16_S17_EUlS16_E_NS1_11comp_targetILNS1_3genE3ELNS1_11target_archE908ELNS1_3gpuE7ELNS1_3repE0EEENS1_30default_config_static_selectorELNS0_4arch9wavefront6targetE0EEEvT1_.uses_flat_scratch, 0
	.set _ZN7rocprim17ROCPRIM_400000_NS6detail17trampoline_kernelINS0_14default_configENS1_25partition_config_selectorILNS1_17partition_subalgoE5EsNS0_10empty_typeEbEEZZNS1_14partition_implILS5_5ELb0ES3_mN6thrust23THRUST_200600_302600_NS6detail15normal_iteratorINSA_10device_ptrIsEEEEPS6_NSA_18transform_iteratorINSB_9not_fun_tI7is_trueIsEEESF_NSA_11use_defaultESM_EENS0_5tupleIJSF_S6_EEENSO_IJSG_SG_EEES6_PlJS6_EEE10hipError_tPvRmT3_T4_T5_T6_T7_T9_mT8_P12ihipStream_tbDpT10_ENKUlT_T0_E_clISt17integral_constantIbLb0EES1A_IbLb1EEEEDaS16_S17_EUlS16_E_NS1_11comp_targetILNS1_3genE3ELNS1_11target_archE908ELNS1_3gpuE7ELNS1_3repE0EEENS1_30default_config_static_selectorELNS0_4arch9wavefront6targetE0EEEvT1_.has_dyn_sized_stack, 0
	.set _ZN7rocprim17ROCPRIM_400000_NS6detail17trampoline_kernelINS0_14default_configENS1_25partition_config_selectorILNS1_17partition_subalgoE5EsNS0_10empty_typeEbEEZZNS1_14partition_implILS5_5ELb0ES3_mN6thrust23THRUST_200600_302600_NS6detail15normal_iteratorINSA_10device_ptrIsEEEEPS6_NSA_18transform_iteratorINSB_9not_fun_tI7is_trueIsEEESF_NSA_11use_defaultESM_EENS0_5tupleIJSF_S6_EEENSO_IJSG_SG_EEES6_PlJS6_EEE10hipError_tPvRmT3_T4_T5_T6_T7_T9_mT8_P12ihipStream_tbDpT10_ENKUlT_T0_E_clISt17integral_constantIbLb0EES1A_IbLb1EEEEDaS16_S17_EUlS16_E_NS1_11comp_targetILNS1_3genE3ELNS1_11target_archE908ELNS1_3gpuE7ELNS1_3repE0EEENS1_30default_config_static_selectorELNS0_4arch9wavefront6targetE0EEEvT1_.has_recursion, 0
	.set _ZN7rocprim17ROCPRIM_400000_NS6detail17trampoline_kernelINS0_14default_configENS1_25partition_config_selectorILNS1_17partition_subalgoE5EsNS0_10empty_typeEbEEZZNS1_14partition_implILS5_5ELb0ES3_mN6thrust23THRUST_200600_302600_NS6detail15normal_iteratorINSA_10device_ptrIsEEEEPS6_NSA_18transform_iteratorINSB_9not_fun_tI7is_trueIsEEESF_NSA_11use_defaultESM_EENS0_5tupleIJSF_S6_EEENSO_IJSG_SG_EEES6_PlJS6_EEE10hipError_tPvRmT3_T4_T5_T6_T7_T9_mT8_P12ihipStream_tbDpT10_ENKUlT_T0_E_clISt17integral_constantIbLb0EES1A_IbLb1EEEEDaS16_S17_EUlS16_E_NS1_11comp_targetILNS1_3genE3ELNS1_11target_archE908ELNS1_3gpuE7ELNS1_3repE0EEENS1_30default_config_static_selectorELNS0_4arch9wavefront6targetE0EEEvT1_.has_indirect_call, 0
	.section	.AMDGPU.csdata,"",@progbits
; Kernel info:
; codeLenInByte = 0
; TotalNumSgprs: 0
; NumVgprs: 0
; ScratchSize: 0
; MemoryBound: 0
; FloatMode: 240
; IeeeMode: 1
; LDSByteSize: 0 bytes/workgroup (compile time only)
; SGPRBlocks: 0
; VGPRBlocks: 0
; NumSGPRsForWavesPerEU: 1
; NumVGPRsForWavesPerEU: 1
; Occupancy: 16
; WaveLimiterHint : 0
; COMPUTE_PGM_RSRC2:SCRATCH_EN: 0
; COMPUTE_PGM_RSRC2:USER_SGPR: 2
; COMPUTE_PGM_RSRC2:TRAP_HANDLER: 0
; COMPUTE_PGM_RSRC2:TGID_X_EN: 1
; COMPUTE_PGM_RSRC2:TGID_Y_EN: 0
; COMPUTE_PGM_RSRC2:TGID_Z_EN: 0
; COMPUTE_PGM_RSRC2:TIDIG_COMP_CNT: 0
	.section	.text._ZN7rocprim17ROCPRIM_400000_NS6detail17trampoline_kernelINS0_14default_configENS1_25partition_config_selectorILNS1_17partition_subalgoE5EsNS0_10empty_typeEbEEZZNS1_14partition_implILS5_5ELb0ES3_mN6thrust23THRUST_200600_302600_NS6detail15normal_iteratorINSA_10device_ptrIsEEEEPS6_NSA_18transform_iteratorINSB_9not_fun_tI7is_trueIsEEESF_NSA_11use_defaultESM_EENS0_5tupleIJSF_S6_EEENSO_IJSG_SG_EEES6_PlJS6_EEE10hipError_tPvRmT3_T4_T5_T6_T7_T9_mT8_P12ihipStream_tbDpT10_ENKUlT_T0_E_clISt17integral_constantIbLb0EES1A_IbLb1EEEEDaS16_S17_EUlS16_E_NS1_11comp_targetILNS1_3genE2ELNS1_11target_archE906ELNS1_3gpuE6ELNS1_3repE0EEENS1_30default_config_static_selectorELNS0_4arch9wavefront6targetE0EEEvT1_,"axG",@progbits,_ZN7rocprim17ROCPRIM_400000_NS6detail17trampoline_kernelINS0_14default_configENS1_25partition_config_selectorILNS1_17partition_subalgoE5EsNS0_10empty_typeEbEEZZNS1_14partition_implILS5_5ELb0ES3_mN6thrust23THRUST_200600_302600_NS6detail15normal_iteratorINSA_10device_ptrIsEEEEPS6_NSA_18transform_iteratorINSB_9not_fun_tI7is_trueIsEEESF_NSA_11use_defaultESM_EENS0_5tupleIJSF_S6_EEENSO_IJSG_SG_EEES6_PlJS6_EEE10hipError_tPvRmT3_T4_T5_T6_T7_T9_mT8_P12ihipStream_tbDpT10_ENKUlT_T0_E_clISt17integral_constantIbLb0EES1A_IbLb1EEEEDaS16_S17_EUlS16_E_NS1_11comp_targetILNS1_3genE2ELNS1_11target_archE906ELNS1_3gpuE6ELNS1_3repE0EEENS1_30default_config_static_selectorELNS0_4arch9wavefront6targetE0EEEvT1_,comdat
	.protected	_ZN7rocprim17ROCPRIM_400000_NS6detail17trampoline_kernelINS0_14default_configENS1_25partition_config_selectorILNS1_17partition_subalgoE5EsNS0_10empty_typeEbEEZZNS1_14partition_implILS5_5ELb0ES3_mN6thrust23THRUST_200600_302600_NS6detail15normal_iteratorINSA_10device_ptrIsEEEEPS6_NSA_18transform_iteratorINSB_9not_fun_tI7is_trueIsEEESF_NSA_11use_defaultESM_EENS0_5tupleIJSF_S6_EEENSO_IJSG_SG_EEES6_PlJS6_EEE10hipError_tPvRmT3_T4_T5_T6_T7_T9_mT8_P12ihipStream_tbDpT10_ENKUlT_T0_E_clISt17integral_constantIbLb0EES1A_IbLb1EEEEDaS16_S17_EUlS16_E_NS1_11comp_targetILNS1_3genE2ELNS1_11target_archE906ELNS1_3gpuE6ELNS1_3repE0EEENS1_30default_config_static_selectorELNS0_4arch9wavefront6targetE0EEEvT1_ ; -- Begin function _ZN7rocprim17ROCPRIM_400000_NS6detail17trampoline_kernelINS0_14default_configENS1_25partition_config_selectorILNS1_17partition_subalgoE5EsNS0_10empty_typeEbEEZZNS1_14partition_implILS5_5ELb0ES3_mN6thrust23THRUST_200600_302600_NS6detail15normal_iteratorINSA_10device_ptrIsEEEEPS6_NSA_18transform_iteratorINSB_9not_fun_tI7is_trueIsEEESF_NSA_11use_defaultESM_EENS0_5tupleIJSF_S6_EEENSO_IJSG_SG_EEES6_PlJS6_EEE10hipError_tPvRmT3_T4_T5_T6_T7_T9_mT8_P12ihipStream_tbDpT10_ENKUlT_T0_E_clISt17integral_constantIbLb0EES1A_IbLb1EEEEDaS16_S17_EUlS16_E_NS1_11comp_targetILNS1_3genE2ELNS1_11target_archE906ELNS1_3gpuE6ELNS1_3repE0EEENS1_30default_config_static_selectorELNS0_4arch9wavefront6targetE0EEEvT1_
	.globl	_ZN7rocprim17ROCPRIM_400000_NS6detail17trampoline_kernelINS0_14default_configENS1_25partition_config_selectorILNS1_17partition_subalgoE5EsNS0_10empty_typeEbEEZZNS1_14partition_implILS5_5ELb0ES3_mN6thrust23THRUST_200600_302600_NS6detail15normal_iteratorINSA_10device_ptrIsEEEEPS6_NSA_18transform_iteratorINSB_9not_fun_tI7is_trueIsEEESF_NSA_11use_defaultESM_EENS0_5tupleIJSF_S6_EEENSO_IJSG_SG_EEES6_PlJS6_EEE10hipError_tPvRmT3_T4_T5_T6_T7_T9_mT8_P12ihipStream_tbDpT10_ENKUlT_T0_E_clISt17integral_constantIbLb0EES1A_IbLb1EEEEDaS16_S17_EUlS16_E_NS1_11comp_targetILNS1_3genE2ELNS1_11target_archE906ELNS1_3gpuE6ELNS1_3repE0EEENS1_30default_config_static_selectorELNS0_4arch9wavefront6targetE0EEEvT1_
	.p2align	8
	.type	_ZN7rocprim17ROCPRIM_400000_NS6detail17trampoline_kernelINS0_14default_configENS1_25partition_config_selectorILNS1_17partition_subalgoE5EsNS0_10empty_typeEbEEZZNS1_14partition_implILS5_5ELb0ES3_mN6thrust23THRUST_200600_302600_NS6detail15normal_iteratorINSA_10device_ptrIsEEEEPS6_NSA_18transform_iteratorINSB_9not_fun_tI7is_trueIsEEESF_NSA_11use_defaultESM_EENS0_5tupleIJSF_S6_EEENSO_IJSG_SG_EEES6_PlJS6_EEE10hipError_tPvRmT3_T4_T5_T6_T7_T9_mT8_P12ihipStream_tbDpT10_ENKUlT_T0_E_clISt17integral_constantIbLb0EES1A_IbLb1EEEEDaS16_S17_EUlS16_E_NS1_11comp_targetILNS1_3genE2ELNS1_11target_archE906ELNS1_3gpuE6ELNS1_3repE0EEENS1_30default_config_static_selectorELNS0_4arch9wavefront6targetE0EEEvT1_,@function
_ZN7rocprim17ROCPRIM_400000_NS6detail17trampoline_kernelINS0_14default_configENS1_25partition_config_selectorILNS1_17partition_subalgoE5EsNS0_10empty_typeEbEEZZNS1_14partition_implILS5_5ELb0ES3_mN6thrust23THRUST_200600_302600_NS6detail15normal_iteratorINSA_10device_ptrIsEEEEPS6_NSA_18transform_iteratorINSB_9not_fun_tI7is_trueIsEEESF_NSA_11use_defaultESM_EENS0_5tupleIJSF_S6_EEENSO_IJSG_SG_EEES6_PlJS6_EEE10hipError_tPvRmT3_T4_T5_T6_T7_T9_mT8_P12ihipStream_tbDpT10_ENKUlT_T0_E_clISt17integral_constantIbLb0EES1A_IbLb1EEEEDaS16_S17_EUlS16_E_NS1_11comp_targetILNS1_3genE2ELNS1_11target_archE906ELNS1_3gpuE6ELNS1_3repE0EEENS1_30default_config_static_selectorELNS0_4arch9wavefront6targetE0EEEvT1_: ; @_ZN7rocprim17ROCPRIM_400000_NS6detail17trampoline_kernelINS0_14default_configENS1_25partition_config_selectorILNS1_17partition_subalgoE5EsNS0_10empty_typeEbEEZZNS1_14partition_implILS5_5ELb0ES3_mN6thrust23THRUST_200600_302600_NS6detail15normal_iteratorINSA_10device_ptrIsEEEEPS6_NSA_18transform_iteratorINSB_9not_fun_tI7is_trueIsEEESF_NSA_11use_defaultESM_EENS0_5tupleIJSF_S6_EEENSO_IJSG_SG_EEES6_PlJS6_EEE10hipError_tPvRmT3_T4_T5_T6_T7_T9_mT8_P12ihipStream_tbDpT10_ENKUlT_T0_E_clISt17integral_constantIbLb0EES1A_IbLb1EEEEDaS16_S17_EUlS16_E_NS1_11comp_targetILNS1_3genE2ELNS1_11target_archE906ELNS1_3gpuE6ELNS1_3repE0EEENS1_30default_config_static_selectorELNS0_4arch9wavefront6targetE0EEEvT1_
; %bb.0:
	.section	.rodata,"a",@progbits
	.p2align	6, 0x0
	.amdhsa_kernel _ZN7rocprim17ROCPRIM_400000_NS6detail17trampoline_kernelINS0_14default_configENS1_25partition_config_selectorILNS1_17partition_subalgoE5EsNS0_10empty_typeEbEEZZNS1_14partition_implILS5_5ELb0ES3_mN6thrust23THRUST_200600_302600_NS6detail15normal_iteratorINSA_10device_ptrIsEEEEPS6_NSA_18transform_iteratorINSB_9not_fun_tI7is_trueIsEEESF_NSA_11use_defaultESM_EENS0_5tupleIJSF_S6_EEENSO_IJSG_SG_EEES6_PlJS6_EEE10hipError_tPvRmT3_T4_T5_T6_T7_T9_mT8_P12ihipStream_tbDpT10_ENKUlT_T0_E_clISt17integral_constantIbLb0EES1A_IbLb1EEEEDaS16_S17_EUlS16_E_NS1_11comp_targetILNS1_3genE2ELNS1_11target_archE906ELNS1_3gpuE6ELNS1_3repE0EEENS1_30default_config_static_selectorELNS0_4arch9wavefront6targetE0EEEvT1_
		.amdhsa_group_segment_fixed_size 0
		.amdhsa_private_segment_fixed_size 0
		.amdhsa_kernarg_size 136
		.amdhsa_user_sgpr_count 2
		.amdhsa_user_sgpr_dispatch_ptr 0
		.amdhsa_user_sgpr_queue_ptr 0
		.amdhsa_user_sgpr_kernarg_segment_ptr 1
		.amdhsa_user_sgpr_dispatch_id 0
		.amdhsa_user_sgpr_private_segment_size 0
		.amdhsa_wavefront_size32 1
		.amdhsa_uses_dynamic_stack 0
		.amdhsa_enable_private_segment 0
		.amdhsa_system_sgpr_workgroup_id_x 1
		.amdhsa_system_sgpr_workgroup_id_y 0
		.amdhsa_system_sgpr_workgroup_id_z 0
		.amdhsa_system_sgpr_workgroup_info 0
		.amdhsa_system_vgpr_workitem_id 0
		.amdhsa_next_free_vgpr 1
		.amdhsa_next_free_sgpr 1
		.amdhsa_reserve_vcc 0
		.amdhsa_float_round_mode_32 0
		.amdhsa_float_round_mode_16_64 0
		.amdhsa_float_denorm_mode_32 3
		.amdhsa_float_denorm_mode_16_64 3
		.amdhsa_fp16_overflow 0
		.amdhsa_workgroup_processor_mode 1
		.amdhsa_memory_ordered 1
		.amdhsa_forward_progress 1
		.amdhsa_inst_pref_size 0
		.amdhsa_round_robin_scheduling 0
		.amdhsa_exception_fp_ieee_invalid_op 0
		.amdhsa_exception_fp_denorm_src 0
		.amdhsa_exception_fp_ieee_div_zero 0
		.amdhsa_exception_fp_ieee_overflow 0
		.amdhsa_exception_fp_ieee_underflow 0
		.amdhsa_exception_fp_ieee_inexact 0
		.amdhsa_exception_int_div_zero 0
	.end_amdhsa_kernel
	.section	.text._ZN7rocprim17ROCPRIM_400000_NS6detail17trampoline_kernelINS0_14default_configENS1_25partition_config_selectorILNS1_17partition_subalgoE5EsNS0_10empty_typeEbEEZZNS1_14partition_implILS5_5ELb0ES3_mN6thrust23THRUST_200600_302600_NS6detail15normal_iteratorINSA_10device_ptrIsEEEEPS6_NSA_18transform_iteratorINSB_9not_fun_tI7is_trueIsEEESF_NSA_11use_defaultESM_EENS0_5tupleIJSF_S6_EEENSO_IJSG_SG_EEES6_PlJS6_EEE10hipError_tPvRmT3_T4_T5_T6_T7_T9_mT8_P12ihipStream_tbDpT10_ENKUlT_T0_E_clISt17integral_constantIbLb0EES1A_IbLb1EEEEDaS16_S17_EUlS16_E_NS1_11comp_targetILNS1_3genE2ELNS1_11target_archE906ELNS1_3gpuE6ELNS1_3repE0EEENS1_30default_config_static_selectorELNS0_4arch9wavefront6targetE0EEEvT1_,"axG",@progbits,_ZN7rocprim17ROCPRIM_400000_NS6detail17trampoline_kernelINS0_14default_configENS1_25partition_config_selectorILNS1_17partition_subalgoE5EsNS0_10empty_typeEbEEZZNS1_14partition_implILS5_5ELb0ES3_mN6thrust23THRUST_200600_302600_NS6detail15normal_iteratorINSA_10device_ptrIsEEEEPS6_NSA_18transform_iteratorINSB_9not_fun_tI7is_trueIsEEESF_NSA_11use_defaultESM_EENS0_5tupleIJSF_S6_EEENSO_IJSG_SG_EEES6_PlJS6_EEE10hipError_tPvRmT3_T4_T5_T6_T7_T9_mT8_P12ihipStream_tbDpT10_ENKUlT_T0_E_clISt17integral_constantIbLb0EES1A_IbLb1EEEEDaS16_S17_EUlS16_E_NS1_11comp_targetILNS1_3genE2ELNS1_11target_archE906ELNS1_3gpuE6ELNS1_3repE0EEENS1_30default_config_static_selectorELNS0_4arch9wavefront6targetE0EEEvT1_,comdat
.Lfunc_end1561:
	.size	_ZN7rocprim17ROCPRIM_400000_NS6detail17trampoline_kernelINS0_14default_configENS1_25partition_config_selectorILNS1_17partition_subalgoE5EsNS0_10empty_typeEbEEZZNS1_14partition_implILS5_5ELb0ES3_mN6thrust23THRUST_200600_302600_NS6detail15normal_iteratorINSA_10device_ptrIsEEEEPS6_NSA_18transform_iteratorINSB_9not_fun_tI7is_trueIsEEESF_NSA_11use_defaultESM_EENS0_5tupleIJSF_S6_EEENSO_IJSG_SG_EEES6_PlJS6_EEE10hipError_tPvRmT3_T4_T5_T6_T7_T9_mT8_P12ihipStream_tbDpT10_ENKUlT_T0_E_clISt17integral_constantIbLb0EES1A_IbLb1EEEEDaS16_S17_EUlS16_E_NS1_11comp_targetILNS1_3genE2ELNS1_11target_archE906ELNS1_3gpuE6ELNS1_3repE0EEENS1_30default_config_static_selectorELNS0_4arch9wavefront6targetE0EEEvT1_, .Lfunc_end1561-_ZN7rocprim17ROCPRIM_400000_NS6detail17trampoline_kernelINS0_14default_configENS1_25partition_config_selectorILNS1_17partition_subalgoE5EsNS0_10empty_typeEbEEZZNS1_14partition_implILS5_5ELb0ES3_mN6thrust23THRUST_200600_302600_NS6detail15normal_iteratorINSA_10device_ptrIsEEEEPS6_NSA_18transform_iteratorINSB_9not_fun_tI7is_trueIsEEESF_NSA_11use_defaultESM_EENS0_5tupleIJSF_S6_EEENSO_IJSG_SG_EEES6_PlJS6_EEE10hipError_tPvRmT3_T4_T5_T6_T7_T9_mT8_P12ihipStream_tbDpT10_ENKUlT_T0_E_clISt17integral_constantIbLb0EES1A_IbLb1EEEEDaS16_S17_EUlS16_E_NS1_11comp_targetILNS1_3genE2ELNS1_11target_archE906ELNS1_3gpuE6ELNS1_3repE0EEENS1_30default_config_static_selectorELNS0_4arch9wavefront6targetE0EEEvT1_
                                        ; -- End function
	.set _ZN7rocprim17ROCPRIM_400000_NS6detail17trampoline_kernelINS0_14default_configENS1_25partition_config_selectorILNS1_17partition_subalgoE5EsNS0_10empty_typeEbEEZZNS1_14partition_implILS5_5ELb0ES3_mN6thrust23THRUST_200600_302600_NS6detail15normal_iteratorINSA_10device_ptrIsEEEEPS6_NSA_18transform_iteratorINSB_9not_fun_tI7is_trueIsEEESF_NSA_11use_defaultESM_EENS0_5tupleIJSF_S6_EEENSO_IJSG_SG_EEES6_PlJS6_EEE10hipError_tPvRmT3_T4_T5_T6_T7_T9_mT8_P12ihipStream_tbDpT10_ENKUlT_T0_E_clISt17integral_constantIbLb0EES1A_IbLb1EEEEDaS16_S17_EUlS16_E_NS1_11comp_targetILNS1_3genE2ELNS1_11target_archE906ELNS1_3gpuE6ELNS1_3repE0EEENS1_30default_config_static_selectorELNS0_4arch9wavefront6targetE0EEEvT1_.num_vgpr, 0
	.set _ZN7rocprim17ROCPRIM_400000_NS6detail17trampoline_kernelINS0_14default_configENS1_25partition_config_selectorILNS1_17partition_subalgoE5EsNS0_10empty_typeEbEEZZNS1_14partition_implILS5_5ELb0ES3_mN6thrust23THRUST_200600_302600_NS6detail15normal_iteratorINSA_10device_ptrIsEEEEPS6_NSA_18transform_iteratorINSB_9not_fun_tI7is_trueIsEEESF_NSA_11use_defaultESM_EENS0_5tupleIJSF_S6_EEENSO_IJSG_SG_EEES6_PlJS6_EEE10hipError_tPvRmT3_T4_T5_T6_T7_T9_mT8_P12ihipStream_tbDpT10_ENKUlT_T0_E_clISt17integral_constantIbLb0EES1A_IbLb1EEEEDaS16_S17_EUlS16_E_NS1_11comp_targetILNS1_3genE2ELNS1_11target_archE906ELNS1_3gpuE6ELNS1_3repE0EEENS1_30default_config_static_selectorELNS0_4arch9wavefront6targetE0EEEvT1_.num_agpr, 0
	.set _ZN7rocprim17ROCPRIM_400000_NS6detail17trampoline_kernelINS0_14default_configENS1_25partition_config_selectorILNS1_17partition_subalgoE5EsNS0_10empty_typeEbEEZZNS1_14partition_implILS5_5ELb0ES3_mN6thrust23THRUST_200600_302600_NS6detail15normal_iteratorINSA_10device_ptrIsEEEEPS6_NSA_18transform_iteratorINSB_9not_fun_tI7is_trueIsEEESF_NSA_11use_defaultESM_EENS0_5tupleIJSF_S6_EEENSO_IJSG_SG_EEES6_PlJS6_EEE10hipError_tPvRmT3_T4_T5_T6_T7_T9_mT8_P12ihipStream_tbDpT10_ENKUlT_T0_E_clISt17integral_constantIbLb0EES1A_IbLb1EEEEDaS16_S17_EUlS16_E_NS1_11comp_targetILNS1_3genE2ELNS1_11target_archE906ELNS1_3gpuE6ELNS1_3repE0EEENS1_30default_config_static_selectorELNS0_4arch9wavefront6targetE0EEEvT1_.numbered_sgpr, 0
	.set _ZN7rocprim17ROCPRIM_400000_NS6detail17trampoline_kernelINS0_14default_configENS1_25partition_config_selectorILNS1_17partition_subalgoE5EsNS0_10empty_typeEbEEZZNS1_14partition_implILS5_5ELb0ES3_mN6thrust23THRUST_200600_302600_NS6detail15normal_iteratorINSA_10device_ptrIsEEEEPS6_NSA_18transform_iteratorINSB_9not_fun_tI7is_trueIsEEESF_NSA_11use_defaultESM_EENS0_5tupleIJSF_S6_EEENSO_IJSG_SG_EEES6_PlJS6_EEE10hipError_tPvRmT3_T4_T5_T6_T7_T9_mT8_P12ihipStream_tbDpT10_ENKUlT_T0_E_clISt17integral_constantIbLb0EES1A_IbLb1EEEEDaS16_S17_EUlS16_E_NS1_11comp_targetILNS1_3genE2ELNS1_11target_archE906ELNS1_3gpuE6ELNS1_3repE0EEENS1_30default_config_static_selectorELNS0_4arch9wavefront6targetE0EEEvT1_.num_named_barrier, 0
	.set _ZN7rocprim17ROCPRIM_400000_NS6detail17trampoline_kernelINS0_14default_configENS1_25partition_config_selectorILNS1_17partition_subalgoE5EsNS0_10empty_typeEbEEZZNS1_14partition_implILS5_5ELb0ES3_mN6thrust23THRUST_200600_302600_NS6detail15normal_iteratorINSA_10device_ptrIsEEEEPS6_NSA_18transform_iteratorINSB_9not_fun_tI7is_trueIsEEESF_NSA_11use_defaultESM_EENS0_5tupleIJSF_S6_EEENSO_IJSG_SG_EEES6_PlJS6_EEE10hipError_tPvRmT3_T4_T5_T6_T7_T9_mT8_P12ihipStream_tbDpT10_ENKUlT_T0_E_clISt17integral_constantIbLb0EES1A_IbLb1EEEEDaS16_S17_EUlS16_E_NS1_11comp_targetILNS1_3genE2ELNS1_11target_archE906ELNS1_3gpuE6ELNS1_3repE0EEENS1_30default_config_static_selectorELNS0_4arch9wavefront6targetE0EEEvT1_.private_seg_size, 0
	.set _ZN7rocprim17ROCPRIM_400000_NS6detail17trampoline_kernelINS0_14default_configENS1_25partition_config_selectorILNS1_17partition_subalgoE5EsNS0_10empty_typeEbEEZZNS1_14partition_implILS5_5ELb0ES3_mN6thrust23THRUST_200600_302600_NS6detail15normal_iteratorINSA_10device_ptrIsEEEEPS6_NSA_18transform_iteratorINSB_9not_fun_tI7is_trueIsEEESF_NSA_11use_defaultESM_EENS0_5tupleIJSF_S6_EEENSO_IJSG_SG_EEES6_PlJS6_EEE10hipError_tPvRmT3_T4_T5_T6_T7_T9_mT8_P12ihipStream_tbDpT10_ENKUlT_T0_E_clISt17integral_constantIbLb0EES1A_IbLb1EEEEDaS16_S17_EUlS16_E_NS1_11comp_targetILNS1_3genE2ELNS1_11target_archE906ELNS1_3gpuE6ELNS1_3repE0EEENS1_30default_config_static_selectorELNS0_4arch9wavefront6targetE0EEEvT1_.uses_vcc, 0
	.set _ZN7rocprim17ROCPRIM_400000_NS6detail17trampoline_kernelINS0_14default_configENS1_25partition_config_selectorILNS1_17partition_subalgoE5EsNS0_10empty_typeEbEEZZNS1_14partition_implILS5_5ELb0ES3_mN6thrust23THRUST_200600_302600_NS6detail15normal_iteratorINSA_10device_ptrIsEEEEPS6_NSA_18transform_iteratorINSB_9not_fun_tI7is_trueIsEEESF_NSA_11use_defaultESM_EENS0_5tupleIJSF_S6_EEENSO_IJSG_SG_EEES6_PlJS6_EEE10hipError_tPvRmT3_T4_T5_T6_T7_T9_mT8_P12ihipStream_tbDpT10_ENKUlT_T0_E_clISt17integral_constantIbLb0EES1A_IbLb1EEEEDaS16_S17_EUlS16_E_NS1_11comp_targetILNS1_3genE2ELNS1_11target_archE906ELNS1_3gpuE6ELNS1_3repE0EEENS1_30default_config_static_selectorELNS0_4arch9wavefront6targetE0EEEvT1_.uses_flat_scratch, 0
	.set _ZN7rocprim17ROCPRIM_400000_NS6detail17trampoline_kernelINS0_14default_configENS1_25partition_config_selectorILNS1_17partition_subalgoE5EsNS0_10empty_typeEbEEZZNS1_14partition_implILS5_5ELb0ES3_mN6thrust23THRUST_200600_302600_NS6detail15normal_iteratorINSA_10device_ptrIsEEEEPS6_NSA_18transform_iteratorINSB_9not_fun_tI7is_trueIsEEESF_NSA_11use_defaultESM_EENS0_5tupleIJSF_S6_EEENSO_IJSG_SG_EEES6_PlJS6_EEE10hipError_tPvRmT3_T4_T5_T6_T7_T9_mT8_P12ihipStream_tbDpT10_ENKUlT_T0_E_clISt17integral_constantIbLb0EES1A_IbLb1EEEEDaS16_S17_EUlS16_E_NS1_11comp_targetILNS1_3genE2ELNS1_11target_archE906ELNS1_3gpuE6ELNS1_3repE0EEENS1_30default_config_static_selectorELNS0_4arch9wavefront6targetE0EEEvT1_.has_dyn_sized_stack, 0
	.set _ZN7rocprim17ROCPRIM_400000_NS6detail17trampoline_kernelINS0_14default_configENS1_25partition_config_selectorILNS1_17partition_subalgoE5EsNS0_10empty_typeEbEEZZNS1_14partition_implILS5_5ELb0ES3_mN6thrust23THRUST_200600_302600_NS6detail15normal_iteratorINSA_10device_ptrIsEEEEPS6_NSA_18transform_iteratorINSB_9not_fun_tI7is_trueIsEEESF_NSA_11use_defaultESM_EENS0_5tupleIJSF_S6_EEENSO_IJSG_SG_EEES6_PlJS6_EEE10hipError_tPvRmT3_T4_T5_T6_T7_T9_mT8_P12ihipStream_tbDpT10_ENKUlT_T0_E_clISt17integral_constantIbLb0EES1A_IbLb1EEEEDaS16_S17_EUlS16_E_NS1_11comp_targetILNS1_3genE2ELNS1_11target_archE906ELNS1_3gpuE6ELNS1_3repE0EEENS1_30default_config_static_selectorELNS0_4arch9wavefront6targetE0EEEvT1_.has_recursion, 0
	.set _ZN7rocprim17ROCPRIM_400000_NS6detail17trampoline_kernelINS0_14default_configENS1_25partition_config_selectorILNS1_17partition_subalgoE5EsNS0_10empty_typeEbEEZZNS1_14partition_implILS5_5ELb0ES3_mN6thrust23THRUST_200600_302600_NS6detail15normal_iteratorINSA_10device_ptrIsEEEEPS6_NSA_18transform_iteratorINSB_9not_fun_tI7is_trueIsEEESF_NSA_11use_defaultESM_EENS0_5tupleIJSF_S6_EEENSO_IJSG_SG_EEES6_PlJS6_EEE10hipError_tPvRmT3_T4_T5_T6_T7_T9_mT8_P12ihipStream_tbDpT10_ENKUlT_T0_E_clISt17integral_constantIbLb0EES1A_IbLb1EEEEDaS16_S17_EUlS16_E_NS1_11comp_targetILNS1_3genE2ELNS1_11target_archE906ELNS1_3gpuE6ELNS1_3repE0EEENS1_30default_config_static_selectorELNS0_4arch9wavefront6targetE0EEEvT1_.has_indirect_call, 0
	.section	.AMDGPU.csdata,"",@progbits
; Kernel info:
; codeLenInByte = 0
; TotalNumSgprs: 0
; NumVgprs: 0
; ScratchSize: 0
; MemoryBound: 0
; FloatMode: 240
; IeeeMode: 1
; LDSByteSize: 0 bytes/workgroup (compile time only)
; SGPRBlocks: 0
; VGPRBlocks: 0
; NumSGPRsForWavesPerEU: 1
; NumVGPRsForWavesPerEU: 1
; Occupancy: 16
; WaveLimiterHint : 0
; COMPUTE_PGM_RSRC2:SCRATCH_EN: 0
; COMPUTE_PGM_RSRC2:USER_SGPR: 2
; COMPUTE_PGM_RSRC2:TRAP_HANDLER: 0
; COMPUTE_PGM_RSRC2:TGID_X_EN: 1
; COMPUTE_PGM_RSRC2:TGID_Y_EN: 0
; COMPUTE_PGM_RSRC2:TGID_Z_EN: 0
; COMPUTE_PGM_RSRC2:TIDIG_COMP_CNT: 0
	.section	.text._ZN7rocprim17ROCPRIM_400000_NS6detail17trampoline_kernelINS0_14default_configENS1_25partition_config_selectorILNS1_17partition_subalgoE5EsNS0_10empty_typeEbEEZZNS1_14partition_implILS5_5ELb0ES3_mN6thrust23THRUST_200600_302600_NS6detail15normal_iteratorINSA_10device_ptrIsEEEEPS6_NSA_18transform_iteratorINSB_9not_fun_tI7is_trueIsEEESF_NSA_11use_defaultESM_EENS0_5tupleIJSF_S6_EEENSO_IJSG_SG_EEES6_PlJS6_EEE10hipError_tPvRmT3_T4_T5_T6_T7_T9_mT8_P12ihipStream_tbDpT10_ENKUlT_T0_E_clISt17integral_constantIbLb0EES1A_IbLb1EEEEDaS16_S17_EUlS16_E_NS1_11comp_targetILNS1_3genE10ELNS1_11target_archE1200ELNS1_3gpuE4ELNS1_3repE0EEENS1_30default_config_static_selectorELNS0_4arch9wavefront6targetE0EEEvT1_,"axG",@progbits,_ZN7rocprim17ROCPRIM_400000_NS6detail17trampoline_kernelINS0_14default_configENS1_25partition_config_selectorILNS1_17partition_subalgoE5EsNS0_10empty_typeEbEEZZNS1_14partition_implILS5_5ELb0ES3_mN6thrust23THRUST_200600_302600_NS6detail15normal_iteratorINSA_10device_ptrIsEEEEPS6_NSA_18transform_iteratorINSB_9not_fun_tI7is_trueIsEEESF_NSA_11use_defaultESM_EENS0_5tupleIJSF_S6_EEENSO_IJSG_SG_EEES6_PlJS6_EEE10hipError_tPvRmT3_T4_T5_T6_T7_T9_mT8_P12ihipStream_tbDpT10_ENKUlT_T0_E_clISt17integral_constantIbLb0EES1A_IbLb1EEEEDaS16_S17_EUlS16_E_NS1_11comp_targetILNS1_3genE10ELNS1_11target_archE1200ELNS1_3gpuE4ELNS1_3repE0EEENS1_30default_config_static_selectorELNS0_4arch9wavefront6targetE0EEEvT1_,comdat
	.protected	_ZN7rocprim17ROCPRIM_400000_NS6detail17trampoline_kernelINS0_14default_configENS1_25partition_config_selectorILNS1_17partition_subalgoE5EsNS0_10empty_typeEbEEZZNS1_14partition_implILS5_5ELb0ES3_mN6thrust23THRUST_200600_302600_NS6detail15normal_iteratorINSA_10device_ptrIsEEEEPS6_NSA_18transform_iteratorINSB_9not_fun_tI7is_trueIsEEESF_NSA_11use_defaultESM_EENS0_5tupleIJSF_S6_EEENSO_IJSG_SG_EEES6_PlJS6_EEE10hipError_tPvRmT3_T4_T5_T6_T7_T9_mT8_P12ihipStream_tbDpT10_ENKUlT_T0_E_clISt17integral_constantIbLb0EES1A_IbLb1EEEEDaS16_S17_EUlS16_E_NS1_11comp_targetILNS1_3genE10ELNS1_11target_archE1200ELNS1_3gpuE4ELNS1_3repE0EEENS1_30default_config_static_selectorELNS0_4arch9wavefront6targetE0EEEvT1_ ; -- Begin function _ZN7rocprim17ROCPRIM_400000_NS6detail17trampoline_kernelINS0_14default_configENS1_25partition_config_selectorILNS1_17partition_subalgoE5EsNS0_10empty_typeEbEEZZNS1_14partition_implILS5_5ELb0ES3_mN6thrust23THRUST_200600_302600_NS6detail15normal_iteratorINSA_10device_ptrIsEEEEPS6_NSA_18transform_iteratorINSB_9not_fun_tI7is_trueIsEEESF_NSA_11use_defaultESM_EENS0_5tupleIJSF_S6_EEENSO_IJSG_SG_EEES6_PlJS6_EEE10hipError_tPvRmT3_T4_T5_T6_T7_T9_mT8_P12ihipStream_tbDpT10_ENKUlT_T0_E_clISt17integral_constantIbLb0EES1A_IbLb1EEEEDaS16_S17_EUlS16_E_NS1_11comp_targetILNS1_3genE10ELNS1_11target_archE1200ELNS1_3gpuE4ELNS1_3repE0EEENS1_30default_config_static_selectorELNS0_4arch9wavefront6targetE0EEEvT1_
	.globl	_ZN7rocprim17ROCPRIM_400000_NS6detail17trampoline_kernelINS0_14default_configENS1_25partition_config_selectorILNS1_17partition_subalgoE5EsNS0_10empty_typeEbEEZZNS1_14partition_implILS5_5ELb0ES3_mN6thrust23THRUST_200600_302600_NS6detail15normal_iteratorINSA_10device_ptrIsEEEEPS6_NSA_18transform_iteratorINSB_9not_fun_tI7is_trueIsEEESF_NSA_11use_defaultESM_EENS0_5tupleIJSF_S6_EEENSO_IJSG_SG_EEES6_PlJS6_EEE10hipError_tPvRmT3_T4_T5_T6_T7_T9_mT8_P12ihipStream_tbDpT10_ENKUlT_T0_E_clISt17integral_constantIbLb0EES1A_IbLb1EEEEDaS16_S17_EUlS16_E_NS1_11comp_targetILNS1_3genE10ELNS1_11target_archE1200ELNS1_3gpuE4ELNS1_3repE0EEENS1_30default_config_static_selectorELNS0_4arch9wavefront6targetE0EEEvT1_
	.p2align	8
	.type	_ZN7rocprim17ROCPRIM_400000_NS6detail17trampoline_kernelINS0_14default_configENS1_25partition_config_selectorILNS1_17partition_subalgoE5EsNS0_10empty_typeEbEEZZNS1_14partition_implILS5_5ELb0ES3_mN6thrust23THRUST_200600_302600_NS6detail15normal_iteratorINSA_10device_ptrIsEEEEPS6_NSA_18transform_iteratorINSB_9not_fun_tI7is_trueIsEEESF_NSA_11use_defaultESM_EENS0_5tupleIJSF_S6_EEENSO_IJSG_SG_EEES6_PlJS6_EEE10hipError_tPvRmT3_T4_T5_T6_T7_T9_mT8_P12ihipStream_tbDpT10_ENKUlT_T0_E_clISt17integral_constantIbLb0EES1A_IbLb1EEEEDaS16_S17_EUlS16_E_NS1_11comp_targetILNS1_3genE10ELNS1_11target_archE1200ELNS1_3gpuE4ELNS1_3repE0EEENS1_30default_config_static_selectorELNS0_4arch9wavefront6targetE0EEEvT1_,@function
_ZN7rocprim17ROCPRIM_400000_NS6detail17trampoline_kernelINS0_14default_configENS1_25partition_config_selectorILNS1_17partition_subalgoE5EsNS0_10empty_typeEbEEZZNS1_14partition_implILS5_5ELb0ES3_mN6thrust23THRUST_200600_302600_NS6detail15normal_iteratorINSA_10device_ptrIsEEEEPS6_NSA_18transform_iteratorINSB_9not_fun_tI7is_trueIsEEESF_NSA_11use_defaultESM_EENS0_5tupleIJSF_S6_EEENSO_IJSG_SG_EEES6_PlJS6_EEE10hipError_tPvRmT3_T4_T5_T6_T7_T9_mT8_P12ihipStream_tbDpT10_ENKUlT_T0_E_clISt17integral_constantIbLb0EES1A_IbLb1EEEEDaS16_S17_EUlS16_E_NS1_11comp_targetILNS1_3genE10ELNS1_11target_archE1200ELNS1_3gpuE4ELNS1_3repE0EEENS1_30default_config_static_selectorELNS0_4arch9wavefront6targetE0EEEvT1_: ; @_ZN7rocprim17ROCPRIM_400000_NS6detail17trampoline_kernelINS0_14default_configENS1_25partition_config_selectorILNS1_17partition_subalgoE5EsNS0_10empty_typeEbEEZZNS1_14partition_implILS5_5ELb0ES3_mN6thrust23THRUST_200600_302600_NS6detail15normal_iteratorINSA_10device_ptrIsEEEEPS6_NSA_18transform_iteratorINSB_9not_fun_tI7is_trueIsEEESF_NSA_11use_defaultESM_EENS0_5tupleIJSF_S6_EEENSO_IJSG_SG_EEES6_PlJS6_EEE10hipError_tPvRmT3_T4_T5_T6_T7_T9_mT8_P12ihipStream_tbDpT10_ENKUlT_T0_E_clISt17integral_constantIbLb0EES1A_IbLb1EEEEDaS16_S17_EUlS16_E_NS1_11comp_targetILNS1_3genE10ELNS1_11target_archE1200ELNS1_3gpuE4ELNS1_3repE0EEENS1_30default_config_static_selectorELNS0_4arch9wavefront6targetE0EEEvT1_
; %bb.0:
	s_clause 0x3
	s_load_b64 s[12:13], s[0:1], 0x30
	s_load_b128 s[4:7], s[0:1], 0x48
	s_load_b64 s[18:19], s[0:1], 0x58
	s_load_b64 s[14:15], s[0:1], 0x68
	v_cmp_eq_u32_e64 s2, 0, v0
	s_and_saveexec_b32 s3, s2
	s_cbranch_execz .LBB1562_4
; %bb.1:
	s_mov_b32 s9, exec_lo
	s_mov_b32 s8, exec_lo
	v_mbcnt_lo_u32_b32 v1, s9, 0
                                        ; implicit-def: $vgpr2
	s_delay_alu instid0(VALU_DEP_1)
	v_cmpx_eq_u32_e32 0, v1
	s_cbranch_execz .LBB1562_3
; %bb.2:
	s_load_b64 s[10:11], s[0:1], 0x78
	s_bcnt1_i32_b32 s9, s9
	s_wait_alu 0xfffe
	v_dual_mov_b32 v2, 0 :: v_dual_mov_b32 v3, s9
	s_wait_kmcnt 0x0
	global_atomic_add_u32 v2, v2, v3, s[10:11] th:TH_ATOMIC_RETURN scope:SCOPE_DEV
.LBB1562_3:
	s_or_b32 exec_lo, exec_lo, s8
	s_wait_loadcnt 0x0
	v_readfirstlane_b32 s8, v2
	s_wait_alu 0xf1ff
	s_delay_alu instid0(VALU_DEP_1)
	v_dual_mov_b32 v2, 0 :: v_dual_add_nc_u32 v1, s8, v1
	ds_store_b32 v2, v1
.LBB1562_4:
	s_or_b32 exec_lo, exec_lo, s3
	v_mov_b32_e32 v1, 0
	s_clause 0x2
	s_load_b128 s[8:11], s[0:1], 0x8
	s_load_b64 s[16:17], s[0:1], 0x20
	s_load_b32 s0, s[0:1], 0x70
	s_wait_dscnt 0x0
	s_barrier_signal -1
	s_barrier_wait -1
	global_inv scope:SCOPE_SE
	ds_load_b32 v2, v1
	s_wait_loadcnt_dscnt 0x0
	s_barrier_signal -1
	s_barrier_wait -1
	global_inv scope:SCOPE_SE
	s_wait_kmcnt 0x0
	global_load_b64 v[41:42], v1, s[6:7]
	v_lshlrev_b32_e32 v9, 1, v0
	s_lshl_b64 s[6:7], s[10:11], 1
	s_delay_alu instid0(SALU_CYCLE_1)
	s_add_nc_u64 s[22:23], s[8:9], s[6:7]
	s_mul_i32 s8, s0, 0xc00
	s_mov_b32 s9, 0
	s_wait_alu 0xfffe
	s_add_co_i32 s3, s8, s10
	s_add_co_i32 s21, s0, -1
	v_readfirstlane_b32 s20, v2
	s_add_nc_u64 s[0:1], s[10:11], s[8:9]
	s_sub_co_i32 s3, s18, s3
	v_cmp_le_u64_e64 s0, s[18:19], s[0:1]
	s_addk_co_i32 s3, 0xc00
	s_cmp_eq_u32 s20, s21
	s_mul_i32 s8, s20, 0xc00
	s_cselect_b32 s18, -1, 0
	s_wait_alu 0xfffe
	s_lshl_b64 s[8:9], s[8:9], 1
	s_and_b32 s0, s0, s18
	s_mov_b32 s1, -1
	s_wait_alu 0xfffe
	s_xor_b32 s19, s0, -1
	s_add_nc_u64 s[10:11], s[22:23], s[8:9]
	s_wait_alu 0xfffe
	s_and_b32 vcc_lo, exec_lo, s19
	s_cbranch_vccz .LBB1562_6
; %bb.5:
	v_add_co_u32 v1, s0, s10, v9
	s_wait_alu 0xf1ff
	v_add_co_ci_u32_e64 v2, null, s11, 0, s0
	s_mov_b32 s1, 0
	s_clause 0xb
	flat_load_u16 v3, v[1:2]
	flat_load_u16 v4, v[1:2] offset:512
	flat_load_u16 v5, v[1:2] offset:1024
	;; [unrolled: 1-line block ×11, first 2 shown]
	s_wait_loadcnt_dscnt 0xb0b
	ds_store_b16 v9, v3
	s_wait_loadcnt_dscnt 0xa0b
	ds_store_b16 v9, v4 offset:512
	s_wait_loadcnt_dscnt 0x90b
	ds_store_b16 v9, v5 offset:1024
	;; [unrolled: 2-line block ×11, first 2 shown]
	s_wait_dscnt 0x0
	s_barrier_signal -1
	s_barrier_wait -1
.LBB1562_6:
	v_cmp_gt_u32_e64 s0, s3, v0
	s_wait_alu 0xfffe
	s_and_not1_b32 vcc_lo, exec_lo, s1
	s_cbranch_vccnz .LBB1562_32
; %bb.7:
	v_mov_b32_e32 v1, 0
	s_delay_alu instid0(VALU_DEP_1)
	v_dual_mov_b32 v2, v1 :: v_dual_mov_b32 v3, v1
	v_dual_mov_b32 v4, v1 :: v_dual_mov_b32 v5, v1
	v_mov_b32_e32 v6, v1
	s_and_saveexec_b32 s1, s0
	s_cbranch_execz .LBB1562_9
; %bb.8:
	v_add_co_u32 v3, s0, s10, v9
	s_wait_alu 0xf1ff
	v_add_co_ci_u32_e64 v4, null, s11, 0, s0
	v_mov_b32_e32 v2, v1
	v_dual_mov_b32 v6, v1 :: v_dual_mov_b32 v7, v1
	v_mov_b32_e32 v5, v1
	flat_load_d16_b16 v2, v[3:4]
	v_dual_mov_b32 v3, v1 :: v_dual_mov_b32 v4, v1
	s_wait_loadcnt_dscnt 0x0
	v_mov_b32_e32 v1, v2
	s_delay_alu instid0(VALU_DEP_2) | instskip(NEXT) | instid1(VALU_DEP_3)
	v_mov_b32_e32 v2, v3
	v_mov_b32_e32 v3, v4
	;; [unrolled: 1-line block ×7, first 2 shown]
.LBB1562_9:
	s_wait_alu 0xfffe
	s_or_b32 exec_lo, exec_lo, s1
	v_or_b32_e32 v7, 0x100, v0
	s_mov_b32 s0, exec_lo
	s_delay_alu instid0(VALU_DEP_1)
	v_cmpx_gt_u32_e64 s3, v7
	s_cbranch_execz .LBB1562_11
; %bb.10:
	v_add_co_u32 v7, s1, s10, v9
	s_wait_alu 0xf1ff
	v_add_co_ci_u32_e64 v8, null, s11, 0, s1
	flat_load_d16_hi_b16 v1, v[7:8] offset:512
.LBB1562_11:
	s_wait_alu 0xfffe
	s_or_b32 exec_lo, exec_lo, s0
	v_or_b32_e32 v7, 0x200, v0
	s_mov_b32 s0, exec_lo
	s_delay_alu instid0(VALU_DEP_1)
	v_cmpx_gt_u32_e64 s3, v7
	s_cbranch_execz .LBB1562_13
; %bb.12:
	v_add_co_u32 v7, s1, s10, v9
	s_wait_alu 0xf1ff
	v_add_co_ci_u32_e64 v8, null, s11, 0, s1
	flat_load_d16_b16 v2, v[7:8] offset:1024
.LBB1562_13:
	s_wait_alu 0xfffe
	s_or_b32 exec_lo, exec_lo, s0
	v_or_b32_e32 v7, 0x300, v0
	s_mov_b32 s0, exec_lo
	s_delay_alu instid0(VALU_DEP_1)
	v_cmpx_gt_u32_e64 s3, v7
	s_cbranch_execz .LBB1562_15
; %bb.14:
	v_add_co_u32 v7, s1, s10, v9
	s_wait_alu 0xf1ff
	v_add_co_ci_u32_e64 v8, null, s11, 0, s1
	s_wait_loadcnt_dscnt 0x0
	flat_load_d16_hi_b16 v2, v[7:8] offset:1536
.LBB1562_15:
	s_wait_alu 0xfffe
	s_or_b32 exec_lo, exec_lo, s0
	v_or_b32_e32 v7, 0x400, v0
	s_mov_b32 s0, exec_lo
	s_delay_alu instid0(VALU_DEP_1)
	v_cmpx_gt_u32_e64 s3, v7
	s_cbranch_execz .LBB1562_17
; %bb.16:
	v_add_co_u32 v7, s1, s10, v9
	s_wait_alu 0xf1ff
	v_add_co_ci_u32_e64 v8, null, s11, 0, s1
	flat_load_d16_b16 v3, v[7:8] offset:2048
.LBB1562_17:
	s_wait_alu 0xfffe
	s_or_b32 exec_lo, exec_lo, s0
	v_or_b32_e32 v7, 0x500, v0
	s_mov_b32 s0, exec_lo
	s_delay_alu instid0(VALU_DEP_1)
	v_cmpx_gt_u32_e64 s3, v7
	s_cbranch_execz .LBB1562_19
; %bb.18:
	v_add_co_u32 v7, s1, s10, v9
	s_wait_alu 0xf1ff
	v_add_co_ci_u32_e64 v8, null, s11, 0, s1
	s_wait_loadcnt_dscnt 0x0
	flat_load_d16_hi_b16 v3, v[7:8] offset:2560
.LBB1562_19:
	;; [unrolled: 27-line block ×5, first 2 shown]
	s_wait_alu 0xfffe
	s_or_b32 exec_lo, exec_lo, s0
	s_wait_loadcnt_dscnt 0x0
	ds_store_b16 v9, v1
	ds_store_b16_d16_hi v9, v1 offset:512
	ds_store_b16 v9, v2 offset:1024
	ds_store_b16_d16_hi v9, v2 offset:1536
	ds_store_b16 v9, v3 offset:2048
	;; [unrolled: 2-line block ×5, first 2 shown]
	ds_store_b16_d16_hi v9, v6 offset:5632
	s_wait_dscnt 0x0
	s_barrier_signal -1
	s_barrier_wait -1
.LBB1562_32:
	v_mul_u32_u24_e32 v53, 12, v0
	s_wait_loadcnt 0x0
	global_inv scope:SCOPE_SE
	s_add_nc_u64 s[0:1], s[16:17], s[6:7]
	s_and_b32 vcc_lo, exec_lo, s19
	s_wait_alu 0xfffe
	s_add_nc_u64 s[0:1], s[0:1], s[8:9]
	v_lshlrev_b32_e32 v1, 1, v53
	s_mov_b32 s6, -1
	ds_load_2addr_b64 v[33:36], v1 offset1:1
	ds_load_b64 v[43:44], v1 offset:16
	s_wait_loadcnt_dscnt 0x0
	s_barrier_signal -1
	s_barrier_wait -1
	global_inv scope:SCOPE_SE
	s_cbranch_vccz .LBB1562_34
; %bb.33:
	s_clause 0xb
	global_load_u16 v1, v9, s[0:1]
	global_load_u16 v2, v9, s[0:1] offset:512
	global_load_u16 v3, v9, s[0:1] offset:1024
	global_load_u16 v4, v9, s[0:1] offset:1536
	global_load_u16 v5, v9, s[0:1] offset:2048
	global_load_u16 v6, v9, s[0:1] offset:2560
	global_load_u16 v7, v9, s[0:1] offset:3072
	global_load_u16 v8, v9, s[0:1] offset:3584
	global_load_u16 v10, v9, s[0:1] offset:4096
	global_load_u16 v11, v9, s[0:1] offset:4608
	global_load_u16 v12, v9, s[0:1] offset:5120
	global_load_u16 v13, v9, s[0:1] offset:5632
	s_mov_b32 s6, 0
	s_wait_loadcnt 0xb
	v_cmp_eq_u16_e32 vcc_lo, 0, v1
	v_cndmask_b32_e64 v1, 0, 1, vcc_lo
	s_wait_loadcnt 0xa
	v_cmp_eq_u16_e32 vcc_lo, 0, v2
	s_wait_alu 0xfffd
	v_cndmask_b32_e64 v2, 0, 1, vcc_lo
	s_wait_loadcnt 0x9
	v_cmp_eq_u16_e32 vcc_lo, 0, v3
	s_wait_alu 0xfffd
	;; [unrolled: 4-line block ×11, first 2 shown]
	v_cndmask_b32_e64 v13, 0, 1, vcc_lo
	ds_store_b8 v0, v1
	ds_store_b8 v0, v2 offset:256
	ds_store_b8 v0, v3 offset:512
	;; [unrolled: 1-line block ×11, first 2 shown]
	s_wait_dscnt 0x0
	s_barrier_signal -1
	s_barrier_wait -1
.LBB1562_34:
	s_and_not1_b32 vcc_lo, exec_lo, s6
	s_wait_alu 0xfffe
	s_cbranch_vccnz .LBB1562_60
; %bb.35:
	v_mov_b32_e32 v3, 0
	s_mov_b32 s6, exec_lo
	s_delay_alu instid0(VALU_DEP_1)
	v_dual_mov_b32 v1, v3 :: v_dual_mov_b32 v2, v3
	v_mov_b32_e32 v4, v3
	v_cmpx_gt_u32_e64 s3, v0
	s_cbranch_execz .LBB1562_37
; %bb.36:
	global_load_u16 v1, v9, s[0:1]
	s_wait_loadcnt 0x0
	v_cmp_eq_u16_e32 vcc_lo, 0, v1
	v_mov_b32_e32 v1, 0
	s_wait_alu 0xfffd
	v_cndmask_b32_e64 v4, 0, 1, vcc_lo
	s_delay_alu instid0(VALU_DEP_1)
	v_dual_mov_b32 v2, v1 :: v_dual_and_b32 v3, 0xffff, v4
.LBB1562_37:
	s_or_b32 exec_lo, exec_lo, s6
	v_or_b32_e32 v5, 0x100, v0
	s_mov_b32 s6, exec_lo
	s_delay_alu instid0(VALU_DEP_1)
	v_cmpx_gt_u32_e64 s3, v5
	s_cbranch_execz .LBB1562_39
; %bb.38:
	global_load_u16 v5, v9, s[0:1] offset:512
	v_and_b32_e32 v6, 0xff, v3
	s_wait_loadcnt 0x0
	v_cmp_eq_u16_e32 vcc_lo, 0, v5
	s_wait_alu 0xfffd
	v_cndmask_b32_e64 v5, 0, 1, vcc_lo
	s_delay_alu instid0(VALU_DEP_1) | instskip(NEXT) | instid1(VALU_DEP_1)
	v_lshlrev_b16 v5, 8, v5
	v_or_b32_e32 v5, v6, v5
	s_delay_alu instid0(VALU_DEP_1) | instskip(NEXT) | instid1(VALU_DEP_1)
	v_and_b32_e32 v5, 0xffff, v5
	v_and_or_b32 v3, 0xffff0000, v3, v5
.LBB1562_39:
	s_or_b32 exec_lo, exec_lo, s6
	v_or_b32_e32 v5, 0x200, v0
	s_mov_b32 s6, exec_lo
	s_delay_alu instid0(VALU_DEP_1)
	v_cmpx_gt_u32_e64 s3, v5
	s_cbranch_execz .LBB1562_41
; %bb.40:
	global_load_u16 v5, v9, s[0:1] offset:1024
	v_lshrrev_b32_e32 v6, 16, v3
	s_delay_alu instid0(VALU_DEP_1) | instskip(SKIP_4) | instid1(VALU_DEP_1)
	v_and_b32_e32 v6, 0xffffff00, v6
	s_wait_loadcnt 0x0
	v_cmp_eq_u16_e32 vcc_lo, 0, v5
	s_wait_alu 0xfffd
	v_cndmask_b32_e64 v5, 0, 1, vcc_lo
	v_or_b32_e32 v5, v5, v6
	s_delay_alu instid0(VALU_DEP_1) | instskip(NEXT) | instid1(VALU_DEP_1)
	v_lshlrev_b32_e32 v5, 16, v5
	v_and_or_b32 v3, 0xffff, v3, v5
.LBB1562_41:
	s_or_b32 exec_lo, exec_lo, s6
	v_or_b32_e32 v5, 0x300, v0
	s_mov_b32 s6, exec_lo
	s_delay_alu instid0(VALU_DEP_1)
	v_cmpx_gt_u32_e64 s3, v5
	s_cbranch_execz .LBB1562_43
; %bb.42:
	global_load_u16 v5, v9, s[0:1] offset:1536
	v_lshrrev_b32_e32 v6, 16, v3
	s_delay_alu instid0(VALU_DEP_1) | instskip(SKIP_4) | instid1(VALU_DEP_1)
	v_and_b32_e32 v6, 0xff, v6
	s_wait_loadcnt 0x0
	v_cmp_eq_u16_e32 vcc_lo, 0, v5
	s_wait_alu 0xfffd
	v_cndmask_b32_e64 v5, 0, 1, vcc_lo
	v_lshlrev_b16 v5, 8, v5
	s_delay_alu instid0(VALU_DEP_1) | instskip(NEXT) | instid1(VALU_DEP_1)
	v_or_b32_e32 v5, v6, v5
	v_lshlrev_b32_e32 v5, 16, v5
	s_delay_alu instid0(VALU_DEP_1)
	v_and_or_b32 v3, 0xffff, v3, v5
.LBB1562_43:
	s_or_b32 exec_lo, exec_lo, s6
	v_or_b32_e32 v5, 0x400, v0
	s_mov_b32 s6, exec_lo
	s_delay_alu instid0(VALU_DEP_1)
	v_cmpx_gt_u32_e64 s3, v5
	s_cbranch_execz .LBB1562_45
; %bb.44:
	global_load_u16 v5, v9, s[0:1] offset:2048
	v_and_b32_e32 v6, 0xffffff00, v1
	s_wait_loadcnt 0x0
	v_cmp_eq_u16_e32 vcc_lo, 0, v5
	s_wait_alu 0xfffd
	v_cndmask_b32_e64 v5, 0, 1, vcc_lo
	s_delay_alu instid0(VALU_DEP_1) | instskip(NEXT) | instid1(VALU_DEP_1)
	v_or_b32_e32 v5, v5, v6
	v_and_b32_e32 v5, 0xffff, v5
	s_delay_alu instid0(VALU_DEP_1)
	v_and_or_b32 v1, 0xffff0000, v1, v5
.LBB1562_45:
	s_or_b32 exec_lo, exec_lo, s6
	v_or_b32_e32 v5, 0x500, v0
	s_mov_b32 s6, exec_lo
	s_delay_alu instid0(VALU_DEP_1)
	v_cmpx_gt_u32_e64 s3, v5
	s_cbranch_execz .LBB1562_47
; %bb.46:
	global_load_u16 v5, v9, s[0:1] offset:2560
	v_and_b32_e32 v6, 0xff, v1
	s_wait_loadcnt 0x0
	v_cmp_eq_u16_e32 vcc_lo, 0, v5
	s_wait_alu 0xfffd
	v_cndmask_b32_e64 v5, 0, 1, vcc_lo
	s_delay_alu instid0(VALU_DEP_1) | instskip(NEXT) | instid1(VALU_DEP_1)
	v_lshlrev_b16 v5, 8, v5
	v_or_b32_e32 v5, v6, v5
	s_delay_alu instid0(VALU_DEP_1) | instskip(NEXT) | instid1(VALU_DEP_1)
	v_and_b32_e32 v5, 0xffff, v5
	v_and_or_b32 v1, 0xffff0000, v1, v5
.LBB1562_47:
	s_or_b32 exec_lo, exec_lo, s6
	v_or_b32_e32 v5, 0x600, v0
	s_mov_b32 s6, exec_lo
	s_delay_alu instid0(VALU_DEP_1)
	v_cmpx_gt_u32_e64 s3, v5
	s_cbranch_execz .LBB1562_49
; %bb.48:
	global_load_u16 v5, v9, s[0:1] offset:3072
	v_lshrrev_b32_e32 v6, 16, v1
	s_delay_alu instid0(VALU_DEP_1) | instskip(SKIP_4) | instid1(VALU_DEP_1)
	v_and_b32_e32 v6, 0xffffff00, v6
	s_wait_loadcnt 0x0
	v_cmp_eq_u16_e32 vcc_lo, 0, v5
	s_wait_alu 0xfffd
	v_cndmask_b32_e64 v5, 0, 1, vcc_lo
	v_or_b32_e32 v5, v5, v6
	s_delay_alu instid0(VALU_DEP_1) | instskip(NEXT) | instid1(VALU_DEP_1)
	v_lshlrev_b32_e32 v5, 16, v5
	v_and_or_b32 v1, 0xffff, v1, v5
.LBB1562_49:
	s_or_b32 exec_lo, exec_lo, s6
	v_or_b32_e32 v5, 0x700, v0
	s_mov_b32 s6, exec_lo
	s_delay_alu instid0(VALU_DEP_1)
	v_cmpx_gt_u32_e64 s3, v5
	s_cbranch_execz .LBB1562_51
; %bb.50:
	global_load_u16 v5, v9, s[0:1] offset:3584
	v_lshrrev_b32_e32 v6, 16, v1
	s_delay_alu instid0(VALU_DEP_1) | instskip(SKIP_4) | instid1(VALU_DEP_1)
	v_and_b32_e32 v6, 0xff, v6
	s_wait_loadcnt 0x0
	v_cmp_eq_u16_e32 vcc_lo, 0, v5
	s_wait_alu 0xfffd
	v_cndmask_b32_e64 v5, 0, 1, vcc_lo
	v_lshlrev_b16 v5, 8, v5
	s_delay_alu instid0(VALU_DEP_1) | instskip(NEXT) | instid1(VALU_DEP_1)
	v_or_b32_e32 v5, v6, v5
	v_lshlrev_b32_e32 v5, 16, v5
	s_delay_alu instid0(VALU_DEP_1)
	v_and_or_b32 v1, 0xffff, v1, v5
.LBB1562_51:
	s_or_b32 exec_lo, exec_lo, s6
	v_or_b32_e32 v5, 0x800, v0
	s_mov_b32 s6, exec_lo
	s_delay_alu instid0(VALU_DEP_1)
	v_cmpx_gt_u32_e64 s3, v5
	s_cbranch_execz .LBB1562_53
; %bb.52:
	global_load_u16 v5, v9, s[0:1] offset:4096
	v_and_b32_e32 v6, 0xffffff00, v2
	s_wait_loadcnt 0x0
	v_cmp_eq_u16_e32 vcc_lo, 0, v5
	s_wait_alu 0xfffd
	v_cndmask_b32_e64 v5, 0, 1, vcc_lo
	s_delay_alu instid0(VALU_DEP_1) | instskip(NEXT) | instid1(VALU_DEP_1)
	v_or_b32_e32 v5, v5, v6
	v_and_b32_e32 v5, 0xffff, v5
	s_delay_alu instid0(VALU_DEP_1)
	v_and_or_b32 v2, 0xffff0000, v2, v5
.LBB1562_53:
	s_or_b32 exec_lo, exec_lo, s6
	v_or_b32_e32 v5, 0x900, v0
	s_mov_b32 s6, exec_lo
	s_delay_alu instid0(VALU_DEP_1)
	v_cmpx_gt_u32_e64 s3, v5
	s_cbranch_execz .LBB1562_55
; %bb.54:
	global_load_u16 v5, v9, s[0:1] offset:4608
	v_and_b32_e32 v6, 0xff, v2
	s_wait_loadcnt 0x0
	v_cmp_eq_u16_e32 vcc_lo, 0, v5
	s_wait_alu 0xfffd
	v_cndmask_b32_e64 v5, 0, 1, vcc_lo
	s_delay_alu instid0(VALU_DEP_1) | instskip(NEXT) | instid1(VALU_DEP_1)
	v_lshlrev_b16 v5, 8, v5
	v_or_b32_e32 v5, v6, v5
	s_delay_alu instid0(VALU_DEP_1) | instskip(NEXT) | instid1(VALU_DEP_1)
	v_and_b32_e32 v5, 0xffff, v5
	v_and_or_b32 v2, 0xffff0000, v2, v5
.LBB1562_55:
	s_or_b32 exec_lo, exec_lo, s6
	v_or_b32_e32 v5, 0xa00, v0
	s_mov_b32 s6, exec_lo
	s_delay_alu instid0(VALU_DEP_1)
	v_cmpx_gt_u32_e64 s3, v5
	s_cbranch_execz .LBB1562_57
; %bb.56:
	global_load_u16 v5, v9, s[0:1] offset:5120
	v_lshrrev_b32_e32 v6, 16, v2
	s_delay_alu instid0(VALU_DEP_1) | instskip(SKIP_4) | instid1(VALU_DEP_1)
	v_and_b32_e32 v6, 0xffffff00, v6
	s_wait_loadcnt 0x0
	v_cmp_eq_u16_e32 vcc_lo, 0, v5
	s_wait_alu 0xfffd
	v_cndmask_b32_e64 v5, 0, 1, vcc_lo
	v_or_b32_e32 v5, v5, v6
	s_delay_alu instid0(VALU_DEP_1) | instskip(NEXT) | instid1(VALU_DEP_1)
	v_lshlrev_b32_e32 v5, 16, v5
	v_and_or_b32 v2, 0xffff, v2, v5
.LBB1562_57:
	s_or_b32 exec_lo, exec_lo, s6
	v_or_b32_e32 v5, 0xb00, v0
	s_delay_alu instid0(VALU_DEP_1)
	v_cmp_gt_u32_e32 vcc_lo, s3, v5
	s_and_saveexec_b32 s3, vcc_lo
	s_cbranch_execz .LBB1562_59
; %bb.58:
	global_load_u16 v5, v9, s[0:1] offset:5632
	v_lshrrev_b32_e32 v6, 16, v2
	s_delay_alu instid0(VALU_DEP_1) | instskip(SKIP_4) | instid1(VALU_DEP_1)
	v_and_b32_e32 v6, 0xff, v6
	s_wait_loadcnt 0x0
	v_cmp_eq_u16_e32 vcc_lo, 0, v5
	s_wait_alu 0xfffd
	v_cndmask_b32_e64 v5, 0, 1, vcc_lo
	v_lshlrev_b16 v5, 8, v5
	s_delay_alu instid0(VALU_DEP_1) | instskip(NEXT) | instid1(VALU_DEP_1)
	v_or_b32_e32 v5, v6, v5
	v_lshlrev_b32_e32 v5, 16, v5
	s_delay_alu instid0(VALU_DEP_1)
	v_and_or_b32 v2, 0xffff, v2, v5
.LBB1562_59:
	s_wait_alu 0xfffe
	s_or_b32 exec_lo, exec_lo, s3
	v_lshrrev_b32_e32 v5, 8, v3
	v_lshrrev_b32_e32 v6, 24, v3
	;; [unrolled: 1-line block ×6, first 2 shown]
	ds_store_b8 v0, v4
	ds_store_b8 v0, v5 offset:256
	ds_store_b8_d16_hi v0, v3 offset:512
	ds_store_b8 v0, v6 offset:768
	ds_store_b8 v0, v1 offset:1024
	;; [unrolled: 1-line block ×3, first 2 shown]
	ds_store_b8_d16_hi v0, v1 offset:1536
	ds_store_b8 v0, v8 offset:1792
	ds_store_b8 v0, v2 offset:2048
	;; [unrolled: 1-line block ×3, first 2 shown]
	ds_store_b8_d16_hi v0, v2 offset:2560
	ds_store_b8 v0, v10 offset:2816
	s_wait_loadcnt_dscnt 0x0
	s_barrier_signal -1
	s_barrier_wait -1
.LBB1562_60:
	s_wait_loadcnt 0x0
	global_inv scope:SCOPE_SE
	ds_load_2addr_b32 v[45:46], v53 offset1:1
	ds_load_b32 v49, v53 offset:8
	v_mbcnt_lo_u32_b32 v63, -1, 0
	s_cmp_lg_u32 s20, 0
	s_mov_b32 s1, -1
	s_wait_loadcnt_dscnt 0x0
	s_barrier_signal -1
	v_and_b32_e32 v64, 15, v63
	s_barrier_wait -1
	global_inv scope:SCOPE_SE
	v_dual_mov_b32 v2, 0 :: v_dual_and_b32 v55, 0xff, v45
	v_bfe_u32 v56, v45, 8, 8
	v_bfe_u32 v54, v45, 16, 8
	v_lshrrev_b32_e32 v52, 24, v45
	v_and_b32_e32 v58, 0xff, v46
	v_bfe_u32 v59, v46, 8, 8
	v_bfe_u32 v60, v46, 16, 8
	v_add3_u32 v1, v56, v55, v54
	v_lshrrev_b32_e32 v51, 24, v46
	v_and_b32_e32 v61, 0xff, v49
	v_bfe_u32 v62, v49, 8, 8
	v_bfe_u32 v57, v49, 16, 8
	v_add_co_u32 v1, s0, v1, v52
	s_wait_alu 0xf1ff
	v_add_co_ci_u32_e64 v3, null, 0, 0, s0
	v_lshrrev_b32_e32 v50, 24, v49
	s_delay_alu instid0(VALU_DEP_3) | instskip(SKIP_1) | instid1(VALU_DEP_3)
	v_add_co_u32 v1, vcc_lo, v1, v58
	s_wait_alu 0xfffd
	v_add_co_ci_u32_e64 v3, null, 0, v3, vcc_lo
	v_cmp_ne_u32_e64 s0, 0, v64
	s_delay_alu instid0(VALU_DEP_3) | instskip(SKIP_1) | instid1(VALU_DEP_3)
	v_add_co_u32 v1, vcc_lo, v1, v59
	s_wait_alu 0xfffd
	v_add_co_ci_u32_e64 v3, null, 0, v3, vcc_lo
	s_delay_alu instid0(VALU_DEP_2) | instskip(SKIP_1) | instid1(VALU_DEP_2)
	v_add_co_u32 v1, vcc_lo, v1, v60
	s_wait_alu 0xfffd
	v_add_co_ci_u32_e64 v3, null, 0, v3, vcc_lo
	s_delay_alu instid0(VALU_DEP_2) | instskip(SKIP_1) | instid1(VALU_DEP_2)
	;; [unrolled: 4-line block ×6, first 2 shown]
	v_add_co_u32 v47, vcc_lo, v1, v50
	s_wait_alu 0xfffd
	v_add_co_ci_u32_e64 v48, null, 0, v3, vcc_lo
	s_cbranch_scc0 .LBB1562_117
; %bb.61:
	v_mov_b32_e32 v3, v47
	v_mov_b32_dpp v1, v47 row_shr:1 row_mask:0xf bank_mask:0xf
	v_mov_b32_dpp v6, v2 row_shr:1 row_mask:0xf bank_mask:0xf
	v_dual_mov_b32 v5, v47 :: v_dual_mov_b32 v4, v48
	s_and_saveexec_b32 s1, s0
; %bb.62:
	s_delay_alu instid0(VALU_DEP_3) | instskip(SKIP_2) | instid1(VALU_DEP_2)
	v_add_co_u32 v5, vcc_lo, v47, v1
	s_wait_alu 0xfffd
	v_add_co_ci_u32_e64 v2, null, 0, v48, vcc_lo
	v_add_co_u32 v1, vcc_lo, 0, v5
	s_wait_alu 0xfffd
	s_delay_alu instid0(VALU_DEP_2) | instskip(NEXT) | instid1(VALU_DEP_1)
	v_add_co_ci_u32_e64 v2, null, v6, v2, vcc_lo
	v_dual_mov_b32 v4, v2 :: v_dual_mov_b32 v3, v1
; %bb.63:
	s_wait_alu 0xfffe
	s_or_b32 exec_lo, exec_lo, s1
	v_mov_b32_dpp v1, v5 row_shr:2 row_mask:0xf bank_mask:0xf
	v_mov_b32_dpp v6, v2 row_shr:2 row_mask:0xf bank_mask:0xf
	s_mov_b32 s1, exec_lo
	v_cmpx_lt_u32_e32 1, v64
; %bb.64:
	s_delay_alu instid0(VALU_DEP_3) | instskip(SKIP_2) | instid1(VALU_DEP_2)
	v_add_co_u32 v5, vcc_lo, v3, v1
	s_wait_alu 0xfffd
	v_add_co_ci_u32_e64 v2, null, 0, v4, vcc_lo
	v_add_co_u32 v1, vcc_lo, 0, v5
	s_wait_alu 0xfffd
	s_delay_alu instid0(VALU_DEP_2) | instskip(NEXT) | instid1(VALU_DEP_1)
	v_add_co_ci_u32_e64 v2, null, v6, v2, vcc_lo
	v_dual_mov_b32 v4, v2 :: v_dual_mov_b32 v3, v1
; %bb.65:
	s_wait_alu 0xfffe
	s_or_b32 exec_lo, exec_lo, s1
	v_mov_b32_dpp v1, v5 row_shr:4 row_mask:0xf bank_mask:0xf
	v_mov_b32_dpp v6, v2 row_shr:4 row_mask:0xf bank_mask:0xf
	s_mov_b32 s1, exec_lo
	v_cmpx_lt_u32_e32 3, v64
	;; [unrolled: 17-line block ×3, first 2 shown]
; %bb.68:
	s_delay_alu instid0(VALU_DEP_3) | instskip(SKIP_2) | instid1(VALU_DEP_2)
	v_add_co_u32 v5, vcc_lo, v3, v6
	s_wait_alu 0xfffd
	v_add_co_ci_u32_e64 v2, null, 0, v4, vcc_lo
	v_add_co_u32 v3, vcc_lo, 0, v5
	s_wait_alu 0xfffd
	s_delay_alu instid0(VALU_DEP_2) | instskip(NEXT) | instid1(VALU_DEP_1)
	v_add_co_ci_u32_e64 v4, null, v1, v2, vcc_lo
	v_mov_b32_e32 v2, v4
; %bb.69:
	s_wait_alu 0xfffe
	s_or_b32 exec_lo, exec_lo, s1
	ds_swizzle_b32 v1, v5 offset:swizzle(BROADCAST,32,15)
	ds_swizzle_b32 v6, v2 offset:swizzle(BROADCAST,32,15)
	v_and_b32_e32 v7, 16, v63
	s_mov_b32 s1, exec_lo
	s_delay_alu instid0(VALU_DEP_1)
	v_cmpx_ne_u32_e32 0, v7
	s_cbranch_execz .LBB1562_71
; %bb.70:
	s_wait_dscnt 0x1
	v_add_co_u32 v5, vcc_lo, v3, v1
	s_wait_alu 0xfffd
	v_add_co_ci_u32_e64 v2, null, 0, v4, vcc_lo
	s_delay_alu instid0(VALU_DEP_2) | instskip(SKIP_2) | instid1(VALU_DEP_2)
	v_add_co_u32 v1, vcc_lo, 0, v5
	s_wait_dscnt 0x0
	s_wait_alu 0xfffd
	v_add_co_ci_u32_e64 v2, null, v6, v2, vcc_lo
	s_delay_alu instid0(VALU_DEP_1)
	v_dual_mov_b32 v4, v2 :: v_dual_mov_b32 v3, v1
.LBB1562_71:
	s_wait_alu 0xfffe
	s_or_b32 exec_lo, exec_lo, s1
	s_wait_dscnt 0x0
	v_or_b32_e32 v6, 31, v0
	v_lshrrev_b32_e32 v1, 5, v0
	s_mov_b32 s1, exec_lo
	s_delay_alu instid0(VALU_DEP_2)
	v_cmpx_eq_u32_e64 v0, v6
; %bb.72:
	s_delay_alu instid0(VALU_DEP_2)
	v_lshlrev_b32_e32 v6, 3, v1
	ds_store_b64 v6, v[3:4]
; %bb.73:
	s_wait_alu 0xfffe
	s_or_b32 exec_lo, exec_lo, s1
	s_delay_alu instid0(SALU_CYCLE_1)
	s_mov_b32 s1, exec_lo
	s_wait_loadcnt_dscnt 0x0
	s_barrier_signal -1
	s_barrier_wait -1
	global_inv scope:SCOPE_SE
	v_cmpx_gt_u32_e32 8, v0
	s_cbranch_execz .LBB1562_81
; %bb.74:
	v_lshlrev_b32_e32 v6, 3, v0
	s_mov_b32 s3, exec_lo
	ds_load_b64 v[3:4], v6
	s_wait_dscnt 0x0
	v_dual_mov_b32 v8, v3 :: v_dual_and_b32 v7, 7, v63
	v_mov_b32_dpp v10, v3 row_shr:1 row_mask:0xf bank_mask:0xf
	v_mov_b32_dpp v9, v4 row_shr:1 row_mask:0xf bank_mask:0xf
	s_delay_alu instid0(VALU_DEP_3)
	v_cmpx_ne_u32_e32 0, v7
; %bb.75:
	s_delay_alu instid0(VALU_DEP_3) | instskip(SKIP_2) | instid1(VALU_DEP_2)
	v_add_co_u32 v8, vcc_lo, v3, v10
	s_wait_alu 0xfffd
	v_add_co_ci_u32_e64 v4, null, 0, v4, vcc_lo
	v_add_co_u32 v3, vcc_lo, 0, v8
	s_wait_alu 0xfffd
	s_delay_alu instid0(VALU_DEP_2)
	v_add_co_ci_u32_e64 v4, null, v9, v4, vcc_lo
; %bb.76:
	s_wait_alu 0xfffe
	s_or_b32 exec_lo, exec_lo, s3
	v_mov_b32_dpp v10, v8 row_shr:2 row_mask:0xf bank_mask:0xf
	s_delay_alu instid0(VALU_DEP_2)
	v_mov_b32_dpp v9, v4 row_shr:2 row_mask:0xf bank_mask:0xf
	s_mov_b32 s3, exec_lo
	v_cmpx_lt_u32_e32 1, v7
; %bb.77:
	s_delay_alu instid0(VALU_DEP_3) | instskip(SKIP_2) | instid1(VALU_DEP_2)
	v_add_co_u32 v8, vcc_lo, v3, v10
	s_wait_alu 0xfffd
	v_add_co_ci_u32_e64 v4, null, 0, v4, vcc_lo
	v_add_co_u32 v3, vcc_lo, 0, v8
	s_wait_alu 0xfffd
	s_delay_alu instid0(VALU_DEP_2)
	v_add_co_ci_u32_e64 v4, null, v9, v4, vcc_lo
; %bb.78:
	s_wait_alu 0xfffe
	s_or_b32 exec_lo, exec_lo, s3
	v_mov_b32_dpp v9, v8 row_shr:4 row_mask:0xf bank_mask:0xf
	s_delay_alu instid0(VALU_DEP_2)
	v_mov_b32_dpp v8, v4 row_shr:4 row_mask:0xf bank_mask:0xf
	s_mov_b32 s3, exec_lo
	v_cmpx_lt_u32_e32 3, v7
; %bb.79:
	s_delay_alu instid0(VALU_DEP_3) | instskip(SKIP_2) | instid1(VALU_DEP_2)
	v_add_co_u32 v3, vcc_lo, v3, v9
	s_wait_alu 0xfffd
	v_add_co_ci_u32_e64 v4, null, 0, v4, vcc_lo
	v_add_co_u32 v3, vcc_lo, v3, 0
	s_wait_alu 0xfffd
	s_delay_alu instid0(VALU_DEP_2)
	v_add_co_ci_u32_e64 v4, null, v4, v8, vcc_lo
; %bb.80:
	s_wait_alu 0xfffe
	s_or_b32 exec_lo, exec_lo, s3
	ds_store_b64 v6, v[3:4]
.LBB1562_81:
	s_wait_alu 0xfffe
	s_or_b32 exec_lo, exec_lo, s1
	s_delay_alu instid0(SALU_CYCLE_1)
	s_mov_b32 s3, exec_lo
	v_cmp_gt_u32_e32 vcc_lo, 32, v0
	s_wait_loadcnt_dscnt 0x0
	s_barrier_signal -1
	s_barrier_wait -1
	global_inv scope:SCOPE_SE
                                        ; implicit-def: $vgpr9_vgpr10
	v_cmpx_lt_u32_e32 31, v0
	s_cbranch_execz .LBB1562_83
; %bb.82:
	v_lshl_add_u32 v1, v1, 3, -8
	ds_load_b64 v[9:10], v1
	s_wait_dscnt 0x0
	v_add_co_u32 v5, s1, v5, v9
	s_wait_alu 0xf1ff
	v_add_co_ci_u32_e64 v2, null, v2, v10, s1
.LBB1562_83:
	s_wait_alu 0xfffe
	s_or_b32 exec_lo, exec_lo, s3
	v_sub_co_u32 v1, s1, v63, 1
	s_delay_alu instid0(VALU_DEP_1) | instskip(SKIP_1) | instid1(VALU_DEP_1)
	v_cmp_gt_i32_e64 s3, 0, v1
	s_wait_alu 0xf1ff
	v_cndmask_b32_e64 v1, v1, v63, s3
	s_delay_alu instid0(VALU_DEP_1)
	v_lshlrev_b32_e32 v1, 2, v1
	ds_bpermute_b32 v15, v1, v5
	ds_bpermute_b32 v16, v1, v2
	s_and_saveexec_b32 s3, vcc_lo
	s_cbranch_execz .LBB1562_122
; %bb.84:
	v_mov_b32_e32 v4, 0
	ds_load_b64 v[1:2], v4 offset:56
	s_and_saveexec_b32 s6, s1
	s_cbranch_execz .LBB1562_86
; %bb.85:
	s_add_co_i32 s8, s20, 32
	s_mov_b32 s9, 0
	s_wait_alu 0xfffe
	s_lshl_b64 s[8:9], s[8:9], 4
	s_wait_alu 0xfffe
	s_add_nc_u64 s[8:9], s[14:15], s[8:9]
	v_mov_b32_e32 v3, 1
	s_wait_alu 0xfffe
	v_dual_mov_b32 v5, s8 :: v_dual_mov_b32 v6, s9
	s_wait_dscnt 0x0
	;;#ASMSTART
	global_store_b128 v[5:6], v[1:4] off scope:SCOPE_DEV	
s_wait_storecnt 0x0
	;;#ASMEND
.LBB1562_86:
	s_or_b32 exec_lo, exec_lo, s6
	v_xad_u32 v11, v63, -1, s20
	s_mov_b32 s7, 0
	s_mov_b32 s6, exec_lo
	s_delay_alu instid0(VALU_DEP_1) | instskip(NEXT) | instid1(VALU_DEP_1)
	v_add_nc_u32_e32 v3, 32, v11
	v_lshlrev_b64_e32 v[3:4], 4, v[3:4]
	s_delay_alu instid0(VALU_DEP_1) | instskip(SKIP_1) | instid1(VALU_DEP_2)
	v_add_co_u32 v3, vcc_lo, s14, v3
	s_wait_alu 0xfffd
	v_add_co_ci_u32_e64 v4, null, s15, v4, vcc_lo
	;;#ASMSTART
	global_load_b128 v[5:8], v[3:4] off scope:SCOPE_DEV	
s_wait_loadcnt 0x0
	;;#ASMEND
	v_and_b32_e32 v8, 0xff, v7
	s_delay_alu instid0(VALU_DEP_1)
	v_cmpx_eq_u16_e32 0, v8
	s_cbranch_execz .LBB1562_89
.LBB1562_87:                            ; =>This Inner Loop Header: Depth=1
	;;#ASMSTART
	global_load_b128 v[5:8], v[3:4] off scope:SCOPE_DEV	
s_wait_loadcnt 0x0
	;;#ASMEND
	v_and_b32_e32 v8, 0xff, v7
	s_delay_alu instid0(VALU_DEP_1) | instskip(SKIP_1) | instid1(SALU_CYCLE_1)
	v_cmp_ne_u16_e32 vcc_lo, 0, v8
	s_or_b32 s7, vcc_lo, s7
	s_and_not1_b32 exec_lo, exec_lo, s7
	s_cbranch_execnz .LBB1562_87
; %bb.88:
	s_or_b32 exec_lo, exec_lo, s7
.LBB1562_89:
	s_delay_alu instid0(SALU_CYCLE_1)
	s_or_b32 exec_lo, exec_lo, s6
	v_cmp_ne_u32_e32 vcc_lo, 31, v63
	v_and_b32_e32 v4, 0xff, v7
	v_lshlrev_b32_e64 v18, v63, -1
	s_mov_b32 s6, exec_lo
	s_wait_alu 0xfffd
	v_add_co_ci_u32_e64 v3, null, 0, v63, vcc_lo
	v_cmp_eq_u16_e32 vcc_lo, 2, v4
	s_delay_alu instid0(VALU_DEP_2)
	v_dual_mov_b32 v4, v5 :: v_dual_lshlrev_b32 v17, 2, v3
	s_wait_alu 0xfffd
	v_and_or_b32 v3, vcc_lo, v18, 0x80000000
	ds_bpermute_b32 v12, v17, v5
	ds_bpermute_b32 v8, v17, v6
	v_ctz_i32_b32_e32 v3, v3
	s_delay_alu instid0(VALU_DEP_1)
	v_cmpx_lt_u32_e64 v63, v3
	s_cbranch_execz .LBB1562_91
; %bb.90:
	s_wait_dscnt 0x1
	v_add_co_u32 v4, vcc_lo, v5, v12
	s_wait_alu 0xfffd
	v_add_co_ci_u32_e64 v6, null, 0, v6, vcc_lo
	s_delay_alu instid0(VALU_DEP_2) | instskip(SKIP_2) | instid1(VALU_DEP_2)
	v_add_co_u32 v5, vcc_lo, 0, v4
	s_wait_dscnt 0x0
	s_wait_alu 0xfffd
	v_add_co_ci_u32_e64 v6, null, v8, v6, vcc_lo
.LBB1562_91:
	s_or_b32 exec_lo, exec_lo, s6
	v_cmp_gt_u32_e32 vcc_lo, 30, v63
	v_add_nc_u32_e32 v20, 2, v63
	s_mov_b32 s6, exec_lo
	s_wait_dscnt 0x0
	s_wait_alu 0xfffd
	v_cndmask_b32_e64 v8, 0, 2, vcc_lo
	s_delay_alu instid0(VALU_DEP_1)
	v_add_lshl_u32 v19, v8, v63, 2
	ds_bpermute_b32 v12, v19, v4
	ds_bpermute_b32 v8, v19, v6
	v_cmpx_le_u32_e64 v20, v3
	s_cbranch_execz .LBB1562_93
; %bb.92:
	s_wait_dscnt 0x1
	v_add_co_u32 v4, vcc_lo, v5, v12
	s_wait_alu 0xfffd
	v_add_co_ci_u32_e64 v6, null, 0, v6, vcc_lo
	s_delay_alu instid0(VALU_DEP_2) | instskip(SKIP_2) | instid1(VALU_DEP_2)
	v_add_co_u32 v5, vcc_lo, 0, v4
	s_wait_dscnt 0x0
	s_wait_alu 0xfffd
	v_add_co_ci_u32_e64 v6, null, v8, v6, vcc_lo
.LBB1562_93:
	s_or_b32 exec_lo, exec_lo, s6
	v_cmp_gt_u32_e32 vcc_lo, 28, v63
	v_add_nc_u32_e32 v22, 4, v63
	s_mov_b32 s6, exec_lo
	s_wait_dscnt 0x0
	s_wait_alu 0xfffd
	v_cndmask_b32_e64 v8, 0, 4, vcc_lo
	s_delay_alu instid0(VALU_DEP_1)
	v_add_lshl_u32 v21, v8, v63, 2
	ds_bpermute_b32 v12, v21, v4
	ds_bpermute_b32 v8, v21, v6
	v_cmpx_le_u32_e64 v22, v3
	;; [unrolled: 24-line block ×3, first 2 shown]
	s_cbranch_execz .LBB1562_97
; %bb.96:
	s_wait_dscnt 0x1
	v_add_co_u32 v4, vcc_lo, v5, v12
	s_wait_alu 0xfffd
	v_add_co_ci_u32_e64 v6, null, 0, v6, vcc_lo
	s_delay_alu instid0(VALU_DEP_2) | instskip(SKIP_2) | instid1(VALU_DEP_2)
	v_add_co_u32 v5, vcc_lo, 0, v4
	s_wait_dscnt 0x0
	s_wait_alu 0xfffd
	v_add_co_ci_u32_e64 v6, null, v8, v6, vcc_lo
.LBB1562_97:
	s_or_b32 exec_lo, exec_lo, s6
	v_lshl_or_b32 v25, v63, 2, 64
	v_add_nc_u32_e32 v26, 16, v63
	s_mov_b32 s6, exec_lo
	s_wait_dscnt 0x0
	ds_bpermute_b32 v8, v25, v4
	ds_bpermute_b32 v4, v25, v6
	v_cmpx_le_u32_e64 v26, v3
	s_cbranch_execz .LBB1562_99
; %bb.98:
	s_wait_dscnt 0x1
	v_add_co_u32 v3, vcc_lo, v5, v8
	s_wait_alu 0xfffd
	v_add_co_ci_u32_e64 v6, null, 0, v6, vcc_lo
	s_delay_alu instid0(VALU_DEP_2) | instskip(SKIP_2) | instid1(VALU_DEP_2)
	v_add_co_u32 v5, vcc_lo, v3, 0
	s_wait_dscnt 0x0
	s_wait_alu 0xfffd
	v_add_co_ci_u32_e64 v6, null, v6, v4, vcc_lo
.LBB1562_99:
	s_or_b32 exec_lo, exec_lo, s6
	v_mov_b32_e32 v12, 0
	s_branch .LBB1562_102
.LBB1562_100:                           ;   in Loop: Header=BB1562_102 Depth=1
	s_or_b32 exec_lo, exec_lo, s6
	v_add_co_u32 v5, vcc_lo, v5, v3
	v_subrev_nc_u32_e32 v11, 32, v11
	s_wait_alu 0xfffd
	v_add_co_ci_u32_e64 v6, null, v6, v4, vcc_lo
	s_mov_b32 s6, 0
.LBB1562_101:                           ;   in Loop: Header=BB1562_102 Depth=1
	s_delay_alu instid0(SALU_CYCLE_1)
	s_and_b32 vcc_lo, exec_lo, s6
	s_wait_alu 0xfffe
	s_cbranch_vccnz .LBB1562_118
.LBB1562_102:                           ; =>This Loop Header: Depth=1
                                        ;     Child Loop BB1562_105 Depth 2
	v_and_b32_e32 v3, 0xff, v7
	s_mov_b32 s6, -1
	s_delay_alu instid0(VALU_DEP_1)
	v_cmp_ne_u16_e32 vcc_lo, 2, v3
	s_wait_dscnt 0x0
	v_dual_mov_b32 v3, v5 :: v_dual_mov_b32 v4, v6
                                        ; implicit-def: $vgpr5_vgpr6
	s_cmp_lg_u32 vcc_lo, exec_lo
	s_cbranch_scc1 .LBB1562_101
; %bb.103:                              ;   in Loop: Header=BB1562_102 Depth=1
	v_lshlrev_b64_e32 v[5:6], 4, v[11:12]
	s_mov_b32 s6, exec_lo
	s_delay_alu instid0(VALU_DEP_1) | instskip(SKIP_1) | instid1(VALU_DEP_2)
	v_add_co_u32 v13, vcc_lo, s14, v5
	s_wait_alu 0xfffd
	v_add_co_ci_u32_e64 v14, null, s15, v6, vcc_lo
	;;#ASMSTART
	global_load_b128 v[5:8], v[13:14] off scope:SCOPE_DEV	
s_wait_loadcnt 0x0
	;;#ASMEND
	v_and_b32_e32 v8, 0xff, v7
	s_delay_alu instid0(VALU_DEP_1)
	v_cmpx_eq_u16_e32 0, v8
	s_cbranch_execz .LBB1562_107
; %bb.104:                              ;   in Loop: Header=BB1562_102 Depth=1
	s_mov_b32 s7, 0
.LBB1562_105:                           ;   Parent Loop BB1562_102 Depth=1
                                        ; =>  This Inner Loop Header: Depth=2
	;;#ASMSTART
	global_load_b128 v[5:8], v[13:14] off scope:SCOPE_DEV	
s_wait_loadcnt 0x0
	;;#ASMEND
	v_and_b32_e32 v8, 0xff, v7
	s_delay_alu instid0(VALU_DEP_1) | instskip(SKIP_1) | instid1(SALU_CYCLE_1)
	v_cmp_ne_u16_e32 vcc_lo, 0, v8
	s_or_b32 s7, vcc_lo, s7
	s_and_not1_b32 exec_lo, exec_lo, s7
	s_cbranch_execnz .LBB1562_105
; %bb.106:                              ;   in Loop: Header=BB1562_102 Depth=1
	s_or_b32 exec_lo, exec_lo, s7
.LBB1562_107:                           ;   in Loop: Header=BB1562_102 Depth=1
	s_delay_alu instid0(SALU_CYCLE_1)
	s_or_b32 exec_lo, exec_lo, s6
	v_dual_mov_b32 v13, v5 :: v_dual_and_b32 v8, 0xff, v7
	ds_bpermute_b32 v27, v17, v5
	ds_bpermute_b32 v14, v17, v6
	s_mov_b32 s6, exec_lo
	v_cmp_eq_u16_e32 vcc_lo, 2, v8
	s_wait_alu 0xfffd
	v_and_or_b32 v8, vcc_lo, v18, 0x80000000
	s_delay_alu instid0(VALU_DEP_1) | instskip(NEXT) | instid1(VALU_DEP_1)
	v_ctz_i32_b32_e32 v8, v8
	v_cmpx_lt_u32_e64 v63, v8
	s_cbranch_execz .LBB1562_109
; %bb.108:                              ;   in Loop: Header=BB1562_102 Depth=1
	s_wait_dscnt 0x1
	v_add_co_u32 v13, vcc_lo, v5, v27
	s_wait_alu 0xfffd
	v_add_co_ci_u32_e64 v6, null, 0, v6, vcc_lo
	s_delay_alu instid0(VALU_DEP_2) | instskip(SKIP_2) | instid1(VALU_DEP_2)
	v_add_co_u32 v5, vcc_lo, 0, v13
	s_wait_dscnt 0x0
	s_wait_alu 0xfffd
	v_add_co_ci_u32_e64 v6, null, v14, v6, vcc_lo
.LBB1562_109:                           ;   in Loop: Header=BB1562_102 Depth=1
	s_or_b32 exec_lo, exec_lo, s6
	s_wait_dscnt 0x1
	ds_bpermute_b32 v27, v19, v13
	s_wait_dscnt 0x1
	ds_bpermute_b32 v14, v19, v6
	s_mov_b32 s6, exec_lo
	v_cmpx_le_u32_e64 v20, v8
	s_cbranch_execz .LBB1562_111
; %bb.110:                              ;   in Loop: Header=BB1562_102 Depth=1
	s_wait_dscnt 0x1
	v_add_co_u32 v13, vcc_lo, v5, v27
	s_wait_alu 0xfffd
	v_add_co_ci_u32_e64 v6, null, 0, v6, vcc_lo
	s_delay_alu instid0(VALU_DEP_2) | instskip(SKIP_2) | instid1(VALU_DEP_2)
	v_add_co_u32 v5, vcc_lo, 0, v13
	s_wait_dscnt 0x0
	s_wait_alu 0xfffd
	v_add_co_ci_u32_e64 v6, null, v14, v6, vcc_lo
.LBB1562_111:                           ;   in Loop: Header=BB1562_102 Depth=1
	s_or_b32 exec_lo, exec_lo, s6
	s_wait_dscnt 0x1
	ds_bpermute_b32 v27, v21, v13
	s_wait_dscnt 0x1
	ds_bpermute_b32 v14, v21, v6
	s_mov_b32 s6, exec_lo
	v_cmpx_le_u32_e64 v22, v8
	;; [unrolled: 19-line block ×3, first 2 shown]
	s_cbranch_execz .LBB1562_115
; %bb.114:                              ;   in Loop: Header=BB1562_102 Depth=1
	s_wait_dscnt 0x1
	v_add_co_u32 v13, vcc_lo, v5, v27
	s_wait_alu 0xfffd
	v_add_co_ci_u32_e64 v6, null, 0, v6, vcc_lo
	s_delay_alu instid0(VALU_DEP_2) | instskip(SKIP_2) | instid1(VALU_DEP_2)
	v_add_co_u32 v5, vcc_lo, 0, v13
	s_wait_dscnt 0x0
	s_wait_alu 0xfffd
	v_add_co_ci_u32_e64 v6, null, v14, v6, vcc_lo
.LBB1562_115:                           ;   in Loop: Header=BB1562_102 Depth=1
	s_or_b32 exec_lo, exec_lo, s6
	s_wait_dscnt 0x0
	ds_bpermute_b32 v14, v25, v13
	ds_bpermute_b32 v13, v25, v6
	s_mov_b32 s6, exec_lo
	v_cmpx_le_u32_e64 v26, v8
	s_cbranch_execz .LBB1562_100
; %bb.116:                              ;   in Loop: Header=BB1562_102 Depth=1
	s_wait_dscnt 0x1
	v_add_co_u32 v5, vcc_lo, v5, v14
	s_wait_alu 0xfffd
	v_add_co_ci_u32_e64 v6, null, 0, v6, vcc_lo
	s_delay_alu instid0(VALU_DEP_2) | instskip(SKIP_2) | instid1(VALU_DEP_2)
	v_add_co_u32 v5, vcc_lo, v5, 0
	s_wait_dscnt 0x0
	s_wait_alu 0xfffd
	v_add_co_ci_u32_e64 v6, null, v6, v13, vcc_lo
	s_branch .LBB1562_100
.LBB1562_117:
                                        ; implicit-def: $vgpr39_vgpr40
                                        ; implicit-def: $vgpr1_vgpr2_vgpr3_vgpr4_vgpr5_vgpr6_vgpr7_vgpr8_vgpr9_vgpr10_vgpr11_vgpr12_vgpr13_vgpr14_vgpr15_vgpr16_vgpr17_vgpr18_vgpr19_vgpr20_vgpr21_vgpr22_vgpr23_vgpr24_vgpr25_vgpr26_vgpr27_vgpr28_vgpr29_vgpr30_vgpr31_vgpr32
	s_wait_alu 0xfffe
	s_and_b32 vcc_lo, exec_lo, s1
	s_wait_alu 0xfffe
	s_cbranch_vccnz .LBB1562_123
	s_branch .LBB1562_148
.LBB1562_118:
	s_and_saveexec_b32 s6, s1
	s_cbranch_execz .LBB1562_120
; %bb.119:
	s_add_co_i32 s8, s20, 32
	s_mov_b32 s9, 0
	v_add_co_u32 v5, vcc_lo, v3, v1
	s_wait_alu 0xfffe
	s_lshl_b64 s[8:9], s[8:9], 4
	v_dual_mov_b32 v7, 2 :: v_dual_mov_b32 v8, 0
	s_wait_alu 0xfffe
	s_add_nc_u64 s[8:9], s[14:15], s[8:9]
	s_wait_alu 0xfffd
	v_add_co_ci_u32_e64 v6, null, v4, v2, vcc_lo
	s_wait_alu 0xfffe
	v_dual_mov_b32 v12, s9 :: v_dual_mov_b32 v11, s8
	;;#ASMSTART
	global_store_b128 v[11:12], v[5:8] off scope:SCOPE_DEV	
s_wait_storecnt 0x0
	;;#ASMEND
	ds_store_b128 v8, v[1:4] offset:6144
.LBB1562_120:
	s_or_b32 exec_lo, exec_lo, s6
	s_delay_alu instid0(SALU_CYCLE_1)
	s_and_b32 exec_lo, exec_lo, s2
; %bb.121:
	v_mov_b32_e32 v1, 0
	ds_store_b64 v1, v[3:4] offset:56
.LBB1562_122:
	s_wait_alu 0xfffe
	s_or_b32 exec_lo, exec_lo, s3
	v_mov_b32_e32 v17, 0
	s_wait_loadcnt_dscnt 0x0
	s_barrier_signal -1
	s_barrier_wait -1
	global_inv scope:SCOPE_SE
	ds_load_b64 v[1:2], v17 offset:56
	v_cndmask_b32_e64 v3, v15, v9, s1
	v_cndmask_b32_e64 v4, v16, v10, s1
	s_wait_loadcnt_dscnt 0x0
	s_barrier_signal -1
	s_barrier_wait -1
	v_cndmask_b32_e64 v3, v3, 0, s2
	v_cndmask_b32_e64 v4, v4, 0, s2
	global_inv scope:SCOPE_SE
	ds_load_b128 v[37:40], v17 offset:6144
	v_add_co_u32 v1, vcc_lo, v1, v3
	s_wait_alu 0xfffd
	v_add_co_ci_u32_e64 v2, null, v2, v4, vcc_lo
	s_delay_alu instid0(VALU_DEP_2) | instskip(SKIP_1) | instid1(VALU_DEP_2)
	v_add_co_u32 v3, vcc_lo, v1, v55
	s_wait_alu 0xfffd
	v_add_co_ci_u32_e64 v4, null, 0, v2, vcc_lo
	s_delay_alu instid0(VALU_DEP_2) | instskip(SKIP_1) | instid1(VALU_DEP_2)
	;; [unrolled: 4-line block ×11, first 2 shown]
	v_add_co_u32 v23, vcc_lo, v21, v57
	s_wait_alu 0xfffd
	v_add_co_ci_u32_e64 v24, null, 0, v22, vcc_lo
	s_branch .LBB1562_148
.LBB1562_123:
	v_dual_mov_b32 v2, 0 :: v_dual_mov_b32 v3, v47
	v_mov_b32_dpp v4, v47 row_shr:1 row_mask:0xf bank_mask:0xf
	s_delay_alu instid0(VALU_DEP_2)
	v_mov_b32_dpp v1, v2 row_shr:1 row_mask:0xf bank_mask:0xf
	s_and_saveexec_b32 s1, s0
; %bb.124:
	s_delay_alu instid0(VALU_DEP_2) | instskip(SKIP_2) | instid1(VALU_DEP_2)
	v_add_co_u32 v3, vcc_lo, v47, v4
	s_wait_alu 0xfffd
	v_add_co_ci_u32_e64 v2, null, 0, v48, vcc_lo
	v_add_co_u32 v47, vcc_lo, 0, v3
	s_wait_alu 0xfffd
	s_delay_alu instid0(VALU_DEP_2) | instskip(NEXT) | instid1(VALU_DEP_1)
	v_add_co_ci_u32_e64 v48, null, v1, v2, vcc_lo
	v_mov_b32_e32 v2, v48
; %bb.125:
	s_wait_alu 0xfffe
	s_or_b32 exec_lo, exec_lo, s1
	v_mov_b32_dpp v1, v3 row_shr:2 row_mask:0xf bank_mask:0xf
	s_delay_alu instid0(VALU_DEP_2)
	v_mov_b32_dpp v4, v2 row_shr:2 row_mask:0xf bank_mask:0xf
	s_mov_b32 s0, exec_lo
	v_cmpx_lt_u32_e32 1, v64
; %bb.126:
	s_delay_alu instid0(VALU_DEP_3) | instskip(SKIP_2) | instid1(VALU_DEP_2)
	v_add_co_u32 v3, vcc_lo, v47, v1
	s_wait_alu 0xfffd
	v_add_co_ci_u32_e64 v2, null, 0, v48, vcc_lo
	v_add_co_u32 v1, vcc_lo, 0, v3
	s_wait_alu 0xfffd
	s_delay_alu instid0(VALU_DEP_2) | instskip(NEXT) | instid1(VALU_DEP_1)
	v_add_co_ci_u32_e64 v2, null, v4, v2, vcc_lo
	v_dual_mov_b32 v48, v2 :: v_dual_mov_b32 v47, v1
; %bb.127:
	s_wait_alu 0xfffe
	s_or_b32 exec_lo, exec_lo, s0
	v_mov_b32_dpp v1, v3 row_shr:4 row_mask:0xf bank_mask:0xf
	v_mov_b32_dpp v4, v2 row_shr:4 row_mask:0xf bank_mask:0xf
	s_mov_b32 s0, exec_lo
	v_cmpx_lt_u32_e32 3, v64
; %bb.128:
	s_delay_alu instid0(VALU_DEP_3) | instskip(SKIP_2) | instid1(VALU_DEP_2)
	v_add_co_u32 v3, vcc_lo, v47, v1
	s_wait_alu 0xfffd
	v_add_co_ci_u32_e64 v2, null, 0, v48, vcc_lo
	v_add_co_u32 v1, vcc_lo, 0, v3
	s_wait_alu 0xfffd
	s_delay_alu instid0(VALU_DEP_2) | instskip(NEXT) | instid1(VALU_DEP_1)
	v_add_co_ci_u32_e64 v2, null, v4, v2, vcc_lo
	v_dual_mov_b32 v48, v2 :: v_dual_mov_b32 v47, v1
; %bb.129:
	s_wait_alu 0xfffe
	s_or_b32 exec_lo, exec_lo, s0
	v_mov_b32_dpp v4, v3 row_shr:8 row_mask:0xf bank_mask:0xf
	v_mov_b32_dpp v1, v2 row_shr:8 row_mask:0xf bank_mask:0xf
	s_mov_b32 s0, exec_lo
	v_cmpx_lt_u32_e32 7, v64
; %bb.130:
	s_delay_alu instid0(VALU_DEP_3) | instskip(SKIP_2) | instid1(VALU_DEP_2)
	v_add_co_u32 v3, vcc_lo, v47, v4
	s_wait_alu 0xfffd
	v_add_co_ci_u32_e64 v2, null, 0, v48, vcc_lo
	v_add_co_u32 v47, vcc_lo, 0, v3
	s_wait_alu 0xfffd
	s_delay_alu instid0(VALU_DEP_2) | instskip(NEXT) | instid1(VALU_DEP_1)
	v_add_co_ci_u32_e64 v48, null, v1, v2, vcc_lo
	v_mov_b32_e32 v2, v48
; %bb.131:
	s_wait_alu 0xfffe
	s_or_b32 exec_lo, exec_lo, s0
	ds_swizzle_b32 v3, v3 offset:swizzle(BROADCAST,32,15)
	ds_swizzle_b32 v1, v2 offset:swizzle(BROADCAST,32,15)
	v_and_b32_e32 v2, 16, v63
	s_mov_b32 s0, exec_lo
	s_delay_alu instid0(VALU_DEP_1)
	v_cmpx_ne_u32_e32 0, v2
	s_cbranch_execz .LBB1562_133
; %bb.132:
	s_wait_dscnt 0x1
	v_add_co_u32 v2, vcc_lo, v47, v3
	s_wait_alu 0xfffd
	v_add_co_ci_u32_e64 v3, null, 0, v48, vcc_lo
	s_delay_alu instid0(VALU_DEP_2) | instskip(SKIP_2) | instid1(VALU_DEP_2)
	v_add_co_u32 v47, vcc_lo, v2, 0
	s_wait_dscnt 0x0
	s_wait_alu 0xfffd
	v_add_co_ci_u32_e64 v48, null, v3, v1, vcc_lo
.LBB1562_133:
	s_wait_alu 0xfffe
	s_or_b32 exec_lo, exec_lo, s0
	s_wait_dscnt 0x0
	v_or_b32_e32 v1, 31, v0
	v_lshrrev_b32_e32 v3, 5, v0
	s_mov_b32 s0, exec_lo
	s_delay_alu instid0(VALU_DEP_2)
	v_cmpx_eq_u32_e64 v0, v1
; %bb.134:
	s_delay_alu instid0(VALU_DEP_2)
	v_lshlrev_b32_e32 v1, 3, v3
	ds_store_b64 v1, v[47:48]
; %bb.135:
	s_wait_alu 0xfffe
	s_or_b32 exec_lo, exec_lo, s0
	s_delay_alu instid0(SALU_CYCLE_1)
	s_mov_b32 s0, exec_lo
	s_wait_loadcnt_dscnt 0x0
	s_barrier_signal -1
	s_barrier_wait -1
	global_inv scope:SCOPE_SE
	v_cmpx_gt_u32_e32 8, v0
	s_cbranch_execz .LBB1562_143
; %bb.136:
	v_lshlrev_b32_e32 v4, 2, v0
	s_mov_b32 s1, exec_lo
	s_delay_alu instid0(VALU_DEP_1)
	v_sub_nc_u32_e32 v1, v53, v4
	ds_load_b64 v[1:2], v1
	s_wait_dscnt 0x0
	v_dual_mov_b32 v6, v1 :: v_dual_and_b32 v5, 7, v63
	v_mov_b32_dpp v8, v1 row_shr:1 row_mask:0xf bank_mask:0xf
	v_mov_b32_dpp v7, v2 row_shr:1 row_mask:0xf bank_mask:0xf
	s_delay_alu instid0(VALU_DEP_3)
	v_cmpx_ne_u32_e32 0, v5
; %bb.137:
	s_delay_alu instid0(VALU_DEP_3) | instskip(SKIP_2) | instid1(VALU_DEP_2)
	v_add_co_u32 v6, vcc_lo, v1, v8
	s_wait_alu 0xfffd
	v_add_co_ci_u32_e64 v2, null, 0, v2, vcc_lo
	v_add_co_u32 v1, vcc_lo, 0, v6
	s_wait_alu 0xfffd
	s_delay_alu instid0(VALU_DEP_2)
	v_add_co_ci_u32_e64 v2, null, v7, v2, vcc_lo
; %bb.138:
	s_wait_alu 0xfffe
	s_or_b32 exec_lo, exec_lo, s1
	v_mov_b32_dpp v8, v6 row_shr:2 row_mask:0xf bank_mask:0xf
	s_delay_alu instid0(VALU_DEP_2)
	v_mov_b32_dpp v7, v2 row_shr:2 row_mask:0xf bank_mask:0xf
	s_mov_b32 s1, exec_lo
	v_cmpx_lt_u32_e32 1, v5
; %bb.139:
	s_delay_alu instid0(VALU_DEP_3) | instskip(SKIP_2) | instid1(VALU_DEP_2)
	v_add_co_u32 v6, vcc_lo, v1, v8
	s_wait_alu 0xfffd
	v_add_co_ci_u32_e64 v2, null, 0, v2, vcc_lo
	v_add_co_u32 v1, vcc_lo, 0, v6
	s_wait_alu 0xfffd
	s_delay_alu instid0(VALU_DEP_2)
	v_add_co_ci_u32_e64 v2, null, v7, v2, vcc_lo
; %bb.140:
	s_wait_alu 0xfffe
	s_or_b32 exec_lo, exec_lo, s1
	v_sub_nc_u32_e32 v4, 0, v4
	v_mov_b32_dpp v7, v6 row_shr:4 row_mask:0xf bank_mask:0xf
	v_mov_b32_dpp v6, v2 row_shr:4 row_mask:0xf bank_mask:0xf
	s_mov_b32 s1, exec_lo
	v_cmpx_lt_u32_e32 3, v5
; %bb.141:
	s_delay_alu instid0(VALU_DEP_3) | instskip(SKIP_2) | instid1(VALU_DEP_2)
	v_add_co_u32 v1, vcc_lo, v1, v7
	s_wait_alu 0xfffd
	v_add_co_ci_u32_e64 v2, null, 0, v2, vcc_lo
	v_add_co_u32 v1, vcc_lo, v1, 0
	s_wait_alu 0xfffd
	s_delay_alu instid0(VALU_DEP_2)
	v_add_co_ci_u32_e64 v2, null, v2, v6, vcc_lo
; %bb.142:
	s_wait_alu 0xfffe
	s_or_b32 exec_lo, exec_lo, s1
	v_add_nc_u32_e32 v4, v53, v4
	ds_store_b64 v4, v[1:2]
.LBB1562_143:
	s_wait_alu 0xfffe
	s_or_b32 exec_lo, exec_lo, s0
	v_mov_b32_e32 v1, 0
	v_mov_b32_e32 v2, 0
	s_mov_b32 s0, exec_lo
	s_wait_loadcnt_dscnt 0x0
	s_barrier_signal -1
	s_barrier_wait -1
	global_inv scope:SCOPE_SE
	v_cmpx_lt_u32_e32 31, v0
; %bb.144:
	v_lshl_add_u32 v1, v3, 3, -8
	ds_load_b64 v[1:2], v1
; %bb.145:
	s_wait_alu 0xfffe
	s_or_b32 exec_lo, exec_lo, s0
	v_sub_co_u32 v3, vcc_lo, v63, 1
	v_mov_b32_e32 v40, 0
	s_delay_alu instid0(VALU_DEP_2) | instskip(SKIP_3) | instid1(VALU_DEP_1)
	v_cmp_gt_i32_e64 s0, 0, v3
	ds_load_b64 v[37:38], v40 offset:56
	s_wait_alu 0xf1ff
	v_cndmask_b32_e64 v3, v3, v63, s0
	v_lshlrev_b32_e32 v4, 2, v3
	s_wait_dscnt 0x1
	v_add_co_u32 v3, s0, v1, v47
	s_wait_alu 0xf1ff
	v_add_co_ci_u32_e64 v5, null, v2, v48, s0
	ds_bpermute_b32 v3, v4, v3
	ds_bpermute_b32 v4, v4, v5
	s_and_saveexec_b32 s0, s2
	s_cbranch_execz .LBB1562_147
; %bb.146:
	s_add_nc_u64 s[6:7], s[14:15], 0x200
	v_mov_b32_e32 v39, 2
	v_dual_mov_b32 v5, s6 :: v_dual_mov_b32 v6, s7
	s_wait_dscnt 0x2
	;;#ASMSTART
	global_store_b128 v[5:6], v[37:40] off scope:SCOPE_DEV	
s_wait_storecnt 0x0
	;;#ASMEND
.LBB1562_147:
	s_wait_alu 0xfffe
	s_or_b32 exec_lo, exec_lo, s0
	s_wait_dscnt 0x0
	s_wait_alu 0xfffd
	v_dual_cndmask_b32 v1, v3, v1 :: v_dual_cndmask_b32 v2, v4, v2
	v_mov_b32_e32 v39, 0
	v_mov_b32_e32 v40, 0
	s_wait_loadcnt 0x0
	s_delay_alu instid0(VALU_DEP_3)
	v_cndmask_b32_e64 v1, v1, 0, s2
	v_cndmask_b32_e64 v2, v2, 0, s2
	s_barrier_signal -1
	s_barrier_wait -1
	global_inv scope:SCOPE_SE
	v_add_co_u32 v3, vcc_lo, v1, v55
	s_wait_alu 0xfffd
	v_add_co_ci_u32_e64 v4, null, 0, v2, vcc_lo
	s_delay_alu instid0(VALU_DEP_2) | instskip(SKIP_1) | instid1(VALU_DEP_2)
	v_add_co_u32 v5, vcc_lo, v3, v56
	s_wait_alu 0xfffd
	v_add_co_ci_u32_e64 v6, null, 0, v4, vcc_lo
	s_delay_alu instid0(VALU_DEP_2) | instskip(SKIP_1) | instid1(VALU_DEP_2)
	;; [unrolled: 4-line block ×10, first 2 shown]
	v_add_co_u32 v23, vcc_lo, v21, v57
	s_wait_alu 0xfffd
	v_add_co_ci_u32_e64 v24, null, 0, v22, vcc_lo
.LBB1562_148:
	v_lshrrev_b32_e32 v58, 8, v45
	v_lshrrev_b32_e32 v56, 16, v45
	v_and_b32_e32 v45, 1, v45
	s_wait_dscnt 0x0
	v_cmp_gt_u64_e32 vcc_lo, 0x101, v[37:38]
	v_lshlrev_b64_e32 v[25:26], 1, v[41:42]
	v_lshrrev_b32_e32 v53, 8, v46
	v_lshrrev_b32_e32 v48, 16, v46
	;; [unrolled: 1-line block ×10, first 2 shown]
	v_cmp_eq_u32_e64 s0, 1, v45
	s_mov_b32 s1, -1
	s_cbranch_vccnz .LBB1562_152
; %bb.149:
	s_wait_alu 0xfffe
	s_and_b32 vcc_lo, exec_lo, s1
	s_wait_alu 0xfffe
	s_cbranch_vccnz .LBB1562_177
.LBB1562_150:
	s_and_b32 s0, s2, s18
	s_wait_alu 0xfffe
	s_and_saveexec_b32 s1, s0
	s_cbranch_execnz .LBB1562_204
.LBB1562_151:
	s_endpgm
.LBB1562_152:
	v_add_co_u32 v27, vcc_lo, v39, v37
	s_wait_alu 0xfffd
	v_add_co_ci_u32_e64 v28, null, v40, v38, vcc_lo
	v_add_co_u32 v59, s1, s12, v25
	s_wait_alu 0xf1fe
	v_add_co_ci_u32_e64 v60, null, s13, v26, s1
	s_delay_alu instid0(VALU_DEP_3)
	v_cmp_lt_u64_e32 vcc_lo, v[1:2], v[27:28]
	s_or_b32 s1, s19, vcc_lo
	s_wait_alu 0xfffe
	s_and_b32 s1, s1, s0
	s_wait_alu 0xfffe
	s_and_saveexec_b32 s0, s1
	s_cbranch_execz .LBB1562_154
; %bb.153:
	v_lshlrev_b64_e32 v[61:62], 1, v[1:2]
	s_delay_alu instid0(VALU_DEP_1) | instskip(SKIP_1) | instid1(VALU_DEP_2)
	v_add_co_u32 v61, vcc_lo, v59, v61
	s_wait_alu 0xfffd
	v_add_co_ci_u32_e64 v62, null, v60, v62, vcc_lo
	global_store_b16 v[61:62], v33, off
.LBB1562_154:
	s_wait_alu 0xfffe
	s_or_b32 exec_lo, exec_lo, s0
	v_and_b32_e32 v2, 1, v58
	v_cmp_lt_u64_e32 vcc_lo, v[3:4], v[27:28]
	s_delay_alu instid0(VALU_DEP_2)
	v_cmp_eq_u32_e64 s0, 1, v2
	s_or_b32 s1, s19, vcc_lo
	s_wait_alu 0xfffe
	s_and_b32 s1, s1, s0
	s_wait_alu 0xfffe
	s_and_saveexec_b32 s0, s1
	s_cbranch_execz .LBB1562_156
; %bb.155:
	v_lshlrev_b64_e32 v[61:62], 1, v[3:4]
	s_delay_alu instid0(VALU_DEP_1) | instskip(SKIP_1) | instid1(VALU_DEP_2)
	v_add_co_u32 v61, vcc_lo, v59, v61
	s_wait_alu 0xfffd
	v_add_co_ci_u32_e64 v62, null, v60, v62, vcc_lo
	global_store_b16 v[61:62], v57, off
.LBB1562_156:
	s_wait_alu 0xfffe
	s_or_b32 exec_lo, exec_lo, s0
	v_and_b32_e32 v2, 1, v56
	v_cmp_lt_u64_e32 vcc_lo, v[5:6], v[27:28]
	s_delay_alu instid0(VALU_DEP_2)
	v_cmp_eq_u32_e64 s0, 1, v2
	;; [unrolled: 20-line block ×11, first 2 shown]
	s_or_b32 s1, s19, vcc_lo
	s_wait_alu 0xfffe
	s_and_b32 s1, s1, s0
	s_wait_alu 0xfffe
	s_and_saveexec_b32 s0, s1
	s_cbranch_execz .LBB1562_176
; %bb.175:
	v_lshlrev_b64_e32 v[27:28], 1, v[23:24]
	s_delay_alu instid0(VALU_DEP_1) | instskip(SKIP_1) | instid1(VALU_DEP_2)
	v_add_co_u32 v27, vcc_lo, v59, v27
	s_wait_alu 0xfffd
	v_add_co_ci_u32_e64 v28, null, v60, v28, vcc_lo
	global_store_b16 v[27:28], v29, off
.LBB1562_176:
	s_wait_alu 0xfffe
	s_or_b32 exec_lo, exec_lo, s0
	s_branch .LBB1562_150
.LBB1562_177:
	s_mov_b32 s0, exec_lo
	v_cmpx_eq_u32_e32 1, v45
; %bb.178:
	v_sub_nc_u32_e32 v1, v1, v39
	s_delay_alu instid0(VALU_DEP_1)
	v_lshlrev_b32_e32 v1, 1, v1
	ds_store_b16 v1, v33
; %bb.179:
	s_wait_alu 0xfffe
	s_or_b32 exec_lo, exec_lo, s0
	v_and_b32_e32 v1, 1, v58
	s_mov_b32 s0, exec_lo
	s_delay_alu instid0(VALU_DEP_1)
	v_cmpx_eq_u32_e32 1, v1
; %bb.180:
	v_sub_nc_u32_e32 v1, v3, v39
	s_delay_alu instid0(VALU_DEP_1)
	v_lshlrev_b32_e32 v1, 1, v1
	ds_store_b16 v1, v57
; %bb.181:
	s_wait_alu 0xfffe
	s_or_b32 exec_lo, exec_lo, s0
	v_and_b32_e32 v1, 1, v56
	s_mov_b32 s0, exec_lo
	s_delay_alu instid0(VALU_DEP_1)
	;; [unrolled: 12-line block ×11, first 2 shown]
	v_cmpx_eq_u32_e32 1, v1
; %bb.200:
	v_sub_nc_u32_e32 v1, v23, v39
	s_delay_alu instid0(VALU_DEP_1)
	v_lshlrev_b32_e32 v1, 1, v1
	ds_store_b16 v1, v29
; %bb.201:
	s_wait_alu 0xfffe
	s_or_b32 exec_lo, exec_lo, s0
	v_lshlrev_b64_e32 v[4:5], 1, v[39:40]
	v_add_co_u32 v6, vcc_lo, s12, v25
	v_mov_b32_e32 v1, 0
	s_wait_alu 0xfffd
	v_add_co_ci_u32_e64 v7, null, s13, v26, vcc_lo
	s_delay_alu instid0(VALU_DEP_3) | instskip(NEXT) | instid1(VALU_DEP_3)
	v_add_co_u32 v4, vcc_lo, v6, v4
	v_dual_mov_b32 v3, v1 :: v_dual_mov_b32 v2, v0
	s_wait_alu 0xfffd
	s_delay_alu instid0(VALU_DEP_3)
	v_add_co_ci_u32_e64 v5, null, v7, v5, vcc_lo
	v_or_b32_e32 v0, 0x100, v0
	s_mov_b32 s1, 0
	s_wait_storecnt 0x0
	s_wait_loadcnt_dscnt 0x0
	s_barrier_signal -1
	s_barrier_wait -1
	global_inv scope:SCOPE_SE
.LBB1562_202:                           ; =>This Inner Loop Header: Depth=1
	v_lshlrev_b32_e32 v6, 1, v2
	v_cmp_le_u64_e32 vcc_lo, v[37:38], v[0:1]
	ds_load_u16 v8, v6
	v_lshlrev_b64_e32 v[6:7], 1, v[2:3]
	v_dual_mov_b32 v3, v1 :: v_dual_mov_b32 v2, v0
	v_add_nc_u32_e32 v0, 0x100, v0
	s_wait_alu 0xfffe
	s_or_b32 s1, vcc_lo, s1
	s_delay_alu instid0(VALU_DEP_3)
	v_add_co_u32 v6, s0, v4, v6
	s_wait_alu 0xf1ff
	v_add_co_ci_u32_e64 v7, null, v5, v7, s0
	s_wait_dscnt 0x0
	global_store_b16 v[6:7], v8, off
	s_wait_alu 0xfffe
	s_and_not1_b32 exec_lo, exec_lo, s1
	s_cbranch_execnz .LBB1562_202
; %bb.203:
	s_or_b32 exec_lo, exec_lo, s1
	s_and_b32 s0, s2, s18
	s_wait_alu 0xfffe
	s_and_saveexec_b32 s1, s0
	s_cbranch_execz .LBB1562_151
.LBB1562_204:
	v_add_co_u32 v0, vcc_lo, v39, v37
	s_wait_alu 0xfffd
	v_add_co_ci_u32_e64 v1, null, v40, v38, vcc_lo
	v_mov_b32_e32 v2, 0
	s_delay_alu instid0(VALU_DEP_3) | instskip(SKIP_1) | instid1(VALU_DEP_3)
	v_add_co_u32 v0, vcc_lo, v0, v41
	s_wait_alu 0xfffd
	v_add_co_ci_u32_e64 v1, null, v1, v42, vcc_lo
	global_store_b64 v2, v[0:1], s[4:5]
	s_endpgm
	.section	.rodata,"a",@progbits
	.p2align	6, 0x0
	.amdhsa_kernel _ZN7rocprim17ROCPRIM_400000_NS6detail17trampoline_kernelINS0_14default_configENS1_25partition_config_selectorILNS1_17partition_subalgoE5EsNS0_10empty_typeEbEEZZNS1_14partition_implILS5_5ELb0ES3_mN6thrust23THRUST_200600_302600_NS6detail15normal_iteratorINSA_10device_ptrIsEEEEPS6_NSA_18transform_iteratorINSB_9not_fun_tI7is_trueIsEEESF_NSA_11use_defaultESM_EENS0_5tupleIJSF_S6_EEENSO_IJSG_SG_EEES6_PlJS6_EEE10hipError_tPvRmT3_T4_T5_T6_T7_T9_mT8_P12ihipStream_tbDpT10_ENKUlT_T0_E_clISt17integral_constantIbLb0EES1A_IbLb1EEEEDaS16_S17_EUlS16_E_NS1_11comp_targetILNS1_3genE10ELNS1_11target_archE1200ELNS1_3gpuE4ELNS1_3repE0EEENS1_30default_config_static_selectorELNS0_4arch9wavefront6targetE0EEEvT1_
		.amdhsa_group_segment_fixed_size 6160
		.amdhsa_private_segment_fixed_size 0
		.amdhsa_kernarg_size 136
		.amdhsa_user_sgpr_count 2
		.amdhsa_user_sgpr_dispatch_ptr 0
		.amdhsa_user_sgpr_queue_ptr 0
		.amdhsa_user_sgpr_kernarg_segment_ptr 1
		.amdhsa_user_sgpr_dispatch_id 0
		.amdhsa_user_sgpr_private_segment_size 0
		.amdhsa_wavefront_size32 1
		.amdhsa_uses_dynamic_stack 0
		.amdhsa_enable_private_segment 0
		.amdhsa_system_sgpr_workgroup_id_x 1
		.amdhsa_system_sgpr_workgroup_id_y 0
		.amdhsa_system_sgpr_workgroup_id_z 0
		.amdhsa_system_sgpr_workgroup_info 0
		.amdhsa_system_vgpr_workitem_id 0
		.amdhsa_next_free_vgpr 65
		.amdhsa_next_free_sgpr 24
		.amdhsa_reserve_vcc 1
		.amdhsa_float_round_mode_32 0
		.amdhsa_float_round_mode_16_64 0
		.amdhsa_float_denorm_mode_32 3
		.amdhsa_float_denorm_mode_16_64 3
		.amdhsa_fp16_overflow 0
		.amdhsa_workgroup_processor_mode 1
		.amdhsa_memory_ordered 1
		.amdhsa_forward_progress 1
		.amdhsa_inst_pref_size 84
		.amdhsa_round_robin_scheduling 0
		.amdhsa_exception_fp_ieee_invalid_op 0
		.amdhsa_exception_fp_denorm_src 0
		.amdhsa_exception_fp_ieee_div_zero 0
		.amdhsa_exception_fp_ieee_overflow 0
		.amdhsa_exception_fp_ieee_underflow 0
		.amdhsa_exception_fp_ieee_inexact 0
		.amdhsa_exception_int_div_zero 0
	.end_amdhsa_kernel
	.section	.text._ZN7rocprim17ROCPRIM_400000_NS6detail17trampoline_kernelINS0_14default_configENS1_25partition_config_selectorILNS1_17partition_subalgoE5EsNS0_10empty_typeEbEEZZNS1_14partition_implILS5_5ELb0ES3_mN6thrust23THRUST_200600_302600_NS6detail15normal_iteratorINSA_10device_ptrIsEEEEPS6_NSA_18transform_iteratorINSB_9not_fun_tI7is_trueIsEEESF_NSA_11use_defaultESM_EENS0_5tupleIJSF_S6_EEENSO_IJSG_SG_EEES6_PlJS6_EEE10hipError_tPvRmT3_T4_T5_T6_T7_T9_mT8_P12ihipStream_tbDpT10_ENKUlT_T0_E_clISt17integral_constantIbLb0EES1A_IbLb1EEEEDaS16_S17_EUlS16_E_NS1_11comp_targetILNS1_3genE10ELNS1_11target_archE1200ELNS1_3gpuE4ELNS1_3repE0EEENS1_30default_config_static_selectorELNS0_4arch9wavefront6targetE0EEEvT1_,"axG",@progbits,_ZN7rocprim17ROCPRIM_400000_NS6detail17trampoline_kernelINS0_14default_configENS1_25partition_config_selectorILNS1_17partition_subalgoE5EsNS0_10empty_typeEbEEZZNS1_14partition_implILS5_5ELb0ES3_mN6thrust23THRUST_200600_302600_NS6detail15normal_iteratorINSA_10device_ptrIsEEEEPS6_NSA_18transform_iteratorINSB_9not_fun_tI7is_trueIsEEESF_NSA_11use_defaultESM_EENS0_5tupleIJSF_S6_EEENSO_IJSG_SG_EEES6_PlJS6_EEE10hipError_tPvRmT3_T4_T5_T6_T7_T9_mT8_P12ihipStream_tbDpT10_ENKUlT_T0_E_clISt17integral_constantIbLb0EES1A_IbLb1EEEEDaS16_S17_EUlS16_E_NS1_11comp_targetILNS1_3genE10ELNS1_11target_archE1200ELNS1_3gpuE4ELNS1_3repE0EEENS1_30default_config_static_selectorELNS0_4arch9wavefront6targetE0EEEvT1_,comdat
.Lfunc_end1562:
	.size	_ZN7rocprim17ROCPRIM_400000_NS6detail17trampoline_kernelINS0_14default_configENS1_25partition_config_selectorILNS1_17partition_subalgoE5EsNS0_10empty_typeEbEEZZNS1_14partition_implILS5_5ELb0ES3_mN6thrust23THRUST_200600_302600_NS6detail15normal_iteratorINSA_10device_ptrIsEEEEPS6_NSA_18transform_iteratorINSB_9not_fun_tI7is_trueIsEEESF_NSA_11use_defaultESM_EENS0_5tupleIJSF_S6_EEENSO_IJSG_SG_EEES6_PlJS6_EEE10hipError_tPvRmT3_T4_T5_T6_T7_T9_mT8_P12ihipStream_tbDpT10_ENKUlT_T0_E_clISt17integral_constantIbLb0EES1A_IbLb1EEEEDaS16_S17_EUlS16_E_NS1_11comp_targetILNS1_3genE10ELNS1_11target_archE1200ELNS1_3gpuE4ELNS1_3repE0EEENS1_30default_config_static_selectorELNS0_4arch9wavefront6targetE0EEEvT1_, .Lfunc_end1562-_ZN7rocprim17ROCPRIM_400000_NS6detail17trampoline_kernelINS0_14default_configENS1_25partition_config_selectorILNS1_17partition_subalgoE5EsNS0_10empty_typeEbEEZZNS1_14partition_implILS5_5ELb0ES3_mN6thrust23THRUST_200600_302600_NS6detail15normal_iteratorINSA_10device_ptrIsEEEEPS6_NSA_18transform_iteratorINSB_9not_fun_tI7is_trueIsEEESF_NSA_11use_defaultESM_EENS0_5tupleIJSF_S6_EEENSO_IJSG_SG_EEES6_PlJS6_EEE10hipError_tPvRmT3_T4_T5_T6_T7_T9_mT8_P12ihipStream_tbDpT10_ENKUlT_T0_E_clISt17integral_constantIbLb0EES1A_IbLb1EEEEDaS16_S17_EUlS16_E_NS1_11comp_targetILNS1_3genE10ELNS1_11target_archE1200ELNS1_3gpuE4ELNS1_3repE0EEENS1_30default_config_static_selectorELNS0_4arch9wavefront6targetE0EEEvT1_
                                        ; -- End function
	.set _ZN7rocprim17ROCPRIM_400000_NS6detail17trampoline_kernelINS0_14default_configENS1_25partition_config_selectorILNS1_17partition_subalgoE5EsNS0_10empty_typeEbEEZZNS1_14partition_implILS5_5ELb0ES3_mN6thrust23THRUST_200600_302600_NS6detail15normal_iteratorINSA_10device_ptrIsEEEEPS6_NSA_18transform_iteratorINSB_9not_fun_tI7is_trueIsEEESF_NSA_11use_defaultESM_EENS0_5tupleIJSF_S6_EEENSO_IJSG_SG_EEES6_PlJS6_EEE10hipError_tPvRmT3_T4_T5_T6_T7_T9_mT8_P12ihipStream_tbDpT10_ENKUlT_T0_E_clISt17integral_constantIbLb0EES1A_IbLb1EEEEDaS16_S17_EUlS16_E_NS1_11comp_targetILNS1_3genE10ELNS1_11target_archE1200ELNS1_3gpuE4ELNS1_3repE0EEENS1_30default_config_static_selectorELNS0_4arch9wavefront6targetE0EEEvT1_.num_vgpr, 65
	.set _ZN7rocprim17ROCPRIM_400000_NS6detail17trampoline_kernelINS0_14default_configENS1_25partition_config_selectorILNS1_17partition_subalgoE5EsNS0_10empty_typeEbEEZZNS1_14partition_implILS5_5ELb0ES3_mN6thrust23THRUST_200600_302600_NS6detail15normal_iteratorINSA_10device_ptrIsEEEEPS6_NSA_18transform_iteratorINSB_9not_fun_tI7is_trueIsEEESF_NSA_11use_defaultESM_EENS0_5tupleIJSF_S6_EEENSO_IJSG_SG_EEES6_PlJS6_EEE10hipError_tPvRmT3_T4_T5_T6_T7_T9_mT8_P12ihipStream_tbDpT10_ENKUlT_T0_E_clISt17integral_constantIbLb0EES1A_IbLb1EEEEDaS16_S17_EUlS16_E_NS1_11comp_targetILNS1_3genE10ELNS1_11target_archE1200ELNS1_3gpuE4ELNS1_3repE0EEENS1_30default_config_static_selectorELNS0_4arch9wavefront6targetE0EEEvT1_.num_agpr, 0
	.set _ZN7rocprim17ROCPRIM_400000_NS6detail17trampoline_kernelINS0_14default_configENS1_25partition_config_selectorILNS1_17partition_subalgoE5EsNS0_10empty_typeEbEEZZNS1_14partition_implILS5_5ELb0ES3_mN6thrust23THRUST_200600_302600_NS6detail15normal_iteratorINSA_10device_ptrIsEEEEPS6_NSA_18transform_iteratorINSB_9not_fun_tI7is_trueIsEEESF_NSA_11use_defaultESM_EENS0_5tupleIJSF_S6_EEENSO_IJSG_SG_EEES6_PlJS6_EEE10hipError_tPvRmT3_T4_T5_T6_T7_T9_mT8_P12ihipStream_tbDpT10_ENKUlT_T0_E_clISt17integral_constantIbLb0EES1A_IbLb1EEEEDaS16_S17_EUlS16_E_NS1_11comp_targetILNS1_3genE10ELNS1_11target_archE1200ELNS1_3gpuE4ELNS1_3repE0EEENS1_30default_config_static_selectorELNS0_4arch9wavefront6targetE0EEEvT1_.numbered_sgpr, 24
	.set _ZN7rocprim17ROCPRIM_400000_NS6detail17trampoline_kernelINS0_14default_configENS1_25partition_config_selectorILNS1_17partition_subalgoE5EsNS0_10empty_typeEbEEZZNS1_14partition_implILS5_5ELb0ES3_mN6thrust23THRUST_200600_302600_NS6detail15normal_iteratorINSA_10device_ptrIsEEEEPS6_NSA_18transform_iteratorINSB_9not_fun_tI7is_trueIsEEESF_NSA_11use_defaultESM_EENS0_5tupleIJSF_S6_EEENSO_IJSG_SG_EEES6_PlJS6_EEE10hipError_tPvRmT3_T4_T5_T6_T7_T9_mT8_P12ihipStream_tbDpT10_ENKUlT_T0_E_clISt17integral_constantIbLb0EES1A_IbLb1EEEEDaS16_S17_EUlS16_E_NS1_11comp_targetILNS1_3genE10ELNS1_11target_archE1200ELNS1_3gpuE4ELNS1_3repE0EEENS1_30default_config_static_selectorELNS0_4arch9wavefront6targetE0EEEvT1_.num_named_barrier, 0
	.set _ZN7rocprim17ROCPRIM_400000_NS6detail17trampoline_kernelINS0_14default_configENS1_25partition_config_selectorILNS1_17partition_subalgoE5EsNS0_10empty_typeEbEEZZNS1_14partition_implILS5_5ELb0ES3_mN6thrust23THRUST_200600_302600_NS6detail15normal_iteratorINSA_10device_ptrIsEEEEPS6_NSA_18transform_iteratorINSB_9not_fun_tI7is_trueIsEEESF_NSA_11use_defaultESM_EENS0_5tupleIJSF_S6_EEENSO_IJSG_SG_EEES6_PlJS6_EEE10hipError_tPvRmT3_T4_T5_T6_T7_T9_mT8_P12ihipStream_tbDpT10_ENKUlT_T0_E_clISt17integral_constantIbLb0EES1A_IbLb1EEEEDaS16_S17_EUlS16_E_NS1_11comp_targetILNS1_3genE10ELNS1_11target_archE1200ELNS1_3gpuE4ELNS1_3repE0EEENS1_30default_config_static_selectorELNS0_4arch9wavefront6targetE0EEEvT1_.private_seg_size, 0
	.set _ZN7rocprim17ROCPRIM_400000_NS6detail17trampoline_kernelINS0_14default_configENS1_25partition_config_selectorILNS1_17partition_subalgoE5EsNS0_10empty_typeEbEEZZNS1_14partition_implILS5_5ELb0ES3_mN6thrust23THRUST_200600_302600_NS6detail15normal_iteratorINSA_10device_ptrIsEEEEPS6_NSA_18transform_iteratorINSB_9not_fun_tI7is_trueIsEEESF_NSA_11use_defaultESM_EENS0_5tupleIJSF_S6_EEENSO_IJSG_SG_EEES6_PlJS6_EEE10hipError_tPvRmT3_T4_T5_T6_T7_T9_mT8_P12ihipStream_tbDpT10_ENKUlT_T0_E_clISt17integral_constantIbLb0EES1A_IbLb1EEEEDaS16_S17_EUlS16_E_NS1_11comp_targetILNS1_3genE10ELNS1_11target_archE1200ELNS1_3gpuE4ELNS1_3repE0EEENS1_30default_config_static_selectorELNS0_4arch9wavefront6targetE0EEEvT1_.uses_vcc, 1
	.set _ZN7rocprim17ROCPRIM_400000_NS6detail17trampoline_kernelINS0_14default_configENS1_25partition_config_selectorILNS1_17partition_subalgoE5EsNS0_10empty_typeEbEEZZNS1_14partition_implILS5_5ELb0ES3_mN6thrust23THRUST_200600_302600_NS6detail15normal_iteratorINSA_10device_ptrIsEEEEPS6_NSA_18transform_iteratorINSB_9not_fun_tI7is_trueIsEEESF_NSA_11use_defaultESM_EENS0_5tupleIJSF_S6_EEENSO_IJSG_SG_EEES6_PlJS6_EEE10hipError_tPvRmT3_T4_T5_T6_T7_T9_mT8_P12ihipStream_tbDpT10_ENKUlT_T0_E_clISt17integral_constantIbLb0EES1A_IbLb1EEEEDaS16_S17_EUlS16_E_NS1_11comp_targetILNS1_3genE10ELNS1_11target_archE1200ELNS1_3gpuE4ELNS1_3repE0EEENS1_30default_config_static_selectorELNS0_4arch9wavefront6targetE0EEEvT1_.uses_flat_scratch, 1
	.set _ZN7rocprim17ROCPRIM_400000_NS6detail17trampoline_kernelINS0_14default_configENS1_25partition_config_selectorILNS1_17partition_subalgoE5EsNS0_10empty_typeEbEEZZNS1_14partition_implILS5_5ELb0ES3_mN6thrust23THRUST_200600_302600_NS6detail15normal_iteratorINSA_10device_ptrIsEEEEPS6_NSA_18transform_iteratorINSB_9not_fun_tI7is_trueIsEEESF_NSA_11use_defaultESM_EENS0_5tupleIJSF_S6_EEENSO_IJSG_SG_EEES6_PlJS6_EEE10hipError_tPvRmT3_T4_T5_T6_T7_T9_mT8_P12ihipStream_tbDpT10_ENKUlT_T0_E_clISt17integral_constantIbLb0EES1A_IbLb1EEEEDaS16_S17_EUlS16_E_NS1_11comp_targetILNS1_3genE10ELNS1_11target_archE1200ELNS1_3gpuE4ELNS1_3repE0EEENS1_30default_config_static_selectorELNS0_4arch9wavefront6targetE0EEEvT1_.has_dyn_sized_stack, 0
	.set _ZN7rocprim17ROCPRIM_400000_NS6detail17trampoline_kernelINS0_14default_configENS1_25partition_config_selectorILNS1_17partition_subalgoE5EsNS0_10empty_typeEbEEZZNS1_14partition_implILS5_5ELb0ES3_mN6thrust23THRUST_200600_302600_NS6detail15normal_iteratorINSA_10device_ptrIsEEEEPS6_NSA_18transform_iteratorINSB_9not_fun_tI7is_trueIsEEESF_NSA_11use_defaultESM_EENS0_5tupleIJSF_S6_EEENSO_IJSG_SG_EEES6_PlJS6_EEE10hipError_tPvRmT3_T4_T5_T6_T7_T9_mT8_P12ihipStream_tbDpT10_ENKUlT_T0_E_clISt17integral_constantIbLb0EES1A_IbLb1EEEEDaS16_S17_EUlS16_E_NS1_11comp_targetILNS1_3genE10ELNS1_11target_archE1200ELNS1_3gpuE4ELNS1_3repE0EEENS1_30default_config_static_selectorELNS0_4arch9wavefront6targetE0EEEvT1_.has_recursion, 0
	.set _ZN7rocprim17ROCPRIM_400000_NS6detail17trampoline_kernelINS0_14default_configENS1_25partition_config_selectorILNS1_17partition_subalgoE5EsNS0_10empty_typeEbEEZZNS1_14partition_implILS5_5ELb0ES3_mN6thrust23THRUST_200600_302600_NS6detail15normal_iteratorINSA_10device_ptrIsEEEEPS6_NSA_18transform_iteratorINSB_9not_fun_tI7is_trueIsEEESF_NSA_11use_defaultESM_EENS0_5tupleIJSF_S6_EEENSO_IJSG_SG_EEES6_PlJS6_EEE10hipError_tPvRmT3_T4_T5_T6_T7_T9_mT8_P12ihipStream_tbDpT10_ENKUlT_T0_E_clISt17integral_constantIbLb0EES1A_IbLb1EEEEDaS16_S17_EUlS16_E_NS1_11comp_targetILNS1_3genE10ELNS1_11target_archE1200ELNS1_3gpuE4ELNS1_3repE0EEENS1_30default_config_static_selectorELNS0_4arch9wavefront6targetE0EEEvT1_.has_indirect_call, 0
	.section	.AMDGPU.csdata,"",@progbits
; Kernel info:
; codeLenInByte = 10640
; TotalNumSgprs: 26
; NumVgprs: 65
; ScratchSize: 0
; MemoryBound: 0
; FloatMode: 240
; IeeeMode: 1
; LDSByteSize: 6160 bytes/workgroup (compile time only)
; SGPRBlocks: 0
; VGPRBlocks: 8
; NumSGPRsForWavesPerEU: 26
; NumVGPRsForWavesPerEU: 65
; Occupancy: 16
; WaveLimiterHint : 1
; COMPUTE_PGM_RSRC2:SCRATCH_EN: 0
; COMPUTE_PGM_RSRC2:USER_SGPR: 2
; COMPUTE_PGM_RSRC2:TRAP_HANDLER: 0
; COMPUTE_PGM_RSRC2:TGID_X_EN: 1
; COMPUTE_PGM_RSRC2:TGID_Y_EN: 0
; COMPUTE_PGM_RSRC2:TGID_Z_EN: 0
; COMPUTE_PGM_RSRC2:TIDIG_COMP_CNT: 0
	.section	.text._ZN7rocprim17ROCPRIM_400000_NS6detail17trampoline_kernelINS0_14default_configENS1_25partition_config_selectorILNS1_17partition_subalgoE5EsNS0_10empty_typeEbEEZZNS1_14partition_implILS5_5ELb0ES3_mN6thrust23THRUST_200600_302600_NS6detail15normal_iteratorINSA_10device_ptrIsEEEEPS6_NSA_18transform_iteratorINSB_9not_fun_tI7is_trueIsEEESF_NSA_11use_defaultESM_EENS0_5tupleIJSF_S6_EEENSO_IJSG_SG_EEES6_PlJS6_EEE10hipError_tPvRmT3_T4_T5_T6_T7_T9_mT8_P12ihipStream_tbDpT10_ENKUlT_T0_E_clISt17integral_constantIbLb0EES1A_IbLb1EEEEDaS16_S17_EUlS16_E_NS1_11comp_targetILNS1_3genE9ELNS1_11target_archE1100ELNS1_3gpuE3ELNS1_3repE0EEENS1_30default_config_static_selectorELNS0_4arch9wavefront6targetE0EEEvT1_,"axG",@progbits,_ZN7rocprim17ROCPRIM_400000_NS6detail17trampoline_kernelINS0_14default_configENS1_25partition_config_selectorILNS1_17partition_subalgoE5EsNS0_10empty_typeEbEEZZNS1_14partition_implILS5_5ELb0ES3_mN6thrust23THRUST_200600_302600_NS6detail15normal_iteratorINSA_10device_ptrIsEEEEPS6_NSA_18transform_iteratorINSB_9not_fun_tI7is_trueIsEEESF_NSA_11use_defaultESM_EENS0_5tupleIJSF_S6_EEENSO_IJSG_SG_EEES6_PlJS6_EEE10hipError_tPvRmT3_T4_T5_T6_T7_T9_mT8_P12ihipStream_tbDpT10_ENKUlT_T0_E_clISt17integral_constantIbLb0EES1A_IbLb1EEEEDaS16_S17_EUlS16_E_NS1_11comp_targetILNS1_3genE9ELNS1_11target_archE1100ELNS1_3gpuE3ELNS1_3repE0EEENS1_30default_config_static_selectorELNS0_4arch9wavefront6targetE0EEEvT1_,comdat
	.protected	_ZN7rocprim17ROCPRIM_400000_NS6detail17trampoline_kernelINS0_14default_configENS1_25partition_config_selectorILNS1_17partition_subalgoE5EsNS0_10empty_typeEbEEZZNS1_14partition_implILS5_5ELb0ES3_mN6thrust23THRUST_200600_302600_NS6detail15normal_iteratorINSA_10device_ptrIsEEEEPS6_NSA_18transform_iteratorINSB_9not_fun_tI7is_trueIsEEESF_NSA_11use_defaultESM_EENS0_5tupleIJSF_S6_EEENSO_IJSG_SG_EEES6_PlJS6_EEE10hipError_tPvRmT3_T4_T5_T6_T7_T9_mT8_P12ihipStream_tbDpT10_ENKUlT_T0_E_clISt17integral_constantIbLb0EES1A_IbLb1EEEEDaS16_S17_EUlS16_E_NS1_11comp_targetILNS1_3genE9ELNS1_11target_archE1100ELNS1_3gpuE3ELNS1_3repE0EEENS1_30default_config_static_selectorELNS0_4arch9wavefront6targetE0EEEvT1_ ; -- Begin function _ZN7rocprim17ROCPRIM_400000_NS6detail17trampoline_kernelINS0_14default_configENS1_25partition_config_selectorILNS1_17partition_subalgoE5EsNS0_10empty_typeEbEEZZNS1_14partition_implILS5_5ELb0ES3_mN6thrust23THRUST_200600_302600_NS6detail15normal_iteratorINSA_10device_ptrIsEEEEPS6_NSA_18transform_iteratorINSB_9not_fun_tI7is_trueIsEEESF_NSA_11use_defaultESM_EENS0_5tupleIJSF_S6_EEENSO_IJSG_SG_EEES6_PlJS6_EEE10hipError_tPvRmT3_T4_T5_T6_T7_T9_mT8_P12ihipStream_tbDpT10_ENKUlT_T0_E_clISt17integral_constantIbLb0EES1A_IbLb1EEEEDaS16_S17_EUlS16_E_NS1_11comp_targetILNS1_3genE9ELNS1_11target_archE1100ELNS1_3gpuE3ELNS1_3repE0EEENS1_30default_config_static_selectorELNS0_4arch9wavefront6targetE0EEEvT1_
	.globl	_ZN7rocprim17ROCPRIM_400000_NS6detail17trampoline_kernelINS0_14default_configENS1_25partition_config_selectorILNS1_17partition_subalgoE5EsNS0_10empty_typeEbEEZZNS1_14partition_implILS5_5ELb0ES3_mN6thrust23THRUST_200600_302600_NS6detail15normal_iteratorINSA_10device_ptrIsEEEEPS6_NSA_18transform_iteratorINSB_9not_fun_tI7is_trueIsEEESF_NSA_11use_defaultESM_EENS0_5tupleIJSF_S6_EEENSO_IJSG_SG_EEES6_PlJS6_EEE10hipError_tPvRmT3_T4_T5_T6_T7_T9_mT8_P12ihipStream_tbDpT10_ENKUlT_T0_E_clISt17integral_constantIbLb0EES1A_IbLb1EEEEDaS16_S17_EUlS16_E_NS1_11comp_targetILNS1_3genE9ELNS1_11target_archE1100ELNS1_3gpuE3ELNS1_3repE0EEENS1_30default_config_static_selectorELNS0_4arch9wavefront6targetE0EEEvT1_
	.p2align	8
	.type	_ZN7rocprim17ROCPRIM_400000_NS6detail17trampoline_kernelINS0_14default_configENS1_25partition_config_selectorILNS1_17partition_subalgoE5EsNS0_10empty_typeEbEEZZNS1_14partition_implILS5_5ELb0ES3_mN6thrust23THRUST_200600_302600_NS6detail15normal_iteratorINSA_10device_ptrIsEEEEPS6_NSA_18transform_iteratorINSB_9not_fun_tI7is_trueIsEEESF_NSA_11use_defaultESM_EENS0_5tupleIJSF_S6_EEENSO_IJSG_SG_EEES6_PlJS6_EEE10hipError_tPvRmT3_T4_T5_T6_T7_T9_mT8_P12ihipStream_tbDpT10_ENKUlT_T0_E_clISt17integral_constantIbLb0EES1A_IbLb1EEEEDaS16_S17_EUlS16_E_NS1_11comp_targetILNS1_3genE9ELNS1_11target_archE1100ELNS1_3gpuE3ELNS1_3repE0EEENS1_30default_config_static_selectorELNS0_4arch9wavefront6targetE0EEEvT1_,@function
_ZN7rocprim17ROCPRIM_400000_NS6detail17trampoline_kernelINS0_14default_configENS1_25partition_config_selectorILNS1_17partition_subalgoE5EsNS0_10empty_typeEbEEZZNS1_14partition_implILS5_5ELb0ES3_mN6thrust23THRUST_200600_302600_NS6detail15normal_iteratorINSA_10device_ptrIsEEEEPS6_NSA_18transform_iteratorINSB_9not_fun_tI7is_trueIsEEESF_NSA_11use_defaultESM_EENS0_5tupleIJSF_S6_EEENSO_IJSG_SG_EEES6_PlJS6_EEE10hipError_tPvRmT3_T4_T5_T6_T7_T9_mT8_P12ihipStream_tbDpT10_ENKUlT_T0_E_clISt17integral_constantIbLb0EES1A_IbLb1EEEEDaS16_S17_EUlS16_E_NS1_11comp_targetILNS1_3genE9ELNS1_11target_archE1100ELNS1_3gpuE3ELNS1_3repE0EEENS1_30default_config_static_selectorELNS0_4arch9wavefront6targetE0EEEvT1_: ; @_ZN7rocprim17ROCPRIM_400000_NS6detail17trampoline_kernelINS0_14default_configENS1_25partition_config_selectorILNS1_17partition_subalgoE5EsNS0_10empty_typeEbEEZZNS1_14partition_implILS5_5ELb0ES3_mN6thrust23THRUST_200600_302600_NS6detail15normal_iteratorINSA_10device_ptrIsEEEEPS6_NSA_18transform_iteratorINSB_9not_fun_tI7is_trueIsEEESF_NSA_11use_defaultESM_EENS0_5tupleIJSF_S6_EEENSO_IJSG_SG_EEES6_PlJS6_EEE10hipError_tPvRmT3_T4_T5_T6_T7_T9_mT8_P12ihipStream_tbDpT10_ENKUlT_T0_E_clISt17integral_constantIbLb0EES1A_IbLb1EEEEDaS16_S17_EUlS16_E_NS1_11comp_targetILNS1_3genE9ELNS1_11target_archE1100ELNS1_3gpuE3ELNS1_3repE0EEENS1_30default_config_static_selectorELNS0_4arch9wavefront6targetE0EEEvT1_
; %bb.0:
	.section	.rodata,"a",@progbits
	.p2align	6, 0x0
	.amdhsa_kernel _ZN7rocprim17ROCPRIM_400000_NS6detail17trampoline_kernelINS0_14default_configENS1_25partition_config_selectorILNS1_17partition_subalgoE5EsNS0_10empty_typeEbEEZZNS1_14partition_implILS5_5ELb0ES3_mN6thrust23THRUST_200600_302600_NS6detail15normal_iteratorINSA_10device_ptrIsEEEEPS6_NSA_18transform_iteratorINSB_9not_fun_tI7is_trueIsEEESF_NSA_11use_defaultESM_EENS0_5tupleIJSF_S6_EEENSO_IJSG_SG_EEES6_PlJS6_EEE10hipError_tPvRmT3_T4_T5_T6_T7_T9_mT8_P12ihipStream_tbDpT10_ENKUlT_T0_E_clISt17integral_constantIbLb0EES1A_IbLb1EEEEDaS16_S17_EUlS16_E_NS1_11comp_targetILNS1_3genE9ELNS1_11target_archE1100ELNS1_3gpuE3ELNS1_3repE0EEENS1_30default_config_static_selectorELNS0_4arch9wavefront6targetE0EEEvT1_
		.amdhsa_group_segment_fixed_size 0
		.amdhsa_private_segment_fixed_size 0
		.amdhsa_kernarg_size 136
		.amdhsa_user_sgpr_count 2
		.amdhsa_user_sgpr_dispatch_ptr 0
		.amdhsa_user_sgpr_queue_ptr 0
		.amdhsa_user_sgpr_kernarg_segment_ptr 1
		.amdhsa_user_sgpr_dispatch_id 0
		.amdhsa_user_sgpr_private_segment_size 0
		.amdhsa_wavefront_size32 1
		.amdhsa_uses_dynamic_stack 0
		.amdhsa_enable_private_segment 0
		.amdhsa_system_sgpr_workgroup_id_x 1
		.amdhsa_system_sgpr_workgroup_id_y 0
		.amdhsa_system_sgpr_workgroup_id_z 0
		.amdhsa_system_sgpr_workgroup_info 0
		.amdhsa_system_vgpr_workitem_id 0
		.amdhsa_next_free_vgpr 1
		.amdhsa_next_free_sgpr 1
		.amdhsa_reserve_vcc 0
		.amdhsa_float_round_mode_32 0
		.amdhsa_float_round_mode_16_64 0
		.amdhsa_float_denorm_mode_32 3
		.amdhsa_float_denorm_mode_16_64 3
		.amdhsa_fp16_overflow 0
		.amdhsa_workgroup_processor_mode 1
		.amdhsa_memory_ordered 1
		.amdhsa_forward_progress 1
		.amdhsa_inst_pref_size 0
		.amdhsa_round_robin_scheduling 0
		.amdhsa_exception_fp_ieee_invalid_op 0
		.amdhsa_exception_fp_denorm_src 0
		.amdhsa_exception_fp_ieee_div_zero 0
		.amdhsa_exception_fp_ieee_overflow 0
		.amdhsa_exception_fp_ieee_underflow 0
		.amdhsa_exception_fp_ieee_inexact 0
		.amdhsa_exception_int_div_zero 0
	.end_amdhsa_kernel
	.section	.text._ZN7rocprim17ROCPRIM_400000_NS6detail17trampoline_kernelINS0_14default_configENS1_25partition_config_selectorILNS1_17partition_subalgoE5EsNS0_10empty_typeEbEEZZNS1_14partition_implILS5_5ELb0ES3_mN6thrust23THRUST_200600_302600_NS6detail15normal_iteratorINSA_10device_ptrIsEEEEPS6_NSA_18transform_iteratorINSB_9not_fun_tI7is_trueIsEEESF_NSA_11use_defaultESM_EENS0_5tupleIJSF_S6_EEENSO_IJSG_SG_EEES6_PlJS6_EEE10hipError_tPvRmT3_T4_T5_T6_T7_T9_mT8_P12ihipStream_tbDpT10_ENKUlT_T0_E_clISt17integral_constantIbLb0EES1A_IbLb1EEEEDaS16_S17_EUlS16_E_NS1_11comp_targetILNS1_3genE9ELNS1_11target_archE1100ELNS1_3gpuE3ELNS1_3repE0EEENS1_30default_config_static_selectorELNS0_4arch9wavefront6targetE0EEEvT1_,"axG",@progbits,_ZN7rocprim17ROCPRIM_400000_NS6detail17trampoline_kernelINS0_14default_configENS1_25partition_config_selectorILNS1_17partition_subalgoE5EsNS0_10empty_typeEbEEZZNS1_14partition_implILS5_5ELb0ES3_mN6thrust23THRUST_200600_302600_NS6detail15normal_iteratorINSA_10device_ptrIsEEEEPS6_NSA_18transform_iteratorINSB_9not_fun_tI7is_trueIsEEESF_NSA_11use_defaultESM_EENS0_5tupleIJSF_S6_EEENSO_IJSG_SG_EEES6_PlJS6_EEE10hipError_tPvRmT3_T4_T5_T6_T7_T9_mT8_P12ihipStream_tbDpT10_ENKUlT_T0_E_clISt17integral_constantIbLb0EES1A_IbLb1EEEEDaS16_S17_EUlS16_E_NS1_11comp_targetILNS1_3genE9ELNS1_11target_archE1100ELNS1_3gpuE3ELNS1_3repE0EEENS1_30default_config_static_selectorELNS0_4arch9wavefront6targetE0EEEvT1_,comdat
.Lfunc_end1563:
	.size	_ZN7rocprim17ROCPRIM_400000_NS6detail17trampoline_kernelINS0_14default_configENS1_25partition_config_selectorILNS1_17partition_subalgoE5EsNS0_10empty_typeEbEEZZNS1_14partition_implILS5_5ELb0ES3_mN6thrust23THRUST_200600_302600_NS6detail15normal_iteratorINSA_10device_ptrIsEEEEPS6_NSA_18transform_iteratorINSB_9not_fun_tI7is_trueIsEEESF_NSA_11use_defaultESM_EENS0_5tupleIJSF_S6_EEENSO_IJSG_SG_EEES6_PlJS6_EEE10hipError_tPvRmT3_T4_T5_T6_T7_T9_mT8_P12ihipStream_tbDpT10_ENKUlT_T0_E_clISt17integral_constantIbLb0EES1A_IbLb1EEEEDaS16_S17_EUlS16_E_NS1_11comp_targetILNS1_3genE9ELNS1_11target_archE1100ELNS1_3gpuE3ELNS1_3repE0EEENS1_30default_config_static_selectorELNS0_4arch9wavefront6targetE0EEEvT1_, .Lfunc_end1563-_ZN7rocprim17ROCPRIM_400000_NS6detail17trampoline_kernelINS0_14default_configENS1_25partition_config_selectorILNS1_17partition_subalgoE5EsNS0_10empty_typeEbEEZZNS1_14partition_implILS5_5ELb0ES3_mN6thrust23THRUST_200600_302600_NS6detail15normal_iteratorINSA_10device_ptrIsEEEEPS6_NSA_18transform_iteratorINSB_9not_fun_tI7is_trueIsEEESF_NSA_11use_defaultESM_EENS0_5tupleIJSF_S6_EEENSO_IJSG_SG_EEES6_PlJS6_EEE10hipError_tPvRmT3_T4_T5_T6_T7_T9_mT8_P12ihipStream_tbDpT10_ENKUlT_T0_E_clISt17integral_constantIbLb0EES1A_IbLb1EEEEDaS16_S17_EUlS16_E_NS1_11comp_targetILNS1_3genE9ELNS1_11target_archE1100ELNS1_3gpuE3ELNS1_3repE0EEENS1_30default_config_static_selectorELNS0_4arch9wavefront6targetE0EEEvT1_
                                        ; -- End function
	.set _ZN7rocprim17ROCPRIM_400000_NS6detail17trampoline_kernelINS0_14default_configENS1_25partition_config_selectorILNS1_17partition_subalgoE5EsNS0_10empty_typeEbEEZZNS1_14partition_implILS5_5ELb0ES3_mN6thrust23THRUST_200600_302600_NS6detail15normal_iteratorINSA_10device_ptrIsEEEEPS6_NSA_18transform_iteratorINSB_9not_fun_tI7is_trueIsEEESF_NSA_11use_defaultESM_EENS0_5tupleIJSF_S6_EEENSO_IJSG_SG_EEES6_PlJS6_EEE10hipError_tPvRmT3_T4_T5_T6_T7_T9_mT8_P12ihipStream_tbDpT10_ENKUlT_T0_E_clISt17integral_constantIbLb0EES1A_IbLb1EEEEDaS16_S17_EUlS16_E_NS1_11comp_targetILNS1_3genE9ELNS1_11target_archE1100ELNS1_3gpuE3ELNS1_3repE0EEENS1_30default_config_static_selectorELNS0_4arch9wavefront6targetE0EEEvT1_.num_vgpr, 0
	.set _ZN7rocprim17ROCPRIM_400000_NS6detail17trampoline_kernelINS0_14default_configENS1_25partition_config_selectorILNS1_17partition_subalgoE5EsNS0_10empty_typeEbEEZZNS1_14partition_implILS5_5ELb0ES3_mN6thrust23THRUST_200600_302600_NS6detail15normal_iteratorINSA_10device_ptrIsEEEEPS6_NSA_18transform_iteratorINSB_9not_fun_tI7is_trueIsEEESF_NSA_11use_defaultESM_EENS0_5tupleIJSF_S6_EEENSO_IJSG_SG_EEES6_PlJS6_EEE10hipError_tPvRmT3_T4_T5_T6_T7_T9_mT8_P12ihipStream_tbDpT10_ENKUlT_T0_E_clISt17integral_constantIbLb0EES1A_IbLb1EEEEDaS16_S17_EUlS16_E_NS1_11comp_targetILNS1_3genE9ELNS1_11target_archE1100ELNS1_3gpuE3ELNS1_3repE0EEENS1_30default_config_static_selectorELNS0_4arch9wavefront6targetE0EEEvT1_.num_agpr, 0
	.set _ZN7rocprim17ROCPRIM_400000_NS6detail17trampoline_kernelINS0_14default_configENS1_25partition_config_selectorILNS1_17partition_subalgoE5EsNS0_10empty_typeEbEEZZNS1_14partition_implILS5_5ELb0ES3_mN6thrust23THRUST_200600_302600_NS6detail15normal_iteratorINSA_10device_ptrIsEEEEPS6_NSA_18transform_iteratorINSB_9not_fun_tI7is_trueIsEEESF_NSA_11use_defaultESM_EENS0_5tupleIJSF_S6_EEENSO_IJSG_SG_EEES6_PlJS6_EEE10hipError_tPvRmT3_T4_T5_T6_T7_T9_mT8_P12ihipStream_tbDpT10_ENKUlT_T0_E_clISt17integral_constantIbLb0EES1A_IbLb1EEEEDaS16_S17_EUlS16_E_NS1_11comp_targetILNS1_3genE9ELNS1_11target_archE1100ELNS1_3gpuE3ELNS1_3repE0EEENS1_30default_config_static_selectorELNS0_4arch9wavefront6targetE0EEEvT1_.numbered_sgpr, 0
	.set _ZN7rocprim17ROCPRIM_400000_NS6detail17trampoline_kernelINS0_14default_configENS1_25partition_config_selectorILNS1_17partition_subalgoE5EsNS0_10empty_typeEbEEZZNS1_14partition_implILS5_5ELb0ES3_mN6thrust23THRUST_200600_302600_NS6detail15normal_iteratorINSA_10device_ptrIsEEEEPS6_NSA_18transform_iteratorINSB_9not_fun_tI7is_trueIsEEESF_NSA_11use_defaultESM_EENS0_5tupleIJSF_S6_EEENSO_IJSG_SG_EEES6_PlJS6_EEE10hipError_tPvRmT3_T4_T5_T6_T7_T9_mT8_P12ihipStream_tbDpT10_ENKUlT_T0_E_clISt17integral_constantIbLb0EES1A_IbLb1EEEEDaS16_S17_EUlS16_E_NS1_11comp_targetILNS1_3genE9ELNS1_11target_archE1100ELNS1_3gpuE3ELNS1_3repE0EEENS1_30default_config_static_selectorELNS0_4arch9wavefront6targetE0EEEvT1_.num_named_barrier, 0
	.set _ZN7rocprim17ROCPRIM_400000_NS6detail17trampoline_kernelINS0_14default_configENS1_25partition_config_selectorILNS1_17partition_subalgoE5EsNS0_10empty_typeEbEEZZNS1_14partition_implILS5_5ELb0ES3_mN6thrust23THRUST_200600_302600_NS6detail15normal_iteratorINSA_10device_ptrIsEEEEPS6_NSA_18transform_iteratorINSB_9not_fun_tI7is_trueIsEEESF_NSA_11use_defaultESM_EENS0_5tupleIJSF_S6_EEENSO_IJSG_SG_EEES6_PlJS6_EEE10hipError_tPvRmT3_T4_T5_T6_T7_T9_mT8_P12ihipStream_tbDpT10_ENKUlT_T0_E_clISt17integral_constantIbLb0EES1A_IbLb1EEEEDaS16_S17_EUlS16_E_NS1_11comp_targetILNS1_3genE9ELNS1_11target_archE1100ELNS1_3gpuE3ELNS1_3repE0EEENS1_30default_config_static_selectorELNS0_4arch9wavefront6targetE0EEEvT1_.private_seg_size, 0
	.set _ZN7rocprim17ROCPRIM_400000_NS6detail17trampoline_kernelINS0_14default_configENS1_25partition_config_selectorILNS1_17partition_subalgoE5EsNS0_10empty_typeEbEEZZNS1_14partition_implILS5_5ELb0ES3_mN6thrust23THRUST_200600_302600_NS6detail15normal_iteratorINSA_10device_ptrIsEEEEPS6_NSA_18transform_iteratorINSB_9not_fun_tI7is_trueIsEEESF_NSA_11use_defaultESM_EENS0_5tupleIJSF_S6_EEENSO_IJSG_SG_EEES6_PlJS6_EEE10hipError_tPvRmT3_T4_T5_T6_T7_T9_mT8_P12ihipStream_tbDpT10_ENKUlT_T0_E_clISt17integral_constantIbLb0EES1A_IbLb1EEEEDaS16_S17_EUlS16_E_NS1_11comp_targetILNS1_3genE9ELNS1_11target_archE1100ELNS1_3gpuE3ELNS1_3repE0EEENS1_30default_config_static_selectorELNS0_4arch9wavefront6targetE0EEEvT1_.uses_vcc, 0
	.set _ZN7rocprim17ROCPRIM_400000_NS6detail17trampoline_kernelINS0_14default_configENS1_25partition_config_selectorILNS1_17partition_subalgoE5EsNS0_10empty_typeEbEEZZNS1_14partition_implILS5_5ELb0ES3_mN6thrust23THRUST_200600_302600_NS6detail15normal_iteratorINSA_10device_ptrIsEEEEPS6_NSA_18transform_iteratorINSB_9not_fun_tI7is_trueIsEEESF_NSA_11use_defaultESM_EENS0_5tupleIJSF_S6_EEENSO_IJSG_SG_EEES6_PlJS6_EEE10hipError_tPvRmT3_T4_T5_T6_T7_T9_mT8_P12ihipStream_tbDpT10_ENKUlT_T0_E_clISt17integral_constantIbLb0EES1A_IbLb1EEEEDaS16_S17_EUlS16_E_NS1_11comp_targetILNS1_3genE9ELNS1_11target_archE1100ELNS1_3gpuE3ELNS1_3repE0EEENS1_30default_config_static_selectorELNS0_4arch9wavefront6targetE0EEEvT1_.uses_flat_scratch, 0
	.set _ZN7rocprim17ROCPRIM_400000_NS6detail17trampoline_kernelINS0_14default_configENS1_25partition_config_selectorILNS1_17partition_subalgoE5EsNS0_10empty_typeEbEEZZNS1_14partition_implILS5_5ELb0ES3_mN6thrust23THRUST_200600_302600_NS6detail15normal_iteratorINSA_10device_ptrIsEEEEPS6_NSA_18transform_iteratorINSB_9not_fun_tI7is_trueIsEEESF_NSA_11use_defaultESM_EENS0_5tupleIJSF_S6_EEENSO_IJSG_SG_EEES6_PlJS6_EEE10hipError_tPvRmT3_T4_T5_T6_T7_T9_mT8_P12ihipStream_tbDpT10_ENKUlT_T0_E_clISt17integral_constantIbLb0EES1A_IbLb1EEEEDaS16_S17_EUlS16_E_NS1_11comp_targetILNS1_3genE9ELNS1_11target_archE1100ELNS1_3gpuE3ELNS1_3repE0EEENS1_30default_config_static_selectorELNS0_4arch9wavefront6targetE0EEEvT1_.has_dyn_sized_stack, 0
	.set _ZN7rocprim17ROCPRIM_400000_NS6detail17trampoline_kernelINS0_14default_configENS1_25partition_config_selectorILNS1_17partition_subalgoE5EsNS0_10empty_typeEbEEZZNS1_14partition_implILS5_5ELb0ES3_mN6thrust23THRUST_200600_302600_NS6detail15normal_iteratorINSA_10device_ptrIsEEEEPS6_NSA_18transform_iteratorINSB_9not_fun_tI7is_trueIsEEESF_NSA_11use_defaultESM_EENS0_5tupleIJSF_S6_EEENSO_IJSG_SG_EEES6_PlJS6_EEE10hipError_tPvRmT3_T4_T5_T6_T7_T9_mT8_P12ihipStream_tbDpT10_ENKUlT_T0_E_clISt17integral_constantIbLb0EES1A_IbLb1EEEEDaS16_S17_EUlS16_E_NS1_11comp_targetILNS1_3genE9ELNS1_11target_archE1100ELNS1_3gpuE3ELNS1_3repE0EEENS1_30default_config_static_selectorELNS0_4arch9wavefront6targetE0EEEvT1_.has_recursion, 0
	.set _ZN7rocprim17ROCPRIM_400000_NS6detail17trampoline_kernelINS0_14default_configENS1_25partition_config_selectorILNS1_17partition_subalgoE5EsNS0_10empty_typeEbEEZZNS1_14partition_implILS5_5ELb0ES3_mN6thrust23THRUST_200600_302600_NS6detail15normal_iteratorINSA_10device_ptrIsEEEEPS6_NSA_18transform_iteratorINSB_9not_fun_tI7is_trueIsEEESF_NSA_11use_defaultESM_EENS0_5tupleIJSF_S6_EEENSO_IJSG_SG_EEES6_PlJS6_EEE10hipError_tPvRmT3_T4_T5_T6_T7_T9_mT8_P12ihipStream_tbDpT10_ENKUlT_T0_E_clISt17integral_constantIbLb0EES1A_IbLb1EEEEDaS16_S17_EUlS16_E_NS1_11comp_targetILNS1_3genE9ELNS1_11target_archE1100ELNS1_3gpuE3ELNS1_3repE0EEENS1_30default_config_static_selectorELNS0_4arch9wavefront6targetE0EEEvT1_.has_indirect_call, 0
	.section	.AMDGPU.csdata,"",@progbits
; Kernel info:
; codeLenInByte = 0
; TotalNumSgprs: 0
; NumVgprs: 0
; ScratchSize: 0
; MemoryBound: 0
; FloatMode: 240
; IeeeMode: 1
; LDSByteSize: 0 bytes/workgroup (compile time only)
; SGPRBlocks: 0
; VGPRBlocks: 0
; NumSGPRsForWavesPerEU: 1
; NumVGPRsForWavesPerEU: 1
; Occupancy: 16
; WaveLimiterHint : 0
; COMPUTE_PGM_RSRC2:SCRATCH_EN: 0
; COMPUTE_PGM_RSRC2:USER_SGPR: 2
; COMPUTE_PGM_RSRC2:TRAP_HANDLER: 0
; COMPUTE_PGM_RSRC2:TGID_X_EN: 1
; COMPUTE_PGM_RSRC2:TGID_Y_EN: 0
; COMPUTE_PGM_RSRC2:TGID_Z_EN: 0
; COMPUTE_PGM_RSRC2:TIDIG_COMP_CNT: 0
	.section	.text._ZN7rocprim17ROCPRIM_400000_NS6detail17trampoline_kernelINS0_14default_configENS1_25partition_config_selectorILNS1_17partition_subalgoE5EsNS0_10empty_typeEbEEZZNS1_14partition_implILS5_5ELb0ES3_mN6thrust23THRUST_200600_302600_NS6detail15normal_iteratorINSA_10device_ptrIsEEEEPS6_NSA_18transform_iteratorINSB_9not_fun_tI7is_trueIsEEESF_NSA_11use_defaultESM_EENS0_5tupleIJSF_S6_EEENSO_IJSG_SG_EEES6_PlJS6_EEE10hipError_tPvRmT3_T4_T5_T6_T7_T9_mT8_P12ihipStream_tbDpT10_ENKUlT_T0_E_clISt17integral_constantIbLb0EES1A_IbLb1EEEEDaS16_S17_EUlS16_E_NS1_11comp_targetILNS1_3genE8ELNS1_11target_archE1030ELNS1_3gpuE2ELNS1_3repE0EEENS1_30default_config_static_selectorELNS0_4arch9wavefront6targetE0EEEvT1_,"axG",@progbits,_ZN7rocprim17ROCPRIM_400000_NS6detail17trampoline_kernelINS0_14default_configENS1_25partition_config_selectorILNS1_17partition_subalgoE5EsNS0_10empty_typeEbEEZZNS1_14partition_implILS5_5ELb0ES3_mN6thrust23THRUST_200600_302600_NS6detail15normal_iteratorINSA_10device_ptrIsEEEEPS6_NSA_18transform_iteratorINSB_9not_fun_tI7is_trueIsEEESF_NSA_11use_defaultESM_EENS0_5tupleIJSF_S6_EEENSO_IJSG_SG_EEES6_PlJS6_EEE10hipError_tPvRmT3_T4_T5_T6_T7_T9_mT8_P12ihipStream_tbDpT10_ENKUlT_T0_E_clISt17integral_constantIbLb0EES1A_IbLb1EEEEDaS16_S17_EUlS16_E_NS1_11comp_targetILNS1_3genE8ELNS1_11target_archE1030ELNS1_3gpuE2ELNS1_3repE0EEENS1_30default_config_static_selectorELNS0_4arch9wavefront6targetE0EEEvT1_,comdat
	.protected	_ZN7rocprim17ROCPRIM_400000_NS6detail17trampoline_kernelINS0_14default_configENS1_25partition_config_selectorILNS1_17partition_subalgoE5EsNS0_10empty_typeEbEEZZNS1_14partition_implILS5_5ELb0ES3_mN6thrust23THRUST_200600_302600_NS6detail15normal_iteratorINSA_10device_ptrIsEEEEPS6_NSA_18transform_iteratorINSB_9not_fun_tI7is_trueIsEEESF_NSA_11use_defaultESM_EENS0_5tupleIJSF_S6_EEENSO_IJSG_SG_EEES6_PlJS6_EEE10hipError_tPvRmT3_T4_T5_T6_T7_T9_mT8_P12ihipStream_tbDpT10_ENKUlT_T0_E_clISt17integral_constantIbLb0EES1A_IbLb1EEEEDaS16_S17_EUlS16_E_NS1_11comp_targetILNS1_3genE8ELNS1_11target_archE1030ELNS1_3gpuE2ELNS1_3repE0EEENS1_30default_config_static_selectorELNS0_4arch9wavefront6targetE0EEEvT1_ ; -- Begin function _ZN7rocprim17ROCPRIM_400000_NS6detail17trampoline_kernelINS0_14default_configENS1_25partition_config_selectorILNS1_17partition_subalgoE5EsNS0_10empty_typeEbEEZZNS1_14partition_implILS5_5ELb0ES3_mN6thrust23THRUST_200600_302600_NS6detail15normal_iteratorINSA_10device_ptrIsEEEEPS6_NSA_18transform_iteratorINSB_9not_fun_tI7is_trueIsEEESF_NSA_11use_defaultESM_EENS0_5tupleIJSF_S6_EEENSO_IJSG_SG_EEES6_PlJS6_EEE10hipError_tPvRmT3_T4_T5_T6_T7_T9_mT8_P12ihipStream_tbDpT10_ENKUlT_T0_E_clISt17integral_constantIbLb0EES1A_IbLb1EEEEDaS16_S17_EUlS16_E_NS1_11comp_targetILNS1_3genE8ELNS1_11target_archE1030ELNS1_3gpuE2ELNS1_3repE0EEENS1_30default_config_static_selectorELNS0_4arch9wavefront6targetE0EEEvT1_
	.globl	_ZN7rocprim17ROCPRIM_400000_NS6detail17trampoline_kernelINS0_14default_configENS1_25partition_config_selectorILNS1_17partition_subalgoE5EsNS0_10empty_typeEbEEZZNS1_14partition_implILS5_5ELb0ES3_mN6thrust23THRUST_200600_302600_NS6detail15normal_iteratorINSA_10device_ptrIsEEEEPS6_NSA_18transform_iteratorINSB_9not_fun_tI7is_trueIsEEESF_NSA_11use_defaultESM_EENS0_5tupleIJSF_S6_EEENSO_IJSG_SG_EEES6_PlJS6_EEE10hipError_tPvRmT3_T4_T5_T6_T7_T9_mT8_P12ihipStream_tbDpT10_ENKUlT_T0_E_clISt17integral_constantIbLb0EES1A_IbLb1EEEEDaS16_S17_EUlS16_E_NS1_11comp_targetILNS1_3genE8ELNS1_11target_archE1030ELNS1_3gpuE2ELNS1_3repE0EEENS1_30default_config_static_selectorELNS0_4arch9wavefront6targetE0EEEvT1_
	.p2align	8
	.type	_ZN7rocprim17ROCPRIM_400000_NS6detail17trampoline_kernelINS0_14default_configENS1_25partition_config_selectorILNS1_17partition_subalgoE5EsNS0_10empty_typeEbEEZZNS1_14partition_implILS5_5ELb0ES3_mN6thrust23THRUST_200600_302600_NS6detail15normal_iteratorINSA_10device_ptrIsEEEEPS6_NSA_18transform_iteratorINSB_9not_fun_tI7is_trueIsEEESF_NSA_11use_defaultESM_EENS0_5tupleIJSF_S6_EEENSO_IJSG_SG_EEES6_PlJS6_EEE10hipError_tPvRmT3_T4_T5_T6_T7_T9_mT8_P12ihipStream_tbDpT10_ENKUlT_T0_E_clISt17integral_constantIbLb0EES1A_IbLb1EEEEDaS16_S17_EUlS16_E_NS1_11comp_targetILNS1_3genE8ELNS1_11target_archE1030ELNS1_3gpuE2ELNS1_3repE0EEENS1_30default_config_static_selectorELNS0_4arch9wavefront6targetE0EEEvT1_,@function
_ZN7rocprim17ROCPRIM_400000_NS6detail17trampoline_kernelINS0_14default_configENS1_25partition_config_selectorILNS1_17partition_subalgoE5EsNS0_10empty_typeEbEEZZNS1_14partition_implILS5_5ELb0ES3_mN6thrust23THRUST_200600_302600_NS6detail15normal_iteratorINSA_10device_ptrIsEEEEPS6_NSA_18transform_iteratorINSB_9not_fun_tI7is_trueIsEEESF_NSA_11use_defaultESM_EENS0_5tupleIJSF_S6_EEENSO_IJSG_SG_EEES6_PlJS6_EEE10hipError_tPvRmT3_T4_T5_T6_T7_T9_mT8_P12ihipStream_tbDpT10_ENKUlT_T0_E_clISt17integral_constantIbLb0EES1A_IbLb1EEEEDaS16_S17_EUlS16_E_NS1_11comp_targetILNS1_3genE8ELNS1_11target_archE1030ELNS1_3gpuE2ELNS1_3repE0EEENS1_30default_config_static_selectorELNS0_4arch9wavefront6targetE0EEEvT1_: ; @_ZN7rocprim17ROCPRIM_400000_NS6detail17trampoline_kernelINS0_14default_configENS1_25partition_config_selectorILNS1_17partition_subalgoE5EsNS0_10empty_typeEbEEZZNS1_14partition_implILS5_5ELb0ES3_mN6thrust23THRUST_200600_302600_NS6detail15normal_iteratorINSA_10device_ptrIsEEEEPS6_NSA_18transform_iteratorINSB_9not_fun_tI7is_trueIsEEESF_NSA_11use_defaultESM_EENS0_5tupleIJSF_S6_EEENSO_IJSG_SG_EEES6_PlJS6_EEE10hipError_tPvRmT3_T4_T5_T6_T7_T9_mT8_P12ihipStream_tbDpT10_ENKUlT_T0_E_clISt17integral_constantIbLb0EES1A_IbLb1EEEEDaS16_S17_EUlS16_E_NS1_11comp_targetILNS1_3genE8ELNS1_11target_archE1030ELNS1_3gpuE2ELNS1_3repE0EEENS1_30default_config_static_selectorELNS0_4arch9wavefront6targetE0EEEvT1_
; %bb.0:
	.section	.rodata,"a",@progbits
	.p2align	6, 0x0
	.amdhsa_kernel _ZN7rocprim17ROCPRIM_400000_NS6detail17trampoline_kernelINS0_14default_configENS1_25partition_config_selectorILNS1_17partition_subalgoE5EsNS0_10empty_typeEbEEZZNS1_14partition_implILS5_5ELb0ES3_mN6thrust23THRUST_200600_302600_NS6detail15normal_iteratorINSA_10device_ptrIsEEEEPS6_NSA_18transform_iteratorINSB_9not_fun_tI7is_trueIsEEESF_NSA_11use_defaultESM_EENS0_5tupleIJSF_S6_EEENSO_IJSG_SG_EEES6_PlJS6_EEE10hipError_tPvRmT3_T4_T5_T6_T7_T9_mT8_P12ihipStream_tbDpT10_ENKUlT_T0_E_clISt17integral_constantIbLb0EES1A_IbLb1EEEEDaS16_S17_EUlS16_E_NS1_11comp_targetILNS1_3genE8ELNS1_11target_archE1030ELNS1_3gpuE2ELNS1_3repE0EEENS1_30default_config_static_selectorELNS0_4arch9wavefront6targetE0EEEvT1_
		.amdhsa_group_segment_fixed_size 0
		.amdhsa_private_segment_fixed_size 0
		.amdhsa_kernarg_size 136
		.amdhsa_user_sgpr_count 2
		.amdhsa_user_sgpr_dispatch_ptr 0
		.amdhsa_user_sgpr_queue_ptr 0
		.amdhsa_user_sgpr_kernarg_segment_ptr 1
		.amdhsa_user_sgpr_dispatch_id 0
		.amdhsa_user_sgpr_private_segment_size 0
		.amdhsa_wavefront_size32 1
		.amdhsa_uses_dynamic_stack 0
		.amdhsa_enable_private_segment 0
		.amdhsa_system_sgpr_workgroup_id_x 1
		.amdhsa_system_sgpr_workgroup_id_y 0
		.amdhsa_system_sgpr_workgroup_id_z 0
		.amdhsa_system_sgpr_workgroup_info 0
		.amdhsa_system_vgpr_workitem_id 0
		.amdhsa_next_free_vgpr 1
		.amdhsa_next_free_sgpr 1
		.amdhsa_reserve_vcc 0
		.amdhsa_float_round_mode_32 0
		.amdhsa_float_round_mode_16_64 0
		.amdhsa_float_denorm_mode_32 3
		.amdhsa_float_denorm_mode_16_64 3
		.amdhsa_fp16_overflow 0
		.amdhsa_workgroup_processor_mode 1
		.amdhsa_memory_ordered 1
		.amdhsa_forward_progress 1
		.amdhsa_inst_pref_size 0
		.amdhsa_round_robin_scheduling 0
		.amdhsa_exception_fp_ieee_invalid_op 0
		.amdhsa_exception_fp_denorm_src 0
		.amdhsa_exception_fp_ieee_div_zero 0
		.amdhsa_exception_fp_ieee_overflow 0
		.amdhsa_exception_fp_ieee_underflow 0
		.amdhsa_exception_fp_ieee_inexact 0
		.amdhsa_exception_int_div_zero 0
	.end_amdhsa_kernel
	.section	.text._ZN7rocprim17ROCPRIM_400000_NS6detail17trampoline_kernelINS0_14default_configENS1_25partition_config_selectorILNS1_17partition_subalgoE5EsNS0_10empty_typeEbEEZZNS1_14partition_implILS5_5ELb0ES3_mN6thrust23THRUST_200600_302600_NS6detail15normal_iteratorINSA_10device_ptrIsEEEEPS6_NSA_18transform_iteratorINSB_9not_fun_tI7is_trueIsEEESF_NSA_11use_defaultESM_EENS0_5tupleIJSF_S6_EEENSO_IJSG_SG_EEES6_PlJS6_EEE10hipError_tPvRmT3_T4_T5_T6_T7_T9_mT8_P12ihipStream_tbDpT10_ENKUlT_T0_E_clISt17integral_constantIbLb0EES1A_IbLb1EEEEDaS16_S17_EUlS16_E_NS1_11comp_targetILNS1_3genE8ELNS1_11target_archE1030ELNS1_3gpuE2ELNS1_3repE0EEENS1_30default_config_static_selectorELNS0_4arch9wavefront6targetE0EEEvT1_,"axG",@progbits,_ZN7rocprim17ROCPRIM_400000_NS6detail17trampoline_kernelINS0_14default_configENS1_25partition_config_selectorILNS1_17partition_subalgoE5EsNS0_10empty_typeEbEEZZNS1_14partition_implILS5_5ELb0ES3_mN6thrust23THRUST_200600_302600_NS6detail15normal_iteratorINSA_10device_ptrIsEEEEPS6_NSA_18transform_iteratorINSB_9not_fun_tI7is_trueIsEEESF_NSA_11use_defaultESM_EENS0_5tupleIJSF_S6_EEENSO_IJSG_SG_EEES6_PlJS6_EEE10hipError_tPvRmT3_T4_T5_T6_T7_T9_mT8_P12ihipStream_tbDpT10_ENKUlT_T0_E_clISt17integral_constantIbLb0EES1A_IbLb1EEEEDaS16_S17_EUlS16_E_NS1_11comp_targetILNS1_3genE8ELNS1_11target_archE1030ELNS1_3gpuE2ELNS1_3repE0EEENS1_30default_config_static_selectorELNS0_4arch9wavefront6targetE0EEEvT1_,comdat
.Lfunc_end1564:
	.size	_ZN7rocprim17ROCPRIM_400000_NS6detail17trampoline_kernelINS0_14default_configENS1_25partition_config_selectorILNS1_17partition_subalgoE5EsNS0_10empty_typeEbEEZZNS1_14partition_implILS5_5ELb0ES3_mN6thrust23THRUST_200600_302600_NS6detail15normal_iteratorINSA_10device_ptrIsEEEEPS6_NSA_18transform_iteratorINSB_9not_fun_tI7is_trueIsEEESF_NSA_11use_defaultESM_EENS0_5tupleIJSF_S6_EEENSO_IJSG_SG_EEES6_PlJS6_EEE10hipError_tPvRmT3_T4_T5_T6_T7_T9_mT8_P12ihipStream_tbDpT10_ENKUlT_T0_E_clISt17integral_constantIbLb0EES1A_IbLb1EEEEDaS16_S17_EUlS16_E_NS1_11comp_targetILNS1_3genE8ELNS1_11target_archE1030ELNS1_3gpuE2ELNS1_3repE0EEENS1_30default_config_static_selectorELNS0_4arch9wavefront6targetE0EEEvT1_, .Lfunc_end1564-_ZN7rocprim17ROCPRIM_400000_NS6detail17trampoline_kernelINS0_14default_configENS1_25partition_config_selectorILNS1_17partition_subalgoE5EsNS0_10empty_typeEbEEZZNS1_14partition_implILS5_5ELb0ES3_mN6thrust23THRUST_200600_302600_NS6detail15normal_iteratorINSA_10device_ptrIsEEEEPS6_NSA_18transform_iteratorINSB_9not_fun_tI7is_trueIsEEESF_NSA_11use_defaultESM_EENS0_5tupleIJSF_S6_EEENSO_IJSG_SG_EEES6_PlJS6_EEE10hipError_tPvRmT3_T4_T5_T6_T7_T9_mT8_P12ihipStream_tbDpT10_ENKUlT_T0_E_clISt17integral_constantIbLb0EES1A_IbLb1EEEEDaS16_S17_EUlS16_E_NS1_11comp_targetILNS1_3genE8ELNS1_11target_archE1030ELNS1_3gpuE2ELNS1_3repE0EEENS1_30default_config_static_selectorELNS0_4arch9wavefront6targetE0EEEvT1_
                                        ; -- End function
	.set _ZN7rocprim17ROCPRIM_400000_NS6detail17trampoline_kernelINS0_14default_configENS1_25partition_config_selectorILNS1_17partition_subalgoE5EsNS0_10empty_typeEbEEZZNS1_14partition_implILS5_5ELb0ES3_mN6thrust23THRUST_200600_302600_NS6detail15normal_iteratorINSA_10device_ptrIsEEEEPS6_NSA_18transform_iteratorINSB_9not_fun_tI7is_trueIsEEESF_NSA_11use_defaultESM_EENS0_5tupleIJSF_S6_EEENSO_IJSG_SG_EEES6_PlJS6_EEE10hipError_tPvRmT3_T4_T5_T6_T7_T9_mT8_P12ihipStream_tbDpT10_ENKUlT_T0_E_clISt17integral_constantIbLb0EES1A_IbLb1EEEEDaS16_S17_EUlS16_E_NS1_11comp_targetILNS1_3genE8ELNS1_11target_archE1030ELNS1_3gpuE2ELNS1_3repE0EEENS1_30default_config_static_selectorELNS0_4arch9wavefront6targetE0EEEvT1_.num_vgpr, 0
	.set _ZN7rocprim17ROCPRIM_400000_NS6detail17trampoline_kernelINS0_14default_configENS1_25partition_config_selectorILNS1_17partition_subalgoE5EsNS0_10empty_typeEbEEZZNS1_14partition_implILS5_5ELb0ES3_mN6thrust23THRUST_200600_302600_NS6detail15normal_iteratorINSA_10device_ptrIsEEEEPS6_NSA_18transform_iteratorINSB_9not_fun_tI7is_trueIsEEESF_NSA_11use_defaultESM_EENS0_5tupleIJSF_S6_EEENSO_IJSG_SG_EEES6_PlJS6_EEE10hipError_tPvRmT3_T4_T5_T6_T7_T9_mT8_P12ihipStream_tbDpT10_ENKUlT_T0_E_clISt17integral_constantIbLb0EES1A_IbLb1EEEEDaS16_S17_EUlS16_E_NS1_11comp_targetILNS1_3genE8ELNS1_11target_archE1030ELNS1_3gpuE2ELNS1_3repE0EEENS1_30default_config_static_selectorELNS0_4arch9wavefront6targetE0EEEvT1_.num_agpr, 0
	.set _ZN7rocprim17ROCPRIM_400000_NS6detail17trampoline_kernelINS0_14default_configENS1_25partition_config_selectorILNS1_17partition_subalgoE5EsNS0_10empty_typeEbEEZZNS1_14partition_implILS5_5ELb0ES3_mN6thrust23THRUST_200600_302600_NS6detail15normal_iteratorINSA_10device_ptrIsEEEEPS6_NSA_18transform_iteratorINSB_9not_fun_tI7is_trueIsEEESF_NSA_11use_defaultESM_EENS0_5tupleIJSF_S6_EEENSO_IJSG_SG_EEES6_PlJS6_EEE10hipError_tPvRmT3_T4_T5_T6_T7_T9_mT8_P12ihipStream_tbDpT10_ENKUlT_T0_E_clISt17integral_constantIbLb0EES1A_IbLb1EEEEDaS16_S17_EUlS16_E_NS1_11comp_targetILNS1_3genE8ELNS1_11target_archE1030ELNS1_3gpuE2ELNS1_3repE0EEENS1_30default_config_static_selectorELNS0_4arch9wavefront6targetE0EEEvT1_.numbered_sgpr, 0
	.set _ZN7rocprim17ROCPRIM_400000_NS6detail17trampoline_kernelINS0_14default_configENS1_25partition_config_selectorILNS1_17partition_subalgoE5EsNS0_10empty_typeEbEEZZNS1_14partition_implILS5_5ELb0ES3_mN6thrust23THRUST_200600_302600_NS6detail15normal_iteratorINSA_10device_ptrIsEEEEPS6_NSA_18transform_iteratorINSB_9not_fun_tI7is_trueIsEEESF_NSA_11use_defaultESM_EENS0_5tupleIJSF_S6_EEENSO_IJSG_SG_EEES6_PlJS6_EEE10hipError_tPvRmT3_T4_T5_T6_T7_T9_mT8_P12ihipStream_tbDpT10_ENKUlT_T0_E_clISt17integral_constantIbLb0EES1A_IbLb1EEEEDaS16_S17_EUlS16_E_NS1_11comp_targetILNS1_3genE8ELNS1_11target_archE1030ELNS1_3gpuE2ELNS1_3repE0EEENS1_30default_config_static_selectorELNS0_4arch9wavefront6targetE0EEEvT1_.num_named_barrier, 0
	.set _ZN7rocprim17ROCPRIM_400000_NS6detail17trampoline_kernelINS0_14default_configENS1_25partition_config_selectorILNS1_17partition_subalgoE5EsNS0_10empty_typeEbEEZZNS1_14partition_implILS5_5ELb0ES3_mN6thrust23THRUST_200600_302600_NS6detail15normal_iteratorINSA_10device_ptrIsEEEEPS6_NSA_18transform_iteratorINSB_9not_fun_tI7is_trueIsEEESF_NSA_11use_defaultESM_EENS0_5tupleIJSF_S6_EEENSO_IJSG_SG_EEES6_PlJS6_EEE10hipError_tPvRmT3_T4_T5_T6_T7_T9_mT8_P12ihipStream_tbDpT10_ENKUlT_T0_E_clISt17integral_constantIbLb0EES1A_IbLb1EEEEDaS16_S17_EUlS16_E_NS1_11comp_targetILNS1_3genE8ELNS1_11target_archE1030ELNS1_3gpuE2ELNS1_3repE0EEENS1_30default_config_static_selectorELNS0_4arch9wavefront6targetE0EEEvT1_.private_seg_size, 0
	.set _ZN7rocprim17ROCPRIM_400000_NS6detail17trampoline_kernelINS0_14default_configENS1_25partition_config_selectorILNS1_17partition_subalgoE5EsNS0_10empty_typeEbEEZZNS1_14partition_implILS5_5ELb0ES3_mN6thrust23THRUST_200600_302600_NS6detail15normal_iteratorINSA_10device_ptrIsEEEEPS6_NSA_18transform_iteratorINSB_9not_fun_tI7is_trueIsEEESF_NSA_11use_defaultESM_EENS0_5tupleIJSF_S6_EEENSO_IJSG_SG_EEES6_PlJS6_EEE10hipError_tPvRmT3_T4_T5_T6_T7_T9_mT8_P12ihipStream_tbDpT10_ENKUlT_T0_E_clISt17integral_constantIbLb0EES1A_IbLb1EEEEDaS16_S17_EUlS16_E_NS1_11comp_targetILNS1_3genE8ELNS1_11target_archE1030ELNS1_3gpuE2ELNS1_3repE0EEENS1_30default_config_static_selectorELNS0_4arch9wavefront6targetE0EEEvT1_.uses_vcc, 0
	.set _ZN7rocprim17ROCPRIM_400000_NS6detail17trampoline_kernelINS0_14default_configENS1_25partition_config_selectorILNS1_17partition_subalgoE5EsNS0_10empty_typeEbEEZZNS1_14partition_implILS5_5ELb0ES3_mN6thrust23THRUST_200600_302600_NS6detail15normal_iteratorINSA_10device_ptrIsEEEEPS6_NSA_18transform_iteratorINSB_9not_fun_tI7is_trueIsEEESF_NSA_11use_defaultESM_EENS0_5tupleIJSF_S6_EEENSO_IJSG_SG_EEES6_PlJS6_EEE10hipError_tPvRmT3_T4_T5_T6_T7_T9_mT8_P12ihipStream_tbDpT10_ENKUlT_T0_E_clISt17integral_constantIbLb0EES1A_IbLb1EEEEDaS16_S17_EUlS16_E_NS1_11comp_targetILNS1_3genE8ELNS1_11target_archE1030ELNS1_3gpuE2ELNS1_3repE0EEENS1_30default_config_static_selectorELNS0_4arch9wavefront6targetE0EEEvT1_.uses_flat_scratch, 0
	.set _ZN7rocprim17ROCPRIM_400000_NS6detail17trampoline_kernelINS0_14default_configENS1_25partition_config_selectorILNS1_17partition_subalgoE5EsNS0_10empty_typeEbEEZZNS1_14partition_implILS5_5ELb0ES3_mN6thrust23THRUST_200600_302600_NS6detail15normal_iteratorINSA_10device_ptrIsEEEEPS6_NSA_18transform_iteratorINSB_9not_fun_tI7is_trueIsEEESF_NSA_11use_defaultESM_EENS0_5tupleIJSF_S6_EEENSO_IJSG_SG_EEES6_PlJS6_EEE10hipError_tPvRmT3_T4_T5_T6_T7_T9_mT8_P12ihipStream_tbDpT10_ENKUlT_T0_E_clISt17integral_constantIbLb0EES1A_IbLb1EEEEDaS16_S17_EUlS16_E_NS1_11comp_targetILNS1_3genE8ELNS1_11target_archE1030ELNS1_3gpuE2ELNS1_3repE0EEENS1_30default_config_static_selectorELNS0_4arch9wavefront6targetE0EEEvT1_.has_dyn_sized_stack, 0
	.set _ZN7rocprim17ROCPRIM_400000_NS6detail17trampoline_kernelINS0_14default_configENS1_25partition_config_selectorILNS1_17partition_subalgoE5EsNS0_10empty_typeEbEEZZNS1_14partition_implILS5_5ELb0ES3_mN6thrust23THRUST_200600_302600_NS6detail15normal_iteratorINSA_10device_ptrIsEEEEPS6_NSA_18transform_iteratorINSB_9not_fun_tI7is_trueIsEEESF_NSA_11use_defaultESM_EENS0_5tupleIJSF_S6_EEENSO_IJSG_SG_EEES6_PlJS6_EEE10hipError_tPvRmT3_T4_T5_T6_T7_T9_mT8_P12ihipStream_tbDpT10_ENKUlT_T0_E_clISt17integral_constantIbLb0EES1A_IbLb1EEEEDaS16_S17_EUlS16_E_NS1_11comp_targetILNS1_3genE8ELNS1_11target_archE1030ELNS1_3gpuE2ELNS1_3repE0EEENS1_30default_config_static_selectorELNS0_4arch9wavefront6targetE0EEEvT1_.has_recursion, 0
	.set _ZN7rocprim17ROCPRIM_400000_NS6detail17trampoline_kernelINS0_14default_configENS1_25partition_config_selectorILNS1_17partition_subalgoE5EsNS0_10empty_typeEbEEZZNS1_14partition_implILS5_5ELb0ES3_mN6thrust23THRUST_200600_302600_NS6detail15normal_iteratorINSA_10device_ptrIsEEEEPS6_NSA_18transform_iteratorINSB_9not_fun_tI7is_trueIsEEESF_NSA_11use_defaultESM_EENS0_5tupleIJSF_S6_EEENSO_IJSG_SG_EEES6_PlJS6_EEE10hipError_tPvRmT3_T4_T5_T6_T7_T9_mT8_P12ihipStream_tbDpT10_ENKUlT_T0_E_clISt17integral_constantIbLb0EES1A_IbLb1EEEEDaS16_S17_EUlS16_E_NS1_11comp_targetILNS1_3genE8ELNS1_11target_archE1030ELNS1_3gpuE2ELNS1_3repE0EEENS1_30default_config_static_selectorELNS0_4arch9wavefront6targetE0EEEvT1_.has_indirect_call, 0
	.section	.AMDGPU.csdata,"",@progbits
; Kernel info:
; codeLenInByte = 0
; TotalNumSgprs: 0
; NumVgprs: 0
; ScratchSize: 0
; MemoryBound: 0
; FloatMode: 240
; IeeeMode: 1
; LDSByteSize: 0 bytes/workgroup (compile time only)
; SGPRBlocks: 0
; VGPRBlocks: 0
; NumSGPRsForWavesPerEU: 1
; NumVGPRsForWavesPerEU: 1
; Occupancy: 16
; WaveLimiterHint : 0
; COMPUTE_PGM_RSRC2:SCRATCH_EN: 0
; COMPUTE_PGM_RSRC2:USER_SGPR: 2
; COMPUTE_PGM_RSRC2:TRAP_HANDLER: 0
; COMPUTE_PGM_RSRC2:TGID_X_EN: 1
; COMPUTE_PGM_RSRC2:TGID_Y_EN: 0
; COMPUTE_PGM_RSRC2:TGID_Z_EN: 0
; COMPUTE_PGM_RSRC2:TIDIG_COMP_CNT: 0
	.section	.text._ZN7rocprim17ROCPRIM_400000_NS6detail17trampoline_kernelINS0_14default_configENS1_25partition_config_selectorILNS1_17partition_subalgoE6EdNS0_10empty_typeEbEEZZNS1_14partition_implILS5_6ELb0ES3_mN6thrust23THRUST_200600_302600_NS6detail15normal_iteratorINSA_10device_ptrIdEEEEPS6_SG_NS0_5tupleIJNSA_16discard_iteratorINSA_11use_defaultEEES6_EEENSH_IJSG_SG_EEES6_PlJNSB_9not_fun_tINSB_14equal_to_valueIdEEEEEEE10hipError_tPvRmT3_T4_T5_T6_T7_T9_mT8_P12ihipStream_tbDpT10_ENKUlT_T0_E_clISt17integral_constantIbLb0EES1B_EEDaS16_S17_EUlS16_E_NS1_11comp_targetILNS1_3genE0ELNS1_11target_archE4294967295ELNS1_3gpuE0ELNS1_3repE0EEENS1_30default_config_static_selectorELNS0_4arch9wavefront6targetE0EEEvT1_,"axG",@progbits,_ZN7rocprim17ROCPRIM_400000_NS6detail17trampoline_kernelINS0_14default_configENS1_25partition_config_selectorILNS1_17partition_subalgoE6EdNS0_10empty_typeEbEEZZNS1_14partition_implILS5_6ELb0ES3_mN6thrust23THRUST_200600_302600_NS6detail15normal_iteratorINSA_10device_ptrIdEEEEPS6_SG_NS0_5tupleIJNSA_16discard_iteratorINSA_11use_defaultEEES6_EEENSH_IJSG_SG_EEES6_PlJNSB_9not_fun_tINSB_14equal_to_valueIdEEEEEEE10hipError_tPvRmT3_T4_T5_T6_T7_T9_mT8_P12ihipStream_tbDpT10_ENKUlT_T0_E_clISt17integral_constantIbLb0EES1B_EEDaS16_S17_EUlS16_E_NS1_11comp_targetILNS1_3genE0ELNS1_11target_archE4294967295ELNS1_3gpuE0ELNS1_3repE0EEENS1_30default_config_static_selectorELNS0_4arch9wavefront6targetE0EEEvT1_,comdat
	.protected	_ZN7rocprim17ROCPRIM_400000_NS6detail17trampoline_kernelINS0_14default_configENS1_25partition_config_selectorILNS1_17partition_subalgoE6EdNS0_10empty_typeEbEEZZNS1_14partition_implILS5_6ELb0ES3_mN6thrust23THRUST_200600_302600_NS6detail15normal_iteratorINSA_10device_ptrIdEEEEPS6_SG_NS0_5tupleIJNSA_16discard_iteratorINSA_11use_defaultEEES6_EEENSH_IJSG_SG_EEES6_PlJNSB_9not_fun_tINSB_14equal_to_valueIdEEEEEEE10hipError_tPvRmT3_T4_T5_T6_T7_T9_mT8_P12ihipStream_tbDpT10_ENKUlT_T0_E_clISt17integral_constantIbLb0EES1B_EEDaS16_S17_EUlS16_E_NS1_11comp_targetILNS1_3genE0ELNS1_11target_archE4294967295ELNS1_3gpuE0ELNS1_3repE0EEENS1_30default_config_static_selectorELNS0_4arch9wavefront6targetE0EEEvT1_ ; -- Begin function _ZN7rocprim17ROCPRIM_400000_NS6detail17trampoline_kernelINS0_14default_configENS1_25partition_config_selectorILNS1_17partition_subalgoE6EdNS0_10empty_typeEbEEZZNS1_14partition_implILS5_6ELb0ES3_mN6thrust23THRUST_200600_302600_NS6detail15normal_iteratorINSA_10device_ptrIdEEEEPS6_SG_NS0_5tupleIJNSA_16discard_iteratorINSA_11use_defaultEEES6_EEENSH_IJSG_SG_EEES6_PlJNSB_9not_fun_tINSB_14equal_to_valueIdEEEEEEE10hipError_tPvRmT3_T4_T5_T6_T7_T9_mT8_P12ihipStream_tbDpT10_ENKUlT_T0_E_clISt17integral_constantIbLb0EES1B_EEDaS16_S17_EUlS16_E_NS1_11comp_targetILNS1_3genE0ELNS1_11target_archE4294967295ELNS1_3gpuE0ELNS1_3repE0EEENS1_30default_config_static_selectorELNS0_4arch9wavefront6targetE0EEEvT1_
	.globl	_ZN7rocprim17ROCPRIM_400000_NS6detail17trampoline_kernelINS0_14default_configENS1_25partition_config_selectorILNS1_17partition_subalgoE6EdNS0_10empty_typeEbEEZZNS1_14partition_implILS5_6ELb0ES3_mN6thrust23THRUST_200600_302600_NS6detail15normal_iteratorINSA_10device_ptrIdEEEEPS6_SG_NS0_5tupleIJNSA_16discard_iteratorINSA_11use_defaultEEES6_EEENSH_IJSG_SG_EEES6_PlJNSB_9not_fun_tINSB_14equal_to_valueIdEEEEEEE10hipError_tPvRmT3_T4_T5_T6_T7_T9_mT8_P12ihipStream_tbDpT10_ENKUlT_T0_E_clISt17integral_constantIbLb0EES1B_EEDaS16_S17_EUlS16_E_NS1_11comp_targetILNS1_3genE0ELNS1_11target_archE4294967295ELNS1_3gpuE0ELNS1_3repE0EEENS1_30default_config_static_selectorELNS0_4arch9wavefront6targetE0EEEvT1_
	.p2align	8
	.type	_ZN7rocprim17ROCPRIM_400000_NS6detail17trampoline_kernelINS0_14default_configENS1_25partition_config_selectorILNS1_17partition_subalgoE6EdNS0_10empty_typeEbEEZZNS1_14partition_implILS5_6ELb0ES3_mN6thrust23THRUST_200600_302600_NS6detail15normal_iteratorINSA_10device_ptrIdEEEEPS6_SG_NS0_5tupleIJNSA_16discard_iteratorINSA_11use_defaultEEES6_EEENSH_IJSG_SG_EEES6_PlJNSB_9not_fun_tINSB_14equal_to_valueIdEEEEEEE10hipError_tPvRmT3_T4_T5_T6_T7_T9_mT8_P12ihipStream_tbDpT10_ENKUlT_T0_E_clISt17integral_constantIbLb0EES1B_EEDaS16_S17_EUlS16_E_NS1_11comp_targetILNS1_3genE0ELNS1_11target_archE4294967295ELNS1_3gpuE0ELNS1_3repE0EEENS1_30default_config_static_selectorELNS0_4arch9wavefront6targetE0EEEvT1_,@function
_ZN7rocprim17ROCPRIM_400000_NS6detail17trampoline_kernelINS0_14default_configENS1_25partition_config_selectorILNS1_17partition_subalgoE6EdNS0_10empty_typeEbEEZZNS1_14partition_implILS5_6ELb0ES3_mN6thrust23THRUST_200600_302600_NS6detail15normal_iteratorINSA_10device_ptrIdEEEEPS6_SG_NS0_5tupleIJNSA_16discard_iteratorINSA_11use_defaultEEES6_EEENSH_IJSG_SG_EEES6_PlJNSB_9not_fun_tINSB_14equal_to_valueIdEEEEEEE10hipError_tPvRmT3_T4_T5_T6_T7_T9_mT8_P12ihipStream_tbDpT10_ENKUlT_T0_E_clISt17integral_constantIbLb0EES1B_EEDaS16_S17_EUlS16_E_NS1_11comp_targetILNS1_3genE0ELNS1_11target_archE4294967295ELNS1_3gpuE0ELNS1_3repE0EEENS1_30default_config_static_selectorELNS0_4arch9wavefront6targetE0EEEvT1_: ; @_ZN7rocprim17ROCPRIM_400000_NS6detail17trampoline_kernelINS0_14default_configENS1_25partition_config_selectorILNS1_17partition_subalgoE6EdNS0_10empty_typeEbEEZZNS1_14partition_implILS5_6ELb0ES3_mN6thrust23THRUST_200600_302600_NS6detail15normal_iteratorINSA_10device_ptrIdEEEEPS6_SG_NS0_5tupleIJNSA_16discard_iteratorINSA_11use_defaultEEES6_EEENSH_IJSG_SG_EEES6_PlJNSB_9not_fun_tINSB_14equal_to_valueIdEEEEEEE10hipError_tPvRmT3_T4_T5_T6_T7_T9_mT8_P12ihipStream_tbDpT10_ENKUlT_T0_E_clISt17integral_constantIbLb0EES1B_EEDaS16_S17_EUlS16_E_NS1_11comp_targetILNS1_3genE0ELNS1_11target_archE4294967295ELNS1_3gpuE0ELNS1_3repE0EEENS1_30default_config_static_selectorELNS0_4arch9wavefront6targetE0EEEvT1_
; %bb.0:
	.section	.rodata,"a",@progbits
	.p2align	6, 0x0
	.amdhsa_kernel _ZN7rocprim17ROCPRIM_400000_NS6detail17trampoline_kernelINS0_14default_configENS1_25partition_config_selectorILNS1_17partition_subalgoE6EdNS0_10empty_typeEbEEZZNS1_14partition_implILS5_6ELb0ES3_mN6thrust23THRUST_200600_302600_NS6detail15normal_iteratorINSA_10device_ptrIdEEEEPS6_SG_NS0_5tupleIJNSA_16discard_iteratorINSA_11use_defaultEEES6_EEENSH_IJSG_SG_EEES6_PlJNSB_9not_fun_tINSB_14equal_to_valueIdEEEEEEE10hipError_tPvRmT3_T4_T5_T6_T7_T9_mT8_P12ihipStream_tbDpT10_ENKUlT_T0_E_clISt17integral_constantIbLb0EES1B_EEDaS16_S17_EUlS16_E_NS1_11comp_targetILNS1_3genE0ELNS1_11target_archE4294967295ELNS1_3gpuE0ELNS1_3repE0EEENS1_30default_config_static_selectorELNS0_4arch9wavefront6targetE0EEEvT1_
		.amdhsa_group_segment_fixed_size 0
		.amdhsa_private_segment_fixed_size 0
		.amdhsa_kernarg_size 128
		.amdhsa_user_sgpr_count 2
		.amdhsa_user_sgpr_dispatch_ptr 0
		.amdhsa_user_sgpr_queue_ptr 0
		.amdhsa_user_sgpr_kernarg_segment_ptr 1
		.amdhsa_user_sgpr_dispatch_id 0
		.amdhsa_user_sgpr_private_segment_size 0
		.amdhsa_wavefront_size32 1
		.amdhsa_uses_dynamic_stack 0
		.amdhsa_enable_private_segment 0
		.amdhsa_system_sgpr_workgroup_id_x 1
		.amdhsa_system_sgpr_workgroup_id_y 0
		.amdhsa_system_sgpr_workgroup_id_z 0
		.amdhsa_system_sgpr_workgroup_info 0
		.amdhsa_system_vgpr_workitem_id 0
		.amdhsa_next_free_vgpr 1
		.amdhsa_next_free_sgpr 1
		.amdhsa_reserve_vcc 0
		.amdhsa_float_round_mode_32 0
		.amdhsa_float_round_mode_16_64 0
		.amdhsa_float_denorm_mode_32 3
		.amdhsa_float_denorm_mode_16_64 3
		.amdhsa_fp16_overflow 0
		.amdhsa_workgroup_processor_mode 1
		.amdhsa_memory_ordered 1
		.amdhsa_forward_progress 1
		.amdhsa_inst_pref_size 0
		.amdhsa_round_robin_scheduling 0
		.amdhsa_exception_fp_ieee_invalid_op 0
		.amdhsa_exception_fp_denorm_src 0
		.amdhsa_exception_fp_ieee_div_zero 0
		.amdhsa_exception_fp_ieee_overflow 0
		.amdhsa_exception_fp_ieee_underflow 0
		.amdhsa_exception_fp_ieee_inexact 0
		.amdhsa_exception_int_div_zero 0
	.end_amdhsa_kernel
	.section	.text._ZN7rocprim17ROCPRIM_400000_NS6detail17trampoline_kernelINS0_14default_configENS1_25partition_config_selectorILNS1_17partition_subalgoE6EdNS0_10empty_typeEbEEZZNS1_14partition_implILS5_6ELb0ES3_mN6thrust23THRUST_200600_302600_NS6detail15normal_iteratorINSA_10device_ptrIdEEEEPS6_SG_NS0_5tupleIJNSA_16discard_iteratorINSA_11use_defaultEEES6_EEENSH_IJSG_SG_EEES6_PlJNSB_9not_fun_tINSB_14equal_to_valueIdEEEEEEE10hipError_tPvRmT3_T4_T5_T6_T7_T9_mT8_P12ihipStream_tbDpT10_ENKUlT_T0_E_clISt17integral_constantIbLb0EES1B_EEDaS16_S17_EUlS16_E_NS1_11comp_targetILNS1_3genE0ELNS1_11target_archE4294967295ELNS1_3gpuE0ELNS1_3repE0EEENS1_30default_config_static_selectorELNS0_4arch9wavefront6targetE0EEEvT1_,"axG",@progbits,_ZN7rocprim17ROCPRIM_400000_NS6detail17trampoline_kernelINS0_14default_configENS1_25partition_config_selectorILNS1_17partition_subalgoE6EdNS0_10empty_typeEbEEZZNS1_14partition_implILS5_6ELb0ES3_mN6thrust23THRUST_200600_302600_NS6detail15normal_iteratorINSA_10device_ptrIdEEEEPS6_SG_NS0_5tupleIJNSA_16discard_iteratorINSA_11use_defaultEEES6_EEENSH_IJSG_SG_EEES6_PlJNSB_9not_fun_tINSB_14equal_to_valueIdEEEEEEE10hipError_tPvRmT3_T4_T5_T6_T7_T9_mT8_P12ihipStream_tbDpT10_ENKUlT_T0_E_clISt17integral_constantIbLb0EES1B_EEDaS16_S17_EUlS16_E_NS1_11comp_targetILNS1_3genE0ELNS1_11target_archE4294967295ELNS1_3gpuE0ELNS1_3repE0EEENS1_30default_config_static_selectorELNS0_4arch9wavefront6targetE0EEEvT1_,comdat
.Lfunc_end1565:
	.size	_ZN7rocprim17ROCPRIM_400000_NS6detail17trampoline_kernelINS0_14default_configENS1_25partition_config_selectorILNS1_17partition_subalgoE6EdNS0_10empty_typeEbEEZZNS1_14partition_implILS5_6ELb0ES3_mN6thrust23THRUST_200600_302600_NS6detail15normal_iteratorINSA_10device_ptrIdEEEEPS6_SG_NS0_5tupleIJNSA_16discard_iteratorINSA_11use_defaultEEES6_EEENSH_IJSG_SG_EEES6_PlJNSB_9not_fun_tINSB_14equal_to_valueIdEEEEEEE10hipError_tPvRmT3_T4_T5_T6_T7_T9_mT8_P12ihipStream_tbDpT10_ENKUlT_T0_E_clISt17integral_constantIbLb0EES1B_EEDaS16_S17_EUlS16_E_NS1_11comp_targetILNS1_3genE0ELNS1_11target_archE4294967295ELNS1_3gpuE0ELNS1_3repE0EEENS1_30default_config_static_selectorELNS0_4arch9wavefront6targetE0EEEvT1_, .Lfunc_end1565-_ZN7rocprim17ROCPRIM_400000_NS6detail17trampoline_kernelINS0_14default_configENS1_25partition_config_selectorILNS1_17partition_subalgoE6EdNS0_10empty_typeEbEEZZNS1_14partition_implILS5_6ELb0ES3_mN6thrust23THRUST_200600_302600_NS6detail15normal_iteratorINSA_10device_ptrIdEEEEPS6_SG_NS0_5tupleIJNSA_16discard_iteratorINSA_11use_defaultEEES6_EEENSH_IJSG_SG_EEES6_PlJNSB_9not_fun_tINSB_14equal_to_valueIdEEEEEEE10hipError_tPvRmT3_T4_T5_T6_T7_T9_mT8_P12ihipStream_tbDpT10_ENKUlT_T0_E_clISt17integral_constantIbLb0EES1B_EEDaS16_S17_EUlS16_E_NS1_11comp_targetILNS1_3genE0ELNS1_11target_archE4294967295ELNS1_3gpuE0ELNS1_3repE0EEENS1_30default_config_static_selectorELNS0_4arch9wavefront6targetE0EEEvT1_
                                        ; -- End function
	.set _ZN7rocprim17ROCPRIM_400000_NS6detail17trampoline_kernelINS0_14default_configENS1_25partition_config_selectorILNS1_17partition_subalgoE6EdNS0_10empty_typeEbEEZZNS1_14partition_implILS5_6ELb0ES3_mN6thrust23THRUST_200600_302600_NS6detail15normal_iteratorINSA_10device_ptrIdEEEEPS6_SG_NS0_5tupleIJNSA_16discard_iteratorINSA_11use_defaultEEES6_EEENSH_IJSG_SG_EEES6_PlJNSB_9not_fun_tINSB_14equal_to_valueIdEEEEEEE10hipError_tPvRmT3_T4_T5_T6_T7_T9_mT8_P12ihipStream_tbDpT10_ENKUlT_T0_E_clISt17integral_constantIbLb0EES1B_EEDaS16_S17_EUlS16_E_NS1_11comp_targetILNS1_3genE0ELNS1_11target_archE4294967295ELNS1_3gpuE0ELNS1_3repE0EEENS1_30default_config_static_selectorELNS0_4arch9wavefront6targetE0EEEvT1_.num_vgpr, 0
	.set _ZN7rocprim17ROCPRIM_400000_NS6detail17trampoline_kernelINS0_14default_configENS1_25partition_config_selectorILNS1_17partition_subalgoE6EdNS0_10empty_typeEbEEZZNS1_14partition_implILS5_6ELb0ES3_mN6thrust23THRUST_200600_302600_NS6detail15normal_iteratorINSA_10device_ptrIdEEEEPS6_SG_NS0_5tupleIJNSA_16discard_iteratorINSA_11use_defaultEEES6_EEENSH_IJSG_SG_EEES6_PlJNSB_9not_fun_tINSB_14equal_to_valueIdEEEEEEE10hipError_tPvRmT3_T4_T5_T6_T7_T9_mT8_P12ihipStream_tbDpT10_ENKUlT_T0_E_clISt17integral_constantIbLb0EES1B_EEDaS16_S17_EUlS16_E_NS1_11comp_targetILNS1_3genE0ELNS1_11target_archE4294967295ELNS1_3gpuE0ELNS1_3repE0EEENS1_30default_config_static_selectorELNS0_4arch9wavefront6targetE0EEEvT1_.num_agpr, 0
	.set _ZN7rocprim17ROCPRIM_400000_NS6detail17trampoline_kernelINS0_14default_configENS1_25partition_config_selectorILNS1_17partition_subalgoE6EdNS0_10empty_typeEbEEZZNS1_14partition_implILS5_6ELb0ES3_mN6thrust23THRUST_200600_302600_NS6detail15normal_iteratorINSA_10device_ptrIdEEEEPS6_SG_NS0_5tupleIJNSA_16discard_iteratorINSA_11use_defaultEEES6_EEENSH_IJSG_SG_EEES6_PlJNSB_9not_fun_tINSB_14equal_to_valueIdEEEEEEE10hipError_tPvRmT3_T4_T5_T6_T7_T9_mT8_P12ihipStream_tbDpT10_ENKUlT_T0_E_clISt17integral_constantIbLb0EES1B_EEDaS16_S17_EUlS16_E_NS1_11comp_targetILNS1_3genE0ELNS1_11target_archE4294967295ELNS1_3gpuE0ELNS1_3repE0EEENS1_30default_config_static_selectorELNS0_4arch9wavefront6targetE0EEEvT1_.numbered_sgpr, 0
	.set _ZN7rocprim17ROCPRIM_400000_NS6detail17trampoline_kernelINS0_14default_configENS1_25partition_config_selectorILNS1_17partition_subalgoE6EdNS0_10empty_typeEbEEZZNS1_14partition_implILS5_6ELb0ES3_mN6thrust23THRUST_200600_302600_NS6detail15normal_iteratorINSA_10device_ptrIdEEEEPS6_SG_NS0_5tupleIJNSA_16discard_iteratorINSA_11use_defaultEEES6_EEENSH_IJSG_SG_EEES6_PlJNSB_9not_fun_tINSB_14equal_to_valueIdEEEEEEE10hipError_tPvRmT3_T4_T5_T6_T7_T9_mT8_P12ihipStream_tbDpT10_ENKUlT_T0_E_clISt17integral_constantIbLb0EES1B_EEDaS16_S17_EUlS16_E_NS1_11comp_targetILNS1_3genE0ELNS1_11target_archE4294967295ELNS1_3gpuE0ELNS1_3repE0EEENS1_30default_config_static_selectorELNS0_4arch9wavefront6targetE0EEEvT1_.num_named_barrier, 0
	.set _ZN7rocprim17ROCPRIM_400000_NS6detail17trampoline_kernelINS0_14default_configENS1_25partition_config_selectorILNS1_17partition_subalgoE6EdNS0_10empty_typeEbEEZZNS1_14partition_implILS5_6ELb0ES3_mN6thrust23THRUST_200600_302600_NS6detail15normal_iteratorINSA_10device_ptrIdEEEEPS6_SG_NS0_5tupleIJNSA_16discard_iteratorINSA_11use_defaultEEES6_EEENSH_IJSG_SG_EEES6_PlJNSB_9not_fun_tINSB_14equal_to_valueIdEEEEEEE10hipError_tPvRmT3_T4_T5_T6_T7_T9_mT8_P12ihipStream_tbDpT10_ENKUlT_T0_E_clISt17integral_constantIbLb0EES1B_EEDaS16_S17_EUlS16_E_NS1_11comp_targetILNS1_3genE0ELNS1_11target_archE4294967295ELNS1_3gpuE0ELNS1_3repE0EEENS1_30default_config_static_selectorELNS0_4arch9wavefront6targetE0EEEvT1_.private_seg_size, 0
	.set _ZN7rocprim17ROCPRIM_400000_NS6detail17trampoline_kernelINS0_14default_configENS1_25partition_config_selectorILNS1_17partition_subalgoE6EdNS0_10empty_typeEbEEZZNS1_14partition_implILS5_6ELb0ES3_mN6thrust23THRUST_200600_302600_NS6detail15normal_iteratorINSA_10device_ptrIdEEEEPS6_SG_NS0_5tupleIJNSA_16discard_iteratorINSA_11use_defaultEEES6_EEENSH_IJSG_SG_EEES6_PlJNSB_9not_fun_tINSB_14equal_to_valueIdEEEEEEE10hipError_tPvRmT3_T4_T5_T6_T7_T9_mT8_P12ihipStream_tbDpT10_ENKUlT_T0_E_clISt17integral_constantIbLb0EES1B_EEDaS16_S17_EUlS16_E_NS1_11comp_targetILNS1_3genE0ELNS1_11target_archE4294967295ELNS1_3gpuE0ELNS1_3repE0EEENS1_30default_config_static_selectorELNS0_4arch9wavefront6targetE0EEEvT1_.uses_vcc, 0
	.set _ZN7rocprim17ROCPRIM_400000_NS6detail17trampoline_kernelINS0_14default_configENS1_25partition_config_selectorILNS1_17partition_subalgoE6EdNS0_10empty_typeEbEEZZNS1_14partition_implILS5_6ELb0ES3_mN6thrust23THRUST_200600_302600_NS6detail15normal_iteratorINSA_10device_ptrIdEEEEPS6_SG_NS0_5tupleIJNSA_16discard_iteratorINSA_11use_defaultEEES6_EEENSH_IJSG_SG_EEES6_PlJNSB_9not_fun_tINSB_14equal_to_valueIdEEEEEEE10hipError_tPvRmT3_T4_T5_T6_T7_T9_mT8_P12ihipStream_tbDpT10_ENKUlT_T0_E_clISt17integral_constantIbLb0EES1B_EEDaS16_S17_EUlS16_E_NS1_11comp_targetILNS1_3genE0ELNS1_11target_archE4294967295ELNS1_3gpuE0ELNS1_3repE0EEENS1_30default_config_static_selectorELNS0_4arch9wavefront6targetE0EEEvT1_.uses_flat_scratch, 0
	.set _ZN7rocprim17ROCPRIM_400000_NS6detail17trampoline_kernelINS0_14default_configENS1_25partition_config_selectorILNS1_17partition_subalgoE6EdNS0_10empty_typeEbEEZZNS1_14partition_implILS5_6ELb0ES3_mN6thrust23THRUST_200600_302600_NS6detail15normal_iteratorINSA_10device_ptrIdEEEEPS6_SG_NS0_5tupleIJNSA_16discard_iteratorINSA_11use_defaultEEES6_EEENSH_IJSG_SG_EEES6_PlJNSB_9not_fun_tINSB_14equal_to_valueIdEEEEEEE10hipError_tPvRmT3_T4_T5_T6_T7_T9_mT8_P12ihipStream_tbDpT10_ENKUlT_T0_E_clISt17integral_constantIbLb0EES1B_EEDaS16_S17_EUlS16_E_NS1_11comp_targetILNS1_3genE0ELNS1_11target_archE4294967295ELNS1_3gpuE0ELNS1_3repE0EEENS1_30default_config_static_selectorELNS0_4arch9wavefront6targetE0EEEvT1_.has_dyn_sized_stack, 0
	.set _ZN7rocprim17ROCPRIM_400000_NS6detail17trampoline_kernelINS0_14default_configENS1_25partition_config_selectorILNS1_17partition_subalgoE6EdNS0_10empty_typeEbEEZZNS1_14partition_implILS5_6ELb0ES3_mN6thrust23THRUST_200600_302600_NS6detail15normal_iteratorINSA_10device_ptrIdEEEEPS6_SG_NS0_5tupleIJNSA_16discard_iteratorINSA_11use_defaultEEES6_EEENSH_IJSG_SG_EEES6_PlJNSB_9not_fun_tINSB_14equal_to_valueIdEEEEEEE10hipError_tPvRmT3_T4_T5_T6_T7_T9_mT8_P12ihipStream_tbDpT10_ENKUlT_T0_E_clISt17integral_constantIbLb0EES1B_EEDaS16_S17_EUlS16_E_NS1_11comp_targetILNS1_3genE0ELNS1_11target_archE4294967295ELNS1_3gpuE0ELNS1_3repE0EEENS1_30default_config_static_selectorELNS0_4arch9wavefront6targetE0EEEvT1_.has_recursion, 0
	.set _ZN7rocprim17ROCPRIM_400000_NS6detail17trampoline_kernelINS0_14default_configENS1_25partition_config_selectorILNS1_17partition_subalgoE6EdNS0_10empty_typeEbEEZZNS1_14partition_implILS5_6ELb0ES3_mN6thrust23THRUST_200600_302600_NS6detail15normal_iteratorINSA_10device_ptrIdEEEEPS6_SG_NS0_5tupleIJNSA_16discard_iteratorINSA_11use_defaultEEES6_EEENSH_IJSG_SG_EEES6_PlJNSB_9not_fun_tINSB_14equal_to_valueIdEEEEEEE10hipError_tPvRmT3_T4_T5_T6_T7_T9_mT8_P12ihipStream_tbDpT10_ENKUlT_T0_E_clISt17integral_constantIbLb0EES1B_EEDaS16_S17_EUlS16_E_NS1_11comp_targetILNS1_3genE0ELNS1_11target_archE4294967295ELNS1_3gpuE0ELNS1_3repE0EEENS1_30default_config_static_selectorELNS0_4arch9wavefront6targetE0EEEvT1_.has_indirect_call, 0
	.section	.AMDGPU.csdata,"",@progbits
; Kernel info:
; codeLenInByte = 0
; TotalNumSgprs: 0
; NumVgprs: 0
; ScratchSize: 0
; MemoryBound: 0
; FloatMode: 240
; IeeeMode: 1
; LDSByteSize: 0 bytes/workgroup (compile time only)
; SGPRBlocks: 0
; VGPRBlocks: 0
; NumSGPRsForWavesPerEU: 1
; NumVGPRsForWavesPerEU: 1
; Occupancy: 16
; WaveLimiterHint : 0
; COMPUTE_PGM_RSRC2:SCRATCH_EN: 0
; COMPUTE_PGM_RSRC2:USER_SGPR: 2
; COMPUTE_PGM_RSRC2:TRAP_HANDLER: 0
; COMPUTE_PGM_RSRC2:TGID_X_EN: 1
; COMPUTE_PGM_RSRC2:TGID_Y_EN: 0
; COMPUTE_PGM_RSRC2:TGID_Z_EN: 0
; COMPUTE_PGM_RSRC2:TIDIG_COMP_CNT: 0
	.section	.text._ZN7rocprim17ROCPRIM_400000_NS6detail17trampoline_kernelINS0_14default_configENS1_25partition_config_selectorILNS1_17partition_subalgoE6EdNS0_10empty_typeEbEEZZNS1_14partition_implILS5_6ELb0ES3_mN6thrust23THRUST_200600_302600_NS6detail15normal_iteratorINSA_10device_ptrIdEEEEPS6_SG_NS0_5tupleIJNSA_16discard_iteratorINSA_11use_defaultEEES6_EEENSH_IJSG_SG_EEES6_PlJNSB_9not_fun_tINSB_14equal_to_valueIdEEEEEEE10hipError_tPvRmT3_T4_T5_T6_T7_T9_mT8_P12ihipStream_tbDpT10_ENKUlT_T0_E_clISt17integral_constantIbLb0EES1B_EEDaS16_S17_EUlS16_E_NS1_11comp_targetILNS1_3genE5ELNS1_11target_archE942ELNS1_3gpuE9ELNS1_3repE0EEENS1_30default_config_static_selectorELNS0_4arch9wavefront6targetE0EEEvT1_,"axG",@progbits,_ZN7rocprim17ROCPRIM_400000_NS6detail17trampoline_kernelINS0_14default_configENS1_25partition_config_selectorILNS1_17partition_subalgoE6EdNS0_10empty_typeEbEEZZNS1_14partition_implILS5_6ELb0ES3_mN6thrust23THRUST_200600_302600_NS6detail15normal_iteratorINSA_10device_ptrIdEEEEPS6_SG_NS0_5tupleIJNSA_16discard_iteratorINSA_11use_defaultEEES6_EEENSH_IJSG_SG_EEES6_PlJNSB_9not_fun_tINSB_14equal_to_valueIdEEEEEEE10hipError_tPvRmT3_T4_T5_T6_T7_T9_mT8_P12ihipStream_tbDpT10_ENKUlT_T0_E_clISt17integral_constantIbLb0EES1B_EEDaS16_S17_EUlS16_E_NS1_11comp_targetILNS1_3genE5ELNS1_11target_archE942ELNS1_3gpuE9ELNS1_3repE0EEENS1_30default_config_static_selectorELNS0_4arch9wavefront6targetE0EEEvT1_,comdat
	.protected	_ZN7rocprim17ROCPRIM_400000_NS6detail17trampoline_kernelINS0_14default_configENS1_25partition_config_selectorILNS1_17partition_subalgoE6EdNS0_10empty_typeEbEEZZNS1_14partition_implILS5_6ELb0ES3_mN6thrust23THRUST_200600_302600_NS6detail15normal_iteratorINSA_10device_ptrIdEEEEPS6_SG_NS0_5tupleIJNSA_16discard_iteratorINSA_11use_defaultEEES6_EEENSH_IJSG_SG_EEES6_PlJNSB_9not_fun_tINSB_14equal_to_valueIdEEEEEEE10hipError_tPvRmT3_T4_T5_T6_T7_T9_mT8_P12ihipStream_tbDpT10_ENKUlT_T0_E_clISt17integral_constantIbLb0EES1B_EEDaS16_S17_EUlS16_E_NS1_11comp_targetILNS1_3genE5ELNS1_11target_archE942ELNS1_3gpuE9ELNS1_3repE0EEENS1_30default_config_static_selectorELNS0_4arch9wavefront6targetE0EEEvT1_ ; -- Begin function _ZN7rocprim17ROCPRIM_400000_NS6detail17trampoline_kernelINS0_14default_configENS1_25partition_config_selectorILNS1_17partition_subalgoE6EdNS0_10empty_typeEbEEZZNS1_14partition_implILS5_6ELb0ES3_mN6thrust23THRUST_200600_302600_NS6detail15normal_iteratorINSA_10device_ptrIdEEEEPS6_SG_NS0_5tupleIJNSA_16discard_iteratorINSA_11use_defaultEEES6_EEENSH_IJSG_SG_EEES6_PlJNSB_9not_fun_tINSB_14equal_to_valueIdEEEEEEE10hipError_tPvRmT3_T4_T5_T6_T7_T9_mT8_P12ihipStream_tbDpT10_ENKUlT_T0_E_clISt17integral_constantIbLb0EES1B_EEDaS16_S17_EUlS16_E_NS1_11comp_targetILNS1_3genE5ELNS1_11target_archE942ELNS1_3gpuE9ELNS1_3repE0EEENS1_30default_config_static_selectorELNS0_4arch9wavefront6targetE0EEEvT1_
	.globl	_ZN7rocprim17ROCPRIM_400000_NS6detail17trampoline_kernelINS0_14default_configENS1_25partition_config_selectorILNS1_17partition_subalgoE6EdNS0_10empty_typeEbEEZZNS1_14partition_implILS5_6ELb0ES3_mN6thrust23THRUST_200600_302600_NS6detail15normal_iteratorINSA_10device_ptrIdEEEEPS6_SG_NS0_5tupleIJNSA_16discard_iteratorINSA_11use_defaultEEES6_EEENSH_IJSG_SG_EEES6_PlJNSB_9not_fun_tINSB_14equal_to_valueIdEEEEEEE10hipError_tPvRmT3_T4_T5_T6_T7_T9_mT8_P12ihipStream_tbDpT10_ENKUlT_T0_E_clISt17integral_constantIbLb0EES1B_EEDaS16_S17_EUlS16_E_NS1_11comp_targetILNS1_3genE5ELNS1_11target_archE942ELNS1_3gpuE9ELNS1_3repE0EEENS1_30default_config_static_selectorELNS0_4arch9wavefront6targetE0EEEvT1_
	.p2align	8
	.type	_ZN7rocprim17ROCPRIM_400000_NS6detail17trampoline_kernelINS0_14default_configENS1_25partition_config_selectorILNS1_17partition_subalgoE6EdNS0_10empty_typeEbEEZZNS1_14partition_implILS5_6ELb0ES3_mN6thrust23THRUST_200600_302600_NS6detail15normal_iteratorINSA_10device_ptrIdEEEEPS6_SG_NS0_5tupleIJNSA_16discard_iteratorINSA_11use_defaultEEES6_EEENSH_IJSG_SG_EEES6_PlJNSB_9not_fun_tINSB_14equal_to_valueIdEEEEEEE10hipError_tPvRmT3_T4_T5_T6_T7_T9_mT8_P12ihipStream_tbDpT10_ENKUlT_T0_E_clISt17integral_constantIbLb0EES1B_EEDaS16_S17_EUlS16_E_NS1_11comp_targetILNS1_3genE5ELNS1_11target_archE942ELNS1_3gpuE9ELNS1_3repE0EEENS1_30default_config_static_selectorELNS0_4arch9wavefront6targetE0EEEvT1_,@function
_ZN7rocprim17ROCPRIM_400000_NS6detail17trampoline_kernelINS0_14default_configENS1_25partition_config_selectorILNS1_17partition_subalgoE6EdNS0_10empty_typeEbEEZZNS1_14partition_implILS5_6ELb0ES3_mN6thrust23THRUST_200600_302600_NS6detail15normal_iteratorINSA_10device_ptrIdEEEEPS6_SG_NS0_5tupleIJNSA_16discard_iteratorINSA_11use_defaultEEES6_EEENSH_IJSG_SG_EEES6_PlJNSB_9not_fun_tINSB_14equal_to_valueIdEEEEEEE10hipError_tPvRmT3_T4_T5_T6_T7_T9_mT8_P12ihipStream_tbDpT10_ENKUlT_T0_E_clISt17integral_constantIbLb0EES1B_EEDaS16_S17_EUlS16_E_NS1_11comp_targetILNS1_3genE5ELNS1_11target_archE942ELNS1_3gpuE9ELNS1_3repE0EEENS1_30default_config_static_selectorELNS0_4arch9wavefront6targetE0EEEvT1_: ; @_ZN7rocprim17ROCPRIM_400000_NS6detail17trampoline_kernelINS0_14default_configENS1_25partition_config_selectorILNS1_17partition_subalgoE6EdNS0_10empty_typeEbEEZZNS1_14partition_implILS5_6ELb0ES3_mN6thrust23THRUST_200600_302600_NS6detail15normal_iteratorINSA_10device_ptrIdEEEEPS6_SG_NS0_5tupleIJNSA_16discard_iteratorINSA_11use_defaultEEES6_EEENSH_IJSG_SG_EEES6_PlJNSB_9not_fun_tINSB_14equal_to_valueIdEEEEEEE10hipError_tPvRmT3_T4_T5_T6_T7_T9_mT8_P12ihipStream_tbDpT10_ENKUlT_T0_E_clISt17integral_constantIbLb0EES1B_EEDaS16_S17_EUlS16_E_NS1_11comp_targetILNS1_3genE5ELNS1_11target_archE942ELNS1_3gpuE9ELNS1_3repE0EEENS1_30default_config_static_selectorELNS0_4arch9wavefront6targetE0EEEvT1_
; %bb.0:
	.section	.rodata,"a",@progbits
	.p2align	6, 0x0
	.amdhsa_kernel _ZN7rocprim17ROCPRIM_400000_NS6detail17trampoline_kernelINS0_14default_configENS1_25partition_config_selectorILNS1_17partition_subalgoE6EdNS0_10empty_typeEbEEZZNS1_14partition_implILS5_6ELb0ES3_mN6thrust23THRUST_200600_302600_NS6detail15normal_iteratorINSA_10device_ptrIdEEEEPS6_SG_NS0_5tupleIJNSA_16discard_iteratorINSA_11use_defaultEEES6_EEENSH_IJSG_SG_EEES6_PlJNSB_9not_fun_tINSB_14equal_to_valueIdEEEEEEE10hipError_tPvRmT3_T4_T5_T6_T7_T9_mT8_P12ihipStream_tbDpT10_ENKUlT_T0_E_clISt17integral_constantIbLb0EES1B_EEDaS16_S17_EUlS16_E_NS1_11comp_targetILNS1_3genE5ELNS1_11target_archE942ELNS1_3gpuE9ELNS1_3repE0EEENS1_30default_config_static_selectorELNS0_4arch9wavefront6targetE0EEEvT1_
		.amdhsa_group_segment_fixed_size 0
		.amdhsa_private_segment_fixed_size 0
		.amdhsa_kernarg_size 128
		.amdhsa_user_sgpr_count 2
		.amdhsa_user_sgpr_dispatch_ptr 0
		.amdhsa_user_sgpr_queue_ptr 0
		.amdhsa_user_sgpr_kernarg_segment_ptr 1
		.amdhsa_user_sgpr_dispatch_id 0
		.amdhsa_user_sgpr_private_segment_size 0
		.amdhsa_wavefront_size32 1
		.amdhsa_uses_dynamic_stack 0
		.amdhsa_enable_private_segment 0
		.amdhsa_system_sgpr_workgroup_id_x 1
		.amdhsa_system_sgpr_workgroup_id_y 0
		.amdhsa_system_sgpr_workgroup_id_z 0
		.amdhsa_system_sgpr_workgroup_info 0
		.amdhsa_system_vgpr_workitem_id 0
		.amdhsa_next_free_vgpr 1
		.amdhsa_next_free_sgpr 1
		.amdhsa_reserve_vcc 0
		.amdhsa_float_round_mode_32 0
		.amdhsa_float_round_mode_16_64 0
		.amdhsa_float_denorm_mode_32 3
		.amdhsa_float_denorm_mode_16_64 3
		.amdhsa_fp16_overflow 0
		.amdhsa_workgroup_processor_mode 1
		.amdhsa_memory_ordered 1
		.amdhsa_forward_progress 1
		.amdhsa_inst_pref_size 0
		.amdhsa_round_robin_scheduling 0
		.amdhsa_exception_fp_ieee_invalid_op 0
		.amdhsa_exception_fp_denorm_src 0
		.amdhsa_exception_fp_ieee_div_zero 0
		.amdhsa_exception_fp_ieee_overflow 0
		.amdhsa_exception_fp_ieee_underflow 0
		.amdhsa_exception_fp_ieee_inexact 0
		.amdhsa_exception_int_div_zero 0
	.end_amdhsa_kernel
	.section	.text._ZN7rocprim17ROCPRIM_400000_NS6detail17trampoline_kernelINS0_14default_configENS1_25partition_config_selectorILNS1_17partition_subalgoE6EdNS0_10empty_typeEbEEZZNS1_14partition_implILS5_6ELb0ES3_mN6thrust23THRUST_200600_302600_NS6detail15normal_iteratorINSA_10device_ptrIdEEEEPS6_SG_NS0_5tupleIJNSA_16discard_iteratorINSA_11use_defaultEEES6_EEENSH_IJSG_SG_EEES6_PlJNSB_9not_fun_tINSB_14equal_to_valueIdEEEEEEE10hipError_tPvRmT3_T4_T5_T6_T7_T9_mT8_P12ihipStream_tbDpT10_ENKUlT_T0_E_clISt17integral_constantIbLb0EES1B_EEDaS16_S17_EUlS16_E_NS1_11comp_targetILNS1_3genE5ELNS1_11target_archE942ELNS1_3gpuE9ELNS1_3repE0EEENS1_30default_config_static_selectorELNS0_4arch9wavefront6targetE0EEEvT1_,"axG",@progbits,_ZN7rocprim17ROCPRIM_400000_NS6detail17trampoline_kernelINS0_14default_configENS1_25partition_config_selectorILNS1_17partition_subalgoE6EdNS0_10empty_typeEbEEZZNS1_14partition_implILS5_6ELb0ES3_mN6thrust23THRUST_200600_302600_NS6detail15normal_iteratorINSA_10device_ptrIdEEEEPS6_SG_NS0_5tupleIJNSA_16discard_iteratorINSA_11use_defaultEEES6_EEENSH_IJSG_SG_EEES6_PlJNSB_9not_fun_tINSB_14equal_to_valueIdEEEEEEE10hipError_tPvRmT3_T4_T5_T6_T7_T9_mT8_P12ihipStream_tbDpT10_ENKUlT_T0_E_clISt17integral_constantIbLb0EES1B_EEDaS16_S17_EUlS16_E_NS1_11comp_targetILNS1_3genE5ELNS1_11target_archE942ELNS1_3gpuE9ELNS1_3repE0EEENS1_30default_config_static_selectorELNS0_4arch9wavefront6targetE0EEEvT1_,comdat
.Lfunc_end1566:
	.size	_ZN7rocprim17ROCPRIM_400000_NS6detail17trampoline_kernelINS0_14default_configENS1_25partition_config_selectorILNS1_17partition_subalgoE6EdNS0_10empty_typeEbEEZZNS1_14partition_implILS5_6ELb0ES3_mN6thrust23THRUST_200600_302600_NS6detail15normal_iteratorINSA_10device_ptrIdEEEEPS6_SG_NS0_5tupleIJNSA_16discard_iteratorINSA_11use_defaultEEES6_EEENSH_IJSG_SG_EEES6_PlJNSB_9not_fun_tINSB_14equal_to_valueIdEEEEEEE10hipError_tPvRmT3_T4_T5_T6_T7_T9_mT8_P12ihipStream_tbDpT10_ENKUlT_T0_E_clISt17integral_constantIbLb0EES1B_EEDaS16_S17_EUlS16_E_NS1_11comp_targetILNS1_3genE5ELNS1_11target_archE942ELNS1_3gpuE9ELNS1_3repE0EEENS1_30default_config_static_selectorELNS0_4arch9wavefront6targetE0EEEvT1_, .Lfunc_end1566-_ZN7rocprim17ROCPRIM_400000_NS6detail17trampoline_kernelINS0_14default_configENS1_25partition_config_selectorILNS1_17partition_subalgoE6EdNS0_10empty_typeEbEEZZNS1_14partition_implILS5_6ELb0ES3_mN6thrust23THRUST_200600_302600_NS6detail15normal_iteratorINSA_10device_ptrIdEEEEPS6_SG_NS0_5tupleIJNSA_16discard_iteratorINSA_11use_defaultEEES6_EEENSH_IJSG_SG_EEES6_PlJNSB_9not_fun_tINSB_14equal_to_valueIdEEEEEEE10hipError_tPvRmT3_T4_T5_T6_T7_T9_mT8_P12ihipStream_tbDpT10_ENKUlT_T0_E_clISt17integral_constantIbLb0EES1B_EEDaS16_S17_EUlS16_E_NS1_11comp_targetILNS1_3genE5ELNS1_11target_archE942ELNS1_3gpuE9ELNS1_3repE0EEENS1_30default_config_static_selectorELNS0_4arch9wavefront6targetE0EEEvT1_
                                        ; -- End function
	.set _ZN7rocprim17ROCPRIM_400000_NS6detail17trampoline_kernelINS0_14default_configENS1_25partition_config_selectorILNS1_17partition_subalgoE6EdNS0_10empty_typeEbEEZZNS1_14partition_implILS5_6ELb0ES3_mN6thrust23THRUST_200600_302600_NS6detail15normal_iteratorINSA_10device_ptrIdEEEEPS6_SG_NS0_5tupleIJNSA_16discard_iteratorINSA_11use_defaultEEES6_EEENSH_IJSG_SG_EEES6_PlJNSB_9not_fun_tINSB_14equal_to_valueIdEEEEEEE10hipError_tPvRmT3_T4_T5_T6_T7_T9_mT8_P12ihipStream_tbDpT10_ENKUlT_T0_E_clISt17integral_constantIbLb0EES1B_EEDaS16_S17_EUlS16_E_NS1_11comp_targetILNS1_3genE5ELNS1_11target_archE942ELNS1_3gpuE9ELNS1_3repE0EEENS1_30default_config_static_selectorELNS0_4arch9wavefront6targetE0EEEvT1_.num_vgpr, 0
	.set _ZN7rocprim17ROCPRIM_400000_NS6detail17trampoline_kernelINS0_14default_configENS1_25partition_config_selectorILNS1_17partition_subalgoE6EdNS0_10empty_typeEbEEZZNS1_14partition_implILS5_6ELb0ES3_mN6thrust23THRUST_200600_302600_NS6detail15normal_iteratorINSA_10device_ptrIdEEEEPS6_SG_NS0_5tupleIJNSA_16discard_iteratorINSA_11use_defaultEEES6_EEENSH_IJSG_SG_EEES6_PlJNSB_9not_fun_tINSB_14equal_to_valueIdEEEEEEE10hipError_tPvRmT3_T4_T5_T6_T7_T9_mT8_P12ihipStream_tbDpT10_ENKUlT_T0_E_clISt17integral_constantIbLb0EES1B_EEDaS16_S17_EUlS16_E_NS1_11comp_targetILNS1_3genE5ELNS1_11target_archE942ELNS1_3gpuE9ELNS1_3repE0EEENS1_30default_config_static_selectorELNS0_4arch9wavefront6targetE0EEEvT1_.num_agpr, 0
	.set _ZN7rocprim17ROCPRIM_400000_NS6detail17trampoline_kernelINS0_14default_configENS1_25partition_config_selectorILNS1_17partition_subalgoE6EdNS0_10empty_typeEbEEZZNS1_14partition_implILS5_6ELb0ES3_mN6thrust23THRUST_200600_302600_NS6detail15normal_iteratorINSA_10device_ptrIdEEEEPS6_SG_NS0_5tupleIJNSA_16discard_iteratorINSA_11use_defaultEEES6_EEENSH_IJSG_SG_EEES6_PlJNSB_9not_fun_tINSB_14equal_to_valueIdEEEEEEE10hipError_tPvRmT3_T4_T5_T6_T7_T9_mT8_P12ihipStream_tbDpT10_ENKUlT_T0_E_clISt17integral_constantIbLb0EES1B_EEDaS16_S17_EUlS16_E_NS1_11comp_targetILNS1_3genE5ELNS1_11target_archE942ELNS1_3gpuE9ELNS1_3repE0EEENS1_30default_config_static_selectorELNS0_4arch9wavefront6targetE0EEEvT1_.numbered_sgpr, 0
	.set _ZN7rocprim17ROCPRIM_400000_NS6detail17trampoline_kernelINS0_14default_configENS1_25partition_config_selectorILNS1_17partition_subalgoE6EdNS0_10empty_typeEbEEZZNS1_14partition_implILS5_6ELb0ES3_mN6thrust23THRUST_200600_302600_NS6detail15normal_iteratorINSA_10device_ptrIdEEEEPS6_SG_NS0_5tupleIJNSA_16discard_iteratorINSA_11use_defaultEEES6_EEENSH_IJSG_SG_EEES6_PlJNSB_9not_fun_tINSB_14equal_to_valueIdEEEEEEE10hipError_tPvRmT3_T4_T5_T6_T7_T9_mT8_P12ihipStream_tbDpT10_ENKUlT_T0_E_clISt17integral_constantIbLb0EES1B_EEDaS16_S17_EUlS16_E_NS1_11comp_targetILNS1_3genE5ELNS1_11target_archE942ELNS1_3gpuE9ELNS1_3repE0EEENS1_30default_config_static_selectorELNS0_4arch9wavefront6targetE0EEEvT1_.num_named_barrier, 0
	.set _ZN7rocprim17ROCPRIM_400000_NS6detail17trampoline_kernelINS0_14default_configENS1_25partition_config_selectorILNS1_17partition_subalgoE6EdNS0_10empty_typeEbEEZZNS1_14partition_implILS5_6ELb0ES3_mN6thrust23THRUST_200600_302600_NS6detail15normal_iteratorINSA_10device_ptrIdEEEEPS6_SG_NS0_5tupleIJNSA_16discard_iteratorINSA_11use_defaultEEES6_EEENSH_IJSG_SG_EEES6_PlJNSB_9not_fun_tINSB_14equal_to_valueIdEEEEEEE10hipError_tPvRmT3_T4_T5_T6_T7_T9_mT8_P12ihipStream_tbDpT10_ENKUlT_T0_E_clISt17integral_constantIbLb0EES1B_EEDaS16_S17_EUlS16_E_NS1_11comp_targetILNS1_3genE5ELNS1_11target_archE942ELNS1_3gpuE9ELNS1_3repE0EEENS1_30default_config_static_selectorELNS0_4arch9wavefront6targetE0EEEvT1_.private_seg_size, 0
	.set _ZN7rocprim17ROCPRIM_400000_NS6detail17trampoline_kernelINS0_14default_configENS1_25partition_config_selectorILNS1_17partition_subalgoE6EdNS0_10empty_typeEbEEZZNS1_14partition_implILS5_6ELb0ES3_mN6thrust23THRUST_200600_302600_NS6detail15normal_iteratorINSA_10device_ptrIdEEEEPS6_SG_NS0_5tupleIJNSA_16discard_iteratorINSA_11use_defaultEEES6_EEENSH_IJSG_SG_EEES6_PlJNSB_9not_fun_tINSB_14equal_to_valueIdEEEEEEE10hipError_tPvRmT3_T4_T5_T6_T7_T9_mT8_P12ihipStream_tbDpT10_ENKUlT_T0_E_clISt17integral_constantIbLb0EES1B_EEDaS16_S17_EUlS16_E_NS1_11comp_targetILNS1_3genE5ELNS1_11target_archE942ELNS1_3gpuE9ELNS1_3repE0EEENS1_30default_config_static_selectorELNS0_4arch9wavefront6targetE0EEEvT1_.uses_vcc, 0
	.set _ZN7rocprim17ROCPRIM_400000_NS6detail17trampoline_kernelINS0_14default_configENS1_25partition_config_selectorILNS1_17partition_subalgoE6EdNS0_10empty_typeEbEEZZNS1_14partition_implILS5_6ELb0ES3_mN6thrust23THRUST_200600_302600_NS6detail15normal_iteratorINSA_10device_ptrIdEEEEPS6_SG_NS0_5tupleIJNSA_16discard_iteratorINSA_11use_defaultEEES6_EEENSH_IJSG_SG_EEES6_PlJNSB_9not_fun_tINSB_14equal_to_valueIdEEEEEEE10hipError_tPvRmT3_T4_T5_T6_T7_T9_mT8_P12ihipStream_tbDpT10_ENKUlT_T0_E_clISt17integral_constantIbLb0EES1B_EEDaS16_S17_EUlS16_E_NS1_11comp_targetILNS1_3genE5ELNS1_11target_archE942ELNS1_3gpuE9ELNS1_3repE0EEENS1_30default_config_static_selectorELNS0_4arch9wavefront6targetE0EEEvT1_.uses_flat_scratch, 0
	.set _ZN7rocprim17ROCPRIM_400000_NS6detail17trampoline_kernelINS0_14default_configENS1_25partition_config_selectorILNS1_17partition_subalgoE6EdNS0_10empty_typeEbEEZZNS1_14partition_implILS5_6ELb0ES3_mN6thrust23THRUST_200600_302600_NS6detail15normal_iteratorINSA_10device_ptrIdEEEEPS6_SG_NS0_5tupleIJNSA_16discard_iteratorINSA_11use_defaultEEES6_EEENSH_IJSG_SG_EEES6_PlJNSB_9not_fun_tINSB_14equal_to_valueIdEEEEEEE10hipError_tPvRmT3_T4_T5_T6_T7_T9_mT8_P12ihipStream_tbDpT10_ENKUlT_T0_E_clISt17integral_constantIbLb0EES1B_EEDaS16_S17_EUlS16_E_NS1_11comp_targetILNS1_3genE5ELNS1_11target_archE942ELNS1_3gpuE9ELNS1_3repE0EEENS1_30default_config_static_selectorELNS0_4arch9wavefront6targetE0EEEvT1_.has_dyn_sized_stack, 0
	.set _ZN7rocprim17ROCPRIM_400000_NS6detail17trampoline_kernelINS0_14default_configENS1_25partition_config_selectorILNS1_17partition_subalgoE6EdNS0_10empty_typeEbEEZZNS1_14partition_implILS5_6ELb0ES3_mN6thrust23THRUST_200600_302600_NS6detail15normal_iteratorINSA_10device_ptrIdEEEEPS6_SG_NS0_5tupleIJNSA_16discard_iteratorINSA_11use_defaultEEES6_EEENSH_IJSG_SG_EEES6_PlJNSB_9not_fun_tINSB_14equal_to_valueIdEEEEEEE10hipError_tPvRmT3_T4_T5_T6_T7_T9_mT8_P12ihipStream_tbDpT10_ENKUlT_T0_E_clISt17integral_constantIbLb0EES1B_EEDaS16_S17_EUlS16_E_NS1_11comp_targetILNS1_3genE5ELNS1_11target_archE942ELNS1_3gpuE9ELNS1_3repE0EEENS1_30default_config_static_selectorELNS0_4arch9wavefront6targetE0EEEvT1_.has_recursion, 0
	.set _ZN7rocprim17ROCPRIM_400000_NS6detail17trampoline_kernelINS0_14default_configENS1_25partition_config_selectorILNS1_17partition_subalgoE6EdNS0_10empty_typeEbEEZZNS1_14partition_implILS5_6ELb0ES3_mN6thrust23THRUST_200600_302600_NS6detail15normal_iteratorINSA_10device_ptrIdEEEEPS6_SG_NS0_5tupleIJNSA_16discard_iteratorINSA_11use_defaultEEES6_EEENSH_IJSG_SG_EEES6_PlJNSB_9not_fun_tINSB_14equal_to_valueIdEEEEEEE10hipError_tPvRmT3_T4_T5_T6_T7_T9_mT8_P12ihipStream_tbDpT10_ENKUlT_T0_E_clISt17integral_constantIbLb0EES1B_EEDaS16_S17_EUlS16_E_NS1_11comp_targetILNS1_3genE5ELNS1_11target_archE942ELNS1_3gpuE9ELNS1_3repE0EEENS1_30default_config_static_selectorELNS0_4arch9wavefront6targetE0EEEvT1_.has_indirect_call, 0
	.section	.AMDGPU.csdata,"",@progbits
; Kernel info:
; codeLenInByte = 0
; TotalNumSgprs: 0
; NumVgprs: 0
; ScratchSize: 0
; MemoryBound: 0
; FloatMode: 240
; IeeeMode: 1
; LDSByteSize: 0 bytes/workgroup (compile time only)
; SGPRBlocks: 0
; VGPRBlocks: 0
; NumSGPRsForWavesPerEU: 1
; NumVGPRsForWavesPerEU: 1
; Occupancy: 16
; WaveLimiterHint : 0
; COMPUTE_PGM_RSRC2:SCRATCH_EN: 0
; COMPUTE_PGM_RSRC2:USER_SGPR: 2
; COMPUTE_PGM_RSRC2:TRAP_HANDLER: 0
; COMPUTE_PGM_RSRC2:TGID_X_EN: 1
; COMPUTE_PGM_RSRC2:TGID_Y_EN: 0
; COMPUTE_PGM_RSRC2:TGID_Z_EN: 0
; COMPUTE_PGM_RSRC2:TIDIG_COMP_CNT: 0
	.section	.text._ZN7rocprim17ROCPRIM_400000_NS6detail17trampoline_kernelINS0_14default_configENS1_25partition_config_selectorILNS1_17partition_subalgoE6EdNS0_10empty_typeEbEEZZNS1_14partition_implILS5_6ELb0ES3_mN6thrust23THRUST_200600_302600_NS6detail15normal_iteratorINSA_10device_ptrIdEEEEPS6_SG_NS0_5tupleIJNSA_16discard_iteratorINSA_11use_defaultEEES6_EEENSH_IJSG_SG_EEES6_PlJNSB_9not_fun_tINSB_14equal_to_valueIdEEEEEEE10hipError_tPvRmT3_T4_T5_T6_T7_T9_mT8_P12ihipStream_tbDpT10_ENKUlT_T0_E_clISt17integral_constantIbLb0EES1B_EEDaS16_S17_EUlS16_E_NS1_11comp_targetILNS1_3genE4ELNS1_11target_archE910ELNS1_3gpuE8ELNS1_3repE0EEENS1_30default_config_static_selectorELNS0_4arch9wavefront6targetE0EEEvT1_,"axG",@progbits,_ZN7rocprim17ROCPRIM_400000_NS6detail17trampoline_kernelINS0_14default_configENS1_25partition_config_selectorILNS1_17partition_subalgoE6EdNS0_10empty_typeEbEEZZNS1_14partition_implILS5_6ELb0ES3_mN6thrust23THRUST_200600_302600_NS6detail15normal_iteratorINSA_10device_ptrIdEEEEPS6_SG_NS0_5tupleIJNSA_16discard_iteratorINSA_11use_defaultEEES6_EEENSH_IJSG_SG_EEES6_PlJNSB_9not_fun_tINSB_14equal_to_valueIdEEEEEEE10hipError_tPvRmT3_T4_T5_T6_T7_T9_mT8_P12ihipStream_tbDpT10_ENKUlT_T0_E_clISt17integral_constantIbLb0EES1B_EEDaS16_S17_EUlS16_E_NS1_11comp_targetILNS1_3genE4ELNS1_11target_archE910ELNS1_3gpuE8ELNS1_3repE0EEENS1_30default_config_static_selectorELNS0_4arch9wavefront6targetE0EEEvT1_,comdat
	.protected	_ZN7rocprim17ROCPRIM_400000_NS6detail17trampoline_kernelINS0_14default_configENS1_25partition_config_selectorILNS1_17partition_subalgoE6EdNS0_10empty_typeEbEEZZNS1_14partition_implILS5_6ELb0ES3_mN6thrust23THRUST_200600_302600_NS6detail15normal_iteratorINSA_10device_ptrIdEEEEPS6_SG_NS0_5tupleIJNSA_16discard_iteratorINSA_11use_defaultEEES6_EEENSH_IJSG_SG_EEES6_PlJNSB_9not_fun_tINSB_14equal_to_valueIdEEEEEEE10hipError_tPvRmT3_T4_T5_T6_T7_T9_mT8_P12ihipStream_tbDpT10_ENKUlT_T0_E_clISt17integral_constantIbLb0EES1B_EEDaS16_S17_EUlS16_E_NS1_11comp_targetILNS1_3genE4ELNS1_11target_archE910ELNS1_3gpuE8ELNS1_3repE0EEENS1_30default_config_static_selectorELNS0_4arch9wavefront6targetE0EEEvT1_ ; -- Begin function _ZN7rocprim17ROCPRIM_400000_NS6detail17trampoline_kernelINS0_14default_configENS1_25partition_config_selectorILNS1_17partition_subalgoE6EdNS0_10empty_typeEbEEZZNS1_14partition_implILS5_6ELb0ES3_mN6thrust23THRUST_200600_302600_NS6detail15normal_iteratorINSA_10device_ptrIdEEEEPS6_SG_NS0_5tupleIJNSA_16discard_iteratorINSA_11use_defaultEEES6_EEENSH_IJSG_SG_EEES6_PlJNSB_9not_fun_tINSB_14equal_to_valueIdEEEEEEE10hipError_tPvRmT3_T4_T5_T6_T7_T9_mT8_P12ihipStream_tbDpT10_ENKUlT_T0_E_clISt17integral_constantIbLb0EES1B_EEDaS16_S17_EUlS16_E_NS1_11comp_targetILNS1_3genE4ELNS1_11target_archE910ELNS1_3gpuE8ELNS1_3repE0EEENS1_30default_config_static_selectorELNS0_4arch9wavefront6targetE0EEEvT1_
	.globl	_ZN7rocprim17ROCPRIM_400000_NS6detail17trampoline_kernelINS0_14default_configENS1_25partition_config_selectorILNS1_17partition_subalgoE6EdNS0_10empty_typeEbEEZZNS1_14partition_implILS5_6ELb0ES3_mN6thrust23THRUST_200600_302600_NS6detail15normal_iteratorINSA_10device_ptrIdEEEEPS6_SG_NS0_5tupleIJNSA_16discard_iteratorINSA_11use_defaultEEES6_EEENSH_IJSG_SG_EEES6_PlJNSB_9not_fun_tINSB_14equal_to_valueIdEEEEEEE10hipError_tPvRmT3_T4_T5_T6_T7_T9_mT8_P12ihipStream_tbDpT10_ENKUlT_T0_E_clISt17integral_constantIbLb0EES1B_EEDaS16_S17_EUlS16_E_NS1_11comp_targetILNS1_3genE4ELNS1_11target_archE910ELNS1_3gpuE8ELNS1_3repE0EEENS1_30default_config_static_selectorELNS0_4arch9wavefront6targetE0EEEvT1_
	.p2align	8
	.type	_ZN7rocprim17ROCPRIM_400000_NS6detail17trampoline_kernelINS0_14default_configENS1_25partition_config_selectorILNS1_17partition_subalgoE6EdNS0_10empty_typeEbEEZZNS1_14partition_implILS5_6ELb0ES3_mN6thrust23THRUST_200600_302600_NS6detail15normal_iteratorINSA_10device_ptrIdEEEEPS6_SG_NS0_5tupleIJNSA_16discard_iteratorINSA_11use_defaultEEES6_EEENSH_IJSG_SG_EEES6_PlJNSB_9not_fun_tINSB_14equal_to_valueIdEEEEEEE10hipError_tPvRmT3_T4_T5_T6_T7_T9_mT8_P12ihipStream_tbDpT10_ENKUlT_T0_E_clISt17integral_constantIbLb0EES1B_EEDaS16_S17_EUlS16_E_NS1_11comp_targetILNS1_3genE4ELNS1_11target_archE910ELNS1_3gpuE8ELNS1_3repE0EEENS1_30default_config_static_selectorELNS0_4arch9wavefront6targetE0EEEvT1_,@function
_ZN7rocprim17ROCPRIM_400000_NS6detail17trampoline_kernelINS0_14default_configENS1_25partition_config_selectorILNS1_17partition_subalgoE6EdNS0_10empty_typeEbEEZZNS1_14partition_implILS5_6ELb0ES3_mN6thrust23THRUST_200600_302600_NS6detail15normal_iteratorINSA_10device_ptrIdEEEEPS6_SG_NS0_5tupleIJNSA_16discard_iteratorINSA_11use_defaultEEES6_EEENSH_IJSG_SG_EEES6_PlJNSB_9not_fun_tINSB_14equal_to_valueIdEEEEEEE10hipError_tPvRmT3_T4_T5_T6_T7_T9_mT8_P12ihipStream_tbDpT10_ENKUlT_T0_E_clISt17integral_constantIbLb0EES1B_EEDaS16_S17_EUlS16_E_NS1_11comp_targetILNS1_3genE4ELNS1_11target_archE910ELNS1_3gpuE8ELNS1_3repE0EEENS1_30default_config_static_selectorELNS0_4arch9wavefront6targetE0EEEvT1_: ; @_ZN7rocprim17ROCPRIM_400000_NS6detail17trampoline_kernelINS0_14default_configENS1_25partition_config_selectorILNS1_17partition_subalgoE6EdNS0_10empty_typeEbEEZZNS1_14partition_implILS5_6ELb0ES3_mN6thrust23THRUST_200600_302600_NS6detail15normal_iteratorINSA_10device_ptrIdEEEEPS6_SG_NS0_5tupleIJNSA_16discard_iteratorINSA_11use_defaultEEES6_EEENSH_IJSG_SG_EEES6_PlJNSB_9not_fun_tINSB_14equal_to_valueIdEEEEEEE10hipError_tPvRmT3_T4_T5_T6_T7_T9_mT8_P12ihipStream_tbDpT10_ENKUlT_T0_E_clISt17integral_constantIbLb0EES1B_EEDaS16_S17_EUlS16_E_NS1_11comp_targetILNS1_3genE4ELNS1_11target_archE910ELNS1_3gpuE8ELNS1_3repE0EEENS1_30default_config_static_selectorELNS0_4arch9wavefront6targetE0EEEvT1_
; %bb.0:
	.section	.rodata,"a",@progbits
	.p2align	6, 0x0
	.amdhsa_kernel _ZN7rocprim17ROCPRIM_400000_NS6detail17trampoline_kernelINS0_14default_configENS1_25partition_config_selectorILNS1_17partition_subalgoE6EdNS0_10empty_typeEbEEZZNS1_14partition_implILS5_6ELb0ES3_mN6thrust23THRUST_200600_302600_NS6detail15normal_iteratorINSA_10device_ptrIdEEEEPS6_SG_NS0_5tupleIJNSA_16discard_iteratorINSA_11use_defaultEEES6_EEENSH_IJSG_SG_EEES6_PlJNSB_9not_fun_tINSB_14equal_to_valueIdEEEEEEE10hipError_tPvRmT3_T4_T5_T6_T7_T9_mT8_P12ihipStream_tbDpT10_ENKUlT_T0_E_clISt17integral_constantIbLb0EES1B_EEDaS16_S17_EUlS16_E_NS1_11comp_targetILNS1_3genE4ELNS1_11target_archE910ELNS1_3gpuE8ELNS1_3repE0EEENS1_30default_config_static_selectorELNS0_4arch9wavefront6targetE0EEEvT1_
		.amdhsa_group_segment_fixed_size 0
		.amdhsa_private_segment_fixed_size 0
		.amdhsa_kernarg_size 128
		.amdhsa_user_sgpr_count 2
		.amdhsa_user_sgpr_dispatch_ptr 0
		.amdhsa_user_sgpr_queue_ptr 0
		.amdhsa_user_sgpr_kernarg_segment_ptr 1
		.amdhsa_user_sgpr_dispatch_id 0
		.amdhsa_user_sgpr_private_segment_size 0
		.amdhsa_wavefront_size32 1
		.amdhsa_uses_dynamic_stack 0
		.amdhsa_enable_private_segment 0
		.amdhsa_system_sgpr_workgroup_id_x 1
		.amdhsa_system_sgpr_workgroup_id_y 0
		.amdhsa_system_sgpr_workgroup_id_z 0
		.amdhsa_system_sgpr_workgroup_info 0
		.amdhsa_system_vgpr_workitem_id 0
		.amdhsa_next_free_vgpr 1
		.amdhsa_next_free_sgpr 1
		.amdhsa_reserve_vcc 0
		.amdhsa_float_round_mode_32 0
		.amdhsa_float_round_mode_16_64 0
		.amdhsa_float_denorm_mode_32 3
		.amdhsa_float_denorm_mode_16_64 3
		.amdhsa_fp16_overflow 0
		.amdhsa_workgroup_processor_mode 1
		.amdhsa_memory_ordered 1
		.amdhsa_forward_progress 1
		.amdhsa_inst_pref_size 0
		.amdhsa_round_robin_scheduling 0
		.amdhsa_exception_fp_ieee_invalid_op 0
		.amdhsa_exception_fp_denorm_src 0
		.amdhsa_exception_fp_ieee_div_zero 0
		.amdhsa_exception_fp_ieee_overflow 0
		.amdhsa_exception_fp_ieee_underflow 0
		.amdhsa_exception_fp_ieee_inexact 0
		.amdhsa_exception_int_div_zero 0
	.end_amdhsa_kernel
	.section	.text._ZN7rocprim17ROCPRIM_400000_NS6detail17trampoline_kernelINS0_14default_configENS1_25partition_config_selectorILNS1_17partition_subalgoE6EdNS0_10empty_typeEbEEZZNS1_14partition_implILS5_6ELb0ES3_mN6thrust23THRUST_200600_302600_NS6detail15normal_iteratorINSA_10device_ptrIdEEEEPS6_SG_NS0_5tupleIJNSA_16discard_iteratorINSA_11use_defaultEEES6_EEENSH_IJSG_SG_EEES6_PlJNSB_9not_fun_tINSB_14equal_to_valueIdEEEEEEE10hipError_tPvRmT3_T4_T5_T6_T7_T9_mT8_P12ihipStream_tbDpT10_ENKUlT_T0_E_clISt17integral_constantIbLb0EES1B_EEDaS16_S17_EUlS16_E_NS1_11comp_targetILNS1_3genE4ELNS1_11target_archE910ELNS1_3gpuE8ELNS1_3repE0EEENS1_30default_config_static_selectorELNS0_4arch9wavefront6targetE0EEEvT1_,"axG",@progbits,_ZN7rocprim17ROCPRIM_400000_NS6detail17trampoline_kernelINS0_14default_configENS1_25partition_config_selectorILNS1_17partition_subalgoE6EdNS0_10empty_typeEbEEZZNS1_14partition_implILS5_6ELb0ES3_mN6thrust23THRUST_200600_302600_NS6detail15normal_iteratorINSA_10device_ptrIdEEEEPS6_SG_NS0_5tupleIJNSA_16discard_iteratorINSA_11use_defaultEEES6_EEENSH_IJSG_SG_EEES6_PlJNSB_9not_fun_tINSB_14equal_to_valueIdEEEEEEE10hipError_tPvRmT3_T4_T5_T6_T7_T9_mT8_P12ihipStream_tbDpT10_ENKUlT_T0_E_clISt17integral_constantIbLb0EES1B_EEDaS16_S17_EUlS16_E_NS1_11comp_targetILNS1_3genE4ELNS1_11target_archE910ELNS1_3gpuE8ELNS1_3repE0EEENS1_30default_config_static_selectorELNS0_4arch9wavefront6targetE0EEEvT1_,comdat
.Lfunc_end1567:
	.size	_ZN7rocprim17ROCPRIM_400000_NS6detail17trampoline_kernelINS0_14default_configENS1_25partition_config_selectorILNS1_17partition_subalgoE6EdNS0_10empty_typeEbEEZZNS1_14partition_implILS5_6ELb0ES3_mN6thrust23THRUST_200600_302600_NS6detail15normal_iteratorINSA_10device_ptrIdEEEEPS6_SG_NS0_5tupleIJNSA_16discard_iteratorINSA_11use_defaultEEES6_EEENSH_IJSG_SG_EEES6_PlJNSB_9not_fun_tINSB_14equal_to_valueIdEEEEEEE10hipError_tPvRmT3_T4_T5_T6_T7_T9_mT8_P12ihipStream_tbDpT10_ENKUlT_T0_E_clISt17integral_constantIbLb0EES1B_EEDaS16_S17_EUlS16_E_NS1_11comp_targetILNS1_3genE4ELNS1_11target_archE910ELNS1_3gpuE8ELNS1_3repE0EEENS1_30default_config_static_selectorELNS0_4arch9wavefront6targetE0EEEvT1_, .Lfunc_end1567-_ZN7rocprim17ROCPRIM_400000_NS6detail17trampoline_kernelINS0_14default_configENS1_25partition_config_selectorILNS1_17partition_subalgoE6EdNS0_10empty_typeEbEEZZNS1_14partition_implILS5_6ELb0ES3_mN6thrust23THRUST_200600_302600_NS6detail15normal_iteratorINSA_10device_ptrIdEEEEPS6_SG_NS0_5tupleIJNSA_16discard_iteratorINSA_11use_defaultEEES6_EEENSH_IJSG_SG_EEES6_PlJNSB_9not_fun_tINSB_14equal_to_valueIdEEEEEEE10hipError_tPvRmT3_T4_T5_T6_T7_T9_mT8_P12ihipStream_tbDpT10_ENKUlT_T0_E_clISt17integral_constantIbLb0EES1B_EEDaS16_S17_EUlS16_E_NS1_11comp_targetILNS1_3genE4ELNS1_11target_archE910ELNS1_3gpuE8ELNS1_3repE0EEENS1_30default_config_static_selectorELNS0_4arch9wavefront6targetE0EEEvT1_
                                        ; -- End function
	.set _ZN7rocprim17ROCPRIM_400000_NS6detail17trampoline_kernelINS0_14default_configENS1_25partition_config_selectorILNS1_17partition_subalgoE6EdNS0_10empty_typeEbEEZZNS1_14partition_implILS5_6ELb0ES3_mN6thrust23THRUST_200600_302600_NS6detail15normal_iteratorINSA_10device_ptrIdEEEEPS6_SG_NS0_5tupleIJNSA_16discard_iteratorINSA_11use_defaultEEES6_EEENSH_IJSG_SG_EEES6_PlJNSB_9not_fun_tINSB_14equal_to_valueIdEEEEEEE10hipError_tPvRmT3_T4_T5_T6_T7_T9_mT8_P12ihipStream_tbDpT10_ENKUlT_T0_E_clISt17integral_constantIbLb0EES1B_EEDaS16_S17_EUlS16_E_NS1_11comp_targetILNS1_3genE4ELNS1_11target_archE910ELNS1_3gpuE8ELNS1_3repE0EEENS1_30default_config_static_selectorELNS0_4arch9wavefront6targetE0EEEvT1_.num_vgpr, 0
	.set _ZN7rocprim17ROCPRIM_400000_NS6detail17trampoline_kernelINS0_14default_configENS1_25partition_config_selectorILNS1_17partition_subalgoE6EdNS0_10empty_typeEbEEZZNS1_14partition_implILS5_6ELb0ES3_mN6thrust23THRUST_200600_302600_NS6detail15normal_iteratorINSA_10device_ptrIdEEEEPS6_SG_NS0_5tupleIJNSA_16discard_iteratorINSA_11use_defaultEEES6_EEENSH_IJSG_SG_EEES6_PlJNSB_9not_fun_tINSB_14equal_to_valueIdEEEEEEE10hipError_tPvRmT3_T4_T5_T6_T7_T9_mT8_P12ihipStream_tbDpT10_ENKUlT_T0_E_clISt17integral_constantIbLb0EES1B_EEDaS16_S17_EUlS16_E_NS1_11comp_targetILNS1_3genE4ELNS1_11target_archE910ELNS1_3gpuE8ELNS1_3repE0EEENS1_30default_config_static_selectorELNS0_4arch9wavefront6targetE0EEEvT1_.num_agpr, 0
	.set _ZN7rocprim17ROCPRIM_400000_NS6detail17trampoline_kernelINS0_14default_configENS1_25partition_config_selectorILNS1_17partition_subalgoE6EdNS0_10empty_typeEbEEZZNS1_14partition_implILS5_6ELb0ES3_mN6thrust23THRUST_200600_302600_NS6detail15normal_iteratorINSA_10device_ptrIdEEEEPS6_SG_NS0_5tupleIJNSA_16discard_iteratorINSA_11use_defaultEEES6_EEENSH_IJSG_SG_EEES6_PlJNSB_9not_fun_tINSB_14equal_to_valueIdEEEEEEE10hipError_tPvRmT3_T4_T5_T6_T7_T9_mT8_P12ihipStream_tbDpT10_ENKUlT_T0_E_clISt17integral_constantIbLb0EES1B_EEDaS16_S17_EUlS16_E_NS1_11comp_targetILNS1_3genE4ELNS1_11target_archE910ELNS1_3gpuE8ELNS1_3repE0EEENS1_30default_config_static_selectorELNS0_4arch9wavefront6targetE0EEEvT1_.numbered_sgpr, 0
	.set _ZN7rocprim17ROCPRIM_400000_NS6detail17trampoline_kernelINS0_14default_configENS1_25partition_config_selectorILNS1_17partition_subalgoE6EdNS0_10empty_typeEbEEZZNS1_14partition_implILS5_6ELb0ES3_mN6thrust23THRUST_200600_302600_NS6detail15normal_iteratorINSA_10device_ptrIdEEEEPS6_SG_NS0_5tupleIJNSA_16discard_iteratorINSA_11use_defaultEEES6_EEENSH_IJSG_SG_EEES6_PlJNSB_9not_fun_tINSB_14equal_to_valueIdEEEEEEE10hipError_tPvRmT3_T4_T5_T6_T7_T9_mT8_P12ihipStream_tbDpT10_ENKUlT_T0_E_clISt17integral_constantIbLb0EES1B_EEDaS16_S17_EUlS16_E_NS1_11comp_targetILNS1_3genE4ELNS1_11target_archE910ELNS1_3gpuE8ELNS1_3repE0EEENS1_30default_config_static_selectorELNS0_4arch9wavefront6targetE0EEEvT1_.num_named_barrier, 0
	.set _ZN7rocprim17ROCPRIM_400000_NS6detail17trampoline_kernelINS0_14default_configENS1_25partition_config_selectorILNS1_17partition_subalgoE6EdNS0_10empty_typeEbEEZZNS1_14partition_implILS5_6ELb0ES3_mN6thrust23THRUST_200600_302600_NS6detail15normal_iteratorINSA_10device_ptrIdEEEEPS6_SG_NS0_5tupleIJNSA_16discard_iteratorINSA_11use_defaultEEES6_EEENSH_IJSG_SG_EEES6_PlJNSB_9not_fun_tINSB_14equal_to_valueIdEEEEEEE10hipError_tPvRmT3_T4_T5_T6_T7_T9_mT8_P12ihipStream_tbDpT10_ENKUlT_T0_E_clISt17integral_constantIbLb0EES1B_EEDaS16_S17_EUlS16_E_NS1_11comp_targetILNS1_3genE4ELNS1_11target_archE910ELNS1_3gpuE8ELNS1_3repE0EEENS1_30default_config_static_selectorELNS0_4arch9wavefront6targetE0EEEvT1_.private_seg_size, 0
	.set _ZN7rocprim17ROCPRIM_400000_NS6detail17trampoline_kernelINS0_14default_configENS1_25partition_config_selectorILNS1_17partition_subalgoE6EdNS0_10empty_typeEbEEZZNS1_14partition_implILS5_6ELb0ES3_mN6thrust23THRUST_200600_302600_NS6detail15normal_iteratorINSA_10device_ptrIdEEEEPS6_SG_NS0_5tupleIJNSA_16discard_iteratorINSA_11use_defaultEEES6_EEENSH_IJSG_SG_EEES6_PlJNSB_9not_fun_tINSB_14equal_to_valueIdEEEEEEE10hipError_tPvRmT3_T4_T5_T6_T7_T9_mT8_P12ihipStream_tbDpT10_ENKUlT_T0_E_clISt17integral_constantIbLb0EES1B_EEDaS16_S17_EUlS16_E_NS1_11comp_targetILNS1_3genE4ELNS1_11target_archE910ELNS1_3gpuE8ELNS1_3repE0EEENS1_30default_config_static_selectorELNS0_4arch9wavefront6targetE0EEEvT1_.uses_vcc, 0
	.set _ZN7rocprim17ROCPRIM_400000_NS6detail17trampoline_kernelINS0_14default_configENS1_25partition_config_selectorILNS1_17partition_subalgoE6EdNS0_10empty_typeEbEEZZNS1_14partition_implILS5_6ELb0ES3_mN6thrust23THRUST_200600_302600_NS6detail15normal_iteratorINSA_10device_ptrIdEEEEPS6_SG_NS0_5tupleIJNSA_16discard_iteratorINSA_11use_defaultEEES6_EEENSH_IJSG_SG_EEES6_PlJNSB_9not_fun_tINSB_14equal_to_valueIdEEEEEEE10hipError_tPvRmT3_T4_T5_T6_T7_T9_mT8_P12ihipStream_tbDpT10_ENKUlT_T0_E_clISt17integral_constantIbLb0EES1B_EEDaS16_S17_EUlS16_E_NS1_11comp_targetILNS1_3genE4ELNS1_11target_archE910ELNS1_3gpuE8ELNS1_3repE0EEENS1_30default_config_static_selectorELNS0_4arch9wavefront6targetE0EEEvT1_.uses_flat_scratch, 0
	.set _ZN7rocprim17ROCPRIM_400000_NS6detail17trampoline_kernelINS0_14default_configENS1_25partition_config_selectorILNS1_17partition_subalgoE6EdNS0_10empty_typeEbEEZZNS1_14partition_implILS5_6ELb0ES3_mN6thrust23THRUST_200600_302600_NS6detail15normal_iteratorINSA_10device_ptrIdEEEEPS6_SG_NS0_5tupleIJNSA_16discard_iteratorINSA_11use_defaultEEES6_EEENSH_IJSG_SG_EEES6_PlJNSB_9not_fun_tINSB_14equal_to_valueIdEEEEEEE10hipError_tPvRmT3_T4_T5_T6_T7_T9_mT8_P12ihipStream_tbDpT10_ENKUlT_T0_E_clISt17integral_constantIbLb0EES1B_EEDaS16_S17_EUlS16_E_NS1_11comp_targetILNS1_3genE4ELNS1_11target_archE910ELNS1_3gpuE8ELNS1_3repE0EEENS1_30default_config_static_selectorELNS0_4arch9wavefront6targetE0EEEvT1_.has_dyn_sized_stack, 0
	.set _ZN7rocprim17ROCPRIM_400000_NS6detail17trampoline_kernelINS0_14default_configENS1_25partition_config_selectorILNS1_17partition_subalgoE6EdNS0_10empty_typeEbEEZZNS1_14partition_implILS5_6ELb0ES3_mN6thrust23THRUST_200600_302600_NS6detail15normal_iteratorINSA_10device_ptrIdEEEEPS6_SG_NS0_5tupleIJNSA_16discard_iteratorINSA_11use_defaultEEES6_EEENSH_IJSG_SG_EEES6_PlJNSB_9not_fun_tINSB_14equal_to_valueIdEEEEEEE10hipError_tPvRmT3_T4_T5_T6_T7_T9_mT8_P12ihipStream_tbDpT10_ENKUlT_T0_E_clISt17integral_constantIbLb0EES1B_EEDaS16_S17_EUlS16_E_NS1_11comp_targetILNS1_3genE4ELNS1_11target_archE910ELNS1_3gpuE8ELNS1_3repE0EEENS1_30default_config_static_selectorELNS0_4arch9wavefront6targetE0EEEvT1_.has_recursion, 0
	.set _ZN7rocprim17ROCPRIM_400000_NS6detail17trampoline_kernelINS0_14default_configENS1_25partition_config_selectorILNS1_17partition_subalgoE6EdNS0_10empty_typeEbEEZZNS1_14partition_implILS5_6ELb0ES3_mN6thrust23THRUST_200600_302600_NS6detail15normal_iteratorINSA_10device_ptrIdEEEEPS6_SG_NS0_5tupleIJNSA_16discard_iteratorINSA_11use_defaultEEES6_EEENSH_IJSG_SG_EEES6_PlJNSB_9not_fun_tINSB_14equal_to_valueIdEEEEEEE10hipError_tPvRmT3_T4_T5_T6_T7_T9_mT8_P12ihipStream_tbDpT10_ENKUlT_T0_E_clISt17integral_constantIbLb0EES1B_EEDaS16_S17_EUlS16_E_NS1_11comp_targetILNS1_3genE4ELNS1_11target_archE910ELNS1_3gpuE8ELNS1_3repE0EEENS1_30default_config_static_selectorELNS0_4arch9wavefront6targetE0EEEvT1_.has_indirect_call, 0
	.section	.AMDGPU.csdata,"",@progbits
; Kernel info:
; codeLenInByte = 0
; TotalNumSgprs: 0
; NumVgprs: 0
; ScratchSize: 0
; MemoryBound: 0
; FloatMode: 240
; IeeeMode: 1
; LDSByteSize: 0 bytes/workgroup (compile time only)
; SGPRBlocks: 0
; VGPRBlocks: 0
; NumSGPRsForWavesPerEU: 1
; NumVGPRsForWavesPerEU: 1
; Occupancy: 16
; WaveLimiterHint : 0
; COMPUTE_PGM_RSRC2:SCRATCH_EN: 0
; COMPUTE_PGM_RSRC2:USER_SGPR: 2
; COMPUTE_PGM_RSRC2:TRAP_HANDLER: 0
; COMPUTE_PGM_RSRC2:TGID_X_EN: 1
; COMPUTE_PGM_RSRC2:TGID_Y_EN: 0
; COMPUTE_PGM_RSRC2:TGID_Z_EN: 0
; COMPUTE_PGM_RSRC2:TIDIG_COMP_CNT: 0
	.section	.text._ZN7rocprim17ROCPRIM_400000_NS6detail17trampoline_kernelINS0_14default_configENS1_25partition_config_selectorILNS1_17partition_subalgoE6EdNS0_10empty_typeEbEEZZNS1_14partition_implILS5_6ELb0ES3_mN6thrust23THRUST_200600_302600_NS6detail15normal_iteratorINSA_10device_ptrIdEEEEPS6_SG_NS0_5tupleIJNSA_16discard_iteratorINSA_11use_defaultEEES6_EEENSH_IJSG_SG_EEES6_PlJNSB_9not_fun_tINSB_14equal_to_valueIdEEEEEEE10hipError_tPvRmT3_T4_T5_T6_T7_T9_mT8_P12ihipStream_tbDpT10_ENKUlT_T0_E_clISt17integral_constantIbLb0EES1B_EEDaS16_S17_EUlS16_E_NS1_11comp_targetILNS1_3genE3ELNS1_11target_archE908ELNS1_3gpuE7ELNS1_3repE0EEENS1_30default_config_static_selectorELNS0_4arch9wavefront6targetE0EEEvT1_,"axG",@progbits,_ZN7rocprim17ROCPRIM_400000_NS6detail17trampoline_kernelINS0_14default_configENS1_25partition_config_selectorILNS1_17partition_subalgoE6EdNS0_10empty_typeEbEEZZNS1_14partition_implILS5_6ELb0ES3_mN6thrust23THRUST_200600_302600_NS6detail15normal_iteratorINSA_10device_ptrIdEEEEPS6_SG_NS0_5tupleIJNSA_16discard_iteratorINSA_11use_defaultEEES6_EEENSH_IJSG_SG_EEES6_PlJNSB_9not_fun_tINSB_14equal_to_valueIdEEEEEEE10hipError_tPvRmT3_T4_T5_T6_T7_T9_mT8_P12ihipStream_tbDpT10_ENKUlT_T0_E_clISt17integral_constantIbLb0EES1B_EEDaS16_S17_EUlS16_E_NS1_11comp_targetILNS1_3genE3ELNS1_11target_archE908ELNS1_3gpuE7ELNS1_3repE0EEENS1_30default_config_static_selectorELNS0_4arch9wavefront6targetE0EEEvT1_,comdat
	.protected	_ZN7rocprim17ROCPRIM_400000_NS6detail17trampoline_kernelINS0_14default_configENS1_25partition_config_selectorILNS1_17partition_subalgoE6EdNS0_10empty_typeEbEEZZNS1_14partition_implILS5_6ELb0ES3_mN6thrust23THRUST_200600_302600_NS6detail15normal_iteratorINSA_10device_ptrIdEEEEPS6_SG_NS0_5tupleIJNSA_16discard_iteratorINSA_11use_defaultEEES6_EEENSH_IJSG_SG_EEES6_PlJNSB_9not_fun_tINSB_14equal_to_valueIdEEEEEEE10hipError_tPvRmT3_T4_T5_T6_T7_T9_mT8_P12ihipStream_tbDpT10_ENKUlT_T0_E_clISt17integral_constantIbLb0EES1B_EEDaS16_S17_EUlS16_E_NS1_11comp_targetILNS1_3genE3ELNS1_11target_archE908ELNS1_3gpuE7ELNS1_3repE0EEENS1_30default_config_static_selectorELNS0_4arch9wavefront6targetE0EEEvT1_ ; -- Begin function _ZN7rocprim17ROCPRIM_400000_NS6detail17trampoline_kernelINS0_14default_configENS1_25partition_config_selectorILNS1_17partition_subalgoE6EdNS0_10empty_typeEbEEZZNS1_14partition_implILS5_6ELb0ES3_mN6thrust23THRUST_200600_302600_NS6detail15normal_iteratorINSA_10device_ptrIdEEEEPS6_SG_NS0_5tupleIJNSA_16discard_iteratorINSA_11use_defaultEEES6_EEENSH_IJSG_SG_EEES6_PlJNSB_9not_fun_tINSB_14equal_to_valueIdEEEEEEE10hipError_tPvRmT3_T4_T5_T6_T7_T9_mT8_P12ihipStream_tbDpT10_ENKUlT_T0_E_clISt17integral_constantIbLb0EES1B_EEDaS16_S17_EUlS16_E_NS1_11comp_targetILNS1_3genE3ELNS1_11target_archE908ELNS1_3gpuE7ELNS1_3repE0EEENS1_30default_config_static_selectorELNS0_4arch9wavefront6targetE0EEEvT1_
	.globl	_ZN7rocprim17ROCPRIM_400000_NS6detail17trampoline_kernelINS0_14default_configENS1_25partition_config_selectorILNS1_17partition_subalgoE6EdNS0_10empty_typeEbEEZZNS1_14partition_implILS5_6ELb0ES3_mN6thrust23THRUST_200600_302600_NS6detail15normal_iteratorINSA_10device_ptrIdEEEEPS6_SG_NS0_5tupleIJNSA_16discard_iteratorINSA_11use_defaultEEES6_EEENSH_IJSG_SG_EEES6_PlJNSB_9not_fun_tINSB_14equal_to_valueIdEEEEEEE10hipError_tPvRmT3_T4_T5_T6_T7_T9_mT8_P12ihipStream_tbDpT10_ENKUlT_T0_E_clISt17integral_constantIbLb0EES1B_EEDaS16_S17_EUlS16_E_NS1_11comp_targetILNS1_3genE3ELNS1_11target_archE908ELNS1_3gpuE7ELNS1_3repE0EEENS1_30default_config_static_selectorELNS0_4arch9wavefront6targetE0EEEvT1_
	.p2align	8
	.type	_ZN7rocprim17ROCPRIM_400000_NS6detail17trampoline_kernelINS0_14default_configENS1_25partition_config_selectorILNS1_17partition_subalgoE6EdNS0_10empty_typeEbEEZZNS1_14partition_implILS5_6ELb0ES3_mN6thrust23THRUST_200600_302600_NS6detail15normal_iteratorINSA_10device_ptrIdEEEEPS6_SG_NS0_5tupleIJNSA_16discard_iteratorINSA_11use_defaultEEES6_EEENSH_IJSG_SG_EEES6_PlJNSB_9not_fun_tINSB_14equal_to_valueIdEEEEEEE10hipError_tPvRmT3_T4_T5_T6_T7_T9_mT8_P12ihipStream_tbDpT10_ENKUlT_T0_E_clISt17integral_constantIbLb0EES1B_EEDaS16_S17_EUlS16_E_NS1_11comp_targetILNS1_3genE3ELNS1_11target_archE908ELNS1_3gpuE7ELNS1_3repE0EEENS1_30default_config_static_selectorELNS0_4arch9wavefront6targetE0EEEvT1_,@function
_ZN7rocprim17ROCPRIM_400000_NS6detail17trampoline_kernelINS0_14default_configENS1_25partition_config_selectorILNS1_17partition_subalgoE6EdNS0_10empty_typeEbEEZZNS1_14partition_implILS5_6ELb0ES3_mN6thrust23THRUST_200600_302600_NS6detail15normal_iteratorINSA_10device_ptrIdEEEEPS6_SG_NS0_5tupleIJNSA_16discard_iteratorINSA_11use_defaultEEES6_EEENSH_IJSG_SG_EEES6_PlJNSB_9not_fun_tINSB_14equal_to_valueIdEEEEEEE10hipError_tPvRmT3_T4_T5_T6_T7_T9_mT8_P12ihipStream_tbDpT10_ENKUlT_T0_E_clISt17integral_constantIbLb0EES1B_EEDaS16_S17_EUlS16_E_NS1_11comp_targetILNS1_3genE3ELNS1_11target_archE908ELNS1_3gpuE7ELNS1_3repE0EEENS1_30default_config_static_selectorELNS0_4arch9wavefront6targetE0EEEvT1_: ; @_ZN7rocprim17ROCPRIM_400000_NS6detail17trampoline_kernelINS0_14default_configENS1_25partition_config_selectorILNS1_17partition_subalgoE6EdNS0_10empty_typeEbEEZZNS1_14partition_implILS5_6ELb0ES3_mN6thrust23THRUST_200600_302600_NS6detail15normal_iteratorINSA_10device_ptrIdEEEEPS6_SG_NS0_5tupleIJNSA_16discard_iteratorINSA_11use_defaultEEES6_EEENSH_IJSG_SG_EEES6_PlJNSB_9not_fun_tINSB_14equal_to_valueIdEEEEEEE10hipError_tPvRmT3_T4_T5_T6_T7_T9_mT8_P12ihipStream_tbDpT10_ENKUlT_T0_E_clISt17integral_constantIbLb0EES1B_EEDaS16_S17_EUlS16_E_NS1_11comp_targetILNS1_3genE3ELNS1_11target_archE908ELNS1_3gpuE7ELNS1_3repE0EEENS1_30default_config_static_selectorELNS0_4arch9wavefront6targetE0EEEvT1_
; %bb.0:
	.section	.rodata,"a",@progbits
	.p2align	6, 0x0
	.amdhsa_kernel _ZN7rocprim17ROCPRIM_400000_NS6detail17trampoline_kernelINS0_14default_configENS1_25partition_config_selectorILNS1_17partition_subalgoE6EdNS0_10empty_typeEbEEZZNS1_14partition_implILS5_6ELb0ES3_mN6thrust23THRUST_200600_302600_NS6detail15normal_iteratorINSA_10device_ptrIdEEEEPS6_SG_NS0_5tupleIJNSA_16discard_iteratorINSA_11use_defaultEEES6_EEENSH_IJSG_SG_EEES6_PlJNSB_9not_fun_tINSB_14equal_to_valueIdEEEEEEE10hipError_tPvRmT3_T4_T5_T6_T7_T9_mT8_P12ihipStream_tbDpT10_ENKUlT_T0_E_clISt17integral_constantIbLb0EES1B_EEDaS16_S17_EUlS16_E_NS1_11comp_targetILNS1_3genE3ELNS1_11target_archE908ELNS1_3gpuE7ELNS1_3repE0EEENS1_30default_config_static_selectorELNS0_4arch9wavefront6targetE0EEEvT1_
		.amdhsa_group_segment_fixed_size 0
		.amdhsa_private_segment_fixed_size 0
		.amdhsa_kernarg_size 128
		.amdhsa_user_sgpr_count 2
		.amdhsa_user_sgpr_dispatch_ptr 0
		.amdhsa_user_sgpr_queue_ptr 0
		.amdhsa_user_sgpr_kernarg_segment_ptr 1
		.amdhsa_user_sgpr_dispatch_id 0
		.amdhsa_user_sgpr_private_segment_size 0
		.amdhsa_wavefront_size32 1
		.amdhsa_uses_dynamic_stack 0
		.amdhsa_enable_private_segment 0
		.amdhsa_system_sgpr_workgroup_id_x 1
		.amdhsa_system_sgpr_workgroup_id_y 0
		.amdhsa_system_sgpr_workgroup_id_z 0
		.amdhsa_system_sgpr_workgroup_info 0
		.amdhsa_system_vgpr_workitem_id 0
		.amdhsa_next_free_vgpr 1
		.amdhsa_next_free_sgpr 1
		.amdhsa_reserve_vcc 0
		.amdhsa_float_round_mode_32 0
		.amdhsa_float_round_mode_16_64 0
		.amdhsa_float_denorm_mode_32 3
		.amdhsa_float_denorm_mode_16_64 3
		.amdhsa_fp16_overflow 0
		.amdhsa_workgroup_processor_mode 1
		.amdhsa_memory_ordered 1
		.amdhsa_forward_progress 1
		.amdhsa_inst_pref_size 0
		.amdhsa_round_robin_scheduling 0
		.amdhsa_exception_fp_ieee_invalid_op 0
		.amdhsa_exception_fp_denorm_src 0
		.amdhsa_exception_fp_ieee_div_zero 0
		.amdhsa_exception_fp_ieee_overflow 0
		.amdhsa_exception_fp_ieee_underflow 0
		.amdhsa_exception_fp_ieee_inexact 0
		.amdhsa_exception_int_div_zero 0
	.end_amdhsa_kernel
	.section	.text._ZN7rocprim17ROCPRIM_400000_NS6detail17trampoline_kernelINS0_14default_configENS1_25partition_config_selectorILNS1_17partition_subalgoE6EdNS0_10empty_typeEbEEZZNS1_14partition_implILS5_6ELb0ES3_mN6thrust23THRUST_200600_302600_NS6detail15normal_iteratorINSA_10device_ptrIdEEEEPS6_SG_NS0_5tupleIJNSA_16discard_iteratorINSA_11use_defaultEEES6_EEENSH_IJSG_SG_EEES6_PlJNSB_9not_fun_tINSB_14equal_to_valueIdEEEEEEE10hipError_tPvRmT3_T4_T5_T6_T7_T9_mT8_P12ihipStream_tbDpT10_ENKUlT_T0_E_clISt17integral_constantIbLb0EES1B_EEDaS16_S17_EUlS16_E_NS1_11comp_targetILNS1_3genE3ELNS1_11target_archE908ELNS1_3gpuE7ELNS1_3repE0EEENS1_30default_config_static_selectorELNS0_4arch9wavefront6targetE0EEEvT1_,"axG",@progbits,_ZN7rocprim17ROCPRIM_400000_NS6detail17trampoline_kernelINS0_14default_configENS1_25partition_config_selectorILNS1_17partition_subalgoE6EdNS0_10empty_typeEbEEZZNS1_14partition_implILS5_6ELb0ES3_mN6thrust23THRUST_200600_302600_NS6detail15normal_iteratorINSA_10device_ptrIdEEEEPS6_SG_NS0_5tupleIJNSA_16discard_iteratorINSA_11use_defaultEEES6_EEENSH_IJSG_SG_EEES6_PlJNSB_9not_fun_tINSB_14equal_to_valueIdEEEEEEE10hipError_tPvRmT3_T4_T5_T6_T7_T9_mT8_P12ihipStream_tbDpT10_ENKUlT_T0_E_clISt17integral_constantIbLb0EES1B_EEDaS16_S17_EUlS16_E_NS1_11comp_targetILNS1_3genE3ELNS1_11target_archE908ELNS1_3gpuE7ELNS1_3repE0EEENS1_30default_config_static_selectorELNS0_4arch9wavefront6targetE0EEEvT1_,comdat
.Lfunc_end1568:
	.size	_ZN7rocprim17ROCPRIM_400000_NS6detail17trampoline_kernelINS0_14default_configENS1_25partition_config_selectorILNS1_17partition_subalgoE6EdNS0_10empty_typeEbEEZZNS1_14partition_implILS5_6ELb0ES3_mN6thrust23THRUST_200600_302600_NS6detail15normal_iteratorINSA_10device_ptrIdEEEEPS6_SG_NS0_5tupleIJNSA_16discard_iteratorINSA_11use_defaultEEES6_EEENSH_IJSG_SG_EEES6_PlJNSB_9not_fun_tINSB_14equal_to_valueIdEEEEEEE10hipError_tPvRmT3_T4_T5_T6_T7_T9_mT8_P12ihipStream_tbDpT10_ENKUlT_T0_E_clISt17integral_constantIbLb0EES1B_EEDaS16_S17_EUlS16_E_NS1_11comp_targetILNS1_3genE3ELNS1_11target_archE908ELNS1_3gpuE7ELNS1_3repE0EEENS1_30default_config_static_selectorELNS0_4arch9wavefront6targetE0EEEvT1_, .Lfunc_end1568-_ZN7rocprim17ROCPRIM_400000_NS6detail17trampoline_kernelINS0_14default_configENS1_25partition_config_selectorILNS1_17partition_subalgoE6EdNS0_10empty_typeEbEEZZNS1_14partition_implILS5_6ELb0ES3_mN6thrust23THRUST_200600_302600_NS6detail15normal_iteratorINSA_10device_ptrIdEEEEPS6_SG_NS0_5tupleIJNSA_16discard_iteratorINSA_11use_defaultEEES6_EEENSH_IJSG_SG_EEES6_PlJNSB_9not_fun_tINSB_14equal_to_valueIdEEEEEEE10hipError_tPvRmT3_T4_T5_T6_T7_T9_mT8_P12ihipStream_tbDpT10_ENKUlT_T0_E_clISt17integral_constantIbLb0EES1B_EEDaS16_S17_EUlS16_E_NS1_11comp_targetILNS1_3genE3ELNS1_11target_archE908ELNS1_3gpuE7ELNS1_3repE0EEENS1_30default_config_static_selectorELNS0_4arch9wavefront6targetE0EEEvT1_
                                        ; -- End function
	.set _ZN7rocprim17ROCPRIM_400000_NS6detail17trampoline_kernelINS0_14default_configENS1_25partition_config_selectorILNS1_17partition_subalgoE6EdNS0_10empty_typeEbEEZZNS1_14partition_implILS5_6ELb0ES3_mN6thrust23THRUST_200600_302600_NS6detail15normal_iteratorINSA_10device_ptrIdEEEEPS6_SG_NS0_5tupleIJNSA_16discard_iteratorINSA_11use_defaultEEES6_EEENSH_IJSG_SG_EEES6_PlJNSB_9not_fun_tINSB_14equal_to_valueIdEEEEEEE10hipError_tPvRmT3_T4_T5_T6_T7_T9_mT8_P12ihipStream_tbDpT10_ENKUlT_T0_E_clISt17integral_constantIbLb0EES1B_EEDaS16_S17_EUlS16_E_NS1_11comp_targetILNS1_3genE3ELNS1_11target_archE908ELNS1_3gpuE7ELNS1_3repE0EEENS1_30default_config_static_selectorELNS0_4arch9wavefront6targetE0EEEvT1_.num_vgpr, 0
	.set _ZN7rocprim17ROCPRIM_400000_NS6detail17trampoline_kernelINS0_14default_configENS1_25partition_config_selectorILNS1_17partition_subalgoE6EdNS0_10empty_typeEbEEZZNS1_14partition_implILS5_6ELb0ES3_mN6thrust23THRUST_200600_302600_NS6detail15normal_iteratorINSA_10device_ptrIdEEEEPS6_SG_NS0_5tupleIJNSA_16discard_iteratorINSA_11use_defaultEEES6_EEENSH_IJSG_SG_EEES6_PlJNSB_9not_fun_tINSB_14equal_to_valueIdEEEEEEE10hipError_tPvRmT3_T4_T5_T6_T7_T9_mT8_P12ihipStream_tbDpT10_ENKUlT_T0_E_clISt17integral_constantIbLb0EES1B_EEDaS16_S17_EUlS16_E_NS1_11comp_targetILNS1_3genE3ELNS1_11target_archE908ELNS1_3gpuE7ELNS1_3repE0EEENS1_30default_config_static_selectorELNS0_4arch9wavefront6targetE0EEEvT1_.num_agpr, 0
	.set _ZN7rocprim17ROCPRIM_400000_NS6detail17trampoline_kernelINS0_14default_configENS1_25partition_config_selectorILNS1_17partition_subalgoE6EdNS0_10empty_typeEbEEZZNS1_14partition_implILS5_6ELb0ES3_mN6thrust23THRUST_200600_302600_NS6detail15normal_iteratorINSA_10device_ptrIdEEEEPS6_SG_NS0_5tupleIJNSA_16discard_iteratorINSA_11use_defaultEEES6_EEENSH_IJSG_SG_EEES6_PlJNSB_9not_fun_tINSB_14equal_to_valueIdEEEEEEE10hipError_tPvRmT3_T4_T5_T6_T7_T9_mT8_P12ihipStream_tbDpT10_ENKUlT_T0_E_clISt17integral_constantIbLb0EES1B_EEDaS16_S17_EUlS16_E_NS1_11comp_targetILNS1_3genE3ELNS1_11target_archE908ELNS1_3gpuE7ELNS1_3repE0EEENS1_30default_config_static_selectorELNS0_4arch9wavefront6targetE0EEEvT1_.numbered_sgpr, 0
	.set _ZN7rocprim17ROCPRIM_400000_NS6detail17trampoline_kernelINS0_14default_configENS1_25partition_config_selectorILNS1_17partition_subalgoE6EdNS0_10empty_typeEbEEZZNS1_14partition_implILS5_6ELb0ES3_mN6thrust23THRUST_200600_302600_NS6detail15normal_iteratorINSA_10device_ptrIdEEEEPS6_SG_NS0_5tupleIJNSA_16discard_iteratorINSA_11use_defaultEEES6_EEENSH_IJSG_SG_EEES6_PlJNSB_9not_fun_tINSB_14equal_to_valueIdEEEEEEE10hipError_tPvRmT3_T4_T5_T6_T7_T9_mT8_P12ihipStream_tbDpT10_ENKUlT_T0_E_clISt17integral_constantIbLb0EES1B_EEDaS16_S17_EUlS16_E_NS1_11comp_targetILNS1_3genE3ELNS1_11target_archE908ELNS1_3gpuE7ELNS1_3repE0EEENS1_30default_config_static_selectorELNS0_4arch9wavefront6targetE0EEEvT1_.num_named_barrier, 0
	.set _ZN7rocprim17ROCPRIM_400000_NS6detail17trampoline_kernelINS0_14default_configENS1_25partition_config_selectorILNS1_17partition_subalgoE6EdNS0_10empty_typeEbEEZZNS1_14partition_implILS5_6ELb0ES3_mN6thrust23THRUST_200600_302600_NS6detail15normal_iteratorINSA_10device_ptrIdEEEEPS6_SG_NS0_5tupleIJNSA_16discard_iteratorINSA_11use_defaultEEES6_EEENSH_IJSG_SG_EEES6_PlJNSB_9not_fun_tINSB_14equal_to_valueIdEEEEEEE10hipError_tPvRmT3_T4_T5_T6_T7_T9_mT8_P12ihipStream_tbDpT10_ENKUlT_T0_E_clISt17integral_constantIbLb0EES1B_EEDaS16_S17_EUlS16_E_NS1_11comp_targetILNS1_3genE3ELNS1_11target_archE908ELNS1_3gpuE7ELNS1_3repE0EEENS1_30default_config_static_selectorELNS0_4arch9wavefront6targetE0EEEvT1_.private_seg_size, 0
	.set _ZN7rocprim17ROCPRIM_400000_NS6detail17trampoline_kernelINS0_14default_configENS1_25partition_config_selectorILNS1_17partition_subalgoE6EdNS0_10empty_typeEbEEZZNS1_14partition_implILS5_6ELb0ES3_mN6thrust23THRUST_200600_302600_NS6detail15normal_iteratorINSA_10device_ptrIdEEEEPS6_SG_NS0_5tupleIJNSA_16discard_iteratorINSA_11use_defaultEEES6_EEENSH_IJSG_SG_EEES6_PlJNSB_9not_fun_tINSB_14equal_to_valueIdEEEEEEE10hipError_tPvRmT3_T4_T5_T6_T7_T9_mT8_P12ihipStream_tbDpT10_ENKUlT_T0_E_clISt17integral_constantIbLb0EES1B_EEDaS16_S17_EUlS16_E_NS1_11comp_targetILNS1_3genE3ELNS1_11target_archE908ELNS1_3gpuE7ELNS1_3repE0EEENS1_30default_config_static_selectorELNS0_4arch9wavefront6targetE0EEEvT1_.uses_vcc, 0
	.set _ZN7rocprim17ROCPRIM_400000_NS6detail17trampoline_kernelINS0_14default_configENS1_25partition_config_selectorILNS1_17partition_subalgoE6EdNS0_10empty_typeEbEEZZNS1_14partition_implILS5_6ELb0ES3_mN6thrust23THRUST_200600_302600_NS6detail15normal_iteratorINSA_10device_ptrIdEEEEPS6_SG_NS0_5tupleIJNSA_16discard_iteratorINSA_11use_defaultEEES6_EEENSH_IJSG_SG_EEES6_PlJNSB_9not_fun_tINSB_14equal_to_valueIdEEEEEEE10hipError_tPvRmT3_T4_T5_T6_T7_T9_mT8_P12ihipStream_tbDpT10_ENKUlT_T0_E_clISt17integral_constantIbLb0EES1B_EEDaS16_S17_EUlS16_E_NS1_11comp_targetILNS1_3genE3ELNS1_11target_archE908ELNS1_3gpuE7ELNS1_3repE0EEENS1_30default_config_static_selectorELNS0_4arch9wavefront6targetE0EEEvT1_.uses_flat_scratch, 0
	.set _ZN7rocprim17ROCPRIM_400000_NS6detail17trampoline_kernelINS0_14default_configENS1_25partition_config_selectorILNS1_17partition_subalgoE6EdNS0_10empty_typeEbEEZZNS1_14partition_implILS5_6ELb0ES3_mN6thrust23THRUST_200600_302600_NS6detail15normal_iteratorINSA_10device_ptrIdEEEEPS6_SG_NS0_5tupleIJNSA_16discard_iteratorINSA_11use_defaultEEES6_EEENSH_IJSG_SG_EEES6_PlJNSB_9not_fun_tINSB_14equal_to_valueIdEEEEEEE10hipError_tPvRmT3_T4_T5_T6_T7_T9_mT8_P12ihipStream_tbDpT10_ENKUlT_T0_E_clISt17integral_constantIbLb0EES1B_EEDaS16_S17_EUlS16_E_NS1_11comp_targetILNS1_3genE3ELNS1_11target_archE908ELNS1_3gpuE7ELNS1_3repE0EEENS1_30default_config_static_selectorELNS0_4arch9wavefront6targetE0EEEvT1_.has_dyn_sized_stack, 0
	.set _ZN7rocprim17ROCPRIM_400000_NS6detail17trampoline_kernelINS0_14default_configENS1_25partition_config_selectorILNS1_17partition_subalgoE6EdNS0_10empty_typeEbEEZZNS1_14partition_implILS5_6ELb0ES3_mN6thrust23THRUST_200600_302600_NS6detail15normal_iteratorINSA_10device_ptrIdEEEEPS6_SG_NS0_5tupleIJNSA_16discard_iteratorINSA_11use_defaultEEES6_EEENSH_IJSG_SG_EEES6_PlJNSB_9not_fun_tINSB_14equal_to_valueIdEEEEEEE10hipError_tPvRmT3_T4_T5_T6_T7_T9_mT8_P12ihipStream_tbDpT10_ENKUlT_T0_E_clISt17integral_constantIbLb0EES1B_EEDaS16_S17_EUlS16_E_NS1_11comp_targetILNS1_3genE3ELNS1_11target_archE908ELNS1_3gpuE7ELNS1_3repE0EEENS1_30default_config_static_selectorELNS0_4arch9wavefront6targetE0EEEvT1_.has_recursion, 0
	.set _ZN7rocprim17ROCPRIM_400000_NS6detail17trampoline_kernelINS0_14default_configENS1_25partition_config_selectorILNS1_17partition_subalgoE6EdNS0_10empty_typeEbEEZZNS1_14partition_implILS5_6ELb0ES3_mN6thrust23THRUST_200600_302600_NS6detail15normal_iteratorINSA_10device_ptrIdEEEEPS6_SG_NS0_5tupleIJNSA_16discard_iteratorINSA_11use_defaultEEES6_EEENSH_IJSG_SG_EEES6_PlJNSB_9not_fun_tINSB_14equal_to_valueIdEEEEEEE10hipError_tPvRmT3_T4_T5_T6_T7_T9_mT8_P12ihipStream_tbDpT10_ENKUlT_T0_E_clISt17integral_constantIbLb0EES1B_EEDaS16_S17_EUlS16_E_NS1_11comp_targetILNS1_3genE3ELNS1_11target_archE908ELNS1_3gpuE7ELNS1_3repE0EEENS1_30default_config_static_selectorELNS0_4arch9wavefront6targetE0EEEvT1_.has_indirect_call, 0
	.section	.AMDGPU.csdata,"",@progbits
; Kernel info:
; codeLenInByte = 0
; TotalNumSgprs: 0
; NumVgprs: 0
; ScratchSize: 0
; MemoryBound: 0
; FloatMode: 240
; IeeeMode: 1
; LDSByteSize: 0 bytes/workgroup (compile time only)
; SGPRBlocks: 0
; VGPRBlocks: 0
; NumSGPRsForWavesPerEU: 1
; NumVGPRsForWavesPerEU: 1
; Occupancy: 16
; WaveLimiterHint : 0
; COMPUTE_PGM_RSRC2:SCRATCH_EN: 0
; COMPUTE_PGM_RSRC2:USER_SGPR: 2
; COMPUTE_PGM_RSRC2:TRAP_HANDLER: 0
; COMPUTE_PGM_RSRC2:TGID_X_EN: 1
; COMPUTE_PGM_RSRC2:TGID_Y_EN: 0
; COMPUTE_PGM_RSRC2:TGID_Z_EN: 0
; COMPUTE_PGM_RSRC2:TIDIG_COMP_CNT: 0
	.section	.text._ZN7rocprim17ROCPRIM_400000_NS6detail17trampoline_kernelINS0_14default_configENS1_25partition_config_selectorILNS1_17partition_subalgoE6EdNS0_10empty_typeEbEEZZNS1_14partition_implILS5_6ELb0ES3_mN6thrust23THRUST_200600_302600_NS6detail15normal_iteratorINSA_10device_ptrIdEEEEPS6_SG_NS0_5tupleIJNSA_16discard_iteratorINSA_11use_defaultEEES6_EEENSH_IJSG_SG_EEES6_PlJNSB_9not_fun_tINSB_14equal_to_valueIdEEEEEEE10hipError_tPvRmT3_T4_T5_T6_T7_T9_mT8_P12ihipStream_tbDpT10_ENKUlT_T0_E_clISt17integral_constantIbLb0EES1B_EEDaS16_S17_EUlS16_E_NS1_11comp_targetILNS1_3genE2ELNS1_11target_archE906ELNS1_3gpuE6ELNS1_3repE0EEENS1_30default_config_static_selectorELNS0_4arch9wavefront6targetE0EEEvT1_,"axG",@progbits,_ZN7rocprim17ROCPRIM_400000_NS6detail17trampoline_kernelINS0_14default_configENS1_25partition_config_selectorILNS1_17partition_subalgoE6EdNS0_10empty_typeEbEEZZNS1_14partition_implILS5_6ELb0ES3_mN6thrust23THRUST_200600_302600_NS6detail15normal_iteratorINSA_10device_ptrIdEEEEPS6_SG_NS0_5tupleIJNSA_16discard_iteratorINSA_11use_defaultEEES6_EEENSH_IJSG_SG_EEES6_PlJNSB_9not_fun_tINSB_14equal_to_valueIdEEEEEEE10hipError_tPvRmT3_T4_T5_T6_T7_T9_mT8_P12ihipStream_tbDpT10_ENKUlT_T0_E_clISt17integral_constantIbLb0EES1B_EEDaS16_S17_EUlS16_E_NS1_11comp_targetILNS1_3genE2ELNS1_11target_archE906ELNS1_3gpuE6ELNS1_3repE0EEENS1_30default_config_static_selectorELNS0_4arch9wavefront6targetE0EEEvT1_,comdat
	.protected	_ZN7rocprim17ROCPRIM_400000_NS6detail17trampoline_kernelINS0_14default_configENS1_25partition_config_selectorILNS1_17partition_subalgoE6EdNS0_10empty_typeEbEEZZNS1_14partition_implILS5_6ELb0ES3_mN6thrust23THRUST_200600_302600_NS6detail15normal_iteratorINSA_10device_ptrIdEEEEPS6_SG_NS0_5tupleIJNSA_16discard_iteratorINSA_11use_defaultEEES6_EEENSH_IJSG_SG_EEES6_PlJNSB_9not_fun_tINSB_14equal_to_valueIdEEEEEEE10hipError_tPvRmT3_T4_T5_T6_T7_T9_mT8_P12ihipStream_tbDpT10_ENKUlT_T0_E_clISt17integral_constantIbLb0EES1B_EEDaS16_S17_EUlS16_E_NS1_11comp_targetILNS1_3genE2ELNS1_11target_archE906ELNS1_3gpuE6ELNS1_3repE0EEENS1_30default_config_static_selectorELNS0_4arch9wavefront6targetE0EEEvT1_ ; -- Begin function _ZN7rocprim17ROCPRIM_400000_NS6detail17trampoline_kernelINS0_14default_configENS1_25partition_config_selectorILNS1_17partition_subalgoE6EdNS0_10empty_typeEbEEZZNS1_14partition_implILS5_6ELb0ES3_mN6thrust23THRUST_200600_302600_NS6detail15normal_iteratorINSA_10device_ptrIdEEEEPS6_SG_NS0_5tupleIJNSA_16discard_iteratorINSA_11use_defaultEEES6_EEENSH_IJSG_SG_EEES6_PlJNSB_9not_fun_tINSB_14equal_to_valueIdEEEEEEE10hipError_tPvRmT3_T4_T5_T6_T7_T9_mT8_P12ihipStream_tbDpT10_ENKUlT_T0_E_clISt17integral_constantIbLb0EES1B_EEDaS16_S17_EUlS16_E_NS1_11comp_targetILNS1_3genE2ELNS1_11target_archE906ELNS1_3gpuE6ELNS1_3repE0EEENS1_30default_config_static_selectorELNS0_4arch9wavefront6targetE0EEEvT1_
	.globl	_ZN7rocprim17ROCPRIM_400000_NS6detail17trampoline_kernelINS0_14default_configENS1_25partition_config_selectorILNS1_17partition_subalgoE6EdNS0_10empty_typeEbEEZZNS1_14partition_implILS5_6ELb0ES3_mN6thrust23THRUST_200600_302600_NS6detail15normal_iteratorINSA_10device_ptrIdEEEEPS6_SG_NS0_5tupleIJNSA_16discard_iteratorINSA_11use_defaultEEES6_EEENSH_IJSG_SG_EEES6_PlJNSB_9not_fun_tINSB_14equal_to_valueIdEEEEEEE10hipError_tPvRmT3_T4_T5_T6_T7_T9_mT8_P12ihipStream_tbDpT10_ENKUlT_T0_E_clISt17integral_constantIbLb0EES1B_EEDaS16_S17_EUlS16_E_NS1_11comp_targetILNS1_3genE2ELNS1_11target_archE906ELNS1_3gpuE6ELNS1_3repE0EEENS1_30default_config_static_selectorELNS0_4arch9wavefront6targetE0EEEvT1_
	.p2align	8
	.type	_ZN7rocprim17ROCPRIM_400000_NS6detail17trampoline_kernelINS0_14default_configENS1_25partition_config_selectorILNS1_17partition_subalgoE6EdNS0_10empty_typeEbEEZZNS1_14partition_implILS5_6ELb0ES3_mN6thrust23THRUST_200600_302600_NS6detail15normal_iteratorINSA_10device_ptrIdEEEEPS6_SG_NS0_5tupleIJNSA_16discard_iteratorINSA_11use_defaultEEES6_EEENSH_IJSG_SG_EEES6_PlJNSB_9not_fun_tINSB_14equal_to_valueIdEEEEEEE10hipError_tPvRmT3_T4_T5_T6_T7_T9_mT8_P12ihipStream_tbDpT10_ENKUlT_T0_E_clISt17integral_constantIbLb0EES1B_EEDaS16_S17_EUlS16_E_NS1_11comp_targetILNS1_3genE2ELNS1_11target_archE906ELNS1_3gpuE6ELNS1_3repE0EEENS1_30default_config_static_selectorELNS0_4arch9wavefront6targetE0EEEvT1_,@function
_ZN7rocprim17ROCPRIM_400000_NS6detail17trampoline_kernelINS0_14default_configENS1_25partition_config_selectorILNS1_17partition_subalgoE6EdNS0_10empty_typeEbEEZZNS1_14partition_implILS5_6ELb0ES3_mN6thrust23THRUST_200600_302600_NS6detail15normal_iteratorINSA_10device_ptrIdEEEEPS6_SG_NS0_5tupleIJNSA_16discard_iteratorINSA_11use_defaultEEES6_EEENSH_IJSG_SG_EEES6_PlJNSB_9not_fun_tINSB_14equal_to_valueIdEEEEEEE10hipError_tPvRmT3_T4_T5_T6_T7_T9_mT8_P12ihipStream_tbDpT10_ENKUlT_T0_E_clISt17integral_constantIbLb0EES1B_EEDaS16_S17_EUlS16_E_NS1_11comp_targetILNS1_3genE2ELNS1_11target_archE906ELNS1_3gpuE6ELNS1_3repE0EEENS1_30default_config_static_selectorELNS0_4arch9wavefront6targetE0EEEvT1_: ; @_ZN7rocprim17ROCPRIM_400000_NS6detail17trampoline_kernelINS0_14default_configENS1_25partition_config_selectorILNS1_17partition_subalgoE6EdNS0_10empty_typeEbEEZZNS1_14partition_implILS5_6ELb0ES3_mN6thrust23THRUST_200600_302600_NS6detail15normal_iteratorINSA_10device_ptrIdEEEEPS6_SG_NS0_5tupleIJNSA_16discard_iteratorINSA_11use_defaultEEES6_EEENSH_IJSG_SG_EEES6_PlJNSB_9not_fun_tINSB_14equal_to_valueIdEEEEEEE10hipError_tPvRmT3_T4_T5_T6_T7_T9_mT8_P12ihipStream_tbDpT10_ENKUlT_T0_E_clISt17integral_constantIbLb0EES1B_EEDaS16_S17_EUlS16_E_NS1_11comp_targetILNS1_3genE2ELNS1_11target_archE906ELNS1_3gpuE6ELNS1_3repE0EEENS1_30default_config_static_selectorELNS0_4arch9wavefront6targetE0EEEvT1_
; %bb.0:
	.section	.rodata,"a",@progbits
	.p2align	6, 0x0
	.amdhsa_kernel _ZN7rocprim17ROCPRIM_400000_NS6detail17trampoline_kernelINS0_14default_configENS1_25partition_config_selectorILNS1_17partition_subalgoE6EdNS0_10empty_typeEbEEZZNS1_14partition_implILS5_6ELb0ES3_mN6thrust23THRUST_200600_302600_NS6detail15normal_iteratorINSA_10device_ptrIdEEEEPS6_SG_NS0_5tupleIJNSA_16discard_iteratorINSA_11use_defaultEEES6_EEENSH_IJSG_SG_EEES6_PlJNSB_9not_fun_tINSB_14equal_to_valueIdEEEEEEE10hipError_tPvRmT3_T4_T5_T6_T7_T9_mT8_P12ihipStream_tbDpT10_ENKUlT_T0_E_clISt17integral_constantIbLb0EES1B_EEDaS16_S17_EUlS16_E_NS1_11comp_targetILNS1_3genE2ELNS1_11target_archE906ELNS1_3gpuE6ELNS1_3repE0EEENS1_30default_config_static_selectorELNS0_4arch9wavefront6targetE0EEEvT1_
		.amdhsa_group_segment_fixed_size 0
		.amdhsa_private_segment_fixed_size 0
		.amdhsa_kernarg_size 128
		.amdhsa_user_sgpr_count 2
		.amdhsa_user_sgpr_dispatch_ptr 0
		.amdhsa_user_sgpr_queue_ptr 0
		.amdhsa_user_sgpr_kernarg_segment_ptr 1
		.amdhsa_user_sgpr_dispatch_id 0
		.amdhsa_user_sgpr_private_segment_size 0
		.amdhsa_wavefront_size32 1
		.amdhsa_uses_dynamic_stack 0
		.amdhsa_enable_private_segment 0
		.amdhsa_system_sgpr_workgroup_id_x 1
		.amdhsa_system_sgpr_workgroup_id_y 0
		.amdhsa_system_sgpr_workgroup_id_z 0
		.amdhsa_system_sgpr_workgroup_info 0
		.amdhsa_system_vgpr_workitem_id 0
		.amdhsa_next_free_vgpr 1
		.amdhsa_next_free_sgpr 1
		.amdhsa_reserve_vcc 0
		.amdhsa_float_round_mode_32 0
		.amdhsa_float_round_mode_16_64 0
		.amdhsa_float_denorm_mode_32 3
		.amdhsa_float_denorm_mode_16_64 3
		.amdhsa_fp16_overflow 0
		.amdhsa_workgroup_processor_mode 1
		.amdhsa_memory_ordered 1
		.amdhsa_forward_progress 1
		.amdhsa_inst_pref_size 0
		.amdhsa_round_robin_scheduling 0
		.amdhsa_exception_fp_ieee_invalid_op 0
		.amdhsa_exception_fp_denorm_src 0
		.amdhsa_exception_fp_ieee_div_zero 0
		.amdhsa_exception_fp_ieee_overflow 0
		.amdhsa_exception_fp_ieee_underflow 0
		.amdhsa_exception_fp_ieee_inexact 0
		.amdhsa_exception_int_div_zero 0
	.end_amdhsa_kernel
	.section	.text._ZN7rocprim17ROCPRIM_400000_NS6detail17trampoline_kernelINS0_14default_configENS1_25partition_config_selectorILNS1_17partition_subalgoE6EdNS0_10empty_typeEbEEZZNS1_14partition_implILS5_6ELb0ES3_mN6thrust23THRUST_200600_302600_NS6detail15normal_iteratorINSA_10device_ptrIdEEEEPS6_SG_NS0_5tupleIJNSA_16discard_iteratorINSA_11use_defaultEEES6_EEENSH_IJSG_SG_EEES6_PlJNSB_9not_fun_tINSB_14equal_to_valueIdEEEEEEE10hipError_tPvRmT3_T4_T5_T6_T7_T9_mT8_P12ihipStream_tbDpT10_ENKUlT_T0_E_clISt17integral_constantIbLb0EES1B_EEDaS16_S17_EUlS16_E_NS1_11comp_targetILNS1_3genE2ELNS1_11target_archE906ELNS1_3gpuE6ELNS1_3repE0EEENS1_30default_config_static_selectorELNS0_4arch9wavefront6targetE0EEEvT1_,"axG",@progbits,_ZN7rocprim17ROCPRIM_400000_NS6detail17trampoline_kernelINS0_14default_configENS1_25partition_config_selectorILNS1_17partition_subalgoE6EdNS0_10empty_typeEbEEZZNS1_14partition_implILS5_6ELb0ES3_mN6thrust23THRUST_200600_302600_NS6detail15normal_iteratorINSA_10device_ptrIdEEEEPS6_SG_NS0_5tupleIJNSA_16discard_iteratorINSA_11use_defaultEEES6_EEENSH_IJSG_SG_EEES6_PlJNSB_9not_fun_tINSB_14equal_to_valueIdEEEEEEE10hipError_tPvRmT3_T4_T5_T6_T7_T9_mT8_P12ihipStream_tbDpT10_ENKUlT_T0_E_clISt17integral_constantIbLb0EES1B_EEDaS16_S17_EUlS16_E_NS1_11comp_targetILNS1_3genE2ELNS1_11target_archE906ELNS1_3gpuE6ELNS1_3repE0EEENS1_30default_config_static_selectorELNS0_4arch9wavefront6targetE0EEEvT1_,comdat
.Lfunc_end1569:
	.size	_ZN7rocprim17ROCPRIM_400000_NS6detail17trampoline_kernelINS0_14default_configENS1_25partition_config_selectorILNS1_17partition_subalgoE6EdNS0_10empty_typeEbEEZZNS1_14partition_implILS5_6ELb0ES3_mN6thrust23THRUST_200600_302600_NS6detail15normal_iteratorINSA_10device_ptrIdEEEEPS6_SG_NS0_5tupleIJNSA_16discard_iteratorINSA_11use_defaultEEES6_EEENSH_IJSG_SG_EEES6_PlJNSB_9not_fun_tINSB_14equal_to_valueIdEEEEEEE10hipError_tPvRmT3_T4_T5_T6_T7_T9_mT8_P12ihipStream_tbDpT10_ENKUlT_T0_E_clISt17integral_constantIbLb0EES1B_EEDaS16_S17_EUlS16_E_NS1_11comp_targetILNS1_3genE2ELNS1_11target_archE906ELNS1_3gpuE6ELNS1_3repE0EEENS1_30default_config_static_selectorELNS0_4arch9wavefront6targetE0EEEvT1_, .Lfunc_end1569-_ZN7rocprim17ROCPRIM_400000_NS6detail17trampoline_kernelINS0_14default_configENS1_25partition_config_selectorILNS1_17partition_subalgoE6EdNS0_10empty_typeEbEEZZNS1_14partition_implILS5_6ELb0ES3_mN6thrust23THRUST_200600_302600_NS6detail15normal_iteratorINSA_10device_ptrIdEEEEPS6_SG_NS0_5tupleIJNSA_16discard_iteratorINSA_11use_defaultEEES6_EEENSH_IJSG_SG_EEES6_PlJNSB_9not_fun_tINSB_14equal_to_valueIdEEEEEEE10hipError_tPvRmT3_T4_T5_T6_T7_T9_mT8_P12ihipStream_tbDpT10_ENKUlT_T0_E_clISt17integral_constantIbLb0EES1B_EEDaS16_S17_EUlS16_E_NS1_11comp_targetILNS1_3genE2ELNS1_11target_archE906ELNS1_3gpuE6ELNS1_3repE0EEENS1_30default_config_static_selectorELNS0_4arch9wavefront6targetE0EEEvT1_
                                        ; -- End function
	.set _ZN7rocprim17ROCPRIM_400000_NS6detail17trampoline_kernelINS0_14default_configENS1_25partition_config_selectorILNS1_17partition_subalgoE6EdNS0_10empty_typeEbEEZZNS1_14partition_implILS5_6ELb0ES3_mN6thrust23THRUST_200600_302600_NS6detail15normal_iteratorINSA_10device_ptrIdEEEEPS6_SG_NS0_5tupleIJNSA_16discard_iteratorINSA_11use_defaultEEES6_EEENSH_IJSG_SG_EEES6_PlJNSB_9not_fun_tINSB_14equal_to_valueIdEEEEEEE10hipError_tPvRmT3_T4_T5_T6_T7_T9_mT8_P12ihipStream_tbDpT10_ENKUlT_T0_E_clISt17integral_constantIbLb0EES1B_EEDaS16_S17_EUlS16_E_NS1_11comp_targetILNS1_3genE2ELNS1_11target_archE906ELNS1_3gpuE6ELNS1_3repE0EEENS1_30default_config_static_selectorELNS0_4arch9wavefront6targetE0EEEvT1_.num_vgpr, 0
	.set _ZN7rocprim17ROCPRIM_400000_NS6detail17trampoline_kernelINS0_14default_configENS1_25partition_config_selectorILNS1_17partition_subalgoE6EdNS0_10empty_typeEbEEZZNS1_14partition_implILS5_6ELb0ES3_mN6thrust23THRUST_200600_302600_NS6detail15normal_iteratorINSA_10device_ptrIdEEEEPS6_SG_NS0_5tupleIJNSA_16discard_iteratorINSA_11use_defaultEEES6_EEENSH_IJSG_SG_EEES6_PlJNSB_9not_fun_tINSB_14equal_to_valueIdEEEEEEE10hipError_tPvRmT3_T4_T5_T6_T7_T9_mT8_P12ihipStream_tbDpT10_ENKUlT_T0_E_clISt17integral_constantIbLb0EES1B_EEDaS16_S17_EUlS16_E_NS1_11comp_targetILNS1_3genE2ELNS1_11target_archE906ELNS1_3gpuE6ELNS1_3repE0EEENS1_30default_config_static_selectorELNS0_4arch9wavefront6targetE0EEEvT1_.num_agpr, 0
	.set _ZN7rocprim17ROCPRIM_400000_NS6detail17trampoline_kernelINS0_14default_configENS1_25partition_config_selectorILNS1_17partition_subalgoE6EdNS0_10empty_typeEbEEZZNS1_14partition_implILS5_6ELb0ES3_mN6thrust23THRUST_200600_302600_NS6detail15normal_iteratorINSA_10device_ptrIdEEEEPS6_SG_NS0_5tupleIJNSA_16discard_iteratorINSA_11use_defaultEEES6_EEENSH_IJSG_SG_EEES6_PlJNSB_9not_fun_tINSB_14equal_to_valueIdEEEEEEE10hipError_tPvRmT3_T4_T5_T6_T7_T9_mT8_P12ihipStream_tbDpT10_ENKUlT_T0_E_clISt17integral_constantIbLb0EES1B_EEDaS16_S17_EUlS16_E_NS1_11comp_targetILNS1_3genE2ELNS1_11target_archE906ELNS1_3gpuE6ELNS1_3repE0EEENS1_30default_config_static_selectorELNS0_4arch9wavefront6targetE0EEEvT1_.numbered_sgpr, 0
	.set _ZN7rocprim17ROCPRIM_400000_NS6detail17trampoline_kernelINS0_14default_configENS1_25partition_config_selectorILNS1_17partition_subalgoE6EdNS0_10empty_typeEbEEZZNS1_14partition_implILS5_6ELb0ES3_mN6thrust23THRUST_200600_302600_NS6detail15normal_iteratorINSA_10device_ptrIdEEEEPS6_SG_NS0_5tupleIJNSA_16discard_iteratorINSA_11use_defaultEEES6_EEENSH_IJSG_SG_EEES6_PlJNSB_9not_fun_tINSB_14equal_to_valueIdEEEEEEE10hipError_tPvRmT3_T4_T5_T6_T7_T9_mT8_P12ihipStream_tbDpT10_ENKUlT_T0_E_clISt17integral_constantIbLb0EES1B_EEDaS16_S17_EUlS16_E_NS1_11comp_targetILNS1_3genE2ELNS1_11target_archE906ELNS1_3gpuE6ELNS1_3repE0EEENS1_30default_config_static_selectorELNS0_4arch9wavefront6targetE0EEEvT1_.num_named_barrier, 0
	.set _ZN7rocprim17ROCPRIM_400000_NS6detail17trampoline_kernelINS0_14default_configENS1_25partition_config_selectorILNS1_17partition_subalgoE6EdNS0_10empty_typeEbEEZZNS1_14partition_implILS5_6ELb0ES3_mN6thrust23THRUST_200600_302600_NS6detail15normal_iteratorINSA_10device_ptrIdEEEEPS6_SG_NS0_5tupleIJNSA_16discard_iteratorINSA_11use_defaultEEES6_EEENSH_IJSG_SG_EEES6_PlJNSB_9not_fun_tINSB_14equal_to_valueIdEEEEEEE10hipError_tPvRmT3_T4_T5_T6_T7_T9_mT8_P12ihipStream_tbDpT10_ENKUlT_T0_E_clISt17integral_constantIbLb0EES1B_EEDaS16_S17_EUlS16_E_NS1_11comp_targetILNS1_3genE2ELNS1_11target_archE906ELNS1_3gpuE6ELNS1_3repE0EEENS1_30default_config_static_selectorELNS0_4arch9wavefront6targetE0EEEvT1_.private_seg_size, 0
	.set _ZN7rocprim17ROCPRIM_400000_NS6detail17trampoline_kernelINS0_14default_configENS1_25partition_config_selectorILNS1_17partition_subalgoE6EdNS0_10empty_typeEbEEZZNS1_14partition_implILS5_6ELb0ES3_mN6thrust23THRUST_200600_302600_NS6detail15normal_iteratorINSA_10device_ptrIdEEEEPS6_SG_NS0_5tupleIJNSA_16discard_iteratorINSA_11use_defaultEEES6_EEENSH_IJSG_SG_EEES6_PlJNSB_9not_fun_tINSB_14equal_to_valueIdEEEEEEE10hipError_tPvRmT3_T4_T5_T6_T7_T9_mT8_P12ihipStream_tbDpT10_ENKUlT_T0_E_clISt17integral_constantIbLb0EES1B_EEDaS16_S17_EUlS16_E_NS1_11comp_targetILNS1_3genE2ELNS1_11target_archE906ELNS1_3gpuE6ELNS1_3repE0EEENS1_30default_config_static_selectorELNS0_4arch9wavefront6targetE0EEEvT1_.uses_vcc, 0
	.set _ZN7rocprim17ROCPRIM_400000_NS6detail17trampoline_kernelINS0_14default_configENS1_25partition_config_selectorILNS1_17partition_subalgoE6EdNS0_10empty_typeEbEEZZNS1_14partition_implILS5_6ELb0ES3_mN6thrust23THRUST_200600_302600_NS6detail15normal_iteratorINSA_10device_ptrIdEEEEPS6_SG_NS0_5tupleIJNSA_16discard_iteratorINSA_11use_defaultEEES6_EEENSH_IJSG_SG_EEES6_PlJNSB_9not_fun_tINSB_14equal_to_valueIdEEEEEEE10hipError_tPvRmT3_T4_T5_T6_T7_T9_mT8_P12ihipStream_tbDpT10_ENKUlT_T0_E_clISt17integral_constantIbLb0EES1B_EEDaS16_S17_EUlS16_E_NS1_11comp_targetILNS1_3genE2ELNS1_11target_archE906ELNS1_3gpuE6ELNS1_3repE0EEENS1_30default_config_static_selectorELNS0_4arch9wavefront6targetE0EEEvT1_.uses_flat_scratch, 0
	.set _ZN7rocprim17ROCPRIM_400000_NS6detail17trampoline_kernelINS0_14default_configENS1_25partition_config_selectorILNS1_17partition_subalgoE6EdNS0_10empty_typeEbEEZZNS1_14partition_implILS5_6ELb0ES3_mN6thrust23THRUST_200600_302600_NS6detail15normal_iteratorINSA_10device_ptrIdEEEEPS6_SG_NS0_5tupleIJNSA_16discard_iteratorINSA_11use_defaultEEES6_EEENSH_IJSG_SG_EEES6_PlJNSB_9not_fun_tINSB_14equal_to_valueIdEEEEEEE10hipError_tPvRmT3_T4_T5_T6_T7_T9_mT8_P12ihipStream_tbDpT10_ENKUlT_T0_E_clISt17integral_constantIbLb0EES1B_EEDaS16_S17_EUlS16_E_NS1_11comp_targetILNS1_3genE2ELNS1_11target_archE906ELNS1_3gpuE6ELNS1_3repE0EEENS1_30default_config_static_selectorELNS0_4arch9wavefront6targetE0EEEvT1_.has_dyn_sized_stack, 0
	.set _ZN7rocprim17ROCPRIM_400000_NS6detail17trampoline_kernelINS0_14default_configENS1_25partition_config_selectorILNS1_17partition_subalgoE6EdNS0_10empty_typeEbEEZZNS1_14partition_implILS5_6ELb0ES3_mN6thrust23THRUST_200600_302600_NS6detail15normal_iteratorINSA_10device_ptrIdEEEEPS6_SG_NS0_5tupleIJNSA_16discard_iteratorINSA_11use_defaultEEES6_EEENSH_IJSG_SG_EEES6_PlJNSB_9not_fun_tINSB_14equal_to_valueIdEEEEEEE10hipError_tPvRmT3_T4_T5_T6_T7_T9_mT8_P12ihipStream_tbDpT10_ENKUlT_T0_E_clISt17integral_constantIbLb0EES1B_EEDaS16_S17_EUlS16_E_NS1_11comp_targetILNS1_3genE2ELNS1_11target_archE906ELNS1_3gpuE6ELNS1_3repE0EEENS1_30default_config_static_selectorELNS0_4arch9wavefront6targetE0EEEvT1_.has_recursion, 0
	.set _ZN7rocprim17ROCPRIM_400000_NS6detail17trampoline_kernelINS0_14default_configENS1_25partition_config_selectorILNS1_17partition_subalgoE6EdNS0_10empty_typeEbEEZZNS1_14partition_implILS5_6ELb0ES3_mN6thrust23THRUST_200600_302600_NS6detail15normal_iteratorINSA_10device_ptrIdEEEEPS6_SG_NS0_5tupleIJNSA_16discard_iteratorINSA_11use_defaultEEES6_EEENSH_IJSG_SG_EEES6_PlJNSB_9not_fun_tINSB_14equal_to_valueIdEEEEEEE10hipError_tPvRmT3_T4_T5_T6_T7_T9_mT8_P12ihipStream_tbDpT10_ENKUlT_T0_E_clISt17integral_constantIbLb0EES1B_EEDaS16_S17_EUlS16_E_NS1_11comp_targetILNS1_3genE2ELNS1_11target_archE906ELNS1_3gpuE6ELNS1_3repE0EEENS1_30default_config_static_selectorELNS0_4arch9wavefront6targetE0EEEvT1_.has_indirect_call, 0
	.section	.AMDGPU.csdata,"",@progbits
; Kernel info:
; codeLenInByte = 0
; TotalNumSgprs: 0
; NumVgprs: 0
; ScratchSize: 0
; MemoryBound: 0
; FloatMode: 240
; IeeeMode: 1
; LDSByteSize: 0 bytes/workgroup (compile time only)
; SGPRBlocks: 0
; VGPRBlocks: 0
; NumSGPRsForWavesPerEU: 1
; NumVGPRsForWavesPerEU: 1
; Occupancy: 16
; WaveLimiterHint : 0
; COMPUTE_PGM_RSRC2:SCRATCH_EN: 0
; COMPUTE_PGM_RSRC2:USER_SGPR: 2
; COMPUTE_PGM_RSRC2:TRAP_HANDLER: 0
; COMPUTE_PGM_RSRC2:TGID_X_EN: 1
; COMPUTE_PGM_RSRC2:TGID_Y_EN: 0
; COMPUTE_PGM_RSRC2:TGID_Z_EN: 0
; COMPUTE_PGM_RSRC2:TIDIG_COMP_CNT: 0
	.section	.text._ZN7rocprim17ROCPRIM_400000_NS6detail17trampoline_kernelINS0_14default_configENS1_25partition_config_selectorILNS1_17partition_subalgoE6EdNS0_10empty_typeEbEEZZNS1_14partition_implILS5_6ELb0ES3_mN6thrust23THRUST_200600_302600_NS6detail15normal_iteratorINSA_10device_ptrIdEEEEPS6_SG_NS0_5tupleIJNSA_16discard_iteratorINSA_11use_defaultEEES6_EEENSH_IJSG_SG_EEES6_PlJNSB_9not_fun_tINSB_14equal_to_valueIdEEEEEEE10hipError_tPvRmT3_T4_T5_T6_T7_T9_mT8_P12ihipStream_tbDpT10_ENKUlT_T0_E_clISt17integral_constantIbLb0EES1B_EEDaS16_S17_EUlS16_E_NS1_11comp_targetILNS1_3genE10ELNS1_11target_archE1200ELNS1_3gpuE4ELNS1_3repE0EEENS1_30default_config_static_selectorELNS0_4arch9wavefront6targetE0EEEvT1_,"axG",@progbits,_ZN7rocprim17ROCPRIM_400000_NS6detail17trampoline_kernelINS0_14default_configENS1_25partition_config_selectorILNS1_17partition_subalgoE6EdNS0_10empty_typeEbEEZZNS1_14partition_implILS5_6ELb0ES3_mN6thrust23THRUST_200600_302600_NS6detail15normal_iteratorINSA_10device_ptrIdEEEEPS6_SG_NS0_5tupleIJNSA_16discard_iteratorINSA_11use_defaultEEES6_EEENSH_IJSG_SG_EEES6_PlJNSB_9not_fun_tINSB_14equal_to_valueIdEEEEEEE10hipError_tPvRmT3_T4_T5_T6_T7_T9_mT8_P12ihipStream_tbDpT10_ENKUlT_T0_E_clISt17integral_constantIbLb0EES1B_EEDaS16_S17_EUlS16_E_NS1_11comp_targetILNS1_3genE10ELNS1_11target_archE1200ELNS1_3gpuE4ELNS1_3repE0EEENS1_30default_config_static_selectorELNS0_4arch9wavefront6targetE0EEEvT1_,comdat
	.protected	_ZN7rocprim17ROCPRIM_400000_NS6detail17trampoline_kernelINS0_14default_configENS1_25partition_config_selectorILNS1_17partition_subalgoE6EdNS0_10empty_typeEbEEZZNS1_14partition_implILS5_6ELb0ES3_mN6thrust23THRUST_200600_302600_NS6detail15normal_iteratorINSA_10device_ptrIdEEEEPS6_SG_NS0_5tupleIJNSA_16discard_iteratorINSA_11use_defaultEEES6_EEENSH_IJSG_SG_EEES6_PlJNSB_9not_fun_tINSB_14equal_to_valueIdEEEEEEE10hipError_tPvRmT3_T4_T5_T6_T7_T9_mT8_P12ihipStream_tbDpT10_ENKUlT_T0_E_clISt17integral_constantIbLb0EES1B_EEDaS16_S17_EUlS16_E_NS1_11comp_targetILNS1_3genE10ELNS1_11target_archE1200ELNS1_3gpuE4ELNS1_3repE0EEENS1_30default_config_static_selectorELNS0_4arch9wavefront6targetE0EEEvT1_ ; -- Begin function _ZN7rocprim17ROCPRIM_400000_NS6detail17trampoline_kernelINS0_14default_configENS1_25partition_config_selectorILNS1_17partition_subalgoE6EdNS0_10empty_typeEbEEZZNS1_14partition_implILS5_6ELb0ES3_mN6thrust23THRUST_200600_302600_NS6detail15normal_iteratorINSA_10device_ptrIdEEEEPS6_SG_NS0_5tupleIJNSA_16discard_iteratorINSA_11use_defaultEEES6_EEENSH_IJSG_SG_EEES6_PlJNSB_9not_fun_tINSB_14equal_to_valueIdEEEEEEE10hipError_tPvRmT3_T4_T5_T6_T7_T9_mT8_P12ihipStream_tbDpT10_ENKUlT_T0_E_clISt17integral_constantIbLb0EES1B_EEDaS16_S17_EUlS16_E_NS1_11comp_targetILNS1_3genE10ELNS1_11target_archE1200ELNS1_3gpuE4ELNS1_3repE0EEENS1_30default_config_static_selectorELNS0_4arch9wavefront6targetE0EEEvT1_
	.globl	_ZN7rocprim17ROCPRIM_400000_NS6detail17trampoline_kernelINS0_14default_configENS1_25partition_config_selectorILNS1_17partition_subalgoE6EdNS0_10empty_typeEbEEZZNS1_14partition_implILS5_6ELb0ES3_mN6thrust23THRUST_200600_302600_NS6detail15normal_iteratorINSA_10device_ptrIdEEEEPS6_SG_NS0_5tupleIJNSA_16discard_iteratorINSA_11use_defaultEEES6_EEENSH_IJSG_SG_EEES6_PlJNSB_9not_fun_tINSB_14equal_to_valueIdEEEEEEE10hipError_tPvRmT3_T4_T5_T6_T7_T9_mT8_P12ihipStream_tbDpT10_ENKUlT_T0_E_clISt17integral_constantIbLb0EES1B_EEDaS16_S17_EUlS16_E_NS1_11comp_targetILNS1_3genE10ELNS1_11target_archE1200ELNS1_3gpuE4ELNS1_3repE0EEENS1_30default_config_static_selectorELNS0_4arch9wavefront6targetE0EEEvT1_
	.p2align	8
	.type	_ZN7rocprim17ROCPRIM_400000_NS6detail17trampoline_kernelINS0_14default_configENS1_25partition_config_selectorILNS1_17partition_subalgoE6EdNS0_10empty_typeEbEEZZNS1_14partition_implILS5_6ELb0ES3_mN6thrust23THRUST_200600_302600_NS6detail15normal_iteratorINSA_10device_ptrIdEEEEPS6_SG_NS0_5tupleIJNSA_16discard_iteratorINSA_11use_defaultEEES6_EEENSH_IJSG_SG_EEES6_PlJNSB_9not_fun_tINSB_14equal_to_valueIdEEEEEEE10hipError_tPvRmT3_T4_T5_T6_T7_T9_mT8_P12ihipStream_tbDpT10_ENKUlT_T0_E_clISt17integral_constantIbLb0EES1B_EEDaS16_S17_EUlS16_E_NS1_11comp_targetILNS1_3genE10ELNS1_11target_archE1200ELNS1_3gpuE4ELNS1_3repE0EEENS1_30default_config_static_selectorELNS0_4arch9wavefront6targetE0EEEvT1_,@function
_ZN7rocprim17ROCPRIM_400000_NS6detail17trampoline_kernelINS0_14default_configENS1_25partition_config_selectorILNS1_17partition_subalgoE6EdNS0_10empty_typeEbEEZZNS1_14partition_implILS5_6ELb0ES3_mN6thrust23THRUST_200600_302600_NS6detail15normal_iteratorINSA_10device_ptrIdEEEEPS6_SG_NS0_5tupleIJNSA_16discard_iteratorINSA_11use_defaultEEES6_EEENSH_IJSG_SG_EEES6_PlJNSB_9not_fun_tINSB_14equal_to_valueIdEEEEEEE10hipError_tPvRmT3_T4_T5_T6_T7_T9_mT8_P12ihipStream_tbDpT10_ENKUlT_T0_E_clISt17integral_constantIbLb0EES1B_EEDaS16_S17_EUlS16_E_NS1_11comp_targetILNS1_3genE10ELNS1_11target_archE1200ELNS1_3gpuE4ELNS1_3repE0EEENS1_30default_config_static_selectorELNS0_4arch9wavefront6targetE0EEEvT1_: ; @_ZN7rocprim17ROCPRIM_400000_NS6detail17trampoline_kernelINS0_14default_configENS1_25partition_config_selectorILNS1_17partition_subalgoE6EdNS0_10empty_typeEbEEZZNS1_14partition_implILS5_6ELb0ES3_mN6thrust23THRUST_200600_302600_NS6detail15normal_iteratorINSA_10device_ptrIdEEEEPS6_SG_NS0_5tupleIJNSA_16discard_iteratorINSA_11use_defaultEEES6_EEENSH_IJSG_SG_EEES6_PlJNSB_9not_fun_tINSB_14equal_to_valueIdEEEEEEE10hipError_tPvRmT3_T4_T5_T6_T7_T9_mT8_P12ihipStream_tbDpT10_ENKUlT_T0_E_clISt17integral_constantIbLb0EES1B_EEDaS16_S17_EUlS16_E_NS1_11comp_targetILNS1_3genE10ELNS1_11target_archE1200ELNS1_3gpuE4ELNS1_3repE0EEENS1_30default_config_static_selectorELNS0_4arch9wavefront6targetE0EEEvT1_
; %bb.0:
	s_clause 0x3
	s_load_b128 s[4:7], s[0:1], 0x8
	s_load_b128 s[8:11], s[0:1], 0x48
	s_load_b32 s14, s[0:1], 0x70
	s_load_b64 s[12:13], s[0:1], 0x58
	s_mov_b32 s17, 0
	s_lshl_b32 s2, ttmp9, 10
	s_mov_b32 s3, s17
	v_lshrrev_b32_e32 v9, 2, v0
	v_or_b32_e32 v12, 0x100, v0
	v_or_b32_e32 v11, 0x200, v0
	v_or_b32_e32 v10, 0x300, v0
	s_mov_b32 s15, -1
	s_wait_kmcnt 0x0
	s_lshl_b64 s[18:19], s[6:7], 3
	s_load_b64 s[10:11], s[10:11], 0x0
	s_add_co_i32 s20, s14, -1
	s_lshl_b32 s16, s14, 10
	s_lshl_b32 s14, s20, 10
	s_add_nc_u64 s[16:17], s[6:7], s[16:17]
	s_add_co_i32 s14, s6, s14
	s_cmp_eq_u32 ttmp9, s20
	v_cmp_gt_u64_e64 s6, s[12:13], s[16:17]
	s_cselect_b32 s7, -1, 0
	s_cmp_lg_u32 ttmp9, s20
	s_add_nc_u64 s[4:5], s[4:5], s[18:19]
	s_cselect_b32 s13, -1, 0
	s_lshl_b64 s[2:3], s[2:3], 3
	s_wait_alu 0xfffe
	s_or_b32 s6, s13, s6
	s_add_nc_u64 s[2:3], s[4:5], s[2:3]
	s_and_b32 vcc_lo, exec_lo, s6
	s_cbranch_vccz .LBB1570_2
; %bb.1:
	v_lshlrev_b32_e32 v13, 3, v0
	v_lshrrev_b32_e32 v14, 2, v12
	v_lshrrev_b32_e32 v15, 2, v11
	v_lshrrev_b32_e32 v16, 2, v10
	v_and_b32_e32 v17, 56, v9
	v_add_co_u32 v1, s4, s2, v13
	s_delay_alu instid0(VALU_DEP_1)
	v_add_co_ci_u32_e64 v2, null, s3, 0, s4
	v_and_b32_e32 v14, 0x78, v14
	v_and_b32_e32 v15, 0xb8, v15
	;; [unrolled: 1-line block ×3, first 2 shown]
	s_clause 0x3
	flat_load_b64 v[3:4], v[1:2]
	flat_load_b64 v[5:6], v[1:2] offset:2048
	flat_load_b64 v[7:8], v[1:2] offset:4096
	;; [unrolled: 1-line block ×3, first 2 shown]
	v_add_nc_u32_e32 v17, v17, v13
	v_add_nc_u32_e32 v14, v14, v13
	;; [unrolled: 1-line block ×4, first 2 shown]
	s_mov_b32 s15, 0
	s_wait_loadcnt_dscnt 0x303
	ds_store_b64 v17, v[3:4]
	s_wait_loadcnt_dscnt 0x203
	ds_store_b64 v14, v[5:6] offset:2048
	s_wait_loadcnt_dscnt 0x103
	ds_store_b64 v15, v[7:8] offset:4096
	;; [unrolled: 2-line block ×3, first 2 shown]
	s_wait_dscnt 0x0
	s_barrier_signal -1
	s_barrier_wait -1
.LBB1570_2:
	s_load_b64 s[4:5], s[0:1], 0x78
	s_and_not1_b32 vcc_lo, exec_lo, s15
	s_sub_co_i32 s13, s12, s14
	s_cbranch_vccnz .LBB1570_9
; %bb.3:
	v_mov_b32_e32 v1, 0
	s_mov_b32 s12, exec_lo
	s_delay_alu instid0(VALU_DEP_1)
	v_dual_mov_b32 v2, v1 :: v_dual_mov_b32 v3, v1
	v_dual_mov_b32 v4, v1 :: v_dual_mov_b32 v5, v1
	;; [unrolled: 1-line block ×3, first 2 shown]
	v_mov_b32_e32 v8, v1
	s_wait_alu 0xfffe
	v_cmpx_gt_u32_e64 s13, v0
	s_cbranch_execnz .LBB1570_114
; %bb.4:
	s_or_b32 exec_lo, exec_lo, s12
	s_delay_alu instid0(SALU_CYCLE_1)
	s_mov_b32 s12, exec_lo
	v_cmpx_gt_u32_e64 s13, v12
	s_cbranch_execnz .LBB1570_115
.LBB1570_5:
	s_wait_alu 0xfffe
	s_or_b32 exec_lo, exec_lo, s12
	s_delay_alu instid0(SALU_CYCLE_1)
	s_mov_b32 s12, exec_lo
	v_cmpx_gt_u32_e64 s13, v11
	s_cbranch_execnz .LBB1570_116
.LBB1570_6:
	s_wait_alu 0xfffe
	s_or_b32 exec_lo, exec_lo, s12
	s_delay_alu instid0(SALU_CYCLE_1)
	s_mov_b32 s12, exec_lo
	v_cmpx_gt_u32_e64 s13, v10
	s_cbranch_execz .LBB1570_8
.LBB1570_7:
	v_lshlrev_b32_e32 v7, 3, v0
	s_delay_alu instid0(VALU_DEP_1)
	v_add_co_u32 v7, s2, s2, v7
	s_wait_alu 0xf1ff
	v_add_co_ci_u32_e64 v8, null, s3, 0, s2
	flat_load_b64 v[7:8], v[7:8] offset:6144
.LBB1570_8:
	s_wait_alu 0xfffe
	s_or_b32 exec_lo, exec_lo, s12
	v_lshrrev_b32_e32 v12, 2, v12
	v_lshrrev_b32_e32 v11, 2, v11
	;; [unrolled: 1-line block ×3, first 2 shown]
	v_and_b32_e32 v9, 56, v9
	v_lshlrev_b32_e32 v13, 3, v0
	v_and_b32_e32 v12, 0x78, v12
	v_and_b32_e32 v11, 0xf8, v11
	;; [unrolled: 1-line block ×3, first 2 shown]
	s_delay_alu instid0(VALU_DEP_4) | instskip(NEXT) | instid1(VALU_DEP_4)
	v_add_nc_u32_e32 v9, v9, v13
	v_add_nc_u32_e32 v12, v12, v13
	s_delay_alu instid0(VALU_DEP_4) | instskip(NEXT) | instid1(VALU_DEP_4)
	v_add_nc_u32_e32 v11, v11, v13
	v_add_nc_u32_e32 v10, v10, v13
	ds_store_b64 v9, v[1:2]
	s_wait_loadcnt_dscnt 0x1
	ds_store_b64 v12, v[3:4] offset:2048
	ds_store_b64 v11, v[5:6] offset:4096
	ds_store_b64 v10, v[7:8] offset:6144
	s_wait_dscnt 0x0
	s_barrier_signal -1
	s_barrier_wait -1
.LBB1570_9:
	v_and_b32_e32 v1, 0xf8, v0
	global_inv scope:SCOPE_SE
	s_and_not1_b32 vcc_lo, exec_lo, s6
	v_lshl_add_u32 v5, v0, 5, v1
	ds_load_2addr_b64 v[1:4], v5 offset1:3
	ds_load_2addr_b64 v[5:8], v5 offset0:1 offset1:2
	s_wait_loadcnt_dscnt 0x0
	s_barrier_signal -1
	s_barrier_wait -1
	global_inv scope:SCOPE_SE
	s_wait_kmcnt 0x0
	v_cmp_neq_f64_e64 s2, s[4:5], v[1:2]
	v_cmp_neq_f64_e64 s12, s[4:5], v[3:4]
	s_cbranch_vccnz .LBB1570_11
; %bb.10:
	v_cmp_neq_f64_e32 vcc_lo, s[4:5], v[7:8]
	s_wait_alu 0xf1ff
	v_cndmask_b32_e64 v27, 0, 1, s2
	v_cndmask_b32_e64 v25, 0, 1, vcc_lo
	v_cmp_neq_f64_e32 vcc_lo, s[4:5], v[5:6]
	s_delay_alu instid0(VALU_DEP_2) | instskip(SKIP_2) | instid1(VALU_DEP_1)
	v_lshlrev_b16 v10, 8, v25
	s_wait_alu 0xfffd
	v_cndmask_b32_e64 v9, 0, 1, vcc_lo
	v_or_b32_e32 v26, v9, v10
	s_cbranch_execz .LBB1570_12
	s_branch .LBB1570_13
.LBB1570_11:
                                        ; implicit-def: $sgpr12
                                        ; implicit-def: $vgpr27
                                        ; implicit-def: $vgpr26
                                        ; implicit-def: $vgpr25
.LBB1570_12:
	v_cmp_neq_f64_e32 vcc_lo, s[4:5], v[7:8]
	v_cmp_neq_f64_e64 s2, s[4:5], v[5:6]
	v_cmp_neq_f64_e64 s3, s[4:5], v[1:2]
	;; [unrolled: 1-line block ×3, first 2 shown]
	v_lshlrev_b32_e32 v9, 2, v0
	s_delay_alu instid0(VALU_DEP_1) | instskip(SKIP_2) | instid1(VALU_DEP_2)
	v_or_b32_e32 v10, 2, v9
	v_or_b32_e32 v11, 1, v9
	s_wait_alu 0xfffe
	v_cmp_gt_u32_e64 s5, s13, v10
	s_delay_alu instid0(VALU_DEP_2)
	v_cmp_gt_u32_e64 s6, s13, v11
	v_or_b32_e32 v10, 3, v9
	s_and_b32 s5, s5, vcc_lo
	v_cmp_gt_u32_e32 vcc_lo, s13, v9
	s_wait_alu 0xfffe
	v_cndmask_b32_e64 v25, 0, 1, s5
	s_and_b32 s2, s6, s2
	v_cmp_gt_u32_e64 s5, s13, v10
	s_wait_alu 0xfffe
	v_cndmask_b32_e64 v9, 0, 1, s2
	s_and_b32 s2, vcc_lo, s3
	v_lshlrev_b16 v10, 8, v25
	s_wait_alu 0xfffe
	v_cndmask_b32_e64 v27, 0, 1, s2
	s_and_b32 s2, s5, s4
	s_and_not1_b32 s3, s12, exec_lo
	s_wait_alu 0xfffe
	s_and_b32 s2, s2, exec_lo
	v_or_b32_e32 v26, v9, v10
	s_wait_alu 0xfffe
	s_or_b32 s12, s3, s2
.LBB1570_13:
	s_load_b64 s[4:5], s[0:1], 0x68
	v_and_b32_e32 v29, 0xff, v27
	v_dual_mov_b32 v11, 0 :: v_dual_and_b32 v28, 0xff, v26
	v_cndmask_b32_e64 v9, 0, 1, s12
	v_mbcnt_lo_u32_b32 v31, -1, 0
	v_and_b32_e32 v30, 0xff, v25
	s_cmp_lg_u32 ttmp9, 0
	s_mov_b32 s1, -1
	v_add3_u32 v9, v29, v9, v28
	v_and_b32_e32 v32, 15, v31
	s_delay_alu instid0(VALU_DEP_2) | instskip(NEXT) | instid1(VALU_DEP_1)
	v_add_co_u32 v17, s0, v9, v30
	v_add_co_ci_u32_e64 v18, null, 0, 0, s0
	s_delay_alu instid0(VALU_DEP_3)
	v_cmp_ne_u32_e64 s0, 0, v32
	s_cbranch_scc0 .LBB1570_70
; %bb.14:
	v_dual_mov_b32 v12, v17 :: v_dual_mov_b32 v9, v17
	v_mov_b32_dpp v14, v17 row_shr:1 row_mask:0xf bank_mask:0xf
	v_mov_b32_dpp v13, v11 row_shr:1 row_mask:0xf bank_mask:0xf
	v_mov_b32_e32 v10, v18
	s_and_saveexec_b32 s1, s0
; %bb.15:
	s_delay_alu instid0(VALU_DEP_3) | instskip(SKIP_2) | instid1(VALU_DEP_2)
	v_add_co_u32 v12, vcc_lo, v17, v14
	s_wait_alu 0xfffd
	v_add_co_ci_u32_e64 v9, null, 0, v18, vcc_lo
	v_add_co_u32 v10, vcc_lo, 0, v12
	s_wait_alu 0xfffd
	s_delay_alu instid0(VALU_DEP_2) | instskip(NEXT) | instid1(VALU_DEP_2)
	v_add_co_ci_u32_e64 v11, null, v13, v9, vcc_lo
	v_mov_b32_e32 v9, v10
	s_delay_alu instid0(VALU_DEP_2)
	v_mov_b32_e32 v10, v11
; %bb.16:
	s_wait_alu 0xfffe
	s_or_b32 exec_lo, exec_lo, s1
	v_mov_b32_dpp v14, v12 row_shr:2 row_mask:0xf bank_mask:0xf
	v_mov_b32_dpp v13, v11 row_shr:2 row_mask:0xf bank_mask:0xf
	s_mov_b32 s1, exec_lo
	v_cmpx_lt_u32_e32 1, v32
; %bb.17:
	s_delay_alu instid0(VALU_DEP_3) | instskip(SKIP_2) | instid1(VALU_DEP_2)
	v_add_co_u32 v12, vcc_lo, v9, v14
	s_wait_alu 0xfffd
	v_add_co_ci_u32_e64 v9, null, 0, v10, vcc_lo
	v_add_co_u32 v10, vcc_lo, 0, v12
	s_wait_alu 0xfffd
	s_delay_alu instid0(VALU_DEP_2) | instskip(NEXT) | instid1(VALU_DEP_2)
	v_add_co_ci_u32_e64 v11, null, v13, v9, vcc_lo
	v_mov_b32_e32 v9, v10
	s_delay_alu instid0(VALU_DEP_2)
	v_mov_b32_e32 v10, v11
; %bb.18:
	s_wait_alu 0xfffe
	s_or_b32 exec_lo, exec_lo, s1
	v_mov_b32_dpp v14, v12 row_shr:4 row_mask:0xf bank_mask:0xf
	v_mov_b32_dpp v13, v11 row_shr:4 row_mask:0xf bank_mask:0xf
	s_mov_b32 s1, exec_lo
	v_cmpx_lt_u32_e32 3, v32
	;; [unrolled: 19-line block ×3, first 2 shown]
; %bb.21:
	s_delay_alu instid0(VALU_DEP_3) | instskip(SKIP_2) | instid1(VALU_DEP_2)
	v_add_co_u32 v12, vcc_lo, v9, v14
	s_wait_alu 0xfffd
	v_add_co_ci_u32_e64 v10, null, 0, v10, vcc_lo
	v_add_co_u32 v9, vcc_lo, 0, v12
	s_wait_alu 0xfffd
	s_delay_alu instid0(VALU_DEP_2) | instskip(NEXT) | instid1(VALU_DEP_1)
	v_add_co_ci_u32_e64 v10, null, v13, v10, vcc_lo
	v_mov_b32_e32 v11, v10
; %bb.22:
	s_wait_alu 0xfffe
	s_or_b32 exec_lo, exec_lo, s1
	ds_swizzle_b32 v13, v12 offset:swizzle(BROADCAST,32,15)
	ds_swizzle_b32 v11, v11 offset:swizzle(BROADCAST,32,15)
	v_and_b32_e32 v14, 16, v31
	s_mov_b32 s1, exec_lo
	s_delay_alu instid0(VALU_DEP_1)
	v_cmpx_ne_u32_e32 0, v14
	s_cbranch_execz .LBB1570_24
; %bb.23:
	s_wait_dscnt 0x1
	v_add_co_u32 v12, vcc_lo, v9, v13
	s_wait_alu 0xfffd
	v_add_co_ci_u32_e64 v10, null, 0, v10, vcc_lo
	s_delay_alu instid0(VALU_DEP_2) | instskip(SKIP_2) | instid1(VALU_DEP_2)
	v_add_co_u32 v9, vcc_lo, 0, v12
	s_wait_dscnt 0x0
	s_wait_alu 0xfffd
	v_add_co_ci_u32_e64 v10, null, v11, v10, vcc_lo
.LBB1570_24:
	s_wait_alu 0xfffe
	s_or_b32 exec_lo, exec_lo, s1
	s_wait_dscnt 0x1
	v_or_b32_e32 v13, 31, v0
	s_wait_dscnt 0x0
	v_lshrrev_b32_e32 v11, 5, v0
	s_mov_b32 s1, exec_lo
	s_delay_alu instid0(VALU_DEP_2)
	v_cmpx_eq_u32_e64 v0, v13
; %bb.25:
	s_delay_alu instid0(VALU_DEP_2)
	v_lshlrev_b32_e32 v13, 3, v11
	ds_store_b64 v13, v[9:10]
; %bb.26:
	s_wait_alu 0xfffe
	s_or_b32 exec_lo, exec_lo, s1
	s_delay_alu instid0(SALU_CYCLE_1)
	s_mov_b32 s1, exec_lo
	s_wait_loadcnt_dscnt 0x0
	s_barrier_signal -1
	s_barrier_wait -1
	global_inv scope:SCOPE_SE
	v_cmpx_gt_u32_e32 8, v0
	s_cbranch_execz .LBB1570_34
; %bb.27:
	v_lshlrev_b32_e32 v13, 3, v0
	s_mov_b32 s2, exec_lo
	ds_load_b64 v[9:10], v13
	s_wait_dscnt 0x0
	v_dual_mov_b32 v15, v9 :: v_dual_and_b32 v14, 7, v31
	v_mov_b32_dpp v19, v9 row_shr:1 row_mask:0xf bank_mask:0xf
	v_mov_b32_dpp v16, v10 row_shr:1 row_mask:0xf bank_mask:0xf
	s_delay_alu instid0(VALU_DEP_3)
	v_cmpx_ne_u32_e32 0, v14
; %bb.28:
	s_delay_alu instid0(VALU_DEP_3) | instskip(SKIP_2) | instid1(VALU_DEP_2)
	v_add_co_u32 v15, vcc_lo, v9, v19
	s_wait_alu 0xfffd
	v_add_co_ci_u32_e64 v10, null, 0, v10, vcc_lo
	v_add_co_u32 v9, vcc_lo, 0, v15
	s_wait_alu 0xfffd
	s_delay_alu instid0(VALU_DEP_2)
	v_add_co_ci_u32_e64 v10, null, v16, v10, vcc_lo
; %bb.29:
	s_wait_alu 0xfffe
	s_or_b32 exec_lo, exec_lo, s2
	v_mov_b32_dpp v19, v15 row_shr:2 row_mask:0xf bank_mask:0xf
	s_delay_alu instid0(VALU_DEP_2)
	v_mov_b32_dpp v16, v10 row_shr:2 row_mask:0xf bank_mask:0xf
	s_mov_b32 s2, exec_lo
	v_cmpx_lt_u32_e32 1, v14
; %bb.30:
	s_delay_alu instid0(VALU_DEP_3) | instskip(SKIP_2) | instid1(VALU_DEP_2)
	v_add_co_u32 v15, vcc_lo, v9, v19
	s_wait_alu 0xfffd
	v_add_co_ci_u32_e64 v10, null, 0, v10, vcc_lo
	v_add_co_u32 v9, vcc_lo, 0, v15
	s_wait_alu 0xfffd
	s_delay_alu instid0(VALU_DEP_2)
	v_add_co_ci_u32_e64 v10, null, v16, v10, vcc_lo
; %bb.31:
	s_wait_alu 0xfffe
	s_or_b32 exec_lo, exec_lo, s2
	v_mov_b32_dpp v16, v15 row_shr:4 row_mask:0xf bank_mask:0xf
	s_delay_alu instid0(VALU_DEP_2)
	v_mov_b32_dpp v15, v10 row_shr:4 row_mask:0xf bank_mask:0xf
	s_mov_b32 s2, exec_lo
	v_cmpx_lt_u32_e32 3, v14
; %bb.32:
	s_delay_alu instid0(VALU_DEP_3) | instskip(SKIP_2) | instid1(VALU_DEP_2)
	v_add_co_u32 v9, vcc_lo, v9, v16
	s_wait_alu 0xfffd
	v_add_co_ci_u32_e64 v10, null, 0, v10, vcc_lo
	v_add_co_u32 v9, vcc_lo, v9, 0
	s_wait_alu 0xfffd
	s_delay_alu instid0(VALU_DEP_2)
	v_add_co_ci_u32_e64 v10, null, v10, v15, vcc_lo
; %bb.33:
	s_wait_alu 0xfffe
	s_or_b32 exec_lo, exec_lo, s2
	ds_store_b64 v13, v[9:10]
.LBB1570_34:
	s_wait_alu 0xfffe
	s_or_b32 exec_lo, exec_lo, s1
	s_delay_alu instid0(SALU_CYCLE_1)
	s_mov_b32 s2, exec_lo
	v_cmp_gt_u32_e32 vcc_lo, 32, v0
	s_wait_loadcnt_dscnt 0x0
	s_barrier_signal -1
	s_barrier_wait -1
	global_inv scope:SCOPE_SE
                                        ; implicit-def: $vgpr19_vgpr20
	v_cmpx_lt_u32_e32 31, v0
	s_cbranch_execz .LBB1570_36
; %bb.35:
	v_lshl_add_u32 v9, v11, 3, -8
	ds_load_b64 v[19:20], v9
	s_wait_dscnt 0x0
	v_add_nc_u32_e32 v12, v12, v19
.LBB1570_36:
	s_wait_alu 0xfffe
	s_or_b32 exec_lo, exec_lo, s2
	v_sub_co_u32 v9, s1, v31, 1
	s_delay_alu instid0(VALU_DEP_1) | instskip(SKIP_1) | instid1(VALU_DEP_1)
	v_cmp_gt_i32_e64 s2, 0, v9
	s_wait_alu 0xf1ff
	v_cndmask_b32_e64 v9, v9, v31, s2
	s_delay_alu instid0(VALU_DEP_1)
	v_lshlrev_b32_e32 v9, 2, v9
	ds_bpermute_b32 v33, v9, v12
	s_and_saveexec_b32 s2, vcc_lo
	s_cbranch_execz .LBB1570_75
; %bb.37:
	v_mov_b32_e32 v12, 0
	ds_load_b64 v[9:10], v12 offset:56
	s_and_saveexec_b32 s3, s1
	s_cbranch_execz .LBB1570_39
; %bb.38:
	s_add_co_i32 s14, ttmp9, 32
	s_mov_b32 s15, 0
	s_wait_alu 0xfffe
	s_lshl_b64 s[14:15], s[14:15], 4
	s_wait_kmcnt 0x0
	s_wait_alu 0xfffe
	s_add_nc_u64 s[14:15], s[4:5], s[14:15]
	v_mov_b32_e32 v11, 1
	s_wait_alu 0xfffe
	v_dual_mov_b32 v13, s14 :: v_dual_mov_b32 v14, s15
	s_wait_dscnt 0x0
	;;#ASMSTART
	global_store_b128 v[13:14], v[9:12] off scope:SCOPE_DEV	
s_wait_storecnt 0x0
	;;#ASMEND
.LBB1570_39:
	s_wait_alu 0xfffe
	s_or_b32 exec_lo, exec_lo, s3
	v_xad_u32 v21, v31, -1, ttmp9
	s_mov_b32 s6, 0
	s_mov_b32 s3, exec_lo
	s_delay_alu instid0(VALU_DEP_1) | instskip(NEXT) | instid1(VALU_DEP_1)
	v_add_nc_u32_e32 v11, 32, v21
	v_lshlrev_b64_e32 v[11:12], 4, v[11:12]
	s_wait_kmcnt 0x0
	s_delay_alu instid0(VALU_DEP_1) | instskip(SKIP_1) | instid1(VALU_DEP_2)
	v_add_co_u32 v11, vcc_lo, s4, v11
	s_wait_alu 0xfffd
	v_add_co_ci_u32_e64 v12, null, s5, v12, vcc_lo
	;;#ASMSTART
	global_load_b128 v[13:16], v[11:12] off scope:SCOPE_DEV	
s_wait_loadcnt 0x0
	;;#ASMEND
	v_and_b32_e32 v16, 0xff, v15
	s_delay_alu instid0(VALU_DEP_1)
	v_cmpx_eq_u16_e32 0, v16
	s_cbranch_execz .LBB1570_42
.LBB1570_40:                            ; =>This Inner Loop Header: Depth=1
	;;#ASMSTART
	global_load_b128 v[13:16], v[11:12] off scope:SCOPE_DEV	
s_wait_loadcnt 0x0
	;;#ASMEND
	v_and_b32_e32 v16, 0xff, v15
	s_delay_alu instid0(VALU_DEP_1) | instskip(SKIP_1) | instid1(SALU_CYCLE_1)
	v_cmp_ne_u16_e32 vcc_lo, 0, v16
	s_or_b32 s6, vcc_lo, s6
	s_and_not1_b32 exec_lo, exec_lo, s6
	s_cbranch_execnz .LBB1570_40
; %bb.41:
	s_or_b32 exec_lo, exec_lo, s6
.LBB1570_42:
	s_wait_alu 0xfffe
	s_or_b32 exec_lo, exec_lo, s3
	v_cmp_ne_u32_e32 vcc_lo, 31, v31
	v_and_b32_e32 v12, 0xff, v15
	v_lshlrev_b32_e64 v35, v31, -1
	s_mov_b32 s3, exec_lo
	s_wait_alu 0xfffd
	v_add_co_ci_u32_e64 v11, null, 0, v31, vcc_lo
	v_cmp_eq_u16_e32 vcc_lo, 2, v12
	v_mov_b32_e32 v12, v13
	s_delay_alu instid0(VALU_DEP_3)
	v_lshlrev_b32_e32 v34, 2, v11
	s_wait_alu 0xfffd
	v_and_or_b32 v11, vcc_lo, v35, 0x80000000
	ds_bpermute_b32 v22, v34, v13
	ds_bpermute_b32 v16, v34, v14
	v_ctz_i32_b32_e32 v11, v11
	s_delay_alu instid0(VALU_DEP_1)
	v_cmpx_lt_u32_e64 v31, v11
	s_cbranch_execz .LBB1570_44
; %bb.43:
	s_wait_dscnt 0x1
	v_add_co_u32 v12, vcc_lo, v13, v22
	s_wait_alu 0xfffd
	v_add_co_ci_u32_e64 v14, null, 0, v14, vcc_lo
	s_delay_alu instid0(VALU_DEP_2) | instskip(SKIP_2) | instid1(VALU_DEP_2)
	v_add_co_u32 v13, vcc_lo, 0, v12
	s_wait_dscnt 0x0
	s_wait_alu 0xfffd
	v_add_co_ci_u32_e64 v14, null, v16, v14, vcc_lo
.LBB1570_44:
	s_wait_alu 0xfffe
	s_or_b32 exec_lo, exec_lo, s3
	v_cmp_gt_u32_e32 vcc_lo, 30, v31
	v_add_nc_u32_e32 v37, 2, v31
	s_mov_b32 s3, exec_lo
	s_wait_dscnt 0x0
	s_wait_alu 0xfffd
	v_cndmask_b32_e64 v16, 0, 2, vcc_lo
	s_delay_alu instid0(VALU_DEP_1)
	v_add_lshl_u32 v36, v16, v31, 2
	ds_bpermute_b32 v22, v36, v12
	ds_bpermute_b32 v16, v36, v14
	v_cmpx_le_u32_e64 v37, v11
	s_cbranch_execz .LBB1570_46
; %bb.45:
	s_wait_dscnt 0x1
	v_add_co_u32 v12, vcc_lo, v13, v22
	s_wait_alu 0xfffd
	v_add_co_ci_u32_e64 v14, null, 0, v14, vcc_lo
	s_delay_alu instid0(VALU_DEP_2) | instskip(SKIP_2) | instid1(VALU_DEP_2)
	v_add_co_u32 v13, vcc_lo, 0, v12
	s_wait_dscnt 0x0
	s_wait_alu 0xfffd
	v_add_co_ci_u32_e64 v14, null, v16, v14, vcc_lo
.LBB1570_46:
	s_wait_alu 0xfffe
	s_or_b32 exec_lo, exec_lo, s3
	v_cmp_gt_u32_e32 vcc_lo, 28, v31
	v_add_nc_u32_e32 v39, 4, v31
	s_mov_b32 s3, exec_lo
	s_wait_dscnt 0x0
	s_wait_alu 0xfffd
	v_cndmask_b32_e64 v16, 0, 4, vcc_lo
	s_delay_alu instid0(VALU_DEP_1)
	v_add_lshl_u32 v38, v16, v31, 2
	ds_bpermute_b32 v22, v38, v12
	ds_bpermute_b32 v16, v38, v14
	v_cmpx_le_u32_e64 v39, v11
	;; [unrolled: 25-line block ×3, first 2 shown]
	s_cbranch_execz .LBB1570_50
; %bb.49:
	s_wait_dscnt 0x1
	v_add_co_u32 v12, vcc_lo, v13, v22
	s_wait_alu 0xfffd
	v_add_co_ci_u32_e64 v14, null, 0, v14, vcc_lo
	s_delay_alu instid0(VALU_DEP_2) | instskip(SKIP_2) | instid1(VALU_DEP_2)
	v_add_co_u32 v13, vcc_lo, 0, v12
	s_wait_dscnt 0x0
	s_wait_alu 0xfffd
	v_add_co_ci_u32_e64 v14, null, v16, v14, vcc_lo
.LBB1570_50:
	s_wait_alu 0xfffe
	s_or_b32 exec_lo, exec_lo, s3
	v_lshl_or_b32 v42, v31, 2, 64
	v_add_nc_u32_e32 v43, 16, v31
	s_mov_b32 s3, exec_lo
	s_wait_dscnt 0x0
	ds_bpermute_b32 v16, v42, v12
	ds_bpermute_b32 v12, v42, v14
	v_cmpx_le_u32_e64 v43, v11
	s_cbranch_execz .LBB1570_52
; %bb.51:
	s_wait_dscnt 0x1
	v_add_co_u32 v11, vcc_lo, v13, v16
	s_wait_alu 0xfffd
	v_add_co_ci_u32_e64 v14, null, 0, v14, vcc_lo
	s_delay_alu instid0(VALU_DEP_2) | instskip(SKIP_2) | instid1(VALU_DEP_2)
	v_add_co_u32 v13, vcc_lo, v11, 0
	s_wait_dscnt 0x0
	s_wait_alu 0xfffd
	v_add_co_ci_u32_e64 v14, null, v14, v12, vcc_lo
.LBB1570_52:
	s_wait_alu 0xfffe
	s_or_b32 exec_lo, exec_lo, s3
	v_mov_b32_e32 v22, 0
	s_branch .LBB1570_55
.LBB1570_53:                            ;   in Loop: Header=BB1570_55 Depth=1
	s_wait_alu 0xfffe
	s_or_b32 exec_lo, exec_lo, s3
	v_add_co_u32 v13, vcc_lo, v13, v11
	v_subrev_nc_u32_e32 v21, 32, v21
	s_wait_alu 0xfffd
	v_add_co_ci_u32_e64 v14, null, v14, v12, vcc_lo
	s_mov_b32 s3, 0
.LBB1570_54:                            ;   in Loop: Header=BB1570_55 Depth=1
	s_wait_alu 0xfffe
	s_and_b32 vcc_lo, exec_lo, s3
	s_wait_alu 0xfffe
	s_cbranch_vccnz .LBB1570_71
.LBB1570_55:                            ; =>This Loop Header: Depth=1
                                        ;     Child Loop BB1570_58 Depth 2
	v_and_b32_e32 v11, 0xff, v15
	s_mov_b32 s3, -1
	s_delay_alu instid0(VALU_DEP_1)
	v_cmp_ne_u16_e32 vcc_lo, 2, v11
	s_wait_dscnt 0x0
	v_dual_mov_b32 v11, v13 :: v_dual_mov_b32 v12, v14
                                        ; implicit-def: $vgpr13_vgpr14
	s_cmp_lg_u32 vcc_lo, exec_lo
	s_cbranch_scc1 .LBB1570_54
; %bb.56:                               ;   in Loop: Header=BB1570_55 Depth=1
	v_lshlrev_b64_e32 v[13:14], 4, v[21:22]
	s_mov_b32 s3, exec_lo
	s_delay_alu instid0(VALU_DEP_1) | instskip(SKIP_1) | instid1(VALU_DEP_2)
	v_add_co_u32 v23, vcc_lo, s4, v13
	s_wait_alu 0xfffd
	v_add_co_ci_u32_e64 v24, null, s5, v14, vcc_lo
	;;#ASMSTART
	global_load_b128 v[13:16], v[23:24] off scope:SCOPE_DEV	
s_wait_loadcnt 0x0
	;;#ASMEND
	v_and_b32_e32 v16, 0xff, v15
	s_delay_alu instid0(VALU_DEP_1)
	v_cmpx_eq_u16_e32 0, v16
	s_cbranch_execz .LBB1570_60
; %bb.57:                               ;   in Loop: Header=BB1570_55 Depth=1
	s_mov_b32 s6, 0
.LBB1570_58:                            ;   Parent Loop BB1570_55 Depth=1
                                        ; =>  This Inner Loop Header: Depth=2
	;;#ASMSTART
	global_load_b128 v[13:16], v[23:24] off scope:SCOPE_DEV	
s_wait_loadcnt 0x0
	;;#ASMEND
	v_and_b32_e32 v16, 0xff, v15
	s_delay_alu instid0(VALU_DEP_1) | instskip(SKIP_1) | instid1(SALU_CYCLE_1)
	v_cmp_ne_u16_e32 vcc_lo, 0, v16
	s_or_b32 s6, vcc_lo, s6
	s_and_not1_b32 exec_lo, exec_lo, s6
	s_cbranch_execnz .LBB1570_58
; %bb.59:                               ;   in Loop: Header=BB1570_55 Depth=1
	s_or_b32 exec_lo, exec_lo, s6
.LBB1570_60:                            ;   in Loop: Header=BB1570_55 Depth=1
	s_wait_alu 0xfffe
	s_or_b32 exec_lo, exec_lo, s3
	v_dual_mov_b32 v23, v13 :: v_dual_and_b32 v16, 0xff, v15
	ds_bpermute_b32 v44, v34, v13
	ds_bpermute_b32 v24, v34, v14
	s_mov_b32 s3, exec_lo
	v_cmp_eq_u16_e32 vcc_lo, 2, v16
	s_wait_alu 0xfffd
	v_and_or_b32 v16, vcc_lo, v35, 0x80000000
	s_delay_alu instid0(VALU_DEP_1) | instskip(NEXT) | instid1(VALU_DEP_1)
	v_ctz_i32_b32_e32 v16, v16
	v_cmpx_lt_u32_e64 v31, v16
	s_cbranch_execz .LBB1570_62
; %bb.61:                               ;   in Loop: Header=BB1570_55 Depth=1
	s_wait_dscnt 0x1
	v_add_co_u32 v23, vcc_lo, v13, v44
	s_wait_alu 0xfffd
	v_add_co_ci_u32_e64 v14, null, 0, v14, vcc_lo
	s_delay_alu instid0(VALU_DEP_2) | instskip(SKIP_2) | instid1(VALU_DEP_2)
	v_add_co_u32 v13, vcc_lo, 0, v23
	s_wait_dscnt 0x0
	s_wait_alu 0xfffd
	v_add_co_ci_u32_e64 v14, null, v24, v14, vcc_lo
.LBB1570_62:                            ;   in Loop: Header=BB1570_55 Depth=1
	s_wait_alu 0xfffe
	s_or_b32 exec_lo, exec_lo, s3
	s_wait_dscnt 0x1
	ds_bpermute_b32 v44, v36, v23
	s_wait_dscnt 0x1
	ds_bpermute_b32 v24, v36, v14
	s_mov_b32 s3, exec_lo
	v_cmpx_le_u32_e64 v37, v16
	s_cbranch_execz .LBB1570_64
; %bb.63:                               ;   in Loop: Header=BB1570_55 Depth=1
	s_wait_dscnt 0x1
	v_add_co_u32 v23, vcc_lo, v13, v44
	s_wait_alu 0xfffd
	v_add_co_ci_u32_e64 v14, null, 0, v14, vcc_lo
	s_delay_alu instid0(VALU_DEP_2) | instskip(SKIP_2) | instid1(VALU_DEP_2)
	v_add_co_u32 v13, vcc_lo, 0, v23
	s_wait_dscnt 0x0
	s_wait_alu 0xfffd
	v_add_co_ci_u32_e64 v14, null, v24, v14, vcc_lo
.LBB1570_64:                            ;   in Loop: Header=BB1570_55 Depth=1
	s_wait_alu 0xfffe
	s_or_b32 exec_lo, exec_lo, s3
	s_wait_dscnt 0x1
	ds_bpermute_b32 v44, v38, v23
	s_wait_dscnt 0x1
	ds_bpermute_b32 v24, v38, v14
	s_mov_b32 s3, exec_lo
	v_cmpx_le_u32_e64 v39, v16
	;; [unrolled: 20-line block ×3, first 2 shown]
	s_cbranch_execz .LBB1570_68
; %bb.67:                               ;   in Loop: Header=BB1570_55 Depth=1
	s_wait_dscnt 0x1
	v_add_co_u32 v23, vcc_lo, v13, v44
	s_wait_alu 0xfffd
	v_add_co_ci_u32_e64 v14, null, 0, v14, vcc_lo
	s_delay_alu instid0(VALU_DEP_2) | instskip(SKIP_2) | instid1(VALU_DEP_2)
	v_add_co_u32 v13, vcc_lo, 0, v23
	s_wait_dscnt 0x0
	s_wait_alu 0xfffd
	v_add_co_ci_u32_e64 v14, null, v24, v14, vcc_lo
.LBB1570_68:                            ;   in Loop: Header=BB1570_55 Depth=1
	s_wait_alu 0xfffe
	s_or_b32 exec_lo, exec_lo, s3
	s_wait_dscnt 0x0
	ds_bpermute_b32 v24, v42, v23
	ds_bpermute_b32 v23, v42, v14
	s_mov_b32 s3, exec_lo
	v_cmpx_le_u32_e64 v43, v16
	s_cbranch_execz .LBB1570_53
; %bb.69:                               ;   in Loop: Header=BB1570_55 Depth=1
	s_wait_dscnt 0x1
	v_add_co_u32 v13, vcc_lo, v13, v24
	s_wait_alu 0xfffd
	v_add_co_ci_u32_e64 v14, null, 0, v14, vcc_lo
	s_delay_alu instid0(VALU_DEP_2) | instskip(SKIP_2) | instid1(VALU_DEP_2)
	v_add_co_u32 v13, vcc_lo, v13, 0
	s_wait_dscnt 0x0
	s_wait_alu 0xfffd
	v_add_co_ci_u32_e64 v14, null, v14, v23, vcc_lo
	s_branch .LBB1570_53
.LBB1570_70:
                                        ; implicit-def: $vgpr13_vgpr14
                                        ; implicit-def: $vgpr19_vgpr20
                                        ; implicit-def: $vgpr11_vgpr12
                                        ; implicit-def: $vgpr14_vgpr15
                                        ; implicit-def: $vgpr15_vgpr16
	s_and_b32 vcc_lo, exec_lo, s1
	s_wait_alu 0xfffe
	s_cbranch_vccnz .LBB1570_76
	s_branch .LBB1570_101
.LBB1570_71:
	s_and_saveexec_b32 s3, s1
	s_cbranch_execz .LBB1570_73
; %bb.72:
	s_add_co_i32 s14, ttmp9, 32
	s_mov_b32 s15, 0
	v_add_co_u32 v13, vcc_lo, v11, v9
	s_wait_alu 0xfffe
	s_lshl_b64 s[14:15], s[14:15], 4
	v_dual_mov_b32 v15, 2 :: v_dual_mov_b32 v16, 0
	s_wait_alu 0xfffe
	s_add_nc_u64 s[14:15], s[4:5], s[14:15]
	s_wait_alu 0xfffd
	v_add_co_ci_u32_e64 v14, null, v12, v10, vcc_lo
	s_wait_alu 0xfffe
	v_dual_mov_b32 v22, s15 :: v_dual_mov_b32 v21, s14
	;;#ASMSTART
	global_store_b128 v[21:22], v[13:16] off scope:SCOPE_DEV	
s_wait_storecnt 0x0
	;;#ASMEND
	ds_store_b128 v16, v[9:12] offset:8448
.LBB1570_73:
	s_wait_alu 0xfffe
	s_or_b32 exec_lo, exec_lo, s3
	v_cmp_eq_u32_e32 vcc_lo, 0, v0
	s_and_b32 exec_lo, exec_lo, vcc_lo
; %bb.74:
	v_mov_b32_e32 v9, 0
	ds_store_b64 v9, v[11:12] offset:56
.LBB1570_75:
	s_wait_alu 0xfffe
	s_or_b32 exec_lo, exec_lo, s2
	s_wait_dscnt 0x0
	v_cndmask_b32_e64 v10, v33, v19, s1
	v_cmp_ne_u32_e32 vcc_lo, 0, v0
	v_mov_b32_e32 v9, 0
	s_wait_loadcnt 0x0
	s_barrier_signal -1
	s_barrier_wait -1
	global_inv scope:SCOPE_SE
	s_wait_alu 0xfffd
	v_cndmask_b32_e32 v16, 0, v10, vcc_lo
	ds_load_b64 v[13:14], v9 offset:56
	v_cndmask_b32_e64 v11, 0, v20, s1
	s_wait_loadcnt_dscnt 0x0
	s_barrier_signal -1
	s_barrier_wait -1
	global_inv scope:SCOPE_SE
	v_cndmask_b32_e32 v15, 0, v11, vcc_lo
	ds_load_b128 v[9:12], v9 offset:8448
	v_add_co_u32 v19, vcc_lo, v13, v16
	s_wait_alu 0xfffd
	v_add_co_ci_u32_e64 v13, null, v14, v15, vcc_lo
	s_delay_alu instid0(VALU_DEP_2) | instskip(SKIP_1) | instid1(VALU_DEP_2)
	v_add_co_u32 v15, vcc_lo, v19, v29
	s_wait_alu 0xfffd
	v_add_co_ci_u32_e64 v13, null, 0, v13, vcc_lo
	s_delay_alu instid0(VALU_DEP_2) | instskip(SKIP_1) | instid1(VALU_DEP_2)
	;; [unrolled: 4-line block ×3, first 2 shown]
	v_add_co_u32 v13, vcc_lo, v14, v30
	s_wait_alu 0xfffd
	v_add_co_ci_u32_e64 v16, null, 0, v16, vcc_lo
	s_branch .LBB1570_101
.LBB1570_76:
	s_wait_dscnt 0x0
	v_dual_mov_b32 v10, 0 :: v_dual_mov_b32 v11, v17
	v_mov_b32_dpp v12, v17 row_shr:1 row_mask:0xf bank_mask:0xf
	s_delay_alu instid0(VALU_DEP_2)
	v_mov_b32_dpp v9, v10 row_shr:1 row_mask:0xf bank_mask:0xf
	s_and_saveexec_b32 s1, s0
; %bb.77:
	s_delay_alu instid0(VALU_DEP_2) | instskip(SKIP_2) | instid1(VALU_DEP_2)
	v_add_co_u32 v11, vcc_lo, v17, v12
	s_wait_alu 0xfffd
	v_add_co_ci_u32_e64 v10, null, 0, v18, vcc_lo
	v_add_co_u32 v17, vcc_lo, 0, v11
	s_wait_alu 0xfffd
	s_delay_alu instid0(VALU_DEP_2) | instskip(NEXT) | instid1(VALU_DEP_1)
	v_add_co_ci_u32_e64 v18, null, v9, v10, vcc_lo
	v_mov_b32_e32 v10, v18
; %bb.78:
	s_wait_alu 0xfffe
	s_or_b32 exec_lo, exec_lo, s1
	v_mov_b32_dpp v9, v11 row_shr:2 row_mask:0xf bank_mask:0xf
	s_delay_alu instid0(VALU_DEP_2)
	v_mov_b32_dpp v12, v10 row_shr:2 row_mask:0xf bank_mask:0xf
	s_mov_b32 s0, exec_lo
	v_cmpx_lt_u32_e32 1, v32
; %bb.79:
	s_delay_alu instid0(VALU_DEP_3) | instskip(SKIP_2) | instid1(VALU_DEP_2)
	v_add_co_u32 v11, vcc_lo, v17, v9
	s_wait_alu 0xfffd
	v_add_co_ci_u32_e64 v10, null, 0, v18, vcc_lo
	v_add_co_u32 v9, vcc_lo, 0, v11
	s_wait_alu 0xfffd
	s_delay_alu instid0(VALU_DEP_2) | instskip(NEXT) | instid1(VALU_DEP_1)
	v_add_co_ci_u32_e64 v10, null, v12, v10, vcc_lo
	v_dual_mov_b32 v18, v10 :: v_dual_mov_b32 v17, v9
; %bb.80:
	s_wait_alu 0xfffe
	s_or_b32 exec_lo, exec_lo, s0
	v_mov_b32_dpp v9, v11 row_shr:4 row_mask:0xf bank_mask:0xf
	v_mov_b32_dpp v12, v10 row_shr:4 row_mask:0xf bank_mask:0xf
	s_mov_b32 s0, exec_lo
	v_cmpx_lt_u32_e32 3, v32
; %bb.81:
	s_delay_alu instid0(VALU_DEP_3) | instskip(SKIP_2) | instid1(VALU_DEP_2)
	v_add_co_u32 v11, vcc_lo, v17, v9
	s_wait_alu 0xfffd
	v_add_co_ci_u32_e64 v10, null, 0, v18, vcc_lo
	v_add_co_u32 v9, vcc_lo, 0, v11
	s_wait_alu 0xfffd
	s_delay_alu instid0(VALU_DEP_2) | instskip(NEXT) | instid1(VALU_DEP_1)
	v_add_co_ci_u32_e64 v10, null, v12, v10, vcc_lo
	v_dual_mov_b32 v18, v10 :: v_dual_mov_b32 v17, v9
; %bb.82:
	s_wait_alu 0xfffe
	s_or_b32 exec_lo, exec_lo, s0
	v_mov_b32_dpp v12, v11 row_shr:8 row_mask:0xf bank_mask:0xf
	v_mov_b32_dpp v9, v10 row_shr:8 row_mask:0xf bank_mask:0xf
	s_mov_b32 s0, exec_lo
	v_cmpx_lt_u32_e32 7, v32
; %bb.83:
	s_delay_alu instid0(VALU_DEP_3) | instskip(SKIP_2) | instid1(VALU_DEP_2)
	v_add_co_u32 v11, vcc_lo, v17, v12
	s_wait_alu 0xfffd
	v_add_co_ci_u32_e64 v10, null, 0, v18, vcc_lo
	v_add_co_u32 v17, vcc_lo, 0, v11
	s_wait_alu 0xfffd
	s_delay_alu instid0(VALU_DEP_2) | instskip(NEXT) | instid1(VALU_DEP_1)
	v_add_co_ci_u32_e64 v18, null, v9, v10, vcc_lo
	v_mov_b32_e32 v10, v18
; %bb.84:
	s_wait_alu 0xfffe
	s_or_b32 exec_lo, exec_lo, s0
	ds_swizzle_b32 v11, v11 offset:swizzle(BROADCAST,32,15)
	ds_swizzle_b32 v9, v10 offset:swizzle(BROADCAST,32,15)
	v_and_b32_e32 v10, 16, v31
	s_mov_b32 s0, exec_lo
	s_delay_alu instid0(VALU_DEP_1)
	v_cmpx_ne_u32_e32 0, v10
	s_cbranch_execz .LBB1570_86
; %bb.85:
	s_wait_dscnt 0x1
	v_add_co_u32 v10, vcc_lo, v17, v11
	s_wait_alu 0xfffd
	v_add_co_ci_u32_e64 v11, null, 0, v18, vcc_lo
	s_delay_alu instid0(VALU_DEP_2) | instskip(SKIP_2) | instid1(VALU_DEP_2)
	v_add_co_u32 v17, vcc_lo, v10, 0
	s_wait_dscnt 0x0
	s_wait_alu 0xfffd
	v_add_co_ci_u32_e64 v18, null, v11, v9, vcc_lo
.LBB1570_86:
	s_wait_alu 0xfffe
	s_or_b32 exec_lo, exec_lo, s0
	s_wait_dscnt 0x0
	v_or_b32_e32 v9, 31, v0
	v_lshrrev_b32_e32 v11, 5, v0
	s_mov_b32 s0, exec_lo
	s_delay_alu instid0(VALU_DEP_2)
	v_cmpx_eq_u32_e64 v0, v9
; %bb.87:
	s_delay_alu instid0(VALU_DEP_2)
	v_lshlrev_b32_e32 v9, 3, v11
	ds_store_b64 v9, v[17:18]
; %bb.88:
	s_wait_alu 0xfffe
	s_or_b32 exec_lo, exec_lo, s0
	s_delay_alu instid0(SALU_CYCLE_1)
	s_mov_b32 s0, exec_lo
	s_wait_loadcnt_dscnt 0x0
	s_barrier_signal -1
	s_barrier_wait -1
	global_inv scope:SCOPE_SE
	v_cmpx_gt_u32_e32 8, v0
	s_cbranch_execz .LBB1570_96
; %bb.89:
	v_lshlrev_b32_e32 v12, 3, v0
	s_mov_b32 s1, exec_lo
	ds_load_b64 v[9:10], v12
	s_wait_dscnt 0x0
	v_dual_mov_b32 v14, v9 :: v_dual_and_b32 v13, 7, v31
	v_mov_b32_dpp v16, v9 row_shr:1 row_mask:0xf bank_mask:0xf
	v_mov_b32_dpp v15, v10 row_shr:1 row_mask:0xf bank_mask:0xf
	s_delay_alu instid0(VALU_DEP_3)
	v_cmpx_ne_u32_e32 0, v13
; %bb.90:
	s_delay_alu instid0(VALU_DEP_3) | instskip(SKIP_2) | instid1(VALU_DEP_2)
	v_add_co_u32 v14, vcc_lo, v9, v16
	s_wait_alu 0xfffd
	v_add_co_ci_u32_e64 v10, null, 0, v10, vcc_lo
	v_add_co_u32 v9, vcc_lo, 0, v14
	s_wait_alu 0xfffd
	s_delay_alu instid0(VALU_DEP_2)
	v_add_co_ci_u32_e64 v10, null, v15, v10, vcc_lo
; %bb.91:
	s_wait_alu 0xfffe
	s_or_b32 exec_lo, exec_lo, s1
	v_mov_b32_dpp v16, v14 row_shr:2 row_mask:0xf bank_mask:0xf
	s_delay_alu instid0(VALU_DEP_2)
	v_mov_b32_dpp v15, v10 row_shr:2 row_mask:0xf bank_mask:0xf
	s_mov_b32 s1, exec_lo
	v_cmpx_lt_u32_e32 1, v13
; %bb.92:
	s_delay_alu instid0(VALU_DEP_3) | instskip(SKIP_2) | instid1(VALU_DEP_2)
	v_add_co_u32 v14, vcc_lo, v9, v16
	s_wait_alu 0xfffd
	v_add_co_ci_u32_e64 v10, null, 0, v10, vcc_lo
	v_add_co_u32 v9, vcc_lo, 0, v14
	s_wait_alu 0xfffd
	s_delay_alu instid0(VALU_DEP_2)
	v_add_co_ci_u32_e64 v10, null, v15, v10, vcc_lo
; %bb.93:
	s_wait_alu 0xfffe
	s_or_b32 exec_lo, exec_lo, s1
	v_mov_b32_dpp v15, v14 row_shr:4 row_mask:0xf bank_mask:0xf
	s_delay_alu instid0(VALU_DEP_2)
	v_mov_b32_dpp v14, v10 row_shr:4 row_mask:0xf bank_mask:0xf
	s_mov_b32 s1, exec_lo
	v_cmpx_lt_u32_e32 3, v13
; %bb.94:
	s_delay_alu instid0(VALU_DEP_3) | instskip(SKIP_2) | instid1(VALU_DEP_2)
	v_add_co_u32 v9, vcc_lo, v9, v15
	s_wait_alu 0xfffd
	v_add_co_ci_u32_e64 v10, null, 0, v10, vcc_lo
	v_add_co_u32 v9, vcc_lo, v9, 0
	s_wait_alu 0xfffd
	s_delay_alu instid0(VALU_DEP_2)
	v_add_co_ci_u32_e64 v10, null, v10, v14, vcc_lo
; %bb.95:
	s_wait_alu 0xfffe
	s_or_b32 exec_lo, exec_lo, s1
	ds_store_b64 v12, v[9:10]
.LBB1570_96:
	s_wait_alu 0xfffe
	s_or_b32 exec_lo, exec_lo, s0
	v_mov_b32_e32 v13, 0
	v_mov_b32_e32 v14, 0
	s_mov_b32 s0, exec_lo
	s_wait_loadcnt_dscnt 0x0
	s_barrier_signal -1
	s_barrier_wait -1
	global_inv scope:SCOPE_SE
	v_cmpx_lt_u32_e32 31, v0
; %bb.97:
	v_lshl_add_u32 v9, v11, 3, -8
	ds_load_b64 v[13:14], v9
; %bb.98:
	s_wait_alu 0xfffe
	s_or_b32 exec_lo, exec_lo, s0
	v_sub_co_u32 v9, vcc_lo, v31, 1
	s_wait_dscnt 0x0
	v_add_nc_u32_e32 v10, v13, v17
	v_mov_b32_e32 v12, 0
	s_delay_alu instid0(VALU_DEP_3) | instskip(SKIP_1) | instid1(VALU_DEP_1)
	v_cmp_gt_i32_e64 s0, 0, v9
	s_wait_alu 0xf1ff
	v_cndmask_b32_e64 v9, v9, v31, s0
	v_cmp_eq_u32_e64 s0, 0, v0
	s_delay_alu instid0(VALU_DEP_2)
	v_lshlrev_b32_e32 v9, 2, v9
	ds_bpermute_b32 v15, v9, v10
	ds_load_b64 v[9:10], v12 offset:56
	s_and_saveexec_b32 s1, s0
	s_cbranch_execz .LBB1570_100
; %bb.99:
	s_wait_kmcnt 0x0
	s_add_nc_u64 s[2:3], s[4:5], 0x200
	v_mov_b32_e32 v11, 2
	s_wait_alu 0xfffe
	v_dual_mov_b32 v17, s3 :: v_dual_mov_b32 v16, s2
	s_wait_dscnt 0x0
	;;#ASMSTART
	global_store_b128 v[16:17], v[9:12] off scope:SCOPE_DEV	
s_wait_storecnt 0x0
	;;#ASMEND
.LBB1570_100:
	s_wait_alu 0xfffe
	s_or_b32 exec_lo, exec_lo, s1
	s_wait_dscnt 0x1
	s_wait_alu 0xfffd
	v_dual_cndmask_b32 v11, v15, v13 :: v_dual_cndmask_b32 v12, 0, v14
	s_wait_loadcnt_dscnt 0x0
	s_barrier_signal -1
	s_barrier_wait -1
	s_delay_alu instid0(VALU_DEP_1)
	v_cndmask_b32_e64 v19, v11, 0, s0
	v_cndmask_b32_e64 v11, v12, 0, s0
	global_inv scope:SCOPE_SE
	v_add_co_u32 v15, vcc_lo, v19, v29
	s_wait_alu 0xfffd
	v_add_co_ci_u32_e64 v11, null, 0, v11, vcc_lo
	s_delay_alu instid0(VALU_DEP_2) | instskip(SKIP_1) | instid1(VALU_DEP_2)
	v_add_co_u32 v14, vcc_lo, v15, v28
	s_wait_alu 0xfffd
	v_add_co_ci_u32_e64 v16, null, 0, v11, vcc_lo
	v_mov_b32_e32 v11, 0
	v_mov_b32_e32 v12, 0
	v_add_co_u32 v13, vcc_lo, v14, v30
	s_wait_alu 0xfffd
	v_add_co_ci_u32_e64 v16, null, 0, v16, vcc_lo
.LBB1570_101:
	s_wait_dscnt 0x0
	v_cmp_gt_u64_e32 vcc_lo, 0x101, v[9:10]
	s_cbranch_vccz .LBB1570_104
; %bb.102:
	v_cmp_eq_u32_e32 vcc_lo, 0, v0
	s_and_b32 s0, vcc_lo, s7
	s_wait_alu 0xfffe
	s_and_saveexec_b32 s1, s0
	s_cbranch_execnz .LBB1570_113
.LBB1570_103:
	s_endpgm
.LBB1570_104:
	v_and_b32_e32 v16, 1, v27
	s_mov_b32 s0, exec_lo
	s_delay_alu instid0(VALU_DEP_1)
	v_cmpx_eq_u32_e32 1, v16
; %bb.105:
	v_sub_nc_u32_e32 v16, v19, v11
	s_delay_alu instid0(VALU_DEP_1)
	v_lshlrev_b32_e32 v16, 3, v16
	ds_store_b64 v16, v[1:2]
; %bb.106:
	s_wait_alu 0xfffe
	s_or_b32 exec_lo, exec_lo, s0
	v_and_b32_e32 v1, 1, v26
	s_mov_b32 s0, exec_lo
	s_delay_alu instid0(VALU_DEP_1)
	v_cmpx_eq_u32_e32 1, v1
; %bb.107:
	v_sub_nc_u32_e32 v1, v15, v11
	s_delay_alu instid0(VALU_DEP_1)
	v_lshlrev_b32_e32 v1, 3, v1
	ds_store_b64 v1, v[5:6]
; %bb.108:
	s_wait_alu 0xfffe
	s_or_b32 exec_lo, exec_lo, s0
	;; [unrolled: 12-line block ×3, first 2 shown]
	s_and_saveexec_b32 s0, s12
; %bb.111:
	v_sub_nc_u32_e32 v1, v13, v11
	s_delay_alu instid0(VALU_DEP_1)
	v_lshlrev_b32_e32 v1, 3, v1
	ds_store_b64 v1, v[3:4]
; %bb.112:
	s_wait_alu 0xfffe
	s_or_b32 exec_lo, exec_lo, s0
	s_wait_loadcnt_dscnt 0x0
	s_barrier_signal -1
	s_barrier_wait -1
	global_inv scope:SCOPE_SE
	v_cmp_eq_u32_e32 vcc_lo, 0, v0
	s_and_b32 s0, vcc_lo, s7
	s_wait_alu 0xfffe
	s_and_saveexec_b32 s1, s0
	s_cbranch_execz .LBB1570_103
.LBB1570_113:
	v_add_co_u32 v0, vcc_lo, v9, s10
	s_wait_alu 0xfffd
	v_add_co_ci_u32_e64 v1, null, s11, v10, vcc_lo
	v_mov_b32_e32 v2, 0
	s_delay_alu instid0(VALU_DEP_3) | instskip(SKIP_1) | instid1(VALU_DEP_3)
	v_add_co_u32 v0, vcc_lo, v0, v11
	s_wait_alu 0xfffd
	v_add_co_ci_u32_e64 v1, null, v1, v12, vcc_lo
	global_store_b64 v2, v[0:1], s[8:9]
	s_endpgm
.LBB1570_114:
	v_dual_mov_b32 v15, v1 :: v_dual_lshlrev_b32 v2, 3, v0
	v_dual_mov_b32 v16, v1 :: v_dual_mov_b32 v17, v1
	v_dual_mov_b32 v18, v1 :: v_dual_mov_b32 v19, v1
	s_delay_alu instid0(VALU_DEP_3) | instskip(NEXT) | instid1(VALU_DEP_1)
	v_add_co_u32 v2, s14, s2, v2
	v_add_co_ci_u32_e64 v3, null, s3, 0, s14
	v_mov_b32_e32 v20, v1
	flat_load_b64 v[13:14], v[2:3]
	s_wait_loadcnt_dscnt 0x0
	v_dual_mov_b32 v1, v13 :: v_dual_mov_b32 v2, v14
	v_dual_mov_b32 v3, v15 :: v_dual_mov_b32 v4, v16
	;; [unrolled: 1-line block ×4, first 2 shown]
	s_or_b32 exec_lo, exec_lo, s12
	s_delay_alu instid0(SALU_CYCLE_1)
	s_mov_b32 s12, exec_lo
	v_cmpx_gt_u32_e64 s13, v12
	s_cbranch_execz .LBB1570_5
.LBB1570_115:
	v_lshlrev_b32_e32 v3, 3, v0
	s_delay_alu instid0(VALU_DEP_1)
	v_add_co_u32 v3, s14, s2, v3
	s_wait_alu 0xf1ff
	v_add_co_ci_u32_e64 v4, null, s3, 0, s14
	flat_load_b64 v[3:4], v[3:4] offset:2048
	s_wait_alu 0xfffe
	s_or_b32 exec_lo, exec_lo, s12
	s_delay_alu instid0(SALU_CYCLE_1)
	s_mov_b32 s12, exec_lo
	v_cmpx_gt_u32_e64 s13, v11
	s_cbranch_execz .LBB1570_6
.LBB1570_116:
	v_lshlrev_b32_e32 v5, 3, v0
	s_delay_alu instid0(VALU_DEP_1)
	v_add_co_u32 v5, s14, s2, v5
	s_wait_alu 0xf1ff
	v_add_co_ci_u32_e64 v6, null, s3, 0, s14
	flat_load_b64 v[5:6], v[5:6] offset:4096
	s_wait_alu 0xfffe
	s_or_b32 exec_lo, exec_lo, s12
	s_delay_alu instid0(SALU_CYCLE_1)
	s_mov_b32 s12, exec_lo
	v_cmpx_gt_u32_e64 s13, v10
	s_cbranch_execnz .LBB1570_7
	s_branch .LBB1570_8
	.section	.rodata,"a",@progbits
	.p2align	6, 0x0
	.amdhsa_kernel _ZN7rocprim17ROCPRIM_400000_NS6detail17trampoline_kernelINS0_14default_configENS1_25partition_config_selectorILNS1_17partition_subalgoE6EdNS0_10empty_typeEbEEZZNS1_14partition_implILS5_6ELb0ES3_mN6thrust23THRUST_200600_302600_NS6detail15normal_iteratorINSA_10device_ptrIdEEEEPS6_SG_NS0_5tupleIJNSA_16discard_iteratorINSA_11use_defaultEEES6_EEENSH_IJSG_SG_EEES6_PlJNSB_9not_fun_tINSB_14equal_to_valueIdEEEEEEE10hipError_tPvRmT3_T4_T5_T6_T7_T9_mT8_P12ihipStream_tbDpT10_ENKUlT_T0_E_clISt17integral_constantIbLb0EES1B_EEDaS16_S17_EUlS16_E_NS1_11comp_targetILNS1_3genE10ELNS1_11target_archE1200ELNS1_3gpuE4ELNS1_3repE0EEENS1_30default_config_static_selectorELNS0_4arch9wavefront6targetE0EEEvT1_
		.amdhsa_group_segment_fixed_size 8464
		.amdhsa_private_segment_fixed_size 0
		.amdhsa_kernarg_size 128
		.amdhsa_user_sgpr_count 2
		.amdhsa_user_sgpr_dispatch_ptr 0
		.amdhsa_user_sgpr_queue_ptr 0
		.amdhsa_user_sgpr_kernarg_segment_ptr 1
		.amdhsa_user_sgpr_dispatch_id 0
		.amdhsa_user_sgpr_private_segment_size 0
		.amdhsa_wavefront_size32 1
		.amdhsa_uses_dynamic_stack 0
		.amdhsa_enable_private_segment 0
		.amdhsa_system_sgpr_workgroup_id_x 1
		.amdhsa_system_sgpr_workgroup_id_y 0
		.amdhsa_system_sgpr_workgroup_id_z 0
		.amdhsa_system_sgpr_workgroup_info 0
		.amdhsa_system_vgpr_workitem_id 0
		.amdhsa_next_free_vgpr 45
		.amdhsa_next_free_sgpr 21
		.amdhsa_reserve_vcc 1
		.amdhsa_float_round_mode_32 0
		.amdhsa_float_round_mode_16_64 0
		.amdhsa_float_denorm_mode_32 3
		.amdhsa_float_denorm_mode_16_64 3
		.amdhsa_fp16_overflow 0
		.amdhsa_workgroup_processor_mode 1
		.amdhsa_memory_ordered 1
		.amdhsa_forward_progress 1
		.amdhsa_inst_pref_size 45
		.amdhsa_round_robin_scheduling 0
		.amdhsa_exception_fp_ieee_invalid_op 0
		.amdhsa_exception_fp_denorm_src 0
		.amdhsa_exception_fp_ieee_div_zero 0
		.amdhsa_exception_fp_ieee_overflow 0
		.amdhsa_exception_fp_ieee_underflow 0
		.amdhsa_exception_fp_ieee_inexact 0
		.amdhsa_exception_int_div_zero 0
	.end_amdhsa_kernel
	.section	.text._ZN7rocprim17ROCPRIM_400000_NS6detail17trampoline_kernelINS0_14default_configENS1_25partition_config_selectorILNS1_17partition_subalgoE6EdNS0_10empty_typeEbEEZZNS1_14partition_implILS5_6ELb0ES3_mN6thrust23THRUST_200600_302600_NS6detail15normal_iteratorINSA_10device_ptrIdEEEEPS6_SG_NS0_5tupleIJNSA_16discard_iteratorINSA_11use_defaultEEES6_EEENSH_IJSG_SG_EEES6_PlJNSB_9not_fun_tINSB_14equal_to_valueIdEEEEEEE10hipError_tPvRmT3_T4_T5_T6_T7_T9_mT8_P12ihipStream_tbDpT10_ENKUlT_T0_E_clISt17integral_constantIbLb0EES1B_EEDaS16_S17_EUlS16_E_NS1_11comp_targetILNS1_3genE10ELNS1_11target_archE1200ELNS1_3gpuE4ELNS1_3repE0EEENS1_30default_config_static_selectorELNS0_4arch9wavefront6targetE0EEEvT1_,"axG",@progbits,_ZN7rocprim17ROCPRIM_400000_NS6detail17trampoline_kernelINS0_14default_configENS1_25partition_config_selectorILNS1_17partition_subalgoE6EdNS0_10empty_typeEbEEZZNS1_14partition_implILS5_6ELb0ES3_mN6thrust23THRUST_200600_302600_NS6detail15normal_iteratorINSA_10device_ptrIdEEEEPS6_SG_NS0_5tupleIJNSA_16discard_iteratorINSA_11use_defaultEEES6_EEENSH_IJSG_SG_EEES6_PlJNSB_9not_fun_tINSB_14equal_to_valueIdEEEEEEE10hipError_tPvRmT3_T4_T5_T6_T7_T9_mT8_P12ihipStream_tbDpT10_ENKUlT_T0_E_clISt17integral_constantIbLb0EES1B_EEDaS16_S17_EUlS16_E_NS1_11comp_targetILNS1_3genE10ELNS1_11target_archE1200ELNS1_3gpuE4ELNS1_3repE0EEENS1_30default_config_static_selectorELNS0_4arch9wavefront6targetE0EEEvT1_,comdat
.Lfunc_end1570:
	.size	_ZN7rocprim17ROCPRIM_400000_NS6detail17trampoline_kernelINS0_14default_configENS1_25partition_config_selectorILNS1_17partition_subalgoE6EdNS0_10empty_typeEbEEZZNS1_14partition_implILS5_6ELb0ES3_mN6thrust23THRUST_200600_302600_NS6detail15normal_iteratorINSA_10device_ptrIdEEEEPS6_SG_NS0_5tupleIJNSA_16discard_iteratorINSA_11use_defaultEEES6_EEENSH_IJSG_SG_EEES6_PlJNSB_9not_fun_tINSB_14equal_to_valueIdEEEEEEE10hipError_tPvRmT3_T4_T5_T6_T7_T9_mT8_P12ihipStream_tbDpT10_ENKUlT_T0_E_clISt17integral_constantIbLb0EES1B_EEDaS16_S17_EUlS16_E_NS1_11comp_targetILNS1_3genE10ELNS1_11target_archE1200ELNS1_3gpuE4ELNS1_3repE0EEENS1_30default_config_static_selectorELNS0_4arch9wavefront6targetE0EEEvT1_, .Lfunc_end1570-_ZN7rocprim17ROCPRIM_400000_NS6detail17trampoline_kernelINS0_14default_configENS1_25partition_config_selectorILNS1_17partition_subalgoE6EdNS0_10empty_typeEbEEZZNS1_14partition_implILS5_6ELb0ES3_mN6thrust23THRUST_200600_302600_NS6detail15normal_iteratorINSA_10device_ptrIdEEEEPS6_SG_NS0_5tupleIJNSA_16discard_iteratorINSA_11use_defaultEEES6_EEENSH_IJSG_SG_EEES6_PlJNSB_9not_fun_tINSB_14equal_to_valueIdEEEEEEE10hipError_tPvRmT3_T4_T5_T6_T7_T9_mT8_P12ihipStream_tbDpT10_ENKUlT_T0_E_clISt17integral_constantIbLb0EES1B_EEDaS16_S17_EUlS16_E_NS1_11comp_targetILNS1_3genE10ELNS1_11target_archE1200ELNS1_3gpuE4ELNS1_3repE0EEENS1_30default_config_static_selectorELNS0_4arch9wavefront6targetE0EEEvT1_
                                        ; -- End function
	.set _ZN7rocprim17ROCPRIM_400000_NS6detail17trampoline_kernelINS0_14default_configENS1_25partition_config_selectorILNS1_17partition_subalgoE6EdNS0_10empty_typeEbEEZZNS1_14partition_implILS5_6ELb0ES3_mN6thrust23THRUST_200600_302600_NS6detail15normal_iteratorINSA_10device_ptrIdEEEEPS6_SG_NS0_5tupleIJNSA_16discard_iteratorINSA_11use_defaultEEES6_EEENSH_IJSG_SG_EEES6_PlJNSB_9not_fun_tINSB_14equal_to_valueIdEEEEEEE10hipError_tPvRmT3_T4_T5_T6_T7_T9_mT8_P12ihipStream_tbDpT10_ENKUlT_T0_E_clISt17integral_constantIbLb0EES1B_EEDaS16_S17_EUlS16_E_NS1_11comp_targetILNS1_3genE10ELNS1_11target_archE1200ELNS1_3gpuE4ELNS1_3repE0EEENS1_30default_config_static_selectorELNS0_4arch9wavefront6targetE0EEEvT1_.num_vgpr, 45
	.set _ZN7rocprim17ROCPRIM_400000_NS6detail17trampoline_kernelINS0_14default_configENS1_25partition_config_selectorILNS1_17partition_subalgoE6EdNS0_10empty_typeEbEEZZNS1_14partition_implILS5_6ELb0ES3_mN6thrust23THRUST_200600_302600_NS6detail15normal_iteratorINSA_10device_ptrIdEEEEPS6_SG_NS0_5tupleIJNSA_16discard_iteratorINSA_11use_defaultEEES6_EEENSH_IJSG_SG_EEES6_PlJNSB_9not_fun_tINSB_14equal_to_valueIdEEEEEEE10hipError_tPvRmT3_T4_T5_T6_T7_T9_mT8_P12ihipStream_tbDpT10_ENKUlT_T0_E_clISt17integral_constantIbLb0EES1B_EEDaS16_S17_EUlS16_E_NS1_11comp_targetILNS1_3genE10ELNS1_11target_archE1200ELNS1_3gpuE4ELNS1_3repE0EEENS1_30default_config_static_selectorELNS0_4arch9wavefront6targetE0EEEvT1_.num_agpr, 0
	.set _ZN7rocprim17ROCPRIM_400000_NS6detail17trampoline_kernelINS0_14default_configENS1_25partition_config_selectorILNS1_17partition_subalgoE6EdNS0_10empty_typeEbEEZZNS1_14partition_implILS5_6ELb0ES3_mN6thrust23THRUST_200600_302600_NS6detail15normal_iteratorINSA_10device_ptrIdEEEEPS6_SG_NS0_5tupleIJNSA_16discard_iteratorINSA_11use_defaultEEES6_EEENSH_IJSG_SG_EEES6_PlJNSB_9not_fun_tINSB_14equal_to_valueIdEEEEEEE10hipError_tPvRmT3_T4_T5_T6_T7_T9_mT8_P12ihipStream_tbDpT10_ENKUlT_T0_E_clISt17integral_constantIbLb0EES1B_EEDaS16_S17_EUlS16_E_NS1_11comp_targetILNS1_3genE10ELNS1_11target_archE1200ELNS1_3gpuE4ELNS1_3repE0EEENS1_30default_config_static_selectorELNS0_4arch9wavefront6targetE0EEEvT1_.numbered_sgpr, 21
	.set _ZN7rocprim17ROCPRIM_400000_NS6detail17trampoline_kernelINS0_14default_configENS1_25partition_config_selectorILNS1_17partition_subalgoE6EdNS0_10empty_typeEbEEZZNS1_14partition_implILS5_6ELb0ES3_mN6thrust23THRUST_200600_302600_NS6detail15normal_iteratorINSA_10device_ptrIdEEEEPS6_SG_NS0_5tupleIJNSA_16discard_iteratorINSA_11use_defaultEEES6_EEENSH_IJSG_SG_EEES6_PlJNSB_9not_fun_tINSB_14equal_to_valueIdEEEEEEE10hipError_tPvRmT3_T4_T5_T6_T7_T9_mT8_P12ihipStream_tbDpT10_ENKUlT_T0_E_clISt17integral_constantIbLb0EES1B_EEDaS16_S17_EUlS16_E_NS1_11comp_targetILNS1_3genE10ELNS1_11target_archE1200ELNS1_3gpuE4ELNS1_3repE0EEENS1_30default_config_static_selectorELNS0_4arch9wavefront6targetE0EEEvT1_.num_named_barrier, 0
	.set _ZN7rocprim17ROCPRIM_400000_NS6detail17trampoline_kernelINS0_14default_configENS1_25partition_config_selectorILNS1_17partition_subalgoE6EdNS0_10empty_typeEbEEZZNS1_14partition_implILS5_6ELb0ES3_mN6thrust23THRUST_200600_302600_NS6detail15normal_iteratorINSA_10device_ptrIdEEEEPS6_SG_NS0_5tupleIJNSA_16discard_iteratorINSA_11use_defaultEEES6_EEENSH_IJSG_SG_EEES6_PlJNSB_9not_fun_tINSB_14equal_to_valueIdEEEEEEE10hipError_tPvRmT3_T4_T5_T6_T7_T9_mT8_P12ihipStream_tbDpT10_ENKUlT_T0_E_clISt17integral_constantIbLb0EES1B_EEDaS16_S17_EUlS16_E_NS1_11comp_targetILNS1_3genE10ELNS1_11target_archE1200ELNS1_3gpuE4ELNS1_3repE0EEENS1_30default_config_static_selectorELNS0_4arch9wavefront6targetE0EEEvT1_.private_seg_size, 0
	.set _ZN7rocprim17ROCPRIM_400000_NS6detail17trampoline_kernelINS0_14default_configENS1_25partition_config_selectorILNS1_17partition_subalgoE6EdNS0_10empty_typeEbEEZZNS1_14partition_implILS5_6ELb0ES3_mN6thrust23THRUST_200600_302600_NS6detail15normal_iteratorINSA_10device_ptrIdEEEEPS6_SG_NS0_5tupleIJNSA_16discard_iteratorINSA_11use_defaultEEES6_EEENSH_IJSG_SG_EEES6_PlJNSB_9not_fun_tINSB_14equal_to_valueIdEEEEEEE10hipError_tPvRmT3_T4_T5_T6_T7_T9_mT8_P12ihipStream_tbDpT10_ENKUlT_T0_E_clISt17integral_constantIbLb0EES1B_EEDaS16_S17_EUlS16_E_NS1_11comp_targetILNS1_3genE10ELNS1_11target_archE1200ELNS1_3gpuE4ELNS1_3repE0EEENS1_30default_config_static_selectorELNS0_4arch9wavefront6targetE0EEEvT1_.uses_vcc, 1
	.set _ZN7rocprim17ROCPRIM_400000_NS6detail17trampoline_kernelINS0_14default_configENS1_25partition_config_selectorILNS1_17partition_subalgoE6EdNS0_10empty_typeEbEEZZNS1_14partition_implILS5_6ELb0ES3_mN6thrust23THRUST_200600_302600_NS6detail15normal_iteratorINSA_10device_ptrIdEEEEPS6_SG_NS0_5tupleIJNSA_16discard_iteratorINSA_11use_defaultEEES6_EEENSH_IJSG_SG_EEES6_PlJNSB_9not_fun_tINSB_14equal_to_valueIdEEEEEEE10hipError_tPvRmT3_T4_T5_T6_T7_T9_mT8_P12ihipStream_tbDpT10_ENKUlT_T0_E_clISt17integral_constantIbLb0EES1B_EEDaS16_S17_EUlS16_E_NS1_11comp_targetILNS1_3genE10ELNS1_11target_archE1200ELNS1_3gpuE4ELNS1_3repE0EEENS1_30default_config_static_selectorELNS0_4arch9wavefront6targetE0EEEvT1_.uses_flat_scratch, 1
	.set _ZN7rocprim17ROCPRIM_400000_NS6detail17trampoline_kernelINS0_14default_configENS1_25partition_config_selectorILNS1_17partition_subalgoE6EdNS0_10empty_typeEbEEZZNS1_14partition_implILS5_6ELb0ES3_mN6thrust23THRUST_200600_302600_NS6detail15normal_iteratorINSA_10device_ptrIdEEEEPS6_SG_NS0_5tupleIJNSA_16discard_iteratorINSA_11use_defaultEEES6_EEENSH_IJSG_SG_EEES6_PlJNSB_9not_fun_tINSB_14equal_to_valueIdEEEEEEE10hipError_tPvRmT3_T4_T5_T6_T7_T9_mT8_P12ihipStream_tbDpT10_ENKUlT_T0_E_clISt17integral_constantIbLb0EES1B_EEDaS16_S17_EUlS16_E_NS1_11comp_targetILNS1_3genE10ELNS1_11target_archE1200ELNS1_3gpuE4ELNS1_3repE0EEENS1_30default_config_static_selectorELNS0_4arch9wavefront6targetE0EEEvT1_.has_dyn_sized_stack, 0
	.set _ZN7rocprim17ROCPRIM_400000_NS6detail17trampoline_kernelINS0_14default_configENS1_25partition_config_selectorILNS1_17partition_subalgoE6EdNS0_10empty_typeEbEEZZNS1_14partition_implILS5_6ELb0ES3_mN6thrust23THRUST_200600_302600_NS6detail15normal_iteratorINSA_10device_ptrIdEEEEPS6_SG_NS0_5tupleIJNSA_16discard_iteratorINSA_11use_defaultEEES6_EEENSH_IJSG_SG_EEES6_PlJNSB_9not_fun_tINSB_14equal_to_valueIdEEEEEEE10hipError_tPvRmT3_T4_T5_T6_T7_T9_mT8_P12ihipStream_tbDpT10_ENKUlT_T0_E_clISt17integral_constantIbLb0EES1B_EEDaS16_S17_EUlS16_E_NS1_11comp_targetILNS1_3genE10ELNS1_11target_archE1200ELNS1_3gpuE4ELNS1_3repE0EEENS1_30default_config_static_selectorELNS0_4arch9wavefront6targetE0EEEvT1_.has_recursion, 0
	.set _ZN7rocprim17ROCPRIM_400000_NS6detail17trampoline_kernelINS0_14default_configENS1_25partition_config_selectorILNS1_17partition_subalgoE6EdNS0_10empty_typeEbEEZZNS1_14partition_implILS5_6ELb0ES3_mN6thrust23THRUST_200600_302600_NS6detail15normal_iteratorINSA_10device_ptrIdEEEEPS6_SG_NS0_5tupleIJNSA_16discard_iteratorINSA_11use_defaultEEES6_EEENSH_IJSG_SG_EEES6_PlJNSB_9not_fun_tINSB_14equal_to_valueIdEEEEEEE10hipError_tPvRmT3_T4_T5_T6_T7_T9_mT8_P12ihipStream_tbDpT10_ENKUlT_T0_E_clISt17integral_constantIbLb0EES1B_EEDaS16_S17_EUlS16_E_NS1_11comp_targetILNS1_3genE10ELNS1_11target_archE1200ELNS1_3gpuE4ELNS1_3repE0EEENS1_30default_config_static_selectorELNS0_4arch9wavefront6targetE0EEEvT1_.has_indirect_call, 0
	.section	.AMDGPU.csdata,"",@progbits
; Kernel info:
; codeLenInByte = 5736
; TotalNumSgprs: 23
; NumVgprs: 45
; ScratchSize: 0
; MemoryBound: 0
; FloatMode: 240
; IeeeMode: 1
; LDSByteSize: 8464 bytes/workgroup (compile time only)
; SGPRBlocks: 0
; VGPRBlocks: 5
; NumSGPRsForWavesPerEU: 23
; NumVGPRsForWavesPerEU: 45
; Occupancy: 16
; WaveLimiterHint : 1
; COMPUTE_PGM_RSRC2:SCRATCH_EN: 0
; COMPUTE_PGM_RSRC2:USER_SGPR: 2
; COMPUTE_PGM_RSRC2:TRAP_HANDLER: 0
; COMPUTE_PGM_RSRC2:TGID_X_EN: 1
; COMPUTE_PGM_RSRC2:TGID_Y_EN: 0
; COMPUTE_PGM_RSRC2:TGID_Z_EN: 0
; COMPUTE_PGM_RSRC2:TIDIG_COMP_CNT: 0
	.section	.text._ZN7rocprim17ROCPRIM_400000_NS6detail17trampoline_kernelINS0_14default_configENS1_25partition_config_selectorILNS1_17partition_subalgoE6EdNS0_10empty_typeEbEEZZNS1_14partition_implILS5_6ELb0ES3_mN6thrust23THRUST_200600_302600_NS6detail15normal_iteratorINSA_10device_ptrIdEEEEPS6_SG_NS0_5tupleIJNSA_16discard_iteratorINSA_11use_defaultEEES6_EEENSH_IJSG_SG_EEES6_PlJNSB_9not_fun_tINSB_14equal_to_valueIdEEEEEEE10hipError_tPvRmT3_T4_T5_T6_T7_T9_mT8_P12ihipStream_tbDpT10_ENKUlT_T0_E_clISt17integral_constantIbLb0EES1B_EEDaS16_S17_EUlS16_E_NS1_11comp_targetILNS1_3genE9ELNS1_11target_archE1100ELNS1_3gpuE3ELNS1_3repE0EEENS1_30default_config_static_selectorELNS0_4arch9wavefront6targetE0EEEvT1_,"axG",@progbits,_ZN7rocprim17ROCPRIM_400000_NS6detail17trampoline_kernelINS0_14default_configENS1_25partition_config_selectorILNS1_17partition_subalgoE6EdNS0_10empty_typeEbEEZZNS1_14partition_implILS5_6ELb0ES3_mN6thrust23THRUST_200600_302600_NS6detail15normal_iteratorINSA_10device_ptrIdEEEEPS6_SG_NS0_5tupleIJNSA_16discard_iteratorINSA_11use_defaultEEES6_EEENSH_IJSG_SG_EEES6_PlJNSB_9not_fun_tINSB_14equal_to_valueIdEEEEEEE10hipError_tPvRmT3_T4_T5_T6_T7_T9_mT8_P12ihipStream_tbDpT10_ENKUlT_T0_E_clISt17integral_constantIbLb0EES1B_EEDaS16_S17_EUlS16_E_NS1_11comp_targetILNS1_3genE9ELNS1_11target_archE1100ELNS1_3gpuE3ELNS1_3repE0EEENS1_30default_config_static_selectorELNS0_4arch9wavefront6targetE0EEEvT1_,comdat
	.protected	_ZN7rocprim17ROCPRIM_400000_NS6detail17trampoline_kernelINS0_14default_configENS1_25partition_config_selectorILNS1_17partition_subalgoE6EdNS0_10empty_typeEbEEZZNS1_14partition_implILS5_6ELb0ES3_mN6thrust23THRUST_200600_302600_NS6detail15normal_iteratorINSA_10device_ptrIdEEEEPS6_SG_NS0_5tupleIJNSA_16discard_iteratorINSA_11use_defaultEEES6_EEENSH_IJSG_SG_EEES6_PlJNSB_9not_fun_tINSB_14equal_to_valueIdEEEEEEE10hipError_tPvRmT3_T4_T5_T6_T7_T9_mT8_P12ihipStream_tbDpT10_ENKUlT_T0_E_clISt17integral_constantIbLb0EES1B_EEDaS16_S17_EUlS16_E_NS1_11comp_targetILNS1_3genE9ELNS1_11target_archE1100ELNS1_3gpuE3ELNS1_3repE0EEENS1_30default_config_static_selectorELNS0_4arch9wavefront6targetE0EEEvT1_ ; -- Begin function _ZN7rocprim17ROCPRIM_400000_NS6detail17trampoline_kernelINS0_14default_configENS1_25partition_config_selectorILNS1_17partition_subalgoE6EdNS0_10empty_typeEbEEZZNS1_14partition_implILS5_6ELb0ES3_mN6thrust23THRUST_200600_302600_NS6detail15normal_iteratorINSA_10device_ptrIdEEEEPS6_SG_NS0_5tupleIJNSA_16discard_iteratorINSA_11use_defaultEEES6_EEENSH_IJSG_SG_EEES6_PlJNSB_9not_fun_tINSB_14equal_to_valueIdEEEEEEE10hipError_tPvRmT3_T4_T5_T6_T7_T9_mT8_P12ihipStream_tbDpT10_ENKUlT_T0_E_clISt17integral_constantIbLb0EES1B_EEDaS16_S17_EUlS16_E_NS1_11comp_targetILNS1_3genE9ELNS1_11target_archE1100ELNS1_3gpuE3ELNS1_3repE0EEENS1_30default_config_static_selectorELNS0_4arch9wavefront6targetE0EEEvT1_
	.globl	_ZN7rocprim17ROCPRIM_400000_NS6detail17trampoline_kernelINS0_14default_configENS1_25partition_config_selectorILNS1_17partition_subalgoE6EdNS0_10empty_typeEbEEZZNS1_14partition_implILS5_6ELb0ES3_mN6thrust23THRUST_200600_302600_NS6detail15normal_iteratorINSA_10device_ptrIdEEEEPS6_SG_NS0_5tupleIJNSA_16discard_iteratorINSA_11use_defaultEEES6_EEENSH_IJSG_SG_EEES6_PlJNSB_9not_fun_tINSB_14equal_to_valueIdEEEEEEE10hipError_tPvRmT3_T4_T5_T6_T7_T9_mT8_P12ihipStream_tbDpT10_ENKUlT_T0_E_clISt17integral_constantIbLb0EES1B_EEDaS16_S17_EUlS16_E_NS1_11comp_targetILNS1_3genE9ELNS1_11target_archE1100ELNS1_3gpuE3ELNS1_3repE0EEENS1_30default_config_static_selectorELNS0_4arch9wavefront6targetE0EEEvT1_
	.p2align	8
	.type	_ZN7rocprim17ROCPRIM_400000_NS6detail17trampoline_kernelINS0_14default_configENS1_25partition_config_selectorILNS1_17partition_subalgoE6EdNS0_10empty_typeEbEEZZNS1_14partition_implILS5_6ELb0ES3_mN6thrust23THRUST_200600_302600_NS6detail15normal_iteratorINSA_10device_ptrIdEEEEPS6_SG_NS0_5tupleIJNSA_16discard_iteratorINSA_11use_defaultEEES6_EEENSH_IJSG_SG_EEES6_PlJNSB_9not_fun_tINSB_14equal_to_valueIdEEEEEEE10hipError_tPvRmT3_T4_T5_T6_T7_T9_mT8_P12ihipStream_tbDpT10_ENKUlT_T0_E_clISt17integral_constantIbLb0EES1B_EEDaS16_S17_EUlS16_E_NS1_11comp_targetILNS1_3genE9ELNS1_11target_archE1100ELNS1_3gpuE3ELNS1_3repE0EEENS1_30default_config_static_selectorELNS0_4arch9wavefront6targetE0EEEvT1_,@function
_ZN7rocprim17ROCPRIM_400000_NS6detail17trampoline_kernelINS0_14default_configENS1_25partition_config_selectorILNS1_17partition_subalgoE6EdNS0_10empty_typeEbEEZZNS1_14partition_implILS5_6ELb0ES3_mN6thrust23THRUST_200600_302600_NS6detail15normal_iteratorINSA_10device_ptrIdEEEEPS6_SG_NS0_5tupleIJNSA_16discard_iteratorINSA_11use_defaultEEES6_EEENSH_IJSG_SG_EEES6_PlJNSB_9not_fun_tINSB_14equal_to_valueIdEEEEEEE10hipError_tPvRmT3_T4_T5_T6_T7_T9_mT8_P12ihipStream_tbDpT10_ENKUlT_T0_E_clISt17integral_constantIbLb0EES1B_EEDaS16_S17_EUlS16_E_NS1_11comp_targetILNS1_3genE9ELNS1_11target_archE1100ELNS1_3gpuE3ELNS1_3repE0EEENS1_30default_config_static_selectorELNS0_4arch9wavefront6targetE0EEEvT1_: ; @_ZN7rocprim17ROCPRIM_400000_NS6detail17trampoline_kernelINS0_14default_configENS1_25partition_config_selectorILNS1_17partition_subalgoE6EdNS0_10empty_typeEbEEZZNS1_14partition_implILS5_6ELb0ES3_mN6thrust23THRUST_200600_302600_NS6detail15normal_iteratorINSA_10device_ptrIdEEEEPS6_SG_NS0_5tupleIJNSA_16discard_iteratorINSA_11use_defaultEEES6_EEENSH_IJSG_SG_EEES6_PlJNSB_9not_fun_tINSB_14equal_to_valueIdEEEEEEE10hipError_tPvRmT3_T4_T5_T6_T7_T9_mT8_P12ihipStream_tbDpT10_ENKUlT_T0_E_clISt17integral_constantIbLb0EES1B_EEDaS16_S17_EUlS16_E_NS1_11comp_targetILNS1_3genE9ELNS1_11target_archE1100ELNS1_3gpuE3ELNS1_3repE0EEENS1_30default_config_static_selectorELNS0_4arch9wavefront6targetE0EEEvT1_
; %bb.0:
	.section	.rodata,"a",@progbits
	.p2align	6, 0x0
	.amdhsa_kernel _ZN7rocprim17ROCPRIM_400000_NS6detail17trampoline_kernelINS0_14default_configENS1_25partition_config_selectorILNS1_17partition_subalgoE6EdNS0_10empty_typeEbEEZZNS1_14partition_implILS5_6ELb0ES3_mN6thrust23THRUST_200600_302600_NS6detail15normal_iteratorINSA_10device_ptrIdEEEEPS6_SG_NS0_5tupleIJNSA_16discard_iteratorINSA_11use_defaultEEES6_EEENSH_IJSG_SG_EEES6_PlJNSB_9not_fun_tINSB_14equal_to_valueIdEEEEEEE10hipError_tPvRmT3_T4_T5_T6_T7_T9_mT8_P12ihipStream_tbDpT10_ENKUlT_T0_E_clISt17integral_constantIbLb0EES1B_EEDaS16_S17_EUlS16_E_NS1_11comp_targetILNS1_3genE9ELNS1_11target_archE1100ELNS1_3gpuE3ELNS1_3repE0EEENS1_30default_config_static_selectorELNS0_4arch9wavefront6targetE0EEEvT1_
		.amdhsa_group_segment_fixed_size 0
		.amdhsa_private_segment_fixed_size 0
		.amdhsa_kernarg_size 128
		.amdhsa_user_sgpr_count 2
		.amdhsa_user_sgpr_dispatch_ptr 0
		.amdhsa_user_sgpr_queue_ptr 0
		.amdhsa_user_sgpr_kernarg_segment_ptr 1
		.amdhsa_user_sgpr_dispatch_id 0
		.amdhsa_user_sgpr_private_segment_size 0
		.amdhsa_wavefront_size32 1
		.amdhsa_uses_dynamic_stack 0
		.amdhsa_enable_private_segment 0
		.amdhsa_system_sgpr_workgroup_id_x 1
		.amdhsa_system_sgpr_workgroup_id_y 0
		.amdhsa_system_sgpr_workgroup_id_z 0
		.amdhsa_system_sgpr_workgroup_info 0
		.amdhsa_system_vgpr_workitem_id 0
		.amdhsa_next_free_vgpr 1
		.amdhsa_next_free_sgpr 1
		.amdhsa_reserve_vcc 0
		.amdhsa_float_round_mode_32 0
		.amdhsa_float_round_mode_16_64 0
		.amdhsa_float_denorm_mode_32 3
		.amdhsa_float_denorm_mode_16_64 3
		.amdhsa_fp16_overflow 0
		.amdhsa_workgroup_processor_mode 1
		.amdhsa_memory_ordered 1
		.amdhsa_forward_progress 1
		.amdhsa_inst_pref_size 0
		.amdhsa_round_robin_scheduling 0
		.amdhsa_exception_fp_ieee_invalid_op 0
		.amdhsa_exception_fp_denorm_src 0
		.amdhsa_exception_fp_ieee_div_zero 0
		.amdhsa_exception_fp_ieee_overflow 0
		.amdhsa_exception_fp_ieee_underflow 0
		.amdhsa_exception_fp_ieee_inexact 0
		.amdhsa_exception_int_div_zero 0
	.end_amdhsa_kernel
	.section	.text._ZN7rocprim17ROCPRIM_400000_NS6detail17trampoline_kernelINS0_14default_configENS1_25partition_config_selectorILNS1_17partition_subalgoE6EdNS0_10empty_typeEbEEZZNS1_14partition_implILS5_6ELb0ES3_mN6thrust23THRUST_200600_302600_NS6detail15normal_iteratorINSA_10device_ptrIdEEEEPS6_SG_NS0_5tupleIJNSA_16discard_iteratorINSA_11use_defaultEEES6_EEENSH_IJSG_SG_EEES6_PlJNSB_9not_fun_tINSB_14equal_to_valueIdEEEEEEE10hipError_tPvRmT3_T4_T5_T6_T7_T9_mT8_P12ihipStream_tbDpT10_ENKUlT_T0_E_clISt17integral_constantIbLb0EES1B_EEDaS16_S17_EUlS16_E_NS1_11comp_targetILNS1_3genE9ELNS1_11target_archE1100ELNS1_3gpuE3ELNS1_3repE0EEENS1_30default_config_static_selectorELNS0_4arch9wavefront6targetE0EEEvT1_,"axG",@progbits,_ZN7rocprim17ROCPRIM_400000_NS6detail17trampoline_kernelINS0_14default_configENS1_25partition_config_selectorILNS1_17partition_subalgoE6EdNS0_10empty_typeEbEEZZNS1_14partition_implILS5_6ELb0ES3_mN6thrust23THRUST_200600_302600_NS6detail15normal_iteratorINSA_10device_ptrIdEEEEPS6_SG_NS0_5tupleIJNSA_16discard_iteratorINSA_11use_defaultEEES6_EEENSH_IJSG_SG_EEES6_PlJNSB_9not_fun_tINSB_14equal_to_valueIdEEEEEEE10hipError_tPvRmT3_T4_T5_T6_T7_T9_mT8_P12ihipStream_tbDpT10_ENKUlT_T0_E_clISt17integral_constantIbLb0EES1B_EEDaS16_S17_EUlS16_E_NS1_11comp_targetILNS1_3genE9ELNS1_11target_archE1100ELNS1_3gpuE3ELNS1_3repE0EEENS1_30default_config_static_selectorELNS0_4arch9wavefront6targetE0EEEvT1_,comdat
.Lfunc_end1571:
	.size	_ZN7rocprim17ROCPRIM_400000_NS6detail17trampoline_kernelINS0_14default_configENS1_25partition_config_selectorILNS1_17partition_subalgoE6EdNS0_10empty_typeEbEEZZNS1_14partition_implILS5_6ELb0ES3_mN6thrust23THRUST_200600_302600_NS6detail15normal_iteratorINSA_10device_ptrIdEEEEPS6_SG_NS0_5tupleIJNSA_16discard_iteratorINSA_11use_defaultEEES6_EEENSH_IJSG_SG_EEES6_PlJNSB_9not_fun_tINSB_14equal_to_valueIdEEEEEEE10hipError_tPvRmT3_T4_T5_T6_T7_T9_mT8_P12ihipStream_tbDpT10_ENKUlT_T0_E_clISt17integral_constantIbLb0EES1B_EEDaS16_S17_EUlS16_E_NS1_11comp_targetILNS1_3genE9ELNS1_11target_archE1100ELNS1_3gpuE3ELNS1_3repE0EEENS1_30default_config_static_selectorELNS0_4arch9wavefront6targetE0EEEvT1_, .Lfunc_end1571-_ZN7rocprim17ROCPRIM_400000_NS6detail17trampoline_kernelINS0_14default_configENS1_25partition_config_selectorILNS1_17partition_subalgoE6EdNS0_10empty_typeEbEEZZNS1_14partition_implILS5_6ELb0ES3_mN6thrust23THRUST_200600_302600_NS6detail15normal_iteratorINSA_10device_ptrIdEEEEPS6_SG_NS0_5tupleIJNSA_16discard_iteratorINSA_11use_defaultEEES6_EEENSH_IJSG_SG_EEES6_PlJNSB_9not_fun_tINSB_14equal_to_valueIdEEEEEEE10hipError_tPvRmT3_T4_T5_T6_T7_T9_mT8_P12ihipStream_tbDpT10_ENKUlT_T0_E_clISt17integral_constantIbLb0EES1B_EEDaS16_S17_EUlS16_E_NS1_11comp_targetILNS1_3genE9ELNS1_11target_archE1100ELNS1_3gpuE3ELNS1_3repE0EEENS1_30default_config_static_selectorELNS0_4arch9wavefront6targetE0EEEvT1_
                                        ; -- End function
	.set _ZN7rocprim17ROCPRIM_400000_NS6detail17trampoline_kernelINS0_14default_configENS1_25partition_config_selectorILNS1_17partition_subalgoE6EdNS0_10empty_typeEbEEZZNS1_14partition_implILS5_6ELb0ES3_mN6thrust23THRUST_200600_302600_NS6detail15normal_iteratorINSA_10device_ptrIdEEEEPS6_SG_NS0_5tupleIJNSA_16discard_iteratorINSA_11use_defaultEEES6_EEENSH_IJSG_SG_EEES6_PlJNSB_9not_fun_tINSB_14equal_to_valueIdEEEEEEE10hipError_tPvRmT3_T4_T5_T6_T7_T9_mT8_P12ihipStream_tbDpT10_ENKUlT_T0_E_clISt17integral_constantIbLb0EES1B_EEDaS16_S17_EUlS16_E_NS1_11comp_targetILNS1_3genE9ELNS1_11target_archE1100ELNS1_3gpuE3ELNS1_3repE0EEENS1_30default_config_static_selectorELNS0_4arch9wavefront6targetE0EEEvT1_.num_vgpr, 0
	.set _ZN7rocprim17ROCPRIM_400000_NS6detail17trampoline_kernelINS0_14default_configENS1_25partition_config_selectorILNS1_17partition_subalgoE6EdNS0_10empty_typeEbEEZZNS1_14partition_implILS5_6ELb0ES3_mN6thrust23THRUST_200600_302600_NS6detail15normal_iteratorINSA_10device_ptrIdEEEEPS6_SG_NS0_5tupleIJNSA_16discard_iteratorINSA_11use_defaultEEES6_EEENSH_IJSG_SG_EEES6_PlJNSB_9not_fun_tINSB_14equal_to_valueIdEEEEEEE10hipError_tPvRmT3_T4_T5_T6_T7_T9_mT8_P12ihipStream_tbDpT10_ENKUlT_T0_E_clISt17integral_constantIbLb0EES1B_EEDaS16_S17_EUlS16_E_NS1_11comp_targetILNS1_3genE9ELNS1_11target_archE1100ELNS1_3gpuE3ELNS1_3repE0EEENS1_30default_config_static_selectorELNS0_4arch9wavefront6targetE0EEEvT1_.num_agpr, 0
	.set _ZN7rocprim17ROCPRIM_400000_NS6detail17trampoline_kernelINS0_14default_configENS1_25partition_config_selectorILNS1_17partition_subalgoE6EdNS0_10empty_typeEbEEZZNS1_14partition_implILS5_6ELb0ES3_mN6thrust23THRUST_200600_302600_NS6detail15normal_iteratorINSA_10device_ptrIdEEEEPS6_SG_NS0_5tupleIJNSA_16discard_iteratorINSA_11use_defaultEEES6_EEENSH_IJSG_SG_EEES6_PlJNSB_9not_fun_tINSB_14equal_to_valueIdEEEEEEE10hipError_tPvRmT3_T4_T5_T6_T7_T9_mT8_P12ihipStream_tbDpT10_ENKUlT_T0_E_clISt17integral_constantIbLb0EES1B_EEDaS16_S17_EUlS16_E_NS1_11comp_targetILNS1_3genE9ELNS1_11target_archE1100ELNS1_3gpuE3ELNS1_3repE0EEENS1_30default_config_static_selectorELNS0_4arch9wavefront6targetE0EEEvT1_.numbered_sgpr, 0
	.set _ZN7rocprim17ROCPRIM_400000_NS6detail17trampoline_kernelINS0_14default_configENS1_25partition_config_selectorILNS1_17partition_subalgoE6EdNS0_10empty_typeEbEEZZNS1_14partition_implILS5_6ELb0ES3_mN6thrust23THRUST_200600_302600_NS6detail15normal_iteratorINSA_10device_ptrIdEEEEPS6_SG_NS0_5tupleIJNSA_16discard_iteratorINSA_11use_defaultEEES6_EEENSH_IJSG_SG_EEES6_PlJNSB_9not_fun_tINSB_14equal_to_valueIdEEEEEEE10hipError_tPvRmT3_T4_T5_T6_T7_T9_mT8_P12ihipStream_tbDpT10_ENKUlT_T0_E_clISt17integral_constantIbLb0EES1B_EEDaS16_S17_EUlS16_E_NS1_11comp_targetILNS1_3genE9ELNS1_11target_archE1100ELNS1_3gpuE3ELNS1_3repE0EEENS1_30default_config_static_selectorELNS0_4arch9wavefront6targetE0EEEvT1_.num_named_barrier, 0
	.set _ZN7rocprim17ROCPRIM_400000_NS6detail17trampoline_kernelINS0_14default_configENS1_25partition_config_selectorILNS1_17partition_subalgoE6EdNS0_10empty_typeEbEEZZNS1_14partition_implILS5_6ELb0ES3_mN6thrust23THRUST_200600_302600_NS6detail15normal_iteratorINSA_10device_ptrIdEEEEPS6_SG_NS0_5tupleIJNSA_16discard_iteratorINSA_11use_defaultEEES6_EEENSH_IJSG_SG_EEES6_PlJNSB_9not_fun_tINSB_14equal_to_valueIdEEEEEEE10hipError_tPvRmT3_T4_T5_T6_T7_T9_mT8_P12ihipStream_tbDpT10_ENKUlT_T0_E_clISt17integral_constantIbLb0EES1B_EEDaS16_S17_EUlS16_E_NS1_11comp_targetILNS1_3genE9ELNS1_11target_archE1100ELNS1_3gpuE3ELNS1_3repE0EEENS1_30default_config_static_selectorELNS0_4arch9wavefront6targetE0EEEvT1_.private_seg_size, 0
	.set _ZN7rocprim17ROCPRIM_400000_NS6detail17trampoline_kernelINS0_14default_configENS1_25partition_config_selectorILNS1_17partition_subalgoE6EdNS0_10empty_typeEbEEZZNS1_14partition_implILS5_6ELb0ES3_mN6thrust23THRUST_200600_302600_NS6detail15normal_iteratorINSA_10device_ptrIdEEEEPS6_SG_NS0_5tupleIJNSA_16discard_iteratorINSA_11use_defaultEEES6_EEENSH_IJSG_SG_EEES6_PlJNSB_9not_fun_tINSB_14equal_to_valueIdEEEEEEE10hipError_tPvRmT3_T4_T5_T6_T7_T9_mT8_P12ihipStream_tbDpT10_ENKUlT_T0_E_clISt17integral_constantIbLb0EES1B_EEDaS16_S17_EUlS16_E_NS1_11comp_targetILNS1_3genE9ELNS1_11target_archE1100ELNS1_3gpuE3ELNS1_3repE0EEENS1_30default_config_static_selectorELNS0_4arch9wavefront6targetE0EEEvT1_.uses_vcc, 0
	.set _ZN7rocprim17ROCPRIM_400000_NS6detail17trampoline_kernelINS0_14default_configENS1_25partition_config_selectorILNS1_17partition_subalgoE6EdNS0_10empty_typeEbEEZZNS1_14partition_implILS5_6ELb0ES3_mN6thrust23THRUST_200600_302600_NS6detail15normal_iteratorINSA_10device_ptrIdEEEEPS6_SG_NS0_5tupleIJNSA_16discard_iteratorINSA_11use_defaultEEES6_EEENSH_IJSG_SG_EEES6_PlJNSB_9not_fun_tINSB_14equal_to_valueIdEEEEEEE10hipError_tPvRmT3_T4_T5_T6_T7_T9_mT8_P12ihipStream_tbDpT10_ENKUlT_T0_E_clISt17integral_constantIbLb0EES1B_EEDaS16_S17_EUlS16_E_NS1_11comp_targetILNS1_3genE9ELNS1_11target_archE1100ELNS1_3gpuE3ELNS1_3repE0EEENS1_30default_config_static_selectorELNS0_4arch9wavefront6targetE0EEEvT1_.uses_flat_scratch, 0
	.set _ZN7rocprim17ROCPRIM_400000_NS6detail17trampoline_kernelINS0_14default_configENS1_25partition_config_selectorILNS1_17partition_subalgoE6EdNS0_10empty_typeEbEEZZNS1_14partition_implILS5_6ELb0ES3_mN6thrust23THRUST_200600_302600_NS6detail15normal_iteratorINSA_10device_ptrIdEEEEPS6_SG_NS0_5tupleIJNSA_16discard_iteratorINSA_11use_defaultEEES6_EEENSH_IJSG_SG_EEES6_PlJNSB_9not_fun_tINSB_14equal_to_valueIdEEEEEEE10hipError_tPvRmT3_T4_T5_T6_T7_T9_mT8_P12ihipStream_tbDpT10_ENKUlT_T0_E_clISt17integral_constantIbLb0EES1B_EEDaS16_S17_EUlS16_E_NS1_11comp_targetILNS1_3genE9ELNS1_11target_archE1100ELNS1_3gpuE3ELNS1_3repE0EEENS1_30default_config_static_selectorELNS0_4arch9wavefront6targetE0EEEvT1_.has_dyn_sized_stack, 0
	.set _ZN7rocprim17ROCPRIM_400000_NS6detail17trampoline_kernelINS0_14default_configENS1_25partition_config_selectorILNS1_17partition_subalgoE6EdNS0_10empty_typeEbEEZZNS1_14partition_implILS5_6ELb0ES3_mN6thrust23THRUST_200600_302600_NS6detail15normal_iteratorINSA_10device_ptrIdEEEEPS6_SG_NS0_5tupleIJNSA_16discard_iteratorINSA_11use_defaultEEES6_EEENSH_IJSG_SG_EEES6_PlJNSB_9not_fun_tINSB_14equal_to_valueIdEEEEEEE10hipError_tPvRmT3_T4_T5_T6_T7_T9_mT8_P12ihipStream_tbDpT10_ENKUlT_T0_E_clISt17integral_constantIbLb0EES1B_EEDaS16_S17_EUlS16_E_NS1_11comp_targetILNS1_3genE9ELNS1_11target_archE1100ELNS1_3gpuE3ELNS1_3repE0EEENS1_30default_config_static_selectorELNS0_4arch9wavefront6targetE0EEEvT1_.has_recursion, 0
	.set _ZN7rocprim17ROCPRIM_400000_NS6detail17trampoline_kernelINS0_14default_configENS1_25partition_config_selectorILNS1_17partition_subalgoE6EdNS0_10empty_typeEbEEZZNS1_14partition_implILS5_6ELb0ES3_mN6thrust23THRUST_200600_302600_NS6detail15normal_iteratorINSA_10device_ptrIdEEEEPS6_SG_NS0_5tupleIJNSA_16discard_iteratorINSA_11use_defaultEEES6_EEENSH_IJSG_SG_EEES6_PlJNSB_9not_fun_tINSB_14equal_to_valueIdEEEEEEE10hipError_tPvRmT3_T4_T5_T6_T7_T9_mT8_P12ihipStream_tbDpT10_ENKUlT_T0_E_clISt17integral_constantIbLb0EES1B_EEDaS16_S17_EUlS16_E_NS1_11comp_targetILNS1_3genE9ELNS1_11target_archE1100ELNS1_3gpuE3ELNS1_3repE0EEENS1_30default_config_static_selectorELNS0_4arch9wavefront6targetE0EEEvT1_.has_indirect_call, 0
	.section	.AMDGPU.csdata,"",@progbits
; Kernel info:
; codeLenInByte = 0
; TotalNumSgprs: 0
; NumVgprs: 0
; ScratchSize: 0
; MemoryBound: 0
; FloatMode: 240
; IeeeMode: 1
; LDSByteSize: 0 bytes/workgroup (compile time only)
; SGPRBlocks: 0
; VGPRBlocks: 0
; NumSGPRsForWavesPerEU: 1
; NumVGPRsForWavesPerEU: 1
; Occupancy: 16
; WaveLimiterHint : 0
; COMPUTE_PGM_RSRC2:SCRATCH_EN: 0
; COMPUTE_PGM_RSRC2:USER_SGPR: 2
; COMPUTE_PGM_RSRC2:TRAP_HANDLER: 0
; COMPUTE_PGM_RSRC2:TGID_X_EN: 1
; COMPUTE_PGM_RSRC2:TGID_Y_EN: 0
; COMPUTE_PGM_RSRC2:TGID_Z_EN: 0
; COMPUTE_PGM_RSRC2:TIDIG_COMP_CNT: 0
	.section	.text._ZN7rocprim17ROCPRIM_400000_NS6detail17trampoline_kernelINS0_14default_configENS1_25partition_config_selectorILNS1_17partition_subalgoE6EdNS0_10empty_typeEbEEZZNS1_14partition_implILS5_6ELb0ES3_mN6thrust23THRUST_200600_302600_NS6detail15normal_iteratorINSA_10device_ptrIdEEEEPS6_SG_NS0_5tupleIJNSA_16discard_iteratorINSA_11use_defaultEEES6_EEENSH_IJSG_SG_EEES6_PlJNSB_9not_fun_tINSB_14equal_to_valueIdEEEEEEE10hipError_tPvRmT3_T4_T5_T6_T7_T9_mT8_P12ihipStream_tbDpT10_ENKUlT_T0_E_clISt17integral_constantIbLb0EES1B_EEDaS16_S17_EUlS16_E_NS1_11comp_targetILNS1_3genE8ELNS1_11target_archE1030ELNS1_3gpuE2ELNS1_3repE0EEENS1_30default_config_static_selectorELNS0_4arch9wavefront6targetE0EEEvT1_,"axG",@progbits,_ZN7rocprim17ROCPRIM_400000_NS6detail17trampoline_kernelINS0_14default_configENS1_25partition_config_selectorILNS1_17partition_subalgoE6EdNS0_10empty_typeEbEEZZNS1_14partition_implILS5_6ELb0ES3_mN6thrust23THRUST_200600_302600_NS6detail15normal_iteratorINSA_10device_ptrIdEEEEPS6_SG_NS0_5tupleIJNSA_16discard_iteratorINSA_11use_defaultEEES6_EEENSH_IJSG_SG_EEES6_PlJNSB_9not_fun_tINSB_14equal_to_valueIdEEEEEEE10hipError_tPvRmT3_T4_T5_T6_T7_T9_mT8_P12ihipStream_tbDpT10_ENKUlT_T0_E_clISt17integral_constantIbLb0EES1B_EEDaS16_S17_EUlS16_E_NS1_11comp_targetILNS1_3genE8ELNS1_11target_archE1030ELNS1_3gpuE2ELNS1_3repE0EEENS1_30default_config_static_selectorELNS0_4arch9wavefront6targetE0EEEvT1_,comdat
	.protected	_ZN7rocprim17ROCPRIM_400000_NS6detail17trampoline_kernelINS0_14default_configENS1_25partition_config_selectorILNS1_17partition_subalgoE6EdNS0_10empty_typeEbEEZZNS1_14partition_implILS5_6ELb0ES3_mN6thrust23THRUST_200600_302600_NS6detail15normal_iteratorINSA_10device_ptrIdEEEEPS6_SG_NS0_5tupleIJNSA_16discard_iteratorINSA_11use_defaultEEES6_EEENSH_IJSG_SG_EEES6_PlJNSB_9not_fun_tINSB_14equal_to_valueIdEEEEEEE10hipError_tPvRmT3_T4_T5_T6_T7_T9_mT8_P12ihipStream_tbDpT10_ENKUlT_T0_E_clISt17integral_constantIbLb0EES1B_EEDaS16_S17_EUlS16_E_NS1_11comp_targetILNS1_3genE8ELNS1_11target_archE1030ELNS1_3gpuE2ELNS1_3repE0EEENS1_30default_config_static_selectorELNS0_4arch9wavefront6targetE0EEEvT1_ ; -- Begin function _ZN7rocprim17ROCPRIM_400000_NS6detail17trampoline_kernelINS0_14default_configENS1_25partition_config_selectorILNS1_17partition_subalgoE6EdNS0_10empty_typeEbEEZZNS1_14partition_implILS5_6ELb0ES3_mN6thrust23THRUST_200600_302600_NS6detail15normal_iteratorINSA_10device_ptrIdEEEEPS6_SG_NS0_5tupleIJNSA_16discard_iteratorINSA_11use_defaultEEES6_EEENSH_IJSG_SG_EEES6_PlJNSB_9not_fun_tINSB_14equal_to_valueIdEEEEEEE10hipError_tPvRmT3_T4_T5_T6_T7_T9_mT8_P12ihipStream_tbDpT10_ENKUlT_T0_E_clISt17integral_constantIbLb0EES1B_EEDaS16_S17_EUlS16_E_NS1_11comp_targetILNS1_3genE8ELNS1_11target_archE1030ELNS1_3gpuE2ELNS1_3repE0EEENS1_30default_config_static_selectorELNS0_4arch9wavefront6targetE0EEEvT1_
	.globl	_ZN7rocprim17ROCPRIM_400000_NS6detail17trampoline_kernelINS0_14default_configENS1_25partition_config_selectorILNS1_17partition_subalgoE6EdNS0_10empty_typeEbEEZZNS1_14partition_implILS5_6ELb0ES3_mN6thrust23THRUST_200600_302600_NS6detail15normal_iteratorINSA_10device_ptrIdEEEEPS6_SG_NS0_5tupleIJNSA_16discard_iteratorINSA_11use_defaultEEES6_EEENSH_IJSG_SG_EEES6_PlJNSB_9not_fun_tINSB_14equal_to_valueIdEEEEEEE10hipError_tPvRmT3_T4_T5_T6_T7_T9_mT8_P12ihipStream_tbDpT10_ENKUlT_T0_E_clISt17integral_constantIbLb0EES1B_EEDaS16_S17_EUlS16_E_NS1_11comp_targetILNS1_3genE8ELNS1_11target_archE1030ELNS1_3gpuE2ELNS1_3repE0EEENS1_30default_config_static_selectorELNS0_4arch9wavefront6targetE0EEEvT1_
	.p2align	8
	.type	_ZN7rocprim17ROCPRIM_400000_NS6detail17trampoline_kernelINS0_14default_configENS1_25partition_config_selectorILNS1_17partition_subalgoE6EdNS0_10empty_typeEbEEZZNS1_14partition_implILS5_6ELb0ES3_mN6thrust23THRUST_200600_302600_NS6detail15normal_iteratorINSA_10device_ptrIdEEEEPS6_SG_NS0_5tupleIJNSA_16discard_iteratorINSA_11use_defaultEEES6_EEENSH_IJSG_SG_EEES6_PlJNSB_9not_fun_tINSB_14equal_to_valueIdEEEEEEE10hipError_tPvRmT3_T4_T5_T6_T7_T9_mT8_P12ihipStream_tbDpT10_ENKUlT_T0_E_clISt17integral_constantIbLb0EES1B_EEDaS16_S17_EUlS16_E_NS1_11comp_targetILNS1_3genE8ELNS1_11target_archE1030ELNS1_3gpuE2ELNS1_3repE0EEENS1_30default_config_static_selectorELNS0_4arch9wavefront6targetE0EEEvT1_,@function
_ZN7rocprim17ROCPRIM_400000_NS6detail17trampoline_kernelINS0_14default_configENS1_25partition_config_selectorILNS1_17partition_subalgoE6EdNS0_10empty_typeEbEEZZNS1_14partition_implILS5_6ELb0ES3_mN6thrust23THRUST_200600_302600_NS6detail15normal_iteratorINSA_10device_ptrIdEEEEPS6_SG_NS0_5tupleIJNSA_16discard_iteratorINSA_11use_defaultEEES6_EEENSH_IJSG_SG_EEES6_PlJNSB_9not_fun_tINSB_14equal_to_valueIdEEEEEEE10hipError_tPvRmT3_T4_T5_T6_T7_T9_mT8_P12ihipStream_tbDpT10_ENKUlT_T0_E_clISt17integral_constantIbLb0EES1B_EEDaS16_S17_EUlS16_E_NS1_11comp_targetILNS1_3genE8ELNS1_11target_archE1030ELNS1_3gpuE2ELNS1_3repE0EEENS1_30default_config_static_selectorELNS0_4arch9wavefront6targetE0EEEvT1_: ; @_ZN7rocprim17ROCPRIM_400000_NS6detail17trampoline_kernelINS0_14default_configENS1_25partition_config_selectorILNS1_17partition_subalgoE6EdNS0_10empty_typeEbEEZZNS1_14partition_implILS5_6ELb0ES3_mN6thrust23THRUST_200600_302600_NS6detail15normal_iteratorINSA_10device_ptrIdEEEEPS6_SG_NS0_5tupleIJNSA_16discard_iteratorINSA_11use_defaultEEES6_EEENSH_IJSG_SG_EEES6_PlJNSB_9not_fun_tINSB_14equal_to_valueIdEEEEEEE10hipError_tPvRmT3_T4_T5_T6_T7_T9_mT8_P12ihipStream_tbDpT10_ENKUlT_T0_E_clISt17integral_constantIbLb0EES1B_EEDaS16_S17_EUlS16_E_NS1_11comp_targetILNS1_3genE8ELNS1_11target_archE1030ELNS1_3gpuE2ELNS1_3repE0EEENS1_30default_config_static_selectorELNS0_4arch9wavefront6targetE0EEEvT1_
; %bb.0:
	.section	.rodata,"a",@progbits
	.p2align	6, 0x0
	.amdhsa_kernel _ZN7rocprim17ROCPRIM_400000_NS6detail17trampoline_kernelINS0_14default_configENS1_25partition_config_selectorILNS1_17partition_subalgoE6EdNS0_10empty_typeEbEEZZNS1_14partition_implILS5_6ELb0ES3_mN6thrust23THRUST_200600_302600_NS6detail15normal_iteratorINSA_10device_ptrIdEEEEPS6_SG_NS0_5tupleIJNSA_16discard_iteratorINSA_11use_defaultEEES6_EEENSH_IJSG_SG_EEES6_PlJNSB_9not_fun_tINSB_14equal_to_valueIdEEEEEEE10hipError_tPvRmT3_T4_T5_T6_T7_T9_mT8_P12ihipStream_tbDpT10_ENKUlT_T0_E_clISt17integral_constantIbLb0EES1B_EEDaS16_S17_EUlS16_E_NS1_11comp_targetILNS1_3genE8ELNS1_11target_archE1030ELNS1_3gpuE2ELNS1_3repE0EEENS1_30default_config_static_selectorELNS0_4arch9wavefront6targetE0EEEvT1_
		.amdhsa_group_segment_fixed_size 0
		.amdhsa_private_segment_fixed_size 0
		.amdhsa_kernarg_size 128
		.amdhsa_user_sgpr_count 2
		.amdhsa_user_sgpr_dispatch_ptr 0
		.amdhsa_user_sgpr_queue_ptr 0
		.amdhsa_user_sgpr_kernarg_segment_ptr 1
		.amdhsa_user_sgpr_dispatch_id 0
		.amdhsa_user_sgpr_private_segment_size 0
		.amdhsa_wavefront_size32 1
		.amdhsa_uses_dynamic_stack 0
		.amdhsa_enable_private_segment 0
		.amdhsa_system_sgpr_workgroup_id_x 1
		.amdhsa_system_sgpr_workgroup_id_y 0
		.amdhsa_system_sgpr_workgroup_id_z 0
		.amdhsa_system_sgpr_workgroup_info 0
		.amdhsa_system_vgpr_workitem_id 0
		.amdhsa_next_free_vgpr 1
		.amdhsa_next_free_sgpr 1
		.amdhsa_reserve_vcc 0
		.amdhsa_float_round_mode_32 0
		.amdhsa_float_round_mode_16_64 0
		.amdhsa_float_denorm_mode_32 3
		.amdhsa_float_denorm_mode_16_64 3
		.amdhsa_fp16_overflow 0
		.amdhsa_workgroup_processor_mode 1
		.amdhsa_memory_ordered 1
		.amdhsa_forward_progress 1
		.amdhsa_inst_pref_size 0
		.amdhsa_round_robin_scheduling 0
		.amdhsa_exception_fp_ieee_invalid_op 0
		.amdhsa_exception_fp_denorm_src 0
		.amdhsa_exception_fp_ieee_div_zero 0
		.amdhsa_exception_fp_ieee_overflow 0
		.amdhsa_exception_fp_ieee_underflow 0
		.amdhsa_exception_fp_ieee_inexact 0
		.amdhsa_exception_int_div_zero 0
	.end_amdhsa_kernel
	.section	.text._ZN7rocprim17ROCPRIM_400000_NS6detail17trampoline_kernelINS0_14default_configENS1_25partition_config_selectorILNS1_17partition_subalgoE6EdNS0_10empty_typeEbEEZZNS1_14partition_implILS5_6ELb0ES3_mN6thrust23THRUST_200600_302600_NS6detail15normal_iteratorINSA_10device_ptrIdEEEEPS6_SG_NS0_5tupleIJNSA_16discard_iteratorINSA_11use_defaultEEES6_EEENSH_IJSG_SG_EEES6_PlJNSB_9not_fun_tINSB_14equal_to_valueIdEEEEEEE10hipError_tPvRmT3_T4_T5_T6_T7_T9_mT8_P12ihipStream_tbDpT10_ENKUlT_T0_E_clISt17integral_constantIbLb0EES1B_EEDaS16_S17_EUlS16_E_NS1_11comp_targetILNS1_3genE8ELNS1_11target_archE1030ELNS1_3gpuE2ELNS1_3repE0EEENS1_30default_config_static_selectorELNS0_4arch9wavefront6targetE0EEEvT1_,"axG",@progbits,_ZN7rocprim17ROCPRIM_400000_NS6detail17trampoline_kernelINS0_14default_configENS1_25partition_config_selectorILNS1_17partition_subalgoE6EdNS0_10empty_typeEbEEZZNS1_14partition_implILS5_6ELb0ES3_mN6thrust23THRUST_200600_302600_NS6detail15normal_iteratorINSA_10device_ptrIdEEEEPS6_SG_NS0_5tupleIJNSA_16discard_iteratorINSA_11use_defaultEEES6_EEENSH_IJSG_SG_EEES6_PlJNSB_9not_fun_tINSB_14equal_to_valueIdEEEEEEE10hipError_tPvRmT3_T4_T5_T6_T7_T9_mT8_P12ihipStream_tbDpT10_ENKUlT_T0_E_clISt17integral_constantIbLb0EES1B_EEDaS16_S17_EUlS16_E_NS1_11comp_targetILNS1_3genE8ELNS1_11target_archE1030ELNS1_3gpuE2ELNS1_3repE0EEENS1_30default_config_static_selectorELNS0_4arch9wavefront6targetE0EEEvT1_,comdat
.Lfunc_end1572:
	.size	_ZN7rocprim17ROCPRIM_400000_NS6detail17trampoline_kernelINS0_14default_configENS1_25partition_config_selectorILNS1_17partition_subalgoE6EdNS0_10empty_typeEbEEZZNS1_14partition_implILS5_6ELb0ES3_mN6thrust23THRUST_200600_302600_NS6detail15normal_iteratorINSA_10device_ptrIdEEEEPS6_SG_NS0_5tupleIJNSA_16discard_iteratorINSA_11use_defaultEEES6_EEENSH_IJSG_SG_EEES6_PlJNSB_9not_fun_tINSB_14equal_to_valueIdEEEEEEE10hipError_tPvRmT3_T4_T5_T6_T7_T9_mT8_P12ihipStream_tbDpT10_ENKUlT_T0_E_clISt17integral_constantIbLb0EES1B_EEDaS16_S17_EUlS16_E_NS1_11comp_targetILNS1_3genE8ELNS1_11target_archE1030ELNS1_3gpuE2ELNS1_3repE0EEENS1_30default_config_static_selectorELNS0_4arch9wavefront6targetE0EEEvT1_, .Lfunc_end1572-_ZN7rocprim17ROCPRIM_400000_NS6detail17trampoline_kernelINS0_14default_configENS1_25partition_config_selectorILNS1_17partition_subalgoE6EdNS0_10empty_typeEbEEZZNS1_14partition_implILS5_6ELb0ES3_mN6thrust23THRUST_200600_302600_NS6detail15normal_iteratorINSA_10device_ptrIdEEEEPS6_SG_NS0_5tupleIJNSA_16discard_iteratorINSA_11use_defaultEEES6_EEENSH_IJSG_SG_EEES6_PlJNSB_9not_fun_tINSB_14equal_to_valueIdEEEEEEE10hipError_tPvRmT3_T4_T5_T6_T7_T9_mT8_P12ihipStream_tbDpT10_ENKUlT_T0_E_clISt17integral_constantIbLb0EES1B_EEDaS16_S17_EUlS16_E_NS1_11comp_targetILNS1_3genE8ELNS1_11target_archE1030ELNS1_3gpuE2ELNS1_3repE0EEENS1_30default_config_static_selectorELNS0_4arch9wavefront6targetE0EEEvT1_
                                        ; -- End function
	.set _ZN7rocprim17ROCPRIM_400000_NS6detail17trampoline_kernelINS0_14default_configENS1_25partition_config_selectorILNS1_17partition_subalgoE6EdNS0_10empty_typeEbEEZZNS1_14partition_implILS5_6ELb0ES3_mN6thrust23THRUST_200600_302600_NS6detail15normal_iteratorINSA_10device_ptrIdEEEEPS6_SG_NS0_5tupleIJNSA_16discard_iteratorINSA_11use_defaultEEES6_EEENSH_IJSG_SG_EEES6_PlJNSB_9not_fun_tINSB_14equal_to_valueIdEEEEEEE10hipError_tPvRmT3_T4_T5_T6_T7_T9_mT8_P12ihipStream_tbDpT10_ENKUlT_T0_E_clISt17integral_constantIbLb0EES1B_EEDaS16_S17_EUlS16_E_NS1_11comp_targetILNS1_3genE8ELNS1_11target_archE1030ELNS1_3gpuE2ELNS1_3repE0EEENS1_30default_config_static_selectorELNS0_4arch9wavefront6targetE0EEEvT1_.num_vgpr, 0
	.set _ZN7rocprim17ROCPRIM_400000_NS6detail17trampoline_kernelINS0_14default_configENS1_25partition_config_selectorILNS1_17partition_subalgoE6EdNS0_10empty_typeEbEEZZNS1_14partition_implILS5_6ELb0ES3_mN6thrust23THRUST_200600_302600_NS6detail15normal_iteratorINSA_10device_ptrIdEEEEPS6_SG_NS0_5tupleIJNSA_16discard_iteratorINSA_11use_defaultEEES6_EEENSH_IJSG_SG_EEES6_PlJNSB_9not_fun_tINSB_14equal_to_valueIdEEEEEEE10hipError_tPvRmT3_T4_T5_T6_T7_T9_mT8_P12ihipStream_tbDpT10_ENKUlT_T0_E_clISt17integral_constantIbLb0EES1B_EEDaS16_S17_EUlS16_E_NS1_11comp_targetILNS1_3genE8ELNS1_11target_archE1030ELNS1_3gpuE2ELNS1_3repE0EEENS1_30default_config_static_selectorELNS0_4arch9wavefront6targetE0EEEvT1_.num_agpr, 0
	.set _ZN7rocprim17ROCPRIM_400000_NS6detail17trampoline_kernelINS0_14default_configENS1_25partition_config_selectorILNS1_17partition_subalgoE6EdNS0_10empty_typeEbEEZZNS1_14partition_implILS5_6ELb0ES3_mN6thrust23THRUST_200600_302600_NS6detail15normal_iteratorINSA_10device_ptrIdEEEEPS6_SG_NS0_5tupleIJNSA_16discard_iteratorINSA_11use_defaultEEES6_EEENSH_IJSG_SG_EEES6_PlJNSB_9not_fun_tINSB_14equal_to_valueIdEEEEEEE10hipError_tPvRmT3_T4_T5_T6_T7_T9_mT8_P12ihipStream_tbDpT10_ENKUlT_T0_E_clISt17integral_constantIbLb0EES1B_EEDaS16_S17_EUlS16_E_NS1_11comp_targetILNS1_3genE8ELNS1_11target_archE1030ELNS1_3gpuE2ELNS1_3repE0EEENS1_30default_config_static_selectorELNS0_4arch9wavefront6targetE0EEEvT1_.numbered_sgpr, 0
	.set _ZN7rocprim17ROCPRIM_400000_NS6detail17trampoline_kernelINS0_14default_configENS1_25partition_config_selectorILNS1_17partition_subalgoE6EdNS0_10empty_typeEbEEZZNS1_14partition_implILS5_6ELb0ES3_mN6thrust23THRUST_200600_302600_NS6detail15normal_iteratorINSA_10device_ptrIdEEEEPS6_SG_NS0_5tupleIJNSA_16discard_iteratorINSA_11use_defaultEEES6_EEENSH_IJSG_SG_EEES6_PlJNSB_9not_fun_tINSB_14equal_to_valueIdEEEEEEE10hipError_tPvRmT3_T4_T5_T6_T7_T9_mT8_P12ihipStream_tbDpT10_ENKUlT_T0_E_clISt17integral_constantIbLb0EES1B_EEDaS16_S17_EUlS16_E_NS1_11comp_targetILNS1_3genE8ELNS1_11target_archE1030ELNS1_3gpuE2ELNS1_3repE0EEENS1_30default_config_static_selectorELNS0_4arch9wavefront6targetE0EEEvT1_.num_named_barrier, 0
	.set _ZN7rocprim17ROCPRIM_400000_NS6detail17trampoline_kernelINS0_14default_configENS1_25partition_config_selectorILNS1_17partition_subalgoE6EdNS0_10empty_typeEbEEZZNS1_14partition_implILS5_6ELb0ES3_mN6thrust23THRUST_200600_302600_NS6detail15normal_iteratorINSA_10device_ptrIdEEEEPS6_SG_NS0_5tupleIJNSA_16discard_iteratorINSA_11use_defaultEEES6_EEENSH_IJSG_SG_EEES6_PlJNSB_9not_fun_tINSB_14equal_to_valueIdEEEEEEE10hipError_tPvRmT3_T4_T5_T6_T7_T9_mT8_P12ihipStream_tbDpT10_ENKUlT_T0_E_clISt17integral_constantIbLb0EES1B_EEDaS16_S17_EUlS16_E_NS1_11comp_targetILNS1_3genE8ELNS1_11target_archE1030ELNS1_3gpuE2ELNS1_3repE0EEENS1_30default_config_static_selectorELNS0_4arch9wavefront6targetE0EEEvT1_.private_seg_size, 0
	.set _ZN7rocprim17ROCPRIM_400000_NS6detail17trampoline_kernelINS0_14default_configENS1_25partition_config_selectorILNS1_17partition_subalgoE6EdNS0_10empty_typeEbEEZZNS1_14partition_implILS5_6ELb0ES3_mN6thrust23THRUST_200600_302600_NS6detail15normal_iteratorINSA_10device_ptrIdEEEEPS6_SG_NS0_5tupleIJNSA_16discard_iteratorINSA_11use_defaultEEES6_EEENSH_IJSG_SG_EEES6_PlJNSB_9not_fun_tINSB_14equal_to_valueIdEEEEEEE10hipError_tPvRmT3_T4_T5_T6_T7_T9_mT8_P12ihipStream_tbDpT10_ENKUlT_T0_E_clISt17integral_constantIbLb0EES1B_EEDaS16_S17_EUlS16_E_NS1_11comp_targetILNS1_3genE8ELNS1_11target_archE1030ELNS1_3gpuE2ELNS1_3repE0EEENS1_30default_config_static_selectorELNS0_4arch9wavefront6targetE0EEEvT1_.uses_vcc, 0
	.set _ZN7rocprim17ROCPRIM_400000_NS6detail17trampoline_kernelINS0_14default_configENS1_25partition_config_selectorILNS1_17partition_subalgoE6EdNS0_10empty_typeEbEEZZNS1_14partition_implILS5_6ELb0ES3_mN6thrust23THRUST_200600_302600_NS6detail15normal_iteratorINSA_10device_ptrIdEEEEPS6_SG_NS0_5tupleIJNSA_16discard_iteratorINSA_11use_defaultEEES6_EEENSH_IJSG_SG_EEES6_PlJNSB_9not_fun_tINSB_14equal_to_valueIdEEEEEEE10hipError_tPvRmT3_T4_T5_T6_T7_T9_mT8_P12ihipStream_tbDpT10_ENKUlT_T0_E_clISt17integral_constantIbLb0EES1B_EEDaS16_S17_EUlS16_E_NS1_11comp_targetILNS1_3genE8ELNS1_11target_archE1030ELNS1_3gpuE2ELNS1_3repE0EEENS1_30default_config_static_selectorELNS0_4arch9wavefront6targetE0EEEvT1_.uses_flat_scratch, 0
	.set _ZN7rocprim17ROCPRIM_400000_NS6detail17trampoline_kernelINS0_14default_configENS1_25partition_config_selectorILNS1_17partition_subalgoE6EdNS0_10empty_typeEbEEZZNS1_14partition_implILS5_6ELb0ES3_mN6thrust23THRUST_200600_302600_NS6detail15normal_iteratorINSA_10device_ptrIdEEEEPS6_SG_NS0_5tupleIJNSA_16discard_iteratorINSA_11use_defaultEEES6_EEENSH_IJSG_SG_EEES6_PlJNSB_9not_fun_tINSB_14equal_to_valueIdEEEEEEE10hipError_tPvRmT3_T4_T5_T6_T7_T9_mT8_P12ihipStream_tbDpT10_ENKUlT_T0_E_clISt17integral_constantIbLb0EES1B_EEDaS16_S17_EUlS16_E_NS1_11comp_targetILNS1_3genE8ELNS1_11target_archE1030ELNS1_3gpuE2ELNS1_3repE0EEENS1_30default_config_static_selectorELNS0_4arch9wavefront6targetE0EEEvT1_.has_dyn_sized_stack, 0
	.set _ZN7rocprim17ROCPRIM_400000_NS6detail17trampoline_kernelINS0_14default_configENS1_25partition_config_selectorILNS1_17partition_subalgoE6EdNS0_10empty_typeEbEEZZNS1_14partition_implILS5_6ELb0ES3_mN6thrust23THRUST_200600_302600_NS6detail15normal_iteratorINSA_10device_ptrIdEEEEPS6_SG_NS0_5tupleIJNSA_16discard_iteratorINSA_11use_defaultEEES6_EEENSH_IJSG_SG_EEES6_PlJNSB_9not_fun_tINSB_14equal_to_valueIdEEEEEEE10hipError_tPvRmT3_T4_T5_T6_T7_T9_mT8_P12ihipStream_tbDpT10_ENKUlT_T0_E_clISt17integral_constantIbLb0EES1B_EEDaS16_S17_EUlS16_E_NS1_11comp_targetILNS1_3genE8ELNS1_11target_archE1030ELNS1_3gpuE2ELNS1_3repE0EEENS1_30default_config_static_selectorELNS0_4arch9wavefront6targetE0EEEvT1_.has_recursion, 0
	.set _ZN7rocprim17ROCPRIM_400000_NS6detail17trampoline_kernelINS0_14default_configENS1_25partition_config_selectorILNS1_17partition_subalgoE6EdNS0_10empty_typeEbEEZZNS1_14partition_implILS5_6ELb0ES3_mN6thrust23THRUST_200600_302600_NS6detail15normal_iteratorINSA_10device_ptrIdEEEEPS6_SG_NS0_5tupleIJNSA_16discard_iteratorINSA_11use_defaultEEES6_EEENSH_IJSG_SG_EEES6_PlJNSB_9not_fun_tINSB_14equal_to_valueIdEEEEEEE10hipError_tPvRmT3_T4_T5_T6_T7_T9_mT8_P12ihipStream_tbDpT10_ENKUlT_T0_E_clISt17integral_constantIbLb0EES1B_EEDaS16_S17_EUlS16_E_NS1_11comp_targetILNS1_3genE8ELNS1_11target_archE1030ELNS1_3gpuE2ELNS1_3repE0EEENS1_30default_config_static_selectorELNS0_4arch9wavefront6targetE0EEEvT1_.has_indirect_call, 0
	.section	.AMDGPU.csdata,"",@progbits
; Kernel info:
; codeLenInByte = 0
; TotalNumSgprs: 0
; NumVgprs: 0
; ScratchSize: 0
; MemoryBound: 0
; FloatMode: 240
; IeeeMode: 1
; LDSByteSize: 0 bytes/workgroup (compile time only)
; SGPRBlocks: 0
; VGPRBlocks: 0
; NumSGPRsForWavesPerEU: 1
; NumVGPRsForWavesPerEU: 1
; Occupancy: 16
; WaveLimiterHint : 0
; COMPUTE_PGM_RSRC2:SCRATCH_EN: 0
; COMPUTE_PGM_RSRC2:USER_SGPR: 2
; COMPUTE_PGM_RSRC2:TRAP_HANDLER: 0
; COMPUTE_PGM_RSRC2:TGID_X_EN: 1
; COMPUTE_PGM_RSRC2:TGID_Y_EN: 0
; COMPUTE_PGM_RSRC2:TGID_Z_EN: 0
; COMPUTE_PGM_RSRC2:TIDIG_COMP_CNT: 0
	.section	.text._ZN7rocprim17ROCPRIM_400000_NS6detail17trampoline_kernelINS0_14default_configENS1_25partition_config_selectorILNS1_17partition_subalgoE6EdNS0_10empty_typeEbEEZZNS1_14partition_implILS5_6ELb0ES3_mN6thrust23THRUST_200600_302600_NS6detail15normal_iteratorINSA_10device_ptrIdEEEEPS6_SG_NS0_5tupleIJNSA_16discard_iteratorINSA_11use_defaultEEES6_EEENSH_IJSG_SG_EEES6_PlJNSB_9not_fun_tINSB_14equal_to_valueIdEEEEEEE10hipError_tPvRmT3_T4_T5_T6_T7_T9_mT8_P12ihipStream_tbDpT10_ENKUlT_T0_E_clISt17integral_constantIbLb1EES1B_EEDaS16_S17_EUlS16_E_NS1_11comp_targetILNS1_3genE0ELNS1_11target_archE4294967295ELNS1_3gpuE0ELNS1_3repE0EEENS1_30default_config_static_selectorELNS0_4arch9wavefront6targetE0EEEvT1_,"axG",@progbits,_ZN7rocprim17ROCPRIM_400000_NS6detail17trampoline_kernelINS0_14default_configENS1_25partition_config_selectorILNS1_17partition_subalgoE6EdNS0_10empty_typeEbEEZZNS1_14partition_implILS5_6ELb0ES3_mN6thrust23THRUST_200600_302600_NS6detail15normal_iteratorINSA_10device_ptrIdEEEEPS6_SG_NS0_5tupleIJNSA_16discard_iteratorINSA_11use_defaultEEES6_EEENSH_IJSG_SG_EEES6_PlJNSB_9not_fun_tINSB_14equal_to_valueIdEEEEEEE10hipError_tPvRmT3_T4_T5_T6_T7_T9_mT8_P12ihipStream_tbDpT10_ENKUlT_T0_E_clISt17integral_constantIbLb1EES1B_EEDaS16_S17_EUlS16_E_NS1_11comp_targetILNS1_3genE0ELNS1_11target_archE4294967295ELNS1_3gpuE0ELNS1_3repE0EEENS1_30default_config_static_selectorELNS0_4arch9wavefront6targetE0EEEvT1_,comdat
	.protected	_ZN7rocprim17ROCPRIM_400000_NS6detail17trampoline_kernelINS0_14default_configENS1_25partition_config_selectorILNS1_17partition_subalgoE6EdNS0_10empty_typeEbEEZZNS1_14partition_implILS5_6ELb0ES3_mN6thrust23THRUST_200600_302600_NS6detail15normal_iteratorINSA_10device_ptrIdEEEEPS6_SG_NS0_5tupleIJNSA_16discard_iteratorINSA_11use_defaultEEES6_EEENSH_IJSG_SG_EEES6_PlJNSB_9not_fun_tINSB_14equal_to_valueIdEEEEEEE10hipError_tPvRmT3_T4_T5_T6_T7_T9_mT8_P12ihipStream_tbDpT10_ENKUlT_T0_E_clISt17integral_constantIbLb1EES1B_EEDaS16_S17_EUlS16_E_NS1_11comp_targetILNS1_3genE0ELNS1_11target_archE4294967295ELNS1_3gpuE0ELNS1_3repE0EEENS1_30default_config_static_selectorELNS0_4arch9wavefront6targetE0EEEvT1_ ; -- Begin function _ZN7rocprim17ROCPRIM_400000_NS6detail17trampoline_kernelINS0_14default_configENS1_25partition_config_selectorILNS1_17partition_subalgoE6EdNS0_10empty_typeEbEEZZNS1_14partition_implILS5_6ELb0ES3_mN6thrust23THRUST_200600_302600_NS6detail15normal_iteratorINSA_10device_ptrIdEEEEPS6_SG_NS0_5tupleIJNSA_16discard_iteratorINSA_11use_defaultEEES6_EEENSH_IJSG_SG_EEES6_PlJNSB_9not_fun_tINSB_14equal_to_valueIdEEEEEEE10hipError_tPvRmT3_T4_T5_T6_T7_T9_mT8_P12ihipStream_tbDpT10_ENKUlT_T0_E_clISt17integral_constantIbLb1EES1B_EEDaS16_S17_EUlS16_E_NS1_11comp_targetILNS1_3genE0ELNS1_11target_archE4294967295ELNS1_3gpuE0ELNS1_3repE0EEENS1_30default_config_static_selectorELNS0_4arch9wavefront6targetE0EEEvT1_
	.globl	_ZN7rocprim17ROCPRIM_400000_NS6detail17trampoline_kernelINS0_14default_configENS1_25partition_config_selectorILNS1_17partition_subalgoE6EdNS0_10empty_typeEbEEZZNS1_14partition_implILS5_6ELb0ES3_mN6thrust23THRUST_200600_302600_NS6detail15normal_iteratorINSA_10device_ptrIdEEEEPS6_SG_NS0_5tupleIJNSA_16discard_iteratorINSA_11use_defaultEEES6_EEENSH_IJSG_SG_EEES6_PlJNSB_9not_fun_tINSB_14equal_to_valueIdEEEEEEE10hipError_tPvRmT3_T4_T5_T6_T7_T9_mT8_P12ihipStream_tbDpT10_ENKUlT_T0_E_clISt17integral_constantIbLb1EES1B_EEDaS16_S17_EUlS16_E_NS1_11comp_targetILNS1_3genE0ELNS1_11target_archE4294967295ELNS1_3gpuE0ELNS1_3repE0EEENS1_30default_config_static_selectorELNS0_4arch9wavefront6targetE0EEEvT1_
	.p2align	8
	.type	_ZN7rocprim17ROCPRIM_400000_NS6detail17trampoline_kernelINS0_14default_configENS1_25partition_config_selectorILNS1_17partition_subalgoE6EdNS0_10empty_typeEbEEZZNS1_14partition_implILS5_6ELb0ES3_mN6thrust23THRUST_200600_302600_NS6detail15normal_iteratorINSA_10device_ptrIdEEEEPS6_SG_NS0_5tupleIJNSA_16discard_iteratorINSA_11use_defaultEEES6_EEENSH_IJSG_SG_EEES6_PlJNSB_9not_fun_tINSB_14equal_to_valueIdEEEEEEE10hipError_tPvRmT3_T4_T5_T6_T7_T9_mT8_P12ihipStream_tbDpT10_ENKUlT_T0_E_clISt17integral_constantIbLb1EES1B_EEDaS16_S17_EUlS16_E_NS1_11comp_targetILNS1_3genE0ELNS1_11target_archE4294967295ELNS1_3gpuE0ELNS1_3repE0EEENS1_30default_config_static_selectorELNS0_4arch9wavefront6targetE0EEEvT1_,@function
_ZN7rocprim17ROCPRIM_400000_NS6detail17trampoline_kernelINS0_14default_configENS1_25partition_config_selectorILNS1_17partition_subalgoE6EdNS0_10empty_typeEbEEZZNS1_14partition_implILS5_6ELb0ES3_mN6thrust23THRUST_200600_302600_NS6detail15normal_iteratorINSA_10device_ptrIdEEEEPS6_SG_NS0_5tupleIJNSA_16discard_iteratorINSA_11use_defaultEEES6_EEENSH_IJSG_SG_EEES6_PlJNSB_9not_fun_tINSB_14equal_to_valueIdEEEEEEE10hipError_tPvRmT3_T4_T5_T6_T7_T9_mT8_P12ihipStream_tbDpT10_ENKUlT_T0_E_clISt17integral_constantIbLb1EES1B_EEDaS16_S17_EUlS16_E_NS1_11comp_targetILNS1_3genE0ELNS1_11target_archE4294967295ELNS1_3gpuE0ELNS1_3repE0EEENS1_30default_config_static_selectorELNS0_4arch9wavefront6targetE0EEEvT1_: ; @_ZN7rocprim17ROCPRIM_400000_NS6detail17trampoline_kernelINS0_14default_configENS1_25partition_config_selectorILNS1_17partition_subalgoE6EdNS0_10empty_typeEbEEZZNS1_14partition_implILS5_6ELb0ES3_mN6thrust23THRUST_200600_302600_NS6detail15normal_iteratorINSA_10device_ptrIdEEEEPS6_SG_NS0_5tupleIJNSA_16discard_iteratorINSA_11use_defaultEEES6_EEENSH_IJSG_SG_EEES6_PlJNSB_9not_fun_tINSB_14equal_to_valueIdEEEEEEE10hipError_tPvRmT3_T4_T5_T6_T7_T9_mT8_P12ihipStream_tbDpT10_ENKUlT_T0_E_clISt17integral_constantIbLb1EES1B_EEDaS16_S17_EUlS16_E_NS1_11comp_targetILNS1_3genE0ELNS1_11target_archE4294967295ELNS1_3gpuE0ELNS1_3repE0EEENS1_30default_config_static_selectorELNS0_4arch9wavefront6targetE0EEEvT1_
; %bb.0:
	.section	.rodata,"a",@progbits
	.p2align	6, 0x0
	.amdhsa_kernel _ZN7rocprim17ROCPRIM_400000_NS6detail17trampoline_kernelINS0_14default_configENS1_25partition_config_selectorILNS1_17partition_subalgoE6EdNS0_10empty_typeEbEEZZNS1_14partition_implILS5_6ELb0ES3_mN6thrust23THRUST_200600_302600_NS6detail15normal_iteratorINSA_10device_ptrIdEEEEPS6_SG_NS0_5tupleIJNSA_16discard_iteratorINSA_11use_defaultEEES6_EEENSH_IJSG_SG_EEES6_PlJNSB_9not_fun_tINSB_14equal_to_valueIdEEEEEEE10hipError_tPvRmT3_T4_T5_T6_T7_T9_mT8_P12ihipStream_tbDpT10_ENKUlT_T0_E_clISt17integral_constantIbLb1EES1B_EEDaS16_S17_EUlS16_E_NS1_11comp_targetILNS1_3genE0ELNS1_11target_archE4294967295ELNS1_3gpuE0ELNS1_3repE0EEENS1_30default_config_static_selectorELNS0_4arch9wavefront6targetE0EEEvT1_
		.amdhsa_group_segment_fixed_size 0
		.amdhsa_private_segment_fixed_size 0
		.amdhsa_kernarg_size 136
		.amdhsa_user_sgpr_count 2
		.amdhsa_user_sgpr_dispatch_ptr 0
		.amdhsa_user_sgpr_queue_ptr 0
		.amdhsa_user_sgpr_kernarg_segment_ptr 1
		.amdhsa_user_sgpr_dispatch_id 0
		.amdhsa_user_sgpr_private_segment_size 0
		.amdhsa_wavefront_size32 1
		.amdhsa_uses_dynamic_stack 0
		.amdhsa_enable_private_segment 0
		.amdhsa_system_sgpr_workgroup_id_x 1
		.amdhsa_system_sgpr_workgroup_id_y 0
		.amdhsa_system_sgpr_workgroup_id_z 0
		.amdhsa_system_sgpr_workgroup_info 0
		.amdhsa_system_vgpr_workitem_id 0
		.amdhsa_next_free_vgpr 1
		.amdhsa_next_free_sgpr 1
		.amdhsa_reserve_vcc 0
		.amdhsa_float_round_mode_32 0
		.amdhsa_float_round_mode_16_64 0
		.amdhsa_float_denorm_mode_32 3
		.amdhsa_float_denorm_mode_16_64 3
		.amdhsa_fp16_overflow 0
		.amdhsa_workgroup_processor_mode 1
		.amdhsa_memory_ordered 1
		.amdhsa_forward_progress 1
		.amdhsa_inst_pref_size 0
		.amdhsa_round_robin_scheduling 0
		.amdhsa_exception_fp_ieee_invalid_op 0
		.amdhsa_exception_fp_denorm_src 0
		.amdhsa_exception_fp_ieee_div_zero 0
		.amdhsa_exception_fp_ieee_overflow 0
		.amdhsa_exception_fp_ieee_underflow 0
		.amdhsa_exception_fp_ieee_inexact 0
		.amdhsa_exception_int_div_zero 0
	.end_amdhsa_kernel
	.section	.text._ZN7rocprim17ROCPRIM_400000_NS6detail17trampoline_kernelINS0_14default_configENS1_25partition_config_selectorILNS1_17partition_subalgoE6EdNS0_10empty_typeEbEEZZNS1_14partition_implILS5_6ELb0ES3_mN6thrust23THRUST_200600_302600_NS6detail15normal_iteratorINSA_10device_ptrIdEEEEPS6_SG_NS0_5tupleIJNSA_16discard_iteratorINSA_11use_defaultEEES6_EEENSH_IJSG_SG_EEES6_PlJNSB_9not_fun_tINSB_14equal_to_valueIdEEEEEEE10hipError_tPvRmT3_T4_T5_T6_T7_T9_mT8_P12ihipStream_tbDpT10_ENKUlT_T0_E_clISt17integral_constantIbLb1EES1B_EEDaS16_S17_EUlS16_E_NS1_11comp_targetILNS1_3genE0ELNS1_11target_archE4294967295ELNS1_3gpuE0ELNS1_3repE0EEENS1_30default_config_static_selectorELNS0_4arch9wavefront6targetE0EEEvT1_,"axG",@progbits,_ZN7rocprim17ROCPRIM_400000_NS6detail17trampoline_kernelINS0_14default_configENS1_25partition_config_selectorILNS1_17partition_subalgoE6EdNS0_10empty_typeEbEEZZNS1_14partition_implILS5_6ELb0ES3_mN6thrust23THRUST_200600_302600_NS6detail15normal_iteratorINSA_10device_ptrIdEEEEPS6_SG_NS0_5tupleIJNSA_16discard_iteratorINSA_11use_defaultEEES6_EEENSH_IJSG_SG_EEES6_PlJNSB_9not_fun_tINSB_14equal_to_valueIdEEEEEEE10hipError_tPvRmT3_T4_T5_T6_T7_T9_mT8_P12ihipStream_tbDpT10_ENKUlT_T0_E_clISt17integral_constantIbLb1EES1B_EEDaS16_S17_EUlS16_E_NS1_11comp_targetILNS1_3genE0ELNS1_11target_archE4294967295ELNS1_3gpuE0ELNS1_3repE0EEENS1_30default_config_static_selectorELNS0_4arch9wavefront6targetE0EEEvT1_,comdat
.Lfunc_end1573:
	.size	_ZN7rocprim17ROCPRIM_400000_NS6detail17trampoline_kernelINS0_14default_configENS1_25partition_config_selectorILNS1_17partition_subalgoE6EdNS0_10empty_typeEbEEZZNS1_14partition_implILS5_6ELb0ES3_mN6thrust23THRUST_200600_302600_NS6detail15normal_iteratorINSA_10device_ptrIdEEEEPS6_SG_NS0_5tupleIJNSA_16discard_iteratorINSA_11use_defaultEEES6_EEENSH_IJSG_SG_EEES6_PlJNSB_9not_fun_tINSB_14equal_to_valueIdEEEEEEE10hipError_tPvRmT3_T4_T5_T6_T7_T9_mT8_P12ihipStream_tbDpT10_ENKUlT_T0_E_clISt17integral_constantIbLb1EES1B_EEDaS16_S17_EUlS16_E_NS1_11comp_targetILNS1_3genE0ELNS1_11target_archE4294967295ELNS1_3gpuE0ELNS1_3repE0EEENS1_30default_config_static_selectorELNS0_4arch9wavefront6targetE0EEEvT1_, .Lfunc_end1573-_ZN7rocprim17ROCPRIM_400000_NS6detail17trampoline_kernelINS0_14default_configENS1_25partition_config_selectorILNS1_17partition_subalgoE6EdNS0_10empty_typeEbEEZZNS1_14partition_implILS5_6ELb0ES3_mN6thrust23THRUST_200600_302600_NS6detail15normal_iteratorINSA_10device_ptrIdEEEEPS6_SG_NS0_5tupleIJNSA_16discard_iteratorINSA_11use_defaultEEES6_EEENSH_IJSG_SG_EEES6_PlJNSB_9not_fun_tINSB_14equal_to_valueIdEEEEEEE10hipError_tPvRmT3_T4_T5_T6_T7_T9_mT8_P12ihipStream_tbDpT10_ENKUlT_T0_E_clISt17integral_constantIbLb1EES1B_EEDaS16_S17_EUlS16_E_NS1_11comp_targetILNS1_3genE0ELNS1_11target_archE4294967295ELNS1_3gpuE0ELNS1_3repE0EEENS1_30default_config_static_selectorELNS0_4arch9wavefront6targetE0EEEvT1_
                                        ; -- End function
	.set _ZN7rocprim17ROCPRIM_400000_NS6detail17trampoline_kernelINS0_14default_configENS1_25partition_config_selectorILNS1_17partition_subalgoE6EdNS0_10empty_typeEbEEZZNS1_14partition_implILS5_6ELb0ES3_mN6thrust23THRUST_200600_302600_NS6detail15normal_iteratorINSA_10device_ptrIdEEEEPS6_SG_NS0_5tupleIJNSA_16discard_iteratorINSA_11use_defaultEEES6_EEENSH_IJSG_SG_EEES6_PlJNSB_9not_fun_tINSB_14equal_to_valueIdEEEEEEE10hipError_tPvRmT3_T4_T5_T6_T7_T9_mT8_P12ihipStream_tbDpT10_ENKUlT_T0_E_clISt17integral_constantIbLb1EES1B_EEDaS16_S17_EUlS16_E_NS1_11comp_targetILNS1_3genE0ELNS1_11target_archE4294967295ELNS1_3gpuE0ELNS1_3repE0EEENS1_30default_config_static_selectorELNS0_4arch9wavefront6targetE0EEEvT1_.num_vgpr, 0
	.set _ZN7rocprim17ROCPRIM_400000_NS6detail17trampoline_kernelINS0_14default_configENS1_25partition_config_selectorILNS1_17partition_subalgoE6EdNS0_10empty_typeEbEEZZNS1_14partition_implILS5_6ELb0ES3_mN6thrust23THRUST_200600_302600_NS6detail15normal_iteratorINSA_10device_ptrIdEEEEPS6_SG_NS0_5tupleIJNSA_16discard_iteratorINSA_11use_defaultEEES6_EEENSH_IJSG_SG_EEES6_PlJNSB_9not_fun_tINSB_14equal_to_valueIdEEEEEEE10hipError_tPvRmT3_T4_T5_T6_T7_T9_mT8_P12ihipStream_tbDpT10_ENKUlT_T0_E_clISt17integral_constantIbLb1EES1B_EEDaS16_S17_EUlS16_E_NS1_11comp_targetILNS1_3genE0ELNS1_11target_archE4294967295ELNS1_3gpuE0ELNS1_3repE0EEENS1_30default_config_static_selectorELNS0_4arch9wavefront6targetE0EEEvT1_.num_agpr, 0
	.set _ZN7rocprim17ROCPRIM_400000_NS6detail17trampoline_kernelINS0_14default_configENS1_25partition_config_selectorILNS1_17partition_subalgoE6EdNS0_10empty_typeEbEEZZNS1_14partition_implILS5_6ELb0ES3_mN6thrust23THRUST_200600_302600_NS6detail15normal_iteratorINSA_10device_ptrIdEEEEPS6_SG_NS0_5tupleIJNSA_16discard_iteratorINSA_11use_defaultEEES6_EEENSH_IJSG_SG_EEES6_PlJNSB_9not_fun_tINSB_14equal_to_valueIdEEEEEEE10hipError_tPvRmT3_T4_T5_T6_T7_T9_mT8_P12ihipStream_tbDpT10_ENKUlT_T0_E_clISt17integral_constantIbLb1EES1B_EEDaS16_S17_EUlS16_E_NS1_11comp_targetILNS1_3genE0ELNS1_11target_archE4294967295ELNS1_3gpuE0ELNS1_3repE0EEENS1_30default_config_static_selectorELNS0_4arch9wavefront6targetE0EEEvT1_.numbered_sgpr, 0
	.set _ZN7rocprim17ROCPRIM_400000_NS6detail17trampoline_kernelINS0_14default_configENS1_25partition_config_selectorILNS1_17partition_subalgoE6EdNS0_10empty_typeEbEEZZNS1_14partition_implILS5_6ELb0ES3_mN6thrust23THRUST_200600_302600_NS6detail15normal_iteratorINSA_10device_ptrIdEEEEPS6_SG_NS0_5tupleIJNSA_16discard_iteratorINSA_11use_defaultEEES6_EEENSH_IJSG_SG_EEES6_PlJNSB_9not_fun_tINSB_14equal_to_valueIdEEEEEEE10hipError_tPvRmT3_T4_T5_T6_T7_T9_mT8_P12ihipStream_tbDpT10_ENKUlT_T0_E_clISt17integral_constantIbLb1EES1B_EEDaS16_S17_EUlS16_E_NS1_11comp_targetILNS1_3genE0ELNS1_11target_archE4294967295ELNS1_3gpuE0ELNS1_3repE0EEENS1_30default_config_static_selectorELNS0_4arch9wavefront6targetE0EEEvT1_.num_named_barrier, 0
	.set _ZN7rocprim17ROCPRIM_400000_NS6detail17trampoline_kernelINS0_14default_configENS1_25partition_config_selectorILNS1_17partition_subalgoE6EdNS0_10empty_typeEbEEZZNS1_14partition_implILS5_6ELb0ES3_mN6thrust23THRUST_200600_302600_NS6detail15normal_iteratorINSA_10device_ptrIdEEEEPS6_SG_NS0_5tupleIJNSA_16discard_iteratorINSA_11use_defaultEEES6_EEENSH_IJSG_SG_EEES6_PlJNSB_9not_fun_tINSB_14equal_to_valueIdEEEEEEE10hipError_tPvRmT3_T4_T5_T6_T7_T9_mT8_P12ihipStream_tbDpT10_ENKUlT_T0_E_clISt17integral_constantIbLb1EES1B_EEDaS16_S17_EUlS16_E_NS1_11comp_targetILNS1_3genE0ELNS1_11target_archE4294967295ELNS1_3gpuE0ELNS1_3repE0EEENS1_30default_config_static_selectorELNS0_4arch9wavefront6targetE0EEEvT1_.private_seg_size, 0
	.set _ZN7rocprim17ROCPRIM_400000_NS6detail17trampoline_kernelINS0_14default_configENS1_25partition_config_selectorILNS1_17partition_subalgoE6EdNS0_10empty_typeEbEEZZNS1_14partition_implILS5_6ELb0ES3_mN6thrust23THRUST_200600_302600_NS6detail15normal_iteratorINSA_10device_ptrIdEEEEPS6_SG_NS0_5tupleIJNSA_16discard_iteratorINSA_11use_defaultEEES6_EEENSH_IJSG_SG_EEES6_PlJNSB_9not_fun_tINSB_14equal_to_valueIdEEEEEEE10hipError_tPvRmT3_T4_T5_T6_T7_T9_mT8_P12ihipStream_tbDpT10_ENKUlT_T0_E_clISt17integral_constantIbLb1EES1B_EEDaS16_S17_EUlS16_E_NS1_11comp_targetILNS1_3genE0ELNS1_11target_archE4294967295ELNS1_3gpuE0ELNS1_3repE0EEENS1_30default_config_static_selectorELNS0_4arch9wavefront6targetE0EEEvT1_.uses_vcc, 0
	.set _ZN7rocprim17ROCPRIM_400000_NS6detail17trampoline_kernelINS0_14default_configENS1_25partition_config_selectorILNS1_17partition_subalgoE6EdNS0_10empty_typeEbEEZZNS1_14partition_implILS5_6ELb0ES3_mN6thrust23THRUST_200600_302600_NS6detail15normal_iteratorINSA_10device_ptrIdEEEEPS6_SG_NS0_5tupleIJNSA_16discard_iteratorINSA_11use_defaultEEES6_EEENSH_IJSG_SG_EEES6_PlJNSB_9not_fun_tINSB_14equal_to_valueIdEEEEEEE10hipError_tPvRmT3_T4_T5_T6_T7_T9_mT8_P12ihipStream_tbDpT10_ENKUlT_T0_E_clISt17integral_constantIbLb1EES1B_EEDaS16_S17_EUlS16_E_NS1_11comp_targetILNS1_3genE0ELNS1_11target_archE4294967295ELNS1_3gpuE0ELNS1_3repE0EEENS1_30default_config_static_selectorELNS0_4arch9wavefront6targetE0EEEvT1_.uses_flat_scratch, 0
	.set _ZN7rocprim17ROCPRIM_400000_NS6detail17trampoline_kernelINS0_14default_configENS1_25partition_config_selectorILNS1_17partition_subalgoE6EdNS0_10empty_typeEbEEZZNS1_14partition_implILS5_6ELb0ES3_mN6thrust23THRUST_200600_302600_NS6detail15normal_iteratorINSA_10device_ptrIdEEEEPS6_SG_NS0_5tupleIJNSA_16discard_iteratorINSA_11use_defaultEEES6_EEENSH_IJSG_SG_EEES6_PlJNSB_9not_fun_tINSB_14equal_to_valueIdEEEEEEE10hipError_tPvRmT3_T4_T5_T6_T7_T9_mT8_P12ihipStream_tbDpT10_ENKUlT_T0_E_clISt17integral_constantIbLb1EES1B_EEDaS16_S17_EUlS16_E_NS1_11comp_targetILNS1_3genE0ELNS1_11target_archE4294967295ELNS1_3gpuE0ELNS1_3repE0EEENS1_30default_config_static_selectorELNS0_4arch9wavefront6targetE0EEEvT1_.has_dyn_sized_stack, 0
	.set _ZN7rocprim17ROCPRIM_400000_NS6detail17trampoline_kernelINS0_14default_configENS1_25partition_config_selectorILNS1_17partition_subalgoE6EdNS0_10empty_typeEbEEZZNS1_14partition_implILS5_6ELb0ES3_mN6thrust23THRUST_200600_302600_NS6detail15normal_iteratorINSA_10device_ptrIdEEEEPS6_SG_NS0_5tupleIJNSA_16discard_iteratorINSA_11use_defaultEEES6_EEENSH_IJSG_SG_EEES6_PlJNSB_9not_fun_tINSB_14equal_to_valueIdEEEEEEE10hipError_tPvRmT3_T4_T5_T6_T7_T9_mT8_P12ihipStream_tbDpT10_ENKUlT_T0_E_clISt17integral_constantIbLb1EES1B_EEDaS16_S17_EUlS16_E_NS1_11comp_targetILNS1_3genE0ELNS1_11target_archE4294967295ELNS1_3gpuE0ELNS1_3repE0EEENS1_30default_config_static_selectorELNS0_4arch9wavefront6targetE0EEEvT1_.has_recursion, 0
	.set _ZN7rocprim17ROCPRIM_400000_NS6detail17trampoline_kernelINS0_14default_configENS1_25partition_config_selectorILNS1_17partition_subalgoE6EdNS0_10empty_typeEbEEZZNS1_14partition_implILS5_6ELb0ES3_mN6thrust23THRUST_200600_302600_NS6detail15normal_iteratorINSA_10device_ptrIdEEEEPS6_SG_NS0_5tupleIJNSA_16discard_iteratorINSA_11use_defaultEEES6_EEENSH_IJSG_SG_EEES6_PlJNSB_9not_fun_tINSB_14equal_to_valueIdEEEEEEE10hipError_tPvRmT3_T4_T5_T6_T7_T9_mT8_P12ihipStream_tbDpT10_ENKUlT_T0_E_clISt17integral_constantIbLb1EES1B_EEDaS16_S17_EUlS16_E_NS1_11comp_targetILNS1_3genE0ELNS1_11target_archE4294967295ELNS1_3gpuE0ELNS1_3repE0EEENS1_30default_config_static_selectorELNS0_4arch9wavefront6targetE0EEEvT1_.has_indirect_call, 0
	.section	.AMDGPU.csdata,"",@progbits
; Kernel info:
; codeLenInByte = 0
; TotalNumSgprs: 0
; NumVgprs: 0
; ScratchSize: 0
; MemoryBound: 0
; FloatMode: 240
; IeeeMode: 1
; LDSByteSize: 0 bytes/workgroup (compile time only)
; SGPRBlocks: 0
; VGPRBlocks: 0
; NumSGPRsForWavesPerEU: 1
; NumVGPRsForWavesPerEU: 1
; Occupancy: 16
; WaveLimiterHint : 0
; COMPUTE_PGM_RSRC2:SCRATCH_EN: 0
; COMPUTE_PGM_RSRC2:USER_SGPR: 2
; COMPUTE_PGM_RSRC2:TRAP_HANDLER: 0
; COMPUTE_PGM_RSRC2:TGID_X_EN: 1
; COMPUTE_PGM_RSRC2:TGID_Y_EN: 0
; COMPUTE_PGM_RSRC2:TGID_Z_EN: 0
; COMPUTE_PGM_RSRC2:TIDIG_COMP_CNT: 0
	.section	.text._ZN7rocprim17ROCPRIM_400000_NS6detail17trampoline_kernelINS0_14default_configENS1_25partition_config_selectorILNS1_17partition_subalgoE6EdNS0_10empty_typeEbEEZZNS1_14partition_implILS5_6ELb0ES3_mN6thrust23THRUST_200600_302600_NS6detail15normal_iteratorINSA_10device_ptrIdEEEEPS6_SG_NS0_5tupleIJNSA_16discard_iteratorINSA_11use_defaultEEES6_EEENSH_IJSG_SG_EEES6_PlJNSB_9not_fun_tINSB_14equal_to_valueIdEEEEEEE10hipError_tPvRmT3_T4_T5_T6_T7_T9_mT8_P12ihipStream_tbDpT10_ENKUlT_T0_E_clISt17integral_constantIbLb1EES1B_EEDaS16_S17_EUlS16_E_NS1_11comp_targetILNS1_3genE5ELNS1_11target_archE942ELNS1_3gpuE9ELNS1_3repE0EEENS1_30default_config_static_selectorELNS0_4arch9wavefront6targetE0EEEvT1_,"axG",@progbits,_ZN7rocprim17ROCPRIM_400000_NS6detail17trampoline_kernelINS0_14default_configENS1_25partition_config_selectorILNS1_17partition_subalgoE6EdNS0_10empty_typeEbEEZZNS1_14partition_implILS5_6ELb0ES3_mN6thrust23THRUST_200600_302600_NS6detail15normal_iteratorINSA_10device_ptrIdEEEEPS6_SG_NS0_5tupleIJNSA_16discard_iteratorINSA_11use_defaultEEES6_EEENSH_IJSG_SG_EEES6_PlJNSB_9not_fun_tINSB_14equal_to_valueIdEEEEEEE10hipError_tPvRmT3_T4_T5_T6_T7_T9_mT8_P12ihipStream_tbDpT10_ENKUlT_T0_E_clISt17integral_constantIbLb1EES1B_EEDaS16_S17_EUlS16_E_NS1_11comp_targetILNS1_3genE5ELNS1_11target_archE942ELNS1_3gpuE9ELNS1_3repE0EEENS1_30default_config_static_selectorELNS0_4arch9wavefront6targetE0EEEvT1_,comdat
	.protected	_ZN7rocprim17ROCPRIM_400000_NS6detail17trampoline_kernelINS0_14default_configENS1_25partition_config_selectorILNS1_17partition_subalgoE6EdNS0_10empty_typeEbEEZZNS1_14partition_implILS5_6ELb0ES3_mN6thrust23THRUST_200600_302600_NS6detail15normal_iteratorINSA_10device_ptrIdEEEEPS6_SG_NS0_5tupleIJNSA_16discard_iteratorINSA_11use_defaultEEES6_EEENSH_IJSG_SG_EEES6_PlJNSB_9not_fun_tINSB_14equal_to_valueIdEEEEEEE10hipError_tPvRmT3_T4_T5_T6_T7_T9_mT8_P12ihipStream_tbDpT10_ENKUlT_T0_E_clISt17integral_constantIbLb1EES1B_EEDaS16_S17_EUlS16_E_NS1_11comp_targetILNS1_3genE5ELNS1_11target_archE942ELNS1_3gpuE9ELNS1_3repE0EEENS1_30default_config_static_selectorELNS0_4arch9wavefront6targetE0EEEvT1_ ; -- Begin function _ZN7rocprim17ROCPRIM_400000_NS6detail17trampoline_kernelINS0_14default_configENS1_25partition_config_selectorILNS1_17partition_subalgoE6EdNS0_10empty_typeEbEEZZNS1_14partition_implILS5_6ELb0ES3_mN6thrust23THRUST_200600_302600_NS6detail15normal_iteratorINSA_10device_ptrIdEEEEPS6_SG_NS0_5tupleIJNSA_16discard_iteratorINSA_11use_defaultEEES6_EEENSH_IJSG_SG_EEES6_PlJNSB_9not_fun_tINSB_14equal_to_valueIdEEEEEEE10hipError_tPvRmT3_T4_T5_T6_T7_T9_mT8_P12ihipStream_tbDpT10_ENKUlT_T0_E_clISt17integral_constantIbLb1EES1B_EEDaS16_S17_EUlS16_E_NS1_11comp_targetILNS1_3genE5ELNS1_11target_archE942ELNS1_3gpuE9ELNS1_3repE0EEENS1_30default_config_static_selectorELNS0_4arch9wavefront6targetE0EEEvT1_
	.globl	_ZN7rocprim17ROCPRIM_400000_NS6detail17trampoline_kernelINS0_14default_configENS1_25partition_config_selectorILNS1_17partition_subalgoE6EdNS0_10empty_typeEbEEZZNS1_14partition_implILS5_6ELb0ES3_mN6thrust23THRUST_200600_302600_NS6detail15normal_iteratorINSA_10device_ptrIdEEEEPS6_SG_NS0_5tupleIJNSA_16discard_iteratorINSA_11use_defaultEEES6_EEENSH_IJSG_SG_EEES6_PlJNSB_9not_fun_tINSB_14equal_to_valueIdEEEEEEE10hipError_tPvRmT3_T4_T5_T6_T7_T9_mT8_P12ihipStream_tbDpT10_ENKUlT_T0_E_clISt17integral_constantIbLb1EES1B_EEDaS16_S17_EUlS16_E_NS1_11comp_targetILNS1_3genE5ELNS1_11target_archE942ELNS1_3gpuE9ELNS1_3repE0EEENS1_30default_config_static_selectorELNS0_4arch9wavefront6targetE0EEEvT1_
	.p2align	8
	.type	_ZN7rocprim17ROCPRIM_400000_NS6detail17trampoline_kernelINS0_14default_configENS1_25partition_config_selectorILNS1_17partition_subalgoE6EdNS0_10empty_typeEbEEZZNS1_14partition_implILS5_6ELb0ES3_mN6thrust23THRUST_200600_302600_NS6detail15normal_iteratorINSA_10device_ptrIdEEEEPS6_SG_NS0_5tupleIJNSA_16discard_iteratorINSA_11use_defaultEEES6_EEENSH_IJSG_SG_EEES6_PlJNSB_9not_fun_tINSB_14equal_to_valueIdEEEEEEE10hipError_tPvRmT3_T4_T5_T6_T7_T9_mT8_P12ihipStream_tbDpT10_ENKUlT_T0_E_clISt17integral_constantIbLb1EES1B_EEDaS16_S17_EUlS16_E_NS1_11comp_targetILNS1_3genE5ELNS1_11target_archE942ELNS1_3gpuE9ELNS1_3repE0EEENS1_30default_config_static_selectorELNS0_4arch9wavefront6targetE0EEEvT1_,@function
_ZN7rocprim17ROCPRIM_400000_NS6detail17trampoline_kernelINS0_14default_configENS1_25partition_config_selectorILNS1_17partition_subalgoE6EdNS0_10empty_typeEbEEZZNS1_14partition_implILS5_6ELb0ES3_mN6thrust23THRUST_200600_302600_NS6detail15normal_iteratorINSA_10device_ptrIdEEEEPS6_SG_NS0_5tupleIJNSA_16discard_iteratorINSA_11use_defaultEEES6_EEENSH_IJSG_SG_EEES6_PlJNSB_9not_fun_tINSB_14equal_to_valueIdEEEEEEE10hipError_tPvRmT3_T4_T5_T6_T7_T9_mT8_P12ihipStream_tbDpT10_ENKUlT_T0_E_clISt17integral_constantIbLb1EES1B_EEDaS16_S17_EUlS16_E_NS1_11comp_targetILNS1_3genE5ELNS1_11target_archE942ELNS1_3gpuE9ELNS1_3repE0EEENS1_30default_config_static_selectorELNS0_4arch9wavefront6targetE0EEEvT1_: ; @_ZN7rocprim17ROCPRIM_400000_NS6detail17trampoline_kernelINS0_14default_configENS1_25partition_config_selectorILNS1_17partition_subalgoE6EdNS0_10empty_typeEbEEZZNS1_14partition_implILS5_6ELb0ES3_mN6thrust23THRUST_200600_302600_NS6detail15normal_iteratorINSA_10device_ptrIdEEEEPS6_SG_NS0_5tupleIJNSA_16discard_iteratorINSA_11use_defaultEEES6_EEENSH_IJSG_SG_EEES6_PlJNSB_9not_fun_tINSB_14equal_to_valueIdEEEEEEE10hipError_tPvRmT3_T4_T5_T6_T7_T9_mT8_P12ihipStream_tbDpT10_ENKUlT_T0_E_clISt17integral_constantIbLb1EES1B_EEDaS16_S17_EUlS16_E_NS1_11comp_targetILNS1_3genE5ELNS1_11target_archE942ELNS1_3gpuE9ELNS1_3repE0EEENS1_30default_config_static_selectorELNS0_4arch9wavefront6targetE0EEEvT1_
; %bb.0:
	.section	.rodata,"a",@progbits
	.p2align	6, 0x0
	.amdhsa_kernel _ZN7rocprim17ROCPRIM_400000_NS6detail17trampoline_kernelINS0_14default_configENS1_25partition_config_selectorILNS1_17partition_subalgoE6EdNS0_10empty_typeEbEEZZNS1_14partition_implILS5_6ELb0ES3_mN6thrust23THRUST_200600_302600_NS6detail15normal_iteratorINSA_10device_ptrIdEEEEPS6_SG_NS0_5tupleIJNSA_16discard_iteratorINSA_11use_defaultEEES6_EEENSH_IJSG_SG_EEES6_PlJNSB_9not_fun_tINSB_14equal_to_valueIdEEEEEEE10hipError_tPvRmT3_T4_T5_T6_T7_T9_mT8_P12ihipStream_tbDpT10_ENKUlT_T0_E_clISt17integral_constantIbLb1EES1B_EEDaS16_S17_EUlS16_E_NS1_11comp_targetILNS1_3genE5ELNS1_11target_archE942ELNS1_3gpuE9ELNS1_3repE0EEENS1_30default_config_static_selectorELNS0_4arch9wavefront6targetE0EEEvT1_
		.amdhsa_group_segment_fixed_size 0
		.amdhsa_private_segment_fixed_size 0
		.amdhsa_kernarg_size 136
		.amdhsa_user_sgpr_count 2
		.amdhsa_user_sgpr_dispatch_ptr 0
		.amdhsa_user_sgpr_queue_ptr 0
		.amdhsa_user_sgpr_kernarg_segment_ptr 1
		.amdhsa_user_sgpr_dispatch_id 0
		.amdhsa_user_sgpr_private_segment_size 0
		.amdhsa_wavefront_size32 1
		.amdhsa_uses_dynamic_stack 0
		.amdhsa_enable_private_segment 0
		.amdhsa_system_sgpr_workgroup_id_x 1
		.amdhsa_system_sgpr_workgroup_id_y 0
		.amdhsa_system_sgpr_workgroup_id_z 0
		.amdhsa_system_sgpr_workgroup_info 0
		.amdhsa_system_vgpr_workitem_id 0
		.amdhsa_next_free_vgpr 1
		.amdhsa_next_free_sgpr 1
		.amdhsa_reserve_vcc 0
		.amdhsa_float_round_mode_32 0
		.amdhsa_float_round_mode_16_64 0
		.amdhsa_float_denorm_mode_32 3
		.amdhsa_float_denorm_mode_16_64 3
		.amdhsa_fp16_overflow 0
		.amdhsa_workgroup_processor_mode 1
		.amdhsa_memory_ordered 1
		.amdhsa_forward_progress 1
		.amdhsa_inst_pref_size 0
		.amdhsa_round_robin_scheduling 0
		.amdhsa_exception_fp_ieee_invalid_op 0
		.amdhsa_exception_fp_denorm_src 0
		.amdhsa_exception_fp_ieee_div_zero 0
		.amdhsa_exception_fp_ieee_overflow 0
		.amdhsa_exception_fp_ieee_underflow 0
		.amdhsa_exception_fp_ieee_inexact 0
		.amdhsa_exception_int_div_zero 0
	.end_amdhsa_kernel
	.section	.text._ZN7rocprim17ROCPRIM_400000_NS6detail17trampoline_kernelINS0_14default_configENS1_25partition_config_selectorILNS1_17partition_subalgoE6EdNS0_10empty_typeEbEEZZNS1_14partition_implILS5_6ELb0ES3_mN6thrust23THRUST_200600_302600_NS6detail15normal_iteratorINSA_10device_ptrIdEEEEPS6_SG_NS0_5tupleIJNSA_16discard_iteratorINSA_11use_defaultEEES6_EEENSH_IJSG_SG_EEES6_PlJNSB_9not_fun_tINSB_14equal_to_valueIdEEEEEEE10hipError_tPvRmT3_T4_T5_T6_T7_T9_mT8_P12ihipStream_tbDpT10_ENKUlT_T0_E_clISt17integral_constantIbLb1EES1B_EEDaS16_S17_EUlS16_E_NS1_11comp_targetILNS1_3genE5ELNS1_11target_archE942ELNS1_3gpuE9ELNS1_3repE0EEENS1_30default_config_static_selectorELNS0_4arch9wavefront6targetE0EEEvT1_,"axG",@progbits,_ZN7rocprim17ROCPRIM_400000_NS6detail17trampoline_kernelINS0_14default_configENS1_25partition_config_selectorILNS1_17partition_subalgoE6EdNS0_10empty_typeEbEEZZNS1_14partition_implILS5_6ELb0ES3_mN6thrust23THRUST_200600_302600_NS6detail15normal_iteratorINSA_10device_ptrIdEEEEPS6_SG_NS0_5tupleIJNSA_16discard_iteratorINSA_11use_defaultEEES6_EEENSH_IJSG_SG_EEES6_PlJNSB_9not_fun_tINSB_14equal_to_valueIdEEEEEEE10hipError_tPvRmT3_T4_T5_T6_T7_T9_mT8_P12ihipStream_tbDpT10_ENKUlT_T0_E_clISt17integral_constantIbLb1EES1B_EEDaS16_S17_EUlS16_E_NS1_11comp_targetILNS1_3genE5ELNS1_11target_archE942ELNS1_3gpuE9ELNS1_3repE0EEENS1_30default_config_static_selectorELNS0_4arch9wavefront6targetE0EEEvT1_,comdat
.Lfunc_end1574:
	.size	_ZN7rocprim17ROCPRIM_400000_NS6detail17trampoline_kernelINS0_14default_configENS1_25partition_config_selectorILNS1_17partition_subalgoE6EdNS0_10empty_typeEbEEZZNS1_14partition_implILS5_6ELb0ES3_mN6thrust23THRUST_200600_302600_NS6detail15normal_iteratorINSA_10device_ptrIdEEEEPS6_SG_NS0_5tupleIJNSA_16discard_iteratorINSA_11use_defaultEEES6_EEENSH_IJSG_SG_EEES6_PlJNSB_9not_fun_tINSB_14equal_to_valueIdEEEEEEE10hipError_tPvRmT3_T4_T5_T6_T7_T9_mT8_P12ihipStream_tbDpT10_ENKUlT_T0_E_clISt17integral_constantIbLb1EES1B_EEDaS16_S17_EUlS16_E_NS1_11comp_targetILNS1_3genE5ELNS1_11target_archE942ELNS1_3gpuE9ELNS1_3repE0EEENS1_30default_config_static_selectorELNS0_4arch9wavefront6targetE0EEEvT1_, .Lfunc_end1574-_ZN7rocprim17ROCPRIM_400000_NS6detail17trampoline_kernelINS0_14default_configENS1_25partition_config_selectorILNS1_17partition_subalgoE6EdNS0_10empty_typeEbEEZZNS1_14partition_implILS5_6ELb0ES3_mN6thrust23THRUST_200600_302600_NS6detail15normal_iteratorINSA_10device_ptrIdEEEEPS6_SG_NS0_5tupleIJNSA_16discard_iteratorINSA_11use_defaultEEES6_EEENSH_IJSG_SG_EEES6_PlJNSB_9not_fun_tINSB_14equal_to_valueIdEEEEEEE10hipError_tPvRmT3_T4_T5_T6_T7_T9_mT8_P12ihipStream_tbDpT10_ENKUlT_T0_E_clISt17integral_constantIbLb1EES1B_EEDaS16_S17_EUlS16_E_NS1_11comp_targetILNS1_3genE5ELNS1_11target_archE942ELNS1_3gpuE9ELNS1_3repE0EEENS1_30default_config_static_selectorELNS0_4arch9wavefront6targetE0EEEvT1_
                                        ; -- End function
	.set _ZN7rocprim17ROCPRIM_400000_NS6detail17trampoline_kernelINS0_14default_configENS1_25partition_config_selectorILNS1_17partition_subalgoE6EdNS0_10empty_typeEbEEZZNS1_14partition_implILS5_6ELb0ES3_mN6thrust23THRUST_200600_302600_NS6detail15normal_iteratorINSA_10device_ptrIdEEEEPS6_SG_NS0_5tupleIJNSA_16discard_iteratorINSA_11use_defaultEEES6_EEENSH_IJSG_SG_EEES6_PlJNSB_9not_fun_tINSB_14equal_to_valueIdEEEEEEE10hipError_tPvRmT3_T4_T5_T6_T7_T9_mT8_P12ihipStream_tbDpT10_ENKUlT_T0_E_clISt17integral_constantIbLb1EES1B_EEDaS16_S17_EUlS16_E_NS1_11comp_targetILNS1_3genE5ELNS1_11target_archE942ELNS1_3gpuE9ELNS1_3repE0EEENS1_30default_config_static_selectorELNS0_4arch9wavefront6targetE0EEEvT1_.num_vgpr, 0
	.set _ZN7rocprim17ROCPRIM_400000_NS6detail17trampoline_kernelINS0_14default_configENS1_25partition_config_selectorILNS1_17partition_subalgoE6EdNS0_10empty_typeEbEEZZNS1_14partition_implILS5_6ELb0ES3_mN6thrust23THRUST_200600_302600_NS6detail15normal_iteratorINSA_10device_ptrIdEEEEPS6_SG_NS0_5tupleIJNSA_16discard_iteratorINSA_11use_defaultEEES6_EEENSH_IJSG_SG_EEES6_PlJNSB_9not_fun_tINSB_14equal_to_valueIdEEEEEEE10hipError_tPvRmT3_T4_T5_T6_T7_T9_mT8_P12ihipStream_tbDpT10_ENKUlT_T0_E_clISt17integral_constantIbLb1EES1B_EEDaS16_S17_EUlS16_E_NS1_11comp_targetILNS1_3genE5ELNS1_11target_archE942ELNS1_3gpuE9ELNS1_3repE0EEENS1_30default_config_static_selectorELNS0_4arch9wavefront6targetE0EEEvT1_.num_agpr, 0
	.set _ZN7rocprim17ROCPRIM_400000_NS6detail17trampoline_kernelINS0_14default_configENS1_25partition_config_selectorILNS1_17partition_subalgoE6EdNS0_10empty_typeEbEEZZNS1_14partition_implILS5_6ELb0ES3_mN6thrust23THRUST_200600_302600_NS6detail15normal_iteratorINSA_10device_ptrIdEEEEPS6_SG_NS0_5tupleIJNSA_16discard_iteratorINSA_11use_defaultEEES6_EEENSH_IJSG_SG_EEES6_PlJNSB_9not_fun_tINSB_14equal_to_valueIdEEEEEEE10hipError_tPvRmT3_T4_T5_T6_T7_T9_mT8_P12ihipStream_tbDpT10_ENKUlT_T0_E_clISt17integral_constantIbLb1EES1B_EEDaS16_S17_EUlS16_E_NS1_11comp_targetILNS1_3genE5ELNS1_11target_archE942ELNS1_3gpuE9ELNS1_3repE0EEENS1_30default_config_static_selectorELNS0_4arch9wavefront6targetE0EEEvT1_.numbered_sgpr, 0
	.set _ZN7rocprim17ROCPRIM_400000_NS6detail17trampoline_kernelINS0_14default_configENS1_25partition_config_selectorILNS1_17partition_subalgoE6EdNS0_10empty_typeEbEEZZNS1_14partition_implILS5_6ELb0ES3_mN6thrust23THRUST_200600_302600_NS6detail15normal_iteratorINSA_10device_ptrIdEEEEPS6_SG_NS0_5tupleIJNSA_16discard_iteratorINSA_11use_defaultEEES6_EEENSH_IJSG_SG_EEES6_PlJNSB_9not_fun_tINSB_14equal_to_valueIdEEEEEEE10hipError_tPvRmT3_T4_T5_T6_T7_T9_mT8_P12ihipStream_tbDpT10_ENKUlT_T0_E_clISt17integral_constantIbLb1EES1B_EEDaS16_S17_EUlS16_E_NS1_11comp_targetILNS1_3genE5ELNS1_11target_archE942ELNS1_3gpuE9ELNS1_3repE0EEENS1_30default_config_static_selectorELNS0_4arch9wavefront6targetE0EEEvT1_.num_named_barrier, 0
	.set _ZN7rocprim17ROCPRIM_400000_NS6detail17trampoline_kernelINS0_14default_configENS1_25partition_config_selectorILNS1_17partition_subalgoE6EdNS0_10empty_typeEbEEZZNS1_14partition_implILS5_6ELb0ES3_mN6thrust23THRUST_200600_302600_NS6detail15normal_iteratorINSA_10device_ptrIdEEEEPS6_SG_NS0_5tupleIJNSA_16discard_iteratorINSA_11use_defaultEEES6_EEENSH_IJSG_SG_EEES6_PlJNSB_9not_fun_tINSB_14equal_to_valueIdEEEEEEE10hipError_tPvRmT3_T4_T5_T6_T7_T9_mT8_P12ihipStream_tbDpT10_ENKUlT_T0_E_clISt17integral_constantIbLb1EES1B_EEDaS16_S17_EUlS16_E_NS1_11comp_targetILNS1_3genE5ELNS1_11target_archE942ELNS1_3gpuE9ELNS1_3repE0EEENS1_30default_config_static_selectorELNS0_4arch9wavefront6targetE0EEEvT1_.private_seg_size, 0
	.set _ZN7rocprim17ROCPRIM_400000_NS6detail17trampoline_kernelINS0_14default_configENS1_25partition_config_selectorILNS1_17partition_subalgoE6EdNS0_10empty_typeEbEEZZNS1_14partition_implILS5_6ELb0ES3_mN6thrust23THRUST_200600_302600_NS6detail15normal_iteratorINSA_10device_ptrIdEEEEPS6_SG_NS0_5tupleIJNSA_16discard_iteratorINSA_11use_defaultEEES6_EEENSH_IJSG_SG_EEES6_PlJNSB_9not_fun_tINSB_14equal_to_valueIdEEEEEEE10hipError_tPvRmT3_T4_T5_T6_T7_T9_mT8_P12ihipStream_tbDpT10_ENKUlT_T0_E_clISt17integral_constantIbLb1EES1B_EEDaS16_S17_EUlS16_E_NS1_11comp_targetILNS1_3genE5ELNS1_11target_archE942ELNS1_3gpuE9ELNS1_3repE0EEENS1_30default_config_static_selectorELNS0_4arch9wavefront6targetE0EEEvT1_.uses_vcc, 0
	.set _ZN7rocprim17ROCPRIM_400000_NS6detail17trampoline_kernelINS0_14default_configENS1_25partition_config_selectorILNS1_17partition_subalgoE6EdNS0_10empty_typeEbEEZZNS1_14partition_implILS5_6ELb0ES3_mN6thrust23THRUST_200600_302600_NS6detail15normal_iteratorINSA_10device_ptrIdEEEEPS6_SG_NS0_5tupleIJNSA_16discard_iteratorINSA_11use_defaultEEES6_EEENSH_IJSG_SG_EEES6_PlJNSB_9not_fun_tINSB_14equal_to_valueIdEEEEEEE10hipError_tPvRmT3_T4_T5_T6_T7_T9_mT8_P12ihipStream_tbDpT10_ENKUlT_T0_E_clISt17integral_constantIbLb1EES1B_EEDaS16_S17_EUlS16_E_NS1_11comp_targetILNS1_3genE5ELNS1_11target_archE942ELNS1_3gpuE9ELNS1_3repE0EEENS1_30default_config_static_selectorELNS0_4arch9wavefront6targetE0EEEvT1_.uses_flat_scratch, 0
	.set _ZN7rocprim17ROCPRIM_400000_NS6detail17trampoline_kernelINS0_14default_configENS1_25partition_config_selectorILNS1_17partition_subalgoE6EdNS0_10empty_typeEbEEZZNS1_14partition_implILS5_6ELb0ES3_mN6thrust23THRUST_200600_302600_NS6detail15normal_iteratorINSA_10device_ptrIdEEEEPS6_SG_NS0_5tupleIJNSA_16discard_iteratorINSA_11use_defaultEEES6_EEENSH_IJSG_SG_EEES6_PlJNSB_9not_fun_tINSB_14equal_to_valueIdEEEEEEE10hipError_tPvRmT3_T4_T5_T6_T7_T9_mT8_P12ihipStream_tbDpT10_ENKUlT_T0_E_clISt17integral_constantIbLb1EES1B_EEDaS16_S17_EUlS16_E_NS1_11comp_targetILNS1_3genE5ELNS1_11target_archE942ELNS1_3gpuE9ELNS1_3repE0EEENS1_30default_config_static_selectorELNS0_4arch9wavefront6targetE0EEEvT1_.has_dyn_sized_stack, 0
	.set _ZN7rocprim17ROCPRIM_400000_NS6detail17trampoline_kernelINS0_14default_configENS1_25partition_config_selectorILNS1_17partition_subalgoE6EdNS0_10empty_typeEbEEZZNS1_14partition_implILS5_6ELb0ES3_mN6thrust23THRUST_200600_302600_NS6detail15normal_iteratorINSA_10device_ptrIdEEEEPS6_SG_NS0_5tupleIJNSA_16discard_iteratorINSA_11use_defaultEEES6_EEENSH_IJSG_SG_EEES6_PlJNSB_9not_fun_tINSB_14equal_to_valueIdEEEEEEE10hipError_tPvRmT3_T4_T5_T6_T7_T9_mT8_P12ihipStream_tbDpT10_ENKUlT_T0_E_clISt17integral_constantIbLb1EES1B_EEDaS16_S17_EUlS16_E_NS1_11comp_targetILNS1_3genE5ELNS1_11target_archE942ELNS1_3gpuE9ELNS1_3repE0EEENS1_30default_config_static_selectorELNS0_4arch9wavefront6targetE0EEEvT1_.has_recursion, 0
	.set _ZN7rocprim17ROCPRIM_400000_NS6detail17trampoline_kernelINS0_14default_configENS1_25partition_config_selectorILNS1_17partition_subalgoE6EdNS0_10empty_typeEbEEZZNS1_14partition_implILS5_6ELb0ES3_mN6thrust23THRUST_200600_302600_NS6detail15normal_iteratorINSA_10device_ptrIdEEEEPS6_SG_NS0_5tupleIJNSA_16discard_iteratorINSA_11use_defaultEEES6_EEENSH_IJSG_SG_EEES6_PlJNSB_9not_fun_tINSB_14equal_to_valueIdEEEEEEE10hipError_tPvRmT3_T4_T5_T6_T7_T9_mT8_P12ihipStream_tbDpT10_ENKUlT_T0_E_clISt17integral_constantIbLb1EES1B_EEDaS16_S17_EUlS16_E_NS1_11comp_targetILNS1_3genE5ELNS1_11target_archE942ELNS1_3gpuE9ELNS1_3repE0EEENS1_30default_config_static_selectorELNS0_4arch9wavefront6targetE0EEEvT1_.has_indirect_call, 0
	.section	.AMDGPU.csdata,"",@progbits
; Kernel info:
; codeLenInByte = 0
; TotalNumSgprs: 0
; NumVgprs: 0
; ScratchSize: 0
; MemoryBound: 0
; FloatMode: 240
; IeeeMode: 1
; LDSByteSize: 0 bytes/workgroup (compile time only)
; SGPRBlocks: 0
; VGPRBlocks: 0
; NumSGPRsForWavesPerEU: 1
; NumVGPRsForWavesPerEU: 1
; Occupancy: 16
; WaveLimiterHint : 0
; COMPUTE_PGM_RSRC2:SCRATCH_EN: 0
; COMPUTE_PGM_RSRC2:USER_SGPR: 2
; COMPUTE_PGM_RSRC2:TRAP_HANDLER: 0
; COMPUTE_PGM_RSRC2:TGID_X_EN: 1
; COMPUTE_PGM_RSRC2:TGID_Y_EN: 0
; COMPUTE_PGM_RSRC2:TGID_Z_EN: 0
; COMPUTE_PGM_RSRC2:TIDIG_COMP_CNT: 0
	.section	.text._ZN7rocprim17ROCPRIM_400000_NS6detail17trampoline_kernelINS0_14default_configENS1_25partition_config_selectorILNS1_17partition_subalgoE6EdNS0_10empty_typeEbEEZZNS1_14partition_implILS5_6ELb0ES3_mN6thrust23THRUST_200600_302600_NS6detail15normal_iteratorINSA_10device_ptrIdEEEEPS6_SG_NS0_5tupleIJNSA_16discard_iteratorINSA_11use_defaultEEES6_EEENSH_IJSG_SG_EEES6_PlJNSB_9not_fun_tINSB_14equal_to_valueIdEEEEEEE10hipError_tPvRmT3_T4_T5_T6_T7_T9_mT8_P12ihipStream_tbDpT10_ENKUlT_T0_E_clISt17integral_constantIbLb1EES1B_EEDaS16_S17_EUlS16_E_NS1_11comp_targetILNS1_3genE4ELNS1_11target_archE910ELNS1_3gpuE8ELNS1_3repE0EEENS1_30default_config_static_selectorELNS0_4arch9wavefront6targetE0EEEvT1_,"axG",@progbits,_ZN7rocprim17ROCPRIM_400000_NS6detail17trampoline_kernelINS0_14default_configENS1_25partition_config_selectorILNS1_17partition_subalgoE6EdNS0_10empty_typeEbEEZZNS1_14partition_implILS5_6ELb0ES3_mN6thrust23THRUST_200600_302600_NS6detail15normal_iteratorINSA_10device_ptrIdEEEEPS6_SG_NS0_5tupleIJNSA_16discard_iteratorINSA_11use_defaultEEES6_EEENSH_IJSG_SG_EEES6_PlJNSB_9not_fun_tINSB_14equal_to_valueIdEEEEEEE10hipError_tPvRmT3_T4_T5_T6_T7_T9_mT8_P12ihipStream_tbDpT10_ENKUlT_T0_E_clISt17integral_constantIbLb1EES1B_EEDaS16_S17_EUlS16_E_NS1_11comp_targetILNS1_3genE4ELNS1_11target_archE910ELNS1_3gpuE8ELNS1_3repE0EEENS1_30default_config_static_selectorELNS0_4arch9wavefront6targetE0EEEvT1_,comdat
	.protected	_ZN7rocprim17ROCPRIM_400000_NS6detail17trampoline_kernelINS0_14default_configENS1_25partition_config_selectorILNS1_17partition_subalgoE6EdNS0_10empty_typeEbEEZZNS1_14partition_implILS5_6ELb0ES3_mN6thrust23THRUST_200600_302600_NS6detail15normal_iteratorINSA_10device_ptrIdEEEEPS6_SG_NS0_5tupleIJNSA_16discard_iteratorINSA_11use_defaultEEES6_EEENSH_IJSG_SG_EEES6_PlJNSB_9not_fun_tINSB_14equal_to_valueIdEEEEEEE10hipError_tPvRmT3_T4_T5_T6_T7_T9_mT8_P12ihipStream_tbDpT10_ENKUlT_T0_E_clISt17integral_constantIbLb1EES1B_EEDaS16_S17_EUlS16_E_NS1_11comp_targetILNS1_3genE4ELNS1_11target_archE910ELNS1_3gpuE8ELNS1_3repE0EEENS1_30default_config_static_selectorELNS0_4arch9wavefront6targetE0EEEvT1_ ; -- Begin function _ZN7rocprim17ROCPRIM_400000_NS6detail17trampoline_kernelINS0_14default_configENS1_25partition_config_selectorILNS1_17partition_subalgoE6EdNS0_10empty_typeEbEEZZNS1_14partition_implILS5_6ELb0ES3_mN6thrust23THRUST_200600_302600_NS6detail15normal_iteratorINSA_10device_ptrIdEEEEPS6_SG_NS0_5tupleIJNSA_16discard_iteratorINSA_11use_defaultEEES6_EEENSH_IJSG_SG_EEES6_PlJNSB_9not_fun_tINSB_14equal_to_valueIdEEEEEEE10hipError_tPvRmT3_T4_T5_T6_T7_T9_mT8_P12ihipStream_tbDpT10_ENKUlT_T0_E_clISt17integral_constantIbLb1EES1B_EEDaS16_S17_EUlS16_E_NS1_11comp_targetILNS1_3genE4ELNS1_11target_archE910ELNS1_3gpuE8ELNS1_3repE0EEENS1_30default_config_static_selectorELNS0_4arch9wavefront6targetE0EEEvT1_
	.globl	_ZN7rocprim17ROCPRIM_400000_NS6detail17trampoline_kernelINS0_14default_configENS1_25partition_config_selectorILNS1_17partition_subalgoE6EdNS0_10empty_typeEbEEZZNS1_14partition_implILS5_6ELb0ES3_mN6thrust23THRUST_200600_302600_NS6detail15normal_iteratorINSA_10device_ptrIdEEEEPS6_SG_NS0_5tupleIJNSA_16discard_iteratorINSA_11use_defaultEEES6_EEENSH_IJSG_SG_EEES6_PlJNSB_9not_fun_tINSB_14equal_to_valueIdEEEEEEE10hipError_tPvRmT3_T4_T5_T6_T7_T9_mT8_P12ihipStream_tbDpT10_ENKUlT_T0_E_clISt17integral_constantIbLb1EES1B_EEDaS16_S17_EUlS16_E_NS1_11comp_targetILNS1_3genE4ELNS1_11target_archE910ELNS1_3gpuE8ELNS1_3repE0EEENS1_30default_config_static_selectorELNS0_4arch9wavefront6targetE0EEEvT1_
	.p2align	8
	.type	_ZN7rocprim17ROCPRIM_400000_NS6detail17trampoline_kernelINS0_14default_configENS1_25partition_config_selectorILNS1_17partition_subalgoE6EdNS0_10empty_typeEbEEZZNS1_14partition_implILS5_6ELb0ES3_mN6thrust23THRUST_200600_302600_NS6detail15normal_iteratorINSA_10device_ptrIdEEEEPS6_SG_NS0_5tupleIJNSA_16discard_iteratorINSA_11use_defaultEEES6_EEENSH_IJSG_SG_EEES6_PlJNSB_9not_fun_tINSB_14equal_to_valueIdEEEEEEE10hipError_tPvRmT3_T4_T5_T6_T7_T9_mT8_P12ihipStream_tbDpT10_ENKUlT_T0_E_clISt17integral_constantIbLb1EES1B_EEDaS16_S17_EUlS16_E_NS1_11comp_targetILNS1_3genE4ELNS1_11target_archE910ELNS1_3gpuE8ELNS1_3repE0EEENS1_30default_config_static_selectorELNS0_4arch9wavefront6targetE0EEEvT1_,@function
_ZN7rocprim17ROCPRIM_400000_NS6detail17trampoline_kernelINS0_14default_configENS1_25partition_config_selectorILNS1_17partition_subalgoE6EdNS0_10empty_typeEbEEZZNS1_14partition_implILS5_6ELb0ES3_mN6thrust23THRUST_200600_302600_NS6detail15normal_iteratorINSA_10device_ptrIdEEEEPS6_SG_NS0_5tupleIJNSA_16discard_iteratorINSA_11use_defaultEEES6_EEENSH_IJSG_SG_EEES6_PlJNSB_9not_fun_tINSB_14equal_to_valueIdEEEEEEE10hipError_tPvRmT3_T4_T5_T6_T7_T9_mT8_P12ihipStream_tbDpT10_ENKUlT_T0_E_clISt17integral_constantIbLb1EES1B_EEDaS16_S17_EUlS16_E_NS1_11comp_targetILNS1_3genE4ELNS1_11target_archE910ELNS1_3gpuE8ELNS1_3repE0EEENS1_30default_config_static_selectorELNS0_4arch9wavefront6targetE0EEEvT1_: ; @_ZN7rocprim17ROCPRIM_400000_NS6detail17trampoline_kernelINS0_14default_configENS1_25partition_config_selectorILNS1_17partition_subalgoE6EdNS0_10empty_typeEbEEZZNS1_14partition_implILS5_6ELb0ES3_mN6thrust23THRUST_200600_302600_NS6detail15normal_iteratorINSA_10device_ptrIdEEEEPS6_SG_NS0_5tupleIJNSA_16discard_iteratorINSA_11use_defaultEEES6_EEENSH_IJSG_SG_EEES6_PlJNSB_9not_fun_tINSB_14equal_to_valueIdEEEEEEE10hipError_tPvRmT3_T4_T5_T6_T7_T9_mT8_P12ihipStream_tbDpT10_ENKUlT_T0_E_clISt17integral_constantIbLb1EES1B_EEDaS16_S17_EUlS16_E_NS1_11comp_targetILNS1_3genE4ELNS1_11target_archE910ELNS1_3gpuE8ELNS1_3repE0EEENS1_30default_config_static_selectorELNS0_4arch9wavefront6targetE0EEEvT1_
; %bb.0:
	.section	.rodata,"a",@progbits
	.p2align	6, 0x0
	.amdhsa_kernel _ZN7rocprim17ROCPRIM_400000_NS6detail17trampoline_kernelINS0_14default_configENS1_25partition_config_selectorILNS1_17partition_subalgoE6EdNS0_10empty_typeEbEEZZNS1_14partition_implILS5_6ELb0ES3_mN6thrust23THRUST_200600_302600_NS6detail15normal_iteratorINSA_10device_ptrIdEEEEPS6_SG_NS0_5tupleIJNSA_16discard_iteratorINSA_11use_defaultEEES6_EEENSH_IJSG_SG_EEES6_PlJNSB_9not_fun_tINSB_14equal_to_valueIdEEEEEEE10hipError_tPvRmT3_T4_T5_T6_T7_T9_mT8_P12ihipStream_tbDpT10_ENKUlT_T0_E_clISt17integral_constantIbLb1EES1B_EEDaS16_S17_EUlS16_E_NS1_11comp_targetILNS1_3genE4ELNS1_11target_archE910ELNS1_3gpuE8ELNS1_3repE0EEENS1_30default_config_static_selectorELNS0_4arch9wavefront6targetE0EEEvT1_
		.amdhsa_group_segment_fixed_size 0
		.amdhsa_private_segment_fixed_size 0
		.amdhsa_kernarg_size 136
		.amdhsa_user_sgpr_count 2
		.amdhsa_user_sgpr_dispatch_ptr 0
		.amdhsa_user_sgpr_queue_ptr 0
		.amdhsa_user_sgpr_kernarg_segment_ptr 1
		.amdhsa_user_sgpr_dispatch_id 0
		.amdhsa_user_sgpr_private_segment_size 0
		.amdhsa_wavefront_size32 1
		.amdhsa_uses_dynamic_stack 0
		.amdhsa_enable_private_segment 0
		.amdhsa_system_sgpr_workgroup_id_x 1
		.amdhsa_system_sgpr_workgroup_id_y 0
		.amdhsa_system_sgpr_workgroup_id_z 0
		.amdhsa_system_sgpr_workgroup_info 0
		.amdhsa_system_vgpr_workitem_id 0
		.amdhsa_next_free_vgpr 1
		.amdhsa_next_free_sgpr 1
		.amdhsa_reserve_vcc 0
		.amdhsa_float_round_mode_32 0
		.amdhsa_float_round_mode_16_64 0
		.amdhsa_float_denorm_mode_32 3
		.amdhsa_float_denorm_mode_16_64 3
		.amdhsa_fp16_overflow 0
		.amdhsa_workgroup_processor_mode 1
		.amdhsa_memory_ordered 1
		.amdhsa_forward_progress 1
		.amdhsa_inst_pref_size 0
		.amdhsa_round_robin_scheduling 0
		.amdhsa_exception_fp_ieee_invalid_op 0
		.amdhsa_exception_fp_denorm_src 0
		.amdhsa_exception_fp_ieee_div_zero 0
		.amdhsa_exception_fp_ieee_overflow 0
		.amdhsa_exception_fp_ieee_underflow 0
		.amdhsa_exception_fp_ieee_inexact 0
		.amdhsa_exception_int_div_zero 0
	.end_amdhsa_kernel
	.section	.text._ZN7rocprim17ROCPRIM_400000_NS6detail17trampoline_kernelINS0_14default_configENS1_25partition_config_selectorILNS1_17partition_subalgoE6EdNS0_10empty_typeEbEEZZNS1_14partition_implILS5_6ELb0ES3_mN6thrust23THRUST_200600_302600_NS6detail15normal_iteratorINSA_10device_ptrIdEEEEPS6_SG_NS0_5tupleIJNSA_16discard_iteratorINSA_11use_defaultEEES6_EEENSH_IJSG_SG_EEES6_PlJNSB_9not_fun_tINSB_14equal_to_valueIdEEEEEEE10hipError_tPvRmT3_T4_T5_T6_T7_T9_mT8_P12ihipStream_tbDpT10_ENKUlT_T0_E_clISt17integral_constantIbLb1EES1B_EEDaS16_S17_EUlS16_E_NS1_11comp_targetILNS1_3genE4ELNS1_11target_archE910ELNS1_3gpuE8ELNS1_3repE0EEENS1_30default_config_static_selectorELNS0_4arch9wavefront6targetE0EEEvT1_,"axG",@progbits,_ZN7rocprim17ROCPRIM_400000_NS6detail17trampoline_kernelINS0_14default_configENS1_25partition_config_selectorILNS1_17partition_subalgoE6EdNS0_10empty_typeEbEEZZNS1_14partition_implILS5_6ELb0ES3_mN6thrust23THRUST_200600_302600_NS6detail15normal_iteratorINSA_10device_ptrIdEEEEPS6_SG_NS0_5tupleIJNSA_16discard_iteratorINSA_11use_defaultEEES6_EEENSH_IJSG_SG_EEES6_PlJNSB_9not_fun_tINSB_14equal_to_valueIdEEEEEEE10hipError_tPvRmT3_T4_T5_T6_T7_T9_mT8_P12ihipStream_tbDpT10_ENKUlT_T0_E_clISt17integral_constantIbLb1EES1B_EEDaS16_S17_EUlS16_E_NS1_11comp_targetILNS1_3genE4ELNS1_11target_archE910ELNS1_3gpuE8ELNS1_3repE0EEENS1_30default_config_static_selectorELNS0_4arch9wavefront6targetE0EEEvT1_,comdat
.Lfunc_end1575:
	.size	_ZN7rocprim17ROCPRIM_400000_NS6detail17trampoline_kernelINS0_14default_configENS1_25partition_config_selectorILNS1_17partition_subalgoE6EdNS0_10empty_typeEbEEZZNS1_14partition_implILS5_6ELb0ES3_mN6thrust23THRUST_200600_302600_NS6detail15normal_iteratorINSA_10device_ptrIdEEEEPS6_SG_NS0_5tupleIJNSA_16discard_iteratorINSA_11use_defaultEEES6_EEENSH_IJSG_SG_EEES6_PlJNSB_9not_fun_tINSB_14equal_to_valueIdEEEEEEE10hipError_tPvRmT3_T4_T5_T6_T7_T9_mT8_P12ihipStream_tbDpT10_ENKUlT_T0_E_clISt17integral_constantIbLb1EES1B_EEDaS16_S17_EUlS16_E_NS1_11comp_targetILNS1_3genE4ELNS1_11target_archE910ELNS1_3gpuE8ELNS1_3repE0EEENS1_30default_config_static_selectorELNS0_4arch9wavefront6targetE0EEEvT1_, .Lfunc_end1575-_ZN7rocprim17ROCPRIM_400000_NS6detail17trampoline_kernelINS0_14default_configENS1_25partition_config_selectorILNS1_17partition_subalgoE6EdNS0_10empty_typeEbEEZZNS1_14partition_implILS5_6ELb0ES3_mN6thrust23THRUST_200600_302600_NS6detail15normal_iteratorINSA_10device_ptrIdEEEEPS6_SG_NS0_5tupleIJNSA_16discard_iteratorINSA_11use_defaultEEES6_EEENSH_IJSG_SG_EEES6_PlJNSB_9not_fun_tINSB_14equal_to_valueIdEEEEEEE10hipError_tPvRmT3_T4_T5_T6_T7_T9_mT8_P12ihipStream_tbDpT10_ENKUlT_T0_E_clISt17integral_constantIbLb1EES1B_EEDaS16_S17_EUlS16_E_NS1_11comp_targetILNS1_3genE4ELNS1_11target_archE910ELNS1_3gpuE8ELNS1_3repE0EEENS1_30default_config_static_selectorELNS0_4arch9wavefront6targetE0EEEvT1_
                                        ; -- End function
	.set _ZN7rocprim17ROCPRIM_400000_NS6detail17trampoline_kernelINS0_14default_configENS1_25partition_config_selectorILNS1_17partition_subalgoE6EdNS0_10empty_typeEbEEZZNS1_14partition_implILS5_6ELb0ES3_mN6thrust23THRUST_200600_302600_NS6detail15normal_iteratorINSA_10device_ptrIdEEEEPS6_SG_NS0_5tupleIJNSA_16discard_iteratorINSA_11use_defaultEEES6_EEENSH_IJSG_SG_EEES6_PlJNSB_9not_fun_tINSB_14equal_to_valueIdEEEEEEE10hipError_tPvRmT3_T4_T5_T6_T7_T9_mT8_P12ihipStream_tbDpT10_ENKUlT_T0_E_clISt17integral_constantIbLb1EES1B_EEDaS16_S17_EUlS16_E_NS1_11comp_targetILNS1_3genE4ELNS1_11target_archE910ELNS1_3gpuE8ELNS1_3repE0EEENS1_30default_config_static_selectorELNS0_4arch9wavefront6targetE0EEEvT1_.num_vgpr, 0
	.set _ZN7rocprim17ROCPRIM_400000_NS6detail17trampoline_kernelINS0_14default_configENS1_25partition_config_selectorILNS1_17partition_subalgoE6EdNS0_10empty_typeEbEEZZNS1_14partition_implILS5_6ELb0ES3_mN6thrust23THRUST_200600_302600_NS6detail15normal_iteratorINSA_10device_ptrIdEEEEPS6_SG_NS0_5tupleIJNSA_16discard_iteratorINSA_11use_defaultEEES6_EEENSH_IJSG_SG_EEES6_PlJNSB_9not_fun_tINSB_14equal_to_valueIdEEEEEEE10hipError_tPvRmT3_T4_T5_T6_T7_T9_mT8_P12ihipStream_tbDpT10_ENKUlT_T0_E_clISt17integral_constantIbLb1EES1B_EEDaS16_S17_EUlS16_E_NS1_11comp_targetILNS1_3genE4ELNS1_11target_archE910ELNS1_3gpuE8ELNS1_3repE0EEENS1_30default_config_static_selectorELNS0_4arch9wavefront6targetE0EEEvT1_.num_agpr, 0
	.set _ZN7rocprim17ROCPRIM_400000_NS6detail17trampoline_kernelINS0_14default_configENS1_25partition_config_selectorILNS1_17partition_subalgoE6EdNS0_10empty_typeEbEEZZNS1_14partition_implILS5_6ELb0ES3_mN6thrust23THRUST_200600_302600_NS6detail15normal_iteratorINSA_10device_ptrIdEEEEPS6_SG_NS0_5tupleIJNSA_16discard_iteratorINSA_11use_defaultEEES6_EEENSH_IJSG_SG_EEES6_PlJNSB_9not_fun_tINSB_14equal_to_valueIdEEEEEEE10hipError_tPvRmT3_T4_T5_T6_T7_T9_mT8_P12ihipStream_tbDpT10_ENKUlT_T0_E_clISt17integral_constantIbLb1EES1B_EEDaS16_S17_EUlS16_E_NS1_11comp_targetILNS1_3genE4ELNS1_11target_archE910ELNS1_3gpuE8ELNS1_3repE0EEENS1_30default_config_static_selectorELNS0_4arch9wavefront6targetE0EEEvT1_.numbered_sgpr, 0
	.set _ZN7rocprim17ROCPRIM_400000_NS6detail17trampoline_kernelINS0_14default_configENS1_25partition_config_selectorILNS1_17partition_subalgoE6EdNS0_10empty_typeEbEEZZNS1_14partition_implILS5_6ELb0ES3_mN6thrust23THRUST_200600_302600_NS6detail15normal_iteratorINSA_10device_ptrIdEEEEPS6_SG_NS0_5tupleIJNSA_16discard_iteratorINSA_11use_defaultEEES6_EEENSH_IJSG_SG_EEES6_PlJNSB_9not_fun_tINSB_14equal_to_valueIdEEEEEEE10hipError_tPvRmT3_T4_T5_T6_T7_T9_mT8_P12ihipStream_tbDpT10_ENKUlT_T0_E_clISt17integral_constantIbLb1EES1B_EEDaS16_S17_EUlS16_E_NS1_11comp_targetILNS1_3genE4ELNS1_11target_archE910ELNS1_3gpuE8ELNS1_3repE0EEENS1_30default_config_static_selectorELNS0_4arch9wavefront6targetE0EEEvT1_.num_named_barrier, 0
	.set _ZN7rocprim17ROCPRIM_400000_NS6detail17trampoline_kernelINS0_14default_configENS1_25partition_config_selectorILNS1_17partition_subalgoE6EdNS0_10empty_typeEbEEZZNS1_14partition_implILS5_6ELb0ES3_mN6thrust23THRUST_200600_302600_NS6detail15normal_iteratorINSA_10device_ptrIdEEEEPS6_SG_NS0_5tupleIJNSA_16discard_iteratorINSA_11use_defaultEEES6_EEENSH_IJSG_SG_EEES6_PlJNSB_9not_fun_tINSB_14equal_to_valueIdEEEEEEE10hipError_tPvRmT3_T4_T5_T6_T7_T9_mT8_P12ihipStream_tbDpT10_ENKUlT_T0_E_clISt17integral_constantIbLb1EES1B_EEDaS16_S17_EUlS16_E_NS1_11comp_targetILNS1_3genE4ELNS1_11target_archE910ELNS1_3gpuE8ELNS1_3repE0EEENS1_30default_config_static_selectorELNS0_4arch9wavefront6targetE0EEEvT1_.private_seg_size, 0
	.set _ZN7rocprim17ROCPRIM_400000_NS6detail17trampoline_kernelINS0_14default_configENS1_25partition_config_selectorILNS1_17partition_subalgoE6EdNS0_10empty_typeEbEEZZNS1_14partition_implILS5_6ELb0ES3_mN6thrust23THRUST_200600_302600_NS6detail15normal_iteratorINSA_10device_ptrIdEEEEPS6_SG_NS0_5tupleIJNSA_16discard_iteratorINSA_11use_defaultEEES6_EEENSH_IJSG_SG_EEES6_PlJNSB_9not_fun_tINSB_14equal_to_valueIdEEEEEEE10hipError_tPvRmT3_T4_T5_T6_T7_T9_mT8_P12ihipStream_tbDpT10_ENKUlT_T0_E_clISt17integral_constantIbLb1EES1B_EEDaS16_S17_EUlS16_E_NS1_11comp_targetILNS1_3genE4ELNS1_11target_archE910ELNS1_3gpuE8ELNS1_3repE0EEENS1_30default_config_static_selectorELNS0_4arch9wavefront6targetE0EEEvT1_.uses_vcc, 0
	.set _ZN7rocprim17ROCPRIM_400000_NS6detail17trampoline_kernelINS0_14default_configENS1_25partition_config_selectorILNS1_17partition_subalgoE6EdNS0_10empty_typeEbEEZZNS1_14partition_implILS5_6ELb0ES3_mN6thrust23THRUST_200600_302600_NS6detail15normal_iteratorINSA_10device_ptrIdEEEEPS6_SG_NS0_5tupleIJNSA_16discard_iteratorINSA_11use_defaultEEES6_EEENSH_IJSG_SG_EEES6_PlJNSB_9not_fun_tINSB_14equal_to_valueIdEEEEEEE10hipError_tPvRmT3_T4_T5_T6_T7_T9_mT8_P12ihipStream_tbDpT10_ENKUlT_T0_E_clISt17integral_constantIbLb1EES1B_EEDaS16_S17_EUlS16_E_NS1_11comp_targetILNS1_3genE4ELNS1_11target_archE910ELNS1_3gpuE8ELNS1_3repE0EEENS1_30default_config_static_selectorELNS0_4arch9wavefront6targetE0EEEvT1_.uses_flat_scratch, 0
	.set _ZN7rocprim17ROCPRIM_400000_NS6detail17trampoline_kernelINS0_14default_configENS1_25partition_config_selectorILNS1_17partition_subalgoE6EdNS0_10empty_typeEbEEZZNS1_14partition_implILS5_6ELb0ES3_mN6thrust23THRUST_200600_302600_NS6detail15normal_iteratorINSA_10device_ptrIdEEEEPS6_SG_NS0_5tupleIJNSA_16discard_iteratorINSA_11use_defaultEEES6_EEENSH_IJSG_SG_EEES6_PlJNSB_9not_fun_tINSB_14equal_to_valueIdEEEEEEE10hipError_tPvRmT3_T4_T5_T6_T7_T9_mT8_P12ihipStream_tbDpT10_ENKUlT_T0_E_clISt17integral_constantIbLb1EES1B_EEDaS16_S17_EUlS16_E_NS1_11comp_targetILNS1_3genE4ELNS1_11target_archE910ELNS1_3gpuE8ELNS1_3repE0EEENS1_30default_config_static_selectorELNS0_4arch9wavefront6targetE0EEEvT1_.has_dyn_sized_stack, 0
	.set _ZN7rocprim17ROCPRIM_400000_NS6detail17trampoline_kernelINS0_14default_configENS1_25partition_config_selectorILNS1_17partition_subalgoE6EdNS0_10empty_typeEbEEZZNS1_14partition_implILS5_6ELb0ES3_mN6thrust23THRUST_200600_302600_NS6detail15normal_iteratorINSA_10device_ptrIdEEEEPS6_SG_NS0_5tupleIJNSA_16discard_iteratorINSA_11use_defaultEEES6_EEENSH_IJSG_SG_EEES6_PlJNSB_9not_fun_tINSB_14equal_to_valueIdEEEEEEE10hipError_tPvRmT3_T4_T5_T6_T7_T9_mT8_P12ihipStream_tbDpT10_ENKUlT_T0_E_clISt17integral_constantIbLb1EES1B_EEDaS16_S17_EUlS16_E_NS1_11comp_targetILNS1_3genE4ELNS1_11target_archE910ELNS1_3gpuE8ELNS1_3repE0EEENS1_30default_config_static_selectorELNS0_4arch9wavefront6targetE0EEEvT1_.has_recursion, 0
	.set _ZN7rocprim17ROCPRIM_400000_NS6detail17trampoline_kernelINS0_14default_configENS1_25partition_config_selectorILNS1_17partition_subalgoE6EdNS0_10empty_typeEbEEZZNS1_14partition_implILS5_6ELb0ES3_mN6thrust23THRUST_200600_302600_NS6detail15normal_iteratorINSA_10device_ptrIdEEEEPS6_SG_NS0_5tupleIJNSA_16discard_iteratorINSA_11use_defaultEEES6_EEENSH_IJSG_SG_EEES6_PlJNSB_9not_fun_tINSB_14equal_to_valueIdEEEEEEE10hipError_tPvRmT3_T4_T5_T6_T7_T9_mT8_P12ihipStream_tbDpT10_ENKUlT_T0_E_clISt17integral_constantIbLb1EES1B_EEDaS16_S17_EUlS16_E_NS1_11comp_targetILNS1_3genE4ELNS1_11target_archE910ELNS1_3gpuE8ELNS1_3repE0EEENS1_30default_config_static_selectorELNS0_4arch9wavefront6targetE0EEEvT1_.has_indirect_call, 0
	.section	.AMDGPU.csdata,"",@progbits
; Kernel info:
; codeLenInByte = 0
; TotalNumSgprs: 0
; NumVgprs: 0
; ScratchSize: 0
; MemoryBound: 0
; FloatMode: 240
; IeeeMode: 1
; LDSByteSize: 0 bytes/workgroup (compile time only)
; SGPRBlocks: 0
; VGPRBlocks: 0
; NumSGPRsForWavesPerEU: 1
; NumVGPRsForWavesPerEU: 1
; Occupancy: 16
; WaveLimiterHint : 0
; COMPUTE_PGM_RSRC2:SCRATCH_EN: 0
; COMPUTE_PGM_RSRC2:USER_SGPR: 2
; COMPUTE_PGM_RSRC2:TRAP_HANDLER: 0
; COMPUTE_PGM_RSRC2:TGID_X_EN: 1
; COMPUTE_PGM_RSRC2:TGID_Y_EN: 0
; COMPUTE_PGM_RSRC2:TGID_Z_EN: 0
; COMPUTE_PGM_RSRC2:TIDIG_COMP_CNT: 0
	.section	.text._ZN7rocprim17ROCPRIM_400000_NS6detail17trampoline_kernelINS0_14default_configENS1_25partition_config_selectorILNS1_17partition_subalgoE6EdNS0_10empty_typeEbEEZZNS1_14partition_implILS5_6ELb0ES3_mN6thrust23THRUST_200600_302600_NS6detail15normal_iteratorINSA_10device_ptrIdEEEEPS6_SG_NS0_5tupleIJNSA_16discard_iteratorINSA_11use_defaultEEES6_EEENSH_IJSG_SG_EEES6_PlJNSB_9not_fun_tINSB_14equal_to_valueIdEEEEEEE10hipError_tPvRmT3_T4_T5_T6_T7_T9_mT8_P12ihipStream_tbDpT10_ENKUlT_T0_E_clISt17integral_constantIbLb1EES1B_EEDaS16_S17_EUlS16_E_NS1_11comp_targetILNS1_3genE3ELNS1_11target_archE908ELNS1_3gpuE7ELNS1_3repE0EEENS1_30default_config_static_selectorELNS0_4arch9wavefront6targetE0EEEvT1_,"axG",@progbits,_ZN7rocprim17ROCPRIM_400000_NS6detail17trampoline_kernelINS0_14default_configENS1_25partition_config_selectorILNS1_17partition_subalgoE6EdNS0_10empty_typeEbEEZZNS1_14partition_implILS5_6ELb0ES3_mN6thrust23THRUST_200600_302600_NS6detail15normal_iteratorINSA_10device_ptrIdEEEEPS6_SG_NS0_5tupleIJNSA_16discard_iteratorINSA_11use_defaultEEES6_EEENSH_IJSG_SG_EEES6_PlJNSB_9not_fun_tINSB_14equal_to_valueIdEEEEEEE10hipError_tPvRmT3_T4_T5_T6_T7_T9_mT8_P12ihipStream_tbDpT10_ENKUlT_T0_E_clISt17integral_constantIbLb1EES1B_EEDaS16_S17_EUlS16_E_NS1_11comp_targetILNS1_3genE3ELNS1_11target_archE908ELNS1_3gpuE7ELNS1_3repE0EEENS1_30default_config_static_selectorELNS0_4arch9wavefront6targetE0EEEvT1_,comdat
	.protected	_ZN7rocprim17ROCPRIM_400000_NS6detail17trampoline_kernelINS0_14default_configENS1_25partition_config_selectorILNS1_17partition_subalgoE6EdNS0_10empty_typeEbEEZZNS1_14partition_implILS5_6ELb0ES3_mN6thrust23THRUST_200600_302600_NS6detail15normal_iteratorINSA_10device_ptrIdEEEEPS6_SG_NS0_5tupleIJNSA_16discard_iteratorINSA_11use_defaultEEES6_EEENSH_IJSG_SG_EEES6_PlJNSB_9not_fun_tINSB_14equal_to_valueIdEEEEEEE10hipError_tPvRmT3_T4_T5_T6_T7_T9_mT8_P12ihipStream_tbDpT10_ENKUlT_T0_E_clISt17integral_constantIbLb1EES1B_EEDaS16_S17_EUlS16_E_NS1_11comp_targetILNS1_3genE3ELNS1_11target_archE908ELNS1_3gpuE7ELNS1_3repE0EEENS1_30default_config_static_selectorELNS0_4arch9wavefront6targetE0EEEvT1_ ; -- Begin function _ZN7rocprim17ROCPRIM_400000_NS6detail17trampoline_kernelINS0_14default_configENS1_25partition_config_selectorILNS1_17partition_subalgoE6EdNS0_10empty_typeEbEEZZNS1_14partition_implILS5_6ELb0ES3_mN6thrust23THRUST_200600_302600_NS6detail15normal_iteratorINSA_10device_ptrIdEEEEPS6_SG_NS0_5tupleIJNSA_16discard_iteratorINSA_11use_defaultEEES6_EEENSH_IJSG_SG_EEES6_PlJNSB_9not_fun_tINSB_14equal_to_valueIdEEEEEEE10hipError_tPvRmT3_T4_T5_T6_T7_T9_mT8_P12ihipStream_tbDpT10_ENKUlT_T0_E_clISt17integral_constantIbLb1EES1B_EEDaS16_S17_EUlS16_E_NS1_11comp_targetILNS1_3genE3ELNS1_11target_archE908ELNS1_3gpuE7ELNS1_3repE0EEENS1_30default_config_static_selectorELNS0_4arch9wavefront6targetE0EEEvT1_
	.globl	_ZN7rocprim17ROCPRIM_400000_NS6detail17trampoline_kernelINS0_14default_configENS1_25partition_config_selectorILNS1_17partition_subalgoE6EdNS0_10empty_typeEbEEZZNS1_14partition_implILS5_6ELb0ES3_mN6thrust23THRUST_200600_302600_NS6detail15normal_iteratorINSA_10device_ptrIdEEEEPS6_SG_NS0_5tupleIJNSA_16discard_iteratorINSA_11use_defaultEEES6_EEENSH_IJSG_SG_EEES6_PlJNSB_9not_fun_tINSB_14equal_to_valueIdEEEEEEE10hipError_tPvRmT3_T4_T5_T6_T7_T9_mT8_P12ihipStream_tbDpT10_ENKUlT_T0_E_clISt17integral_constantIbLb1EES1B_EEDaS16_S17_EUlS16_E_NS1_11comp_targetILNS1_3genE3ELNS1_11target_archE908ELNS1_3gpuE7ELNS1_3repE0EEENS1_30default_config_static_selectorELNS0_4arch9wavefront6targetE0EEEvT1_
	.p2align	8
	.type	_ZN7rocprim17ROCPRIM_400000_NS6detail17trampoline_kernelINS0_14default_configENS1_25partition_config_selectorILNS1_17partition_subalgoE6EdNS0_10empty_typeEbEEZZNS1_14partition_implILS5_6ELb0ES3_mN6thrust23THRUST_200600_302600_NS6detail15normal_iteratorINSA_10device_ptrIdEEEEPS6_SG_NS0_5tupleIJNSA_16discard_iteratorINSA_11use_defaultEEES6_EEENSH_IJSG_SG_EEES6_PlJNSB_9not_fun_tINSB_14equal_to_valueIdEEEEEEE10hipError_tPvRmT3_T4_T5_T6_T7_T9_mT8_P12ihipStream_tbDpT10_ENKUlT_T0_E_clISt17integral_constantIbLb1EES1B_EEDaS16_S17_EUlS16_E_NS1_11comp_targetILNS1_3genE3ELNS1_11target_archE908ELNS1_3gpuE7ELNS1_3repE0EEENS1_30default_config_static_selectorELNS0_4arch9wavefront6targetE0EEEvT1_,@function
_ZN7rocprim17ROCPRIM_400000_NS6detail17trampoline_kernelINS0_14default_configENS1_25partition_config_selectorILNS1_17partition_subalgoE6EdNS0_10empty_typeEbEEZZNS1_14partition_implILS5_6ELb0ES3_mN6thrust23THRUST_200600_302600_NS6detail15normal_iteratorINSA_10device_ptrIdEEEEPS6_SG_NS0_5tupleIJNSA_16discard_iteratorINSA_11use_defaultEEES6_EEENSH_IJSG_SG_EEES6_PlJNSB_9not_fun_tINSB_14equal_to_valueIdEEEEEEE10hipError_tPvRmT3_T4_T5_T6_T7_T9_mT8_P12ihipStream_tbDpT10_ENKUlT_T0_E_clISt17integral_constantIbLb1EES1B_EEDaS16_S17_EUlS16_E_NS1_11comp_targetILNS1_3genE3ELNS1_11target_archE908ELNS1_3gpuE7ELNS1_3repE0EEENS1_30default_config_static_selectorELNS0_4arch9wavefront6targetE0EEEvT1_: ; @_ZN7rocprim17ROCPRIM_400000_NS6detail17trampoline_kernelINS0_14default_configENS1_25partition_config_selectorILNS1_17partition_subalgoE6EdNS0_10empty_typeEbEEZZNS1_14partition_implILS5_6ELb0ES3_mN6thrust23THRUST_200600_302600_NS6detail15normal_iteratorINSA_10device_ptrIdEEEEPS6_SG_NS0_5tupleIJNSA_16discard_iteratorINSA_11use_defaultEEES6_EEENSH_IJSG_SG_EEES6_PlJNSB_9not_fun_tINSB_14equal_to_valueIdEEEEEEE10hipError_tPvRmT3_T4_T5_T6_T7_T9_mT8_P12ihipStream_tbDpT10_ENKUlT_T0_E_clISt17integral_constantIbLb1EES1B_EEDaS16_S17_EUlS16_E_NS1_11comp_targetILNS1_3genE3ELNS1_11target_archE908ELNS1_3gpuE7ELNS1_3repE0EEENS1_30default_config_static_selectorELNS0_4arch9wavefront6targetE0EEEvT1_
; %bb.0:
	.section	.rodata,"a",@progbits
	.p2align	6, 0x0
	.amdhsa_kernel _ZN7rocprim17ROCPRIM_400000_NS6detail17trampoline_kernelINS0_14default_configENS1_25partition_config_selectorILNS1_17partition_subalgoE6EdNS0_10empty_typeEbEEZZNS1_14partition_implILS5_6ELb0ES3_mN6thrust23THRUST_200600_302600_NS6detail15normal_iteratorINSA_10device_ptrIdEEEEPS6_SG_NS0_5tupleIJNSA_16discard_iteratorINSA_11use_defaultEEES6_EEENSH_IJSG_SG_EEES6_PlJNSB_9not_fun_tINSB_14equal_to_valueIdEEEEEEE10hipError_tPvRmT3_T4_T5_T6_T7_T9_mT8_P12ihipStream_tbDpT10_ENKUlT_T0_E_clISt17integral_constantIbLb1EES1B_EEDaS16_S17_EUlS16_E_NS1_11comp_targetILNS1_3genE3ELNS1_11target_archE908ELNS1_3gpuE7ELNS1_3repE0EEENS1_30default_config_static_selectorELNS0_4arch9wavefront6targetE0EEEvT1_
		.amdhsa_group_segment_fixed_size 0
		.amdhsa_private_segment_fixed_size 0
		.amdhsa_kernarg_size 136
		.amdhsa_user_sgpr_count 2
		.amdhsa_user_sgpr_dispatch_ptr 0
		.amdhsa_user_sgpr_queue_ptr 0
		.amdhsa_user_sgpr_kernarg_segment_ptr 1
		.amdhsa_user_sgpr_dispatch_id 0
		.amdhsa_user_sgpr_private_segment_size 0
		.amdhsa_wavefront_size32 1
		.amdhsa_uses_dynamic_stack 0
		.amdhsa_enable_private_segment 0
		.amdhsa_system_sgpr_workgroup_id_x 1
		.amdhsa_system_sgpr_workgroup_id_y 0
		.amdhsa_system_sgpr_workgroup_id_z 0
		.amdhsa_system_sgpr_workgroup_info 0
		.amdhsa_system_vgpr_workitem_id 0
		.amdhsa_next_free_vgpr 1
		.amdhsa_next_free_sgpr 1
		.amdhsa_reserve_vcc 0
		.amdhsa_float_round_mode_32 0
		.amdhsa_float_round_mode_16_64 0
		.amdhsa_float_denorm_mode_32 3
		.amdhsa_float_denorm_mode_16_64 3
		.amdhsa_fp16_overflow 0
		.amdhsa_workgroup_processor_mode 1
		.amdhsa_memory_ordered 1
		.amdhsa_forward_progress 1
		.amdhsa_inst_pref_size 0
		.amdhsa_round_robin_scheduling 0
		.amdhsa_exception_fp_ieee_invalid_op 0
		.amdhsa_exception_fp_denorm_src 0
		.amdhsa_exception_fp_ieee_div_zero 0
		.amdhsa_exception_fp_ieee_overflow 0
		.amdhsa_exception_fp_ieee_underflow 0
		.amdhsa_exception_fp_ieee_inexact 0
		.amdhsa_exception_int_div_zero 0
	.end_amdhsa_kernel
	.section	.text._ZN7rocprim17ROCPRIM_400000_NS6detail17trampoline_kernelINS0_14default_configENS1_25partition_config_selectorILNS1_17partition_subalgoE6EdNS0_10empty_typeEbEEZZNS1_14partition_implILS5_6ELb0ES3_mN6thrust23THRUST_200600_302600_NS6detail15normal_iteratorINSA_10device_ptrIdEEEEPS6_SG_NS0_5tupleIJNSA_16discard_iteratorINSA_11use_defaultEEES6_EEENSH_IJSG_SG_EEES6_PlJNSB_9not_fun_tINSB_14equal_to_valueIdEEEEEEE10hipError_tPvRmT3_T4_T5_T6_T7_T9_mT8_P12ihipStream_tbDpT10_ENKUlT_T0_E_clISt17integral_constantIbLb1EES1B_EEDaS16_S17_EUlS16_E_NS1_11comp_targetILNS1_3genE3ELNS1_11target_archE908ELNS1_3gpuE7ELNS1_3repE0EEENS1_30default_config_static_selectorELNS0_4arch9wavefront6targetE0EEEvT1_,"axG",@progbits,_ZN7rocprim17ROCPRIM_400000_NS6detail17trampoline_kernelINS0_14default_configENS1_25partition_config_selectorILNS1_17partition_subalgoE6EdNS0_10empty_typeEbEEZZNS1_14partition_implILS5_6ELb0ES3_mN6thrust23THRUST_200600_302600_NS6detail15normal_iteratorINSA_10device_ptrIdEEEEPS6_SG_NS0_5tupleIJNSA_16discard_iteratorINSA_11use_defaultEEES6_EEENSH_IJSG_SG_EEES6_PlJNSB_9not_fun_tINSB_14equal_to_valueIdEEEEEEE10hipError_tPvRmT3_T4_T5_T6_T7_T9_mT8_P12ihipStream_tbDpT10_ENKUlT_T0_E_clISt17integral_constantIbLb1EES1B_EEDaS16_S17_EUlS16_E_NS1_11comp_targetILNS1_3genE3ELNS1_11target_archE908ELNS1_3gpuE7ELNS1_3repE0EEENS1_30default_config_static_selectorELNS0_4arch9wavefront6targetE0EEEvT1_,comdat
.Lfunc_end1576:
	.size	_ZN7rocprim17ROCPRIM_400000_NS6detail17trampoline_kernelINS0_14default_configENS1_25partition_config_selectorILNS1_17partition_subalgoE6EdNS0_10empty_typeEbEEZZNS1_14partition_implILS5_6ELb0ES3_mN6thrust23THRUST_200600_302600_NS6detail15normal_iteratorINSA_10device_ptrIdEEEEPS6_SG_NS0_5tupleIJNSA_16discard_iteratorINSA_11use_defaultEEES6_EEENSH_IJSG_SG_EEES6_PlJNSB_9not_fun_tINSB_14equal_to_valueIdEEEEEEE10hipError_tPvRmT3_T4_T5_T6_T7_T9_mT8_P12ihipStream_tbDpT10_ENKUlT_T0_E_clISt17integral_constantIbLb1EES1B_EEDaS16_S17_EUlS16_E_NS1_11comp_targetILNS1_3genE3ELNS1_11target_archE908ELNS1_3gpuE7ELNS1_3repE0EEENS1_30default_config_static_selectorELNS0_4arch9wavefront6targetE0EEEvT1_, .Lfunc_end1576-_ZN7rocprim17ROCPRIM_400000_NS6detail17trampoline_kernelINS0_14default_configENS1_25partition_config_selectorILNS1_17partition_subalgoE6EdNS0_10empty_typeEbEEZZNS1_14partition_implILS5_6ELb0ES3_mN6thrust23THRUST_200600_302600_NS6detail15normal_iteratorINSA_10device_ptrIdEEEEPS6_SG_NS0_5tupleIJNSA_16discard_iteratorINSA_11use_defaultEEES6_EEENSH_IJSG_SG_EEES6_PlJNSB_9not_fun_tINSB_14equal_to_valueIdEEEEEEE10hipError_tPvRmT3_T4_T5_T6_T7_T9_mT8_P12ihipStream_tbDpT10_ENKUlT_T0_E_clISt17integral_constantIbLb1EES1B_EEDaS16_S17_EUlS16_E_NS1_11comp_targetILNS1_3genE3ELNS1_11target_archE908ELNS1_3gpuE7ELNS1_3repE0EEENS1_30default_config_static_selectorELNS0_4arch9wavefront6targetE0EEEvT1_
                                        ; -- End function
	.set _ZN7rocprim17ROCPRIM_400000_NS6detail17trampoline_kernelINS0_14default_configENS1_25partition_config_selectorILNS1_17partition_subalgoE6EdNS0_10empty_typeEbEEZZNS1_14partition_implILS5_6ELb0ES3_mN6thrust23THRUST_200600_302600_NS6detail15normal_iteratorINSA_10device_ptrIdEEEEPS6_SG_NS0_5tupleIJNSA_16discard_iteratorINSA_11use_defaultEEES6_EEENSH_IJSG_SG_EEES6_PlJNSB_9not_fun_tINSB_14equal_to_valueIdEEEEEEE10hipError_tPvRmT3_T4_T5_T6_T7_T9_mT8_P12ihipStream_tbDpT10_ENKUlT_T0_E_clISt17integral_constantIbLb1EES1B_EEDaS16_S17_EUlS16_E_NS1_11comp_targetILNS1_3genE3ELNS1_11target_archE908ELNS1_3gpuE7ELNS1_3repE0EEENS1_30default_config_static_selectorELNS0_4arch9wavefront6targetE0EEEvT1_.num_vgpr, 0
	.set _ZN7rocprim17ROCPRIM_400000_NS6detail17trampoline_kernelINS0_14default_configENS1_25partition_config_selectorILNS1_17partition_subalgoE6EdNS0_10empty_typeEbEEZZNS1_14partition_implILS5_6ELb0ES3_mN6thrust23THRUST_200600_302600_NS6detail15normal_iteratorINSA_10device_ptrIdEEEEPS6_SG_NS0_5tupleIJNSA_16discard_iteratorINSA_11use_defaultEEES6_EEENSH_IJSG_SG_EEES6_PlJNSB_9not_fun_tINSB_14equal_to_valueIdEEEEEEE10hipError_tPvRmT3_T4_T5_T6_T7_T9_mT8_P12ihipStream_tbDpT10_ENKUlT_T0_E_clISt17integral_constantIbLb1EES1B_EEDaS16_S17_EUlS16_E_NS1_11comp_targetILNS1_3genE3ELNS1_11target_archE908ELNS1_3gpuE7ELNS1_3repE0EEENS1_30default_config_static_selectorELNS0_4arch9wavefront6targetE0EEEvT1_.num_agpr, 0
	.set _ZN7rocprim17ROCPRIM_400000_NS6detail17trampoline_kernelINS0_14default_configENS1_25partition_config_selectorILNS1_17partition_subalgoE6EdNS0_10empty_typeEbEEZZNS1_14partition_implILS5_6ELb0ES3_mN6thrust23THRUST_200600_302600_NS6detail15normal_iteratorINSA_10device_ptrIdEEEEPS6_SG_NS0_5tupleIJNSA_16discard_iteratorINSA_11use_defaultEEES6_EEENSH_IJSG_SG_EEES6_PlJNSB_9not_fun_tINSB_14equal_to_valueIdEEEEEEE10hipError_tPvRmT3_T4_T5_T6_T7_T9_mT8_P12ihipStream_tbDpT10_ENKUlT_T0_E_clISt17integral_constantIbLb1EES1B_EEDaS16_S17_EUlS16_E_NS1_11comp_targetILNS1_3genE3ELNS1_11target_archE908ELNS1_3gpuE7ELNS1_3repE0EEENS1_30default_config_static_selectorELNS0_4arch9wavefront6targetE0EEEvT1_.numbered_sgpr, 0
	.set _ZN7rocprim17ROCPRIM_400000_NS6detail17trampoline_kernelINS0_14default_configENS1_25partition_config_selectorILNS1_17partition_subalgoE6EdNS0_10empty_typeEbEEZZNS1_14partition_implILS5_6ELb0ES3_mN6thrust23THRUST_200600_302600_NS6detail15normal_iteratorINSA_10device_ptrIdEEEEPS6_SG_NS0_5tupleIJNSA_16discard_iteratorINSA_11use_defaultEEES6_EEENSH_IJSG_SG_EEES6_PlJNSB_9not_fun_tINSB_14equal_to_valueIdEEEEEEE10hipError_tPvRmT3_T4_T5_T6_T7_T9_mT8_P12ihipStream_tbDpT10_ENKUlT_T0_E_clISt17integral_constantIbLb1EES1B_EEDaS16_S17_EUlS16_E_NS1_11comp_targetILNS1_3genE3ELNS1_11target_archE908ELNS1_3gpuE7ELNS1_3repE0EEENS1_30default_config_static_selectorELNS0_4arch9wavefront6targetE0EEEvT1_.num_named_barrier, 0
	.set _ZN7rocprim17ROCPRIM_400000_NS6detail17trampoline_kernelINS0_14default_configENS1_25partition_config_selectorILNS1_17partition_subalgoE6EdNS0_10empty_typeEbEEZZNS1_14partition_implILS5_6ELb0ES3_mN6thrust23THRUST_200600_302600_NS6detail15normal_iteratorINSA_10device_ptrIdEEEEPS6_SG_NS0_5tupleIJNSA_16discard_iteratorINSA_11use_defaultEEES6_EEENSH_IJSG_SG_EEES6_PlJNSB_9not_fun_tINSB_14equal_to_valueIdEEEEEEE10hipError_tPvRmT3_T4_T5_T6_T7_T9_mT8_P12ihipStream_tbDpT10_ENKUlT_T0_E_clISt17integral_constantIbLb1EES1B_EEDaS16_S17_EUlS16_E_NS1_11comp_targetILNS1_3genE3ELNS1_11target_archE908ELNS1_3gpuE7ELNS1_3repE0EEENS1_30default_config_static_selectorELNS0_4arch9wavefront6targetE0EEEvT1_.private_seg_size, 0
	.set _ZN7rocprim17ROCPRIM_400000_NS6detail17trampoline_kernelINS0_14default_configENS1_25partition_config_selectorILNS1_17partition_subalgoE6EdNS0_10empty_typeEbEEZZNS1_14partition_implILS5_6ELb0ES3_mN6thrust23THRUST_200600_302600_NS6detail15normal_iteratorINSA_10device_ptrIdEEEEPS6_SG_NS0_5tupleIJNSA_16discard_iteratorINSA_11use_defaultEEES6_EEENSH_IJSG_SG_EEES6_PlJNSB_9not_fun_tINSB_14equal_to_valueIdEEEEEEE10hipError_tPvRmT3_T4_T5_T6_T7_T9_mT8_P12ihipStream_tbDpT10_ENKUlT_T0_E_clISt17integral_constantIbLb1EES1B_EEDaS16_S17_EUlS16_E_NS1_11comp_targetILNS1_3genE3ELNS1_11target_archE908ELNS1_3gpuE7ELNS1_3repE0EEENS1_30default_config_static_selectorELNS0_4arch9wavefront6targetE0EEEvT1_.uses_vcc, 0
	.set _ZN7rocprim17ROCPRIM_400000_NS6detail17trampoline_kernelINS0_14default_configENS1_25partition_config_selectorILNS1_17partition_subalgoE6EdNS0_10empty_typeEbEEZZNS1_14partition_implILS5_6ELb0ES3_mN6thrust23THRUST_200600_302600_NS6detail15normal_iteratorINSA_10device_ptrIdEEEEPS6_SG_NS0_5tupleIJNSA_16discard_iteratorINSA_11use_defaultEEES6_EEENSH_IJSG_SG_EEES6_PlJNSB_9not_fun_tINSB_14equal_to_valueIdEEEEEEE10hipError_tPvRmT3_T4_T5_T6_T7_T9_mT8_P12ihipStream_tbDpT10_ENKUlT_T0_E_clISt17integral_constantIbLb1EES1B_EEDaS16_S17_EUlS16_E_NS1_11comp_targetILNS1_3genE3ELNS1_11target_archE908ELNS1_3gpuE7ELNS1_3repE0EEENS1_30default_config_static_selectorELNS0_4arch9wavefront6targetE0EEEvT1_.uses_flat_scratch, 0
	.set _ZN7rocprim17ROCPRIM_400000_NS6detail17trampoline_kernelINS0_14default_configENS1_25partition_config_selectorILNS1_17partition_subalgoE6EdNS0_10empty_typeEbEEZZNS1_14partition_implILS5_6ELb0ES3_mN6thrust23THRUST_200600_302600_NS6detail15normal_iteratorINSA_10device_ptrIdEEEEPS6_SG_NS0_5tupleIJNSA_16discard_iteratorINSA_11use_defaultEEES6_EEENSH_IJSG_SG_EEES6_PlJNSB_9not_fun_tINSB_14equal_to_valueIdEEEEEEE10hipError_tPvRmT3_T4_T5_T6_T7_T9_mT8_P12ihipStream_tbDpT10_ENKUlT_T0_E_clISt17integral_constantIbLb1EES1B_EEDaS16_S17_EUlS16_E_NS1_11comp_targetILNS1_3genE3ELNS1_11target_archE908ELNS1_3gpuE7ELNS1_3repE0EEENS1_30default_config_static_selectorELNS0_4arch9wavefront6targetE0EEEvT1_.has_dyn_sized_stack, 0
	.set _ZN7rocprim17ROCPRIM_400000_NS6detail17trampoline_kernelINS0_14default_configENS1_25partition_config_selectorILNS1_17partition_subalgoE6EdNS0_10empty_typeEbEEZZNS1_14partition_implILS5_6ELb0ES3_mN6thrust23THRUST_200600_302600_NS6detail15normal_iteratorINSA_10device_ptrIdEEEEPS6_SG_NS0_5tupleIJNSA_16discard_iteratorINSA_11use_defaultEEES6_EEENSH_IJSG_SG_EEES6_PlJNSB_9not_fun_tINSB_14equal_to_valueIdEEEEEEE10hipError_tPvRmT3_T4_T5_T6_T7_T9_mT8_P12ihipStream_tbDpT10_ENKUlT_T0_E_clISt17integral_constantIbLb1EES1B_EEDaS16_S17_EUlS16_E_NS1_11comp_targetILNS1_3genE3ELNS1_11target_archE908ELNS1_3gpuE7ELNS1_3repE0EEENS1_30default_config_static_selectorELNS0_4arch9wavefront6targetE0EEEvT1_.has_recursion, 0
	.set _ZN7rocprim17ROCPRIM_400000_NS6detail17trampoline_kernelINS0_14default_configENS1_25partition_config_selectorILNS1_17partition_subalgoE6EdNS0_10empty_typeEbEEZZNS1_14partition_implILS5_6ELb0ES3_mN6thrust23THRUST_200600_302600_NS6detail15normal_iteratorINSA_10device_ptrIdEEEEPS6_SG_NS0_5tupleIJNSA_16discard_iteratorINSA_11use_defaultEEES6_EEENSH_IJSG_SG_EEES6_PlJNSB_9not_fun_tINSB_14equal_to_valueIdEEEEEEE10hipError_tPvRmT3_T4_T5_T6_T7_T9_mT8_P12ihipStream_tbDpT10_ENKUlT_T0_E_clISt17integral_constantIbLb1EES1B_EEDaS16_S17_EUlS16_E_NS1_11comp_targetILNS1_3genE3ELNS1_11target_archE908ELNS1_3gpuE7ELNS1_3repE0EEENS1_30default_config_static_selectorELNS0_4arch9wavefront6targetE0EEEvT1_.has_indirect_call, 0
	.section	.AMDGPU.csdata,"",@progbits
; Kernel info:
; codeLenInByte = 0
; TotalNumSgprs: 0
; NumVgprs: 0
; ScratchSize: 0
; MemoryBound: 0
; FloatMode: 240
; IeeeMode: 1
; LDSByteSize: 0 bytes/workgroup (compile time only)
; SGPRBlocks: 0
; VGPRBlocks: 0
; NumSGPRsForWavesPerEU: 1
; NumVGPRsForWavesPerEU: 1
; Occupancy: 16
; WaveLimiterHint : 0
; COMPUTE_PGM_RSRC2:SCRATCH_EN: 0
; COMPUTE_PGM_RSRC2:USER_SGPR: 2
; COMPUTE_PGM_RSRC2:TRAP_HANDLER: 0
; COMPUTE_PGM_RSRC2:TGID_X_EN: 1
; COMPUTE_PGM_RSRC2:TGID_Y_EN: 0
; COMPUTE_PGM_RSRC2:TGID_Z_EN: 0
; COMPUTE_PGM_RSRC2:TIDIG_COMP_CNT: 0
	.section	.text._ZN7rocprim17ROCPRIM_400000_NS6detail17trampoline_kernelINS0_14default_configENS1_25partition_config_selectorILNS1_17partition_subalgoE6EdNS0_10empty_typeEbEEZZNS1_14partition_implILS5_6ELb0ES3_mN6thrust23THRUST_200600_302600_NS6detail15normal_iteratorINSA_10device_ptrIdEEEEPS6_SG_NS0_5tupleIJNSA_16discard_iteratorINSA_11use_defaultEEES6_EEENSH_IJSG_SG_EEES6_PlJNSB_9not_fun_tINSB_14equal_to_valueIdEEEEEEE10hipError_tPvRmT3_T4_T5_T6_T7_T9_mT8_P12ihipStream_tbDpT10_ENKUlT_T0_E_clISt17integral_constantIbLb1EES1B_EEDaS16_S17_EUlS16_E_NS1_11comp_targetILNS1_3genE2ELNS1_11target_archE906ELNS1_3gpuE6ELNS1_3repE0EEENS1_30default_config_static_selectorELNS0_4arch9wavefront6targetE0EEEvT1_,"axG",@progbits,_ZN7rocprim17ROCPRIM_400000_NS6detail17trampoline_kernelINS0_14default_configENS1_25partition_config_selectorILNS1_17partition_subalgoE6EdNS0_10empty_typeEbEEZZNS1_14partition_implILS5_6ELb0ES3_mN6thrust23THRUST_200600_302600_NS6detail15normal_iteratorINSA_10device_ptrIdEEEEPS6_SG_NS0_5tupleIJNSA_16discard_iteratorINSA_11use_defaultEEES6_EEENSH_IJSG_SG_EEES6_PlJNSB_9not_fun_tINSB_14equal_to_valueIdEEEEEEE10hipError_tPvRmT3_T4_T5_T6_T7_T9_mT8_P12ihipStream_tbDpT10_ENKUlT_T0_E_clISt17integral_constantIbLb1EES1B_EEDaS16_S17_EUlS16_E_NS1_11comp_targetILNS1_3genE2ELNS1_11target_archE906ELNS1_3gpuE6ELNS1_3repE0EEENS1_30default_config_static_selectorELNS0_4arch9wavefront6targetE0EEEvT1_,comdat
	.protected	_ZN7rocprim17ROCPRIM_400000_NS6detail17trampoline_kernelINS0_14default_configENS1_25partition_config_selectorILNS1_17partition_subalgoE6EdNS0_10empty_typeEbEEZZNS1_14partition_implILS5_6ELb0ES3_mN6thrust23THRUST_200600_302600_NS6detail15normal_iteratorINSA_10device_ptrIdEEEEPS6_SG_NS0_5tupleIJNSA_16discard_iteratorINSA_11use_defaultEEES6_EEENSH_IJSG_SG_EEES6_PlJNSB_9not_fun_tINSB_14equal_to_valueIdEEEEEEE10hipError_tPvRmT3_T4_T5_T6_T7_T9_mT8_P12ihipStream_tbDpT10_ENKUlT_T0_E_clISt17integral_constantIbLb1EES1B_EEDaS16_S17_EUlS16_E_NS1_11comp_targetILNS1_3genE2ELNS1_11target_archE906ELNS1_3gpuE6ELNS1_3repE0EEENS1_30default_config_static_selectorELNS0_4arch9wavefront6targetE0EEEvT1_ ; -- Begin function _ZN7rocprim17ROCPRIM_400000_NS6detail17trampoline_kernelINS0_14default_configENS1_25partition_config_selectorILNS1_17partition_subalgoE6EdNS0_10empty_typeEbEEZZNS1_14partition_implILS5_6ELb0ES3_mN6thrust23THRUST_200600_302600_NS6detail15normal_iteratorINSA_10device_ptrIdEEEEPS6_SG_NS0_5tupleIJNSA_16discard_iteratorINSA_11use_defaultEEES6_EEENSH_IJSG_SG_EEES6_PlJNSB_9not_fun_tINSB_14equal_to_valueIdEEEEEEE10hipError_tPvRmT3_T4_T5_T6_T7_T9_mT8_P12ihipStream_tbDpT10_ENKUlT_T0_E_clISt17integral_constantIbLb1EES1B_EEDaS16_S17_EUlS16_E_NS1_11comp_targetILNS1_3genE2ELNS1_11target_archE906ELNS1_3gpuE6ELNS1_3repE0EEENS1_30default_config_static_selectorELNS0_4arch9wavefront6targetE0EEEvT1_
	.globl	_ZN7rocprim17ROCPRIM_400000_NS6detail17trampoline_kernelINS0_14default_configENS1_25partition_config_selectorILNS1_17partition_subalgoE6EdNS0_10empty_typeEbEEZZNS1_14partition_implILS5_6ELb0ES3_mN6thrust23THRUST_200600_302600_NS6detail15normal_iteratorINSA_10device_ptrIdEEEEPS6_SG_NS0_5tupleIJNSA_16discard_iteratorINSA_11use_defaultEEES6_EEENSH_IJSG_SG_EEES6_PlJNSB_9not_fun_tINSB_14equal_to_valueIdEEEEEEE10hipError_tPvRmT3_T4_T5_T6_T7_T9_mT8_P12ihipStream_tbDpT10_ENKUlT_T0_E_clISt17integral_constantIbLb1EES1B_EEDaS16_S17_EUlS16_E_NS1_11comp_targetILNS1_3genE2ELNS1_11target_archE906ELNS1_3gpuE6ELNS1_3repE0EEENS1_30default_config_static_selectorELNS0_4arch9wavefront6targetE0EEEvT1_
	.p2align	8
	.type	_ZN7rocprim17ROCPRIM_400000_NS6detail17trampoline_kernelINS0_14default_configENS1_25partition_config_selectorILNS1_17partition_subalgoE6EdNS0_10empty_typeEbEEZZNS1_14partition_implILS5_6ELb0ES3_mN6thrust23THRUST_200600_302600_NS6detail15normal_iteratorINSA_10device_ptrIdEEEEPS6_SG_NS0_5tupleIJNSA_16discard_iteratorINSA_11use_defaultEEES6_EEENSH_IJSG_SG_EEES6_PlJNSB_9not_fun_tINSB_14equal_to_valueIdEEEEEEE10hipError_tPvRmT3_T4_T5_T6_T7_T9_mT8_P12ihipStream_tbDpT10_ENKUlT_T0_E_clISt17integral_constantIbLb1EES1B_EEDaS16_S17_EUlS16_E_NS1_11comp_targetILNS1_3genE2ELNS1_11target_archE906ELNS1_3gpuE6ELNS1_3repE0EEENS1_30default_config_static_selectorELNS0_4arch9wavefront6targetE0EEEvT1_,@function
_ZN7rocprim17ROCPRIM_400000_NS6detail17trampoline_kernelINS0_14default_configENS1_25partition_config_selectorILNS1_17partition_subalgoE6EdNS0_10empty_typeEbEEZZNS1_14partition_implILS5_6ELb0ES3_mN6thrust23THRUST_200600_302600_NS6detail15normal_iteratorINSA_10device_ptrIdEEEEPS6_SG_NS0_5tupleIJNSA_16discard_iteratorINSA_11use_defaultEEES6_EEENSH_IJSG_SG_EEES6_PlJNSB_9not_fun_tINSB_14equal_to_valueIdEEEEEEE10hipError_tPvRmT3_T4_T5_T6_T7_T9_mT8_P12ihipStream_tbDpT10_ENKUlT_T0_E_clISt17integral_constantIbLb1EES1B_EEDaS16_S17_EUlS16_E_NS1_11comp_targetILNS1_3genE2ELNS1_11target_archE906ELNS1_3gpuE6ELNS1_3repE0EEENS1_30default_config_static_selectorELNS0_4arch9wavefront6targetE0EEEvT1_: ; @_ZN7rocprim17ROCPRIM_400000_NS6detail17trampoline_kernelINS0_14default_configENS1_25partition_config_selectorILNS1_17partition_subalgoE6EdNS0_10empty_typeEbEEZZNS1_14partition_implILS5_6ELb0ES3_mN6thrust23THRUST_200600_302600_NS6detail15normal_iteratorINSA_10device_ptrIdEEEEPS6_SG_NS0_5tupleIJNSA_16discard_iteratorINSA_11use_defaultEEES6_EEENSH_IJSG_SG_EEES6_PlJNSB_9not_fun_tINSB_14equal_to_valueIdEEEEEEE10hipError_tPvRmT3_T4_T5_T6_T7_T9_mT8_P12ihipStream_tbDpT10_ENKUlT_T0_E_clISt17integral_constantIbLb1EES1B_EEDaS16_S17_EUlS16_E_NS1_11comp_targetILNS1_3genE2ELNS1_11target_archE906ELNS1_3gpuE6ELNS1_3repE0EEENS1_30default_config_static_selectorELNS0_4arch9wavefront6targetE0EEEvT1_
; %bb.0:
	.section	.rodata,"a",@progbits
	.p2align	6, 0x0
	.amdhsa_kernel _ZN7rocprim17ROCPRIM_400000_NS6detail17trampoline_kernelINS0_14default_configENS1_25partition_config_selectorILNS1_17partition_subalgoE6EdNS0_10empty_typeEbEEZZNS1_14partition_implILS5_6ELb0ES3_mN6thrust23THRUST_200600_302600_NS6detail15normal_iteratorINSA_10device_ptrIdEEEEPS6_SG_NS0_5tupleIJNSA_16discard_iteratorINSA_11use_defaultEEES6_EEENSH_IJSG_SG_EEES6_PlJNSB_9not_fun_tINSB_14equal_to_valueIdEEEEEEE10hipError_tPvRmT3_T4_T5_T6_T7_T9_mT8_P12ihipStream_tbDpT10_ENKUlT_T0_E_clISt17integral_constantIbLb1EES1B_EEDaS16_S17_EUlS16_E_NS1_11comp_targetILNS1_3genE2ELNS1_11target_archE906ELNS1_3gpuE6ELNS1_3repE0EEENS1_30default_config_static_selectorELNS0_4arch9wavefront6targetE0EEEvT1_
		.amdhsa_group_segment_fixed_size 0
		.amdhsa_private_segment_fixed_size 0
		.amdhsa_kernarg_size 136
		.amdhsa_user_sgpr_count 2
		.amdhsa_user_sgpr_dispatch_ptr 0
		.amdhsa_user_sgpr_queue_ptr 0
		.amdhsa_user_sgpr_kernarg_segment_ptr 1
		.amdhsa_user_sgpr_dispatch_id 0
		.amdhsa_user_sgpr_private_segment_size 0
		.amdhsa_wavefront_size32 1
		.amdhsa_uses_dynamic_stack 0
		.amdhsa_enable_private_segment 0
		.amdhsa_system_sgpr_workgroup_id_x 1
		.amdhsa_system_sgpr_workgroup_id_y 0
		.amdhsa_system_sgpr_workgroup_id_z 0
		.amdhsa_system_sgpr_workgroup_info 0
		.amdhsa_system_vgpr_workitem_id 0
		.amdhsa_next_free_vgpr 1
		.amdhsa_next_free_sgpr 1
		.amdhsa_reserve_vcc 0
		.amdhsa_float_round_mode_32 0
		.amdhsa_float_round_mode_16_64 0
		.amdhsa_float_denorm_mode_32 3
		.amdhsa_float_denorm_mode_16_64 3
		.amdhsa_fp16_overflow 0
		.amdhsa_workgroup_processor_mode 1
		.amdhsa_memory_ordered 1
		.amdhsa_forward_progress 1
		.amdhsa_inst_pref_size 0
		.amdhsa_round_robin_scheduling 0
		.amdhsa_exception_fp_ieee_invalid_op 0
		.amdhsa_exception_fp_denorm_src 0
		.amdhsa_exception_fp_ieee_div_zero 0
		.amdhsa_exception_fp_ieee_overflow 0
		.amdhsa_exception_fp_ieee_underflow 0
		.amdhsa_exception_fp_ieee_inexact 0
		.amdhsa_exception_int_div_zero 0
	.end_amdhsa_kernel
	.section	.text._ZN7rocprim17ROCPRIM_400000_NS6detail17trampoline_kernelINS0_14default_configENS1_25partition_config_selectorILNS1_17partition_subalgoE6EdNS0_10empty_typeEbEEZZNS1_14partition_implILS5_6ELb0ES3_mN6thrust23THRUST_200600_302600_NS6detail15normal_iteratorINSA_10device_ptrIdEEEEPS6_SG_NS0_5tupleIJNSA_16discard_iteratorINSA_11use_defaultEEES6_EEENSH_IJSG_SG_EEES6_PlJNSB_9not_fun_tINSB_14equal_to_valueIdEEEEEEE10hipError_tPvRmT3_T4_T5_T6_T7_T9_mT8_P12ihipStream_tbDpT10_ENKUlT_T0_E_clISt17integral_constantIbLb1EES1B_EEDaS16_S17_EUlS16_E_NS1_11comp_targetILNS1_3genE2ELNS1_11target_archE906ELNS1_3gpuE6ELNS1_3repE0EEENS1_30default_config_static_selectorELNS0_4arch9wavefront6targetE0EEEvT1_,"axG",@progbits,_ZN7rocprim17ROCPRIM_400000_NS6detail17trampoline_kernelINS0_14default_configENS1_25partition_config_selectorILNS1_17partition_subalgoE6EdNS0_10empty_typeEbEEZZNS1_14partition_implILS5_6ELb0ES3_mN6thrust23THRUST_200600_302600_NS6detail15normal_iteratorINSA_10device_ptrIdEEEEPS6_SG_NS0_5tupleIJNSA_16discard_iteratorINSA_11use_defaultEEES6_EEENSH_IJSG_SG_EEES6_PlJNSB_9not_fun_tINSB_14equal_to_valueIdEEEEEEE10hipError_tPvRmT3_T4_T5_T6_T7_T9_mT8_P12ihipStream_tbDpT10_ENKUlT_T0_E_clISt17integral_constantIbLb1EES1B_EEDaS16_S17_EUlS16_E_NS1_11comp_targetILNS1_3genE2ELNS1_11target_archE906ELNS1_3gpuE6ELNS1_3repE0EEENS1_30default_config_static_selectorELNS0_4arch9wavefront6targetE0EEEvT1_,comdat
.Lfunc_end1577:
	.size	_ZN7rocprim17ROCPRIM_400000_NS6detail17trampoline_kernelINS0_14default_configENS1_25partition_config_selectorILNS1_17partition_subalgoE6EdNS0_10empty_typeEbEEZZNS1_14partition_implILS5_6ELb0ES3_mN6thrust23THRUST_200600_302600_NS6detail15normal_iteratorINSA_10device_ptrIdEEEEPS6_SG_NS0_5tupleIJNSA_16discard_iteratorINSA_11use_defaultEEES6_EEENSH_IJSG_SG_EEES6_PlJNSB_9not_fun_tINSB_14equal_to_valueIdEEEEEEE10hipError_tPvRmT3_T4_T5_T6_T7_T9_mT8_P12ihipStream_tbDpT10_ENKUlT_T0_E_clISt17integral_constantIbLb1EES1B_EEDaS16_S17_EUlS16_E_NS1_11comp_targetILNS1_3genE2ELNS1_11target_archE906ELNS1_3gpuE6ELNS1_3repE0EEENS1_30default_config_static_selectorELNS0_4arch9wavefront6targetE0EEEvT1_, .Lfunc_end1577-_ZN7rocprim17ROCPRIM_400000_NS6detail17trampoline_kernelINS0_14default_configENS1_25partition_config_selectorILNS1_17partition_subalgoE6EdNS0_10empty_typeEbEEZZNS1_14partition_implILS5_6ELb0ES3_mN6thrust23THRUST_200600_302600_NS6detail15normal_iteratorINSA_10device_ptrIdEEEEPS6_SG_NS0_5tupleIJNSA_16discard_iteratorINSA_11use_defaultEEES6_EEENSH_IJSG_SG_EEES6_PlJNSB_9not_fun_tINSB_14equal_to_valueIdEEEEEEE10hipError_tPvRmT3_T4_T5_T6_T7_T9_mT8_P12ihipStream_tbDpT10_ENKUlT_T0_E_clISt17integral_constantIbLb1EES1B_EEDaS16_S17_EUlS16_E_NS1_11comp_targetILNS1_3genE2ELNS1_11target_archE906ELNS1_3gpuE6ELNS1_3repE0EEENS1_30default_config_static_selectorELNS0_4arch9wavefront6targetE0EEEvT1_
                                        ; -- End function
	.set _ZN7rocprim17ROCPRIM_400000_NS6detail17trampoline_kernelINS0_14default_configENS1_25partition_config_selectorILNS1_17partition_subalgoE6EdNS0_10empty_typeEbEEZZNS1_14partition_implILS5_6ELb0ES3_mN6thrust23THRUST_200600_302600_NS6detail15normal_iteratorINSA_10device_ptrIdEEEEPS6_SG_NS0_5tupleIJNSA_16discard_iteratorINSA_11use_defaultEEES6_EEENSH_IJSG_SG_EEES6_PlJNSB_9not_fun_tINSB_14equal_to_valueIdEEEEEEE10hipError_tPvRmT3_T4_T5_T6_T7_T9_mT8_P12ihipStream_tbDpT10_ENKUlT_T0_E_clISt17integral_constantIbLb1EES1B_EEDaS16_S17_EUlS16_E_NS1_11comp_targetILNS1_3genE2ELNS1_11target_archE906ELNS1_3gpuE6ELNS1_3repE0EEENS1_30default_config_static_selectorELNS0_4arch9wavefront6targetE0EEEvT1_.num_vgpr, 0
	.set _ZN7rocprim17ROCPRIM_400000_NS6detail17trampoline_kernelINS0_14default_configENS1_25partition_config_selectorILNS1_17partition_subalgoE6EdNS0_10empty_typeEbEEZZNS1_14partition_implILS5_6ELb0ES3_mN6thrust23THRUST_200600_302600_NS6detail15normal_iteratorINSA_10device_ptrIdEEEEPS6_SG_NS0_5tupleIJNSA_16discard_iteratorINSA_11use_defaultEEES6_EEENSH_IJSG_SG_EEES6_PlJNSB_9not_fun_tINSB_14equal_to_valueIdEEEEEEE10hipError_tPvRmT3_T4_T5_T6_T7_T9_mT8_P12ihipStream_tbDpT10_ENKUlT_T0_E_clISt17integral_constantIbLb1EES1B_EEDaS16_S17_EUlS16_E_NS1_11comp_targetILNS1_3genE2ELNS1_11target_archE906ELNS1_3gpuE6ELNS1_3repE0EEENS1_30default_config_static_selectorELNS0_4arch9wavefront6targetE0EEEvT1_.num_agpr, 0
	.set _ZN7rocprim17ROCPRIM_400000_NS6detail17trampoline_kernelINS0_14default_configENS1_25partition_config_selectorILNS1_17partition_subalgoE6EdNS0_10empty_typeEbEEZZNS1_14partition_implILS5_6ELb0ES3_mN6thrust23THRUST_200600_302600_NS6detail15normal_iteratorINSA_10device_ptrIdEEEEPS6_SG_NS0_5tupleIJNSA_16discard_iteratorINSA_11use_defaultEEES6_EEENSH_IJSG_SG_EEES6_PlJNSB_9not_fun_tINSB_14equal_to_valueIdEEEEEEE10hipError_tPvRmT3_T4_T5_T6_T7_T9_mT8_P12ihipStream_tbDpT10_ENKUlT_T0_E_clISt17integral_constantIbLb1EES1B_EEDaS16_S17_EUlS16_E_NS1_11comp_targetILNS1_3genE2ELNS1_11target_archE906ELNS1_3gpuE6ELNS1_3repE0EEENS1_30default_config_static_selectorELNS0_4arch9wavefront6targetE0EEEvT1_.numbered_sgpr, 0
	.set _ZN7rocprim17ROCPRIM_400000_NS6detail17trampoline_kernelINS0_14default_configENS1_25partition_config_selectorILNS1_17partition_subalgoE6EdNS0_10empty_typeEbEEZZNS1_14partition_implILS5_6ELb0ES3_mN6thrust23THRUST_200600_302600_NS6detail15normal_iteratorINSA_10device_ptrIdEEEEPS6_SG_NS0_5tupleIJNSA_16discard_iteratorINSA_11use_defaultEEES6_EEENSH_IJSG_SG_EEES6_PlJNSB_9not_fun_tINSB_14equal_to_valueIdEEEEEEE10hipError_tPvRmT3_T4_T5_T6_T7_T9_mT8_P12ihipStream_tbDpT10_ENKUlT_T0_E_clISt17integral_constantIbLb1EES1B_EEDaS16_S17_EUlS16_E_NS1_11comp_targetILNS1_3genE2ELNS1_11target_archE906ELNS1_3gpuE6ELNS1_3repE0EEENS1_30default_config_static_selectorELNS0_4arch9wavefront6targetE0EEEvT1_.num_named_barrier, 0
	.set _ZN7rocprim17ROCPRIM_400000_NS6detail17trampoline_kernelINS0_14default_configENS1_25partition_config_selectorILNS1_17partition_subalgoE6EdNS0_10empty_typeEbEEZZNS1_14partition_implILS5_6ELb0ES3_mN6thrust23THRUST_200600_302600_NS6detail15normal_iteratorINSA_10device_ptrIdEEEEPS6_SG_NS0_5tupleIJNSA_16discard_iteratorINSA_11use_defaultEEES6_EEENSH_IJSG_SG_EEES6_PlJNSB_9not_fun_tINSB_14equal_to_valueIdEEEEEEE10hipError_tPvRmT3_T4_T5_T6_T7_T9_mT8_P12ihipStream_tbDpT10_ENKUlT_T0_E_clISt17integral_constantIbLb1EES1B_EEDaS16_S17_EUlS16_E_NS1_11comp_targetILNS1_3genE2ELNS1_11target_archE906ELNS1_3gpuE6ELNS1_3repE0EEENS1_30default_config_static_selectorELNS0_4arch9wavefront6targetE0EEEvT1_.private_seg_size, 0
	.set _ZN7rocprim17ROCPRIM_400000_NS6detail17trampoline_kernelINS0_14default_configENS1_25partition_config_selectorILNS1_17partition_subalgoE6EdNS0_10empty_typeEbEEZZNS1_14partition_implILS5_6ELb0ES3_mN6thrust23THRUST_200600_302600_NS6detail15normal_iteratorINSA_10device_ptrIdEEEEPS6_SG_NS0_5tupleIJNSA_16discard_iteratorINSA_11use_defaultEEES6_EEENSH_IJSG_SG_EEES6_PlJNSB_9not_fun_tINSB_14equal_to_valueIdEEEEEEE10hipError_tPvRmT3_T4_T5_T6_T7_T9_mT8_P12ihipStream_tbDpT10_ENKUlT_T0_E_clISt17integral_constantIbLb1EES1B_EEDaS16_S17_EUlS16_E_NS1_11comp_targetILNS1_3genE2ELNS1_11target_archE906ELNS1_3gpuE6ELNS1_3repE0EEENS1_30default_config_static_selectorELNS0_4arch9wavefront6targetE0EEEvT1_.uses_vcc, 0
	.set _ZN7rocprim17ROCPRIM_400000_NS6detail17trampoline_kernelINS0_14default_configENS1_25partition_config_selectorILNS1_17partition_subalgoE6EdNS0_10empty_typeEbEEZZNS1_14partition_implILS5_6ELb0ES3_mN6thrust23THRUST_200600_302600_NS6detail15normal_iteratorINSA_10device_ptrIdEEEEPS6_SG_NS0_5tupleIJNSA_16discard_iteratorINSA_11use_defaultEEES6_EEENSH_IJSG_SG_EEES6_PlJNSB_9not_fun_tINSB_14equal_to_valueIdEEEEEEE10hipError_tPvRmT3_T4_T5_T6_T7_T9_mT8_P12ihipStream_tbDpT10_ENKUlT_T0_E_clISt17integral_constantIbLb1EES1B_EEDaS16_S17_EUlS16_E_NS1_11comp_targetILNS1_3genE2ELNS1_11target_archE906ELNS1_3gpuE6ELNS1_3repE0EEENS1_30default_config_static_selectorELNS0_4arch9wavefront6targetE0EEEvT1_.uses_flat_scratch, 0
	.set _ZN7rocprim17ROCPRIM_400000_NS6detail17trampoline_kernelINS0_14default_configENS1_25partition_config_selectorILNS1_17partition_subalgoE6EdNS0_10empty_typeEbEEZZNS1_14partition_implILS5_6ELb0ES3_mN6thrust23THRUST_200600_302600_NS6detail15normal_iteratorINSA_10device_ptrIdEEEEPS6_SG_NS0_5tupleIJNSA_16discard_iteratorINSA_11use_defaultEEES6_EEENSH_IJSG_SG_EEES6_PlJNSB_9not_fun_tINSB_14equal_to_valueIdEEEEEEE10hipError_tPvRmT3_T4_T5_T6_T7_T9_mT8_P12ihipStream_tbDpT10_ENKUlT_T0_E_clISt17integral_constantIbLb1EES1B_EEDaS16_S17_EUlS16_E_NS1_11comp_targetILNS1_3genE2ELNS1_11target_archE906ELNS1_3gpuE6ELNS1_3repE0EEENS1_30default_config_static_selectorELNS0_4arch9wavefront6targetE0EEEvT1_.has_dyn_sized_stack, 0
	.set _ZN7rocprim17ROCPRIM_400000_NS6detail17trampoline_kernelINS0_14default_configENS1_25partition_config_selectorILNS1_17partition_subalgoE6EdNS0_10empty_typeEbEEZZNS1_14partition_implILS5_6ELb0ES3_mN6thrust23THRUST_200600_302600_NS6detail15normal_iteratorINSA_10device_ptrIdEEEEPS6_SG_NS0_5tupleIJNSA_16discard_iteratorINSA_11use_defaultEEES6_EEENSH_IJSG_SG_EEES6_PlJNSB_9not_fun_tINSB_14equal_to_valueIdEEEEEEE10hipError_tPvRmT3_T4_T5_T6_T7_T9_mT8_P12ihipStream_tbDpT10_ENKUlT_T0_E_clISt17integral_constantIbLb1EES1B_EEDaS16_S17_EUlS16_E_NS1_11comp_targetILNS1_3genE2ELNS1_11target_archE906ELNS1_3gpuE6ELNS1_3repE0EEENS1_30default_config_static_selectorELNS0_4arch9wavefront6targetE0EEEvT1_.has_recursion, 0
	.set _ZN7rocprim17ROCPRIM_400000_NS6detail17trampoline_kernelINS0_14default_configENS1_25partition_config_selectorILNS1_17partition_subalgoE6EdNS0_10empty_typeEbEEZZNS1_14partition_implILS5_6ELb0ES3_mN6thrust23THRUST_200600_302600_NS6detail15normal_iteratorINSA_10device_ptrIdEEEEPS6_SG_NS0_5tupleIJNSA_16discard_iteratorINSA_11use_defaultEEES6_EEENSH_IJSG_SG_EEES6_PlJNSB_9not_fun_tINSB_14equal_to_valueIdEEEEEEE10hipError_tPvRmT3_T4_T5_T6_T7_T9_mT8_P12ihipStream_tbDpT10_ENKUlT_T0_E_clISt17integral_constantIbLb1EES1B_EEDaS16_S17_EUlS16_E_NS1_11comp_targetILNS1_3genE2ELNS1_11target_archE906ELNS1_3gpuE6ELNS1_3repE0EEENS1_30default_config_static_selectorELNS0_4arch9wavefront6targetE0EEEvT1_.has_indirect_call, 0
	.section	.AMDGPU.csdata,"",@progbits
; Kernel info:
; codeLenInByte = 0
; TotalNumSgprs: 0
; NumVgprs: 0
; ScratchSize: 0
; MemoryBound: 0
; FloatMode: 240
; IeeeMode: 1
; LDSByteSize: 0 bytes/workgroup (compile time only)
; SGPRBlocks: 0
; VGPRBlocks: 0
; NumSGPRsForWavesPerEU: 1
; NumVGPRsForWavesPerEU: 1
; Occupancy: 16
; WaveLimiterHint : 0
; COMPUTE_PGM_RSRC2:SCRATCH_EN: 0
; COMPUTE_PGM_RSRC2:USER_SGPR: 2
; COMPUTE_PGM_RSRC2:TRAP_HANDLER: 0
; COMPUTE_PGM_RSRC2:TGID_X_EN: 1
; COMPUTE_PGM_RSRC2:TGID_Y_EN: 0
; COMPUTE_PGM_RSRC2:TGID_Z_EN: 0
; COMPUTE_PGM_RSRC2:TIDIG_COMP_CNT: 0
	.section	.text._ZN7rocprim17ROCPRIM_400000_NS6detail17trampoline_kernelINS0_14default_configENS1_25partition_config_selectorILNS1_17partition_subalgoE6EdNS0_10empty_typeEbEEZZNS1_14partition_implILS5_6ELb0ES3_mN6thrust23THRUST_200600_302600_NS6detail15normal_iteratorINSA_10device_ptrIdEEEEPS6_SG_NS0_5tupleIJNSA_16discard_iteratorINSA_11use_defaultEEES6_EEENSH_IJSG_SG_EEES6_PlJNSB_9not_fun_tINSB_14equal_to_valueIdEEEEEEE10hipError_tPvRmT3_T4_T5_T6_T7_T9_mT8_P12ihipStream_tbDpT10_ENKUlT_T0_E_clISt17integral_constantIbLb1EES1B_EEDaS16_S17_EUlS16_E_NS1_11comp_targetILNS1_3genE10ELNS1_11target_archE1200ELNS1_3gpuE4ELNS1_3repE0EEENS1_30default_config_static_selectorELNS0_4arch9wavefront6targetE0EEEvT1_,"axG",@progbits,_ZN7rocprim17ROCPRIM_400000_NS6detail17trampoline_kernelINS0_14default_configENS1_25partition_config_selectorILNS1_17partition_subalgoE6EdNS0_10empty_typeEbEEZZNS1_14partition_implILS5_6ELb0ES3_mN6thrust23THRUST_200600_302600_NS6detail15normal_iteratorINSA_10device_ptrIdEEEEPS6_SG_NS0_5tupleIJNSA_16discard_iteratorINSA_11use_defaultEEES6_EEENSH_IJSG_SG_EEES6_PlJNSB_9not_fun_tINSB_14equal_to_valueIdEEEEEEE10hipError_tPvRmT3_T4_T5_T6_T7_T9_mT8_P12ihipStream_tbDpT10_ENKUlT_T0_E_clISt17integral_constantIbLb1EES1B_EEDaS16_S17_EUlS16_E_NS1_11comp_targetILNS1_3genE10ELNS1_11target_archE1200ELNS1_3gpuE4ELNS1_3repE0EEENS1_30default_config_static_selectorELNS0_4arch9wavefront6targetE0EEEvT1_,comdat
	.protected	_ZN7rocprim17ROCPRIM_400000_NS6detail17trampoline_kernelINS0_14default_configENS1_25partition_config_selectorILNS1_17partition_subalgoE6EdNS0_10empty_typeEbEEZZNS1_14partition_implILS5_6ELb0ES3_mN6thrust23THRUST_200600_302600_NS6detail15normal_iteratorINSA_10device_ptrIdEEEEPS6_SG_NS0_5tupleIJNSA_16discard_iteratorINSA_11use_defaultEEES6_EEENSH_IJSG_SG_EEES6_PlJNSB_9not_fun_tINSB_14equal_to_valueIdEEEEEEE10hipError_tPvRmT3_T4_T5_T6_T7_T9_mT8_P12ihipStream_tbDpT10_ENKUlT_T0_E_clISt17integral_constantIbLb1EES1B_EEDaS16_S17_EUlS16_E_NS1_11comp_targetILNS1_3genE10ELNS1_11target_archE1200ELNS1_3gpuE4ELNS1_3repE0EEENS1_30default_config_static_selectorELNS0_4arch9wavefront6targetE0EEEvT1_ ; -- Begin function _ZN7rocprim17ROCPRIM_400000_NS6detail17trampoline_kernelINS0_14default_configENS1_25partition_config_selectorILNS1_17partition_subalgoE6EdNS0_10empty_typeEbEEZZNS1_14partition_implILS5_6ELb0ES3_mN6thrust23THRUST_200600_302600_NS6detail15normal_iteratorINSA_10device_ptrIdEEEEPS6_SG_NS0_5tupleIJNSA_16discard_iteratorINSA_11use_defaultEEES6_EEENSH_IJSG_SG_EEES6_PlJNSB_9not_fun_tINSB_14equal_to_valueIdEEEEEEE10hipError_tPvRmT3_T4_T5_T6_T7_T9_mT8_P12ihipStream_tbDpT10_ENKUlT_T0_E_clISt17integral_constantIbLb1EES1B_EEDaS16_S17_EUlS16_E_NS1_11comp_targetILNS1_3genE10ELNS1_11target_archE1200ELNS1_3gpuE4ELNS1_3repE0EEENS1_30default_config_static_selectorELNS0_4arch9wavefront6targetE0EEEvT1_
	.globl	_ZN7rocprim17ROCPRIM_400000_NS6detail17trampoline_kernelINS0_14default_configENS1_25partition_config_selectorILNS1_17partition_subalgoE6EdNS0_10empty_typeEbEEZZNS1_14partition_implILS5_6ELb0ES3_mN6thrust23THRUST_200600_302600_NS6detail15normal_iteratorINSA_10device_ptrIdEEEEPS6_SG_NS0_5tupleIJNSA_16discard_iteratorINSA_11use_defaultEEES6_EEENSH_IJSG_SG_EEES6_PlJNSB_9not_fun_tINSB_14equal_to_valueIdEEEEEEE10hipError_tPvRmT3_T4_T5_T6_T7_T9_mT8_P12ihipStream_tbDpT10_ENKUlT_T0_E_clISt17integral_constantIbLb1EES1B_EEDaS16_S17_EUlS16_E_NS1_11comp_targetILNS1_3genE10ELNS1_11target_archE1200ELNS1_3gpuE4ELNS1_3repE0EEENS1_30default_config_static_selectorELNS0_4arch9wavefront6targetE0EEEvT1_
	.p2align	8
	.type	_ZN7rocprim17ROCPRIM_400000_NS6detail17trampoline_kernelINS0_14default_configENS1_25partition_config_selectorILNS1_17partition_subalgoE6EdNS0_10empty_typeEbEEZZNS1_14partition_implILS5_6ELb0ES3_mN6thrust23THRUST_200600_302600_NS6detail15normal_iteratorINSA_10device_ptrIdEEEEPS6_SG_NS0_5tupleIJNSA_16discard_iteratorINSA_11use_defaultEEES6_EEENSH_IJSG_SG_EEES6_PlJNSB_9not_fun_tINSB_14equal_to_valueIdEEEEEEE10hipError_tPvRmT3_T4_T5_T6_T7_T9_mT8_P12ihipStream_tbDpT10_ENKUlT_T0_E_clISt17integral_constantIbLb1EES1B_EEDaS16_S17_EUlS16_E_NS1_11comp_targetILNS1_3genE10ELNS1_11target_archE1200ELNS1_3gpuE4ELNS1_3repE0EEENS1_30default_config_static_selectorELNS0_4arch9wavefront6targetE0EEEvT1_,@function
_ZN7rocprim17ROCPRIM_400000_NS6detail17trampoline_kernelINS0_14default_configENS1_25partition_config_selectorILNS1_17partition_subalgoE6EdNS0_10empty_typeEbEEZZNS1_14partition_implILS5_6ELb0ES3_mN6thrust23THRUST_200600_302600_NS6detail15normal_iteratorINSA_10device_ptrIdEEEEPS6_SG_NS0_5tupleIJNSA_16discard_iteratorINSA_11use_defaultEEES6_EEENSH_IJSG_SG_EEES6_PlJNSB_9not_fun_tINSB_14equal_to_valueIdEEEEEEE10hipError_tPvRmT3_T4_T5_T6_T7_T9_mT8_P12ihipStream_tbDpT10_ENKUlT_T0_E_clISt17integral_constantIbLb1EES1B_EEDaS16_S17_EUlS16_E_NS1_11comp_targetILNS1_3genE10ELNS1_11target_archE1200ELNS1_3gpuE4ELNS1_3repE0EEENS1_30default_config_static_selectorELNS0_4arch9wavefront6targetE0EEEvT1_: ; @_ZN7rocprim17ROCPRIM_400000_NS6detail17trampoline_kernelINS0_14default_configENS1_25partition_config_selectorILNS1_17partition_subalgoE6EdNS0_10empty_typeEbEEZZNS1_14partition_implILS5_6ELb0ES3_mN6thrust23THRUST_200600_302600_NS6detail15normal_iteratorINSA_10device_ptrIdEEEEPS6_SG_NS0_5tupleIJNSA_16discard_iteratorINSA_11use_defaultEEES6_EEENSH_IJSG_SG_EEES6_PlJNSB_9not_fun_tINSB_14equal_to_valueIdEEEEEEE10hipError_tPvRmT3_T4_T5_T6_T7_T9_mT8_P12ihipStream_tbDpT10_ENKUlT_T0_E_clISt17integral_constantIbLb1EES1B_EEDaS16_S17_EUlS16_E_NS1_11comp_targetILNS1_3genE10ELNS1_11target_archE1200ELNS1_3gpuE4ELNS1_3repE0EEENS1_30default_config_static_selectorELNS0_4arch9wavefront6targetE0EEEvT1_
; %bb.0:
	s_endpgm
	.section	.rodata,"a",@progbits
	.p2align	6, 0x0
	.amdhsa_kernel _ZN7rocprim17ROCPRIM_400000_NS6detail17trampoline_kernelINS0_14default_configENS1_25partition_config_selectorILNS1_17partition_subalgoE6EdNS0_10empty_typeEbEEZZNS1_14partition_implILS5_6ELb0ES3_mN6thrust23THRUST_200600_302600_NS6detail15normal_iteratorINSA_10device_ptrIdEEEEPS6_SG_NS0_5tupleIJNSA_16discard_iteratorINSA_11use_defaultEEES6_EEENSH_IJSG_SG_EEES6_PlJNSB_9not_fun_tINSB_14equal_to_valueIdEEEEEEE10hipError_tPvRmT3_T4_T5_T6_T7_T9_mT8_P12ihipStream_tbDpT10_ENKUlT_T0_E_clISt17integral_constantIbLb1EES1B_EEDaS16_S17_EUlS16_E_NS1_11comp_targetILNS1_3genE10ELNS1_11target_archE1200ELNS1_3gpuE4ELNS1_3repE0EEENS1_30default_config_static_selectorELNS0_4arch9wavefront6targetE0EEEvT1_
		.amdhsa_group_segment_fixed_size 0
		.amdhsa_private_segment_fixed_size 0
		.amdhsa_kernarg_size 136
		.amdhsa_user_sgpr_count 2
		.amdhsa_user_sgpr_dispatch_ptr 0
		.amdhsa_user_sgpr_queue_ptr 0
		.amdhsa_user_sgpr_kernarg_segment_ptr 1
		.amdhsa_user_sgpr_dispatch_id 0
		.amdhsa_user_sgpr_private_segment_size 0
		.amdhsa_wavefront_size32 1
		.amdhsa_uses_dynamic_stack 0
		.amdhsa_enable_private_segment 0
		.amdhsa_system_sgpr_workgroup_id_x 1
		.amdhsa_system_sgpr_workgroup_id_y 0
		.amdhsa_system_sgpr_workgroup_id_z 0
		.amdhsa_system_sgpr_workgroup_info 0
		.amdhsa_system_vgpr_workitem_id 0
		.amdhsa_next_free_vgpr 1
		.amdhsa_next_free_sgpr 1
		.amdhsa_reserve_vcc 0
		.amdhsa_float_round_mode_32 0
		.amdhsa_float_round_mode_16_64 0
		.amdhsa_float_denorm_mode_32 3
		.amdhsa_float_denorm_mode_16_64 3
		.amdhsa_fp16_overflow 0
		.amdhsa_workgroup_processor_mode 1
		.amdhsa_memory_ordered 1
		.amdhsa_forward_progress 1
		.amdhsa_inst_pref_size 1
		.amdhsa_round_robin_scheduling 0
		.amdhsa_exception_fp_ieee_invalid_op 0
		.amdhsa_exception_fp_denorm_src 0
		.amdhsa_exception_fp_ieee_div_zero 0
		.amdhsa_exception_fp_ieee_overflow 0
		.amdhsa_exception_fp_ieee_underflow 0
		.amdhsa_exception_fp_ieee_inexact 0
		.amdhsa_exception_int_div_zero 0
	.end_amdhsa_kernel
	.section	.text._ZN7rocprim17ROCPRIM_400000_NS6detail17trampoline_kernelINS0_14default_configENS1_25partition_config_selectorILNS1_17partition_subalgoE6EdNS0_10empty_typeEbEEZZNS1_14partition_implILS5_6ELb0ES3_mN6thrust23THRUST_200600_302600_NS6detail15normal_iteratorINSA_10device_ptrIdEEEEPS6_SG_NS0_5tupleIJNSA_16discard_iteratorINSA_11use_defaultEEES6_EEENSH_IJSG_SG_EEES6_PlJNSB_9not_fun_tINSB_14equal_to_valueIdEEEEEEE10hipError_tPvRmT3_T4_T5_T6_T7_T9_mT8_P12ihipStream_tbDpT10_ENKUlT_T0_E_clISt17integral_constantIbLb1EES1B_EEDaS16_S17_EUlS16_E_NS1_11comp_targetILNS1_3genE10ELNS1_11target_archE1200ELNS1_3gpuE4ELNS1_3repE0EEENS1_30default_config_static_selectorELNS0_4arch9wavefront6targetE0EEEvT1_,"axG",@progbits,_ZN7rocprim17ROCPRIM_400000_NS6detail17trampoline_kernelINS0_14default_configENS1_25partition_config_selectorILNS1_17partition_subalgoE6EdNS0_10empty_typeEbEEZZNS1_14partition_implILS5_6ELb0ES3_mN6thrust23THRUST_200600_302600_NS6detail15normal_iteratorINSA_10device_ptrIdEEEEPS6_SG_NS0_5tupleIJNSA_16discard_iteratorINSA_11use_defaultEEES6_EEENSH_IJSG_SG_EEES6_PlJNSB_9not_fun_tINSB_14equal_to_valueIdEEEEEEE10hipError_tPvRmT3_T4_T5_T6_T7_T9_mT8_P12ihipStream_tbDpT10_ENKUlT_T0_E_clISt17integral_constantIbLb1EES1B_EEDaS16_S17_EUlS16_E_NS1_11comp_targetILNS1_3genE10ELNS1_11target_archE1200ELNS1_3gpuE4ELNS1_3repE0EEENS1_30default_config_static_selectorELNS0_4arch9wavefront6targetE0EEEvT1_,comdat
.Lfunc_end1578:
	.size	_ZN7rocprim17ROCPRIM_400000_NS6detail17trampoline_kernelINS0_14default_configENS1_25partition_config_selectorILNS1_17partition_subalgoE6EdNS0_10empty_typeEbEEZZNS1_14partition_implILS5_6ELb0ES3_mN6thrust23THRUST_200600_302600_NS6detail15normal_iteratorINSA_10device_ptrIdEEEEPS6_SG_NS0_5tupleIJNSA_16discard_iteratorINSA_11use_defaultEEES6_EEENSH_IJSG_SG_EEES6_PlJNSB_9not_fun_tINSB_14equal_to_valueIdEEEEEEE10hipError_tPvRmT3_T4_T5_T6_T7_T9_mT8_P12ihipStream_tbDpT10_ENKUlT_T0_E_clISt17integral_constantIbLb1EES1B_EEDaS16_S17_EUlS16_E_NS1_11comp_targetILNS1_3genE10ELNS1_11target_archE1200ELNS1_3gpuE4ELNS1_3repE0EEENS1_30default_config_static_selectorELNS0_4arch9wavefront6targetE0EEEvT1_, .Lfunc_end1578-_ZN7rocprim17ROCPRIM_400000_NS6detail17trampoline_kernelINS0_14default_configENS1_25partition_config_selectorILNS1_17partition_subalgoE6EdNS0_10empty_typeEbEEZZNS1_14partition_implILS5_6ELb0ES3_mN6thrust23THRUST_200600_302600_NS6detail15normal_iteratorINSA_10device_ptrIdEEEEPS6_SG_NS0_5tupleIJNSA_16discard_iteratorINSA_11use_defaultEEES6_EEENSH_IJSG_SG_EEES6_PlJNSB_9not_fun_tINSB_14equal_to_valueIdEEEEEEE10hipError_tPvRmT3_T4_T5_T6_T7_T9_mT8_P12ihipStream_tbDpT10_ENKUlT_T0_E_clISt17integral_constantIbLb1EES1B_EEDaS16_S17_EUlS16_E_NS1_11comp_targetILNS1_3genE10ELNS1_11target_archE1200ELNS1_3gpuE4ELNS1_3repE0EEENS1_30default_config_static_selectorELNS0_4arch9wavefront6targetE0EEEvT1_
                                        ; -- End function
	.set _ZN7rocprim17ROCPRIM_400000_NS6detail17trampoline_kernelINS0_14default_configENS1_25partition_config_selectorILNS1_17partition_subalgoE6EdNS0_10empty_typeEbEEZZNS1_14partition_implILS5_6ELb0ES3_mN6thrust23THRUST_200600_302600_NS6detail15normal_iteratorINSA_10device_ptrIdEEEEPS6_SG_NS0_5tupleIJNSA_16discard_iteratorINSA_11use_defaultEEES6_EEENSH_IJSG_SG_EEES6_PlJNSB_9not_fun_tINSB_14equal_to_valueIdEEEEEEE10hipError_tPvRmT3_T4_T5_T6_T7_T9_mT8_P12ihipStream_tbDpT10_ENKUlT_T0_E_clISt17integral_constantIbLb1EES1B_EEDaS16_S17_EUlS16_E_NS1_11comp_targetILNS1_3genE10ELNS1_11target_archE1200ELNS1_3gpuE4ELNS1_3repE0EEENS1_30default_config_static_selectorELNS0_4arch9wavefront6targetE0EEEvT1_.num_vgpr, 0
	.set _ZN7rocprim17ROCPRIM_400000_NS6detail17trampoline_kernelINS0_14default_configENS1_25partition_config_selectorILNS1_17partition_subalgoE6EdNS0_10empty_typeEbEEZZNS1_14partition_implILS5_6ELb0ES3_mN6thrust23THRUST_200600_302600_NS6detail15normal_iteratorINSA_10device_ptrIdEEEEPS6_SG_NS0_5tupleIJNSA_16discard_iteratorINSA_11use_defaultEEES6_EEENSH_IJSG_SG_EEES6_PlJNSB_9not_fun_tINSB_14equal_to_valueIdEEEEEEE10hipError_tPvRmT3_T4_T5_T6_T7_T9_mT8_P12ihipStream_tbDpT10_ENKUlT_T0_E_clISt17integral_constantIbLb1EES1B_EEDaS16_S17_EUlS16_E_NS1_11comp_targetILNS1_3genE10ELNS1_11target_archE1200ELNS1_3gpuE4ELNS1_3repE0EEENS1_30default_config_static_selectorELNS0_4arch9wavefront6targetE0EEEvT1_.num_agpr, 0
	.set _ZN7rocprim17ROCPRIM_400000_NS6detail17trampoline_kernelINS0_14default_configENS1_25partition_config_selectorILNS1_17partition_subalgoE6EdNS0_10empty_typeEbEEZZNS1_14partition_implILS5_6ELb0ES3_mN6thrust23THRUST_200600_302600_NS6detail15normal_iteratorINSA_10device_ptrIdEEEEPS6_SG_NS0_5tupleIJNSA_16discard_iteratorINSA_11use_defaultEEES6_EEENSH_IJSG_SG_EEES6_PlJNSB_9not_fun_tINSB_14equal_to_valueIdEEEEEEE10hipError_tPvRmT3_T4_T5_T6_T7_T9_mT8_P12ihipStream_tbDpT10_ENKUlT_T0_E_clISt17integral_constantIbLb1EES1B_EEDaS16_S17_EUlS16_E_NS1_11comp_targetILNS1_3genE10ELNS1_11target_archE1200ELNS1_3gpuE4ELNS1_3repE0EEENS1_30default_config_static_selectorELNS0_4arch9wavefront6targetE0EEEvT1_.numbered_sgpr, 0
	.set _ZN7rocprim17ROCPRIM_400000_NS6detail17trampoline_kernelINS0_14default_configENS1_25partition_config_selectorILNS1_17partition_subalgoE6EdNS0_10empty_typeEbEEZZNS1_14partition_implILS5_6ELb0ES3_mN6thrust23THRUST_200600_302600_NS6detail15normal_iteratorINSA_10device_ptrIdEEEEPS6_SG_NS0_5tupleIJNSA_16discard_iteratorINSA_11use_defaultEEES6_EEENSH_IJSG_SG_EEES6_PlJNSB_9not_fun_tINSB_14equal_to_valueIdEEEEEEE10hipError_tPvRmT3_T4_T5_T6_T7_T9_mT8_P12ihipStream_tbDpT10_ENKUlT_T0_E_clISt17integral_constantIbLb1EES1B_EEDaS16_S17_EUlS16_E_NS1_11comp_targetILNS1_3genE10ELNS1_11target_archE1200ELNS1_3gpuE4ELNS1_3repE0EEENS1_30default_config_static_selectorELNS0_4arch9wavefront6targetE0EEEvT1_.num_named_barrier, 0
	.set _ZN7rocprim17ROCPRIM_400000_NS6detail17trampoline_kernelINS0_14default_configENS1_25partition_config_selectorILNS1_17partition_subalgoE6EdNS0_10empty_typeEbEEZZNS1_14partition_implILS5_6ELb0ES3_mN6thrust23THRUST_200600_302600_NS6detail15normal_iteratorINSA_10device_ptrIdEEEEPS6_SG_NS0_5tupleIJNSA_16discard_iteratorINSA_11use_defaultEEES6_EEENSH_IJSG_SG_EEES6_PlJNSB_9not_fun_tINSB_14equal_to_valueIdEEEEEEE10hipError_tPvRmT3_T4_T5_T6_T7_T9_mT8_P12ihipStream_tbDpT10_ENKUlT_T0_E_clISt17integral_constantIbLb1EES1B_EEDaS16_S17_EUlS16_E_NS1_11comp_targetILNS1_3genE10ELNS1_11target_archE1200ELNS1_3gpuE4ELNS1_3repE0EEENS1_30default_config_static_selectorELNS0_4arch9wavefront6targetE0EEEvT1_.private_seg_size, 0
	.set _ZN7rocprim17ROCPRIM_400000_NS6detail17trampoline_kernelINS0_14default_configENS1_25partition_config_selectorILNS1_17partition_subalgoE6EdNS0_10empty_typeEbEEZZNS1_14partition_implILS5_6ELb0ES3_mN6thrust23THRUST_200600_302600_NS6detail15normal_iteratorINSA_10device_ptrIdEEEEPS6_SG_NS0_5tupleIJNSA_16discard_iteratorINSA_11use_defaultEEES6_EEENSH_IJSG_SG_EEES6_PlJNSB_9not_fun_tINSB_14equal_to_valueIdEEEEEEE10hipError_tPvRmT3_T4_T5_T6_T7_T9_mT8_P12ihipStream_tbDpT10_ENKUlT_T0_E_clISt17integral_constantIbLb1EES1B_EEDaS16_S17_EUlS16_E_NS1_11comp_targetILNS1_3genE10ELNS1_11target_archE1200ELNS1_3gpuE4ELNS1_3repE0EEENS1_30default_config_static_selectorELNS0_4arch9wavefront6targetE0EEEvT1_.uses_vcc, 0
	.set _ZN7rocprim17ROCPRIM_400000_NS6detail17trampoline_kernelINS0_14default_configENS1_25partition_config_selectorILNS1_17partition_subalgoE6EdNS0_10empty_typeEbEEZZNS1_14partition_implILS5_6ELb0ES3_mN6thrust23THRUST_200600_302600_NS6detail15normal_iteratorINSA_10device_ptrIdEEEEPS6_SG_NS0_5tupleIJNSA_16discard_iteratorINSA_11use_defaultEEES6_EEENSH_IJSG_SG_EEES6_PlJNSB_9not_fun_tINSB_14equal_to_valueIdEEEEEEE10hipError_tPvRmT3_T4_T5_T6_T7_T9_mT8_P12ihipStream_tbDpT10_ENKUlT_T0_E_clISt17integral_constantIbLb1EES1B_EEDaS16_S17_EUlS16_E_NS1_11comp_targetILNS1_3genE10ELNS1_11target_archE1200ELNS1_3gpuE4ELNS1_3repE0EEENS1_30default_config_static_selectorELNS0_4arch9wavefront6targetE0EEEvT1_.uses_flat_scratch, 0
	.set _ZN7rocprim17ROCPRIM_400000_NS6detail17trampoline_kernelINS0_14default_configENS1_25partition_config_selectorILNS1_17partition_subalgoE6EdNS0_10empty_typeEbEEZZNS1_14partition_implILS5_6ELb0ES3_mN6thrust23THRUST_200600_302600_NS6detail15normal_iteratorINSA_10device_ptrIdEEEEPS6_SG_NS0_5tupleIJNSA_16discard_iteratorINSA_11use_defaultEEES6_EEENSH_IJSG_SG_EEES6_PlJNSB_9not_fun_tINSB_14equal_to_valueIdEEEEEEE10hipError_tPvRmT3_T4_T5_T6_T7_T9_mT8_P12ihipStream_tbDpT10_ENKUlT_T0_E_clISt17integral_constantIbLb1EES1B_EEDaS16_S17_EUlS16_E_NS1_11comp_targetILNS1_3genE10ELNS1_11target_archE1200ELNS1_3gpuE4ELNS1_3repE0EEENS1_30default_config_static_selectorELNS0_4arch9wavefront6targetE0EEEvT1_.has_dyn_sized_stack, 0
	.set _ZN7rocprim17ROCPRIM_400000_NS6detail17trampoline_kernelINS0_14default_configENS1_25partition_config_selectorILNS1_17partition_subalgoE6EdNS0_10empty_typeEbEEZZNS1_14partition_implILS5_6ELb0ES3_mN6thrust23THRUST_200600_302600_NS6detail15normal_iteratorINSA_10device_ptrIdEEEEPS6_SG_NS0_5tupleIJNSA_16discard_iteratorINSA_11use_defaultEEES6_EEENSH_IJSG_SG_EEES6_PlJNSB_9not_fun_tINSB_14equal_to_valueIdEEEEEEE10hipError_tPvRmT3_T4_T5_T6_T7_T9_mT8_P12ihipStream_tbDpT10_ENKUlT_T0_E_clISt17integral_constantIbLb1EES1B_EEDaS16_S17_EUlS16_E_NS1_11comp_targetILNS1_3genE10ELNS1_11target_archE1200ELNS1_3gpuE4ELNS1_3repE0EEENS1_30default_config_static_selectorELNS0_4arch9wavefront6targetE0EEEvT1_.has_recursion, 0
	.set _ZN7rocprim17ROCPRIM_400000_NS6detail17trampoline_kernelINS0_14default_configENS1_25partition_config_selectorILNS1_17partition_subalgoE6EdNS0_10empty_typeEbEEZZNS1_14partition_implILS5_6ELb0ES3_mN6thrust23THRUST_200600_302600_NS6detail15normal_iteratorINSA_10device_ptrIdEEEEPS6_SG_NS0_5tupleIJNSA_16discard_iteratorINSA_11use_defaultEEES6_EEENSH_IJSG_SG_EEES6_PlJNSB_9not_fun_tINSB_14equal_to_valueIdEEEEEEE10hipError_tPvRmT3_T4_T5_T6_T7_T9_mT8_P12ihipStream_tbDpT10_ENKUlT_T0_E_clISt17integral_constantIbLb1EES1B_EEDaS16_S17_EUlS16_E_NS1_11comp_targetILNS1_3genE10ELNS1_11target_archE1200ELNS1_3gpuE4ELNS1_3repE0EEENS1_30default_config_static_selectorELNS0_4arch9wavefront6targetE0EEEvT1_.has_indirect_call, 0
	.section	.AMDGPU.csdata,"",@progbits
; Kernel info:
; codeLenInByte = 4
; TotalNumSgprs: 0
; NumVgprs: 0
; ScratchSize: 0
; MemoryBound: 0
; FloatMode: 240
; IeeeMode: 1
; LDSByteSize: 0 bytes/workgroup (compile time only)
; SGPRBlocks: 0
; VGPRBlocks: 0
; NumSGPRsForWavesPerEU: 1
; NumVGPRsForWavesPerEU: 1
; Occupancy: 16
; WaveLimiterHint : 0
; COMPUTE_PGM_RSRC2:SCRATCH_EN: 0
; COMPUTE_PGM_RSRC2:USER_SGPR: 2
; COMPUTE_PGM_RSRC2:TRAP_HANDLER: 0
; COMPUTE_PGM_RSRC2:TGID_X_EN: 1
; COMPUTE_PGM_RSRC2:TGID_Y_EN: 0
; COMPUTE_PGM_RSRC2:TGID_Z_EN: 0
; COMPUTE_PGM_RSRC2:TIDIG_COMP_CNT: 0
	.section	.text._ZN7rocprim17ROCPRIM_400000_NS6detail17trampoline_kernelINS0_14default_configENS1_25partition_config_selectorILNS1_17partition_subalgoE6EdNS0_10empty_typeEbEEZZNS1_14partition_implILS5_6ELb0ES3_mN6thrust23THRUST_200600_302600_NS6detail15normal_iteratorINSA_10device_ptrIdEEEEPS6_SG_NS0_5tupleIJNSA_16discard_iteratorINSA_11use_defaultEEES6_EEENSH_IJSG_SG_EEES6_PlJNSB_9not_fun_tINSB_14equal_to_valueIdEEEEEEE10hipError_tPvRmT3_T4_T5_T6_T7_T9_mT8_P12ihipStream_tbDpT10_ENKUlT_T0_E_clISt17integral_constantIbLb1EES1B_EEDaS16_S17_EUlS16_E_NS1_11comp_targetILNS1_3genE9ELNS1_11target_archE1100ELNS1_3gpuE3ELNS1_3repE0EEENS1_30default_config_static_selectorELNS0_4arch9wavefront6targetE0EEEvT1_,"axG",@progbits,_ZN7rocprim17ROCPRIM_400000_NS6detail17trampoline_kernelINS0_14default_configENS1_25partition_config_selectorILNS1_17partition_subalgoE6EdNS0_10empty_typeEbEEZZNS1_14partition_implILS5_6ELb0ES3_mN6thrust23THRUST_200600_302600_NS6detail15normal_iteratorINSA_10device_ptrIdEEEEPS6_SG_NS0_5tupleIJNSA_16discard_iteratorINSA_11use_defaultEEES6_EEENSH_IJSG_SG_EEES6_PlJNSB_9not_fun_tINSB_14equal_to_valueIdEEEEEEE10hipError_tPvRmT3_T4_T5_T6_T7_T9_mT8_P12ihipStream_tbDpT10_ENKUlT_T0_E_clISt17integral_constantIbLb1EES1B_EEDaS16_S17_EUlS16_E_NS1_11comp_targetILNS1_3genE9ELNS1_11target_archE1100ELNS1_3gpuE3ELNS1_3repE0EEENS1_30default_config_static_selectorELNS0_4arch9wavefront6targetE0EEEvT1_,comdat
	.protected	_ZN7rocprim17ROCPRIM_400000_NS6detail17trampoline_kernelINS0_14default_configENS1_25partition_config_selectorILNS1_17partition_subalgoE6EdNS0_10empty_typeEbEEZZNS1_14partition_implILS5_6ELb0ES3_mN6thrust23THRUST_200600_302600_NS6detail15normal_iteratorINSA_10device_ptrIdEEEEPS6_SG_NS0_5tupleIJNSA_16discard_iteratorINSA_11use_defaultEEES6_EEENSH_IJSG_SG_EEES6_PlJNSB_9not_fun_tINSB_14equal_to_valueIdEEEEEEE10hipError_tPvRmT3_T4_T5_T6_T7_T9_mT8_P12ihipStream_tbDpT10_ENKUlT_T0_E_clISt17integral_constantIbLb1EES1B_EEDaS16_S17_EUlS16_E_NS1_11comp_targetILNS1_3genE9ELNS1_11target_archE1100ELNS1_3gpuE3ELNS1_3repE0EEENS1_30default_config_static_selectorELNS0_4arch9wavefront6targetE0EEEvT1_ ; -- Begin function _ZN7rocprim17ROCPRIM_400000_NS6detail17trampoline_kernelINS0_14default_configENS1_25partition_config_selectorILNS1_17partition_subalgoE6EdNS0_10empty_typeEbEEZZNS1_14partition_implILS5_6ELb0ES3_mN6thrust23THRUST_200600_302600_NS6detail15normal_iteratorINSA_10device_ptrIdEEEEPS6_SG_NS0_5tupleIJNSA_16discard_iteratorINSA_11use_defaultEEES6_EEENSH_IJSG_SG_EEES6_PlJNSB_9not_fun_tINSB_14equal_to_valueIdEEEEEEE10hipError_tPvRmT3_T4_T5_T6_T7_T9_mT8_P12ihipStream_tbDpT10_ENKUlT_T0_E_clISt17integral_constantIbLb1EES1B_EEDaS16_S17_EUlS16_E_NS1_11comp_targetILNS1_3genE9ELNS1_11target_archE1100ELNS1_3gpuE3ELNS1_3repE0EEENS1_30default_config_static_selectorELNS0_4arch9wavefront6targetE0EEEvT1_
	.globl	_ZN7rocprim17ROCPRIM_400000_NS6detail17trampoline_kernelINS0_14default_configENS1_25partition_config_selectorILNS1_17partition_subalgoE6EdNS0_10empty_typeEbEEZZNS1_14partition_implILS5_6ELb0ES3_mN6thrust23THRUST_200600_302600_NS6detail15normal_iteratorINSA_10device_ptrIdEEEEPS6_SG_NS0_5tupleIJNSA_16discard_iteratorINSA_11use_defaultEEES6_EEENSH_IJSG_SG_EEES6_PlJNSB_9not_fun_tINSB_14equal_to_valueIdEEEEEEE10hipError_tPvRmT3_T4_T5_T6_T7_T9_mT8_P12ihipStream_tbDpT10_ENKUlT_T0_E_clISt17integral_constantIbLb1EES1B_EEDaS16_S17_EUlS16_E_NS1_11comp_targetILNS1_3genE9ELNS1_11target_archE1100ELNS1_3gpuE3ELNS1_3repE0EEENS1_30default_config_static_selectorELNS0_4arch9wavefront6targetE0EEEvT1_
	.p2align	8
	.type	_ZN7rocprim17ROCPRIM_400000_NS6detail17trampoline_kernelINS0_14default_configENS1_25partition_config_selectorILNS1_17partition_subalgoE6EdNS0_10empty_typeEbEEZZNS1_14partition_implILS5_6ELb0ES3_mN6thrust23THRUST_200600_302600_NS6detail15normal_iteratorINSA_10device_ptrIdEEEEPS6_SG_NS0_5tupleIJNSA_16discard_iteratorINSA_11use_defaultEEES6_EEENSH_IJSG_SG_EEES6_PlJNSB_9not_fun_tINSB_14equal_to_valueIdEEEEEEE10hipError_tPvRmT3_T4_T5_T6_T7_T9_mT8_P12ihipStream_tbDpT10_ENKUlT_T0_E_clISt17integral_constantIbLb1EES1B_EEDaS16_S17_EUlS16_E_NS1_11comp_targetILNS1_3genE9ELNS1_11target_archE1100ELNS1_3gpuE3ELNS1_3repE0EEENS1_30default_config_static_selectorELNS0_4arch9wavefront6targetE0EEEvT1_,@function
_ZN7rocprim17ROCPRIM_400000_NS6detail17trampoline_kernelINS0_14default_configENS1_25partition_config_selectorILNS1_17partition_subalgoE6EdNS0_10empty_typeEbEEZZNS1_14partition_implILS5_6ELb0ES3_mN6thrust23THRUST_200600_302600_NS6detail15normal_iteratorINSA_10device_ptrIdEEEEPS6_SG_NS0_5tupleIJNSA_16discard_iteratorINSA_11use_defaultEEES6_EEENSH_IJSG_SG_EEES6_PlJNSB_9not_fun_tINSB_14equal_to_valueIdEEEEEEE10hipError_tPvRmT3_T4_T5_T6_T7_T9_mT8_P12ihipStream_tbDpT10_ENKUlT_T0_E_clISt17integral_constantIbLb1EES1B_EEDaS16_S17_EUlS16_E_NS1_11comp_targetILNS1_3genE9ELNS1_11target_archE1100ELNS1_3gpuE3ELNS1_3repE0EEENS1_30default_config_static_selectorELNS0_4arch9wavefront6targetE0EEEvT1_: ; @_ZN7rocprim17ROCPRIM_400000_NS6detail17trampoline_kernelINS0_14default_configENS1_25partition_config_selectorILNS1_17partition_subalgoE6EdNS0_10empty_typeEbEEZZNS1_14partition_implILS5_6ELb0ES3_mN6thrust23THRUST_200600_302600_NS6detail15normal_iteratorINSA_10device_ptrIdEEEEPS6_SG_NS0_5tupleIJNSA_16discard_iteratorINSA_11use_defaultEEES6_EEENSH_IJSG_SG_EEES6_PlJNSB_9not_fun_tINSB_14equal_to_valueIdEEEEEEE10hipError_tPvRmT3_T4_T5_T6_T7_T9_mT8_P12ihipStream_tbDpT10_ENKUlT_T0_E_clISt17integral_constantIbLb1EES1B_EEDaS16_S17_EUlS16_E_NS1_11comp_targetILNS1_3genE9ELNS1_11target_archE1100ELNS1_3gpuE3ELNS1_3repE0EEENS1_30default_config_static_selectorELNS0_4arch9wavefront6targetE0EEEvT1_
; %bb.0:
	.section	.rodata,"a",@progbits
	.p2align	6, 0x0
	.amdhsa_kernel _ZN7rocprim17ROCPRIM_400000_NS6detail17trampoline_kernelINS0_14default_configENS1_25partition_config_selectorILNS1_17partition_subalgoE6EdNS0_10empty_typeEbEEZZNS1_14partition_implILS5_6ELb0ES3_mN6thrust23THRUST_200600_302600_NS6detail15normal_iteratorINSA_10device_ptrIdEEEEPS6_SG_NS0_5tupleIJNSA_16discard_iteratorINSA_11use_defaultEEES6_EEENSH_IJSG_SG_EEES6_PlJNSB_9not_fun_tINSB_14equal_to_valueIdEEEEEEE10hipError_tPvRmT3_T4_T5_T6_T7_T9_mT8_P12ihipStream_tbDpT10_ENKUlT_T0_E_clISt17integral_constantIbLb1EES1B_EEDaS16_S17_EUlS16_E_NS1_11comp_targetILNS1_3genE9ELNS1_11target_archE1100ELNS1_3gpuE3ELNS1_3repE0EEENS1_30default_config_static_selectorELNS0_4arch9wavefront6targetE0EEEvT1_
		.amdhsa_group_segment_fixed_size 0
		.amdhsa_private_segment_fixed_size 0
		.amdhsa_kernarg_size 136
		.amdhsa_user_sgpr_count 2
		.amdhsa_user_sgpr_dispatch_ptr 0
		.amdhsa_user_sgpr_queue_ptr 0
		.amdhsa_user_sgpr_kernarg_segment_ptr 1
		.amdhsa_user_sgpr_dispatch_id 0
		.amdhsa_user_sgpr_private_segment_size 0
		.amdhsa_wavefront_size32 1
		.amdhsa_uses_dynamic_stack 0
		.amdhsa_enable_private_segment 0
		.amdhsa_system_sgpr_workgroup_id_x 1
		.amdhsa_system_sgpr_workgroup_id_y 0
		.amdhsa_system_sgpr_workgroup_id_z 0
		.amdhsa_system_sgpr_workgroup_info 0
		.amdhsa_system_vgpr_workitem_id 0
		.amdhsa_next_free_vgpr 1
		.amdhsa_next_free_sgpr 1
		.amdhsa_reserve_vcc 0
		.amdhsa_float_round_mode_32 0
		.amdhsa_float_round_mode_16_64 0
		.amdhsa_float_denorm_mode_32 3
		.amdhsa_float_denorm_mode_16_64 3
		.amdhsa_fp16_overflow 0
		.amdhsa_workgroup_processor_mode 1
		.amdhsa_memory_ordered 1
		.amdhsa_forward_progress 1
		.amdhsa_inst_pref_size 0
		.amdhsa_round_robin_scheduling 0
		.amdhsa_exception_fp_ieee_invalid_op 0
		.amdhsa_exception_fp_denorm_src 0
		.amdhsa_exception_fp_ieee_div_zero 0
		.amdhsa_exception_fp_ieee_overflow 0
		.amdhsa_exception_fp_ieee_underflow 0
		.amdhsa_exception_fp_ieee_inexact 0
		.amdhsa_exception_int_div_zero 0
	.end_amdhsa_kernel
	.section	.text._ZN7rocprim17ROCPRIM_400000_NS6detail17trampoline_kernelINS0_14default_configENS1_25partition_config_selectorILNS1_17partition_subalgoE6EdNS0_10empty_typeEbEEZZNS1_14partition_implILS5_6ELb0ES3_mN6thrust23THRUST_200600_302600_NS6detail15normal_iteratorINSA_10device_ptrIdEEEEPS6_SG_NS0_5tupleIJNSA_16discard_iteratorINSA_11use_defaultEEES6_EEENSH_IJSG_SG_EEES6_PlJNSB_9not_fun_tINSB_14equal_to_valueIdEEEEEEE10hipError_tPvRmT3_T4_T5_T6_T7_T9_mT8_P12ihipStream_tbDpT10_ENKUlT_T0_E_clISt17integral_constantIbLb1EES1B_EEDaS16_S17_EUlS16_E_NS1_11comp_targetILNS1_3genE9ELNS1_11target_archE1100ELNS1_3gpuE3ELNS1_3repE0EEENS1_30default_config_static_selectorELNS0_4arch9wavefront6targetE0EEEvT1_,"axG",@progbits,_ZN7rocprim17ROCPRIM_400000_NS6detail17trampoline_kernelINS0_14default_configENS1_25partition_config_selectorILNS1_17partition_subalgoE6EdNS0_10empty_typeEbEEZZNS1_14partition_implILS5_6ELb0ES3_mN6thrust23THRUST_200600_302600_NS6detail15normal_iteratorINSA_10device_ptrIdEEEEPS6_SG_NS0_5tupleIJNSA_16discard_iteratorINSA_11use_defaultEEES6_EEENSH_IJSG_SG_EEES6_PlJNSB_9not_fun_tINSB_14equal_to_valueIdEEEEEEE10hipError_tPvRmT3_T4_T5_T6_T7_T9_mT8_P12ihipStream_tbDpT10_ENKUlT_T0_E_clISt17integral_constantIbLb1EES1B_EEDaS16_S17_EUlS16_E_NS1_11comp_targetILNS1_3genE9ELNS1_11target_archE1100ELNS1_3gpuE3ELNS1_3repE0EEENS1_30default_config_static_selectorELNS0_4arch9wavefront6targetE0EEEvT1_,comdat
.Lfunc_end1579:
	.size	_ZN7rocprim17ROCPRIM_400000_NS6detail17trampoline_kernelINS0_14default_configENS1_25partition_config_selectorILNS1_17partition_subalgoE6EdNS0_10empty_typeEbEEZZNS1_14partition_implILS5_6ELb0ES3_mN6thrust23THRUST_200600_302600_NS6detail15normal_iteratorINSA_10device_ptrIdEEEEPS6_SG_NS0_5tupleIJNSA_16discard_iteratorINSA_11use_defaultEEES6_EEENSH_IJSG_SG_EEES6_PlJNSB_9not_fun_tINSB_14equal_to_valueIdEEEEEEE10hipError_tPvRmT3_T4_T5_T6_T7_T9_mT8_P12ihipStream_tbDpT10_ENKUlT_T0_E_clISt17integral_constantIbLb1EES1B_EEDaS16_S17_EUlS16_E_NS1_11comp_targetILNS1_3genE9ELNS1_11target_archE1100ELNS1_3gpuE3ELNS1_3repE0EEENS1_30default_config_static_selectorELNS0_4arch9wavefront6targetE0EEEvT1_, .Lfunc_end1579-_ZN7rocprim17ROCPRIM_400000_NS6detail17trampoline_kernelINS0_14default_configENS1_25partition_config_selectorILNS1_17partition_subalgoE6EdNS0_10empty_typeEbEEZZNS1_14partition_implILS5_6ELb0ES3_mN6thrust23THRUST_200600_302600_NS6detail15normal_iteratorINSA_10device_ptrIdEEEEPS6_SG_NS0_5tupleIJNSA_16discard_iteratorINSA_11use_defaultEEES6_EEENSH_IJSG_SG_EEES6_PlJNSB_9not_fun_tINSB_14equal_to_valueIdEEEEEEE10hipError_tPvRmT3_T4_T5_T6_T7_T9_mT8_P12ihipStream_tbDpT10_ENKUlT_T0_E_clISt17integral_constantIbLb1EES1B_EEDaS16_S17_EUlS16_E_NS1_11comp_targetILNS1_3genE9ELNS1_11target_archE1100ELNS1_3gpuE3ELNS1_3repE0EEENS1_30default_config_static_selectorELNS0_4arch9wavefront6targetE0EEEvT1_
                                        ; -- End function
	.set _ZN7rocprim17ROCPRIM_400000_NS6detail17trampoline_kernelINS0_14default_configENS1_25partition_config_selectorILNS1_17partition_subalgoE6EdNS0_10empty_typeEbEEZZNS1_14partition_implILS5_6ELb0ES3_mN6thrust23THRUST_200600_302600_NS6detail15normal_iteratorINSA_10device_ptrIdEEEEPS6_SG_NS0_5tupleIJNSA_16discard_iteratorINSA_11use_defaultEEES6_EEENSH_IJSG_SG_EEES6_PlJNSB_9not_fun_tINSB_14equal_to_valueIdEEEEEEE10hipError_tPvRmT3_T4_T5_T6_T7_T9_mT8_P12ihipStream_tbDpT10_ENKUlT_T0_E_clISt17integral_constantIbLb1EES1B_EEDaS16_S17_EUlS16_E_NS1_11comp_targetILNS1_3genE9ELNS1_11target_archE1100ELNS1_3gpuE3ELNS1_3repE0EEENS1_30default_config_static_selectorELNS0_4arch9wavefront6targetE0EEEvT1_.num_vgpr, 0
	.set _ZN7rocprim17ROCPRIM_400000_NS6detail17trampoline_kernelINS0_14default_configENS1_25partition_config_selectorILNS1_17partition_subalgoE6EdNS0_10empty_typeEbEEZZNS1_14partition_implILS5_6ELb0ES3_mN6thrust23THRUST_200600_302600_NS6detail15normal_iteratorINSA_10device_ptrIdEEEEPS6_SG_NS0_5tupleIJNSA_16discard_iteratorINSA_11use_defaultEEES6_EEENSH_IJSG_SG_EEES6_PlJNSB_9not_fun_tINSB_14equal_to_valueIdEEEEEEE10hipError_tPvRmT3_T4_T5_T6_T7_T9_mT8_P12ihipStream_tbDpT10_ENKUlT_T0_E_clISt17integral_constantIbLb1EES1B_EEDaS16_S17_EUlS16_E_NS1_11comp_targetILNS1_3genE9ELNS1_11target_archE1100ELNS1_3gpuE3ELNS1_3repE0EEENS1_30default_config_static_selectorELNS0_4arch9wavefront6targetE0EEEvT1_.num_agpr, 0
	.set _ZN7rocprim17ROCPRIM_400000_NS6detail17trampoline_kernelINS0_14default_configENS1_25partition_config_selectorILNS1_17partition_subalgoE6EdNS0_10empty_typeEbEEZZNS1_14partition_implILS5_6ELb0ES3_mN6thrust23THRUST_200600_302600_NS6detail15normal_iteratorINSA_10device_ptrIdEEEEPS6_SG_NS0_5tupleIJNSA_16discard_iteratorINSA_11use_defaultEEES6_EEENSH_IJSG_SG_EEES6_PlJNSB_9not_fun_tINSB_14equal_to_valueIdEEEEEEE10hipError_tPvRmT3_T4_T5_T6_T7_T9_mT8_P12ihipStream_tbDpT10_ENKUlT_T0_E_clISt17integral_constantIbLb1EES1B_EEDaS16_S17_EUlS16_E_NS1_11comp_targetILNS1_3genE9ELNS1_11target_archE1100ELNS1_3gpuE3ELNS1_3repE0EEENS1_30default_config_static_selectorELNS0_4arch9wavefront6targetE0EEEvT1_.numbered_sgpr, 0
	.set _ZN7rocprim17ROCPRIM_400000_NS6detail17trampoline_kernelINS0_14default_configENS1_25partition_config_selectorILNS1_17partition_subalgoE6EdNS0_10empty_typeEbEEZZNS1_14partition_implILS5_6ELb0ES3_mN6thrust23THRUST_200600_302600_NS6detail15normal_iteratorINSA_10device_ptrIdEEEEPS6_SG_NS0_5tupleIJNSA_16discard_iteratorINSA_11use_defaultEEES6_EEENSH_IJSG_SG_EEES6_PlJNSB_9not_fun_tINSB_14equal_to_valueIdEEEEEEE10hipError_tPvRmT3_T4_T5_T6_T7_T9_mT8_P12ihipStream_tbDpT10_ENKUlT_T0_E_clISt17integral_constantIbLb1EES1B_EEDaS16_S17_EUlS16_E_NS1_11comp_targetILNS1_3genE9ELNS1_11target_archE1100ELNS1_3gpuE3ELNS1_3repE0EEENS1_30default_config_static_selectorELNS0_4arch9wavefront6targetE0EEEvT1_.num_named_barrier, 0
	.set _ZN7rocprim17ROCPRIM_400000_NS6detail17trampoline_kernelINS0_14default_configENS1_25partition_config_selectorILNS1_17partition_subalgoE6EdNS0_10empty_typeEbEEZZNS1_14partition_implILS5_6ELb0ES3_mN6thrust23THRUST_200600_302600_NS6detail15normal_iteratorINSA_10device_ptrIdEEEEPS6_SG_NS0_5tupleIJNSA_16discard_iteratorINSA_11use_defaultEEES6_EEENSH_IJSG_SG_EEES6_PlJNSB_9not_fun_tINSB_14equal_to_valueIdEEEEEEE10hipError_tPvRmT3_T4_T5_T6_T7_T9_mT8_P12ihipStream_tbDpT10_ENKUlT_T0_E_clISt17integral_constantIbLb1EES1B_EEDaS16_S17_EUlS16_E_NS1_11comp_targetILNS1_3genE9ELNS1_11target_archE1100ELNS1_3gpuE3ELNS1_3repE0EEENS1_30default_config_static_selectorELNS0_4arch9wavefront6targetE0EEEvT1_.private_seg_size, 0
	.set _ZN7rocprim17ROCPRIM_400000_NS6detail17trampoline_kernelINS0_14default_configENS1_25partition_config_selectorILNS1_17partition_subalgoE6EdNS0_10empty_typeEbEEZZNS1_14partition_implILS5_6ELb0ES3_mN6thrust23THRUST_200600_302600_NS6detail15normal_iteratorINSA_10device_ptrIdEEEEPS6_SG_NS0_5tupleIJNSA_16discard_iteratorINSA_11use_defaultEEES6_EEENSH_IJSG_SG_EEES6_PlJNSB_9not_fun_tINSB_14equal_to_valueIdEEEEEEE10hipError_tPvRmT3_T4_T5_T6_T7_T9_mT8_P12ihipStream_tbDpT10_ENKUlT_T0_E_clISt17integral_constantIbLb1EES1B_EEDaS16_S17_EUlS16_E_NS1_11comp_targetILNS1_3genE9ELNS1_11target_archE1100ELNS1_3gpuE3ELNS1_3repE0EEENS1_30default_config_static_selectorELNS0_4arch9wavefront6targetE0EEEvT1_.uses_vcc, 0
	.set _ZN7rocprim17ROCPRIM_400000_NS6detail17trampoline_kernelINS0_14default_configENS1_25partition_config_selectorILNS1_17partition_subalgoE6EdNS0_10empty_typeEbEEZZNS1_14partition_implILS5_6ELb0ES3_mN6thrust23THRUST_200600_302600_NS6detail15normal_iteratorINSA_10device_ptrIdEEEEPS6_SG_NS0_5tupleIJNSA_16discard_iteratorINSA_11use_defaultEEES6_EEENSH_IJSG_SG_EEES6_PlJNSB_9not_fun_tINSB_14equal_to_valueIdEEEEEEE10hipError_tPvRmT3_T4_T5_T6_T7_T9_mT8_P12ihipStream_tbDpT10_ENKUlT_T0_E_clISt17integral_constantIbLb1EES1B_EEDaS16_S17_EUlS16_E_NS1_11comp_targetILNS1_3genE9ELNS1_11target_archE1100ELNS1_3gpuE3ELNS1_3repE0EEENS1_30default_config_static_selectorELNS0_4arch9wavefront6targetE0EEEvT1_.uses_flat_scratch, 0
	.set _ZN7rocprim17ROCPRIM_400000_NS6detail17trampoline_kernelINS0_14default_configENS1_25partition_config_selectorILNS1_17partition_subalgoE6EdNS0_10empty_typeEbEEZZNS1_14partition_implILS5_6ELb0ES3_mN6thrust23THRUST_200600_302600_NS6detail15normal_iteratorINSA_10device_ptrIdEEEEPS6_SG_NS0_5tupleIJNSA_16discard_iteratorINSA_11use_defaultEEES6_EEENSH_IJSG_SG_EEES6_PlJNSB_9not_fun_tINSB_14equal_to_valueIdEEEEEEE10hipError_tPvRmT3_T4_T5_T6_T7_T9_mT8_P12ihipStream_tbDpT10_ENKUlT_T0_E_clISt17integral_constantIbLb1EES1B_EEDaS16_S17_EUlS16_E_NS1_11comp_targetILNS1_3genE9ELNS1_11target_archE1100ELNS1_3gpuE3ELNS1_3repE0EEENS1_30default_config_static_selectorELNS0_4arch9wavefront6targetE0EEEvT1_.has_dyn_sized_stack, 0
	.set _ZN7rocprim17ROCPRIM_400000_NS6detail17trampoline_kernelINS0_14default_configENS1_25partition_config_selectorILNS1_17partition_subalgoE6EdNS0_10empty_typeEbEEZZNS1_14partition_implILS5_6ELb0ES3_mN6thrust23THRUST_200600_302600_NS6detail15normal_iteratorINSA_10device_ptrIdEEEEPS6_SG_NS0_5tupleIJNSA_16discard_iteratorINSA_11use_defaultEEES6_EEENSH_IJSG_SG_EEES6_PlJNSB_9not_fun_tINSB_14equal_to_valueIdEEEEEEE10hipError_tPvRmT3_T4_T5_T6_T7_T9_mT8_P12ihipStream_tbDpT10_ENKUlT_T0_E_clISt17integral_constantIbLb1EES1B_EEDaS16_S17_EUlS16_E_NS1_11comp_targetILNS1_3genE9ELNS1_11target_archE1100ELNS1_3gpuE3ELNS1_3repE0EEENS1_30default_config_static_selectorELNS0_4arch9wavefront6targetE0EEEvT1_.has_recursion, 0
	.set _ZN7rocprim17ROCPRIM_400000_NS6detail17trampoline_kernelINS0_14default_configENS1_25partition_config_selectorILNS1_17partition_subalgoE6EdNS0_10empty_typeEbEEZZNS1_14partition_implILS5_6ELb0ES3_mN6thrust23THRUST_200600_302600_NS6detail15normal_iteratorINSA_10device_ptrIdEEEEPS6_SG_NS0_5tupleIJNSA_16discard_iteratorINSA_11use_defaultEEES6_EEENSH_IJSG_SG_EEES6_PlJNSB_9not_fun_tINSB_14equal_to_valueIdEEEEEEE10hipError_tPvRmT3_T4_T5_T6_T7_T9_mT8_P12ihipStream_tbDpT10_ENKUlT_T0_E_clISt17integral_constantIbLb1EES1B_EEDaS16_S17_EUlS16_E_NS1_11comp_targetILNS1_3genE9ELNS1_11target_archE1100ELNS1_3gpuE3ELNS1_3repE0EEENS1_30default_config_static_selectorELNS0_4arch9wavefront6targetE0EEEvT1_.has_indirect_call, 0
	.section	.AMDGPU.csdata,"",@progbits
; Kernel info:
; codeLenInByte = 0
; TotalNumSgprs: 0
; NumVgprs: 0
; ScratchSize: 0
; MemoryBound: 0
; FloatMode: 240
; IeeeMode: 1
; LDSByteSize: 0 bytes/workgroup (compile time only)
; SGPRBlocks: 0
; VGPRBlocks: 0
; NumSGPRsForWavesPerEU: 1
; NumVGPRsForWavesPerEU: 1
; Occupancy: 16
; WaveLimiterHint : 0
; COMPUTE_PGM_RSRC2:SCRATCH_EN: 0
; COMPUTE_PGM_RSRC2:USER_SGPR: 2
; COMPUTE_PGM_RSRC2:TRAP_HANDLER: 0
; COMPUTE_PGM_RSRC2:TGID_X_EN: 1
; COMPUTE_PGM_RSRC2:TGID_Y_EN: 0
; COMPUTE_PGM_RSRC2:TGID_Z_EN: 0
; COMPUTE_PGM_RSRC2:TIDIG_COMP_CNT: 0
	.section	.text._ZN7rocprim17ROCPRIM_400000_NS6detail17trampoline_kernelINS0_14default_configENS1_25partition_config_selectorILNS1_17partition_subalgoE6EdNS0_10empty_typeEbEEZZNS1_14partition_implILS5_6ELb0ES3_mN6thrust23THRUST_200600_302600_NS6detail15normal_iteratorINSA_10device_ptrIdEEEEPS6_SG_NS0_5tupleIJNSA_16discard_iteratorINSA_11use_defaultEEES6_EEENSH_IJSG_SG_EEES6_PlJNSB_9not_fun_tINSB_14equal_to_valueIdEEEEEEE10hipError_tPvRmT3_T4_T5_T6_T7_T9_mT8_P12ihipStream_tbDpT10_ENKUlT_T0_E_clISt17integral_constantIbLb1EES1B_EEDaS16_S17_EUlS16_E_NS1_11comp_targetILNS1_3genE8ELNS1_11target_archE1030ELNS1_3gpuE2ELNS1_3repE0EEENS1_30default_config_static_selectorELNS0_4arch9wavefront6targetE0EEEvT1_,"axG",@progbits,_ZN7rocprim17ROCPRIM_400000_NS6detail17trampoline_kernelINS0_14default_configENS1_25partition_config_selectorILNS1_17partition_subalgoE6EdNS0_10empty_typeEbEEZZNS1_14partition_implILS5_6ELb0ES3_mN6thrust23THRUST_200600_302600_NS6detail15normal_iteratorINSA_10device_ptrIdEEEEPS6_SG_NS0_5tupleIJNSA_16discard_iteratorINSA_11use_defaultEEES6_EEENSH_IJSG_SG_EEES6_PlJNSB_9not_fun_tINSB_14equal_to_valueIdEEEEEEE10hipError_tPvRmT3_T4_T5_T6_T7_T9_mT8_P12ihipStream_tbDpT10_ENKUlT_T0_E_clISt17integral_constantIbLb1EES1B_EEDaS16_S17_EUlS16_E_NS1_11comp_targetILNS1_3genE8ELNS1_11target_archE1030ELNS1_3gpuE2ELNS1_3repE0EEENS1_30default_config_static_selectorELNS0_4arch9wavefront6targetE0EEEvT1_,comdat
	.protected	_ZN7rocprim17ROCPRIM_400000_NS6detail17trampoline_kernelINS0_14default_configENS1_25partition_config_selectorILNS1_17partition_subalgoE6EdNS0_10empty_typeEbEEZZNS1_14partition_implILS5_6ELb0ES3_mN6thrust23THRUST_200600_302600_NS6detail15normal_iteratorINSA_10device_ptrIdEEEEPS6_SG_NS0_5tupleIJNSA_16discard_iteratorINSA_11use_defaultEEES6_EEENSH_IJSG_SG_EEES6_PlJNSB_9not_fun_tINSB_14equal_to_valueIdEEEEEEE10hipError_tPvRmT3_T4_T5_T6_T7_T9_mT8_P12ihipStream_tbDpT10_ENKUlT_T0_E_clISt17integral_constantIbLb1EES1B_EEDaS16_S17_EUlS16_E_NS1_11comp_targetILNS1_3genE8ELNS1_11target_archE1030ELNS1_3gpuE2ELNS1_3repE0EEENS1_30default_config_static_selectorELNS0_4arch9wavefront6targetE0EEEvT1_ ; -- Begin function _ZN7rocprim17ROCPRIM_400000_NS6detail17trampoline_kernelINS0_14default_configENS1_25partition_config_selectorILNS1_17partition_subalgoE6EdNS0_10empty_typeEbEEZZNS1_14partition_implILS5_6ELb0ES3_mN6thrust23THRUST_200600_302600_NS6detail15normal_iteratorINSA_10device_ptrIdEEEEPS6_SG_NS0_5tupleIJNSA_16discard_iteratorINSA_11use_defaultEEES6_EEENSH_IJSG_SG_EEES6_PlJNSB_9not_fun_tINSB_14equal_to_valueIdEEEEEEE10hipError_tPvRmT3_T4_T5_T6_T7_T9_mT8_P12ihipStream_tbDpT10_ENKUlT_T0_E_clISt17integral_constantIbLb1EES1B_EEDaS16_S17_EUlS16_E_NS1_11comp_targetILNS1_3genE8ELNS1_11target_archE1030ELNS1_3gpuE2ELNS1_3repE0EEENS1_30default_config_static_selectorELNS0_4arch9wavefront6targetE0EEEvT1_
	.globl	_ZN7rocprim17ROCPRIM_400000_NS6detail17trampoline_kernelINS0_14default_configENS1_25partition_config_selectorILNS1_17partition_subalgoE6EdNS0_10empty_typeEbEEZZNS1_14partition_implILS5_6ELb0ES3_mN6thrust23THRUST_200600_302600_NS6detail15normal_iteratorINSA_10device_ptrIdEEEEPS6_SG_NS0_5tupleIJNSA_16discard_iteratorINSA_11use_defaultEEES6_EEENSH_IJSG_SG_EEES6_PlJNSB_9not_fun_tINSB_14equal_to_valueIdEEEEEEE10hipError_tPvRmT3_T4_T5_T6_T7_T9_mT8_P12ihipStream_tbDpT10_ENKUlT_T0_E_clISt17integral_constantIbLb1EES1B_EEDaS16_S17_EUlS16_E_NS1_11comp_targetILNS1_3genE8ELNS1_11target_archE1030ELNS1_3gpuE2ELNS1_3repE0EEENS1_30default_config_static_selectorELNS0_4arch9wavefront6targetE0EEEvT1_
	.p2align	8
	.type	_ZN7rocprim17ROCPRIM_400000_NS6detail17trampoline_kernelINS0_14default_configENS1_25partition_config_selectorILNS1_17partition_subalgoE6EdNS0_10empty_typeEbEEZZNS1_14partition_implILS5_6ELb0ES3_mN6thrust23THRUST_200600_302600_NS6detail15normal_iteratorINSA_10device_ptrIdEEEEPS6_SG_NS0_5tupleIJNSA_16discard_iteratorINSA_11use_defaultEEES6_EEENSH_IJSG_SG_EEES6_PlJNSB_9not_fun_tINSB_14equal_to_valueIdEEEEEEE10hipError_tPvRmT3_T4_T5_T6_T7_T9_mT8_P12ihipStream_tbDpT10_ENKUlT_T0_E_clISt17integral_constantIbLb1EES1B_EEDaS16_S17_EUlS16_E_NS1_11comp_targetILNS1_3genE8ELNS1_11target_archE1030ELNS1_3gpuE2ELNS1_3repE0EEENS1_30default_config_static_selectorELNS0_4arch9wavefront6targetE0EEEvT1_,@function
_ZN7rocprim17ROCPRIM_400000_NS6detail17trampoline_kernelINS0_14default_configENS1_25partition_config_selectorILNS1_17partition_subalgoE6EdNS0_10empty_typeEbEEZZNS1_14partition_implILS5_6ELb0ES3_mN6thrust23THRUST_200600_302600_NS6detail15normal_iteratorINSA_10device_ptrIdEEEEPS6_SG_NS0_5tupleIJNSA_16discard_iteratorINSA_11use_defaultEEES6_EEENSH_IJSG_SG_EEES6_PlJNSB_9not_fun_tINSB_14equal_to_valueIdEEEEEEE10hipError_tPvRmT3_T4_T5_T6_T7_T9_mT8_P12ihipStream_tbDpT10_ENKUlT_T0_E_clISt17integral_constantIbLb1EES1B_EEDaS16_S17_EUlS16_E_NS1_11comp_targetILNS1_3genE8ELNS1_11target_archE1030ELNS1_3gpuE2ELNS1_3repE0EEENS1_30default_config_static_selectorELNS0_4arch9wavefront6targetE0EEEvT1_: ; @_ZN7rocprim17ROCPRIM_400000_NS6detail17trampoline_kernelINS0_14default_configENS1_25partition_config_selectorILNS1_17partition_subalgoE6EdNS0_10empty_typeEbEEZZNS1_14partition_implILS5_6ELb0ES3_mN6thrust23THRUST_200600_302600_NS6detail15normal_iteratorINSA_10device_ptrIdEEEEPS6_SG_NS0_5tupleIJNSA_16discard_iteratorINSA_11use_defaultEEES6_EEENSH_IJSG_SG_EEES6_PlJNSB_9not_fun_tINSB_14equal_to_valueIdEEEEEEE10hipError_tPvRmT3_T4_T5_T6_T7_T9_mT8_P12ihipStream_tbDpT10_ENKUlT_T0_E_clISt17integral_constantIbLb1EES1B_EEDaS16_S17_EUlS16_E_NS1_11comp_targetILNS1_3genE8ELNS1_11target_archE1030ELNS1_3gpuE2ELNS1_3repE0EEENS1_30default_config_static_selectorELNS0_4arch9wavefront6targetE0EEEvT1_
; %bb.0:
	.section	.rodata,"a",@progbits
	.p2align	6, 0x0
	.amdhsa_kernel _ZN7rocprim17ROCPRIM_400000_NS6detail17trampoline_kernelINS0_14default_configENS1_25partition_config_selectorILNS1_17partition_subalgoE6EdNS0_10empty_typeEbEEZZNS1_14partition_implILS5_6ELb0ES3_mN6thrust23THRUST_200600_302600_NS6detail15normal_iteratorINSA_10device_ptrIdEEEEPS6_SG_NS0_5tupleIJNSA_16discard_iteratorINSA_11use_defaultEEES6_EEENSH_IJSG_SG_EEES6_PlJNSB_9not_fun_tINSB_14equal_to_valueIdEEEEEEE10hipError_tPvRmT3_T4_T5_T6_T7_T9_mT8_P12ihipStream_tbDpT10_ENKUlT_T0_E_clISt17integral_constantIbLb1EES1B_EEDaS16_S17_EUlS16_E_NS1_11comp_targetILNS1_3genE8ELNS1_11target_archE1030ELNS1_3gpuE2ELNS1_3repE0EEENS1_30default_config_static_selectorELNS0_4arch9wavefront6targetE0EEEvT1_
		.amdhsa_group_segment_fixed_size 0
		.amdhsa_private_segment_fixed_size 0
		.amdhsa_kernarg_size 136
		.amdhsa_user_sgpr_count 2
		.amdhsa_user_sgpr_dispatch_ptr 0
		.amdhsa_user_sgpr_queue_ptr 0
		.amdhsa_user_sgpr_kernarg_segment_ptr 1
		.amdhsa_user_sgpr_dispatch_id 0
		.amdhsa_user_sgpr_private_segment_size 0
		.amdhsa_wavefront_size32 1
		.amdhsa_uses_dynamic_stack 0
		.amdhsa_enable_private_segment 0
		.amdhsa_system_sgpr_workgroup_id_x 1
		.amdhsa_system_sgpr_workgroup_id_y 0
		.amdhsa_system_sgpr_workgroup_id_z 0
		.amdhsa_system_sgpr_workgroup_info 0
		.amdhsa_system_vgpr_workitem_id 0
		.amdhsa_next_free_vgpr 1
		.amdhsa_next_free_sgpr 1
		.amdhsa_reserve_vcc 0
		.amdhsa_float_round_mode_32 0
		.amdhsa_float_round_mode_16_64 0
		.amdhsa_float_denorm_mode_32 3
		.amdhsa_float_denorm_mode_16_64 3
		.amdhsa_fp16_overflow 0
		.amdhsa_workgroup_processor_mode 1
		.amdhsa_memory_ordered 1
		.amdhsa_forward_progress 1
		.amdhsa_inst_pref_size 0
		.amdhsa_round_robin_scheduling 0
		.amdhsa_exception_fp_ieee_invalid_op 0
		.amdhsa_exception_fp_denorm_src 0
		.amdhsa_exception_fp_ieee_div_zero 0
		.amdhsa_exception_fp_ieee_overflow 0
		.amdhsa_exception_fp_ieee_underflow 0
		.amdhsa_exception_fp_ieee_inexact 0
		.amdhsa_exception_int_div_zero 0
	.end_amdhsa_kernel
	.section	.text._ZN7rocprim17ROCPRIM_400000_NS6detail17trampoline_kernelINS0_14default_configENS1_25partition_config_selectorILNS1_17partition_subalgoE6EdNS0_10empty_typeEbEEZZNS1_14partition_implILS5_6ELb0ES3_mN6thrust23THRUST_200600_302600_NS6detail15normal_iteratorINSA_10device_ptrIdEEEEPS6_SG_NS0_5tupleIJNSA_16discard_iteratorINSA_11use_defaultEEES6_EEENSH_IJSG_SG_EEES6_PlJNSB_9not_fun_tINSB_14equal_to_valueIdEEEEEEE10hipError_tPvRmT3_T4_T5_T6_T7_T9_mT8_P12ihipStream_tbDpT10_ENKUlT_T0_E_clISt17integral_constantIbLb1EES1B_EEDaS16_S17_EUlS16_E_NS1_11comp_targetILNS1_3genE8ELNS1_11target_archE1030ELNS1_3gpuE2ELNS1_3repE0EEENS1_30default_config_static_selectorELNS0_4arch9wavefront6targetE0EEEvT1_,"axG",@progbits,_ZN7rocprim17ROCPRIM_400000_NS6detail17trampoline_kernelINS0_14default_configENS1_25partition_config_selectorILNS1_17partition_subalgoE6EdNS0_10empty_typeEbEEZZNS1_14partition_implILS5_6ELb0ES3_mN6thrust23THRUST_200600_302600_NS6detail15normal_iteratorINSA_10device_ptrIdEEEEPS6_SG_NS0_5tupleIJNSA_16discard_iteratorINSA_11use_defaultEEES6_EEENSH_IJSG_SG_EEES6_PlJNSB_9not_fun_tINSB_14equal_to_valueIdEEEEEEE10hipError_tPvRmT3_T4_T5_T6_T7_T9_mT8_P12ihipStream_tbDpT10_ENKUlT_T0_E_clISt17integral_constantIbLb1EES1B_EEDaS16_S17_EUlS16_E_NS1_11comp_targetILNS1_3genE8ELNS1_11target_archE1030ELNS1_3gpuE2ELNS1_3repE0EEENS1_30default_config_static_selectorELNS0_4arch9wavefront6targetE0EEEvT1_,comdat
.Lfunc_end1580:
	.size	_ZN7rocprim17ROCPRIM_400000_NS6detail17trampoline_kernelINS0_14default_configENS1_25partition_config_selectorILNS1_17partition_subalgoE6EdNS0_10empty_typeEbEEZZNS1_14partition_implILS5_6ELb0ES3_mN6thrust23THRUST_200600_302600_NS6detail15normal_iteratorINSA_10device_ptrIdEEEEPS6_SG_NS0_5tupleIJNSA_16discard_iteratorINSA_11use_defaultEEES6_EEENSH_IJSG_SG_EEES6_PlJNSB_9not_fun_tINSB_14equal_to_valueIdEEEEEEE10hipError_tPvRmT3_T4_T5_T6_T7_T9_mT8_P12ihipStream_tbDpT10_ENKUlT_T0_E_clISt17integral_constantIbLb1EES1B_EEDaS16_S17_EUlS16_E_NS1_11comp_targetILNS1_3genE8ELNS1_11target_archE1030ELNS1_3gpuE2ELNS1_3repE0EEENS1_30default_config_static_selectorELNS0_4arch9wavefront6targetE0EEEvT1_, .Lfunc_end1580-_ZN7rocprim17ROCPRIM_400000_NS6detail17trampoline_kernelINS0_14default_configENS1_25partition_config_selectorILNS1_17partition_subalgoE6EdNS0_10empty_typeEbEEZZNS1_14partition_implILS5_6ELb0ES3_mN6thrust23THRUST_200600_302600_NS6detail15normal_iteratorINSA_10device_ptrIdEEEEPS6_SG_NS0_5tupleIJNSA_16discard_iteratorINSA_11use_defaultEEES6_EEENSH_IJSG_SG_EEES6_PlJNSB_9not_fun_tINSB_14equal_to_valueIdEEEEEEE10hipError_tPvRmT3_T4_T5_T6_T7_T9_mT8_P12ihipStream_tbDpT10_ENKUlT_T0_E_clISt17integral_constantIbLb1EES1B_EEDaS16_S17_EUlS16_E_NS1_11comp_targetILNS1_3genE8ELNS1_11target_archE1030ELNS1_3gpuE2ELNS1_3repE0EEENS1_30default_config_static_selectorELNS0_4arch9wavefront6targetE0EEEvT1_
                                        ; -- End function
	.set _ZN7rocprim17ROCPRIM_400000_NS6detail17trampoline_kernelINS0_14default_configENS1_25partition_config_selectorILNS1_17partition_subalgoE6EdNS0_10empty_typeEbEEZZNS1_14partition_implILS5_6ELb0ES3_mN6thrust23THRUST_200600_302600_NS6detail15normal_iteratorINSA_10device_ptrIdEEEEPS6_SG_NS0_5tupleIJNSA_16discard_iteratorINSA_11use_defaultEEES6_EEENSH_IJSG_SG_EEES6_PlJNSB_9not_fun_tINSB_14equal_to_valueIdEEEEEEE10hipError_tPvRmT3_T4_T5_T6_T7_T9_mT8_P12ihipStream_tbDpT10_ENKUlT_T0_E_clISt17integral_constantIbLb1EES1B_EEDaS16_S17_EUlS16_E_NS1_11comp_targetILNS1_3genE8ELNS1_11target_archE1030ELNS1_3gpuE2ELNS1_3repE0EEENS1_30default_config_static_selectorELNS0_4arch9wavefront6targetE0EEEvT1_.num_vgpr, 0
	.set _ZN7rocprim17ROCPRIM_400000_NS6detail17trampoline_kernelINS0_14default_configENS1_25partition_config_selectorILNS1_17partition_subalgoE6EdNS0_10empty_typeEbEEZZNS1_14partition_implILS5_6ELb0ES3_mN6thrust23THRUST_200600_302600_NS6detail15normal_iteratorINSA_10device_ptrIdEEEEPS6_SG_NS0_5tupleIJNSA_16discard_iteratorINSA_11use_defaultEEES6_EEENSH_IJSG_SG_EEES6_PlJNSB_9not_fun_tINSB_14equal_to_valueIdEEEEEEE10hipError_tPvRmT3_T4_T5_T6_T7_T9_mT8_P12ihipStream_tbDpT10_ENKUlT_T0_E_clISt17integral_constantIbLb1EES1B_EEDaS16_S17_EUlS16_E_NS1_11comp_targetILNS1_3genE8ELNS1_11target_archE1030ELNS1_3gpuE2ELNS1_3repE0EEENS1_30default_config_static_selectorELNS0_4arch9wavefront6targetE0EEEvT1_.num_agpr, 0
	.set _ZN7rocprim17ROCPRIM_400000_NS6detail17trampoline_kernelINS0_14default_configENS1_25partition_config_selectorILNS1_17partition_subalgoE6EdNS0_10empty_typeEbEEZZNS1_14partition_implILS5_6ELb0ES3_mN6thrust23THRUST_200600_302600_NS6detail15normal_iteratorINSA_10device_ptrIdEEEEPS6_SG_NS0_5tupleIJNSA_16discard_iteratorINSA_11use_defaultEEES6_EEENSH_IJSG_SG_EEES6_PlJNSB_9not_fun_tINSB_14equal_to_valueIdEEEEEEE10hipError_tPvRmT3_T4_T5_T6_T7_T9_mT8_P12ihipStream_tbDpT10_ENKUlT_T0_E_clISt17integral_constantIbLb1EES1B_EEDaS16_S17_EUlS16_E_NS1_11comp_targetILNS1_3genE8ELNS1_11target_archE1030ELNS1_3gpuE2ELNS1_3repE0EEENS1_30default_config_static_selectorELNS0_4arch9wavefront6targetE0EEEvT1_.numbered_sgpr, 0
	.set _ZN7rocprim17ROCPRIM_400000_NS6detail17trampoline_kernelINS0_14default_configENS1_25partition_config_selectorILNS1_17partition_subalgoE6EdNS0_10empty_typeEbEEZZNS1_14partition_implILS5_6ELb0ES3_mN6thrust23THRUST_200600_302600_NS6detail15normal_iteratorINSA_10device_ptrIdEEEEPS6_SG_NS0_5tupleIJNSA_16discard_iteratorINSA_11use_defaultEEES6_EEENSH_IJSG_SG_EEES6_PlJNSB_9not_fun_tINSB_14equal_to_valueIdEEEEEEE10hipError_tPvRmT3_T4_T5_T6_T7_T9_mT8_P12ihipStream_tbDpT10_ENKUlT_T0_E_clISt17integral_constantIbLb1EES1B_EEDaS16_S17_EUlS16_E_NS1_11comp_targetILNS1_3genE8ELNS1_11target_archE1030ELNS1_3gpuE2ELNS1_3repE0EEENS1_30default_config_static_selectorELNS0_4arch9wavefront6targetE0EEEvT1_.num_named_barrier, 0
	.set _ZN7rocprim17ROCPRIM_400000_NS6detail17trampoline_kernelINS0_14default_configENS1_25partition_config_selectorILNS1_17partition_subalgoE6EdNS0_10empty_typeEbEEZZNS1_14partition_implILS5_6ELb0ES3_mN6thrust23THRUST_200600_302600_NS6detail15normal_iteratorINSA_10device_ptrIdEEEEPS6_SG_NS0_5tupleIJNSA_16discard_iteratorINSA_11use_defaultEEES6_EEENSH_IJSG_SG_EEES6_PlJNSB_9not_fun_tINSB_14equal_to_valueIdEEEEEEE10hipError_tPvRmT3_T4_T5_T6_T7_T9_mT8_P12ihipStream_tbDpT10_ENKUlT_T0_E_clISt17integral_constantIbLb1EES1B_EEDaS16_S17_EUlS16_E_NS1_11comp_targetILNS1_3genE8ELNS1_11target_archE1030ELNS1_3gpuE2ELNS1_3repE0EEENS1_30default_config_static_selectorELNS0_4arch9wavefront6targetE0EEEvT1_.private_seg_size, 0
	.set _ZN7rocprim17ROCPRIM_400000_NS6detail17trampoline_kernelINS0_14default_configENS1_25partition_config_selectorILNS1_17partition_subalgoE6EdNS0_10empty_typeEbEEZZNS1_14partition_implILS5_6ELb0ES3_mN6thrust23THRUST_200600_302600_NS6detail15normal_iteratorINSA_10device_ptrIdEEEEPS6_SG_NS0_5tupleIJNSA_16discard_iteratorINSA_11use_defaultEEES6_EEENSH_IJSG_SG_EEES6_PlJNSB_9not_fun_tINSB_14equal_to_valueIdEEEEEEE10hipError_tPvRmT3_T4_T5_T6_T7_T9_mT8_P12ihipStream_tbDpT10_ENKUlT_T0_E_clISt17integral_constantIbLb1EES1B_EEDaS16_S17_EUlS16_E_NS1_11comp_targetILNS1_3genE8ELNS1_11target_archE1030ELNS1_3gpuE2ELNS1_3repE0EEENS1_30default_config_static_selectorELNS0_4arch9wavefront6targetE0EEEvT1_.uses_vcc, 0
	.set _ZN7rocprim17ROCPRIM_400000_NS6detail17trampoline_kernelINS0_14default_configENS1_25partition_config_selectorILNS1_17partition_subalgoE6EdNS0_10empty_typeEbEEZZNS1_14partition_implILS5_6ELb0ES3_mN6thrust23THRUST_200600_302600_NS6detail15normal_iteratorINSA_10device_ptrIdEEEEPS6_SG_NS0_5tupleIJNSA_16discard_iteratorINSA_11use_defaultEEES6_EEENSH_IJSG_SG_EEES6_PlJNSB_9not_fun_tINSB_14equal_to_valueIdEEEEEEE10hipError_tPvRmT3_T4_T5_T6_T7_T9_mT8_P12ihipStream_tbDpT10_ENKUlT_T0_E_clISt17integral_constantIbLb1EES1B_EEDaS16_S17_EUlS16_E_NS1_11comp_targetILNS1_3genE8ELNS1_11target_archE1030ELNS1_3gpuE2ELNS1_3repE0EEENS1_30default_config_static_selectorELNS0_4arch9wavefront6targetE0EEEvT1_.uses_flat_scratch, 0
	.set _ZN7rocprim17ROCPRIM_400000_NS6detail17trampoline_kernelINS0_14default_configENS1_25partition_config_selectorILNS1_17partition_subalgoE6EdNS0_10empty_typeEbEEZZNS1_14partition_implILS5_6ELb0ES3_mN6thrust23THRUST_200600_302600_NS6detail15normal_iteratorINSA_10device_ptrIdEEEEPS6_SG_NS0_5tupleIJNSA_16discard_iteratorINSA_11use_defaultEEES6_EEENSH_IJSG_SG_EEES6_PlJNSB_9not_fun_tINSB_14equal_to_valueIdEEEEEEE10hipError_tPvRmT3_T4_T5_T6_T7_T9_mT8_P12ihipStream_tbDpT10_ENKUlT_T0_E_clISt17integral_constantIbLb1EES1B_EEDaS16_S17_EUlS16_E_NS1_11comp_targetILNS1_3genE8ELNS1_11target_archE1030ELNS1_3gpuE2ELNS1_3repE0EEENS1_30default_config_static_selectorELNS0_4arch9wavefront6targetE0EEEvT1_.has_dyn_sized_stack, 0
	.set _ZN7rocprim17ROCPRIM_400000_NS6detail17trampoline_kernelINS0_14default_configENS1_25partition_config_selectorILNS1_17partition_subalgoE6EdNS0_10empty_typeEbEEZZNS1_14partition_implILS5_6ELb0ES3_mN6thrust23THRUST_200600_302600_NS6detail15normal_iteratorINSA_10device_ptrIdEEEEPS6_SG_NS0_5tupleIJNSA_16discard_iteratorINSA_11use_defaultEEES6_EEENSH_IJSG_SG_EEES6_PlJNSB_9not_fun_tINSB_14equal_to_valueIdEEEEEEE10hipError_tPvRmT3_T4_T5_T6_T7_T9_mT8_P12ihipStream_tbDpT10_ENKUlT_T0_E_clISt17integral_constantIbLb1EES1B_EEDaS16_S17_EUlS16_E_NS1_11comp_targetILNS1_3genE8ELNS1_11target_archE1030ELNS1_3gpuE2ELNS1_3repE0EEENS1_30default_config_static_selectorELNS0_4arch9wavefront6targetE0EEEvT1_.has_recursion, 0
	.set _ZN7rocprim17ROCPRIM_400000_NS6detail17trampoline_kernelINS0_14default_configENS1_25partition_config_selectorILNS1_17partition_subalgoE6EdNS0_10empty_typeEbEEZZNS1_14partition_implILS5_6ELb0ES3_mN6thrust23THRUST_200600_302600_NS6detail15normal_iteratorINSA_10device_ptrIdEEEEPS6_SG_NS0_5tupleIJNSA_16discard_iteratorINSA_11use_defaultEEES6_EEENSH_IJSG_SG_EEES6_PlJNSB_9not_fun_tINSB_14equal_to_valueIdEEEEEEE10hipError_tPvRmT3_T4_T5_T6_T7_T9_mT8_P12ihipStream_tbDpT10_ENKUlT_T0_E_clISt17integral_constantIbLb1EES1B_EEDaS16_S17_EUlS16_E_NS1_11comp_targetILNS1_3genE8ELNS1_11target_archE1030ELNS1_3gpuE2ELNS1_3repE0EEENS1_30default_config_static_selectorELNS0_4arch9wavefront6targetE0EEEvT1_.has_indirect_call, 0
	.section	.AMDGPU.csdata,"",@progbits
; Kernel info:
; codeLenInByte = 0
; TotalNumSgprs: 0
; NumVgprs: 0
; ScratchSize: 0
; MemoryBound: 0
; FloatMode: 240
; IeeeMode: 1
; LDSByteSize: 0 bytes/workgroup (compile time only)
; SGPRBlocks: 0
; VGPRBlocks: 0
; NumSGPRsForWavesPerEU: 1
; NumVGPRsForWavesPerEU: 1
; Occupancy: 16
; WaveLimiterHint : 0
; COMPUTE_PGM_RSRC2:SCRATCH_EN: 0
; COMPUTE_PGM_RSRC2:USER_SGPR: 2
; COMPUTE_PGM_RSRC2:TRAP_HANDLER: 0
; COMPUTE_PGM_RSRC2:TGID_X_EN: 1
; COMPUTE_PGM_RSRC2:TGID_Y_EN: 0
; COMPUTE_PGM_RSRC2:TGID_Z_EN: 0
; COMPUTE_PGM_RSRC2:TIDIG_COMP_CNT: 0
	.section	.text._ZN7rocprim17ROCPRIM_400000_NS6detail17trampoline_kernelINS0_14default_configENS1_25partition_config_selectorILNS1_17partition_subalgoE6EdNS0_10empty_typeEbEEZZNS1_14partition_implILS5_6ELb0ES3_mN6thrust23THRUST_200600_302600_NS6detail15normal_iteratorINSA_10device_ptrIdEEEEPS6_SG_NS0_5tupleIJNSA_16discard_iteratorINSA_11use_defaultEEES6_EEENSH_IJSG_SG_EEES6_PlJNSB_9not_fun_tINSB_14equal_to_valueIdEEEEEEE10hipError_tPvRmT3_T4_T5_T6_T7_T9_mT8_P12ihipStream_tbDpT10_ENKUlT_T0_E_clISt17integral_constantIbLb1EES1A_IbLb0EEEEDaS16_S17_EUlS16_E_NS1_11comp_targetILNS1_3genE0ELNS1_11target_archE4294967295ELNS1_3gpuE0ELNS1_3repE0EEENS1_30default_config_static_selectorELNS0_4arch9wavefront6targetE0EEEvT1_,"axG",@progbits,_ZN7rocprim17ROCPRIM_400000_NS6detail17trampoline_kernelINS0_14default_configENS1_25partition_config_selectorILNS1_17partition_subalgoE6EdNS0_10empty_typeEbEEZZNS1_14partition_implILS5_6ELb0ES3_mN6thrust23THRUST_200600_302600_NS6detail15normal_iteratorINSA_10device_ptrIdEEEEPS6_SG_NS0_5tupleIJNSA_16discard_iteratorINSA_11use_defaultEEES6_EEENSH_IJSG_SG_EEES6_PlJNSB_9not_fun_tINSB_14equal_to_valueIdEEEEEEE10hipError_tPvRmT3_T4_T5_T6_T7_T9_mT8_P12ihipStream_tbDpT10_ENKUlT_T0_E_clISt17integral_constantIbLb1EES1A_IbLb0EEEEDaS16_S17_EUlS16_E_NS1_11comp_targetILNS1_3genE0ELNS1_11target_archE4294967295ELNS1_3gpuE0ELNS1_3repE0EEENS1_30default_config_static_selectorELNS0_4arch9wavefront6targetE0EEEvT1_,comdat
	.protected	_ZN7rocprim17ROCPRIM_400000_NS6detail17trampoline_kernelINS0_14default_configENS1_25partition_config_selectorILNS1_17partition_subalgoE6EdNS0_10empty_typeEbEEZZNS1_14partition_implILS5_6ELb0ES3_mN6thrust23THRUST_200600_302600_NS6detail15normal_iteratorINSA_10device_ptrIdEEEEPS6_SG_NS0_5tupleIJNSA_16discard_iteratorINSA_11use_defaultEEES6_EEENSH_IJSG_SG_EEES6_PlJNSB_9not_fun_tINSB_14equal_to_valueIdEEEEEEE10hipError_tPvRmT3_T4_T5_T6_T7_T9_mT8_P12ihipStream_tbDpT10_ENKUlT_T0_E_clISt17integral_constantIbLb1EES1A_IbLb0EEEEDaS16_S17_EUlS16_E_NS1_11comp_targetILNS1_3genE0ELNS1_11target_archE4294967295ELNS1_3gpuE0ELNS1_3repE0EEENS1_30default_config_static_selectorELNS0_4arch9wavefront6targetE0EEEvT1_ ; -- Begin function _ZN7rocprim17ROCPRIM_400000_NS6detail17trampoline_kernelINS0_14default_configENS1_25partition_config_selectorILNS1_17partition_subalgoE6EdNS0_10empty_typeEbEEZZNS1_14partition_implILS5_6ELb0ES3_mN6thrust23THRUST_200600_302600_NS6detail15normal_iteratorINSA_10device_ptrIdEEEEPS6_SG_NS0_5tupleIJNSA_16discard_iteratorINSA_11use_defaultEEES6_EEENSH_IJSG_SG_EEES6_PlJNSB_9not_fun_tINSB_14equal_to_valueIdEEEEEEE10hipError_tPvRmT3_T4_T5_T6_T7_T9_mT8_P12ihipStream_tbDpT10_ENKUlT_T0_E_clISt17integral_constantIbLb1EES1A_IbLb0EEEEDaS16_S17_EUlS16_E_NS1_11comp_targetILNS1_3genE0ELNS1_11target_archE4294967295ELNS1_3gpuE0ELNS1_3repE0EEENS1_30default_config_static_selectorELNS0_4arch9wavefront6targetE0EEEvT1_
	.globl	_ZN7rocprim17ROCPRIM_400000_NS6detail17trampoline_kernelINS0_14default_configENS1_25partition_config_selectorILNS1_17partition_subalgoE6EdNS0_10empty_typeEbEEZZNS1_14partition_implILS5_6ELb0ES3_mN6thrust23THRUST_200600_302600_NS6detail15normal_iteratorINSA_10device_ptrIdEEEEPS6_SG_NS0_5tupleIJNSA_16discard_iteratorINSA_11use_defaultEEES6_EEENSH_IJSG_SG_EEES6_PlJNSB_9not_fun_tINSB_14equal_to_valueIdEEEEEEE10hipError_tPvRmT3_T4_T5_T6_T7_T9_mT8_P12ihipStream_tbDpT10_ENKUlT_T0_E_clISt17integral_constantIbLb1EES1A_IbLb0EEEEDaS16_S17_EUlS16_E_NS1_11comp_targetILNS1_3genE0ELNS1_11target_archE4294967295ELNS1_3gpuE0ELNS1_3repE0EEENS1_30default_config_static_selectorELNS0_4arch9wavefront6targetE0EEEvT1_
	.p2align	8
	.type	_ZN7rocprim17ROCPRIM_400000_NS6detail17trampoline_kernelINS0_14default_configENS1_25partition_config_selectorILNS1_17partition_subalgoE6EdNS0_10empty_typeEbEEZZNS1_14partition_implILS5_6ELb0ES3_mN6thrust23THRUST_200600_302600_NS6detail15normal_iteratorINSA_10device_ptrIdEEEEPS6_SG_NS0_5tupleIJNSA_16discard_iteratorINSA_11use_defaultEEES6_EEENSH_IJSG_SG_EEES6_PlJNSB_9not_fun_tINSB_14equal_to_valueIdEEEEEEE10hipError_tPvRmT3_T4_T5_T6_T7_T9_mT8_P12ihipStream_tbDpT10_ENKUlT_T0_E_clISt17integral_constantIbLb1EES1A_IbLb0EEEEDaS16_S17_EUlS16_E_NS1_11comp_targetILNS1_3genE0ELNS1_11target_archE4294967295ELNS1_3gpuE0ELNS1_3repE0EEENS1_30default_config_static_selectorELNS0_4arch9wavefront6targetE0EEEvT1_,@function
_ZN7rocprim17ROCPRIM_400000_NS6detail17trampoline_kernelINS0_14default_configENS1_25partition_config_selectorILNS1_17partition_subalgoE6EdNS0_10empty_typeEbEEZZNS1_14partition_implILS5_6ELb0ES3_mN6thrust23THRUST_200600_302600_NS6detail15normal_iteratorINSA_10device_ptrIdEEEEPS6_SG_NS0_5tupleIJNSA_16discard_iteratorINSA_11use_defaultEEES6_EEENSH_IJSG_SG_EEES6_PlJNSB_9not_fun_tINSB_14equal_to_valueIdEEEEEEE10hipError_tPvRmT3_T4_T5_T6_T7_T9_mT8_P12ihipStream_tbDpT10_ENKUlT_T0_E_clISt17integral_constantIbLb1EES1A_IbLb0EEEEDaS16_S17_EUlS16_E_NS1_11comp_targetILNS1_3genE0ELNS1_11target_archE4294967295ELNS1_3gpuE0ELNS1_3repE0EEENS1_30default_config_static_selectorELNS0_4arch9wavefront6targetE0EEEvT1_: ; @_ZN7rocprim17ROCPRIM_400000_NS6detail17trampoline_kernelINS0_14default_configENS1_25partition_config_selectorILNS1_17partition_subalgoE6EdNS0_10empty_typeEbEEZZNS1_14partition_implILS5_6ELb0ES3_mN6thrust23THRUST_200600_302600_NS6detail15normal_iteratorINSA_10device_ptrIdEEEEPS6_SG_NS0_5tupleIJNSA_16discard_iteratorINSA_11use_defaultEEES6_EEENSH_IJSG_SG_EEES6_PlJNSB_9not_fun_tINSB_14equal_to_valueIdEEEEEEE10hipError_tPvRmT3_T4_T5_T6_T7_T9_mT8_P12ihipStream_tbDpT10_ENKUlT_T0_E_clISt17integral_constantIbLb1EES1A_IbLb0EEEEDaS16_S17_EUlS16_E_NS1_11comp_targetILNS1_3genE0ELNS1_11target_archE4294967295ELNS1_3gpuE0ELNS1_3repE0EEENS1_30default_config_static_selectorELNS0_4arch9wavefront6targetE0EEEvT1_
; %bb.0:
	.section	.rodata,"a",@progbits
	.p2align	6, 0x0
	.amdhsa_kernel _ZN7rocprim17ROCPRIM_400000_NS6detail17trampoline_kernelINS0_14default_configENS1_25partition_config_selectorILNS1_17partition_subalgoE6EdNS0_10empty_typeEbEEZZNS1_14partition_implILS5_6ELb0ES3_mN6thrust23THRUST_200600_302600_NS6detail15normal_iteratorINSA_10device_ptrIdEEEEPS6_SG_NS0_5tupleIJNSA_16discard_iteratorINSA_11use_defaultEEES6_EEENSH_IJSG_SG_EEES6_PlJNSB_9not_fun_tINSB_14equal_to_valueIdEEEEEEE10hipError_tPvRmT3_T4_T5_T6_T7_T9_mT8_P12ihipStream_tbDpT10_ENKUlT_T0_E_clISt17integral_constantIbLb1EES1A_IbLb0EEEEDaS16_S17_EUlS16_E_NS1_11comp_targetILNS1_3genE0ELNS1_11target_archE4294967295ELNS1_3gpuE0ELNS1_3repE0EEENS1_30default_config_static_selectorELNS0_4arch9wavefront6targetE0EEEvT1_
		.amdhsa_group_segment_fixed_size 0
		.amdhsa_private_segment_fixed_size 0
		.amdhsa_kernarg_size 128
		.amdhsa_user_sgpr_count 2
		.amdhsa_user_sgpr_dispatch_ptr 0
		.amdhsa_user_sgpr_queue_ptr 0
		.amdhsa_user_sgpr_kernarg_segment_ptr 1
		.amdhsa_user_sgpr_dispatch_id 0
		.amdhsa_user_sgpr_private_segment_size 0
		.amdhsa_wavefront_size32 1
		.amdhsa_uses_dynamic_stack 0
		.amdhsa_enable_private_segment 0
		.amdhsa_system_sgpr_workgroup_id_x 1
		.amdhsa_system_sgpr_workgroup_id_y 0
		.amdhsa_system_sgpr_workgroup_id_z 0
		.amdhsa_system_sgpr_workgroup_info 0
		.amdhsa_system_vgpr_workitem_id 0
		.amdhsa_next_free_vgpr 1
		.amdhsa_next_free_sgpr 1
		.amdhsa_reserve_vcc 0
		.amdhsa_float_round_mode_32 0
		.amdhsa_float_round_mode_16_64 0
		.amdhsa_float_denorm_mode_32 3
		.amdhsa_float_denorm_mode_16_64 3
		.amdhsa_fp16_overflow 0
		.amdhsa_workgroup_processor_mode 1
		.amdhsa_memory_ordered 1
		.amdhsa_forward_progress 1
		.amdhsa_inst_pref_size 0
		.amdhsa_round_robin_scheduling 0
		.amdhsa_exception_fp_ieee_invalid_op 0
		.amdhsa_exception_fp_denorm_src 0
		.amdhsa_exception_fp_ieee_div_zero 0
		.amdhsa_exception_fp_ieee_overflow 0
		.amdhsa_exception_fp_ieee_underflow 0
		.amdhsa_exception_fp_ieee_inexact 0
		.amdhsa_exception_int_div_zero 0
	.end_amdhsa_kernel
	.section	.text._ZN7rocprim17ROCPRIM_400000_NS6detail17trampoline_kernelINS0_14default_configENS1_25partition_config_selectorILNS1_17partition_subalgoE6EdNS0_10empty_typeEbEEZZNS1_14partition_implILS5_6ELb0ES3_mN6thrust23THRUST_200600_302600_NS6detail15normal_iteratorINSA_10device_ptrIdEEEEPS6_SG_NS0_5tupleIJNSA_16discard_iteratorINSA_11use_defaultEEES6_EEENSH_IJSG_SG_EEES6_PlJNSB_9not_fun_tINSB_14equal_to_valueIdEEEEEEE10hipError_tPvRmT3_T4_T5_T6_T7_T9_mT8_P12ihipStream_tbDpT10_ENKUlT_T0_E_clISt17integral_constantIbLb1EES1A_IbLb0EEEEDaS16_S17_EUlS16_E_NS1_11comp_targetILNS1_3genE0ELNS1_11target_archE4294967295ELNS1_3gpuE0ELNS1_3repE0EEENS1_30default_config_static_selectorELNS0_4arch9wavefront6targetE0EEEvT1_,"axG",@progbits,_ZN7rocprim17ROCPRIM_400000_NS6detail17trampoline_kernelINS0_14default_configENS1_25partition_config_selectorILNS1_17partition_subalgoE6EdNS0_10empty_typeEbEEZZNS1_14partition_implILS5_6ELb0ES3_mN6thrust23THRUST_200600_302600_NS6detail15normal_iteratorINSA_10device_ptrIdEEEEPS6_SG_NS0_5tupleIJNSA_16discard_iteratorINSA_11use_defaultEEES6_EEENSH_IJSG_SG_EEES6_PlJNSB_9not_fun_tINSB_14equal_to_valueIdEEEEEEE10hipError_tPvRmT3_T4_T5_T6_T7_T9_mT8_P12ihipStream_tbDpT10_ENKUlT_T0_E_clISt17integral_constantIbLb1EES1A_IbLb0EEEEDaS16_S17_EUlS16_E_NS1_11comp_targetILNS1_3genE0ELNS1_11target_archE4294967295ELNS1_3gpuE0ELNS1_3repE0EEENS1_30default_config_static_selectorELNS0_4arch9wavefront6targetE0EEEvT1_,comdat
.Lfunc_end1581:
	.size	_ZN7rocprim17ROCPRIM_400000_NS6detail17trampoline_kernelINS0_14default_configENS1_25partition_config_selectorILNS1_17partition_subalgoE6EdNS0_10empty_typeEbEEZZNS1_14partition_implILS5_6ELb0ES3_mN6thrust23THRUST_200600_302600_NS6detail15normal_iteratorINSA_10device_ptrIdEEEEPS6_SG_NS0_5tupleIJNSA_16discard_iteratorINSA_11use_defaultEEES6_EEENSH_IJSG_SG_EEES6_PlJNSB_9not_fun_tINSB_14equal_to_valueIdEEEEEEE10hipError_tPvRmT3_T4_T5_T6_T7_T9_mT8_P12ihipStream_tbDpT10_ENKUlT_T0_E_clISt17integral_constantIbLb1EES1A_IbLb0EEEEDaS16_S17_EUlS16_E_NS1_11comp_targetILNS1_3genE0ELNS1_11target_archE4294967295ELNS1_3gpuE0ELNS1_3repE0EEENS1_30default_config_static_selectorELNS0_4arch9wavefront6targetE0EEEvT1_, .Lfunc_end1581-_ZN7rocprim17ROCPRIM_400000_NS6detail17trampoline_kernelINS0_14default_configENS1_25partition_config_selectorILNS1_17partition_subalgoE6EdNS0_10empty_typeEbEEZZNS1_14partition_implILS5_6ELb0ES3_mN6thrust23THRUST_200600_302600_NS6detail15normal_iteratorINSA_10device_ptrIdEEEEPS6_SG_NS0_5tupleIJNSA_16discard_iteratorINSA_11use_defaultEEES6_EEENSH_IJSG_SG_EEES6_PlJNSB_9not_fun_tINSB_14equal_to_valueIdEEEEEEE10hipError_tPvRmT3_T4_T5_T6_T7_T9_mT8_P12ihipStream_tbDpT10_ENKUlT_T0_E_clISt17integral_constantIbLb1EES1A_IbLb0EEEEDaS16_S17_EUlS16_E_NS1_11comp_targetILNS1_3genE0ELNS1_11target_archE4294967295ELNS1_3gpuE0ELNS1_3repE0EEENS1_30default_config_static_selectorELNS0_4arch9wavefront6targetE0EEEvT1_
                                        ; -- End function
	.set _ZN7rocprim17ROCPRIM_400000_NS6detail17trampoline_kernelINS0_14default_configENS1_25partition_config_selectorILNS1_17partition_subalgoE6EdNS0_10empty_typeEbEEZZNS1_14partition_implILS5_6ELb0ES3_mN6thrust23THRUST_200600_302600_NS6detail15normal_iteratorINSA_10device_ptrIdEEEEPS6_SG_NS0_5tupleIJNSA_16discard_iteratorINSA_11use_defaultEEES6_EEENSH_IJSG_SG_EEES6_PlJNSB_9not_fun_tINSB_14equal_to_valueIdEEEEEEE10hipError_tPvRmT3_T4_T5_T6_T7_T9_mT8_P12ihipStream_tbDpT10_ENKUlT_T0_E_clISt17integral_constantIbLb1EES1A_IbLb0EEEEDaS16_S17_EUlS16_E_NS1_11comp_targetILNS1_3genE0ELNS1_11target_archE4294967295ELNS1_3gpuE0ELNS1_3repE0EEENS1_30default_config_static_selectorELNS0_4arch9wavefront6targetE0EEEvT1_.num_vgpr, 0
	.set _ZN7rocprim17ROCPRIM_400000_NS6detail17trampoline_kernelINS0_14default_configENS1_25partition_config_selectorILNS1_17partition_subalgoE6EdNS0_10empty_typeEbEEZZNS1_14partition_implILS5_6ELb0ES3_mN6thrust23THRUST_200600_302600_NS6detail15normal_iteratorINSA_10device_ptrIdEEEEPS6_SG_NS0_5tupleIJNSA_16discard_iteratorINSA_11use_defaultEEES6_EEENSH_IJSG_SG_EEES6_PlJNSB_9not_fun_tINSB_14equal_to_valueIdEEEEEEE10hipError_tPvRmT3_T4_T5_T6_T7_T9_mT8_P12ihipStream_tbDpT10_ENKUlT_T0_E_clISt17integral_constantIbLb1EES1A_IbLb0EEEEDaS16_S17_EUlS16_E_NS1_11comp_targetILNS1_3genE0ELNS1_11target_archE4294967295ELNS1_3gpuE0ELNS1_3repE0EEENS1_30default_config_static_selectorELNS0_4arch9wavefront6targetE0EEEvT1_.num_agpr, 0
	.set _ZN7rocprim17ROCPRIM_400000_NS6detail17trampoline_kernelINS0_14default_configENS1_25partition_config_selectorILNS1_17partition_subalgoE6EdNS0_10empty_typeEbEEZZNS1_14partition_implILS5_6ELb0ES3_mN6thrust23THRUST_200600_302600_NS6detail15normal_iteratorINSA_10device_ptrIdEEEEPS6_SG_NS0_5tupleIJNSA_16discard_iteratorINSA_11use_defaultEEES6_EEENSH_IJSG_SG_EEES6_PlJNSB_9not_fun_tINSB_14equal_to_valueIdEEEEEEE10hipError_tPvRmT3_T4_T5_T6_T7_T9_mT8_P12ihipStream_tbDpT10_ENKUlT_T0_E_clISt17integral_constantIbLb1EES1A_IbLb0EEEEDaS16_S17_EUlS16_E_NS1_11comp_targetILNS1_3genE0ELNS1_11target_archE4294967295ELNS1_3gpuE0ELNS1_3repE0EEENS1_30default_config_static_selectorELNS0_4arch9wavefront6targetE0EEEvT1_.numbered_sgpr, 0
	.set _ZN7rocprim17ROCPRIM_400000_NS6detail17trampoline_kernelINS0_14default_configENS1_25partition_config_selectorILNS1_17partition_subalgoE6EdNS0_10empty_typeEbEEZZNS1_14partition_implILS5_6ELb0ES3_mN6thrust23THRUST_200600_302600_NS6detail15normal_iteratorINSA_10device_ptrIdEEEEPS6_SG_NS0_5tupleIJNSA_16discard_iteratorINSA_11use_defaultEEES6_EEENSH_IJSG_SG_EEES6_PlJNSB_9not_fun_tINSB_14equal_to_valueIdEEEEEEE10hipError_tPvRmT3_T4_T5_T6_T7_T9_mT8_P12ihipStream_tbDpT10_ENKUlT_T0_E_clISt17integral_constantIbLb1EES1A_IbLb0EEEEDaS16_S17_EUlS16_E_NS1_11comp_targetILNS1_3genE0ELNS1_11target_archE4294967295ELNS1_3gpuE0ELNS1_3repE0EEENS1_30default_config_static_selectorELNS0_4arch9wavefront6targetE0EEEvT1_.num_named_barrier, 0
	.set _ZN7rocprim17ROCPRIM_400000_NS6detail17trampoline_kernelINS0_14default_configENS1_25partition_config_selectorILNS1_17partition_subalgoE6EdNS0_10empty_typeEbEEZZNS1_14partition_implILS5_6ELb0ES3_mN6thrust23THRUST_200600_302600_NS6detail15normal_iteratorINSA_10device_ptrIdEEEEPS6_SG_NS0_5tupleIJNSA_16discard_iteratorINSA_11use_defaultEEES6_EEENSH_IJSG_SG_EEES6_PlJNSB_9not_fun_tINSB_14equal_to_valueIdEEEEEEE10hipError_tPvRmT3_T4_T5_T6_T7_T9_mT8_P12ihipStream_tbDpT10_ENKUlT_T0_E_clISt17integral_constantIbLb1EES1A_IbLb0EEEEDaS16_S17_EUlS16_E_NS1_11comp_targetILNS1_3genE0ELNS1_11target_archE4294967295ELNS1_3gpuE0ELNS1_3repE0EEENS1_30default_config_static_selectorELNS0_4arch9wavefront6targetE0EEEvT1_.private_seg_size, 0
	.set _ZN7rocprim17ROCPRIM_400000_NS6detail17trampoline_kernelINS0_14default_configENS1_25partition_config_selectorILNS1_17partition_subalgoE6EdNS0_10empty_typeEbEEZZNS1_14partition_implILS5_6ELb0ES3_mN6thrust23THRUST_200600_302600_NS6detail15normal_iteratorINSA_10device_ptrIdEEEEPS6_SG_NS0_5tupleIJNSA_16discard_iteratorINSA_11use_defaultEEES6_EEENSH_IJSG_SG_EEES6_PlJNSB_9not_fun_tINSB_14equal_to_valueIdEEEEEEE10hipError_tPvRmT3_T4_T5_T6_T7_T9_mT8_P12ihipStream_tbDpT10_ENKUlT_T0_E_clISt17integral_constantIbLb1EES1A_IbLb0EEEEDaS16_S17_EUlS16_E_NS1_11comp_targetILNS1_3genE0ELNS1_11target_archE4294967295ELNS1_3gpuE0ELNS1_3repE0EEENS1_30default_config_static_selectorELNS0_4arch9wavefront6targetE0EEEvT1_.uses_vcc, 0
	.set _ZN7rocprim17ROCPRIM_400000_NS6detail17trampoline_kernelINS0_14default_configENS1_25partition_config_selectorILNS1_17partition_subalgoE6EdNS0_10empty_typeEbEEZZNS1_14partition_implILS5_6ELb0ES3_mN6thrust23THRUST_200600_302600_NS6detail15normal_iteratorINSA_10device_ptrIdEEEEPS6_SG_NS0_5tupleIJNSA_16discard_iteratorINSA_11use_defaultEEES6_EEENSH_IJSG_SG_EEES6_PlJNSB_9not_fun_tINSB_14equal_to_valueIdEEEEEEE10hipError_tPvRmT3_T4_T5_T6_T7_T9_mT8_P12ihipStream_tbDpT10_ENKUlT_T0_E_clISt17integral_constantIbLb1EES1A_IbLb0EEEEDaS16_S17_EUlS16_E_NS1_11comp_targetILNS1_3genE0ELNS1_11target_archE4294967295ELNS1_3gpuE0ELNS1_3repE0EEENS1_30default_config_static_selectorELNS0_4arch9wavefront6targetE0EEEvT1_.uses_flat_scratch, 0
	.set _ZN7rocprim17ROCPRIM_400000_NS6detail17trampoline_kernelINS0_14default_configENS1_25partition_config_selectorILNS1_17partition_subalgoE6EdNS0_10empty_typeEbEEZZNS1_14partition_implILS5_6ELb0ES3_mN6thrust23THRUST_200600_302600_NS6detail15normal_iteratorINSA_10device_ptrIdEEEEPS6_SG_NS0_5tupleIJNSA_16discard_iteratorINSA_11use_defaultEEES6_EEENSH_IJSG_SG_EEES6_PlJNSB_9not_fun_tINSB_14equal_to_valueIdEEEEEEE10hipError_tPvRmT3_T4_T5_T6_T7_T9_mT8_P12ihipStream_tbDpT10_ENKUlT_T0_E_clISt17integral_constantIbLb1EES1A_IbLb0EEEEDaS16_S17_EUlS16_E_NS1_11comp_targetILNS1_3genE0ELNS1_11target_archE4294967295ELNS1_3gpuE0ELNS1_3repE0EEENS1_30default_config_static_selectorELNS0_4arch9wavefront6targetE0EEEvT1_.has_dyn_sized_stack, 0
	.set _ZN7rocprim17ROCPRIM_400000_NS6detail17trampoline_kernelINS0_14default_configENS1_25partition_config_selectorILNS1_17partition_subalgoE6EdNS0_10empty_typeEbEEZZNS1_14partition_implILS5_6ELb0ES3_mN6thrust23THRUST_200600_302600_NS6detail15normal_iteratorINSA_10device_ptrIdEEEEPS6_SG_NS0_5tupleIJNSA_16discard_iteratorINSA_11use_defaultEEES6_EEENSH_IJSG_SG_EEES6_PlJNSB_9not_fun_tINSB_14equal_to_valueIdEEEEEEE10hipError_tPvRmT3_T4_T5_T6_T7_T9_mT8_P12ihipStream_tbDpT10_ENKUlT_T0_E_clISt17integral_constantIbLb1EES1A_IbLb0EEEEDaS16_S17_EUlS16_E_NS1_11comp_targetILNS1_3genE0ELNS1_11target_archE4294967295ELNS1_3gpuE0ELNS1_3repE0EEENS1_30default_config_static_selectorELNS0_4arch9wavefront6targetE0EEEvT1_.has_recursion, 0
	.set _ZN7rocprim17ROCPRIM_400000_NS6detail17trampoline_kernelINS0_14default_configENS1_25partition_config_selectorILNS1_17partition_subalgoE6EdNS0_10empty_typeEbEEZZNS1_14partition_implILS5_6ELb0ES3_mN6thrust23THRUST_200600_302600_NS6detail15normal_iteratorINSA_10device_ptrIdEEEEPS6_SG_NS0_5tupleIJNSA_16discard_iteratorINSA_11use_defaultEEES6_EEENSH_IJSG_SG_EEES6_PlJNSB_9not_fun_tINSB_14equal_to_valueIdEEEEEEE10hipError_tPvRmT3_T4_T5_T6_T7_T9_mT8_P12ihipStream_tbDpT10_ENKUlT_T0_E_clISt17integral_constantIbLb1EES1A_IbLb0EEEEDaS16_S17_EUlS16_E_NS1_11comp_targetILNS1_3genE0ELNS1_11target_archE4294967295ELNS1_3gpuE0ELNS1_3repE0EEENS1_30default_config_static_selectorELNS0_4arch9wavefront6targetE0EEEvT1_.has_indirect_call, 0
	.section	.AMDGPU.csdata,"",@progbits
; Kernel info:
; codeLenInByte = 0
; TotalNumSgprs: 0
; NumVgprs: 0
; ScratchSize: 0
; MemoryBound: 0
; FloatMode: 240
; IeeeMode: 1
; LDSByteSize: 0 bytes/workgroup (compile time only)
; SGPRBlocks: 0
; VGPRBlocks: 0
; NumSGPRsForWavesPerEU: 1
; NumVGPRsForWavesPerEU: 1
; Occupancy: 16
; WaveLimiterHint : 0
; COMPUTE_PGM_RSRC2:SCRATCH_EN: 0
; COMPUTE_PGM_RSRC2:USER_SGPR: 2
; COMPUTE_PGM_RSRC2:TRAP_HANDLER: 0
; COMPUTE_PGM_RSRC2:TGID_X_EN: 1
; COMPUTE_PGM_RSRC2:TGID_Y_EN: 0
; COMPUTE_PGM_RSRC2:TGID_Z_EN: 0
; COMPUTE_PGM_RSRC2:TIDIG_COMP_CNT: 0
	.section	.text._ZN7rocprim17ROCPRIM_400000_NS6detail17trampoline_kernelINS0_14default_configENS1_25partition_config_selectorILNS1_17partition_subalgoE6EdNS0_10empty_typeEbEEZZNS1_14partition_implILS5_6ELb0ES3_mN6thrust23THRUST_200600_302600_NS6detail15normal_iteratorINSA_10device_ptrIdEEEEPS6_SG_NS0_5tupleIJNSA_16discard_iteratorINSA_11use_defaultEEES6_EEENSH_IJSG_SG_EEES6_PlJNSB_9not_fun_tINSB_14equal_to_valueIdEEEEEEE10hipError_tPvRmT3_T4_T5_T6_T7_T9_mT8_P12ihipStream_tbDpT10_ENKUlT_T0_E_clISt17integral_constantIbLb1EES1A_IbLb0EEEEDaS16_S17_EUlS16_E_NS1_11comp_targetILNS1_3genE5ELNS1_11target_archE942ELNS1_3gpuE9ELNS1_3repE0EEENS1_30default_config_static_selectorELNS0_4arch9wavefront6targetE0EEEvT1_,"axG",@progbits,_ZN7rocprim17ROCPRIM_400000_NS6detail17trampoline_kernelINS0_14default_configENS1_25partition_config_selectorILNS1_17partition_subalgoE6EdNS0_10empty_typeEbEEZZNS1_14partition_implILS5_6ELb0ES3_mN6thrust23THRUST_200600_302600_NS6detail15normal_iteratorINSA_10device_ptrIdEEEEPS6_SG_NS0_5tupleIJNSA_16discard_iteratorINSA_11use_defaultEEES6_EEENSH_IJSG_SG_EEES6_PlJNSB_9not_fun_tINSB_14equal_to_valueIdEEEEEEE10hipError_tPvRmT3_T4_T5_T6_T7_T9_mT8_P12ihipStream_tbDpT10_ENKUlT_T0_E_clISt17integral_constantIbLb1EES1A_IbLb0EEEEDaS16_S17_EUlS16_E_NS1_11comp_targetILNS1_3genE5ELNS1_11target_archE942ELNS1_3gpuE9ELNS1_3repE0EEENS1_30default_config_static_selectorELNS0_4arch9wavefront6targetE0EEEvT1_,comdat
	.protected	_ZN7rocprim17ROCPRIM_400000_NS6detail17trampoline_kernelINS0_14default_configENS1_25partition_config_selectorILNS1_17partition_subalgoE6EdNS0_10empty_typeEbEEZZNS1_14partition_implILS5_6ELb0ES3_mN6thrust23THRUST_200600_302600_NS6detail15normal_iteratorINSA_10device_ptrIdEEEEPS6_SG_NS0_5tupleIJNSA_16discard_iteratorINSA_11use_defaultEEES6_EEENSH_IJSG_SG_EEES6_PlJNSB_9not_fun_tINSB_14equal_to_valueIdEEEEEEE10hipError_tPvRmT3_T4_T5_T6_T7_T9_mT8_P12ihipStream_tbDpT10_ENKUlT_T0_E_clISt17integral_constantIbLb1EES1A_IbLb0EEEEDaS16_S17_EUlS16_E_NS1_11comp_targetILNS1_3genE5ELNS1_11target_archE942ELNS1_3gpuE9ELNS1_3repE0EEENS1_30default_config_static_selectorELNS0_4arch9wavefront6targetE0EEEvT1_ ; -- Begin function _ZN7rocprim17ROCPRIM_400000_NS6detail17trampoline_kernelINS0_14default_configENS1_25partition_config_selectorILNS1_17partition_subalgoE6EdNS0_10empty_typeEbEEZZNS1_14partition_implILS5_6ELb0ES3_mN6thrust23THRUST_200600_302600_NS6detail15normal_iteratorINSA_10device_ptrIdEEEEPS6_SG_NS0_5tupleIJNSA_16discard_iteratorINSA_11use_defaultEEES6_EEENSH_IJSG_SG_EEES6_PlJNSB_9not_fun_tINSB_14equal_to_valueIdEEEEEEE10hipError_tPvRmT3_T4_T5_T6_T7_T9_mT8_P12ihipStream_tbDpT10_ENKUlT_T0_E_clISt17integral_constantIbLb1EES1A_IbLb0EEEEDaS16_S17_EUlS16_E_NS1_11comp_targetILNS1_3genE5ELNS1_11target_archE942ELNS1_3gpuE9ELNS1_3repE0EEENS1_30default_config_static_selectorELNS0_4arch9wavefront6targetE0EEEvT1_
	.globl	_ZN7rocprim17ROCPRIM_400000_NS6detail17trampoline_kernelINS0_14default_configENS1_25partition_config_selectorILNS1_17partition_subalgoE6EdNS0_10empty_typeEbEEZZNS1_14partition_implILS5_6ELb0ES3_mN6thrust23THRUST_200600_302600_NS6detail15normal_iteratorINSA_10device_ptrIdEEEEPS6_SG_NS0_5tupleIJNSA_16discard_iteratorINSA_11use_defaultEEES6_EEENSH_IJSG_SG_EEES6_PlJNSB_9not_fun_tINSB_14equal_to_valueIdEEEEEEE10hipError_tPvRmT3_T4_T5_T6_T7_T9_mT8_P12ihipStream_tbDpT10_ENKUlT_T0_E_clISt17integral_constantIbLb1EES1A_IbLb0EEEEDaS16_S17_EUlS16_E_NS1_11comp_targetILNS1_3genE5ELNS1_11target_archE942ELNS1_3gpuE9ELNS1_3repE0EEENS1_30default_config_static_selectorELNS0_4arch9wavefront6targetE0EEEvT1_
	.p2align	8
	.type	_ZN7rocprim17ROCPRIM_400000_NS6detail17trampoline_kernelINS0_14default_configENS1_25partition_config_selectorILNS1_17partition_subalgoE6EdNS0_10empty_typeEbEEZZNS1_14partition_implILS5_6ELb0ES3_mN6thrust23THRUST_200600_302600_NS6detail15normal_iteratorINSA_10device_ptrIdEEEEPS6_SG_NS0_5tupleIJNSA_16discard_iteratorINSA_11use_defaultEEES6_EEENSH_IJSG_SG_EEES6_PlJNSB_9not_fun_tINSB_14equal_to_valueIdEEEEEEE10hipError_tPvRmT3_T4_T5_T6_T7_T9_mT8_P12ihipStream_tbDpT10_ENKUlT_T0_E_clISt17integral_constantIbLb1EES1A_IbLb0EEEEDaS16_S17_EUlS16_E_NS1_11comp_targetILNS1_3genE5ELNS1_11target_archE942ELNS1_3gpuE9ELNS1_3repE0EEENS1_30default_config_static_selectorELNS0_4arch9wavefront6targetE0EEEvT1_,@function
_ZN7rocprim17ROCPRIM_400000_NS6detail17trampoline_kernelINS0_14default_configENS1_25partition_config_selectorILNS1_17partition_subalgoE6EdNS0_10empty_typeEbEEZZNS1_14partition_implILS5_6ELb0ES3_mN6thrust23THRUST_200600_302600_NS6detail15normal_iteratorINSA_10device_ptrIdEEEEPS6_SG_NS0_5tupleIJNSA_16discard_iteratorINSA_11use_defaultEEES6_EEENSH_IJSG_SG_EEES6_PlJNSB_9not_fun_tINSB_14equal_to_valueIdEEEEEEE10hipError_tPvRmT3_T4_T5_T6_T7_T9_mT8_P12ihipStream_tbDpT10_ENKUlT_T0_E_clISt17integral_constantIbLb1EES1A_IbLb0EEEEDaS16_S17_EUlS16_E_NS1_11comp_targetILNS1_3genE5ELNS1_11target_archE942ELNS1_3gpuE9ELNS1_3repE0EEENS1_30default_config_static_selectorELNS0_4arch9wavefront6targetE0EEEvT1_: ; @_ZN7rocprim17ROCPRIM_400000_NS6detail17trampoline_kernelINS0_14default_configENS1_25partition_config_selectorILNS1_17partition_subalgoE6EdNS0_10empty_typeEbEEZZNS1_14partition_implILS5_6ELb0ES3_mN6thrust23THRUST_200600_302600_NS6detail15normal_iteratorINSA_10device_ptrIdEEEEPS6_SG_NS0_5tupleIJNSA_16discard_iteratorINSA_11use_defaultEEES6_EEENSH_IJSG_SG_EEES6_PlJNSB_9not_fun_tINSB_14equal_to_valueIdEEEEEEE10hipError_tPvRmT3_T4_T5_T6_T7_T9_mT8_P12ihipStream_tbDpT10_ENKUlT_T0_E_clISt17integral_constantIbLb1EES1A_IbLb0EEEEDaS16_S17_EUlS16_E_NS1_11comp_targetILNS1_3genE5ELNS1_11target_archE942ELNS1_3gpuE9ELNS1_3repE0EEENS1_30default_config_static_selectorELNS0_4arch9wavefront6targetE0EEEvT1_
; %bb.0:
	.section	.rodata,"a",@progbits
	.p2align	6, 0x0
	.amdhsa_kernel _ZN7rocprim17ROCPRIM_400000_NS6detail17trampoline_kernelINS0_14default_configENS1_25partition_config_selectorILNS1_17partition_subalgoE6EdNS0_10empty_typeEbEEZZNS1_14partition_implILS5_6ELb0ES3_mN6thrust23THRUST_200600_302600_NS6detail15normal_iteratorINSA_10device_ptrIdEEEEPS6_SG_NS0_5tupleIJNSA_16discard_iteratorINSA_11use_defaultEEES6_EEENSH_IJSG_SG_EEES6_PlJNSB_9not_fun_tINSB_14equal_to_valueIdEEEEEEE10hipError_tPvRmT3_T4_T5_T6_T7_T9_mT8_P12ihipStream_tbDpT10_ENKUlT_T0_E_clISt17integral_constantIbLb1EES1A_IbLb0EEEEDaS16_S17_EUlS16_E_NS1_11comp_targetILNS1_3genE5ELNS1_11target_archE942ELNS1_3gpuE9ELNS1_3repE0EEENS1_30default_config_static_selectorELNS0_4arch9wavefront6targetE0EEEvT1_
		.amdhsa_group_segment_fixed_size 0
		.amdhsa_private_segment_fixed_size 0
		.amdhsa_kernarg_size 128
		.amdhsa_user_sgpr_count 2
		.amdhsa_user_sgpr_dispatch_ptr 0
		.amdhsa_user_sgpr_queue_ptr 0
		.amdhsa_user_sgpr_kernarg_segment_ptr 1
		.amdhsa_user_sgpr_dispatch_id 0
		.amdhsa_user_sgpr_private_segment_size 0
		.amdhsa_wavefront_size32 1
		.amdhsa_uses_dynamic_stack 0
		.amdhsa_enable_private_segment 0
		.amdhsa_system_sgpr_workgroup_id_x 1
		.amdhsa_system_sgpr_workgroup_id_y 0
		.amdhsa_system_sgpr_workgroup_id_z 0
		.amdhsa_system_sgpr_workgroup_info 0
		.amdhsa_system_vgpr_workitem_id 0
		.amdhsa_next_free_vgpr 1
		.amdhsa_next_free_sgpr 1
		.amdhsa_reserve_vcc 0
		.amdhsa_float_round_mode_32 0
		.amdhsa_float_round_mode_16_64 0
		.amdhsa_float_denorm_mode_32 3
		.amdhsa_float_denorm_mode_16_64 3
		.amdhsa_fp16_overflow 0
		.amdhsa_workgroup_processor_mode 1
		.amdhsa_memory_ordered 1
		.amdhsa_forward_progress 1
		.amdhsa_inst_pref_size 0
		.amdhsa_round_robin_scheduling 0
		.amdhsa_exception_fp_ieee_invalid_op 0
		.amdhsa_exception_fp_denorm_src 0
		.amdhsa_exception_fp_ieee_div_zero 0
		.amdhsa_exception_fp_ieee_overflow 0
		.amdhsa_exception_fp_ieee_underflow 0
		.amdhsa_exception_fp_ieee_inexact 0
		.amdhsa_exception_int_div_zero 0
	.end_amdhsa_kernel
	.section	.text._ZN7rocprim17ROCPRIM_400000_NS6detail17trampoline_kernelINS0_14default_configENS1_25partition_config_selectorILNS1_17partition_subalgoE6EdNS0_10empty_typeEbEEZZNS1_14partition_implILS5_6ELb0ES3_mN6thrust23THRUST_200600_302600_NS6detail15normal_iteratorINSA_10device_ptrIdEEEEPS6_SG_NS0_5tupleIJNSA_16discard_iteratorINSA_11use_defaultEEES6_EEENSH_IJSG_SG_EEES6_PlJNSB_9not_fun_tINSB_14equal_to_valueIdEEEEEEE10hipError_tPvRmT3_T4_T5_T6_T7_T9_mT8_P12ihipStream_tbDpT10_ENKUlT_T0_E_clISt17integral_constantIbLb1EES1A_IbLb0EEEEDaS16_S17_EUlS16_E_NS1_11comp_targetILNS1_3genE5ELNS1_11target_archE942ELNS1_3gpuE9ELNS1_3repE0EEENS1_30default_config_static_selectorELNS0_4arch9wavefront6targetE0EEEvT1_,"axG",@progbits,_ZN7rocprim17ROCPRIM_400000_NS6detail17trampoline_kernelINS0_14default_configENS1_25partition_config_selectorILNS1_17partition_subalgoE6EdNS0_10empty_typeEbEEZZNS1_14partition_implILS5_6ELb0ES3_mN6thrust23THRUST_200600_302600_NS6detail15normal_iteratorINSA_10device_ptrIdEEEEPS6_SG_NS0_5tupleIJNSA_16discard_iteratorINSA_11use_defaultEEES6_EEENSH_IJSG_SG_EEES6_PlJNSB_9not_fun_tINSB_14equal_to_valueIdEEEEEEE10hipError_tPvRmT3_T4_T5_T6_T7_T9_mT8_P12ihipStream_tbDpT10_ENKUlT_T0_E_clISt17integral_constantIbLb1EES1A_IbLb0EEEEDaS16_S17_EUlS16_E_NS1_11comp_targetILNS1_3genE5ELNS1_11target_archE942ELNS1_3gpuE9ELNS1_3repE0EEENS1_30default_config_static_selectorELNS0_4arch9wavefront6targetE0EEEvT1_,comdat
.Lfunc_end1582:
	.size	_ZN7rocprim17ROCPRIM_400000_NS6detail17trampoline_kernelINS0_14default_configENS1_25partition_config_selectorILNS1_17partition_subalgoE6EdNS0_10empty_typeEbEEZZNS1_14partition_implILS5_6ELb0ES3_mN6thrust23THRUST_200600_302600_NS6detail15normal_iteratorINSA_10device_ptrIdEEEEPS6_SG_NS0_5tupleIJNSA_16discard_iteratorINSA_11use_defaultEEES6_EEENSH_IJSG_SG_EEES6_PlJNSB_9not_fun_tINSB_14equal_to_valueIdEEEEEEE10hipError_tPvRmT3_T4_T5_T6_T7_T9_mT8_P12ihipStream_tbDpT10_ENKUlT_T0_E_clISt17integral_constantIbLb1EES1A_IbLb0EEEEDaS16_S17_EUlS16_E_NS1_11comp_targetILNS1_3genE5ELNS1_11target_archE942ELNS1_3gpuE9ELNS1_3repE0EEENS1_30default_config_static_selectorELNS0_4arch9wavefront6targetE0EEEvT1_, .Lfunc_end1582-_ZN7rocprim17ROCPRIM_400000_NS6detail17trampoline_kernelINS0_14default_configENS1_25partition_config_selectorILNS1_17partition_subalgoE6EdNS0_10empty_typeEbEEZZNS1_14partition_implILS5_6ELb0ES3_mN6thrust23THRUST_200600_302600_NS6detail15normal_iteratorINSA_10device_ptrIdEEEEPS6_SG_NS0_5tupleIJNSA_16discard_iteratorINSA_11use_defaultEEES6_EEENSH_IJSG_SG_EEES6_PlJNSB_9not_fun_tINSB_14equal_to_valueIdEEEEEEE10hipError_tPvRmT3_T4_T5_T6_T7_T9_mT8_P12ihipStream_tbDpT10_ENKUlT_T0_E_clISt17integral_constantIbLb1EES1A_IbLb0EEEEDaS16_S17_EUlS16_E_NS1_11comp_targetILNS1_3genE5ELNS1_11target_archE942ELNS1_3gpuE9ELNS1_3repE0EEENS1_30default_config_static_selectorELNS0_4arch9wavefront6targetE0EEEvT1_
                                        ; -- End function
	.set _ZN7rocprim17ROCPRIM_400000_NS6detail17trampoline_kernelINS0_14default_configENS1_25partition_config_selectorILNS1_17partition_subalgoE6EdNS0_10empty_typeEbEEZZNS1_14partition_implILS5_6ELb0ES3_mN6thrust23THRUST_200600_302600_NS6detail15normal_iteratorINSA_10device_ptrIdEEEEPS6_SG_NS0_5tupleIJNSA_16discard_iteratorINSA_11use_defaultEEES6_EEENSH_IJSG_SG_EEES6_PlJNSB_9not_fun_tINSB_14equal_to_valueIdEEEEEEE10hipError_tPvRmT3_T4_T5_T6_T7_T9_mT8_P12ihipStream_tbDpT10_ENKUlT_T0_E_clISt17integral_constantIbLb1EES1A_IbLb0EEEEDaS16_S17_EUlS16_E_NS1_11comp_targetILNS1_3genE5ELNS1_11target_archE942ELNS1_3gpuE9ELNS1_3repE0EEENS1_30default_config_static_selectorELNS0_4arch9wavefront6targetE0EEEvT1_.num_vgpr, 0
	.set _ZN7rocprim17ROCPRIM_400000_NS6detail17trampoline_kernelINS0_14default_configENS1_25partition_config_selectorILNS1_17partition_subalgoE6EdNS0_10empty_typeEbEEZZNS1_14partition_implILS5_6ELb0ES3_mN6thrust23THRUST_200600_302600_NS6detail15normal_iteratorINSA_10device_ptrIdEEEEPS6_SG_NS0_5tupleIJNSA_16discard_iteratorINSA_11use_defaultEEES6_EEENSH_IJSG_SG_EEES6_PlJNSB_9not_fun_tINSB_14equal_to_valueIdEEEEEEE10hipError_tPvRmT3_T4_T5_T6_T7_T9_mT8_P12ihipStream_tbDpT10_ENKUlT_T0_E_clISt17integral_constantIbLb1EES1A_IbLb0EEEEDaS16_S17_EUlS16_E_NS1_11comp_targetILNS1_3genE5ELNS1_11target_archE942ELNS1_3gpuE9ELNS1_3repE0EEENS1_30default_config_static_selectorELNS0_4arch9wavefront6targetE0EEEvT1_.num_agpr, 0
	.set _ZN7rocprim17ROCPRIM_400000_NS6detail17trampoline_kernelINS0_14default_configENS1_25partition_config_selectorILNS1_17partition_subalgoE6EdNS0_10empty_typeEbEEZZNS1_14partition_implILS5_6ELb0ES3_mN6thrust23THRUST_200600_302600_NS6detail15normal_iteratorINSA_10device_ptrIdEEEEPS6_SG_NS0_5tupleIJNSA_16discard_iteratorINSA_11use_defaultEEES6_EEENSH_IJSG_SG_EEES6_PlJNSB_9not_fun_tINSB_14equal_to_valueIdEEEEEEE10hipError_tPvRmT3_T4_T5_T6_T7_T9_mT8_P12ihipStream_tbDpT10_ENKUlT_T0_E_clISt17integral_constantIbLb1EES1A_IbLb0EEEEDaS16_S17_EUlS16_E_NS1_11comp_targetILNS1_3genE5ELNS1_11target_archE942ELNS1_3gpuE9ELNS1_3repE0EEENS1_30default_config_static_selectorELNS0_4arch9wavefront6targetE0EEEvT1_.numbered_sgpr, 0
	.set _ZN7rocprim17ROCPRIM_400000_NS6detail17trampoline_kernelINS0_14default_configENS1_25partition_config_selectorILNS1_17partition_subalgoE6EdNS0_10empty_typeEbEEZZNS1_14partition_implILS5_6ELb0ES3_mN6thrust23THRUST_200600_302600_NS6detail15normal_iteratorINSA_10device_ptrIdEEEEPS6_SG_NS0_5tupleIJNSA_16discard_iteratorINSA_11use_defaultEEES6_EEENSH_IJSG_SG_EEES6_PlJNSB_9not_fun_tINSB_14equal_to_valueIdEEEEEEE10hipError_tPvRmT3_T4_T5_T6_T7_T9_mT8_P12ihipStream_tbDpT10_ENKUlT_T0_E_clISt17integral_constantIbLb1EES1A_IbLb0EEEEDaS16_S17_EUlS16_E_NS1_11comp_targetILNS1_3genE5ELNS1_11target_archE942ELNS1_3gpuE9ELNS1_3repE0EEENS1_30default_config_static_selectorELNS0_4arch9wavefront6targetE0EEEvT1_.num_named_barrier, 0
	.set _ZN7rocprim17ROCPRIM_400000_NS6detail17trampoline_kernelINS0_14default_configENS1_25partition_config_selectorILNS1_17partition_subalgoE6EdNS0_10empty_typeEbEEZZNS1_14partition_implILS5_6ELb0ES3_mN6thrust23THRUST_200600_302600_NS6detail15normal_iteratorINSA_10device_ptrIdEEEEPS6_SG_NS0_5tupleIJNSA_16discard_iteratorINSA_11use_defaultEEES6_EEENSH_IJSG_SG_EEES6_PlJNSB_9not_fun_tINSB_14equal_to_valueIdEEEEEEE10hipError_tPvRmT3_T4_T5_T6_T7_T9_mT8_P12ihipStream_tbDpT10_ENKUlT_T0_E_clISt17integral_constantIbLb1EES1A_IbLb0EEEEDaS16_S17_EUlS16_E_NS1_11comp_targetILNS1_3genE5ELNS1_11target_archE942ELNS1_3gpuE9ELNS1_3repE0EEENS1_30default_config_static_selectorELNS0_4arch9wavefront6targetE0EEEvT1_.private_seg_size, 0
	.set _ZN7rocprim17ROCPRIM_400000_NS6detail17trampoline_kernelINS0_14default_configENS1_25partition_config_selectorILNS1_17partition_subalgoE6EdNS0_10empty_typeEbEEZZNS1_14partition_implILS5_6ELb0ES3_mN6thrust23THRUST_200600_302600_NS6detail15normal_iteratorINSA_10device_ptrIdEEEEPS6_SG_NS0_5tupleIJNSA_16discard_iteratorINSA_11use_defaultEEES6_EEENSH_IJSG_SG_EEES6_PlJNSB_9not_fun_tINSB_14equal_to_valueIdEEEEEEE10hipError_tPvRmT3_T4_T5_T6_T7_T9_mT8_P12ihipStream_tbDpT10_ENKUlT_T0_E_clISt17integral_constantIbLb1EES1A_IbLb0EEEEDaS16_S17_EUlS16_E_NS1_11comp_targetILNS1_3genE5ELNS1_11target_archE942ELNS1_3gpuE9ELNS1_3repE0EEENS1_30default_config_static_selectorELNS0_4arch9wavefront6targetE0EEEvT1_.uses_vcc, 0
	.set _ZN7rocprim17ROCPRIM_400000_NS6detail17trampoline_kernelINS0_14default_configENS1_25partition_config_selectorILNS1_17partition_subalgoE6EdNS0_10empty_typeEbEEZZNS1_14partition_implILS5_6ELb0ES3_mN6thrust23THRUST_200600_302600_NS6detail15normal_iteratorINSA_10device_ptrIdEEEEPS6_SG_NS0_5tupleIJNSA_16discard_iteratorINSA_11use_defaultEEES6_EEENSH_IJSG_SG_EEES6_PlJNSB_9not_fun_tINSB_14equal_to_valueIdEEEEEEE10hipError_tPvRmT3_T4_T5_T6_T7_T9_mT8_P12ihipStream_tbDpT10_ENKUlT_T0_E_clISt17integral_constantIbLb1EES1A_IbLb0EEEEDaS16_S17_EUlS16_E_NS1_11comp_targetILNS1_3genE5ELNS1_11target_archE942ELNS1_3gpuE9ELNS1_3repE0EEENS1_30default_config_static_selectorELNS0_4arch9wavefront6targetE0EEEvT1_.uses_flat_scratch, 0
	.set _ZN7rocprim17ROCPRIM_400000_NS6detail17trampoline_kernelINS0_14default_configENS1_25partition_config_selectorILNS1_17partition_subalgoE6EdNS0_10empty_typeEbEEZZNS1_14partition_implILS5_6ELb0ES3_mN6thrust23THRUST_200600_302600_NS6detail15normal_iteratorINSA_10device_ptrIdEEEEPS6_SG_NS0_5tupleIJNSA_16discard_iteratorINSA_11use_defaultEEES6_EEENSH_IJSG_SG_EEES6_PlJNSB_9not_fun_tINSB_14equal_to_valueIdEEEEEEE10hipError_tPvRmT3_T4_T5_T6_T7_T9_mT8_P12ihipStream_tbDpT10_ENKUlT_T0_E_clISt17integral_constantIbLb1EES1A_IbLb0EEEEDaS16_S17_EUlS16_E_NS1_11comp_targetILNS1_3genE5ELNS1_11target_archE942ELNS1_3gpuE9ELNS1_3repE0EEENS1_30default_config_static_selectorELNS0_4arch9wavefront6targetE0EEEvT1_.has_dyn_sized_stack, 0
	.set _ZN7rocprim17ROCPRIM_400000_NS6detail17trampoline_kernelINS0_14default_configENS1_25partition_config_selectorILNS1_17partition_subalgoE6EdNS0_10empty_typeEbEEZZNS1_14partition_implILS5_6ELb0ES3_mN6thrust23THRUST_200600_302600_NS6detail15normal_iteratorINSA_10device_ptrIdEEEEPS6_SG_NS0_5tupleIJNSA_16discard_iteratorINSA_11use_defaultEEES6_EEENSH_IJSG_SG_EEES6_PlJNSB_9not_fun_tINSB_14equal_to_valueIdEEEEEEE10hipError_tPvRmT3_T4_T5_T6_T7_T9_mT8_P12ihipStream_tbDpT10_ENKUlT_T0_E_clISt17integral_constantIbLb1EES1A_IbLb0EEEEDaS16_S17_EUlS16_E_NS1_11comp_targetILNS1_3genE5ELNS1_11target_archE942ELNS1_3gpuE9ELNS1_3repE0EEENS1_30default_config_static_selectorELNS0_4arch9wavefront6targetE0EEEvT1_.has_recursion, 0
	.set _ZN7rocprim17ROCPRIM_400000_NS6detail17trampoline_kernelINS0_14default_configENS1_25partition_config_selectorILNS1_17partition_subalgoE6EdNS0_10empty_typeEbEEZZNS1_14partition_implILS5_6ELb0ES3_mN6thrust23THRUST_200600_302600_NS6detail15normal_iteratorINSA_10device_ptrIdEEEEPS6_SG_NS0_5tupleIJNSA_16discard_iteratorINSA_11use_defaultEEES6_EEENSH_IJSG_SG_EEES6_PlJNSB_9not_fun_tINSB_14equal_to_valueIdEEEEEEE10hipError_tPvRmT3_T4_T5_T6_T7_T9_mT8_P12ihipStream_tbDpT10_ENKUlT_T0_E_clISt17integral_constantIbLb1EES1A_IbLb0EEEEDaS16_S17_EUlS16_E_NS1_11comp_targetILNS1_3genE5ELNS1_11target_archE942ELNS1_3gpuE9ELNS1_3repE0EEENS1_30default_config_static_selectorELNS0_4arch9wavefront6targetE0EEEvT1_.has_indirect_call, 0
	.section	.AMDGPU.csdata,"",@progbits
; Kernel info:
; codeLenInByte = 0
; TotalNumSgprs: 0
; NumVgprs: 0
; ScratchSize: 0
; MemoryBound: 0
; FloatMode: 240
; IeeeMode: 1
; LDSByteSize: 0 bytes/workgroup (compile time only)
; SGPRBlocks: 0
; VGPRBlocks: 0
; NumSGPRsForWavesPerEU: 1
; NumVGPRsForWavesPerEU: 1
; Occupancy: 16
; WaveLimiterHint : 0
; COMPUTE_PGM_RSRC2:SCRATCH_EN: 0
; COMPUTE_PGM_RSRC2:USER_SGPR: 2
; COMPUTE_PGM_RSRC2:TRAP_HANDLER: 0
; COMPUTE_PGM_RSRC2:TGID_X_EN: 1
; COMPUTE_PGM_RSRC2:TGID_Y_EN: 0
; COMPUTE_PGM_RSRC2:TGID_Z_EN: 0
; COMPUTE_PGM_RSRC2:TIDIG_COMP_CNT: 0
	.section	.text._ZN7rocprim17ROCPRIM_400000_NS6detail17trampoline_kernelINS0_14default_configENS1_25partition_config_selectorILNS1_17partition_subalgoE6EdNS0_10empty_typeEbEEZZNS1_14partition_implILS5_6ELb0ES3_mN6thrust23THRUST_200600_302600_NS6detail15normal_iteratorINSA_10device_ptrIdEEEEPS6_SG_NS0_5tupleIJNSA_16discard_iteratorINSA_11use_defaultEEES6_EEENSH_IJSG_SG_EEES6_PlJNSB_9not_fun_tINSB_14equal_to_valueIdEEEEEEE10hipError_tPvRmT3_T4_T5_T6_T7_T9_mT8_P12ihipStream_tbDpT10_ENKUlT_T0_E_clISt17integral_constantIbLb1EES1A_IbLb0EEEEDaS16_S17_EUlS16_E_NS1_11comp_targetILNS1_3genE4ELNS1_11target_archE910ELNS1_3gpuE8ELNS1_3repE0EEENS1_30default_config_static_selectorELNS0_4arch9wavefront6targetE0EEEvT1_,"axG",@progbits,_ZN7rocprim17ROCPRIM_400000_NS6detail17trampoline_kernelINS0_14default_configENS1_25partition_config_selectorILNS1_17partition_subalgoE6EdNS0_10empty_typeEbEEZZNS1_14partition_implILS5_6ELb0ES3_mN6thrust23THRUST_200600_302600_NS6detail15normal_iteratorINSA_10device_ptrIdEEEEPS6_SG_NS0_5tupleIJNSA_16discard_iteratorINSA_11use_defaultEEES6_EEENSH_IJSG_SG_EEES6_PlJNSB_9not_fun_tINSB_14equal_to_valueIdEEEEEEE10hipError_tPvRmT3_T4_T5_T6_T7_T9_mT8_P12ihipStream_tbDpT10_ENKUlT_T0_E_clISt17integral_constantIbLb1EES1A_IbLb0EEEEDaS16_S17_EUlS16_E_NS1_11comp_targetILNS1_3genE4ELNS1_11target_archE910ELNS1_3gpuE8ELNS1_3repE0EEENS1_30default_config_static_selectorELNS0_4arch9wavefront6targetE0EEEvT1_,comdat
	.protected	_ZN7rocprim17ROCPRIM_400000_NS6detail17trampoline_kernelINS0_14default_configENS1_25partition_config_selectorILNS1_17partition_subalgoE6EdNS0_10empty_typeEbEEZZNS1_14partition_implILS5_6ELb0ES3_mN6thrust23THRUST_200600_302600_NS6detail15normal_iteratorINSA_10device_ptrIdEEEEPS6_SG_NS0_5tupleIJNSA_16discard_iteratorINSA_11use_defaultEEES6_EEENSH_IJSG_SG_EEES6_PlJNSB_9not_fun_tINSB_14equal_to_valueIdEEEEEEE10hipError_tPvRmT3_T4_T5_T6_T7_T9_mT8_P12ihipStream_tbDpT10_ENKUlT_T0_E_clISt17integral_constantIbLb1EES1A_IbLb0EEEEDaS16_S17_EUlS16_E_NS1_11comp_targetILNS1_3genE4ELNS1_11target_archE910ELNS1_3gpuE8ELNS1_3repE0EEENS1_30default_config_static_selectorELNS0_4arch9wavefront6targetE0EEEvT1_ ; -- Begin function _ZN7rocprim17ROCPRIM_400000_NS6detail17trampoline_kernelINS0_14default_configENS1_25partition_config_selectorILNS1_17partition_subalgoE6EdNS0_10empty_typeEbEEZZNS1_14partition_implILS5_6ELb0ES3_mN6thrust23THRUST_200600_302600_NS6detail15normal_iteratorINSA_10device_ptrIdEEEEPS6_SG_NS0_5tupleIJNSA_16discard_iteratorINSA_11use_defaultEEES6_EEENSH_IJSG_SG_EEES6_PlJNSB_9not_fun_tINSB_14equal_to_valueIdEEEEEEE10hipError_tPvRmT3_T4_T5_T6_T7_T9_mT8_P12ihipStream_tbDpT10_ENKUlT_T0_E_clISt17integral_constantIbLb1EES1A_IbLb0EEEEDaS16_S17_EUlS16_E_NS1_11comp_targetILNS1_3genE4ELNS1_11target_archE910ELNS1_3gpuE8ELNS1_3repE0EEENS1_30default_config_static_selectorELNS0_4arch9wavefront6targetE0EEEvT1_
	.globl	_ZN7rocprim17ROCPRIM_400000_NS6detail17trampoline_kernelINS0_14default_configENS1_25partition_config_selectorILNS1_17partition_subalgoE6EdNS0_10empty_typeEbEEZZNS1_14partition_implILS5_6ELb0ES3_mN6thrust23THRUST_200600_302600_NS6detail15normal_iteratorINSA_10device_ptrIdEEEEPS6_SG_NS0_5tupleIJNSA_16discard_iteratorINSA_11use_defaultEEES6_EEENSH_IJSG_SG_EEES6_PlJNSB_9not_fun_tINSB_14equal_to_valueIdEEEEEEE10hipError_tPvRmT3_T4_T5_T6_T7_T9_mT8_P12ihipStream_tbDpT10_ENKUlT_T0_E_clISt17integral_constantIbLb1EES1A_IbLb0EEEEDaS16_S17_EUlS16_E_NS1_11comp_targetILNS1_3genE4ELNS1_11target_archE910ELNS1_3gpuE8ELNS1_3repE0EEENS1_30default_config_static_selectorELNS0_4arch9wavefront6targetE0EEEvT1_
	.p2align	8
	.type	_ZN7rocprim17ROCPRIM_400000_NS6detail17trampoline_kernelINS0_14default_configENS1_25partition_config_selectorILNS1_17partition_subalgoE6EdNS0_10empty_typeEbEEZZNS1_14partition_implILS5_6ELb0ES3_mN6thrust23THRUST_200600_302600_NS6detail15normal_iteratorINSA_10device_ptrIdEEEEPS6_SG_NS0_5tupleIJNSA_16discard_iteratorINSA_11use_defaultEEES6_EEENSH_IJSG_SG_EEES6_PlJNSB_9not_fun_tINSB_14equal_to_valueIdEEEEEEE10hipError_tPvRmT3_T4_T5_T6_T7_T9_mT8_P12ihipStream_tbDpT10_ENKUlT_T0_E_clISt17integral_constantIbLb1EES1A_IbLb0EEEEDaS16_S17_EUlS16_E_NS1_11comp_targetILNS1_3genE4ELNS1_11target_archE910ELNS1_3gpuE8ELNS1_3repE0EEENS1_30default_config_static_selectorELNS0_4arch9wavefront6targetE0EEEvT1_,@function
_ZN7rocprim17ROCPRIM_400000_NS6detail17trampoline_kernelINS0_14default_configENS1_25partition_config_selectorILNS1_17partition_subalgoE6EdNS0_10empty_typeEbEEZZNS1_14partition_implILS5_6ELb0ES3_mN6thrust23THRUST_200600_302600_NS6detail15normal_iteratorINSA_10device_ptrIdEEEEPS6_SG_NS0_5tupleIJNSA_16discard_iteratorINSA_11use_defaultEEES6_EEENSH_IJSG_SG_EEES6_PlJNSB_9not_fun_tINSB_14equal_to_valueIdEEEEEEE10hipError_tPvRmT3_T4_T5_T6_T7_T9_mT8_P12ihipStream_tbDpT10_ENKUlT_T0_E_clISt17integral_constantIbLb1EES1A_IbLb0EEEEDaS16_S17_EUlS16_E_NS1_11comp_targetILNS1_3genE4ELNS1_11target_archE910ELNS1_3gpuE8ELNS1_3repE0EEENS1_30default_config_static_selectorELNS0_4arch9wavefront6targetE0EEEvT1_: ; @_ZN7rocprim17ROCPRIM_400000_NS6detail17trampoline_kernelINS0_14default_configENS1_25partition_config_selectorILNS1_17partition_subalgoE6EdNS0_10empty_typeEbEEZZNS1_14partition_implILS5_6ELb0ES3_mN6thrust23THRUST_200600_302600_NS6detail15normal_iteratorINSA_10device_ptrIdEEEEPS6_SG_NS0_5tupleIJNSA_16discard_iteratorINSA_11use_defaultEEES6_EEENSH_IJSG_SG_EEES6_PlJNSB_9not_fun_tINSB_14equal_to_valueIdEEEEEEE10hipError_tPvRmT3_T4_T5_T6_T7_T9_mT8_P12ihipStream_tbDpT10_ENKUlT_T0_E_clISt17integral_constantIbLb1EES1A_IbLb0EEEEDaS16_S17_EUlS16_E_NS1_11comp_targetILNS1_3genE4ELNS1_11target_archE910ELNS1_3gpuE8ELNS1_3repE0EEENS1_30default_config_static_selectorELNS0_4arch9wavefront6targetE0EEEvT1_
; %bb.0:
	.section	.rodata,"a",@progbits
	.p2align	6, 0x0
	.amdhsa_kernel _ZN7rocprim17ROCPRIM_400000_NS6detail17trampoline_kernelINS0_14default_configENS1_25partition_config_selectorILNS1_17partition_subalgoE6EdNS0_10empty_typeEbEEZZNS1_14partition_implILS5_6ELb0ES3_mN6thrust23THRUST_200600_302600_NS6detail15normal_iteratorINSA_10device_ptrIdEEEEPS6_SG_NS0_5tupleIJNSA_16discard_iteratorINSA_11use_defaultEEES6_EEENSH_IJSG_SG_EEES6_PlJNSB_9not_fun_tINSB_14equal_to_valueIdEEEEEEE10hipError_tPvRmT3_T4_T5_T6_T7_T9_mT8_P12ihipStream_tbDpT10_ENKUlT_T0_E_clISt17integral_constantIbLb1EES1A_IbLb0EEEEDaS16_S17_EUlS16_E_NS1_11comp_targetILNS1_3genE4ELNS1_11target_archE910ELNS1_3gpuE8ELNS1_3repE0EEENS1_30default_config_static_selectorELNS0_4arch9wavefront6targetE0EEEvT1_
		.amdhsa_group_segment_fixed_size 0
		.amdhsa_private_segment_fixed_size 0
		.amdhsa_kernarg_size 128
		.amdhsa_user_sgpr_count 2
		.amdhsa_user_sgpr_dispatch_ptr 0
		.amdhsa_user_sgpr_queue_ptr 0
		.amdhsa_user_sgpr_kernarg_segment_ptr 1
		.amdhsa_user_sgpr_dispatch_id 0
		.amdhsa_user_sgpr_private_segment_size 0
		.amdhsa_wavefront_size32 1
		.amdhsa_uses_dynamic_stack 0
		.amdhsa_enable_private_segment 0
		.amdhsa_system_sgpr_workgroup_id_x 1
		.amdhsa_system_sgpr_workgroup_id_y 0
		.amdhsa_system_sgpr_workgroup_id_z 0
		.amdhsa_system_sgpr_workgroup_info 0
		.amdhsa_system_vgpr_workitem_id 0
		.amdhsa_next_free_vgpr 1
		.amdhsa_next_free_sgpr 1
		.amdhsa_reserve_vcc 0
		.amdhsa_float_round_mode_32 0
		.amdhsa_float_round_mode_16_64 0
		.amdhsa_float_denorm_mode_32 3
		.amdhsa_float_denorm_mode_16_64 3
		.amdhsa_fp16_overflow 0
		.amdhsa_workgroup_processor_mode 1
		.amdhsa_memory_ordered 1
		.amdhsa_forward_progress 1
		.amdhsa_inst_pref_size 0
		.amdhsa_round_robin_scheduling 0
		.amdhsa_exception_fp_ieee_invalid_op 0
		.amdhsa_exception_fp_denorm_src 0
		.amdhsa_exception_fp_ieee_div_zero 0
		.amdhsa_exception_fp_ieee_overflow 0
		.amdhsa_exception_fp_ieee_underflow 0
		.amdhsa_exception_fp_ieee_inexact 0
		.amdhsa_exception_int_div_zero 0
	.end_amdhsa_kernel
	.section	.text._ZN7rocprim17ROCPRIM_400000_NS6detail17trampoline_kernelINS0_14default_configENS1_25partition_config_selectorILNS1_17partition_subalgoE6EdNS0_10empty_typeEbEEZZNS1_14partition_implILS5_6ELb0ES3_mN6thrust23THRUST_200600_302600_NS6detail15normal_iteratorINSA_10device_ptrIdEEEEPS6_SG_NS0_5tupleIJNSA_16discard_iteratorINSA_11use_defaultEEES6_EEENSH_IJSG_SG_EEES6_PlJNSB_9not_fun_tINSB_14equal_to_valueIdEEEEEEE10hipError_tPvRmT3_T4_T5_T6_T7_T9_mT8_P12ihipStream_tbDpT10_ENKUlT_T0_E_clISt17integral_constantIbLb1EES1A_IbLb0EEEEDaS16_S17_EUlS16_E_NS1_11comp_targetILNS1_3genE4ELNS1_11target_archE910ELNS1_3gpuE8ELNS1_3repE0EEENS1_30default_config_static_selectorELNS0_4arch9wavefront6targetE0EEEvT1_,"axG",@progbits,_ZN7rocprim17ROCPRIM_400000_NS6detail17trampoline_kernelINS0_14default_configENS1_25partition_config_selectorILNS1_17partition_subalgoE6EdNS0_10empty_typeEbEEZZNS1_14partition_implILS5_6ELb0ES3_mN6thrust23THRUST_200600_302600_NS6detail15normal_iteratorINSA_10device_ptrIdEEEEPS6_SG_NS0_5tupleIJNSA_16discard_iteratorINSA_11use_defaultEEES6_EEENSH_IJSG_SG_EEES6_PlJNSB_9not_fun_tINSB_14equal_to_valueIdEEEEEEE10hipError_tPvRmT3_T4_T5_T6_T7_T9_mT8_P12ihipStream_tbDpT10_ENKUlT_T0_E_clISt17integral_constantIbLb1EES1A_IbLb0EEEEDaS16_S17_EUlS16_E_NS1_11comp_targetILNS1_3genE4ELNS1_11target_archE910ELNS1_3gpuE8ELNS1_3repE0EEENS1_30default_config_static_selectorELNS0_4arch9wavefront6targetE0EEEvT1_,comdat
.Lfunc_end1583:
	.size	_ZN7rocprim17ROCPRIM_400000_NS6detail17trampoline_kernelINS0_14default_configENS1_25partition_config_selectorILNS1_17partition_subalgoE6EdNS0_10empty_typeEbEEZZNS1_14partition_implILS5_6ELb0ES3_mN6thrust23THRUST_200600_302600_NS6detail15normal_iteratorINSA_10device_ptrIdEEEEPS6_SG_NS0_5tupleIJNSA_16discard_iteratorINSA_11use_defaultEEES6_EEENSH_IJSG_SG_EEES6_PlJNSB_9not_fun_tINSB_14equal_to_valueIdEEEEEEE10hipError_tPvRmT3_T4_T5_T6_T7_T9_mT8_P12ihipStream_tbDpT10_ENKUlT_T0_E_clISt17integral_constantIbLb1EES1A_IbLb0EEEEDaS16_S17_EUlS16_E_NS1_11comp_targetILNS1_3genE4ELNS1_11target_archE910ELNS1_3gpuE8ELNS1_3repE0EEENS1_30default_config_static_selectorELNS0_4arch9wavefront6targetE0EEEvT1_, .Lfunc_end1583-_ZN7rocprim17ROCPRIM_400000_NS6detail17trampoline_kernelINS0_14default_configENS1_25partition_config_selectorILNS1_17partition_subalgoE6EdNS0_10empty_typeEbEEZZNS1_14partition_implILS5_6ELb0ES3_mN6thrust23THRUST_200600_302600_NS6detail15normal_iteratorINSA_10device_ptrIdEEEEPS6_SG_NS0_5tupleIJNSA_16discard_iteratorINSA_11use_defaultEEES6_EEENSH_IJSG_SG_EEES6_PlJNSB_9not_fun_tINSB_14equal_to_valueIdEEEEEEE10hipError_tPvRmT3_T4_T5_T6_T7_T9_mT8_P12ihipStream_tbDpT10_ENKUlT_T0_E_clISt17integral_constantIbLb1EES1A_IbLb0EEEEDaS16_S17_EUlS16_E_NS1_11comp_targetILNS1_3genE4ELNS1_11target_archE910ELNS1_3gpuE8ELNS1_3repE0EEENS1_30default_config_static_selectorELNS0_4arch9wavefront6targetE0EEEvT1_
                                        ; -- End function
	.set _ZN7rocprim17ROCPRIM_400000_NS6detail17trampoline_kernelINS0_14default_configENS1_25partition_config_selectorILNS1_17partition_subalgoE6EdNS0_10empty_typeEbEEZZNS1_14partition_implILS5_6ELb0ES3_mN6thrust23THRUST_200600_302600_NS6detail15normal_iteratorINSA_10device_ptrIdEEEEPS6_SG_NS0_5tupleIJNSA_16discard_iteratorINSA_11use_defaultEEES6_EEENSH_IJSG_SG_EEES6_PlJNSB_9not_fun_tINSB_14equal_to_valueIdEEEEEEE10hipError_tPvRmT3_T4_T5_T6_T7_T9_mT8_P12ihipStream_tbDpT10_ENKUlT_T0_E_clISt17integral_constantIbLb1EES1A_IbLb0EEEEDaS16_S17_EUlS16_E_NS1_11comp_targetILNS1_3genE4ELNS1_11target_archE910ELNS1_3gpuE8ELNS1_3repE0EEENS1_30default_config_static_selectorELNS0_4arch9wavefront6targetE0EEEvT1_.num_vgpr, 0
	.set _ZN7rocprim17ROCPRIM_400000_NS6detail17trampoline_kernelINS0_14default_configENS1_25partition_config_selectorILNS1_17partition_subalgoE6EdNS0_10empty_typeEbEEZZNS1_14partition_implILS5_6ELb0ES3_mN6thrust23THRUST_200600_302600_NS6detail15normal_iteratorINSA_10device_ptrIdEEEEPS6_SG_NS0_5tupleIJNSA_16discard_iteratorINSA_11use_defaultEEES6_EEENSH_IJSG_SG_EEES6_PlJNSB_9not_fun_tINSB_14equal_to_valueIdEEEEEEE10hipError_tPvRmT3_T4_T5_T6_T7_T9_mT8_P12ihipStream_tbDpT10_ENKUlT_T0_E_clISt17integral_constantIbLb1EES1A_IbLb0EEEEDaS16_S17_EUlS16_E_NS1_11comp_targetILNS1_3genE4ELNS1_11target_archE910ELNS1_3gpuE8ELNS1_3repE0EEENS1_30default_config_static_selectorELNS0_4arch9wavefront6targetE0EEEvT1_.num_agpr, 0
	.set _ZN7rocprim17ROCPRIM_400000_NS6detail17trampoline_kernelINS0_14default_configENS1_25partition_config_selectorILNS1_17partition_subalgoE6EdNS0_10empty_typeEbEEZZNS1_14partition_implILS5_6ELb0ES3_mN6thrust23THRUST_200600_302600_NS6detail15normal_iteratorINSA_10device_ptrIdEEEEPS6_SG_NS0_5tupleIJNSA_16discard_iteratorINSA_11use_defaultEEES6_EEENSH_IJSG_SG_EEES6_PlJNSB_9not_fun_tINSB_14equal_to_valueIdEEEEEEE10hipError_tPvRmT3_T4_T5_T6_T7_T9_mT8_P12ihipStream_tbDpT10_ENKUlT_T0_E_clISt17integral_constantIbLb1EES1A_IbLb0EEEEDaS16_S17_EUlS16_E_NS1_11comp_targetILNS1_3genE4ELNS1_11target_archE910ELNS1_3gpuE8ELNS1_3repE0EEENS1_30default_config_static_selectorELNS0_4arch9wavefront6targetE0EEEvT1_.numbered_sgpr, 0
	.set _ZN7rocprim17ROCPRIM_400000_NS6detail17trampoline_kernelINS0_14default_configENS1_25partition_config_selectorILNS1_17partition_subalgoE6EdNS0_10empty_typeEbEEZZNS1_14partition_implILS5_6ELb0ES3_mN6thrust23THRUST_200600_302600_NS6detail15normal_iteratorINSA_10device_ptrIdEEEEPS6_SG_NS0_5tupleIJNSA_16discard_iteratorINSA_11use_defaultEEES6_EEENSH_IJSG_SG_EEES6_PlJNSB_9not_fun_tINSB_14equal_to_valueIdEEEEEEE10hipError_tPvRmT3_T4_T5_T6_T7_T9_mT8_P12ihipStream_tbDpT10_ENKUlT_T0_E_clISt17integral_constantIbLb1EES1A_IbLb0EEEEDaS16_S17_EUlS16_E_NS1_11comp_targetILNS1_3genE4ELNS1_11target_archE910ELNS1_3gpuE8ELNS1_3repE0EEENS1_30default_config_static_selectorELNS0_4arch9wavefront6targetE0EEEvT1_.num_named_barrier, 0
	.set _ZN7rocprim17ROCPRIM_400000_NS6detail17trampoline_kernelINS0_14default_configENS1_25partition_config_selectorILNS1_17partition_subalgoE6EdNS0_10empty_typeEbEEZZNS1_14partition_implILS5_6ELb0ES3_mN6thrust23THRUST_200600_302600_NS6detail15normal_iteratorINSA_10device_ptrIdEEEEPS6_SG_NS0_5tupleIJNSA_16discard_iteratorINSA_11use_defaultEEES6_EEENSH_IJSG_SG_EEES6_PlJNSB_9not_fun_tINSB_14equal_to_valueIdEEEEEEE10hipError_tPvRmT3_T4_T5_T6_T7_T9_mT8_P12ihipStream_tbDpT10_ENKUlT_T0_E_clISt17integral_constantIbLb1EES1A_IbLb0EEEEDaS16_S17_EUlS16_E_NS1_11comp_targetILNS1_3genE4ELNS1_11target_archE910ELNS1_3gpuE8ELNS1_3repE0EEENS1_30default_config_static_selectorELNS0_4arch9wavefront6targetE0EEEvT1_.private_seg_size, 0
	.set _ZN7rocprim17ROCPRIM_400000_NS6detail17trampoline_kernelINS0_14default_configENS1_25partition_config_selectorILNS1_17partition_subalgoE6EdNS0_10empty_typeEbEEZZNS1_14partition_implILS5_6ELb0ES3_mN6thrust23THRUST_200600_302600_NS6detail15normal_iteratorINSA_10device_ptrIdEEEEPS6_SG_NS0_5tupleIJNSA_16discard_iteratorINSA_11use_defaultEEES6_EEENSH_IJSG_SG_EEES6_PlJNSB_9not_fun_tINSB_14equal_to_valueIdEEEEEEE10hipError_tPvRmT3_T4_T5_T6_T7_T9_mT8_P12ihipStream_tbDpT10_ENKUlT_T0_E_clISt17integral_constantIbLb1EES1A_IbLb0EEEEDaS16_S17_EUlS16_E_NS1_11comp_targetILNS1_3genE4ELNS1_11target_archE910ELNS1_3gpuE8ELNS1_3repE0EEENS1_30default_config_static_selectorELNS0_4arch9wavefront6targetE0EEEvT1_.uses_vcc, 0
	.set _ZN7rocprim17ROCPRIM_400000_NS6detail17trampoline_kernelINS0_14default_configENS1_25partition_config_selectorILNS1_17partition_subalgoE6EdNS0_10empty_typeEbEEZZNS1_14partition_implILS5_6ELb0ES3_mN6thrust23THRUST_200600_302600_NS6detail15normal_iteratorINSA_10device_ptrIdEEEEPS6_SG_NS0_5tupleIJNSA_16discard_iteratorINSA_11use_defaultEEES6_EEENSH_IJSG_SG_EEES6_PlJNSB_9not_fun_tINSB_14equal_to_valueIdEEEEEEE10hipError_tPvRmT3_T4_T5_T6_T7_T9_mT8_P12ihipStream_tbDpT10_ENKUlT_T0_E_clISt17integral_constantIbLb1EES1A_IbLb0EEEEDaS16_S17_EUlS16_E_NS1_11comp_targetILNS1_3genE4ELNS1_11target_archE910ELNS1_3gpuE8ELNS1_3repE0EEENS1_30default_config_static_selectorELNS0_4arch9wavefront6targetE0EEEvT1_.uses_flat_scratch, 0
	.set _ZN7rocprim17ROCPRIM_400000_NS6detail17trampoline_kernelINS0_14default_configENS1_25partition_config_selectorILNS1_17partition_subalgoE6EdNS0_10empty_typeEbEEZZNS1_14partition_implILS5_6ELb0ES3_mN6thrust23THRUST_200600_302600_NS6detail15normal_iteratorINSA_10device_ptrIdEEEEPS6_SG_NS0_5tupleIJNSA_16discard_iteratorINSA_11use_defaultEEES6_EEENSH_IJSG_SG_EEES6_PlJNSB_9not_fun_tINSB_14equal_to_valueIdEEEEEEE10hipError_tPvRmT3_T4_T5_T6_T7_T9_mT8_P12ihipStream_tbDpT10_ENKUlT_T0_E_clISt17integral_constantIbLb1EES1A_IbLb0EEEEDaS16_S17_EUlS16_E_NS1_11comp_targetILNS1_3genE4ELNS1_11target_archE910ELNS1_3gpuE8ELNS1_3repE0EEENS1_30default_config_static_selectorELNS0_4arch9wavefront6targetE0EEEvT1_.has_dyn_sized_stack, 0
	.set _ZN7rocprim17ROCPRIM_400000_NS6detail17trampoline_kernelINS0_14default_configENS1_25partition_config_selectorILNS1_17partition_subalgoE6EdNS0_10empty_typeEbEEZZNS1_14partition_implILS5_6ELb0ES3_mN6thrust23THRUST_200600_302600_NS6detail15normal_iteratorINSA_10device_ptrIdEEEEPS6_SG_NS0_5tupleIJNSA_16discard_iteratorINSA_11use_defaultEEES6_EEENSH_IJSG_SG_EEES6_PlJNSB_9not_fun_tINSB_14equal_to_valueIdEEEEEEE10hipError_tPvRmT3_T4_T5_T6_T7_T9_mT8_P12ihipStream_tbDpT10_ENKUlT_T0_E_clISt17integral_constantIbLb1EES1A_IbLb0EEEEDaS16_S17_EUlS16_E_NS1_11comp_targetILNS1_3genE4ELNS1_11target_archE910ELNS1_3gpuE8ELNS1_3repE0EEENS1_30default_config_static_selectorELNS0_4arch9wavefront6targetE0EEEvT1_.has_recursion, 0
	.set _ZN7rocprim17ROCPRIM_400000_NS6detail17trampoline_kernelINS0_14default_configENS1_25partition_config_selectorILNS1_17partition_subalgoE6EdNS0_10empty_typeEbEEZZNS1_14partition_implILS5_6ELb0ES3_mN6thrust23THRUST_200600_302600_NS6detail15normal_iteratorINSA_10device_ptrIdEEEEPS6_SG_NS0_5tupleIJNSA_16discard_iteratorINSA_11use_defaultEEES6_EEENSH_IJSG_SG_EEES6_PlJNSB_9not_fun_tINSB_14equal_to_valueIdEEEEEEE10hipError_tPvRmT3_T4_T5_T6_T7_T9_mT8_P12ihipStream_tbDpT10_ENKUlT_T0_E_clISt17integral_constantIbLb1EES1A_IbLb0EEEEDaS16_S17_EUlS16_E_NS1_11comp_targetILNS1_3genE4ELNS1_11target_archE910ELNS1_3gpuE8ELNS1_3repE0EEENS1_30default_config_static_selectorELNS0_4arch9wavefront6targetE0EEEvT1_.has_indirect_call, 0
	.section	.AMDGPU.csdata,"",@progbits
; Kernel info:
; codeLenInByte = 0
; TotalNumSgprs: 0
; NumVgprs: 0
; ScratchSize: 0
; MemoryBound: 0
; FloatMode: 240
; IeeeMode: 1
; LDSByteSize: 0 bytes/workgroup (compile time only)
; SGPRBlocks: 0
; VGPRBlocks: 0
; NumSGPRsForWavesPerEU: 1
; NumVGPRsForWavesPerEU: 1
; Occupancy: 16
; WaveLimiterHint : 0
; COMPUTE_PGM_RSRC2:SCRATCH_EN: 0
; COMPUTE_PGM_RSRC2:USER_SGPR: 2
; COMPUTE_PGM_RSRC2:TRAP_HANDLER: 0
; COMPUTE_PGM_RSRC2:TGID_X_EN: 1
; COMPUTE_PGM_RSRC2:TGID_Y_EN: 0
; COMPUTE_PGM_RSRC2:TGID_Z_EN: 0
; COMPUTE_PGM_RSRC2:TIDIG_COMP_CNT: 0
	.section	.text._ZN7rocprim17ROCPRIM_400000_NS6detail17trampoline_kernelINS0_14default_configENS1_25partition_config_selectorILNS1_17partition_subalgoE6EdNS0_10empty_typeEbEEZZNS1_14partition_implILS5_6ELb0ES3_mN6thrust23THRUST_200600_302600_NS6detail15normal_iteratorINSA_10device_ptrIdEEEEPS6_SG_NS0_5tupleIJNSA_16discard_iteratorINSA_11use_defaultEEES6_EEENSH_IJSG_SG_EEES6_PlJNSB_9not_fun_tINSB_14equal_to_valueIdEEEEEEE10hipError_tPvRmT3_T4_T5_T6_T7_T9_mT8_P12ihipStream_tbDpT10_ENKUlT_T0_E_clISt17integral_constantIbLb1EES1A_IbLb0EEEEDaS16_S17_EUlS16_E_NS1_11comp_targetILNS1_3genE3ELNS1_11target_archE908ELNS1_3gpuE7ELNS1_3repE0EEENS1_30default_config_static_selectorELNS0_4arch9wavefront6targetE0EEEvT1_,"axG",@progbits,_ZN7rocprim17ROCPRIM_400000_NS6detail17trampoline_kernelINS0_14default_configENS1_25partition_config_selectorILNS1_17partition_subalgoE6EdNS0_10empty_typeEbEEZZNS1_14partition_implILS5_6ELb0ES3_mN6thrust23THRUST_200600_302600_NS6detail15normal_iteratorINSA_10device_ptrIdEEEEPS6_SG_NS0_5tupleIJNSA_16discard_iteratorINSA_11use_defaultEEES6_EEENSH_IJSG_SG_EEES6_PlJNSB_9not_fun_tINSB_14equal_to_valueIdEEEEEEE10hipError_tPvRmT3_T4_T5_T6_T7_T9_mT8_P12ihipStream_tbDpT10_ENKUlT_T0_E_clISt17integral_constantIbLb1EES1A_IbLb0EEEEDaS16_S17_EUlS16_E_NS1_11comp_targetILNS1_3genE3ELNS1_11target_archE908ELNS1_3gpuE7ELNS1_3repE0EEENS1_30default_config_static_selectorELNS0_4arch9wavefront6targetE0EEEvT1_,comdat
	.protected	_ZN7rocprim17ROCPRIM_400000_NS6detail17trampoline_kernelINS0_14default_configENS1_25partition_config_selectorILNS1_17partition_subalgoE6EdNS0_10empty_typeEbEEZZNS1_14partition_implILS5_6ELb0ES3_mN6thrust23THRUST_200600_302600_NS6detail15normal_iteratorINSA_10device_ptrIdEEEEPS6_SG_NS0_5tupleIJNSA_16discard_iteratorINSA_11use_defaultEEES6_EEENSH_IJSG_SG_EEES6_PlJNSB_9not_fun_tINSB_14equal_to_valueIdEEEEEEE10hipError_tPvRmT3_T4_T5_T6_T7_T9_mT8_P12ihipStream_tbDpT10_ENKUlT_T0_E_clISt17integral_constantIbLb1EES1A_IbLb0EEEEDaS16_S17_EUlS16_E_NS1_11comp_targetILNS1_3genE3ELNS1_11target_archE908ELNS1_3gpuE7ELNS1_3repE0EEENS1_30default_config_static_selectorELNS0_4arch9wavefront6targetE0EEEvT1_ ; -- Begin function _ZN7rocprim17ROCPRIM_400000_NS6detail17trampoline_kernelINS0_14default_configENS1_25partition_config_selectorILNS1_17partition_subalgoE6EdNS0_10empty_typeEbEEZZNS1_14partition_implILS5_6ELb0ES3_mN6thrust23THRUST_200600_302600_NS6detail15normal_iteratorINSA_10device_ptrIdEEEEPS6_SG_NS0_5tupleIJNSA_16discard_iteratorINSA_11use_defaultEEES6_EEENSH_IJSG_SG_EEES6_PlJNSB_9not_fun_tINSB_14equal_to_valueIdEEEEEEE10hipError_tPvRmT3_T4_T5_T6_T7_T9_mT8_P12ihipStream_tbDpT10_ENKUlT_T0_E_clISt17integral_constantIbLb1EES1A_IbLb0EEEEDaS16_S17_EUlS16_E_NS1_11comp_targetILNS1_3genE3ELNS1_11target_archE908ELNS1_3gpuE7ELNS1_3repE0EEENS1_30default_config_static_selectorELNS0_4arch9wavefront6targetE0EEEvT1_
	.globl	_ZN7rocprim17ROCPRIM_400000_NS6detail17trampoline_kernelINS0_14default_configENS1_25partition_config_selectorILNS1_17partition_subalgoE6EdNS0_10empty_typeEbEEZZNS1_14partition_implILS5_6ELb0ES3_mN6thrust23THRUST_200600_302600_NS6detail15normal_iteratorINSA_10device_ptrIdEEEEPS6_SG_NS0_5tupleIJNSA_16discard_iteratorINSA_11use_defaultEEES6_EEENSH_IJSG_SG_EEES6_PlJNSB_9not_fun_tINSB_14equal_to_valueIdEEEEEEE10hipError_tPvRmT3_T4_T5_T6_T7_T9_mT8_P12ihipStream_tbDpT10_ENKUlT_T0_E_clISt17integral_constantIbLb1EES1A_IbLb0EEEEDaS16_S17_EUlS16_E_NS1_11comp_targetILNS1_3genE3ELNS1_11target_archE908ELNS1_3gpuE7ELNS1_3repE0EEENS1_30default_config_static_selectorELNS0_4arch9wavefront6targetE0EEEvT1_
	.p2align	8
	.type	_ZN7rocprim17ROCPRIM_400000_NS6detail17trampoline_kernelINS0_14default_configENS1_25partition_config_selectorILNS1_17partition_subalgoE6EdNS0_10empty_typeEbEEZZNS1_14partition_implILS5_6ELb0ES3_mN6thrust23THRUST_200600_302600_NS6detail15normal_iteratorINSA_10device_ptrIdEEEEPS6_SG_NS0_5tupleIJNSA_16discard_iteratorINSA_11use_defaultEEES6_EEENSH_IJSG_SG_EEES6_PlJNSB_9not_fun_tINSB_14equal_to_valueIdEEEEEEE10hipError_tPvRmT3_T4_T5_T6_T7_T9_mT8_P12ihipStream_tbDpT10_ENKUlT_T0_E_clISt17integral_constantIbLb1EES1A_IbLb0EEEEDaS16_S17_EUlS16_E_NS1_11comp_targetILNS1_3genE3ELNS1_11target_archE908ELNS1_3gpuE7ELNS1_3repE0EEENS1_30default_config_static_selectorELNS0_4arch9wavefront6targetE0EEEvT1_,@function
_ZN7rocprim17ROCPRIM_400000_NS6detail17trampoline_kernelINS0_14default_configENS1_25partition_config_selectorILNS1_17partition_subalgoE6EdNS0_10empty_typeEbEEZZNS1_14partition_implILS5_6ELb0ES3_mN6thrust23THRUST_200600_302600_NS6detail15normal_iteratorINSA_10device_ptrIdEEEEPS6_SG_NS0_5tupleIJNSA_16discard_iteratorINSA_11use_defaultEEES6_EEENSH_IJSG_SG_EEES6_PlJNSB_9not_fun_tINSB_14equal_to_valueIdEEEEEEE10hipError_tPvRmT3_T4_T5_T6_T7_T9_mT8_P12ihipStream_tbDpT10_ENKUlT_T0_E_clISt17integral_constantIbLb1EES1A_IbLb0EEEEDaS16_S17_EUlS16_E_NS1_11comp_targetILNS1_3genE3ELNS1_11target_archE908ELNS1_3gpuE7ELNS1_3repE0EEENS1_30default_config_static_selectorELNS0_4arch9wavefront6targetE0EEEvT1_: ; @_ZN7rocprim17ROCPRIM_400000_NS6detail17trampoline_kernelINS0_14default_configENS1_25partition_config_selectorILNS1_17partition_subalgoE6EdNS0_10empty_typeEbEEZZNS1_14partition_implILS5_6ELb0ES3_mN6thrust23THRUST_200600_302600_NS6detail15normal_iteratorINSA_10device_ptrIdEEEEPS6_SG_NS0_5tupleIJNSA_16discard_iteratorINSA_11use_defaultEEES6_EEENSH_IJSG_SG_EEES6_PlJNSB_9not_fun_tINSB_14equal_to_valueIdEEEEEEE10hipError_tPvRmT3_T4_T5_T6_T7_T9_mT8_P12ihipStream_tbDpT10_ENKUlT_T0_E_clISt17integral_constantIbLb1EES1A_IbLb0EEEEDaS16_S17_EUlS16_E_NS1_11comp_targetILNS1_3genE3ELNS1_11target_archE908ELNS1_3gpuE7ELNS1_3repE0EEENS1_30default_config_static_selectorELNS0_4arch9wavefront6targetE0EEEvT1_
; %bb.0:
	.section	.rodata,"a",@progbits
	.p2align	6, 0x0
	.amdhsa_kernel _ZN7rocprim17ROCPRIM_400000_NS6detail17trampoline_kernelINS0_14default_configENS1_25partition_config_selectorILNS1_17partition_subalgoE6EdNS0_10empty_typeEbEEZZNS1_14partition_implILS5_6ELb0ES3_mN6thrust23THRUST_200600_302600_NS6detail15normal_iteratorINSA_10device_ptrIdEEEEPS6_SG_NS0_5tupleIJNSA_16discard_iteratorINSA_11use_defaultEEES6_EEENSH_IJSG_SG_EEES6_PlJNSB_9not_fun_tINSB_14equal_to_valueIdEEEEEEE10hipError_tPvRmT3_T4_T5_T6_T7_T9_mT8_P12ihipStream_tbDpT10_ENKUlT_T0_E_clISt17integral_constantIbLb1EES1A_IbLb0EEEEDaS16_S17_EUlS16_E_NS1_11comp_targetILNS1_3genE3ELNS1_11target_archE908ELNS1_3gpuE7ELNS1_3repE0EEENS1_30default_config_static_selectorELNS0_4arch9wavefront6targetE0EEEvT1_
		.amdhsa_group_segment_fixed_size 0
		.amdhsa_private_segment_fixed_size 0
		.amdhsa_kernarg_size 128
		.amdhsa_user_sgpr_count 2
		.amdhsa_user_sgpr_dispatch_ptr 0
		.amdhsa_user_sgpr_queue_ptr 0
		.amdhsa_user_sgpr_kernarg_segment_ptr 1
		.amdhsa_user_sgpr_dispatch_id 0
		.amdhsa_user_sgpr_private_segment_size 0
		.amdhsa_wavefront_size32 1
		.amdhsa_uses_dynamic_stack 0
		.amdhsa_enable_private_segment 0
		.amdhsa_system_sgpr_workgroup_id_x 1
		.amdhsa_system_sgpr_workgroup_id_y 0
		.amdhsa_system_sgpr_workgroup_id_z 0
		.amdhsa_system_sgpr_workgroup_info 0
		.amdhsa_system_vgpr_workitem_id 0
		.amdhsa_next_free_vgpr 1
		.amdhsa_next_free_sgpr 1
		.amdhsa_reserve_vcc 0
		.amdhsa_float_round_mode_32 0
		.amdhsa_float_round_mode_16_64 0
		.amdhsa_float_denorm_mode_32 3
		.amdhsa_float_denorm_mode_16_64 3
		.amdhsa_fp16_overflow 0
		.amdhsa_workgroup_processor_mode 1
		.amdhsa_memory_ordered 1
		.amdhsa_forward_progress 1
		.amdhsa_inst_pref_size 0
		.amdhsa_round_robin_scheduling 0
		.amdhsa_exception_fp_ieee_invalid_op 0
		.amdhsa_exception_fp_denorm_src 0
		.amdhsa_exception_fp_ieee_div_zero 0
		.amdhsa_exception_fp_ieee_overflow 0
		.amdhsa_exception_fp_ieee_underflow 0
		.amdhsa_exception_fp_ieee_inexact 0
		.amdhsa_exception_int_div_zero 0
	.end_amdhsa_kernel
	.section	.text._ZN7rocprim17ROCPRIM_400000_NS6detail17trampoline_kernelINS0_14default_configENS1_25partition_config_selectorILNS1_17partition_subalgoE6EdNS0_10empty_typeEbEEZZNS1_14partition_implILS5_6ELb0ES3_mN6thrust23THRUST_200600_302600_NS6detail15normal_iteratorINSA_10device_ptrIdEEEEPS6_SG_NS0_5tupleIJNSA_16discard_iteratorINSA_11use_defaultEEES6_EEENSH_IJSG_SG_EEES6_PlJNSB_9not_fun_tINSB_14equal_to_valueIdEEEEEEE10hipError_tPvRmT3_T4_T5_T6_T7_T9_mT8_P12ihipStream_tbDpT10_ENKUlT_T0_E_clISt17integral_constantIbLb1EES1A_IbLb0EEEEDaS16_S17_EUlS16_E_NS1_11comp_targetILNS1_3genE3ELNS1_11target_archE908ELNS1_3gpuE7ELNS1_3repE0EEENS1_30default_config_static_selectorELNS0_4arch9wavefront6targetE0EEEvT1_,"axG",@progbits,_ZN7rocprim17ROCPRIM_400000_NS6detail17trampoline_kernelINS0_14default_configENS1_25partition_config_selectorILNS1_17partition_subalgoE6EdNS0_10empty_typeEbEEZZNS1_14partition_implILS5_6ELb0ES3_mN6thrust23THRUST_200600_302600_NS6detail15normal_iteratorINSA_10device_ptrIdEEEEPS6_SG_NS0_5tupleIJNSA_16discard_iteratorINSA_11use_defaultEEES6_EEENSH_IJSG_SG_EEES6_PlJNSB_9not_fun_tINSB_14equal_to_valueIdEEEEEEE10hipError_tPvRmT3_T4_T5_T6_T7_T9_mT8_P12ihipStream_tbDpT10_ENKUlT_T0_E_clISt17integral_constantIbLb1EES1A_IbLb0EEEEDaS16_S17_EUlS16_E_NS1_11comp_targetILNS1_3genE3ELNS1_11target_archE908ELNS1_3gpuE7ELNS1_3repE0EEENS1_30default_config_static_selectorELNS0_4arch9wavefront6targetE0EEEvT1_,comdat
.Lfunc_end1584:
	.size	_ZN7rocprim17ROCPRIM_400000_NS6detail17trampoline_kernelINS0_14default_configENS1_25partition_config_selectorILNS1_17partition_subalgoE6EdNS0_10empty_typeEbEEZZNS1_14partition_implILS5_6ELb0ES3_mN6thrust23THRUST_200600_302600_NS6detail15normal_iteratorINSA_10device_ptrIdEEEEPS6_SG_NS0_5tupleIJNSA_16discard_iteratorINSA_11use_defaultEEES6_EEENSH_IJSG_SG_EEES6_PlJNSB_9not_fun_tINSB_14equal_to_valueIdEEEEEEE10hipError_tPvRmT3_T4_T5_T6_T7_T9_mT8_P12ihipStream_tbDpT10_ENKUlT_T0_E_clISt17integral_constantIbLb1EES1A_IbLb0EEEEDaS16_S17_EUlS16_E_NS1_11comp_targetILNS1_3genE3ELNS1_11target_archE908ELNS1_3gpuE7ELNS1_3repE0EEENS1_30default_config_static_selectorELNS0_4arch9wavefront6targetE0EEEvT1_, .Lfunc_end1584-_ZN7rocprim17ROCPRIM_400000_NS6detail17trampoline_kernelINS0_14default_configENS1_25partition_config_selectorILNS1_17partition_subalgoE6EdNS0_10empty_typeEbEEZZNS1_14partition_implILS5_6ELb0ES3_mN6thrust23THRUST_200600_302600_NS6detail15normal_iteratorINSA_10device_ptrIdEEEEPS6_SG_NS0_5tupleIJNSA_16discard_iteratorINSA_11use_defaultEEES6_EEENSH_IJSG_SG_EEES6_PlJNSB_9not_fun_tINSB_14equal_to_valueIdEEEEEEE10hipError_tPvRmT3_T4_T5_T6_T7_T9_mT8_P12ihipStream_tbDpT10_ENKUlT_T0_E_clISt17integral_constantIbLb1EES1A_IbLb0EEEEDaS16_S17_EUlS16_E_NS1_11comp_targetILNS1_3genE3ELNS1_11target_archE908ELNS1_3gpuE7ELNS1_3repE0EEENS1_30default_config_static_selectorELNS0_4arch9wavefront6targetE0EEEvT1_
                                        ; -- End function
	.set _ZN7rocprim17ROCPRIM_400000_NS6detail17trampoline_kernelINS0_14default_configENS1_25partition_config_selectorILNS1_17partition_subalgoE6EdNS0_10empty_typeEbEEZZNS1_14partition_implILS5_6ELb0ES3_mN6thrust23THRUST_200600_302600_NS6detail15normal_iteratorINSA_10device_ptrIdEEEEPS6_SG_NS0_5tupleIJNSA_16discard_iteratorINSA_11use_defaultEEES6_EEENSH_IJSG_SG_EEES6_PlJNSB_9not_fun_tINSB_14equal_to_valueIdEEEEEEE10hipError_tPvRmT3_T4_T5_T6_T7_T9_mT8_P12ihipStream_tbDpT10_ENKUlT_T0_E_clISt17integral_constantIbLb1EES1A_IbLb0EEEEDaS16_S17_EUlS16_E_NS1_11comp_targetILNS1_3genE3ELNS1_11target_archE908ELNS1_3gpuE7ELNS1_3repE0EEENS1_30default_config_static_selectorELNS0_4arch9wavefront6targetE0EEEvT1_.num_vgpr, 0
	.set _ZN7rocprim17ROCPRIM_400000_NS6detail17trampoline_kernelINS0_14default_configENS1_25partition_config_selectorILNS1_17partition_subalgoE6EdNS0_10empty_typeEbEEZZNS1_14partition_implILS5_6ELb0ES3_mN6thrust23THRUST_200600_302600_NS6detail15normal_iteratorINSA_10device_ptrIdEEEEPS6_SG_NS0_5tupleIJNSA_16discard_iteratorINSA_11use_defaultEEES6_EEENSH_IJSG_SG_EEES6_PlJNSB_9not_fun_tINSB_14equal_to_valueIdEEEEEEE10hipError_tPvRmT3_T4_T5_T6_T7_T9_mT8_P12ihipStream_tbDpT10_ENKUlT_T0_E_clISt17integral_constantIbLb1EES1A_IbLb0EEEEDaS16_S17_EUlS16_E_NS1_11comp_targetILNS1_3genE3ELNS1_11target_archE908ELNS1_3gpuE7ELNS1_3repE0EEENS1_30default_config_static_selectorELNS0_4arch9wavefront6targetE0EEEvT1_.num_agpr, 0
	.set _ZN7rocprim17ROCPRIM_400000_NS6detail17trampoline_kernelINS0_14default_configENS1_25partition_config_selectorILNS1_17partition_subalgoE6EdNS0_10empty_typeEbEEZZNS1_14partition_implILS5_6ELb0ES3_mN6thrust23THRUST_200600_302600_NS6detail15normal_iteratorINSA_10device_ptrIdEEEEPS6_SG_NS0_5tupleIJNSA_16discard_iteratorINSA_11use_defaultEEES6_EEENSH_IJSG_SG_EEES6_PlJNSB_9not_fun_tINSB_14equal_to_valueIdEEEEEEE10hipError_tPvRmT3_T4_T5_T6_T7_T9_mT8_P12ihipStream_tbDpT10_ENKUlT_T0_E_clISt17integral_constantIbLb1EES1A_IbLb0EEEEDaS16_S17_EUlS16_E_NS1_11comp_targetILNS1_3genE3ELNS1_11target_archE908ELNS1_3gpuE7ELNS1_3repE0EEENS1_30default_config_static_selectorELNS0_4arch9wavefront6targetE0EEEvT1_.numbered_sgpr, 0
	.set _ZN7rocprim17ROCPRIM_400000_NS6detail17trampoline_kernelINS0_14default_configENS1_25partition_config_selectorILNS1_17partition_subalgoE6EdNS0_10empty_typeEbEEZZNS1_14partition_implILS5_6ELb0ES3_mN6thrust23THRUST_200600_302600_NS6detail15normal_iteratorINSA_10device_ptrIdEEEEPS6_SG_NS0_5tupleIJNSA_16discard_iteratorINSA_11use_defaultEEES6_EEENSH_IJSG_SG_EEES6_PlJNSB_9not_fun_tINSB_14equal_to_valueIdEEEEEEE10hipError_tPvRmT3_T4_T5_T6_T7_T9_mT8_P12ihipStream_tbDpT10_ENKUlT_T0_E_clISt17integral_constantIbLb1EES1A_IbLb0EEEEDaS16_S17_EUlS16_E_NS1_11comp_targetILNS1_3genE3ELNS1_11target_archE908ELNS1_3gpuE7ELNS1_3repE0EEENS1_30default_config_static_selectorELNS0_4arch9wavefront6targetE0EEEvT1_.num_named_barrier, 0
	.set _ZN7rocprim17ROCPRIM_400000_NS6detail17trampoline_kernelINS0_14default_configENS1_25partition_config_selectorILNS1_17partition_subalgoE6EdNS0_10empty_typeEbEEZZNS1_14partition_implILS5_6ELb0ES3_mN6thrust23THRUST_200600_302600_NS6detail15normal_iteratorINSA_10device_ptrIdEEEEPS6_SG_NS0_5tupleIJNSA_16discard_iteratorINSA_11use_defaultEEES6_EEENSH_IJSG_SG_EEES6_PlJNSB_9not_fun_tINSB_14equal_to_valueIdEEEEEEE10hipError_tPvRmT3_T4_T5_T6_T7_T9_mT8_P12ihipStream_tbDpT10_ENKUlT_T0_E_clISt17integral_constantIbLb1EES1A_IbLb0EEEEDaS16_S17_EUlS16_E_NS1_11comp_targetILNS1_3genE3ELNS1_11target_archE908ELNS1_3gpuE7ELNS1_3repE0EEENS1_30default_config_static_selectorELNS0_4arch9wavefront6targetE0EEEvT1_.private_seg_size, 0
	.set _ZN7rocprim17ROCPRIM_400000_NS6detail17trampoline_kernelINS0_14default_configENS1_25partition_config_selectorILNS1_17partition_subalgoE6EdNS0_10empty_typeEbEEZZNS1_14partition_implILS5_6ELb0ES3_mN6thrust23THRUST_200600_302600_NS6detail15normal_iteratorINSA_10device_ptrIdEEEEPS6_SG_NS0_5tupleIJNSA_16discard_iteratorINSA_11use_defaultEEES6_EEENSH_IJSG_SG_EEES6_PlJNSB_9not_fun_tINSB_14equal_to_valueIdEEEEEEE10hipError_tPvRmT3_T4_T5_T6_T7_T9_mT8_P12ihipStream_tbDpT10_ENKUlT_T0_E_clISt17integral_constantIbLb1EES1A_IbLb0EEEEDaS16_S17_EUlS16_E_NS1_11comp_targetILNS1_3genE3ELNS1_11target_archE908ELNS1_3gpuE7ELNS1_3repE0EEENS1_30default_config_static_selectorELNS0_4arch9wavefront6targetE0EEEvT1_.uses_vcc, 0
	.set _ZN7rocprim17ROCPRIM_400000_NS6detail17trampoline_kernelINS0_14default_configENS1_25partition_config_selectorILNS1_17partition_subalgoE6EdNS0_10empty_typeEbEEZZNS1_14partition_implILS5_6ELb0ES3_mN6thrust23THRUST_200600_302600_NS6detail15normal_iteratorINSA_10device_ptrIdEEEEPS6_SG_NS0_5tupleIJNSA_16discard_iteratorINSA_11use_defaultEEES6_EEENSH_IJSG_SG_EEES6_PlJNSB_9not_fun_tINSB_14equal_to_valueIdEEEEEEE10hipError_tPvRmT3_T4_T5_T6_T7_T9_mT8_P12ihipStream_tbDpT10_ENKUlT_T0_E_clISt17integral_constantIbLb1EES1A_IbLb0EEEEDaS16_S17_EUlS16_E_NS1_11comp_targetILNS1_3genE3ELNS1_11target_archE908ELNS1_3gpuE7ELNS1_3repE0EEENS1_30default_config_static_selectorELNS0_4arch9wavefront6targetE0EEEvT1_.uses_flat_scratch, 0
	.set _ZN7rocprim17ROCPRIM_400000_NS6detail17trampoline_kernelINS0_14default_configENS1_25partition_config_selectorILNS1_17partition_subalgoE6EdNS0_10empty_typeEbEEZZNS1_14partition_implILS5_6ELb0ES3_mN6thrust23THRUST_200600_302600_NS6detail15normal_iteratorINSA_10device_ptrIdEEEEPS6_SG_NS0_5tupleIJNSA_16discard_iteratorINSA_11use_defaultEEES6_EEENSH_IJSG_SG_EEES6_PlJNSB_9not_fun_tINSB_14equal_to_valueIdEEEEEEE10hipError_tPvRmT3_T4_T5_T6_T7_T9_mT8_P12ihipStream_tbDpT10_ENKUlT_T0_E_clISt17integral_constantIbLb1EES1A_IbLb0EEEEDaS16_S17_EUlS16_E_NS1_11comp_targetILNS1_3genE3ELNS1_11target_archE908ELNS1_3gpuE7ELNS1_3repE0EEENS1_30default_config_static_selectorELNS0_4arch9wavefront6targetE0EEEvT1_.has_dyn_sized_stack, 0
	.set _ZN7rocprim17ROCPRIM_400000_NS6detail17trampoline_kernelINS0_14default_configENS1_25partition_config_selectorILNS1_17partition_subalgoE6EdNS0_10empty_typeEbEEZZNS1_14partition_implILS5_6ELb0ES3_mN6thrust23THRUST_200600_302600_NS6detail15normal_iteratorINSA_10device_ptrIdEEEEPS6_SG_NS0_5tupleIJNSA_16discard_iteratorINSA_11use_defaultEEES6_EEENSH_IJSG_SG_EEES6_PlJNSB_9not_fun_tINSB_14equal_to_valueIdEEEEEEE10hipError_tPvRmT3_T4_T5_T6_T7_T9_mT8_P12ihipStream_tbDpT10_ENKUlT_T0_E_clISt17integral_constantIbLb1EES1A_IbLb0EEEEDaS16_S17_EUlS16_E_NS1_11comp_targetILNS1_3genE3ELNS1_11target_archE908ELNS1_3gpuE7ELNS1_3repE0EEENS1_30default_config_static_selectorELNS0_4arch9wavefront6targetE0EEEvT1_.has_recursion, 0
	.set _ZN7rocprim17ROCPRIM_400000_NS6detail17trampoline_kernelINS0_14default_configENS1_25partition_config_selectorILNS1_17partition_subalgoE6EdNS0_10empty_typeEbEEZZNS1_14partition_implILS5_6ELb0ES3_mN6thrust23THRUST_200600_302600_NS6detail15normal_iteratorINSA_10device_ptrIdEEEEPS6_SG_NS0_5tupleIJNSA_16discard_iteratorINSA_11use_defaultEEES6_EEENSH_IJSG_SG_EEES6_PlJNSB_9not_fun_tINSB_14equal_to_valueIdEEEEEEE10hipError_tPvRmT3_T4_T5_T6_T7_T9_mT8_P12ihipStream_tbDpT10_ENKUlT_T0_E_clISt17integral_constantIbLb1EES1A_IbLb0EEEEDaS16_S17_EUlS16_E_NS1_11comp_targetILNS1_3genE3ELNS1_11target_archE908ELNS1_3gpuE7ELNS1_3repE0EEENS1_30default_config_static_selectorELNS0_4arch9wavefront6targetE0EEEvT1_.has_indirect_call, 0
	.section	.AMDGPU.csdata,"",@progbits
; Kernel info:
; codeLenInByte = 0
; TotalNumSgprs: 0
; NumVgprs: 0
; ScratchSize: 0
; MemoryBound: 0
; FloatMode: 240
; IeeeMode: 1
; LDSByteSize: 0 bytes/workgroup (compile time only)
; SGPRBlocks: 0
; VGPRBlocks: 0
; NumSGPRsForWavesPerEU: 1
; NumVGPRsForWavesPerEU: 1
; Occupancy: 16
; WaveLimiterHint : 0
; COMPUTE_PGM_RSRC2:SCRATCH_EN: 0
; COMPUTE_PGM_RSRC2:USER_SGPR: 2
; COMPUTE_PGM_RSRC2:TRAP_HANDLER: 0
; COMPUTE_PGM_RSRC2:TGID_X_EN: 1
; COMPUTE_PGM_RSRC2:TGID_Y_EN: 0
; COMPUTE_PGM_RSRC2:TGID_Z_EN: 0
; COMPUTE_PGM_RSRC2:TIDIG_COMP_CNT: 0
	.section	.text._ZN7rocprim17ROCPRIM_400000_NS6detail17trampoline_kernelINS0_14default_configENS1_25partition_config_selectorILNS1_17partition_subalgoE6EdNS0_10empty_typeEbEEZZNS1_14partition_implILS5_6ELb0ES3_mN6thrust23THRUST_200600_302600_NS6detail15normal_iteratorINSA_10device_ptrIdEEEEPS6_SG_NS0_5tupleIJNSA_16discard_iteratorINSA_11use_defaultEEES6_EEENSH_IJSG_SG_EEES6_PlJNSB_9not_fun_tINSB_14equal_to_valueIdEEEEEEE10hipError_tPvRmT3_T4_T5_T6_T7_T9_mT8_P12ihipStream_tbDpT10_ENKUlT_T0_E_clISt17integral_constantIbLb1EES1A_IbLb0EEEEDaS16_S17_EUlS16_E_NS1_11comp_targetILNS1_3genE2ELNS1_11target_archE906ELNS1_3gpuE6ELNS1_3repE0EEENS1_30default_config_static_selectorELNS0_4arch9wavefront6targetE0EEEvT1_,"axG",@progbits,_ZN7rocprim17ROCPRIM_400000_NS6detail17trampoline_kernelINS0_14default_configENS1_25partition_config_selectorILNS1_17partition_subalgoE6EdNS0_10empty_typeEbEEZZNS1_14partition_implILS5_6ELb0ES3_mN6thrust23THRUST_200600_302600_NS6detail15normal_iteratorINSA_10device_ptrIdEEEEPS6_SG_NS0_5tupleIJNSA_16discard_iteratorINSA_11use_defaultEEES6_EEENSH_IJSG_SG_EEES6_PlJNSB_9not_fun_tINSB_14equal_to_valueIdEEEEEEE10hipError_tPvRmT3_T4_T5_T6_T7_T9_mT8_P12ihipStream_tbDpT10_ENKUlT_T0_E_clISt17integral_constantIbLb1EES1A_IbLb0EEEEDaS16_S17_EUlS16_E_NS1_11comp_targetILNS1_3genE2ELNS1_11target_archE906ELNS1_3gpuE6ELNS1_3repE0EEENS1_30default_config_static_selectorELNS0_4arch9wavefront6targetE0EEEvT1_,comdat
	.protected	_ZN7rocprim17ROCPRIM_400000_NS6detail17trampoline_kernelINS0_14default_configENS1_25partition_config_selectorILNS1_17partition_subalgoE6EdNS0_10empty_typeEbEEZZNS1_14partition_implILS5_6ELb0ES3_mN6thrust23THRUST_200600_302600_NS6detail15normal_iteratorINSA_10device_ptrIdEEEEPS6_SG_NS0_5tupleIJNSA_16discard_iteratorINSA_11use_defaultEEES6_EEENSH_IJSG_SG_EEES6_PlJNSB_9not_fun_tINSB_14equal_to_valueIdEEEEEEE10hipError_tPvRmT3_T4_T5_T6_T7_T9_mT8_P12ihipStream_tbDpT10_ENKUlT_T0_E_clISt17integral_constantIbLb1EES1A_IbLb0EEEEDaS16_S17_EUlS16_E_NS1_11comp_targetILNS1_3genE2ELNS1_11target_archE906ELNS1_3gpuE6ELNS1_3repE0EEENS1_30default_config_static_selectorELNS0_4arch9wavefront6targetE0EEEvT1_ ; -- Begin function _ZN7rocprim17ROCPRIM_400000_NS6detail17trampoline_kernelINS0_14default_configENS1_25partition_config_selectorILNS1_17partition_subalgoE6EdNS0_10empty_typeEbEEZZNS1_14partition_implILS5_6ELb0ES3_mN6thrust23THRUST_200600_302600_NS6detail15normal_iteratorINSA_10device_ptrIdEEEEPS6_SG_NS0_5tupleIJNSA_16discard_iteratorINSA_11use_defaultEEES6_EEENSH_IJSG_SG_EEES6_PlJNSB_9not_fun_tINSB_14equal_to_valueIdEEEEEEE10hipError_tPvRmT3_T4_T5_T6_T7_T9_mT8_P12ihipStream_tbDpT10_ENKUlT_T0_E_clISt17integral_constantIbLb1EES1A_IbLb0EEEEDaS16_S17_EUlS16_E_NS1_11comp_targetILNS1_3genE2ELNS1_11target_archE906ELNS1_3gpuE6ELNS1_3repE0EEENS1_30default_config_static_selectorELNS0_4arch9wavefront6targetE0EEEvT1_
	.globl	_ZN7rocprim17ROCPRIM_400000_NS6detail17trampoline_kernelINS0_14default_configENS1_25partition_config_selectorILNS1_17partition_subalgoE6EdNS0_10empty_typeEbEEZZNS1_14partition_implILS5_6ELb0ES3_mN6thrust23THRUST_200600_302600_NS6detail15normal_iteratorINSA_10device_ptrIdEEEEPS6_SG_NS0_5tupleIJNSA_16discard_iteratorINSA_11use_defaultEEES6_EEENSH_IJSG_SG_EEES6_PlJNSB_9not_fun_tINSB_14equal_to_valueIdEEEEEEE10hipError_tPvRmT3_T4_T5_T6_T7_T9_mT8_P12ihipStream_tbDpT10_ENKUlT_T0_E_clISt17integral_constantIbLb1EES1A_IbLb0EEEEDaS16_S17_EUlS16_E_NS1_11comp_targetILNS1_3genE2ELNS1_11target_archE906ELNS1_3gpuE6ELNS1_3repE0EEENS1_30default_config_static_selectorELNS0_4arch9wavefront6targetE0EEEvT1_
	.p2align	8
	.type	_ZN7rocprim17ROCPRIM_400000_NS6detail17trampoline_kernelINS0_14default_configENS1_25partition_config_selectorILNS1_17partition_subalgoE6EdNS0_10empty_typeEbEEZZNS1_14partition_implILS5_6ELb0ES3_mN6thrust23THRUST_200600_302600_NS6detail15normal_iteratorINSA_10device_ptrIdEEEEPS6_SG_NS0_5tupleIJNSA_16discard_iteratorINSA_11use_defaultEEES6_EEENSH_IJSG_SG_EEES6_PlJNSB_9not_fun_tINSB_14equal_to_valueIdEEEEEEE10hipError_tPvRmT3_T4_T5_T6_T7_T9_mT8_P12ihipStream_tbDpT10_ENKUlT_T0_E_clISt17integral_constantIbLb1EES1A_IbLb0EEEEDaS16_S17_EUlS16_E_NS1_11comp_targetILNS1_3genE2ELNS1_11target_archE906ELNS1_3gpuE6ELNS1_3repE0EEENS1_30default_config_static_selectorELNS0_4arch9wavefront6targetE0EEEvT1_,@function
_ZN7rocprim17ROCPRIM_400000_NS6detail17trampoline_kernelINS0_14default_configENS1_25partition_config_selectorILNS1_17partition_subalgoE6EdNS0_10empty_typeEbEEZZNS1_14partition_implILS5_6ELb0ES3_mN6thrust23THRUST_200600_302600_NS6detail15normal_iteratorINSA_10device_ptrIdEEEEPS6_SG_NS0_5tupleIJNSA_16discard_iteratorINSA_11use_defaultEEES6_EEENSH_IJSG_SG_EEES6_PlJNSB_9not_fun_tINSB_14equal_to_valueIdEEEEEEE10hipError_tPvRmT3_T4_T5_T6_T7_T9_mT8_P12ihipStream_tbDpT10_ENKUlT_T0_E_clISt17integral_constantIbLb1EES1A_IbLb0EEEEDaS16_S17_EUlS16_E_NS1_11comp_targetILNS1_3genE2ELNS1_11target_archE906ELNS1_3gpuE6ELNS1_3repE0EEENS1_30default_config_static_selectorELNS0_4arch9wavefront6targetE0EEEvT1_: ; @_ZN7rocprim17ROCPRIM_400000_NS6detail17trampoline_kernelINS0_14default_configENS1_25partition_config_selectorILNS1_17partition_subalgoE6EdNS0_10empty_typeEbEEZZNS1_14partition_implILS5_6ELb0ES3_mN6thrust23THRUST_200600_302600_NS6detail15normal_iteratorINSA_10device_ptrIdEEEEPS6_SG_NS0_5tupleIJNSA_16discard_iteratorINSA_11use_defaultEEES6_EEENSH_IJSG_SG_EEES6_PlJNSB_9not_fun_tINSB_14equal_to_valueIdEEEEEEE10hipError_tPvRmT3_T4_T5_T6_T7_T9_mT8_P12ihipStream_tbDpT10_ENKUlT_T0_E_clISt17integral_constantIbLb1EES1A_IbLb0EEEEDaS16_S17_EUlS16_E_NS1_11comp_targetILNS1_3genE2ELNS1_11target_archE906ELNS1_3gpuE6ELNS1_3repE0EEENS1_30default_config_static_selectorELNS0_4arch9wavefront6targetE0EEEvT1_
; %bb.0:
	.section	.rodata,"a",@progbits
	.p2align	6, 0x0
	.amdhsa_kernel _ZN7rocprim17ROCPRIM_400000_NS6detail17trampoline_kernelINS0_14default_configENS1_25partition_config_selectorILNS1_17partition_subalgoE6EdNS0_10empty_typeEbEEZZNS1_14partition_implILS5_6ELb0ES3_mN6thrust23THRUST_200600_302600_NS6detail15normal_iteratorINSA_10device_ptrIdEEEEPS6_SG_NS0_5tupleIJNSA_16discard_iteratorINSA_11use_defaultEEES6_EEENSH_IJSG_SG_EEES6_PlJNSB_9not_fun_tINSB_14equal_to_valueIdEEEEEEE10hipError_tPvRmT3_T4_T5_T6_T7_T9_mT8_P12ihipStream_tbDpT10_ENKUlT_T0_E_clISt17integral_constantIbLb1EES1A_IbLb0EEEEDaS16_S17_EUlS16_E_NS1_11comp_targetILNS1_3genE2ELNS1_11target_archE906ELNS1_3gpuE6ELNS1_3repE0EEENS1_30default_config_static_selectorELNS0_4arch9wavefront6targetE0EEEvT1_
		.amdhsa_group_segment_fixed_size 0
		.amdhsa_private_segment_fixed_size 0
		.amdhsa_kernarg_size 128
		.amdhsa_user_sgpr_count 2
		.amdhsa_user_sgpr_dispatch_ptr 0
		.amdhsa_user_sgpr_queue_ptr 0
		.amdhsa_user_sgpr_kernarg_segment_ptr 1
		.amdhsa_user_sgpr_dispatch_id 0
		.amdhsa_user_sgpr_private_segment_size 0
		.amdhsa_wavefront_size32 1
		.amdhsa_uses_dynamic_stack 0
		.amdhsa_enable_private_segment 0
		.amdhsa_system_sgpr_workgroup_id_x 1
		.amdhsa_system_sgpr_workgroup_id_y 0
		.amdhsa_system_sgpr_workgroup_id_z 0
		.amdhsa_system_sgpr_workgroup_info 0
		.amdhsa_system_vgpr_workitem_id 0
		.amdhsa_next_free_vgpr 1
		.amdhsa_next_free_sgpr 1
		.amdhsa_reserve_vcc 0
		.amdhsa_float_round_mode_32 0
		.amdhsa_float_round_mode_16_64 0
		.amdhsa_float_denorm_mode_32 3
		.amdhsa_float_denorm_mode_16_64 3
		.amdhsa_fp16_overflow 0
		.amdhsa_workgroup_processor_mode 1
		.amdhsa_memory_ordered 1
		.amdhsa_forward_progress 1
		.amdhsa_inst_pref_size 0
		.amdhsa_round_robin_scheduling 0
		.amdhsa_exception_fp_ieee_invalid_op 0
		.amdhsa_exception_fp_denorm_src 0
		.amdhsa_exception_fp_ieee_div_zero 0
		.amdhsa_exception_fp_ieee_overflow 0
		.amdhsa_exception_fp_ieee_underflow 0
		.amdhsa_exception_fp_ieee_inexact 0
		.amdhsa_exception_int_div_zero 0
	.end_amdhsa_kernel
	.section	.text._ZN7rocprim17ROCPRIM_400000_NS6detail17trampoline_kernelINS0_14default_configENS1_25partition_config_selectorILNS1_17partition_subalgoE6EdNS0_10empty_typeEbEEZZNS1_14partition_implILS5_6ELb0ES3_mN6thrust23THRUST_200600_302600_NS6detail15normal_iteratorINSA_10device_ptrIdEEEEPS6_SG_NS0_5tupleIJNSA_16discard_iteratorINSA_11use_defaultEEES6_EEENSH_IJSG_SG_EEES6_PlJNSB_9not_fun_tINSB_14equal_to_valueIdEEEEEEE10hipError_tPvRmT3_T4_T5_T6_T7_T9_mT8_P12ihipStream_tbDpT10_ENKUlT_T0_E_clISt17integral_constantIbLb1EES1A_IbLb0EEEEDaS16_S17_EUlS16_E_NS1_11comp_targetILNS1_3genE2ELNS1_11target_archE906ELNS1_3gpuE6ELNS1_3repE0EEENS1_30default_config_static_selectorELNS0_4arch9wavefront6targetE0EEEvT1_,"axG",@progbits,_ZN7rocprim17ROCPRIM_400000_NS6detail17trampoline_kernelINS0_14default_configENS1_25partition_config_selectorILNS1_17partition_subalgoE6EdNS0_10empty_typeEbEEZZNS1_14partition_implILS5_6ELb0ES3_mN6thrust23THRUST_200600_302600_NS6detail15normal_iteratorINSA_10device_ptrIdEEEEPS6_SG_NS0_5tupleIJNSA_16discard_iteratorINSA_11use_defaultEEES6_EEENSH_IJSG_SG_EEES6_PlJNSB_9not_fun_tINSB_14equal_to_valueIdEEEEEEE10hipError_tPvRmT3_T4_T5_T6_T7_T9_mT8_P12ihipStream_tbDpT10_ENKUlT_T0_E_clISt17integral_constantIbLb1EES1A_IbLb0EEEEDaS16_S17_EUlS16_E_NS1_11comp_targetILNS1_3genE2ELNS1_11target_archE906ELNS1_3gpuE6ELNS1_3repE0EEENS1_30default_config_static_selectorELNS0_4arch9wavefront6targetE0EEEvT1_,comdat
.Lfunc_end1585:
	.size	_ZN7rocprim17ROCPRIM_400000_NS6detail17trampoline_kernelINS0_14default_configENS1_25partition_config_selectorILNS1_17partition_subalgoE6EdNS0_10empty_typeEbEEZZNS1_14partition_implILS5_6ELb0ES3_mN6thrust23THRUST_200600_302600_NS6detail15normal_iteratorINSA_10device_ptrIdEEEEPS6_SG_NS0_5tupleIJNSA_16discard_iteratorINSA_11use_defaultEEES6_EEENSH_IJSG_SG_EEES6_PlJNSB_9not_fun_tINSB_14equal_to_valueIdEEEEEEE10hipError_tPvRmT3_T4_T5_T6_T7_T9_mT8_P12ihipStream_tbDpT10_ENKUlT_T0_E_clISt17integral_constantIbLb1EES1A_IbLb0EEEEDaS16_S17_EUlS16_E_NS1_11comp_targetILNS1_3genE2ELNS1_11target_archE906ELNS1_3gpuE6ELNS1_3repE0EEENS1_30default_config_static_selectorELNS0_4arch9wavefront6targetE0EEEvT1_, .Lfunc_end1585-_ZN7rocprim17ROCPRIM_400000_NS6detail17trampoline_kernelINS0_14default_configENS1_25partition_config_selectorILNS1_17partition_subalgoE6EdNS0_10empty_typeEbEEZZNS1_14partition_implILS5_6ELb0ES3_mN6thrust23THRUST_200600_302600_NS6detail15normal_iteratorINSA_10device_ptrIdEEEEPS6_SG_NS0_5tupleIJNSA_16discard_iteratorINSA_11use_defaultEEES6_EEENSH_IJSG_SG_EEES6_PlJNSB_9not_fun_tINSB_14equal_to_valueIdEEEEEEE10hipError_tPvRmT3_T4_T5_T6_T7_T9_mT8_P12ihipStream_tbDpT10_ENKUlT_T0_E_clISt17integral_constantIbLb1EES1A_IbLb0EEEEDaS16_S17_EUlS16_E_NS1_11comp_targetILNS1_3genE2ELNS1_11target_archE906ELNS1_3gpuE6ELNS1_3repE0EEENS1_30default_config_static_selectorELNS0_4arch9wavefront6targetE0EEEvT1_
                                        ; -- End function
	.set _ZN7rocprim17ROCPRIM_400000_NS6detail17trampoline_kernelINS0_14default_configENS1_25partition_config_selectorILNS1_17partition_subalgoE6EdNS0_10empty_typeEbEEZZNS1_14partition_implILS5_6ELb0ES3_mN6thrust23THRUST_200600_302600_NS6detail15normal_iteratorINSA_10device_ptrIdEEEEPS6_SG_NS0_5tupleIJNSA_16discard_iteratorINSA_11use_defaultEEES6_EEENSH_IJSG_SG_EEES6_PlJNSB_9not_fun_tINSB_14equal_to_valueIdEEEEEEE10hipError_tPvRmT3_T4_T5_T6_T7_T9_mT8_P12ihipStream_tbDpT10_ENKUlT_T0_E_clISt17integral_constantIbLb1EES1A_IbLb0EEEEDaS16_S17_EUlS16_E_NS1_11comp_targetILNS1_3genE2ELNS1_11target_archE906ELNS1_3gpuE6ELNS1_3repE0EEENS1_30default_config_static_selectorELNS0_4arch9wavefront6targetE0EEEvT1_.num_vgpr, 0
	.set _ZN7rocprim17ROCPRIM_400000_NS6detail17trampoline_kernelINS0_14default_configENS1_25partition_config_selectorILNS1_17partition_subalgoE6EdNS0_10empty_typeEbEEZZNS1_14partition_implILS5_6ELb0ES3_mN6thrust23THRUST_200600_302600_NS6detail15normal_iteratorINSA_10device_ptrIdEEEEPS6_SG_NS0_5tupleIJNSA_16discard_iteratorINSA_11use_defaultEEES6_EEENSH_IJSG_SG_EEES6_PlJNSB_9not_fun_tINSB_14equal_to_valueIdEEEEEEE10hipError_tPvRmT3_T4_T5_T6_T7_T9_mT8_P12ihipStream_tbDpT10_ENKUlT_T0_E_clISt17integral_constantIbLb1EES1A_IbLb0EEEEDaS16_S17_EUlS16_E_NS1_11comp_targetILNS1_3genE2ELNS1_11target_archE906ELNS1_3gpuE6ELNS1_3repE0EEENS1_30default_config_static_selectorELNS0_4arch9wavefront6targetE0EEEvT1_.num_agpr, 0
	.set _ZN7rocprim17ROCPRIM_400000_NS6detail17trampoline_kernelINS0_14default_configENS1_25partition_config_selectorILNS1_17partition_subalgoE6EdNS0_10empty_typeEbEEZZNS1_14partition_implILS5_6ELb0ES3_mN6thrust23THRUST_200600_302600_NS6detail15normal_iteratorINSA_10device_ptrIdEEEEPS6_SG_NS0_5tupleIJNSA_16discard_iteratorINSA_11use_defaultEEES6_EEENSH_IJSG_SG_EEES6_PlJNSB_9not_fun_tINSB_14equal_to_valueIdEEEEEEE10hipError_tPvRmT3_T4_T5_T6_T7_T9_mT8_P12ihipStream_tbDpT10_ENKUlT_T0_E_clISt17integral_constantIbLb1EES1A_IbLb0EEEEDaS16_S17_EUlS16_E_NS1_11comp_targetILNS1_3genE2ELNS1_11target_archE906ELNS1_3gpuE6ELNS1_3repE0EEENS1_30default_config_static_selectorELNS0_4arch9wavefront6targetE0EEEvT1_.numbered_sgpr, 0
	.set _ZN7rocprim17ROCPRIM_400000_NS6detail17trampoline_kernelINS0_14default_configENS1_25partition_config_selectorILNS1_17partition_subalgoE6EdNS0_10empty_typeEbEEZZNS1_14partition_implILS5_6ELb0ES3_mN6thrust23THRUST_200600_302600_NS6detail15normal_iteratorINSA_10device_ptrIdEEEEPS6_SG_NS0_5tupleIJNSA_16discard_iteratorINSA_11use_defaultEEES6_EEENSH_IJSG_SG_EEES6_PlJNSB_9not_fun_tINSB_14equal_to_valueIdEEEEEEE10hipError_tPvRmT3_T4_T5_T6_T7_T9_mT8_P12ihipStream_tbDpT10_ENKUlT_T0_E_clISt17integral_constantIbLb1EES1A_IbLb0EEEEDaS16_S17_EUlS16_E_NS1_11comp_targetILNS1_3genE2ELNS1_11target_archE906ELNS1_3gpuE6ELNS1_3repE0EEENS1_30default_config_static_selectorELNS0_4arch9wavefront6targetE0EEEvT1_.num_named_barrier, 0
	.set _ZN7rocprim17ROCPRIM_400000_NS6detail17trampoline_kernelINS0_14default_configENS1_25partition_config_selectorILNS1_17partition_subalgoE6EdNS0_10empty_typeEbEEZZNS1_14partition_implILS5_6ELb0ES3_mN6thrust23THRUST_200600_302600_NS6detail15normal_iteratorINSA_10device_ptrIdEEEEPS6_SG_NS0_5tupleIJNSA_16discard_iteratorINSA_11use_defaultEEES6_EEENSH_IJSG_SG_EEES6_PlJNSB_9not_fun_tINSB_14equal_to_valueIdEEEEEEE10hipError_tPvRmT3_T4_T5_T6_T7_T9_mT8_P12ihipStream_tbDpT10_ENKUlT_T0_E_clISt17integral_constantIbLb1EES1A_IbLb0EEEEDaS16_S17_EUlS16_E_NS1_11comp_targetILNS1_3genE2ELNS1_11target_archE906ELNS1_3gpuE6ELNS1_3repE0EEENS1_30default_config_static_selectorELNS0_4arch9wavefront6targetE0EEEvT1_.private_seg_size, 0
	.set _ZN7rocprim17ROCPRIM_400000_NS6detail17trampoline_kernelINS0_14default_configENS1_25partition_config_selectorILNS1_17partition_subalgoE6EdNS0_10empty_typeEbEEZZNS1_14partition_implILS5_6ELb0ES3_mN6thrust23THRUST_200600_302600_NS6detail15normal_iteratorINSA_10device_ptrIdEEEEPS6_SG_NS0_5tupleIJNSA_16discard_iteratorINSA_11use_defaultEEES6_EEENSH_IJSG_SG_EEES6_PlJNSB_9not_fun_tINSB_14equal_to_valueIdEEEEEEE10hipError_tPvRmT3_T4_T5_T6_T7_T9_mT8_P12ihipStream_tbDpT10_ENKUlT_T0_E_clISt17integral_constantIbLb1EES1A_IbLb0EEEEDaS16_S17_EUlS16_E_NS1_11comp_targetILNS1_3genE2ELNS1_11target_archE906ELNS1_3gpuE6ELNS1_3repE0EEENS1_30default_config_static_selectorELNS0_4arch9wavefront6targetE0EEEvT1_.uses_vcc, 0
	.set _ZN7rocprim17ROCPRIM_400000_NS6detail17trampoline_kernelINS0_14default_configENS1_25partition_config_selectorILNS1_17partition_subalgoE6EdNS0_10empty_typeEbEEZZNS1_14partition_implILS5_6ELb0ES3_mN6thrust23THRUST_200600_302600_NS6detail15normal_iteratorINSA_10device_ptrIdEEEEPS6_SG_NS0_5tupleIJNSA_16discard_iteratorINSA_11use_defaultEEES6_EEENSH_IJSG_SG_EEES6_PlJNSB_9not_fun_tINSB_14equal_to_valueIdEEEEEEE10hipError_tPvRmT3_T4_T5_T6_T7_T9_mT8_P12ihipStream_tbDpT10_ENKUlT_T0_E_clISt17integral_constantIbLb1EES1A_IbLb0EEEEDaS16_S17_EUlS16_E_NS1_11comp_targetILNS1_3genE2ELNS1_11target_archE906ELNS1_3gpuE6ELNS1_3repE0EEENS1_30default_config_static_selectorELNS0_4arch9wavefront6targetE0EEEvT1_.uses_flat_scratch, 0
	.set _ZN7rocprim17ROCPRIM_400000_NS6detail17trampoline_kernelINS0_14default_configENS1_25partition_config_selectorILNS1_17partition_subalgoE6EdNS0_10empty_typeEbEEZZNS1_14partition_implILS5_6ELb0ES3_mN6thrust23THRUST_200600_302600_NS6detail15normal_iteratorINSA_10device_ptrIdEEEEPS6_SG_NS0_5tupleIJNSA_16discard_iteratorINSA_11use_defaultEEES6_EEENSH_IJSG_SG_EEES6_PlJNSB_9not_fun_tINSB_14equal_to_valueIdEEEEEEE10hipError_tPvRmT3_T4_T5_T6_T7_T9_mT8_P12ihipStream_tbDpT10_ENKUlT_T0_E_clISt17integral_constantIbLb1EES1A_IbLb0EEEEDaS16_S17_EUlS16_E_NS1_11comp_targetILNS1_3genE2ELNS1_11target_archE906ELNS1_3gpuE6ELNS1_3repE0EEENS1_30default_config_static_selectorELNS0_4arch9wavefront6targetE0EEEvT1_.has_dyn_sized_stack, 0
	.set _ZN7rocprim17ROCPRIM_400000_NS6detail17trampoline_kernelINS0_14default_configENS1_25partition_config_selectorILNS1_17partition_subalgoE6EdNS0_10empty_typeEbEEZZNS1_14partition_implILS5_6ELb0ES3_mN6thrust23THRUST_200600_302600_NS6detail15normal_iteratorINSA_10device_ptrIdEEEEPS6_SG_NS0_5tupleIJNSA_16discard_iteratorINSA_11use_defaultEEES6_EEENSH_IJSG_SG_EEES6_PlJNSB_9not_fun_tINSB_14equal_to_valueIdEEEEEEE10hipError_tPvRmT3_T4_T5_T6_T7_T9_mT8_P12ihipStream_tbDpT10_ENKUlT_T0_E_clISt17integral_constantIbLb1EES1A_IbLb0EEEEDaS16_S17_EUlS16_E_NS1_11comp_targetILNS1_3genE2ELNS1_11target_archE906ELNS1_3gpuE6ELNS1_3repE0EEENS1_30default_config_static_selectorELNS0_4arch9wavefront6targetE0EEEvT1_.has_recursion, 0
	.set _ZN7rocprim17ROCPRIM_400000_NS6detail17trampoline_kernelINS0_14default_configENS1_25partition_config_selectorILNS1_17partition_subalgoE6EdNS0_10empty_typeEbEEZZNS1_14partition_implILS5_6ELb0ES3_mN6thrust23THRUST_200600_302600_NS6detail15normal_iteratorINSA_10device_ptrIdEEEEPS6_SG_NS0_5tupleIJNSA_16discard_iteratorINSA_11use_defaultEEES6_EEENSH_IJSG_SG_EEES6_PlJNSB_9not_fun_tINSB_14equal_to_valueIdEEEEEEE10hipError_tPvRmT3_T4_T5_T6_T7_T9_mT8_P12ihipStream_tbDpT10_ENKUlT_T0_E_clISt17integral_constantIbLb1EES1A_IbLb0EEEEDaS16_S17_EUlS16_E_NS1_11comp_targetILNS1_3genE2ELNS1_11target_archE906ELNS1_3gpuE6ELNS1_3repE0EEENS1_30default_config_static_selectorELNS0_4arch9wavefront6targetE0EEEvT1_.has_indirect_call, 0
	.section	.AMDGPU.csdata,"",@progbits
; Kernel info:
; codeLenInByte = 0
; TotalNumSgprs: 0
; NumVgprs: 0
; ScratchSize: 0
; MemoryBound: 0
; FloatMode: 240
; IeeeMode: 1
; LDSByteSize: 0 bytes/workgroup (compile time only)
; SGPRBlocks: 0
; VGPRBlocks: 0
; NumSGPRsForWavesPerEU: 1
; NumVGPRsForWavesPerEU: 1
; Occupancy: 16
; WaveLimiterHint : 0
; COMPUTE_PGM_RSRC2:SCRATCH_EN: 0
; COMPUTE_PGM_RSRC2:USER_SGPR: 2
; COMPUTE_PGM_RSRC2:TRAP_HANDLER: 0
; COMPUTE_PGM_RSRC2:TGID_X_EN: 1
; COMPUTE_PGM_RSRC2:TGID_Y_EN: 0
; COMPUTE_PGM_RSRC2:TGID_Z_EN: 0
; COMPUTE_PGM_RSRC2:TIDIG_COMP_CNT: 0
	.section	.text._ZN7rocprim17ROCPRIM_400000_NS6detail17trampoline_kernelINS0_14default_configENS1_25partition_config_selectorILNS1_17partition_subalgoE6EdNS0_10empty_typeEbEEZZNS1_14partition_implILS5_6ELb0ES3_mN6thrust23THRUST_200600_302600_NS6detail15normal_iteratorINSA_10device_ptrIdEEEEPS6_SG_NS0_5tupleIJNSA_16discard_iteratorINSA_11use_defaultEEES6_EEENSH_IJSG_SG_EEES6_PlJNSB_9not_fun_tINSB_14equal_to_valueIdEEEEEEE10hipError_tPvRmT3_T4_T5_T6_T7_T9_mT8_P12ihipStream_tbDpT10_ENKUlT_T0_E_clISt17integral_constantIbLb1EES1A_IbLb0EEEEDaS16_S17_EUlS16_E_NS1_11comp_targetILNS1_3genE10ELNS1_11target_archE1200ELNS1_3gpuE4ELNS1_3repE0EEENS1_30default_config_static_selectorELNS0_4arch9wavefront6targetE0EEEvT1_,"axG",@progbits,_ZN7rocprim17ROCPRIM_400000_NS6detail17trampoline_kernelINS0_14default_configENS1_25partition_config_selectorILNS1_17partition_subalgoE6EdNS0_10empty_typeEbEEZZNS1_14partition_implILS5_6ELb0ES3_mN6thrust23THRUST_200600_302600_NS6detail15normal_iteratorINSA_10device_ptrIdEEEEPS6_SG_NS0_5tupleIJNSA_16discard_iteratorINSA_11use_defaultEEES6_EEENSH_IJSG_SG_EEES6_PlJNSB_9not_fun_tINSB_14equal_to_valueIdEEEEEEE10hipError_tPvRmT3_T4_T5_T6_T7_T9_mT8_P12ihipStream_tbDpT10_ENKUlT_T0_E_clISt17integral_constantIbLb1EES1A_IbLb0EEEEDaS16_S17_EUlS16_E_NS1_11comp_targetILNS1_3genE10ELNS1_11target_archE1200ELNS1_3gpuE4ELNS1_3repE0EEENS1_30default_config_static_selectorELNS0_4arch9wavefront6targetE0EEEvT1_,comdat
	.protected	_ZN7rocprim17ROCPRIM_400000_NS6detail17trampoline_kernelINS0_14default_configENS1_25partition_config_selectorILNS1_17partition_subalgoE6EdNS0_10empty_typeEbEEZZNS1_14partition_implILS5_6ELb0ES3_mN6thrust23THRUST_200600_302600_NS6detail15normal_iteratorINSA_10device_ptrIdEEEEPS6_SG_NS0_5tupleIJNSA_16discard_iteratorINSA_11use_defaultEEES6_EEENSH_IJSG_SG_EEES6_PlJNSB_9not_fun_tINSB_14equal_to_valueIdEEEEEEE10hipError_tPvRmT3_T4_T5_T6_T7_T9_mT8_P12ihipStream_tbDpT10_ENKUlT_T0_E_clISt17integral_constantIbLb1EES1A_IbLb0EEEEDaS16_S17_EUlS16_E_NS1_11comp_targetILNS1_3genE10ELNS1_11target_archE1200ELNS1_3gpuE4ELNS1_3repE0EEENS1_30default_config_static_selectorELNS0_4arch9wavefront6targetE0EEEvT1_ ; -- Begin function _ZN7rocprim17ROCPRIM_400000_NS6detail17trampoline_kernelINS0_14default_configENS1_25partition_config_selectorILNS1_17partition_subalgoE6EdNS0_10empty_typeEbEEZZNS1_14partition_implILS5_6ELb0ES3_mN6thrust23THRUST_200600_302600_NS6detail15normal_iteratorINSA_10device_ptrIdEEEEPS6_SG_NS0_5tupleIJNSA_16discard_iteratorINSA_11use_defaultEEES6_EEENSH_IJSG_SG_EEES6_PlJNSB_9not_fun_tINSB_14equal_to_valueIdEEEEEEE10hipError_tPvRmT3_T4_T5_T6_T7_T9_mT8_P12ihipStream_tbDpT10_ENKUlT_T0_E_clISt17integral_constantIbLb1EES1A_IbLb0EEEEDaS16_S17_EUlS16_E_NS1_11comp_targetILNS1_3genE10ELNS1_11target_archE1200ELNS1_3gpuE4ELNS1_3repE0EEENS1_30default_config_static_selectorELNS0_4arch9wavefront6targetE0EEEvT1_
	.globl	_ZN7rocprim17ROCPRIM_400000_NS6detail17trampoline_kernelINS0_14default_configENS1_25partition_config_selectorILNS1_17partition_subalgoE6EdNS0_10empty_typeEbEEZZNS1_14partition_implILS5_6ELb0ES3_mN6thrust23THRUST_200600_302600_NS6detail15normal_iteratorINSA_10device_ptrIdEEEEPS6_SG_NS0_5tupleIJNSA_16discard_iteratorINSA_11use_defaultEEES6_EEENSH_IJSG_SG_EEES6_PlJNSB_9not_fun_tINSB_14equal_to_valueIdEEEEEEE10hipError_tPvRmT3_T4_T5_T6_T7_T9_mT8_P12ihipStream_tbDpT10_ENKUlT_T0_E_clISt17integral_constantIbLb1EES1A_IbLb0EEEEDaS16_S17_EUlS16_E_NS1_11comp_targetILNS1_3genE10ELNS1_11target_archE1200ELNS1_3gpuE4ELNS1_3repE0EEENS1_30default_config_static_selectorELNS0_4arch9wavefront6targetE0EEEvT1_
	.p2align	8
	.type	_ZN7rocprim17ROCPRIM_400000_NS6detail17trampoline_kernelINS0_14default_configENS1_25partition_config_selectorILNS1_17partition_subalgoE6EdNS0_10empty_typeEbEEZZNS1_14partition_implILS5_6ELb0ES3_mN6thrust23THRUST_200600_302600_NS6detail15normal_iteratorINSA_10device_ptrIdEEEEPS6_SG_NS0_5tupleIJNSA_16discard_iteratorINSA_11use_defaultEEES6_EEENSH_IJSG_SG_EEES6_PlJNSB_9not_fun_tINSB_14equal_to_valueIdEEEEEEE10hipError_tPvRmT3_T4_T5_T6_T7_T9_mT8_P12ihipStream_tbDpT10_ENKUlT_T0_E_clISt17integral_constantIbLb1EES1A_IbLb0EEEEDaS16_S17_EUlS16_E_NS1_11comp_targetILNS1_3genE10ELNS1_11target_archE1200ELNS1_3gpuE4ELNS1_3repE0EEENS1_30default_config_static_selectorELNS0_4arch9wavefront6targetE0EEEvT1_,@function
_ZN7rocprim17ROCPRIM_400000_NS6detail17trampoline_kernelINS0_14default_configENS1_25partition_config_selectorILNS1_17partition_subalgoE6EdNS0_10empty_typeEbEEZZNS1_14partition_implILS5_6ELb0ES3_mN6thrust23THRUST_200600_302600_NS6detail15normal_iteratorINSA_10device_ptrIdEEEEPS6_SG_NS0_5tupleIJNSA_16discard_iteratorINSA_11use_defaultEEES6_EEENSH_IJSG_SG_EEES6_PlJNSB_9not_fun_tINSB_14equal_to_valueIdEEEEEEE10hipError_tPvRmT3_T4_T5_T6_T7_T9_mT8_P12ihipStream_tbDpT10_ENKUlT_T0_E_clISt17integral_constantIbLb1EES1A_IbLb0EEEEDaS16_S17_EUlS16_E_NS1_11comp_targetILNS1_3genE10ELNS1_11target_archE1200ELNS1_3gpuE4ELNS1_3repE0EEENS1_30default_config_static_selectorELNS0_4arch9wavefront6targetE0EEEvT1_: ; @_ZN7rocprim17ROCPRIM_400000_NS6detail17trampoline_kernelINS0_14default_configENS1_25partition_config_selectorILNS1_17partition_subalgoE6EdNS0_10empty_typeEbEEZZNS1_14partition_implILS5_6ELb0ES3_mN6thrust23THRUST_200600_302600_NS6detail15normal_iteratorINSA_10device_ptrIdEEEEPS6_SG_NS0_5tupleIJNSA_16discard_iteratorINSA_11use_defaultEEES6_EEENSH_IJSG_SG_EEES6_PlJNSB_9not_fun_tINSB_14equal_to_valueIdEEEEEEE10hipError_tPvRmT3_T4_T5_T6_T7_T9_mT8_P12ihipStream_tbDpT10_ENKUlT_T0_E_clISt17integral_constantIbLb1EES1A_IbLb0EEEEDaS16_S17_EUlS16_E_NS1_11comp_targetILNS1_3genE10ELNS1_11target_archE1200ELNS1_3gpuE4ELNS1_3repE0EEENS1_30default_config_static_selectorELNS0_4arch9wavefront6targetE0EEEvT1_
; %bb.0:
	s_endpgm
	.section	.rodata,"a",@progbits
	.p2align	6, 0x0
	.amdhsa_kernel _ZN7rocprim17ROCPRIM_400000_NS6detail17trampoline_kernelINS0_14default_configENS1_25partition_config_selectorILNS1_17partition_subalgoE6EdNS0_10empty_typeEbEEZZNS1_14partition_implILS5_6ELb0ES3_mN6thrust23THRUST_200600_302600_NS6detail15normal_iteratorINSA_10device_ptrIdEEEEPS6_SG_NS0_5tupleIJNSA_16discard_iteratorINSA_11use_defaultEEES6_EEENSH_IJSG_SG_EEES6_PlJNSB_9not_fun_tINSB_14equal_to_valueIdEEEEEEE10hipError_tPvRmT3_T4_T5_T6_T7_T9_mT8_P12ihipStream_tbDpT10_ENKUlT_T0_E_clISt17integral_constantIbLb1EES1A_IbLb0EEEEDaS16_S17_EUlS16_E_NS1_11comp_targetILNS1_3genE10ELNS1_11target_archE1200ELNS1_3gpuE4ELNS1_3repE0EEENS1_30default_config_static_selectorELNS0_4arch9wavefront6targetE0EEEvT1_
		.amdhsa_group_segment_fixed_size 0
		.amdhsa_private_segment_fixed_size 0
		.amdhsa_kernarg_size 128
		.amdhsa_user_sgpr_count 2
		.amdhsa_user_sgpr_dispatch_ptr 0
		.amdhsa_user_sgpr_queue_ptr 0
		.amdhsa_user_sgpr_kernarg_segment_ptr 1
		.amdhsa_user_sgpr_dispatch_id 0
		.amdhsa_user_sgpr_private_segment_size 0
		.amdhsa_wavefront_size32 1
		.amdhsa_uses_dynamic_stack 0
		.amdhsa_enable_private_segment 0
		.amdhsa_system_sgpr_workgroup_id_x 1
		.amdhsa_system_sgpr_workgroup_id_y 0
		.amdhsa_system_sgpr_workgroup_id_z 0
		.amdhsa_system_sgpr_workgroup_info 0
		.amdhsa_system_vgpr_workitem_id 0
		.amdhsa_next_free_vgpr 1
		.amdhsa_next_free_sgpr 1
		.amdhsa_reserve_vcc 0
		.amdhsa_float_round_mode_32 0
		.amdhsa_float_round_mode_16_64 0
		.amdhsa_float_denorm_mode_32 3
		.amdhsa_float_denorm_mode_16_64 3
		.amdhsa_fp16_overflow 0
		.amdhsa_workgroup_processor_mode 1
		.amdhsa_memory_ordered 1
		.amdhsa_forward_progress 1
		.amdhsa_inst_pref_size 1
		.amdhsa_round_robin_scheduling 0
		.amdhsa_exception_fp_ieee_invalid_op 0
		.amdhsa_exception_fp_denorm_src 0
		.amdhsa_exception_fp_ieee_div_zero 0
		.amdhsa_exception_fp_ieee_overflow 0
		.amdhsa_exception_fp_ieee_underflow 0
		.amdhsa_exception_fp_ieee_inexact 0
		.amdhsa_exception_int_div_zero 0
	.end_amdhsa_kernel
	.section	.text._ZN7rocprim17ROCPRIM_400000_NS6detail17trampoline_kernelINS0_14default_configENS1_25partition_config_selectorILNS1_17partition_subalgoE6EdNS0_10empty_typeEbEEZZNS1_14partition_implILS5_6ELb0ES3_mN6thrust23THRUST_200600_302600_NS6detail15normal_iteratorINSA_10device_ptrIdEEEEPS6_SG_NS0_5tupleIJNSA_16discard_iteratorINSA_11use_defaultEEES6_EEENSH_IJSG_SG_EEES6_PlJNSB_9not_fun_tINSB_14equal_to_valueIdEEEEEEE10hipError_tPvRmT3_T4_T5_T6_T7_T9_mT8_P12ihipStream_tbDpT10_ENKUlT_T0_E_clISt17integral_constantIbLb1EES1A_IbLb0EEEEDaS16_S17_EUlS16_E_NS1_11comp_targetILNS1_3genE10ELNS1_11target_archE1200ELNS1_3gpuE4ELNS1_3repE0EEENS1_30default_config_static_selectorELNS0_4arch9wavefront6targetE0EEEvT1_,"axG",@progbits,_ZN7rocprim17ROCPRIM_400000_NS6detail17trampoline_kernelINS0_14default_configENS1_25partition_config_selectorILNS1_17partition_subalgoE6EdNS0_10empty_typeEbEEZZNS1_14partition_implILS5_6ELb0ES3_mN6thrust23THRUST_200600_302600_NS6detail15normal_iteratorINSA_10device_ptrIdEEEEPS6_SG_NS0_5tupleIJNSA_16discard_iteratorINSA_11use_defaultEEES6_EEENSH_IJSG_SG_EEES6_PlJNSB_9not_fun_tINSB_14equal_to_valueIdEEEEEEE10hipError_tPvRmT3_T4_T5_T6_T7_T9_mT8_P12ihipStream_tbDpT10_ENKUlT_T0_E_clISt17integral_constantIbLb1EES1A_IbLb0EEEEDaS16_S17_EUlS16_E_NS1_11comp_targetILNS1_3genE10ELNS1_11target_archE1200ELNS1_3gpuE4ELNS1_3repE0EEENS1_30default_config_static_selectorELNS0_4arch9wavefront6targetE0EEEvT1_,comdat
.Lfunc_end1586:
	.size	_ZN7rocprim17ROCPRIM_400000_NS6detail17trampoline_kernelINS0_14default_configENS1_25partition_config_selectorILNS1_17partition_subalgoE6EdNS0_10empty_typeEbEEZZNS1_14partition_implILS5_6ELb0ES3_mN6thrust23THRUST_200600_302600_NS6detail15normal_iteratorINSA_10device_ptrIdEEEEPS6_SG_NS0_5tupleIJNSA_16discard_iteratorINSA_11use_defaultEEES6_EEENSH_IJSG_SG_EEES6_PlJNSB_9not_fun_tINSB_14equal_to_valueIdEEEEEEE10hipError_tPvRmT3_T4_T5_T6_T7_T9_mT8_P12ihipStream_tbDpT10_ENKUlT_T0_E_clISt17integral_constantIbLb1EES1A_IbLb0EEEEDaS16_S17_EUlS16_E_NS1_11comp_targetILNS1_3genE10ELNS1_11target_archE1200ELNS1_3gpuE4ELNS1_3repE0EEENS1_30default_config_static_selectorELNS0_4arch9wavefront6targetE0EEEvT1_, .Lfunc_end1586-_ZN7rocprim17ROCPRIM_400000_NS6detail17trampoline_kernelINS0_14default_configENS1_25partition_config_selectorILNS1_17partition_subalgoE6EdNS0_10empty_typeEbEEZZNS1_14partition_implILS5_6ELb0ES3_mN6thrust23THRUST_200600_302600_NS6detail15normal_iteratorINSA_10device_ptrIdEEEEPS6_SG_NS0_5tupleIJNSA_16discard_iteratorINSA_11use_defaultEEES6_EEENSH_IJSG_SG_EEES6_PlJNSB_9not_fun_tINSB_14equal_to_valueIdEEEEEEE10hipError_tPvRmT3_T4_T5_T6_T7_T9_mT8_P12ihipStream_tbDpT10_ENKUlT_T0_E_clISt17integral_constantIbLb1EES1A_IbLb0EEEEDaS16_S17_EUlS16_E_NS1_11comp_targetILNS1_3genE10ELNS1_11target_archE1200ELNS1_3gpuE4ELNS1_3repE0EEENS1_30default_config_static_selectorELNS0_4arch9wavefront6targetE0EEEvT1_
                                        ; -- End function
	.set _ZN7rocprim17ROCPRIM_400000_NS6detail17trampoline_kernelINS0_14default_configENS1_25partition_config_selectorILNS1_17partition_subalgoE6EdNS0_10empty_typeEbEEZZNS1_14partition_implILS5_6ELb0ES3_mN6thrust23THRUST_200600_302600_NS6detail15normal_iteratorINSA_10device_ptrIdEEEEPS6_SG_NS0_5tupleIJNSA_16discard_iteratorINSA_11use_defaultEEES6_EEENSH_IJSG_SG_EEES6_PlJNSB_9not_fun_tINSB_14equal_to_valueIdEEEEEEE10hipError_tPvRmT3_T4_T5_T6_T7_T9_mT8_P12ihipStream_tbDpT10_ENKUlT_T0_E_clISt17integral_constantIbLb1EES1A_IbLb0EEEEDaS16_S17_EUlS16_E_NS1_11comp_targetILNS1_3genE10ELNS1_11target_archE1200ELNS1_3gpuE4ELNS1_3repE0EEENS1_30default_config_static_selectorELNS0_4arch9wavefront6targetE0EEEvT1_.num_vgpr, 0
	.set _ZN7rocprim17ROCPRIM_400000_NS6detail17trampoline_kernelINS0_14default_configENS1_25partition_config_selectorILNS1_17partition_subalgoE6EdNS0_10empty_typeEbEEZZNS1_14partition_implILS5_6ELb0ES3_mN6thrust23THRUST_200600_302600_NS6detail15normal_iteratorINSA_10device_ptrIdEEEEPS6_SG_NS0_5tupleIJNSA_16discard_iteratorINSA_11use_defaultEEES6_EEENSH_IJSG_SG_EEES6_PlJNSB_9not_fun_tINSB_14equal_to_valueIdEEEEEEE10hipError_tPvRmT3_T4_T5_T6_T7_T9_mT8_P12ihipStream_tbDpT10_ENKUlT_T0_E_clISt17integral_constantIbLb1EES1A_IbLb0EEEEDaS16_S17_EUlS16_E_NS1_11comp_targetILNS1_3genE10ELNS1_11target_archE1200ELNS1_3gpuE4ELNS1_3repE0EEENS1_30default_config_static_selectorELNS0_4arch9wavefront6targetE0EEEvT1_.num_agpr, 0
	.set _ZN7rocprim17ROCPRIM_400000_NS6detail17trampoline_kernelINS0_14default_configENS1_25partition_config_selectorILNS1_17partition_subalgoE6EdNS0_10empty_typeEbEEZZNS1_14partition_implILS5_6ELb0ES3_mN6thrust23THRUST_200600_302600_NS6detail15normal_iteratorINSA_10device_ptrIdEEEEPS6_SG_NS0_5tupleIJNSA_16discard_iteratorINSA_11use_defaultEEES6_EEENSH_IJSG_SG_EEES6_PlJNSB_9not_fun_tINSB_14equal_to_valueIdEEEEEEE10hipError_tPvRmT3_T4_T5_T6_T7_T9_mT8_P12ihipStream_tbDpT10_ENKUlT_T0_E_clISt17integral_constantIbLb1EES1A_IbLb0EEEEDaS16_S17_EUlS16_E_NS1_11comp_targetILNS1_3genE10ELNS1_11target_archE1200ELNS1_3gpuE4ELNS1_3repE0EEENS1_30default_config_static_selectorELNS0_4arch9wavefront6targetE0EEEvT1_.numbered_sgpr, 0
	.set _ZN7rocprim17ROCPRIM_400000_NS6detail17trampoline_kernelINS0_14default_configENS1_25partition_config_selectorILNS1_17partition_subalgoE6EdNS0_10empty_typeEbEEZZNS1_14partition_implILS5_6ELb0ES3_mN6thrust23THRUST_200600_302600_NS6detail15normal_iteratorINSA_10device_ptrIdEEEEPS6_SG_NS0_5tupleIJNSA_16discard_iteratorINSA_11use_defaultEEES6_EEENSH_IJSG_SG_EEES6_PlJNSB_9not_fun_tINSB_14equal_to_valueIdEEEEEEE10hipError_tPvRmT3_T4_T5_T6_T7_T9_mT8_P12ihipStream_tbDpT10_ENKUlT_T0_E_clISt17integral_constantIbLb1EES1A_IbLb0EEEEDaS16_S17_EUlS16_E_NS1_11comp_targetILNS1_3genE10ELNS1_11target_archE1200ELNS1_3gpuE4ELNS1_3repE0EEENS1_30default_config_static_selectorELNS0_4arch9wavefront6targetE0EEEvT1_.num_named_barrier, 0
	.set _ZN7rocprim17ROCPRIM_400000_NS6detail17trampoline_kernelINS0_14default_configENS1_25partition_config_selectorILNS1_17partition_subalgoE6EdNS0_10empty_typeEbEEZZNS1_14partition_implILS5_6ELb0ES3_mN6thrust23THRUST_200600_302600_NS6detail15normal_iteratorINSA_10device_ptrIdEEEEPS6_SG_NS0_5tupleIJNSA_16discard_iteratorINSA_11use_defaultEEES6_EEENSH_IJSG_SG_EEES6_PlJNSB_9not_fun_tINSB_14equal_to_valueIdEEEEEEE10hipError_tPvRmT3_T4_T5_T6_T7_T9_mT8_P12ihipStream_tbDpT10_ENKUlT_T0_E_clISt17integral_constantIbLb1EES1A_IbLb0EEEEDaS16_S17_EUlS16_E_NS1_11comp_targetILNS1_3genE10ELNS1_11target_archE1200ELNS1_3gpuE4ELNS1_3repE0EEENS1_30default_config_static_selectorELNS0_4arch9wavefront6targetE0EEEvT1_.private_seg_size, 0
	.set _ZN7rocprim17ROCPRIM_400000_NS6detail17trampoline_kernelINS0_14default_configENS1_25partition_config_selectorILNS1_17partition_subalgoE6EdNS0_10empty_typeEbEEZZNS1_14partition_implILS5_6ELb0ES3_mN6thrust23THRUST_200600_302600_NS6detail15normal_iteratorINSA_10device_ptrIdEEEEPS6_SG_NS0_5tupleIJNSA_16discard_iteratorINSA_11use_defaultEEES6_EEENSH_IJSG_SG_EEES6_PlJNSB_9not_fun_tINSB_14equal_to_valueIdEEEEEEE10hipError_tPvRmT3_T4_T5_T6_T7_T9_mT8_P12ihipStream_tbDpT10_ENKUlT_T0_E_clISt17integral_constantIbLb1EES1A_IbLb0EEEEDaS16_S17_EUlS16_E_NS1_11comp_targetILNS1_3genE10ELNS1_11target_archE1200ELNS1_3gpuE4ELNS1_3repE0EEENS1_30default_config_static_selectorELNS0_4arch9wavefront6targetE0EEEvT1_.uses_vcc, 0
	.set _ZN7rocprim17ROCPRIM_400000_NS6detail17trampoline_kernelINS0_14default_configENS1_25partition_config_selectorILNS1_17partition_subalgoE6EdNS0_10empty_typeEbEEZZNS1_14partition_implILS5_6ELb0ES3_mN6thrust23THRUST_200600_302600_NS6detail15normal_iteratorINSA_10device_ptrIdEEEEPS6_SG_NS0_5tupleIJNSA_16discard_iteratorINSA_11use_defaultEEES6_EEENSH_IJSG_SG_EEES6_PlJNSB_9not_fun_tINSB_14equal_to_valueIdEEEEEEE10hipError_tPvRmT3_T4_T5_T6_T7_T9_mT8_P12ihipStream_tbDpT10_ENKUlT_T0_E_clISt17integral_constantIbLb1EES1A_IbLb0EEEEDaS16_S17_EUlS16_E_NS1_11comp_targetILNS1_3genE10ELNS1_11target_archE1200ELNS1_3gpuE4ELNS1_3repE0EEENS1_30default_config_static_selectorELNS0_4arch9wavefront6targetE0EEEvT1_.uses_flat_scratch, 0
	.set _ZN7rocprim17ROCPRIM_400000_NS6detail17trampoline_kernelINS0_14default_configENS1_25partition_config_selectorILNS1_17partition_subalgoE6EdNS0_10empty_typeEbEEZZNS1_14partition_implILS5_6ELb0ES3_mN6thrust23THRUST_200600_302600_NS6detail15normal_iteratorINSA_10device_ptrIdEEEEPS6_SG_NS0_5tupleIJNSA_16discard_iteratorINSA_11use_defaultEEES6_EEENSH_IJSG_SG_EEES6_PlJNSB_9not_fun_tINSB_14equal_to_valueIdEEEEEEE10hipError_tPvRmT3_T4_T5_T6_T7_T9_mT8_P12ihipStream_tbDpT10_ENKUlT_T0_E_clISt17integral_constantIbLb1EES1A_IbLb0EEEEDaS16_S17_EUlS16_E_NS1_11comp_targetILNS1_3genE10ELNS1_11target_archE1200ELNS1_3gpuE4ELNS1_3repE0EEENS1_30default_config_static_selectorELNS0_4arch9wavefront6targetE0EEEvT1_.has_dyn_sized_stack, 0
	.set _ZN7rocprim17ROCPRIM_400000_NS6detail17trampoline_kernelINS0_14default_configENS1_25partition_config_selectorILNS1_17partition_subalgoE6EdNS0_10empty_typeEbEEZZNS1_14partition_implILS5_6ELb0ES3_mN6thrust23THRUST_200600_302600_NS6detail15normal_iteratorINSA_10device_ptrIdEEEEPS6_SG_NS0_5tupleIJNSA_16discard_iteratorINSA_11use_defaultEEES6_EEENSH_IJSG_SG_EEES6_PlJNSB_9not_fun_tINSB_14equal_to_valueIdEEEEEEE10hipError_tPvRmT3_T4_T5_T6_T7_T9_mT8_P12ihipStream_tbDpT10_ENKUlT_T0_E_clISt17integral_constantIbLb1EES1A_IbLb0EEEEDaS16_S17_EUlS16_E_NS1_11comp_targetILNS1_3genE10ELNS1_11target_archE1200ELNS1_3gpuE4ELNS1_3repE0EEENS1_30default_config_static_selectorELNS0_4arch9wavefront6targetE0EEEvT1_.has_recursion, 0
	.set _ZN7rocprim17ROCPRIM_400000_NS6detail17trampoline_kernelINS0_14default_configENS1_25partition_config_selectorILNS1_17partition_subalgoE6EdNS0_10empty_typeEbEEZZNS1_14partition_implILS5_6ELb0ES3_mN6thrust23THRUST_200600_302600_NS6detail15normal_iteratorINSA_10device_ptrIdEEEEPS6_SG_NS0_5tupleIJNSA_16discard_iteratorINSA_11use_defaultEEES6_EEENSH_IJSG_SG_EEES6_PlJNSB_9not_fun_tINSB_14equal_to_valueIdEEEEEEE10hipError_tPvRmT3_T4_T5_T6_T7_T9_mT8_P12ihipStream_tbDpT10_ENKUlT_T0_E_clISt17integral_constantIbLb1EES1A_IbLb0EEEEDaS16_S17_EUlS16_E_NS1_11comp_targetILNS1_3genE10ELNS1_11target_archE1200ELNS1_3gpuE4ELNS1_3repE0EEENS1_30default_config_static_selectorELNS0_4arch9wavefront6targetE0EEEvT1_.has_indirect_call, 0
	.section	.AMDGPU.csdata,"",@progbits
; Kernel info:
; codeLenInByte = 4
; TotalNumSgprs: 0
; NumVgprs: 0
; ScratchSize: 0
; MemoryBound: 0
; FloatMode: 240
; IeeeMode: 1
; LDSByteSize: 0 bytes/workgroup (compile time only)
; SGPRBlocks: 0
; VGPRBlocks: 0
; NumSGPRsForWavesPerEU: 1
; NumVGPRsForWavesPerEU: 1
; Occupancy: 16
; WaveLimiterHint : 0
; COMPUTE_PGM_RSRC2:SCRATCH_EN: 0
; COMPUTE_PGM_RSRC2:USER_SGPR: 2
; COMPUTE_PGM_RSRC2:TRAP_HANDLER: 0
; COMPUTE_PGM_RSRC2:TGID_X_EN: 1
; COMPUTE_PGM_RSRC2:TGID_Y_EN: 0
; COMPUTE_PGM_RSRC2:TGID_Z_EN: 0
; COMPUTE_PGM_RSRC2:TIDIG_COMP_CNT: 0
	.section	.text._ZN7rocprim17ROCPRIM_400000_NS6detail17trampoline_kernelINS0_14default_configENS1_25partition_config_selectorILNS1_17partition_subalgoE6EdNS0_10empty_typeEbEEZZNS1_14partition_implILS5_6ELb0ES3_mN6thrust23THRUST_200600_302600_NS6detail15normal_iteratorINSA_10device_ptrIdEEEEPS6_SG_NS0_5tupleIJNSA_16discard_iteratorINSA_11use_defaultEEES6_EEENSH_IJSG_SG_EEES6_PlJNSB_9not_fun_tINSB_14equal_to_valueIdEEEEEEE10hipError_tPvRmT3_T4_T5_T6_T7_T9_mT8_P12ihipStream_tbDpT10_ENKUlT_T0_E_clISt17integral_constantIbLb1EES1A_IbLb0EEEEDaS16_S17_EUlS16_E_NS1_11comp_targetILNS1_3genE9ELNS1_11target_archE1100ELNS1_3gpuE3ELNS1_3repE0EEENS1_30default_config_static_selectorELNS0_4arch9wavefront6targetE0EEEvT1_,"axG",@progbits,_ZN7rocprim17ROCPRIM_400000_NS6detail17trampoline_kernelINS0_14default_configENS1_25partition_config_selectorILNS1_17partition_subalgoE6EdNS0_10empty_typeEbEEZZNS1_14partition_implILS5_6ELb0ES3_mN6thrust23THRUST_200600_302600_NS6detail15normal_iteratorINSA_10device_ptrIdEEEEPS6_SG_NS0_5tupleIJNSA_16discard_iteratorINSA_11use_defaultEEES6_EEENSH_IJSG_SG_EEES6_PlJNSB_9not_fun_tINSB_14equal_to_valueIdEEEEEEE10hipError_tPvRmT3_T4_T5_T6_T7_T9_mT8_P12ihipStream_tbDpT10_ENKUlT_T0_E_clISt17integral_constantIbLb1EES1A_IbLb0EEEEDaS16_S17_EUlS16_E_NS1_11comp_targetILNS1_3genE9ELNS1_11target_archE1100ELNS1_3gpuE3ELNS1_3repE0EEENS1_30default_config_static_selectorELNS0_4arch9wavefront6targetE0EEEvT1_,comdat
	.protected	_ZN7rocprim17ROCPRIM_400000_NS6detail17trampoline_kernelINS0_14default_configENS1_25partition_config_selectorILNS1_17partition_subalgoE6EdNS0_10empty_typeEbEEZZNS1_14partition_implILS5_6ELb0ES3_mN6thrust23THRUST_200600_302600_NS6detail15normal_iteratorINSA_10device_ptrIdEEEEPS6_SG_NS0_5tupleIJNSA_16discard_iteratorINSA_11use_defaultEEES6_EEENSH_IJSG_SG_EEES6_PlJNSB_9not_fun_tINSB_14equal_to_valueIdEEEEEEE10hipError_tPvRmT3_T4_T5_T6_T7_T9_mT8_P12ihipStream_tbDpT10_ENKUlT_T0_E_clISt17integral_constantIbLb1EES1A_IbLb0EEEEDaS16_S17_EUlS16_E_NS1_11comp_targetILNS1_3genE9ELNS1_11target_archE1100ELNS1_3gpuE3ELNS1_3repE0EEENS1_30default_config_static_selectorELNS0_4arch9wavefront6targetE0EEEvT1_ ; -- Begin function _ZN7rocprim17ROCPRIM_400000_NS6detail17trampoline_kernelINS0_14default_configENS1_25partition_config_selectorILNS1_17partition_subalgoE6EdNS0_10empty_typeEbEEZZNS1_14partition_implILS5_6ELb0ES3_mN6thrust23THRUST_200600_302600_NS6detail15normal_iteratorINSA_10device_ptrIdEEEEPS6_SG_NS0_5tupleIJNSA_16discard_iteratorINSA_11use_defaultEEES6_EEENSH_IJSG_SG_EEES6_PlJNSB_9not_fun_tINSB_14equal_to_valueIdEEEEEEE10hipError_tPvRmT3_T4_T5_T6_T7_T9_mT8_P12ihipStream_tbDpT10_ENKUlT_T0_E_clISt17integral_constantIbLb1EES1A_IbLb0EEEEDaS16_S17_EUlS16_E_NS1_11comp_targetILNS1_3genE9ELNS1_11target_archE1100ELNS1_3gpuE3ELNS1_3repE0EEENS1_30default_config_static_selectorELNS0_4arch9wavefront6targetE0EEEvT1_
	.globl	_ZN7rocprim17ROCPRIM_400000_NS6detail17trampoline_kernelINS0_14default_configENS1_25partition_config_selectorILNS1_17partition_subalgoE6EdNS0_10empty_typeEbEEZZNS1_14partition_implILS5_6ELb0ES3_mN6thrust23THRUST_200600_302600_NS6detail15normal_iteratorINSA_10device_ptrIdEEEEPS6_SG_NS0_5tupleIJNSA_16discard_iteratorINSA_11use_defaultEEES6_EEENSH_IJSG_SG_EEES6_PlJNSB_9not_fun_tINSB_14equal_to_valueIdEEEEEEE10hipError_tPvRmT3_T4_T5_T6_T7_T9_mT8_P12ihipStream_tbDpT10_ENKUlT_T0_E_clISt17integral_constantIbLb1EES1A_IbLb0EEEEDaS16_S17_EUlS16_E_NS1_11comp_targetILNS1_3genE9ELNS1_11target_archE1100ELNS1_3gpuE3ELNS1_3repE0EEENS1_30default_config_static_selectorELNS0_4arch9wavefront6targetE0EEEvT1_
	.p2align	8
	.type	_ZN7rocprim17ROCPRIM_400000_NS6detail17trampoline_kernelINS0_14default_configENS1_25partition_config_selectorILNS1_17partition_subalgoE6EdNS0_10empty_typeEbEEZZNS1_14partition_implILS5_6ELb0ES3_mN6thrust23THRUST_200600_302600_NS6detail15normal_iteratorINSA_10device_ptrIdEEEEPS6_SG_NS0_5tupleIJNSA_16discard_iteratorINSA_11use_defaultEEES6_EEENSH_IJSG_SG_EEES6_PlJNSB_9not_fun_tINSB_14equal_to_valueIdEEEEEEE10hipError_tPvRmT3_T4_T5_T6_T7_T9_mT8_P12ihipStream_tbDpT10_ENKUlT_T0_E_clISt17integral_constantIbLb1EES1A_IbLb0EEEEDaS16_S17_EUlS16_E_NS1_11comp_targetILNS1_3genE9ELNS1_11target_archE1100ELNS1_3gpuE3ELNS1_3repE0EEENS1_30default_config_static_selectorELNS0_4arch9wavefront6targetE0EEEvT1_,@function
_ZN7rocprim17ROCPRIM_400000_NS6detail17trampoline_kernelINS0_14default_configENS1_25partition_config_selectorILNS1_17partition_subalgoE6EdNS0_10empty_typeEbEEZZNS1_14partition_implILS5_6ELb0ES3_mN6thrust23THRUST_200600_302600_NS6detail15normal_iteratorINSA_10device_ptrIdEEEEPS6_SG_NS0_5tupleIJNSA_16discard_iteratorINSA_11use_defaultEEES6_EEENSH_IJSG_SG_EEES6_PlJNSB_9not_fun_tINSB_14equal_to_valueIdEEEEEEE10hipError_tPvRmT3_T4_T5_T6_T7_T9_mT8_P12ihipStream_tbDpT10_ENKUlT_T0_E_clISt17integral_constantIbLb1EES1A_IbLb0EEEEDaS16_S17_EUlS16_E_NS1_11comp_targetILNS1_3genE9ELNS1_11target_archE1100ELNS1_3gpuE3ELNS1_3repE0EEENS1_30default_config_static_selectorELNS0_4arch9wavefront6targetE0EEEvT1_: ; @_ZN7rocprim17ROCPRIM_400000_NS6detail17trampoline_kernelINS0_14default_configENS1_25partition_config_selectorILNS1_17partition_subalgoE6EdNS0_10empty_typeEbEEZZNS1_14partition_implILS5_6ELb0ES3_mN6thrust23THRUST_200600_302600_NS6detail15normal_iteratorINSA_10device_ptrIdEEEEPS6_SG_NS0_5tupleIJNSA_16discard_iteratorINSA_11use_defaultEEES6_EEENSH_IJSG_SG_EEES6_PlJNSB_9not_fun_tINSB_14equal_to_valueIdEEEEEEE10hipError_tPvRmT3_T4_T5_T6_T7_T9_mT8_P12ihipStream_tbDpT10_ENKUlT_T0_E_clISt17integral_constantIbLb1EES1A_IbLb0EEEEDaS16_S17_EUlS16_E_NS1_11comp_targetILNS1_3genE9ELNS1_11target_archE1100ELNS1_3gpuE3ELNS1_3repE0EEENS1_30default_config_static_selectorELNS0_4arch9wavefront6targetE0EEEvT1_
; %bb.0:
	.section	.rodata,"a",@progbits
	.p2align	6, 0x0
	.amdhsa_kernel _ZN7rocprim17ROCPRIM_400000_NS6detail17trampoline_kernelINS0_14default_configENS1_25partition_config_selectorILNS1_17partition_subalgoE6EdNS0_10empty_typeEbEEZZNS1_14partition_implILS5_6ELb0ES3_mN6thrust23THRUST_200600_302600_NS6detail15normal_iteratorINSA_10device_ptrIdEEEEPS6_SG_NS0_5tupleIJNSA_16discard_iteratorINSA_11use_defaultEEES6_EEENSH_IJSG_SG_EEES6_PlJNSB_9not_fun_tINSB_14equal_to_valueIdEEEEEEE10hipError_tPvRmT3_T4_T5_T6_T7_T9_mT8_P12ihipStream_tbDpT10_ENKUlT_T0_E_clISt17integral_constantIbLb1EES1A_IbLb0EEEEDaS16_S17_EUlS16_E_NS1_11comp_targetILNS1_3genE9ELNS1_11target_archE1100ELNS1_3gpuE3ELNS1_3repE0EEENS1_30default_config_static_selectorELNS0_4arch9wavefront6targetE0EEEvT1_
		.amdhsa_group_segment_fixed_size 0
		.amdhsa_private_segment_fixed_size 0
		.amdhsa_kernarg_size 128
		.amdhsa_user_sgpr_count 2
		.amdhsa_user_sgpr_dispatch_ptr 0
		.amdhsa_user_sgpr_queue_ptr 0
		.amdhsa_user_sgpr_kernarg_segment_ptr 1
		.amdhsa_user_sgpr_dispatch_id 0
		.amdhsa_user_sgpr_private_segment_size 0
		.amdhsa_wavefront_size32 1
		.amdhsa_uses_dynamic_stack 0
		.amdhsa_enable_private_segment 0
		.amdhsa_system_sgpr_workgroup_id_x 1
		.amdhsa_system_sgpr_workgroup_id_y 0
		.amdhsa_system_sgpr_workgroup_id_z 0
		.amdhsa_system_sgpr_workgroup_info 0
		.amdhsa_system_vgpr_workitem_id 0
		.amdhsa_next_free_vgpr 1
		.amdhsa_next_free_sgpr 1
		.amdhsa_reserve_vcc 0
		.amdhsa_float_round_mode_32 0
		.amdhsa_float_round_mode_16_64 0
		.amdhsa_float_denorm_mode_32 3
		.amdhsa_float_denorm_mode_16_64 3
		.amdhsa_fp16_overflow 0
		.amdhsa_workgroup_processor_mode 1
		.amdhsa_memory_ordered 1
		.amdhsa_forward_progress 1
		.amdhsa_inst_pref_size 0
		.amdhsa_round_robin_scheduling 0
		.amdhsa_exception_fp_ieee_invalid_op 0
		.amdhsa_exception_fp_denorm_src 0
		.amdhsa_exception_fp_ieee_div_zero 0
		.amdhsa_exception_fp_ieee_overflow 0
		.amdhsa_exception_fp_ieee_underflow 0
		.amdhsa_exception_fp_ieee_inexact 0
		.amdhsa_exception_int_div_zero 0
	.end_amdhsa_kernel
	.section	.text._ZN7rocprim17ROCPRIM_400000_NS6detail17trampoline_kernelINS0_14default_configENS1_25partition_config_selectorILNS1_17partition_subalgoE6EdNS0_10empty_typeEbEEZZNS1_14partition_implILS5_6ELb0ES3_mN6thrust23THRUST_200600_302600_NS6detail15normal_iteratorINSA_10device_ptrIdEEEEPS6_SG_NS0_5tupleIJNSA_16discard_iteratorINSA_11use_defaultEEES6_EEENSH_IJSG_SG_EEES6_PlJNSB_9not_fun_tINSB_14equal_to_valueIdEEEEEEE10hipError_tPvRmT3_T4_T5_T6_T7_T9_mT8_P12ihipStream_tbDpT10_ENKUlT_T0_E_clISt17integral_constantIbLb1EES1A_IbLb0EEEEDaS16_S17_EUlS16_E_NS1_11comp_targetILNS1_3genE9ELNS1_11target_archE1100ELNS1_3gpuE3ELNS1_3repE0EEENS1_30default_config_static_selectorELNS0_4arch9wavefront6targetE0EEEvT1_,"axG",@progbits,_ZN7rocprim17ROCPRIM_400000_NS6detail17trampoline_kernelINS0_14default_configENS1_25partition_config_selectorILNS1_17partition_subalgoE6EdNS0_10empty_typeEbEEZZNS1_14partition_implILS5_6ELb0ES3_mN6thrust23THRUST_200600_302600_NS6detail15normal_iteratorINSA_10device_ptrIdEEEEPS6_SG_NS0_5tupleIJNSA_16discard_iteratorINSA_11use_defaultEEES6_EEENSH_IJSG_SG_EEES6_PlJNSB_9not_fun_tINSB_14equal_to_valueIdEEEEEEE10hipError_tPvRmT3_T4_T5_T6_T7_T9_mT8_P12ihipStream_tbDpT10_ENKUlT_T0_E_clISt17integral_constantIbLb1EES1A_IbLb0EEEEDaS16_S17_EUlS16_E_NS1_11comp_targetILNS1_3genE9ELNS1_11target_archE1100ELNS1_3gpuE3ELNS1_3repE0EEENS1_30default_config_static_selectorELNS0_4arch9wavefront6targetE0EEEvT1_,comdat
.Lfunc_end1587:
	.size	_ZN7rocprim17ROCPRIM_400000_NS6detail17trampoline_kernelINS0_14default_configENS1_25partition_config_selectorILNS1_17partition_subalgoE6EdNS0_10empty_typeEbEEZZNS1_14partition_implILS5_6ELb0ES3_mN6thrust23THRUST_200600_302600_NS6detail15normal_iteratorINSA_10device_ptrIdEEEEPS6_SG_NS0_5tupleIJNSA_16discard_iteratorINSA_11use_defaultEEES6_EEENSH_IJSG_SG_EEES6_PlJNSB_9not_fun_tINSB_14equal_to_valueIdEEEEEEE10hipError_tPvRmT3_T4_T5_T6_T7_T9_mT8_P12ihipStream_tbDpT10_ENKUlT_T0_E_clISt17integral_constantIbLb1EES1A_IbLb0EEEEDaS16_S17_EUlS16_E_NS1_11comp_targetILNS1_3genE9ELNS1_11target_archE1100ELNS1_3gpuE3ELNS1_3repE0EEENS1_30default_config_static_selectorELNS0_4arch9wavefront6targetE0EEEvT1_, .Lfunc_end1587-_ZN7rocprim17ROCPRIM_400000_NS6detail17trampoline_kernelINS0_14default_configENS1_25partition_config_selectorILNS1_17partition_subalgoE6EdNS0_10empty_typeEbEEZZNS1_14partition_implILS5_6ELb0ES3_mN6thrust23THRUST_200600_302600_NS6detail15normal_iteratorINSA_10device_ptrIdEEEEPS6_SG_NS0_5tupleIJNSA_16discard_iteratorINSA_11use_defaultEEES6_EEENSH_IJSG_SG_EEES6_PlJNSB_9not_fun_tINSB_14equal_to_valueIdEEEEEEE10hipError_tPvRmT3_T4_T5_T6_T7_T9_mT8_P12ihipStream_tbDpT10_ENKUlT_T0_E_clISt17integral_constantIbLb1EES1A_IbLb0EEEEDaS16_S17_EUlS16_E_NS1_11comp_targetILNS1_3genE9ELNS1_11target_archE1100ELNS1_3gpuE3ELNS1_3repE0EEENS1_30default_config_static_selectorELNS0_4arch9wavefront6targetE0EEEvT1_
                                        ; -- End function
	.set _ZN7rocprim17ROCPRIM_400000_NS6detail17trampoline_kernelINS0_14default_configENS1_25partition_config_selectorILNS1_17partition_subalgoE6EdNS0_10empty_typeEbEEZZNS1_14partition_implILS5_6ELb0ES3_mN6thrust23THRUST_200600_302600_NS6detail15normal_iteratorINSA_10device_ptrIdEEEEPS6_SG_NS0_5tupleIJNSA_16discard_iteratorINSA_11use_defaultEEES6_EEENSH_IJSG_SG_EEES6_PlJNSB_9not_fun_tINSB_14equal_to_valueIdEEEEEEE10hipError_tPvRmT3_T4_T5_T6_T7_T9_mT8_P12ihipStream_tbDpT10_ENKUlT_T0_E_clISt17integral_constantIbLb1EES1A_IbLb0EEEEDaS16_S17_EUlS16_E_NS1_11comp_targetILNS1_3genE9ELNS1_11target_archE1100ELNS1_3gpuE3ELNS1_3repE0EEENS1_30default_config_static_selectorELNS0_4arch9wavefront6targetE0EEEvT1_.num_vgpr, 0
	.set _ZN7rocprim17ROCPRIM_400000_NS6detail17trampoline_kernelINS0_14default_configENS1_25partition_config_selectorILNS1_17partition_subalgoE6EdNS0_10empty_typeEbEEZZNS1_14partition_implILS5_6ELb0ES3_mN6thrust23THRUST_200600_302600_NS6detail15normal_iteratorINSA_10device_ptrIdEEEEPS6_SG_NS0_5tupleIJNSA_16discard_iteratorINSA_11use_defaultEEES6_EEENSH_IJSG_SG_EEES6_PlJNSB_9not_fun_tINSB_14equal_to_valueIdEEEEEEE10hipError_tPvRmT3_T4_T5_T6_T7_T9_mT8_P12ihipStream_tbDpT10_ENKUlT_T0_E_clISt17integral_constantIbLb1EES1A_IbLb0EEEEDaS16_S17_EUlS16_E_NS1_11comp_targetILNS1_3genE9ELNS1_11target_archE1100ELNS1_3gpuE3ELNS1_3repE0EEENS1_30default_config_static_selectorELNS0_4arch9wavefront6targetE0EEEvT1_.num_agpr, 0
	.set _ZN7rocprim17ROCPRIM_400000_NS6detail17trampoline_kernelINS0_14default_configENS1_25partition_config_selectorILNS1_17partition_subalgoE6EdNS0_10empty_typeEbEEZZNS1_14partition_implILS5_6ELb0ES3_mN6thrust23THRUST_200600_302600_NS6detail15normal_iteratorINSA_10device_ptrIdEEEEPS6_SG_NS0_5tupleIJNSA_16discard_iteratorINSA_11use_defaultEEES6_EEENSH_IJSG_SG_EEES6_PlJNSB_9not_fun_tINSB_14equal_to_valueIdEEEEEEE10hipError_tPvRmT3_T4_T5_T6_T7_T9_mT8_P12ihipStream_tbDpT10_ENKUlT_T0_E_clISt17integral_constantIbLb1EES1A_IbLb0EEEEDaS16_S17_EUlS16_E_NS1_11comp_targetILNS1_3genE9ELNS1_11target_archE1100ELNS1_3gpuE3ELNS1_3repE0EEENS1_30default_config_static_selectorELNS0_4arch9wavefront6targetE0EEEvT1_.numbered_sgpr, 0
	.set _ZN7rocprim17ROCPRIM_400000_NS6detail17trampoline_kernelINS0_14default_configENS1_25partition_config_selectorILNS1_17partition_subalgoE6EdNS0_10empty_typeEbEEZZNS1_14partition_implILS5_6ELb0ES3_mN6thrust23THRUST_200600_302600_NS6detail15normal_iteratorINSA_10device_ptrIdEEEEPS6_SG_NS0_5tupleIJNSA_16discard_iteratorINSA_11use_defaultEEES6_EEENSH_IJSG_SG_EEES6_PlJNSB_9not_fun_tINSB_14equal_to_valueIdEEEEEEE10hipError_tPvRmT3_T4_T5_T6_T7_T9_mT8_P12ihipStream_tbDpT10_ENKUlT_T0_E_clISt17integral_constantIbLb1EES1A_IbLb0EEEEDaS16_S17_EUlS16_E_NS1_11comp_targetILNS1_3genE9ELNS1_11target_archE1100ELNS1_3gpuE3ELNS1_3repE0EEENS1_30default_config_static_selectorELNS0_4arch9wavefront6targetE0EEEvT1_.num_named_barrier, 0
	.set _ZN7rocprim17ROCPRIM_400000_NS6detail17trampoline_kernelINS0_14default_configENS1_25partition_config_selectorILNS1_17partition_subalgoE6EdNS0_10empty_typeEbEEZZNS1_14partition_implILS5_6ELb0ES3_mN6thrust23THRUST_200600_302600_NS6detail15normal_iteratorINSA_10device_ptrIdEEEEPS6_SG_NS0_5tupleIJNSA_16discard_iteratorINSA_11use_defaultEEES6_EEENSH_IJSG_SG_EEES6_PlJNSB_9not_fun_tINSB_14equal_to_valueIdEEEEEEE10hipError_tPvRmT3_T4_T5_T6_T7_T9_mT8_P12ihipStream_tbDpT10_ENKUlT_T0_E_clISt17integral_constantIbLb1EES1A_IbLb0EEEEDaS16_S17_EUlS16_E_NS1_11comp_targetILNS1_3genE9ELNS1_11target_archE1100ELNS1_3gpuE3ELNS1_3repE0EEENS1_30default_config_static_selectorELNS0_4arch9wavefront6targetE0EEEvT1_.private_seg_size, 0
	.set _ZN7rocprim17ROCPRIM_400000_NS6detail17trampoline_kernelINS0_14default_configENS1_25partition_config_selectorILNS1_17partition_subalgoE6EdNS0_10empty_typeEbEEZZNS1_14partition_implILS5_6ELb0ES3_mN6thrust23THRUST_200600_302600_NS6detail15normal_iteratorINSA_10device_ptrIdEEEEPS6_SG_NS0_5tupleIJNSA_16discard_iteratorINSA_11use_defaultEEES6_EEENSH_IJSG_SG_EEES6_PlJNSB_9not_fun_tINSB_14equal_to_valueIdEEEEEEE10hipError_tPvRmT3_T4_T5_T6_T7_T9_mT8_P12ihipStream_tbDpT10_ENKUlT_T0_E_clISt17integral_constantIbLb1EES1A_IbLb0EEEEDaS16_S17_EUlS16_E_NS1_11comp_targetILNS1_3genE9ELNS1_11target_archE1100ELNS1_3gpuE3ELNS1_3repE0EEENS1_30default_config_static_selectorELNS0_4arch9wavefront6targetE0EEEvT1_.uses_vcc, 0
	.set _ZN7rocprim17ROCPRIM_400000_NS6detail17trampoline_kernelINS0_14default_configENS1_25partition_config_selectorILNS1_17partition_subalgoE6EdNS0_10empty_typeEbEEZZNS1_14partition_implILS5_6ELb0ES3_mN6thrust23THRUST_200600_302600_NS6detail15normal_iteratorINSA_10device_ptrIdEEEEPS6_SG_NS0_5tupleIJNSA_16discard_iteratorINSA_11use_defaultEEES6_EEENSH_IJSG_SG_EEES6_PlJNSB_9not_fun_tINSB_14equal_to_valueIdEEEEEEE10hipError_tPvRmT3_T4_T5_T6_T7_T9_mT8_P12ihipStream_tbDpT10_ENKUlT_T0_E_clISt17integral_constantIbLb1EES1A_IbLb0EEEEDaS16_S17_EUlS16_E_NS1_11comp_targetILNS1_3genE9ELNS1_11target_archE1100ELNS1_3gpuE3ELNS1_3repE0EEENS1_30default_config_static_selectorELNS0_4arch9wavefront6targetE0EEEvT1_.uses_flat_scratch, 0
	.set _ZN7rocprim17ROCPRIM_400000_NS6detail17trampoline_kernelINS0_14default_configENS1_25partition_config_selectorILNS1_17partition_subalgoE6EdNS0_10empty_typeEbEEZZNS1_14partition_implILS5_6ELb0ES3_mN6thrust23THRUST_200600_302600_NS6detail15normal_iteratorINSA_10device_ptrIdEEEEPS6_SG_NS0_5tupleIJNSA_16discard_iteratorINSA_11use_defaultEEES6_EEENSH_IJSG_SG_EEES6_PlJNSB_9not_fun_tINSB_14equal_to_valueIdEEEEEEE10hipError_tPvRmT3_T4_T5_T6_T7_T9_mT8_P12ihipStream_tbDpT10_ENKUlT_T0_E_clISt17integral_constantIbLb1EES1A_IbLb0EEEEDaS16_S17_EUlS16_E_NS1_11comp_targetILNS1_3genE9ELNS1_11target_archE1100ELNS1_3gpuE3ELNS1_3repE0EEENS1_30default_config_static_selectorELNS0_4arch9wavefront6targetE0EEEvT1_.has_dyn_sized_stack, 0
	.set _ZN7rocprim17ROCPRIM_400000_NS6detail17trampoline_kernelINS0_14default_configENS1_25partition_config_selectorILNS1_17partition_subalgoE6EdNS0_10empty_typeEbEEZZNS1_14partition_implILS5_6ELb0ES3_mN6thrust23THRUST_200600_302600_NS6detail15normal_iteratorINSA_10device_ptrIdEEEEPS6_SG_NS0_5tupleIJNSA_16discard_iteratorINSA_11use_defaultEEES6_EEENSH_IJSG_SG_EEES6_PlJNSB_9not_fun_tINSB_14equal_to_valueIdEEEEEEE10hipError_tPvRmT3_T4_T5_T6_T7_T9_mT8_P12ihipStream_tbDpT10_ENKUlT_T0_E_clISt17integral_constantIbLb1EES1A_IbLb0EEEEDaS16_S17_EUlS16_E_NS1_11comp_targetILNS1_3genE9ELNS1_11target_archE1100ELNS1_3gpuE3ELNS1_3repE0EEENS1_30default_config_static_selectorELNS0_4arch9wavefront6targetE0EEEvT1_.has_recursion, 0
	.set _ZN7rocprim17ROCPRIM_400000_NS6detail17trampoline_kernelINS0_14default_configENS1_25partition_config_selectorILNS1_17partition_subalgoE6EdNS0_10empty_typeEbEEZZNS1_14partition_implILS5_6ELb0ES3_mN6thrust23THRUST_200600_302600_NS6detail15normal_iteratorINSA_10device_ptrIdEEEEPS6_SG_NS0_5tupleIJNSA_16discard_iteratorINSA_11use_defaultEEES6_EEENSH_IJSG_SG_EEES6_PlJNSB_9not_fun_tINSB_14equal_to_valueIdEEEEEEE10hipError_tPvRmT3_T4_T5_T6_T7_T9_mT8_P12ihipStream_tbDpT10_ENKUlT_T0_E_clISt17integral_constantIbLb1EES1A_IbLb0EEEEDaS16_S17_EUlS16_E_NS1_11comp_targetILNS1_3genE9ELNS1_11target_archE1100ELNS1_3gpuE3ELNS1_3repE0EEENS1_30default_config_static_selectorELNS0_4arch9wavefront6targetE0EEEvT1_.has_indirect_call, 0
	.section	.AMDGPU.csdata,"",@progbits
; Kernel info:
; codeLenInByte = 0
; TotalNumSgprs: 0
; NumVgprs: 0
; ScratchSize: 0
; MemoryBound: 0
; FloatMode: 240
; IeeeMode: 1
; LDSByteSize: 0 bytes/workgroup (compile time only)
; SGPRBlocks: 0
; VGPRBlocks: 0
; NumSGPRsForWavesPerEU: 1
; NumVGPRsForWavesPerEU: 1
; Occupancy: 16
; WaveLimiterHint : 0
; COMPUTE_PGM_RSRC2:SCRATCH_EN: 0
; COMPUTE_PGM_RSRC2:USER_SGPR: 2
; COMPUTE_PGM_RSRC2:TRAP_HANDLER: 0
; COMPUTE_PGM_RSRC2:TGID_X_EN: 1
; COMPUTE_PGM_RSRC2:TGID_Y_EN: 0
; COMPUTE_PGM_RSRC2:TGID_Z_EN: 0
; COMPUTE_PGM_RSRC2:TIDIG_COMP_CNT: 0
	.section	.text._ZN7rocprim17ROCPRIM_400000_NS6detail17trampoline_kernelINS0_14default_configENS1_25partition_config_selectorILNS1_17partition_subalgoE6EdNS0_10empty_typeEbEEZZNS1_14partition_implILS5_6ELb0ES3_mN6thrust23THRUST_200600_302600_NS6detail15normal_iteratorINSA_10device_ptrIdEEEEPS6_SG_NS0_5tupleIJNSA_16discard_iteratorINSA_11use_defaultEEES6_EEENSH_IJSG_SG_EEES6_PlJNSB_9not_fun_tINSB_14equal_to_valueIdEEEEEEE10hipError_tPvRmT3_T4_T5_T6_T7_T9_mT8_P12ihipStream_tbDpT10_ENKUlT_T0_E_clISt17integral_constantIbLb1EES1A_IbLb0EEEEDaS16_S17_EUlS16_E_NS1_11comp_targetILNS1_3genE8ELNS1_11target_archE1030ELNS1_3gpuE2ELNS1_3repE0EEENS1_30default_config_static_selectorELNS0_4arch9wavefront6targetE0EEEvT1_,"axG",@progbits,_ZN7rocprim17ROCPRIM_400000_NS6detail17trampoline_kernelINS0_14default_configENS1_25partition_config_selectorILNS1_17partition_subalgoE6EdNS0_10empty_typeEbEEZZNS1_14partition_implILS5_6ELb0ES3_mN6thrust23THRUST_200600_302600_NS6detail15normal_iteratorINSA_10device_ptrIdEEEEPS6_SG_NS0_5tupleIJNSA_16discard_iteratorINSA_11use_defaultEEES6_EEENSH_IJSG_SG_EEES6_PlJNSB_9not_fun_tINSB_14equal_to_valueIdEEEEEEE10hipError_tPvRmT3_T4_T5_T6_T7_T9_mT8_P12ihipStream_tbDpT10_ENKUlT_T0_E_clISt17integral_constantIbLb1EES1A_IbLb0EEEEDaS16_S17_EUlS16_E_NS1_11comp_targetILNS1_3genE8ELNS1_11target_archE1030ELNS1_3gpuE2ELNS1_3repE0EEENS1_30default_config_static_selectorELNS0_4arch9wavefront6targetE0EEEvT1_,comdat
	.protected	_ZN7rocprim17ROCPRIM_400000_NS6detail17trampoline_kernelINS0_14default_configENS1_25partition_config_selectorILNS1_17partition_subalgoE6EdNS0_10empty_typeEbEEZZNS1_14partition_implILS5_6ELb0ES3_mN6thrust23THRUST_200600_302600_NS6detail15normal_iteratorINSA_10device_ptrIdEEEEPS6_SG_NS0_5tupleIJNSA_16discard_iteratorINSA_11use_defaultEEES6_EEENSH_IJSG_SG_EEES6_PlJNSB_9not_fun_tINSB_14equal_to_valueIdEEEEEEE10hipError_tPvRmT3_T4_T5_T6_T7_T9_mT8_P12ihipStream_tbDpT10_ENKUlT_T0_E_clISt17integral_constantIbLb1EES1A_IbLb0EEEEDaS16_S17_EUlS16_E_NS1_11comp_targetILNS1_3genE8ELNS1_11target_archE1030ELNS1_3gpuE2ELNS1_3repE0EEENS1_30default_config_static_selectorELNS0_4arch9wavefront6targetE0EEEvT1_ ; -- Begin function _ZN7rocprim17ROCPRIM_400000_NS6detail17trampoline_kernelINS0_14default_configENS1_25partition_config_selectorILNS1_17partition_subalgoE6EdNS0_10empty_typeEbEEZZNS1_14partition_implILS5_6ELb0ES3_mN6thrust23THRUST_200600_302600_NS6detail15normal_iteratorINSA_10device_ptrIdEEEEPS6_SG_NS0_5tupleIJNSA_16discard_iteratorINSA_11use_defaultEEES6_EEENSH_IJSG_SG_EEES6_PlJNSB_9not_fun_tINSB_14equal_to_valueIdEEEEEEE10hipError_tPvRmT3_T4_T5_T6_T7_T9_mT8_P12ihipStream_tbDpT10_ENKUlT_T0_E_clISt17integral_constantIbLb1EES1A_IbLb0EEEEDaS16_S17_EUlS16_E_NS1_11comp_targetILNS1_3genE8ELNS1_11target_archE1030ELNS1_3gpuE2ELNS1_3repE0EEENS1_30default_config_static_selectorELNS0_4arch9wavefront6targetE0EEEvT1_
	.globl	_ZN7rocprim17ROCPRIM_400000_NS6detail17trampoline_kernelINS0_14default_configENS1_25partition_config_selectorILNS1_17partition_subalgoE6EdNS0_10empty_typeEbEEZZNS1_14partition_implILS5_6ELb0ES3_mN6thrust23THRUST_200600_302600_NS6detail15normal_iteratorINSA_10device_ptrIdEEEEPS6_SG_NS0_5tupleIJNSA_16discard_iteratorINSA_11use_defaultEEES6_EEENSH_IJSG_SG_EEES6_PlJNSB_9not_fun_tINSB_14equal_to_valueIdEEEEEEE10hipError_tPvRmT3_T4_T5_T6_T7_T9_mT8_P12ihipStream_tbDpT10_ENKUlT_T0_E_clISt17integral_constantIbLb1EES1A_IbLb0EEEEDaS16_S17_EUlS16_E_NS1_11comp_targetILNS1_3genE8ELNS1_11target_archE1030ELNS1_3gpuE2ELNS1_3repE0EEENS1_30default_config_static_selectorELNS0_4arch9wavefront6targetE0EEEvT1_
	.p2align	8
	.type	_ZN7rocprim17ROCPRIM_400000_NS6detail17trampoline_kernelINS0_14default_configENS1_25partition_config_selectorILNS1_17partition_subalgoE6EdNS0_10empty_typeEbEEZZNS1_14partition_implILS5_6ELb0ES3_mN6thrust23THRUST_200600_302600_NS6detail15normal_iteratorINSA_10device_ptrIdEEEEPS6_SG_NS0_5tupleIJNSA_16discard_iteratorINSA_11use_defaultEEES6_EEENSH_IJSG_SG_EEES6_PlJNSB_9not_fun_tINSB_14equal_to_valueIdEEEEEEE10hipError_tPvRmT3_T4_T5_T6_T7_T9_mT8_P12ihipStream_tbDpT10_ENKUlT_T0_E_clISt17integral_constantIbLb1EES1A_IbLb0EEEEDaS16_S17_EUlS16_E_NS1_11comp_targetILNS1_3genE8ELNS1_11target_archE1030ELNS1_3gpuE2ELNS1_3repE0EEENS1_30default_config_static_selectorELNS0_4arch9wavefront6targetE0EEEvT1_,@function
_ZN7rocprim17ROCPRIM_400000_NS6detail17trampoline_kernelINS0_14default_configENS1_25partition_config_selectorILNS1_17partition_subalgoE6EdNS0_10empty_typeEbEEZZNS1_14partition_implILS5_6ELb0ES3_mN6thrust23THRUST_200600_302600_NS6detail15normal_iteratorINSA_10device_ptrIdEEEEPS6_SG_NS0_5tupleIJNSA_16discard_iteratorINSA_11use_defaultEEES6_EEENSH_IJSG_SG_EEES6_PlJNSB_9not_fun_tINSB_14equal_to_valueIdEEEEEEE10hipError_tPvRmT3_T4_T5_T6_T7_T9_mT8_P12ihipStream_tbDpT10_ENKUlT_T0_E_clISt17integral_constantIbLb1EES1A_IbLb0EEEEDaS16_S17_EUlS16_E_NS1_11comp_targetILNS1_3genE8ELNS1_11target_archE1030ELNS1_3gpuE2ELNS1_3repE0EEENS1_30default_config_static_selectorELNS0_4arch9wavefront6targetE0EEEvT1_: ; @_ZN7rocprim17ROCPRIM_400000_NS6detail17trampoline_kernelINS0_14default_configENS1_25partition_config_selectorILNS1_17partition_subalgoE6EdNS0_10empty_typeEbEEZZNS1_14partition_implILS5_6ELb0ES3_mN6thrust23THRUST_200600_302600_NS6detail15normal_iteratorINSA_10device_ptrIdEEEEPS6_SG_NS0_5tupleIJNSA_16discard_iteratorINSA_11use_defaultEEES6_EEENSH_IJSG_SG_EEES6_PlJNSB_9not_fun_tINSB_14equal_to_valueIdEEEEEEE10hipError_tPvRmT3_T4_T5_T6_T7_T9_mT8_P12ihipStream_tbDpT10_ENKUlT_T0_E_clISt17integral_constantIbLb1EES1A_IbLb0EEEEDaS16_S17_EUlS16_E_NS1_11comp_targetILNS1_3genE8ELNS1_11target_archE1030ELNS1_3gpuE2ELNS1_3repE0EEENS1_30default_config_static_selectorELNS0_4arch9wavefront6targetE0EEEvT1_
; %bb.0:
	.section	.rodata,"a",@progbits
	.p2align	6, 0x0
	.amdhsa_kernel _ZN7rocprim17ROCPRIM_400000_NS6detail17trampoline_kernelINS0_14default_configENS1_25partition_config_selectorILNS1_17partition_subalgoE6EdNS0_10empty_typeEbEEZZNS1_14partition_implILS5_6ELb0ES3_mN6thrust23THRUST_200600_302600_NS6detail15normal_iteratorINSA_10device_ptrIdEEEEPS6_SG_NS0_5tupleIJNSA_16discard_iteratorINSA_11use_defaultEEES6_EEENSH_IJSG_SG_EEES6_PlJNSB_9not_fun_tINSB_14equal_to_valueIdEEEEEEE10hipError_tPvRmT3_T4_T5_T6_T7_T9_mT8_P12ihipStream_tbDpT10_ENKUlT_T0_E_clISt17integral_constantIbLb1EES1A_IbLb0EEEEDaS16_S17_EUlS16_E_NS1_11comp_targetILNS1_3genE8ELNS1_11target_archE1030ELNS1_3gpuE2ELNS1_3repE0EEENS1_30default_config_static_selectorELNS0_4arch9wavefront6targetE0EEEvT1_
		.amdhsa_group_segment_fixed_size 0
		.amdhsa_private_segment_fixed_size 0
		.amdhsa_kernarg_size 128
		.amdhsa_user_sgpr_count 2
		.amdhsa_user_sgpr_dispatch_ptr 0
		.amdhsa_user_sgpr_queue_ptr 0
		.amdhsa_user_sgpr_kernarg_segment_ptr 1
		.amdhsa_user_sgpr_dispatch_id 0
		.amdhsa_user_sgpr_private_segment_size 0
		.amdhsa_wavefront_size32 1
		.amdhsa_uses_dynamic_stack 0
		.amdhsa_enable_private_segment 0
		.amdhsa_system_sgpr_workgroup_id_x 1
		.amdhsa_system_sgpr_workgroup_id_y 0
		.amdhsa_system_sgpr_workgroup_id_z 0
		.amdhsa_system_sgpr_workgroup_info 0
		.amdhsa_system_vgpr_workitem_id 0
		.amdhsa_next_free_vgpr 1
		.amdhsa_next_free_sgpr 1
		.amdhsa_reserve_vcc 0
		.amdhsa_float_round_mode_32 0
		.amdhsa_float_round_mode_16_64 0
		.amdhsa_float_denorm_mode_32 3
		.amdhsa_float_denorm_mode_16_64 3
		.amdhsa_fp16_overflow 0
		.amdhsa_workgroup_processor_mode 1
		.amdhsa_memory_ordered 1
		.amdhsa_forward_progress 1
		.amdhsa_inst_pref_size 0
		.amdhsa_round_robin_scheduling 0
		.amdhsa_exception_fp_ieee_invalid_op 0
		.amdhsa_exception_fp_denorm_src 0
		.amdhsa_exception_fp_ieee_div_zero 0
		.amdhsa_exception_fp_ieee_overflow 0
		.amdhsa_exception_fp_ieee_underflow 0
		.amdhsa_exception_fp_ieee_inexact 0
		.amdhsa_exception_int_div_zero 0
	.end_amdhsa_kernel
	.section	.text._ZN7rocprim17ROCPRIM_400000_NS6detail17trampoline_kernelINS0_14default_configENS1_25partition_config_selectorILNS1_17partition_subalgoE6EdNS0_10empty_typeEbEEZZNS1_14partition_implILS5_6ELb0ES3_mN6thrust23THRUST_200600_302600_NS6detail15normal_iteratorINSA_10device_ptrIdEEEEPS6_SG_NS0_5tupleIJNSA_16discard_iteratorINSA_11use_defaultEEES6_EEENSH_IJSG_SG_EEES6_PlJNSB_9not_fun_tINSB_14equal_to_valueIdEEEEEEE10hipError_tPvRmT3_T4_T5_T6_T7_T9_mT8_P12ihipStream_tbDpT10_ENKUlT_T0_E_clISt17integral_constantIbLb1EES1A_IbLb0EEEEDaS16_S17_EUlS16_E_NS1_11comp_targetILNS1_3genE8ELNS1_11target_archE1030ELNS1_3gpuE2ELNS1_3repE0EEENS1_30default_config_static_selectorELNS0_4arch9wavefront6targetE0EEEvT1_,"axG",@progbits,_ZN7rocprim17ROCPRIM_400000_NS6detail17trampoline_kernelINS0_14default_configENS1_25partition_config_selectorILNS1_17partition_subalgoE6EdNS0_10empty_typeEbEEZZNS1_14partition_implILS5_6ELb0ES3_mN6thrust23THRUST_200600_302600_NS6detail15normal_iteratorINSA_10device_ptrIdEEEEPS6_SG_NS0_5tupleIJNSA_16discard_iteratorINSA_11use_defaultEEES6_EEENSH_IJSG_SG_EEES6_PlJNSB_9not_fun_tINSB_14equal_to_valueIdEEEEEEE10hipError_tPvRmT3_T4_T5_T6_T7_T9_mT8_P12ihipStream_tbDpT10_ENKUlT_T0_E_clISt17integral_constantIbLb1EES1A_IbLb0EEEEDaS16_S17_EUlS16_E_NS1_11comp_targetILNS1_3genE8ELNS1_11target_archE1030ELNS1_3gpuE2ELNS1_3repE0EEENS1_30default_config_static_selectorELNS0_4arch9wavefront6targetE0EEEvT1_,comdat
.Lfunc_end1588:
	.size	_ZN7rocprim17ROCPRIM_400000_NS6detail17trampoline_kernelINS0_14default_configENS1_25partition_config_selectorILNS1_17partition_subalgoE6EdNS0_10empty_typeEbEEZZNS1_14partition_implILS5_6ELb0ES3_mN6thrust23THRUST_200600_302600_NS6detail15normal_iteratorINSA_10device_ptrIdEEEEPS6_SG_NS0_5tupleIJNSA_16discard_iteratorINSA_11use_defaultEEES6_EEENSH_IJSG_SG_EEES6_PlJNSB_9not_fun_tINSB_14equal_to_valueIdEEEEEEE10hipError_tPvRmT3_T4_T5_T6_T7_T9_mT8_P12ihipStream_tbDpT10_ENKUlT_T0_E_clISt17integral_constantIbLb1EES1A_IbLb0EEEEDaS16_S17_EUlS16_E_NS1_11comp_targetILNS1_3genE8ELNS1_11target_archE1030ELNS1_3gpuE2ELNS1_3repE0EEENS1_30default_config_static_selectorELNS0_4arch9wavefront6targetE0EEEvT1_, .Lfunc_end1588-_ZN7rocprim17ROCPRIM_400000_NS6detail17trampoline_kernelINS0_14default_configENS1_25partition_config_selectorILNS1_17partition_subalgoE6EdNS0_10empty_typeEbEEZZNS1_14partition_implILS5_6ELb0ES3_mN6thrust23THRUST_200600_302600_NS6detail15normal_iteratorINSA_10device_ptrIdEEEEPS6_SG_NS0_5tupleIJNSA_16discard_iteratorINSA_11use_defaultEEES6_EEENSH_IJSG_SG_EEES6_PlJNSB_9not_fun_tINSB_14equal_to_valueIdEEEEEEE10hipError_tPvRmT3_T4_T5_T6_T7_T9_mT8_P12ihipStream_tbDpT10_ENKUlT_T0_E_clISt17integral_constantIbLb1EES1A_IbLb0EEEEDaS16_S17_EUlS16_E_NS1_11comp_targetILNS1_3genE8ELNS1_11target_archE1030ELNS1_3gpuE2ELNS1_3repE0EEENS1_30default_config_static_selectorELNS0_4arch9wavefront6targetE0EEEvT1_
                                        ; -- End function
	.set _ZN7rocprim17ROCPRIM_400000_NS6detail17trampoline_kernelINS0_14default_configENS1_25partition_config_selectorILNS1_17partition_subalgoE6EdNS0_10empty_typeEbEEZZNS1_14partition_implILS5_6ELb0ES3_mN6thrust23THRUST_200600_302600_NS6detail15normal_iteratorINSA_10device_ptrIdEEEEPS6_SG_NS0_5tupleIJNSA_16discard_iteratorINSA_11use_defaultEEES6_EEENSH_IJSG_SG_EEES6_PlJNSB_9not_fun_tINSB_14equal_to_valueIdEEEEEEE10hipError_tPvRmT3_T4_T5_T6_T7_T9_mT8_P12ihipStream_tbDpT10_ENKUlT_T0_E_clISt17integral_constantIbLb1EES1A_IbLb0EEEEDaS16_S17_EUlS16_E_NS1_11comp_targetILNS1_3genE8ELNS1_11target_archE1030ELNS1_3gpuE2ELNS1_3repE0EEENS1_30default_config_static_selectorELNS0_4arch9wavefront6targetE0EEEvT1_.num_vgpr, 0
	.set _ZN7rocprim17ROCPRIM_400000_NS6detail17trampoline_kernelINS0_14default_configENS1_25partition_config_selectorILNS1_17partition_subalgoE6EdNS0_10empty_typeEbEEZZNS1_14partition_implILS5_6ELb0ES3_mN6thrust23THRUST_200600_302600_NS6detail15normal_iteratorINSA_10device_ptrIdEEEEPS6_SG_NS0_5tupleIJNSA_16discard_iteratorINSA_11use_defaultEEES6_EEENSH_IJSG_SG_EEES6_PlJNSB_9not_fun_tINSB_14equal_to_valueIdEEEEEEE10hipError_tPvRmT3_T4_T5_T6_T7_T9_mT8_P12ihipStream_tbDpT10_ENKUlT_T0_E_clISt17integral_constantIbLb1EES1A_IbLb0EEEEDaS16_S17_EUlS16_E_NS1_11comp_targetILNS1_3genE8ELNS1_11target_archE1030ELNS1_3gpuE2ELNS1_3repE0EEENS1_30default_config_static_selectorELNS0_4arch9wavefront6targetE0EEEvT1_.num_agpr, 0
	.set _ZN7rocprim17ROCPRIM_400000_NS6detail17trampoline_kernelINS0_14default_configENS1_25partition_config_selectorILNS1_17partition_subalgoE6EdNS0_10empty_typeEbEEZZNS1_14partition_implILS5_6ELb0ES3_mN6thrust23THRUST_200600_302600_NS6detail15normal_iteratorINSA_10device_ptrIdEEEEPS6_SG_NS0_5tupleIJNSA_16discard_iteratorINSA_11use_defaultEEES6_EEENSH_IJSG_SG_EEES6_PlJNSB_9not_fun_tINSB_14equal_to_valueIdEEEEEEE10hipError_tPvRmT3_T4_T5_T6_T7_T9_mT8_P12ihipStream_tbDpT10_ENKUlT_T0_E_clISt17integral_constantIbLb1EES1A_IbLb0EEEEDaS16_S17_EUlS16_E_NS1_11comp_targetILNS1_3genE8ELNS1_11target_archE1030ELNS1_3gpuE2ELNS1_3repE0EEENS1_30default_config_static_selectorELNS0_4arch9wavefront6targetE0EEEvT1_.numbered_sgpr, 0
	.set _ZN7rocprim17ROCPRIM_400000_NS6detail17trampoline_kernelINS0_14default_configENS1_25partition_config_selectorILNS1_17partition_subalgoE6EdNS0_10empty_typeEbEEZZNS1_14partition_implILS5_6ELb0ES3_mN6thrust23THRUST_200600_302600_NS6detail15normal_iteratorINSA_10device_ptrIdEEEEPS6_SG_NS0_5tupleIJNSA_16discard_iteratorINSA_11use_defaultEEES6_EEENSH_IJSG_SG_EEES6_PlJNSB_9not_fun_tINSB_14equal_to_valueIdEEEEEEE10hipError_tPvRmT3_T4_T5_T6_T7_T9_mT8_P12ihipStream_tbDpT10_ENKUlT_T0_E_clISt17integral_constantIbLb1EES1A_IbLb0EEEEDaS16_S17_EUlS16_E_NS1_11comp_targetILNS1_3genE8ELNS1_11target_archE1030ELNS1_3gpuE2ELNS1_3repE0EEENS1_30default_config_static_selectorELNS0_4arch9wavefront6targetE0EEEvT1_.num_named_barrier, 0
	.set _ZN7rocprim17ROCPRIM_400000_NS6detail17trampoline_kernelINS0_14default_configENS1_25partition_config_selectorILNS1_17partition_subalgoE6EdNS0_10empty_typeEbEEZZNS1_14partition_implILS5_6ELb0ES3_mN6thrust23THRUST_200600_302600_NS6detail15normal_iteratorINSA_10device_ptrIdEEEEPS6_SG_NS0_5tupleIJNSA_16discard_iteratorINSA_11use_defaultEEES6_EEENSH_IJSG_SG_EEES6_PlJNSB_9not_fun_tINSB_14equal_to_valueIdEEEEEEE10hipError_tPvRmT3_T4_T5_T6_T7_T9_mT8_P12ihipStream_tbDpT10_ENKUlT_T0_E_clISt17integral_constantIbLb1EES1A_IbLb0EEEEDaS16_S17_EUlS16_E_NS1_11comp_targetILNS1_3genE8ELNS1_11target_archE1030ELNS1_3gpuE2ELNS1_3repE0EEENS1_30default_config_static_selectorELNS0_4arch9wavefront6targetE0EEEvT1_.private_seg_size, 0
	.set _ZN7rocprim17ROCPRIM_400000_NS6detail17trampoline_kernelINS0_14default_configENS1_25partition_config_selectorILNS1_17partition_subalgoE6EdNS0_10empty_typeEbEEZZNS1_14partition_implILS5_6ELb0ES3_mN6thrust23THRUST_200600_302600_NS6detail15normal_iteratorINSA_10device_ptrIdEEEEPS6_SG_NS0_5tupleIJNSA_16discard_iteratorINSA_11use_defaultEEES6_EEENSH_IJSG_SG_EEES6_PlJNSB_9not_fun_tINSB_14equal_to_valueIdEEEEEEE10hipError_tPvRmT3_T4_T5_T6_T7_T9_mT8_P12ihipStream_tbDpT10_ENKUlT_T0_E_clISt17integral_constantIbLb1EES1A_IbLb0EEEEDaS16_S17_EUlS16_E_NS1_11comp_targetILNS1_3genE8ELNS1_11target_archE1030ELNS1_3gpuE2ELNS1_3repE0EEENS1_30default_config_static_selectorELNS0_4arch9wavefront6targetE0EEEvT1_.uses_vcc, 0
	.set _ZN7rocprim17ROCPRIM_400000_NS6detail17trampoline_kernelINS0_14default_configENS1_25partition_config_selectorILNS1_17partition_subalgoE6EdNS0_10empty_typeEbEEZZNS1_14partition_implILS5_6ELb0ES3_mN6thrust23THRUST_200600_302600_NS6detail15normal_iteratorINSA_10device_ptrIdEEEEPS6_SG_NS0_5tupleIJNSA_16discard_iteratorINSA_11use_defaultEEES6_EEENSH_IJSG_SG_EEES6_PlJNSB_9not_fun_tINSB_14equal_to_valueIdEEEEEEE10hipError_tPvRmT3_T4_T5_T6_T7_T9_mT8_P12ihipStream_tbDpT10_ENKUlT_T0_E_clISt17integral_constantIbLb1EES1A_IbLb0EEEEDaS16_S17_EUlS16_E_NS1_11comp_targetILNS1_3genE8ELNS1_11target_archE1030ELNS1_3gpuE2ELNS1_3repE0EEENS1_30default_config_static_selectorELNS0_4arch9wavefront6targetE0EEEvT1_.uses_flat_scratch, 0
	.set _ZN7rocprim17ROCPRIM_400000_NS6detail17trampoline_kernelINS0_14default_configENS1_25partition_config_selectorILNS1_17partition_subalgoE6EdNS0_10empty_typeEbEEZZNS1_14partition_implILS5_6ELb0ES3_mN6thrust23THRUST_200600_302600_NS6detail15normal_iteratorINSA_10device_ptrIdEEEEPS6_SG_NS0_5tupleIJNSA_16discard_iteratorINSA_11use_defaultEEES6_EEENSH_IJSG_SG_EEES6_PlJNSB_9not_fun_tINSB_14equal_to_valueIdEEEEEEE10hipError_tPvRmT3_T4_T5_T6_T7_T9_mT8_P12ihipStream_tbDpT10_ENKUlT_T0_E_clISt17integral_constantIbLb1EES1A_IbLb0EEEEDaS16_S17_EUlS16_E_NS1_11comp_targetILNS1_3genE8ELNS1_11target_archE1030ELNS1_3gpuE2ELNS1_3repE0EEENS1_30default_config_static_selectorELNS0_4arch9wavefront6targetE0EEEvT1_.has_dyn_sized_stack, 0
	.set _ZN7rocprim17ROCPRIM_400000_NS6detail17trampoline_kernelINS0_14default_configENS1_25partition_config_selectorILNS1_17partition_subalgoE6EdNS0_10empty_typeEbEEZZNS1_14partition_implILS5_6ELb0ES3_mN6thrust23THRUST_200600_302600_NS6detail15normal_iteratorINSA_10device_ptrIdEEEEPS6_SG_NS0_5tupleIJNSA_16discard_iteratorINSA_11use_defaultEEES6_EEENSH_IJSG_SG_EEES6_PlJNSB_9not_fun_tINSB_14equal_to_valueIdEEEEEEE10hipError_tPvRmT3_T4_T5_T6_T7_T9_mT8_P12ihipStream_tbDpT10_ENKUlT_T0_E_clISt17integral_constantIbLb1EES1A_IbLb0EEEEDaS16_S17_EUlS16_E_NS1_11comp_targetILNS1_3genE8ELNS1_11target_archE1030ELNS1_3gpuE2ELNS1_3repE0EEENS1_30default_config_static_selectorELNS0_4arch9wavefront6targetE0EEEvT1_.has_recursion, 0
	.set _ZN7rocprim17ROCPRIM_400000_NS6detail17trampoline_kernelINS0_14default_configENS1_25partition_config_selectorILNS1_17partition_subalgoE6EdNS0_10empty_typeEbEEZZNS1_14partition_implILS5_6ELb0ES3_mN6thrust23THRUST_200600_302600_NS6detail15normal_iteratorINSA_10device_ptrIdEEEEPS6_SG_NS0_5tupleIJNSA_16discard_iteratorINSA_11use_defaultEEES6_EEENSH_IJSG_SG_EEES6_PlJNSB_9not_fun_tINSB_14equal_to_valueIdEEEEEEE10hipError_tPvRmT3_T4_T5_T6_T7_T9_mT8_P12ihipStream_tbDpT10_ENKUlT_T0_E_clISt17integral_constantIbLb1EES1A_IbLb0EEEEDaS16_S17_EUlS16_E_NS1_11comp_targetILNS1_3genE8ELNS1_11target_archE1030ELNS1_3gpuE2ELNS1_3repE0EEENS1_30default_config_static_selectorELNS0_4arch9wavefront6targetE0EEEvT1_.has_indirect_call, 0
	.section	.AMDGPU.csdata,"",@progbits
; Kernel info:
; codeLenInByte = 0
; TotalNumSgprs: 0
; NumVgprs: 0
; ScratchSize: 0
; MemoryBound: 0
; FloatMode: 240
; IeeeMode: 1
; LDSByteSize: 0 bytes/workgroup (compile time only)
; SGPRBlocks: 0
; VGPRBlocks: 0
; NumSGPRsForWavesPerEU: 1
; NumVGPRsForWavesPerEU: 1
; Occupancy: 16
; WaveLimiterHint : 0
; COMPUTE_PGM_RSRC2:SCRATCH_EN: 0
; COMPUTE_PGM_RSRC2:USER_SGPR: 2
; COMPUTE_PGM_RSRC2:TRAP_HANDLER: 0
; COMPUTE_PGM_RSRC2:TGID_X_EN: 1
; COMPUTE_PGM_RSRC2:TGID_Y_EN: 0
; COMPUTE_PGM_RSRC2:TGID_Z_EN: 0
; COMPUTE_PGM_RSRC2:TIDIG_COMP_CNT: 0
	.section	.text._ZN7rocprim17ROCPRIM_400000_NS6detail17trampoline_kernelINS0_14default_configENS1_25partition_config_selectorILNS1_17partition_subalgoE6EdNS0_10empty_typeEbEEZZNS1_14partition_implILS5_6ELb0ES3_mN6thrust23THRUST_200600_302600_NS6detail15normal_iteratorINSA_10device_ptrIdEEEEPS6_SG_NS0_5tupleIJNSA_16discard_iteratorINSA_11use_defaultEEES6_EEENSH_IJSG_SG_EEES6_PlJNSB_9not_fun_tINSB_14equal_to_valueIdEEEEEEE10hipError_tPvRmT3_T4_T5_T6_T7_T9_mT8_P12ihipStream_tbDpT10_ENKUlT_T0_E_clISt17integral_constantIbLb0EES1A_IbLb1EEEEDaS16_S17_EUlS16_E_NS1_11comp_targetILNS1_3genE0ELNS1_11target_archE4294967295ELNS1_3gpuE0ELNS1_3repE0EEENS1_30default_config_static_selectorELNS0_4arch9wavefront6targetE0EEEvT1_,"axG",@progbits,_ZN7rocprim17ROCPRIM_400000_NS6detail17trampoline_kernelINS0_14default_configENS1_25partition_config_selectorILNS1_17partition_subalgoE6EdNS0_10empty_typeEbEEZZNS1_14partition_implILS5_6ELb0ES3_mN6thrust23THRUST_200600_302600_NS6detail15normal_iteratorINSA_10device_ptrIdEEEEPS6_SG_NS0_5tupleIJNSA_16discard_iteratorINSA_11use_defaultEEES6_EEENSH_IJSG_SG_EEES6_PlJNSB_9not_fun_tINSB_14equal_to_valueIdEEEEEEE10hipError_tPvRmT3_T4_T5_T6_T7_T9_mT8_P12ihipStream_tbDpT10_ENKUlT_T0_E_clISt17integral_constantIbLb0EES1A_IbLb1EEEEDaS16_S17_EUlS16_E_NS1_11comp_targetILNS1_3genE0ELNS1_11target_archE4294967295ELNS1_3gpuE0ELNS1_3repE0EEENS1_30default_config_static_selectorELNS0_4arch9wavefront6targetE0EEEvT1_,comdat
	.protected	_ZN7rocprim17ROCPRIM_400000_NS6detail17trampoline_kernelINS0_14default_configENS1_25partition_config_selectorILNS1_17partition_subalgoE6EdNS0_10empty_typeEbEEZZNS1_14partition_implILS5_6ELb0ES3_mN6thrust23THRUST_200600_302600_NS6detail15normal_iteratorINSA_10device_ptrIdEEEEPS6_SG_NS0_5tupleIJNSA_16discard_iteratorINSA_11use_defaultEEES6_EEENSH_IJSG_SG_EEES6_PlJNSB_9not_fun_tINSB_14equal_to_valueIdEEEEEEE10hipError_tPvRmT3_T4_T5_T6_T7_T9_mT8_P12ihipStream_tbDpT10_ENKUlT_T0_E_clISt17integral_constantIbLb0EES1A_IbLb1EEEEDaS16_S17_EUlS16_E_NS1_11comp_targetILNS1_3genE0ELNS1_11target_archE4294967295ELNS1_3gpuE0ELNS1_3repE0EEENS1_30default_config_static_selectorELNS0_4arch9wavefront6targetE0EEEvT1_ ; -- Begin function _ZN7rocprim17ROCPRIM_400000_NS6detail17trampoline_kernelINS0_14default_configENS1_25partition_config_selectorILNS1_17partition_subalgoE6EdNS0_10empty_typeEbEEZZNS1_14partition_implILS5_6ELb0ES3_mN6thrust23THRUST_200600_302600_NS6detail15normal_iteratorINSA_10device_ptrIdEEEEPS6_SG_NS0_5tupleIJNSA_16discard_iteratorINSA_11use_defaultEEES6_EEENSH_IJSG_SG_EEES6_PlJNSB_9not_fun_tINSB_14equal_to_valueIdEEEEEEE10hipError_tPvRmT3_T4_T5_T6_T7_T9_mT8_P12ihipStream_tbDpT10_ENKUlT_T0_E_clISt17integral_constantIbLb0EES1A_IbLb1EEEEDaS16_S17_EUlS16_E_NS1_11comp_targetILNS1_3genE0ELNS1_11target_archE4294967295ELNS1_3gpuE0ELNS1_3repE0EEENS1_30default_config_static_selectorELNS0_4arch9wavefront6targetE0EEEvT1_
	.globl	_ZN7rocprim17ROCPRIM_400000_NS6detail17trampoline_kernelINS0_14default_configENS1_25partition_config_selectorILNS1_17partition_subalgoE6EdNS0_10empty_typeEbEEZZNS1_14partition_implILS5_6ELb0ES3_mN6thrust23THRUST_200600_302600_NS6detail15normal_iteratorINSA_10device_ptrIdEEEEPS6_SG_NS0_5tupleIJNSA_16discard_iteratorINSA_11use_defaultEEES6_EEENSH_IJSG_SG_EEES6_PlJNSB_9not_fun_tINSB_14equal_to_valueIdEEEEEEE10hipError_tPvRmT3_T4_T5_T6_T7_T9_mT8_P12ihipStream_tbDpT10_ENKUlT_T0_E_clISt17integral_constantIbLb0EES1A_IbLb1EEEEDaS16_S17_EUlS16_E_NS1_11comp_targetILNS1_3genE0ELNS1_11target_archE4294967295ELNS1_3gpuE0ELNS1_3repE0EEENS1_30default_config_static_selectorELNS0_4arch9wavefront6targetE0EEEvT1_
	.p2align	8
	.type	_ZN7rocprim17ROCPRIM_400000_NS6detail17trampoline_kernelINS0_14default_configENS1_25partition_config_selectorILNS1_17partition_subalgoE6EdNS0_10empty_typeEbEEZZNS1_14partition_implILS5_6ELb0ES3_mN6thrust23THRUST_200600_302600_NS6detail15normal_iteratorINSA_10device_ptrIdEEEEPS6_SG_NS0_5tupleIJNSA_16discard_iteratorINSA_11use_defaultEEES6_EEENSH_IJSG_SG_EEES6_PlJNSB_9not_fun_tINSB_14equal_to_valueIdEEEEEEE10hipError_tPvRmT3_T4_T5_T6_T7_T9_mT8_P12ihipStream_tbDpT10_ENKUlT_T0_E_clISt17integral_constantIbLb0EES1A_IbLb1EEEEDaS16_S17_EUlS16_E_NS1_11comp_targetILNS1_3genE0ELNS1_11target_archE4294967295ELNS1_3gpuE0ELNS1_3repE0EEENS1_30default_config_static_selectorELNS0_4arch9wavefront6targetE0EEEvT1_,@function
_ZN7rocprim17ROCPRIM_400000_NS6detail17trampoline_kernelINS0_14default_configENS1_25partition_config_selectorILNS1_17partition_subalgoE6EdNS0_10empty_typeEbEEZZNS1_14partition_implILS5_6ELb0ES3_mN6thrust23THRUST_200600_302600_NS6detail15normal_iteratorINSA_10device_ptrIdEEEEPS6_SG_NS0_5tupleIJNSA_16discard_iteratorINSA_11use_defaultEEES6_EEENSH_IJSG_SG_EEES6_PlJNSB_9not_fun_tINSB_14equal_to_valueIdEEEEEEE10hipError_tPvRmT3_T4_T5_T6_T7_T9_mT8_P12ihipStream_tbDpT10_ENKUlT_T0_E_clISt17integral_constantIbLb0EES1A_IbLb1EEEEDaS16_S17_EUlS16_E_NS1_11comp_targetILNS1_3genE0ELNS1_11target_archE4294967295ELNS1_3gpuE0ELNS1_3repE0EEENS1_30default_config_static_selectorELNS0_4arch9wavefront6targetE0EEEvT1_: ; @_ZN7rocprim17ROCPRIM_400000_NS6detail17trampoline_kernelINS0_14default_configENS1_25partition_config_selectorILNS1_17partition_subalgoE6EdNS0_10empty_typeEbEEZZNS1_14partition_implILS5_6ELb0ES3_mN6thrust23THRUST_200600_302600_NS6detail15normal_iteratorINSA_10device_ptrIdEEEEPS6_SG_NS0_5tupleIJNSA_16discard_iteratorINSA_11use_defaultEEES6_EEENSH_IJSG_SG_EEES6_PlJNSB_9not_fun_tINSB_14equal_to_valueIdEEEEEEE10hipError_tPvRmT3_T4_T5_T6_T7_T9_mT8_P12ihipStream_tbDpT10_ENKUlT_T0_E_clISt17integral_constantIbLb0EES1A_IbLb1EEEEDaS16_S17_EUlS16_E_NS1_11comp_targetILNS1_3genE0ELNS1_11target_archE4294967295ELNS1_3gpuE0ELNS1_3repE0EEENS1_30default_config_static_selectorELNS0_4arch9wavefront6targetE0EEEvT1_
; %bb.0:
	.section	.rodata,"a",@progbits
	.p2align	6, 0x0
	.amdhsa_kernel _ZN7rocprim17ROCPRIM_400000_NS6detail17trampoline_kernelINS0_14default_configENS1_25partition_config_selectorILNS1_17partition_subalgoE6EdNS0_10empty_typeEbEEZZNS1_14partition_implILS5_6ELb0ES3_mN6thrust23THRUST_200600_302600_NS6detail15normal_iteratorINSA_10device_ptrIdEEEEPS6_SG_NS0_5tupleIJNSA_16discard_iteratorINSA_11use_defaultEEES6_EEENSH_IJSG_SG_EEES6_PlJNSB_9not_fun_tINSB_14equal_to_valueIdEEEEEEE10hipError_tPvRmT3_T4_T5_T6_T7_T9_mT8_P12ihipStream_tbDpT10_ENKUlT_T0_E_clISt17integral_constantIbLb0EES1A_IbLb1EEEEDaS16_S17_EUlS16_E_NS1_11comp_targetILNS1_3genE0ELNS1_11target_archE4294967295ELNS1_3gpuE0ELNS1_3repE0EEENS1_30default_config_static_selectorELNS0_4arch9wavefront6targetE0EEEvT1_
		.amdhsa_group_segment_fixed_size 0
		.amdhsa_private_segment_fixed_size 0
		.amdhsa_kernarg_size 136
		.amdhsa_user_sgpr_count 2
		.amdhsa_user_sgpr_dispatch_ptr 0
		.amdhsa_user_sgpr_queue_ptr 0
		.amdhsa_user_sgpr_kernarg_segment_ptr 1
		.amdhsa_user_sgpr_dispatch_id 0
		.amdhsa_user_sgpr_private_segment_size 0
		.amdhsa_wavefront_size32 1
		.amdhsa_uses_dynamic_stack 0
		.amdhsa_enable_private_segment 0
		.amdhsa_system_sgpr_workgroup_id_x 1
		.amdhsa_system_sgpr_workgroup_id_y 0
		.amdhsa_system_sgpr_workgroup_id_z 0
		.amdhsa_system_sgpr_workgroup_info 0
		.amdhsa_system_vgpr_workitem_id 0
		.amdhsa_next_free_vgpr 1
		.amdhsa_next_free_sgpr 1
		.amdhsa_reserve_vcc 0
		.amdhsa_float_round_mode_32 0
		.amdhsa_float_round_mode_16_64 0
		.amdhsa_float_denorm_mode_32 3
		.amdhsa_float_denorm_mode_16_64 3
		.amdhsa_fp16_overflow 0
		.amdhsa_workgroup_processor_mode 1
		.amdhsa_memory_ordered 1
		.amdhsa_forward_progress 1
		.amdhsa_inst_pref_size 0
		.amdhsa_round_robin_scheduling 0
		.amdhsa_exception_fp_ieee_invalid_op 0
		.amdhsa_exception_fp_denorm_src 0
		.amdhsa_exception_fp_ieee_div_zero 0
		.amdhsa_exception_fp_ieee_overflow 0
		.amdhsa_exception_fp_ieee_underflow 0
		.amdhsa_exception_fp_ieee_inexact 0
		.amdhsa_exception_int_div_zero 0
	.end_amdhsa_kernel
	.section	.text._ZN7rocprim17ROCPRIM_400000_NS6detail17trampoline_kernelINS0_14default_configENS1_25partition_config_selectorILNS1_17partition_subalgoE6EdNS0_10empty_typeEbEEZZNS1_14partition_implILS5_6ELb0ES3_mN6thrust23THRUST_200600_302600_NS6detail15normal_iteratorINSA_10device_ptrIdEEEEPS6_SG_NS0_5tupleIJNSA_16discard_iteratorINSA_11use_defaultEEES6_EEENSH_IJSG_SG_EEES6_PlJNSB_9not_fun_tINSB_14equal_to_valueIdEEEEEEE10hipError_tPvRmT3_T4_T5_T6_T7_T9_mT8_P12ihipStream_tbDpT10_ENKUlT_T0_E_clISt17integral_constantIbLb0EES1A_IbLb1EEEEDaS16_S17_EUlS16_E_NS1_11comp_targetILNS1_3genE0ELNS1_11target_archE4294967295ELNS1_3gpuE0ELNS1_3repE0EEENS1_30default_config_static_selectorELNS0_4arch9wavefront6targetE0EEEvT1_,"axG",@progbits,_ZN7rocprim17ROCPRIM_400000_NS6detail17trampoline_kernelINS0_14default_configENS1_25partition_config_selectorILNS1_17partition_subalgoE6EdNS0_10empty_typeEbEEZZNS1_14partition_implILS5_6ELb0ES3_mN6thrust23THRUST_200600_302600_NS6detail15normal_iteratorINSA_10device_ptrIdEEEEPS6_SG_NS0_5tupleIJNSA_16discard_iteratorINSA_11use_defaultEEES6_EEENSH_IJSG_SG_EEES6_PlJNSB_9not_fun_tINSB_14equal_to_valueIdEEEEEEE10hipError_tPvRmT3_T4_T5_T6_T7_T9_mT8_P12ihipStream_tbDpT10_ENKUlT_T0_E_clISt17integral_constantIbLb0EES1A_IbLb1EEEEDaS16_S17_EUlS16_E_NS1_11comp_targetILNS1_3genE0ELNS1_11target_archE4294967295ELNS1_3gpuE0ELNS1_3repE0EEENS1_30default_config_static_selectorELNS0_4arch9wavefront6targetE0EEEvT1_,comdat
.Lfunc_end1589:
	.size	_ZN7rocprim17ROCPRIM_400000_NS6detail17trampoline_kernelINS0_14default_configENS1_25partition_config_selectorILNS1_17partition_subalgoE6EdNS0_10empty_typeEbEEZZNS1_14partition_implILS5_6ELb0ES3_mN6thrust23THRUST_200600_302600_NS6detail15normal_iteratorINSA_10device_ptrIdEEEEPS6_SG_NS0_5tupleIJNSA_16discard_iteratorINSA_11use_defaultEEES6_EEENSH_IJSG_SG_EEES6_PlJNSB_9not_fun_tINSB_14equal_to_valueIdEEEEEEE10hipError_tPvRmT3_T4_T5_T6_T7_T9_mT8_P12ihipStream_tbDpT10_ENKUlT_T0_E_clISt17integral_constantIbLb0EES1A_IbLb1EEEEDaS16_S17_EUlS16_E_NS1_11comp_targetILNS1_3genE0ELNS1_11target_archE4294967295ELNS1_3gpuE0ELNS1_3repE0EEENS1_30default_config_static_selectorELNS0_4arch9wavefront6targetE0EEEvT1_, .Lfunc_end1589-_ZN7rocprim17ROCPRIM_400000_NS6detail17trampoline_kernelINS0_14default_configENS1_25partition_config_selectorILNS1_17partition_subalgoE6EdNS0_10empty_typeEbEEZZNS1_14partition_implILS5_6ELb0ES3_mN6thrust23THRUST_200600_302600_NS6detail15normal_iteratorINSA_10device_ptrIdEEEEPS6_SG_NS0_5tupleIJNSA_16discard_iteratorINSA_11use_defaultEEES6_EEENSH_IJSG_SG_EEES6_PlJNSB_9not_fun_tINSB_14equal_to_valueIdEEEEEEE10hipError_tPvRmT3_T4_T5_T6_T7_T9_mT8_P12ihipStream_tbDpT10_ENKUlT_T0_E_clISt17integral_constantIbLb0EES1A_IbLb1EEEEDaS16_S17_EUlS16_E_NS1_11comp_targetILNS1_3genE0ELNS1_11target_archE4294967295ELNS1_3gpuE0ELNS1_3repE0EEENS1_30default_config_static_selectorELNS0_4arch9wavefront6targetE0EEEvT1_
                                        ; -- End function
	.set _ZN7rocprim17ROCPRIM_400000_NS6detail17trampoline_kernelINS0_14default_configENS1_25partition_config_selectorILNS1_17partition_subalgoE6EdNS0_10empty_typeEbEEZZNS1_14partition_implILS5_6ELb0ES3_mN6thrust23THRUST_200600_302600_NS6detail15normal_iteratorINSA_10device_ptrIdEEEEPS6_SG_NS0_5tupleIJNSA_16discard_iteratorINSA_11use_defaultEEES6_EEENSH_IJSG_SG_EEES6_PlJNSB_9not_fun_tINSB_14equal_to_valueIdEEEEEEE10hipError_tPvRmT3_T4_T5_T6_T7_T9_mT8_P12ihipStream_tbDpT10_ENKUlT_T0_E_clISt17integral_constantIbLb0EES1A_IbLb1EEEEDaS16_S17_EUlS16_E_NS1_11comp_targetILNS1_3genE0ELNS1_11target_archE4294967295ELNS1_3gpuE0ELNS1_3repE0EEENS1_30default_config_static_selectorELNS0_4arch9wavefront6targetE0EEEvT1_.num_vgpr, 0
	.set _ZN7rocprim17ROCPRIM_400000_NS6detail17trampoline_kernelINS0_14default_configENS1_25partition_config_selectorILNS1_17partition_subalgoE6EdNS0_10empty_typeEbEEZZNS1_14partition_implILS5_6ELb0ES3_mN6thrust23THRUST_200600_302600_NS6detail15normal_iteratorINSA_10device_ptrIdEEEEPS6_SG_NS0_5tupleIJNSA_16discard_iteratorINSA_11use_defaultEEES6_EEENSH_IJSG_SG_EEES6_PlJNSB_9not_fun_tINSB_14equal_to_valueIdEEEEEEE10hipError_tPvRmT3_T4_T5_T6_T7_T9_mT8_P12ihipStream_tbDpT10_ENKUlT_T0_E_clISt17integral_constantIbLb0EES1A_IbLb1EEEEDaS16_S17_EUlS16_E_NS1_11comp_targetILNS1_3genE0ELNS1_11target_archE4294967295ELNS1_3gpuE0ELNS1_3repE0EEENS1_30default_config_static_selectorELNS0_4arch9wavefront6targetE0EEEvT1_.num_agpr, 0
	.set _ZN7rocprim17ROCPRIM_400000_NS6detail17trampoline_kernelINS0_14default_configENS1_25partition_config_selectorILNS1_17partition_subalgoE6EdNS0_10empty_typeEbEEZZNS1_14partition_implILS5_6ELb0ES3_mN6thrust23THRUST_200600_302600_NS6detail15normal_iteratorINSA_10device_ptrIdEEEEPS6_SG_NS0_5tupleIJNSA_16discard_iteratorINSA_11use_defaultEEES6_EEENSH_IJSG_SG_EEES6_PlJNSB_9not_fun_tINSB_14equal_to_valueIdEEEEEEE10hipError_tPvRmT3_T4_T5_T6_T7_T9_mT8_P12ihipStream_tbDpT10_ENKUlT_T0_E_clISt17integral_constantIbLb0EES1A_IbLb1EEEEDaS16_S17_EUlS16_E_NS1_11comp_targetILNS1_3genE0ELNS1_11target_archE4294967295ELNS1_3gpuE0ELNS1_3repE0EEENS1_30default_config_static_selectorELNS0_4arch9wavefront6targetE0EEEvT1_.numbered_sgpr, 0
	.set _ZN7rocprim17ROCPRIM_400000_NS6detail17trampoline_kernelINS0_14default_configENS1_25partition_config_selectorILNS1_17partition_subalgoE6EdNS0_10empty_typeEbEEZZNS1_14partition_implILS5_6ELb0ES3_mN6thrust23THRUST_200600_302600_NS6detail15normal_iteratorINSA_10device_ptrIdEEEEPS6_SG_NS0_5tupleIJNSA_16discard_iteratorINSA_11use_defaultEEES6_EEENSH_IJSG_SG_EEES6_PlJNSB_9not_fun_tINSB_14equal_to_valueIdEEEEEEE10hipError_tPvRmT3_T4_T5_T6_T7_T9_mT8_P12ihipStream_tbDpT10_ENKUlT_T0_E_clISt17integral_constantIbLb0EES1A_IbLb1EEEEDaS16_S17_EUlS16_E_NS1_11comp_targetILNS1_3genE0ELNS1_11target_archE4294967295ELNS1_3gpuE0ELNS1_3repE0EEENS1_30default_config_static_selectorELNS0_4arch9wavefront6targetE0EEEvT1_.num_named_barrier, 0
	.set _ZN7rocprim17ROCPRIM_400000_NS6detail17trampoline_kernelINS0_14default_configENS1_25partition_config_selectorILNS1_17partition_subalgoE6EdNS0_10empty_typeEbEEZZNS1_14partition_implILS5_6ELb0ES3_mN6thrust23THRUST_200600_302600_NS6detail15normal_iteratorINSA_10device_ptrIdEEEEPS6_SG_NS0_5tupleIJNSA_16discard_iteratorINSA_11use_defaultEEES6_EEENSH_IJSG_SG_EEES6_PlJNSB_9not_fun_tINSB_14equal_to_valueIdEEEEEEE10hipError_tPvRmT3_T4_T5_T6_T7_T9_mT8_P12ihipStream_tbDpT10_ENKUlT_T0_E_clISt17integral_constantIbLb0EES1A_IbLb1EEEEDaS16_S17_EUlS16_E_NS1_11comp_targetILNS1_3genE0ELNS1_11target_archE4294967295ELNS1_3gpuE0ELNS1_3repE0EEENS1_30default_config_static_selectorELNS0_4arch9wavefront6targetE0EEEvT1_.private_seg_size, 0
	.set _ZN7rocprim17ROCPRIM_400000_NS6detail17trampoline_kernelINS0_14default_configENS1_25partition_config_selectorILNS1_17partition_subalgoE6EdNS0_10empty_typeEbEEZZNS1_14partition_implILS5_6ELb0ES3_mN6thrust23THRUST_200600_302600_NS6detail15normal_iteratorINSA_10device_ptrIdEEEEPS6_SG_NS0_5tupleIJNSA_16discard_iteratorINSA_11use_defaultEEES6_EEENSH_IJSG_SG_EEES6_PlJNSB_9not_fun_tINSB_14equal_to_valueIdEEEEEEE10hipError_tPvRmT3_T4_T5_T6_T7_T9_mT8_P12ihipStream_tbDpT10_ENKUlT_T0_E_clISt17integral_constantIbLb0EES1A_IbLb1EEEEDaS16_S17_EUlS16_E_NS1_11comp_targetILNS1_3genE0ELNS1_11target_archE4294967295ELNS1_3gpuE0ELNS1_3repE0EEENS1_30default_config_static_selectorELNS0_4arch9wavefront6targetE0EEEvT1_.uses_vcc, 0
	.set _ZN7rocprim17ROCPRIM_400000_NS6detail17trampoline_kernelINS0_14default_configENS1_25partition_config_selectorILNS1_17partition_subalgoE6EdNS0_10empty_typeEbEEZZNS1_14partition_implILS5_6ELb0ES3_mN6thrust23THRUST_200600_302600_NS6detail15normal_iteratorINSA_10device_ptrIdEEEEPS6_SG_NS0_5tupleIJNSA_16discard_iteratorINSA_11use_defaultEEES6_EEENSH_IJSG_SG_EEES6_PlJNSB_9not_fun_tINSB_14equal_to_valueIdEEEEEEE10hipError_tPvRmT3_T4_T5_T6_T7_T9_mT8_P12ihipStream_tbDpT10_ENKUlT_T0_E_clISt17integral_constantIbLb0EES1A_IbLb1EEEEDaS16_S17_EUlS16_E_NS1_11comp_targetILNS1_3genE0ELNS1_11target_archE4294967295ELNS1_3gpuE0ELNS1_3repE0EEENS1_30default_config_static_selectorELNS0_4arch9wavefront6targetE0EEEvT1_.uses_flat_scratch, 0
	.set _ZN7rocprim17ROCPRIM_400000_NS6detail17trampoline_kernelINS0_14default_configENS1_25partition_config_selectorILNS1_17partition_subalgoE6EdNS0_10empty_typeEbEEZZNS1_14partition_implILS5_6ELb0ES3_mN6thrust23THRUST_200600_302600_NS6detail15normal_iteratorINSA_10device_ptrIdEEEEPS6_SG_NS0_5tupleIJNSA_16discard_iteratorINSA_11use_defaultEEES6_EEENSH_IJSG_SG_EEES6_PlJNSB_9not_fun_tINSB_14equal_to_valueIdEEEEEEE10hipError_tPvRmT3_T4_T5_T6_T7_T9_mT8_P12ihipStream_tbDpT10_ENKUlT_T0_E_clISt17integral_constantIbLb0EES1A_IbLb1EEEEDaS16_S17_EUlS16_E_NS1_11comp_targetILNS1_3genE0ELNS1_11target_archE4294967295ELNS1_3gpuE0ELNS1_3repE0EEENS1_30default_config_static_selectorELNS0_4arch9wavefront6targetE0EEEvT1_.has_dyn_sized_stack, 0
	.set _ZN7rocprim17ROCPRIM_400000_NS6detail17trampoline_kernelINS0_14default_configENS1_25partition_config_selectorILNS1_17partition_subalgoE6EdNS0_10empty_typeEbEEZZNS1_14partition_implILS5_6ELb0ES3_mN6thrust23THRUST_200600_302600_NS6detail15normal_iteratorINSA_10device_ptrIdEEEEPS6_SG_NS0_5tupleIJNSA_16discard_iteratorINSA_11use_defaultEEES6_EEENSH_IJSG_SG_EEES6_PlJNSB_9not_fun_tINSB_14equal_to_valueIdEEEEEEE10hipError_tPvRmT3_T4_T5_T6_T7_T9_mT8_P12ihipStream_tbDpT10_ENKUlT_T0_E_clISt17integral_constantIbLb0EES1A_IbLb1EEEEDaS16_S17_EUlS16_E_NS1_11comp_targetILNS1_3genE0ELNS1_11target_archE4294967295ELNS1_3gpuE0ELNS1_3repE0EEENS1_30default_config_static_selectorELNS0_4arch9wavefront6targetE0EEEvT1_.has_recursion, 0
	.set _ZN7rocprim17ROCPRIM_400000_NS6detail17trampoline_kernelINS0_14default_configENS1_25partition_config_selectorILNS1_17partition_subalgoE6EdNS0_10empty_typeEbEEZZNS1_14partition_implILS5_6ELb0ES3_mN6thrust23THRUST_200600_302600_NS6detail15normal_iteratorINSA_10device_ptrIdEEEEPS6_SG_NS0_5tupleIJNSA_16discard_iteratorINSA_11use_defaultEEES6_EEENSH_IJSG_SG_EEES6_PlJNSB_9not_fun_tINSB_14equal_to_valueIdEEEEEEE10hipError_tPvRmT3_T4_T5_T6_T7_T9_mT8_P12ihipStream_tbDpT10_ENKUlT_T0_E_clISt17integral_constantIbLb0EES1A_IbLb1EEEEDaS16_S17_EUlS16_E_NS1_11comp_targetILNS1_3genE0ELNS1_11target_archE4294967295ELNS1_3gpuE0ELNS1_3repE0EEENS1_30default_config_static_selectorELNS0_4arch9wavefront6targetE0EEEvT1_.has_indirect_call, 0
	.section	.AMDGPU.csdata,"",@progbits
; Kernel info:
; codeLenInByte = 0
; TotalNumSgprs: 0
; NumVgprs: 0
; ScratchSize: 0
; MemoryBound: 0
; FloatMode: 240
; IeeeMode: 1
; LDSByteSize: 0 bytes/workgroup (compile time only)
; SGPRBlocks: 0
; VGPRBlocks: 0
; NumSGPRsForWavesPerEU: 1
; NumVGPRsForWavesPerEU: 1
; Occupancy: 16
; WaveLimiterHint : 0
; COMPUTE_PGM_RSRC2:SCRATCH_EN: 0
; COMPUTE_PGM_RSRC2:USER_SGPR: 2
; COMPUTE_PGM_RSRC2:TRAP_HANDLER: 0
; COMPUTE_PGM_RSRC2:TGID_X_EN: 1
; COMPUTE_PGM_RSRC2:TGID_Y_EN: 0
; COMPUTE_PGM_RSRC2:TGID_Z_EN: 0
; COMPUTE_PGM_RSRC2:TIDIG_COMP_CNT: 0
	.section	.text._ZN7rocprim17ROCPRIM_400000_NS6detail17trampoline_kernelINS0_14default_configENS1_25partition_config_selectorILNS1_17partition_subalgoE6EdNS0_10empty_typeEbEEZZNS1_14partition_implILS5_6ELb0ES3_mN6thrust23THRUST_200600_302600_NS6detail15normal_iteratorINSA_10device_ptrIdEEEEPS6_SG_NS0_5tupleIJNSA_16discard_iteratorINSA_11use_defaultEEES6_EEENSH_IJSG_SG_EEES6_PlJNSB_9not_fun_tINSB_14equal_to_valueIdEEEEEEE10hipError_tPvRmT3_T4_T5_T6_T7_T9_mT8_P12ihipStream_tbDpT10_ENKUlT_T0_E_clISt17integral_constantIbLb0EES1A_IbLb1EEEEDaS16_S17_EUlS16_E_NS1_11comp_targetILNS1_3genE5ELNS1_11target_archE942ELNS1_3gpuE9ELNS1_3repE0EEENS1_30default_config_static_selectorELNS0_4arch9wavefront6targetE0EEEvT1_,"axG",@progbits,_ZN7rocprim17ROCPRIM_400000_NS6detail17trampoline_kernelINS0_14default_configENS1_25partition_config_selectorILNS1_17partition_subalgoE6EdNS0_10empty_typeEbEEZZNS1_14partition_implILS5_6ELb0ES3_mN6thrust23THRUST_200600_302600_NS6detail15normal_iteratorINSA_10device_ptrIdEEEEPS6_SG_NS0_5tupleIJNSA_16discard_iteratorINSA_11use_defaultEEES6_EEENSH_IJSG_SG_EEES6_PlJNSB_9not_fun_tINSB_14equal_to_valueIdEEEEEEE10hipError_tPvRmT3_T4_T5_T6_T7_T9_mT8_P12ihipStream_tbDpT10_ENKUlT_T0_E_clISt17integral_constantIbLb0EES1A_IbLb1EEEEDaS16_S17_EUlS16_E_NS1_11comp_targetILNS1_3genE5ELNS1_11target_archE942ELNS1_3gpuE9ELNS1_3repE0EEENS1_30default_config_static_selectorELNS0_4arch9wavefront6targetE0EEEvT1_,comdat
	.protected	_ZN7rocprim17ROCPRIM_400000_NS6detail17trampoline_kernelINS0_14default_configENS1_25partition_config_selectorILNS1_17partition_subalgoE6EdNS0_10empty_typeEbEEZZNS1_14partition_implILS5_6ELb0ES3_mN6thrust23THRUST_200600_302600_NS6detail15normal_iteratorINSA_10device_ptrIdEEEEPS6_SG_NS0_5tupleIJNSA_16discard_iteratorINSA_11use_defaultEEES6_EEENSH_IJSG_SG_EEES6_PlJNSB_9not_fun_tINSB_14equal_to_valueIdEEEEEEE10hipError_tPvRmT3_T4_T5_T6_T7_T9_mT8_P12ihipStream_tbDpT10_ENKUlT_T0_E_clISt17integral_constantIbLb0EES1A_IbLb1EEEEDaS16_S17_EUlS16_E_NS1_11comp_targetILNS1_3genE5ELNS1_11target_archE942ELNS1_3gpuE9ELNS1_3repE0EEENS1_30default_config_static_selectorELNS0_4arch9wavefront6targetE0EEEvT1_ ; -- Begin function _ZN7rocprim17ROCPRIM_400000_NS6detail17trampoline_kernelINS0_14default_configENS1_25partition_config_selectorILNS1_17partition_subalgoE6EdNS0_10empty_typeEbEEZZNS1_14partition_implILS5_6ELb0ES3_mN6thrust23THRUST_200600_302600_NS6detail15normal_iteratorINSA_10device_ptrIdEEEEPS6_SG_NS0_5tupleIJNSA_16discard_iteratorINSA_11use_defaultEEES6_EEENSH_IJSG_SG_EEES6_PlJNSB_9not_fun_tINSB_14equal_to_valueIdEEEEEEE10hipError_tPvRmT3_T4_T5_T6_T7_T9_mT8_P12ihipStream_tbDpT10_ENKUlT_T0_E_clISt17integral_constantIbLb0EES1A_IbLb1EEEEDaS16_S17_EUlS16_E_NS1_11comp_targetILNS1_3genE5ELNS1_11target_archE942ELNS1_3gpuE9ELNS1_3repE0EEENS1_30default_config_static_selectorELNS0_4arch9wavefront6targetE0EEEvT1_
	.globl	_ZN7rocprim17ROCPRIM_400000_NS6detail17trampoline_kernelINS0_14default_configENS1_25partition_config_selectorILNS1_17partition_subalgoE6EdNS0_10empty_typeEbEEZZNS1_14partition_implILS5_6ELb0ES3_mN6thrust23THRUST_200600_302600_NS6detail15normal_iteratorINSA_10device_ptrIdEEEEPS6_SG_NS0_5tupleIJNSA_16discard_iteratorINSA_11use_defaultEEES6_EEENSH_IJSG_SG_EEES6_PlJNSB_9not_fun_tINSB_14equal_to_valueIdEEEEEEE10hipError_tPvRmT3_T4_T5_T6_T7_T9_mT8_P12ihipStream_tbDpT10_ENKUlT_T0_E_clISt17integral_constantIbLb0EES1A_IbLb1EEEEDaS16_S17_EUlS16_E_NS1_11comp_targetILNS1_3genE5ELNS1_11target_archE942ELNS1_3gpuE9ELNS1_3repE0EEENS1_30default_config_static_selectorELNS0_4arch9wavefront6targetE0EEEvT1_
	.p2align	8
	.type	_ZN7rocprim17ROCPRIM_400000_NS6detail17trampoline_kernelINS0_14default_configENS1_25partition_config_selectorILNS1_17partition_subalgoE6EdNS0_10empty_typeEbEEZZNS1_14partition_implILS5_6ELb0ES3_mN6thrust23THRUST_200600_302600_NS6detail15normal_iteratorINSA_10device_ptrIdEEEEPS6_SG_NS0_5tupleIJNSA_16discard_iteratorINSA_11use_defaultEEES6_EEENSH_IJSG_SG_EEES6_PlJNSB_9not_fun_tINSB_14equal_to_valueIdEEEEEEE10hipError_tPvRmT3_T4_T5_T6_T7_T9_mT8_P12ihipStream_tbDpT10_ENKUlT_T0_E_clISt17integral_constantIbLb0EES1A_IbLb1EEEEDaS16_S17_EUlS16_E_NS1_11comp_targetILNS1_3genE5ELNS1_11target_archE942ELNS1_3gpuE9ELNS1_3repE0EEENS1_30default_config_static_selectorELNS0_4arch9wavefront6targetE0EEEvT1_,@function
_ZN7rocprim17ROCPRIM_400000_NS6detail17trampoline_kernelINS0_14default_configENS1_25partition_config_selectorILNS1_17partition_subalgoE6EdNS0_10empty_typeEbEEZZNS1_14partition_implILS5_6ELb0ES3_mN6thrust23THRUST_200600_302600_NS6detail15normal_iteratorINSA_10device_ptrIdEEEEPS6_SG_NS0_5tupleIJNSA_16discard_iteratorINSA_11use_defaultEEES6_EEENSH_IJSG_SG_EEES6_PlJNSB_9not_fun_tINSB_14equal_to_valueIdEEEEEEE10hipError_tPvRmT3_T4_T5_T6_T7_T9_mT8_P12ihipStream_tbDpT10_ENKUlT_T0_E_clISt17integral_constantIbLb0EES1A_IbLb1EEEEDaS16_S17_EUlS16_E_NS1_11comp_targetILNS1_3genE5ELNS1_11target_archE942ELNS1_3gpuE9ELNS1_3repE0EEENS1_30default_config_static_selectorELNS0_4arch9wavefront6targetE0EEEvT1_: ; @_ZN7rocprim17ROCPRIM_400000_NS6detail17trampoline_kernelINS0_14default_configENS1_25partition_config_selectorILNS1_17partition_subalgoE6EdNS0_10empty_typeEbEEZZNS1_14partition_implILS5_6ELb0ES3_mN6thrust23THRUST_200600_302600_NS6detail15normal_iteratorINSA_10device_ptrIdEEEEPS6_SG_NS0_5tupleIJNSA_16discard_iteratorINSA_11use_defaultEEES6_EEENSH_IJSG_SG_EEES6_PlJNSB_9not_fun_tINSB_14equal_to_valueIdEEEEEEE10hipError_tPvRmT3_T4_T5_T6_T7_T9_mT8_P12ihipStream_tbDpT10_ENKUlT_T0_E_clISt17integral_constantIbLb0EES1A_IbLb1EEEEDaS16_S17_EUlS16_E_NS1_11comp_targetILNS1_3genE5ELNS1_11target_archE942ELNS1_3gpuE9ELNS1_3repE0EEENS1_30default_config_static_selectorELNS0_4arch9wavefront6targetE0EEEvT1_
; %bb.0:
	.section	.rodata,"a",@progbits
	.p2align	6, 0x0
	.amdhsa_kernel _ZN7rocprim17ROCPRIM_400000_NS6detail17trampoline_kernelINS0_14default_configENS1_25partition_config_selectorILNS1_17partition_subalgoE6EdNS0_10empty_typeEbEEZZNS1_14partition_implILS5_6ELb0ES3_mN6thrust23THRUST_200600_302600_NS6detail15normal_iteratorINSA_10device_ptrIdEEEEPS6_SG_NS0_5tupleIJNSA_16discard_iteratorINSA_11use_defaultEEES6_EEENSH_IJSG_SG_EEES6_PlJNSB_9not_fun_tINSB_14equal_to_valueIdEEEEEEE10hipError_tPvRmT3_T4_T5_T6_T7_T9_mT8_P12ihipStream_tbDpT10_ENKUlT_T0_E_clISt17integral_constantIbLb0EES1A_IbLb1EEEEDaS16_S17_EUlS16_E_NS1_11comp_targetILNS1_3genE5ELNS1_11target_archE942ELNS1_3gpuE9ELNS1_3repE0EEENS1_30default_config_static_selectorELNS0_4arch9wavefront6targetE0EEEvT1_
		.amdhsa_group_segment_fixed_size 0
		.amdhsa_private_segment_fixed_size 0
		.amdhsa_kernarg_size 136
		.amdhsa_user_sgpr_count 2
		.amdhsa_user_sgpr_dispatch_ptr 0
		.amdhsa_user_sgpr_queue_ptr 0
		.amdhsa_user_sgpr_kernarg_segment_ptr 1
		.amdhsa_user_sgpr_dispatch_id 0
		.amdhsa_user_sgpr_private_segment_size 0
		.amdhsa_wavefront_size32 1
		.amdhsa_uses_dynamic_stack 0
		.amdhsa_enable_private_segment 0
		.amdhsa_system_sgpr_workgroup_id_x 1
		.amdhsa_system_sgpr_workgroup_id_y 0
		.amdhsa_system_sgpr_workgroup_id_z 0
		.amdhsa_system_sgpr_workgroup_info 0
		.amdhsa_system_vgpr_workitem_id 0
		.amdhsa_next_free_vgpr 1
		.amdhsa_next_free_sgpr 1
		.amdhsa_reserve_vcc 0
		.amdhsa_float_round_mode_32 0
		.amdhsa_float_round_mode_16_64 0
		.amdhsa_float_denorm_mode_32 3
		.amdhsa_float_denorm_mode_16_64 3
		.amdhsa_fp16_overflow 0
		.amdhsa_workgroup_processor_mode 1
		.amdhsa_memory_ordered 1
		.amdhsa_forward_progress 1
		.amdhsa_inst_pref_size 0
		.amdhsa_round_robin_scheduling 0
		.amdhsa_exception_fp_ieee_invalid_op 0
		.amdhsa_exception_fp_denorm_src 0
		.amdhsa_exception_fp_ieee_div_zero 0
		.amdhsa_exception_fp_ieee_overflow 0
		.amdhsa_exception_fp_ieee_underflow 0
		.amdhsa_exception_fp_ieee_inexact 0
		.amdhsa_exception_int_div_zero 0
	.end_amdhsa_kernel
	.section	.text._ZN7rocprim17ROCPRIM_400000_NS6detail17trampoline_kernelINS0_14default_configENS1_25partition_config_selectorILNS1_17partition_subalgoE6EdNS0_10empty_typeEbEEZZNS1_14partition_implILS5_6ELb0ES3_mN6thrust23THRUST_200600_302600_NS6detail15normal_iteratorINSA_10device_ptrIdEEEEPS6_SG_NS0_5tupleIJNSA_16discard_iteratorINSA_11use_defaultEEES6_EEENSH_IJSG_SG_EEES6_PlJNSB_9not_fun_tINSB_14equal_to_valueIdEEEEEEE10hipError_tPvRmT3_T4_T5_T6_T7_T9_mT8_P12ihipStream_tbDpT10_ENKUlT_T0_E_clISt17integral_constantIbLb0EES1A_IbLb1EEEEDaS16_S17_EUlS16_E_NS1_11comp_targetILNS1_3genE5ELNS1_11target_archE942ELNS1_3gpuE9ELNS1_3repE0EEENS1_30default_config_static_selectorELNS0_4arch9wavefront6targetE0EEEvT1_,"axG",@progbits,_ZN7rocprim17ROCPRIM_400000_NS6detail17trampoline_kernelINS0_14default_configENS1_25partition_config_selectorILNS1_17partition_subalgoE6EdNS0_10empty_typeEbEEZZNS1_14partition_implILS5_6ELb0ES3_mN6thrust23THRUST_200600_302600_NS6detail15normal_iteratorINSA_10device_ptrIdEEEEPS6_SG_NS0_5tupleIJNSA_16discard_iteratorINSA_11use_defaultEEES6_EEENSH_IJSG_SG_EEES6_PlJNSB_9not_fun_tINSB_14equal_to_valueIdEEEEEEE10hipError_tPvRmT3_T4_T5_T6_T7_T9_mT8_P12ihipStream_tbDpT10_ENKUlT_T0_E_clISt17integral_constantIbLb0EES1A_IbLb1EEEEDaS16_S17_EUlS16_E_NS1_11comp_targetILNS1_3genE5ELNS1_11target_archE942ELNS1_3gpuE9ELNS1_3repE0EEENS1_30default_config_static_selectorELNS0_4arch9wavefront6targetE0EEEvT1_,comdat
.Lfunc_end1590:
	.size	_ZN7rocprim17ROCPRIM_400000_NS6detail17trampoline_kernelINS0_14default_configENS1_25partition_config_selectorILNS1_17partition_subalgoE6EdNS0_10empty_typeEbEEZZNS1_14partition_implILS5_6ELb0ES3_mN6thrust23THRUST_200600_302600_NS6detail15normal_iteratorINSA_10device_ptrIdEEEEPS6_SG_NS0_5tupleIJNSA_16discard_iteratorINSA_11use_defaultEEES6_EEENSH_IJSG_SG_EEES6_PlJNSB_9not_fun_tINSB_14equal_to_valueIdEEEEEEE10hipError_tPvRmT3_T4_T5_T6_T7_T9_mT8_P12ihipStream_tbDpT10_ENKUlT_T0_E_clISt17integral_constantIbLb0EES1A_IbLb1EEEEDaS16_S17_EUlS16_E_NS1_11comp_targetILNS1_3genE5ELNS1_11target_archE942ELNS1_3gpuE9ELNS1_3repE0EEENS1_30default_config_static_selectorELNS0_4arch9wavefront6targetE0EEEvT1_, .Lfunc_end1590-_ZN7rocprim17ROCPRIM_400000_NS6detail17trampoline_kernelINS0_14default_configENS1_25partition_config_selectorILNS1_17partition_subalgoE6EdNS0_10empty_typeEbEEZZNS1_14partition_implILS5_6ELb0ES3_mN6thrust23THRUST_200600_302600_NS6detail15normal_iteratorINSA_10device_ptrIdEEEEPS6_SG_NS0_5tupleIJNSA_16discard_iteratorINSA_11use_defaultEEES6_EEENSH_IJSG_SG_EEES6_PlJNSB_9not_fun_tINSB_14equal_to_valueIdEEEEEEE10hipError_tPvRmT3_T4_T5_T6_T7_T9_mT8_P12ihipStream_tbDpT10_ENKUlT_T0_E_clISt17integral_constantIbLb0EES1A_IbLb1EEEEDaS16_S17_EUlS16_E_NS1_11comp_targetILNS1_3genE5ELNS1_11target_archE942ELNS1_3gpuE9ELNS1_3repE0EEENS1_30default_config_static_selectorELNS0_4arch9wavefront6targetE0EEEvT1_
                                        ; -- End function
	.set _ZN7rocprim17ROCPRIM_400000_NS6detail17trampoline_kernelINS0_14default_configENS1_25partition_config_selectorILNS1_17partition_subalgoE6EdNS0_10empty_typeEbEEZZNS1_14partition_implILS5_6ELb0ES3_mN6thrust23THRUST_200600_302600_NS6detail15normal_iteratorINSA_10device_ptrIdEEEEPS6_SG_NS0_5tupleIJNSA_16discard_iteratorINSA_11use_defaultEEES6_EEENSH_IJSG_SG_EEES6_PlJNSB_9not_fun_tINSB_14equal_to_valueIdEEEEEEE10hipError_tPvRmT3_T4_T5_T6_T7_T9_mT8_P12ihipStream_tbDpT10_ENKUlT_T0_E_clISt17integral_constantIbLb0EES1A_IbLb1EEEEDaS16_S17_EUlS16_E_NS1_11comp_targetILNS1_3genE5ELNS1_11target_archE942ELNS1_3gpuE9ELNS1_3repE0EEENS1_30default_config_static_selectorELNS0_4arch9wavefront6targetE0EEEvT1_.num_vgpr, 0
	.set _ZN7rocprim17ROCPRIM_400000_NS6detail17trampoline_kernelINS0_14default_configENS1_25partition_config_selectorILNS1_17partition_subalgoE6EdNS0_10empty_typeEbEEZZNS1_14partition_implILS5_6ELb0ES3_mN6thrust23THRUST_200600_302600_NS6detail15normal_iteratorINSA_10device_ptrIdEEEEPS6_SG_NS0_5tupleIJNSA_16discard_iteratorINSA_11use_defaultEEES6_EEENSH_IJSG_SG_EEES6_PlJNSB_9not_fun_tINSB_14equal_to_valueIdEEEEEEE10hipError_tPvRmT3_T4_T5_T6_T7_T9_mT8_P12ihipStream_tbDpT10_ENKUlT_T0_E_clISt17integral_constantIbLb0EES1A_IbLb1EEEEDaS16_S17_EUlS16_E_NS1_11comp_targetILNS1_3genE5ELNS1_11target_archE942ELNS1_3gpuE9ELNS1_3repE0EEENS1_30default_config_static_selectorELNS0_4arch9wavefront6targetE0EEEvT1_.num_agpr, 0
	.set _ZN7rocprim17ROCPRIM_400000_NS6detail17trampoline_kernelINS0_14default_configENS1_25partition_config_selectorILNS1_17partition_subalgoE6EdNS0_10empty_typeEbEEZZNS1_14partition_implILS5_6ELb0ES3_mN6thrust23THRUST_200600_302600_NS6detail15normal_iteratorINSA_10device_ptrIdEEEEPS6_SG_NS0_5tupleIJNSA_16discard_iteratorINSA_11use_defaultEEES6_EEENSH_IJSG_SG_EEES6_PlJNSB_9not_fun_tINSB_14equal_to_valueIdEEEEEEE10hipError_tPvRmT3_T4_T5_T6_T7_T9_mT8_P12ihipStream_tbDpT10_ENKUlT_T0_E_clISt17integral_constantIbLb0EES1A_IbLb1EEEEDaS16_S17_EUlS16_E_NS1_11comp_targetILNS1_3genE5ELNS1_11target_archE942ELNS1_3gpuE9ELNS1_3repE0EEENS1_30default_config_static_selectorELNS0_4arch9wavefront6targetE0EEEvT1_.numbered_sgpr, 0
	.set _ZN7rocprim17ROCPRIM_400000_NS6detail17trampoline_kernelINS0_14default_configENS1_25partition_config_selectorILNS1_17partition_subalgoE6EdNS0_10empty_typeEbEEZZNS1_14partition_implILS5_6ELb0ES3_mN6thrust23THRUST_200600_302600_NS6detail15normal_iteratorINSA_10device_ptrIdEEEEPS6_SG_NS0_5tupleIJNSA_16discard_iteratorINSA_11use_defaultEEES6_EEENSH_IJSG_SG_EEES6_PlJNSB_9not_fun_tINSB_14equal_to_valueIdEEEEEEE10hipError_tPvRmT3_T4_T5_T6_T7_T9_mT8_P12ihipStream_tbDpT10_ENKUlT_T0_E_clISt17integral_constantIbLb0EES1A_IbLb1EEEEDaS16_S17_EUlS16_E_NS1_11comp_targetILNS1_3genE5ELNS1_11target_archE942ELNS1_3gpuE9ELNS1_3repE0EEENS1_30default_config_static_selectorELNS0_4arch9wavefront6targetE0EEEvT1_.num_named_barrier, 0
	.set _ZN7rocprim17ROCPRIM_400000_NS6detail17trampoline_kernelINS0_14default_configENS1_25partition_config_selectorILNS1_17partition_subalgoE6EdNS0_10empty_typeEbEEZZNS1_14partition_implILS5_6ELb0ES3_mN6thrust23THRUST_200600_302600_NS6detail15normal_iteratorINSA_10device_ptrIdEEEEPS6_SG_NS0_5tupleIJNSA_16discard_iteratorINSA_11use_defaultEEES6_EEENSH_IJSG_SG_EEES6_PlJNSB_9not_fun_tINSB_14equal_to_valueIdEEEEEEE10hipError_tPvRmT3_T4_T5_T6_T7_T9_mT8_P12ihipStream_tbDpT10_ENKUlT_T0_E_clISt17integral_constantIbLb0EES1A_IbLb1EEEEDaS16_S17_EUlS16_E_NS1_11comp_targetILNS1_3genE5ELNS1_11target_archE942ELNS1_3gpuE9ELNS1_3repE0EEENS1_30default_config_static_selectorELNS0_4arch9wavefront6targetE0EEEvT1_.private_seg_size, 0
	.set _ZN7rocprim17ROCPRIM_400000_NS6detail17trampoline_kernelINS0_14default_configENS1_25partition_config_selectorILNS1_17partition_subalgoE6EdNS0_10empty_typeEbEEZZNS1_14partition_implILS5_6ELb0ES3_mN6thrust23THRUST_200600_302600_NS6detail15normal_iteratorINSA_10device_ptrIdEEEEPS6_SG_NS0_5tupleIJNSA_16discard_iteratorINSA_11use_defaultEEES6_EEENSH_IJSG_SG_EEES6_PlJNSB_9not_fun_tINSB_14equal_to_valueIdEEEEEEE10hipError_tPvRmT3_T4_T5_T6_T7_T9_mT8_P12ihipStream_tbDpT10_ENKUlT_T0_E_clISt17integral_constantIbLb0EES1A_IbLb1EEEEDaS16_S17_EUlS16_E_NS1_11comp_targetILNS1_3genE5ELNS1_11target_archE942ELNS1_3gpuE9ELNS1_3repE0EEENS1_30default_config_static_selectorELNS0_4arch9wavefront6targetE0EEEvT1_.uses_vcc, 0
	.set _ZN7rocprim17ROCPRIM_400000_NS6detail17trampoline_kernelINS0_14default_configENS1_25partition_config_selectorILNS1_17partition_subalgoE6EdNS0_10empty_typeEbEEZZNS1_14partition_implILS5_6ELb0ES3_mN6thrust23THRUST_200600_302600_NS6detail15normal_iteratorINSA_10device_ptrIdEEEEPS6_SG_NS0_5tupleIJNSA_16discard_iteratorINSA_11use_defaultEEES6_EEENSH_IJSG_SG_EEES6_PlJNSB_9not_fun_tINSB_14equal_to_valueIdEEEEEEE10hipError_tPvRmT3_T4_T5_T6_T7_T9_mT8_P12ihipStream_tbDpT10_ENKUlT_T0_E_clISt17integral_constantIbLb0EES1A_IbLb1EEEEDaS16_S17_EUlS16_E_NS1_11comp_targetILNS1_3genE5ELNS1_11target_archE942ELNS1_3gpuE9ELNS1_3repE0EEENS1_30default_config_static_selectorELNS0_4arch9wavefront6targetE0EEEvT1_.uses_flat_scratch, 0
	.set _ZN7rocprim17ROCPRIM_400000_NS6detail17trampoline_kernelINS0_14default_configENS1_25partition_config_selectorILNS1_17partition_subalgoE6EdNS0_10empty_typeEbEEZZNS1_14partition_implILS5_6ELb0ES3_mN6thrust23THRUST_200600_302600_NS6detail15normal_iteratorINSA_10device_ptrIdEEEEPS6_SG_NS0_5tupleIJNSA_16discard_iteratorINSA_11use_defaultEEES6_EEENSH_IJSG_SG_EEES6_PlJNSB_9not_fun_tINSB_14equal_to_valueIdEEEEEEE10hipError_tPvRmT3_T4_T5_T6_T7_T9_mT8_P12ihipStream_tbDpT10_ENKUlT_T0_E_clISt17integral_constantIbLb0EES1A_IbLb1EEEEDaS16_S17_EUlS16_E_NS1_11comp_targetILNS1_3genE5ELNS1_11target_archE942ELNS1_3gpuE9ELNS1_3repE0EEENS1_30default_config_static_selectorELNS0_4arch9wavefront6targetE0EEEvT1_.has_dyn_sized_stack, 0
	.set _ZN7rocprim17ROCPRIM_400000_NS6detail17trampoline_kernelINS0_14default_configENS1_25partition_config_selectorILNS1_17partition_subalgoE6EdNS0_10empty_typeEbEEZZNS1_14partition_implILS5_6ELb0ES3_mN6thrust23THRUST_200600_302600_NS6detail15normal_iteratorINSA_10device_ptrIdEEEEPS6_SG_NS0_5tupleIJNSA_16discard_iteratorINSA_11use_defaultEEES6_EEENSH_IJSG_SG_EEES6_PlJNSB_9not_fun_tINSB_14equal_to_valueIdEEEEEEE10hipError_tPvRmT3_T4_T5_T6_T7_T9_mT8_P12ihipStream_tbDpT10_ENKUlT_T0_E_clISt17integral_constantIbLb0EES1A_IbLb1EEEEDaS16_S17_EUlS16_E_NS1_11comp_targetILNS1_3genE5ELNS1_11target_archE942ELNS1_3gpuE9ELNS1_3repE0EEENS1_30default_config_static_selectorELNS0_4arch9wavefront6targetE0EEEvT1_.has_recursion, 0
	.set _ZN7rocprim17ROCPRIM_400000_NS6detail17trampoline_kernelINS0_14default_configENS1_25partition_config_selectorILNS1_17partition_subalgoE6EdNS0_10empty_typeEbEEZZNS1_14partition_implILS5_6ELb0ES3_mN6thrust23THRUST_200600_302600_NS6detail15normal_iteratorINSA_10device_ptrIdEEEEPS6_SG_NS0_5tupleIJNSA_16discard_iteratorINSA_11use_defaultEEES6_EEENSH_IJSG_SG_EEES6_PlJNSB_9not_fun_tINSB_14equal_to_valueIdEEEEEEE10hipError_tPvRmT3_T4_T5_T6_T7_T9_mT8_P12ihipStream_tbDpT10_ENKUlT_T0_E_clISt17integral_constantIbLb0EES1A_IbLb1EEEEDaS16_S17_EUlS16_E_NS1_11comp_targetILNS1_3genE5ELNS1_11target_archE942ELNS1_3gpuE9ELNS1_3repE0EEENS1_30default_config_static_selectorELNS0_4arch9wavefront6targetE0EEEvT1_.has_indirect_call, 0
	.section	.AMDGPU.csdata,"",@progbits
; Kernel info:
; codeLenInByte = 0
; TotalNumSgprs: 0
; NumVgprs: 0
; ScratchSize: 0
; MemoryBound: 0
; FloatMode: 240
; IeeeMode: 1
; LDSByteSize: 0 bytes/workgroup (compile time only)
; SGPRBlocks: 0
; VGPRBlocks: 0
; NumSGPRsForWavesPerEU: 1
; NumVGPRsForWavesPerEU: 1
; Occupancy: 16
; WaveLimiterHint : 0
; COMPUTE_PGM_RSRC2:SCRATCH_EN: 0
; COMPUTE_PGM_RSRC2:USER_SGPR: 2
; COMPUTE_PGM_RSRC2:TRAP_HANDLER: 0
; COMPUTE_PGM_RSRC2:TGID_X_EN: 1
; COMPUTE_PGM_RSRC2:TGID_Y_EN: 0
; COMPUTE_PGM_RSRC2:TGID_Z_EN: 0
; COMPUTE_PGM_RSRC2:TIDIG_COMP_CNT: 0
	.section	.text._ZN7rocprim17ROCPRIM_400000_NS6detail17trampoline_kernelINS0_14default_configENS1_25partition_config_selectorILNS1_17partition_subalgoE6EdNS0_10empty_typeEbEEZZNS1_14partition_implILS5_6ELb0ES3_mN6thrust23THRUST_200600_302600_NS6detail15normal_iteratorINSA_10device_ptrIdEEEEPS6_SG_NS0_5tupleIJNSA_16discard_iteratorINSA_11use_defaultEEES6_EEENSH_IJSG_SG_EEES6_PlJNSB_9not_fun_tINSB_14equal_to_valueIdEEEEEEE10hipError_tPvRmT3_T4_T5_T6_T7_T9_mT8_P12ihipStream_tbDpT10_ENKUlT_T0_E_clISt17integral_constantIbLb0EES1A_IbLb1EEEEDaS16_S17_EUlS16_E_NS1_11comp_targetILNS1_3genE4ELNS1_11target_archE910ELNS1_3gpuE8ELNS1_3repE0EEENS1_30default_config_static_selectorELNS0_4arch9wavefront6targetE0EEEvT1_,"axG",@progbits,_ZN7rocprim17ROCPRIM_400000_NS6detail17trampoline_kernelINS0_14default_configENS1_25partition_config_selectorILNS1_17partition_subalgoE6EdNS0_10empty_typeEbEEZZNS1_14partition_implILS5_6ELb0ES3_mN6thrust23THRUST_200600_302600_NS6detail15normal_iteratorINSA_10device_ptrIdEEEEPS6_SG_NS0_5tupleIJNSA_16discard_iteratorINSA_11use_defaultEEES6_EEENSH_IJSG_SG_EEES6_PlJNSB_9not_fun_tINSB_14equal_to_valueIdEEEEEEE10hipError_tPvRmT3_T4_T5_T6_T7_T9_mT8_P12ihipStream_tbDpT10_ENKUlT_T0_E_clISt17integral_constantIbLb0EES1A_IbLb1EEEEDaS16_S17_EUlS16_E_NS1_11comp_targetILNS1_3genE4ELNS1_11target_archE910ELNS1_3gpuE8ELNS1_3repE0EEENS1_30default_config_static_selectorELNS0_4arch9wavefront6targetE0EEEvT1_,comdat
	.protected	_ZN7rocprim17ROCPRIM_400000_NS6detail17trampoline_kernelINS0_14default_configENS1_25partition_config_selectorILNS1_17partition_subalgoE6EdNS0_10empty_typeEbEEZZNS1_14partition_implILS5_6ELb0ES3_mN6thrust23THRUST_200600_302600_NS6detail15normal_iteratorINSA_10device_ptrIdEEEEPS6_SG_NS0_5tupleIJNSA_16discard_iteratorINSA_11use_defaultEEES6_EEENSH_IJSG_SG_EEES6_PlJNSB_9not_fun_tINSB_14equal_to_valueIdEEEEEEE10hipError_tPvRmT3_T4_T5_T6_T7_T9_mT8_P12ihipStream_tbDpT10_ENKUlT_T0_E_clISt17integral_constantIbLb0EES1A_IbLb1EEEEDaS16_S17_EUlS16_E_NS1_11comp_targetILNS1_3genE4ELNS1_11target_archE910ELNS1_3gpuE8ELNS1_3repE0EEENS1_30default_config_static_selectorELNS0_4arch9wavefront6targetE0EEEvT1_ ; -- Begin function _ZN7rocprim17ROCPRIM_400000_NS6detail17trampoline_kernelINS0_14default_configENS1_25partition_config_selectorILNS1_17partition_subalgoE6EdNS0_10empty_typeEbEEZZNS1_14partition_implILS5_6ELb0ES3_mN6thrust23THRUST_200600_302600_NS6detail15normal_iteratorINSA_10device_ptrIdEEEEPS6_SG_NS0_5tupleIJNSA_16discard_iteratorINSA_11use_defaultEEES6_EEENSH_IJSG_SG_EEES6_PlJNSB_9not_fun_tINSB_14equal_to_valueIdEEEEEEE10hipError_tPvRmT3_T4_T5_T6_T7_T9_mT8_P12ihipStream_tbDpT10_ENKUlT_T0_E_clISt17integral_constantIbLb0EES1A_IbLb1EEEEDaS16_S17_EUlS16_E_NS1_11comp_targetILNS1_3genE4ELNS1_11target_archE910ELNS1_3gpuE8ELNS1_3repE0EEENS1_30default_config_static_selectorELNS0_4arch9wavefront6targetE0EEEvT1_
	.globl	_ZN7rocprim17ROCPRIM_400000_NS6detail17trampoline_kernelINS0_14default_configENS1_25partition_config_selectorILNS1_17partition_subalgoE6EdNS0_10empty_typeEbEEZZNS1_14partition_implILS5_6ELb0ES3_mN6thrust23THRUST_200600_302600_NS6detail15normal_iteratorINSA_10device_ptrIdEEEEPS6_SG_NS0_5tupleIJNSA_16discard_iteratorINSA_11use_defaultEEES6_EEENSH_IJSG_SG_EEES6_PlJNSB_9not_fun_tINSB_14equal_to_valueIdEEEEEEE10hipError_tPvRmT3_T4_T5_T6_T7_T9_mT8_P12ihipStream_tbDpT10_ENKUlT_T0_E_clISt17integral_constantIbLb0EES1A_IbLb1EEEEDaS16_S17_EUlS16_E_NS1_11comp_targetILNS1_3genE4ELNS1_11target_archE910ELNS1_3gpuE8ELNS1_3repE0EEENS1_30default_config_static_selectorELNS0_4arch9wavefront6targetE0EEEvT1_
	.p2align	8
	.type	_ZN7rocprim17ROCPRIM_400000_NS6detail17trampoline_kernelINS0_14default_configENS1_25partition_config_selectorILNS1_17partition_subalgoE6EdNS0_10empty_typeEbEEZZNS1_14partition_implILS5_6ELb0ES3_mN6thrust23THRUST_200600_302600_NS6detail15normal_iteratorINSA_10device_ptrIdEEEEPS6_SG_NS0_5tupleIJNSA_16discard_iteratorINSA_11use_defaultEEES6_EEENSH_IJSG_SG_EEES6_PlJNSB_9not_fun_tINSB_14equal_to_valueIdEEEEEEE10hipError_tPvRmT3_T4_T5_T6_T7_T9_mT8_P12ihipStream_tbDpT10_ENKUlT_T0_E_clISt17integral_constantIbLb0EES1A_IbLb1EEEEDaS16_S17_EUlS16_E_NS1_11comp_targetILNS1_3genE4ELNS1_11target_archE910ELNS1_3gpuE8ELNS1_3repE0EEENS1_30default_config_static_selectorELNS0_4arch9wavefront6targetE0EEEvT1_,@function
_ZN7rocprim17ROCPRIM_400000_NS6detail17trampoline_kernelINS0_14default_configENS1_25partition_config_selectorILNS1_17partition_subalgoE6EdNS0_10empty_typeEbEEZZNS1_14partition_implILS5_6ELb0ES3_mN6thrust23THRUST_200600_302600_NS6detail15normal_iteratorINSA_10device_ptrIdEEEEPS6_SG_NS0_5tupleIJNSA_16discard_iteratorINSA_11use_defaultEEES6_EEENSH_IJSG_SG_EEES6_PlJNSB_9not_fun_tINSB_14equal_to_valueIdEEEEEEE10hipError_tPvRmT3_T4_T5_T6_T7_T9_mT8_P12ihipStream_tbDpT10_ENKUlT_T0_E_clISt17integral_constantIbLb0EES1A_IbLb1EEEEDaS16_S17_EUlS16_E_NS1_11comp_targetILNS1_3genE4ELNS1_11target_archE910ELNS1_3gpuE8ELNS1_3repE0EEENS1_30default_config_static_selectorELNS0_4arch9wavefront6targetE0EEEvT1_: ; @_ZN7rocprim17ROCPRIM_400000_NS6detail17trampoline_kernelINS0_14default_configENS1_25partition_config_selectorILNS1_17partition_subalgoE6EdNS0_10empty_typeEbEEZZNS1_14partition_implILS5_6ELb0ES3_mN6thrust23THRUST_200600_302600_NS6detail15normal_iteratorINSA_10device_ptrIdEEEEPS6_SG_NS0_5tupleIJNSA_16discard_iteratorINSA_11use_defaultEEES6_EEENSH_IJSG_SG_EEES6_PlJNSB_9not_fun_tINSB_14equal_to_valueIdEEEEEEE10hipError_tPvRmT3_T4_T5_T6_T7_T9_mT8_P12ihipStream_tbDpT10_ENKUlT_T0_E_clISt17integral_constantIbLb0EES1A_IbLb1EEEEDaS16_S17_EUlS16_E_NS1_11comp_targetILNS1_3genE4ELNS1_11target_archE910ELNS1_3gpuE8ELNS1_3repE0EEENS1_30default_config_static_selectorELNS0_4arch9wavefront6targetE0EEEvT1_
; %bb.0:
	.section	.rodata,"a",@progbits
	.p2align	6, 0x0
	.amdhsa_kernel _ZN7rocprim17ROCPRIM_400000_NS6detail17trampoline_kernelINS0_14default_configENS1_25partition_config_selectorILNS1_17partition_subalgoE6EdNS0_10empty_typeEbEEZZNS1_14partition_implILS5_6ELb0ES3_mN6thrust23THRUST_200600_302600_NS6detail15normal_iteratorINSA_10device_ptrIdEEEEPS6_SG_NS0_5tupleIJNSA_16discard_iteratorINSA_11use_defaultEEES6_EEENSH_IJSG_SG_EEES6_PlJNSB_9not_fun_tINSB_14equal_to_valueIdEEEEEEE10hipError_tPvRmT3_T4_T5_T6_T7_T9_mT8_P12ihipStream_tbDpT10_ENKUlT_T0_E_clISt17integral_constantIbLb0EES1A_IbLb1EEEEDaS16_S17_EUlS16_E_NS1_11comp_targetILNS1_3genE4ELNS1_11target_archE910ELNS1_3gpuE8ELNS1_3repE0EEENS1_30default_config_static_selectorELNS0_4arch9wavefront6targetE0EEEvT1_
		.amdhsa_group_segment_fixed_size 0
		.amdhsa_private_segment_fixed_size 0
		.amdhsa_kernarg_size 136
		.amdhsa_user_sgpr_count 2
		.amdhsa_user_sgpr_dispatch_ptr 0
		.amdhsa_user_sgpr_queue_ptr 0
		.amdhsa_user_sgpr_kernarg_segment_ptr 1
		.amdhsa_user_sgpr_dispatch_id 0
		.amdhsa_user_sgpr_private_segment_size 0
		.amdhsa_wavefront_size32 1
		.amdhsa_uses_dynamic_stack 0
		.amdhsa_enable_private_segment 0
		.amdhsa_system_sgpr_workgroup_id_x 1
		.amdhsa_system_sgpr_workgroup_id_y 0
		.amdhsa_system_sgpr_workgroup_id_z 0
		.amdhsa_system_sgpr_workgroup_info 0
		.amdhsa_system_vgpr_workitem_id 0
		.amdhsa_next_free_vgpr 1
		.amdhsa_next_free_sgpr 1
		.amdhsa_reserve_vcc 0
		.amdhsa_float_round_mode_32 0
		.amdhsa_float_round_mode_16_64 0
		.amdhsa_float_denorm_mode_32 3
		.amdhsa_float_denorm_mode_16_64 3
		.amdhsa_fp16_overflow 0
		.amdhsa_workgroup_processor_mode 1
		.amdhsa_memory_ordered 1
		.amdhsa_forward_progress 1
		.amdhsa_inst_pref_size 0
		.amdhsa_round_robin_scheduling 0
		.amdhsa_exception_fp_ieee_invalid_op 0
		.amdhsa_exception_fp_denorm_src 0
		.amdhsa_exception_fp_ieee_div_zero 0
		.amdhsa_exception_fp_ieee_overflow 0
		.amdhsa_exception_fp_ieee_underflow 0
		.amdhsa_exception_fp_ieee_inexact 0
		.amdhsa_exception_int_div_zero 0
	.end_amdhsa_kernel
	.section	.text._ZN7rocprim17ROCPRIM_400000_NS6detail17trampoline_kernelINS0_14default_configENS1_25partition_config_selectorILNS1_17partition_subalgoE6EdNS0_10empty_typeEbEEZZNS1_14partition_implILS5_6ELb0ES3_mN6thrust23THRUST_200600_302600_NS6detail15normal_iteratorINSA_10device_ptrIdEEEEPS6_SG_NS0_5tupleIJNSA_16discard_iteratorINSA_11use_defaultEEES6_EEENSH_IJSG_SG_EEES6_PlJNSB_9not_fun_tINSB_14equal_to_valueIdEEEEEEE10hipError_tPvRmT3_T4_T5_T6_T7_T9_mT8_P12ihipStream_tbDpT10_ENKUlT_T0_E_clISt17integral_constantIbLb0EES1A_IbLb1EEEEDaS16_S17_EUlS16_E_NS1_11comp_targetILNS1_3genE4ELNS1_11target_archE910ELNS1_3gpuE8ELNS1_3repE0EEENS1_30default_config_static_selectorELNS0_4arch9wavefront6targetE0EEEvT1_,"axG",@progbits,_ZN7rocprim17ROCPRIM_400000_NS6detail17trampoline_kernelINS0_14default_configENS1_25partition_config_selectorILNS1_17partition_subalgoE6EdNS0_10empty_typeEbEEZZNS1_14partition_implILS5_6ELb0ES3_mN6thrust23THRUST_200600_302600_NS6detail15normal_iteratorINSA_10device_ptrIdEEEEPS6_SG_NS0_5tupleIJNSA_16discard_iteratorINSA_11use_defaultEEES6_EEENSH_IJSG_SG_EEES6_PlJNSB_9not_fun_tINSB_14equal_to_valueIdEEEEEEE10hipError_tPvRmT3_T4_T5_T6_T7_T9_mT8_P12ihipStream_tbDpT10_ENKUlT_T0_E_clISt17integral_constantIbLb0EES1A_IbLb1EEEEDaS16_S17_EUlS16_E_NS1_11comp_targetILNS1_3genE4ELNS1_11target_archE910ELNS1_3gpuE8ELNS1_3repE0EEENS1_30default_config_static_selectorELNS0_4arch9wavefront6targetE0EEEvT1_,comdat
.Lfunc_end1591:
	.size	_ZN7rocprim17ROCPRIM_400000_NS6detail17trampoline_kernelINS0_14default_configENS1_25partition_config_selectorILNS1_17partition_subalgoE6EdNS0_10empty_typeEbEEZZNS1_14partition_implILS5_6ELb0ES3_mN6thrust23THRUST_200600_302600_NS6detail15normal_iteratorINSA_10device_ptrIdEEEEPS6_SG_NS0_5tupleIJNSA_16discard_iteratorINSA_11use_defaultEEES6_EEENSH_IJSG_SG_EEES6_PlJNSB_9not_fun_tINSB_14equal_to_valueIdEEEEEEE10hipError_tPvRmT3_T4_T5_T6_T7_T9_mT8_P12ihipStream_tbDpT10_ENKUlT_T0_E_clISt17integral_constantIbLb0EES1A_IbLb1EEEEDaS16_S17_EUlS16_E_NS1_11comp_targetILNS1_3genE4ELNS1_11target_archE910ELNS1_3gpuE8ELNS1_3repE0EEENS1_30default_config_static_selectorELNS0_4arch9wavefront6targetE0EEEvT1_, .Lfunc_end1591-_ZN7rocprim17ROCPRIM_400000_NS6detail17trampoline_kernelINS0_14default_configENS1_25partition_config_selectorILNS1_17partition_subalgoE6EdNS0_10empty_typeEbEEZZNS1_14partition_implILS5_6ELb0ES3_mN6thrust23THRUST_200600_302600_NS6detail15normal_iteratorINSA_10device_ptrIdEEEEPS6_SG_NS0_5tupleIJNSA_16discard_iteratorINSA_11use_defaultEEES6_EEENSH_IJSG_SG_EEES6_PlJNSB_9not_fun_tINSB_14equal_to_valueIdEEEEEEE10hipError_tPvRmT3_T4_T5_T6_T7_T9_mT8_P12ihipStream_tbDpT10_ENKUlT_T0_E_clISt17integral_constantIbLb0EES1A_IbLb1EEEEDaS16_S17_EUlS16_E_NS1_11comp_targetILNS1_3genE4ELNS1_11target_archE910ELNS1_3gpuE8ELNS1_3repE0EEENS1_30default_config_static_selectorELNS0_4arch9wavefront6targetE0EEEvT1_
                                        ; -- End function
	.set _ZN7rocprim17ROCPRIM_400000_NS6detail17trampoline_kernelINS0_14default_configENS1_25partition_config_selectorILNS1_17partition_subalgoE6EdNS0_10empty_typeEbEEZZNS1_14partition_implILS5_6ELb0ES3_mN6thrust23THRUST_200600_302600_NS6detail15normal_iteratorINSA_10device_ptrIdEEEEPS6_SG_NS0_5tupleIJNSA_16discard_iteratorINSA_11use_defaultEEES6_EEENSH_IJSG_SG_EEES6_PlJNSB_9not_fun_tINSB_14equal_to_valueIdEEEEEEE10hipError_tPvRmT3_T4_T5_T6_T7_T9_mT8_P12ihipStream_tbDpT10_ENKUlT_T0_E_clISt17integral_constantIbLb0EES1A_IbLb1EEEEDaS16_S17_EUlS16_E_NS1_11comp_targetILNS1_3genE4ELNS1_11target_archE910ELNS1_3gpuE8ELNS1_3repE0EEENS1_30default_config_static_selectorELNS0_4arch9wavefront6targetE0EEEvT1_.num_vgpr, 0
	.set _ZN7rocprim17ROCPRIM_400000_NS6detail17trampoline_kernelINS0_14default_configENS1_25partition_config_selectorILNS1_17partition_subalgoE6EdNS0_10empty_typeEbEEZZNS1_14partition_implILS5_6ELb0ES3_mN6thrust23THRUST_200600_302600_NS6detail15normal_iteratorINSA_10device_ptrIdEEEEPS6_SG_NS0_5tupleIJNSA_16discard_iteratorINSA_11use_defaultEEES6_EEENSH_IJSG_SG_EEES6_PlJNSB_9not_fun_tINSB_14equal_to_valueIdEEEEEEE10hipError_tPvRmT3_T4_T5_T6_T7_T9_mT8_P12ihipStream_tbDpT10_ENKUlT_T0_E_clISt17integral_constantIbLb0EES1A_IbLb1EEEEDaS16_S17_EUlS16_E_NS1_11comp_targetILNS1_3genE4ELNS1_11target_archE910ELNS1_3gpuE8ELNS1_3repE0EEENS1_30default_config_static_selectorELNS0_4arch9wavefront6targetE0EEEvT1_.num_agpr, 0
	.set _ZN7rocprim17ROCPRIM_400000_NS6detail17trampoline_kernelINS0_14default_configENS1_25partition_config_selectorILNS1_17partition_subalgoE6EdNS0_10empty_typeEbEEZZNS1_14partition_implILS5_6ELb0ES3_mN6thrust23THRUST_200600_302600_NS6detail15normal_iteratorINSA_10device_ptrIdEEEEPS6_SG_NS0_5tupleIJNSA_16discard_iteratorINSA_11use_defaultEEES6_EEENSH_IJSG_SG_EEES6_PlJNSB_9not_fun_tINSB_14equal_to_valueIdEEEEEEE10hipError_tPvRmT3_T4_T5_T6_T7_T9_mT8_P12ihipStream_tbDpT10_ENKUlT_T0_E_clISt17integral_constantIbLb0EES1A_IbLb1EEEEDaS16_S17_EUlS16_E_NS1_11comp_targetILNS1_3genE4ELNS1_11target_archE910ELNS1_3gpuE8ELNS1_3repE0EEENS1_30default_config_static_selectorELNS0_4arch9wavefront6targetE0EEEvT1_.numbered_sgpr, 0
	.set _ZN7rocprim17ROCPRIM_400000_NS6detail17trampoline_kernelINS0_14default_configENS1_25partition_config_selectorILNS1_17partition_subalgoE6EdNS0_10empty_typeEbEEZZNS1_14partition_implILS5_6ELb0ES3_mN6thrust23THRUST_200600_302600_NS6detail15normal_iteratorINSA_10device_ptrIdEEEEPS6_SG_NS0_5tupleIJNSA_16discard_iteratorINSA_11use_defaultEEES6_EEENSH_IJSG_SG_EEES6_PlJNSB_9not_fun_tINSB_14equal_to_valueIdEEEEEEE10hipError_tPvRmT3_T4_T5_T6_T7_T9_mT8_P12ihipStream_tbDpT10_ENKUlT_T0_E_clISt17integral_constantIbLb0EES1A_IbLb1EEEEDaS16_S17_EUlS16_E_NS1_11comp_targetILNS1_3genE4ELNS1_11target_archE910ELNS1_3gpuE8ELNS1_3repE0EEENS1_30default_config_static_selectorELNS0_4arch9wavefront6targetE0EEEvT1_.num_named_barrier, 0
	.set _ZN7rocprim17ROCPRIM_400000_NS6detail17trampoline_kernelINS0_14default_configENS1_25partition_config_selectorILNS1_17partition_subalgoE6EdNS0_10empty_typeEbEEZZNS1_14partition_implILS5_6ELb0ES3_mN6thrust23THRUST_200600_302600_NS6detail15normal_iteratorINSA_10device_ptrIdEEEEPS6_SG_NS0_5tupleIJNSA_16discard_iteratorINSA_11use_defaultEEES6_EEENSH_IJSG_SG_EEES6_PlJNSB_9not_fun_tINSB_14equal_to_valueIdEEEEEEE10hipError_tPvRmT3_T4_T5_T6_T7_T9_mT8_P12ihipStream_tbDpT10_ENKUlT_T0_E_clISt17integral_constantIbLb0EES1A_IbLb1EEEEDaS16_S17_EUlS16_E_NS1_11comp_targetILNS1_3genE4ELNS1_11target_archE910ELNS1_3gpuE8ELNS1_3repE0EEENS1_30default_config_static_selectorELNS0_4arch9wavefront6targetE0EEEvT1_.private_seg_size, 0
	.set _ZN7rocprim17ROCPRIM_400000_NS6detail17trampoline_kernelINS0_14default_configENS1_25partition_config_selectorILNS1_17partition_subalgoE6EdNS0_10empty_typeEbEEZZNS1_14partition_implILS5_6ELb0ES3_mN6thrust23THRUST_200600_302600_NS6detail15normal_iteratorINSA_10device_ptrIdEEEEPS6_SG_NS0_5tupleIJNSA_16discard_iteratorINSA_11use_defaultEEES6_EEENSH_IJSG_SG_EEES6_PlJNSB_9not_fun_tINSB_14equal_to_valueIdEEEEEEE10hipError_tPvRmT3_T4_T5_T6_T7_T9_mT8_P12ihipStream_tbDpT10_ENKUlT_T0_E_clISt17integral_constantIbLb0EES1A_IbLb1EEEEDaS16_S17_EUlS16_E_NS1_11comp_targetILNS1_3genE4ELNS1_11target_archE910ELNS1_3gpuE8ELNS1_3repE0EEENS1_30default_config_static_selectorELNS0_4arch9wavefront6targetE0EEEvT1_.uses_vcc, 0
	.set _ZN7rocprim17ROCPRIM_400000_NS6detail17trampoline_kernelINS0_14default_configENS1_25partition_config_selectorILNS1_17partition_subalgoE6EdNS0_10empty_typeEbEEZZNS1_14partition_implILS5_6ELb0ES3_mN6thrust23THRUST_200600_302600_NS6detail15normal_iteratorINSA_10device_ptrIdEEEEPS6_SG_NS0_5tupleIJNSA_16discard_iteratorINSA_11use_defaultEEES6_EEENSH_IJSG_SG_EEES6_PlJNSB_9not_fun_tINSB_14equal_to_valueIdEEEEEEE10hipError_tPvRmT3_T4_T5_T6_T7_T9_mT8_P12ihipStream_tbDpT10_ENKUlT_T0_E_clISt17integral_constantIbLb0EES1A_IbLb1EEEEDaS16_S17_EUlS16_E_NS1_11comp_targetILNS1_3genE4ELNS1_11target_archE910ELNS1_3gpuE8ELNS1_3repE0EEENS1_30default_config_static_selectorELNS0_4arch9wavefront6targetE0EEEvT1_.uses_flat_scratch, 0
	.set _ZN7rocprim17ROCPRIM_400000_NS6detail17trampoline_kernelINS0_14default_configENS1_25partition_config_selectorILNS1_17partition_subalgoE6EdNS0_10empty_typeEbEEZZNS1_14partition_implILS5_6ELb0ES3_mN6thrust23THRUST_200600_302600_NS6detail15normal_iteratorINSA_10device_ptrIdEEEEPS6_SG_NS0_5tupleIJNSA_16discard_iteratorINSA_11use_defaultEEES6_EEENSH_IJSG_SG_EEES6_PlJNSB_9not_fun_tINSB_14equal_to_valueIdEEEEEEE10hipError_tPvRmT3_T4_T5_T6_T7_T9_mT8_P12ihipStream_tbDpT10_ENKUlT_T0_E_clISt17integral_constantIbLb0EES1A_IbLb1EEEEDaS16_S17_EUlS16_E_NS1_11comp_targetILNS1_3genE4ELNS1_11target_archE910ELNS1_3gpuE8ELNS1_3repE0EEENS1_30default_config_static_selectorELNS0_4arch9wavefront6targetE0EEEvT1_.has_dyn_sized_stack, 0
	.set _ZN7rocprim17ROCPRIM_400000_NS6detail17trampoline_kernelINS0_14default_configENS1_25partition_config_selectorILNS1_17partition_subalgoE6EdNS0_10empty_typeEbEEZZNS1_14partition_implILS5_6ELb0ES3_mN6thrust23THRUST_200600_302600_NS6detail15normal_iteratorINSA_10device_ptrIdEEEEPS6_SG_NS0_5tupleIJNSA_16discard_iteratorINSA_11use_defaultEEES6_EEENSH_IJSG_SG_EEES6_PlJNSB_9not_fun_tINSB_14equal_to_valueIdEEEEEEE10hipError_tPvRmT3_T4_T5_T6_T7_T9_mT8_P12ihipStream_tbDpT10_ENKUlT_T0_E_clISt17integral_constantIbLb0EES1A_IbLb1EEEEDaS16_S17_EUlS16_E_NS1_11comp_targetILNS1_3genE4ELNS1_11target_archE910ELNS1_3gpuE8ELNS1_3repE0EEENS1_30default_config_static_selectorELNS0_4arch9wavefront6targetE0EEEvT1_.has_recursion, 0
	.set _ZN7rocprim17ROCPRIM_400000_NS6detail17trampoline_kernelINS0_14default_configENS1_25partition_config_selectorILNS1_17partition_subalgoE6EdNS0_10empty_typeEbEEZZNS1_14partition_implILS5_6ELb0ES3_mN6thrust23THRUST_200600_302600_NS6detail15normal_iteratorINSA_10device_ptrIdEEEEPS6_SG_NS0_5tupleIJNSA_16discard_iteratorINSA_11use_defaultEEES6_EEENSH_IJSG_SG_EEES6_PlJNSB_9not_fun_tINSB_14equal_to_valueIdEEEEEEE10hipError_tPvRmT3_T4_T5_T6_T7_T9_mT8_P12ihipStream_tbDpT10_ENKUlT_T0_E_clISt17integral_constantIbLb0EES1A_IbLb1EEEEDaS16_S17_EUlS16_E_NS1_11comp_targetILNS1_3genE4ELNS1_11target_archE910ELNS1_3gpuE8ELNS1_3repE0EEENS1_30default_config_static_selectorELNS0_4arch9wavefront6targetE0EEEvT1_.has_indirect_call, 0
	.section	.AMDGPU.csdata,"",@progbits
; Kernel info:
; codeLenInByte = 0
; TotalNumSgprs: 0
; NumVgprs: 0
; ScratchSize: 0
; MemoryBound: 0
; FloatMode: 240
; IeeeMode: 1
; LDSByteSize: 0 bytes/workgroup (compile time only)
; SGPRBlocks: 0
; VGPRBlocks: 0
; NumSGPRsForWavesPerEU: 1
; NumVGPRsForWavesPerEU: 1
; Occupancy: 16
; WaveLimiterHint : 0
; COMPUTE_PGM_RSRC2:SCRATCH_EN: 0
; COMPUTE_PGM_RSRC2:USER_SGPR: 2
; COMPUTE_PGM_RSRC2:TRAP_HANDLER: 0
; COMPUTE_PGM_RSRC2:TGID_X_EN: 1
; COMPUTE_PGM_RSRC2:TGID_Y_EN: 0
; COMPUTE_PGM_RSRC2:TGID_Z_EN: 0
; COMPUTE_PGM_RSRC2:TIDIG_COMP_CNT: 0
	.section	.text._ZN7rocprim17ROCPRIM_400000_NS6detail17trampoline_kernelINS0_14default_configENS1_25partition_config_selectorILNS1_17partition_subalgoE6EdNS0_10empty_typeEbEEZZNS1_14partition_implILS5_6ELb0ES3_mN6thrust23THRUST_200600_302600_NS6detail15normal_iteratorINSA_10device_ptrIdEEEEPS6_SG_NS0_5tupleIJNSA_16discard_iteratorINSA_11use_defaultEEES6_EEENSH_IJSG_SG_EEES6_PlJNSB_9not_fun_tINSB_14equal_to_valueIdEEEEEEE10hipError_tPvRmT3_T4_T5_T6_T7_T9_mT8_P12ihipStream_tbDpT10_ENKUlT_T0_E_clISt17integral_constantIbLb0EES1A_IbLb1EEEEDaS16_S17_EUlS16_E_NS1_11comp_targetILNS1_3genE3ELNS1_11target_archE908ELNS1_3gpuE7ELNS1_3repE0EEENS1_30default_config_static_selectorELNS0_4arch9wavefront6targetE0EEEvT1_,"axG",@progbits,_ZN7rocprim17ROCPRIM_400000_NS6detail17trampoline_kernelINS0_14default_configENS1_25partition_config_selectorILNS1_17partition_subalgoE6EdNS0_10empty_typeEbEEZZNS1_14partition_implILS5_6ELb0ES3_mN6thrust23THRUST_200600_302600_NS6detail15normal_iteratorINSA_10device_ptrIdEEEEPS6_SG_NS0_5tupleIJNSA_16discard_iteratorINSA_11use_defaultEEES6_EEENSH_IJSG_SG_EEES6_PlJNSB_9not_fun_tINSB_14equal_to_valueIdEEEEEEE10hipError_tPvRmT3_T4_T5_T6_T7_T9_mT8_P12ihipStream_tbDpT10_ENKUlT_T0_E_clISt17integral_constantIbLb0EES1A_IbLb1EEEEDaS16_S17_EUlS16_E_NS1_11comp_targetILNS1_3genE3ELNS1_11target_archE908ELNS1_3gpuE7ELNS1_3repE0EEENS1_30default_config_static_selectorELNS0_4arch9wavefront6targetE0EEEvT1_,comdat
	.protected	_ZN7rocprim17ROCPRIM_400000_NS6detail17trampoline_kernelINS0_14default_configENS1_25partition_config_selectorILNS1_17partition_subalgoE6EdNS0_10empty_typeEbEEZZNS1_14partition_implILS5_6ELb0ES3_mN6thrust23THRUST_200600_302600_NS6detail15normal_iteratorINSA_10device_ptrIdEEEEPS6_SG_NS0_5tupleIJNSA_16discard_iteratorINSA_11use_defaultEEES6_EEENSH_IJSG_SG_EEES6_PlJNSB_9not_fun_tINSB_14equal_to_valueIdEEEEEEE10hipError_tPvRmT3_T4_T5_T6_T7_T9_mT8_P12ihipStream_tbDpT10_ENKUlT_T0_E_clISt17integral_constantIbLb0EES1A_IbLb1EEEEDaS16_S17_EUlS16_E_NS1_11comp_targetILNS1_3genE3ELNS1_11target_archE908ELNS1_3gpuE7ELNS1_3repE0EEENS1_30default_config_static_selectorELNS0_4arch9wavefront6targetE0EEEvT1_ ; -- Begin function _ZN7rocprim17ROCPRIM_400000_NS6detail17trampoline_kernelINS0_14default_configENS1_25partition_config_selectorILNS1_17partition_subalgoE6EdNS0_10empty_typeEbEEZZNS1_14partition_implILS5_6ELb0ES3_mN6thrust23THRUST_200600_302600_NS6detail15normal_iteratorINSA_10device_ptrIdEEEEPS6_SG_NS0_5tupleIJNSA_16discard_iteratorINSA_11use_defaultEEES6_EEENSH_IJSG_SG_EEES6_PlJNSB_9not_fun_tINSB_14equal_to_valueIdEEEEEEE10hipError_tPvRmT3_T4_T5_T6_T7_T9_mT8_P12ihipStream_tbDpT10_ENKUlT_T0_E_clISt17integral_constantIbLb0EES1A_IbLb1EEEEDaS16_S17_EUlS16_E_NS1_11comp_targetILNS1_3genE3ELNS1_11target_archE908ELNS1_3gpuE7ELNS1_3repE0EEENS1_30default_config_static_selectorELNS0_4arch9wavefront6targetE0EEEvT1_
	.globl	_ZN7rocprim17ROCPRIM_400000_NS6detail17trampoline_kernelINS0_14default_configENS1_25partition_config_selectorILNS1_17partition_subalgoE6EdNS0_10empty_typeEbEEZZNS1_14partition_implILS5_6ELb0ES3_mN6thrust23THRUST_200600_302600_NS6detail15normal_iteratorINSA_10device_ptrIdEEEEPS6_SG_NS0_5tupleIJNSA_16discard_iteratorINSA_11use_defaultEEES6_EEENSH_IJSG_SG_EEES6_PlJNSB_9not_fun_tINSB_14equal_to_valueIdEEEEEEE10hipError_tPvRmT3_T4_T5_T6_T7_T9_mT8_P12ihipStream_tbDpT10_ENKUlT_T0_E_clISt17integral_constantIbLb0EES1A_IbLb1EEEEDaS16_S17_EUlS16_E_NS1_11comp_targetILNS1_3genE3ELNS1_11target_archE908ELNS1_3gpuE7ELNS1_3repE0EEENS1_30default_config_static_selectorELNS0_4arch9wavefront6targetE0EEEvT1_
	.p2align	8
	.type	_ZN7rocprim17ROCPRIM_400000_NS6detail17trampoline_kernelINS0_14default_configENS1_25partition_config_selectorILNS1_17partition_subalgoE6EdNS0_10empty_typeEbEEZZNS1_14partition_implILS5_6ELb0ES3_mN6thrust23THRUST_200600_302600_NS6detail15normal_iteratorINSA_10device_ptrIdEEEEPS6_SG_NS0_5tupleIJNSA_16discard_iteratorINSA_11use_defaultEEES6_EEENSH_IJSG_SG_EEES6_PlJNSB_9not_fun_tINSB_14equal_to_valueIdEEEEEEE10hipError_tPvRmT3_T4_T5_T6_T7_T9_mT8_P12ihipStream_tbDpT10_ENKUlT_T0_E_clISt17integral_constantIbLb0EES1A_IbLb1EEEEDaS16_S17_EUlS16_E_NS1_11comp_targetILNS1_3genE3ELNS1_11target_archE908ELNS1_3gpuE7ELNS1_3repE0EEENS1_30default_config_static_selectorELNS0_4arch9wavefront6targetE0EEEvT1_,@function
_ZN7rocprim17ROCPRIM_400000_NS6detail17trampoline_kernelINS0_14default_configENS1_25partition_config_selectorILNS1_17partition_subalgoE6EdNS0_10empty_typeEbEEZZNS1_14partition_implILS5_6ELb0ES3_mN6thrust23THRUST_200600_302600_NS6detail15normal_iteratorINSA_10device_ptrIdEEEEPS6_SG_NS0_5tupleIJNSA_16discard_iteratorINSA_11use_defaultEEES6_EEENSH_IJSG_SG_EEES6_PlJNSB_9not_fun_tINSB_14equal_to_valueIdEEEEEEE10hipError_tPvRmT3_T4_T5_T6_T7_T9_mT8_P12ihipStream_tbDpT10_ENKUlT_T0_E_clISt17integral_constantIbLb0EES1A_IbLb1EEEEDaS16_S17_EUlS16_E_NS1_11comp_targetILNS1_3genE3ELNS1_11target_archE908ELNS1_3gpuE7ELNS1_3repE0EEENS1_30default_config_static_selectorELNS0_4arch9wavefront6targetE0EEEvT1_: ; @_ZN7rocprim17ROCPRIM_400000_NS6detail17trampoline_kernelINS0_14default_configENS1_25partition_config_selectorILNS1_17partition_subalgoE6EdNS0_10empty_typeEbEEZZNS1_14partition_implILS5_6ELb0ES3_mN6thrust23THRUST_200600_302600_NS6detail15normal_iteratorINSA_10device_ptrIdEEEEPS6_SG_NS0_5tupleIJNSA_16discard_iteratorINSA_11use_defaultEEES6_EEENSH_IJSG_SG_EEES6_PlJNSB_9not_fun_tINSB_14equal_to_valueIdEEEEEEE10hipError_tPvRmT3_T4_T5_T6_T7_T9_mT8_P12ihipStream_tbDpT10_ENKUlT_T0_E_clISt17integral_constantIbLb0EES1A_IbLb1EEEEDaS16_S17_EUlS16_E_NS1_11comp_targetILNS1_3genE3ELNS1_11target_archE908ELNS1_3gpuE7ELNS1_3repE0EEENS1_30default_config_static_selectorELNS0_4arch9wavefront6targetE0EEEvT1_
; %bb.0:
	.section	.rodata,"a",@progbits
	.p2align	6, 0x0
	.amdhsa_kernel _ZN7rocprim17ROCPRIM_400000_NS6detail17trampoline_kernelINS0_14default_configENS1_25partition_config_selectorILNS1_17partition_subalgoE6EdNS0_10empty_typeEbEEZZNS1_14partition_implILS5_6ELb0ES3_mN6thrust23THRUST_200600_302600_NS6detail15normal_iteratorINSA_10device_ptrIdEEEEPS6_SG_NS0_5tupleIJNSA_16discard_iteratorINSA_11use_defaultEEES6_EEENSH_IJSG_SG_EEES6_PlJNSB_9not_fun_tINSB_14equal_to_valueIdEEEEEEE10hipError_tPvRmT3_T4_T5_T6_T7_T9_mT8_P12ihipStream_tbDpT10_ENKUlT_T0_E_clISt17integral_constantIbLb0EES1A_IbLb1EEEEDaS16_S17_EUlS16_E_NS1_11comp_targetILNS1_3genE3ELNS1_11target_archE908ELNS1_3gpuE7ELNS1_3repE0EEENS1_30default_config_static_selectorELNS0_4arch9wavefront6targetE0EEEvT1_
		.amdhsa_group_segment_fixed_size 0
		.amdhsa_private_segment_fixed_size 0
		.amdhsa_kernarg_size 136
		.amdhsa_user_sgpr_count 2
		.amdhsa_user_sgpr_dispatch_ptr 0
		.amdhsa_user_sgpr_queue_ptr 0
		.amdhsa_user_sgpr_kernarg_segment_ptr 1
		.amdhsa_user_sgpr_dispatch_id 0
		.amdhsa_user_sgpr_private_segment_size 0
		.amdhsa_wavefront_size32 1
		.amdhsa_uses_dynamic_stack 0
		.amdhsa_enable_private_segment 0
		.amdhsa_system_sgpr_workgroup_id_x 1
		.amdhsa_system_sgpr_workgroup_id_y 0
		.amdhsa_system_sgpr_workgroup_id_z 0
		.amdhsa_system_sgpr_workgroup_info 0
		.amdhsa_system_vgpr_workitem_id 0
		.amdhsa_next_free_vgpr 1
		.amdhsa_next_free_sgpr 1
		.amdhsa_reserve_vcc 0
		.amdhsa_float_round_mode_32 0
		.amdhsa_float_round_mode_16_64 0
		.amdhsa_float_denorm_mode_32 3
		.amdhsa_float_denorm_mode_16_64 3
		.amdhsa_fp16_overflow 0
		.amdhsa_workgroup_processor_mode 1
		.amdhsa_memory_ordered 1
		.amdhsa_forward_progress 1
		.amdhsa_inst_pref_size 0
		.amdhsa_round_robin_scheduling 0
		.amdhsa_exception_fp_ieee_invalid_op 0
		.amdhsa_exception_fp_denorm_src 0
		.amdhsa_exception_fp_ieee_div_zero 0
		.amdhsa_exception_fp_ieee_overflow 0
		.amdhsa_exception_fp_ieee_underflow 0
		.amdhsa_exception_fp_ieee_inexact 0
		.amdhsa_exception_int_div_zero 0
	.end_amdhsa_kernel
	.section	.text._ZN7rocprim17ROCPRIM_400000_NS6detail17trampoline_kernelINS0_14default_configENS1_25partition_config_selectorILNS1_17partition_subalgoE6EdNS0_10empty_typeEbEEZZNS1_14partition_implILS5_6ELb0ES3_mN6thrust23THRUST_200600_302600_NS6detail15normal_iteratorINSA_10device_ptrIdEEEEPS6_SG_NS0_5tupleIJNSA_16discard_iteratorINSA_11use_defaultEEES6_EEENSH_IJSG_SG_EEES6_PlJNSB_9not_fun_tINSB_14equal_to_valueIdEEEEEEE10hipError_tPvRmT3_T4_T5_T6_T7_T9_mT8_P12ihipStream_tbDpT10_ENKUlT_T0_E_clISt17integral_constantIbLb0EES1A_IbLb1EEEEDaS16_S17_EUlS16_E_NS1_11comp_targetILNS1_3genE3ELNS1_11target_archE908ELNS1_3gpuE7ELNS1_3repE0EEENS1_30default_config_static_selectorELNS0_4arch9wavefront6targetE0EEEvT1_,"axG",@progbits,_ZN7rocprim17ROCPRIM_400000_NS6detail17trampoline_kernelINS0_14default_configENS1_25partition_config_selectorILNS1_17partition_subalgoE6EdNS0_10empty_typeEbEEZZNS1_14partition_implILS5_6ELb0ES3_mN6thrust23THRUST_200600_302600_NS6detail15normal_iteratorINSA_10device_ptrIdEEEEPS6_SG_NS0_5tupleIJNSA_16discard_iteratorINSA_11use_defaultEEES6_EEENSH_IJSG_SG_EEES6_PlJNSB_9not_fun_tINSB_14equal_to_valueIdEEEEEEE10hipError_tPvRmT3_T4_T5_T6_T7_T9_mT8_P12ihipStream_tbDpT10_ENKUlT_T0_E_clISt17integral_constantIbLb0EES1A_IbLb1EEEEDaS16_S17_EUlS16_E_NS1_11comp_targetILNS1_3genE3ELNS1_11target_archE908ELNS1_3gpuE7ELNS1_3repE0EEENS1_30default_config_static_selectorELNS0_4arch9wavefront6targetE0EEEvT1_,comdat
.Lfunc_end1592:
	.size	_ZN7rocprim17ROCPRIM_400000_NS6detail17trampoline_kernelINS0_14default_configENS1_25partition_config_selectorILNS1_17partition_subalgoE6EdNS0_10empty_typeEbEEZZNS1_14partition_implILS5_6ELb0ES3_mN6thrust23THRUST_200600_302600_NS6detail15normal_iteratorINSA_10device_ptrIdEEEEPS6_SG_NS0_5tupleIJNSA_16discard_iteratorINSA_11use_defaultEEES6_EEENSH_IJSG_SG_EEES6_PlJNSB_9not_fun_tINSB_14equal_to_valueIdEEEEEEE10hipError_tPvRmT3_T4_T5_T6_T7_T9_mT8_P12ihipStream_tbDpT10_ENKUlT_T0_E_clISt17integral_constantIbLb0EES1A_IbLb1EEEEDaS16_S17_EUlS16_E_NS1_11comp_targetILNS1_3genE3ELNS1_11target_archE908ELNS1_3gpuE7ELNS1_3repE0EEENS1_30default_config_static_selectorELNS0_4arch9wavefront6targetE0EEEvT1_, .Lfunc_end1592-_ZN7rocprim17ROCPRIM_400000_NS6detail17trampoline_kernelINS0_14default_configENS1_25partition_config_selectorILNS1_17partition_subalgoE6EdNS0_10empty_typeEbEEZZNS1_14partition_implILS5_6ELb0ES3_mN6thrust23THRUST_200600_302600_NS6detail15normal_iteratorINSA_10device_ptrIdEEEEPS6_SG_NS0_5tupleIJNSA_16discard_iteratorINSA_11use_defaultEEES6_EEENSH_IJSG_SG_EEES6_PlJNSB_9not_fun_tINSB_14equal_to_valueIdEEEEEEE10hipError_tPvRmT3_T4_T5_T6_T7_T9_mT8_P12ihipStream_tbDpT10_ENKUlT_T0_E_clISt17integral_constantIbLb0EES1A_IbLb1EEEEDaS16_S17_EUlS16_E_NS1_11comp_targetILNS1_3genE3ELNS1_11target_archE908ELNS1_3gpuE7ELNS1_3repE0EEENS1_30default_config_static_selectorELNS0_4arch9wavefront6targetE0EEEvT1_
                                        ; -- End function
	.set _ZN7rocprim17ROCPRIM_400000_NS6detail17trampoline_kernelINS0_14default_configENS1_25partition_config_selectorILNS1_17partition_subalgoE6EdNS0_10empty_typeEbEEZZNS1_14partition_implILS5_6ELb0ES3_mN6thrust23THRUST_200600_302600_NS6detail15normal_iteratorINSA_10device_ptrIdEEEEPS6_SG_NS0_5tupleIJNSA_16discard_iteratorINSA_11use_defaultEEES6_EEENSH_IJSG_SG_EEES6_PlJNSB_9not_fun_tINSB_14equal_to_valueIdEEEEEEE10hipError_tPvRmT3_T4_T5_T6_T7_T9_mT8_P12ihipStream_tbDpT10_ENKUlT_T0_E_clISt17integral_constantIbLb0EES1A_IbLb1EEEEDaS16_S17_EUlS16_E_NS1_11comp_targetILNS1_3genE3ELNS1_11target_archE908ELNS1_3gpuE7ELNS1_3repE0EEENS1_30default_config_static_selectorELNS0_4arch9wavefront6targetE0EEEvT1_.num_vgpr, 0
	.set _ZN7rocprim17ROCPRIM_400000_NS6detail17trampoline_kernelINS0_14default_configENS1_25partition_config_selectorILNS1_17partition_subalgoE6EdNS0_10empty_typeEbEEZZNS1_14partition_implILS5_6ELb0ES3_mN6thrust23THRUST_200600_302600_NS6detail15normal_iteratorINSA_10device_ptrIdEEEEPS6_SG_NS0_5tupleIJNSA_16discard_iteratorINSA_11use_defaultEEES6_EEENSH_IJSG_SG_EEES6_PlJNSB_9not_fun_tINSB_14equal_to_valueIdEEEEEEE10hipError_tPvRmT3_T4_T5_T6_T7_T9_mT8_P12ihipStream_tbDpT10_ENKUlT_T0_E_clISt17integral_constantIbLb0EES1A_IbLb1EEEEDaS16_S17_EUlS16_E_NS1_11comp_targetILNS1_3genE3ELNS1_11target_archE908ELNS1_3gpuE7ELNS1_3repE0EEENS1_30default_config_static_selectorELNS0_4arch9wavefront6targetE0EEEvT1_.num_agpr, 0
	.set _ZN7rocprim17ROCPRIM_400000_NS6detail17trampoline_kernelINS0_14default_configENS1_25partition_config_selectorILNS1_17partition_subalgoE6EdNS0_10empty_typeEbEEZZNS1_14partition_implILS5_6ELb0ES3_mN6thrust23THRUST_200600_302600_NS6detail15normal_iteratorINSA_10device_ptrIdEEEEPS6_SG_NS0_5tupleIJNSA_16discard_iteratorINSA_11use_defaultEEES6_EEENSH_IJSG_SG_EEES6_PlJNSB_9not_fun_tINSB_14equal_to_valueIdEEEEEEE10hipError_tPvRmT3_T4_T5_T6_T7_T9_mT8_P12ihipStream_tbDpT10_ENKUlT_T0_E_clISt17integral_constantIbLb0EES1A_IbLb1EEEEDaS16_S17_EUlS16_E_NS1_11comp_targetILNS1_3genE3ELNS1_11target_archE908ELNS1_3gpuE7ELNS1_3repE0EEENS1_30default_config_static_selectorELNS0_4arch9wavefront6targetE0EEEvT1_.numbered_sgpr, 0
	.set _ZN7rocprim17ROCPRIM_400000_NS6detail17trampoline_kernelINS0_14default_configENS1_25partition_config_selectorILNS1_17partition_subalgoE6EdNS0_10empty_typeEbEEZZNS1_14partition_implILS5_6ELb0ES3_mN6thrust23THRUST_200600_302600_NS6detail15normal_iteratorINSA_10device_ptrIdEEEEPS6_SG_NS0_5tupleIJNSA_16discard_iteratorINSA_11use_defaultEEES6_EEENSH_IJSG_SG_EEES6_PlJNSB_9not_fun_tINSB_14equal_to_valueIdEEEEEEE10hipError_tPvRmT3_T4_T5_T6_T7_T9_mT8_P12ihipStream_tbDpT10_ENKUlT_T0_E_clISt17integral_constantIbLb0EES1A_IbLb1EEEEDaS16_S17_EUlS16_E_NS1_11comp_targetILNS1_3genE3ELNS1_11target_archE908ELNS1_3gpuE7ELNS1_3repE0EEENS1_30default_config_static_selectorELNS0_4arch9wavefront6targetE0EEEvT1_.num_named_barrier, 0
	.set _ZN7rocprim17ROCPRIM_400000_NS6detail17trampoline_kernelINS0_14default_configENS1_25partition_config_selectorILNS1_17partition_subalgoE6EdNS0_10empty_typeEbEEZZNS1_14partition_implILS5_6ELb0ES3_mN6thrust23THRUST_200600_302600_NS6detail15normal_iteratorINSA_10device_ptrIdEEEEPS6_SG_NS0_5tupleIJNSA_16discard_iteratorINSA_11use_defaultEEES6_EEENSH_IJSG_SG_EEES6_PlJNSB_9not_fun_tINSB_14equal_to_valueIdEEEEEEE10hipError_tPvRmT3_T4_T5_T6_T7_T9_mT8_P12ihipStream_tbDpT10_ENKUlT_T0_E_clISt17integral_constantIbLb0EES1A_IbLb1EEEEDaS16_S17_EUlS16_E_NS1_11comp_targetILNS1_3genE3ELNS1_11target_archE908ELNS1_3gpuE7ELNS1_3repE0EEENS1_30default_config_static_selectorELNS0_4arch9wavefront6targetE0EEEvT1_.private_seg_size, 0
	.set _ZN7rocprim17ROCPRIM_400000_NS6detail17trampoline_kernelINS0_14default_configENS1_25partition_config_selectorILNS1_17partition_subalgoE6EdNS0_10empty_typeEbEEZZNS1_14partition_implILS5_6ELb0ES3_mN6thrust23THRUST_200600_302600_NS6detail15normal_iteratorINSA_10device_ptrIdEEEEPS6_SG_NS0_5tupleIJNSA_16discard_iteratorINSA_11use_defaultEEES6_EEENSH_IJSG_SG_EEES6_PlJNSB_9not_fun_tINSB_14equal_to_valueIdEEEEEEE10hipError_tPvRmT3_T4_T5_T6_T7_T9_mT8_P12ihipStream_tbDpT10_ENKUlT_T0_E_clISt17integral_constantIbLb0EES1A_IbLb1EEEEDaS16_S17_EUlS16_E_NS1_11comp_targetILNS1_3genE3ELNS1_11target_archE908ELNS1_3gpuE7ELNS1_3repE0EEENS1_30default_config_static_selectorELNS0_4arch9wavefront6targetE0EEEvT1_.uses_vcc, 0
	.set _ZN7rocprim17ROCPRIM_400000_NS6detail17trampoline_kernelINS0_14default_configENS1_25partition_config_selectorILNS1_17partition_subalgoE6EdNS0_10empty_typeEbEEZZNS1_14partition_implILS5_6ELb0ES3_mN6thrust23THRUST_200600_302600_NS6detail15normal_iteratorINSA_10device_ptrIdEEEEPS6_SG_NS0_5tupleIJNSA_16discard_iteratorINSA_11use_defaultEEES6_EEENSH_IJSG_SG_EEES6_PlJNSB_9not_fun_tINSB_14equal_to_valueIdEEEEEEE10hipError_tPvRmT3_T4_T5_T6_T7_T9_mT8_P12ihipStream_tbDpT10_ENKUlT_T0_E_clISt17integral_constantIbLb0EES1A_IbLb1EEEEDaS16_S17_EUlS16_E_NS1_11comp_targetILNS1_3genE3ELNS1_11target_archE908ELNS1_3gpuE7ELNS1_3repE0EEENS1_30default_config_static_selectorELNS0_4arch9wavefront6targetE0EEEvT1_.uses_flat_scratch, 0
	.set _ZN7rocprim17ROCPRIM_400000_NS6detail17trampoline_kernelINS0_14default_configENS1_25partition_config_selectorILNS1_17partition_subalgoE6EdNS0_10empty_typeEbEEZZNS1_14partition_implILS5_6ELb0ES3_mN6thrust23THRUST_200600_302600_NS6detail15normal_iteratorINSA_10device_ptrIdEEEEPS6_SG_NS0_5tupleIJNSA_16discard_iteratorINSA_11use_defaultEEES6_EEENSH_IJSG_SG_EEES6_PlJNSB_9not_fun_tINSB_14equal_to_valueIdEEEEEEE10hipError_tPvRmT3_T4_T5_T6_T7_T9_mT8_P12ihipStream_tbDpT10_ENKUlT_T0_E_clISt17integral_constantIbLb0EES1A_IbLb1EEEEDaS16_S17_EUlS16_E_NS1_11comp_targetILNS1_3genE3ELNS1_11target_archE908ELNS1_3gpuE7ELNS1_3repE0EEENS1_30default_config_static_selectorELNS0_4arch9wavefront6targetE0EEEvT1_.has_dyn_sized_stack, 0
	.set _ZN7rocprim17ROCPRIM_400000_NS6detail17trampoline_kernelINS0_14default_configENS1_25partition_config_selectorILNS1_17partition_subalgoE6EdNS0_10empty_typeEbEEZZNS1_14partition_implILS5_6ELb0ES3_mN6thrust23THRUST_200600_302600_NS6detail15normal_iteratorINSA_10device_ptrIdEEEEPS6_SG_NS0_5tupleIJNSA_16discard_iteratorINSA_11use_defaultEEES6_EEENSH_IJSG_SG_EEES6_PlJNSB_9not_fun_tINSB_14equal_to_valueIdEEEEEEE10hipError_tPvRmT3_T4_T5_T6_T7_T9_mT8_P12ihipStream_tbDpT10_ENKUlT_T0_E_clISt17integral_constantIbLb0EES1A_IbLb1EEEEDaS16_S17_EUlS16_E_NS1_11comp_targetILNS1_3genE3ELNS1_11target_archE908ELNS1_3gpuE7ELNS1_3repE0EEENS1_30default_config_static_selectorELNS0_4arch9wavefront6targetE0EEEvT1_.has_recursion, 0
	.set _ZN7rocprim17ROCPRIM_400000_NS6detail17trampoline_kernelINS0_14default_configENS1_25partition_config_selectorILNS1_17partition_subalgoE6EdNS0_10empty_typeEbEEZZNS1_14partition_implILS5_6ELb0ES3_mN6thrust23THRUST_200600_302600_NS6detail15normal_iteratorINSA_10device_ptrIdEEEEPS6_SG_NS0_5tupleIJNSA_16discard_iteratorINSA_11use_defaultEEES6_EEENSH_IJSG_SG_EEES6_PlJNSB_9not_fun_tINSB_14equal_to_valueIdEEEEEEE10hipError_tPvRmT3_T4_T5_T6_T7_T9_mT8_P12ihipStream_tbDpT10_ENKUlT_T0_E_clISt17integral_constantIbLb0EES1A_IbLb1EEEEDaS16_S17_EUlS16_E_NS1_11comp_targetILNS1_3genE3ELNS1_11target_archE908ELNS1_3gpuE7ELNS1_3repE0EEENS1_30default_config_static_selectorELNS0_4arch9wavefront6targetE0EEEvT1_.has_indirect_call, 0
	.section	.AMDGPU.csdata,"",@progbits
; Kernel info:
; codeLenInByte = 0
; TotalNumSgprs: 0
; NumVgprs: 0
; ScratchSize: 0
; MemoryBound: 0
; FloatMode: 240
; IeeeMode: 1
; LDSByteSize: 0 bytes/workgroup (compile time only)
; SGPRBlocks: 0
; VGPRBlocks: 0
; NumSGPRsForWavesPerEU: 1
; NumVGPRsForWavesPerEU: 1
; Occupancy: 16
; WaveLimiterHint : 0
; COMPUTE_PGM_RSRC2:SCRATCH_EN: 0
; COMPUTE_PGM_RSRC2:USER_SGPR: 2
; COMPUTE_PGM_RSRC2:TRAP_HANDLER: 0
; COMPUTE_PGM_RSRC2:TGID_X_EN: 1
; COMPUTE_PGM_RSRC2:TGID_Y_EN: 0
; COMPUTE_PGM_RSRC2:TGID_Z_EN: 0
; COMPUTE_PGM_RSRC2:TIDIG_COMP_CNT: 0
	.section	.text._ZN7rocprim17ROCPRIM_400000_NS6detail17trampoline_kernelINS0_14default_configENS1_25partition_config_selectorILNS1_17partition_subalgoE6EdNS0_10empty_typeEbEEZZNS1_14partition_implILS5_6ELb0ES3_mN6thrust23THRUST_200600_302600_NS6detail15normal_iteratorINSA_10device_ptrIdEEEEPS6_SG_NS0_5tupleIJNSA_16discard_iteratorINSA_11use_defaultEEES6_EEENSH_IJSG_SG_EEES6_PlJNSB_9not_fun_tINSB_14equal_to_valueIdEEEEEEE10hipError_tPvRmT3_T4_T5_T6_T7_T9_mT8_P12ihipStream_tbDpT10_ENKUlT_T0_E_clISt17integral_constantIbLb0EES1A_IbLb1EEEEDaS16_S17_EUlS16_E_NS1_11comp_targetILNS1_3genE2ELNS1_11target_archE906ELNS1_3gpuE6ELNS1_3repE0EEENS1_30default_config_static_selectorELNS0_4arch9wavefront6targetE0EEEvT1_,"axG",@progbits,_ZN7rocprim17ROCPRIM_400000_NS6detail17trampoline_kernelINS0_14default_configENS1_25partition_config_selectorILNS1_17partition_subalgoE6EdNS0_10empty_typeEbEEZZNS1_14partition_implILS5_6ELb0ES3_mN6thrust23THRUST_200600_302600_NS6detail15normal_iteratorINSA_10device_ptrIdEEEEPS6_SG_NS0_5tupleIJNSA_16discard_iteratorINSA_11use_defaultEEES6_EEENSH_IJSG_SG_EEES6_PlJNSB_9not_fun_tINSB_14equal_to_valueIdEEEEEEE10hipError_tPvRmT3_T4_T5_T6_T7_T9_mT8_P12ihipStream_tbDpT10_ENKUlT_T0_E_clISt17integral_constantIbLb0EES1A_IbLb1EEEEDaS16_S17_EUlS16_E_NS1_11comp_targetILNS1_3genE2ELNS1_11target_archE906ELNS1_3gpuE6ELNS1_3repE0EEENS1_30default_config_static_selectorELNS0_4arch9wavefront6targetE0EEEvT1_,comdat
	.protected	_ZN7rocprim17ROCPRIM_400000_NS6detail17trampoline_kernelINS0_14default_configENS1_25partition_config_selectorILNS1_17partition_subalgoE6EdNS0_10empty_typeEbEEZZNS1_14partition_implILS5_6ELb0ES3_mN6thrust23THRUST_200600_302600_NS6detail15normal_iteratorINSA_10device_ptrIdEEEEPS6_SG_NS0_5tupleIJNSA_16discard_iteratorINSA_11use_defaultEEES6_EEENSH_IJSG_SG_EEES6_PlJNSB_9not_fun_tINSB_14equal_to_valueIdEEEEEEE10hipError_tPvRmT3_T4_T5_T6_T7_T9_mT8_P12ihipStream_tbDpT10_ENKUlT_T0_E_clISt17integral_constantIbLb0EES1A_IbLb1EEEEDaS16_S17_EUlS16_E_NS1_11comp_targetILNS1_3genE2ELNS1_11target_archE906ELNS1_3gpuE6ELNS1_3repE0EEENS1_30default_config_static_selectorELNS0_4arch9wavefront6targetE0EEEvT1_ ; -- Begin function _ZN7rocprim17ROCPRIM_400000_NS6detail17trampoline_kernelINS0_14default_configENS1_25partition_config_selectorILNS1_17partition_subalgoE6EdNS0_10empty_typeEbEEZZNS1_14partition_implILS5_6ELb0ES3_mN6thrust23THRUST_200600_302600_NS6detail15normal_iteratorINSA_10device_ptrIdEEEEPS6_SG_NS0_5tupleIJNSA_16discard_iteratorINSA_11use_defaultEEES6_EEENSH_IJSG_SG_EEES6_PlJNSB_9not_fun_tINSB_14equal_to_valueIdEEEEEEE10hipError_tPvRmT3_T4_T5_T6_T7_T9_mT8_P12ihipStream_tbDpT10_ENKUlT_T0_E_clISt17integral_constantIbLb0EES1A_IbLb1EEEEDaS16_S17_EUlS16_E_NS1_11comp_targetILNS1_3genE2ELNS1_11target_archE906ELNS1_3gpuE6ELNS1_3repE0EEENS1_30default_config_static_selectorELNS0_4arch9wavefront6targetE0EEEvT1_
	.globl	_ZN7rocprim17ROCPRIM_400000_NS6detail17trampoline_kernelINS0_14default_configENS1_25partition_config_selectorILNS1_17partition_subalgoE6EdNS0_10empty_typeEbEEZZNS1_14partition_implILS5_6ELb0ES3_mN6thrust23THRUST_200600_302600_NS6detail15normal_iteratorINSA_10device_ptrIdEEEEPS6_SG_NS0_5tupleIJNSA_16discard_iteratorINSA_11use_defaultEEES6_EEENSH_IJSG_SG_EEES6_PlJNSB_9not_fun_tINSB_14equal_to_valueIdEEEEEEE10hipError_tPvRmT3_T4_T5_T6_T7_T9_mT8_P12ihipStream_tbDpT10_ENKUlT_T0_E_clISt17integral_constantIbLb0EES1A_IbLb1EEEEDaS16_S17_EUlS16_E_NS1_11comp_targetILNS1_3genE2ELNS1_11target_archE906ELNS1_3gpuE6ELNS1_3repE0EEENS1_30default_config_static_selectorELNS0_4arch9wavefront6targetE0EEEvT1_
	.p2align	8
	.type	_ZN7rocprim17ROCPRIM_400000_NS6detail17trampoline_kernelINS0_14default_configENS1_25partition_config_selectorILNS1_17partition_subalgoE6EdNS0_10empty_typeEbEEZZNS1_14partition_implILS5_6ELb0ES3_mN6thrust23THRUST_200600_302600_NS6detail15normal_iteratorINSA_10device_ptrIdEEEEPS6_SG_NS0_5tupleIJNSA_16discard_iteratorINSA_11use_defaultEEES6_EEENSH_IJSG_SG_EEES6_PlJNSB_9not_fun_tINSB_14equal_to_valueIdEEEEEEE10hipError_tPvRmT3_T4_T5_T6_T7_T9_mT8_P12ihipStream_tbDpT10_ENKUlT_T0_E_clISt17integral_constantIbLb0EES1A_IbLb1EEEEDaS16_S17_EUlS16_E_NS1_11comp_targetILNS1_3genE2ELNS1_11target_archE906ELNS1_3gpuE6ELNS1_3repE0EEENS1_30default_config_static_selectorELNS0_4arch9wavefront6targetE0EEEvT1_,@function
_ZN7rocprim17ROCPRIM_400000_NS6detail17trampoline_kernelINS0_14default_configENS1_25partition_config_selectorILNS1_17partition_subalgoE6EdNS0_10empty_typeEbEEZZNS1_14partition_implILS5_6ELb0ES3_mN6thrust23THRUST_200600_302600_NS6detail15normal_iteratorINSA_10device_ptrIdEEEEPS6_SG_NS0_5tupleIJNSA_16discard_iteratorINSA_11use_defaultEEES6_EEENSH_IJSG_SG_EEES6_PlJNSB_9not_fun_tINSB_14equal_to_valueIdEEEEEEE10hipError_tPvRmT3_T4_T5_T6_T7_T9_mT8_P12ihipStream_tbDpT10_ENKUlT_T0_E_clISt17integral_constantIbLb0EES1A_IbLb1EEEEDaS16_S17_EUlS16_E_NS1_11comp_targetILNS1_3genE2ELNS1_11target_archE906ELNS1_3gpuE6ELNS1_3repE0EEENS1_30default_config_static_selectorELNS0_4arch9wavefront6targetE0EEEvT1_: ; @_ZN7rocprim17ROCPRIM_400000_NS6detail17trampoline_kernelINS0_14default_configENS1_25partition_config_selectorILNS1_17partition_subalgoE6EdNS0_10empty_typeEbEEZZNS1_14partition_implILS5_6ELb0ES3_mN6thrust23THRUST_200600_302600_NS6detail15normal_iteratorINSA_10device_ptrIdEEEEPS6_SG_NS0_5tupleIJNSA_16discard_iteratorINSA_11use_defaultEEES6_EEENSH_IJSG_SG_EEES6_PlJNSB_9not_fun_tINSB_14equal_to_valueIdEEEEEEE10hipError_tPvRmT3_T4_T5_T6_T7_T9_mT8_P12ihipStream_tbDpT10_ENKUlT_T0_E_clISt17integral_constantIbLb0EES1A_IbLb1EEEEDaS16_S17_EUlS16_E_NS1_11comp_targetILNS1_3genE2ELNS1_11target_archE906ELNS1_3gpuE6ELNS1_3repE0EEENS1_30default_config_static_selectorELNS0_4arch9wavefront6targetE0EEEvT1_
; %bb.0:
	.section	.rodata,"a",@progbits
	.p2align	6, 0x0
	.amdhsa_kernel _ZN7rocprim17ROCPRIM_400000_NS6detail17trampoline_kernelINS0_14default_configENS1_25partition_config_selectorILNS1_17partition_subalgoE6EdNS0_10empty_typeEbEEZZNS1_14partition_implILS5_6ELb0ES3_mN6thrust23THRUST_200600_302600_NS6detail15normal_iteratorINSA_10device_ptrIdEEEEPS6_SG_NS0_5tupleIJNSA_16discard_iteratorINSA_11use_defaultEEES6_EEENSH_IJSG_SG_EEES6_PlJNSB_9not_fun_tINSB_14equal_to_valueIdEEEEEEE10hipError_tPvRmT3_T4_T5_T6_T7_T9_mT8_P12ihipStream_tbDpT10_ENKUlT_T0_E_clISt17integral_constantIbLb0EES1A_IbLb1EEEEDaS16_S17_EUlS16_E_NS1_11comp_targetILNS1_3genE2ELNS1_11target_archE906ELNS1_3gpuE6ELNS1_3repE0EEENS1_30default_config_static_selectorELNS0_4arch9wavefront6targetE0EEEvT1_
		.amdhsa_group_segment_fixed_size 0
		.amdhsa_private_segment_fixed_size 0
		.amdhsa_kernarg_size 136
		.amdhsa_user_sgpr_count 2
		.amdhsa_user_sgpr_dispatch_ptr 0
		.amdhsa_user_sgpr_queue_ptr 0
		.amdhsa_user_sgpr_kernarg_segment_ptr 1
		.amdhsa_user_sgpr_dispatch_id 0
		.amdhsa_user_sgpr_private_segment_size 0
		.amdhsa_wavefront_size32 1
		.amdhsa_uses_dynamic_stack 0
		.amdhsa_enable_private_segment 0
		.amdhsa_system_sgpr_workgroup_id_x 1
		.amdhsa_system_sgpr_workgroup_id_y 0
		.amdhsa_system_sgpr_workgroup_id_z 0
		.amdhsa_system_sgpr_workgroup_info 0
		.amdhsa_system_vgpr_workitem_id 0
		.amdhsa_next_free_vgpr 1
		.amdhsa_next_free_sgpr 1
		.amdhsa_reserve_vcc 0
		.amdhsa_float_round_mode_32 0
		.amdhsa_float_round_mode_16_64 0
		.amdhsa_float_denorm_mode_32 3
		.amdhsa_float_denorm_mode_16_64 3
		.amdhsa_fp16_overflow 0
		.amdhsa_workgroup_processor_mode 1
		.amdhsa_memory_ordered 1
		.amdhsa_forward_progress 1
		.amdhsa_inst_pref_size 0
		.amdhsa_round_robin_scheduling 0
		.amdhsa_exception_fp_ieee_invalid_op 0
		.amdhsa_exception_fp_denorm_src 0
		.amdhsa_exception_fp_ieee_div_zero 0
		.amdhsa_exception_fp_ieee_overflow 0
		.amdhsa_exception_fp_ieee_underflow 0
		.amdhsa_exception_fp_ieee_inexact 0
		.amdhsa_exception_int_div_zero 0
	.end_amdhsa_kernel
	.section	.text._ZN7rocprim17ROCPRIM_400000_NS6detail17trampoline_kernelINS0_14default_configENS1_25partition_config_selectorILNS1_17partition_subalgoE6EdNS0_10empty_typeEbEEZZNS1_14partition_implILS5_6ELb0ES3_mN6thrust23THRUST_200600_302600_NS6detail15normal_iteratorINSA_10device_ptrIdEEEEPS6_SG_NS0_5tupleIJNSA_16discard_iteratorINSA_11use_defaultEEES6_EEENSH_IJSG_SG_EEES6_PlJNSB_9not_fun_tINSB_14equal_to_valueIdEEEEEEE10hipError_tPvRmT3_T4_T5_T6_T7_T9_mT8_P12ihipStream_tbDpT10_ENKUlT_T0_E_clISt17integral_constantIbLb0EES1A_IbLb1EEEEDaS16_S17_EUlS16_E_NS1_11comp_targetILNS1_3genE2ELNS1_11target_archE906ELNS1_3gpuE6ELNS1_3repE0EEENS1_30default_config_static_selectorELNS0_4arch9wavefront6targetE0EEEvT1_,"axG",@progbits,_ZN7rocprim17ROCPRIM_400000_NS6detail17trampoline_kernelINS0_14default_configENS1_25partition_config_selectorILNS1_17partition_subalgoE6EdNS0_10empty_typeEbEEZZNS1_14partition_implILS5_6ELb0ES3_mN6thrust23THRUST_200600_302600_NS6detail15normal_iteratorINSA_10device_ptrIdEEEEPS6_SG_NS0_5tupleIJNSA_16discard_iteratorINSA_11use_defaultEEES6_EEENSH_IJSG_SG_EEES6_PlJNSB_9not_fun_tINSB_14equal_to_valueIdEEEEEEE10hipError_tPvRmT3_T4_T5_T6_T7_T9_mT8_P12ihipStream_tbDpT10_ENKUlT_T0_E_clISt17integral_constantIbLb0EES1A_IbLb1EEEEDaS16_S17_EUlS16_E_NS1_11comp_targetILNS1_3genE2ELNS1_11target_archE906ELNS1_3gpuE6ELNS1_3repE0EEENS1_30default_config_static_selectorELNS0_4arch9wavefront6targetE0EEEvT1_,comdat
.Lfunc_end1593:
	.size	_ZN7rocprim17ROCPRIM_400000_NS6detail17trampoline_kernelINS0_14default_configENS1_25partition_config_selectorILNS1_17partition_subalgoE6EdNS0_10empty_typeEbEEZZNS1_14partition_implILS5_6ELb0ES3_mN6thrust23THRUST_200600_302600_NS6detail15normal_iteratorINSA_10device_ptrIdEEEEPS6_SG_NS0_5tupleIJNSA_16discard_iteratorINSA_11use_defaultEEES6_EEENSH_IJSG_SG_EEES6_PlJNSB_9not_fun_tINSB_14equal_to_valueIdEEEEEEE10hipError_tPvRmT3_T4_T5_T6_T7_T9_mT8_P12ihipStream_tbDpT10_ENKUlT_T0_E_clISt17integral_constantIbLb0EES1A_IbLb1EEEEDaS16_S17_EUlS16_E_NS1_11comp_targetILNS1_3genE2ELNS1_11target_archE906ELNS1_3gpuE6ELNS1_3repE0EEENS1_30default_config_static_selectorELNS0_4arch9wavefront6targetE0EEEvT1_, .Lfunc_end1593-_ZN7rocprim17ROCPRIM_400000_NS6detail17trampoline_kernelINS0_14default_configENS1_25partition_config_selectorILNS1_17partition_subalgoE6EdNS0_10empty_typeEbEEZZNS1_14partition_implILS5_6ELb0ES3_mN6thrust23THRUST_200600_302600_NS6detail15normal_iteratorINSA_10device_ptrIdEEEEPS6_SG_NS0_5tupleIJNSA_16discard_iteratorINSA_11use_defaultEEES6_EEENSH_IJSG_SG_EEES6_PlJNSB_9not_fun_tINSB_14equal_to_valueIdEEEEEEE10hipError_tPvRmT3_T4_T5_T6_T7_T9_mT8_P12ihipStream_tbDpT10_ENKUlT_T0_E_clISt17integral_constantIbLb0EES1A_IbLb1EEEEDaS16_S17_EUlS16_E_NS1_11comp_targetILNS1_3genE2ELNS1_11target_archE906ELNS1_3gpuE6ELNS1_3repE0EEENS1_30default_config_static_selectorELNS0_4arch9wavefront6targetE0EEEvT1_
                                        ; -- End function
	.set _ZN7rocprim17ROCPRIM_400000_NS6detail17trampoline_kernelINS0_14default_configENS1_25partition_config_selectorILNS1_17partition_subalgoE6EdNS0_10empty_typeEbEEZZNS1_14partition_implILS5_6ELb0ES3_mN6thrust23THRUST_200600_302600_NS6detail15normal_iteratorINSA_10device_ptrIdEEEEPS6_SG_NS0_5tupleIJNSA_16discard_iteratorINSA_11use_defaultEEES6_EEENSH_IJSG_SG_EEES6_PlJNSB_9not_fun_tINSB_14equal_to_valueIdEEEEEEE10hipError_tPvRmT3_T4_T5_T6_T7_T9_mT8_P12ihipStream_tbDpT10_ENKUlT_T0_E_clISt17integral_constantIbLb0EES1A_IbLb1EEEEDaS16_S17_EUlS16_E_NS1_11comp_targetILNS1_3genE2ELNS1_11target_archE906ELNS1_3gpuE6ELNS1_3repE0EEENS1_30default_config_static_selectorELNS0_4arch9wavefront6targetE0EEEvT1_.num_vgpr, 0
	.set _ZN7rocprim17ROCPRIM_400000_NS6detail17trampoline_kernelINS0_14default_configENS1_25partition_config_selectorILNS1_17partition_subalgoE6EdNS0_10empty_typeEbEEZZNS1_14partition_implILS5_6ELb0ES3_mN6thrust23THRUST_200600_302600_NS6detail15normal_iteratorINSA_10device_ptrIdEEEEPS6_SG_NS0_5tupleIJNSA_16discard_iteratorINSA_11use_defaultEEES6_EEENSH_IJSG_SG_EEES6_PlJNSB_9not_fun_tINSB_14equal_to_valueIdEEEEEEE10hipError_tPvRmT3_T4_T5_T6_T7_T9_mT8_P12ihipStream_tbDpT10_ENKUlT_T0_E_clISt17integral_constantIbLb0EES1A_IbLb1EEEEDaS16_S17_EUlS16_E_NS1_11comp_targetILNS1_3genE2ELNS1_11target_archE906ELNS1_3gpuE6ELNS1_3repE0EEENS1_30default_config_static_selectorELNS0_4arch9wavefront6targetE0EEEvT1_.num_agpr, 0
	.set _ZN7rocprim17ROCPRIM_400000_NS6detail17trampoline_kernelINS0_14default_configENS1_25partition_config_selectorILNS1_17partition_subalgoE6EdNS0_10empty_typeEbEEZZNS1_14partition_implILS5_6ELb0ES3_mN6thrust23THRUST_200600_302600_NS6detail15normal_iteratorINSA_10device_ptrIdEEEEPS6_SG_NS0_5tupleIJNSA_16discard_iteratorINSA_11use_defaultEEES6_EEENSH_IJSG_SG_EEES6_PlJNSB_9not_fun_tINSB_14equal_to_valueIdEEEEEEE10hipError_tPvRmT3_T4_T5_T6_T7_T9_mT8_P12ihipStream_tbDpT10_ENKUlT_T0_E_clISt17integral_constantIbLb0EES1A_IbLb1EEEEDaS16_S17_EUlS16_E_NS1_11comp_targetILNS1_3genE2ELNS1_11target_archE906ELNS1_3gpuE6ELNS1_3repE0EEENS1_30default_config_static_selectorELNS0_4arch9wavefront6targetE0EEEvT1_.numbered_sgpr, 0
	.set _ZN7rocprim17ROCPRIM_400000_NS6detail17trampoline_kernelINS0_14default_configENS1_25partition_config_selectorILNS1_17partition_subalgoE6EdNS0_10empty_typeEbEEZZNS1_14partition_implILS5_6ELb0ES3_mN6thrust23THRUST_200600_302600_NS6detail15normal_iteratorINSA_10device_ptrIdEEEEPS6_SG_NS0_5tupleIJNSA_16discard_iteratorINSA_11use_defaultEEES6_EEENSH_IJSG_SG_EEES6_PlJNSB_9not_fun_tINSB_14equal_to_valueIdEEEEEEE10hipError_tPvRmT3_T4_T5_T6_T7_T9_mT8_P12ihipStream_tbDpT10_ENKUlT_T0_E_clISt17integral_constantIbLb0EES1A_IbLb1EEEEDaS16_S17_EUlS16_E_NS1_11comp_targetILNS1_3genE2ELNS1_11target_archE906ELNS1_3gpuE6ELNS1_3repE0EEENS1_30default_config_static_selectorELNS0_4arch9wavefront6targetE0EEEvT1_.num_named_barrier, 0
	.set _ZN7rocprim17ROCPRIM_400000_NS6detail17trampoline_kernelINS0_14default_configENS1_25partition_config_selectorILNS1_17partition_subalgoE6EdNS0_10empty_typeEbEEZZNS1_14partition_implILS5_6ELb0ES3_mN6thrust23THRUST_200600_302600_NS6detail15normal_iteratorINSA_10device_ptrIdEEEEPS6_SG_NS0_5tupleIJNSA_16discard_iteratorINSA_11use_defaultEEES6_EEENSH_IJSG_SG_EEES6_PlJNSB_9not_fun_tINSB_14equal_to_valueIdEEEEEEE10hipError_tPvRmT3_T4_T5_T6_T7_T9_mT8_P12ihipStream_tbDpT10_ENKUlT_T0_E_clISt17integral_constantIbLb0EES1A_IbLb1EEEEDaS16_S17_EUlS16_E_NS1_11comp_targetILNS1_3genE2ELNS1_11target_archE906ELNS1_3gpuE6ELNS1_3repE0EEENS1_30default_config_static_selectorELNS0_4arch9wavefront6targetE0EEEvT1_.private_seg_size, 0
	.set _ZN7rocprim17ROCPRIM_400000_NS6detail17trampoline_kernelINS0_14default_configENS1_25partition_config_selectorILNS1_17partition_subalgoE6EdNS0_10empty_typeEbEEZZNS1_14partition_implILS5_6ELb0ES3_mN6thrust23THRUST_200600_302600_NS6detail15normal_iteratorINSA_10device_ptrIdEEEEPS6_SG_NS0_5tupleIJNSA_16discard_iteratorINSA_11use_defaultEEES6_EEENSH_IJSG_SG_EEES6_PlJNSB_9not_fun_tINSB_14equal_to_valueIdEEEEEEE10hipError_tPvRmT3_T4_T5_T6_T7_T9_mT8_P12ihipStream_tbDpT10_ENKUlT_T0_E_clISt17integral_constantIbLb0EES1A_IbLb1EEEEDaS16_S17_EUlS16_E_NS1_11comp_targetILNS1_3genE2ELNS1_11target_archE906ELNS1_3gpuE6ELNS1_3repE0EEENS1_30default_config_static_selectorELNS0_4arch9wavefront6targetE0EEEvT1_.uses_vcc, 0
	.set _ZN7rocprim17ROCPRIM_400000_NS6detail17trampoline_kernelINS0_14default_configENS1_25partition_config_selectorILNS1_17partition_subalgoE6EdNS0_10empty_typeEbEEZZNS1_14partition_implILS5_6ELb0ES3_mN6thrust23THRUST_200600_302600_NS6detail15normal_iteratorINSA_10device_ptrIdEEEEPS6_SG_NS0_5tupleIJNSA_16discard_iteratorINSA_11use_defaultEEES6_EEENSH_IJSG_SG_EEES6_PlJNSB_9not_fun_tINSB_14equal_to_valueIdEEEEEEE10hipError_tPvRmT3_T4_T5_T6_T7_T9_mT8_P12ihipStream_tbDpT10_ENKUlT_T0_E_clISt17integral_constantIbLb0EES1A_IbLb1EEEEDaS16_S17_EUlS16_E_NS1_11comp_targetILNS1_3genE2ELNS1_11target_archE906ELNS1_3gpuE6ELNS1_3repE0EEENS1_30default_config_static_selectorELNS0_4arch9wavefront6targetE0EEEvT1_.uses_flat_scratch, 0
	.set _ZN7rocprim17ROCPRIM_400000_NS6detail17trampoline_kernelINS0_14default_configENS1_25partition_config_selectorILNS1_17partition_subalgoE6EdNS0_10empty_typeEbEEZZNS1_14partition_implILS5_6ELb0ES3_mN6thrust23THRUST_200600_302600_NS6detail15normal_iteratorINSA_10device_ptrIdEEEEPS6_SG_NS0_5tupleIJNSA_16discard_iteratorINSA_11use_defaultEEES6_EEENSH_IJSG_SG_EEES6_PlJNSB_9not_fun_tINSB_14equal_to_valueIdEEEEEEE10hipError_tPvRmT3_T4_T5_T6_T7_T9_mT8_P12ihipStream_tbDpT10_ENKUlT_T0_E_clISt17integral_constantIbLb0EES1A_IbLb1EEEEDaS16_S17_EUlS16_E_NS1_11comp_targetILNS1_3genE2ELNS1_11target_archE906ELNS1_3gpuE6ELNS1_3repE0EEENS1_30default_config_static_selectorELNS0_4arch9wavefront6targetE0EEEvT1_.has_dyn_sized_stack, 0
	.set _ZN7rocprim17ROCPRIM_400000_NS6detail17trampoline_kernelINS0_14default_configENS1_25partition_config_selectorILNS1_17partition_subalgoE6EdNS0_10empty_typeEbEEZZNS1_14partition_implILS5_6ELb0ES3_mN6thrust23THRUST_200600_302600_NS6detail15normal_iteratorINSA_10device_ptrIdEEEEPS6_SG_NS0_5tupleIJNSA_16discard_iteratorINSA_11use_defaultEEES6_EEENSH_IJSG_SG_EEES6_PlJNSB_9not_fun_tINSB_14equal_to_valueIdEEEEEEE10hipError_tPvRmT3_T4_T5_T6_T7_T9_mT8_P12ihipStream_tbDpT10_ENKUlT_T0_E_clISt17integral_constantIbLb0EES1A_IbLb1EEEEDaS16_S17_EUlS16_E_NS1_11comp_targetILNS1_3genE2ELNS1_11target_archE906ELNS1_3gpuE6ELNS1_3repE0EEENS1_30default_config_static_selectorELNS0_4arch9wavefront6targetE0EEEvT1_.has_recursion, 0
	.set _ZN7rocprim17ROCPRIM_400000_NS6detail17trampoline_kernelINS0_14default_configENS1_25partition_config_selectorILNS1_17partition_subalgoE6EdNS0_10empty_typeEbEEZZNS1_14partition_implILS5_6ELb0ES3_mN6thrust23THRUST_200600_302600_NS6detail15normal_iteratorINSA_10device_ptrIdEEEEPS6_SG_NS0_5tupleIJNSA_16discard_iteratorINSA_11use_defaultEEES6_EEENSH_IJSG_SG_EEES6_PlJNSB_9not_fun_tINSB_14equal_to_valueIdEEEEEEE10hipError_tPvRmT3_T4_T5_T6_T7_T9_mT8_P12ihipStream_tbDpT10_ENKUlT_T0_E_clISt17integral_constantIbLb0EES1A_IbLb1EEEEDaS16_S17_EUlS16_E_NS1_11comp_targetILNS1_3genE2ELNS1_11target_archE906ELNS1_3gpuE6ELNS1_3repE0EEENS1_30default_config_static_selectorELNS0_4arch9wavefront6targetE0EEEvT1_.has_indirect_call, 0
	.section	.AMDGPU.csdata,"",@progbits
; Kernel info:
; codeLenInByte = 0
; TotalNumSgprs: 0
; NumVgprs: 0
; ScratchSize: 0
; MemoryBound: 0
; FloatMode: 240
; IeeeMode: 1
; LDSByteSize: 0 bytes/workgroup (compile time only)
; SGPRBlocks: 0
; VGPRBlocks: 0
; NumSGPRsForWavesPerEU: 1
; NumVGPRsForWavesPerEU: 1
; Occupancy: 16
; WaveLimiterHint : 0
; COMPUTE_PGM_RSRC2:SCRATCH_EN: 0
; COMPUTE_PGM_RSRC2:USER_SGPR: 2
; COMPUTE_PGM_RSRC2:TRAP_HANDLER: 0
; COMPUTE_PGM_RSRC2:TGID_X_EN: 1
; COMPUTE_PGM_RSRC2:TGID_Y_EN: 0
; COMPUTE_PGM_RSRC2:TGID_Z_EN: 0
; COMPUTE_PGM_RSRC2:TIDIG_COMP_CNT: 0
	.section	.text._ZN7rocprim17ROCPRIM_400000_NS6detail17trampoline_kernelINS0_14default_configENS1_25partition_config_selectorILNS1_17partition_subalgoE6EdNS0_10empty_typeEbEEZZNS1_14partition_implILS5_6ELb0ES3_mN6thrust23THRUST_200600_302600_NS6detail15normal_iteratorINSA_10device_ptrIdEEEEPS6_SG_NS0_5tupleIJNSA_16discard_iteratorINSA_11use_defaultEEES6_EEENSH_IJSG_SG_EEES6_PlJNSB_9not_fun_tINSB_14equal_to_valueIdEEEEEEE10hipError_tPvRmT3_T4_T5_T6_T7_T9_mT8_P12ihipStream_tbDpT10_ENKUlT_T0_E_clISt17integral_constantIbLb0EES1A_IbLb1EEEEDaS16_S17_EUlS16_E_NS1_11comp_targetILNS1_3genE10ELNS1_11target_archE1200ELNS1_3gpuE4ELNS1_3repE0EEENS1_30default_config_static_selectorELNS0_4arch9wavefront6targetE0EEEvT1_,"axG",@progbits,_ZN7rocprim17ROCPRIM_400000_NS6detail17trampoline_kernelINS0_14default_configENS1_25partition_config_selectorILNS1_17partition_subalgoE6EdNS0_10empty_typeEbEEZZNS1_14partition_implILS5_6ELb0ES3_mN6thrust23THRUST_200600_302600_NS6detail15normal_iteratorINSA_10device_ptrIdEEEEPS6_SG_NS0_5tupleIJNSA_16discard_iteratorINSA_11use_defaultEEES6_EEENSH_IJSG_SG_EEES6_PlJNSB_9not_fun_tINSB_14equal_to_valueIdEEEEEEE10hipError_tPvRmT3_T4_T5_T6_T7_T9_mT8_P12ihipStream_tbDpT10_ENKUlT_T0_E_clISt17integral_constantIbLb0EES1A_IbLb1EEEEDaS16_S17_EUlS16_E_NS1_11comp_targetILNS1_3genE10ELNS1_11target_archE1200ELNS1_3gpuE4ELNS1_3repE0EEENS1_30default_config_static_selectorELNS0_4arch9wavefront6targetE0EEEvT1_,comdat
	.protected	_ZN7rocprim17ROCPRIM_400000_NS6detail17trampoline_kernelINS0_14default_configENS1_25partition_config_selectorILNS1_17partition_subalgoE6EdNS0_10empty_typeEbEEZZNS1_14partition_implILS5_6ELb0ES3_mN6thrust23THRUST_200600_302600_NS6detail15normal_iteratorINSA_10device_ptrIdEEEEPS6_SG_NS0_5tupleIJNSA_16discard_iteratorINSA_11use_defaultEEES6_EEENSH_IJSG_SG_EEES6_PlJNSB_9not_fun_tINSB_14equal_to_valueIdEEEEEEE10hipError_tPvRmT3_T4_T5_T6_T7_T9_mT8_P12ihipStream_tbDpT10_ENKUlT_T0_E_clISt17integral_constantIbLb0EES1A_IbLb1EEEEDaS16_S17_EUlS16_E_NS1_11comp_targetILNS1_3genE10ELNS1_11target_archE1200ELNS1_3gpuE4ELNS1_3repE0EEENS1_30default_config_static_selectorELNS0_4arch9wavefront6targetE0EEEvT1_ ; -- Begin function _ZN7rocprim17ROCPRIM_400000_NS6detail17trampoline_kernelINS0_14default_configENS1_25partition_config_selectorILNS1_17partition_subalgoE6EdNS0_10empty_typeEbEEZZNS1_14partition_implILS5_6ELb0ES3_mN6thrust23THRUST_200600_302600_NS6detail15normal_iteratorINSA_10device_ptrIdEEEEPS6_SG_NS0_5tupleIJNSA_16discard_iteratorINSA_11use_defaultEEES6_EEENSH_IJSG_SG_EEES6_PlJNSB_9not_fun_tINSB_14equal_to_valueIdEEEEEEE10hipError_tPvRmT3_T4_T5_T6_T7_T9_mT8_P12ihipStream_tbDpT10_ENKUlT_T0_E_clISt17integral_constantIbLb0EES1A_IbLb1EEEEDaS16_S17_EUlS16_E_NS1_11comp_targetILNS1_3genE10ELNS1_11target_archE1200ELNS1_3gpuE4ELNS1_3repE0EEENS1_30default_config_static_selectorELNS0_4arch9wavefront6targetE0EEEvT1_
	.globl	_ZN7rocprim17ROCPRIM_400000_NS6detail17trampoline_kernelINS0_14default_configENS1_25partition_config_selectorILNS1_17partition_subalgoE6EdNS0_10empty_typeEbEEZZNS1_14partition_implILS5_6ELb0ES3_mN6thrust23THRUST_200600_302600_NS6detail15normal_iteratorINSA_10device_ptrIdEEEEPS6_SG_NS0_5tupleIJNSA_16discard_iteratorINSA_11use_defaultEEES6_EEENSH_IJSG_SG_EEES6_PlJNSB_9not_fun_tINSB_14equal_to_valueIdEEEEEEE10hipError_tPvRmT3_T4_T5_T6_T7_T9_mT8_P12ihipStream_tbDpT10_ENKUlT_T0_E_clISt17integral_constantIbLb0EES1A_IbLb1EEEEDaS16_S17_EUlS16_E_NS1_11comp_targetILNS1_3genE10ELNS1_11target_archE1200ELNS1_3gpuE4ELNS1_3repE0EEENS1_30default_config_static_selectorELNS0_4arch9wavefront6targetE0EEEvT1_
	.p2align	8
	.type	_ZN7rocprim17ROCPRIM_400000_NS6detail17trampoline_kernelINS0_14default_configENS1_25partition_config_selectorILNS1_17partition_subalgoE6EdNS0_10empty_typeEbEEZZNS1_14partition_implILS5_6ELb0ES3_mN6thrust23THRUST_200600_302600_NS6detail15normal_iteratorINSA_10device_ptrIdEEEEPS6_SG_NS0_5tupleIJNSA_16discard_iteratorINSA_11use_defaultEEES6_EEENSH_IJSG_SG_EEES6_PlJNSB_9not_fun_tINSB_14equal_to_valueIdEEEEEEE10hipError_tPvRmT3_T4_T5_T6_T7_T9_mT8_P12ihipStream_tbDpT10_ENKUlT_T0_E_clISt17integral_constantIbLb0EES1A_IbLb1EEEEDaS16_S17_EUlS16_E_NS1_11comp_targetILNS1_3genE10ELNS1_11target_archE1200ELNS1_3gpuE4ELNS1_3repE0EEENS1_30default_config_static_selectorELNS0_4arch9wavefront6targetE0EEEvT1_,@function
_ZN7rocprim17ROCPRIM_400000_NS6detail17trampoline_kernelINS0_14default_configENS1_25partition_config_selectorILNS1_17partition_subalgoE6EdNS0_10empty_typeEbEEZZNS1_14partition_implILS5_6ELb0ES3_mN6thrust23THRUST_200600_302600_NS6detail15normal_iteratorINSA_10device_ptrIdEEEEPS6_SG_NS0_5tupleIJNSA_16discard_iteratorINSA_11use_defaultEEES6_EEENSH_IJSG_SG_EEES6_PlJNSB_9not_fun_tINSB_14equal_to_valueIdEEEEEEE10hipError_tPvRmT3_T4_T5_T6_T7_T9_mT8_P12ihipStream_tbDpT10_ENKUlT_T0_E_clISt17integral_constantIbLb0EES1A_IbLb1EEEEDaS16_S17_EUlS16_E_NS1_11comp_targetILNS1_3genE10ELNS1_11target_archE1200ELNS1_3gpuE4ELNS1_3repE0EEENS1_30default_config_static_selectorELNS0_4arch9wavefront6targetE0EEEvT1_: ; @_ZN7rocprim17ROCPRIM_400000_NS6detail17trampoline_kernelINS0_14default_configENS1_25partition_config_selectorILNS1_17partition_subalgoE6EdNS0_10empty_typeEbEEZZNS1_14partition_implILS5_6ELb0ES3_mN6thrust23THRUST_200600_302600_NS6detail15normal_iteratorINSA_10device_ptrIdEEEEPS6_SG_NS0_5tupleIJNSA_16discard_iteratorINSA_11use_defaultEEES6_EEENSH_IJSG_SG_EEES6_PlJNSB_9not_fun_tINSB_14equal_to_valueIdEEEEEEE10hipError_tPvRmT3_T4_T5_T6_T7_T9_mT8_P12ihipStream_tbDpT10_ENKUlT_T0_E_clISt17integral_constantIbLb0EES1A_IbLb1EEEEDaS16_S17_EUlS16_E_NS1_11comp_targetILNS1_3genE10ELNS1_11target_archE1200ELNS1_3gpuE4ELNS1_3repE0EEENS1_30default_config_static_selectorELNS0_4arch9wavefront6targetE0EEEvT1_
; %bb.0:
	s_clause 0x2
	s_load_b64 s[16:17], s[0:1], 0x58
	s_load_b128 s[8:11], s[0:1], 0x48
	s_load_b64 s[12:13], s[0:1], 0x68
	v_cmp_eq_u32_e64 s2, 0, v0
	s_and_saveexec_b32 s3, s2
	s_cbranch_execz .LBB1594_4
; %bb.1:
	s_mov_b32 s5, exec_lo
	s_mov_b32 s4, exec_lo
	v_mbcnt_lo_u32_b32 v1, s5, 0
                                        ; implicit-def: $vgpr2
	s_delay_alu instid0(VALU_DEP_1)
	v_cmpx_eq_u32_e32 0, v1
	s_cbranch_execz .LBB1594_3
; %bb.2:
	s_load_b64 s[6:7], s[0:1], 0x78
	s_bcnt1_i32_b32 s5, s5
	s_wait_alu 0xfffe
	v_dual_mov_b32 v2, 0 :: v_dual_mov_b32 v3, s5
	s_wait_kmcnt 0x0
	global_atomic_add_u32 v2, v2, v3, s[6:7] th:TH_ATOMIC_RETURN scope:SCOPE_DEV
.LBB1594_3:
	s_or_b32 exec_lo, exec_lo, s4
	s_wait_loadcnt 0x0
	v_readfirstlane_b32 s4, v2
	s_wait_alu 0xf1ff
	s_delay_alu instid0(VALU_DEP_1)
	v_dual_mov_b32 v2, 0 :: v_dual_add_nc_u32 v1, s4, v1
	ds_store_b32 v2, v1
.LBB1594_4:
	s_or_b32 exec_lo, exec_lo, s3
	v_mov_b32_e32 v2, 0
	s_clause 0x2
	s_load_b128 s[4:7], s[0:1], 0x8
	s_load_b32 s3, s[0:1], 0x70
	s_load_b64 s[14:15], s[0:1], 0x80
	s_wait_dscnt 0x0
	s_barrier_signal -1
	s_barrier_wait -1
	global_inv scope:SCOPE_SE
	ds_load_b32 v3, v2
	s_wait_loadcnt_dscnt 0x0
	s_barrier_signal -1
	s_barrier_wait -1
	global_inv scope:SCOPE_SE
	s_mov_b32 s1, 0
	v_lshrrev_b32_e32 v9, 2, v0
	v_or_b32_e32 v12, 0x100, v0
	v_or_b32_e32 v11, 0x200, v0
	;; [unrolled: 1-line block ×3, first 2 shown]
	s_wait_kmcnt 0x0
	s_lshl_b64 s[18:19], s[6:7], 3
	s_lshl_b32 s0, s3, 10
	s_add_nc_u64 s[4:5], s[4:5], s[18:19]
	s_add_nc_u64 s[20:21], s[6:7], s[0:1]
	s_delay_alu instid0(SALU_CYCLE_1)
	v_cmp_gt_u64_e64 s1, s[16:17], s[20:21]
	v_lshlrev_b32_e32 v1, 10, v3
	global_load_b64 v[17:18], v2, s[10:11]
	v_readfirstlane_b32 s10, v3
	s_add_co_i32 s11, s3, -1
	v_lshlrev_b64_e32 v[1:2], 3, v[1:2]
	s_lshl_b32 s3, s11, 10
	v_cmp_ne_u32_e32 vcc_lo, s11, v3
	s_add_co_i32 s0, s6, s3
	s_cmp_eq_u32 s10, s11
	s_mov_b32 s3, -1
	s_cselect_b32 s6, -1, 0
	s_or_b32 s1, s1, vcc_lo
	s_wait_alu 0xfffe
	v_add_co_u32 v13, vcc_lo, s4, v1
	s_delay_alu instid0(VALU_DEP_1)
	v_add_co_ci_u32_e64 v14, null, s5, v2, vcc_lo
	s_and_b32 vcc_lo, exec_lo, s1
	s_wait_alu 0xfffe
	s_cbranch_vccz .LBB1594_6
; %bb.5:
	v_lshlrev_b32_e32 v15, 3, v0
	v_lshrrev_b32_e32 v16, 2, v12
	v_lshrrev_b32_e32 v19, 2, v11
	;; [unrolled: 1-line block ×3, first 2 shown]
	v_and_b32_e32 v21, 56, v9
	v_add_co_u32 v1, vcc_lo, v13, v15
	s_wait_alu 0xfffd
	v_add_co_ci_u32_e64 v2, null, 0, v14, vcc_lo
	v_and_b32_e32 v16, 0x78, v16
	v_and_b32_e32 v19, 0xb8, v19
	;; [unrolled: 1-line block ×3, first 2 shown]
	s_clause 0x3
	flat_load_b64 v[3:4], v[1:2]
	flat_load_b64 v[5:6], v[1:2] offset:2048
	flat_load_b64 v[7:8], v[1:2] offset:4096
	flat_load_b64 v[1:2], v[1:2] offset:6144
	v_add_nc_u32_e32 v21, v21, v15
	v_add_nc_u32_e32 v16, v16, v15
	;; [unrolled: 1-line block ×4, first 2 shown]
	s_mov_b32 s3, 0
	s_wait_loadcnt_dscnt 0x303
	ds_store_b64 v21, v[3:4]
	s_wait_loadcnt_dscnt 0x203
	ds_store_b64 v16, v[5:6] offset:2048
	s_wait_loadcnt_dscnt 0x103
	ds_store_b64 v19, v[7:8] offset:4096
	;; [unrolled: 2-line block ×3, first 2 shown]
	s_wait_dscnt 0x0
	s_barrier_signal -1
	s_barrier_wait -1
.LBB1594_6:
	s_and_not1_b32 vcc_lo, exec_lo, s3
	s_sub_co_i32 s11, s16, s0
	s_wait_alu 0xfffe
	s_cbranch_vccnz .LBB1594_13
; %bb.7:
	v_mov_b32_e32 v1, 0
	s_mov_b32 s0, exec_lo
	s_delay_alu instid0(VALU_DEP_1)
	v_dual_mov_b32 v2, v1 :: v_dual_mov_b32 v3, v1
	v_dual_mov_b32 v4, v1 :: v_dual_mov_b32 v5, v1
	;; [unrolled: 1-line block ×3, first 2 shown]
	v_mov_b32_e32 v8, v1
	v_cmpx_gt_u32_e64 s11, v0
	s_cbranch_execnz .LBB1594_118
; %bb.8:
	s_or_b32 exec_lo, exec_lo, s0
	s_delay_alu instid0(SALU_CYCLE_1)
	s_mov_b32 s0, exec_lo
	v_cmpx_gt_u32_e64 s11, v12
	s_cbranch_execnz .LBB1594_119
.LBB1594_9:
	s_or_b32 exec_lo, exec_lo, s0
	s_delay_alu instid0(SALU_CYCLE_1)
	s_mov_b32 s0, exec_lo
	v_cmpx_gt_u32_e64 s11, v11
	s_cbranch_execnz .LBB1594_120
.LBB1594_10:
	s_or_b32 exec_lo, exec_lo, s0
	s_delay_alu instid0(SALU_CYCLE_1)
	s_mov_b32 s0, exec_lo
	v_cmpx_gt_u32_e64 s11, v10
	s_cbranch_execz .LBB1594_12
.LBB1594_11:
	v_lshlrev_b32_e32 v7, 3, v0
	s_delay_alu instid0(VALU_DEP_1)
	v_add_co_u32 v7, vcc_lo, v13, v7
	s_wait_alu 0xfffd
	v_add_co_ci_u32_e64 v8, null, 0, v14, vcc_lo
	flat_load_b64 v[7:8], v[7:8] offset:6144
.LBB1594_12:
	s_or_b32 exec_lo, exec_lo, s0
	v_lshrrev_b32_e32 v12, 2, v12
	v_lshrrev_b32_e32 v11, 2, v11
	;; [unrolled: 1-line block ×3, first 2 shown]
	v_and_b32_e32 v9, 56, v9
	v_lshlrev_b32_e32 v13, 3, v0
	v_and_b32_e32 v12, 0x78, v12
	v_and_b32_e32 v11, 0xf8, v11
	;; [unrolled: 1-line block ×3, first 2 shown]
	s_delay_alu instid0(VALU_DEP_4) | instskip(NEXT) | instid1(VALU_DEP_4)
	v_add_nc_u32_e32 v9, v9, v13
	v_add_nc_u32_e32 v12, v12, v13
	s_delay_alu instid0(VALU_DEP_4) | instskip(NEXT) | instid1(VALU_DEP_4)
	v_add_nc_u32_e32 v11, v11, v13
	v_add_nc_u32_e32 v10, v10, v13
	ds_store_b64 v9, v[1:2]
	s_wait_loadcnt_dscnt 0x1
	ds_store_b64 v12, v[3:4] offset:2048
	ds_store_b64 v11, v[5:6] offset:4096
	;; [unrolled: 1-line block ×3, first 2 shown]
	s_wait_dscnt 0x0
	s_barrier_signal -1
	s_barrier_wait -1
.LBB1594_13:
	v_and_b32_e32 v1, 0xf8, v0
	s_wait_loadcnt 0x0
	global_inv scope:SCOPE_SE
	s_and_not1_b32 vcc_lo, exec_lo, s1
	v_lshl_add_u32 v5, v0, 5, v1
	ds_load_2addr_b64 v[1:4], v5 offset1:3
	ds_load_2addr_b64 v[5:8], v5 offset0:1 offset1:2
	s_wait_loadcnt_dscnt 0x0
	s_barrier_signal -1
	s_barrier_wait -1
	global_inv scope:SCOPE_SE
	v_cmp_neq_f64_e64 s0, s[14:15], v[1:2]
	v_cmp_neq_f64_e64 s7, s[14:15], v[3:4]
	s_wait_alu 0xfffe
	s_cbranch_vccnz .LBB1594_15
; %bb.14:
	v_cmp_neq_f64_e32 vcc_lo, s[14:15], v[7:8]
	v_cndmask_b32_e64 v29, 0, 1, s0
	s_wait_alu 0xfffd
	v_cndmask_b32_e64 v27, 0, 1, vcc_lo
	v_cmp_neq_f64_e32 vcc_lo, s[14:15], v[5:6]
	s_delay_alu instid0(VALU_DEP_2) | instskip(SKIP_2) | instid1(VALU_DEP_1)
	v_lshlrev_b16 v10, 8, v27
	s_wait_alu 0xfffd
	v_cndmask_b32_e64 v9, 0, 1, vcc_lo
	v_or_b32_e32 v28, v9, v10
	s_cbranch_execz .LBB1594_16
	s_branch .LBB1594_17
.LBB1594_15:
                                        ; implicit-def: $sgpr7
                                        ; implicit-def: $vgpr29
                                        ; implicit-def: $vgpr28
                                        ; implicit-def: $vgpr27
.LBB1594_16:
	v_cmp_neq_f64_e32 vcc_lo, s[14:15], v[7:8]
	v_cmp_neq_f64_e64 s0, s[14:15], v[5:6]
	v_cmp_neq_f64_e64 s1, s[14:15], v[1:2]
	v_cmp_neq_f64_e64 s3, s[14:15], v[3:4]
	v_lshlrev_b32_e32 v9, 2, v0
	s_delay_alu instid0(VALU_DEP_1) | instskip(SKIP_1) | instid1(VALU_DEP_2)
	v_or_b32_e32 v10, 2, v9
	v_or_b32_e32 v11, 1, v9
	v_cmp_gt_u32_e64 s4, s11, v10
	s_delay_alu instid0(VALU_DEP_2)
	v_cmp_gt_u32_e64 s5, s11, v11
	v_or_b32_e32 v10, 3, v9
	s_and_b32 s4, s4, vcc_lo
	v_cmp_gt_u32_e32 vcc_lo, s11, v9
	s_wait_alu 0xfffe
	v_cndmask_b32_e64 v27, 0, 1, s4
	s_and_b32 s0, s5, s0
	v_cmp_gt_u32_e64 s4, s11, v10
	s_wait_alu 0xfffe
	v_cndmask_b32_e64 v9, 0, 1, s0
	s_and_b32 s0, vcc_lo, s1
	v_lshlrev_b16 v10, 8, v27
	s_wait_alu 0xfffe
	v_cndmask_b32_e64 v29, 0, 1, s0
	s_and_b32 s0, s4, s3
	s_and_not1_b32 s1, s7, exec_lo
	s_wait_alu 0xfffe
	s_and_b32 s0, s0, exec_lo
	v_or_b32_e32 v28, v9, v10
	s_wait_alu 0xfffe
	s_or_b32 s7, s1, s0
.LBB1594_17:
	v_and_b32_e32 v31, 0xff, v29
	s_delay_alu instid0(VALU_DEP_2)
	v_dual_mov_b32 v11, 0 :: v_dual_and_b32 v30, 0xff, v28
	v_cndmask_b32_e64 v9, 0, 1, s7
	v_mbcnt_lo_u32_b32 v33, -1, 0
	v_and_b32_e32 v32, 0xff, v27
	s_cmp_lg_u32 s10, 0
	s_mov_b32 s1, -1
	v_add3_u32 v9, v31, v9, v30
	v_and_b32_e32 v34, 15, v33
	s_delay_alu instid0(VALU_DEP_2) | instskip(SKIP_2) | instid1(VALU_DEP_3)
	v_add_co_u32 v19, s0, v9, v32
	s_wait_alu 0xf1ff
	v_add_co_ci_u32_e64 v20, null, 0, 0, s0
	v_cmp_ne_u32_e64 s0, 0, v34
	s_cbranch_scc0 .LBB1594_74
; %bb.18:
	v_dual_mov_b32 v12, v19 :: v_dual_mov_b32 v9, v19
	v_mov_b32_dpp v14, v19 row_shr:1 row_mask:0xf bank_mask:0xf
	v_mov_b32_dpp v13, v11 row_shr:1 row_mask:0xf bank_mask:0xf
	v_mov_b32_e32 v10, v20
	s_and_saveexec_b32 s1, s0
; %bb.19:
	s_delay_alu instid0(VALU_DEP_3) | instskip(SKIP_2) | instid1(VALU_DEP_2)
	v_add_co_u32 v12, vcc_lo, v19, v14
	s_wait_alu 0xfffd
	v_add_co_ci_u32_e64 v9, null, 0, v20, vcc_lo
	v_add_co_u32 v10, vcc_lo, 0, v12
	s_wait_alu 0xfffd
	s_delay_alu instid0(VALU_DEP_2) | instskip(NEXT) | instid1(VALU_DEP_2)
	v_add_co_ci_u32_e64 v11, null, v13, v9, vcc_lo
	v_mov_b32_e32 v9, v10
	s_delay_alu instid0(VALU_DEP_2)
	v_mov_b32_e32 v10, v11
; %bb.20:
	s_wait_alu 0xfffe
	s_or_b32 exec_lo, exec_lo, s1
	v_mov_b32_dpp v14, v12 row_shr:2 row_mask:0xf bank_mask:0xf
	v_mov_b32_dpp v13, v11 row_shr:2 row_mask:0xf bank_mask:0xf
	s_mov_b32 s1, exec_lo
	v_cmpx_lt_u32_e32 1, v34
; %bb.21:
	s_delay_alu instid0(VALU_DEP_3) | instskip(SKIP_2) | instid1(VALU_DEP_2)
	v_add_co_u32 v12, vcc_lo, v9, v14
	s_wait_alu 0xfffd
	v_add_co_ci_u32_e64 v9, null, 0, v10, vcc_lo
	v_add_co_u32 v10, vcc_lo, 0, v12
	s_wait_alu 0xfffd
	s_delay_alu instid0(VALU_DEP_2) | instskip(NEXT) | instid1(VALU_DEP_2)
	v_add_co_ci_u32_e64 v11, null, v13, v9, vcc_lo
	v_mov_b32_e32 v9, v10
	s_delay_alu instid0(VALU_DEP_2)
	v_mov_b32_e32 v10, v11
; %bb.22:
	s_wait_alu 0xfffe
	s_or_b32 exec_lo, exec_lo, s1
	v_mov_b32_dpp v14, v12 row_shr:4 row_mask:0xf bank_mask:0xf
	v_mov_b32_dpp v13, v11 row_shr:4 row_mask:0xf bank_mask:0xf
	s_mov_b32 s1, exec_lo
	v_cmpx_lt_u32_e32 3, v34
	;; [unrolled: 19-line block ×3, first 2 shown]
; %bb.25:
	s_delay_alu instid0(VALU_DEP_3) | instskip(SKIP_2) | instid1(VALU_DEP_2)
	v_add_co_u32 v12, vcc_lo, v9, v14
	s_wait_alu 0xfffd
	v_add_co_ci_u32_e64 v10, null, 0, v10, vcc_lo
	v_add_co_u32 v9, vcc_lo, 0, v12
	s_wait_alu 0xfffd
	s_delay_alu instid0(VALU_DEP_2) | instskip(NEXT) | instid1(VALU_DEP_1)
	v_add_co_ci_u32_e64 v10, null, v13, v10, vcc_lo
	v_mov_b32_e32 v11, v10
; %bb.26:
	s_wait_alu 0xfffe
	s_or_b32 exec_lo, exec_lo, s1
	ds_swizzle_b32 v13, v12 offset:swizzle(BROADCAST,32,15)
	ds_swizzle_b32 v11, v11 offset:swizzle(BROADCAST,32,15)
	v_and_b32_e32 v14, 16, v33
	s_mov_b32 s1, exec_lo
	s_delay_alu instid0(VALU_DEP_1)
	v_cmpx_ne_u32_e32 0, v14
	s_cbranch_execz .LBB1594_28
; %bb.27:
	s_wait_dscnt 0x1
	v_add_co_u32 v12, vcc_lo, v9, v13
	s_wait_alu 0xfffd
	v_add_co_ci_u32_e64 v10, null, 0, v10, vcc_lo
	s_delay_alu instid0(VALU_DEP_2) | instskip(SKIP_2) | instid1(VALU_DEP_2)
	v_add_co_u32 v9, vcc_lo, 0, v12
	s_wait_dscnt 0x0
	s_wait_alu 0xfffd
	v_add_co_ci_u32_e64 v10, null, v11, v10, vcc_lo
.LBB1594_28:
	s_wait_alu 0xfffe
	s_or_b32 exec_lo, exec_lo, s1
	s_wait_dscnt 0x1
	v_or_b32_e32 v13, 31, v0
	s_wait_dscnt 0x0
	v_lshrrev_b32_e32 v11, 5, v0
	s_mov_b32 s1, exec_lo
	s_delay_alu instid0(VALU_DEP_2)
	v_cmpx_eq_u32_e64 v0, v13
; %bb.29:
	s_delay_alu instid0(VALU_DEP_2)
	v_lshlrev_b32_e32 v13, 3, v11
	ds_store_b64 v13, v[9:10]
; %bb.30:
	s_wait_alu 0xfffe
	s_or_b32 exec_lo, exec_lo, s1
	s_delay_alu instid0(SALU_CYCLE_1)
	s_mov_b32 s1, exec_lo
	s_wait_loadcnt_dscnt 0x0
	s_barrier_signal -1
	s_barrier_wait -1
	global_inv scope:SCOPE_SE
	v_cmpx_gt_u32_e32 8, v0
	s_cbranch_execz .LBB1594_38
; %bb.31:
	v_lshlrev_b32_e32 v13, 3, v0
	s_mov_b32 s3, exec_lo
	ds_load_b64 v[9:10], v13
	s_wait_dscnt 0x0
	v_dual_mov_b32 v15, v9 :: v_dual_and_b32 v14, 7, v33
	v_mov_b32_dpp v21, v9 row_shr:1 row_mask:0xf bank_mask:0xf
	v_mov_b32_dpp v16, v10 row_shr:1 row_mask:0xf bank_mask:0xf
	s_delay_alu instid0(VALU_DEP_3)
	v_cmpx_ne_u32_e32 0, v14
; %bb.32:
	s_delay_alu instid0(VALU_DEP_3) | instskip(SKIP_2) | instid1(VALU_DEP_2)
	v_add_co_u32 v15, vcc_lo, v9, v21
	s_wait_alu 0xfffd
	v_add_co_ci_u32_e64 v10, null, 0, v10, vcc_lo
	v_add_co_u32 v9, vcc_lo, 0, v15
	s_wait_alu 0xfffd
	s_delay_alu instid0(VALU_DEP_2)
	v_add_co_ci_u32_e64 v10, null, v16, v10, vcc_lo
; %bb.33:
	s_or_b32 exec_lo, exec_lo, s3
	v_mov_b32_dpp v21, v15 row_shr:2 row_mask:0xf bank_mask:0xf
	s_delay_alu instid0(VALU_DEP_2)
	v_mov_b32_dpp v16, v10 row_shr:2 row_mask:0xf bank_mask:0xf
	s_mov_b32 s3, exec_lo
	v_cmpx_lt_u32_e32 1, v14
; %bb.34:
	s_delay_alu instid0(VALU_DEP_3) | instskip(SKIP_2) | instid1(VALU_DEP_2)
	v_add_co_u32 v15, vcc_lo, v9, v21
	s_wait_alu 0xfffd
	v_add_co_ci_u32_e64 v10, null, 0, v10, vcc_lo
	v_add_co_u32 v9, vcc_lo, 0, v15
	s_wait_alu 0xfffd
	s_delay_alu instid0(VALU_DEP_2)
	v_add_co_ci_u32_e64 v10, null, v16, v10, vcc_lo
; %bb.35:
	s_or_b32 exec_lo, exec_lo, s3
	v_mov_b32_dpp v16, v15 row_shr:4 row_mask:0xf bank_mask:0xf
	s_delay_alu instid0(VALU_DEP_2)
	v_mov_b32_dpp v15, v10 row_shr:4 row_mask:0xf bank_mask:0xf
	s_mov_b32 s3, exec_lo
	v_cmpx_lt_u32_e32 3, v14
; %bb.36:
	s_delay_alu instid0(VALU_DEP_3) | instskip(SKIP_2) | instid1(VALU_DEP_2)
	v_add_co_u32 v9, vcc_lo, v9, v16
	s_wait_alu 0xfffd
	v_add_co_ci_u32_e64 v10, null, 0, v10, vcc_lo
	v_add_co_u32 v9, vcc_lo, v9, 0
	s_wait_alu 0xfffd
	s_delay_alu instid0(VALU_DEP_2)
	v_add_co_ci_u32_e64 v10, null, v10, v15, vcc_lo
; %bb.37:
	s_or_b32 exec_lo, exec_lo, s3
	ds_store_b64 v13, v[9:10]
.LBB1594_38:
	s_wait_alu 0xfffe
	s_or_b32 exec_lo, exec_lo, s1
	s_delay_alu instid0(SALU_CYCLE_1)
	s_mov_b32 s3, exec_lo
	v_cmp_gt_u32_e32 vcc_lo, 32, v0
	s_wait_loadcnt_dscnt 0x0
	s_barrier_signal -1
	s_barrier_wait -1
	global_inv scope:SCOPE_SE
                                        ; implicit-def: $vgpr21_vgpr22
	v_cmpx_lt_u32_e32 31, v0
	s_cbranch_execz .LBB1594_40
; %bb.39:
	v_lshl_add_u32 v9, v11, 3, -8
	ds_load_b64 v[21:22], v9
	s_wait_dscnt 0x0
	v_add_nc_u32_e32 v12, v12, v21
.LBB1594_40:
	s_or_b32 exec_lo, exec_lo, s3
	v_sub_co_u32 v9, s1, v33, 1
	s_delay_alu instid0(VALU_DEP_1) | instskip(NEXT) | instid1(VALU_DEP_1)
	v_cmp_gt_i32_e64 s3, 0, v9
	v_cndmask_b32_e64 v9, v9, v33, s3
	s_delay_alu instid0(VALU_DEP_1)
	v_lshlrev_b32_e32 v9, 2, v9
	ds_bpermute_b32 v35, v9, v12
	s_and_saveexec_b32 s3, vcc_lo
	s_cbranch_execz .LBB1594_79
; %bb.41:
	v_mov_b32_e32 v12, 0
	ds_load_b64 v[9:10], v12 offset:56
	s_and_saveexec_b32 s4, s1
	s_cbranch_execz .LBB1594_43
; %bb.42:
	s_add_co_i32 s14, s10, 32
	s_mov_b32 s15, 0
	s_wait_alu 0xfffe
	s_lshl_b64 s[14:15], s[14:15], 4
	s_wait_alu 0xfffe
	s_add_nc_u64 s[14:15], s[12:13], s[14:15]
	v_mov_b32_e32 v11, 1
	s_wait_alu 0xfffe
	v_dual_mov_b32 v13, s14 :: v_dual_mov_b32 v14, s15
	s_wait_dscnt 0x0
	;;#ASMSTART
	global_store_b128 v[13:14], v[9:12] off scope:SCOPE_DEV	
s_wait_storecnt 0x0
	;;#ASMEND
.LBB1594_43:
	s_wait_alu 0xfffe
	s_or_b32 exec_lo, exec_lo, s4
	v_xad_u32 v23, v33, -1, s10
	s_mov_b32 s5, 0
	s_mov_b32 s4, exec_lo
	s_delay_alu instid0(VALU_DEP_1) | instskip(NEXT) | instid1(VALU_DEP_1)
	v_add_nc_u32_e32 v11, 32, v23
	v_lshlrev_b64_e32 v[11:12], 4, v[11:12]
	s_delay_alu instid0(VALU_DEP_1) | instskip(SKIP_1) | instid1(VALU_DEP_2)
	v_add_co_u32 v11, vcc_lo, s12, v11
	s_wait_alu 0xfffd
	v_add_co_ci_u32_e64 v12, null, s13, v12, vcc_lo
	;;#ASMSTART
	global_load_b128 v[13:16], v[11:12] off scope:SCOPE_DEV	
s_wait_loadcnt 0x0
	;;#ASMEND
	v_and_b32_e32 v16, 0xff, v15
	s_delay_alu instid0(VALU_DEP_1)
	v_cmpx_eq_u16_e32 0, v16
	s_cbranch_execz .LBB1594_46
.LBB1594_44:                            ; =>This Inner Loop Header: Depth=1
	;;#ASMSTART
	global_load_b128 v[13:16], v[11:12] off scope:SCOPE_DEV	
s_wait_loadcnt 0x0
	;;#ASMEND
	v_and_b32_e32 v16, 0xff, v15
	s_delay_alu instid0(VALU_DEP_1)
	v_cmp_ne_u16_e32 vcc_lo, 0, v16
	s_wait_alu 0xfffe
	s_or_b32 s5, vcc_lo, s5
	s_wait_alu 0xfffe
	s_and_not1_b32 exec_lo, exec_lo, s5
	s_cbranch_execnz .LBB1594_44
; %bb.45:
	s_or_b32 exec_lo, exec_lo, s5
.LBB1594_46:
	s_wait_alu 0xfffe
	s_or_b32 exec_lo, exec_lo, s4
	v_cmp_ne_u32_e32 vcc_lo, 31, v33
	v_and_b32_e32 v12, 0xff, v15
	v_lshlrev_b32_e64 v37, v33, -1
	s_mov_b32 s4, exec_lo
	s_wait_alu 0xfffd
	v_add_co_ci_u32_e64 v11, null, 0, v33, vcc_lo
	v_cmp_eq_u16_e32 vcc_lo, 2, v12
	v_mov_b32_e32 v12, v13
	s_delay_alu instid0(VALU_DEP_3)
	v_lshlrev_b32_e32 v36, 2, v11
	s_wait_alu 0xfffd
	v_and_or_b32 v11, vcc_lo, v37, 0x80000000
	ds_bpermute_b32 v24, v36, v13
	ds_bpermute_b32 v16, v36, v14
	v_ctz_i32_b32_e32 v11, v11
	s_delay_alu instid0(VALU_DEP_1)
	v_cmpx_lt_u32_e64 v33, v11
	s_cbranch_execz .LBB1594_48
; %bb.47:
	s_wait_dscnt 0x1
	v_add_co_u32 v12, vcc_lo, v13, v24
	s_wait_alu 0xfffd
	v_add_co_ci_u32_e64 v14, null, 0, v14, vcc_lo
	s_delay_alu instid0(VALU_DEP_2) | instskip(SKIP_2) | instid1(VALU_DEP_2)
	v_add_co_u32 v13, vcc_lo, 0, v12
	s_wait_dscnt 0x0
	s_wait_alu 0xfffd
	v_add_co_ci_u32_e64 v14, null, v16, v14, vcc_lo
.LBB1594_48:
	s_wait_alu 0xfffe
	s_or_b32 exec_lo, exec_lo, s4
	v_cmp_gt_u32_e32 vcc_lo, 30, v33
	v_add_nc_u32_e32 v39, 2, v33
	s_mov_b32 s4, exec_lo
	s_wait_dscnt 0x0
	s_wait_alu 0xfffd
	v_cndmask_b32_e64 v16, 0, 2, vcc_lo
	s_delay_alu instid0(VALU_DEP_1)
	v_add_lshl_u32 v38, v16, v33, 2
	ds_bpermute_b32 v24, v38, v12
	ds_bpermute_b32 v16, v38, v14
	v_cmpx_le_u32_e64 v39, v11
	s_cbranch_execz .LBB1594_50
; %bb.49:
	s_wait_dscnt 0x1
	v_add_co_u32 v12, vcc_lo, v13, v24
	s_wait_alu 0xfffd
	v_add_co_ci_u32_e64 v14, null, 0, v14, vcc_lo
	s_delay_alu instid0(VALU_DEP_2) | instskip(SKIP_2) | instid1(VALU_DEP_2)
	v_add_co_u32 v13, vcc_lo, 0, v12
	s_wait_dscnt 0x0
	s_wait_alu 0xfffd
	v_add_co_ci_u32_e64 v14, null, v16, v14, vcc_lo
.LBB1594_50:
	s_wait_alu 0xfffe
	s_or_b32 exec_lo, exec_lo, s4
	v_cmp_gt_u32_e32 vcc_lo, 28, v33
	v_add_nc_u32_e32 v41, 4, v33
	s_mov_b32 s4, exec_lo
	s_wait_dscnt 0x0
	s_wait_alu 0xfffd
	v_cndmask_b32_e64 v16, 0, 4, vcc_lo
	s_delay_alu instid0(VALU_DEP_1)
	v_add_lshl_u32 v40, v16, v33, 2
	ds_bpermute_b32 v24, v40, v12
	ds_bpermute_b32 v16, v40, v14
	v_cmpx_le_u32_e64 v41, v11
	;; [unrolled: 25-line block ×3, first 2 shown]
	s_cbranch_execz .LBB1594_54
; %bb.53:
	s_wait_dscnt 0x1
	v_add_co_u32 v12, vcc_lo, v13, v24
	s_wait_alu 0xfffd
	v_add_co_ci_u32_e64 v14, null, 0, v14, vcc_lo
	s_delay_alu instid0(VALU_DEP_2) | instskip(SKIP_2) | instid1(VALU_DEP_2)
	v_add_co_u32 v13, vcc_lo, 0, v12
	s_wait_dscnt 0x0
	s_wait_alu 0xfffd
	v_add_co_ci_u32_e64 v14, null, v16, v14, vcc_lo
.LBB1594_54:
	s_wait_alu 0xfffe
	s_or_b32 exec_lo, exec_lo, s4
	v_lshl_or_b32 v44, v33, 2, 64
	v_add_nc_u32_e32 v45, 16, v33
	s_mov_b32 s4, exec_lo
	s_wait_dscnt 0x0
	ds_bpermute_b32 v16, v44, v12
	ds_bpermute_b32 v12, v44, v14
	v_cmpx_le_u32_e64 v45, v11
	s_cbranch_execz .LBB1594_56
; %bb.55:
	s_wait_dscnt 0x1
	v_add_co_u32 v11, vcc_lo, v13, v16
	s_wait_alu 0xfffd
	v_add_co_ci_u32_e64 v14, null, 0, v14, vcc_lo
	s_delay_alu instid0(VALU_DEP_2) | instskip(SKIP_2) | instid1(VALU_DEP_2)
	v_add_co_u32 v13, vcc_lo, v11, 0
	s_wait_dscnt 0x0
	s_wait_alu 0xfffd
	v_add_co_ci_u32_e64 v14, null, v14, v12, vcc_lo
.LBB1594_56:
	s_wait_alu 0xfffe
	s_or_b32 exec_lo, exec_lo, s4
	v_mov_b32_e32 v24, 0
	s_branch .LBB1594_59
.LBB1594_57:                            ;   in Loop: Header=BB1594_59 Depth=1
	s_wait_alu 0xfffe
	s_or_b32 exec_lo, exec_lo, s4
	v_add_co_u32 v13, vcc_lo, v13, v11
	v_subrev_nc_u32_e32 v23, 32, v23
	s_wait_alu 0xfffd
	v_add_co_ci_u32_e64 v14, null, v14, v12, vcc_lo
	s_mov_b32 s4, 0
.LBB1594_58:                            ;   in Loop: Header=BB1594_59 Depth=1
	s_wait_alu 0xfffe
	s_and_b32 vcc_lo, exec_lo, s4
	s_wait_alu 0xfffe
	s_cbranch_vccnz .LBB1594_75
.LBB1594_59:                            ; =>This Loop Header: Depth=1
                                        ;     Child Loop BB1594_62 Depth 2
	v_and_b32_e32 v11, 0xff, v15
	s_mov_b32 s4, -1
	s_delay_alu instid0(VALU_DEP_1)
	v_cmp_ne_u16_e32 vcc_lo, 2, v11
	s_wait_dscnt 0x0
	v_dual_mov_b32 v11, v13 :: v_dual_mov_b32 v12, v14
                                        ; implicit-def: $vgpr13_vgpr14
	s_cmp_lg_u32 vcc_lo, exec_lo
	s_cbranch_scc1 .LBB1594_58
; %bb.60:                               ;   in Loop: Header=BB1594_59 Depth=1
	v_lshlrev_b64_e32 v[13:14], 4, v[23:24]
	s_mov_b32 s4, exec_lo
	s_delay_alu instid0(VALU_DEP_1) | instskip(SKIP_1) | instid1(VALU_DEP_2)
	v_add_co_u32 v25, vcc_lo, s12, v13
	s_wait_alu 0xfffd
	v_add_co_ci_u32_e64 v26, null, s13, v14, vcc_lo
	;;#ASMSTART
	global_load_b128 v[13:16], v[25:26] off scope:SCOPE_DEV	
s_wait_loadcnt 0x0
	;;#ASMEND
	v_and_b32_e32 v16, 0xff, v15
	s_delay_alu instid0(VALU_DEP_1)
	v_cmpx_eq_u16_e32 0, v16
	s_cbranch_execz .LBB1594_64
; %bb.61:                               ;   in Loop: Header=BB1594_59 Depth=1
	s_mov_b32 s5, 0
.LBB1594_62:                            ;   Parent Loop BB1594_59 Depth=1
                                        ; =>  This Inner Loop Header: Depth=2
	;;#ASMSTART
	global_load_b128 v[13:16], v[25:26] off scope:SCOPE_DEV	
s_wait_loadcnt 0x0
	;;#ASMEND
	v_and_b32_e32 v16, 0xff, v15
	s_delay_alu instid0(VALU_DEP_1)
	v_cmp_ne_u16_e32 vcc_lo, 0, v16
	s_wait_alu 0xfffe
	s_or_b32 s5, vcc_lo, s5
	s_wait_alu 0xfffe
	s_and_not1_b32 exec_lo, exec_lo, s5
	s_cbranch_execnz .LBB1594_62
; %bb.63:                               ;   in Loop: Header=BB1594_59 Depth=1
	s_or_b32 exec_lo, exec_lo, s5
.LBB1594_64:                            ;   in Loop: Header=BB1594_59 Depth=1
	s_wait_alu 0xfffe
	s_or_b32 exec_lo, exec_lo, s4
	v_dual_mov_b32 v25, v13 :: v_dual_and_b32 v16, 0xff, v15
	ds_bpermute_b32 v46, v36, v13
	ds_bpermute_b32 v26, v36, v14
	s_mov_b32 s4, exec_lo
	v_cmp_eq_u16_e32 vcc_lo, 2, v16
	s_wait_alu 0xfffd
	v_and_or_b32 v16, vcc_lo, v37, 0x80000000
	s_delay_alu instid0(VALU_DEP_1) | instskip(NEXT) | instid1(VALU_DEP_1)
	v_ctz_i32_b32_e32 v16, v16
	v_cmpx_lt_u32_e64 v33, v16
	s_cbranch_execz .LBB1594_66
; %bb.65:                               ;   in Loop: Header=BB1594_59 Depth=1
	s_wait_dscnt 0x1
	v_add_co_u32 v25, vcc_lo, v13, v46
	s_wait_alu 0xfffd
	v_add_co_ci_u32_e64 v14, null, 0, v14, vcc_lo
	s_delay_alu instid0(VALU_DEP_2) | instskip(SKIP_2) | instid1(VALU_DEP_2)
	v_add_co_u32 v13, vcc_lo, 0, v25
	s_wait_dscnt 0x0
	s_wait_alu 0xfffd
	v_add_co_ci_u32_e64 v14, null, v26, v14, vcc_lo
.LBB1594_66:                            ;   in Loop: Header=BB1594_59 Depth=1
	s_wait_alu 0xfffe
	s_or_b32 exec_lo, exec_lo, s4
	s_wait_dscnt 0x1
	ds_bpermute_b32 v46, v38, v25
	s_wait_dscnt 0x1
	ds_bpermute_b32 v26, v38, v14
	s_mov_b32 s4, exec_lo
	v_cmpx_le_u32_e64 v39, v16
	s_cbranch_execz .LBB1594_68
; %bb.67:                               ;   in Loop: Header=BB1594_59 Depth=1
	s_wait_dscnt 0x1
	v_add_co_u32 v25, vcc_lo, v13, v46
	s_wait_alu 0xfffd
	v_add_co_ci_u32_e64 v14, null, 0, v14, vcc_lo
	s_delay_alu instid0(VALU_DEP_2) | instskip(SKIP_2) | instid1(VALU_DEP_2)
	v_add_co_u32 v13, vcc_lo, 0, v25
	s_wait_dscnt 0x0
	s_wait_alu 0xfffd
	v_add_co_ci_u32_e64 v14, null, v26, v14, vcc_lo
.LBB1594_68:                            ;   in Loop: Header=BB1594_59 Depth=1
	s_wait_alu 0xfffe
	s_or_b32 exec_lo, exec_lo, s4
	s_wait_dscnt 0x1
	ds_bpermute_b32 v46, v40, v25
	s_wait_dscnt 0x1
	ds_bpermute_b32 v26, v40, v14
	s_mov_b32 s4, exec_lo
	v_cmpx_le_u32_e64 v41, v16
	;; [unrolled: 20-line block ×3, first 2 shown]
	s_cbranch_execz .LBB1594_72
; %bb.71:                               ;   in Loop: Header=BB1594_59 Depth=1
	s_wait_dscnt 0x1
	v_add_co_u32 v25, vcc_lo, v13, v46
	s_wait_alu 0xfffd
	v_add_co_ci_u32_e64 v14, null, 0, v14, vcc_lo
	s_delay_alu instid0(VALU_DEP_2) | instskip(SKIP_2) | instid1(VALU_DEP_2)
	v_add_co_u32 v13, vcc_lo, 0, v25
	s_wait_dscnt 0x0
	s_wait_alu 0xfffd
	v_add_co_ci_u32_e64 v14, null, v26, v14, vcc_lo
.LBB1594_72:                            ;   in Loop: Header=BB1594_59 Depth=1
	s_wait_alu 0xfffe
	s_or_b32 exec_lo, exec_lo, s4
	s_wait_dscnt 0x0
	ds_bpermute_b32 v26, v44, v25
	ds_bpermute_b32 v25, v44, v14
	s_mov_b32 s4, exec_lo
	v_cmpx_le_u32_e64 v45, v16
	s_cbranch_execz .LBB1594_57
; %bb.73:                               ;   in Loop: Header=BB1594_59 Depth=1
	s_wait_dscnt 0x1
	v_add_co_u32 v13, vcc_lo, v13, v26
	s_wait_alu 0xfffd
	v_add_co_ci_u32_e64 v14, null, 0, v14, vcc_lo
	s_delay_alu instid0(VALU_DEP_2) | instskip(SKIP_2) | instid1(VALU_DEP_2)
	v_add_co_u32 v13, vcc_lo, v13, 0
	s_wait_dscnt 0x0
	s_wait_alu 0xfffd
	v_add_co_ci_u32_e64 v14, null, v14, v25, vcc_lo
	s_branch .LBB1594_57
.LBB1594_74:
                                        ; implicit-def: $vgpr13_vgpr14
                                        ; implicit-def: $vgpr21_vgpr22
                                        ; implicit-def: $vgpr11_vgpr12
                                        ; implicit-def: $vgpr14_vgpr15
                                        ; implicit-def: $vgpr15_vgpr16
	s_wait_alu 0xfffe
	s_and_b32 vcc_lo, exec_lo, s1
	s_wait_alu 0xfffe
	s_cbranch_vccnz .LBB1594_80
	s_branch .LBB1594_105
.LBB1594_75:
	s_and_saveexec_b32 s4, s1
	s_cbranch_execz .LBB1594_77
; %bb.76:
	s_add_co_i32 s10, s10, 32
	s_mov_b32 s11, 0
	v_add_co_u32 v13, vcc_lo, v11, v9
	s_wait_alu 0xfffe
	s_lshl_b64 s[10:11], s[10:11], 4
	v_dual_mov_b32 v15, 2 :: v_dual_mov_b32 v16, 0
	s_wait_alu 0xfffe
	s_add_nc_u64 s[10:11], s[12:13], s[10:11]
	s_wait_alu 0xfffd
	v_add_co_ci_u32_e64 v14, null, v12, v10, vcc_lo
	s_wait_alu 0xfffe
	v_dual_mov_b32 v24, s11 :: v_dual_mov_b32 v23, s10
	;;#ASMSTART
	global_store_b128 v[23:24], v[13:16] off scope:SCOPE_DEV	
s_wait_storecnt 0x0
	;;#ASMEND
	ds_store_b128 v16, v[9:12] offset:8448
.LBB1594_77:
	s_wait_alu 0xfffe
	s_or_b32 exec_lo, exec_lo, s4
	s_delay_alu instid0(SALU_CYCLE_1)
	s_and_b32 exec_lo, exec_lo, s2
; %bb.78:
	v_mov_b32_e32 v9, 0
	ds_store_b64 v9, v[11:12] offset:56
.LBB1594_79:
	s_wait_alu 0xfffe
	s_or_b32 exec_lo, exec_lo, s3
	v_mov_b32_e32 v9, 0
	s_wait_loadcnt_dscnt 0x0
	s_barrier_signal -1
	s_barrier_wait -1
	global_inv scope:SCOPE_SE
	ds_load_b64 v[13:14], v9 offset:56
	v_cndmask_b32_e64 v11, v35, v21, s1
	v_cndmask_b32_e64 v10, 0, v22, s1
	s_wait_loadcnt_dscnt 0x0
	s_barrier_signal -1
	s_barrier_wait -1
	v_cndmask_b32_e64 v16, v11, 0, s2
	v_cndmask_b32_e64 v15, v10, 0, s2
	global_inv scope:SCOPE_SE
	ds_load_b128 v[9:12], v9 offset:8448
	v_add_co_u32 v21, vcc_lo, v13, v16
	s_wait_alu 0xfffd
	v_add_co_ci_u32_e64 v13, null, v14, v15, vcc_lo
	s_delay_alu instid0(VALU_DEP_2) | instskip(SKIP_1) | instid1(VALU_DEP_2)
	v_add_co_u32 v15, vcc_lo, v21, v31
	s_wait_alu 0xfffd
	v_add_co_ci_u32_e64 v13, null, 0, v13, vcc_lo
	s_delay_alu instid0(VALU_DEP_2) | instskip(SKIP_1) | instid1(VALU_DEP_2)
	;; [unrolled: 4-line block ×3, first 2 shown]
	v_add_co_u32 v13, vcc_lo, v14, v32
	s_wait_alu 0xfffd
	v_add_co_ci_u32_e64 v16, null, 0, v16, vcc_lo
	s_branch .LBB1594_105
.LBB1594_80:
	s_wait_dscnt 0x0
	v_dual_mov_b32 v10, 0 :: v_dual_mov_b32 v11, v19
	v_mov_b32_dpp v12, v19 row_shr:1 row_mask:0xf bank_mask:0xf
	s_delay_alu instid0(VALU_DEP_2)
	v_mov_b32_dpp v9, v10 row_shr:1 row_mask:0xf bank_mask:0xf
	s_and_saveexec_b32 s1, s0
; %bb.81:
	s_delay_alu instid0(VALU_DEP_2) | instskip(SKIP_2) | instid1(VALU_DEP_2)
	v_add_co_u32 v11, vcc_lo, v19, v12
	s_wait_alu 0xfffd
	v_add_co_ci_u32_e64 v10, null, 0, v20, vcc_lo
	v_add_co_u32 v19, vcc_lo, 0, v11
	s_wait_alu 0xfffd
	s_delay_alu instid0(VALU_DEP_2) | instskip(NEXT) | instid1(VALU_DEP_1)
	v_add_co_ci_u32_e64 v20, null, v9, v10, vcc_lo
	v_mov_b32_e32 v10, v20
; %bb.82:
	s_wait_alu 0xfffe
	s_or_b32 exec_lo, exec_lo, s1
	v_mov_b32_dpp v9, v11 row_shr:2 row_mask:0xf bank_mask:0xf
	s_delay_alu instid0(VALU_DEP_2)
	v_mov_b32_dpp v12, v10 row_shr:2 row_mask:0xf bank_mask:0xf
	s_mov_b32 s0, exec_lo
	v_cmpx_lt_u32_e32 1, v34
; %bb.83:
	s_delay_alu instid0(VALU_DEP_3) | instskip(SKIP_2) | instid1(VALU_DEP_2)
	v_add_co_u32 v11, vcc_lo, v19, v9
	s_wait_alu 0xfffd
	v_add_co_ci_u32_e64 v10, null, 0, v20, vcc_lo
	v_add_co_u32 v9, vcc_lo, 0, v11
	s_wait_alu 0xfffd
	s_delay_alu instid0(VALU_DEP_2) | instskip(NEXT) | instid1(VALU_DEP_1)
	v_add_co_ci_u32_e64 v10, null, v12, v10, vcc_lo
	v_dual_mov_b32 v20, v10 :: v_dual_mov_b32 v19, v9
; %bb.84:
	s_wait_alu 0xfffe
	s_or_b32 exec_lo, exec_lo, s0
	v_mov_b32_dpp v9, v11 row_shr:4 row_mask:0xf bank_mask:0xf
	v_mov_b32_dpp v12, v10 row_shr:4 row_mask:0xf bank_mask:0xf
	s_mov_b32 s0, exec_lo
	v_cmpx_lt_u32_e32 3, v34
; %bb.85:
	s_delay_alu instid0(VALU_DEP_3) | instskip(SKIP_2) | instid1(VALU_DEP_2)
	v_add_co_u32 v11, vcc_lo, v19, v9
	s_wait_alu 0xfffd
	v_add_co_ci_u32_e64 v10, null, 0, v20, vcc_lo
	v_add_co_u32 v9, vcc_lo, 0, v11
	s_wait_alu 0xfffd
	s_delay_alu instid0(VALU_DEP_2) | instskip(NEXT) | instid1(VALU_DEP_1)
	v_add_co_ci_u32_e64 v10, null, v12, v10, vcc_lo
	v_dual_mov_b32 v20, v10 :: v_dual_mov_b32 v19, v9
; %bb.86:
	s_wait_alu 0xfffe
	s_or_b32 exec_lo, exec_lo, s0
	v_mov_b32_dpp v12, v11 row_shr:8 row_mask:0xf bank_mask:0xf
	v_mov_b32_dpp v9, v10 row_shr:8 row_mask:0xf bank_mask:0xf
	s_mov_b32 s0, exec_lo
	v_cmpx_lt_u32_e32 7, v34
; %bb.87:
	s_delay_alu instid0(VALU_DEP_3) | instskip(SKIP_2) | instid1(VALU_DEP_2)
	v_add_co_u32 v11, vcc_lo, v19, v12
	s_wait_alu 0xfffd
	v_add_co_ci_u32_e64 v10, null, 0, v20, vcc_lo
	v_add_co_u32 v19, vcc_lo, 0, v11
	s_wait_alu 0xfffd
	s_delay_alu instid0(VALU_DEP_2) | instskip(NEXT) | instid1(VALU_DEP_1)
	v_add_co_ci_u32_e64 v20, null, v9, v10, vcc_lo
	v_mov_b32_e32 v10, v20
; %bb.88:
	s_wait_alu 0xfffe
	s_or_b32 exec_lo, exec_lo, s0
	ds_swizzle_b32 v11, v11 offset:swizzle(BROADCAST,32,15)
	ds_swizzle_b32 v9, v10 offset:swizzle(BROADCAST,32,15)
	v_and_b32_e32 v10, 16, v33
	s_mov_b32 s0, exec_lo
	s_delay_alu instid0(VALU_DEP_1)
	v_cmpx_ne_u32_e32 0, v10
	s_cbranch_execz .LBB1594_90
; %bb.89:
	s_wait_dscnt 0x1
	v_add_co_u32 v10, vcc_lo, v19, v11
	s_wait_alu 0xfffd
	v_add_co_ci_u32_e64 v11, null, 0, v20, vcc_lo
	s_delay_alu instid0(VALU_DEP_2) | instskip(SKIP_2) | instid1(VALU_DEP_2)
	v_add_co_u32 v19, vcc_lo, v10, 0
	s_wait_dscnt 0x0
	s_wait_alu 0xfffd
	v_add_co_ci_u32_e64 v20, null, v11, v9, vcc_lo
.LBB1594_90:
	s_wait_alu 0xfffe
	s_or_b32 exec_lo, exec_lo, s0
	s_wait_dscnt 0x0
	v_or_b32_e32 v9, 31, v0
	v_lshrrev_b32_e32 v11, 5, v0
	s_mov_b32 s0, exec_lo
	s_delay_alu instid0(VALU_DEP_2)
	v_cmpx_eq_u32_e64 v0, v9
; %bb.91:
	s_delay_alu instid0(VALU_DEP_2)
	v_lshlrev_b32_e32 v9, 3, v11
	ds_store_b64 v9, v[19:20]
; %bb.92:
	s_wait_alu 0xfffe
	s_or_b32 exec_lo, exec_lo, s0
	s_delay_alu instid0(SALU_CYCLE_1)
	s_mov_b32 s0, exec_lo
	s_wait_loadcnt_dscnt 0x0
	s_barrier_signal -1
	s_barrier_wait -1
	global_inv scope:SCOPE_SE
	v_cmpx_gt_u32_e32 8, v0
	s_cbranch_execz .LBB1594_100
; %bb.93:
	v_lshlrev_b32_e32 v12, 3, v0
	s_mov_b32 s1, exec_lo
	ds_load_b64 v[9:10], v12
	s_wait_dscnt 0x0
	v_dual_mov_b32 v14, v9 :: v_dual_and_b32 v13, 7, v33
	v_mov_b32_dpp v16, v9 row_shr:1 row_mask:0xf bank_mask:0xf
	v_mov_b32_dpp v15, v10 row_shr:1 row_mask:0xf bank_mask:0xf
	s_delay_alu instid0(VALU_DEP_3)
	v_cmpx_ne_u32_e32 0, v13
; %bb.94:
	s_delay_alu instid0(VALU_DEP_3) | instskip(SKIP_2) | instid1(VALU_DEP_2)
	v_add_co_u32 v14, vcc_lo, v9, v16
	s_wait_alu 0xfffd
	v_add_co_ci_u32_e64 v10, null, 0, v10, vcc_lo
	v_add_co_u32 v9, vcc_lo, 0, v14
	s_wait_alu 0xfffd
	s_delay_alu instid0(VALU_DEP_2)
	v_add_co_ci_u32_e64 v10, null, v15, v10, vcc_lo
; %bb.95:
	s_wait_alu 0xfffe
	s_or_b32 exec_lo, exec_lo, s1
	v_mov_b32_dpp v16, v14 row_shr:2 row_mask:0xf bank_mask:0xf
	s_delay_alu instid0(VALU_DEP_2)
	v_mov_b32_dpp v15, v10 row_shr:2 row_mask:0xf bank_mask:0xf
	s_mov_b32 s1, exec_lo
	v_cmpx_lt_u32_e32 1, v13
; %bb.96:
	s_delay_alu instid0(VALU_DEP_3) | instskip(SKIP_2) | instid1(VALU_DEP_2)
	v_add_co_u32 v14, vcc_lo, v9, v16
	s_wait_alu 0xfffd
	v_add_co_ci_u32_e64 v10, null, 0, v10, vcc_lo
	v_add_co_u32 v9, vcc_lo, 0, v14
	s_wait_alu 0xfffd
	s_delay_alu instid0(VALU_DEP_2)
	v_add_co_ci_u32_e64 v10, null, v15, v10, vcc_lo
; %bb.97:
	s_wait_alu 0xfffe
	s_or_b32 exec_lo, exec_lo, s1
	v_mov_b32_dpp v15, v14 row_shr:4 row_mask:0xf bank_mask:0xf
	s_delay_alu instid0(VALU_DEP_2)
	v_mov_b32_dpp v14, v10 row_shr:4 row_mask:0xf bank_mask:0xf
	s_mov_b32 s1, exec_lo
	v_cmpx_lt_u32_e32 3, v13
; %bb.98:
	s_delay_alu instid0(VALU_DEP_3) | instskip(SKIP_2) | instid1(VALU_DEP_2)
	v_add_co_u32 v9, vcc_lo, v9, v15
	s_wait_alu 0xfffd
	v_add_co_ci_u32_e64 v10, null, 0, v10, vcc_lo
	v_add_co_u32 v9, vcc_lo, v9, 0
	s_wait_alu 0xfffd
	s_delay_alu instid0(VALU_DEP_2)
	v_add_co_ci_u32_e64 v10, null, v10, v14, vcc_lo
; %bb.99:
	s_wait_alu 0xfffe
	s_or_b32 exec_lo, exec_lo, s1
	ds_store_b64 v12, v[9:10]
.LBB1594_100:
	s_wait_alu 0xfffe
	s_or_b32 exec_lo, exec_lo, s0
	v_mov_b32_e32 v13, 0
	v_mov_b32_e32 v14, 0
	s_mov_b32 s0, exec_lo
	s_wait_loadcnt_dscnt 0x0
	s_barrier_signal -1
	s_barrier_wait -1
	global_inv scope:SCOPE_SE
	v_cmpx_lt_u32_e32 31, v0
; %bb.101:
	v_lshl_add_u32 v0, v11, 3, -8
	ds_load_b64 v[13:14], v0
; %bb.102:
	s_wait_alu 0xfffe
	s_or_b32 exec_lo, exec_lo, s0
	v_sub_co_u32 v0, vcc_lo, v33, 1
	s_wait_dscnt 0x0
	v_dual_mov_b32 v12, 0 :: v_dual_add_nc_u32 v9, v13, v19
	s_delay_alu instid0(VALU_DEP_2) | instskip(SKIP_1) | instid1(VALU_DEP_1)
	v_cmp_gt_i32_e64 s0, 0, v0
	s_wait_alu 0xf1ff
	v_cndmask_b32_e64 v0, v0, v33, s0
	s_delay_alu instid0(VALU_DEP_1)
	v_lshlrev_b32_e32 v0, 2, v0
	ds_bpermute_b32 v0, v0, v9
	ds_load_b64 v[9:10], v12 offset:56
	s_and_saveexec_b32 s0, s2
	s_cbranch_execz .LBB1594_104
; %bb.103:
	s_add_nc_u64 s[4:5], s[12:13], 0x200
	s_wait_alu 0xfffe
	v_dual_mov_b32 v11, 2 :: v_dual_mov_b32 v16, s5
	v_mov_b32_e32 v15, s4
	s_wait_dscnt 0x0
	;;#ASMSTART
	global_store_b128 v[15:16], v[9:12] off scope:SCOPE_DEV	
s_wait_storecnt 0x0
	;;#ASMEND
.LBB1594_104:
	s_wait_alu 0xfffe
	s_or_b32 exec_lo, exec_lo, s0
	s_wait_dscnt 0x1
	s_wait_alu 0xfffd
	v_dual_cndmask_b32 v0, v0, v13 :: v_dual_cndmask_b32 v11, 0, v14
	s_wait_loadcnt_dscnt 0x0
	s_barrier_signal -1
	s_barrier_wait -1
	s_delay_alu instid0(VALU_DEP_1)
	v_cndmask_b32_e64 v21, v0, 0, s2
	v_cndmask_b32_e64 v0, v11, 0, s2
	v_mov_b32_e32 v11, 0
	v_mov_b32_e32 v12, 0
	global_inv scope:SCOPE_SE
	v_add_co_u32 v15, vcc_lo, v21, v31
	s_wait_alu 0xfffd
	v_add_co_ci_u32_e64 v0, null, 0, v0, vcc_lo
	s_delay_alu instid0(VALU_DEP_2) | instskip(SKIP_1) | instid1(VALU_DEP_2)
	v_add_co_u32 v14, vcc_lo, v15, v30
	s_wait_alu 0xfffd
	v_add_co_ci_u32_e64 v0, null, 0, v0, vcc_lo
	s_delay_alu instid0(VALU_DEP_2) | instskip(SKIP_1) | instid1(VALU_DEP_2)
	v_add_co_u32 v13, vcc_lo, v14, v32
	s_wait_alu 0xfffd
	v_add_co_ci_u32_e64 v0, null, 0, v0, vcc_lo
.LBB1594_105:
	s_wait_dscnt 0x0
	v_cmp_gt_u64_e32 vcc_lo, 0x101, v[9:10]
	s_cbranch_vccz .LBB1594_108
; %bb.106:
	s_and_b32 s0, s2, s6
	s_wait_alu 0xfffe
	s_and_saveexec_b32 s1, s0
	s_cbranch_execnz .LBB1594_117
.LBB1594_107:
	s_endpgm
.LBB1594_108:
	v_and_b32_e32 v0, 1, v29
	s_mov_b32 s0, exec_lo
	s_delay_alu instid0(VALU_DEP_1)
	v_cmpx_eq_u32_e32 1, v0
; %bb.109:
	v_sub_nc_u32_e32 v0, v21, v11
	s_delay_alu instid0(VALU_DEP_1)
	v_lshlrev_b32_e32 v0, 3, v0
	ds_store_b64 v0, v[1:2]
; %bb.110:
	s_wait_alu 0xfffe
	s_or_b32 exec_lo, exec_lo, s0
	v_and_b32_e32 v0, 1, v28
	s_mov_b32 s0, exec_lo
	s_delay_alu instid0(VALU_DEP_1)
	v_cmpx_eq_u32_e32 1, v0
; %bb.111:
	v_sub_nc_u32_e32 v0, v15, v11
	s_delay_alu instid0(VALU_DEP_1)
	v_lshlrev_b32_e32 v0, 3, v0
	ds_store_b64 v0, v[5:6]
; %bb.112:
	s_wait_alu 0xfffe
	s_or_b32 exec_lo, exec_lo, s0
	;; [unrolled: 12-line block ×3, first 2 shown]
	s_and_saveexec_b32 s0, s7
; %bb.115:
	v_sub_nc_u32_e32 v0, v13, v11
	s_delay_alu instid0(VALU_DEP_1)
	v_lshlrev_b32_e32 v0, 3, v0
	ds_store_b64 v0, v[3:4]
; %bb.116:
	s_wait_alu 0xfffe
	s_or_b32 exec_lo, exec_lo, s0
	s_wait_loadcnt_dscnt 0x0
	s_barrier_signal -1
	s_barrier_wait -1
	global_inv scope:SCOPE_SE
	s_and_b32 s0, s2, s6
	s_wait_alu 0xfffe
	s_and_saveexec_b32 s1, s0
	s_cbranch_execz .LBB1594_107
.LBB1594_117:
	v_add_co_u32 v0, vcc_lo, v9, v17
	s_wait_alu 0xfffd
	v_add_co_ci_u32_e64 v1, null, v10, v18, vcc_lo
	v_mov_b32_e32 v2, 0
	s_delay_alu instid0(VALU_DEP_3) | instskip(SKIP_1) | instid1(VALU_DEP_3)
	v_add_co_u32 v0, vcc_lo, v0, v11
	s_wait_alu 0xfffd
	v_add_co_ci_u32_e64 v1, null, v1, v12, vcc_lo
	global_store_b64 v2, v[0:1], s[8:9]
	s_endpgm
.LBB1594_118:
	v_dual_mov_b32 v21, v1 :: v_dual_lshlrev_b32 v2, 3, v0
	v_dual_mov_b32 v22, v1 :: v_dual_mov_b32 v23, v1
	v_dual_mov_b32 v24, v1 :: v_dual_mov_b32 v25, v1
	s_delay_alu instid0(VALU_DEP_3)
	v_add_co_u32 v2, vcc_lo, v13, v2
	s_wait_alu 0xfffd
	v_add_co_ci_u32_e64 v3, null, 0, v14, vcc_lo
	v_mov_b32_e32 v26, v1
	flat_load_b64 v[19:20], v[2:3]
	s_wait_loadcnt_dscnt 0x0
	v_dual_mov_b32 v1, v19 :: v_dual_mov_b32 v2, v20
	v_dual_mov_b32 v3, v21 :: v_dual_mov_b32 v4, v22
	;; [unrolled: 1-line block ×4, first 2 shown]
	s_or_b32 exec_lo, exec_lo, s0
	s_delay_alu instid0(SALU_CYCLE_1)
	s_mov_b32 s0, exec_lo
	v_cmpx_gt_u32_e64 s11, v12
	s_cbranch_execz .LBB1594_9
.LBB1594_119:
	v_lshlrev_b32_e32 v3, 3, v0
	s_delay_alu instid0(VALU_DEP_1) | instskip(SKIP_4) | instid1(SALU_CYCLE_1)
	v_add_co_u32 v3, vcc_lo, v13, v3
	s_wait_alu 0xfffd
	v_add_co_ci_u32_e64 v4, null, 0, v14, vcc_lo
	flat_load_b64 v[3:4], v[3:4] offset:2048
	s_or_b32 exec_lo, exec_lo, s0
	s_mov_b32 s0, exec_lo
	v_cmpx_gt_u32_e64 s11, v11
	s_cbranch_execz .LBB1594_10
.LBB1594_120:
	v_lshlrev_b32_e32 v5, 3, v0
	s_delay_alu instid0(VALU_DEP_1) | instskip(SKIP_4) | instid1(SALU_CYCLE_1)
	v_add_co_u32 v5, vcc_lo, v13, v5
	s_wait_alu 0xfffd
	v_add_co_ci_u32_e64 v6, null, 0, v14, vcc_lo
	flat_load_b64 v[5:6], v[5:6] offset:4096
	s_or_b32 exec_lo, exec_lo, s0
	s_mov_b32 s0, exec_lo
	v_cmpx_gt_u32_e64 s11, v10
	s_cbranch_execnz .LBB1594_11
	s_branch .LBB1594_12
	.section	.rodata,"a",@progbits
	.p2align	6, 0x0
	.amdhsa_kernel _ZN7rocprim17ROCPRIM_400000_NS6detail17trampoline_kernelINS0_14default_configENS1_25partition_config_selectorILNS1_17partition_subalgoE6EdNS0_10empty_typeEbEEZZNS1_14partition_implILS5_6ELb0ES3_mN6thrust23THRUST_200600_302600_NS6detail15normal_iteratorINSA_10device_ptrIdEEEEPS6_SG_NS0_5tupleIJNSA_16discard_iteratorINSA_11use_defaultEEES6_EEENSH_IJSG_SG_EEES6_PlJNSB_9not_fun_tINSB_14equal_to_valueIdEEEEEEE10hipError_tPvRmT3_T4_T5_T6_T7_T9_mT8_P12ihipStream_tbDpT10_ENKUlT_T0_E_clISt17integral_constantIbLb0EES1A_IbLb1EEEEDaS16_S17_EUlS16_E_NS1_11comp_targetILNS1_3genE10ELNS1_11target_archE1200ELNS1_3gpuE4ELNS1_3repE0EEENS1_30default_config_static_selectorELNS0_4arch9wavefront6targetE0EEEvT1_
		.amdhsa_group_segment_fixed_size 8464
		.amdhsa_private_segment_fixed_size 0
		.amdhsa_kernarg_size 136
		.amdhsa_user_sgpr_count 2
		.amdhsa_user_sgpr_dispatch_ptr 0
		.amdhsa_user_sgpr_queue_ptr 0
		.amdhsa_user_sgpr_kernarg_segment_ptr 1
		.amdhsa_user_sgpr_dispatch_id 0
		.amdhsa_user_sgpr_private_segment_size 0
		.amdhsa_wavefront_size32 1
		.amdhsa_uses_dynamic_stack 0
		.amdhsa_enable_private_segment 0
		.amdhsa_system_sgpr_workgroup_id_x 1
		.amdhsa_system_sgpr_workgroup_id_y 0
		.amdhsa_system_sgpr_workgroup_id_z 0
		.amdhsa_system_sgpr_workgroup_info 0
		.amdhsa_system_vgpr_workitem_id 0
		.amdhsa_next_free_vgpr 47
		.amdhsa_next_free_sgpr 22
		.amdhsa_reserve_vcc 1
		.amdhsa_float_round_mode_32 0
		.amdhsa_float_round_mode_16_64 0
		.amdhsa_float_denorm_mode_32 3
		.amdhsa_float_denorm_mode_16_64 3
		.amdhsa_fp16_overflow 0
		.amdhsa_workgroup_processor_mode 1
		.amdhsa_memory_ordered 1
		.amdhsa_forward_progress 1
		.amdhsa_inst_pref_size 47
		.amdhsa_round_robin_scheduling 0
		.amdhsa_exception_fp_ieee_invalid_op 0
		.amdhsa_exception_fp_denorm_src 0
		.amdhsa_exception_fp_ieee_div_zero 0
		.amdhsa_exception_fp_ieee_overflow 0
		.amdhsa_exception_fp_ieee_underflow 0
		.amdhsa_exception_fp_ieee_inexact 0
		.amdhsa_exception_int_div_zero 0
	.end_amdhsa_kernel
	.section	.text._ZN7rocprim17ROCPRIM_400000_NS6detail17trampoline_kernelINS0_14default_configENS1_25partition_config_selectorILNS1_17partition_subalgoE6EdNS0_10empty_typeEbEEZZNS1_14partition_implILS5_6ELb0ES3_mN6thrust23THRUST_200600_302600_NS6detail15normal_iteratorINSA_10device_ptrIdEEEEPS6_SG_NS0_5tupleIJNSA_16discard_iteratorINSA_11use_defaultEEES6_EEENSH_IJSG_SG_EEES6_PlJNSB_9not_fun_tINSB_14equal_to_valueIdEEEEEEE10hipError_tPvRmT3_T4_T5_T6_T7_T9_mT8_P12ihipStream_tbDpT10_ENKUlT_T0_E_clISt17integral_constantIbLb0EES1A_IbLb1EEEEDaS16_S17_EUlS16_E_NS1_11comp_targetILNS1_3genE10ELNS1_11target_archE1200ELNS1_3gpuE4ELNS1_3repE0EEENS1_30default_config_static_selectorELNS0_4arch9wavefront6targetE0EEEvT1_,"axG",@progbits,_ZN7rocprim17ROCPRIM_400000_NS6detail17trampoline_kernelINS0_14default_configENS1_25partition_config_selectorILNS1_17partition_subalgoE6EdNS0_10empty_typeEbEEZZNS1_14partition_implILS5_6ELb0ES3_mN6thrust23THRUST_200600_302600_NS6detail15normal_iteratorINSA_10device_ptrIdEEEEPS6_SG_NS0_5tupleIJNSA_16discard_iteratorINSA_11use_defaultEEES6_EEENSH_IJSG_SG_EEES6_PlJNSB_9not_fun_tINSB_14equal_to_valueIdEEEEEEE10hipError_tPvRmT3_T4_T5_T6_T7_T9_mT8_P12ihipStream_tbDpT10_ENKUlT_T0_E_clISt17integral_constantIbLb0EES1A_IbLb1EEEEDaS16_S17_EUlS16_E_NS1_11comp_targetILNS1_3genE10ELNS1_11target_archE1200ELNS1_3gpuE4ELNS1_3repE0EEENS1_30default_config_static_selectorELNS0_4arch9wavefront6targetE0EEEvT1_,comdat
.Lfunc_end1594:
	.size	_ZN7rocprim17ROCPRIM_400000_NS6detail17trampoline_kernelINS0_14default_configENS1_25partition_config_selectorILNS1_17partition_subalgoE6EdNS0_10empty_typeEbEEZZNS1_14partition_implILS5_6ELb0ES3_mN6thrust23THRUST_200600_302600_NS6detail15normal_iteratorINSA_10device_ptrIdEEEEPS6_SG_NS0_5tupleIJNSA_16discard_iteratorINSA_11use_defaultEEES6_EEENSH_IJSG_SG_EEES6_PlJNSB_9not_fun_tINSB_14equal_to_valueIdEEEEEEE10hipError_tPvRmT3_T4_T5_T6_T7_T9_mT8_P12ihipStream_tbDpT10_ENKUlT_T0_E_clISt17integral_constantIbLb0EES1A_IbLb1EEEEDaS16_S17_EUlS16_E_NS1_11comp_targetILNS1_3genE10ELNS1_11target_archE1200ELNS1_3gpuE4ELNS1_3repE0EEENS1_30default_config_static_selectorELNS0_4arch9wavefront6targetE0EEEvT1_, .Lfunc_end1594-_ZN7rocprim17ROCPRIM_400000_NS6detail17trampoline_kernelINS0_14default_configENS1_25partition_config_selectorILNS1_17partition_subalgoE6EdNS0_10empty_typeEbEEZZNS1_14partition_implILS5_6ELb0ES3_mN6thrust23THRUST_200600_302600_NS6detail15normal_iteratorINSA_10device_ptrIdEEEEPS6_SG_NS0_5tupleIJNSA_16discard_iteratorINSA_11use_defaultEEES6_EEENSH_IJSG_SG_EEES6_PlJNSB_9not_fun_tINSB_14equal_to_valueIdEEEEEEE10hipError_tPvRmT3_T4_T5_T6_T7_T9_mT8_P12ihipStream_tbDpT10_ENKUlT_T0_E_clISt17integral_constantIbLb0EES1A_IbLb1EEEEDaS16_S17_EUlS16_E_NS1_11comp_targetILNS1_3genE10ELNS1_11target_archE1200ELNS1_3gpuE4ELNS1_3repE0EEENS1_30default_config_static_selectorELNS0_4arch9wavefront6targetE0EEEvT1_
                                        ; -- End function
	.set _ZN7rocprim17ROCPRIM_400000_NS6detail17trampoline_kernelINS0_14default_configENS1_25partition_config_selectorILNS1_17partition_subalgoE6EdNS0_10empty_typeEbEEZZNS1_14partition_implILS5_6ELb0ES3_mN6thrust23THRUST_200600_302600_NS6detail15normal_iteratorINSA_10device_ptrIdEEEEPS6_SG_NS0_5tupleIJNSA_16discard_iteratorINSA_11use_defaultEEES6_EEENSH_IJSG_SG_EEES6_PlJNSB_9not_fun_tINSB_14equal_to_valueIdEEEEEEE10hipError_tPvRmT3_T4_T5_T6_T7_T9_mT8_P12ihipStream_tbDpT10_ENKUlT_T0_E_clISt17integral_constantIbLb0EES1A_IbLb1EEEEDaS16_S17_EUlS16_E_NS1_11comp_targetILNS1_3genE10ELNS1_11target_archE1200ELNS1_3gpuE4ELNS1_3repE0EEENS1_30default_config_static_selectorELNS0_4arch9wavefront6targetE0EEEvT1_.num_vgpr, 47
	.set _ZN7rocprim17ROCPRIM_400000_NS6detail17trampoline_kernelINS0_14default_configENS1_25partition_config_selectorILNS1_17partition_subalgoE6EdNS0_10empty_typeEbEEZZNS1_14partition_implILS5_6ELb0ES3_mN6thrust23THRUST_200600_302600_NS6detail15normal_iteratorINSA_10device_ptrIdEEEEPS6_SG_NS0_5tupleIJNSA_16discard_iteratorINSA_11use_defaultEEES6_EEENSH_IJSG_SG_EEES6_PlJNSB_9not_fun_tINSB_14equal_to_valueIdEEEEEEE10hipError_tPvRmT3_T4_T5_T6_T7_T9_mT8_P12ihipStream_tbDpT10_ENKUlT_T0_E_clISt17integral_constantIbLb0EES1A_IbLb1EEEEDaS16_S17_EUlS16_E_NS1_11comp_targetILNS1_3genE10ELNS1_11target_archE1200ELNS1_3gpuE4ELNS1_3repE0EEENS1_30default_config_static_selectorELNS0_4arch9wavefront6targetE0EEEvT1_.num_agpr, 0
	.set _ZN7rocprim17ROCPRIM_400000_NS6detail17trampoline_kernelINS0_14default_configENS1_25partition_config_selectorILNS1_17partition_subalgoE6EdNS0_10empty_typeEbEEZZNS1_14partition_implILS5_6ELb0ES3_mN6thrust23THRUST_200600_302600_NS6detail15normal_iteratorINSA_10device_ptrIdEEEEPS6_SG_NS0_5tupleIJNSA_16discard_iteratorINSA_11use_defaultEEES6_EEENSH_IJSG_SG_EEES6_PlJNSB_9not_fun_tINSB_14equal_to_valueIdEEEEEEE10hipError_tPvRmT3_T4_T5_T6_T7_T9_mT8_P12ihipStream_tbDpT10_ENKUlT_T0_E_clISt17integral_constantIbLb0EES1A_IbLb1EEEEDaS16_S17_EUlS16_E_NS1_11comp_targetILNS1_3genE10ELNS1_11target_archE1200ELNS1_3gpuE4ELNS1_3repE0EEENS1_30default_config_static_selectorELNS0_4arch9wavefront6targetE0EEEvT1_.numbered_sgpr, 22
	.set _ZN7rocprim17ROCPRIM_400000_NS6detail17trampoline_kernelINS0_14default_configENS1_25partition_config_selectorILNS1_17partition_subalgoE6EdNS0_10empty_typeEbEEZZNS1_14partition_implILS5_6ELb0ES3_mN6thrust23THRUST_200600_302600_NS6detail15normal_iteratorINSA_10device_ptrIdEEEEPS6_SG_NS0_5tupleIJNSA_16discard_iteratorINSA_11use_defaultEEES6_EEENSH_IJSG_SG_EEES6_PlJNSB_9not_fun_tINSB_14equal_to_valueIdEEEEEEE10hipError_tPvRmT3_T4_T5_T6_T7_T9_mT8_P12ihipStream_tbDpT10_ENKUlT_T0_E_clISt17integral_constantIbLb0EES1A_IbLb1EEEEDaS16_S17_EUlS16_E_NS1_11comp_targetILNS1_3genE10ELNS1_11target_archE1200ELNS1_3gpuE4ELNS1_3repE0EEENS1_30default_config_static_selectorELNS0_4arch9wavefront6targetE0EEEvT1_.num_named_barrier, 0
	.set _ZN7rocprim17ROCPRIM_400000_NS6detail17trampoline_kernelINS0_14default_configENS1_25partition_config_selectorILNS1_17partition_subalgoE6EdNS0_10empty_typeEbEEZZNS1_14partition_implILS5_6ELb0ES3_mN6thrust23THRUST_200600_302600_NS6detail15normal_iteratorINSA_10device_ptrIdEEEEPS6_SG_NS0_5tupleIJNSA_16discard_iteratorINSA_11use_defaultEEES6_EEENSH_IJSG_SG_EEES6_PlJNSB_9not_fun_tINSB_14equal_to_valueIdEEEEEEE10hipError_tPvRmT3_T4_T5_T6_T7_T9_mT8_P12ihipStream_tbDpT10_ENKUlT_T0_E_clISt17integral_constantIbLb0EES1A_IbLb1EEEEDaS16_S17_EUlS16_E_NS1_11comp_targetILNS1_3genE10ELNS1_11target_archE1200ELNS1_3gpuE4ELNS1_3repE0EEENS1_30default_config_static_selectorELNS0_4arch9wavefront6targetE0EEEvT1_.private_seg_size, 0
	.set _ZN7rocprim17ROCPRIM_400000_NS6detail17trampoline_kernelINS0_14default_configENS1_25partition_config_selectorILNS1_17partition_subalgoE6EdNS0_10empty_typeEbEEZZNS1_14partition_implILS5_6ELb0ES3_mN6thrust23THRUST_200600_302600_NS6detail15normal_iteratorINSA_10device_ptrIdEEEEPS6_SG_NS0_5tupleIJNSA_16discard_iteratorINSA_11use_defaultEEES6_EEENSH_IJSG_SG_EEES6_PlJNSB_9not_fun_tINSB_14equal_to_valueIdEEEEEEE10hipError_tPvRmT3_T4_T5_T6_T7_T9_mT8_P12ihipStream_tbDpT10_ENKUlT_T0_E_clISt17integral_constantIbLb0EES1A_IbLb1EEEEDaS16_S17_EUlS16_E_NS1_11comp_targetILNS1_3genE10ELNS1_11target_archE1200ELNS1_3gpuE4ELNS1_3repE0EEENS1_30default_config_static_selectorELNS0_4arch9wavefront6targetE0EEEvT1_.uses_vcc, 1
	.set _ZN7rocprim17ROCPRIM_400000_NS6detail17trampoline_kernelINS0_14default_configENS1_25partition_config_selectorILNS1_17partition_subalgoE6EdNS0_10empty_typeEbEEZZNS1_14partition_implILS5_6ELb0ES3_mN6thrust23THRUST_200600_302600_NS6detail15normal_iteratorINSA_10device_ptrIdEEEEPS6_SG_NS0_5tupleIJNSA_16discard_iteratorINSA_11use_defaultEEES6_EEENSH_IJSG_SG_EEES6_PlJNSB_9not_fun_tINSB_14equal_to_valueIdEEEEEEE10hipError_tPvRmT3_T4_T5_T6_T7_T9_mT8_P12ihipStream_tbDpT10_ENKUlT_T0_E_clISt17integral_constantIbLb0EES1A_IbLb1EEEEDaS16_S17_EUlS16_E_NS1_11comp_targetILNS1_3genE10ELNS1_11target_archE1200ELNS1_3gpuE4ELNS1_3repE0EEENS1_30default_config_static_selectorELNS0_4arch9wavefront6targetE0EEEvT1_.uses_flat_scratch, 1
	.set _ZN7rocprim17ROCPRIM_400000_NS6detail17trampoline_kernelINS0_14default_configENS1_25partition_config_selectorILNS1_17partition_subalgoE6EdNS0_10empty_typeEbEEZZNS1_14partition_implILS5_6ELb0ES3_mN6thrust23THRUST_200600_302600_NS6detail15normal_iteratorINSA_10device_ptrIdEEEEPS6_SG_NS0_5tupleIJNSA_16discard_iteratorINSA_11use_defaultEEES6_EEENSH_IJSG_SG_EEES6_PlJNSB_9not_fun_tINSB_14equal_to_valueIdEEEEEEE10hipError_tPvRmT3_T4_T5_T6_T7_T9_mT8_P12ihipStream_tbDpT10_ENKUlT_T0_E_clISt17integral_constantIbLb0EES1A_IbLb1EEEEDaS16_S17_EUlS16_E_NS1_11comp_targetILNS1_3genE10ELNS1_11target_archE1200ELNS1_3gpuE4ELNS1_3repE0EEENS1_30default_config_static_selectorELNS0_4arch9wavefront6targetE0EEEvT1_.has_dyn_sized_stack, 0
	.set _ZN7rocprim17ROCPRIM_400000_NS6detail17trampoline_kernelINS0_14default_configENS1_25partition_config_selectorILNS1_17partition_subalgoE6EdNS0_10empty_typeEbEEZZNS1_14partition_implILS5_6ELb0ES3_mN6thrust23THRUST_200600_302600_NS6detail15normal_iteratorINSA_10device_ptrIdEEEEPS6_SG_NS0_5tupleIJNSA_16discard_iteratorINSA_11use_defaultEEES6_EEENSH_IJSG_SG_EEES6_PlJNSB_9not_fun_tINSB_14equal_to_valueIdEEEEEEE10hipError_tPvRmT3_T4_T5_T6_T7_T9_mT8_P12ihipStream_tbDpT10_ENKUlT_T0_E_clISt17integral_constantIbLb0EES1A_IbLb1EEEEDaS16_S17_EUlS16_E_NS1_11comp_targetILNS1_3genE10ELNS1_11target_archE1200ELNS1_3gpuE4ELNS1_3repE0EEENS1_30default_config_static_selectorELNS0_4arch9wavefront6targetE0EEEvT1_.has_recursion, 0
	.set _ZN7rocprim17ROCPRIM_400000_NS6detail17trampoline_kernelINS0_14default_configENS1_25partition_config_selectorILNS1_17partition_subalgoE6EdNS0_10empty_typeEbEEZZNS1_14partition_implILS5_6ELb0ES3_mN6thrust23THRUST_200600_302600_NS6detail15normal_iteratorINSA_10device_ptrIdEEEEPS6_SG_NS0_5tupleIJNSA_16discard_iteratorINSA_11use_defaultEEES6_EEENSH_IJSG_SG_EEES6_PlJNSB_9not_fun_tINSB_14equal_to_valueIdEEEEEEE10hipError_tPvRmT3_T4_T5_T6_T7_T9_mT8_P12ihipStream_tbDpT10_ENKUlT_T0_E_clISt17integral_constantIbLb0EES1A_IbLb1EEEEDaS16_S17_EUlS16_E_NS1_11comp_targetILNS1_3genE10ELNS1_11target_archE1200ELNS1_3gpuE4ELNS1_3repE0EEENS1_30default_config_static_selectorELNS0_4arch9wavefront6targetE0EEEvT1_.has_indirect_call, 0
	.section	.AMDGPU.csdata,"",@progbits
; Kernel info:
; codeLenInByte = 5900
; TotalNumSgprs: 24
; NumVgprs: 47
; ScratchSize: 0
; MemoryBound: 0
; FloatMode: 240
; IeeeMode: 1
; LDSByteSize: 8464 bytes/workgroup (compile time only)
; SGPRBlocks: 0
; VGPRBlocks: 5
; NumSGPRsForWavesPerEU: 24
; NumVGPRsForWavesPerEU: 47
; Occupancy: 16
; WaveLimiterHint : 1
; COMPUTE_PGM_RSRC2:SCRATCH_EN: 0
; COMPUTE_PGM_RSRC2:USER_SGPR: 2
; COMPUTE_PGM_RSRC2:TRAP_HANDLER: 0
; COMPUTE_PGM_RSRC2:TGID_X_EN: 1
; COMPUTE_PGM_RSRC2:TGID_Y_EN: 0
; COMPUTE_PGM_RSRC2:TGID_Z_EN: 0
; COMPUTE_PGM_RSRC2:TIDIG_COMP_CNT: 0
	.section	.text._ZN7rocprim17ROCPRIM_400000_NS6detail17trampoline_kernelINS0_14default_configENS1_25partition_config_selectorILNS1_17partition_subalgoE6EdNS0_10empty_typeEbEEZZNS1_14partition_implILS5_6ELb0ES3_mN6thrust23THRUST_200600_302600_NS6detail15normal_iteratorINSA_10device_ptrIdEEEEPS6_SG_NS0_5tupleIJNSA_16discard_iteratorINSA_11use_defaultEEES6_EEENSH_IJSG_SG_EEES6_PlJNSB_9not_fun_tINSB_14equal_to_valueIdEEEEEEE10hipError_tPvRmT3_T4_T5_T6_T7_T9_mT8_P12ihipStream_tbDpT10_ENKUlT_T0_E_clISt17integral_constantIbLb0EES1A_IbLb1EEEEDaS16_S17_EUlS16_E_NS1_11comp_targetILNS1_3genE9ELNS1_11target_archE1100ELNS1_3gpuE3ELNS1_3repE0EEENS1_30default_config_static_selectorELNS0_4arch9wavefront6targetE0EEEvT1_,"axG",@progbits,_ZN7rocprim17ROCPRIM_400000_NS6detail17trampoline_kernelINS0_14default_configENS1_25partition_config_selectorILNS1_17partition_subalgoE6EdNS0_10empty_typeEbEEZZNS1_14partition_implILS5_6ELb0ES3_mN6thrust23THRUST_200600_302600_NS6detail15normal_iteratorINSA_10device_ptrIdEEEEPS6_SG_NS0_5tupleIJNSA_16discard_iteratorINSA_11use_defaultEEES6_EEENSH_IJSG_SG_EEES6_PlJNSB_9not_fun_tINSB_14equal_to_valueIdEEEEEEE10hipError_tPvRmT3_T4_T5_T6_T7_T9_mT8_P12ihipStream_tbDpT10_ENKUlT_T0_E_clISt17integral_constantIbLb0EES1A_IbLb1EEEEDaS16_S17_EUlS16_E_NS1_11comp_targetILNS1_3genE9ELNS1_11target_archE1100ELNS1_3gpuE3ELNS1_3repE0EEENS1_30default_config_static_selectorELNS0_4arch9wavefront6targetE0EEEvT1_,comdat
	.protected	_ZN7rocprim17ROCPRIM_400000_NS6detail17trampoline_kernelINS0_14default_configENS1_25partition_config_selectorILNS1_17partition_subalgoE6EdNS0_10empty_typeEbEEZZNS1_14partition_implILS5_6ELb0ES3_mN6thrust23THRUST_200600_302600_NS6detail15normal_iteratorINSA_10device_ptrIdEEEEPS6_SG_NS0_5tupleIJNSA_16discard_iteratorINSA_11use_defaultEEES6_EEENSH_IJSG_SG_EEES6_PlJNSB_9not_fun_tINSB_14equal_to_valueIdEEEEEEE10hipError_tPvRmT3_T4_T5_T6_T7_T9_mT8_P12ihipStream_tbDpT10_ENKUlT_T0_E_clISt17integral_constantIbLb0EES1A_IbLb1EEEEDaS16_S17_EUlS16_E_NS1_11comp_targetILNS1_3genE9ELNS1_11target_archE1100ELNS1_3gpuE3ELNS1_3repE0EEENS1_30default_config_static_selectorELNS0_4arch9wavefront6targetE0EEEvT1_ ; -- Begin function _ZN7rocprim17ROCPRIM_400000_NS6detail17trampoline_kernelINS0_14default_configENS1_25partition_config_selectorILNS1_17partition_subalgoE6EdNS0_10empty_typeEbEEZZNS1_14partition_implILS5_6ELb0ES3_mN6thrust23THRUST_200600_302600_NS6detail15normal_iteratorINSA_10device_ptrIdEEEEPS6_SG_NS0_5tupleIJNSA_16discard_iteratorINSA_11use_defaultEEES6_EEENSH_IJSG_SG_EEES6_PlJNSB_9not_fun_tINSB_14equal_to_valueIdEEEEEEE10hipError_tPvRmT3_T4_T5_T6_T7_T9_mT8_P12ihipStream_tbDpT10_ENKUlT_T0_E_clISt17integral_constantIbLb0EES1A_IbLb1EEEEDaS16_S17_EUlS16_E_NS1_11comp_targetILNS1_3genE9ELNS1_11target_archE1100ELNS1_3gpuE3ELNS1_3repE0EEENS1_30default_config_static_selectorELNS0_4arch9wavefront6targetE0EEEvT1_
	.globl	_ZN7rocprim17ROCPRIM_400000_NS6detail17trampoline_kernelINS0_14default_configENS1_25partition_config_selectorILNS1_17partition_subalgoE6EdNS0_10empty_typeEbEEZZNS1_14partition_implILS5_6ELb0ES3_mN6thrust23THRUST_200600_302600_NS6detail15normal_iteratorINSA_10device_ptrIdEEEEPS6_SG_NS0_5tupleIJNSA_16discard_iteratorINSA_11use_defaultEEES6_EEENSH_IJSG_SG_EEES6_PlJNSB_9not_fun_tINSB_14equal_to_valueIdEEEEEEE10hipError_tPvRmT3_T4_T5_T6_T7_T9_mT8_P12ihipStream_tbDpT10_ENKUlT_T0_E_clISt17integral_constantIbLb0EES1A_IbLb1EEEEDaS16_S17_EUlS16_E_NS1_11comp_targetILNS1_3genE9ELNS1_11target_archE1100ELNS1_3gpuE3ELNS1_3repE0EEENS1_30default_config_static_selectorELNS0_4arch9wavefront6targetE0EEEvT1_
	.p2align	8
	.type	_ZN7rocprim17ROCPRIM_400000_NS6detail17trampoline_kernelINS0_14default_configENS1_25partition_config_selectorILNS1_17partition_subalgoE6EdNS0_10empty_typeEbEEZZNS1_14partition_implILS5_6ELb0ES3_mN6thrust23THRUST_200600_302600_NS6detail15normal_iteratorINSA_10device_ptrIdEEEEPS6_SG_NS0_5tupleIJNSA_16discard_iteratorINSA_11use_defaultEEES6_EEENSH_IJSG_SG_EEES6_PlJNSB_9not_fun_tINSB_14equal_to_valueIdEEEEEEE10hipError_tPvRmT3_T4_T5_T6_T7_T9_mT8_P12ihipStream_tbDpT10_ENKUlT_T0_E_clISt17integral_constantIbLb0EES1A_IbLb1EEEEDaS16_S17_EUlS16_E_NS1_11comp_targetILNS1_3genE9ELNS1_11target_archE1100ELNS1_3gpuE3ELNS1_3repE0EEENS1_30default_config_static_selectorELNS0_4arch9wavefront6targetE0EEEvT1_,@function
_ZN7rocprim17ROCPRIM_400000_NS6detail17trampoline_kernelINS0_14default_configENS1_25partition_config_selectorILNS1_17partition_subalgoE6EdNS0_10empty_typeEbEEZZNS1_14partition_implILS5_6ELb0ES3_mN6thrust23THRUST_200600_302600_NS6detail15normal_iteratorINSA_10device_ptrIdEEEEPS6_SG_NS0_5tupleIJNSA_16discard_iteratorINSA_11use_defaultEEES6_EEENSH_IJSG_SG_EEES6_PlJNSB_9not_fun_tINSB_14equal_to_valueIdEEEEEEE10hipError_tPvRmT3_T4_T5_T6_T7_T9_mT8_P12ihipStream_tbDpT10_ENKUlT_T0_E_clISt17integral_constantIbLb0EES1A_IbLb1EEEEDaS16_S17_EUlS16_E_NS1_11comp_targetILNS1_3genE9ELNS1_11target_archE1100ELNS1_3gpuE3ELNS1_3repE0EEENS1_30default_config_static_selectorELNS0_4arch9wavefront6targetE0EEEvT1_: ; @_ZN7rocprim17ROCPRIM_400000_NS6detail17trampoline_kernelINS0_14default_configENS1_25partition_config_selectorILNS1_17partition_subalgoE6EdNS0_10empty_typeEbEEZZNS1_14partition_implILS5_6ELb0ES3_mN6thrust23THRUST_200600_302600_NS6detail15normal_iteratorINSA_10device_ptrIdEEEEPS6_SG_NS0_5tupleIJNSA_16discard_iteratorINSA_11use_defaultEEES6_EEENSH_IJSG_SG_EEES6_PlJNSB_9not_fun_tINSB_14equal_to_valueIdEEEEEEE10hipError_tPvRmT3_T4_T5_T6_T7_T9_mT8_P12ihipStream_tbDpT10_ENKUlT_T0_E_clISt17integral_constantIbLb0EES1A_IbLb1EEEEDaS16_S17_EUlS16_E_NS1_11comp_targetILNS1_3genE9ELNS1_11target_archE1100ELNS1_3gpuE3ELNS1_3repE0EEENS1_30default_config_static_selectorELNS0_4arch9wavefront6targetE0EEEvT1_
; %bb.0:
	.section	.rodata,"a",@progbits
	.p2align	6, 0x0
	.amdhsa_kernel _ZN7rocprim17ROCPRIM_400000_NS6detail17trampoline_kernelINS0_14default_configENS1_25partition_config_selectorILNS1_17partition_subalgoE6EdNS0_10empty_typeEbEEZZNS1_14partition_implILS5_6ELb0ES3_mN6thrust23THRUST_200600_302600_NS6detail15normal_iteratorINSA_10device_ptrIdEEEEPS6_SG_NS0_5tupleIJNSA_16discard_iteratorINSA_11use_defaultEEES6_EEENSH_IJSG_SG_EEES6_PlJNSB_9not_fun_tINSB_14equal_to_valueIdEEEEEEE10hipError_tPvRmT3_T4_T5_T6_T7_T9_mT8_P12ihipStream_tbDpT10_ENKUlT_T0_E_clISt17integral_constantIbLb0EES1A_IbLb1EEEEDaS16_S17_EUlS16_E_NS1_11comp_targetILNS1_3genE9ELNS1_11target_archE1100ELNS1_3gpuE3ELNS1_3repE0EEENS1_30default_config_static_selectorELNS0_4arch9wavefront6targetE0EEEvT1_
		.amdhsa_group_segment_fixed_size 0
		.amdhsa_private_segment_fixed_size 0
		.amdhsa_kernarg_size 136
		.amdhsa_user_sgpr_count 2
		.amdhsa_user_sgpr_dispatch_ptr 0
		.amdhsa_user_sgpr_queue_ptr 0
		.amdhsa_user_sgpr_kernarg_segment_ptr 1
		.amdhsa_user_sgpr_dispatch_id 0
		.amdhsa_user_sgpr_private_segment_size 0
		.amdhsa_wavefront_size32 1
		.amdhsa_uses_dynamic_stack 0
		.amdhsa_enable_private_segment 0
		.amdhsa_system_sgpr_workgroup_id_x 1
		.amdhsa_system_sgpr_workgroup_id_y 0
		.amdhsa_system_sgpr_workgroup_id_z 0
		.amdhsa_system_sgpr_workgroup_info 0
		.amdhsa_system_vgpr_workitem_id 0
		.amdhsa_next_free_vgpr 1
		.amdhsa_next_free_sgpr 1
		.amdhsa_reserve_vcc 0
		.amdhsa_float_round_mode_32 0
		.amdhsa_float_round_mode_16_64 0
		.amdhsa_float_denorm_mode_32 3
		.amdhsa_float_denorm_mode_16_64 3
		.amdhsa_fp16_overflow 0
		.amdhsa_workgroup_processor_mode 1
		.amdhsa_memory_ordered 1
		.amdhsa_forward_progress 1
		.amdhsa_inst_pref_size 0
		.amdhsa_round_robin_scheduling 0
		.amdhsa_exception_fp_ieee_invalid_op 0
		.amdhsa_exception_fp_denorm_src 0
		.amdhsa_exception_fp_ieee_div_zero 0
		.amdhsa_exception_fp_ieee_overflow 0
		.amdhsa_exception_fp_ieee_underflow 0
		.amdhsa_exception_fp_ieee_inexact 0
		.amdhsa_exception_int_div_zero 0
	.end_amdhsa_kernel
	.section	.text._ZN7rocprim17ROCPRIM_400000_NS6detail17trampoline_kernelINS0_14default_configENS1_25partition_config_selectorILNS1_17partition_subalgoE6EdNS0_10empty_typeEbEEZZNS1_14partition_implILS5_6ELb0ES3_mN6thrust23THRUST_200600_302600_NS6detail15normal_iteratorINSA_10device_ptrIdEEEEPS6_SG_NS0_5tupleIJNSA_16discard_iteratorINSA_11use_defaultEEES6_EEENSH_IJSG_SG_EEES6_PlJNSB_9not_fun_tINSB_14equal_to_valueIdEEEEEEE10hipError_tPvRmT3_T4_T5_T6_T7_T9_mT8_P12ihipStream_tbDpT10_ENKUlT_T0_E_clISt17integral_constantIbLb0EES1A_IbLb1EEEEDaS16_S17_EUlS16_E_NS1_11comp_targetILNS1_3genE9ELNS1_11target_archE1100ELNS1_3gpuE3ELNS1_3repE0EEENS1_30default_config_static_selectorELNS0_4arch9wavefront6targetE0EEEvT1_,"axG",@progbits,_ZN7rocprim17ROCPRIM_400000_NS6detail17trampoline_kernelINS0_14default_configENS1_25partition_config_selectorILNS1_17partition_subalgoE6EdNS0_10empty_typeEbEEZZNS1_14partition_implILS5_6ELb0ES3_mN6thrust23THRUST_200600_302600_NS6detail15normal_iteratorINSA_10device_ptrIdEEEEPS6_SG_NS0_5tupleIJNSA_16discard_iteratorINSA_11use_defaultEEES6_EEENSH_IJSG_SG_EEES6_PlJNSB_9not_fun_tINSB_14equal_to_valueIdEEEEEEE10hipError_tPvRmT3_T4_T5_T6_T7_T9_mT8_P12ihipStream_tbDpT10_ENKUlT_T0_E_clISt17integral_constantIbLb0EES1A_IbLb1EEEEDaS16_S17_EUlS16_E_NS1_11comp_targetILNS1_3genE9ELNS1_11target_archE1100ELNS1_3gpuE3ELNS1_3repE0EEENS1_30default_config_static_selectorELNS0_4arch9wavefront6targetE0EEEvT1_,comdat
.Lfunc_end1595:
	.size	_ZN7rocprim17ROCPRIM_400000_NS6detail17trampoline_kernelINS0_14default_configENS1_25partition_config_selectorILNS1_17partition_subalgoE6EdNS0_10empty_typeEbEEZZNS1_14partition_implILS5_6ELb0ES3_mN6thrust23THRUST_200600_302600_NS6detail15normal_iteratorINSA_10device_ptrIdEEEEPS6_SG_NS0_5tupleIJNSA_16discard_iteratorINSA_11use_defaultEEES6_EEENSH_IJSG_SG_EEES6_PlJNSB_9not_fun_tINSB_14equal_to_valueIdEEEEEEE10hipError_tPvRmT3_T4_T5_T6_T7_T9_mT8_P12ihipStream_tbDpT10_ENKUlT_T0_E_clISt17integral_constantIbLb0EES1A_IbLb1EEEEDaS16_S17_EUlS16_E_NS1_11comp_targetILNS1_3genE9ELNS1_11target_archE1100ELNS1_3gpuE3ELNS1_3repE0EEENS1_30default_config_static_selectorELNS0_4arch9wavefront6targetE0EEEvT1_, .Lfunc_end1595-_ZN7rocprim17ROCPRIM_400000_NS6detail17trampoline_kernelINS0_14default_configENS1_25partition_config_selectorILNS1_17partition_subalgoE6EdNS0_10empty_typeEbEEZZNS1_14partition_implILS5_6ELb0ES3_mN6thrust23THRUST_200600_302600_NS6detail15normal_iteratorINSA_10device_ptrIdEEEEPS6_SG_NS0_5tupleIJNSA_16discard_iteratorINSA_11use_defaultEEES6_EEENSH_IJSG_SG_EEES6_PlJNSB_9not_fun_tINSB_14equal_to_valueIdEEEEEEE10hipError_tPvRmT3_T4_T5_T6_T7_T9_mT8_P12ihipStream_tbDpT10_ENKUlT_T0_E_clISt17integral_constantIbLb0EES1A_IbLb1EEEEDaS16_S17_EUlS16_E_NS1_11comp_targetILNS1_3genE9ELNS1_11target_archE1100ELNS1_3gpuE3ELNS1_3repE0EEENS1_30default_config_static_selectorELNS0_4arch9wavefront6targetE0EEEvT1_
                                        ; -- End function
	.set _ZN7rocprim17ROCPRIM_400000_NS6detail17trampoline_kernelINS0_14default_configENS1_25partition_config_selectorILNS1_17partition_subalgoE6EdNS0_10empty_typeEbEEZZNS1_14partition_implILS5_6ELb0ES3_mN6thrust23THRUST_200600_302600_NS6detail15normal_iteratorINSA_10device_ptrIdEEEEPS6_SG_NS0_5tupleIJNSA_16discard_iteratorINSA_11use_defaultEEES6_EEENSH_IJSG_SG_EEES6_PlJNSB_9not_fun_tINSB_14equal_to_valueIdEEEEEEE10hipError_tPvRmT3_T4_T5_T6_T7_T9_mT8_P12ihipStream_tbDpT10_ENKUlT_T0_E_clISt17integral_constantIbLb0EES1A_IbLb1EEEEDaS16_S17_EUlS16_E_NS1_11comp_targetILNS1_3genE9ELNS1_11target_archE1100ELNS1_3gpuE3ELNS1_3repE0EEENS1_30default_config_static_selectorELNS0_4arch9wavefront6targetE0EEEvT1_.num_vgpr, 0
	.set _ZN7rocprim17ROCPRIM_400000_NS6detail17trampoline_kernelINS0_14default_configENS1_25partition_config_selectorILNS1_17partition_subalgoE6EdNS0_10empty_typeEbEEZZNS1_14partition_implILS5_6ELb0ES3_mN6thrust23THRUST_200600_302600_NS6detail15normal_iteratorINSA_10device_ptrIdEEEEPS6_SG_NS0_5tupleIJNSA_16discard_iteratorINSA_11use_defaultEEES6_EEENSH_IJSG_SG_EEES6_PlJNSB_9not_fun_tINSB_14equal_to_valueIdEEEEEEE10hipError_tPvRmT3_T4_T5_T6_T7_T9_mT8_P12ihipStream_tbDpT10_ENKUlT_T0_E_clISt17integral_constantIbLb0EES1A_IbLb1EEEEDaS16_S17_EUlS16_E_NS1_11comp_targetILNS1_3genE9ELNS1_11target_archE1100ELNS1_3gpuE3ELNS1_3repE0EEENS1_30default_config_static_selectorELNS0_4arch9wavefront6targetE0EEEvT1_.num_agpr, 0
	.set _ZN7rocprim17ROCPRIM_400000_NS6detail17trampoline_kernelINS0_14default_configENS1_25partition_config_selectorILNS1_17partition_subalgoE6EdNS0_10empty_typeEbEEZZNS1_14partition_implILS5_6ELb0ES3_mN6thrust23THRUST_200600_302600_NS6detail15normal_iteratorINSA_10device_ptrIdEEEEPS6_SG_NS0_5tupleIJNSA_16discard_iteratorINSA_11use_defaultEEES6_EEENSH_IJSG_SG_EEES6_PlJNSB_9not_fun_tINSB_14equal_to_valueIdEEEEEEE10hipError_tPvRmT3_T4_T5_T6_T7_T9_mT8_P12ihipStream_tbDpT10_ENKUlT_T0_E_clISt17integral_constantIbLb0EES1A_IbLb1EEEEDaS16_S17_EUlS16_E_NS1_11comp_targetILNS1_3genE9ELNS1_11target_archE1100ELNS1_3gpuE3ELNS1_3repE0EEENS1_30default_config_static_selectorELNS0_4arch9wavefront6targetE0EEEvT1_.numbered_sgpr, 0
	.set _ZN7rocprim17ROCPRIM_400000_NS6detail17trampoline_kernelINS0_14default_configENS1_25partition_config_selectorILNS1_17partition_subalgoE6EdNS0_10empty_typeEbEEZZNS1_14partition_implILS5_6ELb0ES3_mN6thrust23THRUST_200600_302600_NS6detail15normal_iteratorINSA_10device_ptrIdEEEEPS6_SG_NS0_5tupleIJNSA_16discard_iteratorINSA_11use_defaultEEES6_EEENSH_IJSG_SG_EEES6_PlJNSB_9not_fun_tINSB_14equal_to_valueIdEEEEEEE10hipError_tPvRmT3_T4_T5_T6_T7_T9_mT8_P12ihipStream_tbDpT10_ENKUlT_T0_E_clISt17integral_constantIbLb0EES1A_IbLb1EEEEDaS16_S17_EUlS16_E_NS1_11comp_targetILNS1_3genE9ELNS1_11target_archE1100ELNS1_3gpuE3ELNS1_3repE0EEENS1_30default_config_static_selectorELNS0_4arch9wavefront6targetE0EEEvT1_.num_named_barrier, 0
	.set _ZN7rocprim17ROCPRIM_400000_NS6detail17trampoline_kernelINS0_14default_configENS1_25partition_config_selectorILNS1_17partition_subalgoE6EdNS0_10empty_typeEbEEZZNS1_14partition_implILS5_6ELb0ES3_mN6thrust23THRUST_200600_302600_NS6detail15normal_iteratorINSA_10device_ptrIdEEEEPS6_SG_NS0_5tupleIJNSA_16discard_iteratorINSA_11use_defaultEEES6_EEENSH_IJSG_SG_EEES6_PlJNSB_9not_fun_tINSB_14equal_to_valueIdEEEEEEE10hipError_tPvRmT3_T4_T5_T6_T7_T9_mT8_P12ihipStream_tbDpT10_ENKUlT_T0_E_clISt17integral_constantIbLb0EES1A_IbLb1EEEEDaS16_S17_EUlS16_E_NS1_11comp_targetILNS1_3genE9ELNS1_11target_archE1100ELNS1_3gpuE3ELNS1_3repE0EEENS1_30default_config_static_selectorELNS0_4arch9wavefront6targetE0EEEvT1_.private_seg_size, 0
	.set _ZN7rocprim17ROCPRIM_400000_NS6detail17trampoline_kernelINS0_14default_configENS1_25partition_config_selectorILNS1_17partition_subalgoE6EdNS0_10empty_typeEbEEZZNS1_14partition_implILS5_6ELb0ES3_mN6thrust23THRUST_200600_302600_NS6detail15normal_iteratorINSA_10device_ptrIdEEEEPS6_SG_NS0_5tupleIJNSA_16discard_iteratorINSA_11use_defaultEEES6_EEENSH_IJSG_SG_EEES6_PlJNSB_9not_fun_tINSB_14equal_to_valueIdEEEEEEE10hipError_tPvRmT3_T4_T5_T6_T7_T9_mT8_P12ihipStream_tbDpT10_ENKUlT_T0_E_clISt17integral_constantIbLb0EES1A_IbLb1EEEEDaS16_S17_EUlS16_E_NS1_11comp_targetILNS1_3genE9ELNS1_11target_archE1100ELNS1_3gpuE3ELNS1_3repE0EEENS1_30default_config_static_selectorELNS0_4arch9wavefront6targetE0EEEvT1_.uses_vcc, 0
	.set _ZN7rocprim17ROCPRIM_400000_NS6detail17trampoline_kernelINS0_14default_configENS1_25partition_config_selectorILNS1_17partition_subalgoE6EdNS0_10empty_typeEbEEZZNS1_14partition_implILS5_6ELb0ES3_mN6thrust23THRUST_200600_302600_NS6detail15normal_iteratorINSA_10device_ptrIdEEEEPS6_SG_NS0_5tupleIJNSA_16discard_iteratorINSA_11use_defaultEEES6_EEENSH_IJSG_SG_EEES6_PlJNSB_9not_fun_tINSB_14equal_to_valueIdEEEEEEE10hipError_tPvRmT3_T4_T5_T6_T7_T9_mT8_P12ihipStream_tbDpT10_ENKUlT_T0_E_clISt17integral_constantIbLb0EES1A_IbLb1EEEEDaS16_S17_EUlS16_E_NS1_11comp_targetILNS1_3genE9ELNS1_11target_archE1100ELNS1_3gpuE3ELNS1_3repE0EEENS1_30default_config_static_selectorELNS0_4arch9wavefront6targetE0EEEvT1_.uses_flat_scratch, 0
	.set _ZN7rocprim17ROCPRIM_400000_NS6detail17trampoline_kernelINS0_14default_configENS1_25partition_config_selectorILNS1_17partition_subalgoE6EdNS0_10empty_typeEbEEZZNS1_14partition_implILS5_6ELb0ES3_mN6thrust23THRUST_200600_302600_NS6detail15normal_iteratorINSA_10device_ptrIdEEEEPS6_SG_NS0_5tupleIJNSA_16discard_iteratorINSA_11use_defaultEEES6_EEENSH_IJSG_SG_EEES6_PlJNSB_9not_fun_tINSB_14equal_to_valueIdEEEEEEE10hipError_tPvRmT3_T4_T5_T6_T7_T9_mT8_P12ihipStream_tbDpT10_ENKUlT_T0_E_clISt17integral_constantIbLb0EES1A_IbLb1EEEEDaS16_S17_EUlS16_E_NS1_11comp_targetILNS1_3genE9ELNS1_11target_archE1100ELNS1_3gpuE3ELNS1_3repE0EEENS1_30default_config_static_selectorELNS0_4arch9wavefront6targetE0EEEvT1_.has_dyn_sized_stack, 0
	.set _ZN7rocprim17ROCPRIM_400000_NS6detail17trampoline_kernelINS0_14default_configENS1_25partition_config_selectorILNS1_17partition_subalgoE6EdNS0_10empty_typeEbEEZZNS1_14partition_implILS5_6ELb0ES3_mN6thrust23THRUST_200600_302600_NS6detail15normal_iteratorINSA_10device_ptrIdEEEEPS6_SG_NS0_5tupleIJNSA_16discard_iteratorINSA_11use_defaultEEES6_EEENSH_IJSG_SG_EEES6_PlJNSB_9not_fun_tINSB_14equal_to_valueIdEEEEEEE10hipError_tPvRmT3_T4_T5_T6_T7_T9_mT8_P12ihipStream_tbDpT10_ENKUlT_T0_E_clISt17integral_constantIbLb0EES1A_IbLb1EEEEDaS16_S17_EUlS16_E_NS1_11comp_targetILNS1_3genE9ELNS1_11target_archE1100ELNS1_3gpuE3ELNS1_3repE0EEENS1_30default_config_static_selectorELNS0_4arch9wavefront6targetE0EEEvT1_.has_recursion, 0
	.set _ZN7rocprim17ROCPRIM_400000_NS6detail17trampoline_kernelINS0_14default_configENS1_25partition_config_selectorILNS1_17partition_subalgoE6EdNS0_10empty_typeEbEEZZNS1_14partition_implILS5_6ELb0ES3_mN6thrust23THRUST_200600_302600_NS6detail15normal_iteratorINSA_10device_ptrIdEEEEPS6_SG_NS0_5tupleIJNSA_16discard_iteratorINSA_11use_defaultEEES6_EEENSH_IJSG_SG_EEES6_PlJNSB_9not_fun_tINSB_14equal_to_valueIdEEEEEEE10hipError_tPvRmT3_T4_T5_T6_T7_T9_mT8_P12ihipStream_tbDpT10_ENKUlT_T0_E_clISt17integral_constantIbLb0EES1A_IbLb1EEEEDaS16_S17_EUlS16_E_NS1_11comp_targetILNS1_3genE9ELNS1_11target_archE1100ELNS1_3gpuE3ELNS1_3repE0EEENS1_30default_config_static_selectorELNS0_4arch9wavefront6targetE0EEEvT1_.has_indirect_call, 0
	.section	.AMDGPU.csdata,"",@progbits
; Kernel info:
; codeLenInByte = 0
; TotalNumSgprs: 0
; NumVgprs: 0
; ScratchSize: 0
; MemoryBound: 0
; FloatMode: 240
; IeeeMode: 1
; LDSByteSize: 0 bytes/workgroup (compile time only)
; SGPRBlocks: 0
; VGPRBlocks: 0
; NumSGPRsForWavesPerEU: 1
; NumVGPRsForWavesPerEU: 1
; Occupancy: 16
; WaveLimiterHint : 0
; COMPUTE_PGM_RSRC2:SCRATCH_EN: 0
; COMPUTE_PGM_RSRC2:USER_SGPR: 2
; COMPUTE_PGM_RSRC2:TRAP_HANDLER: 0
; COMPUTE_PGM_RSRC2:TGID_X_EN: 1
; COMPUTE_PGM_RSRC2:TGID_Y_EN: 0
; COMPUTE_PGM_RSRC2:TGID_Z_EN: 0
; COMPUTE_PGM_RSRC2:TIDIG_COMP_CNT: 0
	.section	.text._ZN7rocprim17ROCPRIM_400000_NS6detail17trampoline_kernelINS0_14default_configENS1_25partition_config_selectorILNS1_17partition_subalgoE6EdNS0_10empty_typeEbEEZZNS1_14partition_implILS5_6ELb0ES3_mN6thrust23THRUST_200600_302600_NS6detail15normal_iteratorINSA_10device_ptrIdEEEEPS6_SG_NS0_5tupleIJNSA_16discard_iteratorINSA_11use_defaultEEES6_EEENSH_IJSG_SG_EEES6_PlJNSB_9not_fun_tINSB_14equal_to_valueIdEEEEEEE10hipError_tPvRmT3_T4_T5_T6_T7_T9_mT8_P12ihipStream_tbDpT10_ENKUlT_T0_E_clISt17integral_constantIbLb0EES1A_IbLb1EEEEDaS16_S17_EUlS16_E_NS1_11comp_targetILNS1_3genE8ELNS1_11target_archE1030ELNS1_3gpuE2ELNS1_3repE0EEENS1_30default_config_static_selectorELNS0_4arch9wavefront6targetE0EEEvT1_,"axG",@progbits,_ZN7rocprim17ROCPRIM_400000_NS6detail17trampoline_kernelINS0_14default_configENS1_25partition_config_selectorILNS1_17partition_subalgoE6EdNS0_10empty_typeEbEEZZNS1_14partition_implILS5_6ELb0ES3_mN6thrust23THRUST_200600_302600_NS6detail15normal_iteratorINSA_10device_ptrIdEEEEPS6_SG_NS0_5tupleIJNSA_16discard_iteratorINSA_11use_defaultEEES6_EEENSH_IJSG_SG_EEES6_PlJNSB_9not_fun_tINSB_14equal_to_valueIdEEEEEEE10hipError_tPvRmT3_T4_T5_T6_T7_T9_mT8_P12ihipStream_tbDpT10_ENKUlT_T0_E_clISt17integral_constantIbLb0EES1A_IbLb1EEEEDaS16_S17_EUlS16_E_NS1_11comp_targetILNS1_3genE8ELNS1_11target_archE1030ELNS1_3gpuE2ELNS1_3repE0EEENS1_30default_config_static_selectorELNS0_4arch9wavefront6targetE0EEEvT1_,comdat
	.protected	_ZN7rocprim17ROCPRIM_400000_NS6detail17trampoline_kernelINS0_14default_configENS1_25partition_config_selectorILNS1_17partition_subalgoE6EdNS0_10empty_typeEbEEZZNS1_14partition_implILS5_6ELb0ES3_mN6thrust23THRUST_200600_302600_NS6detail15normal_iteratorINSA_10device_ptrIdEEEEPS6_SG_NS0_5tupleIJNSA_16discard_iteratorINSA_11use_defaultEEES6_EEENSH_IJSG_SG_EEES6_PlJNSB_9not_fun_tINSB_14equal_to_valueIdEEEEEEE10hipError_tPvRmT3_T4_T5_T6_T7_T9_mT8_P12ihipStream_tbDpT10_ENKUlT_T0_E_clISt17integral_constantIbLb0EES1A_IbLb1EEEEDaS16_S17_EUlS16_E_NS1_11comp_targetILNS1_3genE8ELNS1_11target_archE1030ELNS1_3gpuE2ELNS1_3repE0EEENS1_30default_config_static_selectorELNS0_4arch9wavefront6targetE0EEEvT1_ ; -- Begin function _ZN7rocprim17ROCPRIM_400000_NS6detail17trampoline_kernelINS0_14default_configENS1_25partition_config_selectorILNS1_17partition_subalgoE6EdNS0_10empty_typeEbEEZZNS1_14partition_implILS5_6ELb0ES3_mN6thrust23THRUST_200600_302600_NS6detail15normal_iteratorINSA_10device_ptrIdEEEEPS6_SG_NS0_5tupleIJNSA_16discard_iteratorINSA_11use_defaultEEES6_EEENSH_IJSG_SG_EEES6_PlJNSB_9not_fun_tINSB_14equal_to_valueIdEEEEEEE10hipError_tPvRmT3_T4_T5_T6_T7_T9_mT8_P12ihipStream_tbDpT10_ENKUlT_T0_E_clISt17integral_constantIbLb0EES1A_IbLb1EEEEDaS16_S17_EUlS16_E_NS1_11comp_targetILNS1_3genE8ELNS1_11target_archE1030ELNS1_3gpuE2ELNS1_3repE0EEENS1_30default_config_static_selectorELNS0_4arch9wavefront6targetE0EEEvT1_
	.globl	_ZN7rocprim17ROCPRIM_400000_NS6detail17trampoline_kernelINS0_14default_configENS1_25partition_config_selectorILNS1_17partition_subalgoE6EdNS0_10empty_typeEbEEZZNS1_14partition_implILS5_6ELb0ES3_mN6thrust23THRUST_200600_302600_NS6detail15normal_iteratorINSA_10device_ptrIdEEEEPS6_SG_NS0_5tupleIJNSA_16discard_iteratorINSA_11use_defaultEEES6_EEENSH_IJSG_SG_EEES6_PlJNSB_9not_fun_tINSB_14equal_to_valueIdEEEEEEE10hipError_tPvRmT3_T4_T5_T6_T7_T9_mT8_P12ihipStream_tbDpT10_ENKUlT_T0_E_clISt17integral_constantIbLb0EES1A_IbLb1EEEEDaS16_S17_EUlS16_E_NS1_11comp_targetILNS1_3genE8ELNS1_11target_archE1030ELNS1_3gpuE2ELNS1_3repE0EEENS1_30default_config_static_selectorELNS0_4arch9wavefront6targetE0EEEvT1_
	.p2align	8
	.type	_ZN7rocprim17ROCPRIM_400000_NS6detail17trampoline_kernelINS0_14default_configENS1_25partition_config_selectorILNS1_17partition_subalgoE6EdNS0_10empty_typeEbEEZZNS1_14partition_implILS5_6ELb0ES3_mN6thrust23THRUST_200600_302600_NS6detail15normal_iteratorINSA_10device_ptrIdEEEEPS6_SG_NS0_5tupleIJNSA_16discard_iteratorINSA_11use_defaultEEES6_EEENSH_IJSG_SG_EEES6_PlJNSB_9not_fun_tINSB_14equal_to_valueIdEEEEEEE10hipError_tPvRmT3_T4_T5_T6_T7_T9_mT8_P12ihipStream_tbDpT10_ENKUlT_T0_E_clISt17integral_constantIbLb0EES1A_IbLb1EEEEDaS16_S17_EUlS16_E_NS1_11comp_targetILNS1_3genE8ELNS1_11target_archE1030ELNS1_3gpuE2ELNS1_3repE0EEENS1_30default_config_static_selectorELNS0_4arch9wavefront6targetE0EEEvT1_,@function
_ZN7rocprim17ROCPRIM_400000_NS6detail17trampoline_kernelINS0_14default_configENS1_25partition_config_selectorILNS1_17partition_subalgoE6EdNS0_10empty_typeEbEEZZNS1_14partition_implILS5_6ELb0ES3_mN6thrust23THRUST_200600_302600_NS6detail15normal_iteratorINSA_10device_ptrIdEEEEPS6_SG_NS0_5tupleIJNSA_16discard_iteratorINSA_11use_defaultEEES6_EEENSH_IJSG_SG_EEES6_PlJNSB_9not_fun_tINSB_14equal_to_valueIdEEEEEEE10hipError_tPvRmT3_T4_T5_T6_T7_T9_mT8_P12ihipStream_tbDpT10_ENKUlT_T0_E_clISt17integral_constantIbLb0EES1A_IbLb1EEEEDaS16_S17_EUlS16_E_NS1_11comp_targetILNS1_3genE8ELNS1_11target_archE1030ELNS1_3gpuE2ELNS1_3repE0EEENS1_30default_config_static_selectorELNS0_4arch9wavefront6targetE0EEEvT1_: ; @_ZN7rocprim17ROCPRIM_400000_NS6detail17trampoline_kernelINS0_14default_configENS1_25partition_config_selectorILNS1_17partition_subalgoE6EdNS0_10empty_typeEbEEZZNS1_14partition_implILS5_6ELb0ES3_mN6thrust23THRUST_200600_302600_NS6detail15normal_iteratorINSA_10device_ptrIdEEEEPS6_SG_NS0_5tupleIJNSA_16discard_iteratorINSA_11use_defaultEEES6_EEENSH_IJSG_SG_EEES6_PlJNSB_9not_fun_tINSB_14equal_to_valueIdEEEEEEE10hipError_tPvRmT3_T4_T5_T6_T7_T9_mT8_P12ihipStream_tbDpT10_ENKUlT_T0_E_clISt17integral_constantIbLb0EES1A_IbLb1EEEEDaS16_S17_EUlS16_E_NS1_11comp_targetILNS1_3genE8ELNS1_11target_archE1030ELNS1_3gpuE2ELNS1_3repE0EEENS1_30default_config_static_selectorELNS0_4arch9wavefront6targetE0EEEvT1_
; %bb.0:
	.section	.rodata,"a",@progbits
	.p2align	6, 0x0
	.amdhsa_kernel _ZN7rocprim17ROCPRIM_400000_NS6detail17trampoline_kernelINS0_14default_configENS1_25partition_config_selectorILNS1_17partition_subalgoE6EdNS0_10empty_typeEbEEZZNS1_14partition_implILS5_6ELb0ES3_mN6thrust23THRUST_200600_302600_NS6detail15normal_iteratorINSA_10device_ptrIdEEEEPS6_SG_NS0_5tupleIJNSA_16discard_iteratorINSA_11use_defaultEEES6_EEENSH_IJSG_SG_EEES6_PlJNSB_9not_fun_tINSB_14equal_to_valueIdEEEEEEE10hipError_tPvRmT3_T4_T5_T6_T7_T9_mT8_P12ihipStream_tbDpT10_ENKUlT_T0_E_clISt17integral_constantIbLb0EES1A_IbLb1EEEEDaS16_S17_EUlS16_E_NS1_11comp_targetILNS1_3genE8ELNS1_11target_archE1030ELNS1_3gpuE2ELNS1_3repE0EEENS1_30default_config_static_selectorELNS0_4arch9wavefront6targetE0EEEvT1_
		.amdhsa_group_segment_fixed_size 0
		.amdhsa_private_segment_fixed_size 0
		.amdhsa_kernarg_size 136
		.amdhsa_user_sgpr_count 2
		.amdhsa_user_sgpr_dispatch_ptr 0
		.amdhsa_user_sgpr_queue_ptr 0
		.amdhsa_user_sgpr_kernarg_segment_ptr 1
		.amdhsa_user_sgpr_dispatch_id 0
		.amdhsa_user_sgpr_private_segment_size 0
		.amdhsa_wavefront_size32 1
		.amdhsa_uses_dynamic_stack 0
		.amdhsa_enable_private_segment 0
		.amdhsa_system_sgpr_workgroup_id_x 1
		.amdhsa_system_sgpr_workgroup_id_y 0
		.amdhsa_system_sgpr_workgroup_id_z 0
		.amdhsa_system_sgpr_workgroup_info 0
		.amdhsa_system_vgpr_workitem_id 0
		.amdhsa_next_free_vgpr 1
		.amdhsa_next_free_sgpr 1
		.amdhsa_reserve_vcc 0
		.amdhsa_float_round_mode_32 0
		.amdhsa_float_round_mode_16_64 0
		.amdhsa_float_denorm_mode_32 3
		.amdhsa_float_denorm_mode_16_64 3
		.amdhsa_fp16_overflow 0
		.amdhsa_workgroup_processor_mode 1
		.amdhsa_memory_ordered 1
		.amdhsa_forward_progress 1
		.amdhsa_inst_pref_size 0
		.amdhsa_round_robin_scheduling 0
		.amdhsa_exception_fp_ieee_invalid_op 0
		.amdhsa_exception_fp_denorm_src 0
		.amdhsa_exception_fp_ieee_div_zero 0
		.amdhsa_exception_fp_ieee_overflow 0
		.amdhsa_exception_fp_ieee_underflow 0
		.amdhsa_exception_fp_ieee_inexact 0
		.amdhsa_exception_int_div_zero 0
	.end_amdhsa_kernel
	.section	.text._ZN7rocprim17ROCPRIM_400000_NS6detail17trampoline_kernelINS0_14default_configENS1_25partition_config_selectorILNS1_17partition_subalgoE6EdNS0_10empty_typeEbEEZZNS1_14partition_implILS5_6ELb0ES3_mN6thrust23THRUST_200600_302600_NS6detail15normal_iteratorINSA_10device_ptrIdEEEEPS6_SG_NS0_5tupleIJNSA_16discard_iteratorINSA_11use_defaultEEES6_EEENSH_IJSG_SG_EEES6_PlJNSB_9not_fun_tINSB_14equal_to_valueIdEEEEEEE10hipError_tPvRmT3_T4_T5_T6_T7_T9_mT8_P12ihipStream_tbDpT10_ENKUlT_T0_E_clISt17integral_constantIbLb0EES1A_IbLb1EEEEDaS16_S17_EUlS16_E_NS1_11comp_targetILNS1_3genE8ELNS1_11target_archE1030ELNS1_3gpuE2ELNS1_3repE0EEENS1_30default_config_static_selectorELNS0_4arch9wavefront6targetE0EEEvT1_,"axG",@progbits,_ZN7rocprim17ROCPRIM_400000_NS6detail17trampoline_kernelINS0_14default_configENS1_25partition_config_selectorILNS1_17partition_subalgoE6EdNS0_10empty_typeEbEEZZNS1_14partition_implILS5_6ELb0ES3_mN6thrust23THRUST_200600_302600_NS6detail15normal_iteratorINSA_10device_ptrIdEEEEPS6_SG_NS0_5tupleIJNSA_16discard_iteratorINSA_11use_defaultEEES6_EEENSH_IJSG_SG_EEES6_PlJNSB_9not_fun_tINSB_14equal_to_valueIdEEEEEEE10hipError_tPvRmT3_T4_T5_T6_T7_T9_mT8_P12ihipStream_tbDpT10_ENKUlT_T0_E_clISt17integral_constantIbLb0EES1A_IbLb1EEEEDaS16_S17_EUlS16_E_NS1_11comp_targetILNS1_3genE8ELNS1_11target_archE1030ELNS1_3gpuE2ELNS1_3repE0EEENS1_30default_config_static_selectorELNS0_4arch9wavefront6targetE0EEEvT1_,comdat
.Lfunc_end1596:
	.size	_ZN7rocprim17ROCPRIM_400000_NS6detail17trampoline_kernelINS0_14default_configENS1_25partition_config_selectorILNS1_17partition_subalgoE6EdNS0_10empty_typeEbEEZZNS1_14partition_implILS5_6ELb0ES3_mN6thrust23THRUST_200600_302600_NS6detail15normal_iteratorINSA_10device_ptrIdEEEEPS6_SG_NS0_5tupleIJNSA_16discard_iteratorINSA_11use_defaultEEES6_EEENSH_IJSG_SG_EEES6_PlJNSB_9not_fun_tINSB_14equal_to_valueIdEEEEEEE10hipError_tPvRmT3_T4_T5_T6_T7_T9_mT8_P12ihipStream_tbDpT10_ENKUlT_T0_E_clISt17integral_constantIbLb0EES1A_IbLb1EEEEDaS16_S17_EUlS16_E_NS1_11comp_targetILNS1_3genE8ELNS1_11target_archE1030ELNS1_3gpuE2ELNS1_3repE0EEENS1_30default_config_static_selectorELNS0_4arch9wavefront6targetE0EEEvT1_, .Lfunc_end1596-_ZN7rocprim17ROCPRIM_400000_NS6detail17trampoline_kernelINS0_14default_configENS1_25partition_config_selectorILNS1_17partition_subalgoE6EdNS0_10empty_typeEbEEZZNS1_14partition_implILS5_6ELb0ES3_mN6thrust23THRUST_200600_302600_NS6detail15normal_iteratorINSA_10device_ptrIdEEEEPS6_SG_NS0_5tupleIJNSA_16discard_iteratorINSA_11use_defaultEEES6_EEENSH_IJSG_SG_EEES6_PlJNSB_9not_fun_tINSB_14equal_to_valueIdEEEEEEE10hipError_tPvRmT3_T4_T5_T6_T7_T9_mT8_P12ihipStream_tbDpT10_ENKUlT_T0_E_clISt17integral_constantIbLb0EES1A_IbLb1EEEEDaS16_S17_EUlS16_E_NS1_11comp_targetILNS1_3genE8ELNS1_11target_archE1030ELNS1_3gpuE2ELNS1_3repE0EEENS1_30default_config_static_selectorELNS0_4arch9wavefront6targetE0EEEvT1_
                                        ; -- End function
	.set _ZN7rocprim17ROCPRIM_400000_NS6detail17trampoline_kernelINS0_14default_configENS1_25partition_config_selectorILNS1_17partition_subalgoE6EdNS0_10empty_typeEbEEZZNS1_14partition_implILS5_6ELb0ES3_mN6thrust23THRUST_200600_302600_NS6detail15normal_iteratorINSA_10device_ptrIdEEEEPS6_SG_NS0_5tupleIJNSA_16discard_iteratorINSA_11use_defaultEEES6_EEENSH_IJSG_SG_EEES6_PlJNSB_9not_fun_tINSB_14equal_to_valueIdEEEEEEE10hipError_tPvRmT3_T4_T5_T6_T7_T9_mT8_P12ihipStream_tbDpT10_ENKUlT_T0_E_clISt17integral_constantIbLb0EES1A_IbLb1EEEEDaS16_S17_EUlS16_E_NS1_11comp_targetILNS1_3genE8ELNS1_11target_archE1030ELNS1_3gpuE2ELNS1_3repE0EEENS1_30default_config_static_selectorELNS0_4arch9wavefront6targetE0EEEvT1_.num_vgpr, 0
	.set _ZN7rocprim17ROCPRIM_400000_NS6detail17trampoline_kernelINS0_14default_configENS1_25partition_config_selectorILNS1_17partition_subalgoE6EdNS0_10empty_typeEbEEZZNS1_14partition_implILS5_6ELb0ES3_mN6thrust23THRUST_200600_302600_NS6detail15normal_iteratorINSA_10device_ptrIdEEEEPS6_SG_NS0_5tupleIJNSA_16discard_iteratorINSA_11use_defaultEEES6_EEENSH_IJSG_SG_EEES6_PlJNSB_9not_fun_tINSB_14equal_to_valueIdEEEEEEE10hipError_tPvRmT3_T4_T5_T6_T7_T9_mT8_P12ihipStream_tbDpT10_ENKUlT_T0_E_clISt17integral_constantIbLb0EES1A_IbLb1EEEEDaS16_S17_EUlS16_E_NS1_11comp_targetILNS1_3genE8ELNS1_11target_archE1030ELNS1_3gpuE2ELNS1_3repE0EEENS1_30default_config_static_selectorELNS0_4arch9wavefront6targetE0EEEvT1_.num_agpr, 0
	.set _ZN7rocprim17ROCPRIM_400000_NS6detail17trampoline_kernelINS0_14default_configENS1_25partition_config_selectorILNS1_17partition_subalgoE6EdNS0_10empty_typeEbEEZZNS1_14partition_implILS5_6ELb0ES3_mN6thrust23THRUST_200600_302600_NS6detail15normal_iteratorINSA_10device_ptrIdEEEEPS6_SG_NS0_5tupleIJNSA_16discard_iteratorINSA_11use_defaultEEES6_EEENSH_IJSG_SG_EEES6_PlJNSB_9not_fun_tINSB_14equal_to_valueIdEEEEEEE10hipError_tPvRmT3_T4_T5_T6_T7_T9_mT8_P12ihipStream_tbDpT10_ENKUlT_T0_E_clISt17integral_constantIbLb0EES1A_IbLb1EEEEDaS16_S17_EUlS16_E_NS1_11comp_targetILNS1_3genE8ELNS1_11target_archE1030ELNS1_3gpuE2ELNS1_3repE0EEENS1_30default_config_static_selectorELNS0_4arch9wavefront6targetE0EEEvT1_.numbered_sgpr, 0
	.set _ZN7rocprim17ROCPRIM_400000_NS6detail17trampoline_kernelINS0_14default_configENS1_25partition_config_selectorILNS1_17partition_subalgoE6EdNS0_10empty_typeEbEEZZNS1_14partition_implILS5_6ELb0ES3_mN6thrust23THRUST_200600_302600_NS6detail15normal_iteratorINSA_10device_ptrIdEEEEPS6_SG_NS0_5tupleIJNSA_16discard_iteratorINSA_11use_defaultEEES6_EEENSH_IJSG_SG_EEES6_PlJNSB_9not_fun_tINSB_14equal_to_valueIdEEEEEEE10hipError_tPvRmT3_T4_T5_T6_T7_T9_mT8_P12ihipStream_tbDpT10_ENKUlT_T0_E_clISt17integral_constantIbLb0EES1A_IbLb1EEEEDaS16_S17_EUlS16_E_NS1_11comp_targetILNS1_3genE8ELNS1_11target_archE1030ELNS1_3gpuE2ELNS1_3repE0EEENS1_30default_config_static_selectorELNS0_4arch9wavefront6targetE0EEEvT1_.num_named_barrier, 0
	.set _ZN7rocprim17ROCPRIM_400000_NS6detail17trampoline_kernelINS0_14default_configENS1_25partition_config_selectorILNS1_17partition_subalgoE6EdNS0_10empty_typeEbEEZZNS1_14partition_implILS5_6ELb0ES3_mN6thrust23THRUST_200600_302600_NS6detail15normal_iteratorINSA_10device_ptrIdEEEEPS6_SG_NS0_5tupleIJNSA_16discard_iteratorINSA_11use_defaultEEES6_EEENSH_IJSG_SG_EEES6_PlJNSB_9not_fun_tINSB_14equal_to_valueIdEEEEEEE10hipError_tPvRmT3_T4_T5_T6_T7_T9_mT8_P12ihipStream_tbDpT10_ENKUlT_T0_E_clISt17integral_constantIbLb0EES1A_IbLb1EEEEDaS16_S17_EUlS16_E_NS1_11comp_targetILNS1_3genE8ELNS1_11target_archE1030ELNS1_3gpuE2ELNS1_3repE0EEENS1_30default_config_static_selectorELNS0_4arch9wavefront6targetE0EEEvT1_.private_seg_size, 0
	.set _ZN7rocprim17ROCPRIM_400000_NS6detail17trampoline_kernelINS0_14default_configENS1_25partition_config_selectorILNS1_17partition_subalgoE6EdNS0_10empty_typeEbEEZZNS1_14partition_implILS5_6ELb0ES3_mN6thrust23THRUST_200600_302600_NS6detail15normal_iteratorINSA_10device_ptrIdEEEEPS6_SG_NS0_5tupleIJNSA_16discard_iteratorINSA_11use_defaultEEES6_EEENSH_IJSG_SG_EEES6_PlJNSB_9not_fun_tINSB_14equal_to_valueIdEEEEEEE10hipError_tPvRmT3_T4_T5_T6_T7_T9_mT8_P12ihipStream_tbDpT10_ENKUlT_T0_E_clISt17integral_constantIbLb0EES1A_IbLb1EEEEDaS16_S17_EUlS16_E_NS1_11comp_targetILNS1_3genE8ELNS1_11target_archE1030ELNS1_3gpuE2ELNS1_3repE0EEENS1_30default_config_static_selectorELNS0_4arch9wavefront6targetE0EEEvT1_.uses_vcc, 0
	.set _ZN7rocprim17ROCPRIM_400000_NS6detail17trampoline_kernelINS0_14default_configENS1_25partition_config_selectorILNS1_17partition_subalgoE6EdNS0_10empty_typeEbEEZZNS1_14partition_implILS5_6ELb0ES3_mN6thrust23THRUST_200600_302600_NS6detail15normal_iteratorINSA_10device_ptrIdEEEEPS6_SG_NS0_5tupleIJNSA_16discard_iteratorINSA_11use_defaultEEES6_EEENSH_IJSG_SG_EEES6_PlJNSB_9not_fun_tINSB_14equal_to_valueIdEEEEEEE10hipError_tPvRmT3_T4_T5_T6_T7_T9_mT8_P12ihipStream_tbDpT10_ENKUlT_T0_E_clISt17integral_constantIbLb0EES1A_IbLb1EEEEDaS16_S17_EUlS16_E_NS1_11comp_targetILNS1_3genE8ELNS1_11target_archE1030ELNS1_3gpuE2ELNS1_3repE0EEENS1_30default_config_static_selectorELNS0_4arch9wavefront6targetE0EEEvT1_.uses_flat_scratch, 0
	.set _ZN7rocprim17ROCPRIM_400000_NS6detail17trampoline_kernelINS0_14default_configENS1_25partition_config_selectorILNS1_17partition_subalgoE6EdNS0_10empty_typeEbEEZZNS1_14partition_implILS5_6ELb0ES3_mN6thrust23THRUST_200600_302600_NS6detail15normal_iteratorINSA_10device_ptrIdEEEEPS6_SG_NS0_5tupleIJNSA_16discard_iteratorINSA_11use_defaultEEES6_EEENSH_IJSG_SG_EEES6_PlJNSB_9not_fun_tINSB_14equal_to_valueIdEEEEEEE10hipError_tPvRmT3_T4_T5_T6_T7_T9_mT8_P12ihipStream_tbDpT10_ENKUlT_T0_E_clISt17integral_constantIbLb0EES1A_IbLb1EEEEDaS16_S17_EUlS16_E_NS1_11comp_targetILNS1_3genE8ELNS1_11target_archE1030ELNS1_3gpuE2ELNS1_3repE0EEENS1_30default_config_static_selectorELNS0_4arch9wavefront6targetE0EEEvT1_.has_dyn_sized_stack, 0
	.set _ZN7rocprim17ROCPRIM_400000_NS6detail17trampoline_kernelINS0_14default_configENS1_25partition_config_selectorILNS1_17partition_subalgoE6EdNS0_10empty_typeEbEEZZNS1_14partition_implILS5_6ELb0ES3_mN6thrust23THRUST_200600_302600_NS6detail15normal_iteratorINSA_10device_ptrIdEEEEPS6_SG_NS0_5tupleIJNSA_16discard_iteratorINSA_11use_defaultEEES6_EEENSH_IJSG_SG_EEES6_PlJNSB_9not_fun_tINSB_14equal_to_valueIdEEEEEEE10hipError_tPvRmT3_T4_T5_T6_T7_T9_mT8_P12ihipStream_tbDpT10_ENKUlT_T0_E_clISt17integral_constantIbLb0EES1A_IbLb1EEEEDaS16_S17_EUlS16_E_NS1_11comp_targetILNS1_3genE8ELNS1_11target_archE1030ELNS1_3gpuE2ELNS1_3repE0EEENS1_30default_config_static_selectorELNS0_4arch9wavefront6targetE0EEEvT1_.has_recursion, 0
	.set _ZN7rocprim17ROCPRIM_400000_NS6detail17trampoline_kernelINS0_14default_configENS1_25partition_config_selectorILNS1_17partition_subalgoE6EdNS0_10empty_typeEbEEZZNS1_14partition_implILS5_6ELb0ES3_mN6thrust23THRUST_200600_302600_NS6detail15normal_iteratorINSA_10device_ptrIdEEEEPS6_SG_NS0_5tupleIJNSA_16discard_iteratorINSA_11use_defaultEEES6_EEENSH_IJSG_SG_EEES6_PlJNSB_9not_fun_tINSB_14equal_to_valueIdEEEEEEE10hipError_tPvRmT3_T4_T5_T6_T7_T9_mT8_P12ihipStream_tbDpT10_ENKUlT_T0_E_clISt17integral_constantIbLb0EES1A_IbLb1EEEEDaS16_S17_EUlS16_E_NS1_11comp_targetILNS1_3genE8ELNS1_11target_archE1030ELNS1_3gpuE2ELNS1_3repE0EEENS1_30default_config_static_selectorELNS0_4arch9wavefront6targetE0EEEvT1_.has_indirect_call, 0
	.section	.AMDGPU.csdata,"",@progbits
; Kernel info:
; codeLenInByte = 0
; TotalNumSgprs: 0
; NumVgprs: 0
; ScratchSize: 0
; MemoryBound: 0
; FloatMode: 240
; IeeeMode: 1
; LDSByteSize: 0 bytes/workgroup (compile time only)
; SGPRBlocks: 0
; VGPRBlocks: 0
; NumSGPRsForWavesPerEU: 1
; NumVGPRsForWavesPerEU: 1
; Occupancy: 16
; WaveLimiterHint : 0
; COMPUTE_PGM_RSRC2:SCRATCH_EN: 0
; COMPUTE_PGM_RSRC2:USER_SGPR: 2
; COMPUTE_PGM_RSRC2:TRAP_HANDLER: 0
; COMPUTE_PGM_RSRC2:TGID_X_EN: 1
; COMPUTE_PGM_RSRC2:TGID_Y_EN: 0
; COMPUTE_PGM_RSRC2:TGID_Z_EN: 0
; COMPUTE_PGM_RSRC2:TIDIG_COMP_CNT: 0
	.section	.text._ZN7rocprim17ROCPRIM_400000_NS6detail17trampoline_kernelINS0_14default_configENS1_25partition_config_selectorILNS1_17partition_subalgoE6EfNS0_10empty_typeEbEEZZNS1_14partition_implILS5_6ELb0ES3_mN6thrust23THRUST_200600_302600_NS6detail15normal_iteratorINSA_10device_ptrIfEEEEPS6_SG_NS0_5tupleIJNSA_16discard_iteratorINSA_11use_defaultEEES6_EEENSH_IJSG_SG_EEES6_PlJNSB_9not_fun_tINSB_14equal_to_valueIfEEEEEEE10hipError_tPvRmT3_T4_T5_T6_T7_T9_mT8_P12ihipStream_tbDpT10_ENKUlT_T0_E_clISt17integral_constantIbLb0EES1B_EEDaS16_S17_EUlS16_E_NS1_11comp_targetILNS1_3genE0ELNS1_11target_archE4294967295ELNS1_3gpuE0ELNS1_3repE0EEENS1_30default_config_static_selectorELNS0_4arch9wavefront6targetE0EEEvT1_,"axG",@progbits,_ZN7rocprim17ROCPRIM_400000_NS6detail17trampoline_kernelINS0_14default_configENS1_25partition_config_selectorILNS1_17partition_subalgoE6EfNS0_10empty_typeEbEEZZNS1_14partition_implILS5_6ELb0ES3_mN6thrust23THRUST_200600_302600_NS6detail15normal_iteratorINSA_10device_ptrIfEEEEPS6_SG_NS0_5tupleIJNSA_16discard_iteratorINSA_11use_defaultEEES6_EEENSH_IJSG_SG_EEES6_PlJNSB_9not_fun_tINSB_14equal_to_valueIfEEEEEEE10hipError_tPvRmT3_T4_T5_T6_T7_T9_mT8_P12ihipStream_tbDpT10_ENKUlT_T0_E_clISt17integral_constantIbLb0EES1B_EEDaS16_S17_EUlS16_E_NS1_11comp_targetILNS1_3genE0ELNS1_11target_archE4294967295ELNS1_3gpuE0ELNS1_3repE0EEENS1_30default_config_static_selectorELNS0_4arch9wavefront6targetE0EEEvT1_,comdat
	.protected	_ZN7rocprim17ROCPRIM_400000_NS6detail17trampoline_kernelINS0_14default_configENS1_25partition_config_selectorILNS1_17partition_subalgoE6EfNS0_10empty_typeEbEEZZNS1_14partition_implILS5_6ELb0ES3_mN6thrust23THRUST_200600_302600_NS6detail15normal_iteratorINSA_10device_ptrIfEEEEPS6_SG_NS0_5tupleIJNSA_16discard_iteratorINSA_11use_defaultEEES6_EEENSH_IJSG_SG_EEES6_PlJNSB_9not_fun_tINSB_14equal_to_valueIfEEEEEEE10hipError_tPvRmT3_T4_T5_T6_T7_T9_mT8_P12ihipStream_tbDpT10_ENKUlT_T0_E_clISt17integral_constantIbLb0EES1B_EEDaS16_S17_EUlS16_E_NS1_11comp_targetILNS1_3genE0ELNS1_11target_archE4294967295ELNS1_3gpuE0ELNS1_3repE0EEENS1_30default_config_static_selectorELNS0_4arch9wavefront6targetE0EEEvT1_ ; -- Begin function _ZN7rocprim17ROCPRIM_400000_NS6detail17trampoline_kernelINS0_14default_configENS1_25partition_config_selectorILNS1_17partition_subalgoE6EfNS0_10empty_typeEbEEZZNS1_14partition_implILS5_6ELb0ES3_mN6thrust23THRUST_200600_302600_NS6detail15normal_iteratorINSA_10device_ptrIfEEEEPS6_SG_NS0_5tupleIJNSA_16discard_iteratorINSA_11use_defaultEEES6_EEENSH_IJSG_SG_EEES6_PlJNSB_9not_fun_tINSB_14equal_to_valueIfEEEEEEE10hipError_tPvRmT3_T4_T5_T6_T7_T9_mT8_P12ihipStream_tbDpT10_ENKUlT_T0_E_clISt17integral_constantIbLb0EES1B_EEDaS16_S17_EUlS16_E_NS1_11comp_targetILNS1_3genE0ELNS1_11target_archE4294967295ELNS1_3gpuE0ELNS1_3repE0EEENS1_30default_config_static_selectorELNS0_4arch9wavefront6targetE0EEEvT1_
	.globl	_ZN7rocprim17ROCPRIM_400000_NS6detail17trampoline_kernelINS0_14default_configENS1_25partition_config_selectorILNS1_17partition_subalgoE6EfNS0_10empty_typeEbEEZZNS1_14partition_implILS5_6ELb0ES3_mN6thrust23THRUST_200600_302600_NS6detail15normal_iteratorINSA_10device_ptrIfEEEEPS6_SG_NS0_5tupleIJNSA_16discard_iteratorINSA_11use_defaultEEES6_EEENSH_IJSG_SG_EEES6_PlJNSB_9not_fun_tINSB_14equal_to_valueIfEEEEEEE10hipError_tPvRmT3_T4_T5_T6_T7_T9_mT8_P12ihipStream_tbDpT10_ENKUlT_T0_E_clISt17integral_constantIbLb0EES1B_EEDaS16_S17_EUlS16_E_NS1_11comp_targetILNS1_3genE0ELNS1_11target_archE4294967295ELNS1_3gpuE0ELNS1_3repE0EEENS1_30default_config_static_selectorELNS0_4arch9wavefront6targetE0EEEvT1_
	.p2align	8
	.type	_ZN7rocprim17ROCPRIM_400000_NS6detail17trampoline_kernelINS0_14default_configENS1_25partition_config_selectorILNS1_17partition_subalgoE6EfNS0_10empty_typeEbEEZZNS1_14partition_implILS5_6ELb0ES3_mN6thrust23THRUST_200600_302600_NS6detail15normal_iteratorINSA_10device_ptrIfEEEEPS6_SG_NS0_5tupleIJNSA_16discard_iteratorINSA_11use_defaultEEES6_EEENSH_IJSG_SG_EEES6_PlJNSB_9not_fun_tINSB_14equal_to_valueIfEEEEEEE10hipError_tPvRmT3_T4_T5_T6_T7_T9_mT8_P12ihipStream_tbDpT10_ENKUlT_T0_E_clISt17integral_constantIbLb0EES1B_EEDaS16_S17_EUlS16_E_NS1_11comp_targetILNS1_3genE0ELNS1_11target_archE4294967295ELNS1_3gpuE0ELNS1_3repE0EEENS1_30default_config_static_selectorELNS0_4arch9wavefront6targetE0EEEvT1_,@function
_ZN7rocprim17ROCPRIM_400000_NS6detail17trampoline_kernelINS0_14default_configENS1_25partition_config_selectorILNS1_17partition_subalgoE6EfNS0_10empty_typeEbEEZZNS1_14partition_implILS5_6ELb0ES3_mN6thrust23THRUST_200600_302600_NS6detail15normal_iteratorINSA_10device_ptrIfEEEEPS6_SG_NS0_5tupleIJNSA_16discard_iteratorINSA_11use_defaultEEES6_EEENSH_IJSG_SG_EEES6_PlJNSB_9not_fun_tINSB_14equal_to_valueIfEEEEEEE10hipError_tPvRmT3_T4_T5_T6_T7_T9_mT8_P12ihipStream_tbDpT10_ENKUlT_T0_E_clISt17integral_constantIbLb0EES1B_EEDaS16_S17_EUlS16_E_NS1_11comp_targetILNS1_3genE0ELNS1_11target_archE4294967295ELNS1_3gpuE0ELNS1_3repE0EEENS1_30default_config_static_selectorELNS0_4arch9wavefront6targetE0EEEvT1_: ; @_ZN7rocprim17ROCPRIM_400000_NS6detail17trampoline_kernelINS0_14default_configENS1_25partition_config_selectorILNS1_17partition_subalgoE6EfNS0_10empty_typeEbEEZZNS1_14partition_implILS5_6ELb0ES3_mN6thrust23THRUST_200600_302600_NS6detail15normal_iteratorINSA_10device_ptrIfEEEEPS6_SG_NS0_5tupleIJNSA_16discard_iteratorINSA_11use_defaultEEES6_EEENSH_IJSG_SG_EEES6_PlJNSB_9not_fun_tINSB_14equal_to_valueIfEEEEEEE10hipError_tPvRmT3_T4_T5_T6_T7_T9_mT8_P12ihipStream_tbDpT10_ENKUlT_T0_E_clISt17integral_constantIbLb0EES1B_EEDaS16_S17_EUlS16_E_NS1_11comp_targetILNS1_3genE0ELNS1_11target_archE4294967295ELNS1_3gpuE0ELNS1_3repE0EEENS1_30default_config_static_selectorELNS0_4arch9wavefront6targetE0EEEvT1_
; %bb.0:
	.section	.rodata,"a",@progbits
	.p2align	6, 0x0
	.amdhsa_kernel _ZN7rocprim17ROCPRIM_400000_NS6detail17trampoline_kernelINS0_14default_configENS1_25partition_config_selectorILNS1_17partition_subalgoE6EfNS0_10empty_typeEbEEZZNS1_14partition_implILS5_6ELb0ES3_mN6thrust23THRUST_200600_302600_NS6detail15normal_iteratorINSA_10device_ptrIfEEEEPS6_SG_NS0_5tupleIJNSA_16discard_iteratorINSA_11use_defaultEEES6_EEENSH_IJSG_SG_EEES6_PlJNSB_9not_fun_tINSB_14equal_to_valueIfEEEEEEE10hipError_tPvRmT3_T4_T5_T6_T7_T9_mT8_P12ihipStream_tbDpT10_ENKUlT_T0_E_clISt17integral_constantIbLb0EES1B_EEDaS16_S17_EUlS16_E_NS1_11comp_targetILNS1_3genE0ELNS1_11target_archE4294967295ELNS1_3gpuE0ELNS1_3repE0EEENS1_30default_config_static_selectorELNS0_4arch9wavefront6targetE0EEEvT1_
		.amdhsa_group_segment_fixed_size 0
		.amdhsa_private_segment_fixed_size 0
		.amdhsa_kernarg_size 128
		.amdhsa_user_sgpr_count 2
		.amdhsa_user_sgpr_dispatch_ptr 0
		.amdhsa_user_sgpr_queue_ptr 0
		.amdhsa_user_sgpr_kernarg_segment_ptr 1
		.amdhsa_user_sgpr_dispatch_id 0
		.amdhsa_user_sgpr_private_segment_size 0
		.amdhsa_wavefront_size32 1
		.amdhsa_uses_dynamic_stack 0
		.amdhsa_enable_private_segment 0
		.amdhsa_system_sgpr_workgroup_id_x 1
		.amdhsa_system_sgpr_workgroup_id_y 0
		.amdhsa_system_sgpr_workgroup_id_z 0
		.amdhsa_system_sgpr_workgroup_info 0
		.amdhsa_system_vgpr_workitem_id 0
		.amdhsa_next_free_vgpr 1
		.amdhsa_next_free_sgpr 1
		.amdhsa_reserve_vcc 0
		.amdhsa_float_round_mode_32 0
		.amdhsa_float_round_mode_16_64 0
		.amdhsa_float_denorm_mode_32 3
		.amdhsa_float_denorm_mode_16_64 3
		.amdhsa_fp16_overflow 0
		.amdhsa_workgroup_processor_mode 1
		.amdhsa_memory_ordered 1
		.amdhsa_forward_progress 1
		.amdhsa_inst_pref_size 0
		.amdhsa_round_robin_scheduling 0
		.amdhsa_exception_fp_ieee_invalid_op 0
		.amdhsa_exception_fp_denorm_src 0
		.amdhsa_exception_fp_ieee_div_zero 0
		.amdhsa_exception_fp_ieee_overflow 0
		.amdhsa_exception_fp_ieee_underflow 0
		.amdhsa_exception_fp_ieee_inexact 0
		.amdhsa_exception_int_div_zero 0
	.end_amdhsa_kernel
	.section	.text._ZN7rocprim17ROCPRIM_400000_NS6detail17trampoline_kernelINS0_14default_configENS1_25partition_config_selectorILNS1_17partition_subalgoE6EfNS0_10empty_typeEbEEZZNS1_14partition_implILS5_6ELb0ES3_mN6thrust23THRUST_200600_302600_NS6detail15normal_iteratorINSA_10device_ptrIfEEEEPS6_SG_NS0_5tupleIJNSA_16discard_iteratorINSA_11use_defaultEEES6_EEENSH_IJSG_SG_EEES6_PlJNSB_9not_fun_tINSB_14equal_to_valueIfEEEEEEE10hipError_tPvRmT3_T4_T5_T6_T7_T9_mT8_P12ihipStream_tbDpT10_ENKUlT_T0_E_clISt17integral_constantIbLb0EES1B_EEDaS16_S17_EUlS16_E_NS1_11comp_targetILNS1_3genE0ELNS1_11target_archE4294967295ELNS1_3gpuE0ELNS1_3repE0EEENS1_30default_config_static_selectorELNS0_4arch9wavefront6targetE0EEEvT1_,"axG",@progbits,_ZN7rocprim17ROCPRIM_400000_NS6detail17trampoline_kernelINS0_14default_configENS1_25partition_config_selectorILNS1_17partition_subalgoE6EfNS0_10empty_typeEbEEZZNS1_14partition_implILS5_6ELb0ES3_mN6thrust23THRUST_200600_302600_NS6detail15normal_iteratorINSA_10device_ptrIfEEEEPS6_SG_NS0_5tupleIJNSA_16discard_iteratorINSA_11use_defaultEEES6_EEENSH_IJSG_SG_EEES6_PlJNSB_9not_fun_tINSB_14equal_to_valueIfEEEEEEE10hipError_tPvRmT3_T4_T5_T6_T7_T9_mT8_P12ihipStream_tbDpT10_ENKUlT_T0_E_clISt17integral_constantIbLb0EES1B_EEDaS16_S17_EUlS16_E_NS1_11comp_targetILNS1_3genE0ELNS1_11target_archE4294967295ELNS1_3gpuE0ELNS1_3repE0EEENS1_30default_config_static_selectorELNS0_4arch9wavefront6targetE0EEEvT1_,comdat
.Lfunc_end1597:
	.size	_ZN7rocprim17ROCPRIM_400000_NS6detail17trampoline_kernelINS0_14default_configENS1_25partition_config_selectorILNS1_17partition_subalgoE6EfNS0_10empty_typeEbEEZZNS1_14partition_implILS5_6ELb0ES3_mN6thrust23THRUST_200600_302600_NS6detail15normal_iteratorINSA_10device_ptrIfEEEEPS6_SG_NS0_5tupleIJNSA_16discard_iteratorINSA_11use_defaultEEES6_EEENSH_IJSG_SG_EEES6_PlJNSB_9not_fun_tINSB_14equal_to_valueIfEEEEEEE10hipError_tPvRmT3_T4_T5_T6_T7_T9_mT8_P12ihipStream_tbDpT10_ENKUlT_T0_E_clISt17integral_constantIbLb0EES1B_EEDaS16_S17_EUlS16_E_NS1_11comp_targetILNS1_3genE0ELNS1_11target_archE4294967295ELNS1_3gpuE0ELNS1_3repE0EEENS1_30default_config_static_selectorELNS0_4arch9wavefront6targetE0EEEvT1_, .Lfunc_end1597-_ZN7rocprim17ROCPRIM_400000_NS6detail17trampoline_kernelINS0_14default_configENS1_25partition_config_selectorILNS1_17partition_subalgoE6EfNS0_10empty_typeEbEEZZNS1_14partition_implILS5_6ELb0ES3_mN6thrust23THRUST_200600_302600_NS6detail15normal_iteratorINSA_10device_ptrIfEEEEPS6_SG_NS0_5tupleIJNSA_16discard_iteratorINSA_11use_defaultEEES6_EEENSH_IJSG_SG_EEES6_PlJNSB_9not_fun_tINSB_14equal_to_valueIfEEEEEEE10hipError_tPvRmT3_T4_T5_T6_T7_T9_mT8_P12ihipStream_tbDpT10_ENKUlT_T0_E_clISt17integral_constantIbLb0EES1B_EEDaS16_S17_EUlS16_E_NS1_11comp_targetILNS1_3genE0ELNS1_11target_archE4294967295ELNS1_3gpuE0ELNS1_3repE0EEENS1_30default_config_static_selectorELNS0_4arch9wavefront6targetE0EEEvT1_
                                        ; -- End function
	.set _ZN7rocprim17ROCPRIM_400000_NS6detail17trampoline_kernelINS0_14default_configENS1_25partition_config_selectorILNS1_17partition_subalgoE6EfNS0_10empty_typeEbEEZZNS1_14partition_implILS5_6ELb0ES3_mN6thrust23THRUST_200600_302600_NS6detail15normal_iteratorINSA_10device_ptrIfEEEEPS6_SG_NS0_5tupleIJNSA_16discard_iteratorINSA_11use_defaultEEES6_EEENSH_IJSG_SG_EEES6_PlJNSB_9not_fun_tINSB_14equal_to_valueIfEEEEEEE10hipError_tPvRmT3_T4_T5_T6_T7_T9_mT8_P12ihipStream_tbDpT10_ENKUlT_T0_E_clISt17integral_constantIbLb0EES1B_EEDaS16_S17_EUlS16_E_NS1_11comp_targetILNS1_3genE0ELNS1_11target_archE4294967295ELNS1_3gpuE0ELNS1_3repE0EEENS1_30default_config_static_selectorELNS0_4arch9wavefront6targetE0EEEvT1_.num_vgpr, 0
	.set _ZN7rocprim17ROCPRIM_400000_NS6detail17trampoline_kernelINS0_14default_configENS1_25partition_config_selectorILNS1_17partition_subalgoE6EfNS0_10empty_typeEbEEZZNS1_14partition_implILS5_6ELb0ES3_mN6thrust23THRUST_200600_302600_NS6detail15normal_iteratorINSA_10device_ptrIfEEEEPS6_SG_NS0_5tupleIJNSA_16discard_iteratorINSA_11use_defaultEEES6_EEENSH_IJSG_SG_EEES6_PlJNSB_9not_fun_tINSB_14equal_to_valueIfEEEEEEE10hipError_tPvRmT3_T4_T5_T6_T7_T9_mT8_P12ihipStream_tbDpT10_ENKUlT_T0_E_clISt17integral_constantIbLb0EES1B_EEDaS16_S17_EUlS16_E_NS1_11comp_targetILNS1_3genE0ELNS1_11target_archE4294967295ELNS1_3gpuE0ELNS1_3repE0EEENS1_30default_config_static_selectorELNS0_4arch9wavefront6targetE0EEEvT1_.num_agpr, 0
	.set _ZN7rocprim17ROCPRIM_400000_NS6detail17trampoline_kernelINS0_14default_configENS1_25partition_config_selectorILNS1_17partition_subalgoE6EfNS0_10empty_typeEbEEZZNS1_14partition_implILS5_6ELb0ES3_mN6thrust23THRUST_200600_302600_NS6detail15normal_iteratorINSA_10device_ptrIfEEEEPS6_SG_NS0_5tupleIJNSA_16discard_iteratorINSA_11use_defaultEEES6_EEENSH_IJSG_SG_EEES6_PlJNSB_9not_fun_tINSB_14equal_to_valueIfEEEEEEE10hipError_tPvRmT3_T4_T5_T6_T7_T9_mT8_P12ihipStream_tbDpT10_ENKUlT_T0_E_clISt17integral_constantIbLb0EES1B_EEDaS16_S17_EUlS16_E_NS1_11comp_targetILNS1_3genE0ELNS1_11target_archE4294967295ELNS1_3gpuE0ELNS1_3repE0EEENS1_30default_config_static_selectorELNS0_4arch9wavefront6targetE0EEEvT1_.numbered_sgpr, 0
	.set _ZN7rocprim17ROCPRIM_400000_NS6detail17trampoline_kernelINS0_14default_configENS1_25partition_config_selectorILNS1_17partition_subalgoE6EfNS0_10empty_typeEbEEZZNS1_14partition_implILS5_6ELb0ES3_mN6thrust23THRUST_200600_302600_NS6detail15normal_iteratorINSA_10device_ptrIfEEEEPS6_SG_NS0_5tupleIJNSA_16discard_iteratorINSA_11use_defaultEEES6_EEENSH_IJSG_SG_EEES6_PlJNSB_9not_fun_tINSB_14equal_to_valueIfEEEEEEE10hipError_tPvRmT3_T4_T5_T6_T7_T9_mT8_P12ihipStream_tbDpT10_ENKUlT_T0_E_clISt17integral_constantIbLb0EES1B_EEDaS16_S17_EUlS16_E_NS1_11comp_targetILNS1_3genE0ELNS1_11target_archE4294967295ELNS1_3gpuE0ELNS1_3repE0EEENS1_30default_config_static_selectorELNS0_4arch9wavefront6targetE0EEEvT1_.num_named_barrier, 0
	.set _ZN7rocprim17ROCPRIM_400000_NS6detail17trampoline_kernelINS0_14default_configENS1_25partition_config_selectorILNS1_17partition_subalgoE6EfNS0_10empty_typeEbEEZZNS1_14partition_implILS5_6ELb0ES3_mN6thrust23THRUST_200600_302600_NS6detail15normal_iteratorINSA_10device_ptrIfEEEEPS6_SG_NS0_5tupleIJNSA_16discard_iteratorINSA_11use_defaultEEES6_EEENSH_IJSG_SG_EEES6_PlJNSB_9not_fun_tINSB_14equal_to_valueIfEEEEEEE10hipError_tPvRmT3_T4_T5_T6_T7_T9_mT8_P12ihipStream_tbDpT10_ENKUlT_T0_E_clISt17integral_constantIbLb0EES1B_EEDaS16_S17_EUlS16_E_NS1_11comp_targetILNS1_3genE0ELNS1_11target_archE4294967295ELNS1_3gpuE0ELNS1_3repE0EEENS1_30default_config_static_selectorELNS0_4arch9wavefront6targetE0EEEvT1_.private_seg_size, 0
	.set _ZN7rocprim17ROCPRIM_400000_NS6detail17trampoline_kernelINS0_14default_configENS1_25partition_config_selectorILNS1_17partition_subalgoE6EfNS0_10empty_typeEbEEZZNS1_14partition_implILS5_6ELb0ES3_mN6thrust23THRUST_200600_302600_NS6detail15normal_iteratorINSA_10device_ptrIfEEEEPS6_SG_NS0_5tupleIJNSA_16discard_iteratorINSA_11use_defaultEEES6_EEENSH_IJSG_SG_EEES6_PlJNSB_9not_fun_tINSB_14equal_to_valueIfEEEEEEE10hipError_tPvRmT3_T4_T5_T6_T7_T9_mT8_P12ihipStream_tbDpT10_ENKUlT_T0_E_clISt17integral_constantIbLb0EES1B_EEDaS16_S17_EUlS16_E_NS1_11comp_targetILNS1_3genE0ELNS1_11target_archE4294967295ELNS1_3gpuE0ELNS1_3repE0EEENS1_30default_config_static_selectorELNS0_4arch9wavefront6targetE0EEEvT1_.uses_vcc, 0
	.set _ZN7rocprim17ROCPRIM_400000_NS6detail17trampoline_kernelINS0_14default_configENS1_25partition_config_selectorILNS1_17partition_subalgoE6EfNS0_10empty_typeEbEEZZNS1_14partition_implILS5_6ELb0ES3_mN6thrust23THRUST_200600_302600_NS6detail15normal_iteratorINSA_10device_ptrIfEEEEPS6_SG_NS0_5tupleIJNSA_16discard_iteratorINSA_11use_defaultEEES6_EEENSH_IJSG_SG_EEES6_PlJNSB_9not_fun_tINSB_14equal_to_valueIfEEEEEEE10hipError_tPvRmT3_T4_T5_T6_T7_T9_mT8_P12ihipStream_tbDpT10_ENKUlT_T0_E_clISt17integral_constantIbLb0EES1B_EEDaS16_S17_EUlS16_E_NS1_11comp_targetILNS1_3genE0ELNS1_11target_archE4294967295ELNS1_3gpuE0ELNS1_3repE0EEENS1_30default_config_static_selectorELNS0_4arch9wavefront6targetE0EEEvT1_.uses_flat_scratch, 0
	.set _ZN7rocprim17ROCPRIM_400000_NS6detail17trampoline_kernelINS0_14default_configENS1_25partition_config_selectorILNS1_17partition_subalgoE6EfNS0_10empty_typeEbEEZZNS1_14partition_implILS5_6ELb0ES3_mN6thrust23THRUST_200600_302600_NS6detail15normal_iteratorINSA_10device_ptrIfEEEEPS6_SG_NS0_5tupleIJNSA_16discard_iteratorINSA_11use_defaultEEES6_EEENSH_IJSG_SG_EEES6_PlJNSB_9not_fun_tINSB_14equal_to_valueIfEEEEEEE10hipError_tPvRmT3_T4_T5_T6_T7_T9_mT8_P12ihipStream_tbDpT10_ENKUlT_T0_E_clISt17integral_constantIbLb0EES1B_EEDaS16_S17_EUlS16_E_NS1_11comp_targetILNS1_3genE0ELNS1_11target_archE4294967295ELNS1_3gpuE0ELNS1_3repE0EEENS1_30default_config_static_selectorELNS0_4arch9wavefront6targetE0EEEvT1_.has_dyn_sized_stack, 0
	.set _ZN7rocprim17ROCPRIM_400000_NS6detail17trampoline_kernelINS0_14default_configENS1_25partition_config_selectorILNS1_17partition_subalgoE6EfNS0_10empty_typeEbEEZZNS1_14partition_implILS5_6ELb0ES3_mN6thrust23THRUST_200600_302600_NS6detail15normal_iteratorINSA_10device_ptrIfEEEEPS6_SG_NS0_5tupleIJNSA_16discard_iteratorINSA_11use_defaultEEES6_EEENSH_IJSG_SG_EEES6_PlJNSB_9not_fun_tINSB_14equal_to_valueIfEEEEEEE10hipError_tPvRmT3_T4_T5_T6_T7_T9_mT8_P12ihipStream_tbDpT10_ENKUlT_T0_E_clISt17integral_constantIbLb0EES1B_EEDaS16_S17_EUlS16_E_NS1_11comp_targetILNS1_3genE0ELNS1_11target_archE4294967295ELNS1_3gpuE0ELNS1_3repE0EEENS1_30default_config_static_selectorELNS0_4arch9wavefront6targetE0EEEvT1_.has_recursion, 0
	.set _ZN7rocprim17ROCPRIM_400000_NS6detail17trampoline_kernelINS0_14default_configENS1_25partition_config_selectorILNS1_17partition_subalgoE6EfNS0_10empty_typeEbEEZZNS1_14partition_implILS5_6ELb0ES3_mN6thrust23THRUST_200600_302600_NS6detail15normal_iteratorINSA_10device_ptrIfEEEEPS6_SG_NS0_5tupleIJNSA_16discard_iteratorINSA_11use_defaultEEES6_EEENSH_IJSG_SG_EEES6_PlJNSB_9not_fun_tINSB_14equal_to_valueIfEEEEEEE10hipError_tPvRmT3_T4_T5_T6_T7_T9_mT8_P12ihipStream_tbDpT10_ENKUlT_T0_E_clISt17integral_constantIbLb0EES1B_EEDaS16_S17_EUlS16_E_NS1_11comp_targetILNS1_3genE0ELNS1_11target_archE4294967295ELNS1_3gpuE0ELNS1_3repE0EEENS1_30default_config_static_selectorELNS0_4arch9wavefront6targetE0EEEvT1_.has_indirect_call, 0
	.section	.AMDGPU.csdata,"",@progbits
; Kernel info:
; codeLenInByte = 0
; TotalNumSgprs: 0
; NumVgprs: 0
; ScratchSize: 0
; MemoryBound: 0
; FloatMode: 240
; IeeeMode: 1
; LDSByteSize: 0 bytes/workgroup (compile time only)
; SGPRBlocks: 0
; VGPRBlocks: 0
; NumSGPRsForWavesPerEU: 1
; NumVGPRsForWavesPerEU: 1
; Occupancy: 16
; WaveLimiterHint : 0
; COMPUTE_PGM_RSRC2:SCRATCH_EN: 0
; COMPUTE_PGM_RSRC2:USER_SGPR: 2
; COMPUTE_PGM_RSRC2:TRAP_HANDLER: 0
; COMPUTE_PGM_RSRC2:TGID_X_EN: 1
; COMPUTE_PGM_RSRC2:TGID_Y_EN: 0
; COMPUTE_PGM_RSRC2:TGID_Z_EN: 0
; COMPUTE_PGM_RSRC2:TIDIG_COMP_CNT: 0
	.section	.text._ZN7rocprim17ROCPRIM_400000_NS6detail17trampoline_kernelINS0_14default_configENS1_25partition_config_selectorILNS1_17partition_subalgoE6EfNS0_10empty_typeEbEEZZNS1_14partition_implILS5_6ELb0ES3_mN6thrust23THRUST_200600_302600_NS6detail15normal_iteratorINSA_10device_ptrIfEEEEPS6_SG_NS0_5tupleIJNSA_16discard_iteratorINSA_11use_defaultEEES6_EEENSH_IJSG_SG_EEES6_PlJNSB_9not_fun_tINSB_14equal_to_valueIfEEEEEEE10hipError_tPvRmT3_T4_T5_T6_T7_T9_mT8_P12ihipStream_tbDpT10_ENKUlT_T0_E_clISt17integral_constantIbLb0EES1B_EEDaS16_S17_EUlS16_E_NS1_11comp_targetILNS1_3genE5ELNS1_11target_archE942ELNS1_3gpuE9ELNS1_3repE0EEENS1_30default_config_static_selectorELNS0_4arch9wavefront6targetE0EEEvT1_,"axG",@progbits,_ZN7rocprim17ROCPRIM_400000_NS6detail17trampoline_kernelINS0_14default_configENS1_25partition_config_selectorILNS1_17partition_subalgoE6EfNS0_10empty_typeEbEEZZNS1_14partition_implILS5_6ELb0ES3_mN6thrust23THRUST_200600_302600_NS6detail15normal_iteratorINSA_10device_ptrIfEEEEPS6_SG_NS0_5tupleIJNSA_16discard_iteratorINSA_11use_defaultEEES6_EEENSH_IJSG_SG_EEES6_PlJNSB_9not_fun_tINSB_14equal_to_valueIfEEEEEEE10hipError_tPvRmT3_T4_T5_T6_T7_T9_mT8_P12ihipStream_tbDpT10_ENKUlT_T0_E_clISt17integral_constantIbLb0EES1B_EEDaS16_S17_EUlS16_E_NS1_11comp_targetILNS1_3genE5ELNS1_11target_archE942ELNS1_3gpuE9ELNS1_3repE0EEENS1_30default_config_static_selectorELNS0_4arch9wavefront6targetE0EEEvT1_,comdat
	.protected	_ZN7rocprim17ROCPRIM_400000_NS6detail17trampoline_kernelINS0_14default_configENS1_25partition_config_selectorILNS1_17partition_subalgoE6EfNS0_10empty_typeEbEEZZNS1_14partition_implILS5_6ELb0ES3_mN6thrust23THRUST_200600_302600_NS6detail15normal_iteratorINSA_10device_ptrIfEEEEPS6_SG_NS0_5tupleIJNSA_16discard_iteratorINSA_11use_defaultEEES6_EEENSH_IJSG_SG_EEES6_PlJNSB_9not_fun_tINSB_14equal_to_valueIfEEEEEEE10hipError_tPvRmT3_T4_T5_T6_T7_T9_mT8_P12ihipStream_tbDpT10_ENKUlT_T0_E_clISt17integral_constantIbLb0EES1B_EEDaS16_S17_EUlS16_E_NS1_11comp_targetILNS1_3genE5ELNS1_11target_archE942ELNS1_3gpuE9ELNS1_3repE0EEENS1_30default_config_static_selectorELNS0_4arch9wavefront6targetE0EEEvT1_ ; -- Begin function _ZN7rocprim17ROCPRIM_400000_NS6detail17trampoline_kernelINS0_14default_configENS1_25partition_config_selectorILNS1_17partition_subalgoE6EfNS0_10empty_typeEbEEZZNS1_14partition_implILS5_6ELb0ES3_mN6thrust23THRUST_200600_302600_NS6detail15normal_iteratorINSA_10device_ptrIfEEEEPS6_SG_NS0_5tupleIJNSA_16discard_iteratorINSA_11use_defaultEEES6_EEENSH_IJSG_SG_EEES6_PlJNSB_9not_fun_tINSB_14equal_to_valueIfEEEEEEE10hipError_tPvRmT3_T4_T5_T6_T7_T9_mT8_P12ihipStream_tbDpT10_ENKUlT_T0_E_clISt17integral_constantIbLb0EES1B_EEDaS16_S17_EUlS16_E_NS1_11comp_targetILNS1_3genE5ELNS1_11target_archE942ELNS1_3gpuE9ELNS1_3repE0EEENS1_30default_config_static_selectorELNS0_4arch9wavefront6targetE0EEEvT1_
	.globl	_ZN7rocprim17ROCPRIM_400000_NS6detail17trampoline_kernelINS0_14default_configENS1_25partition_config_selectorILNS1_17partition_subalgoE6EfNS0_10empty_typeEbEEZZNS1_14partition_implILS5_6ELb0ES3_mN6thrust23THRUST_200600_302600_NS6detail15normal_iteratorINSA_10device_ptrIfEEEEPS6_SG_NS0_5tupleIJNSA_16discard_iteratorINSA_11use_defaultEEES6_EEENSH_IJSG_SG_EEES6_PlJNSB_9not_fun_tINSB_14equal_to_valueIfEEEEEEE10hipError_tPvRmT3_T4_T5_T6_T7_T9_mT8_P12ihipStream_tbDpT10_ENKUlT_T0_E_clISt17integral_constantIbLb0EES1B_EEDaS16_S17_EUlS16_E_NS1_11comp_targetILNS1_3genE5ELNS1_11target_archE942ELNS1_3gpuE9ELNS1_3repE0EEENS1_30default_config_static_selectorELNS0_4arch9wavefront6targetE0EEEvT1_
	.p2align	8
	.type	_ZN7rocprim17ROCPRIM_400000_NS6detail17trampoline_kernelINS0_14default_configENS1_25partition_config_selectorILNS1_17partition_subalgoE6EfNS0_10empty_typeEbEEZZNS1_14partition_implILS5_6ELb0ES3_mN6thrust23THRUST_200600_302600_NS6detail15normal_iteratorINSA_10device_ptrIfEEEEPS6_SG_NS0_5tupleIJNSA_16discard_iteratorINSA_11use_defaultEEES6_EEENSH_IJSG_SG_EEES6_PlJNSB_9not_fun_tINSB_14equal_to_valueIfEEEEEEE10hipError_tPvRmT3_T4_T5_T6_T7_T9_mT8_P12ihipStream_tbDpT10_ENKUlT_T0_E_clISt17integral_constantIbLb0EES1B_EEDaS16_S17_EUlS16_E_NS1_11comp_targetILNS1_3genE5ELNS1_11target_archE942ELNS1_3gpuE9ELNS1_3repE0EEENS1_30default_config_static_selectorELNS0_4arch9wavefront6targetE0EEEvT1_,@function
_ZN7rocprim17ROCPRIM_400000_NS6detail17trampoline_kernelINS0_14default_configENS1_25partition_config_selectorILNS1_17partition_subalgoE6EfNS0_10empty_typeEbEEZZNS1_14partition_implILS5_6ELb0ES3_mN6thrust23THRUST_200600_302600_NS6detail15normal_iteratorINSA_10device_ptrIfEEEEPS6_SG_NS0_5tupleIJNSA_16discard_iteratorINSA_11use_defaultEEES6_EEENSH_IJSG_SG_EEES6_PlJNSB_9not_fun_tINSB_14equal_to_valueIfEEEEEEE10hipError_tPvRmT3_T4_T5_T6_T7_T9_mT8_P12ihipStream_tbDpT10_ENKUlT_T0_E_clISt17integral_constantIbLb0EES1B_EEDaS16_S17_EUlS16_E_NS1_11comp_targetILNS1_3genE5ELNS1_11target_archE942ELNS1_3gpuE9ELNS1_3repE0EEENS1_30default_config_static_selectorELNS0_4arch9wavefront6targetE0EEEvT1_: ; @_ZN7rocprim17ROCPRIM_400000_NS6detail17trampoline_kernelINS0_14default_configENS1_25partition_config_selectorILNS1_17partition_subalgoE6EfNS0_10empty_typeEbEEZZNS1_14partition_implILS5_6ELb0ES3_mN6thrust23THRUST_200600_302600_NS6detail15normal_iteratorINSA_10device_ptrIfEEEEPS6_SG_NS0_5tupleIJNSA_16discard_iteratorINSA_11use_defaultEEES6_EEENSH_IJSG_SG_EEES6_PlJNSB_9not_fun_tINSB_14equal_to_valueIfEEEEEEE10hipError_tPvRmT3_T4_T5_T6_T7_T9_mT8_P12ihipStream_tbDpT10_ENKUlT_T0_E_clISt17integral_constantIbLb0EES1B_EEDaS16_S17_EUlS16_E_NS1_11comp_targetILNS1_3genE5ELNS1_11target_archE942ELNS1_3gpuE9ELNS1_3repE0EEENS1_30default_config_static_selectorELNS0_4arch9wavefront6targetE0EEEvT1_
; %bb.0:
	.section	.rodata,"a",@progbits
	.p2align	6, 0x0
	.amdhsa_kernel _ZN7rocprim17ROCPRIM_400000_NS6detail17trampoline_kernelINS0_14default_configENS1_25partition_config_selectorILNS1_17partition_subalgoE6EfNS0_10empty_typeEbEEZZNS1_14partition_implILS5_6ELb0ES3_mN6thrust23THRUST_200600_302600_NS6detail15normal_iteratorINSA_10device_ptrIfEEEEPS6_SG_NS0_5tupleIJNSA_16discard_iteratorINSA_11use_defaultEEES6_EEENSH_IJSG_SG_EEES6_PlJNSB_9not_fun_tINSB_14equal_to_valueIfEEEEEEE10hipError_tPvRmT3_T4_T5_T6_T7_T9_mT8_P12ihipStream_tbDpT10_ENKUlT_T0_E_clISt17integral_constantIbLb0EES1B_EEDaS16_S17_EUlS16_E_NS1_11comp_targetILNS1_3genE5ELNS1_11target_archE942ELNS1_3gpuE9ELNS1_3repE0EEENS1_30default_config_static_selectorELNS0_4arch9wavefront6targetE0EEEvT1_
		.amdhsa_group_segment_fixed_size 0
		.amdhsa_private_segment_fixed_size 0
		.amdhsa_kernarg_size 128
		.amdhsa_user_sgpr_count 2
		.amdhsa_user_sgpr_dispatch_ptr 0
		.amdhsa_user_sgpr_queue_ptr 0
		.amdhsa_user_sgpr_kernarg_segment_ptr 1
		.amdhsa_user_sgpr_dispatch_id 0
		.amdhsa_user_sgpr_private_segment_size 0
		.amdhsa_wavefront_size32 1
		.amdhsa_uses_dynamic_stack 0
		.amdhsa_enable_private_segment 0
		.amdhsa_system_sgpr_workgroup_id_x 1
		.amdhsa_system_sgpr_workgroup_id_y 0
		.amdhsa_system_sgpr_workgroup_id_z 0
		.amdhsa_system_sgpr_workgroup_info 0
		.amdhsa_system_vgpr_workitem_id 0
		.amdhsa_next_free_vgpr 1
		.amdhsa_next_free_sgpr 1
		.amdhsa_reserve_vcc 0
		.amdhsa_float_round_mode_32 0
		.amdhsa_float_round_mode_16_64 0
		.amdhsa_float_denorm_mode_32 3
		.amdhsa_float_denorm_mode_16_64 3
		.amdhsa_fp16_overflow 0
		.amdhsa_workgroup_processor_mode 1
		.amdhsa_memory_ordered 1
		.amdhsa_forward_progress 1
		.amdhsa_inst_pref_size 0
		.amdhsa_round_robin_scheduling 0
		.amdhsa_exception_fp_ieee_invalid_op 0
		.amdhsa_exception_fp_denorm_src 0
		.amdhsa_exception_fp_ieee_div_zero 0
		.amdhsa_exception_fp_ieee_overflow 0
		.amdhsa_exception_fp_ieee_underflow 0
		.amdhsa_exception_fp_ieee_inexact 0
		.amdhsa_exception_int_div_zero 0
	.end_amdhsa_kernel
	.section	.text._ZN7rocprim17ROCPRIM_400000_NS6detail17trampoline_kernelINS0_14default_configENS1_25partition_config_selectorILNS1_17partition_subalgoE6EfNS0_10empty_typeEbEEZZNS1_14partition_implILS5_6ELb0ES3_mN6thrust23THRUST_200600_302600_NS6detail15normal_iteratorINSA_10device_ptrIfEEEEPS6_SG_NS0_5tupleIJNSA_16discard_iteratorINSA_11use_defaultEEES6_EEENSH_IJSG_SG_EEES6_PlJNSB_9not_fun_tINSB_14equal_to_valueIfEEEEEEE10hipError_tPvRmT3_T4_T5_T6_T7_T9_mT8_P12ihipStream_tbDpT10_ENKUlT_T0_E_clISt17integral_constantIbLb0EES1B_EEDaS16_S17_EUlS16_E_NS1_11comp_targetILNS1_3genE5ELNS1_11target_archE942ELNS1_3gpuE9ELNS1_3repE0EEENS1_30default_config_static_selectorELNS0_4arch9wavefront6targetE0EEEvT1_,"axG",@progbits,_ZN7rocprim17ROCPRIM_400000_NS6detail17trampoline_kernelINS0_14default_configENS1_25partition_config_selectorILNS1_17partition_subalgoE6EfNS0_10empty_typeEbEEZZNS1_14partition_implILS5_6ELb0ES3_mN6thrust23THRUST_200600_302600_NS6detail15normal_iteratorINSA_10device_ptrIfEEEEPS6_SG_NS0_5tupleIJNSA_16discard_iteratorINSA_11use_defaultEEES6_EEENSH_IJSG_SG_EEES6_PlJNSB_9not_fun_tINSB_14equal_to_valueIfEEEEEEE10hipError_tPvRmT3_T4_T5_T6_T7_T9_mT8_P12ihipStream_tbDpT10_ENKUlT_T0_E_clISt17integral_constantIbLb0EES1B_EEDaS16_S17_EUlS16_E_NS1_11comp_targetILNS1_3genE5ELNS1_11target_archE942ELNS1_3gpuE9ELNS1_3repE0EEENS1_30default_config_static_selectorELNS0_4arch9wavefront6targetE0EEEvT1_,comdat
.Lfunc_end1598:
	.size	_ZN7rocprim17ROCPRIM_400000_NS6detail17trampoline_kernelINS0_14default_configENS1_25partition_config_selectorILNS1_17partition_subalgoE6EfNS0_10empty_typeEbEEZZNS1_14partition_implILS5_6ELb0ES3_mN6thrust23THRUST_200600_302600_NS6detail15normal_iteratorINSA_10device_ptrIfEEEEPS6_SG_NS0_5tupleIJNSA_16discard_iteratorINSA_11use_defaultEEES6_EEENSH_IJSG_SG_EEES6_PlJNSB_9not_fun_tINSB_14equal_to_valueIfEEEEEEE10hipError_tPvRmT3_T4_T5_T6_T7_T9_mT8_P12ihipStream_tbDpT10_ENKUlT_T0_E_clISt17integral_constantIbLb0EES1B_EEDaS16_S17_EUlS16_E_NS1_11comp_targetILNS1_3genE5ELNS1_11target_archE942ELNS1_3gpuE9ELNS1_3repE0EEENS1_30default_config_static_selectorELNS0_4arch9wavefront6targetE0EEEvT1_, .Lfunc_end1598-_ZN7rocprim17ROCPRIM_400000_NS6detail17trampoline_kernelINS0_14default_configENS1_25partition_config_selectorILNS1_17partition_subalgoE6EfNS0_10empty_typeEbEEZZNS1_14partition_implILS5_6ELb0ES3_mN6thrust23THRUST_200600_302600_NS6detail15normal_iteratorINSA_10device_ptrIfEEEEPS6_SG_NS0_5tupleIJNSA_16discard_iteratorINSA_11use_defaultEEES6_EEENSH_IJSG_SG_EEES6_PlJNSB_9not_fun_tINSB_14equal_to_valueIfEEEEEEE10hipError_tPvRmT3_T4_T5_T6_T7_T9_mT8_P12ihipStream_tbDpT10_ENKUlT_T0_E_clISt17integral_constantIbLb0EES1B_EEDaS16_S17_EUlS16_E_NS1_11comp_targetILNS1_3genE5ELNS1_11target_archE942ELNS1_3gpuE9ELNS1_3repE0EEENS1_30default_config_static_selectorELNS0_4arch9wavefront6targetE0EEEvT1_
                                        ; -- End function
	.set _ZN7rocprim17ROCPRIM_400000_NS6detail17trampoline_kernelINS0_14default_configENS1_25partition_config_selectorILNS1_17partition_subalgoE6EfNS0_10empty_typeEbEEZZNS1_14partition_implILS5_6ELb0ES3_mN6thrust23THRUST_200600_302600_NS6detail15normal_iteratorINSA_10device_ptrIfEEEEPS6_SG_NS0_5tupleIJNSA_16discard_iteratorINSA_11use_defaultEEES6_EEENSH_IJSG_SG_EEES6_PlJNSB_9not_fun_tINSB_14equal_to_valueIfEEEEEEE10hipError_tPvRmT3_T4_T5_T6_T7_T9_mT8_P12ihipStream_tbDpT10_ENKUlT_T0_E_clISt17integral_constantIbLb0EES1B_EEDaS16_S17_EUlS16_E_NS1_11comp_targetILNS1_3genE5ELNS1_11target_archE942ELNS1_3gpuE9ELNS1_3repE0EEENS1_30default_config_static_selectorELNS0_4arch9wavefront6targetE0EEEvT1_.num_vgpr, 0
	.set _ZN7rocprim17ROCPRIM_400000_NS6detail17trampoline_kernelINS0_14default_configENS1_25partition_config_selectorILNS1_17partition_subalgoE6EfNS0_10empty_typeEbEEZZNS1_14partition_implILS5_6ELb0ES3_mN6thrust23THRUST_200600_302600_NS6detail15normal_iteratorINSA_10device_ptrIfEEEEPS6_SG_NS0_5tupleIJNSA_16discard_iteratorINSA_11use_defaultEEES6_EEENSH_IJSG_SG_EEES6_PlJNSB_9not_fun_tINSB_14equal_to_valueIfEEEEEEE10hipError_tPvRmT3_T4_T5_T6_T7_T9_mT8_P12ihipStream_tbDpT10_ENKUlT_T0_E_clISt17integral_constantIbLb0EES1B_EEDaS16_S17_EUlS16_E_NS1_11comp_targetILNS1_3genE5ELNS1_11target_archE942ELNS1_3gpuE9ELNS1_3repE0EEENS1_30default_config_static_selectorELNS0_4arch9wavefront6targetE0EEEvT1_.num_agpr, 0
	.set _ZN7rocprim17ROCPRIM_400000_NS6detail17trampoline_kernelINS0_14default_configENS1_25partition_config_selectorILNS1_17partition_subalgoE6EfNS0_10empty_typeEbEEZZNS1_14partition_implILS5_6ELb0ES3_mN6thrust23THRUST_200600_302600_NS6detail15normal_iteratorINSA_10device_ptrIfEEEEPS6_SG_NS0_5tupleIJNSA_16discard_iteratorINSA_11use_defaultEEES6_EEENSH_IJSG_SG_EEES6_PlJNSB_9not_fun_tINSB_14equal_to_valueIfEEEEEEE10hipError_tPvRmT3_T4_T5_T6_T7_T9_mT8_P12ihipStream_tbDpT10_ENKUlT_T0_E_clISt17integral_constantIbLb0EES1B_EEDaS16_S17_EUlS16_E_NS1_11comp_targetILNS1_3genE5ELNS1_11target_archE942ELNS1_3gpuE9ELNS1_3repE0EEENS1_30default_config_static_selectorELNS0_4arch9wavefront6targetE0EEEvT1_.numbered_sgpr, 0
	.set _ZN7rocprim17ROCPRIM_400000_NS6detail17trampoline_kernelINS0_14default_configENS1_25partition_config_selectorILNS1_17partition_subalgoE6EfNS0_10empty_typeEbEEZZNS1_14partition_implILS5_6ELb0ES3_mN6thrust23THRUST_200600_302600_NS6detail15normal_iteratorINSA_10device_ptrIfEEEEPS6_SG_NS0_5tupleIJNSA_16discard_iteratorINSA_11use_defaultEEES6_EEENSH_IJSG_SG_EEES6_PlJNSB_9not_fun_tINSB_14equal_to_valueIfEEEEEEE10hipError_tPvRmT3_T4_T5_T6_T7_T9_mT8_P12ihipStream_tbDpT10_ENKUlT_T0_E_clISt17integral_constantIbLb0EES1B_EEDaS16_S17_EUlS16_E_NS1_11comp_targetILNS1_3genE5ELNS1_11target_archE942ELNS1_3gpuE9ELNS1_3repE0EEENS1_30default_config_static_selectorELNS0_4arch9wavefront6targetE0EEEvT1_.num_named_barrier, 0
	.set _ZN7rocprim17ROCPRIM_400000_NS6detail17trampoline_kernelINS0_14default_configENS1_25partition_config_selectorILNS1_17partition_subalgoE6EfNS0_10empty_typeEbEEZZNS1_14partition_implILS5_6ELb0ES3_mN6thrust23THRUST_200600_302600_NS6detail15normal_iteratorINSA_10device_ptrIfEEEEPS6_SG_NS0_5tupleIJNSA_16discard_iteratorINSA_11use_defaultEEES6_EEENSH_IJSG_SG_EEES6_PlJNSB_9not_fun_tINSB_14equal_to_valueIfEEEEEEE10hipError_tPvRmT3_T4_T5_T6_T7_T9_mT8_P12ihipStream_tbDpT10_ENKUlT_T0_E_clISt17integral_constantIbLb0EES1B_EEDaS16_S17_EUlS16_E_NS1_11comp_targetILNS1_3genE5ELNS1_11target_archE942ELNS1_3gpuE9ELNS1_3repE0EEENS1_30default_config_static_selectorELNS0_4arch9wavefront6targetE0EEEvT1_.private_seg_size, 0
	.set _ZN7rocprim17ROCPRIM_400000_NS6detail17trampoline_kernelINS0_14default_configENS1_25partition_config_selectorILNS1_17partition_subalgoE6EfNS0_10empty_typeEbEEZZNS1_14partition_implILS5_6ELb0ES3_mN6thrust23THRUST_200600_302600_NS6detail15normal_iteratorINSA_10device_ptrIfEEEEPS6_SG_NS0_5tupleIJNSA_16discard_iteratorINSA_11use_defaultEEES6_EEENSH_IJSG_SG_EEES6_PlJNSB_9not_fun_tINSB_14equal_to_valueIfEEEEEEE10hipError_tPvRmT3_T4_T5_T6_T7_T9_mT8_P12ihipStream_tbDpT10_ENKUlT_T0_E_clISt17integral_constantIbLb0EES1B_EEDaS16_S17_EUlS16_E_NS1_11comp_targetILNS1_3genE5ELNS1_11target_archE942ELNS1_3gpuE9ELNS1_3repE0EEENS1_30default_config_static_selectorELNS0_4arch9wavefront6targetE0EEEvT1_.uses_vcc, 0
	.set _ZN7rocprim17ROCPRIM_400000_NS6detail17trampoline_kernelINS0_14default_configENS1_25partition_config_selectorILNS1_17partition_subalgoE6EfNS0_10empty_typeEbEEZZNS1_14partition_implILS5_6ELb0ES3_mN6thrust23THRUST_200600_302600_NS6detail15normal_iteratorINSA_10device_ptrIfEEEEPS6_SG_NS0_5tupleIJNSA_16discard_iteratorINSA_11use_defaultEEES6_EEENSH_IJSG_SG_EEES6_PlJNSB_9not_fun_tINSB_14equal_to_valueIfEEEEEEE10hipError_tPvRmT3_T4_T5_T6_T7_T9_mT8_P12ihipStream_tbDpT10_ENKUlT_T0_E_clISt17integral_constantIbLb0EES1B_EEDaS16_S17_EUlS16_E_NS1_11comp_targetILNS1_3genE5ELNS1_11target_archE942ELNS1_3gpuE9ELNS1_3repE0EEENS1_30default_config_static_selectorELNS0_4arch9wavefront6targetE0EEEvT1_.uses_flat_scratch, 0
	.set _ZN7rocprim17ROCPRIM_400000_NS6detail17trampoline_kernelINS0_14default_configENS1_25partition_config_selectorILNS1_17partition_subalgoE6EfNS0_10empty_typeEbEEZZNS1_14partition_implILS5_6ELb0ES3_mN6thrust23THRUST_200600_302600_NS6detail15normal_iteratorINSA_10device_ptrIfEEEEPS6_SG_NS0_5tupleIJNSA_16discard_iteratorINSA_11use_defaultEEES6_EEENSH_IJSG_SG_EEES6_PlJNSB_9not_fun_tINSB_14equal_to_valueIfEEEEEEE10hipError_tPvRmT3_T4_T5_T6_T7_T9_mT8_P12ihipStream_tbDpT10_ENKUlT_T0_E_clISt17integral_constantIbLb0EES1B_EEDaS16_S17_EUlS16_E_NS1_11comp_targetILNS1_3genE5ELNS1_11target_archE942ELNS1_3gpuE9ELNS1_3repE0EEENS1_30default_config_static_selectorELNS0_4arch9wavefront6targetE0EEEvT1_.has_dyn_sized_stack, 0
	.set _ZN7rocprim17ROCPRIM_400000_NS6detail17trampoline_kernelINS0_14default_configENS1_25partition_config_selectorILNS1_17partition_subalgoE6EfNS0_10empty_typeEbEEZZNS1_14partition_implILS5_6ELb0ES3_mN6thrust23THRUST_200600_302600_NS6detail15normal_iteratorINSA_10device_ptrIfEEEEPS6_SG_NS0_5tupleIJNSA_16discard_iteratorINSA_11use_defaultEEES6_EEENSH_IJSG_SG_EEES6_PlJNSB_9not_fun_tINSB_14equal_to_valueIfEEEEEEE10hipError_tPvRmT3_T4_T5_T6_T7_T9_mT8_P12ihipStream_tbDpT10_ENKUlT_T0_E_clISt17integral_constantIbLb0EES1B_EEDaS16_S17_EUlS16_E_NS1_11comp_targetILNS1_3genE5ELNS1_11target_archE942ELNS1_3gpuE9ELNS1_3repE0EEENS1_30default_config_static_selectorELNS0_4arch9wavefront6targetE0EEEvT1_.has_recursion, 0
	.set _ZN7rocprim17ROCPRIM_400000_NS6detail17trampoline_kernelINS0_14default_configENS1_25partition_config_selectorILNS1_17partition_subalgoE6EfNS0_10empty_typeEbEEZZNS1_14partition_implILS5_6ELb0ES3_mN6thrust23THRUST_200600_302600_NS6detail15normal_iteratorINSA_10device_ptrIfEEEEPS6_SG_NS0_5tupleIJNSA_16discard_iteratorINSA_11use_defaultEEES6_EEENSH_IJSG_SG_EEES6_PlJNSB_9not_fun_tINSB_14equal_to_valueIfEEEEEEE10hipError_tPvRmT3_T4_T5_T6_T7_T9_mT8_P12ihipStream_tbDpT10_ENKUlT_T0_E_clISt17integral_constantIbLb0EES1B_EEDaS16_S17_EUlS16_E_NS1_11comp_targetILNS1_3genE5ELNS1_11target_archE942ELNS1_3gpuE9ELNS1_3repE0EEENS1_30default_config_static_selectorELNS0_4arch9wavefront6targetE0EEEvT1_.has_indirect_call, 0
	.section	.AMDGPU.csdata,"",@progbits
; Kernel info:
; codeLenInByte = 0
; TotalNumSgprs: 0
; NumVgprs: 0
; ScratchSize: 0
; MemoryBound: 0
; FloatMode: 240
; IeeeMode: 1
; LDSByteSize: 0 bytes/workgroup (compile time only)
; SGPRBlocks: 0
; VGPRBlocks: 0
; NumSGPRsForWavesPerEU: 1
; NumVGPRsForWavesPerEU: 1
; Occupancy: 16
; WaveLimiterHint : 0
; COMPUTE_PGM_RSRC2:SCRATCH_EN: 0
; COMPUTE_PGM_RSRC2:USER_SGPR: 2
; COMPUTE_PGM_RSRC2:TRAP_HANDLER: 0
; COMPUTE_PGM_RSRC2:TGID_X_EN: 1
; COMPUTE_PGM_RSRC2:TGID_Y_EN: 0
; COMPUTE_PGM_RSRC2:TGID_Z_EN: 0
; COMPUTE_PGM_RSRC2:TIDIG_COMP_CNT: 0
	.section	.text._ZN7rocprim17ROCPRIM_400000_NS6detail17trampoline_kernelINS0_14default_configENS1_25partition_config_selectorILNS1_17partition_subalgoE6EfNS0_10empty_typeEbEEZZNS1_14partition_implILS5_6ELb0ES3_mN6thrust23THRUST_200600_302600_NS6detail15normal_iteratorINSA_10device_ptrIfEEEEPS6_SG_NS0_5tupleIJNSA_16discard_iteratorINSA_11use_defaultEEES6_EEENSH_IJSG_SG_EEES6_PlJNSB_9not_fun_tINSB_14equal_to_valueIfEEEEEEE10hipError_tPvRmT3_T4_T5_T6_T7_T9_mT8_P12ihipStream_tbDpT10_ENKUlT_T0_E_clISt17integral_constantIbLb0EES1B_EEDaS16_S17_EUlS16_E_NS1_11comp_targetILNS1_3genE4ELNS1_11target_archE910ELNS1_3gpuE8ELNS1_3repE0EEENS1_30default_config_static_selectorELNS0_4arch9wavefront6targetE0EEEvT1_,"axG",@progbits,_ZN7rocprim17ROCPRIM_400000_NS6detail17trampoline_kernelINS0_14default_configENS1_25partition_config_selectorILNS1_17partition_subalgoE6EfNS0_10empty_typeEbEEZZNS1_14partition_implILS5_6ELb0ES3_mN6thrust23THRUST_200600_302600_NS6detail15normal_iteratorINSA_10device_ptrIfEEEEPS6_SG_NS0_5tupleIJNSA_16discard_iteratorINSA_11use_defaultEEES6_EEENSH_IJSG_SG_EEES6_PlJNSB_9not_fun_tINSB_14equal_to_valueIfEEEEEEE10hipError_tPvRmT3_T4_T5_T6_T7_T9_mT8_P12ihipStream_tbDpT10_ENKUlT_T0_E_clISt17integral_constantIbLb0EES1B_EEDaS16_S17_EUlS16_E_NS1_11comp_targetILNS1_3genE4ELNS1_11target_archE910ELNS1_3gpuE8ELNS1_3repE0EEENS1_30default_config_static_selectorELNS0_4arch9wavefront6targetE0EEEvT1_,comdat
	.protected	_ZN7rocprim17ROCPRIM_400000_NS6detail17trampoline_kernelINS0_14default_configENS1_25partition_config_selectorILNS1_17partition_subalgoE6EfNS0_10empty_typeEbEEZZNS1_14partition_implILS5_6ELb0ES3_mN6thrust23THRUST_200600_302600_NS6detail15normal_iteratorINSA_10device_ptrIfEEEEPS6_SG_NS0_5tupleIJNSA_16discard_iteratorINSA_11use_defaultEEES6_EEENSH_IJSG_SG_EEES6_PlJNSB_9not_fun_tINSB_14equal_to_valueIfEEEEEEE10hipError_tPvRmT3_T4_T5_T6_T7_T9_mT8_P12ihipStream_tbDpT10_ENKUlT_T0_E_clISt17integral_constantIbLb0EES1B_EEDaS16_S17_EUlS16_E_NS1_11comp_targetILNS1_3genE4ELNS1_11target_archE910ELNS1_3gpuE8ELNS1_3repE0EEENS1_30default_config_static_selectorELNS0_4arch9wavefront6targetE0EEEvT1_ ; -- Begin function _ZN7rocprim17ROCPRIM_400000_NS6detail17trampoline_kernelINS0_14default_configENS1_25partition_config_selectorILNS1_17partition_subalgoE6EfNS0_10empty_typeEbEEZZNS1_14partition_implILS5_6ELb0ES3_mN6thrust23THRUST_200600_302600_NS6detail15normal_iteratorINSA_10device_ptrIfEEEEPS6_SG_NS0_5tupleIJNSA_16discard_iteratorINSA_11use_defaultEEES6_EEENSH_IJSG_SG_EEES6_PlJNSB_9not_fun_tINSB_14equal_to_valueIfEEEEEEE10hipError_tPvRmT3_T4_T5_T6_T7_T9_mT8_P12ihipStream_tbDpT10_ENKUlT_T0_E_clISt17integral_constantIbLb0EES1B_EEDaS16_S17_EUlS16_E_NS1_11comp_targetILNS1_3genE4ELNS1_11target_archE910ELNS1_3gpuE8ELNS1_3repE0EEENS1_30default_config_static_selectorELNS0_4arch9wavefront6targetE0EEEvT1_
	.globl	_ZN7rocprim17ROCPRIM_400000_NS6detail17trampoline_kernelINS0_14default_configENS1_25partition_config_selectorILNS1_17partition_subalgoE6EfNS0_10empty_typeEbEEZZNS1_14partition_implILS5_6ELb0ES3_mN6thrust23THRUST_200600_302600_NS6detail15normal_iteratorINSA_10device_ptrIfEEEEPS6_SG_NS0_5tupleIJNSA_16discard_iteratorINSA_11use_defaultEEES6_EEENSH_IJSG_SG_EEES6_PlJNSB_9not_fun_tINSB_14equal_to_valueIfEEEEEEE10hipError_tPvRmT3_T4_T5_T6_T7_T9_mT8_P12ihipStream_tbDpT10_ENKUlT_T0_E_clISt17integral_constantIbLb0EES1B_EEDaS16_S17_EUlS16_E_NS1_11comp_targetILNS1_3genE4ELNS1_11target_archE910ELNS1_3gpuE8ELNS1_3repE0EEENS1_30default_config_static_selectorELNS0_4arch9wavefront6targetE0EEEvT1_
	.p2align	8
	.type	_ZN7rocprim17ROCPRIM_400000_NS6detail17trampoline_kernelINS0_14default_configENS1_25partition_config_selectorILNS1_17partition_subalgoE6EfNS0_10empty_typeEbEEZZNS1_14partition_implILS5_6ELb0ES3_mN6thrust23THRUST_200600_302600_NS6detail15normal_iteratorINSA_10device_ptrIfEEEEPS6_SG_NS0_5tupleIJNSA_16discard_iteratorINSA_11use_defaultEEES6_EEENSH_IJSG_SG_EEES6_PlJNSB_9not_fun_tINSB_14equal_to_valueIfEEEEEEE10hipError_tPvRmT3_T4_T5_T6_T7_T9_mT8_P12ihipStream_tbDpT10_ENKUlT_T0_E_clISt17integral_constantIbLb0EES1B_EEDaS16_S17_EUlS16_E_NS1_11comp_targetILNS1_3genE4ELNS1_11target_archE910ELNS1_3gpuE8ELNS1_3repE0EEENS1_30default_config_static_selectorELNS0_4arch9wavefront6targetE0EEEvT1_,@function
_ZN7rocprim17ROCPRIM_400000_NS6detail17trampoline_kernelINS0_14default_configENS1_25partition_config_selectorILNS1_17partition_subalgoE6EfNS0_10empty_typeEbEEZZNS1_14partition_implILS5_6ELb0ES3_mN6thrust23THRUST_200600_302600_NS6detail15normal_iteratorINSA_10device_ptrIfEEEEPS6_SG_NS0_5tupleIJNSA_16discard_iteratorINSA_11use_defaultEEES6_EEENSH_IJSG_SG_EEES6_PlJNSB_9not_fun_tINSB_14equal_to_valueIfEEEEEEE10hipError_tPvRmT3_T4_T5_T6_T7_T9_mT8_P12ihipStream_tbDpT10_ENKUlT_T0_E_clISt17integral_constantIbLb0EES1B_EEDaS16_S17_EUlS16_E_NS1_11comp_targetILNS1_3genE4ELNS1_11target_archE910ELNS1_3gpuE8ELNS1_3repE0EEENS1_30default_config_static_selectorELNS0_4arch9wavefront6targetE0EEEvT1_: ; @_ZN7rocprim17ROCPRIM_400000_NS6detail17trampoline_kernelINS0_14default_configENS1_25partition_config_selectorILNS1_17partition_subalgoE6EfNS0_10empty_typeEbEEZZNS1_14partition_implILS5_6ELb0ES3_mN6thrust23THRUST_200600_302600_NS6detail15normal_iteratorINSA_10device_ptrIfEEEEPS6_SG_NS0_5tupleIJNSA_16discard_iteratorINSA_11use_defaultEEES6_EEENSH_IJSG_SG_EEES6_PlJNSB_9not_fun_tINSB_14equal_to_valueIfEEEEEEE10hipError_tPvRmT3_T4_T5_T6_T7_T9_mT8_P12ihipStream_tbDpT10_ENKUlT_T0_E_clISt17integral_constantIbLb0EES1B_EEDaS16_S17_EUlS16_E_NS1_11comp_targetILNS1_3genE4ELNS1_11target_archE910ELNS1_3gpuE8ELNS1_3repE0EEENS1_30default_config_static_selectorELNS0_4arch9wavefront6targetE0EEEvT1_
; %bb.0:
	.section	.rodata,"a",@progbits
	.p2align	6, 0x0
	.amdhsa_kernel _ZN7rocprim17ROCPRIM_400000_NS6detail17trampoline_kernelINS0_14default_configENS1_25partition_config_selectorILNS1_17partition_subalgoE6EfNS0_10empty_typeEbEEZZNS1_14partition_implILS5_6ELb0ES3_mN6thrust23THRUST_200600_302600_NS6detail15normal_iteratorINSA_10device_ptrIfEEEEPS6_SG_NS0_5tupleIJNSA_16discard_iteratorINSA_11use_defaultEEES6_EEENSH_IJSG_SG_EEES6_PlJNSB_9not_fun_tINSB_14equal_to_valueIfEEEEEEE10hipError_tPvRmT3_T4_T5_T6_T7_T9_mT8_P12ihipStream_tbDpT10_ENKUlT_T0_E_clISt17integral_constantIbLb0EES1B_EEDaS16_S17_EUlS16_E_NS1_11comp_targetILNS1_3genE4ELNS1_11target_archE910ELNS1_3gpuE8ELNS1_3repE0EEENS1_30default_config_static_selectorELNS0_4arch9wavefront6targetE0EEEvT1_
		.amdhsa_group_segment_fixed_size 0
		.amdhsa_private_segment_fixed_size 0
		.amdhsa_kernarg_size 128
		.amdhsa_user_sgpr_count 2
		.amdhsa_user_sgpr_dispatch_ptr 0
		.amdhsa_user_sgpr_queue_ptr 0
		.amdhsa_user_sgpr_kernarg_segment_ptr 1
		.amdhsa_user_sgpr_dispatch_id 0
		.amdhsa_user_sgpr_private_segment_size 0
		.amdhsa_wavefront_size32 1
		.amdhsa_uses_dynamic_stack 0
		.amdhsa_enable_private_segment 0
		.amdhsa_system_sgpr_workgroup_id_x 1
		.amdhsa_system_sgpr_workgroup_id_y 0
		.amdhsa_system_sgpr_workgroup_id_z 0
		.amdhsa_system_sgpr_workgroup_info 0
		.amdhsa_system_vgpr_workitem_id 0
		.amdhsa_next_free_vgpr 1
		.amdhsa_next_free_sgpr 1
		.amdhsa_reserve_vcc 0
		.amdhsa_float_round_mode_32 0
		.amdhsa_float_round_mode_16_64 0
		.amdhsa_float_denorm_mode_32 3
		.amdhsa_float_denorm_mode_16_64 3
		.amdhsa_fp16_overflow 0
		.amdhsa_workgroup_processor_mode 1
		.amdhsa_memory_ordered 1
		.amdhsa_forward_progress 1
		.amdhsa_inst_pref_size 0
		.amdhsa_round_robin_scheduling 0
		.amdhsa_exception_fp_ieee_invalid_op 0
		.amdhsa_exception_fp_denorm_src 0
		.amdhsa_exception_fp_ieee_div_zero 0
		.amdhsa_exception_fp_ieee_overflow 0
		.amdhsa_exception_fp_ieee_underflow 0
		.amdhsa_exception_fp_ieee_inexact 0
		.amdhsa_exception_int_div_zero 0
	.end_amdhsa_kernel
	.section	.text._ZN7rocprim17ROCPRIM_400000_NS6detail17trampoline_kernelINS0_14default_configENS1_25partition_config_selectorILNS1_17partition_subalgoE6EfNS0_10empty_typeEbEEZZNS1_14partition_implILS5_6ELb0ES3_mN6thrust23THRUST_200600_302600_NS6detail15normal_iteratorINSA_10device_ptrIfEEEEPS6_SG_NS0_5tupleIJNSA_16discard_iteratorINSA_11use_defaultEEES6_EEENSH_IJSG_SG_EEES6_PlJNSB_9not_fun_tINSB_14equal_to_valueIfEEEEEEE10hipError_tPvRmT3_T4_T5_T6_T7_T9_mT8_P12ihipStream_tbDpT10_ENKUlT_T0_E_clISt17integral_constantIbLb0EES1B_EEDaS16_S17_EUlS16_E_NS1_11comp_targetILNS1_3genE4ELNS1_11target_archE910ELNS1_3gpuE8ELNS1_3repE0EEENS1_30default_config_static_selectorELNS0_4arch9wavefront6targetE0EEEvT1_,"axG",@progbits,_ZN7rocprim17ROCPRIM_400000_NS6detail17trampoline_kernelINS0_14default_configENS1_25partition_config_selectorILNS1_17partition_subalgoE6EfNS0_10empty_typeEbEEZZNS1_14partition_implILS5_6ELb0ES3_mN6thrust23THRUST_200600_302600_NS6detail15normal_iteratorINSA_10device_ptrIfEEEEPS6_SG_NS0_5tupleIJNSA_16discard_iteratorINSA_11use_defaultEEES6_EEENSH_IJSG_SG_EEES6_PlJNSB_9not_fun_tINSB_14equal_to_valueIfEEEEEEE10hipError_tPvRmT3_T4_T5_T6_T7_T9_mT8_P12ihipStream_tbDpT10_ENKUlT_T0_E_clISt17integral_constantIbLb0EES1B_EEDaS16_S17_EUlS16_E_NS1_11comp_targetILNS1_3genE4ELNS1_11target_archE910ELNS1_3gpuE8ELNS1_3repE0EEENS1_30default_config_static_selectorELNS0_4arch9wavefront6targetE0EEEvT1_,comdat
.Lfunc_end1599:
	.size	_ZN7rocprim17ROCPRIM_400000_NS6detail17trampoline_kernelINS0_14default_configENS1_25partition_config_selectorILNS1_17partition_subalgoE6EfNS0_10empty_typeEbEEZZNS1_14partition_implILS5_6ELb0ES3_mN6thrust23THRUST_200600_302600_NS6detail15normal_iteratorINSA_10device_ptrIfEEEEPS6_SG_NS0_5tupleIJNSA_16discard_iteratorINSA_11use_defaultEEES6_EEENSH_IJSG_SG_EEES6_PlJNSB_9not_fun_tINSB_14equal_to_valueIfEEEEEEE10hipError_tPvRmT3_T4_T5_T6_T7_T9_mT8_P12ihipStream_tbDpT10_ENKUlT_T0_E_clISt17integral_constantIbLb0EES1B_EEDaS16_S17_EUlS16_E_NS1_11comp_targetILNS1_3genE4ELNS1_11target_archE910ELNS1_3gpuE8ELNS1_3repE0EEENS1_30default_config_static_selectorELNS0_4arch9wavefront6targetE0EEEvT1_, .Lfunc_end1599-_ZN7rocprim17ROCPRIM_400000_NS6detail17trampoline_kernelINS0_14default_configENS1_25partition_config_selectorILNS1_17partition_subalgoE6EfNS0_10empty_typeEbEEZZNS1_14partition_implILS5_6ELb0ES3_mN6thrust23THRUST_200600_302600_NS6detail15normal_iteratorINSA_10device_ptrIfEEEEPS6_SG_NS0_5tupleIJNSA_16discard_iteratorINSA_11use_defaultEEES6_EEENSH_IJSG_SG_EEES6_PlJNSB_9not_fun_tINSB_14equal_to_valueIfEEEEEEE10hipError_tPvRmT3_T4_T5_T6_T7_T9_mT8_P12ihipStream_tbDpT10_ENKUlT_T0_E_clISt17integral_constantIbLb0EES1B_EEDaS16_S17_EUlS16_E_NS1_11comp_targetILNS1_3genE4ELNS1_11target_archE910ELNS1_3gpuE8ELNS1_3repE0EEENS1_30default_config_static_selectorELNS0_4arch9wavefront6targetE0EEEvT1_
                                        ; -- End function
	.set _ZN7rocprim17ROCPRIM_400000_NS6detail17trampoline_kernelINS0_14default_configENS1_25partition_config_selectorILNS1_17partition_subalgoE6EfNS0_10empty_typeEbEEZZNS1_14partition_implILS5_6ELb0ES3_mN6thrust23THRUST_200600_302600_NS6detail15normal_iteratorINSA_10device_ptrIfEEEEPS6_SG_NS0_5tupleIJNSA_16discard_iteratorINSA_11use_defaultEEES6_EEENSH_IJSG_SG_EEES6_PlJNSB_9not_fun_tINSB_14equal_to_valueIfEEEEEEE10hipError_tPvRmT3_T4_T5_T6_T7_T9_mT8_P12ihipStream_tbDpT10_ENKUlT_T0_E_clISt17integral_constantIbLb0EES1B_EEDaS16_S17_EUlS16_E_NS1_11comp_targetILNS1_3genE4ELNS1_11target_archE910ELNS1_3gpuE8ELNS1_3repE0EEENS1_30default_config_static_selectorELNS0_4arch9wavefront6targetE0EEEvT1_.num_vgpr, 0
	.set _ZN7rocprim17ROCPRIM_400000_NS6detail17trampoline_kernelINS0_14default_configENS1_25partition_config_selectorILNS1_17partition_subalgoE6EfNS0_10empty_typeEbEEZZNS1_14partition_implILS5_6ELb0ES3_mN6thrust23THRUST_200600_302600_NS6detail15normal_iteratorINSA_10device_ptrIfEEEEPS6_SG_NS0_5tupleIJNSA_16discard_iteratorINSA_11use_defaultEEES6_EEENSH_IJSG_SG_EEES6_PlJNSB_9not_fun_tINSB_14equal_to_valueIfEEEEEEE10hipError_tPvRmT3_T4_T5_T6_T7_T9_mT8_P12ihipStream_tbDpT10_ENKUlT_T0_E_clISt17integral_constantIbLb0EES1B_EEDaS16_S17_EUlS16_E_NS1_11comp_targetILNS1_3genE4ELNS1_11target_archE910ELNS1_3gpuE8ELNS1_3repE0EEENS1_30default_config_static_selectorELNS0_4arch9wavefront6targetE0EEEvT1_.num_agpr, 0
	.set _ZN7rocprim17ROCPRIM_400000_NS6detail17trampoline_kernelINS0_14default_configENS1_25partition_config_selectorILNS1_17partition_subalgoE6EfNS0_10empty_typeEbEEZZNS1_14partition_implILS5_6ELb0ES3_mN6thrust23THRUST_200600_302600_NS6detail15normal_iteratorINSA_10device_ptrIfEEEEPS6_SG_NS0_5tupleIJNSA_16discard_iteratorINSA_11use_defaultEEES6_EEENSH_IJSG_SG_EEES6_PlJNSB_9not_fun_tINSB_14equal_to_valueIfEEEEEEE10hipError_tPvRmT3_T4_T5_T6_T7_T9_mT8_P12ihipStream_tbDpT10_ENKUlT_T0_E_clISt17integral_constantIbLb0EES1B_EEDaS16_S17_EUlS16_E_NS1_11comp_targetILNS1_3genE4ELNS1_11target_archE910ELNS1_3gpuE8ELNS1_3repE0EEENS1_30default_config_static_selectorELNS0_4arch9wavefront6targetE0EEEvT1_.numbered_sgpr, 0
	.set _ZN7rocprim17ROCPRIM_400000_NS6detail17trampoline_kernelINS0_14default_configENS1_25partition_config_selectorILNS1_17partition_subalgoE6EfNS0_10empty_typeEbEEZZNS1_14partition_implILS5_6ELb0ES3_mN6thrust23THRUST_200600_302600_NS6detail15normal_iteratorINSA_10device_ptrIfEEEEPS6_SG_NS0_5tupleIJNSA_16discard_iteratorINSA_11use_defaultEEES6_EEENSH_IJSG_SG_EEES6_PlJNSB_9not_fun_tINSB_14equal_to_valueIfEEEEEEE10hipError_tPvRmT3_T4_T5_T6_T7_T9_mT8_P12ihipStream_tbDpT10_ENKUlT_T0_E_clISt17integral_constantIbLb0EES1B_EEDaS16_S17_EUlS16_E_NS1_11comp_targetILNS1_3genE4ELNS1_11target_archE910ELNS1_3gpuE8ELNS1_3repE0EEENS1_30default_config_static_selectorELNS0_4arch9wavefront6targetE0EEEvT1_.num_named_barrier, 0
	.set _ZN7rocprim17ROCPRIM_400000_NS6detail17trampoline_kernelINS0_14default_configENS1_25partition_config_selectorILNS1_17partition_subalgoE6EfNS0_10empty_typeEbEEZZNS1_14partition_implILS5_6ELb0ES3_mN6thrust23THRUST_200600_302600_NS6detail15normal_iteratorINSA_10device_ptrIfEEEEPS6_SG_NS0_5tupleIJNSA_16discard_iteratorINSA_11use_defaultEEES6_EEENSH_IJSG_SG_EEES6_PlJNSB_9not_fun_tINSB_14equal_to_valueIfEEEEEEE10hipError_tPvRmT3_T4_T5_T6_T7_T9_mT8_P12ihipStream_tbDpT10_ENKUlT_T0_E_clISt17integral_constantIbLb0EES1B_EEDaS16_S17_EUlS16_E_NS1_11comp_targetILNS1_3genE4ELNS1_11target_archE910ELNS1_3gpuE8ELNS1_3repE0EEENS1_30default_config_static_selectorELNS0_4arch9wavefront6targetE0EEEvT1_.private_seg_size, 0
	.set _ZN7rocprim17ROCPRIM_400000_NS6detail17trampoline_kernelINS0_14default_configENS1_25partition_config_selectorILNS1_17partition_subalgoE6EfNS0_10empty_typeEbEEZZNS1_14partition_implILS5_6ELb0ES3_mN6thrust23THRUST_200600_302600_NS6detail15normal_iteratorINSA_10device_ptrIfEEEEPS6_SG_NS0_5tupleIJNSA_16discard_iteratorINSA_11use_defaultEEES6_EEENSH_IJSG_SG_EEES6_PlJNSB_9not_fun_tINSB_14equal_to_valueIfEEEEEEE10hipError_tPvRmT3_T4_T5_T6_T7_T9_mT8_P12ihipStream_tbDpT10_ENKUlT_T0_E_clISt17integral_constantIbLb0EES1B_EEDaS16_S17_EUlS16_E_NS1_11comp_targetILNS1_3genE4ELNS1_11target_archE910ELNS1_3gpuE8ELNS1_3repE0EEENS1_30default_config_static_selectorELNS0_4arch9wavefront6targetE0EEEvT1_.uses_vcc, 0
	.set _ZN7rocprim17ROCPRIM_400000_NS6detail17trampoline_kernelINS0_14default_configENS1_25partition_config_selectorILNS1_17partition_subalgoE6EfNS0_10empty_typeEbEEZZNS1_14partition_implILS5_6ELb0ES3_mN6thrust23THRUST_200600_302600_NS6detail15normal_iteratorINSA_10device_ptrIfEEEEPS6_SG_NS0_5tupleIJNSA_16discard_iteratorINSA_11use_defaultEEES6_EEENSH_IJSG_SG_EEES6_PlJNSB_9not_fun_tINSB_14equal_to_valueIfEEEEEEE10hipError_tPvRmT3_T4_T5_T6_T7_T9_mT8_P12ihipStream_tbDpT10_ENKUlT_T0_E_clISt17integral_constantIbLb0EES1B_EEDaS16_S17_EUlS16_E_NS1_11comp_targetILNS1_3genE4ELNS1_11target_archE910ELNS1_3gpuE8ELNS1_3repE0EEENS1_30default_config_static_selectorELNS0_4arch9wavefront6targetE0EEEvT1_.uses_flat_scratch, 0
	.set _ZN7rocprim17ROCPRIM_400000_NS6detail17trampoline_kernelINS0_14default_configENS1_25partition_config_selectorILNS1_17partition_subalgoE6EfNS0_10empty_typeEbEEZZNS1_14partition_implILS5_6ELb0ES3_mN6thrust23THRUST_200600_302600_NS6detail15normal_iteratorINSA_10device_ptrIfEEEEPS6_SG_NS0_5tupleIJNSA_16discard_iteratorINSA_11use_defaultEEES6_EEENSH_IJSG_SG_EEES6_PlJNSB_9not_fun_tINSB_14equal_to_valueIfEEEEEEE10hipError_tPvRmT3_T4_T5_T6_T7_T9_mT8_P12ihipStream_tbDpT10_ENKUlT_T0_E_clISt17integral_constantIbLb0EES1B_EEDaS16_S17_EUlS16_E_NS1_11comp_targetILNS1_3genE4ELNS1_11target_archE910ELNS1_3gpuE8ELNS1_3repE0EEENS1_30default_config_static_selectorELNS0_4arch9wavefront6targetE0EEEvT1_.has_dyn_sized_stack, 0
	.set _ZN7rocprim17ROCPRIM_400000_NS6detail17trampoline_kernelINS0_14default_configENS1_25partition_config_selectorILNS1_17partition_subalgoE6EfNS0_10empty_typeEbEEZZNS1_14partition_implILS5_6ELb0ES3_mN6thrust23THRUST_200600_302600_NS6detail15normal_iteratorINSA_10device_ptrIfEEEEPS6_SG_NS0_5tupleIJNSA_16discard_iteratorINSA_11use_defaultEEES6_EEENSH_IJSG_SG_EEES6_PlJNSB_9not_fun_tINSB_14equal_to_valueIfEEEEEEE10hipError_tPvRmT3_T4_T5_T6_T7_T9_mT8_P12ihipStream_tbDpT10_ENKUlT_T0_E_clISt17integral_constantIbLb0EES1B_EEDaS16_S17_EUlS16_E_NS1_11comp_targetILNS1_3genE4ELNS1_11target_archE910ELNS1_3gpuE8ELNS1_3repE0EEENS1_30default_config_static_selectorELNS0_4arch9wavefront6targetE0EEEvT1_.has_recursion, 0
	.set _ZN7rocprim17ROCPRIM_400000_NS6detail17trampoline_kernelINS0_14default_configENS1_25partition_config_selectorILNS1_17partition_subalgoE6EfNS0_10empty_typeEbEEZZNS1_14partition_implILS5_6ELb0ES3_mN6thrust23THRUST_200600_302600_NS6detail15normal_iteratorINSA_10device_ptrIfEEEEPS6_SG_NS0_5tupleIJNSA_16discard_iteratorINSA_11use_defaultEEES6_EEENSH_IJSG_SG_EEES6_PlJNSB_9not_fun_tINSB_14equal_to_valueIfEEEEEEE10hipError_tPvRmT3_T4_T5_T6_T7_T9_mT8_P12ihipStream_tbDpT10_ENKUlT_T0_E_clISt17integral_constantIbLb0EES1B_EEDaS16_S17_EUlS16_E_NS1_11comp_targetILNS1_3genE4ELNS1_11target_archE910ELNS1_3gpuE8ELNS1_3repE0EEENS1_30default_config_static_selectorELNS0_4arch9wavefront6targetE0EEEvT1_.has_indirect_call, 0
	.section	.AMDGPU.csdata,"",@progbits
; Kernel info:
; codeLenInByte = 0
; TotalNumSgprs: 0
; NumVgprs: 0
; ScratchSize: 0
; MemoryBound: 0
; FloatMode: 240
; IeeeMode: 1
; LDSByteSize: 0 bytes/workgroup (compile time only)
; SGPRBlocks: 0
; VGPRBlocks: 0
; NumSGPRsForWavesPerEU: 1
; NumVGPRsForWavesPerEU: 1
; Occupancy: 16
; WaveLimiterHint : 0
; COMPUTE_PGM_RSRC2:SCRATCH_EN: 0
; COMPUTE_PGM_RSRC2:USER_SGPR: 2
; COMPUTE_PGM_RSRC2:TRAP_HANDLER: 0
; COMPUTE_PGM_RSRC2:TGID_X_EN: 1
; COMPUTE_PGM_RSRC2:TGID_Y_EN: 0
; COMPUTE_PGM_RSRC2:TGID_Z_EN: 0
; COMPUTE_PGM_RSRC2:TIDIG_COMP_CNT: 0
	.section	.text._ZN7rocprim17ROCPRIM_400000_NS6detail17trampoline_kernelINS0_14default_configENS1_25partition_config_selectorILNS1_17partition_subalgoE6EfNS0_10empty_typeEbEEZZNS1_14partition_implILS5_6ELb0ES3_mN6thrust23THRUST_200600_302600_NS6detail15normal_iteratorINSA_10device_ptrIfEEEEPS6_SG_NS0_5tupleIJNSA_16discard_iteratorINSA_11use_defaultEEES6_EEENSH_IJSG_SG_EEES6_PlJNSB_9not_fun_tINSB_14equal_to_valueIfEEEEEEE10hipError_tPvRmT3_T4_T5_T6_T7_T9_mT8_P12ihipStream_tbDpT10_ENKUlT_T0_E_clISt17integral_constantIbLb0EES1B_EEDaS16_S17_EUlS16_E_NS1_11comp_targetILNS1_3genE3ELNS1_11target_archE908ELNS1_3gpuE7ELNS1_3repE0EEENS1_30default_config_static_selectorELNS0_4arch9wavefront6targetE0EEEvT1_,"axG",@progbits,_ZN7rocprim17ROCPRIM_400000_NS6detail17trampoline_kernelINS0_14default_configENS1_25partition_config_selectorILNS1_17partition_subalgoE6EfNS0_10empty_typeEbEEZZNS1_14partition_implILS5_6ELb0ES3_mN6thrust23THRUST_200600_302600_NS6detail15normal_iteratorINSA_10device_ptrIfEEEEPS6_SG_NS0_5tupleIJNSA_16discard_iteratorINSA_11use_defaultEEES6_EEENSH_IJSG_SG_EEES6_PlJNSB_9not_fun_tINSB_14equal_to_valueIfEEEEEEE10hipError_tPvRmT3_T4_T5_T6_T7_T9_mT8_P12ihipStream_tbDpT10_ENKUlT_T0_E_clISt17integral_constantIbLb0EES1B_EEDaS16_S17_EUlS16_E_NS1_11comp_targetILNS1_3genE3ELNS1_11target_archE908ELNS1_3gpuE7ELNS1_3repE0EEENS1_30default_config_static_selectorELNS0_4arch9wavefront6targetE0EEEvT1_,comdat
	.protected	_ZN7rocprim17ROCPRIM_400000_NS6detail17trampoline_kernelINS0_14default_configENS1_25partition_config_selectorILNS1_17partition_subalgoE6EfNS0_10empty_typeEbEEZZNS1_14partition_implILS5_6ELb0ES3_mN6thrust23THRUST_200600_302600_NS6detail15normal_iteratorINSA_10device_ptrIfEEEEPS6_SG_NS0_5tupleIJNSA_16discard_iteratorINSA_11use_defaultEEES6_EEENSH_IJSG_SG_EEES6_PlJNSB_9not_fun_tINSB_14equal_to_valueIfEEEEEEE10hipError_tPvRmT3_T4_T5_T6_T7_T9_mT8_P12ihipStream_tbDpT10_ENKUlT_T0_E_clISt17integral_constantIbLb0EES1B_EEDaS16_S17_EUlS16_E_NS1_11comp_targetILNS1_3genE3ELNS1_11target_archE908ELNS1_3gpuE7ELNS1_3repE0EEENS1_30default_config_static_selectorELNS0_4arch9wavefront6targetE0EEEvT1_ ; -- Begin function _ZN7rocprim17ROCPRIM_400000_NS6detail17trampoline_kernelINS0_14default_configENS1_25partition_config_selectorILNS1_17partition_subalgoE6EfNS0_10empty_typeEbEEZZNS1_14partition_implILS5_6ELb0ES3_mN6thrust23THRUST_200600_302600_NS6detail15normal_iteratorINSA_10device_ptrIfEEEEPS6_SG_NS0_5tupleIJNSA_16discard_iteratorINSA_11use_defaultEEES6_EEENSH_IJSG_SG_EEES6_PlJNSB_9not_fun_tINSB_14equal_to_valueIfEEEEEEE10hipError_tPvRmT3_T4_T5_T6_T7_T9_mT8_P12ihipStream_tbDpT10_ENKUlT_T0_E_clISt17integral_constantIbLb0EES1B_EEDaS16_S17_EUlS16_E_NS1_11comp_targetILNS1_3genE3ELNS1_11target_archE908ELNS1_3gpuE7ELNS1_3repE0EEENS1_30default_config_static_selectorELNS0_4arch9wavefront6targetE0EEEvT1_
	.globl	_ZN7rocprim17ROCPRIM_400000_NS6detail17trampoline_kernelINS0_14default_configENS1_25partition_config_selectorILNS1_17partition_subalgoE6EfNS0_10empty_typeEbEEZZNS1_14partition_implILS5_6ELb0ES3_mN6thrust23THRUST_200600_302600_NS6detail15normal_iteratorINSA_10device_ptrIfEEEEPS6_SG_NS0_5tupleIJNSA_16discard_iteratorINSA_11use_defaultEEES6_EEENSH_IJSG_SG_EEES6_PlJNSB_9not_fun_tINSB_14equal_to_valueIfEEEEEEE10hipError_tPvRmT3_T4_T5_T6_T7_T9_mT8_P12ihipStream_tbDpT10_ENKUlT_T0_E_clISt17integral_constantIbLb0EES1B_EEDaS16_S17_EUlS16_E_NS1_11comp_targetILNS1_3genE3ELNS1_11target_archE908ELNS1_3gpuE7ELNS1_3repE0EEENS1_30default_config_static_selectorELNS0_4arch9wavefront6targetE0EEEvT1_
	.p2align	8
	.type	_ZN7rocprim17ROCPRIM_400000_NS6detail17trampoline_kernelINS0_14default_configENS1_25partition_config_selectorILNS1_17partition_subalgoE6EfNS0_10empty_typeEbEEZZNS1_14partition_implILS5_6ELb0ES3_mN6thrust23THRUST_200600_302600_NS6detail15normal_iteratorINSA_10device_ptrIfEEEEPS6_SG_NS0_5tupleIJNSA_16discard_iteratorINSA_11use_defaultEEES6_EEENSH_IJSG_SG_EEES6_PlJNSB_9not_fun_tINSB_14equal_to_valueIfEEEEEEE10hipError_tPvRmT3_T4_T5_T6_T7_T9_mT8_P12ihipStream_tbDpT10_ENKUlT_T0_E_clISt17integral_constantIbLb0EES1B_EEDaS16_S17_EUlS16_E_NS1_11comp_targetILNS1_3genE3ELNS1_11target_archE908ELNS1_3gpuE7ELNS1_3repE0EEENS1_30default_config_static_selectorELNS0_4arch9wavefront6targetE0EEEvT1_,@function
_ZN7rocprim17ROCPRIM_400000_NS6detail17trampoline_kernelINS0_14default_configENS1_25partition_config_selectorILNS1_17partition_subalgoE6EfNS0_10empty_typeEbEEZZNS1_14partition_implILS5_6ELb0ES3_mN6thrust23THRUST_200600_302600_NS6detail15normal_iteratorINSA_10device_ptrIfEEEEPS6_SG_NS0_5tupleIJNSA_16discard_iteratorINSA_11use_defaultEEES6_EEENSH_IJSG_SG_EEES6_PlJNSB_9not_fun_tINSB_14equal_to_valueIfEEEEEEE10hipError_tPvRmT3_T4_T5_T6_T7_T9_mT8_P12ihipStream_tbDpT10_ENKUlT_T0_E_clISt17integral_constantIbLb0EES1B_EEDaS16_S17_EUlS16_E_NS1_11comp_targetILNS1_3genE3ELNS1_11target_archE908ELNS1_3gpuE7ELNS1_3repE0EEENS1_30default_config_static_selectorELNS0_4arch9wavefront6targetE0EEEvT1_: ; @_ZN7rocprim17ROCPRIM_400000_NS6detail17trampoline_kernelINS0_14default_configENS1_25partition_config_selectorILNS1_17partition_subalgoE6EfNS0_10empty_typeEbEEZZNS1_14partition_implILS5_6ELb0ES3_mN6thrust23THRUST_200600_302600_NS6detail15normal_iteratorINSA_10device_ptrIfEEEEPS6_SG_NS0_5tupleIJNSA_16discard_iteratorINSA_11use_defaultEEES6_EEENSH_IJSG_SG_EEES6_PlJNSB_9not_fun_tINSB_14equal_to_valueIfEEEEEEE10hipError_tPvRmT3_T4_T5_T6_T7_T9_mT8_P12ihipStream_tbDpT10_ENKUlT_T0_E_clISt17integral_constantIbLb0EES1B_EEDaS16_S17_EUlS16_E_NS1_11comp_targetILNS1_3genE3ELNS1_11target_archE908ELNS1_3gpuE7ELNS1_3repE0EEENS1_30default_config_static_selectorELNS0_4arch9wavefront6targetE0EEEvT1_
; %bb.0:
	.section	.rodata,"a",@progbits
	.p2align	6, 0x0
	.amdhsa_kernel _ZN7rocprim17ROCPRIM_400000_NS6detail17trampoline_kernelINS0_14default_configENS1_25partition_config_selectorILNS1_17partition_subalgoE6EfNS0_10empty_typeEbEEZZNS1_14partition_implILS5_6ELb0ES3_mN6thrust23THRUST_200600_302600_NS6detail15normal_iteratorINSA_10device_ptrIfEEEEPS6_SG_NS0_5tupleIJNSA_16discard_iteratorINSA_11use_defaultEEES6_EEENSH_IJSG_SG_EEES6_PlJNSB_9not_fun_tINSB_14equal_to_valueIfEEEEEEE10hipError_tPvRmT3_T4_T5_T6_T7_T9_mT8_P12ihipStream_tbDpT10_ENKUlT_T0_E_clISt17integral_constantIbLb0EES1B_EEDaS16_S17_EUlS16_E_NS1_11comp_targetILNS1_3genE3ELNS1_11target_archE908ELNS1_3gpuE7ELNS1_3repE0EEENS1_30default_config_static_selectorELNS0_4arch9wavefront6targetE0EEEvT1_
		.amdhsa_group_segment_fixed_size 0
		.amdhsa_private_segment_fixed_size 0
		.amdhsa_kernarg_size 128
		.amdhsa_user_sgpr_count 2
		.amdhsa_user_sgpr_dispatch_ptr 0
		.amdhsa_user_sgpr_queue_ptr 0
		.amdhsa_user_sgpr_kernarg_segment_ptr 1
		.amdhsa_user_sgpr_dispatch_id 0
		.amdhsa_user_sgpr_private_segment_size 0
		.amdhsa_wavefront_size32 1
		.amdhsa_uses_dynamic_stack 0
		.amdhsa_enable_private_segment 0
		.amdhsa_system_sgpr_workgroup_id_x 1
		.amdhsa_system_sgpr_workgroup_id_y 0
		.amdhsa_system_sgpr_workgroup_id_z 0
		.amdhsa_system_sgpr_workgroup_info 0
		.amdhsa_system_vgpr_workitem_id 0
		.amdhsa_next_free_vgpr 1
		.amdhsa_next_free_sgpr 1
		.amdhsa_reserve_vcc 0
		.amdhsa_float_round_mode_32 0
		.amdhsa_float_round_mode_16_64 0
		.amdhsa_float_denorm_mode_32 3
		.amdhsa_float_denorm_mode_16_64 3
		.amdhsa_fp16_overflow 0
		.amdhsa_workgroup_processor_mode 1
		.amdhsa_memory_ordered 1
		.amdhsa_forward_progress 1
		.amdhsa_inst_pref_size 0
		.amdhsa_round_robin_scheduling 0
		.amdhsa_exception_fp_ieee_invalid_op 0
		.amdhsa_exception_fp_denorm_src 0
		.amdhsa_exception_fp_ieee_div_zero 0
		.amdhsa_exception_fp_ieee_overflow 0
		.amdhsa_exception_fp_ieee_underflow 0
		.amdhsa_exception_fp_ieee_inexact 0
		.amdhsa_exception_int_div_zero 0
	.end_amdhsa_kernel
	.section	.text._ZN7rocprim17ROCPRIM_400000_NS6detail17trampoline_kernelINS0_14default_configENS1_25partition_config_selectorILNS1_17partition_subalgoE6EfNS0_10empty_typeEbEEZZNS1_14partition_implILS5_6ELb0ES3_mN6thrust23THRUST_200600_302600_NS6detail15normal_iteratorINSA_10device_ptrIfEEEEPS6_SG_NS0_5tupleIJNSA_16discard_iteratorINSA_11use_defaultEEES6_EEENSH_IJSG_SG_EEES6_PlJNSB_9not_fun_tINSB_14equal_to_valueIfEEEEEEE10hipError_tPvRmT3_T4_T5_T6_T7_T9_mT8_P12ihipStream_tbDpT10_ENKUlT_T0_E_clISt17integral_constantIbLb0EES1B_EEDaS16_S17_EUlS16_E_NS1_11comp_targetILNS1_3genE3ELNS1_11target_archE908ELNS1_3gpuE7ELNS1_3repE0EEENS1_30default_config_static_selectorELNS0_4arch9wavefront6targetE0EEEvT1_,"axG",@progbits,_ZN7rocprim17ROCPRIM_400000_NS6detail17trampoline_kernelINS0_14default_configENS1_25partition_config_selectorILNS1_17partition_subalgoE6EfNS0_10empty_typeEbEEZZNS1_14partition_implILS5_6ELb0ES3_mN6thrust23THRUST_200600_302600_NS6detail15normal_iteratorINSA_10device_ptrIfEEEEPS6_SG_NS0_5tupleIJNSA_16discard_iteratorINSA_11use_defaultEEES6_EEENSH_IJSG_SG_EEES6_PlJNSB_9not_fun_tINSB_14equal_to_valueIfEEEEEEE10hipError_tPvRmT3_T4_T5_T6_T7_T9_mT8_P12ihipStream_tbDpT10_ENKUlT_T0_E_clISt17integral_constantIbLb0EES1B_EEDaS16_S17_EUlS16_E_NS1_11comp_targetILNS1_3genE3ELNS1_11target_archE908ELNS1_3gpuE7ELNS1_3repE0EEENS1_30default_config_static_selectorELNS0_4arch9wavefront6targetE0EEEvT1_,comdat
.Lfunc_end1600:
	.size	_ZN7rocprim17ROCPRIM_400000_NS6detail17trampoline_kernelINS0_14default_configENS1_25partition_config_selectorILNS1_17partition_subalgoE6EfNS0_10empty_typeEbEEZZNS1_14partition_implILS5_6ELb0ES3_mN6thrust23THRUST_200600_302600_NS6detail15normal_iteratorINSA_10device_ptrIfEEEEPS6_SG_NS0_5tupleIJNSA_16discard_iteratorINSA_11use_defaultEEES6_EEENSH_IJSG_SG_EEES6_PlJNSB_9not_fun_tINSB_14equal_to_valueIfEEEEEEE10hipError_tPvRmT3_T4_T5_T6_T7_T9_mT8_P12ihipStream_tbDpT10_ENKUlT_T0_E_clISt17integral_constantIbLb0EES1B_EEDaS16_S17_EUlS16_E_NS1_11comp_targetILNS1_3genE3ELNS1_11target_archE908ELNS1_3gpuE7ELNS1_3repE0EEENS1_30default_config_static_selectorELNS0_4arch9wavefront6targetE0EEEvT1_, .Lfunc_end1600-_ZN7rocprim17ROCPRIM_400000_NS6detail17trampoline_kernelINS0_14default_configENS1_25partition_config_selectorILNS1_17partition_subalgoE6EfNS0_10empty_typeEbEEZZNS1_14partition_implILS5_6ELb0ES3_mN6thrust23THRUST_200600_302600_NS6detail15normal_iteratorINSA_10device_ptrIfEEEEPS6_SG_NS0_5tupleIJNSA_16discard_iteratorINSA_11use_defaultEEES6_EEENSH_IJSG_SG_EEES6_PlJNSB_9not_fun_tINSB_14equal_to_valueIfEEEEEEE10hipError_tPvRmT3_T4_T5_T6_T7_T9_mT8_P12ihipStream_tbDpT10_ENKUlT_T0_E_clISt17integral_constantIbLb0EES1B_EEDaS16_S17_EUlS16_E_NS1_11comp_targetILNS1_3genE3ELNS1_11target_archE908ELNS1_3gpuE7ELNS1_3repE0EEENS1_30default_config_static_selectorELNS0_4arch9wavefront6targetE0EEEvT1_
                                        ; -- End function
	.set _ZN7rocprim17ROCPRIM_400000_NS6detail17trampoline_kernelINS0_14default_configENS1_25partition_config_selectorILNS1_17partition_subalgoE6EfNS0_10empty_typeEbEEZZNS1_14partition_implILS5_6ELb0ES3_mN6thrust23THRUST_200600_302600_NS6detail15normal_iteratorINSA_10device_ptrIfEEEEPS6_SG_NS0_5tupleIJNSA_16discard_iteratorINSA_11use_defaultEEES6_EEENSH_IJSG_SG_EEES6_PlJNSB_9not_fun_tINSB_14equal_to_valueIfEEEEEEE10hipError_tPvRmT3_T4_T5_T6_T7_T9_mT8_P12ihipStream_tbDpT10_ENKUlT_T0_E_clISt17integral_constantIbLb0EES1B_EEDaS16_S17_EUlS16_E_NS1_11comp_targetILNS1_3genE3ELNS1_11target_archE908ELNS1_3gpuE7ELNS1_3repE0EEENS1_30default_config_static_selectorELNS0_4arch9wavefront6targetE0EEEvT1_.num_vgpr, 0
	.set _ZN7rocprim17ROCPRIM_400000_NS6detail17trampoline_kernelINS0_14default_configENS1_25partition_config_selectorILNS1_17partition_subalgoE6EfNS0_10empty_typeEbEEZZNS1_14partition_implILS5_6ELb0ES3_mN6thrust23THRUST_200600_302600_NS6detail15normal_iteratorINSA_10device_ptrIfEEEEPS6_SG_NS0_5tupleIJNSA_16discard_iteratorINSA_11use_defaultEEES6_EEENSH_IJSG_SG_EEES6_PlJNSB_9not_fun_tINSB_14equal_to_valueIfEEEEEEE10hipError_tPvRmT3_T4_T5_T6_T7_T9_mT8_P12ihipStream_tbDpT10_ENKUlT_T0_E_clISt17integral_constantIbLb0EES1B_EEDaS16_S17_EUlS16_E_NS1_11comp_targetILNS1_3genE3ELNS1_11target_archE908ELNS1_3gpuE7ELNS1_3repE0EEENS1_30default_config_static_selectorELNS0_4arch9wavefront6targetE0EEEvT1_.num_agpr, 0
	.set _ZN7rocprim17ROCPRIM_400000_NS6detail17trampoline_kernelINS0_14default_configENS1_25partition_config_selectorILNS1_17partition_subalgoE6EfNS0_10empty_typeEbEEZZNS1_14partition_implILS5_6ELb0ES3_mN6thrust23THRUST_200600_302600_NS6detail15normal_iteratorINSA_10device_ptrIfEEEEPS6_SG_NS0_5tupleIJNSA_16discard_iteratorINSA_11use_defaultEEES6_EEENSH_IJSG_SG_EEES6_PlJNSB_9not_fun_tINSB_14equal_to_valueIfEEEEEEE10hipError_tPvRmT3_T4_T5_T6_T7_T9_mT8_P12ihipStream_tbDpT10_ENKUlT_T0_E_clISt17integral_constantIbLb0EES1B_EEDaS16_S17_EUlS16_E_NS1_11comp_targetILNS1_3genE3ELNS1_11target_archE908ELNS1_3gpuE7ELNS1_3repE0EEENS1_30default_config_static_selectorELNS0_4arch9wavefront6targetE0EEEvT1_.numbered_sgpr, 0
	.set _ZN7rocprim17ROCPRIM_400000_NS6detail17trampoline_kernelINS0_14default_configENS1_25partition_config_selectorILNS1_17partition_subalgoE6EfNS0_10empty_typeEbEEZZNS1_14partition_implILS5_6ELb0ES3_mN6thrust23THRUST_200600_302600_NS6detail15normal_iteratorINSA_10device_ptrIfEEEEPS6_SG_NS0_5tupleIJNSA_16discard_iteratorINSA_11use_defaultEEES6_EEENSH_IJSG_SG_EEES6_PlJNSB_9not_fun_tINSB_14equal_to_valueIfEEEEEEE10hipError_tPvRmT3_T4_T5_T6_T7_T9_mT8_P12ihipStream_tbDpT10_ENKUlT_T0_E_clISt17integral_constantIbLb0EES1B_EEDaS16_S17_EUlS16_E_NS1_11comp_targetILNS1_3genE3ELNS1_11target_archE908ELNS1_3gpuE7ELNS1_3repE0EEENS1_30default_config_static_selectorELNS0_4arch9wavefront6targetE0EEEvT1_.num_named_barrier, 0
	.set _ZN7rocprim17ROCPRIM_400000_NS6detail17trampoline_kernelINS0_14default_configENS1_25partition_config_selectorILNS1_17partition_subalgoE6EfNS0_10empty_typeEbEEZZNS1_14partition_implILS5_6ELb0ES3_mN6thrust23THRUST_200600_302600_NS6detail15normal_iteratorINSA_10device_ptrIfEEEEPS6_SG_NS0_5tupleIJNSA_16discard_iteratorINSA_11use_defaultEEES6_EEENSH_IJSG_SG_EEES6_PlJNSB_9not_fun_tINSB_14equal_to_valueIfEEEEEEE10hipError_tPvRmT3_T4_T5_T6_T7_T9_mT8_P12ihipStream_tbDpT10_ENKUlT_T0_E_clISt17integral_constantIbLb0EES1B_EEDaS16_S17_EUlS16_E_NS1_11comp_targetILNS1_3genE3ELNS1_11target_archE908ELNS1_3gpuE7ELNS1_3repE0EEENS1_30default_config_static_selectorELNS0_4arch9wavefront6targetE0EEEvT1_.private_seg_size, 0
	.set _ZN7rocprim17ROCPRIM_400000_NS6detail17trampoline_kernelINS0_14default_configENS1_25partition_config_selectorILNS1_17partition_subalgoE6EfNS0_10empty_typeEbEEZZNS1_14partition_implILS5_6ELb0ES3_mN6thrust23THRUST_200600_302600_NS6detail15normal_iteratorINSA_10device_ptrIfEEEEPS6_SG_NS0_5tupleIJNSA_16discard_iteratorINSA_11use_defaultEEES6_EEENSH_IJSG_SG_EEES6_PlJNSB_9not_fun_tINSB_14equal_to_valueIfEEEEEEE10hipError_tPvRmT3_T4_T5_T6_T7_T9_mT8_P12ihipStream_tbDpT10_ENKUlT_T0_E_clISt17integral_constantIbLb0EES1B_EEDaS16_S17_EUlS16_E_NS1_11comp_targetILNS1_3genE3ELNS1_11target_archE908ELNS1_3gpuE7ELNS1_3repE0EEENS1_30default_config_static_selectorELNS0_4arch9wavefront6targetE0EEEvT1_.uses_vcc, 0
	.set _ZN7rocprim17ROCPRIM_400000_NS6detail17trampoline_kernelINS0_14default_configENS1_25partition_config_selectorILNS1_17partition_subalgoE6EfNS0_10empty_typeEbEEZZNS1_14partition_implILS5_6ELb0ES3_mN6thrust23THRUST_200600_302600_NS6detail15normal_iteratorINSA_10device_ptrIfEEEEPS6_SG_NS0_5tupleIJNSA_16discard_iteratorINSA_11use_defaultEEES6_EEENSH_IJSG_SG_EEES6_PlJNSB_9not_fun_tINSB_14equal_to_valueIfEEEEEEE10hipError_tPvRmT3_T4_T5_T6_T7_T9_mT8_P12ihipStream_tbDpT10_ENKUlT_T0_E_clISt17integral_constantIbLb0EES1B_EEDaS16_S17_EUlS16_E_NS1_11comp_targetILNS1_3genE3ELNS1_11target_archE908ELNS1_3gpuE7ELNS1_3repE0EEENS1_30default_config_static_selectorELNS0_4arch9wavefront6targetE0EEEvT1_.uses_flat_scratch, 0
	.set _ZN7rocprim17ROCPRIM_400000_NS6detail17trampoline_kernelINS0_14default_configENS1_25partition_config_selectorILNS1_17partition_subalgoE6EfNS0_10empty_typeEbEEZZNS1_14partition_implILS5_6ELb0ES3_mN6thrust23THRUST_200600_302600_NS6detail15normal_iteratorINSA_10device_ptrIfEEEEPS6_SG_NS0_5tupleIJNSA_16discard_iteratorINSA_11use_defaultEEES6_EEENSH_IJSG_SG_EEES6_PlJNSB_9not_fun_tINSB_14equal_to_valueIfEEEEEEE10hipError_tPvRmT3_T4_T5_T6_T7_T9_mT8_P12ihipStream_tbDpT10_ENKUlT_T0_E_clISt17integral_constantIbLb0EES1B_EEDaS16_S17_EUlS16_E_NS1_11comp_targetILNS1_3genE3ELNS1_11target_archE908ELNS1_3gpuE7ELNS1_3repE0EEENS1_30default_config_static_selectorELNS0_4arch9wavefront6targetE0EEEvT1_.has_dyn_sized_stack, 0
	.set _ZN7rocprim17ROCPRIM_400000_NS6detail17trampoline_kernelINS0_14default_configENS1_25partition_config_selectorILNS1_17partition_subalgoE6EfNS0_10empty_typeEbEEZZNS1_14partition_implILS5_6ELb0ES3_mN6thrust23THRUST_200600_302600_NS6detail15normal_iteratorINSA_10device_ptrIfEEEEPS6_SG_NS0_5tupleIJNSA_16discard_iteratorINSA_11use_defaultEEES6_EEENSH_IJSG_SG_EEES6_PlJNSB_9not_fun_tINSB_14equal_to_valueIfEEEEEEE10hipError_tPvRmT3_T4_T5_T6_T7_T9_mT8_P12ihipStream_tbDpT10_ENKUlT_T0_E_clISt17integral_constantIbLb0EES1B_EEDaS16_S17_EUlS16_E_NS1_11comp_targetILNS1_3genE3ELNS1_11target_archE908ELNS1_3gpuE7ELNS1_3repE0EEENS1_30default_config_static_selectorELNS0_4arch9wavefront6targetE0EEEvT1_.has_recursion, 0
	.set _ZN7rocprim17ROCPRIM_400000_NS6detail17trampoline_kernelINS0_14default_configENS1_25partition_config_selectorILNS1_17partition_subalgoE6EfNS0_10empty_typeEbEEZZNS1_14partition_implILS5_6ELb0ES3_mN6thrust23THRUST_200600_302600_NS6detail15normal_iteratorINSA_10device_ptrIfEEEEPS6_SG_NS0_5tupleIJNSA_16discard_iteratorINSA_11use_defaultEEES6_EEENSH_IJSG_SG_EEES6_PlJNSB_9not_fun_tINSB_14equal_to_valueIfEEEEEEE10hipError_tPvRmT3_T4_T5_T6_T7_T9_mT8_P12ihipStream_tbDpT10_ENKUlT_T0_E_clISt17integral_constantIbLb0EES1B_EEDaS16_S17_EUlS16_E_NS1_11comp_targetILNS1_3genE3ELNS1_11target_archE908ELNS1_3gpuE7ELNS1_3repE0EEENS1_30default_config_static_selectorELNS0_4arch9wavefront6targetE0EEEvT1_.has_indirect_call, 0
	.section	.AMDGPU.csdata,"",@progbits
; Kernel info:
; codeLenInByte = 0
; TotalNumSgprs: 0
; NumVgprs: 0
; ScratchSize: 0
; MemoryBound: 0
; FloatMode: 240
; IeeeMode: 1
; LDSByteSize: 0 bytes/workgroup (compile time only)
; SGPRBlocks: 0
; VGPRBlocks: 0
; NumSGPRsForWavesPerEU: 1
; NumVGPRsForWavesPerEU: 1
; Occupancy: 16
; WaveLimiterHint : 0
; COMPUTE_PGM_RSRC2:SCRATCH_EN: 0
; COMPUTE_PGM_RSRC2:USER_SGPR: 2
; COMPUTE_PGM_RSRC2:TRAP_HANDLER: 0
; COMPUTE_PGM_RSRC2:TGID_X_EN: 1
; COMPUTE_PGM_RSRC2:TGID_Y_EN: 0
; COMPUTE_PGM_RSRC2:TGID_Z_EN: 0
; COMPUTE_PGM_RSRC2:TIDIG_COMP_CNT: 0
	.section	.text._ZN7rocprim17ROCPRIM_400000_NS6detail17trampoline_kernelINS0_14default_configENS1_25partition_config_selectorILNS1_17partition_subalgoE6EfNS0_10empty_typeEbEEZZNS1_14partition_implILS5_6ELb0ES3_mN6thrust23THRUST_200600_302600_NS6detail15normal_iteratorINSA_10device_ptrIfEEEEPS6_SG_NS0_5tupleIJNSA_16discard_iteratorINSA_11use_defaultEEES6_EEENSH_IJSG_SG_EEES6_PlJNSB_9not_fun_tINSB_14equal_to_valueIfEEEEEEE10hipError_tPvRmT3_T4_T5_T6_T7_T9_mT8_P12ihipStream_tbDpT10_ENKUlT_T0_E_clISt17integral_constantIbLb0EES1B_EEDaS16_S17_EUlS16_E_NS1_11comp_targetILNS1_3genE2ELNS1_11target_archE906ELNS1_3gpuE6ELNS1_3repE0EEENS1_30default_config_static_selectorELNS0_4arch9wavefront6targetE0EEEvT1_,"axG",@progbits,_ZN7rocprim17ROCPRIM_400000_NS6detail17trampoline_kernelINS0_14default_configENS1_25partition_config_selectorILNS1_17partition_subalgoE6EfNS0_10empty_typeEbEEZZNS1_14partition_implILS5_6ELb0ES3_mN6thrust23THRUST_200600_302600_NS6detail15normal_iteratorINSA_10device_ptrIfEEEEPS6_SG_NS0_5tupleIJNSA_16discard_iteratorINSA_11use_defaultEEES6_EEENSH_IJSG_SG_EEES6_PlJNSB_9not_fun_tINSB_14equal_to_valueIfEEEEEEE10hipError_tPvRmT3_T4_T5_T6_T7_T9_mT8_P12ihipStream_tbDpT10_ENKUlT_T0_E_clISt17integral_constantIbLb0EES1B_EEDaS16_S17_EUlS16_E_NS1_11comp_targetILNS1_3genE2ELNS1_11target_archE906ELNS1_3gpuE6ELNS1_3repE0EEENS1_30default_config_static_selectorELNS0_4arch9wavefront6targetE0EEEvT1_,comdat
	.protected	_ZN7rocprim17ROCPRIM_400000_NS6detail17trampoline_kernelINS0_14default_configENS1_25partition_config_selectorILNS1_17partition_subalgoE6EfNS0_10empty_typeEbEEZZNS1_14partition_implILS5_6ELb0ES3_mN6thrust23THRUST_200600_302600_NS6detail15normal_iteratorINSA_10device_ptrIfEEEEPS6_SG_NS0_5tupleIJNSA_16discard_iteratorINSA_11use_defaultEEES6_EEENSH_IJSG_SG_EEES6_PlJNSB_9not_fun_tINSB_14equal_to_valueIfEEEEEEE10hipError_tPvRmT3_T4_T5_T6_T7_T9_mT8_P12ihipStream_tbDpT10_ENKUlT_T0_E_clISt17integral_constantIbLb0EES1B_EEDaS16_S17_EUlS16_E_NS1_11comp_targetILNS1_3genE2ELNS1_11target_archE906ELNS1_3gpuE6ELNS1_3repE0EEENS1_30default_config_static_selectorELNS0_4arch9wavefront6targetE0EEEvT1_ ; -- Begin function _ZN7rocprim17ROCPRIM_400000_NS6detail17trampoline_kernelINS0_14default_configENS1_25partition_config_selectorILNS1_17partition_subalgoE6EfNS0_10empty_typeEbEEZZNS1_14partition_implILS5_6ELb0ES3_mN6thrust23THRUST_200600_302600_NS6detail15normal_iteratorINSA_10device_ptrIfEEEEPS6_SG_NS0_5tupleIJNSA_16discard_iteratorINSA_11use_defaultEEES6_EEENSH_IJSG_SG_EEES6_PlJNSB_9not_fun_tINSB_14equal_to_valueIfEEEEEEE10hipError_tPvRmT3_T4_T5_T6_T7_T9_mT8_P12ihipStream_tbDpT10_ENKUlT_T0_E_clISt17integral_constantIbLb0EES1B_EEDaS16_S17_EUlS16_E_NS1_11comp_targetILNS1_3genE2ELNS1_11target_archE906ELNS1_3gpuE6ELNS1_3repE0EEENS1_30default_config_static_selectorELNS0_4arch9wavefront6targetE0EEEvT1_
	.globl	_ZN7rocprim17ROCPRIM_400000_NS6detail17trampoline_kernelINS0_14default_configENS1_25partition_config_selectorILNS1_17partition_subalgoE6EfNS0_10empty_typeEbEEZZNS1_14partition_implILS5_6ELb0ES3_mN6thrust23THRUST_200600_302600_NS6detail15normal_iteratorINSA_10device_ptrIfEEEEPS6_SG_NS0_5tupleIJNSA_16discard_iteratorINSA_11use_defaultEEES6_EEENSH_IJSG_SG_EEES6_PlJNSB_9not_fun_tINSB_14equal_to_valueIfEEEEEEE10hipError_tPvRmT3_T4_T5_T6_T7_T9_mT8_P12ihipStream_tbDpT10_ENKUlT_T0_E_clISt17integral_constantIbLb0EES1B_EEDaS16_S17_EUlS16_E_NS1_11comp_targetILNS1_3genE2ELNS1_11target_archE906ELNS1_3gpuE6ELNS1_3repE0EEENS1_30default_config_static_selectorELNS0_4arch9wavefront6targetE0EEEvT1_
	.p2align	8
	.type	_ZN7rocprim17ROCPRIM_400000_NS6detail17trampoline_kernelINS0_14default_configENS1_25partition_config_selectorILNS1_17partition_subalgoE6EfNS0_10empty_typeEbEEZZNS1_14partition_implILS5_6ELb0ES3_mN6thrust23THRUST_200600_302600_NS6detail15normal_iteratorINSA_10device_ptrIfEEEEPS6_SG_NS0_5tupleIJNSA_16discard_iteratorINSA_11use_defaultEEES6_EEENSH_IJSG_SG_EEES6_PlJNSB_9not_fun_tINSB_14equal_to_valueIfEEEEEEE10hipError_tPvRmT3_T4_T5_T6_T7_T9_mT8_P12ihipStream_tbDpT10_ENKUlT_T0_E_clISt17integral_constantIbLb0EES1B_EEDaS16_S17_EUlS16_E_NS1_11comp_targetILNS1_3genE2ELNS1_11target_archE906ELNS1_3gpuE6ELNS1_3repE0EEENS1_30default_config_static_selectorELNS0_4arch9wavefront6targetE0EEEvT1_,@function
_ZN7rocprim17ROCPRIM_400000_NS6detail17trampoline_kernelINS0_14default_configENS1_25partition_config_selectorILNS1_17partition_subalgoE6EfNS0_10empty_typeEbEEZZNS1_14partition_implILS5_6ELb0ES3_mN6thrust23THRUST_200600_302600_NS6detail15normal_iteratorINSA_10device_ptrIfEEEEPS6_SG_NS0_5tupleIJNSA_16discard_iteratorINSA_11use_defaultEEES6_EEENSH_IJSG_SG_EEES6_PlJNSB_9not_fun_tINSB_14equal_to_valueIfEEEEEEE10hipError_tPvRmT3_T4_T5_T6_T7_T9_mT8_P12ihipStream_tbDpT10_ENKUlT_T0_E_clISt17integral_constantIbLb0EES1B_EEDaS16_S17_EUlS16_E_NS1_11comp_targetILNS1_3genE2ELNS1_11target_archE906ELNS1_3gpuE6ELNS1_3repE0EEENS1_30default_config_static_selectorELNS0_4arch9wavefront6targetE0EEEvT1_: ; @_ZN7rocprim17ROCPRIM_400000_NS6detail17trampoline_kernelINS0_14default_configENS1_25partition_config_selectorILNS1_17partition_subalgoE6EfNS0_10empty_typeEbEEZZNS1_14partition_implILS5_6ELb0ES3_mN6thrust23THRUST_200600_302600_NS6detail15normal_iteratorINSA_10device_ptrIfEEEEPS6_SG_NS0_5tupleIJNSA_16discard_iteratorINSA_11use_defaultEEES6_EEENSH_IJSG_SG_EEES6_PlJNSB_9not_fun_tINSB_14equal_to_valueIfEEEEEEE10hipError_tPvRmT3_T4_T5_T6_T7_T9_mT8_P12ihipStream_tbDpT10_ENKUlT_T0_E_clISt17integral_constantIbLb0EES1B_EEDaS16_S17_EUlS16_E_NS1_11comp_targetILNS1_3genE2ELNS1_11target_archE906ELNS1_3gpuE6ELNS1_3repE0EEENS1_30default_config_static_selectorELNS0_4arch9wavefront6targetE0EEEvT1_
; %bb.0:
	.section	.rodata,"a",@progbits
	.p2align	6, 0x0
	.amdhsa_kernel _ZN7rocprim17ROCPRIM_400000_NS6detail17trampoline_kernelINS0_14default_configENS1_25partition_config_selectorILNS1_17partition_subalgoE6EfNS0_10empty_typeEbEEZZNS1_14partition_implILS5_6ELb0ES3_mN6thrust23THRUST_200600_302600_NS6detail15normal_iteratorINSA_10device_ptrIfEEEEPS6_SG_NS0_5tupleIJNSA_16discard_iteratorINSA_11use_defaultEEES6_EEENSH_IJSG_SG_EEES6_PlJNSB_9not_fun_tINSB_14equal_to_valueIfEEEEEEE10hipError_tPvRmT3_T4_T5_T6_T7_T9_mT8_P12ihipStream_tbDpT10_ENKUlT_T0_E_clISt17integral_constantIbLb0EES1B_EEDaS16_S17_EUlS16_E_NS1_11comp_targetILNS1_3genE2ELNS1_11target_archE906ELNS1_3gpuE6ELNS1_3repE0EEENS1_30default_config_static_selectorELNS0_4arch9wavefront6targetE0EEEvT1_
		.amdhsa_group_segment_fixed_size 0
		.amdhsa_private_segment_fixed_size 0
		.amdhsa_kernarg_size 128
		.amdhsa_user_sgpr_count 2
		.amdhsa_user_sgpr_dispatch_ptr 0
		.amdhsa_user_sgpr_queue_ptr 0
		.amdhsa_user_sgpr_kernarg_segment_ptr 1
		.amdhsa_user_sgpr_dispatch_id 0
		.amdhsa_user_sgpr_private_segment_size 0
		.amdhsa_wavefront_size32 1
		.amdhsa_uses_dynamic_stack 0
		.amdhsa_enable_private_segment 0
		.amdhsa_system_sgpr_workgroup_id_x 1
		.amdhsa_system_sgpr_workgroup_id_y 0
		.amdhsa_system_sgpr_workgroup_id_z 0
		.amdhsa_system_sgpr_workgroup_info 0
		.amdhsa_system_vgpr_workitem_id 0
		.amdhsa_next_free_vgpr 1
		.amdhsa_next_free_sgpr 1
		.amdhsa_reserve_vcc 0
		.amdhsa_float_round_mode_32 0
		.amdhsa_float_round_mode_16_64 0
		.amdhsa_float_denorm_mode_32 3
		.amdhsa_float_denorm_mode_16_64 3
		.amdhsa_fp16_overflow 0
		.amdhsa_workgroup_processor_mode 1
		.amdhsa_memory_ordered 1
		.amdhsa_forward_progress 1
		.amdhsa_inst_pref_size 0
		.amdhsa_round_robin_scheduling 0
		.amdhsa_exception_fp_ieee_invalid_op 0
		.amdhsa_exception_fp_denorm_src 0
		.amdhsa_exception_fp_ieee_div_zero 0
		.amdhsa_exception_fp_ieee_overflow 0
		.amdhsa_exception_fp_ieee_underflow 0
		.amdhsa_exception_fp_ieee_inexact 0
		.amdhsa_exception_int_div_zero 0
	.end_amdhsa_kernel
	.section	.text._ZN7rocprim17ROCPRIM_400000_NS6detail17trampoline_kernelINS0_14default_configENS1_25partition_config_selectorILNS1_17partition_subalgoE6EfNS0_10empty_typeEbEEZZNS1_14partition_implILS5_6ELb0ES3_mN6thrust23THRUST_200600_302600_NS6detail15normal_iteratorINSA_10device_ptrIfEEEEPS6_SG_NS0_5tupleIJNSA_16discard_iteratorINSA_11use_defaultEEES6_EEENSH_IJSG_SG_EEES6_PlJNSB_9not_fun_tINSB_14equal_to_valueIfEEEEEEE10hipError_tPvRmT3_T4_T5_T6_T7_T9_mT8_P12ihipStream_tbDpT10_ENKUlT_T0_E_clISt17integral_constantIbLb0EES1B_EEDaS16_S17_EUlS16_E_NS1_11comp_targetILNS1_3genE2ELNS1_11target_archE906ELNS1_3gpuE6ELNS1_3repE0EEENS1_30default_config_static_selectorELNS0_4arch9wavefront6targetE0EEEvT1_,"axG",@progbits,_ZN7rocprim17ROCPRIM_400000_NS6detail17trampoline_kernelINS0_14default_configENS1_25partition_config_selectorILNS1_17partition_subalgoE6EfNS0_10empty_typeEbEEZZNS1_14partition_implILS5_6ELb0ES3_mN6thrust23THRUST_200600_302600_NS6detail15normal_iteratorINSA_10device_ptrIfEEEEPS6_SG_NS0_5tupleIJNSA_16discard_iteratorINSA_11use_defaultEEES6_EEENSH_IJSG_SG_EEES6_PlJNSB_9not_fun_tINSB_14equal_to_valueIfEEEEEEE10hipError_tPvRmT3_T4_T5_T6_T7_T9_mT8_P12ihipStream_tbDpT10_ENKUlT_T0_E_clISt17integral_constantIbLb0EES1B_EEDaS16_S17_EUlS16_E_NS1_11comp_targetILNS1_3genE2ELNS1_11target_archE906ELNS1_3gpuE6ELNS1_3repE0EEENS1_30default_config_static_selectorELNS0_4arch9wavefront6targetE0EEEvT1_,comdat
.Lfunc_end1601:
	.size	_ZN7rocprim17ROCPRIM_400000_NS6detail17trampoline_kernelINS0_14default_configENS1_25partition_config_selectorILNS1_17partition_subalgoE6EfNS0_10empty_typeEbEEZZNS1_14partition_implILS5_6ELb0ES3_mN6thrust23THRUST_200600_302600_NS6detail15normal_iteratorINSA_10device_ptrIfEEEEPS6_SG_NS0_5tupleIJNSA_16discard_iteratorINSA_11use_defaultEEES6_EEENSH_IJSG_SG_EEES6_PlJNSB_9not_fun_tINSB_14equal_to_valueIfEEEEEEE10hipError_tPvRmT3_T4_T5_T6_T7_T9_mT8_P12ihipStream_tbDpT10_ENKUlT_T0_E_clISt17integral_constantIbLb0EES1B_EEDaS16_S17_EUlS16_E_NS1_11comp_targetILNS1_3genE2ELNS1_11target_archE906ELNS1_3gpuE6ELNS1_3repE0EEENS1_30default_config_static_selectorELNS0_4arch9wavefront6targetE0EEEvT1_, .Lfunc_end1601-_ZN7rocprim17ROCPRIM_400000_NS6detail17trampoline_kernelINS0_14default_configENS1_25partition_config_selectorILNS1_17partition_subalgoE6EfNS0_10empty_typeEbEEZZNS1_14partition_implILS5_6ELb0ES3_mN6thrust23THRUST_200600_302600_NS6detail15normal_iteratorINSA_10device_ptrIfEEEEPS6_SG_NS0_5tupleIJNSA_16discard_iteratorINSA_11use_defaultEEES6_EEENSH_IJSG_SG_EEES6_PlJNSB_9not_fun_tINSB_14equal_to_valueIfEEEEEEE10hipError_tPvRmT3_T4_T5_T6_T7_T9_mT8_P12ihipStream_tbDpT10_ENKUlT_T0_E_clISt17integral_constantIbLb0EES1B_EEDaS16_S17_EUlS16_E_NS1_11comp_targetILNS1_3genE2ELNS1_11target_archE906ELNS1_3gpuE6ELNS1_3repE0EEENS1_30default_config_static_selectorELNS0_4arch9wavefront6targetE0EEEvT1_
                                        ; -- End function
	.set _ZN7rocprim17ROCPRIM_400000_NS6detail17trampoline_kernelINS0_14default_configENS1_25partition_config_selectorILNS1_17partition_subalgoE6EfNS0_10empty_typeEbEEZZNS1_14partition_implILS5_6ELb0ES3_mN6thrust23THRUST_200600_302600_NS6detail15normal_iteratorINSA_10device_ptrIfEEEEPS6_SG_NS0_5tupleIJNSA_16discard_iteratorINSA_11use_defaultEEES6_EEENSH_IJSG_SG_EEES6_PlJNSB_9not_fun_tINSB_14equal_to_valueIfEEEEEEE10hipError_tPvRmT3_T4_T5_T6_T7_T9_mT8_P12ihipStream_tbDpT10_ENKUlT_T0_E_clISt17integral_constantIbLb0EES1B_EEDaS16_S17_EUlS16_E_NS1_11comp_targetILNS1_3genE2ELNS1_11target_archE906ELNS1_3gpuE6ELNS1_3repE0EEENS1_30default_config_static_selectorELNS0_4arch9wavefront6targetE0EEEvT1_.num_vgpr, 0
	.set _ZN7rocprim17ROCPRIM_400000_NS6detail17trampoline_kernelINS0_14default_configENS1_25partition_config_selectorILNS1_17partition_subalgoE6EfNS0_10empty_typeEbEEZZNS1_14partition_implILS5_6ELb0ES3_mN6thrust23THRUST_200600_302600_NS6detail15normal_iteratorINSA_10device_ptrIfEEEEPS6_SG_NS0_5tupleIJNSA_16discard_iteratorINSA_11use_defaultEEES6_EEENSH_IJSG_SG_EEES6_PlJNSB_9not_fun_tINSB_14equal_to_valueIfEEEEEEE10hipError_tPvRmT3_T4_T5_T6_T7_T9_mT8_P12ihipStream_tbDpT10_ENKUlT_T0_E_clISt17integral_constantIbLb0EES1B_EEDaS16_S17_EUlS16_E_NS1_11comp_targetILNS1_3genE2ELNS1_11target_archE906ELNS1_3gpuE6ELNS1_3repE0EEENS1_30default_config_static_selectorELNS0_4arch9wavefront6targetE0EEEvT1_.num_agpr, 0
	.set _ZN7rocprim17ROCPRIM_400000_NS6detail17trampoline_kernelINS0_14default_configENS1_25partition_config_selectorILNS1_17partition_subalgoE6EfNS0_10empty_typeEbEEZZNS1_14partition_implILS5_6ELb0ES3_mN6thrust23THRUST_200600_302600_NS6detail15normal_iteratorINSA_10device_ptrIfEEEEPS6_SG_NS0_5tupleIJNSA_16discard_iteratorINSA_11use_defaultEEES6_EEENSH_IJSG_SG_EEES6_PlJNSB_9not_fun_tINSB_14equal_to_valueIfEEEEEEE10hipError_tPvRmT3_T4_T5_T6_T7_T9_mT8_P12ihipStream_tbDpT10_ENKUlT_T0_E_clISt17integral_constantIbLb0EES1B_EEDaS16_S17_EUlS16_E_NS1_11comp_targetILNS1_3genE2ELNS1_11target_archE906ELNS1_3gpuE6ELNS1_3repE0EEENS1_30default_config_static_selectorELNS0_4arch9wavefront6targetE0EEEvT1_.numbered_sgpr, 0
	.set _ZN7rocprim17ROCPRIM_400000_NS6detail17trampoline_kernelINS0_14default_configENS1_25partition_config_selectorILNS1_17partition_subalgoE6EfNS0_10empty_typeEbEEZZNS1_14partition_implILS5_6ELb0ES3_mN6thrust23THRUST_200600_302600_NS6detail15normal_iteratorINSA_10device_ptrIfEEEEPS6_SG_NS0_5tupleIJNSA_16discard_iteratorINSA_11use_defaultEEES6_EEENSH_IJSG_SG_EEES6_PlJNSB_9not_fun_tINSB_14equal_to_valueIfEEEEEEE10hipError_tPvRmT3_T4_T5_T6_T7_T9_mT8_P12ihipStream_tbDpT10_ENKUlT_T0_E_clISt17integral_constantIbLb0EES1B_EEDaS16_S17_EUlS16_E_NS1_11comp_targetILNS1_3genE2ELNS1_11target_archE906ELNS1_3gpuE6ELNS1_3repE0EEENS1_30default_config_static_selectorELNS0_4arch9wavefront6targetE0EEEvT1_.num_named_barrier, 0
	.set _ZN7rocprim17ROCPRIM_400000_NS6detail17trampoline_kernelINS0_14default_configENS1_25partition_config_selectorILNS1_17partition_subalgoE6EfNS0_10empty_typeEbEEZZNS1_14partition_implILS5_6ELb0ES3_mN6thrust23THRUST_200600_302600_NS6detail15normal_iteratorINSA_10device_ptrIfEEEEPS6_SG_NS0_5tupleIJNSA_16discard_iteratorINSA_11use_defaultEEES6_EEENSH_IJSG_SG_EEES6_PlJNSB_9not_fun_tINSB_14equal_to_valueIfEEEEEEE10hipError_tPvRmT3_T4_T5_T6_T7_T9_mT8_P12ihipStream_tbDpT10_ENKUlT_T0_E_clISt17integral_constantIbLb0EES1B_EEDaS16_S17_EUlS16_E_NS1_11comp_targetILNS1_3genE2ELNS1_11target_archE906ELNS1_3gpuE6ELNS1_3repE0EEENS1_30default_config_static_selectorELNS0_4arch9wavefront6targetE0EEEvT1_.private_seg_size, 0
	.set _ZN7rocprim17ROCPRIM_400000_NS6detail17trampoline_kernelINS0_14default_configENS1_25partition_config_selectorILNS1_17partition_subalgoE6EfNS0_10empty_typeEbEEZZNS1_14partition_implILS5_6ELb0ES3_mN6thrust23THRUST_200600_302600_NS6detail15normal_iteratorINSA_10device_ptrIfEEEEPS6_SG_NS0_5tupleIJNSA_16discard_iteratorINSA_11use_defaultEEES6_EEENSH_IJSG_SG_EEES6_PlJNSB_9not_fun_tINSB_14equal_to_valueIfEEEEEEE10hipError_tPvRmT3_T4_T5_T6_T7_T9_mT8_P12ihipStream_tbDpT10_ENKUlT_T0_E_clISt17integral_constantIbLb0EES1B_EEDaS16_S17_EUlS16_E_NS1_11comp_targetILNS1_3genE2ELNS1_11target_archE906ELNS1_3gpuE6ELNS1_3repE0EEENS1_30default_config_static_selectorELNS0_4arch9wavefront6targetE0EEEvT1_.uses_vcc, 0
	.set _ZN7rocprim17ROCPRIM_400000_NS6detail17trampoline_kernelINS0_14default_configENS1_25partition_config_selectorILNS1_17partition_subalgoE6EfNS0_10empty_typeEbEEZZNS1_14partition_implILS5_6ELb0ES3_mN6thrust23THRUST_200600_302600_NS6detail15normal_iteratorINSA_10device_ptrIfEEEEPS6_SG_NS0_5tupleIJNSA_16discard_iteratorINSA_11use_defaultEEES6_EEENSH_IJSG_SG_EEES6_PlJNSB_9not_fun_tINSB_14equal_to_valueIfEEEEEEE10hipError_tPvRmT3_T4_T5_T6_T7_T9_mT8_P12ihipStream_tbDpT10_ENKUlT_T0_E_clISt17integral_constantIbLb0EES1B_EEDaS16_S17_EUlS16_E_NS1_11comp_targetILNS1_3genE2ELNS1_11target_archE906ELNS1_3gpuE6ELNS1_3repE0EEENS1_30default_config_static_selectorELNS0_4arch9wavefront6targetE0EEEvT1_.uses_flat_scratch, 0
	.set _ZN7rocprim17ROCPRIM_400000_NS6detail17trampoline_kernelINS0_14default_configENS1_25partition_config_selectorILNS1_17partition_subalgoE6EfNS0_10empty_typeEbEEZZNS1_14partition_implILS5_6ELb0ES3_mN6thrust23THRUST_200600_302600_NS6detail15normal_iteratorINSA_10device_ptrIfEEEEPS6_SG_NS0_5tupleIJNSA_16discard_iteratorINSA_11use_defaultEEES6_EEENSH_IJSG_SG_EEES6_PlJNSB_9not_fun_tINSB_14equal_to_valueIfEEEEEEE10hipError_tPvRmT3_T4_T5_T6_T7_T9_mT8_P12ihipStream_tbDpT10_ENKUlT_T0_E_clISt17integral_constantIbLb0EES1B_EEDaS16_S17_EUlS16_E_NS1_11comp_targetILNS1_3genE2ELNS1_11target_archE906ELNS1_3gpuE6ELNS1_3repE0EEENS1_30default_config_static_selectorELNS0_4arch9wavefront6targetE0EEEvT1_.has_dyn_sized_stack, 0
	.set _ZN7rocprim17ROCPRIM_400000_NS6detail17trampoline_kernelINS0_14default_configENS1_25partition_config_selectorILNS1_17partition_subalgoE6EfNS0_10empty_typeEbEEZZNS1_14partition_implILS5_6ELb0ES3_mN6thrust23THRUST_200600_302600_NS6detail15normal_iteratorINSA_10device_ptrIfEEEEPS6_SG_NS0_5tupleIJNSA_16discard_iteratorINSA_11use_defaultEEES6_EEENSH_IJSG_SG_EEES6_PlJNSB_9not_fun_tINSB_14equal_to_valueIfEEEEEEE10hipError_tPvRmT3_T4_T5_T6_T7_T9_mT8_P12ihipStream_tbDpT10_ENKUlT_T0_E_clISt17integral_constantIbLb0EES1B_EEDaS16_S17_EUlS16_E_NS1_11comp_targetILNS1_3genE2ELNS1_11target_archE906ELNS1_3gpuE6ELNS1_3repE0EEENS1_30default_config_static_selectorELNS0_4arch9wavefront6targetE0EEEvT1_.has_recursion, 0
	.set _ZN7rocprim17ROCPRIM_400000_NS6detail17trampoline_kernelINS0_14default_configENS1_25partition_config_selectorILNS1_17partition_subalgoE6EfNS0_10empty_typeEbEEZZNS1_14partition_implILS5_6ELb0ES3_mN6thrust23THRUST_200600_302600_NS6detail15normal_iteratorINSA_10device_ptrIfEEEEPS6_SG_NS0_5tupleIJNSA_16discard_iteratorINSA_11use_defaultEEES6_EEENSH_IJSG_SG_EEES6_PlJNSB_9not_fun_tINSB_14equal_to_valueIfEEEEEEE10hipError_tPvRmT3_T4_T5_T6_T7_T9_mT8_P12ihipStream_tbDpT10_ENKUlT_T0_E_clISt17integral_constantIbLb0EES1B_EEDaS16_S17_EUlS16_E_NS1_11comp_targetILNS1_3genE2ELNS1_11target_archE906ELNS1_3gpuE6ELNS1_3repE0EEENS1_30default_config_static_selectorELNS0_4arch9wavefront6targetE0EEEvT1_.has_indirect_call, 0
	.section	.AMDGPU.csdata,"",@progbits
; Kernel info:
; codeLenInByte = 0
; TotalNumSgprs: 0
; NumVgprs: 0
; ScratchSize: 0
; MemoryBound: 0
; FloatMode: 240
; IeeeMode: 1
; LDSByteSize: 0 bytes/workgroup (compile time only)
; SGPRBlocks: 0
; VGPRBlocks: 0
; NumSGPRsForWavesPerEU: 1
; NumVGPRsForWavesPerEU: 1
; Occupancy: 16
; WaveLimiterHint : 0
; COMPUTE_PGM_RSRC2:SCRATCH_EN: 0
; COMPUTE_PGM_RSRC2:USER_SGPR: 2
; COMPUTE_PGM_RSRC2:TRAP_HANDLER: 0
; COMPUTE_PGM_RSRC2:TGID_X_EN: 1
; COMPUTE_PGM_RSRC2:TGID_Y_EN: 0
; COMPUTE_PGM_RSRC2:TGID_Z_EN: 0
; COMPUTE_PGM_RSRC2:TIDIG_COMP_CNT: 0
	.section	.text._ZN7rocprim17ROCPRIM_400000_NS6detail17trampoline_kernelINS0_14default_configENS1_25partition_config_selectorILNS1_17partition_subalgoE6EfNS0_10empty_typeEbEEZZNS1_14partition_implILS5_6ELb0ES3_mN6thrust23THRUST_200600_302600_NS6detail15normal_iteratorINSA_10device_ptrIfEEEEPS6_SG_NS0_5tupleIJNSA_16discard_iteratorINSA_11use_defaultEEES6_EEENSH_IJSG_SG_EEES6_PlJNSB_9not_fun_tINSB_14equal_to_valueIfEEEEEEE10hipError_tPvRmT3_T4_T5_T6_T7_T9_mT8_P12ihipStream_tbDpT10_ENKUlT_T0_E_clISt17integral_constantIbLb0EES1B_EEDaS16_S17_EUlS16_E_NS1_11comp_targetILNS1_3genE10ELNS1_11target_archE1200ELNS1_3gpuE4ELNS1_3repE0EEENS1_30default_config_static_selectorELNS0_4arch9wavefront6targetE0EEEvT1_,"axG",@progbits,_ZN7rocprim17ROCPRIM_400000_NS6detail17trampoline_kernelINS0_14default_configENS1_25partition_config_selectorILNS1_17partition_subalgoE6EfNS0_10empty_typeEbEEZZNS1_14partition_implILS5_6ELb0ES3_mN6thrust23THRUST_200600_302600_NS6detail15normal_iteratorINSA_10device_ptrIfEEEEPS6_SG_NS0_5tupleIJNSA_16discard_iteratorINSA_11use_defaultEEES6_EEENSH_IJSG_SG_EEES6_PlJNSB_9not_fun_tINSB_14equal_to_valueIfEEEEEEE10hipError_tPvRmT3_T4_T5_T6_T7_T9_mT8_P12ihipStream_tbDpT10_ENKUlT_T0_E_clISt17integral_constantIbLb0EES1B_EEDaS16_S17_EUlS16_E_NS1_11comp_targetILNS1_3genE10ELNS1_11target_archE1200ELNS1_3gpuE4ELNS1_3repE0EEENS1_30default_config_static_selectorELNS0_4arch9wavefront6targetE0EEEvT1_,comdat
	.protected	_ZN7rocprim17ROCPRIM_400000_NS6detail17trampoline_kernelINS0_14default_configENS1_25partition_config_selectorILNS1_17partition_subalgoE6EfNS0_10empty_typeEbEEZZNS1_14partition_implILS5_6ELb0ES3_mN6thrust23THRUST_200600_302600_NS6detail15normal_iteratorINSA_10device_ptrIfEEEEPS6_SG_NS0_5tupleIJNSA_16discard_iteratorINSA_11use_defaultEEES6_EEENSH_IJSG_SG_EEES6_PlJNSB_9not_fun_tINSB_14equal_to_valueIfEEEEEEE10hipError_tPvRmT3_T4_T5_T6_T7_T9_mT8_P12ihipStream_tbDpT10_ENKUlT_T0_E_clISt17integral_constantIbLb0EES1B_EEDaS16_S17_EUlS16_E_NS1_11comp_targetILNS1_3genE10ELNS1_11target_archE1200ELNS1_3gpuE4ELNS1_3repE0EEENS1_30default_config_static_selectorELNS0_4arch9wavefront6targetE0EEEvT1_ ; -- Begin function _ZN7rocprim17ROCPRIM_400000_NS6detail17trampoline_kernelINS0_14default_configENS1_25partition_config_selectorILNS1_17partition_subalgoE6EfNS0_10empty_typeEbEEZZNS1_14partition_implILS5_6ELb0ES3_mN6thrust23THRUST_200600_302600_NS6detail15normal_iteratorINSA_10device_ptrIfEEEEPS6_SG_NS0_5tupleIJNSA_16discard_iteratorINSA_11use_defaultEEES6_EEENSH_IJSG_SG_EEES6_PlJNSB_9not_fun_tINSB_14equal_to_valueIfEEEEEEE10hipError_tPvRmT3_T4_T5_T6_T7_T9_mT8_P12ihipStream_tbDpT10_ENKUlT_T0_E_clISt17integral_constantIbLb0EES1B_EEDaS16_S17_EUlS16_E_NS1_11comp_targetILNS1_3genE10ELNS1_11target_archE1200ELNS1_3gpuE4ELNS1_3repE0EEENS1_30default_config_static_selectorELNS0_4arch9wavefront6targetE0EEEvT1_
	.globl	_ZN7rocprim17ROCPRIM_400000_NS6detail17trampoline_kernelINS0_14default_configENS1_25partition_config_selectorILNS1_17partition_subalgoE6EfNS0_10empty_typeEbEEZZNS1_14partition_implILS5_6ELb0ES3_mN6thrust23THRUST_200600_302600_NS6detail15normal_iteratorINSA_10device_ptrIfEEEEPS6_SG_NS0_5tupleIJNSA_16discard_iteratorINSA_11use_defaultEEES6_EEENSH_IJSG_SG_EEES6_PlJNSB_9not_fun_tINSB_14equal_to_valueIfEEEEEEE10hipError_tPvRmT3_T4_T5_T6_T7_T9_mT8_P12ihipStream_tbDpT10_ENKUlT_T0_E_clISt17integral_constantIbLb0EES1B_EEDaS16_S17_EUlS16_E_NS1_11comp_targetILNS1_3genE10ELNS1_11target_archE1200ELNS1_3gpuE4ELNS1_3repE0EEENS1_30default_config_static_selectorELNS0_4arch9wavefront6targetE0EEEvT1_
	.p2align	8
	.type	_ZN7rocprim17ROCPRIM_400000_NS6detail17trampoline_kernelINS0_14default_configENS1_25partition_config_selectorILNS1_17partition_subalgoE6EfNS0_10empty_typeEbEEZZNS1_14partition_implILS5_6ELb0ES3_mN6thrust23THRUST_200600_302600_NS6detail15normal_iteratorINSA_10device_ptrIfEEEEPS6_SG_NS0_5tupleIJNSA_16discard_iteratorINSA_11use_defaultEEES6_EEENSH_IJSG_SG_EEES6_PlJNSB_9not_fun_tINSB_14equal_to_valueIfEEEEEEE10hipError_tPvRmT3_T4_T5_T6_T7_T9_mT8_P12ihipStream_tbDpT10_ENKUlT_T0_E_clISt17integral_constantIbLb0EES1B_EEDaS16_S17_EUlS16_E_NS1_11comp_targetILNS1_3genE10ELNS1_11target_archE1200ELNS1_3gpuE4ELNS1_3repE0EEENS1_30default_config_static_selectorELNS0_4arch9wavefront6targetE0EEEvT1_,@function
_ZN7rocprim17ROCPRIM_400000_NS6detail17trampoline_kernelINS0_14default_configENS1_25partition_config_selectorILNS1_17partition_subalgoE6EfNS0_10empty_typeEbEEZZNS1_14partition_implILS5_6ELb0ES3_mN6thrust23THRUST_200600_302600_NS6detail15normal_iteratorINSA_10device_ptrIfEEEEPS6_SG_NS0_5tupleIJNSA_16discard_iteratorINSA_11use_defaultEEES6_EEENSH_IJSG_SG_EEES6_PlJNSB_9not_fun_tINSB_14equal_to_valueIfEEEEEEE10hipError_tPvRmT3_T4_T5_T6_T7_T9_mT8_P12ihipStream_tbDpT10_ENKUlT_T0_E_clISt17integral_constantIbLb0EES1B_EEDaS16_S17_EUlS16_E_NS1_11comp_targetILNS1_3genE10ELNS1_11target_archE1200ELNS1_3gpuE4ELNS1_3repE0EEENS1_30default_config_static_selectorELNS0_4arch9wavefront6targetE0EEEvT1_: ; @_ZN7rocprim17ROCPRIM_400000_NS6detail17trampoline_kernelINS0_14default_configENS1_25partition_config_selectorILNS1_17partition_subalgoE6EfNS0_10empty_typeEbEEZZNS1_14partition_implILS5_6ELb0ES3_mN6thrust23THRUST_200600_302600_NS6detail15normal_iteratorINSA_10device_ptrIfEEEEPS6_SG_NS0_5tupleIJNSA_16discard_iteratorINSA_11use_defaultEEES6_EEENSH_IJSG_SG_EEES6_PlJNSB_9not_fun_tINSB_14equal_to_valueIfEEEEEEE10hipError_tPvRmT3_T4_T5_T6_T7_T9_mT8_P12ihipStream_tbDpT10_ENKUlT_T0_E_clISt17integral_constantIbLb0EES1B_EEDaS16_S17_EUlS16_E_NS1_11comp_targetILNS1_3genE10ELNS1_11target_archE1200ELNS1_3gpuE4ELNS1_3repE0EEENS1_30default_config_static_selectorELNS0_4arch9wavefront6targetE0EEEvT1_
; %bb.0:
	s_clause 0x3
	s_load_b128 s[4:7], s[0:1], 0x8
	s_load_b128 s[8:11], s[0:1], 0x48
	s_load_b32 s16, s[0:1], 0x70
	s_load_b64 s[2:3], s[0:1], 0x58
	s_mov_b32 s13, 0
	s_mul_i32 s18, ttmp9, 0xa80
	s_mov_b32 s19, s13
	v_lshlrev_b32_e32 v8, 2, v0
	s_wait_kmcnt 0x0
	s_lshl_b64 s[14:15], s[6:7], 2
	s_load_b64 s[10:11], s[10:11], 0x0
	s_mul_i32 s12, s16, 0xa80
	s_add_co_i32 s16, s16, -1
	s_add_co_i32 s17, s12, s6
	s_add_nc_u64 s[20:21], s[4:5], s[14:15]
	s_add_nc_u64 s[4:5], s[6:7], s[12:13]
	s_sub_co_i32 s15, s2, s17
	s_cmp_eq_u32 ttmp9, s16
	v_cmp_gt_u64_e64 s2, s[2:3], s[4:5]
	s_cselect_b32 s12, -1, 0
	s_cmp_lg_u32 ttmp9, s16
	s_mov_b32 s4, -1
	s_cselect_b32 s3, -1, 0
	s_wait_alu 0xfffe
	s_or_b32 s16, s3, s2
	s_lshl_b64 s[2:3], s[18:19], 2
	s_and_b32 vcc_lo, exec_lo, s16
	s_wait_alu 0xfffe
	s_add_nc_u64 s[2:3], s[20:21], s[2:3]
	s_cbranch_vccz .LBB1602_2
; %bb.1:
	s_wait_alu 0xfffe
	v_add_co_u32 v1, s4, s2, v8
	s_wait_alu 0xf1ff
	v_add_co_ci_u32_e64 v2, null, s3, 0, s4
	s_mov_b32 s4, 0
	s_clause 0x6
	flat_load_b32 v3, v[1:2]
	flat_load_b32 v4, v[1:2] offset:1536
	flat_load_b32 v5, v[1:2] offset:3072
	;; [unrolled: 1-line block ×6, first 2 shown]
	s_wait_loadcnt_dscnt 0x505
	ds_store_2addr_stride64_b32 v8, v3, v4 offset1:6
	s_wait_loadcnt_dscnt 0x304
	ds_store_2addr_stride64_b32 v8, v5, v6 offset0:12 offset1:18
	s_wait_loadcnt_dscnt 0x103
	ds_store_2addr_stride64_b32 v8, v7, v9 offset0:24 offset1:30
	s_wait_loadcnt_dscnt 0x3
	ds_store_b32 v8, v1 offset:9216
	s_wait_dscnt 0x0
	s_barrier_signal -1
	s_barrier_wait -1
.LBB1602_2:
	s_load_b32 s14, s[0:1], 0x78
	s_and_not1_b32 vcc_lo, exec_lo, s4
	s_addk_co_i32 s15, 0xa80
	s_cbranch_vccnz .LBB1602_18
; %bb.3:
	v_mov_b32_e32 v1, 0
	s_mov_b32 s4, exec_lo
	s_delay_alu instid0(VALU_DEP_1)
	v_dual_mov_b32 v2, v1 :: v_dual_mov_b32 v3, v1
	v_dual_mov_b32 v4, v1 :: v_dual_mov_b32 v5, v1
	;; [unrolled: 1-line block ×3, first 2 shown]
	v_cmpx_gt_u32_e64 s15, v0
	s_cbranch_execz .LBB1602_5
; %bb.4:
	v_add_co_u32 v2, s5, s2, v8
	s_wait_alu 0xf1ff
	v_add_co_ci_u32_e64 v3, null, s3, 0, s5
	v_dual_mov_b32 v10, v1 :: v_dual_mov_b32 v11, v1
	v_dual_mov_b32 v12, v1 :: v_dual_mov_b32 v13, v1
	flat_load_b32 v9, v[2:3]
	v_dual_mov_b32 v14, v1 :: v_dual_mov_b32 v15, v1
	s_wait_loadcnt_dscnt 0x0
	v_dual_mov_b32 v1, v9 :: v_dual_mov_b32 v2, v10
	v_dual_mov_b32 v3, v11 :: v_dual_mov_b32 v4, v12
	s_delay_alu instid0(VALU_DEP_3)
	v_dual_mov_b32 v5, v13 :: v_dual_mov_b32 v6, v14
	v_mov_b32_e32 v7, v15
.LBB1602_5:
	s_wait_alu 0xfffe
	s_or_b32 exec_lo, exec_lo, s4
	v_add_nc_u32_e32 v9, 0x180, v0
	s_mov_b32 s4, exec_lo
	s_delay_alu instid0(VALU_DEP_1)
	v_cmpx_gt_u32_e64 s15, v9
	s_cbranch_execz .LBB1602_7
; %bb.6:
	v_add_co_u32 v9, s5, s2, v8
	s_wait_alu 0xf1ff
	v_add_co_ci_u32_e64 v10, null, s3, 0, s5
	flat_load_b32 v2, v[9:10] offset:1536
.LBB1602_7:
	s_wait_alu 0xfffe
	s_or_b32 exec_lo, exec_lo, s4
	v_add_nc_u32_e32 v9, 0x300, v0
	s_mov_b32 s4, exec_lo
	s_delay_alu instid0(VALU_DEP_1)
	v_cmpx_gt_u32_e64 s15, v9
	s_cbranch_execz .LBB1602_9
; %bb.8:
	v_add_co_u32 v9, s5, s2, v8
	s_wait_alu 0xf1ff
	v_add_co_ci_u32_e64 v10, null, s3, 0, s5
	flat_load_b32 v3, v[9:10] offset:3072
.LBB1602_9:
	;; [unrolled: 13-line block ×3, first 2 shown]
	s_wait_alu 0xfffe
	s_or_b32 exec_lo, exec_lo, s4
	v_or_b32_e32 v9, 0x600, v0
	s_mov_b32 s4, exec_lo
	s_delay_alu instid0(VALU_DEP_1)
	v_cmpx_gt_u32_e64 s15, v9
	s_cbranch_execz .LBB1602_13
; %bb.12:
	v_add_co_u32 v9, s5, s2, v8
	s_wait_alu 0xf1ff
	v_add_co_ci_u32_e64 v10, null, s3, 0, s5
	flat_load_b32 v5, v[9:10] offset:6144
.LBB1602_13:
	s_wait_alu 0xfffe
	s_or_b32 exec_lo, exec_lo, s4
	v_add_nc_u32_e32 v9, 0x780, v0
	s_mov_b32 s4, exec_lo
	s_delay_alu instid0(VALU_DEP_1)
	v_cmpx_gt_u32_e64 s15, v9
	s_cbranch_execz .LBB1602_15
; %bb.14:
	v_add_co_u32 v9, s5, s2, v8
	s_wait_alu 0xf1ff
	v_add_co_ci_u32_e64 v10, null, s3, 0, s5
	flat_load_b32 v6, v[9:10] offset:7680
.LBB1602_15:
	s_wait_alu 0xfffe
	s_or_b32 exec_lo, exec_lo, s4
	v_add_nc_u32_e32 v9, 0x900, v0
	s_mov_b32 s4, exec_lo
	s_delay_alu instid0(VALU_DEP_1)
	v_cmpx_gt_u32_e64 s15, v9
	s_cbranch_execz .LBB1602_17
; %bb.16:
	v_add_co_u32 v9, s2, s2, v8
	s_wait_alu 0xf1ff
	v_add_co_ci_u32_e64 v10, null, s3, 0, s2
	flat_load_b32 v7, v[9:10] offset:9216
.LBB1602_17:
	s_wait_alu 0xfffe
	s_or_b32 exec_lo, exec_lo, s4
	s_wait_loadcnt_dscnt 0x0
	ds_store_2addr_stride64_b32 v8, v1, v2 offset1:6
	ds_store_2addr_stride64_b32 v8, v3, v4 offset0:12 offset1:18
	ds_store_2addr_stride64_b32 v8, v5, v6 offset0:24 offset1:30
	ds_store_b32 v8, v7 offset:9216
	s_wait_dscnt 0x0
	s_barrier_signal -1
	s_barrier_wait -1
.LBB1602_18:
	v_mul_u32_u24_e32 v1, 7, v0
	global_inv scope:SCOPE_SE
	s_and_not1_b32 vcc_lo, exec_lo, s16
	v_lshlrev_b32_e32 v27, 2, v1
	ds_load_2addr_b32 v[9:10], v27 offset0:4 offset1:5
	ds_load_b32 v23, v27 offset:24
	ds_load_2addr_b32 v[13:14], v27 offset1:1
	ds_load_2addr_b32 v[11:12], v27 offset0:2 offset1:3
	s_wait_loadcnt_dscnt 0x0
	s_barrier_signal -1
	s_barrier_wait -1
	global_inv scope:SCOPE_SE
	s_wait_kmcnt 0x0
	v_cmp_neq_f32_e64 s2, s14, v9
	v_cmp_neq_f32_e64 s13, s14, v23
	;; [unrolled: 1-line block ×7, first 2 shown]
	s_cbranch_vccnz .LBB1602_20
; %bb.19:
	v_cndmask_b32_e64 v2, 0, 1, s6
	v_cndmask_b32_e64 v3, 0, 1, s7
	s_wait_alu 0xf1ff
	v_cndmask_b32_e64 v4, 0, 1, s4
	v_cndmask_b32_e64 v5, 0, 1, s5
	;; [unrolled: 1-line block ×3, first 2 shown]
	v_lshlrev_b16 v2, 8, v2
	v_lshlrev_b16 v3, 8, v3
	v_cndmask_b32_e64 v24, 0, 1, s3
	s_delay_alu instid0(VALU_DEP_3) | instskip(NEXT) | instid1(VALU_DEP_3)
	v_or_b32_e32 v2, v4, v2
	v_or_b32_e32 v3, v5, v3
	s_delay_alu instid0(VALU_DEP_2) | instskip(NEXT) | instid1(VALU_DEP_2)
	v_and_b32_e32 v2, 0xffff, v2
	v_lshlrev_b32_e32 v3, 16, v3
	s_delay_alu instid0(VALU_DEP_1)
	v_or_b32_e32 v26, v2, v3
	s_cbranch_execz .LBB1602_21
	s_branch .LBB1602_22
.LBB1602_20:
                                        ; implicit-def: $sgpr13
                                        ; implicit-def: $vgpr24
                                        ; implicit-def: $vgpr25
                                        ; implicit-def: $vgpr26
.LBB1602_21:
	v_add_nc_u32_e32 v2, 1, v1
	v_cmp_neq_f32_e32 vcc_lo, s14, v14
	v_add_nc_u32_e32 v3, 3, v1
	v_cmp_neq_f32_e64 s2, s14, v13
	v_cmp_neq_f32_e64 s4, s14, v12
	v_cmp_gt_u32_e64 s3, s15, v2
	v_add_nc_u32_e32 v2, 2, v1
	v_cmp_gt_u32_e64 s6, s15, v3
	v_cmp_neq_f32_e64 s5, s14, v11
	v_add_nc_u32_e32 v5, 5, v1
	s_and_b32 s3, s3, vcc_lo
	v_cmp_gt_u32_e32 vcc_lo, s15, v1
	s_wait_alu 0xfffe
	v_cndmask_b32_e64 v3, 0, 1, s3
	v_cmp_gt_u32_e64 s3, s15, v2
	s_and_b32 s4, s6, s4
	s_and_b32 s2, vcc_lo, s2
	v_lshlrev_b16 v3, 8, v3
	s_wait_alu 0xfffe
	v_cndmask_b32_e64 v4, 0, 1, s2
	v_cndmask_b32_e64 v2, 0, 1, s4
	s_and_b32 s2, s3, s5
	v_cmp_neq_f32_e32 vcc_lo, s14, v10
	s_wait_alu 0xfffe
	v_cndmask_b32_e64 v6, 0, 1, s2
	v_cmp_gt_u32_e64 s2, s15, v5
	v_or_b32_e32 v3, v4, v3
	v_add_nc_u32_e32 v4, 4, v1
	v_lshlrev_b16 v2, 8, v2
	v_cmp_neq_f32_e64 s3, s14, v9
	s_and_b32 s2, s2, vcc_lo
	v_add_nc_u32_e32 v1, 6, v1
	v_cmp_gt_u32_e32 vcc_lo, s15, v4
	v_or_b32_e32 v2, v6, v2
	s_wait_alu 0xfffe
	v_cndmask_b32_e64 v24, 0, 1, s2
	v_and_b32_e32 v3, 0xffff, v3
	s_and_b32 s2, vcc_lo, s3
	v_cmp_gt_u32_e32 vcc_lo, s15, v1
	s_wait_alu 0xfffe
	v_cndmask_b32_e64 v5, 0, 1, s2
	v_cmp_neq_f32_e64 s2, s14, v23
	v_lshlrev_b32_e32 v2, 16, v2
	v_lshlrev_b16 v4, 8, v24
	s_and_not1_b32 s3, s13, exec_lo
	s_and_b32 s2, vcc_lo, s2
	s_delay_alu instid0(VALU_DEP_2) | instskip(NEXT) | instid1(VALU_DEP_2)
	v_or_b32_e32 v26, v3, v2
	v_or_b32_e32 v25, v5, v4
	s_wait_alu 0xfffe
	s_and_b32 s2, s2, exec_lo
	s_wait_alu 0xfffe
	s_or_b32 s13, s3, s2
.LBB1602_22:
	s_delay_alu instid0(VALU_DEP_1)
	v_dual_mov_b32 v2, 0 :: v_dual_and_b32 v31, 0xff, v26
	v_bfe_u32 v30, v26, 8, 8
	v_cndmask_b32_e64 v1, 0, 1, s13
	v_bfe_u32 v33, v26, 16, 8
	s_load_b64 s[4:5], s[0:1], 0x68
	v_lshrrev_b32_e32 v28, 24, v26
	v_and_b32_e32 v32, 0xff, v25
	v_add3_u32 v1, v31, v1, v30
	v_mbcnt_lo_u32_b32 v34, -1, 0
	v_and_b32_e32 v29, 0xff, v24
	s_cmp_lg_u32 ttmp9, 0
	s_mov_b32 s1, -1
	v_add_co_u32 v1, s0, v1, v33
	s_delay_alu instid0(VALU_DEP_1) | instskip(SKIP_1) | instid1(VALU_DEP_3)
	v_add_co_ci_u32_e64 v3, null, 0, 0, s0
	v_and_b32_e32 v35, 15, v34
	v_add_co_u32 v1, vcc_lo, v1, v28
	s_delay_alu instid0(VALU_DEP_1) | instskip(NEXT) | instid1(VALU_DEP_3)
	v_add_co_ci_u32_e64 v3, null, 0, v3, vcc_lo
	v_cmp_ne_u32_e64 s0, 0, v35
	s_delay_alu instid0(VALU_DEP_3) | instskip(SKIP_1) | instid1(VALU_DEP_3)
	v_add_co_u32 v1, vcc_lo, v1, v32
	s_wait_alu 0xfffd
	v_add_co_ci_u32_e64 v3, null, 0, v3, vcc_lo
	s_delay_alu instid0(VALU_DEP_2) | instskip(SKIP_1) | instid1(VALU_DEP_2)
	v_add_co_u32 v15, vcc_lo, v1, v29
	s_wait_alu 0xfffd
	v_add_co_ci_u32_e64 v16, null, 0, v3, vcc_lo
	s_cbranch_scc0 .LBB1602_81
; %bb.23:
	v_mov_b32_e32 v3, v15
	v_mov_b32_dpp v1, v15 row_shr:1 row_mask:0xf bank_mask:0xf
	v_mov_b32_dpp v6, v2 row_shr:1 row_mask:0xf bank_mask:0xf
	v_dual_mov_b32 v5, v15 :: v_dual_mov_b32 v4, v16
	s_and_saveexec_b32 s1, s0
; %bb.24:
	s_delay_alu instid0(VALU_DEP_3) | instskip(SKIP_2) | instid1(VALU_DEP_2)
	v_add_co_u32 v5, vcc_lo, v15, v1
	s_wait_alu 0xfffd
	v_add_co_ci_u32_e64 v2, null, 0, v16, vcc_lo
	v_add_co_u32 v1, vcc_lo, 0, v5
	s_wait_alu 0xfffd
	s_delay_alu instid0(VALU_DEP_2) | instskip(NEXT) | instid1(VALU_DEP_1)
	v_add_co_ci_u32_e64 v2, null, v6, v2, vcc_lo
	v_dual_mov_b32 v4, v2 :: v_dual_mov_b32 v3, v1
; %bb.25:
	s_wait_alu 0xfffe
	s_or_b32 exec_lo, exec_lo, s1
	v_mov_b32_dpp v1, v5 row_shr:2 row_mask:0xf bank_mask:0xf
	v_mov_b32_dpp v6, v2 row_shr:2 row_mask:0xf bank_mask:0xf
	v_cmp_lt_u32_e32 vcc_lo, 1, v35
	s_and_saveexec_b32 s2, vcc_lo
; %bb.26:
	s_delay_alu instid0(VALU_DEP_3) | instskip(SKIP_2) | instid1(VALU_DEP_2)
	v_add_co_u32 v5, s1, v3, v1
	s_wait_alu 0xf1ff
	v_add_co_ci_u32_e64 v2, null, 0, v4, s1
	v_add_co_u32 v1, s1, 0, v5
	s_wait_alu 0xf1ff
	s_delay_alu instid0(VALU_DEP_2) | instskip(NEXT) | instid1(VALU_DEP_1)
	v_add_co_ci_u32_e64 v2, null, v6, v2, s1
	v_dual_mov_b32 v4, v2 :: v_dual_mov_b32 v3, v1
; %bb.27:
	s_wait_alu 0xfffe
	s_or_b32 exec_lo, exec_lo, s2
	v_mov_b32_dpp v1, v5 row_shr:4 row_mask:0xf bank_mask:0xf
	v_mov_b32_dpp v6, v2 row_shr:4 row_mask:0xf bank_mask:0xf
	v_cmp_lt_u32_e64 s1, 3, v35
	s_and_saveexec_b32 s3, s1
; %bb.28:
	v_add_co_u32 v5, s2, v3, v1
	s_wait_alu 0xf1ff
	v_add_co_ci_u32_e64 v2, null, 0, v4, s2
	s_delay_alu instid0(VALU_DEP_2) | instskip(SKIP_1) | instid1(VALU_DEP_2)
	v_add_co_u32 v1, s2, 0, v5
	s_wait_alu 0xf1ff
	v_add_co_ci_u32_e64 v2, null, v6, v2, s2
	s_delay_alu instid0(VALU_DEP_1)
	v_dual_mov_b32 v4, v2 :: v_dual_mov_b32 v3, v1
; %bb.29:
	s_wait_alu 0xfffe
	s_or_b32 exec_lo, exec_lo, s3
	v_mov_b32_dpp v6, v5 row_shr:8 row_mask:0xf bank_mask:0xf
	v_mov_b32_dpp v1, v2 row_shr:8 row_mask:0xf bank_mask:0xf
	v_cmp_lt_u32_e64 s2, 7, v35
	s_and_saveexec_b32 s6, s2
; %bb.30:
	v_add_co_u32 v5, s3, v3, v6
	s_wait_alu 0xf1ff
	v_add_co_ci_u32_e64 v2, null, 0, v4, s3
	s_delay_alu instid0(VALU_DEP_2) | instskip(SKIP_1) | instid1(VALU_DEP_2)
	v_add_co_u32 v3, s3, 0, v5
	s_wait_alu 0xf1ff
	v_add_co_ci_u32_e64 v4, null, v1, v2, s3
	s_delay_alu instid0(VALU_DEP_1)
	v_mov_b32_e32 v2, v4
; %bb.31:
	s_wait_alu 0xfffe
	s_or_b32 exec_lo, exec_lo, s6
	ds_swizzle_b32 v6, v5 offset:swizzle(BROADCAST,32,15)
	ds_swizzle_b32 v1, v2 offset:swizzle(BROADCAST,32,15)
	v_and_b32_e32 v2, 16, v34
	s_mov_b32 s6, exec_lo
	s_delay_alu instid0(VALU_DEP_1)
	v_cmpx_ne_u32_e32 0, v2
	s_cbranch_execz .LBB1602_33
; %bb.32:
	s_wait_dscnt 0x1
	v_add_co_u32 v5, s3, v3, v6
	s_wait_alu 0xf1ff
	v_add_co_ci_u32_e64 v2, null, 0, v4, s3
	s_delay_alu instid0(VALU_DEP_2) | instskip(SKIP_2) | instid1(VALU_DEP_2)
	v_add_co_u32 v3, s3, 0, v5
	s_wait_dscnt 0x0
	s_wait_alu 0xf1ff
	v_add_co_ci_u32_e64 v4, null, v1, v2, s3
.LBB1602_33:
	s_wait_alu 0xfffe
	s_or_b32 exec_lo, exec_lo, s6
	s_wait_dscnt 0x0
	v_and_b32_e32 v1, 0x1e0, v0
	v_lshrrev_b32_e32 v6, 5, v0
	s_mov_b32 s6, exec_lo
	s_delay_alu instid0(VALU_DEP_2) | instskip(NEXT) | instid1(VALU_DEP_1)
	v_min_u32_e32 v1, 0x160, v1
	v_or_b32_e32 v1, 31, v1
	s_delay_alu instid0(VALU_DEP_1)
	v_cmpx_eq_u32_e64 v0, v1
; %bb.34:
	v_lshlrev_b32_e32 v1, 3, v6
	ds_store_b64 v1, v[3:4]
; %bb.35:
	s_wait_alu 0xfffe
	s_or_b32 exec_lo, exec_lo, s6
	s_delay_alu instid0(SALU_CYCLE_1)
	s_mov_b32 s6, exec_lo
	s_wait_loadcnt_dscnt 0x0
	s_barrier_signal -1
	s_barrier_wait -1
	global_inv scope:SCOPE_SE
	v_cmpx_gt_u32_e32 12, v0
	s_cbranch_execz .LBB1602_45
; %bb.36:
	v_lshlrev_b32_e32 v3, 3, v0
	ds_load_b64 v[1:2], v3
	s_wait_dscnt 0x0
	v_mov_b32_dpp v8, v1 row_shr:1 row_mask:0xf bank_mask:0xf
	v_mov_b32_dpp v7, v2 row_shr:1 row_mask:0xf bank_mask:0xf
	v_mov_b32_e32 v4, v1
	s_and_saveexec_b32 s7, s0
; %bb.37:
	s_delay_alu instid0(VALU_DEP_3) | instskip(SKIP_2) | instid1(VALU_DEP_2)
	v_add_co_u32 v4, s3, v1, v8
	s_wait_alu 0xf1ff
	v_add_co_ci_u32_e64 v2, null, 0, v2, s3
	v_add_co_u32 v1, s3, 0, v4
	s_wait_alu 0xf1ff
	s_delay_alu instid0(VALU_DEP_2)
	v_add_co_ci_u32_e64 v2, null, v7, v2, s3
; %bb.38:
	s_wait_alu 0xfffe
	s_or_b32 exec_lo, exec_lo, s7
	v_mov_b32_dpp v8, v4 row_shr:2 row_mask:0xf bank_mask:0xf
	s_delay_alu instid0(VALU_DEP_2)
	v_mov_b32_dpp v7, v2 row_shr:2 row_mask:0xf bank_mask:0xf
	s_and_saveexec_b32 s3, vcc_lo
; %bb.39:
	s_delay_alu instid0(VALU_DEP_2) | instskip(SKIP_2) | instid1(VALU_DEP_2)
	v_add_co_u32 v4, vcc_lo, v1, v8
	s_wait_alu 0xfffd
	v_add_co_ci_u32_e64 v2, null, 0, v2, vcc_lo
	v_add_co_u32 v1, vcc_lo, 0, v4
	s_wait_alu 0xfffd
	s_delay_alu instid0(VALU_DEP_2)
	v_add_co_ci_u32_e64 v2, null, v7, v2, vcc_lo
; %bb.40:
	s_wait_alu 0xfffe
	s_or_b32 exec_lo, exec_lo, s3
	v_mov_b32_dpp v8, v4 row_shr:4 row_mask:0xf bank_mask:0xf
	s_delay_alu instid0(VALU_DEP_2)
	v_mov_b32_dpp v7, v2 row_shr:4 row_mask:0xf bank_mask:0xf
	s_and_saveexec_b32 s3, s1
; %bb.41:
	s_delay_alu instid0(VALU_DEP_2) | instskip(SKIP_2) | instid1(VALU_DEP_2)
	v_add_co_u32 v4, vcc_lo, v1, v8
	s_wait_alu 0xfffd
	v_add_co_ci_u32_e64 v2, null, 0, v2, vcc_lo
	v_add_co_u32 v1, vcc_lo, 0, v4
	s_wait_alu 0xfffd
	s_delay_alu instid0(VALU_DEP_2)
	v_add_co_ci_u32_e64 v2, null, v7, v2, vcc_lo
; %bb.42:
	s_wait_alu 0xfffe
	s_or_b32 exec_lo, exec_lo, s3
	v_mov_b32_dpp v7, v4 row_shr:8 row_mask:0xf bank_mask:0xf
	s_delay_alu instid0(VALU_DEP_2)
	v_mov_b32_dpp v4, v2 row_shr:8 row_mask:0xf bank_mask:0xf
	s_and_saveexec_b32 s1, s2
; %bb.43:
	s_delay_alu instid0(VALU_DEP_2) | instskip(SKIP_2) | instid1(VALU_DEP_2)
	v_add_co_u32 v1, vcc_lo, v1, v7
	s_wait_alu 0xfffd
	v_add_co_ci_u32_e64 v2, null, 0, v2, vcc_lo
	v_add_co_u32 v1, vcc_lo, v1, 0
	s_wait_alu 0xfffd
	s_delay_alu instid0(VALU_DEP_2)
	v_add_co_ci_u32_e64 v2, null, v2, v4, vcc_lo
; %bb.44:
	s_wait_alu 0xfffe
	s_or_b32 exec_lo, exec_lo, s1
	ds_store_b64 v3, v[1:2]
.LBB1602_45:
	s_wait_alu 0xfffe
	s_or_b32 exec_lo, exec_lo, s6
	s_delay_alu instid0(SALU_CYCLE_1)
	s_mov_b32 s2, exec_lo
	v_cmp_gt_u32_e32 vcc_lo, 32, v0
	s_wait_loadcnt_dscnt 0x0
	s_barrier_signal -1
	s_barrier_wait -1
	global_inv scope:SCOPE_SE
                                        ; implicit-def: $vgpr17_vgpr18
	v_cmpx_lt_u32_e32 31, v0
	s_cbranch_execz .LBB1602_47
; %bb.46:
	v_lshl_add_u32 v1, v6, 3, -8
	ds_load_b64 v[17:18], v1
	s_wait_dscnt 0x0
	v_add_nc_u32_e32 v5, v5, v17
.LBB1602_47:
	s_wait_alu 0xfffe
	s_or_b32 exec_lo, exec_lo, s2
	v_sub_co_u32 v1, s1, v34, 1
	s_delay_alu instid0(VALU_DEP_1) | instskip(SKIP_1) | instid1(VALU_DEP_1)
	v_cmp_gt_i32_e64 s2, 0, v1
	s_wait_alu 0xf1ff
	v_cndmask_b32_e64 v1, v1, v34, s2
	s_delay_alu instid0(VALU_DEP_1)
	v_lshlrev_b32_e32 v1, 2, v1
	ds_bpermute_b32 v36, v1, v5
	s_and_saveexec_b32 s2, vcc_lo
	s_cbranch_execz .LBB1602_86
; %bb.48:
	v_mov_b32_e32 v4, 0
	ds_load_b64 v[1:2], v4 offset:88
	s_and_saveexec_b32 s3, s1
	s_cbranch_execz .LBB1602_50
; %bb.49:
	s_add_co_i32 s6, ttmp9, 32
	s_mov_b32 s7, 0
	s_wait_alu 0xfffe
	s_lshl_b64 s[6:7], s[6:7], 4
	s_wait_kmcnt 0x0
	s_wait_alu 0xfffe
	s_add_nc_u64 s[6:7], s[4:5], s[6:7]
	v_mov_b32_e32 v3, 1
	s_wait_alu 0xfffe
	v_dual_mov_b32 v5, s6 :: v_dual_mov_b32 v6, s7
	s_wait_dscnt 0x0
	;;#ASMSTART
	global_store_b128 v[5:6], v[1:4] off scope:SCOPE_DEV	
s_wait_storecnt 0x0
	;;#ASMEND
.LBB1602_50:
	s_wait_alu 0xfffe
	s_or_b32 exec_lo, exec_lo, s3
	v_xad_u32 v19, v34, -1, ttmp9
	s_mov_b32 s6, 0
	s_mov_b32 s3, exec_lo
	s_delay_alu instid0(VALU_DEP_1) | instskip(NEXT) | instid1(VALU_DEP_1)
	v_add_nc_u32_e32 v3, 32, v19
	v_lshlrev_b64_e32 v[3:4], 4, v[3:4]
	s_wait_kmcnt 0x0
	s_delay_alu instid0(VALU_DEP_1) | instskip(SKIP_1) | instid1(VALU_DEP_2)
	v_add_co_u32 v3, vcc_lo, s4, v3
	s_wait_alu 0xfffd
	v_add_co_ci_u32_e64 v4, null, s5, v4, vcc_lo
	;;#ASMSTART
	global_load_b128 v[5:8], v[3:4] off scope:SCOPE_DEV	
s_wait_loadcnt 0x0
	;;#ASMEND
	v_and_b32_e32 v8, 0xff, v7
	s_delay_alu instid0(VALU_DEP_1)
	v_cmpx_eq_u16_e32 0, v8
	s_cbranch_execz .LBB1602_53
.LBB1602_51:                            ; =>This Inner Loop Header: Depth=1
	;;#ASMSTART
	global_load_b128 v[5:8], v[3:4] off scope:SCOPE_DEV	
s_wait_loadcnt 0x0
	;;#ASMEND
	v_and_b32_e32 v8, 0xff, v7
	s_delay_alu instid0(VALU_DEP_1)
	v_cmp_ne_u16_e32 vcc_lo, 0, v8
	s_wait_alu 0xfffe
	s_or_b32 s6, vcc_lo, s6
	s_wait_alu 0xfffe
	s_and_not1_b32 exec_lo, exec_lo, s6
	s_cbranch_execnz .LBB1602_51
; %bb.52:
	s_or_b32 exec_lo, exec_lo, s6
.LBB1602_53:
	s_wait_alu 0xfffe
	s_or_b32 exec_lo, exec_lo, s3
	v_cmp_ne_u32_e32 vcc_lo, 31, v34
	v_and_b32_e32 v4, 0xff, v7
	v_lshlrev_b32_e64 v38, v34, -1
	s_mov_b32 s3, exec_lo
	s_wait_alu 0xfffd
	v_add_co_ci_u32_e64 v3, null, 0, v34, vcc_lo
	v_cmp_eq_u16_e32 vcc_lo, 2, v4
	s_delay_alu instid0(VALU_DEP_2)
	v_dual_mov_b32 v4, v5 :: v_dual_lshlrev_b32 v37, 2, v3
	s_wait_alu 0xfffd
	v_and_or_b32 v3, vcc_lo, v38, 0x80000000
	ds_bpermute_b32 v20, v37, v5
	ds_bpermute_b32 v8, v37, v6
	v_ctz_i32_b32_e32 v3, v3
	s_delay_alu instid0(VALU_DEP_1)
	v_cmpx_lt_u32_e64 v34, v3
	s_cbranch_execz .LBB1602_55
; %bb.54:
	s_wait_dscnt 0x1
	v_add_co_u32 v4, vcc_lo, v5, v20
	s_wait_alu 0xfffd
	v_add_co_ci_u32_e64 v6, null, 0, v6, vcc_lo
	s_delay_alu instid0(VALU_DEP_2) | instskip(SKIP_2) | instid1(VALU_DEP_2)
	v_add_co_u32 v5, vcc_lo, 0, v4
	s_wait_dscnt 0x0
	s_wait_alu 0xfffd
	v_add_co_ci_u32_e64 v6, null, v8, v6, vcc_lo
.LBB1602_55:
	s_wait_alu 0xfffe
	s_or_b32 exec_lo, exec_lo, s3
	v_cmp_gt_u32_e32 vcc_lo, 30, v34
	v_add_nc_u32_e32 v40, 2, v34
	s_mov_b32 s3, exec_lo
	s_wait_dscnt 0x0
	s_wait_alu 0xfffd
	v_cndmask_b32_e64 v8, 0, 2, vcc_lo
	s_delay_alu instid0(VALU_DEP_1)
	v_add_lshl_u32 v39, v8, v34, 2
	ds_bpermute_b32 v20, v39, v4
	ds_bpermute_b32 v8, v39, v6
	v_cmpx_le_u32_e64 v40, v3
	s_cbranch_execz .LBB1602_57
; %bb.56:
	s_wait_dscnt 0x1
	v_add_co_u32 v4, vcc_lo, v5, v20
	s_wait_alu 0xfffd
	v_add_co_ci_u32_e64 v6, null, 0, v6, vcc_lo
	s_delay_alu instid0(VALU_DEP_2) | instskip(SKIP_2) | instid1(VALU_DEP_2)
	v_add_co_u32 v5, vcc_lo, 0, v4
	s_wait_dscnt 0x0
	s_wait_alu 0xfffd
	v_add_co_ci_u32_e64 v6, null, v8, v6, vcc_lo
.LBB1602_57:
	s_wait_alu 0xfffe
	s_or_b32 exec_lo, exec_lo, s3
	v_cmp_gt_u32_e32 vcc_lo, 28, v34
	v_add_nc_u32_e32 v42, 4, v34
	s_mov_b32 s3, exec_lo
	s_wait_dscnt 0x0
	s_wait_alu 0xfffd
	v_cndmask_b32_e64 v8, 0, 4, vcc_lo
	s_delay_alu instid0(VALU_DEP_1)
	v_add_lshl_u32 v41, v8, v34, 2
	ds_bpermute_b32 v20, v41, v4
	ds_bpermute_b32 v8, v41, v6
	v_cmpx_le_u32_e64 v42, v3
	;; [unrolled: 25-line block ×3, first 2 shown]
	s_cbranch_execz .LBB1602_61
; %bb.60:
	s_wait_dscnt 0x1
	v_add_co_u32 v4, vcc_lo, v5, v20
	s_wait_alu 0xfffd
	v_add_co_ci_u32_e64 v6, null, 0, v6, vcc_lo
	s_delay_alu instid0(VALU_DEP_2) | instskip(SKIP_2) | instid1(VALU_DEP_2)
	v_add_co_u32 v5, vcc_lo, 0, v4
	s_wait_dscnt 0x0
	s_wait_alu 0xfffd
	v_add_co_ci_u32_e64 v6, null, v8, v6, vcc_lo
.LBB1602_61:
	s_wait_alu 0xfffe
	s_or_b32 exec_lo, exec_lo, s3
	v_lshl_or_b32 v45, v34, 2, 64
	v_add_nc_u32_e32 v46, 16, v34
	s_mov_b32 s3, exec_lo
	s_wait_dscnt 0x0
	ds_bpermute_b32 v8, v45, v4
	ds_bpermute_b32 v4, v45, v6
	v_cmpx_le_u32_e64 v46, v3
	s_cbranch_execz .LBB1602_63
; %bb.62:
	s_wait_dscnt 0x1
	v_add_co_u32 v3, vcc_lo, v5, v8
	s_wait_alu 0xfffd
	v_add_co_ci_u32_e64 v6, null, 0, v6, vcc_lo
	s_delay_alu instid0(VALU_DEP_2) | instskip(SKIP_2) | instid1(VALU_DEP_2)
	v_add_co_u32 v5, vcc_lo, v3, 0
	s_wait_dscnt 0x0
	s_wait_alu 0xfffd
	v_add_co_ci_u32_e64 v6, null, v6, v4, vcc_lo
.LBB1602_63:
	s_wait_alu 0xfffe
	s_or_b32 exec_lo, exec_lo, s3
	v_mov_b32_e32 v20, 0
	s_branch .LBB1602_66
.LBB1602_64:                            ;   in Loop: Header=BB1602_66 Depth=1
	s_wait_alu 0xfffe
	s_or_b32 exec_lo, exec_lo, s3
	v_add_co_u32 v5, vcc_lo, v5, v3
	v_subrev_nc_u32_e32 v19, 32, v19
	s_wait_alu 0xfffd
	v_add_co_ci_u32_e64 v6, null, v6, v4, vcc_lo
	s_mov_b32 s3, 0
.LBB1602_65:                            ;   in Loop: Header=BB1602_66 Depth=1
	s_wait_alu 0xfffe
	s_and_b32 vcc_lo, exec_lo, s3
	s_wait_alu 0xfffe
	s_cbranch_vccnz .LBB1602_82
.LBB1602_66:                            ; =>This Loop Header: Depth=1
                                        ;     Child Loop BB1602_69 Depth 2
	v_and_b32_e32 v3, 0xff, v7
	s_mov_b32 s3, -1
	s_delay_alu instid0(VALU_DEP_1)
	v_cmp_ne_u16_e32 vcc_lo, 2, v3
	s_wait_dscnt 0x0
	v_dual_mov_b32 v3, v5 :: v_dual_mov_b32 v4, v6
                                        ; implicit-def: $vgpr5_vgpr6
	s_cmp_lg_u32 vcc_lo, exec_lo
	s_cbranch_scc1 .LBB1602_65
; %bb.67:                               ;   in Loop: Header=BB1602_66 Depth=1
	v_lshlrev_b64_e32 v[5:6], 4, v[19:20]
	s_mov_b32 s3, exec_lo
	s_delay_alu instid0(VALU_DEP_1) | instskip(SKIP_1) | instid1(VALU_DEP_2)
	v_add_co_u32 v21, vcc_lo, s4, v5
	s_wait_alu 0xfffd
	v_add_co_ci_u32_e64 v22, null, s5, v6, vcc_lo
	;;#ASMSTART
	global_load_b128 v[5:8], v[21:22] off scope:SCOPE_DEV	
s_wait_loadcnt 0x0
	;;#ASMEND
	v_and_b32_e32 v8, 0xff, v7
	s_delay_alu instid0(VALU_DEP_1)
	v_cmpx_eq_u16_e32 0, v8
	s_cbranch_execz .LBB1602_71
; %bb.68:                               ;   in Loop: Header=BB1602_66 Depth=1
	s_mov_b32 s6, 0
.LBB1602_69:                            ;   Parent Loop BB1602_66 Depth=1
                                        ; =>  This Inner Loop Header: Depth=2
	;;#ASMSTART
	global_load_b128 v[5:8], v[21:22] off scope:SCOPE_DEV	
s_wait_loadcnt 0x0
	;;#ASMEND
	v_and_b32_e32 v8, 0xff, v7
	s_delay_alu instid0(VALU_DEP_1)
	v_cmp_ne_u16_e32 vcc_lo, 0, v8
	s_wait_alu 0xfffe
	s_or_b32 s6, vcc_lo, s6
	s_wait_alu 0xfffe
	s_and_not1_b32 exec_lo, exec_lo, s6
	s_cbranch_execnz .LBB1602_69
; %bb.70:                               ;   in Loop: Header=BB1602_66 Depth=1
	s_or_b32 exec_lo, exec_lo, s6
.LBB1602_71:                            ;   in Loop: Header=BB1602_66 Depth=1
	s_wait_alu 0xfffe
	s_or_b32 exec_lo, exec_lo, s3
	v_dual_mov_b32 v21, v5 :: v_dual_and_b32 v8, 0xff, v7
	ds_bpermute_b32 v47, v37, v5
	ds_bpermute_b32 v22, v37, v6
	s_mov_b32 s3, exec_lo
	v_cmp_eq_u16_e32 vcc_lo, 2, v8
	s_wait_alu 0xfffd
	v_and_or_b32 v8, vcc_lo, v38, 0x80000000
	s_delay_alu instid0(VALU_DEP_1) | instskip(NEXT) | instid1(VALU_DEP_1)
	v_ctz_i32_b32_e32 v8, v8
	v_cmpx_lt_u32_e64 v34, v8
	s_cbranch_execz .LBB1602_73
; %bb.72:                               ;   in Loop: Header=BB1602_66 Depth=1
	s_wait_dscnt 0x1
	v_add_co_u32 v21, vcc_lo, v5, v47
	s_wait_alu 0xfffd
	v_add_co_ci_u32_e64 v6, null, 0, v6, vcc_lo
	s_delay_alu instid0(VALU_DEP_2) | instskip(SKIP_2) | instid1(VALU_DEP_2)
	v_add_co_u32 v5, vcc_lo, 0, v21
	s_wait_dscnt 0x0
	s_wait_alu 0xfffd
	v_add_co_ci_u32_e64 v6, null, v22, v6, vcc_lo
.LBB1602_73:                            ;   in Loop: Header=BB1602_66 Depth=1
	s_wait_alu 0xfffe
	s_or_b32 exec_lo, exec_lo, s3
	s_wait_dscnt 0x1
	ds_bpermute_b32 v47, v39, v21
	s_wait_dscnt 0x1
	ds_bpermute_b32 v22, v39, v6
	s_mov_b32 s3, exec_lo
	v_cmpx_le_u32_e64 v40, v8
	s_cbranch_execz .LBB1602_75
; %bb.74:                               ;   in Loop: Header=BB1602_66 Depth=1
	s_wait_dscnt 0x1
	v_add_co_u32 v21, vcc_lo, v5, v47
	s_wait_alu 0xfffd
	v_add_co_ci_u32_e64 v6, null, 0, v6, vcc_lo
	s_delay_alu instid0(VALU_DEP_2) | instskip(SKIP_2) | instid1(VALU_DEP_2)
	v_add_co_u32 v5, vcc_lo, 0, v21
	s_wait_dscnt 0x0
	s_wait_alu 0xfffd
	v_add_co_ci_u32_e64 v6, null, v22, v6, vcc_lo
.LBB1602_75:                            ;   in Loop: Header=BB1602_66 Depth=1
	s_wait_alu 0xfffe
	s_or_b32 exec_lo, exec_lo, s3
	s_wait_dscnt 0x1
	ds_bpermute_b32 v47, v41, v21
	s_wait_dscnt 0x1
	ds_bpermute_b32 v22, v41, v6
	s_mov_b32 s3, exec_lo
	v_cmpx_le_u32_e64 v42, v8
	;; [unrolled: 20-line block ×3, first 2 shown]
	s_cbranch_execz .LBB1602_79
; %bb.78:                               ;   in Loop: Header=BB1602_66 Depth=1
	s_wait_dscnt 0x1
	v_add_co_u32 v21, vcc_lo, v5, v47
	s_wait_alu 0xfffd
	v_add_co_ci_u32_e64 v6, null, 0, v6, vcc_lo
	s_delay_alu instid0(VALU_DEP_2) | instskip(SKIP_2) | instid1(VALU_DEP_2)
	v_add_co_u32 v5, vcc_lo, 0, v21
	s_wait_dscnt 0x0
	s_wait_alu 0xfffd
	v_add_co_ci_u32_e64 v6, null, v22, v6, vcc_lo
.LBB1602_79:                            ;   in Loop: Header=BB1602_66 Depth=1
	s_wait_alu 0xfffe
	s_or_b32 exec_lo, exec_lo, s3
	s_wait_dscnt 0x0
	ds_bpermute_b32 v22, v45, v21
	ds_bpermute_b32 v21, v45, v6
	s_mov_b32 s3, exec_lo
	v_cmpx_le_u32_e64 v46, v8
	s_cbranch_execz .LBB1602_64
; %bb.80:                               ;   in Loop: Header=BB1602_66 Depth=1
	s_wait_dscnt 0x1
	v_add_co_u32 v5, vcc_lo, v5, v22
	s_wait_alu 0xfffd
	v_add_co_ci_u32_e64 v6, null, 0, v6, vcc_lo
	s_delay_alu instid0(VALU_DEP_2) | instskip(SKIP_2) | instid1(VALU_DEP_2)
	v_add_co_u32 v5, vcc_lo, v5, 0
	s_wait_dscnt 0x0
	s_wait_alu 0xfffd
	v_add_co_ci_u32_e64 v6, null, v6, v21, vcc_lo
	s_branch .LBB1602_64
.LBB1602_81:
                                        ; implicit-def: $vgpr17_vgpr18
                                        ; implicit-def: $vgpr7_vgpr8
                                        ; implicit-def: $vgpr5_vgpr6
                                        ; implicit-def: $vgpr3_vgpr4
                                        ; implicit-def: $vgpr18_vgpr19
                                        ; implicit-def: $vgpr19_vgpr20
                                        ; implicit-def: $vgpr20_vgpr21
                                        ; implicit-def: $vgpr21_vgpr22
	s_and_b32 vcc_lo, exec_lo, s1
	s_wait_alu 0xfffe
	s_cbranch_vccnz .LBB1602_87
	s_branch .LBB1602_114
.LBB1602_82:
	s_and_saveexec_b32 s3, s1
	s_cbranch_execz .LBB1602_84
; %bb.83:
	s_add_co_i32 s6, ttmp9, 32
	s_mov_b32 s7, 0
	v_add_co_u32 v5, vcc_lo, v3, v1
	s_wait_alu 0xfffe
	s_lshl_b64 s[6:7], s[6:7], 4
	v_dual_mov_b32 v7, 2 :: v_dual_mov_b32 v8, 0
	s_wait_alu 0xfffe
	s_add_nc_u64 s[6:7], s[4:5], s[6:7]
	s_wait_alu 0xfffd
	v_add_co_ci_u32_e64 v6, null, v4, v2, vcc_lo
	s_wait_alu 0xfffe
	v_dual_mov_b32 v20, s7 :: v_dual_mov_b32 v19, s6
	;;#ASMSTART
	global_store_b128 v[19:20], v[5:8] off scope:SCOPE_DEV	
s_wait_storecnt 0x0
	;;#ASMEND
	ds_store_b128 v8, v[1:4] offset:10752
.LBB1602_84:
	s_wait_alu 0xfffe
	s_or_b32 exec_lo, exec_lo, s3
	v_cmp_eq_u32_e32 vcc_lo, 0, v0
	s_and_b32 exec_lo, exec_lo, vcc_lo
; %bb.85:
	v_mov_b32_e32 v1, 0
	ds_store_b64 v1, v[3:4] offset:88
.LBB1602_86:
	s_wait_alu 0xfffe
	s_or_b32 exec_lo, exec_lo, s2
	s_wait_dscnt 0x0
	v_cndmask_b32_e64 v4, v36, v17, s1
	v_cmp_ne_u32_e32 vcc_lo, 0, v0
	v_mov_b32_e32 v3, 0
	s_wait_loadcnt 0x0
	s_barrier_signal -1
	s_barrier_wait -1
	global_inv scope:SCOPE_SE
	s_wait_alu 0xfffd
	v_cndmask_b32_e32 v4, 0, v4, vcc_lo
	ds_load_b64 v[1:2], v3 offset:88
	v_cndmask_b32_e64 v5, 0, v18, s1
	s_wait_loadcnt_dscnt 0x0
	s_barrier_signal -1
	s_barrier_wait -1
	global_inv scope:SCOPE_SE
	v_cndmask_b32_e32 v5, 0, v5, vcc_lo
	v_add_co_u32 v21, vcc_lo, v1, v4
	s_wait_alu 0xfffd
	s_delay_alu instid0(VALU_DEP_2) | instskip(NEXT) | instid1(VALU_DEP_2)
	v_add_co_ci_u32_e64 v1, null, v2, v5, vcc_lo
	v_add_co_u32 v20, vcc_lo, v21, v31
	s_wait_alu 0xfffd
	s_delay_alu instid0(VALU_DEP_2) | instskip(NEXT) | instid1(VALU_DEP_2)
	v_add_co_ci_u32_e64 v1, null, 0, v1, vcc_lo
	v_add_co_u32 v19, vcc_lo, v20, v30
	s_wait_alu 0xfffd
	s_delay_alu instid0(VALU_DEP_2) | instskip(SKIP_4) | instid1(VALU_DEP_2)
	v_add_co_ci_u32_e64 v5, null, 0, v1, vcc_lo
	ds_load_b128 v[1:4], v3 offset:10752
	v_add_co_u32 v18, vcc_lo, v19, v33
	s_wait_alu 0xfffd
	v_add_co_ci_u32_e64 v5, null, 0, v5, vcc_lo
	v_add_co_u32 v17, vcc_lo, v18, v28
	s_wait_alu 0xfffd
	s_delay_alu instid0(VALU_DEP_2) | instskip(NEXT) | instid1(VALU_DEP_2)
	v_add_co_ci_u32_e64 v6, null, 0, v5, vcc_lo
	v_add_co_u32 v5, vcc_lo, v17, v32
	s_wait_alu 0xfffd
	s_delay_alu instid0(VALU_DEP_2) | instskip(NEXT) | instid1(VALU_DEP_2)
	v_add_co_ci_u32_e64 v6, null, 0, v6, vcc_lo
	v_add_co_u32 v7, vcc_lo, v5, v29
	s_wait_alu 0xfffd
	s_delay_alu instid0(VALU_DEP_2)
	v_add_co_ci_u32_e64 v6, null, 0, v6, vcc_lo
	s_branch .LBB1602_114
.LBB1602_87:
	s_wait_dscnt 0x0
	v_dual_mov_b32 v2, 0 :: v_dual_mov_b32 v3, v15
	v_mov_b32_dpp v4, v15 row_shr:1 row_mask:0xf bank_mask:0xf
	s_delay_alu instid0(VALU_DEP_2)
	v_mov_b32_dpp v1, v2 row_shr:1 row_mask:0xf bank_mask:0xf
	s_and_saveexec_b32 s1, s0
; %bb.88:
	s_delay_alu instid0(VALU_DEP_2) | instskip(SKIP_2) | instid1(VALU_DEP_2)
	v_add_co_u32 v3, vcc_lo, v15, v4
	s_wait_alu 0xfffd
	v_add_co_ci_u32_e64 v2, null, 0, v16, vcc_lo
	v_add_co_u32 v15, vcc_lo, 0, v3
	s_wait_alu 0xfffd
	s_delay_alu instid0(VALU_DEP_2) | instskip(NEXT) | instid1(VALU_DEP_1)
	v_add_co_ci_u32_e64 v16, null, v1, v2, vcc_lo
	v_mov_b32_e32 v2, v16
; %bb.89:
	s_wait_alu 0xfffe
	s_or_b32 exec_lo, exec_lo, s1
	v_mov_b32_dpp v1, v3 row_shr:2 row_mask:0xf bank_mask:0xf
	s_delay_alu instid0(VALU_DEP_2)
	v_mov_b32_dpp v4, v2 row_shr:2 row_mask:0xf bank_mask:0xf
	v_cmp_lt_u32_e32 vcc_lo, 1, v35
	s_and_saveexec_b32 s2, vcc_lo
; %bb.90:
	s_delay_alu instid0(VALU_DEP_3) | instskip(SKIP_2) | instid1(VALU_DEP_2)
	v_add_co_u32 v3, s1, v15, v1
	s_wait_alu 0xf1ff
	v_add_co_ci_u32_e64 v2, null, 0, v16, s1
	v_add_co_u32 v1, s1, 0, v3
	s_wait_alu 0xf1ff
	s_delay_alu instid0(VALU_DEP_2) | instskip(NEXT) | instid1(VALU_DEP_1)
	v_add_co_ci_u32_e64 v2, null, v4, v2, s1
	v_dual_mov_b32 v16, v2 :: v_dual_mov_b32 v15, v1
; %bb.91:
	s_wait_alu 0xfffe
	s_or_b32 exec_lo, exec_lo, s2
	v_mov_b32_dpp v1, v3 row_shr:4 row_mask:0xf bank_mask:0xf
	v_mov_b32_dpp v4, v2 row_shr:4 row_mask:0xf bank_mask:0xf
	v_cmp_lt_u32_e64 s1, 3, v35
	s_and_saveexec_b32 s3, s1
; %bb.92:
	v_add_co_u32 v3, s2, v15, v1
	s_wait_alu 0xf1ff
	v_add_co_ci_u32_e64 v2, null, 0, v16, s2
	s_delay_alu instid0(VALU_DEP_2) | instskip(SKIP_1) | instid1(VALU_DEP_2)
	v_add_co_u32 v1, s2, 0, v3
	s_wait_alu 0xf1ff
	v_add_co_ci_u32_e64 v2, null, v4, v2, s2
	s_delay_alu instid0(VALU_DEP_1)
	v_dual_mov_b32 v16, v2 :: v_dual_mov_b32 v15, v1
; %bb.93:
	s_wait_alu 0xfffe
	s_or_b32 exec_lo, exec_lo, s3
	v_mov_b32_dpp v4, v3 row_shr:8 row_mask:0xf bank_mask:0xf
	v_mov_b32_dpp v1, v2 row_shr:8 row_mask:0xf bank_mask:0xf
	v_cmp_lt_u32_e64 s2, 7, v35
	s_and_saveexec_b32 s6, s2
; %bb.94:
	v_add_co_u32 v3, s3, v15, v4
	s_wait_alu 0xf1ff
	v_add_co_ci_u32_e64 v2, null, 0, v16, s3
	s_delay_alu instid0(VALU_DEP_2) | instskip(SKIP_1) | instid1(VALU_DEP_2)
	v_add_co_u32 v15, s3, 0, v3
	s_wait_alu 0xf1ff
	v_add_co_ci_u32_e64 v16, null, v1, v2, s3
	s_delay_alu instid0(VALU_DEP_1)
	v_mov_b32_e32 v2, v16
; %bb.95:
	s_wait_alu 0xfffe
	s_or_b32 exec_lo, exec_lo, s6
	ds_swizzle_b32 v3, v3 offset:swizzle(BROADCAST,32,15)
	ds_swizzle_b32 v1, v2 offset:swizzle(BROADCAST,32,15)
	v_and_b32_e32 v2, 16, v34
	s_mov_b32 s6, exec_lo
	s_delay_alu instid0(VALU_DEP_1)
	v_cmpx_ne_u32_e32 0, v2
	s_cbranch_execz .LBB1602_97
; %bb.96:
	s_wait_dscnt 0x1
	v_add_co_u32 v2, s3, v15, v3
	s_wait_alu 0xf1ff
	v_add_co_ci_u32_e64 v3, null, 0, v16, s3
	s_delay_alu instid0(VALU_DEP_2) | instskip(SKIP_2) | instid1(VALU_DEP_2)
	v_add_co_u32 v15, s3, v2, 0
	s_wait_dscnt 0x0
	s_wait_alu 0xf1ff
	v_add_co_ci_u32_e64 v16, null, v3, v1, s3
.LBB1602_97:
	s_wait_alu 0xfffe
	s_or_b32 exec_lo, exec_lo, s6
	s_wait_dscnt 0x0
	v_and_b32_e32 v1, 0x1e0, v0
	v_lshrrev_b32_e32 v3, 5, v0
	s_mov_b32 s6, exec_lo
	s_delay_alu instid0(VALU_DEP_2) | instskip(NEXT) | instid1(VALU_DEP_1)
	v_min_u32_e32 v1, 0x160, v1
	v_or_b32_e32 v1, 31, v1
	s_delay_alu instid0(VALU_DEP_1)
	v_cmpx_eq_u32_e64 v0, v1
; %bb.98:
	v_lshlrev_b32_e32 v1, 3, v3
	ds_store_b64 v1, v[15:16]
; %bb.99:
	s_wait_alu 0xfffe
	s_or_b32 exec_lo, exec_lo, s6
	s_delay_alu instid0(SALU_CYCLE_1)
	s_mov_b32 s6, exec_lo
	s_wait_loadcnt_dscnt 0x0
	s_barrier_signal -1
	s_barrier_wait -1
	global_inv scope:SCOPE_SE
	v_cmpx_gt_u32_e32 12, v0
	s_cbranch_execz .LBB1602_109
; %bb.100:
	v_mad_i32_i24 v1, 0xffffffec, v0, v27
	ds_load_b64 v[1:2], v1
	s_wait_dscnt 0x0
	v_mov_b32_dpp v6, v1 row_shr:1 row_mask:0xf bank_mask:0xf
	v_mov_b32_dpp v5, v2 row_shr:1 row_mask:0xf bank_mask:0xf
	v_mov_b32_e32 v4, v1
	s_and_saveexec_b32 s3, s0
; %bb.101:
	s_delay_alu instid0(VALU_DEP_3) | instskip(SKIP_2) | instid1(VALU_DEP_2)
	v_add_co_u32 v4, s0, v1, v6
	s_wait_alu 0xf1ff
	v_add_co_ci_u32_e64 v2, null, 0, v2, s0
	v_add_co_u32 v1, s0, 0, v4
	s_wait_alu 0xf1ff
	s_delay_alu instid0(VALU_DEP_2)
	v_add_co_ci_u32_e64 v2, null, v5, v2, s0
; %bb.102:
	s_wait_alu 0xfffe
	s_or_b32 exec_lo, exec_lo, s3
	v_mov_b32_dpp v6, v4 row_shr:2 row_mask:0xf bank_mask:0xf
	s_delay_alu instid0(VALU_DEP_2)
	v_mov_b32_dpp v5, v2 row_shr:2 row_mask:0xf bank_mask:0xf
	s_and_saveexec_b32 s0, vcc_lo
; %bb.103:
	s_delay_alu instid0(VALU_DEP_2) | instskip(SKIP_2) | instid1(VALU_DEP_2)
	v_add_co_u32 v4, vcc_lo, v1, v6
	s_wait_alu 0xfffd
	v_add_co_ci_u32_e64 v2, null, 0, v2, vcc_lo
	v_add_co_u32 v1, vcc_lo, 0, v4
	s_wait_alu 0xfffd
	s_delay_alu instid0(VALU_DEP_2)
	v_add_co_ci_u32_e64 v2, null, v5, v2, vcc_lo
; %bb.104:
	s_wait_alu 0xfffe
	s_or_b32 exec_lo, exec_lo, s0
	v_mov_b32_dpp v6, v4 row_shr:4 row_mask:0xf bank_mask:0xf
	s_delay_alu instid0(VALU_DEP_2)
	v_mov_b32_dpp v5, v2 row_shr:4 row_mask:0xf bank_mask:0xf
	s_and_saveexec_b32 s0, s1
; %bb.105:
	s_delay_alu instid0(VALU_DEP_2) | instskip(SKIP_2) | instid1(VALU_DEP_2)
	v_add_co_u32 v4, vcc_lo, v1, v6
	s_wait_alu 0xfffd
	v_add_co_ci_u32_e64 v2, null, 0, v2, vcc_lo
	v_add_co_u32 v1, vcc_lo, 0, v4
	s_wait_alu 0xfffd
	s_delay_alu instid0(VALU_DEP_2)
	v_add_co_ci_u32_e64 v2, null, v5, v2, vcc_lo
; %bb.106:
	s_wait_alu 0xfffe
	s_or_b32 exec_lo, exec_lo, s0
	v_mul_i32_i24_e32 v5, 0xffffffec, v0
	v_mov_b32_dpp v6, v4 row_shr:8 row_mask:0xf bank_mask:0xf
	v_mov_b32_dpp v4, v2 row_shr:8 row_mask:0xf bank_mask:0xf
	s_and_saveexec_b32 s0, s2
; %bb.107:
	s_delay_alu instid0(VALU_DEP_2) | instskip(SKIP_2) | instid1(VALU_DEP_2)
	v_add_co_u32 v1, vcc_lo, v1, v6
	s_wait_alu 0xfffd
	v_add_co_ci_u32_e64 v2, null, 0, v2, vcc_lo
	v_add_co_u32 v1, vcc_lo, v1, 0
	s_wait_alu 0xfffd
	s_delay_alu instid0(VALU_DEP_2)
	v_add_co_ci_u32_e64 v2, null, v2, v4, vcc_lo
; %bb.108:
	s_wait_alu 0xfffe
	s_or_b32 exec_lo, exec_lo, s0
	v_add_nc_u32_e32 v4, v27, v5
	ds_store_b64 v4, v[1:2]
.LBB1602_109:
	s_wait_alu 0xfffe
	s_or_b32 exec_lo, exec_lo, s6
	v_mov_b32_e32 v5, 0
	v_mov_b32_e32 v6, 0
	s_mov_b32 s0, exec_lo
	s_wait_loadcnt_dscnt 0x0
	s_barrier_signal -1
	s_barrier_wait -1
	global_inv scope:SCOPE_SE
	v_cmpx_lt_u32_e32 31, v0
; %bb.110:
	v_lshl_add_u32 v1, v3, 3, -8
	ds_load_b64 v[5:6], v1
; %bb.111:
	s_wait_alu 0xfffe
	s_or_b32 exec_lo, exec_lo, s0
	v_sub_co_u32 v1, vcc_lo, v34, 1
	s_wait_dscnt 0x0
	v_add_nc_u32_e32 v2, v5, v15
	v_mov_b32_e32 v4, 0
	s_delay_alu instid0(VALU_DEP_3) | instskip(SKIP_1) | instid1(VALU_DEP_1)
	v_cmp_gt_i32_e64 s0, 0, v1
	s_wait_alu 0xf1ff
	v_cndmask_b32_e64 v1, v1, v34, s0
	v_cmp_eq_u32_e64 s0, 0, v0
	s_delay_alu instid0(VALU_DEP_2)
	v_lshlrev_b32_e32 v1, 2, v1
	ds_bpermute_b32 v7, v1, v2
	ds_load_b64 v[1:2], v4 offset:88
	s_and_saveexec_b32 s1, s0
	s_cbranch_execz .LBB1602_113
; %bb.112:
	s_wait_kmcnt 0x0
	s_add_nc_u64 s[2:3], s[4:5], 0x200
	s_wait_alu 0xfffe
	v_dual_mov_b32 v3, 2 :: v_dual_mov_b32 v16, s3
	v_mov_b32_e32 v15, s2
	s_wait_dscnt 0x0
	;;#ASMSTART
	global_store_b128 v[15:16], v[1:4] off scope:SCOPE_DEV	
s_wait_storecnt 0x0
	;;#ASMEND
.LBB1602_113:
	s_wait_alu 0xfffe
	s_or_b32 exec_lo, exec_lo, s1
	s_wait_dscnt 0x1
	s_wait_alu 0xfffd
	v_dual_cndmask_b32 v3, v7, v5 :: v_dual_cndmask_b32 v4, 0, v6
	s_wait_loadcnt_dscnt 0x0
	s_barrier_signal -1
	s_barrier_wait -1
	s_delay_alu instid0(VALU_DEP_1)
	v_cndmask_b32_e64 v21, v3, 0, s0
	v_cndmask_b32_e64 v3, v4, 0, s0
	global_inv scope:SCOPE_SE
	v_add_co_u32 v20, vcc_lo, v21, v31
	s_wait_alu 0xfffd
	v_add_co_ci_u32_e64 v3, null, 0, v3, vcc_lo
	s_delay_alu instid0(VALU_DEP_2) | instskip(SKIP_1) | instid1(VALU_DEP_2)
	v_add_co_u32 v19, vcc_lo, v20, v30
	s_wait_alu 0xfffd
	v_add_co_ci_u32_e64 v3, null, 0, v3, vcc_lo
	s_delay_alu instid0(VALU_DEP_2) | instskip(SKIP_1) | instid1(VALU_DEP_2)
	;; [unrolled: 4-line block ×4, first 2 shown]
	v_add_co_u32 v5, vcc_lo, v17, v32
	s_wait_alu 0xfffd
	v_add_co_ci_u32_e64 v6, null, 0, v3, vcc_lo
	v_mov_b32_e32 v3, 0
	v_mov_b32_e32 v4, 0
	v_add_co_u32 v7, vcc_lo, v5, v29
	s_wait_alu 0xfffd
	v_add_co_ci_u32_e64 v6, null, 0, v6, vcc_lo
.LBB1602_114:
	s_wait_dscnt 0x0
	v_cmp_gt_u64_e32 vcc_lo, 0x181, v[1:2]
	v_lshrrev_b32_e32 v8, 8, v26
	v_lshrrev_b32_e32 v6, 16, v26
	s_cbranch_vccz .LBB1602_117
; %bb.115:
	v_cmp_eq_u32_e32 vcc_lo, 0, v0
	s_and_b32 s0, vcc_lo, s12
	s_wait_alu 0xfffe
	s_and_saveexec_b32 s1, s0
	s_cbranch_execnz .LBB1602_132
.LBB1602_116:
	s_endpgm
.LBB1602_117:
	v_and_b32_e32 v15, 1, v26
	s_mov_b32 s0, exec_lo
	s_delay_alu instid0(VALU_DEP_1)
	v_cmpx_eq_u32_e32 1, v15
; %bb.118:
	v_sub_nc_u32_e32 v15, v21, v3
	s_delay_alu instid0(VALU_DEP_1)
	v_lshlrev_b32_e32 v15, 2, v15
	ds_store_b32 v15, v13
; %bb.119:
	s_wait_alu 0xfffe
	s_or_b32 exec_lo, exec_lo, s0
	v_and_b32_e32 v8, 1, v8
	s_mov_b32 s0, exec_lo
	s_delay_alu instid0(VALU_DEP_1)
	v_cmpx_eq_u32_e32 1, v8
; %bb.120:
	v_sub_nc_u32_e32 v8, v20, v3
	s_delay_alu instid0(VALU_DEP_1)
	v_lshlrev_b32_e32 v8, 2, v8
	ds_store_b32 v8, v14
; %bb.121:
	s_wait_alu 0xfffe
	s_or_b32 exec_lo, exec_lo, s0
	;; [unrolled: 12-line block ×6, first 2 shown]
	s_and_saveexec_b32 s0, s13
; %bb.130:
	v_sub_nc_u32_e32 v5, v7, v3
	s_delay_alu instid0(VALU_DEP_1)
	v_lshlrev_b32_e32 v5, 2, v5
	ds_store_b32 v5, v23
; %bb.131:
	s_wait_alu 0xfffe
	s_or_b32 exec_lo, exec_lo, s0
	s_wait_loadcnt_dscnt 0x0
	s_barrier_signal -1
	s_barrier_wait -1
	global_inv scope:SCOPE_SE
	v_cmp_eq_u32_e32 vcc_lo, 0, v0
	s_and_b32 s0, vcc_lo, s12
	s_wait_alu 0xfffe
	s_and_saveexec_b32 s1, s0
	s_cbranch_execz .LBB1602_116
.LBB1602_132:
	v_add_co_u32 v0, vcc_lo, v1, s10
	s_wait_alu 0xfffd
	v_add_co_ci_u32_e64 v1, null, s11, v2, vcc_lo
	v_mov_b32_e32 v2, 0
	s_delay_alu instid0(VALU_DEP_3) | instskip(SKIP_1) | instid1(VALU_DEP_3)
	v_add_co_u32 v0, vcc_lo, v0, v3
	s_wait_alu 0xfffd
	v_add_co_ci_u32_e64 v1, null, v1, v4, vcc_lo
	global_store_b64 v2, v[0:1], s[8:9]
	s_endpgm
	.section	.rodata,"a",@progbits
	.p2align	6, 0x0
	.amdhsa_kernel _ZN7rocprim17ROCPRIM_400000_NS6detail17trampoline_kernelINS0_14default_configENS1_25partition_config_selectorILNS1_17partition_subalgoE6EfNS0_10empty_typeEbEEZZNS1_14partition_implILS5_6ELb0ES3_mN6thrust23THRUST_200600_302600_NS6detail15normal_iteratorINSA_10device_ptrIfEEEEPS6_SG_NS0_5tupleIJNSA_16discard_iteratorINSA_11use_defaultEEES6_EEENSH_IJSG_SG_EEES6_PlJNSB_9not_fun_tINSB_14equal_to_valueIfEEEEEEE10hipError_tPvRmT3_T4_T5_T6_T7_T9_mT8_P12ihipStream_tbDpT10_ENKUlT_T0_E_clISt17integral_constantIbLb0EES1B_EEDaS16_S17_EUlS16_E_NS1_11comp_targetILNS1_3genE10ELNS1_11target_archE1200ELNS1_3gpuE4ELNS1_3repE0EEENS1_30default_config_static_selectorELNS0_4arch9wavefront6targetE0EEEvT1_
		.amdhsa_group_segment_fixed_size 10768
		.amdhsa_private_segment_fixed_size 0
		.amdhsa_kernarg_size 128
		.amdhsa_user_sgpr_count 2
		.amdhsa_user_sgpr_dispatch_ptr 0
		.amdhsa_user_sgpr_queue_ptr 0
		.amdhsa_user_sgpr_kernarg_segment_ptr 1
		.amdhsa_user_sgpr_dispatch_id 0
		.amdhsa_user_sgpr_private_segment_size 0
		.amdhsa_wavefront_size32 1
		.amdhsa_uses_dynamic_stack 0
		.amdhsa_enable_private_segment 0
		.amdhsa_system_sgpr_workgroup_id_x 1
		.amdhsa_system_sgpr_workgroup_id_y 0
		.amdhsa_system_sgpr_workgroup_id_z 0
		.amdhsa_system_sgpr_workgroup_info 0
		.amdhsa_system_vgpr_workitem_id 0
		.amdhsa_next_free_vgpr 48
		.amdhsa_next_free_sgpr 22
		.amdhsa_reserve_vcc 1
		.amdhsa_float_round_mode_32 0
		.amdhsa_float_round_mode_16_64 0
		.amdhsa_float_denorm_mode_32 3
		.amdhsa_float_denorm_mode_16_64 3
		.amdhsa_fp16_overflow 0
		.amdhsa_workgroup_processor_mode 1
		.amdhsa_memory_ordered 1
		.amdhsa_forward_progress 1
		.amdhsa_inst_pref_size 51
		.amdhsa_round_robin_scheduling 0
		.amdhsa_exception_fp_ieee_invalid_op 0
		.amdhsa_exception_fp_denorm_src 0
		.amdhsa_exception_fp_ieee_div_zero 0
		.amdhsa_exception_fp_ieee_overflow 0
		.amdhsa_exception_fp_ieee_underflow 0
		.amdhsa_exception_fp_ieee_inexact 0
		.amdhsa_exception_int_div_zero 0
	.end_amdhsa_kernel
	.section	.text._ZN7rocprim17ROCPRIM_400000_NS6detail17trampoline_kernelINS0_14default_configENS1_25partition_config_selectorILNS1_17partition_subalgoE6EfNS0_10empty_typeEbEEZZNS1_14partition_implILS5_6ELb0ES3_mN6thrust23THRUST_200600_302600_NS6detail15normal_iteratorINSA_10device_ptrIfEEEEPS6_SG_NS0_5tupleIJNSA_16discard_iteratorINSA_11use_defaultEEES6_EEENSH_IJSG_SG_EEES6_PlJNSB_9not_fun_tINSB_14equal_to_valueIfEEEEEEE10hipError_tPvRmT3_T4_T5_T6_T7_T9_mT8_P12ihipStream_tbDpT10_ENKUlT_T0_E_clISt17integral_constantIbLb0EES1B_EEDaS16_S17_EUlS16_E_NS1_11comp_targetILNS1_3genE10ELNS1_11target_archE1200ELNS1_3gpuE4ELNS1_3repE0EEENS1_30default_config_static_selectorELNS0_4arch9wavefront6targetE0EEEvT1_,"axG",@progbits,_ZN7rocprim17ROCPRIM_400000_NS6detail17trampoline_kernelINS0_14default_configENS1_25partition_config_selectorILNS1_17partition_subalgoE6EfNS0_10empty_typeEbEEZZNS1_14partition_implILS5_6ELb0ES3_mN6thrust23THRUST_200600_302600_NS6detail15normal_iteratorINSA_10device_ptrIfEEEEPS6_SG_NS0_5tupleIJNSA_16discard_iteratorINSA_11use_defaultEEES6_EEENSH_IJSG_SG_EEES6_PlJNSB_9not_fun_tINSB_14equal_to_valueIfEEEEEEE10hipError_tPvRmT3_T4_T5_T6_T7_T9_mT8_P12ihipStream_tbDpT10_ENKUlT_T0_E_clISt17integral_constantIbLb0EES1B_EEDaS16_S17_EUlS16_E_NS1_11comp_targetILNS1_3genE10ELNS1_11target_archE1200ELNS1_3gpuE4ELNS1_3repE0EEENS1_30default_config_static_selectorELNS0_4arch9wavefront6targetE0EEEvT1_,comdat
.Lfunc_end1602:
	.size	_ZN7rocprim17ROCPRIM_400000_NS6detail17trampoline_kernelINS0_14default_configENS1_25partition_config_selectorILNS1_17partition_subalgoE6EfNS0_10empty_typeEbEEZZNS1_14partition_implILS5_6ELb0ES3_mN6thrust23THRUST_200600_302600_NS6detail15normal_iteratorINSA_10device_ptrIfEEEEPS6_SG_NS0_5tupleIJNSA_16discard_iteratorINSA_11use_defaultEEES6_EEENSH_IJSG_SG_EEES6_PlJNSB_9not_fun_tINSB_14equal_to_valueIfEEEEEEE10hipError_tPvRmT3_T4_T5_T6_T7_T9_mT8_P12ihipStream_tbDpT10_ENKUlT_T0_E_clISt17integral_constantIbLb0EES1B_EEDaS16_S17_EUlS16_E_NS1_11comp_targetILNS1_3genE10ELNS1_11target_archE1200ELNS1_3gpuE4ELNS1_3repE0EEENS1_30default_config_static_selectorELNS0_4arch9wavefront6targetE0EEEvT1_, .Lfunc_end1602-_ZN7rocprim17ROCPRIM_400000_NS6detail17trampoline_kernelINS0_14default_configENS1_25partition_config_selectorILNS1_17partition_subalgoE6EfNS0_10empty_typeEbEEZZNS1_14partition_implILS5_6ELb0ES3_mN6thrust23THRUST_200600_302600_NS6detail15normal_iteratorINSA_10device_ptrIfEEEEPS6_SG_NS0_5tupleIJNSA_16discard_iteratorINSA_11use_defaultEEES6_EEENSH_IJSG_SG_EEES6_PlJNSB_9not_fun_tINSB_14equal_to_valueIfEEEEEEE10hipError_tPvRmT3_T4_T5_T6_T7_T9_mT8_P12ihipStream_tbDpT10_ENKUlT_T0_E_clISt17integral_constantIbLb0EES1B_EEDaS16_S17_EUlS16_E_NS1_11comp_targetILNS1_3genE10ELNS1_11target_archE1200ELNS1_3gpuE4ELNS1_3repE0EEENS1_30default_config_static_selectorELNS0_4arch9wavefront6targetE0EEEvT1_
                                        ; -- End function
	.set _ZN7rocprim17ROCPRIM_400000_NS6detail17trampoline_kernelINS0_14default_configENS1_25partition_config_selectorILNS1_17partition_subalgoE6EfNS0_10empty_typeEbEEZZNS1_14partition_implILS5_6ELb0ES3_mN6thrust23THRUST_200600_302600_NS6detail15normal_iteratorINSA_10device_ptrIfEEEEPS6_SG_NS0_5tupleIJNSA_16discard_iteratorINSA_11use_defaultEEES6_EEENSH_IJSG_SG_EEES6_PlJNSB_9not_fun_tINSB_14equal_to_valueIfEEEEEEE10hipError_tPvRmT3_T4_T5_T6_T7_T9_mT8_P12ihipStream_tbDpT10_ENKUlT_T0_E_clISt17integral_constantIbLb0EES1B_EEDaS16_S17_EUlS16_E_NS1_11comp_targetILNS1_3genE10ELNS1_11target_archE1200ELNS1_3gpuE4ELNS1_3repE0EEENS1_30default_config_static_selectorELNS0_4arch9wavefront6targetE0EEEvT1_.num_vgpr, 48
	.set _ZN7rocprim17ROCPRIM_400000_NS6detail17trampoline_kernelINS0_14default_configENS1_25partition_config_selectorILNS1_17partition_subalgoE6EfNS0_10empty_typeEbEEZZNS1_14partition_implILS5_6ELb0ES3_mN6thrust23THRUST_200600_302600_NS6detail15normal_iteratorINSA_10device_ptrIfEEEEPS6_SG_NS0_5tupleIJNSA_16discard_iteratorINSA_11use_defaultEEES6_EEENSH_IJSG_SG_EEES6_PlJNSB_9not_fun_tINSB_14equal_to_valueIfEEEEEEE10hipError_tPvRmT3_T4_T5_T6_T7_T9_mT8_P12ihipStream_tbDpT10_ENKUlT_T0_E_clISt17integral_constantIbLb0EES1B_EEDaS16_S17_EUlS16_E_NS1_11comp_targetILNS1_3genE10ELNS1_11target_archE1200ELNS1_3gpuE4ELNS1_3repE0EEENS1_30default_config_static_selectorELNS0_4arch9wavefront6targetE0EEEvT1_.num_agpr, 0
	.set _ZN7rocprim17ROCPRIM_400000_NS6detail17trampoline_kernelINS0_14default_configENS1_25partition_config_selectorILNS1_17partition_subalgoE6EfNS0_10empty_typeEbEEZZNS1_14partition_implILS5_6ELb0ES3_mN6thrust23THRUST_200600_302600_NS6detail15normal_iteratorINSA_10device_ptrIfEEEEPS6_SG_NS0_5tupleIJNSA_16discard_iteratorINSA_11use_defaultEEES6_EEENSH_IJSG_SG_EEES6_PlJNSB_9not_fun_tINSB_14equal_to_valueIfEEEEEEE10hipError_tPvRmT3_T4_T5_T6_T7_T9_mT8_P12ihipStream_tbDpT10_ENKUlT_T0_E_clISt17integral_constantIbLb0EES1B_EEDaS16_S17_EUlS16_E_NS1_11comp_targetILNS1_3genE10ELNS1_11target_archE1200ELNS1_3gpuE4ELNS1_3repE0EEENS1_30default_config_static_selectorELNS0_4arch9wavefront6targetE0EEEvT1_.numbered_sgpr, 22
	.set _ZN7rocprim17ROCPRIM_400000_NS6detail17trampoline_kernelINS0_14default_configENS1_25partition_config_selectorILNS1_17partition_subalgoE6EfNS0_10empty_typeEbEEZZNS1_14partition_implILS5_6ELb0ES3_mN6thrust23THRUST_200600_302600_NS6detail15normal_iteratorINSA_10device_ptrIfEEEEPS6_SG_NS0_5tupleIJNSA_16discard_iteratorINSA_11use_defaultEEES6_EEENSH_IJSG_SG_EEES6_PlJNSB_9not_fun_tINSB_14equal_to_valueIfEEEEEEE10hipError_tPvRmT3_T4_T5_T6_T7_T9_mT8_P12ihipStream_tbDpT10_ENKUlT_T0_E_clISt17integral_constantIbLb0EES1B_EEDaS16_S17_EUlS16_E_NS1_11comp_targetILNS1_3genE10ELNS1_11target_archE1200ELNS1_3gpuE4ELNS1_3repE0EEENS1_30default_config_static_selectorELNS0_4arch9wavefront6targetE0EEEvT1_.num_named_barrier, 0
	.set _ZN7rocprim17ROCPRIM_400000_NS6detail17trampoline_kernelINS0_14default_configENS1_25partition_config_selectorILNS1_17partition_subalgoE6EfNS0_10empty_typeEbEEZZNS1_14partition_implILS5_6ELb0ES3_mN6thrust23THRUST_200600_302600_NS6detail15normal_iteratorINSA_10device_ptrIfEEEEPS6_SG_NS0_5tupleIJNSA_16discard_iteratorINSA_11use_defaultEEES6_EEENSH_IJSG_SG_EEES6_PlJNSB_9not_fun_tINSB_14equal_to_valueIfEEEEEEE10hipError_tPvRmT3_T4_T5_T6_T7_T9_mT8_P12ihipStream_tbDpT10_ENKUlT_T0_E_clISt17integral_constantIbLb0EES1B_EEDaS16_S17_EUlS16_E_NS1_11comp_targetILNS1_3genE10ELNS1_11target_archE1200ELNS1_3gpuE4ELNS1_3repE0EEENS1_30default_config_static_selectorELNS0_4arch9wavefront6targetE0EEEvT1_.private_seg_size, 0
	.set _ZN7rocprim17ROCPRIM_400000_NS6detail17trampoline_kernelINS0_14default_configENS1_25partition_config_selectorILNS1_17partition_subalgoE6EfNS0_10empty_typeEbEEZZNS1_14partition_implILS5_6ELb0ES3_mN6thrust23THRUST_200600_302600_NS6detail15normal_iteratorINSA_10device_ptrIfEEEEPS6_SG_NS0_5tupleIJNSA_16discard_iteratorINSA_11use_defaultEEES6_EEENSH_IJSG_SG_EEES6_PlJNSB_9not_fun_tINSB_14equal_to_valueIfEEEEEEE10hipError_tPvRmT3_T4_T5_T6_T7_T9_mT8_P12ihipStream_tbDpT10_ENKUlT_T0_E_clISt17integral_constantIbLb0EES1B_EEDaS16_S17_EUlS16_E_NS1_11comp_targetILNS1_3genE10ELNS1_11target_archE1200ELNS1_3gpuE4ELNS1_3repE0EEENS1_30default_config_static_selectorELNS0_4arch9wavefront6targetE0EEEvT1_.uses_vcc, 1
	.set _ZN7rocprim17ROCPRIM_400000_NS6detail17trampoline_kernelINS0_14default_configENS1_25partition_config_selectorILNS1_17partition_subalgoE6EfNS0_10empty_typeEbEEZZNS1_14partition_implILS5_6ELb0ES3_mN6thrust23THRUST_200600_302600_NS6detail15normal_iteratorINSA_10device_ptrIfEEEEPS6_SG_NS0_5tupleIJNSA_16discard_iteratorINSA_11use_defaultEEES6_EEENSH_IJSG_SG_EEES6_PlJNSB_9not_fun_tINSB_14equal_to_valueIfEEEEEEE10hipError_tPvRmT3_T4_T5_T6_T7_T9_mT8_P12ihipStream_tbDpT10_ENKUlT_T0_E_clISt17integral_constantIbLb0EES1B_EEDaS16_S17_EUlS16_E_NS1_11comp_targetILNS1_3genE10ELNS1_11target_archE1200ELNS1_3gpuE4ELNS1_3repE0EEENS1_30default_config_static_selectorELNS0_4arch9wavefront6targetE0EEEvT1_.uses_flat_scratch, 1
	.set _ZN7rocprim17ROCPRIM_400000_NS6detail17trampoline_kernelINS0_14default_configENS1_25partition_config_selectorILNS1_17partition_subalgoE6EfNS0_10empty_typeEbEEZZNS1_14partition_implILS5_6ELb0ES3_mN6thrust23THRUST_200600_302600_NS6detail15normal_iteratorINSA_10device_ptrIfEEEEPS6_SG_NS0_5tupleIJNSA_16discard_iteratorINSA_11use_defaultEEES6_EEENSH_IJSG_SG_EEES6_PlJNSB_9not_fun_tINSB_14equal_to_valueIfEEEEEEE10hipError_tPvRmT3_T4_T5_T6_T7_T9_mT8_P12ihipStream_tbDpT10_ENKUlT_T0_E_clISt17integral_constantIbLb0EES1B_EEDaS16_S17_EUlS16_E_NS1_11comp_targetILNS1_3genE10ELNS1_11target_archE1200ELNS1_3gpuE4ELNS1_3repE0EEENS1_30default_config_static_selectorELNS0_4arch9wavefront6targetE0EEEvT1_.has_dyn_sized_stack, 0
	.set _ZN7rocprim17ROCPRIM_400000_NS6detail17trampoline_kernelINS0_14default_configENS1_25partition_config_selectorILNS1_17partition_subalgoE6EfNS0_10empty_typeEbEEZZNS1_14partition_implILS5_6ELb0ES3_mN6thrust23THRUST_200600_302600_NS6detail15normal_iteratorINSA_10device_ptrIfEEEEPS6_SG_NS0_5tupleIJNSA_16discard_iteratorINSA_11use_defaultEEES6_EEENSH_IJSG_SG_EEES6_PlJNSB_9not_fun_tINSB_14equal_to_valueIfEEEEEEE10hipError_tPvRmT3_T4_T5_T6_T7_T9_mT8_P12ihipStream_tbDpT10_ENKUlT_T0_E_clISt17integral_constantIbLb0EES1B_EEDaS16_S17_EUlS16_E_NS1_11comp_targetILNS1_3genE10ELNS1_11target_archE1200ELNS1_3gpuE4ELNS1_3repE0EEENS1_30default_config_static_selectorELNS0_4arch9wavefront6targetE0EEEvT1_.has_recursion, 0
	.set _ZN7rocprim17ROCPRIM_400000_NS6detail17trampoline_kernelINS0_14default_configENS1_25partition_config_selectorILNS1_17partition_subalgoE6EfNS0_10empty_typeEbEEZZNS1_14partition_implILS5_6ELb0ES3_mN6thrust23THRUST_200600_302600_NS6detail15normal_iteratorINSA_10device_ptrIfEEEEPS6_SG_NS0_5tupleIJNSA_16discard_iteratorINSA_11use_defaultEEES6_EEENSH_IJSG_SG_EEES6_PlJNSB_9not_fun_tINSB_14equal_to_valueIfEEEEEEE10hipError_tPvRmT3_T4_T5_T6_T7_T9_mT8_P12ihipStream_tbDpT10_ENKUlT_T0_E_clISt17integral_constantIbLb0EES1B_EEDaS16_S17_EUlS16_E_NS1_11comp_targetILNS1_3genE10ELNS1_11target_archE1200ELNS1_3gpuE4ELNS1_3repE0EEENS1_30default_config_static_selectorELNS0_4arch9wavefront6targetE0EEEvT1_.has_indirect_call, 0
	.section	.AMDGPU.csdata,"",@progbits
; Kernel info:
; codeLenInByte = 6520
; TotalNumSgprs: 24
; NumVgprs: 48
; ScratchSize: 0
; MemoryBound: 0
; FloatMode: 240
; IeeeMode: 1
; LDSByteSize: 10768 bytes/workgroup (compile time only)
; SGPRBlocks: 0
; VGPRBlocks: 5
; NumSGPRsForWavesPerEU: 24
; NumVGPRsForWavesPerEU: 48
; Occupancy: 15
; WaveLimiterHint : 1
; COMPUTE_PGM_RSRC2:SCRATCH_EN: 0
; COMPUTE_PGM_RSRC2:USER_SGPR: 2
; COMPUTE_PGM_RSRC2:TRAP_HANDLER: 0
; COMPUTE_PGM_RSRC2:TGID_X_EN: 1
; COMPUTE_PGM_RSRC2:TGID_Y_EN: 0
; COMPUTE_PGM_RSRC2:TGID_Z_EN: 0
; COMPUTE_PGM_RSRC2:TIDIG_COMP_CNT: 0
	.section	.text._ZN7rocprim17ROCPRIM_400000_NS6detail17trampoline_kernelINS0_14default_configENS1_25partition_config_selectorILNS1_17partition_subalgoE6EfNS0_10empty_typeEbEEZZNS1_14partition_implILS5_6ELb0ES3_mN6thrust23THRUST_200600_302600_NS6detail15normal_iteratorINSA_10device_ptrIfEEEEPS6_SG_NS0_5tupleIJNSA_16discard_iteratorINSA_11use_defaultEEES6_EEENSH_IJSG_SG_EEES6_PlJNSB_9not_fun_tINSB_14equal_to_valueIfEEEEEEE10hipError_tPvRmT3_T4_T5_T6_T7_T9_mT8_P12ihipStream_tbDpT10_ENKUlT_T0_E_clISt17integral_constantIbLb0EES1B_EEDaS16_S17_EUlS16_E_NS1_11comp_targetILNS1_3genE9ELNS1_11target_archE1100ELNS1_3gpuE3ELNS1_3repE0EEENS1_30default_config_static_selectorELNS0_4arch9wavefront6targetE0EEEvT1_,"axG",@progbits,_ZN7rocprim17ROCPRIM_400000_NS6detail17trampoline_kernelINS0_14default_configENS1_25partition_config_selectorILNS1_17partition_subalgoE6EfNS0_10empty_typeEbEEZZNS1_14partition_implILS5_6ELb0ES3_mN6thrust23THRUST_200600_302600_NS6detail15normal_iteratorINSA_10device_ptrIfEEEEPS6_SG_NS0_5tupleIJNSA_16discard_iteratorINSA_11use_defaultEEES6_EEENSH_IJSG_SG_EEES6_PlJNSB_9not_fun_tINSB_14equal_to_valueIfEEEEEEE10hipError_tPvRmT3_T4_T5_T6_T7_T9_mT8_P12ihipStream_tbDpT10_ENKUlT_T0_E_clISt17integral_constantIbLb0EES1B_EEDaS16_S17_EUlS16_E_NS1_11comp_targetILNS1_3genE9ELNS1_11target_archE1100ELNS1_3gpuE3ELNS1_3repE0EEENS1_30default_config_static_selectorELNS0_4arch9wavefront6targetE0EEEvT1_,comdat
	.protected	_ZN7rocprim17ROCPRIM_400000_NS6detail17trampoline_kernelINS0_14default_configENS1_25partition_config_selectorILNS1_17partition_subalgoE6EfNS0_10empty_typeEbEEZZNS1_14partition_implILS5_6ELb0ES3_mN6thrust23THRUST_200600_302600_NS6detail15normal_iteratorINSA_10device_ptrIfEEEEPS6_SG_NS0_5tupleIJNSA_16discard_iteratorINSA_11use_defaultEEES6_EEENSH_IJSG_SG_EEES6_PlJNSB_9not_fun_tINSB_14equal_to_valueIfEEEEEEE10hipError_tPvRmT3_T4_T5_T6_T7_T9_mT8_P12ihipStream_tbDpT10_ENKUlT_T0_E_clISt17integral_constantIbLb0EES1B_EEDaS16_S17_EUlS16_E_NS1_11comp_targetILNS1_3genE9ELNS1_11target_archE1100ELNS1_3gpuE3ELNS1_3repE0EEENS1_30default_config_static_selectorELNS0_4arch9wavefront6targetE0EEEvT1_ ; -- Begin function _ZN7rocprim17ROCPRIM_400000_NS6detail17trampoline_kernelINS0_14default_configENS1_25partition_config_selectorILNS1_17partition_subalgoE6EfNS0_10empty_typeEbEEZZNS1_14partition_implILS5_6ELb0ES3_mN6thrust23THRUST_200600_302600_NS6detail15normal_iteratorINSA_10device_ptrIfEEEEPS6_SG_NS0_5tupleIJNSA_16discard_iteratorINSA_11use_defaultEEES6_EEENSH_IJSG_SG_EEES6_PlJNSB_9not_fun_tINSB_14equal_to_valueIfEEEEEEE10hipError_tPvRmT3_T4_T5_T6_T7_T9_mT8_P12ihipStream_tbDpT10_ENKUlT_T0_E_clISt17integral_constantIbLb0EES1B_EEDaS16_S17_EUlS16_E_NS1_11comp_targetILNS1_3genE9ELNS1_11target_archE1100ELNS1_3gpuE3ELNS1_3repE0EEENS1_30default_config_static_selectorELNS0_4arch9wavefront6targetE0EEEvT1_
	.globl	_ZN7rocprim17ROCPRIM_400000_NS6detail17trampoline_kernelINS0_14default_configENS1_25partition_config_selectorILNS1_17partition_subalgoE6EfNS0_10empty_typeEbEEZZNS1_14partition_implILS5_6ELb0ES3_mN6thrust23THRUST_200600_302600_NS6detail15normal_iteratorINSA_10device_ptrIfEEEEPS6_SG_NS0_5tupleIJNSA_16discard_iteratorINSA_11use_defaultEEES6_EEENSH_IJSG_SG_EEES6_PlJNSB_9not_fun_tINSB_14equal_to_valueIfEEEEEEE10hipError_tPvRmT3_T4_T5_T6_T7_T9_mT8_P12ihipStream_tbDpT10_ENKUlT_T0_E_clISt17integral_constantIbLb0EES1B_EEDaS16_S17_EUlS16_E_NS1_11comp_targetILNS1_3genE9ELNS1_11target_archE1100ELNS1_3gpuE3ELNS1_3repE0EEENS1_30default_config_static_selectorELNS0_4arch9wavefront6targetE0EEEvT1_
	.p2align	8
	.type	_ZN7rocprim17ROCPRIM_400000_NS6detail17trampoline_kernelINS0_14default_configENS1_25partition_config_selectorILNS1_17partition_subalgoE6EfNS0_10empty_typeEbEEZZNS1_14partition_implILS5_6ELb0ES3_mN6thrust23THRUST_200600_302600_NS6detail15normal_iteratorINSA_10device_ptrIfEEEEPS6_SG_NS0_5tupleIJNSA_16discard_iteratorINSA_11use_defaultEEES6_EEENSH_IJSG_SG_EEES6_PlJNSB_9not_fun_tINSB_14equal_to_valueIfEEEEEEE10hipError_tPvRmT3_T4_T5_T6_T7_T9_mT8_P12ihipStream_tbDpT10_ENKUlT_T0_E_clISt17integral_constantIbLb0EES1B_EEDaS16_S17_EUlS16_E_NS1_11comp_targetILNS1_3genE9ELNS1_11target_archE1100ELNS1_3gpuE3ELNS1_3repE0EEENS1_30default_config_static_selectorELNS0_4arch9wavefront6targetE0EEEvT1_,@function
_ZN7rocprim17ROCPRIM_400000_NS6detail17trampoline_kernelINS0_14default_configENS1_25partition_config_selectorILNS1_17partition_subalgoE6EfNS0_10empty_typeEbEEZZNS1_14partition_implILS5_6ELb0ES3_mN6thrust23THRUST_200600_302600_NS6detail15normal_iteratorINSA_10device_ptrIfEEEEPS6_SG_NS0_5tupleIJNSA_16discard_iteratorINSA_11use_defaultEEES6_EEENSH_IJSG_SG_EEES6_PlJNSB_9not_fun_tINSB_14equal_to_valueIfEEEEEEE10hipError_tPvRmT3_T4_T5_T6_T7_T9_mT8_P12ihipStream_tbDpT10_ENKUlT_T0_E_clISt17integral_constantIbLb0EES1B_EEDaS16_S17_EUlS16_E_NS1_11comp_targetILNS1_3genE9ELNS1_11target_archE1100ELNS1_3gpuE3ELNS1_3repE0EEENS1_30default_config_static_selectorELNS0_4arch9wavefront6targetE0EEEvT1_: ; @_ZN7rocprim17ROCPRIM_400000_NS6detail17trampoline_kernelINS0_14default_configENS1_25partition_config_selectorILNS1_17partition_subalgoE6EfNS0_10empty_typeEbEEZZNS1_14partition_implILS5_6ELb0ES3_mN6thrust23THRUST_200600_302600_NS6detail15normal_iteratorINSA_10device_ptrIfEEEEPS6_SG_NS0_5tupleIJNSA_16discard_iteratorINSA_11use_defaultEEES6_EEENSH_IJSG_SG_EEES6_PlJNSB_9not_fun_tINSB_14equal_to_valueIfEEEEEEE10hipError_tPvRmT3_T4_T5_T6_T7_T9_mT8_P12ihipStream_tbDpT10_ENKUlT_T0_E_clISt17integral_constantIbLb0EES1B_EEDaS16_S17_EUlS16_E_NS1_11comp_targetILNS1_3genE9ELNS1_11target_archE1100ELNS1_3gpuE3ELNS1_3repE0EEENS1_30default_config_static_selectorELNS0_4arch9wavefront6targetE0EEEvT1_
; %bb.0:
	.section	.rodata,"a",@progbits
	.p2align	6, 0x0
	.amdhsa_kernel _ZN7rocprim17ROCPRIM_400000_NS6detail17trampoline_kernelINS0_14default_configENS1_25partition_config_selectorILNS1_17partition_subalgoE6EfNS0_10empty_typeEbEEZZNS1_14partition_implILS5_6ELb0ES3_mN6thrust23THRUST_200600_302600_NS6detail15normal_iteratorINSA_10device_ptrIfEEEEPS6_SG_NS0_5tupleIJNSA_16discard_iteratorINSA_11use_defaultEEES6_EEENSH_IJSG_SG_EEES6_PlJNSB_9not_fun_tINSB_14equal_to_valueIfEEEEEEE10hipError_tPvRmT3_T4_T5_T6_T7_T9_mT8_P12ihipStream_tbDpT10_ENKUlT_T0_E_clISt17integral_constantIbLb0EES1B_EEDaS16_S17_EUlS16_E_NS1_11comp_targetILNS1_3genE9ELNS1_11target_archE1100ELNS1_3gpuE3ELNS1_3repE0EEENS1_30default_config_static_selectorELNS0_4arch9wavefront6targetE0EEEvT1_
		.amdhsa_group_segment_fixed_size 0
		.amdhsa_private_segment_fixed_size 0
		.amdhsa_kernarg_size 128
		.amdhsa_user_sgpr_count 2
		.amdhsa_user_sgpr_dispatch_ptr 0
		.amdhsa_user_sgpr_queue_ptr 0
		.amdhsa_user_sgpr_kernarg_segment_ptr 1
		.amdhsa_user_sgpr_dispatch_id 0
		.amdhsa_user_sgpr_private_segment_size 0
		.amdhsa_wavefront_size32 1
		.amdhsa_uses_dynamic_stack 0
		.amdhsa_enable_private_segment 0
		.amdhsa_system_sgpr_workgroup_id_x 1
		.amdhsa_system_sgpr_workgroup_id_y 0
		.amdhsa_system_sgpr_workgroup_id_z 0
		.amdhsa_system_sgpr_workgroup_info 0
		.amdhsa_system_vgpr_workitem_id 0
		.amdhsa_next_free_vgpr 1
		.amdhsa_next_free_sgpr 1
		.amdhsa_reserve_vcc 0
		.amdhsa_float_round_mode_32 0
		.amdhsa_float_round_mode_16_64 0
		.amdhsa_float_denorm_mode_32 3
		.amdhsa_float_denorm_mode_16_64 3
		.amdhsa_fp16_overflow 0
		.amdhsa_workgroup_processor_mode 1
		.amdhsa_memory_ordered 1
		.amdhsa_forward_progress 1
		.amdhsa_inst_pref_size 0
		.amdhsa_round_robin_scheduling 0
		.amdhsa_exception_fp_ieee_invalid_op 0
		.amdhsa_exception_fp_denorm_src 0
		.amdhsa_exception_fp_ieee_div_zero 0
		.amdhsa_exception_fp_ieee_overflow 0
		.amdhsa_exception_fp_ieee_underflow 0
		.amdhsa_exception_fp_ieee_inexact 0
		.amdhsa_exception_int_div_zero 0
	.end_amdhsa_kernel
	.section	.text._ZN7rocprim17ROCPRIM_400000_NS6detail17trampoline_kernelINS0_14default_configENS1_25partition_config_selectorILNS1_17partition_subalgoE6EfNS0_10empty_typeEbEEZZNS1_14partition_implILS5_6ELb0ES3_mN6thrust23THRUST_200600_302600_NS6detail15normal_iteratorINSA_10device_ptrIfEEEEPS6_SG_NS0_5tupleIJNSA_16discard_iteratorINSA_11use_defaultEEES6_EEENSH_IJSG_SG_EEES6_PlJNSB_9not_fun_tINSB_14equal_to_valueIfEEEEEEE10hipError_tPvRmT3_T4_T5_T6_T7_T9_mT8_P12ihipStream_tbDpT10_ENKUlT_T0_E_clISt17integral_constantIbLb0EES1B_EEDaS16_S17_EUlS16_E_NS1_11comp_targetILNS1_3genE9ELNS1_11target_archE1100ELNS1_3gpuE3ELNS1_3repE0EEENS1_30default_config_static_selectorELNS0_4arch9wavefront6targetE0EEEvT1_,"axG",@progbits,_ZN7rocprim17ROCPRIM_400000_NS6detail17trampoline_kernelINS0_14default_configENS1_25partition_config_selectorILNS1_17partition_subalgoE6EfNS0_10empty_typeEbEEZZNS1_14partition_implILS5_6ELb0ES3_mN6thrust23THRUST_200600_302600_NS6detail15normal_iteratorINSA_10device_ptrIfEEEEPS6_SG_NS0_5tupleIJNSA_16discard_iteratorINSA_11use_defaultEEES6_EEENSH_IJSG_SG_EEES6_PlJNSB_9not_fun_tINSB_14equal_to_valueIfEEEEEEE10hipError_tPvRmT3_T4_T5_T6_T7_T9_mT8_P12ihipStream_tbDpT10_ENKUlT_T0_E_clISt17integral_constantIbLb0EES1B_EEDaS16_S17_EUlS16_E_NS1_11comp_targetILNS1_3genE9ELNS1_11target_archE1100ELNS1_3gpuE3ELNS1_3repE0EEENS1_30default_config_static_selectorELNS0_4arch9wavefront6targetE0EEEvT1_,comdat
.Lfunc_end1603:
	.size	_ZN7rocprim17ROCPRIM_400000_NS6detail17trampoline_kernelINS0_14default_configENS1_25partition_config_selectorILNS1_17partition_subalgoE6EfNS0_10empty_typeEbEEZZNS1_14partition_implILS5_6ELb0ES3_mN6thrust23THRUST_200600_302600_NS6detail15normal_iteratorINSA_10device_ptrIfEEEEPS6_SG_NS0_5tupleIJNSA_16discard_iteratorINSA_11use_defaultEEES6_EEENSH_IJSG_SG_EEES6_PlJNSB_9not_fun_tINSB_14equal_to_valueIfEEEEEEE10hipError_tPvRmT3_T4_T5_T6_T7_T9_mT8_P12ihipStream_tbDpT10_ENKUlT_T0_E_clISt17integral_constantIbLb0EES1B_EEDaS16_S17_EUlS16_E_NS1_11comp_targetILNS1_3genE9ELNS1_11target_archE1100ELNS1_3gpuE3ELNS1_3repE0EEENS1_30default_config_static_selectorELNS0_4arch9wavefront6targetE0EEEvT1_, .Lfunc_end1603-_ZN7rocprim17ROCPRIM_400000_NS6detail17trampoline_kernelINS0_14default_configENS1_25partition_config_selectorILNS1_17partition_subalgoE6EfNS0_10empty_typeEbEEZZNS1_14partition_implILS5_6ELb0ES3_mN6thrust23THRUST_200600_302600_NS6detail15normal_iteratorINSA_10device_ptrIfEEEEPS6_SG_NS0_5tupleIJNSA_16discard_iteratorINSA_11use_defaultEEES6_EEENSH_IJSG_SG_EEES6_PlJNSB_9not_fun_tINSB_14equal_to_valueIfEEEEEEE10hipError_tPvRmT3_T4_T5_T6_T7_T9_mT8_P12ihipStream_tbDpT10_ENKUlT_T0_E_clISt17integral_constantIbLb0EES1B_EEDaS16_S17_EUlS16_E_NS1_11comp_targetILNS1_3genE9ELNS1_11target_archE1100ELNS1_3gpuE3ELNS1_3repE0EEENS1_30default_config_static_selectorELNS0_4arch9wavefront6targetE0EEEvT1_
                                        ; -- End function
	.set _ZN7rocprim17ROCPRIM_400000_NS6detail17trampoline_kernelINS0_14default_configENS1_25partition_config_selectorILNS1_17partition_subalgoE6EfNS0_10empty_typeEbEEZZNS1_14partition_implILS5_6ELb0ES3_mN6thrust23THRUST_200600_302600_NS6detail15normal_iteratorINSA_10device_ptrIfEEEEPS6_SG_NS0_5tupleIJNSA_16discard_iteratorINSA_11use_defaultEEES6_EEENSH_IJSG_SG_EEES6_PlJNSB_9not_fun_tINSB_14equal_to_valueIfEEEEEEE10hipError_tPvRmT3_T4_T5_T6_T7_T9_mT8_P12ihipStream_tbDpT10_ENKUlT_T0_E_clISt17integral_constantIbLb0EES1B_EEDaS16_S17_EUlS16_E_NS1_11comp_targetILNS1_3genE9ELNS1_11target_archE1100ELNS1_3gpuE3ELNS1_3repE0EEENS1_30default_config_static_selectorELNS0_4arch9wavefront6targetE0EEEvT1_.num_vgpr, 0
	.set _ZN7rocprim17ROCPRIM_400000_NS6detail17trampoline_kernelINS0_14default_configENS1_25partition_config_selectorILNS1_17partition_subalgoE6EfNS0_10empty_typeEbEEZZNS1_14partition_implILS5_6ELb0ES3_mN6thrust23THRUST_200600_302600_NS6detail15normal_iteratorINSA_10device_ptrIfEEEEPS6_SG_NS0_5tupleIJNSA_16discard_iteratorINSA_11use_defaultEEES6_EEENSH_IJSG_SG_EEES6_PlJNSB_9not_fun_tINSB_14equal_to_valueIfEEEEEEE10hipError_tPvRmT3_T4_T5_T6_T7_T9_mT8_P12ihipStream_tbDpT10_ENKUlT_T0_E_clISt17integral_constantIbLb0EES1B_EEDaS16_S17_EUlS16_E_NS1_11comp_targetILNS1_3genE9ELNS1_11target_archE1100ELNS1_3gpuE3ELNS1_3repE0EEENS1_30default_config_static_selectorELNS0_4arch9wavefront6targetE0EEEvT1_.num_agpr, 0
	.set _ZN7rocprim17ROCPRIM_400000_NS6detail17trampoline_kernelINS0_14default_configENS1_25partition_config_selectorILNS1_17partition_subalgoE6EfNS0_10empty_typeEbEEZZNS1_14partition_implILS5_6ELb0ES3_mN6thrust23THRUST_200600_302600_NS6detail15normal_iteratorINSA_10device_ptrIfEEEEPS6_SG_NS0_5tupleIJNSA_16discard_iteratorINSA_11use_defaultEEES6_EEENSH_IJSG_SG_EEES6_PlJNSB_9not_fun_tINSB_14equal_to_valueIfEEEEEEE10hipError_tPvRmT3_T4_T5_T6_T7_T9_mT8_P12ihipStream_tbDpT10_ENKUlT_T0_E_clISt17integral_constantIbLb0EES1B_EEDaS16_S17_EUlS16_E_NS1_11comp_targetILNS1_3genE9ELNS1_11target_archE1100ELNS1_3gpuE3ELNS1_3repE0EEENS1_30default_config_static_selectorELNS0_4arch9wavefront6targetE0EEEvT1_.numbered_sgpr, 0
	.set _ZN7rocprim17ROCPRIM_400000_NS6detail17trampoline_kernelINS0_14default_configENS1_25partition_config_selectorILNS1_17partition_subalgoE6EfNS0_10empty_typeEbEEZZNS1_14partition_implILS5_6ELb0ES3_mN6thrust23THRUST_200600_302600_NS6detail15normal_iteratorINSA_10device_ptrIfEEEEPS6_SG_NS0_5tupleIJNSA_16discard_iteratorINSA_11use_defaultEEES6_EEENSH_IJSG_SG_EEES6_PlJNSB_9not_fun_tINSB_14equal_to_valueIfEEEEEEE10hipError_tPvRmT3_T4_T5_T6_T7_T9_mT8_P12ihipStream_tbDpT10_ENKUlT_T0_E_clISt17integral_constantIbLb0EES1B_EEDaS16_S17_EUlS16_E_NS1_11comp_targetILNS1_3genE9ELNS1_11target_archE1100ELNS1_3gpuE3ELNS1_3repE0EEENS1_30default_config_static_selectorELNS0_4arch9wavefront6targetE0EEEvT1_.num_named_barrier, 0
	.set _ZN7rocprim17ROCPRIM_400000_NS6detail17trampoline_kernelINS0_14default_configENS1_25partition_config_selectorILNS1_17partition_subalgoE6EfNS0_10empty_typeEbEEZZNS1_14partition_implILS5_6ELb0ES3_mN6thrust23THRUST_200600_302600_NS6detail15normal_iteratorINSA_10device_ptrIfEEEEPS6_SG_NS0_5tupleIJNSA_16discard_iteratorINSA_11use_defaultEEES6_EEENSH_IJSG_SG_EEES6_PlJNSB_9not_fun_tINSB_14equal_to_valueIfEEEEEEE10hipError_tPvRmT3_T4_T5_T6_T7_T9_mT8_P12ihipStream_tbDpT10_ENKUlT_T0_E_clISt17integral_constantIbLb0EES1B_EEDaS16_S17_EUlS16_E_NS1_11comp_targetILNS1_3genE9ELNS1_11target_archE1100ELNS1_3gpuE3ELNS1_3repE0EEENS1_30default_config_static_selectorELNS0_4arch9wavefront6targetE0EEEvT1_.private_seg_size, 0
	.set _ZN7rocprim17ROCPRIM_400000_NS6detail17trampoline_kernelINS0_14default_configENS1_25partition_config_selectorILNS1_17partition_subalgoE6EfNS0_10empty_typeEbEEZZNS1_14partition_implILS5_6ELb0ES3_mN6thrust23THRUST_200600_302600_NS6detail15normal_iteratorINSA_10device_ptrIfEEEEPS6_SG_NS0_5tupleIJNSA_16discard_iteratorINSA_11use_defaultEEES6_EEENSH_IJSG_SG_EEES6_PlJNSB_9not_fun_tINSB_14equal_to_valueIfEEEEEEE10hipError_tPvRmT3_T4_T5_T6_T7_T9_mT8_P12ihipStream_tbDpT10_ENKUlT_T0_E_clISt17integral_constantIbLb0EES1B_EEDaS16_S17_EUlS16_E_NS1_11comp_targetILNS1_3genE9ELNS1_11target_archE1100ELNS1_3gpuE3ELNS1_3repE0EEENS1_30default_config_static_selectorELNS0_4arch9wavefront6targetE0EEEvT1_.uses_vcc, 0
	.set _ZN7rocprim17ROCPRIM_400000_NS6detail17trampoline_kernelINS0_14default_configENS1_25partition_config_selectorILNS1_17partition_subalgoE6EfNS0_10empty_typeEbEEZZNS1_14partition_implILS5_6ELb0ES3_mN6thrust23THRUST_200600_302600_NS6detail15normal_iteratorINSA_10device_ptrIfEEEEPS6_SG_NS0_5tupleIJNSA_16discard_iteratorINSA_11use_defaultEEES6_EEENSH_IJSG_SG_EEES6_PlJNSB_9not_fun_tINSB_14equal_to_valueIfEEEEEEE10hipError_tPvRmT3_T4_T5_T6_T7_T9_mT8_P12ihipStream_tbDpT10_ENKUlT_T0_E_clISt17integral_constantIbLb0EES1B_EEDaS16_S17_EUlS16_E_NS1_11comp_targetILNS1_3genE9ELNS1_11target_archE1100ELNS1_3gpuE3ELNS1_3repE0EEENS1_30default_config_static_selectorELNS0_4arch9wavefront6targetE0EEEvT1_.uses_flat_scratch, 0
	.set _ZN7rocprim17ROCPRIM_400000_NS6detail17trampoline_kernelINS0_14default_configENS1_25partition_config_selectorILNS1_17partition_subalgoE6EfNS0_10empty_typeEbEEZZNS1_14partition_implILS5_6ELb0ES3_mN6thrust23THRUST_200600_302600_NS6detail15normal_iteratorINSA_10device_ptrIfEEEEPS6_SG_NS0_5tupleIJNSA_16discard_iteratorINSA_11use_defaultEEES6_EEENSH_IJSG_SG_EEES6_PlJNSB_9not_fun_tINSB_14equal_to_valueIfEEEEEEE10hipError_tPvRmT3_T4_T5_T6_T7_T9_mT8_P12ihipStream_tbDpT10_ENKUlT_T0_E_clISt17integral_constantIbLb0EES1B_EEDaS16_S17_EUlS16_E_NS1_11comp_targetILNS1_3genE9ELNS1_11target_archE1100ELNS1_3gpuE3ELNS1_3repE0EEENS1_30default_config_static_selectorELNS0_4arch9wavefront6targetE0EEEvT1_.has_dyn_sized_stack, 0
	.set _ZN7rocprim17ROCPRIM_400000_NS6detail17trampoline_kernelINS0_14default_configENS1_25partition_config_selectorILNS1_17partition_subalgoE6EfNS0_10empty_typeEbEEZZNS1_14partition_implILS5_6ELb0ES3_mN6thrust23THRUST_200600_302600_NS6detail15normal_iteratorINSA_10device_ptrIfEEEEPS6_SG_NS0_5tupleIJNSA_16discard_iteratorINSA_11use_defaultEEES6_EEENSH_IJSG_SG_EEES6_PlJNSB_9not_fun_tINSB_14equal_to_valueIfEEEEEEE10hipError_tPvRmT3_T4_T5_T6_T7_T9_mT8_P12ihipStream_tbDpT10_ENKUlT_T0_E_clISt17integral_constantIbLb0EES1B_EEDaS16_S17_EUlS16_E_NS1_11comp_targetILNS1_3genE9ELNS1_11target_archE1100ELNS1_3gpuE3ELNS1_3repE0EEENS1_30default_config_static_selectorELNS0_4arch9wavefront6targetE0EEEvT1_.has_recursion, 0
	.set _ZN7rocprim17ROCPRIM_400000_NS6detail17trampoline_kernelINS0_14default_configENS1_25partition_config_selectorILNS1_17partition_subalgoE6EfNS0_10empty_typeEbEEZZNS1_14partition_implILS5_6ELb0ES3_mN6thrust23THRUST_200600_302600_NS6detail15normal_iteratorINSA_10device_ptrIfEEEEPS6_SG_NS0_5tupleIJNSA_16discard_iteratorINSA_11use_defaultEEES6_EEENSH_IJSG_SG_EEES6_PlJNSB_9not_fun_tINSB_14equal_to_valueIfEEEEEEE10hipError_tPvRmT3_T4_T5_T6_T7_T9_mT8_P12ihipStream_tbDpT10_ENKUlT_T0_E_clISt17integral_constantIbLb0EES1B_EEDaS16_S17_EUlS16_E_NS1_11comp_targetILNS1_3genE9ELNS1_11target_archE1100ELNS1_3gpuE3ELNS1_3repE0EEENS1_30default_config_static_selectorELNS0_4arch9wavefront6targetE0EEEvT1_.has_indirect_call, 0
	.section	.AMDGPU.csdata,"",@progbits
; Kernel info:
; codeLenInByte = 0
; TotalNumSgprs: 0
; NumVgprs: 0
; ScratchSize: 0
; MemoryBound: 0
; FloatMode: 240
; IeeeMode: 1
; LDSByteSize: 0 bytes/workgroup (compile time only)
; SGPRBlocks: 0
; VGPRBlocks: 0
; NumSGPRsForWavesPerEU: 1
; NumVGPRsForWavesPerEU: 1
; Occupancy: 16
; WaveLimiterHint : 0
; COMPUTE_PGM_RSRC2:SCRATCH_EN: 0
; COMPUTE_PGM_RSRC2:USER_SGPR: 2
; COMPUTE_PGM_RSRC2:TRAP_HANDLER: 0
; COMPUTE_PGM_RSRC2:TGID_X_EN: 1
; COMPUTE_PGM_RSRC2:TGID_Y_EN: 0
; COMPUTE_PGM_RSRC2:TGID_Z_EN: 0
; COMPUTE_PGM_RSRC2:TIDIG_COMP_CNT: 0
	.section	.text._ZN7rocprim17ROCPRIM_400000_NS6detail17trampoline_kernelINS0_14default_configENS1_25partition_config_selectorILNS1_17partition_subalgoE6EfNS0_10empty_typeEbEEZZNS1_14partition_implILS5_6ELb0ES3_mN6thrust23THRUST_200600_302600_NS6detail15normal_iteratorINSA_10device_ptrIfEEEEPS6_SG_NS0_5tupleIJNSA_16discard_iteratorINSA_11use_defaultEEES6_EEENSH_IJSG_SG_EEES6_PlJNSB_9not_fun_tINSB_14equal_to_valueIfEEEEEEE10hipError_tPvRmT3_T4_T5_T6_T7_T9_mT8_P12ihipStream_tbDpT10_ENKUlT_T0_E_clISt17integral_constantIbLb0EES1B_EEDaS16_S17_EUlS16_E_NS1_11comp_targetILNS1_3genE8ELNS1_11target_archE1030ELNS1_3gpuE2ELNS1_3repE0EEENS1_30default_config_static_selectorELNS0_4arch9wavefront6targetE0EEEvT1_,"axG",@progbits,_ZN7rocprim17ROCPRIM_400000_NS6detail17trampoline_kernelINS0_14default_configENS1_25partition_config_selectorILNS1_17partition_subalgoE6EfNS0_10empty_typeEbEEZZNS1_14partition_implILS5_6ELb0ES3_mN6thrust23THRUST_200600_302600_NS6detail15normal_iteratorINSA_10device_ptrIfEEEEPS6_SG_NS0_5tupleIJNSA_16discard_iteratorINSA_11use_defaultEEES6_EEENSH_IJSG_SG_EEES6_PlJNSB_9not_fun_tINSB_14equal_to_valueIfEEEEEEE10hipError_tPvRmT3_T4_T5_T6_T7_T9_mT8_P12ihipStream_tbDpT10_ENKUlT_T0_E_clISt17integral_constantIbLb0EES1B_EEDaS16_S17_EUlS16_E_NS1_11comp_targetILNS1_3genE8ELNS1_11target_archE1030ELNS1_3gpuE2ELNS1_3repE0EEENS1_30default_config_static_selectorELNS0_4arch9wavefront6targetE0EEEvT1_,comdat
	.protected	_ZN7rocprim17ROCPRIM_400000_NS6detail17trampoline_kernelINS0_14default_configENS1_25partition_config_selectorILNS1_17partition_subalgoE6EfNS0_10empty_typeEbEEZZNS1_14partition_implILS5_6ELb0ES3_mN6thrust23THRUST_200600_302600_NS6detail15normal_iteratorINSA_10device_ptrIfEEEEPS6_SG_NS0_5tupleIJNSA_16discard_iteratorINSA_11use_defaultEEES6_EEENSH_IJSG_SG_EEES6_PlJNSB_9not_fun_tINSB_14equal_to_valueIfEEEEEEE10hipError_tPvRmT3_T4_T5_T6_T7_T9_mT8_P12ihipStream_tbDpT10_ENKUlT_T0_E_clISt17integral_constantIbLb0EES1B_EEDaS16_S17_EUlS16_E_NS1_11comp_targetILNS1_3genE8ELNS1_11target_archE1030ELNS1_3gpuE2ELNS1_3repE0EEENS1_30default_config_static_selectorELNS0_4arch9wavefront6targetE0EEEvT1_ ; -- Begin function _ZN7rocprim17ROCPRIM_400000_NS6detail17trampoline_kernelINS0_14default_configENS1_25partition_config_selectorILNS1_17partition_subalgoE6EfNS0_10empty_typeEbEEZZNS1_14partition_implILS5_6ELb0ES3_mN6thrust23THRUST_200600_302600_NS6detail15normal_iteratorINSA_10device_ptrIfEEEEPS6_SG_NS0_5tupleIJNSA_16discard_iteratorINSA_11use_defaultEEES6_EEENSH_IJSG_SG_EEES6_PlJNSB_9not_fun_tINSB_14equal_to_valueIfEEEEEEE10hipError_tPvRmT3_T4_T5_T6_T7_T9_mT8_P12ihipStream_tbDpT10_ENKUlT_T0_E_clISt17integral_constantIbLb0EES1B_EEDaS16_S17_EUlS16_E_NS1_11comp_targetILNS1_3genE8ELNS1_11target_archE1030ELNS1_3gpuE2ELNS1_3repE0EEENS1_30default_config_static_selectorELNS0_4arch9wavefront6targetE0EEEvT1_
	.globl	_ZN7rocprim17ROCPRIM_400000_NS6detail17trampoline_kernelINS0_14default_configENS1_25partition_config_selectorILNS1_17partition_subalgoE6EfNS0_10empty_typeEbEEZZNS1_14partition_implILS5_6ELb0ES3_mN6thrust23THRUST_200600_302600_NS6detail15normal_iteratorINSA_10device_ptrIfEEEEPS6_SG_NS0_5tupleIJNSA_16discard_iteratorINSA_11use_defaultEEES6_EEENSH_IJSG_SG_EEES6_PlJNSB_9not_fun_tINSB_14equal_to_valueIfEEEEEEE10hipError_tPvRmT3_T4_T5_T6_T7_T9_mT8_P12ihipStream_tbDpT10_ENKUlT_T0_E_clISt17integral_constantIbLb0EES1B_EEDaS16_S17_EUlS16_E_NS1_11comp_targetILNS1_3genE8ELNS1_11target_archE1030ELNS1_3gpuE2ELNS1_3repE0EEENS1_30default_config_static_selectorELNS0_4arch9wavefront6targetE0EEEvT1_
	.p2align	8
	.type	_ZN7rocprim17ROCPRIM_400000_NS6detail17trampoline_kernelINS0_14default_configENS1_25partition_config_selectorILNS1_17partition_subalgoE6EfNS0_10empty_typeEbEEZZNS1_14partition_implILS5_6ELb0ES3_mN6thrust23THRUST_200600_302600_NS6detail15normal_iteratorINSA_10device_ptrIfEEEEPS6_SG_NS0_5tupleIJNSA_16discard_iteratorINSA_11use_defaultEEES6_EEENSH_IJSG_SG_EEES6_PlJNSB_9not_fun_tINSB_14equal_to_valueIfEEEEEEE10hipError_tPvRmT3_T4_T5_T6_T7_T9_mT8_P12ihipStream_tbDpT10_ENKUlT_T0_E_clISt17integral_constantIbLb0EES1B_EEDaS16_S17_EUlS16_E_NS1_11comp_targetILNS1_3genE8ELNS1_11target_archE1030ELNS1_3gpuE2ELNS1_3repE0EEENS1_30default_config_static_selectorELNS0_4arch9wavefront6targetE0EEEvT1_,@function
_ZN7rocprim17ROCPRIM_400000_NS6detail17trampoline_kernelINS0_14default_configENS1_25partition_config_selectorILNS1_17partition_subalgoE6EfNS0_10empty_typeEbEEZZNS1_14partition_implILS5_6ELb0ES3_mN6thrust23THRUST_200600_302600_NS6detail15normal_iteratorINSA_10device_ptrIfEEEEPS6_SG_NS0_5tupleIJNSA_16discard_iteratorINSA_11use_defaultEEES6_EEENSH_IJSG_SG_EEES6_PlJNSB_9not_fun_tINSB_14equal_to_valueIfEEEEEEE10hipError_tPvRmT3_T4_T5_T6_T7_T9_mT8_P12ihipStream_tbDpT10_ENKUlT_T0_E_clISt17integral_constantIbLb0EES1B_EEDaS16_S17_EUlS16_E_NS1_11comp_targetILNS1_3genE8ELNS1_11target_archE1030ELNS1_3gpuE2ELNS1_3repE0EEENS1_30default_config_static_selectorELNS0_4arch9wavefront6targetE0EEEvT1_: ; @_ZN7rocprim17ROCPRIM_400000_NS6detail17trampoline_kernelINS0_14default_configENS1_25partition_config_selectorILNS1_17partition_subalgoE6EfNS0_10empty_typeEbEEZZNS1_14partition_implILS5_6ELb0ES3_mN6thrust23THRUST_200600_302600_NS6detail15normal_iteratorINSA_10device_ptrIfEEEEPS6_SG_NS0_5tupleIJNSA_16discard_iteratorINSA_11use_defaultEEES6_EEENSH_IJSG_SG_EEES6_PlJNSB_9not_fun_tINSB_14equal_to_valueIfEEEEEEE10hipError_tPvRmT3_T4_T5_T6_T7_T9_mT8_P12ihipStream_tbDpT10_ENKUlT_T0_E_clISt17integral_constantIbLb0EES1B_EEDaS16_S17_EUlS16_E_NS1_11comp_targetILNS1_3genE8ELNS1_11target_archE1030ELNS1_3gpuE2ELNS1_3repE0EEENS1_30default_config_static_selectorELNS0_4arch9wavefront6targetE0EEEvT1_
; %bb.0:
	.section	.rodata,"a",@progbits
	.p2align	6, 0x0
	.amdhsa_kernel _ZN7rocprim17ROCPRIM_400000_NS6detail17trampoline_kernelINS0_14default_configENS1_25partition_config_selectorILNS1_17partition_subalgoE6EfNS0_10empty_typeEbEEZZNS1_14partition_implILS5_6ELb0ES3_mN6thrust23THRUST_200600_302600_NS6detail15normal_iteratorINSA_10device_ptrIfEEEEPS6_SG_NS0_5tupleIJNSA_16discard_iteratorINSA_11use_defaultEEES6_EEENSH_IJSG_SG_EEES6_PlJNSB_9not_fun_tINSB_14equal_to_valueIfEEEEEEE10hipError_tPvRmT3_T4_T5_T6_T7_T9_mT8_P12ihipStream_tbDpT10_ENKUlT_T0_E_clISt17integral_constantIbLb0EES1B_EEDaS16_S17_EUlS16_E_NS1_11comp_targetILNS1_3genE8ELNS1_11target_archE1030ELNS1_3gpuE2ELNS1_3repE0EEENS1_30default_config_static_selectorELNS0_4arch9wavefront6targetE0EEEvT1_
		.amdhsa_group_segment_fixed_size 0
		.amdhsa_private_segment_fixed_size 0
		.amdhsa_kernarg_size 128
		.amdhsa_user_sgpr_count 2
		.amdhsa_user_sgpr_dispatch_ptr 0
		.amdhsa_user_sgpr_queue_ptr 0
		.amdhsa_user_sgpr_kernarg_segment_ptr 1
		.amdhsa_user_sgpr_dispatch_id 0
		.amdhsa_user_sgpr_private_segment_size 0
		.amdhsa_wavefront_size32 1
		.amdhsa_uses_dynamic_stack 0
		.amdhsa_enable_private_segment 0
		.amdhsa_system_sgpr_workgroup_id_x 1
		.amdhsa_system_sgpr_workgroup_id_y 0
		.amdhsa_system_sgpr_workgroup_id_z 0
		.amdhsa_system_sgpr_workgroup_info 0
		.amdhsa_system_vgpr_workitem_id 0
		.amdhsa_next_free_vgpr 1
		.amdhsa_next_free_sgpr 1
		.amdhsa_reserve_vcc 0
		.amdhsa_float_round_mode_32 0
		.amdhsa_float_round_mode_16_64 0
		.amdhsa_float_denorm_mode_32 3
		.amdhsa_float_denorm_mode_16_64 3
		.amdhsa_fp16_overflow 0
		.amdhsa_workgroup_processor_mode 1
		.amdhsa_memory_ordered 1
		.amdhsa_forward_progress 1
		.amdhsa_inst_pref_size 0
		.amdhsa_round_robin_scheduling 0
		.amdhsa_exception_fp_ieee_invalid_op 0
		.amdhsa_exception_fp_denorm_src 0
		.amdhsa_exception_fp_ieee_div_zero 0
		.amdhsa_exception_fp_ieee_overflow 0
		.amdhsa_exception_fp_ieee_underflow 0
		.amdhsa_exception_fp_ieee_inexact 0
		.amdhsa_exception_int_div_zero 0
	.end_amdhsa_kernel
	.section	.text._ZN7rocprim17ROCPRIM_400000_NS6detail17trampoline_kernelINS0_14default_configENS1_25partition_config_selectorILNS1_17partition_subalgoE6EfNS0_10empty_typeEbEEZZNS1_14partition_implILS5_6ELb0ES3_mN6thrust23THRUST_200600_302600_NS6detail15normal_iteratorINSA_10device_ptrIfEEEEPS6_SG_NS0_5tupleIJNSA_16discard_iteratorINSA_11use_defaultEEES6_EEENSH_IJSG_SG_EEES6_PlJNSB_9not_fun_tINSB_14equal_to_valueIfEEEEEEE10hipError_tPvRmT3_T4_T5_T6_T7_T9_mT8_P12ihipStream_tbDpT10_ENKUlT_T0_E_clISt17integral_constantIbLb0EES1B_EEDaS16_S17_EUlS16_E_NS1_11comp_targetILNS1_3genE8ELNS1_11target_archE1030ELNS1_3gpuE2ELNS1_3repE0EEENS1_30default_config_static_selectorELNS0_4arch9wavefront6targetE0EEEvT1_,"axG",@progbits,_ZN7rocprim17ROCPRIM_400000_NS6detail17trampoline_kernelINS0_14default_configENS1_25partition_config_selectorILNS1_17partition_subalgoE6EfNS0_10empty_typeEbEEZZNS1_14partition_implILS5_6ELb0ES3_mN6thrust23THRUST_200600_302600_NS6detail15normal_iteratorINSA_10device_ptrIfEEEEPS6_SG_NS0_5tupleIJNSA_16discard_iteratorINSA_11use_defaultEEES6_EEENSH_IJSG_SG_EEES6_PlJNSB_9not_fun_tINSB_14equal_to_valueIfEEEEEEE10hipError_tPvRmT3_T4_T5_T6_T7_T9_mT8_P12ihipStream_tbDpT10_ENKUlT_T0_E_clISt17integral_constantIbLb0EES1B_EEDaS16_S17_EUlS16_E_NS1_11comp_targetILNS1_3genE8ELNS1_11target_archE1030ELNS1_3gpuE2ELNS1_3repE0EEENS1_30default_config_static_selectorELNS0_4arch9wavefront6targetE0EEEvT1_,comdat
.Lfunc_end1604:
	.size	_ZN7rocprim17ROCPRIM_400000_NS6detail17trampoline_kernelINS0_14default_configENS1_25partition_config_selectorILNS1_17partition_subalgoE6EfNS0_10empty_typeEbEEZZNS1_14partition_implILS5_6ELb0ES3_mN6thrust23THRUST_200600_302600_NS6detail15normal_iteratorINSA_10device_ptrIfEEEEPS6_SG_NS0_5tupleIJNSA_16discard_iteratorINSA_11use_defaultEEES6_EEENSH_IJSG_SG_EEES6_PlJNSB_9not_fun_tINSB_14equal_to_valueIfEEEEEEE10hipError_tPvRmT3_T4_T5_T6_T7_T9_mT8_P12ihipStream_tbDpT10_ENKUlT_T0_E_clISt17integral_constantIbLb0EES1B_EEDaS16_S17_EUlS16_E_NS1_11comp_targetILNS1_3genE8ELNS1_11target_archE1030ELNS1_3gpuE2ELNS1_3repE0EEENS1_30default_config_static_selectorELNS0_4arch9wavefront6targetE0EEEvT1_, .Lfunc_end1604-_ZN7rocprim17ROCPRIM_400000_NS6detail17trampoline_kernelINS0_14default_configENS1_25partition_config_selectorILNS1_17partition_subalgoE6EfNS0_10empty_typeEbEEZZNS1_14partition_implILS5_6ELb0ES3_mN6thrust23THRUST_200600_302600_NS6detail15normal_iteratorINSA_10device_ptrIfEEEEPS6_SG_NS0_5tupleIJNSA_16discard_iteratorINSA_11use_defaultEEES6_EEENSH_IJSG_SG_EEES6_PlJNSB_9not_fun_tINSB_14equal_to_valueIfEEEEEEE10hipError_tPvRmT3_T4_T5_T6_T7_T9_mT8_P12ihipStream_tbDpT10_ENKUlT_T0_E_clISt17integral_constantIbLb0EES1B_EEDaS16_S17_EUlS16_E_NS1_11comp_targetILNS1_3genE8ELNS1_11target_archE1030ELNS1_3gpuE2ELNS1_3repE0EEENS1_30default_config_static_selectorELNS0_4arch9wavefront6targetE0EEEvT1_
                                        ; -- End function
	.set _ZN7rocprim17ROCPRIM_400000_NS6detail17trampoline_kernelINS0_14default_configENS1_25partition_config_selectorILNS1_17partition_subalgoE6EfNS0_10empty_typeEbEEZZNS1_14partition_implILS5_6ELb0ES3_mN6thrust23THRUST_200600_302600_NS6detail15normal_iteratorINSA_10device_ptrIfEEEEPS6_SG_NS0_5tupleIJNSA_16discard_iteratorINSA_11use_defaultEEES6_EEENSH_IJSG_SG_EEES6_PlJNSB_9not_fun_tINSB_14equal_to_valueIfEEEEEEE10hipError_tPvRmT3_T4_T5_T6_T7_T9_mT8_P12ihipStream_tbDpT10_ENKUlT_T0_E_clISt17integral_constantIbLb0EES1B_EEDaS16_S17_EUlS16_E_NS1_11comp_targetILNS1_3genE8ELNS1_11target_archE1030ELNS1_3gpuE2ELNS1_3repE0EEENS1_30default_config_static_selectorELNS0_4arch9wavefront6targetE0EEEvT1_.num_vgpr, 0
	.set _ZN7rocprim17ROCPRIM_400000_NS6detail17trampoline_kernelINS0_14default_configENS1_25partition_config_selectorILNS1_17partition_subalgoE6EfNS0_10empty_typeEbEEZZNS1_14partition_implILS5_6ELb0ES3_mN6thrust23THRUST_200600_302600_NS6detail15normal_iteratorINSA_10device_ptrIfEEEEPS6_SG_NS0_5tupleIJNSA_16discard_iteratorINSA_11use_defaultEEES6_EEENSH_IJSG_SG_EEES6_PlJNSB_9not_fun_tINSB_14equal_to_valueIfEEEEEEE10hipError_tPvRmT3_T4_T5_T6_T7_T9_mT8_P12ihipStream_tbDpT10_ENKUlT_T0_E_clISt17integral_constantIbLb0EES1B_EEDaS16_S17_EUlS16_E_NS1_11comp_targetILNS1_3genE8ELNS1_11target_archE1030ELNS1_3gpuE2ELNS1_3repE0EEENS1_30default_config_static_selectorELNS0_4arch9wavefront6targetE0EEEvT1_.num_agpr, 0
	.set _ZN7rocprim17ROCPRIM_400000_NS6detail17trampoline_kernelINS0_14default_configENS1_25partition_config_selectorILNS1_17partition_subalgoE6EfNS0_10empty_typeEbEEZZNS1_14partition_implILS5_6ELb0ES3_mN6thrust23THRUST_200600_302600_NS6detail15normal_iteratorINSA_10device_ptrIfEEEEPS6_SG_NS0_5tupleIJNSA_16discard_iteratorINSA_11use_defaultEEES6_EEENSH_IJSG_SG_EEES6_PlJNSB_9not_fun_tINSB_14equal_to_valueIfEEEEEEE10hipError_tPvRmT3_T4_T5_T6_T7_T9_mT8_P12ihipStream_tbDpT10_ENKUlT_T0_E_clISt17integral_constantIbLb0EES1B_EEDaS16_S17_EUlS16_E_NS1_11comp_targetILNS1_3genE8ELNS1_11target_archE1030ELNS1_3gpuE2ELNS1_3repE0EEENS1_30default_config_static_selectorELNS0_4arch9wavefront6targetE0EEEvT1_.numbered_sgpr, 0
	.set _ZN7rocprim17ROCPRIM_400000_NS6detail17trampoline_kernelINS0_14default_configENS1_25partition_config_selectorILNS1_17partition_subalgoE6EfNS0_10empty_typeEbEEZZNS1_14partition_implILS5_6ELb0ES3_mN6thrust23THRUST_200600_302600_NS6detail15normal_iteratorINSA_10device_ptrIfEEEEPS6_SG_NS0_5tupleIJNSA_16discard_iteratorINSA_11use_defaultEEES6_EEENSH_IJSG_SG_EEES6_PlJNSB_9not_fun_tINSB_14equal_to_valueIfEEEEEEE10hipError_tPvRmT3_T4_T5_T6_T7_T9_mT8_P12ihipStream_tbDpT10_ENKUlT_T0_E_clISt17integral_constantIbLb0EES1B_EEDaS16_S17_EUlS16_E_NS1_11comp_targetILNS1_3genE8ELNS1_11target_archE1030ELNS1_3gpuE2ELNS1_3repE0EEENS1_30default_config_static_selectorELNS0_4arch9wavefront6targetE0EEEvT1_.num_named_barrier, 0
	.set _ZN7rocprim17ROCPRIM_400000_NS6detail17trampoline_kernelINS0_14default_configENS1_25partition_config_selectorILNS1_17partition_subalgoE6EfNS0_10empty_typeEbEEZZNS1_14partition_implILS5_6ELb0ES3_mN6thrust23THRUST_200600_302600_NS6detail15normal_iteratorINSA_10device_ptrIfEEEEPS6_SG_NS0_5tupleIJNSA_16discard_iteratorINSA_11use_defaultEEES6_EEENSH_IJSG_SG_EEES6_PlJNSB_9not_fun_tINSB_14equal_to_valueIfEEEEEEE10hipError_tPvRmT3_T4_T5_T6_T7_T9_mT8_P12ihipStream_tbDpT10_ENKUlT_T0_E_clISt17integral_constantIbLb0EES1B_EEDaS16_S17_EUlS16_E_NS1_11comp_targetILNS1_3genE8ELNS1_11target_archE1030ELNS1_3gpuE2ELNS1_3repE0EEENS1_30default_config_static_selectorELNS0_4arch9wavefront6targetE0EEEvT1_.private_seg_size, 0
	.set _ZN7rocprim17ROCPRIM_400000_NS6detail17trampoline_kernelINS0_14default_configENS1_25partition_config_selectorILNS1_17partition_subalgoE6EfNS0_10empty_typeEbEEZZNS1_14partition_implILS5_6ELb0ES3_mN6thrust23THRUST_200600_302600_NS6detail15normal_iteratorINSA_10device_ptrIfEEEEPS6_SG_NS0_5tupleIJNSA_16discard_iteratorINSA_11use_defaultEEES6_EEENSH_IJSG_SG_EEES6_PlJNSB_9not_fun_tINSB_14equal_to_valueIfEEEEEEE10hipError_tPvRmT3_T4_T5_T6_T7_T9_mT8_P12ihipStream_tbDpT10_ENKUlT_T0_E_clISt17integral_constantIbLb0EES1B_EEDaS16_S17_EUlS16_E_NS1_11comp_targetILNS1_3genE8ELNS1_11target_archE1030ELNS1_3gpuE2ELNS1_3repE0EEENS1_30default_config_static_selectorELNS0_4arch9wavefront6targetE0EEEvT1_.uses_vcc, 0
	.set _ZN7rocprim17ROCPRIM_400000_NS6detail17trampoline_kernelINS0_14default_configENS1_25partition_config_selectorILNS1_17partition_subalgoE6EfNS0_10empty_typeEbEEZZNS1_14partition_implILS5_6ELb0ES3_mN6thrust23THRUST_200600_302600_NS6detail15normal_iteratorINSA_10device_ptrIfEEEEPS6_SG_NS0_5tupleIJNSA_16discard_iteratorINSA_11use_defaultEEES6_EEENSH_IJSG_SG_EEES6_PlJNSB_9not_fun_tINSB_14equal_to_valueIfEEEEEEE10hipError_tPvRmT3_T4_T5_T6_T7_T9_mT8_P12ihipStream_tbDpT10_ENKUlT_T0_E_clISt17integral_constantIbLb0EES1B_EEDaS16_S17_EUlS16_E_NS1_11comp_targetILNS1_3genE8ELNS1_11target_archE1030ELNS1_3gpuE2ELNS1_3repE0EEENS1_30default_config_static_selectorELNS0_4arch9wavefront6targetE0EEEvT1_.uses_flat_scratch, 0
	.set _ZN7rocprim17ROCPRIM_400000_NS6detail17trampoline_kernelINS0_14default_configENS1_25partition_config_selectorILNS1_17partition_subalgoE6EfNS0_10empty_typeEbEEZZNS1_14partition_implILS5_6ELb0ES3_mN6thrust23THRUST_200600_302600_NS6detail15normal_iteratorINSA_10device_ptrIfEEEEPS6_SG_NS0_5tupleIJNSA_16discard_iteratorINSA_11use_defaultEEES6_EEENSH_IJSG_SG_EEES6_PlJNSB_9not_fun_tINSB_14equal_to_valueIfEEEEEEE10hipError_tPvRmT3_T4_T5_T6_T7_T9_mT8_P12ihipStream_tbDpT10_ENKUlT_T0_E_clISt17integral_constantIbLb0EES1B_EEDaS16_S17_EUlS16_E_NS1_11comp_targetILNS1_3genE8ELNS1_11target_archE1030ELNS1_3gpuE2ELNS1_3repE0EEENS1_30default_config_static_selectorELNS0_4arch9wavefront6targetE0EEEvT1_.has_dyn_sized_stack, 0
	.set _ZN7rocprim17ROCPRIM_400000_NS6detail17trampoline_kernelINS0_14default_configENS1_25partition_config_selectorILNS1_17partition_subalgoE6EfNS0_10empty_typeEbEEZZNS1_14partition_implILS5_6ELb0ES3_mN6thrust23THRUST_200600_302600_NS6detail15normal_iteratorINSA_10device_ptrIfEEEEPS6_SG_NS0_5tupleIJNSA_16discard_iteratorINSA_11use_defaultEEES6_EEENSH_IJSG_SG_EEES6_PlJNSB_9not_fun_tINSB_14equal_to_valueIfEEEEEEE10hipError_tPvRmT3_T4_T5_T6_T7_T9_mT8_P12ihipStream_tbDpT10_ENKUlT_T0_E_clISt17integral_constantIbLb0EES1B_EEDaS16_S17_EUlS16_E_NS1_11comp_targetILNS1_3genE8ELNS1_11target_archE1030ELNS1_3gpuE2ELNS1_3repE0EEENS1_30default_config_static_selectorELNS0_4arch9wavefront6targetE0EEEvT1_.has_recursion, 0
	.set _ZN7rocprim17ROCPRIM_400000_NS6detail17trampoline_kernelINS0_14default_configENS1_25partition_config_selectorILNS1_17partition_subalgoE6EfNS0_10empty_typeEbEEZZNS1_14partition_implILS5_6ELb0ES3_mN6thrust23THRUST_200600_302600_NS6detail15normal_iteratorINSA_10device_ptrIfEEEEPS6_SG_NS0_5tupleIJNSA_16discard_iteratorINSA_11use_defaultEEES6_EEENSH_IJSG_SG_EEES6_PlJNSB_9not_fun_tINSB_14equal_to_valueIfEEEEEEE10hipError_tPvRmT3_T4_T5_T6_T7_T9_mT8_P12ihipStream_tbDpT10_ENKUlT_T0_E_clISt17integral_constantIbLb0EES1B_EEDaS16_S17_EUlS16_E_NS1_11comp_targetILNS1_3genE8ELNS1_11target_archE1030ELNS1_3gpuE2ELNS1_3repE0EEENS1_30default_config_static_selectorELNS0_4arch9wavefront6targetE0EEEvT1_.has_indirect_call, 0
	.section	.AMDGPU.csdata,"",@progbits
; Kernel info:
; codeLenInByte = 0
; TotalNumSgprs: 0
; NumVgprs: 0
; ScratchSize: 0
; MemoryBound: 0
; FloatMode: 240
; IeeeMode: 1
; LDSByteSize: 0 bytes/workgroup (compile time only)
; SGPRBlocks: 0
; VGPRBlocks: 0
; NumSGPRsForWavesPerEU: 1
; NumVGPRsForWavesPerEU: 1
; Occupancy: 16
; WaveLimiterHint : 0
; COMPUTE_PGM_RSRC2:SCRATCH_EN: 0
; COMPUTE_PGM_RSRC2:USER_SGPR: 2
; COMPUTE_PGM_RSRC2:TRAP_HANDLER: 0
; COMPUTE_PGM_RSRC2:TGID_X_EN: 1
; COMPUTE_PGM_RSRC2:TGID_Y_EN: 0
; COMPUTE_PGM_RSRC2:TGID_Z_EN: 0
; COMPUTE_PGM_RSRC2:TIDIG_COMP_CNT: 0
	.section	.text._ZN7rocprim17ROCPRIM_400000_NS6detail17trampoline_kernelINS0_14default_configENS1_25partition_config_selectorILNS1_17partition_subalgoE6EfNS0_10empty_typeEbEEZZNS1_14partition_implILS5_6ELb0ES3_mN6thrust23THRUST_200600_302600_NS6detail15normal_iteratorINSA_10device_ptrIfEEEEPS6_SG_NS0_5tupleIJNSA_16discard_iteratorINSA_11use_defaultEEES6_EEENSH_IJSG_SG_EEES6_PlJNSB_9not_fun_tINSB_14equal_to_valueIfEEEEEEE10hipError_tPvRmT3_T4_T5_T6_T7_T9_mT8_P12ihipStream_tbDpT10_ENKUlT_T0_E_clISt17integral_constantIbLb1EES1B_EEDaS16_S17_EUlS16_E_NS1_11comp_targetILNS1_3genE0ELNS1_11target_archE4294967295ELNS1_3gpuE0ELNS1_3repE0EEENS1_30default_config_static_selectorELNS0_4arch9wavefront6targetE0EEEvT1_,"axG",@progbits,_ZN7rocprim17ROCPRIM_400000_NS6detail17trampoline_kernelINS0_14default_configENS1_25partition_config_selectorILNS1_17partition_subalgoE6EfNS0_10empty_typeEbEEZZNS1_14partition_implILS5_6ELb0ES3_mN6thrust23THRUST_200600_302600_NS6detail15normal_iteratorINSA_10device_ptrIfEEEEPS6_SG_NS0_5tupleIJNSA_16discard_iteratorINSA_11use_defaultEEES6_EEENSH_IJSG_SG_EEES6_PlJNSB_9not_fun_tINSB_14equal_to_valueIfEEEEEEE10hipError_tPvRmT3_T4_T5_T6_T7_T9_mT8_P12ihipStream_tbDpT10_ENKUlT_T0_E_clISt17integral_constantIbLb1EES1B_EEDaS16_S17_EUlS16_E_NS1_11comp_targetILNS1_3genE0ELNS1_11target_archE4294967295ELNS1_3gpuE0ELNS1_3repE0EEENS1_30default_config_static_selectorELNS0_4arch9wavefront6targetE0EEEvT1_,comdat
	.protected	_ZN7rocprim17ROCPRIM_400000_NS6detail17trampoline_kernelINS0_14default_configENS1_25partition_config_selectorILNS1_17partition_subalgoE6EfNS0_10empty_typeEbEEZZNS1_14partition_implILS5_6ELb0ES3_mN6thrust23THRUST_200600_302600_NS6detail15normal_iteratorINSA_10device_ptrIfEEEEPS6_SG_NS0_5tupleIJNSA_16discard_iteratorINSA_11use_defaultEEES6_EEENSH_IJSG_SG_EEES6_PlJNSB_9not_fun_tINSB_14equal_to_valueIfEEEEEEE10hipError_tPvRmT3_T4_T5_T6_T7_T9_mT8_P12ihipStream_tbDpT10_ENKUlT_T0_E_clISt17integral_constantIbLb1EES1B_EEDaS16_S17_EUlS16_E_NS1_11comp_targetILNS1_3genE0ELNS1_11target_archE4294967295ELNS1_3gpuE0ELNS1_3repE0EEENS1_30default_config_static_selectorELNS0_4arch9wavefront6targetE0EEEvT1_ ; -- Begin function _ZN7rocprim17ROCPRIM_400000_NS6detail17trampoline_kernelINS0_14default_configENS1_25partition_config_selectorILNS1_17partition_subalgoE6EfNS0_10empty_typeEbEEZZNS1_14partition_implILS5_6ELb0ES3_mN6thrust23THRUST_200600_302600_NS6detail15normal_iteratorINSA_10device_ptrIfEEEEPS6_SG_NS0_5tupleIJNSA_16discard_iteratorINSA_11use_defaultEEES6_EEENSH_IJSG_SG_EEES6_PlJNSB_9not_fun_tINSB_14equal_to_valueIfEEEEEEE10hipError_tPvRmT3_T4_T5_T6_T7_T9_mT8_P12ihipStream_tbDpT10_ENKUlT_T0_E_clISt17integral_constantIbLb1EES1B_EEDaS16_S17_EUlS16_E_NS1_11comp_targetILNS1_3genE0ELNS1_11target_archE4294967295ELNS1_3gpuE0ELNS1_3repE0EEENS1_30default_config_static_selectorELNS0_4arch9wavefront6targetE0EEEvT1_
	.globl	_ZN7rocprim17ROCPRIM_400000_NS6detail17trampoline_kernelINS0_14default_configENS1_25partition_config_selectorILNS1_17partition_subalgoE6EfNS0_10empty_typeEbEEZZNS1_14partition_implILS5_6ELb0ES3_mN6thrust23THRUST_200600_302600_NS6detail15normal_iteratorINSA_10device_ptrIfEEEEPS6_SG_NS0_5tupleIJNSA_16discard_iteratorINSA_11use_defaultEEES6_EEENSH_IJSG_SG_EEES6_PlJNSB_9not_fun_tINSB_14equal_to_valueIfEEEEEEE10hipError_tPvRmT3_T4_T5_T6_T7_T9_mT8_P12ihipStream_tbDpT10_ENKUlT_T0_E_clISt17integral_constantIbLb1EES1B_EEDaS16_S17_EUlS16_E_NS1_11comp_targetILNS1_3genE0ELNS1_11target_archE4294967295ELNS1_3gpuE0ELNS1_3repE0EEENS1_30default_config_static_selectorELNS0_4arch9wavefront6targetE0EEEvT1_
	.p2align	8
	.type	_ZN7rocprim17ROCPRIM_400000_NS6detail17trampoline_kernelINS0_14default_configENS1_25partition_config_selectorILNS1_17partition_subalgoE6EfNS0_10empty_typeEbEEZZNS1_14partition_implILS5_6ELb0ES3_mN6thrust23THRUST_200600_302600_NS6detail15normal_iteratorINSA_10device_ptrIfEEEEPS6_SG_NS0_5tupleIJNSA_16discard_iteratorINSA_11use_defaultEEES6_EEENSH_IJSG_SG_EEES6_PlJNSB_9not_fun_tINSB_14equal_to_valueIfEEEEEEE10hipError_tPvRmT3_T4_T5_T6_T7_T9_mT8_P12ihipStream_tbDpT10_ENKUlT_T0_E_clISt17integral_constantIbLb1EES1B_EEDaS16_S17_EUlS16_E_NS1_11comp_targetILNS1_3genE0ELNS1_11target_archE4294967295ELNS1_3gpuE0ELNS1_3repE0EEENS1_30default_config_static_selectorELNS0_4arch9wavefront6targetE0EEEvT1_,@function
_ZN7rocprim17ROCPRIM_400000_NS6detail17trampoline_kernelINS0_14default_configENS1_25partition_config_selectorILNS1_17partition_subalgoE6EfNS0_10empty_typeEbEEZZNS1_14partition_implILS5_6ELb0ES3_mN6thrust23THRUST_200600_302600_NS6detail15normal_iteratorINSA_10device_ptrIfEEEEPS6_SG_NS0_5tupleIJNSA_16discard_iteratorINSA_11use_defaultEEES6_EEENSH_IJSG_SG_EEES6_PlJNSB_9not_fun_tINSB_14equal_to_valueIfEEEEEEE10hipError_tPvRmT3_T4_T5_T6_T7_T9_mT8_P12ihipStream_tbDpT10_ENKUlT_T0_E_clISt17integral_constantIbLb1EES1B_EEDaS16_S17_EUlS16_E_NS1_11comp_targetILNS1_3genE0ELNS1_11target_archE4294967295ELNS1_3gpuE0ELNS1_3repE0EEENS1_30default_config_static_selectorELNS0_4arch9wavefront6targetE0EEEvT1_: ; @_ZN7rocprim17ROCPRIM_400000_NS6detail17trampoline_kernelINS0_14default_configENS1_25partition_config_selectorILNS1_17partition_subalgoE6EfNS0_10empty_typeEbEEZZNS1_14partition_implILS5_6ELb0ES3_mN6thrust23THRUST_200600_302600_NS6detail15normal_iteratorINSA_10device_ptrIfEEEEPS6_SG_NS0_5tupleIJNSA_16discard_iteratorINSA_11use_defaultEEES6_EEENSH_IJSG_SG_EEES6_PlJNSB_9not_fun_tINSB_14equal_to_valueIfEEEEEEE10hipError_tPvRmT3_T4_T5_T6_T7_T9_mT8_P12ihipStream_tbDpT10_ENKUlT_T0_E_clISt17integral_constantIbLb1EES1B_EEDaS16_S17_EUlS16_E_NS1_11comp_targetILNS1_3genE0ELNS1_11target_archE4294967295ELNS1_3gpuE0ELNS1_3repE0EEENS1_30default_config_static_selectorELNS0_4arch9wavefront6targetE0EEEvT1_
; %bb.0:
	.section	.rodata,"a",@progbits
	.p2align	6, 0x0
	.amdhsa_kernel _ZN7rocprim17ROCPRIM_400000_NS6detail17trampoline_kernelINS0_14default_configENS1_25partition_config_selectorILNS1_17partition_subalgoE6EfNS0_10empty_typeEbEEZZNS1_14partition_implILS5_6ELb0ES3_mN6thrust23THRUST_200600_302600_NS6detail15normal_iteratorINSA_10device_ptrIfEEEEPS6_SG_NS0_5tupleIJNSA_16discard_iteratorINSA_11use_defaultEEES6_EEENSH_IJSG_SG_EEES6_PlJNSB_9not_fun_tINSB_14equal_to_valueIfEEEEEEE10hipError_tPvRmT3_T4_T5_T6_T7_T9_mT8_P12ihipStream_tbDpT10_ENKUlT_T0_E_clISt17integral_constantIbLb1EES1B_EEDaS16_S17_EUlS16_E_NS1_11comp_targetILNS1_3genE0ELNS1_11target_archE4294967295ELNS1_3gpuE0ELNS1_3repE0EEENS1_30default_config_static_selectorELNS0_4arch9wavefront6targetE0EEEvT1_
		.amdhsa_group_segment_fixed_size 0
		.amdhsa_private_segment_fixed_size 0
		.amdhsa_kernarg_size 136
		.amdhsa_user_sgpr_count 2
		.amdhsa_user_sgpr_dispatch_ptr 0
		.amdhsa_user_sgpr_queue_ptr 0
		.amdhsa_user_sgpr_kernarg_segment_ptr 1
		.amdhsa_user_sgpr_dispatch_id 0
		.amdhsa_user_sgpr_private_segment_size 0
		.amdhsa_wavefront_size32 1
		.amdhsa_uses_dynamic_stack 0
		.amdhsa_enable_private_segment 0
		.amdhsa_system_sgpr_workgroup_id_x 1
		.amdhsa_system_sgpr_workgroup_id_y 0
		.amdhsa_system_sgpr_workgroup_id_z 0
		.amdhsa_system_sgpr_workgroup_info 0
		.amdhsa_system_vgpr_workitem_id 0
		.amdhsa_next_free_vgpr 1
		.amdhsa_next_free_sgpr 1
		.amdhsa_reserve_vcc 0
		.amdhsa_float_round_mode_32 0
		.amdhsa_float_round_mode_16_64 0
		.amdhsa_float_denorm_mode_32 3
		.amdhsa_float_denorm_mode_16_64 3
		.amdhsa_fp16_overflow 0
		.amdhsa_workgroup_processor_mode 1
		.amdhsa_memory_ordered 1
		.amdhsa_forward_progress 1
		.amdhsa_inst_pref_size 0
		.amdhsa_round_robin_scheduling 0
		.amdhsa_exception_fp_ieee_invalid_op 0
		.amdhsa_exception_fp_denorm_src 0
		.amdhsa_exception_fp_ieee_div_zero 0
		.amdhsa_exception_fp_ieee_overflow 0
		.amdhsa_exception_fp_ieee_underflow 0
		.amdhsa_exception_fp_ieee_inexact 0
		.amdhsa_exception_int_div_zero 0
	.end_amdhsa_kernel
	.section	.text._ZN7rocprim17ROCPRIM_400000_NS6detail17trampoline_kernelINS0_14default_configENS1_25partition_config_selectorILNS1_17partition_subalgoE6EfNS0_10empty_typeEbEEZZNS1_14partition_implILS5_6ELb0ES3_mN6thrust23THRUST_200600_302600_NS6detail15normal_iteratorINSA_10device_ptrIfEEEEPS6_SG_NS0_5tupleIJNSA_16discard_iteratorINSA_11use_defaultEEES6_EEENSH_IJSG_SG_EEES6_PlJNSB_9not_fun_tINSB_14equal_to_valueIfEEEEEEE10hipError_tPvRmT3_T4_T5_T6_T7_T9_mT8_P12ihipStream_tbDpT10_ENKUlT_T0_E_clISt17integral_constantIbLb1EES1B_EEDaS16_S17_EUlS16_E_NS1_11comp_targetILNS1_3genE0ELNS1_11target_archE4294967295ELNS1_3gpuE0ELNS1_3repE0EEENS1_30default_config_static_selectorELNS0_4arch9wavefront6targetE0EEEvT1_,"axG",@progbits,_ZN7rocprim17ROCPRIM_400000_NS6detail17trampoline_kernelINS0_14default_configENS1_25partition_config_selectorILNS1_17partition_subalgoE6EfNS0_10empty_typeEbEEZZNS1_14partition_implILS5_6ELb0ES3_mN6thrust23THRUST_200600_302600_NS6detail15normal_iteratorINSA_10device_ptrIfEEEEPS6_SG_NS0_5tupleIJNSA_16discard_iteratorINSA_11use_defaultEEES6_EEENSH_IJSG_SG_EEES6_PlJNSB_9not_fun_tINSB_14equal_to_valueIfEEEEEEE10hipError_tPvRmT3_T4_T5_T6_T7_T9_mT8_P12ihipStream_tbDpT10_ENKUlT_T0_E_clISt17integral_constantIbLb1EES1B_EEDaS16_S17_EUlS16_E_NS1_11comp_targetILNS1_3genE0ELNS1_11target_archE4294967295ELNS1_3gpuE0ELNS1_3repE0EEENS1_30default_config_static_selectorELNS0_4arch9wavefront6targetE0EEEvT1_,comdat
.Lfunc_end1605:
	.size	_ZN7rocprim17ROCPRIM_400000_NS6detail17trampoline_kernelINS0_14default_configENS1_25partition_config_selectorILNS1_17partition_subalgoE6EfNS0_10empty_typeEbEEZZNS1_14partition_implILS5_6ELb0ES3_mN6thrust23THRUST_200600_302600_NS6detail15normal_iteratorINSA_10device_ptrIfEEEEPS6_SG_NS0_5tupleIJNSA_16discard_iteratorINSA_11use_defaultEEES6_EEENSH_IJSG_SG_EEES6_PlJNSB_9not_fun_tINSB_14equal_to_valueIfEEEEEEE10hipError_tPvRmT3_T4_T5_T6_T7_T9_mT8_P12ihipStream_tbDpT10_ENKUlT_T0_E_clISt17integral_constantIbLb1EES1B_EEDaS16_S17_EUlS16_E_NS1_11comp_targetILNS1_3genE0ELNS1_11target_archE4294967295ELNS1_3gpuE0ELNS1_3repE0EEENS1_30default_config_static_selectorELNS0_4arch9wavefront6targetE0EEEvT1_, .Lfunc_end1605-_ZN7rocprim17ROCPRIM_400000_NS6detail17trampoline_kernelINS0_14default_configENS1_25partition_config_selectorILNS1_17partition_subalgoE6EfNS0_10empty_typeEbEEZZNS1_14partition_implILS5_6ELb0ES3_mN6thrust23THRUST_200600_302600_NS6detail15normal_iteratorINSA_10device_ptrIfEEEEPS6_SG_NS0_5tupleIJNSA_16discard_iteratorINSA_11use_defaultEEES6_EEENSH_IJSG_SG_EEES6_PlJNSB_9not_fun_tINSB_14equal_to_valueIfEEEEEEE10hipError_tPvRmT3_T4_T5_T6_T7_T9_mT8_P12ihipStream_tbDpT10_ENKUlT_T0_E_clISt17integral_constantIbLb1EES1B_EEDaS16_S17_EUlS16_E_NS1_11comp_targetILNS1_3genE0ELNS1_11target_archE4294967295ELNS1_3gpuE0ELNS1_3repE0EEENS1_30default_config_static_selectorELNS0_4arch9wavefront6targetE0EEEvT1_
                                        ; -- End function
	.set _ZN7rocprim17ROCPRIM_400000_NS6detail17trampoline_kernelINS0_14default_configENS1_25partition_config_selectorILNS1_17partition_subalgoE6EfNS0_10empty_typeEbEEZZNS1_14partition_implILS5_6ELb0ES3_mN6thrust23THRUST_200600_302600_NS6detail15normal_iteratorINSA_10device_ptrIfEEEEPS6_SG_NS0_5tupleIJNSA_16discard_iteratorINSA_11use_defaultEEES6_EEENSH_IJSG_SG_EEES6_PlJNSB_9not_fun_tINSB_14equal_to_valueIfEEEEEEE10hipError_tPvRmT3_T4_T5_T6_T7_T9_mT8_P12ihipStream_tbDpT10_ENKUlT_T0_E_clISt17integral_constantIbLb1EES1B_EEDaS16_S17_EUlS16_E_NS1_11comp_targetILNS1_3genE0ELNS1_11target_archE4294967295ELNS1_3gpuE0ELNS1_3repE0EEENS1_30default_config_static_selectorELNS0_4arch9wavefront6targetE0EEEvT1_.num_vgpr, 0
	.set _ZN7rocprim17ROCPRIM_400000_NS6detail17trampoline_kernelINS0_14default_configENS1_25partition_config_selectorILNS1_17partition_subalgoE6EfNS0_10empty_typeEbEEZZNS1_14partition_implILS5_6ELb0ES3_mN6thrust23THRUST_200600_302600_NS6detail15normal_iteratorINSA_10device_ptrIfEEEEPS6_SG_NS0_5tupleIJNSA_16discard_iteratorINSA_11use_defaultEEES6_EEENSH_IJSG_SG_EEES6_PlJNSB_9not_fun_tINSB_14equal_to_valueIfEEEEEEE10hipError_tPvRmT3_T4_T5_T6_T7_T9_mT8_P12ihipStream_tbDpT10_ENKUlT_T0_E_clISt17integral_constantIbLb1EES1B_EEDaS16_S17_EUlS16_E_NS1_11comp_targetILNS1_3genE0ELNS1_11target_archE4294967295ELNS1_3gpuE0ELNS1_3repE0EEENS1_30default_config_static_selectorELNS0_4arch9wavefront6targetE0EEEvT1_.num_agpr, 0
	.set _ZN7rocprim17ROCPRIM_400000_NS6detail17trampoline_kernelINS0_14default_configENS1_25partition_config_selectorILNS1_17partition_subalgoE6EfNS0_10empty_typeEbEEZZNS1_14partition_implILS5_6ELb0ES3_mN6thrust23THRUST_200600_302600_NS6detail15normal_iteratorINSA_10device_ptrIfEEEEPS6_SG_NS0_5tupleIJNSA_16discard_iteratorINSA_11use_defaultEEES6_EEENSH_IJSG_SG_EEES6_PlJNSB_9not_fun_tINSB_14equal_to_valueIfEEEEEEE10hipError_tPvRmT3_T4_T5_T6_T7_T9_mT8_P12ihipStream_tbDpT10_ENKUlT_T0_E_clISt17integral_constantIbLb1EES1B_EEDaS16_S17_EUlS16_E_NS1_11comp_targetILNS1_3genE0ELNS1_11target_archE4294967295ELNS1_3gpuE0ELNS1_3repE0EEENS1_30default_config_static_selectorELNS0_4arch9wavefront6targetE0EEEvT1_.numbered_sgpr, 0
	.set _ZN7rocprim17ROCPRIM_400000_NS6detail17trampoline_kernelINS0_14default_configENS1_25partition_config_selectorILNS1_17partition_subalgoE6EfNS0_10empty_typeEbEEZZNS1_14partition_implILS5_6ELb0ES3_mN6thrust23THRUST_200600_302600_NS6detail15normal_iteratorINSA_10device_ptrIfEEEEPS6_SG_NS0_5tupleIJNSA_16discard_iteratorINSA_11use_defaultEEES6_EEENSH_IJSG_SG_EEES6_PlJNSB_9not_fun_tINSB_14equal_to_valueIfEEEEEEE10hipError_tPvRmT3_T4_T5_T6_T7_T9_mT8_P12ihipStream_tbDpT10_ENKUlT_T0_E_clISt17integral_constantIbLb1EES1B_EEDaS16_S17_EUlS16_E_NS1_11comp_targetILNS1_3genE0ELNS1_11target_archE4294967295ELNS1_3gpuE0ELNS1_3repE0EEENS1_30default_config_static_selectorELNS0_4arch9wavefront6targetE0EEEvT1_.num_named_barrier, 0
	.set _ZN7rocprim17ROCPRIM_400000_NS6detail17trampoline_kernelINS0_14default_configENS1_25partition_config_selectorILNS1_17partition_subalgoE6EfNS0_10empty_typeEbEEZZNS1_14partition_implILS5_6ELb0ES3_mN6thrust23THRUST_200600_302600_NS6detail15normal_iteratorINSA_10device_ptrIfEEEEPS6_SG_NS0_5tupleIJNSA_16discard_iteratorINSA_11use_defaultEEES6_EEENSH_IJSG_SG_EEES6_PlJNSB_9not_fun_tINSB_14equal_to_valueIfEEEEEEE10hipError_tPvRmT3_T4_T5_T6_T7_T9_mT8_P12ihipStream_tbDpT10_ENKUlT_T0_E_clISt17integral_constantIbLb1EES1B_EEDaS16_S17_EUlS16_E_NS1_11comp_targetILNS1_3genE0ELNS1_11target_archE4294967295ELNS1_3gpuE0ELNS1_3repE0EEENS1_30default_config_static_selectorELNS0_4arch9wavefront6targetE0EEEvT1_.private_seg_size, 0
	.set _ZN7rocprim17ROCPRIM_400000_NS6detail17trampoline_kernelINS0_14default_configENS1_25partition_config_selectorILNS1_17partition_subalgoE6EfNS0_10empty_typeEbEEZZNS1_14partition_implILS5_6ELb0ES3_mN6thrust23THRUST_200600_302600_NS6detail15normal_iteratorINSA_10device_ptrIfEEEEPS6_SG_NS0_5tupleIJNSA_16discard_iteratorINSA_11use_defaultEEES6_EEENSH_IJSG_SG_EEES6_PlJNSB_9not_fun_tINSB_14equal_to_valueIfEEEEEEE10hipError_tPvRmT3_T4_T5_T6_T7_T9_mT8_P12ihipStream_tbDpT10_ENKUlT_T0_E_clISt17integral_constantIbLb1EES1B_EEDaS16_S17_EUlS16_E_NS1_11comp_targetILNS1_3genE0ELNS1_11target_archE4294967295ELNS1_3gpuE0ELNS1_3repE0EEENS1_30default_config_static_selectorELNS0_4arch9wavefront6targetE0EEEvT1_.uses_vcc, 0
	.set _ZN7rocprim17ROCPRIM_400000_NS6detail17trampoline_kernelINS0_14default_configENS1_25partition_config_selectorILNS1_17partition_subalgoE6EfNS0_10empty_typeEbEEZZNS1_14partition_implILS5_6ELb0ES3_mN6thrust23THRUST_200600_302600_NS6detail15normal_iteratorINSA_10device_ptrIfEEEEPS6_SG_NS0_5tupleIJNSA_16discard_iteratorINSA_11use_defaultEEES6_EEENSH_IJSG_SG_EEES6_PlJNSB_9not_fun_tINSB_14equal_to_valueIfEEEEEEE10hipError_tPvRmT3_T4_T5_T6_T7_T9_mT8_P12ihipStream_tbDpT10_ENKUlT_T0_E_clISt17integral_constantIbLb1EES1B_EEDaS16_S17_EUlS16_E_NS1_11comp_targetILNS1_3genE0ELNS1_11target_archE4294967295ELNS1_3gpuE0ELNS1_3repE0EEENS1_30default_config_static_selectorELNS0_4arch9wavefront6targetE0EEEvT1_.uses_flat_scratch, 0
	.set _ZN7rocprim17ROCPRIM_400000_NS6detail17trampoline_kernelINS0_14default_configENS1_25partition_config_selectorILNS1_17partition_subalgoE6EfNS0_10empty_typeEbEEZZNS1_14partition_implILS5_6ELb0ES3_mN6thrust23THRUST_200600_302600_NS6detail15normal_iteratorINSA_10device_ptrIfEEEEPS6_SG_NS0_5tupleIJNSA_16discard_iteratorINSA_11use_defaultEEES6_EEENSH_IJSG_SG_EEES6_PlJNSB_9not_fun_tINSB_14equal_to_valueIfEEEEEEE10hipError_tPvRmT3_T4_T5_T6_T7_T9_mT8_P12ihipStream_tbDpT10_ENKUlT_T0_E_clISt17integral_constantIbLb1EES1B_EEDaS16_S17_EUlS16_E_NS1_11comp_targetILNS1_3genE0ELNS1_11target_archE4294967295ELNS1_3gpuE0ELNS1_3repE0EEENS1_30default_config_static_selectorELNS0_4arch9wavefront6targetE0EEEvT1_.has_dyn_sized_stack, 0
	.set _ZN7rocprim17ROCPRIM_400000_NS6detail17trampoline_kernelINS0_14default_configENS1_25partition_config_selectorILNS1_17partition_subalgoE6EfNS0_10empty_typeEbEEZZNS1_14partition_implILS5_6ELb0ES3_mN6thrust23THRUST_200600_302600_NS6detail15normal_iteratorINSA_10device_ptrIfEEEEPS6_SG_NS0_5tupleIJNSA_16discard_iteratorINSA_11use_defaultEEES6_EEENSH_IJSG_SG_EEES6_PlJNSB_9not_fun_tINSB_14equal_to_valueIfEEEEEEE10hipError_tPvRmT3_T4_T5_T6_T7_T9_mT8_P12ihipStream_tbDpT10_ENKUlT_T0_E_clISt17integral_constantIbLb1EES1B_EEDaS16_S17_EUlS16_E_NS1_11comp_targetILNS1_3genE0ELNS1_11target_archE4294967295ELNS1_3gpuE0ELNS1_3repE0EEENS1_30default_config_static_selectorELNS0_4arch9wavefront6targetE0EEEvT1_.has_recursion, 0
	.set _ZN7rocprim17ROCPRIM_400000_NS6detail17trampoline_kernelINS0_14default_configENS1_25partition_config_selectorILNS1_17partition_subalgoE6EfNS0_10empty_typeEbEEZZNS1_14partition_implILS5_6ELb0ES3_mN6thrust23THRUST_200600_302600_NS6detail15normal_iteratorINSA_10device_ptrIfEEEEPS6_SG_NS0_5tupleIJNSA_16discard_iteratorINSA_11use_defaultEEES6_EEENSH_IJSG_SG_EEES6_PlJNSB_9not_fun_tINSB_14equal_to_valueIfEEEEEEE10hipError_tPvRmT3_T4_T5_T6_T7_T9_mT8_P12ihipStream_tbDpT10_ENKUlT_T0_E_clISt17integral_constantIbLb1EES1B_EEDaS16_S17_EUlS16_E_NS1_11comp_targetILNS1_3genE0ELNS1_11target_archE4294967295ELNS1_3gpuE0ELNS1_3repE0EEENS1_30default_config_static_selectorELNS0_4arch9wavefront6targetE0EEEvT1_.has_indirect_call, 0
	.section	.AMDGPU.csdata,"",@progbits
; Kernel info:
; codeLenInByte = 0
; TotalNumSgprs: 0
; NumVgprs: 0
; ScratchSize: 0
; MemoryBound: 0
; FloatMode: 240
; IeeeMode: 1
; LDSByteSize: 0 bytes/workgroup (compile time only)
; SGPRBlocks: 0
; VGPRBlocks: 0
; NumSGPRsForWavesPerEU: 1
; NumVGPRsForWavesPerEU: 1
; Occupancy: 16
; WaveLimiterHint : 0
; COMPUTE_PGM_RSRC2:SCRATCH_EN: 0
; COMPUTE_PGM_RSRC2:USER_SGPR: 2
; COMPUTE_PGM_RSRC2:TRAP_HANDLER: 0
; COMPUTE_PGM_RSRC2:TGID_X_EN: 1
; COMPUTE_PGM_RSRC2:TGID_Y_EN: 0
; COMPUTE_PGM_RSRC2:TGID_Z_EN: 0
; COMPUTE_PGM_RSRC2:TIDIG_COMP_CNT: 0
	.section	.text._ZN7rocprim17ROCPRIM_400000_NS6detail17trampoline_kernelINS0_14default_configENS1_25partition_config_selectorILNS1_17partition_subalgoE6EfNS0_10empty_typeEbEEZZNS1_14partition_implILS5_6ELb0ES3_mN6thrust23THRUST_200600_302600_NS6detail15normal_iteratorINSA_10device_ptrIfEEEEPS6_SG_NS0_5tupleIJNSA_16discard_iteratorINSA_11use_defaultEEES6_EEENSH_IJSG_SG_EEES6_PlJNSB_9not_fun_tINSB_14equal_to_valueIfEEEEEEE10hipError_tPvRmT3_T4_T5_T6_T7_T9_mT8_P12ihipStream_tbDpT10_ENKUlT_T0_E_clISt17integral_constantIbLb1EES1B_EEDaS16_S17_EUlS16_E_NS1_11comp_targetILNS1_3genE5ELNS1_11target_archE942ELNS1_3gpuE9ELNS1_3repE0EEENS1_30default_config_static_selectorELNS0_4arch9wavefront6targetE0EEEvT1_,"axG",@progbits,_ZN7rocprim17ROCPRIM_400000_NS6detail17trampoline_kernelINS0_14default_configENS1_25partition_config_selectorILNS1_17partition_subalgoE6EfNS0_10empty_typeEbEEZZNS1_14partition_implILS5_6ELb0ES3_mN6thrust23THRUST_200600_302600_NS6detail15normal_iteratorINSA_10device_ptrIfEEEEPS6_SG_NS0_5tupleIJNSA_16discard_iteratorINSA_11use_defaultEEES6_EEENSH_IJSG_SG_EEES6_PlJNSB_9not_fun_tINSB_14equal_to_valueIfEEEEEEE10hipError_tPvRmT3_T4_T5_T6_T7_T9_mT8_P12ihipStream_tbDpT10_ENKUlT_T0_E_clISt17integral_constantIbLb1EES1B_EEDaS16_S17_EUlS16_E_NS1_11comp_targetILNS1_3genE5ELNS1_11target_archE942ELNS1_3gpuE9ELNS1_3repE0EEENS1_30default_config_static_selectorELNS0_4arch9wavefront6targetE0EEEvT1_,comdat
	.protected	_ZN7rocprim17ROCPRIM_400000_NS6detail17trampoline_kernelINS0_14default_configENS1_25partition_config_selectorILNS1_17partition_subalgoE6EfNS0_10empty_typeEbEEZZNS1_14partition_implILS5_6ELb0ES3_mN6thrust23THRUST_200600_302600_NS6detail15normal_iteratorINSA_10device_ptrIfEEEEPS6_SG_NS0_5tupleIJNSA_16discard_iteratorINSA_11use_defaultEEES6_EEENSH_IJSG_SG_EEES6_PlJNSB_9not_fun_tINSB_14equal_to_valueIfEEEEEEE10hipError_tPvRmT3_T4_T5_T6_T7_T9_mT8_P12ihipStream_tbDpT10_ENKUlT_T0_E_clISt17integral_constantIbLb1EES1B_EEDaS16_S17_EUlS16_E_NS1_11comp_targetILNS1_3genE5ELNS1_11target_archE942ELNS1_3gpuE9ELNS1_3repE0EEENS1_30default_config_static_selectorELNS0_4arch9wavefront6targetE0EEEvT1_ ; -- Begin function _ZN7rocprim17ROCPRIM_400000_NS6detail17trampoline_kernelINS0_14default_configENS1_25partition_config_selectorILNS1_17partition_subalgoE6EfNS0_10empty_typeEbEEZZNS1_14partition_implILS5_6ELb0ES3_mN6thrust23THRUST_200600_302600_NS6detail15normal_iteratorINSA_10device_ptrIfEEEEPS6_SG_NS0_5tupleIJNSA_16discard_iteratorINSA_11use_defaultEEES6_EEENSH_IJSG_SG_EEES6_PlJNSB_9not_fun_tINSB_14equal_to_valueIfEEEEEEE10hipError_tPvRmT3_T4_T5_T6_T7_T9_mT8_P12ihipStream_tbDpT10_ENKUlT_T0_E_clISt17integral_constantIbLb1EES1B_EEDaS16_S17_EUlS16_E_NS1_11comp_targetILNS1_3genE5ELNS1_11target_archE942ELNS1_3gpuE9ELNS1_3repE0EEENS1_30default_config_static_selectorELNS0_4arch9wavefront6targetE0EEEvT1_
	.globl	_ZN7rocprim17ROCPRIM_400000_NS6detail17trampoline_kernelINS0_14default_configENS1_25partition_config_selectorILNS1_17partition_subalgoE6EfNS0_10empty_typeEbEEZZNS1_14partition_implILS5_6ELb0ES3_mN6thrust23THRUST_200600_302600_NS6detail15normal_iteratorINSA_10device_ptrIfEEEEPS6_SG_NS0_5tupleIJNSA_16discard_iteratorINSA_11use_defaultEEES6_EEENSH_IJSG_SG_EEES6_PlJNSB_9not_fun_tINSB_14equal_to_valueIfEEEEEEE10hipError_tPvRmT3_T4_T5_T6_T7_T9_mT8_P12ihipStream_tbDpT10_ENKUlT_T0_E_clISt17integral_constantIbLb1EES1B_EEDaS16_S17_EUlS16_E_NS1_11comp_targetILNS1_3genE5ELNS1_11target_archE942ELNS1_3gpuE9ELNS1_3repE0EEENS1_30default_config_static_selectorELNS0_4arch9wavefront6targetE0EEEvT1_
	.p2align	8
	.type	_ZN7rocprim17ROCPRIM_400000_NS6detail17trampoline_kernelINS0_14default_configENS1_25partition_config_selectorILNS1_17partition_subalgoE6EfNS0_10empty_typeEbEEZZNS1_14partition_implILS5_6ELb0ES3_mN6thrust23THRUST_200600_302600_NS6detail15normal_iteratorINSA_10device_ptrIfEEEEPS6_SG_NS0_5tupleIJNSA_16discard_iteratorINSA_11use_defaultEEES6_EEENSH_IJSG_SG_EEES6_PlJNSB_9not_fun_tINSB_14equal_to_valueIfEEEEEEE10hipError_tPvRmT3_T4_T5_T6_T7_T9_mT8_P12ihipStream_tbDpT10_ENKUlT_T0_E_clISt17integral_constantIbLb1EES1B_EEDaS16_S17_EUlS16_E_NS1_11comp_targetILNS1_3genE5ELNS1_11target_archE942ELNS1_3gpuE9ELNS1_3repE0EEENS1_30default_config_static_selectorELNS0_4arch9wavefront6targetE0EEEvT1_,@function
_ZN7rocprim17ROCPRIM_400000_NS6detail17trampoline_kernelINS0_14default_configENS1_25partition_config_selectorILNS1_17partition_subalgoE6EfNS0_10empty_typeEbEEZZNS1_14partition_implILS5_6ELb0ES3_mN6thrust23THRUST_200600_302600_NS6detail15normal_iteratorINSA_10device_ptrIfEEEEPS6_SG_NS0_5tupleIJNSA_16discard_iteratorINSA_11use_defaultEEES6_EEENSH_IJSG_SG_EEES6_PlJNSB_9not_fun_tINSB_14equal_to_valueIfEEEEEEE10hipError_tPvRmT3_T4_T5_T6_T7_T9_mT8_P12ihipStream_tbDpT10_ENKUlT_T0_E_clISt17integral_constantIbLb1EES1B_EEDaS16_S17_EUlS16_E_NS1_11comp_targetILNS1_3genE5ELNS1_11target_archE942ELNS1_3gpuE9ELNS1_3repE0EEENS1_30default_config_static_selectorELNS0_4arch9wavefront6targetE0EEEvT1_: ; @_ZN7rocprim17ROCPRIM_400000_NS6detail17trampoline_kernelINS0_14default_configENS1_25partition_config_selectorILNS1_17partition_subalgoE6EfNS0_10empty_typeEbEEZZNS1_14partition_implILS5_6ELb0ES3_mN6thrust23THRUST_200600_302600_NS6detail15normal_iteratorINSA_10device_ptrIfEEEEPS6_SG_NS0_5tupleIJNSA_16discard_iteratorINSA_11use_defaultEEES6_EEENSH_IJSG_SG_EEES6_PlJNSB_9not_fun_tINSB_14equal_to_valueIfEEEEEEE10hipError_tPvRmT3_T4_T5_T6_T7_T9_mT8_P12ihipStream_tbDpT10_ENKUlT_T0_E_clISt17integral_constantIbLb1EES1B_EEDaS16_S17_EUlS16_E_NS1_11comp_targetILNS1_3genE5ELNS1_11target_archE942ELNS1_3gpuE9ELNS1_3repE0EEENS1_30default_config_static_selectorELNS0_4arch9wavefront6targetE0EEEvT1_
; %bb.0:
	.section	.rodata,"a",@progbits
	.p2align	6, 0x0
	.amdhsa_kernel _ZN7rocprim17ROCPRIM_400000_NS6detail17trampoline_kernelINS0_14default_configENS1_25partition_config_selectorILNS1_17partition_subalgoE6EfNS0_10empty_typeEbEEZZNS1_14partition_implILS5_6ELb0ES3_mN6thrust23THRUST_200600_302600_NS6detail15normal_iteratorINSA_10device_ptrIfEEEEPS6_SG_NS0_5tupleIJNSA_16discard_iteratorINSA_11use_defaultEEES6_EEENSH_IJSG_SG_EEES6_PlJNSB_9not_fun_tINSB_14equal_to_valueIfEEEEEEE10hipError_tPvRmT3_T4_T5_T6_T7_T9_mT8_P12ihipStream_tbDpT10_ENKUlT_T0_E_clISt17integral_constantIbLb1EES1B_EEDaS16_S17_EUlS16_E_NS1_11comp_targetILNS1_3genE5ELNS1_11target_archE942ELNS1_3gpuE9ELNS1_3repE0EEENS1_30default_config_static_selectorELNS0_4arch9wavefront6targetE0EEEvT1_
		.amdhsa_group_segment_fixed_size 0
		.amdhsa_private_segment_fixed_size 0
		.amdhsa_kernarg_size 136
		.amdhsa_user_sgpr_count 2
		.amdhsa_user_sgpr_dispatch_ptr 0
		.amdhsa_user_sgpr_queue_ptr 0
		.amdhsa_user_sgpr_kernarg_segment_ptr 1
		.amdhsa_user_sgpr_dispatch_id 0
		.amdhsa_user_sgpr_private_segment_size 0
		.amdhsa_wavefront_size32 1
		.amdhsa_uses_dynamic_stack 0
		.amdhsa_enable_private_segment 0
		.amdhsa_system_sgpr_workgroup_id_x 1
		.amdhsa_system_sgpr_workgroup_id_y 0
		.amdhsa_system_sgpr_workgroup_id_z 0
		.amdhsa_system_sgpr_workgroup_info 0
		.amdhsa_system_vgpr_workitem_id 0
		.amdhsa_next_free_vgpr 1
		.amdhsa_next_free_sgpr 1
		.amdhsa_reserve_vcc 0
		.amdhsa_float_round_mode_32 0
		.amdhsa_float_round_mode_16_64 0
		.amdhsa_float_denorm_mode_32 3
		.amdhsa_float_denorm_mode_16_64 3
		.amdhsa_fp16_overflow 0
		.amdhsa_workgroup_processor_mode 1
		.amdhsa_memory_ordered 1
		.amdhsa_forward_progress 1
		.amdhsa_inst_pref_size 0
		.amdhsa_round_robin_scheduling 0
		.amdhsa_exception_fp_ieee_invalid_op 0
		.amdhsa_exception_fp_denorm_src 0
		.amdhsa_exception_fp_ieee_div_zero 0
		.amdhsa_exception_fp_ieee_overflow 0
		.amdhsa_exception_fp_ieee_underflow 0
		.amdhsa_exception_fp_ieee_inexact 0
		.amdhsa_exception_int_div_zero 0
	.end_amdhsa_kernel
	.section	.text._ZN7rocprim17ROCPRIM_400000_NS6detail17trampoline_kernelINS0_14default_configENS1_25partition_config_selectorILNS1_17partition_subalgoE6EfNS0_10empty_typeEbEEZZNS1_14partition_implILS5_6ELb0ES3_mN6thrust23THRUST_200600_302600_NS6detail15normal_iteratorINSA_10device_ptrIfEEEEPS6_SG_NS0_5tupleIJNSA_16discard_iteratorINSA_11use_defaultEEES6_EEENSH_IJSG_SG_EEES6_PlJNSB_9not_fun_tINSB_14equal_to_valueIfEEEEEEE10hipError_tPvRmT3_T4_T5_T6_T7_T9_mT8_P12ihipStream_tbDpT10_ENKUlT_T0_E_clISt17integral_constantIbLb1EES1B_EEDaS16_S17_EUlS16_E_NS1_11comp_targetILNS1_3genE5ELNS1_11target_archE942ELNS1_3gpuE9ELNS1_3repE0EEENS1_30default_config_static_selectorELNS0_4arch9wavefront6targetE0EEEvT1_,"axG",@progbits,_ZN7rocprim17ROCPRIM_400000_NS6detail17trampoline_kernelINS0_14default_configENS1_25partition_config_selectorILNS1_17partition_subalgoE6EfNS0_10empty_typeEbEEZZNS1_14partition_implILS5_6ELb0ES3_mN6thrust23THRUST_200600_302600_NS6detail15normal_iteratorINSA_10device_ptrIfEEEEPS6_SG_NS0_5tupleIJNSA_16discard_iteratorINSA_11use_defaultEEES6_EEENSH_IJSG_SG_EEES6_PlJNSB_9not_fun_tINSB_14equal_to_valueIfEEEEEEE10hipError_tPvRmT3_T4_T5_T6_T7_T9_mT8_P12ihipStream_tbDpT10_ENKUlT_T0_E_clISt17integral_constantIbLb1EES1B_EEDaS16_S17_EUlS16_E_NS1_11comp_targetILNS1_3genE5ELNS1_11target_archE942ELNS1_3gpuE9ELNS1_3repE0EEENS1_30default_config_static_selectorELNS0_4arch9wavefront6targetE0EEEvT1_,comdat
.Lfunc_end1606:
	.size	_ZN7rocprim17ROCPRIM_400000_NS6detail17trampoline_kernelINS0_14default_configENS1_25partition_config_selectorILNS1_17partition_subalgoE6EfNS0_10empty_typeEbEEZZNS1_14partition_implILS5_6ELb0ES3_mN6thrust23THRUST_200600_302600_NS6detail15normal_iteratorINSA_10device_ptrIfEEEEPS6_SG_NS0_5tupleIJNSA_16discard_iteratorINSA_11use_defaultEEES6_EEENSH_IJSG_SG_EEES6_PlJNSB_9not_fun_tINSB_14equal_to_valueIfEEEEEEE10hipError_tPvRmT3_T4_T5_T6_T7_T9_mT8_P12ihipStream_tbDpT10_ENKUlT_T0_E_clISt17integral_constantIbLb1EES1B_EEDaS16_S17_EUlS16_E_NS1_11comp_targetILNS1_3genE5ELNS1_11target_archE942ELNS1_3gpuE9ELNS1_3repE0EEENS1_30default_config_static_selectorELNS0_4arch9wavefront6targetE0EEEvT1_, .Lfunc_end1606-_ZN7rocprim17ROCPRIM_400000_NS6detail17trampoline_kernelINS0_14default_configENS1_25partition_config_selectorILNS1_17partition_subalgoE6EfNS0_10empty_typeEbEEZZNS1_14partition_implILS5_6ELb0ES3_mN6thrust23THRUST_200600_302600_NS6detail15normal_iteratorINSA_10device_ptrIfEEEEPS6_SG_NS0_5tupleIJNSA_16discard_iteratorINSA_11use_defaultEEES6_EEENSH_IJSG_SG_EEES6_PlJNSB_9not_fun_tINSB_14equal_to_valueIfEEEEEEE10hipError_tPvRmT3_T4_T5_T6_T7_T9_mT8_P12ihipStream_tbDpT10_ENKUlT_T0_E_clISt17integral_constantIbLb1EES1B_EEDaS16_S17_EUlS16_E_NS1_11comp_targetILNS1_3genE5ELNS1_11target_archE942ELNS1_3gpuE9ELNS1_3repE0EEENS1_30default_config_static_selectorELNS0_4arch9wavefront6targetE0EEEvT1_
                                        ; -- End function
	.set _ZN7rocprim17ROCPRIM_400000_NS6detail17trampoline_kernelINS0_14default_configENS1_25partition_config_selectorILNS1_17partition_subalgoE6EfNS0_10empty_typeEbEEZZNS1_14partition_implILS5_6ELb0ES3_mN6thrust23THRUST_200600_302600_NS6detail15normal_iteratorINSA_10device_ptrIfEEEEPS6_SG_NS0_5tupleIJNSA_16discard_iteratorINSA_11use_defaultEEES6_EEENSH_IJSG_SG_EEES6_PlJNSB_9not_fun_tINSB_14equal_to_valueIfEEEEEEE10hipError_tPvRmT3_T4_T5_T6_T7_T9_mT8_P12ihipStream_tbDpT10_ENKUlT_T0_E_clISt17integral_constantIbLb1EES1B_EEDaS16_S17_EUlS16_E_NS1_11comp_targetILNS1_3genE5ELNS1_11target_archE942ELNS1_3gpuE9ELNS1_3repE0EEENS1_30default_config_static_selectorELNS0_4arch9wavefront6targetE0EEEvT1_.num_vgpr, 0
	.set _ZN7rocprim17ROCPRIM_400000_NS6detail17trampoline_kernelINS0_14default_configENS1_25partition_config_selectorILNS1_17partition_subalgoE6EfNS0_10empty_typeEbEEZZNS1_14partition_implILS5_6ELb0ES3_mN6thrust23THRUST_200600_302600_NS6detail15normal_iteratorINSA_10device_ptrIfEEEEPS6_SG_NS0_5tupleIJNSA_16discard_iteratorINSA_11use_defaultEEES6_EEENSH_IJSG_SG_EEES6_PlJNSB_9not_fun_tINSB_14equal_to_valueIfEEEEEEE10hipError_tPvRmT3_T4_T5_T6_T7_T9_mT8_P12ihipStream_tbDpT10_ENKUlT_T0_E_clISt17integral_constantIbLb1EES1B_EEDaS16_S17_EUlS16_E_NS1_11comp_targetILNS1_3genE5ELNS1_11target_archE942ELNS1_3gpuE9ELNS1_3repE0EEENS1_30default_config_static_selectorELNS0_4arch9wavefront6targetE0EEEvT1_.num_agpr, 0
	.set _ZN7rocprim17ROCPRIM_400000_NS6detail17trampoline_kernelINS0_14default_configENS1_25partition_config_selectorILNS1_17partition_subalgoE6EfNS0_10empty_typeEbEEZZNS1_14partition_implILS5_6ELb0ES3_mN6thrust23THRUST_200600_302600_NS6detail15normal_iteratorINSA_10device_ptrIfEEEEPS6_SG_NS0_5tupleIJNSA_16discard_iteratorINSA_11use_defaultEEES6_EEENSH_IJSG_SG_EEES6_PlJNSB_9not_fun_tINSB_14equal_to_valueIfEEEEEEE10hipError_tPvRmT3_T4_T5_T6_T7_T9_mT8_P12ihipStream_tbDpT10_ENKUlT_T0_E_clISt17integral_constantIbLb1EES1B_EEDaS16_S17_EUlS16_E_NS1_11comp_targetILNS1_3genE5ELNS1_11target_archE942ELNS1_3gpuE9ELNS1_3repE0EEENS1_30default_config_static_selectorELNS0_4arch9wavefront6targetE0EEEvT1_.numbered_sgpr, 0
	.set _ZN7rocprim17ROCPRIM_400000_NS6detail17trampoline_kernelINS0_14default_configENS1_25partition_config_selectorILNS1_17partition_subalgoE6EfNS0_10empty_typeEbEEZZNS1_14partition_implILS5_6ELb0ES3_mN6thrust23THRUST_200600_302600_NS6detail15normal_iteratorINSA_10device_ptrIfEEEEPS6_SG_NS0_5tupleIJNSA_16discard_iteratorINSA_11use_defaultEEES6_EEENSH_IJSG_SG_EEES6_PlJNSB_9not_fun_tINSB_14equal_to_valueIfEEEEEEE10hipError_tPvRmT3_T4_T5_T6_T7_T9_mT8_P12ihipStream_tbDpT10_ENKUlT_T0_E_clISt17integral_constantIbLb1EES1B_EEDaS16_S17_EUlS16_E_NS1_11comp_targetILNS1_3genE5ELNS1_11target_archE942ELNS1_3gpuE9ELNS1_3repE0EEENS1_30default_config_static_selectorELNS0_4arch9wavefront6targetE0EEEvT1_.num_named_barrier, 0
	.set _ZN7rocprim17ROCPRIM_400000_NS6detail17trampoline_kernelINS0_14default_configENS1_25partition_config_selectorILNS1_17partition_subalgoE6EfNS0_10empty_typeEbEEZZNS1_14partition_implILS5_6ELb0ES3_mN6thrust23THRUST_200600_302600_NS6detail15normal_iteratorINSA_10device_ptrIfEEEEPS6_SG_NS0_5tupleIJNSA_16discard_iteratorINSA_11use_defaultEEES6_EEENSH_IJSG_SG_EEES6_PlJNSB_9not_fun_tINSB_14equal_to_valueIfEEEEEEE10hipError_tPvRmT3_T4_T5_T6_T7_T9_mT8_P12ihipStream_tbDpT10_ENKUlT_T0_E_clISt17integral_constantIbLb1EES1B_EEDaS16_S17_EUlS16_E_NS1_11comp_targetILNS1_3genE5ELNS1_11target_archE942ELNS1_3gpuE9ELNS1_3repE0EEENS1_30default_config_static_selectorELNS0_4arch9wavefront6targetE0EEEvT1_.private_seg_size, 0
	.set _ZN7rocprim17ROCPRIM_400000_NS6detail17trampoline_kernelINS0_14default_configENS1_25partition_config_selectorILNS1_17partition_subalgoE6EfNS0_10empty_typeEbEEZZNS1_14partition_implILS5_6ELb0ES3_mN6thrust23THRUST_200600_302600_NS6detail15normal_iteratorINSA_10device_ptrIfEEEEPS6_SG_NS0_5tupleIJNSA_16discard_iteratorINSA_11use_defaultEEES6_EEENSH_IJSG_SG_EEES6_PlJNSB_9not_fun_tINSB_14equal_to_valueIfEEEEEEE10hipError_tPvRmT3_T4_T5_T6_T7_T9_mT8_P12ihipStream_tbDpT10_ENKUlT_T0_E_clISt17integral_constantIbLb1EES1B_EEDaS16_S17_EUlS16_E_NS1_11comp_targetILNS1_3genE5ELNS1_11target_archE942ELNS1_3gpuE9ELNS1_3repE0EEENS1_30default_config_static_selectorELNS0_4arch9wavefront6targetE0EEEvT1_.uses_vcc, 0
	.set _ZN7rocprim17ROCPRIM_400000_NS6detail17trampoline_kernelINS0_14default_configENS1_25partition_config_selectorILNS1_17partition_subalgoE6EfNS0_10empty_typeEbEEZZNS1_14partition_implILS5_6ELb0ES3_mN6thrust23THRUST_200600_302600_NS6detail15normal_iteratorINSA_10device_ptrIfEEEEPS6_SG_NS0_5tupleIJNSA_16discard_iteratorINSA_11use_defaultEEES6_EEENSH_IJSG_SG_EEES6_PlJNSB_9not_fun_tINSB_14equal_to_valueIfEEEEEEE10hipError_tPvRmT3_T4_T5_T6_T7_T9_mT8_P12ihipStream_tbDpT10_ENKUlT_T0_E_clISt17integral_constantIbLb1EES1B_EEDaS16_S17_EUlS16_E_NS1_11comp_targetILNS1_3genE5ELNS1_11target_archE942ELNS1_3gpuE9ELNS1_3repE0EEENS1_30default_config_static_selectorELNS0_4arch9wavefront6targetE0EEEvT1_.uses_flat_scratch, 0
	.set _ZN7rocprim17ROCPRIM_400000_NS6detail17trampoline_kernelINS0_14default_configENS1_25partition_config_selectorILNS1_17partition_subalgoE6EfNS0_10empty_typeEbEEZZNS1_14partition_implILS5_6ELb0ES3_mN6thrust23THRUST_200600_302600_NS6detail15normal_iteratorINSA_10device_ptrIfEEEEPS6_SG_NS0_5tupleIJNSA_16discard_iteratorINSA_11use_defaultEEES6_EEENSH_IJSG_SG_EEES6_PlJNSB_9not_fun_tINSB_14equal_to_valueIfEEEEEEE10hipError_tPvRmT3_T4_T5_T6_T7_T9_mT8_P12ihipStream_tbDpT10_ENKUlT_T0_E_clISt17integral_constantIbLb1EES1B_EEDaS16_S17_EUlS16_E_NS1_11comp_targetILNS1_3genE5ELNS1_11target_archE942ELNS1_3gpuE9ELNS1_3repE0EEENS1_30default_config_static_selectorELNS0_4arch9wavefront6targetE0EEEvT1_.has_dyn_sized_stack, 0
	.set _ZN7rocprim17ROCPRIM_400000_NS6detail17trampoline_kernelINS0_14default_configENS1_25partition_config_selectorILNS1_17partition_subalgoE6EfNS0_10empty_typeEbEEZZNS1_14partition_implILS5_6ELb0ES3_mN6thrust23THRUST_200600_302600_NS6detail15normal_iteratorINSA_10device_ptrIfEEEEPS6_SG_NS0_5tupleIJNSA_16discard_iteratorINSA_11use_defaultEEES6_EEENSH_IJSG_SG_EEES6_PlJNSB_9not_fun_tINSB_14equal_to_valueIfEEEEEEE10hipError_tPvRmT3_T4_T5_T6_T7_T9_mT8_P12ihipStream_tbDpT10_ENKUlT_T0_E_clISt17integral_constantIbLb1EES1B_EEDaS16_S17_EUlS16_E_NS1_11comp_targetILNS1_3genE5ELNS1_11target_archE942ELNS1_3gpuE9ELNS1_3repE0EEENS1_30default_config_static_selectorELNS0_4arch9wavefront6targetE0EEEvT1_.has_recursion, 0
	.set _ZN7rocprim17ROCPRIM_400000_NS6detail17trampoline_kernelINS0_14default_configENS1_25partition_config_selectorILNS1_17partition_subalgoE6EfNS0_10empty_typeEbEEZZNS1_14partition_implILS5_6ELb0ES3_mN6thrust23THRUST_200600_302600_NS6detail15normal_iteratorINSA_10device_ptrIfEEEEPS6_SG_NS0_5tupleIJNSA_16discard_iteratorINSA_11use_defaultEEES6_EEENSH_IJSG_SG_EEES6_PlJNSB_9not_fun_tINSB_14equal_to_valueIfEEEEEEE10hipError_tPvRmT3_T4_T5_T6_T7_T9_mT8_P12ihipStream_tbDpT10_ENKUlT_T0_E_clISt17integral_constantIbLb1EES1B_EEDaS16_S17_EUlS16_E_NS1_11comp_targetILNS1_3genE5ELNS1_11target_archE942ELNS1_3gpuE9ELNS1_3repE0EEENS1_30default_config_static_selectorELNS0_4arch9wavefront6targetE0EEEvT1_.has_indirect_call, 0
	.section	.AMDGPU.csdata,"",@progbits
; Kernel info:
; codeLenInByte = 0
; TotalNumSgprs: 0
; NumVgprs: 0
; ScratchSize: 0
; MemoryBound: 0
; FloatMode: 240
; IeeeMode: 1
; LDSByteSize: 0 bytes/workgroup (compile time only)
; SGPRBlocks: 0
; VGPRBlocks: 0
; NumSGPRsForWavesPerEU: 1
; NumVGPRsForWavesPerEU: 1
; Occupancy: 16
; WaveLimiterHint : 0
; COMPUTE_PGM_RSRC2:SCRATCH_EN: 0
; COMPUTE_PGM_RSRC2:USER_SGPR: 2
; COMPUTE_PGM_RSRC2:TRAP_HANDLER: 0
; COMPUTE_PGM_RSRC2:TGID_X_EN: 1
; COMPUTE_PGM_RSRC2:TGID_Y_EN: 0
; COMPUTE_PGM_RSRC2:TGID_Z_EN: 0
; COMPUTE_PGM_RSRC2:TIDIG_COMP_CNT: 0
	.section	.text._ZN7rocprim17ROCPRIM_400000_NS6detail17trampoline_kernelINS0_14default_configENS1_25partition_config_selectorILNS1_17partition_subalgoE6EfNS0_10empty_typeEbEEZZNS1_14partition_implILS5_6ELb0ES3_mN6thrust23THRUST_200600_302600_NS6detail15normal_iteratorINSA_10device_ptrIfEEEEPS6_SG_NS0_5tupleIJNSA_16discard_iteratorINSA_11use_defaultEEES6_EEENSH_IJSG_SG_EEES6_PlJNSB_9not_fun_tINSB_14equal_to_valueIfEEEEEEE10hipError_tPvRmT3_T4_T5_T6_T7_T9_mT8_P12ihipStream_tbDpT10_ENKUlT_T0_E_clISt17integral_constantIbLb1EES1B_EEDaS16_S17_EUlS16_E_NS1_11comp_targetILNS1_3genE4ELNS1_11target_archE910ELNS1_3gpuE8ELNS1_3repE0EEENS1_30default_config_static_selectorELNS0_4arch9wavefront6targetE0EEEvT1_,"axG",@progbits,_ZN7rocprim17ROCPRIM_400000_NS6detail17trampoline_kernelINS0_14default_configENS1_25partition_config_selectorILNS1_17partition_subalgoE6EfNS0_10empty_typeEbEEZZNS1_14partition_implILS5_6ELb0ES3_mN6thrust23THRUST_200600_302600_NS6detail15normal_iteratorINSA_10device_ptrIfEEEEPS6_SG_NS0_5tupleIJNSA_16discard_iteratorINSA_11use_defaultEEES6_EEENSH_IJSG_SG_EEES6_PlJNSB_9not_fun_tINSB_14equal_to_valueIfEEEEEEE10hipError_tPvRmT3_T4_T5_T6_T7_T9_mT8_P12ihipStream_tbDpT10_ENKUlT_T0_E_clISt17integral_constantIbLb1EES1B_EEDaS16_S17_EUlS16_E_NS1_11comp_targetILNS1_3genE4ELNS1_11target_archE910ELNS1_3gpuE8ELNS1_3repE0EEENS1_30default_config_static_selectorELNS0_4arch9wavefront6targetE0EEEvT1_,comdat
	.protected	_ZN7rocprim17ROCPRIM_400000_NS6detail17trampoline_kernelINS0_14default_configENS1_25partition_config_selectorILNS1_17partition_subalgoE6EfNS0_10empty_typeEbEEZZNS1_14partition_implILS5_6ELb0ES3_mN6thrust23THRUST_200600_302600_NS6detail15normal_iteratorINSA_10device_ptrIfEEEEPS6_SG_NS0_5tupleIJNSA_16discard_iteratorINSA_11use_defaultEEES6_EEENSH_IJSG_SG_EEES6_PlJNSB_9not_fun_tINSB_14equal_to_valueIfEEEEEEE10hipError_tPvRmT3_T4_T5_T6_T7_T9_mT8_P12ihipStream_tbDpT10_ENKUlT_T0_E_clISt17integral_constantIbLb1EES1B_EEDaS16_S17_EUlS16_E_NS1_11comp_targetILNS1_3genE4ELNS1_11target_archE910ELNS1_3gpuE8ELNS1_3repE0EEENS1_30default_config_static_selectorELNS0_4arch9wavefront6targetE0EEEvT1_ ; -- Begin function _ZN7rocprim17ROCPRIM_400000_NS6detail17trampoline_kernelINS0_14default_configENS1_25partition_config_selectorILNS1_17partition_subalgoE6EfNS0_10empty_typeEbEEZZNS1_14partition_implILS5_6ELb0ES3_mN6thrust23THRUST_200600_302600_NS6detail15normal_iteratorINSA_10device_ptrIfEEEEPS6_SG_NS0_5tupleIJNSA_16discard_iteratorINSA_11use_defaultEEES6_EEENSH_IJSG_SG_EEES6_PlJNSB_9not_fun_tINSB_14equal_to_valueIfEEEEEEE10hipError_tPvRmT3_T4_T5_T6_T7_T9_mT8_P12ihipStream_tbDpT10_ENKUlT_T0_E_clISt17integral_constantIbLb1EES1B_EEDaS16_S17_EUlS16_E_NS1_11comp_targetILNS1_3genE4ELNS1_11target_archE910ELNS1_3gpuE8ELNS1_3repE0EEENS1_30default_config_static_selectorELNS0_4arch9wavefront6targetE0EEEvT1_
	.globl	_ZN7rocprim17ROCPRIM_400000_NS6detail17trampoline_kernelINS0_14default_configENS1_25partition_config_selectorILNS1_17partition_subalgoE6EfNS0_10empty_typeEbEEZZNS1_14partition_implILS5_6ELb0ES3_mN6thrust23THRUST_200600_302600_NS6detail15normal_iteratorINSA_10device_ptrIfEEEEPS6_SG_NS0_5tupleIJNSA_16discard_iteratorINSA_11use_defaultEEES6_EEENSH_IJSG_SG_EEES6_PlJNSB_9not_fun_tINSB_14equal_to_valueIfEEEEEEE10hipError_tPvRmT3_T4_T5_T6_T7_T9_mT8_P12ihipStream_tbDpT10_ENKUlT_T0_E_clISt17integral_constantIbLb1EES1B_EEDaS16_S17_EUlS16_E_NS1_11comp_targetILNS1_3genE4ELNS1_11target_archE910ELNS1_3gpuE8ELNS1_3repE0EEENS1_30default_config_static_selectorELNS0_4arch9wavefront6targetE0EEEvT1_
	.p2align	8
	.type	_ZN7rocprim17ROCPRIM_400000_NS6detail17trampoline_kernelINS0_14default_configENS1_25partition_config_selectorILNS1_17partition_subalgoE6EfNS0_10empty_typeEbEEZZNS1_14partition_implILS5_6ELb0ES3_mN6thrust23THRUST_200600_302600_NS6detail15normal_iteratorINSA_10device_ptrIfEEEEPS6_SG_NS0_5tupleIJNSA_16discard_iteratorINSA_11use_defaultEEES6_EEENSH_IJSG_SG_EEES6_PlJNSB_9not_fun_tINSB_14equal_to_valueIfEEEEEEE10hipError_tPvRmT3_T4_T5_T6_T7_T9_mT8_P12ihipStream_tbDpT10_ENKUlT_T0_E_clISt17integral_constantIbLb1EES1B_EEDaS16_S17_EUlS16_E_NS1_11comp_targetILNS1_3genE4ELNS1_11target_archE910ELNS1_3gpuE8ELNS1_3repE0EEENS1_30default_config_static_selectorELNS0_4arch9wavefront6targetE0EEEvT1_,@function
_ZN7rocprim17ROCPRIM_400000_NS6detail17trampoline_kernelINS0_14default_configENS1_25partition_config_selectorILNS1_17partition_subalgoE6EfNS0_10empty_typeEbEEZZNS1_14partition_implILS5_6ELb0ES3_mN6thrust23THRUST_200600_302600_NS6detail15normal_iteratorINSA_10device_ptrIfEEEEPS6_SG_NS0_5tupleIJNSA_16discard_iteratorINSA_11use_defaultEEES6_EEENSH_IJSG_SG_EEES6_PlJNSB_9not_fun_tINSB_14equal_to_valueIfEEEEEEE10hipError_tPvRmT3_T4_T5_T6_T7_T9_mT8_P12ihipStream_tbDpT10_ENKUlT_T0_E_clISt17integral_constantIbLb1EES1B_EEDaS16_S17_EUlS16_E_NS1_11comp_targetILNS1_3genE4ELNS1_11target_archE910ELNS1_3gpuE8ELNS1_3repE0EEENS1_30default_config_static_selectorELNS0_4arch9wavefront6targetE0EEEvT1_: ; @_ZN7rocprim17ROCPRIM_400000_NS6detail17trampoline_kernelINS0_14default_configENS1_25partition_config_selectorILNS1_17partition_subalgoE6EfNS0_10empty_typeEbEEZZNS1_14partition_implILS5_6ELb0ES3_mN6thrust23THRUST_200600_302600_NS6detail15normal_iteratorINSA_10device_ptrIfEEEEPS6_SG_NS0_5tupleIJNSA_16discard_iteratorINSA_11use_defaultEEES6_EEENSH_IJSG_SG_EEES6_PlJNSB_9not_fun_tINSB_14equal_to_valueIfEEEEEEE10hipError_tPvRmT3_T4_T5_T6_T7_T9_mT8_P12ihipStream_tbDpT10_ENKUlT_T0_E_clISt17integral_constantIbLb1EES1B_EEDaS16_S17_EUlS16_E_NS1_11comp_targetILNS1_3genE4ELNS1_11target_archE910ELNS1_3gpuE8ELNS1_3repE0EEENS1_30default_config_static_selectorELNS0_4arch9wavefront6targetE0EEEvT1_
; %bb.0:
	.section	.rodata,"a",@progbits
	.p2align	6, 0x0
	.amdhsa_kernel _ZN7rocprim17ROCPRIM_400000_NS6detail17trampoline_kernelINS0_14default_configENS1_25partition_config_selectorILNS1_17partition_subalgoE6EfNS0_10empty_typeEbEEZZNS1_14partition_implILS5_6ELb0ES3_mN6thrust23THRUST_200600_302600_NS6detail15normal_iteratorINSA_10device_ptrIfEEEEPS6_SG_NS0_5tupleIJNSA_16discard_iteratorINSA_11use_defaultEEES6_EEENSH_IJSG_SG_EEES6_PlJNSB_9not_fun_tINSB_14equal_to_valueIfEEEEEEE10hipError_tPvRmT3_T4_T5_T6_T7_T9_mT8_P12ihipStream_tbDpT10_ENKUlT_T0_E_clISt17integral_constantIbLb1EES1B_EEDaS16_S17_EUlS16_E_NS1_11comp_targetILNS1_3genE4ELNS1_11target_archE910ELNS1_3gpuE8ELNS1_3repE0EEENS1_30default_config_static_selectorELNS0_4arch9wavefront6targetE0EEEvT1_
		.amdhsa_group_segment_fixed_size 0
		.amdhsa_private_segment_fixed_size 0
		.amdhsa_kernarg_size 136
		.amdhsa_user_sgpr_count 2
		.amdhsa_user_sgpr_dispatch_ptr 0
		.amdhsa_user_sgpr_queue_ptr 0
		.amdhsa_user_sgpr_kernarg_segment_ptr 1
		.amdhsa_user_sgpr_dispatch_id 0
		.amdhsa_user_sgpr_private_segment_size 0
		.amdhsa_wavefront_size32 1
		.amdhsa_uses_dynamic_stack 0
		.amdhsa_enable_private_segment 0
		.amdhsa_system_sgpr_workgroup_id_x 1
		.amdhsa_system_sgpr_workgroup_id_y 0
		.amdhsa_system_sgpr_workgroup_id_z 0
		.amdhsa_system_sgpr_workgroup_info 0
		.amdhsa_system_vgpr_workitem_id 0
		.amdhsa_next_free_vgpr 1
		.amdhsa_next_free_sgpr 1
		.amdhsa_reserve_vcc 0
		.amdhsa_float_round_mode_32 0
		.amdhsa_float_round_mode_16_64 0
		.amdhsa_float_denorm_mode_32 3
		.amdhsa_float_denorm_mode_16_64 3
		.amdhsa_fp16_overflow 0
		.amdhsa_workgroup_processor_mode 1
		.amdhsa_memory_ordered 1
		.amdhsa_forward_progress 1
		.amdhsa_inst_pref_size 0
		.amdhsa_round_robin_scheduling 0
		.amdhsa_exception_fp_ieee_invalid_op 0
		.amdhsa_exception_fp_denorm_src 0
		.amdhsa_exception_fp_ieee_div_zero 0
		.amdhsa_exception_fp_ieee_overflow 0
		.amdhsa_exception_fp_ieee_underflow 0
		.amdhsa_exception_fp_ieee_inexact 0
		.amdhsa_exception_int_div_zero 0
	.end_amdhsa_kernel
	.section	.text._ZN7rocprim17ROCPRIM_400000_NS6detail17trampoline_kernelINS0_14default_configENS1_25partition_config_selectorILNS1_17partition_subalgoE6EfNS0_10empty_typeEbEEZZNS1_14partition_implILS5_6ELb0ES3_mN6thrust23THRUST_200600_302600_NS6detail15normal_iteratorINSA_10device_ptrIfEEEEPS6_SG_NS0_5tupleIJNSA_16discard_iteratorINSA_11use_defaultEEES6_EEENSH_IJSG_SG_EEES6_PlJNSB_9not_fun_tINSB_14equal_to_valueIfEEEEEEE10hipError_tPvRmT3_T4_T5_T6_T7_T9_mT8_P12ihipStream_tbDpT10_ENKUlT_T0_E_clISt17integral_constantIbLb1EES1B_EEDaS16_S17_EUlS16_E_NS1_11comp_targetILNS1_3genE4ELNS1_11target_archE910ELNS1_3gpuE8ELNS1_3repE0EEENS1_30default_config_static_selectorELNS0_4arch9wavefront6targetE0EEEvT1_,"axG",@progbits,_ZN7rocprim17ROCPRIM_400000_NS6detail17trampoline_kernelINS0_14default_configENS1_25partition_config_selectorILNS1_17partition_subalgoE6EfNS0_10empty_typeEbEEZZNS1_14partition_implILS5_6ELb0ES3_mN6thrust23THRUST_200600_302600_NS6detail15normal_iteratorINSA_10device_ptrIfEEEEPS6_SG_NS0_5tupleIJNSA_16discard_iteratorINSA_11use_defaultEEES6_EEENSH_IJSG_SG_EEES6_PlJNSB_9not_fun_tINSB_14equal_to_valueIfEEEEEEE10hipError_tPvRmT3_T4_T5_T6_T7_T9_mT8_P12ihipStream_tbDpT10_ENKUlT_T0_E_clISt17integral_constantIbLb1EES1B_EEDaS16_S17_EUlS16_E_NS1_11comp_targetILNS1_3genE4ELNS1_11target_archE910ELNS1_3gpuE8ELNS1_3repE0EEENS1_30default_config_static_selectorELNS0_4arch9wavefront6targetE0EEEvT1_,comdat
.Lfunc_end1607:
	.size	_ZN7rocprim17ROCPRIM_400000_NS6detail17trampoline_kernelINS0_14default_configENS1_25partition_config_selectorILNS1_17partition_subalgoE6EfNS0_10empty_typeEbEEZZNS1_14partition_implILS5_6ELb0ES3_mN6thrust23THRUST_200600_302600_NS6detail15normal_iteratorINSA_10device_ptrIfEEEEPS6_SG_NS0_5tupleIJNSA_16discard_iteratorINSA_11use_defaultEEES6_EEENSH_IJSG_SG_EEES6_PlJNSB_9not_fun_tINSB_14equal_to_valueIfEEEEEEE10hipError_tPvRmT3_T4_T5_T6_T7_T9_mT8_P12ihipStream_tbDpT10_ENKUlT_T0_E_clISt17integral_constantIbLb1EES1B_EEDaS16_S17_EUlS16_E_NS1_11comp_targetILNS1_3genE4ELNS1_11target_archE910ELNS1_3gpuE8ELNS1_3repE0EEENS1_30default_config_static_selectorELNS0_4arch9wavefront6targetE0EEEvT1_, .Lfunc_end1607-_ZN7rocprim17ROCPRIM_400000_NS6detail17trampoline_kernelINS0_14default_configENS1_25partition_config_selectorILNS1_17partition_subalgoE6EfNS0_10empty_typeEbEEZZNS1_14partition_implILS5_6ELb0ES3_mN6thrust23THRUST_200600_302600_NS6detail15normal_iteratorINSA_10device_ptrIfEEEEPS6_SG_NS0_5tupleIJNSA_16discard_iteratorINSA_11use_defaultEEES6_EEENSH_IJSG_SG_EEES6_PlJNSB_9not_fun_tINSB_14equal_to_valueIfEEEEEEE10hipError_tPvRmT3_T4_T5_T6_T7_T9_mT8_P12ihipStream_tbDpT10_ENKUlT_T0_E_clISt17integral_constantIbLb1EES1B_EEDaS16_S17_EUlS16_E_NS1_11comp_targetILNS1_3genE4ELNS1_11target_archE910ELNS1_3gpuE8ELNS1_3repE0EEENS1_30default_config_static_selectorELNS0_4arch9wavefront6targetE0EEEvT1_
                                        ; -- End function
	.set _ZN7rocprim17ROCPRIM_400000_NS6detail17trampoline_kernelINS0_14default_configENS1_25partition_config_selectorILNS1_17partition_subalgoE6EfNS0_10empty_typeEbEEZZNS1_14partition_implILS5_6ELb0ES3_mN6thrust23THRUST_200600_302600_NS6detail15normal_iteratorINSA_10device_ptrIfEEEEPS6_SG_NS0_5tupleIJNSA_16discard_iteratorINSA_11use_defaultEEES6_EEENSH_IJSG_SG_EEES6_PlJNSB_9not_fun_tINSB_14equal_to_valueIfEEEEEEE10hipError_tPvRmT3_T4_T5_T6_T7_T9_mT8_P12ihipStream_tbDpT10_ENKUlT_T0_E_clISt17integral_constantIbLb1EES1B_EEDaS16_S17_EUlS16_E_NS1_11comp_targetILNS1_3genE4ELNS1_11target_archE910ELNS1_3gpuE8ELNS1_3repE0EEENS1_30default_config_static_selectorELNS0_4arch9wavefront6targetE0EEEvT1_.num_vgpr, 0
	.set _ZN7rocprim17ROCPRIM_400000_NS6detail17trampoline_kernelINS0_14default_configENS1_25partition_config_selectorILNS1_17partition_subalgoE6EfNS0_10empty_typeEbEEZZNS1_14partition_implILS5_6ELb0ES3_mN6thrust23THRUST_200600_302600_NS6detail15normal_iteratorINSA_10device_ptrIfEEEEPS6_SG_NS0_5tupleIJNSA_16discard_iteratorINSA_11use_defaultEEES6_EEENSH_IJSG_SG_EEES6_PlJNSB_9not_fun_tINSB_14equal_to_valueIfEEEEEEE10hipError_tPvRmT3_T4_T5_T6_T7_T9_mT8_P12ihipStream_tbDpT10_ENKUlT_T0_E_clISt17integral_constantIbLb1EES1B_EEDaS16_S17_EUlS16_E_NS1_11comp_targetILNS1_3genE4ELNS1_11target_archE910ELNS1_3gpuE8ELNS1_3repE0EEENS1_30default_config_static_selectorELNS0_4arch9wavefront6targetE0EEEvT1_.num_agpr, 0
	.set _ZN7rocprim17ROCPRIM_400000_NS6detail17trampoline_kernelINS0_14default_configENS1_25partition_config_selectorILNS1_17partition_subalgoE6EfNS0_10empty_typeEbEEZZNS1_14partition_implILS5_6ELb0ES3_mN6thrust23THRUST_200600_302600_NS6detail15normal_iteratorINSA_10device_ptrIfEEEEPS6_SG_NS0_5tupleIJNSA_16discard_iteratorINSA_11use_defaultEEES6_EEENSH_IJSG_SG_EEES6_PlJNSB_9not_fun_tINSB_14equal_to_valueIfEEEEEEE10hipError_tPvRmT3_T4_T5_T6_T7_T9_mT8_P12ihipStream_tbDpT10_ENKUlT_T0_E_clISt17integral_constantIbLb1EES1B_EEDaS16_S17_EUlS16_E_NS1_11comp_targetILNS1_3genE4ELNS1_11target_archE910ELNS1_3gpuE8ELNS1_3repE0EEENS1_30default_config_static_selectorELNS0_4arch9wavefront6targetE0EEEvT1_.numbered_sgpr, 0
	.set _ZN7rocprim17ROCPRIM_400000_NS6detail17trampoline_kernelINS0_14default_configENS1_25partition_config_selectorILNS1_17partition_subalgoE6EfNS0_10empty_typeEbEEZZNS1_14partition_implILS5_6ELb0ES3_mN6thrust23THRUST_200600_302600_NS6detail15normal_iteratorINSA_10device_ptrIfEEEEPS6_SG_NS0_5tupleIJNSA_16discard_iteratorINSA_11use_defaultEEES6_EEENSH_IJSG_SG_EEES6_PlJNSB_9not_fun_tINSB_14equal_to_valueIfEEEEEEE10hipError_tPvRmT3_T4_T5_T6_T7_T9_mT8_P12ihipStream_tbDpT10_ENKUlT_T0_E_clISt17integral_constantIbLb1EES1B_EEDaS16_S17_EUlS16_E_NS1_11comp_targetILNS1_3genE4ELNS1_11target_archE910ELNS1_3gpuE8ELNS1_3repE0EEENS1_30default_config_static_selectorELNS0_4arch9wavefront6targetE0EEEvT1_.num_named_barrier, 0
	.set _ZN7rocprim17ROCPRIM_400000_NS6detail17trampoline_kernelINS0_14default_configENS1_25partition_config_selectorILNS1_17partition_subalgoE6EfNS0_10empty_typeEbEEZZNS1_14partition_implILS5_6ELb0ES3_mN6thrust23THRUST_200600_302600_NS6detail15normal_iteratorINSA_10device_ptrIfEEEEPS6_SG_NS0_5tupleIJNSA_16discard_iteratorINSA_11use_defaultEEES6_EEENSH_IJSG_SG_EEES6_PlJNSB_9not_fun_tINSB_14equal_to_valueIfEEEEEEE10hipError_tPvRmT3_T4_T5_T6_T7_T9_mT8_P12ihipStream_tbDpT10_ENKUlT_T0_E_clISt17integral_constantIbLb1EES1B_EEDaS16_S17_EUlS16_E_NS1_11comp_targetILNS1_3genE4ELNS1_11target_archE910ELNS1_3gpuE8ELNS1_3repE0EEENS1_30default_config_static_selectorELNS0_4arch9wavefront6targetE0EEEvT1_.private_seg_size, 0
	.set _ZN7rocprim17ROCPRIM_400000_NS6detail17trampoline_kernelINS0_14default_configENS1_25partition_config_selectorILNS1_17partition_subalgoE6EfNS0_10empty_typeEbEEZZNS1_14partition_implILS5_6ELb0ES3_mN6thrust23THRUST_200600_302600_NS6detail15normal_iteratorINSA_10device_ptrIfEEEEPS6_SG_NS0_5tupleIJNSA_16discard_iteratorINSA_11use_defaultEEES6_EEENSH_IJSG_SG_EEES6_PlJNSB_9not_fun_tINSB_14equal_to_valueIfEEEEEEE10hipError_tPvRmT3_T4_T5_T6_T7_T9_mT8_P12ihipStream_tbDpT10_ENKUlT_T0_E_clISt17integral_constantIbLb1EES1B_EEDaS16_S17_EUlS16_E_NS1_11comp_targetILNS1_3genE4ELNS1_11target_archE910ELNS1_3gpuE8ELNS1_3repE0EEENS1_30default_config_static_selectorELNS0_4arch9wavefront6targetE0EEEvT1_.uses_vcc, 0
	.set _ZN7rocprim17ROCPRIM_400000_NS6detail17trampoline_kernelINS0_14default_configENS1_25partition_config_selectorILNS1_17partition_subalgoE6EfNS0_10empty_typeEbEEZZNS1_14partition_implILS5_6ELb0ES3_mN6thrust23THRUST_200600_302600_NS6detail15normal_iteratorINSA_10device_ptrIfEEEEPS6_SG_NS0_5tupleIJNSA_16discard_iteratorINSA_11use_defaultEEES6_EEENSH_IJSG_SG_EEES6_PlJNSB_9not_fun_tINSB_14equal_to_valueIfEEEEEEE10hipError_tPvRmT3_T4_T5_T6_T7_T9_mT8_P12ihipStream_tbDpT10_ENKUlT_T0_E_clISt17integral_constantIbLb1EES1B_EEDaS16_S17_EUlS16_E_NS1_11comp_targetILNS1_3genE4ELNS1_11target_archE910ELNS1_3gpuE8ELNS1_3repE0EEENS1_30default_config_static_selectorELNS0_4arch9wavefront6targetE0EEEvT1_.uses_flat_scratch, 0
	.set _ZN7rocprim17ROCPRIM_400000_NS6detail17trampoline_kernelINS0_14default_configENS1_25partition_config_selectorILNS1_17partition_subalgoE6EfNS0_10empty_typeEbEEZZNS1_14partition_implILS5_6ELb0ES3_mN6thrust23THRUST_200600_302600_NS6detail15normal_iteratorINSA_10device_ptrIfEEEEPS6_SG_NS0_5tupleIJNSA_16discard_iteratorINSA_11use_defaultEEES6_EEENSH_IJSG_SG_EEES6_PlJNSB_9not_fun_tINSB_14equal_to_valueIfEEEEEEE10hipError_tPvRmT3_T4_T5_T6_T7_T9_mT8_P12ihipStream_tbDpT10_ENKUlT_T0_E_clISt17integral_constantIbLb1EES1B_EEDaS16_S17_EUlS16_E_NS1_11comp_targetILNS1_3genE4ELNS1_11target_archE910ELNS1_3gpuE8ELNS1_3repE0EEENS1_30default_config_static_selectorELNS0_4arch9wavefront6targetE0EEEvT1_.has_dyn_sized_stack, 0
	.set _ZN7rocprim17ROCPRIM_400000_NS6detail17trampoline_kernelINS0_14default_configENS1_25partition_config_selectorILNS1_17partition_subalgoE6EfNS0_10empty_typeEbEEZZNS1_14partition_implILS5_6ELb0ES3_mN6thrust23THRUST_200600_302600_NS6detail15normal_iteratorINSA_10device_ptrIfEEEEPS6_SG_NS0_5tupleIJNSA_16discard_iteratorINSA_11use_defaultEEES6_EEENSH_IJSG_SG_EEES6_PlJNSB_9not_fun_tINSB_14equal_to_valueIfEEEEEEE10hipError_tPvRmT3_T4_T5_T6_T7_T9_mT8_P12ihipStream_tbDpT10_ENKUlT_T0_E_clISt17integral_constantIbLb1EES1B_EEDaS16_S17_EUlS16_E_NS1_11comp_targetILNS1_3genE4ELNS1_11target_archE910ELNS1_3gpuE8ELNS1_3repE0EEENS1_30default_config_static_selectorELNS0_4arch9wavefront6targetE0EEEvT1_.has_recursion, 0
	.set _ZN7rocprim17ROCPRIM_400000_NS6detail17trampoline_kernelINS0_14default_configENS1_25partition_config_selectorILNS1_17partition_subalgoE6EfNS0_10empty_typeEbEEZZNS1_14partition_implILS5_6ELb0ES3_mN6thrust23THRUST_200600_302600_NS6detail15normal_iteratorINSA_10device_ptrIfEEEEPS6_SG_NS0_5tupleIJNSA_16discard_iteratorINSA_11use_defaultEEES6_EEENSH_IJSG_SG_EEES6_PlJNSB_9not_fun_tINSB_14equal_to_valueIfEEEEEEE10hipError_tPvRmT3_T4_T5_T6_T7_T9_mT8_P12ihipStream_tbDpT10_ENKUlT_T0_E_clISt17integral_constantIbLb1EES1B_EEDaS16_S17_EUlS16_E_NS1_11comp_targetILNS1_3genE4ELNS1_11target_archE910ELNS1_3gpuE8ELNS1_3repE0EEENS1_30default_config_static_selectorELNS0_4arch9wavefront6targetE0EEEvT1_.has_indirect_call, 0
	.section	.AMDGPU.csdata,"",@progbits
; Kernel info:
; codeLenInByte = 0
; TotalNumSgprs: 0
; NumVgprs: 0
; ScratchSize: 0
; MemoryBound: 0
; FloatMode: 240
; IeeeMode: 1
; LDSByteSize: 0 bytes/workgroup (compile time only)
; SGPRBlocks: 0
; VGPRBlocks: 0
; NumSGPRsForWavesPerEU: 1
; NumVGPRsForWavesPerEU: 1
; Occupancy: 16
; WaveLimiterHint : 0
; COMPUTE_PGM_RSRC2:SCRATCH_EN: 0
; COMPUTE_PGM_RSRC2:USER_SGPR: 2
; COMPUTE_PGM_RSRC2:TRAP_HANDLER: 0
; COMPUTE_PGM_RSRC2:TGID_X_EN: 1
; COMPUTE_PGM_RSRC2:TGID_Y_EN: 0
; COMPUTE_PGM_RSRC2:TGID_Z_EN: 0
; COMPUTE_PGM_RSRC2:TIDIG_COMP_CNT: 0
	.section	.text._ZN7rocprim17ROCPRIM_400000_NS6detail17trampoline_kernelINS0_14default_configENS1_25partition_config_selectorILNS1_17partition_subalgoE6EfNS0_10empty_typeEbEEZZNS1_14partition_implILS5_6ELb0ES3_mN6thrust23THRUST_200600_302600_NS6detail15normal_iteratorINSA_10device_ptrIfEEEEPS6_SG_NS0_5tupleIJNSA_16discard_iteratorINSA_11use_defaultEEES6_EEENSH_IJSG_SG_EEES6_PlJNSB_9not_fun_tINSB_14equal_to_valueIfEEEEEEE10hipError_tPvRmT3_T4_T5_T6_T7_T9_mT8_P12ihipStream_tbDpT10_ENKUlT_T0_E_clISt17integral_constantIbLb1EES1B_EEDaS16_S17_EUlS16_E_NS1_11comp_targetILNS1_3genE3ELNS1_11target_archE908ELNS1_3gpuE7ELNS1_3repE0EEENS1_30default_config_static_selectorELNS0_4arch9wavefront6targetE0EEEvT1_,"axG",@progbits,_ZN7rocprim17ROCPRIM_400000_NS6detail17trampoline_kernelINS0_14default_configENS1_25partition_config_selectorILNS1_17partition_subalgoE6EfNS0_10empty_typeEbEEZZNS1_14partition_implILS5_6ELb0ES3_mN6thrust23THRUST_200600_302600_NS6detail15normal_iteratorINSA_10device_ptrIfEEEEPS6_SG_NS0_5tupleIJNSA_16discard_iteratorINSA_11use_defaultEEES6_EEENSH_IJSG_SG_EEES6_PlJNSB_9not_fun_tINSB_14equal_to_valueIfEEEEEEE10hipError_tPvRmT3_T4_T5_T6_T7_T9_mT8_P12ihipStream_tbDpT10_ENKUlT_T0_E_clISt17integral_constantIbLb1EES1B_EEDaS16_S17_EUlS16_E_NS1_11comp_targetILNS1_3genE3ELNS1_11target_archE908ELNS1_3gpuE7ELNS1_3repE0EEENS1_30default_config_static_selectorELNS0_4arch9wavefront6targetE0EEEvT1_,comdat
	.protected	_ZN7rocprim17ROCPRIM_400000_NS6detail17trampoline_kernelINS0_14default_configENS1_25partition_config_selectorILNS1_17partition_subalgoE6EfNS0_10empty_typeEbEEZZNS1_14partition_implILS5_6ELb0ES3_mN6thrust23THRUST_200600_302600_NS6detail15normal_iteratorINSA_10device_ptrIfEEEEPS6_SG_NS0_5tupleIJNSA_16discard_iteratorINSA_11use_defaultEEES6_EEENSH_IJSG_SG_EEES6_PlJNSB_9not_fun_tINSB_14equal_to_valueIfEEEEEEE10hipError_tPvRmT3_T4_T5_T6_T7_T9_mT8_P12ihipStream_tbDpT10_ENKUlT_T0_E_clISt17integral_constantIbLb1EES1B_EEDaS16_S17_EUlS16_E_NS1_11comp_targetILNS1_3genE3ELNS1_11target_archE908ELNS1_3gpuE7ELNS1_3repE0EEENS1_30default_config_static_selectorELNS0_4arch9wavefront6targetE0EEEvT1_ ; -- Begin function _ZN7rocprim17ROCPRIM_400000_NS6detail17trampoline_kernelINS0_14default_configENS1_25partition_config_selectorILNS1_17partition_subalgoE6EfNS0_10empty_typeEbEEZZNS1_14partition_implILS5_6ELb0ES3_mN6thrust23THRUST_200600_302600_NS6detail15normal_iteratorINSA_10device_ptrIfEEEEPS6_SG_NS0_5tupleIJNSA_16discard_iteratorINSA_11use_defaultEEES6_EEENSH_IJSG_SG_EEES6_PlJNSB_9not_fun_tINSB_14equal_to_valueIfEEEEEEE10hipError_tPvRmT3_T4_T5_T6_T7_T9_mT8_P12ihipStream_tbDpT10_ENKUlT_T0_E_clISt17integral_constantIbLb1EES1B_EEDaS16_S17_EUlS16_E_NS1_11comp_targetILNS1_3genE3ELNS1_11target_archE908ELNS1_3gpuE7ELNS1_3repE0EEENS1_30default_config_static_selectorELNS0_4arch9wavefront6targetE0EEEvT1_
	.globl	_ZN7rocprim17ROCPRIM_400000_NS6detail17trampoline_kernelINS0_14default_configENS1_25partition_config_selectorILNS1_17partition_subalgoE6EfNS0_10empty_typeEbEEZZNS1_14partition_implILS5_6ELb0ES3_mN6thrust23THRUST_200600_302600_NS6detail15normal_iteratorINSA_10device_ptrIfEEEEPS6_SG_NS0_5tupleIJNSA_16discard_iteratorINSA_11use_defaultEEES6_EEENSH_IJSG_SG_EEES6_PlJNSB_9not_fun_tINSB_14equal_to_valueIfEEEEEEE10hipError_tPvRmT3_T4_T5_T6_T7_T9_mT8_P12ihipStream_tbDpT10_ENKUlT_T0_E_clISt17integral_constantIbLb1EES1B_EEDaS16_S17_EUlS16_E_NS1_11comp_targetILNS1_3genE3ELNS1_11target_archE908ELNS1_3gpuE7ELNS1_3repE0EEENS1_30default_config_static_selectorELNS0_4arch9wavefront6targetE0EEEvT1_
	.p2align	8
	.type	_ZN7rocprim17ROCPRIM_400000_NS6detail17trampoline_kernelINS0_14default_configENS1_25partition_config_selectorILNS1_17partition_subalgoE6EfNS0_10empty_typeEbEEZZNS1_14partition_implILS5_6ELb0ES3_mN6thrust23THRUST_200600_302600_NS6detail15normal_iteratorINSA_10device_ptrIfEEEEPS6_SG_NS0_5tupleIJNSA_16discard_iteratorINSA_11use_defaultEEES6_EEENSH_IJSG_SG_EEES6_PlJNSB_9not_fun_tINSB_14equal_to_valueIfEEEEEEE10hipError_tPvRmT3_T4_T5_T6_T7_T9_mT8_P12ihipStream_tbDpT10_ENKUlT_T0_E_clISt17integral_constantIbLb1EES1B_EEDaS16_S17_EUlS16_E_NS1_11comp_targetILNS1_3genE3ELNS1_11target_archE908ELNS1_3gpuE7ELNS1_3repE0EEENS1_30default_config_static_selectorELNS0_4arch9wavefront6targetE0EEEvT1_,@function
_ZN7rocprim17ROCPRIM_400000_NS6detail17trampoline_kernelINS0_14default_configENS1_25partition_config_selectorILNS1_17partition_subalgoE6EfNS0_10empty_typeEbEEZZNS1_14partition_implILS5_6ELb0ES3_mN6thrust23THRUST_200600_302600_NS6detail15normal_iteratorINSA_10device_ptrIfEEEEPS6_SG_NS0_5tupleIJNSA_16discard_iteratorINSA_11use_defaultEEES6_EEENSH_IJSG_SG_EEES6_PlJNSB_9not_fun_tINSB_14equal_to_valueIfEEEEEEE10hipError_tPvRmT3_T4_T5_T6_T7_T9_mT8_P12ihipStream_tbDpT10_ENKUlT_T0_E_clISt17integral_constantIbLb1EES1B_EEDaS16_S17_EUlS16_E_NS1_11comp_targetILNS1_3genE3ELNS1_11target_archE908ELNS1_3gpuE7ELNS1_3repE0EEENS1_30default_config_static_selectorELNS0_4arch9wavefront6targetE0EEEvT1_: ; @_ZN7rocprim17ROCPRIM_400000_NS6detail17trampoline_kernelINS0_14default_configENS1_25partition_config_selectorILNS1_17partition_subalgoE6EfNS0_10empty_typeEbEEZZNS1_14partition_implILS5_6ELb0ES3_mN6thrust23THRUST_200600_302600_NS6detail15normal_iteratorINSA_10device_ptrIfEEEEPS6_SG_NS0_5tupleIJNSA_16discard_iteratorINSA_11use_defaultEEES6_EEENSH_IJSG_SG_EEES6_PlJNSB_9not_fun_tINSB_14equal_to_valueIfEEEEEEE10hipError_tPvRmT3_T4_T5_T6_T7_T9_mT8_P12ihipStream_tbDpT10_ENKUlT_T0_E_clISt17integral_constantIbLb1EES1B_EEDaS16_S17_EUlS16_E_NS1_11comp_targetILNS1_3genE3ELNS1_11target_archE908ELNS1_3gpuE7ELNS1_3repE0EEENS1_30default_config_static_selectorELNS0_4arch9wavefront6targetE0EEEvT1_
; %bb.0:
	.section	.rodata,"a",@progbits
	.p2align	6, 0x0
	.amdhsa_kernel _ZN7rocprim17ROCPRIM_400000_NS6detail17trampoline_kernelINS0_14default_configENS1_25partition_config_selectorILNS1_17partition_subalgoE6EfNS0_10empty_typeEbEEZZNS1_14partition_implILS5_6ELb0ES3_mN6thrust23THRUST_200600_302600_NS6detail15normal_iteratorINSA_10device_ptrIfEEEEPS6_SG_NS0_5tupleIJNSA_16discard_iteratorINSA_11use_defaultEEES6_EEENSH_IJSG_SG_EEES6_PlJNSB_9not_fun_tINSB_14equal_to_valueIfEEEEEEE10hipError_tPvRmT3_T4_T5_T6_T7_T9_mT8_P12ihipStream_tbDpT10_ENKUlT_T0_E_clISt17integral_constantIbLb1EES1B_EEDaS16_S17_EUlS16_E_NS1_11comp_targetILNS1_3genE3ELNS1_11target_archE908ELNS1_3gpuE7ELNS1_3repE0EEENS1_30default_config_static_selectorELNS0_4arch9wavefront6targetE0EEEvT1_
		.amdhsa_group_segment_fixed_size 0
		.amdhsa_private_segment_fixed_size 0
		.amdhsa_kernarg_size 136
		.amdhsa_user_sgpr_count 2
		.amdhsa_user_sgpr_dispatch_ptr 0
		.amdhsa_user_sgpr_queue_ptr 0
		.amdhsa_user_sgpr_kernarg_segment_ptr 1
		.amdhsa_user_sgpr_dispatch_id 0
		.amdhsa_user_sgpr_private_segment_size 0
		.amdhsa_wavefront_size32 1
		.amdhsa_uses_dynamic_stack 0
		.amdhsa_enable_private_segment 0
		.amdhsa_system_sgpr_workgroup_id_x 1
		.amdhsa_system_sgpr_workgroup_id_y 0
		.amdhsa_system_sgpr_workgroup_id_z 0
		.amdhsa_system_sgpr_workgroup_info 0
		.amdhsa_system_vgpr_workitem_id 0
		.amdhsa_next_free_vgpr 1
		.amdhsa_next_free_sgpr 1
		.amdhsa_reserve_vcc 0
		.amdhsa_float_round_mode_32 0
		.amdhsa_float_round_mode_16_64 0
		.amdhsa_float_denorm_mode_32 3
		.amdhsa_float_denorm_mode_16_64 3
		.amdhsa_fp16_overflow 0
		.amdhsa_workgroup_processor_mode 1
		.amdhsa_memory_ordered 1
		.amdhsa_forward_progress 1
		.amdhsa_inst_pref_size 0
		.amdhsa_round_robin_scheduling 0
		.amdhsa_exception_fp_ieee_invalid_op 0
		.amdhsa_exception_fp_denorm_src 0
		.amdhsa_exception_fp_ieee_div_zero 0
		.amdhsa_exception_fp_ieee_overflow 0
		.amdhsa_exception_fp_ieee_underflow 0
		.amdhsa_exception_fp_ieee_inexact 0
		.amdhsa_exception_int_div_zero 0
	.end_amdhsa_kernel
	.section	.text._ZN7rocprim17ROCPRIM_400000_NS6detail17trampoline_kernelINS0_14default_configENS1_25partition_config_selectorILNS1_17partition_subalgoE6EfNS0_10empty_typeEbEEZZNS1_14partition_implILS5_6ELb0ES3_mN6thrust23THRUST_200600_302600_NS6detail15normal_iteratorINSA_10device_ptrIfEEEEPS6_SG_NS0_5tupleIJNSA_16discard_iteratorINSA_11use_defaultEEES6_EEENSH_IJSG_SG_EEES6_PlJNSB_9not_fun_tINSB_14equal_to_valueIfEEEEEEE10hipError_tPvRmT3_T4_T5_T6_T7_T9_mT8_P12ihipStream_tbDpT10_ENKUlT_T0_E_clISt17integral_constantIbLb1EES1B_EEDaS16_S17_EUlS16_E_NS1_11comp_targetILNS1_3genE3ELNS1_11target_archE908ELNS1_3gpuE7ELNS1_3repE0EEENS1_30default_config_static_selectorELNS0_4arch9wavefront6targetE0EEEvT1_,"axG",@progbits,_ZN7rocprim17ROCPRIM_400000_NS6detail17trampoline_kernelINS0_14default_configENS1_25partition_config_selectorILNS1_17partition_subalgoE6EfNS0_10empty_typeEbEEZZNS1_14partition_implILS5_6ELb0ES3_mN6thrust23THRUST_200600_302600_NS6detail15normal_iteratorINSA_10device_ptrIfEEEEPS6_SG_NS0_5tupleIJNSA_16discard_iteratorINSA_11use_defaultEEES6_EEENSH_IJSG_SG_EEES6_PlJNSB_9not_fun_tINSB_14equal_to_valueIfEEEEEEE10hipError_tPvRmT3_T4_T5_T6_T7_T9_mT8_P12ihipStream_tbDpT10_ENKUlT_T0_E_clISt17integral_constantIbLb1EES1B_EEDaS16_S17_EUlS16_E_NS1_11comp_targetILNS1_3genE3ELNS1_11target_archE908ELNS1_3gpuE7ELNS1_3repE0EEENS1_30default_config_static_selectorELNS0_4arch9wavefront6targetE0EEEvT1_,comdat
.Lfunc_end1608:
	.size	_ZN7rocprim17ROCPRIM_400000_NS6detail17trampoline_kernelINS0_14default_configENS1_25partition_config_selectorILNS1_17partition_subalgoE6EfNS0_10empty_typeEbEEZZNS1_14partition_implILS5_6ELb0ES3_mN6thrust23THRUST_200600_302600_NS6detail15normal_iteratorINSA_10device_ptrIfEEEEPS6_SG_NS0_5tupleIJNSA_16discard_iteratorINSA_11use_defaultEEES6_EEENSH_IJSG_SG_EEES6_PlJNSB_9not_fun_tINSB_14equal_to_valueIfEEEEEEE10hipError_tPvRmT3_T4_T5_T6_T7_T9_mT8_P12ihipStream_tbDpT10_ENKUlT_T0_E_clISt17integral_constantIbLb1EES1B_EEDaS16_S17_EUlS16_E_NS1_11comp_targetILNS1_3genE3ELNS1_11target_archE908ELNS1_3gpuE7ELNS1_3repE0EEENS1_30default_config_static_selectorELNS0_4arch9wavefront6targetE0EEEvT1_, .Lfunc_end1608-_ZN7rocprim17ROCPRIM_400000_NS6detail17trampoline_kernelINS0_14default_configENS1_25partition_config_selectorILNS1_17partition_subalgoE6EfNS0_10empty_typeEbEEZZNS1_14partition_implILS5_6ELb0ES3_mN6thrust23THRUST_200600_302600_NS6detail15normal_iteratorINSA_10device_ptrIfEEEEPS6_SG_NS0_5tupleIJNSA_16discard_iteratorINSA_11use_defaultEEES6_EEENSH_IJSG_SG_EEES6_PlJNSB_9not_fun_tINSB_14equal_to_valueIfEEEEEEE10hipError_tPvRmT3_T4_T5_T6_T7_T9_mT8_P12ihipStream_tbDpT10_ENKUlT_T0_E_clISt17integral_constantIbLb1EES1B_EEDaS16_S17_EUlS16_E_NS1_11comp_targetILNS1_3genE3ELNS1_11target_archE908ELNS1_3gpuE7ELNS1_3repE0EEENS1_30default_config_static_selectorELNS0_4arch9wavefront6targetE0EEEvT1_
                                        ; -- End function
	.set _ZN7rocprim17ROCPRIM_400000_NS6detail17trampoline_kernelINS0_14default_configENS1_25partition_config_selectorILNS1_17partition_subalgoE6EfNS0_10empty_typeEbEEZZNS1_14partition_implILS5_6ELb0ES3_mN6thrust23THRUST_200600_302600_NS6detail15normal_iteratorINSA_10device_ptrIfEEEEPS6_SG_NS0_5tupleIJNSA_16discard_iteratorINSA_11use_defaultEEES6_EEENSH_IJSG_SG_EEES6_PlJNSB_9not_fun_tINSB_14equal_to_valueIfEEEEEEE10hipError_tPvRmT3_T4_T5_T6_T7_T9_mT8_P12ihipStream_tbDpT10_ENKUlT_T0_E_clISt17integral_constantIbLb1EES1B_EEDaS16_S17_EUlS16_E_NS1_11comp_targetILNS1_3genE3ELNS1_11target_archE908ELNS1_3gpuE7ELNS1_3repE0EEENS1_30default_config_static_selectorELNS0_4arch9wavefront6targetE0EEEvT1_.num_vgpr, 0
	.set _ZN7rocprim17ROCPRIM_400000_NS6detail17trampoline_kernelINS0_14default_configENS1_25partition_config_selectorILNS1_17partition_subalgoE6EfNS0_10empty_typeEbEEZZNS1_14partition_implILS5_6ELb0ES3_mN6thrust23THRUST_200600_302600_NS6detail15normal_iteratorINSA_10device_ptrIfEEEEPS6_SG_NS0_5tupleIJNSA_16discard_iteratorINSA_11use_defaultEEES6_EEENSH_IJSG_SG_EEES6_PlJNSB_9not_fun_tINSB_14equal_to_valueIfEEEEEEE10hipError_tPvRmT3_T4_T5_T6_T7_T9_mT8_P12ihipStream_tbDpT10_ENKUlT_T0_E_clISt17integral_constantIbLb1EES1B_EEDaS16_S17_EUlS16_E_NS1_11comp_targetILNS1_3genE3ELNS1_11target_archE908ELNS1_3gpuE7ELNS1_3repE0EEENS1_30default_config_static_selectorELNS0_4arch9wavefront6targetE0EEEvT1_.num_agpr, 0
	.set _ZN7rocprim17ROCPRIM_400000_NS6detail17trampoline_kernelINS0_14default_configENS1_25partition_config_selectorILNS1_17partition_subalgoE6EfNS0_10empty_typeEbEEZZNS1_14partition_implILS5_6ELb0ES3_mN6thrust23THRUST_200600_302600_NS6detail15normal_iteratorINSA_10device_ptrIfEEEEPS6_SG_NS0_5tupleIJNSA_16discard_iteratorINSA_11use_defaultEEES6_EEENSH_IJSG_SG_EEES6_PlJNSB_9not_fun_tINSB_14equal_to_valueIfEEEEEEE10hipError_tPvRmT3_T4_T5_T6_T7_T9_mT8_P12ihipStream_tbDpT10_ENKUlT_T0_E_clISt17integral_constantIbLb1EES1B_EEDaS16_S17_EUlS16_E_NS1_11comp_targetILNS1_3genE3ELNS1_11target_archE908ELNS1_3gpuE7ELNS1_3repE0EEENS1_30default_config_static_selectorELNS0_4arch9wavefront6targetE0EEEvT1_.numbered_sgpr, 0
	.set _ZN7rocprim17ROCPRIM_400000_NS6detail17trampoline_kernelINS0_14default_configENS1_25partition_config_selectorILNS1_17partition_subalgoE6EfNS0_10empty_typeEbEEZZNS1_14partition_implILS5_6ELb0ES3_mN6thrust23THRUST_200600_302600_NS6detail15normal_iteratorINSA_10device_ptrIfEEEEPS6_SG_NS0_5tupleIJNSA_16discard_iteratorINSA_11use_defaultEEES6_EEENSH_IJSG_SG_EEES6_PlJNSB_9not_fun_tINSB_14equal_to_valueIfEEEEEEE10hipError_tPvRmT3_T4_T5_T6_T7_T9_mT8_P12ihipStream_tbDpT10_ENKUlT_T0_E_clISt17integral_constantIbLb1EES1B_EEDaS16_S17_EUlS16_E_NS1_11comp_targetILNS1_3genE3ELNS1_11target_archE908ELNS1_3gpuE7ELNS1_3repE0EEENS1_30default_config_static_selectorELNS0_4arch9wavefront6targetE0EEEvT1_.num_named_barrier, 0
	.set _ZN7rocprim17ROCPRIM_400000_NS6detail17trampoline_kernelINS0_14default_configENS1_25partition_config_selectorILNS1_17partition_subalgoE6EfNS0_10empty_typeEbEEZZNS1_14partition_implILS5_6ELb0ES3_mN6thrust23THRUST_200600_302600_NS6detail15normal_iteratorINSA_10device_ptrIfEEEEPS6_SG_NS0_5tupleIJNSA_16discard_iteratorINSA_11use_defaultEEES6_EEENSH_IJSG_SG_EEES6_PlJNSB_9not_fun_tINSB_14equal_to_valueIfEEEEEEE10hipError_tPvRmT3_T4_T5_T6_T7_T9_mT8_P12ihipStream_tbDpT10_ENKUlT_T0_E_clISt17integral_constantIbLb1EES1B_EEDaS16_S17_EUlS16_E_NS1_11comp_targetILNS1_3genE3ELNS1_11target_archE908ELNS1_3gpuE7ELNS1_3repE0EEENS1_30default_config_static_selectorELNS0_4arch9wavefront6targetE0EEEvT1_.private_seg_size, 0
	.set _ZN7rocprim17ROCPRIM_400000_NS6detail17trampoline_kernelINS0_14default_configENS1_25partition_config_selectorILNS1_17partition_subalgoE6EfNS0_10empty_typeEbEEZZNS1_14partition_implILS5_6ELb0ES3_mN6thrust23THRUST_200600_302600_NS6detail15normal_iteratorINSA_10device_ptrIfEEEEPS6_SG_NS0_5tupleIJNSA_16discard_iteratorINSA_11use_defaultEEES6_EEENSH_IJSG_SG_EEES6_PlJNSB_9not_fun_tINSB_14equal_to_valueIfEEEEEEE10hipError_tPvRmT3_T4_T5_T6_T7_T9_mT8_P12ihipStream_tbDpT10_ENKUlT_T0_E_clISt17integral_constantIbLb1EES1B_EEDaS16_S17_EUlS16_E_NS1_11comp_targetILNS1_3genE3ELNS1_11target_archE908ELNS1_3gpuE7ELNS1_3repE0EEENS1_30default_config_static_selectorELNS0_4arch9wavefront6targetE0EEEvT1_.uses_vcc, 0
	.set _ZN7rocprim17ROCPRIM_400000_NS6detail17trampoline_kernelINS0_14default_configENS1_25partition_config_selectorILNS1_17partition_subalgoE6EfNS0_10empty_typeEbEEZZNS1_14partition_implILS5_6ELb0ES3_mN6thrust23THRUST_200600_302600_NS6detail15normal_iteratorINSA_10device_ptrIfEEEEPS6_SG_NS0_5tupleIJNSA_16discard_iteratorINSA_11use_defaultEEES6_EEENSH_IJSG_SG_EEES6_PlJNSB_9not_fun_tINSB_14equal_to_valueIfEEEEEEE10hipError_tPvRmT3_T4_T5_T6_T7_T9_mT8_P12ihipStream_tbDpT10_ENKUlT_T0_E_clISt17integral_constantIbLb1EES1B_EEDaS16_S17_EUlS16_E_NS1_11comp_targetILNS1_3genE3ELNS1_11target_archE908ELNS1_3gpuE7ELNS1_3repE0EEENS1_30default_config_static_selectorELNS0_4arch9wavefront6targetE0EEEvT1_.uses_flat_scratch, 0
	.set _ZN7rocprim17ROCPRIM_400000_NS6detail17trampoline_kernelINS0_14default_configENS1_25partition_config_selectorILNS1_17partition_subalgoE6EfNS0_10empty_typeEbEEZZNS1_14partition_implILS5_6ELb0ES3_mN6thrust23THRUST_200600_302600_NS6detail15normal_iteratorINSA_10device_ptrIfEEEEPS6_SG_NS0_5tupleIJNSA_16discard_iteratorINSA_11use_defaultEEES6_EEENSH_IJSG_SG_EEES6_PlJNSB_9not_fun_tINSB_14equal_to_valueIfEEEEEEE10hipError_tPvRmT3_T4_T5_T6_T7_T9_mT8_P12ihipStream_tbDpT10_ENKUlT_T0_E_clISt17integral_constantIbLb1EES1B_EEDaS16_S17_EUlS16_E_NS1_11comp_targetILNS1_3genE3ELNS1_11target_archE908ELNS1_3gpuE7ELNS1_3repE0EEENS1_30default_config_static_selectorELNS0_4arch9wavefront6targetE0EEEvT1_.has_dyn_sized_stack, 0
	.set _ZN7rocprim17ROCPRIM_400000_NS6detail17trampoline_kernelINS0_14default_configENS1_25partition_config_selectorILNS1_17partition_subalgoE6EfNS0_10empty_typeEbEEZZNS1_14partition_implILS5_6ELb0ES3_mN6thrust23THRUST_200600_302600_NS6detail15normal_iteratorINSA_10device_ptrIfEEEEPS6_SG_NS0_5tupleIJNSA_16discard_iteratorINSA_11use_defaultEEES6_EEENSH_IJSG_SG_EEES6_PlJNSB_9not_fun_tINSB_14equal_to_valueIfEEEEEEE10hipError_tPvRmT3_T4_T5_T6_T7_T9_mT8_P12ihipStream_tbDpT10_ENKUlT_T0_E_clISt17integral_constantIbLb1EES1B_EEDaS16_S17_EUlS16_E_NS1_11comp_targetILNS1_3genE3ELNS1_11target_archE908ELNS1_3gpuE7ELNS1_3repE0EEENS1_30default_config_static_selectorELNS0_4arch9wavefront6targetE0EEEvT1_.has_recursion, 0
	.set _ZN7rocprim17ROCPRIM_400000_NS6detail17trampoline_kernelINS0_14default_configENS1_25partition_config_selectorILNS1_17partition_subalgoE6EfNS0_10empty_typeEbEEZZNS1_14partition_implILS5_6ELb0ES3_mN6thrust23THRUST_200600_302600_NS6detail15normal_iteratorINSA_10device_ptrIfEEEEPS6_SG_NS0_5tupleIJNSA_16discard_iteratorINSA_11use_defaultEEES6_EEENSH_IJSG_SG_EEES6_PlJNSB_9not_fun_tINSB_14equal_to_valueIfEEEEEEE10hipError_tPvRmT3_T4_T5_T6_T7_T9_mT8_P12ihipStream_tbDpT10_ENKUlT_T0_E_clISt17integral_constantIbLb1EES1B_EEDaS16_S17_EUlS16_E_NS1_11comp_targetILNS1_3genE3ELNS1_11target_archE908ELNS1_3gpuE7ELNS1_3repE0EEENS1_30default_config_static_selectorELNS0_4arch9wavefront6targetE0EEEvT1_.has_indirect_call, 0
	.section	.AMDGPU.csdata,"",@progbits
; Kernel info:
; codeLenInByte = 0
; TotalNumSgprs: 0
; NumVgprs: 0
; ScratchSize: 0
; MemoryBound: 0
; FloatMode: 240
; IeeeMode: 1
; LDSByteSize: 0 bytes/workgroup (compile time only)
; SGPRBlocks: 0
; VGPRBlocks: 0
; NumSGPRsForWavesPerEU: 1
; NumVGPRsForWavesPerEU: 1
; Occupancy: 16
; WaveLimiterHint : 0
; COMPUTE_PGM_RSRC2:SCRATCH_EN: 0
; COMPUTE_PGM_RSRC2:USER_SGPR: 2
; COMPUTE_PGM_RSRC2:TRAP_HANDLER: 0
; COMPUTE_PGM_RSRC2:TGID_X_EN: 1
; COMPUTE_PGM_RSRC2:TGID_Y_EN: 0
; COMPUTE_PGM_RSRC2:TGID_Z_EN: 0
; COMPUTE_PGM_RSRC2:TIDIG_COMP_CNT: 0
	.section	.text._ZN7rocprim17ROCPRIM_400000_NS6detail17trampoline_kernelINS0_14default_configENS1_25partition_config_selectorILNS1_17partition_subalgoE6EfNS0_10empty_typeEbEEZZNS1_14partition_implILS5_6ELb0ES3_mN6thrust23THRUST_200600_302600_NS6detail15normal_iteratorINSA_10device_ptrIfEEEEPS6_SG_NS0_5tupleIJNSA_16discard_iteratorINSA_11use_defaultEEES6_EEENSH_IJSG_SG_EEES6_PlJNSB_9not_fun_tINSB_14equal_to_valueIfEEEEEEE10hipError_tPvRmT3_T4_T5_T6_T7_T9_mT8_P12ihipStream_tbDpT10_ENKUlT_T0_E_clISt17integral_constantIbLb1EES1B_EEDaS16_S17_EUlS16_E_NS1_11comp_targetILNS1_3genE2ELNS1_11target_archE906ELNS1_3gpuE6ELNS1_3repE0EEENS1_30default_config_static_selectorELNS0_4arch9wavefront6targetE0EEEvT1_,"axG",@progbits,_ZN7rocprim17ROCPRIM_400000_NS6detail17trampoline_kernelINS0_14default_configENS1_25partition_config_selectorILNS1_17partition_subalgoE6EfNS0_10empty_typeEbEEZZNS1_14partition_implILS5_6ELb0ES3_mN6thrust23THRUST_200600_302600_NS6detail15normal_iteratorINSA_10device_ptrIfEEEEPS6_SG_NS0_5tupleIJNSA_16discard_iteratorINSA_11use_defaultEEES6_EEENSH_IJSG_SG_EEES6_PlJNSB_9not_fun_tINSB_14equal_to_valueIfEEEEEEE10hipError_tPvRmT3_T4_T5_T6_T7_T9_mT8_P12ihipStream_tbDpT10_ENKUlT_T0_E_clISt17integral_constantIbLb1EES1B_EEDaS16_S17_EUlS16_E_NS1_11comp_targetILNS1_3genE2ELNS1_11target_archE906ELNS1_3gpuE6ELNS1_3repE0EEENS1_30default_config_static_selectorELNS0_4arch9wavefront6targetE0EEEvT1_,comdat
	.protected	_ZN7rocprim17ROCPRIM_400000_NS6detail17trampoline_kernelINS0_14default_configENS1_25partition_config_selectorILNS1_17partition_subalgoE6EfNS0_10empty_typeEbEEZZNS1_14partition_implILS5_6ELb0ES3_mN6thrust23THRUST_200600_302600_NS6detail15normal_iteratorINSA_10device_ptrIfEEEEPS6_SG_NS0_5tupleIJNSA_16discard_iteratorINSA_11use_defaultEEES6_EEENSH_IJSG_SG_EEES6_PlJNSB_9not_fun_tINSB_14equal_to_valueIfEEEEEEE10hipError_tPvRmT3_T4_T5_T6_T7_T9_mT8_P12ihipStream_tbDpT10_ENKUlT_T0_E_clISt17integral_constantIbLb1EES1B_EEDaS16_S17_EUlS16_E_NS1_11comp_targetILNS1_3genE2ELNS1_11target_archE906ELNS1_3gpuE6ELNS1_3repE0EEENS1_30default_config_static_selectorELNS0_4arch9wavefront6targetE0EEEvT1_ ; -- Begin function _ZN7rocprim17ROCPRIM_400000_NS6detail17trampoline_kernelINS0_14default_configENS1_25partition_config_selectorILNS1_17partition_subalgoE6EfNS0_10empty_typeEbEEZZNS1_14partition_implILS5_6ELb0ES3_mN6thrust23THRUST_200600_302600_NS6detail15normal_iteratorINSA_10device_ptrIfEEEEPS6_SG_NS0_5tupleIJNSA_16discard_iteratorINSA_11use_defaultEEES6_EEENSH_IJSG_SG_EEES6_PlJNSB_9not_fun_tINSB_14equal_to_valueIfEEEEEEE10hipError_tPvRmT3_T4_T5_T6_T7_T9_mT8_P12ihipStream_tbDpT10_ENKUlT_T0_E_clISt17integral_constantIbLb1EES1B_EEDaS16_S17_EUlS16_E_NS1_11comp_targetILNS1_3genE2ELNS1_11target_archE906ELNS1_3gpuE6ELNS1_3repE0EEENS1_30default_config_static_selectorELNS0_4arch9wavefront6targetE0EEEvT1_
	.globl	_ZN7rocprim17ROCPRIM_400000_NS6detail17trampoline_kernelINS0_14default_configENS1_25partition_config_selectorILNS1_17partition_subalgoE6EfNS0_10empty_typeEbEEZZNS1_14partition_implILS5_6ELb0ES3_mN6thrust23THRUST_200600_302600_NS6detail15normal_iteratorINSA_10device_ptrIfEEEEPS6_SG_NS0_5tupleIJNSA_16discard_iteratorINSA_11use_defaultEEES6_EEENSH_IJSG_SG_EEES6_PlJNSB_9not_fun_tINSB_14equal_to_valueIfEEEEEEE10hipError_tPvRmT3_T4_T5_T6_T7_T9_mT8_P12ihipStream_tbDpT10_ENKUlT_T0_E_clISt17integral_constantIbLb1EES1B_EEDaS16_S17_EUlS16_E_NS1_11comp_targetILNS1_3genE2ELNS1_11target_archE906ELNS1_3gpuE6ELNS1_3repE0EEENS1_30default_config_static_selectorELNS0_4arch9wavefront6targetE0EEEvT1_
	.p2align	8
	.type	_ZN7rocprim17ROCPRIM_400000_NS6detail17trampoline_kernelINS0_14default_configENS1_25partition_config_selectorILNS1_17partition_subalgoE6EfNS0_10empty_typeEbEEZZNS1_14partition_implILS5_6ELb0ES3_mN6thrust23THRUST_200600_302600_NS6detail15normal_iteratorINSA_10device_ptrIfEEEEPS6_SG_NS0_5tupleIJNSA_16discard_iteratorINSA_11use_defaultEEES6_EEENSH_IJSG_SG_EEES6_PlJNSB_9not_fun_tINSB_14equal_to_valueIfEEEEEEE10hipError_tPvRmT3_T4_T5_T6_T7_T9_mT8_P12ihipStream_tbDpT10_ENKUlT_T0_E_clISt17integral_constantIbLb1EES1B_EEDaS16_S17_EUlS16_E_NS1_11comp_targetILNS1_3genE2ELNS1_11target_archE906ELNS1_3gpuE6ELNS1_3repE0EEENS1_30default_config_static_selectorELNS0_4arch9wavefront6targetE0EEEvT1_,@function
_ZN7rocprim17ROCPRIM_400000_NS6detail17trampoline_kernelINS0_14default_configENS1_25partition_config_selectorILNS1_17partition_subalgoE6EfNS0_10empty_typeEbEEZZNS1_14partition_implILS5_6ELb0ES3_mN6thrust23THRUST_200600_302600_NS6detail15normal_iteratorINSA_10device_ptrIfEEEEPS6_SG_NS0_5tupleIJNSA_16discard_iteratorINSA_11use_defaultEEES6_EEENSH_IJSG_SG_EEES6_PlJNSB_9not_fun_tINSB_14equal_to_valueIfEEEEEEE10hipError_tPvRmT3_T4_T5_T6_T7_T9_mT8_P12ihipStream_tbDpT10_ENKUlT_T0_E_clISt17integral_constantIbLb1EES1B_EEDaS16_S17_EUlS16_E_NS1_11comp_targetILNS1_3genE2ELNS1_11target_archE906ELNS1_3gpuE6ELNS1_3repE0EEENS1_30default_config_static_selectorELNS0_4arch9wavefront6targetE0EEEvT1_: ; @_ZN7rocprim17ROCPRIM_400000_NS6detail17trampoline_kernelINS0_14default_configENS1_25partition_config_selectorILNS1_17partition_subalgoE6EfNS0_10empty_typeEbEEZZNS1_14partition_implILS5_6ELb0ES3_mN6thrust23THRUST_200600_302600_NS6detail15normal_iteratorINSA_10device_ptrIfEEEEPS6_SG_NS0_5tupleIJNSA_16discard_iteratorINSA_11use_defaultEEES6_EEENSH_IJSG_SG_EEES6_PlJNSB_9not_fun_tINSB_14equal_to_valueIfEEEEEEE10hipError_tPvRmT3_T4_T5_T6_T7_T9_mT8_P12ihipStream_tbDpT10_ENKUlT_T0_E_clISt17integral_constantIbLb1EES1B_EEDaS16_S17_EUlS16_E_NS1_11comp_targetILNS1_3genE2ELNS1_11target_archE906ELNS1_3gpuE6ELNS1_3repE0EEENS1_30default_config_static_selectorELNS0_4arch9wavefront6targetE0EEEvT1_
; %bb.0:
	.section	.rodata,"a",@progbits
	.p2align	6, 0x0
	.amdhsa_kernel _ZN7rocprim17ROCPRIM_400000_NS6detail17trampoline_kernelINS0_14default_configENS1_25partition_config_selectorILNS1_17partition_subalgoE6EfNS0_10empty_typeEbEEZZNS1_14partition_implILS5_6ELb0ES3_mN6thrust23THRUST_200600_302600_NS6detail15normal_iteratorINSA_10device_ptrIfEEEEPS6_SG_NS0_5tupleIJNSA_16discard_iteratorINSA_11use_defaultEEES6_EEENSH_IJSG_SG_EEES6_PlJNSB_9not_fun_tINSB_14equal_to_valueIfEEEEEEE10hipError_tPvRmT3_T4_T5_T6_T7_T9_mT8_P12ihipStream_tbDpT10_ENKUlT_T0_E_clISt17integral_constantIbLb1EES1B_EEDaS16_S17_EUlS16_E_NS1_11comp_targetILNS1_3genE2ELNS1_11target_archE906ELNS1_3gpuE6ELNS1_3repE0EEENS1_30default_config_static_selectorELNS0_4arch9wavefront6targetE0EEEvT1_
		.amdhsa_group_segment_fixed_size 0
		.amdhsa_private_segment_fixed_size 0
		.amdhsa_kernarg_size 136
		.amdhsa_user_sgpr_count 2
		.amdhsa_user_sgpr_dispatch_ptr 0
		.amdhsa_user_sgpr_queue_ptr 0
		.amdhsa_user_sgpr_kernarg_segment_ptr 1
		.amdhsa_user_sgpr_dispatch_id 0
		.amdhsa_user_sgpr_private_segment_size 0
		.amdhsa_wavefront_size32 1
		.amdhsa_uses_dynamic_stack 0
		.amdhsa_enable_private_segment 0
		.amdhsa_system_sgpr_workgroup_id_x 1
		.amdhsa_system_sgpr_workgroup_id_y 0
		.amdhsa_system_sgpr_workgroup_id_z 0
		.amdhsa_system_sgpr_workgroup_info 0
		.amdhsa_system_vgpr_workitem_id 0
		.amdhsa_next_free_vgpr 1
		.amdhsa_next_free_sgpr 1
		.amdhsa_reserve_vcc 0
		.amdhsa_float_round_mode_32 0
		.amdhsa_float_round_mode_16_64 0
		.amdhsa_float_denorm_mode_32 3
		.amdhsa_float_denorm_mode_16_64 3
		.amdhsa_fp16_overflow 0
		.amdhsa_workgroup_processor_mode 1
		.amdhsa_memory_ordered 1
		.amdhsa_forward_progress 1
		.amdhsa_inst_pref_size 0
		.amdhsa_round_robin_scheduling 0
		.amdhsa_exception_fp_ieee_invalid_op 0
		.amdhsa_exception_fp_denorm_src 0
		.amdhsa_exception_fp_ieee_div_zero 0
		.amdhsa_exception_fp_ieee_overflow 0
		.amdhsa_exception_fp_ieee_underflow 0
		.amdhsa_exception_fp_ieee_inexact 0
		.amdhsa_exception_int_div_zero 0
	.end_amdhsa_kernel
	.section	.text._ZN7rocprim17ROCPRIM_400000_NS6detail17trampoline_kernelINS0_14default_configENS1_25partition_config_selectorILNS1_17partition_subalgoE6EfNS0_10empty_typeEbEEZZNS1_14partition_implILS5_6ELb0ES3_mN6thrust23THRUST_200600_302600_NS6detail15normal_iteratorINSA_10device_ptrIfEEEEPS6_SG_NS0_5tupleIJNSA_16discard_iteratorINSA_11use_defaultEEES6_EEENSH_IJSG_SG_EEES6_PlJNSB_9not_fun_tINSB_14equal_to_valueIfEEEEEEE10hipError_tPvRmT3_T4_T5_T6_T7_T9_mT8_P12ihipStream_tbDpT10_ENKUlT_T0_E_clISt17integral_constantIbLb1EES1B_EEDaS16_S17_EUlS16_E_NS1_11comp_targetILNS1_3genE2ELNS1_11target_archE906ELNS1_3gpuE6ELNS1_3repE0EEENS1_30default_config_static_selectorELNS0_4arch9wavefront6targetE0EEEvT1_,"axG",@progbits,_ZN7rocprim17ROCPRIM_400000_NS6detail17trampoline_kernelINS0_14default_configENS1_25partition_config_selectorILNS1_17partition_subalgoE6EfNS0_10empty_typeEbEEZZNS1_14partition_implILS5_6ELb0ES3_mN6thrust23THRUST_200600_302600_NS6detail15normal_iteratorINSA_10device_ptrIfEEEEPS6_SG_NS0_5tupleIJNSA_16discard_iteratorINSA_11use_defaultEEES6_EEENSH_IJSG_SG_EEES6_PlJNSB_9not_fun_tINSB_14equal_to_valueIfEEEEEEE10hipError_tPvRmT3_T4_T5_T6_T7_T9_mT8_P12ihipStream_tbDpT10_ENKUlT_T0_E_clISt17integral_constantIbLb1EES1B_EEDaS16_S17_EUlS16_E_NS1_11comp_targetILNS1_3genE2ELNS1_11target_archE906ELNS1_3gpuE6ELNS1_3repE0EEENS1_30default_config_static_selectorELNS0_4arch9wavefront6targetE0EEEvT1_,comdat
.Lfunc_end1609:
	.size	_ZN7rocprim17ROCPRIM_400000_NS6detail17trampoline_kernelINS0_14default_configENS1_25partition_config_selectorILNS1_17partition_subalgoE6EfNS0_10empty_typeEbEEZZNS1_14partition_implILS5_6ELb0ES3_mN6thrust23THRUST_200600_302600_NS6detail15normal_iteratorINSA_10device_ptrIfEEEEPS6_SG_NS0_5tupleIJNSA_16discard_iteratorINSA_11use_defaultEEES6_EEENSH_IJSG_SG_EEES6_PlJNSB_9not_fun_tINSB_14equal_to_valueIfEEEEEEE10hipError_tPvRmT3_T4_T5_T6_T7_T9_mT8_P12ihipStream_tbDpT10_ENKUlT_T0_E_clISt17integral_constantIbLb1EES1B_EEDaS16_S17_EUlS16_E_NS1_11comp_targetILNS1_3genE2ELNS1_11target_archE906ELNS1_3gpuE6ELNS1_3repE0EEENS1_30default_config_static_selectorELNS0_4arch9wavefront6targetE0EEEvT1_, .Lfunc_end1609-_ZN7rocprim17ROCPRIM_400000_NS6detail17trampoline_kernelINS0_14default_configENS1_25partition_config_selectorILNS1_17partition_subalgoE6EfNS0_10empty_typeEbEEZZNS1_14partition_implILS5_6ELb0ES3_mN6thrust23THRUST_200600_302600_NS6detail15normal_iteratorINSA_10device_ptrIfEEEEPS6_SG_NS0_5tupleIJNSA_16discard_iteratorINSA_11use_defaultEEES6_EEENSH_IJSG_SG_EEES6_PlJNSB_9not_fun_tINSB_14equal_to_valueIfEEEEEEE10hipError_tPvRmT3_T4_T5_T6_T7_T9_mT8_P12ihipStream_tbDpT10_ENKUlT_T0_E_clISt17integral_constantIbLb1EES1B_EEDaS16_S17_EUlS16_E_NS1_11comp_targetILNS1_3genE2ELNS1_11target_archE906ELNS1_3gpuE6ELNS1_3repE0EEENS1_30default_config_static_selectorELNS0_4arch9wavefront6targetE0EEEvT1_
                                        ; -- End function
	.set _ZN7rocprim17ROCPRIM_400000_NS6detail17trampoline_kernelINS0_14default_configENS1_25partition_config_selectorILNS1_17partition_subalgoE6EfNS0_10empty_typeEbEEZZNS1_14partition_implILS5_6ELb0ES3_mN6thrust23THRUST_200600_302600_NS6detail15normal_iteratorINSA_10device_ptrIfEEEEPS6_SG_NS0_5tupleIJNSA_16discard_iteratorINSA_11use_defaultEEES6_EEENSH_IJSG_SG_EEES6_PlJNSB_9not_fun_tINSB_14equal_to_valueIfEEEEEEE10hipError_tPvRmT3_T4_T5_T6_T7_T9_mT8_P12ihipStream_tbDpT10_ENKUlT_T0_E_clISt17integral_constantIbLb1EES1B_EEDaS16_S17_EUlS16_E_NS1_11comp_targetILNS1_3genE2ELNS1_11target_archE906ELNS1_3gpuE6ELNS1_3repE0EEENS1_30default_config_static_selectorELNS0_4arch9wavefront6targetE0EEEvT1_.num_vgpr, 0
	.set _ZN7rocprim17ROCPRIM_400000_NS6detail17trampoline_kernelINS0_14default_configENS1_25partition_config_selectorILNS1_17partition_subalgoE6EfNS0_10empty_typeEbEEZZNS1_14partition_implILS5_6ELb0ES3_mN6thrust23THRUST_200600_302600_NS6detail15normal_iteratorINSA_10device_ptrIfEEEEPS6_SG_NS0_5tupleIJNSA_16discard_iteratorINSA_11use_defaultEEES6_EEENSH_IJSG_SG_EEES6_PlJNSB_9not_fun_tINSB_14equal_to_valueIfEEEEEEE10hipError_tPvRmT3_T4_T5_T6_T7_T9_mT8_P12ihipStream_tbDpT10_ENKUlT_T0_E_clISt17integral_constantIbLb1EES1B_EEDaS16_S17_EUlS16_E_NS1_11comp_targetILNS1_3genE2ELNS1_11target_archE906ELNS1_3gpuE6ELNS1_3repE0EEENS1_30default_config_static_selectorELNS0_4arch9wavefront6targetE0EEEvT1_.num_agpr, 0
	.set _ZN7rocprim17ROCPRIM_400000_NS6detail17trampoline_kernelINS0_14default_configENS1_25partition_config_selectorILNS1_17partition_subalgoE6EfNS0_10empty_typeEbEEZZNS1_14partition_implILS5_6ELb0ES3_mN6thrust23THRUST_200600_302600_NS6detail15normal_iteratorINSA_10device_ptrIfEEEEPS6_SG_NS0_5tupleIJNSA_16discard_iteratorINSA_11use_defaultEEES6_EEENSH_IJSG_SG_EEES6_PlJNSB_9not_fun_tINSB_14equal_to_valueIfEEEEEEE10hipError_tPvRmT3_T4_T5_T6_T7_T9_mT8_P12ihipStream_tbDpT10_ENKUlT_T0_E_clISt17integral_constantIbLb1EES1B_EEDaS16_S17_EUlS16_E_NS1_11comp_targetILNS1_3genE2ELNS1_11target_archE906ELNS1_3gpuE6ELNS1_3repE0EEENS1_30default_config_static_selectorELNS0_4arch9wavefront6targetE0EEEvT1_.numbered_sgpr, 0
	.set _ZN7rocprim17ROCPRIM_400000_NS6detail17trampoline_kernelINS0_14default_configENS1_25partition_config_selectorILNS1_17partition_subalgoE6EfNS0_10empty_typeEbEEZZNS1_14partition_implILS5_6ELb0ES3_mN6thrust23THRUST_200600_302600_NS6detail15normal_iteratorINSA_10device_ptrIfEEEEPS6_SG_NS0_5tupleIJNSA_16discard_iteratorINSA_11use_defaultEEES6_EEENSH_IJSG_SG_EEES6_PlJNSB_9not_fun_tINSB_14equal_to_valueIfEEEEEEE10hipError_tPvRmT3_T4_T5_T6_T7_T9_mT8_P12ihipStream_tbDpT10_ENKUlT_T0_E_clISt17integral_constantIbLb1EES1B_EEDaS16_S17_EUlS16_E_NS1_11comp_targetILNS1_3genE2ELNS1_11target_archE906ELNS1_3gpuE6ELNS1_3repE0EEENS1_30default_config_static_selectorELNS0_4arch9wavefront6targetE0EEEvT1_.num_named_barrier, 0
	.set _ZN7rocprim17ROCPRIM_400000_NS6detail17trampoline_kernelINS0_14default_configENS1_25partition_config_selectorILNS1_17partition_subalgoE6EfNS0_10empty_typeEbEEZZNS1_14partition_implILS5_6ELb0ES3_mN6thrust23THRUST_200600_302600_NS6detail15normal_iteratorINSA_10device_ptrIfEEEEPS6_SG_NS0_5tupleIJNSA_16discard_iteratorINSA_11use_defaultEEES6_EEENSH_IJSG_SG_EEES6_PlJNSB_9not_fun_tINSB_14equal_to_valueIfEEEEEEE10hipError_tPvRmT3_T4_T5_T6_T7_T9_mT8_P12ihipStream_tbDpT10_ENKUlT_T0_E_clISt17integral_constantIbLb1EES1B_EEDaS16_S17_EUlS16_E_NS1_11comp_targetILNS1_3genE2ELNS1_11target_archE906ELNS1_3gpuE6ELNS1_3repE0EEENS1_30default_config_static_selectorELNS0_4arch9wavefront6targetE0EEEvT1_.private_seg_size, 0
	.set _ZN7rocprim17ROCPRIM_400000_NS6detail17trampoline_kernelINS0_14default_configENS1_25partition_config_selectorILNS1_17partition_subalgoE6EfNS0_10empty_typeEbEEZZNS1_14partition_implILS5_6ELb0ES3_mN6thrust23THRUST_200600_302600_NS6detail15normal_iteratorINSA_10device_ptrIfEEEEPS6_SG_NS0_5tupleIJNSA_16discard_iteratorINSA_11use_defaultEEES6_EEENSH_IJSG_SG_EEES6_PlJNSB_9not_fun_tINSB_14equal_to_valueIfEEEEEEE10hipError_tPvRmT3_T4_T5_T6_T7_T9_mT8_P12ihipStream_tbDpT10_ENKUlT_T0_E_clISt17integral_constantIbLb1EES1B_EEDaS16_S17_EUlS16_E_NS1_11comp_targetILNS1_3genE2ELNS1_11target_archE906ELNS1_3gpuE6ELNS1_3repE0EEENS1_30default_config_static_selectorELNS0_4arch9wavefront6targetE0EEEvT1_.uses_vcc, 0
	.set _ZN7rocprim17ROCPRIM_400000_NS6detail17trampoline_kernelINS0_14default_configENS1_25partition_config_selectorILNS1_17partition_subalgoE6EfNS0_10empty_typeEbEEZZNS1_14partition_implILS5_6ELb0ES3_mN6thrust23THRUST_200600_302600_NS6detail15normal_iteratorINSA_10device_ptrIfEEEEPS6_SG_NS0_5tupleIJNSA_16discard_iteratorINSA_11use_defaultEEES6_EEENSH_IJSG_SG_EEES6_PlJNSB_9not_fun_tINSB_14equal_to_valueIfEEEEEEE10hipError_tPvRmT3_T4_T5_T6_T7_T9_mT8_P12ihipStream_tbDpT10_ENKUlT_T0_E_clISt17integral_constantIbLb1EES1B_EEDaS16_S17_EUlS16_E_NS1_11comp_targetILNS1_3genE2ELNS1_11target_archE906ELNS1_3gpuE6ELNS1_3repE0EEENS1_30default_config_static_selectorELNS0_4arch9wavefront6targetE0EEEvT1_.uses_flat_scratch, 0
	.set _ZN7rocprim17ROCPRIM_400000_NS6detail17trampoline_kernelINS0_14default_configENS1_25partition_config_selectorILNS1_17partition_subalgoE6EfNS0_10empty_typeEbEEZZNS1_14partition_implILS5_6ELb0ES3_mN6thrust23THRUST_200600_302600_NS6detail15normal_iteratorINSA_10device_ptrIfEEEEPS6_SG_NS0_5tupleIJNSA_16discard_iteratorINSA_11use_defaultEEES6_EEENSH_IJSG_SG_EEES6_PlJNSB_9not_fun_tINSB_14equal_to_valueIfEEEEEEE10hipError_tPvRmT3_T4_T5_T6_T7_T9_mT8_P12ihipStream_tbDpT10_ENKUlT_T0_E_clISt17integral_constantIbLb1EES1B_EEDaS16_S17_EUlS16_E_NS1_11comp_targetILNS1_3genE2ELNS1_11target_archE906ELNS1_3gpuE6ELNS1_3repE0EEENS1_30default_config_static_selectorELNS0_4arch9wavefront6targetE0EEEvT1_.has_dyn_sized_stack, 0
	.set _ZN7rocprim17ROCPRIM_400000_NS6detail17trampoline_kernelINS0_14default_configENS1_25partition_config_selectorILNS1_17partition_subalgoE6EfNS0_10empty_typeEbEEZZNS1_14partition_implILS5_6ELb0ES3_mN6thrust23THRUST_200600_302600_NS6detail15normal_iteratorINSA_10device_ptrIfEEEEPS6_SG_NS0_5tupleIJNSA_16discard_iteratorINSA_11use_defaultEEES6_EEENSH_IJSG_SG_EEES6_PlJNSB_9not_fun_tINSB_14equal_to_valueIfEEEEEEE10hipError_tPvRmT3_T4_T5_T6_T7_T9_mT8_P12ihipStream_tbDpT10_ENKUlT_T0_E_clISt17integral_constantIbLb1EES1B_EEDaS16_S17_EUlS16_E_NS1_11comp_targetILNS1_3genE2ELNS1_11target_archE906ELNS1_3gpuE6ELNS1_3repE0EEENS1_30default_config_static_selectorELNS0_4arch9wavefront6targetE0EEEvT1_.has_recursion, 0
	.set _ZN7rocprim17ROCPRIM_400000_NS6detail17trampoline_kernelINS0_14default_configENS1_25partition_config_selectorILNS1_17partition_subalgoE6EfNS0_10empty_typeEbEEZZNS1_14partition_implILS5_6ELb0ES3_mN6thrust23THRUST_200600_302600_NS6detail15normal_iteratorINSA_10device_ptrIfEEEEPS6_SG_NS0_5tupleIJNSA_16discard_iteratorINSA_11use_defaultEEES6_EEENSH_IJSG_SG_EEES6_PlJNSB_9not_fun_tINSB_14equal_to_valueIfEEEEEEE10hipError_tPvRmT3_T4_T5_T6_T7_T9_mT8_P12ihipStream_tbDpT10_ENKUlT_T0_E_clISt17integral_constantIbLb1EES1B_EEDaS16_S17_EUlS16_E_NS1_11comp_targetILNS1_3genE2ELNS1_11target_archE906ELNS1_3gpuE6ELNS1_3repE0EEENS1_30default_config_static_selectorELNS0_4arch9wavefront6targetE0EEEvT1_.has_indirect_call, 0
	.section	.AMDGPU.csdata,"",@progbits
; Kernel info:
; codeLenInByte = 0
; TotalNumSgprs: 0
; NumVgprs: 0
; ScratchSize: 0
; MemoryBound: 0
; FloatMode: 240
; IeeeMode: 1
; LDSByteSize: 0 bytes/workgroup (compile time only)
; SGPRBlocks: 0
; VGPRBlocks: 0
; NumSGPRsForWavesPerEU: 1
; NumVGPRsForWavesPerEU: 1
; Occupancy: 16
; WaveLimiterHint : 0
; COMPUTE_PGM_RSRC2:SCRATCH_EN: 0
; COMPUTE_PGM_RSRC2:USER_SGPR: 2
; COMPUTE_PGM_RSRC2:TRAP_HANDLER: 0
; COMPUTE_PGM_RSRC2:TGID_X_EN: 1
; COMPUTE_PGM_RSRC2:TGID_Y_EN: 0
; COMPUTE_PGM_RSRC2:TGID_Z_EN: 0
; COMPUTE_PGM_RSRC2:TIDIG_COMP_CNT: 0
	.section	.text._ZN7rocprim17ROCPRIM_400000_NS6detail17trampoline_kernelINS0_14default_configENS1_25partition_config_selectorILNS1_17partition_subalgoE6EfNS0_10empty_typeEbEEZZNS1_14partition_implILS5_6ELb0ES3_mN6thrust23THRUST_200600_302600_NS6detail15normal_iteratorINSA_10device_ptrIfEEEEPS6_SG_NS0_5tupleIJNSA_16discard_iteratorINSA_11use_defaultEEES6_EEENSH_IJSG_SG_EEES6_PlJNSB_9not_fun_tINSB_14equal_to_valueIfEEEEEEE10hipError_tPvRmT3_T4_T5_T6_T7_T9_mT8_P12ihipStream_tbDpT10_ENKUlT_T0_E_clISt17integral_constantIbLb1EES1B_EEDaS16_S17_EUlS16_E_NS1_11comp_targetILNS1_3genE10ELNS1_11target_archE1200ELNS1_3gpuE4ELNS1_3repE0EEENS1_30default_config_static_selectorELNS0_4arch9wavefront6targetE0EEEvT1_,"axG",@progbits,_ZN7rocprim17ROCPRIM_400000_NS6detail17trampoline_kernelINS0_14default_configENS1_25partition_config_selectorILNS1_17partition_subalgoE6EfNS0_10empty_typeEbEEZZNS1_14partition_implILS5_6ELb0ES3_mN6thrust23THRUST_200600_302600_NS6detail15normal_iteratorINSA_10device_ptrIfEEEEPS6_SG_NS0_5tupleIJNSA_16discard_iteratorINSA_11use_defaultEEES6_EEENSH_IJSG_SG_EEES6_PlJNSB_9not_fun_tINSB_14equal_to_valueIfEEEEEEE10hipError_tPvRmT3_T4_T5_T6_T7_T9_mT8_P12ihipStream_tbDpT10_ENKUlT_T0_E_clISt17integral_constantIbLb1EES1B_EEDaS16_S17_EUlS16_E_NS1_11comp_targetILNS1_3genE10ELNS1_11target_archE1200ELNS1_3gpuE4ELNS1_3repE0EEENS1_30default_config_static_selectorELNS0_4arch9wavefront6targetE0EEEvT1_,comdat
	.protected	_ZN7rocprim17ROCPRIM_400000_NS6detail17trampoline_kernelINS0_14default_configENS1_25partition_config_selectorILNS1_17partition_subalgoE6EfNS0_10empty_typeEbEEZZNS1_14partition_implILS5_6ELb0ES3_mN6thrust23THRUST_200600_302600_NS6detail15normal_iteratorINSA_10device_ptrIfEEEEPS6_SG_NS0_5tupleIJNSA_16discard_iteratorINSA_11use_defaultEEES6_EEENSH_IJSG_SG_EEES6_PlJNSB_9not_fun_tINSB_14equal_to_valueIfEEEEEEE10hipError_tPvRmT3_T4_T5_T6_T7_T9_mT8_P12ihipStream_tbDpT10_ENKUlT_T0_E_clISt17integral_constantIbLb1EES1B_EEDaS16_S17_EUlS16_E_NS1_11comp_targetILNS1_3genE10ELNS1_11target_archE1200ELNS1_3gpuE4ELNS1_3repE0EEENS1_30default_config_static_selectorELNS0_4arch9wavefront6targetE0EEEvT1_ ; -- Begin function _ZN7rocprim17ROCPRIM_400000_NS6detail17trampoline_kernelINS0_14default_configENS1_25partition_config_selectorILNS1_17partition_subalgoE6EfNS0_10empty_typeEbEEZZNS1_14partition_implILS5_6ELb0ES3_mN6thrust23THRUST_200600_302600_NS6detail15normal_iteratorINSA_10device_ptrIfEEEEPS6_SG_NS0_5tupleIJNSA_16discard_iteratorINSA_11use_defaultEEES6_EEENSH_IJSG_SG_EEES6_PlJNSB_9not_fun_tINSB_14equal_to_valueIfEEEEEEE10hipError_tPvRmT3_T4_T5_T6_T7_T9_mT8_P12ihipStream_tbDpT10_ENKUlT_T0_E_clISt17integral_constantIbLb1EES1B_EEDaS16_S17_EUlS16_E_NS1_11comp_targetILNS1_3genE10ELNS1_11target_archE1200ELNS1_3gpuE4ELNS1_3repE0EEENS1_30default_config_static_selectorELNS0_4arch9wavefront6targetE0EEEvT1_
	.globl	_ZN7rocprim17ROCPRIM_400000_NS6detail17trampoline_kernelINS0_14default_configENS1_25partition_config_selectorILNS1_17partition_subalgoE6EfNS0_10empty_typeEbEEZZNS1_14partition_implILS5_6ELb0ES3_mN6thrust23THRUST_200600_302600_NS6detail15normal_iteratorINSA_10device_ptrIfEEEEPS6_SG_NS0_5tupleIJNSA_16discard_iteratorINSA_11use_defaultEEES6_EEENSH_IJSG_SG_EEES6_PlJNSB_9not_fun_tINSB_14equal_to_valueIfEEEEEEE10hipError_tPvRmT3_T4_T5_T6_T7_T9_mT8_P12ihipStream_tbDpT10_ENKUlT_T0_E_clISt17integral_constantIbLb1EES1B_EEDaS16_S17_EUlS16_E_NS1_11comp_targetILNS1_3genE10ELNS1_11target_archE1200ELNS1_3gpuE4ELNS1_3repE0EEENS1_30default_config_static_selectorELNS0_4arch9wavefront6targetE0EEEvT1_
	.p2align	8
	.type	_ZN7rocprim17ROCPRIM_400000_NS6detail17trampoline_kernelINS0_14default_configENS1_25partition_config_selectorILNS1_17partition_subalgoE6EfNS0_10empty_typeEbEEZZNS1_14partition_implILS5_6ELb0ES3_mN6thrust23THRUST_200600_302600_NS6detail15normal_iteratorINSA_10device_ptrIfEEEEPS6_SG_NS0_5tupleIJNSA_16discard_iteratorINSA_11use_defaultEEES6_EEENSH_IJSG_SG_EEES6_PlJNSB_9not_fun_tINSB_14equal_to_valueIfEEEEEEE10hipError_tPvRmT3_T4_T5_T6_T7_T9_mT8_P12ihipStream_tbDpT10_ENKUlT_T0_E_clISt17integral_constantIbLb1EES1B_EEDaS16_S17_EUlS16_E_NS1_11comp_targetILNS1_3genE10ELNS1_11target_archE1200ELNS1_3gpuE4ELNS1_3repE0EEENS1_30default_config_static_selectorELNS0_4arch9wavefront6targetE0EEEvT1_,@function
_ZN7rocprim17ROCPRIM_400000_NS6detail17trampoline_kernelINS0_14default_configENS1_25partition_config_selectorILNS1_17partition_subalgoE6EfNS0_10empty_typeEbEEZZNS1_14partition_implILS5_6ELb0ES3_mN6thrust23THRUST_200600_302600_NS6detail15normal_iteratorINSA_10device_ptrIfEEEEPS6_SG_NS0_5tupleIJNSA_16discard_iteratorINSA_11use_defaultEEES6_EEENSH_IJSG_SG_EEES6_PlJNSB_9not_fun_tINSB_14equal_to_valueIfEEEEEEE10hipError_tPvRmT3_T4_T5_T6_T7_T9_mT8_P12ihipStream_tbDpT10_ENKUlT_T0_E_clISt17integral_constantIbLb1EES1B_EEDaS16_S17_EUlS16_E_NS1_11comp_targetILNS1_3genE10ELNS1_11target_archE1200ELNS1_3gpuE4ELNS1_3repE0EEENS1_30default_config_static_selectorELNS0_4arch9wavefront6targetE0EEEvT1_: ; @_ZN7rocprim17ROCPRIM_400000_NS6detail17trampoline_kernelINS0_14default_configENS1_25partition_config_selectorILNS1_17partition_subalgoE6EfNS0_10empty_typeEbEEZZNS1_14partition_implILS5_6ELb0ES3_mN6thrust23THRUST_200600_302600_NS6detail15normal_iteratorINSA_10device_ptrIfEEEEPS6_SG_NS0_5tupleIJNSA_16discard_iteratorINSA_11use_defaultEEES6_EEENSH_IJSG_SG_EEES6_PlJNSB_9not_fun_tINSB_14equal_to_valueIfEEEEEEE10hipError_tPvRmT3_T4_T5_T6_T7_T9_mT8_P12ihipStream_tbDpT10_ENKUlT_T0_E_clISt17integral_constantIbLb1EES1B_EEDaS16_S17_EUlS16_E_NS1_11comp_targetILNS1_3genE10ELNS1_11target_archE1200ELNS1_3gpuE4ELNS1_3repE0EEENS1_30default_config_static_selectorELNS0_4arch9wavefront6targetE0EEEvT1_
; %bb.0:
	s_endpgm
	.section	.rodata,"a",@progbits
	.p2align	6, 0x0
	.amdhsa_kernel _ZN7rocprim17ROCPRIM_400000_NS6detail17trampoline_kernelINS0_14default_configENS1_25partition_config_selectorILNS1_17partition_subalgoE6EfNS0_10empty_typeEbEEZZNS1_14partition_implILS5_6ELb0ES3_mN6thrust23THRUST_200600_302600_NS6detail15normal_iteratorINSA_10device_ptrIfEEEEPS6_SG_NS0_5tupleIJNSA_16discard_iteratorINSA_11use_defaultEEES6_EEENSH_IJSG_SG_EEES6_PlJNSB_9not_fun_tINSB_14equal_to_valueIfEEEEEEE10hipError_tPvRmT3_T4_T5_T6_T7_T9_mT8_P12ihipStream_tbDpT10_ENKUlT_T0_E_clISt17integral_constantIbLb1EES1B_EEDaS16_S17_EUlS16_E_NS1_11comp_targetILNS1_3genE10ELNS1_11target_archE1200ELNS1_3gpuE4ELNS1_3repE0EEENS1_30default_config_static_selectorELNS0_4arch9wavefront6targetE0EEEvT1_
		.amdhsa_group_segment_fixed_size 0
		.amdhsa_private_segment_fixed_size 0
		.amdhsa_kernarg_size 136
		.amdhsa_user_sgpr_count 2
		.amdhsa_user_sgpr_dispatch_ptr 0
		.amdhsa_user_sgpr_queue_ptr 0
		.amdhsa_user_sgpr_kernarg_segment_ptr 1
		.amdhsa_user_sgpr_dispatch_id 0
		.amdhsa_user_sgpr_private_segment_size 0
		.amdhsa_wavefront_size32 1
		.amdhsa_uses_dynamic_stack 0
		.amdhsa_enable_private_segment 0
		.amdhsa_system_sgpr_workgroup_id_x 1
		.amdhsa_system_sgpr_workgroup_id_y 0
		.amdhsa_system_sgpr_workgroup_id_z 0
		.amdhsa_system_sgpr_workgroup_info 0
		.amdhsa_system_vgpr_workitem_id 0
		.amdhsa_next_free_vgpr 1
		.amdhsa_next_free_sgpr 1
		.amdhsa_reserve_vcc 0
		.amdhsa_float_round_mode_32 0
		.amdhsa_float_round_mode_16_64 0
		.amdhsa_float_denorm_mode_32 3
		.amdhsa_float_denorm_mode_16_64 3
		.amdhsa_fp16_overflow 0
		.amdhsa_workgroup_processor_mode 1
		.amdhsa_memory_ordered 1
		.amdhsa_forward_progress 1
		.amdhsa_inst_pref_size 1
		.amdhsa_round_robin_scheduling 0
		.amdhsa_exception_fp_ieee_invalid_op 0
		.amdhsa_exception_fp_denorm_src 0
		.amdhsa_exception_fp_ieee_div_zero 0
		.amdhsa_exception_fp_ieee_overflow 0
		.amdhsa_exception_fp_ieee_underflow 0
		.amdhsa_exception_fp_ieee_inexact 0
		.amdhsa_exception_int_div_zero 0
	.end_amdhsa_kernel
	.section	.text._ZN7rocprim17ROCPRIM_400000_NS6detail17trampoline_kernelINS0_14default_configENS1_25partition_config_selectorILNS1_17partition_subalgoE6EfNS0_10empty_typeEbEEZZNS1_14partition_implILS5_6ELb0ES3_mN6thrust23THRUST_200600_302600_NS6detail15normal_iteratorINSA_10device_ptrIfEEEEPS6_SG_NS0_5tupleIJNSA_16discard_iteratorINSA_11use_defaultEEES6_EEENSH_IJSG_SG_EEES6_PlJNSB_9not_fun_tINSB_14equal_to_valueIfEEEEEEE10hipError_tPvRmT3_T4_T5_T6_T7_T9_mT8_P12ihipStream_tbDpT10_ENKUlT_T0_E_clISt17integral_constantIbLb1EES1B_EEDaS16_S17_EUlS16_E_NS1_11comp_targetILNS1_3genE10ELNS1_11target_archE1200ELNS1_3gpuE4ELNS1_3repE0EEENS1_30default_config_static_selectorELNS0_4arch9wavefront6targetE0EEEvT1_,"axG",@progbits,_ZN7rocprim17ROCPRIM_400000_NS6detail17trampoline_kernelINS0_14default_configENS1_25partition_config_selectorILNS1_17partition_subalgoE6EfNS0_10empty_typeEbEEZZNS1_14partition_implILS5_6ELb0ES3_mN6thrust23THRUST_200600_302600_NS6detail15normal_iteratorINSA_10device_ptrIfEEEEPS6_SG_NS0_5tupleIJNSA_16discard_iteratorINSA_11use_defaultEEES6_EEENSH_IJSG_SG_EEES6_PlJNSB_9not_fun_tINSB_14equal_to_valueIfEEEEEEE10hipError_tPvRmT3_T4_T5_T6_T7_T9_mT8_P12ihipStream_tbDpT10_ENKUlT_T0_E_clISt17integral_constantIbLb1EES1B_EEDaS16_S17_EUlS16_E_NS1_11comp_targetILNS1_3genE10ELNS1_11target_archE1200ELNS1_3gpuE4ELNS1_3repE0EEENS1_30default_config_static_selectorELNS0_4arch9wavefront6targetE0EEEvT1_,comdat
.Lfunc_end1610:
	.size	_ZN7rocprim17ROCPRIM_400000_NS6detail17trampoline_kernelINS0_14default_configENS1_25partition_config_selectorILNS1_17partition_subalgoE6EfNS0_10empty_typeEbEEZZNS1_14partition_implILS5_6ELb0ES3_mN6thrust23THRUST_200600_302600_NS6detail15normal_iteratorINSA_10device_ptrIfEEEEPS6_SG_NS0_5tupleIJNSA_16discard_iteratorINSA_11use_defaultEEES6_EEENSH_IJSG_SG_EEES6_PlJNSB_9not_fun_tINSB_14equal_to_valueIfEEEEEEE10hipError_tPvRmT3_T4_T5_T6_T7_T9_mT8_P12ihipStream_tbDpT10_ENKUlT_T0_E_clISt17integral_constantIbLb1EES1B_EEDaS16_S17_EUlS16_E_NS1_11comp_targetILNS1_3genE10ELNS1_11target_archE1200ELNS1_3gpuE4ELNS1_3repE0EEENS1_30default_config_static_selectorELNS0_4arch9wavefront6targetE0EEEvT1_, .Lfunc_end1610-_ZN7rocprim17ROCPRIM_400000_NS6detail17trampoline_kernelINS0_14default_configENS1_25partition_config_selectorILNS1_17partition_subalgoE6EfNS0_10empty_typeEbEEZZNS1_14partition_implILS5_6ELb0ES3_mN6thrust23THRUST_200600_302600_NS6detail15normal_iteratorINSA_10device_ptrIfEEEEPS6_SG_NS0_5tupleIJNSA_16discard_iteratorINSA_11use_defaultEEES6_EEENSH_IJSG_SG_EEES6_PlJNSB_9not_fun_tINSB_14equal_to_valueIfEEEEEEE10hipError_tPvRmT3_T4_T5_T6_T7_T9_mT8_P12ihipStream_tbDpT10_ENKUlT_T0_E_clISt17integral_constantIbLb1EES1B_EEDaS16_S17_EUlS16_E_NS1_11comp_targetILNS1_3genE10ELNS1_11target_archE1200ELNS1_3gpuE4ELNS1_3repE0EEENS1_30default_config_static_selectorELNS0_4arch9wavefront6targetE0EEEvT1_
                                        ; -- End function
	.set _ZN7rocprim17ROCPRIM_400000_NS6detail17trampoline_kernelINS0_14default_configENS1_25partition_config_selectorILNS1_17partition_subalgoE6EfNS0_10empty_typeEbEEZZNS1_14partition_implILS5_6ELb0ES3_mN6thrust23THRUST_200600_302600_NS6detail15normal_iteratorINSA_10device_ptrIfEEEEPS6_SG_NS0_5tupleIJNSA_16discard_iteratorINSA_11use_defaultEEES6_EEENSH_IJSG_SG_EEES6_PlJNSB_9not_fun_tINSB_14equal_to_valueIfEEEEEEE10hipError_tPvRmT3_T4_T5_T6_T7_T9_mT8_P12ihipStream_tbDpT10_ENKUlT_T0_E_clISt17integral_constantIbLb1EES1B_EEDaS16_S17_EUlS16_E_NS1_11comp_targetILNS1_3genE10ELNS1_11target_archE1200ELNS1_3gpuE4ELNS1_3repE0EEENS1_30default_config_static_selectorELNS0_4arch9wavefront6targetE0EEEvT1_.num_vgpr, 0
	.set _ZN7rocprim17ROCPRIM_400000_NS6detail17trampoline_kernelINS0_14default_configENS1_25partition_config_selectorILNS1_17partition_subalgoE6EfNS0_10empty_typeEbEEZZNS1_14partition_implILS5_6ELb0ES3_mN6thrust23THRUST_200600_302600_NS6detail15normal_iteratorINSA_10device_ptrIfEEEEPS6_SG_NS0_5tupleIJNSA_16discard_iteratorINSA_11use_defaultEEES6_EEENSH_IJSG_SG_EEES6_PlJNSB_9not_fun_tINSB_14equal_to_valueIfEEEEEEE10hipError_tPvRmT3_T4_T5_T6_T7_T9_mT8_P12ihipStream_tbDpT10_ENKUlT_T0_E_clISt17integral_constantIbLb1EES1B_EEDaS16_S17_EUlS16_E_NS1_11comp_targetILNS1_3genE10ELNS1_11target_archE1200ELNS1_3gpuE4ELNS1_3repE0EEENS1_30default_config_static_selectorELNS0_4arch9wavefront6targetE0EEEvT1_.num_agpr, 0
	.set _ZN7rocprim17ROCPRIM_400000_NS6detail17trampoline_kernelINS0_14default_configENS1_25partition_config_selectorILNS1_17partition_subalgoE6EfNS0_10empty_typeEbEEZZNS1_14partition_implILS5_6ELb0ES3_mN6thrust23THRUST_200600_302600_NS6detail15normal_iteratorINSA_10device_ptrIfEEEEPS6_SG_NS0_5tupleIJNSA_16discard_iteratorINSA_11use_defaultEEES6_EEENSH_IJSG_SG_EEES6_PlJNSB_9not_fun_tINSB_14equal_to_valueIfEEEEEEE10hipError_tPvRmT3_T4_T5_T6_T7_T9_mT8_P12ihipStream_tbDpT10_ENKUlT_T0_E_clISt17integral_constantIbLb1EES1B_EEDaS16_S17_EUlS16_E_NS1_11comp_targetILNS1_3genE10ELNS1_11target_archE1200ELNS1_3gpuE4ELNS1_3repE0EEENS1_30default_config_static_selectorELNS0_4arch9wavefront6targetE0EEEvT1_.numbered_sgpr, 0
	.set _ZN7rocprim17ROCPRIM_400000_NS6detail17trampoline_kernelINS0_14default_configENS1_25partition_config_selectorILNS1_17partition_subalgoE6EfNS0_10empty_typeEbEEZZNS1_14partition_implILS5_6ELb0ES3_mN6thrust23THRUST_200600_302600_NS6detail15normal_iteratorINSA_10device_ptrIfEEEEPS6_SG_NS0_5tupleIJNSA_16discard_iteratorINSA_11use_defaultEEES6_EEENSH_IJSG_SG_EEES6_PlJNSB_9not_fun_tINSB_14equal_to_valueIfEEEEEEE10hipError_tPvRmT3_T4_T5_T6_T7_T9_mT8_P12ihipStream_tbDpT10_ENKUlT_T0_E_clISt17integral_constantIbLb1EES1B_EEDaS16_S17_EUlS16_E_NS1_11comp_targetILNS1_3genE10ELNS1_11target_archE1200ELNS1_3gpuE4ELNS1_3repE0EEENS1_30default_config_static_selectorELNS0_4arch9wavefront6targetE0EEEvT1_.num_named_barrier, 0
	.set _ZN7rocprim17ROCPRIM_400000_NS6detail17trampoline_kernelINS0_14default_configENS1_25partition_config_selectorILNS1_17partition_subalgoE6EfNS0_10empty_typeEbEEZZNS1_14partition_implILS5_6ELb0ES3_mN6thrust23THRUST_200600_302600_NS6detail15normal_iteratorINSA_10device_ptrIfEEEEPS6_SG_NS0_5tupleIJNSA_16discard_iteratorINSA_11use_defaultEEES6_EEENSH_IJSG_SG_EEES6_PlJNSB_9not_fun_tINSB_14equal_to_valueIfEEEEEEE10hipError_tPvRmT3_T4_T5_T6_T7_T9_mT8_P12ihipStream_tbDpT10_ENKUlT_T0_E_clISt17integral_constantIbLb1EES1B_EEDaS16_S17_EUlS16_E_NS1_11comp_targetILNS1_3genE10ELNS1_11target_archE1200ELNS1_3gpuE4ELNS1_3repE0EEENS1_30default_config_static_selectorELNS0_4arch9wavefront6targetE0EEEvT1_.private_seg_size, 0
	.set _ZN7rocprim17ROCPRIM_400000_NS6detail17trampoline_kernelINS0_14default_configENS1_25partition_config_selectorILNS1_17partition_subalgoE6EfNS0_10empty_typeEbEEZZNS1_14partition_implILS5_6ELb0ES3_mN6thrust23THRUST_200600_302600_NS6detail15normal_iteratorINSA_10device_ptrIfEEEEPS6_SG_NS0_5tupleIJNSA_16discard_iteratorINSA_11use_defaultEEES6_EEENSH_IJSG_SG_EEES6_PlJNSB_9not_fun_tINSB_14equal_to_valueIfEEEEEEE10hipError_tPvRmT3_T4_T5_T6_T7_T9_mT8_P12ihipStream_tbDpT10_ENKUlT_T0_E_clISt17integral_constantIbLb1EES1B_EEDaS16_S17_EUlS16_E_NS1_11comp_targetILNS1_3genE10ELNS1_11target_archE1200ELNS1_3gpuE4ELNS1_3repE0EEENS1_30default_config_static_selectorELNS0_4arch9wavefront6targetE0EEEvT1_.uses_vcc, 0
	.set _ZN7rocprim17ROCPRIM_400000_NS6detail17trampoline_kernelINS0_14default_configENS1_25partition_config_selectorILNS1_17partition_subalgoE6EfNS0_10empty_typeEbEEZZNS1_14partition_implILS5_6ELb0ES3_mN6thrust23THRUST_200600_302600_NS6detail15normal_iteratorINSA_10device_ptrIfEEEEPS6_SG_NS0_5tupleIJNSA_16discard_iteratorINSA_11use_defaultEEES6_EEENSH_IJSG_SG_EEES6_PlJNSB_9not_fun_tINSB_14equal_to_valueIfEEEEEEE10hipError_tPvRmT3_T4_T5_T6_T7_T9_mT8_P12ihipStream_tbDpT10_ENKUlT_T0_E_clISt17integral_constantIbLb1EES1B_EEDaS16_S17_EUlS16_E_NS1_11comp_targetILNS1_3genE10ELNS1_11target_archE1200ELNS1_3gpuE4ELNS1_3repE0EEENS1_30default_config_static_selectorELNS0_4arch9wavefront6targetE0EEEvT1_.uses_flat_scratch, 0
	.set _ZN7rocprim17ROCPRIM_400000_NS6detail17trampoline_kernelINS0_14default_configENS1_25partition_config_selectorILNS1_17partition_subalgoE6EfNS0_10empty_typeEbEEZZNS1_14partition_implILS5_6ELb0ES3_mN6thrust23THRUST_200600_302600_NS6detail15normal_iteratorINSA_10device_ptrIfEEEEPS6_SG_NS0_5tupleIJNSA_16discard_iteratorINSA_11use_defaultEEES6_EEENSH_IJSG_SG_EEES6_PlJNSB_9not_fun_tINSB_14equal_to_valueIfEEEEEEE10hipError_tPvRmT3_T4_T5_T6_T7_T9_mT8_P12ihipStream_tbDpT10_ENKUlT_T0_E_clISt17integral_constantIbLb1EES1B_EEDaS16_S17_EUlS16_E_NS1_11comp_targetILNS1_3genE10ELNS1_11target_archE1200ELNS1_3gpuE4ELNS1_3repE0EEENS1_30default_config_static_selectorELNS0_4arch9wavefront6targetE0EEEvT1_.has_dyn_sized_stack, 0
	.set _ZN7rocprim17ROCPRIM_400000_NS6detail17trampoline_kernelINS0_14default_configENS1_25partition_config_selectorILNS1_17partition_subalgoE6EfNS0_10empty_typeEbEEZZNS1_14partition_implILS5_6ELb0ES3_mN6thrust23THRUST_200600_302600_NS6detail15normal_iteratorINSA_10device_ptrIfEEEEPS6_SG_NS0_5tupleIJNSA_16discard_iteratorINSA_11use_defaultEEES6_EEENSH_IJSG_SG_EEES6_PlJNSB_9not_fun_tINSB_14equal_to_valueIfEEEEEEE10hipError_tPvRmT3_T4_T5_T6_T7_T9_mT8_P12ihipStream_tbDpT10_ENKUlT_T0_E_clISt17integral_constantIbLb1EES1B_EEDaS16_S17_EUlS16_E_NS1_11comp_targetILNS1_3genE10ELNS1_11target_archE1200ELNS1_3gpuE4ELNS1_3repE0EEENS1_30default_config_static_selectorELNS0_4arch9wavefront6targetE0EEEvT1_.has_recursion, 0
	.set _ZN7rocprim17ROCPRIM_400000_NS6detail17trampoline_kernelINS0_14default_configENS1_25partition_config_selectorILNS1_17partition_subalgoE6EfNS0_10empty_typeEbEEZZNS1_14partition_implILS5_6ELb0ES3_mN6thrust23THRUST_200600_302600_NS6detail15normal_iteratorINSA_10device_ptrIfEEEEPS6_SG_NS0_5tupleIJNSA_16discard_iteratorINSA_11use_defaultEEES6_EEENSH_IJSG_SG_EEES6_PlJNSB_9not_fun_tINSB_14equal_to_valueIfEEEEEEE10hipError_tPvRmT3_T4_T5_T6_T7_T9_mT8_P12ihipStream_tbDpT10_ENKUlT_T0_E_clISt17integral_constantIbLb1EES1B_EEDaS16_S17_EUlS16_E_NS1_11comp_targetILNS1_3genE10ELNS1_11target_archE1200ELNS1_3gpuE4ELNS1_3repE0EEENS1_30default_config_static_selectorELNS0_4arch9wavefront6targetE0EEEvT1_.has_indirect_call, 0
	.section	.AMDGPU.csdata,"",@progbits
; Kernel info:
; codeLenInByte = 4
; TotalNumSgprs: 0
; NumVgprs: 0
; ScratchSize: 0
; MemoryBound: 0
; FloatMode: 240
; IeeeMode: 1
; LDSByteSize: 0 bytes/workgroup (compile time only)
; SGPRBlocks: 0
; VGPRBlocks: 0
; NumSGPRsForWavesPerEU: 1
; NumVGPRsForWavesPerEU: 1
; Occupancy: 16
; WaveLimiterHint : 0
; COMPUTE_PGM_RSRC2:SCRATCH_EN: 0
; COMPUTE_PGM_RSRC2:USER_SGPR: 2
; COMPUTE_PGM_RSRC2:TRAP_HANDLER: 0
; COMPUTE_PGM_RSRC2:TGID_X_EN: 1
; COMPUTE_PGM_RSRC2:TGID_Y_EN: 0
; COMPUTE_PGM_RSRC2:TGID_Z_EN: 0
; COMPUTE_PGM_RSRC2:TIDIG_COMP_CNT: 0
	.section	.text._ZN7rocprim17ROCPRIM_400000_NS6detail17trampoline_kernelINS0_14default_configENS1_25partition_config_selectorILNS1_17partition_subalgoE6EfNS0_10empty_typeEbEEZZNS1_14partition_implILS5_6ELb0ES3_mN6thrust23THRUST_200600_302600_NS6detail15normal_iteratorINSA_10device_ptrIfEEEEPS6_SG_NS0_5tupleIJNSA_16discard_iteratorINSA_11use_defaultEEES6_EEENSH_IJSG_SG_EEES6_PlJNSB_9not_fun_tINSB_14equal_to_valueIfEEEEEEE10hipError_tPvRmT3_T4_T5_T6_T7_T9_mT8_P12ihipStream_tbDpT10_ENKUlT_T0_E_clISt17integral_constantIbLb1EES1B_EEDaS16_S17_EUlS16_E_NS1_11comp_targetILNS1_3genE9ELNS1_11target_archE1100ELNS1_3gpuE3ELNS1_3repE0EEENS1_30default_config_static_selectorELNS0_4arch9wavefront6targetE0EEEvT1_,"axG",@progbits,_ZN7rocprim17ROCPRIM_400000_NS6detail17trampoline_kernelINS0_14default_configENS1_25partition_config_selectorILNS1_17partition_subalgoE6EfNS0_10empty_typeEbEEZZNS1_14partition_implILS5_6ELb0ES3_mN6thrust23THRUST_200600_302600_NS6detail15normal_iteratorINSA_10device_ptrIfEEEEPS6_SG_NS0_5tupleIJNSA_16discard_iteratorINSA_11use_defaultEEES6_EEENSH_IJSG_SG_EEES6_PlJNSB_9not_fun_tINSB_14equal_to_valueIfEEEEEEE10hipError_tPvRmT3_T4_T5_T6_T7_T9_mT8_P12ihipStream_tbDpT10_ENKUlT_T0_E_clISt17integral_constantIbLb1EES1B_EEDaS16_S17_EUlS16_E_NS1_11comp_targetILNS1_3genE9ELNS1_11target_archE1100ELNS1_3gpuE3ELNS1_3repE0EEENS1_30default_config_static_selectorELNS0_4arch9wavefront6targetE0EEEvT1_,comdat
	.protected	_ZN7rocprim17ROCPRIM_400000_NS6detail17trampoline_kernelINS0_14default_configENS1_25partition_config_selectorILNS1_17partition_subalgoE6EfNS0_10empty_typeEbEEZZNS1_14partition_implILS5_6ELb0ES3_mN6thrust23THRUST_200600_302600_NS6detail15normal_iteratorINSA_10device_ptrIfEEEEPS6_SG_NS0_5tupleIJNSA_16discard_iteratorINSA_11use_defaultEEES6_EEENSH_IJSG_SG_EEES6_PlJNSB_9not_fun_tINSB_14equal_to_valueIfEEEEEEE10hipError_tPvRmT3_T4_T5_T6_T7_T9_mT8_P12ihipStream_tbDpT10_ENKUlT_T0_E_clISt17integral_constantIbLb1EES1B_EEDaS16_S17_EUlS16_E_NS1_11comp_targetILNS1_3genE9ELNS1_11target_archE1100ELNS1_3gpuE3ELNS1_3repE0EEENS1_30default_config_static_selectorELNS0_4arch9wavefront6targetE0EEEvT1_ ; -- Begin function _ZN7rocprim17ROCPRIM_400000_NS6detail17trampoline_kernelINS0_14default_configENS1_25partition_config_selectorILNS1_17partition_subalgoE6EfNS0_10empty_typeEbEEZZNS1_14partition_implILS5_6ELb0ES3_mN6thrust23THRUST_200600_302600_NS6detail15normal_iteratorINSA_10device_ptrIfEEEEPS6_SG_NS0_5tupleIJNSA_16discard_iteratorINSA_11use_defaultEEES6_EEENSH_IJSG_SG_EEES6_PlJNSB_9not_fun_tINSB_14equal_to_valueIfEEEEEEE10hipError_tPvRmT3_T4_T5_T6_T7_T9_mT8_P12ihipStream_tbDpT10_ENKUlT_T0_E_clISt17integral_constantIbLb1EES1B_EEDaS16_S17_EUlS16_E_NS1_11comp_targetILNS1_3genE9ELNS1_11target_archE1100ELNS1_3gpuE3ELNS1_3repE0EEENS1_30default_config_static_selectorELNS0_4arch9wavefront6targetE0EEEvT1_
	.globl	_ZN7rocprim17ROCPRIM_400000_NS6detail17trampoline_kernelINS0_14default_configENS1_25partition_config_selectorILNS1_17partition_subalgoE6EfNS0_10empty_typeEbEEZZNS1_14partition_implILS5_6ELb0ES3_mN6thrust23THRUST_200600_302600_NS6detail15normal_iteratorINSA_10device_ptrIfEEEEPS6_SG_NS0_5tupleIJNSA_16discard_iteratorINSA_11use_defaultEEES6_EEENSH_IJSG_SG_EEES6_PlJNSB_9not_fun_tINSB_14equal_to_valueIfEEEEEEE10hipError_tPvRmT3_T4_T5_T6_T7_T9_mT8_P12ihipStream_tbDpT10_ENKUlT_T0_E_clISt17integral_constantIbLb1EES1B_EEDaS16_S17_EUlS16_E_NS1_11comp_targetILNS1_3genE9ELNS1_11target_archE1100ELNS1_3gpuE3ELNS1_3repE0EEENS1_30default_config_static_selectorELNS0_4arch9wavefront6targetE0EEEvT1_
	.p2align	8
	.type	_ZN7rocprim17ROCPRIM_400000_NS6detail17trampoline_kernelINS0_14default_configENS1_25partition_config_selectorILNS1_17partition_subalgoE6EfNS0_10empty_typeEbEEZZNS1_14partition_implILS5_6ELb0ES3_mN6thrust23THRUST_200600_302600_NS6detail15normal_iteratorINSA_10device_ptrIfEEEEPS6_SG_NS0_5tupleIJNSA_16discard_iteratorINSA_11use_defaultEEES6_EEENSH_IJSG_SG_EEES6_PlJNSB_9not_fun_tINSB_14equal_to_valueIfEEEEEEE10hipError_tPvRmT3_T4_T5_T6_T7_T9_mT8_P12ihipStream_tbDpT10_ENKUlT_T0_E_clISt17integral_constantIbLb1EES1B_EEDaS16_S17_EUlS16_E_NS1_11comp_targetILNS1_3genE9ELNS1_11target_archE1100ELNS1_3gpuE3ELNS1_3repE0EEENS1_30default_config_static_selectorELNS0_4arch9wavefront6targetE0EEEvT1_,@function
_ZN7rocprim17ROCPRIM_400000_NS6detail17trampoline_kernelINS0_14default_configENS1_25partition_config_selectorILNS1_17partition_subalgoE6EfNS0_10empty_typeEbEEZZNS1_14partition_implILS5_6ELb0ES3_mN6thrust23THRUST_200600_302600_NS6detail15normal_iteratorINSA_10device_ptrIfEEEEPS6_SG_NS0_5tupleIJNSA_16discard_iteratorINSA_11use_defaultEEES6_EEENSH_IJSG_SG_EEES6_PlJNSB_9not_fun_tINSB_14equal_to_valueIfEEEEEEE10hipError_tPvRmT3_T4_T5_T6_T7_T9_mT8_P12ihipStream_tbDpT10_ENKUlT_T0_E_clISt17integral_constantIbLb1EES1B_EEDaS16_S17_EUlS16_E_NS1_11comp_targetILNS1_3genE9ELNS1_11target_archE1100ELNS1_3gpuE3ELNS1_3repE0EEENS1_30default_config_static_selectorELNS0_4arch9wavefront6targetE0EEEvT1_: ; @_ZN7rocprim17ROCPRIM_400000_NS6detail17trampoline_kernelINS0_14default_configENS1_25partition_config_selectorILNS1_17partition_subalgoE6EfNS0_10empty_typeEbEEZZNS1_14partition_implILS5_6ELb0ES3_mN6thrust23THRUST_200600_302600_NS6detail15normal_iteratorINSA_10device_ptrIfEEEEPS6_SG_NS0_5tupleIJNSA_16discard_iteratorINSA_11use_defaultEEES6_EEENSH_IJSG_SG_EEES6_PlJNSB_9not_fun_tINSB_14equal_to_valueIfEEEEEEE10hipError_tPvRmT3_T4_T5_T6_T7_T9_mT8_P12ihipStream_tbDpT10_ENKUlT_T0_E_clISt17integral_constantIbLb1EES1B_EEDaS16_S17_EUlS16_E_NS1_11comp_targetILNS1_3genE9ELNS1_11target_archE1100ELNS1_3gpuE3ELNS1_3repE0EEENS1_30default_config_static_selectorELNS0_4arch9wavefront6targetE0EEEvT1_
; %bb.0:
	.section	.rodata,"a",@progbits
	.p2align	6, 0x0
	.amdhsa_kernel _ZN7rocprim17ROCPRIM_400000_NS6detail17trampoline_kernelINS0_14default_configENS1_25partition_config_selectorILNS1_17partition_subalgoE6EfNS0_10empty_typeEbEEZZNS1_14partition_implILS5_6ELb0ES3_mN6thrust23THRUST_200600_302600_NS6detail15normal_iteratorINSA_10device_ptrIfEEEEPS6_SG_NS0_5tupleIJNSA_16discard_iteratorINSA_11use_defaultEEES6_EEENSH_IJSG_SG_EEES6_PlJNSB_9not_fun_tINSB_14equal_to_valueIfEEEEEEE10hipError_tPvRmT3_T4_T5_T6_T7_T9_mT8_P12ihipStream_tbDpT10_ENKUlT_T0_E_clISt17integral_constantIbLb1EES1B_EEDaS16_S17_EUlS16_E_NS1_11comp_targetILNS1_3genE9ELNS1_11target_archE1100ELNS1_3gpuE3ELNS1_3repE0EEENS1_30default_config_static_selectorELNS0_4arch9wavefront6targetE0EEEvT1_
		.amdhsa_group_segment_fixed_size 0
		.amdhsa_private_segment_fixed_size 0
		.amdhsa_kernarg_size 136
		.amdhsa_user_sgpr_count 2
		.amdhsa_user_sgpr_dispatch_ptr 0
		.amdhsa_user_sgpr_queue_ptr 0
		.amdhsa_user_sgpr_kernarg_segment_ptr 1
		.amdhsa_user_sgpr_dispatch_id 0
		.amdhsa_user_sgpr_private_segment_size 0
		.amdhsa_wavefront_size32 1
		.amdhsa_uses_dynamic_stack 0
		.amdhsa_enable_private_segment 0
		.amdhsa_system_sgpr_workgroup_id_x 1
		.amdhsa_system_sgpr_workgroup_id_y 0
		.amdhsa_system_sgpr_workgroup_id_z 0
		.amdhsa_system_sgpr_workgroup_info 0
		.amdhsa_system_vgpr_workitem_id 0
		.amdhsa_next_free_vgpr 1
		.amdhsa_next_free_sgpr 1
		.amdhsa_reserve_vcc 0
		.amdhsa_float_round_mode_32 0
		.amdhsa_float_round_mode_16_64 0
		.amdhsa_float_denorm_mode_32 3
		.amdhsa_float_denorm_mode_16_64 3
		.amdhsa_fp16_overflow 0
		.amdhsa_workgroup_processor_mode 1
		.amdhsa_memory_ordered 1
		.amdhsa_forward_progress 1
		.amdhsa_inst_pref_size 0
		.amdhsa_round_robin_scheduling 0
		.amdhsa_exception_fp_ieee_invalid_op 0
		.amdhsa_exception_fp_denorm_src 0
		.amdhsa_exception_fp_ieee_div_zero 0
		.amdhsa_exception_fp_ieee_overflow 0
		.amdhsa_exception_fp_ieee_underflow 0
		.amdhsa_exception_fp_ieee_inexact 0
		.amdhsa_exception_int_div_zero 0
	.end_amdhsa_kernel
	.section	.text._ZN7rocprim17ROCPRIM_400000_NS6detail17trampoline_kernelINS0_14default_configENS1_25partition_config_selectorILNS1_17partition_subalgoE6EfNS0_10empty_typeEbEEZZNS1_14partition_implILS5_6ELb0ES3_mN6thrust23THRUST_200600_302600_NS6detail15normal_iteratorINSA_10device_ptrIfEEEEPS6_SG_NS0_5tupleIJNSA_16discard_iteratorINSA_11use_defaultEEES6_EEENSH_IJSG_SG_EEES6_PlJNSB_9not_fun_tINSB_14equal_to_valueIfEEEEEEE10hipError_tPvRmT3_T4_T5_T6_T7_T9_mT8_P12ihipStream_tbDpT10_ENKUlT_T0_E_clISt17integral_constantIbLb1EES1B_EEDaS16_S17_EUlS16_E_NS1_11comp_targetILNS1_3genE9ELNS1_11target_archE1100ELNS1_3gpuE3ELNS1_3repE0EEENS1_30default_config_static_selectorELNS0_4arch9wavefront6targetE0EEEvT1_,"axG",@progbits,_ZN7rocprim17ROCPRIM_400000_NS6detail17trampoline_kernelINS0_14default_configENS1_25partition_config_selectorILNS1_17partition_subalgoE6EfNS0_10empty_typeEbEEZZNS1_14partition_implILS5_6ELb0ES3_mN6thrust23THRUST_200600_302600_NS6detail15normal_iteratorINSA_10device_ptrIfEEEEPS6_SG_NS0_5tupleIJNSA_16discard_iteratorINSA_11use_defaultEEES6_EEENSH_IJSG_SG_EEES6_PlJNSB_9not_fun_tINSB_14equal_to_valueIfEEEEEEE10hipError_tPvRmT3_T4_T5_T6_T7_T9_mT8_P12ihipStream_tbDpT10_ENKUlT_T0_E_clISt17integral_constantIbLb1EES1B_EEDaS16_S17_EUlS16_E_NS1_11comp_targetILNS1_3genE9ELNS1_11target_archE1100ELNS1_3gpuE3ELNS1_3repE0EEENS1_30default_config_static_selectorELNS0_4arch9wavefront6targetE0EEEvT1_,comdat
.Lfunc_end1611:
	.size	_ZN7rocprim17ROCPRIM_400000_NS6detail17trampoline_kernelINS0_14default_configENS1_25partition_config_selectorILNS1_17partition_subalgoE6EfNS0_10empty_typeEbEEZZNS1_14partition_implILS5_6ELb0ES3_mN6thrust23THRUST_200600_302600_NS6detail15normal_iteratorINSA_10device_ptrIfEEEEPS6_SG_NS0_5tupleIJNSA_16discard_iteratorINSA_11use_defaultEEES6_EEENSH_IJSG_SG_EEES6_PlJNSB_9not_fun_tINSB_14equal_to_valueIfEEEEEEE10hipError_tPvRmT3_T4_T5_T6_T7_T9_mT8_P12ihipStream_tbDpT10_ENKUlT_T0_E_clISt17integral_constantIbLb1EES1B_EEDaS16_S17_EUlS16_E_NS1_11comp_targetILNS1_3genE9ELNS1_11target_archE1100ELNS1_3gpuE3ELNS1_3repE0EEENS1_30default_config_static_selectorELNS0_4arch9wavefront6targetE0EEEvT1_, .Lfunc_end1611-_ZN7rocprim17ROCPRIM_400000_NS6detail17trampoline_kernelINS0_14default_configENS1_25partition_config_selectorILNS1_17partition_subalgoE6EfNS0_10empty_typeEbEEZZNS1_14partition_implILS5_6ELb0ES3_mN6thrust23THRUST_200600_302600_NS6detail15normal_iteratorINSA_10device_ptrIfEEEEPS6_SG_NS0_5tupleIJNSA_16discard_iteratorINSA_11use_defaultEEES6_EEENSH_IJSG_SG_EEES6_PlJNSB_9not_fun_tINSB_14equal_to_valueIfEEEEEEE10hipError_tPvRmT3_T4_T5_T6_T7_T9_mT8_P12ihipStream_tbDpT10_ENKUlT_T0_E_clISt17integral_constantIbLb1EES1B_EEDaS16_S17_EUlS16_E_NS1_11comp_targetILNS1_3genE9ELNS1_11target_archE1100ELNS1_3gpuE3ELNS1_3repE0EEENS1_30default_config_static_selectorELNS0_4arch9wavefront6targetE0EEEvT1_
                                        ; -- End function
	.set _ZN7rocprim17ROCPRIM_400000_NS6detail17trampoline_kernelINS0_14default_configENS1_25partition_config_selectorILNS1_17partition_subalgoE6EfNS0_10empty_typeEbEEZZNS1_14partition_implILS5_6ELb0ES3_mN6thrust23THRUST_200600_302600_NS6detail15normal_iteratorINSA_10device_ptrIfEEEEPS6_SG_NS0_5tupleIJNSA_16discard_iteratorINSA_11use_defaultEEES6_EEENSH_IJSG_SG_EEES6_PlJNSB_9not_fun_tINSB_14equal_to_valueIfEEEEEEE10hipError_tPvRmT3_T4_T5_T6_T7_T9_mT8_P12ihipStream_tbDpT10_ENKUlT_T0_E_clISt17integral_constantIbLb1EES1B_EEDaS16_S17_EUlS16_E_NS1_11comp_targetILNS1_3genE9ELNS1_11target_archE1100ELNS1_3gpuE3ELNS1_3repE0EEENS1_30default_config_static_selectorELNS0_4arch9wavefront6targetE0EEEvT1_.num_vgpr, 0
	.set _ZN7rocprim17ROCPRIM_400000_NS6detail17trampoline_kernelINS0_14default_configENS1_25partition_config_selectorILNS1_17partition_subalgoE6EfNS0_10empty_typeEbEEZZNS1_14partition_implILS5_6ELb0ES3_mN6thrust23THRUST_200600_302600_NS6detail15normal_iteratorINSA_10device_ptrIfEEEEPS6_SG_NS0_5tupleIJNSA_16discard_iteratorINSA_11use_defaultEEES6_EEENSH_IJSG_SG_EEES6_PlJNSB_9not_fun_tINSB_14equal_to_valueIfEEEEEEE10hipError_tPvRmT3_T4_T5_T6_T7_T9_mT8_P12ihipStream_tbDpT10_ENKUlT_T0_E_clISt17integral_constantIbLb1EES1B_EEDaS16_S17_EUlS16_E_NS1_11comp_targetILNS1_3genE9ELNS1_11target_archE1100ELNS1_3gpuE3ELNS1_3repE0EEENS1_30default_config_static_selectorELNS0_4arch9wavefront6targetE0EEEvT1_.num_agpr, 0
	.set _ZN7rocprim17ROCPRIM_400000_NS6detail17trampoline_kernelINS0_14default_configENS1_25partition_config_selectorILNS1_17partition_subalgoE6EfNS0_10empty_typeEbEEZZNS1_14partition_implILS5_6ELb0ES3_mN6thrust23THRUST_200600_302600_NS6detail15normal_iteratorINSA_10device_ptrIfEEEEPS6_SG_NS0_5tupleIJNSA_16discard_iteratorINSA_11use_defaultEEES6_EEENSH_IJSG_SG_EEES6_PlJNSB_9not_fun_tINSB_14equal_to_valueIfEEEEEEE10hipError_tPvRmT3_T4_T5_T6_T7_T9_mT8_P12ihipStream_tbDpT10_ENKUlT_T0_E_clISt17integral_constantIbLb1EES1B_EEDaS16_S17_EUlS16_E_NS1_11comp_targetILNS1_3genE9ELNS1_11target_archE1100ELNS1_3gpuE3ELNS1_3repE0EEENS1_30default_config_static_selectorELNS0_4arch9wavefront6targetE0EEEvT1_.numbered_sgpr, 0
	.set _ZN7rocprim17ROCPRIM_400000_NS6detail17trampoline_kernelINS0_14default_configENS1_25partition_config_selectorILNS1_17partition_subalgoE6EfNS0_10empty_typeEbEEZZNS1_14partition_implILS5_6ELb0ES3_mN6thrust23THRUST_200600_302600_NS6detail15normal_iteratorINSA_10device_ptrIfEEEEPS6_SG_NS0_5tupleIJNSA_16discard_iteratorINSA_11use_defaultEEES6_EEENSH_IJSG_SG_EEES6_PlJNSB_9not_fun_tINSB_14equal_to_valueIfEEEEEEE10hipError_tPvRmT3_T4_T5_T6_T7_T9_mT8_P12ihipStream_tbDpT10_ENKUlT_T0_E_clISt17integral_constantIbLb1EES1B_EEDaS16_S17_EUlS16_E_NS1_11comp_targetILNS1_3genE9ELNS1_11target_archE1100ELNS1_3gpuE3ELNS1_3repE0EEENS1_30default_config_static_selectorELNS0_4arch9wavefront6targetE0EEEvT1_.num_named_barrier, 0
	.set _ZN7rocprim17ROCPRIM_400000_NS6detail17trampoline_kernelINS0_14default_configENS1_25partition_config_selectorILNS1_17partition_subalgoE6EfNS0_10empty_typeEbEEZZNS1_14partition_implILS5_6ELb0ES3_mN6thrust23THRUST_200600_302600_NS6detail15normal_iteratorINSA_10device_ptrIfEEEEPS6_SG_NS0_5tupleIJNSA_16discard_iteratorINSA_11use_defaultEEES6_EEENSH_IJSG_SG_EEES6_PlJNSB_9not_fun_tINSB_14equal_to_valueIfEEEEEEE10hipError_tPvRmT3_T4_T5_T6_T7_T9_mT8_P12ihipStream_tbDpT10_ENKUlT_T0_E_clISt17integral_constantIbLb1EES1B_EEDaS16_S17_EUlS16_E_NS1_11comp_targetILNS1_3genE9ELNS1_11target_archE1100ELNS1_3gpuE3ELNS1_3repE0EEENS1_30default_config_static_selectorELNS0_4arch9wavefront6targetE0EEEvT1_.private_seg_size, 0
	.set _ZN7rocprim17ROCPRIM_400000_NS6detail17trampoline_kernelINS0_14default_configENS1_25partition_config_selectorILNS1_17partition_subalgoE6EfNS0_10empty_typeEbEEZZNS1_14partition_implILS5_6ELb0ES3_mN6thrust23THRUST_200600_302600_NS6detail15normal_iteratorINSA_10device_ptrIfEEEEPS6_SG_NS0_5tupleIJNSA_16discard_iteratorINSA_11use_defaultEEES6_EEENSH_IJSG_SG_EEES6_PlJNSB_9not_fun_tINSB_14equal_to_valueIfEEEEEEE10hipError_tPvRmT3_T4_T5_T6_T7_T9_mT8_P12ihipStream_tbDpT10_ENKUlT_T0_E_clISt17integral_constantIbLb1EES1B_EEDaS16_S17_EUlS16_E_NS1_11comp_targetILNS1_3genE9ELNS1_11target_archE1100ELNS1_3gpuE3ELNS1_3repE0EEENS1_30default_config_static_selectorELNS0_4arch9wavefront6targetE0EEEvT1_.uses_vcc, 0
	.set _ZN7rocprim17ROCPRIM_400000_NS6detail17trampoline_kernelINS0_14default_configENS1_25partition_config_selectorILNS1_17partition_subalgoE6EfNS0_10empty_typeEbEEZZNS1_14partition_implILS5_6ELb0ES3_mN6thrust23THRUST_200600_302600_NS6detail15normal_iteratorINSA_10device_ptrIfEEEEPS6_SG_NS0_5tupleIJNSA_16discard_iteratorINSA_11use_defaultEEES6_EEENSH_IJSG_SG_EEES6_PlJNSB_9not_fun_tINSB_14equal_to_valueIfEEEEEEE10hipError_tPvRmT3_T4_T5_T6_T7_T9_mT8_P12ihipStream_tbDpT10_ENKUlT_T0_E_clISt17integral_constantIbLb1EES1B_EEDaS16_S17_EUlS16_E_NS1_11comp_targetILNS1_3genE9ELNS1_11target_archE1100ELNS1_3gpuE3ELNS1_3repE0EEENS1_30default_config_static_selectorELNS0_4arch9wavefront6targetE0EEEvT1_.uses_flat_scratch, 0
	.set _ZN7rocprim17ROCPRIM_400000_NS6detail17trampoline_kernelINS0_14default_configENS1_25partition_config_selectorILNS1_17partition_subalgoE6EfNS0_10empty_typeEbEEZZNS1_14partition_implILS5_6ELb0ES3_mN6thrust23THRUST_200600_302600_NS6detail15normal_iteratorINSA_10device_ptrIfEEEEPS6_SG_NS0_5tupleIJNSA_16discard_iteratorINSA_11use_defaultEEES6_EEENSH_IJSG_SG_EEES6_PlJNSB_9not_fun_tINSB_14equal_to_valueIfEEEEEEE10hipError_tPvRmT3_T4_T5_T6_T7_T9_mT8_P12ihipStream_tbDpT10_ENKUlT_T0_E_clISt17integral_constantIbLb1EES1B_EEDaS16_S17_EUlS16_E_NS1_11comp_targetILNS1_3genE9ELNS1_11target_archE1100ELNS1_3gpuE3ELNS1_3repE0EEENS1_30default_config_static_selectorELNS0_4arch9wavefront6targetE0EEEvT1_.has_dyn_sized_stack, 0
	.set _ZN7rocprim17ROCPRIM_400000_NS6detail17trampoline_kernelINS0_14default_configENS1_25partition_config_selectorILNS1_17partition_subalgoE6EfNS0_10empty_typeEbEEZZNS1_14partition_implILS5_6ELb0ES3_mN6thrust23THRUST_200600_302600_NS6detail15normal_iteratorINSA_10device_ptrIfEEEEPS6_SG_NS0_5tupleIJNSA_16discard_iteratorINSA_11use_defaultEEES6_EEENSH_IJSG_SG_EEES6_PlJNSB_9not_fun_tINSB_14equal_to_valueIfEEEEEEE10hipError_tPvRmT3_T4_T5_T6_T7_T9_mT8_P12ihipStream_tbDpT10_ENKUlT_T0_E_clISt17integral_constantIbLb1EES1B_EEDaS16_S17_EUlS16_E_NS1_11comp_targetILNS1_3genE9ELNS1_11target_archE1100ELNS1_3gpuE3ELNS1_3repE0EEENS1_30default_config_static_selectorELNS0_4arch9wavefront6targetE0EEEvT1_.has_recursion, 0
	.set _ZN7rocprim17ROCPRIM_400000_NS6detail17trampoline_kernelINS0_14default_configENS1_25partition_config_selectorILNS1_17partition_subalgoE6EfNS0_10empty_typeEbEEZZNS1_14partition_implILS5_6ELb0ES3_mN6thrust23THRUST_200600_302600_NS6detail15normal_iteratorINSA_10device_ptrIfEEEEPS6_SG_NS0_5tupleIJNSA_16discard_iteratorINSA_11use_defaultEEES6_EEENSH_IJSG_SG_EEES6_PlJNSB_9not_fun_tINSB_14equal_to_valueIfEEEEEEE10hipError_tPvRmT3_T4_T5_T6_T7_T9_mT8_P12ihipStream_tbDpT10_ENKUlT_T0_E_clISt17integral_constantIbLb1EES1B_EEDaS16_S17_EUlS16_E_NS1_11comp_targetILNS1_3genE9ELNS1_11target_archE1100ELNS1_3gpuE3ELNS1_3repE0EEENS1_30default_config_static_selectorELNS0_4arch9wavefront6targetE0EEEvT1_.has_indirect_call, 0
	.section	.AMDGPU.csdata,"",@progbits
; Kernel info:
; codeLenInByte = 0
; TotalNumSgprs: 0
; NumVgprs: 0
; ScratchSize: 0
; MemoryBound: 0
; FloatMode: 240
; IeeeMode: 1
; LDSByteSize: 0 bytes/workgroup (compile time only)
; SGPRBlocks: 0
; VGPRBlocks: 0
; NumSGPRsForWavesPerEU: 1
; NumVGPRsForWavesPerEU: 1
; Occupancy: 16
; WaveLimiterHint : 0
; COMPUTE_PGM_RSRC2:SCRATCH_EN: 0
; COMPUTE_PGM_RSRC2:USER_SGPR: 2
; COMPUTE_PGM_RSRC2:TRAP_HANDLER: 0
; COMPUTE_PGM_RSRC2:TGID_X_EN: 1
; COMPUTE_PGM_RSRC2:TGID_Y_EN: 0
; COMPUTE_PGM_RSRC2:TGID_Z_EN: 0
; COMPUTE_PGM_RSRC2:TIDIG_COMP_CNT: 0
	.section	.text._ZN7rocprim17ROCPRIM_400000_NS6detail17trampoline_kernelINS0_14default_configENS1_25partition_config_selectorILNS1_17partition_subalgoE6EfNS0_10empty_typeEbEEZZNS1_14partition_implILS5_6ELb0ES3_mN6thrust23THRUST_200600_302600_NS6detail15normal_iteratorINSA_10device_ptrIfEEEEPS6_SG_NS0_5tupleIJNSA_16discard_iteratorINSA_11use_defaultEEES6_EEENSH_IJSG_SG_EEES6_PlJNSB_9not_fun_tINSB_14equal_to_valueIfEEEEEEE10hipError_tPvRmT3_T4_T5_T6_T7_T9_mT8_P12ihipStream_tbDpT10_ENKUlT_T0_E_clISt17integral_constantIbLb1EES1B_EEDaS16_S17_EUlS16_E_NS1_11comp_targetILNS1_3genE8ELNS1_11target_archE1030ELNS1_3gpuE2ELNS1_3repE0EEENS1_30default_config_static_selectorELNS0_4arch9wavefront6targetE0EEEvT1_,"axG",@progbits,_ZN7rocprim17ROCPRIM_400000_NS6detail17trampoline_kernelINS0_14default_configENS1_25partition_config_selectorILNS1_17partition_subalgoE6EfNS0_10empty_typeEbEEZZNS1_14partition_implILS5_6ELb0ES3_mN6thrust23THRUST_200600_302600_NS6detail15normal_iteratorINSA_10device_ptrIfEEEEPS6_SG_NS0_5tupleIJNSA_16discard_iteratorINSA_11use_defaultEEES6_EEENSH_IJSG_SG_EEES6_PlJNSB_9not_fun_tINSB_14equal_to_valueIfEEEEEEE10hipError_tPvRmT3_T4_T5_T6_T7_T9_mT8_P12ihipStream_tbDpT10_ENKUlT_T0_E_clISt17integral_constantIbLb1EES1B_EEDaS16_S17_EUlS16_E_NS1_11comp_targetILNS1_3genE8ELNS1_11target_archE1030ELNS1_3gpuE2ELNS1_3repE0EEENS1_30default_config_static_selectorELNS0_4arch9wavefront6targetE0EEEvT1_,comdat
	.protected	_ZN7rocprim17ROCPRIM_400000_NS6detail17trampoline_kernelINS0_14default_configENS1_25partition_config_selectorILNS1_17partition_subalgoE6EfNS0_10empty_typeEbEEZZNS1_14partition_implILS5_6ELb0ES3_mN6thrust23THRUST_200600_302600_NS6detail15normal_iteratorINSA_10device_ptrIfEEEEPS6_SG_NS0_5tupleIJNSA_16discard_iteratorINSA_11use_defaultEEES6_EEENSH_IJSG_SG_EEES6_PlJNSB_9not_fun_tINSB_14equal_to_valueIfEEEEEEE10hipError_tPvRmT3_T4_T5_T6_T7_T9_mT8_P12ihipStream_tbDpT10_ENKUlT_T0_E_clISt17integral_constantIbLb1EES1B_EEDaS16_S17_EUlS16_E_NS1_11comp_targetILNS1_3genE8ELNS1_11target_archE1030ELNS1_3gpuE2ELNS1_3repE0EEENS1_30default_config_static_selectorELNS0_4arch9wavefront6targetE0EEEvT1_ ; -- Begin function _ZN7rocprim17ROCPRIM_400000_NS6detail17trampoline_kernelINS0_14default_configENS1_25partition_config_selectorILNS1_17partition_subalgoE6EfNS0_10empty_typeEbEEZZNS1_14partition_implILS5_6ELb0ES3_mN6thrust23THRUST_200600_302600_NS6detail15normal_iteratorINSA_10device_ptrIfEEEEPS6_SG_NS0_5tupleIJNSA_16discard_iteratorINSA_11use_defaultEEES6_EEENSH_IJSG_SG_EEES6_PlJNSB_9not_fun_tINSB_14equal_to_valueIfEEEEEEE10hipError_tPvRmT3_T4_T5_T6_T7_T9_mT8_P12ihipStream_tbDpT10_ENKUlT_T0_E_clISt17integral_constantIbLb1EES1B_EEDaS16_S17_EUlS16_E_NS1_11comp_targetILNS1_3genE8ELNS1_11target_archE1030ELNS1_3gpuE2ELNS1_3repE0EEENS1_30default_config_static_selectorELNS0_4arch9wavefront6targetE0EEEvT1_
	.globl	_ZN7rocprim17ROCPRIM_400000_NS6detail17trampoline_kernelINS0_14default_configENS1_25partition_config_selectorILNS1_17partition_subalgoE6EfNS0_10empty_typeEbEEZZNS1_14partition_implILS5_6ELb0ES3_mN6thrust23THRUST_200600_302600_NS6detail15normal_iteratorINSA_10device_ptrIfEEEEPS6_SG_NS0_5tupleIJNSA_16discard_iteratorINSA_11use_defaultEEES6_EEENSH_IJSG_SG_EEES6_PlJNSB_9not_fun_tINSB_14equal_to_valueIfEEEEEEE10hipError_tPvRmT3_T4_T5_T6_T7_T9_mT8_P12ihipStream_tbDpT10_ENKUlT_T0_E_clISt17integral_constantIbLb1EES1B_EEDaS16_S17_EUlS16_E_NS1_11comp_targetILNS1_3genE8ELNS1_11target_archE1030ELNS1_3gpuE2ELNS1_3repE0EEENS1_30default_config_static_selectorELNS0_4arch9wavefront6targetE0EEEvT1_
	.p2align	8
	.type	_ZN7rocprim17ROCPRIM_400000_NS6detail17trampoline_kernelINS0_14default_configENS1_25partition_config_selectorILNS1_17partition_subalgoE6EfNS0_10empty_typeEbEEZZNS1_14partition_implILS5_6ELb0ES3_mN6thrust23THRUST_200600_302600_NS6detail15normal_iteratorINSA_10device_ptrIfEEEEPS6_SG_NS0_5tupleIJNSA_16discard_iteratorINSA_11use_defaultEEES6_EEENSH_IJSG_SG_EEES6_PlJNSB_9not_fun_tINSB_14equal_to_valueIfEEEEEEE10hipError_tPvRmT3_T4_T5_T6_T7_T9_mT8_P12ihipStream_tbDpT10_ENKUlT_T0_E_clISt17integral_constantIbLb1EES1B_EEDaS16_S17_EUlS16_E_NS1_11comp_targetILNS1_3genE8ELNS1_11target_archE1030ELNS1_3gpuE2ELNS1_3repE0EEENS1_30default_config_static_selectorELNS0_4arch9wavefront6targetE0EEEvT1_,@function
_ZN7rocprim17ROCPRIM_400000_NS6detail17trampoline_kernelINS0_14default_configENS1_25partition_config_selectorILNS1_17partition_subalgoE6EfNS0_10empty_typeEbEEZZNS1_14partition_implILS5_6ELb0ES3_mN6thrust23THRUST_200600_302600_NS6detail15normal_iteratorINSA_10device_ptrIfEEEEPS6_SG_NS0_5tupleIJNSA_16discard_iteratorINSA_11use_defaultEEES6_EEENSH_IJSG_SG_EEES6_PlJNSB_9not_fun_tINSB_14equal_to_valueIfEEEEEEE10hipError_tPvRmT3_T4_T5_T6_T7_T9_mT8_P12ihipStream_tbDpT10_ENKUlT_T0_E_clISt17integral_constantIbLb1EES1B_EEDaS16_S17_EUlS16_E_NS1_11comp_targetILNS1_3genE8ELNS1_11target_archE1030ELNS1_3gpuE2ELNS1_3repE0EEENS1_30default_config_static_selectorELNS0_4arch9wavefront6targetE0EEEvT1_: ; @_ZN7rocprim17ROCPRIM_400000_NS6detail17trampoline_kernelINS0_14default_configENS1_25partition_config_selectorILNS1_17partition_subalgoE6EfNS0_10empty_typeEbEEZZNS1_14partition_implILS5_6ELb0ES3_mN6thrust23THRUST_200600_302600_NS6detail15normal_iteratorINSA_10device_ptrIfEEEEPS6_SG_NS0_5tupleIJNSA_16discard_iteratorINSA_11use_defaultEEES6_EEENSH_IJSG_SG_EEES6_PlJNSB_9not_fun_tINSB_14equal_to_valueIfEEEEEEE10hipError_tPvRmT3_T4_T5_T6_T7_T9_mT8_P12ihipStream_tbDpT10_ENKUlT_T0_E_clISt17integral_constantIbLb1EES1B_EEDaS16_S17_EUlS16_E_NS1_11comp_targetILNS1_3genE8ELNS1_11target_archE1030ELNS1_3gpuE2ELNS1_3repE0EEENS1_30default_config_static_selectorELNS0_4arch9wavefront6targetE0EEEvT1_
; %bb.0:
	.section	.rodata,"a",@progbits
	.p2align	6, 0x0
	.amdhsa_kernel _ZN7rocprim17ROCPRIM_400000_NS6detail17trampoline_kernelINS0_14default_configENS1_25partition_config_selectorILNS1_17partition_subalgoE6EfNS0_10empty_typeEbEEZZNS1_14partition_implILS5_6ELb0ES3_mN6thrust23THRUST_200600_302600_NS6detail15normal_iteratorINSA_10device_ptrIfEEEEPS6_SG_NS0_5tupleIJNSA_16discard_iteratorINSA_11use_defaultEEES6_EEENSH_IJSG_SG_EEES6_PlJNSB_9not_fun_tINSB_14equal_to_valueIfEEEEEEE10hipError_tPvRmT3_T4_T5_T6_T7_T9_mT8_P12ihipStream_tbDpT10_ENKUlT_T0_E_clISt17integral_constantIbLb1EES1B_EEDaS16_S17_EUlS16_E_NS1_11comp_targetILNS1_3genE8ELNS1_11target_archE1030ELNS1_3gpuE2ELNS1_3repE0EEENS1_30default_config_static_selectorELNS0_4arch9wavefront6targetE0EEEvT1_
		.amdhsa_group_segment_fixed_size 0
		.amdhsa_private_segment_fixed_size 0
		.amdhsa_kernarg_size 136
		.amdhsa_user_sgpr_count 2
		.amdhsa_user_sgpr_dispatch_ptr 0
		.amdhsa_user_sgpr_queue_ptr 0
		.amdhsa_user_sgpr_kernarg_segment_ptr 1
		.amdhsa_user_sgpr_dispatch_id 0
		.amdhsa_user_sgpr_private_segment_size 0
		.amdhsa_wavefront_size32 1
		.amdhsa_uses_dynamic_stack 0
		.amdhsa_enable_private_segment 0
		.amdhsa_system_sgpr_workgroup_id_x 1
		.amdhsa_system_sgpr_workgroup_id_y 0
		.amdhsa_system_sgpr_workgroup_id_z 0
		.amdhsa_system_sgpr_workgroup_info 0
		.amdhsa_system_vgpr_workitem_id 0
		.amdhsa_next_free_vgpr 1
		.amdhsa_next_free_sgpr 1
		.amdhsa_reserve_vcc 0
		.amdhsa_float_round_mode_32 0
		.amdhsa_float_round_mode_16_64 0
		.amdhsa_float_denorm_mode_32 3
		.amdhsa_float_denorm_mode_16_64 3
		.amdhsa_fp16_overflow 0
		.amdhsa_workgroup_processor_mode 1
		.amdhsa_memory_ordered 1
		.amdhsa_forward_progress 1
		.amdhsa_inst_pref_size 0
		.amdhsa_round_robin_scheduling 0
		.amdhsa_exception_fp_ieee_invalid_op 0
		.amdhsa_exception_fp_denorm_src 0
		.amdhsa_exception_fp_ieee_div_zero 0
		.amdhsa_exception_fp_ieee_overflow 0
		.amdhsa_exception_fp_ieee_underflow 0
		.amdhsa_exception_fp_ieee_inexact 0
		.amdhsa_exception_int_div_zero 0
	.end_amdhsa_kernel
	.section	.text._ZN7rocprim17ROCPRIM_400000_NS6detail17trampoline_kernelINS0_14default_configENS1_25partition_config_selectorILNS1_17partition_subalgoE6EfNS0_10empty_typeEbEEZZNS1_14partition_implILS5_6ELb0ES3_mN6thrust23THRUST_200600_302600_NS6detail15normal_iteratorINSA_10device_ptrIfEEEEPS6_SG_NS0_5tupleIJNSA_16discard_iteratorINSA_11use_defaultEEES6_EEENSH_IJSG_SG_EEES6_PlJNSB_9not_fun_tINSB_14equal_to_valueIfEEEEEEE10hipError_tPvRmT3_T4_T5_T6_T7_T9_mT8_P12ihipStream_tbDpT10_ENKUlT_T0_E_clISt17integral_constantIbLb1EES1B_EEDaS16_S17_EUlS16_E_NS1_11comp_targetILNS1_3genE8ELNS1_11target_archE1030ELNS1_3gpuE2ELNS1_3repE0EEENS1_30default_config_static_selectorELNS0_4arch9wavefront6targetE0EEEvT1_,"axG",@progbits,_ZN7rocprim17ROCPRIM_400000_NS6detail17trampoline_kernelINS0_14default_configENS1_25partition_config_selectorILNS1_17partition_subalgoE6EfNS0_10empty_typeEbEEZZNS1_14partition_implILS5_6ELb0ES3_mN6thrust23THRUST_200600_302600_NS6detail15normal_iteratorINSA_10device_ptrIfEEEEPS6_SG_NS0_5tupleIJNSA_16discard_iteratorINSA_11use_defaultEEES6_EEENSH_IJSG_SG_EEES6_PlJNSB_9not_fun_tINSB_14equal_to_valueIfEEEEEEE10hipError_tPvRmT3_T4_T5_T6_T7_T9_mT8_P12ihipStream_tbDpT10_ENKUlT_T0_E_clISt17integral_constantIbLb1EES1B_EEDaS16_S17_EUlS16_E_NS1_11comp_targetILNS1_3genE8ELNS1_11target_archE1030ELNS1_3gpuE2ELNS1_3repE0EEENS1_30default_config_static_selectorELNS0_4arch9wavefront6targetE0EEEvT1_,comdat
.Lfunc_end1612:
	.size	_ZN7rocprim17ROCPRIM_400000_NS6detail17trampoline_kernelINS0_14default_configENS1_25partition_config_selectorILNS1_17partition_subalgoE6EfNS0_10empty_typeEbEEZZNS1_14partition_implILS5_6ELb0ES3_mN6thrust23THRUST_200600_302600_NS6detail15normal_iteratorINSA_10device_ptrIfEEEEPS6_SG_NS0_5tupleIJNSA_16discard_iteratorINSA_11use_defaultEEES6_EEENSH_IJSG_SG_EEES6_PlJNSB_9not_fun_tINSB_14equal_to_valueIfEEEEEEE10hipError_tPvRmT3_T4_T5_T6_T7_T9_mT8_P12ihipStream_tbDpT10_ENKUlT_T0_E_clISt17integral_constantIbLb1EES1B_EEDaS16_S17_EUlS16_E_NS1_11comp_targetILNS1_3genE8ELNS1_11target_archE1030ELNS1_3gpuE2ELNS1_3repE0EEENS1_30default_config_static_selectorELNS0_4arch9wavefront6targetE0EEEvT1_, .Lfunc_end1612-_ZN7rocprim17ROCPRIM_400000_NS6detail17trampoline_kernelINS0_14default_configENS1_25partition_config_selectorILNS1_17partition_subalgoE6EfNS0_10empty_typeEbEEZZNS1_14partition_implILS5_6ELb0ES3_mN6thrust23THRUST_200600_302600_NS6detail15normal_iteratorINSA_10device_ptrIfEEEEPS6_SG_NS0_5tupleIJNSA_16discard_iteratorINSA_11use_defaultEEES6_EEENSH_IJSG_SG_EEES6_PlJNSB_9not_fun_tINSB_14equal_to_valueIfEEEEEEE10hipError_tPvRmT3_T4_T5_T6_T7_T9_mT8_P12ihipStream_tbDpT10_ENKUlT_T0_E_clISt17integral_constantIbLb1EES1B_EEDaS16_S17_EUlS16_E_NS1_11comp_targetILNS1_3genE8ELNS1_11target_archE1030ELNS1_3gpuE2ELNS1_3repE0EEENS1_30default_config_static_selectorELNS0_4arch9wavefront6targetE0EEEvT1_
                                        ; -- End function
	.set _ZN7rocprim17ROCPRIM_400000_NS6detail17trampoline_kernelINS0_14default_configENS1_25partition_config_selectorILNS1_17partition_subalgoE6EfNS0_10empty_typeEbEEZZNS1_14partition_implILS5_6ELb0ES3_mN6thrust23THRUST_200600_302600_NS6detail15normal_iteratorINSA_10device_ptrIfEEEEPS6_SG_NS0_5tupleIJNSA_16discard_iteratorINSA_11use_defaultEEES6_EEENSH_IJSG_SG_EEES6_PlJNSB_9not_fun_tINSB_14equal_to_valueIfEEEEEEE10hipError_tPvRmT3_T4_T5_T6_T7_T9_mT8_P12ihipStream_tbDpT10_ENKUlT_T0_E_clISt17integral_constantIbLb1EES1B_EEDaS16_S17_EUlS16_E_NS1_11comp_targetILNS1_3genE8ELNS1_11target_archE1030ELNS1_3gpuE2ELNS1_3repE0EEENS1_30default_config_static_selectorELNS0_4arch9wavefront6targetE0EEEvT1_.num_vgpr, 0
	.set _ZN7rocprim17ROCPRIM_400000_NS6detail17trampoline_kernelINS0_14default_configENS1_25partition_config_selectorILNS1_17partition_subalgoE6EfNS0_10empty_typeEbEEZZNS1_14partition_implILS5_6ELb0ES3_mN6thrust23THRUST_200600_302600_NS6detail15normal_iteratorINSA_10device_ptrIfEEEEPS6_SG_NS0_5tupleIJNSA_16discard_iteratorINSA_11use_defaultEEES6_EEENSH_IJSG_SG_EEES6_PlJNSB_9not_fun_tINSB_14equal_to_valueIfEEEEEEE10hipError_tPvRmT3_T4_T5_T6_T7_T9_mT8_P12ihipStream_tbDpT10_ENKUlT_T0_E_clISt17integral_constantIbLb1EES1B_EEDaS16_S17_EUlS16_E_NS1_11comp_targetILNS1_3genE8ELNS1_11target_archE1030ELNS1_3gpuE2ELNS1_3repE0EEENS1_30default_config_static_selectorELNS0_4arch9wavefront6targetE0EEEvT1_.num_agpr, 0
	.set _ZN7rocprim17ROCPRIM_400000_NS6detail17trampoline_kernelINS0_14default_configENS1_25partition_config_selectorILNS1_17partition_subalgoE6EfNS0_10empty_typeEbEEZZNS1_14partition_implILS5_6ELb0ES3_mN6thrust23THRUST_200600_302600_NS6detail15normal_iteratorINSA_10device_ptrIfEEEEPS6_SG_NS0_5tupleIJNSA_16discard_iteratorINSA_11use_defaultEEES6_EEENSH_IJSG_SG_EEES6_PlJNSB_9not_fun_tINSB_14equal_to_valueIfEEEEEEE10hipError_tPvRmT3_T4_T5_T6_T7_T9_mT8_P12ihipStream_tbDpT10_ENKUlT_T0_E_clISt17integral_constantIbLb1EES1B_EEDaS16_S17_EUlS16_E_NS1_11comp_targetILNS1_3genE8ELNS1_11target_archE1030ELNS1_3gpuE2ELNS1_3repE0EEENS1_30default_config_static_selectorELNS0_4arch9wavefront6targetE0EEEvT1_.numbered_sgpr, 0
	.set _ZN7rocprim17ROCPRIM_400000_NS6detail17trampoline_kernelINS0_14default_configENS1_25partition_config_selectorILNS1_17partition_subalgoE6EfNS0_10empty_typeEbEEZZNS1_14partition_implILS5_6ELb0ES3_mN6thrust23THRUST_200600_302600_NS6detail15normal_iteratorINSA_10device_ptrIfEEEEPS6_SG_NS0_5tupleIJNSA_16discard_iteratorINSA_11use_defaultEEES6_EEENSH_IJSG_SG_EEES6_PlJNSB_9not_fun_tINSB_14equal_to_valueIfEEEEEEE10hipError_tPvRmT3_T4_T5_T6_T7_T9_mT8_P12ihipStream_tbDpT10_ENKUlT_T0_E_clISt17integral_constantIbLb1EES1B_EEDaS16_S17_EUlS16_E_NS1_11comp_targetILNS1_3genE8ELNS1_11target_archE1030ELNS1_3gpuE2ELNS1_3repE0EEENS1_30default_config_static_selectorELNS0_4arch9wavefront6targetE0EEEvT1_.num_named_barrier, 0
	.set _ZN7rocprim17ROCPRIM_400000_NS6detail17trampoline_kernelINS0_14default_configENS1_25partition_config_selectorILNS1_17partition_subalgoE6EfNS0_10empty_typeEbEEZZNS1_14partition_implILS5_6ELb0ES3_mN6thrust23THRUST_200600_302600_NS6detail15normal_iteratorINSA_10device_ptrIfEEEEPS6_SG_NS0_5tupleIJNSA_16discard_iteratorINSA_11use_defaultEEES6_EEENSH_IJSG_SG_EEES6_PlJNSB_9not_fun_tINSB_14equal_to_valueIfEEEEEEE10hipError_tPvRmT3_T4_T5_T6_T7_T9_mT8_P12ihipStream_tbDpT10_ENKUlT_T0_E_clISt17integral_constantIbLb1EES1B_EEDaS16_S17_EUlS16_E_NS1_11comp_targetILNS1_3genE8ELNS1_11target_archE1030ELNS1_3gpuE2ELNS1_3repE0EEENS1_30default_config_static_selectorELNS0_4arch9wavefront6targetE0EEEvT1_.private_seg_size, 0
	.set _ZN7rocprim17ROCPRIM_400000_NS6detail17trampoline_kernelINS0_14default_configENS1_25partition_config_selectorILNS1_17partition_subalgoE6EfNS0_10empty_typeEbEEZZNS1_14partition_implILS5_6ELb0ES3_mN6thrust23THRUST_200600_302600_NS6detail15normal_iteratorINSA_10device_ptrIfEEEEPS6_SG_NS0_5tupleIJNSA_16discard_iteratorINSA_11use_defaultEEES6_EEENSH_IJSG_SG_EEES6_PlJNSB_9not_fun_tINSB_14equal_to_valueIfEEEEEEE10hipError_tPvRmT3_T4_T5_T6_T7_T9_mT8_P12ihipStream_tbDpT10_ENKUlT_T0_E_clISt17integral_constantIbLb1EES1B_EEDaS16_S17_EUlS16_E_NS1_11comp_targetILNS1_3genE8ELNS1_11target_archE1030ELNS1_3gpuE2ELNS1_3repE0EEENS1_30default_config_static_selectorELNS0_4arch9wavefront6targetE0EEEvT1_.uses_vcc, 0
	.set _ZN7rocprim17ROCPRIM_400000_NS6detail17trampoline_kernelINS0_14default_configENS1_25partition_config_selectorILNS1_17partition_subalgoE6EfNS0_10empty_typeEbEEZZNS1_14partition_implILS5_6ELb0ES3_mN6thrust23THRUST_200600_302600_NS6detail15normal_iteratorINSA_10device_ptrIfEEEEPS6_SG_NS0_5tupleIJNSA_16discard_iteratorINSA_11use_defaultEEES6_EEENSH_IJSG_SG_EEES6_PlJNSB_9not_fun_tINSB_14equal_to_valueIfEEEEEEE10hipError_tPvRmT3_T4_T5_T6_T7_T9_mT8_P12ihipStream_tbDpT10_ENKUlT_T0_E_clISt17integral_constantIbLb1EES1B_EEDaS16_S17_EUlS16_E_NS1_11comp_targetILNS1_3genE8ELNS1_11target_archE1030ELNS1_3gpuE2ELNS1_3repE0EEENS1_30default_config_static_selectorELNS0_4arch9wavefront6targetE0EEEvT1_.uses_flat_scratch, 0
	.set _ZN7rocprim17ROCPRIM_400000_NS6detail17trampoline_kernelINS0_14default_configENS1_25partition_config_selectorILNS1_17partition_subalgoE6EfNS0_10empty_typeEbEEZZNS1_14partition_implILS5_6ELb0ES3_mN6thrust23THRUST_200600_302600_NS6detail15normal_iteratorINSA_10device_ptrIfEEEEPS6_SG_NS0_5tupleIJNSA_16discard_iteratorINSA_11use_defaultEEES6_EEENSH_IJSG_SG_EEES6_PlJNSB_9not_fun_tINSB_14equal_to_valueIfEEEEEEE10hipError_tPvRmT3_T4_T5_T6_T7_T9_mT8_P12ihipStream_tbDpT10_ENKUlT_T0_E_clISt17integral_constantIbLb1EES1B_EEDaS16_S17_EUlS16_E_NS1_11comp_targetILNS1_3genE8ELNS1_11target_archE1030ELNS1_3gpuE2ELNS1_3repE0EEENS1_30default_config_static_selectorELNS0_4arch9wavefront6targetE0EEEvT1_.has_dyn_sized_stack, 0
	.set _ZN7rocprim17ROCPRIM_400000_NS6detail17trampoline_kernelINS0_14default_configENS1_25partition_config_selectorILNS1_17partition_subalgoE6EfNS0_10empty_typeEbEEZZNS1_14partition_implILS5_6ELb0ES3_mN6thrust23THRUST_200600_302600_NS6detail15normal_iteratorINSA_10device_ptrIfEEEEPS6_SG_NS0_5tupleIJNSA_16discard_iteratorINSA_11use_defaultEEES6_EEENSH_IJSG_SG_EEES6_PlJNSB_9not_fun_tINSB_14equal_to_valueIfEEEEEEE10hipError_tPvRmT3_T4_T5_T6_T7_T9_mT8_P12ihipStream_tbDpT10_ENKUlT_T0_E_clISt17integral_constantIbLb1EES1B_EEDaS16_S17_EUlS16_E_NS1_11comp_targetILNS1_3genE8ELNS1_11target_archE1030ELNS1_3gpuE2ELNS1_3repE0EEENS1_30default_config_static_selectorELNS0_4arch9wavefront6targetE0EEEvT1_.has_recursion, 0
	.set _ZN7rocprim17ROCPRIM_400000_NS6detail17trampoline_kernelINS0_14default_configENS1_25partition_config_selectorILNS1_17partition_subalgoE6EfNS0_10empty_typeEbEEZZNS1_14partition_implILS5_6ELb0ES3_mN6thrust23THRUST_200600_302600_NS6detail15normal_iteratorINSA_10device_ptrIfEEEEPS6_SG_NS0_5tupleIJNSA_16discard_iteratorINSA_11use_defaultEEES6_EEENSH_IJSG_SG_EEES6_PlJNSB_9not_fun_tINSB_14equal_to_valueIfEEEEEEE10hipError_tPvRmT3_T4_T5_T6_T7_T9_mT8_P12ihipStream_tbDpT10_ENKUlT_T0_E_clISt17integral_constantIbLb1EES1B_EEDaS16_S17_EUlS16_E_NS1_11comp_targetILNS1_3genE8ELNS1_11target_archE1030ELNS1_3gpuE2ELNS1_3repE0EEENS1_30default_config_static_selectorELNS0_4arch9wavefront6targetE0EEEvT1_.has_indirect_call, 0
	.section	.AMDGPU.csdata,"",@progbits
; Kernel info:
; codeLenInByte = 0
; TotalNumSgprs: 0
; NumVgprs: 0
; ScratchSize: 0
; MemoryBound: 0
; FloatMode: 240
; IeeeMode: 1
; LDSByteSize: 0 bytes/workgroup (compile time only)
; SGPRBlocks: 0
; VGPRBlocks: 0
; NumSGPRsForWavesPerEU: 1
; NumVGPRsForWavesPerEU: 1
; Occupancy: 16
; WaveLimiterHint : 0
; COMPUTE_PGM_RSRC2:SCRATCH_EN: 0
; COMPUTE_PGM_RSRC2:USER_SGPR: 2
; COMPUTE_PGM_RSRC2:TRAP_HANDLER: 0
; COMPUTE_PGM_RSRC2:TGID_X_EN: 1
; COMPUTE_PGM_RSRC2:TGID_Y_EN: 0
; COMPUTE_PGM_RSRC2:TGID_Z_EN: 0
; COMPUTE_PGM_RSRC2:TIDIG_COMP_CNT: 0
	.section	.text._ZN7rocprim17ROCPRIM_400000_NS6detail17trampoline_kernelINS0_14default_configENS1_25partition_config_selectorILNS1_17partition_subalgoE6EfNS0_10empty_typeEbEEZZNS1_14partition_implILS5_6ELb0ES3_mN6thrust23THRUST_200600_302600_NS6detail15normal_iteratorINSA_10device_ptrIfEEEEPS6_SG_NS0_5tupleIJNSA_16discard_iteratorINSA_11use_defaultEEES6_EEENSH_IJSG_SG_EEES6_PlJNSB_9not_fun_tINSB_14equal_to_valueIfEEEEEEE10hipError_tPvRmT3_T4_T5_T6_T7_T9_mT8_P12ihipStream_tbDpT10_ENKUlT_T0_E_clISt17integral_constantIbLb1EES1A_IbLb0EEEEDaS16_S17_EUlS16_E_NS1_11comp_targetILNS1_3genE0ELNS1_11target_archE4294967295ELNS1_3gpuE0ELNS1_3repE0EEENS1_30default_config_static_selectorELNS0_4arch9wavefront6targetE0EEEvT1_,"axG",@progbits,_ZN7rocprim17ROCPRIM_400000_NS6detail17trampoline_kernelINS0_14default_configENS1_25partition_config_selectorILNS1_17partition_subalgoE6EfNS0_10empty_typeEbEEZZNS1_14partition_implILS5_6ELb0ES3_mN6thrust23THRUST_200600_302600_NS6detail15normal_iteratorINSA_10device_ptrIfEEEEPS6_SG_NS0_5tupleIJNSA_16discard_iteratorINSA_11use_defaultEEES6_EEENSH_IJSG_SG_EEES6_PlJNSB_9not_fun_tINSB_14equal_to_valueIfEEEEEEE10hipError_tPvRmT3_T4_T5_T6_T7_T9_mT8_P12ihipStream_tbDpT10_ENKUlT_T0_E_clISt17integral_constantIbLb1EES1A_IbLb0EEEEDaS16_S17_EUlS16_E_NS1_11comp_targetILNS1_3genE0ELNS1_11target_archE4294967295ELNS1_3gpuE0ELNS1_3repE0EEENS1_30default_config_static_selectorELNS0_4arch9wavefront6targetE0EEEvT1_,comdat
	.protected	_ZN7rocprim17ROCPRIM_400000_NS6detail17trampoline_kernelINS0_14default_configENS1_25partition_config_selectorILNS1_17partition_subalgoE6EfNS0_10empty_typeEbEEZZNS1_14partition_implILS5_6ELb0ES3_mN6thrust23THRUST_200600_302600_NS6detail15normal_iteratorINSA_10device_ptrIfEEEEPS6_SG_NS0_5tupleIJNSA_16discard_iteratorINSA_11use_defaultEEES6_EEENSH_IJSG_SG_EEES6_PlJNSB_9not_fun_tINSB_14equal_to_valueIfEEEEEEE10hipError_tPvRmT3_T4_T5_T6_T7_T9_mT8_P12ihipStream_tbDpT10_ENKUlT_T0_E_clISt17integral_constantIbLb1EES1A_IbLb0EEEEDaS16_S17_EUlS16_E_NS1_11comp_targetILNS1_3genE0ELNS1_11target_archE4294967295ELNS1_3gpuE0ELNS1_3repE0EEENS1_30default_config_static_selectorELNS0_4arch9wavefront6targetE0EEEvT1_ ; -- Begin function _ZN7rocprim17ROCPRIM_400000_NS6detail17trampoline_kernelINS0_14default_configENS1_25partition_config_selectorILNS1_17partition_subalgoE6EfNS0_10empty_typeEbEEZZNS1_14partition_implILS5_6ELb0ES3_mN6thrust23THRUST_200600_302600_NS6detail15normal_iteratorINSA_10device_ptrIfEEEEPS6_SG_NS0_5tupleIJNSA_16discard_iteratorINSA_11use_defaultEEES6_EEENSH_IJSG_SG_EEES6_PlJNSB_9not_fun_tINSB_14equal_to_valueIfEEEEEEE10hipError_tPvRmT3_T4_T5_T6_T7_T9_mT8_P12ihipStream_tbDpT10_ENKUlT_T0_E_clISt17integral_constantIbLb1EES1A_IbLb0EEEEDaS16_S17_EUlS16_E_NS1_11comp_targetILNS1_3genE0ELNS1_11target_archE4294967295ELNS1_3gpuE0ELNS1_3repE0EEENS1_30default_config_static_selectorELNS0_4arch9wavefront6targetE0EEEvT1_
	.globl	_ZN7rocprim17ROCPRIM_400000_NS6detail17trampoline_kernelINS0_14default_configENS1_25partition_config_selectorILNS1_17partition_subalgoE6EfNS0_10empty_typeEbEEZZNS1_14partition_implILS5_6ELb0ES3_mN6thrust23THRUST_200600_302600_NS6detail15normal_iteratorINSA_10device_ptrIfEEEEPS6_SG_NS0_5tupleIJNSA_16discard_iteratorINSA_11use_defaultEEES6_EEENSH_IJSG_SG_EEES6_PlJNSB_9not_fun_tINSB_14equal_to_valueIfEEEEEEE10hipError_tPvRmT3_T4_T5_T6_T7_T9_mT8_P12ihipStream_tbDpT10_ENKUlT_T0_E_clISt17integral_constantIbLb1EES1A_IbLb0EEEEDaS16_S17_EUlS16_E_NS1_11comp_targetILNS1_3genE0ELNS1_11target_archE4294967295ELNS1_3gpuE0ELNS1_3repE0EEENS1_30default_config_static_selectorELNS0_4arch9wavefront6targetE0EEEvT1_
	.p2align	8
	.type	_ZN7rocprim17ROCPRIM_400000_NS6detail17trampoline_kernelINS0_14default_configENS1_25partition_config_selectorILNS1_17partition_subalgoE6EfNS0_10empty_typeEbEEZZNS1_14partition_implILS5_6ELb0ES3_mN6thrust23THRUST_200600_302600_NS6detail15normal_iteratorINSA_10device_ptrIfEEEEPS6_SG_NS0_5tupleIJNSA_16discard_iteratorINSA_11use_defaultEEES6_EEENSH_IJSG_SG_EEES6_PlJNSB_9not_fun_tINSB_14equal_to_valueIfEEEEEEE10hipError_tPvRmT3_T4_T5_T6_T7_T9_mT8_P12ihipStream_tbDpT10_ENKUlT_T0_E_clISt17integral_constantIbLb1EES1A_IbLb0EEEEDaS16_S17_EUlS16_E_NS1_11comp_targetILNS1_3genE0ELNS1_11target_archE4294967295ELNS1_3gpuE0ELNS1_3repE0EEENS1_30default_config_static_selectorELNS0_4arch9wavefront6targetE0EEEvT1_,@function
_ZN7rocprim17ROCPRIM_400000_NS6detail17trampoline_kernelINS0_14default_configENS1_25partition_config_selectorILNS1_17partition_subalgoE6EfNS0_10empty_typeEbEEZZNS1_14partition_implILS5_6ELb0ES3_mN6thrust23THRUST_200600_302600_NS6detail15normal_iteratorINSA_10device_ptrIfEEEEPS6_SG_NS0_5tupleIJNSA_16discard_iteratorINSA_11use_defaultEEES6_EEENSH_IJSG_SG_EEES6_PlJNSB_9not_fun_tINSB_14equal_to_valueIfEEEEEEE10hipError_tPvRmT3_T4_T5_T6_T7_T9_mT8_P12ihipStream_tbDpT10_ENKUlT_T0_E_clISt17integral_constantIbLb1EES1A_IbLb0EEEEDaS16_S17_EUlS16_E_NS1_11comp_targetILNS1_3genE0ELNS1_11target_archE4294967295ELNS1_3gpuE0ELNS1_3repE0EEENS1_30default_config_static_selectorELNS0_4arch9wavefront6targetE0EEEvT1_: ; @_ZN7rocprim17ROCPRIM_400000_NS6detail17trampoline_kernelINS0_14default_configENS1_25partition_config_selectorILNS1_17partition_subalgoE6EfNS0_10empty_typeEbEEZZNS1_14partition_implILS5_6ELb0ES3_mN6thrust23THRUST_200600_302600_NS6detail15normal_iteratorINSA_10device_ptrIfEEEEPS6_SG_NS0_5tupleIJNSA_16discard_iteratorINSA_11use_defaultEEES6_EEENSH_IJSG_SG_EEES6_PlJNSB_9not_fun_tINSB_14equal_to_valueIfEEEEEEE10hipError_tPvRmT3_T4_T5_T6_T7_T9_mT8_P12ihipStream_tbDpT10_ENKUlT_T0_E_clISt17integral_constantIbLb1EES1A_IbLb0EEEEDaS16_S17_EUlS16_E_NS1_11comp_targetILNS1_3genE0ELNS1_11target_archE4294967295ELNS1_3gpuE0ELNS1_3repE0EEENS1_30default_config_static_selectorELNS0_4arch9wavefront6targetE0EEEvT1_
; %bb.0:
	.section	.rodata,"a",@progbits
	.p2align	6, 0x0
	.amdhsa_kernel _ZN7rocprim17ROCPRIM_400000_NS6detail17trampoline_kernelINS0_14default_configENS1_25partition_config_selectorILNS1_17partition_subalgoE6EfNS0_10empty_typeEbEEZZNS1_14partition_implILS5_6ELb0ES3_mN6thrust23THRUST_200600_302600_NS6detail15normal_iteratorINSA_10device_ptrIfEEEEPS6_SG_NS0_5tupleIJNSA_16discard_iteratorINSA_11use_defaultEEES6_EEENSH_IJSG_SG_EEES6_PlJNSB_9not_fun_tINSB_14equal_to_valueIfEEEEEEE10hipError_tPvRmT3_T4_T5_T6_T7_T9_mT8_P12ihipStream_tbDpT10_ENKUlT_T0_E_clISt17integral_constantIbLb1EES1A_IbLb0EEEEDaS16_S17_EUlS16_E_NS1_11comp_targetILNS1_3genE0ELNS1_11target_archE4294967295ELNS1_3gpuE0ELNS1_3repE0EEENS1_30default_config_static_selectorELNS0_4arch9wavefront6targetE0EEEvT1_
		.amdhsa_group_segment_fixed_size 0
		.amdhsa_private_segment_fixed_size 0
		.amdhsa_kernarg_size 128
		.amdhsa_user_sgpr_count 2
		.amdhsa_user_sgpr_dispatch_ptr 0
		.amdhsa_user_sgpr_queue_ptr 0
		.amdhsa_user_sgpr_kernarg_segment_ptr 1
		.amdhsa_user_sgpr_dispatch_id 0
		.amdhsa_user_sgpr_private_segment_size 0
		.amdhsa_wavefront_size32 1
		.amdhsa_uses_dynamic_stack 0
		.amdhsa_enable_private_segment 0
		.amdhsa_system_sgpr_workgroup_id_x 1
		.amdhsa_system_sgpr_workgroup_id_y 0
		.amdhsa_system_sgpr_workgroup_id_z 0
		.amdhsa_system_sgpr_workgroup_info 0
		.amdhsa_system_vgpr_workitem_id 0
		.amdhsa_next_free_vgpr 1
		.amdhsa_next_free_sgpr 1
		.amdhsa_reserve_vcc 0
		.amdhsa_float_round_mode_32 0
		.amdhsa_float_round_mode_16_64 0
		.amdhsa_float_denorm_mode_32 3
		.amdhsa_float_denorm_mode_16_64 3
		.amdhsa_fp16_overflow 0
		.amdhsa_workgroup_processor_mode 1
		.amdhsa_memory_ordered 1
		.amdhsa_forward_progress 1
		.amdhsa_inst_pref_size 0
		.amdhsa_round_robin_scheduling 0
		.amdhsa_exception_fp_ieee_invalid_op 0
		.amdhsa_exception_fp_denorm_src 0
		.amdhsa_exception_fp_ieee_div_zero 0
		.amdhsa_exception_fp_ieee_overflow 0
		.amdhsa_exception_fp_ieee_underflow 0
		.amdhsa_exception_fp_ieee_inexact 0
		.amdhsa_exception_int_div_zero 0
	.end_amdhsa_kernel
	.section	.text._ZN7rocprim17ROCPRIM_400000_NS6detail17trampoline_kernelINS0_14default_configENS1_25partition_config_selectorILNS1_17partition_subalgoE6EfNS0_10empty_typeEbEEZZNS1_14partition_implILS5_6ELb0ES3_mN6thrust23THRUST_200600_302600_NS6detail15normal_iteratorINSA_10device_ptrIfEEEEPS6_SG_NS0_5tupleIJNSA_16discard_iteratorINSA_11use_defaultEEES6_EEENSH_IJSG_SG_EEES6_PlJNSB_9not_fun_tINSB_14equal_to_valueIfEEEEEEE10hipError_tPvRmT3_T4_T5_T6_T7_T9_mT8_P12ihipStream_tbDpT10_ENKUlT_T0_E_clISt17integral_constantIbLb1EES1A_IbLb0EEEEDaS16_S17_EUlS16_E_NS1_11comp_targetILNS1_3genE0ELNS1_11target_archE4294967295ELNS1_3gpuE0ELNS1_3repE0EEENS1_30default_config_static_selectorELNS0_4arch9wavefront6targetE0EEEvT1_,"axG",@progbits,_ZN7rocprim17ROCPRIM_400000_NS6detail17trampoline_kernelINS0_14default_configENS1_25partition_config_selectorILNS1_17partition_subalgoE6EfNS0_10empty_typeEbEEZZNS1_14partition_implILS5_6ELb0ES3_mN6thrust23THRUST_200600_302600_NS6detail15normal_iteratorINSA_10device_ptrIfEEEEPS6_SG_NS0_5tupleIJNSA_16discard_iteratorINSA_11use_defaultEEES6_EEENSH_IJSG_SG_EEES6_PlJNSB_9not_fun_tINSB_14equal_to_valueIfEEEEEEE10hipError_tPvRmT3_T4_T5_T6_T7_T9_mT8_P12ihipStream_tbDpT10_ENKUlT_T0_E_clISt17integral_constantIbLb1EES1A_IbLb0EEEEDaS16_S17_EUlS16_E_NS1_11comp_targetILNS1_3genE0ELNS1_11target_archE4294967295ELNS1_3gpuE0ELNS1_3repE0EEENS1_30default_config_static_selectorELNS0_4arch9wavefront6targetE0EEEvT1_,comdat
.Lfunc_end1613:
	.size	_ZN7rocprim17ROCPRIM_400000_NS6detail17trampoline_kernelINS0_14default_configENS1_25partition_config_selectorILNS1_17partition_subalgoE6EfNS0_10empty_typeEbEEZZNS1_14partition_implILS5_6ELb0ES3_mN6thrust23THRUST_200600_302600_NS6detail15normal_iteratorINSA_10device_ptrIfEEEEPS6_SG_NS0_5tupleIJNSA_16discard_iteratorINSA_11use_defaultEEES6_EEENSH_IJSG_SG_EEES6_PlJNSB_9not_fun_tINSB_14equal_to_valueIfEEEEEEE10hipError_tPvRmT3_T4_T5_T6_T7_T9_mT8_P12ihipStream_tbDpT10_ENKUlT_T0_E_clISt17integral_constantIbLb1EES1A_IbLb0EEEEDaS16_S17_EUlS16_E_NS1_11comp_targetILNS1_3genE0ELNS1_11target_archE4294967295ELNS1_3gpuE0ELNS1_3repE0EEENS1_30default_config_static_selectorELNS0_4arch9wavefront6targetE0EEEvT1_, .Lfunc_end1613-_ZN7rocprim17ROCPRIM_400000_NS6detail17trampoline_kernelINS0_14default_configENS1_25partition_config_selectorILNS1_17partition_subalgoE6EfNS0_10empty_typeEbEEZZNS1_14partition_implILS5_6ELb0ES3_mN6thrust23THRUST_200600_302600_NS6detail15normal_iteratorINSA_10device_ptrIfEEEEPS6_SG_NS0_5tupleIJNSA_16discard_iteratorINSA_11use_defaultEEES6_EEENSH_IJSG_SG_EEES6_PlJNSB_9not_fun_tINSB_14equal_to_valueIfEEEEEEE10hipError_tPvRmT3_T4_T5_T6_T7_T9_mT8_P12ihipStream_tbDpT10_ENKUlT_T0_E_clISt17integral_constantIbLb1EES1A_IbLb0EEEEDaS16_S17_EUlS16_E_NS1_11comp_targetILNS1_3genE0ELNS1_11target_archE4294967295ELNS1_3gpuE0ELNS1_3repE0EEENS1_30default_config_static_selectorELNS0_4arch9wavefront6targetE0EEEvT1_
                                        ; -- End function
	.set _ZN7rocprim17ROCPRIM_400000_NS6detail17trampoline_kernelINS0_14default_configENS1_25partition_config_selectorILNS1_17partition_subalgoE6EfNS0_10empty_typeEbEEZZNS1_14partition_implILS5_6ELb0ES3_mN6thrust23THRUST_200600_302600_NS6detail15normal_iteratorINSA_10device_ptrIfEEEEPS6_SG_NS0_5tupleIJNSA_16discard_iteratorINSA_11use_defaultEEES6_EEENSH_IJSG_SG_EEES6_PlJNSB_9not_fun_tINSB_14equal_to_valueIfEEEEEEE10hipError_tPvRmT3_T4_T5_T6_T7_T9_mT8_P12ihipStream_tbDpT10_ENKUlT_T0_E_clISt17integral_constantIbLb1EES1A_IbLb0EEEEDaS16_S17_EUlS16_E_NS1_11comp_targetILNS1_3genE0ELNS1_11target_archE4294967295ELNS1_3gpuE0ELNS1_3repE0EEENS1_30default_config_static_selectorELNS0_4arch9wavefront6targetE0EEEvT1_.num_vgpr, 0
	.set _ZN7rocprim17ROCPRIM_400000_NS6detail17trampoline_kernelINS0_14default_configENS1_25partition_config_selectorILNS1_17partition_subalgoE6EfNS0_10empty_typeEbEEZZNS1_14partition_implILS5_6ELb0ES3_mN6thrust23THRUST_200600_302600_NS6detail15normal_iteratorINSA_10device_ptrIfEEEEPS6_SG_NS0_5tupleIJNSA_16discard_iteratorINSA_11use_defaultEEES6_EEENSH_IJSG_SG_EEES6_PlJNSB_9not_fun_tINSB_14equal_to_valueIfEEEEEEE10hipError_tPvRmT3_T4_T5_T6_T7_T9_mT8_P12ihipStream_tbDpT10_ENKUlT_T0_E_clISt17integral_constantIbLb1EES1A_IbLb0EEEEDaS16_S17_EUlS16_E_NS1_11comp_targetILNS1_3genE0ELNS1_11target_archE4294967295ELNS1_3gpuE0ELNS1_3repE0EEENS1_30default_config_static_selectorELNS0_4arch9wavefront6targetE0EEEvT1_.num_agpr, 0
	.set _ZN7rocprim17ROCPRIM_400000_NS6detail17trampoline_kernelINS0_14default_configENS1_25partition_config_selectorILNS1_17partition_subalgoE6EfNS0_10empty_typeEbEEZZNS1_14partition_implILS5_6ELb0ES3_mN6thrust23THRUST_200600_302600_NS6detail15normal_iteratorINSA_10device_ptrIfEEEEPS6_SG_NS0_5tupleIJNSA_16discard_iteratorINSA_11use_defaultEEES6_EEENSH_IJSG_SG_EEES6_PlJNSB_9not_fun_tINSB_14equal_to_valueIfEEEEEEE10hipError_tPvRmT3_T4_T5_T6_T7_T9_mT8_P12ihipStream_tbDpT10_ENKUlT_T0_E_clISt17integral_constantIbLb1EES1A_IbLb0EEEEDaS16_S17_EUlS16_E_NS1_11comp_targetILNS1_3genE0ELNS1_11target_archE4294967295ELNS1_3gpuE0ELNS1_3repE0EEENS1_30default_config_static_selectorELNS0_4arch9wavefront6targetE0EEEvT1_.numbered_sgpr, 0
	.set _ZN7rocprim17ROCPRIM_400000_NS6detail17trampoline_kernelINS0_14default_configENS1_25partition_config_selectorILNS1_17partition_subalgoE6EfNS0_10empty_typeEbEEZZNS1_14partition_implILS5_6ELb0ES3_mN6thrust23THRUST_200600_302600_NS6detail15normal_iteratorINSA_10device_ptrIfEEEEPS6_SG_NS0_5tupleIJNSA_16discard_iteratorINSA_11use_defaultEEES6_EEENSH_IJSG_SG_EEES6_PlJNSB_9not_fun_tINSB_14equal_to_valueIfEEEEEEE10hipError_tPvRmT3_T4_T5_T6_T7_T9_mT8_P12ihipStream_tbDpT10_ENKUlT_T0_E_clISt17integral_constantIbLb1EES1A_IbLb0EEEEDaS16_S17_EUlS16_E_NS1_11comp_targetILNS1_3genE0ELNS1_11target_archE4294967295ELNS1_3gpuE0ELNS1_3repE0EEENS1_30default_config_static_selectorELNS0_4arch9wavefront6targetE0EEEvT1_.num_named_barrier, 0
	.set _ZN7rocprim17ROCPRIM_400000_NS6detail17trampoline_kernelINS0_14default_configENS1_25partition_config_selectorILNS1_17partition_subalgoE6EfNS0_10empty_typeEbEEZZNS1_14partition_implILS5_6ELb0ES3_mN6thrust23THRUST_200600_302600_NS6detail15normal_iteratorINSA_10device_ptrIfEEEEPS6_SG_NS0_5tupleIJNSA_16discard_iteratorINSA_11use_defaultEEES6_EEENSH_IJSG_SG_EEES6_PlJNSB_9not_fun_tINSB_14equal_to_valueIfEEEEEEE10hipError_tPvRmT3_T4_T5_T6_T7_T9_mT8_P12ihipStream_tbDpT10_ENKUlT_T0_E_clISt17integral_constantIbLb1EES1A_IbLb0EEEEDaS16_S17_EUlS16_E_NS1_11comp_targetILNS1_3genE0ELNS1_11target_archE4294967295ELNS1_3gpuE0ELNS1_3repE0EEENS1_30default_config_static_selectorELNS0_4arch9wavefront6targetE0EEEvT1_.private_seg_size, 0
	.set _ZN7rocprim17ROCPRIM_400000_NS6detail17trampoline_kernelINS0_14default_configENS1_25partition_config_selectorILNS1_17partition_subalgoE6EfNS0_10empty_typeEbEEZZNS1_14partition_implILS5_6ELb0ES3_mN6thrust23THRUST_200600_302600_NS6detail15normal_iteratorINSA_10device_ptrIfEEEEPS6_SG_NS0_5tupleIJNSA_16discard_iteratorINSA_11use_defaultEEES6_EEENSH_IJSG_SG_EEES6_PlJNSB_9not_fun_tINSB_14equal_to_valueIfEEEEEEE10hipError_tPvRmT3_T4_T5_T6_T7_T9_mT8_P12ihipStream_tbDpT10_ENKUlT_T0_E_clISt17integral_constantIbLb1EES1A_IbLb0EEEEDaS16_S17_EUlS16_E_NS1_11comp_targetILNS1_3genE0ELNS1_11target_archE4294967295ELNS1_3gpuE0ELNS1_3repE0EEENS1_30default_config_static_selectorELNS0_4arch9wavefront6targetE0EEEvT1_.uses_vcc, 0
	.set _ZN7rocprim17ROCPRIM_400000_NS6detail17trampoline_kernelINS0_14default_configENS1_25partition_config_selectorILNS1_17partition_subalgoE6EfNS0_10empty_typeEbEEZZNS1_14partition_implILS5_6ELb0ES3_mN6thrust23THRUST_200600_302600_NS6detail15normal_iteratorINSA_10device_ptrIfEEEEPS6_SG_NS0_5tupleIJNSA_16discard_iteratorINSA_11use_defaultEEES6_EEENSH_IJSG_SG_EEES6_PlJNSB_9not_fun_tINSB_14equal_to_valueIfEEEEEEE10hipError_tPvRmT3_T4_T5_T6_T7_T9_mT8_P12ihipStream_tbDpT10_ENKUlT_T0_E_clISt17integral_constantIbLb1EES1A_IbLb0EEEEDaS16_S17_EUlS16_E_NS1_11comp_targetILNS1_3genE0ELNS1_11target_archE4294967295ELNS1_3gpuE0ELNS1_3repE0EEENS1_30default_config_static_selectorELNS0_4arch9wavefront6targetE0EEEvT1_.uses_flat_scratch, 0
	.set _ZN7rocprim17ROCPRIM_400000_NS6detail17trampoline_kernelINS0_14default_configENS1_25partition_config_selectorILNS1_17partition_subalgoE6EfNS0_10empty_typeEbEEZZNS1_14partition_implILS5_6ELb0ES3_mN6thrust23THRUST_200600_302600_NS6detail15normal_iteratorINSA_10device_ptrIfEEEEPS6_SG_NS0_5tupleIJNSA_16discard_iteratorINSA_11use_defaultEEES6_EEENSH_IJSG_SG_EEES6_PlJNSB_9not_fun_tINSB_14equal_to_valueIfEEEEEEE10hipError_tPvRmT3_T4_T5_T6_T7_T9_mT8_P12ihipStream_tbDpT10_ENKUlT_T0_E_clISt17integral_constantIbLb1EES1A_IbLb0EEEEDaS16_S17_EUlS16_E_NS1_11comp_targetILNS1_3genE0ELNS1_11target_archE4294967295ELNS1_3gpuE0ELNS1_3repE0EEENS1_30default_config_static_selectorELNS0_4arch9wavefront6targetE0EEEvT1_.has_dyn_sized_stack, 0
	.set _ZN7rocprim17ROCPRIM_400000_NS6detail17trampoline_kernelINS0_14default_configENS1_25partition_config_selectorILNS1_17partition_subalgoE6EfNS0_10empty_typeEbEEZZNS1_14partition_implILS5_6ELb0ES3_mN6thrust23THRUST_200600_302600_NS6detail15normal_iteratorINSA_10device_ptrIfEEEEPS6_SG_NS0_5tupleIJNSA_16discard_iteratorINSA_11use_defaultEEES6_EEENSH_IJSG_SG_EEES6_PlJNSB_9not_fun_tINSB_14equal_to_valueIfEEEEEEE10hipError_tPvRmT3_T4_T5_T6_T7_T9_mT8_P12ihipStream_tbDpT10_ENKUlT_T0_E_clISt17integral_constantIbLb1EES1A_IbLb0EEEEDaS16_S17_EUlS16_E_NS1_11comp_targetILNS1_3genE0ELNS1_11target_archE4294967295ELNS1_3gpuE0ELNS1_3repE0EEENS1_30default_config_static_selectorELNS0_4arch9wavefront6targetE0EEEvT1_.has_recursion, 0
	.set _ZN7rocprim17ROCPRIM_400000_NS6detail17trampoline_kernelINS0_14default_configENS1_25partition_config_selectorILNS1_17partition_subalgoE6EfNS0_10empty_typeEbEEZZNS1_14partition_implILS5_6ELb0ES3_mN6thrust23THRUST_200600_302600_NS6detail15normal_iteratorINSA_10device_ptrIfEEEEPS6_SG_NS0_5tupleIJNSA_16discard_iteratorINSA_11use_defaultEEES6_EEENSH_IJSG_SG_EEES6_PlJNSB_9not_fun_tINSB_14equal_to_valueIfEEEEEEE10hipError_tPvRmT3_T4_T5_T6_T7_T9_mT8_P12ihipStream_tbDpT10_ENKUlT_T0_E_clISt17integral_constantIbLb1EES1A_IbLb0EEEEDaS16_S17_EUlS16_E_NS1_11comp_targetILNS1_3genE0ELNS1_11target_archE4294967295ELNS1_3gpuE0ELNS1_3repE0EEENS1_30default_config_static_selectorELNS0_4arch9wavefront6targetE0EEEvT1_.has_indirect_call, 0
	.section	.AMDGPU.csdata,"",@progbits
; Kernel info:
; codeLenInByte = 0
; TotalNumSgprs: 0
; NumVgprs: 0
; ScratchSize: 0
; MemoryBound: 0
; FloatMode: 240
; IeeeMode: 1
; LDSByteSize: 0 bytes/workgroup (compile time only)
; SGPRBlocks: 0
; VGPRBlocks: 0
; NumSGPRsForWavesPerEU: 1
; NumVGPRsForWavesPerEU: 1
; Occupancy: 16
; WaveLimiterHint : 0
; COMPUTE_PGM_RSRC2:SCRATCH_EN: 0
; COMPUTE_PGM_RSRC2:USER_SGPR: 2
; COMPUTE_PGM_RSRC2:TRAP_HANDLER: 0
; COMPUTE_PGM_RSRC2:TGID_X_EN: 1
; COMPUTE_PGM_RSRC2:TGID_Y_EN: 0
; COMPUTE_PGM_RSRC2:TGID_Z_EN: 0
; COMPUTE_PGM_RSRC2:TIDIG_COMP_CNT: 0
	.section	.text._ZN7rocprim17ROCPRIM_400000_NS6detail17trampoline_kernelINS0_14default_configENS1_25partition_config_selectorILNS1_17partition_subalgoE6EfNS0_10empty_typeEbEEZZNS1_14partition_implILS5_6ELb0ES3_mN6thrust23THRUST_200600_302600_NS6detail15normal_iteratorINSA_10device_ptrIfEEEEPS6_SG_NS0_5tupleIJNSA_16discard_iteratorINSA_11use_defaultEEES6_EEENSH_IJSG_SG_EEES6_PlJNSB_9not_fun_tINSB_14equal_to_valueIfEEEEEEE10hipError_tPvRmT3_T4_T5_T6_T7_T9_mT8_P12ihipStream_tbDpT10_ENKUlT_T0_E_clISt17integral_constantIbLb1EES1A_IbLb0EEEEDaS16_S17_EUlS16_E_NS1_11comp_targetILNS1_3genE5ELNS1_11target_archE942ELNS1_3gpuE9ELNS1_3repE0EEENS1_30default_config_static_selectorELNS0_4arch9wavefront6targetE0EEEvT1_,"axG",@progbits,_ZN7rocprim17ROCPRIM_400000_NS6detail17trampoline_kernelINS0_14default_configENS1_25partition_config_selectorILNS1_17partition_subalgoE6EfNS0_10empty_typeEbEEZZNS1_14partition_implILS5_6ELb0ES3_mN6thrust23THRUST_200600_302600_NS6detail15normal_iteratorINSA_10device_ptrIfEEEEPS6_SG_NS0_5tupleIJNSA_16discard_iteratorINSA_11use_defaultEEES6_EEENSH_IJSG_SG_EEES6_PlJNSB_9not_fun_tINSB_14equal_to_valueIfEEEEEEE10hipError_tPvRmT3_T4_T5_T6_T7_T9_mT8_P12ihipStream_tbDpT10_ENKUlT_T0_E_clISt17integral_constantIbLb1EES1A_IbLb0EEEEDaS16_S17_EUlS16_E_NS1_11comp_targetILNS1_3genE5ELNS1_11target_archE942ELNS1_3gpuE9ELNS1_3repE0EEENS1_30default_config_static_selectorELNS0_4arch9wavefront6targetE0EEEvT1_,comdat
	.protected	_ZN7rocprim17ROCPRIM_400000_NS6detail17trampoline_kernelINS0_14default_configENS1_25partition_config_selectorILNS1_17partition_subalgoE6EfNS0_10empty_typeEbEEZZNS1_14partition_implILS5_6ELb0ES3_mN6thrust23THRUST_200600_302600_NS6detail15normal_iteratorINSA_10device_ptrIfEEEEPS6_SG_NS0_5tupleIJNSA_16discard_iteratorINSA_11use_defaultEEES6_EEENSH_IJSG_SG_EEES6_PlJNSB_9not_fun_tINSB_14equal_to_valueIfEEEEEEE10hipError_tPvRmT3_T4_T5_T6_T7_T9_mT8_P12ihipStream_tbDpT10_ENKUlT_T0_E_clISt17integral_constantIbLb1EES1A_IbLb0EEEEDaS16_S17_EUlS16_E_NS1_11comp_targetILNS1_3genE5ELNS1_11target_archE942ELNS1_3gpuE9ELNS1_3repE0EEENS1_30default_config_static_selectorELNS0_4arch9wavefront6targetE0EEEvT1_ ; -- Begin function _ZN7rocprim17ROCPRIM_400000_NS6detail17trampoline_kernelINS0_14default_configENS1_25partition_config_selectorILNS1_17partition_subalgoE6EfNS0_10empty_typeEbEEZZNS1_14partition_implILS5_6ELb0ES3_mN6thrust23THRUST_200600_302600_NS6detail15normal_iteratorINSA_10device_ptrIfEEEEPS6_SG_NS0_5tupleIJNSA_16discard_iteratorINSA_11use_defaultEEES6_EEENSH_IJSG_SG_EEES6_PlJNSB_9not_fun_tINSB_14equal_to_valueIfEEEEEEE10hipError_tPvRmT3_T4_T5_T6_T7_T9_mT8_P12ihipStream_tbDpT10_ENKUlT_T0_E_clISt17integral_constantIbLb1EES1A_IbLb0EEEEDaS16_S17_EUlS16_E_NS1_11comp_targetILNS1_3genE5ELNS1_11target_archE942ELNS1_3gpuE9ELNS1_3repE0EEENS1_30default_config_static_selectorELNS0_4arch9wavefront6targetE0EEEvT1_
	.globl	_ZN7rocprim17ROCPRIM_400000_NS6detail17trampoline_kernelINS0_14default_configENS1_25partition_config_selectorILNS1_17partition_subalgoE6EfNS0_10empty_typeEbEEZZNS1_14partition_implILS5_6ELb0ES3_mN6thrust23THRUST_200600_302600_NS6detail15normal_iteratorINSA_10device_ptrIfEEEEPS6_SG_NS0_5tupleIJNSA_16discard_iteratorINSA_11use_defaultEEES6_EEENSH_IJSG_SG_EEES6_PlJNSB_9not_fun_tINSB_14equal_to_valueIfEEEEEEE10hipError_tPvRmT3_T4_T5_T6_T7_T9_mT8_P12ihipStream_tbDpT10_ENKUlT_T0_E_clISt17integral_constantIbLb1EES1A_IbLb0EEEEDaS16_S17_EUlS16_E_NS1_11comp_targetILNS1_3genE5ELNS1_11target_archE942ELNS1_3gpuE9ELNS1_3repE0EEENS1_30default_config_static_selectorELNS0_4arch9wavefront6targetE0EEEvT1_
	.p2align	8
	.type	_ZN7rocprim17ROCPRIM_400000_NS6detail17trampoline_kernelINS0_14default_configENS1_25partition_config_selectorILNS1_17partition_subalgoE6EfNS0_10empty_typeEbEEZZNS1_14partition_implILS5_6ELb0ES3_mN6thrust23THRUST_200600_302600_NS6detail15normal_iteratorINSA_10device_ptrIfEEEEPS6_SG_NS0_5tupleIJNSA_16discard_iteratorINSA_11use_defaultEEES6_EEENSH_IJSG_SG_EEES6_PlJNSB_9not_fun_tINSB_14equal_to_valueIfEEEEEEE10hipError_tPvRmT3_T4_T5_T6_T7_T9_mT8_P12ihipStream_tbDpT10_ENKUlT_T0_E_clISt17integral_constantIbLb1EES1A_IbLb0EEEEDaS16_S17_EUlS16_E_NS1_11comp_targetILNS1_3genE5ELNS1_11target_archE942ELNS1_3gpuE9ELNS1_3repE0EEENS1_30default_config_static_selectorELNS0_4arch9wavefront6targetE0EEEvT1_,@function
_ZN7rocprim17ROCPRIM_400000_NS6detail17trampoline_kernelINS0_14default_configENS1_25partition_config_selectorILNS1_17partition_subalgoE6EfNS0_10empty_typeEbEEZZNS1_14partition_implILS5_6ELb0ES3_mN6thrust23THRUST_200600_302600_NS6detail15normal_iteratorINSA_10device_ptrIfEEEEPS6_SG_NS0_5tupleIJNSA_16discard_iteratorINSA_11use_defaultEEES6_EEENSH_IJSG_SG_EEES6_PlJNSB_9not_fun_tINSB_14equal_to_valueIfEEEEEEE10hipError_tPvRmT3_T4_T5_T6_T7_T9_mT8_P12ihipStream_tbDpT10_ENKUlT_T0_E_clISt17integral_constantIbLb1EES1A_IbLb0EEEEDaS16_S17_EUlS16_E_NS1_11comp_targetILNS1_3genE5ELNS1_11target_archE942ELNS1_3gpuE9ELNS1_3repE0EEENS1_30default_config_static_selectorELNS0_4arch9wavefront6targetE0EEEvT1_: ; @_ZN7rocprim17ROCPRIM_400000_NS6detail17trampoline_kernelINS0_14default_configENS1_25partition_config_selectorILNS1_17partition_subalgoE6EfNS0_10empty_typeEbEEZZNS1_14partition_implILS5_6ELb0ES3_mN6thrust23THRUST_200600_302600_NS6detail15normal_iteratorINSA_10device_ptrIfEEEEPS6_SG_NS0_5tupleIJNSA_16discard_iteratorINSA_11use_defaultEEES6_EEENSH_IJSG_SG_EEES6_PlJNSB_9not_fun_tINSB_14equal_to_valueIfEEEEEEE10hipError_tPvRmT3_T4_T5_T6_T7_T9_mT8_P12ihipStream_tbDpT10_ENKUlT_T0_E_clISt17integral_constantIbLb1EES1A_IbLb0EEEEDaS16_S17_EUlS16_E_NS1_11comp_targetILNS1_3genE5ELNS1_11target_archE942ELNS1_3gpuE9ELNS1_3repE0EEENS1_30default_config_static_selectorELNS0_4arch9wavefront6targetE0EEEvT1_
; %bb.0:
	.section	.rodata,"a",@progbits
	.p2align	6, 0x0
	.amdhsa_kernel _ZN7rocprim17ROCPRIM_400000_NS6detail17trampoline_kernelINS0_14default_configENS1_25partition_config_selectorILNS1_17partition_subalgoE6EfNS0_10empty_typeEbEEZZNS1_14partition_implILS5_6ELb0ES3_mN6thrust23THRUST_200600_302600_NS6detail15normal_iteratorINSA_10device_ptrIfEEEEPS6_SG_NS0_5tupleIJNSA_16discard_iteratorINSA_11use_defaultEEES6_EEENSH_IJSG_SG_EEES6_PlJNSB_9not_fun_tINSB_14equal_to_valueIfEEEEEEE10hipError_tPvRmT3_T4_T5_T6_T7_T9_mT8_P12ihipStream_tbDpT10_ENKUlT_T0_E_clISt17integral_constantIbLb1EES1A_IbLb0EEEEDaS16_S17_EUlS16_E_NS1_11comp_targetILNS1_3genE5ELNS1_11target_archE942ELNS1_3gpuE9ELNS1_3repE0EEENS1_30default_config_static_selectorELNS0_4arch9wavefront6targetE0EEEvT1_
		.amdhsa_group_segment_fixed_size 0
		.amdhsa_private_segment_fixed_size 0
		.amdhsa_kernarg_size 128
		.amdhsa_user_sgpr_count 2
		.amdhsa_user_sgpr_dispatch_ptr 0
		.amdhsa_user_sgpr_queue_ptr 0
		.amdhsa_user_sgpr_kernarg_segment_ptr 1
		.amdhsa_user_sgpr_dispatch_id 0
		.amdhsa_user_sgpr_private_segment_size 0
		.amdhsa_wavefront_size32 1
		.amdhsa_uses_dynamic_stack 0
		.amdhsa_enable_private_segment 0
		.amdhsa_system_sgpr_workgroup_id_x 1
		.amdhsa_system_sgpr_workgroup_id_y 0
		.amdhsa_system_sgpr_workgroup_id_z 0
		.amdhsa_system_sgpr_workgroup_info 0
		.amdhsa_system_vgpr_workitem_id 0
		.amdhsa_next_free_vgpr 1
		.amdhsa_next_free_sgpr 1
		.amdhsa_reserve_vcc 0
		.amdhsa_float_round_mode_32 0
		.amdhsa_float_round_mode_16_64 0
		.amdhsa_float_denorm_mode_32 3
		.amdhsa_float_denorm_mode_16_64 3
		.amdhsa_fp16_overflow 0
		.amdhsa_workgroup_processor_mode 1
		.amdhsa_memory_ordered 1
		.amdhsa_forward_progress 1
		.amdhsa_inst_pref_size 0
		.amdhsa_round_robin_scheduling 0
		.amdhsa_exception_fp_ieee_invalid_op 0
		.amdhsa_exception_fp_denorm_src 0
		.amdhsa_exception_fp_ieee_div_zero 0
		.amdhsa_exception_fp_ieee_overflow 0
		.amdhsa_exception_fp_ieee_underflow 0
		.amdhsa_exception_fp_ieee_inexact 0
		.amdhsa_exception_int_div_zero 0
	.end_amdhsa_kernel
	.section	.text._ZN7rocprim17ROCPRIM_400000_NS6detail17trampoline_kernelINS0_14default_configENS1_25partition_config_selectorILNS1_17partition_subalgoE6EfNS0_10empty_typeEbEEZZNS1_14partition_implILS5_6ELb0ES3_mN6thrust23THRUST_200600_302600_NS6detail15normal_iteratorINSA_10device_ptrIfEEEEPS6_SG_NS0_5tupleIJNSA_16discard_iteratorINSA_11use_defaultEEES6_EEENSH_IJSG_SG_EEES6_PlJNSB_9not_fun_tINSB_14equal_to_valueIfEEEEEEE10hipError_tPvRmT3_T4_T5_T6_T7_T9_mT8_P12ihipStream_tbDpT10_ENKUlT_T0_E_clISt17integral_constantIbLb1EES1A_IbLb0EEEEDaS16_S17_EUlS16_E_NS1_11comp_targetILNS1_3genE5ELNS1_11target_archE942ELNS1_3gpuE9ELNS1_3repE0EEENS1_30default_config_static_selectorELNS0_4arch9wavefront6targetE0EEEvT1_,"axG",@progbits,_ZN7rocprim17ROCPRIM_400000_NS6detail17trampoline_kernelINS0_14default_configENS1_25partition_config_selectorILNS1_17partition_subalgoE6EfNS0_10empty_typeEbEEZZNS1_14partition_implILS5_6ELb0ES3_mN6thrust23THRUST_200600_302600_NS6detail15normal_iteratorINSA_10device_ptrIfEEEEPS6_SG_NS0_5tupleIJNSA_16discard_iteratorINSA_11use_defaultEEES6_EEENSH_IJSG_SG_EEES6_PlJNSB_9not_fun_tINSB_14equal_to_valueIfEEEEEEE10hipError_tPvRmT3_T4_T5_T6_T7_T9_mT8_P12ihipStream_tbDpT10_ENKUlT_T0_E_clISt17integral_constantIbLb1EES1A_IbLb0EEEEDaS16_S17_EUlS16_E_NS1_11comp_targetILNS1_3genE5ELNS1_11target_archE942ELNS1_3gpuE9ELNS1_3repE0EEENS1_30default_config_static_selectorELNS0_4arch9wavefront6targetE0EEEvT1_,comdat
.Lfunc_end1614:
	.size	_ZN7rocprim17ROCPRIM_400000_NS6detail17trampoline_kernelINS0_14default_configENS1_25partition_config_selectorILNS1_17partition_subalgoE6EfNS0_10empty_typeEbEEZZNS1_14partition_implILS5_6ELb0ES3_mN6thrust23THRUST_200600_302600_NS6detail15normal_iteratorINSA_10device_ptrIfEEEEPS6_SG_NS0_5tupleIJNSA_16discard_iteratorINSA_11use_defaultEEES6_EEENSH_IJSG_SG_EEES6_PlJNSB_9not_fun_tINSB_14equal_to_valueIfEEEEEEE10hipError_tPvRmT3_T4_T5_T6_T7_T9_mT8_P12ihipStream_tbDpT10_ENKUlT_T0_E_clISt17integral_constantIbLb1EES1A_IbLb0EEEEDaS16_S17_EUlS16_E_NS1_11comp_targetILNS1_3genE5ELNS1_11target_archE942ELNS1_3gpuE9ELNS1_3repE0EEENS1_30default_config_static_selectorELNS0_4arch9wavefront6targetE0EEEvT1_, .Lfunc_end1614-_ZN7rocprim17ROCPRIM_400000_NS6detail17trampoline_kernelINS0_14default_configENS1_25partition_config_selectorILNS1_17partition_subalgoE6EfNS0_10empty_typeEbEEZZNS1_14partition_implILS5_6ELb0ES3_mN6thrust23THRUST_200600_302600_NS6detail15normal_iteratorINSA_10device_ptrIfEEEEPS6_SG_NS0_5tupleIJNSA_16discard_iteratorINSA_11use_defaultEEES6_EEENSH_IJSG_SG_EEES6_PlJNSB_9not_fun_tINSB_14equal_to_valueIfEEEEEEE10hipError_tPvRmT3_T4_T5_T6_T7_T9_mT8_P12ihipStream_tbDpT10_ENKUlT_T0_E_clISt17integral_constantIbLb1EES1A_IbLb0EEEEDaS16_S17_EUlS16_E_NS1_11comp_targetILNS1_3genE5ELNS1_11target_archE942ELNS1_3gpuE9ELNS1_3repE0EEENS1_30default_config_static_selectorELNS0_4arch9wavefront6targetE0EEEvT1_
                                        ; -- End function
	.set _ZN7rocprim17ROCPRIM_400000_NS6detail17trampoline_kernelINS0_14default_configENS1_25partition_config_selectorILNS1_17partition_subalgoE6EfNS0_10empty_typeEbEEZZNS1_14partition_implILS5_6ELb0ES3_mN6thrust23THRUST_200600_302600_NS6detail15normal_iteratorINSA_10device_ptrIfEEEEPS6_SG_NS0_5tupleIJNSA_16discard_iteratorINSA_11use_defaultEEES6_EEENSH_IJSG_SG_EEES6_PlJNSB_9not_fun_tINSB_14equal_to_valueIfEEEEEEE10hipError_tPvRmT3_T4_T5_T6_T7_T9_mT8_P12ihipStream_tbDpT10_ENKUlT_T0_E_clISt17integral_constantIbLb1EES1A_IbLb0EEEEDaS16_S17_EUlS16_E_NS1_11comp_targetILNS1_3genE5ELNS1_11target_archE942ELNS1_3gpuE9ELNS1_3repE0EEENS1_30default_config_static_selectorELNS0_4arch9wavefront6targetE0EEEvT1_.num_vgpr, 0
	.set _ZN7rocprim17ROCPRIM_400000_NS6detail17trampoline_kernelINS0_14default_configENS1_25partition_config_selectorILNS1_17partition_subalgoE6EfNS0_10empty_typeEbEEZZNS1_14partition_implILS5_6ELb0ES3_mN6thrust23THRUST_200600_302600_NS6detail15normal_iteratorINSA_10device_ptrIfEEEEPS6_SG_NS0_5tupleIJNSA_16discard_iteratorINSA_11use_defaultEEES6_EEENSH_IJSG_SG_EEES6_PlJNSB_9not_fun_tINSB_14equal_to_valueIfEEEEEEE10hipError_tPvRmT3_T4_T5_T6_T7_T9_mT8_P12ihipStream_tbDpT10_ENKUlT_T0_E_clISt17integral_constantIbLb1EES1A_IbLb0EEEEDaS16_S17_EUlS16_E_NS1_11comp_targetILNS1_3genE5ELNS1_11target_archE942ELNS1_3gpuE9ELNS1_3repE0EEENS1_30default_config_static_selectorELNS0_4arch9wavefront6targetE0EEEvT1_.num_agpr, 0
	.set _ZN7rocprim17ROCPRIM_400000_NS6detail17trampoline_kernelINS0_14default_configENS1_25partition_config_selectorILNS1_17partition_subalgoE6EfNS0_10empty_typeEbEEZZNS1_14partition_implILS5_6ELb0ES3_mN6thrust23THRUST_200600_302600_NS6detail15normal_iteratorINSA_10device_ptrIfEEEEPS6_SG_NS0_5tupleIJNSA_16discard_iteratorINSA_11use_defaultEEES6_EEENSH_IJSG_SG_EEES6_PlJNSB_9not_fun_tINSB_14equal_to_valueIfEEEEEEE10hipError_tPvRmT3_T4_T5_T6_T7_T9_mT8_P12ihipStream_tbDpT10_ENKUlT_T0_E_clISt17integral_constantIbLb1EES1A_IbLb0EEEEDaS16_S17_EUlS16_E_NS1_11comp_targetILNS1_3genE5ELNS1_11target_archE942ELNS1_3gpuE9ELNS1_3repE0EEENS1_30default_config_static_selectorELNS0_4arch9wavefront6targetE0EEEvT1_.numbered_sgpr, 0
	.set _ZN7rocprim17ROCPRIM_400000_NS6detail17trampoline_kernelINS0_14default_configENS1_25partition_config_selectorILNS1_17partition_subalgoE6EfNS0_10empty_typeEbEEZZNS1_14partition_implILS5_6ELb0ES3_mN6thrust23THRUST_200600_302600_NS6detail15normal_iteratorINSA_10device_ptrIfEEEEPS6_SG_NS0_5tupleIJNSA_16discard_iteratorINSA_11use_defaultEEES6_EEENSH_IJSG_SG_EEES6_PlJNSB_9not_fun_tINSB_14equal_to_valueIfEEEEEEE10hipError_tPvRmT3_T4_T5_T6_T7_T9_mT8_P12ihipStream_tbDpT10_ENKUlT_T0_E_clISt17integral_constantIbLb1EES1A_IbLb0EEEEDaS16_S17_EUlS16_E_NS1_11comp_targetILNS1_3genE5ELNS1_11target_archE942ELNS1_3gpuE9ELNS1_3repE0EEENS1_30default_config_static_selectorELNS0_4arch9wavefront6targetE0EEEvT1_.num_named_barrier, 0
	.set _ZN7rocprim17ROCPRIM_400000_NS6detail17trampoline_kernelINS0_14default_configENS1_25partition_config_selectorILNS1_17partition_subalgoE6EfNS0_10empty_typeEbEEZZNS1_14partition_implILS5_6ELb0ES3_mN6thrust23THRUST_200600_302600_NS6detail15normal_iteratorINSA_10device_ptrIfEEEEPS6_SG_NS0_5tupleIJNSA_16discard_iteratorINSA_11use_defaultEEES6_EEENSH_IJSG_SG_EEES6_PlJNSB_9not_fun_tINSB_14equal_to_valueIfEEEEEEE10hipError_tPvRmT3_T4_T5_T6_T7_T9_mT8_P12ihipStream_tbDpT10_ENKUlT_T0_E_clISt17integral_constantIbLb1EES1A_IbLb0EEEEDaS16_S17_EUlS16_E_NS1_11comp_targetILNS1_3genE5ELNS1_11target_archE942ELNS1_3gpuE9ELNS1_3repE0EEENS1_30default_config_static_selectorELNS0_4arch9wavefront6targetE0EEEvT1_.private_seg_size, 0
	.set _ZN7rocprim17ROCPRIM_400000_NS6detail17trampoline_kernelINS0_14default_configENS1_25partition_config_selectorILNS1_17partition_subalgoE6EfNS0_10empty_typeEbEEZZNS1_14partition_implILS5_6ELb0ES3_mN6thrust23THRUST_200600_302600_NS6detail15normal_iteratorINSA_10device_ptrIfEEEEPS6_SG_NS0_5tupleIJNSA_16discard_iteratorINSA_11use_defaultEEES6_EEENSH_IJSG_SG_EEES6_PlJNSB_9not_fun_tINSB_14equal_to_valueIfEEEEEEE10hipError_tPvRmT3_T4_T5_T6_T7_T9_mT8_P12ihipStream_tbDpT10_ENKUlT_T0_E_clISt17integral_constantIbLb1EES1A_IbLb0EEEEDaS16_S17_EUlS16_E_NS1_11comp_targetILNS1_3genE5ELNS1_11target_archE942ELNS1_3gpuE9ELNS1_3repE0EEENS1_30default_config_static_selectorELNS0_4arch9wavefront6targetE0EEEvT1_.uses_vcc, 0
	.set _ZN7rocprim17ROCPRIM_400000_NS6detail17trampoline_kernelINS0_14default_configENS1_25partition_config_selectorILNS1_17partition_subalgoE6EfNS0_10empty_typeEbEEZZNS1_14partition_implILS5_6ELb0ES3_mN6thrust23THRUST_200600_302600_NS6detail15normal_iteratorINSA_10device_ptrIfEEEEPS6_SG_NS0_5tupleIJNSA_16discard_iteratorINSA_11use_defaultEEES6_EEENSH_IJSG_SG_EEES6_PlJNSB_9not_fun_tINSB_14equal_to_valueIfEEEEEEE10hipError_tPvRmT3_T4_T5_T6_T7_T9_mT8_P12ihipStream_tbDpT10_ENKUlT_T0_E_clISt17integral_constantIbLb1EES1A_IbLb0EEEEDaS16_S17_EUlS16_E_NS1_11comp_targetILNS1_3genE5ELNS1_11target_archE942ELNS1_3gpuE9ELNS1_3repE0EEENS1_30default_config_static_selectorELNS0_4arch9wavefront6targetE0EEEvT1_.uses_flat_scratch, 0
	.set _ZN7rocprim17ROCPRIM_400000_NS6detail17trampoline_kernelINS0_14default_configENS1_25partition_config_selectorILNS1_17partition_subalgoE6EfNS0_10empty_typeEbEEZZNS1_14partition_implILS5_6ELb0ES3_mN6thrust23THRUST_200600_302600_NS6detail15normal_iteratorINSA_10device_ptrIfEEEEPS6_SG_NS0_5tupleIJNSA_16discard_iteratorINSA_11use_defaultEEES6_EEENSH_IJSG_SG_EEES6_PlJNSB_9not_fun_tINSB_14equal_to_valueIfEEEEEEE10hipError_tPvRmT3_T4_T5_T6_T7_T9_mT8_P12ihipStream_tbDpT10_ENKUlT_T0_E_clISt17integral_constantIbLb1EES1A_IbLb0EEEEDaS16_S17_EUlS16_E_NS1_11comp_targetILNS1_3genE5ELNS1_11target_archE942ELNS1_3gpuE9ELNS1_3repE0EEENS1_30default_config_static_selectorELNS0_4arch9wavefront6targetE0EEEvT1_.has_dyn_sized_stack, 0
	.set _ZN7rocprim17ROCPRIM_400000_NS6detail17trampoline_kernelINS0_14default_configENS1_25partition_config_selectorILNS1_17partition_subalgoE6EfNS0_10empty_typeEbEEZZNS1_14partition_implILS5_6ELb0ES3_mN6thrust23THRUST_200600_302600_NS6detail15normal_iteratorINSA_10device_ptrIfEEEEPS6_SG_NS0_5tupleIJNSA_16discard_iteratorINSA_11use_defaultEEES6_EEENSH_IJSG_SG_EEES6_PlJNSB_9not_fun_tINSB_14equal_to_valueIfEEEEEEE10hipError_tPvRmT3_T4_T5_T6_T7_T9_mT8_P12ihipStream_tbDpT10_ENKUlT_T0_E_clISt17integral_constantIbLb1EES1A_IbLb0EEEEDaS16_S17_EUlS16_E_NS1_11comp_targetILNS1_3genE5ELNS1_11target_archE942ELNS1_3gpuE9ELNS1_3repE0EEENS1_30default_config_static_selectorELNS0_4arch9wavefront6targetE0EEEvT1_.has_recursion, 0
	.set _ZN7rocprim17ROCPRIM_400000_NS6detail17trampoline_kernelINS0_14default_configENS1_25partition_config_selectorILNS1_17partition_subalgoE6EfNS0_10empty_typeEbEEZZNS1_14partition_implILS5_6ELb0ES3_mN6thrust23THRUST_200600_302600_NS6detail15normal_iteratorINSA_10device_ptrIfEEEEPS6_SG_NS0_5tupleIJNSA_16discard_iteratorINSA_11use_defaultEEES6_EEENSH_IJSG_SG_EEES6_PlJNSB_9not_fun_tINSB_14equal_to_valueIfEEEEEEE10hipError_tPvRmT3_T4_T5_T6_T7_T9_mT8_P12ihipStream_tbDpT10_ENKUlT_T0_E_clISt17integral_constantIbLb1EES1A_IbLb0EEEEDaS16_S17_EUlS16_E_NS1_11comp_targetILNS1_3genE5ELNS1_11target_archE942ELNS1_3gpuE9ELNS1_3repE0EEENS1_30default_config_static_selectorELNS0_4arch9wavefront6targetE0EEEvT1_.has_indirect_call, 0
	.section	.AMDGPU.csdata,"",@progbits
; Kernel info:
; codeLenInByte = 0
; TotalNumSgprs: 0
; NumVgprs: 0
; ScratchSize: 0
; MemoryBound: 0
; FloatMode: 240
; IeeeMode: 1
; LDSByteSize: 0 bytes/workgroup (compile time only)
; SGPRBlocks: 0
; VGPRBlocks: 0
; NumSGPRsForWavesPerEU: 1
; NumVGPRsForWavesPerEU: 1
; Occupancy: 16
; WaveLimiterHint : 0
; COMPUTE_PGM_RSRC2:SCRATCH_EN: 0
; COMPUTE_PGM_RSRC2:USER_SGPR: 2
; COMPUTE_PGM_RSRC2:TRAP_HANDLER: 0
; COMPUTE_PGM_RSRC2:TGID_X_EN: 1
; COMPUTE_PGM_RSRC2:TGID_Y_EN: 0
; COMPUTE_PGM_RSRC2:TGID_Z_EN: 0
; COMPUTE_PGM_RSRC2:TIDIG_COMP_CNT: 0
	.section	.text._ZN7rocprim17ROCPRIM_400000_NS6detail17trampoline_kernelINS0_14default_configENS1_25partition_config_selectorILNS1_17partition_subalgoE6EfNS0_10empty_typeEbEEZZNS1_14partition_implILS5_6ELb0ES3_mN6thrust23THRUST_200600_302600_NS6detail15normal_iteratorINSA_10device_ptrIfEEEEPS6_SG_NS0_5tupleIJNSA_16discard_iteratorINSA_11use_defaultEEES6_EEENSH_IJSG_SG_EEES6_PlJNSB_9not_fun_tINSB_14equal_to_valueIfEEEEEEE10hipError_tPvRmT3_T4_T5_T6_T7_T9_mT8_P12ihipStream_tbDpT10_ENKUlT_T0_E_clISt17integral_constantIbLb1EES1A_IbLb0EEEEDaS16_S17_EUlS16_E_NS1_11comp_targetILNS1_3genE4ELNS1_11target_archE910ELNS1_3gpuE8ELNS1_3repE0EEENS1_30default_config_static_selectorELNS0_4arch9wavefront6targetE0EEEvT1_,"axG",@progbits,_ZN7rocprim17ROCPRIM_400000_NS6detail17trampoline_kernelINS0_14default_configENS1_25partition_config_selectorILNS1_17partition_subalgoE6EfNS0_10empty_typeEbEEZZNS1_14partition_implILS5_6ELb0ES3_mN6thrust23THRUST_200600_302600_NS6detail15normal_iteratorINSA_10device_ptrIfEEEEPS6_SG_NS0_5tupleIJNSA_16discard_iteratorINSA_11use_defaultEEES6_EEENSH_IJSG_SG_EEES6_PlJNSB_9not_fun_tINSB_14equal_to_valueIfEEEEEEE10hipError_tPvRmT3_T4_T5_T6_T7_T9_mT8_P12ihipStream_tbDpT10_ENKUlT_T0_E_clISt17integral_constantIbLb1EES1A_IbLb0EEEEDaS16_S17_EUlS16_E_NS1_11comp_targetILNS1_3genE4ELNS1_11target_archE910ELNS1_3gpuE8ELNS1_3repE0EEENS1_30default_config_static_selectorELNS0_4arch9wavefront6targetE0EEEvT1_,comdat
	.protected	_ZN7rocprim17ROCPRIM_400000_NS6detail17trampoline_kernelINS0_14default_configENS1_25partition_config_selectorILNS1_17partition_subalgoE6EfNS0_10empty_typeEbEEZZNS1_14partition_implILS5_6ELb0ES3_mN6thrust23THRUST_200600_302600_NS6detail15normal_iteratorINSA_10device_ptrIfEEEEPS6_SG_NS0_5tupleIJNSA_16discard_iteratorINSA_11use_defaultEEES6_EEENSH_IJSG_SG_EEES6_PlJNSB_9not_fun_tINSB_14equal_to_valueIfEEEEEEE10hipError_tPvRmT3_T4_T5_T6_T7_T9_mT8_P12ihipStream_tbDpT10_ENKUlT_T0_E_clISt17integral_constantIbLb1EES1A_IbLb0EEEEDaS16_S17_EUlS16_E_NS1_11comp_targetILNS1_3genE4ELNS1_11target_archE910ELNS1_3gpuE8ELNS1_3repE0EEENS1_30default_config_static_selectorELNS0_4arch9wavefront6targetE0EEEvT1_ ; -- Begin function _ZN7rocprim17ROCPRIM_400000_NS6detail17trampoline_kernelINS0_14default_configENS1_25partition_config_selectorILNS1_17partition_subalgoE6EfNS0_10empty_typeEbEEZZNS1_14partition_implILS5_6ELb0ES3_mN6thrust23THRUST_200600_302600_NS6detail15normal_iteratorINSA_10device_ptrIfEEEEPS6_SG_NS0_5tupleIJNSA_16discard_iteratorINSA_11use_defaultEEES6_EEENSH_IJSG_SG_EEES6_PlJNSB_9not_fun_tINSB_14equal_to_valueIfEEEEEEE10hipError_tPvRmT3_T4_T5_T6_T7_T9_mT8_P12ihipStream_tbDpT10_ENKUlT_T0_E_clISt17integral_constantIbLb1EES1A_IbLb0EEEEDaS16_S17_EUlS16_E_NS1_11comp_targetILNS1_3genE4ELNS1_11target_archE910ELNS1_3gpuE8ELNS1_3repE0EEENS1_30default_config_static_selectorELNS0_4arch9wavefront6targetE0EEEvT1_
	.globl	_ZN7rocprim17ROCPRIM_400000_NS6detail17trampoline_kernelINS0_14default_configENS1_25partition_config_selectorILNS1_17partition_subalgoE6EfNS0_10empty_typeEbEEZZNS1_14partition_implILS5_6ELb0ES3_mN6thrust23THRUST_200600_302600_NS6detail15normal_iteratorINSA_10device_ptrIfEEEEPS6_SG_NS0_5tupleIJNSA_16discard_iteratorINSA_11use_defaultEEES6_EEENSH_IJSG_SG_EEES6_PlJNSB_9not_fun_tINSB_14equal_to_valueIfEEEEEEE10hipError_tPvRmT3_T4_T5_T6_T7_T9_mT8_P12ihipStream_tbDpT10_ENKUlT_T0_E_clISt17integral_constantIbLb1EES1A_IbLb0EEEEDaS16_S17_EUlS16_E_NS1_11comp_targetILNS1_3genE4ELNS1_11target_archE910ELNS1_3gpuE8ELNS1_3repE0EEENS1_30default_config_static_selectorELNS0_4arch9wavefront6targetE0EEEvT1_
	.p2align	8
	.type	_ZN7rocprim17ROCPRIM_400000_NS6detail17trampoline_kernelINS0_14default_configENS1_25partition_config_selectorILNS1_17partition_subalgoE6EfNS0_10empty_typeEbEEZZNS1_14partition_implILS5_6ELb0ES3_mN6thrust23THRUST_200600_302600_NS6detail15normal_iteratorINSA_10device_ptrIfEEEEPS6_SG_NS0_5tupleIJNSA_16discard_iteratorINSA_11use_defaultEEES6_EEENSH_IJSG_SG_EEES6_PlJNSB_9not_fun_tINSB_14equal_to_valueIfEEEEEEE10hipError_tPvRmT3_T4_T5_T6_T7_T9_mT8_P12ihipStream_tbDpT10_ENKUlT_T0_E_clISt17integral_constantIbLb1EES1A_IbLb0EEEEDaS16_S17_EUlS16_E_NS1_11comp_targetILNS1_3genE4ELNS1_11target_archE910ELNS1_3gpuE8ELNS1_3repE0EEENS1_30default_config_static_selectorELNS0_4arch9wavefront6targetE0EEEvT1_,@function
_ZN7rocprim17ROCPRIM_400000_NS6detail17trampoline_kernelINS0_14default_configENS1_25partition_config_selectorILNS1_17partition_subalgoE6EfNS0_10empty_typeEbEEZZNS1_14partition_implILS5_6ELb0ES3_mN6thrust23THRUST_200600_302600_NS6detail15normal_iteratorINSA_10device_ptrIfEEEEPS6_SG_NS0_5tupleIJNSA_16discard_iteratorINSA_11use_defaultEEES6_EEENSH_IJSG_SG_EEES6_PlJNSB_9not_fun_tINSB_14equal_to_valueIfEEEEEEE10hipError_tPvRmT3_T4_T5_T6_T7_T9_mT8_P12ihipStream_tbDpT10_ENKUlT_T0_E_clISt17integral_constantIbLb1EES1A_IbLb0EEEEDaS16_S17_EUlS16_E_NS1_11comp_targetILNS1_3genE4ELNS1_11target_archE910ELNS1_3gpuE8ELNS1_3repE0EEENS1_30default_config_static_selectorELNS0_4arch9wavefront6targetE0EEEvT1_: ; @_ZN7rocprim17ROCPRIM_400000_NS6detail17trampoline_kernelINS0_14default_configENS1_25partition_config_selectorILNS1_17partition_subalgoE6EfNS0_10empty_typeEbEEZZNS1_14partition_implILS5_6ELb0ES3_mN6thrust23THRUST_200600_302600_NS6detail15normal_iteratorINSA_10device_ptrIfEEEEPS6_SG_NS0_5tupleIJNSA_16discard_iteratorINSA_11use_defaultEEES6_EEENSH_IJSG_SG_EEES6_PlJNSB_9not_fun_tINSB_14equal_to_valueIfEEEEEEE10hipError_tPvRmT3_T4_T5_T6_T7_T9_mT8_P12ihipStream_tbDpT10_ENKUlT_T0_E_clISt17integral_constantIbLb1EES1A_IbLb0EEEEDaS16_S17_EUlS16_E_NS1_11comp_targetILNS1_3genE4ELNS1_11target_archE910ELNS1_3gpuE8ELNS1_3repE0EEENS1_30default_config_static_selectorELNS0_4arch9wavefront6targetE0EEEvT1_
; %bb.0:
	.section	.rodata,"a",@progbits
	.p2align	6, 0x0
	.amdhsa_kernel _ZN7rocprim17ROCPRIM_400000_NS6detail17trampoline_kernelINS0_14default_configENS1_25partition_config_selectorILNS1_17partition_subalgoE6EfNS0_10empty_typeEbEEZZNS1_14partition_implILS5_6ELb0ES3_mN6thrust23THRUST_200600_302600_NS6detail15normal_iteratorINSA_10device_ptrIfEEEEPS6_SG_NS0_5tupleIJNSA_16discard_iteratorINSA_11use_defaultEEES6_EEENSH_IJSG_SG_EEES6_PlJNSB_9not_fun_tINSB_14equal_to_valueIfEEEEEEE10hipError_tPvRmT3_T4_T5_T6_T7_T9_mT8_P12ihipStream_tbDpT10_ENKUlT_T0_E_clISt17integral_constantIbLb1EES1A_IbLb0EEEEDaS16_S17_EUlS16_E_NS1_11comp_targetILNS1_3genE4ELNS1_11target_archE910ELNS1_3gpuE8ELNS1_3repE0EEENS1_30default_config_static_selectorELNS0_4arch9wavefront6targetE0EEEvT1_
		.amdhsa_group_segment_fixed_size 0
		.amdhsa_private_segment_fixed_size 0
		.amdhsa_kernarg_size 128
		.amdhsa_user_sgpr_count 2
		.amdhsa_user_sgpr_dispatch_ptr 0
		.amdhsa_user_sgpr_queue_ptr 0
		.amdhsa_user_sgpr_kernarg_segment_ptr 1
		.amdhsa_user_sgpr_dispatch_id 0
		.amdhsa_user_sgpr_private_segment_size 0
		.amdhsa_wavefront_size32 1
		.amdhsa_uses_dynamic_stack 0
		.amdhsa_enable_private_segment 0
		.amdhsa_system_sgpr_workgroup_id_x 1
		.amdhsa_system_sgpr_workgroup_id_y 0
		.amdhsa_system_sgpr_workgroup_id_z 0
		.amdhsa_system_sgpr_workgroup_info 0
		.amdhsa_system_vgpr_workitem_id 0
		.amdhsa_next_free_vgpr 1
		.amdhsa_next_free_sgpr 1
		.amdhsa_reserve_vcc 0
		.amdhsa_float_round_mode_32 0
		.amdhsa_float_round_mode_16_64 0
		.amdhsa_float_denorm_mode_32 3
		.amdhsa_float_denorm_mode_16_64 3
		.amdhsa_fp16_overflow 0
		.amdhsa_workgroup_processor_mode 1
		.amdhsa_memory_ordered 1
		.amdhsa_forward_progress 1
		.amdhsa_inst_pref_size 0
		.amdhsa_round_robin_scheduling 0
		.amdhsa_exception_fp_ieee_invalid_op 0
		.amdhsa_exception_fp_denorm_src 0
		.amdhsa_exception_fp_ieee_div_zero 0
		.amdhsa_exception_fp_ieee_overflow 0
		.amdhsa_exception_fp_ieee_underflow 0
		.amdhsa_exception_fp_ieee_inexact 0
		.amdhsa_exception_int_div_zero 0
	.end_amdhsa_kernel
	.section	.text._ZN7rocprim17ROCPRIM_400000_NS6detail17trampoline_kernelINS0_14default_configENS1_25partition_config_selectorILNS1_17partition_subalgoE6EfNS0_10empty_typeEbEEZZNS1_14partition_implILS5_6ELb0ES3_mN6thrust23THRUST_200600_302600_NS6detail15normal_iteratorINSA_10device_ptrIfEEEEPS6_SG_NS0_5tupleIJNSA_16discard_iteratorINSA_11use_defaultEEES6_EEENSH_IJSG_SG_EEES6_PlJNSB_9not_fun_tINSB_14equal_to_valueIfEEEEEEE10hipError_tPvRmT3_T4_T5_T6_T7_T9_mT8_P12ihipStream_tbDpT10_ENKUlT_T0_E_clISt17integral_constantIbLb1EES1A_IbLb0EEEEDaS16_S17_EUlS16_E_NS1_11comp_targetILNS1_3genE4ELNS1_11target_archE910ELNS1_3gpuE8ELNS1_3repE0EEENS1_30default_config_static_selectorELNS0_4arch9wavefront6targetE0EEEvT1_,"axG",@progbits,_ZN7rocprim17ROCPRIM_400000_NS6detail17trampoline_kernelINS0_14default_configENS1_25partition_config_selectorILNS1_17partition_subalgoE6EfNS0_10empty_typeEbEEZZNS1_14partition_implILS5_6ELb0ES3_mN6thrust23THRUST_200600_302600_NS6detail15normal_iteratorINSA_10device_ptrIfEEEEPS6_SG_NS0_5tupleIJNSA_16discard_iteratorINSA_11use_defaultEEES6_EEENSH_IJSG_SG_EEES6_PlJNSB_9not_fun_tINSB_14equal_to_valueIfEEEEEEE10hipError_tPvRmT3_T4_T5_T6_T7_T9_mT8_P12ihipStream_tbDpT10_ENKUlT_T0_E_clISt17integral_constantIbLb1EES1A_IbLb0EEEEDaS16_S17_EUlS16_E_NS1_11comp_targetILNS1_3genE4ELNS1_11target_archE910ELNS1_3gpuE8ELNS1_3repE0EEENS1_30default_config_static_selectorELNS0_4arch9wavefront6targetE0EEEvT1_,comdat
.Lfunc_end1615:
	.size	_ZN7rocprim17ROCPRIM_400000_NS6detail17trampoline_kernelINS0_14default_configENS1_25partition_config_selectorILNS1_17partition_subalgoE6EfNS0_10empty_typeEbEEZZNS1_14partition_implILS5_6ELb0ES3_mN6thrust23THRUST_200600_302600_NS6detail15normal_iteratorINSA_10device_ptrIfEEEEPS6_SG_NS0_5tupleIJNSA_16discard_iteratorINSA_11use_defaultEEES6_EEENSH_IJSG_SG_EEES6_PlJNSB_9not_fun_tINSB_14equal_to_valueIfEEEEEEE10hipError_tPvRmT3_T4_T5_T6_T7_T9_mT8_P12ihipStream_tbDpT10_ENKUlT_T0_E_clISt17integral_constantIbLb1EES1A_IbLb0EEEEDaS16_S17_EUlS16_E_NS1_11comp_targetILNS1_3genE4ELNS1_11target_archE910ELNS1_3gpuE8ELNS1_3repE0EEENS1_30default_config_static_selectorELNS0_4arch9wavefront6targetE0EEEvT1_, .Lfunc_end1615-_ZN7rocprim17ROCPRIM_400000_NS6detail17trampoline_kernelINS0_14default_configENS1_25partition_config_selectorILNS1_17partition_subalgoE6EfNS0_10empty_typeEbEEZZNS1_14partition_implILS5_6ELb0ES3_mN6thrust23THRUST_200600_302600_NS6detail15normal_iteratorINSA_10device_ptrIfEEEEPS6_SG_NS0_5tupleIJNSA_16discard_iteratorINSA_11use_defaultEEES6_EEENSH_IJSG_SG_EEES6_PlJNSB_9not_fun_tINSB_14equal_to_valueIfEEEEEEE10hipError_tPvRmT3_T4_T5_T6_T7_T9_mT8_P12ihipStream_tbDpT10_ENKUlT_T0_E_clISt17integral_constantIbLb1EES1A_IbLb0EEEEDaS16_S17_EUlS16_E_NS1_11comp_targetILNS1_3genE4ELNS1_11target_archE910ELNS1_3gpuE8ELNS1_3repE0EEENS1_30default_config_static_selectorELNS0_4arch9wavefront6targetE0EEEvT1_
                                        ; -- End function
	.set _ZN7rocprim17ROCPRIM_400000_NS6detail17trampoline_kernelINS0_14default_configENS1_25partition_config_selectorILNS1_17partition_subalgoE6EfNS0_10empty_typeEbEEZZNS1_14partition_implILS5_6ELb0ES3_mN6thrust23THRUST_200600_302600_NS6detail15normal_iteratorINSA_10device_ptrIfEEEEPS6_SG_NS0_5tupleIJNSA_16discard_iteratorINSA_11use_defaultEEES6_EEENSH_IJSG_SG_EEES6_PlJNSB_9not_fun_tINSB_14equal_to_valueIfEEEEEEE10hipError_tPvRmT3_T4_T5_T6_T7_T9_mT8_P12ihipStream_tbDpT10_ENKUlT_T0_E_clISt17integral_constantIbLb1EES1A_IbLb0EEEEDaS16_S17_EUlS16_E_NS1_11comp_targetILNS1_3genE4ELNS1_11target_archE910ELNS1_3gpuE8ELNS1_3repE0EEENS1_30default_config_static_selectorELNS0_4arch9wavefront6targetE0EEEvT1_.num_vgpr, 0
	.set _ZN7rocprim17ROCPRIM_400000_NS6detail17trampoline_kernelINS0_14default_configENS1_25partition_config_selectorILNS1_17partition_subalgoE6EfNS0_10empty_typeEbEEZZNS1_14partition_implILS5_6ELb0ES3_mN6thrust23THRUST_200600_302600_NS6detail15normal_iteratorINSA_10device_ptrIfEEEEPS6_SG_NS0_5tupleIJNSA_16discard_iteratorINSA_11use_defaultEEES6_EEENSH_IJSG_SG_EEES6_PlJNSB_9not_fun_tINSB_14equal_to_valueIfEEEEEEE10hipError_tPvRmT3_T4_T5_T6_T7_T9_mT8_P12ihipStream_tbDpT10_ENKUlT_T0_E_clISt17integral_constantIbLb1EES1A_IbLb0EEEEDaS16_S17_EUlS16_E_NS1_11comp_targetILNS1_3genE4ELNS1_11target_archE910ELNS1_3gpuE8ELNS1_3repE0EEENS1_30default_config_static_selectorELNS0_4arch9wavefront6targetE0EEEvT1_.num_agpr, 0
	.set _ZN7rocprim17ROCPRIM_400000_NS6detail17trampoline_kernelINS0_14default_configENS1_25partition_config_selectorILNS1_17partition_subalgoE6EfNS0_10empty_typeEbEEZZNS1_14partition_implILS5_6ELb0ES3_mN6thrust23THRUST_200600_302600_NS6detail15normal_iteratorINSA_10device_ptrIfEEEEPS6_SG_NS0_5tupleIJNSA_16discard_iteratorINSA_11use_defaultEEES6_EEENSH_IJSG_SG_EEES6_PlJNSB_9not_fun_tINSB_14equal_to_valueIfEEEEEEE10hipError_tPvRmT3_T4_T5_T6_T7_T9_mT8_P12ihipStream_tbDpT10_ENKUlT_T0_E_clISt17integral_constantIbLb1EES1A_IbLb0EEEEDaS16_S17_EUlS16_E_NS1_11comp_targetILNS1_3genE4ELNS1_11target_archE910ELNS1_3gpuE8ELNS1_3repE0EEENS1_30default_config_static_selectorELNS0_4arch9wavefront6targetE0EEEvT1_.numbered_sgpr, 0
	.set _ZN7rocprim17ROCPRIM_400000_NS6detail17trampoline_kernelINS0_14default_configENS1_25partition_config_selectorILNS1_17partition_subalgoE6EfNS0_10empty_typeEbEEZZNS1_14partition_implILS5_6ELb0ES3_mN6thrust23THRUST_200600_302600_NS6detail15normal_iteratorINSA_10device_ptrIfEEEEPS6_SG_NS0_5tupleIJNSA_16discard_iteratorINSA_11use_defaultEEES6_EEENSH_IJSG_SG_EEES6_PlJNSB_9not_fun_tINSB_14equal_to_valueIfEEEEEEE10hipError_tPvRmT3_T4_T5_T6_T7_T9_mT8_P12ihipStream_tbDpT10_ENKUlT_T0_E_clISt17integral_constantIbLb1EES1A_IbLb0EEEEDaS16_S17_EUlS16_E_NS1_11comp_targetILNS1_3genE4ELNS1_11target_archE910ELNS1_3gpuE8ELNS1_3repE0EEENS1_30default_config_static_selectorELNS0_4arch9wavefront6targetE0EEEvT1_.num_named_barrier, 0
	.set _ZN7rocprim17ROCPRIM_400000_NS6detail17trampoline_kernelINS0_14default_configENS1_25partition_config_selectorILNS1_17partition_subalgoE6EfNS0_10empty_typeEbEEZZNS1_14partition_implILS5_6ELb0ES3_mN6thrust23THRUST_200600_302600_NS6detail15normal_iteratorINSA_10device_ptrIfEEEEPS6_SG_NS0_5tupleIJNSA_16discard_iteratorINSA_11use_defaultEEES6_EEENSH_IJSG_SG_EEES6_PlJNSB_9not_fun_tINSB_14equal_to_valueIfEEEEEEE10hipError_tPvRmT3_T4_T5_T6_T7_T9_mT8_P12ihipStream_tbDpT10_ENKUlT_T0_E_clISt17integral_constantIbLb1EES1A_IbLb0EEEEDaS16_S17_EUlS16_E_NS1_11comp_targetILNS1_3genE4ELNS1_11target_archE910ELNS1_3gpuE8ELNS1_3repE0EEENS1_30default_config_static_selectorELNS0_4arch9wavefront6targetE0EEEvT1_.private_seg_size, 0
	.set _ZN7rocprim17ROCPRIM_400000_NS6detail17trampoline_kernelINS0_14default_configENS1_25partition_config_selectorILNS1_17partition_subalgoE6EfNS0_10empty_typeEbEEZZNS1_14partition_implILS5_6ELb0ES3_mN6thrust23THRUST_200600_302600_NS6detail15normal_iteratorINSA_10device_ptrIfEEEEPS6_SG_NS0_5tupleIJNSA_16discard_iteratorINSA_11use_defaultEEES6_EEENSH_IJSG_SG_EEES6_PlJNSB_9not_fun_tINSB_14equal_to_valueIfEEEEEEE10hipError_tPvRmT3_T4_T5_T6_T7_T9_mT8_P12ihipStream_tbDpT10_ENKUlT_T0_E_clISt17integral_constantIbLb1EES1A_IbLb0EEEEDaS16_S17_EUlS16_E_NS1_11comp_targetILNS1_3genE4ELNS1_11target_archE910ELNS1_3gpuE8ELNS1_3repE0EEENS1_30default_config_static_selectorELNS0_4arch9wavefront6targetE0EEEvT1_.uses_vcc, 0
	.set _ZN7rocprim17ROCPRIM_400000_NS6detail17trampoline_kernelINS0_14default_configENS1_25partition_config_selectorILNS1_17partition_subalgoE6EfNS0_10empty_typeEbEEZZNS1_14partition_implILS5_6ELb0ES3_mN6thrust23THRUST_200600_302600_NS6detail15normal_iteratorINSA_10device_ptrIfEEEEPS6_SG_NS0_5tupleIJNSA_16discard_iteratorINSA_11use_defaultEEES6_EEENSH_IJSG_SG_EEES6_PlJNSB_9not_fun_tINSB_14equal_to_valueIfEEEEEEE10hipError_tPvRmT3_T4_T5_T6_T7_T9_mT8_P12ihipStream_tbDpT10_ENKUlT_T0_E_clISt17integral_constantIbLb1EES1A_IbLb0EEEEDaS16_S17_EUlS16_E_NS1_11comp_targetILNS1_3genE4ELNS1_11target_archE910ELNS1_3gpuE8ELNS1_3repE0EEENS1_30default_config_static_selectorELNS0_4arch9wavefront6targetE0EEEvT1_.uses_flat_scratch, 0
	.set _ZN7rocprim17ROCPRIM_400000_NS6detail17trampoline_kernelINS0_14default_configENS1_25partition_config_selectorILNS1_17partition_subalgoE6EfNS0_10empty_typeEbEEZZNS1_14partition_implILS5_6ELb0ES3_mN6thrust23THRUST_200600_302600_NS6detail15normal_iteratorINSA_10device_ptrIfEEEEPS6_SG_NS0_5tupleIJNSA_16discard_iteratorINSA_11use_defaultEEES6_EEENSH_IJSG_SG_EEES6_PlJNSB_9not_fun_tINSB_14equal_to_valueIfEEEEEEE10hipError_tPvRmT3_T4_T5_T6_T7_T9_mT8_P12ihipStream_tbDpT10_ENKUlT_T0_E_clISt17integral_constantIbLb1EES1A_IbLb0EEEEDaS16_S17_EUlS16_E_NS1_11comp_targetILNS1_3genE4ELNS1_11target_archE910ELNS1_3gpuE8ELNS1_3repE0EEENS1_30default_config_static_selectorELNS0_4arch9wavefront6targetE0EEEvT1_.has_dyn_sized_stack, 0
	.set _ZN7rocprim17ROCPRIM_400000_NS6detail17trampoline_kernelINS0_14default_configENS1_25partition_config_selectorILNS1_17partition_subalgoE6EfNS0_10empty_typeEbEEZZNS1_14partition_implILS5_6ELb0ES3_mN6thrust23THRUST_200600_302600_NS6detail15normal_iteratorINSA_10device_ptrIfEEEEPS6_SG_NS0_5tupleIJNSA_16discard_iteratorINSA_11use_defaultEEES6_EEENSH_IJSG_SG_EEES6_PlJNSB_9not_fun_tINSB_14equal_to_valueIfEEEEEEE10hipError_tPvRmT3_T4_T5_T6_T7_T9_mT8_P12ihipStream_tbDpT10_ENKUlT_T0_E_clISt17integral_constantIbLb1EES1A_IbLb0EEEEDaS16_S17_EUlS16_E_NS1_11comp_targetILNS1_3genE4ELNS1_11target_archE910ELNS1_3gpuE8ELNS1_3repE0EEENS1_30default_config_static_selectorELNS0_4arch9wavefront6targetE0EEEvT1_.has_recursion, 0
	.set _ZN7rocprim17ROCPRIM_400000_NS6detail17trampoline_kernelINS0_14default_configENS1_25partition_config_selectorILNS1_17partition_subalgoE6EfNS0_10empty_typeEbEEZZNS1_14partition_implILS5_6ELb0ES3_mN6thrust23THRUST_200600_302600_NS6detail15normal_iteratorINSA_10device_ptrIfEEEEPS6_SG_NS0_5tupleIJNSA_16discard_iteratorINSA_11use_defaultEEES6_EEENSH_IJSG_SG_EEES6_PlJNSB_9not_fun_tINSB_14equal_to_valueIfEEEEEEE10hipError_tPvRmT3_T4_T5_T6_T7_T9_mT8_P12ihipStream_tbDpT10_ENKUlT_T0_E_clISt17integral_constantIbLb1EES1A_IbLb0EEEEDaS16_S17_EUlS16_E_NS1_11comp_targetILNS1_3genE4ELNS1_11target_archE910ELNS1_3gpuE8ELNS1_3repE0EEENS1_30default_config_static_selectorELNS0_4arch9wavefront6targetE0EEEvT1_.has_indirect_call, 0
	.section	.AMDGPU.csdata,"",@progbits
; Kernel info:
; codeLenInByte = 0
; TotalNumSgprs: 0
; NumVgprs: 0
; ScratchSize: 0
; MemoryBound: 0
; FloatMode: 240
; IeeeMode: 1
; LDSByteSize: 0 bytes/workgroup (compile time only)
; SGPRBlocks: 0
; VGPRBlocks: 0
; NumSGPRsForWavesPerEU: 1
; NumVGPRsForWavesPerEU: 1
; Occupancy: 16
; WaveLimiterHint : 0
; COMPUTE_PGM_RSRC2:SCRATCH_EN: 0
; COMPUTE_PGM_RSRC2:USER_SGPR: 2
; COMPUTE_PGM_RSRC2:TRAP_HANDLER: 0
; COMPUTE_PGM_RSRC2:TGID_X_EN: 1
; COMPUTE_PGM_RSRC2:TGID_Y_EN: 0
; COMPUTE_PGM_RSRC2:TGID_Z_EN: 0
; COMPUTE_PGM_RSRC2:TIDIG_COMP_CNT: 0
	.section	.text._ZN7rocprim17ROCPRIM_400000_NS6detail17trampoline_kernelINS0_14default_configENS1_25partition_config_selectorILNS1_17partition_subalgoE6EfNS0_10empty_typeEbEEZZNS1_14partition_implILS5_6ELb0ES3_mN6thrust23THRUST_200600_302600_NS6detail15normal_iteratorINSA_10device_ptrIfEEEEPS6_SG_NS0_5tupleIJNSA_16discard_iteratorINSA_11use_defaultEEES6_EEENSH_IJSG_SG_EEES6_PlJNSB_9not_fun_tINSB_14equal_to_valueIfEEEEEEE10hipError_tPvRmT3_T4_T5_T6_T7_T9_mT8_P12ihipStream_tbDpT10_ENKUlT_T0_E_clISt17integral_constantIbLb1EES1A_IbLb0EEEEDaS16_S17_EUlS16_E_NS1_11comp_targetILNS1_3genE3ELNS1_11target_archE908ELNS1_3gpuE7ELNS1_3repE0EEENS1_30default_config_static_selectorELNS0_4arch9wavefront6targetE0EEEvT1_,"axG",@progbits,_ZN7rocprim17ROCPRIM_400000_NS6detail17trampoline_kernelINS0_14default_configENS1_25partition_config_selectorILNS1_17partition_subalgoE6EfNS0_10empty_typeEbEEZZNS1_14partition_implILS5_6ELb0ES3_mN6thrust23THRUST_200600_302600_NS6detail15normal_iteratorINSA_10device_ptrIfEEEEPS6_SG_NS0_5tupleIJNSA_16discard_iteratorINSA_11use_defaultEEES6_EEENSH_IJSG_SG_EEES6_PlJNSB_9not_fun_tINSB_14equal_to_valueIfEEEEEEE10hipError_tPvRmT3_T4_T5_T6_T7_T9_mT8_P12ihipStream_tbDpT10_ENKUlT_T0_E_clISt17integral_constantIbLb1EES1A_IbLb0EEEEDaS16_S17_EUlS16_E_NS1_11comp_targetILNS1_3genE3ELNS1_11target_archE908ELNS1_3gpuE7ELNS1_3repE0EEENS1_30default_config_static_selectorELNS0_4arch9wavefront6targetE0EEEvT1_,comdat
	.protected	_ZN7rocprim17ROCPRIM_400000_NS6detail17trampoline_kernelINS0_14default_configENS1_25partition_config_selectorILNS1_17partition_subalgoE6EfNS0_10empty_typeEbEEZZNS1_14partition_implILS5_6ELb0ES3_mN6thrust23THRUST_200600_302600_NS6detail15normal_iteratorINSA_10device_ptrIfEEEEPS6_SG_NS0_5tupleIJNSA_16discard_iteratorINSA_11use_defaultEEES6_EEENSH_IJSG_SG_EEES6_PlJNSB_9not_fun_tINSB_14equal_to_valueIfEEEEEEE10hipError_tPvRmT3_T4_T5_T6_T7_T9_mT8_P12ihipStream_tbDpT10_ENKUlT_T0_E_clISt17integral_constantIbLb1EES1A_IbLb0EEEEDaS16_S17_EUlS16_E_NS1_11comp_targetILNS1_3genE3ELNS1_11target_archE908ELNS1_3gpuE7ELNS1_3repE0EEENS1_30default_config_static_selectorELNS0_4arch9wavefront6targetE0EEEvT1_ ; -- Begin function _ZN7rocprim17ROCPRIM_400000_NS6detail17trampoline_kernelINS0_14default_configENS1_25partition_config_selectorILNS1_17partition_subalgoE6EfNS0_10empty_typeEbEEZZNS1_14partition_implILS5_6ELb0ES3_mN6thrust23THRUST_200600_302600_NS6detail15normal_iteratorINSA_10device_ptrIfEEEEPS6_SG_NS0_5tupleIJNSA_16discard_iteratorINSA_11use_defaultEEES6_EEENSH_IJSG_SG_EEES6_PlJNSB_9not_fun_tINSB_14equal_to_valueIfEEEEEEE10hipError_tPvRmT3_T4_T5_T6_T7_T9_mT8_P12ihipStream_tbDpT10_ENKUlT_T0_E_clISt17integral_constantIbLb1EES1A_IbLb0EEEEDaS16_S17_EUlS16_E_NS1_11comp_targetILNS1_3genE3ELNS1_11target_archE908ELNS1_3gpuE7ELNS1_3repE0EEENS1_30default_config_static_selectorELNS0_4arch9wavefront6targetE0EEEvT1_
	.globl	_ZN7rocprim17ROCPRIM_400000_NS6detail17trampoline_kernelINS0_14default_configENS1_25partition_config_selectorILNS1_17partition_subalgoE6EfNS0_10empty_typeEbEEZZNS1_14partition_implILS5_6ELb0ES3_mN6thrust23THRUST_200600_302600_NS6detail15normal_iteratorINSA_10device_ptrIfEEEEPS6_SG_NS0_5tupleIJNSA_16discard_iteratorINSA_11use_defaultEEES6_EEENSH_IJSG_SG_EEES6_PlJNSB_9not_fun_tINSB_14equal_to_valueIfEEEEEEE10hipError_tPvRmT3_T4_T5_T6_T7_T9_mT8_P12ihipStream_tbDpT10_ENKUlT_T0_E_clISt17integral_constantIbLb1EES1A_IbLb0EEEEDaS16_S17_EUlS16_E_NS1_11comp_targetILNS1_3genE3ELNS1_11target_archE908ELNS1_3gpuE7ELNS1_3repE0EEENS1_30default_config_static_selectorELNS0_4arch9wavefront6targetE0EEEvT1_
	.p2align	8
	.type	_ZN7rocprim17ROCPRIM_400000_NS6detail17trampoline_kernelINS0_14default_configENS1_25partition_config_selectorILNS1_17partition_subalgoE6EfNS0_10empty_typeEbEEZZNS1_14partition_implILS5_6ELb0ES3_mN6thrust23THRUST_200600_302600_NS6detail15normal_iteratorINSA_10device_ptrIfEEEEPS6_SG_NS0_5tupleIJNSA_16discard_iteratorINSA_11use_defaultEEES6_EEENSH_IJSG_SG_EEES6_PlJNSB_9not_fun_tINSB_14equal_to_valueIfEEEEEEE10hipError_tPvRmT3_T4_T5_T6_T7_T9_mT8_P12ihipStream_tbDpT10_ENKUlT_T0_E_clISt17integral_constantIbLb1EES1A_IbLb0EEEEDaS16_S17_EUlS16_E_NS1_11comp_targetILNS1_3genE3ELNS1_11target_archE908ELNS1_3gpuE7ELNS1_3repE0EEENS1_30default_config_static_selectorELNS0_4arch9wavefront6targetE0EEEvT1_,@function
_ZN7rocprim17ROCPRIM_400000_NS6detail17trampoline_kernelINS0_14default_configENS1_25partition_config_selectorILNS1_17partition_subalgoE6EfNS0_10empty_typeEbEEZZNS1_14partition_implILS5_6ELb0ES3_mN6thrust23THRUST_200600_302600_NS6detail15normal_iteratorINSA_10device_ptrIfEEEEPS6_SG_NS0_5tupleIJNSA_16discard_iteratorINSA_11use_defaultEEES6_EEENSH_IJSG_SG_EEES6_PlJNSB_9not_fun_tINSB_14equal_to_valueIfEEEEEEE10hipError_tPvRmT3_T4_T5_T6_T7_T9_mT8_P12ihipStream_tbDpT10_ENKUlT_T0_E_clISt17integral_constantIbLb1EES1A_IbLb0EEEEDaS16_S17_EUlS16_E_NS1_11comp_targetILNS1_3genE3ELNS1_11target_archE908ELNS1_3gpuE7ELNS1_3repE0EEENS1_30default_config_static_selectorELNS0_4arch9wavefront6targetE0EEEvT1_: ; @_ZN7rocprim17ROCPRIM_400000_NS6detail17trampoline_kernelINS0_14default_configENS1_25partition_config_selectorILNS1_17partition_subalgoE6EfNS0_10empty_typeEbEEZZNS1_14partition_implILS5_6ELb0ES3_mN6thrust23THRUST_200600_302600_NS6detail15normal_iteratorINSA_10device_ptrIfEEEEPS6_SG_NS0_5tupleIJNSA_16discard_iteratorINSA_11use_defaultEEES6_EEENSH_IJSG_SG_EEES6_PlJNSB_9not_fun_tINSB_14equal_to_valueIfEEEEEEE10hipError_tPvRmT3_T4_T5_T6_T7_T9_mT8_P12ihipStream_tbDpT10_ENKUlT_T0_E_clISt17integral_constantIbLb1EES1A_IbLb0EEEEDaS16_S17_EUlS16_E_NS1_11comp_targetILNS1_3genE3ELNS1_11target_archE908ELNS1_3gpuE7ELNS1_3repE0EEENS1_30default_config_static_selectorELNS0_4arch9wavefront6targetE0EEEvT1_
; %bb.0:
	.section	.rodata,"a",@progbits
	.p2align	6, 0x0
	.amdhsa_kernel _ZN7rocprim17ROCPRIM_400000_NS6detail17trampoline_kernelINS0_14default_configENS1_25partition_config_selectorILNS1_17partition_subalgoE6EfNS0_10empty_typeEbEEZZNS1_14partition_implILS5_6ELb0ES3_mN6thrust23THRUST_200600_302600_NS6detail15normal_iteratorINSA_10device_ptrIfEEEEPS6_SG_NS0_5tupleIJNSA_16discard_iteratorINSA_11use_defaultEEES6_EEENSH_IJSG_SG_EEES6_PlJNSB_9not_fun_tINSB_14equal_to_valueIfEEEEEEE10hipError_tPvRmT3_T4_T5_T6_T7_T9_mT8_P12ihipStream_tbDpT10_ENKUlT_T0_E_clISt17integral_constantIbLb1EES1A_IbLb0EEEEDaS16_S17_EUlS16_E_NS1_11comp_targetILNS1_3genE3ELNS1_11target_archE908ELNS1_3gpuE7ELNS1_3repE0EEENS1_30default_config_static_selectorELNS0_4arch9wavefront6targetE0EEEvT1_
		.amdhsa_group_segment_fixed_size 0
		.amdhsa_private_segment_fixed_size 0
		.amdhsa_kernarg_size 128
		.amdhsa_user_sgpr_count 2
		.amdhsa_user_sgpr_dispatch_ptr 0
		.amdhsa_user_sgpr_queue_ptr 0
		.amdhsa_user_sgpr_kernarg_segment_ptr 1
		.amdhsa_user_sgpr_dispatch_id 0
		.amdhsa_user_sgpr_private_segment_size 0
		.amdhsa_wavefront_size32 1
		.amdhsa_uses_dynamic_stack 0
		.amdhsa_enable_private_segment 0
		.amdhsa_system_sgpr_workgroup_id_x 1
		.amdhsa_system_sgpr_workgroup_id_y 0
		.amdhsa_system_sgpr_workgroup_id_z 0
		.amdhsa_system_sgpr_workgroup_info 0
		.amdhsa_system_vgpr_workitem_id 0
		.amdhsa_next_free_vgpr 1
		.amdhsa_next_free_sgpr 1
		.amdhsa_reserve_vcc 0
		.amdhsa_float_round_mode_32 0
		.amdhsa_float_round_mode_16_64 0
		.amdhsa_float_denorm_mode_32 3
		.amdhsa_float_denorm_mode_16_64 3
		.amdhsa_fp16_overflow 0
		.amdhsa_workgroup_processor_mode 1
		.amdhsa_memory_ordered 1
		.amdhsa_forward_progress 1
		.amdhsa_inst_pref_size 0
		.amdhsa_round_robin_scheduling 0
		.amdhsa_exception_fp_ieee_invalid_op 0
		.amdhsa_exception_fp_denorm_src 0
		.amdhsa_exception_fp_ieee_div_zero 0
		.amdhsa_exception_fp_ieee_overflow 0
		.amdhsa_exception_fp_ieee_underflow 0
		.amdhsa_exception_fp_ieee_inexact 0
		.amdhsa_exception_int_div_zero 0
	.end_amdhsa_kernel
	.section	.text._ZN7rocprim17ROCPRIM_400000_NS6detail17trampoline_kernelINS0_14default_configENS1_25partition_config_selectorILNS1_17partition_subalgoE6EfNS0_10empty_typeEbEEZZNS1_14partition_implILS5_6ELb0ES3_mN6thrust23THRUST_200600_302600_NS6detail15normal_iteratorINSA_10device_ptrIfEEEEPS6_SG_NS0_5tupleIJNSA_16discard_iteratorINSA_11use_defaultEEES6_EEENSH_IJSG_SG_EEES6_PlJNSB_9not_fun_tINSB_14equal_to_valueIfEEEEEEE10hipError_tPvRmT3_T4_T5_T6_T7_T9_mT8_P12ihipStream_tbDpT10_ENKUlT_T0_E_clISt17integral_constantIbLb1EES1A_IbLb0EEEEDaS16_S17_EUlS16_E_NS1_11comp_targetILNS1_3genE3ELNS1_11target_archE908ELNS1_3gpuE7ELNS1_3repE0EEENS1_30default_config_static_selectorELNS0_4arch9wavefront6targetE0EEEvT1_,"axG",@progbits,_ZN7rocprim17ROCPRIM_400000_NS6detail17trampoline_kernelINS0_14default_configENS1_25partition_config_selectorILNS1_17partition_subalgoE6EfNS0_10empty_typeEbEEZZNS1_14partition_implILS5_6ELb0ES3_mN6thrust23THRUST_200600_302600_NS6detail15normal_iteratorINSA_10device_ptrIfEEEEPS6_SG_NS0_5tupleIJNSA_16discard_iteratorINSA_11use_defaultEEES6_EEENSH_IJSG_SG_EEES6_PlJNSB_9not_fun_tINSB_14equal_to_valueIfEEEEEEE10hipError_tPvRmT3_T4_T5_T6_T7_T9_mT8_P12ihipStream_tbDpT10_ENKUlT_T0_E_clISt17integral_constantIbLb1EES1A_IbLb0EEEEDaS16_S17_EUlS16_E_NS1_11comp_targetILNS1_3genE3ELNS1_11target_archE908ELNS1_3gpuE7ELNS1_3repE0EEENS1_30default_config_static_selectorELNS0_4arch9wavefront6targetE0EEEvT1_,comdat
.Lfunc_end1616:
	.size	_ZN7rocprim17ROCPRIM_400000_NS6detail17trampoline_kernelINS0_14default_configENS1_25partition_config_selectorILNS1_17partition_subalgoE6EfNS0_10empty_typeEbEEZZNS1_14partition_implILS5_6ELb0ES3_mN6thrust23THRUST_200600_302600_NS6detail15normal_iteratorINSA_10device_ptrIfEEEEPS6_SG_NS0_5tupleIJNSA_16discard_iteratorINSA_11use_defaultEEES6_EEENSH_IJSG_SG_EEES6_PlJNSB_9not_fun_tINSB_14equal_to_valueIfEEEEEEE10hipError_tPvRmT3_T4_T5_T6_T7_T9_mT8_P12ihipStream_tbDpT10_ENKUlT_T0_E_clISt17integral_constantIbLb1EES1A_IbLb0EEEEDaS16_S17_EUlS16_E_NS1_11comp_targetILNS1_3genE3ELNS1_11target_archE908ELNS1_3gpuE7ELNS1_3repE0EEENS1_30default_config_static_selectorELNS0_4arch9wavefront6targetE0EEEvT1_, .Lfunc_end1616-_ZN7rocprim17ROCPRIM_400000_NS6detail17trampoline_kernelINS0_14default_configENS1_25partition_config_selectorILNS1_17partition_subalgoE6EfNS0_10empty_typeEbEEZZNS1_14partition_implILS5_6ELb0ES3_mN6thrust23THRUST_200600_302600_NS6detail15normal_iteratorINSA_10device_ptrIfEEEEPS6_SG_NS0_5tupleIJNSA_16discard_iteratorINSA_11use_defaultEEES6_EEENSH_IJSG_SG_EEES6_PlJNSB_9not_fun_tINSB_14equal_to_valueIfEEEEEEE10hipError_tPvRmT3_T4_T5_T6_T7_T9_mT8_P12ihipStream_tbDpT10_ENKUlT_T0_E_clISt17integral_constantIbLb1EES1A_IbLb0EEEEDaS16_S17_EUlS16_E_NS1_11comp_targetILNS1_3genE3ELNS1_11target_archE908ELNS1_3gpuE7ELNS1_3repE0EEENS1_30default_config_static_selectorELNS0_4arch9wavefront6targetE0EEEvT1_
                                        ; -- End function
	.set _ZN7rocprim17ROCPRIM_400000_NS6detail17trampoline_kernelINS0_14default_configENS1_25partition_config_selectorILNS1_17partition_subalgoE6EfNS0_10empty_typeEbEEZZNS1_14partition_implILS5_6ELb0ES3_mN6thrust23THRUST_200600_302600_NS6detail15normal_iteratorINSA_10device_ptrIfEEEEPS6_SG_NS0_5tupleIJNSA_16discard_iteratorINSA_11use_defaultEEES6_EEENSH_IJSG_SG_EEES6_PlJNSB_9not_fun_tINSB_14equal_to_valueIfEEEEEEE10hipError_tPvRmT3_T4_T5_T6_T7_T9_mT8_P12ihipStream_tbDpT10_ENKUlT_T0_E_clISt17integral_constantIbLb1EES1A_IbLb0EEEEDaS16_S17_EUlS16_E_NS1_11comp_targetILNS1_3genE3ELNS1_11target_archE908ELNS1_3gpuE7ELNS1_3repE0EEENS1_30default_config_static_selectorELNS0_4arch9wavefront6targetE0EEEvT1_.num_vgpr, 0
	.set _ZN7rocprim17ROCPRIM_400000_NS6detail17trampoline_kernelINS0_14default_configENS1_25partition_config_selectorILNS1_17partition_subalgoE6EfNS0_10empty_typeEbEEZZNS1_14partition_implILS5_6ELb0ES3_mN6thrust23THRUST_200600_302600_NS6detail15normal_iteratorINSA_10device_ptrIfEEEEPS6_SG_NS0_5tupleIJNSA_16discard_iteratorINSA_11use_defaultEEES6_EEENSH_IJSG_SG_EEES6_PlJNSB_9not_fun_tINSB_14equal_to_valueIfEEEEEEE10hipError_tPvRmT3_T4_T5_T6_T7_T9_mT8_P12ihipStream_tbDpT10_ENKUlT_T0_E_clISt17integral_constantIbLb1EES1A_IbLb0EEEEDaS16_S17_EUlS16_E_NS1_11comp_targetILNS1_3genE3ELNS1_11target_archE908ELNS1_3gpuE7ELNS1_3repE0EEENS1_30default_config_static_selectorELNS0_4arch9wavefront6targetE0EEEvT1_.num_agpr, 0
	.set _ZN7rocprim17ROCPRIM_400000_NS6detail17trampoline_kernelINS0_14default_configENS1_25partition_config_selectorILNS1_17partition_subalgoE6EfNS0_10empty_typeEbEEZZNS1_14partition_implILS5_6ELb0ES3_mN6thrust23THRUST_200600_302600_NS6detail15normal_iteratorINSA_10device_ptrIfEEEEPS6_SG_NS0_5tupleIJNSA_16discard_iteratorINSA_11use_defaultEEES6_EEENSH_IJSG_SG_EEES6_PlJNSB_9not_fun_tINSB_14equal_to_valueIfEEEEEEE10hipError_tPvRmT3_T4_T5_T6_T7_T9_mT8_P12ihipStream_tbDpT10_ENKUlT_T0_E_clISt17integral_constantIbLb1EES1A_IbLb0EEEEDaS16_S17_EUlS16_E_NS1_11comp_targetILNS1_3genE3ELNS1_11target_archE908ELNS1_3gpuE7ELNS1_3repE0EEENS1_30default_config_static_selectorELNS0_4arch9wavefront6targetE0EEEvT1_.numbered_sgpr, 0
	.set _ZN7rocprim17ROCPRIM_400000_NS6detail17trampoline_kernelINS0_14default_configENS1_25partition_config_selectorILNS1_17partition_subalgoE6EfNS0_10empty_typeEbEEZZNS1_14partition_implILS5_6ELb0ES3_mN6thrust23THRUST_200600_302600_NS6detail15normal_iteratorINSA_10device_ptrIfEEEEPS6_SG_NS0_5tupleIJNSA_16discard_iteratorINSA_11use_defaultEEES6_EEENSH_IJSG_SG_EEES6_PlJNSB_9not_fun_tINSB_14equal_to_valueIfEEEEEEE10hipError_tPvRmT3_T4_T5_T6_T7_T9_mT8_P12ihipStream_tbDpT10_ENKUlT_T0_E_clISt17integral_constantIbLb1EES1A_IbLb0EEEEDaS16_S17_EUlS16_E_NS1_11comp_targetILNS1_3genE3ELNS1_11target_archE908ELNS1_3gpuE7ELNS1_3repE0EEENS1_30default_config_static_selectorELNS0_4arch9wavefront6targetE0EEEvT1_.num_named_barrier, 0
	.set _ZN7rocprim17ROCPRIM_400000_NS6detail17trampoline_kernelINS0_14default_configENS1_25partition_config_selectorILNS1_17partition_subalgoE6EfNS0_10empty_typeEbEEZZNS1_14partition_implILS5_6ELb0ES3_mN6thrust23THRUST_200600_302600_NS6detail15normal_iteratorINSA_10device_ptrIfEEEEPS6_SG_NS0_5tupleIJNSA_16discard_iteratorINSA_11use_defaultEEES6_EEENSH_IJSG_SG_EEES6_PlJNSB_9not_fun_tINSB_14equal_to_valueIfEEEEEEE10hipError_tPvRmT3_T4_T5_T6_T7_T9_mT8_P12ihipStream_tbDpT10_ENKUlT_T0_E_clISt17integral_constantIbLb1EES1A_IbLb0EEEEDaS16_S17_EUlS16_E_NS1_11comp_targetILNS1_3genE3ELNS1_11target_archE908ELNS1_3gpuE7ELNS1_3repE0EEENS1_30default_config_static_selectorELNS0_4arch9wavefront6targetE0EEEvT1_.private_seg_size, 0
	.set _ZN7rocprim17ROCPRIM_400000_NS6detail17trampoline_kernelINS0_14default_configENS1_25partition_config_selectorILNS1_17partition_subalgoE6EfNS0_10empty_typeEbEEZZNS1_14partition_implILS5_6ELb0ES3_mN6thrust23THRUST_200600_302600_NS6detail15normal_iteratorINSA_10device_ptrIfEEEEPS6_SG_NS0_5tupleIJNSA_16discard_iteratorINSA_11use_defaultEEES6_EEENSH_IJSG_SG_EEES6_PlJNSB_9not_fun_tINSB_14equal_to_valueIfEEEEEEE10hipError_tPvRmT3_T4_T5_T6_T7_T9_mT8_P12ihipStream_tbDpT10_ENKUlT_T0_E_clISt17integral_constantIbLb1EES1A_IbLb0EEEEDaS16_S17_EUlS16_E_NS1_11comp_targetILNS1_3genE3ELNS1_11target_archE908ELNS1_3gpuE7ELNS1_3repE0EEENS1_30default_config_static_selectorELNS0_4arch9wavefront6targetE0EEEvT1_.uses_vcc, 0
	.set _ZN7rocprim17ROCPRIM_400000_NS6detail17trampoline_kernelINS0_14default_configENS1_25partition_config_selectorILNS1_17partition_subalgoE6EfNS0_10empty_typeEbEEZZNS1_14partition_implILS5_6ELb0ES3_mN6thrust23THRUST_200600_302600_NS6detail15normal_iteratorINSA_10device_ptrIfEEEEPS6_SG_NS0_5tupleIJNSA_16discard_iteratorINSA_11use_defaultEEES6_EEENSH_IJSG_SG_EEES6_PlJNSB_9not_fun_tINSB_14equal_to_valueIfEEEEEEE10hipError_tPvRmT3_T4_T5_T6_T7_T9_mT8_P12ihipStream_tbDpT10_ENKUlT_T0_E_clISt17integral_constantIbLb1EES1A_IbLb0EEEEDaS16_S17_EUlS16_E_NS1_11comp_targetILNS1_3genE3ELNS1_11target_archE908ELNS1_3gpuE7ELNS1_3repE0EEENS1_30default_config_static_selectorELNS0_4arch9wavefront6targetE0EEEvT1_.uses_flat_scratch, 0
	.set _ZN7rocprim17ROCPRIM_400000_NS6detail17trampoline_kernelINS0_14default_configENS1_25partition_config_selectorILNS1_17partition_subalgoE6EfNS0_10empty_typeEbEEZZNS1_14partition_implILS5_6ELb0ES3_mN6thrust23THRUST_200600_302600_NS6detail15normal_iteratorINSA_10device_ptrIfEEEEPS6_SG_NS0_5tupleIJNSA_16discard_iteratorINSA_11use_defaultEEES6_EEENSH_IJSG_SG_EEES6_PlJNSB_9not_fun_tINSB_14equal_to_valueIfEEEEEEE10hipError_tPvRmT3_T4_T5_T6_T7_T9_mT8_P12ihipStream_tbDpT10_ENKUlT_T0_E_clISt17integral_constantIbLb1EES1A_IbLb0EEEEDaS16_S17_EUlS16_E_NS1_11comp_targetILNS1_3genE3ELNS1_11target_archE908ELNS1_3gpuE7ELNS1_3repE0EEENS1_30default_config_static_selectorELNS0_4arch9wavefront6targetE0EEEvT1_.has_dyn_sized_stack, 0
	.set _ZN7rocprim17ROCPRIM_400000_NS6detail17trampoline_kernelINS0_14default_configENS1_25partition_config_selectorILNS1_17partition_subalgoE6EfNS0_10empty_typeEbEEZZNS1_14partition_implILS5_6ELb0ES3_mN6thrust23THRUST_200600_302600_NS6detail15normal_iteratorINSA_10device_ptrIfEEEEPS6_SG_NS0_5tupleIJNSA_16discard_iteratorINSA_11use_defaultEEES6_EEENSH_IJSG_SG_EEES6_PlJNSB_9not_fun_tINSB_14equal_to_valueIfEEEEEEE10hipError_tPvRmT3_T4_T5_T6_T7_T9_mT8_P12ihipStream_tbDpT10_ENKUlT_T0_E_clISt17integral_constantIbLb1EES1A_IbLb0EEEEDaS16_S17_EUlS16_E_NS1_11comp_targetILNS1_3genE3ELNS1_11target_archE908ELNS1_3gpuE7ELNS1_3repE0EEENS1_30default_config_static_selectorELNS0_4arch9wavefront6targetE0EEEvT1_.has_recursion, 0
	.set _ZN7rocprim17ROCPRIM_400000_NS6detail17trampoline_kernelINS0_14default_configENS1_25partition_config_selectorILNS1_17partition_subalgoE6EfNS0_10empty_typeEbEEZZNS1_14partition_implILS5_6ELb0ES3_mN6thrust23THRUST_200600_302600_NS6detail15normal_iteratorINSA_10device_ptrIfEEEEPS6_SG_NS0_5tupleIJNSA_16discard_iteratorINSA_11use_defaultEEES6_EEENSH_IJSG_SG_EEES6_PlJNSB_9not_fun_tINSB_14equal_to_valueIfEEEEEEE10hipError_tPvRmT3_T4_T5_T6_T7_T9_mT8_P12ihipStream_tbDpT10_ENKUlT_T0_E_clISt17integral_constantIbLb1EES1A_IbLb0EEEEDaS16_S17_EUlS16_E_NS1_11comp_targetILNS1_3genE3ELNS1_11target_archE908ELNS1_3gpuE7ELNS1_3repE0EEENS1_30default_config_static_selectorELNS0_4arch9wavefront6targetE0EEEvT1_.has_indirect_call, 0
	.section	.AMDGPU.csdata,"",@progbits
; Kernel info:
; codeLenInByte = 0
; TotalNumSgprs: 0
; NumVgprs: 0
; ScratchSize: 0
; MemoryBound: 0
; FloatMode: 240
; IeeeMode: 1
; LDSByteSize: 0 bytes/workgroup (compile time only)
; SGPRBlocks: 0
; VGPRBlocks: 0
; NumSGPRsForWavesPerEU: 1
; NumVGPRsForWavesPerEU: 1
; Occupancy: 16
; WaveLimiterHint : 0
; COMPUTE_PGM_RSRC2:SCRATCH_EN: 0
; COMPUTE_PGM_RSRC2:USER_SGPR: 2
; COMPUTE_PGM_RSRC2:TRAP_HANDLER: 0
; COMPUTE_PGM_RSRC2:TGID_X_EN: 1
; COMPUTE_PGM_RSRC2:TGID_Y_EN: 0
; COMPUTE_PGM_RSRC2:TGID_Z_EN: 0
; COMPUTE_PGM_RSRC2:TIDIG_COMP_CNT: 0
	.section	.text._ZN7rocprim17ROCPRIM_400000_NS6detail17trampoline_kernelINS0_14default_configENS1_25partition_config_selectorILNS1_17partition_subalgoE6EfNS0_10empty_typeEbEEZZNS1_14partition_implILS5_6ELb0ES3_mN6thrust23THRUST_200600_302600_NS6detail15normal_iteratorINSA_10device_ptrIfEEEEPS6_SG_NS0_5tupleIJNSA_16discard_iteratorINSA_11use_defaultEEES6_EEENSH_IJSG_SG_EEES6_PlJNSB_9not_fun_tINSB_14equal_to_valueIfEEEEEEE10hipError_tPvRmT3_T4_T5_T6_T7_T9_mT8_P12ihipStream_tbDpT10_ENKUlT_T0_E_clISt17integral_constantIbLb1EES1A_IbLb0EEEEDaS16_S17_EUlS16_E_NS1_11comp_targetILNS1_3genE2ELNS1_11target_archE906ELNS1_3gpuE6ELNS1_3repE0EEENS1_30default_config_static_selectorELNS0_4arch9wavefront6targetE0EEEvT1_,"axG",@progbits,_ZN7rocprim17ROCPRIM_400000_NS6detail17trampoline_kernelINS0_14default_configENS1_25partition_config_selectorILNS1_17partition_subalgoE6EfNS0_10empty_typeEbEEZZNS1_14partition_implILS5_6ELb0ES3_mN6thrust23THRUST_200600_302600_NS6detail15normal_iteratorINSA_10device_ptrIfEEEEPS6_SG_NS0_5tupleIJNSA_16discard_iteratorINSA_11use_defaultEEES6_EEENSH_IJSG_SG_EEES6_PlJNSB_9not_fun_tINSB_14equal_to_valueIfEEEEEEE10hipError_tPvRmT3_T4_T5_T6_T7_T9_mT8_P12ihipStream_tbDpT10_ENKUlT_T0_E_clISt17integral_constantIbLb1EES1A_IbLb0EEEEDaS16_S17_EUlS16_E_NS1_11comp_targetILNS1_3genE2ELNS1_11target_archE906ELNS1_3gpuE6ELNS1_3repE0EEENS1_30default_config_static_selectorELNS0_4arch9wavefront6targetE0EEEvT1_,comdat
	.protected	_ZN7rocprim17ROCPRIM_400000_NS6detail17trampoline_kernelINS0_14default_configENS1_25partition_config_selectorILNS1_17partition_subalgoE6EfNS0_10empty_typeEbEEZZNS1_14partition_implILS5_6ELb0ES3_mN6thrust23THRUST_200600_302600_NS6detail15normal_iteratorINSA_10device_ptrIfEEEEPS6_SG_NS0_5tupleIJNSA_16discard_iteratorINSA_11use_defaultEEES6_EEENSH_IJSG_SG_EEES6_PlJNSB_9not_fun_tINSB_14equal_to_valueIfEEEEEEE10hipError_tPvRmT3_T4_T5_T6_T7_T9_mT8_P12ihipStream_tbDpT10_ENKUlT_T0_E_clISt17integral_constantIbLb1EES1A_IbLb0EEEEDaS16_S17_EUlS16_E_NS1_11comp_targetILNS1_3genE2ELNS1_11target_archE906ELNS1_3gpuE6ELNS1_3repE0EEENS1_30default_config_static_selectorELNS0_4arch9wavefront6targetE0EEEvT1_ ; -- Begin function _ZN7rocprim17ROCPRIM_400000_NS6detail17trampoline_kernelINS0_14default_configENS1_25partition_config_selectorILNS1_17partition_subalgoE6EfNS0_10empty_typeEbEEZZNS1_14partition_implILS5_6ELb0ES3_mN6thrust23THRUST_200600_302600_NS6detail15normal_iteratorINSA_10device_ptrIfEEEEPS6_SG_NS0_5tupleIJNSA_16discard_iteratorINSA_11use_defaultEEES6_EEENSH_IJSG_SG_EEES6_PlJNSB_9not_fun_tINSB_14equal_to_valueIfEEEEEEE10hipError_tPvRmT3_T4_T5_T6_T7_T9_mT8_P12ihipStream_tbDpT10_ENKUlT_T0_E_clISt17integral_constantIbLb1EES1A_IbLb0EEEEDaS16_S17_EUlS16_E_NS1_11comp_targetILNS1_3genE2ELNS1_11target_archE906ELNS1_3gpuE6ELNS1_3repE0EEENS1_30default_config_static_selectorELNS0_4arch9wavefront6targetE0EEEvT1_
	.globl	_ZN7rocprim17ROCPRIM_400000_NS6detail17trampoline_kernelINS0_14default_configENS1_25partition_config_selectorILNS1_17partition_subalgoE6EfNS0_10empty_typeEbEEZZNS1_14partition_implILS5_6ELb0ES3_mN6thrust23THRUST_200600_302600_NS6detail15normal_iteratorINSA_10device_ptrIfEEEEPS6_SG_NS0_5tupleIJNSA_16discard_iteratorINSA_11use_defaultEEES6_EEENSH_IJSG_SG_EEES6_PlJNSB_9not_fun_tINSB_14equal_to_valueIfEEEEEEE10hipError_tPvRmT3_T4_T5_T6_T7_T9_mT8_P12ihipStream_tbDpT10_ENKUlT_T0_E_clISt17integral_constantIbLb1EES1A_IbLb0EEEEDaS16_S17_EUlS16_E_NS1_11comp_targetILNS1_3genE2ELNS1_11target_archE906ELNS1_3gpuE6ELNS1_3repE0EEENS1_30default_config_static_selectorELNS0_4arch9wavefront6targetE0EEEvT1_
	.p2align	8
	.type	_ZN7rocprim17ROCPRIM_400000_NS6detail17trampoline_kernelINS0_14default_configENS1_25partition_config_selectorILNS1_17partition_subalgoE6EfNS0_10empty_typeEbEEZZNS1_14partition_implILS5_6ELb0ES3_mN6thrust23THRUST_200600_302600_NS6detail15normal_iteratorINSA_10device_ptrIfEEEEPS6_SG_NS0_5tupleIJNSA_16discard_iteratorINSA_11use_defaultEEES6_EEENSH_IJSG_SG_EEES6_PlJNSB_9not_fun_tINSB_14equal_to_valueIfEEEEEEE10hipError_tPvRmT3_T4_T5_T6_T7_T9_mT8_P12ihipStream_tbDpT10_ENKUlT_T0_E_clISt17integral_constantIbLb1EES1A_IbLb0EEEEDaS16_S17_EUlS16_E_NS1_11comp_targetILNS1_3genE2ELNS1_11target_archE906ELNS1_3gpuE6ELNS1_3repE0EEENS1_30default_config_static_selectorELNS0_4arch9wavefront6targetE0EEEvT1_,@function
_ZN7rocprim17ROCPRIM_400000_NS6detail17trampoline_kernelINS0_14default_configENS1_25partition_config_selectorILNS1_17partition_subalgoE6EfNS0_10empty_typeEbEEZZNS1_14partition_implILS5_6ELb0ES3_mN6thrust23THRUST_200600_302600_NS6detail15normal_iteratorINSA_10device_ptrIfEEEEPS6_SG_NS0_5tupleIJNSA_16discard_iteratorINSA_11use_defaultEEES6_EEENSH_IJSG_SG_EEES6_PlJNSB_9not_fun_tINSB_14equal_to_valueIfEEEEEEE10hipError_tPvRmT3_T4_T5_T6_T7_T9_mT8_P12ihipStream_tbDpT10_ENKUlT_T0_E_clISt17integral_constantIbLb1EES1A_IbLb0EEEEDaS16_S17_EUlS16_E_NS1_11comp_targetILNS1_3genE2ELNS1_11target_archE906ELNS1_3gpuE6ELNS1_3repE0EEENS1_30default_config_static_selectorELNS0_4arch9wavefront6targetE0EEEvT1_: ; @_ZN7rocprim17ROCPRIM_400000_NS6detail17trampoline_kernelINS0_14default_configENS1_25partition_config_selectorILNS1_17partition_subalgoE6EfNS0_10empty_typeEbEEZZNS1_14partition_implILS5_6ELb0ES3_mN6thrust23THRUST_200600_302600_NS6detail15normal_iteratorINSA_10device_ptrIfEEEEPS6_SG_NS0_5tupleIJNSA_16discard_iteratorINSA_11use_defaultEEES6_EEENSH_IJSG_SG_EEES6_PlJNSB_9not_fun_tINSB_14equal_to_valueIfEEEEEEE10hipError_tPvRmT3_T4_T5_T6_T7_T9_mT8_P12ihipStream_tbDpT10_ENKUlT_T0_E_clISt17integral_constantIbLb1EES1A_IbLb0EEEEDaS16_S17_EUlS16_E_NS1_11comp_targetILNS1_3genE2ELNS1_11target_archE906ELNS1_3gpuE6ELNS1_3repE0EEENS1_30default_config_static_selectorELNS0_4arch9wavefront6targetE0EEEvT1_
; %bb.0:
	.section	.rodata,"a",@progbits
	.p2align	6, 0x0
	.amdhsa_kernel _ZN7rocprim17ROCPRIM_400000_NS6detail17trampoline_kernelINS0_14default_configENS1_25partition_config_selectorILNS1_17partition_subalgoE6EfNS0_10empty_typeEbEEZZNS1_14partition_implILS5_6ELb0ES3_mN6thrust23THRUST_200600_302600_NS6detail15normal_iteratorINSA_10device_ptrIfEEEEPS6_SG_NS0_5tupleIJNSA_16discard_iteratorINSA_11use_defaultEEES6_EEENSH_IJSG_SG_EEES6_PlJNSB_9not_fun_tINSB_14equal_to_valueIfEEEEEEE10hipError_tPvRmT3_T4_T5_T6_T7_T9_mT8_P12ihipStream_tbDpT10_ENKUlT_T0_E_clISt17integral_constantIbLb1EES1A_IbLb0EEEEDaS16_S17_EUlS16_E_NS1_11comp_targetILNS1_3genE2ELNS1_11target_archE906ELNS1_3gpuE6ELNS1_3repE0EEENS1_30default_config_static_selectorELNS0_4arch9wavefront6targetE0EEEvT1_
		.amdhsa_group_segment_fixed_size 0
		.amdhsa_private_segment_fixed_size 0
		.amdhsa_kernarg_size 128
		.amdhsa_user_sgpr_count 2
		.amdhsa_user_sgpr_dispatch_ptr 0
		.amdhsa_user_sgpr_queue_ptr 0
		.amdhsa_user_sgpr_kernarg_segment_ptr 1
		.amdhsa_user_sgpr_dispatch_id 0
		.amdhsa_user_sgpr_private_segment_size 0
		.amdhsa_wavefront_size32 1
		.amdhsa_uses_dynamic_stack 0
		.amdhsa_enable_private_segment 0
		.amdhsa_system_sgpr_workgroup_id_x 1
		.amdhsa_system_sgpr_workgroup_id_y 0
		.amdhsa_system_sgpr_workgroup_id_z 0
		.amdhsa_system_sgpr_workgroup_info 0
		.amdhsa_system_vgpr_workitem_id 0
		.amdhsa_next_free_vgpr 1
		.amdhsa_next_free_sgpr 1
		.amdhsa_reserve_vcc 0
		.amdhsa_float_round_mode_32 0
		.amdhsa_float_round_mode_16_64 0
		.amdhsa_float_denorm_mode_32 3
		.amdhsa_float_denorm_mode_16_64 3
		.amdhsa_fp16_overflow 0
		.amdhsa_workgroup_processor_mode 1
		.amdhsa_memory_ordered 1
		.amdhsa_forward_progress 1
		.amdhsa_inst_pref_size 0
		.amdhsa_round_robin_scheduling 0
		.amdhsa_exception_fp_ieee_invalid_op 0
		.amdhsa_exception_fp_denorm_src 0
		.amdhsa_exception_fp_ieee_div_zero 0
		.amdhsa_exception_fp_ieee_overflow 0
		.amdhsa_exception_fp_ieee_underflow 0
		.amdhsa_exception_fp_ieee_inexact 0
		.amdhsa_exception_int_div_zero 0
	.end_amdhsa_kernel
	.section	.text._ZN7rocprim17ROCPRIM_400000_NS6detail17trampoline_kernelINS0_14default_configENS1_25partition_config_selectorILNS1_17partition_subalgoE6EfNS0_10empty_typeEbEEZZNS1_14partition_implILS5_6ELb0ES3_mN6thrust23THRUST_200600_302600_NS6detail15normal_iteratorINSA_10device_ptrIfEEEEPS6_SG_NS0_5tupleIJNSA_16discard_iteratorINSA_11use_defaultEEES6_EEENSH_IJSG_SG_EEES6_PlJNSB_9not_fun_tINSB_14equal_to_valueIfEEEEEEE10hipError_tPvRmT3_T4_T5_T6_T7_T9_mT8_P12ihipStream_tbDpT10_ENKUlT_T0_E_clISt17integral_constantIbLb1EES1A_IbLb0EEEEDaS16_S17_EUlS16_E_NS1_11comp_targetILNS1_3genE2ELNS1_11target_archE906ELNS1_3gpuE6ELNS1_3repE0EEENS1_30default_config_static_selectorELNS0_4arch9wavefront6targetE0EEEvT1_,"axG",@progbits,_ZN7rocprim17ROCPRIM_400000_NS6detail17trampoline_kernelINS0_14default_configENS1_25partition_config_selectorILNS1_17partition_subalgoE6EfNS0_10empty_typeEbEEZZNS1_14partition_implILS5_6ELb0ES3_mN6thrust23THRUST_200600_302600_NS6detail15normal_iteratorINSA_10device_ptrIfEEEEPS6_SG_NS0_5tupleIJNSA_16discard_iteratorINSA_11use_defaultEEES6_EEENSH_IJSG_SG_EEES6_PlJNSB_9not_fun_tINSB_14equal_to_valueIfEEEEEEE10hipError_tPvRmT3_T4_T5_T6_T7_T9_mT8_P12ihipStream_tbDpT10_ENKUlT_T0_E_clISt17integral_constantIbLb1EES1A_IbLb0EEEEDaS16_S17_EUlS16_E_NS1_11comp_targetILNS1_3genE2ELNS1_11target_archE906ELNS1_3gpuE6ELNS1_3repE0EEENS1_30default_config_static_selectorELNS0_4arch9wavefront6targetE0EEEvT1_,comdat
.Lfunc_end1617:
	.size	_ZN7rocprim17ROCPRIM_400000_NS6detail17trampoline_kernelINS0_14default_configENS1_25partition_config_selectorILNS1_17partition_subalgoE6EfNS0_10empty_typeEbEEZZNS1_14partition_implILS5_6ELb0ES3_mN6thrust23THRUST_200600_302600_NS6detail15normal_iteratorINSA_10device_ptrIfEEEEPS6_SG_NS0_5tupleIJNSA_16discard_iteratorINSA_11use_defaultEEES6_EEENSH_IJSG_SG_EEES6_PlJNSB_9not_fun_tINSB_14equal_to_valueIfEEEEEEE10hipError_tPvRmT3_T4_T5_T6_T7_T9_mT8_P12ihipStream_tbDpT10_ENKUlT_T0_E_clISt17integral_constantIbLb1EES1A_IbLb0EEEEDaS16_S17_EUlS16_E_NS1_11comp_targetILNS1_3genE2ELNS1_11target_archE906ELNS1_3gpuE6ELNS1_3repE0EEENS1_30default_config_static_selectorELNS0_4arch9wavefront6targetE0EEEvT1_, .Lfunc_end1617-_ZN7rocprim17ROCPRIM_400000_NS6detail17trampoline_kernelINS0_14default_configENS1_25partition_config_selectorILNS1_17partition_subalgoE6EfNS0_10empty_typeEbEEZZNS1_14partition_implILS5_6ELb0ES3_mN6thrust23THRUST_200600_302600_NS6detail15normal_iteratorINSA_10device_ptrIfEEEEPS6_SG_NS0_5tupleIJNSA_16discard_iteratorINSA_11use_defaultEEES6_EEENSH_IJSG_SG_EEES6_PlJNSB_9not_fun_tINSB_14equal_to_valueIfEEEEEEE10hipError_tPvRmT3_T4_T5_T6_T7_T9_mT8_P12ihipStream_tbDpT10_ENKUlT_T0_E_clISt17integral_constantIbLb1EES1A_IbLb0EEEEDaS16_S17_EUlS16_E_NS1_11comp_targetILNS1_3genE2ELNS1_11target_archE906ELNS1_3gpuE6ELNS1_3repE0EEENS1_30default_config_static_selectorELNS0_4arch9wavefront6targetE0EEEvT1_
                                        ; -- End function
	.set _ZN7rocprim17ROCPRIM_400000_NS6detail17trampoline_kernelINS0_14default_configENS1_25partition_config_selectorILNS1_17partition_subalgoE6EfNS0_10empty_typeEbEEZZNS1_14partition_implILS5_6ELb0ES3_mN6thrust23THRUST_200600_302600_NS6detail15normal_iteratorINSA_10device_ptrIfEEEEPS6_SG_NS0_5tupleIJNSA_16discard_iteratorINSA_11use_defaultEEES6_EEENSH_IJSG_SG_EEES6_PlJNSB_9not_fun_tINSB_14equal_to_valueIfEEEEEEE10hipError_tPvRmT3_T4_T5_T6_T7_T9_mT8_P12ihipStream_tbDpT10_ENKUlT_T0_E_clISt17integral_constantIbLb1EES1A_IbLb0EEEEDaS16_S17_EUlS16_E_NS1_11comp_targetILNS1_3genE2ELNS1_11target_archE906ELNS1_3gpuE6ELNS1_3repE0EEENS1_30default_config_static_selectorELNS0_4arch9wavefront6targetE0EEEvT1_.num_vgpr, 0
	.set _ZN7rocprim17ROCPRIM_400000_NS6detail17trampoline_kernelINS0_14default_configENS1_25partition_config_selectorILNS1_17partition_subalgoE6EfNS0_10empty_typeEbEEZZNS1_14partition_implILS5_6ELb0ES3_mN6thrust23THRUST_200600_302600_NS6detail15normal_iteratorINSA_10device_ptrIfEEEEPS6_SG_NS0_5tupleIJNSA_16discard_iteratorINSA_11use_defaultEEES6_EEENSH_IJSG_SG_EEES6_PlJNSB_9not_fun_tINSB_14equal_to_valueIfEEEEEEE10hipError_tPvRmT3_T4_T5_T6_T7_T9_mT8_P12ihipStream_tbDpT10_ENKUlT_T0_E_clISt17integral_constantIbLb1EES1A_IbLb0EEEEDaS16_S17_EUlS16_E_NS1_11comp_targetILNS1_3genE2ELNS1_11target_archE906ELNS1_3gpuE6ELNS1_3repE0EEENS1_30default_config_static_selectorELNS0_4arch9wavefront6targetE0EEEvT1_.num_agpr, 0
	.set _ZN7rocprim17ROCPRIM_400000_NS6detail17trampoline_kernelINS0_14default_configENS1_25partition_config_selectorILNS1_17partition_subalgoE6EfNS0_10empty_typeEbEEZZNS1_14partition_implILS5_6ELb0ES3_mN6thrust23THRUST_200600_302600_NS6detail15normal_iteratorINSA_10device_ptrIfEEEEPS6_SG_NS0_5tupleIJNSA_16discard_iteratorINSA_11use_defaultEEES6_EEENSH_IJSG_SG_EEES6_PlJNSB_9not_fun_tINSB_14equal_to_valueIfEEEEEEE10hipError_tPvRmT3_T4_T5_T6_T7_T9_mT8_P12ihipStream_tbDpT10_ENKUlT_T0_E_clISt17integral_constantIbLb1EES1A_IbLb0EEEEDaS16_S17_EUlS16_E_NS1_11comp_targetILNS1_3genE2ELNS1_11target_archE906ELNS1_3gpuE6ELNS1_3repE0EEENS1_30default_config_static_selectorELNS0_4arch9wavefront6targetE0EEEvT1_.numbered_sgpr, 0
	.set _ZN7rocprim17ROCPRIM_400000_NS6detail17trampoline_kernelINS0_14default_configENS1_25partition_config_selectorILNS1_17partition_subalgoE6EfNS0_10empty_typeEbEEZZNS1_14partition_implILS5_6ELb0ES3_mN6thrust23THRUST_200600_302600_NS6detail15normal_iteratorINSA_10device_ptrIfEEEEPS6_SG_NS0_5tupleIJNSA_16discard_iteratorINSA_11use_defaultEEES6_EEENSH_IJSG_SG_EEES6_PlJNSB_9not_fun_tINSB_14equal_to_valueIfEEEEEEE10hipError_tPvRmT3_T4_T5_T6_T7_T9_mT8_P12ihipStream_tbDpT10_ENKUlT_T0_E_clISt17integral_constantIbLb1EES1A_IbLb0EEEEDaS16_S17_EUlS16_E_NS1_11comp_targetILNS1_3genE2ELNS1_11target_archE906ELNS1_3gpuE6ELNS1_3repE0EEENS1_30default_config_static_selectorELNS0_4arch9wavefront6targetE0EEEvT1_.num_named_barrier, 0
	.set _ZN7rocprim17ROCPRIM_400000_NS6detail17trampoline_kernelINS0_14default_configENS1_25partition_config_selectorILNS1_17partition_subalgoE6EfNS0_10empty_typeEbEEZZNS1_14partition_implILS5_6ELb0ES3_mN6thrust23THRUST_200600_302600_NS6detail15normal_iteratorINSA_10device_ptrIfEEEEPS6_SG_NS0_5tupleIJNSA_16discard_iteratorINSA_11use_defaultEEES6_EEENSH_IJSG_SG_EEES6_PlJNSB_9not_fun_tINSB_14equal_to_valueIfEEEEEEE10hipError_tPvRmT3_T4_T5_T6_T7_T9_mT8_P12ihipStream_tbDpT10_ENKUlT_T0_E_clISt17integral_constantIbLb1EES1A_IbLb0EEEEDaS16_S17_EUlS16_E_NS1_11comp_targetILNS1_3genE2ELNS1_11target_archE906ELNS1_3gpuE6ELNS1_3repE0EEENS1_30default_config_static_selectorELNS0_4arch9wavefront6targetE0EEEvT1_.private_seg_size, 0
	.set _ZN7rocprim17ROCPRIM_400000_NS6detail17trampoline_kernelINS0_14default_configENS1_25partition_config_selectorILNS1_17partition_subalgoE6EfNS0_10empty_typeEbEEZZNS1_14partition_implILS5_6ELb0ES3_mN6thrust23THRUST_200600_302600_NS6detail15normal_iteratorINSA_10device_ptrIfEEEEPS6_SG_NS0_5tupleIJNSA_16discard_iteratorINSA_11use_defaultEEES6_EEENSH_IJSG_SG_EEES6_PlJNSB_9not_fun_tINSB_14equal_to_valueIfEEEEEEE10hipError_tPvRmT3_T4_T5_T6_T7_T9_mT8_P12ihipStream_tbDpT10_ENKUlT_T0_E_clISt17integral_constantIbLb1EES1A_IbLb0EEEEDaS16_S17_EUlS16_E_NS1_11comp_targetILNS1_3genE2ELNS1_11target_archE906ELNS1_3gpuE6ELNS1_3repE0EEENS1_30default_config_static_selectorELNS0_4arch9wavefront6targetE0EEEvT1_.uses_vcc, 0
	.set _ZN7rocprim17ROCPRIM_400000_NS6detail17trampoline_kernelINS0_14default_configENS1_25partition_config_selectorILNS1_17partition_subalgoE6EfNS0_10empty_typeEbEEZZNS1_14partition_implILS5_6ELb0ES3_mN6thrust23THRUST_200600_302600_NS6detail15normal_iteratorINSA_10device_ptrIfEEEEPS6_SG_NS0_5tupleIJNSA_16discard_iteratorINSA_11use_defaultEEES6_EEENSH_IJSG_SG_EEES6_PlJNSB_9not_fun_tINSB_14equal_to_valueIfEEEEEEE10hipError_tPvRmT3_T4_T5_T6_T7_T9_mT8_P12ihipStream_tbDpT10_ENKUlT_T0_E_clISt17integral_constantIbLb1EES1A_IbLb0EEEEDaS16_S17_EUlS16_E_NS1_11comp_targetILNS1_3genE2ELNS1_11target_archE906ELNS1_3gpuE6ELNS1_3repE0EEENS1_30default_config_static_selectorELNS0_4arch9wavefront6targetE0EEEvT1_.uses_flat_scratch, 0
	.set _ZN7rocprim17ROCPRIM_400000_NS6detail17trampoline_kernelINS0_14default_configENS1_25partition_config_selectorILNS1_17partition_subalgoE6EfNS0_10empty_typeEbEEZZNS1_14partition_implILS5_6ELb0ES3_mN6thrust23THRUST_200600_302600_NS6detail15normal_iteratorINSA_10device_ptrIfEEEEPS6_SG_NS0_5tupleIJNSA_16discard_iteratorINSA_11use_defaultEEES6_EEENSH_IJSG_SG_EEES6_PlJNSB_9not_fun_tINSB_14equal_to_valueIfEEEEEEE10hipError_tPvRmT3_T4_T5_T6_T7_T9_mT8_P12ihipStream_tbDpT10_ENKUlT_T0_E_clISt17integral_constantIbLb1EES1A_IbLb0EEEEDaS16_S17_EUlS16_E_NS1_11comp_targetILNS1_3genE2ELNS1_11target_archE906ELNS1_3gpuE6ELNS1_3repE0EEENS1_30default_config_static_selectorELNS0_4arch9wavefront6targetE0EEEvT1_.has_dyn_sized_stack, 0
	.set _ZN7rocprim17ROCPRIM_400000_NS6detail17trampoline_kernelINS0_14default_configENS1_25partition_config_selectorILNS1_17partition_subalgoE6EfNS0_10empty_typeEbEEZZNS1_14partition_implILS5_6ELb0ES3_mN6thrust23THRUST_200600_302600_NS6detail15normal_iteratorINSA_10device_ptrIfEEEEPS6_SG_NS0_5tupleIJNSA_16discard_iteratorINSA_11use_defaultEEES6_EEENSH_IJSG_SG_EEES6_PlJNSB_9not_fun_tINSB_14equal_to_valueIfEEEEEEE10hipError_tPvRmT3_T4_T5_T6_T7_T9_mT8_P12ihipStream_tbDpT10_ENKUlT_T0_E_clISt17integral_constantIbLb1EES1A_IbLb0EEEEDaS16_S17_EUlS16_E_NS1_11comp_targetILNS1_3genE2ELNS1_11target_archE906ELNS1_3gpuE6ELNS1_3repE0EEENS1_30default_config_static_selectorELNS0_4arch9wavefront6targetE0EEEvT1_.has_recursion, 0
	.set _ZN7rocprim17ROCPRIM_400000_NS6detail17trampoline_kernelINS0_14default_configENS1_25partition_config_selectorILNS1_17partition_subalgoE6EfNS0_10empty_typeEbEEZZNS1_14partition_implILS5_6ELb0ES3_mN6thrust23THRUST_200600_302600_NS6detail15normal_iteratorINSA_10device_ptrIfEEEEPS6_SG_NS0_5tupleIJNSA_16discard_iteratorINSA_11use_defaultEEES6_EEENSH_IJSG_SG_EEES6_PlJNSB_9not_fun_tINSB_14equal_to_valueIfEEEEEEE10hipError_tPvRmT3_T4_T5_T6_T7_T9_mT8_P12ihipStream_tbDpT10_ENKUlT_T0_E_clISt17integral_constantIbLb1EES1A_IbLb0EEEEDaS16_S17_EUlS16_E_NS1_11comp_targetILNS1_3genE2ELNS1_11target_archE906ELNS1_3gpuE6ELNS1_3repE0EEENS1_30default_config_static_selectorELNS0_4arch9wavefront6targetE0EEEvT1_.has_indirect_call, 0
	.section	.AMDGPU.csdata,"",@progbits
; Kernel info:
; codeLenInByte = 0
; TotalNumSgprs: 0
; NumVgprs: 0
; ScratchSize: 0
; MemoryBound: 0
; FloatMode: 240
; IeeeMode: 1
; LDSByteSize: 0 bytes/workgroup (compile time only)
; SGPRBlocks: 0
; VGPRBlocks: 0
; NumSGPRsForWavesPerEU: 1
; NumVGPRsForWavesPerEU: 1
; Occupancy: 16
; WaveLimiterHint : 0
; COMPUTE_PGM_RSRC2:SCRATCH_EN: 0
; COMPUTE_PGM_RSRC2:USER_SGPR: 2
; COMPUTE_PGM_RSRC2:TRAP_HANDLER: 0
; COMPUTE_PGM_RSRC2:TGID_X_EN: 1
; COMPUTE_PGM_RSRC2:TGID_Y_EN: 0
; COMPUTE_PGM_RSRC2:TGID_Z_EN: 0
; COMPUTE_PGM_RSRC2:TIDIG_COMP_CNT: 0
	.section	.text._ZN7rocprim17ROCPRIM_400000_NS6detail17trampoline_kernelINS0_14default_configENS1_25partition_config_selectorILNS1_17partition_subalgoE6EfNS0_10empty_typeEbEEZZNS1_14partition_implILS5_6ELb0ES3_mN6thrust23THRUST_200600_302600_NS6detail15normal_iteratorINSA_10device_ptrIfEEEEPS6_SG_NS0_5tupleIJNSA_16discard_iteratorINSA_11use_defaultEEES6_EEENSH_IJSG_SG_EEES6_PlJNSB_9not_fun_tINSB_14equal_to_valueIfEEEEEEE10hipError_tPvRmT3_T4_T5_T6_T7_T9_mT8_P12ihipStream_tbDpT10_ENKUlT_T0_E_clISt17integral_constantIbLb1EES1A_IbLb0EEEEDaS16_S17_EUlS16_E_NS1_11comp_targetILNS1_3genE10ELNS1_11target_archE1200ELNS1_3gpuE4ELNS1_3repE0EEENS1_30default_config_static_selectorELNS0_4arch9wavefront6targetE0EEEvT1_,"axG",@progbits,_ZN7rocprim17ROCPRIM_400000_NS6detail17trampoline_kernelINS0_14default_configENS1_25partition_config_selectorILNS1_17partition_subalgoE6EfNS0_10empty_typeEbEEZZNS1_14partition_implILS5_6ELb0ES3_mN6thrust23THRUST_200600_302600_NS6detail15normal_iteratorINSA_10device_ptrIfEEEEPS6_SG_NS0_5tupleIJNSA_16discard_iteratorINSA_11use_defaultEEES6_EEENSH_IJSG_SG_EEES6_PlJNSB_9not_fun_tINSB_14equal_to_valueIfEEEEEEE10hipError_tPvRmT3_T4_T5_T6_T7_T9_mT8_P12ihipStream_tbDpT10_ENKUlT_T0_E_clISt17integral_constantIbLb1EES1A_IbLb0EEEEDaS16_S17_EUlS16_E_NS1_11comp_targetILNS1_3genE10ELNS1_11target_archE1200ELNS1_3gpuE4ELNS1_3repE0EEENS1_30default_config_static_selectorELNS0_4arch9wavefront6targetE0EEEvT1_,comdat
	.protected	_ZN7rocprim17ROCPRIM_400000_NS6detail17trampoline_kernelINS0_14default_configENS1_25partition_config_selectorILNS1_17partition_subalgoE6EfNS0_10empty_typeEbEEZZNS1_14partition_implILS5_6ELb0ES3_mN6thrust23THRUST_200600_302600_NS6detail15normal_iteratorINSA_10device_ptrIfEEEEPS6_SG_NS0_5tupleIJNSA_16discard_iteratorINSA_11use_defaultEEES6_EEENSH_IJSG_SG_EEES6_PlJNSB_9not_fun_tINSB_14equal_to_valueIfEEEEEEE10hipError_tPvRmT3_T4_T5_T6_T7_T9_mT8_P12ihipStream_tbDpT10_ENKUlT_T0_E_clISt17integral_constantIbLb1EES1A_IbLb0EEEEDaS16_S17_EUlS16_E_NS1_11comp_targetILNS1_3genE10ELNS1_11target_archE1200ELNS1_3gpuE4ELNS1_3repE0EEENS1_30default_config_static_selectorELNS0_4arch9wavefront6targetE0EEEvT1_ ; -- Begin function _ZN7rocprim17ROCPRIM_400000_NS6detail17trampoline_kernelINS0_14default_configENS1_25partition_config_selectorILNS1_17partition_subalgoE6EfNS0_10empty_typeEbEEZZNS1_14partition_implILS5_6ELb0ES3_mN6thrust23THRUST_200600_302600_NS6detail15normal_iteratorINSA_10device_ptrIfEEEEPS6_SG_NS0_5tupleIJNSA_16discard_iteratorINSA_11use_defaultEEES6_EEENSH_IJSG_SG_EEES6_PlJNSB_9not_fun_tINSB_14equal_to_valueIfEEEEEEE10hipError_tPvRmT3_T4_T5_T6_T7_T9_mT8_P12ihipStream_tbDpT10_ENKUlT_T0_E_clISt17integral_constantIbLb1EES1A_IbLb0EEEEDaS16_S17_EUlS16_E_NS1_11comp_targetILNS1_3genE10ELNS1_11target_archE1200ELNS1_3gpuE4ELNS1_3repE0EEENS1_30default_config_static_selectorELNS0_4arch9wavefront6targetE0EEEvT1_
	.globl	_ZN7rocprim17ROCPRIM_400000_NS6detail17trampoline_kernelINS0_14default_configENS1_25partition_config_selectorILNS1_17partition_subalgoE6EfNS0_10empty_typeEbEEZZNS1_14partition_implILS5_6ELb0ES3_mN6thrust23THRUST_200600_302600_NS6detail15normal_iteratorINSA_10device_ptrIfEEEEPS6_SG_NS0_5tupleIJNSA_16discard_iteratorINSA_11use_defaultEEES6_EEENSH_IJSG_SG_EEES6_PlJNSB_9not_fun_tINSB_14equal_to_valueIfEEEEEEE10hipError_tPvRmT3_T4_T5_T6_T7_T9_mT8_P12ihipStream_tbDpT10_ENKUlT_T0_E_clISt17integral_constantIbLb1EES1A_IbLb0EEEEDaS16_S17_EUlS16_E_NS1_11comp_targetILNS1_3genE10ELNS1_11target_archE1200ELNS1_3gpuE4ELNS1_3repE0EEENS1_30default_config_static_selectorELNS0_4arch9wavefront6targetE0EEEvT1_
	.p2align	8
	.type	_ZN7rocprim17ROCPRIM_400000_NS6detail17trampoline_kernelINS0_14default_configENS1_25partition_config_selectorILNS1_17partition_subalgoE6EfNS0_10empty_typeEbEEZZNS1_14partition_implILS5_6ELb0ES3_mN6thrust23THRUST_200600_302600_NS6detail15normal_iteratorINSA_10device_ptrIfEEEEPS6_SG_NS0_5tupleIJNSA_16discard_iteratorINSA_11use_defaultEEES6_EEENSH_IJSG_SG_EEES6_PlJNSB_9not_fun_tINSB_14equal_to_valueIfEEEEEEE10hipError_tPvRmT3_T4_T5_T6_T7_T9_mT8_P12ihipStream_tbDpT10_ENKUlT_T0_E_clISt17integral_constantIbLb1EES1A_IbLb0EEEEDaS16_S17_EUlS16_E_NS1_11comp_targetILNS1_3genE10ELNS1_11target_archE1200ELNS1_3gpuE4ELNS1_3repE0EEENS1_30default_config_static_selectorELNS0_4arch9wavefront6targetE0EEEvT1_,@function
_ZN7rocprim17ROCPRIM_400000_NS6detail17trampoline_kernelINS0_14default_configENS1_25partition_config_selectorILNS1_17partition_subalgoE6EfNS0_10empty_typeEbEEZZNS1_14partition_implILS5_6ELb0ES3_mN6thrust23THRUST_200600_302600_NS6detail15normal_iteratorINSA_10device_ptrIfEEEEPS6_SG_NS0_5tupleIJNSA_16discard_iteratorINSA_11use_defaultEEES6_EEENSH_IJSG_SG_EEES6_PlJNSB_9not_fun_tINSB_14equal_to_valueIfEEEEEEE10hipError_tPvRmT3_T4_T5_T6_T7_T9_mT8_P12ihipStream_tbDpT10_ENKUlT_T0_E_clISt17integral_constantIbLb1EES1A_IbLb0EEEEDaS16_S17_EUlS16_E_NS1_11comp_targetILNS1_3genE10ELNS1_11target_archE1200ELNS1_3gpuE4ELNS1_3repE0EEENS1_30default_config_static_selectorELNS0_4arch9wavefront6targetE0EEEvT1_: ; @_ZN7rocprim17ROCPRIM_400000_NS6detail17trampoline_kernelINS0_14default_configENS1_25partition_config_selectorILNS1_17partition_subalgoE6EfNS0_10empty_typeEbEEZZNS1_14partition_implILS5_6ELb0ES3_mN6thrust23THRUST_200600_302600_NS6detail15normal_iteratorINSA_10device_ptrIfEEEEPS6_SG_NS0_5tupleIJNSA_16discard_iteratorINSA_11use_defaultEEES6_EEENSH_IJSG_SG_EEES6_PlJNSB_9not_fun_tINSB_14equal_to_valueIfEEEEEEE10hipError_tPvRmT3_T4_T5_T6_T7_T9_mT8_P12ihipStream_tbDpT10_ENKUlT_T0_E_clISt17integral_constantIbLb1EES1A_IbLb0EEEEDaS16_S17_EUlS16_E_NS1_11comp_targetILNS1_3genE10ELNS1_11target_archE1200ELNS1_3gpuE4ELNS1_3repE0EEENS1_30default_config_static_selectorELNS0_4arch9wavefront6targetE0EEEvT1_
; %bb.0:
	s_endpgm
	.section	.rodata,"a",@progbits
	.p2align	6, 0x0
	.amdhsa_kernel _ZN7rocprim17ROCPRIM_400000_NS6detail17trampoline_kernelINS0_14default_configENS1_25partition_config_selectorILNS1_17partition_subalgoE6EfNS0_10empty_typeEbEEZZNS1_14partition_implILS5_6ELb0ES3_mN6thrust23THRUST_200600_302600_NS6detail15normal_iteratorINSA_10device_ptrIfEEEEPS6_SG_NS0_5tupleIJNSA_16discard_iteratorINSA_11use_defaultEEES6_EEENSH_IJSG_SG_EEES6_PlJNSB_9not_fun_tINSB_14equal_to_valueIfEEEEEEE10hipError_tPvRmT3_T4_T5_T6_T7_T9_mT8_P12ihipStream_tbDpT10_ENKUlT_T0_E_clISt17integral_constantIbLb1EES1A_IbLb0EEEEDaS16_S17_EUlS16_E_NS1_11comp_targetILNS1_3genE10ELNS1_11target_archE1200ELNS1_3gpuE4ELNS1_3repE0EEENS1_30default_config_static_selectorELNS0_4arch9wavefront6targetE0EEEvT1_
		.amdhsa_group_segment_fixed_size 0
		.amdhsa_private_segment_fixed_size 0
		.amdhsa_kernarg_size 128
		.amdhsa_user_sgpr_count 2
		.amdhsa_user_sgpr_dispatch_ptr 0
		.amdhsa_user_sgpr_queue_ptr 0
		.amdhsa_user_sgpr_kernarg_segment_ptr 1
		.amdhsa_user_sgpr_dispatch_id 0
		.amdhsa_user_sgpr_private_segment_size 0
		.amdhsa_wavefront_size32 1
		.amdhsa_uses_dynamic_stack 0
		.amdhsa_enable_private_segment 0
		.amdhsa_system_sgpr_workgroup_id_x 1
		.amdhsa_system_sgpr_workgroup_id_y 0
		.amdhsa_system_sgpr_workgroup_id_z 0
		.amdhsa_system_sgpr_workgroup_info 0
		.amdhsa_system_vgpr_workitem_id 0
		.amdhsa_next_free_vgpr 1
		.amdhsa_next_free_sgpr 1
		.amdhsa_reserve_vcc 0
		.amdhsa_float_round_mode_32 0
		.amdhsa_float_round_mode_16_64 0
		.amdhsa_float_denorm_mode_32 3
		.amdhsa_float_denorm_mode_16_64 3
		.amdhsa_fp16_overflow 0
		.amdhsa_workgroup_processor_mode 1
		.amdhsa_memory_ordered 1
		.amdhsa_forward_progress 1
		.amdhsa_inst_pref_size 1
		.amdhsa_round_robin_scheduling 0
		.amdhsa_exception_fp_ieee_invalid_op 0
		.amdhsa_exception_fp_denorm_src 0
		.amdhsa_exception_fp_ieee_div_zero 0
		.amdhsa_exception_fp_ieee_overflow 0
		.amdhsa_exception_fp_ieee_underflow 0
		.amdhsa_exception_fp_ieee_inexact 0
		.amdhsa_exception_int_div_zero 0
	.end_amdhsa_kernel
	.section	.text._ZN7rocprim17ROCPRIM_400000_NS6detail17trampoline_kernelINS0_14default_configENS1_25partition_config_selectorILNS1_17partition_subalgoE6EfNS0_10empty_typeEbEEZZNS1_14partition_implILS5_6ELb0ES3_mN6thrust23THRUST_200600_302600_NS6detail15normal_iteratorINSA_10device_ptrIfEEEEPS6_SG_NS0_5tupleIJNSA_16discard_iteratorINSA_11use_defaultEEES6_EEENSH_IJSG_SG_EEES6_PlJNSB_9not_fun_tINSB_14equal_to_valueIfEEEEEEE10hipError_tPvRmT3_T4_T5_T6_T7_T9_mT8_P12ihipStream_tbDpT10_ENKUlT_T0_E_clISt17integral_constantIbLb1EES1A_IbLb0EEEEDaS16_S17_EUlS16_E_NS1_11comp_targetILNS1_3genE10ELNS1_11target_archE1200ELNS1_3gpuE4ELNS1_3repE0EEENS1_30default_config_static_selectorELNS0_4arch9wavefront6targetE0EEEvT1_,"axG",@progbits,_ZN7rocprim17ROCPRIM_400000_NS6detail17trampoline_kernelINS0_14default_configENS1_25partition_config_selectorILNS1_17partition_subalgoE6EfNS0_10empty_typeEbEEZZNS1_14partition_implILS5_6ELb0ES3_mN6thrust23THRUST_200600_302600_NS6detail15normal_iteratorINSA_10device_ptrIfEEEEPS6_SG_NS0_5tupleIJNSA_16discard_iteratorINSA_11use_defaultEEES6_EEENSH_IJSG_SG_EEES6_PlJNSB_9not_fun_tINSB_14equal_to_valueIfEEEEEEE10hipError_tPvRmT3_T4_T5_T6_T7_T9_mT8_P12ihipStream_tbDpT10_ENKUlT_T0_E_clISt17integral_constantIbLb1EES1A_IbLb0EEEEDaS16_S17_EUlS16_E_NS1_11comp_targetILNS1_3genE10ELNS1_11target_archE1200ELNS1_3gpuE4ELNS1_3repE0EEENS1_30default_config_static_selectorELNS0_4arch9wavefront6targetE0EEEvT1_,comdat
.Lfunc_end1618:
	.size	_ZN7rocprim17ROCPRIM_400000_NS6detail17trampoline_kernelINS0_14default_configENS1_25partition_config_selectorILNS1_17partition_subalgoE6EfNS0_10empty_typeEbEEZZNS1_14partition_implILS5_6ELb0ES3_mN6thrust23THRUST_200600_302600_NS6detail15normal_iteratorINSA_10device_ptrIfEEEEPS6_SG_NS0_5tupleIJNSA_16discard_iteratorINSA_11use_defaultEEES6_EEENSH_IJSG_SG_EEES6_PlJNSB_9not_fun_tINSB_14equal_to_valueIfEEEEEEE10hipError_tPvRmT3_T4_T5_T6_T7_T9_mT8_P12ihipStream_tbDpT10_ENKUlT_T0_E_clISt17integral_constantIbLb1EES1A_IbLb0EEEEDaS16_S17_EUlS16_E_NS1_11comp_targetILNS1_3genE10ELNS1_11target_archE1200ELNS1_3gpuE4ELNS1_3repE0EEENS1_30default_config_static_selectorELNS0_4arch9wavefront6targetE0EEEvT1_, .Lfunc_end1618-_ZN7rocprim17ROCPRIM_400000_NS6detail17trampoline_kernelINS0_14default_configENS1_25partition_config_selectorILNS1_17partition_subalgoE6EfNS0_10empty_typeEbEEZZNS1_14partition_implILS5_6ELb0ES3_mN6thrust23THRUST_200600_302600_NS6detail15normal_iteratorINSA_10device_ptrIfEEEEPS6_SG_NS0_5tupleIJNSA_16discard_iteratorINSA_11use_defaultEEES6_EEENSH_IJSG_SG_EEES6_PlJNSB_9not_fun_tINSB_14equal_to_valueIfEEEEEEE10hipError_tPvRmT3_T4_T5_T6_T7_T9_mT8_P12ihipStream_tbDpT10_ENKUlT_T0_E_clISt17integral_constantIbLb1EES1A_IbLb0EEEEDaS16_S17_EUlS16_E_NS1_11comp_targetILNS1_3genE10ELNS1_11target_archE1200ELNS1_3gpuE4ELNS1_3repE0EEENS1_30default_config_static_selectorELNS0_4arch9wavefront6targetE0EEEvT1_
                                        ; -- End function
	.set _ZN7rocprim17ROCPRIM_400000_NS6detail17trampoline_kernelINS0_14default_configENS1_25partition_config_selectorILNS1_17partition_subalgoE6EfNS0_10empty_typeEbEEZZNS1_14partition_implILS5_6ELb0ES3_mN6thrust23THRUST_200600_302600_NS6detail15normal_iteratorINSA_10device_ptrIfEEEEPS6_SG_NS0_5tupleIJNSA_16discard_iteratorINSA_11use_defaultEEES6_EEENSH_IJSG_SG_EEES6_PlJNSB_9not_fun_tINSB_14equal_to_valueIfEEEEEEE10hipError_tPvRmT3_T4_T5_T6_T7_T9_mT8_P12ihipStream_tbDpT10_ENKUlT_T0_E_clISt17integral_constantIbLb1EES1A_IbLb0EEEEDaS16_S17_EUlS16_E_NS1_11comp_targetILNS1_3genE10ELNS1_11target_archE1200ELNS1_3gpuE4ELNS1_3repE0EEENS1_30default_config_static_selectorELNS0_4arch9wavefront6targetE0EEEvT1_.num_vgpr, 0
	.set _ZN7rocprim17ROCPRIM_400000_NS6detail17trampoline_kernelINS0_14default_configENS1_25partition_config_selectorILNS1_17partition_subalgoE6EfNS0_10empty_typeEbEEZZNS1_14partition_implILS5_6ELb0ES3_mN6thrust23THRUST_200600_302600_NS6detail15normal_iteratorINSA_10device_ptrIfEEEEPS6_SG_NS0_5tupleIJNSA_16discard_iteratorINSA_11use_defaultEEES6_EEENSH_IJSG_SG_EEES6_PlJNSB_9not_fun_tINSB_14equal_to_valueIfEEEEEEE10hipError_tPvRmT3_T4_T5_T6_T7_T9_mT8_P12ihipStream_tbDpT10_ENKUlT_T0_E_clISt17integral_constantIbLb1EES1A_IbLb0EEEEDaS16_S17_EUlS16_E_NS1_11comp_targetILNS1_3genE10ELNS1_11target_archE1200ELNS1_3gpuE4ELNS1_3repE0EEENS1_30default_config_static_selectorELNS0_4arch9wavefront6targetE0EEEvT1_.num_agpr, 0
	.set _ZN7rocprim17ROCPRIM_400000_NS6detail17trampoline_kernelINS0_14default_configENS1_25partition_config_selectorILNS1_17partition_subalgoE6EfNS0_10empty_typeEbEEZZNS1_14partition_implILS5_6ELb0ES3_mN6thrust23THRUST_200600_302600_NS6detail15normal_iteratorINSA_10device_ptrIfEEEEPS6_SG_NS0_5tupleIJNSA_16discard_iteratorINSA_11use_defaultEEES6_EEENSH_IJSG_SG_EEES6_PlJNSB_9not_fun_tINSB_14equal_to_valueIfEEEEEEE10hipError_tPvRmT3_T4_T5_T6_T7_T9_mT8_P12ihipStream_tbDpT10_ENKUlT_T0_E_clISt17integral_constantIbLb1EES1A_IbLb0EEEEDaS16_S17_EUlS16_E_NS1_11comp_targetILNS1_3genE10ELNS1_11target_archE1200ELNS1_3gpuE4ELNS1_3repE0EEENS1_30default_config_static_selectorELNS0_4arch9wavefront6targetE0EEEvT1_.numbered_sgpr, 0
	.set _ZN7rocprim17ROCPRIM_400000_NS6detail17trampoline_kernelINS0_14default_configENS1_25partition_config_selectorILNS1_17partition_subalgoE6EfNS0_10empty_typeEbEEZZNS1_14partition_implILS5_6ELb0ES3_mN6thrust23THRUST_200600_302600_NS6detail15normal_iteratorINSA_10device_ptrIfEEEEPS6_SG_NS0_5tupleIJNSA_16discard_iteratorINSA_11use_defaultEEES6_EEENSH_IJSG_SG_EEES6_PlJNSB_9not_fun_tINSB_14equal_to_valueIfEEEEEEE10hipError_tPvRmT3_T4_T5_T6_T7_T9_mT8_P12ihipStream_tbDpT10_ENKUlT_T0_E_clISt17integral_constantIbLb1EES1A_IbLb0EEEEDaS16_S17_EUlS16_E_NS1_11comp_targetILNS1_3genE10ELNS1_11target_archE1200ELNS1_3gpuE4ELNS1_3repE0EEENS1_30default_config_static_selectorELNS0_4arch9wavefront6targetE0EEEvT1_.num_named_barrier, 0
	.set _ZN7rocprim17ROCPRIM_400000_NS6detail17trampoline_kernelINS0_14default_configENS1_25partition_config_selectorILNS1_17partition_subalgoE6EfNS0_10empty_typeEbEEZZNS1_14partition_implILS5_6ELb0ES3_mN6thrust23THRUST_200600_302600_NS6detail15normal_iteratorINSA_10device_ptrIfEEEEPS6_SG_NS0_5tupleIJNSA_16discard_iteratorINSA_11use_defaultEEES6_EEENSH_IJSG_SG_EEES6_PlJNSB_9not_fun_tINSB_14equal_to_valueIfEEEEEEE10hipError_tPvRmT3_T4_T5_T6_T7_T9_mT8_P12ihipStream_tbDpT10_ENKUlT_T0_E_clISt17integral_constantIbLb1EES1A_IbLb0EEEEDaS16_S17_EUlS16_E_NS1_11comp_targetILNS1_3genE10ELNS1_11target_archE1200ELNS1_3gpuE4ELNS1_3repE0EEENS1_30default_config_static_selectorELNS0_4arch9wavefront6targetE0EEEvT1_.private_seg_size, 0
	.set _ZN7rocprim17ROCPRIM_400000_NS6detail17trampoline_kernelINS0_14default_configENS1_25partition_config_selectorILNS1_17partition_subalgoE6EfNS0_10empty_typeEbEEZZNS1_14partition_implILS5_6ELb0ES3_mN6thrust23THRUST_200600_302600_NS6detail15normal_iteratorINSA_10device_ptrIfEEEEPS6_SG_NS0_5tupleIJNSA_16discard_iteratorINSA_11use_defaultEEES6_EEENSH_IJSG_SG_EEES6_PlJNSB_9not_fun_tINSB_14equal_to_valueIfEEEEEEE10hipError_tPvRmT3_T4_T5_T6_T7_T9_mT8_P12ihipStream_tbDpT10_ENKUlT_T0_E_clISt17integral_constantIbLb1EES1A_IbLb0EEEEDaS16_S17_EUlS16_E_NS1_11comp_targetILNS1_3genE10ELNS1_11target_archE1200ELNS1_3gpuE4ELNS1_3repE0EEENS1_30default_config_static_selectorELNS0_4arch9wavefront6targetE0EEEvT1_.uses_vcc, 0
	.set _ZN7rocprim17ROCPRIM_400000_NS6detail17trampoline_kernelINS0_14default_configENS1_25partition_config_selectorILNS1_17partition_subalgoE6EfNS0_10empty_typeEbEEZZNS1_14partition_implILS5_6ELb0ES3_mN6thrust23THRUST_200600_302600_NS6detail15normal_iteratorINSA_10device_ptrIfEEEEPS6_SG_NS0_5tupleIJNSA_16discard_iteratorINSA_11use_defaultEEES6_EEENSH_IJSG_SG_EEES6_PlJNSB_9not_fun_tINSB_14equal_to_valueIfEEEEEEE10hipError_tPvRmT3_T4_T5_T6_T7_T9_mT8_P12ihipStream_tbDpT10_ENKUlT_T0_E_clISt17integral_constantIbLb1EES1A_IbLb0EEEEDaS16_S17_EUlS16_E_NS1_11comp_targetILNS1_3genE10ELNS1_11target_archE1200ELNS1_3gpuE4ELNS1_3repE0EEENS1_30default_config_static_selectorELNS0_4arch9wavefront6targetE0EEEvT1_.uses_flat_scratch, 0
	.set _ZN7rocprim17ROCPRIM_400000_NS6detail17trampoline_kernelINS0_14default_configENS1_25partition_config_selectorILNS1_17partition_subalgoE6EfNS0_10empty_typeEbEEZZNS1_14partition_implILS5_6ELb0ES3_mN6thrust23THRUST_200600_302600_NS6detail15normal_iteratorINSA_10device_ptrIfEEEEPS6_SG_NS0_5tupleIJNSA_16discard_iteratorINSA_11use_defaultEEES6_EEENSH_IJSG_SG_EEES6_PlJNSB_9not_fun_tINSB_14equal_to_valueIfEEEEEEE10hipError_tPvRmT3_T4_T5_T6_T7_T9_mT8_P12ihipStream_tbDpT10_ENKUlT_T0_E_clISt17integral_constantIbLb1EES1A_IbLb0EEEEDaS16_S17_EUlS16_E_NS1_11comp_targetILNS1_3genE10ELNS1_11target_archE1200ELNS1_3gpuE4ELNS1_3repE0EEENS1_30default_config_static_selectorELNS0_4arch9wavefront6targetE0EEEvT1_.has_dyn_sized_stack, 0
	.set _ZN7rocprim17ROCPRIM_400000_NS6detail17trampoline_kernelINS0_14default_configENS1_25partition_config_selectorILNS1_17partition_subalgoE6EfNS0_10empty_typeEbEEZZNS1_14partition_implILS5_6ELb0ES3_mN6thrust23THRUST_200600_302600_NS6detail15normal_iteratorINSA_10device_ptrIfEEEEPS6_SG_NS0_5tupleIJNSA_16discard_iteratorINSA_11use_defaultEEES6_EEENSH_IJSG_SG_EEES6_PlJNSB_9not_fun_tINSB_14equal_to_valueIfEEEEEEE10hipError_tPvRmT3_T4_T5_T6_T7_T9_mT8_P12ihipStream_tbDpT10_ENKUlT_T0_E_clISt17integral_constantIbLb1EES1A_IbLb0EEEEDaS16_S17_EUlS16_E_NS1_11comp_targetILNS1_3genE10ELNS1_11target_archE1200ELNS1_3gpuE4ELNS1_3repE0EEENS1_30default_config_static_selectorELNS0_4arch9wavefront6targetE0EEEvT1_.has_recursion, 0
	.set _ZN7rocprim17ROCPRIM_400000_NS6detail17trampoline_kernelINS0_14default_configENS1_25partition_config_selectorILNS1_17partition_subalgoE6EfNS0_10empty_typeEbEEZZNS1_14partition_implILS5_6ELb0ES3_mN6thrust23THRUST_200600_302600_NS6detail15normal_iteratorINSA_10device_ptrIfEEEEPS6_SG_NS0_5tupleIJNSA_16discard_iteratorINSA_11use_defaultEEES6_EEENSH_IJSG_SG_EEES6_PlJNSB_9not_fun_tINSB_14equal_to_valueIfEEEEEEE10hipError_tPvRmT3_T4_T5_T6_T7_T9_mT8_P12ihipStream_tbDpT10_ENKUlT_T0_E_clISt17integral_constantIbLb1EES1A_IbLb0EEEEDaS16_S17_EUlS16_E_NS1_11comp_targetILNS1_3genE10ELNS1_11target_archE1200ELNS1_3gpuE4ELNS1_3repE0EEENS1_30default_config_static_selectorELNS0_4arch9wavefront6targetE0EEEvT1_.has_indirect_call, 0
	.section	.AMDGPU.csdata,"",@progbits
; Kernel info:
; codeLenInByte = 4
; TotalNumSgprs: 0
; NumVgprs: 0
; ScratchSize: 0
; MemoryBound: 0
; FloatMode: 240
; IeeeMode: 1
; LDSByteSize: 0 bytes/workgroup (compile time only)
; SGPRBlocks: 0
; VGPRBlocks: 0
; NumSGPRsForWavesPerEU: 1
; NumVGPRsForWavesPerEU: 1
; Occupancy: 16
; WaveLimiterHint : 0
; COMPUTE_PGM_RSRC2:SCRATCH_EN: 0
; COMPUTE_PGM_RSRC2:USER_SGPR: 2
; COMPUTE_PGM_RSRC2:TRAP_HANDLER: 0
; COMPUTE_PGM_RSRC2:TGID_X_EN: 1
; COMPUTE_PGM_RSRC2:TGID_Y_EN: 0
; COMPUTE_PGM_RSRC2:TGID_Z_EN: 0
; COMPUTE_PGM_RSRC2:TIDIG_COMP_CNT: 0
	.section	.text._ZN7rocprim17ROCPRIM_400000_NS6detail17trampoline_kernelINS0_14default_configENS1_25partition_config_selectorILNS1_17partition_subalgoE6EfNS0_10empty_typeEbEEZZNS1_14partition_implILS5_6ELb0ES3_mN6thrust23THRUST_200600_302600_NS6detail15normal_iteratorINSA_10device_ptrIfEEEEPS6_SG_NS0_5tupleIJNSA_16discard_iteratorINSA_11use_defaultEEES6_EEENSH_IJSG_SG_EEES6_PlJNSB_9not_fun_tINSB_14equal_to_valueIfEEEEEEE10hipError_tPvRmT3_T4_T5_T6_T7_T9_mT8_P12ihipStream_tbDpT10_ENKUlT_T0_E_clISt17integral_constantIbLb1EES1A_IbLb0EEEEDaS16_S17_EUlS16_E_NS1_11comp_targetILNS1_3genE9ELNS1_11target_archE1100ELNS1_3gpuE3ELNS1_3repE0EEENS1_30default_config_static_selectorELNS0_4arch9wavefront6targetE0EEEvT1_,"axG",@progbits,_ZN7rocprim17ROCPRIM_400000_NS6detail17trampoline_kernelINS0_14default_configENS1_25partition_config_selectorILNS1_17partition_subalgoE6EfNS0_10empty_typeEbEEZZNS1_14partition_implILS5_6ELb0ES3_mN6thrust23THRUST_200600_302600_NS6detail15normal_iteratorINSA_10device_ptrIfEEEEPS6_SG_NS0_5tupleIJNSA_16discard_iteratorINSA_11use_defaultEEES6_EEENSH_IJSG_SG_EEES6_PlJNSB_9not_fun_tINSB_14equal_to_valueIfEEEEEEE10hipError_tPvRmT3_T4_T5_T6_T7_T9_mT8_P12ihipStream_tbDpT10_ENKUlT_T0_E_clISt17integral_constantIbLb1EES1A_IbLb0EEEEDaS16_S17_EUlS16_E_NS1_11comp_targetILNS1_3genE9ELNS1_11target_archE1100ELNS1_3gpuE3ELNS1_3repE0EEENS1_30default_config_static_selectorELNS0_4arch9wavefront6targetE0EEEvT1_,comdat
	.protected	_ZN7rocprim17ROCPRIM_400000_NS6detail17trampoline_kernelINS0_14default_configENS1_25partition_config_selectorILNS1_17partition_subalgoE6EfNS0_10empty_typeEbEEZZNS1_14partition_implILS5_6ELb0ES3_mN6thrust23THRUST_200600_302600_NS6detail15normal_iteratorINSA_10device_ptrIfEEEEPS6_SG_NS0_5tupleIJNSA_16discard_iteratorINSA_11use_defaultEEES6_EEENSH_IJSG_SG_EEES6_PlJNSB_9not_fun_tINSB_14equal_to_valueIfEEEEEEE10hipError_tPvRmT3_T4_T5_T6_T7_T9_mT8_P12ihipStream_tbDpT10_ENKUlT_T0_E_clISt17integral_constantIbLb1EES1A_IbLb0EEEEDaS16_S17_EUlS16_E_NS1_11comp_targetILNS1_3genE9ELNS1_11target_archE1100ELNS1_3gpuE3ELNS1_3repE0EEENS1_30default_config_static_selectorELNS0_4arch9wavefront6targetE0EEEvT1_ ; -- Begin function _ZN7rocprim17ROCPRIM_400000_NS6detail17trampoline_kernelINS0_14default_configENS1_25partition_config_selectorILNS1_17partition_subalgoE6EfNS0_10empty_typeEbEEZZNS1_14partition_implILS5_6ELb0ES3_mN6thrust23THRUST_200600_302600_NS6detail15normal_iteratorINSA_10device_ptrIfEEEEPS6_SG_NS0_5tupleIJNSA_16discard_iteratorINSA_11use_defaultEEES6_EEENSH_IJSG_SG_EEES6_PlJNSB_9not_fun_tINSB_14equal_to_valueIfEEEEEEE10hipError_tPvRmT3_T4_T5_T6_T7_T9_mT8_P12ihipStream_tbDpT10_ENKUlT_T0_E_clISt17integral_constantIbLb1EES1A_IbLb0EEEEDaS16_S17_EUlS16_E_NS1_11comp_targetILNS1_3genE9ELNS1_11target_archE1100ELNS1_3gpuE3ELNS1_3repE0EEENS1_30default_config_static_selectorELNS0_4arch9wavefront6targetE0EEEvT1_
	.globl	_ZN7rocprim17ROCPRIM_400000_NS6detail17trampoline_kernelINS0_14default_configENS1_25partition_config_selectorILNS1_17partition_subalgoE6EfNS0_10empty_typeEbEEZZNS1_14partition_implILS5_6ELb0ES3_mN6thrust23THRUST_200600_302600_NS6detail15normal_iteratorINSA_10device_ptrIfEEEEPS6_SG_NS0_5tupleIJNSA_16discard_iteratorINSA_11use_defaultEEES6_EEENSH_IJSG_SG_EEES6_PlJNSB_9not_fun_tINSB_14equal_to_valueIfEEEEEEE10hipError_tPvRmT3_T4_T5_T6_T7_T9_mT8_P12ihipStream_tbDpT10_ENKUlT_T0_E_clISt17integral_constantIbLb1EES1A_IbLb0EEEEDaS16_S17_EUlS16_E_NS1_11comp_targetILNS1_3genE9ELNS1_11target_archE1100ELNS1_3gpuE3ELNS1_3repE0EEENS1_30default_config_static_selectorELNS0_4arch9wavefront6targetE0EEEvT1_
	.p2align	8
	.type	_ZN7rocprim17ROCPRIM_400000_NS6detail17trampoline_kernelINS0_14default_configENS1_25partition_config_selectorILNS1_17partition_subalgoE6EfNS0_10empty_typeEbEEZZNS1_14partition_implILS5_6ELb0ES3_mN6thrust23THRUST_200600_302600_NS6detail15normal_iteratorINSA_10device_ptrIfEEEEPS6_SG_NS0_5tupleIJNSA_16discard_iteratorINSA_11use_defaultEEES6_EEENSH_IJSG_SG_EEES6_PlJNSB_9not_fun_tINSB_14equal_to_valueIfEEEEEEE10hipError_tPvRmT3_T4_T5_T6_T7_T9_mT8_P12ihipStream_tbDpT10_ENKUlT_T0_E_clISt17integral_constantIbLb1EES1A_IbLb0EEEEDaS16_S17_EUlS16_E_NS1_11comp_targetILNS1_3genE9ELNS1_11target_archE1100ELNS1_3gpuE3ELNS1_3repE0EEENS1_30default_config_static_selectorELNS0_4arch9wavefront6targetE0EEEvT1_,@function
_ZN7rocprim17ROCPRIM_400000_NS6detail17trampoline_kernelINS0_14default_configENS1_25partition_config_selectorILNS1_17partition_subalgoE6EfNS0_10empty_typeEbEEZZNS1_14partition_implILS5_6ELb0ES3_mN6thrust23THRUST_200600_302600_NS6detail15normal_iteratorINSA_10device_ptrIfEEEEPS6_SG_NS0_5tupleIJNSA_16discard_iteratorINSA_11use_defaultEEES6_EEENSH_IJSG_SG_EEES6_PlJNSB_9not_fun_tINSB_14equal_to_valueIfEEEEEEE10hipError_tPvRmT3_T4_T5_T6_T7_T9_mT8_P12ihipStream_tbDpT10_ENKUlT_T0_E_clISt17integral_constantIbLb1EES1A_IbLb0EEEEDaS16_S17_EUlS16_E_NS1_11comp_targetILNS1_3genE9ELNS1_11target_archE1100ELNS1_3gpuE3ELNS1_3repE0EEENS1_30default_config_static_selectorELNS0_4arch9wavefront6targetE0EEEvT1_: ; @_ZN7rocprim17ROCPRIM_400000_NS6detail17trampoline_kernelINS0_14default_configENS1_25partition_config_selectorILNS1_17partition_subalgoE6EfNS0_10empty_typeEbEEZZNS1_14partition_implILS5_6ELb0ES3_mN6thrust23THRUST_200600_302600_NS6detail15normal_iteratorINSA_10device_ptrIfEEEEPS6_SG_NS0_5tupleIJNSA_16discard_iteratorINSA_11use_defaultEEES6_EEENSH_IJSG_SG_EEES6_PlJNSB_9not_fun_tINSB_14equal_to_valueIfEEEEEEE10hipError_tPvRmT3_T4_T5_T6_T7_T9_mT8_P12ihipStream_tbDpT10_ENKUlT_T0_E_clISt17integral_constantIbLb1EES1A_IbLb0EEEEDaS16_S17_EUlS16_E_NS1_11comp_targetILNS1_3genE9ELNS1_11target_archE1100ELNS1_3gpuE3ELNS1_3repE0EEENS1_30default_config_static_selectorELNS0_4arch9wavefront6targetE0EEEvT1_
; %bb.0:
	.section	.rodata,"a",@progbits
	.p2align	6, 0x0
	.amdhsa_kernel _ZN7rocprim17ROCPRIM_400000_NS6detail17trampoline_kernelINS0_14default_configENS1_25partition_config_selectorILNS1_17partition_subalgoE6EfNS0_10empty_typeEbEEZZNS1_14partition_implILS5_6ELb0ES3_mN6thrust23THRUST_200600_302600_NS6detail15normal_iteratorINSA_10device_ptrIfEEEEPS6_SG_NS0_5tupleIJNSA_16discard_iteratorINSA_11use_defaultEEES6_EEENSH_IJSG_SG_EEES6_PlJNSB_9not_fun_tINSB_14equal_to_valueIfEEEEEEE10hipError_tPvRmT3_T4_T5_T6_T7_T9_mT8_P12ihipStream_tbDpT10_ENKUlT_T0_E_clISt17integral_constantIbLb1EES1A_IbLb0EEEEDaS16_S17_EUlS16_E_NS1_11comp_targetILNS1_3genE9ELNS1_11target_archE1100ELNS1_3gpuE3ELNS1_3repE0EEENS1_30default_config_static_selectorELNS0_4arch9wavefront6targetE0EEEvT1_
		.amdhsa_group_segment_fixed_size 0
		.amdhsa_private_segment_fixed_size 0
		.amdhsa_kernarg_size 128
		.amdhsa_user_sgpr_count 2
		.amdhsa_user_sgpr_dispatch_ptr 0
		.amdhsa_user_sgpr_queue_ptr 0
		.amdhsa_user_sgpr_kernarg_segment_ptr 1
		.amdhsa_user_sgpr_dispatch_id 0
		.amdhsa_user_sgpr_private_segment_size 0
		.amdhsa_wavefront_size32 1
		.amdhsa_uses_dynamic_stack 0
		.amdhsa_enable_private_segment 0
		.amdhsa_system_sgpr_workgroup_id_x 1
		.amdhsa_system_sgpr_workgroup_id_y 0
		.amdhsa_system_sgpr_workgroup_id_z 0
		.amdhsa_system_sgpr_workgroup_info 0
		.amdhsa_system_vgpr_workitem_id 0
		.amdhsa_next_free_vgpr 1
		.amdhsa_next_free_sgpr 1
		.amdhsa_reserve_vcc 0
		.amdhsa_float_round_mode_32 0
		.amdhsa_float_round_mode_16_64 0
		.amdhsa_float_denorm_mode_32 3
		.amdhsa_float_denorm_mode_16_64 3
		.amdhsa_fp16_overflow 0
		.amdhsa_workgroup_processor_mode 1
		.amdhsa_memory_ordered 1
		.amdhsa_forward_progress 1
		.amdhsa_inst_pref_size 0
		.amdhsa_round_robin_scheduling 0
		.amdhsa_exception_fp_ieee_invalid_op 0
		.amdhsa_exception_fp_denorm_src 0
		.amdhsa_exception_fp_ieee_div_zero 0
		.amdhsa_exception_fp_ieee_overflow 0
		.amdhsa_exception_fp_ieee_underflow 0
		.amdhsa_exception_fp_ieee_inexact 0
		.amdhsa_exception_int_div_zero 0
	.end_amdhsa_kernel
	.section	.text._ZN7rocprim17ROCPRIM_400000_NS6detail17trampoline_kernelINS0_14default_configENS1_25partition_config_selectorILNS1_17partition_subalgoE6EfNS0_10empty_typeEbEEZZNS1_14partition_implILS5_6ELb0ES3_mN6thrust23THRUST_200600_302600_NS6detail15normal_iteratorINSA_10device_ptrIfEEEEPS6_SG_NS0_5tupleIJNSA_16discard_iteratorINSA_11use_defaultEEES6_EEENSH_IJSG_SG_EEES6_PlJNSB_9not_fun_tINSB_14equal_to_valueIfEEEEEEE10hipError_tPvRmT3_T4_T5_T6_T7_T9_mT8_P12ihipStream_tbDpT10_ENKUlT_T0_E_clISt17integral_constantIbLb1EES1A_IbLb0EEEEDaS16_S17_EUlS16_E_NS1_11comp_targetILNS1_3genE9ELNS1_11target_archE1100ELNS1_3gpuE3ELNS1_3repE0EEENS1_30default_config_static_selectorELNS0_4arch9wavefront6targetE0EEEvT1_,"axG",@progbits,_ZN7rocprim17ROCPRIM_400000_NS6detail17trampoline_kernelINS0_14default_configENS1_25partition_config_selectorILNS1_17partition_subalgoE6EfNS0_10empty_typeEbEEZZNS1_14partition_implILS5_6ELb0ES3_mN6thrust23THRUST_200600_302600_NS6detail15normal_iteratorINSA_10device_ptrIfEEEEPS6_SG_NS0_5tupleIJNSA_16discard_iteratorINSA_11use_defaultEEES6_EEENSH_IJSG_SG_EEES6_PlJNSB_9not_fun_tINSB_14equal_to_valueIfEEEEEEE10hipError_tPvRmT3_T4_T5_T6_T7_T9_mT8_P12ihipStream_tbDpT10_ENKUlT_T0_E_clISt17integral_constantIbLb1EES1A_IbLb0EEEEDaS16_S17_EUlS16_E_NS1_11comp_targetILNS1_3genE9ELNS1_11target_archE1100ELNS1_3gpuE3ELNS1_3repE0EEENS1_30default_config_static_selectorELNS0_4arch9wavefront6targetE0EEEvT1_,comdat
.Lfunc_end1619:
	.size	_ZN7rocprim17ROCPRIM_400000_NS6detail17trampoline_kernelINS0_14default_configENS1_25partition_config_selectorILNS1_17partition_subalgoE6EfNS0_10empty_typeEbEEZZNS1_14partition_implILS5_6ELb0ES3_mN6thrust23THRUST_200600_302600_NS6detail15normal_iteratorINSA_10device_ptrIfEEEEPS6_SG_NS0_5tupleIJNSA_16discard_iteratorINSA_11use_defaultEEES6_EEENSH_IJSG_SG_EEES6_PlJNSB_9not_fun_tINSB_14equal_to_valueIfEEEEEEE10hipError_tPvRmT3_T4_T5_T6_T7_T9_mT8_P12ihipStream_tbDpT10_ENKUlT_T0_E_clISt17integral_constantIbLb1EES1A_IbLb0EEEEDaS16_S17_EUlS16_E_NS1_11comp_targetILNS1_3genE9ELNS1_11target_archE1100ELNS1_3gpuE3ELNS1_3repE0EEENS1_30default_config_static_selectorELNS0_4arch9wavefront6targetE0EEEvT1_, .Lfunc_end1619-_ZN7rocprim17ROCPRIM_400000_NS6detail17trampoline_kernelINS0_14default_configENS1_25partition_config_selectorILNS1_17partition_subalgoE6EfNS0_10empty_typeEbEEZZNS1_14partition_implILS5_6ELb0ES3_mN6thrust23THRUST_200600_302600_NS6detail15normal_iteratorINSA_10device_ptrIfEEEEPS6_SG_NS0_5tupleIJNSA_16discard_iteratorINSA_11use_defaultEEES6_EEENSH_IJSG_SG_EEES6_PlJNSB_9not_fun_tINSB_14equal_to_valueIfEEEEEEE10hipError_tPvRmT3_T4_T5_T6_T7_T9_mT8_P12ihipStream_tbDpT10_ENKUlT_T0_E_clISt17integral_constantIbLb1EES1A_IbLb0EEEEDaS16_S17_EUlS16_E_NS1_11comp_targetILNS1_3genE9ELNS1_11target_archE1100ELNS1_3gpuE3ELNS1_3repE0EEENS1_30default_config_static_selectorELNS0_4arch9wavefront6targetE0EEEvT1_
                                        ; -- End function
	.set _ZN7rocprim17ROCPRIM_400000_NS6detail17trampoline_kernelINS0_14default_configENS1_25partition_config_selectorILNS1_17partition_subalgoE6EfNS0_10empty_typeEbEEZZNS1_14partition_implILS5_6ELb0ES3_mN6thrust23THRUST_200600_302600_NS6detail15normal_iteratorINSA_10device_ptrIfEEEEPS6_SG_NS0_5tupleIJNSA_16discard_iteratorINSA_11use_defaultEEES6_EEENSH_IJSG_SG_EEES6_PlJNSB_9not_fun_tINSB_14equal_to_valueIfEEEEEEE10hipError_tPvRmT3_T4_T5_T6_T7_T9_mT8_P12ihipStream_tbDpT10_ENKUlT_T0_E_clISt17integral_constantIbLb1EES1A_IbLb0EEEEDaS16_S17_EUlS16_E_NS1_11comp_targetILNS1_3genE9ELNS1_11target_archE1100ELNS1_3gpuE3ELNS1_3repE0EEENS1_30default_config_static_selectorELNS0_4arch9wavefront6targetE0EEEvT1_.num_vgpr, 0
	.set _ZN7rocprim17ROCPRIM_400000_NS6detail17trampoline_kernelINS0_14default_configENS1_25partition_config_selectorILNS1_17partition_subalgoE6EfNS0_10empty_typeEbEEZZNS1_14partition_implILS5_6ELb0ES3_mN6thrust23THRUST_200600_302600_NS6detail15normal_iteratorINSA_10device_ptrIfEEEEPS6_SG_NS0_5tupleIJNSA_16discard_iteratorINSA_11use_defaultEEES6_EEENSH_IJSG_SG_EEES6_PlJNSB_9not_fun_tINSB_14equal_to_valueIfEEEEEEE10hipError_tPvRmT3_T4_T5_T6_T7_T9_mT8_P12ihipStream_tbDpT10_ENKUlT_T0_E_clISt17integral_constantIbLb1EES1A_IbLb0EEEEDaS16_S17_EUlS16_E_NS1_11comp_targetILNS1_3genE9ELNS1_11target_archE1100ELNS1_3gpuE3ELNS1_3repE0EEENS1_30default_config_static_selectorELNS0_4arch9wavefront6targetE0EEEvT1_.num_agpr, 0
	.set _ZN7rocprim17ROCPRIM_400000_NS6detail17trampoline_kernelINS0_14default_configENS1_25partition_config_selectorILNS1_17partition_subalgoE6EfNS0_10empty_typeEbEEZZNS1_14partition_implILS5_6ELb0ES3_mN6thrust23THRUST_200600_302600_NS6detail15normal_iteratorINSA_10device_ptrIfEEEEPS6_SG_NS0_5tupleIJNSA_16discard_iteratorINSA_11use_defaultEEES6_EEENSH_IJSG_SG_EEES6_PlJNSB_9not_fun_tINSB_14equal_to_valueIfEEEEEEE10hipError_tPvRmT3_T4_T5_T6_T7_T9_mT8_P12ihipStream_tbDpT10_ENKUlT_T0_E_clISt17integral_constantIbLb1EES1A_IbLb0EEEEDaS16_S17_EUlS16_E_NS1_11comp_targetILNS1_3genE9ELNS1_11target_archE1100ELNS1_3gpuE3ELNS1_3repE0EEENS1_30default_config_static_selectorELNS0_4arch9wavefront6targetE0EEEvT1_.numbered_sgpr, 0
	.set _ZN7rocprim17ROCPRIM_400000_NS6detail17trampoline_kernelINS0_14default_configENS1_25partition_config_selectorILNS1_17partition_subalgoE6EfNS0_10empty_typeEbEEZZNS1_14partition_implILS5_6ELb0ES3_mN6thrust23THRUST_200600_302600_NS6detail15normal_iteratorINSA_10device_ptrIfEEEEPS6_SG_NS0_5tupleIJNSA_16discard_iteratorINSA_11use_defaultEEES6_EEENSH_IJSG_SG_EEES6_PlJNSB_9not_fun_tINSB_14equal_to_valueIfEEEEEEE10hipError_tPvRmT3_T4_T5_T6_T7_T9_mT8_P12ihipStream_tbDpT10_ENKUlT_T0_E_clISt17integral_constantIbLb1EES1A_IbLb0EEEEDaS16_S17_EUlS16_E_NS1_11comp_targetILNS1_3genE9ELNS1_11target_archE1100ELNS1_3gpuE3ELNS1_3repE0EEENS1_30default_config_static_selectorELNS0_4arch9wavefront6targetE0EEEvT1_.num_named_barrier, 0
	.set _ZN7rocprim17ROCPRIM_400000_NS6detail17trampoline_kernelINS0_14default_configENS1_25partition_config_selectorILNS1_17partition_subalgoE6EfNS0_10empty_typeEbEEZZNS1_14partition_implILS5_6ELb0ES3_mN6thrust23THRUST_200600_302600_NS6detail15normal_iteratorINSA_10device_ptrIfEEEEPS6_SG_NS0_5tupleIJNSA_16discard_iteratorINSA_11use_defaultEEES6_EEENSH_IJSG_SG_EEES6_PlJNSB_9not_fun_tINSB_14equal_to_valueIfEEEEEEE10hipError_tPvRmT3_T4_T5_T6_T7_T9_mT8_P12ihipStream_tbDpT10_ENKUlT_T0_E_clISt17integral_constantIbLb1EES1A_IbLb0EEEEDaS16_S17_EUlS16_E_NS1_11comp_targetILNS1_3genE9ELNS1_11target_archE1100ELNS1_3gpuE3ELNS1_3repE0EEENS1_30default_config_static_selectorELNS0_4arch9wavefront6targetE0EEEvT1_.private_seg_size, 0
	.set _ZN7rocprim17ROCPRIM_400000_NS6detail17trampoline_kernelINS0_14default_configENS1_25partition_config_selectorILNS1_17partition_subalgoE6EfNS0_10empty_typeEbEEZZNS1_14partition_implILS5_6ELb0ES3_mN6thrust23THRUST_200600_302600_NS6detail15normal_iteratorINSA_10device_ptrIfEEEEPS6_SG_NS0_5tupleIJNSA_16discard_iteratorINSA_11use_defaultEEES6_EEENSH_IJSG_SG_EEES6_PlJNSB_9not_fun_tINSB_14equal_to_valueIfEEEEEEE10hipError_tPvRmT3_T4_T5_T6_T7_T9_mT8_P12ihipStream_tbDpT10_ENKUlT_T0_E_clISt17integral_constantIbLb1EES1A_IbLb0EEEEDaS16_S17_EUlS16_E_NS1_11comp_targetILNS1_3genE9ELNS1_11target_archE1100ELNS1_3gpuE3ELNS1_3repE0EEENS1_30default_config_static_selectorELNS0_4arch9wavefront6targetE0EEEvT1_.uses_vcc, 0
	.set _ZN7rocprim17ROCPRIM_400000_NS6detail17trampoline_kernelINS0_14default_configENS1_25partition_config_selectorILNS1_17partition_subalgoE6EfNS0_10empty_typeEbEEZZNS1_14partition_implILS5_6ELb0ES3_mN6thrust23THRUST_200600_302600_NS6detail15normal_iteratorINSA_10device_ptrIfEEEEPS6_SG_NS0_5tupleIJNSA_16discard_iteratorINSA_11use_defaultEEES6_EEENSH_IJSG_SG_EEES6_PlJNSB_9not_fun_tINSB_14equal_to_valueIfEEEEEEE10hipError_tPvRmT3_T4_T5_T6_T7_T9_mT8_P12ihipStream_tbDpT10_ENKUlT_T0_E_clISt17integral_constantIbLb1EES1A_IbLb0EEEEDaS16_S17_EUlS16_E_NS1_11comp_targetILNS1_3genE9ELNS1_11target_archE1100ELNS1_3gpuE3ELNS1_3repE0EEENS1_30default_config_static_selectorELNS0_4arch9wavefront6targetE0EEEvT1_.uses_flat_scratch, 0
	.set _ZN7rocprim17ROCPRIM_400000_NS6detail17trampoline_kernelINS0_14default_configENS1_25partition_config_selectorILNS1_17partition_subalgoE6EfNS0_10empty_typeEbEEZZNS1_14partition_implILS5_6ELb0ES3_mN6thrust23THRUST_200600_302600_NS6detail15normal_iteratorINSA_10device_ptrIfEEEEPS6_SG_NS0_5tupleIJNSA_16discard_iteratorINSA_11use_defaultEEES6_EEENSH_IJSG_SG_EEES6_PlJNSB_9not_fun_tINSB_14equal_to_valueIfEEEEEEE10hipError_tPvRmT3_T4_T5_T6_T7_T9_mT8_P12ihipStream_tbDpT10_ENKUlT_T0_E_clISt17integral_constantIbLb1EES1A_IbLb0EEEEDaS16_S17_EUlS16_E_NS1_11comp_targetILNS1_3genE9ELNS1_11target_archE1100ELNS1_3gpuE3ELNS1_3repE0EEENS1_30default_config_static_selectorELNS0_4arch9wavefront6targetE0EEEvT1_.has_dyn_sized_stack, 0
	.set _ZN7rocprim17ROCPRIM_400000_NS6detail17trampoline_kernelINS0_14default_configENS1_25partition_config_selectorILNS1_17partition_subalgoE6EfNS0_10empty_typeEbEEZZNS1_14partition_implILS5_6ELb0ES3_mN6thrust23THRUST_200600_302600_NS6detail15normal_iteratorINSA_10device_ptrIfEEEEPS6_SG_NS0_5tupleIJNSA_16discard_iteratorINSA_11use_defaultEEES6_EEENSH_IJSG_SG_EEES6_PlJNSB_9not_fun_tINSB_14equal_to_valueIfEEEEEEE10hipError_tPvRmT3_T4_T5_T6_T7_T9_mT8_P12ihipStream_tbDpT10_ENKUlT_T0_E_clISt17integral_constantIbLb1EES1A_IbLb0EEEEDaS16_S17_EUlS16_E_NS1_11comp_targetILNS1_3genE9ELNS1_11target_archE1100ELNS1_3gpuE3ELNS1_3repE0EEENS1_30default_config_static_selectorELNS0_4arch9wavefront6targetE0EEEvT1_.has_recursion, 0
	.set _ZN7rocprim17ROCPRIM_400000_NS6detail17trampoline_kernelINS0_14default_configENS1_25partition_config_selectorILNS1_17partition_subalgoE6EfNS0_10empty_typeEbEEZZNS1_14partition_implILS5_6ELb0ES3_mN6thrust23THRUST_200600_302600_NS6detail15normal_iteratorINSA_10device_ptrIfEEEEPS6_SG_NS0_5tupleIJNSA_16discard_iteratorINSA_11use_defaultEEES6_EEENSH_IJSG_SG_EEES6_PlJNSB_9not_fun_tINSB_14equal_to_valueIfEEEEEEE10hipError_tPvRmT3_T4_T5_T6_T7_T9_mT8_P12ihipStream_tbDpT10_ENKUlT_T0_E_clISt17integral_constantIbLb1EES1A_IbLb0EEEEDaS16_S17_EUlS16_E_NS1_11comp_targetILNS1_3genE9ELNS1_11target_archE1100ELNS1_3gpuE3ELNS1_3repE0EEENS1_30default_config_static_selectorELNS0_4arch9wavefront6targetE0EEEvT1_.has_indirect_call, 0
	.section	.AMDGPU.csdata,"",@progbits
; Kernel info:
; codeLenInByte = 0
; TotalNumSgprs: 0
; NumVgprs: 0
; ScratchSize: 0
; MemoryBound: 0
; FloatMode: 240
; IeeeMode: 1
; LDSByteSize: 0 bytes/workgroup (compile time only)
; SGPRBlocks: 0
; VGPRBlocks: 0
; NumSGPRsForWavesPerEU: 1
; NumVGPRsForWavesPerEU: 1
; Occupancy: 16
; WaveLimiterHint : 0
; COMPUTE_PGM_RSRC2:SCRATCH_EN: 0
; COMPUTE_PGM_RSRC2:USER_SGPR: 2
; COMPUTE_PGM_RSRC2:TRAP_HANDLER: 0
; COMPUTE_PGM_RSRC2:TGID_X_EN: 1
; COMPUTE_PGM_RSRC2:TGID_Y_EN: 0
; COMPUTE_PGM_RSRC2:TGID_Z_EN: 0
; COMPUTE_PGM_RSRC2:TIDIG_COMP_CNT: 0
	.section	.text._ZN7rocprim17ROCPRIM_400000_NS6detail17trampoline_kernelINS0_14default_configENS1_25partition_config_selectorILNS1_17partition_subalgoE6EfNS0_10empty_typeEbEEZZNS1_14partition_implILS5_6ELb0ES3_mN6thrust23THRUST_200600_302600_NS6detail15normal_iteratorINSA_10device_ptrIfEEEEPS6_SG_NS0_5tupleIJNSA_16discard_iteratorINSA_11use_defaultEEES6_EEENSH_IJSG_SG_EEES6_PlJNSB_9not_fun_tINSB_14equal_to_valueIfEEEEEEE10hipError_tPvRmT3_T4_T5_T6_T7_T9_mT8_P12ihipStream_tbDpT10_ENKUlT_T0_E_clISt17integral_constantIbLb1EES1A_IbLb0EEEEDaS16_S17_EUlS16_E_NS1_11comp_targetILNS1_3genE8ELNS1_11target_archE1030ELNS1_3gpuE2ELNS1_3repE0EEENS1_30default_config_static_selectorELNS0_4arch9wavefront6targetE0EEEvT1_,"axG",@progbits,_ZN7rocprim17ROCPRIM_400000_NS6detail17trampoline_kernelINS0_14default_configENS1_25partition_config_selectorILNS1_17partition_subalgoE6EfNS0_10empty_typeEbEEZZNS1_14partition_implILS5_6ELb0ES3_mN6thrust23THRUST_200600_302600_NS6detail15normal_iteratorINSA_10device_ptrIfEEEEPS6_SG_NS0_5tupleIJNSA_16discard_iteratorINSA_11use_defaultEEES6_EEENSH_IJSG_SG_EEES6_PlJNSB_9not_fun_tINSB_14equal_to_valueIfEEEEEEE10hipError_tPvRmT3_T4_T5_T6_T7_T9_mT8_P12ihipStream_tbDpT10_ENKUlT_T0_E_clISt17integral_constantIbLb1EES1A_IbLb0EEEEDaS16_S17_EUlS16_E_NS1_11comp_targetILNS1_3genE8ELNS1_11target_archE1030ELNS1_3gpuE2ELNS1_3repE0EEENS1_30default_config_static_selectorELNS0_4arch9wavefront6targetE0EEEvT1_,comdat
	.protected	_ZN7rocprim17ROCPRIM_400000_NS6detail17trampoline_kernelINS0_14default_configENS1_25partition_config_selectorILNS1_17partition_subalgoE6EfNS0_10empty_typeEbEEZZNS1_14partition_implILS5_6ELb0ES3_mN6thrust23THRUST_200600_302600_NS6detail15normal_iteratorINSA_10device_ptrIfEEEEPS6_SG_NS0_5tupleIJNSA_16discard_iteratorINSA_11use_defaultEEES6_EEENSH_IJSG_SG_EEES6_PlJNSB_9not_fun_tINSB_14equal_to_valueIfEEEEEEE10hipError_tPvRmT3_T4_T5_T6_T7_T9_mT8_P12ihipStream_tbDpT10_ENKUlT_T0_E_clISt17integral_constantIbLb1EES1A_IbLb0EEEEDaS16_S17_EUlS16_E_NS1_11comp_targetILNS1_3genE8ELNS1_11target_archE1030ELNS1_3gpuE2ELNS1_3repE0EEENS1_30default_config_static_selectorELNS0_4arch9wavefront6targetE0EEEvT1_ ; -- Begin function _ZN7rocprim17ROCPRIM_400000_NS6detail17trampoline_kernelINS0_14default_configENS1_25partition_config_selectorILNS1_17partition_subalgoE6EfNS0_10empty_typeEbEEZZNS1_14partition_implILS5_6ELb0ES3_mN6thrust23THRUST_200600_302600_NS6detail15normal_iteratorINSA_10device_ptrIfEEEEPS6_SG_NS0_5tupleIJNSA_16discard_iteratorINSA_11use_defaultEEES6_EEENSH_IJSG_SG_EEES6_PlJNSB_9not_fun_tINSB_14equal_to_valueIfEEEEEEE10hipError_tPvRmT3_T4_T5_T6_T7_T9_mT8_P12ihipStream_tbDpT10_ENKUlT_T0_E_clISt17integral_constantIbLb1EES1A_IbLb0EEEEDaS16_S17_EUlS16_E_NS1_11comp_targetILNS1_3genE8ELNS1_11target_archE1030ELNS1_3gpuE2ELNS1_3repE0EEENS1_30default_config_static_selectorELNS0_4arch9wavefront6targetE0EEEvT1_
	.globl	_ZN7rocprim17ROCPRIM_400000_NS6detail17trampoline_kernelINS0_14default_configENS1_25partition_config_selectorILNS1_17partition_subalgoE6EfNS0_10empty_typeEbEEZZNS1_14partition_implILS5_6ELb0ES3_mN6thrust23THRUST_200600_302600_NS6detail15normal_iteratorINSA_10device_ptrIfEEEEPS6_SG_NS0_5tupleIJNSA_16discard_iteratorINSA_11use_defaultEEES6_EEENSH_IJSG_SG_EEES6_PlJNSB_9not_fun_tINSB_14equal_to_valueIfEEEEEEE10hipError_tPvRmT3_T4_T5_T6_T7_T9_mT8_P12ihipStream_tbDpT10_ENKUlT_T0_E_clISt17integral_constantIbLb1EES1A_IbLb0EEEEDaS16_S17_EUlS16_E_NS1_11comp_targetILNS1_3genE8ELNS1_11target_archE1030ELNS1_3gpuE2ELNS1_3repE0EEENS1_30default_config_static_selectorELNS0_4arch9wavefront6targetE0EEEvT1_
	.p2align	8
	.type	_ZN7rocprim17ROCPRIM_400000_NS6detail17trampoline_kernelINS0_14default_configENS1_25partition_config_selectorILNS1_17partition_subalgoE6EfNS0_10empty_typeEbEEZZNS1_14partition_implILS5_6ELb0ES3_mN6thrust23THRUST_200600_302600_NS6detail15normal_iteratorINSA_10device_ptrIfEEEEPS6_SG_NS0_5tupleIJNSA_16discard_iteratorINSA_11use_defaultEEES6_EEENSH_IJSG_SG_EEES6_PlJNSB_9not_fun_tINSB_14equal_to_valueIfEEEEEEE10hipError_tPvRmT3_T4_T5_T6_T7_T9_mT8_P12ihipStream_tbDpT10_ENKUlT_T0_E_clISt17integral_constantIbLb1EES1A_IbLb0EEEEDaS16_S17_EUlS16_E_NS1_11comp_targetILNS1_3genE8ELNS1_11target_archE1030ELNS1_3gpuE2ELNS1_3repE0EEENS1_30default_config_static_selectorELNS0_4arch9wavefront6targetE0EEEvT1_,@function
_ZN7rocprim17ROCPRIM_400000_NS6detail17trampoline_kernelINS0_14default_configENS1_25partition_config_selectorILNS1_17partition_subalgoE6EfNS0_10empty_typeEbEEZZNS1_14partition_implILS5_6ELb0ES3_mN6thrust23THRUST_200600_302600_NS6detail15normal_iteratorINSA_10device_ptrIfEEEEPS6_SG_NS0_5tupleIJNSA_16discard_iteratorINSA_11use_defaultEEES6_EEENSH_IJSG_SG_EEES6_PlJNSB_9not_fun_tINSB_14equal_to_valueIfEEEEEEE10hipError_tPvRmT3_T4_T5_T6_T7_T9_mT8_P12ihipStream_tbDpT10_ENKUlT_T0_E_clISt17integral_constantIbLb1EES1A_IbLb0EEEEDaS16_S17_EUlS16_E_NS1_11comp_targetILNS1_3genE8ELNS1_11target_archE1030ELNS1_3gpuE2ELNS1_3repE0EEENS1_30default_config_static_selectorELNS0_4arch9wavefront6targetE0EEEvT1_: ; @_ZN7rocprim17ROCPRIM_400000_NS6detail17trampoline_kernelINS0_14default_configENS1_25partition_config_selectorILNS1_17partition_subalgoE6EfNS0_10empty_typeEbEEZZNS1_14partition_implILS5_6ELb0ES3_mN6thrust23THRUST_200600_302600_NS6detail15normal_iteratorINSA_10device_ptrIfEEEEPS6_SG_NS0_5tupleIJNSA_16discard_iteratorINSA_11use_defaultEEES6_EEENSH_IJSG_SG_EEES6_PlJNSB_9not_fun_tINSB_14equal_to_valueIfEEEEEEE10hipError_tPvRmT3_T4_T5_T6_T7_T9_mT8_P12ihipStream_tbDpT10_ENKUlT_T0_E_clISt17integral_constantIbLb1EES1A_IbLb0EEEEDaS16_S17_EUlS16_E_NS1_11comp_targetILNS1_3genE8ELNS1_11target_archE1030ELNS1_3gpuE2ELNS1_3repE0EEENS1_30default_config_static_selectorELNS0_4arch9wavefront6targetE0EEEvT1_
; %bb.0:
	.section	.rodata,"a",@progbits
	.p2align	6, 0x0
	.amdhsa_kernel _ZN7rocprim17ROCPRIM_400000_NS6detail17trampoline_kernelINS0_14default_configENS1_25partition_config_selectorILNS1_17partition_subalgoE6EfNS0_10empty_typeEbEEZZNS1_14partition_implILS5_6ELb0ES3_mN6thrust23THRUST_200600_302600_NS6detail15normal_iteratorINSA_10device_ptrIfEEEEPS6_SG_NS0_5tupleIJNSA_16discard_iteratorINSA_11use_defaultEEES6_EEENSH_IJSG_SG_EEES6_PlJNSB_9not_fun_tINSB_14equal_to_valueIfEEEEEEE10hipError_tPvRmT3_T4_T5_T6_T7_T9_mT8_P12ihipStream_tbDpT10_ENKUlT_T0_E_clISt17integral_constantIbLb1EES1A_IbLb0EEEEDaS16_S17_EUlS16_E_NS1_11comp_targetILNS1_3genE8ELNS1_11target_archE1030ELNS1_3gpuE2ELNS1_3repE0EEENS1_30default_config_static_selectorELNS0_4arch9wavefront6targetE0EEEvT1_
		.amdhsa_group_segment_fixed_size 0
		.amdhsa_private_segment_fixed_size 0
		.amdhsa_kernarg_size 128
		.amdhsa_user_sgpr_count 2
		.amdhsa_user_sgpr_dispatch_ptr 0
		.amdhsa_user_sgpr_queue_ptr 0
		.amdhsa_user_sgpr_kernarg_segment_ptr 1
		.amdhsa_user_sgpr_dispatch_id 0
		.amdhsa_user_sgpr_private_segment_size 0
		.amdhsa_wavefront_size32 1
		.amdhsa_uses_dynamic_stack 0
		.amdhsa_enable_private_segment 0
		.amdhsa_system_sgpr_workgroup_id_x 1
		.amdhsa_system_sgpr_workgroup_id_y 0
		.amdhsa_system_sgpr_workgroup_id_z 0
		.amdhsa_system_sgpr_workgroup_info 0
		.amdhsa_system_vgpr_workitem_id 0
		.amdhsa_next_free_vgpr 1
		.amdhsa_next_free_sgpr 1
		.amdhsa_reserve_vcc 0
		.amdhsa_float_round_mode_32 0
		.amdhsa_float_round_mode_16_64 0
		.amdhsa_float_denorm_mode_32 3
		.amdhsa_float_denorm_mode_16_64 3
		.amdhsa_fp16_overflow 0
		.amdhsa_workgroup_processor_mode 1
		.amdhsa_memory_ordered 1
		.amdhsa_forward_progress 1
		.amdhsa_inst_pref_size 0
		.amdhsa_round_robin_scheduling 0
		.amdhsa_exception_fp_ieee_invalid_op 0
		.amdhsa_exception_fp_denorm_src 0
		.amdhsa_exception_fp_ieee_div_zero 0
		.amdhsa_exception_fp_ieee_overflow 0
		.amdhsa_exception_fp_ieee_underflow 0
		.amdhsa_exception_fp_ieee_inexact 0
		.amdhsa_exception_int_div_zero 0
	.end_amdhsa_kernel
	.section	.text._ZN7rocprim17ROCPRIM_400000_NS6detail17trampoline_kernelINS0_14default_configENS1_25partition_config_selectorILNS1_17partition_subalgoE6EfNS0_10empty_typeEbEEZZNS1_14partition_implILS5_6ELb0ES3_mN6thrust23THRUST_200600_302600_NS6detail15normal_iteratorINSA_10device_ptrIfEEEEPS6_SG_NS0_5tupleIJNSA_16discard_iteratorINSA_11use_defaultEEES6_EEENSH_IJSG_SG_EEES6_PlJNSB_9not_fun_tINSB_14equal_to_valueIfEEEEEEE10hipError_tPvRmT3_T4_T5_T6_T7_T9_mT8_P12ihipStream_tbDpT10_ENKUlT_T0_E_clISt17integral_constantIbLb1EES1A_IbLb0EEEEDaS16_S17_EUlS16_E_NS1_11comp_targetILNS1_3genE8ELNS1_11target_archE1030ELNS1_3gpuE2ELNS1_3repE0EEENS1_30default_config_static_selectorELNS0_4arch9wavefront6targetE0EEEvT1_,"axG",@progbits,_ZN7rocprim17ROCPRIM_400000_NS6detail17trampoline_kernelINS0_14default_configENS1_25partition_config_selectorILNS1_17partition_subalgoE6EfNS0_10empty_typeEbEEZZNS1_14partition_implILS5_6ELb0ES3_mN6thrust23THRUST_200600_302600_NS6detail15normal_iteratorINSA_10device_ptrIfEEEEPS6_SG_NS0_5tupleIJNSA_16discard_iteratorINSA_11use_defaultEEES6_EEENSH_IJSG_SG_EEES6_PlJNSB_9not_fun_tINSB_14equal_to_valueIfEEEEEEE10hipError_tPvRmT3_T4_T5_T6_T7_T9_mT8_P12ihipStream_tbDpT10_ENKUlT_T0_E_clISt17integral_constantIbLb1EES1A_IbLb0EEEEDaS16_S17_EUlS16_E_NS1_11comp_targetILNS1_3genE8ELNS1_11target_archE1030ELNS1_3gpuE2ELNS1_3repE0EEENS1_30default_config_static_selectorELNS0_4arch9wavefront6targetE0EEEvT1_,comdat
.Lfunc_end1620:
	.size	_ZN7rocprim17ROCPRIM_400000_NS6detail17trampoline_kernelINS0_14default_configENS1_25partition_config_selectorILNS1_17partition_subalgoE6EfNS0_10empty_typeEbEEZZNS1_14partition_implILS5_6ELb0ES3_mN6thrust23THRUST_200600_302600_NS6detail15normal_iteratorINSA_10device_ptrIfEEEEPS6_SG_NS0_5tupleIJNSA_16discard_iteratorINSA_11use_defaultEEES6_EEENSH_IJSG_SG_EEES6_PlJNSB_9not_fun_tINSB_14equal_to_valueIfEEEEEEE10hipError_tPvRmT3_T4_T5_T6_T7_T9_mT8_P12ihipStream_tbDpT10_ENKUlT_T0_E_clISt17integral_constantIbLb1EES1A_IbLb0EEEEDaS16_S17_EUlS16_E_NS1_11comp_targetILNS1_3genE8ELNS1_11target_archE1030ELNS1_3gpuE2ELNS1_3repE0EEENS1_30default_config_static_selectorELNS0_4arch9wavefront6targetE0EEEvT1_, .Lfunc_end1620-_ZN7rocprim17ROCPRIM_400000_NS6detail17trampoline_kernelINS0_14default_configENS1_25partition_config_selectorILNS1_17partition_subalgoE6EfNS0_10empty_typeEbEEZZNS1_14partition_implILS5_6ELb0ES3_mN6thrust23THRUST_200600_302600_NS6detail15normal_iteratorINSA_10device_ptrIfEEEEPS6_SG_NS0_5tupleIJNSA_16discard_iteratorINSA_11use_defaultEEES6_EEENSH_IJSG_SG_EEES6_PlJNSB_9not_fun_tINSB_14equal_to_valueIfEEEEEEE10hipError_tPvRmT3_T4_T5_T6_T7_T9_mT8_P12ihipStream_tbDpT10_ENKUlT_T0_E_clISt17integral_constantIbLb1EES1A_IbLb0EEEEDaS16_S17_EUlS16_E_NS1_11comp_targetILNS1_3genE8ELNS1_11target_archE1030ELNS1_3gpuE2ELNS1_3repE0EEENS1_30default_config_static_selectorELNS0_4arch9wavefront6targetE0EEEvT1_
                                        ; -- End function
	.set _ZN7rocprim17ROCPRIM_400000_NS6detail17trampoline_kernelINS0_14default_configENS1_25partition_config_selectorILNS1_17partition_subalgoE6EfNS0_10empty_typeEbEEZZNS1_14partition_implILS5_6ELb0ES3_mN6thrust23THRUST_200600_302600_NS6detail15normal_iteratorINSA_10device_ptrIfEEEEPS6_SG_NS0_5tupleIJNSA_16discard_iteratorINSA_11use_defaultEEES6_EEENSH_IJSG_SG_EEES6_PlJNSB_9not_fun_tINSB_14equal_to_valueIfEEEEEEE10hipError_tPvRmT3_T4_T5_T6_T7_T9_mT8_P12ihipStream_tbDpT10_ENKUlT_T0_E_clISt17integral_constantIbLb1EES1A_IbLb0EEEEDaS16_S17_EUlS16_E_NS1_11comp_targetILNS1_3genE8ELNS1_11target_archE1030ELNS1_3gpuE2ELNS1_3repE0EEENS1_30default_config_static_selectorELNS0_4arch9wavefront6targetE0EEEvT1_.num_vgpr, 0
	.set _ZN7rocprim17ROCPRIM_400000_NS6detail17trampoline_kernelINS0_14default_configENS1_25partition_config_selectorILNS1_17partition_subalgoE6EfNS0_10empty_typeEbEEZZNS1_14partition_implILS5_6ELb0ES3_mN6thrust23THRUST_200600_302600_NS6detail15normal_iteratorINSA_10device_ptrIfEEEEPS6_SG_NS0_5tupleIJNSA_16discard_iteratorINSA_11use_defaultEEES6_EEENSH_IJSG_SG_EEES6_PlJNSB_9not_fun_tINSB_14equal_to_valueIfEEEEEEE10hipError_tPvRmT3_T4_T5_T6_T7_T9_mT8_P12ihipStream_tbDpT10_ENKUlT_T0_E_clISt17integral_constantIbLb1EES1A_IbLb0EEEEDaS16_S17_EUlS16_E_NS1_11comp_targetILNS1_3genE8ELNS1_11target_archE1030ELNS1_3gpuE2ELNS1_3repE0EEENS1_30default_config_static_selectorELNS0_4arch9wavefront6targetE0EEEvT1_.num_agpr, 0
	.set _ZN7rocprim17ROCPRIM_400000_NS6detail17trampoline_kernelINS0_14default_configENS1_25partition_config_selectorILNS1_17partition_subalgoE6EfNS0_10empty_typeEbEEZZNS1_14partition_implILS5_6ELb0ES3_mN6thrust23THRUST_200600_302600_NS6detail15normal_iteratorINSA_10device_ptrIfEEEEPS6_SG_NS0_5tupleIJNSA_16discard_iteratorINSA_11use_defaultEEES6_EEENSH_IJSG_SG_EEES6_PlJNSB_9not_fun_tINSB_14equal_to_valueIfEEEEEEE10hipError_tPvRmT3_T4_T5_T6_T7_T9_mT8_P12ihipStream_tbDpT10_ENKUlT_T0_E_clISt17integral_constantIbLb1EES1A_IbLb0EEEEDaS16_S17_EUlS16_E_NS1_11comp_targetILNS1_3genE8ELNS1_11target_archE1030ELNS1_3gpuE2ELNS1_3repE0EEENS1_30default_config_static_selectorELNS0_4arch9wavefront6targetE0EEEvT1_.numbered_sgpr, 0
	.set _ZN7rocprim17ROCPRIM_400000_NS6detail17trampoline_kernelINS0_14default_configENS1_25partition_config_selectorILNS1_17partition_subalgoE6EfNS0_10empty_typeEbEEZZNS1_14partition_implILS5_6ELb0ES3_mN6thrust23THRUST_200600_302600_NS6detail15normal_iteratorINSA_10device_ptrIfEEEEPS6_SG_NS0_5tupleIJNSA_16discard_iteratorINSA_11use_defaultEEES6_EEENSH_IJSG_SG_EEES6_PlJNSB_9not_fun_tINSB_14equal_to_valueIfEEEEEEE10hipError_tPvRmT3_T4_T5_T6_T7_T9_mT8_P12ihipStream_tbDpT10_ENKUlT_T0_E_clISt17integral_constantIbLb1EES1A_IbLb0EEEEDaS16_S17_EUlS16_E_NS1_11comp_targetILNS1_3genE8ELNS1_11target_archE1030ELNS1_3gpuE2ELNS1_3repE0EEENS1_30default_config_static_selectorELNS0_4arch9wavefront6targetE0EEEvT1_.num_named_barrier, 0
	.set _ZN7rocprim17ROCPRIM_400000_NS6detail17trampoline_kernelINS0_14default_configENS1_25partition_config_selectorILNS1_17partition_subalgoE6EfNS0_10empty_typeEbEEZZNS1_14partition_implILS5_6ELb0ES3_mN6thrust23THRUST_200600_302600_NS6detail15normal_iteratorINSA_10device_ptrIfEEEEPS6_SG_NS0_5tupleIJNSA_16discard_iteratorINSA_11use_defaultEEES6_EEENSH_IJSG_SG_EEES6_PlJNSB_9not_fun_tINSB_14equal_to_valueIfEEEEEEE10hipError_tPvRmT3_T4_T5_T6_T7_T9_mT8_P12ihipStream_tbDpT10_ENKUlT_T0_E_clISt17integral_constantIbLb1EES1A_IbLb0EEEEDaS16_S17_EUlS16_E_NS1_11comp_targetILNS1_3genE8ELNS1_11target_archE1030ELNS1_3gpuE2ELNS1_3repE0EEENS1_30default_config_static_selectorELNS0_4arch9wavefront6targetE0EEEvT1_.private_seg_size, 0
	.set _ZN7rocprim17ROCPRIM_400000_NS6detail17trampoline_kernelINS0_14default_configENS1_25partition_config_selectorILNS1_17partition_subalgoE6EfNS0_10empty_typeEbEEZZNS1_14partition_implILS5_6ELb0ES3_mN6thrust23THRUST_200600_302600_NS6detail15normal_iteratorINSA_10device_ptrIfEEEEPS6_SG_NS0_5tupleIJNSA_16discard_iteratorINSA_11use_defaultEEES6_EEENSH_IJSG_SG_EEES6_PlJNSB_9not_fun_tINSB_14equal_to_valueIfEEEEEEE10hipError_tPvRmT3_T4_T5_T6_T7_T9_mT8_P12ihipStream_tbDpT10_ENKUlT_T0_E_clISt17integral_constantIbLb1EES1A_IbLb0EEEEDaS16_S17_EUlS16_E_NS1_11comp_targetILNS1_3genE8ELNS1_11target_archE1030ELNS1_3gpuE2ELNS1_3repE0EEENS1_30default_config_static_selectorELNS0_4arch9wavefront6targetE0EEEvT1_.uses_vcc, 0
	.set _ZN7rocprim17ROCPRIM_400000_NS6detail17trampoline_kernelINS0_14default_configENS1_25partition_config_selectorILNS1_17partition_subalgoE6EfNS0_10empty_typeEbEEZZNS1_14partition_implILS5_6ELb0ES3_mN6thrust23THRUST_200600_302600_NS6detail15normal_iteratorINSA_10device_ptrIfEEEEPS6_SG_NS0_5tupleIJNSA_16discard_iteratorINSA_11use_defaultEEES6_EEENSH_IJSG_SG_EEES6_PlJNSB_9not_fun_tINSB_14equal_to_valueIfEEEEEEE10hipError_tPvRmT3_T4_T5_T6_T7_T9_mT8_P12ihipStream_tbDpT10_ENKUlT_T0_E_clISt17integral_constantIbLb1EES1A_IbLb0EEEEDaS16_S17_EUlS16_E_NS1_11comp_targetILNS1_3genE8ELNS1_11target_archE1030ELNS1_3gpuE2ELNS1_3repE0EEENS1_30default_config_static_selectorELNS0_4arch9wavefront6targetE0EEEvT1_.uses_flat_scratch, 0
	.set _ZN7rocprim17ROCPRIM_400000_NS6detail17trampoline_kernelINS0_14default_configENS1_25partition_config_selectorILNS1_17partition_subalgoE6EfNS0_10empty_typeEbEEZZNS1_14partition_implILS5_6ELb0ES3_mN6thrust23THRUST_200600_302600_NS6detail15normal_iteratorINSA_10device_ptrIfEEEEPS6_SG_NS0_5tupleIJNSA_16discard_iteratorINSA_11use_defaultEEES6_EEENSH_IJSG_SG_EEES6_PlJNSB_9not_fun_tINSB_14equal_to_valueIfEEEEEEE10hipError_tPvRmT3_T4_T5_T6_T7_T9_mT8_P12ihipStream_tbDpT10_ENKUlT_T0_E_clISt17integral_constantIbLb1EES1A_IbLb0EEEEDaS16_S17_EUlS16_E_NS1_11comp_targetILNS1_3genE8ELNS1_11target_archE1030ELNS1_3gpuE2ELNS1_3repE0EEENS1_30default_config_static_selectorELNS0_4arch9wavefront6targetE0EEEvT1_.has_dyn_sized_stack, 0
	.set _ZN7rocprim17ROCPRIM_400000_NS6detail17trampoline_kernelINS0_14default_configENS1_25partition_config_selectorILNS1_17partition_subalgoE6EfNS0_10empty_typeEbEEZZNS1_14partition_implILS5_6ELb0ES3_mN6thrust23THRUST_200600_302600_NS6detail15normal_iteratorINSA_10device_ptrIfEEEEPS6_SG_NS0_5tupleIJNSA_16discard_iteratorINSA_11use_defaultEEES6_EEENSH_IJSG_SG_EEES6_PlJNSB_9not_fun_tINSB_14equal_to_valueIfEEEEEEE10hipError_tPvRmT3_T4_T5_T6_T7_T9_mT8_P12ihipStream_tbDpT10_ENKUlT_T0_E_clISt17integral_constantIbLb1EES1A_IbLb0EEEEDaS16_S17_EUlS16_E_NS1_11comp_targetILNS1_3genE8ELNS1_11target_archE1030ELNS1_3gpuE2ELNS1_3repE0EEENS1_30default_config_static_selectorELNS0_4arch9wavefront6targetE0EEEvT1_.has_recursion, 0
	.set _ZN7rocprim17ROCPRIM_400000_NS6detail17trampoline_kernelINS0_14default_configENS1_25partition_config_selectorILNS1_17partition_subalgoE6EfNS0_10empty_typeEbEEZZNS1_14partition_implILS5_6ELb0ES3_mN6thrust23THRUST_200600_302600_NS6detail15normal_iteratorINSA_10device_ptrIfEEEEPS6_SG_NS0_5tupleIJNSA_16discard_iteratorINSA_11use_defaultEEES6_EEENSH_IJSG_SG_EEES6_PlJNSB_9not_fun_tINSB_14equal_to_valueIfEEEEEEE10hipError_tPvRmT3_T4_T5_T6_T7_T9_mT8_P12ihipStream_tbDpT10_ENKUlT_T0_E_clISt17integral_constantIbLb1EES1A_IbLb0EEEEDaS16_S17_EUlS16_E_NS1_11comp_targetILNS1_3genE8ELNS1_11target_archE1030ELNS1_3gpuE2ELNS1_3repE0EEENS1_30default_config_static_selectorELNS0_4arch9wavefront6targetE0EEEvT1_.has_indirect_call, 0
	.section	.AMDGPU.csdata,"",@progbits
; Kernel info:
; codeLenInByte = 0
; TotalNumSgprs: 0
; NumVgprs: 0
; ScratchSize: 0
; MemoryBound: 0
; FloatMode: 240
; IeeeMode: 1
; LDSByteSize: 0 bytes/workgroup (compile time only)
; SGPRBlocks: 0
; VGPRBlocks: 0
; NumSGPRsForWavesPerEU: 1
; NumVGPRsForWavesPerEU: 1
; Occupancy: 16
; WaveLimiterHint : 0
; COMPUTE_PGM_RSRC2:SCRATCH_EN: 0
; COMPUTE_PGM_RSRC2:USER_SGPR: 2
; COMPUTE_PGM_RSRC2:TRAP_HANDLER: 0
; COMPUTE_PGM_RSRC2:TGID_X_EN: 1
; COMPUTE_PGM_RSRC2:TGID_Y_EN: 0
; COMPUTE_PGM_RSRC2:TGID_Z_EN: 0
; COMPUTE_PGM_RSRC2:TIDIG_COMP_CNT: 0
	.section	.text._ZN7rocprim17ROCPRIM_400000_NS6detail17trampoline_kernelINS0_14default_configENS1_25partition_config_selectorILNS1_17partition_subalgoE6EfNS0_10empty_typeEbEEZZNS1_14partition_implILS5_6ELb0ES3_mN6thrust23THRUST_200600_302600_NS6detail15normal_iteratorINSA_10device_ptrIfEEEEPS6_SG_NS0_5tupleIJNSA_16discard_iteratorINSA_11use_defaultEEES6_EEENSH_IJSG_SG_EEES6_PlJNSB_9not_fun_tINSB_14equal_to_valueIfEEEEEEE10hipError_tPvRmT3_T4_T5_T6_T7_T9_mT8_P12ihipStream_tbDpT10_ENKUlT_T0_E_clISt17integral_constantIbLb0EES1A_IbLb1EEEEDaS16_S17_EUlS16_E_NS1_11comp_targetILNS1_3genE0ELNS1_11target_archE4294967295ELNS1_3gpuE0ELNS1_3repE0EEENS1_30default_config_static_selectorELNS0_4arch9wavefront6targetE0EEEvT1_,"axG",@progbits,_ZN7rocprim17ROCPRIM_400000_NS6detail17trampoline_kernelINS0_14default_configENS1_25partition_config_selectorILNS1_17partition_subalgoE6EfNS0_10empty_typeEbEEZZNS1_14partition_implILS5_6ELb0ES3_mN6thrust23THRUST_200600_302600_NS6detail15normal_iteratorINSA_10device_ptrIfEEEEPS6_SG_NS0_5tupleIJNSA_16discard_iteratorINSA_11use_defaultEEES6_EEENSH_IJSG_SG_EEES6_PlJNSB_9not_fun_tINSB_14equal_to_valueIfEEEEEEE10hipError_tPvRmT3_T4_T5_T6_T7_T9_mT8_P12ihipStream_tbDpT10_ENKUlT_T0_E_clISt17integral_constantIbLb0EES1A_IbLb1EEEEDaS16_S17_EUlS16_E_NS1_11comp_targetILNS1_3genE0ELNS1_11target_archE4294967295ELNS1_3gpuE0ELNS1_3repE0EEENS1_30default_config_static_selectorELNS0_4arch9wavefront6targetE0EEEvT1_,comdat
	.protected	_ZN7rocprim17ROCPRIM_400000_NS6detail17trampoline_kernelINS0_14default_configENS1_25partition_config_selectorILNS1_17partition_subalgoE6EfNS0_10empty_typeEbEEZZNS1_14partition_implILS5_6ELb0ES3_mN6thrust23THRUST_200600_302600_NS6detail15normal_iteratorINSA_10device_ptrIfEEEEPS6_SG_NS0_5tupleIJNSA_16discard_iteratorINSA_11use_defaultEEES6_EEENSH_IJSG_SG_EEES6_PlJNSB_9not_fun_tINSB_14equal_to_valueIfEEEEEEE10hipError_tPvRmT3_T4_T5_T6_T7_T9_mT8_P12ihipStream_tbDpT10_ENKUlT_T0_E_clISt17integral_constantIbLb0EES1A_IbLb1EEEEDaS16_S17_EUlS16_E_NS1_11comp_targetILNS1_3genE0ELNS1_11target_archE4294967295ELNS1_3gpuE0ELNS1_3repE0EEENS1_30default_config_static_selectorELNS0_4arch9wavefront6targetE0EEEvT1_ ; -- Begin function _ZN7rocprim17ROCPRIM_400000_NS6detail17trampoline_kernelINS0_14default_configENS1_25partition_config_selectorILNS1_17partition_subalgoE6EfNS0_10empty_typeEbEEZZNS1_14partition_implILS5_6ELb0ES3_mN6thrust23THRUST_200600_302600_NS6detail15normal_iteratorINSA_10device_ptrIfEEEEPS6_SG_NS0_5tupleIJNSA_16discard_iteratorINSA_11use_defaultEEES6_EEENSH_IJSG_SG_EEES6_PlJNSB_9not_fun_tINSB_14equal_to_valueIfEEEEEEE10hipError_tPvRmT3_T4_T5_T6_T7_T9_mT8_P12ihipStream_tbDpT10_ENKUlT_T0_E_clISt17integral_constantIbLb0EES1A_IbLb1EEEEDaS16_S17_EUlS16_E_NS1_11comp_targetILNS1_3genE0ELNS1_11target_archE4294967295ELNS1_3gpuE0ELNS1_3repE0EEENS1_30default_config_static_selectorELNS0_4arch9wavefront6targetE0EEEvT1_
	.globl	_ZN7rocprim17ROCPRIM_400000_NS6detail17trampoline_kernelINS0_14default_configENS1_25partition_config_selectorILNS1_17partition_subalgoE6EfNS0_10empty_typeEbEEZZNS1_14partition_implILS5_6ELb0ES3_mN6thrust23THRUST_200600_302600_NS6detail15normal_iteratorINSA_10device_ptrIfEEEEPS6_SG_NS0_5tupleIJNSA_16discard_iteratorINSA_11use_defaultEEES6_EEENSH_IJSG_SG_EEES6_PlJNSB_9not_fun_tINSB_14equal_to_valueIfEEEEEEE10hipError_tPvRmT3_T4_T5_T6_T7_T9_mT8_P12ihipStream_tbDpT10_ENKUlT_T0_E_clISt17integral_constantIbLb0EES1A_IbLb1EEEEDaS16_S17_EUlS16_E_NS1_11comp_targetILNS1_3genE0ELNS1_11target_archE4294967295ELNS1_3gpuE0ELNS1_3repE0EEENS1_30default_config_static_selectorELNS0_4arch9wavefront6targetE0EEEvT1_
	.p2align	8
	.type	_ZN7rocprim17ROCPRIM_400000_NS6detail17trampoline_kernelINS0_14default_configENS1_25partition_config_selectorILNS1_17partition_subalgoE6EfNS0_10empty_typeEbEEZZNS1_14partition_implILS5_6ELb0ES3_mN6thrust23THRUST_200600_302600_NS6detail15normal_iteratorINSA_10device_ptrIfEEEEPS6_SG_NS0_5tupleIJNSA_16discard_iteratorINSA_11use_defaultEEES6_EEENSH_IJSG_SG_EEES6_PlJNSB_9not_fun_tINSB_14equal_to_valueIfEEEEEEE10hipError_tPvRmT3_T4_T5_T6_T7_T9_mT8_P12ihipStream_tbDpT10_ENKUlT_T0_E_clISt17integral_constantIbLb0EES1A_IbLb1EEEEDaS16_S17_EUlS16_E_NS1_11comp_targetILNS1_3genE0ELNS1_11target_archE4294967295ELNS1_3gpuE0ELNS1_3repE0EEENS1_30default_config_static_selectorELNS0_4arch9wavefront6targetE0EEEvT1_,@function
_ZN7rocprim17ROCPRIM_400000_NS6detail17trampoline_kernelINS0_14default_configENS1_25partition_config_selectorILNS1_17partition_subalgoE6EfNS0_10empty_typeEbEEZZNS1_14partition_implILS5_6ELb0ES3_mN6thrust23THRUST_200600_302600_NS6detail15normal_iteratorINSA_10device_ptrIfEEEEPS6_SG_NS0_5tupleIJNSA_16discard_iteratorINSA_11use_defaultEEES6_EEENSH_IJSG_SG_EEES6_PlJNSB_9not_fun_tINSB_14equal_to_valueIfEEEEEEE10hipError_tPvRmT3_T4_T5_T6_T7_T9_mT8_P12ihipStream_tbDpT10_ENKUlT_T0_E_clISt17integral_constantIbLb0EES1A_IbLb1EEEEDaS16_S17_EUlS16_E_NS1_11comp_targetILNS1_3genE0ELNS1_11target_archE4294967295ELNS1_3gpuE0ELNS1_3repE0EEENS1_30default_config_static_selectorELNS0_4arch9wavefront6targetE0EEEvT1_: ; @_ZN7rocprim17ROCPRIM_400000_NS6detail17trampoline_kernelINS0_14default_configENS1_25partition_config_selectorILNS1_17partition_subalgoE6EfNS0_10empty_typeEbEEZZNS1_14partition_implILS5_6ELb0ES3_mN6thrust23THRUST_200600_302600_NS6detail15normal_iteratorINSA_10device_ptrIfEEEEPS6_SG_NS0_5tupleIJNSA_16discard_iteratorINSA_11use_defaultEEES6_EEENSH_IJSG_SG_EEES6_PlJNSB_9not_fun_tINSB_14equal_to_valueIfEEEEEEE10hipError_tPvRmT3_T4_T5_T6_T7_T9_mT8_P12ihipStream_tbDpT10_ENKUlT_T0_E_clISt17integral_constantIbLb0EES1A_IbLb1EEEEDaS16_S17_EUlS16_E_NS1_11comp_targetILNS1_3genE0ELNS1_11target_archE4294967295ELNS1_3gpuE0ELNS1_3repE0EEENS1_30default_config_static_selectorELNS0_4arch9wavefront6targetE0EEEvT1_
; %bb.0:
	.section	.rodata,"a",@progbits
	.p2align	6, 0x0
	.amdhsa_kernel _ZN7rocprim17ROCPRIM_400000_NS6detail17trampoline_kernelINS0_14default_configENS1_25partition_config_selectorILNS1_17partition_subalgoE6EfNS0_10empty_typeEbEEZZNS1_14partition_implILS5_6ELb0ES3_mN6thrust23THRUST_200600_302600_NS6detail15normal_iteratorINSA_10device_ptrIfEEEEPS6_SG_NS0_5tupleIJNSA_16discard_iteratorINSA_11use_defaultEEES6_EEENSH_IJSG_SG_EEES6_PlJNSB_9not_fun_tINSB_14equal_to_valueIfEEEEEEE10hipError_tPvRmT3_T4_T5_T6_T7_T9_mT8_P12ihipStream_tbDpT10_ENKUlT_T0_E_clISt17integral_constantIbLb0EES1A_IbLb1EEEEDaS16_S17_EUlS16_E_NS1_11comp_targetILNS1_3genE0ELNS1_11target_archE4294967295ELNS1_3gpuE0ELNS1_3repE0EEENS1_30default_config_static_selectorELNS0_4arch9wavefront6targetE0EEEvT1_
		.amdhsa_group_segment_fixed_size 0
		.amdhsa_private_segment_fixed_size 0
		.amdhsa_kernarg_size 136
		.amdhsa_user_sgpr_count 2
		.amdhsa_user_sgpr_dispatch_ptr 0
		.amdhsa_user_sgpr_queue_ptr 0
		.amdhsa_user_sgpr_kernarg_segment_ptr 1
		.amdhsa_user_sgpr_dispatch_id 0
		.amdhsa_user_sgpr_private_segment_size 0
		.amdhsa_wavefront_size32 1
		.amdhsa_uses_dynamic_stack 0
		.amdhsa_enable_private_segment 0
		.amdhsa_system_sgpr_workgroup_id_x 1
		.amdhsa_system_sgpr_workgroup_id_y 0
		.amdhsa_system_sgpr_workgroup_id_z 0
		.amdhsa_system_sgpr_workgroup_info 0
		.amdhsa_system_vgpr_workitem_id 0
		.amdhsa_next_free_vgpr 1
		.amdhsa_next_free_sgpr 1
		.amdhsa_reserve_vcc 0
		.amdhsa_float_round_mode_32 0
		.amdhsa_float_round_mode_16_64 0
		.amdhsa_float_denorm_mode_32 3
		.amdhsa_float_denorm_mode_16_64 3
		.amdhsa_fp16_overflow 0
		.amdhsa_workgroup_processor_mode 1
		.amdhsa_memory_ordered 1
		.amdhsa_forward_progress 1
		.amdhsa_inst_pref_size 0
		.amdhsa_round_robin_scheduling 0
		.amdhsa_exception_fp_ieee_invalid_op 0
		.amdhsa_exception_fp_denorm_src 0
		.amdhsa_exception_fp_ieee_div_zero 0
		.amdhsa_exception_fp_ieee_overflow 0
		.amdhsa_exception_fp_ieee_underflow 0
		.amdhsa_exception_fp_ieee_inexact 0
		.amdhsa_exception_int_div_zero 0
	.end_amdhsa_kernel
	.section	.text._ZN7rocprim17ROCPRIM_400000_NS6detail17trampoline_kernelINS0_14default_configENS1_25partition_config_selectorILNS1_17partition_subalgoE6EfNS0_10empty_typeEbEEZZNS1_14partition_implILS5_6ELb0ES3_mN6thrust23THRUST_200600_302600_NS6detail15normal_iteratorINSA_10device_ptrIfEEEEPS6_SG_NS0_5tupleIJNSA_16discard_iteratorINSA_11use_defaultEEES6_EEENSH_IJSG_SG_EEES6_PlJNSB_9not_fun_tINSB_14equal_to_valueIfEEEEEEE10hipError_tPvRmT3_T4_T5_T6_T7_T9_mT8_P12ihipStream_tbDpT10_ENKUlT_T0_E_clISt17integral_constantIbLb0EES1A_IbLb1EEEEDaS16_S17_EUlS16_E_NS1_11comp_targetILNS1_3genE0ELNS1_11target_archE4294967295ELNS1_3gpuE0ELNS1_3repE0EEENS1_30default_config_static_selectorELNS0_4arch9wavefront6targetE0EEEvT1_,"axG",@progbits,_ZN7rocprim17ROCPRIM_400000_NS6detail17trampoline_kernelINS0_14default_configENS1_25partition_config_selectorILNS1_17partition_subalgoE6EfNS0_10empty_typeEbEEZZNS1_14partition_implILS5_6ELb0ES3_mN6thrust23THRUST_200600_302600_NS6detail15normal_iteratorINSA_10device_ptrIfEEEEPS6_SG_NS0_5tupleIJNSA_16discard_iteratorINSA_11use_defaultEEES6_EEENSH_IJSG_SG_EEES6_PlJNSB_9not_fun_tINSB_14equal_to_valueIfEEEEEEE10hipError_tPvRmT3_T4_T5_T6_T7_T9_mT8_P12ihipStream_tbDpT10_ENKUlT_T0_E_clISt17integral_constantIbLb0EES1A_IbLb1EEEEDaS16_S17_EUlS16_E_NS1_11comp_targetILNS1_3genE0ELNS1_11target_archE4294967295ELNS1_3gpuE0ELNS1_3repE0EEENS1_30default_config_static_selectorELNS0_4arch9wavefront6targetE0EEEvT1_,comdat
.Lfunc_end1621:
	.size	_ZN7rocprim17ROCPRIM_400000_NS6detail17trampoline_kernelINS0_14default_configENS1_25partition_config_selectorILNS1_17partition_subalgoE6EfNS0_10empty_typeEbEEZZNS1_14partition_implILS5_6ELb0ES3_mN6thrust23THRUST_200600_302600_NS6detail15normal_iteratorINSA_10device_ptrIfEEEEPS6_SG_NS0_5tupleIJNSA_16discard_iteratorINSA_11use_defaultEEES6_EEENSH_IJSG_SG_EEES6_PlJNSB_9not_fun_tINSB_14equal_to_valueIfEEEEEEE10hipError_tPvRmT3_T4_T5_T6_T7_T9_mT8_P12ihipStream_tbDpT10_ENKUlT_T0_E_clISt17integral_constantIbLb0EES1A_IbLb1EEEEDaS16_S17_EUlS16_E_NS1_11comp_targetILNS1_3genE0ELNS1_11target_archE4294967295ELNS1_3gpuE0ELNS1_3repE0EEENS1_30default_config_static_selectorELNS0_4arch9wavefront6targetE0EEEvT1_, .Lfunc_end1621-_ZN7rocprim17ROCPRIM_400000_NS6detail17trampoline_kernelINS0_14default_configENS1_25partition_config_selectorILNS1_17partition_subalgoE6EfNS0_10empty_typeEbEEZZNS1_14partition_implILS5_6ELb0ES3_mN6thrust23THRUST_200600_302600_NS6detail15normal_iteratorINSA_10device_ptrIfEEEEPS6_SG_NS0_5tupleIJNSA_16discard_iteratorINSA_11use_defaultEEES6_EEENSH_IJSG_SG_EEES6_PlJNSB_9not_fun_tINSB_14equal_to_valueIfEEEEEEE10hipError_tPvRmT3_T4_T5_T6_T7_T9_mT8_P12ihipStream_tbDpT10_ENKUlT_T0_E_clISt17integral_constantIbLb0EES1A_IbLb1EEEEDaS16_S17_EUlS16_E_NS1_11comp_targetILNS1_3genE0ELNS1_11target_archE4294967295ELNS1_3gpuE0ELNS1_3repE0EEENS1_30default_config_static_selectorELNS0_4arch9wavefront6targetE0EEEvT1_
                                        ; -- End function
	.set _ZN7rocprim17ROCPRIM_400000_NS6detail17trampoline_kernelINS0_14default_configENS1_25partition_config_selectorILNS1_17partition_subalgoE6EfNS0_10empty_typeEbEEZZNS1_14partition_implILS5_6ELb0ES3_mN6thrust23THRUST_200600_302600_NS6detail15normal_iteratorINSA_10device_ptrIfEEEEPS6_SG_NS0_5tupleIJNSA_16discard_iteratorINSA_11use_defaultEEES6_EEENSH_IJSG_SG_EEES6_PlJNSB_9not_fun_tINSB_14equal_to_valueIfEEEEEEE10hipError_tPvRmT3_T4_T5_T6_T7_T9_mT8_P12ihipStream_tbDpT10_ENKUlT_T0_E_clISt17integral_constantIbLb0EES1A_IbLb1EEEEDaS16_S17_EUlS16_E_NS1_11comp_targetILNS1_3genE0ELNS1_11target_archE4294967295ELNS1_3gpuE0ELNS1_3repE0EEENS1_30default_config_static_selectorELNS0_4arch9wavefront6targetE0EEEvT1_.num_vgpr, 0
	.set _ZN7rocprim17ROCPRIM_400000_NS6detail17trampoline_kernelINS0_14default_configENS1_25partition_config_selectorILNS1_17partition_subalgoE6EfNS0_10empty_typeEbEEZZNS1_14partition_implILS5_6ELb0ES3_mN6thrust23THRUST_200600_302600_NS6detail15normal_iteratorINSA_10device_ptrIfEEEEPS6_SG_NS0_5tupleIJNSA_16discard_iteratorINSA_11use_defaultEEES6_EEENSH_IJSG_SG_EEES6_PlJNSB_9not_fun_tINSB_14equal_to_valueIfEEEEEEE10hipError_tPvRmT3_T4_T5_T6_T7_T9_mT8_P12ihipStream_tbDpT10_ENKUlT_T0_E_clISt17integral_constantIbLb0EES1A_IbLb1EEEEDaS16_S17_EUlS16_E_NS1_11comp_targetILNS1_3genE0ELNS1_11target_archE4294967295ELNS1_3gpuE0ELNS1_3repE0EEENS1_30default_config_static_selectorELNS0_4arch9wavefront6targetE0EEEvT1_.num_agpr, 0
	.set _ZN7rocprim17ROCPRIM_400000_NS6detail17trampoline_kernelINS0_14default_configENS1_25partition_config_selectorILNS1_17partition_subalgoE6EfNS0_10empty_typeEbEEZZNS1_14partition_implILS5_6ELb0ES3_mN6thrust23THRUST_200600_302600_NS6detail15normal_iteratorINSA_10device_ptrIfEEEEPS6_SG_NS0_5tupleIJNSA_16discard_iteratorINSA_11use_defaultEEES6_EEENSH_IJSG_SG_EEES6_PlJNSB_9not_fun_tINSB_14equal_to_valueIfEEEEEEE10hipError_tPvRmT3_T4_T5_T6_T7_T9_mT8_P12ihipStream_tbDpT10_ENKUlT_T0_E_clISt17integral_constantIbLb0EES1A_IbLb1EEEEDaS16_S17_EUlS16_E_NS1_11comp_targetILNS1_3genE0ELNS1_11target_archE4294967295ELNS1_3gpuE0ELNS1_3repE0EEENS1_30default_config_static_selectorELNS0_4arch9wavefront6targetE0EEEvT1_.numbered_sgpr, 0
	.set _ZN7rocprim17ROCPRIM_400000_NS6detail17trampoline_kernelINS0_14default_configENS1_25partition_config_selectorILNS1_17partition_subalgoE6EfNS0_10empty_typeEbEEZZNS1_14partition_implILS5_6ELb0ES3_mN6thrust23THRUST_200600_302600_NS6detail15normal_iteratorINSA_10device_ptrIfEEEEPS6_SG_NS0_5tupleIJNSA_16discard_iteratorINSA_11use_defaultEEES6_EEENSH_IJSG_SG_EEES6_PlJNSB_9not_fun_tINSB_14equal_to_valueIfEEEEEEE10hipError_tPvRmT3_T4_T5_T6_T7_T9_mT8_P12ihipStream_tbDpT10_ENKUlT_T0_E_clISt17integral_constantIbLb0EES1A_IbLb1EEEEDaS16_S17_EUlS16_E_NS1_11comp_targetILNS1_3genE0ELNS1_11target_archE4294967295ELNS1_3gpuE0ELNS1_3repE0EEENS1_30default_config_static_selectorELNS0_4arch9wavefront6targetE0EEEvT1_.num_named_barrier, 0
	.set _ZN7rocprim17ROCPRIM_400000_NS6detail17trampoline_kernelINS0_14default_configENS1_25partition_config_selectorILNS1_17partition_subalgoE6EfNS0_10empty_typeEbEEZZNS1_14partition_implILS5_6ELb0ES3_mN6thrust23THRUST_200600_302600_NS6detail15normal_iteratorINSA_10device_ptrIfEEEEPS6_SG_NS0_5tupleIJNSA_16discard_iteratorINSA_11use_defaultEEES6_EEENSH_IJSG_SG_EEES6_PlJNSB_9not_fun_tINSB_14equal_to_valueIfEEEEEEE10hipError_tPvRmT3_T4_T5_T6_T7_T9_mT8_P12ihipStream_tbDpT10_ENKUlT_T0_E_clISt17integral_constantIbLb0EES1A_IbLb1EEEEDaS16_S17_EUlS16_E_NS1_11comp_targetILNS1_3genE0ELNS1_11target_archE4294967295ELNS1_3gpuE0ELNS1_3repE0EEENS1_30default_config_static_selectorELNS0_4arch9wavefront6targetE0EEEvT1_.private_seg_size, 0
	.set _ZN7rocprim17ROCPRIM_400000_NS6detail17trampoline_kernelINS0_14default_configENS1_25partition_config_selectorILNS1_17partition_subalgoE6EfNS0_10empty_typeEbEEZZNS1_14partition_implILS5_6ELb0ES3_mN6thrust23THRUST_200600_302600_NS6detail15normal_iteratorINSA_10device_ptrIfEEEEPS6_SG_NS0_5tupleIJNSA_16discard_iteratorINSA_11use_defaultEEES6_EEENSH_IJSG_SG_EEES6_PlJNSB_9not_fun_tINSB_14equal_to_valueIfEEEEEEE10hipError_tPvRmT3_T4_T5_T6_T7_T9_mT8_P12ihipStream_tbDpT10_ENKUlT_T0_E_clISt17integral_constantIbLb0EES1A_IbLb1EEEEDaS16_S17_EUlS16_E_NS1_11comp_targetILNS1_3genE0ELNS1_11target_archE4294967295ELNS1_3gpuE0ELNS1_3repE0EEENS1_30default_config_static_selectorELNS0_4arch9wavefront6targetE0EEEvT1_.uses_vcc, 0
	.set _ZN7rocprim17ROCPRIM_400000_NS6detail17trampoline_kernelINS0_14default_configENS1_25partition_config_selectorILNS1_17partition_subalgoE6EfNS0_10empty_typeEbEEZZNS1_14partition_implILS5_6ELb0ES3_mN6thrust23THRUST_200600_302600_NS6detail15normal_iteratorINSA_10device_ptrIfEEEEPS6_SG_NS0_5tupleIJNSA_16discard_iteratorINSA_11use_defaultEEES6_EEENSH_IJSG_SG_EEES6_PlJNSB_9not_fun_tINSB_14equal_to_valueIfEEEEEEE10hipError_tPvRmT3_T4_T5_T6_T7_T9_mT8_P12ihipStream_tbDpT10_ENKUlT_T0_E_clISt17integral_constantIbLb0EES1A_IbLb1EEEEDaS16_S17_EUlS16_E_NS1_11comp_targetILNS1_3genE0ELNS1_11target_archE4294967295ELNS1_3gpuE0ELNS1_3repE0EEENS1_30default_config_static_selectorELNS0_4arch9wavefront6targetE0EEEvT1_.uses_flat_scratch, 0
	.set _ZN7rocprim17ROCPRIM_400000_NS6detail17trampoline_kernelINS0_14default_configENS1_25partition_config_selectorILNS1_17partition_subalgoE6EfNS0_10empty_typeEbEEZZNS1_14partition_implILS5_6ELb0ES3_mN6thrust23THRUST_200600_302600_NS6detail15normal_iteratorINSA_10device_ptrIfEEEEPS6_SG_NS0_5tupleIJNSA_16discard_iteratorINSA_11use_defaultEEES6_EEENSH_IJSG_SG_EEES6_PlJNSB_9not_fun_tINSB_14equal_to_valueIfEEEEEEE10hipError_tPvRmT3_T4_T5_T6_T7_T9_mT8_P12ihipStream_tbDpT10_ENKUlT_T0_E_clISt17integral_constantIbLb0EES1A_IbLb1EEEEDaS16_S17_EUlS16_E_NS1_11comp_targetILNS1_3genE0ELNS1_11target_archE4294967295ELNS1_3gpuE0ELNS1_3repE0EEENS1_30default_config_static_selectorELNS0_4arch9wavefront6targetE0EEEvT1_.has_dyn_sized_stack, 0
	.set _ZN7rocprim17ROCPRIM_400000_NS6detail17trampoline_kernelINS0_14default_configENS1_25partition_config_selectorILNS1_17partition_subalgoE6EfNS0_10empty_typeEbEEZZNS1_14partition_implILS5_6ELb0ES3_mN6thrust23THRUST_200600_302600_NS6detail15normal_iteratorINSA_10device_ptrIfEEEEPS6_SG_NS0_5tupleIJNSA_16discard_iteratorINSA_11use_defaultEEES6_EEENSH_IJSG_SG_EEES6_PlJNSB_9not_fun_tINSB_14equal_to_valueIfEEEEEEE10hipError_tPvRmT3_T4_T5_T6_T7_T9_mT8_P12ihipStream_tbDpT10_ENKUlT_T0_E_clISt17integral_constantIbLb0EES1A_IbLb1EEEEDaS16_S17_EUlS16_E_NS1_11comp_targetILNS1_3genE0ELNS1_11target_archE4294967295ELNS1_3gpuE0ELNS1_3repE0EEENS1_30default_config_static_selectorELNS0_4arch9wavefront6targetE0EEEvT1_.has_recursion, 0
	.set _ZN7rocprim17ROCPRIM_400000_NS6detail17trampoline_kernelINS0_14default_configENS1_25partition_config_selectorILNS1_17partition_subalgoE6EfNS0_10empty_typeEbEEZZNS1_14partition_implILS5_6ELb0ES3_mN6thrust23THRUST_200600_302600_NS6detail15normal_iteratorINSA_10device_ptrIfEEEEPS6_SG_NS0_5tupleIJNSA_16discard_iteratorINSA_11use_defaultEEES6_EEENSH_IJSG_SG_EEES6_PlJNSB_9not_fun_tINSB_14equal_to_valueIfEEEEEEE10hipError_tPvRmT3_T4_T5_T6_T7_T9_mT8_P12ihipStream_tbDpT10_ENKUlT_T0_E_clISt17integral_constantIbLb0EES1A_IbLb1EEEEDaS16_S17_EUlS16_E_NS1_11comp_targetILNS1_3genE0ELNS1_11target_archE4294967295ELNS1_3gpuE0ELNS1_3repE0EEENS1_30default_config_static_selectorELNS0_4arch9wavefront6targetE0EEEvT1_.has_indirect_call, 0
	.section	.AMDGPU.csdata,"",@progbits
; Kernel info:
; codeLenInByte = 0
; TotalNumSgprs: 0
; NumVgprs: 0
; ScratchSize: 0
; MemoryBound: 0
; FloatMode: 240
; IeeeMode: 1
; LDSByteSize: 0 bytes/workgroup (compile time only)
; SGPRBlocks: 0
; VGPRBlocks: 0
; NumSGPRsForWavesPerEU: 1
; NumVGPRsForWavesPerEU: 1
; Occupancy: 16
; WaveLimiterHint : 0
; COMPUTE_PGM_RSRC2:SCRATCH_EN: 0
; COMPUTE_PGM_RSRC2:USER_SGPR: 2
; COMPUTE_PGM_RSRC2:TRAP_HANDLER: 0
; COMPUTE_PGM_RSRC2:TGID_X_EN: 1
; COMPUTE_PGM_RSRC2:TGID_Y_EN: 0
; COMPUTE_PGM_RSRC2:TGID_Z_EN: 0
; COMPUTE_PGM_RSRC2:TIDIG_COMP_CNT: 0
	.section	.text._ZN7rocprim17ROCPRIM_400000_NS6detail17trampoline_kernelINS0_14default_configENS1_25partition_config_selectorILNS1_17partition_subalgoE6EfNS0_10empty_typeEbEEZZNS1_14partition_implILS5_6ELb0ES3_mN6thrust23THRUST_200600_302600_NS6detail15normal_iteratorINSA_10device_ptrIfEEEEPS6_SG_NS0_5tupleIJNSA_16discard_iteratorINSA_11use_defaultEEES6_EEENSH_IJSG_SG_EEES6_PlJNSB_9not_fun_tINSB_14equal_to_valueIfEEEEEEE10hipError_tPvRmT3_T4_T5_T6_T7_T9_mT8_P12ihipStream_tbDpT10_ENKUlT_T0_E_clISt17integral_constantIbLb0EES1A_IbLb1EEEEDaS16_S17_EUlS16_E_NS1_11comp_targetILNS1_3genE5ELNS1_11target_archE942ELNS1_3gpuE9ELNS1_3repE0EEENS1_30default_config_static_selectorELNS0_4arch9wavefront6targetE0EEEvT1_,"axG",@progbits,_ZN7rocprim17ROCPRIM_400000_NS6detail17trampoline_kernelINS0_14default_configENS1_25partition_config_selectorILNS1_17partition_subalgoE6EfNS0_10empty_typeEbEEZZNS1_14partition_implILS5_6ELb0ES3_mN6thrust23THRUST_200600_302600_NS6detail15normal_iteratorINSA_10device_ptrIfEEEEPS6_SG_NS0_5tupleIJNSA_16discard_iteratorINSA_11use_defaultEEES6_EEENSH_IJSG_SG_EEES6_PlJNSB_9not_fun_tINSB_14equal_to_valueIfEEEEEEE10hipError_tPvRmT3_T4_T5_T6_T7_T9_mT8_P12ihipStream_tbDpT10_ENKUlT_T0_E_clISt17integral_constantIbLb0EES1A_IbLb1EEEEDaS16_S17_EUlS16_E_NS1_11comp_targetILNS1_3genE5ELNS1_11target_archE942ELNS1_3gpuE9ELNS1_3repE0EEENS1_30default_config_static_selectorELNS0_4arch9wavefront6targetE0EEEvT1_,comdat
	.protected	_ZN7rocprim17ROCPRIM_400000_NS6detail17trampoline_kernelINS0_14default_configENS1_25partition_config_selectorILNS1_17partition_subalgoE6EfNS0_10empty_typeEbEEZZNS1_14partition_implILS5_6ELb0ES3_mN6thrust23THRUST_200600_302600_NS6detail15normal_iteratorINSA_10device_ptrIfEEEEPS6_SG_NS0_5tupleIJNSA_16discard_iteratorINSA_11use_defaultEEES6_EEENSH_IJSG_SG_EEES6_PlJNSB_9not_fun_tINSB_14equal_to_valueIfEEEEEEE10hipError_tPvRmT3_T4_T5_T6_T7_T9_mT8_P12ihipStream_tbDpT10_ENKUlT_T0_E_clISt17integral_constantIbLb0EES1A_IbLb1EEEEDaS16_S17_EUlS16_E_NS1_11comp_targetILNS1_3genE5ELNS1_11target_archE942ELNS1_3gpuE9ELNS1_3repE0EEENS1_30default_config_static_selectorELNS0_4arch9wavefront6targetE0EEEvT1_ ; -- Begin function _ZN7rocprim17ROCPRIM_400000_NS6detail17trampoline_kernelINS0_14default_configENS1_25partition_config_selectorILNS1_17partition_subalgoE6EfNS0_10empty_typeEbEEZZNS1_14partition_implILS5_6ELb0ES3_mN6thrust23THRUST_200600_302600_NS6detail15normal_iteratorINSA_10device_ptrIfEEEEPS6_SG_NS0_5tupleIJNSA_16discard_iteratorINSA_11use_defaultEEES6_EEENSH_IJSG_SG_EEES6_PlJNSB_9not_fun_tINSB_14equal_to_valueIfEEEEEEE10hipError_tPvRmT3_T4_T5_T6_T7_T9_mT8_P12ihipStream_tbDpT10_ENKUlT_T0_E_clISt17integral_constantIbLb0EES1A_IbLb1EEEEDaS16_S17_EUlS16_E_NS1_11comp_targetILNS1_3genE5ELNS1_11target_archE942ELNS1_3gpuE9ELNS1_3repE0EEENS1_30default_config_static_selectorELNS0_4arch9wavefront6targetE0EEEvT1_
	.globl	_ZN7rocprim17ROCPRIM_400000_NS6detail17trampoline_kernelINS0_14default_configENS1_25partition_config_selectorILNS1_17partition_subalgoE6EfNS0_10empty_typeEbEEZZNS1_14partition_implILS5_6ELb0ES3_mN6thrust23THRUST_200600_302600_NS6detail15normal_iteratorINSA_10device_ptrIfEEEEPS6_SG_NS0_5tupleIJNSA_16discard_iteratorINSA_11use_defaultEEES6_EEENSH_IJSG_SG_EEES6_PlJNSB_9not_fun_tINSB_14equal_to_valueIfEEEEEEE10hipError_tPvRmT3_T4_T5_T6_T7_T9_mT8_P12ihipStream_tbDpT10_ENKUlT_T0_E_clISt17integral_constantIbLb0EES1A_IbLb1EEEEDaS16_S17_EUlS16_E_NS1_11comp_targetILNS1_3genE5ELNS1_11target_archE942ELNS1_3gpuE9ELNS1_3repE0EEENS1_30default_config_static_selectorELNS0_4arch9wavefront6targetE0EEEvT1_
	.p2align	8
	.type	_ZN7rocprim17ROCPRIM_400000_NS6detail17trampoline_kernelINS0_14default_configENS1_25partition_config_selectorILNS1_17partition_subalgoE6EfNS0_10empty_typeEbEEZZNS1_14partition_implILS5_6ELb0ES3_mN6thrust23THRUST_200600_302600_NS6detail15normal_iteratorINSA_10device_ptrIfEEEEPS6_SG_NS0_5tupleIJNSA_16discard_iteratorINSA_11use_defaultEEES6_EEENSH_IJSG_SG_EEES6_PlJNSB_9not_fun_tINSB_14equal_to_valueIfEEEEEEE10hipError_tPvRmT3_T4_T5_T6_T7_T9_mT8_P12ihipStream_tbDpT10_ENKUlT_T0_E_clISt17integral_constantIbLb0EES1A_IbLb1EEEEDaS16_S17_EUlS16_E_NS1_11comp_targetILNS1_3genE5ELNS1_11target_archE942ELNS1_3gpuE9ELNS1_3repE0EEENS1_30default_config_static_selectorELNS0_4arch9wavefront6targetE0EEEvT1_,@function
_ZN7rocprim17ROCPRIM_400000_NS6detail17trampoline_kernelINS0_14default_configENS1_25partition_config_selectorILNS1_17partition_subalgoE6EfNS0_10empty_typeEbEEZZNS1_14partition_implILS5_6ELb0ES3_mN6thrust23THRUST_200600_302600_NS6detail15normal_iteratorINSA_10device_ptrIfEEEEPS6_SG_NS0_5tupleIJNSA_16discard_iteratorINSA_11use_defaultEEES6_EEENSH_IJSG_SG_EEES6_PlJNSB_9not_fun_tINSB_14equal_to_valueIfEEEEEEE10hipError_tPvRmT3_T4_T5_T6_T7_T9_mT8_P12ihipStream_tbDpT10_ENKUlT_T0_E_clISt17integral_constantIbLb0EES1A_IbLb1EEEEDaS16_S17_EUlS16_E_NS1_11comp_targetILNS1_3genE5ELNS1_11target_archE942ELNS1_3gpuE9ELNS1_3repE0EEENS1_30default_config_static_selectorELNS0_4arch9wavefront6targetE0EEEvT1_: ; @_ZN7rocprim17ROCPRIM_400000_NS6detail17trampoline_kernelINS0_14default_configENS1_25partition_config_selectorILNS1_17partition_subalgoE6EfNS0_10empty_typeEbEEZZNS1_14partition_implILS5_6ELb0ES3_mN6thrust23THRUST_200600_302600_NS6detail15normal_iteratorINSA_10device_ptrIfEEEEPS6_SG_NS0_5tupleIJNSA_16discard_iteratorINSA_11use_defaultEEES6_EEENSH_IJSG_SG_EEES6_PlJNSB_9not_fun_tINSB_14equal_to_valueIfEEEEEEE10hipError_tPvRmT3_T4_T5_T6_T7_T9_mT8_P12ihipStream_tbDpT10_ENKUlT_T0_E_clISt17integral_constantIbLb0EES1A_IbLb1EEEEDaS16_S17_EUlS16_E_NS1_11comp_targetILNS1_3genE5ELNS1_11target_archE942ELNS1_3gpuE9ELNS1_3repE0EEENS1_30default_config_static_selectorELNS0_4arch9wavefront6targetE0EEEvT1_
; %bb.0:
	.section	.rodata,"a",@progbits
	.p2align	6, 0x0
	.amdhsa_kernel _ZN7rocprim17ROCPRIM_400000_NS6detail17trampoline_kernelINS0_14default_configENS1_25partition_config_selectorILNS1_17partition_subalgoE6EfNS0_10empty_typeEbEEZZNS1_14partition_implILS5_6ELb0ES3_mN6thrust23THRUST_200600_302600_NS6detail15normal_iteratorINSA_10device_ptrIfEEEEPS6_SG_NS0_5tupleIJNSA_16discard_iteratorINSA_11use_defaultEEES6_EEENSH_IJSG_SG_EEES6_PlJNSB_9not_fun_tINSB_14equal_to_valueIfEEEEEEE10hipError_tPvRmT3_T4_T5_T6_T7_T9_mT8_P12ihipStream_tbDpT10_ENKUlT_T0_E_clISt17integral_constantIbLb0EES1A_IbLb1EEEEDaS16_S17_EUlS16_E_NS1_11comp_targetILNS1_3genE5ELNS1_11target_archE942ELNS1_3gpuE9ELNS1_3repE0EEENS1_30default_config_static_selectorELNS0_4arch9wavefront6targetE0EEEvT1_
		.amdhsa_group_segment_fixed_size 0
		.amdhsa_private_segment_fixed_size 0
		.amdhsa_kernarg_size 136
		.amdhsa_user_sgpr_count 2
		.amdhsa_user_sgpr_dispatch_ptr 0
		.amdhsa_user_sgpr_queue_ptr 0
		.amdhsa_user_sgpr_kernarg_segment_ptr 1
		.amdhsa_user_sgpr_dispatch_id 0
		.amdhsa_user_sgpr_private_segment_size 0
		.amdhsa_wavefront_size32 1
		.amdhsa_uses_dynamic_stack 0
		.amdhsa_enable_private_segment 0
		.amdhsa_system_sgpr_workgroup_id_x 1
		.amdhsa_system_sgpr_workgroup_id_y 0
		.amdhsa_system_sgpr_workgroup_id_z 0
		.amdhsa_system_sgpr_workgroup_info 0
		.amdhsa_system_vgpr_workitem_id 0
		.amdhsa_next_free_vgpr 1
		.amdhsa_next_free_sgpr 1
		.amdhsa_reserve_vcc 0
		.amdhsa_float_round_mode_32 0
		.amdhsa_float_round_mode_16_64 0
		.amdhsa_float_denorm_mode_32 3
		.amdhsa_float_denorm_mode_16_64 3
		.amdhsa_fp16_overflow 0
		.amdhsa_workgroup_processor_mode 1
		.amdhsa_memory_ordered 1
		.amdhsa_forward_progress 1
		.amdhsa_inst_pref_size 0
		.amdhsa_round_robin_scheduling 0
		.amdhsa_exception_fp_ieee_invalid_op 0
		.amdhsa_exception_fp_denorm_src 0
		.amdhsa_exception_fp_ieee_div_zero 0
		.amdhsa_exception_fp_ieee_overflow 0
		.amdhsa_exception_fp_ieee_underflow 0
		.amdhsa_exception_fp_ieee_inexact 0
		.amdhsa_exception_int_div_zero 0
	.end_amdhsa_kernel
	.section	.text._ZN7rocprim17ROCPRIM_400000_NS6detail17trampoline_kernelINS0_14default_configENS1_25partition_config_selectorILNS1_17partition_subalgoE6EfNS0_10empty_typeEbEEZZNS1_14partition_implILS5_6ELb0ES3_mN6thrust23THRUST_200600_302600_NS6detail15normal_iteratorINSA_10device_ptrIfEEEEPS6_SG_NS0_5tupleIJNSA_16discard_iteratorINSA_11use_defaultEEES6_EEENSH_IJSG_SG_EEES6_PlJNSB_9not_fun_tINSB_14equal_to_valueIfEEEEEEE10hipError_tPvRmT3_T4_T5_T6_T7_T9_mT8_P12ihipStream_tbDpT10_ENKUlT_T0_E_clISt17integral_constantIbLb0EES1A_IbLb1EEEEDaS16_S17_EUlS16_E_NS1_11comp_targetILNS1_3genE5ELNS1_11target_archE942ELNS1_3gpuE9ELNS1_3repE0EEENS1_30default_config_static_selectorELNS0_4arch9wavefront6targetE0EEEvT1_,"axG",@progbits,_ZN7rocprim17ROCPRIM_400000_NS6detail17trampoline_kernelINS0_14default_configENS1_25partition_config_selectorILNS1_17partition_subalgoE6EfNS0_10empty_typeEbEEZZNS1_14partition_implILS5_6ELb0ES3_mN6thrust23THRUST_200600_302600_NS6detail15normal_iteratorINSA_10device_ptrIfEEEEPS6_SG_NS0_5tupleIJNSA_16discard_iteratorINSA_11use_defaultEEES6_EEENSH_IJSG_SG_EEES6_PlJNSB_9not_fun_tINSB_14equal_to_valueIfEEEEEEE10hipError_tPvRmT3_T4_T5_T6_T7_T9_mT8_P12ihipStream_tbDpT10_ENKUlT_T0_E_clISt17integral_constantIbLb0EES1A_IbLb1EEEEDaS16_S17_EUlS16_E_NS1_11comp_targetILNS1_3genE5ELNS1_11target_archE942ELNS1_3gpuE9ELNS1_3repE0EEENS1_30default_config_static_selectorELNS0_4arch9wavefront6targetE0EEEvT1_,comdat
.Lfunc_end1622:
	.size	_ZN7rocprim17ROCPRIM_400000_NS6detail17trampoline_kernelINS0_14default_configENS1_25partition_config_selectorILNS1_17partition_subalgoE6EfNS0_10empty_typeEbEEZZNS1_14partition_implILS5_6ELb0ES3_mN6thrust23THRUST_200600_302600_NS6detail15normal_iteratorINSA_10device_ptrIfEEEEPS6_SG_NS0_5tupleIJNSA_16discard_iteratorINSA_11use_defaultEEES6_EEENSH_IJSG_SG_EEES6_PlJNSB_9not_fun_tINSB_14equal_to_valueIfEEEEEEE10hipError_tPvRmT3_T4_T5_T6_T7_T9_mT8_P12ihipStream_tbDpT10_ENKUlT_T0_E_clISt17integral_constantIbLb0EES1A_IbLb1EEEEDaS16_S17_EUlS16_E_NS1_11comp_targetILNS1_3genE5ELNS1_11target_archE942ELNS1_3gpuE9ELNS1_3repE0EEENS1_30default_config_static_selectorELNS0_4arch9wavefront6targetE0EEEvT1_, .Lfunc_end1622-_ZN7rocprim17ROCPRIM_400000_NS6detail17trampoline_kernelINS0_14default_configENS1_25partition_config_selectorILNS1_17partition_subalgoE6EfNS0_10empty_typeEbEEZZNS1_14partition_implILS5_6ELb0ES3_mN6thrust23THRUST_200600_302600_NS6detail15normal_iteratorINSA_10device_ptrIfEEEEPS6_SG_NS0_5tupleIJNSA_16discard_iteratorINSA_11use_defaultEEES6_EEENSH_IJSG_SG_EEES6_PlJNSB_9not_fun_tINSB_14equal_to_valueIfEEEEEEE10hipError_tPvRmT3_T4_T5_T6_T7_T9_mT8_P12ihipStream_tbDpT10_ENKUlT_T0_E_clISt17integral_constantIbLb0EES1A_IbLb1EEEEDaS16_S17_EUlS16_E_NS1_11comp_targetILNS1_3genE5ELNS1_11target_archE942ELNS1_3gpuE9ELNS1_3repE0EEENS1_30default_config_static_selectorELNS0_4arch9wavefront6targetE0EEEvT1_
                                        ; -- End function
	.set _ZN7rocprim17ROCPRIM_400000_NS6detail17trampoline_kernelINS0_14default_configENS1_25partition_config_selectorILNS1_17partition_subalgoE6EfNS0_10empty_typeEbEEZZNS1_14partition_implILS5_6ELb0ES3_mN6thrust23THRUST_200600_302600_NS6detail15normal_iteratorINSA_10device_ptrIfEEEEPS6_SG_NS0_5tupleIJNSA_16discard_iteratorINSA_11use_defaultEEES6_EEENSH_IJSG_SG_EEES6_PlJNSB_9not_fun_tINSB_14equal_to_valueIfEEEEEEE10hipError_tPvRmT3_T4_T5_T6_T7_T9_mT8_P12ihipStream_tbDpT10_ENKUlT_T0_E_clISt17integral_constantIbLb0EES1A_IbLb1EEEEDaS16_S17_EUlS16_E_NS1_11comp_targetILNS1_3genE5ELNS1_11target_archE942ELNS1_3gpuE9ELNS1_3repE0EEENS1_30default_config_static_selectorELNS0_4arch9wavefront6targetE0EEEvT1_.num_vgpr, 0
	.set _ZN7rocprim17ROCPRIM_400000_NS6detail17trampoline_kernelINS0_14default_configENS1_25partition_config_selectorILNS1_17partition_subalgoE6EfNS0_10empty_typeEbEEZZNS1_14partition_implILS5_6ELb0ES3_mN6thrust23THRUST_200600_302600_NS6detail15normal_iteratorINSA_10device_ptrIfEEEEPS6_SG_NS0_5tupleIJNSA_16discard_iteratorINSA_11use_defaultEEES6_EEENSH_IJSG_SG_EEES6_PlJNSB_9not_fun_tINSB_14equal_to_valueIfEEEEEEE10hipError_tPvRmT3_T4_T5_T6_T7_T9_mT8_P12ihipStream_tbDpT10_ENKUlT_T0_E_clISt17integral_constantIbLb0EES1A_IbLb1EEEEDaS16_S17_EUlS16_E_NS1_11comp_targetILNS1_3genE5ELNS1_11target_archE942ELNS1_3gpuE9ELNS1_3repE0EEENS1_30default_config_static_selectorELNS0_4arch9wavefront6targetE0EEEvT1_.num_agpr, 0
	.set _ZN7rocprim17ROCPRIM_400000_NS6detail17trampoline_kernelINS0_14default_configENS1_25partition_config_selectorILNS1_17partition_subalgoE6EfNS0_10empty_typeEbEEZZNS1_14partition_implILS5_6ELb0ES3_mN6thrust23THRUST_200600_302600_NS6detail15normal_iteratorINSA_10device_ptrIfEEEEPS6_SG_NS0_5tupleIJNSA_16discard_iteratorINSA_11use_defaultEEES6_EEENSH_IJSG_SG_EEES6_PlJNSB_9not_fun_tINSB_14equal_to_valueIfEEEEEEE10hipError_tPvRmT3_T4_T5_T6_T7_T9_mT8_P12ihipStream_tbDpT10_ENKUlT_T0_E_clISt17integral_constantIbLb0EES1A_IbLb1EEEEDaS16_S17_EUlS16_E_NS1_11comp_targetILNS1_3genE5ELNS1_11target_archE942ELNS1_3gpuE9ELNS1_3repE0EEENS1_30default_config_static_selectorELNS0_4arch9wavefront6targetE0EEEvT1_.numbered_sgpr, 0
	.set _ZN7rocprim17ROCPRIM_400000_NS6detail17trampoline_kernelINS0_14default_configENS1_25partition_config_selectorILNS1_17partition_subalgoE6EfNS0_10empty_typeEbEEZZNS1_14partition_implILS5_6ELb0ES3_mN6thrust23THRUST_200600_302600_NS6detail15normal_iteratorINSA_10device_ptrIfEEEEPS6_SG_NS0_5tupleIJNSA_16discard_iteratorINSA_11use_defaultEEES6_EEENSH_IJSG_SG_EEES6_PlJNSB_9not_fun_tINSB_14equal_to_valueIfEEEEEEE10hipError_tPvRmT3_T4_T5_T6_T7_T9_mT8_P12ihipStream_tbDpT10_ENKUlT_T0_E_clISt17integral_constantIbLb0EES1A_IbLb1EEEEDaS16_S17_EUlS16_E_NS1_11comp_targetILNS1_3genE5ELNS1_11target_archE942ELNS1_3gpuE9ELNS1_3repE0EEENS1_30default_config_static_selectorELNS0_4arch9wavefront6targetE0EEEvT1_.num_named_barrier, 0
	.set _ZN7rocprim17ROCPRIM_400000_NS6detail17trampoline_kernelINS0_14default_configENS1_25partition_config_selectorILNS1_17partition_subalgoE6EfNS0_10empty_typeEbEEZZNS1_14partition_implILS5_6ELb0ES3_mN6thrust23THRUST_200600_302600_NS6detail15normal_iteratorINSA_10device_ptrIfEEEEPS6_SG_NS0_5tupleIJNSA_16discard_iteratorINSA_11use_defaultEEES6_EEENSH_IJSG_SG_EEES6_PlJNSB_9not_fun_tINSB_14equal_to_valueIfEEEEEEE10hipError_tPvRmT3_T4_T5_T6_T7_T9_mT8_P12ihipStream_tbDpT10_ENKUlT_T0_E_clISt17integral_constantIbLb0EES1A_IbLb1EEEEDaS16_S17_EUlS16_E_NS1_11comp_targetILNS1_3genE5ELNS1_11target_archE942ELNS1_3gpuE9ELNS1_3repE0EEENS1_30default_config_static_selectorELNS0_4arch9wavefront6targetE0EEEvT1_.private_seg_size, 0
	.set _ZN7rocprim17ROCPRIM_400000_NS6detail17trampoline_kernelINS0_14default_configENS1_25partition_config_selectorILNS1_17partition_subalgoE6EfNS0_10empty_typeEbEEZZNS1_14partition_implILS5_6ELb0ES3_mN6thrust23THRUST_200600_302600_NS6detail15normal_iteratorINSA_10device_ptrIfEEEEPS6_SG_NS0_5tupleIJNSA_16discard_iteratorINSA_11use_defaultEEES6_EEENSH_IJSG_SG_EEES6_PlJNSB_9not_fun_tINSB_14equal_to_valueIfEEEEEEE10hipError_tPvRmT3_T4_T5_T6_T7_T9_mT8_P12ihipStream_tbDpT10_ENKUlT_T0_E_clISt17integral_constantIbLb0EES1A_IbLb1EEEEDaS16_S17_EUlS16_E_NS1_11comp_targetILNS1_3genE5ELNS1_11target_archE942ELNS1_3gpuE9ELNS1_3repE0EEENS1_30default_config_static_selectorELNS0_4arch9wavefront6targetE0EEEvT1_.uses_vcc, 0
	.set _ZN7rocprim17ROCPRIM_400000_NS6detail17trampoline_kernelINS0_14default_configENS1_25partition_config_selectorILNS1_17partition_subalgoE6EfNS0_10empty_typeEbEEZZNS1_14partition_implILS5_6ELb0ES3_mN6thrust23THRUST_200600_302600_NS6detail15normal_iteratorINSA_10device_ptrIfEEEEPS6_SG_NS0_5tupleIJNSA_16discard_iteratorINSA_11use_defaultEEES6_EEENSH_IJSG_SG_EEES6_PlJNSB_9not_fun_tINSB_14equal_to_valueIfEEEEEEE10hipError_tPvRmT3_T4_T5_T6_T7_T9_mT8_P12ihipStream_tbDpT10_ENKUlT_T0_E_clISt17integral_constantIbLb0EES1A_IbLb1EEEEDaS16_S17_EUlS16_E_NS1_11comp_targetILNS1_3genE5ELNS1_11target_archE942ELNS1_3gpuE9ELNS1_3repE0EEENS1_30default_config_static_selectorELNS0_4arch9wavefront6targetE0EEEvT1_.uses_flat_scratch, 0
	.set _ZN7rocprim17ROCPRIM_400000_NS6detail17trampoline_kernelINS0_14default_configENS1_25partition_config_selectorILNS1_17partition_subalgoE6EfNS0_10empty_typeEbEEZZNS1_14partition_implILS5_6ELb0ES3_mN6thrust23THRUST_200600_302600_NS6detail15normal_iteratorINSA_10device_ptrIfEEEEPS6_SG_NS0_5tupleIJNSA_16discard_iteratorINSA_11use_defaultEEES6_EEENSH_IJSG_SG_EEES6_PlJNSB_9not_fun_tINSB_14equal_to_valueIfEEEEEEE10hipError_tPvRmT3_T4_T5_T6_T7_T9_mT8_P12ihipStream_tbDpT10_ENKUlT_T0_E_clISt17integral_constantIbLb0EES1A_IbLb1EEEEDaS16_S17_EUlS16_E_NS1_11comp_targetILNS1_3genE5ELNS1_11target_archE942ELNS1_3gpuE9ELNS1_3repE0EEENS1_30default_config_static_selectorELNS0_4arch9wavefront6targetE0EEEvT1_.has_dyn_sized_stack, 0
	.set _ZN7rocprim17ROCPRIM_400000_NS6detail17trampoline_kernelINS0_14default_configENS1_25partition_config_selectorILNS1_17partition_subalgoE6EfNS0_10empty_typeEbEEZZNS1_14partition_implILS5_6ELb0ES3_mN6thrust23THRUST_200600_302600_NS6detail15normal_iteratorINSA_10device_ptrIfEEEEPS6_SG_NS0_5tupleIJNSA_16discard_iteratorINSA_11use_defaultEEES6_EEENSH_IJSG_SG_EEES6_PlJNSB_9not_fun_tINSB_14equal_to_valueIfEEEEEEE10hipError_tPvRmT3_T4_T5_T6_T7_T9_mT8_P12ihipStream_tbDpT10_ENKUlT_T0_E_clISt17integral_constantIbLb0EES1A_IbLb1EEEEDaS16_S17_EUlS16_E_NS1_11comp_targetILNS1_3genE5ELNS1_11target_archE942ELNS1_3gpuE9ELNS1_3repE0EEENS1_30default_config_static_selectorELNS0_4arch9wavefront6targetE0EEEvT1_.has_recursion, 0
	.set _ZN7rocprim17ROCPRIM_400000_NS6detail17trampoline_kernelINS0_14default_configENS1_25partition_config_selectorILNS1_17partition_subalgoE6EfNS0_10empty_typeEbEEZZNS1_14partition_implILS5_6ELb0ES3_mN6thrust23THRUST_200600_302600_NS6detail15normal_iteratorINSA_10device_ptrIfEEEEPS6_SG_NS0_5tupleIJNSA_16discard_iteratorINSA_11use_defaultEEES6_EEENSH_IJSG_SG_EEES6_PlJNSB_9not_fun_tINSB_14equal_to_valueIfEEEEEEE10hipError_tPvRmT3_T4_T5_T6_T7_T9_mT8_P12ihipStream_tbDpT10_ENKUlT_T0_E_clISt17integral_constantIbLb0EES1A_IbLb1EEEEDaS16_S17_EUlS16_E_NS1_11comp_targetILNS1_3genE5ELNS1_11target_archE942ELNS1_3gpuE9ELNS1_3repE0EEENS1_30default_config_static_selectorELNS0_4arch9wavefront6targetE0EEEvT1_.has_indirect_call, 0
	.section	.AMDGPU.csdata,"",@progbits
; Kernel info:
; codeLenInByte = 0
; TotalNumSgprs: 0
; NumVgprs: 0
; ScratchSize: 0
; MemoryBound: 0
; FloatMode: 240
; IeeeMode: 1
; LDSByteSize: 0 bytes/workgroup (compile time only)
; SGPRBlocks: 0
; VGPRBlocks: 0
; NumSGPRsForWavesPerEU: 1
; NumVGPRsForWavesPerEU: 1
; Occupancy: 16
; WaveLimiterHint : 0
; COMPUTE_PGM_RSRC2:SCRATCH_EN: 0
; COMPUTE_PGM_RSRC2:USER_SGPR: 2
; COMPUTE_PGM_RSRC2:TRAP_HANDLER: 0
; COMPUTE_PGM_RSRC2:TGID_X_EN: 1
; COMPUTE_PGM_RSRC2:TGID_Y_EN: 0
; COMPUTE_PGM_RSRC2:TGID_Z_EN: 0
; COMPUTE_PGM_RSRC2:TIDIG_COMP_CNT: 0
	.section	.text._ZN7rocprim17ROCPRIM_400000_NS6detail17trampoline_kernelINS0_14default_configENS1_25partition_config_selectorILNS1_17partition_subalgoE6EfNS0_10empty_typeEbEEZZNS1_14partition_implILS5_6ELb0ES3_mN6thrust23THRUST_200600_302600_NS6detail15normal_iteratorINSA_10device_ptrIfEEEEPS6_SG_NS0_5tupleIJNSA_16discard_iteratorINSA_11use_defaultEEES6_EEENSH_IJSG_SG_EEES6_PlJNSB_9not_fun_tINSB_14equal_to_valueIfEEEEEEE10hipError_tPvRmT3_T4_T5_T6_T7_T9_mT8_P12ihipStream_tbDpT10_ENKUlT_T0_E_clISt17integral_constantIbLb0EES1A_IbLb1EEEEDaS16_S17_EUlS16_E_NS1_11comp_targetILNS1_3genE4ELNS1_11target_archE910ELNS1_3gpuE8ELNS1_3repE0EEENS1_30default_config_static_selectorELNS0_4arch9wavefront6targetE0EEEvT1_,"axG",@progbits,_ZN7rocprim17ROCPRIM_400000_NS6detail17trampoline_kernelINS0_14default_configENS1_25partition_config_selectorILNS1_17partition_subalgoE6EfNS0_10empty_typeEbEEZZNS1_14partition_implILS5_6ELb0ES3_mN6thrust23THRUST_200600_302600_NS6detail15normal_iteratorINSA_10device_ptrIfEEEEPS6_SG_NS0_5tupleIJNSA_16discard_iteratorINSA_11use_defaultEEES6_EEENSH_IJSG_SG_EEES6_PlJNSB_9not_fun_tINSB_14equal_to_valueIfEEEEEEE10hipError_tPvRmT3_T4_T5_T6_T7_T9_mT8_P12ihipStream_tbDpT10_ENKUlT_T0_E_clISt17integral_constantIbLb0EES1A_IbLb1EEEEDaS16_S17_EUlS16_E_NS1_11comp_targetILNS1_3genE4ELNS1_11target_archE910ELNS1_3gpuE8ELNS1_3repE0EEENS1_30default_config_static_selectorELNS0_4arch9wavefront6targetE0EEEvT1_,comdat
	.protected	_ZN7rocprim17ROCPRIM_400000_NS6detail17trampoline_kernelINS0_14default_configENS1_25partition_config_selectorILNS1_17partition_subalgoE6EfNS0_10empty_typeEbEEZZNS1_14partition_implILS5_6ELb0ES3_mN6thrust23THRUST_200600_302600_NS6detail15normal_iteratorINSA_10device_ptrIfEEEEPS6_SG_NS0_5tupleIJNSA_16discard_iteratorINSA_11use_defaultEEES6_EEENSH_IJSG_SG_EEES6_PlJNSB_9not_fun_tINSB_14equal_to_valueIfEEEEEEE10hipError_tPvRmT3_T4_T5_T6_T7_T9_mT8_P12ihipStream_tbDpT10_ENKUlT_T0_E_clISt17integral_constantIbLb0EES1A_IbLb1EEEEDaS16_S17_EUlS16_E_NS1_11comp_targetILNS1_3genE4ELNS1_11target_archE910ELNS1_3gpuE8ELNS1_3repE0EEENS1_30default_config_static_selectorELNS0_4arch9wavefront6targetE0EEEvT1_ ; -- Begin function _ZN7rocprim17ROCPRIM_400000_NS6detail17trampoline_kernelINS0_14default_configENS1_25partition_config_selectorILNS1_17partition_subalgoE6EfNS0_10empty_typeEbEEZZNS1_14partition_implILS5_6ELb0ES3_mN6thrust23THRUST_200600_302600_NS6detail15normal_iteratorINSA_10device_ptrIfEEEEPS6_SG_NS0_5tupleIJNSA_16discard_iteratorINSA_11use_defaultEEES6_EEENSH_IJSG_SG_EEES6_PlJNSB_9not_fun_tINSB_14equal_to_valueIfEEEEEEE10hipError_tPvRmT3_T4_T5_T6_T7_T9_mT8_P12ihipStream_tbDpT10_ENKUlT_T0_E_clISt17integral_constantIbLb0EES1A_IbLb1EEEEDaS16_S17_EUlS16_E_NS1_11comp_targetILNS1_3genE4ELNS1_11target_archE910ELNS1_3gpuE8ELNS1_3repE0EEENS1_30default_config_static_selectorELNS0_4arch9wavefront6targetE0EEEvT1_
	.globl	_ZN7rocprim17ROCPRIM_400000_NS6detail17trampoline_kernelINS0_14default_configENS1_25partition_config_selectorILNS1_17partition_subalgoE6EfNS0_10empty_typeEbEEZZNS1_14partition_implILS5_6ELb0ES3_mN6thrust23THRUST_200600_302600_NS6detail15normal_iteratorINSA_10device_ptrIfEEEEPS6_SG_NS0_5tupleIJNSA_16discard_iteratorINSA_11use_defaultEEES6_EEENSH_IJSG_SG_EEES6_PlJNSB_9not_fun_tINSB_14equal_to_valueIfEEEEEEE10hipError_tPvRmT3_T4_T5_T6_T7_T9_mT8_P12ihipStream_tbDpT10_ENKUlT_T0_E_clISt17integral_constantIbLb0EES1A_IbLb1EEEEDaS16_S17_EUlS16_E_NS1_11comp_targetILNS1_3genE4ELNS1_11target_archE910ELNS1_3gpuE8ELNS1_3repE0EEENS1_30default_config_static_selectorELNS0_4arch9wavefront6targetE0EEEvT1_
	.p2align	8
	.type	_ZN7rocprim17ROCPRIM_400000_NS6detail17trampoline_kernelINS0_14default_configENS1_25partition_config_selectorILNS1_17partition_subalgoE6EfNS0_10empty_typeEbEEZZNS1_14partition_implILS5_6ELb0ES3_mN6thrust23THRUST_200600_302600_NS6detail15normal_iteratorINSA_10device_ptrIfEEEEPS6_SG_NS0_5tupleIJNSA_16discard_iteratorINSA_11use_defaultEEES6_EEENSH_IJSG_SG_EEES6_PlJNSB_9not_fun_tINSB_14equal_to_valueIfEEEEEEE10hipError_tPvRmT3_T4_T5_T6_T7_T9_mT8_P12ihipStream_tbDpT10_ENKUlT_T0_E_clISt17integral_constantIbLb0EES1A_IbLb1EEEEDaS16_S17_EUlS16_E_NS1_11comp_targetILNS1_3genE4ELNS1_11target_archE910ELNS1_3gpuE8ELNS1_3repE0EEENS1_30default_config_static_selectorELNS0_4arch9wavefront6targetE0EEEvT1_,@function
_ZN7rocprim17ROCPRIM_400000_NS6detail17trampoline_kernelINS0_14default_configENS1_25partition_config_selectorILNS1_17partition_subalgoE6EfNS0_10empty_typeEbEEZZNS1_14partition_implILS5_6ELb0ES3_mN6thrust23THRUST_200600_302600_NS6detail15normal_iteratorINSA_10device_ptrIfEEEEPS6_SG_NS0_5tupleIJNSA_16discard_iteratorINSA_11use_defaultEEES6_EEENSH_IJSG_SG_EEES6_PlJNSB_9not_fun_tINSB_14equal_to_valueIfEEEEEEE10hipError_tPvRmT3_T4_T5_T6_T7_T9_mT8_P12ihipStream_tbDpT10_ENKUlT_T0_E_clISt17integral_constantIbLb0EES1A_IbLb1EEEEDaS16_S17_EUlS16_E_NS1_11comp_targetILNS1_3genE4ELNS1_11target_archE910ELNS1_3gpuE8ELNS1_3repE0EEENS1_30default_config_static_selectorELNS0_4arch9wavefront6targetE0EEEvT1_: ; @_ZN7rocprim17ROCPRIM_400000_NS6detail17trampoline_kernelINS0_14default_configENS1_25partition_config_selectorILNS1_17partition_subalgoE6EfNS0_10empty_typeEbEEZZNS1_14partition_implILS5_6ELb0ES3_mN6thrust23THRUST_200600_302600_NS6detail15normal_iteratorINSA_10device_ptrIfEEEEPS6_SG_NS0_5tupleIJNSA_16discard_iteratorINSA_11use_defaultEEES6_EEENSH_IJSG_SG_EEES6_PlJNSB_9not_fun_tINSB_14equal_to_valueIfEEEEEEE10hipError_tPvRmT3_T4_T5_T6_T7_T9_mT8_P12ihipStream_tbDpT10_ENKUlT_T0_E_clISt17integral_constantIbLb0EES1A_IbLb1EEEEDaS16_S17_EUlS16_E_NS1_11comp_targetILNS1_3genE4ELNS1_11target_archE910ELNS1_3gpuE8ELNS1_3repE0EEENS1_30default_config_static_selectorELNS0_4arch9wavefront6targetE0EEEvT1_
; %bb.0:
	.section	.rodata,"a",@progbits
	.p2align	6, 0x0
	.amdhsa_kernel _ZN7rocprim17ROCPRIM_400000_NS6detail17trampoline_kernelINS0_14default_configENS1_25partition_config_selectorILNS1_17partition_subalgoE6EfNS0_10empty_typeEbEEZZNS1_14partition_implILS5_6ELb0ES3_mN6thrust23THRUST_200600_302600_NS6detail15normal_iteratorINSA_10device_ptrIfEEEEPS6_SG_NS0_5tupleIJNSA_16discard_iteratorINSA_11use_defaultEEES6_EEENSH_IJSG_SG_EEES6_PlJNSB_9not_fun_tINSB_14equal_to_valueIfEEEEEEE10hipError_tPvRmT3_T4_T5_T6_T7_T9_mT8_P12ihipStream_tbDpT10_ENKUlT_T0_E_clISt17integral_constantIbLb0EES1A_IbLb1EEEEDaS16_S17_EUlS16_E_NS1_11comp_targetILNS1_3genE4ELNS1_11target_archE910ELNS1_3gpuE8ELNS1_3repE0EEENS1_30default_config_static_selectorELNS0_4arch9wavefront6targetE0EEEvT1_
		.amdhsa_group_segment_fixed_size 0
		.amdhsa_private_segment_fixed_size 0
		.amdhsa_kernarg_size 136
		.amdhsa_user_sgpr_count 2
		.amdhsa_user_sgpr_dispatch_ptr 0
		.amdhsa_user_sgpr_queue_ptr 0
		.amdhsa_user_sgpr_kernarg_segment_ptr 1
		.amdhsa_user_sgpr_dispatch_id 0
		.amdhsa_user_sgpr_private_segment_size 0
		.amdhsa_wavefront_size32 1
		.amdhsa_uses_dynamic_stack 0
		.amdhsa_enable_private_segment 0
		.amdhsa_system_sgpr_workgroup_id_x 1
		.amdhsa_system_sgpr_workgroup_id_y 0
		.amdhsa_system_sgpr_workgroup_id_z 0
		.amdhsa_system_sgpr_workgroup_info 0
		.amdhsa_system_vgpr_workitem_id 0
		.amdhsa_next_free_vgpr 1
		.amdhsa_next_free_sgpr 1
		.amdhsa_reserve_vcc 0
		.amdhsa_float_round_mode_32 0
		.amdhsa_float_round_mode_16_64 0
		.amdhsa_float_denorm_mode_32 3
		.amdhsa_float_denorm_mode_16_64 3
		.amdhsa_fp16_overflow 0
		.amdhsa_workgroup_processor_mode 1
		.amdhsa_memory_ordered 1
		.amdhsa_forward_progress 1
		.amdhsa_inst_pref_size 0
		.amdhsa_round_robin_scheduling 0
		.amdhsa_exception_fp_ieee_invalid_op 0
		.amdhsa_exception_fp_denorm_src 0
		.amdhsa_exception_fp_ieee_div_zero 0
		.amdhsa_exception_fp_ieee_overflow 0
		.amdhsa_exception_fp_ieee_underflow 0
		.amdhsa_exception_fp_ieee_inexact 0
		.amdhsa_exception_int_div_zero 0
	.end_amdhsa_kernel
	.section	.text._ZN7rocprim17ROCPRIM_400000_NS6detail17trampoline_kernelINS0_14default_configENS1_25partition_config_selectorILNS1_17partition_subalgoE6EfNS0_10empty_typeEbEEZZNS1_14partition_implILS5_6ELb0ES3_mN6thrust23THRUST_200600_302600_NS6detail15normal_iteratorINSA_10device_ptrIfEEEEPS6_SG_NS0_5tupleIJNSA_16discard_iteratorINSA_11use_defaultEEES6_EEENSH_IJSG_SG_EEES6_PlJNSB_9not_fun_tINSB_14equal_to_valueIfEEEEEEE10hipError_tPvRmT3_T4_T5_T6_T7_T9_mT8_P12ihipStream_tbDpT10_ENKUlT_T0_E_clISt17integral_constantIbLb0EES1A_IbLb1EEEEDaS16_S17_EUlS16_E_NS1_11comp_targetILNS1_3genE4ELNS1_11target_archE910ELNS1_3gpuE8ELNS1_3repE0EEENS1_30default_config_static_selectorELNS0_4arch9wavefront6targetE0EEEvT1_,"axG",@progbits,_ZN7rocprim17ROCPRIM_400000_NS6detail17trampoline_kernelINS0_14default_configENS1_25partition_config_selectorILNS1_17partition_subalgoE6EfNS0_10empty_typeEbEEZZNS1_14partition_implILS5_6ELb0ES3_mN6thrust23THRUST_200600_302600_NS6detail15normal_iteratorINSA_10device_ptrIfEEEEPS6_SG_NS0_5tupleIJNSA_16discard_iteratorINSA_11use_defaultEEES6_EEENSH_IJSG_SG_EEES6_PlJNSB_9not_fun_tINSB_14equal_to_valueIfEEEEEEE10hipError_tPvRmT3_T4_T5_T6_T7_T9_mT8_P12ihipStream_tbDpT10_ENKUlT_T0_E_clISt17integral_constantIbLb0EES1A_IbLb1EEEEDaS16_S17_EUlS16_E_NS1_11comp_targetILNS1_3genE4ELNS1_11target_archE910ELNS1_3gpuE8ELNS1_3repE0EEENS1_30default_config_static_selectorELNS0_4arch9wavefront6targetE0EEEvT1_,comdat
.Lfunc_end1623:
	.size	_ZN7rocprim17ROCPRIM_400000_NS6detail17trampoline_kernelINS0_14default_configENS1_25partition_config_selectorILNS1_17partition_subalgoE6EfNS0_10empty_typeEbEEZZNS1_14partition_implILS5_6ELb0ES3_mN6thrust23THRUST_200600_302600_NS6detail15normal_iteratorINSA_10device_ptrIfEEEEPS6_SG_NS0_5tupleIJNSA_16discard_iteratorINSA_11use_defaultEEES6_EEENSH_IJSG_SG_EEES6_PlJNSB_9not_fun_tINSB_14equal_to_valueIfEEEEEEE10hipError_tPvRmT3_T4_T5_T6_T7_T9_mT8_P12ihipStream_tbDpT10_ENKUlT_T0_E_clISt17integral_constantIbLb0EES1A_IbLb1EEEEDaS16_S17_EUlS16_E_NS1_11comp_targetILNS1_3genE4ELNS1_11target_archE910ELNS1_3gpuE8ELNS1_3repE0EEENS1_30default_config_static_selectorELNS0_4arch9wavefront6targetE0EEEvT1_, .Lfunc_end1623-_ZN7rocprim17ROCPRIM_400000_NS6detail17trampoline_kernelINS0_14default_configENS1_25partition_config_selectorILNS1_17partition_subalgoE6EfNS0_10empty_typeEbEEZZNS1_14partition_implILS5_6ELb0ES3_mN6thrust23THRUST_200600_302600_NS6detail15normal_iteratorINSA_10device_ptrIfEEEEPS6_SG_NS0_5tupleIJNSA_16discard_iteratorINSA_11use_defaultEEES6_EEENSH_IJSG_SG_EEES6_PlJNSB_9not_fun_tINSB_14equal_to_valueIfEEEEEEE10hipError_tPvRmT3_T4_T5_T6_T7_T9_mT8_P12ihipStream_tbDpT10_ENKUlT_T0_E_clISt17integral_constantIbLb0EES1A_IbLb1EEEEDaS16_S17_EUlS16_E_NS1_11comp_targetILNS1_3genE4ELNS1_11target_archE910ELNS1_3gpuE8ELNS1_3repE0EEENS1_30default_config_static_selectorELNS0_4arch9wavefront6targetE0EEEvT1_
                                        ; -- End function
	.set _ZN7rocprim17ROCPRIM_400000_NS6detail17trampoline_kernelINS0_14default_configENS1_25partition_config_selectorILNS1_17partition_subalgoE6EfNS0_10empty_typeEbEEZZNS1_14partition_implILS5_6ELb0ES3_mN6thrust23THRUST_200600_302600_NS6detail15normal_iteratorINSA_10device_ptrIfEEEEPS6_SG_NS0_5tupleIJNSA_16discard_iteratorINSA_11use_defaultEEES6_EEENSH_IJSG_SG_EEES6_PlJNSB_9not_fun_tINSB_14equal_to_valueIfEEEEEEE10hipError_tPvRmT3_T4_T5_T6_T7_T9_mT8_P12ihipStream_tbDpT10_ENKUlT_T0_E_clISt17integral_constantIbLb0EES1A_IbLb1EEEEDaS16_S17_EUlS16_E_NS1_11comp_targetILNS1_3genE4ELNS1_11target_archE910ELNS1_3gpuE8ELNS1_3repE0EEENS1_30default_config_static_selectorELNS0_4arch9wavefront6targetE0EEEvT1_.num_vgpr, 0
	.set _ZN7rocprim17ROCPRIM_400000_NS6detail17trampoline_kernelINS0_14default_configENS1_25partition_config_selectorILNS1_17partition_subalgoE6EfNS0_10empty_typeEbEEZZNS1_14partition_implILS5_6ELb0ES3_mN6thrust23THRUST_200600_302600_NS6detail15normal_iteratorINSA_10device_ptrIfEEEEPS6_SG_NS0_5tupleIJNSA_16discard_iteratorINSA_11use_defaultEEES6_EEENSH_IJSG_SG_EEES6_PlJNSB_9not_fun_tINSB_14equal_to_valueIfEEEEEEE10hipError_tPvRmT3_T4_T5_T6_T7_T9_mT8_P12ihipStream_tbDpT10_ENKUlT_T0_E_clISt17integral_constantIbLb0EES1A_IbLb1EEEEDaS16_S17_EUlS16_E_NS1_11comp_targetILNS1_3genE4ELNS1_11target_archE910ELNS1_3gpuE8ELNS1_3repE0EEENS1_30default_config_static_selectorELNS0_4arch9wavefront6targetE0EEEvT1_.num_agpr, 0
	.set _ZN7rocprim17ROCPRIM_400000_NS6detail17trampoline_kernelINS0_14default_configENS1_25partition_config_selectorILNS1_17partition_subalgoE6EfNS0_10empty_typeEbEEZZNS1_14partition_implILS5_6ELb0ES3_mN6thrust23THRUST_200600_302600_NS6detail15normal_iteratorINSA_10device_ptrIfEEEEPS6_SG_NS0_5tupleIJNSA_16discard_iteratorINSA_11use_defaultEEES6_EEENSH_IJSG_SG_EEES6_PlJNSB_9not_fun_tINSB_14equal_to_valueIfEEEEEEE10hipError_tPvRmT3_T4_T5_T6_T7_T9_mT8_P12ihipStream_tbDpT10_ENKUlT_T0_E_clISt17integral_constantIbLb0EES1A_IbLb1EEEEDaS16_S17_EUlS16_E_NS1_11comp_targetILNS1_3genE4ELNS1_11target_archE910ELNS1_3gpuE8ELNS1_3repE0EEENS1_30default_config_static_selectorELNS0_4arch9wavefront6targetE0EEEvT1_.numbered_sgpr, 0
	.set _ZN7rocprim17ROCPRIM_400000_NS6detail17trampoline_kernelINS0_14default_configENS1_25partition_config_selectorILNS1_17partition_subalgoE6EfNS0_10empty_typeEbEEZZNS1_14partition_implILS5_6ELb0ES3_mN6thrust23THRUST_200600_302600_NS6detail15normal_iteratorINSA_10device_ptrIfEEEEPS6_SG_NS0_5tupleIJNSA_16discard_iteratorINSA_11use_defaultEEES6_EEENSH_IJSG_SG_EEES6_PlJNSB_9not_fun_tINSB_14equal_to_valueIfEEEEEEE10hipError_tPvRmT3_T4_T5_T6_T7_T9_mT8_P12ihipStream_tbDpT10_ENKUlT_T0_E_clISt17integral_constantIbLb0EES1A_IbLb1EEEEDaS16_S17_EUlS16_E_NS1_11comp_targetILNS1_3genE4ELNS1_11target_archE910ELNS1_3gpuE8ELNS1_3repE0EEENS1_30default_config_static_selectorELNS0_4arch9wavefront6targetE0EEEvT1_.num_named_barrier, 0
	.set _ZN7rocprim17ROCPRIM_400000_NS6detail17trampoline_kernelINS0_14default_configENS1_25partition_config_selectorILNS1_17partition_subalgoE6EfNS0_10empty_typeEbEEZZNS1_14partition_implILS5_6ELb0ES3_mN6thrust23THRUST_200600_302600_NS6detail15normal_iteratorINSA_10device_ptrIfEEEEPS6_SG_NS0_5tupleIJNSA_16discard_iteratorINSA_11use_defaultEEES6_EEENSH_IJSG_SG_EEES6_PlJNSB_9not_fun_tINSB_14equal_to_valueIfEEEEEEE10hipError_tPvRmT3_T4_T5_T6_T7_T9_mT8_P12ihipStream_tbDpT10_ENKUlT_T0_E_clISt17integral_constantIbLb0EES1A_IbLb1EEEEDaS16_S17_EUlS16_E_NS1_11comp_targetILNS1_3genE4ELNS1_11target_archE910ELNS1_3gpuE8ELNS1_3repE0EEENS1_30default_config_static_selectorELNS0_4arch9wavefront6targetE0EEEvT1_.private_seg_size, 0
	.set _ZN7rocprim17ROCPRIM_400000_NS6detail17trampoline_kernelINS0_14default_configENS1_25partition_config_selectorILNS1_17partition_subalgoE6EfNS0_10empty_typeEbEEZZNS1_14partition_implILS5_6ELb0ES3_mN6thrust23THRUST_200600_302600_NS6detail15normal_iteratorINSA_10device_ptrIfEEEEPS6_SG_NS0_5tupleIJNSA_16discard_iteratorINSA_11use_defaultEEES6_EEENSH_IJSG_SG_EEES6_PlJNSB_9not_fun_tINSB_14equal_to_valueIfEEEEEEE10hipError_tPvRmT3_T4_T5_T6_T7_T9_mT8_P12ihipStream_tbDpT10_ENKUlT_T0_E_clISt17integral_constantIbLb0EES1A_IbLb1EEEEDaS16_S17_EUlS16_E_NS1_11comp_targetILNS1_3genE4ELNS1_11target_archE910ELNS1_3gpuE8ELNS1_3repE0EEENS1_30default_config_static_selectorELNS0_4arch9wavefront6targetE0EEEvT1_.uses_vcc, 0
	.set _ZN7rocprim17ROCPRIM_400000_NS6detail17trampoline_kernelINS0_14default_configENS1_25partition_config_selectorILNS1_17partition_subalgoE6EfNS0_10empty_typeEbEEZZNS1_14partition_implILS5_6ELb0ES3_mN6thrust23THRUST_200600_302600_NS6detail15normal_iteratorINSA_10device_ptrIfEEEEPS6_SG_NS0_5tupleIJNSA_16discard_iteratorINSA_11use_defaultEEES6_EEENSH_IJSG_SG_EEES6_PlJNSB_9not_fun_tINSB_14equal_to_valueIfEEEEEEE10hipError_tPvRmT3_T4_T5_T6_T7_T9_mT8_P12ihipStream_tbDpT10_ENKUlT_T0_E_clISt17integral_constantIbLb0EES1A_IbLb1EEEEDaS16_S17_EUlS16_E_NS1_11comp_targetILNS1_3genE4ELNS1_11target_archE910ELNS1_3gpuE8ELNS1_3repE0EEENS1_30default_config_static_selectorELNS0_4arch9wavefront6targetE0EEEvT1_.uses_flat_scratch, 0
	.set _ZN7rocprim17ROCPRIM_400000_NS6detail17trampoline_kernelINS0_14default_configENS1_25partition_config_selectorILNS1_17partition_subalgoE6EfNS0_10empty_typeEbEEZZNS1_14partition_implILS5_6ELb0ES3_mN6thrust23THRUST_200600_302600_NS6detail15normal_iteratorINSA_10device_ptrIfEEEEPS6_SG_NS0_5tupleIJNSA_16discard_iteratorINSA_11use_defaultEEES6_EEENSH_IJSG_SG_EEES6_PlJNSB_9not_fun_tINSB_14equal_to_valueIfEEEEEEE10hipError_tPvRmT3_T4_T5_T6_T7_T9_mT8_P12ihipStream_tbDpT10_ENKUlT_T0_E_clISt17integral_constantIbLb0EES1A_IbLb1EEEEDaS16_S17_EUlS16_E_NS1_11comp_targetILNS1_3genE4ELNS1_11target_archE910ELNS1_3gpuE8ELNS1_3repE0EEENS1_30default_config_static_selectorELNS0_4arch9wavefront6targetE0EEEvT1_.has_dyn_sized_stack, 0
	.set _ZN7rocprim17ROCPRIM_400000_NS6detail17trampoline_kernelINS0_14default_configENS1_25partition_config_selectorILNS1_17partition_subalgoE6EfNS0_10empty_typeEbEEZZNS1_14partition_implILS5_6ELb0ES3_mN6thrust23THRUST_200600_302600_NS6detail15normal_iteratorINSA_10device_ptrIfEEEEPS6_SG_NS0_5tupleIJNSA_16discard_iteratorINSA_11use_defaultEEES6_EEENSH_IJSG_SG_EEES6_PlJNSB_9not_fun_tINSB_14equal_to_valueIfEEEEEEE10hipError_tPvRmT3_T4_T5_T6_T7_T9_mT8_P12ihipStream_tbDpT10_ENKUlT_T0_E_clISt17integral_constantIbLb0EES1A_IbLb1EEEEDaS16_S17_EUlS16_E_NS1_11comp_targetILNS1_3genE4ELNS1_11target_archE910ELNS1_3gpuE8ELNS1_3repE0EEENS1_30default_config_static_selectorELNS0_4arch9wavefront6targetE0EEEvT1_.has_recursion, 0
	.set _ZN7rocprim17ROCPRIM_400000_NS6detail17trampoline_kernelINS0_14default_configENS1_25partition_config_selectorILNS1_17partition_subalgoE6EfNS0_10empty_typeEbEEZZNS1_14partition_implILS5_6ELb0ES3_mN6thrust23THRUST_200600_302600_NS6detail15normal_iteratorINSA_10device_ptrIfEEEEPS6_SG_NS0_5tupleIJNSA_16discard_iteratorINSA_11use_defaultEEES6_EEENSH_IJSG_SG_EEES6_PlJNSB_9not_fun_tINSB_14equal_to_valueIfEEEEEEE10hipError_tPvRmT3_T4_T5_T6_T7_T9_mT8_P12ihipStream_tbDpT10_ENKUlT_T0_E_clISt17integral_constantIbLb0EES1A_IbLb1EEEEDaS16_S17_EUlS16_E_NS1_11comp_targetILNS1_3genE4ELNS1_11target_archE910ELNS1_3gpuE8ELNS1_3repE0EEENS1_30default_config_static_selectorELNS0_4arch9wavefront6targetE0EEEvT1_.has_indirect_call, 0
	.section	.AMDGPU.csdata,"",@progbits
; Kernel info:
; codeLenInByte = 0
; TotalNumSgprs: 0
; NumVgprs: 0
; ScratchSize: 0
; MemoryBound: 0
; FloatMode: 240
; IeeeMode: 1
; LDSByteSize: 0 bytes/workgroup (compile time only)
; SGPRBlocks: 0
; VGPRBlocks: 0
; NumSGPRsForWavesPerEU: 1
; NumVGPRsForWavesPerEU: 1
; Occupancy: 16
; WaveLimiterHint : 0
; COMPUTE_PGM_RSRC2:SCRATCH_EN: 0
; COMPUTE_PGM_RSRC2:USER_SGPR: 2
; COMPUTE_PGM_RSRC2:TRAP_HANDLER: 0
; COMPUTE_PGM_RSRC2:TGID_X_EN: 1
; COMPUTE_PGM_RSRC2:TGID_Y_EN: 0
; COMPUTE_PGM_RSRC2:TGID_Z_EN: 0
; COMPUTE_PGM_RSRC2:TIDIG_COMP_CNT: 0
	.section	.text._ZN7rocprim17ROCPRIM_400000_NS6detail17trampoline_kernelINS0_14default_configENS1_25partition_config_selectorILNS1_17partition_subalgoE6EfNS0_10empty_typeEbEEZZNS1_14partition_implILS5_6ELb0ES3_mN6thrust23THRUST_200600_302600_NS6detail15normal_iteratorINSA_10device_ptrIfEEEEPS6_SG_NS0_5tupleIJNSA_16discard_iteratorINSA_11use_defaultEEES6_EEENSH_IJSG_SG_EEES6_PlJNSB_9not_fun_tINSB_14equal_to_valueIfEEEEEEE10hipError_tPvRmT3_T4_T5_T6_T7_T9_mT8_P12ihipStream_tbDpT10_ENKUlT_T0_E_clISt17integral_constantIbLb0EES1A_IbLb1EEEEDaS16_S17_EUlS16_E_NS1_11comp_targetILNS1_3genE3ELNS1_11target_archE908ELNS1_3gpuE7ELNS1_3repE0EEENS1_30default_config_static_selectorELNS0_4arch9wavefront6targetE0EEEvT1_,"axG",@progbits,_ZN7rocprim17ROCPRIM_400000_NS6detail17trampoline_kernelINS0_14default_configENS1_25partition_config_selectorILNS1_17partition_subalgoE6EfNS0_10empty_typeEbEEZZNS1_14partition_implILS5_6ELb0ES3_mN6thrust23THRUST_200600_302600_NS6detail15normal_iteratorINSA_10device_ptrIfEEEEPS6_SG_NS0_5tupleIJNSA_16discard_iteratorINSA_11use_defaultEEES6_EEENSH_IJSG_SG_EEES6_PlJNSB_9not_fun_tINSB_14equal_to_valueIfEEEEEEE10hipError_tPvRmT3_T4_T5_T6_T7_T9_mT8_P12ihipStream_tbDpT10_ENKUlT_T0_E_clISt17integral_constantIbLb0EES1A_IbLb1EEEEDaS16_S17_EUlS16_E_NS1_11comp_targetILNS1_3genE3ELNS1_11target_archE908ELNS1_3gpuE7ELNS1_3repE0EEENS1_30default_config_static_selectorELNS0_4arch9wavefront6targetE0EEEvT1_,comdat
	.protected	_ZN7rocprim17ROCPRIM_400000_NS6detail17trampoline_kernelINS0_14default_configENS1_25partition_config_selectorILNS1_17partition_subalgoE6EfNS0_10empty_typeEbEEZZNS1_14partition_implILS5_6ELb0ES3_mN6thrust23THRUST_200600_302600_NS6detail15normal_iteratorINSA_10device_ptrIfEEEEPS6_SG_NS0_5tupleIJNSA_16discard_iteratorINSA_11use_defaultEEES6_EEENSH_IJSG_SG_EEES6_PlJNSB_9not_fun_tINSB_14equal_to_valueIfEEEEEEE10hipError_tPvRmT3_T4_T5_T6_T7_T9_mT8_P12ihipStream_tbDpT10_ENKUlT_T0_E_clISt17integral_constantIbLb0EES1A_IbLb1EEEEDaS16_S17_EUlS16_E_NS1_11comp_targetILNS1_3genE3ELNS1_11target_archE908ELNS1_3gpuE7ELNS1_3repE0EEENS1_30default_config_static_selectorELNS0_4arch9wavefront6targetE0EEEvT1_ ; -- Begin function _ZN7rocprim17ROCPRIM_400000_NS6detail17trampoline_kernelINS0_14default_configENS1_25partition_config_selectorILNS1_17partition_subalgoE6EfNS0_10empty_typeEbEEZZNS1_14partition_implILS5_6ELb0ES3_mN6thrust23THRUST_200600_302600_NS6detail15normal_iteratorINSA_10device_ptrIfEEEEPS6_SG_NS0_5tupleIJNSA_16discard_iteratorINSA_11use_defaultEEES6_EEENSH_IJSG_SG_EEES6_PlJNSB_9not_fun_tINSB_14equal_to_valueIfEEEEEEE10hipError_tPvRmT3_T4_T5_T6_T7_T9_mT8_P12ihipStream_tbDpT10_ENKUlT_T0_E_clISt17integral_constantIbLb0EES1A_IbLb1EEEEDaS16_S17_EUlS16_E_NS1_11comp_targetILNS1_3genE3ELNS1_11target_archE908ELNS1_3gpuE7ELNS1_3repE0EEENS1_30default_config_static_selectorELNS0_4arch9wavefront6targetE0EEEvT1_
	.globl	_ZN7rocprim17ROCPRIM_400000_NS6detail17trampoline_kernelINS0_14default_configENS1_25partition_config_selectorILNS1_17partition_subalgoE6EfNS0_10empty_typeEbEEZZNS1_14partition_implILS5_6ELb0ES3_mN6thrust23THRUST_200600_302600_NS6detail15normal_iteratorINSA_10device_ptrIfEEEEPS6_SG_NS0_5tupleIJNSA_16discard_iteratorINSA_11use_defaultEEES6_EEENSH_IJSG_SG_EEES6_PlJNSB_9not_fun_tINSB_14equal_to_valueIfEEEEEEE10hipError_tPvRmT3_T4_T5_T6_T7_T9_mT8_P12ihipStream_tbDpT10_ENKUlT_T0_E_clISt17integral_constantIbLb0EES1A_IbLb1EEEEDaS16_S17_EUlS16_E_NS1_11comp_targetILNS1_3genE3ELNS1_11target_archE908ELNS1_3gpuE7ELNS1_3repE0EEENS1_30default_config_static_selectorELNS0_4arch9wavefront6targetE0EEEvT1_
	.p2align	8
	.type	_ZN7rocprim17ROCPRIM_400000_NS6detail17trampoline_kernelINS0_14default_configENS1_25partition_config_selectorILNS1_17partition_subalgoE6EfNS0_10empty_typeEbEEZZNS1_14partition_implILS5_6ELb0ES3_mN6thrust23THRUST_200600_302600_NS6detail15normal_iteratorINSA_10device_ptrIfEEEEPS6_SG_NS0_5tupleIJNSA_16discard_iteratorINSA_11use_defaultEEES6_EEENSH_IJSG_SG_EEES6_PlJNSB_9not_fun_tINSB_14equal_to_valueIfEEEEEEE10hipError_tPvRmT3_T4_T5_T6_T7_T9_mT8_P12ihipStream_tbDpT10_ENKUlT_T0_E_clISt17integral_constantIbLb0EES1A_IbLb1EEEEDaS16_S17_EUlS16_E_NS1_11comp_targetILNS1_3genE3ELNS1_11target_archE908ELNS1_3gpuE7ELNS1_3repE0EEENS1_30default_config_static_selectorELNS0_4arch9wavefront6targetE0EEEvT1_,@function
_ZN7rocprim17ROCPRIM_400000_NS6detail17trampoline_kernelINS0_14default_configENS1_25partition_config_selectorILNS1_17partition_subalgoE6EfNS0_10empty_typeEbEEZZNS1_14partition_implILS5_6ELb0ES3_mN6thrust23THRUST_200600_302600_NS6detail15normal_iteratorINSA_10device_ptrIfEEEEPS6_SG_NS0_5tupleIJNSA_16discard_iteratorINSA_11use_defaultEEES6_EEENSH_IJSG_SG_EEES6_PlJNSB_9not_fun_tINSB_14equal_to_valueIfEEEEEEE10hipError_tPvRmT3_T4_T5_T6_T7_T9_mT8_P12ihipStream_tbDpT10_ENKUlT_T0_E_clISt17integral_constantIbLb0EES1A_IbLb1EEEEDaS16_S17_EUlS16_E_NS1_11comp_targetILNS1_3genE3ELNS1_11target_archE908ELNS1_3gpuE7ELNS1_3repE0EEENS1_30default_config_static_selectorELNS0_4arch9wavefront6targetE0EEEvT1_: ; @_ZN7rocprim17ROCPRIM_400000_NS6detail17trampoline_kernelINS0_14default_configENS1_25partition_config_selectorILNS1_17partition_subalgoE6EfNS0_10empty_typeEbEEZZNS1_14partition_implILS5_6ELb0ES3_mN6thrust23THRUST_200600_302600_NS6detail15normal_iteratorINSA_10device_ptrIfEEEEPS6_SG_NS0_5tupleIJNSA_16discard_iteratorINSA_11use_defaultEEES6_EEENSH_IJSG_SG_EEES6_PlJNSB_9not_fun_tINSB_14equal_to_valueIfEEEEEEE10hipError_tPvRmT3_T4_T5_T6_T7_T9_mT8_P12ihipStream_tbDpT10_ENKUlT_T0_E_clISt17integral_constantIbLb0EES1A_IbLb1EEEEDaS16_S17_EUlS16_E_NS1_11comp_targetILNS1_3genE3ELNS1_11target_archE908ELNS1_3gpuE7ELNS1_3repE0EEENS1_30default_config_static_selectorELNS0_4arch9wavefront6targetE0EEEvT1_
; %bb.0:
	.section	.rodata,"a",@progbits
	.p2align	6, 0x0
	.amdhsa_kernel _ZN7rocprim17ROCPRIM_400000_NS6detail17trampoline_kernelINS0_14default_configENS1_25partition_config_selectorILNS1_17partition_subalgoE6EfNS0_10empty_typeEbEEZZNS1_14partition_implILS5_6ELb0ES3_mN6thrust23THRUST_200600_302600_NS6detail15normal_iteratorINSA_10device_ptrIfEEEEPS6_SG_NS0_5tupleIJNSA_16discard_iteratorINSA_11use_defaultEEES6_EEENSH_IJSG_SG_EEES6_PlJNSB_9not_fun_tINSB_14equal_to_valueIfEEEEEEE10hipError_tPvRmT3_T4_T5_T6_T7_T9_mT8_P12ihipStream_tbDpT10_ENKUlT_T0_E_clISt17integral_constantIbLb0EES1A_IbLb1EEEEDaS16_S17_EUlS16_E_NS1_11comp_targetILNS1_3genE3ELNS1_11target_archE908ELNS1_3gpuE7ELNS1_3repE0EEENS1_30default_config_static_selectorELNS0_4arch9wavefront6targetE0EEEvT1_
		.amdhsa_group_segment_fixed_size 0
		.amdhsa_private_segment_fixed_size 0
		.amdhsa_kernarg_size 136
		.amdhsa_user_sgpr_count 2
		.amdhsa_user_sgpr_dispatch_ptr 0
		.amdhsa_user_sgpr_queue_ptr 0
		.amdhsa_user_sgpr_kernarg_segment_ptr 1
		.amdhsa_user_sgpr_dispatch_id 0
		.amdhsa_user_sgpr_private_segment_size 0
		.amdhsa_wavefront_size32 1
		.amdhsa_uses_dynamic_stack 0
		.amdhsa_enable_private_segment 0
		.amdhsa_system_sgpr_workgroup_id_x 1
		.amdhsa_system_sgpr_workgroup_id_y 0
		.amdhsa_system_sgpr_workgroup_id_z 0
		.amdhsa_system_sgpr_workgroup_info 0
		.amdhsa_system_vgpr_workitem_id 0
		.amdhsa_next_free_vgpr 1
		.amdhsa_next_free_sgpr 1
		.amdhsa_reserve_vcc 0
		.amdhsa_float_round_mode_32 0
		.amdhsa_float_round_mode_16_64 0
		.amdhsa_float_denorm_mode_32 3
		.amdhsa_float_denorm_mode_16_64 3
		.amdhsa_fp16_overflow 0
		.amdhsa_workgroup_processor_mode 1
		.amdhsa_memory_ordered 1
		.amdhsa_forward_progress 1
		.amdhsa_inst_pref_size 0
		.amdhsa_round_robin_scheduling 0
		.amdhsa_exception_fp_ieee_invalid_op 0
		.amdhsa_exception_fp_denorm_src 0
		.amdhsa_exception_fp_ieee_div_zero 0
		.amdhsa_exception_fp_ieee_overflow 0
		.amdhsa_exception_fp_ieee_underflow 0
		.amdhsa_exception_fp_ieee_inexact 0
		.amdhsa_exception_int_div_zero 0
	.end_amdhsa_kernel
	.section	.text._ZN7rocprim17ROCPRIM_400000_NS6detail17trampoline_kernelINS0_14default_configENS1_25partition_config_selectorILNS1_17partition_subalgoE6EfNS0_10empty_typeEbEEZZNS1_14partition_implILS5_6ELb0ES3_mN6thrust23THRUST_200600_302600_NS6detail15normal_iteratorINSA_10device_ptrIfEEEEPS6_SG_NS0_5tupleIJNSA_16discard_iteratorINSA_11use_defaultEEES6_EEENSH_IJSG_SG_EEES6_PlJNSB_9not_fun_tINSB_14equal_to_valueIfEEEEEEE10hipError_tPvRmT3_T4_T5_T6_T7_T9_mT8_P12ihipStream_tbDpT10_ENKUlT_T0_E_clISt17integral_constantIbLb0EES1A_IbLb1EEEEDaS16_S17_EUlS16_E_NS1_11comp_targetILNS1_3genE3ELNS1_11target_archE908ELNS1_3gpuE7ELNS1_3repE0EEENS1_30default_config_static_selectorELNS0_4arch9wavefront6targetE0EEEvT1_,"axG",@progbits,_ZN7rocprim17ROCPRIM_400000_NS6detail17trampoline_kernelINS0_14default_configENS1_25partition_config_selectorILNS1_17partition_subalgoE6EfNS0_10empty_typeEbEEZZNS1_14partition_implILS5_6ELb0ES3_mN6thrust23THRUST_200600_302600_NS6detail15normal_iteratorINSA_10device_ptrIfEEEEPS6_SG_NS0_5tupleIJNSA_16discard_iteratorINSA_11use_defaultEEES6_EEENSH_IJSG_SG_EEES6_PlJNSB_9not_fun_tINSB_14equal_to_valueIfEEEEEEE10hipError_tPvRmT3_T4_T5_T6_T7_T9_mT8_P12ihipStream_tbDpT10_ENKUlT_T0_E_clISt17integral_constantIbLb0EES1A_IbLb1EEEEDaS16_S17_EUlS16_E_NS1_11comp_targetILNS1_3genE3ELNS1_11target_archE908ELNS1_3gpuE7ELNS1_3repE0EEENS1_30default_config_static_selectorELNS0_4arch9wavefront6targetE0EEEvT1_,comdat
.Lfunc_end1624:
	.size	_ZN7rocprim17ROCPRIM_400000_NS6detail17trampoline_kernelINS0_14default_configENS1_25partition_config_selectorILNS1_17partition_subalgoE6EfNS0_10empty_typeEbEEZZNS1_14partition_implILS5_6ELb0ES3_mN6thrust23THRUST_200600_302600_NS6detail15normal_iteratorINSA_10device_ptrIfEEEEPS6_SG_NS0_5tupleIJNSA_16discard_iteratorINSA_11use_defaultEEES6_EEENSH_IJSG_SG_EEES6_PlJNSB_9not_fun_tINSB_14equal_to_valueIfEEEEEEE10hipError_tPvRmT3_T4_T5_T6_T7_T9_mT8_P12ihipStream_tbDpT10_ENKUlT_T0_E_clISt17integral_constantIbLb0EES1A_IbLb1EEEEDaS16_S17_EUlS16_E_NS1_11comp_targetILNS1_3genE3ELNS1_11target_archE908ELNS1_3gpuE7ELNS1_3repE0EEENS1_30default_config_static_selectorELNS0_4arch9wavefront6targetE0EEEvT1_, .Lfunc_end1624-_ZN7rocprim17ROCPRIM_400000_NS6detail17trampoline_kernelINS0_14default_configENS1_25partition_config_selectorILNS1_17partition_subalgoE6EfNS0_10empty_typeEbEEZZNS1_14partition_implILS5_6ELb0ES3_mN6thrust23THRUST_200600_302600_NS6detail15normal_iteratorINSA_10device_ptrIfEEEEPS6_SG_NS0_5tupleIJNSA_16discard_iteratorINSA_11use_defaultEEES6_EEENSH_IJSG_SG_EEES6_PlJNSB_9not_fun_tINSB_14equal_to_valueIfEEEEEEE10hipError_tPvRmT3_T4_T5_T6_T7_T9_mT8_P12ihipStream_tbDpT10_ENKUlT_T0_E_clISt17integral_constantIbLb0EES1A_IbLb1EEEEDaS16_S17_EUlS16_E_NS1_11comp_targetILNS1_3genE3ELNS1_11target_archE908ELNS1_3gpuE7ELNS1_3repE0EEENS1_30default_config_static_selectorELNS0_4arch9wavefront6targetE0EEEvT1_
                                        ; -- End function
	.set _ZN7rocprim17ROCPRIM_400000_NS6detail17trampoline_kernelINS0_14default_configENS1_25partition_config_selectorILNS1_17partition_subalgoE6EfNS0_10empty_typeEbEEZZNS1_14partition_implILS5_6ELb0ES3_mN6thrust23THRUST_200600_302600_NS6detail15normal_iteratorINSA_10device_ptrIfEEEEPS6_SG_NS0_5tupleIJNSA_16discard_iteratorINSA_11use_defaultEEES6_EEENSH_IJSG_SG_EEES6_PlJNSB_9not_fun_tINSB_14equal_to_valueIfEEEEEEE10hipError_tPvRmT3_T4_T5_T6_T7_T9_mT8_P12ihipStream_tbDpT10_ENKUlT_T0_E_clISt17integral_constantIbLb0EES1A_IbLb1EEEEDaS16_S17_EUlS16_E_NS1_11comp_targetILNS1_3genE3ELNS1_11target_archE908ELNS1_3gpuE7ELNS1_3repE0EEENS1_30default_config_static_selectorELNS0_4arch9wavefront6targetE0EEEvT1_.num_vgpr, 0
	.set _ZN7rocprim17ROCPRIM_400000_NS6detail17trampoline_kernelINS0_14default_configENS1_25partition_config_selectorILNS1_17partition_subalgoE6EfNS0_10empty_typeEbEEZZNS1_14partition_implILS5_6ELb0ES3_mN6thrust23THRUST_200600_302600_NS6detail15normal_iteratorINSA_10device_ptrIfEEEEPS6_SG_NS0_5tupleIJNSA_16discard_iteratorINSA_11use_defaultEEES6_EEENSH_IJSG_SG_EEES6_PlJNSB_9not_fun_tINSB_14equal_to_valueIfEEEEEEE10hipError_tPvRmT3_T4_T5_T6_T7_T9_mT8_P12ihipStream_tbDpT10_ENKUlT_T0_E_clISt17integral_constantIbLb0EES1A_IbLb1EEEEDaS16_S17_EUlS16_E_NS1_11comp_targetILNS1_3genE3ELNS1_11target_archE908ELNS1_3gpuE7ELNS1_3repE0EEENS1_30default_config_static_selectorELNS0_4arch9wavefront6targetE0EEEvT1_.num_agpr, 0
	.set _ZN7rocprim17ROCPRIM_400000_NS6detail17trampoline_kernelINS0_14default_configENS1_25partition_config_selectorILNS1_17partition_subalgoE6EfNS0_10empty_typeEbEEZZNS1_14partition_implILS5_6ELb0ES3_mN6thrust23THRUST_200600_302600_NS6detail15normal_iteratorINSA_10device_ptrIfEEEEPS6_SG_NS0_5tupleIJNSA_16discard_iteratorINSA_11use_defaultEEES6_EEENSH_IJSG_SG_EEES6_PlJNSB_9not_fun_tINSB_14equal_to_valueIfEEEEEEE10hipError_tPvRmT3_T4_T5_T6_T7_T9_mT8_P12ihipStream_tbDpT10_ENKUlT_T0_E_clISt17integral_constantIbLb0EES1A_IbLb1EEEEDaS16_S17_EUlS16_E_NS1_11comp_targetILNS1_3genE3ELNS1_11target_archE908ELNS1_3gpuE7ELNS1_3repE0EEENS1_30default_config_static_selectorELNS0_4arch9wavefront6targetE0EEEvT1_.numbered_sgpr, 0
	.set _ZN7rocprim17ROCPRIM_400000_NS6detail17trampoline_kernelINS0_14default_configENS1_25partition_config_selectorILNS1_17partition_subalgoE6EfNS0_10empty_typeEbEEZZNS1_14partition_implILS5_6ELb0ES3_mN6thrust23THRUST_200600_302600_NS6detail15normal_iteratorINSA_10device_ptrIfEEEEPS6_SG_NS0_5tupleIJNSA_16discard_iteratorINSA_11use_defaultEEES6_EEENSH_IJSG_SG_EEES6_PlJNSB_9not_fun_tINSB_14equal_to_valueIfEEEEEEE10hipError_tPvRmT3_T4_T5_T6_T7_T9_mT8_P12ihipStream_tbDpT10_ENKUlT_T0_E_clISt17integral_constantIbLb0EES1A_IbLb1EEEEDaS16_S17_EUlS16_E_NS1_11comp_targetILNS1_3genE3ELNS1_11target_archE908ELNS1_3gpuE7ELNS1_3repE0EEENS1_30default_config_static_selectorELNS0_4arch9wavefront6targetE0EEEvT1_.num_named_barrier, 0
	.set _ZN7rocprim17ROCPRIM_400000_NS6detail17trampoline_kernelINS0_14default_configENS1_25partition_config_selectorILNS1_17partition_subalgoE6EfNS0_10empty_typeEbEEZZNS1_14partition_implILS5_6ELb0ES3_mN6thrust23THRUST_200600_302600_NS6detail15normal_iteratorINSA_10device_ptrIfEEEEPS6_SG_NS0_5tupleIJNSA_16discard_iteratorINSA_11use_defaultEEES6_EEENSH_IJSG_SG_EEES6_PlJNSB_9not_fun_tINSB_14equal_to_valueIfEEEEEEE10hipError_tPvRmT3_T4_T5_T6_T7_T9_mT8_P12ihipStream_tbDpT10_ENKUlT_T0_E_clISt17integral_constantIbLb0EES1A_IbLb1EEEEDaS16_S17_EUlS16_E_NS1_11comp_targetILNS1_3genE3ELNS1_11target_archE908ELNS1_3gpuE7ELNS1_3repE0EEENS1_30default_config_static_selectorELNS0_4arch9wavefront6targetE0EEEvT1_.private_seg_size, 0
	.set _ZN7rocprim17ROCPRIM_400000_NS6detail17trampoline_kernelINS0_14default_configENS1_25partition_config_selectorILNS1_17partition_subalgoE6EfNS0_10empty_typeEbEEZZNS1_14partition_implILS5_6ELb0ES3_mN6thrust23THRUST_200600_302600_NS6detail15normal_iteratorINSA_10device_ptrIfEEEEPS6_SG_NS0_5tupleIJNSA_16discard_iteratorINSA_11use_defaultEEES6_EEENSH_IJSG_SG_EEES6_PlJNSB_9not_fun_tINSB_14equal_to_valueIfEEEEEEE10hipError_tPvRmT3_T4_T5_T6_T7_T9_mT8_P12ihipStream_tbDpT10_ENKUlT_T0_E_clISt17integral_constantIbLb0EES1A_IbLb1EEEEDaS16_S17_EUlS16_E_NS1_11comp_targetILNS1_3genE3ELNS1_11target_archE908ELNS1_3gpuE7ELNS1_3repE0EEENS1_30default_config_static_selectorELNS0_4arch9wavefront6targetE0EEEvT1_.uses_vcc, 0
	.set _ZN7rocprim17ROCPRIM_400000_NS6detail17trampoline_kernelINS0_14default_configENS1_25partition_config_selectorILNS1_17partition_subalgoE6EfNS0_10empty_typeEbEEZZNS1_14partition_implILS5_6ELb0ES3_mN6thrust23THRUST_200600_302600_NS6detail15normal_iteratorINSA_10device_ptrIfEEEEPS6_SG_NS0_5tupleIJNSA_16discard_iteratorINSA_11use_defaultEEES6_EEENSH_IJSG_SG_EEES6_PlJNSB_9not_fun_tINSB_14equal_to_valueIfEEEEEEE10hipError_tPvRmT3_T4_T5_T6_T7_T9_mT8_P12ihipStream_tbDpT10_ENKUlT_T0_E_clISt17integral_constantIbLb0EES1A_IbLb1EEEEDaS16_S17_EUlS16_E_NS1_11comp_targetILNS1_3genE3ELNS1_11target_archE908ELNS1_3gpuE7ELNS1_3repE0EEENS1_30default_config_static_selectorELNS0_4arch9wavefront6targetE0EEEvT1_.uses_flat_scratch, 0
	.set _ZN7rocprim17ROCPRIM_400000_NS6detail17trampoline_kernelINS0_14default_configENS1_25partition_config_selectorILNS1_17partition_subalgoE6EfNS0_10empty_typeEbEEZZNS1_14partition_implILS5_6ELb0ES3_mN6thrust23THRUST_200600_302600_NS6detail15normal_iteratorINSA_10device_ptrIfEEEEPS6_SG_NS0_5tupleIJNSA_16discard_iteratorINSA_11use_defaultEEES6_EEENSH_IJSG_SG_EEES6_PlJNSB_9not_fun_tINSB_14equal_to_valueIfEEEEEEE10hipError_tPvRmT3_T4_T5_T6_T7_T9_mT8_P12ihipStream_tbDpT10_ENKUlT_T0_E_clISt17integral_constantIbLb0EES1A_IbLb1EEEEDaS16_S17_EUlS16_E_NS1_11comp_targetILNS1_3genE3ELNS1_11target_archE908ELNS1_3gpuE7ELNS1_3repE0EEENS1_30default_config_static_selectorELNS0_4arch9wavefront6targetE0EEEvT1_.has_dyn_sized_stack, 0
	.set _ZN7rocprim17ROCPRIM_400000_NS6detail17trampoline_kernelINS0_14default_configENS1_25partition_config_selectorILNS1_17partition_subalgoE6EfNS0_10empty_typeEbEEZZNS1_14partition_implILS5_6ELb0ES3_mN6thrust23THRUST_200600_302600_NS6detail15normal_iteratorINSA_10device_ptrIfEEEEPS6_SG_NS0_5tupleIJNSA_16discard_iteratorINSA_11use_defaultEEES6_EEENSH_IJSG_SG_EEES6_PlJNSB_9not_fun_tINSB_14equal_to_valueIfEEEEEEE10hipError_tPvRmT3_T4_T5_T6_T7_T9_mT8_P12ihipStream_tbDpT10_ENKUlT_T0_E_clISt17integral_constantIbLb0EES1A_IbLb1EEEEDaS16_S17_EUlS16_E_NS1_11comp_targetILNS1_3genE3ELNS1_11target_archE908ELNS1_3gpuE7ELNS1_3repE0EEENS1_30default_config_static_selectorELNS0_4arch9wavefront6targetE0EEEvT1_.has_recursion, 0
	.set _ZN7rocprim17ROCPRIM_400000_NS6detail17trampoline_kernelINS0_14default_configENS1_25partition_config_selectorILNS1_17partition_subalgoE6EfNS0_10empty_typeEbEEZZNS1_14partition_implILS5_6ELb0ES3_mN6thrust23THRUST_200600_302600_NS6detail15normal_iteratorINSA_10device_ptrIfEEEEPS6_SG_NS0_5tupleIJNSA_16discard_iteratorINSA_11use_defaultEEES6_EEENSH_IJSG_SG_EEES6_PlJNSB_9not_fun_tINSB_14equal_to_valueIfEEEEEEE10hipError_tPvRmT3_T4_T5_T6_T7_T9_mT8_P12ihipStream_tbDpT10_ENKUlT_T0_E_clISt17integral_constantIbLb0EES1A_IbLb1EEEEDaS16_S17_EUlS16_E_NS1_11comp_targetILNS1_3genE3ELNS1_11target_archE908ELNS1_3gpuE7ELNS1_3repE0EEENS1_30default_config_static_selectorELNS0_4arch9wavefront6targetE0EEEvT1_.has_indirect_call, 0
	.section	.AMDGPU.csdata,"",@progbits
; Kernel info:
; codeLenInByte = 0
; TotalNumSgprs: 0
; NumVgprs: 0
; ScratchSize: 0
; MemoryBound: 0
; FloatMode: 240
; IeeeMode: 1
; LDSByteSize: 0 bytes/workgroup (compile time only)
; SGPRBlocks: 0
; VGPRBlocks: 0
; NumSGPRsForWavesPerEU: 1
; NumVGPRsForWavesPerEU: 1
; Occupancy: 16
; WaveLimiterHint : 0
; COMPUTE_PGM_RSRC2:SCRATCH_EN: 0
; COMPUTE_PGM_RSRC2:USER_SGPR: 2
; COMPUTE_PGM_RSRC2:TRAP_HANDLER: 0
; COMPUTE_PGM_RSRC2:TGID_X_EN: 1
; COMPUTE_PGM_RSRC2:TGID_Y_EN: 0
; COMPUTE_PGM_RSRC2:TGID_Z_EN: 0
; COMPUTE_PGM_RSRC2:TIDIG_COMP_CNT: 0
	.section	.text._ZN7rocprim17ROCPRIM_400000_NS6detail17trampoline_kernelINS0_14default_configENS1_25partition_config_selectorILNS1_17partition_subalgoE6EfNS0_10empty_typeEbEEZZNS1_14partition_implILS5_6ELb0ES3_mN6thrust23THRUST_200600_302600_NS6detail15normal_iteratorINSA_10device_ptrIfEEEEPS6_SG_NS0_5tupleIJNSA_16discard_iteratorINSA_11use_defaultEEES6_EEENSH_IJSG_SG_EEES6_PlJNSB_9not_fun_tINSB_14equal_to_valueIfEEEEEEE10hipError_tPvRmT3_T4_T5_T6_T7_T9_mT8_P12ihipStream_tbDpT10_ENKUlT_T0_E_clISt17integral_constantIbLb0EES1A_IbLb1EEEEDaS16_S17_EUlS16_E_NS1_11comp_targetILNS1_3genE2ELNS1_11target_archE906ELNS1_3gpuE6ELNS1_3repE0EEENS1_30default_config_static_selectorELNS0_4arch9wavefront6targetE0EEEvT1_,"axG",@progbits,_ZN7rocprim17ROCPRIM_400000_NS6detail17trampoline_kernelINS0_14default_configENS1_25partition_config_selectorILNS1_17partition_subalgoE6EfNS0_10empty_typeEbEEZZNS1_14partition_implILS5_6ELb0ES3_mN6thrust23THRUST_200600_302600_NS6detail15normal_iteratorINSA_10device_ptrIfEEEEPS6_SG_NS0_5tupleIJNSA_16discard_iteratorINSA_11use_defaultEEES6_EEENSH_IJSG_SG_EEES6_PlJNSB_9not_fun_tINSB_14equal_to_valueIfEEEEEEE10hipError_tPvRmT3_T4_T5_T6_T7_T9_mT8_P12ihipStream_tbDpT10_ENKUlT_T0_E_clISt17integral_constantIbLb0EES1A_IbLb1EEEEDaS16_S17_EUlS16_E_NS1_11comp_targetILNS1_3genE2ELNS1_11target_archE906ELNS1_3gpuE6ELNS1_3repE0EEENS1_30default_config_static_selectorELNS0_4arch9wavefront6targetE0EEEvT1_,comdat
	.protected	_ZN7rocprim17ROCPRIM_400000_NS6detail17trampoline_kernelINS0_14default_configENS1_25partition_config_selectorILNS1_17partition_subalgoE6EfNS0_10empty_typeEbEEZZNS1_14partition_implILS5_6ELb0ES3_mN6thrust23THRUST_200600_302600_NS6detail15normal_iteratorINSA_10device_ptrIfEEEEPS6_SG_NS0_5tupleIJNSA_16discard_iteratorINSA_11use_defaultEEES6_EEENSH_IJSG_SG_EEES6_PlJNSB_9not_fun_tINSB_14equal_to_valueIfEEEEEEE10hipError_tPvRmT3_T4_T5_T6_T7_T9_mT8_P12ihipStream_tbDpT10_ENKUlT_T0_E_clISt17integral_constantIbLb0EES1A_IbLb1EEEEDaS16_S17_EUlS16_E_NS1_11comp_targetILNS1_3genE2ELNS1_11target_archE906ELNS1_3gpuE6ELNS1_3repE0EEENS1_30default_config_static_selectorELNS0_4arch9wavefront6targetE0EEEvT1_ ; -- Begin function _ZN7rocprim17ROCPRIM_400000_NS6detail17trampoline_kernelINS0_14default_configENS1_25partition_config_selectorILNS1_17partition_subalgoE6EfNS0_10empty_typeEbEEZZNS1_14partition_implILS5_6ELb0ES3_mN6thrust23THRUST_200600_302600_NS6detail15normal_iteratorINSA_10device_ptrIfEEEEPS6_SG_NS0_5tupleIJNSA_16discard_iteratorINSA_11use_defaultEEES6_EEENSH_IJSG_SG_EEES6_PlJNSB_9not_fun_tINSB_14equal_to_valueIfEEEEEEE10hipError_tPvRmT3_T4_T5_T6_T7_T9_mT8_P12ihipStream_tbDpT10_ENKUlT_T0_E_clISt17integral_constantIbLb0EES1A_IbLb1EEEEDaS16_S17_EUlS16_E_NS1_11comp_targetILNS1_3genE2ELNS1_11target_archE906ELNS1_3gpuE6ELNS1_3repE0EEENS1_30default_config_static_selectorELNS0_4arch9wavefront6targetE0EEEvT1_
	.globl	_ZN7rocprim17ROCPRIM_400000_NS6detail17trampoline_kernelINS0_14default_configENS1_25partition_config_selectorILNS1_17partition_subalgoE6EfNS0_10empty_typeEbEEZZNS1_14partition_implILS5_6ELb0ES3_mN6thrust23THRUST_200600_302600_NS6detail15normal_iteratorINSA_10device_ptrIfEEEEPS6_SG_NS0_5tupleIJNSA_16discard_iteratorINSA_11use_defaultEEES6_EEENSH_IJSG_SG_EEES6_PlJNSB_9not_fun_tINSB_14equal_to_valueIfEEEEEEE10hipError_tPvRmT3_T4_T5_T6_T7_T9_mT8_P12ihipStream_tbDpT10_ENKUlT_T0_E_clISt17integral_constantIbLb0EES1A_IbLb1EEEEDaS16_S17_EUlS16_E_NS1_11comp_targetILNS1_3genE2ELNS1_11target_archE906ELNS1_3gpuE6ELNS1_3repE0EEENS1_30default_config_static_selectorELNS0_4arch9wavefront6targetE0EEEvT1_
	.p2align	8
	.type	_ZN7rocprim17ROCPRIM_400000_NS6detail17trampoline_kernelINS0_14default_configENS1_25partition_config_selectorILNS1_17partition_subalgoE6EfNS0_10empty_typeEbEEZZNS1_14partition_implILS5_6ELb0ES3_mN6thrust23THRUST_200600_302600_NS6detail15normal_iteratorINSA_10device_ptrIfEEEEPS6_SG_NS0_5tupleIJNSA_16discard_iteratorINSA_11use_defaultEEES6_EEENSH_IJSG_SG_EEES6_PlJNSB_9not_fun_tINSB_14equal_to_valueIfEEEEEEE10hipError_tPvRmT3_T4_T5_T6_T7_T9_mT8_P12ihipStream_tbDpT10_ENKUlT_T0_E_clISt17integral_constantIbLb0EES1A_IbLb1EEEEDaS16_S17_EUlS16_E_NS1_11comp_targetILNS1_3genE2ELNS1_11target_archE906ELNS1_3gpuE6ELNS1_3repE0EEENS1_30default_config_static_selectorELNS0_4arch9wavefront6targetE0EEEvT1_,@function
_ZN7rocprim17ROCPRIM_400000_NS6detail17trampoline_kernelINS0_14default_configENS1_25partition_config_selectorILNS1_17partition_subalgoE6EfNS0_10empty_typeEbEEZZNS1_14partition_implILS5_6ELb0ES3_mN6thrust23THRUST_200600_302600_NS6detail15normal_iteratorINSA_10device_ptrIfEEEEPS6_SG_NS0_5tupleIJNSA_16discard_iteratorINSA_11use_defaultEEES6_EEENSH_IJSG_SG_EEES6_PlJNSB_9not_fun_tINSB_14equal_to_valueIfEEEEEEE10hipError_tPvRmT3_T4_T5_T6_T7_T9_mT8_P12ihipStream_tbDpT10_ENKUlT_T0_E_clISt17integral_constantIbLb0EES1A_IbLb1EEEEDaS16_S17_EUlS16_E_NS1_11comp_targetILNS1_3genE2ELNS1_11target_archE906ELNS1_3gpuE6ELNS1_3repE0EEENS1_30default_config_static_selectorELNS0_4arch9wavefront6targetE0EEEvT1_: ; @_ZN7rocprim17ROCPRIM_400000_NS6detail17trampoline_kernelINS0_14default_configENS1_25partition_config_selectorILNS1_17partition_subalgoE6EfNS0_10empty_typeEbEEZZNS1_14partition_implILS5_6ELb0ES3_mN6thrust23THRUST_200600_302600_NS6detail15normal_iteratorINSA_10device_ptrIfEEEEPS6_SG_NS0_5tupleIJNSA_16discard_iteratorINSA_11use_defaultEEES6_EEENSH_IJSG_SG_EEES6_PlJNSB_9not_fun_tINSB_14equal_to_valueIfEEEEEEE10hipError_tPvRmT3_T4_T5_T6_T7_T9_mT8_P12ihipStream_tbDpT10_ENKUlT_T0_E_clISt17integral_constantIbLb0EES1A_IbLb1EEEEDaS16_S17_EUlS16_E_NS1_11comp_targetILNS1_3genE2ELNS1_11target_archE906ELNS1_3gpuE6ELNS1_3repE0EEENS1_30default_config_static_selectorELNS0_4arch9wavefront6targetE0EEEvT1_
; %bb.0:
	.section	.rodata,"a",@progbits
	.p2align	6, 0x0
	.amdhsa_kernel _ZN7rocprim17ROCPRIM_400000_NS6detail17trampoline_kernelINS0_14default_configENS1_25partition_config_selectorILNS1_17partition_subalgoE6EfNS0_10empty_typeEbEEZZNS1_14partition_implILS5_6ELb0ES3_mN6thrust23THRUST_200600_302600_NS6detail15normal_iteratorINSA_10device_ptrIfEEEEPS6_SG_NS0_5tupleIJNSA_16discard_iteratorINSA_11use_defaultEEES6_EEENSH_IJSG_SG_EEES6_PlJNSB_9not_fun_tINSB_14equal_to_valueIfEEEEEEE10hipError_tPvRmT3_T4_T5_T6_T7_T9_mT8_P12ihipStream_tbDpT10_ENKUlT_T0_E_clISt17integral_constantIbLb0EES1A_IbLb1EEEEDaS16_S17_EUlS16_E_NS1_11comp_targetILNS1_3genE2ELNS1_11target_archE906ELNS1_3gpuE6ELNS1_3repE0EEENS1_30default_config_static_selectorELNS0_4arch9wavefront6targetE0EEEvT1_
		.amdhsa_group_segment_fixed_size 0
		.amdhsa_private_segment_fixed_size 0
		.amdhsa_kernarg_size 136
		.amdhsa_user_sgpr_count 2
		.amdhsa_user_sgpr_dispatch_ptr 0
		.amdhsa_user_sgpr_queue_ptr 0
		.amdhsa_user_sgpr_kernarg_segment_ptr 1
		.amdhsa_user_sgpr_dispatch_id 0
		.amdhsa_user_sgpr_private_segment_size 0
		.amdhsa_wavefront_size32 1
		.amdhsa_uses_dynamic_stack 0
		.amdhsa_enable_private_segment 0
		.amdhsa_system_sgpr_workgroup_id_x 1
		.amdhsa_system_sgpr_workgroup_id_y 0
		.amdhsa_system_sgpr_workgroup_id_z 0
		.amdhsa_system_sgpr_workgroup_info 0
		.amdhsa_system_vgpr_workitem_id 0
		.amdhsa_next_free_vgpr 1
		.amdhsa_next_free_sgpr 1
		.amdhsa_reserve_vcc 0
		.amdhsa_float_round_mode_32 0
		.amdhsa_float_round_mode_16_64 0
		.amdhsa_float_denorm_mode_32 3
		.amdhsa_float_denorm_mode_16_64 3
		.amdhsa_fp16_overflow 0
		.amdhsa_workgroup_processor_mode 1
		.amdhsa_memory_ordered 1
		.amdhsa_forward_progress 1
		.amdhsa_inst_pref_size 0
		.amdhsa_round_robin_scheduling 0
		.amdhsa_exception_fp_ieee_invalid_op 0
		.amdhsa_exception_fp_denorm_src 0
		.amdhsa_exception_fp_ieee_div_zero 0
		.amdhsa_exception_fp_ieee_overflow 0
		.amdhsa_exception_fp_ieee_underflow 0
		.amdhsa_exception_fp_ieee_inexact 0
		.amdhsa_exception_int_div_zero 0
	.end_amdhsa_kernel
	.section	.text._ZN7rocprim17ROCPRIM_400000_NS6detail17trampoline_kernelINS0_14default_configENS1_25partition_config_selectorILNS1_17partition_subalgoE6EfNS0_10empty_typeEbEEZZNS1_14partition_implILS5_6ELb0ES3_mN6thrust23THRUST_200600_302600_NS6detail15normal_iteratorINSA_10device_ptrIfEEEEPS6_SG_NS0_5tupleIJNSA_16discard_iteratorINSA_11use_defaultEEES6_EEENSH_IJSG_SG_EEES6_PlJNSB_9not_fun_tINSB_14equal_to_valueIfEEEEEEE10hipError_tPvRmT3_T4_T5_T6_T7_T9_mT8_P12ihipStream_tbDpT10_ENKUlT_T0_E_clISt17integral_constantIbLb0EES1A_IbLb1EEEEDaS16_S17_EUlS16_E_NS1_11comp_targetILNS1_3genE2ELNS1_11target_archE906ELNS1_3gpuE6ELNS1_3repE0EEENS1_30default_config_static_selectorELNS0_4arch9wavefront6targetE0EEEvT1_,"axG",@progbits,_ZN7rocprim17ROCPRIM_400000_NS6detail17trampoline_kernelINS0_14default_configENS1_25partition_config_selectorILNS1_17partition_subalgoE6EfNS0_10empty_typeEbEEZZNS1_14partition_implILS5_6ELb0ES3_mN6thrust23THRUST_200600_302600_NS6detail15normal_iteratorINSA_10device_ptrIfEEEEPS6_SG_NS0_5tupleIJNSA_16discard_iteratorINSA_11use_defaultEEES6_EEENSH_IJSG_SG_EEES6_PlJNSB_9not_fun_tINSB_14equal_to_valueIfEEEEEEE10hipError_tPvRmT3_T4_T5_T6_T7_T9_mT8_P12ihipStream_tbDpT10_ENKUlT_T0_E_clISt17integral_constantIbLb0EES1A_IbLb1EEEEDaS16_S17_EUlS16_E_NS1_11comp_targetILNS1_3genE2ELNS1_11target_archE906ELNS1_3gpuE6ELNS1_3repE0EEENS1_30default_config_static_selectorELNS0_4arch9wavefront6targetE0EEEvT1_,comdat
.Lfunc_end1625:
	.size	_ZN7rocprim17ROCPRIM_400000_NS6detail17trampoline_kernelINS0_14default_configENS1_25partition_config_selectorILNS1_17partition_subalgoE6EfNS0_10empty_typeEbEEZZNS1_14partition_implILS5_6ELb0ES3_mN6thrust23THRUST_200600_302600_NS6detail15normal_iteratorINSA_10device_ptrIfEEEEPS6_SG_NS0_5tupleIJNSA_16discard_iteratorINSA_11use_defaultEEES6_EEENSH_IJSG_SG_EEES6_PlJNSB_9not_fun_tINSB_14equal_to_valueIfEEEEEEE10hipError_tPvRmT3_T4_T5_T6_T7_T9_mT8_P12ihipStream_tbDpT10_ENKUlT_T0_E_clISt17integral_constantIbLb0EES1A_IbLb1EEEEDaS16_S17_EUlS16_E_NS1_11comp_targetILNS1_3genE2ELNS1_11target_archE906ELNS1_3gpuE6ELNS1_3repE0EEENS1_30default_config_static_selectorELNS0_4arch9wavefront6targetE0EEEvT1_, .Lfunc_end1625-_ZN7rocprim17ROCPRIM_400000_NS6detail17trampoline_kernelINS0_14default_configENS1_25partition_config_selectorILNS1_17partition_subalgoE6EfNS0_10empty_typeEbEEZZNS1_14partition_implILS5_6ELb0ES3_mN6thrust23THRUST_200600_302600_NS6detail15normal_iteratorINSA_10device_ptrIfEEEEPS6_SG_NS0_5tupleIJNSA_16discard_iteratorINSA_11use_defaultEEES6_EEENSH_IJSG_SG_EEES6_PlJNSB_9not_fun_tINSB_14equal_to_valueIfEEEEEEE10hipError_tPvRmT3_T4_T5_T6_T7_T9_mT8_P12ihipStream_tbDpT10_ENKUlT_T0_E_clISt17integral_constantIbLb0EES1A_IbLb1EEEEDaS16_S17_EUlS16_E_NS1_11comp_targetILNS1_3genE2ELNS1_11target_archE906ELNS1_3gpuE6ELNS1_3repE0EEENS1_30default_config_static_selectorELNS0_4arch9wavefront6targetE0EEEvT1_
                                        ; -- End function
	.set _ZN7rocprim17ROCPRIM_400000_NS6detail17trampoline_kernelINS0_14default_configENS1_25partition_config_selectorILNS1_17partition_subalgoE6EfNS0_10empty_typeEbEEZZNS1_14partition_implILS5_6ELb0ES3_mN6thrust23THRUST_200600_302600_NS6detail15normal_iteratorINSA_10device_ptrIfEEEEPS6_SG_NS0_5tupleIJNSA_16discard_iteratorINSA_11use_defaultEEES6_EEENSH_IJSG_SG_EEES6_PlJNSB_9not_fun_tINSB_14equal_to_valueIfEEEEEEE10hipError_tPvRmT3_T4_T5_T6_T7_T9_mT8_P12ihipStream_tbDpT10_ENKUlT_T0_E_clISt17integral_constantIbLb0EES1A_IbLb1EEEEDaS16_S17_EUlS16_E_NS1_11comp_targetILNS1_3genE2ELNS1_11target_archE906ELNS1_3gpuE6ELNS1_3repE0EEENS1_30default_config_static_selectorELNS0_4arch9wavefront6targetE0EEEvT1_.num_vgpr, 0
	.set _ZN7rocprim17ROCPRIM_400000_NS6detail17trampoline_kernelINS0_14default_configENS1_25partition_config_selectorILNS1_17partition_subalgoE6EfNS0_10empty_typeEbEEZZNS1_14partition_implILS5_6ELb0ES3_mN6thrust23THRUST_200600_302600_NS6detail15normal_iteratorINSA_10device_ptrIfEEEEPS6_SG_NS0_5tupleIJNSA_16discard_iteratorINSA_11use_defaultEEES6_EEENSH_IJSG_SG_EEES6_PlJNSB_9not_fun_tINSB_14equal_to_valueIfEEEEEEE10hipError_tPvRmT3_T4_T5_T6_T7_T9_mT8_P12ihipStream_tbDpT10_ENKUlT_T0_E_clISt17integral_constantIbLb0EES1A_IbLb1EEEEDaS16_S17_EUlS16_E_NS1_11comp_targetILNS1_3genE2ELNS1_11target_archE906ELNS1_3gpuE6ELNS1_3repE0EEENS1_30default_config_static_selectorELNS0_4arch9wavefront6targetE0EEEvT1_.num_agpr, 0
	.set _ZN7rocprim17ROCPRIM_400000_NS6detail17trampoline_kernelINS0_14default_configENS1_25partition_config_selectorILNS1_17partition_subalgoE6EfNS0_10empty_typeEbEEZZNS1_14partition_implILS5_6ELb0ES3_mN6thrust23THRUST_200600_302600_NS6detail15normal_iteratorINSA_10device_ptrIfEEEEPS6_SG_NS0_5tupleIJNSA_16discard_iteratorINSA_11use_defaultEEES6_EEENSH_IJSG_SG_EEES6_PlJNSB_9not_fun_tINSB_14equal_to_valueIfEEEEEEE10hipError_tPvRmT3_T4_T5_T6_T7_T9_mT8_P12ihipStream_tbDpT10_ENKUlT_T0_E_clISt17integral_constantIbLb0EES1A_IbLb1EEEEDaS16_S17_EUlS16_E_NS1_11comp_targetILNS1_3genE2ELNS1_11target_archE906ELNS1_3gpuE6ELNS1_3repE0EEENS1_30default_config_static_selectorELNS0_4arch9wavefront6targetE0EEEvT1_.numbered_sgpr, 0
	.set _ZN7rocprim17ROCPRIM_400000_NS6detail17trampoline_kernelINS0_14default_configENS1_25partition_config_selectorILNS1_17partition_subalgoE6EfNS0_10empty_typeEbEEZZNS1_14partition_implILS5_6ELb0ES3_mN6thrust23THRUST_200600_302600_NS6detail15normal_iteratorINSA_10device_ptrIfEEEEPS6_SG_NS0_5tupleIJNSA_16discard_iteratorINSA_11use_defaultEEES6_EEENSH_IJSG_SG_EEES6_PlJNSB_9not_fun_tINSB_14equal_to_valueIfEEEEEEE10hipError_tPvRmT3_T4_T5_T6_T7_T9_mT8_P12ihipStream_tbDpT10_ENKUlT_T0_E_clISt17integral_constantIbLb0EES1A_IbLb1EEEEDaS16_S17_EUlS16_E_NS1_11comp_targetILNS1_3genE2ELNS1_11target_archE906ELNS1_3gpuE6ELNS1_3repE0EEENS1_30default_config_static_selectorELNS0_4arch9wavefront6targetE0EEEvT1_.num_named_barrier, 0
	.set _ZN7rocprim17ROCPRIM_400000_NS6detail17trampoline_kernelINS0_14default_configENS1_25partition_config_selectorILNS1_17partition_subalgoE6EfNS0_10empty_typeEbEEZZNS1_14partition_implILS5_6ELb0ES3_mN6thrust23THRUST_200600_302600_NS6detail15normal_iteratorINSA_10device_ptrIfEEEEPS6_SG_NS0_5tupleIJNSA_16discard_iteratorINSA_11use_defaultEEES6_EEENSH_IJSG_SG_EEES6_PlJNSB_9not_fun_tINSB_14equal_to_valueIfEEEEEEE10hipError_tPvRmT3_T4_T5_T6_T7_T9_mT8_P12ihipStream_tbDpT10_ENKUlT_T0_E_clISt17integral_constantIbLb0EES1A_IbLb1EEEEDaS16_S17_EUlS16_E_NS1_11comp_targetILNS1_3genE2ELNS1_11target_archE906ELNS1_3gpuE6ELNS1_3repE0EEENS1_30default_config_static_selectorELNS0_4arch9wavefront6targetE0EEEvT1_.private_seg_size, 0
	.set _ZN7rocprim17ROCPRIM_400000_NS6detail17trampoline_kernelINS0_14default_configENS1_25partition_config_selectorILNS1_17partition_subalgoE6EfNS0_10empty_typeEbEEZZNS1_14partition_implILS5_6ELb0ES3_mN6thrust23THRUST_200600_302600_NS6detail15normal_iteratorINSA_10device_ptrIfEEEEPS6_SG_NS0_5tupleIJNSA_16discard_iteratorINSA_11use_defaultEEES6_EEENSH_IJSG_SG_EEES6_PlJNSB_9not_fun_tINSB_14equal_to_valueIfEEEEEEE10hipError_tPvRmT3_T4_T5_T6_T7_T9_mT8_P12ihipStream_tbDpT10_ENKUlT_T0_E_clISt17integral_constantIbLb0EES1A_IbLb1EEEEDaS16_S17_EUlS16_E_NS1_11comp_targetILNS1_3genE2ELNS1_11target_archE906ELNS1_3gpuE6ELNS1_3repE0EEENS1_30default_config_static_selectorELNS0_4arch9wavefront6targetE0EEEvT1_.uses_vcc, 0
	.set _ZN7rocprim17ROCPRIM_400000_NS6detail17trampoline_kernelINS0_14default_configENS1_25partition_config_selectorILNS1_17partition_subalgoE6EfNS0_10empty_typeEbEEZZNS1_14partition_implILS5_6ELb0ES3_mN6thrust23THRUST_200600_302600_NS6detail15normal_iteratorINSA_10device_ptrIfEEEEPS6_SG_NS0_5tupleIJNSA_16discard_iteratorINSA_11use_defaultEEES6_EEENSH_IJSG_SG_EEES6_PlJNSB_9not_fun_tINSB_14equal_to_valueIfEEEEEEE10hipError_tPvRmT3_T4_T5_T6_T7_T9_mT8_P12ihipStream_tbDpT10_ENKUlT_T0_E_clISt17integral_constantIbLb0EES1A_IbLb1EEEEDaS16_S17_EUlS16_E_NS1_11comp_targetILNS1_3genE2ELNS1_11target_archE906ELNS1_3gpuE6ELNS1_3repE0EEENS1_30default_config_static_selectorELNS0_4arch9wavefront6targetE0EEEvT1_.uses_flat_scratch, 0
	.set _ZN7rocprim17ROCPRIM_400000_NS6detail17trampoline_kernelINS0_14default_configENS1_25partition_config_selectorILNS1_17partition_subalgoE6EfNS0_10empty_typeEbEEZZNS1_14partition_implILS5_6ELb0ES3_mN6thrust23THRUST_200600_302600_NS6detail15normal_iteratorINSA_10device_ptrIfEEEEPS6_SG_NS0_5tupleIJNSA_16discard_iteratorINSA_11use_defaultEEES6_EEENSH_IJSG_SG_EEES6_PlJNSB_9not_fun_tINSB_14equal_to_valueIfEEEEEEE10hipError_tPvRmT3_T4_T5_T6_T7_T9_mT8_P12ihipStream_tbDpT10_ENKUlT_T0_E_clISt17integral_constantIbLb0EES1A_IbLb1EEEEDaS16_S17_EUlS16_E_NS1_11comp_targetILNS1_3genE2ELNS1_11target_archE906ELNS1_3gpuE6ELNS1_3repE0EEENS1_30default_config_static_selectorELNS0_4arch9wavefront6targetE0EEEvT1_.has_dyn_sized_stack, 0
	.set _ZN7rocprim17ROCPRIM_400000_NS6detail17trampoline_kernelINS0_14default_configENS1_25partition_config_selectorILNS1_17partition_subalgoE6EfNS0_10empty_typeEbEEZZNS1_14partition_implILS5_6ELb0ES3_mN6thrust23THRUST_200600_302600_NS6detail15normal_iteratorINSA_10device_ptrIfEEEEPS6_SG_NS0_5tupleIJNSA_16discard_iteratorINSA_11use_defaultEEES6_EEENSH_IJSG_SG_EEES6_PlJNSB_9not_fun_tINSB_14equal_to_valueIfEEEEEEE10hipError_tPvRmT3_T4_T5_T6_T7_T9_mT8_P12ihipStream_tbDpT10_ENKUlT_T0_E_clISt17integral_constantIbLb0EES1A_IbLb1EEEEDaS16_S17_EUlS16_E_NS1_11comp_targetILNS1_3genE2ELNS1_11target_archE906ELNS1_3gpuE6ELNS1_3repE0EEENS1_30default_config_static_selectorELNS0_4arch9wavefront6targetE0EEEvT1_.has_recursion, 0
	.set _ZN7rocprim17ROCPRIM_400000_NS6detail17trampoline_kernelINS0_14default_configENS1_25partition_config_selectorILNS1_17partition_subalgoE6EfNS0_10empty_typeEbEEZZNS1_14partition_implILS5_6ELb0ES3_mN6thrust23THRUST_200600_302600_NS6detail15normal_iteratorINSA_10device_ptrIfEEEEPS6_SG_NS0_5tupleIJNSA_16discard_iteratorINSA_11use_defaultEEES6_EEENSH_IJSG_SG_EEES6_PlJNSB_9not_fun_tINSB_14equal_to_valueIfEEEEEEE10hipError_tPvRmT3_T4_T5_T6_T7_T9_mT8_P12ihipStream_tbDpT10_ENKUlT_T0_E_clISt17integral_constantIbLb0EES1A_IbLb1EEEEDaS16_S17_EUlS16_E_NS1_11comp_targetILNS1_3genE2ELNS1_11target_archE906ELNS1_3gpuE6ELNS1_3repE0EEENS1_30default_config_static_selectorELNS0_4arch9wavefront6targetE0EEEvT1_.has_indirect_call, 0
	.section	.AMDGPU.csdata,"",@progbits
; Kernel info:
; codeLenInByte = 0
; TotalNumSgprs: 0
; NumVgprs: 0
; ScratchSize: 0
; MemoryBound: 0
; FloatMode: 240
; IeeeMode: 1
; LDSByteSize: 0 bytes/workgroup (compile time only)
; SGPRBlocks: 0
; VGPRBlocks: 0
; NumSGPRsForWavesPerEU: 1
; NumVGPRsForWavesPerEU: 1
; Occupancy: 16
; WaveLimiterHint : 0
; COMPUTE_PGM_RSRC2:SCRATCH_EN: 0
; COMPUTE_PGM_RSRC2:USER_SGPR: 2
; COMPUTE_PGM_RSRC2:TRAP_HANDLER: 0
; COMPUTE_PGM_RSRC2:TGID_X_EN: 1
; COMPUTE_PGM_RSRC2:TGID_Y_EN: 0
; COMPUTE_PGM_RSRC2:TGID_Z_EN: 0
; COMPUTE_PGM_RSRC2:TIDIG_COMP_CNT: 0
	.section	.text._ZN7rocprim17ROCPRIM_400000_NS6detail17trampoline_kernelINS0_14default_configENS1_25partition_config_selectorILNS1_17partition_subalgoE6EfNS0_10empty_typeEbEEZZNS1_14partition_implILS5_6ELb0ES3_mN6thrust23THRUST_200600_302600_NS6detail15normal_iteratorINSA_10device_ptrIfEEEEPS6_SG_NS0_5tupleIJNSA_16discard_iteratorINSA_11use_defaultEEES6_EEENSH_IJSG_SG_EEES6_PlJNSB_9not_fun_tINSB_14equal_to_valueIfEEEEEEE10hipError_tPvRmT3_T4_T5_T6_T7_T9_mT8_P12ihipStream_tbDpT10_ENKUlT_T0_E_clISt17integral_constantIbLb0EES1A_IbLb1EEEEDaS16_S17_EUlS16_E_NS1_11comp_targetILNS1_3genE10ELNS1_11target_archE1200ELNS1_3gpuE4ELNS1_3repE0EEENS1_30default_config_static_selectorELNS0_4arch9wavefront6targetE0EEEvT1_,"axG",@progbits,_ZN7rocprim17ROCPRIM_400000_NS6detail17trampoline_kernelINS0_14default_configENS1_25partition_config_selectorILNS1_17partition_subalgoE6EfNS0_10empty_typeEbEEZZNS1_14partition_implILS5_6ELb0ES3_mN6thrust23THRUST_200600_302600_NS6detail15normal_iteratorINSA_10device_ptrIfEEEEPS6_SG_NS0_5tupleIJNSA_16discard_iteratorINSA_11use_defaultEEES6_EEENSH_IJSG_SG_EEES6_PlJNSB_9not_fun_tINSB_14equal_to_valueIfEEEEEEE10hipError_tPvRmT3_T4_T5_T6_T7_T9_mT8_P12ihipStream_tbDpT10_ENKUlT_T0_E_clISt17integral_constantIbLb0EES1A_IbLb1EEEEDaS16_S17_EUlS16_E_NS1_11comp_targetILNS1_3genE10ELNS1_11target_archE1200ELNS1_3gpuE4ELNS1_3repE0EEENS1_30default_config_static_selectorELNS0_4arch9wavefront6targetE0EEEvT1_,comdat
	.protected	_ZN7rocprim17ROCPRIM_400000_NS6detail17trampoline_kernelINS0_14default_configENS1_25partition_config_selectorILNS1_17partition_subalgoE6EfNS0_10empty_typeEbEEZZNS1_14partition_implILS5_6ELb0ES3_mN6thrust23THRUST_200600_302600_NS6detail15normal_iteratorINSA_10device_ptrIfEEEEPS6_SG_NS0_5tupleIJNSA_16discard_iteratorINSA_11use_defaultEEES6_EEENSH_IJSG_SG_EEES6_PlJNSB_9not_fun_tINSB_14equal_to_valueIfEEEEEEE10hipError_tPvRmT3_T4_T5_T6_T7_T9_mT8_P12ihipStream_tbDpT10_ENKUlT_T0_E_clISt17integral_constantIbLb0EES1A_IbLb1EEEEDaS16_S17_EUlS16_E_NS1_11comp_targetILNS1_3genE10ELNS1_11target_archE1200ELNS1_3gpuE4ELNS1_3repE0EEENS1_30default_config_static_selectorELNS0_4arch9wavefront6targetE0EEEvT1_ ; -- Begin function _ZN7rocprim17ROCPRIM_400000_NS6detail17trampoline_kernelINS0_14default_configENS1_25partition_config_selectorILNS1_17partition_subalgoE6EfNS0_10empty_typeEbEEZZNS1_14partition_implILS5_6ELb0ES3_mN6thrust23THRUST_200600_302600_NS6detail15normal_iteratorINSA_10device_ptrIfEEEEPS6_SG_NS0_5tupleIJNSA_16discard_iteratorINSA_11use_defaultEEES6_EEENSH_IJSG_SG_EEES6_PlJNSB_9not_fun_tINSB_14equal_to_valueIfEEEEEEE10hipError_tPvRmT3_T4_T5_T6_T7_T9_mT8_P12ihipStream_tbDpT10_ENKUlT_T0_E_clISt17integral_constantIbLb0EES1A_IbLb1EEEEDaS16_S17_EUlS16_E_NS1_11comp_targetILNS1_3genE10ELNS1_11target_archE1200ELNS1_3gpuE4ELNS1_3repE0EEENS1_30default_config_static_selectorELNS0_4arch9wavefront6targetE0EEEvT1_
	.globl	_ZN7rocprim17ROCPRIM_400000_NS6detail17trampoline_kernelINS0_14default_configENS1_25partition_config_selectorILNS1_17partition_subalgoE6EfNS0_10empty_typeEbEEZZNS1_14partition_implILS5_6ELb0ES3_mN6thrust23THRUST_200600_302600_NS6detail15normal_iteratorINSA_10device_ptrIfEEEEPS6_SG_NS0_5tupleIJNSA_16discard_iteratorINSA_11use_defaultEEES6_EEENSH_IJSG_SG_EEES6_PlJNSB_9not_fun_tINSB_14equal_to_valueIfEEEEEEE10hipError_tPvRmT3_T4_T5_T6_T7_T9_mT8_P12ihipStream_tbDpT10_ENKUlT_T0_E_clISt17integral_constantIbLb0EES1A_IbLb1EEEEDaS16_S17_EUlS16_E_NS1_11comp_targetILNS1_3genE10ELNS1_11target_archE1200ELNS1_3gpuE4ELNS1_3repE0EEENS1_30default_config_static_selectorELNS0_4arch9wavefront6targetE0EEEvT1_
	.p2align	8
	.type	_ZN7rocprim17ROCPRIM_400000_NS6detail17trampoline_kernelINS0_14default_configENS1_25partition_config_selectorILNS1_17partition_subalgoE6EfNS0_10empty_typeEbEEZZNS1_14partition_implILS5_6ELb0ES3_mN6thrust23THRUST_200600_302600_NS6detail15normal_iteratorINSA_10device_ptrIfEEEEPS6_SG_NS0_5tupleIJNSA_16discard_iteratorINSA_11use_defaultEEES6_EEENSH_IJSG_SG_EEES6_PlJNSB_9not_fun_tINSB_14equal_to_valueIfEEEEEEE10hipError_tPvRmT3_T4_T5_T6_T7_T9_mT8_P12ihipStream_tbDpT10_ENKUlT_T0_E_clISt17integral_constantIbLb0EES1A_IbLb1EEEEDaS16_S17_EUlS16_E_NS1_11comp_targetILNS1_3genE10ELNS1_11target_archE1200ELNS1_3gpuE4ELNS1_3repE0EEENS1_30default_config_static_selectorELNS0_4arch9wavefront6targetE0EEEvT1_,@function
_ZN7rocprim17ROCPRIM_400000_NS6detail17trampoline_kernelINS0_14default_configENS1_25partition_config_selectorILNS1_17partition_subalgoE6EfNS0_10empty_typeEbEEZZNS1_14partition_implILS5_6ELb0ES3_mN6thrust23THRUST_200600_302600_NS6detail15normal_iteratorINSA_10device_ptrIfEEEEPS6_SG_NS0_5tupleIJNSA_16discard_iteratorINSA_11use_defaultEEES6_EEENSH_IJSG_SG_EEES6_PlJNSB_9not_fun_tINSB_14equal_to_valueIfEEEEEEE10hipError_tPvRmT3_T4_T5_T6_T7_T9_mT8_P12ihipStream_tbDpT10_ENKUlT_T0_E_clISt17integral_constantIbLb0EES1A_IbLb1EEEEDaS16_S17_EUlS16_E_NS1_11comp_targetILNS1_3genE10ELNS1_11target_archE1200ELNS1_3gpuE4ELNS1_3repE0EEENS1_30default_config_static_selectorELNS0_4arch9wavefront6targetE0EEEvT1_: ; @_ZN7rocprim17ROCPRIM_400000_NS6detail17trampoline_kernelINS0_14default_configENS1_25partition_config_selectorILNS1_17partition_subalgoE6EfNS0_10empty_typeEbEEZZNS1_14partition_implILS5_6ELb0ES3_mN6thrust23THRUST_200600_302600_NS6detail15normal_iteratorINSA_10device_ptrIfEEEEPS6_SG_NS0_5tupleIJNSA_16discard_iteratorINSA_11use_defaultEEES6_EEENSH_IJSG_SG_EEES6_PlJNSB_9not_fun_tINSB_14equal_to_valueIfEEEEEEE10hipError_tPvRmT3_T4_T5_T6_T7_T9_mT8_P12ihipStream_tbDpT10_ENKUlT_T0_E_clISt17integral_constantIbLb0EES1A_IbLb1EEEEDaS16_S17_EUlS16_E_NS1_11comp_targetILNS1_3genE10ELNS1_11target_archE1200ELNS1_3gpuE4ELNS1_3repE0EEENS1_30default_config_static_selectorELNS0_4arch9wavefront6targetE0EEEvT1_
; %bb.0:
	s_clause 0x2
	s_load_b64 s[14:15], s[0:1], 0x58
	s_load_b128 s[8:11], s[0:1], 0x48
	s_load_b64 s[12:13], s[0:1], 0x68
	v_cmp_eq_u32_e64 s2, 0, v0
	s_and_saveexec_b32 s3, s2
	s_cbranch_execz .LBB1626_4
; %bb.1:
	s_mov_b32 s5, exec_lo
	s_mov_b32 s4, exec_lo
	v_mbcnt_lo_u32_b32 v1, s5, 0
                                        ; implicit-def: $vgpr2
	s_delay_alu instid0(VALU_DEP_1)
	v_cmpx_eq_u32_e32 0, v1
	s_cbranch_execz .LBB1626_3
; %bb.2:
	s_load_b64 s[6:7], s[0:1], 0x78
	s_bcnt1_i32_b32 s5, s5
	s_wait_alu 0xfffe
	v_dual_mov_b32 v2, 0 :: v_dual_mov_b32 v3, s5
	s_wait_kmcnt 0x0
	global_atomic_add_u32 v2, v2, v3, s[6:7] th:TH_ATOMIC_RETURN scope:SCOPE_DEV
.LBB1626_3:
	s_or_b32 exec_lo, exec_lo, s4
	s_wait_loadcnt 0x0
	v_readfirstlane_b32 s4, v2
	s_wait_alu 0xf1ff
	s_delay_alu instid0(VALU_DEP_1)
	v_dual_mov_b32 v2, 0 :: v_dual_add_nc_u32 v1, s4, v1
	ds_store_b32 v2, v1
.LBB1626_4:
	s_or_b32 exec_lo, exec_lo, s3
	v_mov_b32_e32 v2, 0
	s_clause 0x2
	s_load_b128 s[4:7], s[0:1], 0x8
	s_load_b32 s3, s[0:1], 0x70
	s_load_b32 s16, s[0:1], 0x80
	s_wait_dscnt 0x0
	s_barrier_signal -1
	s_barrier_wait -1
	global_inv scope:SCOPE_SE
	ds_load_b32 v3, v2
	s_wait_loadcnt_dscnt 0x0
	s_barrier_signal -1
	s_barrier_wait -1
	global_inv scope:SCOPE_SE
	s_wait_kmcnt 0x0
	global_load_b64 v[9:10], v2, s[10:11]
	s_mov_b32 s1, 0
	v_lshlrev_b32_e32 v8, 2, v0
	s_lshl_b64 s[18:19], s[6:7], 2
	s_mul_i32 s0, s3, 0xa80
	s_add_co_i32 s10, s3, -1
	s_add_co_i32 s3, s0, s6
	s_add_nc_u64 s[6:7], s[6:7], s[0:1]
	s_sub_co_i32 s0, s14, s3
	v_cmp_gt_u64_e64 s1, s[14:15], s[6:7]
	v_mul_lo_u32 v1, 0xa80, v3
	v_readfirstlane_b32 s11, v3
	v_cmp_ne_u32_e32 vcc_lo, s10, v3
	s_add_nc_u64 s[4:5], s[4:5], s[18:19]
	s_cmp_eq_u32 s11, s10
	v_lshlrev_b64_e32 v[1:2], 2, v[1:2]
	s_cselect_b32 s7, -1, 0
	s_or_b32 s15, s1, vcc_lo
	s_mov_b32 s1, -1
	s_wait_alu 0xfffe
	s_delay_alu instid0(VALU_DEP_1) | instskip(NEXT) | instid1(VALU_DEP_1)
	v_add_co_u32 v11, vcc_lo, s4, v1
	v_add_co_ci_u32_e64 v12, null, s5, v2, vcc_lo
	s_and_b32 vcc_lo, exec_lo, s15
	s_wait_alu 0xfffe
	s_cbranch_vccz .LBB1626_6
; %bb.5:
	v_add_co_u32 v1, vcc_lo, v11, v8
	s_wait_alu 0xfffd
	v_add_co_ci_u32_e64 v2, null, 0, v12, vcc_lo
	s_mov_b32 s1, 0
	s_clause 0x6
	flat_load_b32 v3, v[1:2]
	flat_load_b32 v4, v[1:2] offset:1536
	flat_load_b32 v5, v[1:2] offset:3072
	;; [unrolled: 1-line block ×6, first 2 shown]
	s_wait_loadcnt_dscnt 0x505
	ds_store_2addr_stride64_b32 v8, v3, v4 offset1:6
	s_wait_loadcnt_dscnt 0x304
	ds_store_2addr_stride64_b32 v8, v5, v6 offset0:12 offset1:18
	s_wait_loadcnt_dscnt 0x103
	ds_store_2addr_stride64_b32 v8, v7, v13 offset0:24 offset1:30
	s_wait_loadcnt_dscnt 0x3
	ds_store_b32 v8, v1 offset:9216
	s_wait_dscnt 0x0
	s_barrier_signal -1
	s_barrier_wait -1
.LBB1626_6:
	s_and_not1_b32 vcc_lo, exec_lo, s1
	s_add_co_i32 s14, s0, 0xa80
	s_wait_alu 0xfffe
	s_cbranch_vccnz .LBB1626_22
; %bb.7:
	v_mov_b32_e32 v1, 0
	s_mov_b32 s0, exec_lo
	s_delay_alu instid0(VALU_DEP_1)
	v_dual_mov_b32 v2, v1 :: v_dual_mov_b32 v3, v1
	v_dual_mov_b32 v4, v1 :: v_dual_mov_b32 v5, v1
	;; [unrolled: 1-line block ×3, first 2 shown]
	v_cmpx_gt_u32_e64 s14, v0
	s_cbranch_execz .LBB1626_9
; %bb.8:
	v_add_co_u32 v2, vcc_lo, v11, v8
	s_wait_alu 0xfffd
	v_add_co_ci_u32_e64 v3, null, 0, v12, vcc_lo
	v_dual_mov_b32 v14, v1 :: v_dual_mov_b32 v15, v1
	v_dual_mov_b32 v16, v1 :: v_dual_mov_b32 v17, v1
	flat_load_b32 v13, v[2:3]
	v_dual_mov_b32 v18, v1 :: v_dual_mov_b32 v19, v1
	s_wait_loadcnt_dscnt 0x0
	v_dual_mov_b32 v1, v13 :: v_dual_mov_b32 v2, v14
	v_dual_mov_b32 v3, v15 :: v_dual_mov_b32 v4, v16
	s_delay_alu instid0(VALU_DEP_3)
	v_dual_mov_b32 v5, v17 :: v_dual_mov_b32 v6, v18
	v_mov_b32_e32 v7, v19
.LBB1626_9:
	s_or_b32 exec_lo, exec_lo, s0
	v_add_nc_u32_e32 v13, 0x180, v0
	s_mov_b32 s0, exec_lo
	s_delay_alu instid0(VALU_DEP_1)
	v_cmpx_gt_u32_e64 s14, v13
	s_cbranch_execz .LBB1626_11
; %bb.10:
	v_add_co_u32 v13, vcc_lo, v11, v8
	s_wait_alu 0xfffd
	v_add_co_ci_u32_e64 v14, null, 0, v12, vcc_lo
	flat_load_b32 v2, v[13:14] offset:1536
.LBB1626_11:
	s_or_b32 exec_lo, exec_lo, s0
	v_add_nc_u32_e32 v13, 0x300, v0
	s_mov_b32 s0, exec_lo
	s_delay_alu instid0(VALU_DEP_1)
	v_cmpx_gt_u32_e64 s14, v13
	s_cbranch_execz .LBB1626_13
; %bb.12:
	v_add_co_u32 v13, vcc_lo, v11, v8
	s_wait_alu 0xfffd
	v_add_co_ci_u32_e64 v14, null, 0, v12, vcc_lo
	flat_load_b32 v3, v[13:14] offset:3072
.LBB1626_13:
	;; [unrolled: 12-line block ×3, first 2 shown]
	s_or_b32 exec_lo, exec_lo, s0
	v_or_b32_e32 v13, 0x600, v0
	s_mov_b32 s0, exec_lo
	s_delay_alu instid0(VALU_DEP_1)
	v_cmpx_gt_u32_e64 s14, v13
	s_cbranch_execz .LBB1626_17
; %bb.16:
	v_add_co_u32 v13, vcc_lo, v11, v8
	s_wait_alu 0xfffd
	v_add_co_ci_u32_e64 v14, null, 0, v12, vcc_lo
	flat_load_b32 v5, v[13:14] offset:6144
.LBB1626_17:
	s_or_b32 exec_lo, exec_lo, s0
	v_add_nc_u32_e32 v13, 0x780, v0
	s_mov_b32 s0, exec_lo
	s_delay_alu instid0(VALU_DEP_1)
	v_cmpx_gt_u32_e64 s14, v13
	s_cbranch_execz .LBB1626_19
; %bb.18:
	v_add_co_u32 v13, vcc_lo, v11, v8
	s_wait_alu 0xfffd
	v_add_co_ci_u32_e64 v14, null, 0, v12, vcc_lo
	flat_load_b32 v6, v[13:14] offset:7680
.LBB1626_19:
	s_or_b32 exec_lo, exec_lo, s0
	v_add_nc_u32_e32 v13, 0x900, v0
	s_mov_b32 s0, exec_lo
	s_delay_alu instid0(VALU_DEP_1)
	v_cmpx_gt_u32_e64 s14, v13
	s_cbranch_execz .LBB1626_21
; %bb.20:
	v_add_co_u32 v11, vcc_lo, v11, v8
	s_wait_alu 0xfffd
	v_add_co_ci_u32_e64 v12, null, 0, v12, vcc_lo
	flat_load_b32 v7, v[11:12] offset:9216
.LBB1626_21:
	s_or_b32 exec_lo, exec_lo, s0
	s_wait_loadcnt_dscnt 0x0
	ds_store_2addr_stride64_b32 v8, v1, v2 offset1:6
	ds_store_2addr_stride64_b32 v8, v3, v4 offset0:12 offset1:18
	ds_store_2addr_stride64_b32 v8, v5, v6 offset0:24 offset1:30
	ds_store_b32 v8, v7 offset:9216
	s_wait_dscnt 0x0
	s_barrier_signal -1
	s_barrier_wait -1
.LBB1626_22:
	v_mul_u32_u24_e32 v1, 7, v0
	s_wait_loadcnt 0x0
	global_inv scope:SCOPE_SE
	s_and_not1_b32 vcc_lo, exec_lo, s15
	v_lshlrev_b32_e32 v29, 2, v1
	ds_load_2addr_b32 v[11:12], v29 offset0:4 offset1:5
	ds_load_b32 v25, v29 offset:24
	ds_load_2addr_b32 v[15:16], v29 offset1:1
	ds_load_2addr_b32 v[13:14], v29 offset0:2 offset1:3
	s_wait_loadcnt_dscnt 0x0
	s_barrier_signal -1
	s_barrier_wait -1
	global_inv scope:SCOPE_SE
	v_cmp_neq_f32_e64 s0, s16, v11
	v_cmp_neq_f32_e64 s10, s16, v25
	;; [unrolled: 1-line block ×7, first 2 shown]
	s_wait_alu 0xfffe
	s_cbranch_vccnz .LBB1626_24
; %bb.23:
	s_wait_alu 0xf1ff
	v_cndmask_b32_e64 v2, 0, 1, s5
	v_cndmask_b32_e64 v3, 0, 1, s6
	;; [unrolled: 1-line block ×5, first 2 shown]
	v_lshlrev_b16 v2, 8, v2
	v_lshlrev_b16 v3, 8, v3
	v_cndmask_b32_e64 v26, 0, 1, s1
	s_delay_alu instid0(VALU_DEP_3) | instskip(NEXT) | instid1(VALU_DEP_3)
	v_or_b32_e32 v2, v4, v2
	v_or_b32_e32 v3, v5, v3
	s_delay_alu instid0(VALU_DEP_2) | instskip(NEXT) | instid1(VALU_DEP_2)
	v_and_b32_e32 v2, 0xffff, v2
	v_lshlrev_b32_e32 v3, 16, v3
	s_delay_alu instid0(VALU_DEP_1)
	v_or_b32_e32 v28, v2, v3
	s_cbranch_execz .LBB1626_25
	s_branch .LBB1626_26
.LBB1626_24:
                                        ; implicit-def: $sgpr10
                                        ; implicit-def: $vgpr26
                                        ; implicit-def: $vgpr27
                                        ; implicit-def: $vgpr28
.LBB1626_25:
	v_add_nc_u32_e32 v2, 1, v1
	v_cmp_neq_f32_e32 vcc_lo, s16, v16
	v_add_nc_u32_e32 v3, 3, v1
	v_cmp_neq_f32_e64 s0, s16, v15
	v_cmp_neq_f32_e64 s3, s16, v14
	v_cmp_gt_u32_e64 s1, s14, v2
	v_add_nc_u32_e32 v2, 2, v1
	v_cmp_gt_u32_e64 s5, s14, v3
	v_cmp_neq_f32_e64 s4, s16, v13
	v_add_nc_u32_e32 v5, 5, v1
	s_and_b32 s1, s1, vcc_lo
	v_cmp_gt_u32_e32 vcc_lo, s14, v1
	s_wait_alu 0xfffe
	v_cndmask_b32_e64 v3, 0, 1, s1
	v_cmp_gt_u32_e64 s1, s14, v2
	s_and_b32 s3, s5, s3
	s_and_b32 s0, vcc_lo, s0
	v_lshlrev_b16 v3, 8, v3
	s_wait_alu 0xfffe
	v_cndmask_b32_e64 v4, 0, 1, s0
	v_cndmask_b32_e64 v2, 0, 1, s3
	s_and_b32 s0, s1, s4
	v_cmp_neq_f32_e32 vcc_lo, s16, v12
	s_wait_alu 0xfffe
	v_cndmask_b32_e64 v6, 0, 1, s0
	v_cmp_gt_u32_e64 s0, s14, v5
	v_or_b32_e32 v3, v4, v3
	v_add_nc_u32_e32 v4, 4, v1
	v_lshlrev_b16 v2, 8, v2
	v_cmp_neq_f32_e64 s1, s16, v11
	s_and_b32 s0, s0, vcc_lo
	v_add_nc_u32_e32 v1, 6, v1
	v_cmp_gt_u32_e32 vcc_lo, s14, v4
	v_or_b32_e32 v2, v6, v2
	s_wait_alu 0xfffe
	v_cndmask_b32_e64 v26, 0, 1, s0
	v_and_b32_e32 v3, 0xffff, v3
	s_and_b32 s0, vcc_lo, s1
	v_cmp_gt_u32_e32 vcc_lo, s14, v1
	s_wait_alu 0xfffe
	v_cndmask_b32_e64 v5, 0, 1, s0
	v_cmp_neq_f32_e64 s0, s16, v25
	v_lshlrev_b32_e32 v2, 16, v2
	v_lshlrev_b16 v4, 8, v26
	s_and_not1_b32 s1, s10, exec_lo
	s_and_b32 s0, vcc_lo, s0
	s_delay_alu instid0(VALU_DEP_2) | instskip(NEXT) | instid1(VALU_DEP_2)
	v_or_b32_e32 v28, v3, v2
	v_or_b32_e32 v27, v5, v4
	s_wait_alu 0xfffe
	s_and_b32 s0, s0, exec_lo
	s_wait_alu 0xfffe
	s_or_b32 s10, s1, s0
.LBB1626_26:
	s_delay_alu instid0(VALU_DEP_1)
	v_dual_mov_b32 v2, 0 :: v_dual_and_b32 v33, 0xff, v28
	v_bfe_u32 v32, v28, 8, 8
	s_wait_alu 0xfffe
	v_cndmask_b32_e64 v1, 0, 1, s10
	v_bfe_u32 v35, v28, 16, 8
	v_lshrrev_b32_e32 v30, 24, v28
	v_and_b32_e32 v34, 0xff, v27
	v_mbcnt_lo_u32_b32 v36, -1, 0
	v_add3_u32 v1, v33, v1, v32
	v_and_b32_e32 v31, 0xff, v26
	s_cmp_lg_u32 s11, 0
	s_mov_b32 s1, -1
	v_and_b32_e32 v37, 15, v36
	v_add_co_u32 v1, s0, v1, v35
	s_wait_alu 0xf1ff
	v_add_co_ci_u32_e64 v3, null, 0, 0, s0
	s_delay_alu instid0(VALU_DEP_3) | instskip(NEXT) | instid1(VALU_DEP_3)
	v_cmp_ne_u32_e64 s0, 0, v37
	v_add_co_u32 v1, vcc_lo, v1, v30
	s_wait_alu 0xfffd
	s_delay_alu instid0(VALU_DEP_3) | instskip(NEXT) | instid1(VALU_DEP_2)
	v_add_co_ci_u32_e64 v3, null, 0, v3, vcc_lo
	v_add_co_u32 v1, vcc_lo, v1, v34
	s_wait_alu 0xfffd
	s_delay_alu instid0(VALU_DEP_2) | instskip(NEXT) | instid1(VALU_DEP_2)
	v_add_co_ci_u32_e64 v3, null, 0, v3, vcc_lo
	v_add_co_u32 v17, vcc_lo, v1, v31
	s_wait_alu 0xfffd
	s_delay_alu instid0(VALU_DEP_2)
	v_add_co_ci_u32_e64 v18, null, 0, v3, vcc_lo
	s_cbranch_scc0 .LBB1626_85
; %bb.27:
	v_mov_b32_e32 v3, v17
	v_mov_b32_dpp v1, v17 row_shr:1 row_mask:0xf bank_mask:0xf
	v_mov_b32_dpp v6, v2 row_shr:1 row_mask:0xf bank_mask:0xf
	v_dual_mov_b32 v5, v17 :: v_dual_mov_b32 v4, v18
	s_and_saveexec_b32 s1, s0
; %bb.28:
	s_delay_alu instid0(VALU_DEP_3) | instskip(SKIP_2) | instid1(VALU_DEP_2)
	v_add_co_u32 v5, vcc_lo, v17, v1
	s_wait_alu 0xfffd
	v_add_co_ci_u32_e64 v2, null, 0, v18, vcc_lo
	v_add_co_u32 v1, vcc_lo, 0, v5
	s_wait_alu 0xfffd
	s_delay_alu instid0(VALU_DEP_2) | instskip(NEXT) | instid1(VALU_DEP_1)
	v_add_co_ci_u32_e64 v2, null, v6, v2, vcc_lo
	v_dual_mov_b32 v4, v2 :: v_dual_mov_b32 v3, v1
; %bb.29:
	s_wait_alu 0xfffe
	s_or_b32 exec_lo, exec_lo, s1
	v_mov_b32_dpp v1, v5 row_shr:2 row_mask:0xf bank_mask:0xf
	v_mov_b32_dpp v6, v2 row_shr:2 row_mask:0xf bank_mask:0xf
	v_cmp_lt_u32_e32 vcc_lo, 1, v37
	s_and_saveexec_b32 s3, vcc_lo
; %bb.30:
	s_delay_alu instid0(VALU_DEP_3) | instskip(SKIP_2) | instid1(VALU_DEP_2)
	v_add_co_u32 v5, s1, v3, v1
	s_wait_alu 0xf1ff
	v_add_co_ci_u32_e64 v2, null, 0, v4, s1
	v_add_co_u32 v1, s1, 0, v5
	s_wait_alu 0xf1ff
	s_delay_alu instid0(VALU_DEP_2) | instskip(NEXT) | instid1(VALU_DEP_1)
	v_add_co_ci_u32_e64 v2, null, v6, v2, s1
	v_dual_mov_b32 v4, v2 :: v_dual_mov_b32 v3, v1
; %bb.31:
	s_wait_alu 0xfffe
	s_or_b32 exec_lo, exec_lo, s3
	v_mov_b32_dpp v1, v5 row_shr:4 row_mask:0xf bank_mask:0xf
	v_mov_b32_dpp v6, v2 row_shr:4 row_mask:0xf bank_mask:0xf
	v_cmp_lt_u32_e64 s1, 3, v37
	s_and_saveexec_b32 s4, s1
; %bb.32:
	v_add_co_u32 v5, s3, v3, v1
	s_wait_alu 0xf1ff
	v_add_co_ci_u32_e64 v2, null, 0, v4, s3
	s_delay_alu instid0(VALU_DEP_2) | instskip(SKIP_1) | instid1(VALU_DEP_2)
	v_add_co_u32 v1, s3, 0, v5
	s_wait_alu 0xf1ff
	v_add_co_ci_u32_e64 v2, null, v6, v2, s3
	s_delay_alu instid0(VALU_DEP_1)
	v_dual_mov_b32 v4, v2 :: v_dual_mov_b32 v3, v1
; %bb.33:
	s_wait_alu 0xfffe
	s_or_b32 exec_lo, exec_lo, s4
	v_mov_b32_dpp v6, v5 row_shr:8 row_mask:0xf bank_mask:0xf
	v_mov_b32_dpp v1, v2 row_shr:8 row_mask:0xf bank_mask:0xf
	v_cmp_lt_u32_e64 s3, 7, v37
	s_and_saveexec_b32 s5, s3
; %bb.34:
	v_add_co_u32 v5, s4, v3, v6
	s_wait_alu 0xf1ff
	v_add_co_ci_u32_e64 v2, null, 0, v4, s4
	s_delay_alu instid0(VALU_DEP_2) | instskip(SKIP_1) | instid1(VALU_DEP_2)
	v_add_co_u32 v3, s4, 0, v5
	s_wait_alu 0xf1ff
	v_add_co_ci_u32_e64 v4, null, v1, v2, s4
	s_delay_alu instid0(VALU_DEP_1)
	v_mov_b32_e32 v2, v4
; %bb.35:
	s_wait_alu 0xfffe
	s_or_b32 exec_lo, exec_lo, s5
	ds_swizzle_b32 v6, v5 offset:swizzle(BROADCAST,32,15)
	ds_swizzle_b32 v1, v2 offset:swizzle(BROADCAST,32,15)
	v_and_b32_e32 v2, 16, v36
	s_mov_b32 s5, exec_lo
	s_delay_alu instid0(VALU_DEP_1)
	v_cmpx_ne_u32_e32 0, v2
	s_cbranch_execz .LBB1626_37
; %bb.36:
	s_wait_dscnt 0x1
	v_add_co_u32 v5, s4, v3, v6
	s_wait_alu 0xf1ff
	v_add_co_ci_u32_e64 v2, null, 0, v4, s4
	s_delay_alu instid0(VALU_DEP_2) | instskip(SKIP_2) | instid1(VALU_DEP_2)
	v_add_co_u32 v3, s4, 0, v5
	s_wait_dscnt 0x0
	s_wait_alu 0xf1ff
	v_add_co_ci_u32_e64 v4, null, v1, v2, s4
.LBB1626_37:
	s_wait_alu 0xfffe
	s_or_b32 exec_lo, exec_lo, s5
	s_wait_dscnt 0x0
	v_and_b32_e32 v1, 0x1e0, v0
	v_lshrrev_b32_e32 v6, 5, v0
	s_mov_b32 s5, exec_lo
	s_delay_alu instid0(VALU_DEP_2) | instskip(NEXT) | instid1(VALU_DEP_1)
	v_min_u32_e32 v1, 0x160, v1
	v_or_b32_e32 v1, 31, v1
	s_delay_alu instid0(VALU_DEP_1)
	v_cmpx_eq_u32_e64 v0, v1
; %bb.38:
	v_lshlrev_b32_e32 v1, 3, v6
	ds_store_b64 v1, v[3:4]
; %bb.39:
	s_wait_alu 0xfffe
	s_or_b32 exec_lo, exec_lo, s5
	s_delay_alu instid0(SALU_CYCLE_1)
	s_mov_b32 s5, exec_lo
	s_wait_loadcnt_dscnt 0x0
	s_barrier_signal -1
	s_barrier_wait -1
	global_inv scope:SCOPE_SE
	v_cmpx_gt_u32_e32 12, v0
	s_cbranch_execz .LBB1626_49
; %bb.40:
	v_lshlrev_b32_e32 v3, 3, v0
	ds_load_b64 v[1:2], v3
	s_wait_dscnt 0x0
	v_mov_b32_dpp v8, v1 row_shr:1 row_mask:0xf bank_mask:0xf
	v_mov_b32_dpp v7, v2 row_shr:1 row_mask:0xf bank_mask:0xf
	v_mov_b32_e32 v4, v1
	s_and_saveexec_b32 s6, s0
; %bb.41:
	s_delay_alu instid0(VALU_DEP_3) | instskip(SKIP_2) | instid1(VALU_DEP_2)
	v_add_co_u32 v4, s4, v1, v8
	s_wait_alu 0xf1ff
	v_add_co_ci_u32_e64 v2, null, 0, v2, s4
	v_add_co_u32 v1, s4, 0, v4
	s_wait_alu 0xf1ff
	s_delay_alu instid0(VALU_DEP_2)
	v_add_co_ci_u32_e64 v2, null, v7, v2, s4
; %bb.42:
	s_wait_alu 0xfffe
	s_or_b32 exec_lo, exec_lo, s6
	v_mov_b32_dpp v8, v4 row_shr:2 row_mask:0xf bank_mask:0xf
	s_delay_alu instid0(VALU_DEP_2)
	v_mov_b32_dpp v7, v2 row_shr:2 row_mask:0xf bank_mask:0xf
	s_and_saveexec_b32 s4, vcc_lo
; %bb.43:
	s_delay_alu instid0(VALU_DEP_2) | instskip(SKIP_2) | instid1(VALU_DEP_2)
	v_add_co_u32 v4, vcc_lo, v1, v8
	s_wait_alu 0xfffd
	v_add_co_ci_u32_e64 v2, null, 0, v2, vcc_lo
	v_add_co_u32 v1, vcc_lo, 0, v4
	s_wait_alu 0xfffd
	s_delay_alu instid0(VALU_DEP_2)
	v_add_co_ci_u32_e64 v2, null, v7, v2, vcc_lo
; %bb.44:
	s_wait_alu 0xfffe
	s_or_b32 exec_lo, exec_lo, s4
	v_mov_b32_dpp v8, v4 row_shr:4 row_mask:0xf bank_mask:0xf
	s_delay_alu instid0(VALU_DEP_2)
	v_mov_b32_dpp v7, v2 row_shr:4 row_mask:0xf bank_mask:0xf
	s_and_saveexec_b32 s4, s1
; %bb.45:
	s_delay_alu instid0(VALU_DEP_2) | instskip(SKIP_2) | instid1(VALU_DEP_2)
	v_add_co_u32 v4, vcc_lo, v1, v8
	s_wait_alu 0xfffd
	v_add_co_ci_u32_e64 v2, null, 0, v2, vcc_lo
	v_add_co_u32 v1, vcc_lo, 0, v4
	s_wait_alu 0xfffd
	s_delay_alu instid0(VALU_DEP_2)
	v_add_co_ci_u32_e64 v2, null, v7, v2, vcc_lo
; %bb.46:
	s_wait_alu 0xfffe
	s_or_b32 exec_lo, exec_lo, s4
	v_mov_b32_dpp v7, v4 row_shr:8 row_mask:0xf bank_mask:0xf
	s_delay_alu instid0(VALU_DEP_2)
	v_mov_b32_dpp v4, v2 row_shr:8 row_mask:0xf bank_mask:0xf
	s_and_saveexec_b32 s1, s3
; %bb.47:
	s_delay_alu instid0(VALU_DEP_2) | instskip(SKIP_2) | instid1(VALU_DEP_2)
	v_add_co_u32 v1, vcc_lo, v1, v7
	s_wait_alu 0xfffd
	v_add_co_ci_u32_e64 v2, null, 0, v2, vcc_lo
	v_add_co_u32 v1, vcc_lo, v1, 0
	s_wait_alu 0xfffd
	s_delay_alu instid0(VALU_DEP_2)
	v_add_co_ci_u32_e64 v2, null, v2, v4, vcc_lo
; %bb.48:
	s_wait_alu 0xfffe
	s_or_b32 exec_lo, exec_lo, s1
	ds_store_b64 v3, v[1:2]
.LBB1626_49:
	s_wait_alu 0xfffe
	s_or_b32 exec_lo, exec_lo, s5
	s_delay_alu instid0(SALU_CYCLE_1)
	s_mov_b32 s3, exec_lo
	v_cmp_gt_u32_e32 vcc_lo, 32, v0
	s_wait_loadcnt_dscnt 0x0
	s_barrier_signal -1
	s_barrier_wait -1
	global_inv scope:SCOPE_SE
                                        ; implicit-def: $vgpr19_vgpr20
	v_cmpx_lt_u32_e32 31, v0
	s_cbranch_execz .LBB1626_51
; %bb.50:
	v_lshl_add_u32 v1, v6, 3, -8
	ds_load_b64 v[19:20], v1
	s_wait_dscnt 0x0
	v_add_nc_u32_e32 v5, v5, v19
.LBB1626_51:
	s_wait_alu 0xfffe
	s_or_b32 exec_lo, exec_lo, s3
	v_sub_co_u32 v1, s1, v36, 1
	s_delay_alu instid0(VALU_DEP_1) | instskip(SKIP_1) | instid1(VALU_DEP_1)
	v_cmp_gt_i32_e64 s3, 0, v1
	s_wait_alu 0xf1ff
	v_cndmask_b32_e64 v1, v1, v36, s3
	s_delay_alu instid0(VALU_DEP_1)
	v_lshlrev_b32_e32 v1, 2, v1
	ds_bpermute_b32 v38, v1, v5
	s_and_saveexec_b32 s3, vcc_lo
	s_cbranch_execz .LBB1626_90
; %bb.52:
	v_mov_b32_e32 v4, 0
	ds_load_b64 v[1:2], v4 offset:88
	s_and_saveexec_b32 s4, s1
	s_cbranch_execz .LBB1626_54
; %bb.53:
	s_add_co_i32 s14, s11, 32
	s_mov_b32 s15, 0
	s_wait_alu 0xfffe
	s_lshl_b64 s[14:15], s[14:15], 4
	s_wait_alu 0xfffe
	s_add_nc_u64 s[14:15], s[12:13], s[14:15]
	v_mov_b32_e32 v3, 1
	s_wait_alu 0xfffe
	v_dual_mov_b32 v5, s14 :: v_dual_mov_b32 v6, s15
	s_wait_dscnt 0x0
	;;#ASMSTART
	global_store_b128 v[5:6], v[1:4] off scope:SCOPE_DEV	
s_wait_storecnt 0x0
	;;#ASMEND
.LBB1626_54:
	s_wait_alu 0xfffe
	s_or_b32 exec_lo, exec_lo, s4
	v_xad_u32 v21, v36, -1, s11
	s_mov_b32 s5, 0
	s_mov_b32 s4, exec_lo
	s_delay_alu instid0(VALU_DEP_1) | instskip(NEXT) | instid1(VALU_DEP_1)
	v_add_nc_u32_e32 v3, 32, v21
	v_lshlrev_b64_e32 v[3:4], 4, v[3:4]
	s_delay_alu instid0(VALU_DEP_1) | instskip(SKIP_1) | instid1(VALU_DEP_2)
	v_add_co_u32 v3, vcc_lo, s12, v3
	s_wait_alu 0xfffd
	v_add_co_ci_u32_e64 v4, null, s13, v4, vcc_lo
	;;#ASMSTART
	global_load_b128 v[5:8], v[3:4] off scope:SCOPE_DEV	
s_wait_loadcnt 0x0
	;;#ASMEND
	v_and_b32_e32 v8, 0xff, v7
	s_delay_alu instid0(VALU_DEP_1)
	v_cmpx_eq_u16_e32 0, v8
	s_cbranch_execz .LBB1626_57
.LBB1626_55:                            ; =>This Inner Loop Header: Depth=1
	;;#ASMSTART
	global_load_b128 v[5:8], v[3:4] off scope:SCOPE_DEV	
s_wait_loadcnt 0x0
	;;#ASMEND
	v_and_b32_e32 v8, 0xff, v7
	s_delay_alu instid0(VALU_DEP_1)
	v_cmp_ne_u16_e32 vcc_lo, 0, v8
	s_wait_alu 0xfffe
	s_or_b32 s5, vcc_lo, s5
	s_wait_alu 0xfffe
	s_and_not1_b32 exec_lo, exec_lo, s5
	s_cbranch_execnz .LBB1626_55
; %bb.56:
	s_or_b32 exec_lo, exec_lo, s5
.LBB1626_57:
	s_wait_alu 0xfffe
	s_or_b32 exec_lo, exec_lo, s4
	v_cmp_ne_u32_e32 vcc_lo, 31, v36
	v_and_b32_e32 v4, 0xff, v7
	v_lshlrev_b32_e64 v40, v36, -1
	s_mov_b32 s4, exec_lo
	s_wait_alu 0xfffd
	v_add_co_ci_u32_e64 v3, null, 0, v36, vcc_lo
	v_cmp_eq_u16_e32 vcc_lo, 2, v4
	s_delay_alu instid0(VALU_DEP_2)
	v_dual_mov_b32 v4, v5 :: v_dual_lshlrev_b32 v39, 2, v3
	s_wait_alu 0xfffd
	v_and_or_b32 v3, vcc_lo, v40, 0x80000000
	ds_bpermute_b32 v22, v39, v5
	ds_bpermute_b32 v8, v39, v6
	v_ctz_i32_b32_e32 v3, v3
	s_delay_alu instid0(VALU_DEP_1)
	v_cmpx_lt_u32_e64 v36, v3
	s_cbranch_execz .LBB1626_59
; %bb.58:
	s_wait_dscnt 0x1
	v_add_co_u32 v4, vcc_lo, v5, v22
	s_wait_alu 0xfffd
	v_add_co_ci_u32_e64 v6, null, 0, v6, vcc_lo
	s_delay_alu instid0(VALU_DEP_2) | instskip(SKIP_2) | instid1(VALU_DEP_2)
	v_add_co_u32 v5, vcc_lo, 0, v4
	s_wait_dscnt 0x0
	s_wait_alu 0xfffd
	v_add_co_ci_u32_e64 v6, null, v8, v6, vcc_lo
.LBB1626_59:
	s_wait_alu 0xfffe
	s_or_b32 exec_lo, exec_lo, s4
	v_cmp_gt_u32_e32 vcc_lo, 30, v36
	v_add_nc_u32_e32 v42, 2, v36
	s_mov_b32 s4, exec_lo
	s_wait_dscnt 0x0
	s_wait_alu 0xfffd
	v_cndmask_b32_e64 v8, 0, 2, vcc_lo
	s_delay_alu instid0(VALU_DEP_1)
	v_add_lshl_u32 v41, v8, v36, 2
	ds_bpermute_b32 v22, v41, v4
	ds_bpermute_b32 v8, v41, v6
	v_cmpx_le_u32_e64 v42, v3
	s_cbranch_execz .LBB1626_61
; %bb.60:
	s_wait_dscnt 0x1
	v_add_co_u32 v4, vcc_lo, v5, v22
	s_wait_alu 0xfffd
	v_add_co_ci_u32_e64 v6, null, 0, v6, vcc_lo
	s_delay_alu instid0(VALU_DEP_2) | instskip(SKIP_2) | instid1(VALU_DEP_2)
	v_add_co_u32 v5, vcc_lo, 0, v4
	s_wait_dscnt 0x0
	s_wait_alu 0xfffd
	v_add_co_ci_u32_e64 v6, null, v8, v6, vcc_lo
.LBB1626_61:
	s_wait_alu 0xfffe
	s_or_b32 exec_lo, exec_lo, s4
	v_cmp_gt_u32_e32 vcc_lo, 28, v36
	v_add_nc_u32_e32 v44, 4, v36
	s_mov_b32 s4, exec_lo
	s_wait_dscnt 0x0
	s_wait_alu 0xfffd
	v_cndmask_b32_e64 v8, 0, 4, vcc_lo
	s_delay_alu instid0(VALU_DEP_1)
	v_add_lshl_u32 v43, v8, v36, 2
	ds_bpermute_b32 v22, v43, v4
	ds_bpermute_b32 v8, v43, v6
	v_cmpx_le_u32_e64 v44, v3
	;; [unrolled: 25-line block ×3, first 2 shown]
	s_cbranch_execz .LBB1626_65
; %bb.64:
	s_wait_dscnt 0x1
	v_add_co_u32 v4, vcc_lo, v5, v22
	s_wait_alu 0xfffd
	v_add_co_ci_u32_e64 v6, null, 0, v6, vcc_lo
	s_delay_alu instid0(VALU_DEP_2) | instskip(SKIP_2) | instid1(VALU_DEP_2)
	v_add_co_u32 v5, vcc_lo, 0, v4
	s_wait_dscnt 0x0
	s_wait_alu 0xfffd
	v_add_co_ci_u32_e64 v6, null, v8, v6, vcc_lo
.LBB1626_65:
	s_wait_alu 0xfffe
	s_or_b32 exec_lo, exec_lo, s4
	v_lshl_or_b32 v47, v36, 2, 64
	v_add_nc_u32_e32 v48, 16, v36
	s_mov_b32 s4, exec_lo
	s_wait_dscnt 0x0
	ds_bpermute_b32 v8, v47, v4
	ds_bpermute_b32 v4, v47, v6
	v_cmpx_le_u32_e64 v48, v3
	s_cbranch_execz .LBB1626_67
; %bb.66:
	s_wait_dscnt 0x1
	v_add_co_u32 v3, vcc_lo, v5, v8
	s_wait_alu 0xfffd
	v_add_co_ci_u32_e64 v6, null, 0, v6, vcc_lo
	s_delay_alu instid0(VALU_DEP_2) | instskip(SKIP_2) | instid1(VALU_DEP_2)
	v_add_co_u32 v5, vcc_lo, v3, 0
	s_wait_dscnt 0x0
	s_wait_alu 0xfffd
	v_add_co_ci_u32_e64 v6, null, v6, v4, vcc_lo
.LBB1626_67:
	s_wait_alu 0xfffe
	s_or_b32 exec_lo, exec_lo, s4
	v_mov_b32_e32 v22, 0
	s_branch .LBB1626_70
.LBB1626_68:                            ;   in Loop: Header=BB1626_70 Depth=1
	s_wait_alu 0xfffe
	s_or_b32 exec_lo, exec_lo, s4
	v_add_co_u32 v5, vcc_lo, v5, v3
	v_subrev_nc_u32_e32 v21, 32, v21
	s_wait_alu 0xfffd
	v_add_co_ci_u32_e64 v6, null, v6, v4, vcc_lo
	s_mov_b32 s4, 0
.LBB1626_69:                            ;   in Loop: Header=BB1626_70 Depth=1
	s_wait_alu 0xfffe
	s_and_b32 vcc_lo, exec_lo, s4
	s_wait_alu 0xfffe
	s_cbranch_vccnz .LBB1626_86
.LBB1626_70:                            ; =>This Loop Header: Depth=1
                                        ;     Child Loop BB1626_73 Depth 2
	v_and_b32_e32 v3, 0xff, v7
	s_mov_b32 s4, -1
	s_delay_alu instid0(VALU_DEP_1)
	v_cmp_ne_u16_e32 vcc_lo, 2, v3
	s_wait_dscnt 0x0
	v_dual_mov_b32 v3, v5 :: v_dual_mov_b32 v4, v6
                                        ; implicit-def: $vgpr5_vgpr6
	s_cmp_lg_u32 vcc_lo, exec_lo
	s_cbranch_scc1 .LBB1626_69
; %bb.71:                               ;   in Loop: Header=BB1626_70 Depth=1
	v_lshlrev_b64_e32 v[5:6], 4, v[21:22]
	s_mov_b32 s4, exec_lo
	s_delay_alu instid0(VALU_DEP_1) | instskip(SKIP_1) | instid1(VALU_DEP_2)
	v_add_co_u32 v23, vcc_lo, s12, v5
	s_wait_alu 0xfffd
	v_add_co_ci_u32_e64 v24, null, s13, v6, vcc_lo
	;;#ASMSTART
	global_load_b128 v[5:8], v[23:24] off scope:SCOPE_DEV	
s_wait_loadcnt 0x0
	;;#ASMEND
	v_and_b32_e32 v8, 0xff, v7
	s_delay_alu instid0(VALU_DEP_1)
	v_cmpx_eq_u16_e32 0, v8
	s_cbranch_execz .LBB1626_75
; %bb.72:                               ;   in Loop: Header=BB1626_70 Depth=1
	s_mov_b32 s5, 0
.LBB1626_73:                            ;   Parent Loop BB1626_70 Depth=1
                                        ; =>  This Inner Loop Header: Depth=2
	;;#ASMSTART
	global_load_b128 v[5:8], v[23:24] off scope:SCOPE_DEV	
s_wait_loadcnt 0x0
	;;#ASMEND
	v_and_b32_e32 v8, 0xff, v7
	s_delay_alu instid0(VALU_DEP_1)
	v_cmp_ne_u16_e32 vcc_lo, 0, v8
	s_wait_alu 0xfffe
	s_or_b32 s5, vcc_lo, s5
	s_wait_alu 0xfffe
	s_and_not1_b32 exec_lo, exec_lo, s5
	s_cbranch_execnz .LBB1626_73
; %bb.74:                               ;   in Loop: Header=BB1626_70 Depth=1
	s_or_b32 exec_lo, exec_lo, s5
.LBB1626_75:                            ;   in Loop: Header=BB1626_70 Depth=1
	s_wait_alu 0xfffe
	s_or_b32 exec_lo, exec_lo, s4
	v_dual_mov_b32 v23, v5 :: v_dual_and_b32 v8, 0xff, v7
	ds_bpermute_b32 v49, v39, v5
	ds_bpermute_b32 v24, v39, v6
	s_mov_b32 s4, exec_lo
	v_cmp_eq_u16_e32 vcc_lo, 2, v8
	s_wait_alu 0xfffd
	v_and_or_b32 v8, vcc_lo, v40, 0x80000000
	s_delay_alu instid0(VALU_DEP_1) | instskip(NEXT) | instid1(VALU_DEP_1)
	v_ctz_i32_b32_e32 v8, v8
	v_cmpx_lt_u32_e64 v36, v8
	s_cbranch_execz .LBB1626_77
; %bb.76:                               ;   in Loop: Header=BB1626_70 Depth=1
	s_wait_dscnt 0x1
	v_add_co_u32 v23, vcc_lo, v5, v49
	s_wait_alu 0xfffd
	v_add_co_ci_u32_e64 v6, null, 0, v6, vcc_lo
	s_delay_alu instid0(VALU_DEP_2) | instskip(SKIP_2) | instid1(VALU_DEP_2)
	v_add_co_u32 v5, vcc_lo, 0, v23
	s_wait_dscnt 0x0
	s_wait_alu 0xfffd
	v_add_co_ci_u32_e64 v6, null, v24, v6, vcc_lo
.LBB1626_77:                            ;   in Loop: Header=BB1626_70 Depth=1
	s_wait_alu 0xfffe
	s_or_b32 exec_lo, exec_lo, s4
	s_wait_dscnt 0x1
	ds_bpermute_b32 v49, v41, v23
	s_wait_dscnt 0x1
	ds_bpermute_b32 v24, v41, v6
	s_mov_b32 s4, exec_lo
	v_cmpx_le_u32_e64 v42, v8
	s_cbranch_execz .LBB1626_79
; %bb.78:                               ;   in Loop: Header=BB1626_70 Depth=1
	s_wait_dscnt 0x1
	v_add_co_u32 v23, vcc_lo, v5, v49
	s_wait_alu 0xfffd
	v_add_co_ci_u32_e64 v6, null, 0, v6, vcc_lo
	s_delay_alu instid0(VALU_DEP_2) | instskip(SKIP_2) | instid1(VALU_DEP_2)
	v_add_co_u32 v5, vcc_lo, 0, v23
	s_wait_dscnt 0x0
	s_wait_alu 0xfffd
	v_add_co_ci_u32_e64 v6, null, v24, v6, vcc_lo
.LBB1626_79:                            ;   in Loop: Header=BB1626_70 Depth=1
	s_wait_alu 0xfffe
	s_or_b32 exec_lo, exec_lo, s4
	s_wait_dscnt 0x1
	ds_bpermute_b32 v49, v43, v23
	s_wait_dscnt 0x1
	ds_bpermute_b32 v24, v43, v6
	s_mov_b32 s4, exec_lo
	v_cmpx_le_u32_e64 v44, v8
	;; [unrolled: 20-line block ×3, first 2 shown]
	s_cbranch_execz .LBB1626_83
; %bb.82:                               ;   in Loop: Header=BB1626_70 Depth=1
	s_wait_dscnt 0x1
	v_add_co_u32 v23, vcc_lo, v5, v49
	s_wait_alu 0xfffd
	v_add_co_ci_u32_e64 v6, null, 0, v6, vcc_lo
	s_delay_alu instid0(VALU_DEP_2) | instskip(SKIP_2) | instid1(VALU_DEP_2)
	v_add_co_u32 v5, vcc_lo, 0, v23
	s_wait_dscnt 0x0
	s_wait_alu 0xfffd
	v_add_co_ci_u32_e64 v6, null, v24, v6, vcc_lo
.LBB1626_83:                            ;   in Loop: Header=BB1626_70 Depth=1
	s_wait_alu 0xfffe
	s_or_b32 exec_lo, exec_lo, s4
	s_wait_dscnt 0x0
	ds_bpermute_b32 v24, v47, v23
	ds_bpermute_b32 v23, v47, v6
	s_mov_b32 s4, exec_lo
	v_cmpx_le_u32_e64 v48, v8
	s_cbranch_execz .LBB1626_68
; %bb.84:                               ;   in Loop: Header=BB1626_70 Depth=1
	s_wait_dscnt 0x1
	v_add_co_u32 v5, vcc_lo, v5, v24
	s_wait_alu 0xfffd
	v_add_co_ci_u32_e64 v6, null, 0, v6, vcc_lo
	s_delay_alu instid0(VALU_DEP_2) | instskip(SKIP_2) | instid1(VALU_DEP_2)
	v_add_co_u32 v5, vcc_lo, v5, 0
	s_wait_dscnt 0x0
	s_wait_alu 0xfffd
	v_add_co_ci_u32_e64 v6, null, v6, v23, vcc_lo
	s_branch .LBB1626_68
.LBB1626_85:
                                        ; implicit-def: $vgpr19_vgpr20
                                        ; implicit-def: $vgpr7_vgpr8
                                        ; implicit-def: $vgpr5_vgpr6
                                        ; implicit-def: $vgpr3_vgpr4
                                        ; implicit-def: $vgpr20_vgpr21
                                        ; implicit-def: $vgpr21_vgpr22
                                        ; implicit-def: $vgpr22_vgpr23
                                        ; implicit-def: $vgpr23_vgpr24
	s_wait_alu 0xfffe
	s_and_b32 vcc_lo, exec_lo, s1
	s_wait_alu 0xfffe
	s_cbranch_vccnz .LBB1626_91
	s_branch .LBB1626_118
.LBB1626_86:
	s_and_saveexec_b32 s4, s1
	s_cbranch_execz .LBB1626_88
; %bb.87:
	s_add_co_i32 s14, s11, 32
	s_mov_b32 s15, 0
	v_add_co_u32 v5, vcc_lo, v3, v1
	s_wait_alu 0xfffe
	s_lshl_b64 s[14:15], s[14:15], 4
	v_dual_mov_b32 v7, 2 :: v_dual_mov_b32 v8, 0
	s_wait_alu 0xfffe
	s_add_nc_u64 s[14:15], s[12:13], s[14:15]
	s_wait_alu 0xfffd
	v_add_co_ci_u32_e64 v6, null, v4, v2, vcc_lo
	s_wait_alu 0xfffe
	v_dual_mov_b32 v22, s15 :: v_dual_mov_b32 v21, s14
	;;#ASMSTART
	global_store_b128 v[21:22], v[5:8] off scope:SCOPE_DEV	
s_wait_storecnt 0x0
	;;#ASMEND
	ds_store_b128 v8, v[1:4] offset:10752
.LBB1626_88:
	s_wait_alu 0xfffe
	s_or_b32 exec_lo, exec_lo, s4
	s_delay_alu instid0(SALU_CYCLE_1)
	s_and_b32 exec_lo, exec_lo, s2
; %bb.89:
	v_mov_b32_e32 v1, 0
	ds_store_b64 v1, v[3:4] offset:88
.LBB1626_90:
	s_wait_alu 0xfffe
	s_or_b32 exec_lo, exec_lo, s3
	v_mov_b32_e32 v3, 0
	s_wait_loadcnt_dscnt 0x0
	s_barrier_signal -1
	s_barrier_wait -1
	global_inv scope:SCOPE_SE
	ds_load_b64 v[1:2], v3 offset:88
	v_cndmask_b32_e64 v4, v38, v19, s1
	v_cndmask_b32_e64 v5, 0, v20, s1
	s_wait_loadcnt_dscnt 0x0
	s_barrier_signal -1
	s_barrier_wait -1
	v_cndmask_b32_e64 v4, v4, 0, s2
	v_cndmask_b32_e64 v5, v5, 0, s2
	global_inv scope:SCOPE_SE
	v_add_co_u32 v23, vcc_lo, v1, v4
	s_wait_alu 0xfffd
	v_add_co_ci_u32_e64 v1, null, v2, v5, vcc_lo
	s_delay_alu instid0(VALU_DEP_2) | instskip(SKIP_1) | instid1(VALU_DEP_2)
	v_add_co_u32 v22, vcc_lo, v23, v33
	s_wait_alu 0xfffd
	v_add_co_ci_u32_e64 v1, null, 0, v1, vcc_lo
	s_delay_alu instid0(VALU_DEP_2) | instskip(SKIP_1) | instid1(VALU_DEP_2)
	v_add_co_u32 v21, vcc_lo, v22, v32
	s_wait_alu 0xfffd
	v_add_co_ci_u32_e64 v5, null, 0, v1, vcc_lo
	ds_load_b128 v[1:4], v3 offset:10752
	v_add_co_u32 v20, vcc_lo, v21, v35
	s_wait_alu 0xfffd
	v_add_co_ci_u32_e64 v5, null, 0, v5, vcc_lo
	s_delay_alu instid0(VALU_DEP_2) | instskip(SKIP_1) | instid1(VALU_DEP_2)
	v_add_co_u32 v19, vcc_lo, v20, v30
	s_wait_alu 0xfffd
	v_add_co_ci_u32_e64 v6, null, 0, v5, vcc_lo
	s_delay_alu instid0(VALU_DEP_2) | instskip(SKIP_1) | instid1(VALU_DEP_2)
	;; [unrolled: 4-line block ×3, first 2 shown]
	v_add_co_u32 v7, vcc_lo, v5, v31
	s_wait_alu 0xfffd
	v_add_co_ci_u32_e64 v6, null, 0, v6, vcc_lo
	s_branch .LBB1626_118
.LBB1626_91:
	s_wait_dscnt 0x0
	v_dual_mov_b32 v2, 0 :: v_dual_mov_b32 v3, v17
	v_mov_b32_dpp v4, v17 row_shr:1 row_mask:0xf bank_mask:0xf
	s_delay_alu instid0(VALU_DEP_2)
	v_mov_b32_dpp v1, v2 row_shr:1 row_mask:0xf bank_mask:0xf
	s_and_saveexec_b32 s1, s0
; %bb.92:
	s_delay_alu instid0(VALU_DEP_2) | instskip(SKIP_2) | instid1(VALU_DEP_2)
	v_add_co_u32 v3, vcc_lo, v17, v4
	s_wait_alu 0xfffd
	v_add_co_ci_u32_e64 v2, null, 0, v18, vcc_lo
	v_add_co_u32 v17, vcc_lo, 0, v3
	s_wait_alu 0xfffd
	s_delay_alu instid0(VALU_DEP_2) | instskip(NEXT) | instid1(VALU_DEP_1)
	v_add_co_ci_u32_e64 v18, null, v1, v2, vcc_lo
	v_mov_b32_e32 v2, v18
; %bb.93:
	s_wait_alu 0xfffe
	s_or_b32 exec_lo, exec_lo, s1
	v_mov_b32_dpp v1, v3 row_shr:2 row_mask:0xf bank_mask:0xf
	s_delay_alu instid0(VALU_DEP_2)
	v_mov_b32_dpp v4, v2 row_shr:2 row_mask:0xf bank_mask:0xf
	v_cmp_lt_u32_e32 vcc_lo, 1, v37
	s_and_saveexec_b32 s3, vcc_lo
; %bb.94:
	s_delay_alu instid0(VALU_DEP_3) | instskip(SKIP_2) | instid1(VALU_DEP_2)
	v_add_co_u32 v3, s1, v17, v1
	s_wait_alu 0xf1ff
	v_add_co_ci_u32_e64 v2, null, 0, v18, s1
	v_add_co_u32 v1, s1, 0, v3
	s_wait_alu 0xf1ff
	s_delay_alu instid0(VALU_DEP_2) | instskip(NEXT) | instid1(VALU_DEP_1)
	v_add_co_ci_u32_e64 v2, null, v4, v2, s1
	v_dual_mov_b32 v18, v2 :: v_dual_mov_b32 v17, v1
; %bb.95:
	s_wait_alu 0xfffe
	s_or_b32 exec_lo, exec_lo, s3
	v_mov_b32_dpp v1, v3 row_shr:4 row_mask:0xf bank_mask:0xf
	v_mov_b32_dpp v4, v2 row_shr:4 row_mask:0xf bank_mask:0xf
	v_cmp_lt_u32_e64 s1, 3, v37
	s_and_saveexec_b32 s4, s1
; %bb.96:
	v_add_co_u32 v3, s3, v17, v1
	s_wait_alu 0xf1ff
	v_add_co_ci_u32_e64 v2, null, 0, v18, s3
	s_delay_alu instid0(VALU_DEP_2) | instskip(SKIP_1) | instid1(VALU_DEP_2)
	v_add_co_u32 v1, s3, 0, v3
	s_wait_alu 0xf1ff
	v_add_co_ci_u32_e64 v2, null, v4, v2, s3
	s_delay_alu instid0(VALU_DEP_1)
	v_dual_mov_b32 v18, v2 :: v_dual_mov_b32 v17, v1
; %bb.97:
	s_wait_alu 0xfffe
	s_or_b32 exec_lo, exec_lo, s4
	v_mov_b32_dpp v4, v3 row_shr:8 row_mask:0xf bank_mask:0xf
	v_mov_b32_dpp v1, v2 row_shr:8 row_mask:0xf bank_mask:0xf
	v_cmp_lt_u32_e64 s3, 7, v37
	s_and_saveexec_b32 s5, s3
; %bb.98:
	v_add_co_u32 v3, s4, v17, v4
	s_wait_alu 0xf1ff
	v_add_co_ci_u32_e64 v2, null, 0, v18, s4
	s_delay_alu instid0(VALU_DEP_2) | instskip(SKIP_1) | instid1(VALU_DEP_2)
	v_add_co_u32 v17, s4, 0, v3
	s_wait_alu 0xf1ff
	v_add_co_ci_u32_e64 v18, null, v1, v2, s4
	s_delay_alu instid0(VALU_DEP_1)
	v_mov_b32_e32 v2, v18
; %bb.99:
	s_wait_alu 0xfffe
	s_or_b32 exec_lo, exec_lo, s5
	ds_swizzle_b32 v3, v3 offset:swizzle(BROADCAST,32,15)
	ds_swizzle_b32 v1, v2 offset:swizzle(BROADCAST,32,15)
	v_and_b32_e32 v2, 16, v36
	s_mov_b32 s5, exec_lo
	s_delay_alu instid0(VALU_DEP_1)
	v_cmpx_ne_u32_e32 0, v2
	s_cbranch_execz .LBB1626_101
; %bb.100:
	s_wait_dscnt 0x1
	v_add_co_u32 v2, s4, v17, v3
	s_wait_alu 0xf1ff
	v_add_co_ci_u32_e64 v3, null, 0, v18, s4
	s_delay_alu instid0(VALU_DEP_2) | instskip(SKIP_2) | instid1(VALU_DEP_2)
	v_add_co_u32 v17, s4, v2, 0
	s_wait_dscnt 0x0
	s_wait_alu 0xf1ff
	v_add_co_ci_u32_e64 v18, null, v3, v1, s4
.LBB1626_101:
	s_wait_alu 0xfffe
	s_or_b32 exec_lo, exec_lo, s5
	s_wait_dscnt 0x0
	v_and_b32_e32 v1, 0x1e0, v0
	v_lshrrev_b32_e32 v3, 5, v0
	s_mov_b32 s5, exec_lo
	s_delay_alu instid0(VALU_DEP_2) | instskip(NEXT) | instid1(VALU_DEP_1)
	v_min_u32_e32 v1, 0x160, v1
	v_or_b32_e32 v1, 31, v1
	s_delay_alu instid0(VALU_DEP_1)
	v_cmpx_eq_u32_e64 v0, v1
; %bb.102:
	v_lshlrev_b32_e32 v1, 3, v3
	ds_store_b64 v1, v[17:18]
; %bb.103:
	s_wait_alu 0xfffe
	s_or_b32 exec_lo, exec_lo, s5
	s_delay_alu instid0(SALU_CYCLE_1)
	s_mov_b32 s5, exec_lo
	s_wait_loadcnt_dscnt 0x0
	s_barrier_signal -1
	s_barrier_wait -1
	global_inv scope:SCOPE_SE
	v_cmpx_gt_u32_e32 12, v0
	s_cbranch_execz .LBB1626_113
; %bb.104:
	v_mad_i32_i24 v1, 0xffffffec, v0, v29
	ds_load_b64 v[1:2], v1
	s_wait_dscnt 0x0
	v_mov_b32_dpp v6, v1 row_shr:1 row_mask:0xf bank_mask:0xf
	v_mov_b32_dpp v5, v2 row_shr:1 row_mask:0xf bank_mask:0xf
	v_mov_b32_e32 v4, v1
	s_and_saveexec_b32 s4, s0
; %bb.105:
	s_delay_alu instid0(VALU_DEP_3) | instskip(SKIP_2) | instid1(VALU_DEP_2)
	v_add_co_u32 v4, s0, v1, v6
	s_wait_alu 0xf1ff
	v_add_co_ci_u32_e64 v2, null, 0, v2, s0
	v_add_co_u32 v1, s0, 0, v4
	s_wait_alu 0xf1ff
	s_delay_alu instid0(VALU_DEP_2)
	v_add_co_ci_u32_e64 v2, null, v5, v2, s0
; %bb.106:
	s_wait_alu 0xfffe
	s_or_b32 exec_lo, exec_lo, s4
	v_mov_b32_dpp v6, v4 row_shr:2 row_mask:0xf bank_mask:0xf
	s_delay_alu instid0(VALU_DEP_2)
	v_mov_b32_dpp v5, v2 row_shr:2 row_mask:0xf bank_mask:0xf
	s_and_saveexec_b32 s0, vcc_lo
; %bb.107:
	s_delay_alu instid0(VALU_DEP_2) | instskip(SKIP_2) | instid1(VALU_DEP_2)
	v_add_co_u32 v4, vcc_lo, v1, v6
	s_wait_alu 0xfffd
	v_add_co_ci_u32_e64 v2, null, 0, v2, vcc_lo
	v_add_co_u32 v1, vcc_lo, 0, v4
	s_wait_alu 0xfffd
	s_delay_alu instid0(VALU_DEP_2)
	v_add_co_ci_u32_e64 v2, null, v5, v2, vcc_lo
; %bb.108:
	s_wait_alu 0xfffe
	s_or_b32 exec_lo, exec_lo, s0
	v_mov_b32_dpp v6, v4 row_shr:4 row_mask:0xf bank_mask:0xf
	s_delay_alu instid0(VALU_DEP_2)
	v_mov_b32_dpp v5, v2 row_shr:4 row_mask:0xf bank_mask:0xf
	s_and_saveexec_b32 s0, s1
; %bb.109:
	s_delay_alu instid0(VALU_DEP_2) | instskip(SKIP_2) | instid1(VALU_DEP_2)
	v_add_co_u32 v4, vcc_lo, v1, v6
	s_wait_alu 0xfffd
	v_add_co_ci_u32_e64 v2, null, 0, v2, vcc_lo
	v_add_co_u32 v1, vcc_lo, 0, v4
	s_wait_alu 0xfffd
	s_delay_alu instid0(VALU_DEP_2)
	v_add_co_ci_u32_e64 v2, null, v5, v2, vcc_lo
; %bb.110:
	s_wait_alu 0xfffe
	s_or_b32 exec_lo, exec_lo, s0
	v_mul_i32_i24_e32 v5, 0xffffffec, v0
	v_mov_b32_dpp v6, v4 row_shr:8 row_mask:0xf bank_mask:0xf
	v_mov_b32_dpp v4, v2 row_shr:8 row_mask:0xf bank_mask:0xf
	s_and_saveexec_b32 s0, s3
; %bb.111:
	s_delay_alu instid0(VALU_DEP_2) | instskip(SKIP_2) | instid1(VALU_DEP_2)
	v_add_co_u32 v1, vcc_lo, v1, v6
	s_wait_alu 0xfffd
	v_add_co_ci_u32_e64 v2, null, 0, v2, vcc_lo
	v_add_co_u32 v1, vcc_lo, v1, 0
	s_wait_alu 0xfffd
	s_delay_alu instid0(VALU_DEP_2)
	v_add_co_ci_u32_e64 v2, null, v2, v4, vcc_lo
; %bb.112:
	s_wait_alu 0xfffe
	s_or_b32 exec_lo, exec_lo, s0
	v_add_nc_u32_e32 v4, v29, v5
	ds_store_b64 v4, v[1:2]
.LBB1626_113:
	s_wait_alu 0xfffe
	s_or_b32 exec_lo, exec_lo, s5
	v_mov_b32_e32 v5, 0
	v_mov_b32_e32 v6, 0
	s_mov_b32 s0, exec_lo
	s_wait_loadcnt_dscnt 0x0
	s_barrier_signal -1
	s_barrier_wait -1
	global_inv scope:SCOPE_SE
	v_cmpx_lt_u32_e32 31, v0
; %bb.114:
	v_lshl_add_u32 v0, v3, 3, -8
	ds_load_b64 v[5:6], v0
; %bb.115:
	s_wait_alu 0xfffe
	s_or_b32 exec_lo, exec_lo, s0
	v_sub_co_u32 v0, vcc_lo, v36, 1
	s_wait_dscnt 0x0
	v_dual_mov_b32 v4, 0 :: v_dual_add_nc_u32 v1, v5, v17
	s_delay_alu instid0(VALU_DEP_2) | instskip(SKIP_1) | instid1(VALU_DEP_1)
	v_cmp_gt_i32_e64 s0, 0, v0
	s_wait_alu 0xf1ff
	v_cndmask_b32_e64 v0, v0, v36, s0
	s_delay_alu instid0(VALU_DEP_1)
	v_lshlrev_b32_e32 v0, 2, v0
	ds_bpermute_b32 v0, v0, v1
	ds_load_b64 v[1:2], v4 offset:88
	s_and_saveexec_b32 s0, s2
	s_cbranch_execz .LBB1626_117
; %bb.116:
	s_add_nc_u64 s[4:5], s[12:13], 0x200
	s_wait_alu 0xfffe
	v_dual_mov_b32 v3, 2 :: v_dual_mov_b32 v8, s5
	v_mov_b32_e32 v7, s4
	s_wait_dscnt 0x0
	;;#ASMSTART
	global_store_b128 v[7:8], v[1:4] off scope:SCOPE_DEV	
s_wait_storecnt 0x0
	;;#ASMEND
.LBB1626_117:
	s_wait_alu 0xfffe
	s_or_b32 exec_lo, exec_lo, s0
	s_wait_dscnt 0x1
	s_wait_alu 0xfffd
	v_dual_cndmask_b32 v0, v0, v5 :: v_dual_cndmask_b32 v3, 0, v6
	s_wait_loadcnt_dscnt 0x0
	s_barrier_signal -1
	s_barrier_wait -1
	s_delay_alu instid0(VALU_DEP_1)
	v_cndmask_b32_e64 v23, v0, 0, s2
	v_cndmask_b32_e64 v0, v3, 0, s2
	v_mov_b32_e32 v3, 0
	v_mov_b32_e32 v4, 0
	global_inv scope:SCOPE_SE
	v_add_co_u32 v22, vcc_lo, v23, v33
	s_wait_alu 0xfffd
	v_add_co_ci_u32_e64 v0, null, 0, v0, vcc_lo
	s_delay_alu instid0(VALU_DEP_2) | instskip(SKIP_1) | instid1(VALU_DEP_2)
	v_add_co_u32 v21, vcc_lo, v22, v32
	s_wait_alu 0xfffd
	v_add_co_ci_u32_e64 v0, null, 0, v0, vcc_lo
	s_delay_alu instid0(VALU_DEP_2) | instskip(SKIP_1) | instid1(VALU_DEP_2)
	v_add_co_u32 v20, vcc_lo, v21, v35
	s_wait_alu 0xfffd
	v_add_co_ci_u32_e64 v0, null, 0, v0, vcc_lo
	s_delay_alu instid0(VALU_DEP_2) | instskip(SKIP_1) | instid1(VALU_DEP_2)
	v_add_co_u32 v19, vcc_lo, v20, v30
	s_wait_alu 0xfffd
	v_add_co_ci_u32_e64 v0, null, 0, v0, vcc_lo
	s_delay_alu instid0(VALU_DEP_2) | instskip(SKIP_1) | instid1(VALU_DEP_2)
	v_add_co_u32 v5, vcc_lo, v19, v34
	s_wait_alu 0xfffd
	v_add_co_ci_u32_e64 v0, null, 0, v0, vcc_lo
	s_delay_alu instid0(VALU_DEP_2) | instskip(SKIP_1) | instid1(VALU_DEP_2)
	v_add_co_u32 v7, vcc_lo, v5, v31
	s_wait_alu 0xfffd
	v_add_co_ci_u32_e64 v0, null, 0, v0, vcc_lo
.LBB1626_118:
	s_wait_dscnt 0x0
	v_cmp_gt_u64_e32 vcc_lo, 0x181, v[1:2]
	v_lshrrev_b32_e32 v6, 8, v28
	v_lshrrev_b32_e32 v0, 16, v28
	s_cbranch_vccz .LBB1626_121
; %bb.119:
	s_and_b32 s0, s2, s7
	s_wait_alu 0xfffe
	s_and_saveexec_b32 s1, s0
	s_cbranch_execnz .LBB1626_136
.LBB1626_120:
	s_endpgm
.LBB1626_121:
	v_and_b32_e32 v8, 1, v28
	s_mov_b32 s0, exec_lo
	s_delay_alu instid0(VALU_DEP_1)
	v_cmpx_eq_u32_e32 1, v8
; %bb.122:
	v_sub_nc_u32_e32 v8, v23, v3
	s_delay_alu instid0(VALU_DEP_1)
	v_lshlrev_b32_e32 v8, 2, v8
	ds_store_b32 v8, v15
; %bb.123:
	s_wait_alu 0xfffe
	s_or_b32 exec_lo, exec_lo, s0
	v_and_b32_e32 v6, 1, v6
	s_mov_b32 s0, exec_lo
	s_delay_alu instid0(VALU_DEP_1)
	v_cmpx_eq_u32_e32 1, v6
; %bb.124:
	v_sub_nc_u32_e32 v6, v22, v3
	s_delay_alu instid0(VALU_DEP_1)
	v_lshlrev_b32_e32 v6, 2, v6
	ds_store_b32 v6, v16
; %bb.125:
	s_wait_alu 0xfffe
	s_or_b32 exec_lo, exec_lo, s0
	;; [unrolled: 12-line block ×6, first 2 shown]
	s_and_saveexec_b32 s0, s10
; %bb.134:
	v_sub_nc_u32_e32 v0, v7, v3
	s_delay_alu instid0(VALU_DEP_1)
	v_lshlrev_b32_e32 v0, 2, v0
	ds_store_b32 v0, v25
; %bb.135:
	s_wait_alu 0xfffe
	s_or_b32 exec_lo, exec_lo, s0
	s_wait_loadcnt_dscnt 0x0
	s_barrier_signal -1
	s_barrier_wait -1
	global_inv scope:SCOPE_SE
	s_and_b32 s0, s2, s7
	s_wait_alu 0xfffe
	s_and_saveexec_b32 s1, s0
	s_cbranch_execz .LBB1626_120
.LBB1626_136:
	v_add_co_u32 v0, vcc_lo, v1, v9
	s_wait_alu 0xfffd
	v_add_co_ci_u32_e64 v1, null, v2, v10, vcc_lo
	v_mov_b32_e32 v2, 0
	s_delay_alu instid0(VALU_DEP_3) | instskip(SKIP_1) | instid1(VALU_DEP_3)
	v_add_co_u32 v0, vcc_lo, v0, v3
	s_wait_alu 0xfffd
	v_add_co_ci_u32_e64 v1, null, v1, v4, vcc_lo
	global_store_b64 v2, v[0:1], s[8:9]
	s_endpgm
	.section	.rodata,"a",@progbits
	.p2align	6, 0x0
	.amdhsa_kernel _ZN7rocprim17ROCPRIM_400000_NS6detail17trampoline_kernelINS0_14default_configENS1_25partition_config_selectorILNS1_17partition_subalgoE6EfNS0_10empty_typeEbEEZZNS1_14partition_implILS5_6ELb0ES3_mN6thrust23THRUST_200600_302600_NS6detail15normal_iteratorINSA_10device_ptrIfEEEEPS6_SG_NS0_5tupleIJNSA_16discard_iteratorINSA_11use_defaultEEES6_EEENSH_IJSG_SG_EEES6_PlJNSB_9not_fun_tINSB_14equal_to_valueIfEEEEEEE10hipError_tPvRmT3_T4_T5_T6_T7_T9_mT8_P12ihipStream_tbDpT10_ENKUlT_T0_E_clISt17integral_constantIbLb0EES1A_IbLb1EEEEDaS16_S17_EUlS16_E_NS1_11comp_targetILNS1_3genE10ELNS1_11target_archE1200ELNS1_3gpuE4ELNS1_3repE0EEENS1_30default_config_static_selectorELNS0_4arch9wavefront6targetE0EEEvT1_
		.amdhsa_group_segment_fixed_size 10768
		.amdhsa_private_segment_fixed_size 0
		.amdhsa_kernarg_size 136
		.amdhsa_user_sgpr_count 2
		.amdhsa_user_sgpr_dispatch_ptr 0
		.amdhsa_user_sgpr_queue_ptr 0
		.amdhsa_user_sgpr_kernarg_segment_ptr 1
		.amdhsa_user_sgpr_dispatch_id 0
		.amdhsa_user_sgpr_private_segment_size 0
		.amdhsa_wavefront_size32 1
		.amdhsa_uses_dynamic_stack 0
		.amdhsa_enable_private_segment 0
		.amdhsa_system_sgpr_workgroup_id_x 1
		.amdhsa_system_sgpr_workgroup_id_y 0
		.amdhsa_system_sgpr_workgroup_id_z 0
		.amdhsa_system_sgpr_workgroup_info 0
		.amdhsa_system_vgpr_workitem_id 0
		.amdhsa_next_free_vgpr 50
		.amdhsa_next_free_sgpr 20
		.amdhsa_reserve_vcc 1
		.amdhsa_float_round_mode_32 0
		.amdhsa_float_round_mode_16_64 0
		.amdhsa_float_denorm_mode_32 3
		.amdhsa_float_denorm_mode_16_64 3
		.amdhsa_fp16_overflow 0
		.amdhsa_workgroup_processor_mode 1
		.amdhsa_memory_ordered 1
		.amdhsa_forward_progress 1
		.amdhsa_inst_pref_size 53
		.amdhsa_round_robin_scheduling 0
		.amdhsa_exception_fp_ieee_invalid_op 0
		.amdhsa_exception_fp_denorm_src 0
		.amdhsa_exception_fp_ieee_div_zero 0
		.amdhsa_exception_fp_ieee_overflow 0
		.amdhsa_exception_fp_ieee_underflow 0
		.amdhsa_exception_fp_ieee_inexact 0
		.amdhsa_exception_int_div_zero 0
	.end_amdhsa_kernel
	.section	.text._ZN7rocprim17ROCPRIM_400000_NS6detail17trampoline_kernelINS0_14default_configENS1_25partition_config_selectorILNS1_17partition_subalgoE6EfNS0_10empty_typeEbEEZZNS1_14partition_implILS5_6ELb0ES3_mN6thrust23THRUST_200600_302600_NS6detail15normal_iteratorINSA_10device_ptrIfEEEEPS6_SG_NS0_5tupleIJNSA_16discard_iteratorINSA_11use_defaultEEES6_EEENSH_IJSG_SG_EEES6_PlJNSB_9not_fun_tINSB_14equal_to_valueIfEEEEEEE10hipError_tPvRmT3_T4_T5_T6_T7_T9_mT8_P12ihipStream_tbDpT10_ENKUlT_T0_E_clISt17integral_constantIbLb0EES1A_IbLb1EEEEDaS16_S17_EUlS16_E_NS1_11comp_targetILNS1_3genE10ELNS1_11target_archE1200ELNS1_3gpuE4ELNS1_3repE0EEENS1_30default_config_static_selectorELNS0_4arch9wavefront6targetE0EEEvT1_,"axG",@progbits,_ZN7rocprim17ROCPRIM_400000_NS6detail17trampoline_kernelINS0_14default_configENS1_25partition_config_selectorILNS1_17partition_subalgoE6EfNS0_10empty_typeEbEEZZNS1_14partition_implILS5_6ELb0ES3_mN6thrust23THRUST_200600_302600_NS6detail15normal_iteratorINSA_10device_ptrIfEEEEPS6_SG_NS0_5tupleIJNSA_16discard_iteratorINSA_11use_defaultEEES6_EEENSH_IJSG_SG_EEES6_PlJNSB_9not_fun_tINSB_14equal_to_valueIfEEEEEEE10hipError_tPvRmT3_T4_T5_T6_T7_T9_mT8_P12ihipStream_tbDpT10_ENKUlT_T0_E_clISt17integral_constantIbLb0EES1A_IbLb1EEEEDaS16_S17_EUlS16_E_NS1_11comp_targetILNS1_3genE10ELNS1_11target_archE1200ELNS1_3gpuE4ELNS1_3repE0EEENS1_30default_config_static_selectorELNS0_4arch9wavefront6targetE0EEEvT1_,comdat
.Lfunc_end1626:
	.size	_ZN7rocprim17ROCPRIM_400000_NS6detail17trampoline_kernelINS0_14default_configENS1_25partition_config_selectorILNS1_17partition_subalgoE6EfNS0_10empty_typeEbEEZZNS1_14partition_implILS5_6ELb0ES3_mN6thrust23THRUST_200600_302600_NS6detail15normal_iteratorINSA_10device_ptrIfEEEEPS6_SG_NS0_5tupleIJNSA_16discard_iteratorINSA_11use_defaultEEES6_EEENSH_IJSG_SG_EEES6_PlJNSB_9not_fun_tINSB_14equal_to_valueIfEEEEEEE10hipError_tPvRmT3_T4_T5_T6_T7_T9_mT8_P12ihipStream_tbDpT10_ENKUlT_T0_E_clISt17integral_constantIbLb0EES1A_IbLb1EEEEDaS16_S17_EUlS16_E_NS1_11comp_targetILNS1_3genE10ELNS1_11target_archE1200ELNS1_3gpuE4ELNS1_3repE0EEENS1_30default_config_static_selectorELNS0_4arch9wavefront6targetE0EEEvT1_, .Lfunc_end1626-_ZN7rocprim17ROCPRIM_400000_NS6detail17trampoline_kernelINS0_14default_configENS1_25partition_config_selectorILNS1_17partition_subalgoE6EfNS0_10empty_typeEbEEZZNS1_14partition_implILS5_6ELb0ES3_mN6thrust23THRUST_200600_302600_NS6detail15normal_iteratorINSA_10device_ptrIfEEEEPS6_SG_NS0_5tupleIJNSA_16discard_iteratorINSA_11use_defaultEEES6_EEENSH_IJSG_SG_EEES6_PlJNSB_9not_fun_tINSB_14equal_to_valueIfEEEEEEE10hipError_tPvRmT3_T4_T5_T6_T7_T9_mT8_P12ihipStream_tbDpT10_ENKUlT_T0_E_clISt17integral_constantIbLb0EES1A_IbLb1EEEEDaS16_S17_EUlS16_E_NS1_11comp_targetILNS1_3genE10ELNS1_11target_archE1200ELNS1_3gpuE4ELNS1_3repE0EEENS1_30default_config_static_selectorELNS0_4arch9wavefront6targetE0EEEvT1_
                                        ; -- End function
	.set _ZN7rocprim17ROCPRIM_400000_NS6detail17trampoline_kernelINS0_14default_configENS1_25partition_config_selectorILNS1_17partition_subalgoE6EfNS0_10empty_typeEbEEZZNS1_14partition_implILS5_6ELb0ES3_mN6thrust23THRUST_200600_302600_NS6detail15normal_iteratorINSA_10device_ptrIfEEEEPS6_SG_NS0_5tupleIJNSA_16discard_iteratorINSA_11use_defaultEEES6_EEENSH_IJSG_SG_EEES6_PlJNSB_9not_fun_tINSB_14equal_to_valueIfEEEEEEE10hipError_tPvRmT3_T4_T5_T6_T7_T9_mT8_P12ihipStream_tbDpT10_ENKUlT_T0_E_clISt17integral_constantIbLb0EES1A_IbLb1EEEEDaS16_S17_EUlS16_E_NS1_11comp_targetILNS1_3genE10ELNS1_11target_archE1200ELNS1_3gpuE4ELNS1_3repE0EEENS1_30default_config_static_selectorELNS0_4arch9wavefront6targetE0EEEvT1_.num_vgpr, 50
	.set _ZN7rocprim17ROCPRIM_400000_NS6detail17trampoline_kernelINS0_14default_configENS1_25partition_config_selectorILNS1_17partition_subalgoE6EfNS0_10empty_typeEbEEZZNS1_14partition_implILS5_6ELb0ES3_mN6thrust23THRUST_200600_302600_NS6detail15normal_iteratorINSA_10device_ptrIfEEEEPS6_SG_NS0_5tupleIJNSA_16discard_iteratorINSA_11use_defaultEEES6_EEENSH_IJSG_SG_EEES6_PlJNSB_9not_fun_tINSB_14equal_to_valueIfEEEEEEE10hipError_tPvRmT3_T4_T5_T6_T7_T9_mT8_P12ihipStream_tbDpT10_ENKUlT_T0_E_clISt17integral_constantIbLb0EES1A_IbLb1EEEEDaS16_S17_EUlS16_E_NS1_11comp_targetILNS1_3genE10ELNS1_11target_archE1200ELNS1_3gpuE4ELNS1_3repE0EEENS1_30default_config_static_selectorELNS0_4arch9wavefront6targetE0EEEvT1_.num_agpr, 0
	.set _ZN7rocprim17ROCPRIM_400000_NS6detail17trampoline_kernelINS0_14default_configENS1_25partition_config_selectorILNS1_17partition_subalgoE6EfNS0_10empty_typeEbEEZZNS1_14partition_implILS5_6ELb0ES3_mN6thrust23THRUST_200600_302600_NS6detail15normal_iteratorINSA_10device_ptrIfEEEEPS6_SG_NS0_5tupleIJNSA_16discard_iteratorINSA_11use_defaultEEES6_EEENSH_IJSG_SG_EEES6_PlJNSB_9not_fun_tINSB_14equal_to_valueIfEEEEEEE10hipError_tPvRmT3_T4_T5_T6_T7_T9_mT8_P12ihipStream_tbDpT10_ENKUlT_T0_E_clISt17integral_constantIbLb0EES1A_IbLb1EEEEDaS16_S17_EUlS16_E_NS1_11comp_targetILNS1_3genE10ELNS1_11target_archE1200ELNS1_3gpuE4ELNS1_3repE0EEENS1_30default_config_static_selectorELNS0_4arch9wavefront6targetE0EEEvT1_.numbered_sgpr, 20
	.set _ZN7rocprim17ROCPRIM_400000_NS6detail17trampoline_kernelINS0_14default_configENS1_25partition_config_selectorILNS1_17partition_subalgoE6EfNS0_10empty_typeEbEEZZNS1_14partition_implILS5_6ELb0ES3_mN6thrust23THRUST_200600_302600_NS6detail15normal_iteratorINSA_10device_ptrIfEEEEPS6_SG_NS0_5tupleIJNSA_16discard_iteratorINSA_11use_defaultEEES6_EEENSH_IJSG_SG_EEES6_PlJNSB_9not_fun_tINSB_14equal_to_valueIfEEEEEEE10hipError_tPvRmT3_T4_T5_T6_T7_T9_mT8_P12ihipStream_tbDpT10_ENKUlT_T0_E_clISt17integral_constantIbLb0EES1A_IbLb1EEEEDaS16_S17_EUlS16_E_NS1_11comp_targetILNS1_3genE10ELNS1_11target_archE1200ELNS1_3gpuE4ELNS1_3repE0EEENS1_30default_config_static_selectorELNS0_4arch9wavefront6targetE0EEEvT1_.num_named_barrier, 0
	.set _ZN7rocprim17ROCPRIM_400000_NS6detail17trampoline_kernelINS0_14default_configENS1_25partition_config_selectorILNS1_17partition_subalgoE6EfNS0_10empty_typeEbEEZZNS1_14partition_implILS5_6ELb0ES3_mN6thrust23THRUST_200600_302600_NS6detail15normal_iteratorINSA_10device_ptrIfEEEEPS6_SG_NS0_5tupleIJNSA_16discard_iteratorINSA_11use_defaultEEES6_EEENSH_IJSG_SG_EEES6_PlJNSB_9not_fun_tINSB_14equal_to_valueIfEEEEEEE10hipError_tPvRmT3_T4_T5_T6_T7_T9_mT8_P12ihipStream_tbDpT10_ENKUlT_T0_E_clISt17integral_constantIbLb0EES1A_IbLb1EEEEDaS16_S17_EUlS16_E_NS1_11comp_targetILNS1_3genE10ELNS1_11target_archE1200ELNS1_3gpuE4ELNS1_3repE0EEENS1_30default_config_static_selectorELNS0_4arch9wavefront6targetE0EEEvT1_.private_seg_size, 0
	.set _ZN7rocprim17ROCPRIM_400000_NS6detail17trampoline_kernelINS0_14default_configENS1_25partition_config_selectorILNS1_17partition_subalgoE6EfNS0_10empty_typeEbEEZZNS1_14partition_implILS5_6ELb0ES3_mN6thrust23THRUST_200600_302600_NS6detail15normal_iteratorINSA_10device_ptrIfEEEEPS6_SG_NS0_5tupleIJNSA_16discard_iteratorINSA_11use_defaultEEES6_EEENSH_IJSG_SG_EEES6_PlJNSB_9not_fun_tINSB_14equal_to_valueIfEEEEEEE10hipError_tPvRmT3_T4_T5_T6_T7_T9_mT8_P12ihipStream_tbDpT10_ENKUlT_T0_E_clISt17integral_constantIbLb0EES1A_IbLb1EEEEDaS16_S17_EUlS16_E_NS1_11comp_targetILNS1_3genE10ELNS1_11target_archE1200ELNS1_3gpuE4ELNS1_3repE0EEENS1_30default_config_static_selectorELNS0_4arch9wavefront6targetE0EEEvT1_.uses_vcc, 1
	.set _ZN7rocprim17ROCPRIM_400000_NS6detail17trampoline_kernelINS0_14default_configENS1_25partition_config_selectorILNS1_17partition_subalgoE6EfNS0_10empty_typeEbEEZZNS1_14partition_implILS5_6ELb0ES3_mN6thrust23THRUST_200600_302600_NS6detail15normal_iteratorINSA_10device_ptrIfEEEEPS6_SG_NS0_5tupleIJNSA_16discard_iteratorINSA_11use_defaultEEES6_EEENSH_IJSG_SG_EEES6_PlJNSB_9not_fun_tINSB_14equal_to_valueIfEEEEEEE10hipError_tPvRmT3_T4_T5_T6_T7_T9_mT8_P12ihipStream_tbDpT10_ENKUlT_T0_E_clISt17integral_constantIbLb0EES1A_IbLb1EEEEDaS16_S17_EUlS16_E_NS1_11comp_targetILNS1_3genE10ELNS1_11target_archE1200ELNS1_3gpuE4ELNS1_3repE0EEENS1_30default_config_static_selectorELNS0_4arch9wavefront6targetE0EEEvT1_.uses_flat_scratch, 1
	.set _ZN7rocprim17ROCPRIM_400000_NS6detail17trampoline_kernelINS0_14default_configENS1_25partition_config_selectorILNS1_17partition_subalgoE6EfNS0_10empty_typeEbEEZZNS1_14partition_implILS5_6ELb0ES3_mN6thrust23THRUST_200600_302600_NS6detail15normal_iteratorINSA_10device_ptrIfEEEEPS6_SG_NS0_5tupleIJNSA_16discard_iteratorINSA_11use_defaultEEES6_EEENSH_IJSG_SG_EEES6_PlJNSB_9not_fun_tINSB_14equal_to_valueIfEEEEEEE10hipError_tPvRmT3_T4_T5_T6_T7_T9_mT8_P12ihipStream_tbDpT10_ENKUlT_T0_E_clISt17integral_constantIbLb0EES1A_IbLb1EEEEDaS16_S17_EUlS16_E_NS1_11comp_targetILNS1_3genE10ELNS1_11target_archE1200ELNS1_3gpuE4ELNS1_3repE0EEENS1_30default_config_static_selectorELNS0_4arch9wavefront6targetE0EEEvT1_.has_dyn_sized_stack, 0
	.set _ZN7rocprim17ROCPRIM_400000_NS6detail17trampoline_kernelINS0_14default_configENS1_25partition_config_selectorILNS1_17partition_subalgoE6EfNS0_10empty_typeEbEEZZNS1_14partition_implILS5_6ELb0ES3_mN6thrust23THRUST_200600_302600_NS6detail15normal_iteratorINSA_10device_ptrIfEEEEPS6_SG_NS0_5tupleIJNSA_16discard_iteratorINSA_11use_defaultEEES6_EEENSH_IJSG_SG_EEES6_PlJNSB_9not_fun_tINSB_14equal_to_valueIfEEEEEEE10hipError_tPvRmT3_T4_T5_T6_T7_T9_mT8_P12ihipStream_tbDpT10_ENKUlT_T0_E_clISt17integral_constantIbLb0EES1A_IbLb1EEEEDaS16_S17_EUlS16_E_NS1_11comp_targetILNS1_3genE10ELNS1_11target_archE1200ELNS1_3gpuE4ELNS1_3repE0EEENS1_30default_config_static_selectorELNS0_4arch9wavefront6targetE0EEEvT1_.has_recursion, 0
	.set _ZN7rocprim17ROCPRIM_400000_NS6detail17trampoline_kernelINS0_14default_configENS1_25partition_config_selectorILNS1_17partition_subalgoE6EfNS0_10empty_typeEbEEZZNS1_14partition_implILS5_6ELb0ES3_mN6thrust23THRUST_200600_302600_NS6detail15normal_iteratorINSA_10device_ptrIfEEEEPS6_SG_NS0_5tupleIJNSA_16discard_iteratorINSA_11use_defaultEEES6_EEENSH_IJSG_SG_EEES6_PlJNSB_9not_fun_tINSB_14equal_to_valueIfEEEEEEE10hipError_tPvRmT3_T4_T5_T6_T7_T9_mT8_P12ihipStream_tbDpT10_ENKUlT_T0_E_clISt17integral_constantIbLb0EES1A_IbLb1EEEEDaS16_S17_EUlS16_E_NS1_11comp_targetILNS1_3genE10ELNS1_11target_archE1200ELNS1_3gpuE4ELNS1_3repE0EEENS1_30default_config_static_selectorELNS0_4arch9wavefront6targetE0EEEvT1_.has_indirect_call, 0
	.section	.AMDGPU.csdata,"",@progbits
; Kernel info:
; codeLenInByte = 6692
; TotalNumSgprs: 22
; NumVgprs: 50
; ScratchSize: 0
; MemoryBound: 0
; FloatMode: 240
; IeeeMode: 1
; LDSByteSize: 10768 bytes/workgroup (compile time only)
; SGPRBlocks: 0
; VGPRBlocks: 6
; NumSGPRsForWavesPerEU: 22
; NumVGPRsForWavesPerEU: 50
; Occupancy: 15
; WaveLimiterHint : 1
; COMPUTE_PGM_RSRC2:SCRATCH_EN: 0
; COMPUTE_PGM_RSRC2:USER_SGPR: 2
; COMPUTE_PGM_RSRC2:TRAP_HANDLER: 0
; COMPUTE_PGM_RSRC2:TGID_X_EN: 1
; COMPUTE_PGM_RSRC2:TGID_Y_EN: 0
; COMPUTE_PGM_RSRC2:TGID_Z_EN: 0
; COMPUTE_PGM_RSRC2:TIDIG_COMP_CNT: 0
	.section	.text._ZN7rocprim17ROCPRIM_400000_NS6detail17trampoline_kernelINS0_14default_configENS1_25partition_config_selectorILNS1_17partition_subalgoE6EfNS0_10empty_typeEbEEZZNS1_14partition_implILS5_6ELb0ES3_mN6thrust23THRUST_200600_302600_NS6detail15normal_iteratorINSA_10device_ptrIfEEEEPS6_SG_NS0_5tupleIJNSA_16discard_iteratorINSA_11use_defaultEEES6_EEENSH_IJSG_SG_EEES6_PlJNSB_9not_fun_tINSB_14equal_to_valueIfEEEEEEE10hipError_tPvRmT3_T4_T5_T6_T7_T9_mT8_P12ihipStream_tbDpT10_ENKUlT_T0_E_clISt17integral_constantIbLb0EES1A_IbLb1EEEEDaS16_S17_EUlS16_E_NS1_11comp_targetILNS1_3genE9ELNS1_11target_archE1100ELNS1_3gpuE3ELNS1_3repE0EEENS1_30default_config_static_selectorELNS0_4arch9wavefront6targetE0EEEvT1_,"axG",@progbits,_ZN7rocprim17ROCPRIM_400000_NS6detail17trampoline_kernelINS0_14default_configENS1_25partition_config_selectorILNS1_17partition_subalgoE6EfNS0_10empty_typeEbEEZZNS1_14partition_implILS5_6ELb0ES3_mN6thrust23THRUST_200600_302600_NS6detail15normal_iteratorINSA_10device_ptrIfEEEEPS6_SG_NS0_5tupleIJNSA_16discard_iteratorINSA_11use_defaultEEES6_EEENSH_IJSG_SG_EEES6_PlJNSB_9not_fun_tINSB_14equal_to_valueIfEEEEEEE10hipError_tPvRmT3_T4_T5_T6_T7_T9_mT8_P12ihipStream_tbDpT10_ENKUlT_T0_E_clISt17integral_constantIbLb0EES1A_IbLb1EEEEDaS16_S17_EUlS16_E_NS1_11comp_targetILNS1_3genE9ELNS1_11target_archE1100ELNS1_3gpuE3ELNS1_3repE0EEENS1_30default_config_static_selectorELNS0_4arch9wavefront6targetE0EEEvT1_,comdat
	.protected	_ZN7rocprim17ROCPRIM_400000_NS6detail17trampoline_kernelINS0_14default_configENS1_25partition_config_selectorILNS1_17partition_subalgoE6EfNS0_10empty_typeEbEEZZNS1_14partition_implILS5_6ELb0ES3_mN6thrust23THRUST_200600_302600_NS6detail15normal_iteratorINSA_10device_ptrIfEEEEPS6_SG_NS0_5tupleIJNSA_16discard_iteratorINSA_11use_defaultEEES6_EEENSH_IJSG_SG_EEES6_PlJNSB_9not_fun_tINSB_14equal_to_valueIfEEEEEEE10hipError_tPvRmT3_T4_T5_T6_T7_T9_mT8_P12ihipStream_tbDpT10_ENKUlT_T0_E_clISt17integral_constantIbLb0EES1A_IbLb1EEEEDaS16_S17_EUlS16_E_NS1_11comp_targetILNS1_3genE9ELNS1_11target_archE1100ELNS1_3gpuE3ELNS1_3repE0EEENS1_30default_config_static_selectorELNS0_4arch9wavefront6targetE0EEEvT1_ ; -- Begin function _ZN7rocprim17ROCPRIM_400000_NS6detail17trampoline_kernelINS0_14default_configENS1_25partition_config_selectorILNS1_17partition_subalgoE6EfNS0_10empty_typeEbEEZZNS1_14partition_implILS5_6ELb0ES3_mN6thrust23THRUST_200600_302600_NS6detail15normal_iteratorINSA_10device_ptrIfEEEEPS6_SG_NS0_5tupleIJNSA_16discard_iteratorINSA_11use_defaultEEES6_EEENSH_IJSG_SG_EEES6_PlJNSB_9not_fun_tINSB_14equal_to_valueIfEEEEEEE10hipError_tPvRmT3_T4_T5_T6_T7_T9_mT8_P12ihipStream_tbDpT10_ENKUlT_T0_E_clISt17integral_constantIbLb0EES1A_IbLb1EEEEDaS16_S17_EUlS16_E_NS1_11comp_targetILNS1_3genE9ELNS1_11target_archE1100ELNS1_3gpuE3ELNS1_3repE0EEENS1_30default_config_static_selectorELNS0_4arch9wavefront6targetE0EEEvT1_
	.globl	_ZN7rocprim17ROCPRIM_400000_NS6detail17trampoline_kernelINS0_14default_configENS1_25partition_config_selectorILNS1_17partition_subalgoE6EfNS0_10empty_typeEbEEZZNS1_14partition_implILS5_6ELb0ES3_mN6thrust23THRUST_200600_302600_NS6detail15normal_iteratorINSA_10device_ptrIfEEEEPS6_SG_NS0_5tupleIJNSA_16discard_iteratorINSA_11use_defaultEEES6_EEENSH_IJSG_SG_EEES6_PlJNSB_9not_fun_tINSB_14equal_to_valueIfEEEEEEE10hipError_tPvRmT3_T4_T5_T6_T7_T9_mT8_P12ihipStream_tbDpT10_ENKUlT_T0_E_clISt17integral_constantIbLb0EES1A_IbLb1EEEEDaS16_S17_EUlS16_E_NS1_11comp_targetILNS1_3genE9ELNS1_11target_archE1100ELNS1_3gpuE3ELNS1_3repE0EEENS1_30default_config_static_selectorELNS0_4arch9wavefront6targetE0EEEvT1_
	.p2align	8
	.type	_ZN7rocprim17ROCPRIM_400000_NS6detail17trampoline_kernelINS0_14default_configENS1_25partition_config_selectorILNS1_17partition_subalgoE6EfNS0_10empty_typeEbEEZZNS1_14partition_implILS5_6ELb0ES3_mN6thrust23THRUST_200600_302600_NS6detail15normal_iteratorINSA_10device_ptrIfEEEEPS6_SG_NS0_5tupleIJNSA_16discard_iteratorINSA_11use_defaultEEES6_EEENSH_IJSG_SG_EEES6_PlJNSB_9not_fun_tINSB_14equal_to_valueIfEEEEEEE10hipError_tPvRmT3_T4_T5_T6_T7_T9_mT8_P12ihipStream_tbDpT10_ENKUlT_T0_E_clISt17integral_constantIbLb0EES1A_IbLb1EEEEDaS16_S17_EUlS16_E_NS1_11comp_targetILNS1_3genE9ELNS1_11target_archE1100ELNS1_3gpuE3ELNS1_3repE0EEENS1_30default_config_static_selectorELNS0_4arch9wavefront6targetE0EEEvT1_,@function
_ZN7rocprim17ROCPRIM_400000_NS6detail17trampoline_kernelINS0_14default_configENS1_25partition_config_selectorILNS1_17partition_subalgoE6EfNS0_10empty_typeEbEEZZNS1_14partition_implILS5_6ELb0ES3_mN6thrust23THRUST_200600_302600_NS6detail15normal_iteratorINSA_10device_ptrIfEEEEPS6_SG_NS0_5tupleIJNSA_16discard_iteratorINSA_11use_defaultEEES6_EEENSH_IJSG_SG_EEES6_PlJNSB_9not_fun_tINSB_14equal_to_valueIfEEEEEEE10hipError_tPvRmT3_T4_T5_T6_T7_T9_mT8_P12ihipStream_tbDpT10_ENKUlT_T0_E_clISt17integral_constantIbLb0EES1A_IbLb1EEEEDaS16_S17_EUlS16_E_NS1_11comp_targetILNS1_3genE9ELNS1_11target_archE1100ELNS1_3gpuE3ELNS1_3repE0EEENS1_30default_config_static_selectorELNS0_4arch9wavefront6targetE0EEEvT1_: ; @_ZN7rocprim17ROCPRIM_400000_NS6detail17trampoline_kernelINS0_14default_configENS1_25partition_config_selectorILNS1_17partition_subalgoE6EfNS0_10empty_typeEbEEZZNS1_14partition_implILS5_6ELb0ES3_mN6thrust23THRUST_200600_302600_NS6detail15normal_iteratorINSA_10device_ptrIfEEEEPS6_SG_NS0_5tupleIJNSA_16discard_iteratorINSA_11use_defaultEEES6_EEENSH_IJSG_SG_EEES6_PlJNSB_9not_fun_tINSB_14equal_to_valueIfEEEEEEE10hipError_tPvRmT3_T4_T5_T6_T7_T9_mT8_P12ihipStream_tbDpT10_ENKUlT_T0_E_clISt17integral_constantIbLb0EES1A_IbLb1EEEEDaS16_S17_EUlS16_E_NS1_11comp_targetILNS1_3genE9ELNS1_11target_archE1100ELNS1_3gpuE3ELNS1_3repE0EEENS1_30default_config_static_selectorELNS0_4arch9wavefront6targetE0EEEvT1_
; %bb.0:
	.section	.rodata,"a",@progbits
	.p2align	6, 0x0
	.amdhsa_kernel _ZN7rocprim17ROCPRIM_400000_NS6detail17trampoline_kernelINS0_14default_configENS1_25partition_config_selectorILNS1_17partition_subalgoE6EfNS0_10empty_typeEbEEZZNS1_14partition_implILS5_6ELb0ES3_mN6thrust23THRUST_200600_302600_NS6detail15normal_iteratorINSA_10device_ptrIfEEEEPS6_SG_NS0_5tupleIJNSA_16discard_iteratorINSA_11use_defaultEEES6_EEENSH_IJSG_SG_EEES6_PlJNSB_9not_fun_tINSB_14equal_to_valueIfEEEEEEE10hipError_tPvRmT3_T4_T5_T6_T7_T9_mT8_P12ihipStream_tbDpT10_ENKUlT_T0_E_clISt17integral_constantIbLb0EES1A_IbLb1EEEEDaS16_S17_EUlS16_E_NS1_11comp_targetILNS1_3genE9ELNS1_11target_archE1100ELNS1_3gpuE3ELNS1_3repE0EEENS1_30default_config_static_selectorELNS0_4arch9wavefront6targetE0EEEvT1_
		.amdhsa_group_segment_fixed_size 0
		.amdhsa_private_segment_fixed_size 0
		.amdhsa_kernarg_size 136
		.amdhsa_user_sgpr_count 2
		.amdhsa_user_sgpr_dispatch_ptr 0
		.amdhsa_user_sgpr_queue_ptr 0
		.amdhsa_user_sgpr_kernarg_segment_ptr 1
		.amdhsa_user_sgpr_dispatch_id 0
		.amdhsa_user_sgpr_private_segment_size 0
		.amdhsa_wavefront_size32 1
		.amdhsa_uses_dynamic_stack 0
		.amdhsa_enable_private_segment 0
		.amdhsa_system_sgpr_workgroup_id_x 1
		.amdhsa_system_sgpr_workgroup_id_y 0
		.amdhsa_system_sgpr_workgroup_id_z 0
		.amdhsa_system_sgpr_workgroup_info 0
		.amdhsa_system_vgpr_workitem_id 0
		.amdhsa_next_free_vgpr 1
		.amdhsa_next_free_sgpr 1
		.amdhsa_reserve_vcc 0
		.amdhsa_float_round_mode_32 0
		.amdhsa_float_round_mode_16_64 0
		.amdhsa_float_denorm_mode_32 3
		.amdhsa_float_denorm_mode_16_64 3
		.amdhsa_fp16_overflow 0
		.amdhsa_workgroup_processor_mode 1
		.amdhsa_memory_ordered 1
		.amdhsa_forward_progress 1
		.amdhsa_inst_pref_size 0
		.amdhsa_round_robin_scheduling 0
		.amdhsa_exception_fp_ieee_invalid_op 0
		.amdhsa_exception_fp_denorm_src 0
		.amdhsa_exception_fp_ieee_div_zero 0
		.amdhsa_exception_fp_ieee_overflow 0
		.amdhsa_exception_fp_ieee_underflow 0
		.amdhsa_exception_fp_ieee_inexact 0
		.amdhsa_exception_int_div_zero 0
	.end_amdhsa_kernel
	.section	.text._ZN7rocprim17ROCPRIM_400000_NS6detail17trampoline_kernelINS0_14default_configENS1_25partition_config_selectorILNS1_17partition_subalgoE6EfNS0_10empty_typeEbEEZZNS1_14partition_implILS5_6ELb0ES3_mN6thrust23THRUST_200600_302600_NS6detail15normal_iteratorINSA_10device_ptrIfEEEEPS6_SG_NS0_5tupleIJNSA_16discard_iteratorINSA_11use_defaultEEES6_EEENSH_IJSG_SG_EEES6_PlJNSB_9not_fun_tINSB_14equal_to_valueIfEEEEEEE10hipError_tPvRmT3_T4_T5_T6_T7_T9_mT8_P12ihipStream_tbDpT10_ENKUlT_T0_E_clISt17integral_constantIbLb0EES1A_IbLb1EEEEDaS16_S17_EUlS16_E_NS1_11comp_targetILNS1_3genE9ELNS1_11target_archE1100ELNS1_3gpuE3ELNS1_3repE0EEENS1_30default_config_static_selectorELNS0_4arch9wavefront6targetE0EEEvT1_,"axG",@progbits,_ZN7rocprim17ROCPRIM_400000_NS6detail17trampoline_kernelINS0_14default_configENS1_25partition_config_selectorILNS1_17partition_subalgoE6EfNS0_10empty_typeEbEEZZNS1_14partition_implILS5_6ELb0ES3_mN6thrust23THRUST_200600_302600_NS6detail15normal_iteratorINSA_10device_ptrIfEEEEPS6_SG_NS0_5tupleIJNSA_16discard_iteratorINSA_11use_defaultEEES6_EEENSH_IJSG_SG_EEES6_PlJNSB_9not_fun_tINSB_14equal_to_valueIfEEEEEEE10hipError_tPvRmT3_T4_T5_T6_T7_T9_mT8_P12ihipStream_tbDpT10_ENKUlT_T0_E_clISt17integral_constantIbLb0EES1A_IbLb1EEEEDaS16_S17_EUlS16_E_NS1_11comp_targetILNS1_3genE9ELNS1_11target_archE1100ELNS1_3gpuE3ELNS1_3repE0EEENS1_30default_config_static_selectorELNS0_4arch9wavefront6targetE0EEEvT1_,comdat
.Lfunc_end1627:
	.size	_ZN7rocprim17ROCPRIM_400000_NS6detail17trampoline_kernelINS0_14default_configENS1_25partition_config_selectorILNS1_17partition_subalgoE6EfNS0_10empty_typeEbEEZZNS1_14partition_implILS5_6ELb0ES3_mN6thrust23THRUST_200600_302600_NS6detail15normal_iteratorINSA_10device_ptrIfEEEEPS6_SG_NS0_5tupleIJNSA_16discard_iteratorINSA_11use_defaultEEES6_EEENSH_IJSG_SG_EEES6_PlJNSB_9not_fun_tINSB_14equal_to_valueIfEEEEEEE10hipError_tPvRmT3_T4_T5_T6_T7_T9_mT8_P12ihipStream_tbDpT10_ENKUlT_T0_E_clISt17integral_constantIbLb0EES1A_IbLb1EEEEDaS16_S17_EUlS16_E_NS1_11comp_targetILNS1_3genE9ELNS1_11target_archE1100ELNS1_3gpuE3ELNS1_3repE0EEENS1_30default_config_static_selectorELNS0_4arch9wavefront6targetE0EEEvT1_, .Lfunc_end1627-_ZN7rocprim17ROCPRIM_400000_NS6detail17trampoline_kernelINS0_14default_configENS1_25partition_config_selectorILNS1_17partition_subalgoE6EfNS0_10empty_typeEbEEZZNS1_14partition_implILS5_6ELb0ES3_mN6thrust23THRUST_200600_302600_NS6detail15normal_iteratorINSA_10device_ptrIfEEEEPS6_SG_NS0_5tupleIJNSA_16discard_iteratorINSA_11use_defaultEEES6_EEENSH_IJSG_SG_EEES6_PlJNSB_9not_fun_tINSB_14equal_to_valueIfEEEEEEE10hipError_tPvRmT3_T4_T5_T6_T7_T9_mT8_P12ihipStream_tbDpT10_ENKUlT_T0_E_clISt17integral_constantIbLb0EES1A_IbLb1EEEEDaS16_S17_EUlS16_E_NS1_11comp_targetILNS1_3genE9ELNS1_11target_archE1100ELNS1_3gpuE3ELNS1_3repE0EEENS1_30default_config_static_selectorELNS0_4arch9wavefront6targetE0EEEvT1_
                                        ; -- End function
	.set _ZN7rocprim17ROCPRIM_400000_NS6detail17trampoline_kernelINS0_14default_configENS1_25partition_config_selectorILNS1_17partition_subalgoE6EfNS0_10empty_typeEbEEZZNS1_14partition_implILS5_6ELb0ES3_mN6thrust23THRUST_200600_302600_NS6detail15normal_iteratorINSA_10device_ptrIfEEEEPS6_SG_NS0_5tupleIJNSA_16discard_iteratorINSA_11use_defaultEEES6_EEENSH_IJSG_SG_EEES6_PlJNSB_9not_fun_tINSB_14equal_to_valueIfEEEEEEE10hipError_tPvRmT3_T4_T5_T6_T7_T9_mT8_P12ihipStream_tbDpT10_ENKUlT_T0_E_clISt17integral_constantIbLb0EES1A_IbLb1EEEEDaS16_S17_EUlS16_E_NS1_11comp_targetILNS1_3genE9ELNS1_11target_archE1100ELNS1_3gpuE3ELNS1_3repE0EEENS1_30default_config_static_selectorELNS0_4arch9wavefront6targetE0EEEvT1_.num_vgpr, 0
	.set _ZN7rocprim17ROCPRIM_400000_NS6detail17trampoline_kernelINS0_14default_configENS1_25partition_config_selectorILNS1_17partition_subalgoE6EfNS0_10empty_typeEbEEZZNS1_14partition_implILS5_6ELb0ES3_mN6thrust23THRUST_200600_302600_NS6detail15normal_iteratorINSA_10device_ptrIfEEEEPS6_SG_NS0_5tupleIJNSA_16discard_iteratorINSA_11use_defaultEEES6_EEENSH_IJSG_SG_EEES6_PlJNSB_9not_fun_tINSB_14equal_to_valueIfEEEEEEE10hipError_tPvRmT3_T4_T5_T6_T7_T9_mT8_P12ihipStream_tbDpT10_ENKUlT_T0_E_clISt17integral_constantIbLb0EES1A_IbLb1EEEEDaS16_S17_EUlS16_E_NS1_11comp_targetILNS1_3genE9ELNS1_11target_archE1100ELNS1_3gpuE3ELNS1_3repE0EEENS1_30default_config_static_selectorELNS0_4arch9wavefront6targetE0EEEvT1_.num_agpr, 0
	.set _ZN7rocprim17ROCPRIM_400000_NS6detail17trampoline_kernelINS0_14default_configENS1_25partition_config_selectorILNS1_17partition_subalgoE6EfNS0_10empty_typeEbEEZZNS1_14partition_implILS5_6ELb0ES3_mN6thrust23THRUST_200600_302600_NS6detail15normal_iteratorINSA_10device_ptrIfEEEEPS6_SG_NS0_5tupleIJNSA_16discard_iteratorINSA_11use_defaultEEES6_EEENSH_IJSG_SG_EEES6_PlJNSB_9not_fun_tINSB_14equal_to_valueIfEEEEEEE10hipError_tPvRmT3_T4_T5_T6_T7_T9_mT8_P12ihipStream_tbDpT10_ENKUlT_T0_E_clISt17integral_constantIbLb0EES1A_IbLb1EEEEDaS16_S17_EUlS16_E_NS1_11comp_targetILNS1_3genE9ELNS1_11target_archE1100ELNS1_3gpuE3ELNS1_3repE0EEENS1_30default_config_static_selectorELNS0_4arch9wavefront6targetE0EEEvT1_.numbered_sgpr, 0
	.set _ZN7rocprim17ROCPRIM_400000_NS6detail17trampoline_kernelINS0_14default_configENS1_25partition_config_selectorILNS1_17partition_subalgoE6EfNS0_10empty_typeEbEEZZNS1_14partition_implILS5_6ELb0ES3_mN6thrust23THRUST_200600_302600_NS6detail15normal_iteratorINSA_10device_ptrIfEEEEPS6_SG_NS0_5tupleIJNSA_16discard_iteratorINSA_11use_defaultEEES6_EEENSH_IJSG_SG_EEES6_PlJNSB_9not_fun_tINSB_14equal_to_valueIfEEEEEEE10hipError_tPvRmT3_T4_T5_T6_T7_T9_mT8_P12ihipStream_tbDpT10_ENKUlT_T0_E_clISt17integral_constantIbLb0EES1A_IbLb1EEEEDaS16_S17_EUlS16_E_NS1_11comp_targetILNS1_3genE9ELNS1_11target_archE1100ELNS1_3gpuE3ELNS1_3repE0EEENS1_30default_config_static_selectorELNS0_4arch9wavefront6targetE0EEEvT1_.num_named_barrier, 0
	.set _ZN7rocprim17ROCPRIM_400000_NS6detail17trampoline_kernelINS0_14default_configENS1_25partition_config_selectorILNS1_17partition_subalgoE6EfNS0_10empty_typeEbEEZZNS1_14partition_implILS5_6ELb0ES3_mN6thrust23THRUST_200600_302600_NS6detail15normal_iteratorINSA_10device_ptrIfEEEEPS6_SG_NS0_5tupleIJNSA_16discard_iteratorINSA_11use_defaultEEES6_EEENSH_IJSG_SG_EEES6_PlJNSB_9not_fun_tINSB_14equal_to_valueIfEEEEEEE10hipError_tPvRmT3_T4_T5_T6_T7_T9_mT8_P12ihipStream_tbDpT10_ENKUlT_T0_E_clISt17integral_constantIbLb0EES1A_IbLb1EEEEDaS16_S17_EUlS16_E_NS1_11comp_targetILNS1_3genE9ELNS1_11target_archE1100ELNS1_3gpuE3ELNS1_3repE0EEENS1_30default_config_static_selectorELNS0_4arch9wavefront6targetE0EEEvT1_.private_seg_size, 0
	.set _ZN7rocprim17ROCPRIM_400000_NS6detail17trampoline_kernelINS0_14default_configENS1_25partition_config_selectorILNS1_17partition_subalgoE6EfNS0_10empty_typeEbEEZZNS1_14partition_implILS5_6ELb0ES3_mN6thrust23THRUST_200600_302600_NS6detail15normal_iteratorINSA_10device_ptrIfEEEEPS6_SG_NS0_5tupleIJNSA_16discard_iteratorINSA_11use_defaultEEES6_EEENSH_IJSG_SG_EEES6_PlJNSB_9not_fun_tINSB_14equal_to_valueIfEEEEEEE10hipError_tPvRmT3_T4_T5_T6_T7_T9_mT8_P12ihipStream_tbDpT10_ENKUlT_T0_E_clISt17integral_constantIbLb0EES1A_IbLb1EEEEDaS16_S17_EUlS16_E_NS1_11comp_targetILNS1_3genE9ELNS1_11target_archE1100ELNS1_3gpuE3ELNS1_3repE0EEENS1_30default_config_static_selectorELNS0_4arch9wavefront6targetE0EEEvT1_.uses_vcc, 0
	.set _ZN7rocprim17ROCPRIM_400000_NS6detail17trampoline_kernelINS0_14default_configENS1_25partition_config_selectorILNS1_17partition_subalgoE6EfNS0_10empty_typeEbEEZZNS1_14partition_implILS5_6ELb0ES3_mN6thrust23THRUST_200600_302600_NS6detail15normal_iteratorINSA_10device_ptrIfEEEEPS6_SG_NS0_5tupleIJNSA_16discard_iteratorINSA_11use_defaultEEES6_EEENSH_IJSG_SG_EEES6_PlJNSB_9not_fun_tINSB_14equal_to_valueIfEEEEEEE10hipError_tPvRmT3_T4_T5_T6_T7_T9_mT8_P12ihipStream_tbDpT10_ENKUlT_T0_E_clISt17integral_constantIbLb0EES1A_IbLb1EEEEDaS16_S17_EUlS16_E_NS1_11comp_targetILNS1_3genE9ELNS1_11target_archE1100ELNS1_3gpuE3ELNS1_3repE0EEENS1_30default_config_static_selectorELNS0_4arch9wavefront6targetE0EEEvT1_.uses_flat_scratch, 0
	.set _ZN7rocprim17ROCPRIM_400000_NS6detail17trampoline_kernelINS0_14default_configENS1_25partition_config_selectorILNS1_17partition_subalgoE6EfNS0_10empty_typeEbEEZZNS1_14partition_implILS5_6ELb0ES3_mN6thrust23THRUST_200600_302600_NS6detail15normal_iteratorINSA_10device_ptrIfEEEEPS6_SG_NS0_5tupleIJNSA_16discard_iteratorINSA_11use_defaultEEES6_EEENSH_IJSG_SG_EEES6_PlJNSB_9not_fun_tINSB_14equal_to_valueIfEEEEEEE10hipError_tPvRmT3_T4_T5_T6_T7_T9_mT8_P12ihipStream_tbDpT10_ENKUlT_T0_E_clISt17integral_constantIbLb0EES1A_IbLb1EEEEDaS16_S17_EUlS16_E_NS1_11comp_targetILNS1_3genE9ELNS1_11target_archE1100ELNS1_3gpuE3ELNS1_3repE0EEENS1_30default_config_static_selectorELNS0_4arch9wavefront6targetE0EEEvT1_.has_dyn_sized_stack, 0
	.set _ZN7rocprim17ROCPRIM_400000_NS6detail17trampoline_kernelINS0_14default_configENS1_25partition_config_selectorILNS1_17partition_subalgoE6EfNS0_10empty_typeEbEEZZNS1_14partition_implILS5_6ELb0ES3_mN6thrust23THRUST_200600_302600_NS6detail15normal_iteratorINSA_10device_ptrIfEEEEPS6_SG_NS0_5tupleIJNSA_16discard_iteratorINSA_11use_defaultEEES6_EEENSH_IJSG_SG_EEES6_PlJNSB_9not_fun_tINSB_14equal_to_valueIfEEEEEEE10hipError_tPvRmT3_T4_T5_T6_T7_T9_mT8_P12ihipStream_tbDpT10_ENKUlT_T0_E_clISt17integral_constantIbLb0EES1A_IbLb1EEEEDaS16_S17_EUlS16_E_NS1_11comp_targetILNS1_3genE9ELNS1_11target_archE1100ELNS1_3gpuE3ELNS1_3repE0EEENS1_30default_config_static_selectorELNS0_4arch9wavefront6targetE0EEEvT1_.has_recursion, 0
	.set _ZN7rocprim17ROCPRIM_400000_NS6detail17trampoline_kernelINS0_14default_configENS1_25partition_config_selectorILNS1_17partition_subalgoE6EfNS0_10empty_typeEbEEZZNS1_14partition_implILS5_6ELb0ES3_mN6thrust23THRUST_200600_302600_NS6detail15normal_iteratorINSA_10device_ptrIfEEEEPS6_SG_NS0_5tupleIJNSA_16discard_iteratorINSA_11use_defaultEEES6_EEENSH_IJSG_SG_EEES6_PlJNSB_9not_fun_tINSB_14equal_to_valueIfEEEEEEE10hipError_tPvRmT3_T4_T5_T6_T7_T9_mT8_P12ihipStream_tbDpT10_ENKUlT_T0_E_clISt17integral_constantIbLb0EES1A_IbLb1EEEEDaS16_S17_EUlS16_E_NS1_11comp_targetILNS1_3genE9ELNS1_11target_archE1100ELNS1_3gpuE3ELNS1_3repE0EEENS1_30default_config_static_selectorELNS0_4arch9wavefront6targetE0EEEvT1_.has_indirect_call, 0
	.section	.AMDGPU.csdata,"",@progbits
; Kernel info:
; codeLenInByte = 0
; TotalNumSgprs: 0
; NumVgprs: 0
; ScratchSize: 0
; MemoryBound: 0
; FloatMode: 240
; IeeeMode: 1
; LDSByteSize: 0 bytes/workgroup (compile time only)
; SGPRBlocks: 0
; VGPRBlocks: 0
; NumSGPRsForWavesPerEU: 1
; NumVGPRsForWavesPerEU: 1
; Occupancy: 16
; WaveLimiterHint : 0
; COMPUTE_PGM_RSRC2:SCRATCH_EN: 0
; COMPUTE_PGM_RSRC2:USER_SGPR: 2
; COMPUTE_PGM_RSRC2:TRAP_HANDLER: 0
; COMPUTE_PGM_RSRC2:TGID_X_EN: 1
; COMPUTE_PGM_RSRC2:TGID_Y_EN: 0
; COMPUTE_PGM_RSRC2:TGID_Z_EN: 0
; COMPUTE_PGM_RSRC2:TIDIG_COMP_CNT: 0
	.section	.text._ZN7rocprim17ROCPRIM_400000_NS6detail17trampoline_kernelINS0_14default_configENS1_25partition_config_selectorILNS1_17partition_subalgoE6EfNS0_10empty_typeEbEEZZNS1_14partition_implILS5_6ELb0ES3_mN6thrust23THRUST_200600_302600_NS6detail15normal_iteratorINSA_10device_ptrIfEEEEPS6_SG_NS0_5tupleIJNSA_16discard_iteratorINSA_11use_defaultEEES6_EEENSH_IJSG_SG_EEES6_PlJNSB_9not_fun_tINSB_14equal_to_valueIfEEEEEEE10hipError_tPvRmT3_T4_T5_T6_T7_T9_mT8_P12ihipStream_tbDpT10_ENKUlT_T0_E_clISt17integral_constantIbLb0EES1A_IbLb1EEEEDaS16_S17_EUlS16_E_NS1_11comp_targetILNS1_3genE8ELNS1_11target_archE1030ELNS1_3gpuE2ELNS1_3repE0EEENS1_30default_config_static_selectorELNS0_4arch9wavefront6targetE0EEEvT1_,"axG",@progbits,_ZN7rocprim17ROCPRIM_400000_NS6detail17trampoline_kernelINS0_14default_configENS1_25partition_config_selectorILNS1_17partition_subalgoE6EfNS0_10empty_typeEbEEZZNS1_14partition_implILS5_6ELb0ES3_mN6thrust23THRUST_200600_302600_NS6detail15normal_iteratorINSA_10device_ptrIfEEEEPS6_SG_NS0_5tupleIJNSA_16discard_iteratorINSA_11use_defaultEEES6_EEENSH_IJSG_SG_EEES6_PlJNSB_9not_fun_tINSB_14equal_to_valueIfEEEEEEE10hipError_tPvRmT3_T4_T5_T6_T7_T9_mT8_P12ihipStream_tbDpT10_ENKUlT_T0_E_clISt17integral_constantIbLb0EES1A_IbLb1EEEEDaS16_S17_EUlS16_E_NS1_11comp_targetILNS1_3genE8ELNS1_11target_archE1030ELNS1_3gpuE2ELNS1_3repE0EEENS1_30default_config_static_selectorELNS0_4arch9wavefront6targetE0EEEvT1_,comdat
	.protected	_ZN7rocprim17ROCPRIM_400000_NS6detail17trampoline_kernelINS0_14default_configENS1_25partition_config_selectorILNS1_17partition_subalgoE6EfNS0_10empty_typeEbEEZZNS1_14partition_implILS5_6ELb0ES3_mN6thrust23THRUST_200600_302600_NS6detail15normal_iteratorINSA_10device_ptrIfEEEEPS6_SG_NS0_5tupleIJNSA_16discard_iteratorINSA_11use_defaultEEES6_EEENSH_IJSG_SG_EEES6_PlJNSB_9not_fun_tINSB_14equal_to_valueIfEEEEEEE10hipError_tPvRmT3_T4_T5_T6_T7_T9_mT8_P12ihipStream_tbDpT10_ENKUlT_T0_E_clISt17integral_constantIbLb0EES1A_IbLb1EEEEDaS16_S17_EUlS16_E_NS1_11comp_targetILNS1_3genE8ELNS1_11target_archE1030ELNS1_3gpuE2ELNS1_3repE0EEENS1_30default_config_static_selectorELNS0_4arch9wavefront6targetE0EEEvT1_ ; -- Begin function _ZN7rocprim17ROCPRIM_400000_NS6detail17trampoline_kernelINS0_14default_configENS1_25partition_config_selectorILNS1_17partition_subalgoE6EfNS0_10empty_typeEbEEZZNS1_14partition_implILS5_6ELb0ES3_mN6thrust23THRUST_200600_302600_NS6detail15normal_iteratorINSA_10device_ptrIfEEEEPS6_SG_NS0_5tupleIJNSA_16discard_iteratorINSA_11use_defaultEEES6_EEENSH_IJSG_SG_EEES6_PlJNSB_9not_fun_tINSB_14equal_to_valueIfEEEEEEE10hipError_tPvRmT3_T4_T5_T6_T7_T9_mT8_P12ihipStream_tbDpT10_ENKUlT_T0_E_clISt17integral_constantIbLb0EES1A_IbLb1EEEEDaS16_S17_EUlS16_E_NS1_11comp_targetILNS1_3genE8ELNS1_11target_archE1030ELNS1_3gpuE2ELNS1_3repE0EEENS1_30default_config_static_selectorELNS0_4arch9wavefront6targetE0EEEvT1_
	.globl	_ZN7rocprim17ROCPRIM_400000_NS6detail17trampoline_kernelINS0_14default_configENS1_25partition_config_selectorILNS1_17partition_subalgoE6EfNS0_10empty_typeEbEEZZNS1_14partition_implILS5_6ELb0ES3_mN6thrust23THRUST_200600_302600_NS6detail15normal_iteratorINSA_10device_ptrIfEEEEPS6_SG_NS0_5tupleIJNSA_16discard_iteratorINSA_11use_defaultEEES6_EEENSH_IJSG_SG_EEES6_PlJNSB_9not_fun_tINSB_14equal_to_valueIfEEEEEEE10hipError_tPvRmT3_T4_T5_T6_T7_T9_mT8_P12ihipStream_tbDpT10_ENKUlT_T0_E_clISt17integral_constantIbLb0EES1A_IbLb1EEEEDaS16_S17_EUlS16_E_NS1_11comp_targetILNS1_3genE8ELNS1_11target_archE1030ELNS1_3gpuE2ELNS1_3repE0EEENS1_30default_config_static_selectorELNS0_4arch9wavefront6targetE0EEEvT1_
	.p2align	8
	.type	_ZN7rocprim17ROCPRIM_400000_NS6detail17trampoline_kernelINS0_14default_configENS1_25partition_config_selectorILNS1_17partition_subalgoE6EfNS0_10empty_typeEbEEZZNS1_14partition_implILS5_6ELb0ES3_mN6thrust23THRUST_200600_302600_NS6detail15normal_iteratorINSA_10device_ptrIfEEEEPS6_SG_NS0_5tupleIJNSA_16discard_iteratorINSA_11use_defaultEEES6_EEENSH_IJSG_SG_EEES6_PlJNSB_9not_fun_tINSB_14equal_to_valueIfEEEEEEE10hipError_tPvRmT3_T4_T5_T6_T7_T9_mT8_P12ihipStream_tbDpT10_ENKUlT_T0_E_clISt17integral_constantIbLb0EES1A_IbLb1EEEEDaS16_S17_EUlS16_E_NS1_11comp_targetILNS1_3genE8ELNS1_11target_archE1030ELNS1_3gpuE2ELNS1_3repE0EEENS1_30default_config_static_selectorELNS0_4arch9wavefront6targetE0EEEvT1_,@function
_ZN7rocprim17ROCPRIM_400000_NS6detail17trampoline_kernelINS0_14default_configENS1_25partition_config_selectorILNS1_17partition_subalgoE6EfNS0_10empty_typeEbEEZZNS1_14partition_implILS5_6ELb0ES3_mN6thrust23THRUST_200600_302600_NS6detail15normal_iteratorINSA_10device_ptrIfEEEEPS6_SG_NS0_5tupleIJNSA_16discard_iteratorINSA_11use_defaultEEES6_EEENSH_IJSG_SG_EEES6_PlJNSB_9not_fun_tINSB_14equal_to_valueIfEEEEEEE10hipError_tPvRmT3_T4_T5_T6_T7_T9_mT8_P12ihipStream_tbDpT10_ENKUlT_T0_E_clISt17integral_constantIbLb0EES1A_IbLb1EEEEDaS16_S17_EUlS16_E_NS1_11comp_targetILNS1_3genE8ELNS1_11target_archE1030ELNS1_3gpuE2ELNS1_3repE0EEENS1_30default_config_static_selectorELNS0_4arch9wavefront6targetE0EEEvT1_: ; @_ZN7rocprim17ROCPRIM_400000_NS6detail17trampoline_kernelINS0_14default_configENS1_25partition_config_selectorILNS1_17partition_subalgoE6EfNS0_10empty_typeEbEEZZNS1_14partition_implILS5_6ELb0ES3_mN6thrust23THRUST_200600_302600_NS6detail15normal_iteratorINSA_10device_ptrIfEEEEPS6_SG_NS0_5tupleIJNSA_16discard_iteratorINSA_11use_defaultEEES6_EEENSH_IJSG_SG_EEES6_PlJNSB_9not_fun_tINSB_14equal_to_valueIfEEEEEEE10hipError_tPvRmT3_T4_T5_T6_T7_T9_mT8_P12ihipStream_tbDpT10_ENKUlT_T0_E_clISt17integral_constantIbLb0EES1A_IbLb1EEEEDaS16_S17_EUlS16_E_NS1_11comp_targetILNS1_3genE8ELNS1_11target_archE1030ELNS1_3gpuE2ELNS1_3repE0EEENS1_30default_config_static_selectorELNS0_4arch9wavefront6targetE0EEEvT1_
; %bb.0:
	.section	.rodata,"a",@progbits
	.p2align	6, 0x0
	.amdhsa_kernel _ZN7rocprim17ROCPRIM_400000_NS6detail17trampoline_kernelINS0_14default_configENS1_25partition_config_selectorILNS1_17partition_subalgoE6EfNS0_10empty_typeEbEEZZNS1_14partition_implILS5_6ELb0ES3_mN6thrust23THRUST_200600_302600_NS6detail15normal_iteratorINSA_10device_ptrIfEEEEPS6_SG_NS0_5tupleIJNSA_16discard_iteratorINSA_11use_defaultEEES6_EEENSH_IJSG_SG_EEES6_PlJNSB_9not_fun_tINSB_14equal_to_valueIfEEEEEEE10hipError_tPvRmT3_T4_T5_T6_T7_T9_mT8_P12ihipStream_tbDpT10_ENKUlT_T0_E_clISt17integral_constantIbLb0EES1A_IbLb1EEEEDaS16_S17_EUlS16_E_NS1_11comp_targetILNS1_3genE8ELNS1_11target_archE1030ELNS1_3gpuE2ELNS1_3repE0EEENS1_30default_config_static_selectorELNS0_4arch9wavefront6targetE0EEEvT1_
		.amdhsa_group_segment_fixed_size 0
		.amdhsa_private_segment_fixed_size 0
		.amdhsa_kernarg_size 136
		.amdhsa_user_sgpr_count 2
		.amdhsa_user_sgpr_dispatch_ptr 0
		.amdhsa_user_sgpr_queue_ptr 0
		.amdhsa_user_sgpr_kernarg_segment_ptr 1
		.amdhsa_user_sgpr_dispatch_id 0
		.amdhsa_user_sgpr_private_segment_size 0
		.amdhsa_wavefront_size32 1
		.amdhsa_uses_dynamic_stack 0
		.amdhsa_enable_private_segment 0
		.amdhsa_system_sgpr_workgroup_id_x 1
		.amdhsa_system_sgpr_workgroup_id_y 0
		.amdhsa_system_sgpr_workgroup_id_z 0
		.amdhsa_system_sgpr_workgroup_info 0
		.amdhsa_system_vgpr_workitem_id 0
		.amdhsa_next_free_vgpr 1
		.amdhsa_next_free_sgpr 1
		.amdhsa_reserve_vcc 0
		.amdhsa_float_round_mode_32 0
		.amdhsa_float_round_mode_16_64 0
		.amdhsa_float_denorm_mode_32 3
		.amdhsa_float_denorm_mode_16_64 3
		.amdhsa_fp16_overflow 0
		.amdhsa_workgroup_processor_mode 1
		.amdhsa_memory_ordered 1
		.amdhsa_forward_progress 1
		.amdhsa_inst_pref_size 0
		.amdhsa_round_robin_scheduling 0
		.amdhsa_exception_fp_ieee_invalid_op 0
		.amdhsa_exception_fp_denorm_src 0
		.amdhsa_exception_fp_ieee_div_zero 0
		.amdhsa_exception_fp_ieee_overflow 0
		.amdhsa_exception_fp_ieee_underflow 0
		.amdhsa_exception_fp_ieee_inexact 0
		.amdhsa_exception_int_div_zero 0
	.end_amdhsa_kernel
	.section	.text._ZN7rocprim17ROCPRIM_400000_NS6detail17trampoline_kernelINS0_14default_configENS1_25partition_config_selectorILNS1_17partition_subalgoE6EfNS0_10empty_typeEbEEZZNS1_14partition_implILS5_6ELb0ES3_mN6thrust23THRUST_200600_302600_NS6detail15normal_iteratorINSA_10device_ptrIfEEEEPS6_SG_NS0_5tupleIJNSA_16discard_iteratorINSA_11use_defaultEEES6_EEENSH_IJSG_SG_EEES6_PlJNSB_9not_fun_tINSB_14equal_to_valueIfEEEEEEE10hipError_tPvRmT3_T4_T5_T6_T7_T9_mT8_P12ihipStream_tbDpT10_ENKUlT_T0_E_clISt17integral_constantIbLb0EES1A_IbLb1EEEEDaS16_S17_EUlS16_E_NS1_11comp_targetILNS1_3genE8ELNS1_11target_archE1030ELNS1_3gpuE2ELNS1_3repE0EEENS1_30default_config_static_selectorELNS0_4arch9wavefront6targetE0EEEvT1_,"axG",@progbits,_ZN7rocprim17ROCPRIM_400000_NS6detail17trampoline_kernelINS0_14default_configENS1_25partition_config_selectorILNS1_17partition_subalgoE6EfNS0_10empty_typeEbEEZZNS1_14partition_implILS5_6ELb0ES3_mN6thrust23THRUST_200600_302600_NS6detail15normal_iteratorINSA_10device_ptrIfEEEEPS6_SG_NS0_5tupleIJNSA_16discard_iteratorINSA_11use_defaultEEES6_EEENSH_IJSG_SG_EEES6_PlJNSB_9not_fun_tINSB_14equal_to_valueIfEEEEEEE10hipError_tPvRmT3_T4_T5_T6_T7_T9_mT8_P12ihipStream_tbDpT10_ENKUlT_T0_E_clISt17integral_constantIbLb0EES1A_IbLb1EEEEDaS16_S17_EUlS16_E_NS1_11comp_targetILNS1_3genE8ELNS1_11target_archE1030ELNS1_3gpuE2ELNS1_3repE0EEENS1_30default_config_static_selectorELNS0_4arch9wavefront6targetE0EEEvT1_,comdat
.Lfunc_end1628:
	.size	_ZN7rocprim17ROCPRIM_400000_NS6detail17trampoline_kernelINS0_14default_configENS1_25partition_config_selectorILNS1_17partition_subalgoE6EfNS0_10empty_typeEbEEZZNS1_14partition_implILS5_6ELb0ES3_mN6thrust23THRUST_200600_302600_NS6detail15normal_iteratorINSA_10device_ptrIfEEEEPS6_SG_NS0_5tupleIJNSA_16discard_iteratorINSA_11use_defaultEEES6_EEENSH_IJSG_SG_EEES6_PlJNSB_9not_fun_tINSB_14equal_to_valueIfEEEEEEE10hipError_tPvRmT3_T4_T5_T6_T7_T9_mT8_P12ihipStream_tbDpT10_ENKUlT_T0_E_clISt17integral_constantIbLb0EES1A_IbLb1EEEEDaS16_S17_EUlS16_E_NS1_11comp_targetILNS1_3genE8ELNS1_11target_archE1030ELNS1_3gpuE2ELNS1_3repE0EEENS1_30default_config_static_selectorELNS0_4arch9wavefront6targetE0EEEvT1_, .Lfunc_end1628-_ZN7rocprim17ROCPRIM_400000_NS6detail17trampoline_kernelINS0_14default_configENS1_25partition_config_selectorILNS1_17partition_subalgoE6EfNS0_10empty_typeEbEEZZNS1_14partition_implILS5_6ELb0ES3_mN6thrust23THRUST_200600_302600_NS6detail15normal_iteratorINSA_10device_ptrIfEEEEPS6_SG_NS0_5tupleIJNSA_16discard_iteratorINSA_11use_defaultEEES6_EEENSH_IJSG_SG_EEES6_PlJNSB_9not_fun_tINSB_14equal_to_valueIfEEEEEEE10hipError_tPvRmT3_T4_T5_T6_T7_T9_mT8_P12ihipStream_tbDpT10_ENKUlT_T0_E_clISt17integral_constantIbLb0EES1A_IbLb1EEEEDaS16_S17_EUlS16_E_NS1_11comp_targetILNS1_3genE8ELNS1_11target_archE1030ELNS1_3gpuE2ELNS1_3repE0EEENS1_30default_config_static_selectorELNS0_4arch9wavefront6targetE0EEEvT1_
                                        ; -- End function
	.set _ZN7rocprim17ROCPRIM_400000_NS6detail17trampoline_kernelINS0_14default_configENS1_25partition_config_selectorILNS1_17partition_subalgoE6EfNS0_10empty_typeEbEEZZNS1_14partition_implILS5_6ELb0ES3_mN6thrust23THRUST_200600_302600_NS6detail15normal_iteratorINSA_10device_ptrIfEEEEPS6_SG_NS0_5tupleIJNSA_16discard_iteratorINSA_11use_defaultEEES6_EEENSH_IJSG_SG_EEES6_PlJNSB_9not_fun_tINSB_14equal_to_valueIfEEEEEEE10hipError_tPvRmT3_T4_T5_T6_T7_T9_mT8_P12ihipStream_tbDpT10_ENKUlT_T0_E_clISt17integral_constantIbLb0EES1A_IbLb1EEEEDaS16_S17_EUlS16_E_NS1_11comp_targetILNS1_3genE8ELNS1_11target_archE1030ELNS1_3gpuE2ELNS1_3repE0EEENS1_30default_config_static_selectorELNS0_4arch9wavefront6targetE0EEEvT1_.num_vgpr, 0
	.set _ZN7rocprim17ROCPRIM_400000_NS6detail17trampoline_kernelINS0_14default_configENS1_25partition_config_selectorILNS1_17partition_subalgoE6EfNS0_10empty_typeEbEEZZNS1_14partition_implILS5_6ELb0ES3_mN6thrust23THRUST_200600_302600_NS6detail15normal_iteratorINSA_10device_ptrIfEEEEPS6_SG_NS0_5tupleIJNSA_16discard_iteratorINSA_11use_defaultEEES6_EEENSH_IJSG_SG_EEES6_PlJNSB_9not_fun_tINSB_14equal_to_valueIfEEEEEEE10hipError_tPvRmT3_T4_T5_T6_T7_T9_mT8_P12ihipStream_tbDpT10_ENKUlT_T0_E_clISt17integral_constantIbLb0EES1A_IbLb1EEEEDaS16_S17_EUlS16_E_NS1_11comp_targetILNS1_3genE8ELNS1_11target_archE1030ELNS1_3gpuE2ELNS1_3repE0EEENS1_30default_config_static_selectorELNS0_4arch9wavefront6targetE0EEEvT1_.num_agpr, 0
	.set _ZN7rocprim17ROCPRIM_400000_NS6detail17trampoline_kernelINS0_14default_configENS1_25partition_config_selectorILNS1_17partition_subalgoE6EfNS0_10empty_typeEbEEZZNS1_14partition_implILS5_6ELb0ES3_mN6thrust23THRUST_200600_302600_NS6detail15normal_iteratorINSA_10device_ptrIfEEEEPS6_SG_NS0_5tupleIJNSA_16discard_iteratorINSA_11use_defaultEEES6_EEENSH_IJSG_SG_EEES6_PlJNSB_9not_fun_tINSB_14equal_to_valueIfEEEEEEE10hipError_tPvRmT3_T4_T5_T6_T7_T9_mT8_P12ihipStream_tbDpT10_ENKUlT_T0_E_clISt17integral_constantIbLb0EES1A_IbLb1EEEEDaS16_S17_EUlS16_E_NS1_11comp_targetILNS1_3genE8ELNS1_11target_archE1030ELNS1_3gpuE2ELNS1_3repE0EEENS1_30default_config_static_selectorELNS0_4arch9wavefront6targetE0EEEvT1_.numbered_sgpr, 0
	.set _ZN7rocprim17ROCPRIM_400000_NS6detail17trampoline_kernelINS0_14default_configENS1_25partition_config_selectorILNS1_17partition_subalgoE6EfNS0_10empty_typeEbEEZZNS1_14partition_implILS5_6ELb0ES3_mN6thrust23THRUST_200600_302600_NS6detail15normal_iteratorINSA_10device_ptrIfEEEEPS6_SG_NS0_5tupleIJNSA_16discard_iteratorINSA_11use_defaultEEES6_EEENSH_IJSG_SG_EEES6_PlJNSB_9not_fun_tINSB_14equal_to_valueIfEEEEEEE10hipError_tPvRmT3_T4_T5_T6_T7_T9_mT8_P12ihipStream_tbDpT10_ENKUlT_T0_E_clISt17integral_constantIbLb0EES1A_IbLb1EEEEDaS16_S17_EUlS16_E_NS1_11comp_targetILNS1_3genE8ELNS1_11target_archE1030ELNS1_3gpuE2ELNS1_3repE0EEENS1_30default_config_static_selectorELNS0_4arch9wavefront6targetE0EEEvT1_.num_named_barrier, 0
	.set _ZN7rocprim17ROCPRIM_400000_NS6detail17trampoline_kernelINS0_14default_configENS1_25partition_config_selectorILNS1_17partition_subalgoE6EfNS0_10empty_typeEbEEZZNS1_14partition_implILS5_6ELb0ES3_mN6thrust23THRUST_200600_302600_NS6detail15normal_iteratorINSA_10device_ptrIfEEEEPS6_SG_NS0_5tupleIJNSA_16discard_iteratorINSA_11use_defaultEEES6_EEENSH_IJSG_SG_EEES6_PlJNSB_9not_fun_tINSB_14equal_to_valueIfEEEEEEE10hipError_tPvRmT3_T4_T5_T6_T7_T9_mT8_P12ihipStream_tbDpT10_ENKUlT_T0_E_clISt17integral_constantIbLb0EES1A_IbLb1EEEEDaS16_S17_EUlS16_E_NS1_11comp_targetILNS1_3genE8ELNS1_11target_archE1030ELNS1_3gpuE2ELNS1_3repE0EEENS1_30default_config_static_selectorELNS0_4arch9wavefront6targetE0EEEvT1_.private_seg_size, 0
	.set _ZN7rocprim17ROCPRIM_400000_NS6detail17trampoline_kernelINS0_14default_configENS1_25partition_config_selectorILNS1_17partition_subalgoE6EfNS0_10empty_typeEbEEZZNS1_14partition_implILS5_6ELb0ES3_mN6thrust23THRUST_200600_302600_NS6detail15normal_iteratorINSA_10device_ptrIfEEEEPS6_SG_NS0_5tupleIJNSA_16discard_iteratorINSA_11use_defaultEEES6_EEENSH_IJSG_SG_EEES6_PlJNSB_9not_fun_tINSB_14equal_to_valueIfEEEEEEE10hipError_tPvRmT3_T4_T5_T6_T7_T9_mT8_P12ihipStream_tbDpT10_ENKUlT_T0_E_clISt17integral_constantIbLb0EES1A_IbLb1EEEEDaS16_S17_EUlS16_E_NS1_11comp_targetILNS1_3genE8ELNS1_11target_archE1030ELNS1_3gpuE2ELNS1_3repE0EEENS1_30default_config_static_selectorELNS0_4arch9wavefront6targetE0EEEvT1_.uses_vcc, 0
	.set _ZN7rocprim17ROCPRIM_400000_NS6detail17trampoline_kernelINS0_14default_configENS1_25partition_config_selectorILNS1_17partition_subalgoE6EfNS0_10empty_typeEbEEZZNS1_14partition_implILS5_6ELb0ES3_mN6thrust23THRUST_200600_302600_NS6detail15normal_iteratorINSA_10device_ptrIfEEEEPS6_SG_NS0_5tupleIJNSA_16discard_iteratorINSA_11use_defaultEEES6_EEENSH_IJSG_SG_EEES6_PlJNSB_9not_fun_tINSB_14equal_to_valueIfEEEEEEE10hipError_tPvRmT3_T4_T5_T6_T7_T9_mT8_P12ihipStream_tbDpT10_ENKUlT_T0_E_clISt17integral_constantIbLb0EES1A_IbLb1EEEEDaS16_S17_EUlS16_E_NS1_11comp_targetILNS1_3genE8ELNS1_11target_archE1030ELNS1_3gpuE2ELNS1_3repE0EEENS1_30default_config_static_selectorELNS0_4arch9wavefront6targetE0EEEvT1_.uses_flat_scratch, 0
	.set _ZN7rocprim17ROCPRIM_400000_NS6detail17trampoline_kernelINS0_14default_configENS1_25partition_config_selectorILNS1_17partition_subalgoE6EfNS0_10empty_typeEbEEZZNS1_14partition_implILS5_6ELb0ES3_mN6thrust23THRUST_200600_302600_NS6detail15normal_iteratorINSA_10device_ptrIfEEEEPS6_SG_NS0_5tupleIJNSA_16discard_iteratorINSA_11use_defaultEEES6_EEENSH_IJSG_SG_EEES6_PlJNSB_9not_fun_tINSB_14equal_to_valueIfEEEEEEE10hipError_tPvRmT3_T4_T5_T6_T7_T9_mT8_P12ihipStream_tbDpT10_ENKUlT_T0_E_clISt17integral_constantIbLb0EES1A_IbLb1EEEEDaS16_S17_EUlS16_E_NS1_11comp_targetILNS1_3genE8ELNS1_11target_archE1030ELNS1_3gpuE2ELNS1_3repE0EEENS1_30default_config_static_selectorELNS0_4arch9wavefront6targetE0EEEvT1_.has_dyn_sized_stack, 0
	.set _ZN7rocprim17ROCPRIM_400000_NS6detail17trampoline_kernelINS0_14default_configENS1_25partition_config_selectorILNS1_17partition_subalgoE6EfNS0_10empty_typeEbEEZZNS1_14partition_implILS5_6ELb0ES3_mN6thrust23THRUST_200600_302600_NS6detail15normal_iteratorINSA_10device_ptrIfEEEEPS6_SG_NS0_5tupleIJNSA_16discard_iteratorINSA_11use_defaultEEES6_EEENSH_IJSG_SG_EEES6_PlJNSB_9not_fun_tINSB_14equal_to_valueIfEEEEEEE10hipError_tPvRmT3_T4_T5_T6_T7_T9_mT8_P12ihipStream_tbDpT10_ENKUlT_T0_E_clISt17integral_constantIbLb0EES1A_IbLb1EEEEDaS16_S17_EUlS16_E_NS1_11comp_targetILNS1_3genE8ELNS1_11target_archE1030ELNS1_3gpuE2ELNS1_3repE0EEENS1_30default_config_static_selectorELNS0_4arch9wavefront6targetE0EEEvT1_.has_recursion, 0
	.set _ZN7rocprim17ROCPRIM_400000_NS6detail17trampoline_kernelINS0_14default_configENS1_25partition_config_selectorILNS1_17partition_subalgoE6EfNS0_10empty_typeEbEEZZNS1_14partition_implILS5_6ELb0ES3_mN6thrust23THRUST_200600_302600_NS6detail15normal_iteratorINSA_10device_ptrIfEEEEPS6_SG_NS0_5tupleIJNSA_16discard_iteratorINSA_11use_defaultEEES6_EEENSH_IJSG_SG_EEES6_PlJNSB_9not_fun_tINSB_14equal_to_valueIfEEEEEEE10hipError_tPvRmT3_T4_T5_T6_T7_T9_mT8_P12ihipStream_tbDpT10_ENKUlT_T0_E_clISt17integral_constantIbLb0EES1A_IbLb1EEEEDaS16_S17_EUlS16_E_NS1_11comp_targetILNS1_3genE8ELNS1_11target_archE1030ELNS1_3gpuE2ELNS1_3repE0EEENS1_30default_config_static_selectorELNS0_4arch9wavefront6targetE0EEEvT1_.has_indirect_call, 0
	.section	.AMDGPU.csdata,"",@progbits
; Kernel info:
; codeLenInByte = 0
; TotalNumSgprs: 0
; NumVgprs: 0
; ScratchSize: 0
; MemoryBound: 0
; FloatMode: 240
; IeeeMode: 1
; LDSByteSize: 0 bytes/workgroup (compile time only)
; SGPRBlocks: 0
; VGPRBlocks: 0
; NumSGPRsForWavesPerEU: 1
; NumVGPRsForWavesPerEU: 1
; Occupancy: 16
; WaveLimiterHint : 0
; COMPUTE_PGM_RSRC2:SCRATCH_EN: 0
; COMPUTE_PGM_RSRC2:USER_SGPR: 2
; COMPUTE_PGM_RSRC2:TRAP_HANDLER: 0
; COMPUTE_PGM_RSRC2:TGID_X_EN: 1
; COMPUTE_PGM_RSRC2:TGID_Y_EN: 0
; COMPUTE_PGM_RSRC2:TGID_Z_EN: 0
; COMPUTE_PGM_RSRC2:TIDIG_COMP_CNT: 0
	.section	.text._ZN7rocprim17ROCPRIM_400000_NS6detail17trampoline_kernelINS0_14default_configENS1_25partition_config_selectorILNS1_17partition_subalgoE6EyNS0_10empty_typeEbEEZZNS1_14partition_implILS5_6ELb0ES3_mN6thrust23THRUST_200600_302600_NS6detail15normal_iteratorINSA_10device_ptrIyEEEEPS6_SG_NS0_5tupleIJNSA_16discard_iteratorINSA_11use_defaultEEES6_EEENSH_IJSG_SG_EEES6_PlJNSB_9not_fun_tINSB_14equal_to_valueIyEEEEEEE10hipError_tPvRmT3_T4_T5_T6_T7_T9_mT8_P12ihipStream_tbDpT10_ENKUlT_T0_E_clISt17integral_constantIbLb0EES1B_EEDaS16_S17_EUlS16_E_NS1_11comp_targetILNS1_3genE0ELNS1_11target_archE4294967295ELNS1_3gpuE0ELNS1_3repE0EEENS1_30default_config_static_selectorELNS0_4arch9wavefront6targetE0EEEvT1_,"axG",@progbits,_ZN7rocprim17ROCPRIM_400000_NS6detail17trampoline_kernelINS0_14default_configENS1_25partition_config_selectorILNS1_17partition_subalgoE6EyNS0_10empty_typeEbEEZZNS1_14partition_implILS5_6ELb0ES3_mN6thrust23THRUST_200600_302600_NS6detail15normal_iteratorINSA_10device_ptrIyEEEEPS6_SG_NS0_5tupleIJNSA_16discard_iteratorINSA_11use_defaultEEES6_EEENSH_IJSG_SG_EEES6_PlJNSB_9not_fun_tINSB_14equal_to_valueIyEEEEEEE10hipError_tPvRmT3_T4_T5_T6_T7_T9_mT8_P12ihipStream_tbDpT10_ENKUlT_T0_E_clISt17integral_constantIbLb0EES1B_EEDaS16_S17_EUlS16_E_NS1_11comp_targetILNS1_3genE0ELNS1_11target_archE4294967295ELNS1_3gpuE0ELNS1_3repE0EEENS1_30default_config_static_selectorELNS0_4arch9wavefront6targetE0EEEvT1_,comdat
	.protected	_ZN7rocprim17ROCPRIM_400000_NS6detail17trampoline_kernelINS0_14default_configENS1_25partition_config_selectorILNS1_17partition_subalgoE6EyNS0_10empty_typeEbEEZZNS1_14partition_implILS5_6ELb0ES3_mN6thrust23THRUST_200600_302600_NS6detail15normal_iteratorINSA_10device_ptrIyEEEEPS6_SG_NS0_5tupleIJNSA_16discard_iteratorINSA_11use_defaultEEES6_EEENSH_IJSG_SG_EEES6_PlJNSB_9not_fun_tINSB_14equal_to_valueIyEEEEEEE10hipError_tPvRmT3_T4_T5_T6_T7_T9_mT8_P12ihipStream_tbDpT10_ENKUlT_T0_E_clISt17integral_constantIbLb0EES1B_EEDaS16_S17_EUlS16_E_NS1_11comp_targetILNS1_3genE0ELNS1_11target_archE4294967295ELNS1_3gpuE0ELNS1_3repE0EEENS1_30default_config_static_selectorELNS0_4arch9wavefront6targetE0EEEvT1_ ; -- Begin function _ZN7rocprim17ROCPRIM_400000_NS6detail17trampoline_kernelINS0_14default_configENS1_25partition_config_selectorILNS1_17partition_subalgoE6EyNS0_10empty_typeEbEEZZNS1_14partition_implILS5_6ELb0ES3_mN6thrust23THRUST_200600_302600_NS6detail15normal_iteratorINSA_10device_ptrIyEEEEPS6_SG_NS0_5tupleIJNSA_16discard_iteratorINSA_11use_defaultEEES6_EEENSH_IJSG_SG_EEES6_PlJNSB_9not_fun_tINSB_14equal_to_valueIyEEEEEEE10hipError_tPvRmT3_T4_T5_T6_T7_T9_mT8_P12ihipStream_tbDpT10_ENKUlT_T0_E_clISt17integral_constantIbLb0EES1B_EEDaS16_S17_EUlS16_E_NS1_11comp_targetILNS1_3genE0ELNS1_11target_archE4294967295ELNS1_3gpuE0ELNS1_3repE0EEENS1_30default_config_static_selectorELNS0_4arch9wavefront6targetE0EEEvT1_
	.globl	_ZN7rocprim17ROCPRIM_400000_NS6detail17trampoline_kernelINS0_14default_configENS1_25partition_config_selectorILNS1_17partition_subalgoE6EyNS0_10empty_typeEbEEZZNS1_14partition_implILS5_6ELb0ES3_mN6thrust23THRUST_200600_302600_NS6detail15normal_iteratorINSA_10device_ptrIyEEEEPS6_SG_NS0_5tupleIJNSA_16discard_iteratorINSA_11use_defaultEEES6_EEENSH_IJSG_SG_EEES6_PlJNSB_9not_fun_tINSB_14equal_to_valueIyEEEEEEE10hipError_tPvRmT3_T4_T5_T6_T7_T9_mT8_P12ihipStream_tbDpT10_ENKUlT_T0_E_clISt17integral_constantIbLb0EES1B_EEDaS16_S17_EUlS16_E_NS1_11comp_targetILNS1_3genE0ELNS1_11target_archE4294967295ELNS1_3gpuE0ELNS1_3repE0EEENS1_30default_config_static_selectorELNS0_4arch9wavefront6targetE0EEEvT1_
	.p2align	8
	.type	_ZN7rocprim17ROCPRIM_400000_NS6detail17trampoline_kernelINS0_14default_configENS1_25partition_config_selectorILNS1_17partition_subalgoE6EyNS0_10empty_typeEbEEZZNS1_14partition_implILS5_6ELb0ES3_mN6thrust23THRUST_200600_302600_NS6detail15normal_iteratorINSA_10device_ptrIyEEEEPS6_SG_NS0_5tupleIJNSA_16discard_iteratorINSA_11use_defaultEEES6_EEENSH_IJSG_SG_EEES6_PlJNSB_9not_fun_tINSB_14equal_to_valueIyEEEEEEE10hipError_tPvRmT3_T4_T5_T6_T7_T9_mT8_P12ihipStream_tbDpT10_ENKUlT_T0_E_clISt17integral_constantIbLb0EES1B_EEDaS16_S17_EUlS16_E_NS1_11comp_targetILNS1_3genE0ELNS1_11target_archE4294967295ELNS1_3gpuE0ELNS1_3repE0EEENS1_30default_config_static_selectorELNS0_4arch9wavefront6targetE0EEEvT1_,@function
_ZN7rocprim17ROCPRIM_400000_NS6detail17trampoline_kernelINS0_14default_configENS1_25partition_config_selectorILNS1_17partition_subalgoE6EyNS0_10empty_typeEbEEZZNS1_14partition_implILS5_6ELb0ES3_mN6thrust23THRUST_200600_302600_NS6detail15normal_iteratorINSA_10device_ptrIyEEEEPS6_SG_NS0_5tupleIJNSA_16discard_iteratorINSA_11use_defaultEEES6_EEENSH_IJSG_SG_EEES6_PlJNSB_9not_fun_tINSB_14equal_to_valueIyEEEEEEE10hipError_tPvRmT3_T4_T5_T6_T7_T9_mT8_P12ihipStream_tbDpT10_ENKUlT_T0_E_clISt17integral_constantIbLb0EES1B_EEDaS16_S17_EUlS16_E_NS1_11comp_targetILNS1_3genE0ELNS1_11target_archE4294967295ELNS1_3gpuE0ELNS1_3repE0EEENS1_30default_config_static_selectorELNS0_4arch9wavefront6targetE0EEEvT1_: ; @_ZN7rocprim17ROCPRIM_400000_NS6detail17trampoline_kernelINS0_14default_configENS1_25partition_config_selectorILNS1_17partition_subalgoE6EyNS0_10empty_typeEbEEZZNS1_14partition_implILS5_6ELb0ES3_mN6thrust23THRUST_200600_302600_NS6detail15normal_iteratorINSA_10device_ptrIyEEEEPS6_SG_NS0_5tupleIJNSA_16discard_iteratorINSA_11use_defaultEEES6_EEENSH_IJSG_SG_EEES6_PlJNSB_9not_fun_tINSB_14equal_to_valueIyEEEEEEE10hipError_tPvRmT3_T4_T5_T6_T7_T9_mT8_P12ihipStream_tbDpT10_ENKUlT_T0_E_clISt17integral_constantIbLb0EES1B_EEDaS16_S17_EUlS16_E_NS1_11comp_targetILNS1_3genE0ELNS1_11target_archE4294967295ELNS1_3gpuE0ELNS1_3repE0EEENS1_30default_config_static_selectorELNS0_4arch9wavefront6targetE0EEEvT1_
; %bb.0:
	.section	.rodata,"a",@progbits
	.p2align	6, 0x0
	.amdhsa_kernel _ZN7rocprim17ROCPRIM_400000_NS6detail17trampoline_kernelINS0_14default_configENS1_25partition_config_selectorILNS1_17partition_subalgoE6EyNS0_10empty_typeEbEEZZNS1_14partition_implILS5_6ELb0ES3_mN6thrust23THRUST_200600_302600_NS6detail15normal_iteratorINSA_10device_ptrIyEEEEPS6_SG_NS0_5tupleIJNSA_16discard_iteratorINSA_11use_defaultEEES6_EEENSH_IJSG_SG_EEES6_PlJNSB_9not_fun_tINSB_14equal_to_valueIyEEEEEEE10hipError_tPvRmT3_T4_T5_T6_T7_T9_mT8_P12ihipStream_tbDpT10_ENKUlT_T0_E_clISt17integral_constantIbLb0EES1B_EEDaS16_S17_EUlS16_E_NS1_11comp_targetILNS1_3genE0ELNS1_11target_archE4294967295ELNS1_3gpuE0ELNS1_3repE0EEENS1_30default_config_static_selectorELNS0_4arch9wavefront6targetE0EEEvT1_
		.amdhsa_group_segment_fixed_size 0
		.amdhsa_private_segment_fixed_size 0
		.amdhsa_kernarg_size 128
		.amdhsa_user_sgpr_count 2
		.amdhsa_user_sgpr_dispatch_ptr 0
		.amdhsa_user_sgpr_queue_ptr 0
		.amdhsa_user_sgpr_kernarg_segment_ptr 1
		.amdhsa_user_sgpr_dispatch_id 0
		.amdhsa_user_sgpr_private_segment_size 0
		.amdhsa_wavefront_size32 1
		.amdhsa_uses_dynamic_stack 0
		.amdhsa_enable_private_segment 0
		.amdhsa_system_sgpr_workgroup_id_x 1
		.amdhsa_system_sgpr_workgroup_id_y 0
		.amdhsa_system_sgpr_workgroup_id_z 0
		.amdhsa_system_sgpr_workgroup_info 0
		.amdhsa_system_vgpr_workitem_id 0
		.amdhsa_next_free_vgpr 1
		.amdhsa_next_free_sgpr 1
		.amdhsa_reserve_vcc 0
		.amdhsa_float_round_mode_32 0
		.amdhsa_float_round_mode_16_64 0
		.amdhsa_float_denorm_mode_32 3
		.amdhsa_float_denorm_mode_16_64 3
		.amdhsa_fp16_overflow 0
		.amdhsa_workgroup_processor_mode 1
		.amdhsa_memory_ordered 1
		.amdhsa_forward_progress 1
		.amdhsa_inst_pref_size 0
		.amdhsa_round_robin_scheduling 0
		.amdhsa_exception_fp_ieee_invalid_op 0
		.amdhsa_exception_fp_denorm_src 0
		.amdhsa_exception_fp_ieee_div_zero 0
		.amdhsa_exception_fp_ieee_overflow 0
		.amdhsa_exception_fp_ieee_underflow 0
		.amdhsa_exception_fp_ieee_inexact 0
		.amdhsa_exception_int_div_zero 0
	.end_amdhsa_kernel
	.section	.text._ZN7rocprim17ROCPRIM_400000_NS6detail17trampoline_kernelINS0_14default_configENS1_25partition_config_selectorILNS1_17partition_subalgoE6EyNS0_10empty_typeEbEEZZNS1_14partition_implILS5_6ELb0ES3_mN6thrust23THRUST_200600_302600_NS6detail15normal_iteratorINSA_10device_ptrIyEEEEPS6_SG_NS0_5tupleIJNSA_16discard_iteratorINSA_11use_defaultEEES6_EEENSH_IJSG_SG_EEES6_PlJNSB_9not_fun_tINSB_14equal_to_valueIyEEEEEEE10hipError_tPvRmT3_T4_T5_T6_T7_T9_mT8_P12ihipStream_tbDpT10_ENKUlT_T0_E_clISt17integral_constantIbLb0EES1B_EEDaS16_S17_EUlS16_E_NS1_11comp_targetILNS1_3genE0ELNS1_11target_archE4294967295ELNS1_3gpuE0ELNS1_3repE0EEENS1_30default_config_static_selectorELNS0_4arch9wavefront6targetE0EEEvT1_,"axG",@progbits,_ZN7rocprim17ROCPRIM_400000_NS6detail17trampoline_kernelINS0_14default_configENS1_25partition_config_selectorILNS1_17partition_subalgoE6EyNS0_10empty_typeEbEEZZNS1_14partition_implILS5_6ELb0ES3_mN6thrust23THRUST_200600_302600_NS6detail15normal_iteratorINSA_10device_ptrIyEEEEPS6_SG_NS0_5tupleIJNSA_16discard_iteratorINSA_11use_defaultEEES6_EEENSH_IJSG_SG_EEES6_PlJNSB_9not_fun_tINSB_14equal_to_valueIyEEEEEEE10hipError_tPvRmT3_T4_T5_T6_T7_T9_mT8_P12ihipStream_tbDpT10_ENKUlT_T0_E_clISt17integral_constantIbLb0EES1B_EEDaS16_S17_EUlS16_E_NS1_11comp_targetILNS1_3genE0ELNS1_11target_archE4294967295ELNS1_3gpuE0ELNS1_3repE0EEENS1_30default_config_static_selectorELNS0_4arch9wavefront6targetE0EEEvT1_,comdat
.Lfunc_end1629:
	.size	_ZN7rocprim17ROCPRIM_400000_NS6detail17trampoline_kernelINS0_14default_configENS1_25partition_config_selectorILNS1_17partition_subalgoE6EyNS0_10empty_typeEbEEZZNS1_14partition_implILS5_6ELb0ES3_mN6thrust23THRUST_200600_302600_NS6detail15normal_iteratorINSA_10device_ptrIyEEEEPS6_SG_NS0_5tupleIJNSA_16discard_iteratorINSA_11use_defaultEEES6_EEENSH_IJSG_SG_EEES6_PlJNSB_9not_fun_tINSB_14equal_to_valueIyEEEEEEE10hipError_tPvRmT3_T4_T5_T6_T7_T9_mT8_P12ihipStream_tbDpT10_ENKUlT_T0_E_clISt17integral_constantIbLb0EES1B_EEDaS16_S17_EUlS16_E_NS1_11comp_targetILNS1_3genE0ELNS1_11target_archE4294967295ELNS1_3gpuE0ELNS1_3repE0EEENS1_30default_config_static_selectorELNS0_4arch9wavefront6targetE0EEEvT1_, .Lfunc_end1629-_ZN7rocprim17ROCPRIM_400000_NS6detail17trampoline_kernelINS0_14default_configENS1_25partition_config_selectorILNS1_17partition_subalgoE6EyNS0_10empty_typeEbEEZZNS1_14partition_implILS5_6ELb0ES3_mN6thrust23THRUST_200600_302600_NS6detail15normal_iteratorINSA_10device_ptrIyEEEEPS6_SG_NS0_5tupleIJNSA_16discard_iteratorINSA_11use_defaultEEES6_EEENSH_IJSG_SG_EEES6_PlJNSB_9not_fun_tINSB_14equal_to_valueIyEEEEEEE10hipError_tPvRmT3_T4_T5_T6_T7_T9_mT8_P12ihipStream_tbDpT10_ENKUlT_T0_E_clISt17integral_constantIbLb0EES1B_EEDaS16_S17_EUlS16_E_NS1_11comp_targetILNS1_3genE0ELNS1_11target_archE4294967295ELNS1_3gpuE0ELNS1_3repE0EEENS1_30default_config_static_selectorELNS0_4arch9wavefront6targetE0EEEvT1_
                                        ; -- End function
	.set _ZN7rocprim17ROCPRIM_400000_NS6detail17trampoline_kernelINS0_14default_configENS1_25partition_config_selectorILNS1_17partition_subalgoE6EyNS0_10empty_typeEbEEZZNS1_14partition_implILS5_6ELb0ES3_mN6thrust23THRUST_200600_302600_NS6detail15normal_iteratorINSA_10device_ptrIyEEEEPS6_SG_NS0_5tupleIJNSA_16discard_iteratorINSA_11use_defaultEEES6_EEENSH_IJSG_SG_EEES6_PlJNSB_9not_fun_tINSB_14equal_to_valueIyEEEEEEE10hipError_tPvRmT3_T4_T5_T6_T7_T9_mT8_P12ihipStream_tbDpT10_ENKUlT_T0_E_clISt17integral_constantIbLb0EES1B_EEDaS16_S17_EUlS16_E_NS1_11comp_targetILNS1_3genE0ELNS1_11target_archE4294967295ELNS1_3gpuE0ELNS1_3repE0EEENS1_30default_config_static_selectorELNS0_4arch9wavefront6targetE0EEEvT1_.num_vgpr, 0
	.set _ZN7rocprim17ROCPRIM_400000_NS6detail17trampoline_kernelINS0_14default_configENS1_25partition_config_selectorILNS1_17partition_subalgoE6EyNS0_10empty_typeEbEEZZNS1_14partition_implILS5_6ELb0ES3_mN6thrust23THRUST_200600_302600_NS6detail15normal_iteratorINSA_10device_ptrIyEEEEPS6_SG_NS0_5tupleIJNSA_16discard_iteratorINSA_11use_defaultEEES6_EEENSH_IJSG_SG_EEES6_PlJNSB_9not_fun_tINSB_14equal_to_valueIyEEEEEEE10hipError_tPvRmT3_T4_T5_T6_T7_T9_mT8_P12ihipStream_tbDpT10_ENKUlT_T0_E_clISt17integral_constantIbLb0EES1B_EEDaS16_S17_EUlS16_E_NS1_11comp_targetILNS1_3genE0ELNS1_11target_archE4294967295ELNS1_3gpuE0ELNS1_3repE0EEENS1_30default_config_static_selectorELNS0_4arch9wavefront6targetE0EEEvT1_.num_agpr, 0
	.set _ZN7rocprim17ROCPRIM_400000_NS6detail17trampoline_kernelINS0_14default_configENS1_25partition_config_selectorILNS1_17partition_subalgoE6EyNS0_10empty_typeEbEEZZNS1_14partition_implILS5_6ELb0ES3_mN6thrust23THRUST_200600_302600_NS6detail15normal_iteratorINSA_10device_ptrIyEEEEPS6_SG_NS0_5tupleIJNSA_16discard_iteratorINSA_11use_defaultEEES6_EEENSH_IJSG_SG_EEES6_PlJNSB_9not_fun_tINSB_14equal_to_valueIyEEEEEEE10hipError_tPvRmT3_T4_T5_T6_T7_T9_mT8_P12ihipStream_tbDpT10_ENKUlT_T0_E_clISt17integral_constantIbLb0EES1B_EEDaS16_S17_EUlS16_E_NS1_11comp_targetILNS1_3genE0ELNS1_11target_archE4294967295ELNS1_3gpuE0ELNS1_3repE0EEENS1_30default_config_static_selectorELNS0_4arch9wavefront6targetE0EEEvT1_.numbered_sgpr, 0
	.set _ZN7rocprim17ROCPRIM_400000_NS6detail17trampoline_kernelINS0_14default_configENS1_25partition_config_selectorILNS1_17partition_subalgoE6EyNS0_10empty_typeEbEEZZNS1_14partition_implILS5_6ELb0ES3_mN6thrust23THRUST_200600_302600_NS6detail15normal_iteratorINSA_10device_ptrIyEEEEPS6_SG_NS0_5tupleIJNSA_16discard_iteratorINSA_11use_defaultEEES6_EEENSH_IJSG_SG_EEES6_PlJNSB_9not_fun_tINSB_14equal_to_valueIyEEEEEEE10hipError_tPvRmT3_T4_T5_T6_T7_T9_mT8_P12ihipStream_tbDpT10_ENKUlT_T0_E_clISt17integral_constantIbLb0EES1B_EEDaS16_S17_EUlS16_E_NS1_11comp_targetILNS1_3genE0ELNS1_11target_archE4294967295ELNS1_3gpuE0ELNS1_3repE0EEENS1_30default_config_static_selectorELNS0_4arch9wavefront6targetE0EEEvT1_.num_named_barrier, 0
	.set _ZN7rocprim17ROCPRIM_400000_NS6detail17trampoline_kernelINS0_14default_configENS1_25partition_config_selectorILNS1_17partition_subalgoE6EyNS0_10empty_typeEbEEZZNS1_14partition_implILS5_6ELb0ES3_mN6thrust23THRUST_200600_302600_NS6detail15normal_iteratorINSA_10device_ptrIyEEEEPS6_SG_NS0_5tupleIJNSA_16discard_iteratorINSA_11use_defaultEEES6_EEENSH_IJSG_SG_EEES6_PlJNSB_9not_fun_tINSB_14equal_to_valueIyEEEEEEE10hipError_tPvRmT3_T4_T5_T6_T7_T9_mT8_P12ihipStream_tbDpT10_ENKUlT_T0_E_clISt17integral_constantIbLb0EES1B_EEDaS16_S17_EUlS16_E_NS1_11comp_targetILNS1_3genE0ELNS1_11target_archE4294967295ELNS1_3gpuE0ELNS1_3repE0EEENS1_30default_config_static_selectorELNS0_4arch9wavefront6targetE0EEEvT1_.private_seg_size, 0
	.set _ZN7rocprim17ROCPRIM_400000_NS6detail17trampoline_kernelINS0_14default_configENS1_25partition_config_selectorILNS1_17partition_subalgoE6EyNS0_10empty_typeEbEEZZNS1_14partition_implILS5_6ELb0ES3_mN6thrust23THRUST_200600_302600_NS6detail15normal_iteratorINSA_10device_ptrIyEEEEPS6_SG_NS0_5tupleIJNSA_16discard_iteratorINSA_11use_defaultEEES6_EEENSH_IJSG_SG_EEES6_PlJNSB_9not_fun_tINSB_14equal_to_valueIyEEEEEEE10hipError_tPvRmT3_T4_T5_T6_T7_T9_mT8_P12ihipStream_tbDpT10_ENKUlT_T0_E_clISt17integral_constantIbLb0EES1B_EEDaS16_S17_EUlS16_E_NS1_11comp_targetILNS1_3genE0ELNS1_11target_archE4294967295ELNS1_3gpuE0ELNS1_3repE0EEENS1_30default_config_static_selectorELNS0_4arch9wavefront6targetE0EEEvT1_.uses_vcc, 0
	.set _ZN7rocprim17ROCPRIM_400000_NS6detail17trampoline_kernelINS0_14default_configENS1_25partition_config_selectorILNS1_17partition_subalgoE6EyNS0_10empty_typeEbEEZZNS1_14partition_implILS5_6ELb0ES3_mN6thrust23THRUST_200600_302600_NS6detail15normal_iteratorINSA_10device_ptrIyEEEEPS6_SG_NS0_5tupleIJNSA_16discard_iteratorINSA_11use_defaultEEES6_EEENSH_IJSG_SG_EEES6_PlJNSB_9not_fun_tINSB_14equal_to_valueIyEEEEEEE10hipError_tPvRmT3_T4_T5_T6_T7_T9_mT8_P12ihipStream_tbDpT10_ENKUlT_T0_E_clISt17integral_constantIbLb0EES1B_EEDaS16_S17_EUlS16_E_NS1_11comp_targetILNS1_3genE0ELNS1_11target_archE4294967295ELNS1_3gpuE0ELNS1_3repE0EEENS1_30default_config_static_selectorELNS0_4arch9wavefront6targetE0EEEvT1_.uses_flat_scratch, 0
	.set _ZN7rocprim17ROCPRIM_400000_NS6detail17trampoline_kernelINS0_14default_configENS1_25partition_config_selectorILNS1_17partition_subalgoE6EyNS0_10empty_typeEbEEZZNS1_14partition_implILS5_6ELb0ES3_mN6thrust23THRUST_200600_302600_NS6detail15normal_iteratorINSA_10device_ptrIyEEEEPS6_SG_NS0_5tupleIJNSA_16discard_iteratorINSA_11use_defaultEEES6_EEENSH_IJSG_SG_EEES6_PlJNSB_9not_fun_tINSB_14equal_to_valueIyEEEEEEE10hipError_tPvRmT3_T4_T5_T6_T7_T9_mT8_P12ihipStream_tbDpT10_ENKUlT_T0_E_clISt17integral_constantIbLb0EES1B_EEDaS16_S17_EUlS16_E_NS1_11comp_targetILNS1_3genE0ELNS1_11target_archE4294967295ELNS1_3gpuE0ELNS1_3repE0EEENS1_30default_config_static_selectorELNS0_4arch9wavefront6targetE0EEEvT1_.has_dyn_sized_stack, 0
	.set _ZN7rocprim17ROCPRIM_400000_NS6detail17trampoline_kernelINS0_14default_configENS1_25partition_config_selectorILNS1_17partition_subalgoE6EyNS0_10empty_typeEbEEZZNS1_14partition_implILS5_6ELb0ES3_mN6thrust23THRUST_200600_302600_NS6detail15normal_iteratorINSA_10device_ptrIyEEEEPS6_SG_NS0_5tupleIJNSA_16discard_iteratorINSA_11use_defaultEEES6_EEENSH_IJSG_SG_EEES6_PlJNSB_9not_fun_tINSB_14equal_to_valueIyEEEEEEE10hipError_tPvRmT3_T4_T5_T6_T7_T9_mT8_P12ihipStream_tbDpT10_ENKUlT_T0_E_clISt17integral_constantIbLb0EES1B_EEDaS16_S17_EUlS16_E_NS1_11comp_targetILNS1_3genE0ELNS1_11target_archE4294967295ELNS1_3gpuE0ELNS1_3repE0EEENS1_30default_config_static_selectorELNS0_4arch9wavefront6targetE0EEEvT1_.has_recursion, 0
	.set _ZN7rocprim17ROCPRIM_400000_NS6detail17trampoline_kernelINS0_14default_configENS1_25partition_config_selectorILNS1_17partition_subalgoE6EyNS0_10empty_typeEbEEZZNS1_14partition_implILS5_6ELb0ES3_mN6thrust23THRUST_200600_302600_NS6detail15normal_iteratorINSA_10device_ptrIyEEEEPS6_SG_NS0_5tupleIJNSA_16discard_iteratorINSA_11use_defaultEEES6_EEENSH_IJSG_SG_EEES6_PlJNSB_9not_fun_tINSB_14equal_to_valueIyEEEEEEE10hipError_tPvRmT3_T4_T5_T6_T7_T9_mT8_P12ihipStream_tbDpT10_ENKUlT_T0_E_clISt17integral_constantIbLb0EES1B_EEDaS16_S17_EUlS16_E_NS1_11comp_targetILNS1_3genE0ELNS1_11target_archE4294967295ELNS1_3gpuE0ELNS1_3repE0EEENS1_30default_config_static_selectorELNS0_4arch9wavefront6targetE0EEEvT1_.has_indirect_call, 0
	.section	.AMDGPU.csdata,"",@progbits
; Kernel info:
; codeLenInByte = 0
; TotalNumSgprs: 0
; NumVgprs: 0
; ScratchSize: 0
; MemoryBound: 0
; FloatMode: 240
; IeeeMode: 1
; LDSByteSize: 0 bytes/workgroup (compile time only)
; SGPRBlocks: 0
; VGPRBlocks: 0
; NumSGPRsForWavesPerEU: 1
; NumVGPRsForWavesPerEU: 1
; Occupancy: 16
; WaveLimiterHint : 0
; COMPUTE_PGM_RSRC2:SCRATCH_EN: 0
; COMPUTE_PGM_RSRC2:USER_SGPR: 2
; COMPUTE_PGM_RSRC2:TRAP_HANDLER: 0
; COMPUTE_PGM_RSRC2:TGID_X_EN: 1
; COMPUTE_PGM_RSRC2:TGID_Y_EN: 0
; COMPUTE_PGM_RSRC2:TGID_Z_EN: 0
; COMPUTE_PGM_RSRC2:TIDIG_COMP_CNT: 0
	.section	.text._ZN7rocprim17ROCPRIM_400000_NS6detail17trampoline_kernelINS0_14default_configENS1_25partition_config_selectorILNS1_17partition_subalgoE6EyNS0_10empty_typeEbEEZZNS1_14partition_implILS5_6ELb0ES3_mN6thrust23THRUST_200600_302600_NS6detail15normal_iteratorINSA_10device_ptrIyEEEEPS6_SG_NS0_5tupleIJNSA_16discard_iteratorINSA_11use_defaultEEES6_EEENSH_IJSG_SG_EEES6_PlJNSB_9not_fun_tINSB_14equal_to_valueIyEEEEEEE10hipError_tPvRmT3_T4_T5_T6_T7_T9_mT8_P12ihipStream_tbDpT10_ENKUlT_T0_E_clISt17integral_constantIbLb0EES1B_EEDaS16_S17_EUlS16_E_NS1_11comp_targetILNS1_3genE5ELNS1_11target_archE942ELNS1_3gpuE9ELNS1_3repE0EEENS1_30default_config_static_selectorELNS0_4arch9wavefront6targetE0EEEvT1_,"axG",@progbits,_ZN7rocprim17ROCPRIM_400000_NS6detail17trampoline_kernelINS0_14default_configENS1_25partition_config_selectorILNS1_17partition_subalgoE6EyNS0_10empty_typeEbEEZZNS1_14partition_implILS5_6ELb0ES3_mN6thrust23THRUST_200600_302600_NS6detail15normal_iteratorINSA_10device_ptrIyEEEEPS6_SG_NS0_5tupleIJNSA_16discard_iteratorINSA_11use_defaultEEES6_EEENSH_IJSG_SG_EEES6_PlJNSB_9not_fun_tINSB_14equal_to_valueIyEEEEEEE10hipError_tPvRmT3_T4_T5_T6_T7_T9_mT8_P12ihipStream_tbDpT10_ENKUlT_T0_E_clISt17integral_constantIbLb0EES1B_EEDaS16_S17_EUlS16_E_NS1_11comp_targetILNS1_3genE5ELNS1_11target_archE942ELNS1_3gpuE9ELNS1_3repE0EEENS1_30default_config_static_selectorELNS0_4arch9wavefront6targetE0EEEvT1_,comdat
	.protected	_ZN7rocprim17ROCPRIM_400000_NS6detail17trampoline_kernelINS0_14default_configENS1_25partition_config_selectorILNS1_17partition_subalgoE6EyNS0_10empty_typeEbEEZZNS1_14partition_implILS5_6ELb0ES3_mN6thrust23THRUST_200600_302600_NS6detail15normal_iteratorINSA_10device_ptrIyEEEEPS6_SG_NS0_5tupleIJNSA_16discard_iteratorINSA_11use_defaultEEES6_EEENSH_IJSG_SG_EEES6_PlJNSB_9not_fun_tINSB_14equal_to_valueIyEEEEEEE10hipError_tPvRmT3_T4_T5_T6_T7_T9_mT8_P12ihipStream_tbDpT10_ENKUlT_T0_E_clISt17integral_constantIbLb0EES1B_EEDaS16_S17_EUlS16_E_NS1_11comp_targetILNS1_3genE5ELNS1_11target_archE942ELNS1_3gpuE9ELNS1_3repE0EEENS1_30default_config_static_selectorELNS0_4arch9wavefront6targetE0EEEvT1_ ; -- Begin function _ZN7rocprim17ROCPRIM_400000_NS6detail17trampoline_kernelINS0_14default_configENS1_25partition_config_selectorILNS1_17partition_subalgoE6EyNS0_10empty_typeEbEEZZNS1_14partition_implILS5_6ELb0ES3_mN6thrust23THRUST_200600_302600_NS6detail15normal_iteratorINSA_10device_ptrIyEEEEPS6_SG_NS0_5tupleIJNSA_16discard_iteratorINSA_11use_defaultEEES6_EEENSH_IJSG_SG_EEES6_PlJNSB_9not_fun_tINSB_14equal_to_valueIyEEEEEEE10hipError_tPvRmT3_T4_T5_T6_T7_T9_mT8_P12ihipStream_tbDpT10_ENKUlT_T0_E_clISt17integral_constantIbLb0EES1B_EEDaS16_S17_EUlS16_E_NS1_11comp_targetILNS1_3genE5ELNS1_11target_archE942ELNS1_3gpuE9ELNS1_3repE0EEENS1_30default_config_static_selectorELNS0_4arch9wavefront6targetE0EEEvT1_
	.globl	_ZN7rocprim17ROCPRIM_400000_NS6detail17trampoline_kernelINS0_14default_configENS1_25partition_config_selectorILNS1_17partition_subalgoE6EyNS0_10empty_typeEbEEZZNS1_14partition_implILS5_6ELb0ES3_mN6thrust23THRUST_200600_302600_NS6detail15normal_iteratorINSA_10device_ptrIyEEEEPS6_SG_NS0_5tupleIJNSA_16discard_iteratorINSA_11use_defaultEEES6_EEENSH_IJSG_SG_EEES6_PlJNSB_9not_fun_tINSB_14equal_to_valueIyEEEEEEE10hipError_tPvRmT3_T4_T5_T6_T7_T9_mT8_P12ihipStream_tbDpT10_ENKUlT_T0_E_clISt17integral_constantIbLb0EES1B_EEDaS16_S17_EUlS16_E_NS1_11comp_targetILNS1_3genE5ELNS1_11target_archE942ELNS1_3gpuE9ELNS1_3repE0EEENS1_30default_config_static_selectorELNS0_4arch9wavefront6targetE0EEEvT1_
	.p2align	8
	.type	_ZN7rocprim17ROCPRIM_400000_NS6detail17trampoline_kernelINS0_14default_configENS1_25partition_config_selectorILNS1_17partition_subalgoE6EyNS0_10empty_typeEbEEZZNS1_14partition_implILS5_6ELb0ES3_mN6thrust23THRUST_200600_302600_NS6detail15normal_iteratorINSA_10device_ptrIyEEEEPS6_SG_NS0_5tupleIJNSA_16discard_iteratorINSA_11use_defaultEEES6_EEENSH_IJSG_SG_EEES6_PlJNSB_9not_fun_tINSB_14equal_to_valueIyEEEEEEE10hipError_tPvRmT3_T4_T5_T6_T7_T9_mT8_P12ihipStream_tbDpT10_ENKUlT_T0_E_clISt17integral_constantIbLb0EES1B_EEDaS16_S17_EUlS16_E_NS1_11comp_targetILNS1_3genE5ELNS1_11target_archE942ELNS1_3gpuE9ELNS1_3repE0EEENS1_30default_config_static_selectorELNS0_4arch9wavefront6targetE0EEEvT1_,@function
_ZN7rocprim17ROCPRIM_400000_NS6detail17trampoline_kernelINS0_14default_configENS1_25partition_config_selectorILNS1_17partition_subalgoE6EyNS0_10empty_typeEbEEZZNS1_14partition_implILS5_6ELb0ES3_mN6thrust23THRUST_200600_302600_NS6detail15normal_iteratorINSA_10device_ptrIyEEEEPS6_SG_NS0_5tupleIJNSA_16discard_iteratorINSA_11use_defaultEEES6_EEENSH_IJSG_SG_EEES6_PlJNSB_9not_fun_tINSB_14equal_to_valueIyEEEEEEE10hipError_tPvRmT3_T4_T5_T6_T7_T9_mT8_P12ihipStream_tbDpT10_ENKUlT_T0_E_clISt17integral_constantIbLb0EES1B_EEDaS16_S17_EUlS16_E_NS1_11comp_targetILNS1_3genE5ELNS1_11target_archE942ELNS1_3gpuE9ELNS1_3repE0EEENS1_30default_config_static_selectorELNS0_4arch9wavefront6targetE0EEEvT1_: ; @_ZN7rocprim17ROCPRIM_400000_NS6detail17trampoline_kernelINS0_14default_configENS1_25partition_config_selectorILNS1_17partition_subalgoE6EyNS0_10empty_typeEbEEZZNS1_14partition_implILS5_6ELb0ES3_mN6thrust23THRUST_200600_302600_NS6detail15normal_iteratorINSA_10device_ptrIyEEEEPS6_SG_NS0_5tupleIJNSA_16discard_iteratorINSA_11use_defaultEEES6_EEENSH_IJSG_SG_EEES6_PlJNSB_9not_fun_tINSB_14equal_to_valueIyEEEEEEE10hipError_tPvRmT3_T4_T5_T6_T7_T9_mT8_P12ihipStream_tbDpT10_ENKUlT_T0_E_clISt17integral_constantIbLb0EES1B_EEDaS16_S17_EUlS16_E_NS1_11comp_targetILNS1_3genE5ELNS1_11target_archE942ELNS1_3gpuE9ELNS1_3repE0EEENS1_30default_config_static_selectorELNS0_4arch9wavefront6targetE0EEEvT1_
; %bb.0:
	.section	.rodata,"a",@progbits
	.p2align	6, 0x0
	.amdhsa_kernel _ZN7rocprim17ROCPRIM_400000_NS6detail17trampoline_kernelINS0_14default_configENS1_25partition_config_selectorILNS1_17partition_subalgoE6EyNS0_10empty_typeEbEEZZNS1_14partition_implILS5_6ELb0ES3_mN6thrust23THRUST_200600_302600_NS6detail15normal_iteratorINSA_10device_ptrIyEEEEPS6_SG_NS0_5tupleIJNSA_16discard_iteratorINSA_11use_defaultEEES6_EEENSH_IJSG_SG_EEES6_PlJNSB_9not_fun_tINSB_14equal_to_valueIyEEEEEEE10hipError_tPvRmT3_T4_T5_T6_T7_T9_mT8_P12ihipStream_tbDpT10_ENKUlT_T0_E_clISt17integral_constantIbLb0EES1B_EEDaS16_S17_EUlS16_E_NS1_11comp_targetILNS1_3genE5ELNS1_11target_archE942ELNS1_3gpuE9ELNS1_3repE0EEENS1_30default_config_static_selectorELNS0_4arch9wavefront6targetE0EEEvT1_
		.amdhsa_group_segment_fixed_size 0
		.amdhsa_private_segment_fixed_size 0
		.amdhsa_kernarg_size 128
		.amdhsa_user_sgpr_count 2
		.amdhsa_user_sgpr_dispatch_ptr 0
		.amdhsa_user_sgpr_queue_ptr 0
		.amdhsa_user_sgpr_kernarg_segment_ptr 1
		.amdhsa_user_sgpr_dispatch_id 0
		.amdhsa_user_sgpr_private_segment_size 0
		.amdhsa_wavefront_size32 1
		.amdhsa_uses_dynamic_stack 0
		.amdhsa_enable_private_segment 0
		.amdhsa_system_sgpr_workgroup_id_x 1
		.amdhsa_system_sgpr_workgroup_id_y 0
		.amdhsa_system_sgpr_workgroup_id_z 0
		.amdhsa_system_sgpr_workgroup_info 0
		.amdhsa_system_vgpr_workitem_id 0
		.amdhsa_next_free_vgpr 1
		.amdhsa_next_free_sgpr 1
		.amdhsa_reserve_vcc 0
		.amdhsa_float_round_mode_32 0
		.amdhsa_float_round_mode_16_64 0
		.amdhsa_float_denorm_mode_32 3
		.amdhsa_float_denorm_mode_16_64 3
		.amdhsa_fp16_overflow 0
		.amdhsa_workgroup_processor_mode 1
		.amdhsa_memory_ordered 1
		.amdhsa_forward_progress 1
		.amdhsa_inst_pref_size 0
		.amdhsa_round_robin_scheduling 0
		.amdhsa_exception_fp_ieee_invalid_op 0
		.amdhsa_exception_fp_denorm_src 0
		.amdhsa_exception_fp_ieee_div_zero 0
		.amdhsa_exception_fp_ieee_overflow 0
		.amdhsa_exception_fp_ieee_underflow 0
		.amdhsa_exception_fp_ieee_inexact 0
		.amdhsa_exception_int_div_zero 0
	.end_amdhsa_kernel
	.section	.text._ZN7rocprim17ROCPRIM_400000_NS6detail17trampoline_kernelINS0_14default_configENS1_25partition_config_selectorILNS1_17partition_subalgoE6EyNS0_10empty_typeEbEEZZNS1_14partition_implILS5_6ELb0ES3_mN6thrust23THRUST_200600_302600_NS6detail15normal_iteratorINSA_10device_ptrIyEEEEPS6_SG_NS0_5tupleIJNSA_16discard_iteratorINSA_11use_defaultEEES6_EEENSH_IJSG_SG_EEES6_PlJNSB_9not_fun_tINSB_14equal_to_valueIyEEEEEEE10hipError_tPvRmT3_T4_T5_T6_T7_T9_mT8_P12ihipStream_tbDpT10_ENKUlT_T0_E_clISt17integral_constantIbLb0EES1B_EEDaS16_S17_EUlS16_E_NS1_11comp_targetILNS1_3genE5ELNS1_11target_archE942ELNS1_3gpuE9ELNS1_3repE0EEENS1_30default_config_static_selectorELNS0_4arch9wavefront6targetE0EEEvT1_,"axG",@progbits,_ZN7rocprim17ROCPRIM_400000_NS6detail17trampoline_kernelINS0_14default_configENS1_25partition_config_selectorILNS1_17partition_subalgoE6EyNS0_10empty_typeEbEEZZNS1_14partition_implILS5_6ELb0ES3_mN6thrust23THRUST_200600_302600_NS6detail15normal_iteratorINSA_10device_ptrIyEEEEPS6_SG_NS0_5tupleIJNSA_16discard_iteratorINSA_11use_defaultEEES6_EEENSH_IJSG_SG_EEES6_PlJNSB_9not_fun_tINSB_14equal_to_valueIyEEEEEEE10hipError_tPvRmT3_T4_T5_T6_T7_T9_mT8_P12ihipStream_tbDpT10_ENKUlT_T0_E_clISt17integral_constantIbLb0EES1B_EEDaS16_S17_EUlS16_E_NS1_11comp_targetILNS1_3genE5ELNS1_11target_archE942ELNS1_3gpuE9ELNS1_3repE0EEENS1_30default_config_static_selectorELNS0_4arch9wavefront6targetE0EEEvT1_,comdat
.Lfunc_end1630:
	.size	_ZN7rocprim17ROCPRIM_400000_NS6detail17trampoline_kernelINS0_14default_configENS1_25partition_config_selectorILNS1_17partition_subalgoE6EyNS0_10empty_typeEbEEZZNS1_14partition_implILS5_6ELb0ES3_mN6thrust23THRUST_200600_302600_NS6detail15normal_iteratorINSA_10device_ptrIyEEEEPS6_SG_NS0_5tupleIJNSA_16discard_iteratorINSA_11use_defaultEEES6_EEENSH_IJSG_SG_EEES6_PlJNSB_9not_fun_tINSB_14equal_to_valueIyEEEEEEE10hipError_tPvRmT3_T4_T5_T6_T7_T9_mT8_P12ihipStream_tbDpT10_ENKUlT_T0_E_clISt17integral_constantIbLb0EES1B_EEDaS16_S17_EUlS16_E_NS1_11comp_targetILNS1_3genE5ELNS1_11target_archE942ELNS1_3gpuE9ELNS1_3repE0EEENS1_30default_config_static_selectorELNS0_4arch9wavefront6targetE0EEEvT1_, .Lfunc_end1630-_ZN7rocprim17ROCPRIM_400000_NS6detail17trampoline_kernelINS0_14default_configENS1_25partition_config_selectorILNS1_17partition_subalgoE6EyNS0_10empty_typeEbEEZZNS1_14partition_implILS5_6ELb0ES3_mN6thrust23THRUST_200600_302600_NS6detail15normal_iteratorINSA_10device_ptrIyEEEEPS6_SG_NS0_5tupleIJNSA_16discard_iteratorINSA_11use_defaultEEES6_EEENSH_IJSG_SG_EEES6_PlJNSB_9not_fun_tINSB_14equal_to_valueIyEEEEEEE10hipError_tPvRmT3_T4_T5_T6_T7_T9_mT8_P12ihipStream_tbDpT10_ENKUlT_T0_E_clISt17integral_constantIbLb0EES1B_EEDaS16_S17_EUlS16_E_NS1_11comp_targetILNS1_3genE5ELNS1_11target_archE942ELNS1_3gpuE9ELNS1_3repE0EEENS1_30default_config_static_selectorELNS0_4arch9wavefront6targetE0EEEvT1_
                                        ; -- End function
	.set _ZN7rocprim17ROCPRIM_400000_NS6detail17trampoline_kernelINS0_14default_configENS1_25partition_config_selectorILNS1_17partition_subalgoE6EyNS0_10empty_typeEbEEZZNS1_14partition_implILS5_6ELb0ES3_mN6thrust23THRUST_200600_302600_NS6detail15normal_iteratorINSA_10device_ptrIyEEEEPS6_SG_NS0_5tupleIJNSA_16discard_iteratorINSA_11use_defaultEEES6_EEENSH_IJSG_SG_EEES6_PlJNSB_9not_fun_tINSB_14equal_to_valueIyEEEEEEE10hipError_tPvRmT3_T4_T5_T6_T7_T9_mT8_P12ihipStream_tbDpT10_ENKUlT_T0_E_clISt17integral_constantIbLb0EES1B_EEDaS16_S17_EUlS16_E_NS1_11comp_targetILNS1_3genE5ELNS1_11target_archE942ELNS1_3gpuE9ELNS1_3repE0EEENS1_30default_config_static_selectorELNS0_4arch9wavefront6targetE0EEEvT1_.num_vgpr, 0
	.set _ZN7rocprim17ROCPRIM_400000_NS6detail17trampoline_kernelINS0_14default_configENS1_25partition_config_selectorILNS1_17partition_subalgoE6EyNS0_10empty_typeEbEEZZNS1_14partition_implILS5_6ELb0ES3_mN6thrust23THRUST_200600_302600_NS6detail15normal_iteratorINSA_10device_ptrIyEEEEPS6_SG_NS0_5tupleIJNSA_16discard_iteratorINSA_11use_defaultEEES6_EEENSH_IJSG_SG_EEES6_PlJNSB_9not_fun_tINSB_14equal_to_valueIyEEEEEEE10hipError_tPvRmT3_T4_T5_T6_T7_T9_mT8_P12ihipStream_tbDpT10_ENKUlT_T0_E_clISt17integral_constantIbLb0EES1B_EEDaS16_S17_EUlS16_E_NS1_11comp_targetILNS1_3genE5ELNS1_11target_archE942ELNS1_3gpuE9ELNS1_3repE0EEENS1_30default_config_static_selectorELNS0_4arch9wavefront6targetE0EEEvT1_.num_agpr, 0
	.set _ZN7rocprim17ROCPRIM_400000_NS6detail17trampoline_kernelINS0_14default_configENS1_25partition_config_selectorILNS1_17partition_subalgoE6EyNS0_10empty_typeEbEEZZNS1_14partition_implILS5_6ELb0ES3_mN6thrust23THRUST_200600_302600_NS6detail15normal_iteratorINSA_10device_ptrIyEEEEPS6_SG_NS0_5tupleIJNSA_16discard_iteratorINSA_11use_defaultEEES6_EEENSH_IJSG_SG_EEES6_PlJNSB_9not_fun_tINSB_14equal_to_valueIyEEEEEEE10hipError_tPvRmT3_T4_T5_T6_T7_T9_mT8_P12ihipStream_tbDpT10_ENKUlT_T0_E_clISt17integral_constantIbLb0EES1B_EEDaS16_S17_EUlS16_E_NS1_11comp_targetILNS1_3genE5ELNS1_11target_archE942ELNS1_3gpuE9ELNS1_3repE0EEENS1_30default_config_static_selectorELNS0_4arch9wavefront6targetE0EEEvT1_.numbered_sgpr, 0
	.set _ZN7rocprim17ROCPRIM_400000_NS6detail17trampoline_kernelINS0_14default_configENS1_25partition_config_selectorILNS1_17partition_subalgoE6EyNS0_10empty_typeEbEEZZNS1_14partition_implILS5_6ELb0ES3_mN6thrust23THRUST_200600_302600_NS6detail15normal_iteratorINSA_10device_ptrIyEEEEPS6_SG_NS0_5tupleIJNSA_16discard_iteratorINSA_11use_defaultEEES6_EEENSH_IJSG_SG_EEES6_PlJNSB_9not_fun_tINSB_14equal_to_valueIyEEEEEEE10hipError_tPvRmT3_T4_T5_T6_T7_T9_mT8_P12ihipStream_tbDpT10_ENKUlT_T0_E_clISt17integral_constantIbLb0EES1B_EEDaS16_S17_EUlS16_E_NS1_11comp_targetILNS1_3genE5ELNS1_11target_archE942ELNS1_3gpuE9ELNS1_3repE0EEENS1_30default_config_static_selectorELNS0_4arch9wavefront6targetE0EEEvT1_.num_named_barrier, 0
	.set _ZN7rocprim17ROCPRIM_400000_NS6detail17trampoline_kernelINS0_14default_configENS1_25partition_config_selectorILNS1_17partition_subalgoE6EyNS0_10empty_typeEbEEZZNS1_14partition_implILS5_6ELb0ES3_mN6thrust23THRUST_200600_302600_NS6detail15normal_iteratorINSA_10device_ptrIyEEEEPS6_SG_NS0_5tupleIJNSA_16discard_iteratorINSA_11use_defaultEEES6_EEENSH_IJSG_SG_EEES6_PlJNSB_9not_fun_tINSB_14equal_to_valueIyEEEEEEE10hipError_tPvRmT3_T4_T5_T6_T7_T9_mT8_P12ihipStream_tbDpT10_ENKUlT_T0_E_clISt17integral_constantIbLb0EES1B_EEDaS16_S17_EUlS16_E_NS1_11comp_targetILNS1_3genE5ELNS1_11target_archE942ELNS1_3gpuE9ELNS1_3repE0EEENS1_30default_config_static_selectorELNS0_4arch9wavefront6targetE0EEEvT1_.private_seg_size, 0
	.set _ZN7rocprim17ROCPRIM_400000_NS6detail17trampoline_kernelINS0_14default_configENS1_25partition_config_selectorILNS1_17partition_subalgoE6EyNS0_10empty_typeEbEEZZNS1_14partition_implILS5_6ELb0ES3_mN6thrust23THRUST_200600_302600_NS6detail15normal_iteratorINSA_10device_ptrIyEEEEPS6_SG_NS0_5tupleIJNSA_16discard_iteratorINSA_11use_defaultEEES6_EEENSH_IJSG_SG_EEES6_PlJNSB_9not_fun_tINSB_14equal_to_valueIyEEEEEEE10hipError_tPvRmT3_T4_T5_T6_T7_T9_mT8_P12ihipStream_tbDpT10_ENKUlT_T0_E_clISt17integral_constantIbLb0EES1B_EEDaS16_S17_EUlS16_E_NS1_11comp_targetILNS1_3genE5ELNS1_11target_archE942ELNS1_3gpuE9ELNS1_3repE0EEENS1_30default_config_static_selectorELNS0_4arch9wavefront6targetE0EEEvT1_.uses_vcc, 0
	.set _ZN7rocprim17ROCPRIM_400000_NS6detail17trampoline_kernelINS0_14default_configENS1_25partition_config_selectorILNS1_17partition_subalgoE6EyNS0_10empty_typeEbEEZZNS1_14partition_implILS5_6ELb0ES3_mN6thrust23THRUST_200600_302600_NS6detail15normal_iteratorINSA_10device_ptrIyEEEEPS6_SG_NS0_5tupleIJNSA_16discard_iteratorINSA_11use_defaultEEES6_EEENSH_IJSG_SG_EEES6_PlJNSB_9not_fun_tINSB_14equal_to_valueIyEEEEEEE10hipError_tPvRmT3_T4_T5_T6_T7_T9_mT8_P12ihipStream_tbDpT10_ENKUlT_T0_E_clISt17integral_constantIbLb0EES1B_EEDaS16_S17_EUlS16_E_NS1_11comp_targetILNS1_3genE5ELNS1_11target_archE942ELNS1_3gpuE9ELNS1_3repE0EEENS1_30default_config_static_selectorELNS0_4arch9wavefront6targetE0EEEvT1_.uses_flat_scratch, 0
	.set _ZN7rocprim17ROCPRIM_400000_NS6detail17trampoline_kernelINS0_14default_configENS1_25partition_config_selectorILNS1_17partition_subalgoE6EyNS0_10empty_typeEbEEZZNS1_14partition_implILS5_6ELb0ES3_mN6thrust23THRUST_200600_302600_NS6detail15normal_iteratorINSA_10device_ptrIyEEEEPS6_SG_NS0_5tupleIJNSA_16discard_iteratorINSA_11use_defaultEEES6_EEENSH_IJSG_SG_EEES6_PlJNSB_9not_fun_tINSB_14equal_to_valueIyEEEEEEE10hipError_tPvRmT3_T4_T5_T6_T7_T9_mT8_P12ihipStream_tbDpT10_ENKUlT_T0_E_clISt17integral_constantIbLb0EES1B_EEDaS16_S17_EUlS16_E_NS1_11comp_targetILNS1_3genE5ELNS1_11target_archE942ELNS1_3gpuE9ELNS1_3repE0EEENS1_30default_config_static_selectorELNS0_4arch9wavefront6targetE0EEEvT1_.has_dyn_sized_stack, 0
	.set _ZN7rocprim17ROCPRIM_400000_NS6detail17trampoline_kernelINS0_14default_configENS1_25partition_config_selectorILNS1_17partition_subalgoE6EyNS0_10empty_typeEbEEZZNS1_14partition_implILS5_6ELb0ES3_mN6thrust23THRUST_200600_302600_NS6detail15normal_iteratorINSA_10device_ptrIyEEEEPS6_SG_NS0_5tupleIJNSA_16discard_iteratorINSA_11use_defaultEEES6_EEENSH_IJSG_SG_EEES6_PlJNSB_9not_fun_tINSB_14equal_to_valueIyEEEEEEE10hipError_tPvRmT3_T4_T5_T6_T7_T9_mT8_P12ihipStream_tbDpT10_ENKUlT_T0_E_clISt17integral_constantIbLb0EES1B_EEDaS16_S17_EUlS16_E_NS1_11comp_targetILNS1_3genE5ELNS1_11target_archE942ELNS1_3gpuE9ELNS1_3repE0EEENS1_30default_config_static_selectorELNS0_4arch9wavefront6targetE0EEEvT1_.has_recursion, 0
	.set _ZN7rocprim17ROCPRIM_400000_NS6detail17trampoline_kernelINS0_14default_configENS1_25partition_config_selectorILNS1_17partition_subalgoE6EyNS0_10empty_typeEbEEZZNS1_14partition_implILS5_6ELb0ES3_mN6thrust23THRUST_200600_302600_NS6detail15normal_iteratorINSA_10device_ptrIyEEEEPS6_SG_NS0_5tupleIJNSA_16discard_iteratorINSA_11use_defaultEEES6_EEENSH_IJSG_SG_EEES6_PlJNSB_9not_fun_tINSB_14equal_to_valueIyEEEEEEE10hipError_tPvRmT3_T4_T5_T6_T7_T9_mT8_P12ihipStream_tbDpT10_ENKUlT_T0_E_clISt17integral_constantIbLb0EES1B_EEDaS16_S17_EUlS16_E_NS1_11comp_targetILNS1_3genE5ELNS1_11target_archE942ELNS1_3gpuE9ELNS1_3repE0EEENS1_30default_config_static_selectorELNS0_4arch9wavefront6targetE0EEEvT1_.has_indirect_call, 0
	.section	.AMDGPU.csdata,"",@progbits
; Kernel info:
; codeLenInByte = 0
; TotalNumSgprs: 0
; NumVgprs: 0
; ScratchSize: 0
; MemoryBound: 0
; FloatMode: 240
; IeeeMode: 1
; LDSByteSize: 0 bytes/workgroup (compile time only)
; SGPRBlocks: 0
; VGPRBlocks: 0
; NumSGPRsForWavesPerEU: 1
; NumVGPRsForWavesPerEU: 1
; Occupancy: 16
; WaveLimiterHint : 0
; COMPUTE_PGM_RSRC2:SCRATCH_EN: 0
; COMPUTE_PGM_RSRC2:USER_SGPR: 2
; COMPUTE_PGM_RSRC2:TRAP_HANDLER: 0
; COMPUTE_PGM_RSRC2:TGID_X_EN: 1
; COMPUTE_PGM_RSRC2:TGID_Y_EN: 0
; COMPUTE_PGM_RSRC2:TGID_Z_EN: 0
; COMPUTE_PGM_RSRC2:TIDIG_COMP_CNT: 0
	.section	.text._ZN7rocprim17ROCPRIM_400000_NS6detail17trampoline_kernelINS0_14default_configENS1_25partition_config_selectorILNS1_17partition_subalgoE6EyNS0_10empty_typeEbEEZZNS1_14partition_implILS5_6ELb0ES3_mN6thrust23THRUST_200600_302600_NS6detail15normal_iteratorINSA_10device_ptrIyEEEEPS6_SG_NS0_5tupleIJNSA_16discard_iteratorINSA_11use_defaultEEES6_EEENSH_IJSG_SG_EEES6_PlJNSB_9not_fun_tINSB_14equal_to_valueIyEEEEEEE10hipError_tPvRmT3_T4_T5_T6_T7_T9_mT8_P12ihipStream_tbDpT10_ENKUlT_T0_E_clISt17integral_constantIbLb0EES1B_EEDaS16_S17_EUlS16_E_NS1_11comp_targetILNS1_3genE4ELNS1_11target_archE910ELNS1_3gpuE8ELNS1_3repE0EEENS1_30default_config_static_selectorELNS0_4arch9wavefront6targetE0EEEvT1_,"axG",@progbits,_ZN7rocprim17ROCPRIM_400000_NS6detail17trampoline_kernelINS0_14default_configENS1_25partition_config_selectorILNS1_17partition_subalgoE6EyNS0_10empty_typeEbEEZZNS1_14partition_implILS5_6ELb0ES3_mN6thrust23THRUST_200600_302600_NS6detail15normal_iteratorINSA_10device_ptrIyEEEEPS6_SG_NS0_5tupleIJNSA_16discard_iteratorINSA_11use_defaultEEES6_EEENSH_IJSG_SG_EEES6_PlJNSB_9not_fun_tINSB_14equal_to_valueIyEEEEEEE10hipError_tPvRmT3_T4_T5_T6_T7_T9_mT8_P12ihipStream_tbDpT10_ENKUlT_T0_E_clISt17integral_constantIbLb0EES1B_EEDaS16_S17_EUlS16_E_NS1_11comp_targetILNS1_3genE4ELNS1_11target_archE910ELNS1_3gpuE8ELNS1_3repE0EEENS1_30default_config_static_selectorELNS0_4arch9wavefront6targetE0EEEvT1_,comdat
	.protected	_ZN7rocprim17ROCPRIM_400000_NS6detail17trampoline_kernelINS0_14default_configENS1_25partition_config_selectorILNS1_17partition_subalgoE6EyNS0_10empty_typeEbEEZZNS1_14partition_implILS5_6ELb0ES3_mN6thrust23THRUST_200600_302600_NS6detail15normal_iteratorINSA_10device_ptrIyEEEEPS6_SG_NS0_5tupleIJNSA_16discard_iteratorINSA_11use_defaultEEES6_EEENSH_IJSG_SG_EEES6_PlJNSB_9not_fun_tINSB_14equal_to_valueIyEEEEEEE10hipError_tPvRmT3_T4_T5_T6_T7_T9_mT8_P12ihipStream_tbDpT10_ENKUlT_T0_E_clISt17integral_constantIbLb0EES1B_EEDaS16_S17_EUlS16_E_NS1_11comp_targetILNS1_3genE4ELNS1_11target_archE910ELNS1_3gpuE8ELNS1_3repE0EEENS1_30default_config_static_selectorELNS0_4arch9wavefront6targetE0EEEvT1_ ; -- Begin function _ZN7rocprim17ROCPRIM_400000_NS6detail17trampoline_kernelINS0_14default_configENS1_25partition_config_selectorILNS1_17partition_subalgoE6EyNS0_10empty_typeEbEEZZNS1_14partition_implILS5_6ELb0ES3_mN6thrust23THRUST_200600_302600_NS6detail15normal_iteratorINSA_10device_ptrIyEEEEPS6_SG_NS0_5tupleIJNSA_16discard_iteratorINSA_11use_defaultEEES6_EEENSH_IJSG_SG_EEES6_PlJNSB_9not_fun_tINSB_14equal_to_valueIyEEEEEEE10hipError_tPvRmT3_T4_T5_T6_T7_T9_mT8_P12ihipStream_tbDpT10_ENKUlT_T0_E_clISt17integral_constantIbLb0EES1B_EEDaS16_S17_EUlS16_E_NS1_11comp_targetILNS1_3genE4ELNS1_11target_archE910ELNS1_3gpuE8ELNS1_3repE0EEENS1_30default_config_static_selectorELNS0_4arch9wavefront6targetE0EEEvT1_
	.globl	_ZN7rocprim17ROCPRIM_400000_NS6detail17trampoline_kernelINS0_14default_configENS1_25partition_config_selectorILNS1_17partition_subalgoE6EyNS0_10empty_typeEbEEZZNS1_14partition_implILS5_6ELb0ES3_mN6thrust23THRUST_200600_302600_NS6detail15normal_iteratorINSA_10device_ptrIyEEEEPS6_SG_NS0_5tupleIJNSA_16discard_iteratorINSA_11use_defaultEEES6_EEENSH_IJSG_SG_EEES6_PlJNSB_9not_fun_tINSB_14equal_to_valueIyEEEEEEE10hipError_tPvRmT3_T4_T5_T6_T7_T9_mT8_P12ihipStream_tbDpT10_ENKUlT_T0_E_clISt17integral_constantIbLb0EES1B_EEDaS16_S17_EUlS16_E_NS1_11comp_targetILNS1_3genE4ELNS1_11target_archE910ELNS1_3gpuE8ELNS1_3repE0EEENS1_30default_config_static_selectorELNS0_4arch9wavefront6targetE0EEEvT1_
	.p2align	8
	.type	_ZN7rocprim17ROCPRIM_400000_NS6detail17trampoline_kernelINS0_14default_configENS1_25partition_config_selectorILNS1_17partition_subalgoE6EyNS0_10empty_typeEbEEZZNS1_14partition_implILS5_6ELb0ES3_mN6thrust23THRUST_200600_302600_NS6detail15normal_iteratorINSA_10device_ptrIyEEEEPS6_SG_NS0_5tupleIJNSA_16discard_iteratorINSA_11use_defaultEEES6_EEENSH_IJSG_SG_EEES6_PlJNSB_9not_fun_tINSB_14equal_to_valueIyEEEEEEE10hipError_tPvRmT3_T4_T5_T6_T7_T9_mT8_P12ihipStream_tbDpT10_ENKUlT_T0_E_clISt17integral_constantIbLb0EES1B_EEDaS16_S17_EUlS16_E_NS1_11comp_targetILNS1_3genE4ELNS1_11target_archE910ELNS1_3gpuE8ELNS1_3repE0EEENS1_30default_config_static_selectorELNS0_4arch9wavefront6targetE0EEEvT1_,@function
_ZN7rocprim17ROCPRIM_400000_NS6detail17trampoline_kernelINS0_14default_configENS1_25partition_config_selectorILNS1_17partition_subalgoE6EyNS0_10empty_typeEbEEZZNS1_14partition_implILS5_6ELb0ES3_mN6thrust23THRUST_200600_302600_NS6detail15normal_iteratorINSA_10device_ptrIyEEEEPS6_SG_NS0_5tupleIJNSA_16discard_iteratorINSA_11use_defaultEEES6_EEENSH_IJSG_SG_EEES6_PlJNSB_9not_fun_tINSB_14equal_to_valueIyEEEEEEE10hipError_tPvRmT3_T4_T5_T6_T7_T9_mT8_P12ihipStream_tbDpT10_ENKUlT_T0_E_clISt17integral_constantIbLb0EES1B_EEDaS16_S17_EUlS16_E_NS1_11comp_targetILNS1_3genE4ELNS1_11target_archE910ELNS1_3gpuE8ELNS1_3repE0EEENS1_30default_config_static_selectorELNS0_4arch9wavefront6targetE0EEEvT1_: ; @_ZN7rocprim17ROCPRIM_400000_NS6detail17trampoline_kernelINS0_14default_configENS1_25partition_config_selectorILNS1_17partition_subalgoE6EyNS0_10empty_typeEbEEZZNS1_14partition_implILS5_6ELb0ES3_mN6thrust23THRUST_200600_302600_NS6detail15normal_iteratorINSA_10device_ptrIyEEEEPS6_SG_NS0_5tupleIJNSA_16discard_iteratorINSA_11use_defaultEEES6_EEENSH_IJSG_SG_EEES6_PlJNSB_9not_fun_tINSB_14equal_to_valueIyEEEEEEE10hipError_tPvRmT3_T4_T5_T6_T7_T9_mT8_P12ihipStream_tbDpT10_ENKUlT_T0_E_clISt17integral_constantIbLb0EES1B_EEDaS16_S17_EUlS16_E_NS1_11comp_targetILNS1_3genE4ELNS1_11target_archE910ELNS1_3gpuE8ELNS1_3repE0EEENS1_30default_config_static_selectorELNS0_4arch9wavefront6targetE0EEEvT1_
; %bb.0:
	.section	.rodata,"a",@progbits
	.p2align	6, 0x0
	.amdhsa_kernel _ZN7rocprim17ROCPRIM_400000_NS6detail17trampoline_kernelINS0_14default_configENS1_25partition_config_selectorILNS1_17partition_subalgoE6EyNS0_10empty_typeEbEEZZNS1_14partition_implILS5_6ELb0ES3_mN6thrust23THRUST_200600_302600_NS6detail15normal_iteratorINSA_10device_ptrIyEEEEPS6_SG_NS0_5tupleIJNSA_16discard_iteratorINSA_11use_defaultEEES6_EEENSH_IJSG_SG_EEES6_PlJNSB_9not_fun_tINSB_14equal_to_valueIyEEEEEEE10hipError_tPvRmT3_T4_T5_T6_T7_T9_mT8_P12ihipStream_tbDpT10_ENKUlT_T0_E_clISt17integral_constantIbLb0EES1B_EEDaS16_S17_EUlS16_E_NS1_11comp_targetILNS1_3genE4ELNS1_11target_archE910ELNS1_3gpuE8ELNS1_3repE0EEENS1_30default_config_static_selectorELNS0_4arch9wavefront6targetE0EEEvT1_
		.amdhsa_group_segment_fixed_size 0
		.amdhsa_private_segment_fixed_size 0
		.amdhsa_kernarg_size 128
		.amdhsa_user_sgpr_count 2
		.amdhsa_user_sgpr_dispatch_ptr 0
		.amdhsa_user_sgpr_queue_ptr 0
		.amdhsa_user_sgpr_kernarg_segment_ptr 1
		.amdhsa_user_sgpr_dispatch_id 0
		.amdhsa_user_sgpr_private_segment_size 0
		.amdhsa_wavefront_size32 1
		.amdhsa_uses_dynamic_stack 0
		.amdhsa_enable_private_segment 0
		.amdhsa_system_sgpr_workgroup_id_x 1
		.amdhsa_system_sgpr_workgroup_id_y 0
		.amdhsa_system_sgpr_workgroup_id_z 0
		.amdhsa_system_sgpr_workgroup_info 0
		.amdhsa_system_vgpr_workitem_id 0
		.amdhsa_next_free_vgpr 1
		.amdhsa_next_free_sgpr 1
		.amdhsa_reserve_vcc 0
		.amdhsa_float_round_mode_32 0
		.amdhsa_float_round_mode_16_64 0
		.amdhsa_float_denorm_mode_32 3
		.amdhsa_float_denorm_mode_16_64 3
		.amdhsa_fp16_overflow 0
		.amdhsa_workgroup_processor_mode 1
		.amdhsa_memory_ordered 1
		.amdhsa_forward_progress 1
		.amdhsa_inst_pref_size 0
		.amdhsa_round_robin_scheduling 0
		.amdhsa_exception_fp_ieee_invalid_op 0
		.amdhsa_exception_fp_denorm_src 0
		.amdhsa_exception_fp_ieee_div_zero 0
		.amdhsa_exception_fp_ieee_overflow 0
		.amdhsa_exception_fp_ieee_underflow 0
		.amdhsa_exception_fp_ieee_inexact 0
		.amdhsa_exception_int_div_zero 0
	.end_amdhsa_kernel
	.section	.text._ZN7rocprim17ROCPRIM_400000_NS6detail17trampoline_kernelINS0_14default_configENS1_25partition_config_selectorILNS1_17partition_subalgoE6EyNS0_10empty_typeEbEEZZNS1_14partition_implILS5_6ELb0ES3_mN6thrust23THRUST_200600_302600_NS6detail15normal_iteratorINSA_10device_ptrIyEEEEPS6_SG_NS0_5tupleIJNSA_16discard_iteratorINSA_11use_defaultEEES6_EEENSH_IJSG_SG_EEES6_PlJNSB_9not_fun_tINSB_14equal_to_valueIyEEEEEEE10hipError_tPvRmT3_T4_T5_T6_T7_T9_mT8_P12ihipStream_tbDpT10_ENKUlT_T0_E_clISt17integral_constantIbLb0EES1B_EEDaS16_S17_EUlS16_E_NS1_11comp_targetILNS1_3genE4ELNS1_11target_archE910ELNS1_3gpuE8ELNS1_3repE0EEENS1_30default_config_static_selectorELNS0_4arch9wavefront6targetE0EEEvT1_,"axG",@progbits,_ZN7rocprim17ROCPRIM_400000_NS6detail17trampoline_kernelINS0_14default_configENS1_25partition_config_selectorILNS1_17partition_subalgoE6EyNS0_10empty_typeEbEEZZNS1_14partition_implILS5_6ELb0ES3_mN6thrust23THRUST_200600_302600_NS6detail15normal_iteratorINSA_10device_ptrIyEEEEPS6_SG_NS0_5tupleIJNSA_16discard_iteratorINSA_11use_defaultEEES6_EEENSH_IJSG_SG_EEES6_PlJNSB_9not_fun_tINSB_14equal_to_valueIyEEEEEEE10hipError_tPvRmT3_T4_T5_T6_T7_T9_mT8_P12ihipStream_tbDpT10_ENKUlT_T0_E_clISt17integral_constantIbLb0EES1B_EEDaS16_S17_EUlS16_E_NS1_11comp_targetILNS1_3genE4ELNS1_11target_archE910ELNS1_3gpuE8ELNS1_3repE0EEENS1_30default_config_static_selectorELNS0_4arch9wavefront6targetE0EEEvT1_,comdat
.Lfunc_end1631:
	.size	_ZN7rocprim17ROCPRIM_400000_NS6detail17trampoline_kernelINS0_14default_configENS1_25partition_config_selectorILNS1_17partition_subalgoE6EyNS0_10empty_typeEbEEZZNS1_14partition_implILS5_6ELb0ES3_mN6thrust23THRUST_200600_302600_NS6detail15normal_iteratorINSA_10device_ptrIyEEEEPS6_SG_NS0_5tupleIJNSA_16discard_iteratorINSA_11use_defaultEEES6_EEENSH_IJSG_SG_EEES6_PlJNSB_9not_fun_tINSB_14equal_to_valueIyEEEEEEE10hipError_tPvRmT3_T4_T5_T6_T7_T9_mT8_P12ihipStream_tbDpT10_ENKUlT_T0_E_clISt17integral_constantIbLb0EES1B_EEDaS16_S17_EUlS16_E_NS1_11comp_targetILNS1_3genE4ELNS1_11target_archE910ELNS1_3gpuE8ELNS1_3repE0EEENS1_30default_config_static_selectorELNS0_4arch9wavefront6targetE0EEEvT1_, .Lfunc_end1631-_ZN7rocprim17ROCPRIM_400000_NS6detail17trampoline_kernelINS0_14default_configENS1_25partition_config_selectorILNS1_17partition_subalgoE6EyNS0_10empty_typeEbEEZZNS1_14partition_implILS5_6ELb0ES3_mN6thrust23THRUST_200600_302600_NS6detail15normal_iteratorINSA_10device_ptrIyEEEEPS6_SG_NS0_5tupleIJNSA_16discard_iteratorINSA_11use_defaultEEES6_EEENSH_IJSG_SG_EEES6_PlJNSB_9not_fun_tINSB_14equal_to_valueIyEEEEEEE10hipError_tPvRmT3_T4_T5_T6_T7_T9_mT8_P12ihipStream_tbDpT10_ENKUlT_T0_E_clISt17integral_constantIbLb0EES1B_EEDaS16_S17_EUlS16_E_NS1_11comp_targetILNS1_3genE4ELNS1_11target_archE910ELNS1_3gpuE8ELNS1_3repE0EEENS1_30default_config_static_selectorELNS0_4arch9wavefront6targetE0EEEvT1_
                                        ; -- End function
	.set _ZN7rocprim17ROCPRIM_400000_NS6detail17trampoline_kernelINS0_14default_configENS1_25partition_config_selectorILNS1_17partition_subalgoE6EyNS0_10empty_typeEbEEZZNS1_14partition_implILS5_6ELb0ES3_mN6thrust23THRUST_200600_302600_NS6detail15normal_iteratorINSA_10device_ptrIyEEEEPS6_SG_NS0_5tupleIJNSA_16discard_iteratorINSA_11use_defaultEEES6_EEENSH_IJSG_SG_EEES6_PlJNSB_9not_fun_tINSB_14equal_to_valueIyEEEEEEE10hipError_tPvRmT3_T4_T5_T6_T7_T9_mT8_P12ihipStream_tbDpT10_ENKUlT_T0_E_clISt17integral_constantIbLb0EES1B_EEDaS16_S17_EUlS16_E_NS1_11comp_targetILNS1_3genE4ELNS1_11target_archE910ELNS1_3gpuE8ELNS1_3repE0EEENS1_30default_config_static_selectorELNS0_4arch9wavefront6targetE0EEEvT1_.num_vgpr, 0
	.set _ZN7rocprim17ROCPRIM_400000_NS6detail17trampoline_kernelINS0_14default_configENS1_25partition_config_selectorILNS1_17partition_subalgoE6EyNS0_10empty_typeEbEEZZNS1_14partition_implILS5_6ELb0ES3_mN6thrust23THRUST_200600_302600_NS6detail15normal_iteratorINSA_10device_ptrIyEEEEPS6_SG_NS0_5tupleIJNSA_16discard_iteratorINSA_11use_defaultEEES6_EEENSH_IJSG_SG_EEES6_PlJNSB_9not_fun_tINSB_14equal_to_valueIyEEEEEEE10hipError_tPvRmT3_T4_T5_T6_T7_T9_mT8_P12ihipStream_tbDpT10_ENKUlT_T0_E_clISt17integral_constantIbLb0EES1B_EEDaS16_S17_EUlS16_E_NS1_11comp_targetILNS1_3genE4ELNS1_11target_archE910ELNS1_3gpuE8ELNS1_3repE0EEENS1_30default_config_static_selectorELNS0_4arch9wavefront6targetE0EEEvT1_.num_agpr, 0
	.set _ZN7rocprim17ROCPRIM_400000_NS6detail17trampoline_kernelINS0_14default_configENS1_25partition_config_selectorILNS1_17partition_subalgoE6EyNS0_10empty_typeEbEEZZNS1_14partition_implILS5_6ELb0ES3_mN6thrust23THRUST_200600_302600_NS6detail15normal_iteratorINSA_10device_ptrIyEEEEPS6_SG_NS0_5tupleIJNSA_16discard_iteratorINSA_11use_defaultEEES6_EEENSH_IJSG_SG_EEES6_PlJNSB_9not_fun_tINSB_14equal_to_valueIyEEEEEEE10hipError_tPvRmT3_T4_T5_T6_T7_T9_mT8_P12ihipStream_tbDpT10_ENKUlT_T0_E_clISt17integral_constantIbLb0EES1B_EEDaS16_S17_EUlS16_E_NS1_11comp_targetILNS1_3genE4ELNS1_11target_archE910ELNS1_3gpuE8ELNS1_3repE0EEENS1_30default_config_static_selectorELNS0_4arch9wavefront6targetE0EEEvT1_.numbered_sgpr, 0
	.set _ZN7rocprim17ROCPRIM_400000_NS6detail17trampoline_kernelINS0_14default_configENS1_25partition_config_selectorILNS1_17partition_subalgoE6EyNS0_10empty_typeEbEEZZNS1_14partition_implILS5_6ELb0ES3_mN6thrust23THRUST_200600_302600_NS6detail15normal_iteratorINSA_10device_ptrIyEEEEPS6_SG_NS0_5tupleIJNSA_16discard_iteratorINSA_11use_defaultEEES6_EEENSH_IJSG_SG_EEES6_PlJNSB_9not_fun_tINSB_14equal_to_valueIyEEEEEEE10hipError_tPvRmT3_T4_T5_T6_T7_T9_mT8_P12ihipStream_tbDpT10_ENKUlT_T0_E_clISt17integral_constantIbLb0EES1B_EEDaS16_S17_EUlS16_E_NS1_11comp_targetILNS1_3genE4ELNS1_11target_archE910ELNS1_3gpuE8ELNS1_3repE0EEENS1_30default_config_static_selectorELNS0_4arch9wavefront6targetE0EEEvT1_.num_named_barrier, 0
	.set _ZN7rocprim17ROCPRIM_400000_NS6detail17trampoline_kernelINS0_14default_configENS1_25partition_config_selectorILNS1_17partition_subalgoE6EyNS0_10empty_typeEbEEZZNS1_14partition_implILS5_6ELb0ES3_mN6thrust23THRUST_200600_302600_NS6detail15normal_iteratorINSA_10device_ptrIyEEEEPS6_SG_NS0_5tupleIJNSA_16discard_iteratorINSA_11use_defaultEEES6_EEENSH_IJSG_SG_EEES6_PlJNSB_9not_fun_tINSB_14equal_to_valueIyEEEEEEE10hipError_tPvRmT3_T4_T5_T6_T7_T9_mT8_P12ihipStream_tbDpT10_ENKUlT_T0_E_clISt17integral_constantIbLb0EES1B_EEDaS16_S17_EUlS16_E_NS1_11comp_targetILNS1_3genE4ELNS1_11target_archE910ELNS1_3gpuE8ELNS1_3repE0EEENS1_30default_config_static_selectorELNS0_4arch9wavefront6targetE0EEEvT1_.private_seg_size, 0
	.set _ZN7rocprim17ROCPRIM_400000_NS6detail17trampoline_kernelINS0_14default_configENS1_25partition_config_selectorILNS1_17partition_subalgoE6EyNS0_10empty_typeEbEEZZNS1_14partition_implILS5_6ELb0ES3_mN6thrust23THRUST_200600_302600_NS6detail15normal_iteratorINSA_10device_ptrIyEEEEPS6_SG_NS0_5tupleIJNSA_16discard_iteratorINSA_11use_defaultEEES6_EEENSH_IJSG_SG_EEES6_PlJNSB_9not_fun_tINSB_14equal_to_valueIyEEEEEEE10hipError_tPvRmT3_T4_T5_T6_T7_T9_mT8_P12ihipStream_tbDpT10_ENKUlT_T0_E_clISt17integral_constantIbLb0EES1B_EEDaS16_S17_EUlS16_E_NS1_11comp_targetILNS1_3genE4ELNS1_11target_archE910ELNS1_3gpuE8ELNS1_3repE0EEENS1_30default_config_static_selectorELNS0_4arch9wavefront6targetE0EEEvT1_.uses_vcc, 0
	.set _ZN7rocprim17ROCPRIM_400000_NS6detail17trampoline_kernelINS0_14default_configENS1_25partition_config_selectorILNS1_17partition_subalgoE6EyNS0_10empty_typeEbEEZZNS1_14partition_implILS5_6ELb0ES3_mN6thrust23THRUST_200600_302600_NS6detail15normal_iteratorINSA_10device_ptrIyEEEEPS6_SG_NS0_5tupleIJNSA_16discard_iteratorINSA_11use_defaultEEES6_EEENSH_IJSG_SG_EEES6_PlJNSB_9not_fun_tINSB_14equal_to_valueIyEEEEEEE10hipError_tPvRmT3_T4_T5_T6_T7_T9_mT8_P12ihipStream_tbDpT10_ENKUlT_T0_E_clISt17integral_constantIbLb0EES1B_EEDaS16_S17_EUlS16_E_NS1_11comp_targetILNS1_3genE4ELNS1_11target_archE910ELNS1_3gpuE8ELNS1_3repE0EEENS1_30default_config_static_selectorELNS0_4arch9wavefront6targetE0EEEvT1_.uses_flat_scratch, 0
	.set _ZN7rocprim17ROCPRIM_400000_NS6detail17trampoline_kernelINS0_14default_configENS1_25partition_config_selectorILNS1_17partition_subalgoE6EyNS0_10empty_typeEbEEZZNS1_14partition_implILS5_6ELb0ES3_mN6thrust23THRUST_200600_302600_NS6detail15normal_iteratorINSA_10device_ptrIyEEEEPS6_SG_NS0_5tupleIJNSA_16discard_iteratorINSA_11use_defaultEEES6_EEENSH_IJSG_SG_EEES6_PlJNSB_9not_fun_tINSB_14equal_to_valueIyEEEEEEE10hipError_tPvRmT3_T4_T5_T6_T7_T9_mT8_P12ihipStream_tbDpT10_ENKUlT_T0_E_clISt17integral_constantIbLb0EES1B_EEDaS16_S17_EUlS16_E_NS1_11comp_targetILNS1_3genE4ELNS1_11target_archE910ELNS1_3gpuE8ELNS1_3repE0EEENS1_30default_config_static_selectorELNS0_4arch9wavefront6targetE0EEEvT1_.has_dyn_sized_stack, 0
	.set _ZN7rocprim17ROCPRIM_400000_NS6detail17trampoline_kernelINS0_14default_configENS1_25partition_config_selectorILNS1_17partition_subalgoE6EyNS0_10empty_typeEbEEZZNS1_14partition_implILS5_6ELb0ES3_mN6thrust23THRUST_200600_302600_NS6detail15normal_iteratorINSA_10device_ptrIyEEEEPS6_SG_NS0_5tupleIJNSA_16discard_iteratorINSA_11use_defaultEEES6_EEENSH_IJSG_SG_EEES6_PlJNSB_9not_fun_tINSB_14equal_to_valueIyEEEEEEE10hipError_tPvRmT3_T4_T5_T6_T7_T9_mT8_P12ihipStream_tbDpT10_ENKUlT_T0_E_clISt17integral_constantIbLb0EES1B_EEDaS16_S17_EUlS16_E_NS1_11comp_targetILNS1_3genE4ELNS1_11target_archE910ELNS1_3gpuE8ELNS1_3repE0EEENS1_30default_config_static_selectorELNS0_4arch9wavefront6targetE0EEEvT1_.has_recursion, 0
	.set _ZN7rocprim17ROCPRIM_400000_NS6detail17trampoline_kernelINS0_14default_configENS1_25partition_config_selectorILNS1_17partition_subalgoE6EyNS0_10empty_typeEbEEZZNS1_14partition_implILS5_6ELb0ES3_mN6thrust23THRUST_200600_302600_NS6detail15normal_iteratorINSA_10device_ptrIyEEEEPS6_SG_NS0_5tupleIJNSA_16discard_iteratorINSA_11use_defaultEEES6_EEENSH_IJSG_SG_EEES6_PlJNSB_9not_fun_tINSB_14equal_to_valueIyEEEEEEE10hipError_tPvRmT3_T4_T5_T6_T7_T9_mT8_P12ihipStream_tbDpT10_ENKUlT_T0_E_clISt17integral_constantIbLb0EES1B_EEDaS16_S17_EUlS16_E_NS1_11comp_targetILNS1_3genE4ELNS1_11target_archE910ELNS1_3gpuE8ELNS1_3repE0EEENS1_30default_config_static_selectorELNS0_4arch9wavefront6targetE0EEEvT1_.has_indirect_call, 0
	.section	.AMDGPU.csdata,"",@progbits
; Kernel info:
; codeLenInByte = 0
; TotalNumSgprs: 0
; NumVgprs: 0
; ScratchSize: 0
; MemoryBound: 0
; FloatMode: 240
; IeeeMode: 1
; LDSByteSize: 0 bytes/workgroup (compile time only)
; SGPRBlocks: 0
; VGPRBlocks: 0
; NumSGPRsForWavesPerEU: 1
; NumVGPRsForWavesPerEU: 1
; Occupancy: 16
; WaveLimiterHint : 0
; COMPUTE_PGM_RSRC2:SCRATCH_EN: 0
; COMPUTE_PGM_RSRC2:USER_SGPR: 2
; COMPUTE_PGM_RSRC2:TRAP_HANDLER: 0
; COMPUTE_PGM_RSRC2:TGID_X_EN: 1
; COMPUTE_PGM_RSRC2:TGID_Y_EN: 0
; COMPUTE_PGM_RSRC2:TGID_Z_EN: 0
; COMPUTE_PGM_RSRC2:TIDIG_COMP_CNT: 0
	.section	.text._ZN7rocprim17ROCPRIM_400000_NS6detail17trampoline_kernelINS0_14default_configENS1_25partition_config_selectorILNS1_17partition_subalgoE6EyNS0_10empty_typeEbEEZZNS1_14partition_implILS5_6ELb0ES3_mN6thrust23THRUST_200600_302600_NS6detail15normal_iteratorINSA_10device_ptrIyEEEEPS6_SG_NS0_5tupleIJNSA_16discard_iteratorINSA_11use_defaultEEES6_EEENSH_IJSG_SG_EEES6_PlJNSB_9not_fun_tINSB_14equal_to_valueIyEEEEEEE10hipError_tPvRmT3_T4_T5_T6_T7_T9_mT8_P12ihipStream_tbDpT10_ENKUlT_T0_E_clISt17integral_constantIbLb0EES1B_EEDaS16_S17_EUlS16_E_NS1_11comp_targetILNS1_3genE3ELNS1_11target_archE908ELNS1_3gpuE7ELNS1_3repE0EEENS1_30default_config_static_selectorELNS0_4arch9wavefront6targetE0EEEvT1_,"axG",@progbits,_ZN7rocprim17ROCPRIM_400000_NS6detail17trampoline_kernelINS0_14default_configENS1_25partition_config_selectorILNS1_17partition_subalgoE6EyNS0_10empty_typeEbEEZZNS1_14partition_implILS5_6ELb0ES3_mN6thrust23THRUST_200600_302600_NS6detail15normal_iteratorINSA_10device_ptrIyEEEEPS6_SG_NS0_5tupleIJNSA_16discard_iteratorINSA_11use_defaultEEES6_EEENSH_IJSG_SG_EEES6_PlJNSB_9not_fun_tINSB_14equal_to_valueIyEEEEEEE10hipError_tPvRmT3_T4_T5_T6_T7_T9_mT8_P12ihipStream_tbDpT10_ENKUlT_T0_E_clISt17integral_constantIbLb0EES1B_EEDaS16_S17_EUlS16_E_NS1_11comp_targetILNS1_3genE3ELNS1_11target_archE908ELNS1_3gpuE7ELNS1_3repE0EEENS1_30default_config_static_selectorELNS0_4arch9wavefront6targetE0EEEvT1_,comdat
	.protected	_ZN7rocprim17ROCPRIM_400000_NS6detail17trampoline_kernelINS0_14default_configENS1_25partition_config_selectorILNS1_17partition_subalgoE6EyNS0_10empty_typeEbEEZZNS1_14partition_implILS5_6ELb0ES3_mN6thrust23THRUST_200600_302600_NS6detail15normal_iteratorINSA_10device_ptrIyEEEEPS6_SG_NS0_5tupleIJNSA_16discard_iteratorINSA_11use_defaultEEES6_EEENSH_IJSG_SG_EEES6_PlJNSB_9not_fun_tINSB_14equal_to_valueIyEEEEEEE10hipError_tPvRmT3_T4_T5_T6_T7_T9_mT8_P12ihipStream_tbDpT10_ENKUlT_T0_E_clISt17integral_constantIbLb0EES1B_EEDaS16_S17_EUlS16_E_NS1_11comp_targetILNS1_3genE3ELNS1_11target_archE908ELNS1_3gpuE7ELNS1_3repE0EEENS1_30default_config_static_selectorELNS0_4arch9wavefront6targetE0EEEvT1_ ; -- Begin function _ZN7rocprim17ROCPRIM_400000_NS6detail17trampoline_kernelINS0_14default_configENS1_25partition_config_selectorILNS1_17partition_subalgoE6EyNS0_10empty_typeEbEEZZNS1_14partition_implILS5_6ELb0ES3_mN6thrust23THRUST_200600_302600_NS6detail15normal_iteratorINSA_10device_ptrIyEEEEPS6_SG_NS0_5tupleIJNSA_16discard_iteratorINSA_11use_defaultEEES6_EEENSH_IJSG_SG_EEES6_PlJNSB_9not_fun_tINSB_14equal_to_valueIyEEEEEEE10hipError_tPvRmT3_T4_T5_T6_T7_T9_mT8_P12ihipStream_tbDpT10_ENKUlT_T0_E_clISt17integral_constantIbLb0EES1B_EEDaS16_S17_EUlS16_E_NS1_11comp_targetILNS1_3genE3ELNS1_11target_archE908ELNS1_3gpuE7ELNS1_3repE0EEENS1_30default_config_static_selectorELNS0_4arch9wavefront6targetE0EEEvT1_
	.globl	_ZN7rocprim17ROCPRIM_400000_NS6detail17trampoline_kernelINS0_14default_configENS1_25partition_config_selectorILNS1_17partition_subalgoE6EyNS0_10empty_typeEbEEZZNS1_14partition_implILS5_6ELb0ES3_mN6thrust23THRUST_200600_302600_NS6detail15normal_iteratorINSA_10device_ptrIyEEEEPS6_SG_NS0_5tupleIJNSA_16discard_iteratorINSA_11use_defaultEEES6_EEENSH_IJSG_SG_EEES6_PlJNSB_9not_fun_tINSB_14equal_to_valueIyEEEEEEE10hipError_tPvRmT3_T4_T5_T6_T7_T9_mT8_P12ihipStream_tbDpT10_ENKUlT_T0_E_clISt17integral_constantIbLb0EES1B_EEDaS16_S17_EUlS16_E_NS1_11comp_targetILNS1_3genE3ELNS1_11target_archE908ELNS1_3gpuE7ELNS1_3repE0EEENS1_30default_config_static_selectorELNS0_4arch9wavefront6targetE0EEEvT1_
	.p2align	8
	.type	_ZN7rocprim17ROCPRIM_400000_NS6detail17trampoline_kernelINS0_14default_configENS1_25partition_config_selectorILNS1_17partition_subalgoE6EyNS0_10empty_typeEbEEZZNS1_14partition_implILS5_6ELb0ES3_mN6thrust23THRUST_200600_302600_NS6detail15normal_iteratorINSA_10device_ptrIyEEEEPS6_SG_NS0_5tupleIJNSA_16discard_iteratorINSA_11use_defaultEEES6_EEENSH_IJSG_SG_EEES6_PlJNSB_9not_fun_tINSB_14equal_to_valueIyEEEEEEE10hipError_tPvRmT3_T4_T5_T6_T7_T9_mT8_P12ihipStream_tbDpT10_ENKUlT_T0_E_clISt17integral_constantIbLb0EES1B_EEDaS16_S17_EUlS16_E_NS1_11comp_targetILNS1_3genE3ELNS1_11target_archE908ELNS1_3gpuE7ELNS1_3repE0EEENS1_30default_config_static_selectorELNS0_4arch9wavefront6targetE0EEEvT1_,@function
_ZN7rocprim17ROCPRIM_400000_NS6detail17trampoline_kernelINS0_14default_configENS1_25partition_config_selectorILNS1_17partition_subalgoE6EyNS0_10empty_typeEbEEZZNS1_14partition_implILS5_6ELb0ES3_mN6thrust23THRUST_200600_302600_NS6detail15normal_iteratorINSA_10device_ptrIyEEEEPS6_SG_NS0_5tupleIJNSA_16discard_iteratorINSA_11use_defaultEEES6_EEENSH_IJSG_SG_EEES6_PlJNSB_9not_fun_tINSB_14equal_to_valueIyEEEEEEE10hipError_tPvRmT3_T4_T5_T6_T7_T9_mT8_P12ihipStream_tbDpT10_ENKUlT_T0_E_clISt17integral_constantIbLb0EES1B_EEDaS16_S17_EUlS16_E_NS1_11comp_targetILNS1_3genE3ELNS1_11target_archE908ELNS1_3gpuE7ELNS1_3repE0EEENS1_30default_config_static_selectorELNS0_4arch9wavefront6targetE0EEEvT1_: ; @_ZN7rocprim17ROCPRIM_400000_NS6detail17trampoline_kernelINS0_14default_configENS1_25partition_config_selectorILNS1_17partition_subalgoE6EyNS0_10empty_typeEbEEZZNS1_14partition_implILS5_6ELb0ES3_mN6thrust23THRUST_200600_302600_NS6detail15normal_iteratorINSA_10device_ptrIyEEEEPS6_SG_NS0_5tupleIJNSA_16discard_iteratorINSA_11use_defaultEEES6_EEENSH_IJSG_SG_EEES6_PlJNSB_9not_fun_tINSB_14equal_to_valueIyEEEEEEE10hipError_tPvRmT3_T4_T5_T6_T7_T9_mT8_P12ihipStream_tbDpT10_ENKUlT_T0_E_clISt17integral_constantIbLb0EES1B_EEDaS16_S17_EUlS16_E_NS1_11comp_targetILNS1_3genE3ELNS1_11target_archE908ELNS1_3gpuE7ELNS1_3repE0EEENS1_30default_config_static_selectorELNS0_4arch9wavefront6targetE0EEEvT1_
; %bb.0:
	.section	.rodata,"a",@progbits
	.p2align	6, 0x0
	.amdhsa_kernel _ZN7rocprim17ROCPRIM_400000_NS6detail17trampoline_kernelINS0_14default_configENS1_25partition_config_selectorILNS1_17partition_subalgoE6EyNS0_10empty_typeEbEEZZNS1_14partition_implILS5_6ELb0ES3_mN6thrust23THRUST_200600_302600_NS6detail15normal_iteratorINSA_10device_ptrIyEEEEPS6_SG_NS0_5tupleIJNSA_16discard_iteratorINSA_11use_defaultEEES6_EEENSH_IJSG_SG_EEES6_PlJNSB_9not_fun_tINSB_14equal_to_valueIyEEEEEEE10hipError_tPvRmT3_T4_T5_T6_T7_T9_mT8_P12ihipStream_tbDpT10_ENKUlT_T0_E_clISt17integral_constantIbLb0EES1B_EEDaS16_S17_EUlS16_E_NS1_11comp_targetILNS1_3genE3ELNS1_11target_archE908ELNS1_3gpuE7ELNS1_3repE0EEENS1_30default_config_static_selectorELNS0_4arch9wavefront6targetE0EEEvT1_
		.amdhsa_group_segment_fixed_size 0
		.amdhsa_private_segment_fixed_size 0
		.amdhsa_kernarg_size 128
		.amdhsa_user_sgpr_count 2
		.amdhsa_user_sgpr_dispatch_ptr 0
		.amdhsa_user_sgpr_queue_ptr 0
		.amdhsa_user_sgpr_kernarg_segment_ptr 1
		.amdhsa_user_sgpr_dispatch_id 0
		.amdhsa_user_sgpr_private_segment_size 0
		.amdhsa_wavefront_size32 1
		.amdhsa_uses_dynamic_stack 0
		.amdhsa_enable_private_segment 0
		.amdhsa_system_sgpr_workgroup_id_x 1
		.amdhsa_system_sgpr_workgroup_id_y 0
		.amdhsa_system_sgpr_workgroup_id_z 0
		.amdhsa_system_sgpr_workgroup_info 0
		.amdhsa_system_vgpr_workitem_id 0
		.amdhsa_next_free_vgpr 1
		.amdhsa_next_free_sgpr 1
		.amdhsa_reserve_vcc 0
		.amdhsa_float_round_mode_32 0
		.amdhsa_float_round_mode_16_64 0
		.amdhsa_float_denorm_mode_32 3
		.amdhsa_float_denorm_mode_16_64 3
		.amdhsa_fp16_overflow 0
		.amdhsa_workgroup_processor_mode 1
		.amdhsa_memory_ordered 1
		.amdhsa_forward_progress 1
		.amdhsa_inst_pref_size 0
		.amdhsa_round_robin_scheduling 0
		.amdhsa_exception_fp_ieee_invalid_op 0
		.amdhsa_exception_fp_denorm_src 0
		.amdhsa_exception_fp_ieee_div_zero 0
		.amdhsa_exception_fp_ieee_overflow 0
		.amdhsa_exception_fp_ieee_underflow 0
		.amdhsa_exception_fp_ieee_inexact 0
		.amdhsa_exception_int_div_zero 0
	.end_amdhsa_kernel
	.section	.text._ZN7rocprim17ROCPRIM_400000_NS6detail17trampoline_kernelINS0_14default_configENS1_25partition_config_selectorILNS1_17partition_subalgoE6EyNS0_10empty_typeEbEEZZNS1_14partition_implILS5_6ELb0ES3_mN6thrust23THRUST_200600_302600_NS6detail15normal_iteratorINSA_10device_ptrIyEEEEPS6_SG_NS0_5tupleIJNSA_16discard_iteratorINSA_11use_defaultEEES6_EEENSH_IJSG_SG_EEES6_PlJNSB_9not_fun_tINSB_14equal_to_valueIyEEEEEEE10hipError_tPvRmT3_T4_T5_T6_T7_T9_mT8_P12ihipStream_tbDpT10_ENKUlT_T0_E_clISt17integral_constantIbLb0EES1B_EEDaS16_S17_EUlS16_E_NS1_11comp_targetILNS1_3genE3ELNS1_11target_archE908ELNS1_3gpuE7ELNS1_3repE0EEENS1_30default_config_static_selectorELNS0_4arch9wavefront6targetE0EEEvT1_,"axG",@progbits,_ZN7rocprim17ROCPRIM_400000_NS6detail17trampoline_kernelINS0_14default_configENS1_25partition_config_selectorILNS1_17partition_subalgoE6EyNS0_10empty_typeEbEEZZNS1_14partition_implILS5_6ELb0ES3_mN6thrust23THRUST_200600_302600_NS6detail15normal_iteratorINSA_10device_ptrIyEEEEPS6_SG_NS0_5tupleIJNSA_16discard_iteratorINSA_11use_defaultEEES6_EEENSH_IJSG_SG_EEES6_PlJNSB_9not_fun_tINSB_14equal_to_valueIyEEEEEEE10hipError_tPvRmT3_T4_T5_T6_T7_T9_mT8_P12ihipStream_tbDpT10_ENKUlT_T0_E_clISt17integral_constantIbLb0EES1B_EEDaS16_S17_EUlS16_E_NS1_11comp_targetILNS1_3genE3ELNS1_11target_archE908ELNS1_3gpuE7ELNS1_3repE0EEENS1_30default_config_static_selectorELNS0_4arch9wavefront6targetE0EEEvT1_,comdat
.Lfunc_end1632:
	.size	_ZN7rocprim17ROCPRIM_400000_NS6detail17trampoline_kernelINS0_14default_configENS1_25partition_config_selectorILNS1_17partition_subalgoE6EyNS0_10empty_typeEbEEZZNS1_14partition_implILS5_6ELb0ES3_mN6thrust23THRUST_200600_302600_NS6detail15normal_iteratorINSA_10device_ptrIyEEEEPS6_SG_NS0_5tupleIJNSA_16discard_iteratorINSA_11use_defaultEEES6_EEENSH_IJSG_SG_EEES6_PlJNSB_9not_fun_tINSB_14equal_to_valueIyEEEEEEE10hipError_tPvRmT3_T4_T5_T6_T7_T9_mT8_P12ihipStream_tbDpT10_ENKUlT_T0_E_clISt17integral_constantIbLb0EES1B_EEDaS16_S17_EUlS16_E_NS1_11comp_targetILNS1_3genE3ELNS1_11target_archE908ELNS1_3gpuE7ELNS1_3repE0EEENS1_30default_config_static_selectorELNS0_4arch9wavefront6targetE0EEEvT1_, .Lfunc_end1632-_ZN7rocprim17ROCPRIM_400000_NS6detail17trampoline_kernelINS0_14default_configENS1_25partition_config_selectorILNS1_17partition_subalgoE6EyNS0_10empty_typeEbEEZZNS1_14partition_implILS5_6ELb0ES3_mN6thrust23THRUST_200600_302600_NS6detail15normal_iteratorINSA_10device_ptrIyEEEEPS6_SG_NS0_5tupleIJNSA_16discard_iteratorINSA_11use_defaultEEES6_EEENSH_IJSG_SG_EEES6_PlJNSB_9not_fun_tINSB_14equal_to_valueIyEEEEEEE10hipError_tPvRmT3_T4_T5_T6_T7_T9_mT8_P12ihipStream_tbDpT10_ENKUlT_T0_E_clISt17integral_constantIbLb0EES1B_EEDaS16_S17_EUlS16_E_NS1_11comp_targetILNS1_3genE3ELNS1_11target_archE908ELNS1_3gpuE7ELNS1_3repE0EEENS1_30default_config_static_selectorELNS0_4arch9wavefront6targetE0EEEvT1_
                                        ; -- End function
	.set _ZN7rocprim17ROCPRIM_400000_NS6detail17trampoline_kernelINS0_14default_configENS1_25partition_config_selectorILNS1_17partition_subalgoE6EyNS0_10empty_typeEbEEZZNS1_14partition_implILS5_6ELb0ES3_mN6thrust23THRUST_200600_302600_NS6detail15normal_iteratorINSA_10device_ptrIyEEEEPS6_SG_NS0_5tupleIJNSA_16discard_iteratorINSA_11use_defaultEEES6_EEENSH_IJSG_SG_EEES6_PlJNSB_9not_fun_tINSB_14equal_to_valueIyEEEEEEE10hipError_tPvRmT3_T4_T5_T6_T7_T9_mT8_P12ihipStream_tbDpT10_ENKUlT_T0_E_clISt17integral_constantIbLb0EES1B_EEDaS16_S17_EUlS16_E_NS1_11comp_targetILNS1_3genE3ELNS1_11target_archE908ELNS1_3gpuE7ELNS1_3repE0EEENS1_30default_config_static_selectorELNS0_4arch9wavefront6targetE0EEEvT1_.num_vgpr, 0
	.set _ZN7rocprim17ROCPRIM_400000_NS6detail17trampoline_kernelINS0_14default_configENS1_25partition_config_selectorILNS1_17partition_subalgoE6EyNS0_10empty_typeEbEEZZNS1_14partition_implILS5_6ELb0ES3_mN6thrust23THRUST_200600_302600_NS6detail15normal_iteratorINSA_10device_ptrIyEEEEPS6_SG_NS0_5tupleIJNSA_16discard_iteratorINSA_11use_defaultEEES6_EEENSH_IJSG_SG_EEES6_PlJNSB_9not_fun_tINSB_14equal_to_valueIyEEEEEEE10hipError_tPvRmT3_T4_T5_T6_T7_T9_mT8_P12ihipStream_tbDpT10_ENKUlT_T0_E_clISt17integral_constantIbLb0EES1B_EEDaS16_S17_EUlS16_E_NS1_11comp_targetILNS1_3genE3ELNS1_11target_archE908ELNS1_3gpuE7ELNS1_3repE0EEENS1_30default_config_static_selectorELNS0_4arch9wavefront6targetE0EEEvT1_.num_agpr, 0
	.set _ZN7rocprim17ROCPRIM_400000_NS6detail17trampoline_kernelINS0_14default_configENS1_25partition_config_selectorILNS1_17partition_subalgoE6EyNS0_10empty_typeEbEEZZNS1_14partition_implILS5_6ELb0ES3_mN6thrust23THRUST_200600_302600_NS6detail15normal_iteratorINSA_10device_ptrIyEEEEPS6_SG_NS0_5tupleIJNSA_16discard_iteratorINSA_11use_defaultEEES6_EEENSH_IJSG_SG_EEES6_PlJNSB_9not_fun_tINSB_14equal_to_valueIyEEEEEEE10hipError_tPvRmT3_T4_T5_T6_T7_T9_mT8_P12ihipStream_tbDpT10_ENKUlT_T0_E_clISt17integral_constantIbLb0EES1B_EEDaS16_S17_EUlS16_E_NS1_11comp_targetILNS1_3genE3ELNS1_11target_archE908ELNS1_3gpuE7ELNS1_3repE0EEENS1_30default_config_static_selectorELNS0_4arch9wavefront6targetE0EEEvT1_.numbered_sgpr, 0
	.set _ZN7rocprim17ROCPRIM_400000_NS6detail17trampoline_kernelINS0_14default_configENS1_25partition_config_selectorILNS1_17partition_subalgoE6EyNS0_10empty_typeEbEEZZNS1_14partition_implILS5_6ELb0ES3_mN6thrust23THRUST_200600_302600_NS6detail15normal_iteratorINSA_10device_ptrIyEEEEPS6_SG_NS0_5tupleIJNSA_16discard_iteratorINSA_11use_defaultEEES6_EEENSH_IJSG_SG_EEES6_PlJNSB_9not_fun_tINSB_14equal_to_valueIyEEEEEEE10hipError_tPvRmT3_T4_T5_T6_T7_T9_mT8_P12ihipStream_tbDpT10_ENKUlT_T0_E_clISt17integral_constantIbLb0EES1B_EEDaS16_S17_EUlS16_E_NS1_11comp_targetILNS1_3genE3ELNS1_11target_archE908ELNS1_3gpuE7ELNS1_3repE0EEENS1_30default_config_static_selectorELNS0_4arch9wavefront6targetE0EEEvT1_.num_named_barrier, 0
	.set _ZN7rocprim17ROCPRIM_400000_NS6detail17trampoline_kernelINS0_14default_configENS1_25partition_config_selectorILNS1_17partition_subalgoE6EyNS0_10empty_typeEbEEZZNS1_14partition_implILS5_6ELb0ES3_mN6thrust23THRUST_200600_302600_NS6detail15normal_iteratorINSA_10device_ptrIyEEEEPS6_SG_NS0_5tupleIJNSA_16discard_iteratorINSA_11use_defaultEEES6_EEENSH_IJSG_SG_EEES6_PlJNSB_9not_fun_tINSB_14equal_to_valueIyEEEEEEE10hipError_tPvRmT3_T4_T5_T6_T7_T9_mT8_P12ihipStream_tbDpT10_ENKUlT_T0_E_clISt17integral_constantIbLb0EES1B_EEDaS16_S17_EUlS16_E_NS1_11comp_targetILNS1_3genE3ELNS1_11target_archE908ELNS1_3gpuE7ELNS1_3repE0EEENS1_30default_config_static_selectorELNS0_4arch9wavefront6targetE0EEEvT1_.private_seg_size, 0
	.set _ZN7rocprim17ROCPRIM_400000_NS6detail17trampoline_kernelINS0_14default_configENS1_25partition_config_selectorILNS1_17partition_subalgoE6EyNS0_10empty_typeEbEEZZNS1_14partition_implILS5_6ELb0ES3_mN6thrust23THRUST_200600_302600_NS6detail15normal_iteratorINSA_10device_ptrIyEEEEPS6_SG_NS0_5tupleIJNSA_16discard_iteratorINSA_11use_defaultEEES6_EEENSH_IJSG_SG_EEES6_PlJNSB_9not_fun_tINSB_14equal_to_valueIyEEEEEEE10hipError_tPvRmT3_T4_T5_T6_T7_T9_mT8_P12ihipStream_tbDpT10_ENKUlT_T0_E_clISt17integral_constantIbLb0EES1B_EEDaS16_S17_EUlS16_E_NS1_11comp_targetILNS1_3genE3ELNS1_11target_archE908ELNS1_3gpuE7ELNS1_3repE0EEENS1_30default_config_static_selectorELNS0_4arch9wavefront6targetE0EEEvT1_.uses_vcc, 0
	.set _ZN7rocprim17ROCPRIM_400000_NS6detail17trampoline_kernelINS0_14default_configENS1_25partition_config_selectorILNS1_17partition_subalgoE6EyNS0_10empty_typeEbEEZZNS1_14partition_implILS5_6ELb0ES3_mN6thrust23THRUST_200600_302600_NS6detail15normal_iteratorINSA_10device_ptrIyEEEEPS6_SG_NS0_5tupleIJNSA_16discard_iteratorINSA_11use_defaultEEES6_EEENSH_IJSG_SG_EEES6_PlJNSB_9not_fun_tINSB_14equal_to_valueIyEEEEEEE10hipError_tPvRmT3_T4_T5_T6_T7_T9_mT8_P12ihipStream_tbDpT10_ENKUlT_T0_E_clISt17integral_constantIbLb0EES1B_EEDaS16_S17_EUlS16_E_NS1_11comp_targetILNS1_3genE3ELNS1_11target_archE908ELNS1_3gpuE7ELNS1_3repE0EEENS1_30default_config_static_selectorELNS0_4arch9wavefront6targetE0EEEvT1_.uses_flat_scratch, 0
	.set _ZN7rocprim17ROCPRIM_400000_NS6detail17trampoline_kernelINS0_14default_configENS1_25partition_config_selectorILNS1_17partition_subalgoE6EyNS0_10empty_typeEbEEZZNS1_14partition_implILS5_6ELb0ES3_mN6thrust23THRUST_200600_302600_NS6detail15normal_iteratorINSA_10device_ptrIyEEEEPS6_SG_NS0_5tupleIJNSA_16discard_iteratorINSA_11use_defaultEEES6_EEENSH_IJSG_SG_EEES6_PlJNSB_9not_fun_tINSB_14equal_to_valueIyEEEEEEE10hipError_tPvRmT3_T4_T5_T6_T7_T9_mT8_P12ihipStream_tbDpT10_ENKUlT_T0_E_clISt17integral_constantIbLb0EES1B_EEDaS16_S17_EUlS16_E_NS1_11comp_targetILNS1_3genE3ELNS1_11target_archE908ELNS1_3gpuE7ELNS1_3repE0EEENS1_30default_config_static_selectorELNS0_4arch9wavefront6targetE0EEEvT1_.has_dyn_sized_stack, 0
	.set _ZN7rocprim17ROCPRIM_400000_NS6detail17trampoline_kernelINS0_14default_configENS1_25partition_config_selectorILNS1_17partition_subalgoE6EyNS0_10empty_typeEbEEZZNS1_14partition_implILS5_6ELb0ES3_mN6thrust23THRUST_200600_302600_NS6detail15normal_iteratorINSA_10device_ptrIyEEEEPS6_SG_NS0_5tupleIJNSA_16discard_iteratorINSA_11use_defaultEEES6_EEENSH_IJSG_SG_EEES6_PlJNSB_9not_fun_tINSB_14equal_to_valueIyEEEEEEE10hipError_tPvRmT3_T4_T5_T6_T7_T9_mT8_P12ihipStream_tbDpT10_ENKUlT_T0_E_clISt17integral_constantIbLb0EES1B_EEDaS16_S17_EUlS16_E_NS1_11comp_targetILNS1_3genE3ELNS1_11target_archE908ELNS1_3gpuE7ELNS1_3repE0EEENS1_30default_config_static_selectorELNS0_4arch9wavefront6targetE0EEEvT1_.has_recursion, 0
	.set _ZN7rocprim17ROCPRIM_400000_NS6detail17trampoline_kernelINS0_14default_configENS1_25partition_config_selectorILNS1_17partition_subalgoE6EyNS0_10empty_typeEbEEZZNS1_14partition_implILS5_6ELb0ES3_mN6thrust23THRUST_200600_302600_NS6detail15normal_iteratorINSA_10device_ptrIyEEEEPS6_SG_NS0_5tupleIJNSA_16discard_iteratorINSA_11use_defaultEEES6_EEENSH_IJSG_SG_EEES6_PlJNSB_9not_fun_tINSB_14equal_to_valueIyEEEEEEE10hipError_tPvRmT3_T4_T5_T6_T7_T9_mT8_P12ihipStream_tbDpT10_ENKUlT_T0_E_clISt17integral_constantIbLb0EES1B_EEDaS16_S17_EUlS16_E_NS1_11comp_targetILNS1_3genE3ELNS1_11target_archE908ELNS1_3gpuE7ELNS1_3repE0EEENS1_30default_config_static_selectorELNS0_4arch9wavefront6targetE0EEEvT1_.has_indirect_call, 0
	.section	.AMDGPU.csdata,"",@progbits
; Kernel info:
; codeLenInByte = 0
; TotalNumSgprs: 0
; NumVgprs: 0
; ScratchSize: 0
; MemoryBound: 0
; FloatMode: 240
; IeeeMode: 1
; LDSByteSize: 0 bytes/workgroup (compile time only)
; SGPRBlocks: 0
; VGPRBlocks: 0
; NumSGPRsForWavesPerEU: 1
; NumVGPRsForWavesPerEU: 1
; Occupancy: 16
; WaveLimiterHint : 0
; COMPUTE_PGM_RSRC2:SCRATCH_EN: 0
; COMPUTE_PGM_RSRC2:USER_SGPR: 2
; COMPUTE_PGM_RSRC2:TRAP_HANDLER: 0
; COMPUTE_PGM_RSRC2:TGID_X_EN: 1
; COMPUTE_PGM_RSRC2:TGID_Y_EN: 0
; COMPUTE_PGM_RSRC2:TGID_Z_EN: 0
; COMPUTE_PGM_RSRC2:TIDIG_COMP_CNT: 0
	.section	.text._ZN7rocprim17ROCPRIM_400000_NS6detail17trampoline_kernelINS0_14default_configENS1_25partition_config_selectorILNS1_17partition_subalgoE6EyNS0_10empty_typeEbEEZZNS1_14partition_implILS5_6ELb0ES3_mN6thrust23THRUST_200600_302600_NS6detail15normal_iteratorINSA_10device_ptrIyEEEEPS6_SG_NS0_5tupleIJNSA_16discard_iteratorINSA_11use_defaultEEES6_EEENSH_IJSG_SG_EEES6_PlJNSB_9not_fun_tINSB_14equal_to_valueIyEEEEEEE10hipError_tPvRmT3_T4_T5_T6_T7_T9_mT8_P12ihipStream_tbDpT10_ENKUlT_T0_E_clISt17integral_constantIbLb0EES1B_EEDaS16_S17_EUlS16_E_NS1_11comp_targetILNS1_3genE2ELNS1_11target_archE906ELNS1_3gpuE6ELNS1_3repE0EEENS1_30default_config_static_selectorELNS0_4arch9wavefront6targetE0EEEvT1_,"axG",@progbits,_ZN7rocprim17ROCPRIM_400000_NS6detail17trampoline_kernelINS0_14default_configENS1_25partition_config_selectorILNS1_17partition_subalgoE6EyNS0_10empty_typeEbEEZZNS1_14partition_implILS5_6ELb0ES3_mN6thrust23THRUST_200600_302600_NS6detail15normal_iteratorINSA_10device_ptrIyEEEEPS6_SG_NS0_5tupleIJNSA_16discard_iteratorINSA_11use_defaultEEES6_EEENSH_IJSG_SG_EEES6_PlJNSB_9not_fun_tINSB_14equal_to_valueIyEEEEEEE10hipError_tPvRmT3_T4_T5_T6_T7_T9_mT8_P12ihipStream_tbDpT10_ENKUlT_T0_E_clISt17integral_constantIbLb0EES1B_EEDaS16_S17_EUlS16_E_NS1_11comp_targetILNS1_3genE2ELNS1_11target_archE906ELNS1_3gpuE6ELNS1_3repE0EEENS1_30default_config_static_selectorELNS0_4arch9wavefront6targetE0EEEvT1_,comdat
	.protected	_ZN7rocprim17ROCPRIM_400000_NS6detail17trampoline_kernelINS0_14default_configENS1_25partition_config_selectorILNS1_17partition_subalgoE6EyNS0_10empty_typeEbEEZZNS1_14partition_implILS5_6ELb0ES3_mN6thrust23THRUST_200600_302600_NS6detail15normal_iteratorINSA_10device_ptrIyEEEEPS6_SG_NS0_5tupleIJNSA_16discard_iteratorINSA_11use_defaultEEES6_EEENSH_IJSG_SG_EEES6_PlJNSB_9not_fun_tINSB_14equal_to_valueIyEEEEEEE10hipError_tPvRmT3_T4_T5_T6_T7_T9_mT8_P12ihipStream_tbDpT10_ENKUlT_T0_E_clISt17integral_constantIbLb0EES1B_EEDaS16_S17_EUlS16_E_NS1_11comp_targetILNS1_3genE2ELNS1_11target_archE906ELNS1_3gpuE6ELNS1_3repE0EEENS1_30default_config_static_selectorELNS0_4arch9wavefront6targetE0EEEvT1_ ; -- Begin function _ZN7rocprim17ROCPRIM_400000_NS6detail17trampoline_kernelINS0_14default_configENS1_25partition_config_selectorILNS1_17partition_subalgoE6EyNS0_10empty_typeEbEEZZNS1_14partition_implILS5_6ELb0ES3_mN6thrust23THRUST_200600_302600_NS6detail15normal_iteratorINSA_10device_ptrIyEEEEPS6_SG_NS0_5tupleIJNSA_16discard_iteratorINSA_11use_defaultEEES6_EEENSH_IJSG_SG_EEES6_PlJNSB_9not_fun_tINSB_14equal_to_valueIyEEEEEEE10hipError_tPvRmT3_T4_T5_T6_T7_T9_mT8_P12ihipStream_tbDpT10_ENKUlT_T0_E_clISt17integral_constantIbLb0EES1B_EEDaS16_S17_EUlS16_E_NS1_11comp_targetILNS1_3genE2ELNS1_11target_archE906ELNS1_3gpuE6ELNS1_3repE0EEENS1_30default_config_static_selectorELNS0_4arch9wavefront6targetE0EEEvT1_
	.globl	_ZN7rocprim17ROCPRIM_400000_NS6detail17trampoline_kernelINS0_14default_configENS1_25partition_config_selectorILNS1_17partition_subalgoE6EyNS0_10empty_typeEbEEZZNS1_14partition_implILS5_6ELb0ES3_mN6thrust23THRUST_200600_302600_NS6detail15normal_iteratorINSA_10device_ptrIyEEEEPS6_SG_NS0_5tupleIJNSA_16discard_iteratorINSA_11use_defaultEEES6_EEENSH_IJSG_SG_EEES6_PlJNSB_9not_fun_tINSB_14equal_to_valueIyEEEEEEE10hipError_tPvRmT3_T4_T5_T6_T7_T9_mT8_P12ihipStream_tbDpT10_ENKUlT_T0_E_clISt17integral_constantIbLb0EES1B_EEDaS16_S17_EUlS16_E_NS1_11comp_targetILNS1_3genE2ELNS1_11target_archE906ELNS1_3gpuE6ELNS1_3repE0EEENS1_30default_config_static_selectorELNS0_4arch9wavefront6targetE0EEEvT1_
	.p2align	8
	.type	_ZN7rocprim17ROCPRIM_400000_NS6detail17trampoline_kernelINS0_14default_configENS1_25partition_config_selectorILNS1_17partition_subalgoE6EyNS0_10empty_typeEbEEZZNS1_14partition_implILS5_6ELb0ES3_mN6thrust23THRUST_200600_302600_NS6detail15normal_iteratorINSA_10device_ptrIyEEEEPS6_SG_NS0_5tupleIJNSA_16discard_iteratorINSA_11use_defaultEEES6_EEENSH_IJSG_SG_EEES6_PlJNSB_9not_fun_tINSB_14equal_to_valueIyEEEEEEE10hipError_tPvRmT3_T4_T5_T6_T7_T9_mT8_P12ihipStream_tbDpT10_ENKUlT_T0_E_clISt17integral_constantIbLb0EES1B_EEDaS16_S17_EUlS16_E_NS1_11comp_targetILNS1_3genE2ELNS1_11target_archE906ELNS1_3gpuE6ELNS1_3repE0EEENS1_30default_config_static_selectorELNS0_4arch9wavefront6targetE0EEEvT1_,@function
_ZN7rocprim17ROCPRIM_400000_NS6detail17trampoline_kernelINS0_14default_configENS1_25partition_config_selectorILNS1_17partition_subalgoE6EyNS0_10empty_typeEbEEZZNS1_14partition_implILS5_6ELb0ES3_mN6thrust23THRUST_200600_302600_NS6detail15normal_iteratorINSA_10device_ptrIyEEEEPS6_SG_NS0_5tupleIJNSA_16discard_iteratorINSA_11use_defaultEEES6_EEENSH_IJSG_SG_EEES6_PlJNSB_9not_fun_tINSB_14equal_to_valueIyEEEEEEE10hipError_tPvRmT3_T4_T5_T6_T7_T9_mT8_P12ihipStream_tbDpT10_ENKUlT_T0_E_clISt17integral_constantIbLb0EES1B_EEDaS16_S17_EUlS16_E_NS1_11comp_targetILNS1_3genE2ELNS1_11target_archE906ELNS1_3gpuE6ELNS1_3repE0EEENS1_30default_config_static_selectorELNS0_4arch9wavefront6targetE0EEEvT1_: ; @_ZN7rocprim17ROCPRIM_400000_NS6detail17trampoline_kernelINS0_14default_configENS1_25partition_config_selectorILNS1_17partition_subalgoE6EyNS0_10empty_typeEbEEZZNS1_14partition_implILS5_6ELb0ES3_mN6thrust23THRUST_200600_302600_NS6detail15normal_iteratorINSA_10device_ptrIyEEEEPS6_SG_NS0_5tupleIJNSA_16discard_iteratorINSA_11use_defaultEEES6_EEENSH_IJSG_SG_EEES6_PlJNSB_9not_fun_tINSB_14equal_to_valueIyEEEEEEE10hipError_tPvRmT3_T4_T5_T6_T7_T9_mT8_P12ihipStream_tbDpT10_ENKUlT_T0_E_clISt17integral_constantIbLb0EES1B_EEDaS16_S17_EUlS16_E_NS1_11comp_targetILNS1_3genE2ELNS1_11target_archE906ELNS1_3gpuE6ELNS1_3repE0EEENS1_30default_config_static_selectorELNS0_4arch9wavefront6targetE0EEEvT1_
; %bb.0:
	.section	.rodata,"a",@progbits
	.p2align	6, 0x0
	.amdhsa_kernel _ZN7rocprim17ROCPRIM_400000_NS6detail17trampoline_kernelINS0_14default_configENS1_25partition_config_selectorILNS1_17partition_subalgoE6EyNS0_10empty_typeEbEEZZNS1_14partition_implILS5_6ELb0ES3_mN6thrust23THRUST_200600_302600_NS6detail15normal_iteratorINSA_10device_ptrIyEEEEPS6_SG_NS0_5tupleIJNSA_16discard_iteratorINSA_11use_defaultEEES6_EEENSH_IJSG_SG_EEES6_PlJNSB_9not_fun_tINSB_14equal_to_valueIyEEEEEEE10hipError_tPvRmT3_T4_T5_T6_T7_T9_mT8_P12ihipStream_tbDpT10_ENKUlT_T0_E_clISt17integral_constantIbLb0EES1B_EEDaS16_S17_EUlS16_E_NS1_11comp_targetILNS1_3genE2ELNS1_11target_archE906ELNS1_3gpuE6ELNS1_3repE0EEENS1_30default_config_static_selectorELNS0_4arch9wavefront6targetE0EEEvT1_
		.amdhsa_group_segment_fixed_size 0
		.amdhsa_private_segment_fixed_size 0
		.amdhsa_kernarg_size 128
		.amdhsa_user_sgpr_count 2
		.amdhsa_user_sgpr_dispatch_ptr 0
		.amdhsa_user_sgpr_queue_ptr 0
		.amdhsa_user_sgpr_kernarg_segment_ptr 1
		.amdhsa_user_sgpr_dispatch_id 0
		.amdhsa_user_sgpr_private_segment_size 0
		.amdhsa_wavefront_size32 1
		.amdhsa_uses_dynamic_stack 0
		.amdhsa_enable_private_segment 0
		.amdhsa_system_sgpr_workgroup_id_x 1
		.amdhsa_system_sgpr_workgroup_id_y 0
		.amdhsa_system_sgpr_workgroup_id_z 0
		.amdhsa_system_sgpr_workgroup_info 0
		.amdhsa_system_vgpr_workitem_id 0
		.amdhsa_next_free_vgpr 1
		.amdhsa_next_free_sgpr 1
		.amdhsa_reserve_vcc 0
		.amdhsa_float_round_mode_32 0
		.amdhsa_float_round_mode_16_64 0
		.amdhsa_float_denorm_mode_32 3
		.amdhsa_float_denorm_mode_16_64 3
		.amdhsa_fp16_overflow 0
		.amdhsa_workgroup_processor_mode 1
		.amdhsa_memory_ordered 1
		.amdhsa_forward_progress 1
		.amdhsa_inst_pref_size 0
		.amdhsa_round_robin_scheduling 0
		.amdhsa_exception_fp_ieee_invalid_op 0
		.amdhsa_exception_fp_denorm_src 0
		.amdhsa_exception_fp_ieee_div_zero 0
		.amdhsa_exception_fp_ieee_overflow 0
		.amdhsa_exception_fp_ieee_underflow 0
		.amdhsa_exception_fp_ieee_inexact 0
		.amdhsa_exception_int_div_zero 0
	.end_amdhsa_kernel
	.section	.text._ZN7rocprim17ROCPRIM_400000_NS6detail17trampoline_kernelINS0_14default_configENS1_25partition_config_selectorILNS1_17partition_subalgoE6EyNS0_10empty_typeEbEEZZNS1_14partition_implILS5_6ELb0ES3_mN6thrust23THRUST_200600_302600_NS6detail15normal_iteratorINSA_10device_ptrIyEEEEPS6_SG_NS0_5tupleIJNSA_16discard_iteratorINSA_11use_defaultEEES6_EEENSH_IJSG_SG_EEES6_PlJNSB_9not_fun_tINSB_14equal_to_valueIyEEEEEEE10hipError_tPvRmT3_T4_T5_T6_T7_T9_mT8_P12ihipStream_tbDpT10_ENKUlT_T0_E_clISt17integral_constantIbLb0EES1B_EEDaS16_S17_EUlS16_E_NS1_11comp_targetILNS1_3genE2ELNS1_11target_archE906ELNS1_3gpuE6ELNS1_3repE0EEENS1_30default_config_static_selectorELNS0_4arch9wavefront6targetE0EEEvT1_,"axG",@progbits,_ZN7rocprim17ROCPRIM_400000_NS6detail17trampoline_kernelINS0_14default_configENS1_25partition_config_selectorILNS1_17partition_subalgoE6EyNS0_10empty_typeEbEEZZNS1_14partition_implILS5_6ELb0ES3_mN6thrust23THRUST_200600_302600_NS6detail15normal_iteratorINSA_10device_ptrIyEEEEPS6_SG_NS0_5tupleIJNSA_16discard_iteratorINSA_11use_defaultEEES6_EEENSH_IJSG_SG_EEES6_PlJNSB_9not_fun_tINSB_14equal_to_valueIyEEEEEEE10hipError_tPvRmT3_T4_T5_T6_T7_T9_mT8_P12ihipStream_tbDpT10_ENKUlT_T0_E_clISt17integral_constantIbLb0EES1B_EEDaS16_S17_EUlS16_E_NS1_11comp_targetILNS1_3genE2ELNS1_11target_archE906ELNS1_3gpuE6ELNS1_3repE0EEENS1_30default_config_static_selectorELNS0_4arch9wavefront6targetE0EEEvT1_,comdat
.Lfunc_end1633:
	.size	_ZN7rocprim17ROCPRIM_400000_NS6detail17trampoline_kernelINS0_14default_configENS1_25partition_config_selectorILNS1_17partition_subalgoE6EyNS0_10empty_typeEbEEZZNS1_14partition_implILS5_6ELb0ES3_mN6thrust23THRUST_200600_302600_NS6detail15normal_iteratorINSA_10device_ptrIyEEEEPS6_SG_NS0_5tupleIJNSA_16discard_iteratorINSA_11use_defaultEEES6_EEENSH_IJSG_SG_EEES6_PlJNSB_9not_fun_tINSB_14equal_to_valueIyEEEEEEE10hipError_tPvRmT3_T4_T5_T6_T7_T9_mT8_P12ihipStream_tbDpT10_ENKUlT_T0_E_clISt17integral_constantIbLb0EES1B_EEDaS16_S17_EUlS16_E_NS1_11comp_targetILNS1_3genE2ELNS1_11target_archE906ELNS1_3gpuE6ELNS1_3repE0EEENS1_30default_config_static_selectorELNS0_4arch9wavefront6targetE0EEEvT1_, .Lfunc_end1633-_ZN7rocprim17ROCPRIM_400000_NS6detail17trampoline_kernelINS0_14default_configENS1_25partition_config_selectorILNS1_17partition_subalgoE6EyNS0_10empty_typeEbEEZZNS1_14partition_implILS5_6ELb0ES3_mN6thrust23THRUST_200600_302600_NS6detail15normal_iteratorINSA_10device_ptrIyEEEEPS6_SG_NS0_5tupleIJNSA_16discard_iteratorINSA_11use_defaultEEES6_EEENSH_IJSG_SG_EEES6_PlJNSB_9not_fun_tINSB_14equal_to_valueIyEEEEEEE10hipError_tPvRmT3_T4_T5_T6_T7_T9_mT8_P12ihipStream_tbDpT10_ENKUlT_T0_E_clISt17integral_constantIbLb0EES1B_EEDaS16_S17_EUlS16_E_NS1_11comp_targetILNS1_3genE2ELNS1_11target_archE906ELNS1_3gpuE6ELNS1_3repE0EEENS1_30default_config_static_selectorELNS0_4arch9wavefront6targetE0EEEvT1_
                                        ; -- End function
	.set _ZN7rocprim17ROCPRIM_400000_NS6detail17trampoline_kernelINS0_14default_configENS1_25partition_config_selectorILNS1_17partition_subalgoE6EyNS0_10empty_typeEbEEZZNS1_14partition_implILS5_6ELb0ES3_mN6thrust23THRUST_200600_302600_NS6detail15normal_iteratorINSA_10device_ptrIyEEEEPS6_SG_NS0_5tupleIJNSA_16discard_iteratorINSA_11use_defaultEEES6_EEENSH_IJSG_SG_EEES6_PlJNSB_9not_fun_tINSB_14equal_to_valueIyEEEEEEE10hipError_tPvRmT3_T4_T5_T6_T7_T9_mT8_P12ihipStream_tbDpT10_ENKUlT_T0_E_clISt17integral_constantIbLb0EES1B_EEDaS16_S17_EUlS16_E_NS1_11comp_targetILNS1_3genE2ELNS1_11target_archE906ELNS1_3gpuE6ELNS1_3repE0EEENS1_30default_config_static_selectorELNS0_4arch9wavefront6targetE0EEEvT1_.num_vgpr, 0
	.set _ZN7rocprim17ROCPRIM_400000_NS6detail17trampoline_kernelINS0_14default_configENS1_25partition_config_selectorILNS1_17partition_subalgoE6EyNS0_10empty_typeEbEEZZNS1_14partition_implILS5_6ELb0ES3_mN6thrust23THRUST_200600_302600_NS6detail15normal_iteratorINSA_10device_ptrIyEEEEPS6_SG_NS0_5tupleIJNSA_16discard_iteratorINSA_11use_defaultEEES6_EEENSH_IJSG_SG_EEES6_PlJNSB_9not_fun_tINSB_14equal_to_valueIyEEEEEEE10hipError_tPvRmT3_T4_T5_T6_T7_T9_mT8_P12ihipStream_tbDpT10_ENKUlT_T0_E_clISt17integral_constantIbLb0EES1B_EEDaS16_S17_EUlS16_E_NS1_11comp_targetILNS1_3genE2ELNS1_11target_archE906ELNS1_3gpuE6ELNS1_3repE0EEENS1_30default_config_static_selectorELNS0_4arch9wavefront6targetE0EEEvT1_.num_agpr, 0
	.set _ZN7rocprim17ROCPRIM_400000_NS6detail17trampoline_kernelINS0_14default_configENS1_25partition_config_selectorILNS1_17partition_subalgoE6EyNS0_10empty_typeEbEEZZNS1_14partition_implILS5_6ELb0ES3_mN6thrust23THRUST_200600_302600_NS6detail15normal_iteratorINSA_10device_ptrIyEEEEPS6_SG_NS0_5tupleIJNSA_16discard_iteratorINSA_11use_defaultEEES6_EEENSH_IJSG_SG_EEES6_PlJNSB_9not_fun_tINSB_14equal_to_valueIyEEEEEEE10hipError_tPvRmT3_T4_T5_T6_T7_T9_mT8_P12ihipStream_tbDpT10_ENKUlT_T0_E_clISt17integral_constantIbLb0EES1B_EEDaS16_S17_EUlS16_E_NS1_11comp_targetILNS1_3genE2ELNS1_11target_archE906ELNS1_3gpuE6ELNS1_3repE0EEENS1_30default_config_static_selectorELNS0_4arch9wavefront6targetE0EEEvT1_.numbered_sgpr, 0
	.set _ZN7rocprim17ROCPRIM_400000_NS6detail17trampoline_kernelINS0_14default_configENS1_25partition_config_selectorILNS1_17partition_subalgoE6EyNS0_10empty_typeEbEEZZNS1_14partition_implILS5_6ELb0ES3_mN6thrust23THRUST_200600_302600_NS6detail15normal_iteratorINSA_10device_ptrIyEEEEPS6_SG_NS0_5tupleIJNSA_16discard_iteratorINSA_11use_defaultEEES6_EEENSH_IJSG_SG_EEES6_PlJNSB_9not_fun_tINSB_14equal_to_valueIyEEEEEEE10hipError_tPvRmT3_T4_T5_T6_T7_T9_mT8_P12ihipStream_tbDpT10_ENKUlT_T0_E_clISt17integral_constantIbLb0EES1B_EEDaS16_S17_EUlS16_E_NS1_11comp_targetILNS1_3genE2ELNS1_11target_archE906ELNS1_3gpuE6ELNS1_3repE0EEENS1_30default_config_static_selectorELNS0_4arch9wavefront6targetE0EEEvT1_.num_named_barrier, 0
	.set _ZN7rocprim17ROCPRIM_400000_NS6detail17trampoline_kernelINS0_14default_configENS1_25partition_config_selectorILNS1_17partition_subalgoE6EyNS0_10empty_typeEbEEZZNS1_14partition_implILS5_6ELb0ES3_mN6thrust23THRUST_200600_302600_NS6detail15normal_iteratorINSA_10device_ptrIyEEEEPS6_SG_NS0_5tupleIJNSA_16discard_iteratorINSA_11use_defaultEEES6_EEENSH_IJSG_SG_EEES6_PlJNSB_9not_fun_tINSB_14equal_to_valueIyEEEEEEE10hipError_tPvRmT3_T4_T5_T6_T7_T9_mT8_P12ihipStream_tbDpT10_ENKUlT_T0_E_clISt17integral_constantIbLb0EES1B_EEDaS16_S17_EUlS16_E_NS1_11comp_targetILNS1_3genE2ELNS1_11target_archE906ELNS1_3gpuE6ELNS1_3repE0EEENS1_30default_config_static_selectorELNS0_4arch9wavefront6targetE0EEEvT1_.private_seg_size, 0
	.set _ZN7rocprim17ROCPRIM_400000_NS6detail17trampoline_kernelINS0_14default_configENS1_25partition_config_selectorILNS1_17partition_subalgoE6EyNS0_10empty_typeEbEEZZNS1_14partition_implILS5_6ELb0ES3_mN6thrust23THRUST_200600_302600_NS6detail15normal_iteratorINSA_10device_ptrIyEEEEPS6_SG_NS0_5tupleIJNSA_16discard_iteratorINSA_11use_defaultEEES6_EEENSH_IJSG_SG_EEES6_PlJNSB_9not_fun_tINSB_14equal_to_valueIyEEEEEEE10hipError_tPvRmT3_T4_T5_T6_T7_T9_mT8_P12ihipStream_tbDpT10_ENKUlT_T0_E_clISt17integral_constantIbLb0EES1B_EEDaS16_S17_EUlS16_E_NS1_11comp_targetILNS1_3genE2ELNS1_11target_archE906ELNS1_3gpuE6ELNS1_3repE0EEENS1_30default_config_static_selectorELNS0_4arch9wavefront6targetE0EEEvT1_.uses_vcc, 0
	.set _ZN7rocprim17ROCPRIM_400000_NS6detail17trampoline_kernelINS0_14default_configENS1_25partition_config_selectorILNS1_17partition_subalgoE6EyNS0_10empty_typeEbEEZZNS1_14partition_implILS5_6ELb0ES3_mN6thrust23THRUST_200600_302600_NS6detail15normal_iteratorINSA_10device_ptrIyEEEEPS6_SG_NS0_5tupleIJNSA_16discard_iteratorINSA_11use_defaultEEES6_EEENSH_IJSG_SG_EEES6_PlJNSB_9not_fun_tINSB_14equal_to_valueIyEEEEEEE10hipError_tPvRmT3_T4_T5_T6_T7_T9_mT8_P12ihipStream_tbDpT10_ENKUlT_T0_E_clISt17integral_constantIbLb0EES1B_EEDaS16_S17_EUlS16_E_NS1_11comp_targetILNS1_3genE2ELNS1_11target_archE906ELNS1_3gpuE6ELNS1_3repE0EEENS1_30default_config_static_selectorELNS0_4arch9wavefront6targetE0EEEvT1_.uses_flat_scratch, 0
	.set _ZN7rocprim17ROCPRIM_400000_NS6detail17trampoline_kernelINS0_14default_configENS1_25partition_config_selectorILNS1_17partition_subalgoE6EyNS0_10empty_typeEbEEZZNS1_14partition_implILS5_6ELb0ES3_mN6thrust23THRUST_200600_302600_NS6detail15normal_iteratorINSA_10device_ptrIyEEEEPS6_SG_NS0_5tupleIJNSA_16discard_iteratorINSA_11use_defaultEEES6_EEENSH_IJSG_SG_EEES6_PlJNSB_9not_fun_tINSB_14equal_to_valueIyEEEEEEE10hipError_tPvRmT3_T4_T5_T6_T7_T9_mT8_P12ihipStream_tbDpT10_ENKUlT_T0_E_clISt17integral_constantIbLb0EES1B_EEDaS16_S17_EUlS16_E_NS1_11comp_targetILNS1_3genE2ELNS1_11target_archE906ELNS1_3gpuE6ELNS1_3repE0EEENS1_30default_config_static_selectorELNS0_4arch9wavefront6targetE0EEEvT1_.has_dyn_sized_stack, 0
	.set _ZN7rocprim17ROCPRIM_400000_NS6detail17trampoline_kernelINS0_14default_configENS1_25partition_config_selectorILNS1_17partition_subalgoE6EyNS0_10empty_typeEbEEZZNS1_14partition_implILS5_6ELb0ES3_mN6thrust23THRUST_200600_302600_NS6detail15normal_iteratorINSA_10device_ptrIyEEEEPS6_SG_NS0_5tupleIJNSA_16discard_iteratorINSA_11use_defaultEEES6_EEENSH_IJSG_SG_EEES6_PlJNSB_9not_fun_tINSB_14equal_to_valueIyEEEEEEE10hipError_tPvRmT3_T4_T5_T6_T7_T9_mT8_P12ihipStream_tbDpT10_ENKUlT_T0_E_clISt17integral_constantIbLb0EES1B_EEDaS16_S17_EUlS16_E_NS1_11comp_targetILNS1_3genE2ELNS1_11target_archE906ELNS1_3gpuE6ELNS1_3repE0EEENS1_30default_config_static_selectorELNS0_4arch9wavefront6targetE0EEEvT1_.has_recursion, 0
	.set _ZN7rocprim17ROCPRIM_400000_NS6detail17trampoline_kernelINS0_14default_configENS1_25partition_config_selectorILNS1_17partition_subalgoE6EyNS0_10empty_typeEbEEZZNS1_14partition_implILS5_6ELb0ES3_mN6thrust23THRUST_200600_302600_NS6detail15normal_iteratorINSA_10device_ptrIyEEEEPS6_SG_NS0_5tupleIJNSA_16discard_iteratorINSA_11use_defaultEEES6_EEENSH_IJSG_SG_EEES6_PlJNSB_9not_fun_tINSB_14equal_to_valueIyEEEEEEE10hipError_tPvRmT3_T4_T5_T6_T7_T9_mT8_P12ihipStream_tbDpT10_ENKUlT_T0_E_clISt17integral_constantIbLb0EES1B_EEDaS16_S17_EUlS16_E_NS1_11comp_targetILNS1_3genE2ELNS1_11target_archE906ELNS1_3gpuE6ELNS1_3repE0EEENS1_30default_config_static_selectorELNS0_4arch9wavefront6targetE0EEEvT1_.has_indirect_call, 0
	.section	.AMDGPU.csdata,"",@progbits
; Kernel info:
; codeLenInByte = 0
; TotalNumSgprs: 0
; NumVgprs: 0
; ScratchSize: 0
; MemoryBound: 0
; FloatMode: 240
; IeeeMode: 1
; LDSByteSize: 0 bytes/workgroup (compile time only)
; SGPRBlocks: 0
; VGPRBlocks: 0
; NumSGPRsForWavesPerEU: 1
; NumVGPRsForWavesPerEU: 1
; Occupancy: 16
; WaveLimiterHint : 0
; COMPUTE_PGM_RSRC2:SCRATCH_EN: 0
; COMPUTE_PGM_RSRC2:USER_SGPR: 2
; COMPUTE_PGM_RSRC2:TRAP_HANDLER: 0
; COMPUTE_PGM_RSRC2:TGID_X_EN: 1
; COMPUTE_PGM_RSRC2:TGID_Y_EN: 0
; COMPUTE_PGM_RSRC2:TGID_Z_EN: 0
; COMPUTE_PGM_RSRC2:TIDIG_COMP_CNT: 0
	.section	.text._ZN7rocprim17ROCPRIM_400000_NS6detail17trampoline_kernelINS0_14default_configENS1_25partition_config_selectorILNS1_17partition_subalgoE6EyNS0_10empty_typeEbEEZZNS1_14partition_implILS5_6ELb0ES3_mN6thrust23THRUST_200600_302600_NS6detail15normal_iteratorINSA_10device_ptrIyEEEEPS6_SG_NS0_5tupleIJNSA_16discard_iteratorINSA_11use_defaultEEES6_EEENSH_IJSG_SG_EEES6_PlJNSB_9not_fun_tINSB_14equal_to_valueIyEEEEEEE10hipError_tPvRmT3_T4_T5_T6_T7_T9_mT8_P12ihipStream_tbDpT10_ENKUlT_T0_E_clISt17integral_constantIbLb0EES1B_EEDaS16_S17_EUlS16_E_NS1_11comp_targetILNS1_3genE10ELNS1_11target_archE1200ELNS1_3gpuE4ELNS1_3repE0EEENS1_30default_config_static_selectorELNS0_4arch9wavefront6targetE0EEEvT1_,"axG",@progbits,_ZN7rocprim17ROCPRIM_400000_NS6detail17trampoline_kernelINS0_14default_configENS1_25partition_config_selectorILNS1_17partition_subalgoE6EyNS0_10empty_typeEbEEZZNS1_14partition_implILS5_6ELb0ES3_mN6thrust23THRUST_200600_302600_NS6detail15normal_iteratorINSA_10device_ptrIyEEEEPS6_SG_NS0_5tupleIJNSA_16discard_iteratorINSA_11use_defaultEEES6_EEENSH_IJSG_SG_EEES6_PlJNSB_9not_fun_tINSB_14equal_to_valueIyEEEEEEE10hipError_tPvRmT3_T4_T5_T6_T7_T9_mT8_P12ihipStream_tbDpT10_ENKUlT_T0_E_clISt17integral_constantIbLb0EES1B_EEDaS16_S17_EUlS16_E_NS1_11comp_targetILNS1_3genE10ELNS1_11target_archE1200ELNS1_3gpuE4ELNS1_3repE0EEENS1_30default_config_static_selectorELNS0_4arch9wavefront6targetE0EEEvT1_,comdat
	.protected	_ZN7rocprim17ROCPRIM_400000_NS6detail17trampoline_kernelINS0_14default_configENS1_25partition_config_selectorILNS1_17partition_subalgoE6EyNS0_10empty_typeEbEEZZNS1_14partition_implILS5_6ELb0ES3_mN6thrust23THRUST_200600_302600_NS6detail15normal_iteratorINSA_10device_ptrIyEEEEPS6_SG_NS0_5tupleIJNSA_16discard_iteratorINSA_11use_defaultEEES6_EEENSH_IJSG_SG_EEES6_PlJNSB_9not_fun_tINSB_14equal_to_valueIyEEEEEEE10hipError_tPvRmT3_T4_T5_T6_T7_T9_mT8_P12ihipStream_tbDpT10_ENKUlT_T0_E_clISt17integral_constantIbLb0EES1B_EEDaS16_S17_EUlS16_E_NS1_11comp_targetILNS1_3genE10ELNS1_11target_archE1200ELNS1_3gpuE4ELNS1_3repE0EEENS1_30default_config_static_selectorELNS0_4arch9wavefront6targetE0EEEvT1_ ; -- Begin function _ZN7rocprim17ROCPRIM_400000_NS6detail17trampoline_kernelINS0_14default_configENS1_25partition_config_selectorILNS1_17partition_subalgoE6EyNS0_10empty_typeEbEEZZNS1_14partition_implILS5_6ELb0ES3_mN6thrust23THRUST_200600_302600_NS6detail15normal_iteratorINSA_10device_ptrIyEEEEPS6_SG_NS0_5tupleIJNSA_16discard_iteratorINSA_11use_defaultEEES6_EEENSH_IJSG_SG_EEES6_PlJNSB_9not_fun_tINSB_14equal_to_valueIyEEEEEEE10hipError_tPvRmT3_T4_T5_T6_T7_T9_mT8_P12ihipStream_tbDpT10_ENKUlT_T0_E_clISt17integral_constantIbLb0EES1B_EEDaS16_S17_EUlS16_E_NS1_11comp_targetILNS1_3genE10ELNS1_11target_archE1200ELNS1_3gpuE4ELNS1_3repE0EEENS1_30default_config_static_selectorELNS0_4arch9wavefront6targetE0EEEvT1_
	.globl	_ZN7rocprim17ROCPRIM_400000_NS6detail17trampoline_kernelINS0_14default_configENS1_25partition_config_selectorILNS1_17partition_subalgoE6EyNS0_10empty_typeEbEEZZNS1_14partition_implILS5_6ELb0ES3_mN6thrust23THRUST_200600_302600_NS6detail15normal_iteratorINSA_10device_ptrIyEEEEPS6_SG_NS0_5tupleIJNSA_16discard_iteratorINSA_11use_defaultEEES6_EEENSH_IJSG_SG_EEES6_PlJNSB_9not_fun_tINSB_14equal_to_valueIyEEEEEEE10hipError_tPvRmT3_T4_T5_T6_T7_T9_mT8_P12ihipStream_tbDpT10_ENKUlT_T0_E_clISt17integral_constantIbLb0EES1B_EEDaS16_S17_EUlS16_E_NS1_11comp_targetILNS1_3genE10ELNS1_11target_archE1200ELNS1_3gpuE4ELNS1_3repE0EEENS1_30default_config_static_selectorELNS0_4arch9wavefront6targetE0EEEvT1_
	.p2align	8
	.type	_ZN7rocprim17ROCPRIM_400000_NS6detail17trampoline_kernelINS0_14default_configENS1_25partition_config_selectorILNS1_17partition_subalgoE6EyNS0_10empty_typeEbEEZZNS1_14partition_implILS5_6ELb0ES3_mN6thrust23THRUST_200600_302600_NS6detail15normal_iteratorINSA_10device_ptrIyEEEEPS6_SG_NS0_5tupleIJNSA_16discard_iteratorINSA_11use_defaultEEES6_EEENSH_IJSG_SG_EEES6_PlJNSB_9not_fun_tINSB_14equal_to_valueIyEEEEEEE10hipError_tPvRmT3_T4_T5_T6_T7_T9_mT8_P12ihipStream_tbDpT10_ENKUlT_T0_E_clISt17integral_constantIbLb0EES1B_EEDaS16_S17_EUlS16_E_NS1_11comp_targetILNS1_3genE10ELNS1_11target_archE1200ELNS1_3gpuE4ELNS1_3repE0EEENS1_30default_config_static_selectorELNS0_4arch9wavefront6targetE0EEEvT1_,@function
_ZN7rocprim17ROCPRIM_400000_NS6detail17trampoline_kernelINS0_14default_configENS1_25partition_config_selectorILNS1_17partition_subalgoE6EyNS0_10empty_typeEbEEZZNS1_14partition_implILS5_6ELb0ES3_mN6thrust23THRUST_200600_302600_NS6detail15normal_iteratorINSA_10device_ptrIyEEEEPS6_SG_NS0_5tupleIJNSA_16discard_iteratorINSA_11use_defaultEEES6_EEENSH_IJSG_SG_EEES6_PlJNSB_9not_fun_tINSB_14equal_to_valueIyEEEEEEE10hipError_tPvRmT3_T4_T5_T6_T7_T9_mT8_P12ihipStream_tbDpT10_ENKUlT_T0_E_clISt17integral_constantIbLb0EES1B_EEDaS16_S17_EUlS16_E_NS1_11comp_targetILNS1_3genE10ELNS1_11target_archE1200ELNS1_3gpuE4ELNS1_3repE0EEENS1_30default_config_static_selectorELNS0_4arch9wavefront6targetE0EEEvT1_: ; @_ZN7rocprim17ROCPRIM_400000_NS6detail17trampoline_kernelINS0_14default_configENS1_25partition_config_selectorILNS1_17partition_subalgoE6EyNS0_10empty_typeEbEEZZNS1_14partition_implILS5_6ELb0ES3_mN6thrust23THRUST_200600_302600_NS6detail15normal_iteratorINSA_10device_ptrIyEEEEPS6_SG_NS0_5tupleIJNSA_16discard_iteratorINSA_11use_defaultEEES6_EEENSH_IJSG_SG_EEES6_PlJNSB_9not_fun_tINSB_14equal_to_valueIyEEEEEEE10hipError_tPvRmT3_T4_T5_T6_T7_T9_mT8_P12ihipStream_tbDpT10_ENKUlT_T0_E_clISt17integral_constantIbLb0EES1B_EEDaS16_S17_EUlS16_E_NS1_11comp_targetILNS1_3genE10ELNS1_11target_archE1200ELNS1_3gpuE4ELNS1_3repE0EEENS1_30default_config_static_selectorELNS0_4arch9wavefront6targetE0EEEvT1_
; %bb.0:
	s_clause 0x3
	s_load_b128 s[4:7], s[0:1], 0x8
	s_load_b128 s[8:11], s[0:1], 0x48
	s_load_b32 s14, s[0:1], 0x70
	s_load_b64 s[12:13], s[0:1], 0x58
	s_mov_b32 s17, 0
	s_lshl_b32 s2, ttmp9, 10
	s_mov_b32 s3, s17
	v_lshrrev_b32_e32 v9, 2, v0
	v_or_b32_e32 v12, 0x100, v0
	v_or_b32_e32 v11, 0x200, v0
	;; [unrolled: 1-line block ×3, first 2 shown]
	s_mov_b32 s15, -1
	s_wait_kmcnt 0x0
	s_lshl_b64 s[18:19], s[6:7], 3
	s_load_b64 s[10:11], s[10:11], 0x0
	s_add_co_i32 s20, s14, -1
	s_lshl_b32 s16, s14, 10
	s_lshl_b32 s14, s20, 10
	s_add_nc_u64 s[16:17], s[6:7], s[16:17]
	s_add_co_i32 s14, s6, s14
	s_cmp_eq_u32 ttmp9, s20
	v_cmp_gt_u64_e64 s16, s[12:13], s[16:17]
	s_cselect_b32 s13, -1, 0
	s_cmp_lg_u32 ttmp9, s20
	s_add_nc_u64 s[6:7], s[4:5], s[18:19]
	s_cselect_b32 s17, -1, 0
	s_lshl_b64 s[2:3], s[2:3], 3
	s_wait_alu 0xfffe
	s_or_b32 s4, s17, s16
	s_add_nc_u64 s[2:3], s[6:7], s[2:3]
	s_and_b32 vcc_lo, exec_lo, s4
	s_cbranch_vccz .LBB1634_2
; %bb.1:
	v_lshlrev_b32_e32 v13, 3, v0
	v_lshrrev_b32_e32 v14, 2, v12
	v_lshrrev_b32_e32 v15, 2, v11
	;; [unrolled: 1-line block ×3, first 2 shown]
	v_and_b32_e32 v17, 56, v9
	v_add_co_u32 v1, s5, s2, v13
	s_delay_alu instid0(VALU_DEP_1)
	v_add_co_ci_u32_e64 v2, null, s3, 0, s5
	v_and_b32_e32 v14, 0x78, v14
	v_and_b32_e32 v15, 0xb8, v15
	;; [unrolled: 1-line block ×3, first 2 shown]
	s_clause 0x3
	flat_load_b64 v[3:4], v[1:2]
	flat_load_b64 v[5:6], v[1:2] offset:2048
	flat_load_b64 v[7:8], v[1:2] offset:4096
	;; [unrolled: 1-line block ×3, first 2 shown]
	v_add_nc_u32_e32 v17, v17, v13
	v_add_nc_u32_e32 v14, v14, v13
	;; [unrolled: 1-line block ×4, first 2 shown]
	s_mov_b32 s15, 0
	s_wait_loadcnt_dscnt 0x303
	ds_store_b64 v17, v[3:4]
	s_wait_loadcnt_dscnt 0x203
	ds_store_b64 v14, v[5:6] offset:2048
	s_wait_loadcnt_dscnt 0x103
	ds_store_b64 v15, v[7:8] offset:4096
	;; [unrolled: 2-line block ×3, first 2 shown]
	s_wait_dscnt 0x0
	s_barrier_signal -1
	s_barrier_wait -1
.LBB1634_2:
	s_load_b64 s[6:7], s[0:1], 0x78
	s_and_not1_b32 vcc_lo, exec_lo, s15
	s_sub_co_i32 s14, s12, s14
	s_cbranch_vccnz .LBB1634_9
; %bb.3:
	v_mov_b32_e32 v1, 0
	s_mov_b32 s5, exec_lo
	s_delay_alu instid0(VALU_DEP_1)
	v_dual_mov_b32 v2, v1 :: v_dual_mov_b32 v3, v1
	v_dual_mov_b32 v4, v1 :: v_dual_mov_b32 v5, v1
	;; [unrolled: 1-line block ×3, first 2 shown]
	v_mov_b32_e32 v8, v1
	v_cmpx_gt_u32_e64 s14, v0
	s_cbranch_execnz .LBB1634_114
; %bb.4:
	s_wait_alu 0xfffe
	s_or_b32 exec_lo, exec_lo, s5
	s_delay_alu instid0(SALU_CYCLE_1)
	s_mov_b32 s5, exec_lo
	v_cmpx_gt_u32_e64 s14, v12
	s_cbranch_execnz .LBB1634_115
.LBB1634_5:
	s_wait_alu 0xfffe
	s_or_b32 exec_lo, exec_lo, s5
	s_delay_alu instid0(SALU_CYCLE_1)
	s_mov_b32 s5, exec_lo
	v_cmpx_gt_u32_e64 s14, v11
	s_cbranch_execnz .LBB1634_116
.LBB1634_6:
	s_wait_alu 0xfffe
	s_or_b32 exec_lo, exec_lo, s5
	s_delay_alu instid0(SALU_CYCLE_1)
	s_mov_b32 s5, exec_lo
	v_cmpx_gt_u32_e64 s14, v10
	s_cbranch_execz .LBB1634_8
.LBB1634_7:
	v_lshlrev_b32_e32 v7, 3, v0
	s_delay_alu instid0(VALU_DEP_1)
	v_add_co_u32 v7, s2, s2, v7
	s_wait_alu 0xf1ff
	v_add_co_ci_u32_e64 v8, null, s3, 0, s2
	flat_load_b64 v[7:8], v[7:8] offset:6144
.LBB1634_8:
	s_wait_alu 0xfffe
	s_or_b32 exec_lo, exec_lo, s5
	v_lshrrev_b32_e32 v12, 2, v12
	v_lshrrev_b32_e32 v11, 2, v11
	;; [unrolled: 1-line block ×3, first 2 shown]
	v_and_b32_e32 v9, 56, v9
	v_lshlrev_b32_e32 v13, 3, v0
	v_and_b32_e32 v12, 0x78, v12
	v_and_b32_e32 v11, 0xf8, v11
	;; [unrolled: 1-line block ×3, first 2 shown]
	s_delay_alu instid0(VALU_DEP_4) | instskip(NEXT) | instid1(VALU_DEP_4)
	v_add_nc_u32_e32 v9, v9, v13
	v_add_nc_u32_e32 v12, v12, v13
	s_delay_alu instid0(VALU_DEP_4) | instskip(NEXT) | instid1(VALU_DEP_4)
	v_add_nc_u32_e32 v11, v11, v13
	v_add_nc_u32_e32 v10, v10, v13
	ds_store_b64 v9, v[1:2]
	s_wait_loadcnt_dscnt 0x1
	ds_store_b64 v12, v[3:4] offset:2048
	ds_store_b64 v11, v[5:6] offset:4096
	;; [unrolled: 1-line block ×3, first 2 shown]
	s_wait_dscnt 0x0
	s_barrier_signal -1
	s_barrier_wait -1
.LBB1634_9:
	v_and_b32_e32 v1, 0xf8, v0
	global_inv scope:SCOPE_SE
	s_and_not1_b32 vcc_lo, exec_lo, s4
	v_lshl_add_u32 v5, v0, 5, v1
	ds_load_2addr_b64 v[1:4], v5 offset1:3
	ds_load_2addr_b64 v[5:8], v5 offset0:1 offset1:2
	s_wait_loadcnt_dscnt 0x0
	s_barrier_signal -1
	s_barrier_wait -1
	global_inv scope:SCOPE_SE
	s_wait_kmcnt 0x0
	v_cmp_ne_u64_e64 s2, s[6:7], v[1:2]
	v_cmp_ne_u64_e64 s12, s[6:7], v[3:4]
	s_cbranch_vccnz .LBB1634_11
; %bb.10:
	v_cmp_ne_u64_e32 vcc_lo, s[6:7], v[7:8]
	s_wait_alu 0xf1ff
	v_cndmask_b32_e64 v27, 0, 1, s2
	v_cndmask_b32_e64 v25, 0, 1, vcc_lo
	v_cmp_ne_u64_e32 vcc_lo, s[6:7], v[5:6]
	s_delay_alu instid0(VALU_DEP_2) | instskip(SKIP_2) | instid1(VALU_DEP_1)
	v_lshlrev_b16 v10, 8, v25
	s_wait_alu 0xfffd
	v_cndmask_b32_e64 v9, 0, 1, vcc_lo
	v_or_b32_e32 v26, v9, v10
	s_cbranch_execz .LBB1634_12
	s_branch .LBB1634_13
.LBB1634_11:
                                        ; implicit-def: $sgpr12
                                        ; implicit-def: $vgpr27
                                        ; implicit-def: $vgpr26
                                        ; implicit-def: $vgpr25
.LBB1634_12:
	v_lshlrev_b32_e32 v9, 2, v0
	v_cmp_ne_u64_e64 s2, s[6:7], v[7:8]
	v_cmp_ne_u64_e64 s4, s[6:7], v[5:6]
	v_cmp_ne_u64_e32 vcc_lo, s[6:7], v[1:2]
	v_cmp_ne_u64_e64 s5, s[6:7], v[3:4]
	v_or_b32_e32 v10, 2, v9
	v_or_b32_e32 v11, 1, v9
	s_delay_alu instid0(VALU_DEP_2) | instskip(NEXT) | instid1(VALU_DEP_2)
	v_cmp_gt_u32_e64 s3, s14, v10
	v_cmp_gt_u32_e64 s6, s14, v11
	v_or_b32_e32 v10, 3, v9
	s_and_b32 s2, s3, s2
	s_and_b32 s4, s6, s4
	s_wait_alu 0xfffe
	v_cndmask_b32_e64 v25, 0, 1, s2
	v_cmp_gt_u32_e64 s2, s14, v9
	v_cmp_gt_u32_e64 s3, s14, v10
	v_cndmask_b32_e64 v9, 0, 1, s4
	s_delay_alu instid0(VALU_DEP_4)
	v_lshlrev_b16 v10, 8, v25
	s_and_b32 s2, s2, vcc_lo
	s_wait_alu 0xfffe
	v_cndmask_b32_e64 v27, 0, 1, s2
	s_and_b32 s2, s3, s5
	v_or_b32_e32 v26, v9, v10
	s_and_not1_b32 s3, s12, exec_lo
	s_wait_alu 0xfffe
	s_and_b32 s2, s2, exec_lo
	s_wait_alu 0xfffe
	s_or_b32 s12, s3, s2
.LBB1634_13:
	s_load_b64 s[4:5], s[0:1], 0x68
	v_and_b32_e32 v29, 0xff, v27
	v_dual_mov_b32 v11, 0 :: v_dual_and_b32 v28, 0xff, v26
	v_cndmask_b32_e64 v9, 0, 1, s12
	v_mbcnt_lo_u32_b32 v31, -1, 0
	v_and_b32_e32 v30, 0xff, v25
	s_cmp_lg_u32 ttmp9, 0
	s_mov_b32 s1, -1
	v_add3_u32 v9, v29, v9, v28
	v_and_b32_e32 v32, 15, v31
	s_delay_alu instid0(VALU_DEP_2) | instskip(NEXT) | instid1(VALU_DEP_1)
	v_add_co_u32 v17, s0, v9, v30
	v_add_co_ci_u32_e64 v18, null, 0, 0, s0
	s_delay_alu instid0(VALU_DEP_3)
	v_cmp_ne_u32_e64 s0, 0, v32
	s_cbranch_scc0 .LBB1634_70
; %bb.14:
	v_dual_mov_b32 v12, v17 :: v_dual_mov_b32 v9, v17
	v_mov_b32_dpp v14, v17 row_shr:1 row_mask:0xf bank_mask:0xf
	v_mov_b32_dpp v13, v11 row_shr:1 row_mask:0xf bank_mask:0xf
	v_mov_b32_e32 v10, v18
	s_and_saveexec_b32 s1, s0
; %bb.15:
	s_delay_alu instid0(VALU_DEP_3) | instskip(SKIP_2) | instid1(VALU_DEP_2)
	v_add_co_u32 v12, vcc_lo, v17, v14
	s_wait_alu 0xfffd
	v_add_co_ci_u32_e64 v9, null, 0, v18, vcc_lo
	v_add_co_u32 v10, vcc_lo, 0, v12
	s_wait_alu 0xfffd
	s_delay_alu instid0(VALU_DEP_2) | instskip(NEXT) | instid1(VALU_DEP_2)
	v_add_co_ci_u32_e64 v11, null, v13, v9, vcc_lo
	v_mov_b32_e32 v9, v10
	s_delay_alu instid0(VALU_DEP_2)
	v_mov_b32_e32 v10, v11
; %bb.16:
	s_wait_alu 0xfffe
	s_or_b32 exec_lo, exec_lo, s1
	v_mov_b32_dpp v14, v12 row_shr:2 row_mask:0xf bank_mask:0xf
	v_mov_b32_dpp v13, v11 row_shr:2 row_mask:0xf bank_mask:0xf
	s_mov_b32 s1, exec_lo
	v_cmpx_lt_u32_e32 1, v32
; %bb.17:
	s_delay_alu instid0(VALU_DEP_3) | instskip(SKIP_2) | instid1(VALU_DEP_2)
	v_add_co_u32 v12, vcc_lo, v9, v14
	s_wait_alu 0xfffd
	v_add_co_ci_u32_e64 v9, null, 0, v10, vcc_lo
	v_add_co_u32 v10, vcc_lo, 0, v12
	s_wait_alu 0xfffd
	s_delay_alu instid0(VALU_DEP_2) | instskip(NEXT) | instid1(VALU_DEP_2)
	v_add_co_ci_u32_e64 v11, null, v13, v9, vcc_lo
	v_mov_b32_e32 v9, v10
	s_delay_alu instid0(VALU_DEP_2)
	v_mov_b32_e32 v10, v11
; %bb.18:
	s_wait_alu 0xfffe
	s_or_b32 exec_lo, exec_lo, s1
	v_mov_b32_dpp v14, v12 row_shr:4 row_mask:0xf bank_mask:0xf
	v_mov_b32_dpp v13, v11 row_shr:4 row_mask:0xf bank_mask:0xf
	s_mov_b32 s1, exec_lo
	v_cmpx_lt_u32_e32 3, v32
	;; [unrolled: 19-line block ×3, first 2 shown]
; %bb.21:
	s_delay_alu instid0(VALU_DEP_3) | instskip(SKIP_2) | instid1(VALU_DEP_2)
	v_add_co_u32 v12, vcc_lo, v9, v14
	s_wait_alu 0xfffd
	v_add_co_ci_u32_e64 v10, null, 0, v10, vcc_lo
	v_add_co_u32 v9, vcc_lo, 0, v12
	s_wait_alu 0xfffd
	s_delay_alu instid0(VALU_DEP_2) | instskip(NEXT) | instid1(VALU_DEP_1)
	v_add_co_ci_u32_e64 v10, null, v13, v10, vcc_lo
	v_mov_b32_e32 v11, v10
; %bb.22:
	s_wait_alu 0xfffe
	s_or_b32 exec_lo, exec_lo, s1
	ds_swizzle_b32 v13, v12 offset:swizzle(BROADCAST,32,15)
	ds_swizzle_b32 v11, v11 offset:swizzle(BROADCAST,32,15)
	v_and_b32_e32 v14, 16, v31
	s_mov_b32 s1, exec_lo
	s_delay_alu instid0(VALU_DEP_1)
	v_cmpx_ne_u32_e32 0, v14
	s_cbranch_execz .LBB1634_24
; %bb.23:
	s_wait_dscnt 0x1
	v_add_co_u32 v12, vcc_lo, v9, v13
	s_wait_alu 0xfffd
	v_add_co_ci_u32_e64 v10, null, 0, v10, vcc_lo
	s_delay_alu instid0(VALU_DEP_2) | instskip(SKIP_2) | instid1(VALU_DEP_2)
	v_add_co_u32 v9, vcc_lo, 0, v12
	s_wait_dscnt 0x0
	s_wait_alu 0xfffd
	v_add_co_ci_u32_e64 v10, null, v11, v10, vcc_lo
.LBB1634_24:
	s_wait_alu 0xfffe
	s_or_b32 exec_lo, exec_lo, s1
	s_wait_dscnt 0x1
	v_or_b32_e32 v13, 31, v0
	s_wait_dscnt 0x0
	v_lshrrev_b32_e32 v11, 5, v0
	s_mov_b32 s1, exec_lo
	s_delay_alu instid0(VALU_DEP_2)
	v_cmpx_eq_u32_e64 v0, v13
; %bb.25:
	s_delay_alu instid0(VALU_DEP_2)
	v_lshlrev_b32_e32 v13, 3, v11
	ds_store_b64 v13, v[9:10]
; %bb.26:
	s_wait_alu 0xfffe
	s_or_b32 exec_lo, exec_lo, s1
	s_delay_alu instid0(SALU_CYCLE_1)
	s_mov_b32 s1, exec_lo
	s_wait_loadcnt_dscnt 0x0
	s_barrier_signal -1
	s_barrier_wait -1
	global_inv scope:SCOPE_SE
	v_cmpx_gt_u32_e32 8, v0
	s_cbranch_execz .LBB1634_34
; %bb.27:
	v_lshlrev_b32_e32 v13, 3, v0
	s_mov_b32 s2, exec_lo
	ds_load_b64 v[9:10], v13
	s_wait_dscnt 0x0
	v_dual_mov_b32 v15, v9 :: v_dual_and_b32 v14, 7, v31
	v_mov_b32_dpp v19, v9 row_shr:1 row_mask:0xf bank_mask:0xf
	v_mov_b32_dpp v16, v10 row_shr:1 row_mask:0xf bank_mask:0xf
	s_delay_alu instid0(VALU_DEP_3)
	v_cmpx_ne_u32_e32 0, v14
; %bb.28:
	s_delay_alu instid0(VALU_DEP_3) | instskip(SKIP_2) | instid1(VALU_DEP_2)
	v_add_co_u32 v15, vcc_lo, v9, v19
	s_wait_alu 0xfffd
	v_add_co_ci_u32_e64 v10, null, 0, v10, vcc_lo
	v_add_co_u32 v9, vcc_lo, 0, v15
	s_wait_alu 0xfffd
	s_delay_alu instid0(VALU_DEP_2)
	v_add_co_ci_u32_e64 v10, null, v16, v10, vcc_lo
; %bb.29:
	s_wait_alu 0xfffe
	s_or_b32 exec_lo, exec_lo, s2
	v_mov_b32_dpp v19, v15 row_shr:2 row_mask:0xf bank_mask:0xf
	s_delay_alu instid0(VALU_DEP_2)
	v_mov_b32_dpp v16, v10 row_shr:2 row_mask:0xf bank_mask:0xf
	s_mov_b32 s2, exec_lo
	v_cmpx_lt_u32_e32 1, v14
; %bb.30:
	s_delay_alu instid0(VALU_DEP_3) | instskip(SKIP_2) | instid1(VALU_DEP_2)
	v_add_co_u32 v15, vcc_lo, v9, v19
	s_wait_alu 0xfffd
	v_add_co_ci_u32_e64 v10, null, 0, v10, vcc_lo
	v_add_co_u32 v9, vcc_lo, 0, v15
	s_wait_alu 0xfffd
	s_delay_alu instid0(VALU_DEP_2)
	v_add_co_ci_u32_e64 v10, null, v16, v10, vcc_lo
; %bb.31:
	s_wait_alu 0xfffe
	s_or_b32 exec_lo, exec_lo, s2
	v_mov_b32_dpp v16, v15 row_shr:4 row_mask:0xf bank_mask:0xf
	s_delay_alu instid0(VALU_DEP_2)
	v_mov_b32_dpp v15, v10 row_shr:4 row_mask:0xf bank_mask:0xf
	s_mov_b32 s2, exec_lo
	v_cmpx_lt_u32_e32 3, v14
; %bb.32:
	s_delay_alu instid0(VALU_DEP_3) | instskip(SKIP_2) | instid1(VALU_DEP_2)
	v_add_co_u32 v9, vcc_lo, v9, v16
	s_wait_alu 0xfffd
	v_add_co_ci_u32_e64 v10, null, 0, v10, vcc_lo
	v_add_co_u32 v9, vcc_lo, v9, 0
	s_wait_alu 0xfffd
	s_delay_alu instid0(VALU_DEP_2)
	v_add_co_ci_u32_e64 v10, null, v10, v15, vcc_lo
; %bb.33:
	s_wait_alu 0xfffe
	s_or_b32 exec_lo, exec_lo, s2
	ds_store_b64 v13, v[9:10]
.LBB1634_34:
	s_wait_alu 0xfffe
	s_or_b32 exec_lo, exec_lo, s1
	s_delay_alu instid0(SALU_CYCLE_1)
	s_mov_b32 s2, exec_lo
	v_cmp_gt_u32_e32 vcc_lo, 32, v0
	s_wait_loadcnt_dscnt 0x0
	s_barrier_signal -1
	s_barrier_wait -1
	global_inv scope:SCOPE_SE
                                        ; implicit-def: $vgpr19_vgpr20
	v_cmpx_lt_u32_e32 31, v0
	s_cbranch_execz .LBB1634_36
; %bb.35:
	v_lshl_add_u32 v9, v11, 3, -8
	ds_load_b64 v[19:20], v9
	s_wait_dscnt 0x0
	v_add_nc_u32_e32 v12, v12, v19
.LBB1634_36:
	s_wait_alu 0xfffe
	s_or_b32 exec_lo, exec_lo, s2
	v_sub_co_u32 v9, s1, v31, 1
	s_delay_alu instid0(VALU_DEP_1) | instskip(SKIP_1) | instid1(VALU_DEP_1)
	v_cmp_gt_i32_e64 s2, 0, v9
	s_wait_alu 0xf1ff
	v_cndmask_b32_e64 v9, v9, v31, s2
	s_delay_alu instid0(VALU_DEP_1)
	v_lshlrev_b32_e32 v9, 2, v9
	ds_bpermute_b32 v33, v9, v12
	s_and_saveexec_b32 s2, vcc_lo
	s_cbranch_execz .LBB1634_75
; %bb.37:
	v_mov_b32_e32 v12, 0
	ds_load_b64 v[9:10], v12 offset:56
	s_and_saveexec_b32 s3, s1
	s_cbranch_execz .LBB1634_39
; %bb.38:
	s_add_co_i32 s6, ttmp9, 32
	s_mov_b32 s7, 0
	s_wait_alu 0xfffe
	s_lshl_b64 s[6:7], s[6:7], 4
	s_wait_kmcnt 0x0
	s_wait_alu 0xfffe
	s_add_nc_u64 s[6:7], s[4:5], s[6:7]
	s_wait_alu 0xfffe
	v_dual_mov_b32 v11, 1 :: v_dual_mov_b32 v14, s7
	v_mov_b32_e32 v13, s6
	s_wait_dscnt 0x0
	;;#ASMSTART
	global_store_b128 v[13:14], v[9:12] off scope:SCOPE_DEV	
s_wait_storecnt 0x0
	;;#ASMEND
.LBB1634_39:
	s_wait_alu 0xfffe
	s_or_b32 exec_lo, exec_lo, s3
	v_xad_u32 v21, v31, -1, ttmp9
	s_mov_b32 s6, 0
	s_mov_b32 s3, exec_lo
	s_delay_alu instid0(VALU_DEP_1) | instskip(NEXT) | instid1(VALU_DEP_1)
	v_add_nc_u32_e32 v11, 32, v21
	v_lshlrev_b64_e32 v[11:12], 4, v[11:12]
	s_wait_kmcnt 0x0
	s_delay_alu instid0(VALU_DEP_1) | instskip(SKIP_1) | instid1(VALU_DEP_2)
	v_add_co_u32 v11, vcc_lo, s4, v11
	s_wait_alu 0xfffd
	v_add_co_ci_u32_e64 v12, null, s5, v12, vcc_lo
	;;#ASMSTART
	global_load_b128 v[13:16], v[11:12] off scope:SCOPE_DEV	
s_wait_loadcnt 0x0
	;;#ASMEND
	v_and_b32_e32 v16, 0xff, v15
	s_delay_alu instid0(VALU_DEP_1)
	v_cmpx_eq_u16_e32 0, v16
	s_cbranch_execz .LBB1634_42
.LBB1634_40:                            ; =>This Inner Loop Header: Depth=1
	;;#ASMSTART
	global_load_b128 v[13:16], v[11:12] off scope:SCOPE_DEV	
s_wait_loadcnt 0x0
	;;#ASMEND
	v_and_b32_e32 v16, 0xff, v15
	s_delay_alu instid0(VALU_DEP_1)
	v_cmp_ne_u16_e32 vcc_lo, 0, v16
	s_wait_alu 0xfffe
	s_or_b32 s6, vcc_lo, s6
	s_wait_alu 0xfffe
	s_and_not1_b32 exec_lo, exec_lo, s6
	s_cbranch_execnz .LBB1634_40
; %bb.41:
	s_or_b32 exec_lo, exec_lo, s6
.LBB1634_42:
	s_wait_alu 0xfffe
	s_or_b32 exec_lo, exec_lo, s3
	v_cmp_ne_u32_e32 vcc_lo, 31, v31
	v_and_b32_e32 v12, 0xff, v15
	v_lshlrev_b32_e64 v35, v31, -1
	s_mov_b32 s3, exec_lo
	s_wait_alu 0xfffd
	v_add_co_ci_u32_e64 v11, null, 0, v31, vcc_lo
	v_cmp_eq_u16_e32 vcc_lo, 2, v12
	v_mov_b32_e32 v12, v13
	s_delay_alu instid0(VALU_DEP_3)
	v_lshlrev_b32_e32 v34, 2, v11
	s_wait_alu 0xfffd
	v_and_or_b32 v11, vcc_lo, v35, 0x80000000
	ds_bpermute_b32 v22, v34, v13
	ds_bpermute_b32 v16, v34, v14
	v_ctz_i32_b32_e32 v11, v11
	s_delay_alu instid0(VALU_DEP_1)
	v_cmpx_lt_u32_e64 v31, v11
	s_cbranch_execz .LBB1634_44
; %bb.43:
	s_wait_dscnt 0x1
	v_add_co_u32 v12, vcc_lo, v13, v22
	s_wait_alu 0xfffd
	v_add_co_ci_u32_e64 v14, null, 0, v14, vcc_lo
	s_delay_alu instid0(VALU_DEP_2) | instskip(SKIP_2) | instid1(VALU_DEP_2)
	v_add_co_u32 v13, vcc_lo, 0, v12
	s_wait_dscnt 0x0
	s_wait_alu 0xfffd
	v_add_co_ci_u32_e64 v14, null, v16, v14, vcc_lo
.LBB1634_44:
	s_wait_alu 0xfffe
	s_or_b32 exec_lo, exec_lo, s3
	v_cmp_gt_u32_e32 vcc_lo, 30, v31
	v_add_nc_u32_e32 v37, 2, v31
	s_mov_b32 s3, exec_lo
	s_wait_dscnt 0x0
	s_wait_alu 0xfffd
	v_cndmask_b32_e64 v16, 0, 2, vcc_lo
	s_delay_alu instid0(VALU_DEP_1)
	v_add_lshl_u32 v36, v16, v31, 2
	ds_bpermute_b32 v22, v36, v12
	ds_bpermute_b32 v16, v36, v14
	v_cmpx_le_u32_e64 v37, v11
	s_cbranch_execz .LBB1634_46
; %bb.45:
	s_wait_dscnt 0x1
	v_add_co_u32 v12, vcc_lo, v13, v22
	s_wait_alu 0xfffd
	v_add_co_ci_u32_e64 v14, null, 0, v14, vcc_lo
	s_delay_alu instid0(VALU_DEP_2) | instskip(SKIP_2) | instid1(VALU_DEP_2)
	v_add_co_u32 v13, vcc_lo, 0, v12
	s_wait_dscnt 0x0
	s_wait_alu 0xfffd
	v_add_co_ci_u32_e64 v14, null, v16, v14, vcc_lo
.LBB1634_46:
	s_wait_alu 0xfffe
	s_or_b32 exec_lo, exec_lo, s3
	v_cmp_gt_u32_e32 vcc_lo, 28, v31
	v_add_nc_u32_e32 v39, 4, v31
	s_mov_b32 s3, exec_lo
	s_wait_dscnt 0x0
	s_wait_alu 0xfffd
	v_cndmask_b32_e64 v16, 0, 4, vcc_lo
	s_delay_alu instid0(VALU_DEP_1)
	v_add_lshl_u32 v38, v16, v31, 2
	ds_bpermute_b32 v22, v38, v12
	ds_bpermute_b32 v16, v38, v14
	v_cmpx_le_u32_e64 v39, v11
	;; [unrolled: 25-line block ×3, first 2 shown]
	s_cbranch_execz .LBB1634_50
; %bb.49:
	s_wait_dscnt 0x1
	v_add_co_u32 v12, vcc_lo, v13, v22
	s_wait_alu 0xfffd
	v_add_co_ci_u32_e64 v14, null, 0, v14, vcc_lo
	s_delay_alu instid0(VALU_DEP_2) | instskip(SKIP_2) | instid1(VALU_DEP_2)
	v_add_co_u32 v13, vcc_lo, 0, v12
	s_wait_dscnt 0x0
	s_wait_alu 0xfffd
	v_add_co_ci_u32_e64 v14, null, v16, v14, vcc_lo
.LBB1634_50:
	s_wait_alu 0xfffe
	s_or_b32 exec_lo, exec_lo, s3
	v_lshl_or_b32 v42, v31, 2, 64
	v_add_nc_u32_e32 v43, 16, v31
	s_mov_b32 s3, exec_lo
	s_wait_dscnt 0x0
	ds_bpermute_b32 v16, v42, v12
	ds_bpermute_b32 v12, v42, v14
	v_cmpx_le_u32_e64 v43, v11
	s_cbranch_execz .LBB1634_52
; %bb.51:
	s_wait_dscnt 0x1
	v_add_co_u32 v11, vcc_lo, v13, v16
	s_wait_alu 0xfffd
	v_add_co_ci_u32_e64 v14, null, 0, v14, vcc_lo
	s_delay_alu instid0(VALU_DEP_2) | instskip(SKIP_2) | instid1(VALU_DEP_2)
	v_add_co_u32 v13, vcc_lo, v11, 0
	s_wait_dscnt 0x0
	s_wait_alu 0xfffd
	v_add_co_ci_u32_e64 v14, null, v14, v12, vcc_lo
.LBB1634_52:
	s_wait_alu 0xfffe
	s_or_b32 exec_lo, exec_lo, s3
	v_mov_b32_e32 v22, 0
	s_branch .LBB1634_55
.LBB1634_53:                            ;   in Loop: Header=BB1634_55 Depth=1
	s_wait_alu 0xfffe
	s_or_b32 exec_lo, exec_lo, s3
	v_add_co_u32 v13, vcc_lo, v13, v11
	v_subrev_nc_u32_e32 v21, 32, v21
	s_wait_alu 0xfffd
	v_add_co_ci_u32_e64 v14, null, v14, v12, vcc_lo
	s_mov_b32 s3, 0
.LBB1634_54:                            ;   in Loop: Header=BB1634_55 Depth=1
	s_wait_alu 0xfffe
	s_and_b32 vcc_lo, exec_lo, s3
	s_wait_alu 0xfffe
	s_cbranch_vccnz .LBB1634_71
.LBB1634_55:                            ; =>This Loop Header: Depth=1
                                        ;     Child Loop BB1634_58 Depth 2
	v_and_b32_e32 v11, 0xff, v15
	s_mov_b32 s3, -1
	s_delay_alu instid0(VALU_DEP_1)
	v_cmp_ne_u16_e32 vcc_lo, 2, v11
	s_wait_dscnt 0x0
	v_dual_mov_b32 v11, v13 :: v_dual_mov_b32 v12, v14
                                        ; implicit-def: $vgpr13_vgpr14
	s_cmp_lg_u32 vcc_lo, exec_lo
	s_cbranch_scc1 .LBB1634_54
; %bb.56:                               ;   in Loop: Header=BB1634_55 Depth=1
	v_lshlrev_b64_e32 v[13:14], 4, v[21:22]
	s_mov_b32 s3, exec_lo
	s_delay_alu instid0(VALU_DEP_1) | instskip(SKIP_1) | instid1(VALU_DEP_2)
	v_add_co_u32 v23, vcc_lo, s4, v13
	s_wait_alu 0xfffd
	v_add_co_ci_u32_e64 v24, null, s5, v14, vcc_lo
	;;#ASMSTART
	global_load_b128 v[13:16], v[23:24] off scope:SCOPE_DEV	
s_wait_loadcnt 0x0
	;;#ASMEND
	v_and_b32_e32 v16, 0xff, v15
	s_delay_alu instid0(VALU_DEP_1)
	v_cmpx_eq_u16_e32 0, v16
	s_cbranch_execz .LBB1634_60
; %bb.57:                               ;   in Loop: Header=BB1634_55 Depth=1
	s_mov_b32 s6, 0
.LBB1634_58:                            ;   Parent Loop BB1634_55 Depth=1
                                        ; =>  This Inner Loop Header: Depth=2
	;;#ASMSTART
	global_load_b128 v[13:16], v[23:24] off scope:SCOPE_DEV	
s_wait_loadcnt 0x0
	;;#ASMEND
	v_and_b32_e32 v16, 0xff, v15
	s_delay_alu instid0(VALU_DEP_1)
	v_cmp_ne_u16_e32 vcc_lo, 0, v16
	s_wait_alu 0xfffe
	s_or_b32 s6, vcc_lo, s6
	s_wait_alu 0xfffe
	s_and_not1_b32 exec_lo, exec_lo, s6
	s_cbranch_execnz .LBB1634_58
; %bb.59:                               ;   in Loop: Header=BB1634_55 Depth=1
	s_or_b32 exec_lo, exec_lo, s6
.LBB1634_60:                            ;   in Loop: Header=BB1634_55 Depth=1
	s_wait_alu 0xfffe
	s_or_b32 exec_lo, exec_lo, s3
	v_dual_mov_b32 v23, v13 :: v_dual_and_b32 v16, 0xff, v15
	ds_bpermute_b32 v44, v34, v13
	ds_bpermute_b32 v24, v34, v14
	s_mov_b32 s3, exec_lo
	v_cmp_eq_u16_e32 vcc_lo, 2, v16
	s_wait_alu 0xfffd
	v_and_or_b32 v16, vcc_lo, v35, 0x80000000
	s_delay_alu instid0(VALU_DEP_1) | instskip(NEXT) | instid1(VALU_DEP_1)
	v_ctz_i32_b32_e32 v16, v16
	v_cmpx_lt_u32_e64 v31, v16
	s_cbranch_execz .LBB1634_62
; %bb.61:                               ;   in Loop: Header=BB1634_55 Depth=1
	s_wait_dscnt 0x1
	v_add_co_u32 v23, vcc_lo, v13, v44
	s_wait_alu 0xfffd
	v_add_co_ci_u32_e64 v14, null, 0, v14, vcc_lo
	s_delay_alu instid0(VALU_DEP_2) | instskip(SKIP_2) | instid1(VALU_DEP_2)
	v_add_co_u32 v13, vcc_lo, 0, v23
	s_wait_dscnt 0x0
	s_wait_alu 0xfffd
	v_add_co_ci_u32_e64 v14, null, v24, v14, vcc_lo
.LBB1634_62:                            ;   in Loop: Header=BB1634_55 Depth=1
	s_wait_alu 0xfffe
	s_or_b32 exec_lo, exec_lo, s3
	s_wait_dscnt 0x1
	ds_bpermute_b32 v44, v36, v23
	s_wait_dscnt 0x1
	ds_bpermute_b32 v24, v36, v14
	s_mov_b32 s3, exec_lo
	v_cmpx_le_u32_e64 v37, v16
	s_cbranch_execz .LBB1634_64
; %bb.63:                               ;   in Loop: Header=BB1634_55 Depth=1
	s_wait_dscnt 0x1
	v_add_co_u32 v23, vcc_lo, v13, v44
	s_wait_alu 0xfffd
	v_add_co_ci_u32_e64 v14, null, 0, v14, vcc_lo
	s_delay_alu instid0(VALU_DEP_2) | instskip(SKIP_2) | instid1(VALU_DEP_2)
	v_add_co_u32 v13, vcc_lo, 0, v23
	s_wait_dscnt 0x0
	s_wait_alu 0xfffd
	v_add_co_ci_u32_e64 v14, null, v24, v14, vcc_lo
.LBB1634_64:                            ;   in Loop: Header=BB1634_55 Depth=1
	s_wait_alu 0xfffe
	s_or_b32 exec_lo, exec_lo, s3
	s_wait_dscnt 0x1
	ds_bpermute_b32 v44, v38, v23
	s_wait_dscnt 0x1
	ds_bpermute_b32 v24, v38, v14
	s_mov_b32 s3, exec_lo
	v_cmpx_le_u32_e64 v39, v16
	;; [unrolled: 20-line block ×3, first 2 shown]
	s_cbranch_execz .LBB1634_68
; %bb.67:                               ;   in Loop: Header=BB1634_55 Depth=1
	s_wait_dscnt 0x1
	v_add_co_u32 v23, vcc_lo, v13, v44
	s_wait_alu 0xfffd
	v_add_co_ci_u32_e64 v14, null, 0, v14, vcc_lo
	s_delay_alu instid0(VALU_DEP_2) | instskip(SKIP_2) | instid1(VALU_DEP_2)
	v_add_co_u32 v13, vcc_lo, 0, v23
	s_wait_dscnt 0x0
	s_wait_alu 0xfffd
	v_add_co_ci_u32_e64 v14, null, v24, v14, vcc_lo
.LBB1634_68:                            ;   in Loop: Header=BB1634_55 Depth=1
	s_wait_alu 0xfffe
	s_or_b32 exec_lo, exec_lo, s3
	s_wait_dscnt 0x0
	ds_bpermute_b32 v24, v42, v23
	ds_bpermute_b32 v23, v42, v14
	s_mov_b32 s3, exec_lo
	v_cmpx_le_u32_e64 v43, v16
	s_cbranch_execz .LBB1634_53
; %bb.69:                               ;   in Loop: Header=BB1634_55 Depth=1
	s_wait_dscnt 0x1
	v_add_co_u32 v13, vcc_lo, v13, v24
	s_wait_alu 0xfffd
	v_add_co_ci_u32_e64 v14, null, 0, v14, vcc_lo
	s_delay_alu instid0(VALU_DEP_2) | instskip(SKIP_2) | instid1(VALU_DEP_2)
	v_add_co_u32 v13, vcc_lo, v13, 0
	s_wait_dscnt 0x0
	s_wait_alu 0xfffd
	v_add_co_ci_u32_e64 v14, null, v14, v23, vcc_lo
	s_branch .LBB1634_53
.LBB1634_70:
                                        ; implicit-def: $vgpr13_vgpr14
                                        ; implicit-def: $vgpr19_vgpr20
                                        ; implicit-def: $vgpr11_vgpr12
                                        ; implicit-def: $vgpr14_vgpr15
                                        ; implicit-def: $vgpr15_vgpr16
	s_and_b32 vcc_lo, exec_lo, s1
	s_wait_alu 0xfffe
	s_cbranch_vccnz .LBB1634_76
	s_branch .LBB1634_101
.LBB1634_71:
	s_and_saveexec_b32 s3, s1
	s_cbranch_execz .LBB1634_73
; %bb.72:
	s_add_co_i32 s6, ttmp9, 32
	s_mov_b32 s7, 0
	v_add_co_u32 v13, vcc_lo, v11, v9
	s_wait_alu 0xfffe
	s_lshl_b64 s[6:7], s[6:7], 4
	v_dual_mov_b32 v15, 2 :: v_dual_mov_b32 v16, 0
	s_wait_alu 0xfffe
	s_add_nc_u64 s[6:7], s[4:5], s[6:7]
	s_wait_alu 0xfffd
	v_add_co_ci_u32_e64 v14, null, v12, v10, vcc_lo
	s_wait_alu 0xfffe
	v_dual_mov_b32 v22, s7 :: v_dual_mov_b32 v21, s6
	;;#ASMSTART
	global_store_b128 v[21:22], v[13:16] off scope:SCOPE_DEV	
s_wait_storecnt 0x0
	;;#ASMEND
	ds_store_b128 v16, v[9:12] offset:8448
.LBB1634_73:
	s_wait_alu 0xfffe
	s_or_b32 exec_lo, exec_lo, s3
	v_cmp_eq_u32_e32 vcc_lo, 0, v0
	s_and_b32 exec_lo, exec_lo, vcc_lo
; %bb.74:
	v_mov_b32_e32 v9, 0
	ds_store_b64 v9, v[11:12] offset:56
.LBB1634_75:
	s_wait_alu 0xfffe
	s_or_b32 exec_lo, exec_lo, s2
	s_wait_dscnt 0x0
	v_cndmask_b32_e64 v10, v33, v19, s1
	v_cmp_ne_u32_e32 vcc_lo, 0, v0
	v_mov_b32_e32 v9, 0
	s_wait_loadcnt 0x0
	s_barrier_signal -1
	s_barrier_wait -1
	global_inv scope:SCOPE_SE
	s_wait_alu 0xfffd
	v_cndmask_b32_e32 v16, 0, v10, vcc_lo
	ds_load_b64 v[13:14], v9 offset:56
	v_cndmask_b32_e64 v11, 0, v20, s1
	s_wait_loadcnt_dscnt 0x0
	s_barrier_signal -1
	s_barrier_wait -1
	global_inv scope:SCOPE_SE
	v_cndmask_b32_e32 v15, 0, v11, vcc_lo
	ds_load_b128 v[9:12], v9 offset:8448
	v_add_co_u32 v19, vcc_lo, v13, v16
	s_wait_alu 0xfffd
	v_add_co_ci_u32_e64 v13, null, v14, v15, vcc_lo
	s_delay_alu instid0(VALU_DEP_2) | instskip(SKIP_1) | instid1(VALU_DEP_2)
	v_add_co_u32 v15, vcc_lo, v19, v29
	s_wait_alu 0xfffd
	v_add_co_ci_u32_e64 v13, null, 0, v13, vcc_lo
	s_delay_alu instid0(VALU_DEP_2) | instskip(SKIP_1) | instid1(VALU_DEP_2)
	;; [unrolled: 4-line block ×3, first 2 shown]
	v_add_co_u32 v13, vcc_lo, v14, v30
	s_wait_alu 0xfffd
	v_add_co_ci_u32_e64 v16, null, 0, v16, vcc_lo
	s_branch .LBB1634_101
.LBB1634_76:
	s_wait_dscnt 0x0
	v_dual_mov_b32 v10, 0 :: v_dual_mov_b32 v11, v17
	v_mov_b32_dpp v12, v17 row_shr:1 row_mask:0xf bank_mask:0xf
	s_delay_alu instid0(VALU_DEP_2)
	v_mov_b32_dpp v9, v10 row_shr:1 row_mask:0xf bank_mask:0xf
	s_and_saveexec_b32 s1, s0
; %bb.77:
	s_delay_alu instid0(VALU_DEP_2) | instskip(SKIP_2) | instid1(VALU_DEP_2)
	v_add_co_u32 v11, vcc_lo, v17, v12
	s_wait_alu 0xfffd
	v_add_co_ci_u32_e64 v10, null, 0, v18, vcc_lo
	v_add_co_u32 v17, vcc_lo, 0, v11
	s_wait_alu 0xfffd
	s_delay_alu instid0(VALU_DEP_2) | instskip(NEXT) | instid1(VALU_DEP_1)
	v_add_co_ci_u32_e64 v18, null, v9, v10, vcc_lo
	v_mov_b32_e32 v10, v18
; %bb.78:
	s_wait_alu 0xfffe
	s_or_b32 exec_lo, exec_lo, s1
	v_mov_b32_dpp v9, v11 row_shr:2 row_mask:0xf bank_mask:0xf
	s_delay_alu instid0(VALU_DEP_2)
	v_mov_b32_dpp v12, v10 row_shr:2 row_mask:0xf bank_mask:0xf
	s_mov_b32 s0, exec_lo
	v_cmpx_lt_u32_e32 1, v32
; %bb.79:
	s_delay_alu instid0(VALU_DEP_3) | instskip(SKIP_2) | instid1(VALU_DEP_2)
	v_add_co_u32 v11, vcc_lo, v17, v9
	s_wait_alu 0xfffd
	v_add_co_ci_u32_e64 v10, null, 0, v18, vcc_lo
	v_add_co_u32 v9, vcc_lo, 0, v11
	s_wait_alu 0xfffd
	s_delay_alu instid0(VALU_DEP_2) | instskip(NEXT) | instid1(VALU_DEP_1)
	v_add_co_ci_u32_e64 v10, null, v12, v10, vcc_lo
	v_dual_mov_b32 v18, v10 :: v_dual_mov_b32 v17, v9
; %bb.80:
	s_wait_alu 0xfffe
	s_or_b32 exec_lo, exec_lo, s0
	v_mov_b32_dpp v9, v11 row_shr:4 row_mask:0xf bank_mask:0xf
	v_mov_b32_dpp v12, v10 row_shr:4 row_mask:0xf bank_mask:0xf
	s_mov_b32 s0, exec_lo
	v_cmpx_lt_u32_e32 3, v32
; %bb.81:
	s_delay_alu instid0(VALU_DEP_3) | instskip(SKIP_2) | instid1(VALU_DEP_2)
	v_add_co_u32 v11, vcc_lo, v17, v9
	s_wait_alu 0xfffd
	v_add_co_ci_u32_e64 v10, null, 0, v18, vcc_lo
	v_add_co_u32 v9, vcc_lo, 0, v11
	s_wait_alu 0xfffd
	s_delay_alu instid0(VALU_DEP_2) | instskip(NEXT) | instid1(VALU_DEP_1)
	v_add_co_ci_u32_e64 v10, null, v12, v10, vcc_lo
	v_dual_mov_b32 v18, v10 :: v_dual_mov_b32 v17, v9
; %bb.82:
	s_wait_alu 0xfffe
	s_or_b32 exec_lo, exec_lo, s0
	v_mov_b32_dpp v12, v11 row_shr:8 row_mask:0xf bank_mask:0xf
	v_mov_b32_dpp v9, v10 row_shr:8 row_mask:0xf bank_mask:0xf
	s_mov_b32 s0, exec_lo
	v_cmpx_lt_u32_e32 7, v32
; %bb.83:
	s_delay_alu instid0(VALU_DEP_3) | instskip(SKIP_2) | instid1(VALU_DEP_2)
	v_add_co_u32 v11, vcc_lo, v17, v12
	s_wait_alu 0xfffd
	v_add_co_ci_u32_e64 v10, null, 0, v18, vcc_lo
	v_add_co_u32 v17, vcc_lo, 0, v11
	s_wait_alu 0xfffd
	s_delay_alu instid0(VALU_DEP_2) | instskip(NEXT) | instid1(VALU_DEP_1)
	v_add_co_ci_u32_e64 v18, null, v9, v10, vcc_lo
	v_mov_b32_e32 v10, v18
; %bb.84:
	s_wait_alu 0xfffe
	s_or_b32 exec_lo, exec_lo, s0
	ds_swizzle_b32 v11, v11 offset:swizzle(BROADCAST,32,15)
	ds_swizzle_b32 v9, v10 offset:swizzle(BROADCAST,32,15)
	v_and_b32_e32 v10, 16, v31
	s_mov_b32 s0, exec_lo
	s_delay_alu instid0(VALU_DEP_1)
	v_cmpx_ne_u32_e32 0, v10
	s_cbranch_execz .LBB1634_86
; %bb.85:
	s_wait_dscnt 0x1
	v_add_co_u32 v10, vcc_lo, v17, v11
	s_wait_alu 0xfffd
	v_add_co_ci_u32_e64 v11, null, 0, v18, vcc_lo
	s_delay_alu instid0(VALU_DEP_2) | instskip(SKIP_2) | instid1(VALU_DEP_2)
	v_add_co_u32 v17, vcc_lo, v10, 0
	s_wait_dscnt 0x0
	s_wait_alu 0xfffd
	v_add_co_ci_u32_e64 v18, null, v11, v9, vcc_lo
.LBB1634_86:
	s_wait_alu 0xfffe
	s_or_b32 exec_lo, exec_lo, s0
	s_wait_dscnt 0x0
	v_or_b32_e32 v9, 31, v0
	v_lshrrev_b32_e32 v11, 5, v0
	s_mov_b32 s0, exec_lo
	s_delay_alu instid0(VALU_DEP_2)
	v_cmpx_eq_u32_e64 v0, v9
; %bb.87:
	s_delay_alu instid0(VALU_DEP_2)
	v_lshlrev_b32_e32 v9, 3, v11
	ds_store_b64 v9, v[17:18]
; %bb.88:
	s_wait_alu 0xfffe
	s_or_b32 exec_lo, exec_lo, s0
	s_delay_alu instid0(SALU_CYCLE_1)
	s_mov_b32 s0, exec_lo
	s_wait_loadcnt_dscnt 0x0
	s_barrier_signal -1
	s_barrier_wait -1
	global_inv scope:SCOPE_SE
	v_cmpx_gt_u32_e32 8, v0
	s_cbranch_execz .LBB1634_96
; %bb.89:
	v_lshlrev_b32_e32 v12, 3, v0
	s_mov_b32 s1, exec_lo
	ds_load_b64 v[9:10], v12
	s_wait_dscnt 0x0
	v_dual_mov_b32 v14, v9 :: v_dual_and_b32 v13, 7, v31
	v_mov_b32_dpp v16, v9 row_shr:1 row_mask:0xf bank_mask:0xf
	v_mov_b32_dpp v15, v10 row_shr:1 row_mask:0xf bank_mask:0xf
	s_delay_alu instid0(VALU_DEP_3)
	v_cmpx_ne_u32_e32 0, v13
; %bb.90:
	s_delay_alu instid0(VALU_DEP_3) | instskip(SKIP_2) | instid1(VALU_DEP_2)
	v_add_co_u32 v14, vcc_lo, v9, v16
	s_wait_alu 0xfffd
	v_add_co_ci_u32_e64 v10, null, 0, v10, vcc_lo
	v_add_co_u32 v9, vcc_lo, 0, v14
	s_wait_alu 0xfffd
	s_delay_alu instid0(VALU_DEP_2)
	v_add_co_ci_u32_e64 v10, null, v15, v10, vcc_lo
; %bb.91:
	s_wait_alu 0xfffe
	s_or_b32 exec_lo, exec_lo, s1
	v_mov_b32_dpp v16, v14 row_shr:2 row_mask:0xf bank_mask:0xf
	s_delay_alu instid0(VALU_DEP_2)
	v_mov_b32_dpp v15, v10 row_shr:2 row_mask:0xf bank_mask:0xf
	s_mov_b32 s1, exec_lo
	v_cmpx_lt_u32_e32 1, v13
; %bb.92:
	s_delay_alu instid0(VALU_DEP_3) | instskip(SKIP_2) | instid1(VALU_DEP_2)
	v_add_co_u32 v14, vcc_lo, v9, v16
	s_wait_alu 0xfffd
	v_add_co_ci_u32_e64 v10, null, 0, v10, vcc_lo
	v_add_co_u32 v9, vcc_lo, 0, v14
	s_wait_alu 0xfffd
	s_delay_alu instid0(VALU_DEP_2)
	v_add_co_ci_u32_e64 v10, null, v15, v10, vcc_lo
; %bb.93:
	s_wait_alu 0xfffe
	s_or_b32 exec_lo, exec_lo, s1
	v_mov_b32_dpp v15, v14 row_shr:4 row_mask:0xf bank_mask:0xf
	s_delay_alu instid0(VALU_DEP_2)
	v_mov_b32_dpp v14, v10 row_shr:4 row_mask:0xf bank_mask:0xf
	s_mov_b32 s1, exec_lo
	v_cmpx_lt_u32_e32 3, v13
; %bb.94:
	s_delay_alu instid0(VALU_DEP_3) | instskip(SKIP_2) | instid1(VALU_DEP_2)
	v_add_co_u32 v9, vcc_lo, v9, v15
	s_wait_alu 0xfffd
	v_add_co_ci_u32_e64 v10, null, 0, v10, vcc_lo
	v_add_co_u32 v9, vcc_lo, v9, 0
	s_wait_alu 0xfffd
	s_delay_alu instid0(VALU_DEP_2)
	v_add_co_ci_u32_e64 v10, null, v10, v14, vcc_lo
; %bb.95:
	s_wait_alu 0xfffe
	s_or_b32 exec_lo, exec_lo, s1
	ds_store_b64 v12, v[9:10]
.LBB1634_96:
	s_wait_alu 0xfffe
	s_or_b32 exec_lo, exec_lo, s0
	v_mov_b32_e32 v13, 0
	v_mov_b32_e32 v14, 0
	s_mov_b32 s0, exec_lo
	s_wait_loadcnt_dscnt 0x0
	s_barrier_signal -1
	s_barrier_wait -1
	global_inv scope:SCOPE_SE
	v_cmpx_lt_u32_e32 31, v0
; %bb.97:
	v_lshl_add_u32 v9, v11, 3, -8
	ds_load_b64 v[13:14], v9
; %bb.98:
	s_wait_alu 0xfffe
	s_or_b32 exec_lo, exec_lo, s0
	v_sub_co_u32 v9, vcc_lo, v31, 1
	s_wait_dscnt 0x0
	v_add_nc_u32_e32 v10, v13, v17
	v_mov_b32_e32 v12, 0
	s_delay_alu instid0(VALU_DEP_3) | instskip(SKIP_1) | instid1(VALU_DEP_1)
	v_cmp_gt_i32_e64 s0, 0, v9
	s_wait_alu 0xf1ff
	v_cndmask_b32_e64 v9, v9, v31, s0
	v_cmp_eq_u32_e64 s0, 0, v0
	s_delay_alu instid0(VALU_DEP_2)
	v_lshlrev_b32_e32 v9, 2, v9
	ds_bpermute_b32 v15, v9, v10
	ds_load_b64 v[9:10], v12 offset:56
	s_and_saveexec_b32 s1, s0
	s_cbranch_execz .LBB1634_100
; %bb.99:
	s_wait_kmcnt 0x0
	s_add_nc_u64 s[2:3], s[4:5], 0x200
	v_mov_b32_e32 v11, 2
	s_wait_alu 0xfffe
	v_dual_mov_b32 v17, s3 :: v_dual_mov_b32 v16, s2
	s_wait_dscnt 0x0
	;;#ASMSTART
	global_store_b128 v[16:17], v[9:12] off scope:SCOPE_DEV	
s_wait_storecnt 0x0
	;;#ASMEND
.LBB1634_100:
	s_wait_alu 0xfffe
	s_or_b32 exec_lo, exec_lo, s1
	s_wait_dscnt 0x1
	s_wait_alu 0xfffd
	v_dual_cndmask_b32 v11, v15, v13 :: v_dual_cndmask_b32 v12, 0, v14
	s_wait_loadcnt_dscnt 0x0
	s_barrier_signal -1
	s_barrier_wait -1
	s_delay_alu instid0(VALU_DEP_1)
	v_cndmask_b32_e64 v19, v11, 0, s0
	v_cndmask_b32_e64 v11, v12, 0, s0
	global_inv scope:SCOPE_SE
	v_add_co_u32 v15, vcc_lo, v19, v29
	s_wait_alu 0xfffd
	v_add_co_ci_u32_e64 v11, null, 0, v11, vcc_lo
	s_delay_alu instid0(VALU_DEP_2) | instskip(SKIP_1) | instid1(VALU_DEP_2)
	v_add_co_u32 v14, vcc_lo, v15, v28
	s_wait_alu 0xfffd
	v_add_co_ci_u32_e64 v16, null, 0, v11, vcc_lo
	v_mov_b32_e32 v11, 0
	v_mov_b32_e32 v12, 0
	v_add_co_u32 v13, vcc_lo, v14, v30
	s_wait_alu 0xfffd
	v_add_co_ci_u32_e64 v16, null, 0, v16, vcc_lo
.LBB1634_101:
	s_wait_dscnt 0x0
	v_cmp_gt_u64_e32 vcc_lo, 0x101, v[9:10]
	s_cbranch_vccz .LBB1634_104
; %bb.102:
	v_cmp_eq_u32_e32 vcc_lo, 0, v0
	s_and_b32 s0, vcc_lo, s13
	s_wait_alu 0xfffe
	s_and_saveexec_b32 s1, s0
	s_cbranch_execnz .LBB1634_113
.LBB1634_103:
	s_endpgm
.LBB1634_104:
	v_and_b32_e32 v16, 1, v27
	s_mov_b32 s0, exec_lo
	s_delay_alu instid0(VALU_DEP_1)
	v_cmpx_eq_u32_e32 1, v16
; %bb.105:
	v_sub_nc_u32_e32 v16, v19, v11
	s_delay_alu instid0(VALU_DEP_1)
	v_lshlrev_b32_e32 v16, 3, v16
	ds_store_b64 v16, v[1:2]
; %bb.106:
	s_wait_alu 0xfffe
	s_or_b32 exec_lo, exec_lo, s0
	v_and_b32_e32 v1, 1, v26
	s_mov_b32 s0, exec_lo
	s_delay_alu instid0(VALU_DEP_1)
	v_cmpx_eq_u32_e32 1, v1
; %bb.107:
	v_sub_nc_u32_e32 v1, v15, v11
	s_delay_alu instid0(VALU_DEP_1)
	v_lshlrev_b32_e32 v1, 3, v1
	ds_store_b64 v1, v[5:6]
; %bb.108:
	s_wait_alu 0xfffe
	s_or_b32 exec_lo, exec_lo, s0
	;; [unrolled: 12-line block ×3, first 2 shown]
	s_and_saveexec_b32 s0, s12
; %bb.111:
	v_sub_nc_u32_e32 v1, v13, v11
	s_delay_alu instid0(VALU_DEP_1)
	v_lshlrev_b32_e32 v1, 3, v1
	ds_store_b64 v1, v[3:4]
; %bb.112:
	s_wait_alu 0xfffe
	s_or_b32 exec_lo, exec_lo, s0
	s_wait_loadcnt_dscnt 0x0
	s_barrier_signal -1
	s_barrier_wait -1
	global_inv scope:SCOPE_SE
	v_cmp_eq_u32_e32 vcc_lo, 0, v0
	s_and_b32 s0, vcc_lo, s13
	s_wait_alu 0xfffe
	s_and_saveexec_b32 s1, s0
	s_cbranch_execz .LBB1634_103
.LBB1634_113:
	v_add_co_u32 v0, vcc_lo, v9, s10
	s_wait_alu 0xfffd
	v_add_co_ci_u32_e64 v1, null, s11, v10, vcc_lo
	v_mov_b32_e32 v2, 0
	s_delay_alu instid0(VALU_DEP_3) | instskip(SKIP_1) | instid1(VALU_DEP_3)
	v_add_co_u32 v0, vcc_lo, v0, v11
	s_wait_alu 0xfffd
	v_add_co_ci_u32_e64 v1, null, v1, v12, vcc_lo
	global_store_b64 v2, v[0:1], s[8:9]
	s_endpgm
.LBB1634_114:
	v_dual_mov_b32 v15, v1 :: v_dual_lshlrev_b32 v2, 3, v0
	v_dual_mov_b32 v16, v1 :: v_dual_mov_b32 v17, v1
	v_dual_mov_b32 v18, v1 :: v_dual_mov_b32 v19, v1
	s_delay_alu instid0(VALU_DEP_3)
	v_add_co_u32 v2, s12, s2, v2
	s_wait_alu 0xf1ff
	v_add_co_ci_u32_e64 v3, null, s3, 0, s12
	v_mov_b32_e32 v20, v1
	flat_load_b64 v[13:14], v[2:3]
	s_wait_loadcnt_dscnt 0x0
	v_dual_mov_b32 v1, v13 :: v_dual_mov_b32 v2, v14
	v_dual_mov_b32 v3, v15 :: v_dual_mov_b32 v4, v16
	;; [unrolled: 1-line block ×4, first 2 shown]
	s_wait_alu 0xfffe
	s_or_b32 exec_lo, exec_lo, s5
	s_delay_alu instid0(SALU_CYCLE_1)
	s_mov_b32 s5, exec_lo
	v_cmpx_gt_u32_e64 s14, v12
	s_cbranch_execz .LBB1634_5
.LBB1634_115:
	v_lshlrev_b32_e32 v3, 3, v0
	s_delay_alu instid0(VALU_DEP_1)
	v_add_co_u32 v3, s12, s2, v3
	s_wait_alu 0xf1ff
	v_add_co_ci_u32_e64 v4, null, s3, 0, s12
	flat_load_b64 v[3:4], v[3:4] offset:2048
	s_wait_alu 0xfffe
	s_or_b32 exec_lo, exec_lo, s5
	s_delay_alu instid0(SALU_CYCLE_1)
	s_mov_b32 s5, exec_lo
	v_cmpx_gt_u32_e64 s14, v11
	s_cbranch_execz .LBB1634_6
.LBB1634_116:
	v_lshlrev_b32_e32 v5, 3, v0
	s_delay_alu instid0(VALU_DEP_1)
	v_add_co_u32 v5, s12, s2, v5
	s_wait_alu 0xf1ff
	v_add_co_ci_u32_e64 v6, null, s3, 0, s12
	flat_load_b64 v[5:6], v[5:6] offset:4096
	s_wait_alu 0xfffe
	s_or_b32 exec_lo, exec_lo, s5
	s_delay_alu instid0(SALU_CYCLE_1)
	s_mov_b32 s5, exec_lo
	v_cmpx_gt_u32_e64 s14, v10
	s_cbranch_execnz .LBB1634_7
	s_branch .LBB1634_8
	.section	.rodata,"a",@progbits
	.p2align	6, 0x0
	.amdhsa_kernel _ZN7rocprim17ROCPRIM_400000_NS6detail17trampoline_kernelINS0_14default_configENS1_25partition_config_selectorILNS1_17partition_subalgoE6EyNS0_10empty_typeEbEEZZNS1_14partition_implILS5_6ELb0ES3_mN6thrust23THRUST_200600_302600_NS6detail15normal_iteratorINSA_10device_ptrIyEEEEPS6_SG_NS0_5tupleIJNSA_16discard_iteratorINSA_11use_defaultEEES6_EEENSH_IJSG_SG_EEES6_PlJNSB_9not_fun_tINSB_14equal_to_valueIyEEEEEEE10hipError_tPvRmT3_T4_T5_T6_T7_T9_mT8_P12ihipStream_tbDpT10_ENKUlT_T0_E_clISt17integral_constantIbLb0EES1B_EEDaS16_S17_EUlS16_E_NS1_11comp_targetILNS1_3genE10ELNS1_11target_archE1200ELNS1_3gpuE4ELNS1_3repE0EEENS1_30default_config_static_selectorELNS0_4arch9wavefront6targetE0EEEvT1_
		.amdhsa_group_segment_fixed_size 8464
		.amdhsa_private_segment_fixed_size 0
		.amdhsa_kernarg_size 128
		.amdhsa_user_sgpr_count 2
		.amdhsa_user_sgpr_dispatch_ptr 0
		.amdhsa_user_sgpr_queue_ptr 0
		.amdhsa_user_sgpr_kernarg_segment_ptr 1
		.amdhsa_user_sgpr_dispatch_id 0
		.amdhsa_user_sgpr_private_segment_size 0
		.amdhsa_wavefront_size32 1
		.amdhsa_uses_dynamic_stack 0
		.amdhsa_enable_private_segment 0
		.amdhsa_system_sgpr_workgroup_id_x 1
		.amdhsa_system_sgpr_workgroup_id_y 0
		.amdhsa_system_sgpr_workgroup_id_z 0
		.amdhsa_system_sgpr_workgroup_info 0
		.amdhsa_system_vgpr_workitem_id 0
		.amdhsa_next_free_vgpr 45
		.amdhsa_next_free_sgpr 21
		.amdhsa_reserve_vcc 1
		.amdhsa_float_round_mode_32 0
		.amdhsa_float_round_mode_16_64 0
		.amdhsa_float_denorm_mode_32 3
		.amdhsa_float_denorm_mode_16_64 3
		.amdhsa_fp16_overflow 0
		.amdhsa_workgroup_processor_mode 1
		.amdhsa_memory_ordered 1
		.amdhsa_forward_progress 1
		.amdhsa_inst_pref_size 45
		.amdhsa_round_robin_scheduling 0
		.amdhsa_exception_fp_ieee_invalid_op 0
		.amdhsa_exception_fp_denorm_src 0
		.amdhsa_exception_fp_ieee_div_zero 0
		.amdhsa_exception_fp_ieee_overflow 0
		.amdhsa_exception_fp_ieee_underflow 0
		.amdhsa_exception_fp_ieee_inexact 0
		.amdhsa_exception_int_div_zero 0
	.end_amdhsa_kernel
	.section	.text._ZN7rocprim17ROCPRIM_400000_NS6detail17trampoline_kernelINS0_14default_configENS1_25partition_config_selectorILNS1_17partition_subalgoE6EyNS0_10empty_typeEbEEZZNS1_14partition_implILS5_6ELb0ES3_mN6thrust23THRUST_200600_302600_NS6detail15normal_iteratorINSA_10device_ptrIyEEEEPS6_SG_NS0_5tupleIJNSA_16discard_iteratorINSA_11use_defaultEEES6_EEENSH_IJSG_SG_EEES6_PlJNSB_9not_fun_tINSB_14equal_to_valueIyEEEEEEE10hipError_tPvRmT3_T4_T5_T6_T7_T9_mT8_P12ihipStream_tbDpT10_ENKUlT_T0_E_clISt17integral_constantIbLb0EES1B_EEDaS16_S17_EUlS16_E_NS1_11comp_targetILNS1_3genE10ELNS1_11target_archE1200ELNS1_3gpuE4ELNS1_3repE0EEENS1_30default_config_static_selectorELNS0_4arch9wavefront6targetE0EEEvT1_,"axG",@progbits,_ZN7rocprim17ROCPRIM_400000_NS6detail17trampoline_kernelINS0_14default_configENS1_25partition_config_selectorILNS1_17partition_subalgoE6EyNS0_10empty_typeEbEEZZNS1_14partition_implILS5_6ELb0ES3_mN6thrust23THRUST_200600_302600_NS6detail15normal_iteratorINSA_10device_ptrIyEEEEPS6_SG_NS0_5tupleIJNSA_16discard_iteratorINSA_11use_defaultEEES6_EEENSH_IJSG_SG_EEES6_PlJNSB_9not_fun_tINSB_14equal_to_valueIyEEEEEEE10hipError_tPvRmT3_T4_T5_T6_T7_T9_mT8_P12ihipStream_tbDpT10_ENKUlT_T0_E_clISt17integral_constantIbLb0EES1B_EEDaS16_S17_EUlS16_E_NS1_11comp_targetILNS1_3genE10ELNS1_11target_archE1200ELNS1_3gpuE4ELNS1_3repE0EEENS1_30default_config_static_selectorELNS0_4arch9wavefront6targetE0EEEvT1_,comdat
.Lfunc_end1634:
	.size	_ZN7rocprim17ROCPRIM_400000_NS6detail17trampoline_kernelINS0_14default_configENS1_25partition_config_selectorILNS1_17partition_subalgoE6EyNS0_10empty_typeEbEEZZNS1_14partition_implILS5_6ELb0ES3_mN6thrust23THRUST_200600_302600_NS6detail15normal_iteratorINSA_10device_ptrIyEEEEPS6_SG_NS0_5tupleIJNSA_16discard_iteratorINSA_11use_defaultEEES6_EEENSH_IJSG_SG_EEES6_PlJNSB_9not_fun_tINSB_14equal_to_valueIyEEEEEEE10hipError_tPvRmT3_T4_T5_T6_T7_T9_mT8_P12ihipStream_tbDpT10_ENKUlT_T0_E_clISt17integral_constantIbLb0EES1B_EEDaS16_S17_EUlS16_E_NS1_11comp_targetILNS1_3genE10ELNS1_11target_archE1200ELNS1_3gpuE4ELNS1_3repE0EEENS1_30default_config_static_selectorELNS0_4arch9wavefront6targetE0EEEvT1_, .Lfunc_end1634-_ZN7rocprim17ROCPRIM_400000_NS6detail17trampoline_kernelINS0_14default_configENS1_25partition_config_selectorILNS1_17partition_subalgoE6EyNS0_10empty_typeEbEEZZNS1_14partition_implILS5_6ELb0ES3_mN6thrust23THRUST_200600_302600_NS6detail15normal_iteratorINSA_10device_ptrIyEEEEPS6_SG_NS0_5tupleIJNSA_16discard_iteratorINSA_11use_defaultEEES6_EEENSH_IJSG_SG_EEES6_PlJNSB_9not_fun_tINSB_14equal_to_valueIyEEEEEEE10hipError_tPvRmT3_T4_T5_T6_T7_T9_mT8_P12ihipStream_tbDpT10_ENKUlT_T0_E_clISt17integral_constantIbLb0EES1B_EEDaS16_S17_EUlS16_E_NS1_11comp_targetILNS1_3genE10ELNS1_11target_archE1200ELNS1_3gpuE4ELNS1_3repE0EEENS1_30default_config_static_selectorELNS0_4arch9wavefront6targetE0EEEvT1_
                                        ; -- End function
	.set _ZN7rocprim17ROCPRIM_400000_NS6detail17trampoline_kernelINS0_14default_configENS1_25partition_config_selectorILNS1_17partition_subalgoE6EyNS0_10empty_typeEbEEZZNS1_14partition_implILS5_6ELb0ES3_mN6thrust23THRUST_200600_302600_NS6detail15normal_iteratorINSA_10device_ptrIyEEEEPS6_SG_NS0_5tupleIJNSA_16discard_iteratorINSA_11use_defaultEEES6_EEENSH_IJSG_SG_EEES6_PlJNSB_9not_fun_tINSB_14equal_to_valueIyEEEEEEE10hipError_tPvRmT3_T4_T5_T6_T7_T9_mT8_P12ihipStream_tbDpT10_ENKUlT_T0_E_clISt17integral_constantIbLb0EES1B_EEDaS16_S17_EUlS16_E_NS1_11comp_targetILNS1_3genE10ELNS1_11target_archE1200ELNS1_3gpuE4ELNS1_3repE0EEENS1_30default_config_static_selectorELNS0_4arch9wavefront6targetE0EEEvT1_.num_vgpr, 45
	.set _ZN7rocprim17ROCPRIM_400000_NS6detail17trampoline_kernelINS0_14default_configENS1_25partition_config_selectorILNS1_17partition_subalgoE6EyNS0_10empty_typeEbEEZZNS1_14partition_implILS5_6ELb0ES3_mN6thrust23THRUST_200600_302600_NS6detail15normal_iteratorINSA_10device_ptrIyEEEEPS6_SG_NS0_5tupleIJNSA_16discard_iteratorINSA_11use_defaultEEES6_EEENSH_IJSG_SG_EEES6_PlJNSB_9not_fun_tINSB_14equal_to_valueIyEEEEEEE10hipError_tPvRmT3_T4_T5_T6_T7_T9_mT8_P12ihipStream_tbDpT10_ENKUlT_T0_E_clISt17integral_constantIbLb0EES1B_EEDaS16_S17_EUlS16_E_NS1_11comp_targetILNS1_3genE10ELNS1_11target_archE1200ELNS1_3gpuE4ELNS1_3repE0EEENS1_30default_config_static_selectorELNS0_4arch9wavefront6targetE0EEEvT1_.num_agpr, 0
	.set _ZN7rocprim17ROCPRIM_400000_NS6detail17trampoline_kernelINS0_14default_configENS1_25partition_config_selectorILNS1_17partition_subalgoE6EyNS0_10empty_typeEbEEZZNS1_14partition_implILS5_6ELb0ES3_mN6thrust23THRUST_200600_302600_NS6detail15normal_iteratorINSA_10device_ptrIyEEEEPS6_SG_NS0_5tupleIJNSA_16discard_iteratorINSA_11use_defaultEEES6_EEENSH_IJSG_SG_EEES6_PlJNSB_9not_fun_tINSB_14equal_to_valueIyEEEEEEE10hipError_tPvRmT3_T4_T5_T6_T7_T9_mT8_P12ihipStream_tbDpT10_ENKUlT_T0_E_clISt17integral_constantIbLb0EES1B_EEDaS16_S17_EUlS16_E_NS1_11comp_targetILNS1_3genE10ELNS1_11target_archE1200ELNS1_3gpuE4ELNS1_3repE0EEENS1_30default_config_static_selectorELNS0_4arch9wavefront6targetE0EEEvT1_.numbered_sgpr, 21
	.set _ZN7rocprim17ROCPRIM_400000_NS6detail17trampoline_kernelINS0_14default_configENS1_25partition_config_selectorILNS1_17partition_subalgoE6EyNS0_10empty_typeEbEEZZNS1_14partition_implILS5_6ELb0ES3_mN6thrust23THRUST_200600_302600_NS6detail15normal_iteratorINSA_10device_ptrIyEEEEPS6_SG_NS0_5tupleIJNSA_16discard_iteratorINSA_11use_defaultEEES6_EEENSH_IJSG_SG_EEES6_PlJNSB_9not_fun_tINSB_14equal_to_valueIyEEEEEEE10hipError_tPvRmT3_T4_T5_T6_T7_T9_mT8_P12ihipStream_tbDpT10_ENKUlT_T0_E_clISt17integral_constantIbLb0EES1B_EEDaS16_S17_EUlS16_E_NS1_11comp_targetILNS1_3genE10ELNS1_11target_archE1200ELNS1_3gpuE4ELNS1_3repE0EEENS1_30default_config_static_selectorELNS0_4arch9wavefront6targetE0EEEvT1_.num_named_barrier, 0
	.set _ZN7rocprim17ROCPRIM_400000_NS6detail17trampoline_kernelINS0_14default_configENS1_25partition_config_selectorILNS1_17partition_subalgoE6EyNS0_10empty_typeEbEEZZNS1_14partition_implILS5_6ELb0ES3_mN6thrust23THRUST_200600_302600_NS6detail15normal_iteratorINSA_10device_ptrIyEEEEPS6_SG_NS0_5tupleIJNSA_16discard_iteratorINSA_11use_defaultEEES6_EEENSH_IJSG_SG_EEES6_PlJNSB_9not_fun_tINSB_14equal_to_valueIyEEEEEEE10hipError_tPvRmT3_T4_T5_T6_T7_T9_mT8_P12ihipStream_tbDpT10_ENKUlT_T0_E_clISt17integral_constantIbLb0EES1B_EEDaS16_S17_EUlS16_E_NS1_11comp_targetILNS1_3genE10ELNS1_11target_archE1200ELNS1_3gpuE4ELNS1_3repE0EEENS1_30default_config_static_selectorELNS0_4arch9wavefront6targetE0EEEvT1_.private_seg_size, 0
	.set _ZN7rocprim17ROCPRIM_400000_NS6detail17trampoline_kernelINS0_14default_configENS1_25partition_config_selectorILNS1_17partition_subalgoE6EyNS0_10empty_typeEbEEZZNS1_14partition_implILS5_6ELb0ES3_mN6thrust23THRUST_200600_302600_NS6detail15normal_iteratorINSA_10device_ptrIyEEEEPS6_SG_NS0_5tupleIJNSA_16discard_iteratorINSA_11use_defaultEEES6_EEENSH_IJSG_SG_EEES6_PlJNSB_9not_fun_tINSB_14equal_to_valueIyEEEEEEE10hipError_tPvRmT3_T4_T5_T6_T7_T9_mT8_P12ihipStream_tbDpT10_ENKUlT_T0_E_clISt17integral_constantIbLb0EES1B_EEDaS16_S17_EUlS16_E_NS1_11comp_targetILNS1_3genE10ELNS1_11target_archE1200ELNS1_3gpuE4ELNS1_3repE0EEENS1_30default_config_static_selectorELNS0_4arch9wavefront6targetE0EEEvT1_.uses_vcc, 1
	.set _ZN7rocprim17ROCPRIM_400000_NS6detail17trampoline_kernelINS0_14default_configENS1_25partition_config_selectorILNS1_17partition_subalgoE6EyNS0_10empty_typeEbEEZZNS1_14partition_implILS5_6ELb0ES3_mN6thrust23THRUST_200600_302600_NS6detail15normal_iteratorINSA_10device_ptrIyEEEEPS6_SG_NS0_5tupleIJNSA_16discard_iteratorINSA_11use_defaultEEES6_EEENSH_IJSG_SG_EEES6_PlJNSB_9not_fun_tINSB_14equal_to_valueIyEEEEEEE10hipError_tPvRmT3_T4_T5_T6_T7_T9_mT8_P12ihipStream_tbDpT10_ENKUlT_T0_E_clISt17integral_constantIbLb0EES1B_EEDaS16_S17_EUlS16_E_NS1_11comp_targetILNS1_3genE10ELNS1_11target_archE1200ELNS1_3gpuE4ELNS1_3repE0EEENS1_30default_config_static_selectorELNS0_4arch9wavefront6targetE0EEEvT1_.uses_flat_scratch, 1
	.set _ZN7rocprim17ROCPRIM_400000_NS6detail17trampoline_kernelINS0_14default_configENS1_25partition_config_selectorILNS1_17partition_subalgoE6EyNS0_10empty_typeEbEEZZNS1_14partition_implILS5_6ELb0ES3_mN6thrust23THRUST_200600_302600_NS6detail15normal_iteratorINSA_10device_ptrIyEEEEPS6_SG_NS0_5tupleIJNSA_16discard_iteratorINSA_11use_defaultEEES6_EEENSH_IJSG_SG_EEES6_PlJNSB_9not_fun_tINSB_14equal_to_valueIyEEEEEEE10hipError_tPvRmT3_T4_T5_T6_T7_T9_mT8_P12ihipStream_tbDpT10_ENKUlT_T0_E_clISt17integral_constantIbLb0EES1B_EEDaS16_S17_EUlS16_E_NS1_11comp_targetILNS1_3genE10ELNS1_11target_archE1200ELNS1_3gpuE4ELNS1_3repE0EEENS1_30default_config_static_selectorELNS0_4arch9wavefront6targetE0EEEvT1_.has_dyn_sized_stack, 0
	.set _ZN7rocprim17ROCPRIM_400000_NS6detail17trampoline_kernelINS0_14default_configENS1_25partition_config_selectorILNS1_17partition_subalgoE6EyNS0_10empty_typeEbEEZZNS1_14partition_implILS5_6ELb0ES3_mN6thrust23THRUST_200600_302600_NS6detail15normal_iteratorINSA_10device_ptrIyEEEEPS6_SG_NS0_5tupleIJNSA_16discard_iteratorINSA_11use_defaultEEES6_EEENSH_IJSG_SG_EEES6_PlJNSB_9not_fun_tINSB_14equal_to_valueIyEEEEEEE10hipError_tPvRmT3_T4_T5_T6_T7_T9_mT8_P12ihipStream_tbDpT10_ENKUlT_T0_E_clISt17integral_constantIbLb0EES1B_EEDaS16_S17_EUlS16_E_NS1_11comp_targetILNS1_3genE10ELNS1_11target_archE1200ELNS1_3gpuE4ELNS1_3repE0EEENS1_30default_config_static_selectorELNS0_4arch9wavefront6targetE0EEEvT1_.has_recursion, 0
	.set _ZN7rocprim17ROCPRIM_400000_NS6detail17trampoline_kernelINS0_14default_configENS1_25partition_config_selectorILNS1_17partition_subalgoE6EyNS0_10empty_typeEbEEZZNS1_14partition_implILS5_6ELb0ES3_mN6thrust23THRUST_200600_302600_NS6detail15normal_iteratorINSA_10device_ptrIyEEEEPS6_SG_NS0_5tupleIJNSA_16discard_iteratorINSA_11use_defaultEEES6_EEENSH_IJSG_SG_EEES6_PlJNSB_9not_fun_tINSB_14equal_to_valueIyEEEEEEE10hipError_tPvRmT3_T4_T5_T6_T7_T9_mT8_P12ihipStream_tbDpT10_ENKUlT_T0_E_clISt17integral_constantIbLb0EES1B_EEDaS16_S17_EUlS16_E_NS1_11comp_targetILNS1_3genE10ELNS1_11target_archE1200ELNS1_3gpuE4ELNS1_3repE0EEENS1_30default_config_static_selectorELNS0_4arch9wavefront6targetE0EEEvT1_.has_indirect_call, 0
	.section	.AMDGPU.csdata,"",@progbits
; Kernel info:
; codeLenInByte = 5756
; TotalNumSgprs: 23
; NumVgprs: 45
; ScratchSize: 0
; MemoryBound: 0
; FloatMode: 240
; IeeeMode: 1
; LDSByteSize: 8464 bytes/workgroup (compile time only)
; SGPRBlocks: 0
; VGPRBlocks: 5
; NumSGPRsForWavesPerEU: 23
; NumVGPRsForWavesPerEU: 45
; Occupancy: 16
; WaveLimiterHint : 1
; COMPUTE_PGM_RSRC2:SCRATCH_EN: 0
; COMPUTE_PGM_RSRC2:USER_SGPR: 2
; COMPUTE_PGM_RSRC2:TRAP_HANDLER: 0
; COMPUTE_PGM_RSRC2:TGID_X_EN: 1
; COMPUTE_PGM_RSRC2:TGID_Y_EN: 0
; COMPUTE_PGM_RSRC2:TGID_Z_EN: 0
; COMPUTE_PGM_RSRC2:TIDIG_COMP_CNT: 0
	.section	.text._ZN7rocprim17ROCPRIM_400000_NS6detail17trampoline_kernelINS0_14default_configENS1_25partition_config_selectorILNS1_17partition_subalgoE6EyNS0_10empty_typeEbEEZZNS1_14partition_implILS5_6ELb0ES3_mN6thrust23THRUST_200600_302600_NS6detail15normal_iteratorINSA_10device_ptrIyEEEEPS6_SG_NS0_5tupleIJNSA_16discard_iteratorINSA_11use_defaultEEES6_EEENSH_IJSG_SG_EEES6_PlJNSB_9not_fun_tINSB_14equal_to_valueIyEEEEEEE10hipError_tPvRmT3_T4_T5_T6_T7_T9_mT8_P12ihipStream_tbDpT10_ENKUlT_T0_E_clISt17integral_constantIbLb0EES1B_EEDaS16_S17_EUlS16_E_NS1_11comp_targetILNS1_3genE9ELNS1_11target_archE1100ELNS1_3gpuE3ELNS1_3repE0EEENS1_30default_config_static_selectorELNS0_4arch9wavefront6targetE0EEEvT1_,"axG",@progbits,_ZN7rocprim17ROCPRIM_400000_NS6detail17trampoline_kernelINS0_14default_configENS1_25partition_config_selectorILNS1_17partition_subalgoE6EyNS0_10empty_typeEbEEZZNS1_14partition_implILS5_6ELb0ES3_mN6thrust23THRUST_200600_302600_NS6detail15normal_iteratorINSA_10device_ptrIyEEEEPS6_SG_NS0_5tupleIJNSA_16discard_iteratorINSA_11use_defaultEEES6_EEENSH_IJSG_SG_EEES6_PlJNSB_9not_fun_tINSB_14equal_to_valueIyEEEEEEE10hipError_tPvRmT3_T4_T5_T6_T7_T9_mT8_P12ihipStream_tbDpT10_ENKUlT_T0_E_clISt17integral_constantIbLb0EES1B_EEDaS16_S17_EUlS16_E_NS1_11comp_targetILNS1_3genE9ELNS1_11target_archE1100ELNS1_3gpuE3ELNS1_3repE0EEENS1_30default_config_static_selectorELNS0_4arch9wavefront6targetE0EEEvT1_,comdat
	.protected	_ZN7rocprim17ROCPRIM_400000_NS6detail17trampoline_kernelINS0_14default_configENS1_25partition_config_selectorILNS1_17partition_subalgoE6EyNS0_10empty_typeEbEEZZNS1_14partition_implILS5_6ELb0ES3_mN6thrust23THRUST_200600_302600_NS6detail15normal_iteratorINSA_10device_ptrIyEEEEPS6_SG_NS0_5tupleIJNSA_16discard_iteratorINSA_11use_defaultEEES6_EEENSH_IJSG_SG_EEES6_PlJNSB_9not_fun_tINSB_14equal_to_valueIyEEEEEEE10hipError_tPvRmT3_T4_T5_T6_T7_T9_mT8_P12ihipStream_tbDpT10_ENKUlT_T0_E_clISt17integral_constantIbLb0EES1B_EEDaS16_S17_EUlS16_E_NS1_11comp_targetILNS1_3genE9ELNS1_11target_archE1100ELNS1_3gpuE3ELNS1_3repE0EEENS1_30default_config_static_selectorELNS0_4arch9wavefront6targetE0EEEvT1_ ; -- Begin function _ZN7rocprim17ROCPRIM_400000_NS6detail17trampoline_kernelINS0_14default_configENS1_25partition_config_selectorILNS1_17partition_subalgoE6EyNS0_10empty_typeEbEEZZNS1_14partition_implILS5_6ELb0ES3_mN6thrust23THRUST_200600_302600_NS6detail15normal_iteratorINSA_10device_ptrIyEEEEPS6_SG_NS0_5tupleIJNSA_16discard_iteratorINSA_11use_defaultEEES6_EEENSH_IJSG_SG_EEES6_PlJNSB_9not_fun_tINSB_14equal_to_valueIyEEEEEEE10hipError_tPvRmT3_T4_T5_T6_T7_T9_mT8_P12ihipStream_tbDpT10_ENKUlT_T0_E_clISt17integral_constantIbLb0EES1B_EEDaS16_S17_EUlS16_E_NS1_11comp_targetILNS1_3genE9ELNS1_11target_archE1100ELNS1_3gpuE3ELNS1_3repE0EEENS1_30default_config_static_selectorELNS0_4arch9wavefront6targetE0EEEvT1_
	.globl	_ZN7rocprim17ROCPRIM_400000_NS6detail17trampoline_kernelINS0_14default_configENS1_25partition_config_selectorILNS1_17partition_subalgoE6EyNS0_10empty_typeEbEEZZNS1_14partition_implILS5_6ELb0ES3_mN6thrust23THRUST_200600_302600_NS6detail15normal_iteratorINSA_10device_ptrIyEEEEPS6_SG_NS0_5tupleIJNSA_16discard_iteratorINSA_11use_defaultEEES6_EEENSH_IJSG_SG_EEES6_PlJNSB_9not_fun_tINSB_14equal_to_valueIyEEEEEEE10hipError_tPvRmT3_T4_T5_T6_T7_T9_mT8_P12ihipStream_tbDpT10_ENKUlT_T0_E_clISt17integral_constantIbLb0EES1B_EEDaS16_S17_EUlS16_E_NS1_11comp_targetILNS1_3genE9ELNS1_11target_archE1100ELNS1_3gpuE3ELNS1_3repE0EEENS1_30default_config_static_selectorELNS0_4arch9wavefront6targetE0EEEvT1_
	.p2align	8
	.type	_ZN7rocprim17ROCPRIM_400000_NS6detail17trampoline_kernelINS0_14default_configENS1_25partition_config_selectorILNS1_17partition_subalgoE6EyNS0_10empty_typeEbEEZZNS1_14partition_implILS5_6ELb0ES3_mN6thrust23THRUST_200600_302600_NS6detail15normal_iteratorINSA_10device_ptrIyEEEEPS6_SG_NS0_5tupleIJNSA_16discard_iteratorINSA_11use_defaultEEES6_EEENSH_IJSG_SG_EEES6_PlJNSB_9not_fun_tINSB_14equal_to_valueIyEEEEEEE10hipError_tPvRmT3_T4_T5_T6_T7_T9_mT8_P12ihipStream_tbDpT10_ENKUlT_T0_E_clISt17integral_constantIbLb0EES1B_EEDaS16_S17_EUlS16_E_NS1_11comp_targetILNS1_3genE9ELNS1_11target_archE1100ELNS1_3gpuE3ELNS1_3repE0EEENS1_30default_config_static_selectorELNS0_4arch9wavefront6targetE0EEEvT1_,@function
_ZN7rocprim17ROCPRIM_400000_NS6detail17trampoline_kernelINS0_14default_configENS1_25partition_config_selectorILNS1_17partition_subalgoE6EyNS0_10empty_typeEbEEZZNS1_14partition_implILS5_6ELb0ES3_mN6thrust23THRUST_200600_302600_NS6detail15normal_iteratorINSA_10device_ptrIyEEEEPS6_SG_NS0_5tupleIJNSA_16discard_iteratorINSA_11use_defaultEEES6_EEENSH_IJSG_SG_EEES6_PlJNSB_9not_fun_tINSB_14equal_to_valueIyEEEEEEE10hipError_tPvRmT3_T4_T5_T6_T7_T9_mT8_P12ihipStream_tbDpT10_ENKUlT_T0_E_clISt17integral_constantIbLb0EES1B_EEDaS16_S17_EUlS16_E_NS1_11comp_targetILNS1_3genE9ELNS1_11target_archE1100ELNS1_3gpuE3ELNS1_3repE0EEENS1_30default_config_static_selectorELNS0_4arch9wavefront6targetE0EEEvT1_: ; @_ZN7rocprim17ROCPRIM_400000_NS6detail17trampoline_kernelINS0_14default_configENS1_25partition_config_selectorILNS1_17partition_subalgoE6EyNS0_10empty_typeEbEEZZNS1_14partition_implILS5_6ELb0ES3_mN6thrust23THRUST_200600_302600_NS6detail15normal_iteratorINSA_10device_ptrIyEEEEPS6_SG_NS0_5tupleIJNSA_16discard_iteratorINSA_11use_defaultEEES6_EEENSH_IJSG_SG_EEES6_PlJNSB_9not_fun_tINSB_14equal_to_valueIyEEEEEEE10hipError_tPvRmT3_T4_T5_T6_T7_T9_mT8_P12ihipStream_tbDpT10_ENKUlT_T0_E_clISt17integral_constantIbLb0EES1B_EEDaS16_S17_EUlS16_E_NS1_11comp_targetILNS1_3genE9ELNS1_11target_archE1100ELNS1_3gpuE3ELNS1_3repE0EEENS1_30default_config_static_selectorELNS0_4arch9wavefront6targetE0EEEvT1_
; %bb.0:
	.section	.rodata,"a",@progbits
	.p2align	6, 0x0
	.amdhsa_kernel _ZN7rocprim17ROCPRIM_400000_NS6detail17trampoline_kernelINS0_14default_configENS1_25partition_config_selectorILNS1_17partition_subalgoE6EyNS0_10empty_typeEbEEZZNS1_14partition_implILS5_6ELb0ES3_mN6thrust23THRUST_200600_302600_NS6detail15normal_iteratorINSA_10device_ptrIyEEEEPS6_SG_NS0_5tupleIJNSA_16discard_iteratorINSA_11use_defaultEEES6_EEENSH_IJSG_SG_EEES6_PlJNSB_9not_fun_tINSB_14equal_to_valueIyEEEEEEE10hipError_tPvRmT3_T4_T5_T6_T7_T9_mT8_P12ihipStream_tbDpT10_ENKUlT_T0_E_clISt17integral_constantIbLb0EES1B_EEDaS16_S17_EUlS16_E_NS1_11comp_targetILNS1_3genE9ELNS1_11target_archE1100ELNS1_3gpuE3ELNS1_3repE0EEENS1_30default_config_static_selectorELNS0_4arch9wavefront6targetE0EEEvT1_
		.amdhsa_group_segment_fixed_size 0
		.amdhsa_private_segment_fixed_size 0
		.amdhsa_kernarg_size 128
		.amdhsa_user_sgpr_count 2
		.amdhsa_user_sgpr_dispatch_ptr 0
		.amdhsa_user_sgpr_queue_ptr 0
		.amdhsa_user_sgpr_kernarg_segment_ptr 1
		.amdhsa_user_sgpr_dispatch_id 0
		.amdhsa_user_sgpr_private_segment_size 0
		.amdhsa_wavefront_size32 1
		.amdhsa_uses_dynamic_stack 0
		.amdhsa_enable_private_segment 0
		.amdhsa_system_sgpr_workgroup_id_x 1
		.amdhsa_system_sgpr_workgroup_id_y 0
		.amdhsa_system_sgpr_workgroup_id_z 0
		.amdhsa_system_sgpr_workgroup_info 0
		.amdhsa_system_vgpr_workitem_id 0
		.amdhsa_next_free_vgpr 1
		.amdhsa_next_free_sgpr 1
		.amdhsa_reserve_vcc 0
		.amdhsa_float_round_mode_32 0
		.amdhsa_float_round_mode_16_64 0
		.amdhsa_float_denorm_mode_32 3
		.amdhsa_float_denorm_mode_16_64 3
		.amdhsa_fp16_overflow 0
		.amdhsa_workgroup_processor_mode 1
		.amdhsa_memory_ordered 1
		.amdhsa_forward_progress 1
		.amdhsa_inst_pref_size 0
		.amdhsa_round_robin_scheduling 0
		.amdhsa_exception_fp_ieee_invalid_op 0
		.amdhsa_exception_fp_denorm_src 0
		.amdhsa_exception_fp_ieee_div_zero 0
		.amdhsa_exception_fp_ieee_overflow 0
		.amdhsa_exception_fp_ieee_underflow 0
		.amdhsa_exception_fp_ieee_inexact 0
		.amdhsa_exception_int_div_zero 0
	.end_amdhsa_kernel
	.section	.text._ZN7rocprim17ROCPRIM_400000_NS6detail17trampoline_kernelINS0_14default_configENS1_25partition_config_selectorILNS1_17partition_subalgoE6EyNS0_10empty_typeEbEEZZNS1_14partition_implILS5_6ELb0ES3_mN6thrust23THRUST_200600_302600_NS6detail15normal_iteratorINSA_10device_ptrIyEEEEPS6_SG_NS0_5tupleIJNSA_16discard_iteratorINSA_11use_defaultEEES6_EEENSH_IJSG_SG_EEES6_PlJNSB_9not_fun_tINSB_14equal_to_valueIyEEEEEEE10hipError_tPvRmT3_T4_T5_T6_T7_T9_mT8_P12ihipStream_tbDpT10_ENKUlT_T0_E_clISt17integral_constantIbLb0EES1B_EEDaS16_S17_EUlS16_E_NS1_11comp_targetILNS1_3genE9ELNS1_11target_archE1100ELNS1_3gpuE3ELNS1_3repE0EEENS1_30default_config_static_selectorELNS0_4arch9wavefront6targetE0EEEvT1_,"axG",@progbits,_ZN7rocprim17ROCPRIM_400000_NS6detail17trampoline_kernelINS0_14default_configENS1_25partition_config_selectorILNS1_17partition_subalgoE6EyNS0_10empty_typeEbEEZZNS1_14partition_implILS5_6ELb0ES3_mN6thrust23THRUST_200600_302600_NS6detail15normal_iteratorINSA_10device_ptrIyEEEEPS6_SG_NS0_5tupleIJNSA_16discard_iteratorINSA_11use_defaultEEES6_EEENSH_IJSG_SG_EEES6_PlJNSB_9not_fun_tINSB_14equal_to_valueIyEEEEEEE10hipError_tPvRmT3_T4_T5_T6_T7_T9_mT8_P12ihipStream_tbDpT10_ENKUlT_T0_E_clISt17integral_constantIbLb0EES1B_EEDaS16_S17_EUlS16_E_NS1_11comp_targetILNS1_3genE9ELNS1_11target_archE1100ELNS1_3gpuE3ELNS1_3repE0EEENS1_30default_config_static_selectorELNS0_4arch9wavefront6targetE0EEEvT1_,comdat
.Lfunc_end1635:
	.size	_ZN7rocprim17ROCPRIM_400000_NS6detail17trampoline_kernelINS0_14default_configENS1_25partition_config_selectorILNS1_17partition_subalgoE6EyNS0_10empty_typeEbEEZZNS1_14partition_implILS5_6ELb0ES3_mN6thrust23THRUST_200600_302600_NS6detail15normal_iteratorINSA_10device_ptrIyEEEEPS6_SG_NS0_5tupleIJNSA_16discard_iteratorINSA_11use_defaultEEES6_EEENSH_IJSG_SG_EEES6_PlJNSB_9not_fun_tINSB_14equal_to_valueIyEEEEEEE10hipError_tPvRmT3_T4_T5_T6_T7_T9_mT8_P12ihipStream_tbDpT10_ENKUlT_T0_E_clISt17integral_constantIbLb0EES1B_EEDaS16_S17_EUlS16_E_NS1_11comp_targetILNS1_3genE9ELNS1_11target_archE1100ELNS1_3gpuE3ELNS1_3repE0EEENS1_30default_config_static_selectorELNS0_4arch9wavefront6targetE0EEEvT1_, .Lfunc_end1635-_ZN7rocprim17ROCPRIM_400000_NS6detail17trampoline_kernelINS0_14default_configENS1_25partition_config_selectorILNS1_17partition_subalgoE6EyNS0_10empty_typeEbEEZZNS1_14partition_implILS5_6ELb0ES3_mN6thrust23THRUST_200600_302600_NS6detail15normal_iteratorINSA_10device_ptrIyEEEEPS6_SG_NS0_5tupleIJNSA_16discard_iteratorINSA_11use_defaultEEES6_EEENSH_IJSG_SG_EEES6_PlJNSB_9not_fun_tINSB_14equal_to_valueIyEEEEEEE10hipError_tPvRmT3_T4_T5_T6_T7_T9_mT8_P12ihipStream_tbDpT10_ENKUlT_T0_E_clISt17integral_constantIbLb0EES1B_EEDaS16_S17_EUlS16_E_NS1_11comp_targetILNS1_3genE9ELNS1_11target_archE1100ELNS1_3gpuE3ELNS1_3repE0EEENS1_30default_config_static_selectorELNS0_4arch9wavefront6targetE0EEEvT1_
                                        ; -- End function
	.set _ZN7rocprim17ROCPRIM_400000_NS6detail17trampoline_kernelINS0_14default_configENS1_25partition_config_selectorILNS1_17partition_subalgoE6EyNS0_10empty_typeEbEEZZNS1_14partition_implILS5_6ELb0ES3_mN6thrust23THRUST_200600_302600_NS6detail15normal_iteratorINSA_10device_ptrIyEEEEPS6_SG_NS0_5tupleIJNSA_16discard_iteratorINSA_11use_defaultEEES6_EEENSH_IJSG_SG_EEES6_PlJNSB_9not_fun_tINSB_14equal_to_valueIyEEEEEEE10hipError_tPvRmT3_T4_T5_T6_T7_T9_mT8_P12ihipStream_tbDpT10_ENKUlT_T0_E_clISt17integral_constantIbLb0EES1B_EEDaS16_S17_EUlS16_E_NS1_11comp_targetILNS1_3genE9ELNS1_11target_archE1100ELNS1_3gpuE3ELNS1_3repE0EEENS1_30default_config_static_selectorELNS0_4arch9wavefront6targetE0EEEvT1_.num_vgpr, 0
	.set _ZN7rocprim17ROCPRIM_400000_NS6detail17trampoline_kernelINS0_14default_configENS1_25partition_config_selectorILNS1_17partition_subalgoE6EyNS0_10empty_typeEbEEZZNS1_14partition_implILS5_6ELb0ES3_mN6thrust23THRUST_200600_302600_NS6detail15normal_iteratorINSA_10device_ptrIyEEEEPS6_SG_NS0_5tupleIJNSA_16discard_iteratorINSA_11use_defaultEEES6_EEENSH_IJSG_SG_EEES6_PlJNSB_9not_fun_tINSB_14equal_to_valueIyEEEEEEE10hipError_tPvRmT3_T4_T5_T6_T7_T9_mT8_P12ihipStream_tbDpT10_ENKUlT_T0_E_clISt17integral_constantIbLb0EES1B_EEDaS16_S17_EUlS16_E_NS1_11comp_targetILNS1_3genE9ELNS1_11target_archE1100ELNS1_3gpuE3ELNS1_3repE0EEENS1_30default_config_static_selectorELNS0_4arch9wavefront6targetE0EEEvT1_.num_agpr, 0
	.set _ZN7rocprim17ROCPRIM_400000_NS6detail17trampoline_kernelINS0_14default_configENS1_25partition_config_selectorILNS1_17partition_subalgoE6EyNS0_10empty_typeEbEEZZNS1_14partition_implILS5_6ELb0ES3_mN6thrust23THRUST_200600_302600_NS6detail15normal_iteratorINSA_10device_ptrIyEEEEPS6_SG_NS0_5tupleIJNSA_16discard_iteratorINSA_11use_defaultEEES6_EEENSH_IJSG_SG_EEES6_PlJNSB_9not_fun_tINSB_14equal_to_valueIyEEEEEEE10hipError_tPvRmT3_T4_T5_T6_T7_T9_mT8_P12ihipStream_tbDpT10_ENKUlT_T0_E_clISt17integral_constantIbLb0EES1B_EEDaS16_S17_EUlS16_E_NS1_11comp_targetILNS1_3genE9ELNS1_11target_archE1100ELNS1_3gpuE3ELNS1_3repE0EEENS1_30default_config_static_selectorELNS0_4arch9wavefront6targetE0EEEvT1_.numbered_sgpr, 0
	.set _ZN7rocprim17ROCPRIM_400000_NS6detail17trampoline_kernelINS0_14default_configENS1_25partition_config_selectorILNS1_17partition_subalgoE6EyNS0_10empty_typeEbEEZZNS1_14partition_implILS5_6ELb0ES3_mN6thrust23THRUST_200600_302600_NS6detail15normal_iteratorINSA_10device_ptrIyEEEEPS6_SG_NS0_5tupleIJNSA_16discard_iteratorINSA_11use_defaultEEES6_EEENSH_IJSG_SG_EEES6_PlJNSB_9not_fun_tINSB_14equal_to_valueIyEEEEEEE10hipError_tPvRmT3_T4_T5_T6_T7_T9_mT8_P12ihipStream_tbDpT10_ENKUlT_T0_E_clISt17integral_constantIbLb0EES1B_EEDaS16_S17_EUlS16_E_NS1_11comp_targetILNS1_3genE9ELNS1_11target_archE1100ELNS1_3gpuE3ELNS1_3repE0EEENS1_30default_config_static_selectorELNS0_4arch9wavefront6targetE0EEEvT1_.num_named_barrier, 0
	.set _ZN7rocprim17ROCPRIM_400000_NS6detail17trampoline_kernelINS0_14default_configENS1_25partition_config_selectorILNS1_17partition_subalgoE6EyNS0_10empty_typeEbEEZZNS1_14partition_implILS5_6ELb0ES3_mN6thrust23THRUST_200600_302600_NS6detail15normal_iteratorINSA_10device_ptrIyEEEEPS6_SG_NS0_5tupleIJNSA_16discard_iteratorINSA_11use_defaultEEES6_EEENSH_IJSG_SG_EEES6_PlJNSB_9not_fun_tINSB_14equal_to_valueIyEEEEEEE10hipError_tPvRmT3_T4_T5_T6_T7_T9_mT8_P12ihipStream_tbDpT10_ENKUlT_T0_E_clISt17integral_constantIbLb0EES1B_EEDaS16_S17_EUlS16_E_NS1_11comp_targetILNS1_3genE9ELNS1_11target_archE1100ELNS1_3gpuE3ELNS1_3repE0EEENS1_30default_config_static_selectorELNS0_4arch9wavefront6targetE0EEEvT1_.private_seg_size, 0
	.set _ZN7rocprim17ROCPRIM_400000_NS6detail17trampoline_kernelINS0_14default_configENS1_25partition_config_selectorILNS1_17partition_subalgoE6EyNS0_10empty_typeEbEEZZNS1_14partition_implILS5_6ELb0ES3_mN6thrust23THRUST_200600_302600_NS6detail15normal_iteratorINSA_10device_ptrIyEEEEPS6_SG_NS0_5tupleIJNSA_16discard_iteratorINSA_11use_defaultEEES6_EEENSH_IJSG_SG_EEES6_PlJNSB_9not_fun_tINSB_14equal_to_valueIyEEEEEEE10hipError_tPvRmT3_T4_T5_T6_T7_T9_mT8_P12ihipStream_tbDpT10_ENKUlT_T0_E_clISt17integral_constantIbLb0EES1B_EEDaS16_S17_EUlS16_E_NS1_11comp_targetILNS1_3genE9ELNS1_11target_archE1100ELNS1_3gpuE3ELNS1_3repE0EEENS1_30default_config_static_selectorELNS0_4arch9wavefront6targetE0EEEvT1_.uses_vcc, 0
	.set _ZN7rocprim17ROCPRIM_400000_NS6detail17trampoline_kernelINS0_14default_configENS1_25partition_config_selectorILNS1_17partition_subalgoE6EyNS0_10empty_typeEbEEZZNS1_14partition_implILS5_6ELb0ES3_mN6thrust23THRUST_200600_302600_NS6detail15normal_iteratorINSA_10device_ptrIyEEEEPS6_SG_NS0_5tupleIJNSA_16discard_iteratorINSA_11use_defaultEEES6_EEENSH_IJSG_SG_EEES6_PlJNSB_9not_fun_tINSB_14equal_to_valueIyEEEEEEE10hipError_tPvRmT3_T4_T5_T6_T7_T9_mT8_P12ihipStream_tbDpT10_ENKUlT_T0_E_clISt17integral_constantIbLb0EES1B_EEDaS16_S17_EUlS16_E_NS1_11comp_targetILNS1_3genE9ELNS1_11target_archE1100ELNS1_3gpuE3ELNS1_3repE0EEENS1_30default_config_static_selectorELNS0_4arch9wavefront6targetE0EEEvT1_.uses_flat_scratch, 0
	.set _ZN7rocprim17ROCPRIM_400000_NS6detail17trampoline_kernelINS0_14default_configENS1_25partition_config_selectorILNS1_17partition_subalgoE6EyNS0_10empty_typeEbEEZZNS1_14partition_implILS5_6ELb0ES3_mN6thrust23THRUST_200600_302600_NS6detail15normal_iteratorINSA_10device_ptrIyEEEEPS6_SG_NS0_5tupleIJNSA_16discard_iteratorINSA_11use_defaultEEES6_EEENSH_IJSG_SG_EEES6_PlJNSB_9not_fun_tINSB_14equal_to_valueIyEEEEEEE10hipError_tPvRmT3_T4_T5_T6_T7_T9_mT8_P12ihipStream_tbDpT10_ENKUlT_T0_E_clISt17integral_constantIbLb0EES1B_EEDaS16_S17_EUlS16_E_NS1_11comp_targetILNS1_3genE9ELNS1_11target_archE1100ELNS1_3gpuE3ELNS1_3repE0EEENS1_30default_config_static_selectorELNS0_4arch9wavefront6targetE0EEEvT1_.has_dyn_sized_stack, 0
	.set _ZN7rocprim17ROCPRIM_400000_NS6detail17trampoline_kernelINS0_14default_configENS1_25partition_config_selectorILNS1_17partition_subalgoE6EyNS0_10empty_typeEbEEZZNS1_14partition_implILS5_6ELb0ES3_mN6thrust23THRUST_200600_302600_NS6detail15normal_iteratorINSA_10device_ptrIyEEEEPS6_SG_NS0_5tupleIJNSA_16discard_iteratorINSA_11use_defaultEEES6_EEENSH_IJSG_SG_EEES6_PlJNSB_9not_fun_tINSB_14equal_to_valueIyEEEEEEE10hipError_tPvRmT3_T4_T5_T6_T7_T9_mT8_P12ihipStream_tbDpT10_ENKUlT_T0_E_clISt17integral_constantIbLb0EES1B_EEDaS16_S17_EUlS16_E_NS1_11comp_targetILNS1_3genE9ELNS1_11target_archE1100ELNS1_3gpuE3ELNS1_3repE0EEENS1_30default_config_static_selectorELNS0_4arch9wavefront6targetE0EEEvT1_.has_recursion, 0
	.set _ZN7rocprim17ROCPRIM_400000_NS6detail17trampoline_kernelINS0_14default_configENS1_25partition_config_selectorILNS1_17partition_subalgoE6EyNS0_10empty_typeEbEEZZNS1_14partition_implILS5_6ELb0ES3_mN6thrust23THRUST_200600_302600_NS6detail15normal_iteratorINSA_10device_ptrIyEEEEPS6_SG_NS0_5tupleIJNSA_16discard_iteratorINSA_11use_defaultEEES6_EEENSH_IJSG_SG_EEES6_PlJNSB_9not_fun_tINSB_14equal_to_valueIyEEEEEEE10hipError_tPvRmT3_T4_T5_T6_T7_T9_mT8_P12ihipStream_tbDpT10_ENKUlT_T0_E_clISt17integral_constantIbLb0EES1B_EEDaS16_S17_EUlS16_E_NS1_11comp_targetILNS1_3genE9ELNS1_11target_archE1100ELNS1_3gpuE3ELNS1_3repE0EEENS1_30default_config_static_selectorELNS0_4arch9wavefront6targetE0EEEvT1_.has_indirect_call, 0
	.section	.AMDGPU.csdata,"",@progbits
; Kernel info:
; codeLenInByte = 0
; TotalNumSgprs: 0
; NumVgprs: 0
; ScratchSize: 0
; MemoryBound: 0
; FloatMode: 240
; IeeeMode: 1
; LDSByteSize: 0 bytes/workgroup (compile time only)
; SGPRBlocks: 0
; VGPRBlocks: 0
; NumSGPRsForWavesPerEU: 1
; NumVGPRsForWavesPerEU: 1
; Occupancy: 16
; WaveLimiterHint : 0
; COMPUTE_PGM_RSRC2:SCRATCH_EN: 0
; COMPUTE_PGM_RSRC2:USER_SGPR: 2
; COMPUTE_PGM_RSRC2:TRAP_HANDLER: 0
; COMPUTE_PGM_RSRC2:TGID_X_EN: 1
; COMPUTE_PGM_RSRC2:TGID_Y_EN: 0
; COMPUTE_PGM_RSRC2:TGID_Z_EN: 0
; COMPUTE_PGM_RSRC2:TIDIG_COMP_CNT: 0
	.section	.text._ZN7rocprim17ROCPRIM_400000_NS6detail17trampoline_kernelINS0_14default_configENS1_25partition_config_selectorILNS1_17partition_subalgoE6EyNS0_10empty_typeEbEEZZNS1_14partition_implILS5_6ELb0ES3_mN6thrust23THRUST_200600_302600_NS6detail15normal_iteratorINSA_10device_ptrIyEEEEPS6_SG_NS0_5tupleIJNSA_16discard_iteratorINSA_11use_defaultEEES6_EEENSH_IJSG_SG_EEES6_PlJNSB_9not_fun_tINSB_14equal_to_valueIyEEEEEEE10hipError_tPvRmT3_T4_T5_T6_T7_T9_mT8_P12ihipStream_tbDpT10_ENKUlT_T0_E_clISt17integral_constantIbLb0EES1B_EEDaS16_S17_EUlS16_E_NS1_11comp_targetILNS1_3genE8ELNS1_11target_archE1030ELNS1_3gpuE2ELNS1_3repE0EEENS1_30default_config_static_selectorELNS0_4arch9wavefront6targetE0EEEvT1_,"axG",@progbits,_ZN7rocprim17ROCPRIM_400000_NS6detail17trampoline_kernelINS0_14default_configENS1_25partition_config_selectorILNS1_17partition_subalgoE6EyNS0_10empty_typeEbEEZZNS1_14partition_implILS5_6ELb0ES3_mN6thrust23THRUST_200600_302600_NS6detail15normal_iteratorINSA_10device_ptrIyEEEEPS6_SG_NS0_5tupleIJNSA_16discard_iteratorINSA_11use_defaultEEES6_EEENSH_IJSG_SG_EEES6_PlJNSB_9not_fun_tINSB_14equal_to_valueIyEEEEEEE10hipError_tPvRmT3_T4_T5_T6_T7_T9_mT8_P12ihipStream_tbDpT10_ENKUlT_T0_E_clISt17integral_constantIbLb0EES1B_EEDaS16_S17_EUlS16_E_NS1_11comp_targetILNS1_3genE8ELNS1_11target_archE1030ELNS1_3gpuE2ELNS1_3repE0EEENS1_30default_config_static_selectorELNS0_4arch9wavefront6targetE0EEEvT1_,comdat
	.protected	_ZN7rocprim17ROCPRIM_400000_NS6detail17trampoline_kernelINS0_14default_configENS1_25partition_config_selectorILNS1_17partition_subalgoE6EyNS0_10empty_typeEbEEZZNS1_14partition_implILS5_6ELb0ES3_mN6thrust23THRUST_200600_302600_NS6detail15normal_iteratorINSA_10device_ptrIyEEEEPS6_SG_NS0_5tupleIJNSA_16discard_iteratorINSA_11use_defaultEEES6_EEENSH_IJSG_SG_EEES6_PlJNSB_9not_fun_tINSB_14equal_to_valueIyEEEEEEE10hipError_tPvRmT3_T4_T5_T6_T7_T9_mT8_P12ihipStream_tbDpT10_ENKUlT_T0_E_clISt17integral_constantIbLb0EES1B_EEDaS16_S17_EUlS16_E_NS1_11comp_targetILNS1_3genE8ELNS1_11target_archE1030ELNS1_3gpuE2ELNS1_3repE0EEENS1_30default_config_static_selectorELNS0_4arch9wavefront6targetE0EEEvT1_ ; -- Begin function _ZN7rocprim17ROCPRIM_400000_NS6detail17trampoline_kernelINS0_14default_configENS1_25partition_config_selectorILNS1_17partition_subalgoE6EyNS0_10empty_typeEbEEZZNS1_14partition_implILS5_6ELb0ES3_mN6thrust23THRUST_200600_302600_NS6detail15normal_iteratorINSA_10device_ptrIyEEEEPS6_SG_NS0_5tupleIJNSA_16discard_iteratorINSA_11use_defaultEEES6_EEENSH_IJSG_SG_EEES6_PlJNSB_9not_fun_tINSB_14equal_to_valueIyEEEEEEE10hipError_tPvRmT3_T4_T5_T6_T7_T9_mT8_P12ihipStream_tbDpT10_ENKUlT_T0_E_clISt17integral_constantIbLb0EES1B_EEDaS16_S17_EUlS16_E_NS1_11comp_targetILNS1_3genE8ELNS1_11target_archE1030ELNS1_3gpuE2ELNS1_3repE0EEENS1_30default_config_static_selectorELNS0_4arch9wavefront6targetE0EEEvT1_
	.globl	_ZN7rocprim17ROCPRIM_400000_NS6detail17trampoline_kernelINS0_14default_configENS1_25partition_config_selectorILNS1_17partition_subalgoE6EyNS0_10empty_typeEbEEZZNS1_14partition_implILS5_6ELb0ES3_mN6thrust23THRUST_200600_302600_NS6detail15normal_iteratorINSA_10device_ptrIyEEEEPS6_SG_NS0_5tupleIJNSA_16discard_iteratorINSA_11use_defaultEEES6_EEENSH_IJSG_SG_EEES6_PlJNSB_9not_fun_tINSB_14equal_to_valueIyEEEEEEE10hipError_tPvRmT3_T4_T5_T6_T7_T9_mT8_P12ihipStream_tbDpT10_ENKUlT_T0_E_clISt17integral_constantIbLb0EES1B_EEDaS16_S17_EUlS16_E_NS1_11comp_targetILNS1_3genE8ELNS1_11target_archE1030ELNS1_3gpuE2ELNS1_3repE0EEENS1_30default_config_static_selectorELNS0_4arch9wavefront6targetE0EEEvT1_
	.p2align	8
	.type	_ZN7rocprim17ROCPRIM_400000_NS6detail17trampoline_kernelINS0_14default_configENS1_25partition_config_selectorILNS1_17partition_subalgoE6EyNS0_10empty_typeEbEEZZNS1_14partition_implILS5_6ELb0ES3_mN6thrust23THRUST_200600_302600_NS6detail15normal_iteratorINSA_10device_ptrIyEEEEPS6_SG_NS0_5tupleIJNSA_16discard_iteratorINSA_11use_defaultEEES6_EEENSH_IJSG_SG_EEES6_PlJNSB_9not_fun_tINSB_14equal_to_valueIyEEEEEEE10hipError_tPvRmT3_T4_T5_T6_T7_T9_mT8_P12ihipStream_tbDpT10_ENKUlT_T0_E_clISt17integral_constantIbLb0EES1B_EEDaS16_S17_EUlS16_E_NS1_11comp_targetILNS1_3genE8ELNS1_11target_archE1030ELNS1_3gpuE2ELNS1_3repE0EEENS1_30default_config_static_selectorELNS0_4arch9wavefront6targetE0EEEvT1_,@function
_ZN7rocprim17ROCPRIM_400000_NS6detail17trampoline_kernelINS0_14default_configENS1_25partition_config_selectorILNS1_17partition_subalgoE6EyNS0_10empty_typeEbEEZZNS1_14partition_implILS5_6ELb0ES3_mN6thrust23THRUST_200600_302600_NS6detail15normal_iteratorINSA_10device_ptrIyEEEEPS6_SG_NS0_5tupleIJNSA_16discard_iteratorINSA_11use_defaultEEES6_EEENSH_IJSG_SG_EEES6_PlJNSB_9not_fun_tINSB_14equal_to_valueIyEEEEEEE10hipError_tPvRmT3_T4_T5_T6_T7_T9_mT8_P12ihipStream_tbDpT10_ENKUlT_T0_E_clISt17integral_constantIbLb0EES1B_EEDaS16_S17_EUlS16_E_NS1_11comp_targetILNS1_3genE8ELNS1_11target_archE1030ELNS1_3gpuE2ELNS1_3repE0EEENS1_30default_config_static_selectorELNS0_4arch9wavefront6targetE0EEEvT1_: ; @_ZN7rocprim17ROCPRIM_400000_NS6detail17trampoline_kernelINS0_14default_configENS1_25partition_config_selectorILNS1_17partition_subalgoE6EyNS0_10empty_typeEbEEZZNS1_14partition_implILS5_6ELb0ES3_mN6thrust23THRUST_200600_302600_NS6detail15normal_iteratorINSA_10device_ptrIyEEEEPS6_SG_NS0_5tupleIJNSA_16discard_iteratorINSA_11use_defaultEEES6_EEENSH_IJSG_SG_EEES6_PlJNSB_9not_fun_tINSB_14equal_to_valueIyEEEEEEE10hipError_tPvRmT3_T4_T5_T6_T7_T9_mT8_P12ihipStream_tbDpT10_ENKUlT_T0_E_clISt17integral_constantIbLb0EES1B_EEDaS16_S17_EUlS16_E_NS1_11comp_targetILNS1_3genE8ELNS1_11target_archE1030ELNS1_3gpuE2ELNS1_3repE0EEENS1_30default_config_static_selectorELNS0_4arch9wavefront6targetE0EEEvT1_
; %bb.0:
	.section	.rodata,"a",@progbits
	.p2align	6, 0x0
	.amdhsa_kernel _ZN7rocprim17ROCPRIM_400000_NS6detail17trampoline_kernelINS0_14default_configENS1_25partition_config_selectorILNS1_17partition_subalgoE6EyNS0_10empty_typeEbEEZZNS1_14partition_implILS5_6ELb0ES3_mN6thrust23THRUST_200600_302600_NS6detail15normal_iteratorINSA_10device_ptrIyEEEEPS6_SG_NS0_5tupleIJNSA_16discard_iteratorINSA_11use_defaultEEES6_EEENSH_IJSG_SG_EEES6_PlJNSB_9not_fun_tINSB_14equal_to_valueIyEEEEEEE10hipError_tPvRmT3_T4_T5_T6_T7_T9_mT8_P12ihipStream_tbDpT10_ENKUlT_T0_E_clISt17integral_constantIbLb0EES1B_EEDaS16_S17_EUlS16_E_NS1_11comp_targetILNS1_3genE8ELNS1_11target_archE1030ELNS1_3gpuE2ELNS1_3repE0EEENS1_30default_config_static_selectorELNS0_4arch9wavefront6targetE0EEEvT1_
		.amdhsa_group_segment_fixed_size 0
		.amdhsa_private_segment_fixed_size 0
		.amdhsa_kernarg_size 128
		.amdhsa_user_sgpr_count 2
		.amdhsa_user_sgpr_dispatch_ptr 0
		.amdhsa_user_sgpr_queue_ptr 0
		.amdhsa_user_sgpr_kernarg_segment_ptr 1
		.amdhsa_user_sgpr_dispatch_id 0
		.amdhsa_user_sgpr_private_segment_size 0
		.amdhsa_wavefront_size32 1
		.amdhsa_uses_dynamic_stack 0
		.amdhsa_enable_private_segment 0
		.amdhsa_system_sgpr_workgroup_id_x 1
		.amdhsa_system_sgpr_workgroup_id_y 0
		.amdhsa_system_sgpr_workgroup_id_z 0
		.amdhsa_system_sgpr_workgroup_info 0
		.amdhsa_system_vgpr_workitem_id 0
		.amdhsa_next_free_vgpr 1
		.amdhsa_next_free_sgpr 1
		.amdhsa_reserve_vcc 0
		.amdhsa_float_round_mode_32 0
		.amdhsa_float_round_mode_16_64 0
		.amdhsa_float_denorm_mode_32 3
		.amdhsa_float_denorm_mode_16_64 3
		.amdhsa_fp16_overflow 0
		.amdhsa_workgroup_processor_mode 1
		.amdhsa_memory_ordered 1
		.amdhsa_forward_progress 1
		.amdhsa_inst_pref_size 0
		.amdhsa_round_robin_scheduling 0
		.amdhsa_exception_fp_ieee_invalid_op 0
		.amdhsa_exception_fp_denorm_src 0
		.amdhsa_exception_fp_ieee_div_zero 0
		.amdhsa_exception_fp_ieee_overflow 0
		.amdhsa_exception_fp_ieee_underflow 0
		.amdhsa_exception_fp_ieee_inexact 0
		.amdhsa_exception_int_div_zero 0
	.end_amdhsa_kernel
	.section	.text._ZN7rocprim17ROCPRIM_400000_NS6detail17trampoline_kernelINS0_14default_configENS1_25partition_config_selectorILNS1_17partition_subalgoE6EyNS0_10empty_typeEbEEZZNS1_14partition_implILS5_6ELb0ES3_mN6thrust23THRUST_200600_302600_NS6detail15normal_iteratorINSA_10device_ptrIyEEEEPS6_SG_NS0_5tupleIJNSA_16discard_iteratorINSA_11use_defaultEEES6_EEENSH_IJSG_SG_EEES6_PlJNSB_9not_fun_tINSB_14equal_to_valueIyEEEEEEE10hipError_tPvRmT3_T4_T5_T6_T7_T9_mT8_P12ihipStream_tbDpT10_ENKUlT_T0_E_clISt17integral_constantIbLb0EES1B_EEDaS16_S17_EUlS16_E_NS1_11comp_targetILNS1_3genE8ELNS1_11target_archE1030ELNS1_3gpuE2ELNS1_3repE0EEENS1_30default_config_static_selectorELNS0_4arch9wavefront6targetE0EEEvT1_,"axG",@progbits,_ZN7rocprim17ROCPRIM_400000_NS6detail17trampoline_kernelINS0_14default_configENS1_25partition_config_selectorILNS1_17partition_subalgoE6EyNS0_10empty_typeEbEEZZNS1_14partition_implILS5_6ELb0ES3_mN6thrust23THRUST_200600_302600_NS6detail15normal_iteratorINSA_10device_ptrIyEEEEPS6_SG_NS0_5tupleIJNSA_16discard_iteratorINSA_11use_defaultEEES6_EEENSH_IJSG_SG_EEES6_PlJNSB_9not_fun_tINSB_14equal_to_valueIyEEEEEEE10hipError_tPvRmT3_T4_T5_T6_T7_T9_mT8_P12ihipStream_tbDpT10_ENKUlT_T0_E_clISt17integral_constantIbLb0EES1B_EEDaS16_S17_EUlS16_E_NS1_11comp_targetILNS1_3genE8ELNS1_11target_archE1030ELNS1_3gpuE2ELNS1_3repE0EEENS1_30default_config_static_selectorELNS0_4arch9wavefront6targetE0EEEvT1_,comdat
.Lfunc_end1636:
	.size	_ZN7rocprim17ROCPRIM_400000_NS6detail17trampoline_kernelINS0_14default_configENS1_25partition_config_selectorILNS1_17partition_subalgoE6EyNS0_10empty_typeEbEEZZNS1_14partition_implILS5_6ELb0ES3_mN6thrust23THRUST_200600_302600_NS6detail15normal_iteratorINSA_10device_ptrIyEEEEPS6_SG_NS0_5tupleIJNSA_16discard_iteratorINSA_11use_defaultEEES6_EEENSH_IJSG_SG_EEES6_PlJNSB_9not_fun_tINSB_14equal_to_valueIyEEEEEEE10hipError_tPvRmT3_T4_T5_T6_T7_T9_mT8_P12ihipStream_tbDpT10_ENKUlT_T0_E_clISt17integral_constantIbLb0EES1B_EEDaS16_S17_EUlS16_E_NS1_11comp_targetILNS1_3genE8ELNS1_11target_archE1030ELNS1_3gpuE2ELNS1_3repE0EEENS1_30default_config_static_selectorELNS0_4arch9wavefront6targetE0EEEvT1_, .Lfunc_end1636-_ZN7rocprim17ROCPRIM_400000_NS6detail17trampoline_kernelINS0_14default_configENS1_25partition_config_selectorILNS1_17partition_subalgoE6EyNS0_10empty_typeEbEEZZNS1_14partition_implILS5_6ELb0ES3_mN6thrust23THRUST_200600_302600_NS6detail15normal_iteratorINSA_10device_ptrIyEEEEPS6_SG_NS0_5tupleIJNSA_16discard_iteratorINSA_11use_defaultEEES6_EEENSH_IJSG_SG_EEES6_PlJNSB_9not_fun_tINSB_14equal_to_valueIyEEEEEEE10hipError_tPvRmT3_T4_T5_T6_T7_T9_mT8_P12ihipStream_tbDpT10_ENKUlT_T0_E_clISt17integral_constantIbLb0EES1B_EEDaS16_S17_EUlS16_E_NS1_11comp_targetILNS1_3genE8ELNS1_11target_archE1030ELNS1_3gpuE2ELNS1_3repE0EEENS1_30default_config_static_selectorELNS0_4arch9wavefront6targetE0EEEvT1_
                                        ; -- End function
	.set _ZN7rocprim17ROCPRIM_400000_NS6detail17trampoline_kernelINS0_14default_configENS1_25partition_config_selectorILNS1_17partition_subalgoE6EyNS0_10empty_typeEbEEZZNS1_14partition_implILS5_6ELb0ES3_mN6thrust23THRUST_200600_302600_NS6detail15normal_iteratorINSA_10device_ptrIyEEEEPS6_SG_NS0_5tupleIJNSA_16discard_iteratorINSA_11use_defaultEEES6_EEENSH_IJSG_SG_EEES6_PlJNSB_9not_fun_tINSB_14equal_to_valueIyEEEEEEE10hipError_tPvRmT3_T4_T5_T6_T7_T9_mT8_P12ihipStream_tbDpT10_ENKUlT_T0_E_clISt17integral_constantIbLb0EES1B_EEDaS16_S17_EUlS16_E_NS1_11comp_targetILNS1_3genE8ELNS1_11target_archE1030ELNS1_3gpuE2ELNS1_3repE0EEENS1_30default_config_static_selectorELNS0_4arch9wavefront6targetE0EEEvT1_.num_vgpr, 0
	.set _ZN7rocprim17ROCPRIM_400000_NS6detail17trampoline_kernelINS0_14default_configENS1_25partition_config_selectorILNS1_17partition_subalgoE6EyNS0_10empty_typeEbEEZZNS1_14partition_implILS5_6ELb0ES3_mN6thrust23THRUST_200600_302600_NS6detail15normal_iteratorINSA_10device_ptrIyEEEEPS6_SG_NS0_5tupleIJNSA_16discard_iteratorINSA_11use_defaultEEES6_EEENSH_IJSG_SG_EEES6_PlJNSB_9not_fun_tINSB_14equal_to_valueIyEEEEEEE10hipError_tPvRmT3_T4_T5_T6_T7_T9_mT8_P12ihipStream_tbDpT10_ENKUlT_T0_E_clISt17integral_constantIbLb0EES1B_EEDaS16_S17_EUlS16_E_NS1_11comp_targetILNS1_3genE8ELNS1_11target_archE1030ELNS1_3gpuE2ELNS1_3repE0EEENS1_30default_config_static_selectorELNS0_4arch9wavefront6targetE0EEEvT1_.num_agpr, 0
	.set _ZN7rocprim17ROCPRIM_400000_NS6detail17trampoline_kernelINS0_14default_configENS1_25partition_config_selectorILNS1_17partition_subalgoE6EyNS0_10empty_typeEbEEZZNS1_14partition_implILS5_6ELb0ES3_mN6thrust23THRUST_200600_302600_NS6detail15normal_iteratorINSA_10device_ptrIyEEEEPS6_SG_NS0_5tupleIJNSA_16discard_iteratorINSA_11use_defaultEEES6_EEENSH_IJSG_SG_EEES6_PlJNSB_9not_fun_tINSB_14equal_to_valueIyEEEEEEE10hipError_tPvRmT3_T4_T5_T6_T7_T9_mT8_P12ihipStream_tbDpT10_ENKUlT_T0_E_clISt17integral_constantIbLb0EES1B_EEDaS16_S17_EUlS16_E_NS1_11comp_targetILNS1_3genE8ELNS1_11target_archE1030ELNS1_3gpuE2ELNS1_3repE0EEENS1_30default_config_static_selectorELNS0_4arch9wavefront6targetE0EEEvT1_.numbered_sgpr, 0
	.set _ZN7rocprim17ROCPRIM_400000_NS6detail17trampoline_kernelINS0_14default_configENS1_25partition_config_selectorILNS1_17partition_subalgoE6EyNS0_10empty_typeEbEEZZNS1_14partition_implILS5_6ELb0ES3_mN6thrust23THRUST_200600_302600_NS6detail15normal_iteratorINSA_10device_ptrIyEEEEPS6_SG_NS0_5tupleIJNSA_16discard_iteratorINSA_11use_defaultEEES6_EEENSH_IJSG_SG_EEES6_PlJNSB_9not_fun_tINSB_14equal_to_valueIyEEEEEEE10hipError_tPvRmT3_T4_T5_T6_T7_T9_mT8_P12ihipStream_tbDpT10_ENKUlT_T0_E_clISt17integral_constantIbLb0EES1B_EEDaS16_S17_EUlS16_E_NS1_11comp_targetILNS1_3genE8ELNS1_11target_archE1030ELNS1_3gpuE2ELNS1_3repE0EEENS1_30default_config_static_selectorELNS0_4arch9wavefront6targetE0EEEvT1_.num_named_barrier, 0
	.set _ZN7rocprim17ROCPRIM_400000_NS6detail17trampoline_kernelINS0_14default_configENS1_25partition_config_selectorILNS1_17partition_subalgoE6EyNS0_10empty_typeEbEEZZNS1_14partition_implILS5_6ELb0ES3_mN6thrust23THRUST_200600_302600_NS6detail15normal_iteratorINSA_10device_ptrIyEEEEPS6_SG_NS0_5tupleIJNSA_16discard_iteratorINSA_11use_defaultEEES6_EEENSH_IJSG_SG_EEES6_PlJNSB_9not_fun_tINSB_14equal_to_valueIyEEEEEEE10hipError_tPvRmT3_T4_T5_T6_T7_T9_mT8_P12ihipStream_tbDpT10_ENKUlT_T0_E_clISt17integral_constantIbLb0EES1B_EEDaS16_S17_EUlS16_E_NS1_11comp_targetILNS1_3genE8ELNS1_11target_archE1030ELNS1_3gpuE2ELNS1_3repE0EEENS1_30default_config_static_selectorELNS0_4arch9wavefront6targetE0EEEvT1_.private_seg_size, 0
	.set _ZN7rocprim17ROCPRIM_400000_NS6detail17trampoline_kernelINS0_14default_configENS1_25partition_config_selectorILNS1_17partition_subalgoE6EyNS0_10empty_typeEbEEZZNS1_14partition_implILS5_6ELb0ES3_mN6thrust23THRUST_200600_302600_NS6detail15normal_iteratorINSA_10device_ptrIyEEEEPS6_SG_NS0_5tupleIJNSA_16discard_iteratorINSA_11use_defaultEEES6_EEENSH_IJSG_SG_EEES6_PlJNSB_9not_fun_tINSB_14equal_to_valueIyEEEEEEE10hipError_tPvRmT3_T4_T5_T6_T7_T9_mT8_P12ihipStream_tbDpT10_ENKUlT_T0_E_clISt17integral_constantIbLb0EES1B_EEDaS16_S17_EUlS16_E_NS1_11comp_targetILNS1_3genE8ELNS1_11target_archE1030ELNS1_3gpuE2ELNS1_3repE0EEENS1_30default_config_static_selectorELNS0_4arch9wavefront6targetE0EEEvT1_.uses_vcc, 0
	.set _ZN7rocprim17ROCPRIM_400000_NS6detail17trampoline_kernelINS0_14default_configENS1_25partition_config_selectorILNS1_17partition_subalgoE6EyNS0_10empty_typeEbEEZZNS1_14partition_implILS5_6ELb0ES3_mN6thrust23THRUST_200600_302600_NS6detail15normal_iteratorINSA_10device_ptrIyEEEEPS6_SG_NS0_5tupleIJNSA_16discard_iteratorINSA_11use_defaultEEES6_EEENSH_IJSG_SG_EEES6_PlJNSB_9not_fun_tINSB_14equal_to_valueIyEEEEEEE10hipError_tPvRmT3_T4_T5_T6_T7_T9_mT8_P12ihipStream_tbDpT10_ENKUlT_T0_E_clISt17integral_constantIbLb0EES1B_EEDaS16_S17_EUlS16_E_NS1_11comp_targetILNS1_3genE8ELNS1_11target_archE1030ELNS1_3gpuE2ELNS1_3repE0EEENS1_30default_config_static_selectorELNS0_4arch9wavefront6targetE0EEEvT1_.uses_flat_scratch, 0
	.set _ZN7rocprim17ROCPRIM_400000_NS6detail17trampoline_kernelINS0_14default_configENS1_25partition_config_selectorILNS1_17partition_subalgoE6EyNS0_10empty_typeEbEEZZNS1_14partition_implILS5_6ELb0ES3_mN6thrust23THRUST_200600_302600_NS6detail15normal_iteratorINSA_10device_ptrIyEEEEPS6_SG_NS0_5tupleIJNSA_16discard_iteratorINSA_11use_defaultEEES6_EEENSH_IJSG_SG_EEES6_PlJNSB_9not_fun_tINSB_14equal_to_valueIyEEEEEEE10hipError_tPvRmT3_T4_T5_T6_T7_T9_mT8_P12ihipStream_tbDpT10_ENKUlT_T0_E_clISt17integral_constantIbLb0EES1B_EEDaS16_S17_EUlS16_E_NS1_11comp_targetILNS1_3genE8ELNS1_11target_archE1030ELNS1_3gpuE2ELNS1_3repE0EEENS1_30default_config_static_selectorELNS0_4arch9wavefront6targetE0EEEvT1_.has_dyn_sized_stack, 0
	.set _ZN7rocprim17ROCPRIM_400000_NS6detail17trampoline_kernelINS0_14default_configENS1_25partition_config_selectorILNS1_17partition_subalgoE6EyNS0_10empty_typeEbEEZZNS1_14partition_implILS5_6ELb0ES3_mN6thrust23THRUST_200600_302600_NS6detail15normal_iteratorINSA_10device_ptrIyEEEEPS6_SG_NS0_5tupleIJNSA_16discard_iteratorINSA_11use_defaultEEES6_EEENSH_IJSG_SG_EEES6_PlJNSB_9not_fun_tINSB_14equal_to_valueIyEEEEEEE10hipError_tPvRmT3_T4_T5_T6_T7_T9_mT8_P12ihipStream_tbDpT10_ENKUlT_T0_E_clISt17integral_constantIbLb0EES1B_EEDaS16_S17_EUlS16_E_NS1_11comp_targetILNS1_3genE8ELNS1_11target_archE1030ELNS1_3gpuE2ELNS1_3repE0EEENS1_30default_config_static_selectorELNS0_4arch9wavefront6targetE0EEEvT1_.has_recursion, 0
	.set _ZN7rocprim17ROCPRIM_400000_NS6detail17trampoline_kernelINS0_14default_configENS1_25partition_config_selectorILNS1_17partition_subalgoE6EyNS0_10empty_typeEbEEZZNS1_14partition_implILS5_6ELb0ES3_mN6thrust23THRUST_200600_302600_NS6detail15normal_iteratorINSA_10device_ptrIyEEEEPS6_SG_NS0_5tupleIJNSA_16discard_iteratorINSA_11use_defaultEEES6_EEENSH_IJSG_SG_EEES6_PlJNSB_9not_fun_tINSB_14equal_to_valueIyEEEEEEE10hipError_tPvRmT3_T4_T5_T6_T7_T9_mT8_P12ihipStream_tbDpT10_ENKUlT_T0_E_clISt17integral_constantIbLb0EES1B_EEDaS16_S17_EUlS16_E_NS1_11comp_targetILNS1_3genE8ELNS1_11target_archE1030ELNS1_3gpuE2ELNS1_3repE0EEENS1_30default_config_static_selectorELNS0_4arch9wavefront6targetE0EEEvT1_.has_indirect_call, 0
	.section	.AMDGPU.csdata,"",@progbits
; Kernel info:
; codeLenInByte = 0
; TotalNumSgprs: 0
; NumVgprs: 0
; ScratchSize: 0
; MemoryBound: 0
; FloatMode: 240
; IeeeMode: 1
; LDSByteSize: 0 bytes/workgroup (compile time only)
; SGPRBlocks: 0
; VGPRBlocks: 0
; NumSGPRsForWavesPerEU: 1
; NumVGPRsForWavesPerEU: 1
; Occupancy: 16
; WaveLimiterHint : 0
; COMPUTE_PGM_RSRC2:SCRATCH_EN: 0
; COMPUTE_PGM_RSRC2:USER_SGPR: 2
; COMPUTE_PGM_RSRC2:TRAP_HANDLER: 0
; COMPUTE_PGM_RSRC2:TGID_X_EN: 1
; COMPUTE_PGM_RSRC2:TGID_Y_EN: 0
; COMPUTE_PGM_RSRC2:TGID_Z_EN: 0
; COMPUTE_PGM_RSRC2:TIDIG_COMP_CNT: 0
	.section	.text._ZN7rocprim17ROCPRIM_400000_NS6detail17trampoline_kernelINS0_14default_configENS1_25partition_config_selectorILNS1_17partition_subalgoE6EyNS0_10empty_typeEbEEZZNS1_14partition_implILS5_6ELb0ES3_mN6thrust23THRUST_200600_302600_NS6detail15normal_iteratorINSA_10device_ptrIyEEEEPS6_SG_NS0_5tupleIJNSA_16discard_iteratorINSA_11use_defaultEEES6_EEENSH_IJSG_SG_EEES6_PlJNSB_9not_fun_tINSB_14equal_to_valueIyEEEEEEE10hipError_tPvRmT3_T4_T5_T6_T7_T9_mT8_P12ihipStream_tbDpT10_ENKUlT_T0_E_clISt17integral_constantIbLb1EES1B_EEDaS16_S17_EUlS16_E_NS1_11comp_targetILNS1_3genE0ELNS1_11target_archE4294967295ELNS1_3gpuE0ELNS1_3repE0EEENS1_30default_config_static_selectorELNS0_4arch9wavefront6targetE0EEEvT1_,"axG",@progbits,_ZN7rocprim17ROCPRIM_400000_NS6detail17trampoline_kernelINS0_14default_configENS1_25partition_config_selectorILNS1_17partition_subalgoE6EyNS0_10empty_typeEbEEZZNS1_14partition_implILS5_6ELb0ES3_mN6thrust23THRUST_200600_302600_NS6detail15normal_iteratorINSA_10device_ptrIyEEEEPS6_SG_NS0_5tupleIJNSA_16discard_iteratorINSA_11use_defaultEEES6_EEENSH_IJSG_SG_EEES6_PlJNSB_9not_fun_tINSB_14equal_to_valueIyEEEEEEE10hipError_tPvRmT3_T4_T5_T6_T7_T9_mT8_P12ihipStream_tbDpT10_ENKUlT_T0_E_clISt17integral_constantIbLb1EES1B_EEDaS16_S17_EUlS16_E_NS1_11comp_targetILNS1_3genE0ELNS1_11target_archE4294967295ELNS1_3gpuE0ELNS1_3repE0EEENS1_30default_config_static_selectorELNS0_4arch9wavefront6targetE0EEEvT1_,comdat
	.protected	_ZN7rocprim17ROCPRIM_400000_NS6detail17trampoline_kernelINS0_14default_configENS1_25partition_config_selectorILNS1_17partition_subalgoE6EyNS0_10empty_typeEbEEZZNS1_14partition_implILS5_6ELb0ES3_mN6thrust23THRUST_200600_302600_NS6detail15normal_iteratorINSA_10device_ptrIyEEEEPS6_SG_NS0_5tupleIJNSA_16discard_iteratorINSA_11use_defaultEEES6_EEENSH_IJSG_SG_EEES6_PlJNSB_9not_fun_tINSB_14equal_to_valueIyEEEEEEE10hipError_tPvRmT3_T4_T5_T6_T7_T9_mT8_P12ihipStream_tbDpT10_ENKUlT_T0_E_clISt17integral_constantIbLb1EES1B_EEDaS16_S17_EUlS16_E_NS1_11comp_targetILNS1_3genE0ELNS1_11target_archE4294967295ELNS1_3gpuE0ELNS1_3repE0EEENS1_30default_config_static_selectorELNS0_4arch9wavefront6targetE0EEEvT1_ ; -- Begin function _ZN7rocprim17ROCPRIM_400000_NS6detail17trampoline_kernelINS0_14default_configENS1_25partition_config_selectorILNS1_17partition_subalgoE6EyNS0_10empty_typeEbEEZZNS1_14partition_implILS5_6ELb0ES3_mN6thrust23THRUST_200600_302600_NS6detail15normal_iteratorINSA_10device_ptrIyEEEEPS6_SG_NS0_5tupleIJNSA_16discard_iteratorINSA_11use_defaultEEES6_EEENSH_IJSG_SG_EEES6_PlJNSB_9not_fun_tINSB_14equal_to_valueIyEEEEEEE10hipError_tPvRmT3_T4_T5_T6_T7_T9_mT8_P12ihipStream_tbDpT10_ENKUlT_T0_E_clISt17integral_constantIbLb1EES1B_EEDaS16_S17_EUlS16_E_NS1_11comp_targetILNS1_3genE0ELNS1_11target_archE4294967295ELNS1_3gpuE0ELNS1_3repE0EEENS1_30default_config_static_selectorELNS0_4arch9wavefront6targetE0EEEvT1_
	.globl	_ZN7rocprim17ROCPRIM_400000_NS6detail17trampoline_kernelINS0_14default_configENS1_25partition_config_selectorILNS1_17partition_subalgoE6EyNS0_10empty_typeEbEEZZNS1_14partition_implILS5_6ELb0ES3_mN6thrust23THRUST_200600_302600_NS6detail15normal_iteratorINSA_10device_ptrIyEEEEPS6_SG_NS0_5tupleIJNSA_16discard_iteratorINSA_11use_defaultEEES6_EEENSH_IJSG_SG_EEES6_PlJNSB_9not_fun_tINSB_14equal_to_valueIyEEEEEEE10hipError_tPvRmT3_T4_T5_T6_T7_T9_mT8_P12ihipStream_tbDpT10_ENKUlT_T0_E_clISt17integral_constantIbLb1EES1B_EEDaS16_S17_EUlS16_E_NS1_11comp_targetILNS1_3genE0ELNS1_11target_archE4294967295ELNS1_3gpuE0ELNS1_3repE0EEENS1_30default_config_static_selectorELNS0_4arch9wavefront6targetE0EEEvT1_
	.p2align	8
	.type	_ZN7rocprim17ROCPRIM_400000_NS6detail17trampoline_kernelINS0_14default_configENS1_25partition_config_selectorILNS1_17partition_subalgoE6EyNS0_10empty_typeEbEEZZNS1_14partition_implILS5_6ELb0ES3_mN6thrust23THRUST_200600_302600_NS6detail15normal_iteratorINSA_10device_ptrIyEEEEPS6_SG_NS0_5tupleIJNSA_16discard_iteratorINSA_11use_defaultEEES6_EEENSH_IJSG_SG_EEES6_PlJNSB_9not_fun_tINSB_14equal_to_valueIyEEEEEEE10hipError_tPvRmT3_T4_T5_T6_T7_T9_mT8_P12ihipStream_tbDpT10_ENKUlT_T0_E_clISt17integral_constantIbLb1EES1B_EEDaS16_S17_EUlS16_E_NS1_11comp_targetILNS1_3genE0ELNS1_11target_archE4294967295ELNS1_3gpuE0ELNS1_3repE0EEENS1_30default_config_static_selectorELNS0_4arch9wavefront6targetE0EEEvT1_,@function
_ZN7rocprim17ROCPRIM_400000_NS6detail17trampoline_kernelINS0_14default_configENS1_25partition_config_selectorILNS1_17partition_subalgoE6EyNS0_10empty_typeEbEEZZNS1_14partition_implILS5_6ELb0ES3_mN6thrust23THRUST_200600_302600_NS6detail15normal_iteratorINSA_10device_ptrIyEEEEPS6_SG_NS0_5tupleIJNSA_16discard_iteratorINSA_11use_defaultEEES6_EEENSH_IJSG_SG_EEES6_PlJNSB_9not_fun_tINSB_14equal_to_valueIyEEEEEEE10hipError_tPvRmT3_T4_T5_T6_T7_T9_mT8_P12ihipStream_tbDpT10_ENKUlT_T0_E_clISt17integral_constantIbLb1EES1B_EEDaS16_S17_EUlS16_E_NS1_11comp_targetILNS1_3genE0ELNS1_11target_archE4294967295ELNS1_3gpuE0ELNS1_3repE0EEENS1_30default_config_static_selectorELNS0_4arch9wavefront6targetE0EEEvT1_: ; @_ZN7rocprim17ROCPRIM_400000_NS6detail17trampoline_kernelINS0_14default_configENS1_25partition_config_selectorILNS1_17partition_subalgoE6EyNS0_10empty_typeEbEEZZNS1_14partition_implILS5_6ELb0ES3_mN6thrust23THRUST_200600_302600_NS6detail15normal_iteratorINSA_10device_ptrIyEEEEPS6_SG_NS0_5tupleIJNSA_16discard_iteratorINSA_11use_defaultEEES6_EEENSH_IJSG_SG_EEES6_PlJNSB_9not_fun_tINSB_14equal_to_valueIyEEEEEEE10hipError_tPvRmT3_T4_T5_T6_T7_T9_mT8_P12ihipStream_tbDpT10_ENKUlT_T0_E_clISt17integral_constantIbLb1EES1B_EEDaS16_S17_EUlS16_E_NS1_11comp_targetILNS1_3genE0ELNS1_11target_archE4294967295ELNS1_3gpuE0ELNS1_3repE0EEENS1_30default_config_static_selectorELNS0_4arch9wavefront6targetE0EEEvT1_
; %bb.0:
	.section	.rodata,"a",@progbits
	.p2align	6, 0x0
	.amdhsa_kernel _ZN7rocprim17ROCPRIM_400000_NS6detail17trampoline_kernelINS0_14default_configENS1_25partition_config_selectorILNS1_17partition_subalgoE6EyNS0_10empty_typeEbEEZZNS1_14partition_implILS5_6ELb0ES3_mN6thrust23THRUST_200600_302600_NS6detail15normal_iteratorINSA_10device_ptrIyEEEEPS6_SG_NS0_5tupleIJNSA_16discard_iteratorINSA_11use_defaultEEES6_EEENSH_IJSG_SG_EEES6_PlJNSB_9not_fun_tINSB_14equal_to_valueIyEEEEEEE10hipError_tPvRmT3_T4_T5_T6_T7_T9_mT8_P12ihipStream_tbDpT10_ENKUlT_T0_E_clISt17integral_constantIbLb1EES1B_EEDaS16_S17_EUlS16_E_NS1_11comp_targetILNS1_3genE0ELNS1_11target_archE4294967295ELNS1_3gpuE0ELNS1_3repE0EEENS1_30default_config_static_selectorELNS0_4arch9wavefront6targetE0EEEvT1_
		.amdhsa_group_segment_fixed_size 0
		.amdhsa_private_segment_fixed_size 0
		.amdhsa_kernarg_size 136
		.amdhsa_user_sgpr_count 2
		.amdhsa_user_sgpr_dispatch_ptr 0
		.amdhsa_user_sgpr_queue_ptr 0
		.amdhsa_user_sgpr_kernarg_segment_ptr 1
		.amdhsa_user_sgpr_dispatch_id 0
		.amdhsa_user_sgpr_private_segment_size 0
		.amdhsa_wavefront_size32 1
		.amdhsa_uses_dynamic_stack 0
		.amdhsa_enable_private_segment 0
		.amdhsa_system_sgpr_workgroup_id_x 1
		.amdhsa_system_sgpr_workgroup_id_y 0
		.amdhsa_system_sgpr_workgroup_id_z 0
		.amdhsa_system_sgpr_workgroup_info 0
		.amdhsa_system_vgpr_workitem_id 0
		.amdhsa_next_free_vgpr 1
		.amdhsa_next_free_sgpr 1
		.amdhsa_reserve_vcc 0
		.amdhsa_float_round_mode_32 0
		.amdhsa_float_round_mode_16_64 0
		.amdhsa_float_denorm_mode_32 3
		.amdhsa_float_denorm_mode_16_64 3
		.amdhsa_fp16_overflow 0
		.amdhsa_workgroup_processor_mode 1
		.amdhsa_memory_ordered 1
		.amdhsa_forward_progress 1
		.amdhsa_inst_pref_size 0
		.amdhsa_round_robin_scheduling 0
		.amdhsa_exception_fp_ieee_invalid_op 0
		.amdhsa_exception_fp_denorm_src 0
		.amdhsa_exception_fp_ieee_div_zero 0
		.amdhsa_exception_fp_ieee_overflow 0
		.amdhsa_exception_fp_ieee_underflow 0
		.amdhsa_exception_fp_ieee_inexact 0
		.amdhsa_exception_int_div_zero 0
	.end_amdhsa_kernel
	.section	.text._ZN7rocprim17ROCPRIM_400000_NS6detail17trampoline_kernelINS0_14default_configENS1_25partition_config_selectorILNS1_17partition_subalgoE6EyNS0_10empty_typeEbEEZZNS1_14partition_implILS5_6ELb0ES3_mN6thrust23THRUST_200600_302600_NS6detail15normal_iteratorINSA_10device_ptrIyEEEEPS6_SG_NS0_5tupleIJNSA_16discard_iteratorINSA_11use_defaultEEES6_EEENSH_IJSG_SG_EEES6_PlJNSB_9not_fun_tINSB_14equal_to_valueIyEEEEEEE10hipError_tPvRmT3_T4_T5_T6_T7_T9_mT8_P12ihipStream_tbDpT10_ENKUlT_T0_E_clISt17integral_constantIbLb1EES1B_EEDaS16_S17_EUlS16_E_NS1_11comp_targetILNS1_3genE0ELNS1_11target_archE4294967295ELNS1_3gpuE0ELNS1_3repE0EEENS1_30default_config_static_selectorELNS0_4arch9wavefront6targetE0EEEvT1_,"axG",@progbits,_ZN7rocprim17ROCPRIM_400000_NS6detail17trampoline_kernelINS0_14default_configENS1_25partition_config_selectorILNS1_17partition_subalgoE6EyNS0_10empty_typeEbEEZZNS1_14partition_implILS5_6ELb0ES3_mN6thrust23THRUST_200600_302600_NS6detail15normal_iteratorINSA_10device_ptrIyEEEEPS6_SG_NS0_5tupleIJNSA_16discard_iteratorINSA_11use_defaultEEES6_EEENSH_IJSG_SG_EEES6_PlJNSB_9not_fun_tINSB_14equal_to_valueIyEEEEEEE10hipError_tPvRmT3_T4_T5_T6_T7_T9_mT8_P12ihipStream_tbDpT10_ENKUlT_T0_E_clISt17integral_constantIbLb1EES1B_EEDaS16_S17_EUlS16_E_NS1_11comp_targetILNS1_3genE0ELNS1_11target_archE4294967295ELNS1_3gpuE0ELNS1_3repE0EEENS1_30default_config_static_selectorELNS0_4arch9wavefront6targetE0EEEvT1_,comdat
.Lfunc_end1637:
	.size	_ZN7rocprim17ROCPRIM_400000_NS6detail17trampoline_kernelINS0_14default_configENS1_25partition_config_selectorILNS1_17partition_subalgoE6EyNS0_10empty_typeEbEEZZNS1_14partition_implILS5_6ELb0ES3_mN6thrust23THRUST_200600_302600_NS6detail15normal_iteratorINSA_10device_ptrIyEEEEPS6_SG_NS0_5tupleIJNSA_16discard_iteratorINSA_11use_defaultEEES6_EEENSH_IJSG_SG_EEES6_PlJNSB_9not_fun_tINSB_14equal_to_valueIyEEEEEEE10hipError_tPvRmT3_T4_T5_T6_T7_T9_mT8_P12ihipStream_tbDpT10_ENKUlT_T0_E_clISt17integral_constantIbLb1EES1B_EEDaS16_S17_EUlS16_E_NS1_11comp_targetILNS1_3genE0ELNS1_11target_archE4294967295ELNS1_3gpuE0ELNS1_3repE0EEENS1_30default_config_static_selectorELNS0_4arch9wavefront6targetE0EEEvT1_, .Lfunc_end1637-_ZN7rocprim17ROCPRIM_400000_NS6detail17trampoline_kernelINS0_14default_configENS1_25partition_config_selectorILNS1_17partition_subalgoE6EyNS0_10empty_typeEbEEZZNS1_14partition_implILS5_6ELb0ES3_mN6thrust23THRUST_200600_302600_NS6detail15normal_iteratorINSA_10device_ptrIyEEEEPS6_SG_NS0_5tupleIJNSA_16discard_iteratorINSA_11use_defaultEEES6_EEENSH_IJSG_SG_EEES6_PlJNSB_9not_fun_tINSB_14equal_to_valueIyEEEEEEE10hipError_tPvRmT3_T4_T5_T6_T7_T9_mT8_P12ihipStream_tbDpT10_ENKUlT_T0_E_clISt17integral_constantIbLb1EES1B_EEDaS16_S17_EUlS16_E_NS1_11comp_targetILNS1_3genE0ELNS1_11target_archE4294967295ELNS1_3gpuE0ELNS1_3repE0EEENS1_30default_config_static_selectorELNS0_4arch9wavefront6targetE0EEEvT1_
                                        ; -- End function
	.set _ZN7rocprim17ROCPRIM_400000_NS6detail17trampoline_kernelINS0_14default_configENS1_25partition_config_selectorILNS1_17partition_subalgoE6EyNS0_10empty_typeEbEEZZNS1_14partition_implILS5_6ELb0ES3_mN6thrust23THRUST_200600_302600_NS6detail15normal_iteratorINSA_10device_ptrIyEEEEPS6_SG_NS0_5tupleIJNSA_16discard_iteratorINSA_11use_defaultEEES6_EEENSH_IJSG_SG_EEES6_PlJNSB_9not_fun_tINSB_14equal_to_valueIyEEEEEEE10hipError_tPvRmT3_T4_T5_T6_T7_T9_mT8_P12ihipStream_tbDpT10_ENKUlT_T0_E_clISt17integral_constantIbLb1EES1B_EEDaS16_S17_EUlS16_E_NS1_11comp_targetILNS1_3genE0ELNS1_11target_archE4294967295ELNS1_3gpuE0ELNS1_3repE0EEENS1_30default_config_static_selectorELNS0_4arch9wavefront6targetE0EEEvT1_.num_vgpr, 0
	.set _ZN7rocprim17ROCPRIM_400000_NS6detail17trampoline_kernelINS0_14default_configENS1_25partition_config_selectorILNS1_17partition_subalgoE6EyNS0_10empty_typeEbEEZZNS1_14partition_implILS5_6ELb0ES3_mN6thrust23THRUST_200600_302600_NS6detail15normal_iteratorINSA_10device_ptrIyEEEEPS6_SG_NS0_5tupleIJNSA_16discard_iteratorINSA_11use_defaultEEES6_EEENSH_IJSG_SG_EEES6_PlJNSB_9not_fun_tINSB_14equal_to_valueIyEEEEEEE10hipError_tPvRmT3_T4_T5_T6_T7_T9_mT8_P12ihipStream_tbDpT10_ENKUlT_T0_E_clISt17integral_constantIbLb1EES1B_EEDaS16_S17_EUlS16_E_NS1_11comp_targetILNS1_3genE0ELNS1_11target_archE4294967295ELNS1_3gpuE0ELNS1_3repE0EEENS1_30default_config_static_selectorELNS0_4arch9wavefront6targetE0EEEvT1_.num_agpr, 0
	.set _ZN7rocprim17ROCPRIM_400000_NS6detail17trampoline_kernelINS0_14default_configENS1_25partition_config_selectorILNS1_17partition_subalgoE6EyNS0_10empty_typeEbEEZZNS1_14partition_implILS5_6ELb0ES3_mN6thrust23THRUST_200600_302600_NS6detail15normal_iteratorINSA_10device_ptrIyEEEEPS6_SG_NS0_5tupleIJNSA_16discard_iteratorINSA_11use_defaultEEES6_EEENSH_IJSG_SG_EEES6_PlJNSB_9not_fun_tINSB_14equal_to_valueIyEEEEEEE10hipError_tPvRmT3_T4_T5_T6_T7_T9_mT8_P12ihipStream_tbDpT10_ENKUlT_T0_E_clISt17integral_constantIbLb1EES1B_EEDaS16_S17_EUlS16_E_NS1_11comp_targetILNS1_3genE0ELNS1_11target_archE4294967295ELNS1_3gpuE0ELNS1_3repE0EEENS1_30default_config_static_selectorELNS0_4arch9wavefront6targetE0EEEvT1_.numbered_sgpr, 0
	.set _ZN7rocprim17ROCPRIM_400000_NS6detail17trampoline_kernelINS0_14default_configENS1_25partition_config_selectorILNS1_17partition_subalgoE6EyNS0_10empty_typeEbEEZZNS1_14partition_implILS5_6ELb0ES3_mN6thrust23THRUST_200600_302600_NS6detail15normal_iteratorINSA_10device_ptrIyEEEEPS6_SG_NS0_5tupleIJNSA_16discard_iteratorINSA_11use_defaultEEES6_EEENSH_IJSG_SG_EEES6_PlJNSB_9not_fun_tINSB_14equal_to_valueIyEEEEEEE10hipError_tPvRmT3_T4_T5_T6_T7_T9_mT8_P12ihipStream_tbDpT10_ENKUlT_T0_E_clISt17integral_constantIbLb1EES1B_EEDaS16_S17_EUlS16_E_NS1_11comp_targetILNS1_3genE0ELNS1_11target_archE4294967295ELNS1_3gpuE0ELNS1_3repE0EEENS1_30default_config_static_selectorELNS0_4arch9wavefront6targetE0EEEvT1_.num_named_barrier, 0
	.set _ZN7rocprim17ROCPRIM_400000_NS6detail17trampoline_kernelINS0_14default_configENS1_25partition_config_selectorILNS1_17partition_subalgoE6EyNS0_10empty_typeEbEEZZNS1_14partition_implILS5_6ELb0ES3_mN6thrust23THRUST_200600_302600_NS6detail15normal_iteratorINSA_10device_ptrIyEEEEPS6_SG_NS0_5tupleIJNSA_16discard_iteratorINSA_11use_defaultEEES6_EEENSH_IJSG_SG_EEES6_PlJNSB_9not_fun_tINSB_14equal_to_valueIyEEEEEEE10hipError_tPvRmT3_T4_T5_T6_T7_T9_mT8_P12ihipStream_tbDpT10_ENKUlT_T0_E_clISt17integral_constantIbLb1EES1B_EEDaS16_S17_EUlS16_E_NS1_11comp_targetILNS1_3genE0ELNS1_11target_archE4294967295ELNS1_3gpuE0ELNS1_3repE0EEENS1_30default_config_static_selectorELNS0_4arch9wavefront6targetE0EEEvT1_.private_seg_size, 0
	.set _ZN7rocprim17ROCPRIM_400000_NS6detail17trampoline_kernelINS0_14default_configENS1_25partition_config_selectorILNS1_17partition_subalgoE6EyNS0_10empty_typeEbEEZZNS1_14partition_implILS5_6ELb0ES3_mN6thrust23THRUST_200600_302600_NS6detail15normal_iteratorINSA_10device_ptrIyEEEEPS6_SG_NS0_5tupleIJNSA_16discard_iteratorINSA_11use_defaultEEES6_EEENSH_IJSG_SG_EEES6_PlJNSB_9not_fun_tINSB_14equal_to_valueIyEEEEEEE10hipError_tPvRmT3_T4_T5_T6_T7_T9_mT8_P12ihipStream_tbDpT10_ENKUlT_T0_E_clISt17integral_constantIbLb1EES1B_EEDaS16_S17_EUlS16_E_NS1_11comp_targetILNS1_3genE0ELNS1_11target_archE4294967295ELNS1_3gpuE0ELNS1_3repE0EEENS1_30default_config_static_selectorELNS0_4arch9wavefront6targetE0EEEvT1_.uses_vcc, 0
	.set _ZN7rocprim17ROCPRIM_400000_NS6detail17trampoline_kernelINS0_14default_configENS1_25partition_config_selectorILNS1_17partition_subalgoE6EyNS0_10empty_typeEbEEZZNS1_14partition_implILS5_6ELb0ES3_mN6thrust23THRUST_200600_302600_NS6detail15normal_iteratorINSA_10device_ptrIyEEEEPS6_SG_NS0_5tupleIJNSA_16discard_iteratorINSA_11use_defaultEEES6_EEENSH_IJSG_SG_EEES6_PlJNSB_9not_fun_tINSB_14equal_to_valueIyEEEEEEE10hipError_tPvRmT3_T4_T5_T6_T7_T9_mT8_P12ihipStream_tbDpT10_ENKUlT_T0_E_clISt17integral_constantIbLb1EES1B_EEDaS16_S17_EUlS16_E_NS1_11comp_targetILNS1_3genE0ELNS1_11target_archE4294967295ELNS1_3gpuE0ELNS1_3repE0EEENS1_30default_config_static_selectorELNS0_4arch9wavefront6targetE0EEEvT1_.uses_flat_scratch, 0
	.set _ZN7rocprim17ROCPRIM_400000_NS6detail17trampoline_kernelINS0_14default_configENS1_25partition_config_selectorILNS1_17partition_subalgoE6EyNS0_10empty_typeEbEEZZNS1_14partition_implILS5_6ELb0ES3_mN6thrust23THRUST_200600_302600_NS6detail15normal_iteratorINSA_10device_ptrIyEEEEPS6_SG_NS0_5tupleIJNSA_16discard_iteratorINSA_11use_defaultEEES6_EEENSH_IJSG_SG_EEES6_PlJNSB_9not_fun_tINSB_14equal_to_valueIyEEEEEEE10hipError_tPvRmT3_T4_T5_T6_T7_T9_mT8_P12ihipStream_tbDpT10_ENKUlT_T0_E_clISt17integral_constantIbLb1EES1B_EEDaS16_S17_EUlS16_E_NS1_11comp_targetILNS1_3genE0ELNS1_11target_archE4294967295ELNS1_3gpuE0ELNS1_3repE0EEENS1_30default_config_static_selectorELNS0_4arch9wavefront6targetE0EEEvT1_.has_dyn_sized_stack, 0
	.set _ZN7rocprim17ROCPRIM_400000_NS6detail17trampoline_kernelINS0_14default_configENS1_25partition_config_selectorILNS1_17partition_subalgoE6EyNS0_10empty_typeEbEEZZNS1_14partition_implILS5_6ELb0ES3_mN6thrust23THRUST_200600_302600_NS6detail15normal_iteratorINSA_10device_ptrIyEEEEPS6_SG_NS0_5tupleIJNSA_16discard_iteratorINSA_11use_defaultEEES6_EEENSH_IJSG_SG_EEES6_PlJNSB_9not_fun_tINSB_14equal_to_valueIyEEEEEEE10hipError_tPvRmT3_T4_T5_T6_T7_T9_mT8_P12ihipStream_tbDpT10_ENKUlT_T0_E_clISt17integral_constantIbLb1EES1B_EEDaS16_S17_EUlS16_E_NS1_11comp_targetILNS1_3genE0ELNS1_11target_archE4294967295ELNS1_3gpuE0ELNS1_3repE0EEENS1_30default_config_static_selectorELNS0_4arch9wavefront6targetE0EEEvT1_.has_recursion, 0
	.set _ZN7rocprim17ROCPRIM_400000_NS6detail17trampoline_kernelINS0_14default_configENS1_25partition_config_selectorILNS1_17partition_subalgoE6EyNS0_10empty_typeEbEEZZNS1_14partition_implILS5_6ELb0ES3_mN6thrust23THRUST_200600_302600_NS6detail15normal_iteratorINSA_10device_ptrIyEEEEPS6_SG_NS0_5tupleIJNSA_16discard_iteratorINSA_11use_defaultEEES6_EEENSH_IJSG_SG_EEES6_PlJNSB_9not_fun_tINSB_14equal_to_valueIyEEEEEEE10hipError_tPvRmT3_T4_T5_T6_T7_T9_mT8_P12ihipStream_tbDpT10_ENKUlT_T0_E_clISt17integral_constantIbLb1EES1B_EEDaS16_S17_EUlS16_E_NS1_11comp_targetILNS1_3genE0ELNS1_11target_archE4294967295ELNS1_3gpuE0ELNS1_3repE0EEENS1_30default_config_static_selectorELNS0_4arch9wavefront6targetE0EEEvT1_.has_indirect_call, 0
	.section	.AMDGPU.csdata,"",@progbits
; Kernel info:
; codeLenInByte = 0
; TotalNumSgprs: 0
; NumVgprs: 0
; ScratchSize: 0
; MemoryBound: 0
; FloatMode: 240
; IeeeMode: 1
; LDSByteSize: 0 bytes/workgroup (compile time only)
; SGPRBlocks: 0
; VGPRBlocks: 0
; NumSGPRsForWavesPerEU: 1
; NumVGPRsForWavesPerEU: 1
; Occupancy: 16
; WaveLimiterHint : 0
; COMPUTE_PGM_RSRC2:SCRATCH_EN: 0
; COMPUTE_PGM_RSRC2:USER_SGPR: 2
; COMPUTE_PGM_RSRC2:TRAP_HANDLER: 0
; COMPUTE_PGM_RSRC2:TGID_X_EN: 1
; COMPUTE_PGM_RSRC2:TGID_Y_EN: 0
; COMPUTE_PGM_RSRC2:TGID_Z_EN: 0
; COMPUTE_PGM_RSRC2:TIDIG_COMP_CNT: 0
	.section	.text._ZN7rocprim17ROCPRIM_400000_NS6detail17trampoline_kernelINS0_14default_configENS1_25partition_config_selectorILNS1_17partition_subalgoE6EyNS0_10empty_typeEbEEZZNS1_14partition_implILS5_6ELb0ES3_mN6thrust23THRUST_200600_302600_NS6detail15normal_iteratorINSA_10device_ptrIyEEEEPS6_SG_NS0_5tupleIJNSA_16discard_iteratorINSA_11use_defaultEEES6_EEENSH_IJSG_SG_EEES6_PlJNSB_9not_fun_tINSB_14equal_to_valueIyEEEEEEE10hipError_tPvRmT3_T4_T5_T6_T7_T9_mT8_P12ihipStream_tbDpT10_ENKUlT_T0_E_clISt17integral_constantIbLb1EES1B_EEDaS16_S17_EUlS16_E_NS1_11comp_targetILNS1_3genE5ELNS1_11target_archE942ELNS1_3gpuE9ELNS1_3repE0EEENS1_30default_config_static_selectorELNS0_4arch9wavefront6targetE0EEEvT1_,"axG",@progbits,_ZN7rocprim17ROCPRIM_400000_NS6detail17trampoline_kernelINS0_14default_configENS1_25partition_config_selectorILNS1_17partition_subalgoE6EyNS0_10empty_typeEbEEZZNS1_14partition_implILS5_6ELb0ES3_mN6thrust23THRUST_200600_302600_NS6detail15normal_iteratorINSA_10device_ptrIyEEEEPS6_SG_NS0_5tupleIJNSA_16discard_iteratorINSA_11use_defaultEEES6_EEENSH_IJSG_SG_EEES6_PlJNSB_9not_fun_tINSB_14equal_to_valueIyEEEEEEE10hipError_tPvRmT3_T4_T5_T6_T7_T9_mT8_P12ihipStream_tbDpT10_ENKUlT_T0_E_clISt17integral_constantIbLb1EES1B_EEDaS16_S17_EUlS16_E_NS1_11comp_targetILNS1_3genE5ELNS1_11target_archE942ELNS1_3gpuE9ELNS1_3repE0EEENS1_30default_config_static_selectorELNS0_4arch9wavefront6targetE0EEEvT1_,comdat
	.protected	_ZN7rocprim17ROCPRIM_400000_NS6detail17trampoline_kernelINS0_14default_configENS1_25partition_config_selectorILNS1_17partition_subalgoE6EyNS0_10empty_typeEbEEZZNS1_14partition_implILS5_6ELb0ES3_mN6thrust23THRUST_200600_302600_NS6detail15normal_iteratorINSA_10device_ptrIyEEEEPS6_SG_NS0_5tupleIJNSA_16discard_iteratorINSA_11use_defaultEEES6_EEENSH_IJSG_SG_EEES6_PlJNSB_9not_fun_tINSB_14equal_to_valueIyEEEEEEE10hipError_tPvRmT3_T4_T5_T6_T7_T9_mT8_P12ihipStream_tbDpT10_ENKUlT_T0_E_clISt17integral_constantIbLb1EES1B_EEDaS16_S17_EUlS16_E_NS1_11comp_targetILNS1_3genE5ELNS1_11target_archE942ELNS1_3gpuE9ELNS1_3repE0EEENS1_30default_config_static_selectorELNS0_4arch9wavefront6targetE0EEEvT1_ ; -- Begin function _ZN7rocprim17ROCPRIM_400000_NS6detail17trampoline_kernelINS0_14default_configENS1_25partition_config_selectorILNS1_17partition_subalgoE6EyNS0_10empty_typeEbEEZZNS1_14partition_implILS5_6ELb0ES3_mN6thrust23THRUST_200600_302600_NS6detail15normal_iteratorINSA_10device_ptrIyEEEEPS6_SG_NS0_5tupleIJNSA_16discard_iteratorINSA_11use_defaultEEES6_EEENSH_IJSG_SG_EEES6_PlJNSB_9not_fun_tINSB_14equal_to_valueIyEEEEEEE10hipError_tPvRmT3_T4_T5_T6_T7_T9_mT8_P12ihipStream_tbDpT10_ENKUlT_T0_E_clISt17integral_constantIbLb1EES1B_EEDaS16_S17_EUlS16_E_NS1_11comp_targetILNS1_3genE5ELNS1_11target_archE942ELNS1_3gpuE9ELNS1_3repE0EEENS1_30default_config_static_selectorELNS0_4arch9wavefront6targetE0EEEvT1_
	.globl	_ZN7rocprim17ROCPRIM_400000_NS6detail17trampoline_kernelINS0_14default_configENS1_25partition_config_selectorILNS1_17partition_subalgoE6EyNS0_10empty_typeEbEEZZNS1_14partition_implILS5_6ELb0ES3_mN6thrust23THRUST_200600_302600_NS6detail15normal_iteratorINSA_10device_ptrIyEEEEPS6_SG_NS0_5tupleIJNSA_16discard_iteratorINSA_11use_defaultEEES6_EEENSH_IJSG_SG_EEES6_PlJNSB_9not_fun_tINSB_14equal_to_valueIyEEEEEEE10hipError_tPvRmT3_T4_T5_T6_T7_T9_mT8_P12ihipStream_tbDpT10_ENKUlT_T0_E_clISt17integral_constantIbLb1EES1B_EEDaS16_S17_EUlS16_E_NS1_11comp_targetILNS1_3genE5ELNS1_11target_archE942ELNS1_3gpuE9ELNS1_3repE0EEENS1_30default_config_static_selectorELNS0_4arch9wavefront6targetE0EEEvT1_
	.p2align	8
	.type	_ZN7rocprim17ROCPRIM_400000_NS6detail17trampoline_kernelINS0_14default_configENS1_25partition_config_selectorILNS1_17partition_subalgoE6EyNS0_10empty_typeEbEEZZNS1_14partition_implILS5_6ELb0ES3_mN6thrust23THRUST_200600_302600_NS6detail15normal_iteratorINSA_10device_ptrIyEEEEPS6_SG_NS0_5tupleIJNSA_16discard_iteratorINSA_11use_defaultEEES6_EEENSH_IJSG_SG_EEES6_PlJNSB_9not_fun_tINSB_14equal_to_valueIyEEEEEEE10hipError_tPvRmT3_T4_T5_T6_T7_T9_mT8_P12ihipStream_tbDpT10_ENKUlT_T0_E_clISt17integral_constantIbLb1EES1B_EEDaS16_S17_EUlS16_E_NS1_11comp_targetILNS1_3genE5ELNS1_11target_archE942ELNS1_3gpuE9ELNS1_3repE0EEENS1_30default_config_static_selectorELNS0_4arch9wavefront6targetE0EEEvT1_,@function
_ZN7rocprim17ROCPRIM_400000_NS6detail17trampoline_kernelINS0_14default_configENS1_25partition_config_selectorILNS1_17partition_subalgoE6EyNS0_10empty_typeEbEEZZNS1_14partition_implILS5_6ELb0ES3_mN6thrust23THRUST_200600_302600_NS6detail15normal_iteratorINSA_10device_ptrIyEEEEPS6_SG_NS0_5tupleIJNSA_16discard_iteratorINSA_11use_defaultEEES6_EEENSH_IJSG_SG_EEES6_PlJNSB_9not_fun_tINSB_14equal_to_valueIyEEEEEEE10hipError_tPvRmT3_T4_T5_T6_T7_T9_mT8_P12ihipStream_tbDpT10_ENKUlT_T0_E_clISt17integral_constantIbLb1EES1B_EEDaS16_S17_EUlS16_E_NS1_11comp_targetILNS1_3genE5ELNS1_11target_archE942ELNS1_3gpuE9ELNS1_3repE0EEENS1_30default_config_static_selectorELNS0_4arch9wavefront6targetE0EEEvT1_: ; @_ZN7rocprim17ROCPRIM_400000_NS6detail17trampoline_kernelINS0_14default_configENS1_25partition_config_selectorILNS1_17partition_subalgoE6EyNS0_10empty_typeEbEEZZNS1_14partition_implILS5_6ELb0ES3_mN6thrust23THRUST_200600_302600_NS6detail15normal_iteratorINSA_10device_ptrIyEEEEPS6_SG_NS0_5tupleIJNSA_16discard_iteratorINSA_11use_defaultEEES6_EEENSH_IJSG_SG_EEES6_PlJNSB_9not_fun_tINSB_14equal_to_valueIyEEEEEEE10hipError_tPvRmT3_T4_T5_T6_T7_T9_mT8_P12ihipStream_tbDpT10_ENKUlT_T0_E_clISt17integral_constantIbLb1EES1B_EEDaS16_S17_EUlS16_E_NS1_11comp_targetILNS1_3genE5ELNS1_11target_archE942ELNS1_3gpuE9ELNS1_3repE0EEENS1_30default_config_static_selectorELNS0_4arch9wavefront6targetE0EEEvT1_
; %bb.0:
	.section	.rodata,"a",@progbits
	.p2align	6, 0x0
	.amdhsa_kernel _ZN7rocprim17ROCPRIM_400000_NS6detail17trampoline_kernelINS0_14default_configENS1_25partition_config_selectorILNS1_17partition_subalgoE6EyNS0_10empty_typeEbEEZZNS1_14partition_implILS5_6ELb0ES3_mN6thrust23THRUST_200600_302600_NS6detail15normal_iteratorINSA_10device_ptrIyEEEEPS6_SG_NS0_5tupleIJNSA_16discard_iteratorINSA_11use_defaultEEES6_EEENSH_IJSG_SG_EEES6_PlJNSB_9not_fun_tINSB_14equal_to_valueIyEEEEEEE10hipError_tPvRmT3_T4_T5_T6_T7_T9_mT8_P12ihipStream_tbDpT10_ENKUlT_T0_E_clISt17integral_constantIbLb1EES1B_EEDaS16_S17_EUlS16_E_NS1_11comp_targetILNS1_3genE5ELNS1_11target_archE942ELNS1_3gpuE9ELNS1_3repE0EEENS1_30default_config_static_selectorELNS0_4arch9wavefront6targetE0EEEvT1_
		.amdhsa_group_segment_fixed_size 0
		.amdhsa_private_segment_fixed_size 0
		.amdhsa_kernarg_size 136
		.amdhsa_user_sgpr_count 2
		.amdhsa_user_sgpr_dispatch_ptr 0
		.amdhsa_user_sgpr_queue_ptr 0
		.amdhsa_user_sgpr_kernarg_segment_ptr 1
		.amdhsa_user_sgpr_dispatch_id 0
		.amdhsa_user_sgpr_private_segment_size 0
		.amdhsa_wavefront_size32 1
		.amdhsa_uses_dynamic_stack 0
		.amdhsa_enable_private_segment 0
		.amdhsa_system_sgpr_workgroup_id_x 1
		.amdhsa_system_sgpr_workgroup_id_y 0
		.amdhsa_system_sgpr_workgroup_id_z 0
		.amdhsa_system_sgpr_workgroup_info 0
		.amdhsa_system_vgpr_workitem_id 0
		.amdhsa_next_free_vgpr 1
		.amdhsa_next_free_sgpr 1
		.amdhsa_reserve_vcc 0
		.amdhsa_float_round_mode_32 0
		.amdhsa_float_round_mode_16_64 0
		.amdhsa_float_denorm_mode_32 3
		.amdhsa_float_denorm_mode_16_64 3
		.amdhsa_fp16_overflow 0
		.amdhsa_workgroup_processor_mode 1
		.amdhsa_memory_ordered 1
		.amdhsa_forward_progress 1
		.amdhsa_inst_pref_size 0
		.amdhsa_round_robin_scheduling 0
		.amdhsa_exception_fp_ieee_invalid_op 0
		.amdhsa_exception_fp_denorm_src 0
		.amdhsa_exception_fp_ieee_div_zero 0
		.amdhsa_exception_fp_ieee_overflow 0
		.amdhsa_exception_fp_ieee_underflow 0
		.amdhsa_exception_fp_ieee_inexact 0
		.amdhsa_exception_int_div_zero 0
	.end_amdhsa_kernel
	.section	.text._ZN7rocprim17ROCPRIM_400000_NS6detail17trampoline_kernelINS0_14default_configENS1_25partition_config_selectorILNS1_17partition_subalgoE6EyNS0_10empty_typeEbEEZZNS1_14partition_implILS5_6ELb0ES3_mN6thrust23THRUST_200600_302600_NS6detail15normal_iteratorINSA_10device_ptrIyEEEEPS6_SG_NS0_5tupleIJNSA_16discard_iteratorINSA_11use_defaultEEES6_EEENSH_IJSG_SG_EEES6_PlJNSB_9not_fun_tINSB_14equal_to_valueIyEEEEEEE10hipError_tPvRmT3_T4_T5_T6_T7_T9_mT8_P12ihipStream_tbDpT10_ENKUlT_T0_E_clISt17integral_constantIbLb1EES1B_EEDaS16_S17_EUlS16_E_NS1_11comp_targetILNS1_3genE5ELNS1_11target_archE942ELNS1_3gpuE9ELNS1_3repE0EEENS1_30default_config_static_selectorELNS0_4arch9wavefront6targetE0EEEvT1_,"axG",@progbits,_ZN7rocprim17ROCPRIM_400000_NS6detail17trampoline_kernelINS0_14default_configENS1_25partition_config_selectorILNS1_17partition_subalgoE6EyNS0_10empty_typeEbEEZZNS1_14partition_implILS5_6ELb0ES3_mN6thrust23THRUST_200600_302600_NS6detail15normal_iteratorINSA_10device_ptrIyEEEEPS6_SG_NS0_5tupleIJNSA_16discard_iteratorINSA_11use_defaultEEES6_EEENSH_IJSG_SG_EEES6_PlJNSB_9not_fun_tINSB_14equal_to_valueIyEEEEEEE10hipError_tPvRmT3_T4_T5_T6_T7_T9_mT8_P12ihipStream_tbDpT10_ENKUlT_T0_E_clISt17integral_constantIbLb1EES1B_EEDaS16_S17_EUlS16_E_NS1_11comp_targetILNS1_3genE5ELNS1_11target_archE942ELNS1_3gpuE9ELNS1_3repE0EEENS1_30default_config_static_selectorELNS0_4arch9wavefront6targetE0EEEvT1_,comdat
.Lfunc_end1638:
	.size	_ZN7rocprim17ROCPRIM_400000_NS6detail17trampoline_kernelINS0_14default_configENS1_25partition_config_selectorILNS1_17partition_subalgoE6EyNS0_10empty_typeEbEEZZNS1_14partition_implILS5_6ELb0ES3_mN6thrust23THRUST_200600_302600_NS6detail15normal_iteratorINSA_10device_ptrIyEEEEPS6_SG_NS0_5tupleIJNSA_16discard_iteratorINSA_11use_defaultEEES6_EEENSH_IJSG_SG_EEES6_PlJNSB_9not_fun_tINSB_14equal_to_valueIyEEEEEEE10hipError_tPvRmT3_T4_T5_T6_T7_T9_mT8_P12ihipStream_tbDpT10_ENKUlT_T0_E_clISt17integral_constantIbLb1EES1B_EEDaS16_S17_EUlS16_E_NS1_11comp_targetILNS1_3genE5ELNS1_11target_archE942ELNS1_3gpuE9ELNS1_3repE0EEENS1_30default_config_static_selectorELNS0_4arch9wavefront6targetE0EEEvT1_, .Lfunc_end1638-_ZN7rocprim17ROCPRIM_400000_NS6detail17trampoline_kernelINS0_14default_configENS1_25partition_config_selectorILNS1_17partition_subalgoE6EyNS0_10empty_typeEbEEZZNS1_14partition_implILS5_6ELb0ES3_mN6thrust23THRUST_200600_302600_NS6detail15normal_iteratorINSA_10device_ptrIyEEEEPS6_SG_NS0_5tupleIJNSA_16discard_iteratorINSA_11use_defaultEEES6_EEENSH_IJSG_SG_EEES6_PlJNSB_9not_fun_tINSB_14equal_to_valueIyEEEEEEE10hipError_tPvRmT3_T4_T5_T6_T7_T9_mT8_P12ihipStream_tbDpT10_ENKUlT_T0_E_clISt17integral_constantIbLb1EES1B_EEDaS16_S17_EUlS16_E_NS1_11comp_targetILNS1_3genE5ELNS1_11target_archE942ELNS1_3gpuE9ELNS1_3repE0EEENS1_30default_config_static_selectorELNS0_4arch9wavefront6targetE0EEEvT1_
                                        ; -- End function
	.set _ZN7rocprim17ROCPRIM_400000_NS6detail17trampoline_kernelINS0_14default_configENS1_25partition_config_selectorILNS1_17partition_subalgoE6EyNS0_10empty_typeEbEEZZNS1_14partition_implILS5_6ELb0ES3_mN6thrust23THRUST_200600_302600_NS6detail15normal_iteratorINSA_10device_ptrIyEEEEPS6_SG_NS0_5tupleIJNSA_16discard_iteratorINSA_11use_defaultEEES6_EEENSH_IJSG_SG_EEES6_PlJNSB_9not_fun_tINSB_14equal_to_valueIyEEEEEEE10hipError_tPvRmT3_T4_T5_T6_T7_T9_mT8_P12ihipStream_tbDpT10_ENKUlT_T0_E_clISt17integral_constantIbLb1EES1B_EEDaS16_S17_EUlS16_E_NS1_11comp_targetILNS1_3genE5ELNS1_11target_archE942ELNS1_3gpuE9ELNS1_3repE0EEENS1_30default_config_static_selectorELNS0_4arch9wavefront6targetE0EEEvT1_.num_vgpr, 0
	.set _ZN7rocprim17ROCPRIM_400000_NS6detail17trampoline_kernelINS0_14default_configENS1_25partition_config_selectorILNS1_17partition_subalgoE6EyNS0_10empty_typeEbEEZZNS1_14partition_implILS5_6ELb0ES3_mN6thrust23THRUST_200600_302600_NS6detail15normal_iteratorINSA_10device_ptrIyEEEEPS6_SG_NS0_5tupleIJNSA_16discard_iteratorINSA_11use_defaultEEES6_EEENSH_IJSG_SG_EEES6_PlJNSB_9not_fun_tINSB_14equal_to_valueIyEEEEEEE10hipError_tPvRmT3_T4_T5_T6_T7_T9_mT8_P12ihipStream_tbDpT10_ENKUlT_T0_E_clISt17integral_constantIbLb1EES1B_EEDaS16_S17_EUlS16_E_NS1_11comp_targetILNS1_3genE5ELNS1_11target_archE942ELNS1_3gpuE9ELNS1_3repE0EEENS1_30default_config_static_selectorELNS0_4arch9wavefront6targetE0EEEvT1_.num_agpr, 0
	.set _ZN7rocprim17ROCPRIM_400000_NS6detail17trampoline_kernelINS0_14default_configENS1_25partition_config_selectorILNS1_17partition_subalgoE6EyNS0_10empty_typeEbEEZZNS1_14partition_implILS5_6ELb0ES3_mN6thrust23THRUST_200600_302600_NS6detail15normal_iteratorINSA_10device_ptrIyEEEEPS6_SG_NS0_5tupleIJNSA_16discard_iteratorINSA_11use_defaultEEES6_EEENSH_IJSG_SG_EEES6_PlJNSB_9not_fun_tINSB_14equal_to_valueIyEEEEEEE10hipError_tPvRmT3_T4_T5_T6_T7_T9_mT8_P12ihipStream_tbDpT10_ENKUlT_T0_E_clISt17integral_constantIbLb1EES1B_EEDaS16_S17_EUlS16_E_NS1_11comp_targetILNS1_3genE5ELNS1_11target_archE942ELNS1_3gpuE9ELNS1_3repE0EEENS1_30default_config_static_selectorELNS0_4arch9wavefront6targetE0EEEvT1_.numbered_sgpr, 0
	.set _ZN7rocprim17ROCPRIM_400000_NS6detail17trampoline_kernelINS0_14default_configENS1_25partition_config_selectorILNS1_17partition_subalgoE6EyNS0_10empty_typeEbEEZZNS1_14partition_implILS5_6ELb0ES3_mN6thrust23THRUST_200600_302600_NS6detail15normal_iteratorINSA_10device_ptrIyEEEEPS6_SG_NS0_5tupleIJNSA_16discard_iteratorINSA_11use_defaultEEES6_EEENSH_IJSG_SG_EEES6_PlJNSB_9not_fun_tINSB_14equal_to_valueIyEEEEEEE10hipError_tPvRmT3_T4_T5_T6_T7_T9_mT8_P12ihipStream_tbDpT10_ENKUlT_T0_E_clISt17integral_constantIbLb1EES1B_EEDaS16_S17_EUlS16_E_NS1_11comp_targetILNS1_3genE5ELNS1_11target_archE942ELNS1_3gpuE9ELNS1_3repE0EEENS1_30default_config_static_selectorELNS0_4arch9wavefront6targetE0EEEvT1_.num_named_barrier, 0
	.set _ZN7rocprim17ROCPRIM_400000_NS6detail17trampoline_kernelINS0_14default_configENS1_25partition_config_selectorILNS1_17partition_subalgoE6EyNS0_10empty_typeEbEEZZNS1_14partition_implILS5_6ELb0ES3_mN6thrust23THRUST_200600_302600_NS6detail15normal_iteratorINSA_10device_ptrIyEEEEPS6_SG_NS0_5tupleIJNSA_16discard_iteratorINSA_11use_defaultEEES6_EEENSH_IJSG_SG_EEES6_PlJNSB_9not_fun_tINSB_14equal_to_valueIyEEEEEEE10hipError_tPvRmT3_T4_T5_T6_T7_T9_mT8_P12ihipStream_tbDpT10_ENKUlT_T0_E_clISt17integral_constantIbLb1EES1B_EEDaS16_S17_EUlS16_E_NS1_11comp_targetILNS1_3genE5ELNS1_11target_archE942ELNS1_3gpuE9ELNS1_3repE0EEENS1_30default_config_static_selectorELNS0_4arch9wavefront6targetE0EEEvT1_.private_seg_size, 0
	.set _ZN7rocprim17ROCPRIM_400000_NS6detail17trampoline_kernelINS0_14default_configENS1_25partition_config_selectorILNS1_17partition_subalgoE6EyNS0_10empty_typeEbEEZZNS1_14partition_implILS5_6ELb0ES3_mN6thrust23THRUST_200600_302600_NS6detail15normal_iteratorINSA_10device_ptrIyEEEEPS6_SG_NS0_5tupleIJNSA_16discard_iteratorINSA_11use_defaultEEES6_EEENSH_IJSG_SG_EEES6_PlJNSB_9not_fun_tINSB_14equal_to_valueIyEEEEEEE10hipError_tPvRmT3_T4_T5_T6_T7_T9_mT8_P12ihipStream_tbDpT10_ENKUlT_T0_E_clISt17integral_constantIbLb1EES1B_EEDaS16_S17_EUlS16_E_NS1_11comp_targetILNS1_3genE5ELNS1_11target_archE942ELNS1_3gpuE9ELNS1_3repE0EEENS1_30default_config_static_selectorELNS0_4arch9wavefront6targetE0EEEvT1_.uses_vcc, 0
	.set _ZN7rocprim17ROCPRIM_400000_NS6detail17trampoline_kernelINS0_14default_configENS1_25partition_config_selectorILNS1_17partition_subalgoE6EyNS0_10empty_typeEbEEZZNS1_14partition_implILS5_6ELb0ES3_mN6thrust23THRUST_200600_302600_NS6detail15normal_iteratorINSA_10device_ptrIyEEEEPS6_SG_NS0_5tupleIJNSA_16discard_iteratorINSA_11use_defaultEEES6_EEENSH_IJSG_SG_EEES6_PlJNSB_9not_fun_tINSB_14equal_to_valueIyEEEEEEE10hipError_tPvRmT3_T4_T5_T6_T7_T9_mT8_P12ihipStream_tbDpT10_ENKUlT_T0_E_clISt17integral_constantIbLb1EES1B_EEDaS16_S17_EUlS16_E_NS1_11comp_targetILNS1_3genE5ELNS1_11target_archE942ELNS1_3gpuE9ELNS1_3repE0EEENS1_30default_config_static_selectorELNS0_4arch9wavefront6targetE0EEEvT1_.uses_flat_scratch, 0
	.set _ZN7rocprim17ROCPRIM_400000_NS6detail17trampoline_kernelINS0_14default_configENS1_25partition_config_selectorILNS1_17partition_subalgoE6EyNS0_10empty_typeEbEEZZNS1_14partition_implILS5_6ELb0ES3_mN6thrust23THRUST_200600_302600_NS6detail15normal_iteratorINSA_10device_ptrIyEEEEPS6_SG_NS0_5tupleIJNSA_16discard_iteratorINSA_11use_defaultEEES6_EEENSH_IJSG_SG_EEES6_PlJNSB_9not_fun_tINSB_14equal_to_valueIyEEEEEEE10hipError_tPvRmT3_T4_T5_T6_T7_T9_mT8_P12ihipStream_tbDpT10_ENKUlT_T0_E_clISt17integral_constantIbLb1EES1B_EEDaS16_S17_EUlS16_E_NS1_11comp_targetILNS1_3genE5ELNS1_11target_archE942ELNS1_3gpuE9ELNS1_3repE0EEENS1_30default_config_static_selectorELNS0_4arch9wavefront6targetE0EEEvT1_.has_dyn_sized_stack, 0
	.set _ZN7rocprim17ROCPRIM_400000_NS6detail17trampoline_kernelINS0_14default_configENS1_25partition_config_selectorILNS1_17partition_subalgoE6EyNS0_10empty_typeEbEEZZNS1_14partition_implILS5_6ELb0ES3_mN6thrust23THRUST_200600_302600_NS6detail15normal_iteratorINSA_10device_ptrIyEEEEPS6_SG_NS0_5tupleIJNSA_16discard_iteratorINSA_11use_defaultEEES6_EEENSH_IJSG_SG_EEES6_PlJNSB_9not_fun_tINSB_14equal_to_valueIyEEEEEEE10hipError_tPvRmT3_T4_T5_T6_T7_T9_mT8_P12ihipStream_tbDpT10_ENKUlT_T0_E_clISt17integral_constantIbLb1EES1B_EEDaS16_S17_EUlS16_E_NS1_11comp_targetILNS1_3genE5ELNS1_11target_archE942ELNS1_3gpuE9ELNS1_3repE0EEENS1_30default_config_static_selectorELNS0_4arch9wavefront6targetE0EEEvT1_.has_recursion, 0
	.set _ZN7rocprim17ROCPRIM_400000_NS6detail17trampoline_kernelINS0_14default_configENS1_25partition_config_selectorILNS1_17partition_subalgoE6EyNS0_10empty_typeEbEEZZNS1_14partition_implILS5_6ELb0ES3_mN6thrust23THRUST_200600_302600_NS6detail15normal_iteratorINSA_10device_ptrIyEEEEPS6_SG_NS0_5tupleIJNSA_16discard_iteratorINSA_11use_defaultEEES6_EEENSH_IJSG_SG_EEES6_PlJNSB_9not_fun_tINSB_14equal_to_valueIyEEEEEEE10hipError_tPvRmT3_T4_T5_T6_T7_T9_mT8_P12ihipStream_tbDpT10_ENKUlT_T0_E_clISt17integral_constantIbLb1EES1B_EEDaS16_S17_EUlS16_E_NS1_11comp_targetILNS1_3genE5ELNS1_11target_archE942ELNS1_3gpuE9ELNS1_3repE0EEENS1_30default_config_static_selectorELNS0_4arch9wavefront6targetE0EEEvT1_.has_indirect_call, 0
	.section	.AMDGPU.csdata,"",@progbits
; Kernel info:
; codeLenInByte = 0
; TotalNumSgprs: 0
; NumVgprs: 0
; ScratchSize: 0
; MemoryBound: 0
; FloatMode: 240
; IeeeMode: 1
; LDSByteSize: 0 bytes/workgroup (compile time only)
; SGPRBlocks: 0
; VGPRBlocks: 0
; NumSGPRsForWavesPerEU: 1
; NumVGPRsForWavesPerEU: 1
; Occupancy: 16
; WaveLimiterHint : 0
; COMPUTE_PGM_RSRC2:SCRATCH_EN: 0
; COMPUTE_PGM_RSRC2:USER_SGPR: 2
; COMPUTE_PGM_RSRC2:TRAP_HANDLER: 0
; COMPUTE_PGM_RSRC2:TGID_X_EN: 1
; COMPUTE_PGM_RSRC2:TGID_Y_EN: 0
; COMPUTE_PGM_RSRC2:TGID_Z_EN: 0
; COMPUTE_PGM_RSRC2:TIDIG_COMP_CNT: 0
	.section	.text._ZN7rocprim17ROCPRIM_400000_NS6detail17trampoline_kernelINS0_14default_configENS1_25partition_config_selectorILNS1_17partition_subalgoE6EyNS0_10empty_typeEbEEZZNS1_14partition_implILS5_6ELb0ES3_mN6thrust23THRUST_200600_302600_NS6detail15normal_iteratorINSA_10device_ptrIyEEEEPS6_SG_NS0_5tupleIJNSA_16discard_iteratorINSA_11use_defaultEEES6_EEENSH_IJSG_SG_EEES6_PlJNSB_9not_fun_tINSB_14equal_to_valueIyEEEEEEE10hipError_tPvRmT3_T4_T5_T6_T7_T9_mT8_P12ihipStream_tbDpT10_ENKUlT_T0_E_clISt17integral_constantIbLb1EES1B_EEDaS16_S17_EUlS16_E_NS1_11comp_targetILNS1_3genE4ELNS1_11target_archE910ELNS1_3gpuE8ELNS1_3repE0EEENS1_30default_config_static_selectorELNS0_4arch9wavefront6targetE0EEEvT1_,"axG",@progbits,_ZN7rocprim17ROCPRIM_400000_NS6detail17trampoline_kernelINS0_14default_configENS1_25partition_config_selectorILNS1_17partition_subalgoE6EyNS0_10empty_typeEbEEZZNS1_14partition_implILS5_6ELb0ES3_mN6thrust23THRUST_200600_302600_NS6detail15normal_iteratorINSA_10device_ptrIyEEEEPS6_SG_NS0_5tupleIJNSA_16discard_iteratorINSA_11use_defaultEEES6_EEENSH_IJSG_SG_EEES6_PlJNSB_9not_fun_tINSB_14equal_to_valueIyEEEEEEE10hipError_tPvRmT3_T4_T5_T6_T7_T9_mT8_P12ihipStream_tbDpT10_ENKUlT_T0_E_clISt17integral_constantIbLb1EES1B_EEDaS16_S17_EUlS16_E_NS1_11comp_targetILNS1_3genE4ELNS1_11target_archE910ELNS1_3gpuE8ELNS1_3repE0EEENS1_30default_config_static_selectorELNS0_4arch9wavefront6targetE0EEEvT1_,comdat
	.protected	_ZN7rocprim17ROCPRIM_400000_NS6detail17trampoline_kernelINS0_14default_configENS1_25partition_config_selectorILNS1_17partition_subalgoE6EyNS0_10empty_typeEbEEZZNS1_14partition_implILS5_6ELb0ES3_mN6thrust23THRUST_200600_302600_NS6detail15normal_iteratorINSA_10device_ptrIyEEEEPS6_SG_NS0_5tupleIJNSA_16discard_iteratorINSA_11use_defaultEEES6_EEENSH_IJSG_SG_EEES6_PlJNSB_9not_fun_tINSB_14equal_to_valueIyEEEEEEE10hipError_tPvRmT3_T4_T5_T6_T7_T9_mT8_P12ihipStream_tbDpT10_ENKUlT_T0_E_clISt17integral_constantIbLb1EES1B_EEDaS16_S17_EUlS16_E_NS1_11comp_targetILNS1_3genE4ELNS1_11target_archE910ELNS1_3gpuE8ELNS1_3repE0EEENS1_30default_config_static_selectorELNS0_4arch9wavefront6targetE0EEEvT1_ ; -- Begin function _ZN7rocprim17ROCPRIM_400000_NS6detail17trampoline_kernelINS0_14default_configENS1_25partition_config_selectorILNS1_17partition_subalgoE6EyNS0_10empty_typeEbEEZZNS1_14partition_implILS5_6ELb0ES3_mN6thrust23THRUST_200600_302600_NS6detail15normal_iteratorINSA_10device_ptrIyEEEEPS6_SG_NS0_5tupleIJNSA_16discard_iteratorINSA_11use_defaultEEES6_EEENSH_IJSG_SG_EEES6_PlJNSB_9not_fun_tINSB_14equal_to_valueIyEEEEEEE10hipError_tPvRmT3_T4_T5_T6_T7_T9_mT8_P12ihipStream_tbDpT10_ENKUlT_T0_E_clISt17integral_constantIbLb1EES1B_EEDaS16_S17_EUlS16_E_NS1_11comp_targetILNS1_3genE4ELNS1_11target_archE910ELNS1_3gpuE8ELNS1_3repE0EEENS1_30default_config_static_selectorELNS0_4arch9wavefront6targetE0EEEvT1_
	.globl	_ZN7rocprim17ROCPRIM_400000_NS6detail17trampoline_kernelINS0_14default_configENS1_25partition_config_selectorILNS1_17partition_subalgoE6EyNS0_10empty_typeEbEEZZNS1_14partition_implILS5_6ELb0ES3_mN6thrust23THRUST_200600_302600_NS6detail15normal_iteratorINSA_10device_ptrIyEEEEPS6_SG_NS0_5tupleIJNSA_16discard_iteratorINSA_11use_defaultEEES6_EEENSH_IJSG_SG_EEES6_PlJNSB_9not_fun_tINSB_14equal_to_valueIyEEEEEEE10hipError_tPvRmT3_T4_T5_T6_T7_T9_mT8_P12ihipStream_tbDpT10_ENKUlT_T0_E_clISt17integral_constantIbLb1EES1B_EEDaS16_S17_EUlS16_E_NS1_11comp_targetILNS1_3genE4ELNS1_11target_archE910ELNS1_3gpuE8ELNS1_3repE0EEENS1_30default_config_static_selectorELNS0_4arch9wavefront6targetE0EEEvT1_
	.p2align	8
	.type	_ZN7rocprim17ROCPRIM_400000_NS6detail17trampoline_kernelINS0_14default_configENS1_25partition_config_selectorILNS1_17partition_subalgoE6EyNS0_10empty_typeEbEEZZNS1_14partition_implILS5_6ELb0ES3_mN6thrust23THRUST_200600_302600_NS6detail15normal_iteratorINSA_10device_ptrIyEEEEPS6_SG_NS0_5tupleIJNSA_16discard_iteratorINSA_11use_defaultEEES6_EEENSH_IJSG_SG_EEES6_PlJNSB_9not_fun_tINSB_14equal_to_valueIyEEEEEEE10hipError_tPvRmT3_T4_T5_T6_T7_T9_mT8_P12ihipStream_tbDpT10_ENKUlT_T0_E_clISt17integral_constantIbLb1EES1B_EEDaS16_S17_EUlS16_E_NS1_11comp_targetILNS1_3genE4ELNS1_11target_archE910ELNS1_3gpuE8ELNS1_3repE0EEENS1_30default_config_static_selectorELNS0_4arch9wavefront6targetE0EEEvT1_,@function
_ZN7rocprim17ROCPRIM_400000_NS6detail17trampoline_kernelINS0_14default_configENS1_25partition_config_selectorILNS1_17partition_subalgoE6EyNS0_10empty_typeEbEEZZNS1_14partition_implILS5_6ELb0ES3_mN6thrust23THRUST_200600_302600_NS6detail15normal_iteratorINSA_10device_ptrIyEEEEPS6_SG_NS0_5tupleIJNSA_16discard_iteratorINSA_11use_defaultEEES6_EEENSH_IJSG_SG_EEES6_PlJNSB_9not_fun_tINSB_14equal_to_valueIyEEEEEEE10hipError_tPvRmT3_T4_T5_T6_T7_T9_mT8_P12ihipStream_tbDpT10_ENKUlT_T0_E_clISt17integral_constantIbLb1EES1B_EEDaS16_S17_EUlS16_E_NS1_11comp_targetILNS1_3genE4ELNS1_11target_archE910ELNS1_3gpuE8ELNS1_3repE0EEENS1_30default_config_static_selectorELNS0_4arch9wavefront6targetE0EEEvT1_: ; @_ZN7rocprim17ROCPRIM_400000_NS6detail17trampoline_kernelINS0_14default_configENS1_25partition_config_selectorILNS1_17partition_subalgoE6EyNS0_10empty_typeEbEEZZNS1_14partition_implILS5_6ELb0ES3_mN6thrust23THRUST_200600_302600_NS6detail15normal_iteratorINSA_10device_ptrIyEEEEPS6_SG_NS0_5tupleIJNSA_16discard_iteratorINSA_11use_defaultEEES6_EEENSH_IJSG_SG_EEES6_PlJNSB_9not_fun_tINSB_14equal_to_valueIyEEEEEEE10hipError_tPvRmT3_T4_T5_T6_T7_T9_mT8_P12ihipStream_tbDpT10_ENKUlT_T0_E_clISt17integral_constantIbLb1EES1B_EEDaS16_S17_EUlS16_E_NS1_11comp_targetILNS1_3genE4ELNS1_11target_archE910ELNS1_3gpuE8ELNS1_3repE0EEENS1_30default_config_static_selectorELNS0_4arch9wavefront6targetE0EEEvT1_
; %bb.0:
	.section	.rodata,"a",@progbits
	.p2align	6, 0x0
	.amdhsa_kernel _ZN7rocprim17ROCPRIM_400000_NS6detail17trampoline_kernelINS0_14default_configENS1_25partition_config_selectorILNS1_17partition_subalgoE6EyNS0_10empty_typeEbEEZZNS1_14partition_implILS5_6ELb0ES3_mN6thrust23THRUST_200600_302600_NS6detail15normal_iteratorINSA_10device_ptrIyEEEEPS6_SG_NS0_5tupleIJNSA_16discard_iteratorINSA_11use_defaultEEES6_EEENSH_IJSG_SG_EEES6_PlJNSB_9not_fun_tINSB_14equal_to_valueIyEEEEEEE10hipError_tPvRmT3_T4_T5_T6_T7_T9_mT8_P12ihipStream_tbDpT10_ENKUlT_T0_E_clISt17integral_constantIbLb1EES1B_EEDaS16_S17_EUlS16_E_NS1_11comp_targetILNS1_3genE4ELNS1_11target_archE910ELNS1_3gpuE8ELNS1_3repE0EEENS1_30default_config_static_selectorELNS0_4arch9wavefront6targetE0EEEvT1_
		.amdhsa_group_segment_fixed_size 0
		.amdhsa_private_segment_fixed_size 0
		.amdhsa_kernarg_size 136
		.amdhsa_user_sgpr_count 2
		.amdhsa_user_sgpr_dispatch_ptr 0
		.amdhsa_user_sgpr_queue_ptr 0
		.amdhsa_user_sgpr_kernarg_segment_ptr 1
		.amdhsa_user_sgpr_dispatch_id 0
		.amdhsa_user_sgpr_private_segment_size 0
		.amdhsa_wavefront_size32 1
		.amdhsa_uses_dynamic_stack 0
		.amdhsa_enable_private_segment 0
		.amdhsa_system_sgpr_workgroup_id_x 1
		.amdhsa_system_sgpr_workgroup_id_y 0
		.amdhsa_system_sgpr_workgroup_id_z 0
		.amdhsa_system_sgpr_workgroup_info 0
		.amdhsa_system_vgpr_workitem_id 0
		.amdhsa_next_free_vgpr 1
		.amdhsa_next_free_sgpr 1
		.amdhsa_reserve_vcc 0
		.amdhsa_float_round_mode_32 0
		.amdhsa_float_round_mode_16_64 0
		.amdhsa_float_denorm_mode_32 3
		.amdhsa_float_denorm_mode_16_64 3
		.amdhsa_fp16_overflow 0
		.amdhsa_workgroup_processor_mode 1
		.amdhsa_memory_ordered 1
		.amdhsa_forward_progress 1
		.amdhsa_inst_pref_size 0
		.amdhsa_round_robin_scheduling 0
		.amdhsa_exception_fp_ieee_invalid_op 0
		.amdhsa_exception_fp_denorm_src 0
		.amdhsa_exception_fp_ieee_div_zero 0
		.amdhsa_exception_fp_ieee_overflow 0
		.amdhsa_exception_fp_ieee_underflow 0
		.amdhsa_exception_fp_ieee_inexact 0
		.amdhsa_exception_int_div_zero 0
	.end_amdhsa_kernel
	.section	.text._ZN7rocprim17ROCPRIM_400000_NS6detail17trampoline_kernelINS0_14default_configENS1_25partition_config_selectorILNS1_17partition_subalgoE6EyNS0_10empty_typeEbEEZZNS1_14partition_implILS5_6ELb0ES3_mN6thrust23THRUST_200600_302600_NS6detail15normal_iteratorINSA_10device_ptrIyEEEEPS6_SG_NS0_5tupleIJNSA_16discard_iteratorINSA_11use_defaultEEES6_EEENSH_IJSG_SG_EEES6_PlJNSB_9not_fun_tINSB_14equal_to_valueIyEEEEEEE10hipError_tPvRmT3_T4_T5_T6_T7_T9_mT8_P12ihipStream_tbDpT10_ENKUlT_T0_E_clISt17integral_constantIbLb1EES1B_EEDaS16_S17_EUlS16_E_NS1_11comp_targetILNS1_3genE4ELNS1_11target_archE910ELNS1_3gpuE8ELNS1_3repE0EEENS1_30default_config_static_selectorELNS0_4arch9wavefront6targetE0EEEvT1_,"axG",@progbits,_ZN7rocprim17ROCPRIM_400000_NS6detail17trampoline_kernelINS0_14default_configENS1_25partition_config_selectorILNS1_17partition_subalgoE6EyNS0_10empty_typeEbEEZZNS1_14partition_implILS5_6ELb0ES3_mN6thrust23THRUST_200600_302600_NS6detail15normal_iteratorINSA_10device_ptrIyEEEEPS6_SG_NS0_5tupleIJNSA_16discard_iteratorINSA_11use_defaultEEES6_EEENSH_IJSG_SG_EEES6_PlJNSB_9not_fun_tINSB_14equal_to_valueIyEEEEEEE10hipError_tPvRmT3_T4_T5_T6_T7_T9_mT8_P12ihipStream_tbDpT10_ENKUlT_T0_E_clISt17integral_constantIbLb1EES1B_EEDaS16_S17_EUlS16_E_NS1_11comp_targetILNS1_3genE4ELNS1_11target_archE910ELNS1_3gpuE8ELNS1_3repE0EEENS1_30default_config_static_selectorELNS0_4arch9wavefront6targetE0EEEvT1_,comdat
.Lfunc_end1639:
	.size	_ZN7rocprim17ROCPRIM_400000_NS6detail17trampoline_kernelINS0_14default_configENS1_25partition_config_selectorILNS1_17partition_subalgoE6EyNS0_10empty_typeEbEEZZNS1_14partition_implILS5_6ELb0ES3_mN6thrust23THRUST_200600_302600_NS6detail15normal_iteratorINSA_10device_ptrIyEEEEPS6_SG_NS0_5tupleIJNSA_16discard_iteratorINSA_11use_defaultEEES6_EEENSH_IJSG_SG_EEES6_PlJNSB_9not_fun_tINSB_14equal_to_valueIyEEEEEEE10hipError_tPvRmT3_T4_T5_T6_T7_T9_mT8_P12ihipStream_tbDpT10_ENKUlT_T0_E_clISt17integral_constantIbLb1EES1B_EEDaS16_S17_EUlS16_E_NS1_11comp_targetILNS1_3genE4ELNS1_11target_archE910ELNS1_3gpuE8ELNS1_3repE0EEENS1_30default_config_static_selectorELNS0_4arch9wavefront6targetE0EEEvT1_, .Lfunc_end1639-_ZN7rocprim17ROCPRIM_400000_NS6detail17trampoline_kernelINS0_14default_configENS1_25partition_config_selectorILNS1_17partition_subalgoE6EyNS0_10empty_typeEbEEZZNS1_14partition_implILS5_6ELb0ES3_mN6thrust23THRUST_200600_302600_NS6detail15normal_iteratorINSA_10device_ptrIyEEEEPS6_SG_NS0_5tupleIJNSA_16discard_iteratorINSA_11use_defaultEEES6_EEENSH_IJSG_SG_EEES6_PlJNSB_9not_fun_tINSB_14equal_to_valueIyEEEEEEE10hipError_tPvRmT3_T4_T5_T6_T7_T9_mT8_P12ihipStream_tbDpT10_ENKUlT_T0_E_clISt17integral_constantIbLb1EES1B_EEDaS16_S17_EUlS16_E_NS1_11comp_targetILNS1_3genE4ELNS1_11target_archE910ELNS1_3gpuE8ELNS1_3repE0EEENS1_30default_config_static_selectorELNS0_4arch9wavefront6targetE0EEEvT1_
                                        ; -- End function
	.set _ZN7rocprim17ROCPRIM_400000_NS6detail17trampoline_kernelINS0_14default_configENS1_25partition_config_selectorILNS1_17partition_subalgoE6EyNS0_10empty_typeEbEEZZNS1_14partition_implILS5_6ELb0ES3_mN6thrust23THRUST_200600_302600_NS6detail15normal_iteratorINSA_10device_ptrIyEEEEPS6_SG_NS0_5tupleIJNSA_16discard_iteratorINSA_11use_defaultEEES6_EEENSH_IJSG_SG_EEES6_PlJNSB_9not_fun_tINSB_14equal_to_valueIyEEEEEEE10hipError_tPvRmT3_T4_T5_T6_T7_T9_mT8_P12ihipStream_tbDpT10_ENKUlT_T0_E_clISt17integral_constantIbLb1EES1B_EEDaS16_S17_EUlS16_E_NS1_11comp_targetILNS1_3genE4ELNS1_11target_archE910ELNS1_3gpuE8ELNS1_3repE0EEENS1_30default_config_static_selectorELNS0_4arch9wavefront6targetE0EEEvT1_.num_vgpr, 0
	.set _ZN7rocprim17ROCPRIM_400000_NS6detail17trampoline_kernelINS0_14default_configENS1_25partition_config_selectorILNS1_17partition_subalgoE6EyNS0_10empty_typeEbEEZZNS1_14partition_implILS5_6ELb0ES3_mN6thrust23THRUST_200600_302600_NS6detail15normal_iteratorINSA_10device_ptrIyEEEEPS6_SG_NS0_5tupleIJNSA_16discard_iteratorINSA_11use_defaultEEES6_EEENSH_IJSG_SG_EEES6_PlJNSB_9not_fun_tINSB_14equal_to_valueIyEEEEEEE10hipError_tPvRmT3_T4_T5_T6_T7_T9_mT8_P12ihipStream_tbDpT10_ENKUlT_T0_E_clISt17integral_constantIbLb1EES1B_EEDaS16_S17_EUlS16_E_NS1_11comp_targetILNS1_3genE4ELNS1_11target_archE910ELNS1_3gpuE8ELNS1_3repE0EEENS1_30default_config_static_selectorELNS0_4arch9wavefront6targetE0EEEvT1_.num_agpr, 0
	.set _ZN7rocprim17ROCPRIM_400000_NS6detail17trampoline_kernelINS0_14default_configENS1_25partition_config_selectorILNS1_17partition_subalgoE6EyNS0_10empty_typeEbEEZZNS1_14partition_implILS5_6ELb0ES3_mN6thrust23THRUST_200600_302600_NS6detail15normal_iteratorINSA_10device_ptrIyEEEEPS6_SG_NS0_5tupleIJNSA_16discard_iteratorINSA_11use_defaultEEES6_EEENSH_IJSG_SG_EEES6_PlJNSB_9not_fun_tINSB_14equal_to_valueIyEEEEEEE10hipError_tPvRmT3_T4_T5_T6_T7_T9_mT8_P12ihipStream_tbDpT10_ENKUlT_T0_E_clISt17integral_constantIbLb1EES1B_EEDaS16_S17_EUlS16_E_NS1_11comp_targetILNS1_3genE4ELNS1_11target_archE910ELNS1_3gpuE8ELNS1_3repE0EEENS1_30default_config_static_selectorELNS0_4arch9wavefront6targetE0EEEvT1_.numbered_sgpr, 0
	.set _ZN7rocprim17ROCPRIM_400000_NS6detail17trampoline_kernelINS0_14default_configENS1_25partition_config_selectorILNS1_17partition_subalgoE6EyNS0_10empty_typeEbEEZZNS1_14partition_implILS5_6ELb0ES3_mN6thrust23THRUST_200600_302600_NS6detail15normal_iteratorINSA_10device_ptrIyEEEEPS6_SG_NS0_5tupleIJNSA_16discard_iteratorINSA_11use_defaultEEES6_EEENSH_IJSG_SG_EEES6_PlJNSB_9not_fun_tINSB_14equal_to_valueIyEEEEEEE10hipError_tPvRmT3_T4_T5_T6_T7_T9_mT8_P12ihipStream_tbDpT10_ENKUlT_T0_E_clISt17integral_constantIbLb1EES1B_EEDaS16_S17_EUlS16_E_NS1_11comp_targetILNS1_3genE4ELNS1_11target_archE910ELNS1_3gpuE8ELNS1_3repE0EEENS1_30default_config_static_selectorELNS0_4arch9wavefront6targetE0EEEvT1_.num_named_barrier, 0
	.set _ZN7rocprim17ROCPRIM_400000_NS6detail17trampoline_kernelINS0_14default_configENS1_25partition_config_selectorILNS1_17partition_subalgoE6EyNS0_10empty_typeEbEEZZNS1_14partition_implILS5_6ELb0ES3_mN6thrust23THRUST_200600_302600_NS6detail15normal_iteratorINSA_10device_ptrIyEEEEPS6_SG_NS0_5tupleIJNSA_16discard_iteratorINSA_11use_defaultEEES6_EEENSH_IJSG_SG_EEES6_PlJNSB_9not_fun_tINSB_14equal_to_valueIyEEEEEEE10hipError_tPvRmT3_T4_T5_T6_T7_T9_mT8_P12ihipStream_tbDpT10_ENKUlT_T0_E_clISt17integral_constantIbLb1EES1B_EEDaS16_S17_EUlS16_E_NS1_11comp_targetILNS1_3genE4ELNS1_11target_archE910ELNS1_3gpuE8ELNS1_3repE0EEENS1_30default_config_static_selectorELNS0_4arch9wavefront6targetE0EEEvT1_.private_seg_size, 0
	.set _ZN7rocprim17ROCPRIM_400000_NS6detail17trampoline_kernelINS0_14default_configENS1_25partition_config_selectorILNS1_17partition_subalgoE6EyNS0_10empty_typeEbEEZZNS1_14partition_implILS5_6ELb0ES3_mN6thrust23THRUST_200600_302600_NS6detail15normal_iteratorINSA_10device_ptrIyEEEEPS6_SG_NS0_5tupleIJNSA_16discard_iteratorINSA_11use_defaultEEES6_EEENSH_IJSG_SG_EEES6_PlJNSB_9not_fun_tINSB_14equal_to_valueIyEEEEEEE10hipError_tPvRmT3_T4_T5_T6_T7_T9_mT8_P12ihipStream_tbDpT10_ENKUlT_T0_E_clISt17integral_constantIbLb1EES1B_EEDaS16_S17_EUlS16_E_NS1_11comp_targetILNS1_3genE4ELNS1_11target_archE910ELNS1_3gpuE8ELNS1_3repE0EEENS1_30default_config_static_selectorELNS0_4arch9wavefront6targetE0EEEvT1_.uses_vcc, 0
	.set _ZN7rocprim17ROCPRIM_400000_NS6detail17trampoline_kernelINS0_14default_configENS1_25partition_config_selectorILNS1_17partition_subalgoE6EyNS0_10empty_typeEbEEZZNS1_14partition_implILS5_6ELb0ES3_mN6thrust23THRUST_200600_302600_NS6detail15normal_iteratorINSA_10device_ptrIyEEEEPS6_SG_NS0_5tupleIJNSA_16discard_iteratorINSA_11use_defaultEEES6_EEENSH_IJSG_SG_EEES6_PlJNSB_9not_fun_tINSB_14equal_to_valueIyEEEEEEE10hipError_tPvRmT3_T4_T5_T6_T7_T9_mT8_P12ihipStream_tbDpT10_ENKUlT_T0_E_clISt17integral_constantIbLb1EES1B_EEDaS16_S17_EUlS16_E_NS1_11comp_targetILNS1_3genE4ELNS1_11target_archE910ELNS1_3gpuE8ELNS1_3repE0EEENS1_30default_config_static_selectorELNS0_4arch9wavefront6targetE0EEEvT1_.uses_flat_scratch, 0
	.set _ZN7rocprim17ROCPRIM_400000_NS6detail17trampoline_kernelINS0_14default_configENS1_25partition_config_selectorILNS1_17partition_subalgoE6EyNS0_10empty_typeEbEEZZNS1_14partition_implILS5_6ELb0ES3_mN6thrust23THRUST_200600_302600_NS6detail15normal_iteratorINSA_10device_ptrIyEEEEPS6_SG_NS0_5tupleIJNSA_16discard_iteratorINSA_11use_defaultEEES6_EEENSH_IJSG_SG_EEES6_PlJNSB_9not_fun_tINSB_14equal_to_valueIyEEEEEEE10hipError_tPvRmT3_T4_T5_T6_T7_T9_mT8_P12ihipStream_tbDpT10_ENKUlT_T0_E_clISt17integral_constantIbLb1EES1B_EEDaS16_S17_EUlS16_E_NS1_11comp_targetILNS1_3genE4ELNS1_11target_archE910ELNS1_3gpuE8ELNS1_3repE0EEENS1_30default_config_static_selectorELNS0_4arch9wavefront6targetE0EEEvT1_.has_dyn_sized_stack, 0
	.set _ZN7rocprim17ROCPRIM_400000_NS6detail17trampoline_kernelINS0_14default_configENS1_25partition_config_selectorILNS1_17partition_subalgoE6EyNS0_10empty_typeEbEEZZNS1_14partition_implILS5_6ELb0ES3_mN6thrust23THRUST_200600_302600_NS6detail15normal_iteratorINSA_10device_ptrIyEEEEPS6_SG_NS0_5tupleIJNSA_16discard_iteratorINSA_11use_defaultEEES6_EEENSH_IJSG_SG_EEES6_PlJNSB_9not_fun_tINSB_14equal_to_valueIyEEEEEEE10hipError_tPvRmT3_T4_T5_T6_T7_T9_mT8_P12ihipStream_tbDpT10_ENKUlT_T0_E_clISt17integral_constantIbLb1EES1B_EEDaS16_S17_EUlS16_E_NS1_11comp_targetILNS1_3genE4ELNS1_11target_archE910ELNS1_3gpuE8ELNS1_3repE0EEENS1_30default_config_static_selectorELNS0_4arch9wavefront6targetE0EEEvT1_.has_recursion, 0
	.set _ZN7rocprim17ROCPRIM_400000_NS6detail17trampoline_kernelINS0_14default_configENS1_25partition_config_selectorILNS1_17partition_subalgoE6EyNS0_10empty_typeEbEEZZNS1_14partition_implILS5_6ELb0ES3_mN6thrust23THRUST_200600_302600_NS6detail15normal_iteratorINSA_10device_ptrIyEEEEPS6_SG_NS0_5tupleIJNSA_16discard_iteratorINSA_11use_defaultEEES6_EEENSH_IJSG_SG_EEES6_PlJNSB_9not_fun_tINSB_14equal_to_valueIyEEEEEEE10hipError_tPvRmT3_T4_T5_T6_T7_T9_mT8_P12ihipStream_tbDpT10_ENKUlT_T0_E_clISt17integral_constantIbLb1EES1B_EEDaS16_S17_EUlS16_E_NS1_11comp_targetILNS1_3genE4ELNS1_11target_archE910ELNS1_3gpuE8ELNS1_3repE0EEENS1_30default_config_static_selectorELNS0_4arch9wavefront6targetE0EEEvT1_.has_indirect_call, 0
	.section	.AMDGPU.csdata,"",@progbits
; Kernel info:
; codeLenInByte = 0
; TotalNumSgprs: 0
; NumVgprs: 0
; ScratchSize: 0
; MemoryBound: 0
; FloatMode: 240
; IeeeMode: 1
; LDSByteSize: 0 bytes/workgroup (compile time only)
; SGPRBlocks: 0
; VGPRBlocks: 0
; NumSGPRsForWavesPerEU: 1
; NumVGPRsForWavesPerEU: 1
; Occupancy: 16
; WaveLimiterHint : 0
; COMPUTE_PGM_RSRC2:SCRATCH_EN: 0
; COMPUTE_PGM_RSRC2:USER_SGPR: 2
; COMPUTE_PGM_RSRC2:TRAP_HANDLER: 0
; COMPUTE_PGM_RSRC2:TGID_X_EN: 1
; COMPUTE_PGM_RSRC2:TGID_Y_EN: 0
; COMPUTE_PGM_RSRC2:TGID_Z_EN: 0
; COMPUTE_PGM_RSRC2:TIDIG_COMP_CNT: 0
	.section	.text._ZN7rocprim17ROCPRIM_400000_NS6detail17trampoline_kernelINS0_14default_configENS1_25partition_config_selectorILNS1_17partition_subalgoE6EyNS0_10empty_typeEbEEZZNS1_14partition_implILS5_6ELb0ES3_mN6thrust23THRUST_200600_302600_NS6detail15normal_iteratorINSA_10device_ptrIyEEEEPS6_SG_NS0_5tupleIJNSA_16discard_iteratorINSA_11use_defaultEEES6_EEENSH_IJSG_SG_EEES6_PlJNSB_9not_fun_tINSB_14equal_to_valueIyEEEEEEE10hipError_tPvRmT3_T4_T5_T6_T7_T9_mT8_P12ihipStream_tbDpT10_ENKUlT_T0_E_clISt17integral_constantIbLb1EES1B_EEDaS16_S17_EUlS16_E_NS1_11comp_targetILNS1_3genE3ELNS1_11target_archE908ELNS1_3gpuE7ELNS1_3repE0EEENS1_30default_config_static_selectorELNS0_4arch9wavefront6targetE0EEEvT1_,"axG",@progbits,_ZN7rocprim17ROCPRIM_400000_NS6detail17trampoline_kernelINS0_14default_configENS1_25partition_config_selectorILNS1_17partition_subalgoE6EyNS0_10empty_typeEbEEZZNS1_14partition_implILS5_6ELb0ES3_mN6thrust23THRUST_200600_302600_NS6detail15normal_iteratorINSA_10device_ptrIyEEEEPS6_SG_NS0_5tupleIJNSA_16discard_iteratorINSA_11use_defaultEEES6_EEENSH_IJSG_SG_EEES6_PlJNSB_9not_fun_tINSB_14equal_to_valueIyEEEEEEE10hipError_tPvRmT3_T4_T5_T6_T7_T9_mT8_P12ihipStream_tbDpT10_ENKUlT_T0_E_clISt17integral_constantIbLb1EES1B_EEDaS16_S17_EUlS16_E_NS1_11comp_targetILNS1_3genE3ELNS1_11target_archE908ELNS1_3gpuE7ELNS1_3repE0EEENS1_30default_config_static_selectorELNS0_4arch9wavefront6targetE0EEEvT1_,comdat
	.protected	_ZN7rocprim17ROCPRIM_400000_NS6detail17trampoline_kernelINS0_14default_configENS1_25partition_config_selectorILNS1_17partition_subalgoE6EyNS0_10empty_typeEbEEZZNS1_14partition_implILS5_6ELb0ES3_mN6thrust23THRUST_200600_302600_NS6detail15normal_iteratorINSA_10device_ptrIyEEEEPS6_SG_NS0_5tupleIJNSA_16discard_iteratorINSA_11use_defaultEEES6_EEENSH_IJSG_SG_EEES6_PlJNSB_9not_fun_tINSB_14equal_to_valueIyEEEEEEE10hipError_tPvRmT3_T4_T5_T6_T7_T9_mT8_P12ihipStream_tbDpT10_ENKUlT_T0_E_clISt17integral_constantIbLb1EES1B_EEDaS16_S17_EUlS16_E_NS1_11comp_targetILNS1_3genE3ELNS1_11target_archE908ELNS1_3gpuE7ELNS1_3repE0EEENS1_30default_config_static_selectorELNS0_4arch9wavefront6targetE0EEEvT1_ ; -- Begin function _ZN7rocprim17ROCPRIM_400000_NS6detail17trampoline_kernelINS0_14default_configENS1_25partition_config_selectorILNS1_17partition_subalgoE6EyNS0_10empty_typeEbEEZZNS1_14partition_implILS5_6ELb0ES3_mN6thrust23THRUST_200600_302600_NS6detail15normal_iteratorINSA_10device_ptrIyEEEEPS6_SG_NS0_5tupleIJNSA_16discard_iteratorINSA_11use_defaultEEES6_EEENSH_IJSG_SG_EEES6_PlJNSB_9not_fun_tINSB_14equal_to_valueIyEEEEEEE10hipError_tPvRmT3_T4_T5_T6_T7_T9_mT8_P12ihipStream_tbDpT10_ENKUlT_T0_E_clISt17integral_constantIbLb1EES1B_EEDaS16_S17_EUlS16_E_NS1_11comp_targetILNS1_3genE3ELNS1_11target_archE908ELNS1_3gpuE7ELNS1_3repE0EEENS1_30default_config_static_selectorELNS0_4arch9wavefront6targetE0EEEvT1_
	.globl	_ZN7rocprim17ROCPRIM_400000_NS6detail17trampoline_kernelINS0_14default_configENS1_25partition_config_selectorILNS1_17partition_subalgoE6EyNS0_10empty_typeEbEEZZNS1_14partition_implILS5_6ELb0ES3_mN6thrust23THRUST_200600_302600_NS6detail15normal_iteratorINSA_10device_ptrIyEEEEPS6_SG_NS0_5tupleIJNSA_16discard_iteratorINSA_11use_defaultEEES6_EEENSH_IJSG_SG_EEES6_PlJNSB_9not_fun_tINSB_14equal_to_valueIyEEEEEEE10hipError_tPvRmT3_T4_T5_T6_T7_T9_mT8_P12ihipStream_tbDpT10_ENKUlT_T0_E_clISt17integral_constantIbLb1EES1B_EEDaS16_S17_EUlS16_E_NS1_11comp_targetILNS1_3genE3ELNS1_11target_archE908ELNS1_3gpuE7ELNS1_3repE0EEENS1_30default_config_static_selectorELNS0_4arch9wavefront6targetE0EEEvT1_
	.p2align	8
	.type	_ZN7rocprim17ROCPRIM_400000_NS6detail17trampoline_kernelINS0_14default_configENS1_25partition_config_selectorILNS1_17partition_subalgoE6EyNS0_10empty_typeEbEEZZNS1_14partition_implILS5_6ELb0ES3_mN6thrust23THRUST_200600_302600_NS6detail15normal_iteratorINSA_10device_ptrIyEEEEPS6_SG_NS0_5tupleIJNSA_16discard_iteratorINSA_11use_defaultEEES6_EEENSH_IJSG_SG_EEES6_PlJNSB_9not_fun_tINSB_14equal_to_valueIyEEEEEEE10hipError_tPvRmT3_T4_T5_T6_T7_T9_mT8_P12ihipStream_tbDpT10_ENKUlT_T0_E_clISt17integral_constantIbLb1EES1B_EEDaS16_S17_EUlS16_E_NS1_11comp_targetILNS1_3genE3ELNS1_11target_archE908ELNS1_3gpuE7ELNS1_3repE0EEENS1_30default_config_static_selectorELNS0_4arch9wavefront6targetE0EEEvT1_,@function
_ZN7rocprim17ROCPRIM_400000_NS6detail17trampoline_kernelINS0_14default_configENS1_25partition_config_selectorILNS1_17partition_subalgoE6EyNS0_10empty_typeEbEEZZNS1_14partition_implILS5_6ELb0ES3_mN6thrust23THRUST_200600_302600_NS6detail15normal_iteratorINSA_10device_ptrIyEEEEPS6_SG_NS0_5tupleIJNSA_16discard_iteratorINSA_11use_defaultEEES6_EEENSH_IJSG_SG_EEES6_PlJNSB_9not_fun_tINSB_14equal_to_valueIyEEEEEEE10hipError_tPvRmT3_T4_T5_T6_T7_T9_mT8_P12ihipStream_tbDpT10_ENKUlT_T0_E_clISt17integral_constantIbLb1EES1B_EEDaS16_S17_EUlS16_E_NS1_11comp_targetILNS1_3genE3ELNS1_11target_archE908ELNS1_3gpuE7ELNS1_3repE0EEENS1_30default_config_static_selectorELNS0_4arch9wavefront6targetE0EEEvT1_: ; @_ZN7rocprim17ROCPRIM_400000_NS6detail17trampoline_kernelINS0_14default_configENS1_25partition_config_selectorILNS1_17partition_subalgoE6EyNS0_10empty_typeEbEEZZNS1_14partition_implILS5_6ELb0ES3_mN6thrust23THRUST_200600_302600_NS6detail15normal_iteratorINSA_10device_ptrIyEEEEPS6_SG_NS0_5tupleIJNSA_16discard_iteratorINSA_11use_defaultEEES6_EEENSH_IJSG_SG_EEES6_PlJNSB_9not_fun_tINSB_14equal_to_valueIyEEEEEEE10hipError_tPvRmT3_T4_T5_T6_T7_T9_mT8_P12ihipStream_tbDpT10_ENKUlT_T0_E_clISt17integral_constantIbLb1EES1B_EEDaS16_S17_EUlS16_E_NS1_11comp_targetILNS1_3genE3ELNS1_11target_archE908ELNS1_3gpuE7ELNS1_3repE0EEENS1_30default_config_static_selectorELNS0_4arch9wavefront6targetE0EEEvT1_
; %bb.0:
	.section	.rodata,"a",@progbits
	.p2align	6, 0x0
	.amdhsa_kernel _ZN7rocprim17ROCPRIM_400000_NS6detail17trampoline_kernelINS0_14default_configENS1_25partition_config_selectorILNS1_17partition_subalgoE6EyNS0_10empty_typeEbEEZZNS1_14partition_implILS5_6ELb0ES3_mN6thrust23THRUST_200600_302600_NS6detail15normal_iteratorINSA_10device_ptrIyEEEEPS6_SG_NS0_5tupleIJNSA_16discard_iteratorINSA_11use_defaultEEES6_EEENSH_IJSG_SG_EEES6_PlJNSB_9not_fun_tINSB_14equal_to_valueIyEEEEEEE10hipError_tPvRmT3_T4_T5_T6_T7_T9_mT8_P12ihipStream_tbDpT10_ENKUlT_T0_E_clISt17integral_constantIbLb1EES1B_EEDaS16_S17_EUlS16_E_NS1_11comp_targetILNS1_3genE3ELNS1_11target_archE908ELNS1_3gpuE7ELNS1_3repE0EEENS1_30default_config_static_selectorELNS0_4arch9wavefront6targetE0EEEvT1_
		.amdhsa_group_segment_fixed_size 0
		.amdhsa_private_segment_fixed_size 0
		.amdhsa_kernarg_size 136
		.amdhsa_user_sgpr_count 2
		.amdhsa_user_sgpr_dispatch_ptr 0
		.amdhsa_user_sgpr_queue_ptr 0
		.amdhsa_user_sgpr_kernarg_segment_ptr 1
		.amdhsa_user_sgpr_dispatch_id 0
		.amdhsa_user_sgpr_private_segment_size 0
		.amdhsa_wavefront_size32 1
		.amdhsa_uses_dynamic_stack 0
		.amdhsa_enable_private_segment 0
		.amdhsa_system_sgpr_workgroup_id_x 1
		.amdhsa_system_sgpr_workgroup_id_y 0
		.amdhsa_system_sgpr_workgroup_id_z 0
		.amdhsa_system_sgpr_workgroup_info 0
		.amdhsa_system_vgpr_workitem_id 0
		.amdhsa_next_free_vgpr 1
		.amdhsa_next_free_sgpr 1
		.amdhsa_reserve_vcc 0
		.amdhsa_float_round_mode_32 0
		.amdhsa_float_round_mode_16_64 0
		.amdhsa_float_denorm_mode_32 3
		.amdhsa_float_denorm_mode_16_64 3
		.amdhsa_fp16_overflow 0
		.amdhsa_workgroup_processor_mode 1
		.amdhsa_memory_ordered 1
		.amdhsa_forward_progress 1
		.amdhsa_inst_pref_size 0
		.amdhsa_round_robin_scheduling 0
		.amdhsa_exception_fp_ieee_invalid_op 0
		.amdhsa_exception_fp_denorm_src 0
		.amdhsa_exception_fp_ieee_div_zero 0
		.amdhsa_exception_fp_ieee_overflow 0
		.amdhsa_exception_fp_ieee_underflow 0
		.amdhsa_exception_fp_ieee_inexact 0
		.amdhsa_exception_int_div_zero 0
	.end_amdhsa_kernel
	.section	.text._ZN7rocprim17ROCPRIM_400000_NS6detail17trampoline_kernelINS0_14default_configENS1_25partition_config_selectorILNS1_17partition_subalgoE6EyNS0_10empty_typeEbEEZZNS1_14partition_implILS5_6ELb0ES3_mN6thrust23THRUST_200600_302600_NS6detail15normal_iteratorINSA_10device_ptrIyEEEEPS6_SG_NS0_5tupleIJNSA_16discard_iteratorINSA_11use_defaultEEES6_EEENSH_IJSG_SG_EEES6_PlJNSB_9not_fun_tINSB_14equal_to_valueIyEEEEEEE10hipError_tPvRmT3_T4_T5_T6_T7_T9_mT8_P12ihipStream_tbDpT10_ENKUlT_T0_E_clISt17integral_constantIbLb1EES1B_EEDaS16_S17_EUlS16_E_NS1_11comp_targetILNS1_3genE3ELNS1_11target_archE908ELNS1_3gpuE7ELNS1_3repE0EEENS1_30default_config_static_selectorELNS0_4arch9wavefront6targetE0EEEvT1_,"axG",@progbits,_ZN7rocprim17ROCPRIM_400000_NS6detail17trampoline_kernelINS0_14default_configENS1_25partition_config_selectorILNS1_17partition_subalgoE6EyNS0_10empty_typeEbEEZZNS1_14partition_implILS5_6ELb0ES3_mN6thrust23THRUST_200600_302600_NS6detail15normal_iteratorINSA_10device_ptrIyEEEEPS6_SG_NS0_5tupleIJNSA_16discard_iteratorINSA_11use_defaultEEES6_EEENSH_IJSG_SG_EEES6_PlJNSB_9not_fun_tINSB_14equal_to_valueIyEEEEEEE10hipError_tPvRmT3_T4_T5_T6_T7_T9_mT8_P12ihipStream_tbDpT10_ENKUlT_T0_E_clISt17integral_constantIbLb1EES1B_EEDaS16_S17_EUlS16_E_NS1_11comp_targetILNS1_3genE3ELNS1_11target_archE908ELNS1_3gpuE7ELNS1_3repE0EEENS1_30default_config_static_selectorELNS0_4arch9wavefront6targetE0EEEvT1_,comdat
.Lfunc_end1640:
	.size	_ZN7rocprim17ROCPRIM_400000_NS6detail17trampoline_kernelINS0_14default_configENS1_25partition_config_selectorILNS1_17partition_subalgoE6EyNS0_10empty_typeEbEEZZNS1_14partition_implILS5_6ELb0ES3_mN6thrust23THRUST_200600_302600_NS6detail15normal_iteratorINSA_10device_ptrIyEEEEPS6_SG_NS0_5tupleIJNSA_16discard_iteratorINSA_11use_defaultEEES6_EEENSH_IJSG_SG_EEES6_PlJNSB_9not_fun_tINSB_14equal_to_valueIyEEEEEEE10hipError_tPvRmT3_T4_T5_T6_T7_T9_mT8_P12ihipStream_tbDpT10_ENKUlT_T0_E_clISt17integral_constantIbLb1EES1B_EEDaS16_S17_EUlS16_E_NS1_11comp_targetILNS1_3genE3ELNS1_11target_archE908ELNS1_3gpuE7ELNS1_3repE0EEENS1_30default_config_static_selectorELNS0_4arch9wavefront6targetE0EEEvT1_, .Lfunc_end1640-_ZN7rocprim17ROCPRIM_400000_NS6detail17trampoline_kernelINS0_14default_configENS1_25partition_config_selectorILNS1_17partition_subalgoE6EyNS0_10empty_typeEbEEZZNS1_14partition_implILS5_6ELb0ES3_mN6thrust23THRUST_200600_302600_NS6detail15normal_iteratorINSA_10device_ptrIyEEEEPS6_SG_NS0_5tupleIJNSA_16discard_iteratorINSA_11use_defaultEEES6_EEENSH_IJSG_SG_EEES6_PlJNSB_9not_fun_tINSB_14equal_to_valueIyEEEEEEE10hipError_tPvRmT3_T4_T5_T6_T7_T9_mT8_P12ihipStream_tbDpT10_ENKUlT_T0_E_clISt17integral_constantIbLb1EES1B_EEDaS16_S17_EUlS16_E_NS1_11comp_targetILNS1_3genE3ELNS1_11target_archE908ELNS1_3gpuE7ELNS1_3repE0EEENS1_30default_config_static_selectorELNS0_4arch9wavefront6targetE0EEEvT1_
                                        ; -- End function
	.set _ZN7rocprim17ROCPRIM_400000_NS6detail17trampoline_kernelINS0_14default_configENS1_25partition_config_selectorILNS1_17partition_subalgoE6EyNS0_10empty_typeEbEEZZNS1_14partition_implILS5_6ELb0ES3_mN6thrust23THRUST_200600_302600_NS6detail15normal_iteratorINSA_10device_ptrIyEEEEPS6_SG_NS0_5tupleIJNSA_16discard_iteratorINSA_11use_defaultEEES6_EEENSH_IJSG_SG_EEES6_PlJNSB_9not_fun_tINSB_14equal_to_valueIyEEEEEEE10hipError_tPvRmT3_T4_T5_T6_T7_T9_mT8_P12ihipStream_tbDpT10_ENKUlT_T0_E_clISt17integral_constantIbLb1EES1B_EEDaS16_S17_EUlS16_E_NS1_11comp_targetILNS1_3genE3ELNS1_11target_archE908ELNS1_3gpuE7ELNS1_3repE0EEENS1_30default_config_static_selectorELNS0_4arch9wavefront6targetE0EEEvT1_.num_vgpr, 0
	.set _ZN7rocprim17ROCPRIM_400000_NS6detail17trampoline_kernelINS0_14default_configENS1_25partition_config_selectorILNS1_17partition_subalgoE6EyNS0_10empty_typeEbEEZZNS1_14partition_implILS5_6ELb0ES3_mN6thrust23THRUST_200600_302600_NS6detail15normal_iteratorINSA_10device_ptrIyEEEEPS6_SG_NS0_5tupleIJNSA_16discard_iteratorINSA_11use_defaultEEES6_EEENSH_IJSG_SG_EEES6_PlJNSB_9not_fun_tINSB_14equal_to_valueIyEEEEEEE10hipError_tPvRmT3_T4_T5_T6_T7_T9_mT8_P12ihipStream_tbDpT10_ENKUlT_T0_E_clISt17integral_constantIbLb1EES1B_EEDaS16_S17_EUlS16_E_NS1_11comp_targetILNS1_3genE3ELNS1_11target_archE908ELNS1_3gpuE7ELNS1_3repE0EEENS1_30default_config_static_selectorELNS0_4arch9wavefront6targetE0EEEvT1_.num_agpr, 0
	.set _ZN7rocprim17ROCPRIM_400000_NS6detail17trampoline_kernelINS0_14default_configENS1_25partition_config_selectorILNS1_17partition_subalgoE6EyNS0_10empty_typeEbEEZZNS1_14partition_implILS5_6ELb0ES3_mN6thrust23THRUST_200600_302600_NS6detail15normal_iteratorINSA_10device_ptrIyEEEEPS6_SG_NS0_5tupleIJNSA_16discard_iteratorINSA_11use_defaultEEES6_EEENSH_IJSG_SG_EEES6_PlJNSB_9not_fun_tINSB_14equal_to_valueIyEEEEEEE10hipError_tPvRmT3_T4_T5_T6_T7_T9_mT8_P12ihipStream_tbDpT10_ENKUlT_T0_E_clISt17integral_constantIbLb1EES1B_EEDaS16_S17_EUlS16_E_NS1_11comp_targetILNS1_3genE3ELNS1_11target_archE908ELNS1_3gpuE7ELNS1_3repE0EEENS1_30default_config_static_selectorELNS0_4arch9wavefront6targetE0EEEvT1_.numbered_sgpr, 0
	.set _ZN7rocprim17ROCPRIM_400000_NS6detail17trampoline_kernelINS0_14default_configENS1_25partition_config_selectorILNS1_17partition_subalgoE6EyNS0_10empty_typeEbEEZZNS1_14partition_implILS5_6ELb0ES3_mN6thrust23THRUST_200600_302600_NS6detail15normal_iteratorINSA_10device_ptrIyEEEEPS6_SG_NS0_5tupleIJNSA_16discard_iteratorINSA_11use_defaultEEES6_EEENSH_IJSG_SG_EEES6_PlJNSB_9not_fun_tINSB_14equal_to_valueIyEEEEEEE10hipError_tPvRmT3_T4_T5_T6_T7_T9_mT8_P12ihipStream_tbDpT10_ENKUlT_T0_E_clISt17integral_constantIbLb1EES1B_EEDaS16_S17_EUlS16_E_NS1_11comp_targetILNS1_3genE3ELNS1_11target_archE908ELNS1_3gpuE7ELNS1_3repE0EEENS1_30default_config_static_selectorELNS0_4arch9wavefront6targetE0EEEvT1_.num_named_barrier, 0
	.set _ZN7rocprim17ROCPRIM_400000_NS6detail17trampoline_kernelINS0_14default_configENS1_25partition_config_selectorILNS1_17partition_subalgoE6EyNS0_10empty_typeEbEEZZNS1_14partition_implILS5_6ELb0ES3_mN6thrust23THRUST_200600_302600_NS6detail15normal_iteratorINSA_10device_ptrIyEEEEPS6_SG_NS0_5tupleIJNSA_16discard_iteratorINSA_11use_defaultEEES6_EEENSH_IJSG_SG_EEES6_PlJNSB_9not_fun_tINSB_14equal_to_valueIyEEEEEEE10hipError_tPvRmT3_T4_T5_T6_T7_T9_mT8_P12ihipStream_tbDpT10_ENKUlT_T0_E_clISt17integral_constantIbLb1EES1B_EEDaS16_S17_EUlS16_E_NS1_11comp_targetILNS1_3genE3ELNS1_11target_archE908ELNS1_3gpuE7ELNS1_3repE0EEENS1_30default_config_static_selectorELNS0_4arch9wavefront6targetE0EEEvT1_.private_seg_size, 0
	.set _ZN7rocprim17ROCPRIM_400000_NS6detail17trampoline_kernelINS0_14default_configENS1_25partition_config_selectorILNS1_17partition_subalgoE6EyNS0_10empty_typeEbEEZZNS1_14partition_implILS5_6ELb0ES3_mN6thrust23THRUST_200600_302600_NS6detail15normal_iteratorINSA_10device_ptrIyEEEEPS6_SG_NS0_5tupleIJNSA_16discard_iteratorINSA_11use_defaultEEES6_EEENSH_IJSG_SG_EEES6_PlJNSB_9not_fun_tINSB_14equal_to_valueIyEEEEEEE10hipError_tPvRmT3_T4_T5_T6_T7_T9_mT8_P12ihipStream_tbDpT10_ENKUlT_T0_E_clISt17integral_constantIbLb1EES1B_EEDaS16_S17_EUlS16_E_NS1_11comp_targetILNS1_3genE3ELNS1_11target_archE908ELNS1_3gpuE7ELNS1_3repE0EEENS1_30default_config_static_selectorELNS0_4arch9wavefront6targetE0EEEvT1_.uses_vcc, 0
	.set _ZN7rocprim17ROCPRIM_400000_NS6detail17trampoline_kernelINS0_14default_configENS1_25partition_config_selectorILNS1_17partition_subalgoE6EyNS0_10empty_typeEbEEZZNS1_14partition_implILS5_6ELb0ES3_mN6thrust23THRUST_200600_302600_NS6detail15normal_iteratorINSA_10device_ptrIyEEEEPS6_SG_NS0_5tupleIJNSA_16discard_iteratorINSA_11use_defaultEEES6_EEENSH_IJSG_SG_EEES6_PlJNSB_9not_fun_tINSB_14equal_to_valueIyEEEEEEE10hipError_tPvRmT3_T4_T5_T6_T7_T9_mT8_P12ihipStream_tbDpT10_ENKUlT_T0_E_clISt17integral_constantIbLb1EES1B_EEDaS16_S17_EUlS16_E_NS1_11comp_targetILNS1_3genE3ELNS1_11target_archE908ELNS1_3gpuE7ELNS1_3repE0EEENS1_30default_config_static_selectorELNS0_4arch9wavefront6targetE0EEEvT1_.uses_flat_scratch, 0
	.set _ZN7rocprim17ROCPRIM_400000_NS6detail17trampoline_kernelINS0_14default_configENS1_25partition_config_selectorILNS1_17partition_subalgoE6EyNS0_10empty_typeEbEEZZNS1_14partition_implILS5_6ELb0ES3_mN6thrust23THRUST_200600_302600_NS6detail15normal_iteratorINSA_10device_ptrIyEEEEPS6_SG_NS0_5tupleIJNSA_16discard_iteratorINSA_11use_defaultEEES6_EEENSH_IJSG_SG_EEES6_PlJNSB_9not_fun_tINSB_14equal_to_valueIyEEEEEEE10hipError_tPvRmT3_T4_T5_T6_T7_T9_mT8_P12ihipStream_tbDpT10_ENKUlT_T0_E_clISt17integral_constantIbLb1EES1B_EEDaS16_S17_EUlS16_E_NS1_11comp_targetILNS1_3genE3ELNS1_11target_archE908ELNS1_3gpuE7ELNS1_3repE0EEENS1_30default_config_static_selectorELNS0_4arch9wavefront6targetE0EEEvT1_.has_dyn_sized_stack, 0
	.set _ZN7rocprim17ROCPRIM_400000_NS6detail17trampoline_kernelINS0_14default_configENS1_25partition_config_selectorILNS1_17partition_subalgoE6EyNS0_10empty_typeEbEEZZNS1_14partition_implILS5_6ELb0ES3_mN6thrust23THRUST_200600_302600_NS6detail15normal_iteratorINSA_10device_ptrIyEEEEPS6_SG_NS0_5tupleIJNSA_16discard_iteratorINSA_11use_defaultEEES6_EEENSH_IJSG_SG_EEES6_PlJNSB_9not_fun_tINSB_14equal_to_valueIyEEEEEEE10hipError_tPvRmT3_T4_T5_T6_T7_T9_mT8_P12ihipStream_tbDpT10_ENKUlT_T0_E_clISt17integral_constantIbLb1EES1B_EEDaS16_S17_EUlS16_E_NS1_11comp_targetILNS1_3genE3ELNS1_11target_archE908ELNS1_3gpuE7ELNS1_3repE0EEENS1_30default_config_static_selectorELNS0_4arch9wavefront6targetE0EEEvT1_.has_recursion, 0
	.set _ZN7rocprim17ROCPRIM_400000_NS6detail17trampoline_kernelINS0_14default_configENS1_25partition_config_selectorILNS1_17partition_subalgoE6EyNS0_10empty_typeEbEEZZNS1_14partition_implILS5_6ELb0ES3_mN6thrust23THRUST_200600_302600_NS6detail15normal_iteratorINSA_10device_ptrIyEEEEPS6_SG_NS0_5tupleIJNSA_16discard_iteratorINSA_11use_defaultEEES6_EEENSH_IJSG_SG_EEES6_PlJNSB_9not_fun_tINSB_14equal_to_valueIyEEEEEEE10hipError_tPvRmT3_T4_T5_T6_T7_T9_mT8_P12ihipStream_tbDpT10_ENKUlT_T0_E_clISt17integral_constantIbLb1EES1B_EEDaS16_S17_EUlS16_E_NS1_11comp_targetILNS1_3genE3ELNS1_11target_archE908ELNS1_3gpuE7ELNS1_3repE0EEENS1_30default_config_static_selectorELNS0_4arch9wavefront6targetE0EEEvT1_.has_indirect_call, 0
	.section	.AMDGPU.csdata,"",@progbits
; Kernel info:
; codeLenInByte = 0
; TotalNumSgprs: 0
; NumVgprs: 0
; ScratchSize: 0
; MemoryBound: 0
; FloatMode: 240
; IeeeMode: 1
; LDSByteSize: 0 bytes/workgroup (compile time only)
; SGPRBlocks: 0
; VGPRBlocks: 0
; NumSGPRsForWavesPerEU: 1
; NumVGPRsForWavesPerEU: 1
; Occupancy: 16
; WaveLimiterHint : 0
; COMPUTE_PGM_RSRC2:SCRATCH_EN: 0
; COMPUTE_PGM_RSRC2:USER_SGPR: 2
; COMPUTE_PGM_RSRC2:TRAP_HANDLER: 0
; COMPUTE_PGM_RSRC2:TGID_X_EN: 1
; COMPUTE_PGM_RSRC2:TGID_Y_EN: 0
; COMPUTE_PGM_RSRC2:TGID_Z_EN: 0
; COMPUTE_PGM_RSRC2:TIDIG_COMP_CNT: 0
	.section	.text._ZN7rocprim17ROCPRIM_400000_NS6detail17trampoline_kernelINS0_14default_configENS1_25partition_config_selectorILNS1_17partition_subalgoE6EyNS0_10empty_typeEbEEZZNS1_14partition_implILS5_6ELb0ES3_mN6thrust23THRUST_200600_302600_NS6detail15normal_iteratorINSA_10device_ptrIyEEEEPS6_SG_NS0_5tupleIJNSA_16discard_iteratorINSA_11use_defaultEEES6_EEENSH_IJSG_SG_EEES6_PlJNSB_9not_fun_tINSB_14equal_to_valueIyEEEEEEE10hipError_tPvRmT3_T4_T5_T6_T7_T9_mT8_P12ihipStream_tbDpT10_ENKUlT_T0_E_clISt17integral_constantIbLb1EES1B_EEDaS16_S17_EUlS16_E_NS1_11comp_targetILNS1_3genE2ELNS1_11target_archE906ELNS1_3gpuE6ELNS1_3repE0EEENS1_30default_config_static_selectorELNS0_4arch9wavefront6targetE0EEEvT1_,"axG",@progbits,_ZN7rocprim17ROCPRIM_400000_NS6detail17trampoline_kernelINS0_14default_configENS1_25partition_config_selectorILNS1_17partition_subalgoE6EyNS0_10empty_typeEbEEZZNS1_14partition_implILS5_6ELb0ES3_mN6thrust23THRUST_200600_302600_NS6detail15normal_iteratorINSA_10device_ptrIyEEEEPS6_SG_NS0_5tupleIJNSA_16discard_iteratorINSA_11use_defaultEEES6_EEENSH_IJSG_SG_EEES6_PlJNSB_9not_fun_tINSB_14equal_to_valueIyEEEEEEE10hipError_tPvRmT3_T4_T5_T6_T7_T9_mT8_P12ihipStream_tbDpT10_ENKUlT_T0_E_clISt17integral_constantIbLb1EES1B_EEDaS16_S17_EUlS16_E_NS1_11comp_targetILNS1_3genE2ELNS1_11target_archE906ELNS1_3gpuE6ELNS1_3repE0EEENS1_30default_config_static_selectorELNS0_4arch9wavefront6targetE0EEEvT1_,comdat
	.protected	_ZN7rocprim17ROCPRIM_400000_NS6detail17trampoline_kernelINS0_14default_configENS1_25partition_config_selectorILNS1_17partition_subalgoE6EyNS0_10empty_typeEbEEZZNS1_14partition_implILS5_6ELb0ES3_mN6thrust23THRUST_200600_302600_NS6detail15normal_iteratorINSA_10device_ptrIyEEEEPS6_SG_NS0_5tupleIJNSA_16discard_iteratorINSA_11use_defaultEEES6_EEENSH_IJSG_SG_EEES6_PlJNSB_9not_fun_tINSB_14equal_to_valueIyEEEEEEE10hipError_tPvRmT3_T4_T5_T6_T7_T9_mT8_P12ihipStream_tbDpT10_ENKUlT_T0_E_clISt17integral_constantIbLb1EES1B_EEDaS16_S17_EUlS16_E_NS1_11comp_targetILNS1_3genE2ELNS1_11target_archE906ELNS1_3gpuE6ELNS1_3repE0EEENS1_30default_config_static_selectorELNS0_4arch9wavefront6targetE0EEEvT1_ ; -- Begin function _ZN7rocprim17ROCPRIM_400000_NS6detail17trampoline_kernelINS0_14default_configENS1_25partition_config_selectorILNS1_17partition_subalgoE6EyNS0_10empty_typeEbEEZZNS1_14partition_implILS5_6ELb0ES3_mN6thrust23THRUST_200600_302600_NS6detail15normal_iteratorINSA_10device_ptrIyEEEEPS6_SG_NS0_5tupleIJNSA_16discard_iteratorINSA_11use_defaultEEES6_EEENSH_IJSG_SG_EEES6_PlJNSB_9not_fun_tINSB_14equal_to_valueIyEEEEEEE10hipError_tPvRmT3_T4_T5_T6_T7_T9_mT8_P12ihipStream_tbDpT10_ENKUlT_T0_E_clISt17integral_constantIbLb1EES1B_EEDaS16_S17_EUlS16_E_NS1_11comp_targetILNS1_3genE2ELNS1_11target_archE906ELNS1_3gpuE6ELNS1_3repE0EEENS1_30default_config_static_selectorELNS0_4arch9wavefront6targetE0EEEvT1_
	.globl	_ZN7rocprim17ROCPRIM_400000_NS6detail17trampoline_kernelINS0_14default_configENS1_25partition_config_selectorILNS1_17partition_subalgoE6EyNS0_10empty_typeEbEEZZNS1_14partition_implILS5_6ELb0ES3_mN6thrust23THRUST_200600_302600_NS6detail15normal_iteratorINSA_10device_ptrIyEEEEPS6_SG_NS0_5tupleIJNSA_16discard_iteratorINSA_11use_defaultEEES6_EEENSH_IJSG_SG_EEES6_PlJNSB_9not_fun_tINSB_14equal_to_valueIyEEEEEEE10hipError_tPvRmT3_T4_T5_T6_T7_T9_mT8_P12ihipStream_tbDpT10_ENKUlT_T0_E_clISt17integral_constantIbLb1EES1B_EEDaS16_S17_EUlS16_E_NS1_11comp_targetILNS1_3genE2ELNS1_11target_archE906ELNS1_3gpuE6ELNS1_3repE0EEENS1_30default_config_static_selectorELNS0_4arch9wavefront6targetE0EEEvT1_
	.p2align	8
	.type	_ZN7rocprim17ROCPRIM_400000_NS6detail17trampoline_kernelINS0_14default_configENS1_25partition_config_selectorILNS1_17partition_subalgoE6EyNS0_10empty_typeEbEEZZNS1_14partition_implILS5_6ELb0ES3_mN6thrust23THRUST_200600_302600_NS6detail15normal_iteratorINSA_10device_ptrIyEEEEPS6_SG_NS0_5tupleIJNSA_16discard_iteratorINSA_11use_defaultEEES6_EEENSH_IJSG_SG_EEES6_PlJNSB_9not_fun_tINSB_14equal_to_valueIyEEEEEEE10hipError_tPvRmT3_T4_T5_T6_T7_T9_mT8_P12ihipStream_tbDpT10_ENKUlT_T0_E_clISt17integral_constantIbLb1EES1B_EEDaS16_S17_EUlS16_E_NS1_11comp_targetILNS1_3genE2ELNS1_11target_archE906ELNS1_3gpuE6ELNS1_3repE0EEENS1_30default_config_static_selectorELNS0_4arch9wavefront6targetE0EEEvT1_,@function
_ZN7rocprim17ROCPRIM_400000_NS6detail17trampoline_kernelINS0_14default_configENS1_25partition_config_selectorILNS1_17partition_subalgoE6EyNS0_10empty_typeEbEEZZNS1_14partition_implILS5_6ELb0ES3_mN6thrust23THRUST_200600_302600_NS6detail15normal_iteratorINSA_10device_ptrIyEEEEPS6_SG_NS0_5tupleIJNSA_16discard_iteratorINSA_11use_defaultEEES6_EEENSH_IJSG_SG_EEES6_PlJNSB_9not_fun_tINSB_14equal_to_valueIyEEEEEEE10hipError_tPvRmT3_T4_T5_T6_T7_T9_mT8_P12ihipStream_tbDpT10_ENKUlT_T0_E_clISt17integral_constantIbLb1EES1B_EEDaS16_S17_EUlS16_E_NS1_11comp_targetILNS1_3genE2ELNS1_11target_archE906ELNS1_3gpuE6ELNS1_3repE0EEENS1_30default_config_static_selectorELNS0_4arch9wavefront6targetE0EEEvT1_: ; @_ZN7rocprim17ROCPRIM_400000_NS6detail17trampoline_kernelINS0_14default_configENS1_25partition_config_selectorILNS1_17partition_subalgoE6EyNS0_10empty_typeEbEEZZNS1_14partition_implILS5_6ELb0ES3_mN6thrust23THRUST_200600_302600_NS6detail15normal_iteratorINSA_10device_ptrIyEEEEPS6_SG_NS0_5tupleIJNSA_16discard_iteratorINSA_11use_defaultEEES6_EEENSH_IJSG_SG_EEES6_PlJNSB_9not_fun_tINSB_14equal_to_valueIyEEEEEEE10hipError_tPvRmT3_T4_T5_T6_T7_T9_mT8_P12ihipStream_tbDpT10_ENKUlT_T0_E_clISt17integral_constantIbLb1EES1B_EEDaS16_S17_EUlS16_E_NS1_11comp_targetILNS1_3genE2ELNS1_11target_archE906ELNS1_3gpuE6ELNS1_3repE0EEENS1_30default_config_static_selectorELNS0_4arch9wavefront6targetE0EEEvT1_
; %bb.0:
	.section	.rodata,"a",@progbits
	.p2align	6, 0x0
	.amdhsa_kernel _ZN7rocprim17ROCPRIM_400000_NS6detail17trampoline_kernelINS0_14default_configENS1_25partition_config_selectorILNS1_17partition_subalgoE6EyNS0_10empty_typeEbEEZZNS1_14partition_implILS5_6ELb0ES3_mN6thrust23THRUST_200600_302600_NS6detail15normal_iteratorINSA_10device_ptrIyEEEEPS6_SG_NS0_5tupleIJNSA_16discard_iteratorINSA_11use_defaultEEES6_EEENSH_IJSG_SG_EEES6_PlJNSB_9not_fun_tINSB_14equal_to_valueIyEEEEEEE10hipError_tPvRmT3_T4_T5_T6_T7_T9_mT8_P12ihipStream_tbDpT10_ENKUlT_T0_E_clISt17integral_constantIbLb1EES1B_EEDaS16_S17_EUlS16_E_NS1_11comp_targetILNS1_3genE2ELNS1_11target_archE906ELNS1_3gpuE6ELNS1_3repE0EEENS1_30default_config_static_selectorELNS0_4arch9wavefront6targetE0EEEvT1_
		.amdhsa_group_segment_fixed_size 0
		.amdhsa_private_segment_fixed_size 0
		.amdhsa_kernarg_size 136
		.amdhsa_user_sgpr_count 2
		.amdhsa_user_sgpr_dispatch_ptr 0
		.amdhsa_user_sgpr_queue_ptr 0
		.amdhsa_user_sgpr_kernarg_segment_ptr 1
		.amdhsa_user_sgpr_dispatch_id 0
		.amdhsa_user_sgpr_private_segment_size 0
		.amdhsa_wavefront_size32 1
		.amdhsa_uses_dynamic_stack 0
		.amdhsa_enable_private_segment 0
		.amdhsa_system_sgpr_workgroup_id_x 1
		.amdhsa_system_sgpr_workgroup_id_y 0
		.amdhsa_system_sgpr_workgroup_id_z 0
		.amdhsa_system_sgpr_workgroup_info 0
		.amdhsa_system_vgpr_workitem_id 0
		.amdhsa_next_free_vgpr 1
		.amdhsa_next_free_sgpr 1
		.amdhsa_reserve_vcc 0
		.amdhsa_float_round_mode_32 0
		.amdhsa_float_round_mode_16_64 0
		.amdhsa_float_denorm_mode_32 3
		.amdhsa_float_denorm_mode_16_64 3
		.amdhsa_fp16_overflow 0
		.amdhsa_workgroup_processor_mode 1
		.amdhsa_memory_ordered 1
		.amdhsa_forward_progress 1
		.amdhsa_inst_pref_size 0
		.amdhsa_round_robin_scheduling 0
		.amdhsa_exception_fp_ieee_invalid_op 0
		.amdhsa_exception_fp_denorm_src 0
		.amdhsa_exception_fp_ieee_div_zero 0
		.amdhsa_exception_fp_ieee_overflow 0
		.amdhsa_exception_fp_ieee_underflow 0
		.amdhsa_exception_fp_ieee_inexact 0
		.amdhsa_exception_int_div_zero 0
	.end_amdhsa_kernel
	.section	.text._ZN7rocprim17ROCPRIM_400000_NS6detail17trampoline_kernelINS0_14default_configENS1_25partition_config_selectorILNS1_17partition_subalgoE6EyNS0_10empty_typeEbEEZZNS1_14partition_implILS5_6ELb0ES3_mN6thrust23THRUST_200600_302600_NS6detail15normal_iteratorINSA_10device_ptrIyEEEEPS6_SG_NS0_5tupleIJNSA_16discard_iteratorINSA_11use_defaultEEES6_EEENSH_IJSG_SG_EEES6_PlJNSB_9not_fun_tINSB_14equal_to_valueIyEEEEEEE10hipError_tPvRmT3_T4_T5_T6_T7_T9_mT8_P12ihipStream_tbDpT10_ENKUlT_T0_E_clISt17integral_constantIbLb1EES1B_EEDaS16_S17_EUlS16_E_NS1_11comp_targetILNS1_3genE2ELNS1_11target_archE906ELNS1_3gpuE6ELNS1_3repE0EEENS1_30default_config_static_selectorELNS0_4arch9wavefront6targetE0EEEvT1_,"axG",@progbits,_ZN7rocprim17ROCPRIM_400000_NS6detail17trampoline_kernelINS0_14default_configENS1_25partition_config_selectorILNS1_17partition_subalgoE6EyNS0_10empty_typeEbEEZZNS1_14partition_implILS5_6ELb0ES3_mN6thrust23THRUST_200600_302600_NS6detail15normal_iteratorINSA_10device_ptrIyEEEEPS6_SG_NS0_5tupleIJNSA_16discard_iteratorINSA_11use_defaultEEES6_EEENSH_IJSG_SG_EEES6_PlJNSB_9not_fun_tINSB_14equal_to_valueIyEEEEEEE10hipError_tPvRmT3_T4_T5_T6_T7_T9_mT8_P12ihipStream_tbDpT10_ENKUlT_T0_E_clISt17integral_constantIbLb1EES1B_EEDaS16_S17_EUlS16_E_NS1_11comp_targetILNS1_3genE2ELNS1_11target_archE906ELNS1_3gpuE6ELNS1_3repE0EEENS1_30default_config_static_selectorELNS0_4arch9wavefront6targetE0EEEvT1_,comdat
.Lfunc_end1641:
	.size	_ZN7rocprim17ROCPRIM_400000_NS6detail17trampoline_kernelINS0_14default_configENS1_25partition_config_selectorILNS1_17partition_subalgoE6EyNS0_10empty_typeEbEEZZNS1_14partition_implILS5_6ELb0ES3_mN6thrust23THRUST_200600_302600_NS6detail15normal_iteratorINSA_10device_ptrIyEEEEPS6_SG_NS0_5tupleIJNSA_16discard_iteratorINSA_11use_defaultEEES6_EEENSH_IJSG_SG_EEES6_PlJNSB_9not_fun_tINSB_14equal_to_valueIyEEEEEEE10hipError_tPvRmT3_T4_T5_T6_T7_T9_mT8_P12ihipStream_tbDpT10_ENKUlT_T0_E_clISt17integral_constantIbLb1EES1B_EEDaS16_S17_EUlS16_E_NS1_11comp_targetILNS1_3genE2ELNS1_11target_archE906ELNS1_3gpuE6ELNS1_3repE0EEENS1_30default_config_static_selectorELNS0_4arch9wavefront6targetE0EEEvT1_, .Lfunc_end1641-_ZN7rocprim17ROCPRIM_400000_NS6detail17trampoline_kernelINS0_14default_configENS1_25partition_config_selectorILNS1_17partition_subalgoE6EyNS0_10empty_typeEbEEZZNS1_14partition_implILS5_6ELb0ES3_mN6thrust23THRUST_200600_302600_NS6detail15normal_iteratorINSA_10device_ptrIyEEEEPS6_SG_NS0_5tupleIJNSA_16discard_iteratorINSA_11use_defaultEEES6_EEENSH_IJSG_SG_EEES6_PlJNSB_9not_fun_tINSB_14equal_to_valueIyEEEEEEE10hipError_tPvRmT3_T4_T5_T6_T7_T9_mT8_P12ihipStream_tbDpT10_ENKUlT_T0_E_clISt17integral_constantIbLb1EES1B_EEDaS16_S17_EUlS16_E_NS1_11comp_targetILNS1_3genE2ELNS1_11target_archE906ELNS1_3gpuE6ELNS1_3repE0EEENS1_30default_config_static_selectorELNS0_4arch9wavefront6targetE0EEEvT1_
                                        ; -- End function
	.set _ZN7rocprim17ROCPRIM_400000_NS6detail17trampoline_kernelINS0_14default_configENS1_25partition_config_selectorILNS1_17partition_subalgoE6EyNS0_10empty_typeEbEEZZNS1_14partition_implILS5_6ELb0ES3_mN6thrust23THRUST_200600_302600_NS6detail15normal_iteratorINSA_10device_ptrIyEEEEPS6_SG_NS0_5tupleIJNSA_16discard_iteratorINSA_11use_defaultEEES6_EEENSH_IJSG_SG_EEES6_PlJNSB_9not_fun_tINSB_14equal_to_valueIyEEEEEEE10hipError_tPvRmT3_T4_T5_T6_T7_T9_mT8_P12ihipStream_tbDpT10_ENKUlT_T0_E_clISt17integral_constantIbLb1EES1B_EEDaS16_S17_EUlS16_E_NS1_11comp_targetILNS1_3genE2ELNS1_11target_archE906ELNS1_3gpuE6ELNS1_3repE0EEENS1_30default_config_static_selectorELNS0_4arch9wavefront6targetE0EEEvT1_.num_vgpr, 0
	.set _ZN7rocprim17ROCPRIM_400000_NS6detail17trampoline_kernelINS0_14default_configENS1_25partition_config_selectorILNS1_17partition_subalgoE6EyNS0_10empty_typeEbEEZZNS1_14partition_implILS5_6ELb0ES3_mN6thrust23THRUST_200600_302600_NS6detail15normal_iteratorINSA_10device_ptrIyEEEEPS6_SG_NS0_5tupleIJNSA_16discard_iteratorINSA_11use_defaultEEES6_EEENSH_IJSG_SG_EEES6_PlJNSB_9not_fun_tINSB_14equal_to_valueIyEEEEEEE10hipError_tPvRmT3_T4_T5_T6_T7_T9_mT8_P12ihipStream_tbDpT10_ENKUlT_T0_E_clISt17integral_constantIbLb1EES1B_EEDaS16_S17_EUlS16_E_NS1_11comp_targetILNS1_3genE2ELNS1_11target_archE906ELNS1_3gpuE6ELNS1_3repE0EEENS1_30default_config_static_selectorELNS0_4arch9wavefront6targetE0EEEvT1_.num_agpr, 0
	.set _ZN7rocprim17ROCPRIM_400000_NS6detail17trampoline_kernelINS0_14default_configENS1_25partition_config_selectorILNS1_17partition_subalgoE6EyNS0_10empty_typeEbEEZZNS1_14partition_implILS5_6ELb0ES3_mN6thrust23THRUST_200600_302600_NS6detail15normal_iteratorINSA_10device_ptrIyEEEEPS6_SG_NS0_5tupleIJNSA_16discard_iteratorINSA_11use_defaultEEES6_EEENSH_IJSG_SG_EEES6_PlJNSB_9not_fun_tINSB_14equal_to_valueIyEEEEEEE10hipError_tPvRmT3_T4_T5_T6_T7_T9_mT8_P12ihipStream_tbDpT10_ENKUlT_T0_E_clISt17integral_constantIbLb1EES1B_EEDaS16_S17_EUlS16_E_NS1_11comp_targetILNS1_3genE2ELNS1_11target_archE906ELNS1_3gpuE6ELNS1_3repE0EEENS1_30default_config_static_selectorELNS0_4arch9wavefront6targetE0EEEvT1_.numbered_sgpr, 0
	.set _ZN7rocprim17ROCPRIM_400000_NS6detail17trampoline_kernelINS0_14default_configENS1_25partition_config_selectorILNS1_17partition_subalgoE6EyNS0_10empty_typeEbEEZZNS1_14partition_implILS5_6ELb0ES3_mN6thrust23THRUST_200600_302600_NS6detail15normal_iteratorINSA_10device_ptrIyEEEEPS6_SG_NS0_5tupleIJNSA_16discard_iteratorINSA_11use_defaultEEES6_EEENSH_IJSG_SG_EEES6_PlJNSB_9not_fun_tINSB_14equal_to_valueIyEEEEEEE10hipError_tPvRmT3_T4_T5_T6_T7_T9_mT8_P12ihipStream_tbDpT10_ENKUlT_T0_E_clISt17integral_constantIbLb1EES1B_EEDaS16_S17_EUlS16_E_NS1_11comp_targetILNS1_3genE2ELNS1_11target_archE906ELNS1_3gpuE6ELNS1_3repE0EEENS1_30default_config_static_selectorELNS0_4arch9wavefront6targetE0EEEvT1_.num_named_barrier, 0
	.set _ZN7rocprim17ROCPRIM_400000_NS6detail17trampoline_kernelINS0_14default_configENS1_25partition_config_selectorILNS1_17partition_subalgoE6EyNS0_10empty_typeEbEEZZNS1_14partition_implILS5_6ELb0ES3_mN6thrust23THRUST_200600_302600_NS6detail15normal_iteratorINSA_10device_ptrIyEEEEPS6_SG_NS0_5tupleIJNSA_16discard_iteratorINSA_11use_defaultEEES6_EEENSH_IJSG_SG_EEES6_PlJNSB_9not_fun_tINSB_14equal_to_valueIyEEEEEEE10hipError_tPvRmT3_T4_T5_T6_T7_T9_mT8_P12ihipStream_tbDpT10_ENKUlT_T0_E_clISt17integral_constantIbLb1EES1B_EEDaS16_S17_EUlS16_E_NS1_11comp_targetILNS1_3genE2ELNS1_11target_archE906ELNS1_3gpuE6ELNS1_3repE0EEENS1_30default_config_static_selectorELNS0_4arch9wavefront6targetE0EEEvT1_.private_seg_size, 0
	.set _ZN7rocprim17ROCPRIM_400000_NS6detail17trampoline_kernelINS0_14default_configENS1_25partition_config_selectorILNS1_17partition_subalgoE6EyNS0_10empty_typeEbEEZZNS1_14partition_implILS5_6ELb0ES3_mN6thrust23THRUST_200600_302600_NS6detail15normal_iteratorINSA_10device_ptrIyEEEEPS6_SG_NS0_5tupleIJNSA_16discard_iteratorINSA_11use_defaultEEES6_EEENSH_IJSG_SG_EEES6_PlJNSB_9not_fun_tINSB_14equal_to_valueIyEEEEEEE10hipError_tPvRmT3_T4_T5_T6_T7_T9_mT8_P12ihipStream_tbDpT10_ENKUlT_T0_E_clISt17integral_constantIbLb1EES1B_EEDaS16_S17_EUlS16_E_NS1_11comp_targetILNS1_3genE2ELNS1_11target_archE906ELNS1_3gpuE6ELNS1_3repE0EEENS1_30default_config_static_selectorELNS0_4arch9wavefront6targetE0EEEvT1_.uses_vcc, 0
	.set _ZN7rocprim17ROCPRIM_400000_NS6detail17trampoline_kernelINS0_14default_configENS1_25partition_config_selectorILNS1_17partition_subalgoE6EyNS0_10empty_typeEbEEZZNS1_14partition_implILS5_6ELb0ES3_mN6thrust23THRUST_200600_302600_NS6detail15normal_iteratorINSA_10device_ptrIyEEEEPS6_SG_NS0_5tupleIJNSA_16discard_iteratorINSA_11use_defaultEEES6_EEENSH_IJSG_SG_EEES6_PlJNSB_9not_fun_tINSB_14equal_to_valueIyEEEEEEE10hipError_tPvRmT3_T4_T5_T6_T7_T9_mT8_P12ihipStream_tbDpT10_ENKUlT_T0_E_clISt17integral_constantIbLb1EES1B_EEDaS16_S17_EUlS16_E_NS1_11comp_targetILNS1_3genE2ELNS1_11target_archE906ELNS1_3gpuE6ELNS1_3repE0EEENS1_30default_config_static_selectorELNS0_4arch9wavefront6targetE0EEEvT1_.uses_flat_scratch, 0
	.set _ZN7rocprim17ROCPRIM_400000_NS6detail17trampoline_kernelINS0_14default_configENS1_25partition_config_selectorILNS1_17partition_subalgoE6EyNS0_10empty_typeEbEEZZNS1_14partition_implILS5_6ELb0ES3_mN6thrust23THRUST_200600_302600_NS6detail15normal_iteratorINSA_10device_ptrIyEEEEPS6_SG_NS0_5tupleIJNSA_16discard_iteratorINSA_11use_defaultEEES6_EEENSH_IJSG_SG_EEES6_PlJNSB_9not_fun_tINSB_14equal_to_valueIyEEEEEEE10hipError_tPvRmT3_T4_T5_T6_T7_T9_mT8_P12ihipStream_tbDpT10_ENKUlT_T0_E_clISt17integral_constantIbLb1EES1B_EEDaS16_S17_EUlS16_E_NS1_11comp_targetILNS1_3genE2ELNS1_11target_archE906ELNS1_3gpuE6ELNS1_3repE0EEENS1_30default_config_static_selectorELNS0_4arch9wavefront6targetE0EEEvT1_.has_dyn_sized_stack, 0
	.set _ZN7rocprim17ROCPRIM_400000_NS6detail17trampoline_kernelINS0_14default_configENS1_25partition_config_selectorILNS1_17partition_subalgoE6EyNS0_10empty_typeEbEEZZNS1_14partition_implILS5_6ELb0ES3_mN6thrust23THRUST_200600_302600_NS6detail15normal_iteratorINSA_10device_ptrIyEEEEPS6_SG_NS0_5tupleIJNSA_16discard_iteratorINSA_11use_defaultEEES6_EEENSH_IJSG_SG_EEES6_PlJNSB_9not_fun_tINSB_14equal_to_valueIyEEEEEEE10hipError_tPvRmT3_T4_T5_T6_T7_T9_mT8_P12ihipStream_tbDpT10_ENKUlT_T0_E_clISt17integral_constantIbLb1EES1B_EEDaS16_S17_EUlS16_E_NS1_11comp_targetILNS1_3genE2ELNS1_11target_archE906ELNS1_3gpuE6ELNS1_3repE0EEENS1_30default_config_static_selectorELNS0_4arch9wavefront6targetE0EEEvT1_.has_recursion, 0
	.set _ZN7rocprim17ROCPRIM_400000_NS6detail17trampoline_kernelINS0_14default_configENS1_25partition_config_selectorILNS1_17partition_subalgoE6EyNS0_10empty_typeEbEEZZNS1_14partition_implILS5_6ELb0ES3_mN6thrust23THRUST_200600_302600_NS6detail15normal_iteratorINSA_10device_ptrIyEEEEPS6_SG_NS0_5tupleIJNSA_16discard_iteratorINSA_11use_defaultEEES6_EEENSH_IJSG_SG_EEES6_PlJNSB_9not_fun_tINSB_14equal_to_valueIyEEEEEEE10hipError_tPvRmT3_T4_T5_T6_T7_T9_mT8_P12ihipStream_tbDpT10_ENKUlT_T0_E_clISt17integral_constantIbLb1EES1B_EEDaS16_S17_EUlS16_E_NS1_11comp_targetILNS1_3genE2ELNS1_11target_archE906ELNS1_3gpuE6ELNS1_3repE0EEENS1_30default_config_static_selectorELNS0_4arch9wavefront6targetE0EEEvT1_.has_indirect_call, 0
	.section	.AMDGPU.csdata,"",@progbits
; Kernel info:
; codeLenInByte = 0
; TotalNumSgprs: 0
; NumVgprs: 0
; ScratchSize: 0
; MemoryBound: 0
; FloatMode: 240
; IeeeMode: 1
; LDSByteSize: 0 bytes/workgroup (compile time only)
; SGPRBlocks: 0
; VGPRBlocks: 0
; NumSGPRsForWavesPerEU: 1
; NumVGPRsForWavesPerEU: 1
; Occupancy: 16
; WaveLimiterHint : 0
; COMPUTE_PGM_RSRC2:SCRATCH_EN: 0
; COMPUTE_PGM_RSRC2:USER_SGPR: 2
; COMPUTE_PGM_RSRC2:TRAP_HANDLER: 0
; COMPUTE_PGM_RSRC2:TGID_X_EN: 1
; COMPUTE_PGM_RSRC2:TGID_Y_EN: 0
; COMPUTE_PGM_RSRC2:TGID_Z_EN: 0
; COMPUTE_PGM_RSRC2:TIDIG_COMP_CNT: 0
	.section	.text._ZN7rocprim17ROCPRIM_400000_NS6detail17trampoline_kernelINS0_14default_configENS1_25partition_config_selectorILNS1_17partition_subalgoE6EyNS0_10empty_typeEbEEZZNS1_14partition_implILS5_6ELb0ES3_mN6thrust23THRUST_200600_302600_NS6detail15normal_iteratorINSA_10device_ptrIyEEEEPS6_SG_NS0_5tupleIJNSA_16discard_iteratorINSA_11use_defaultEEES6_EEENSH_IJSG_SG_EEES6_PlJNSB_9not_fun_tINSB_14equal_to_valueIyEEEEEEE10hipError_tPvRmT3_T4_T5_T6_T7_T9_mT8_P12ihipStream_tbDpT10_ENKUlT_T0_E_clISt17integral_constantIbLb1EES1B_EEDaS16_S17_EUlS16_E_NS1_11comp_targetILNS1_3genE10ELNS1_11target_archE1200ELNS1_3gpuE4ELNS1_3repE0EEENS1_30default_config_static_selectorELNS0_4arch9wavefront6targetE0EEEvT1_,"axG",@progbits,_ZN7rocprim17ROCPRIM_400000_NS6detail17trampoline_kernelINS0_14default_configENS1_25partition_config_selectorILNS1_17partition_subalgoE6EyNS0_10empty_typeEbEEZZNS1_14partition_implILS5_6ELb0ES3_mN6thrust23THRUST_200600_302600_NS6detail15normal_iteratorINSA_10device_ptrIyEEEEPS6_SG_NS0_5tupleIJNSA_16discard_iteratorINSA_11use_defaultEEES6_EEENSH_IJSG_SG_EEES6_PlJNSB_9not_fun_tINSB_14equal_to_valueIyEEEEEEE10hipError_tPvRmT3_T4_T5_T6_T7_T9_mT8_P12ihipStream_tbDpT10_ENKUlT_T0_E_clISt17integral_constantIbLb1EES1B_EEDaS16_S17_EUlS16_E_NS1_11comp_targetILNS1_3genE10ELNS1_11target_archE1200ELNS1_3gpuE4ELNS1_3repE0EEENS1_30default_config_static_selectorELNS0_4arch9wavefront6targetE0EEEvT1_,comdat
	.protected	_ZN7rocprim17ROCPRIM_400000_NS6detail17trampoline_kernelINS0_14default_configENS1_25partition_config_selectorILNS1_17partition_subalgoE6EyNS0_10empty_typeEbEEZZNS1_14partition_implILS5_6ELb0ES3_mN6thrust23THRUST_200600_302600_NS6detail15normal_iteratorINSA_10device_ptrIyEEEEPS6_SG_NS0_5tupleIJNSA_16discard_iteratorINSA_11use_defaultEEES6_EEENSH_IJSG_SG_EEES6_PlJNSB_9not_fun_tINSB_14equal_to_valueIyEEEEEEE10hipError_tPvRmT3_T4_T5_T6_T7_T9_mT8_P12ihipStream_tbDpT10_ENKUlT_T0_E_clISt17integral_constantIbLb1EES1B_EEDaS16_S17_EUlS16_E_NS1_11comp_targetILNS1_3genE10ELNS1_11target_archE1200ELNS1_3gpuE4ELNS1_3repE0EEENS1_30default_config_static_selectorELNS0_4arch9wavefront6targetE0EEEvT1_ ; -- Begin function _ZN7rocprim17ROCPRIM_400000_NS6detail17trampoline_kernelINS0_14default_configENS1_25partition_config_selectorILNS1_17partition_subalgoE6EyNS0_10empty_typeEbEEZZNS1_14partition_implILS5_6ELb0ES3_mN6thrust23THRUST_200600_302600_NS6detail15normal_iteratorINSA_10device_ptrIyEEEEPS6_SG_NS0_5tupleIJNSA_16discard_iteratorINSA_11use_defaultEEES6_EEENSH_IJSG_SG_EEES6_PlJNSB_9not_fun_tINSB_14equal_to_valueIyEEEEEEE10hipError_tPvRmT3_T4_T5_T6_T7_T9_mT8_P12ihipStream_tbDpT10_ENKUlT_T0_E_clISt17integral_constantIbLb1EES1B_EEDaS16_S17_EUlS16_E_NS1_11comp_targetILNS1_3genE10ELNS1_11target_archE1200ELNS1_3gpuE4ELNS1_3repE0EEENS1_30default_config_static_selectorELNS0_4arch9wavefront6targetE0EEEvT1_
	.globl	_ZN7rocprim17ROCPRIM_400000_NS6detail17trampoline_kernelINS0_14default_configENS1_25partition_config_selectorILNS1_17partition_subalgoE6EyNS0_10empty_typeEbEEZZNS1_14partition_implILS5_6ELb0ES3_mN6thrust23THRUST_200600_302600_NS6detail15normal_iteratorINSA_10device_ptrIyEEEEPS6_SG_NS0_5tupleIJNSA_16discard_iteratorINSA_11use_defaultEEES6_EEENSH_IJSG_SG_EEES6_PlJNSB_9not_fun_tINSB_14equal_to_valueIyEEEEEEE10hipError_tPvRmT3_T4_T5_T6_T7_T9_mT8_P12ihipStream_tbDpT10_ENKUlT_T0_E_clISt17integral_constantIbLb1EES1B_EEDaS16_S17_EUlS16_E_NS1_11comp_targetILNS1_3genE10ELNS1_11target_archE1200ELNS1_3gpuE4ELNS1_3repE0EEENS1_30default_config_static_selectorELNS0_4arch9wavefront6targetE0EEEvT1_
	.p2align	8
	.type	_ZN7rocprim17ROCPRIM_400000_NS6detail17trampoline_kernelINS0_14default_configENS1_25partition_config_selectorILNS1_17partition_subalgoE6EyNS0_10empty_typeEbEEZZNS1_14partition_implILS5_6ELb0ES3_mN6thrust23THRUST_200600_302600_NS6detail15normal_iteratorINSA_10device_ptrIyEEEEPS6_SG_NS0_5tupleIJNSA_16discard_iteratorINSA_11use_defaultEEES6_EEENSH_IJSG_SG_EEES6_PlJNSB_9not_fun_tINSB_14equal_to_valueIyEEEEEEE10hipError_tPvRmT3_T4_T5_T6_T7_T9_mT8_P12ihipStream_tbDpT10_ENKUlT_T0_E_clISt17integral_constantIbLb1EES1B_EEDaS16_S17_EUlS16_E_NS1_11comp_targetILNS1_3genE10ELNS1_11target_archE1200ELNS1_3gpuE4ELNS1_3repE0EEENS1_30default_config_static_selectorELNS0_4arch9wavefront6targetE0EEEvT1_,@function
_ZN7rocprim17ROCPRIM_400000_NS6detail17trampoline_kernelINS0_14default_configENS1_25partition_config_selectorILNS1_17partition_subalgoE6EyNS0_10empty_typeEbEEZZNS1_14partition_implILS5_6ELb0ES3_mN6thrust23THRUST_200600_302600_NS6detail15normal_iteratorINSA_10device_ptrIyEEEEPS6_SG_NS0_5tupleIJNSA_16discard_iteratorINSA_11use_defaultEEES6_EEENSH_IJSG_SG_EEES6_PlJNSB_9not_fun_tINSB_14equal_to_valueIyEEEEEEE10hipError_tPvRmT3_T4_T5_T6_T7_T9_mT8_P12ihipStream_tbDpT10_ENKUlT_T0_E_clISt17integral_constantIbLb1EES1B_EEDaS16_S17_EUlS16_E_NS1_11comp_targetILNS1_3genE10ELNS1_11target_archE1200ELNS1_3gpuE4ELNS1_3repE0EEENS1_30default_config_static_selectorELNS0_4arch9wavefront6targetE0EEEvT1_: ; @_ZN7rocprim17ROCPRIM_400000_NS6detail17trampoline_kernelINS0_14default_configENS1_25partition_config_selectorILNS1_17partition_subalgoE6EyNS0_10empty_typeEbEEZZNS1_14partition_implILS5_6ELb0ES3_mN6thrust23THRUST_200600_302600_NS6detail15normal_iteratorINSA_10device_ptrIyEEEEPS6_SG_NS0_5tupleIJNSA_16discard_iteratorINSA_11use_defaultEEES6_EEENSH_IJSG_SG_EEES6_PlJNSB_9not_fun_tINSB_14equal_to_valueIyEEEEEEE10hipError_tPvRmT3_T4_T5_T6_T7_T9_mT8_P12ihipStream_tbDpT10_ENKUlT_T0_E_clISt17integral_constantIbLb1EES1B_EEDaS16_S17_EUlS16_E_NS1_11comp_targetILNS1_3genE10ELNS1_11target_archE1200ELNS1_3gpuE4ELNS1_3repE0EEENS1_30default_config_static_selectorELNS0_4arch9wavefront6targetE0EEEvT1_
; %bb.0:
	s_endpgm
	.section	.rodata,"a",@progbits
	.p2align	6, 0x0
	.amdhsa_kernel _ZN7rocprim17ROCPRIM_400000_NS6detail17trampoline_kernelINS0_14default_configENS1_25partition_config_selectorILNS1_17partition_subalgoE6EyNS0_10empty_typeEbEEZZNS1_14partition_implILS5_6ELb0ES3_mN6thrust23THRUST_200600_302600_NS6detail15normal_iteratorINSA_10device_ptrIyEEEEPS6_SG_NS0_5tupleIJNSA_16discard_iteratorINSA_11use_defaultEEES6_EEENSH_IJSG_SG_EEES6_PlJNSB_9not_fun_tINSB_14equal_to_valueIyEEEEEEE10hipError_tPvRmT3_T4_T5_T6_T7_T9_mT8_P12ihipStream_tbDpT10_ENKUlT_T0_E_clISt17integral_constantIbLb1EES1B_EEDaS16_S17_EUlS16_E_NS1_11comp_targetILNS1_3genE10ELNS1_11target_archE1200ELNS1_3gpuE4ELNS1_3repE0EEENS1_30default_config_static_selectorELNS0_4arch9wavefront6targetE0EEEvT1_
		.amdhsa_group_segment_fixed_size 0
		.amdhsa_private_segment_fixed_size 0
		.amdhsa_kernarg_size 136
		.amdhsa_user_sgpr_count 2
		.amdhsa_user_sgpr_dispatch_ptr 0
		.amdhsa_user_sgpr_queue_ptr 0
		.amdhsa_user_sgpr_kernarg_segment_ptr 1
		.amdhsa_user_sgpr_dispatch_id 0
		.amdhsa_user_sgpr_private_segment_size 0
		.amdhsa_wavefront_size32 1
		.amdhsa_uses_dynamic_stack 0
		.amdhsa_enable_private_segment 0
		.amdhsa_system_sgpr_workgroup_id_x 1
		.amdhsa_system_sgpr_workgroup_id_y 0
		.amdhsa_system_sgpr_workgroup_id_z 0
		.amdhsa_system_sgpr_workgroup_info 0
		.amdhsa_system_vgpr_workitem_id 0
		.amdhsa_next_free_vgpr 1
		.amdhsa_next_free_sgpr 1
		.amdhsa_reserve_vcc 0
		.amdhsa_float_round_mode_32 0
		.amdhsa_float_round_mode_16_64 0
		.amdhsa_float_denorm_mode_32 3
		.amdhsa_float_denorm_mode_16_64 3
		.amdhsa_fp16_overflow 0
		.amdhsa_workgroup_processor_mode 1
		.amdhsa_memory_ordered 1
		.amdhsa_forward_progress 1
		.amdhsa_inst_pref_size 1
		.amdhsa_round_robin_scheduling 0
		.amdhsa_exception_fp_ieee_invalid_op 0
		.amdhsa_exception_fp_denorm_src 0
		.amdhsa_exception_fp_ieee_div_zero 0
		.amdhsa_exception_fp_ieee_overflow 0
		.amdhsa_exception_fp_ieee_underflow 0
		.amdhsa_exception_fp_ieee_inexact 0
		.amdhsa_exception_int_div_zero 0
	.end_amdhsa_kernel
	.section	.text._ZN7rocprim17ROCPRIM_400000_NS6detail17trampoline_kernelINS0_14default_configENS1_25partition_config_selectorILNS1_17partition_subalgoE6EyNS0_10empty_typeEbEEZZNS1_14partition_implILS5_6ELb0ES3_mN6thrust23THRUST_200600_302600_NS6detail15normal_iteratorINSA_10device_ptrIyEEEEPS6_SG_NS0_5tupleIJNSA_16discard_iteratorINSA_11use_defaultEEES6_EEENSH_IJSG_SG_EEES6_PlJNSB_9not_fun_tINSB_14equal_to_valueIyEEEEEEE10hipError_tPvRmT3_T4_T5_T6_T7_T9_mT8_P12ihipStream_tbDpT10_ENKUlT_T0_E_clISt17integral_constantIbLb1EES1B_EEDaS16_S17_EUlS16_E_NS1_11comp_targetILNS1_3genE10ELNS1_11target_archE1200ELNS1_3gpuE4ELNS1_3repE0EEENS1_30default_config_static_selectorELNS0_4arch9wavefront6targetE0EEEvT1_,"axG",@progbits,_ZN7rocprim17ROCPRIM_400000_NS6detail17trampoline_kernelINS0_14default_configENS1_25partition_config_selectorILNS1_17partition_subalgoE6EyNS0_10empty_typeEbEEZZNS1_14partition_implILS5_6ELb0ES3_mN6thrust23THRUST_200600_302600_NS6detail15normal_iteratorINSA_10device_ptrIyEEEEPS6_SG_NS0_5tupleIJNSA_16discard_iteratorINSA_11use_defaultEEES6_EEENSH_IJSG_SG_EEES6_PlJNSB_9not_fun_tINSB_14equal_to_valueIyEEEEEEE10hipError_tPvRmT3_T4_T5_T6_T7_T9_mT8_P12ihipStream_tbDpT10_ENKUlT_T0_E_clISt17integral_constantIbLb1EES1B_EEDaS16_S17_EUlS16_E_NS1_11comp_targetILNS1_3genE10ELNS1_11target_archE1200ELNS1_3gpuE4ELNS1_3repE0EEENS1_30default_config_static_selectorELNS0_4arch9wavefront6targetE0EEEvT1_,comdat
.Lfunc_end1642:
	.size	_ZN7rocprim17ROCPRIM_400000_NS6detail17trampoline_kernelINS0_14default_configENS1_25partition_config_selectorILNS1_17partition_subalgoE6EyNS0_10empty_typeEbEEZZNS1_14partition_implILS5_6ELb0ES3_mN6thrust23THRUST_200600_302600_NS6detail15normal_iteratorINSA_10device_ptrIyEEEEPS6_SG_NS0_5tupleIJNSA_16discard_iteratorINSA_11use_defaultEEES6_EEENSH_IJSG_SG_EEES6_PlJNSB_9not_fun_tINSB_14equal_to_valueIyEEEEEEE10hipError_tPvRmT3_T4_T5_T6_T7_T9_mT8_P12ihipStream_tbDpT10_ENKUlT_T0_E_clISt17integral_constantIbLb1EES1B_EEDaS16_S17_EUlS16_E_NS1_11comp_targetILNS1_3genE10ELNS1_11target_archE1200ELNS1_3gpuE4ELNS1_3repE0EEENS1_30default_config_static_selectorELNS0_4arch9wavefront6targetE0EEEvT1_, .Lfunc_end1642-_ZN7rocprim17ROCPRIM_400000_NS6detail17trampoline_kernelINS0_14default_configENS1_25partition_config_selectorILNS1_17partition_subalgoE6EyNS0_10empty_typeEbEEZZNS1_14partition_implILS5_6ELb0ES3_mN6thrust23THRUST_200600_302600_NS6detail15normal_iteratorINSA_10device_ptrIyEEEEPS6_SG_NS0_5tupleIJNSA_16discard_iteratorINSA_11use_defaultEEES6_EEENSH_IJSG_SG_EEES6_PlJNSB_9not_fun_tINSB_14equal_to_valueIyEEEEEEE10hipError_tPvRmT3_T4_T5_T6_T7_T9_mT8_P12ihipStream_tbDpT10_ENKUlT_T0_E_clISt17integral_constantIbLb1EES1B_EEDaS16_S17_EUlS16_E_NS1_11comp_targetILNS1_3genE10ELNS1_11target_archE1200ELNS1_3gpuE4ELNS1_3repE0EEENS1_30default_config_static_selectorELNS0_4arch9wavefront6targetE0EEEvT1_
                                        ; -- End function
	.set _ZN7rocprim17ROCPRIM_400000_NS6detail17trampoline_kernelINS0_14default_configENS1_25partition_config_selectorILNS1_17partition_subalgoE6EyNS0_10empty_typeEbEEZZNS1_14partition_implILS5_6ELb0ES3_mN6thrust23THRUST_200600_302600_NS6detail15normal_iteratorINSA_10device_ptrIyEEEEPS6_SG_NS0_5tupleIJNSA_16discard_iteratorINSA_11use_defaultEEES6_EEENSH_IJSG_SG_EEES6_PlJNSB_9not_fun_tINSB_14equal_to_valueIyEEEEEEE10hipError_tPvRmT3_T4_T5_T6_T7_T9_mT8_P12ihipStream_tbDpT10_ENKUlT_T0_E_clISt17integral_constantIbLb1EES1B_EEDaS16_S17_EUlS16_E_NS1_11comp_targetILNS1_3genE10ELNS1_11target_archE1200ELNS1_3gpuE4ELNS1_3repE0EEENS1_30default_config_static_selectorELNS0_4arch9wavefront6targetE0EEEvT1_.num_vgpr, 0
	.set _ZN7rocprim17ROCPRIM_400000_NS6detail17trampoline_kernelINS0_14default_configENS1_25partition_config_selectorILNS1_17partition_subalgoE6EyNS0_10empty_typeEbEEZZNS1_14partition_implILS5_6ELb0ES3_mN6thrust23THRUST_200600_302600_NS6detail15normal_iteratorINSA_10device_ptrIyEEEEPS6_SG_NS0_5tupleIJNSA_16discard_iteratorINSA_11use_defaultEEES6_EEENSH_IJSG_SG_EEES6_PlJNSB_9not_fun_tINSB_14equal_to_valueIyEEEEEEE10hipError_tPvRmT3_T4_T5_T6_T7_T9_mT8_P12ihipStream_tbDpT10_ENKUlT_T0_E_clISt17integral_constantIbLb1EES1B_EEDaS16_S17_EUlS16_E_NS1_11comp_targetILNS1_3genE10ELNS1_11target_archE1200ELNS1_3gpuE4ELNS1_3repE0EEENS1_30default_config_static_selectorELNS0_4arch9wavefront6targetE0EEEvT1_.num_agpr, 0
	.set _ZN7rocprim17ROCPRIM_400000_NS6detail17trampoline_kernelINS0_14default_configENS1_25partition_config_selectorILNS1_17partition_subalgoE6EyNS0_10empty_typeEbEEZZNS1_14partition_implILS5_6ELb0ES3_mN6thrust23THRUST_200600_302600_NS6detail15normal_iteratorINSA_10device_ptrIyEEEEPS6_SG_NS0_5tupleIJNSA_16discard_iteratorINSA_11use_defaultEEES6_EEENSH_IJSG_SG_EEES6_PlJNSB_9not_fun_tINSB_14equal_to_valueIyEEEEEEE10hipError_tPvRmT3_T4_T5_T6_T7_T9_mT8_P12ihipStream_tbDpT10_ENKUlT_T0_E_clISt17integral_constantIbLb1EES1B_EEDaS16_S17_EUlS16_E_NS1_11comp_targetILNS1_3genE10ELNS1_11target_archE1200ELNS1_3gpuE4ELNS1_3repE0EEENS1_30default_config_static_selectorELNS0_4arch9wavefront6targetE0EEEvT1_.numbered_sgpr, 0
	.set _ZN7rocprim17ROCPRIM_400000_NS6detail17trampoline_kernelINS0_14default_configENS1_25partition_config_selectorILNS1_17partition_subalgoE6EyNS0_10empty_typeEbEEZZNS1_14partition_implILS5_6ELb0ES3_mN6thrust23THRUST_200600_302600_NS6detail15normal_iteratorINSA_10device_ptrIyEEEEPS6_SG_NS0_5tupleIJNSA_16discard_iteratorINSA_11use_defaultEEES6_EEENSH_IJSG_SG_EEES6_PlJNSB_9not_fun_tINSB_14equal_to_valueIyEEEEEEE10hipError_tPvRmT3_T4_T5_T6_T7_T9_mT8_P12ihipStream_tbDpT10_ENKUlT_T0_E_clISt17integral_constantIbLb1EES1B_EEDaS16_S17_EUlS16_E_NS1_11comp_targetILNS1_3genE10ELNS1_11target_archE1200ELNS1_3gpuE4ELNS1_3repE0EEENS1_30default_config_static_selectorELNS0_4arch9wavefront6targetE0EEEvT1_.num_named_barrier, 0
	.set _ZN7rocprim17ROCPRIM_400000_NS6detail17trampoline_kernelINS0_14default_configENS1_25partition_config_selectorILNS1_17partition_subalgoE6EyNS0_10empty_typeEbEEZZNS1_14partition_implILS5_6ELb0ES3_mN6thrust23THRUST_200600_302600_NS6detail15normal_iteratorINSA_10device_ptrIyEEEEPS6_SG_NS0_5tupleIJNSA_16discard_iteratorINSA_11use_defaultEEES6_EEENSH_IJSG_SG_EEES6_PlJNSB_9not_fun_tINSB_14equal_to_valueIyEEEEEEE10hipError_tPvRmT3_T4_T5_T6_T7_T9_mT8_P12ihipStream_tbDpT10_ENKUlT_T0_E_clISt17integral_constantIbLb1EES1B_EEDaS16_S17_EUlS16_E_NS1_11comp_targetILNS1_3genE10ELNS1_11target_archE1200ELNS1_3gpuE4ELNS1_3repE0EEENS1_30default_config_static_selectorELNS0_4arch9wavefront6targetE0EEEvT1_.private_seg_size, 0
	.set _ZN7rocprim17ROCPRIM_400000_NS6detail17trampoline_kernelINS0_14default_configENS1_25partition_config_selectorILNS1_17partition_subalgoE6EyNS0_10empty_typeEbEEZZNS1_14partition_implILS5_6ELb0ES3_mN6thrust23THRUST_200600_302600_NS6detail15normal_iteratorINSA_10device_ptrIyEEEEPS6_SG_NS0_5tupleIJNSA_16discard_iteratorINSA_11use_defaultEEES6_EEENSH_IJSG_SG_EEES6_PlJNSB_9not_fun_tINSB_14equal_to_valueIyEEEEEEE10hipError_tPvRmT3_T4_T5_T6_T7_T9_mT8_P12ihipStream_tbDpT10_ENKUlT_T0_E_clISt17integral_constantIbLb1EES1B_EEDaS16_S17_EUlS16_E_NS1_11comp_targetILNS1_3genE10ELNS1_11target_archE1200ELNS1_3gpuE4ELNS1_3repE0EEENS1_30default_config_static_selectorELNS0_4arch9wavefront6targetE0EEEvT1_.uses_vcc, 0
	.set _ZN7rocprim17ROCPRIM_400000_NS6detail17trampoline_kernelINS0_14default_configENS1_25partition_config_selectorILNS1_17partition_subalgoE6EyNS0_10empty_typeEbEEZZNS1_14partition_implILS5_6ELb0ES3_mN6thrust23THRUST_200600_302600_NS6detail15normal_iteratorINSA_10device_ptrIyEEEEPS6_SG_NS0_5tupleIJNSA_16discard_iteratorINSA_11use_defaultEEES6_EEENSH_IJSG_SG_EEES6_PlJNSB_9not_fun_tINSB_14equal_to_valueIyEEEEEEE10hipError_tPvRmT3_T4_T5_T6_T7_T9_mT8_P12ihipStream_tbDpT10_ENKUlT_T0_E_clISt17integral_constantIbLb1EES1B_EEDaS16_S17_EUlS16_E_NS1_11comp_targetILNS1_3genE10ELNS1_11target_archE1200ELNS1_3gpuE4ELNS1_3repE0EEENS1_30default_config_static_selectorELNS0_4arch9wavefront6targetE0EEEvT1_.uses_flat_scratch, 0
	.set _ZN7rocprim17ROCPRIM_400000_NS6detail17trampoline_kernelINS0_14default_configENS1_25partition_config_selectorILNS1_17partition_subalgoE6EyNS0_10empty_typeEbEEZZNS1_14partition_implILS5_6ELb0ES3_mN6thrust23THRUST_200600_302600_NS6detail15normal_iteratorINSA_10device_ptrIyEEEEPS6_SG_NS0_5tupleIJNSA_16discard_iteratorINSA_11use_defaultEEES6_EEENSH_IJSG_SG_EEES6_PlJNSB_9not_fun_tINSB_14equal_to_valueIyEEEEEEE10hipError_tPvRmT3_T4_T5_T6_T7_T9_mT8_P12ihipStream_tbDpT10_ENKUlT_T0_E_clISt17integral_constantIbLb1EES1B_EEDaS16_S17_EUlS16_E_NS1_11comp_targetILNS1_3genE10ELNS1_11target_archE1200ELNS1_3gpuE4ELNS1_3repE0EEENS1_30default_config_static_selectorELNS0_4arch9wavefront6targetE0EEEvT1_.has_dyn_sized_stack, 0
	.set _ZN7rocprim17ROCPRIM_400000_NS6detail17trampoline_kernelINS0_14default_configENS1_25partition_config_selectorILNS1_17partition_subalgoE6EyNS0_10empty_typeEbEEZZNS1_14partition_implILS5_6ELb0ES3_mN6thrust23THRUST_200600_302600_NS6detail15normal_iteratorINSA_10device_ptrIyEEEEPS6_SG_NS0_5tupleIJNSA_16discard_iteratorINSA_11use_defaultEEES6_EEENSH_IJSG_SG_EEES6_PlJNSB_9not_fun_tINSB_14equal_to_valueIyEEEEEEE10hipError_tPvRmT3_T4_T5_T6_T7_T9_mT8_P12ihipStream_tbDpT10_ENKUlT_T0_E_clISt17integral_constantIbLb1EES1B_EEDaS16_S17_EUlS16_E_NS1_11comp_targetILNS1_3genE10ELNS1_11target_archE1200ELNS1_3gpuE4ELNS1_3repE0EEENS1_30default_config_static_selectorELNS0_4arch9wavefront6targetE0EEEvT1_.has_recursion, 0
	.set _ZN7rocprim17ROCPRIM_400000_NS6detail17trampoline_kernelINS0_14default_configENS1_25partition_config_selectorILNS1_17partition_subalgoE6EyNS0_10empty_typeEbEEZZNS1_14partition_implILS5_6ELb0ES3_mN6thrust23THRUST_200600_302600_NS6detail15normal_iteratorINSA_10device_ptrIyEEEEPS6_SG_NS0_5tupleIJNSA_16discard_iteratorINSA_11use_defaultEEES6_EEENSH_IJSG_SG_EEES6_PlJNSB_9not_fun_tINSB_14equal_to_valueIyEEEEEEE10hipError_tPvRmT3_T4_T5_T6_T7_T9_mT8_P12ihipStream_tbDpT10_ENKUlT_T0_E_clISt17integral_constantIbLb1EES1B_EEDaS16_S17_EUlS16_E_NS1_11comp_targetILNS1_3genE10ELNS1_11target_archE1200ELNS1_3gpuE4ELNS1_3repE0EEENS1_30default_config_static_selectorELNS0_4arch9wavefront6targetE0EEEvT1_.has_indirect_call, 0
	.section	.AMDGPU.csdata,"",@progbits
; Kernel info:
; codeLenInByte = 4
; TotalNumSgprs: 0
; NumVgprs: 0
; ScratchSize: 0
; MemoryBound: 0
; FloatMode: 240
; IeeeMode: 1
; LDSByteSize: 0 bytes/workgroup (compile time only)
; SGPRBlocks: 0
; VGPRBlocks: 0
; NumSGPRsForWavesPerEU: 1
; NumVGPRsForWavesPerEU: 1
; Occupancy: 16
; WaveLimiterHint : 0
; COMPUTE_PGM_RSRC2:SCRATCH_EN: 0
; COMPUTE_PGM_RSRC2:USER_SGPR: 2
; COMPUTE_PGM_RSRC2:TRAP_HANDLER: 0
; COMPUTE_PGM_RSRC2:TGID_X_EN: 1
; COMPUTE_PGM_RSRC2:TGID_Y_EN: 0
; COMPUTE_PGM_RSRC2:TGID_Z_EN: 0
; COMPUTE_PGM_RSRC2:TIDIG_COMP_CNT: 0
	.section	.text._ZN7rocprim17ROCPRIM_400000_NS6detail17trampoline_kernelINS0_14default_configENS1_25partition_config_selectorILNS1_17partition_subalgoE6EyNS0_10empty_typeEbEEZZNS1_14partition_implILS5_6ELb0ES3_mN6thrust23THRUST_200600_302600_NS6detail15normal_iteratorINSA_10device_ptrIyEEEEPS6_SG_NS0_5tupleIJNSA_16discard_iteratorINSA_11use_defaultEEES6_EEENSH_IJSG_SG_EEES6_PlJNSB_9not_fun_tINSB_14equal_to_valueIyEEEEEEE10hipError_tPvRmT3_T4_T5_T6_T7_T9_mT8_P12ihipStream_tbDpT10_ENKUlT_T0_E_clISt17integral_constantIbLb1EES1B_EEDaS16_S17_EUlS16_E_NS1_11comp_targetILNS1_3genE9ELNS1_11target_archE1100ELNS1_3gpuE3ELNS1_3repE0EEENS1_30default_config_static_selectorELNS0_4arch9wavefront6targetE0EEEvT1_,"axG",@progbits,_ZN7rocprim17ROCPRIM_400000_NS6detail17trampoline_kernelINS0_14default_configENS1_25partition_config_selectorILNS1_17partition_subalgoE6EyNS0_10empty_typeEbEEZZNS1_14partition_implILS5_6ELb0ES3_mN6thrust23THRUST_200600_302600_NS6detail15normal_iteratorINSA_10device_ptrIyEEEEPS6_SG_NS0_5tupleIJNSA_16discard_iteratorINSA_11use_defaultEEES6_EEENSH_IJSG_SG_EEES6_PlJNSB_9not_fun_tINSB_14equal_to_valueIyEEEEEEE10hipError_tPvRmT3_T4_T5_T6_T7_T9_mT8_P12ihipStream_tbDpT10_ENKUlT_T0_E_clISt17integral_constantIbLb1EES1B_EEDaS16_S17_EUlS16_E_NS1_11comp_targetILNS1_3genE9ELNS1_11target_archE1100ELNS1_3gpuE3ELNS1_3repE0EEENS1_30default_config_static_selectorELNS0_4arch9wavefront6targetE0EEEvT1_,comdat
	.protected	_ZN7rocprim17ROCPRIM_400000_NS6detail17trampoline_kernelINS0_14default_configENS1_25partition_config_selectorILNS1_17partition_subalgoE6EyNS0_10empty_typeEbEEZZNS1_14partition_implILS5_6ELb0ES3_mN6thrust23THRUST_200600_302600_NS6detail15normal_iteratorINSA_10device_ptrIyEEEEPS6_SG_NS0_5tupleIJNSA_16discard_iteratorINSA_11use_defaultEEES6_EEENSH_IJSG_SG_EEES6_PlJNSB_9not_fun_tINSB_14equal_to_valueIyEEEEEEE10hipError_tPvRmT3_T4_T5_T6_T7_T9_mT8_P12ihipStream_tbDpT10_ENKUlT_T0_E_clISt17integral_constantIbLb1EES1B_EEDaS16_S17_EUlS16_E_NS1_11comp_targetILNS1_3genE9ELNS1_11target_archE1100ELNS1_3gpuE3ELNS1_3repE0EEENS1_30default_config_static_selectorELNS0_4arch9wavefront6targetE0EEEvT1_ ; -- Begin function _ZN7rocprim17ROCPRIM_400000_NS6detail17trampoline_kernelINS0_14default_configENS1_25partition_config_selectorILNS1_17partition_subalgoE6EyNS0_10empty_typeEbEEZZNS1_14partition_implILS5_6ELb0ES3_mN6thrust23THRUST_200600_302600_NS6detail15normal_iteratorINSA_10device_ptrIyEEEEPS6_SG_NS0_5tupleIJNSA_16discard_iteratorINSA_11use_defaultEEES6_EEENSH_IJSG_SG_EEES6_PlJNSB_9not_fun_tINSB_14equal_to_valueIyEEEEEEE10hipError_tPvRmT3_T4_T5_T6_T7_T9_mT8_P12ihipStream_tbDpT10_ENKUlT_T0_E_clISt17integral_constantIbLb1EES1B_EEDaS16_S17_EUlS16_E_NS1_11comp_targetILNS1_3genE9ELNS1_11target_archE1100ELNS1_3gpuE3ELNS1_3repE0EEENS1_30default_config_static_selectorELNS0_4arch9wavefront6targetE0EEEvT1_
	.globl	_ZN7rocprim17ROCPRIM_400000_NS6detail17trampoline_kernelINS0_14default_configENS1_25partition_config_selectorILNS1_17partition_subalgoE6EyNS0_10empty_typeEbEEZZNS1_14partition_implILS5_6ELb0ES3_mN6thrust23THRUST_200600_302600_NS6detail15normal_iteratorINSA_10device_ptrIyEEEEPS6_SG_NS0_5tupleIJNSA_16discard_iteratorINSA_11use_defaultEEES6_EEENSH_IJSG_SG_EEES6_PlJNSB_9not_fun_tINSB_14equal_to_valueIyEEEEEEE10hipError_tPvRmT3_T4_T5_T6_T7_T9_mT8_P12ihipStream_tbDpT10_ENKUlT_T0_E_clISt17integral_constantIbLb1EES1B_EEDaS16_S17_EUlS16_E_NS1_11comp_targetILNS1_3genE9ELNS1_11target_archE1100ELNS1_3gpuE3ELNS1_3repE0EEENS1_30default_config_static_selectorELNS0_4arch9wavefront6targetE0EEEvT1_
	.p2align	8
	.type	_ZN7rocprim17ROCPRIM_400000_NS6detail17trampoline_kernelINS0_14default_configENS1_25partition_config_selectorILNS1_17partition_subalgoE6EyNS0_10empty_typeEbEEZZNS1_14partition_implILS5_6ELb0ES3_mN6thrust23THRUST_200600_302600_NS6detail15normal_iteratorINSA_10device_ptrIyEEEEPS6_SG_NS0_5tupleIJNSA_16discard_iteratorINSA_11use_defaultEEES6_EEENSH_IJSG_SG_EEES6_PlJNSB_9not_fun_tINSB_14equal_to_valueIyEEEEEEE10hipError_tPvRmT3_T4_T5_T6_T7_T9_mT8_P12ihipStream_tbDpT10_ENKUlT_T0_E_clISt17integral_constantIbLb1EES1B_EEDaS16_S17_EUlS16_E_NS1_11comp_targetILNS1_3genE9ELNS1_11target_archE1100ELNS1_3gpuE3ELNS1_3repE0EEENS1_30default_config_static_selectorELNS0_4arch9wavefront6targetE0EEEvT1_,@function
_ZN7rocprim17ROCPRIM_400000_NS6detail17trampoline_kernelINS0_14default_configENS1_25partition_config_selectorILNS1_17partition_subalgoE6EyNS0_10empty_typeEbEEZZNS1_14partition_implILS5_6ELb0ES3_mN6thrust23THRUST_200600_302600_NS6detail15normal_iteratorINSA_10device_ptrIyEEEEPS6_SG_NS0_5tupleIJNSA_16discard_iteratorINSA_11use_defaultEEES6_EEENSH_IJSG_SG_EEES6_PlJNSB_9not_fun_tINSB_14equal_to_valueIyEEEEEEE10hipError_tPvRmT3_T4_T5_T6_T7_T9_mT8_P12ihipStream_tbDpT10_ENKUlT_T0_E_clISt17integral_constantIbLb1EES1B_EEDaS16_S17_EUlS16_E_NS1_11comp_targetILNS1_3genE9ELNS1_11target_archE1100ELNS1_3gpuE3ELNS1_3repE0EEENS1_30default_config_static_selectorELNS0_4arch9wavefront6targetE0EEEvT1_: ; @_ZN7rocprim17ROCPRIM_400000_NS6detail17trampoline_kernelINS0_14default_configENS1_25partition_config_selectorILNS1_17partition_subalgoE6EyNS0_10empty_typeEbEEZZNS1_14partition_implILS5_6ELb0ES3_mN6thrust23THRUST_200600_302600_NS6detail15normal_iteratorINSA_10device_ptrIyEEEEPS6_SG_NS0_5tupleIJNSA_16discard_iteratorINSA_11use_defaultEEES6_EEENSH_IJSG_SG_EEES6_PlJNSB_9not_fun_tINSB_14equal_to_valueIyEEEEEEE10hipError_tPvRmT3_T4_T5_T6_T7_T9_mT8_P12ihipStream_tbDpT10_ENKUlT_T0_E_clISt17integral_constantIbLb1EES1B_EEDaS16_S17_EUlS16_E_NS1_11comp_targetILNS1_3genE9ELNS1_11target_archE1100ELNS1_3gpuE3ELNS1_3repE0EEENS1_30default_config_static_selectorELNS0_4arch9wavefront6targetE0EEEvT1_
; %bb.0:
	.section	.rodata,"a",@progbits
	.p2align	6, 0x0
	.amdhsa_kernel _ZN7rocprim17ROCPRIM_400000_NS6detail17trampoline_kernelINS0_14default_configENS1_25partition_config_selectorILNS1_17partition_subalgoE6EyNS0_10empty_typeEbEEZZNS1_14partition_implILS5_6ELb0ES3_mN6thrust23THRUST_200600_302600_NS6detail15normal_iteratorINSA_10device_ptrIyEEEEPS6_SG_NS0_5tupleIJNSA_16discard_iteratorINSA_11use_defaultEEES6_EEENSH_IJSG_SG_EEES6_PlJNSB_9not_fun_tINSB_14equal_to_valueIyEEEEEEE10hipError_tPvRmT3_T4_T5_T6_T7_T9_mT8_P12ihipStream_tbDpT10_ENKUlT_T0_E_clISt17integral_constantIbLb1EES1B_EEDaS16_S17_EUlS16_E_NS1_11comp_targetILNS1_3genE9ELNS1_11target_archE1100ELNS1_3gpuE3ELNS1_3repE0EEENS1_30default_config_static_selectorELNS0_4arch9wavefront6targetE0EEEvT1_
		.amdhsa_group_segment_fixed_size 0
		.amdhsa_private_segment_fixed_size 0
		.amdhsa_kernarg_size 136
		.amdhsa_user_sgpr_count 2
		.amdhsa_user_sgpr_dispatch_ptr 0
		.amdhsa_user_sgpr_queue_ptr 0
		.amdhsa_user_sgpr_kernarg_segment_ptr 1
		.amdhsa_user_sgpr_dispatch_id 0
		.amdhsa_user_sgpr_private_segment_size 0
		.amdhsa_wavefront_size32 1
		.amdhsa_uses_dynamic_stack 0
		.amdhsa_enable_private_segment 0
		.amdhsa_system_sgpr_workgroup_id_x 1
		.amdhsa_system_sgpr_workgroup_id_y 0
		.amdhsa_system_sgpr_workgroup_id_z 0
		.amdhsa_system_sgpr_workgroup_info 0
		.amdhsa_system_vgpr_workitem_id 0
		.amdhsa_next_free_vgpr 1
		.amdhsa_next_free_sgpr 1
		.amdhsa_reserve_vcc 0
		.amdhsa_float_round_mode_32 0
		.amdhsa_float_round_mode_16_64 0
		.amdhsa_float_denorm_mode_32 3
		.amdhsa_float_denorm_mode_16_64 3
		.amdhsa_fp16_overflow 0
		.amdhsa_workgroup_processor_mode 1
		.amdhsa_memory_ordered 1
		.amdhsa_forward_progress 1
		.amdhsa_inst_pref_size 0
		.amdhsa_round_robin_scheduling 0
		.amdhsa_exception_fp_ieee_invalid_op 0
		.amdhsa_exception_fp_denorm_src 0
		.amdhsa_exception_fp_ieee_div_zero 0
		.amdhsa_exception_fp_ieee_overflow 0
		.amdhsa_exception_fp_ieee_underflow 0
		.amdhsa_exception_fp_ieee_inexact 0
		.amdhsa_exception_int_div_zero 0
	.end_amdhsa_kernel
	.section	.text._ZN7rocprim17ROCPRIM_400000_NS6detail17trampoline_kernelINS0_14default_configENS1_25partition_config_selectorILNS1_17partition_subalgoE6EyNS0_10empty_typeEbEEZZNS1_14partition_implILS5_6ELb0ES3_mN6thrust23THRUST_200600_302600_NS6detail15normal_iteratorINSA_10device_ptrIyEEEEPS6_SG_NS0_5tupleIJNSA_16discard_iteratorINSA_11use_defaultEEES6_EEENSH_IJSG_SG_EEES6_PlJNSB_9not_fun_tINSB_14equal_to_valueIyEEEEEEE10hipError_tPvRmT3_T4_T5_T6_T7_T9_mT8_P12ihipStream_tbDpT10_ENKUlT_T0_E_clISt17integral_constantIbLb1EES1B_EEDaS16_S17_EUlS16_E_NS1_11comp_targetILNS1_3genE9ELNS1_11target_archE1100ELNS1_3gpuE3ELNS1_3repE0EEENS1_30default_config_static_selectorELNS0_4arch9wavefront6targetE0EEEvT1_,"axG",@progbits,_ZN7rocprim17ROCPRIM_400000_NS6detail17trampoline_kernelINS0_14default_configENS1_25partition_config_selectorILNS1_17partition_subalgoE6EyNS0_10empty_typeEbEEZZNS1_14partition_implILS5_6ELb0ES3_mN6thrust23THRUST_200600_302600_NS6detail15normal_iteratorINSA_10device_ptrIyEEEEPS6_SG_NS0_5tupleIJNSA_16discard_iteratorINSA_11use_defaultEEES6_EEENSH_IJSG_SG_EEES6_PlJNSB_9not_fun_tINSB_14equal_to_valueIyEEEEEEE10hipError_tPvRmT3_T4_T5_T6_T7_T9_mT8_P12ihipStream_tbDpT10_ENKUlT_T0_E_clISt17integral_constantIbLb1EES1B_EEDaS16_S17_EUlS16_E_NS1_11comp_targetILNS1_3genE9ELNS1_11target_archE1100ELNS1_3gpuE3ELNS1_3repE0EEENS1_30default_config_static_selectorELNS0_4arch9wavefront6targetE0EEEvT1_,comdat
.Lfunc_end1643:
	.size	_ZN7rocprim17ROCPRIM_400000_NS6detail17trampoline_kernelINS0_14default_configENS1_25partition_config_selectorILNS1_17partition_subalgoE6EyNS0_10empty_typeEbEEZZNS1_14partition_implILS5_6ELb0ES3_mN6thrust23THRUST_200600_302600_NS6detail15normal_iteratorINSA_10device_ptrIyEEEEPS6_SG_NS0_5tupleIJNSA_16discard_iteratorINSA_11use_defaultEEES6_EEENSH_IJSG_SG_EEES6_PlJNSB_9not_fun_tINSB_14equal_to_valueIyEEEEEEE10hipError_tPvRmT3_T4_T5_T6_T7_T9_mT8_P12ihipStream_tbDpT10_ENKUlT_T0_E_clISt17integral_constantIbLb1EES1B_EEDaS16_S17_EUlS16_E_NS1_11comp_targetILNS1_3genE9ELNS1_11target_archE1100ELNS1_3gpuE3ELNS1_3repE0EEENS1_30default_config_static_selectorELNS0_4arch9wavefront6targetE0EEEvT1_, .Lfunc_end1643-_ZN7rocprim17ROCPRIM_400000_NS6detail17trampoline_kernelINS0_14default_configENS1_25partition_config_selectorILNS1_17partition_subalgoE6EyNS0_10empty_typeEbEEZZNS1_14partition_implILS5_6ELb0ES3_mN6thrust23THRUST_200600_302600_NS6detail15normal_iteratorINSA_10device_ptrIyEEEEPS6_SG_NS0_5tupleIJNSA_16discard_iteratorINSA_11use_defaultEEES6_EEENSH_IJSG_SG_EEES6_PlJNSB_9not_fun_tINSB_14equal_to_valueIyEEEEEEE10hipError_tPvRmT3_T4_T5_T6_T7_T9_mT8_P12ihipStream_tbDpT10_ENKUlT_T0_E_clISt17integral_constantIbLb1EES1B_EEDaS16_S17_EUlS16_E_NS1_11comp_targetILNS1_3genE9ELNS1_11target_archE1100ELNS1_3gpuE3ELNS1_3repE0EEENS1_30default_config_static_selectorELNS0_4arch9wavefront6targetE0EEEvT1_
                                        ; -- End function
	.set _ZN7rocprim17ROCPRIM_400000_NS6detail17trampoline_kernelINS0_14default_configENS1_25partition_config_selectorILNS1_17partition_subalgoE6EyNS0_10empty_typeEbEEZZNS1_14partition_implILS5_6ELb0ES3_mN6thrust23THRUST_200600_302600_NS6detail15normal_iteratorINSA_10device_ptrIyEEEEPS6_SG_NS0_5tupleIJNSA_16discard_iteratorINSA_11use_defaultEEES6_EEENSH_IJSG_SG_EEES6_PlJNSB_9not_fun_tINSB_14equal_to_valueIyEEEEEEE10hipError_tPvRmT3_T4_T5_T6_T7_T9_mT8_P12ihipStream_tbDpT10_ENKUlT_T0_E_clISt17integral_constantIbLb1EES1B_EEDaS16_S17_EUlS16_E_NS1_11comp_targetILNS1_3genE9ELNS1_11target_archE1100ELNS1_3gpuE3ELNS1_3repE0EEENS1_30default_config_static_selectorELNS0_4arch9wavefront6targetE0EEEvT1_.num_vgpr, 0
	.set _ZN7rocprim17ROCPRIM_400000_NS6detail17trampoline_kernelINS0_14default_configENS1_25partition_config_selectorILNS1_17partition_subalgoE6EyNS0_10empty_typeEbEEZZNS1_14partition_implILS5_6ELb0ES3_mN6thrust23THRUST_200600_302600_NS6detail15normal_iteratorINSA_10device_ptrIyEEEEPS6_SG_NS0_5tupleIJNSA_16discard_iteratorINSA_11use_defaultEEES6_EEENSH_IJSG_SG_EEES6_PlJNSB_9not_fun_tINSB_14equal_to_valueIyEEEEEEE10hipError_tPvRmT3_T4_T5_T6_T7_T9_mT8_P12ihipStream_tbDpT10_ENKUlT_T0_E_clISt17integral_constantIbLb1EES1B_EEDaS16_S17_EUlS16_E_NS1_11comp_targetILNS1_3genE9ELNS1_11target_archE1100ELNS1_3gpuE3ELNS1_3repE0EEENS1_30default_config_static_selectorELNS0_4arch9wavefront6targetE0EEEvT1_.num_agpr, 0
	.set _ZN7rocprim17ROCPRIM_400000_NS6detail17trampoline_kernelINS0_14default_configENS1_25partition_config_selectorILNS1_17partition_subalgoE6EyNS0_10empty_typeEbEEZZNS1_14partition_implILS5_6ELb0ES3_mN6thrust23THRUST_200600_302600_NS6detail15normal_iteratorINSA_10device_ptrIyEEEEPS6_SG_NS0_5tupleIJNSA_16discard_iteratorINSA_11use_defaultEEES6_EEENSH_IJSG_SG_EEES6_PlJNSB_9not_fun_tINSB_14equal_to_valueIyEEEEEEE10hipError_tPvRmT3_T4_T5_T6_T7_T9_mT8_P12ihipStream_tbDpT10_ENKUlT_T0_E_clISt17integral_constantIbLb1EES1B_EEDaS16_S17_EUlS16_E_NS1_11comp_targetILNS1_3genE9ELNS1_11target_archE1100ELNS1_3gpuE3ELNS1_3repE0EEENS1_30default_config_static_selectorELNS0_4arch9wavefront6targetE0EEEvT1_.numbered_sgpr, 0
	.set _ZN7rocprim17ROCPRIM_400000_NS6detail17trampoline_kernelINS0_14default_configENS1_25partition_config_selectorILNS1_17partition_subalgoE6EyNS0_10empty_typeEbEEZZNS1_14partition_implILS5_6ELb0ES3_mN6thrust23THRUST_200600_302600_NS6detail15normal_iteratorINSA_10device_ptrIyEEEEPS6_SG_NS0_5tupleIJNSA_16discard_iteratorINSA_11use_defaultEEES6_EEENSH_IJSG_SG_EEES6_PlJNSB_9not_fun_tINSB_14equal_to_valueIyEEEEEEE10hipError_tPvRmT3_T4_T5_T6_T7_T9_mT8_P12ihipStream_tbDpT10_ENKUlT_T0_E_clISt17integral_constantIbLb1EES1B_EEDaS16_S17_EUlS16_E_NS1_11comp_targetILNS1_3genE9ELNS1_11target_archE1100ELNS1_3gpuE3ELNS1_3repE0EEENS1_30default_config_static_selectorELNS0_4arch9wavefront6targetE0EEEvT1_.num_named_barrier, 0
	.set _ZN7rocprim17ROCPRIM_400000_NS6detail17trampoline_kernelINS0_14default_configENS1_25partition_config_selectorILNS1_17partition_subalgoE6EyNS0_10empty_typeEbEEZZNS1_14partition_implILS5_6ELb0ES3_mN6thrust23THRUST_200600_302600_NS6detail15normal_iteratorINSA_10device_ptrIyEEEEPS6_SG_NS0_5tupleIJNSA_16discard_iteratorINSA_11use_defaultEEES6_EEENSH_IJSG_SG_EEES6_PlJNSB_9not_fun_tINSB_14equal_to_valueIyEEEEEEE10hipError_tPvRmT3_T4_T5_T6_T7_T9_mT8_P12ihipStream_tbDpT10_ENKUlT_T0_E_clISt17integral_constantIbLb1EES1B_EEDaS16_S17_EUlS16_E_NS1_11comp_targetILNS1_3genE9ELNS1_11target_archE1100ELNS1_3gpuE3ELNS1_3repE0EEENS1_30default_config_static_selectorELNS0_4arch9wavefront6targetE0EEEvT1_.private_seg_size, 0
	.set _ZN7rocprim17ROCPRIM_400000_NS6detail17trampoline_kernelINS0_14default_configENS1_25partition_config_selectorILNS1_17partition_subalgoE6EyNS0_10empty_typeEbEEZZNS1_14partition_implILS5_6ELb0ES3_mN6thrust23THRUST_200600_302600_NS6detail15normal_iteratorINSA_10device_ptrIyEEEEPS6_SG_NS0_5tupleIJNSA_16discard_iteratorINSA_11use_defaultEEES6_EEENSH_IJSG_SG_EEES6_PlJNSB_9not_fun_tINSB_14equal_to_valueIyEEEEEEE10hipError_tPvRmT3_T4_T5_T6_T7_T9_mT8_P12ihipStream_tbDpT10_ENKUlT_T0_E_clISt17integral_constantIbLb1EES1B_EEDaS16_S17_EUlS16_E_NS1_11comp_targetILNS1_3genE9ELNS1_11target_archE1100ELNS1_3gpuE3ELNS1_3repE0EEENS1_30default_config_static_selectorELNS0_4arch9wavefront6targetE0EEEvT1_.uses_vcc, 0
	.set _ZN7rocprim17ROCPRIM_400000_NS6detail17trampoline_kernelINS0_14default_configENS1_25partition_config_selectorILNS1_17partition_subalgoE6EyNS0_10empty_typeEbEEZZNS1_14partition_implILS5_6ELb0ES3_mN6thrust23THRUST_200600_302600_NS6detail15normal_iteratorINSA_10device_ptrIyEEEEPS6_SG_NS0_5tupleIJNSA_16discard_iteratorINSA_11use_defaultEEES6_EEENSH_IJSG_SG_EEES6_PlJNSB_9not_fun_tINSB_14equal_to_valueIyEEEEEEE10hipError_tPvRmT3_T4_T5_T6_T7_T9_mT8_P12ihipStream_tbDpT10_ENKUlT_T0_E_clISt17integral_constantIbLb1EES1B_EEDaS16_S17_EUlS16_E_NS1_11comp_targetILNS1_3genE9ELNS1_11target_archE1100ELNS1_3gpuE3ELNS1_3repE0EEENS1_30default_config_static_selectorELNS0_4arch9wavefront6targetE0EEEvT1_.uses_flat_scratch, 0
	.set _ZN7rocprim17ROCPRIM_400000_NS6detail17trampoline_kernelINS0_14default_configENS1_25partition_config_selectorILNS1_17partition_subalgoE6EyNS0_10empty_typeEbEEZZNS1_14partition_implILS5_6ELb0ES3_mN6thrust23THRUST_200600_302600_NS6detail15normal_iteratorINSA_10device_ptrIyEEEEPS6_SG_NS0_5tupleIJNSA_16discard_iteratorINSA_11use_defaultEEES6_EEENSH_IJSG_SG_EEES6_PlJNSB_9not_fun_tINSB_14equal_to_valueIyEEEEEEE10hipError_tPvRmT3_T4_T5_T6_T7_T9_mT8_P12ihipStream_tbDpT10_ENKUlT_T0_E_clISt17integral_constantIbLb1EES1B_EEDaS16_S17_EUlS16_E_NS1_11comp_targetILNS1_3genE9ELNS1_11target_archE1100ELNS1_3gpuE3ELNS1_3repE0EEENS1_30default_config_static_selectorELNS0_4arch9wavefront6targetE0EEEvT1_.has_dyn_sized_stack, 0
	.set _ZN7rocprim17ROCPRIM_400000_NS6detail17trampoline_kernelINS0_14default_configENS1_25partition_config_selectorILNS1_17partition_subalgoE6EyNS0_10empty_typeEbEEZZNS1_14partition_implILS5_6ELb0ES3_mN6thrust23THRUST_200600_302600_NS6detail15normal_iteratorINSA_10device_ptrIyEEEEPS6_SG_NS0_5tupleIJNSA_16discard_iteratorINSA_11use_defaultEEES6_EEENSH_IJSG_SG_EEES6_PlJNSB_9not_fun_tINSB_14equal_to_valueIyEEEEEEE10hipError_tPvRmT3_T4_T5_T6_T7_T9_mT8_P12ihipStream_tbDpT10_ENKUlT_T0_E_clISt17integral_constantIbLb1EES1B_EEDaS16_S17_EUlS16_E_NS1_11comp_targetILNS1_3genE9ELNS1_11target_archE1100ELNS1_3gpuE3ELNS1_3repE0EEENS1_30default_config_static_selectorELNS0_4arch9wavefront6targetE0EEEvT1_.has_recursion, 0
	.set _ZN7rocprim17ROCPRIM_400000_NS6detail17trampoline_kernelINS0_14default_configENS1_25partition_config_selectorILNS1_17partition_subalgoE6EyNS0_10empty_typeEbEEZZNS1_14partition_implILS5_6ELb0ES3_mN6thrust23THRUST_200600_302600_NS6detail15normal_iteratorINSA_10device_ptrIyEEEEPS6_SG_NS0_5tupleIJNSA_16discard_iteratorINSA_11use_defaultEEES6_EEENSH_IJSG_SG_EEES6_PlJNSB_9not_fun_tINSB_14equal_to_valueIyEEEEEEE10hipError_tPvRmT3_T4_T5_T6_T7_T9_mT8_P12ihipStream_tbDpT10_ENKUlT_T0_E_clISt17integral_constantIbLb1EES1B_EEDaS16_S17_EUlS16_E_NS1_11comp_targetILNS1_3genE9ELNS1_11target_archE1100ELNS1_3gpuE3ELNS1_3repE0EEENS1_30default_config_static_selectorELNS0_4arch9wavefront6targetE0EEEvT1_.has_indirect_call, 0
	.section	.AMDGPU.csdata,"",@progbits
; Kernel info:
; codeLenInByte = 0
; TotalNumSgprs: 0
; NumVgprs: 0
; ScratchSize: 0
; MemoryBound: 0
; FloatMode: 240
; IeeeMode: 1
; LDSByteSize: 0 bytes/workgroup (compile time only)
; SGPRBlocks: 0
; VGPRBlocks: 0
; NumSGPRsForWavesPerEU: 1
; NumVGPRsForWavesPerEU: 1
; Occupancy: 16
; WaveLimiterHint : 0
; COMPUTE_PGM_RSRC2:SCRATCH_EN: 0
; COMPUTE_PGM_RSRC2:USER_SGPR: 2
; COMPUTE_PGM_RSRC2:TRAP_HANDLER: 0
; COMPUTE_PGM_RSRC2:TGID_X_EN: 1
; COMPUTE_PGM_RSRC2:TGID_Y_EN: 0
; COMPUTE_PGM_RSRC2:TGID_Z_EN: 0
; COMPUTE_PGM_RSRC2:TIDIG_COMP_CNT: 0
	.section	.text._ZN7rocprim17ROCPRIM_400000_NS6detail17trampoline_kernelINS0_14default_configENS1_25partition_config_selectorILNS1_17partition_subalgoE6EyNS0_10empty_typeEbEEZZNS1_14partition_implILS5_6ELb0ES3_mN6thrust23THRUST_200600_302600_NS6detail15normal_iteratorINSA_10device_ptrIyEEEEPS6_SG_NS0_5tupleIJNSA_16discard_iteratorINSA_11use_defaultEEES6_EEENSH_IJSG_SG_EEES6_PlJNSB_9not_fun_tINSB_14equal_to_valueIyEEEEEEE10hipError_tPvRmT3_T4_T5_T6_T7_T9_mT8_P12ihipStream_tbDpT10_ENKUlT_T0_E_clISt17integral_constantIbLb1EES1B_EEDaS16_S17_EUlS16_E_NS1_11comp_targetILNS1_3genE8ELNS1_11target_archE1030ELNS1_3gpuE2ELNS1_3repE0EEENS1_30default_config_static_selectorELNS0_4arch9wavefront6targetE0EEEvT1_,"axG",@progbits,_ZN7rocprim17ROCPRIM_400000_NS6detail17trampoline_kernelINS0_14default_configENS1_25partition_config_selectorILNS1_17partition_subalgoE6EyNS0_10empty_typeEbEEZZNS1_14partition_implILS5_6ELb0ES3_mN6thrust23THRUST_200600_302600_NS6detail15normal_iteratorINSA_10device_ptrIyEEEEPS6_SG_NS0_5tupleIJNSA_16discard_iteratorINSA_11use_defaultEEES6_EEENSH_IJSG_SG_EEES6_PlJNSB_9not_fun_tINSB_14equal_to_valueIyEEEEEEE10hipError_tPvRmT3_T4_T5_T6_T7_T9_mT8_P12ihipStream_tbDpT10_ENKUlT_T0_E_clISt17integral_constantIbLb1EES1B_EEDaS16_S17_EUlS16_E_NS1_11comp_targetILNS1_3genE8ELNS1_11target_archE1030ELNS1_3gpuE2ELNS1_3repE0EEENS1_30default_config_static_selectorELNS0_4arch9wavefront6targetE0EEEvT1_,comdat
	.protected	_ZN7rocprim17ROCPRIM_400000_NS6detail17trampoline_kernelINS0_14default_configENS1_25partition_config_selectorILNS1_17partition_subalgoE6EyNS0_10empty_typeEbEEZZNS1_14partition_implILS5_6ELb0ES3_mN6thrust23THRUST_200600_302600_NS6detail15normal_iteratorINSA_10device_ptrIyEEEEPS6_SG_NS0_5tupleIJNSA_16discard_iteratorINSA_11use_defaultEEES6_EEENSH_IJSG_SG_EEES6_PlJNSB_9not_fun_tINSB_14equal_to_valueIyEEEEEEE10hipError_tPvRmT3_T4_T5_T6_T7_T9_mT8_P12ihipStream_tbDpT10_ENKUlT_T0_E_clISt17integral_constantIbLb1EES1B_EEDaS16_S17_EUlS16_E_NS1_11comp_targetILNS1_3genE8ELNS1_11target_archE1030ELNS1_3gpuE2ELNS1_3repE0EEENS1_30default_config_static_selectorELNS0_4arch9wavefront6targetE0EEEvT1_ ; -- Begin function _ZN7rocprim17ROCPRIM_400000_NS6detail17trampoline_kernelINS0_14default_configENS1_25partition_config_selectorILNS1_17partition_subalgoE6EyNS0_10empty_typeEbEEZZNS1_14partition_implILS5_6ELb0ES3_mN6thrust23THRUST_200600_302600_NS6detail15normal_iteratorINSA_10device_ptrIyEEEEPS6_SG_NS0_5tupleIJNSA_16discard_iteratorINSA_11use_defaultEEES6_EEENSH_IJSG_SG_EEES6_PlJNSB_9not_fun_tINSB_14equal_to_valueIyEEEEEEE10hipError_tPvRmT3_T4_T5_T6_T7_T9_mT8_P12ihipStream_tbDpT10_ENKUlT_T0_E_clISt17integral_constantIbLb1EES1B_EEDaS16_S17_EUlS16_E_NS1_11comp_targetILNS1_3genE8ELNS1_11target_archE1030ELNS1_3gpuE2ELNS1_3repE0EEENS1_30default_config_static_selectorELNS0_4arch9wavefront6targetE0EEEvT1_
	.globl	_ZN7rocprim17ROCPRIM_400000_NS6detail17trampoline_kernelINS0_14default_configENS1_25partition_config_selectorILNS1_17partition_subalgoE6EyNS0_10empty_typeEbEEZZNS1_14partition_implILS5_6ELb0ES3_mN6thrust23THRUST_200600_302600_NS6detail15normal_iteratorINSA_10device_ptrIyEEEEPS6_SG_NS0_5tupleIJNSA_16discard_iteratorINSA_11use_defaultEEES6_EEENSH_IJSG_SG_EEES6_PlJNSB_9not_fun_tINSB_14equal_to_valueIyEEEEEEE10hipError_tPvRmT3_T4_T5_T6_T7_T9_mT8_P12ihipStream_tbDpT10_ENKUlT_T0_E_clISt17integral_constantIbLb1EES1B_EEDaS16_S17_EUlS16_E_NS1_11comp_targetILNS1_3genE8ELNS1_11target_archE1030ELNS1_3gpuE2ELNS1_3repE0EEENS1_30default_config_static_selectorELNS0_4arch9wavefront6targetE0EEEvT1_
	.p2align	8
	.type	_ZN7rocprim17ROCPRIM_400000_NS6detail17trampoline_kernelINS0_14default_configENS1_25partition_config_selectorILNS1_17partition_subalgoE6EyNS0_10empty_typeEbEEZZNS1_14partition_implILS5_6ELb0ES3_mN6thrust23THRUST_200600_302600_NS6detail15normal_iteratorINSA_10device_ptrIyEEEEPS6_SG_NS0_5tupleIJNSA_16discard_iteratorINSA_11use_defaultEEES6_EEENSH_IJSG_SG_EEES6_PlJNSB_9not_fun_tINSB_14equal_to_valueIyEEEEEEE10hipError_tPvRmT3_T4_T5_T6_T7_T9_mT8_P12ihipStream_tbDpT10_ENKUlT_T0_E_clISt17integral_constantIbLb1EES1B_EEDaS16_S17_EUlS16_E_NS1_11comp_targetILNS1_3genE8ELNS1_11target_archE1030ELNS1_3gpuE2ELNS1_3repE0EEENS1_30default_config_static_selectorELNS0_4arch9wavefront6targetE0EEEvT1_,@function
_ZN7rocprim17ROCPRIM_400000_NS6detail17trampoline_kernelINS0_14default_configENS1_25partition_config_selectorILNS1_17partition_subalgoE6EyNS0_10empty_typeEbEEZZNS1_14partition_implILS5_6ELb0ES3_mN6thrust23THRUST_200600_302600_NS6detail15normal_iteratorINSA_10device_ptrIyEEEEPS6_SG_NS0_5tupleIJNSA_16discard_iteratorINSA_11use_defaultEEES6_EEENSH_IJSG_SG_EEES6_PlJNSB_9not_fun_tINSB_14equal_to_valueIyEEEEEEE10hipError_tPvRmT3_T4_T5_T6_T7_T9_mT8_P12ihipStream_tbDpT10_ENKUlT_T0_E_clISt17integral_constantIbLb1EES1B_EEDaS16_S17_EUlS16_E_NS1_11comp_targetILNS1_3genE8ELNS1_11target_archE1030ELNS1_3gpuE2ELNS1_3repE0EEENS1_30default_config_static_selectorELNS0_4arch9wavefront6targetE0EEEvT1_: ; @_ZN7rocprim17ROCPRIM_400000_NS6detail17trampoline_kernelINS0_14default_configENS1_25partition_config_selectorILNS1_17partition_subalgoE6EyNS0_10empty_typeEbEEZZNS1_14partition_implILS5_6ELb0ES3_mN6thrust23THRUST_200600_302600_NS6detail15normal_iteratorINSA_10device_ptrIyEEEEPS6_SG_NS0_5tupleIJNSA_16discard_iteratorINSA_11use_defaultEEES6_EEENSH_IJSG_SG_EEES6_PlJNSB_9not_fun_tINSB_14equal_to_valueIyEEEEEEE10hipError_tPvRmT3_T4_T5_T6_T7_T9_mT8_P12ihipStream_tbDpT10_ENKUlT_T0_E_clISt17integral_constantIbLb1EES1B_EEDaS16_S17_EUlS16_E_NS1_11comp_targetILNS1_3genE8ELNS1_11target_archE1030ELNS1_3gpuE2ELNS1_3repE0EEENS1_30default_config_static_selectorELNS0_4arch9wavefront6targetE0EEEvT1_
; %bb.0:
	.section	.rodata,"a",@progbits
	.p2align	6, 0x0
	.amdhsa_kernel _ZN7rocprim17ROCPRIM_400000_NS6detail17trampoline_kernelINS0_14default_configENS1_25partition_config_selectorILNS1_17partition_subalgoE6EyNS0_10empty_typeEbEEZZNS1_14partition_implILS5_6ELb0ES3_mN6thrust23THRUST_200600_302600_NS6detail15normal_iteratorINSA_10device_ptrIyEEEEPS6_SG_NS0_5tupleIJNSA_16discard_iteratorINSA_11use_defaultEEES6_EEENSH_IJSG_SG_EEES6_PlJNSB_9not_fun_tINSB_14equal_to_valueIyEEEEEEE10hipError_tPvRmT3_T4_T5_T6_T7_T9_mT8_P12ihipStream_tbDpT10_ENKUlT_T0_E_clISt17integral_constantIbLb1EES1B_EEDaS16_S17_EUlS16_E_NS1_11comp_targetILNS1_3genE8ELNS1_11target_archE1030ELNS1_3gpuE2ELNS1_3repE0EEENS1_30default_config_static_selectorELNS0_4arch9wavefront6targetE0EEEvT1_
		.amdhsa_group_segment_fixed_size 0
		.amdhsa_private_segment_fixed_size 0
		.amdhsa_kernarg_size 136
		.amdhsa_user_sgpr_count 2
		.amdhsa_user_sgpr_dispatch_ptr 0
		.amdhsa_user_sgpr_queue_ptr 0
		.amdhsa_user_sgpr_kernarg_segment_ptr 1
		.amdhsa_user_sgpr_dispatch_id 0
		.amdhsa_user_sgpr_private_segment_size 0
		.amdhsa_wavefront_size32 1
		.amdhsa_uses_dynamic_stack 0
		.amdhsa_enable_private_segment 0
		.amdhsa_system_sgpr_workgroup_id_x 1
		.amdhsa_system_sgpr_workgroup_id_y 0
		.amdhsa_system_sgpr_workgroup_id_z 0
		.amdhsa_system_sgpr_workgroup_info 0
		.amdhsa_system_vgpr_workitem_id 0
		.amdhsa_next_free_vgpr 1
		.amdhsa_next_free_sgpr 1
		.amdhsa_reserve_vcc 0
		.amdhsa_float_round_mode_32 0
		.amdhsa_float_round_mode_16_64 0
		.amdhsa_float_denorm_mode_32 3
		.amdhsa_float_denorm_mode_16_64 3
		.amdhsa_fp16_overflow 0
		.amdhsa_workgroup_processor_mode 1
		.amdhsa_memory_ordered 1
		.amdhsa_forward_progress 1
		.amdhsa_inst_pref_size 0
		.amdhsa_round_robin_scheduling 0
		.amdhsa_exception_fp_ieee_invalid_op 0
		.amdhsa_exception_fp_denorm_src 0
		.amdhsa_exception_fp_ieee_div_zero 0
		.amdhsa_exception_fp_ieee_overflow 0
		.amdhsa_exception_fp_ieee_underflow 0
		.amdhsa_exception_fp_ieee_inexact 0
		.amdhsa_exception_int_div_zero 0
	.end_amdhsa_kernel
	.section	.text._ZN7rocprim17ROCPRIM_400000_NS6detail17trampoline_kernelINS0_14default_configENS1_25partition_config_selectorILNS1_17partition_subalgoE6EyNS0_10empty_typeEbEEZZNS1_14partition_implILS5_6ELb0ES3_mN6thrust23THRUST_200600_302600_NS6detail15normal_iteratorINSA_10device_ptrIyEEEEPS6_SG_NS0_5tupleIJNSA_16discard_iteratorINSA_11use_defaultEEES6_EEENSH_IJSG_SG_EEES6_PlJNSB_9not_fun_tINSB_14equal_to_valueIyEEEEEEE10hipError_tPvRmT3_T4_T5_T6_T7_T9_mT8_P12ihipStream_tbDpT10_ENKUlT_T0_E_clISt17integral_constantIbLb1EES1B_EEDaS16_S17_EUlS16_E_NS1_11comp_targetILNS1_3genE8ELNS1_11target_archE1030ELNS1_3gpuE2ELNS1_3repE0EEENS1_30default_config_static_selectorELNS0_4arch9wavefront6targetE0EEEvT1_,"axG",@progbits,_ZN7rocprim17ROCPRIM_400000_NS6detail17trampoline_kernelINS0_14default_configENS1_25partition_config_selectorILNS1_17partition_subalgoE6EyNS0_10empty_typeEbEEZZNS1_14partition_implILS5_6ELb0ES3_mN6thrust23THRUST_200600_302600_NS6detail15normal_iteratorINSA_10device_ptrIyEEEEPS6_SG_NS0_5tupleIJNSA_16discard_iteratorINSA_11use_defaultEEES6_EEENSH_IJSG_SG_EEES6_PlJNSB_9not_fun_tINSB_14equal_to_valueIyEEEEEEE10hipError_tPvRmT3_T4_T5_T6_T7_T9_mT8_P12ihipStream_tbDpT10_ENKUlT_T0_E_clISt17integral_constantIbLb1EES1B_EEDaS16_S17_EUlS16_E_NS1_11comp_targetILNS1_3genE8ELNS1_11target_archE1030ELNS1_3gpuE2ELNS1_3repE0EEENS1_30default_config_static_selectorELNS0_4arch9wavefront6targetE0EEEvT1_,comdat
.Lfunc_end1644:
	.size	_ZN7rocprim17ROCPRIM_400000_NS6detail17trampoline_kernelINS0_14default_configENS1_25partition_config_selectorILNS1_17partition_subalgoE6EyNS0_10empty_typeEbEEZZNS1_14partition_implILS5_6ELb0ES3_mN6thrust23THRUST_200600_302600_NS6detail15normal_iteratorINSA_10device_ptrIyEEEEPS6_SG_NS0_5tupleIJNSA_16discard_iteratorINSA_11use_defaultEEES6_EEENSH_IJSG_SG_EEES6_PlJNSB_9not_fun_tINSB_14equal_to_valueIyEEEEEEE10hipError_tPvRmT3_T4_T5_T6_T7_T9_mT8_P12ihipStream_tbDpT10_ENKUlT_T0_E_clISt17integral_constantIbLb1EES1B_EEDaS16_S17_EUlS16_E_NS1_11comp_targetILNS1_3genE8ELNS1_11target_archE1030ELNS1_3gpuE2ELNS1_3repE0EEENS1_30default_config_static_selectorELNS0_4arch9wavefront6targetE0EEEvT1_, .Lfunc_end1644-_ZN7rocprim17ROCPRIM_400000_NS6detail17trampoline_kernelINS0_14default_configENS1_25partition_config_selectorILNS1_17partition_subalgoE6EyNS0_10empty_typeEbEEZZNS1_14partition_implILS5_6ELb0ES3_mN6thrust23THRUST_200600_302600_NS6detail15normal_iteratorINSA_10device_ptrIyEEEEPS6_SG_NS0_5tupleIJNSA_16discard_iteratorINSA_11use_defaultEEES6_EEENSH_IJSG_SG_EEES6_PlJNSB_9not_fun_tINSB_14equal_to_valueIyEEEEEEE10hipError_tPvRmT3_T4_T5_T6_T7_T9_mT8_P12ihipStream_tbDpT10_ENKUlT_T0_E_clISt17integral_constantIbLb1EES1B_EEDaS16_S17_EUlS16_E_NS1_11comp_targetILNS1_3genE8ELNS1_11target_archE1030ELNS1_3gpuE2ELNS1_3repE0EEENS1_30default_config_static_selectorELNS0_4arch9wavefront6targetE0EEEvT1_
                                        ; -- End function
	.set _ZN7rocprim17ROCPRIM_400000_NS6detail17trampoline_kernelINS0_14default_configENS1_25partition_config_selectorILNS1_17partition_subalgoE6EyNS0_10empty_typeEbEEZZNS1_14partition_implILS5_6ELb0ES3_mN6thrust23THRUST_200600_302600_NS6detail15normal_iteratorINSA_10device_ptrIyEEEEPS6_SG_NS0_5tupleIJNSA_16discard_iteratorINSA_11use_defaultEEES6_EEENSH_IJSG_SG_EEES6_PlJNSB_9not_fun_tINSB_14equal_to_valueIyEEEEEEE10hipError_tPvRmT3_T4_T5_T6_T7_T9_mT8_P12ihipStream_tbDpT10_ENKUlT_T0_E_clISt17integral_constantIbLb1EES1B_EEDaS16_S17_EUlS16_E_NS1_11comp_targetILNS1_3genE8ELNS1_11target_archE1030ELNS1_3gpuE2ELNS1_3repE0EEENS1_30default_config_static_selectorELNS0_4arch9wavefront6targetE0EEEvT1_.num_vgpr, 0
	.set _ZN7rocprim17ROCPRIM_400000_NS6detail17trampoline_kernelINS0_14default_configENS1_25partition_config_selectorILNS1_17partition_subalgoE6EyNS0_10empty_typeEbEEZZNS1_14partition_implILS5_6ELb0ES3_mN6thrust23THRUST_200600_302600_NS6detail15normal_iteratorINSA_10device_ptrIyEEEEPS6_SG_NS0_5tupleIJNSA_16discard_iteratorINSA_11use_defaultEEES6_EEENSH_IJSG_SG_EEES6_PlJNSB_9not_fun_tINSB_14equal_to_valueIyEEEEEEE10hipError_tPvRmT3_T4_T5_T6_T7_T9_mT8_P12ihipStream_tbDpT10_ENKUlT_T0_E_clISt17integral_constantIbLb1EES1B_EEDaS16_S17_EUlS16_E_NS1_11comp_targetILNS1_3genE8ELNS1_11target_archE1030ELNS1_3gpuE2ELNS1_3repE0EEENS1_30default_config_static_selectorELNS0_4arch9wavefront6targetE0EEEvT1_.num_agpr, 0
	.set _ZN7rocprim17ROCPRIM_400000_NS6detail17trampoline_kernelINS0_14default_configENS1_25partition_config_selectorILNS1_17partition_subalgoE6EyNS0_10empty_typeEbEEZZNS1_14partition_implILS5_6ELb0ES3_mN6thrust23THRUST_200600_302600_NS6detail15normal_iteratorINSA_10device_ptrIyEEEEPS6_SG_NS0_5tupleIJNSA_16discard_iteratorINSA_11use_defaultEEES6_EEENSH_IJSG_SG_EEES6_PlJNSB_9not_fun_tINSB_14equal_to_valueIyEEEEEEE10hipError_tPvRmT3_T4_T5_T6_T7_T9_mT8_P12ihipStream_tbDpT10_ENKUlT_T0_E_clISt17integral_constantIbLb1EES1B_EEDaS16_S17_EUlS16_E_NS1_11comp_targetILNS1_3genE8ELNS1_11target_archE1030ELNS1_3gpuE2ELNS1_3repE0EEENS1_30default_config_static_selectorELNS0_4arch9wavefront6targetE0EEEvT1_.numbered_sgpr, 0
	.set _ZN7rocprim17ROCPRIM_400000_NS6detail17trampoline_kernelINS0_14default_configENS1_25partition_config_selectorILNS1_17partition_subalgoE6EyNS0_10empty_typeEbEEZZNS1_14partition_implILS5_6ELb0ES3_mN6thrust23THRUST_200600_302600_NS6detail15normal_iteratorINSA_10device_ptrIyEEEEPS6_SG_NS0_5tupleIJNSA_16discard_iteratorINSA_11use_defaultEEES6_EEENSH_IJSG_SG_EEES6_PlJNSB_9not_fun_tINSB_14equal_to_valueIyEEEEEEE10hipError_tPvRmT3_T4_T5_T6_T7_T9_mT8_P12ihipStream_tbDpT10_ENKUlT_T0_E_clISt17integral_constantIbLb1EES1B_EEDaS16_S17_EUlS16_E_NS1_11comp_targetILNS1_3genE8ELNS1_11target_archE1030ELNS1_3gpuE2ELNS1_3repE0EEENS1_30default_config_static_selectorELNS0_4arch9wavefront6targetE0EEEvT1_.num_named_barrier, 0
	.set _ZN7rocprim17ROCPRIM_400000_NS6detail17trampoline_kernelINS0_14default_configENS1_25partition_config_selectorILNS1_17partition_subalgoE6EyNS0_10empty_typeEbEEZZNS1_14partition_implILS5_6ELb0ES3_mN6thrust23THRUST_200600_302600_NS6detail15normal_iteratorINSA_10device_ptrIyEEEEPS6_SG_NS0_5tupleIJNSA_16discard_iteratorINSA_11use_defaultEEES6_EEENSH_IJSG_SG_EEES6_PlJNSB_9not_fun_tINSB_14equal_to_valueIyEEEEEEE10hipError_tPvRmT3_T4_T5_T6_T7_T9_mT8_P12ihipStream_tbDpT10_ENKUlT_T0_E_clISt17integral_constantIbLb1EES1B_EEDaS16_S17_EUlS16_E_NS1_11comp_targetILNS1_3genE8ELNS1_11target_archE1030ELNS1_3gpuE2ELNS1_3repE0EEENS1_30default_config_static_selectorELNS0_4arch9wavefront6targetE0EEEvT1_.private_seg_size, 0
	.set _ZN7rocprim17ROCPRIM_400000_NS6detail17trampoline_kernelINS0_14default_configENS1_25partition_config_selectorILNS1_17partition_subalgoE6EyNS0_10empty_typeEbEEZZNS1_14partition_implILS5_6ELb0ES3_mN6thrust23THRUST_200600_302600_NS6detail15normal_iteratorINSA_10device_ptrIyEEEEPS6_SG_NS0_5tupleIJNSA_16discard_iteratorINSA_11use_defaultEEES6_EEENSH_IJSG_SG_EEES6_PlJNSB_9not_fun_tINSB_14equal_to_valueIyEEEEEEE10hipError_tPvRmT3_T4_T5_T6_T7_T9_mT8_P12ihipStream_tbDpT10_ENKUlT_T0_E_clISt17integral_constantIbLb1EES1B_EEDaS16_S17_EUlS16_E_NS1_11comp_targetILNS1_3genE8ELNS1_11target_archE1030ELNS1_3gpuE2ELNS1_3repE0EEENS1_30default_config_static_selectorELNS0_4arch9wavefront6targetE0EEEvT1_.uses_vcc, 0
	.set _ZN7rocprim17ROCPRIM_400000_NS6detail17trampoline_kernelINS0_14default_configENS1_25partition_config_selectorILNS1_17partition_subalgoE6EyNS0_10empty_typeEbEEZZNS1_14partition_implILS5_6ELb0ES3_mN6thrust23THRUST_200600_302600_NS6detail15normal_iteratorINSA_10device_ptrIyEEEEPS6_SG_NS0_5tupleIJNSA_16discard_iteratorINSA_11use_defaultEEES6_EEENSH_IJSG_SG_EEES6_PlJNSB_9not_fun_tINSB_14equal_to_valueIyEEEEEEE10hipError_tPvRmT3_T4_T5_T6_T7_T9_mT8_P12ihipStream_tbDpT10_ENKUlT_T0_E_clISt17integral_constantIbLb1EES1B_EEDaS16_S17_EUlS16_E_NS1_11comp_targetILNS1_3genE8ELNS1_11target_archE1030ELNS1_3gpuE2ELNS1_3repE0EEENS1_30default_config_static_selectorELNS0_4arch9wavefront6targetE0EEEvT1_.uses_flat_scratch, 0
	.set _ZN7rocprim17ROCPRIM_400000_NS6detail17trampoline_kernelINS0_14default_configENS1_25partition_config_selectorILNS1_17partition_subalgoE6EyNS0_10empty_typeEbEEZZNS1_14partition_implILS5_6ELb0ES3_mN6thrust23THRUST_200600_302600_NS6detail15normal_iteratorINSA_10device_ptrIyEEEEPS6_SG_NS0_5tupleIJNSA_16discard_iteratorINSA_11use_defaultEEES6_EEENSH_IJSG_SG_EEES6_PlJNSB_9not_fun_tINSB_14equal_to_valueIyEEEEEEE10hipError_tPvRmT3_T4_T5_T6_T7_T9_mT8_P12ihipStream_tbDpT10_ENKUlT_T0_E_clISt17integral_constantIbLb1EES1B_EEDaS16_S17_EUlS16_E_NS1_11comp_targetILNS1_3genE8ELNS1_11target_archE1030ELNS1_3gpuE2ELNS1_3repE0EEENS1_30default_config_static_selectorELNS0_4arch9wavefront6targetE0EEEvT1_.has_dyn_sized_stack, 0
	.set _ZN7rocprim17ROCPRIM_400000_NS6detail17trampoline_kernelINS0_14default_configENS1_25partition_config_selectorILNS1_17partition_subalgoE6EyNS0_10empty_typeEbEEZZNS1_14partition_implILS5_6ELb0ES3_mN6thrust23THRUST_200600_302600_NS6detail15normal_iteratorINSA_10device_ptrIyEEEEPS6_SG_NS0_5tupleIJNSA_16discard_iteratorINSA_11use_defaultEEES6_EEENSH_IJSG_SG_EEES6_PlJNSB_9not_fun_tINSB_14equal_to_valueIyEEEEEEE10hipError_tPvRmT3_T4_T5_T6_T7_T9_mT8_P12ihipStream_tbDpT10_ENKUlT_T0_E_clISt17integral_constantIbLb1EES1B_EEDaS16_S17_EUlS16_E_NS1_11comp_targetILNS1_3genE8ELNS1_11target_archE1030ELNS1_3gpuE2ELNS1_3repE0EEENS1_30default_config_static_selectorELNS0_4arch9wavefront6targetE0EEEvT1_.has_recursion, 0
	.set _ZN7rocprim17ROCPRIM_400000_NS6detail17trampoline_kernelINS0_14default_configENS1_25partition_config_selectorILNS1_17partition_subalgoE6EyNS0_10empty_typeEbEEZZNS1_14partition_implILS5_6ELb0ES3_mN6thrust23THRUST_200600_302600_NS6detail15normal_iteratorINSA_10device_ptrIyEEEEPS6_SG_NS0_5tupleIJNSA_16discard_iteratorINSA_11use_defaultEEES6_EEENSH_IJSG_SG_EEES6_PlJNSB_9not_fun_tINSB_14equal_to_valueIyEEEEEEE10hipError_tPvRmT3_T4_T5_T6_T7_T9_mT8_P12ihipStream_tbDpT10_ENKUlT_T0_E_clISt17integral_constantIbLb1EES1B_EEDaS16_S17_EUlS16_E_NS1_11comp_targetILNS1_3genE8ELNS1_11target_archE1030ELNS1_3gpuE2ELNS1_3repE0EEENS1_30default_config_static_selectorELNS0_4arch9wavefront6targetE0EEEvT1_.has_indirect_call, 0
	.section	.AMDGPU.csdata,"",@progbits
; Kernel info:
; codeLenInByte = 0
; TotalNumSgprs: 0
; NumVgprs: 0
; ScratchSize: 0
; MemoryBound: 0
; FloatMode: 240
; IeeeMode: 1
; LDSByteSize: 0 bytes/workgroup (compile time only)
; SGPRBlocks: 0
; VGPRBlocks: 0
; NumSGPRsForWavesPerEU: 1
; NumVGPRsForWavesPerEU: 1
; Occupancy: 16
; WaveLimiterHint : 0
; COMPUTE_PGM_RSRC2:SCRATCH_EN: 0
; COMPUTE_PGM_RSRC2:USER_SGPR: 2
; COMPUTE_PGM_RSRC2:TRAP_HANDLER: 0
; COMPUTE_PGM_RSRC2:TGID_X_EN: 1
; COMPUTE_PGM_RSRC2:TGID_Y_EN: 0
; COMPUTE_PGM_RSRC2:TGID_Z_EN: 0
; COMPUTE_PGM_RSRC2:TIDIG_COMP_CNT: 0
	.section	.text._ZN7rocprim17ROCPRIM_400000_NS6detail17trampoline_kernelINS0_14default_configENS1_25partition_config_selectorILNS1_17partition_subalgoE6EyNS0_10empty_typeEbEEZZNS1_14partition_implILS5_6ELb0ES3_mN6thrust23THRUST_200600_302600_NS6detail15normal_iteratorINSA_10device_ptrIyEEEEPS6_SG_NS0_5tupleIJNSA_16discard_iteratorINSA_11use_defaultEEES6_EEENSH_IJSG_SG_EEES6_PlJNSB_9not_fun_tINSB_14equal_to_valueIyEEEEEEE10hipError_tPvRmT3_T4_T5_T6_T7_T9_mT8_P12ihipStream_tbDpT10_ENKUlT_T0_E_clISt17integral_constantIbLb1EES1A_IbLb0EEEEDaS16_S17_EUlS16_E_NS1_11comp_targetILNS1_3genE0ELNS1_11target_archE4294967295ELNS1_3gpuE0ELNS1_3repE0EEENS1_30default_config_static_selectorELNS0_4arch9wavefront6targetE0EEEvT1_,"axG",@progbits,_ZN7rocprim17ROCPRIM_400000_NS6detail17trampoline_kernelINS0_14default_configENS1_25partition_config_selectorILNS1_17partition_subalgoE6EyNS0_10empty_typeEbEEZZNS1_14partition_implILS5_6ELb0ES3_mN6thrust23THRUST_200600_302600_NS6detail15normal_iteratorINSA_10device_ptrIyEEEEPS6_SG_NS0_5tupleIJNSA_16discard_iteratorINSA_11use_defaultEEES6_EEENSH_IJSG_SG_EEES6_PlJNSB_9not_fun_tINSB_14equal_to_valueIyEEEEEEE10hipError_tPvRmT3_T4_T5_T6_T7_T9_mT8_P12ihipStream_tbDpT10_ENKUlT_T0_E_clISt17integral_constantIbLb1EES1A_IbLb0EEEEDaS16_S17_EUlS16_E_NS1_11comp_targetILNS1_3genE0ELNS1_11target_archE4294967295ELNS1_3gpuE0ELNS1_3repE0EEENS1_30default_config_static_selectorELNS0_4arch9wavefront6targetE0EEEvT1_,comdat
	.protected	_ZN7rocprim17ROCPRIM_400000_NS6detail17trampoline_kernelINS0_14default_configENS1_25partition_config_selectorILNS1_17partition_subalgoE6EyNS0_10empty_typeEbEEZZNS1_14partition_implILS5_6ELb0ES3_mN6thrust23THRUST_200600_302600_NS6detail15normal_iteratorINSA_10device_ptrIyEEEEPS6_SG_NS0_5tupleIJNSA_16discard_iteratorINSA_11use_defaultEEES6_EEENSH_IJSG_SG_EEES6_PlJNSB_9not_fun_tINSB_14equal_to_valueIyEEEEEEE10hipError_tPvRmT3_T4_T5_T6_T7_T9_mT8_P12ihipStream_tbDpT10_ENKUlT_T0_E_clISt17integral_constantIbLb1EES1A_IbLb0EEEEDaS16_S17_EUlS16_E_NS1_11comp_targetILNS1_3genE0ELNS1_11target_archE4294967295ELNS1_3gpuE0ELNS1_3repE0EEENS1_30default_config_static_selectorELNS0_4arch9wavefront6targetE0EEEvT1_ ; -- Begin function _ZN7rocprim17ROCPRIM_400000_NS6detail17trampoline_kernelINS0_14default_configENS1_25partition_config_selectorILNS1_17partition_subalgoE6EyNS0_10empty_typeEbEEZZNS1_14partition_implILS5_6ELb0ES3_mN6thrust23THRUST_200600_302600_NS6detail15normal_iteratorINSA_10device_ptrIyEEEEPS6_SG_NS0_5tupleIJNSA_16discard_iteratorINSA_11use_defaultEEES6_EEENSH_IJSG_SG_EEES6_PlJNSB_9not_fun_tINSB_14equal_to_valueIyEEEEEEE10hipError_tPvRmT3_T4_T5_T6_T7_T9_mT8_P12ihipStream_tbDpT10_ENKUlT_T0_E_clISt17integral_constantIbLb1EES1A_IbLb0EEEEDaS16_S17_EUlS16_E_NS1_11comp_targetILNS1_3genE0ELNS1_11target_archE4294967295ELNS1_3gpuE0ELNS1_3repE0EEENS1_30default_config_static_selectorELNS0_4arch9wavefront6targetE0EEEvT1_
	.globl	_ZN7rocprim17ROCPRIM_400000_NS6detail17trampoline_kernelINS0_14default_configENS1_25partition_config_selectorILNS1_17partition_subalgoE6EyNS0_10empty_typeEbEEZZNS1_14partition_implILS5_6ELb0ES3_mN6thrust23THRUST_200600_302600_NS6detail15normal_iteratorINSA_10device_ptrIyEEEEPS6_SG_NS0_5tupleIJNSA_16discard_iteratorINSA_11use_defaultEEES6_EEENSH_IJSG_SG_EEES6_PlJNSB_9not_fun_tINSB_14equal_to_valueIyEEEEEEE10hipError_tPvRmT3_T4_T5_T6_T7_T9_mT8_P12ihipStream_tbDpT10_ENKUlT_T0_E_clISt17integral_constantIbLb1EES1A_IbLb0EEEEDaS16_S17_EUlS16_E_NS1_11comp_targetILNS1_3genE0ELNS1_11target_archE4294967295ELNS1_3gpuE0ELNS1_3repE0EEENS1_30default_config_static_selectorELNS0_4arch9wavefront6targetE0EEEvT1_
	.p2align	8
	.type	_ZN7rocprim17ROCPRIM_400000_NS6detail17trampoline_kernelINS0_14default_configENS1_25partition_config_selectorILNS1_17partition_subalgoE6EyNS0_10empty_typeEbEEZZNS1_14partition_implILS5_6ELb0ES3_mN6thrust23THRUST_200600_302600_NS6detail15normal_iteratorINSA_10device_ptrIyEEEEPS6_SG_NS0_5tupleIJNSA_16discard_iteratorINSA_11use_defaultEEES6_EEENSH_IJSG_SG_EEES6_PlJNSB_9not_fun_tINSB_14equal_to_valueIyEEEEEEE10hipError_tPvRmT3_T4_T5_T6_T7_T9_mT8_P12ihipStream_tbDpT10_ENKUlT_T0_E_clISt17integral_constantIbLb1EES1A_IbLb0EEEEDaS16_S17_EUlS16_E_NS1_11comp_targetILNS1_3genE0ELNS1_11target_archE4294967295ELNS1_3gpuE0ELNS1_3repE0EEENS1_30default_config_static_selectorELNS0_4arch9wavefront6targetE0EEEvT1_,@function
_ZN7rocprim17ROCPRIM_400000_NS6detail17trampoline_kernelINS0_14default_configENS1_25partition_config_selectorILNS1_17partition_subalgoE6EyNS0_10empty_typeEbEEZZNS1_14partition_implILS5_6ELb0ES3_mN6thrust23THRUST_200600_302600_NS6detail15normal_iteratorINSA_10device_ptrIyEEEEPS6_SG_NS0_5tupleIJNSA_16discard_iteratorINSA_11use_defaultEEES6_EEENSH_IJSG_SG_EEES6_PlJNSB_9not_fun_tINSB_14equal_to_valueIyEEEEEEE10hipError_tPvRmT3_T4_T5_T6_T7_T9_mT8_P12ihipStream_tbDpT10_ENKUlT_T0_E_clISt17integral_constantIbLb1EES1A_IbLb0EEEEDaS16_S17_EUlS16_E_NS1_11comp_targetILNS1_3genE0ELNS1_11target_archE4294967295ELNS1_3gpuE0ELNS1_3repE0EEENS1_30default_config_static_selectorELNS0_4arch9wavefront6targetE0EEEvT1_: ; @_ZN7rocprim17ROCPRIM_400000_NS6detail17trampoline_kernelINS0_14default_configENS1_25partition_config_selectorILNS1_17partition_subalgoE6EyNS0_10empty_typeEbEEZZNS1_14partition_implILS5_6ELb0ES3_mN6thrust23THRUST_200600_302600_NS6detail15normal_iteratorINSA_10device_ptrIyEEEEPS6_SG_NS0_5tupleIJNSA_16discard_iteratorINSA_11use_defaultEEES6_EEENSH_IJSG_SG_EEES6_PlJNSB_9not_fun_tINSB_14equal_to_valueIyEEEEEEE10hipError_tPvRmT3_T4_T5_T6_T7_T9_mT8_P12ihipStream_tbDpT10_ENKUlT_T0_E_clISt17integral_constantIbLb1EES1A_IbLb0EEEEDaS16_S17_EUlS16_E_NS1_11comp_targetILNS1_3genE0ELNS1_11target_archE4294967295ELNS1_3gpuE0ELNS1_3repE0EEENS1_30default_config_static_selectorELNS0_4arch9wavefront6targetE0EEEvT1_
; %bb.0:
	.section	.rodata,"a",@progbits
	.p2align	6, 0x0
	.amdhsa_kernel _ZN7rocprim17ROCPRIM_400000_NS6detail17trampoline_kernelINS0_14default_configENS1_25partition_config_selectorILNS1_17partition_subalgoE6EyNS0_10empty_typeEbEEZZNS1_14partition_implILS5_6ELb0ES3_mN6thrust23THRUST_200600_302600_NS6detail15normal_iteratorINSA_10device_ptrIyEEEEPS6_SG_NS0_5tupleIJNSA_16discard_iteratorINSA_11use_defaultEEES6_EEENSH_IJSG_SG_EEES6_PlJNSB_9not_fun_tINSB_14equal_to_valueIyEEEEEEE10hipError_tPvRmT3_T4_T5_T6_T7_T9_mT8_P12ihipStream_tbDpT10_ENKUlT_T0_E_clISt17integral_constantIbLb1EES1A_IbLb0EEEEDaS16_S17_EUlS16_E_NS1_11comp_targetILNS1_3genE0ELNS1_11target_archE4294967295ELNS1_3gpuE0ELNS1_3repE0EEENS1_30default_config_static_selectorELNS0_4arch9wavefront6targetE0EEEvT1_
		.amdhsa_group_segment_fixed_size 0
		.amdhsa_private_segment_fixed_size 0
		.amdhsa_kernarg_size 128
		.amdhsa_user_sgpr_count 2
		.amdhsa_user_sgpr_dispatch_ptr 0
		.amdhsa_user_sgpr_queue_ptr 0
		.amdhsa_user_sgpr_kernarg_segment_ptr 1
		.amdhsa_user_sgpr_dispatch_id 0
		.amdhsa_user_sgpr_private_segment_size 0
		.amdhsa_wavefront_size32 1
		.amdhsa_uses_dynamic_stack 0
		.amdhsa_enable_private_segment 0
		.amdhsa_system_sgpr_workgroup_id_x 1
		.amdhsa_system_sgpr_workgroup_id_y 0
		.amdhsa_system_sgpr_workgroup_id_z 0
		.amdhsa_system_sgpr_workgroup_info 0
		.amdhsa_system_vgpr_workitem_id 0
		.amdhsa_next_free_vgpr 1
		.amdhsa_next_free_sgpr 1
		.amdhsa_reserve_vcc 0
		.amdhsa_float_round_mode_32 0
		.amdhsa_float_round_mode_16_64 0
		.amdhsa_float_denorm_mode_32 3
		.amdhsa_float_denorm_mode_16_64 3
		.amdhsa_fp16_overflow 0
		.amdhsa_workgroup_processor_mode 1
		.amdhsa_memory_ordered 1
		.amdhsa_forward_progress 1
		.amdhsa_inst_pref_size 0
		.amdhsa_round_robin_scheduling 0
		.amdhsa_exception_fp_ieee_invalid_op 0
		.amdhsa_exception_fp_denorm_src 0
		.amdhsa_exception_fp_ieee_div_zero 0
		.amdhsa_exception_fp_ieee_overflow 0
		.amdhsa_exception_fp_ieee_underflow 0
		.amdhsa_exception_fp_ieee_inexact 0
		.amdhsa_exception_int_div_zero 0
	.end_amdhsa_kernel
	.section	.text._ZN7rocprim17ROCPRIM_400000_NS6detail17trampoline_kernelINS0_14default_configENS1_25partition_config_selectorILNS1_17partition_subalgoE6EyNS0_10empty_typeEbEEZZNS1_14partition_implILS5_6ELb0ES3_mN6thrust23THRUST_200600_302600_NS6detail15normal_iteratorINSA_10device_ptrIyEEEEPS6_SG_NS0_5tupleIJNSA_16discard_iteratorINSA_11use_defaultEEES6_EEENSH_IJSG_SG_EEES6_PlJNSB_9not_fun_tINSB_14equal_to_valueIyEEEEEEE10hipError_tPvRmT3_T4_T5_T6_T7_T9_mT8_P12ihipStream_tbDpT10_ENKUlT_T0_E_clISt17integral_constantIbLb1EES1A_IbLb0EEEEDaS16_S17_EUlS16_E_NS1_11comp_targetILNS1_3genE0ELNS1_11target_archE4294967295ELNS1_3gpuE0ELNS1_3repE0EEENS1_30default_config_static_selectorELNS0_4arch9wavefront6targetE0EEEvT1_,"axG",@progbits,_ZN7rocprim17ROCPRIM_400000_NS6detail17trampoline_kernelINS0_14default_configENS1_25partition_config_selectorILNS1_17partition_subalgoE6EyNS0_10empty_typeEbEEZZNS1_14partition_implILS5_6ELb0ES3_mN6thrust23THRUST_200600_302600_NS6detail15normal_iteratorINSA_10device_ptrIyEEEEPS6_SG_NS0_5tupleIJNSA_16discard_iteratorINSA_11use_defaultEEES6_EEENSH_IJSG_SG_EEES6_PlJNSB_9not_fun_tINSB_14equal_to_valueIyEEEEEEE10hipError_tPvRmT3_T4_T5_T6_T7_T9_mT8_P12ihipStream_tbDpT10_ENKUlT_T0_E_clISt17integral_constantIbLb1EES1A_IbLb0EEEEDaS16_S17_EUlS16_E_NS1_11comp_targetILNS1_3genE0ELNS1_11target_archE4294967295ELNS1_3gpuE0ELNS1_3repE0EEENS1_30default_config_static_selectorELNS0_4arch9wavefront6targetE0EEEvT1_,comdat
.Lfunc_end1645:
	.size	_ZN7rocprim17ROCPRIM_400000_NS6detail17trampoline_kernelINS0_14default_configENS1_25partition_config_selectorILNS1_17partition_subalgoE6EyNS0_10empty_typeEbEEZZNS1_14partition_implILS5_6ELb0ES3_mN6thrust23THRUST_200600_302600_NS6detail15normal_iteratorINSA_10device_ptrIyEEEEPS6_SG_NS0_5tupleIJNSA_16discard_iteratorINSA_11use_defaultEEES6_EEENSH_IJSG_SG_EEES6_PlJNSB_9not_fun_tINSB_14equal_to_valueIyEEEEEEE10hipError_tPvRmT3_T4_T5_T6_T7_T9_mT8_P12ihipStream_tbDpT10_ENKUlT_T0_E_clISt17integral_constantIbLb1EES1A_IbLb0EEEEDaS16_S17_EUlS16_E_NS1_11comp_targetILNS1_3genE0ELNS1_11target_archE4294967295ELNS1_3gpuE0ELNS1_3repE0EEENS1_30default_config_static_selectorELNS0_4arch9wavefront6targetE0EEEvT1_, .Lfunc_end1645-_ZN7rocprim17ROCPRIM_400000_NS6detail17trampoline_kernelINS0_14default_configENS1_25partition_config_selectorILNS1_17partition_subalgoE6EyNS0_10empty_typeEbEEZZNS1_14partition_implILS5_6ELb0ES3_mN6thrust23THRUST_200600_302600_NS6detail15normal_iteratorINSA_10device_ptrIyEEEEPS6_SG_NS0_5tupleIJNSA_16discard_iteratorINSA_11use_defaultEEES6_EEENSH_IJSG_SG_EEES6_PlJNSB_9not_fun_tINSB_14equal_to_valueIyEEEEEEE10hipError_tPvRmT3_T4_T5_T6_T7_T9_mT8_P12ihipStream_tbDpT10_ENKUlT_T0_E_clISt17integral_constantIbLb1EES1A_IbLb0EEEEDaS16_S17_EUlS16_E_NS1_11comp_targetILNS1_3genE0ELNS1_11target_archE4294967295ELNS1_3gpuE0ELNS1_3repE0EEENS1_30default_config_static_selectorELNS0_4arch9wavefront6targetE0EEEvT1_
                                        ; -- End function
	.set _ZN7rocprim17ROCPRIM_400000_NS6detail17trampoline_kernelINS0_14default_configENS1_25partition_config_selectorILNS1_17partition_subalgoE6EyNS0_10empty_typeEbEEZZNS1_14partition_implILS5_6ELb0ES3_mN6thrust23THRUST_200600_302600_NS6detail15normal_iteratorINSA_10device_ptrIyEEEEPS6_SG_NS0_5tupleIJNSA_16discard_iteratorINSA_11use_defaultEEES6_EEENSH_IJSG_SG_EEES6_PlJNSB_9not_fun_tINSB_14equal_to_valueIyEEEEEEE10hipError_tPvRmT3_T4_T5_T6_T7_T9_mT8_P12ihipStream_tbDpT10_ENKUlT_T0_E_clISt17integral_constantIbLb1EES1A_IbLb0EEEEDaS16_S17_EUlS16_E_NS1_11comp_targetILNS1_3genE0ELNS1_11target_archE4294967295ELNS1_3gpuE0ELNS1_3repE0EEENS1_30default_config_static_selectorELNS0_4arch9wavefront6targetE0EEEvT1_.num_vgpr, 0
	.set _ZN7rocprim17ROCPRIM_400000_NS6detail17trampoline_kernelINS0_14default_configENS1_25partition_config_selectorILNS1_17partition_subalgoE6EyNS0_10empty_typeEbEEZZNS1_14partition_implILS5_6ELb0ES3_mN6thrust23THRUST_200600_302600_NS6detail15normal_iteratorINSA_10device_ptrIyEEEEPS6_SG_NS0_5tupleIJNSA_16discard_iteratorINSA_11use_defaultEEES6_EEENSH_IJSG_SG_EEES6_PlJNSB_9not_fun_tINSB_14equal_to_valueIyEEEEEEE10hipError_tPvRmT3_T4_T5_T6_T7_T9_mT8_P12ihipStream_tbDpT10_ENKUlT_T0_E_clISt17integral_constantIbLb1EES1A_IbLb0EEEEDaS16_S17_EUlS16_E_NS1_11comp_targetILNS1_3genE0ELNS1_11target_archE4294967295ELNS1_3gpuE0ELNS1_3repE0EEENS1_30default_config_static_selectorELNS0_4arch9wavefront6targetE0EEEvT1_.num_agpr, 0
	.set _ZN7rocprim17ROCPRIM_400000_NS6detail17trampoline_kernelINS0_14default_configENS1_25partition_config_selectorILNS1_17partition_subalgoE6EyNS0_10empty_typeEbEEZZNS1_14partition_implILS5_6ELb0ES3_mN6thrust23THRUST_200600_302600_NS6detail15normal_iteratorINSA_10device_ptrIyEEEEPS6_SG_NS0_5tupleIJNSA_16discard_iteratorINSA_11use_defaultEEES6_EEENSH_IJSG_SG_EEES6_PlJNSB_9not_fun_tINSB_14equal_to_valueIyEEEEEEE10hipError_tPvRmT3_T4_T5_T6_T7_T9_mT8_P12ihipStream_tbDpT10_ENKUlT_T0_E_clISt17integral_constantIbLb1EES1A_IbLb0EEEEDaS16_S17_EUlS16_E_NS1_11comp_targetILNS1_3genE0ELNS1_11target_archE4294967295ELNS1_3gpuE0ELNS1_3repE0EEENS1_30default_config_static_selectorELNS0_4arch9wavefront6targetE0EEEvT1_.numbered_sgpr, 0
	.set _ZN7rocprim17ROCPRIM_400000_NS6detail17trampoline_kernelINS0_14default_configENS1_25partition_config_selectorILNS1_17partition_subalgoE6EyNS0_10empty_typeEbEEZZNS1_14partition_implILS5_6ELb0ES3_mN6thrust23THRUST_200600_302600_NS6detail15normal_iteratorINSA_10device_ptrIyEEEEPS6_SG_NS0_5tupleIJNSA_16discard_iteratorINSA_11use_defaultEEES6_EEENSH_IJSG_SG_EEES6_PlJNSB_9not_fun_tINSB_14equal_to_valueIyEEEEEEE10hipError_tPvRmT3_T4_T5_T6_T7_T9_mT8_P12ihipStream_tbDpT10_ENKUlT_T0_E_clISt17integral_constantIbLb1EES1A_IbLb0EEEEDaS16_S17_EUlS16_E_NS1_11comp_targetILNS1_3genE0ELNS1_11target_archE4294967295ELNS1_3gpuE0ELNS1_3repE0EEENS1_30default_config_static_selectorELNS0_4arch9wavefront6targetE0EEEvT1_.num_named_barrier, 0
	.set _ZN7rocprim17ROCPRIM_400000_NS6detail17trampoline_kernelINS0_14default_configENS1_25partition_config_selectorILNS1_17partition_subalgoE6EyNS0_10empty_typeEbEEZZNS1_14partition_implILS5_6ELb0ES3_mN6thrust23THRUST_200600_302600_NS6detail15normal_iteratorINSA_10device_ptrIyEEEEPS6_SG_NS0_5tupleIJNSA_16discard_iteratorINSA_11use_defaultEEES6_EEENSH_IJSG_SG_EEES6_PlJNSB_9not_fun_tINSB_14equal_to_valueIyEEEEEEE10hipError_tPvRmT3_T4_T5_T6_T7_T9_mT8_P12ihipStream_tbDpT10_ENKUlT_T0_E_clISt17integral_constantIbLb1EES1A_IbLb0EEEEDaS16_S17_EUlS16_E_NS1_11comp_targetILNS1_3genE0ELNS1_11target_archE4294967295ELNS1_3gpuE0ELNS1_3repE0EEENS1_30default_config_static_selectorELNS0_4arch9wavefront6targetE0EEEvT1_.private_seg_size, 0
	.set _ZN7rocprim17ROCPRIM_400000_NS6detail17trampoline_kernelINS0_14default_configENS1_25partition_config_selectorILNS1_17partition_subalgoE6EyNS0_10empty_typeEbEEZZNS1_14partition_implILS5_6ELb0ES3_mN6thrust23THRUST_200600_302600_NS6detail15normal_iteratorINSA_10device_ptrIyEEEEPS6_SG_NS0_5tupleIJNSA_16discard_iteratorINSA_11use_defaultEEES6_EEENSH_IJSG_SG_EEES6_PlJNSB_9not_fun_tINSB_14equal_to_valueIyEEEEEEE10hipError_tPvRmT3_T4_T5_T6_T7_T9_mT8_P12ihipStream_tbDpT10_ENKUlT_T0_E_clISt17integral_constantIbLb1EES1A_IbLb0EEEEDaS16_S17_EUlS16_E_NS1_11comp_targetILNS1_3genE0ELNS1_11target_archE4294967295ELNS1_3gpuE0ELNS1_3repE0EEENS1_30default_config_static_selectorELNS0_4arch9wavefront6targetE0EEEvT1_.uses_vcc, 0
	.set _ZN7rocprim17ROCPRIM_400000_NS6detail17trampoline_kernelINS0_14default_configENS1_25partition_config_selectorILNS1_17partition_subalgoE6EyNS0_10empty_typeEbEEZZNS1_14partition_implILS5_6ELb0ES3_mN6thrust23THRUST_200600_302600_NS6detail15normal_iteratorINSA_10device_ptrIyEEEEPS6_SG_NS0_5tupleIJNSA_16discard_iteratorINSA_11use_defaultEEES6_EEENSH_IJSG_SG_EEES6_PlJNSB_9not_fun_tINSB_14equal_to_valueIyEEEEEEE10hipError_tPvRmT3_T4_T5_T6_T7_T9_mT8_P12ihipStream_tbDpT10_ENKUlT_T0_E_clISt17integral_constantIbLb1EES1A_IbLb0EEEEDaS16_S17_EUlS16_E_NS1_11comp_targetILNS1_3genE0ELNS1_11target_archE4294967295ELNS1_3gpuE0ELNS1_3repE0EEENS1_30default_config_static_selectorELNS0_4arch9wavefront6targetE0EEEvT1_.uses_flat_scratch, 0
	.set _ZN7rocprim17ROCPRIM_400000_NS6detail17trampoline_kernelINS0_14default_configENS1_25partition_config_selectorILNS1_17partition_subalgoE6EyNS0_10empty_typeEbEEZZNS1_14partition_implILS5_6ELb0ES3_mN6thrust23THRUST_200600_302600_NS6detail15normal_iteratorINSA_10device_ptrIyEEEEPS6_SG_NS0_5tupleIJNSA_16discard_iteratorINSA_11use_defaultEEES6_EEENSH_IJSG_SG_EEES6_PlJNSB_9not_fun_tINSB_14equal_to_valueIyEEEEEEE10hipError_tPvRmT3_T4_T5_T6_T7_T9_mT8_P12ihipStream_tbDpT10_ENKUlT_T0_E_clISt17integral_constantIbLb1EES1A_IbLb0EEEEDaS16_S17_EUlS16_E_NS1_11comp_targetILNS1_3genE0ELNS1_11target_archE4294967295ELNS1_3gpuE0ELNS1_3repE0EEENS1_30default_config_static_selectorELNS0_4arch9wavefront6targetE0EEEvT1_.has_dyn_sized_stack, 0
	.set _ZN7rocprim17ROCPRIM_400000_NS6detail17trampoline_kernelINS0_14default_configENS1_25partition_config_selectorILNS1_17partition_subalgoE6EyNS0_10empty_typeEbEEZZNS1_14partition_implILS5_6ELb0ES3_mN6thrust23THRUST_200600_302600_NS6detail15normal_iteratorINSA_10device_ptrIyEEEEPS6_SG_NS0_5tupleIJNSA_16discard_iteratorINSA_11use_defaultEEES6_EEENSH_IJSG_SG_EEES6_PlJNSB_9not_fun_tINSB_14equal_to_valueIyEEEEEEE10hipError_tPvRmT3_T4_T5_T6_T7_T9_mT8_P12ihipStream_tbDpT10_ENKUlT_T0_E_clISt17integral_constantIbLb1EES1A_IbLb0EEEEDaS16_S17_EUlS16_E_NS1_11comp_targetILNS1_3genE0ELNS1_11target_archE4294967295ELNS1_3gpuE0ELNS1_3repE0EEENS1_30default_config_static_selectorELNS0_4arch9wavefront6targetE0EEEvT1_.has_recursion, 0
	.set _ZN7rocprim17ROCPRIM_400000_NS6detail17trampoline_kernelINS0_14default_configENS1_25partition_config_selectorILNS1_17partition_subalgoE6EyNS0_10empty_typeEbEEZZNS1_14partition_implILS5_6ELb0ES3_mN6thrust23THRUST_200600_302600_NS6detail15normal_iteratorINSA_10device_ptrIyEEEEPS6_SG_NS0_5tupleIJNSA_16discard_iteratorINSA_11use_defaultEEES6_EEENSH_IJSG_SG_EEES6_PlJNSB_9not_fun_tINSB_14equal_to_valueIyEEEEEEE10hipError_tPvRmT3_T4_T5_T6_T7_T9_mT8_P12ihipStream_tbDpT10_ENKUlT_T0_E_clISt17integral_constantIbLb1EES1A_IbLb0EEEEDaS16_S17_EUlS16_E_NS1_11comp_targetILNS1_3genE0ELNS1_11target_archE4294967295ELNS1_3gpuE0ELNS1_3repE0EEENS1_30default_config_static_selectorELNS0_4arch9wavefront6targetE0EEEvT1_.has_indirect_call, 0
	.section	.AMDGPU.csdata,"",@progbits
; Kernel info:
; codeLenInByte = 0
; TotalNumSgprs: 0
; NumVgprs: 0
; ScratchSize: 0
; MemoryBound: 0
; FloatMode: 240
; IeeeMode: 1
; LDSByteSize: 0 bytes/workgroup (compile time only)
; SGPRBlocks: 0
; VGPRBlocks: 0
; NumSGPRsForWavesPerEU: 1
; NumVGPRsForWavesPerEU: 1
; Occupancy: 16
; WaveLimiterHint : 0
; COMPUTE_PGM_RSRC2:SCRATCH_EN: 0
; COMPUTE_PGM_RSRC2:USER_SGPR: 2
; COMPUTE_PGM_RSRC2:TRAP_HANDLER: 0
; COMPUTE_PGM_RSRC2:TGID_X_EN: 1
; COMPUTE_PGM_RSRC2:TGID_Y_EN: 0
; COMPUTE_PGM_RSRC2:TGID_Z_EN: 0
; COMPUTE_PGM_RSRC2:TIDIG_COMP_CNT: 0
	.section	.text._ZN7rocprim17ROCPRIM_400000_NS6detail17trampoline_kernelINS0_14default_configENS1_25partition_config_selectorILNS1_17partition_subalgoE6EyNS0_10empty_typeEbEEZZNS1_14partition_implILS5_6ELb0ES3_mN6thrust23THRUST_200600_302600_NS6detail15normal_iteratorINSA_10device_ptrIyEEEEPS6_SG_NS0_5tupleIJNSA_16discard_iteratorINSA_11use_defaultEEES6_EEENSH_IJSG_SG_EEES6_PlJNSB_9not_fun_tINSB_14equal_to_valueIyEEEEEEE10hipError_tPvRmT3_T4_T5_T6_T7_T9_mT8_P12ihipStream_tbDpT10_ENKUlT_T0_E_clISt17integral_constantIbLb1EES1A_IbLb0EEEEDaS16_S17_EUlS16_E_NS1_11comp_targetILNS1_3genE5ELNS1_11target_archE942ELNS1_3gpuE9ELNS1_3repE0EEENS1_30default_config_static_selectorELNS0_4arch9wavefront6targetE0EEEvT1_,"axG",@progbits,_ZN7rocprim17ROCPRIM_400000_NS6detail17trampoline_kernelINS0_14default_configENS1_25partition_config_selectorILNS1_17partition_subalgoE6EyNS0_10empty_typeEbEEZZNS1_14partition_implILS5_6ELb0ES3_mN6thrust23THRUST_200600_302600_NS6detail15normal_iteratorINSA_10device_ptrIyEEEEPS6_SG_NS0_5tupleIJNSA_16discard_iteratorINSA_11use_defaultEEES6_EEENSH_IJSG_SG_EEES6_PlJNSB_9not_fun_tINSB_14equal_to_valueIyEEEEEEE10hipError_tPvRmT3_T4_T5_T6_T7_T9_mT8_P12ihipStream_tbDpT10_ENKUlT_T0_E_clISt17integral_constantIbLb1EES1A_IbLb0EEEEDaS16_S17_EUlS16_E_NS1_11comp_targetILNS1_3genE5ELNS1_11target_archE942ELNS1_3gpuE9ELNS1_3repE0EEENS1_30default_config_static_selectorELNS0_4arch9wavefront6targetE0EEEvT1_,comdat
	.protected	_ZN7rocprim17ROCPRIM_400000_NS6detail17trampoline_kernelINS0_14default_configENS1_25partition_config_selectorILNS1_17partition_subalgoE6EyNS0_10empty_typeEbEEZZNS1_14partition_implILS5_6ELb0ES3_mN6thrust23THRUST_200600_302600_NS6detail15normal_iteratorINSA_10device_ptrIyEEEEPS6_SG_NS0_5tupleIJNSA_16discard_iteratorINSA_11use_defaultEEES6_EEENSH_IJSG_SG_EEES6_PlJNSB_9not_fun_tINSB_14equal_to_valueIyEEEEEEE10hipError_tPvRmT3_T4_T5_T6_T7_T9_mT8_P12ihipStream_tbDpT10_ENKUlT_T0_E_clISt17integral_constantIbLb1EES1A_IbLb0EEEEDaS16_S17_EUlS16_E_NS1_11comp_targetILNS1_3genE5ELNS1_11target_archE942ELNS1_3gpuE9ELNS1_3repE0EEENS1_30default_config_static_selectorELNS0_4arch9wavefront6targetE0EEEvT1_ ; -- Begin function _ZN7rocprim17ROCPRIM_400000_NS6detail17trampoline_kernelINS0_14default_configENS1_25partition_config_selectorILNS1_17partition_subalgoE6EyNS0_10empty_typeEbEEZZNS1_14partition_implILS5_6ELb0ES3_mN6thrust23THRUST_200600_302600_NS6detail15normal_iteratorINSA_10device_ptrIyEEEEPS6_SG_NS0_5tupleIJNSA_16discard_iteratorINSA_11use_defaultEEES6_EEENSH_IJSG_SG_EEES6_PlJNSB_9not_fun_tINSB_14equal_to_valueIyEEEEEEE10hipError_tPvRmT3_T4_T5_T6_T7_T9_mT8_P12ihipStream_tbDpT10_ENKUlT_T0_E_clISt17integral_constantIbLb1EES1A_IbLb0EEEEDaS16_S17_EUlS16_E_NS1_11comp_targetILNS1_3genE5ELNS1_11target_archE942ELNS1_3gpuE9ELNS1_3repE0EEENS1_30default_config_static_selectorELNS0_4arch9wavefront6targetE0EEEvT1_
	.globl	_ZN7rocprim17ROCPRIM_400000_NS6detail17trampoline_kernelINS0_14default_configENS1_25partition_config_selectorILNS1_17partition_subalgoE6EyNS0_10empty_typeEbEEZZNS1_14partition_implILS5_6ELb0ES3_mN6thrust23THRUST_200600_302600_NS6detail15normal_iteratorINSA_10device_ptrIyEEEEPS6_SG_NS0_5tupleIJNSA_16discard_iteratorINSA_11use_defaultEEES6_EEENSH_IJSG_SG_EEES6_PlJNSB_9not_fun_tINSB_14equal_to_valueIyEEEEEEE10hipError_tPvRmT3_T4_T5_T6_T7_T9_mT8_P12ihipStream_tbDpT10_ENKUlT_T0_E_clISt17integral_constantIbLb1EES1A_IbLb0EEEEDaS16_S17_EUlS16_E_NS1_11comp_targetILNS1_3genE5ELNS1_11target_archE942ELNS1_3gpuE9ELNS1_3repE0EEENS1_30default_config_static_selectorELNS0_4arch9wavefront6targetE0EEEvT1_
	.p2align	8
	.type	_ZN7rocprim17ROCPRIM_400000_NS6detail17trampoline_kernelINS0_14default_configENS1_25partition_config_selectorILNS1_17partition_subalgoE6EyNS0_10empty_typeEbEEZZNS1_14partition_implILS5_6ELb0ES3_mN6thrust23THRUST_200600_302600_NS6detail15normal_iteratorINSA_10device_ptrIyEEEEPS6_SG_NS0_5tupleIJNSA_16discard_iteratorINSA_11use_defaultEEES6_EEENSH_IJSG_SG_EEES6_PlJNSB_9not_fun_tINSB_14equal_to_valueIyEEEEEEE10hipError_tPvRmT3_T4_T5_T6_T7_T9_mT8_P12ihipStream_tbDpT10_ENKUlT_T0_E_clISt17integral_constantIbLb1EES1A_IbLb0EEEEDaS16_S17_EUlS16_E_NS1_11comp_targetILNS1_3genE5ELNS1_11target_archE942ELNS1_3gpuE9ELNS1_3repE0EEENS1_30default_config_static_selectorELNS0_4arch9wavefront6targetE0EEEvT1_,@function
_ZN7rocprim17ROCPRIM_400000_NS6detail17trampoline_kernelINS0_14default_configENS1_25partition_config_selectorILNS1_17partition_subalgoE6EyNS0_10empty_typeEbEEZZNS1_14partition_implILS5_6ELb0ES3_mN6thrust23THRUST_200600_302600_NS6detail15normal_iteratorINSA_10device_ptrIyEEEEPS6_SG_NS0_5tupleIJNSA_16discard_iteratorINSA_11use_defaultEEES6_EEENSH_IJSG_SG_EEES6_PlJNSB_9not_fun_tINSB_14equal_to_valueIyEEEEEEE10hipError_tPvRmT3_T4_T5_T6_T7_T9_mT8_P12ihipStream_tbDpT10_ENKUlT_T0_E_clISt17integral_constantIbLb1EES1A_IbLb0EEEEDaS16_S17_EUlS16_E_NS1_11comp_targetILNS1_3genE5ELNS1_11target_archE942ELNS1_3gpuE9ELNS1_3repE0EEENS1_30default_config_static_selectorELNS0_4arch9wavefront6targetE0EEEvT1_: ; @_ZN7rocprim17ROCPRIM_400000_NS6detail17trampoline_kernelINS0_14default_configENS1_25partition_config_selectorILNS1_17partition_subalgoE6EyNS0_10empty_typeEbEEZZNS1_14partition_implILS5_6ELb0ES3_mN6thrust23THRUST_200600_302600_NS6detail15normal_iteratorINSA_10device_ptrIyEEEEPS6_SG_NS0_5tupleIJNSA_16discard_iteratorINSA_11use_defaultEEES6_EEENSH_IJSG_SG_EEES6_PlJNSB_9not_fun_tINSB_14equal_to_valueIyEEEEEEE10hipError_tPvRmT3_T4_T5_T6_T7_T9_mT8_P12ihipStream_tbDpT10_ENKUlT_T0_E_clISt17integral_constantIbLb1EES1A_IbLb0EEEEDaS16_S17_EUlS16_E_NS1_11comp_targetILNS1_3genE5ELNS1_11target_archE942ELNS1_3gpuE9ELNS1_3repE0EEENS1_30default_config_static_selectorELNS0_4arch9wavefront6targetE0EEEvT1_
; %bb.0:
	.section	.rodata,"a",@progbits
	.p2align	6, 0x0
	.amdhsa_kernel _ZN7rocprim17ROCPRIM_400000_NS6detail17trampoline_kernelINS0_14default_configENS1_25partition_config_selectorILNS1_17partition_subalgoE6EyNS0_10empty_typeEbEEZZNS1_14partition_implILS5_6ELb0ES3_mN6thrust23THRUST_200600_302600_NS6detail15normal_iteratorINSA_10device_ptrIyEEEEPS6_SG_NS0_5tupleIJNSA_16discard_iteratorINSA_11use_defaultEEES6_EEENSH_IJSG_SG_EEES6_PlJNSB_9not_fun_tINSB_14equal_to_valueIyEEEEEEE10hipError_tPvRmT3_T4_T5_T6_T7_T9_mT8_P12ihipStream_tbDpT10_ENKUlT_T0_E_clISt17integral_constantIbLb1EES1A_IbLb0EEEEDaS16_S17_EUlS16_E_NS1_11comp_targetILNS1_3genE5ELNS1_11target_archE942ELNS1_3gpuE9ELNS1_3repE0EEENS1_30default_config_static_selectorELNS0_4arch9wavefront6targetE0EEEvT1_
		.amdhsa_group_segment_fixed_size 0
		.amdhsa_private_segment_fixed_size 0
		.amdhsa_kernarg_size 128
		.amdhsa_user_sgpr_count 2
		.amdhsa_user_sgpr_dispatch_ptr 0
		.amdhsa_user_sgpr_queue_ptr 0
		.amdhsa_user_sgpr_kernarg_segment_ptr 1
		.amdhsa_user_sgpr_dispatch_id 0
		.amdhsa_user_sgpr_private_segment_size 0
		.amdhsa_wavefront_size32 1
		.amdhsa_uses_dynamic_stack 0
		.amdhsa_enable_private_segment 0
		.amdhsa_system_sgpr_workgroup_id_x 1
		.amdhsa_system_sgpr_workgroup_id_y 0
		.amdhsa_system_sgpr_workgroup_id_z 0
		.amdhsa_system_sgpr_workgroup_info 0
		.amdhsa_system_vgpr_workitem_id 0
		.amdhsa_next_free_vgpr 1
		.amdhsa_next_free_sgpr 1
		.amdhsa_reserve_vcc 0
		.amdhsa_float_round_mode_32 0
		.amdhsa_float_round_mode_16_64 0
		.amdhsa_float_denorm_mode_32 3
		.amdhsa_float_denorm_mode_16_64 3
		.amdhsa_fp16_overflow 0
		.amdhsa_workgroup_processor_mode 1
		.amdhsa_memory_ordered 1
		.amdhsa_forward_progress 1
		.amdhsa_inst_pref_size 0
		.amdhsa_round_robin_scheduling 0
		.amdhsa_exception_fp_ieee_invalid_op 0
		.amdhsa_exception_fp_denorm_src 0
		.amdhsa_exception_fp_ieee_div_zero 0
		.amdhsa_exception_fp_ieee_overflow 0
		.amdhsa_exception_fp_ieee_underflow 0
		.amdhsa_exception_fp_ieee_inexact 0
		.amdhsa_exception_int_div_zero 0
	.end_amdhsa_kernel
	.section	.text._ZN7rocprim17ROCPRIM_400000_NS6detail17trampoline_kernelINS0_14default_configENS1_25partition_config_selectorILNS1_17partition_subalgoE6EyNS0_10empty_typeEbEEZZNS1_14partition_implILS5_6ELb0ES3_mN6thrust23THRUST_200600_302600_NS6detail15normal_iteratorINSA_10device_ptrIyEEEEPS6_SG_NS0_5tupleIJNSA_16discard_iteratorINSA_11use_defaultEEES6_EEENSH_IJSG_SG_EEES6_PlJNSB_9not_fun_tINSB_14equal_to_valueIyEEEEEEE10hipError_tPvRmT3_T4_T5_T6_T7_T9_mT8_P12ihipStream_tbDpT10_ENKUlT_T0_E_clISt17integral_constantIbLb1EES1A_IbLb0EEEEDaS16_S17_EUlS16_E_NS1_11comp_targetILNS1_3genE5ELNS1_11target_archE942ELNS1_3gpuE9ELNS1_3repE0EEENS1_30default_config_static_selectorELNS0_4arch9wavefront6targetE0EEEvT1_,"axG",@progbits,_ZN7rocprim17ROCPRIM_400000_NS6detail17trampoline_kernelINS0_14default_configENS1_25partition_config_selectorILNS1_17partition_subalgoE6EyNS0_10empty_typeEbEEZZNS1_14partition_implILS5_6ELb0ES3_mN6thrust23THRUST_200600_302600_NS6detail15normal_iteratorINSA_10device_ptrIyEEEEPS6_SG_NS0_5tupleIJNSA_16discard_iteratorINSA_11use_defaultEEES6_EEENSH_IJSG_SG_EEES6_PlJNSB_9not_fun_tINSB_14equal_to_valueIyEEEEEEE10hipError_tPvRmT3_T4_T5_T6_T7_T9_mT8_P12ihipStream_tbDpT10_ENKUlT_T0_E_clISt17integral_constantIbLb1EES1A_IbLb0EEEEDaS16_S17_EUlS16_E_NS1_11comp_targetILNS1_3genE5ELNS1_11target_archE942ELNS1_3gpuE9ELNS1_3repE0EEENS1_30default_config_static_selectorELNS0_4arch9wavefront6targetE0EEEvT1_,comdat
.Lfunc_end1646:
	.size	_ZN7rocprim17ROCPRIM_400000_NS6detail17trampoline_kernelINS0_14default_configENS1_25partition_config_selectorILNS1_17partition_subalgoE6EyNS0_10empty_typeEbEEZZNS1_14partition_implILS5_6ELb0ES3_mN6thrust23THRUST_200600_302600_NS6detail15normal_iteratorINSA_10device_ptrIyEEEEPS6_SG_NS0_5tupleIJNSA_16discard_iteratorINSA_11use_defaultEEES6_EEENSH_IJSG_SG_EEES6_PlJNSB_9not_fun_tINSB_14equal_to_valueIyEEEEEEE10hipError_tPvRmT3_T4_T5_T6_T7_T9_mT8_P12ihipStream_tbDpT10_ENKUlT_T0_E_clISt17integral_constantIbLb1EES1A_IbLb0EEEEDaS16_S17_EUlS16_E_NS1_11comp_targetILNS1_3genE5ELNS1_11target_archE942ELNS1_3gpuE9ELNS1_3repE0EEENS1_30default_config_static_selectorELNS0_4arch9wavefront6targetE0EEEvT1_, .Lfunc_end1646-_ZN7rocprim17ROCPRIM_400000_NS6detail17trampoline_kernelINS0_14default_configENS1_25partition_config_selectorILNS1_17partition_subalgoE6EyNS0_10empty_typeEbEEZZNS1_14partition_implILS5_6ELb0ES3_mN6thrust23THRUST_200600_302600_NS6detail15normal_iteratorINSA_10device_ptrIyEEEEPS6_SG_NS0_5tupleIJNSA_16discard_iteratorINSA_11use_defaultEEES6_EEENSH_IJSG_SG_EEES6_PlJNSB_9not_fun_tINSB_14equal_to_valueIyEEEEEEE10hipError_tPvRmT3_T4_T5_T6_T7_T9_mT8_P12ihipStream_tbDpT10_ENKUlT_T0_E_clISt17integral_constantIbLb1EES1A_IbLb0EEEEDaS16_S17_EUlS16_E_NS1_11comp_targetILNS1_3genE5ELNS1_11target_archE942ELNS1_3gpuE9ELNS1_3repE0EEENS1_30default_config_static_selectorELNS0_4arch9wavefront6targetE0EEEvT1_
                                        ; -- End function
	.set _ZN7rocprim17ROCPRIM_400000_NS6detail17trampoline_kernelINS0_14default_configENS1_25partition_config_selectorILNS1_17partition_subalgoE6EyNS0_10empty_typeEbEEZZNS1_14partition_implILS5_6ELb0ES3_mN6thrust23THRUST_200600_302600_NS6detail15normal_iteratorINSA_10device_ptrIyEEEEPS6_SG_NS0_5tupleIJNSA_16discard_iteratorINSA_11use_defaultEEES6_EEENSH_IJSG_SG_EEES6_PlJNSB_9not_fun_tINSB_14equal_to_valueIyEEEEEEE10hipError_tPvRmT3_T4_T5_T6_T7_T9_mT8_P12ihipStream_tbDpT10_ENKUlT_T0_E_clISt17integral_constantIbLb1EES1A_IbLb0EEEEDaS16_S17_EUlS16_E_NS1_11comp_targetILNS1_3genE5ELNS1_11target_archE942ELNS1_3gpuE9ELNS1_3repE0EEENS1_30default_config_static_selectorELNS0_4arch9wavefront6targetE0EEEvT1_.num_vgpr, 0
	.set _ZN7rocprim17ROCPRIM_400000_NS6detail17trampoline_kernelINS0_14default_configENS1_25partition_config_selectorILNS1_17partition_subalgoE6EyNS0_10empty_typeEbEEZZNS1_14partition_implILS5_6ELb0ES3_mN6thrust23THRUST_200600_302600_NS6detail15normal_iteratorINSA_10device_ptrIyEEEEPS6_SG_NS0_5tupleIJNSA_16discard_iteratorINSA_11use_defaultEEES6_EEENSH_IJSG_SG_EEES6_PlJNSB_9not_fun_tINSB_14equal_to_valueIyEEEEEEE10hipError_tPvRmT3_T4_T5_T6_T7_T9_mT8_P12ihipStream_tbDpT10_ENKUlT_T0_E_clISt17integral_constantIbLb1EES1A_IbLb0EEEEDaS16_S17_EUlS16_E_NS1_11comp_targetILNS1_3genE5ELNS1_11target_archE942ELNS1_3gpuE9ELNS1_3repE0EEENS1_30default_config_static_selectorELNS0_4arch9wavefront6targetE0EEEvT1_.num_agpr, 0
	.set _ZN7rocprim17ROCPRIM_400000_NS6detail17trampoline_kernelINS0_14default_configENS1_25partition_config_selectorILNS1_17partition_subalgoE6EyNS0_10empty_typeEbEEZZNS1_14partition_implILS5_6ELb0ES3_mN6thrust23THRUST_200600_302600_NS6detail15normal_iteratorINSA_10device_ptrIyEEEEPS6_SG_NS0_5tupleIJNSA_16discard_iteratorINSA_11use_defaultEEES6_EEENSH_IJSG_SG_EEES6_PlJNSB_9not_fun_tINSB_14equal_to_valueIyEEEEEEE10hipError_tPvRmT3_T4_T5_T6_T7_T9_mT8_P12ihipStream_tbDpT10_ENKUlT_T0_E_clISt17integral_constantIbLb1EES1A_IbLb0EEEEDaS16_S17_EUlS16_E_NS1_11comp_targetILNS1_3genE5ELNS1_11target_archE942ELNS1_3gpuE9ELNS1_3repE0EEENS1_30default_config_static_selectorELNS0_4arch9wavefront6targetE0EEEvT1_.numbered_sgpr, 0
	.set _ZN7rocprim17ROCPRIM_400000_NS6detail17trampoline_kernelINS0_14default_configENS1_25partition_config_selectorILNS1_17partition_subalgoE6EyNS0_10empty_typeEbEEZZNS1_14partition_implILS5_6ELb0ES3_mN6thrust23THRUST_200600_302600_NS6detail15normal_iteratorINSA_10device_ptrIyEEEEPS6_SG_NS0_5tupleIJNSA_16discard_iteratorINSA_11use_defaultEEES6_EEENSH_IJSG_SG_EEES6_PlJNSB_9not_fun_tINSB_14equal_to_valueIyEEEEEEE10hipError_tPvRmT3_T4_T5_T6_T7_T9_mT8_P12ihipStream_tbDpT10_ENKUlT_T0_E_clISt17integral_constantIbLb1EES1A_IbLb0EEEEDaS16_S17_EUlS16_E_NS1_11comp_targetILNS1_3genE5ELNS1_11target_archE942ELNS1_3gpuE9ELNS1_3repE0EEENS1_30default_config_static_selectorELNS0_4arch9wavefront6targetE0EEEvT1_.num_named_barrier, 0
	.set _ZN7rocprim17ROCPRIM_400000_NS6detail17trampoline_kernelINS0_14default_configENS1_25partition_config_selectorILNS1_17partition_subalgoE6EyNS0_10empty_typeEbEEZZNS1_14partition_implILS5_6ELb0ES3_mN6thrust23THRUST_200600_302600_NS6detail15normal_iteratorINSA_10device_ptrIyEEEEPS6_SG_NS0_5tupleIJNSA_16discard_iteratorINSA_11use_defaultEEES6_EEENSH_IJSG_SG_EEES6_PlJNSB_9not_fun_tINSB_14equal_to_valueIyEEEEEEE10hipError_tPvRmT3_T4_T5_T6_T7_T9_mT8_P12ihipStream_tbDpT10_ENKUlT_T0_E_clISt17integral_constantIbLb1EES1A_IbLb0EEEEDaS16_S17_EUlS16_E_NS1_11comp_targetILNS1_3genE5ELNS1_11target_archE942ELNS1_3gpuE9ELNS1_3repE0EEENS1_30default_config_static_selectorELNS0_4arch9wavefront6targetE0EEEvT1_.private_seg_size, 0
	.set _ZN7rocprim17ROCPRIM_400000_NS6detail17trampoline_kernelINS0_14default_configENS1_25partition_config_selectorILNS1_17partition_subalgoE6EyNS0_10empty_typeEbEEZZNS1_14partition_implILS5_6ELb0ES3_mN6thrust23THRUST_200600_302600_NS6detail15normal_iteratorINSA_10device_ptrIyEEEEPS6_SG_NS0_5tupleIJNSA_16discard_iteratorINSA_11use_defaultEEES6_EEENSH_IJSG_SG_EEES6_PlJNSB_9not_fun_tINSB_14equal_to_valueIyEEEEEEE10hipError_tPvRmT3_T4_T5_T6_T7_T9_mT8_P12ihipStream_tbDpT10_ENKUlT_T0_E_clISt17integral_constantIbLb1EES1A_IbLb0EEEEDaS16_S17_EUlS16_E_NS1_11comp_targetILNS1_3genE5ELNS1_11target_archE942ELNS1_3gpuE9ELNS1_3repE0EEENS1_30default_config_static_selectorELNS0_4arch9wavefront6targetE0EEEvT1_.uses_vcc, 0
	.set _ZN7rocprim17ROCPRIM_400000_NS6detail17trampoline_kernelINS0_14default_configENS1_25partition_config_selectorILNS1_17partition_subalgoE6EyNS0_10empty_typeEbEEZZNS1_14partition_implILS5_6ELb0ES3_mN6thrust23THRUST_200600_302600_NS6detail15normal_iteratorINSA_10device_ptrIyEEEEPS6_SG_NS0_5tupleIJNSA_16discard_iteratorINSA_11use_defaultEEES6_EEENSH_IJSG_SG_EEES6_PlJNSB_9not_fun_tINSB_14equal_to_valueIyEEEEEEE10hipError_tPvRmT3_T4_T5_T6_T7_T9_mT8_P12ihipStream_tbDpT10_ENKUlT_T0_E_clISt17integral_constantIbLb1EES1A_IbLb0EEEEDaS16_S17_EUlS16_E_NS1_11comp_targetILNS1_3genE5ELNS1_11target_archE942ELNS1_3gpuE9ELNS1_3repE0EEENS1_30default_config_static_selectorELNS0_4arch9wavefront6targetE0EEEvT1_.uses_flat_scratch, 0
	.set _ZN7rocprim17ROCPRIM_400000_NS6detail17trampoline_kernelINS0_14default_configENS1_25partition_config_selectorILNS1_17partition_subalgoE6EyNS0_10empty_typeEbEEZZNS1_14partition_implILS5_6ELb0ES3_mN6thrust23THRUST_200600_302600_NS6detail15normal_iteratorINSA_10device_ptrIyEEEEPS6_SG_NS0_5tupleIJNSA_16discard_iteratorINSA_11use_defaultEEES6_EEENSH_IJSG_SG_EEES6_PlJNSB_9not_fun_tINSB_14equal_to_valueIyEEEEEEE10hipError_tPvRmT3_T4_T5_T6_T7_T9_mT8_P12ihipStream_tbDpT10_ENKUlT_T0_E_clISt17integral_constantIbLb1EES1A_IbLb0EEEEDaS16_S17_EUlS16_E_NS1_11comp_targetILNS1_3genE5ELNS1_11target_archE942ELNS1_3gpuE9ELNS1_3repE0EEENS1_30default_config_static_selectorELNS0_4arch9wavefront6targetE0EEEvT1_.has_dyn_sized_stack, 0
	.set _ZN7rocprim17ROCPRIM_400000_NS6detail17trampoline_kernelINS0_14default_configENS1_25partition_config_selectorILNS1_17partition_subalgoE6EyNS0_10empty_typeEbEEZZNS1_14partition_implILS5_6ELb0ES3_mN6thrust23THRUST_200600_302600_NS6detail15normal_iteratorINSA_10device_ptrIyEEEEPS6_SG_NS0_5tupleIJNSA_16discard_iteratorINSA_11use_defaultEEES6_EEENSH_IJSG_SG_EEES6_PlJNSB_9not_fun_tINSB_14equal_to_valueIyEEEEEEE10hipError_tPvRmT3_T4_T5_T6_T7_T9_mT8_P12ihipStream_tbDpT10_ENKUlT_T0_E_clISt17integral_constantIbLb1EES1A_IbLb0EEEEDaS16_S17_EUlS16_E_NS1_11comp_targetILNS1_3genE5ELNS1_11target_archE942ELNS1_3gpuE9ELNS1_3repE0EEENS1_30default_config_static_selectorELNS0_4arch9wavefront6targetE0EEEvT1_.has_recursion, 0
	.set _ZN7rocprim17ROCPRIM_400000_NS6detail17trampoline_kernelINS0_14default_configENS1_25partition_config_selectorILNS1_17partition_subalgoE6EyNS0_10empty_typeEbEEZZNS1_14partition_implILS5_6ELb0ES3_mN6thrust23THRUST_200600_302600_NS6detail15normal_iteratorINSA_10device_ptrIyEEEEPS6_SG_NS0_5tupleIJNSA_16discard_iteratorINSA_11use_defaultEEES6_EEENSH_IJSG_SG_EEES6_PlJNSB_9not_fun_tINSB_14equal_to_valueIyEEEEEEE10hipError_tPvRmT3_T4_T5_T6_T7_T9_mT8_P12ihipStream_tbDpT10_ENKUlT_T0_E_clISt17integral_constantIbLb1EES1A_IbLb0EEEEDaS16_S17_EUlS16_E_NS1_11comp_targetILNS1_3genE5ELNS1_11target_archE942ELNS1_3gpuE9ELNS1_3repE0EEENS1_30default_config_static_selectorELNS0_4arch9wavefront6targetE0EEEvT1_.has_indirect_call, 0
	.section	.AMDGPU.csdata,"",@progbits
; Kernel info:
; codeLenInByte = 0
; TotalNumSgprs: 0
; NumVgprs: 0
; ScratchSize: 0
; MemoryBound: 0
; FloatMode: 240
; IeeeMode: 1
; LDSByteSize: 0 bytes/workgroup (compile time only)
; SGPRBlocks: 0
; VGPRBlocks: 0
; NumSGPRsForWavesPerEU: 1
; NumVGPRsForWavesPerEU: 1
; Occupancy: 16
; WaveLimiterHint : 0
; COMPUTE_PGM_RSRC2:SCRATCH_EN: 0
; COMPUTE_PGM_RSRC2:USER_SGPR: 2
; COMPUTE_PGM_RSRC2:TRAP_HANDLER: 0
; COMPUTE_PGM_RSRC2:TGID_X_EN: 1
; COMPUTE_PGM_RSRC2:TGID_Y_EN: 0
; COMPUTE_PGM_RSRC2:TGID_Z_EN: 0
; COMPUTE_PGM_RSRC2:TIDIG_COMP_CNT: 0
	.section	.text._ZN7rocprim17ROCPRIM_400000_NS6detail17trampoline_kernelINS0_14default_configENS1_25partition_config_selectorILNS1_17partition_subalgoE6EyNS0_10empty_typeEbEEZZNS1_14partition_implILS5_6ELb0ES3_mN6thrust23THRUST_200600_302600_NS6detail15normal_iteratorINSA_10device_ptrIyEEEEPS6_SG_NS0_5tupleIJNSA_16discard_iteratorINSA_11use_defaultEEES6_EEENSH_IJSG_SG_EEES6_PlJNSB_9not_fun_tINSB_14equal_to_valueIyEEEEEEE10hipError_tPvRmT3_T4_T5_T6_T7_T9_mT8_P12ihipStream_tbDpT10_ENKUlT_T0_E_clISt17integral_constantIbLb1EES1A_IbLb0EEEEDaS16_S17_EUlS16_E_NS1_11comp_targetILNS1_3genE4ELNS1_11target_archE910ELNS1_3gpuE8ELNS1_3repE0EEENS1_30default_config_static_selectorELNS0_4arch9wavefront6targetE0EEEvT1_,"axG",@progbits,_ZN7rocprim17ROCPRIM_400000_NS6detail17trampoline_kernelINS0_14default_configENS1_25partition_config_selectorILNS1_17partition_subalgoE6EyNS0_10empty_typeEbEEZZNS1_14partition_implILS5_6ELb0ES3_mN6thrust23THRUST_200600_302600_NS6detail15normal_iteratorINSA_10device_ptrIyEEEEPS6_SG_NS0_5tupleIJNSA_16discard_iteratorINSA_11use_defaultEEES6_EEENSH_IJSG_SG_EEES6_PlJNSB_9not_fun_tINSB_14equal_to_valueIyEEEEEEE10hipError_tPvRmT3_T4_T5_T6_T7_T9_mT8_P12ihipStream_tbDpT10_ENKUlT_T0_E_clISt17integral_constantIbLb1EES1A_IbLb0EEEEDaS16_S17_EUlS16_E_NS1_11comp_targetILNS1_3genE4ELNS1_11target_archE910ELNS1_3gpuE8ELNS1_3repE0EEENS1_30default_config_static_selectorELNS0_4arch9wavefront6targetE0EEEvT1_,comdat
	.protected	_ZN7rocprim17ROCPRIM_400000_NS6detail17trampoline_kernelINS0_14default_configENS1_25partition_config_selectorILNS1_17partition_subalgoE6EyNS0_10empty_typeEbEEZZNS1_14partition_implILS5_6ELb0ES3_mN6thrust23THRUST_200600_302600_NS6detail15normal_iteratorINSA_10device_ptrIyEEEEPS6_SG_NS0_5tupleIJNSA_16discard_iteratorINSA_11use_defaultEEES6_EEENSH_IJSG_SG_EEES6_PlJNSB_9not_fun_tINSB_14equal_to_valueIyEEEEEEE10hipError_tPvRmT3_T4_T5_T6_T7_T9_mT8_P12ihipStream_tbDpT10_ENKUlT_T0_E_clISt17integral_constantIbLb1EES1A_IbLb0EEEEDaS16_S17_EUlS16_E_NS1_11comp_targetILNS1_3genE4ELNS1_11target_archE910ELNS1_3gpuE8ELNS1_3repE0EEENS1_30default_config_static_selectorELNS0_4arch9wavefront6targetE0EEEvT1_ ; -- Begin function _ZN7rocprim17ROCPRIM_400000_NS6detail17trampoline_kernelINS0_14default_configENS1_25partition_config_selectorILNS1_17partition_subalgoE6EyNS0_10empty_typeEbEEZZNS1_14partition_implILS5_6ELb0ES3_mN6thrust23THRUST_200600_302600_NS6detail15normal_iteratorINSA_10device_ptrIyEEEEPS6_SG_NS0_5tupleIJNSA_16discard_iteratorINSA_11use_defaultEEES6_EEENSH_IJSG_SG_EEES6_PlJNSB_9not_fun_tINSB_14equal_to_valueIyEEEEEEE10hipError_tPvRmT3_T4_T5_T6_T7_T9_mT8_P12ihipStream_tbDpT10_ENKUlT_T0_E_clISt17integral_constantIbLb1EES1A_IbLb0EEEEDaS16_S17_EUlS16_E_NS1_11comp_targetILNS1_3genE4ELNS1_11target_archE910ELNS1_3gpuE8ELNS1_3repE0EEENS1_30default_config_static_selectorELNS0_4arch9wavefront6targetE0EEEvT1_
	.globl	_ZN7rocprim17ROCPRIM_400000_NS6detail17trampoline_kernelINS0_14default_configENS1_25partition_config_selectorILNS1_17partition_subalgoE6EyNS0_10empty_typeEbEEZZNS1_14partition_implILS5_6ELb0ES3_mN6thrust23THRUST_200600_302600_NS6detail15normal_iteratorINSA_10device_ptrIyEEEEPS6_SG_NS0_5tupleIJNSA_16discard_iteratorINSA_11use_defaultEEES6_EEENSH_IJSG_SG_EEES6_PlJNSB_9not_fun_tINSB_14equal_to_valueIyEEEEEEE10hipError_tPvRmT3_T4_T5_T6_T7_T9_mT8_P12ihipStream_tbDpT10_ENKUlT_T0_E_clISt17integral_constantIbLb1EES1A_IbLb0EEEEDaS16_S17_EUlS16_E_NS1_11comp_targetILNS1_3genE4ELNS1_11target_archE910ELNS1_3gpuE8ELNS1_3repE0EEENS1_30default_config_static_selectorELNS0_4arch9wavefront6targetE0EEEvT1_
	.p2align	8
	.type	_ZN7rocprim17ROCPRIM_400000_NS6detail17trampoline_kernelINS0_14default_configENS1_25partition_config_selectorILNS1_17partition_subalgoE6EyNS0_10empty_typeEbEEZZNS1_14partition_implILS5_6ELb0ES3_mN6thrust23THRUST_200600_302600_NS6detail15normal_iteratorINSA_10device_ptrIyEEEEPS6_SG_NS0_5tupleIJNSA_16discard_iteratorINSA_11use_defaultEEES6_EEENSH_IJSG_SG_EEES6_PlJNSB_9not_fun_tINSB_14equal_to_valueIyEEEEEEE10hipError_tPvRmT3_T4_T5_T6_T7_T9_mT8_P12ihipStream_tbDpT10_ENKUlT_T0_E_clISt17integral_constantIbLb1EES1A_IbLb0EEEEDaS16_S17_EUlS16_E_NS1_11comp_targetILNS1_3genE4ELNS1_11target_archE910ELNS1_3gpuE8ELNS1_3repE0EEENS1_30default_config_static_selectorELNS0_4arch9wavefront6targetE0EEEvT1_,@function
_ZN7rocprim17ROCPRIM_400000_NS6detail17trampoline_kernelINS0_14default_configENS1_25partition_config_selectorILNS1_17partition_subalgoE6EyNS0_10empty_typeEbEEZZNS1_14partition_implILS5_6ELb0ES3_mN6thrust23THRUST_200600_302600_NS6detail15normal_iteratorINSA_10device_ptrIyEEEEPS6_SG_NS0_5tupleIJNSA_16discard_iteratorINSA_11use_defaultEEES6_EEENSH_IJSG_SG_EEES6_PlJNSB_9not_fun_tINSB_14equal_to_valueIyEEEEEEE10hipError_tPvRmT3_T4_T5_T6_T7_T9_mT8_P12ihipStream_tbDpT10_ENKUlT_T0_E_clISt17integral_constantIbLb1EES1A_IbLb0EEEEDaS16_S17_EUlS16_E_NS1_11comp_targetILNS1_3genE4ELNS1_11target_archE910ELNS1_3gpuE8ELNS1_3repE0EEENS1_30default_config_static_selectorELNS0_4arch9wavefront6targetE0EEEvT1_: ; @_ZN7rocprim17ROCPRIM_400000_NS6detail17trampoline_kernelINS0_14default_configENS1_25partition_config_selectorILNS1_17partition_subalgoE6EyNS0_10empty_typeEbEEZZNS1_14partition_implILS5_6ELb0ES3_mN6thrust23THRUST_200600_302600_NS6detail15normal_iteratorINSA_10device_ptrIyEEEEPS6_SG_NS0_5tupleIJNSA_16discard_iteratorINSA_11use_defaultEEES6_EEENSH_IJSG_SG_EEES6_PlJNSB_9not_fun_tINSB_14equal_to_valueIyEEEEEEE10hipError_tPvRmT3_T4_T5_T6_T7_T9_mT8_P12ihipStream_tbDpT10_ENKUlT_T0_E_clISt17integral_constantIbLb1EES1A_IbLb0EEEEDaS16_S17_EUlS16_E_NS1_11comp_targetILNS1_3genE4ELNS1_11target_archE910ELNS1_3gpuE8ELNS1_3repE0EEENS1_30default_config_static_selectorELNS0_4arch9wavefront6targetE0EEEvT1_
; %bb.0:
	.section	.rodata,"a",@progbits
	.p2align	6, 0x0
	.amdhsa_kernel _ZN7rocprim17ROCPRIM_400000_NS6detail17trampoline_kernelINS0_14default_configENS1_25partition_config_selectorILNS1_17partition_subalgoE6EyNS0_10empty_typeEbEEZZNS1_14partition_implILS5_6ELb0ES3_mN6thrust23THRUST_200600_302600_NS6detail15normal_iteratorINSA_10device_ptrIyEEEEPS6_SG_NS0_5tupleIJNSA_16discard_iteratorINSA_11use_defaultEEES6_EEENSH_IJSG_SG_EEES6_PlJNSB_9not_fun_tINSB_14equal_to_valueIyEEEEEEE10hipError_tPvRmT3_T4_T5_T6_T7_T9_mT8_P12ihipStream_tbDpT10_ENKUlT_T0_E_clISt17integral_constantIbLb1EES1A_IbLb0EEEEDaS16_S17_EUlS16_E_NS1_11comp_targetILNS1_3genE4ELNS1_11target_archE910ELNS1_3gpuE8ELNS1_3repE0EEENS1_30default_config_static_selectorELNS0_4arch9wavefront6targetE0EEEvT1_
		.amdhsa_group_segment_fixed_size 0
		.amdhsa_private_segment_fixed_size 0
		.amdhsa_kernarg_size 128
		.amdhsa_user_sgpr_count 2
		.amdhsa_user_sgpr_dispatch_ptr 0
		.amdhsa_user_sgpr_queue_ptr 0
		.amdhsa_user_sgpr_kernarg_segment_ptr 1
		.amdhsa_user_sgpr_dispatch_id 0
		.amdhsa_user_sgpr_private_segment_size 0
		.amdhsa_wavefront_size32 1
		.amdhsa_uses_dynamic_stack 0
		.amdhsa_enable_private_segment 0
		.amdhsa_system_sgpr_workgroup_id_x 1
		.amdhsa_system_sgpr_workgroup_id_y 0
		.amdhsa_system_sgpr_workgroup_id_z 0
		.amdhsa_system_sgpr_workgroup_info 0
		.amdhsa_system_vgpr_workitem_id 0
		.amdhsa_next_free_vgpr 1
		.amdhsa_next_free_sgpr 1
		.amdhsa_reserve_vcc 0
		.amdhsa_float_round_mode_32 0
		.amdhsa_float_round_mode_16_64 0
		.amdhsa_float_denorm_mode_32 3
		.amdhsa_float_denorm_mode_16_64 3
		.amdhsa_fp16_overflow 0
		.amdhsa_workgroup_processor_mode 1
		.amdhsa_memory_ordered 1
		.amdhsa_forward_progress 1
		.amdhsa_inst_pref_size 0
		.amdhsa_round_robin_scheduling 0
		.amdhsa_exception_fp_ieee_invalid_op 0
		.amdhsa_exception_fp_denorm_src 0
		.amdhsa_exception_fp_ieee_div_zero 0
		.amdhsa_exception_fp_ieee_overflow 0
		.amdhsa_exception_fp_ieee_underflow 0
		.amdhsa_exception_fp_ieee_inexact 0
		.amdhsa_exception_int_div_zero 0
	.end_amdhsa_kernel
	.section	.text._ZN7rocprim17ROCPRIM_400000_NS6detail17trampoline_kernelINS0_14default_configENS1_25partition_config_selectorILNS1_17partition_subalgoE6EyNS0_10empty_typeEbEEZZNS1_14partition_implILS5_6ELb0ES3_mN6thrust23THRUST_200600_302600_NS6detail15normal_iteratorINSA_10device_ptrIyEEEEPS6_SG_NS0_5tupleIJNSA_16discard_iteratorINSA_11use_defaultEEES6_EEENSH_IJSG_SG_EEES6_PlJNSB_9not_fun_tINSB_14equal_to_valueIyEEEEEEE10hipError_tPvRmT3_T4_T5_T6_T7_T9_mT8_P12ihipStream_tbDpT10_ENKUlT_T0_E_clISt17integral_constantIbLb1EES1A_IbLb0EEEEDaS16_S17_EUlS16_E_NS1_11comp_targetILNS1_3genE4ELNS1_11target_archE910ELNS1_3gpuE8ELNS1_3repE0EEENS1_30default_config_static_selectorELNS0_4arch9wavefront6targetE0EEEvT1_,"axG",@progbits,_ZN7rocprim17ROCPRIM_400000_NS6detail17trampoline_kernelINS0_14default_configENS1_25partition_config_selectorILNS1_17partition_subalgoE6EyNS0_10empty_typeEbEEZZNS1_14partition_implILS5_6ELb0ES3_mN6thrust23THRUST_200600_302600_NS6detail15normal_iteratorINSA_10device_ptrIyEEEEPS6_SG_NS0_5tupleIJNSA_16discard_iteratorINSA_11use_defaultEEES6_EEENSH_IJSG_SG_EEES6_PlJNSB_9not_fun_tINSB_14equal_to_valueIyEEEEEEE10hipError_tPvRmT3_T4_T5_T6_T7_T9_mT8_P12ihipStream_tbDpT10_ENKUlT_T0_E_clISt17integral_constantIbLb1EES1A_IbLb0EEEEDaS16_S17_EUlS16_E_NS1_11comp_targetILNS1_3genE4ELNS1_11target_archE910ELNS1_3gpuE8ELNS1_3repE0EEENS1_30default_config_static_selectorELNS0_4arch9wavefront6targetE0EEEvT1_,comdat
.Lfunc_end1647:
	.size	_ZN7rocprim17ROCPRIM_400000_NS6detail17trampoline_kernelINS0_14default_configENS1_25partition_config_selectorILNS1_17partition_subalgoE6EyNS0_10empty_typeEbEEZZNS1_14partition_implILS5_6ELb0ES3_mN6thrust23THRUST_200600_302600_NS6detail15normal_iteratorINSA_10device_ptrIyEEEEPS6_SG_NS0_5tupleIJNSA_16discard_iteratorINSA_11use_defaultEEES6_EEENSH_IJSG_SG_EEES6_PlJNSB_9not_fun_tINSB_14equal_to_valueIyEEEEEEE10hipError_tPvRmT3_T4_T5_T6_T7_T9_mT8_P12ihipStream_tbDpT10_ENKUlT_T0_E_clISt17integral_constantIbLb1EES1A_IbLb0EEEEDaS16_S17_EUlS16_E_NS1_11comp_targetILNS1_3genE4ELNS1_11target_archE910ELNS1_3gpuE8ELNS1_3repE0EEENS1_30default_config_static_selectorELNS0_4arch9wavefront6targetE0EEEvT1_, .Lfunc_end1647-_ZN7rocprim17ROCPRIM_400000_NS6detail17trampoline_kernelINS0_14default_configENS1_25partition_config_selectorILNS1_17partition_subalgoE6EyNS0_10empty_typeEbEEZZNS1_14partition_implILS5_6ELb0ES3_mN6thrust23THRUST_200600_302600_NS6detail15normal_iteratorINSA_10device_ptrIyEEEEPS6_SG_NS0_5tupleIJNSA_16discard_iteratorINSA_11use_defaultEEES6_EEENSH_IJSG_SG_EEES6_PlJNSB_9not_fun_tINSB_14equal_to_valueIyEEEEEEE10hipError_tPvRmT3_T4_T5_T6_T7_T9_mT8_P12ihipStream_tbDpT10_ENKUlT_T0_E_clISt17integral_constantIbLb1EES1A_IbLb0EEEEDaS16_S17_EUlS16_E_NS1_11comp_targetILNS1_3genE4ELNS1_11target_archE910ELNS1_3gpuE8ELNS1_3repE0EEENS1_30default_config_static_selectorELNS0_4arch9wavefront6targetE0EEEvT1_
                                        ; -- End function
	.set _ZN7rocprim17ROCPRIM_400000_NS6detail17trampoline_kernelINS0_14default_configENS1_25partition_config_selectorILNS1_17partition_subalgoE6EyNS0_10empty_typeEbEEZZNS1_14partition_implILS5_6ELb0ES3_mN6thrust23THRUST_200600_302600_NS6detail15normal_iteratorINSA_10device_ptrIyEEEEPS6_SG_NS0_5tupleIJNSA_16discard_iteratorINSA_11use_defaultEEES6_EEENSH_IJSG_SG_EEES6_PlJNSB_9not_fun_tINSB_14equal_to_valueIyEEEEEEE10hipError_tPvRmT3_T4_T5_T6_T7_T9_mT8_P12ihipStream_tbDpT10_ENKUlT_T0_E_clISt17integral_constantIbLb1EES1A_IbLb0EEEEDaS16_S17_EUlS16_E_NS1_11comp_targetILNS1_3genE4ELNS1_11target_archE910ELNS1_3gpuE8ELNS1_3repE0EEENS1_30default_config_static_selectorELNS0_4arch9wavefront6targetE0EEEvT1_.num_vgpr, 0
	.set _ZN7rocprim17ROCPRIM_400000_NS6detail17trampoline_kernelINS0_14default_configENS1_25partition_config_selectorILNS1_17partition_subalgoE6EyNS0_10empty_typeEbEEZZNS1_14partition_implILS5_6ELb0ES3_mN6thrust23THRUST_200600_302600_NS6detail15normal_iteratorINSA_10device_ptrIyEEEEPS6_SG_NS0_5tupleIJNSA_16discard_iteratorINSA_11use_defaultEEES6_EEENSH_IJSG_SG_EEES6_PlJNSB_9not_fun_tINSB_14equal_to_valueIyEEEEEEE10hipError_tPvRmT3_T4_T5_T6_T7_T9_mT8_P12ihipStream_tbDpT10_ENKUlT_T0_E_clISt17integral_constantIbLb1EES1A_IbLb0EEEEDaS16_S17_EUlS16_E_NS1_11comp_targetILNS1_3genE4ELNS1_11target_archE910ELNS1_3gpuE8ELNS1_3repE0EEENS1_30default_config_static_selectorELNS0_4arch9wavefront6targetE0EEEvT1_.num_agpr, 0
	.set _ZN7rocprim17ROCPRIM_400000_NS6detail17trampoline_kernelINS0_14default_configENS1_25partition_config_selectorILNS1_17partition_subalgoE6EyNS0_10empty_typeEbEEZZNS1_14partition_implILS5_6ELb0ES3_mN6thrust23THRUST_200600_302600_NS6detail15normal_iteratorINSA_10device_ptrIyEEEEPS6_SG_NS0_5tupleIJNSA_16discard_iteratorINSA_11use_defaultEEES6_EEENSH_IJSG_SG_EEES6_PlJNSB_9not_fun_tINSB_14equal_to_valueIyEEEEEEE10hipError_tPvRmT3_T4_T5_T6_T7_T9_mT8_P12ihipStream_tbDpT10_ENKUlT_T0_E_clISt17integral_constantIbLb1EES1A_IbLb0EEEEDaS16_S17_EUlS16_E_NS1_11comp_targetILNS1_3genE4ELNS1_11target_archE910ELNS1_3gpuE8ELNS1_3repE0EEENS1_30default_config_static_selectorELNS0_4arch9wavefront6targetE0EEEvT1_.numbered_sgpr, 0
	.set _ZN7rocprim17ROCPRIM_400000_NS6detail17trampoline_kernelINS0_14default_configENS1_25partition_config_selectorILNS1_17partition_subalgoE6EyNS0_10empty_typeEbEEZZNS1_14partition_implILS5_6ELb0ES3_mN6thrust23THRUST_200600_302600_NS6detail15normal_iteratorINSA_10device_ptrIyEEEEPS6_SG_NS0_5tupleIJNSA_16discard_iteratorINSA_11use_defaultEEES6_EEENSH_IJSG_SG_EEES6_PlJNSB_9not_fun_tINSB_14equal_to_valueIyEEEEEEE10hipError_tPvRmT3_T4_T5_T6_T7_T9_mT8_P12ihipStream_tbDpT10_ENKUlT_T0_E_clISt17integral_constantIbLb1EES1A_IbLb0EEEEDaS16_S17_EUlS16_E_NS1_11comp_targetILNS1_3genE4ELNS1_11target_archE910ELNS1_3gpuE8ELNS1_3repE0EEENS1_30default_config_static_selectorELNS0_4arch9wavefront6targetE0EEEvT1_.num_named_barrier, 0
	.set _ZN7rocprim17ROCPRIM_400000_NS6detail17trampoline_kernelINS0_14default_configENS1_25partition_config_selectorILNS1_17partition_subalgoE6EyNS0_10empty_typeEbEEZZNS1_14partition_implILS5_6ELb0ES3_mN6thrust23THRUST_200600_302600_NS6detail15normal_iteratorINSA_10device_ptrIyEEEEPS6_SG_NS0_5tupleIJNSA_16discard_iteratorINSA_11use_defaultEEES6_EEENSH_IJSG_SG_EEES6_PlJNSB_9not_fun_tINSB_14equal_to_valueIyEEEEEEE10hipError_tPvRmT3_T4_T5_T6_T7_T9_mT8_P12ihipStream_tbDpT10_ENKUlT_T0_E_clISt17integral_constantIbLb1EES1A_IbLb0EEEEDaS16_S17_EUlS16_E_NS1_11comp_targetILNS1_3genE4ELNS1_11target_archE910ELNS1_3gpuE8ELNS1_3repE0EEENS1_30default_config_static_selectorELNS0_4arch9wavefront6targetE0EEEvT1_.private_seg_size, 0
	.set _ZN7rocprim17ROCPRIM_400000_NS6detail17trampoline_kernelINS0_14default_configENS1_25partition_config_selectorILNS1_17partition_subalgoE6EyNS0_10empty_typeEbEEZZNS1_14partition_implILS5_6ELb0ES3_mN6thrust23THRUST_200600_302600_NS6detail15normal_iteratorINSA_10device_ptrIyEEEEPS6_SG_NS0_5tupleIJNSA_16discard_iteratorINSA_11use_defaultEEES6_EEENSH_IJSG_SG_EEES6_PlJNSB_9not_fun_tINSB_14equal_to_valueIyEEEEEEE10hipError_tPvRmT3_T4_T5_T6_T7_T9_mT8_P12ihipStream_tbDpT10_ENKUlT_T0_E_clISt17integral_constantIbLb1EES1A_IbLb0EEEEDaS16_S17_EUlS16_E_NS1_11comp_targetILNS1_3genE4ELNS1_11target_archE910ELNS1_3gpuE8ELNS1_3repE0EEENS1_30default_config_static_selectorELNS0_4arch9wavefront6targetE0EEEvT1_.uses_vcc, 0
	.set _ZN7rocprim17ROCPRIM_400000_NS6detail17trampoline_kernelINS0_14default_configENS1_25partition_config_selectorILNS1_17partition_subalgoE6EyNS0_10empty_typeEbEEZZNS1_14partition_implILS5_6ELb0ES3_mN6thrust23THRUST_200600_302600_NS6detail15normal_iteratorINSA_10device_ptrIyEEEEPS6_SG_NS0_5tupleIJNSA_16discard_iteratorINSA_11use_defaultEEES6_EEENSH_IJSG_SG_EEES6_PlJNSB_9not_fun_tINSB_14equal_to_valueIyEEEEEEE10hipError_tPvRmT3_T4_T5_T6_T7_T9_mT8_P12ihipStream_tbDpT10_ENKUlT_T0_E_clISt17integral_constantIbLb1EES1A_IbLb0EEEEDaS16_S17_EUlS16_E_NS1_11comp_targetILNS1_3genE4ELNS1_11target_archE910ELNS1_3gpuE8ELNS1_3repE0EEENS1_30default_config_static_selectorELNS0_4arch9wavefront6targetE0EEEvT1_.uses_flat_scratch, 0
	.set _ZN7rocprim17ROCPRIM_400000_NS6detail17trampoline_kernelINS0_14default_configENS1_25partition_config_selectorILNS1_17partition_subalgoE6EyNS0_10empty_typeEbEEZZNS1_14partition_implILS5_6ELb0ES3_mN6thrust23THRUST_200600_302600_NS6detail15normal_iteratorINSA_10device_ptrIyEEEEPS6_SG_NS0_5tupleIJNSA_16discard_iteratorINSA_11use_defaultEEES6_EEENSH_IJSG_SG_EEES6_PlJNSB_9not_fun_tINSB_14equal_to_valueIyEEEEEEE10hipError_tPvRmT3_T4_T5_T6_T7_T9_mT8_P12ihipStream_tbDpT10_ENKUlT_T0_E_clISt17integral_constantIbLb1EES1A_IbLb0EEEEDaS16_S17_EUlS16_E_NS1_11comp_targetILNS1_3genE4ELNS1_11target_archE910ELNS1_3gpuE8ELNS1_3repE0EEENS1_30default_config_static_selectorELNS0_4arch9wavefront6targetE0EEEvT1_.has_dyn_sized_stack, 0
	.set _ZN7rocprim17ROCPRIM_400000_NS6detail17trampoline_kernelINS0_14default_configENS1_25partition_config_selectorILNS1_17partition_subalgoE6EyNS0_10empty_typeEbEEZZNS1_14partition_implILS5_6ELb0ES3_mN6thrust23THRUST_200600_302600_NS6detail15normal_iteratorINSA_10device_ptrIyEEEEPS6_SG_NS0_5tupleIJNSA_16discard_iteratorINSA_11use_defaultEEES6_EEENSH_IJSG_SG_EEES6_PlJNSB_9not_fun_tINSB_14equal_to_valueIyEEEEEEE10hipError_tPvRmT3_T4_T5_T6_T7_T9_mT8_P12ihipStream_tbDpT10_ENKUlT_T0_E_clISt17integral_constantIbLb1EES1A_IbLb0EEEEDaS16_S17_EUlS16_E_NS1_11comp_targetILNS1_3genE4ELNS1_11target_archE910ELNS1_3gpuE8ELNS1_3repE0EEENS1_30default_config_static_selectorELNS0_4arch9wavefront6targetE0EEEvT1_.has_recursion, 0
	.set _ZN7rocprim17ROCPRIM_400000_NS6detail17trampoline_kernelINS0_14default_configENS1_25partition_config_selectorILNS1_17partition_subalgoE6EyNS0_10empty_typeEbEEZZNS1_14partition_implILS5_6ELb0ES3_mN6thrust23THRUST_200600_302600_NS6detail15normal_iteratorINSA_10device_ptrIyEEEEPS6_SG_NS0_5tupleIJNSA_16discard_iteratorINSA_11use_defaultEEES6_EEENSH_IJSG_SG_EEES6_PlJNSB_9not_fun_tINSB_14equal_to_valueIyEEEEEEE10hipError_tPvRmT3_T4_T5_T6_T7_T9_mT8_P12ihipStream_tbDpT10_ENKUlT_T0_E_clISt17integral_constantIbLb1EES1A_IbLb0EEEEDaS16_S17_EUlS16_E_NS1_11comp_targetILNS1_3genE4ELNS1_11target_archE910ELNS1_3gpuE8ELNS1_3repE0EEENS1_30default_config_static_selectorELNS0_4arch9wavefront6targetE0EEEvT1_.has_indirect_call, 0
	.section	.AMDGPU.csdata,"",@progbits
; Kernel info:
; codeLenInByte = 0
; TotalNumSgprs: 0
; NumVgprs: 0
; ScratchSize: 0
; MemoryBound: 0
; FloatMode: 240
; IeeeMode: 1
; LDSByteSize: 0 bytes/workgroup (compile time only)
; SGPRBlocks: 0
; VGPRBlocks: 0
; NumSGPRsForWavesPerEU: 1
; NumVGPRsForWavesPerEU: 1
; Occupancy: 16
; WaveLimiterHint : 0
; COMPUTE_PGM_RSRC2:SCRATCH_EN: 0
; COMPUTE_PGM_RSRC2:USER_SGPR: 2
; COMPUTE_PGM_RSRC2:TRAP_HANDLER: 0
; COMPUTE_PGM_RSRC2:TGID_X_EN: 1
; COMPUTE_PGM_RSRC2:TGID_Y_EN: 0
; COMPUTE_PGM_RSRC2:TGID_Z_EN: 0
; COMPUTE_PGM_RSRC2:TIDIG_COMP_CNT: 0
	.section	.text._ZN7rocprim17ROCPRIM_400000_NS6detail17trampoline_kernelINS0_14default_configENS1_25partition_config_selectorILNS1_17partition_subalgoE6EyNS0_10empty_typeEbEEZZNS1_14partition_implILS5_6ELb0ES3_mN6thrust23THRUST_200600_302600_NS6detail15normal_iteratorINSA_10device_ptrIyEEEEPS6_SG_NS0_5tupleIJNSA_16discard_iteratorINSA_11use_defaultEEES6_EEENSH_IJSG_SG_EEES6_PlJNSB_9not_fun_tINSB_14equal_to_valueIyEEEEEEE10hipError_tPvRmT3_T4_T5_T6_T7_T9_mT8_P12ihipStream_tbDpT10_ENKUlT_T0_E_clISt17integral_constantIbLb1EES1A_IbLb0EEEEDaS16_S17_EUlS16_E_NS1_11comp_targetILNS1_3genE3ELNS1_11target_archE908ELNS1_3gpuE7ELNS1_3repE0EEENS1_30default_config_static_selectorELNS0_4arch9wavefront6targetE0EEEvT1_,"axG",@progbits,_ZN7rocprim17ROCPRIM_400000_NS6detail17trampoline_kernelINS0_14default_configENS1_25partition_config_selectorILNS1_17partition_subalgoE6EyNS0_10empty_typeEbEEZZNS1_14partition_implILS5_6ELb0ES3_mN6thrust23THRUST_200600_302600_NS6detail15normal_iteratorINSA_10device_ptrIyEEEEPS6_SG_NS0_5tupleIJNSA_16discard_iteratorINSA_11use_defaultEEES6_EEENSH_IJSG_SG_EEES6_PlJNSB_9not_fun_tINSB_14equal_to_valueIyEEEEEEE10hipError_tPvRmT3_T4_T5_T6_T7_T9_mT8_P12ihipStream_tbDpT10_ENKUlT_T0_E_clISt17integral_constantIbLb1EES1A_IbLb0EEEEDaS16_S17_EUlS16_E_NS1_11comp_targetILNS1_3genE3ELNS1_11target_archE908ELNS1_3gpuE7ELNS1_3repE0EEENS1_30default_config_static_selectorELNS0_4arch9wavefront6targetE0EEEvT1_,comdat
	.protected	_ZN7rocprim17ROCPRIM_400000_NS6detail17trampoline_kernelINS0_14default_configENS1_25partition_config_selectorILNS1_17partition_subalgoE6EyNS0_10empty_typeEbEEZZNS1_14partition_implILS5_6ELb0ES3_mN6thrust23THRUST_200600_302600_NS6detail15normal_iteratorINSA_10device_ptrIyEEEEPS6_SG_NS0_5tupleIJNSA_16discard_iteratorINSA_11use_defaultEEES6_EEENSH_IJSG_SG_EEES6_PlJNSB_9not_fun_tINSB_14equal_to_valueIyEEEEEEE10hipError_tPvRmT3_T4_T5_T6_T7_T9_mT8_P12ihipStream_tbDpT10_ENKUlT_T0_E_clISt17integral_constantIbLb1EES1A_IbLb0EEEEDaS16_S17_EUlS16_E_NS1_11comp_targetILNS1_3genE3ELNS1_11target_archE908ELNS1_3gpuE7ELNS1_3repE0EEENS1_30default_config_static_selectorELNS0_4arch9wavefront6targetE0EEEvT1_ ; -- Begin function _ZN7rocprim17ROCPRIM_400000_NS6detail17trampoline_kernelINS0_14default_configENS1_25partition_config_selectorILNS1_17partition_subalgoE6EyNS0_10empty_typeEbEEZZNS1_14partition_implILS5_6ELb0ES3_mN6thrust23THRUST_200600_302600_NS6detail15normal_iteratorINSA_10device_ptrIyEEEEPS6_SG_NS0_5tupleIJNSA_16discard_iteratorINSA_11use_defaultEEES6_EEENSH_IJSG_SG_EEES6_PlJNSB_9not_fun_tINSB_14equal_to_valueIyEEEEEEE10hipError_tPvRmT3_T4_T5_T6_T7_T9_mT8_P12ihipStream_tbDpT10_ENKUlT_T0_E_clISt17integral_constantIbLb1EES1A_IbLb0EEEEDaS16_S17_EUlS16_E_NS1_11comp_targetILNS1_3genE3ELNS1_11target_archE908ELNS1_3gpuE7ELNS1_3repE0EEENS1_30default_config_static_selectorELNS0_4arch9wavefront6targetE0EEEvT1_
	.globl	_ZN7rocprim17ROCPRIM_400000_NS6detail17trampoline_kernelINS0_14default_configENS1_25partition_config_selectorILNS1_17partition_subalgoE6EyNS0_10empty_typeEbEEZZNS1_14partition_implILS5_6ELb0ES3_mN6thrust23THRUST_200600_302600_NS6detail15normal_iteratorINSA_10device_ptrIyEEEEPS6_SG_NS0_5tupleIJNSA_16discard_iteratorINSA_11use_defaultEEES6_EEENSH_IJSG_SG_EEES6_PlJNSB_9not_fun_tINSB_14equal_to_valueIyEEEEEEE10hipError_tPvRmT3_T4_T5_T6_T7_T9_mT8_P12ihipStream_tbDpT10_ENKUlT_T0_E_clISt17integral_constantIbLb1EES1A_IbLb0EEEEDaS16_S17_EUlS16_E_NS1_11comp_targetILNS1_3genE3ELNS1_11target_archE908ELNS1_3gpuE7ELNS1_3repE0EEENS1_30default_config_static_selectorELNS0_4arch9wavefront6targetE0EEEvT1_
	.p2align	8
	.type	_ZN7rocprim17ROCPRIM_400000_NS6detail17trampoline_kernelINS0_14default_configENS1_25partition_config_selectorILNS1_17partition_subalgoE6EyNS0_10empty_typeEbEEZZNS1_14partition_implILS5_6ELb0ES3_mN6thrust23THRUST_200600_302600_NS6detail15normal_iteratorINSA_10device_ptrIyEEEEPS6_SG_NS0_5tupleIJNSA_16discard_iteratorINSA_11use_defaultEEES6_EEENSH_IJSG_SG_EEES6_PlJNSB_9not_fun_tINSB_14equal_to_valueIyEEEEEEE10hipError_tPvRmT3_T4_T5_T6_T7_T9_mT8_P12ihipStream_tbDpT10_ENKUlT_T0_E_clISt17integral_constantIbLb1EES1A_IbLb0EEEEDaS16_S17_EUlS16_E_NS1_11comp_targetILNS1_3genE3ELNS1_11target_archE908ELNS1_3gpuE7ELNS1_3repE0EEENS1_30default_config_static_selectorELNS0_4arch9wavefront6targetE0EEEvT1_,@function
_ZN7rocprim17ROCPRIM_400000_NS6detail17trampoline_kernelINS0_14default_configENS1_25partition_config_selectorILNS1_17partition_subalgoE6EyNS0_10empty_typeEbEEZZNS1_14partition_implILS5_6ELb0ES3_mN6thrust23THRUST_200600_302600_NS6detail15normal_iteratorINSA_10device_ptrIyEEEEPS6_SG_NS0_5tupleIJNSA_16discard_iteratorINSA_11use_defaultEEES6_EEENSH_IJSG_SG_EEES6_PlJNSB_9not_fun_tINSB_14equal_to_valueIyEEEEEEE10hipError_tPvRmT3_T4_T5_T6_T7_T9_mT8_P12ihipStream_tbDpT10_ENKUlT_T0_E_clISt17integral_constantIbLb1EES1A_IbLb0EEEEDaS16_S17_EUlS16_E_NS1_11comp_targetILNS1_3genE3ELNS1_11target_archE908ELNS1_3gpuE7ELNS1_3repE0EEENS1_30default_config_static_selectorELNS0_4arch9wavefront6targetE0EEEvT1_: ; @_ZN7rocprim17ROCPRIM_400000_NS6detail17trampoline_kernelINS0_14default_configENS1_25partition_config_selectorILNS1_17partition_subalgoE6EyNS0_10empty_typeEbEEZZNS1_14partition_implILS5_6ELb0ES3_mN6thrust23THRUST_200600_302600_NS6detail15normal_iteratorINSA_10device_ptrIyEEEEPS6_SG_NS0_5tupleIJNSA_16discard_iteratorINSA_11use_defaultEEES6_EEENSH_IJSG_SG_EEES6_PlJNSB_9not_fun_tINSB_14equal_to_valueIyEEEEEEE10hipError_tPvRmT3_T4_T5_T6_T7_T9_mT8_P12ihipStream_tbDpT10_ENKUlT_T0_E_clISt17integral_constantIbLb1EES1A_IbLb0EEEEDaS16_S17_EUlS16_E_NS1_11comp_targetILNS1_3genE3ELNS1_11target_archE908ELNS1_3gpuE7ELNS1_3repE0EEENS1_30default_config_static_selectorELNS0_4arch9wavefront6targetE0EEEvT1_
; %bb.0:
	.section	.rodata,"a",@progbits
	.p2align	6, 0x0
	.amdhsa_kernel _ZN7rocprim17ROCPRIM_400000_NS6detail17trampoline_kernelINS0_14default_configENS1_25partition_config_selectorILNS1_17partition_subalgoE6EyNS0_10empty_typeEbEEZZNS1_14partition_implILS5_6ELb0ES3_mN6thrust23THRUST_200600_302600_NS6detail15normal_iteratorINSA_10device_ptrIyEEEEPS6_SG_NS0_5tupleIJNSA_16discard_iteratorINSA_11use_defaultEEES6_EEENSH_IJSG_SG_EEES6_PlJNSB_9not_fun_tINSB_14equal_to_valueIyEEEEEEE10hipError_tPvRmT3_T4_T5_T6_T7_T9_mT8_P12ihipStream_tbDpT10_ENKUlT_T0_E_clISt17integral_constantIbLb1EES1A_IbLb0EEEEDaS16_S17_EUlS16_E_NS1_11comp_targetILNS1_3genE3ELNS1_11target_archE908ELNS1_3gpuE7ELNS1_3repE0EEENS1_30default_config_static_selectorELNS0_4arch9wavefront6targetE0EEEvT1_
		.amdhsa_group_segment_fixed_size 0
		.amdhsa_private_segment_fixed_size 0
		.amdhsa_kernarg_size 128
		.amdhsa_user_sgpr_count 2
		.amdhsa_user_sgpr_dispatch_ptr 0
		.amdhsa_user_sgpr_queue_ptr 0
		.amdhsa_user_sgpr_kernarg_segment_ptr 1
		.amdhsa_user_sgpr_dispatch_id 0
		.amdhsa_user_sgpr_private_segment_size 0
		.amdhsa_wavefront_size32 1
		.amdhsa_uses_dynamic_stack 0
		.amdhsa_enable_private_segment 0
		.amdhsa_system_sgpr_workgroup_id_x 1
		.amdhsa_system_sgpr_workgroup_id_y 0
		.amdhsa_system_sgpr_workgroup_id_z 0
		.amdhsa_system_sgpr_workgroup_info 0
		.amdhsa_system_vgpr_workitem_id 0
		.amdhsa_next_free_vgpr 1
		.amdhsa_next_free_sgpr 1
		.amdhsa_reserve_vcc 0
		.amdhsa_float_round_mode_32 0
		.amdhsa_float_round_mode_16_64 0
		.amdhsa_float_denorm_mode_32 3
		.amdhsa_float_denorm_mode_16_64 3
		.amdhsa_fp16_overflow 0
		.amdhsa_workgroup_processor_mode 1
		.amdhsa_memory_ordered 1
		.amdhsa_forward_progress 1
		.amdhsa_inst_pref_size 0
		.amdhsa_round_robin_scheduling 0
		.amdhsa_exception_fp_ieee_invalid_op 0
		.amdhsa_exception_fp_denorm_src 0
		.amdhsa_exception_fp_ieee_div_zero 0
		.amdhsa_exception_fp_ieee_overflow 0
		.amdhsa_exception_fp_ieee_underflow 0
		.amdhsa_exception_fp_ieee_inexact 0
		.amdhsa_exception_int_div_zero 0
	.end_amdhsa_kernel
	.section	.text._ZN7rocprim17ROCPRIM_400000_NS6detail17trampoline_kernelINS0_14default_configENS1_25partition_config_selectorILNS1_17partition_subalgoE6EyNS0_10empty_typeEbEEZZNS1_14partition_implILS5_6ELb0ES3_mN6thrust23THRUST_200600_302600_NS6detail15normal_iteratorINSA_10device_ptrIyEEEEPS6_SG_NS0_5tupleIJNSA_16discard_iteratorINSA_11use_defaultEEES6_EEENSH_IJSG_SG_EEES6_PlJNSB_9not_fun_tINSB_14equal_to_valueIyEEEEEEE10hipError_tPvRmT3_T4_T5_T6_T7_T9_mT8_P12ihipStream_tbDpT10_ENKUlT_T0_E_clISt17integral_constantIbLb1EES1A_IbLb0EEEEDaS16_S17_EUlS16_E_NS1_11comp_targetILNS1_3genE3ELNS1_11target_archE908ELNS1_3gpuE7ELNS1_3repE0EEENS1_30default_config_static_selectorELNS0_4arch9wavefront6targetE0EEEvT1_,"axG",@progbits,_ZN7rocprim17ROCPRIM_400000_NS6detail17trampoline_kernelINS0_14default_configENS1_25partition_config_selectorILNS1_17partition_subalgoE6EyNS0_10empty_typeEbEEZZNS1_14partition_implILS5_6ELb0ES3_mN6thrust23THRUST_200600_302600_NS6detail15normal_iteratorINSA_10device_ptrIyEEEEPS6_SG_NS0_5tupleIJNSA_16discard_iteratorINSA_11use_defaultEEES6_EEENSH_IJSG_SG_EEES6_PlJNSB_9not_fun_tINSB_14equal_to_valueIyEEEEEEE10hipError_tPvRmT3_T4_T5_T6_T7_T9_mT8_P12ihipStream_tbDpT10_ENKUlT_T0_E_clISt17integral_constantIbLb1EES1A_IbLb0EEEEDaS16_S17_EUlS16_E_NS1_11comp_targetILNS1_3genE3ELNS1_11target_archE908ELNS1_3gpuE7ELNS1_3repE0EEENS1_30default_config_static_selectorELNS0_4arch9wavefront6targetE0EEEvT1_,comdat
.Lfunc_end1648:
	.size	_ZN7rocprim17ROCPRIM_400000_NS6detail17trampoline_kernelINS0_14default_configENS1_25partition_config_selectorILNS1_17partition_subalgoE6EyNS0_10empty_typeEbEEZZNS1_14partition_implILS5_6ELb0ES3_mN6thrust23THRUST_200600_302600_NS6detail15normal_iteratorINSA_10device_ptrIyEEEEPS6_SG_NS0_5tupleIJNSA_16discard_iteratorINSA_11use_defaultEEES6_EEENSH_IJSG_SG_EEES6_PlJNSB_9not_fun_tINSB_14equal_to_valueIyEEEEEEE10hipError_tPvRmT3_T4_T5_T6_T7_T9_mT8_P12ihipStream_tbDpT10_ENKUlT_T0_E_clISt17integral_constantIbLb1EES1A_IbLb0EEEEDaS16_S17_EUlS16_E_NS1_11comp_targetILNS1_3genE3ELNS1_11target_archE908ELNS1_3gpuE7ELNS1_3repE0EEENS1_30default_config_static_selectorELNS0_4arch9wavefront6targetE0EEEvT1_, .Lfunc_end1648-_ZN7rocprim17ROCPRIM_400000_NS6detail17trampoline_kernelINS0_14default_configENS1_25partition_config_selectorILNS1_17partition_subalgoE6EyNS0_10empty_typeEbEEZZNS1_14partition_implILS5_6ELb0ES3_mN6thrust23THRUST_200600_302600_NS6detail15normal_iteratorINSA_10device_ptrIyEEEEPS6_SG_NS0_5tupleIJNSA_16discard_iteratorINSA_11use_defaultEEES6_EEENSH_IJSG_SG_EEES6_PlJNSB_9not_fun_tINSB_14equal_to_valueIyEEEEEEE10hipError_tPvRmT3_T4_T5_T6_T7_T9_mT8_P12ihipStream_tbDpT10_ENKUlT_T0_E_clISt17integral_constantIbLb1EES1A_IbLb0EEEEDaS16_S17_EUlS16_E_NS1_11comp_targetILNS1_3genE3ELNS1_11target_archE908ELNS1_3gpuE7ELNS1_3repE0EEENS1_30default_config_static_selectorELNS0_4arch9wavefront6targetE0EEEvT1_
                                        ; -- End function
	.set _ZN7rocprim17ROCPRIM_400000_NS6detail17trampoline_kernelINS0_14default_configENS1_25partition_config_selectorILNS1_17partition_subalgoE6EyNS0_10empty_typeEbEEZZNS1_14partition_implILS5_6ELb0ES3_mN6thrust23THRUST_200600_302600_NS6detail15normal_iteratorINSA_10device_ptrIyEEEEPS6_SG_NS0_5tupleIJNSA_16discard_iteratorINSA_11use_defaultEEES6_EEENSH_IJSG_SG_EEES6_PlJNSB_9not_fun_tINSB_14equal_to_valueIyEEEEEEE10hipError_tPvRmT3_T4_T5_T6_T7_T9_mT8_P12ihipStream_tbDpT10_ENKUlT_T0_E_clISt17integral_constantIbLb1EES1A_IbLb0EEEEDaS16_S17_EUlS16_E_NS1_11comp_targetILNS1_3genE3ELNS1_11target_archE908ELNS1_3gpuE7ELNS1_3repE0EEENS1_30default_config_static_selectorELNS0_4arch9wavefront6targetE0EEEvT1_.num_vgpr, 0
	.set _ZN7rocprim17ROCPRIM_400000_NS6detail17trampoline_kernelINS0_14default_configENS1_25partition_config_selectorILNS1_17partition_subalgoE6EyNS0_10empty_typeEbEEZZNS1_14partition_implILS5_6ELb0ES3_mN6thrust23THRUST_200600_302600_NS6detail15normal_iteratorINSA_10device_ptrIyEEEEPS6_SG_NS0_5tupleIJNSA_16discard_iteratorINSA_11use_defaultEEES6_EEENSH_IJSG_SG_EEES6_PlJNSB_9not_fun_tINSB_14equal_to_valueIyEEEEEEE10hipError_tPvRmT3_T4_T5_T6_T7_T9_mT8_P12ihipStream_tbDpT10_ENKUlT_T0_E_clISt17integral_constantIbLb1EES1A_IbLb0EEEEDaS16_S17_EUlS16_E_NS1_11comp_targetILNS1_3genE3ELNS1_11target_archE908ELNS1_3gpuE7ELNS1_3repE0EEENS1_30default_config_static_selectorELNS0_4arch9wavefront6targetE0EEEvT1_.num_agpr, 0
	.set _ZN7rocprim17ROCPRIM_400000_NS6detail17trampoline_kernelINS0_14default_configENS1_25partition_config_selectorILNS1_17partition_subalgoE6EyNS0_10empty_typeEbEEZZNS1_14partition_implILS5_6ELb0ES3_mN6thrust23THRUST_200600_302600_NS6detail15normal_iteratorINSA_10device_ptrIyEEEEPS6_SG_NS0_5tupleIJNSA_16discard_iteratorINSA_11use_defaultEEES6_EEENSH_IJSG_SG_EEES6_PlJNSB_9not_fun_tINSB_14equal_to_valueIyEEEEEEE10hipError_tPvRmT3_T4_T5_T6_T7_T9_mT8_P12ihipStream_tbDpT10_ENKUlT_T0_E_clISt17integral_constantIbLb1EES1A_IbLb0EEEEDaS16_S17_EUlS16_E_NS1_11comp_targetILNS1_3genE3ELNS1_11target_archE908ELNS1_3gpuE7ELNS1_3repE0EEENS1_30default_config_static_selectorELNS0_4arch9wavefront6targetE0EEEvT1_.numbered_sgpr, 0
	.set _ZN7rocprim17ROCPRIM_400000_NS6detail17trampoline_kernelINS0_14default_configENS1_25partition_config_selectorILNS1_17partition_subalgoE6EyNS0_10empty_typeEbEEZZNS1_14partition_implILS5_6ELb0ES3_mN6thrust23THRUST_200600_302600_NS6detail15normal_iteratorINSA_10device_ptrIyEEEEPS6_SG_NS0_5tupleIJNSA_16discard_iteratorINSA_11use_defaultEEES6_EEENSH_IJSG_SG_EEES6_PlJNSB_9not_fun_tINSB_14equal_to_valueIyEEEEEEE10hipError_tPvRmT3_T4_T5_T6_T7_T9_mT8_P12ihipStream_tbDpT10_ENKUlT_T0_E_clISt17integral_constantIbLb1EES1A_IbLb0EEEEDaS16_S17_EUlS16_E_NS1_11comp_targetILNS1_3genE3ELNS1_11target_archE908ELNS1_3gpuE7ELNS1_3repE0EEENS1_30default_config_static_selectorELNS0_4arch9wavefront6targetE0EEEvT1_.num_named_barrier, 0
	.set _ZN7rocprim17ROCPRIM_400000_NS6detail17trampoline_kernelINS0_14default_configENS1_25partition_config_selectorILNS1_17partition_subalgoE6EyNS0_10empty_typeEbEEZZNS1_14partition_implILS5_6ELb0ES3_mN6thrust23THRUST_200600_302600_NS6detail15normal_iteratorINSA_10device_ptrIyEEEEPS6_SG_NS0_5tupleIJNSA_16discard_iteratorINSA_11use_defaultEEES6_EEENSH_IJSG_SG_EEES6_PlJNSB_9not_fun_tINSB_14equal_to_valueIyEEEEEEE10hipError_tPvRmT3_T4_T5_T6_T7_T9_mT8_P12ihipStream_tbDpT10_ENKUlT_T0_E_clISt17integral_constantIbLb1EES1A_IbLb0EEEEDaS16_S17_EUlS16_E_NS1_11comp_targetILNS1_3genE3ELNS1_11target_archE908ELNS1_3gpuE7ELNS1_3repE0EEENS1_30default_config_static_selectorELNS0_4arch9wavefront6targetE0EEEvT1_.private_seg_size, 0
	.set _ZN7rocprim17ROCPRIM_400000_NS6detail17trampoline_kernelINS0_14default_configENS1_25partition_config_selectorILNS1_17partition_subalgoE6EyNS0_10empty_typeEbEEZZNS1_14partition_implILS5_6ELb0ES3_mN6thrust23THRUST_200600_302600_NS6detail15normal_iteratorINSA_10device_ptrIyEEEEPS6_SG_NS0_5tupleIJNSA_16discard_iteratorINSA_11use_defaultEEES6_EEENSH_IJSG_SG_EEES6_PlJNSB_9not_fun_tINSB_14equal_to_valueIyEEEEEEE10hipError_tPvRmT3_T4_T5_T6_T7_T9_mT8_P12ihipStream_tbDpT10_ENKUlT_T0_E_clISt17integral_constantIbLb1EES1A_IbLb0EEEEDaS16_S17_EUlS16_E_NS1_11comp_targetILNS1_3genE3ELNS1_11target_archE908ELNS1_3gpuE7ELNS1_3repE0EEENS1_30default_config_static_selectorELNS0_4arch9wavefront6targetE0EEEvT1_.uses_vcc, 0
	.set _ZN7rocprim17ROCPRIM_400000_NS6detail17trampoline_kernelINS0_14default_configENS1_25partition_config_selectorILNS1_17partition_subalgoE6EyNS0_10empty_typeEbEEZZNS1_14partition_implILS5_6ELb0ES3_mN6thrust23THRUST_200600_302600_NS6detail15normal_iteratorINSA_10device_ptrIyEEEEPS6_SG_NS0_5tupleIJNSA_16discard_iteratorINSA_11use_defaultEEES6_EEENSH_IJSG_SG_EEES6_PlJNSB_9not_fun_tINSB_14equal_to_valueIyEEEEEEE10hipError_tPvRmT3_T4_T5_T6_T7_T9_mT8_P12ihipStream_tbDpT10_ENKUlT_T0_E_clISt17integral_constantIbLb1EES1A_IbLb0EEEEDaS16_S17_EUlS16_E_NS1_11comp_targetILNS1_3genE3ELNS1_11target_archE908ELNS1_3gpuE7ELNS1_3repE0EEENS1_30default_config_static_selectorELNS0_4arch9wavefront6targetE0EEEvT1_.uses_flat_scratch, 0
	.set _ZN7rocprim17ROCPRIM_400000_NS6detail17trampoline_kernelINS0_14default_configENS1_25partition_config_selectorILNS1_17partition_subalgoE6EyNS0_10empty_typeEbEEZZNS1_14partition_implILS5_6ELb0ES3_mN6thrust23THRUST_200600_302600_NS6detail15normal_iteratorINSA_10device_ptrIyEEEEPS6_SG_NS0_5tupleIJNSA_16discard_iteratorINSA_11use_defaultEEES6_EEENSH_IJSG_SG_EEES6_PlJNSB_9not_fun_tINSB_14equal_to_valueIyEEEEEEE10hipError_tPvRmT3_T4_T5_T6_T7_T9_mT8_P12ihipStream_tbDpT10_ENKUlT_T0_E_clISt17integral_constantIbLb1EES1A_IbLb0EEEEDaS16_S17_EUlS16_E_NS1_11comp_targetILNS1_3genE3ELNS1_11target_archE908ELNS1_3gpuE7ELNS1_3repE0EEENS1_30default_config_static_selectorELNS0_4arch9wavefront6targetE0EEEvT1_.has_dyn_sized_stack, 0
	.set _ZN7rocprim17ROCPRIM_400000_NS6detail17trampoline_kernelINS0_14default_configENS1_25partition_config_selectorILNS1_17partition_subalgoE6EyNS0_10empty_typeEbEEZZNS1_14partition_implILS5_6ELb0ES3_mN6thrust23THRUST_200600_302600_NS6detail15normal_iteratorINSA_10device_ptrIyEEEEPS6_SG_NS0_5tupleIJNSA_16discard_iteratorINSA_11use_defaultEEES6_EEENSH_IJSG_SG_EEES6_PlJNSB_9not_fun_tINSB_14equal_to_valueIyEEEEEEE10hipError_tPvRmT3_T4_T5_T6_T7_T9_mT8_P12ihipStream_tbDpT10_ENKUlT_T0_E_clISt17integral_constantIbLb1EES1A_IbLb0EEEEDaS16_S17_EUlS16_E_NS1_11comp_targetILNS1_3genE3ELNS1_11target_archE908ELNS1_3gpuE7ELNS1_3repE0EEENS1_30default_config_static_selectorELNS0_4arch9wavefront6targetE0EEEvT1_.has_recursion, 0
	.set _ZN7rocprim17ROCPRIM_400000_NS6detail17trampoline_kernelINS0_14default_configENS1_25partition_config_selectorILNS1_17partition_subalgoE6EyNS0_10empty_typeEbEEZZNS1_14partition_implILS5_6ELb0ES3_mN6thrust23THRUST_200600_302600_NS6detail15normal_iteratorINSA_10device_ptrIyEEEEPS6_SG_NS0_5tupleIJNSA_16discard_iteratorINSA_11use_defaultEEES6_EEENSH_IJSG_SG_EEES6_PlJNSB_9not_fun_tINSB_14equal_to_valueIyEEEEEEE10hipError_tPvRmT3_T4_T5_T6_T7_T9_mT8_P12ihipStream_tbDpT10_ENKUlT_T0_E_clISt17integral_constantIbLb1EES1A_IbLb0EEEEDaS16_S17_EUlS16_E_NS1_11comp_targetILNS1_3genE3ELNS1_11target_archE908ELNS1_3gpuE7ELNS1_3repE0EEENS1_30default_config_static_selectorELNS0_4arch9wavefront6targetE0EEEvT1_.has_indirect_call, 0
	.section	.AMDGPU.csdata,"",@progbits
; Kernel info:
; codeLenInByte = 0
; TotalNumSgprs: 0
; NumVgprs: 0
; ScratchSize: 0
; MemoryBound: 0
; FloatMode: 240
; IeeeMode: 1
; LDSByteSize: 0 bytes/workgroup (compile time only)
; SGPRBlocks: 0
; VGPRBlocks: 0
; NumSGPRsForWavesPerEU: 1
; NumVGPRsForWavesPerEU: 1
; Occupancy: 16
; WaveLimiterHint : 0
; COMPUTE_PGM_RSRC2:SCRATCH_EN: 0
; COMPUTE_PGM_RSRC2:USER_SGPR: 2
; COMPUTE_PGM_RSRC2:TRAP_HANDLER: 0
; COMPUTE_PGM_RSRC2:TGID_X_EN: 1
; COMPUTE_PGM_RSRC2:TGID_Y_EN: 0
; COMPUTE_PGM_RSRC2:TGID_Z_EN: 0
; COMPUTE_PGM_RSRC2:TIDIG_COMP_CNT: 0
	.section	.text._ZN7rocprim17ROCPRIM_400000_NS6detail17trampoline_kernelINS0_14default_configENS1_25partition_config_selectorILNS1_17partition_subalgoE6EyNS0_10empty_typeEbEEZZNS1_14partition_implILS5_6ELb0ES3_mN6thrust23THRUST_200600_302600_NS6detail15normal_iteratorINSA_10device_ptrIyEEEEPS6_SG_NS0_5tupleIJNSA_16discard_iteratorINSA_11use_defaultEEES6_EEENSH_IJSG_SG_EEES6_PlJNSB_9not_fun_tINSB_14equal_to_valueIyEEEEEEE10hipError_tPvRmT3_T4_T5_T6_T7_T9_mT8_P12ihipStream_tbDpT10_ENKUlT_T0_E_clISt17integral_constantIbLb1EES1A_IbLb0EEEEDaS16_S17_EUlS16_E_NS1_11comp_targetILNS1_3genE2ELNS1_11target_archE906ELNS1_3gpuE6ELNS1_3repE0EEENS1_30default_config_static_selectorELNS0_4arch9wavefront6targetE0EEEvT1_,"axG",@progbits,_ZN7rocprim17ROCPRIM_400000_NS6detail17trampoline_kernelINS0_14default_configENS1_25partition_config_selectorILNS1_17partition_subalgoE6EyNS0_10empty_typeEbEEZZNS1_14partition_implILS5_6ELb0ES3_mN6thrust23THRUST_200600_302600_NS6detail15normal_iteratorINSA_10device_ptrIyEEEEPS6_SG_NS0_5tupleIJNSA_16discard_iteratorINSA_11use_defaultEEES6_EEENSH_IJSG_SG_EEES6_PlJNSB_9not_fun_tINSB_14equal_to_valueIyEEEEEEE10hipError_tPvRmT3_T4_T5_T6_T7_T9_mT8_P12ihipStream_tbDpT10_ENKUlT_T0_E_clISt17integral_constantIbLb1EES1A_IbLb0EEEEDaS16_S17_EUlS16_E_NS1_11comp_targetILNS1_3genE2ELNS1_11target_archE906ELNS1_3gpuE6ELNS1_3repE0EEENS1_30default_config_static_selectorELNS0_4arch9wavefront6targetE0EEEvT1_,comdat
	.protected	_ZN7rocprim17ROCPRIM_400000_NS6detail17trampoline_kernelINS0_14default_configENS1_25partition_config_selectorILNS1_17partition_subalgoE6EyNS0_10empty_typeEbEEZZNS1_14partition_implILS5_6ELb0ES3_mN6thrust23THRUST_200600_302600_NS6detail15normal_iteratorINSA_10device_ptrIyEEEEPS6_SG_NS0_5tupleIJNSA_16discard_iteratorINSA_11use_defaultEEES6_EEENSH_IJSG_SG_EEES6_PlJNSB_9not_fun_tINSB_14equal_to_valueIyEEEEEEE10hipError_tPvRmT3_T4_T5_T6_T7_T9_mT8_P12ihipStream_tbDpT10_ENKUlT_T0_E_clISt17integral_constantIbLb1EES1A_IbLb0EEEEDaS16_S17_EUlS16_E_NS1_11comp_targetILNS1_3genE2ELNS1_11target_archE906ELNS1_3gpuE6ELNS1_3repE0EEENS1_30default_config_static_selectorELNS0_4arch9wavefront6targetE0EEEvT1_ ; -- Begin function _ZN7rocprim17ROCPRIM_400000_NS6detail17trampoline_kernelINS0_14default_configENS1_25partition_config_selectorILNS1_17partition_subalgoE6EyNS0_10empty_typeEbEEZZNS1_14partition_implILS5_6ELb0ES3_mN6thrust23THRUST_200600_302600_NS6detail15normal_iteratorINSA_10device_ptrIyEEEEPS6_SG_NS0_5tupleIJNSA_16discard_iteratorINSA_11use_defaultEEES6_EEENSH_IJSG_SG_EEES6_PlJNSB_9not_fun_tINSB_14equal_to_valueIyEEEEEEE10hipError_tPvRmT3_T4_T5_T6_T7_T9_mT8_P12ihipStream_tbDpT10_ENKUlT_T0_E_clISt17integral_constantIbLb1EES1A_IbLb0EEEEDaS16_S17_EUlS16_E_NS1_11comp_targetILNS1_3genE2ELNS1_11target_archE906ELNS1_3gpuE6ELNS1_3repE0EEENS1_30default_config_static_selectorELNS0_4arch9wavefront6targetE0EEEvT1_
	.globl	_ZN7rocprim17ROCPRIM_400000_NS6detail17trampoline_kernelINS0_14default_configENS1_25partition_config_selectorILNS1_17partition_subalgoE6EyNS0_10empty_typeEbEEZZNS1_14partition_implILS5_6ELb0ES3_mN6thrust23THRUST_200600_302600_NS6detail15normal_iteratorINSA_10device_ptrIyEEEEPS6_SG_NS0_5tupleIJNSA_16discard_iteratorINSA_11use_defaultEEES6_EEENSH_IJSG_SG_EEES6_PlJNSB_9not_fun_tINSB_14equal_to_valueIyEEEEEEE10hipError_tPvRmT3_T4_T5_T6_T7_T9_mT8_P12ihipStream_tbDpT10_ENKUlT_T0_E_clISt17integral_constantIbLb1EES1A_IbLb0EEEEDaS16_S17_EUlS16_E_NS1_11comp_targetILNS1_3genE2ELNS1_11target_archE906ELNS1_3gpuE6ELNS1_3repE0EEENS1_30default_config_static_selectorELNS0_4arch9wavefront6targetE0EEEvT1_
	.p2align	8
	.type	_ZN7rocprim17ROCPRIM_400000_NS6detail17trampoline_kernelINS0_14default_configENS1_25partition_config_selectorILNS1_17partition_subalgoE6EyNS0_10empty_typeEbEEZZNS1_14partition_implILS5_6ELb0ES3_mN6thrust23THRUST_200600_302600_NS6detail15normal_iteratorINSA_10device_ptrIyEEEEPS6_SG_NS0_5tupleIJNSA_16discard_iteratorINSA_11use_defaultEEES6_EEENSH_IJSG_SG_EEES6_PlJNSB_9not_fun_tINSB_14equal_to_valueIyEEEEEEE10hipError_tPvRmT3_T4_T5_T6_T7_T9_mT8_P12ihipStream_tbDpT10_ENKUlT_T0_E_clISt17integral_constantIbLb1EES1A_IbLb0EEEEDaS16_S17_EUlS16_E_NS1_11comp_targetILNS1_3genE2ELNS1_11target_archE906ELNS1_3gpuE6ELNS1_3repE0EEENS1_30default_config_static_selectorELNS0_4arch9wavefront6targetE0EEEvT1_,@function
_ZN7rocprim17ROCPRIM_400000_NS6detail17trampoline_kernelINS0_14default_configENS1_25partition_config_selectorILNS1_17partition_subalgoE6EyNS0_10empty_typeEbEEZZNS1_14partition_implILS5_6ELb0ES3_mN6thrust23THRUST_200600_302600_NS6detail15normal_iteratorINSA_10device_ptrIyEEEEPS6_SG_NS0_5tupleIJNSA_16discard_iteratorINSA_11use_defaultEEES6_EEENSH_IJSG_SG_EEES6_PlJNSB_9not_fun_tINSB_14equal_to_valueIyEEEEEEE10hipError_tPvRmT3_T4_T5_T6_T7_T9_mT8_P12ihipStream_tbDpT10_ENKUlT_T0_E_clISt17integral_constantIbLb1EES1A_IbLb0EEEEDaS16_S17_EUlS16_E_NS1_11comp_targetILNS1_3genE2ELNS1_11target_archE906ELNS1_3gpuE6ELNS1_3repE0EEENS1_30default_config_static_selectorELNS0_4arch9wavefront6targetE0EEEvT1_: ; @_ZN7rocprim17ROCPRIM_400000_NS6detail17trampoline_kernelINS0_14default_configENS1_25partition_config_selectorILNS1_17partition_subalgoE6EyNS0_10empty_typeEbEEZZNS1_14partition_implILS5_6ELb0ES3_mN6thrust23THRUST_200600_302600_NS6detail15normal_iteratorINSA_10device_ptrIyEEEEPS6_SG_NS0_5tupleIJNSA_16discard_iteratorINSA_11use_defaultEEES6_EEENSH_IJSG_SG_EEES6_PlJNSB_9not_fun_tINSB_14equal_to_valueIyEEEEEEE10hipError_tPvRmT3_T4_T5_T6_T7_T9_mT8_P12ihipStream_tbDpT10_ENKUlT_T0_E_clISt17integral_constantIbLb1EES1A_IbLb0EEEEDaS16_S17_EUlS16_E_NS1_11comp_targetILNS1_3genE2ELNS1_11target_archE906ELNS1_3gpuE6ELNS1_3repE0EEENS1_30default_config_static_selectorELNS0_4arch9wavefront6targetE0EEEvT1_
; %bb.0:
	.section	.rodata,"a",@progbits
	.p2align	6, 0x0
	.amdhsa_kernel _ZN7rocprim17ROCPRIM_400000_NS6detail17trampoline_kernelINS0_14default_configENS1_25partition_config_selectorILNS1_17partition_subalgoE6EyNS0_10empty_typeEbEEZZNS1_14partition_implILS5_6ELb0ES3_mN6thrust23THRUST_200600_302600_NS6detail15normal_iteratorINSA_10device_ptrIyEEEEPS6_SG_NS0_5tupleIJNSA_16discard_iteratorINSA_11use_defaultEEES6_EEENSH_IJSG_SG_EEES6_PlJNSB_9not_fun_tINSB_14equal_to_valueIyEEEEEEE10hipError_tPvRmT3_T4_T5_T6_T7_T9_mT8_P12ihipStream_tbDpT10_ENKUlT_T0_E_clISt17integral_constantIbLb1EES1A_IbLb0EEEEDaS16_S17_EUlS16_E_NS1_11comp_targetILNS1_3genE2ELNS1_11target_archE906ELNS1_3gpuE6ELNS1_3repE0EEENS1_30default_config_static_selectorELNS0_4arch9wavefront6targetE0EEEvT1_
		.amdhsa_group_segment_fixed_size 0
		.amdhsa_private_segment_fixed_size 0
		.amdhsa_kernarg_size 128
		.amdhsa_user_sgpr_count 2
		.amdhsa_user_sgpr_dispatch_ptr 0
		.amdhsa_user_sgpr_queue_ptr 0
		.amdhsa_user_sgpr_kernarg_segment_ptr 1
		.amdhsa_user_sgpr_dispatch_id 0
		.amdhsa_user_sgpr_private_segment_size 0
		.amdhsa_wavefront_size32 1
		.amdhsa_uses_dynamic_stack 0
		.amdhsa_enable_private_segment 0
		.amdhsa_system_sgpr_workgroup_id_x 1
		.amdhsa_system_sgpr_workgroup_id_y 0
		.amdhsa_system_sgpr_workgroup_id_z 0
		.amdhsa_system_sgpr_workgroup_info 0
		.amdhsa_system_vgpr_workitem_id 0
		.amdhsa_next_free_vgpr 1
		.amdhsa_next_free_sgpr 1
		.amdhsa_reserve_vcc 0
		.amdhsa_float_round_mode_32 0
		.amdhsa_float_round_mode_16_64 0
		.amdhsa_float_denorm_mode_32 3
		.amdhsa_float_denorm_mode_16_64 3
		.amdhsa_fp16_overflow 0
		.amdhsa_workgroup_processor_mode 1
		.amdhsa_memory_ordered 1
		.amdhsa_forward_progress 1
		.amdhsa_inst_pref_size 0
		.amdhsa_round_robin_scheduling 0
		.amdhsa_exception_fp_ieee_invalid_op 0
		.amdhsa_exception_fp_denorm_src 0
		.amdhsa_exception_fp_ieee_div_zero 0
		.amdhsa_exception_fp_ieee_overflow 0
		.amdhsa_exception_fp_ieee_underflow 0
		.amdhsa_exception_fp_ieee_inexact 0
		.amdhsa_exception_int_div_zero 0
	.end_amdhsa_kernel
	.section	.text._ZN7rocprim17ROCPRIM_400000_NS6detail17trampoline_kernelINS0_14default_configENS1_25partition_config_selectorILNS1_17partition_subalgoE6EyNS0_10empty_typeEbEEZZNS1_14partition_implILS5_6ELb0ES3_mN6thrust23THRUST_200600_302600_NS6detail15normal_iteratorINSA_10device_ptrIyEEEEPS6_SG_NS0_5tupleIJNSA_16discard_iteratorINSA_11use_defaultEEES6_EEENSH_IJSG_SG_EEES6_PlJNSB_9not_fun_tINSB_14equal_to_valueIyEEEEEEE10hipError_tPvRmT3_T4_T5_T6_T7_T9_mT8_P12ihipStream_tbDpT10_ENKUlT_T0_E_clISt17integral_constantIbLb1EES1A_IbLb0EEEEDaS16_S17_EUlS16_E_NS1_11comp_targetILNS1_3genE2ELNS1_11target_archE906ELNS1_3gpuE6ELNS1_3repE0EEENS1_30default_config_static_selectorELNS0_4arch9wavefront6targetE0EEEvT1_,"axG",@progbits,_ZN7rocprim17ROCPRIM_400000_NS6detail17trampoline_kernelINS0_14default_configENS1_25partition_config_selectorILNS1_17partition_subalgoE6EyNS0_10empty_typeEbEEZZNS1_14partition_implILS5_6ELb0ES3_mN6thrust23THRUST_200600_302600_NS6detail15normal_iteratorINSA_10device_ptrIyEEEEPS6_SG_NS0_5tupleIJNSA_16discard_iteratorINSA_11use_defaultEEES6_EEENSH_IJSG_SG_EEES6_PlJNSB_9not_fun_tINSB_14equal_to_valueIyEEEEEEE10hipError_tPvRmT3_T4_T5_T6_T7_T9_mT8_P12ihipStream_tbDpT10_ENKUlT_T0_E_clISt17integral_constantIbLb1EES1A_IbLb0EEEEDaS16_S17_EUlS16_E_NS1_11comp_targetILNS1_3genE2ELNS1_11target_archE906ELNS1_3gpuE6ELNS1_3repE0EEENS1_30default_config_static_selectorELNS0_4arch9wavefront6targetE0EEEvT1_,comdat
.Lfunc_end1649:
	.size	_ZN7rocprim17ROCPRIM_400000_NS6detail17trampoline_kernelINS0_14default_configENS1_25partition_config_selectorILNS1_17partition_subalgoE6EyNS0_10empty_typeEbEEZZNS1_14partition_implILS5_6ELb0ES3_mN6thrust23THRUST_200600_302600_NS6detail15normal_iteratorINSA_10device_ptrIyEEEEPS6_SG_NS0_5tupleIJNSA_16discard_iteratorINSA_11use_defaultEEES6_EEENSH_IJSG_SG_EEES6_PlJNSB_9not_fun_tINSB_14equal_to_valueIyEEEEEEE10hipError_tPvRmT3_T4_T5_T6_T7_T9_mT8_P12ihipStream_tbDpT10_ENKUlT_T0_E_clISt17integral_constantIbLb1EES1A_IbLb0EEEEDaS16_S17_EUlS16_E_NS1_11comp_targetILNS1_3genE2ELNS1_11target_archE906ELNS1_3gpuE6ELNS1_3repE0EEENS1_30default_config_static_selectorELNS0_4arch9wavefront6targetE0EEEvT1_, .Lfunc_end1649-_ZN7rocprim17ROCPRIM_400000_NS6detail17trampoline_kernelINS0_14default_configENS1_25partition_config_selectorILNS1_17partition_subalgoE6EyNS0_10empty_typeEbEEZZNS1_14partition_implILS5_6ELb0ES3_mN6thrust23THRUST_200600_302600_NS6detail15normal_iteratorINSA_10device_ptrIyEEEEPS6_SG_NS0_5tupleIJNSA_16discard_iteratorINSA_11use_defaultEEES6_EEENSH_IJSG_SG_EEES6_PlJNSB_9not_fun_tINSB_14equal_to_valueIyEEEEEEE10hipError_tPvRmT3_T4_T5_T6_T7_T9_mT8_P12ihipStream_tbDpT10_ENKUlT_T0_E_clISt17integral_constantIbLb1EES1A_IbLb0EEEEDaS16_S17_EUlS16_E_NS1_11comp_targetILNS1_3genE2ELNS1_11target_archE906ELNS1_3gpuE6ELNS1_3repE0EEENS1_30default_config_static_selectorELNS0_4arch9wavefront6targetE0EEEvT1_
                                        ; -- End function
	.set _ZN7rocprim17ROCPRIM_400000_NS6detail17trampoline_kernelINS0_14default_configENS1_25partition_config_selectorILNS1_17partition_subalgoE6EyNS0_10empty_typeEbEEZZNS1_14partition_implILS5_6ELb0ES3_mN6thrust23THRUST_200600_302600_NS6detail15normal_iteratorINSA_10device_ptrIyEEEEPS6_SG_NS0_5tupleIJNSA_16discard_iteratorINSA_11use_defaultEEES6_EEENSH_IJSG_SG_EEES6_PlJNSB_9not_fun_tINSB_14equal_to_valueIyEEEEEEE10hipError_tPvRmT3_T4_T5_T6_T7_T9_mT8_P12ihipStream_tbDpT10_ENKUlT_T0_E_clISt17integral_constantIbLb1EES1A_IbLb0EEEEDaS16_S17_EUlS16_E_NS1_11comp_targetILNS1_3genE2ELNS1_11target_archE906ELNS1_3gpuE6ELNS1_3repE0EEENS1_30default_config_static_selectorELNS0_4arch9wavefront6targetE0EEEvT1_.num_vgpr, 0
	.set _ZN7rocprim17ROCPRIM_400000_NS6detail17trampoline_kernelINS0_14default_configENS1_25partition_config_selectorILNS1_17partition_subalgoE6EyNS0_10empty_typeEbEEZZNS1_14partition_implILS5_6ELb0ES3_mN6thrust23THRUST_200600_302600_NS6detail15normal_iteratorINSA_10device_ptrIyEEEEPS6_SG_NS0_5tupleIJNSA_16discard_iteratorINSA_11use_defaultEEES6_EEENSH_IJSG_SG_EEES6_PlJNSB_9not_fun_tINSB_14equal_to_valueIyEEEEEEE10hipError_tPvRmT3_T4_T5_T6_T7_T9_mT8_P12ihipStream_tbDpT10_ENKUlT_T0_E_clISt17integral_constantIbLb1EES1A_IbLb0EEEEDaS16_S17_EUlS16_E_NS1_11comp_targetILNS1_3genE2ELNS1_11target_archE906ELNS1_3gpuE6ELNS1_3repE0EEENS1_30default_config_static_selectorELNS0_4arch9wavefront6targetE0EEEvT1_.num_agpr, 0
	.set _ZN7rocprim17ROCPRIM_400000_NS6detail17trampoline_kernelINS0_14default_configENS1_25partition_config_selectorILNS1_17partition_subalgoE6EyNS0_10empty_typeEbEEZZNS1_14partition_implILS5_6ELb0ES3_mN6thrust23THRUST_200600_302600_NS6detail15normal_iteratorINSA_10device_ptrIyEEEEPS6_SG_NS0_5tupleIJNSA_16discard_iteratorINSA_11use_defaultEEES6_EEENSH_IJSG_SG_EEES6_PlJNSB_9not_fun_tINSB_14equal_to_valueIyEEEEEEE10hipError_tPvRmT3_T4_T5_T6_T7_T9_mT8_P12ihipStream_tbDpT10_ENKUlT_T0_E_clISt17integral_constantIbLb1EES1A_IbLb0EEEEDaS16_S17_EUlS16_E_NS1_11comp_targetILNS1_3genE2ELNS1_11target_archE906ELNS1_3gpuE6ELNS1_3repE0EEENS1_30default_config_static_selectorELNS0_4arch9wavefront6targetE0EEEvT1_.numbered_sgpr, 0
	.set _ZN7rocprim17ROCPRIM_400000_NS6detail17trampoline_kernelINS0_14default_configENS1_25partition_config_selectorILNS1_17partition_subalgoE6EyNS0_10empty_typeEbEEZZNS1_14partition_implILS5_6ELb0ES3_mN6thrust23THRUST_200600_302600_NS6detail15normal_iteratorINSA_10device_ptrIyEEEEPS6_SG_NS0_5tupleIJNSA_16discard_iteratorINSA_11use_defaultEEES6_EEENSH_IJSG_SG_EEES6_PlJNSB_9not_fun_tINSB_14equal_to_valueIyEEEEEEE10hipError_tPvRmT3_T4_T5_T6_T7_T9_mT8_P12ihipStream_tbDpT10_ENKUlT_T0_E_clISt17integral_constantIbLb1EES1A_IbLb0EEEEDaS16_S17_EUlS16_E_NS1_11comp_targetILNS1_3genE2ELNS1_11target_archE906ELNS1_3gpuE6ELNS1_3repE0EEENS1_30default_config_static_selectorELNS0_4arch9wavefront6targetE0EEEvT1_.num_named_barrier, 0
	.set _ZN7rocprim17ROCPRIM_400000_NS6detail17trampoline_kernelINS0_14default_configENS1_25partition_config_selectorILNS1_17partition_subalgoE6EyNS0_10empty_typeEbEEZZNS1_14partition_implILS5_6ELb0ES3_mN6thrust23THRUST_200600_302600_NS6detail15normal_iteratorINSA_10device_ptrIyEEEEPS6_SG_NS0_5tupleIJNSA_16discard_iteratorINSA_11use_defaultEEES6_EEENSH_IJSG_SG_EEES6_PlJNSB_9not_fun_tINSB_14equal_to_valueIyEEEEEEE10hipError_tPvRmT3_T4_T5_T6_T7_T9_mT8_P12ihipStream_tbDpT10_ENKUlT_T0_E_clISt17integral_constantIbLb1EES1A_IbLb0EEEEDaS16_S17_EUlS16_E_NS1_11comp_targetILNS1_3genE2ELNS1_11target_archE906ELNS1_3gpuE6ELNS1_3repE0EEENS1_30default_config_static_selectorELNS0_4arch9wavefront6targetE0EEEvT1_.private_seg_size, 0
	.set _ZN7rocprim17ROCPRIM_400000_NS6detail17trampoline_kernelINS0_14default_configENS1_25partition_config_selectorILNS1_17partition_subalgoE6EyNS0_10empty_typeEbEEZZNS1_14partition_implILS5_6ELb0ES3_mN6thrust23THRUST_200600_302600_NS6detail15normal_iteratorINSA_10device_ptrIyEEEEPS6_SG_NS0_5tupleIJNSA_16discard_iteratorINSA_11use_defaultEEES6_EEENSH_IJSG_SG_EEES6_PlJNSB_9not_fun_tINSB_14equal_to_valueIyEEEEEEE10hipError_tPvRmT3_T4_T5_T6_T7_T9_mT8_P12ihipStream_tbDpT10_ENKUlT_T0_E_clISt17integral_constantIbLb1EES1A_IbLb0EEEEDaS16_S17_EUlS16_E_NS1_11comp_targetILNS1_3genE2ELNS1_11target_archE906ELNS1_3gpuE6ELNS1_3repE0EEENS1_30default_config_static_selectorELNS0_4arch9wavefront6targetE0EEEvT1_.uses_vcc, 0
	.set _ZN7rocprim17ROCPRIM_400000_NS6detail17trampoline_kernelINS0_14default_configENS1_25partition_config_selectorILNS1_17partition_subalgoE6EyNS0_10empty_typeEbEEZZNS1_14partition_implILS5_6ELb0ES3_mN6thrust23THRUST_200600_302600_NS6detail15normal_iteratorINSA_10device_ptrIyEEEEPS6_SG_NS0_5tupleIJNSA_16discard_iteratorINSA_11use_defaultEEES6_EEENSH_IJSG_SG_EEES6_PlJNSB_9not_fun_tINSB_14equal_to_valueIyEEEEEEE10hipError_tPvRmT3_T4_T5_T6_T7_T9_mT8_P12ihipStream_tbDpT10_ENKUlT_T0_E_clISt17integral_constantIbLb1EES1A_IbLb0EEEEDaS16_S17_EUlS16_E_NS1_11comp_targetILNS1_3genE2ELNS1_11target_archE906ELNS1_3gpuE6ELNS1_3repE0EEENS1_30default_config_static_selectorELNS0_4arch9wavefront6targetE0EEEvT1_.uses_flat_scratch, 0
	.set _ZN7rocprim17ROCPRIM_400000_NS6detail17trampoline_kernelINS0_14default_configENS1_25partition_config_selectorILNS1_17partition_subalgoE6EyNS0_10empty_typeEbEEZZNS1_14partition_implILS5_6ELb0ES3_mN6thrust23THRUST_200600_302600_NS6detail15normal_iteratorINSA_10device_ptrIyEEEEPS6_SG_NS0_5tupleIJNSA_16discard_iteratorINSA_11use_defaultEEES6_EEENSH_IJSG_SG_EEES6_PlJNSB_9not_fun_tINSB_14equal_to_valueIyEEEEEEE10hipError_tPvRmT3_T4_T5_T6_T7_T9_mT8_P12ihipStream_tbDpT10_ENKUlT_T0_E_clISt17integral_constantIbLb1EES1A_IbLb0EEEEDaS16_S17_EUlS16_E_NS1_11comp_targetILNS1_3genE2ELNS1_11target_archE906ELNS1_3gpuE6ELNS1_3repE0EEENS1_30default_config_static_selectorELNS0_4arch9wavefront6targetE0EEEvT1_.has_dyn_sized_stack, 0
	.set _ZN7rocprim17ROCPRIM_400000_NS6detail17trampoline_kernelINS0_14default_configENS1_25partition_config_selectorILNS1_17partition_subalgoE6EyNS0_10empty_typeEbEEZZNS1_14partition_implILS5_6ELb0ES3_mN6thrust23THRUST_200600_302600_NS6detail15normal_iteratorINSA_10device_ptrIyEEEEPS6_SG_NS0_5tupleIJNSA_16discard_iteratorINSA_11use_defaultEEES6_EEENSH_IJSG_SG_EEES6_PlJNSB_9not_fun_tINSB_14equal_to_valueIyEEEEEEE10hipError_tPvRmT3_T4_T5_T6_T7_T9_mT8_P12ihipStream_tbDpT10_ENKUlT_T0_E_clISt17integral_constantIbLb1EES1A_IbLb0EEEEDaS16_S17_EUlS16_E_NS1_11comp_targetILNS1_3genE2ELNS1_11target_archE906ELNS1_3gpuE6ELNS1_3repE0EEENS1_30default_config_static_selectorELNS0_4arch9wavefront6targetE0EEEvT1_.has_recursion, 0
	.set _ZN7rocprim17ROCPRIM_400000_NS6detail17trampoline_kernelINS0_14default_configENS1_25partition_config_selectorILNS1_17partition_subalgoE6EyNS0_10empty_typeEbEEZZNS1_14partition_implILS5_6ELb0ES3_mN6thrust23THRUST_200600_302600_NS6detail15normal_iteratorINSA_10device_ptrIyEEEEPS6_SG_NS0_5tupleIJNSA_16discard_iteratorINSA_11use_defaultEEES6_EEENSH_IJSG_SG_EEES6_PlJNSB_9not_fun_tINSB_14equal_to_valueIyEEEEEEE10hipError_tPvRmT3_T4_T5_T6_T7_T9_mT8_P12ihipStream_tbDpT10_ENKUlT_T0_E_clISt17integral_constantIbLb1EES1A_IbLb0EEEEDaS16_S17_EUlS16_E_NS1_11comp_targetILNS1_3genE2ELNS1_11target_archE906ELNS1_3gpuE6ELNS1_3repE0EEENS1_30default_config_static_selectorELNS0_4arch9wavefront6targetE0EEEvT1_.has_indirect_call, 0
	.section	.AMDGPU.csdata,"",@progbits
; Kernel info:
; codeLenInByte = 0
; TotalNumSgprs: 0
; NumVgprs: 0
; ScratchSize: 0
; MemoryBound: 0
; FloatMode: 240
; IeeeMode: 1
; LDSByteSize: 0 bytes/workgroup (compile time only)
; SGPRBlocks: 0
; VGPRBlocks: 0
; NumSGPRsForWavesPerEU: 1
; NumVGPRsForWavesPerEU: 1
; Occupancy: 16
; WaveLimiterHint : 0
; COMPUTE_PGM_RSRC2:SCRATCH_EN: 0
; COMPUTE_PGM_RSRC2:USER_SGPR: 2
; COMPUTE_PGM_RSRC2:TRAP_HANDLER: 0
; COMPUTE_PGM_RSRC2:TGID_X_EN: 1
; COMPUTE_PGM_RSRC2:TGID_Y_EN: 0
; COMPUTE_PGM_RSRC2:TGID_Z_EN: 0
; COMPUTE_PGM_RSRC2:TIDIG_COMP_CNT: 0
	.section	.text._ZN7rocprim17ROCPRIM_400000_NS6detail17trampoline_kernelINS0_14default_configENS1_25partition_config_selectorILNS1_17partition_subalgoE6EyNS0_10empty_typeEbEEZZNS1_14partition_implILS5_6ELb0ES3_mN6thrust23THRUST_200600_302600_NS6detail15normal_iteratorINSA_10device_ptrIyEEEEPS6_SG_NS0_5tupleIJNSA_16discard_iteratorINSA_11use_defaultEEES6_EEENSH_IJSG_SG_EEES6_PlJNSB_9not_fun_tINSB_14equal_to_valueIyEEEEEEE10hipError_tPvRmT3_T4_T5_T6_T7_T9_mT8_P12ihipStream_tbDpT10_ENKUlT_T0_E_clISt17integral_constantIbLb1EES1A_IbLb0EEEEDaS16_S17_EUlS16_E_NS1_11comp_targetILNS1_3genE10ELNS1_11target_archE1200ELNS1_3gpuE4ELNS1_3repE0EEENS1_30default_config_static_selectorELNS0_4arch9wavefront6targetE0EEEvT1_,"axG",@progbits,_ZN7rocprim17ROCPRIM_400000_NS6detail17trampoline_kernelINS0_14default_configENS1_25partition_config_selectorILNS1_17partition_subalgoE6EyNS0_10empty_typeEbEEZZNS1_14partition_implILS5_6ELb0ES3_mN6thrust23THRUST_200600_302600_NS6detail15normal_iteratorINSA_10device_ptrIyEEEEPS6_SG_NS0_5tupleIJNSA_16discard_iteratorINSA_11use_defaultEEES6_EEENSH_IJSG_SG_EEES6_PlJNSB_9not_fun_tINSB_14equal_to_valueIyEEEEEEE10hipError_tPvRmT3_T4_T5_T6_T7_T9_mT8_P12ihipStream_tbDpT10_ENKUlT_T0_E_clISt17integral_constantIbLb1EES1A_IbLb0EEEEDaS16_S17_EUlS16_E_NS1_11comp_targetILNS1_3genE10ELNS1_11target_archE1200ELNS1_3gpuE4ELNS1_3repE0EEENS1_30default_config_static_selectorELNS0_4arch9wavefront6targetE0EEEvT1_,comdat
	.protected	_ZN7rocprim17ROCPRIM_400000_NS6detail17trampoline_kernelINS0_14default_configENS1_25partition_config_selectorILNS1_17partition_subalgoE6EyNS0_10empty_typeEbEEZZNS1_14partition_implILS5_6ELb0ES3_mN6thrust23THRUST_200600_302600_NS6detail15normal_iteratorINSA_10device_ptrIyEEEEPS6_SG_NS0_5tupleIJNSA_16discard_iteratorINSA_11use_defaultEEES6_EEENSH_IJSG_SG_EEES6_PlJNSB_9not_fun_tINSB_14equal_to_valueIyEEEEEEE10hipError_tPvRmT3_T4_T5_T6_T7_T9_mT8_P12ihipStream_tbDpT10_ENKUlT_T0_E_clISt17integral_constantIbLb1EES1A_IbLb0EEEEDaS16_S17_EUlS16_E_NS1_11comp_targetILNS1_3genE10ELNS1_11target_archE1200ELNS1_3gpuE4ELNS1_3repE0EEENS1_30default_config_static_selectorELNS0_4arch9wavefront6targetE0EEEvT1_ ; -- Begin function _ZN7rocprim17ROCPRIM_400000_NS6detail17trampoline_kernelINS0_14default_configENS1_25partition_config_selectorILNS1_17partition_subalgoE6EyNS0_10empty_typeEbEEZZNS1_14partition_implILS5_6ELb0ES3_mN6thrust23THRUST_200600_302600_NS6detail15normal_iteratorINSA_10device_ptrIyEEEEPS6_SG_NS0_5tupleIJNSA_16discard_iteratorINSA_11use_defaultEEES6_EEENSH_IJSG_SG_EEES6_PlJNSB_9not_fun_tINSB_14equal_to_valueIyEEEEEEE10hipError_tPvRmT3_T4_T5_T6_T7_T9_mT8_P12ihipStream_tbDpT10_ENKUlT_T0_E_clISt17integral_constantIbLb1EES1A_IbLb0EEEEDaS16_S17_EUlS16_E_NS1_11comp_targetILNS1_3genE10ELNS1_11target_archE1200ELNS1_3gpuE4ELNS1_3repE0EEENS1_30default_config_static_selectorELNS0_4arch9wavefront6targetE0EEEvT1_
	.globl	_ZN7rocprim17ROCPRIM_400000_NS6detail17trampoline_kernelINS0_14default_configENS1_25partition_config_selectorILNS1_17partition_subalgoE6EyNS0_10empty_typeEbEEZZNS1_14partition_implILS5_6ELb0ES3_mN6thrust23THRUST_200600_302600_NS6detail15normal_iteratorINSA_10device_ptrIyEEEEPS6_SG_NS0_5tupleIJNSA_16discard_iteratorINSA_11use_defaultEEES6_EEENSH_IJSG_SG_EEES6_PlJNSB_9not_fun_tINSB_14equal_to_valueIyEEEEEEE10hipError_tPvRmT3_T4_T5_T6_T7_T9_mT8_P12ihipStream_tbDpT10_ENKUlT_T0_E_clISt17integral_constantIbLb1EES1A_IbLb0EEEEDaS16_S17_EUlS16_E_NS1_11comp_targetILNS1_3genE10ELNS1_11target_archE1200ELNS1_3gpuE4ELNS1_3repE0EEENS1_30default_config_static_selectorELNS0_4arch9wavefront6targetE0EEEvT1_
	.p2align	8
	.type	_ZN7rocprim17ROCPRIM_400000_NS6detail17trampoline_kernelINS0_14default_configENS1_25partition_config_selectorILNS1_17partition_subalgoE6EyNS0_10empty_typeEbEEZZNS1_14partition_implILS5_6ELb0ES3_mN6thrust23THRUST_200600_302600_NS6detail15normal_iteratorINSA_10device_ptrIyEEEEPS6_SG_NS0_5tupleIJNSA_16discard_iteratorINSA_11use_defaultEEES6_EEENSH_IJSG_SG_EEES6_PlJNSB_9not_fun_tINSB_14equal_to_valueIyEEEEEEE10hipError_tPvRmT3_T4_T5_T6_T7_T9_mT8_P12ihipStream_tbDpT10_ENKUlT_T0_E_clISt17integral_constantIbLb1EES1A_IbLb0EEEEDaS16_S17_EUlS16_E_NS1_11comp_targetILNS1_3genE10ELNS1_11target_archE1200ELNS1_3gpuE4ELNS1_3repE0EEENS1_30default_config_static_selectorELNS0_4arch9wavefront6targetE0EEEvT1_,@function
_ZN7rocprim17ROCPRIM_400000_NS6detail17trampoline_kernelINS0_14default_configENS1_25partition_config_selectorILNS1_17partition_subalgoE6EyNS0_10empty_typeEbEEZZNS1_14partition_implILS5_6ELb0ES3_mN6thrust23THRUST_200600_302600_NS6detail15normal_iteratorINSA_10device_ptrIyEEEEPS6_SG_NS0_5tupleIJNSA_16discard_iteratorINSA_11use_defaultEEES6_EEENSH_IJSG_SG_EEES6_PlJNSB_9not_fun_tINSB_14equal_to_valueIyEEEEEEE10hipError_tPvRmT3_T4_T5_T6_T7_T9_mT8_P12ihipStream_tbDpT10_ENKUlT_T0_E_clISt17integral_constantIbLb1EES1A_IbLb0EEEEDaS16_S17_EUlS16_E_NS1_11comp_targetILNS1_3genE10ELNS1_11target_archE1200ELNS1_3gpuE4ELNS1_3repE0EEENS1_30default_config_static_selectorELNS0_4arch9wavefront6targetE0EEEvT1_: ; @_ZN7rocprim17ROCPRIM_400000_NS6detail17trampoline_kernelINS0_14default_configENS1_25partition_config_selectorILNS1_17partition_subalgoE6EyNS0_10empty_typeEbEEZZNS1_14partition_implILS5_6ELb0ES3_mN6thrust23THRUST_200600_302600_NS6detail15normal_iteratorINSA_10device_ptrIyEEEEPS6_SG_NS0_5tupleIJNSA_16discard_iteratorINSA_11use_defaultEEES6_EEENSH_IJSG_SG_EEES6_PlJNSB_9not_fun_tINSB_14equal_to_valueIyEEEEEEE10hipError_tPvRmT3_T4_T5_T6_T7_T9_mT8_P12ihipStream_tbDpT10_ENKUlT_T0_E_clISt17integral_constantIbLb1EES1A_IbLb0EEEEDaS16_S17_EUlS16_E_NS1_11comp_targetILNS1_3genE10ELNS1_11target_archE1200ELNS1_3gpuE4ELNS1_3repE0EEENS1_30default_config_static_selectorELNS0_4arch9wavefront6targetE0EEEvT1_
; %bb.0:
	s_endpgm
	.section	.rodata,"a",@progbits
	.p2align	6, 0x0
	.amdhsa_kernel _ZN7rocprim17ROCPRIM_400000_NS6detail17trampoline_kernelINS0_14default_configENS1_25partition_config_selectorILNS1_17partition_subalgoE6EyNS0_10empty_typeEbEEZZNS1_14partition_implILS5_6ELb0ES3_mN6thrust23THRUST_200600_302600_NS6detail15normal_iteratorINSA_10device_ptrIyEEEEPS6_SG_NS0_5tupleIJNSA_16discard_iteratorINSA_11use_defaultEEES6_EEENSH_IJSG_SG_EEES6_PlJNSB_9not_fun_tINSB_14equal_to_valueIyEEEEEEE10hipError_tPvRmT3_T4_T5_T6_T7_T9_mT8_P12ihipStream_tbDpT10_ENKUlT_T0_E_clISt17integral_constantIbLb1EES1A_IbLb0EEEEDaS16_S17_EUlS16_E_NS1_11comp_targetILNS1_3genE10ELNS1_11target_archE1200ELNS1_3gpuE4ELNS1_3repE0EEENS1_30default_config_static_selectorELNS0_4arch9wavefront6targetE0EEEvT1_
		.amdhsa_group_segment_fixed_size 0
		.amdhsa_private_segment_fixed_size 0
		.amdhsa_kernarg_size 128
		.amdhsa_user_sgpr_count 2
		.amdhsa_user_sgpr_dispatch_ptr 0
		.amdhsa_user_sgpr_queue_ptr 0
		.amdhsa_user_sgpr_kernarg_segment_ptr 1
		.amdhsa_user_sgpr_dispatch_id 0
		.amdhsa_user_sgpr_private_segment_size 0
		.amdhsa_wavefront_size32 1
		.amdhsa_uses_dynamic_stack 0
		.amdhsa_enable_private_segment 0
		.amdhsa_system_sgpr_workgroup_id_x 1
		.amdhsa_system_sgpr_workgroup_id_y 0
		.amdhsa_system_sgpr_workgroup_id_z 0
		.amdhsa_system_sgpr_workgroup_info 0
		.amdhsa_system_vgpr_workitem_id 0
		.amdhsa_next_free_vgpr 1
		.amdhsa_next_free_sgpr 1
		.amdhsa_reserve_vcc 0
		.amdhsa_float_round_mode_32 0
		.amdhsa_float_round_mode_16_64 0
		.amdhsa_float_denorm_mode_32 3
		.amdhsa_float_denorm_mode_16_64 3
		.amdhsa_fp16_overflow 0
		.amdhsa_workgroup_processor_mode 1
		.amdhsa_memory_ordered 1
		.amdhsa_forward_progress 1
		.amdhsa_inst_pref_size 1
		.amdhsa_round_robin_scheduling 0
		.amdhsa_exception_fp_ieee_invalid_op 0
		.amdhsa_exception_fp_denorm_src 0
		.amdhsa_exception_fp_ieee_div_zero 0
		.amdhsa_exception_fp_ieee_overflow 0
		.amdhsa_exception_fp_ieee_underflow 0
		.amdhsa_exception_fp_ieee_inexact 0
		.amdhsa_exception_int_div_zero 0
	.end_amdhsa_kernel
	.section	.text._ZN7rocprim17ROCPRIM_400000_NS6detail17trampoline_kernelINS0_14default_configENS1_25partition_config_selectorILNS1_17partition_subalgoE6EyNS0_10empty_typeEbEEZZNS1_14partition_implILS5_6ELb0ES3_mN6thrust23THRUST_200600_302600_NS6detail15normal_iteratorINSA_10device_ptrIyEEEEPS6_SG_NS0_5tupleIJNSA_16discard_iteratorINSA_11use_defaultEEES6_EEENSH_IJSG_SG_EEES6_PlJNSB_9not_fun_tINSB_14equal_to_valueIyEEEEEEE10hipError_tPvRmT3_T4_T5_T6_T7_T9_mT8_P12ihipStream_tbDpT10_ENKUlT_T0_E_clISt17integral_constantIbLb1EES1A_IbLb0EEEEDaS16_S17_EUlS16_E_NS1_11comp_targetILNS1_3genE10ELNS1_11target_archE1200ELNS1_3gpuE4ELNS1_3repE0EEENS1_30default_config_static_selectorELNS0_4arch9wavefront6targetE0EEEvT1_,"axG",@progbits,_ZN7rocprim17ROCPRIM_400000_NS6detail17trampoline_kernelINS0_14default_configENS1_25partition_config_selectorILNS1_17partition_subalgoE6EyNS0_10empty_typeEbEEZZNS1_14partition_implILS5_6ELb0ES3_mN6thrust23THRUST_200600_302600_NS6detail15normal_iteratorINSA_10device_ptrIyEEEEPS6_SG_NS0_5tupleIJNSA_16discard_iteratorINSA_11use_defaultEEES6_EEENSH_IJSG_SG_EEES6_PlJNSB_9not_fun_tINSB_14equal_to_valueIyEEEEEEE10hipError_tPvRmT3_T4_T5_T6_T7_T9_mT8_P12ihipStream_tbDpT10_ENKUlT_T0_E_clISt17integral_constantIbLb1EES1A_IbLb0EEEEDaS16_S17_EUlS16_E_NS1_11comp_targetILNS1_3genE10ELNS1_11target_archE1200ELNS1_3gpuE4ELNS1_3repE0EEENS1_30default_config_static_selectorELNS0_4arch9wavefront6targetE0EEEvT1_,comdat
.Lfunc_end1650:
	.size	_ZN7rocprim17ROCPRIM_400000_NS6detail17trampoline_kernelINS0_14default_configENS1_25partition_config_selectorILNS1_17partition_subalgoE6EyNS0_10empty_typeEbEEZZNS1_14partition_implILS5_6ELb0ES3_mN6thrust23THRUST_200600_302600_NS6detail15normal_iteratorINSA_10device_ptrIyEEEEPS6_SG_NS0_5tupleIJNSA_16discard_iteratorINSA_11use_defaultEEES6_EEENSH_IJSG_SG_EEES6_PlJNSB_9not_fun_tINSB_14equal_to_valueIyEEEEEEE10hipError_tPvRmT3_T4_T5_T6_T7_T9_mT8_P12ihipStream_tbDpT10_ENKUlT_T0_E_clISt17integral_constantIbLb1EES1A_IbLb0EEEEDaS16_S17_EUlS16_E_NS1_11comp_targetILNS1_3genE10ELNS1_11target_archE1200ELNS1_3gpuE4ELNS1_3repE0EEENS1_30default_config_static_selectorELNS0_4arch9wavefront6targetE0EEEvT1_, .Lfunc_end1650-_ZN7rocprim17ROCPRIM_400000_NS6detail17trampoline_kernelINS0_14default_configENS1_25partition_config_selectorILNS1_17partition_subalgoE6EyNS0_10empty_typeEbEEZZNS1_14partition_implILS5_6ELb0ES3_mN6thrust23THRUST_200600_302600_NS6detail15normal_iteratorINSA_10device_ptrIyEEEEPS6_SG_NS0_5tupleIJNSA_16discard_iteratorINSA_11use_defaultEEES6_EEENSH_IJSG_SG_EEES6_PlJNSB_9not_fun_tINSB_14equal_to_valueIyEEEEEEE10hipError_tPvRmT3_T4_T5_T6_T7_T9_mT8_P12ihipStream_tbDpT10_ENKUlT_T0_E_clISt17integral_constantIbLb1EES1A_IbLb0EEEEDaS16_S17_EUlS16_E_NS1_11comp_targetILNS1_3genE10ELNS1_11target_archE1200ELNS1_3gpuE4ELNS1_3repE0EEENS1_30default_config_static_selectorELNS0_4arch9wavefront6targetE0EEEvT1_
                                        ; -- End function
	.set _ZN7rocprim17ROCPRIM_400000_NS6detail17trampoline_kernelINS0_14default_configENS1_25partition_config_selectorILNS1_17partition_subalgoE6EyNS0_10empty_typeEbEEZZNS1_14partition_implILS5_6ELb0ES3_mN6thrust23THRUST_200600_302600_NS6detail15normal_iteratorINSA_10device_ptrIyEEEEPS6_SG_NS0_5tupleIJNSA_16discard_iteratorINSA_11use_defaultEEES6_EEENSH_IJSG_SG_EEES6_PlJNSB_9not_fun_tINSB_14equal_to_valueIyEEEEEEE10hipError_tPvRmT3_T4_T5_T6_T7_T9_mT8_P12ihipStream_tbDpT10_ENKUlT_T0_E_clISt17integral_constantIbLb1EES1A_IbLb0EEEEDaS16_S17_EUlS16_E_NS1_11comp_targetILNS1_3genE10ELNS1_11target_archE1200ELNS1_3gpuE4ELNS1_3repE0EEENS1_30default_config_static_selectorELNS0_4arch9wavefront6targetE0EEEvT1_.num_vgpr, 0
	.set _ZN7rocprim17ROCPRIM_400000_NS6detail17trampoline_kernelINS0_14default_configENS1_25partition_config_selectorILNS1_17partition_subalgoE6EyNS0_10empty_typeEbEEZZNS1_14partition_implILS5_6ELb0ES3_mN6thrust23THRUST_200600_302600_NS6detail15normal_iteratorINSA_10device_ptrIyEEEEPS6_SG_NS0_5tupleIJNSA_16discard_iteratorINSA_11use_defaultEEES6_EEENSH_IJSG_SG_EEES6_PlJNSB_9not_fun_tINSB_14equal_to_valueIyEEEEEEE10hipError_tPvRmT3_T4_T5_T6_T7_T9_mT8_P12ihipStream_tbDpT10_ENKUlT_T0_E_clISt17integral_constantIbLb1EES1A_IbLb0EEEEDaS16_S17_EUlS16_E_NS1_11comp_targetILNS1_3genE10ELNS1_11target_archE1200ELNS1_3gpuE4ELNS1_3repE0EEENS1_30default_config_static_selectorELNS0_4arch9wavefront6targetE0EEEvT1_.num_agpr, 0
	.set _ZN7rocprim17ROCPRIM_400000_NS6detail17trampoline_kernelINS0_14default_configENS1_25partition_config_selectorILNS1_17partition_subalgoE6EyNS0_10empty_typeEbEEZZNS1_14partition_implILS5_6ELb0ES3_mN6thrust23THRUST_200600_302600_NS6detail15normal_iteratorINSA_10device_ptrIyEEEEPS6_SG_NS0_5tupleIJNSA_16discard_iteratorINSA_11use_defaultEEES6_EEENSH_IJSG_SG_EEES6_PlJNSB_9not_fun_tINSB_14equal_to_valueIyEEEEEEE10hipError_tPvRmT3_T4_T5_T6_T7_T9_mT8_P12ihipStream_tbDpT10_ENKUlT_T0_E_clISt17integral_constantIbLb1EES1A_IbLb0EEEEDaS16_S17_EUlS16_E_NS1_11comp_targetILNS1_3genE10ELNS1_11target_archE1200ELNS1_3gpuE4ELNS1_3repE0EEENS1_30default_config_static_selectorELNS0_4arch9wavefront6targetE0EEEvT1_.numbered_sgpr, 0
	.set _ZN7rocprim17ROCPRIM_400000_NS6detail17trampoline_kernelINS0_14default_configENS1_25partition_config_selectorILNS1_17partition_subalgoE6EyNS0_10empty_typeEbEEZZNS1_14partition_implILS5_6ELb0ES3_mN6thrust23THRUST_200600_302600_NS6detail15normal_iteratorINSA_10device_ptrIyEEEEPS6_SG_NS0_5tupleIJNSA_16discard_iteratorINSA_11use_defaultEEES6_EEENSH_IJSG_SG_EEES6_PlJNSB_9not_fun_tINSB_14equal_to_valueIyEEEEEEE10hipError_tPvRmT3_T4_T5_T6_T7_T9_mT8_P12ihipStream_tbDpT10_ENKUlT_T0_E_clISt17integral_constantIbLb1EES1A_IbLb0EEEEDaS16_S17_EUlS16_E_NS1_11comp_targetILNS1_3genE10ELNS1_11target_archE1200ELNS1_3gpuE4ELNS1_3repE0EEENS1_30default_config_static_selectorELNS0_4arch9wavefront6targetE0EEEvT1_.num_named_barrier, 0
	.set _ZN7rocprim17ROCPRIM_400000_NS6detail17trampoline_kernelINS0_14default_configENS1_25partition_config_selectorILNS1_17partition_subalgoE6EyNS0_10empty_typeEbEEZZNS1_14partition_implILS5_6ELb0ES3_mN6thrust23THRUST_200600_302600_NS6detail15normal_iteratorINSA_10device_ptrIyEEEEPS6_SG_NS0_5tupleIJNSA_16discard_iteratorINSA_11use_defaultEEES6_EEENSH_IJSG_SG_EEES6_PlJNSB_9not_fun_tINSB_14equal_to_valueIyEEEEEEE10hipError_tPvRmT3_T4_T5_T6_T7_T9_mT8_P12ihipStream_tbDpT10_ENKUlT_T0_E_clISt17integral_constantIbLb1EES1A_IbLb0EEEEDaS16_S17_EUlS16_E_NS1_11comp_targetILNS1_3genE10ELNS1_11target_archE1200ELNS1_3gpuE4ELNS1_3repE0EEENS1_30default_config_static_selectorELNS0_4arch9wavefront6targetE0EEEvT1_.private_seg_size, 0
	.set _ZN7rocprim17ROCPRIM_400000_NS6detail17trampoline_kernelINS0_14default_configENS1_25partition_config_selectorILNS1_17partition_subalgoE6EyNS0_10empty_typeEbEEZZNS1_14partition_implILS5_6ELb0ES3_mN6thrust23THRUST_200600_302600_NS6detail15normal_iteratorINSA_10device_ptrIyEEEEPS6_SG_NS0_5tupleIJNSA_16discard_iteratorINSA_11use_defaultEEES6_EEENSH_IJSG_SG_EEES6_PlJNSB_9not_fun_tINSB_14equal_to_valueIyEEEEEEE10hipError_tPvRmT3_T4_T5_T6_T7_T9_mT8_P12ihipStream_tbDpT10_ENKUlT_T0_E_clISt17integral_constantIbLb1EES1A_IbLb0EEEEDaS16_S17_EUlS16_E_NS1_11comp_targetILNS1_3genE10ELNS1_11target_archE1200ELNS1_3gpuE4ELNS1_3repE0EEENS1_30default_config_static_selectorELNS0_4arch9wavefront6targetE0EEEvT1_.uses_vcc, 0
	.set _ZN7rocprim17ROCPRIM_400000_NS6detail17trampoline_kernelINS0_14default_configENS1_25partition_config_selectorILNS1_17partition_subalgoE6EyNS0_10empty_typeEbEEZZNS1_14partition_implILS5_6ELb0ES3_mN6thrust23THRUST_200600_302600_NS6detail15normal_iteratorINSA_10device_ptrIyEEEEPS6_SG_NS0_5tupleIJNSA_16discard_iteratorINSA_11use_defaultEEES6_EEENSH_IJSG_SG_EEES6_PlJNSB_9not_fun_tINSB_14equal_to_valueIyEEEEEEE10hipError_tPvRmT3_T4_T5_T6_T7_T9_mT8_P12ihipStream_tbDpT10_ENKUlT_T0_E_clISt17integral_constantIbLb1EES1A_IbLb0EEEEDaS16_S17_EUlS16_E_NS1_11comp_targetILNS1_3genE10ELNS1_11target_archE1200ELNS1_3gpuE4ELNS1_3repE0EEENS1_30default_config_static_selectorELNS0_4arch9wavefront6targetE0EEEvT1_.uses_flat_scratch, 0
	.set _ZN7rocprim17ROCPRIM_400000_NS6detail17trampoline_kernelINS0_14default_configENS1_25partition_config_selectorILNS1_17partition_subalgoE6EyNS0_10empty_typeEbEEZZNS1_14partition_implILS5_6ELb0ES3_mN6thrust23THRUST_200600_302600_NS6detail15normal_iteratorINSA_10device_ptrIyEEEEPS6_SG_NS0_5tupleIJNSA_16discard_iteratorINSA_11use_defaultEEES6_EEENSH_IJSG_SG_EEES6_PlJNSB_9not_fun_tINSB_14equal_to_valueIyEEEEEEE10hipError_tPvRmT3_T4_T5_T6_T7_T9_mT8_P12ihipStream_tbDpT10_ENKUlT_T0_E_clISt17integral_constantIbLb1EES1A_IbLb0EEEEDaS16_S17_EUlS16_E_NS1_11comp_targetILNS1_3genE10ELNS1_11target_archE1200ELNS1_3gpuE4ELNS1_3repE0EEENS1_30default_config_static_selectorELNS0_4arch9wavefront6targetE0EEEvT1_.has_dyn_sized_stack, 0
	.set _ZN7rocprim17ROCPRIM_400000_NS6detail17trampoline_kernelINS0_14default_configENS1_25partition_config_selectorILNS1_17partition_subalgoE6EyNS0_10empty_typeEbEEZZNS1_14partition_implILS5_6ELb0ES3_mN6thrust23THRUST_200600_302600_NS6detail15normal_iteratorINSA_10device_ptrIyEEEEPS6_SG_NS0_5tupleIJNSA_16discard_iteratorINSA_11use_defaultEEES6_EEENSH_IJSG_SG_EEES6_PlJNSB_9not_fun_tINSB_14equal_to_valueIyEEEEEEE10hipError_tPvRmT3_T4_T5_T6_T7_T9_mT8_P12ihipStream_tbDpT10_ENKUlT_T0_E_clISt17integral_constantIbLb1EES1A_IbLb0EEEEDaS16_S17_EUlS16_E_NS1_11comp_targetILNS1_3genE10ELNS1_11target_archE1200ELNS1_3gpuE4ELNS1_3repE0EEENS1_30default_config_static_selectorELNS0_4arch9wavefront6targetE0EEEvT1_.has_recursion, 0
	.set _ZN7rocprim17ROCPRIM_400000_NS6detail17trampoline_kernelINS0_14default_configENS1_25partition_config_selectorILNS1_17partition_subalgoE6EyNS0_10empty_typeEbEEZZNS1_14partition_implILS5_6ELb0ES3_mN6thrust23THRUST_200600_302600_NS6detail15normal_iteratorINSA_10device_ptrIyEEEEPS6_SG_NS0_5tupleIJNSA_16discard_iteratorINSA_11use_defaultEEES6_EEENSH_IJSG_SG_EEES6_PlJNSB_9not_fun_tINSB_14equal_to_valueIyEEEEEEE10hipError_tPvRmT3_T4_T5_T6_T7_T9_mT8_P12ihipStream_tbDpT10_ENKUlT_T0_E_clISt17integral_constantIbLb1EES1A_IbLb0EEEEDaS16_S17_EUlS16_E_NS1_11comp_targetILNS1_3genE10ELNS1_11target_archE1200ELNS1_3gpuE4ELNS1_3repE0EEENS1_30default_config_static_selectorELNS0_4arch9wavefront6targetE0EEEvT1_.has_indirect_call, 0
	.section	.AMDGPU.csdata,"",@progbits
; Kernel info:
; codeLenInByte = 4
; TotalNumSgprs: 0
; NumVgprs: 0
; ScratchSize: 0
; MemoryBound: 0
; FloatMode: 240
; IeeeMode: 1
; LDSByteSize: 0 bytes/workgroup (compile time only)
; SGPRBlocks: 0
; VGPRBlocks: 0
; NumSGPRsForWavesPerEU: 1
; NumVGPRsForWavesPerEU: 1
; Occupancy: 16
; WaveLimiterHint : 0
; COMPUTE_PGM_RSRC2:SCRATCH_EN: 0
; COMPUTE_PGM_RSRC2:USER_SGPR: 2
; COMPUTE_PGM_RSRC2:TRAP_HANDLER: 0
; COMPUTE_PGM_RSRC2:TGID_X_EN: 1
; COMPUTE_PGM_RSRC2:TGID_Y_EN: 0
; COMPUTE_PGM_RSRC2:TGID_Z_EN: 0
; COMPUTE_PGM_RSRC2:TIDIG_COMP_CNT: 0
	.section	.text._ZN7rocprim17ROCPRIM_400000_NS6detail17trampoline_kernelINS0_14default_configENS1_25partition_config_selectorILNS1_17partition_subalgoE6EyNS0_10empty_typeEbEEZZNS1_14partition_implILS5_6ELb0ES3_mN6thrust23THRUST_200600_302600_NS6detail15normal_iteratorINSA_10device_ptrIyEEEEPS6_SG_NS0_5tupleIJNSA_16discard_iteratorINSA_11use_defaultEEES6_EEENSH_IJSG_SG_EEES6_PlJNSB_9not_fun_tINSB_14equal_to_valueIyEEEEEEE10hipError_tPvRmT3_T4_T5_T6_T7_T9_mT8_P12ihipStream_tbDpT10_ENKUlT_T0_E_clISt17integral_constantIbLb1EES1A_IbLb0EEEEDaS16_S17_EUlS16_E_NS1_11comp_targetILNS1_3genE9ELNS1_11target_archE1100ELNS1_3gpuE3ELNS1_3repE0EEENS1_30default_config_static_selectorELNS0_4arch9wavefront6targetE0EEEvT1_,"axG",@progbits,_ZN7rocprim17ROCPRIM_400000_NS6detail17trampoline_kernelINS0_14default_configENS1_25partition_config_selectorILNS1_17partition_subalgoE6EyNS0_10empty_typeEbEEZZNS1_14partition_implILS5_6ELb0ES3_mN6thrust23THRUST_200600_302600_NS6detail15normal_iteratorINSA_10device_ptrIyEEEEPS6_SG_NS0_5tupleIJNSA_16discard_iteratorINSA_11use_defaultEEES6_EEENSH_IJSG_SG_EEES6_PlJNSB_9not_fun_tINSB_14equal_to_valueIyEEEEEEE10hipError_tPvRmT3_T4_T5_T6_T7_T9_mT8_P12ihipStream_tbDpT10_ENKUlT_T0_E_clISt17integral_constantIbLb1EES1A_IbLb0EEEEDaS16_S17_EUlS16_E_NS1_11comp_targetILNS1_3genE9ELNS1_11target_archE1100ELNS1_3gpuE3ELNS1_3repE0EEENS1_30default_config_static_selectorELNS0_4arch9wavefront6targetE0EEEvT1_,comdat
	.protected	_ZN7rocprim17ROCPRIM_400000_NS6detail17trampoline_kernelINS0_14default_configENS1_25partition_config_selectorILNS1_17partition_subalgoE6EyNS0_10empty_typeEbEEZZNS1_14partition_implILS5_6ELb0ES3_mN6thrust23THRUST_200600_302600_NS6detail15normal_iteratorINSA_10device_ptrIyEEEEPS6_SG_NS0_5tupleIJNSA_16discard_iteratorINSA_11use_defaultEEES6_EEENSH_IJSG_SG_EEES6_PlJNSB_9not_fun_tINSB_14equal_to_valueIyEEEEEEE10hipError_tPvRmT3_T4_T5_T6_T7_T9_mT8_P12ihipStream_tbDpT10_ENKUlT_T0_E_clISt17integral_constantIbLb1EES1A_IbLb0EEEEDaS16_S17_EUlS16_E_NS1_11comp_targetILNS1_3genE9ELNS1_11target_archE1100ELNS1_3gpuE3ELNS1_3repE0EEENS1_30default_config_static_selectorELNS0_4arch9wavefront6targetE0EEEvT1_ ; -- Begin function _ZN7rocprim17ROCPRIM_400000_NS6detail17trampoline_kernelINS0_14default_configENS1_25partition_config_selectorILNS1_17partition_subalgoE6EyNS0_10empty_typeEbEEZZNS1_14partition_implILS5_6ELb0ES3_mN6thrust23THRUST_200600_302600_NS6detail15normal_iteratorINSA_10device_ptrIyEEEEPS6_SG_NS0_5tupleIJNSA_16discard_iteratorINSA_11use_defaultEEES6_EEENSH_IJSG_SG_EEES6_PlJNSB_9not_fun_tINSB_14equal_to_valueIyEEEEEEE10hipError_tPvRmT3_T4_T5_T6_T7_T9_mT8_P12ihipStream_tbDpT10_ENKUlT_T0_E_clISt17integral_constantIbLb1EES1A_IbLb0EEEEDaS16_S17_EUlS16_E_NS1_11comp_targetILNS1_3genE9ELNS1_11target_archE1100ELNS1_3gpuE3ELNS1_3repE0EEENS1_30default_config_static_selectorELNS0_4arch9wavefront6targetE0EEEvT1_
	.globl	_ZN7rocprim17ROCPRIM_400000_NS6detail17trampoline_kernelINS0_14default_configENS1_25partition_config_selectorILNS1_17partition_subalgoE6EyNS0_10empty_typeEbEEZZNS1_14partition_implILS5_6ELb0ES3_mN6thrust23THRUST_200600_302600_NS6detail15normal_iteratorINSA_10device_ptrIyEEEEPS6_SG_NS0_5tupleIJNSA_16discard_iteratorINSA_11use_defaultEEES6_EEENSH_IJSG_SG_EEES6_PlJNSB_9not_fun_tINSB_14equal_to_valueIyEEEEEEE10hipError_tPvRmT3_T4_T5_T6_T7_T9_mT8_P12ihipStream_tbDpT10_ENKUlT_T0_E_clISt17integral_constantIbLb1EES1A_IbLb0EEEEDaS16_S17_EUlS16_E_NS1_11comp_targetILNS1_3genE9ELNS1_11target_archE1100ELNS1_3gpuE3ELNS1_3repE0EEENS1_30default_config_static_selectorELNS0_4arch9wavefront6targetE0EEEvT1_
	.p2align	8
	.type	_ZN7rocprim17ROCPRIM_400000_NS6detail17trampoline_kernelINS0_14default_configENS1_25partition_config_selectorILNS1_17partition_subalgoE6EyNS0_10empty_typeEbEEZZNS1_14partition_implILS5_6ELb0ES3_mN6thrust23THRUST_200600_302600_NS6detail15normal_iteratorINSA_10device_ptrIyEEEEPS6_SG_NS0_5tupleIJNSA_16discard_iteratorINSA_11use_defaultEEES6_EEENSH_IJSG_SG_EEES6_PlJNSB_9not_fun_tINSB_14equal_to_valueIyEEEEEEE10hipError_tPvRmT3_T4_T5_T6_T7_T9_mT8_P12ihipStream_tbDpT10_ENKUlT_T0_E_clISt17integral_constantIbLb1EES1A_IbLb0EEEEDaS16_S17_EUlS16_E_NS1_11comp_targetILNS1_3genE9ELNS1_11target_archE1100ELNS1_3gpuE3ELNS1_3repE0EEENS1_30default_config_static_selectorELNS0_4arch9wavefront6targetE0EEEvT1_,@function
_ZN7rocprim17ROCPRIM_400000_NS6detail17trampoline_kernelINS0_14default_configENS1_25partition_config_selectorILNS1_17partition_subalgoE6EyNS0_10empty_typeEbEEZZNS1_14partition_implILS5_6ELb0ES3_mN6thrust23THRUST_200600_302600_NS6detail15normal_iteratorINSA_10device_ptrIyEEEEPS6_SG_NS0_5tupleIJNSA_16discard_iteratorINSA_11use_defaultEEES6_EEENSH_IJSG_SG_EEES6_PlJNSB_9not_fun_tINSB_14equal_to_valueIyEEEEEEE10hipError_tPvRmT3_T4_T5_T6_T7_T9_mT8_P12ihipStream_tbDpT10_ENKUlT_T0_E_clISt17integral_constantIbLb1EES1A_IbLb0EEEEDaS16_S17_EUlS16_E_NS1_11comp_targetILNS1_3genE9ELNS1_11target_archE1100ELNS1_3gpuE3ELNS1_3repE0EEENS1_30default_config_static_selectorELNS0_4arch9wavefront6targetE0EEEvT1_: ; @_ZN7rocprim17ROCPRIM_400000_NS6detail17trampoline_kernelINS0_14default_configENS1_25partition_config_selectorILNS1_17partition_subalgoE6EyNS0_10empty_typeEbEEZZNS1_14partition_implILS5_6ELb0ES3_mN6thrust23THRUST_200600_302600_NS6detail15normal_iteratorINSA_10device_ptrIyEEEEPS6_SG_NS0_5tupleIJNSA_16discard_iteratorINSA_11use_defaultEEES6_EEENSH_IJSG_SG_EEES6_PlJNSB_9not_fun_tINSB_14equal_to_valueIyEEEEEEE10hipError_tPvRmT3_T4_T5_T6_T7_T9_mT8_P12ihipStream_tbDpT10_ENKUlT_T0_E_clISt17integral_constantIbLb1EES1A_IbLb0EEEEDaS16_S17_EUlS16_E_NS1_11comp_targetILNS1_3genE9ELNS1_11target_archE1100ELNS1_3gpuE3ELNS1_3repE0EEENS1_30default_config_static_selectorELNS0_4arch9wavefront6targetE0EEEvT1_
; %bb.0:
	.section	.rodata,"a",@progbits
	.p2align	6, 0x0
	.amdhsa_kernel _ZN7rocprim17ROCPRIM_400000_NS6detail17trampoline_kernelINS0_14default_configENS1_25partition_config_selectorILNS1_17partition_subalgoE6EyNS0_10empty_typeEbEEZZNS1_14partition_implILS5_6ELb0ES3_mN6thrust23THRUST_200600_302600_NS6detail15normal_iteratorINSA_10device_ptrIyEEEEPS6_SG_NS0_5tupleIJNSA_16discard_iteratorINSA_11use_defaultEEES6_EEENSH_IJSG_SG_EEES6_PlJNSB_9not_fun_tINSB_14equal_to_valueIyEEEEEEE10hipError_tPvRmT3_T4_T5_T6_T7_T9_mT8_P12ihipStream_tbDpT10_ENKUlT_T0_E_clISt17integral_constantIbLb1EES1A_IbLb0EEEEDaS16_S17_EUlS16_E_NS1_11comp_targetILNS1_3genE9ELNS1_11target_archE1100ELNS1_3gpuE3ELNS1_3repE0EEENS1_30default_config_static_selectorELNS0_4arch9wavefront6targetE0EEEvT1_
		.amdhsa_group_segment_fixed_size 0
		.amdhsa_private_segment_fixed_size 0
		.amdhsa_kernarg_size 128
		.amdhsa_user_sgpr_count 2
		.amdhsa_user_sgpr_dispatch_ptr 0
		.amdhsa_user_sgpr_queue_ptr 0
		.amdhsa_user_sgpr_kernarg_segment_ptr 1
		.amdhsa_user_sgpr_dispatch_id 0
		.amdhsa_user_sgpr_private_segment_size 0
		.amdhsa_wavefront_size32 1
		.amdhsa_uses_dynamic_stack 0
		.amdhsa_enable_private_segment 0
		.amdhsa_system_sgpr_workgroup_id_x 1
		.amdhsa_system_sgpr_workgroup_id_y 0
		.amdhsa_system_sgpr_workgroup_id_z 0
		.amdhsa_system_sgpr_workgroup_info 0
		.amdhsa_system_vgpr_workitem_id 0
		.amdhsa_next_free_vgpr 1
		.amdhsa_next_free_sgpr 1
		.amdhsa_reserve_vcc 0
		.amdhsa_float_round_mode_32 0
		.amdhsa_float_round_mode_16_64 0
		.amdhsa_float_denorm_mode_32 3
		.amdhsa_float_denorm_mode_16_64 3
		.amdhsa_fp16_overflow 0
		.amdhsa_workgroup_processor_mode 1
		.amdhsa_memory_ordered 1
		.amdhsa_forward_progress 1
		.amdhsa_inst_pref_size 0
		.amdhsa_round_robin_scheduling 0
		.amdhsa_exception_fp_ieee_invalid_op 0
		.amdhsa_exception_fp_denorm_src 0
		.amdhsa_exception_fp_ieee_div_zero 0
		.amdhsa_exception_fp_ieee_overflow 0
		.amdhsa_exception_fp_ieee_underflow 0
		.amdhsa_exception_fp_ieee_inexact 0
		.amdhsa_exception_int_div_zero 0
	.end_amdhsa_kernel
	.section	.text._ZN7rocprim17ROCPRIM_400000_NS6detail17trampoline_kernelINS0_14default_configENS1_25partition_config_selectorILNS1_17partition_subalgoE6EyNS0_10empty_typeEbEEZZNS1_14partition_implILS5_6ELb0ES3_mN6thrust23THRUST_200600_302600_NS6detail15normal_iteratorINSA_10device_ptrIyEEEEPS6_SG_NS0_5tupleIJNSA_16discard_iteratorINSA_11use_defaultEEES6_EEENSH_IJSG_SG_EEES6_PlJNSB_9not_fun_tINSB_14equal_to_valueIyEEEEEEE10hipError_tPvRmT3_T4_T5_T6_T7_T9_mT8_P12ihipStream_tbDpT10_ENKUlT_T0_E_clISt17integral_constantIbLb1EES1A_IbLb0EEEEDaS16_S17_EUlS16_E_NS1_11comp_targetILNS1_3genE9ELNS1_11target_archE1100ELNS1_3gpuE3ELNS1_3repE0EEENS1_30default_config_static_selectorELNS0_4arch9wavefront6targetE0EEEvT1_,"axG",@progbits,_ZN7rocprim17ROCPRIM_400000_NS6detail17trampoline_kernelINS0_14default_configENS1_25partition_config_selectorILNS1_17partition_subalgoE6EyNS0_10empty_typeEbEEZZNS1_14partition_implILS5_6ELb0ES3_mN6thrust23THRUST_200600_302600_NS6detail15normal_iteratorINSA_10device_ptrIyEEEEPS6_SG_NS0_5tupleIJNSA_16discard_iteratorINSA_11use_defaultEEES6_EEENSH_IJSG_SG_EEES6_PlJNSB_9not_fun_tINSB_14equal_to_valueIyEEEEEEE10hipError_tPvRmT3_T4_T5_T6_T7_T9_mT8_P12ihipStream_tbDpT10_ENKUlT_T0_E_clISt17integral_constantIbLb1EES1A_IbLb0EEEEDaS16_S17_EUlS16_E_NS1_11comp_targetILNS1_3genE9ELNS1_11target_archE1100ELNS1_3gpuE3ELNS1_3repE0EEENS1_30default_config_static_selectorELNS0_4arch9wavefront6targetE0EEEvT1_,comdat
.Lfunc_end1651:
	.size	_ZN7rocprim17ROCPRIM_400000_NS6detail17trampoline_kernelINS0_14default_configENS1_25partition_config_selectorILNS1_17partition_subalgoE6EyNS0_10empty_typeEbEEZZNS1_14partition_implILS5_6ELb0ES3_mN6thrust23THRUST_200600_302600_NS6detail15normal_iteratorINSA_10device_ptrIyEEEEPS6_SG_NS0_5tupleIJNSA_16discard_iteratorINSA_11use_defaultEEES6_EEENSH_IJSG_SG_EEES6_PlJNSB_9not_fun_tINSB_14equal_to_valueIyEEEEEEE10hipError_tPvRmT3_T4_T5_T6_T7_T9_mT8_P12ihipStream_tbDpT10_ENKUlT_T0_E_clISt17integral_constantIbLb1EES1A_IbLb0EEEEDaS16_S17_EUlS16_E_NS1_11comp_targetILNS1_3genE9ELNS1_11target_archE1100ELNS1_3gpuE3ELNS1_3repE0EEENS1_30default_config_static_selectorELNS0_4arch9wavefront6targetE0EEEvT1_, .Lfunc_end1651-_ZN7rocprim17ROCPRIM_400000_NS6detail17trampoline_kernelINS0_14default_configENS1_25partition_config_selectorILNS1_17partition_subalgoE6EyNS0_10empty_typeEbEEZZNS1_14partition_implILS5_6ELb0ES3_mN6thrust23THRUST_200600_302600_NS6detail15normal_iteratorINSA_10device_ptrIyEEEEPS6_SG_NS0_5tupleIJNSA_16discard_iteratorINSA_11use_defaultEEES6_EEENSH_IJSG_SG_EEES6_PlJNSB_9not_fun_tINSB_14equal_to_valueIyEEEEEEE10hipError_tPvRmT3_T4_T5_T6_T7_T9_mT8_P12ihipStream_tbDpT10_ENKUlT_T0_E_clISt17integral_constantIbLb1EES1A_IbLb0EEEEDaS16_S17_EUlS16_E_NS1_11comp_targetILNS1_3genE9ELNS1_11target_archE1100ELNS1_3gpuE3ELNS1_3repE0EEENS1_30default_config_static_selectorELNS0_4arch9wavefront6targetE0EEEvT1_
                                        ; -- End function
	.set _ZN7rocprim17ROCPRIM_400000_NS6detail17trampoline_kernelINS0_14default_configENS1_25partition_config_selectorILNS1_17partition_subalgoE6EyNS0_10empty_typeEbEEZZNS1_14partition_implILS5_6ELb0ES3_mN6thrust23THRUST_200600_302600_NS6detail15normal_iteratorINSA_10device_ptrIyEEEEPS6_SG_NS0_5tupleIJNSA_16discard_iteratorINSA_11use_defaultEEES6_EEENSH_IJSG_SG_EEES6_PlJNSB_9not_fun_tINSB_14equal_to_valueIyEEEEEEE10hipError_tPvRmT3_T4_T5_T6_T7_T9_mT8_P12ihipStream_tbDpT10_ENKUlT_T0_E_clISt17integral_constantIbLb1EES1A_IbLb0EEEEDaS16_S17_EUlS16_E_NS1_11comp_targetILNS1_3genE9ELNS1_11target_archE1100ELNS1_3gpuE3ELNS1_3repE0EEENS1_30default_config_static_selectorELNS0_4arch9wavefront6targetE0EEEvT1_.num_vgpr, 0
	.set _ZN7rocprim17ROCPRIM_400000_NS6detail17trampoline_kernelINS0_14default_configENS1_25partition_config_selectorILNS1_17partition_subalgoE6EyNS0_10empty_typeEbEEZZNS1_14partition_implILS5_6ELb0ES3_mN6thrust23THRUST_200600_302600_NS6detail15normal_iteratorINSA_10device_ptrIyEEEEPS6_SG_NS0_5tupleIJNSA_16discard_iteratorINSA_11use_defaultEEES6_EEENSH_IJSG_SG_EEES6_PlJNSB_9not_fun_tINSB_14equal_to_valueIyEEEEEEE10hipError_tPvRmT3_T4_T5_T6_T7_T9_mT8_P12ihipStream_tbDpT10_ENKUlT_T0_E_clISt17integral_constantIbLb1EES1A_IbLb0EEEEDaS16_S17_EUlS16_E_NS1_11comp_targetILNS1_3genE9ELNS1_11target_archE1100ELNS1_3gpuE3ELNS1_3repE0EEENS1_30default_config_static_selectorELNS0_4arch9wavefront6targetE0EEEvT1_.num_agpr, 0
	.set _ZN7rocprim17ROCPRIM_400000_NS6detail17trampoline_kernelINS0_14default_configENS1_25partition_config_selectorILNS1_17partition_subalgoE6EyNS0_10empty_typeEbEEZZNS1_14partition_implILS5_6ELb0ES3_mN6thrust23THRUST_200600_302600_NS6detail15normal_iteratorINSA_10device_ptrIyEEEEPS6_SG_NS0_5tupleIJNSA_16discard_iteratorINSA_11use_defaultEEES6_EEENSH_IJSG_SG_EEES6_PlJNSB_9not_fun_tINSB_14equal_to_valueIyEEEEEEE10hipError_tPvRmT3_T4_T5_T6_T7_T9_mT8_P12ihipStream_tbDpT10_ENKUlT_T0_E_clISt17integral_constantIbLb1EES1A_IbLb0EEEEDaS16_S17_EUlS16_E_NS1_11comp_targetILNS1_3genE9ELNS1_11target_archE1100ELNS1_3gpuE3ELNS1_3repE0EEENS1_30default_config_static_selectorELNS0_4arch9wavefront6targetE0EEEvT1_.numbered_sgpr, 0
	.set _ZN7rocprim17ROCPRIM_400000_NS6detail17trampoline_kernelINS0_14default_configENS1_25partition_config_selectorILNS1_17partition_subalgoE6EyNS0_10empty_typeEbEEZZNS1_14partition_implILS5_6ELb0ES3_mN6thrust23THRUST_200600_302600_NS6detail15normal_iteratorINSA_10device_ptrIyEEEEPS6_SG_NS0_5tupleIJNSA_16discard_iteratorINSA_11use_defaultEEES6_EEENSH_IJSG_SG_EEES6_PlJNSB_9not_fun_tINSB_14equal_to_valueIyEEEEEEE10hipError_tPvRmT3_T4_T5_T6_T7_T9_mT8_P12ihipStream_tbDpT10_ENKUlT_T0_E_clISt17integral_constantIbLb1EES1A_IbLb0EEEEDaS16_S17_EUlS16_E_NS1_11comp_targetILNS1_3genE9ELNS1_11target_archE1100ELNS1_3gpuE3ELNS1_3repE0EEENS1_30default_config_static_selectorELNS0_4arch9wavefront6targetE0EEEvT1_.num_named_barrier, 0
	.set _ZN7rocprim17ROCPRIM_400000_NS6detail17trampoline_kernelINS0_14default_configENS1_25partition_config_selectorILNS1_17partition_subalgoE6EyNS0_10empty_typeEbEEZZNS1_14partition_implILS5_6ELb0ES3_mN6thrust23THRUST_200600_302600_NS6detail15normal_iteratorINSA_10device_ptrIyEEEEPS6_SG_NS0_5tupleIJNSA_16discard_iteratorINSA_11use_defaultEEES6_EEENSH_IJSG_SG_EEES6_PlJNSB_9not_fun_tINSB_14equal_to_valueIyEEEEEEE10hipError_tPvRmT3_T4_T5_T6_T7_T9_mT8_P12ihipStream_tbDpT10_ENKUlT_T0_E_clISt17integral_constantIbLb1EES1A_IbLb0EEEEDaS16_S17_EUlS16_E_NS1_11comp_targetILNS1_3genE9ELNS1_11target_archE1100ELNS1_3gpuE3ELNS1_3repE0EEENS1_30default_config_static_selectorELNS0_4arch9wavefront6targetE0EEEvT1_.private_seg_size, 0
	.set _ZN7rocprim17ROCPRIM_400000_NS6detail17trampoline_kernelINS0_14default_configENS1_25partition_config_selectorILNS1_17partition_subalgoE6EyNS0_10empty_typeEbEEZZNS1_14partition_implILS5_6ELb0ES3_mN6thrust23THRUST_200600_302600_NS6detail15normal_iteratorINSA_10device_ptrIyEEEEPS6_SG_NS0_5tupleIJNSA_16discard_iteratorINSA_11use_defaultEEES6_EEENSH_IJSG_SG_EEES6_PlJNSB_9not_fun_tINSB_14equal_to_valueIyEEEEEEE10hipError_tPvRmT3_T4_T5_T6_T7_T9_mT8_P12ihipStream_tbDpT10_ENKUlT_T0_E_clISt17integral_constantIbLb1EES1A_IbLb0EEEEDaS16_S17_EUlS16_E_NS1_11comp_targetILNS1_3genE9ELNS1_11target_archE1100ELNS1_3gpuE3ELNS1_3repE0EEENS1_30default_config_static_selectorELNS0_4arch9wavefront6targetE0EEEvT1_.uses_vcc, 0
	.set _ZN7rocprim17ROCPRIM_400000_NS6detail17trampoline_kernelINS0_14default_configENS1_25partition_config_selectorILNS1_17partition_subalgoE6EyNS0_10empty_typeEbEEZZNS1_14partition_implILS5_6ELb0ES3_mN6thrust23THRUST_200600_302600_NS6detail15normal_iteratorINSA_10device_ptrIyEEEEPS6_SG_NS0_5tupleIJNSA_16discard_iteratorINSA_11use_defaultEEES6_EEENSH_IJSG_SG_EEES6_PlJNSB_9not_fun_tINSB_14equal_to_valueIyEEEEEEE10hipError_tPvRmT3_T4_T5_T6_T7_T9_mT8_P12ihipStream_tbDpT10_ENKUlT_T0_E_clISt17integral_constantIbLb1EES1A_IbLb0EEEEDaS16_S17_EUlS16_E_NS1_11comp_targetILNS1_3genE9ELNS1_11target_archE1100ELNS1_3gpuE3ELNS1_3repE0EEENS1_30default_config_static_selectorELNS0_4arch9wavefront6targetE0EEEvT1_.uses_flat_scratch, 0
	.set _ZN7rocprim17ROCPRIM_400000_NS6detail17trampoline_kernelINS0_14default_configENS1_25partition_config_selectorILNS1_17partition_subalgoE6EyNS0_10empty_typeEbEEZZNS1_14partition_implILS5_6ELb0ES3_mN6thrust23THRUST_200600_302600_NS6detail15normal_iteratorINSA_10device_ptrIyEEEEPS6_SG_NS0_5tupleIJNSA_16discard_iteratorINSA_11use_defaultEEES6_EEENSH_IJSG_SG_EEES6_PlJNSB_9not_fun_tINSB_14equal_to_valueIyEEEEEEE10hipError_tPvRmT3_T4_T5_T6_T7_T9_mT8_P12ihipStream_tbDpT10_ENKUlT_T0_E_clISt17integral_constantIbLb1EES1A_IbLb0EEEEDaS16_S17_EUlS16_E_NS1_11comp_targetILNS1_3genE9ELNS1_11target_archE1100ELNS1_3gpuE3ELNS1_3repE0EEENS1_30default_config_static_selectorELNS0_4arch9wavefront6targetE0EEEvT1_.has_dyn_sized_stack, 0
	.set _ZN7rocprim17ROCPRIM_400000_NS6detail17trampoline_kernelINS0_14default_configENS1_25partition_config_selectorILNS1_17partition_subalgoE6EyNS0_10empty_typeEbEEZZNS1_14partition_implILS5_6ELb0ES3_mN6thrust23THRUST_200600_302600_NS6detail15normal_iteratorINSA_10device_ptrIyEEEEPS6_SG_NS0_5tupleIJNSA_16discard_iteratorINSA_11use_defaultEEES6_EEENSH_IJSG_SG_EEES6_PlJNSB_9not_fun_tINSB_14equal_to_valueIyEEEEEEE10hipError_tPvRmT3_T4_T5_T6_T7_T9_mT8_P12ihipStream_tbDpT10_ENKUlT_T0_E_clISt17integral_constantIbLb1EES1A_IbLb0EEEEDaS16_S17_EUlS16_E_NS1_11comp_targetILNS1_3genE9ELNS1_11target_archE1100ELNS1_3gpuE3ELNS1_3repE0EEENS1_30default_config_static_selectorELNS0_4arch9wavefront6targetE0EEEvT1_.has_recursion, 0
	.set _ZN7rocprim17ROCPRIM_400000_NS6detail17trampoline_kernelINS0_14default_configENS1_25partition_config_selectorILNS1_17partition_subalgoE6EyNS0_10empty_typeEbEEZZNS1_14partition_implILS5_6ELb0ES3_mN6thrust23THRUST_200600_302600_NS6detail15normal_iteratorINSA_10device_ptrIyEEEEPS6_SG_NS0_5tupleIJNSA_16discard_iteratorINSA_11use_defaultEEES6_EEENSH_IJSG_SG_EEES6_PlJNSB_9not_fun_tINSB_14equal_to_valueIyEEEEEEE10hipError_tPvRmT3_T4_T5_T6_T7_T9_mT8_P12ihipStream_tbDpT10_ENKUlT_T0_E_clISt17integral_constantIbLb1EES1A_IbLb0EEEEDaS16_S17_EUlS16_E_NS1_11comp_targetILNS1_3genE9ELNS1_11target_archE1100ELNS1_3gpuE3ELNS1_3repE0EEENS1_30default_config_static_selectorELNS0_4arch9wavefront6targetE0EEEvT1_.has_indirect_call, 0
	.section	.AMDGPU.csdata,"",@progbits
; Kernel info:
; codeLenInByte = 0
; TotalNumSgprs: 0
; NumVgprs: 0
; ScratchSize: 0
; MemoryBound: 0
; FloatMode: 240
; IeeeMode: 1
; LDSByteSize: 0 bytes/workgroup (compile time only)
; SGPRBlocks: 0
; VGPRBlocks: 0
; NumSGPRsForWavesPerEU: 1
; NumVGPRsForWavesPerEU: 1
; Occupancy: 16
; WaveLimiterHint : 0
; COMPUTE_PGM_RSRC2:SCRATCH_EN: 0
; COMPUTE_PGM_RSRC2:USER_SGPR: 2
; COMPUTE_PGM_RSRC2:TRAP_HANDLER: 0
; COMPUTE_PGM_RSRC2:TGID_X_EN: 1
; COMPUTE_PGM_RSRC2:TGID_Y_EN: 0
; COMPUTE_PGM_RSRC2:TGID_Z_EN: 0
; COMPUTE_PGM_RSRC2:TIDIG_COMP_CNT: 0
	.section	.text._ZN7rocprim17ROCPRIM_400000_NS6detail17trampoline_kernelINS0_14default_configENS1_25partition_config_selectorILNS1_17partition_subalgoE6EyNS0_10empty_typeEbEEZZNS1_14partition_implILS5_6ELb0ES3_mN6thrust23THRUST_200600_302600_NS6detail15normal_iteratorINSA_10device_ptrIyEEEEPS6_SG_NS0_5tupleIJNSA_16discard_iteratorINSA_11use_defaultEEES6_EEENSH_IJSG_SG_EEES6_PlJNSB_9not_fun_tINSB_14equal_to_valueIyEEEEEEE10hipError_tPvRmT3_T4_T5_T6_T7_T9_mT8_P12ihipStream_tbDpT10_ENKUlT_T0_E_clISt17integral_constantIbLb1EES1A_IbLb0EEEEDaS16_S17_EUlS16_E_NS1_11comp_targetILNS1_3genE8ELNS1_11target_archE1030ELNS1_3gpuE2ELNS1_3repE0EEENS1_30default_config_static_selectorELNS0_4arch9wavefront6targetE0EEEvT1_,"axG",@progbits,_ZN7rocprim17ROCPRIM_400000_NS6detail17trampoline_kernelINS0_14default_configENS1_25partition_config_selectorILNS1_17partition_subalgoE6EyNS0_10empty_typeEbEEZZNS1_14partition_implILS5_6ELb0ES3_mN6thrust23THRUST_200600_302600_NS6detail15normal_iteratorINSA_10device_ptrIyEEEEPS6_SG_NS0_5tupleIJNSA_16discard_iteratorINSA_11use_defaultEEES6_EEENSH_IJSG_SG_EEES6_PlJNSB_9not_fun_tINSB_14equal_to_valueIyEEEEEEE10hipError_tPvRmT3_T4_T5_T6_T7_T9_mT8_P12ihipStream_tbDpT10_ENKUlT_T0_E_clISt17integral_constantIbLb1EES1A_IbLb0EEEEDaS16_S17_EUlS16_E_NS1_11comp_targetILNS1_3genE8ELNS1_11target_archE1030ELNS1_3gpuE2ELNS1_3repE0EEENS1_30default_config_static_selectorELNS0_4arch9wavefront6targetE0EEEvT1_,comdat
	.protected	_ZN7rocprim17ROCPRIM_400000_NS6detail17trampoline_kernelINS0_14default_configENS1_25partition_config_selectorILNS1_17partition_subalgoE6EyNS0_10empty_typeEbEEZZNS1_14partition_implILS5_6ELb0ES3_mN6thrust23THRUST_200600_302600_NS6detail15normal_iteratorINSA_10device_ptrIyEEEEPS6_SG_NS0_5tupleIJNSA_16discard_iteratorINSA_11use_defaultEEES6_EEENSH_IJSG_SG_EEES6_PlJNSB_9not_fun_tINSB_14equal_to_valueIyEEEEEEE10hipError_tPvRmT3_T4_T5_T6_T7_T9_mT8_P12ihipStream_tbDpT10_ENKUlT_T0_E_clISt17integral_constantIbLb1EES1A_IbLb0EEEEDaS16_S17_EUlS16_E_NS1_11comp_targetILNS1_3genE8ELNS1_11target_archE1030ELNS1_3gpuE2ELNS1_3repE0EEENS1_30default_config_static_selectorELNS0_4arch9wavefront6targetE0EEEvT1_ ; -- Begin function _ZN7rocprim17ROCPRIM_400000_NS6detail17trampoline_kernelINS0_14default_configENS1_25partition_config_selectorILNS1_17partition_subalgoE6EyNS0_10empty_typeEbEEZZNS1_14partition_implILS5_6ELb0ES3_mN6thrust23THRUST_200600_302600_NS6detail15normal_iteratorINSA_10device_ptrIyEEEEPS6_SG_NS0_5tupleIJNSA_16discard_iteratorINSA_11use_defaultEEES6_EEENSH_IJSG_SG_EEES6_PlJNSB_9not_fun_tINSB_14equal_to_valueIyEEEEEEE10hipError_tPvRmT3_T4_T5_T6_T7_T9_mT8_P12ihipStream_tbDpT10_ENKUlT_T0_E_clISt17integral_constantIbLb1EES1A_IbLb0EEEEDaS16_S17_EUlS16_E_NS1_11comp_targetILNS1_3genE8ELNS1_11target_archE1030ELNS1_3gpuE2ELNS1_3repE0EEENS1_30default_config_static_selectorELNS0_4arch9wavefront6targetE0EEEvT1_
	.globl	_ZN7rocprim17ROCPRIM_400000_NS6detail17trampoline_kernelINS0_14default_configENS1_25partition_config_selectorILNS1_17partition_subalgoE6EyNS0_10empty_typeEbEEZZNS1_14partition_implILS5_6ELb0ES3_mN6thrust23THRUST_200600_302600_NS6detail15normal_iteratorINSA_10device_ptrIyEEEEPS6_SG_NS0_5tupleIJNSA_16discard_iteratorINSA_11use_defaultEEES6_EEENSH_IJSG_SG_EEES6_PlJNSB_9not_fun_tINSB_14equal_to_valueIyEEEEEEE10hipError_tPvRmT3_T4_T5_T6_T7_T9_mT8_P12ihipStream_tbDpT10_ENKUlT_T0_E_clISt17integral_constantIbLb1EES1A_IbLb0EEEEDaS16_S17_EUlS16_E_NS1_11comp_targetILNS1_3genE8ELNS1_11target_archE1030ELNS1_3gpuE2ELNS1_3repE0EEENS1_30default_config_static_selectorELNS0_4arch9wavefront6targetE0EEEvT1_
	.p2align	8
	.type	_ZN7rocprim17ROCPRIM_400000_NS6detail17trampoline_kernelINS0_14default_configENS1_25partition_config_selectorILNS1_17partition_subalgoE6EyNS0_10empty_typeEbEEZZNS1_14partition_implILS5_6ELb0ES3_mN6thrust23THRUST_200600_302600_NS6detail15normal_iteratorINSA_10device_ptrIyEEEEPS6_SG_NS0_5tupleIJNSA_16discard_iteratorINSA_11use_defaultEEES6_EEENSH_IJSG_SG_EEES6_PlJNSB_9not_fun_tINSB_14equal_to_valueIyEEEEEEE10hipError_tPvRmT3_T4_T5_T6_T7_T9_mT8_P12ihipStream_tbDpT10_ENKUlT_T0_E_clISt17integral_constantIbLb1EES1A_IbLb0EEEEDaS16_S17_EUlS16_E_NS1_11comp_targetILNS1_3genE8ELNS1_11target_archE1030ELNS1_3gpuE2ELNS1_3repE0EEENS1_30default_config_static_selectorELNS0_4arch9wavefront6targetE0EEEvT1_,@function
_ZN7rocprim17ROCPRIM_400000_NS6detail17trampoline_kernelINS0_14default_configENS1_25partition_config_selectorILNS1_17partition_subalgoE6EyNS0_10empty_typeEbEEZZNS1_14partition_implILS5_6ELb0ES3_mN6thrust23THRUST_200600_302600_NS6detail15normal_iteratorINSA_10device_ptrIyEEEEPS6_SG_NS0_5tupleIJNSA_16discard_iteratorINSA_11use_defaultEEES6_EEENSH_IJSG_SG_EEES6_PlJNSB_9not_fun_tINSB_14equal_to_valueIyEEEEEEE10hipError_tPvRmT3_T4_T5_T6_T7_T9_mT8_P12ihipStream_tbDpT10_ENKUlT_T0_E_clISt17integral_constantIbLb1EES1A_IbLb0EEEEDaS16_S17_EUlS16_E_NS1_11comp_targetILNS1_3genE8ELNS1_11target_archE1030ELNS1_3gpuE2ELNS1_3repE0EEENS1_30default_config_static_selectorELNS0_4arch9wavefront6targetE0EEEvT1_: ; @_ZN7rocprim17ROCPRIM_400000_NS6detail17trampoline_kernelINS0_14default_configENS1_25partition_config_selectorILNS1_17partition_subalgoE6EyNS0_10empty_typeEbEEZZNS1_14partition_implILS5_6ELb0ES3_mN6thrust23THRUST_200600_302600_NS6detail15normal_iteratorINSA_10device_ptrIyEEEEPS6_SG_NS0_5tupleIJNSA_16discard_iteratorINSA_11use_defaultEEES6_EEENSH_IJSG_SG_EEES6_PlJNSB_9not_fun_tINSB_14equal_to_valueIyEEEEEEE10hipError_tPvRmT3_T4_T5_T6_T7_T9_mT8_P12ihipStream_tbDpT10_ENKUlT_T0_E_clISt17integral_constantIbLb1EES1A_IbLb0EEEEDaS16_S17_EUlS16_E_NS1_11comp_targetILNS1_3genE8ELNS1_11target_archE1030ELNS1_3gpuE2ELNS1_3repE0EEENS1_30default_config_static_selectorELNS0_4arch9wavefront6targetE0EEEvT1_
; %bb.0:
	.section	.rodata,"a",@progbits
	.p2align	6, 0x0
	.amdhsa_kernel _ZN7rocprim17ROCPRIM_400000_NS6detail17trampoline_kernelINS0_14default_configENS1_25partition_config_selectorILNS1_17partition_subalgoE6EyNS0_10empty_typeEbEEZZNS1_14partition_implILS5_6ELb0ES3_mN6thrust23THRUST_200600_302600_NS6detail15normal_iteratorINSA_10device_ptrIyEEEEPS6_SG_NS0_5tupleIJNSA_16discard_iteratorINSA_11use_defaultEEES6_EEENSH_IJSG_SG_EEES6_PlJNSB_9not_fun_tINSB_14equal_to_valueIyEEEEEEE10hipError_tPvRmT3_T4_T5_T6_T7_T9_mT8_P12ihipStream_tbDpT10_ENKUlT_T0_E_clISt17integral_constantIbLb1EES1A_IbLb0EEEEDaS16_S17_EUlS16_E_NS1_11comp_targetILNS1_3genE8ELNS1_11target_archE1030ELNS1_3gpuE2ELNS1_3repE0EEENS1_30default_config_static_selectorELNS0_4arch9wavefront6targetE0EEEvT1_
		.amdhsa_group_segment_fixed_size 0
		.amdhsa_private_segment_fixed_size 0
		.amdhsa_kernarg_size 128
		.amdhsa_user_sgpr_count 2
		.amdhsa_user_sgpr_dispatch_ptr 0
		.amdhsa_user_sgpr_queue_ptr 0
		.amdhsa_user_sgpr_kernarg_segment_ptr 1
		.amdhsa_user_sgpr_dispatch_id 0
		.amdhsa_user_sgpr_private_segment_size 0
		.amdhsa_wavefront_size32 1
		.amdhsa_uses_dynamic_stack 0
		.amdhsa_enable_private_segment 0
		.amdhsa_system_sgpr_workgroup_id_x 1
		.amdhsa_system_sgpr_workgroup_id_y 0
		.amdhsa_system_sgpr_workgroup_id_z 0
		.amdhsa_system_sgpr_workgroup_info 0
		.amdhsa_system_vgpr_workitem_id 0
		.amdhsa_next_free_vgpr 1
		.amdhsa_next_free_sgpr 1
		.amdhsa_reserve_vcc 0
		.amdhsa_float_round_mode_32 0
		.amdhsa_float_round_mode_16_64 0
		.amdhsa_float_denorm_mode_32 3
		.amdhsa_float_denorm_mode_16_64 3
		.amdhsa_fp16_overflow 0
		.amdhsa_workgroup_processor_mode 1
		.amdhsa_memory_ordered 1
		.amdhsa_forward_progress 1
		.amdhsa_inst_pref_size 0
		.amdhsa_round_robin_scheduling 0
		.amdhsa_exception_fp_ieee_invalid_op 0
		.amdhsa_exception_fp_denorm_src 0
		.amdhsa_exception_fp_ieee_div_zero 0
		.amdhsa_exception_fp_ieee_overflow 0
		.amdhsa_exception_fp_ieee_underflow 0
		.amdhsa_exception_fp_ieee_inexact 0
		.amdhsa_exception_int_div_zero 0
	.end_amdhsa_kernel
	.section	.text._ZN7rocprim17ROCPRIM_400000_NS6detail17trampoline_kernelINS0_14default_configENS1_25partition_config_selectorILNS1_17partition_subalgoE6EyNS0_10empty_typeEbEEZZNS1_14partition_implILS5_6ELb0ES3_mN6thrust23THRUST_200600_302600_NS6detail15normal_iteratorINSA_10device_ptrIyEEEEPS6_SG_NS0_5tupleIJNSA_16discard_iteratorINSA_11use_defaultEEES6_EEENSH_IJSG_SG_EEES6_PlJNSB_9not_fun_tINSB_14equal_to_valueIyEEEEEEE10hipError_tPvRmT3_T4_T5_T6_T7_T9_mT8_P12ihipStream_tbDpT10_ENKUlT_T0_E_clISt17integral_constantIbLb1EES1A_IbLb0EEEEDaS16_S17_EUlS16_E_NS1_11comp_targetILNS1_3genE8ELNS1_11target_archE1030ELNS1_3gpuE2ELNS1_3repE0EEENS1_30default_config_static_selectorELNS0_4arch9wavefront6targetE0EEEvT1_,"axG",@progbits,_ZN7rocprim17ROCPRIM_400000_NS6detail17trampoline_kernelINS0_14default_configENS1_25partition_config_selectorILNS1_17partition_subalgoE6EyNS0_10empty_typeEbEEZZNS1_14partition_implILS5_6ELb0ES3_mN6thrust23THRUST_200600_302600_NS6detail15normal_iteratorINSA_10device_ptrIyEEEEPS6_SG_NS0_5tupleIJNSA_16discard_iteratorINSA_11use_defaultEEES6_EEENSH_IJSG_SG_EEES6_PlJNSB_9not_fun_tINSB_14equal_to_valueIyEEEEEEE10hipError_tPvRmT3_T4_T5_T6_T7_T9_mT8_P12ihipStream_tbDpT10_ENKUlT_T0_E_clISt17integral_constantIbLb1EES1A_IbLb0EEEEDaS16_S17_EUlS16_E_NS1_11comp_targetILNS1_3genE8ELNS1_11target_archE1030ELNS1_3gpuE2ELNS1_3repE0EEENS1_30default_config_static_selectorELNS0_4arch9wavefront6targetE0EEEvT1_,comdat
.Lfunc_end1652:
	.size	_ZN7rocprim17ROCPRIM_400000_NS6detail17trampoline_kernelINS0_14default_configENS1_25partition_config_selectorILNS1_17partition_subalgoE6EyNS0_10empty_typeEbEEZZNS1_14partition_implILS5_6ELb0ES3_mN6thrust23THRUST_200600_302600_NS6detail15normal_iteratorINSA_10device_ptrIyEEEEPS6_SG_NS0_5tupleIJNSA_16discard_iteratorINSA_11use_defaultEEES6_EEENSH_IJSG_SG_EEES6_PlJNSB_9not_fun_tINSB_14equal_to_valueIyEEEEEEE10hipError_tPvRmT3_T4_T5_T6_T7_T9_mT8_P12ihipStream_tbDpT10_ENKUlT_T0_E_clISt17integral_constantIbLb1EES1A_IbLb0EEEEDaS16_S17_EUlS16_E_NS1_11comp_targetILNS1_3genE8ELNS1_11target_archE1030ELNS1_3gpuE2ELNS1_3repE0EEENS1_30default_config_static_selectorELNS0_4arch9wavefront6targetE0EEEvT1_, .Lfunc_end1652-_ZN7rocprim17ROCPRIM_400000_NS6detail17trampoline_kernelINS0_14default_configENS1_25partition_config_selectorILNS1_17partition_subalgoE6EyNS0_10empty_typeEbEEZZNS1_14partition_implILS5_6ELb0ES3_mN6thrust23THRUST_200600_302600_NS6detail15normal_iteratorINSA_10device_ptrIyEEEEPS6_SG_NS0_5tupleIJNSA_16discard_iteratorINSA_11use_defaultEEES6_EEENSH_IJSG_SG_EEES6_PlJNSB_9not_fun_tINSB_14equal_to_valueIyEEEEEEE10hipError_tPvRmT3_T4_T5_T6_T7_T9_mT8_P12ihipStream_tbDpT10_ENKUlT_T0_E_clISt17integral_constantIbLb1EES1A_IbLb0EEEEDaS16_S17_EUlS16_E_NS1_11comp_targetILNS1_3genE8ELNS1_11target_archE1030ELNS1_3gpuE2ELNS1_3repE0EEENS1_30default_config_static_selectorELNS0_4arch9wavefront6targetE0EEEvT1_
                                        ; -- End function
	.set _ZN7rocprim17ROCPRIM_400000_NS6detail17trampoline_kernelINS0_14default_configENS1_25partition_config_selectorILNS1_17partition_subalgoE6EyNS0_10empty_typeEbEEZZNS1_14partition_implILS5_6ELb0ES3_mN6thrust23THRUST_200600_302600_NS6detail15normal_iteratorINSA_10device_ptrIyEEEEPS6_SG_NS0_5tupleIJNSA_16discard_iteratorINSA_11use_defaultEEES6_EEENSH_IJSG_SG_EEES6_PlJNSB_9not_fun_tINSB_14equal_to_valueIyEEEEEEE10hipError_tPvRmT3_T4_T5_T6_T7_T9_mT8_P12ihipStream_tbDpT10_ENKUlT_T0_E_clISt17integral_constantIbLb1EES1A_IbLb0EEEEDaS16_S17_EUlS16_E_NS1_11comp_targetILNS1_3genE8ELNS1_11target_archE1030ELNS1_3gpuE2ELNS1_3repE0EEENS1_30default_config_static_selectorELNS0_4arch9wavefront6targetE0EEEvT1_.num_vgpr, 0
	.set _ZN7rocprim17ROCPRIM_400000_NS6detail17trampoline_kernelINS0_14default_configENS1_25partition_config_selectorILNS1_17partition_subalgoE6EyNS0_10empty_typeEbEEZZNS1_14partition_implILS5_6ELb0ES3_mN6thrust23THRUST_200600_302600_NS6detail15normal_iteratorINSA_10device_ptrIyEEEEPS6_SG_NS0_5tupleIJNSA_16discard_iteratorINSA_11use_defaultEEES6_EEENSH_IJSG_SG_EEES6_PlJNSB_9not_fun_tINSB_14equal_to_valueIyEEEEEEE10hipError_tPvRmT3_T4_T5_T6_T7_T9_mT8_P12ihipStream_tbDpT10_ENKUlT_T0_E_clISt17integral_constantIbLb1EES1A_IbLb0EEEEDaS16_S17_EUlS16_E_NS1_11comp_targetILNS1_3genE8ELNS1_11target_archE1030ELNS1_3gpuE2ELNS1_3repE0EEENS1_30default_config_static_selectorELNS0_4arch9wavefront6targetE0EEEvT1_.num_agpr, 0
	.set _ZN7rocprim17ROCPRIM_400000_NS6detail17trampoline_kernelINS0_14default_configENS1_25partition_config_selectorILNS1_17partition_subalgoE6EyNS0_10empty_typeEbEEZZNS1_14partition_implILS5_6ELb0ES3_mN6thrust23THRUST_200600_302600_NS6detail15normal_iteratorINSA_10device_ptrIyEEEEPS6_SG_NS0_5tupleIJNSA_16discard_iteratorINSA_11use_defaultEEES6_EEENSH_IJSG_SG_EEES6_PlJNSB_9not_fun_tINSB_14equal_to_valueIyEEEEEEE10hipError_tPvRmT3_T4_T5_T6_T7_T9_mT8_P12ihipStream_tbDpT10_ENKUlT_T0_E_clISt17integral_constantIbLb1EES1A_IbLb0EEEEDaS16_S17_EUlS16_E_NS1_11comp_targetILNS1_3genE8ELNS1_11target_archE1030ELNS1_3gpuE2ELNS1_3repE0EEENS1_30default_config_static_selectorELNS0_4arch9wavefront6targetE0EEEvT1_.numbered_sgpr, 0
	.set _ZN7rocprim17ROCPRIM_400000_NS6detail17trampoline_kernelINS0_14default_configENS1_25partition_config_selectorILNS1_17partition_subalgoE6EyNS0_10empty_typeEbEEZZNS1_14partition_implILS5_6ELb0ES3_mN6thrust23THRUST_200600_302600_NS6detail15normal_iteratorINSA_10device_ptrIyEEEEPS6_SG_NS0_5tupleIJNSA_16discard_iteratorINSA_11use_defaultEEES6_EEENSH_IJSG_SG_EEES6_PlJNSB_9not_fun_tINSB_14equal_to_valueIyEEEEEEE10hipError_tPvRmT3_T4_T5_T6_T7_T9_mT8_P12ihipStream_tbDpT10_ENKUlT_T0_E_clISt17integral_constantIbLb1EES1A_IbLb0EEEEDaS16_S17_EUlS16_E_NS1_11comp_targetILNS1_3genE8ELNS1_11target_archE1030ELNS1_3gpuE2ELNS1_3repE0EEENS1_30default_config_static_selectorELNS0_4arch9wavefront6targetE0EEEvT1_.num_named_barrier, 0
	.set _ZN7rocprim17ROCPRIM_400000_NS6detail17trampoline_kernelINS0_14default_configENS1_25partition_config_selectorILNS1_17partition_subalgoE6EyNS0_10empty_typeEbEEZZNS1_14partition_implILS5_6ELb0ES3_mN6thrust23THRUST_200600_302600_NS6detail15normal_iteratorINSA_10device_ptrIyEEEEPS6_SG_NS0_5tupleIJNSA_16discard_iteratorINSA_11use_defaultEEES6_EEENSH_IJSG_SG_EEES6_PlJNSB_9not_fun_tINSB_14equal_to_valueIyEEEEEEE10hipError_tPvRmT3_T4_T5_T6_T7_T9_mT8_P12ihipStream_tbDpT10_ENKUlT_T0_E_clISt17integral_constantIbLb1EES1A_IbLb0EEEEDaS16_S17_EUlS16_E_NS1_11comp_targetILNS1_3genE8ELNS1_11target_archE1030ELNS1_3gpuE2ELNS1_3repE0EEENS1_30default_config_static_selectorELNS0_4arch9wavefront6targetE0EEEvT1_.private_seg_size, 0
	.set _ZN7rocprim17ROCPRIM_400000_NS6detail17trampoline_kernelINS0_14default_configENS1_25partition_config_selectorILNS1_17partition_subalgoE6EyNS0_10empty_typeEbEEZZNS1_14partition_implILS5_6ELb0ES3_mN6thrust23THRUST_200600_302600_NS6detail15normal_iteratorINSA_10device_ptrIyEEEEPS6_SG_NS0_5tupleIJNSA_16discard_iteratorINSA_11use_defaultEEES6_EEENSH_IJSG_SG_EEES6_PlJNSB_9not_fun_tINSB_14equal_to_valueIyEEEEEEE10hipError_tPvRmT3_T4_T5_T6_T7_T9_mT8_P12ihipStream_tbDpT10_ENKUlT_T0_E_clISt17integral_constantIbLb1EES1A_IbLb0EEEEDaS16_S17_EUlS16_E_NS1_11comp_targetILNS1_3genE8ELNS1_11target_archE1030ELNS1_3gpuE2ELNS1_3repE0EEENS1_30default_config_static_selectorELNS0_4arch9wavefront6targetE0EEEvT1_.uses_vcc, 0
	.set _ZN7rocprim17ROCPRIM_400000_NS6detail17trampoline_kernelINS0_14default_configENS1_25partition_config_selectorILNS1_17partition_subalgoE6EyNS0_10empty_typeEbEEZZNS1_14partition_implILS5_6ELb0ES3_mN6thrust23THRUST_200600_302600_NS6detail15normal_iteratorINSA_10device_ptrIyEEEEPS6_SG_NS0_5tupleIJNSA_16discard_iteratorINSA_11use_defaultEEES6_EEENSH_IJSG_SG_EEES6_PlJNSB_9not_fun_tINSB_14equal_to_valueIyEEEEEEE10hipError_tPvRmT3_T4_T5_T6_T7_T9_mT8_P12ihipStream_tbDpT10_ENKUlT_T0_E_clISt17integral_constantIbLb1EES1A_IbLb0EEEEDaS16_S17_EUlS16_E_NS1_11comp_targetILNS1_3genE8ELNS1_11target_archE1030ELNS1_3gpuE2ELNS1_3repE0EEENS1_30default_config_static_selectorELNS0_4arch9wavefront6targetE0EEEvT1_.uses_flat_scratch, 0
	.set _ZN7rocprim17ROCPRIM_400000_NS6detail17trampoline_kernelINS0_14default_configENS1_25partition_config_selectorILNS1_17partition_subalgoE6EyNS0_10empty_typeEbEEZZNS1_14partition_implILS5_6ELb0ES3_mN6thrust23THRUST_200600_302600_NS6detail15normal_iteratorINSA_10device_ptrIyEEEEPS6_SG_NS0_5tupleIJNSA_16discard_iteratorINSA_11use_defaultEEES6_EEENSH_IJSG_SG_EEES6_PlJNSB_9not_fun_tINSB_14equal_to_valueIyEEEEEEE10hipError_tPvRmT3_T4_T5_T6_T7_T9_mT8_P12ihipStream_tbDpT10_ENKUlT_T0_E_clISt17integral_constantIbLb1EES1A_IbLb0EEEEDaS16_S17_EUlS16_E_NS1_11comp_targetILNS1_3genE8ELNS1_11target_archE1030ELNS1_3gpuE2ELNS1_3repE0EEENS1_30default_config_static_selectorELNS0_4arch9wavefront6targetE0EEEvT1_.has_dyn_sized_stack, 0
	.set _ZN7rocprim17ROCPRIM_400000_NS6detail17trampoline_kernelINS0_14default_configENS1_25partition_config_selectorILNS1_17partition_subalgoE6EyNS0_10empty_typeEbEEZZNS1_14partition_implILS5_6ELb0ES3_mN6thrust23THRUST_200600_302600_NS6detail15normal_iteratorINSA_10device_ptrIyEEEEPS6_SG_NS0_5tupleIJNSA_16discard_iteratorINSA_11use_defaultEEES6_EEENSH_IJSG_SG_EEES6_PlJNSB_9not_fun_tINSB_14equal_to_valueIyEEEEEEE10hipError_tPvRmT3_T4_T5_T6_T7_T9_mT8_P12ihipStream_tbDpT10_ENKUlT_T0_E_clISt17integral_constantIbLb1EES1A_IbLb0EEEEDaS16_S17_EUlS16_E_NS1_11comp_targetILNS1_3genE8ELNS1_11target_archE1030ELNS1_3gpuE2ELNS1_3repE0EEENS1_30default_config_static_selectorELNS0_4arch9wavefront6targetE0EEEvT1_.has_recursion, 0
	.set _ZN7rocprim17ROCPRIM_400000_NS6detail17trampoline_kernelINS0_14default_configENS1_25partition_config_selectorILNS1_17partition_subalgoE6EyNS0_10empty_typeEbEEZZNS1_14partition_implILS5_6ELb0ES3_mN6thrust23THRUST_200600_302600_NS6detail15normal_iteratorINSA_10device_ptrIyEEEEPS6_SG_NS0_5tupleIJNSA_16discard_iteratorINSA_11use_defaultEEES6_EEENSH_IJSG_SG_EEES6_PlJNSB_9not_fun_tINSB_14equal_to_valueIyEEEEEEE10hipError_tPvRmT3_T4_T5_T6_T7_T9_mT8_P12ihipStream_tbDpT10_ENKUlT_T0_E_clISt17integral_constantIbLb1EES1A_IbLb0EEEEDaS16_S17_EUlS16_E_NS1_11comp_targetILNS1_3genE8ELNS1_11target_archE1030ELNS1_3gpuE2ELNS1_3repE0EEENS1_30default_config_static_selectorELNS0_4arch9wavefront6targetE0EEEvT1_.has_indirect_call, 0
	.section	.AMDGPU.csdata,"",@progbits
; Kernel info:
; codeLenInByte = 0
; TotalNumSgprs: 0
; NumVgprs: 0
; ScratchSize: 0
; MemoryBound: 0
; FloatMode: 240
; IeeeMode: 1
; LDSByteSize: 0 bytes/workgroup (compile time only)
; SGPRBlocks: 0
; VGPRBlocks: 0
; NumSGPRsForWavesPerEU: 1
; NumVGPRsForWavesPerEU: 1
; Occupancy: 16
; WaveLimiterHint : 0
; COMPUTE_PGM_RSRC2:SCRATCH_EN: 0
; COMPUTE_PGM_RSRC2:USER_SGPR: 2
; COMPUTE_PGM_RSRC2:TRAP_HANDLER: 0
; COMPUTE_PGM_RSRC2:TGID_X_EN: 1
; COMPUTE_PGM_RSRC2:TGID_Y_EN: 0
; COMPUTE_PGM_RSRC2:TGID_Z_EN: 0
; COMPUTE_PGM_RSRC2:TIDIG_COMP_CNT: 0
	.section	.text._ZN7rocprim17ROCPRIM_400000_NS6detail17trampoline_kernelINS0_14default_configENS1_25partition_config_selectorILNS1_17partition_subalgoE6EyNS0_10empty_typeEbEEZZNS1_14partition_implILS5_6ELb0ES3_mN6thrust23THRUST_200600_302600_NS6detail15normal_iteratorINSA_10device_ptrIyEEEEPS6_SG_NS0_5tupleIJNSA_16discard_iteratorINSA_11use_defaultEEES6_EEENSH_IJSG_SG_EEES6_PlJNSB_9not_fun_tINSB_14equal_to_valueIyEEEEEEE10hipError_tPvRmT3_T4_T5_T6_T7_T9_mT8_P12ihipStream_tbDpT10_ENKUlT_T0_E_clISt17integral_constantIbLb0EES1A_IbLb1EEEEDaS16_S17_EUlS16_E_NS1_11comp_targetILNS1_3genE0ELNS1_11target_archE4294967295ELNS1_3gpuE0ELNS1_3repE0EEENS1_30default_config_static_selectorELNS0_4arch9wavefront6targetE0EEEvT1_,"axG",@progbits,_ZN7rocprim17ROCPRIM_400000_NS6detail17trampoline_kernelINS0_14default_configENS1_25partition_config_selectorILNS1_17partition_subalgoE6EyNS0_10empty_typeEbEEZZNS1_14partition_implILS5_6ELb0ES3_mN6thrust23THRUST_200600_302600_NS6detail15normal_iteratorINSA_10device_ptrIyEEEEPS6_SG_NS0_5tupleIJNSA_16discard_iteratorINSA_11use_defaultEEES6_EEENSH_IJSG_SG_EEES6_PlJNSB_9not_fun_tINSB_14equal_to_valueIyEEEEEEE10hipError_tPvRmT3_T4_T5_T6_T7_T9_mT8_P12ihipStream_tbDpT10_ENKUlT_T0_E_clISt17integral_constantIbLb0EES1A_IbLb1EEEEDaS16_S17_EUlS16_E_NS1_11comp_targetILNS1_3genE0ELNS1_11target_archE4294967295ELNS1_3gpuE0ELNS1_3repE0EEENS1_30default_config_static_selectorELNS0_4arch9wavefront6targetE0EEEvT1_,comdat
	.protected	_ZN7rocprim17ROCPRIM_400000_NS6detail17trampoline_kernelINS0_14default_configENS1_25partition_config_selectorILNS1_17partition_subalgoE6EyNS0_10empty_typeEbEEZZNS1_14partition_implILS5_6ELb0ES3_mN6thrust23THRUST_200600_302600_NS6detail15normal_iteratorINSA_10device_ptrIyEEEEPS6_SG_NS0_5tupleIJNSA_16discard_iteratorINSA_11use_defaultEEES6_EEENSH_IJSG_SG_EEES6_PlJNSB_9not_fun_tINSB_14equal_to_valueIyEEEEEEE10hipError_tPvRmT3_T4_T5_T6_T7_T9_mT8_P12ihipStream_tbDpT10_ENKUlT_T0_E_clISt17integral_constantIbLb0EES1A_IbLb1EEEEDaS16_S17_EUlS16_E_NS1_11comp_targetILNS1_3genE0ELNS1_11target_archE4294967295ELNS1_3gpuE0ELNS1_3repE0EEENS1_30default_config_static_selectorELNS0_4arch9wavefront6targetE0EEEvT1_ ; -- Begin function _ZN7rocprim17ROCPRIM_400000_NS6detail17trampoline_kernelINS0_14default_configENS1_25partition_config_selectorILNS1_17partition_subalgoE6EyNS0_10empty_typeEbEEZZNS1_14partition_implILS5_6ELb0ES3_mN6thrust23THRUST_200600_302600_NS6detail15normal_iteratorINSA_10device_ptrIyEEEEPS6_SG_NS0_5tupleIJNSA_16discard_iteratorINSA_11use_defaultEEES6_EEENSH_IJSG_SG_EEES6_PlJNSB_9not_fun_tINSB_14equal_to_valueIyEEEEEEE10hipError_tPvRmT3_T4_T5_T6_T7_T9_mT8_P12ihipStream_tbDpT10_ENKUlT_T0_E_clISt17integral_constantIbLb0EES1A_IbLb1EEEEDaS16_S17_EUlS16_E_NS1_11comp_targetILNS1_3genE0ELNS1_11target_archE4294967295ELNS1_3gpuE0ELNS1_3repE0EEENS1_30default_config_static_selectorELNS0_4arch9wavefront6targetE0EEEvT1_
	.globl	_ZN7rocprim17ROCPRIM_400000_NS6detail17trampoline_kernelINS0_14default_configENS1_25partition_config_selectorILNS1_17partition_subalgoE6EyNS0_10empty_typeEbEEZZNS1_14partition_implILS5_6ELb0ES3_mN6thrust23THRUST_200600_302600_NS6detail15normal_iteratorINSA_10device_ptrIyEEEEPS6_SG_NS0_5tupleIJNSA_16discard_iteratorINSA_11use_defaultEEES6_EEENSH_IJSG_SG_EEES6_PlJNSB_9not_fun_tINSB_14equal_to_valueIyEEEEEEE10hipError_tPvRmT3_T4_T5_T6_T7_T9_mT8_P12ihipStream_tbDpT10_ENKUlT_T0_E_clISt17integral_constantIbLb0EES1A_IbLb1EEEEDaS16_S17_EUlS16_E_NS1_11comp_targetILNS1_3genE0ELNS1_11target_archE4294967295ELNS1_3gpuE0ELNS1_3repE0EEENS1_30default_config_static_selectorELNS0_4arch9wavefront6targetE0EEEvT1_
	.p2align	8
	.type	_ZN7rocprim17ROCPRIM_400000_NS6detail17trampoline_kernelINS0_14default_configENS1_25partition_config_selectorILNS1_17partition_subalgoE6EyNS0_10empty_typeEbEEZZNS1_14partition_implILS5_6ELb0ES3_mN6thrust23THRUST_200600_302600_NS6detail15normal_iteratorINSA_10device_ptrIyEEEEPS6_SG_NS0_5tupleIJNSA_16discard_iteratorINSA_11use_defaultEEES6_EEENSH_IJSG_SG_EEES6_PlJNSB_9not_fun_tINSB_14equal_to_valueIyEEEEEEE10hipError_tPvRmT3_T4_T5_T6_T7_T9_mT8_P12ihipStream_tbDpT10_ENKUlT_T0_E_clISt17integral_constantIbLb0EES1A_IbLb1EEEEDaS16_S17_EUlS16_E_NS1_11comp_targetILNS1_3genE0ELNS1_11target_archE4294967295ELNS1_3gpuE0ELNS1_3repE0EEENS1_30default_config_static_selectorELNS0_4arch9wavefront6targetE0EEEvT1_,@function
_ZN7rocprim17ROCPRIM_400000_NS6detail17trampoline_kernelINS0_14default_configENS1_25partition_config_selectorILNS1_17partition_subalgoE6EyNS0_10empty_typeEbEEZZNS1_14partition_implILS5_6ELb0ES3_mN6thrust23THRUST_200600_302600_NS6detail15normal_iteratorINSA_10device_ptrIyEEEEPS6_SG_NS0_5tupleIJNSA_16discard_iteratorINSA_11use_defaultEEES6_EEENSH_IJSG_SG_EEES6_PlJNSB_9not_fun_tINSB_14equal_to_valueIyEEEEEEE10hipError_tPvRmT3_T4_T5_T6_T7_T9_mT8_P12ihipStream_tbDpT10_ENKUlT_T0_E_clISt17integral_constantIbLb0EES1A_IbLb1EEEEDaS16_S17_EUlS16_E_NS1_11comp_targetILNS1_3genE0ELNS1_11target_archE4294967295ELNS1_3gpuE0ELNS1_3repE0EEENS1_30default_config_static_selectorELNS0_4arch9wavefront6targetE0EEEvT1_: ; @_ZN7rocprim17ROCPRIM_400000_NS6detail17trampoline_kernelINS0_14default_configENS1_25partition_config_selectorILNS1_17partition_subalgoE6EyNS0_10empty_typeEbEEZZNS1_14partition_implILS5_6ELb0ES3_mN6thrust23THRUST_200600_302600_NS6detail15normal_iteratorINSA_10device_ptrIyEEEEPS6_SG_NS0_5tupleIJNSA_16discard_iteratorINSA_11use_defaultEEES6_EEENSH_IJSG_SG_EEES6_PlJNSB_9not_fun_tINSB_14equal_to_valueIyEEEEEEE10hipError_tPvRmT3_T4_T5_T6_T7_T9_mT8_P12ihipStream_tbDpT10_ENKUlT_T0_E_clISt17integral_constantIbLb0EES1A_IbLb1EEEEDaS16_S17_EUlS16_E_NS1_11comp_targetILNS1_3genE0ELNS1_11target_archE4294967295ELNS1_3gpuE0ELNS1_3repE0EEENS1_30default_config_static_selectorELNS0_4arch9wavefront6targetE0EEEvT1_
; %bb.0:
	.section	.rodata,"a",@progbits
	.p2align	6, 0x0
	.amdhsa_kernel _ZN7rocprim17ROCPRIM_400000_NS6detail17trampoline_kernelINS0_14default_configENS1_25partition_config_selectorILNS1_17partition_subalgoE6EyNS0_10empty_typeEbEEZZNS1_14partition_implILS5_6ELb0ES3_mN6thrust23THRUST_200600_302600_NS6detail15normal_iteratorINSA_10device_ptrIyEEEEPS6_SG_NS0_5tupleIJNSA_16discard_iteratorINSA_11use_defaultEEES6_EEENSH_IJSG_SG_EEES6_PlJNSB_9not_fun_tINSB_14equal_to_valueIyEEEEEEE10hipError_tPvRmT3_T4_T5_T6_T7_T9_mT8_P12ihipStream_tbDpT10_ENKUlT_T0_E_clISt17integral_constantIbLb0EES1A_IbLb1EEEEDaS16_S17_EUlS16_E_NS1_11comp_targetILNS1_3genE0ELNS1_11target_archE4294967295ELNS1_3gpuE0ELNS1_3repE0EEENS1_30default_config_static_selectorELNS0_4arch9wavefront6targetE0EEEvT1_
		.amdhsa_group_segment_fixed_size 0
		.amdhsa_private_segment_fixed_size 0
		.amdhsa_kernarg_size 136
		.amdhsa_user_sgpr_count 2
		.amdhsa_user_sgpr_dispatch_ptr 0
		.amdhsa_user_sgpr_queue_ptr 0
		.amdhsa_user_sgpr_kernarg_segment_ptr 1
		.amdhsa_user_sgpr_dispatch_id 0
		.amdhsa_user_sgpr_private_segment_size 0
		.amdhsa_wavefront_size32 1
		.amdhsa_uses_dynamic_stack 0
		.amdhsa_enable_private_segment 0
		.amdhsa_system_sgpr_workgroup_id_x 1
		.amdhsa_system_sgpr_workgroup_id_y 0
		.amdhsa_system_sgpr_workgroup_id_z 0
		.amdhsa_system_sgpr_workgroup_info 0
		.amdhsa_system_vgpr_workitem_id 0
		.amdhsa_next_free_vgpr 1
		.amdhsa_next_free_sgpr 1
		.amdhsa_reserve_vcc 0
		.amdhsa_float_round_mode_32 0
		.amdhsa_float_round_mode_16_64 0
		.amdhsa_float_denorm_mode_32 3
		.amdhsa_float_denorm_mode_16_64 3
		.amdhsa_fp16_overflow 0
		.amdhsa_workgroup_processor_mode 1
		.amdhsa_memory_ordered 1
		.amdhsa_forward_progress 1
		.amdhsa_inst_pref_size 0
		.amdhsa_round_robin_scheduling 0
		.amdhsa_exception_fp_ieee_invalid_op 0
		.amdhsa_exception_fp_denorm_src 0
		.amdhsa_exception_fp_ieee_div_zero 0
		.amdhsa_exception_fp_ieee_overflow 0
		.amdhsa_exception_fp_ieee_underflow 0
		.amdhsa_exception_fp_ieee_inexact 0
		.amdhsa_exception_int_div_zero 0
	.end_amdhsa_kernel
	.section	.text._ZN7rocprim17ROCPRIM_400000_NS6detail17trampoline_kernelINS0_14default_configENS1_25partition_config_selectorILNS1_17partition_subalgoE6EyNS0_10empty_typeEbEEZZNS1_14partition_implILS5_6ELb0ES3_mN6thrust23THRUST_200600_302600_NS6detail15normal_iteratorINSA_10device_ptrIyEEEEPS6_SG_NS0_5tupleIJNSA_16discard_iteratorINSA_11use_defaultEEES6_EEENSH_IJSG_SG_EEES6_PlJNSB_9not_fun_tINSB_14equal_to_valueIyEEEEEEE10hipError_tPvRmT3_T4_T5_T6_T7_T9_mT8_P12ihipStream_tbDpT10_ENKUlT_T0_E_clISt17integral_constantIbLb0EES1A_IbLb1EEEEDaS16_S17_EUlS16_E_NS1_11comp_targetILNS1_3genE0ELNS1_11target_archE4294967295ELNS1_3gpuE0ELNS1_3repE0EEENS1_30default_config_static_selectorELNS0_4arch9wavefront6targetE0EEEvT1_,"axG",@progbits,_ZN7rocprim17ROCPRIM_400000_NS6detail17trampoline_kernelINS0_14default_configENS1_25partition_config_selectorILNS1_17partition_subalgoE6EyNS0_10empty_typeEbEEZZNS1_14partition_implILS5_6ELb0ES3_mN6thrust23THRUST_200600_302600_NS6detail15normal_iteratorINSA_10device_ptrIyEEEEPS6_SG_NS0_5tupleIJNSA_16discard_iteratorINSA_11use_defaultEEES6_EEENSH_IJSG_SG_EEES6_PlJNSB_9not_fun_tINSB_14equal_to_valueIyEEEEEEE10hipError_tPvRmT3_T4_T5_T6_T7_T9_mT8_P12ihipStream_tbDpT10_ENKUlT_T0_E_clISt17integral_constantIbLb0EES1A_IbLb1EEEEDaS16_S17_EUlS16_E_NS1_11comp_targetILNS1_3genE0ELNS1_11target_archE4294967295ELNS1_3gpuE0ELNS1_3repE0EEENS1_30default_config_static_selectorELNS0_4arch9wavefront6targetE0EEEvT1_,comdat
.Lfunc_end1653:
	.size	_ZN7rocprim17ROCPRIM_400000_NS6detail17trampoline_kernelINS0_14default_configENS1_25partition_config_selectorILNS1_17partition_subalgoE6EyNS0_10empty_typeEbEEZZNS1_14partition_implILS5_6ELb0ES3_mN6thrust23THRUST_200600_302600_NS6detail15normal_iteratorINSA_10device_ptrIyEEEEPS6_SG_NS0_5tupleIJNSA_16discard_iteratorINSA_11use_defaultEEES6_EEENSH_IJSG_SG_EEES6_PlJNSB_9not_fun_tINSB_14equal_to_valueIyEEEEEEE10hipError_tPvRmT3_T4_T5_T6_T7_T9_mT8_P12ihipStream_tbDpT10_ENKUlT_T0_E_clISt17integral_constantIbLb0EES1A_IbLb1EEEEDaS16_S17_EUlS16_E_NS1_11comp_targetILNS1_3genE0ELNS1_11target_archE4294967295ELNS1_3gpuE0ELNS1_3repE0EEENS1_30default_config_static_selectorELNS0_4arch9wavefront6targetE0EEEvT1_, .Lfunc_end1653-_ZN7rocprim17ROCPRIM_400000_NS6detail17trampoline_kernelINS0_14default_configENS1_25partition_config_selectorILNS1_17partition_subalgoE6EyNS0_10empty_typeEbEEZZNS1_14partition_implILS5_6ELb0ES3_mN6thrust23THRUST_200600_302600_NS6detail15normal_iteratorINSA_10device_ptrIyEEEEPS6_SG_NS0_5tupleIJNSA_16discard_iteratorINSA_11use_defaultEEES6_EEENSH_IJSG_SG_EEES6_PlJNSB_9not_fun_tINSB_14equal_to_valueIyEEEEEEE10hipError_tPvRmT3_T4_T5_T6_T7_T9_mT8_P12ihipStream_tbDpT10_ENKUlT_T0_E_clISt17integral_constantIbLb0EES1A_IbLb1EEEEDaS16_S17_EUlS16_E_NS1_11comp_targetILNS1_3genE0ELNS1_11target_archE4294967295ELNS1_3gpuE0ELNS1_3repE0EEENS1_30default_config_static_selectorELNS0_4arch9wavefront6targetE0EEEvT1_
                                        ; -- End function
	.set _ZN7rocprim17ROCPRIM_400000_NS6detail17trampoline_kernelINS0_14default_configENS1_25partition_config_selectorILNS1_17partition_subalgoE6EyNS0_10empty_typeEbEEZZNS1_14partition_implILS5_6ELb0ES3_mN6thrust23THRUST_200600_302600_NS6detail15normal_iteratorINSA_10device_ptrIyEEEEPS6_SG_NS0_5tupleIJNSA_16discard_iteratorINSA_11use_defaultEEES6_EEENSH_IJSG_SG_EEES6_PlJNSB_9not_fun_tINSB_14equal_to_valueIyEEEEEEE10hipError_tPvRmT3_T4_T5_T6_T7_T9_mT8_P12ihipStream_tbDpT10_ENKUlT_T0_E_clISt17integral_constantIbLb0EES1A_IbLb1EEEEDaS16_S17_EUlS16_E_NS1_11comp_targetILNS1_3genE0ELNS1_11target_archE4294967295ELNS1_3gpuE0ELNS1_3repE0EEENS1_30default_config_static_selectorELNS0_4arch9wavefront6targetE0EEEvT1_.num_vgpr, 0
	.set _ZN7rocprim17ROCPRIM_400000_NS6detail17trampoline_kernelINS0_14default_configENS1_25partition_config_selectorILNS1_17partition_subalgoE6EyNS0_10empty_typeEbEEZZNS1_14partition_implILS5_6ELb0ES3_mN6thrust23THRUST_200600_302600_NS6detail15normal_iteratorINSA_10device_ptrIyEEEEPS6_SG_NS0_5tupleIJNSA_16discard_iteratorINSA_11use_defaultEEES6_EEENSH_IJSG_SG_EEES6_PlJNSB_9not_fun_tINSB_14equal_to_valueIyEEEEEEE10hipError_tPvRmT3_T4_T5_T6_T7_T9_mT8_P12ihipStream_tbDpT10_ENKUlT_T0_E_clISt17integral_constantIbLb0EES1A_IbLb1EEEEDaS16_S17_EUlS16_E_NS1_11comp_targetILNS1_3genE0ELNS1_11target_archE4294967295ELNS1_3gpuE0ELNS1_3repE0EEENS1_30default_config_static_selectorELNS0_4arch9wavefront6targetE0EEEvT1_.num_agpr, 0
	.set _ZN7rocprim17ROCPRIM_400000_NS6detail17trampoline_kernelINS0_14default_configENS1_25partition_config_selectorILNS1_17partition_subalgoE6EyNS0_10empty_typeEbEEZZNS1_14partition_implILS5_6ELb0ES3_mN6thrust23THRUST_200600_302600_NS6detail15normal_iteratorINSA_10device_ptrIyEEEEPS6_SG_NS0_5tupleIJNSA_16discard_iteratorINSA_11use_defaultEEES6_EEENSH_IJSG_SG_EEES6_PlJNSB_9not_fun_tINSB_14equal_to_valueIyEEEEEEE10hipError_tPvRmT3_T4_T5_T6_T7_T9_mT8_P12ihipStream_tbDpT10_ENKUlT_T0_E_clISt17integral_constantIbLb0EES1A_IbLb1EEEEDaS16_S17_EUlS16_E_NS1_11comp_targetILNS1_3genE0ELNS1_11target_archE4294967295ELNS1_3gpuE0ELNS1_3repE0EEENS1_30default_config_static_selectorELNS0_4arch9wavefront6targetE0EEEvT1_.numbered_sgpr, 0
	.set _ZN7rocprim17ROCPRIM_400000_NS6detail17trampoline_kernelINS0_14default_configENS1_25partition_config_selectorILNS1_17partition_subalgoE6EyNS0_10empty_typeEbEEZZNS1_14partition_implILS5_6ELb0ES3_mN6thrust23THRUST_200600_302600_NS6detail15normal_iteratorINSA_10device_ptrIyEEEEPS6_SG_NS0_5tupleIJNSA_16discard_iteratorINSA_11use_defaultEEES6_EEENSH_IJSG_SG_EEES6_PlJNSB_9not_fun_tINSB_14equal_to_valueIyEEEEEEE10hipError_tPvRmT3_T4_T5_T6_T7_T9_mT8_P12ihipStream_tbDpT10_ENKUlT_T0_E_clISt17integral_constantIbLb0EES1A_IbLb1EEEEDaS16_S17_EUlS16_E_NS1_11comp_targetILNS1_3genE0ELNS1_11target_archE4294967295ELNS1_3gpuE0ELNS1_3repE0EEENS1_30default_config_static_selectorELNS0_4arch9wavefront6targetE0EEEvT1_.num_named_barrier, 0
	.set _ZN7rocprim17ROCPRIM_400000_NS6detail17trampoline_kernelINS0_14default_configENS1_25partition_config_selectorILNS1_17partition_subalgoE6EyNS0_10empty_typeEbEEZZNS1_14partition_implILS5_6ELb0ES3_mN6thrust23THRUST_200600_302600_NS6detail15normal_iteratorINSA_10device_ptrIyEEEEPS6_SG_NS0_5tupleIJNSA_16discard_iteratorINSA_11use_defaultEEES6_EEENSH_IJSG_SG_EEES6_PlJNSB_9not_fun_tINSB_14equal_to_valueIyEEEEEEE10hipError_tPvRmT3_T4_T5_T6_T7_T9_mT8_P12ihipStream_tbDpT10_ENKUlT_T0_E_clISt17integral_constantIbLb0EES1A_IbLb1EEEEDaS16_S17_EUlS16_E_NS1_11comp_targetILNS1_3genE0ELNS1_11target_archE4294967295ELNS1_3gpuE0ELNS1_3repE0EEENS1_30default_config_static_selectorELNS0_4arch9wavefront6targetE0EEEvT1_.private_seg_size, 0
	.set _ZN7rocprim17ROCPRIM_400000_NS6detail17trampoline_kernelINS0_14default_configENS1_25partition_config_selectorILNS1_17partition_subalgoE6EyNS0_10empty_typeEbEEZZNS1_14partition_implILS5_6ELb0ES3_mN6thrust23THRUST_200600_302600_NS6detail15normal_iteratorINSA_10device_ptrIyEEEEPS6_SG_NS0_5tupleIJNSA_16discard_iteratorINSA_11use_defaultEEES6_EEENSH_IJSG_SG_EEES6_PlJNSB_9not_fun_tINSB_14equal_to_valueIyEEEEEEE10hipError_tPvRmT3_T4_T5_T6_T7_T9_mT8_P12ihipStream_tbDpT10_ENKUlT_T0_E_clISt17integral_constantIbLb0EES1A_IbLb1EEEEDaS16_S17_EUlS16_E_NS1_11comp_targetILNS1_3genE0ELNS1_11target_archE4294967295ELNS1_3gpuE0ELNS1_3repE0EEENS1_30default_config_static_selectorELNS0_4arch9wavefront6targetE0EEEvT1_.uses_vcc, 0
	.set _ZN7rocprim17ROCPRIM_400000_NS6detail17trampoline_kernelINS0_14default_configENS1_25partition_config_selectorILNS1_17partition_subalgoE6EyNS0_10empty_typeEbEEZZNS1_14partition_implILS5_6ELb0ES3_mN6thrust23THRUST_200600_302600_NS6detail15normal_iteratorINSA_10device_ptrIyEEEEPS6_SG_NS0_5tupleIJNSA_16discard_iteratorINSA_11use_defaultEEES6_EEENSH_IJSG_SG_EEES6_PlJNSB_9not_fun_tINSB_14equal_to_valueIyEEEEEEE10hipError_tPvRmT3_T4_T5_T6_T7_T9_mT8_P12ihipStream_tbDpT10_ENKUlT_T0_E_clISt17integral_constantIbLb0EES1A_IbLb1EEEEDaS16_S17_EUlS16_E_NS1_11comp_targetILNS1_3genE0ELNS1_11target_archE4294967295ELNS1_3gpuE0ELNS1_3repE0EEENS1_30default_config_static_selectorELNS0_4arch9wavefront6targetE0EEEvT1_.uses_flat_scratch, 0
	.set _ZN7rocprim17ROCPRIM_400000_NS6detail17trampoline_kernelINS0_14default_configENS1_25partition_config_selectorILNS1_17partition_subalgoE6EyNS0_10empty_typeEbEEZZNS1_14partition_implILS5_6ELb0ES3_mN6thrust23THRUST_200600_302600_NS6detail15normal_iteratorINSA_10device_ptrIyEEEEPS6_SG_NS0_5tupleIJNSA_16discard_iteratorINSA_11use_defaultEEES6_EEENSH_IJSG_SG_EEES6_PlJNSB_9not_fun_tINSB_14equal_to_valueIyEEEEEEE10hipError_tPvRmT3_T4_T5_T6_T7_T9_mT8_P12ihipStream_tbDpT10_ENKUlT_T0_E_clISt17integral_constantIbLb0EES1A_IbLb1EEEEDaS16_S17_EUlS16_E_NS1_11comp_targetILNS1_3genE0ELNS1_11target_archE4294967295ELNS1_3gpuE0ELNS1_3repE0EEENS1_30default_config_static_selectorELNS0_4arch9wavefront6targetE0EEEvT1_.has_dyn_sized_stack, 0
	.set _ZN7rocprim17ROCPRIM_400000_NS6detail17trampoline_kernelINS0_14default_configENS1_25partition_config_selectorILNS1_17partition_subalgoE6EyNS0_10empty_typeEbEEZZNS1_14partition_implILS5_6ELb0ES3_mN6thrust23THRUST_200600_302600_NS6detail15normal_iteratorINSA_10device_ptrIyEEEEPS6_SG_NS0_5tupleIJNSA_16discard_iteratorINSA_11use_defaultEEES6_EEENSH_IJSG_SG_EEES6_PlJNSB_9not_fun_tINSB_14equal_to_valueIyEEEEEEE10hipError_tPvRmT3_T4_T5_T6_T7_T9_mT8_P12ihipStream_tbDpT10_ENKUlT_T0_E_clISt17integral_constantIbLb0EES1A_IbLb1EEEEDaS16_S17_EUlS16_E_NS1_11comp_targetILNS1_3genE0ELNS1_11target_archE4294967295ELNS1_3gpuE0ELNS1_3repE0EEENS1_30default_config_static_selectorELNS0_4arch9wavefront6targetE0EEEvT1_.has_recursion, 0
	.set _ZN7rocprim17ROCPRIM_400000_NS6detail17trampoline_kernelINS0_14default_configENS1_25partition_config_selectorILNS1_17partition_subalgoE6EyNS0_10empty_typeEbEEZZNS1_14partition_implILS5_6ELb0ES3_mN6thrust23THRUST_200600_302600_NS6detail15normal_iteratorINSA_10device_ptrIyEEEEPS6_SG_NS0_5tupleIJNSA_16discard_iteratorINSA_11use_defaultEEES6_EEENSH_IJSG_SG_EEES6_PlJNSB_9not_fun_tINSB_14equal_to_valueIyEEEEEEE10hipError_tPvRmT3_T4_T5_T6_T7_T9_mT8_P12ihipStream_tbDpT10_ENKUlT_T0_E_clISt17integral_constantIbLb0EES1A_IbLb1EEEEDaS16_S17_EUlS16_E_NS1_11comp_targetILNS1_3genE0ELNS1_11target_archE4294967295ELNS1_3gpuE0ELNS1_3repE0EEENS1_30default_config_static_selectorELNS0_4arch9wavefront6targetE0EEEvT1_.has_indirect_call, 0
	.section	.AMDGPU.csdata,"",@progbits
; Kernel info:
; codeLenInByte = 0
; TotalNumSgprs: 0
; NumVgprs: 0
; ScratchSize: 0
; MemoryBound: 0
; FloatMode: 240
; IeeeMode: 1
; LDSByteSize: 0 bytes/workgroup (compile time only)
; SGPRBlocks: 0
; VGPRBlocks: 0
; NumSGPRsForWavesPerEU: 1
; NumVGPRsForWavesPerEU: 1
; Occupancy: 16
; WaveLimiterHint : 0
; COMPUTE_PGM_RSRC2:SCRATCH_EN: 0
; COMPUTE_PGM_RSRC2:USER_SGPR: 2
; COMPUTE_PGM_RSRC2:TRAP_HANDLER: 0
; COMPUTE_PGM_RSRC2:TGID_X_EN: 1
; COMPUTE_PGM_RSRC2:TGID_Y_EN: 0
; COMPUTE_PGM_RSRC2:TGID_Z_EN: 0
; COMPUTE_PGM_RSRC2:TIDIG_COMP_CNT: 0
	.section	.text._ZN7rocprim17ROCPRIM_400000_NS6detail17trampoline_kernelINS0_14default_configENS1_25partition_config_selectorILNS1_17partition_subalgoE6EyNS0_10empty_typeEbEEZZNS1_14partition_implILS5_6ELb0ES3_mN6thrust23THRUST_200600_302600_NS6detail15normal_iteratorINSA_10device_ptrIyEEEEPS6_SG_NS0_5tupleIJNSA_16discard_iteratorINSA_11use_defaultEEES6_EEENSH_IJSG_SG_EEES6_PlJNSB_9not_fun_tINSB_14equal_to_valueIyEEEEEEE10hipError_tPvRmT3_T4_T5_T6_T7_T9_mT8_P12ihipStream_tbDpT10_ENKUlT_T0_E_clISt17integral_constantIbLb0EES1A_IbLb1EEEEDaS16_S17_EUlS16_E_NS1_11comp_targetILNS1_3genE5ELNS1_11target_archE942ELNS1_3gpuE9ELNS1_3repE0EEENS1_30default_config_static_selectorELNS0_4arch9wavefront6targetE0EEEvT1_,"axG",@progbits,_ZN7rocprim17ROCPRIM_400000_NS6detail17trampoline_kernelINS0_14default_configENS1_25partition_config_selectorILNS1_17partition_subalgoE6EyNS0_10empty_typeEbEEZZNS1_14partition_implILS5_6ELb0ES3_mN6thrust23THRUST_200600_302600_NS6detail15normal_iteratorINSA_10device_ptrIyEEEEPS6_SG_NS0_5tupleIJNSA_16discard_iteratorINSA_11use_defaultEEES6_EEENSH_IJSG_SG_EEES6_PlJNSB_9not_fun_tINSB_14equal_to_valueIyEEEEEEE10hipError_tPvRmT3_T4_T5_T6_T7_T9_mT8_P12ihipStream_tbDpT10_ENKUlT_T0_E_clISt17integral_constantIbLb0EES1A_IbLb1EEEEDaS16_S17_EUlS16_E_NS1_11comp_targetILNS1_3genE5ELNS1_11target_archE942ELNS1_3gpuE9ELNS1_3repE0EEENS1_30default_config_static_selectorELNS0_4arch9wavefront6targetE0EEEvT1_,comdat
	.protected	_ZN7rocprim17ROCPRIM_400000_NS6detail17trampoline_kernelINS0_14default_configENS1_25partition_config_selectorILNS1_17partition_subalgoE6EyNS0_10empty_typeEbEEZZNS1_14partition_implILS5_6ELb0ES3_mN6thrust23THRUST_200600_302600_NS6detail15normal_iteratorINSA_10device_ptrIyEEEEPS6_SG_NS0_5tupleIJNSA_16discard_iteratorINSA_11use_defaultEEES6_EEENSH_IJSG_SG_EEES6_PlJNSB_9not_fun_tINSB_14equal_to_valueIyEEEEEEE10hipError_tPvRmT3_T4_T5_T6_T7_T9_mT8_P12ihipStream_tbDpT10_ENKUlT_T0_E_clISt17integral_constantIbLb0EES1A_IbLb1EEEEDaS16_S17_EUlS16_E_NS1_11comp_targetILNS1_3genE5ELNS1_11target_archE942ELNS1_3gpuE9ELNS1_3repE0EEENS1_30default_config_static_selectorELNS0_4arch9wavefront6targetE0EEEvT1_ ; -- Begin function _ZN7rocprim17ROCPRIM_400000_NS6detail17trampoline_kernelINS0_14default_configENS1_25partition_config_selectorILNS1_17partition_subalgoE6EyNS0_10empty_typeEbEEZZNS1_14partition_implILS5_6ELb0ES3_mN6thrust23THRUST_200600_302600_NS6detail15normal_iteratorINSA_10device_ptrIyEEEEPS6_SG_NS0_5tupleIJNSA_16discard_iteratorINSA_11use_defaultEEES6_EEENSH_IJSG_SG_EEES6_PlJNSB_9not_fun_tINSB_14equal_to_valueIyEEEEEEE10hipError_tPvRmT3_T4_T5_T6_T7_T9_mT8_P12ihipStream_tbDpT10_ENKUlT_T0_E_clISt17integral_constantIbLb0EES1A_IbLb1EEEEDaS16_S17_EUlS16_E_NS1_11comp_targetILNS1_3genE5ELNS1_11target_archE942ELNS1_3gpuE9ELNS1_3repE0EEENS1_30default_config_static_selectorELNS0_4arch9wavefront6targetE0EEEvT1_
	.globl	_ZN7rocprim17ROCPRIM_400000_NS6detail17trampoline_kernelINS0_14default_configENS1_25partition_config_selectorILNS1_17partition_subalgoE6EyNS0_10empty_typeEbEEZZNS1_14partition_implILS5_6ELb0ES3_mN6thrust23THRUST_200600_302600_NS6detail15normal_iteratorINSA_10device_ptrIyEEEEPS6_SG_NS0_5tupleIJNSA_16discard_iteratorINSA_11use_defaultEEES6_EEENSH_IJSG_SG_EEES6_PlJNSB_9not_fun_tINSB_14equal_to_valueIyEEEEEEE10hipError_tPvRmT3_T4_T5_T6_T7_T9_mT8_P12ihipStream_tbDpT10_ENKUlT_T0_E_clISt17integral_constantIbLb0EES1A_IbLb1EEEEDaS16_S17_EUlS16_E_NS1_11comp_targetILNS1_3genE5ELNS1_11target_archE942ELNS1_3gpuE9ELNS1_3repE0EEENS1_30default_config_static_selectorELNS0_4arch9wavefront6targetE0EEEvT1_
	.p2align	8
	.type	_ZN7rocprim17ROCPRIM_400000_NS6detail17trampoline_kernelINS0_14default_configENS1_25partition_config_selectorILNS1_17partition_subalgoE6EyNS0_10empty_typeEbEEZZNS1_14partition_implILS5_6ELb0ES3_mN6thrust23THRUST_200600_302600_NS6detail15normal_iteratorINSA_10device_ptrIyEEEEPS6_SG_NS0_5tupleIJNSA_16discard_iteratorINSA_11use_defaultEEES6_EEENSH_IJSG_SG_EEES6_PlJNSB_9not_fun_tINSB_14equal_to_valueIyEEEEEEE10hipError_tPvRmT3_T4_T5_T6_T7_T9_mT8_P12ihipStream_tbDpT10_ENKUlT_T0_E_clISt17integral_constantIbLb0EES1A_IbLb1EEEEDaS16_S17_EUlS16_E_NS1_11comp_targetILNS1_3genE5ELNS1_11target_archE942ELNS1_3gpuE9ELNS1_3repE0EEENS1_30default_config_static_selectorELNS0_4arch9wavefront6targetE0EEEvT1_,@function
_ZN7rocprim17ROCPRIM_400000_NS6detail17trampoline_kernelINS0_14default_configENS1_25partition_config_selectorILNS1_17partition_subalgoE6EyNS0_10empty_typeEbEEZZNS1_14partition_implILS5_6ELb0ES3_mN6thrust23THRUST_200600_302600_NS6detail15normal_iteratorINSA_10device_ptrIyEEEEPS6_SG_NS0_5tupleIJNSA_16discard_iteratorINSA_11use_defaultEEES6_EEENSH_IJSG_SG_EEES6_PlJNSB_9not_fun_tINSB_14equal_to_valueIyEEEEEEE10hipError_tPvRmT3_T4_T5_T6_T7_T9_mT8_P12ihipStream_tbDpT10_ENKUlT_T0_E_clISt17integral_constantIbLb0EES1A_IbLb1EEEEDaS16_S17_EUlS16_E_NS1_11comp_targetILNS1_3genE5ELNS1_11target_archE942ELNS1_3gpuE9ELNS1_3repE0EEENS1_30default_config_static_selectorELNS0_4arch9wavefront6targetE0EEEvT1_: ; @_ZN7rocprim17ROCPRIM_400000_NS6detail17trampoline_kernelINS0_14default_configENS1_25partition_config_selectorILNS1_17partition_subalgoE6EyNS0_10empty_typeEbEEZZNS1_14partition_implILS5_6ELb0ES3_mN6thrust23THRUST_200600_302600_NS6detail15normal_iteratorINSA_10device_ptrIyEEEEPS6_SG_NS0_5tupleIJNSA_16discard_iteratorINSA_11use_defaultEEES6_EEENSH_IJSG_SG_EEES6_PlJNSB_9not_fun_tINSB_14equal_to_valueIyEEEEEEE10hipError_tPvRmT3_T4_T5_T6_T7_T9_mT8_P12ihipStream_tbDpT10_ENKUlT_T0_E_clISt17integral_constantIbLb0EES1A_IbLb1EEEEDaS16_S17_EUlS16_E_NS1_11comp_targetILNS1_3genE5ELNS1_11target_archE942ELNS1_3gpuE9ELNS1_3repE0EEENS1_30default_config_static_selectorELNS0_4arch9wavefront6targetE0EEEvT1_
; %bb.0:
	.section	.rodata,"a",@progbits
	.p2align	6, 0x0
	.amdhsa_kernel _ZN7rocprim17ROCPRIM_400000_NS6detail17trampoline_kernelINS0_14default_configENS1_25partition_config_selectorILNS1_17partition_subalgoE6EyNS0_10empty_typeEbEEZZNS1_14partition_implILS5_6ELb0ES3_mN6thrust23THRUST_200600_302600_NS6detail15normal_iteratorINSA_10device_ptrIyEEEEPS6_SG_NS0_5tupleIJNSA_16discard_iteratorINSA_11use_defaultEEES6_EEENSH_IJSG_SG_EEES6_PlJNSB_9not_fun_tINSB_14equal_to_valueIyEEEEEEE10hipError_tPvRmT3_T4_T5_T6_T7_T9_mT8_P12ihipStream_tbDpT10_ENKUlT_T0_E_clISt17integral_constantIbLb0EES1A_IbLb1EEEEDaS16_S17_EUlS16_E_NS1_11comp_targetILNS1_3genE5ELNS1_11target_archE942ELNS1_3gpuE9ELNS1_3repE0EEENS1_30default_config_static_selectorELNS0_4arch9wavefront6targetE0EEEvT1_
		.amdhsa_group_segment_fixed_size 0
		.amdhsa_private_segment_fixed_size 0
		.amdhsa_kernarg_size 136
		.amdhsa_user_sgpr_count 2
		.amdhsa_user_sgpr_dispatch_ptr 0
		.amdhsa_user_sgpr_queue_ptr 0
		.amdhsa_user_sgpr_kernarg_segment_ptr 1
		.amdhsa_user_sgpr_dispatch_id 0
		.amdhsa_user_sgpr_private_segment_size 0
		.amdhsa_wavefront_size32 1
		.amdhsa_uses_dynamic_stack 0
		.amdhsa_enable_private_segment 0
		.amdhsa_system_sgpr_workgroup_id_x 1
		.amdhsa_system_sgpr_workgroup_id_y 0
		.amdhsa_system_sgpr_workgroup_id_z 0
		.amdhsa_system_sgpr_workgroup_info 0
		.amdhsa_system_vgpr_workitem_id 0
		.amdhsa_next_free_vgpr 1
		.amdhsa_next_free_sgpr 1
		.amdhsa_reserve_vcc 0
		.amdhsa_float_round_mode_32 0
		.amdhsa_float_round_mode_16_64 0
		.amdhsa_float_denorm_mode_32 3
		.amdhsa_float_denorm_mode_16_64 3
		.amdhsa_fp16_overflow 0
		.amdhsa_workgroup_processor_mode 1
		.amdhsa_memory_ordered 1
		.amdhsa_forward_progress 1
		.amdhsa_inst_pref_size 0
		.amdhsa_round_robin_scheduling 0
		.amdhsa_exception_fp_ieee_invalid_op 0
		.amdhsa_exception_fp_denorm_src 0
		.amdhsa_exception_fp_ieee_div_zero 0
		.amdhsa_exception_fp_ieee_overflow 0
		.amdhsa_exception_fp_ieee_underflow 0
		.amdhsa_exception_fp_ieee_inexact 0
		.amdhsa_exception_int_div_zero 0
	.end_amdhsa_kernel
	.section	.text._ZN7rocprim17ROCPRIM_400000_NS6detail17trampoline_kernelINS0_14default_configENS1_25partition_config_selectorILNS1_17partition_subalgoE6EyNS0_10empty_typeEbEEZZNS1_14partition_implILS5_6ELb0ES3_mN6thrust23THRUST_200600_302600_NS6detail15normal_iteratorINSA_10device_ptrIyEEEEPS6_SG_NS0_5tupleIJNSA_16discard_iteratorINSA_11use_defaultEEES6_EEENSH_IJSG_SG_EEES6_PlJNSB_9not_fun_tINSB_14equal_to_valueIyEEEEEEE10hipError_tPvRmT3_T4_T5_T6_T7_T9_mT8_P12ihipStream_tbDpT10_ENKUlT_T0_E_clISt17integral_constantIbLb0EES1A_IbLb1EEEEDaS16_S17_EUlS16_E_NS1_11comp_targetILNS1_3genE5ELNS1_11target_archE942ELNS1_3gpuE9ELNS1_3repE0EEENS1_30default_config_static_selectorELNS0_4arch9wavefront6targetE0EEEvT1_,"axG",@progbits,_ZN7rocprim17ROCPRIM_400000_NS6detail17trampoline_kernelINS0_14default_configENS1_25partition_config_selectorILNS1_17partition_subalgoE6EyNS0_10empty_typeEbEEZZNS1_14partition_implILS5_6ELb0ES3_mN6thrust23THRUST_200600_302600_NS6detail15normal_iteratorINSA_10device_ptrIyEEEEPS6_SG_NS0_5tupleIJNSA_16discard_iteratorINSA_11use_defaultEEES6_EEENSH_IJSG_SG_EEES6_PlJNSB_9not_fun_tINSB_14equal_to_valueIyEEEEEEE10hipError_tPvRmT3_T4_T5_T6_T7_T9_mT8_P12ihipStream_tbDpT10_ENKUlT_T0_E_clISt17integral_constantIbLb0EES1A_IbLb1EEEEDaS16_S17_EUlS16_E_NS1_11comp_targetILNS1_3genE5ELNS1_11target_archE942ELNS1_3gpuE9ELNS1_3repE0EEENS1_30default_config_static_selectorELNS0_4arch9wavefront6targetE0EEEvT1_,comdat
.Lfunc_end1654:
	.size	_ZN7rocprim17ROCPRIM_400000_NS6detail17trampoline_kernelINS0_14default_configENS1_25partition_config_selectorILNS1_17partition_subalgoE6EyNS0_10empty_typeEbEEZZNS1_14partition_implILS5_6ELb0ES3_mN6thrust23THRUST_200600_302600_NS6detail15normal_iteratorINSA_10device_ptrIyEEEEPS6_SG_NS0_5tupleIJNSA_16discard_iteratorINSA_11use_defaultEEES6_EEENSH_IJSG_SG_EEES6_PlJNSB_9not_fun_tINSB_14equal_to_valueIyEEEEEEE10hipError_tPvRmT3_T4_T5_T6_T7_T9_mT8_P12ihipStream_tbDpT10_ENKUlT_T0_E_clISt17integral_constantIbLb0EES1A_IbLb1EEEEDaS16_S17_EUlS16_E_NS1_11comp_targetILNS1_3genE5ELNS1_11target_archE942ELNS1_3gpuE9ELNS1_3repE0EEENS1_30default_config_static_selectorELNS0_4arch9wavefront6targetE0EEEvT1_, .Lfunc_end1654-_ZN7rocprim17ROCPRIM_400000_NS6detail17trampoline_kernelINS0_14default_configENS1_25partition_config_selectorILNS1_17partition_subalgoE6EyNS0_10empty_typeEbEEZZNS1_14partition_implILS5_6ELb0ES3_mN6thrust23THRUST_200600_302600_NS6detail15normal_iteratorINSA_10device_ptrIyEEEEPS6_SG_NS0_5tupleIJNSA_16discard_iteratorINSA_11use_defaultEEES6_EEENSH_IJSG_SG_EEES6_PlJNSB_9not_fun_tINSB_14equal_to_valueIyEEEEEEE10hipError_tPvRmT3_T4_T5_T6_T7_T9_mT8_P12ihipStream_tbDpT10_ENKUlT_T0_E_clISt17integral_constantIbLb0EES1A_IbLb1EEEEDaS16_S17_EUlS16_E_NS1_11comp_targetILNS1_3genE5ELNS1_11target_archE942ELNS1_3gpuE9ELNS1_3repE0EEENS1_30default_config_static_selectorELNS0_4arch9wavefront6targetE0EEEvT1_
                                        ; -- End function
	.set _ZN7rocprim17ROCPRIM_400000_NS6detail17trampoline_kernelINS0_14default_configENS1_25partition_config_selectorILNS1_17partition_subalgoE6EyNS0_10empty_typeEbEEZZNS1_14partition_implILS5_6ELb0ES3_mN6thrust23THRUST_200600_302600_NS6detail15normal_iteratorINSA_10device_ptrIyEEEEPS6_SG_NS0_5tupleIJNSA_16discard_iteratorINSA_11use_defaultEEES6_EEENSH_IJSG_SG_EEES6_PlJNSB_9not_fun_tINSB_14equal_to_valueIyEEEEEEE10hipError_tPvRmT3_T4_T5_T6_T7_T9_mT8_P12ihipStream_tbDpT10_ENKUlT_T0_E_clISt17integral_constantIbLb0EES1A_IbLb1EEEEDaS16_S17_EUlS16_E_NS1_11comp_targetILNS1_3genE5ELNS1_11target_archE942ELNS1_3gpuE9ELNS1_3repE0EEENS1_30default_config_static_selectorELNS0_4arch9wavefront6targetE0EEEvT1_.num_vgpr, 0
	.set _ZN7rocprim17ROCPRIM_400000_NS6detail17trampoline_kernelINS0_14default_configENS1_25partition_config_selectorILNS1_17partition_subalgoE6EyNS0_10empty_typeEbEEZZNS1_14partition_implILS5_6ELb0ES3_mN6thrust23THRUST_200600_302600_NS6detail15normal_iteratorINSA_10device_ptrIyEEEEPS6_SG_NS0_5tupleIJNSA_16discard_iteratorINSA_11use_defaultEEES6_EEENSH_IJSG_SG_EEES6_PlJNSB_9not_fun_tINSB_14equal_to_valueIyEEEEEEE10hipError_tPvRmT3_T4_T5_T6_T7_T9_mT8_P12ihipStream_tbDpT10_ENKUlT_T0_E_clISt17integral_constantIbLb0EES1A_IbLb1EEEEDaS16_S17_EUlS16_E_NS1_11comp_targetILNS1_3genE5ELNS1_11target_archE942ELNS1_3gpuE9ELNS1_3repE0EEENS1_30default_config_static_selectorELNS0_4arch9wavefront6targetE0EEEvT1_.num_agpr, 0
	.set _ZN7rocprim17ROCPRIM_400000_NS6detail17trampoline_kernelINS0_14default_configENS1_25partition_config_selectorILNS1_17partition_subalgoE6EyNS0_10empty_typeEbEEZZNS1_14partition_implILS5_6ELb0ES3_mN6thrust23THRUST_200600_302600_NS6detail15normal_iteratorINSA_10device_ptrIyEEEEPS6_SG_NS0_5tupleIJNSA_16discard_iteratorINSA_11use_defaultEEES6_EEENSH_IJSG_SG_EEES6_PlJNSB_9not_fun_tINSB_14equal_to_valueIyEEEEEEE10hipError_tPvRmT3_T4_T5_T6_T7_T9_mT8_P12ihipStream_tbDpT10_ENKUlT_T0_E_clISt17integral_constantIbLb0EES1A_IbLb1EEEEDaS16_S17_EUlS16_E_NS1_11comp_targetILNS1_3genE5ELNS1_11target_archE942ELNS1_3gpuE9ELNS1_3repE0EEENS1_30default_config_static_selectorELNS0_4arch9wavefront6targetE0EEEvT1_.numbered_sgpr, 0
	.set _ZN7rocprim17ROCPRIM_400000_NS6detail17trampoline_kernelINS0_14default_configENS1_25partition_config_selectorILNS1_17partition_subalgoE6EyNS0_10empty_typeEbEEZZNS1_14partition_implILS5_6ELb0ES3_mN6thrust23THRUST_200600_302600_NS6detail15normal_iteratorINSA_10device_ptrIyEEEEPS6_SG_NS0_5tupleIJNSA_16discard_iteratorINSA_11use_defaultEEES6_EEENSH_IJSG_SG_EEES6_PlJNSB_9not_fun_tINSB_14equal_to_valueIyEEEEEEE10hipError_tPvRmT3_T4_T5_T6_T7_T9_mT8_P12ihipStream_tbDpT10_ENKUlT_T0_E_clISt17integral_constantIbLb0EES1A_IbLb1EEEEDaS16_S17_EUlS16_E_NS1_11comp_targetILNS1_3genE5ELNS1_11target_archE942ELNS1_3gpuE9ELNS1_3repE0EEENS1_30default_config_static_selectorELNS0_4arch9wavefront6targetE0EEEvT1_.num_named_barrier, 0
	.set _ZN7rocprim17ROCPRIM_400000_NS6detail17trampoline_kernelINS0_14default_configENS1_25partition_config_selectorILNS1_17partition_subalgoE6EyNS0_10empty_typeEbEEZZNS1_14partition_implILS5_6ELb0ES3_mN6thrust23THRUST_200600_302600_NS6detail15normal_iteratorINSA_10device_ptrIyEEEEPS6_SG_NS0_5tupleIJNSA_16discard_iteratorINSA_11use_defaultEEES6_EEENSH_IJSG_SG_EEES6_PlJNSB_9not_fun_tINSB_14equal_to_valueIyEEEEEEE10hipError_tPvRmT3_T4_T5_T6_T7_T9_mT8_P12ihipStream_tbDpT10_ENKUlT_T0_E_clISt17integral_constantIbLb0EES1A_IbLb1EEEEDaS16_S17_EUlS16_E_NS1_11comp_targetILNS1_3genE5ELNS1_11target_archE942ELNS1_3gpuE9ELNS1_3repE0EEENS1_30default_config_static_selectorELNS0_4arch9wavefront6targetE0EEEvT1_.private_seg_size, 0
	.set _ZN7rocprim17ROCPRIM_400000_NS6detail17trampoline_kernelINS0_14default_configENS1_25partition_config_selectorILNS1_17partition_subalgoE6EyNS0_10empty_typeEbEEZZNS1_14partition_implILS5_6ELb0ES3_mN6thrust23THRUST_200600_302600_NS6detail15normal_iteratorINSA_10device_ptrIyEEEEPS6_SG_NS0_5tupleIJNSA_16discard_iteratorINSA_11use_defaultEEES6_EEENSH_IJSG_SG_EEES6_PlJNSB_9not_fun_tINSB_14equal_to_valueIyEEEEEEE10hipError_tPvRmT3_T4_T5_T6_T7_T9_mT8_P12ihipStream_tbDpT10_ENKUlT_T0_E_clISt17integral_constantIbLb0EES1A_IbLb1EEEEDaS16_S17_EUlS16_E_NS1_11comp_targetILNS1_3genE5ELNS1_11target_archE942ELNS1_3gpuE9ELNS1_3repE0EEENS1_30default_config_static_selectorELNS0_4arch9wavefront6targetE0EEEvT1_.uses_vcc, 0
	.set _ZN7rocprim17ROCPRIM_400000_NS6detail17trampoline_kernelINS0_14default_configENS1_25partition_config_selectorILNS1_17partition_subalgoE6EyNS0_10empty_typeEbEEZZNS1_14partition_implILS5_6ELb0ES3_mN6thrust23THRUST_200600_302600_NS6detail15normal_iteratorINSA_10device_ptrIyEEEEPS6_SG_NS0_5tupleIJNSA_16discard_iteratorINSA_11use_defaultEEES6_EEENSH_IJSG_SG_EEES6_PlJNSB_9not_fun_tINSB_14equal_to_valueIyEEEEEEE10hipError_tPvRmT3_T4_T5_T6_T7_T9_mT8_P12ihipStream_tbDpT10_ENKUlT_T0_E_clISt17integral_constantIbLb0EES1A_IbLb1EEEEDaS16_S17_EUlS16_E_NS1_11comp_targetILNS1_3genE5ELNS1_11target_archE942ELNS1_3gpuE9ELNS1_3repE0EEENS1_30default_config_static_selectorELNS0_4arch9wavefront6targetE0EEEvT1_.uses_flat_scratch, 0
	.set _ZN7rocprim17ROCPRIM_400000_NS6detail17trampoline_kernelINS0_14default_configENS1_25partition_config_selectorILNS1_17partition_subalgoE6EyNS0_10empty_typeEbEEZZNS1_14partition_implILS5_6ELb0ES3_mN6thrust23THRUST_200600_302600_NS6detail15normal_iteratorINSA_10device_ptrIyEEEEPS6_SG_NS0_5tupleIJNSA_16discard_iteratorINSA_11use_defaultEEES6_EEENSH_IJSG_SG_EEES6_PlJNSB_9not_fun_tINSB_14equal_to_valueIyEEEEEEE10hipError_tPvRmT3_T4_T5_T6_T7_T9_mT8_P12ihipStream_tbDpT10_ENKUlT_T0_E_clISt17integral_constantIbLb0EES1A_IbLb1EEEEDaS16_S17_EUlS16_E_NS1_11comp_targetILNS1_3genE5ELNS1_11target_archE942ELNS1_3gpuE9ELNS1_3repE0EEENS1_30default_config_static_selectorELNS0_4arch9wavefront6targetE0EEEvT1_.has_dyn_sized_stack, 0
	.set _ZN7rocprim17ROCPRIM_400000_NS6detail17trampoline_kernelINS0_14default_configENS1_25partition_config_selectorILNS1_17partition_subalgoE6EyNS0_10empty_typeEbEEZZNS1_14partition_implILS5_6ELb0ES3_mN6thrust23THRUST_200600_302600_NS6detail15normal_iteratorINSA_10device_ptrIyEEEEPS6_SG_NS0_5tupleIJNSA_16discard_iteratorINSA_11use_defaultEEES6_EEENSH_IJSG_SG_EEES6_PlJNSB_9not_fun_tINSB_14equal_to_valueIyEEEEEEE10hipError_tPvRmT3_T4_T5_T6_T7_T9_mT8_P12ihipStream_tbDpT10_ENKUlT_T0_E_clISt17integral_constantIbLb0EES1A_IbLb1EEEEDaS16_S17_EUlS16_E_NS1_11comp_targetILNS1_3genE5ELNS1_11target_archE942ELNS1_3gpuE9ELNS1_3repE0EEENS1_30default_config_static_selectorELNS0_4arch9wavefront6targetE0EEEvT1_.has_recursion, 0
	.set _ZN7rocprim17ROCPRIM_400000_NS6detail17trampoline_kernelINS0_14default_configENS1_25partition_config_selectorILNS1_17partition_subalgoE6EyNS0_10empty_typeEbEEZZNS1_14partition_implILS5_6ELb0ES3_mN6thrust23THRUST_200600_302600_NS6detail15normal_iteratorINSA_10device_ptrIyEEEEPS6_SG_NS0_5tupleIJNSA_16discard_iteratorINSA_11use_defaultEEES6_EEENSH_IJSG_SG_EEES6_PlJNSB_9not_fun_tINSB_14equal_to_valueIyEEEEEEE10hipError_tPvRmT3_T4_T5_T6_T7_T9_mT8_P12ihipStream_tbDpT10_ENKUlT_T0_E_clISt17integral_constantIbLb0EES1A_IbLb1EEEEDaS16_S17_EUlS16_E_NS1_11comp_targetILNS1_3genE5ELNS1_11target_archE942ELNS1_3gpuE9ELNS1_3repE0EEENS1_30default_config_static_selectorELNS0_4arch9wavefront6targetE0EEEvT1_.has_indirect_call, 0
	.section	.AMDGPU.csdata,"",@progbits
; Kernel info:
; codeLenInByte = 0
; TotalNumSgprs: 0
; NumVgprs: 0
; ScratchSize: 0
; MemoryBound: 0
; FloatMode: 240
; IeeeMode: 1
; LDSByteSize: 0 bytes/workgroup (compile time only)
; SGPRBlocks: 0
; VGPRBlocks: 0
; NumSGPRsForWavesPerEU: 1
; NumVGPRsForWavesPerEU: 1
; Occupancy: 16
; WaveLimiterHint : 0
; COMPUTE_PGM_RSRC2:SCRATCH_EN: 0
; COMPUTE_PGM_RSRC2:USER_SGPR: 2
; COMPUTE_PGM_RSRC2:TRAP_HANDLER: 0
; COMPUTE_PGM_RSRC2:TGID_X_EN: 1
; COMPUTE_PGM_RSRC2:TGID_Y_EN: 0
; COMPUTE_PGM_RSRC2:TGID_Z_EN: 0
; COMPUTE_PGM_RSRC2:TIDIG_COMP_CNT: 0
	.section	.text._ZN7rocprim17ROCPRIM_400000_NS6detail17trampoline_kernelINS0_14default_configENS1_25partition_config_selectorILNS1_17partition_subalgoE6EyNS0_10empty_typeEbEEZZNS1_14partition_implILS5_6ELb0ES3_mN6thrust23THRUST_200600_302600_NS6detail15normal_iteratorINSA_10device_ptrIyEEEEPS6_SG_NS0_5tupleIJNSA_16discard_iteratorINSA_11use_defaultEEES6_EEENSH_IJSG_SG_EEES6_PlJNSB_9not_fun_tINSB_14equal_to_valueIyEEEEEEE10hipError_tPvRmT3_T4_T5_T6_T7_T9_mT8_P12ihipStream_tbDpT10_ENKUlT_T0_E_clISt17integral_constantIbLb0EES1A_IbLb1EEEEDaS16_S17_EUlS16_E_NS1_11comp_targetILNS1_3genE4ELNS1_11target_archE910ELNS1_3gpuE8ELNS1_3repE0EEENS1_30default_config_static_selectorELNS0_4arch9wavefront6targetE0EEEvT1_,"axG",@progbits,_ZN7rocprim17ROCPRIM_400000_NS6detail17trampoline_kernelINS0_14default_configENS1_25partition_config_selectorILNS1_17partition_subalgoE6EyNS0_10empty_typeEbEEZZNS1_14partition_implILS5_6ELb0ES3_mN6thrust23THRUST_200600_302600_NS6detail15normal_iteratorINSA_10device_ptrIyEEEEPS6_SG_NS0_5tupleIJNSA_16discard_iteratorINSA_11use_defaultEEES6_EEENSH_IJSG_SG_EEES6_PlJNSB_9not_fun_tINSB_14equal_to_valueIyEEEEEEE10hipError_tPvRmT3_T4_T5_T6_T7_T9_mT8_P12ihipStream_tbDpT10_ENKUlT_T0_E_clISt17integral_constantIbLb0EES1A_IbLb1EEEEDaS16_S17_EUlS16_E_NS1_11comp_targetILNS1_3genE4ELNS1_11target_archE910ELNS1_3gpuE8ELNS1_3repE0EEENS1_30default_config_static_selectorELNS0_4arch9wavefront6targetE0EEEvT1_,comdat
	.protected	_ZN7rocprim17ROCPRIM_400000_NS6detail17trampoline_kernelINS0_14default_configENS1_25partition_config_selectorILNS1_17partition_subalgoE6EyNS0_10empty_typeEbEEZZNS1_14partition_implILS5_6ELb0ES3_mN6thrust23THRUST_200600_302600_NS6detail15normal_iteratorINSA_10device_ptrIyEEEEPS6_SG_NS0_5tupleIJNSA_16discard_iteratorINSA_11use_defaultEEES6_EEENSH_IJSG_SG_EEES6_PlJNSB_9not_fun_tINSB_14equal_to_valueIyEEEEEEE10hipError_tPvRmT3_T4_T5_T6_T7_T9_mT8_P12ihipStream_tbDpT10_ENKUlT_T0_E_clISt17integral_constantIbLb0EES1A_IbLb1EEEEDaS16_S17_EUlS16_E_NS1_11comp_targetILNS1_3genE4ELNS1_11target_archE910ELNS1_3gpuE8ELNS1_3repE0EEENS1_30default_config_static_selectorELNS0_4arch9wavefront6targetE0EEEvT1_ ; -- Begin function _ZN7rocprim17ROCPRIM_400000_NS6detail17trampoline_kernelINS0_14default_configENS1_25partition_config_selectorILNS1_17partition_subalgoE6EyNS0_10empty_typeEbEEZZNS1_14partition_implILS5_6ELb0ES3_mN6thrust23THRUST_200600_302600_NS6detail15normal_iteratorINSA_10device_ptrIyEEEEPS6_SG_NS0_5tupleIJNSA_16discard_iteratorINSA_11use_defaultEEES6_EEENSH_IJSG_SG_EEES6_PlJNSB_9not_fun_tINSB_14equal_to_valueIyEEEEEEE10hipError_tPvRmT3_T4_T5_T6_T7_T9_mT8_P12ihipStream_tbDpT10_ENKUlT_T0_E_clISt17integral_constantIbLb0EES1A_IbLb1EEEEDaS16_S17_EUlS16_E_NS1_11comp_targetILNS1_3genE4ELNS1_11target_archE910ELNS1_3gpuE8ELNS1_3repE0EEENS1_30default_config_static_selectorELNS0_4arch9wavefront6targetE0EEEvT1_
	.globl	_ZN7rocprim17ROCPRIM_400000_NS6detail17trampoline_kernelINS0_14default_configENS1_25partition_config_selectorILNS1_17partition_subalgoE6EyNS0_10empty_typeEbEEZZNS1_14partition_implILS5_6ELb0ES3_mN6thrust23THRUST_200600_302600_NS6detail15normal_iteratorINSA_10device_ptrIyEEEEPS6_SG_NS0_5tupleIJNSA_16discard_iteratorINSA_11use_defaultEEES6_EEENSH_IJSG_SG_EEES6_PlJNSB_9not_fun_tINSB_14equal_to_valueIyEEEEEEE10hipError_tPvRmT3_T4_T5_T6_T7_T9_mT8_P12ihipStream_tbDpT10_ENKUlT_T0_E_clISt17integral_constantIbLb0EES1A_IbLb1EEEEDaS16_S17_EUlS16_E_NS1_11comp_targetILNS1_3genE4ELNS1_11target_archE910ELNS1_3gpuE8ELNS1_3repE0EEENS1_30default_config_static_selectorELNS0_4arch9wavefront6targetE0EEEvT1_
	.p2align	8
	.type	_ZN7rocprim17ROCPRIM_400000_NS6detail17trampoline_kernelINS0_14default_configENS1_25partition_config_selectorILNS1_17partition_subalgoE6EyNS0_10empty_typeEbEEZZNS1_14partition_implILS5_6ELb0ES3_mN6thrust23THRUST_200600_302600_NS6detail15normal_iteratorINSA_10device_ptrIyEEEEPS6_SG_NS0_5tupleIJNSA_16discard_iteratorINSA_11use_defaultEEES6_EEENSH_IJSG_SG_EEES6_PlJNSB_9not_fun_tINSB_14equal_to_valueIyEEEEEEE10hipError_tPvRmT3_T4_T5_T6_T7_T9_mT8_P12ihipStream_tbDpT10_ENKUlT_T0_E_clISt17integral_constantIbLb0EES1A_IbLb1EEEEDaS16_S17_EUlS16_E_NS1_11comp_targetILNS1_3genE4ELNS1_11target_archE910ELNS1_3gpuE8ELNS1_3repE0EEENS1_30default_config_static_selectorELNS0_4arch9wavefront6targetE0EEEvT1_,@function
_ZN7rocprim17ROCPRIM_400000_NS6detail17trampoline_kernelINS0_14default_configENS1_25partition_config_selectorILNS1_17partition_subalgoE6EyNS0_10empty_typeEbEEZZNS1_14partition_implILS5_6ELb0ES3_mN6thrust23THRUST_200600_302600_NS6detail15normal_iteratorINSA_10device_ptrIyEEEEPS6_SG_NS0_5tupleIJNSA_16discard_iteratorINSA_11use_defaultEEES6_EEENSH_IJSG_SG_EEES6_PlJNSB_9not_fun_tINSB_14equal_to_valueIyEEEEEEE10hipError_tPvRmT3_T4_T5_T6_T7_T9_mT8_P12ihipStream_tbDpT10_ENKUlT_T0_E_clISt17integral_constantIbLb0EES1A_IbLb1EEEEDaS16_S17_EUlS16_E_NS1_11comp_targetILNS1_3genE4ELNS1_11target_archE910ELNS1_3gpuE8ELNS1_3repE0EEENS1_30default_config_static_selectorELNS0_4arch9wavefront6targetE0EEEvT1_: ; @_ZN7rocprim17ROCPRIM_400000_NS6detail17trampoline_kernelINS0_14default_configENS1_25partition_config_selectorILNS1_17partition_subalgoE6EyNS0_10empty_typeEbEEZZNS1_14partition_implILS5_6ELb0ES3_mN6thrust23THRUST_200600_302600_NS6detail15normal_iteratorINSA_10device_ptrIyEEEEPS6_SG_NS0_5tupleIJNSA_16discard_iteratorINSA_11use_defaultEEES6_EEENSH_IJSG_SG_EEES6_PlJNSB_9not_fun_tINSB_14equal_to_valueIyEEEEEEE10hipError_tPvRmT3_T4_T5_T6_T7_T9_mT8_P12ihipStream_tbDpT10_ENKUlT_T0_E_clISt17integral_constantIbLb0EES1A_IbLb1EEEEDaS16_S17_EUlS16_E_NS1_11comp_targetILNS1_3genE4ELNS1_11target_archE910ELNS1_3gpuE8ELNS1_3repE0EEENS1_30default_config_static_selectorELNS0_4arch9wavefront6targetE0EEEvT1_
; %bb.0:
	.section	.rodata,"a",@progbits
	.p2align	6, 0x0
	.amdhsa_kernel _ZN7rocprim17ROCPRIM_400000_NS6detail17trampoline_kernelINS0_14default_configENS1_25partition_config_selectorILNS1_17partition_subalgoE6EyNS0_10empty_typeEbEEZZNS1_14partition_implILS5_6ELb0ES3_mN6thrust23THRUST_200600_302600_NS6detail15normal_iteratorINSA_10device_ptrIyEEEEPS6_SG_NS0_5tupleIJNSA_16discard_iteratorINSA_11use_defaultEEES6_EEENSH_IJSG_SG_EEES6_PlJNSB_9not_fun_tINSB_14equal_to_valueIyEEEEEEE10hipError_tPvRmT3_T4_T5_T6_T7_T9_mT8_P12ihipStream_tbDpT10_ENKUlT_T0_E_clISt17integral_constantIbLb0EES1A_IbLb1EEEEDaS16_S17_EUlS16_E_NS1_11comp_targetILNS1_3genE4ELNS1_11target_archE910ELNS1_3gpuE8ELNS1_3repE0EEENS1_30default_config_static_selectorELNS0_4arch9wavefront6targetE0EEEvT1_
		.amdhsa_group_segment_fixed_size 0
		.amdhsa_private_segment_fixed_size 0
		.amdhsa_kernarg_size 136
		.amdhsa_user_sgpr_count 2
		.amdhsa_user_sgpr_dispatch_ptr 0
		.amdhsa_user_sgpr_queue_ptr 0
		.amdhsa_user_sgpr_kernarg_segment_ptr 1
		.amdhsa_user_sgpr_dispatch_id 0
		.amdhsa_user_sgpr_private_segment_size 0
		.amdhsa_wavefront_size32 1
		.amdhsa_uses_dynamic_stack 0
		.amdhsa_enable_private_segment 0
		.amdhsa_system_sgpr_workgroup_id_x 1
		.amdhsa_system_sgpr_workgroup_id_y 0
		.amdhsa_system_sgpr_workgroup_id_z 0
		.amdhsa_system_sgpr_workgroup_info 0
		.amdhsa_system_vgpr_workitem_id 0
		.amdhsa_next_free_vgpr 1
		.amdhsa_next_free_sgpr 1
		.amdhsa_reserve_vcc 0
		.amdhsa_float_round_mode_32 0
		.amdhsa_float_round_mode_16_64 0
		.amdhsa_float_denorm_mode_32 3
		.amdhsa_float_denorm_mode_16_64 3
		.amdhsa_fp16_overflow 0
		.amdhsa_workgroup_processor_mode 1
		.amdhsa_memory_ordered 1
		.amdhsa_forward_progress 1
		.amdhsa_inst_pref_size 0
		.amdhsa_round_robin_scheduling 0
		.amdhsa_exception_fp_ieee_invalid_op 0
		.amdhsa_exception_fp_denorm_src 0
		.amdhsa_exception_fp_ieee_div_zero 0
		.amdhsa_exception_fp_ieee_overflow 0
		.amdhsa_exception_fp_ieee_underflow 0
		.amdhsa_exception_fp_ieee_inexact 0
		.amdhsa_exception_int_div_zero 0
	.end_amdhsa_kernel
	.section	.text._ZN7rocprim17ROCPRIM_400000_NS6detail17trampoline_kernelINS0_14default_configENS1_25partition_config_selectorILNS1_17partition_subalgoE6EyNS0_10empty_typeEbEEZZNS1_14partition_implILS5_6ELb0ES3_mN6thrust23THRUST_200600_302600_NS6detail15normal_iteratorINSA_10device_ptrIyEEEEPS6_SG_NS0_5tupleIJNSA_16discard_iteratorINSA_11use_defaultEEES6_EEENSH_IJSG_SG_EEES6_PlJNSB_9not_fun_tINSB_14equal_to_valueIyEEEEEEE10hipError_tPvRmT3_T4_T5_T6_T7_T9_mT8_P12ihipStream_tbDpT10_ENKUlT_T0_E_clISt17integral_constantIbLb0EES1A_IbLb1EEEEDaS16_S17_EUlS16_E_NS1_11comp_targetILNS1_3genE4ELNS1_11target_archE910ELNS1_3gpuE8ELNS1_3repE0EEENS1_30default_config_static_selectorELNS0_4arch9wavefront6targetE0EEEvT1_,"axG",@progbits,_ZN7rocprim17ROCPRIM_400000_NS6detail17trampoline_kernelINS0_14default_configENS1_25partition_config_selectorILNS1_17partition_subalgoE6EyNS0_10empty_typeEbEEZZNS1_14partition_implILS5_6ELb0ES3_mN6thrust23THRUST_200600_302600_NS6detail15normal_iteratorINSA_10device_ptrIyEEEEPS6_SG_NS0_5tupleIJNSA_16discard_iteratorINSA_11use_defaultEEES6_EEENSH_IJSG_SG_EEES6_PlJNSB_9not_fun_tINSB_14equal_to_valueIyEEEEEEE10hipError_tPvRmT3_T4_T5_T6_T7_T9_mT8_P12ihipStream_tbDpT10_ENKUlT_T0_E_clISt17integral_constantIbLb0EES1A_IbLb1EEEEDaS16_S17_EUlS16_E_NS1_11comp_targetILNS1_3genE4ELNS1_11target_archE910ELNS1_3gpuE8ELNS1_3repE0EEENS1_30default_config_static_selectorELNS0_4arch9wavefront6targetE0EEEvT1_,comdat
.Lfunc_end1655:
	.size	_ZN7rocprim17ROCPRIM_400000_NS6detail17trampoline_kernelINS0_14default_configENS1_25partition_config_selectorILNS1_17partition_subalgoE6EyNS0_10empty_typeEbEEZZNS1_14partition_implILS5_6ELb0ES3_mN6thrust23THRUST_200600_302600_NS6detail15normal_iteratorINSA_10device_ptrIyEEEEPS6_SG_NS0_5tupleIJNSA_16discard_iteratorINSA_11use_defaultEEES6_EEENSH_IJSG_SG_EEES6_PlJNSB_9not_fun_tINSB_14equal_to_valueIyEEEEEEE10hipError_tPvRmT3_T4_T5_T6_T7_T9_mT8_P12ihipStream_tbDpT10_ENKUlT_T0_E_clISt17integral_constantIbLb0EES1A_IbLb1EEEEDaS16_S17_EUlS16_E_NS1_11comp_targetILNS1_3genE4ELNS1_11target_archE910ELNS1_3gpuE8ELNS1_3repE0EEENS1_30default_config_static_selectorELNS0_4arch9wavefront6targetE0EEEvT1_, .Lfunc_end1655-_ZN7rocprim17ROCPRIM_400000_NS6detail17trampoline_kernelINS0_14default_configENS1_25partition_config_selectorILNS1_17partition_subalgoE6EyNS0_10empty_typeEbEEZZNS1_14partition_implILS5_6ELb0ES3_mN6thrust23THRUST_200600_302600_NS6detail15normal_iteratorINSA_10device_ptrIyEEEEPS6_SG_NS0_5tupleIJNSA_16discard_iteratorINSA_11use_defaultEEES6_EEENSH_IJSG_SG_EEES6_PlJNSB_9not_fun_tINSB_14equal_to_valueIyEEEEEEE10hipError_tPvRmT3_T4_T5_T6_T7_T9_mT8_P12ihipStream_tbDpT10_ENKUlT_T0_E_clISt17integral_constantIbLb0EES1A_IbLb1EEEEDaS16_S17_EUlS16_E_NS1_11comp_targetILNS1_3genE4ELNS1_11target_archE910ELNS1_3gpuE8ELNS1_3repE0EEENS1_30default_config_static_selectorELNS0_4arch9wavefront6targetE0EEEvT1_
                                        ; -- End function
	.set _ZN7rocprim17ROCPRIM_400000_NS6detail17trampoline_kernelINS0_14default_configENS1_25partition_config_selectorILNS1_17partition_subalgoE6EyNS0_10empty_typeEbEEZZNS1_14partition_implILS5_6ELb0ES3_mN6thrust23THRUST_200600_302600_NS6detail15normal_iteratorINSA_10device_ptrIyEEEEPS6_SG_NS0_5tupleIJNSA_16discard_iteratorINSA_11use_defaultEEES6_EEENSH_IJSG_SG_EEES6_PlJNSB_9not_fun_tINSB_14equal_to_valueIyEEEEEEE10hipError_tPvRmT3_T4_T5_T6_T7_T9_mT8_P12ihipStream_tbDpT10_ENKUlT_T0_E_clISt17integral_constantIbLb0EES1A_IbLb1EEEEDaS16_S17_EUlS16_E_NS1_11comp_targetILNS1_3genE4ELNS1_11target_archE910ELNS1_3gpuE8ELNS1_3repE0EEENS1_30default_config_static_selectorELNS0_4arch9wavefront6targetE0EEEvT1_.num_vgpr, 0
	.set _ZN7rocprim17ROCPRIM_400000_NS6detail17trampoline_kernelINS0_14default_configENS1_25partition_config_selectorILNS1_17partition_subalgoE6EyNS0_10empty_typeEbEEZZNS1_14partition_implILS5_6ELb0ES3_mN6thrust23THRUST_200600_302600_NS6detail15normal_iteratorINSA_10device_ptrIyEEEEPS6_SG_NS0_5tupleIJNSA_16discard_iteratorINSA_11use_defaultEEES6_EEENSH_IJSG_SG_EEES6_PlJNSB_9not_fun_tINSB_14equal_to_valueIyEEEEEEE10hipError_tPvRmT3_T4_T5_T6_T7_T9_mT8_P12ihipStream_tbDpT10_ENKUlT_T0_E_clISt17integral_constantIbLb0EES1A_IbLb1EEEEDaS16_S17_EUlS16_E_NS1_11comp_targetILNS1_3genE4ELNS1_11target_archE910ELNS1_3gpuE8ELNS1_3repE0EEENS1_30default_config_static_selectorELNS0_4arch9wavefront6targetE0EEEvT1_.num_agpr, 0
	.set _ZN7rocprim17ROCPRIM_400000_NS6detail17trampoline_kernelINS0_14default_configENS1_25partition_config_selectorILNS1_17partition_subalgoE6EyNS0_10empty_typeEbEEZZNS1_14partition_implILS5_6ELb0ES3_mN6thrust23THRUST_200600_302600_NS6detail15normal_iteratorINSA_10device_ptrIyEEEEPS6_SG_NS0_5tupleIJNSA_16discard_iteratorINSA_11use_defaultEEES6_EEENSH_IJSG_SG_EEES6_PlJNSB_9not_fun_tINSB_14equal_to_valueIyEEEEEEE10hipError_tPvRmT3_T4_T5_T6_T7_T9_mT8_P12ihipStream_tbDpT10_ENKUlT_T0_E_clISt17integral_constantIbLb0EES1A_IbLb1EEEEDaS16_S17_EUlS16_E_NS1_11comp_targetILNS1_3genE4ELNS1_11target_archE910ELNS1_3gpuE8ELNS1_3repE0EEENS1_30default_config_static_selectorELNS0_4arch9wavefront6targetE0EEEvT1_.numbered_sgpr, 0
	.set _ZN7rocprim17ROCPRIM_400000_NS6detail17trampoline_kernelINS0_14default_configENS1_25partition_config_selectorILNS1_17partition_subalgoE6EyNS0_10empty_typeEbEEZZNS1_14partition_implILS5_6ELb0ES3_mN6thrust23THRUST_200600_302600_NS6detail15normal_iteratorINSA_10device_ptrIyEEEEPS6_SG_NS0_5tupleIJNSA_16discard_iteratorINSA_11use_defaultEEES6_EEENSH_IJSG_SG_EEES6_PlJNSB_9not_fun_tINSB_14equal_to_valueIyEEEEEEE10hipError_tPvRmT3_T4_T5_T6_T7_T9_mT8_P12ihipStream_tbDpT10_ENKUlT_T0_E_clISt17integral_constantIbLb0EES1A_IbLb1EEEEDaS16_S17_EUlS16_E_NS1_11comp_targetILNS1_3genE4ELNS1_11target_archE910ELNS1_3gpuE8ELNS1_3repE0EEENS1_30default_config_static_selectorELNS0_4arch9wavefront6targetE0EEEvT1_.num_named_barrier, 0
	.set _ZN7rocprim17ROCPRIM_400000_NS6detail17trampoline_kernelINS0_14default_configENS1_25partition_config_selectorILNS1_17partition_subalgoE6EyNS0_10empty_typeEbEEZZNS1_14partition_implILS5_6ELb0ES3_mN6thrust23THRUST_200600_302600_NS6detail15normal_iteratorINSA_10device_ptrIyEEEEPS6_SG_NS0_5tupleIJNSA_16discard_iteratorINSA_11use_defaultEEES6_EEENSH_IJSG_SG_EEES6_PlJNSB_9not_fun_tINSB_14equal_to_valueIyEEEEEEE10hipError_tPvRmT3_T4_T5_T6_T7_T9_mT8_P12ihipStream_tbDpT10_ENKUlT_T0_E_clISt17integral_constantIbLb0EES1A_IbLb1EEEEDaS16_S17_EUlS16_E_NS1_11comp_targetILNS1_3genE4ELNS1_11target_archE910ELNS1_3gpuE8ELNS1_3repE0EEENS1_30default_config_static_selectorELNS0_4arch9wavefront6targetE0EEEvT1_.private_seg_size, 0
	.set _ZN7rocprim17ROCPRIM_400000_NS6detail17trampoline_kernelINS0_14default_configENS1_25partition_config_selectorILNS1_17partition_subalgoE6EyNS0_10empty_typeEbEEZZNS1_14partition_implILS5_6ELb0ES3_mN6thrust23THRUST_200600_302600_NS6detail15normal_iteratorINSA_10device_ptrIyEEEEPS6_SG_NS0_5tupleIJNSA_16discard_iteratorINSA_11use_defaultEEES6_EEENSH_IJSG_SG_EEES6_PlJNSB_9not_fun_tINSB_14equal_to_valueIyEEEEEEE10hipError_tPvRmT3_T4_T5_T6_T7_T9_mT8_P12ihipStream_tbDpT10_ENKUlT_T0_E_clISt17integral_constantIbLb0EES1A_IbLb1EEEEDaS16_S17_EUlS16_E_NS1_11comp_targetILNS1_3genE4ELNS1_11target_archE910ELNS1_3gpuE8ELNS1_3repE0EEENS1_30default_config_static_selectorELNS0_4arch9wavefront6targetE0EEEvT1_.uses_vcc, 0
	.set _ZN7rocprim17ROCPRIM_400000_NS6detail17trampoline_kernelINS0_14default_configENS1_25partition_config_selectorILNS1_17partition_subalgoE6EyNS0_10empty_typeEbEEZZNS1_14partition_implILS5_6ELb0ES3_mN6thrust23THRUST_200600_302600_NS6detail15normal_iteratorINSA_10device_ptrIyEEEEPS6_SG_NS0_5tupleIJNSA_16discard_iteratorINSA_11use_defaultEEES6_EEENSH_IJSG_SG_EEES6_PlJNSB_9not_fun_tINSB_14equal_to_valueIyEEEEEEE10hipError_tPvRmT3_T4_T5_T6_T7_T9_mT8_P12ihipStream_tbDpT10_ENKUlT_T0_E_clISt17integral_constantIbLb0EES1A_IbLb1EEEEDaS16_S17_EUlS16_E_NS1_11comp_targetILNS1_3genE4ELNS1_11target_archE910ELNS1_3gpuE8ELNS1_3repE0EEENS1_30default_config_static_selectorELNS0_4arch9wavefront6targetE0EEEvT1_.uses_flat_scratch, 0
	.set _ZN7rocprim17ROCPRIM_400000_NS6detail17trampoline_kernelINS0_14default_configENS1_25partition_config_selectorILNS1_17partition_subalgoE6EyNS0_10empty_typeEbEEZZNS1_14partition_implILS5_6ELb0ES3_mN6thrust23THRUST_200600_302600_NS6detail15normal_iteratorINSA_10device_ptrIyEEEEPS6_SG_NS0_5tupleIJNSA_16discard_iteratorINSA_11use_defaultEEES6_EEENSH_IJSG_SG_EEES6_PlJNSB_9not_fun_tINSB_14equal_to_valueIyEEEEEEE10hipError_tPvRmT3_T4_T5_T6_T7_T9_mT8_P12ihipStream_tbDpT10_ENKUlT_T0_E_clISt17integral_constantIbLb0EES1A_IbLb1EEEEDaS16_S17_EUlS16_E_NS1_11comp_targetILNS1_3genE4ELNS1_11target_archE910ELNS1_3gpuE8ELNS1_3repE0EEENS1_30default_config_static_selectorELNS0_4arch9wavefront6targetE0EEEvT1_.has_dyn_sized_stack, 0
	.set _ZN7rocprim17ROCPRIM_400000_NS6detail17trampoline_kernelINS0_14default_configENS1_25partition_config_selectorILNS1_17partition_subalgoE6EyNS0_10empty_typeEbEEZZNS1_14partition_implILS5_6ELb0ES3_mN6thrust23THRUST_200600_302600_NS6detail15normal_iteratorINSA_10device_ptrIyEEEEPS6_SG_NS0_5tupleIJNSA_16discard_iteratorINSA_11use_defaultEEES6_EEENSH_IJSG_SG_EEES6_PlJNSB_9not_fun_tINSB_14equal_to_valueIyEEEEEEE10hipError_tPvRmT3_T4_T5_T6_T7_T9_mT8_P12ihipStream_tbDpT10_ENKUlT_T0_E_clISt17integral_constantIbLb0EES1A_IbLb1EEEEDaS16_S17_EUlS16_E_NS1_11comp_targetILNS1_3genE4ELNS1_11target_archE910ELNS1_3gpuE8ELNS1_3repE0EEENS1_30default_config_static_selectorELNS0_4arch9wavefront6targetE0EEEvT1_.has_recursion, 0
	.set _ZN7rocprim17ROCPRIM_400000_NS6detail17trampoline_kernelINS0_14default_configENS1_25partition_config_selectorILNS1_17partition_subalgoE6EyNS0_10empty_typeEbEEZZNS1_14partition_implILS5_6ELb0ES3_mN6thrust23THRUST_200600_302600_NS6detail15normal_iteratorINSA_10device_ptrIyEEEEPS6_SG_NS0_5tupleIJNSA_16discard_iteratorINSA_11use_defaultEEES6_EEENSH_IJSG_SG_EEES6_PlJNSB_9not_fun_tINSB_14equal_to_valueIyEEEEEEE10hipError_tPvRmT3_T4_T5_T6_T7_T9_mT8_P12ihipStream_tbDpT10_ENKUlT_T0_E_clISt17integral_constantIbLb0EES1A_IbLb1EEEEDaS16_S17_EUlS16_E_NS1_11comp_targetILNS1_3genE4ELNS1_11target_archE910ELNS1_3gpuE8ELNS1_3repE0EEENS1_30default_config_static_selectorELNS0_4arch9wavefront6targetE0EEEvT1_.has_indirect_call, 0
	.section	.AMDGPU.csdata,"",@progbits
; Kernel info:
; codeLenInByte = 0
; TotalNumSgprs: 0
; NumVgprs: 0
; ScratchSize: 0
; MemoryBound: 0
; FloatMode: 240
; IeeeMode: 1
; LDSByteSize: 0 bytes/workgroup (compile time only)
; SGPRBlocks: 0
; VGPRBlocks: 0
; NumSGPRsForWavesPerEU: 1
; NumVGPRsForWavesPerEU: 1
; Occupancy: 16
; WaveLimiterHint : 0
; COMPUTE_PGM_RSRC2:SCRATCH_EN: 0
; COMPUTE_PGM_RSRC2:USER_SGPR: 2
; COMPUTE_PGM_RSRC2:TRAP_HANDLER: 0
; COMPUTE_PGM_RSRC2:TGID_X_EN: 1
; COMPUTE_PGM_RSRC2:TGID_Y_EN: 0
; COMPUTE_PGM_RSRC2:TGID_Z_EN: 0
; COMPUTE_PGM_RSRC2:TIDIG_COMP_CNT: 0
	.section	.text._ZN7rocprim17ROCPRIM_400000_NS6detail17trampoline_kernelINS0_14default_configENS1_25partition_config_selectorILNS1_17partition_subalgoE6EyNS0_10empty_typeEbEEZZNS1_14partition_implILS5_6ELb0ES3_mN6thrust23THRUST_200600_302600_NS6detail15normal_iteratorINSA_10device_ptrIyEEEEPS6_SG_NS0_5tupleIJNSA_16discard_iteratorINSA_11use_defaultEEES6_EEENSH_IJSG_SG_EEES6_PlJNSB_9not_fun_tINSB_14equal_to_valueIyEEEEEEE10hipError_tPvRmT3_T4_T5_T6_T7_T9_mT8_P12ihipStream_tbDpT10_ENKUlT_T0_E_clISt17integral_constantIbLb0EES1A_IbLb1EEEEDaS16_S17_EUlS16_E_NS1_11comp_targetILNS1_3genE3ELNS1_11target_archE908ELNS1_3gpuE7ELNS1_3repE0EEENS1_30default_config_static_selectorELNS0_4arch9wavefront6targetE0EEEvT1_,"axG",@progbits,_ZN7rocprim17ROCPRIM_400000_NS6detail17trampoline_kernelINS0_14default_configENS1_25partition_config_selectorILNS1_17partition_subalgoE6EyNS0_10empty_typeEbEEZZNS1_14partition_implILS5_6ELb0ES3_mN6thrust23THRUST_200600_302600_NS6detail15normal_iteratorINSA_10device_ptrIyEEEEPS6_SG_NS0_5tupleIJNSA_16discard_iteratorINSA_11use_defaultEEES6_EEENSH_IJSG_SG_EEES6_PlJNSB_9not_fun_tINSB_14equal_to_valueIyEEEEEEE10hipError_tPvRmT3_T4_T5_T6_T7_T9_mT8_P12ihipStream_tbDpT10_ENKUlT_T0_E_clISt17integral_constantIbLb0EES1A_IbLb1EEEEDaS16_S17_EUlS16_E_NS1_11comp_targetILNS1_3genE3ELNS1_11target_archE908ELNS1_3gpuE7ELNS1_3repE0EEENS1_30default_config_static_selectorELNS0_4arch9wavefront6targetE0EEEvT1_,comdat
	.protected	_ZN7rocprim17ROCPRIM_400000_NS6detail17trampoline_kernelINS0_14default_configENS1_25partition_config_selectorILNS1_17partition_subalgoE6EyNS0_10empty_typeEbEEZZNS1_14partition_implILS5_6ELb0ES3_mN6thrust23THRUST_200600_302600_NS6detail15normal_iteratorINSA_10device_ptrIyEEEEPS6_SG_NS0_5tupleIJNSA_16discard_iteratorINSA_11use_defaultEEES6_EEENSH_IJSG_SG_EEES6_PlJNSB_9not_fun_tINSB_14equal_to_valueIyEEEEEEE10hipError_tPvRmT3_T4_T5_T6_T7_T9_mT8_P12ihipStream_tbDpT10_ENKUlT_T0_E_clISt17integral_constantIbLb0EES1A_IbLb1EEEEDaS16_S17_EUlS16_E_NS1_11comp_targetILNS1_3genE3ELNS1_11target_archE908ELNS1_3gpuE7ELNS1_3repE0EEENS1_30default_config_static_selectorELNS0_4arch9wavefront6targetE0EEEvT1_ ; -- Begin function _ZN7rocprim17ROCPRIM_400000_NS6detail17trampoline_kernelINS0_14default_configENS1_25partition_config_selectorILNS1_17partition_subalgoE6EyNS0_10empty_typeEbEEZZNS1_14partition_implILS5_6ELb0ES3_mN6thrust23THRUST_200600_302600_NS6detail15normal_iteratorINSA_10device_ptrIyEEEEPS6_SG_NS0_5tupleIJNSA_16discard_iteratorINSA_11use_defaultEEES6_EEENSH_IJSG_SG_EEES6_PlJNSB_9not_fun_tINSB_14equal_to_valueIyEEEEEEE10hipError_tPvRmT3_T4_T5_T6_T7_T9_mT8_P12ihipStream_tbDpT10_ENKUlT_T0_E_clISt17integral_constantIbLb0EES1A_IbLb1EEEEDaS16_S17_EUlS16_E_NS1_11comp_targetILNS1_3genE3ELNS1_11target_archE908ELNS1_3gpuE7ELNS1_3repE0EEENS1_30default_config_static_selectorELNS0_4arch9wavefront6targetE0EEEvT1_
	.globl	_ZN7rocprim17ROCPRIM_400000_NS6detail17trampoline_kernelINS0_14default_configENS1_25partition_config_selectorILNS1_17partition_subalgoE6EyNS0_10empty_typeEbEEZZNS1_14partition_implILS5_6ELb0ES3_mN6thrust23THRUST_200600_302600_NS6detail15normal_iteratorINSA_10device_ptrIyEEEEPS6_SG_NS0_5tupleIJNSA_16discard_iteratorINSA_11use_defaultEEES6_EEENSH_IJSG_SG_EEES6_PlJNSB_9not_fun_tINSB_14equal_to_valueIyEEEEEEE10hipError_tPvRmT3_T4_T5_T6_T7_T9_mT8_P12ihipStream_tbDpT10_ENKUlT_T0_E_clISt17integral_constantIbLb0EES1A_IbLb1EEEEDaS16_S17_EUlS16_E_NS1_11comp_targetILNS1_3genE3ELNS1_11target_archE908ELNS1_3gpuE7ELNS1_3repE0EEENS1_30default_config_static_selectorELNS0_4arch9wavefront6targetE0EEEvT1_
	.p2align	8
	.type	_ZN7rocprim17ROCPRIM_400000_NS6detail17trampoline_kernelINS0_14default_configENS1_25partition_config_selectorILNS1_17partition_subalgoE6EyNS0_10empty_typeEbEEZZNS1_14partition_implILS5_6ELb0ES3_mN6thrust23THRUST_200600_302600_NS6detail15normal_iteratorINSA_10device_ptrIyEEEEPS6_SG_NS0_5tupleIJNSA_16discard_iteratorINSA_11use_defaultEEES6_EEENSH_IJSG_SG_EEES6_PlJNSB_9not_fun_tINSB_14equal_to_valueIyEEEEEEE10hipError_tPvRmT3_T4_T5_T6_T7_T9_mT8_P12ihipStream_tbDpT10_ENKUlT_T0_E_clISt17integral_constantIbLb0EES1A_IbLb1EEEEDaS16_S17_EUlS16_E_NS1_11comp_targetILNS1_3genE3ELNS1_11target_archE908ELNS1_3gpuE7ELNS1_3repE0EEENS1_30default_config_static_selectorELNS0_4arch9wavefront6targetE0EEEvT1_,@function
_ZN7rocprim17ROCPRIM_400000_NS6detail17trampoline_kernelINS0_14default_configENS1_25partition_config_selectorILNS1_17partition_subalgoE6EyNS0_10empty_typeEbEEZZNS1_14partition_implILS5_6ELb0ES3_mN6thrust23THRUST_200600_302600_NS6detail15normal_iteratorINSA_10device_ptrIyEEEEPS6_SG_NS0_5tupleIJNSA_16discard_iteratorINSA_11use_defaultEEES6_EEENSH_IJSG_SG_EEES6_PlJNSB_9not_fun_tINSB_14equal_to_valueIyEEEEEEE10hipError_tPvRmT3_T4_T5_T6_T7_T9_mT8_P12ihipStream_tbDpT10_ENKUlT_T0_E_clISt17integral_constantIbLb0EES1A_IbLb1EEEEDaS16_S17_EUlS16_E_NS1_11comp_targetILNS1_3genE3ELNS1_11target_archE908ELNS1_3gpuE7ELNS1_3repE0EEENS1_30default_config_static_selectorELNS0_4arch9wavefront6targetE0EEEvT1_: ; @_ZN7rocprim17ROCPRIM_400000_NS6detail17trampoline_kernelINS0_14default_configENS1_25partition_config_selectorILNS1_17partition_subalgoE6EyNS0_10empty_typeEbEEZZNS1_14partition_implILS5_6ELb0ES3_mN6thrust23THRUST_200600_302600_NS6detail15normal_iteratorINSA_10device_ptrIyEEEEPS6_SG_NS0_5tupleIJNSA_16discard_iteratorINSA_11use_defaultEEES6_EEENSH_IJSG_SG_EEES6_PlJNSB_9not_fun_tINSB_14equal_to_valueIyEEEEEEE10hipError_tPvRmT3_T4_T5_T6_T7_T9_mT8_P12ihipStream_tbDpT10_ENKUlT_T0_E_clISt17integral_constantIbLb0EES1A_IbLb1EEEEDaS16_S17_EUlS16_E_NS1_11comp_targetILNS1_3genE3ELNS1_11target_archE908ELNS1_3gpuE7ELNS1_3repE0EEENS1_30default_config_static_selectorELNS0_4arch9wavefront6targetE0EEEvT1_
; %bb.0:
	.section	.rodata,"a",@progbits
	.p2align	6, 0x0
	.amdhsa_kernel _ZN7rocprim17ROCPRIM_400000_NS6detail17trampoline_kernelINS0_14default_configENS1_25partition_config_selectorILNS1_17partition_subalgoE6EyNS0_10empty_typeEbEEZZNS1_14partition_implILS5_6ELb0ES3_mN6thrust23THRUST_200600_302600_NS6detail15normal_iteratorINSA_10device_ptrIyEEEEPS6_SG_NS0_5tupleIJNSA_16discard_iteratorINSA_11use_defaultEEES6_EEENSH_IJSG_SG_EEES6_PlJNSB_9not_fun_tINSB_14equal_to_valueIyEEEEEEE10hipError_tPvRmT3_T4_T5_T6_T7_T9_mT8_P12ihipStream_tbDpT10_ENKUlT_T0_E_clISt17integral_constantIbLb0EES1A_IbLb1EEEEDaS16_S17_EUlS16_E_NS1_11comp_targetILNS1_3genE3ELNS1_11target_archE908ELNS1_3gpuE7ELNS1_3repE0EEENS1_30default_config_static_selectorELNS0_4arch9wavefront6targetE0EEEvT1_
		.amdhsa_group_segment_fixed_size 0
		.amdhsa_private_segment_fixed_size 0
		.amdhsa_kernarg_size 136
		.amdhsa_user_sgpr_count 2
		.amdhsa_user_sgpr_dispatch_ptr 0
		.amdhsa_user_sgpr_queue_ptr 0
		.amdhsa_user_sgpr_kernarg_segment_ptr 1
		.amdhsa_user_sgpr_dispatch_id 0
		.amdhsa_user_sgpr_private_segment_size 0
		.amdhsa_wavefront_size32 1
		.amdhsa_uses_dynamic_stack 0
		.amdhsa_enable_private_segment 0
		.amdhsa_system_sgpr_workgroup_id_x 1
		.amdhsa_system_sgpr_workgroup_id_y 0
		.amdhsa_system_sgpr_workgroup_id_z 0
		.amdhsa_system_sgpr_workgroup_info 0
		.amdhsa_system_vgpr_workitem_id 0
		.amdhsa_next_free_vgpr 1
		.amdhsa_next_free_sgpr 1
		.amdhsa_reserve_vcc 0
		.amdhsa_float_round_mode_32 0
		.amdhsa_float_round_mode_16_64 0
		.amdhsa_float_denorm_mode_32 3
		.amdhsa_float_denorm_mode_16_64 3
		.amdhsa_fp16_overflow 0
		.amdhsa_workgroup_processor_mode 1
		.amdhsa_memory_ordered 1
		.amdhsa_forward_progress 1
		.amdhsa_inst_pref_size 0
		.amdhsa_round_robin_scheduling 0
		.amdhsa_exception_fp_ieee_invalid_op 0
		.amdhsa_exception_fp_denorm_src 0
		.amdhsa_exception_fp_ieee_div_zero 0
		.amdhsa_exception_fp_ieee_overflow 0
		.amdhsa_exception_fp_ieee_underflow 0
		.amdhsa_exception_fp_ieee_inexact 0
		.amdhsa_exception_int_div_zero 0
	.end_amdhsa_kernel
	.section	.text._ZN7rocprim17ROCPRIM_400000_NS6detail17trampoline_kernelINS0_14default_configENS1_25partition_config_selectorILNS1_17partition_subalgoE6EyNS0_10empty_typeEbEEZZNS1_14partition_implILS5_6ELb0ES3_mN6thrust23THRUST_200600_302600_NS6detail15normal_iteratorINSA_10device_ptrIyEEEEPS6_SG_NS0_5tupleIJNSA_16discard_iteratorINSA_11use_defaultEEES6_EEENSH_IJSG_SG_EEES6_PlJNSB_9not_fun_tINSB_14equal_to_valueIyEEEEEEE10hipError_tPvRmT3_T4_T5_T6_T7_T9_mT8_P12ihipStream_tbDpT10_ENKUlT_T0_E_clISt17integral_constantIbLb0EES1A_IbLb1EEEEDaS16_S17_EUlS16_E_NS1_11comp_targetILNS1_3genE3ELNS1_11target_archE908ELNS1_3gpuE7ELNS1_3repE0EEENS1_30default_config_static_selectorELNS0_4arch9wavefront6targetE0EEEvT1_,"axG",@progbits,_ZN7rocprim17ROCPRIM_400000_NS6detail17trampoline_kernelINS0_14default_configENS1_25partition_config_selectorILNS1_17partition_subalgoE6EyNS0_10empty_typeEbEEZZNS1_14partition_implILS5_6ELb0ES3_mN6thrust23THRUST_200600_302600_NS6detail15normal_iteratorINSA_10device_ptrIyEEEEPS6_SG_NS0_5tupleIJNSA_16discard_iteratorINSA_11use_defaultEEES6_EEENSH_IJSG_SG_EEES6_PlJNSB_9not_fun_tINSB_14equal_to_valueIyEEEEEEE10hipError_tPvRmT3_T4_T5_T6_T7_T9_mT8_P12ihipStream_tbDpT10_ENKUlT_T0_E_clISt17integral_constantIbLb0EES1A_IbLb1EEEEDaS16_S17_EUlS16_E_NS1_11comp_targetILNS1_3genE3ELNS1_11target_archE908ELNS1_3gpuE7ELNS1_3repE0EEENS1_30default_config_static_selectorELNS0_4arch9wavefront6targetE0EEEvT1_,comdat
.Lfunc_end1656:
	.size	_ZN7rocprim17ROCPRIM_400000_NS6detail17trampoline_kernelINS0_14default_configENS1_25partition_config_selectorILNS1_17partition_subalgoE6EyNS0_10empty_typeEbEEZZNS1_14partition_implILS5_6ELb0ES3_mN6thrust23THRUST_200600_302600_NS6detail15normal_iteratorINSA_10device_ptrIyEEEEPS6_SG_NS0_5tupleIJNSA_16discard_iteratorINSA_11use_defaultEEES6_EEENSH_IJSG_SG_EEES6_PlJNSB_9not_fun_tINSB_14equal_to_valueIyEEEEEEE10hipError_tPvRmT3_T4_T5_T6_T7_T9_mT8_P12ihipStream_tbDpT10_ENKUlT_T0_E_clISt17integral_constantIbLb0EES1A_IbLb1EEEEDaS16_S17_EUlS16_E_NS1_11comp_targetILNS1_3genE3ELNS1_11target_archE908ELNS1_3gpuE7ELNS1_3repE0EEENS1_30default_config_static_selectorELNS0_4arch9wavefront6targetE0EEEvT1_, .Lfunc_end1656-_ZN7rocprim17ROCPRIM_400000_NS6detail17trampoline_kernelINS0_14default_configENS1_25partition_config_selectorILNS1_17partition_subalgoE6EyNS0_10empty_typeEbEEZZNS1_14partition_implILS5_6ELb0ES3_mN6thrust23THRUST_200600_302600_NS6detail15normal_iteratorINSA_10device_ptrIyEEEEPS6_SG_NS0_5tupleIJNSA_16discard_iteratorINSA_11use_defaultEEES6_EEENSH_IJSG_SG_EEES6_PlJNSB_9not_fun_tINSB_14equal_to_valueIyEEEEEEE10hipError_tPvRmT3_T4_T5_T6_T7_T9_mT8_P12ihipStream_tbDpT10_ENKUlT_T0_E_clISt17integral_constantIbLb0EES1A_IbLb1EEEEDaS16_S17_EUlS16_E_NS1_11comp_targetILNS1_3genE3ELNS1_11target_archE908ELNS1_3gpuE7ELNS1_3repE0EEENS1_30default_config_static_selectorELNS0_4arch9wavefront6targetE0EEEvT1_
                                        ; -- End function
	.set _ZN7rocprim17ROCPRIM_400000_NS6detail17trampoline_kernelINS0_14default_configENS1_25partition_config_selectorILNS1_17partition_subalgoE6EyNS0_10empty_typeEbEEZZNS1_14partition_implILS5_6ELb0ES3_mN6thrust23THRUST_200600_302600_NS6detail15normal_iteratorINSA_10device_ptrIyEEEEPS6_SG_NS0_5tupleIJNSA_16discard_iteratorINSA_11use_defaultEEES6_EEENSH_IJSG_SG_EEES6_PlJNSB_9not_fun_tINSB_14equal_to_valueIyEEEEEEE10hipError_tPvRmT3_T4_T5_T6_T7_T9_mT8_P12ihipStream_tbDpT10_ENKUlT_T0_E_clISt17integral_constantIbLb0EES1A_IbLb1EEEEDaS16_S17_EUlS16_E_NS1_11comp_targetILNS1_3genE3ELNS1_11target_archE908ELNS1_3gpuE7ELNS1_3repE0EEENS1_30default_config_static_selectorELNS0_4arch9wavefront6targetE0EEEvT1_.num_vgpr, 0
	.set _ZN7rocprim17ROCPRIM_400000_NS6detail17trampoline_kernelINS0_14default_configENS1_25partition_config_selectorILNS1_17partition_subalgoE6EyNS0_10empty_typeEbEEZZNS1_14partition_implILS5_6ELb0ES3_mN6thrust23THRUST_200600_302600_NS6detail15normal_iteratorINSA_10device_ptrIyEEEEPS6_SG_NS0_5tupleIJNSA_16discard_iteratorINSA_11use_defaultEEES6_EEENSH_IJSG_SG_EEES6_PlJNSB_9not_fun_tINSB_14equal_to_valueIyEEEEEEE10hipError_tPvRmT3_T4_T5_T6_T7_T9_mT8_P12ihipStream_tbDpT10_ENKUlT_T0_E_clISt17integral_constantIbLb0EES1A_IbLb1EEEEDaS16_S17_EUlS16_E_NS1_11comp_targetILNS1_3genE3ELNS1_11target_archE908ELNS1_3gpuE7ELNS1_3repE0EEENS1_30default_config_static_selectorELNS0_4arch9wavefront6targetE0EEEvT1_.num_agpr, 0
	.set _ZN7rocprim17ROCPRIM_400000_NS6detail17trampoline_kernelINS0_14default_configENS1_25partition_config_selectorILNS1_17partition_subalgoE6EyNS0_10empty_typeEbEEZZNS1_14partition_implILS5_6ELb0ES3_mN6thrust23THRUST_200600_302600_NS6detail15normal_iteratorINSA_10device_ptrIyEEEEPS6_SG_NS0_5tupleIJNSA_16discard_iteratorINSA_11use_defaultEEES6_EEENSH_IJSG_SG_EEES6_PlJNSB_9not_fun_tINSB_14equal_to_valueIyEEEEEEE10hipError_tPvRmT3_T4_T5_T6_T7_T9_mT8_P12ihipStream_tbDpT10_ENKUlT_T0_E_clISt17integral_constantIbLb0EES1A_IbLb1EEEEDaS16_S17_EUlS16_E_NS1_11comp_targetILNS1_3genE3ELNS1_11target_archE908ELNS1_3gpuE7ELNS1_3repE0EEENS1_30default_config_static_selectorELNS0_4arch9wavefront6targetE0EEEvT1_.numbered_sgpr, 0
	.set _ZN7rocprim17ROCPRIM_400000_NS6detail17trampoline_kernelINS0_14default_configENS1_25partition_config_selectorILNS1_17partition_subalgoE6EyNS0_10empty_typeEbEEZZNS1_14partition_implILS5_6ELb0ES3_mN6thrust23THRUST_200600_302600_NS6detail15normal_iteratorINSA_10device_ptrIyEEEEPS6_SG_NS0_5tupleIJNSA_16discard_iteratorINSA_11use_defaultEEES6_EEENSH_IJSG_SG_EEES6_PlJNSB_9not_fun_tINSB_14equal_to_valueIyEEEEEEE10hipError_tPvRmT3_T4_T5_T6_T7_T9_mT8_P12ihipStream_tbDpT10_ENKUlT_T0_E_clISt17integral_constantIbLb0EES1A_IbLb1EEEEDaS16_S17_EUlS16_E_NS1_11comp_targetILNS1_3genE3ELNS1_11target_archE908ELNS1_3gpuE7ELNS1_3repE0EEENS1_30default_config_static_selectorELNS0_4arch9wavefront6targetE0EEEvT1_.num_named_barrier, 0
	.set _ZN7rocprim17ROCPRIM_400000_NS6detail17trampoline_kernelINS0_14default_configENS1_25partition_config_selectorILNS1_17partition_subalgoE6EyNS0_10empty_typeEbEEZZNS1_14partition_implILS5_6ELb0ES3_mN6thrust23THRUST_200600_302600_NS6detail15normal_iteratorINSA_10device_ptrIyEEEEPS6_SG_NS0_5tupleIJNSA_16discard_iteratorINSA_11use_defaultEEES6_EEENSH_IJSG_SG_EEES6_PlJNSB_9not_fun_tINSB_14equal_to_valueIyEEEEEEE10hipError_tPvRmT3_T4_T5_T6_T7_T9_mT8_P12ihipStream_tbDpT10_ENKUlT_T0_E_clISt17integral_constantIbLb0EES1A_IbLb1EEEEDaS16_S17_EUlS16_E_NS1_11comp_targetILNS1_3genE3ELNS1_11target_archE908ELNS1_3gpuE7ELNS1_3repE0EEENS1_30default_config_static_selectorELNS0_4arch9wavefront6targetE0EEEvT1_.private_seg_size, 0
	.set _ZN7rocprim17ROCPRIM_400000_NS6detail17trampoline_kernelINS0_14default_configENS1_25partition_config_selectorILNS1_17partition_subalgoE6EyNS0_10empty_typeEbEEZZNS1_14partition_implILS5_6ELb0ES3_mN6thrust23THRUST_200600_302600_NS6detail15normal_iteratorINSA_10device_ptrIyEEEEPS6_SG_NS0_5tupleIJNSA_16discard_iteratorINSA_11use_defaultEEES6_EEENSH_IJSG_SG_EEES6_PlJNSB_9not_fun_tINSB_14equal_to_valueIyEEEEEEE10hipError_tPvRmT3_T4_T5_T6_T7_T9_mT8_P12ihipStream_tbDpT10_ENKUlT_T0_E_clISt17integral_constantIbLb0EES1A_IbLb1EEEEDaS16_S17_EUlS16_E_NS1_11comp_targetILNS1_3genE3ELNS1_11target_archE908ELNS1_3gpuE7ELNS1_3repE0EEENS1_30default_config_static_selectorELNS0_4arch9wavefront6targetE0EEEvT1_.uses_vcc, 0
	.set _ZN7rocprim17ROCPRIM_400000_NS6detail17trampoline_kernelINS0_14default_configENS1_25partition_config_selectorILNS1_17partition_subalgoE6EyNS0_10empty_typeEbEEZZNS1_14partition_implILS5_6ELb0ES3_mN6thrust23THRUST_200600_302600_NS6detail15normal_iteratorINSA_10device_ptrIyEEEEPS6_SG_NS0_5tupleIJNSA_16discard_iteratorINSA_11use_defaultEEES6_EEENSH_IJSG_SG_EEES6_PlJNSB_9not_fun_tINSB_14equal_to_valueIyEEEEEEE10hipError_tPvRmT3_T4_T5_T6_T7_T9_mT8_P12ihipStream_tbDpT10_ENKUlT_T0_E_clISt17integral_constantIbLb0EES1A_IbLb1EEEEDaS16_S17_EUlS16_E_NS1_11comp_targetILNS1_3genE3ELNS1_11target_archE908ELNS1_3gpuE7ELNS1_3repE0EEENS1_30default_config_static_selectorELNS0_4arch9wavefront6targetE0EEEvT1_.uses_flat_scratch, 0
	.set _ZN7rocprim17ROCPRIM_400000_NS6detail17trampoline_kernelINS0_14default_configENS1_25partition_config_selectorILNS1_17partition_subalgoE6EyNS0_10empty_typeEbEEZZNS1_14partition_implILS5_6ELb0ES3_mN6thrust23THRUST_200600_302600_NS6detail15normal_iteratorINSA_10device_ptrIyEEEEPS6_SG_NS0_5tupleIJNSA_16discard_iteratorINSA_11use_defaultEEES6_EEENSH_IJSG_SG_EEES6_PlJNSB_9not_fun_tINSB_14equal_to_valueIyEEEEEEE10hipError_tPvRmT3_T4_T5_T6_T7_T9_mT8_P12ihipStream_tbDpT10_ENKUlT_T0_E_clISt17integral_constantIbLb0EES1A_IbLb1EEEEDaS16_S17_EUlS16_E_NS1_11comp_targetILNS1_3genE3ELNS1_11target_archE908ELNS1_3gpuE7ELNS1_3repE0EEENS1_30default_config_static_selectorELNS0_4arch9wavefront6targetE0EEEvT1_.has_dyn_sized_stack, 0
	.set _ZN7rocprim17ROCPRIM_400000_NS6detail17trampoline_kernelINS0_14default_configENS1_25partition_config_selectorILNS1_17partition_subalgoE6EyNS0_10empty_typeEbEEZZNS1_14partition_implILS5_6ELb0ES3_mN6thrust23THRUST_200600_302600_NS6detail15normal_iteratorINSA_10device_ptrIyEEEEPS6_SG_NS0_5tupleIJNSA_16discard_iteratorINSA_11use_defaultEEES6_EEENSH_IJSG_SG_EEES6_PlJNSB_9not_fun_tINSB_14equal_to_valueIyEEEEEEE10hipError_tPvRmT3_T4_T5_T6_T7_T9_mT8_P12ihipStream_tbDpT10_ENKUlT_T0_E_clISt17integral_constantIbLb0EES1A_IbLb1EEEEDaS16_S17_EUlS16_E_NS1_11comp_targetILNS1_3genE3ELNS1_11target_archE908ELNS1_3gpuE7ELNS1_3repE0EEENS1_30default_config_static_selectorELNS0_4arch9wavefront6targetE0EEEvT1_.has_recursion, 0
	.set _ZN7rocprim17ROCPRIM_400000_NS6detail17trampoline_kernelINS0_14default_configENS1_25partition_config_selectorILNS1_17partition_subalgoE6EyNS0_10empty_typeEbEEZZNS1_14partition_implILS5_6ELb0ES3_mN6thrust23THRUST_200600_302600_NS6detail15normal_iteratorINSA_10device_ptrIyEEEEPS6_SG_NS0_5tupleIJNSA_16discard_iteratorINSA_11use_defaultEEES6_EEENSH_IJSG_SG_EEES6_PlJNSB_9not_fun_tINSB_14equal_to_valueIyEEEEEEE10hipError_tPvRmT3_T4_T5_T6_T7_T9_mT8_P12ihipStream_tbDpT10_ENKUlT_T0_E_clISt17integral_constantIbLb0EES1A_IbLb1EEEEDaS16_S17_EUlS16_E_NS1_11comp_targetILNS1_3genE3ELNS1_11target_archE908ELNS1_3gpuE7ELNS1_3repE0EEENS1_30default_config_static_selectorELNS0_4arch9wavefront6targetE0EEEvT1_.has_indirect_call, 0
	.section	.AMDGPU.csdata,"",@progbits
; Kernel info:
; codeLenInByte = 0
; TotalNumSgprs: 0
; NumVgprs: 0
; ScratchSize: 0
; MemoryBound: 0
; FloatMode: 240
; IeeeMode: 1
; LDSByteSize: 0 bytes/workgroup (compile time only)
; SGPRBlocks: 0
; VGPRBlocks: 0
; NumSGPRsForWavesPerEU: 1
; NumVGPRsForWavesPerEU: 1
; Occupancy: 16
; WaveLimiterHint : 0
; COMPUTE_PGM_RSRC2:SCRATCH_EN: 0
; COMPUTE_PGM_RSRC2:USER_SGPR: 2
; COMPUTE_PGM_RSRC2:TRAP_HANDLER: 0
; COMPUTE_PGM_RSRC2:TGID_X_EN: 1
; COMPUTE_PGM_RSRC2:TGID_Y_EN: 0
; COMPUTE_PGM_RSRC2:TGID_Z_EN: 0
; COMPUTE_PGM_RSRC2:TIDIG_COMP_CNT: 0
	.section	.text._ZN7rocprim17ROCPRIM_400000_NS6detail17trampoline_kernelINS0_14default_configENS1_25partition_config_selectorILNS1_17partition_subalgoE6EyNS0_10empty_typeEbEEZZNS1_14partition_implILS5_6ELb0ES3_mN6thrust23THRUST_200600_302600_NS6detail15normal_iteratorINSA_10device_ptrIyEEEEPS6_SG_NS0_5tupleIJNSA_16discard_iteratorINSA_11use_defaultEEES6_EEENSH_IJSG_SG_EEES6_PlJNSB_9not_fun_tINSB_14equal_to_valueIyEEEEEEE10hipError_tPvRmT3_T4_T5_T6_T7_T9_mT8_P12ihipStream_tbDpT10_ENKUlT_T0_E_clISt17integral_constantIbLb0EES1A_IbLb1EEEEDaS16_S17_EUlS16_E_NS1_11comp_targetILNS1_3genE2ELNS1_11target_archE906ELNS1_3gpuE6ELNS1_3repE0EEENS1_30default_config_static_selectorELNS0_4arch9wavefront6targetE0EEEvT1_,"axG",@progbits,_ZN7rocprim17ROCPRIM_400000_NS6detail17trampoline_kernelINS0_14default_configENS1_25partition_config_selectorILNS1_17partition_subalgoE6EyNS0_10empty_typeEbEEZZNS1_14partition_implILS5_6ELb0ES3_mN6thrust23THRUST_200600_302600_NS6detail15normal_iteratorINSA_10device_ptrIyEEEEPS6_SG_NS0_5tupleIJNSA_16discard_iteratorINSA_11use_defaultEEES6_EEENSH_IJSG_SG_EEES6_PlJNSB_9not_fun_tINSB_14equal_to_valueIyEEEEEEE10hipError_tPvRmT3_T4_T5_T6_T7_T9_mT8_P12ihipStream_tbDpT10_ENKUlT_T0_E_clISt17integral_constantIbLb0EES1A_IbLb1EEEEDaS16_S17_EUlS16_E_NS1_11comp_targetILNS1_3genE2ELNS1_11target_archE906ELNS1_3gpuE6ELNS1_3repE0EEENS1_30default_config_static_selectorELNS0_4arch9wavefront6targetE0EEEvT1_,comdat
	.protected	_ZN7rocprim17ROCPRIM_400000_NS6detail17trampoline_kernelINS0_14default_configENS1_25partition_config_selectorILNS1_17partition_subalgoE6EyNS0_10empty_typeEbEEZZNS1_14partition_implILS5_6ELb0ES3_mN6thrust23THRUST_200600_302600_NS6detail15normal_iteratorINSA_10device_ptrIyEEEEPS6_SG_NS0_5tupleIJNSA_16discard_iteratorINSA_11use_defaultEEES6_EEENSH_IJSG_SG_EEES6_PlJNSB_9not_fun_tINSB_14equal_to_valueIyEEEEEEE10hipError_tPvRmT3_T4_T5_T6_T7_T9_mT8_P12ihipStream_tbDpT10_ENKUlT_T0_E_clISt17integral_constantIbLb0EES1A_IbLb1EEEEDaS16_S17_EUlS16_E_NS1_11comp_targetILNS1_3genE2ELNS1_11target_archE906ELNS1_3gpuE6ELNS1_3repE0EEENS1_30default_config_static_selectorELNS0_4arch9wavefront6targetE0EEEvT1_ ; -- Begin function _ZN7rocprim17ROCPRIM_400000_NS6detail17trampoline_kernelINS0_14default_configENS1_25partition_config_selectorILNS1_17partition_subalgoE6EyNS0_10empty_typeEbEEZZNS1_14partition_implILS5_6ELb0ES3_mN6thrust23THRUST_200600_302600_NS6detail15normal_iteratorINSA_10device_ptrIyEEEEPS6_SG_NS0_5tupleIJNSA_16discard_iteratorINSA_11use_defaultEEES6_EEENSH_IJSG_SG_EEES6_PlJNSB_9not_fun_tINSB_14equal_to_valueIyEEEEEEE10hipError_tPvRmT3_T4_T5_T6_T7_T9_mT8_P12ihipStream_tbDpT10_ENKUlT_T0_E_clISt17integral_constantIbLb0EES1A_IbLb1EEEEDaS16_S17_EUlS16_E_NS1_11comp_targetILNS1_3genE2ELNS1_11target_archE906ELNS1_3gpuE6ELNS1_3repE0EEENS1_30default_config_static_selectorELNS0_4arch9wavefront6targetE0EEEvT1_
	.globl	_ZN7rocprim17ROCPRIM_400000_NS6detail17trampoline_kernelINS0_14default_configENS1_25partition_config_selectorILNS1_17partition_subalgoE6EyNS0_10empty_typeEbEEZZNS1_14partition_implILS5_6ELb0ES3_mN6thrust23THRUST_200600_302600_NS6detail15normal_iteratorINSA_10device_ptrIyEEEEPS6_SG_NS0_5tupleIJNSA_16discard_iteratorINSA_11use_defaultEEES6_EEENSH_IJSG_SG_EEES6_PlJNSB_9not_fun_tINSB_14equal_to_valueIyEEEEEEE10hipError_tPvRmT3_T4_T5_T6_T7_T9_mT8_P12ihipStream_tbDpT10_ENKUlT_T0_E_clISt17integral_constantIbLb0EES1A_IbLb1EEEEDaS16_S17_EUlS16_E_NS1_11comp_targetILNS1_3genE2ELNS1_11target_archE906ELNS1_3gpuE6ELNS1_3repE0EEENS1_30default_config_static_selectorELNS0_4arch9wavefront6targetE0EEEvT1_
	.p2align	8
	.type	_ZN7rocprim17ROCPRIM_400000_NS6detail17trampoline_kernelINS0_14default_configENS1_25partition_config_selectorILNS1_17partition_subalgoE6EyNS0_10empty_typeEbEEZZNS1_14partition_implILS5_6ELb0ES3_mN6thrust23THRUST_200600_302600_NS6detail15normal_iteratorINSA_10device_ptrIyEEEEPS6_SG_NS0_5tupleIJNSA_16discard_iteratorINSA_11use_defaultEEES6_EEENSH_IJSG_SG_EEES6_PlJNSB_9not_fun_tINSB_14equal_to_valueIyEEEEEEE10hipError_tPvRmT3_T4_T5_T6_T7_T9_mT8_P12ihipStream_tbDpT10_ENKUlT_T0_E_clISt17integral_constantIbLb0EES1A_IbLb1EEEEDaS16_S17_EUlS16_E_NS1_11comp_targetILNS1_3genE2ELNS1_11target_archE906ELNS1_3gpuE6ELNS1_3repE0EEENS1_30default_config_static_selectorELNS0_4arch9wavefront6targetE0EEEvT1_,@function
_ZN7rocprim17ROCPRIM_400000_NS6detail17trampoline_kernelINS0_14default_configENS1_25partition_config_selectorILNS1_17partition_subalgoE6EyNS0_10empty_typeEbEEZZNS1_14partition_implILS5_6ELb0ES3_mN6thrust23THRUST_200600_302600_NS6detail15normal_iteratorINSA_10device_ptrIyEEEEPS6_SG_NS0_5tupleIJNSA_16discard_iteratorINSA_11use_defaultEEES6_EEENSH_IJSG_SG_EEES6_PlJNSB_9not_fun_tINSB_14equal_to_valueIyEEEEEEE10hipError_tPvRmT3_T4_T5_T6_T7_T9_mT8_P12ihipStream_tbDpT10_ENKUlT_T0_E_clISt17integral_constantIbLb0EES1A_IbLb1EEEEDaS16_S17_EUlS16_E_NS1_11comp_targetILNS1_3genE2ELNS1_11target_archE906ELNS1_3gpuE6ELNS1_3repE0EEENS1_30default_config_static_selectorELNS0_4arch9wavefront6targetE0EEEvT1_: ; @_ZN7rocprim17ROCPRIM_400000_NS6detail17trampoline_kernelINS0_14default_configENS1_25partition_config_selectorILNS1_17partition_subalgoE6EyNS0_10empty_typeEbEEZZNS1_14partition_implILS5_6ELb0ES3_mN6thrust23THRUST_200600_302600_NS6detail15normal_iteratorINSA_10device_ptrIyEEEEPS6_SG_NS0_5tupleIJNSA_16discard_iteratorINSA_11use_defaultEEES6_EEENSH_IJSG_SG_EEES6_PlJNSB_9not_fun_tINSB_14equal_to_valueIyEEEEEEE10hipError_tPvRmT3_T4_T5_T6_T7_T9_mT8_P12ihipStream_tbDpT10_ENKUlT_T0_E_clISt17integral_constantIbLb0EES1A_IbLb1EEEEDaS16_S17_EUlS16_E_NS1_11comp_targetILNS1_3genE2ELNS1_11target_archE906ELNS1_3gpuE6ELNS1_3repE0EEENS1_30default_config_static_selectorELNS0_4arch9wavefront6targetE0EEEvT1_
; %bb.0:
	.section	.rodata,"a",@progbits
	.p2align	6, 0x0
	.amdhsa_kernel _ZN7rocprim17ROCPRIM_400000_NS6detail17trampoline_kernelINS0_14default_configENS1_25partition_config_selectorILNS1_17partition_subalgoE6EyNS0_10empty_typeEbEEZZNS1_14partition_implILS5_6ELb0ES3_mN6thrust23THRUST_200600_302600_NS6detail15normal_iteratorINSA_10device_ptrIyEEEEPS6_SG_NS0_5tupleIJNSA_16discard_iteratorINSA_11use_defaultEEES6_EEENSH_IJSG_SG_EEES6_PlJNSB_9not_fun_tINSB_14equal_to_valueIyEEEEEEE10hipError_tPvRmT3_T4_T5_T6_T7_T9_mT8_P12ihipStream_tbDpT10_ENKUlT_T0_E_clISt17integral_constantIbLb0EES1A_IbLb1EEEEDaS16_S17_EUlS16_E_NS1_11comp_targetILNS1_3genE2ELNS1_11target_archE906ELNS1_3gpuE6ELNS1_3repE0EEENS1_30default_config_static_selectorELNS0_4arch9wavefront6targetE0EEEvT1_
		.amdhsa_group_segment_fixed_size 0
		.amdhsa_private_segment_fixed_size 0
		.amdhsa_kernarg_size 136
		.amdhsa_user_sgpr_count 2
		.amdhsa_user_sgpr_dispatch_ptr 0
		.amdhsa_user_sgpr_queue_ptr 0
		.amdhsa_user_sgpr_kernarg_segment_ptr 1
		.amdhsa_user_sgpr_dispatch_id 0
		.amdhsa_user_sgpr_private_segment_size 0
		.amdhsa_wavefront_size32 1
		.amdhsa_uses_dynamic_stack 0
		.amdhsa_enable_private_segment 0
		.amdhsa_system_sgpr_workgroup_id_x 1
		.amdhsa_system_sgpr_workgroup_id_y 0
		.amdhsa_system_sgpr_workgroup_id_z 0
		.amdhsa_system_sgpr_workgroup_info 0
		.amdhsa_system_vgpr_workitem_id 0
		.amdhsa_next_free_vgpr 1
		.amdhsa_next_free_sgpr 1
		.amdhsa_reserve_vcc 0
		.amdhsa_float_round_mode_32 0
		.amdhsa_float_round_mode_16_64 0
		.amdhsa_float_denorm_mode_32 3
		.amdhsa_float_denorm_mode_16_64 3
		.amdhsa_fp16_overflow 0
		.amdhsa_workgroup_processor_mode 1
		.amdhsa_memory_ordered 1
		.amdhsa_forward_progress 1
		.amdhsa_inst_pref_size 0
		.amdhsa_round_robin_scheduling 0
		.amdhsa_exception_fp_ieee_invalid_op 0
		.amdhsa_exception_fp_denorm_src 0
		.amdhsa_exception_fp_ieee_div_zero 0
		.amdhsa_exception_fp_ieee_overflow 0
		.amdhsa_exception_fp_ieee_underflow 0
		.amdhsa_exception_fp_ieee_inexact 0
		.amdhsa_exception_int_div_zero 0
	.end_amdhsa_kernel
	.section	.text._ZN7rocprim17ROCPRIM_400000_NS6detail17trampoline_kernelINS0_14default_configENS1_25partition_config_selectorILNS1_17partition_subalgoE6EyNS0_10empty_typeEbEEZZNS1_14partition_implILS5_6ELb0ES3_mN6thrust23THRUST_200600_302600_NS6detail15normal_iteratorINSA_10device_ptrIyEEEEPS6_SG_NS0_5tupleIJNSA_16discard_iteratorINSA_11use_defaultEEES6_EEENSH_IJSG_SG_EEES6_PlJNSB_9not_fun_tINSB_14equal_to_valueIyEEEEEEE10hipError_tPvRmT3_T4_T5_T6_T7_T9_mT8_P12ihipStream_tbDpT10_ENKUlT_T0_E_clISt17integral_constantIbLb0EES1A_IbLb1EEEEDaS16_S17_EUlS16_E_NS1_11comp_targetILNS1_3genE2ELNS1_11target_archE906ELNS1_3gpuE6ELNS1_3repE0EEENS1_30default_config_static_selectorELNS0_4arch9wavefront6targetE0EEEvT1_,"axG",@progbits,_ZN7rocprim17ROCPRIM_400000_NS6detail17trampoline_kernelINS0_14default_configENS1_25partition_config_selectorILNS1_17partition_subalgoE6EyNS0_10empty_typeEbEEZZNS1_14partition_implILS5_6ELb0ES3_mN6thrust23THRUST_200600_302600_NS6detail15normal_iteratorINSA_10device_ptrIyEEEEPS6_SG_NS0_5tupleIJNSA_16discard_iteratorINSA_11use_defaultEEES6_EEENSH_IJSG_SG_EEES6_PlJNSB_9not_fun_tINSB_14equal_to_valueIyEEEEEEE10hipError_tPvRmT3_T4_T5_T6_T7_T9_mT8_P12ihipStream_tbDpT10_ENKUlT_T0_E_clISt17integral_constantIbLb0EES1A_IbLb1EEEEDaS16_S17_EUlS16_E_NS1_11comp_targetILNS1_3genE2ELNS1_11target_archE906ELNS1_3gpuE6ELNS1_3repE0EEENS1_30default_config_static_selectorELNS0_4arch9wavefront6targetE0EEEvT1_,comdat
.Lfunc_end1657:
	.size	_ZN7rocprim17ROCPRIM_400000_NS6detail17trampoline_kernelINS0_14default_configENS1_25partition_config_selectorILNS1_17partition_subalgoE6EyNS0_10empty_typeEbEEZZNS1_14partition_implILS5_6ELb0ES3_mN6thrust23THRUST_200600_302600_NS6detail15normal_iteratorINSA_10device_ptrIyEEEEPS6_SG_NS0_5tupleIJNSA_16discard_iteratorINSA_11use_defaultEEES6_EEENSH_IJSG_SG_EEES6_PlJNSB_9not_fun_tINSB_14equal_to_valueIyEEEEEEE10hipError_tPvRmT3_T4_T5_T6_T7_T9_mT8_P12ihipStream_tbDpT10_ENKUlT_T0_E_clISt17integral_constantIbLb0EES1A_IbLb1EEEEDaS16_S17_EUlS16_E_NS1_11comp_targetILNS1_3genE2ELNS1_11target_archE906ELNS1_3gpuE6ELNS1_3repE0EEENS1_30default_config_static_selectorELNS0_4arch9wavefront6targetE0EEEvT1_, .Lfunc_end1657-_ZN7rocprim17ROCPRIM_400000_NS6detail17trampoline_kernelINS0_14default_configENS1_25partition_config_selectorILNS1_17partition_subalgoE6EyNS0_10empty_typeEbEEZZNS1_14partition_implILS5_6ELb0ES3_mN6thrust23THRUST_200600_302600_NS6detail15normal_iteratorINSA_10device_ptrIyEEEEPS6_SG_NS0_5tupleIJNSA_16discard_iteratorINSA_11use_defaultEEES6_EEENSH_IJSG_SG_EEES6_PlJNSB_9not_fun_tINSB_14equal_to_valueIyEEEEEEE10hipError_tPvRmT3_T4_T5_T6_T7_T9_mT8_P12ihipStream_tbDpT10_ENKUlT_T0_E_clISt17integral_constantIbLb0EES1A_IbLb1EEEEDaS16_S17_EUlS16_E_NS1_11comp_targetILNS1_3genE2ELNS1_11target_archE906ELNS1_3gpuE6ELNS1_3repE0EEENS1_30default_config_static_selectorELNS0_4arch9wavefront6targetE0EEEvT1_
                                        ; -- End function
	.set _ZN7rocprim17ROCPRIM_400000_NS6detail17trampoline_kernelINS0_14default_configENS1_25partition_config_selectorILNS1_17partition_subalgoE6EyNS0_10empty_typeEbEEZZNS1_14partition_implILS5_6ELb0ES3_mN6thrust23THRUST_200600_302600_NS6detail15normal_iteratorINSA_10device_ptrIyEEEEPS6_SG_NS0_5tupleIJNSA_16discard_iteratorINSA_11use_defaultEEES6_EEENSH_IJSG_SG_EEES6_PlJNSB_9not_fun_tINSB_14equal_to_valueIyEEEEEEE10hipError_tPvRmT3_T4_T5_T6_T7_T9_mT8_P12ihipStream_tbDpT10_ENKUlT_T0_E_clISt17integral_constantIbLb0EES1A_IbLb1EEEEDaS16_S17_EUlS16_E_NS1_11comp_targetILNS1_3genE2ELNS1_11target_archE906ELNS1_3gpuE6ELNS1_3repE0EEENS1_30default_config_static_selectorELNS0_4arch9wavefront6targetE0EEEvT1_.num_vgpr, 0
	.set _ZN7rocprim17ROCPRIM_400000_NS6detail17trampoline_kernelINS0_14default_configENS1_25partition_config_selectorILNS1_17partition_subalgoE6EyNS0_10empty_typeEbEEZZNS1_14partition_implILS5_6ELb0ES3_mN6thrust23THRUST_200600_302600_NS6detail15normal_iteratorINSA_10device_ptrIyEEEEPS6_SG_NS0_5tupleIJNSA_16discard_iteratorINSA_11use_defaultEEES6_EEENSH_IJSG_SG_EEES6_PlJNSB_9not_fun_tINSB_14equal_to_valueIyEEEEEEE10hipError_tPvRmT3_T4_T5_T6_T7_T9_mT8_P12ihipStream_tbDpT10_ENKUlT_T0_E_clISt17integral_constantIbLb0EES1A_IbLb1EEEEDaS16_S17_EUlS16_E_NS1_11comp_targetILNS1_3genE2ELNS1_11target_archE906ELNS1_3gpuE6ELNS1_3repE0EEENS1_30default_config_static_selectorELNS0_4arch9wavefront6targetE0EEEvT1_.num_agpr, 0
	.set _ZN7rocprim17ROCPRIM_400000_NS6detail17trampoline_kernelINS0_14default_configENS1_25partition_config_selectorILNS1_17partition_subalgoE6EyNS0_10empty_typeEbEEZZNS1_14partition_implILS5_6ELb0ES3_mN6thrust23THRUST_200600_302600_NS6detail15normal_iteratorINSA_10device_ptrIyEEEEPS6_SG_NS0_5tupleIJNSA_16discard_iteratorINSA_11use_defaultEEES6_EEENSH_IJSG_SG_EEES6_PlJNSB_9not_fun_tINSB_14equal_to_valueIyEEEEEEE10hipError_tPvRmT3_T4_T5_T6_T7_T9_mT8_P12ihipStream_tbDpT10_ENKUlT_T0_E_clISt17integral_constantIbLb0EES1A_IbLb1EEEEDaS16_S17_EUlS16_E_NS1_11comp_targetILNS1_3genE2ELNS1_11target_archE906ELNS1_3gpuE6ELNS1_3repE0EEENS1_30default_config_static_selectorELNS0_4arch9wavefront6targetE0EEEvT1_.numbered_sgpr, 0
	.set _ZN7rocprim17ROCPRIM_400000_NS6detail17trampoline_kernelINS0_14default_configENS1_25partition_config_selectorILNS1_17partition_subalgoE6EyNS0_10empty_typeEbEEZZNS1_14partition_implILS5_6ELb0ES3_mN6thrust23THRUST_200600_302600_NS6detail15normal_iteratorINSA_10device_ptrIyEEEEPS6_SG_NS0_5tupleIJNSA_16discard_iteratorINSA_11use_defaultEEES6_EEENSH_IJSG_SG_EEES6_PlJNSB_9not_fun_tINSB_14equal_to_valueIyEEEEEEE10hipError_tPvRmT3_T4_T5_T6_T7_T9_mT8_P12ihipStream_tbDpT10_ENKUlT_T0_E_clISt17integral_constantIbLb0EES1A_IbLb1EEEEDaS16_S17_EUlS16_E_NS1_11comp_targetILNS1_3genE2ELNS1_11target_archE906ELNS1_3gpuE6ELNS1_3repE0EEENS1_30default_config_static_selectorELNS0_4arch9wavefront6targetE0EEEvT1_.num_named_barrier, 0
	.set _ZN7rocprim17ROCPRIM_400000_NS6detail17trampoline_kernelINS0_14default_configENS1_25partition_config_selectorILNS1_17partition_subalgoE6EyNS0_10empty_typeEbEEZZNS1_14partition_implILS5_6ELb0ES3_mN6thrust23THRUST_200600_302600_NS6detail15normal_iteratorINSA_10device_ptrIyEEEEPS6_SG_NS0_5tupleIJNSA_16discard_iteratorINSA_11use_defaultEEES6_EEENSH_IJSG_SG_EEES6_PlJNSB_9not_fun_tINSB_14equal_to_valueIyEEEEEEE10hipError_tPvRmT3_T4_T5_T6_T7_T9_mT8_P12ihipStream_tbDpT10_ENKUlT_T0_E_clISt17integral_constantIbLb0EES1A_IbLb1EEEEDaS16_S17_EUlS16_E_NS1_11comp_targetILNS1_3genE2ELNS1_11target_archE906ELNS1_3gpuE6ELNS1_3repE0EEENS1_30default_config_static_selectorELNS0_4arch9wavefront6targetE0EEEvT1_.private_seg_size, 0
	.set _ZN7rocprim17ROCPRIM_400000_NS6detail17trampoline_kernelINS0_14default_configENS1_25partition_config_selectorILNS1_17partition_subalgoE6EyNS0_10empty_typeEbEEZZNS1_14partition_implILS5_6ELb0ES3_mN6thrust23THRUST_200600_302600_NS6detail15normal_iteratorINSA_10device_ptrIyEEEEPS6_SG_NS0_5tupleIJNSA_16discard_iteratorINSA_11use_defaultEEES6_EEENSH_IJSG_SG_EEES6_PlJNSB_9not_fun_tINSB_14equal_to_valueIyEEEEEEE10hipError_tPvRmT3_T4_T5_T6_T7_T9_mT8_P12ihipStream_tbDpT10_ENKUlT_T0_E_clISt17integral_constantIbLb0EES1A_IbLb1EEEEDaS16_S17_EUlS16_E_NS1_11comp_targetILNS1_3genE2ELNS1_11target_archE906ELNS1_3gpuE6ELNS1_3repE0EEENS1_30default_config_static_selectorELNS0_4arch9wavefront6targetE0EEEvT1_.uses_vcc, 0
	.set _ZN7rocprim17ROCPRIM_400000_NS6detail17trampoline_kernelINS0_14default_configENS1_25partition_config_selectorILNS1_17partition_subalgoE6EyNS0_10empty_typeEbEEZZNS1_14partition_implILS5_6ELb0ES3_mN6thrust23THRUST_200600_302600_NS6detail15normal_iteratorINSA_10device_ptrIyEEEEPS6_SG_NS0_5tupleIJNSA_16discard_iteratorINSA_11use_defaultEEES6_EEENSH_IJSG_SG_EEES6_PlJNSB_9not_fun_tINSB_14equal_to_valueIyEEEEEEE10hipError_tPvRmT3_T4_T5_T6_T7_T9_mT8_P12ihipStream_tbDpT10_ENKUlT_T0_E_clISt17integral_constantIbLb0EES1A_IbLb1EEEEDaS16_S17_EUlS16_E_NS1_11comp_targetILNS1_3genE2ELNS1_11target_archE906ELNS1_3gpuE6ELNS1_3repE0EEENS1_30default_config_static_selectorELNS0_4arch9wavefront6targetE0EEEvT1_.uses_flat_scratch, 0
	.set _ZN7rocprim17ROCPRIM_400000_NS6detail17trampoline_kernelINS0_14default_configENS1_25partition_config_selectorILNS1_17partition_subalgoE6EyNS0_10empty_typeEbEEZZNS1_14partition_implILS5_6ELb0ES3_mN6thrust23THRUST_200600_302600_NS6detail15normal_iteratorINSA_10device_ptrIyEEEEPS6_SG_NS0_5tupleIJNSA_16discard_iteratorINSA_11use_defaultEEES6_EEENSH_IJSG_SG_EEES6_PlJNSB_9not_fun_tINSB_14equal_to_valueIyEEEEEEE10hipError_tPvRmT3_T4_T5_T6_T7_T9_mT8_P12ihipStream_tbDpT10_ENKUlT_T0_E_clISt17integral_constantIbLb0EES1A_IbLb1EEEEDaS16_S17_EUlS16_E_NS1_11comp_targetILNS1_3genE2ELNS1_11target_archE906ELNS1_3gpuE6ELNS1_3repE0EEENS1_30default_config_static_selectorELNS0_4arch9wavefront6targetE0EEEvT1_.has_dyn_sized_stack, 0
	.set _ZN7rocprim17ROCPRIM_400000_NS6detail17trampoline_kernelINS0_14default_configENS1_25partition_config_selectorILNS1_17partition_subalgoE6EyNS0_10empty_typeEbEEZZNS1_14partition_implILS5_6ELb0ES3_mN6thrust23THRUST_200600_302600_NS6detail15normal_iteratorINSA_10device_ptrIyEEEEPS6_SG_NS0_5tupleIJNSA_16discard_iteratorINSA_11use_defaultEEES6_EEENSH_IJSG_SG_EEES6_PlJNSB_9not_fun_tINSB_14equal_to_valueIyEEEEEEE10hipError_tPvRmT3_T4_T5_T6_T7_T9_mT8_P12ihipStream_tbDpT10_ENKUlT_T0_E_clISt17integral_constantIbLb0EES1A_IbLb1EEEEDaS16_S17_EUlS16_E_NS1_11comp_targetILNS1_3genE2ELNS1_11target_archE906ELNS1_3gpuE6ELNS1_3repE0EEENS1_30default_config_static_selectorELNS0_4arch9wavefront6targetE0EEEvT1_.has_recursion, 0
	.set _ZN7rocprim17ROCPRIM_400000_NS6detail17trampoline_kernelINS0_14default_configENS1_25partition_config_selectorILNS1_17partition_subalgoE6EyNS0_10empty_typeEbEEZZNS1_14partition_implILS5_6ELb0ES3_mN6thrust23THRUST_200600_302600_NS6detail15normal_iteratorINSA_10device_ptrIyEEEEPS6_SG_NS0_5tupleIJNSA_16discard_iteratorINSA_11use_defaultEEES6_EEENSH_IJSG_SG_EEES6_PlJNSB_9not_fun_tINSB_14equal_to_valueIyEEEEEEE10hipError_tPvRmT3_T4_T5_T6_T7_T9_mT8_P12ihipStream_tbDpT10_ENKUlT_T0_E_clISt17integral_constantIbLb0EES1A_IbLb1EEEEDaS16_S17_EUlS16_E_NS1_11comp_targetILNS1_3genE2ELNS1_11target_archE906ELNS1_3gpuE6ELNS1_3repE0EEENS1_30default_config_static_selectorELNS0_4arch9wavefront6targetE0EEEvT1_.has_indirect_call, 0
	.section	.AMDGPU.csdata,"",@progbits
; Kernel info:
; codeLenInByte = 0
; TotalNumSgprs: 0
; NumVgprs: 0
; ScratchSize: 0
; MemoryBound: 0
; FloatMode: 240
; IeeeMode: 1
; LDSByteSize: 0 bytes/workgroup (compile time only)
; SGPRBlocks: 0
; VGPRBlocks: 0
; NumSGPRsForWavesPerEU: 1
; NumVGPRsForWavesPerEU: 1
; Occupancy: 16
; WaveLimiterHint : 0
; COMPUTE_PGM_RSRC2:SCRATCH_EN: 0
; COMPUTE_PGM_RSRC2:USER_SGPR: 2
; COMPUTE_PGM_RSRC2:TRAP_HANDLER: 0
; COMPUTE_PGM_RSRC2:TGID_X_EN: 1
; COMPUTE_PGM_RSRC2:TGID_Y_EN: 0
; COMPUTE_PGM_RSRC2:TGID_Z_EN: 0
; COMPUTE_PGM_RSRC2:TIDIG_COMP_CNT: 0
	.section	.text._ZN7rocprim17ROCPRIM_400000_NS6detail17trampoline_kernelINS0_14default_configENS1_25partition_config_selectorILNS1_17partition_subalgoE6EyNS0_10empty_typeEbEEZZNS1_14partition_implILS5_6ELb0ES3_mN6thrust23THRUST_200600_302600_NS6detail15normal_iteratorINSA_10device_ptrIyEEEEPS6_SG_NS0_5tupleIJNSA_16discard_iteratorINSA_11use_defaultEEES6_EEENSH_IJSG_SG_EEES6_PlJNSB_9not_fun_tINSB_14equal_to_valueIyEEEEEEE10hipError_tPvRmT3_T4_T5_T6_T7_T9_mT8_P12ihipStream_tbDpT10_ENKUlT_T0_E_clISt17integral_constantIbLb0EES1A_IbLb1EEEEDaS16_S17_EUlS16_E_NS1_11comp_targetILNS1_3genE10ELNS1_11target_archE1200ELNS1_3gpuE4ELNS1_3repE0EEENS1_30default_config_static_selectorELNS0_4arch9wavefront6targetE0EEEvT1_,"axG",@progbits,_ZN7rocprim17ROCPRIM_400000_NS6detail17trampoline_kernelINS0_14default_configENS1_25partition_config_selectorILNS1_17partition_subalgoE6EyNS0_10empty_typeEbEEZZNS1_14partition_implILS5_6ELb0ES3_mN6thrust23THRUST_200600_302600_NS6detail15normal_iteratorINSA_10device_ptrIyEEEEPS6_SG_NS0_5tupleIJNSA_16discard_iteratorINSA_11use_defaultEEES6_EEENSH_IJSG_SG_EEES6_PlJNSB_9not_fun_tINSB_14equal_to_valueIyEEEEEEE10hipError_tPvRmT3_T4_T5_T6_T7_T9_mT8_P12ihipStream_tbDpT10_ENKUlT_T0_E_clISt17integral_constantIbLb0EES1A_IbLb1EEEEDaS16_S17_EUlS16_E_NS1_11comp_targetILNS1_3genE10ELNS1_11target_archE1200ELNS1_3gpuE4ELNS1_3repE0EEENS1_30default_config_static_selectorELNS0_4arch9wavefront6targetE0EEEvT1_,comdat
	.protected	_ZN7rocprim17ROCPRIM_400000_NS6detail17trampoline_kernelINS0_14default_configENS1_25partition_config_selectorILNS1_17partition_subalgoE6EyNS0_10empty_typeEbEEZZNS1_14partition_implILS5_6ELb0ES3_mN6thrust23THRUST_200600_302600_NS6detail15normal_iteratorINSA_10device_ptrIyEEEEPS6_SG_NS0_5tupleIJNSA_16discard_iteratorINSA_11use_defaultEEES6_EEENSH_IJSG_SG_EEES6_PlJNSB_9not_fun_tINSB_14equal_to_valueIyEEEEEEE10hipError_tPvRmT3_T4_T5_T6_T7_T9_mT8_P12ihipStream_tbDpT10_ENKUlT_T0_E_clISt17integral_constantIbLb0EES1A_IbLb1EEEEDaS16_S17_EUlS16_E_NS1_11comp_targetILNS1_3genE10ELNS1_11target_archE1200ELNS1_3gpuE4ELNS1_3repE0EEENS1_30default_config_static_selectorELNS0_4arch9wavefront6targetE0EEEvT1_ ; -- Begin function _ZN7rocprim17ROCPRIM_400000_NS6detail17trampoline_kernelINS0_14default_configENS1_25partition_config_selectorILNS1_17partition_subalgoE6EyNS0_10empty_typeEbEEZZNS1_14partition_implILS5_6ELb0ES3_mN6thrust23THRUST_200600_302600_NS6detail15normal_iteratorINSA_10device_ptrIyEEEEPS6_SG_NS0_5tupleIJNSA_16discard_iteratorINSA_11use_defaultEEES6_EEENSH_IJSG_SG_EEES6_PlJNSB_9not_fun_tINSB_14equal_to_valueIyEEEEEEE10hipError_tPvRmT3_T4_T5_T6_T7_T9_mT8_P12ihipStream_tbDpT10_ENKUlT_T0_E_clISt17integral_constantIbLb0EES1A_IbLb1EEEEDaS16_S17_EUlS16_E_NS1_11comp_targetILNS1_3genE10ELNS1_11target_archE1200ELNS1_3gpuE4ELNS1_3repE0EEENS1_30default_config_static_selectorELNS0_4arch9wavefront6targetE0EEEvT1_
	.globl	_ZN7rocprim17ROCPRIM_400000_NS6detail17trampoline_kernelINS0_14default_configENS1_25partition_config_selectorILNS1_17partition_subalgoE6EyNS0_10empty_typeEbEEZZNS1_14partition_implILS5_6ELb0ES3_mN6thrust23THRUST_200600_302600_NS6detail15normal_iteratorINSA_10device_ptrIyEEEEPS6_SG_NS0_5tupleIJNSA_16discard_iteratorINSA_11use_defaultEEES6_EEENSH_IJSG_SG_EEES6_PlJNSB_9not_fun_tINSB_14equal_to_valueIyEEEEEEE10hipError_tPvRmT3_T4_T5_T6_T7_T9_mT8_P12ihipStream_tbDpT10_ENKUlT_T0_E_clISt17integral_constantIbLb0EES1A_IbLb1EEEEDaS16_S17_EUlS16_E_NS1_11comp_targetILNS1_3genE10ELNS1_11target_archE1200ELNS1_3gpuE4ELNS1_3repE0EEENS1_30default_config_static_selectorELNS0_4arch9wavefront6targetE0EEEvT1_
	.p2align	8
	.type	_ZN7rocprim17ROCPRIM_400000_NS6detail17trampoline_kernelINS0_14default_configENS1_25partition_config_selectorILNS1_17partition_subalgoE6EyNS0_10empty_typeEbEEZZNS1_14partition_implILS5_6ELb0ES3_mN6thrust23THRUST_200600_302600_NS6detail15normal_iteratorINSA_10device_ptrIyEEEEPS6_SG_NS0_5tupleIJNSA_16discard_iteratorINSA_11use_defaultEEES6_EEENSH_IJSG_SG_EEES6_PlJNSB_9not_fun_tINSB_14equal_to_valueIyEEEEEEE10hipError_tPvRmT3_T4_T5_T6_T7_T9_mT8_P12ihipStream_tbDpT10_ENKUlT_T0_E_clISt17integral_constantIbLb0EES1A_IbLb1EEEEDaS16_S17_EUlS16_E_NS1_11comp_targetILNS1_3genE10ELNS1_11target_archE1200ELNS1_3gpuE4ELNS1_3repE0EEENS1_30default_config_static_selectorELNS0_4arch9wavefront6targetE0EEEvT1_,@function
_ZN7rocprim17ROCPRIM_400000_NS6detail17trampoline_kernelINS0_14default_configENS1_25partition_config_selectorILNS1_17partition_subalgoE6EyNS0_10empty_typeEbEEZZNS1_14partition_implILS5_6ELb0ES3_mN6thrust23THRUST_200600_302600_NS6detail15normal_iteratorINSA_10device_ptrIyEEEEPS6_SG_NS0_5tupleIJNSA_16discard_iteratorINSA_11use_defaultEEES6_EEENSH_IJSG_SG_EEES6_PlJNSB_9not_fun_tINSB_14equal_to_valueIyEEEEEEE10hipError_tPvRmT3_T4_T5_T6_T7_T9_mT8_P12ihipStream_tbDpT10_ENKUlT_T0_E_clISt17integral_constantIbLb0EES1A_IbLb1EEEEDaS16_S17_EUlS16_E_NS1_11comp_targetILNS1_3genE10ELNS1_11target_archE1200ELNS1_3gpuE4ELNS1_3repE0EEENS1_30default_config_static_selectorELNS0_4arch9wavefront6targetE0EEEvT1_: ; @_ZN7rocprim17ROCPRIM_400000_NS6detail17trampoline_kernelINS0_14default_configENS1_25partition_config_selectorILNS1_17partition_subalgoE6EyNS0_10empty_typeEbEEZZNS1_14partition_implILS5_6ELb0ES3_mN6thrust23THRUST_200600_302600_NS6detail15normal_iteratorINSA_10device_ptrIyEEEEPS6_SG_NS0_5tupleIJNSA_16discard_iteratorINSA_11use_defaultEEES6_EEENSH_IJSG_SG_EEES6_PlJNSB_9not_fun_tINSB_14equal_to_valueIyEEEEEEE10hipError_tPvRmT3_T4_T5_T6_T7_T9_mT8_P12ihipStream_tbDpT10_ENKUlT_T0_E_clISt17integral_constantIbLb0EES1A_IbLb1EEEEDaS16_S17_EUlS16_E_NS1_11comp_targetILNS1_3genE10ELNS1_11target_archE1200ELNS1_3gpuE4ELNS1_3repE0EEENS1_30default_config_static_selectorELNS0_4arch9wavefront6targetE0EEEvT1_
; %bb.0:
	s_clause 0x2
	s_load_b64 s[16:17], s[0:1], 0x58
	s_load_b128 s[8:11], s[0:1], 0x48
	s_load_b64 s[12:13], s[0:1], 0x68
	v_cmp_eq_u32_e64 s2, 0, v0
	s_and_saveexec_b32 s3, s2
	s_cbranch_execz .LBB1658_4
; %bb.1:
	s_mov_b32 s5, exec_lo
	s_mov_b32 s4, exec_lo
	v_mbcnt_lo_u32_b32 v1, s5, 0
                                        ; implicit-def: $vgpr2
	s_delay_alu instid0(VALU_DEP_1)
	v_cmpx_eq_u32_e32 0, v1
	s_cbranch_execz .LBB1658_3
; %bb.2:
	s_load_b64 s[6:7], s[0:1], 0x78
	s_bcnt1_i32_b32 s5, s5
	s_wait_alu 0xfffe
	v_dual_mov_b32 v2, 0 :: v_dual_mov_b32 v3, s5
	s_wait_kmcnt 0x0
	global_atomic_add_u32 v2, v2, v3, s[6:7] th:TH_ATOMIC_RETURN scope:SCOPE_DEV
.LBB1658_3:
	s_or_b32 exec_lo, exec_lo, s4
	s_wait_loadcnt 0x0
	v_readfirstlane_b32 s4, v2
	s_wait_alu 0xf1ff
	s_delay_alu instid0(VALU_DEP_1)
	v_dual_mov_b32 v2, 0 :: v_dual_add_nc_u32 v1, s4, v1
	ds_store_b32 v2, v1
.LBB1658_4:
	s_or_b32 exec_lo, exec_lo, s3
	v_mov_b32_e32 v2, 0
	s_clause 0x2
	s_load_b128 s[4:7], s[0:1], 0x8
	s_load_b32 s3, s[0:1], 0x70
	s_load_b64 s[14:15], s[0:1], 0x80
	s_wait_dscnt 0x0
	s_barrier_signal -1
	s_barrier_wait -1
	global_inv scope:SCOPE_SE
	ds_load_b32 v3, v2
	s_wait_loadcnt_dscnt 0x0
	s_barrier_signal -1
	s_barrier_wait -1
	global_inv scope:SCOPE_SE
	s_mov_b32 s1, 0
	v_lshrrev_b32_e32 v9, 2, v0
	v_or_b32_e32 v12, 0x100, v0
	v_or_b32_e32 v11, 0x200, v0
	;; [unrolled: 1-line block ×3, first 2 shown]
	s_wait_kmcnt 0x0
	s_lshl_b64 s[18:19], s[6:7], 3
	s_lshl_b32 s0, s3, 10
	s_add_nc_u64 s[4:5], s[4:5], s[18:19]
	s_add_nc_u64 s[20:21], s[6:7], s[0:1]
	s_delay_alu instid0(SALU_CYCLE_1)
	v_cmp_gt_u64_e64 s1, s[16:17], s[20:21]
	v_lshlrev_b32_e32 v1, 10, v3
	global_load_b64 v[17:18], v2, s[10:11]
	v_readfirstlane_b32 s10, v3
	s_add_co_i32 s11, s3, -1
	v_lshlrev_b64_e32 v[1:2], 3, v[1:2]
	s_lshl_b32 s3, s11, 10
	v_cmp_ne_u32_e32 vcc_lo, s11, v3
	s_add_co_i32 s0, s6, s3
	s_cmp_eq_u32 s10, s11
	s_mov_b32 s3, -1
	s_cselect_b32 s6, -1, 0
	s_or_b32 s1, s1, vcc_lo
	s_wait_alu 0xfffe
	v_add_co_u32 v13, vcc_lo, s4, v1
	s_delay_alu instid0(VALU_DEP_1)
	v_add_co_ci_u32_e64 v14, null, s5, v2, vcc_lo
	s_and_b32 vcc_lo, exec_lo, s1
	s_wait_alu 0xfffe
	s_cbranch_vccz .LBB1658_6
; %bb.5:
	v_lshlrev_b32_e32 v15, 3, v0
	v_lshrrev_b32_e32 v16, 2, v12
	v_lshrrev_b32_e32 v19, 2, v11
	;; [unrolled: 1-line block ×3, first 2 shown]
	v_and_b32_e32 v21, 56, v9
	v_add_co_u32 v1, vcc_lo, v13, v15
	s_wait_alu 0xfffd
	v_add_co_ci_u32_e64 v2, null, 0, v14, vcc_lo
	v_and_b32_e32 v16, 0x78, v16
	v_and_b32_e32 v19, 0xb8, v19
	;; [unrolled: 1-line block ×3, first 2 shown]
	s_clause 0x3
	flat_load_b64 v[3:4], v[1:2]
	flat_load_b64 v[5:6], v[1:2] offset:2048
	flat_load_b64 v[7:8], v[1:2] offset:4096
	;; [unrolled: 1-line block ×3, first 2 shown]
	v_add_nc_u32_e32 v21, v21, v15
	v_add_nc_u32_e32 v16, v16, v15
	;; [unrolled: 1-line block ×4, first 2 shown]
	s_mov_b32 s3, 0
	s_wait_loadcnt_dscnt 0x303
	ds_store_b64 v21, v[3:4]
	s_wait_loadcnt_dscnt 0x203
	ds_store_b64 v16, v[5:6] offset:2048
	s_wait_loadcnt_dscnt 0x103
	ds_store_b64 v19, v[7:8] offset:4096
	;; [unrolled: 2-line block ×3, first 2 shown]
	s_wait_dscnt 0x0
	s_barrier_signal -1
	s_barrier_wait -1
.LBB1658_6:
	s_and_not1_b32 vcc_lo, exec_lo, s3
	s_sub_co_i32 s11, s16, s0
	s_wait_alu 0xfffe
	s_cbranch_vccnz .LBB1658_13
; %bb.7:
	v_mov_b32_e32 v1, 0
	s_mov_b32 s0, exec_lo
	s_delay_alu instid0(VALU_DEP_1)
	v_dual_mov_b32 v2, v1 :: v_dual_mov_b32 v3, v1
	v_dual_mov_b32 v4, v1 :: v_dual_mov_b32 v5, v1
	;; [unrolled: 1-line block ×3, first 2 shown]
	v_mov_b32_e32 v8, v1
	v_cmpx_gt_u32_e64 s11, v0
	s_cbranch_execnz .LBB1658_118
; %bb.8:
	s_or_b32 exec_lo, exec_lo, s0
	s_delay_alu instid0(SALU_CYCLE_1)
	s_mov_b32 s0, exec_lo
	v_cmpx_gt_u32_e64 s11, v12
	s_cbranch_execnz .LBB1658_119
.LBB1658_9:
	s_or_b32 exec_lo, exec_lo, s0
	s_delay_alu instid0(SALU_CYCLE_1)
	s_mov_b32 s0, exec_lo
	v_cmpx_gt_u32_e64 s11, v11
	s_cbranch_execnz .LBB1658_120
.LBB1658_10:
	s_or_b32 exec_lo, exec_lo, s0
	s_delay_alu instid0(SALU_CYCLE_1)
	s_mov_b32 s0, exec_lo
	v_cmpx_gt_u32_e64 s11, v10
	s_cbranch_execz .LBB1658_12
.LBB1658_11:
	v_lshlrev_b32_e32 v7, 3, v0
	s_delay_alu instid0(VALU_DEP_1)
	v_add_co_u32 v7, vcc_lo, v13, v7
	s_wait_alu 0xfffd
	v_add_co_ci_u32_e64 v8, null, 0, v14, vcc_lo
	flat_load_b64 v[7:8], v[7:8] offset:6144
.LBB1658_12:
	s_or_b32 exec_lo, exec_lo, s0
	v_lshrrev_b32_e32 v12, 2, v12
	v_lshrrev_b32_e32 v11, 2, v11
	;; [unrolled: 1-line block ×3, first 2 shown]
	v_and_b32_e32 v9, 56, v9
	v_lshlrev_b32_e32 v13, 3, v0
	v_and_b32_e32 v12, 0x78, v12
	v_and_b32_e32 v11, 0xf8, v11
	;; [unrolled: 1-line block ×3, first 2 shown]
	s_delay_alu instid0(VALU_DEP_4) | instskip(NEXT) | instid1(VALU_DEP_4)
	v_add_nc_u32_e32 v9, v9, v13
	v_add_nc_u32_e32 v12, v12, v13
	s_delay_alu instid0(VALU_DEP_4) | instskip(NEXT) | instid1(VALU_DEP_4)
	v_add_nc_u32_e32 v11, v11, v13
	v_add_nc_u32_e32 v10, v10, v13
	ds_store_b64 v9, v[1:2]
	s_wait_loadcnt_dscnt 0x1
	ds_store_b64 v12, v[3:4] offset:2048
	ds_store_b64 v11, v[5:6] offset:4096
	;; [unrolled: 1-line block ×3, first 2 shown]
	s_wait_dscnt 0x0
	s_barrier_signal -1
	s_barrier_wait -1
.LBB1658_13:
	v_and_b32_e32 v1, 0xf8, v0
	s_wait_loadcnt 0x0
	global_inv scope:SCOPE_SE
	s_and_not1_b32 vcc_lo, exec_lo, s1
	v_lshl_add_u32 v5, v0, 5, v1
	ds_load_2addr_b64 v[1:4], v5 offset1:3
	ds_load_2addr_b64 v[5:8], v5 offset0:1 offset1:2
	s_wait_loadcnt_dscnt 0x0
	s_barrier_signal -1
	s_barrier_wait -1
	global_inv scope:SCOPE_SE
	v_cmp_ne_u64_e64 s0, s[14:15], v[1:2]
	v_cmp_ne_u64_e64 s7, s[14:15], v[3:4]
	s_wait_alu 0xfffe
	s_cbranch_vccnz .LBB1658_15
; %bb.14:
	v_cmp_ne_u64_e32 vcc_lo, s[14:15], v[7:8]
	v_cndmask_b32_e64 v29, 0, 1, s0
	s_wait_alu 0xfffd
	v_cndmask_b32_e64 v27, 0, 1, vcc_lo
	v_cmp_ne_u64_e32 vcc_lo, s[14:15], v[5:6]
	s_delay_alu instid0(VALU_DEP_2) | instskip(SKIP_2) | instid1(VALU_DEP_1)
	v_lshlrev_b16 v10, 8, v27
	s_wait_alu 0xfffd
	v_cndmask_b32_e64 v9, 0, 1, vcc_lo
	v_or_b32_e32 v28, v9, v10
	s_cbranch_execz .LBB1658_16
	s_branch .LBB1658_17
.LBB1658_15:
                                        ; implicit-def: $sgpr7
                                        ; implicit-def: $vgpr29
                                        ; implicit-def: $vgpr28
                                        ; implicit-def: $vgpr27
.LBB1658_16:
	v_lshlrev_b32_e32 v9, 2, v0
	v_cmp_ne_u64_e64 s0, s[14:15], v[7:8]
	v_cmp_ne_u64_e64 s3, s[14:15], v[5:6]
	v_cmp_ne_u64_e32 vcc_lo, s[14:15], v[1:2]
	v_cmp_ne_u64_e64 s4, s[14:15], v[3:4]
	v_or_b32_e32 v10, 2, v9
	v_or_b32_e32 v11, 1, v9
	s_delay_alu instid0(VALU_DEP_2) | instskip(NEXT) | instid1(VALU_DEP_2)
	v_cmp_gt_u32_e64 s1, s11, v10
	v_cmp_gt_u32_e64 s5, s11, v11
	v_or_b32_e32 v10, 3, v9
	s_and_b32 s0, s1, s0
	s_and_b32 s3, s5, s3
	s_wait_alu 0xfffe
	v_cndmask_b32_e64 v27, 0, 1, s0
	v_cmp_gt_u32_e64 s0, s11, v9
	v_cmp_gt_u32_e64 s1, s11, v10
	v_cndmask_b32_e64 v9, 0, 1, s3
	s_delay_alu instid0(VALU_DEP_4)
	v_lshlrev_b16 v10, 8, v27
	s_and_b32 s0, s0, vcc_lo
	s_wait_alu 0xfffe
	v_cndmask_b32_e64 v29, 0, 1, s0
	s_and_b32 s0, s1, s4
	v_or_b32_e32 v28, v9, v10
	s_and_not1_b32 s1, s7, exec_lo
	s_wait_alu 0xfffe
	s_and_b32 s0, s0, exec_lo
	s_wait_alu 0xfffe
	s_or_b32 s7, s1, s0
.LBB1658_17:
	v_and_b32_e32 v31, 0xff, v29
	s_delay_alu instid0(VALU_DEP_2)
	v_dual_mov_b32 v11, 0 :: v_dual_and_b32 v30, 0xff, v28
	v_cndmask_b32_e64 v9, 0, 1, s7
	v_mbcnt_lo_u32_b32 v33, -1, 0
	v_and_b32_e32 v32, 0xff, v27
	s_cmp_lg_u32 s10, 0
	s_mov_b32 s1, -1
	v_add3_u32 v9, v31, v9, v30
	v_and_b32_e32 v34, 15, v33
	s_delay_alu instid0(VALU_DEP_2) | instskip(SKIP_2) | instid1(VALU_DEP_3)
	v_add_co_u32 v19, s0, v9, v32
	s_wait_alu 0xf1ff
	v_add_co_ci_u32_e64 v20, null, 0, 0, s0
	v_cmp_ne_u32_e64 s0, 0, v34
	s_cbranch_scc0 .LBB1658_74
; %bb.18:
	v_dual_mov_b32 v12, v19 :: v_dual_mov_b32 v9, v19
	v_mov_b32_dpp v14, v19 row_shr:1 row_mask:0xf bank_mask:0xf
	v_mov_b32_dpp v13, v11 row_shr:1 row_mask:0xf bank_mask:0xf
	v_mov_b32_e32 v10, v20
	s_and_saveexec_b32 s1, s0
; %bb.19:
	s_delay_alu instid0(VALU_DEP_3) | instskip(SKIP_2) | instid1(VALU_DEP_2)
	v_add_co_u32 v12, vcc_lo, v19, v14
	s_wait_alu 0xfffd
	v_add_co_ci_u32_e64 v9, null, 0, v20, vcc_lo
	v_add_co_u32 v10, vcc_lo, 0, v12
	s_wait_alu 0xfffd
	s_delay_alu instid0(VALU_DEP_2) | instskip(NEXT) | instid1(VALU_DEP_2)
	v_add_co_ci_u32_e64 v11, null, v13, v9, vcc_lo
	v_mov_b32_e32 v9, v10
	s_delay_alu instid0(VALU_DEP_2)
	v_mov_b32_e32 v10, v11
; %bb.20:
	s_wait_alu 0xfffe
	s_or_b32 exec_lo, exec_lo, s1
	v_mov_b32_dpp v14, v12 row_shr:2 row_mask:0xf bank_mask:0xf
	v_mov_b32_dpp v13, v11 row_shr:2 row_mask:0xf bank_mask:0xf
	s_mov_b32 s1, exec_lo
	v_cmpx_lt_u32_e32 1, v34
; %bb.21:
	s_delay_alu instid0(VALU_DEP_3) | instskip(SKIP_2) | instid1(VALU_DEP_2)
	v_add_co_u32 v12, vcc_lo, v9, v14
	s_wait_alu 0xfffd
	v_add_co_ci_u32_e64 v9, null, 0, v10, vcc_lo
	v_add_co_u32 v10, vcc_lo, 0, v12
	s_wait_alu 0xfffd
	s_delay_alu instid0(VALU_DEP_2) | instskip(NEXT) | instid1(VALU_DEP_2)
	v_add_co_ci_u32_e64 v11, null, v13, v9, vcc_lo
	v_mov_b32_e32 v9, v10
	s_delay_alu instid0(VALU_DEP_2)
	v_mov_b32_e32 v10, v11
; %bb.22:
	s_wait_alu 0xfffe
	s_or_b32 exec_lo, exec_lo, s1
	v_mov_b32_dpp v14, v12 row_shr:4 row_mask:0xf bank_mask:0xf
	v_mov_b32_dpp v13, v11 row_shr:4 row_mask:0xf bank_mask:0xf
	s_mov_b32 s1, exec_lo
	v_cmpx_lt_u32_e32 3, v34
; %bb.23:
	s_delay_alu instid0(VALU_DEP_3) | instskip(SKIP_2) | instid1(VALU_DEP_2)
	v_add_co_u32 v12, vcc_lo, v9, v14
	s_wait_alu 0xfffd
	v_add_co_ci_u32_e64 v9, null, 0, v10, vcc_lo
	v_add_co_u32 v10, vcc_lo, 0, v12
	s_wait_alu 0xfffd
	s_delay_alu instid0(VALU_DEP_2) | instskip(NEXT) | instid1(VALU_DEP_2)
	v_add_co_ci_u32_e64 v11, null, v13, v9, vcc_lo
	v_mov_b32_e32 v9, v10
	s_delay_alu instid0(VALU_DEP_2)
	v_mov_b32_e32 v10, v11
; %bb.24:
	s_wait_alu 0xfffe
	s_or_b32 exec_lo, exec_lo, s1
	v_mov_b32_dpp v14, v12 row_shr:8 row_mask:0xf bank_mask:0xf
	v_mov_b32_dpp v13, v11 row_shr:8 row_mask:0xf bank_mask:0xf
	s_mov_b32 s1, exec_lo
	v_cmpx_lt_u32_e32 7, v34
; %bb.25:
	s_delay_alu instid0(VALU_DEP_3) | instskip(SKIP_2) | instid1(VALU_DEP_2)
	v_add_co_u32 v12, vcc_lo, v9, v14
	s_wait_alu 0xfffd
	v_add_co_ci_u32_e64 v10, null, 0, v10, vcc_lo
	v_add_co_u32 v9, vcc_lo, 0, v12
	s_wait_alu 0xfffd
	s_delay_alu instid0(VALU_DEP_2) | instskip(NEXT) | instid1(VALU_DEP_1)
	v_add_co_ci_u32_e64 v10, null, v13, v10, vcc_lo
	v_mov_b32_e32 v11, v10
; %bb.26:
	s_wait_alu 0xfffe
	s_or_b32 exec_lo, exec_lo, s1
	ds_swizzle_b32 v13, v12 offset:swizzle(BROADCAST,32,15)
	ds_swizzle_b32 v11, v11 offset:swizzle(BROADCAST,32,15)
	v_and_b32_e32 v14, 16, v33
	s_mov_b32 s1, exec_lo
	s_delay_alu instid0(VALU_DEP_1)
	v_cmpx_ne_u32_e32 0, v14
	s_cbranch_execz .LBB1658_28
; %bb.27:
	s_wait_dscnt 0x1
	v_add_co_u32 v12, vcc_lo, v9, v13
	s_wait_alu 0xfffd
	v_add_co_ci_u32_e64 v10, null, 0, v10, vcc_lo
	s_delay_alu instid0(VALU_DEP_2) | instskip(SKIP_2) | instid1(VALU_DEP_2)
	v_add_co_u32 v9, vcc_lo, 0, v12
	s_wait_dscnt 0x0
	s_wait_alu 0xfffd
	v_add_co_ci_u32_e64 v10, null, v11, v10, vcc_lo
.LBB1658_28:
	s_wait_alu 0xfffe
	s_or_b32 exec_lo, exec_lo, s1
	s_wait_dscnt 0x1
	v_or_b32_e32 v13, 31, v0
	s_wait_dscnt 0x0
	v_lshrrev_b32_e32 v11, 5, v0
	s_mov_b32 s1, exec_lo
	s_delay_alu instid0(VALU_DEP_2)
	v_cmpx_eq_u32_e64 v0, v13
; %bb.29:
	s_delay_alu instid0(VALU_DEP_2)
	v_lshlrev_b32_e32 v13, 3, v11
	ds_store_b64 v13, v[9:10]
; %bb.30:
	s_wait_alu 0xfffe
	s_or_b32 exec_lo, exec_lo, s1
	s_delay_alu instid0(SALU_CYCLE_1)
	s_mov_b32 s1, exec_lo
	s_wait_loadcnt_dscnt 0x0
	s_barrier_signal -1
	s_barrier_wait -1
	global_inv scope:SCOPE_SE
	v_cmpx_gt_u32_e32 8, v0
	s_cbranch_execz .LBB1658_38
; %bb.31:
	v_lshlrev_b32_e32 v13, 3, v0
	s_mov_b32 s3, exec_lo
	ds_load_b64 v[9:10], v13
	s_wait_dscnt 0x0
	v_dual_mov_b32 v15, v9 :: v_dual_and_b32 v14, 7, v33
	v_mov_b32_dpp v21, v9 row_shr:1 row_mask:0xf bank_mask:0xf
	v_mov_b32_dpp v16, v10 row_shr:1 row_mask:0xf bank_mask:0xf
	s_delay_alu instid0(VALU_DEP_3)
	v_cmpx_ne_u32_e32 0, v14
; %bb.32:
	s_delay_alu instid0(VALU_DEP_3) | instskip(SKIP_2) | instid1(VALU_DEP_2)
	v_add_co_u32 v15, vcc_lo, v9, v21
	s_wait_alu 0xfffd
	v_add_co_ci_u32_e64 v10, null, 0, v10, vcc_lo
	v_add_co_u32 v9, vcc_lo, 0, v15
	s_wait_alu 0xfffd
	s_delay_alu instid0(VALU_DEP_2)
	v_add_co_ci_u32_e64 v10, null, v16, v10, vcc_lo
; %bb.33:
	s_wait_alu 0xfffe
	s_or_b32 exec_lo, exec_lo, s3
	v_mov_b32_dpp v21, v15 row_shr:2 row_mask:0xf bank_mask:0xf
	s_delay_alu instid0(VALU_DEP_2)
	v_mov_b32_dpp v16, v10 row_shr:2 row_mask:0xf bank_mask:0xf
	s_mov_b32 s3, exec_lo
	v_cmpx_lt_u32_e32 1, v14
; %bb.34:
	s_delay_alu instid0(VALU_DEP_3) | instskip(SKIP_2) | instid1(VALU_DEP_2)
	v_add_co_u32 v15, vcc_lo, v9, v21
	s_wait_alu 0xfffd
	v_add_co_ci_u32_e64 v10, null, 0, v10, vcc_lo
	v_add_co_u32 v9, vcc_lo, 0, v15
	s_wait_alu 0xfffd
	s_delay_alu instid0(VALU_DEP_2)
	v_add_co_ci_u32_e64 v10, null, v16, v10, vcc_lo
; %bb.35:
	s_wait_alu 0xfffe
	s_or_b32 exec_lo, exec_lo, s3
	v_mov_b32_dpp v16, v15 row_shr:4 row_mask:0xf bank_mask:0xf
	s_delay_alu instid0(VALU_DEP_2)
	v_mov_b32_dpp v15, v10 row_shr:4 row_mask:0xf bank_mask:0xf
	s_mov_b32 s3, exec_lo
	v_cmpx_lt_u32_e32 3, v14
; %bb.36:
	s_delay_alu instid0(VALU_DEP_3) | instskip(SKIP_2) | instid1(VALU_DEP_2)
	v_add_co_u32 v9, vcc_lo, v9, v16
	s_wait_alu 0xfffd
	v_add_co_ci_u32_e64 v10, null, 0, v10, vcc_lo
	v_add_co_u32 v9, vcc_lo, v9, 0
	s_wait_alu 0xfffd
	s_delay_alu instid0(VALU_DEP_2)
	v_add_co_ci_u32_e64 v10, null, v10, v15, vcc_lo
; %bb.37:
	s_wait_alu 0xfffe
	s_or_b32 exec_lo, exec_lo, s3
	ds_store_b64 v13, v[9:10]
.LBB1658_38:
	s_wait_alu 0xfffe
	s_or_b32 exec_lo, exec_lo, s1
	s_delay_alu instid0(SALU_CYCLE_1)
	s_mov_b32 s3, exec_lo
	v_cmp_gt_u32_e32 vcc_lo, 32, v0
	s_wait_loadcnt_dscnt 0x0
	s_barrier_signal -1
	s_barrier_wait -1
	global_inv scope:SCOPE_SE
                                        ; implicit-def: $vgpr21_vgpr22
	v_cmpx_lt_u32_e32 31, v0
	s_cbranch_execz .LBB1658_40
; %bb.39:
	v_lshl_add_u32 v9, v11, 3, -8
	ds_load_b64 v[21:22], v9
	s_wait_dscnt 0x0
	v_add_nc_u32_e32 v12, v12, v21
.LBB1658_40:
	s_wait_alu 0xfffe
	s_or_b32 exec_lo, exec_lo, s3
	v_sub_co_u32 v9, s1, v33, 1
	s_delay_alu instid0(VALU_DEP_1) | instskip(SKIP_1) | instid1(VALU_DEP_1)
	v_cmp_gt_i32_e64 s3, 0, v9
	s_wait_alu 0xf1ff
	v_cndmask_b32_e64 v9, v9, v33, s3
	s_delay_alu instid0(VALU_DEP_1)
	v_lshlrev_b32_e32 v9, 2, v9
	ds_bpermute_b32 v35, v9, v12
	s_and_saveexec_b32 s3, vcc_lo
	s_cbranch_execz .LBB1658_79
; %bb.41:
	v_mov_b32_e32 v12, 0
	ds_load_b64 v[9:10], v12 offset:56
	s_and_saveexec_b32 s4, s1
	s_cbranch_execz .LBB1658_43
; %bb.42:
	s_add_co_i32 s14, s10, 32
	s_mov_b32 s15, 0
	s_wait_alu 0xfffe
	s_lshl_b64 s[14:15], s[14:15], 4
	s_wait_alu 0xfffe
	s_add_nc_u64 s[14:15], s[12:13], s[14:15]
	v_mov_b32_e32 v11, 1
	s_wait_alu 0xfffe
	v_dual_mov_b32 v13, s14 :: v_dual_mov_b32 v14, s15
	s_wait_dscnt 0x0
	;;#ASMSTART
	global_store_b128 v[13:14], v[9:12] off scope:SCOPE_DEV	
s_wait_storecnt 0x0
	;;#ASMEND
.LBB1658_43:
	s_wait_alu 0xfffe
	s_or_b32 exec_lo, exec_lo, s4
	v_xad_u32 v23, v33, -1, s10
	s_mov_b32 s5, 0
	s_mov_b32 s4, exec_lo
	s_delay_alu instid0(VALU_DEP_1) | instskip(NEXT) | instid1(VALU_DEP_1)
	v_add_nc_u32_e32 v11, 32, v23
	v_lshlrev_b64_e32 v[11:12], 4, v[11:12]
	s_delay_alu instid0(VALU_DEP_1) | instskip(SKIP_1) | instid1(VALU_DEP_2)
	v_add_co_u32 v11, vcc_lo, s12, v11
	s_wait_alu 0xfffd
	v_add_co_ci_u32_e64 v12, null, s13, v12, vcc_lo
	;;#ASMSTART
	global_load_b128 v[13:16], v[11:12] off scope:SCOPE_DEV	
s_wait_loadcnt 0x0
	;;#ASMEND
	v_and_b32_e32 v16, 0xff, v15
	s_delay_alu instid0(VALU_DEP_1)
	v_cmpx_eq_u16_e32 0, v16
	s_cbranch_execz .LBB1658_46
.LBB1658_44:                            ; =>This Inner Loop Header: Depth=1
	;;#ASMSTART
	global_load_b128 v[13:16], v[11:12] off scope:SCOPE_DEV	
s_wait_loadcnt 0x0
	;;#ASMEND
	v_and_b32_e32 v16, 0xff, v15
	s_delay_alu instid0(VALU_DEP_1)
	v_cmp_ne_u16_e32 vcc_lo, 0, v16
	s_wait_alu 0xfffe
	s_or_b32 s5, vcc_lo, s5
	s_wait_alu 0xfffe
	s_and_not1_b32 exec_lo, exec_lo, s5
	s_cbranch_execnz .LBB1658_44
; %bb.45:
	s_or_b32 exec_lo, exec_lo, s5
.LBB1658_46:
	s_wait_alu 0xfffe
	s_or_b32 exec_lo, exec_lo, s4
	v_cmp_ne_u32_e32 vcc_lo, 31, v33
	v_and_b32_e32 v12, 0xff, v15
	v_lshlrev_b32_e64 v37, v33, -1
	s_mov_b32 s4, exec_lo
	s_wait_alu 0xfffd
	v_add_co_ci_u32_e64 v11, null, 0, v33, vcc_lo
	v_cmp_eq_u16_e32 vcc_lo, 2, v12
	v_mov_b32_e32 v12, v13
	s_delay_alu instid0(VALU_DEP_3)
	v_lshlrev_b32_e32 v36, 2, v11
	s_wait_alu 0xfffd
	v_and_or_b32 v11, vcc_lo, v37, 0x80000000
	ds_bpermute_b32 v24, v36, v13
	ds_bpermute_b32 v16, v36, v14
	v_ctz_i32_b32_e32 v11, v11
	s_delay_alu instid0(VALU_DEP_1)
	v_cmpx_lt_u32_e64 v33, v11
	s_cbranch_execz .LBB1658_48
; %bb.47:
	s_wait_dscnt 0x1
	v_add_co_u32 v12, vcc_lo, v13, v24
	s_wait_alu 0xfffd
	v_add_co_ci_u32_e64 v14, null, 0, v14, vcc_lo
	s_delay_alu instid0(VALU_DEP_2) | instskip(SKIP_2) | instid1(VALU_DEP_2)
	v_add_co_u32 v13, vcc_lo, 0, v12
	s_wait_dscnt 0x0
	s_wait_alu 0xfffd
	v_add_co_ci_u32_e64 v14, null, v16, v14, vcc_lo
.LBB1658_48:
	s_wait_alu 0xfffe
	s_or_b32 exec_lo, exec_lo, s4
	v_cmp_gt_u32_e32 vcc_lo, 30, v33
	v_add_nc_u32_e32 v39, 2, v33
	s_mov_b32 s4, exec_lo
	s_wait_dscnt 0x0
	s_wait_alu 0xfffd
	v_cndmask_b32_e64 v16, 0, 2, vcc_lo
	s_delay_alu instid0(VALU_DEP_1)
	v_add_lshl_u32 v38, v16, v33, 2
	ds_bpermute_b32 v24, v38, v12
	ds_bpermute_b32 v16, v38, v14
	v_cmpx_le_u32_e64 v39, v11
	s_cbranch_execz .LBB1658_50
; %bb.49:
	s_wait_dscnt 0x1
	v_add_co_u32 v12, vcc_lo, v13, v24
	s_wait_alu 0xfffd
	v_add_co_ci_u32_e64 v14, null, 0, v14, vcc_lo
	s_delay_alu instid0(VALU_DEP_2) | instskip(SKIP_2) | instid1(VALU_DEP_2)
	v_add_co_u32 v13, vcc_lo, 0, v12
	s_wait_dscnt 0x0
	s_wait_alu 0xfffd
	v_add_co_ci_u32_e64 v14, null, v16, v14, vcc_lo
.LBB1658_50:
	s_wait_alu 0xfffe
	s_or_b32 exec_lo, exec_lo, s4
	v_cmp_gt_u32_e32 vcc_lo, 28, v33
	v_add_nc_u32_e32 v41, 4, v33
	s_mov_b32 s4, exec_lo
	s_wait_dscnt 0x0
	s_wait_alu 0xfffd
	v_cndmask_b32_e64 v16, 0, 4, vcc_lo
	s_delay_alu instid0(VALU_DEP_1)
	v_add_lshl_u32 v40, v16, v33, 2
	ds_bpermute_b32 v24, v40, v12
	ds_bpermute_b32 v16, v40, v14
	v_cmpx_le_u32_e64 v41, v11
	;; [unrolled: 25-line block ×3, first 2 shown]
	s_cbranch_execz .LBB1658_54
; %bb.53:
	s_wait_dscnt 0x1
	v_add_co_u32 v12, vcc_lo, v13, v24
	s_wait_alu 0xfffd
	v_add_co_ci_u32_e64 v14, null, 0, v14, vcc_lo
	s_delay_alu instid0(VALU_DEP_2) | instskip(SKIP_2) | instid1(VALU_DEP_2)
	v_add_co_u32 v13, vcc_lo, 0, v12
	s_wait_dscnt 0x0
	s_wait_alu 0xfffd
	v_add_co_ci_u32_e64 v14, null, v16, v14, vcc_lo
.LBB1658_54:
	s_wait_alu 0xfffe
	s_or_b32 exec_lo, exec_lo, s4
	v_lshl_or_b32 v44, v33, 2, 64
	v_add_nc_u32_e32 v45, 16, v33
	s_mov_b32 s4, exec_lo
	s_wait_dscnt 0x0
	ds_bpermute_b32 v16, v44, v12
	ds_bpermute_b32 v12, v44, v14
	v_cmpx_le_u32_e64 v45, v11
	s_cbranch_execz .LBB1658_56
; %bb.55:
	s_wait_dscnt 0x1
	v_add_co_u32 v11, vcc_lo, v13, v16
	s_wait_alu 0xfffd
	v_add_co_ci_u32_e64 v14, null, 0, v14, vcc_lo
	s_delay_alu instid0(VALU_DEP_2) | instskip(SKIP_2) | instid1(VALU_DEP_2)
	v_add_co_u32 v13, vcc_lo, v11, 0
	s_wait_dscnt 0x0
	s_wait_alu 0xfffd
	v_add_co_ci_u32_e64 v14, null, v14, v12, vcc_lo
.LBB1658_56:
	s_wait_alu 0xfffe
	s_or_b32 exec_lo, exec_lo, s4
	v_mov_b32_e32 v24, 0
	s_branch .LBB1658_59
.LBB1658_57:                            ;   in Loop: Header=BB1658_59 Depth=1
	s_wait_alu 0xfffe
	s_or_b32 exec_lo, exec_lo, s4
	v_add_co_u32 v13, vcc_lo, v13, v11
	v_subrev_nc_u32_e32 v23, 32, v23
	s_wait_alu 0xfffd
	v_add_co_ci_u32_e64 v14, null, v14, v12, vcc_lo
	s_mov_b32 s4, 0
.LBB1658_58:                            ;   in Loop: Header=BB1658_59 Depth=1
	s_wait_alu 0xfffe
	s_and_b32 vcc_lo, exec_lo, s4
	s_wait_alu 0xfffe
	s_cbranch_vccnz .LBB1658_75
.LBB1658_59:                            ; =>This Loop Header: Depth=1
                                        ;     Child Loop BB1658_62 Depth 2
	v_and_b32_e32 v11, 0xff, v15
	s_mov_b32 s4, -1
	s_delay_alu instid0(VALU_DEP_1)
	v_cmp_ne_u16_e32 vcc_lo, 2, v11
	s_wait_dscnt 0x0
	v_dual_mov_b32 v11, v13 :: v_dual_mov_b32 v12, v14
                                        ; implicit-def: $vgpr13_vgpr14
	s_cmp_lg_u32 vcc_lo, exec_lo
	s_cbranch_scc1 .LBB1658_58
; %bb.60:                               ;   in Loop: Header=BB1658_59 Depth=1
	v_lshlrev_b64_e32 v[13:14], 4, v[23:24]
	s_mov_b32 s4, exec_lo
	s_delay_alu instid0(VALU_DEP_1) | instskip(SKIP_1) | instid1(VALU_DEP_2)
	v_add_co_u32 v25, vcc_lo, s12, v13
	s_wait_alu 0xfffd
	v_add_co_ci_u32_e64 v26, null, s13, v14, vcc_lo
	;;#ASMSTART
	global_load_b128 v[13:16], v[25:26] off scope:SCOPE_DEV	
s_wait_loadcnt 0x0
	;;#ASMEND
	v_and_b32_e32 v16, 0xff, v15
	s_delay_alu instid0(VALU_DEP_1)
	v_cmpx_eq_u16_e32 0, v16
	s_cbranch_execz .LBB1658_64
; %bb.61:                               ;   in Loop: Header=BB1658_59 Depth=1
	s_mov_b32 s5, 0
.LBB1658_62:                            ;   Parent Loop BB1658_59 Depth=1
                                        ; =>  This Inner Loop Header: Depth=2
	;;#ASMSTART
	global_load_b128 v[13:16], v[25:26] off scope:SCOPE_DEV	
s_wait_loadcnt 0x0
	;;#ASMEND
	v_and_b32_e32 v16, 0xff, v15
	s_delay_alu instid0(VALU_DEP_1)
	v_cmp_ne_u16_e32 vcc_lo, 0, v16
	s_wait_alu 0xfffe
	s_or_b32 s5, vcc_lo, s5
	s_wait_alu 0xfffe
	s_and_not1_b32 exec_lo, exec_lo, s5
	s_cbranch_execnz .LBB1658_62
; %bb.63:                               ;   in Loop: Header=BB1658_59 Depth=1
	s_or_b32 exec_lo, exec_lo, s5
.LBB1658_64:                            ;   in Loop: Header=BB1658_59 Depth=1
	s_wait_alu 0xfffe
	s_or_b32 exec_lo, exec_lo, s4
	v_dual_mov_b32 v25, v13 :: v_dual_and_b32 v16, 0xff, v15
	ds_bpermute_b32 v46, v36, v13
	ds_bpermute_b32 v26, v36, v14
	s_mov_b32 s4, exec_lo
	v_cmp_eq_u16_e32 vcc_lo, 2, v16
	s_wait_alu 0xfffd
	v_and_or_b32 v16, vcc_lo, v37, 0x80000000
	s_delay_alu instid0(VALU_DEP_1) | instskip(NEXT) | instid1(VALU_DEP_1)
	v_ctz_i32_b32_e32 v16, v16
	v_cmpx_lt_u32_e64 v33, v16
	s_cbranch_execz .LBB1658_66
; %bb.65:                               ;   in Loop: Header=BB1658_59 Depth=1
	s_wait_dscnt 0x1
	v_add_co_u32 v25, vcc_lo, v13, v46
	s_wait_alu 0xfffd
	v_add_co_ci_u32_e64 v14, null, 0, v14, vcc_lo
	s_delay_alu instid0(VALU_DEP_2) | instskip(SKIP_2) | instid1(VALU_DEP_2)
	v_add_co_u32 v13, vcc_lo, 0, v25
	s_wait_dscnt 0x0
	s_wait_alu 0xfffd
	v_add_co_ci_u32_e64 v14, null, v26, v14, vcc_lo
.LBB1658_66:                            ;   in Loop: Header=BB1658_59 Depth=1
	s_wait_alu 0xfffe
	s_or_b32 exec_lo, exec_lo, s4
	s_wait_dscnt 0x1
	ds_bpermute_b32 v46, v38, v25
	s_wait_dscnt 0x1
	ds_bpermute_b32 v26, v38, v14
	s_mov_b32 s4, exec_lo
	v_cmpx_le_u32_e64 v39, v16
	s_cbranch_execz .LBB1658_68
; %bb.67:                               ;   in Loop: Header=BB1658_59 Depth=1
	s_wait_dscnt 0x1
	v_add_co_u32 v25, vcc_lo, v13, v46
	s_wait_alu 0xfffd
	v_add_co_ci_u32_e64 v14, null, 0, v14, vcc_lo
	s_delay_alu instid0(VALU_DEP_2) | instskip(SKIP_2) | instid1(VALU_DEP_2)
	v_add_co_u32 v13, vcc_lo, 0, v25
	s_wait_dscnt 0x0
	s_wait_alu 0xfffd
	v_add_co_ci_u32_e64 v14, null, v26, v14, vcc_lo
.LBB1658_68:                            ;   in Loop: Header=BB1658_59 Depth=1
	s_wait_alu 0xfffe
	s_or_b32 exec_lo, exec_lo, s4
	s_wait_dscnt 0x1
	ds_bpermute_b32 v46, v40, v25
	s_wait_dscnt 0x1
	ds_bpermute_b32 v26, v40, v14
	s_mov_b32 s4, exec_lo
	v_cmpx_le_u32_e64 v41, v16
	;; [unrolled: 20-line block ×3, first 2 shown]
	s_cbranch_execz .LBB1658_72
; %bb.71:                               ;   in Loop: Header=BB1658_59 Depth=1
	s_wait_dscnt 0x1
	v_add_co_u32 v25, vcc_lo, v13, v46
	s_wait_alu 0xfffd
	v_add_co_ci_u32_e64 v14, null, 0, v14, vcc_lo
	s_delay_alu instid0(VALU_DEP_2) | instskip(SKIP_2) | instid1(VALU_DEP_2)
	v_add_co_u32 v13, vcc_lo, 0, v25
	s_wait_dscnt 0x0
	s_wait_alu 0xfffd
	v_add_co_ci_u32_e64 v14, null, v26, v14, vcc_lo
.LBB1658_72:                            ;   in Loop: Header=BB1658_59 Depth=1
	s_wait_alu 0xfffe
	s_or_b32 exec_lo, exec_lo, s4
	s_wait_dscnt 0x0
	ds_bpermute_b32 v26, v44, v25
	ds_bpermute_b32 v25, v44, v14
	s_mov_b32 s4, exec_lo
	v_cmpx_le_u32_e64 v45, v16
	s_cbranch_execz .LBB1658_57
; %bb.73:                               ;   in Loop: Header=BB1658_59 Depth=1
	s_wait_dscnt 0x1
	v_add_co_u32 v13, vcc_lo, v13, v26
	s_wait_alu 0xfffd
	v_add_co_ci_u32_e64 v14, null, 0, v14, vcc_lo
	s_delay_alu instid0(VALU_DEP_2) | instskip(SKIP_2) | instid1(VALU_DEP_2)
	v_add_co_u32 v13, vcc_lo, v13, 0
	s_wait_dscnt 0x0
	s_wait_alu 0xfffd
	v_add_co_ci_u32_e64 v14, null, v14, v25, vcc_lo
	s_branch .LBB1658_57
.LBB1658_74:
                                        ; implicit-def: $vgpr13_vgpr14
                                        ; implicit-def: $vgpr21_vgpr22
                                        ; implicit-def: $vgpr11_vgpr12
                                        ; implicit-def: $vgpr14_vgpr15
                                        ; implicit-def: $vgpr15_vgpr16
	s_wait_alu 0xfffe
	s_and_b32 vcc_lo, exec_lo, s1
	s_wait_alu 0xfffe
	s_cbranch_vccnz .LBB1658_80
	s_branch .LBB1658_105
.LBB1658_75:
	s_and_saveexec_b32 s4, s1
	s_cbranch_execz .LBB1658_77
; %bb.76:
	s_add_co_i32 s10, s10, 32
	s_mov_b32 s11, 0
	v_add_co_u32 v13, vcc_lo, v11, v9
	s_wait_alu 0xfffe
	s_lshl_b64 s[10:11], s[10:11], 4
	v_dual_mov_b32 v15, 2 :: v_dual_mov_b32 v16, 0
	s_wait_alu 0xfffe
	s_add_nc_u64 s[10:11], s[12:13], s[10:11]
	s_wait_alu 0xfffd
	v_add_co_ci_u32_e64 v14, null, v12, v10, vcc_lo
	s_wait_alu 0xfffe
	v_dual_mov_b32 v24, s11 :: v_dual_mov_b32 v23, s10
	;;#ASMSTART
	global_store_b128 v[23:24], v[13:16] off scope:SCOPE_DEV	
s_wait_storecnt 0x0
	;;#ASMEND
	ds_store_b128 v16, v[9:12] offset:8448
.LBB1658_77:
	s_wait_alu 0xfffe
	s_or_b32 exec_lo, exec_lo, s4
	s_delay_alu instid0(SALU_CYCLE_1)
	s_and_b32 exec_lo, exec_lo, s2
; %bb.78:
	v_mov_b32_e32 v9, 0
	ds_store_b64 v9, v[11:12] offset:56
.LBB1658_79:
	s_wait_alu 0xfffe
	s_or_b32 exec_lo, exec_lo, s3
	v_mov_b32_e32 v9, 0
	s_wait_loadcnt_dscnt 0x0
	s_barrier_signal -1
	s_barrier_wait -1
	global_inv scope:SCOPE_SE
	ds_load_b64 v[13:14], v9 offset:56
	v_cndmask_b32_e64 v11, v35, v21, s1
	v_cndmask_b32_e64 v10, 0, v22, s1
	s_wait_loadcnt_dscnt 0x0
	s_barrier_signal -1
	s_barrier_wait -1
	v_cndmask_b32_e64 v16, v11, 0, s2
	v_cndmask_b32_e64 v15, v10, 0, s2
	global_inv scope:SCOPE_SE
	ds_load_b128 v[9:12], v9 offset:8448
	v_add_co_u32 v21, vcc_lo, v13, v16
	s_wait_alu 0xfffd
	v_add_co_ci_u32_e64 v13, null, v14, v15, vcc_lo
	s_delay_alu instid0(VALU_DEP_2) | instskip(SKIP_1) | instid1(VALU_DEP_2)
	v_add_co_u32 v15, vcc_lo, v21, v31
	s_wait_alu 0xfffd
	v_add_co_ci_u32_e64 v13, null, 0, v13, vcc_lo
	s_delay_alu instid0(VALU_DEP_2) | instskip(SKIP_1) | instid1(VALU_DEP_2)
	;; [unrolled: 4-line block ×3, first 2 shown]
	v_add_co_u32 v13, vcc_lo, v14, v32
	s_wait_alu 0xfffd
	v_add_co_ci_u32_e64 v16, null, 0, v16, vcc_lo
	s_branch .LBB1658_105
.LBB1658_80:
	s_wait_dscnt 0x0
	v_dual_mov_b32 v10, 0 :: v_dual_mov_b32 v11, v19
	v_mov_b32_dpp v12, v19 row_shr:1 row_mask:0xf bank_mask:0xf
	s_delay_alu instid0(VALU_DEP_2)
	v_mov_b32_dpp v9, v10 row_shr:1 row_mask:0xf bank_mask:0xf
	s_and_saveexec_b32 s1, s0
; %bb.81:
	s_delay_alu instid0(VALU_DEP_2) | instskip(SKIP_2) | instid1(VALU_DEP_2)
	v_add_co_u32 v11, vcc_lo, v19, v12
	s_wait_alu 0xfffd
	v_add_co_ci_u32_e64 v10, null, 0, v20, vcc_lo
	v_add_co_u32 v19, vcc_lo, 0, v11
	s_wait_alu 0xfffd
	s_delay_alu instid0(VALU_DEP_2) | instskip(NEXT) | instid1(VALU_DEP_1)
	v_add_co_ci_u32_e64 v20, null, v9, v10, vcc_lo
	v_mov_b32_e32 v10, v20
; %bb.82:
	s_wait_alu 0xfffe
	s_or_b32 exec_lo, exec_lo, s1
	v_mov_b32_dpp v9, v11 row_shr:2 row_mask:0xf bank_mask:0xf
	s_delay_alu instid0(VALU_DEP_2)
	v_mov_b32_dpp v12, v10 row_shr:2 row_mask:0xf bank_mask:0xf
	s_mov_b32 s0, exec_lo
	v_cmpx_lt_u32_e32 1, v34
; %bb.83:
	s_delay_alu instid0(VALU_DEP_3) | instskip(SKIP_2) | instid1(VALU_DEP_2)
	v_add_co_u32 v11, vcc_lo, v19, v9
	s_wait_alu 0xfffd
	v_add_co_ci_u32_e64 v10, null, 0, v20, vcc_lo
	v_add_co_u32 v9, vcc_lo, 0, v11
	s_wait_alu 0xfffd
	s_delay_alu instid0(VALU_DEP_2) | instskip(NEXT) | instid1(VALU_DEP_1)
	v_add_co_ci_u32_e64 v10, null, v12, v10, vcc_lo
	v_dual_mov_b32 v20, v10 :: v_dual_mov_b32 v19, v9
; %bb.84:
	s_wait_alu 0xfffe
	s_or_b32 exec_lo, exec_lo, s0
	v_mov_b32_dpp v9, v11 row_shr:4 row_mask:0xf bank_mask:0xf
	v_mov_b32_dpp v12, v10 row_shr:4 row_mask:0xf bank_mask:0xf
	s_mov_b32 s0, exec_lo
	v_cmpx_lt_u32_e32 3, v34
; %bb.85:
	s_delay_alu instid0(VALU_DEP_3) | instskip(SKIP_2) | instid1(VALU_DEP_2)
	v_add_co_u32 v11, vcc_lo, v19, v9
	s_wait_alu 0xfffd
	v_add_co_ci_u32_e64 v10, null, 0, v20, vcc_lo
	v_add_co_u32 v9, vcc_lo, 0, v11
	s_wait_alu 0xfffd
	s_delay_alu instid0(VALU_DEP_2) | instskip(NEXT) | instid1(VALU_DEP_1)
	v_add_co_ci_u32_e64 v10, null, v12, v10, vcc_lo
	v_dual_mov_b32 v20, v10 :: v_dual_mov_b32 v19, v9
; %bb.86:
	s_wait_alu 0xfffe
	s_or_b32 exec_lo, exec_lo, s0
	v_mov_b32_dpp v12, v11 row_shr:8 row_mask:0xf bank_mask:0xf
	v_mov_b32_dpp v9, v10 row_shr:8 row_mask:0xf bank_mask:0xf
	s_mov_b32 s0, exec_lo
	v_cmpx_lt_u32_e32 7, v34
; %bb.87:
	s_delay_alu instid0(VALU_DEP_3) | instskip(SKIP_2) | instid1(VALU_DEP_2)
	v_add_co_u32 v11, vcc_lo, v19, v12
	s_wait_alu 0xfffd
	v_add_co_ci_u32_e64 v10, null, 0, v20, vcc_lo
	v_add_co_u32 v19, vcc_lo, 0, v11
	s_wait_alu 0xfffd
	s_delay_alu instid0(VALU_DEP_2) | instskip(NEXT) | instid1(VALU_DEP_1)
	v_add_co_ci_u32_e64 v20, null, v9, v10, vcc_lo
	v_mov_b32_e32 v10, v20
; %bb.88:
	s_wait_alu 0xfffe
	s_or_b32 exec_lo, exec_lo, s0
	ds_swizzle_b32 v11, v11 offset:swizzle(BROADCAST,32,15)
	ds_swizzle_b32 v9, v10 offset:swizzle(BROADCAST,32,15)
	v_and_b32_e32 v10, 16, v33
	s_mov_b32 s0, exec_lo
	s_delay_alu instid0(VALU_DEP_1)
	v_cmpx_ne_u32_e32 0, v10
	s_cbranch_execz .LBB1658_90
; %bb.89:
	s_wait_dscnt 0x1
	v_add_co_u32 v10, vcc_lo, v19, v11
	s_wait_alu 0xfffd
	v_add_co_ci_u32_e64 v11, null, 0, v20, vcc_lo
	s_delay_alu instid0(VALU_DEP_2) | instskip(SKIP_2) | instid1(VALU_DEP_2)
	v_add_co_u32 v19, vcc_lo, v10, 0
	s_wait_dscnt 0x0
	s_wait_alu 0xfffd
	v_add_co_ci_u32_e64 v20, null, v11, v9, vcc_lo
.LBB1658_90:
	s_wait_alu 0xfffe
	s_or_b32 exec_lo, exec_lo, s0
	s_wait_dscnt 0x0
	v_or_b32_e32 v9, 31, v0
	v_lshrrev_b32_e32 v11, 5, v0
	s_mov_b32 s0, exec_lo
	s_delay_alu instid0(VALU_DEP_2)
	v_cmpx_eq_u32_e64 v0, v9
; %bb.91:
	s_delay_alu instid0(VALU_DEP_2)
	v_lshlrev_b32_e32 v9, 3, v11
	ds_store_b64 v9, v[19:20]
; %bb.92:
	s_wait_alu 0xfffe
	s_or_b32 exec_lo, exec_lo, s0
	s_delay_alu instid0(SALU_CYCLE_1)
	s_mov_b32 s0, exec_lo
	s_wait_loadcnt_dscnt 0x0
	s_barrier_signal -1
	s_barrier_wait -1
	global_inv scope:SCOPE_SE
	v_cmpx_gt_u32_e32 8, v0
	s_cbranch_execz .LBB1658_100
; %bb.93:
	v_lshlrev_b32_e32 v12, 3, v0
	s_mov_b32 s1, exec_lo
	ds_load_b64 v[9:10], v12
	s_wait_dscnt 0x0
	v_dual_mov_b32 v14, v9 :: v_dual_and_b32 v13, 7, v33
	v_mov_b32_dpp v16, v9 row_shr:1 row_mask:0xf bank_mask:0xf
	v_mov_b32_dpp v15, v10 row_shr:1 row_mask:0xf bank_mask:0xf
	s_delay_alu instid0(VALU_DEP_3)
	v_cmpx_ne_u32_e32 0, v13
; %bb.94:
	s_delay_alu instid0(VALU_DEP_3) | instskip(SKIP_2) | instid1(VALU_DEP_2)
	v_add_co_u32 v14, vcc_lo, v9, v16
	s_wait_alu 0xfffd
	v_add_co_ci_u32_e64 v10, null, 0, v10, vcc_lo
	v_add_co_u32 v9, vcc_lo, 0, v14
	s_wait_alu 0xfffd
	s_delay_alu instid0(VALU_DEP_2)
	v_add_co_ci_u32_e64 v10, null, v15, v10, vcc_lo
; %bb.95:
	s_wait_alu 0xfffe
	s_or_b32 exec_lo, exec_lo, s1
	v_mov_b32_dpp v16, v14 row_shr:2 row_mask:0xf bank_mask:0xf
	s_delay_alu instid0(VALU_DEP_2)
	v_mov_b32_dpp v15, v10 row_shr:2 row_mask:0xf bank_mask:0xf
	s_mov_b32 s1, exec_lo
	v_cmpx_lt_u32_e32 1, v13
; %bb.96:
	s_delay_alu instid0(VALU_DEP_3) | instskip(SKIP_2) | instid1(VALU_DEP_2)
	v_add_co_u32 v14, vcc_lo, v9, v16
	s_wait_alu 0xfffd
	v_add_co_ci_u32_e64 v10, null, 0, v10, vcc_lo
	v_add_co_u32 v9, vcc_lo, 0, v14
	s_wait_alu 0xfffd
	s_delay_alu instid0(VALU_DEP_2)
	v_add_co_ci_u32_e64 v10, null, v15, v10, vcc_lo
; %bb.97:
	s_wait_alu 0xfffe
	s_or_b32 exec_lo, exec_lo, s1
	v_mov_b32_dpp v15, v14 row_shr:4 row_mask:0xf bank_mask:0xf
	s_delay_alu instid0(VALU_DEP_2)
	v_mov_b32_dpp v14, v10 row_shr:4 row_mask:0xf bank_mask:0xf
	s_mov_b32 s1, exec_lo
	v_cmpx_lt_u32_e32 3, v13
; %bb.98:
	s_delay_alu instid0(VALU_DEP_3) | instskip(SKIP_2) | instid1(VALU_DEP_2)
	v_add_co_u32 v9, vcc_lo, v9, v15
	s_wait_alu 0xfffd
	v_add_co_ci_u32_e64 v10, null, 0, v10, vcc_lo
	v_add_co_u32 v9, vcc_lo, v9, 0
	s_wait_alu 0xfffd
	s_delay_alu instid0(VALU_DEP_2)
	v_add_co_ci_u32_e64 v10, null, v10, v14, vcc_lo
; %bb.99:
	s_wait_alu 0xfffe
	s_or_b32 exec_lo, exec_lo, s1
	ds_store_b64 v12, v[9:10]
.LBB1658_100:
	s_wait_alu 0xfffe
	s_or_b32 exec_lo, exec_lo, s0
	v_mov_b32_e32 v13, 0
	v_mov_b32_e32 v14, 0
	s_mov_b32 s0, exec_lo
	s_wait_loadcnt_dscnt 0x0
	s_barrier_signal -1
	s_barrier_wait -1
	global_inv scope:SCOPE_SE
	v_cmpx_lt_u32_e32 31, v0
; %bb.101:
	v_lshl_add_u32 v0, v11, 3, -8
	ds_load_b64 v[13:14], v0
; %bb.102:
	s_wait_alu 0xfffe
	s_or_b32 exec_lo, exec_lo, s0
	v_sub_co_u32 v0, vcc_lo, v33, 1
	s_wait_dscnt 0x0
	v_dual_mov_b32 v12, 0 :: v_dual_add_nc_u32 v9, v13, v19
	s_delay_alu instid0(VALU_DEP_2) | instskip(SKIP_1) | instid1(VALU_DEP_1)
	v_cmp_gt_i32_e64 s0, 0, v0
	s_wait_alu 0xf1ff
	v_cndmask_b32_e64 v0, v0, v33, s0
	s_delay_alu instid0(VALU_DEP_1)
	v_lshlrev_b32_e32 v0, 2, v0
	ds_bpermute_b32 v0, v0, v9
	ds_load_b64 v[9:10], v12 offset:56
	s_and_saveexec_b32 s0, s2
	s_cbranch_execz .LBB1658_104
; %bb.103:
	s_add_nc_u64 s[4:5], s[12:13], 0x200
	s_wait_alu 0xfffe
	v_dual_mov_b32 v11, 2 :: v_dual_mov_b32 v16, s5
	v_mov_b32_e32 v15, s4
	s_wait_dscnt 0x0
	;;#ASMSTART
	global_store_b128 v[15:16], v[9:12] off scope:SCOPE_DEV	
s_wait_storecnt 0x0
	;;#ASMEND
.LBB1658_104:
	s_wait_alu 0xfffe
	s_or_b32 exec_lo, exec_lo, s0
	s_wait_dscnt 0x1
	s_wait_alu 0xfffd
	v_dual_cndmask_b32 v0, v0, v13 :: v_dual_cndmask_b32 v11, 0, v14
	s_wait_loadcnt_dscnt 0x0
	s_barrier_signal -1
	s_barrier_wait -1
	s_delay_alu instid0(VALU_DEP_1)
	v_cndmask_b32_e64 v21, v0, 0, s2
	v_cndmask_b32_e64 v0, v11, 0, s2
	v_mov_b32_e32 v11, 0
	v_mov_b32_e32 v12, 0
	global_inv scope:SCOPE_SE
	v_add_co_u32 v15, vcc_lo, v21, v31
	s_wait_alu 0xfffd
	v_add_co_ci_u32_e64 v0, null, 0, v0, vcc_lo
	s_delay_alu instid0(VALU_DEP_2) | instskip(SKIP_1) | instid1(VALU_DEP_2)
	v_add_co_u32 v14, vcc_lo, v15, v30
	s_wait_alu 0xfffd
	v_add_co_ci_u32_e64 v0, null, 0, v0, vcc_lo
	s_delay_alu instid0(VALU_DEP_2) | instskip(SKIP_1) | instid1(VALU_DEP_2)
	v_add_co_u32 v13, vcc_lo, v14, v32
	s_wait_alu 0xfffd
	v_add_co_ci_u32_e64 v0, null, 0, v0, vcc_lo
.LBB1658_105:
	s_wait_dscnt 0x0
	v_cmp_gt_u64_e32 vcc_lo, 0x101, v[9:10]
	s_cbranch_vccz .LBB1658_108
; %bb.106:
	s_and_b32 s0, s2, s6
	s_wait_alu 0xfffe
	s_and_saveexec_b32 s1, s0
	s_cbranch_execnz .LBB1658_117
.LBB1658_107:
	s_endpgm
.LBB1658_108:
	v_and_b32_e32 v0, 1, v29
	s_mov_b32 s0, exec_lo
	s_delay_alu instid0(VALU_DEP_1)
	v_cmpx_eq_u32_e32 1, v0
; %bb.109:
	v_sub_nc_u32_e32 v0, v21, v11
	s_delay_alu instid0(VALU_DEP_1)
	v_lshlrev_b32_e32 v0, 3, v0
	ds_store_b64 v0, v[1:2]
; %bb.110:
	s_wait_alu 0xfffe
	s_or_b32 exec_lo, exec_lo, s0
	v_and_b32_e32 v0, 1, v28
	s_mov_b32 s0, exec_lo
	s_delay_alu instid0(VALU_DEP_1)
	v_cmpx_eq_u32_e32 1, v0
; %bb.111:
	v_sub_nc_u32_e32 v0, v15, v11
	s_delay_alu instid0(VALU_DEP_1)
	v_lshlrev_b32_e32 v0, 3, v0
	ds_store_b64 v0, v[5:6]
; %bb.112:
	s_wait_alu 0xfffe
	s_or_b32 exec_lo, exec_lo, s0
	;; [unrolled: 12-line block ×3, first 2 shown]
	s_and_saveexec_b32 s0, s7
; %bb.115:
	v_sub_nc_u32_e32 v0, v13, v11
	s_delay_alu instid0(VALU_DEP_1)
	v_lshlrev_b32_e32 v0, 3, v0
	ds_store_b64 v0, v[3:4]
; %bb.116:
	s_wait_alu 0xfffe
	s_or_b32 exec_lo, exec_lo, s0
	s_wait_loadcnt_dscnt 0x0
	s_barrier_signal -1
	s_barrier_wait -1
	global_inv scope:SCOPE_SE
	s_and_b32 s0, s2, s6
	s_wait_alu 0xfffe
	s_and_saveexec_b32 s1, s0
	s_cbranch_execz .LBB1658_107
.LBB1658_117:
	v_add_co_u32 v0, vcc_lo, v9, v17
	s_wait_alu 0xfffd
	v_add_co_ci_u32_e64 v1, null, v10, v18, vcc_lo
	v_mov_b32_e32 v2, 0
	s_delay_alu instid0(VALU_DEP_3) | instskip(SKIP_1) | instid1(VALU_DEP_3)
	v_add_co_u32 v0, vcc_lo, v0, v11
	s_wait_alu 0xfffd
	v_add_co_ci_u32_e64 v1, null, v1, v12, vcc_lo
	global_store_b64 v2, v[0:1], s[8:9]
	s_endpgm
.LBB1658_118:
	v_dual_mov_b32 v21, v1 :: v_dual_lshlrev_b32 v2, 3, v0
	v_dual_mov_b32 v22, v1 :: v_dual_mov_b32 v23, v1
	v_dual_mov_b32 v24, v1 :: v_dual_mov_b32 v25, v1
	s_delay_alu instid0(VALU_DEP_3)
	v_add_co_u32 v2, vcc_lo, v13, v2
	s_wait_alu 0xfffd
	v_add_co_ci_u32_e64 v3, null, 0, v14, vcc_lo
	v_mov_b32_e32 v26, v1
	flat_load_b64 v[19:20], v[2:3]
	s_wait_loadcnt_dscnt 0x0
	v_dual_mov_b32 v1, v19 :: v_dual_mov_b32 v2, v20
	v_dual_mov_b32 v3, v21 :: v_dual_mov_b32 v4, v22
	;; [unrolled: 1-line block ×4, first 2 shown]
	s_or_b32 exec_lo, exec_lo, s0
	s_delay_alu instid0(SALU_CYCLE_1)
	s_mov_b32 s0, exec_lo
	v_cmpx_gt_u32_e64 s11, v12
	s_cbranch_execz .LBB1658_9
.LBB1658_119:
	v_lshlrev_b32_e32 v3, 3, v0
	s_delay_alu instid0(VALU_DEP_1) | instskip(SKIP_4) | instid1(SALU_CYCLE_1)
	v_add_co_u32 v3, vcc_lo, v13, v3
	s_wait_alu 0xfffd
	v_add_co_ci_u32_e64 v4, null, 0, v14, vcc_lo
	flat_load_b64 v[3:4], v[3:4] offset:2048
	s_or_b32 exec_lo, exec_lo, s0
	s_mov_b32 s0, exec_lo
	v_cmpx_gt_u32_e64 s11, v11
	s_cbranch_execz .LBB1658_10
.LBB1658_120:
	v_lshlrev_b32_e32 v5, 3, v0
	s_delay_alu instid0(VALU_DEP_1) | instskip(SKIP_4) | instid1(SALU_CYCLE_1)
	v_add_co_u32 v5, vcc_lo, v13, v5
	s_wait_alu 0xfffd
	v_add_co_ci_u32_e64 v6, null, 0, v14, vcc_lo
	flat_load_b64 v[5:6], v[5:6] offset:4096
	s_or_b32 exec_lo, exec_lo, s0
	s_mov_b32 s0, exec_lo
	v_cmpx_gt_u32_e64 s11, v10
	s_cbranch_execnz .LBB1658_11
	s_branch .LBB1658_12
	.section	.rodata,"a",@progbits
	.p2align	6, 0x0
	.amdhsa_kernel _ZN7rocprim17ROCPRIM_400000_NS6detail17trampoline_kernelINS0_14default_configENS1_25partition_config_selectorILNS1_17partition_subalgoE6EyNS0_10empty_typeEbEEZZNS1_14partition_implILS5_6ELb0ES3_mN6thrust23THRUST_200600_302600_NS6detail15normal_iteratorINSA_10device_ptrIyEEEEPS6_SG_NS0_5tupleIJNSA_16discard_iteratorINSA_11use_defaultEEES6_EEENSH_IJSG_SG_EEES6_PlJNSB_9not_fun_tINSB_14equal_to_valueIyEEEEEEE10hipError_tPvRmT3_T4_T5_T6_T7_T9_mT8_P12ihipStream_tbDpT10_ENKUlT_T0_E_clISt17integral_constantIbLb0EES1A_IbLb1EEEEDaS16_S17_EUlS16_E_NS1_11comp_targetILNS1_3genE10ELNS1_11target_archE1200ELNS1_3gpuE4ELNS1_3repE0EEENS1_30default_config_static_selectorELNS0_4arch9wavefront6targetE0EEEvT1_
		.amdhsa_group_segment_fixed_size 8464
		.amdhsa_private_segment_fixed_size 0
		.amdhsa_kernarg_size 136
		.amdhsa_user_sgpr_count 2
		.amdhsa_user_sgpr_dispatch_ptr 0
		.amdhsa_user_sgpr_queue_ptr 0
		.amdhsa_user_sgpr_kernarg_segment_ptr 1
		.amdhsa_user_sgpr_dispatch_id 0
		.amdhsa_user_sgpr_private_segment_size 0
		.amdhsa_wavefront_size32 1
		.amdhsa_uses_dynamic_stack 0
		.amdhsa_enable_private_segment 0
		.amdhsa_system_sgpr_workgroup_id_x 1
		.amdhsa_system_sgpr_workgroup_id_y 0
		.amdhsa_system_sgpr_workgroup_id_z 0
		.amdhsa_system_sgpr_workgroup_info 0
		.amdhsa_system_vgpr_workitem_id 0
		.amdhsa_next_free_vgpr 47
		.amdhsa_next_free_sgpr 22
		.amdhsa_reserve_vcc 1
		.amdhsa_float_round_mode_32 0
		.amdhsa_float_round_mode_16_64 0
		.amdhsa_float_denorm_mode_32 3
		.amdhsa_float_denorm_mode_16_64 3
		.amdhsa_fp16_overflow 0
		.amdhsa_workgroup_processor_mode 1
		.amdhsa_memory_ordered 1
		.amdhsa_forward_progress 1
		.amdhsa_inst_pref_size 47
		.amdhsa_round_robin_scheduling 0
		.amdhsa_exception_fp_ieee_invalid_op 0
		.amdhsa_exception_fp_denorm_src 0
		.amdhsa_exception_fp_ieee_div_zero 0
		.amdhsa_exception_fp_ieee_overflow 0
		.amdhsa_exception_fp_ieee_underflow 0
		.amdhsa_exception_fp_ieee_inexact 0
		.amdhsa_exception_int_div_zero 0
	.end_amdhsa_kernel
	.section	.text._ZN7rocprim17ROCPRIM_400000_NS6detail17trampoline_kernelINS0_14default_configENS1_25partition_config_selectorILNS1_17partition_subalgoE6EyNS0_10empty_typeEbEEZZNS1_14partition_implILS5_6ELb0ES3_mN6thrust23THRUST_200600_302600_NS6detail15normal_iteratorINSA_10device_ptrIyEEEEPS6_SG_NS0_5tupleIJNSA_16discard_iteratorINSA_11use_defaultEEES6_EEENSH_IJSG_SG_EEES6_PlJNSB_9not_fun_tINSB_14equal_to_valueIyEEEEEEE10hipError_tPvRmT3_T4_T5_T6_T7_T9_mT8_P12ihipStream_tbDpT10_ENKUlT_T0_E_clISt17integral_constantIbLb0EES1A_IbLb1EEEEDaS16_S17_EUlS16_E_NS1_11comp_targetILNS1_3genE10ELNS1_11target_archE1200ELNS1_3gpuE4ELNS1_3repE0EEENS1_30default_config_static_selectorELNS0_4arch9wavefront6targetE0EEEvT1_,"axG",@progbits,_ZN7rocprim17ROCPRIM_400000_NS6detail17trampoline_kernelINS0_14default_configENS1_25partition_config_selectorILNS1_17partition_subalgoE6EyNS0_10empty_typeEbEEZZNS1_14partition_implILS5_6ELb0ES3_mN6thrust23THRUST_200600_302600_NS6detail15normal_iteratorINSA_10device_ptrIyEEEEPS6_SG_NS0_5tupleIJNSA_16discard_iteratorINSA_11use_defaultEEES6_EEENSH_IJSG_SG_EEES6_PlJNSB_9not_fun_tINSB_14equal_to_valueIyEEEEEEE10hipError_tPvRmT3_T4_T5_T6_T7_T9_mT8_P12ihipStream_tbDpT10_ENKUlT_T0_E_clISt17integral_constantIbLb0EES1A_IbLb1EEEEDaS16_S17_EUlS16_E_NS1_11comp_targetILNS1_3genE10ELNS1_11target_archE1200ELNS1_3gpuE4ELNS1_3repE0EEENS1_30default_config_static_selectorELNS0_4arch9wavefront6targetE0EEEvT1_,comdat
.Lfunc_end1658:
	.size	_ZN7rocprim17ROCPRIM_400000_NS6detail17trampoline_kernelINS0_14default_configENS1_25partition_config_selectorILNS1_17partition_subalgoE6EyNS0_10empty_typeEbEEZZNS1_14partition_implILS5_6ELb0ES3_mN6thrust23THRUST_200600_302600_NS6detail15normal_iteratorINSA_10device_ptrIyEEEEPS6_SG_NS0_5tupleIJNSA_16discard_iteratorINSA_11use_defaultEEES6_EEENSH_IJSG_SG_EEES6_PlJNSB_9not_fun_tINSB_14equal_to_valueIyEEEEEEE10hipError_tPvRmT3_T4_T5_T6_T7_T9_mT8_P12ihipStream_tbDpT10_ENKUlT_T0_E_clISt17integral_constantIbLb0EES1A_IbLb1EEEEDaS16_S17_EUlS16_E_NS1_11comp_targetILNS1_3genE10ELNS1_11target_archE1200ELNS1_3gpuE4ELNS1_3repE0EEENS1_30default_config_static_selectorELNS0_4arch9wavefront6targetE0EEEvT1_, .Lfunc_end1658-_ZN7rocprim17ROCPRIM_400000_NS6detail17trampoline_kernelINS0_14default_configENS1_25partition_config_selectorILNS1_17partition_subalgoE6EyNS0_10empty_typeEbEEZZNS1_14partition_implILS5_6ELb0ES3_mN6thrust23THRUST_200600_302600_NS6detail15normal_iteratorINSA_10device_ptrIyEEEEPS6_SG_NS0_5tupleIJNSA_16discard_iteratorINSA_11use_defaultEEES6_EEENSH_IJSG_SG_EEES6_PlJNSB_9not_fun_tINSB_14equal_to_valueIyEEEEEEE10hipError_tPvRmT3_T4_T5_T6_T7_T9_mT8_P12ihipStream_tbDpT10_ENKUlT_T0_E_clISt17integral_constantIbLb0EES1A_IbLb1EEEEDaS16_S17_EUlS16_E_NS1_11comp_targetILNS1_3genE10ELNS1_11target_archE1200ELNS1_3gpuE4ELNS1_3repE0EEENS1_30default_config_static_selectorELNS0_4arch9wavefront6targetE0EEEvT1_
                                        ; -- End function
	.set _ZN7rocprim17ROCPRIM_400000_NS6detail17trampoline_kernelINS0_14default_configENS1_25partition_config_selectorILNS1_17partition_subalgoE6EyNS0_10empty_typeEbEEZZNS1_14partition_implILS5_6ELb0ES3_mN6thrust23THRUST_200600_302600_NS6detail15normal_iteratorINSA_10device_ptrIyEEEEPS6_SG_NS0_5tupleIJNSA_16discard_iteratorINSA_11use_defaultEEES6_EEENSH_IJSG_SG_EEES6_PlJNSB_9not_fun_tINSB_14equal_to_valueIyEEEEEEE10hipError_tPvRmT3_T4_T5_T6_T7_T9_mT8_P12ihipStream_tbDpT10_ENKUlT_T0_E_clISt17integral_constantIbLb0EES1A_IbLb1EEEEDaS16_S17_EUlS16_E_NS1_11comp_targetILNS1_3genE10ELNS1_11target_archE1200ELNS1_3gpuE4ELNS1_3repE0EEENS1_30default_config_static_selectorELNS0_4arch9wavefront6targetE0EEEvT1_.num_vgpr, 47
	.set _ZN7rocprim17ROCPRIM_400000_NS6detail17trampoline_kernelINS0_14default_configENS1_25partition_config_selectorILNS1_17partition_subalgoE6EyNS0_10empty_typeEbEEZZNS1_14partition_implILS5_6ELb0ES3_mN6thrust23THRUST_200600_302600_NS6detail15normal_iteratorINSA_10device_ptrIyEEEEPS6_SG_NS0_5tupleIJNSA_16discard_iteratorINSA_11use_defaultEEES6_EEENSH_IJSG_SG_EEES6_PlJNSB_9not_fun_tINSB_14equal_to_valueIyEEEEEEE10hipError_tPvRmT3_T4_T5_T6_T7_T9_mT8_P12ihipStream_tbDpT10_ENKUlT_T0_E_clISt17integral_constantIbLb0EES1A_IbLb1EEEEDaS16_S17_EUlS16_E_NS1_11comp_targetILNS1_3genE10ELNS1_11target_archE1200ELNS1_3gpuE4ELNS1_3repE0EEENS1_30default_config_static_selectorELNS0_4arch9wavefront6targetE0EEEvT1_.num_agpr, 0
	.set _ZN7rocprim17ROCPRIM_400000_NS6detail17trampoline_kernelINS0_14default_configENS1_25partition_config_selectorILNS1_17partition_subalgoE6EyNS0_10empty_typeEbEEZZNS1_14partition_implILS5_6ELb0ES3_mN6thrust23THRUST_200600_302600_NS6detail15normal_iteratorINSA_10device_ptrIyEEEEPS6_SG_NS0_5tupleIJNSA_16discard_iteratorINSA_11use_defaultEEES6_EEENSH_IJSG_SG_EEES6_PlJNSB_9not_fun_tINSB_14equal_to_valueIyEEEEEEE10hipError_tPvRmT3_T4_T5_T6_T7_T9_mT8_P12ihipStream_tbDpT10_ENKUlT_T0_E_clISt17integral_constantIbLb0EES1A_IbLb1EEEEDaS16_S17_EUlS16_E_NS1_11comp_targetILNS1_3genE10ELNS1_11target_archE1200ELNS1_3gpuE4ELNS1_3repE0EEENS1_30default_config_static_selectorELNS0_4arch9wavefront6targetE0EEEvT1_.numbered_sgpr, 22
	.set _ZN7rocprim17ROCPRIM_400000_NS6detail17trampoline_kernelINS0_14default_configENS1_25partition_config_selectorILNS1_17partition_subalgoE6EyNS0_10empty_typeEbEEZZNS1_14partition_implILS5_6ELb0ES3_mN6thrust23THRUST_200600_302600_NS6detail15normal_iteratorINSA_10device_ptrIyEEEEPS6_SG_NS0_5tupleIJNSA_16discard_iteratorINSA_11use_defaultEEES6_EEENSH_IJSG_SG_EEES6_PlJNSB_9not_fun_tINSB_14equal_to_valueIyEEEEEEE10hipError_tPvRmT3_T4_T5_T6_T7_T9_mT8_P12ihipStream_tbDpT10_ENKUlT_T0_E_clISt17integral_constantIbLb0EES1A_IbLb1EEEEDaS16_S17_EUlS16_E_NS1_11comp_targetILNS1_3genE10ELNS1_11target_archE1200ELNS1_3gpuE4ELNS1_3repE0EEENS1_30default_config_static_selectorELNS0_4arch9wavefront6targetE0EEEvT1_.num_named_barrier, 0
	.set _ZN7rocprim17ROCPRIM_400000_NS6detail17trampoline_kernelINS0_14default_configENS1_25partition_config_selectorILNS1_17partition_subalgoE6EyNS0_10empty_typeEbEEZZNS1_14partition_implILS5_6ELb0ES3_mN6thrust23THRUST_200600_302600_NS6detail15normal_iteratorINSA_10device_ptrIyEEEEPS6_SG_NS0_5tupleIJNSA_16discard_iteratorINSA_11use_defaultEEES6_EEENSH_IJSG_SG_EEES6_PlJNSB_9not_fun_tINSB_14equal_to_valueIyEEEEEEE10hipError_tPvRmT3_T4_T5_T6_T7_T9_mT8_P12ihipStream_tbDpT10_ENKUlT_T0_E_clISt17integral_constantIbLb0EES1A_IbLb1EEEEDaS16_S17_EUlS16_E_NS1_11comp_targetILNS1_3genE10ELNS1_11target_archE1200ELNS1_3gpuE4ELNS1_3repE0EEENS1_30default_config_static_selectorELNS0_4arch9wavefront6targetE0EEEvT1_.private_seg_size, 0
	.set _ZN7rocprim17ROCPRIM_400000_NS6detail17trampoline_kernelINS0_14default_configENS1_25partition_config_selectorILNS1_17partition_subalgoE6EyNS0_10empty_typeEbEEZZNS1_14partition_implILS5_6ELb0ES3_mN6thrust23THRUST_200600_302600_NS6detail15normal_iteratorINSA_10device_ptrIyEEEEPS6_SG_NS0_5tupleIJNSA_16discard_iteratorINSA_11use_defaultEEES6_EEENSH_IJSG_SG_EEES6_PlJNSB_9not_fun_tINSB_14equal_to_valueIyEEEEEEE10hipError_tPvRmT3_T4_T5_T6_T7_T9_mT8_P12ihipStream_tbDpT10_ENKUlT_T0_E_clISt17integral_constantIbLb0EES1A_IbLb1EEEEDaS16_S17_EUlS16_E_NS1_11comp_targetILNS1_3genE10ELNS1_11target_archE1200ELNS1_3gpuE4ELNS1_3repE0EEENS1_30default_config_static_selectorELNS0_4arch9wavefront6targetE0EEEvT1_.uses_vcc, 1
	.set _ZN7rocprim17ROCPRIM_400000_NS6detail17trampoline_kernelINS0_14default_configENS1_25partition_config_selectorILNS1_17partition_subalgoE6EyNS0_10empty_typeEbEEZZNS1_14partition_implILS5_6ELb0ES3_mN6thrust23THRUST_200600_302600_NS6detail15normal_iteratorINSA_10device_ptrIyEEEEPS6_SG_NS0_5tupleIJNSA_16discard_iteratorINSA_11use_defaultEEES6_EEENSH_IJSG_SG_EEES6_PlJNSB_9not_fun_tINSB_14equal_to_valueIyEEEEEEE10hipError_tPvRmT3_T4_T5_T6_T7_T9_mT8_P12ihipStream_tbDpT10_ENKUlT_T0_E_clISt17integral_constantIbLb0EES1A_IbLb1EEEEDaS16_S17_EUlS16_E_NS1_11comp_targetILNS1_3genE10ELNS1_11target_archE1200ELNS1_3gpuE4ELNS1_3repE0EEENS1_30default_config_static_selectorELNS0_4arch9wavefront6targetE0EEEvT1_.uses_flat_scratch, 1
	.set _ZN7rocprim17ROCPRIM_400000_NS6detail17trampoline_kernelINS0_14default_configENS1_25partition_config_selectorILNS1_17partition_subalgoE6EyNS0_10empty_typeEbEEZZNS1_14partition_implILS5_6ELb0ES3_mN6thrust23THRUST_200600_302600_NS6detail15normal_iteratorINSA_10device_ptrIyEEEEPS6_SG_NS0_5tupleIJNSA_16discard_iteratorINSA_11use_defaultEEES6_EEENSH_IJSG_SG_EEES6_PlJNSB_9not_fun_tINSB_14equal_to_valueIyEEEEEEE10hipError_tPvRmT3_T4_T5_T6_T7_T9_mT8_P12ihipStream_tbDpT10_ENKUlT_T0_E_clISt17integral_constantIbLb0EES1A_IbLb1EEEEDaS16_S17_EUlS16_E_NS1_11comp_targetILNS1_3genE10ELNS1_11target_archE1200ELNS1_3gpuE4ELNS1_3repE0EEENS1_30default_config_static_selectorELNS0_4arch9wavefront6targetE0EEEvT1_.has_dyn_sized_stack, 0
	.set _ZN7rocprim17ROCPRIM_400000_NS6detail17trampoline_kernelINS0_14default_configENS1_25partition_config_selectorILNS1_17partition_subalgoE6EyNS0_10empty_typeEbEEZZNS1_14partition_implILS5_6ELb0ES3_mN6thrust23THRUST_200600_302600_NS6detail15normal_iteratorINSA_10device_ptrIyEEEEPS6_SG_NS0_5tupleIJNSA_16discard_iteratorINSA_11use_defaultEEES6_EEENSH_IJSG_SG_EEES6_PlJNSB_9not_fun_tINSB_14equal_to_valueIyEEEEEEE10hipError_tPvRmT3_T4_T5_T6_T7_T9_mT8_P12ihipStream_tbDpT10_ENKUlT_T0_E_clISt17integral_constantIbLb0EES1A_IbLb1EEEEDaS16_S17_EUlS16_E_NS1_11comp_targetILNS1_3genE10ELNS1_11target_archE1200ELNS1_3gpuE4ELNS1_3repE0EEENS1_30default_config_static_selectorELNS0_4arch9wavefront6targetE0EEEvT1_.has_recursion, 0
	.set _ZN7rocprim17ROCPRIM_400000_NS6detail17trampoline_kernelINS0_14default_configENS1_25partition_config_selectorILNS1_17partition_subalgoE6EyNS0_10empty_typeEbEEZZNS1_14partition_implILS5_6ELb0ES3_mN6thrust23THRUST_200600_302600_NS6detail15normal_iteratorINSA_10device_ptrIyEEEEPS6_SG_NS0_5tupleIJNSA_16discard_iteratorINSA_11use_defaultEEES6_EEENSH_IJSG_SG_EEES6_PlJNSB_9not_fun_tINSB_14equal_to_valueIyEEEEEEE10hipError_tPvRmT3_T4_T5_T6_T7_T9_mT8_P12ihipStream_tbDpT10_ENKUlT_T0_E_clISt17integral_constantIbLb0EES1A_IbLb1EEEEDaS16_S17_EUlS16_E_NS1_11comp_targetILNS1_3genE10ELNS1_11target_archE1200ELNS1_3gpuE4ELNS1_3repE0EEENS1_30default_config_static_selectorELNS0_4arch9wavefront6targetE0EEEvT1_.has_indirect_call, 0
	.section	.AMDGPU.csdata,"",@progbits
; Kernel info:
; codeLenInByte = 5920
; TotalNumSgprs: 24
; NumVgprs: 47
; ScratchSize: 0
; MemoryBound: 0
; FloatMode: 240
; IeeeMode: 1
; LDSByteSize: 8464 bytes/workgroup (compile time only)
; SGPRBlocks: 0
; VGPRBlocks: 5
; NumSGPRsForWavesPerEU: 24
; NumVGPRsForWavesPerEU: 47
; Occupancy: 16
; WaveLimiterHint : 1
; COMPUTE_PGM_RSRC2:SCRATCH_EN: 0
; COMPUTE_PGM_RSRC2:USER_SGPR: 2
; COMPUTE_PGM_RSRC2:TRAP_HANDLER: 0
; COMPUTE_PGM_RSRC2:TGID_X_EN: 1
; COMPUTE_PGM_RSRC2:TGID_Y_EN: 0
; COMPUTE_PGM_RSRC2:TGID_Z_EN: 0
; COMPUTE_PGM_RSRC2:TIDIG_COMP_CNT: 0
	.section	.text._ZN7rocprim17ROCPRIM_400000_NS6detail17trampoline_kernelINS0_14default_configENS1_25partition_config_selectorILNS1_17partition_subalgoE6EyNS0_10empty_typeEbEEZZNS1_14partition_implILS5_6ELb0ES3_mN6thrust23THRUST_200600_302600_NS6detail15normal_iteratorINSA_10device_ptrIyEEEEPS6_SG_NS0_5tupleIJNSA_16discard_iteratorINSA_11use_defaultEEES6_EEENSH_IJSG_SG_EEES6_PlJNSB_9not_fun_tINSB_14equal_to_valueIyEEEEEEE10hipError_tPvRmT3_T4_T5_T6_T7_T9_mT8_P12ihipStream_tbDpT10_ENKUlT_T0_E_clISt17integral_constantIbLb0EES1A_IbLb1EEEEDaS16_S17_EUlS16_E_NS1_11comp_targetILNS1_3genE9ELNS1_11target_archE1100ELNS1_3gpuE3ELNS1_3repE0EEENS1_30default_config_static_selectorELNS0_4arch9wavefront6targetE0EEEvT1_,"axG",@progbits,_ZN7rocprim17ROCPRIM_400000_NS6detail17trampoline_kernelINS0_14default_configENS1_25partition_config_selectorILNS1_17partition_subalgoE6EyNS0_10empty_typeEbEEZZNS1_14partition_implILS5_6ELb0ES3_mN6thrust23THRUST_200600_302600_NS6detail15normal_iteratorINSA_10device_ptrIyEEEEPS6_SG_NS0_5tupleIJNSA_16discard_iteratorINSA_11use_defaultEEES6_EEENSH_IJSG_SG_EEES6_PlJNSB_9not_fun_tINSB_14equal_to_valueIyEEEEEEE10hipError_tPvRmT3_T4_T5_T6_T7_T9_mT8_P12ihipStream_tbDpT10_ENKUlT_T0_E_clISt17integral_constantIbLb0EES1A_IbLb1EEEEDaS16_S17_EUlS16_E_NS1_11comp_targetILNS1_3genE9ELNS1_11target_archE1100ELNS1_3gpuE3ELNS1_3repE0EEENS1_30default_config_static_selectorELNS0_4arch9wavefront6targetE0EEEvT1_,comdat
	.protected	_ZN7rocprim17ROCPRIM_400000_NS6detail17trampoline_kernelINS0_14default_configENS1_25partition_config_selectorILNS1_17partition_subalgoE6EyNS0_10empty_typeEbEEZZNS1_14partition_implILS5_6ELb0ES3_mN6thrust23THRUST_200600_302600_NS6detail15normal_iteratorINSA_10device_ptrIyEEEEPS6_SG_NS0_5tupleIJNSA_16discard_iteratorINSA_11use_defaultEEES6_EEENSH_IJSG_SG_EEES6_PlJNSB_9not_fun_tINSB_14equal_to_valueIyEEEEEEE10hipError_tPvRmT3_T4_T5_T6_T7_T9_mT8_P12ihipStream_tbDpT10_ENKUlT_T0_E_clISt17integral_constantIbLb0EES1A_IbLb1EEEEDaS16_S17_EUlS16_E_NS1_11comp_targetILNS1_3genE9ELNS1_11target_archE1100ELNS1_3gpuE3ELNS1_3repE0EEENS1_30default_config_static_selectorELNS0_4arch9wavefront6targetE0EEEvT1_ ; -- Begin function _ZN7rocprim17ROCPRIM_400000_NS6detail17trampoline_kernelINS0_14default_configENS1_25partition_config_selectorILNS1_17partition_subalgoE6EyNS0_10empty_typeEbEEZZNS1_14partition_implILS5_6ELb0ES3_mN6thrust23THRUST_200600_302600_NS6detail15normal_iteratorINSA_10device_ptrIyEEEEPS6_SG_NS0_5tupleIJNSA_16discard_iteratorINSA_11use_defaultEEES6_EEENSH_IJSG_SG_EEES6_PlJNSB_9not_fun_tINSB_14equal_to_valueIyEEEEEEE10hipError_tPvRmT3_T4_T5_T6_T7_T9_mT8_P12ihipStream_tbDpT10_ENKUlT_T0_E_clISt17integral_constantIbLb0EES1A_IbLb1EEEEDaS16_S17_EUlS16_E_NS1_11comp_targetILNS1_3genE9ELNS1_11target_archE1100ELNS1_3gpuE3ELNS1_3repE0EEENS1_30default_config_static_selectorELNS0_4arch9wavefront6targetE0EEEvT1_
	.globl	_ZN7rocprim17ROCPRIM_400000_NS6detail17trampoline_kernelINS0_14default_configENS1_25partition_config_selectorILNS1_17partition_subalgoE6EyNS0_10empty_typeEbEEZZNS1_14partition_implILS5_6ELb0ES3_mN6thrust23THRUST_200600_302600_NS6detail15normal_iteratorINSA_10device_ptrIyEEEEPS6_SG_NS0_5tupleIJNSA_16discard_iteratorINSA_11use_defaultEEES6_EEENSH_IJSG_SG_EEES6_PlJNSB_9not_fun_tINSB_14equal_to_valueIyEEEEEEE10hipError_tPvRmT3_T4_T5_T6_T7_T9_mT8_P12ihipStream_tbDpT10_ENKUlT_T0_E_clISt17integral_constantIbLb0EES1A_IbLb1EEEEDaS16_S17_EUlS16_E_NS1_11comp_targetILNS1_3genE9ELNS1_11target_archE1100ELNS1_3gpuE3ELNS1_3repE0EEENS1_30default_config_static_selectorELNS0_4arch9wavefront6targetE0EEEvT1_
	.p2align	8
	.type	_ZN7rocprim17ROCPRIM_400000_NS6detail17trampoline_kernelINS0_14default_configENS1_25partition_config_selectorILNS1_17partition_subalgoE6EyNS0_10empty_typeEbEEZZNS1_14partition_implILS5_6ELb0ES3_mN6thrust23THRUST_200600_302600_NS6detail15normal_iteratorINSA_10device_ptrIyEEEEPS6_SG_NS0_5tupleIJNSA_16discard_iteratorINSA_11use_defaultEEES6_EEENSH_IJSG_SG_EEES6_PlJNSB_9not_fun_tINSB_14equal_to_valueIyEEEEEEE10hipError_tPvRmT3_T4_T5_T6_T7_T9_mT8_P12ihipStream_tbDpT10_ENKUlT_T0_E_clISt17integral_constantIbLb0EES1A_IbLb1EEEEDaS16_S17_EUlS16_E_NS1_11comp_targetILNS1_3genE9ELNS1_11target_archE1100ELNS1_3gpuE3ELNS1_3repE0EEENS1_30default_config_static_selectorELNS0_4arch9wavefront6targetE0EEEvT1_,@function
_ZN7rocprim17ROCPRIM_400000_NS6detail17trampoline_kernelINS0_14default_configENS1_25partition_config_selectorILNS1_17partition_subalgoE6EyNS0_10empty_typeEbEEZZNS1_14partition_implILS5_6ELb0ES3_mN6thrust23THRUST_200600_302600_NS6detail15normal_iteratorINSA_10device_ptrIyEEEEPS6_SG_NS0_5tupleIJNSA_16discard_iteratorINSA_11use_defaultEEES6_EEENSH_IJSG_SG_EEES6_PlJNSB_9not_fun_tINSB_14equal_to_valueIyEEEEEEE10hipError_tPvRmT3_T4_T5_T6_T7_T9_mT8_P12ihipStream_tbDpT10_ENKUlT_T0_E_clISt17integral_constantIbLb0EES1A_IbLb1EEEEDaS16_S17_EUlS16_E_NS1_11comp_targetILNS1_3genE9ELNS1_11target_archE1100ELNS1_3gpuE3ELNS1_3repE0EEENS1_30default_config_static_selectorELNS0_4arch9wavefront6targetE0EEEvT1_: ; @_ZN7rocprim17ROCPRIM_400000_NS6detail17trampoline_kernelINS0_14default_configENS1_25partition_config_selectorILNS1_17partition_subalgoE6EyNS0_10empty_typeEbEEZZNS1_14partition_implILS5_6ELb0ES3_mN6thrust23THRUST_200600_302600_NS6detail15normal_iteratorINSA_10device_ptrIyEEEEPS6_SG_NS0_5tupleIJNSA_16discard_iteratorINSA_11use_defaultEEES6_EEENSH_IJSG_SG_EEES6_PlJNSB_9not_fun_tINSB_14equal_to_valueIyEEEEEEE10hipError_tPvRmT3_T4_T5_T6_T7_T9_mT8_P12ihipStream_tbDpT10_ENKUlT_T0_E_clISt17integral_constantIbLb0EES1A_IbLb1EEEEDaS16_S17_EUlS16_E_NS1_11comp_targetILNS1_3genE9ELNS1_11target_archE1100ELNS1_3gpuE3ELNS1_3repE0EEENS1_30default_config_static_selectorELNS0_4arch9wavefront6targetE0EEEvT1_
; %bb.0:
	.section	.rodata,"a",@progbits
	.p2align	6, 0x0
	.amdhsa_kernel _ZN7rocprim17ROCPRIM_400000_NS6detail17trampoline_kernelINS0_14default_configENS1_25partition_config_selectorILNS1_17partition_subalgoE6EyNS0_10empty_typeEbEEZZNS1_14partition_implILS5_6ELb0ES3_mN6thrust23THRUST_200600_302600_NS6detail15normal_iteratorINSA_10device_ptrIyEEEEPS6_SG_NS0_5tupleIJNSA_16discard_iteratorINSA_11use_defaultEEES6_EEENSH_IJSG_SG_EEES6_PlJNSB_9not_fun_tINSB_14equal_to_valueIyEEEEEEE10hipError_tPvRmT3_T4_T5_T6_T7_T9_mT8_P12ihipStream_tbDpT10_ENKUlT_T0_E_clISt17integral_constantIbLb0EES1A_IbLb1EEEEDaS16_S17_EUlS16_E_NS1_11comp_targetILNS1_3genE9ELNS1_11target_archE1100ELNS1_3gpuE3ELNS1_3repE0EEENS1_30default_config_static_selectorELNS0_4arch9wavefront6targetE0EEEvT1_
		.amdhsa_group_segment_fixed_size 0
		.amdhsa_private_segment_fixed_size 0
		.amdhsa_kernarg_size 136
		.amdhsa_user_sgpr_count 2
		.amdhsa_user_sgpr_dispatch_ptr 0
		.amdhsa_user_sgpr_queue_ptr 0
		.amdhsa_user_sgpr_kernarg_segment_ptr 1
		.amdhsa_user_sgpr_dispatch_id 0
		.amdhsa_user_sgpr_private_segment_size 0
		.amdhsa_wavefront_size32 1
		.amdhsa_uses_dynamic_stack 0
		.amdhsa_enable_private_segment 0
		.amdhsa_system_sgpr_workgroup_id_x 1
		.amdhsa_system_sgpr_workgroup_id_y 0
		.amdhsa_system_sgpr_workgroup_id_z 0
		.amdhsa_system_sgpr_workgroup_info 0
		.amdhsa_system_vgpr_workitem_id 0
		.amdhsa_next_free_vgpr 1
		.amdhsa_next_free_sgpr 1
		.amdhsa_reserve_vcc 0
		.amdhsa_float_round_mode_32 0
		.amdhsa_float_round_mode_16_64 0
		.amdhsa_float_denorm_mode_32 3
		.amdhsa_float_denorm_mode_16_64 3
		.amdhsa_fp16_overflow 0
		.amdhsa_workgroup_processor_mode 1
		.amdhsa_memory_ordered 1
		.amdhsa_forward_progress 1
		.amdhsa_inst_pref_size 0
		.amdhsa_round_robin_scheduling 0
		.amdhsa_exception_fp_ieee_invalid_op 0
		.amdhsa_exception_fp_denorm_src 0
		.amdhsa_exception_fp_ieee_div_zero 0
		.amdhsa_exception_fp_ieee_overflow 0
		.amdhsa_exception_fp_ieee_underflow 0
		.amdhsa_exception_fp_ieee_inexact 0
		.amdhsa_exception_int_div_zero 0
	.end_amdhsa_kernel
	.section	.text._ZN7rocprim17ROCPRIM_400000_NS6detail17trampoline_kernelINS0_14default_configENS1_25partition_config_selectorILNS1_17partition_subalgoE6EyNS0_10empty_typeEbEEZZNS1_14partition_implILS5_6ELb0ES3_mN6thrust23THRUST_200600_302600_NS6detail15normal_iteratorINSA_10device_ptrIyEEEEPS6_SG_NS0_5tupleIJNSA_16discard_iteratorINSA_11use_defaultEEES6_EEENSH_IJSG_SG_EEES6_PlJNSB_9not_fun_tINSB_14equal_to_valueIyEEEEEEE10hipError_tPvRmT3_T4_T5_T6_T7_T9_mT8_P12ihipStream_tbDpT10_ENKUlT_T0_E_clISt17integral_constantIbLb0EES1A_IbLb1EEEEDaS16_S17_EUlS16_E_NS1_11comp_targetILNS1_3genE9ELNS1_11target_archE1100ELNS1_3gpuE3ELNS1_3repE0EEENS1_30default_config_static_selectorELNS0_4arch9wavefront6targetE0EEEvT1_,"axG",@progbits,_ZN7rocprim17ROCPRIM_400000_NS6detail17trampoline_kernelINS0_14default_configENS1_25partition_config_selectorILNS1_17partition_subalgoE6EyNS0_10empty_typeEbEEZZNS1_14partition_implILS5_6ELb0ES3_mN6thrust23THRUST_200600_302600_NS6detail15normal_iteratorINSA_10device_ptrIyEEEEPS6_SG_NS0_5tupleIJNSA_16discard_iteratorINSA_11use_defaultEEES6_EEENSH_IJSG_SG_EEES6_PlJNSB_9not_fun_tINSB_14equal_to_valueIyEEEEEEE10hipError_tPvRmT3_T4_T5_T6_T7_T9_mT8_P12ihipStream_tbDpT10_ENKUlT_T0_E_clISt17integral_constantIbLb0EES1A_IbLb1EEEEDaS16_S17_EUlS16_E_NS1_11comp_targetILNS1_3genE9ELNS1_11target_archE1100ELNS1_3gpuE3ELNS1_3repE0EEENS1_30default_config_static_selectorELNS0_4arch9wavefront6targetE0EEEvT1_,comdat
.Lfunc_end1659:
	.size	_ZN7rocprim17ROCPRIM_400000_NS6detail17trampoline_kernelINS0_14default_configENS1_25partition_config_selectorILNS1_17partition_subalgoE6EyNS0_10empty_typeEbEEZZNS1_14partition_implILS5_6ELb0ES3_mN6thrust23THRUST_200600_302600_NS6detail15normal_iteratorINSA_10device_ptrIyEEEEPS6_SG_NS0_5tupleIJNSA_16discard_iteratorINSA_11use_defaultEEES6_EEENSH_IJSG_SG_EEES6_PlJNSB_9not_fun_tINSB_14equal_to_valueIyEEEEEEE10hipError_tPvRmT3_T4_T5_T6_T7_T9_mT8_P12ihipStream_tbDpT10_ENKUlT_T0_E_clISt17integral_constantIbLb0EES1A_IbLb1EEEEDaS16_S17_EUlS16_E_NS1_11comp_targetILNS1_3genE9ELNS1_11target_archE1100ELNS1_3gpuE3ELNS1_3repE0EEENS1_30default_config_static_selectorELNS0_4arch9wavefront6targetE0EEEvT1_, .Lfunc_end1659-_ZN7rocprim17ROCPRIM_400000_NS6detail17trampoline_kernelINS0_14default_configENS1_25partition_config_selectorILNS1_17partition_subalgoE6EyNS0_10empty_typeEbEEZZNS1_14partition_implILS5_6ELb0ES3_mN6thrust23THRUST_200600_302600_NS6detail15normal_iteratorINSA_10device_ptrIyEEEEPS6_SG_NS0_5tupleIJNSA_16discard_iteratorINSA_11use_defaultEEES6_EEENSH_IJSG_SG_EEES6_PlJNSB_9not_fun_tINSB_14equal_to_valueIyEEEEEEE10hipError_tPvRmT3_T4_T5_T6_T7_T9_mT8_P12ihipStream_tbDpT10_ENKUlT_T0_E_clISt17integral_constantIbLb0EES1A_IbLb1EEEEDaS16_S17_EUlS16_E_NS1_11comp_targetILNS1_3genE9ELNS1_11target_archE1100ELNS1_3gpuE3ELNS1_3repE0EEENS1_30default_config_static_selectorELNS0_4arch9wavefront6targetE0EEEvT1_
                                        ; -- End function
	.set _ZN7rocprim17ROCPRIM_400000_NS6detail17trampoline_kernelINS0_14default_configENS1_25partition_config_selectorILNS1_17partition_subalgoE6EyNS0_10empty_typeEbEEZZNS1_14partition_implILS5_6ELb0ES3_mN6thrust23THRUST_200600_302600_NS6detail15normal_iteratorINSA_10device_ptrIyEEEEPS6_SG_NS0_5tupleIJNSA_16discard_iteratorINSA_11use_defaultEEES6_EEENSH_IJSG_SG_EEES6_PlJNSB_9not_fun_tINSB_14equal_to_valueIyEEEEEEE10hipError_tPvRmT3_T4_T5_T6_T7_T9_mT8_P12ihipStream_tbDpT10_ENKUlT_T0_E_clISt17integral_constantIbLb0EES1A_IbLb1EEEEDaS16_S17_EUlS16_E_NS1_11comp_targetILNS1_3genE9ELNS1_11target_archE1100ELNS1_3gpuE3ELNS1_3repE0EEENS1_30default_config_static_selectorELNS0_4arch9wavefront6targetE0EEEvT1_.num_vgpr, 0
	.set _ZN7rocprim17ROCPRIM_400000_NS6detail17trampoline_kernelINS0_14default_configENS1_25partition_config_selectorILNS1_17partition_subalgoE6EyNS0_10empty_typeEbEEZZNS1_14partition_implILS5_6ELb0ES3_mN6thrust23THRUST_200600_302600_NS6detail15normal_iteratorINSA_10device_ptrIyEEEEPS6_SG_NS0_5tupleIJNSA_16discard_iteratorINSA_11use_defaultEEES6_EEENSH_IJSG_SG_EEES6_PlJNSB_9not_fun_tINSB_14equal_to_valueIyEEEEEEE10hipError_tPvRmT3_T4_T5_T6_T7_T9_mT8_P12ihipStream_tbDpT10_ENKUlT_T0_E_clISt17integral_constantIbLb0EES1A_IbLb1EEEEDaS16_S17_EUlS16_E_NS1_11comp_targetILNS1_3genE9ELNS1_11target_archE1100ELNS1_3gpuE3ELNS1_3repE0EEENS1_30default_config_static_selectorELNS0_4arch9wavefront6targetE0EEEvT1_.num_agpr, 0
	.set _ZN7rocprim17ROCPRIM_400000_NS6detail17trampoline_kernelINS0_14default_configENS1_25partition_config_selectorILNS1_17partition_subalgoE6EyNS0_10empty_typeEbEEZZNS1_14partition_implILS5_6ELb0ES3_mN6thrust23THRUST_200600_302600_NS6detail15normal_iteratorINSA_10device_ptrIyEEEEPS6_SG_NS0_5tupleIJNSA_16discard_iteratorINSA_11use_defaultEEES6_EEENSH_IJSG_SG_EEES6_PlJNSB_9not_fun_tINSB_14equal_to_valueIyEEEEEEE10hipError_tPvRmT3_T4_T5_T6_T7_T9_mT8_P12ihipStream_tbDpT10_ENKUlT_T0_E_clISt17integral_constantIbLb0EES1A_IbLb1EEEEDaS16_S17_EUlS16_E_NS1_11comp_targetILNS1_3genE9ELNS1_11target_archE1100ELNS1_3gpuE3ELNS1_3repE0EEENS1_30default_config_static_selectorELNS0_4arch9wavefront6targetE0EEEvT1_.numbered_sgpr, 0
	.set _ZN7rocprim17ROCPRIM_400000_NS6detail17trampoline_kernelINS0_14default_configENS1_25partition_config_selectorILNS1_17partition_subalgoE6EyNS0_10empty_typeEbEEZZNS1_14partition_implILS5_6ELb0ES3_mN6thrust23THRUST_200600_302600_NS6detail15normal_iteratorINSA_10device_ptrIyEEEEPS6_SG_NS0_5tupleIJNSA_16discard_iteratorINSA_11use_defaultEEES6_EEENSH_IJSG_SG_EEES6_PlJNSB_9not_fun_tINSB_14equal_to_valueIyEEEEEEE10hipError_tPvRmT3_T4_T5_T6_T7_T9_mT8_P12ihipStream_tbDpT10_ENKUlT_T0_E_clISt17integral_constantIbLb0EES1A_IbLb1EEEEDaS16_S17_EUlS16_E_NS1_11comp_targetILNS1_3genE9ELNS1_11target_archE1100ELNS1_3gpuE3ELNS1_3repE0EEENS1_30default_config_static_selectorELNS0_4arch9wavefront6targetE0EEEvT1_.num_named_barrier, 0
	.set _ZN7rocprim17ROCPRIM_400000_NS6detail17trampoline_kernelINS0_14default_configENS1_25partition_config_selectorILNS1_17partition_subalgoE6EyNS0_10empty_typeEbEEZZNS1_14partition_implILS5_6ELb0ES3_mN6thrust23THRUST_200600_302600_NS6detail15normal_iteratorINSA_10device_ptrIyEEEEPS6_SG_NS0_5tupleIJNSA_16discard_iteratorINSA_11use_defaultEEES6_EEENSH_IJSG_SG_EEES6_PlJNSB_9not_fun_tINSB_14equal_to_valueIyEEEEEEE10hipError_tPvRmT3_T4_T5_T6_T7_T9_mT8_P12ihipStream_tbDpT10_ENKUlT_T0_E_clISt17integral_constantIbLb0EES1A_IbLb1EEEEDaS16_S17_EUlS16_E_NS1_11comp_targetILNS1_3genE9ELNS1_11target_archE1100ELNS1_3gpuE3ELNS1_3repE0EEENS1_30default_config_static_selectorELNS0_4arch9wavefront6targetE0EEEvT1_.private_seg_size, 0
	.set _ZN7rocprim17ROCPRIM_400000_NS6detail17trampoline_kernelINS0_14default_configENS1_25partition_config_selectorILNS1_17partition_subalgoE6EyNS0_10empty_typeEbEEZZNS1_14partition_implILS5_6ELb0ES3_mN6thrust23THRUST_200600_302600_NS6detail15normal_iteratorINSA_10device_ptrIyEEEEPS6_SG_NS0_5tupleIJNSA_16discard_iteratorINSA_11use_defaultEEES6_EEENSH_IJSG_SG_EEES6_PlJNSB_9not_fun_tINSB_14equal_to_valueIyEEEEEEE10hipError_tPvRmT3_T4_T5_T6_T7_T9_mT8_P12ihipStream_tbDpT10_ENKUlT_T0_E_clISt17integral_constantIbLb0EES1A_IbLb1EEEEDaS16_S17_EUlS16_E_NS1_11comp_targetILNS1_3genE9ELNS1_11target_archE1100ELNS1_3gpuE3ELNS1_3repE0EEENS1_30default_config_static_selectorELNS0_4arch9wavefront6targetE0EEEvT1_.uses_vcc, 0
	.set _ZN7rocprim17ROCPRIM_400000_NS6detail17trampoline_kernelINS0_14default_configENS1_25partition_config_selectorILNS1_17partition_subalgoE6EyNS0_10empty_typeEbEEZZNS1_14partition_implILS5_6ELb0ES3_mN6thrust23THRUST_200600_302600_NS6detail15normal_iteratorINSA_10device_ptrIyEEEEPS6_SG_NS0_5tupleIJNSA_16discard_iteratorINSA_11use_defaultEEES6_EEENSH_IJSG_SG_EEES6_PlJNSB_9not_fun_tINSB_14equal_to_valueIyEEEEEEE10hipError_tPvRmT3_T4_T5_T6_T7_T9_mT8_P12ihipStream_tbDpT10_ENKUlT_T0_E_clISt17integral_constantIbLb0EES1A_IbLb1EEEEDaS16_S17_EUlS16_E_NS1_11comp_targetILNS1_3genE9ELNS1_11target_archE1100ELNS1_3gpuE3ELNS1_3repE0EEENS1_30default_config_static_selectorELNS0_4arch9wavefront6targetE0EEEvT1_.uses_flat_scratch, 0
	.set _ZN7rocprim17ROCPRIM_400000_NS6detail17trampoline_kernelINS0_14default_configENS1_25partition_config_selectorILNS1_17partition_subalgoE6EyNS0_10empty_typeEbEEZZNS1_14partition_implILS5_6ELb0ES3_mN6thrust23THRUST_200600_302600_NS6detail15normal_iteratorINSA_10device_ptrIyEEEEPS6_SG_NS0_5tupleIJNSA_16discard_iteratorINSA_11use_defaultEEES6_EEENSH_IJSG_SG_EEES6_PlJNSB_9not_fun_tINSB_14equal_to_valueIyEEEEEEE10hipError_tPvRmT3_T4_T5_T6_T7_T9_mT8_P12ihipStream_tbDpT10_ENKUlT_T0_E_clISt17integral_constantIbLb0EES1A_IbLb1EEEEDaS16_S17_EUlS16_E_NS1_11comp_targetILNS1_3genE9ELNS1_11target_archE1100ELNS1_3gpuE3ELNS1_3repE0EEENS1_30default_config_static_selectorELNS0_4arch9wavefront6targetE0EEEvT1_.has_dyn_sized_stack, 0
	.set _ZN7rocprim17ROCPRIM_400000_NS6detail17trampoline_kernelINS0_14default_configENS1_25partition_config_selectorILNS1_17partition_subalgoE6EyNS0_10empty_typeEbEEZZNS1_14partition_implILS5_6ELb0ES3_mN6thrust23THRUST_200600_302600_NS6detail15normal_iteratorINSA_10device_ptrIyEEEEPS6_SG_NS0_5tupleIJNSA_16discard_iteratorINSA_11use_defaultEEES6_EEENSH_IJSG_SG_EEES6_PlJNSB_9not_fun_tINSB_14equal_to_valueIyEEEEEEE10hipError_tPvRmT3_T4_T5_T6_T7_T9_mT8_P12ihipStream_tbDpT10_ENKUlT_T0_E_clISt17integral_constantIbLb0EES1A_IbLb1EEEEDaS16_S17_EUlS16_E_NS1_11comp_targetILNS1_3genE9ELNS1_11target_archE1100ELNS1_3gpuE3ELNS1_3repE0EEENS1_30default_config_static_selectorELNS0_4arch9wavefront6targetE0EEEvT1_.has_recursion, 0
	.set _ZN7rocprim17ROCPRIM_400000_NS6detail17trampoline_kernelINS0_14default_configENS1_25partition_config_selectorILNS1_17partition_subalgoE6EyNS0_10empty_typeEbEEZZNS1_14partition_implILS5_6ELb0ES3_mN6thrust23THRUST_200600_302600_NS6detail15normal_iteratorINSA_10device_ptrIyEEEEPS6_SG_NS0_5tupleIJNSA_16discard_iteratorINSA_11use_defaultEEES6_EEENSH_IJSG_SG_EEES6_PlJNSB_9not_fun_tINSB_14equal_to_valueIyEEEEEEE10hipError_tPvRmT3_T4_T5_T6_T7_T9_mT8_P12ihipStream_tbDpT10_ENKUlT_T0_E_clISt17integral_constantIbLb0EES1A_IbLb1EEEEDaS16_S17_EUlS16_E_NS1_11comp_targetILNS1_3genE9ELNS1_11target_archE1100ELNS1_3gpuE3ELNS1_3repE0EEENS1_30default_config_static_selectorELNS0_4arch9wavefront6targetE0EEEvT1_.has_indirect_call, 0
	.section	.AMDGPU.csdata,"",@progbits
; Kernel info:
; codeLenInByte = 0
; TotalNumSgprs: 0
; NumVgprs: 0
; ScratchSize: 0
; MemoryBound: 0
; FloatMode: 240
; IeeeMode: 1
; LDSByteSize: 0 bytes/workgroup (compile time only)
; SGPRBlocks: 0
; VGPRBlocks: 0
; NumSGPRsForWavesPerEU: 1
; NumVGPRsForWavesPerEU: 1
; Occupancy: 16
; WaveLimiterHint : 0
; COMPUTE_PGM_RSRC2:SCRATCH_EN: 0
; COMPUTE_PGM_RSRC2:USER_SGPR: 2
; COMPUTE_PGM_RSRC2:TRAP_HANDLER: 0
; COMPUTE_PGM_RSRC2:TGID_X_EN: 1
; COMPUTE_PGM_RSRC2:TGID_Y_EN: 0
; COMPUTE_PGM_RSRC2:TGID_Z_EN: 0
; COMPUTE_PGM_RSRC2:TIDIG_COMP_CNT: 0
	.section	.text._ZN7rocprim17ROCPRIM_400000_NS6detail17trampoline_kernelINS0_14default_configENS1_25partition_config_selectorILNS1_17partition_subalgoE6EyNS0_10empty_typeEbEEZZNS1_14partition_implILS5_6ELb0ES3_mN6thrust23THRUST_200600_302600_NS6detail15normal_iteratorINSA_10device_ptrIyEEEEPS6_SG_NS0_5tupleIJNSA_16discard_iteratorINSA_11use_defaultEEES6_EEENSH_IJSG_SG_EEES6_PlJNSB_9not_fun_tINSB_14equal_to_valueIyEEEEEEE10hipError_tPvRmT3_T4_T5_T6_T7_T9_mT8_P12ihipStream_tbDpT10_ENKUlT_T0_E_clISt17integral_constantIbLb0EES1A_IbLb1EEEEDaS16_S17_EUlS16_E_NS1_11comp_targetILNS1_3genE8ELNS1_11target_archE1030ELNS1_3gpuE2ELNS1_3repE0EEENS1_30default_config_static_selectorELNS0_4arch9wavefront6targetE0EEEvT1_,"axG",@progbits,_ZN7rocprim17ROCPRIM_400000_NS6detail17trampoline_kernelINS0_14default_configENS1_25partition_config_selectorILNS1_17partition_subalgoE6EyNS0_10empty_typeEbEEZZNS1_14partition_implILS5_6ELb0ES3_mN6thrust23THRUST_200600_302600_NS6detail15normal_iteratorINSA_10device_ptrIyEEEEPS6_SG_NS0_5tupleIJNSA_16discard_iteratorINSA_11use_defaultEEES6_EEENSH_IJSG_SG_EEES6_PlJNSB_9not_fun_tINSB_14equal_to_valueIyEEEEEEE10hipError_tPvRmT3_T4_T5_T6_T7_T9_mT8_P12ihipStream_tbDpT10_ENKUlT_T0_E_clISt17integral_constantIbLb0EES1A_IbLb1EEEEDaS16_S17_EUlS16_E_NS1_11comp_targetILNS1_3genE8ELNS1_11target_archE1030ELNS1_3gpuE2ELNS1_3repE0EEENS1_30default_config_static_selectorELNS0_4arch9wavefront6targetE0EEEvT1_,comdat
	.protected	_ZN7rocprim17ROCPRIM_400000_NS6detail17trampoline_kernelINS0_14default_configENS1_25partition_config_selectorILNS1_17partition_subalgoE6EyNS0_10empty_typeEbEEZZNS1_14partition_implILS5_6ELb0ES3_mN6thrust23THRUST_200600_302600_NS6detail15normal_iteratorINSA_10device_ptrIyEEEEPS6_SG_NS0_5tupleIJNSA_16discard_iteratorINSA_11use_defaultEEES6_EEENSH_IJSG_SG_EEES6_PlJNSB_9not_fun_tINSB_14equal_to_valueIyEEEEEEE10hipError_tPvRmT3_T4_T5_T6_T7_T9_mT8_P12ihipStream_tbDpT10_ENKUlT_T0_E_clISt17integral_constantIbLb0EES1A_IbLb1EEEEDaS16_S17_EUlS16_E_NS1_11comp_targetILNS1_3genE8ELNS1_11target_archE1030ELNS1_3gpuE2ELNS1_3repE0EEENS1_30default_config_static_selectorELNS0_4arch9wavefront6targetE0EEEvT1_ ; -- Begin function _ZN7rocprim17ROCPRIM_400000_NS6detail17trampoline_kernelINS0_14default_configENS1_25partition_config_selectorILNS1_17partition_subalgoE6EyNS0_10empty_typeEbEEZZNS1_14partition_implILS5_6ELb0ES3_mN6thrust23THRUST_200600_302600_NS6detail15normal_iteratorINSA_10device_ptrIyEEEEPS6_SG_NS0_5tupleIJNSA_16discard_iteratorINSA_11use_defaultEEES6_EEENSH_IJSG_SG_EEES6_PlJNSB_9not_fun_tINSB_14equal_to_valueIyEEEEEEE10hipError_tPvRmT3_T4_T5_T6_T7_T9_mT8_P12ihipStream_tbDpT10_ENKUlT_T0_E_clISt17integral_constantIbLb0EES1A_IbLb1EEEEDaS16_S17_EUlS16_E_NS1_11comp_targetILNS1_3genE8ELNS1_11target_archE1030ELNS1_3gpuE2ELNS1_3repE0EEENS1_30default_config_static_selectorELNS0_4arch9wavefront6targetE0EEEvT1_
	.globl	_ZN7rocprim17ROCPRIM_400000_NS6detail17trampoline_kernelINS0_14default_configENS1_25partition_config_selectorILNS1_17partition_subalgoE6EyNS0_10empty_typeEbEEZZNS1_14partition_implILS5_6ELb0ES3_mN6thrust23THRUST_200600_302600_NS6detail15normal_iteratorINSA_10device_ptrIyEEEEPS6_SG_NS0_5tupleIJNSA_16discard_iteratorINSA_11use_defaultEEES6_EEENSH_IJSG_SG_EEES6_PlJNSB_9not_fun_tINSB_14equal_to_valueIyEEEEEEE10hipError_tPvRmT3_T4_T5_T6_T7_T9_mT8_P12ihipStream_tbDpT10_ENKUlT_T0_E_clISt17integral_constantIbLb0EES1A_IbLb1EEEEDaS16_S17_EUlS16_E_NS1_11comp_targetILNS1_3genE8ELNS1_11target_archE1030ELNS1_3gpuE2ELNS1_3repE0EEENS1_30default_config_static_selectorELNS0_4arch9wavefront6targetE0EEEvT1_
	.p2align	8
	.type	_ZN7rocprim17ROCPRIM_400000_NS6detail17trampoline_kernelINS0_14default_configENS1_25partition_config_selectorILNS1_17partition_subalgoE6EyNS0_10empty_typeEbEEZZNS1_14partition_implILS5_6ELb0ES3_mN6thrust23THRUST_200600_302600_NS6detail15normal_iteratorINSA_10device_ptrIyEEEEPS6_SG_NS0_5tupleIJNSA_16discard_iteratorINSA_11use_defaultEEES6_EEENSH_IJSG_SG_EEES6_PlJNSB_9not_fun_tINSB_14equal_to_valueIyEEEEEEE10hipError_tPvRmT3_T4_T5_T6_T7_T9_mT8_P12ihipStream_tbDpT10_ENKUlT_T0_E_clISt17integral_constantIbLb0EES1A_IbLb1EEEEDaS16_S17_EUlS16_E_NS1_11comp_targetILNS1_3genE8ELNS1_11target_archE1030ELNS1_3gpuE2ELNS1_3repE0EEENS1_30default_config_static_selectorELNS0_4arch9wavefront6targetE0EEEvT1_,@function
_ZN7rocprim17ROCPRIM_400000_NS6detail17trampoline_kernelINS0_14default_configENS1_25partition_config_selectorILNS1_17partition_subalgoE6EyNS0_10empty_typeEbEEZZNS1_14partition_implILS5_6ELb0ES3_mN6thrust23THRUST_200600_302600_NS6detail15normal_iteratorINSA_10device_ptrIyEEEEPS6_SG_NS0_5tupleIJNSA_16discard_iteratorINSA_11use_defaultEEES6_EEENSH_IJSG_SG_EEES6_PlJNSB_9not_fun_tINSB_14equal_to_valueIyEEEEEEE10hipError_tPvRmT3_T4_T5_T6_T7_T9_mT8_P12ihipStream_tbDpT10_ENKUlT_T0_E_clISt17integral_constantIbLb0EES1A_IbLb1EEEEDaS16_S17_EUlS16_E_NS1_11comp_targetILNS1_3genE8ELNS1_11target_archE1030ELNS1_3gpuE2ELNS1_3repE0EEENS1_30default_config_static_selectorELNS0_4arch9wavefront6targetE0EEEvT1_: ; @_ZN7rocprim17ROCPRIM_400000_NS6detail17trampoline_kernelINS0_14default_configENS1_25partition_config_selectorILNS1_17partition_subalgoE6EyNS0_10empty_typeEbEEZZNS1_14partition_implILS5_6ELb0ES3_mN6thrust23THRUST_200600_302600_NS6detail15normal_iteratorINSA_10device_ptrIyEEEEPS6_SG_NS0_5tupleIJNSA_16discard_iteratorINSA_11use_defaultEEES6_EEENSH_IJSG_SG_EEES6_PlJNSB_9not_fun_tINSB_14equal_to_valueIyEEEEEEE10hipError_tPvRmT3_T4_T5_T6_T7_T9_mT8_P12ihipStream_tbDpT10_ENKUlT_T0_E_clISt17integral_constantIbLb0EES1A_IbLb1EEEEDaS16_S17_EUlS16_E_NS1_11comp_targetILNS1_3genE8ELNS1_11target_archE1030ELNS1_3gpuE2ELNS1_3repE0EEENS1_30default_config_static_selectorELNS0_4arch9wavefront6targetE0EEEvT1_
; %bb.0:
	.section	.rodata,"a",@progbits
	.p2align	6, 0x0
	.amdhsa_kernel _ZN7rocprim17ROCPRIM_400000_NS6detail17trampoline_kernelINS0_14default_configENS1_25partition_config_selectorILNS1_17partition_subalgoE6EyNS0_10empty_typeEbEEZZNS1_14partition_implILS5_6ELb0ES3_mN6thrust23THRUST_200600_302600_NS6detail15normal_iteratorINSA_10device_ptrIyEEEEPS6_SG_NS0_5tupleIJNSA_16discard_iteratorINSA_11use_defaultEEES6_EEENSH_IJSG_SG_EEES6_PlJNSB_9not_fun_tINSB_14equal_to_valueIyEEEEEEE10hipError_tPvRmT3_T4_T5_T6_T7_T9_mT8_P12ihipStream_tbDpT10_ENKUlT_T0_E_clISt17integral_constantIbLb0EES1A_IbLb1EEEEDaS16_S17_EUlS16_E_NS1_11comp_targetILNS1_3genE8ELNS1_11target_archE1030ELNS1_3gpuE2ELNS1_3repE0EEENS1_30default_config_static_selectorELNS0_4arch9wavefront6targetE0EEEvT1_
		.amdhsa_group_segment_fixed_size 0
		.amdhsa_private_segment_fixed_size 0
		.amdhsa_kernarg_size 136
		.amdhsa_user_sgpr_count 2
		.amdhsa_user_sgpr_dispatch_ptr 0
		.amdhsa_user_sgpr_queue_ptr 0
		.amdhsa_user_sgpr_kernarg_segment_ptr 1
		.amdhsa_user_sgpr_dispatch_id 0
		.amdhsa_user_sgpr_private_segment_size 0
		.amdhsa_wavefront_size32 1
		.amdhsa_uses_dynamic_stack 0
		.amdhsa_enable_private_segment 0
		.amdhsa_system_sgpr_workgroup_id_x 1
		.amdhsa_system_sgpr_workgroup_id_y 0
		.amdhsa_system_sgpr_workgroup_id_z 0
		.amdhsa_system_sgpr_workgroup_info 0
		.amdhsa_system_vgpr_workitem_id 0
		.amdhsa_next_free_vgpr 1
		.amdhsa_next_free_sgpr 1
		.amdhsa_reserve_vcc 0
		.amdhsa_float_round_mode_32 0
		.amdhsa_float_round_mode_16_64 0
		.amdhsa_float_denorm_mode_32 3
		.amdhsa_float_denorm_mode_16_64 3
		.amdhsa_fp16_overflow 0
		.amdhsa_workgroup_processor_mode 1
		.amdhsa_memory_ordered 1
		.amdhsa_forward_progress 1
		.amdhsa_inst_pref_size 0
		.amdhsa_round_robin_scheduling 0
		.amdhsa_exception_fp_ieee_invalid_op 0
		.amdhsa_exception_fp_denorm_src 0
		.amdhsa_exception_fp_ieee_div_zero 0
		.amdhsa_exception_fp_ieee_overflow 0
		.amdhsa_exception_fp_ieee_underflow 0
		.amdhsa_exception_fp_ieee_inexact 0
		.amdhsa_exception_int_div_zero 0
	.end_amdhsa_kernel
	.section	.text._ZN7rocprim17ROCPRIM_400000_NS6detail17trampoline_kernelINS0_14default_configENS1_25partition_config_selectorILNS1_17partition_subalgoE6EyNS0_10empty_typeEbEEZZNS1_14partition_implILS5_6ELb0ES3_mN6thrust23THRUST_200600_302600_NS6detail15normal_iteratorINSA_10device_ptrIyEEEEPS6_SG_NS0_5tupleIJNSA_16discard_iteratorINSA_11use_defaultEEES6_EEENSH_IJSG_SG_EEES6_PlJNSB_9not_fun_tINSB_14equal_to_valueIyEEEEEEE10hipError_tPvRmT3_T4_T5_T6_T7_T9_mT8_P12ihipStream_tbDpT10_ENKUlT_T0_E_clISt17integral_constantIbLb0EES1A_IbLb1EEEEDaS16_S17_EUlS16_E_NS1_11comp_targetILNS1_3genE8ELNS1_11target_archE1030ELNS1_3gpuE2ELNS1_3repE0EEENS1_30default_config_static_selectorELNS0_4arch9wavefront6targetE0EEEvT1_,"axG",@progbits,_ZN7rocprim17ROCPRIM_400000_NS6detail17trampoline_kernelINS0_14default_configENS1_25partition_config_selectorILNS1_17partition_subalgoE6EyNS0_10empty_typeEbEEZZNS1_14partition_implILS5_6ELb0ES3_mN6thrust23THRUST_200600_302600_NS6detail15normal_iteratorINSA_10device_ptrIyEEEEPS6_SG_NS0_5tupleIJNSA_16discard_iteratorINSA_11use_defaultEEES6_EEENSH_IJSG_SG_EEES6_PlJNSB_9not_fun_tINSB_14equal_to_valueIyEEEEEEE10hipError_tPvRmT3_T4_T5_T6_T7_T9_mT8_P12ihipStream_tbDpT10_ENKUlT_T0_E_clISt17integral_constantIbLb0EES1A_IbLb1EEEEDaS16_S17_EUlS16_E_NS1_11comp_targetILNS1_3genE8ELNS1_11target_archE1030ELNS1_3gpuE2ELNS1_3repE0EEENS1_30default_config_static_selectorELNS0_4arch9wavefront6targetE0EEEvT1_,comdat
.Lfunc_end1660:
	.size	_ZN7rocprim17ROCPRIM_400000_NS6detail17trampoline_kernelINS0_14default_configENS1_25partition_config_selectorILNS1_17partition_subalgoE6EyNS0_10empty_typeEbEEZZNS1_14partition_implILS5_6ELb0ES3_mN6thrust23THRUST_200600_302600_NS6detail15normal_iteratorINSA_10device_ptrIyEEEEPS6_SG_NS0_5tupleIJNSA_16discard_iteratorINSA_11use_defaultEEES6_EEENSH_IJSG_SG_EEES6_PlJNSB_9not_fun_tINSB_14equal_to_valueIyEEEEEEE10hipError_tPvRmT3_T4_T5_T6_T7_T9_mT8_P12ihipStream_tbDpT10_ENKUlT_T0_E_clISt17integral_constantIbLb0EES1A_IbLb1EEEEDaS16_S17_EUlS16_E_NS1_11comp_targetILNS1_3genE8ELNS1_11target_archE1030ELNS1_3gpuE2ELNS1_3repE0EEENS1_30default_config_static_selectorELNS0_4arch9wavefront6targetE0EEEvT1_, .Lfunc_end1660-_ZN7rocprim17ROCPRIM_400000_NS6detail17trampoline_kernelINS0_14default_configENS1_25partition_config_selectorILNS1_17partition_subalgoE6EyNS0_10empty_typeEbEEZZNS1_14partition_implILS5_6ELb0ES3_mN6thrust23THRUST_200600_302600_NS6detail15normal_iteratorINSA_10device_ptrIyEEEEPS6_SG_NS0_5tupleIJNSA_16discard_iteratorINSA_11use_defaultEEES6_EEENSH_IJSG_SG_EEES6_PlJNSB_9not_fun_tINSB_14equal_to_valueIyEEEEEEE10hipError_tPvRmT3_T4_T5_T6_T7_T9_mT8_P12ihipStream_tbDpT10_ENKUlT_T0_E_clISt17integral_constantIbLb0EES1A_IbLb1EEEEDaS16_S17_EUlS16_E_NS1_11comp_targetILNS1_3genE8ELNS1_11target_archE1030ELNS1_3gpuE2ELNS1_3repE0EEENS1_30default_config_static_selectorELNS0_4arch9wavefront6targetE0EEEvT1_
                                        ; -- End function
	.set _ZN7rocprim17ROCPRIM_400000_NS6detail17trampoline_kernelINS0_14default_configENS1_25partition_config_selectorILNS1_17partition_subalgoE6EyNS0_10empty_typeEbEEZZNS1_14partition_implILS5_6ELb0ES3_mN6thrust23THRUST_200600_302600_NS6detail15normal_iteratorINSA_10device_ptrIyEEEEPS6_SG_NS0_5tupleIJNSA_16discard_iteratorINSA_11use_defaultEEES6_EEENSH_IJSG_SG_EEES6_PlJNSB_9not_fun_tINSB_14equal_to_valueIyEEEEEEE10hipError_tPvRmT3_T4_T5_T6_T7_T9_mT8_P12ihipStream_tbDpT10_ENKUlT_T0_E_clISt17integral_constantIbLb0EES1A_IbLb1EEEEDaS16_S17_EUlS16_E_NS1_11comp_targetILNS1_3genE8ELNS1_11target_archE1030ELNS1_3gpuE2ELNS1_3repE0EEENS1_30default_config_static_selectorELNS0_4arch9wavefront6targetE0EEEvT1_.num_vgpr, 0
	.set _ZN7rocprim17ROCPRIM_400000_NS6detail17trampoline_kernelINS0_14default_configENS1_25partition_config_selectorILNS1_17partition_subalgoE6EyNS0_10empty_typeEbEEZZNS1_14partition_implILS5_6ELb0ES3_mN6thrust23THRUST_200600_302600_NS6detail15normal_iteratorINSA_10device_ptrIyEEEEPS6_SG_NS0_5tupleIJNSA_16discard_iteratorINSA_11use_defaultEEES6_EEENSH_IJSG_SG_EEES6_PlJNSB_9not_fun_tINSB_14equal_to_valueIyEEEEEEE10hipError_tPvRmT3_T4_T5_T6_T7_T9_mT8_P12ihipStream_tbDpT10_ENKUlT_T0_E_clISt17integral_constantIbLb0EES1A_IbLb1EEEEDaS16_S17_EUlS16_E_NS1_11comp_targetILNS1_3genE8ELNS1_11target_archE1030ELNS1_3gpuE2ELNS1_3repE0EEENS1_30default_config_static_selectorELNS0_4arch9wavefront6targetE0EEEvT1_.num_agpr, 0
	.set _ZN7rocprim17ROCPRIM_400000_NS6detail17trampoline_kernelINS0_14default_configENS1_25partition_config_selectorILNS1_17partition_subalgoE6EyNS0_10empty_typeEbEEZZNS1_14partition_implILS5_6ELb0ES3_mN6thrust23THRUST_200600_302600_NS6detail15normal_iteratorINSA_10device_ptrIyEEEEPS6_SG_NS0_5tupleIJNSA_16discard_iteratorINSA_11use_defaultEEES6_EEENSH_IJSG_SG_EEES6_PlJNSB_9not_fun_tINSB_14equal_to_valueIyEEEEEEE10hipError_tPvRmT3_T4_T5_T6_T7_T9_mT8_P12ihipStream_tbDpT10_ENKUlT_T0_E_clISt17integral_constantIbLb0EES1A_IbLb1EEEEDaS16_S17_EUlS16_E_NS1_11comp_targetILNS1_3genE8ELNS1_11target_archE1030ELNS1_3gpuE2ELNS1_3repE0EEENS1_30default_config_static_selectorELNS0_4arch9wavefront6targetE0EEEvT1_.numbered_sgpr, 0
	.set _ZN7rocprim17ROCPRIM_400000_NS6detail17trampoline_kernelINS0_14default_configENS1_25partition_config_selectorILNS1_17partition_subalgoE6EyNS0_10empty_typeEbEEZZNS1_14partition_implILS5_6ELb0ES3_mN6thrust23THRUST_200600_302600_NS6detail15normal_iteratorINSA_10device_ptrIyEEEEPS6_SG_NS0_5tupleIJNSA_16discard_iteratorINSA_11use_defaultEEES6_EEENSH_IJSG_SG_EEES6_PlJNSB_9not_fun_tINSB_14equal_to_valueIyEEEEEEE10hipError_tPvRmT3_T4_T5_T6_T7_T9_mT8_P12ihipStream_tbDpT10_ENKUlT_T0_E_clISt17integral_constantIbLb0EES1A_IbLb1EEEEDaS16_S17_EUlS16_E_NS1_11comp_targetILNS1_3genE8ELNS1_11target_archE1030ELNS1_3gpuE2ELNS1_3repE0EEENS1_30default_config_static_selectorELNS0_4arch9wavefront6targetE0EEEvT1_.num_named_barrier, 0
	.set _ZN7rocprim17ROCPRIM_400000_NS6detail17trampoline_kernelINS0_14default_configENS1_25partition_config_selectorILNS1_17partition_subalgoE6EyNS0_10empty_typeEbEEZZNS1_14partition_implILS5_6ELb0ES3_mN6thrust23THRUST_200600_302600_NS6detail15normal_iteratorINSA_10device_ptrIyEEEEPS6_SG_NS0_5tupleIJNSA_16discard_iteratorINSA_11use_defaultEEES6_EEENSH_IJSG_SG_EEES6_PlJNSB_9not_fun_tINSB_14equal_to_valueIyEEEEEEE10hipError_tPvRmT3_T4_T5_T6_T7_T9_mT8_P12ihipStream_tbDpT10_ENKUlT_T0_E_clISt17integral_constantIbLb0EES1A_IbLb1EEEEDaS16_S17_EUlS16_E_NS1_11comp_targetILNS1_3genE8ELNS1_11target_archE1030ELNS1_3gpuE2ELNS1_3repE0EEENS1_30default_config_static_selectorELNS0_4arch9wavefront6targetE0EEEvT1_.private_seg_size, 0
	.set _ZN7rocprim17ROCPRIM_400000_NS6detail17trampoline_kernelINS0_14default_configENS1_25partition_config_selectorILNS1_17partition_subalgoE6EyNS0_10empty_typeEbEEZZNS1_14partition_implILS5_6ELb0ES3_mN6thrust23THRUST_200600_302600_NS6detail15normal_iteratorINSA_10device_ptrIyEEEEPS6_SG_NS0_5tupleIJNSA_16discard_iteratorINSA_11use_defaultEEES6_EEENSH_IJSG_SG_EEES6_PlJNSB_9not_fun_tINSB_14equal_to_valueIyEEEEEEE10hipError_tPvRmT3_T4_T5_T6_T7_T9_mT8_P12ihipStream_tbDpT10_ENKUlT_T0_E_clISt17integral_constantIbLb0EES1A_IbLb1EEEEDaS16_S17_EUlS16_E_NS1_11comp_targetILNS1_3genE8ELNS1_11target_archE1030ELNS1_3gpuE2ELNS1_3repE0EEENS1_30default_config_static_selectorELNS0_4arch9wavefront6targetE0EEEvT1_.uses_vcc, 0
	.set _ZN7rocprim17ROCPRIM_400000_NS6detail17trampoline_kernelINS0_14default_configENS1_25partition_config_selectorILNS1_17partition_subalgoE6EyNS0_10empty_typeEbEEZZNS1_14partition_implILS5_6ELb0ES3_mN6thrust23THRUST_200600_302600_NS6detail15normal_iteratorINSA_10device_ptrIyEEEEPS6_SG_NS0_5tupleIJNSA_16discard_iteratorINSA_11use_defaultEEES6_EEENSH_IJSG_SG_EEES6_PlJNSB_9not_fun_tINSB_14equal_to_valueIyEEEEEEE10hipError_tPvRmT3_T4_T5_T6_T7_T9_mT8_P12ihipStream_tbDpT10_ENKUlT_T0_E_clISt17integral_constantIbLb0EES1A_IbLb1EEEEDaS16_S17_EUlS16_E_NS1_11comp_targetILNS1_3genE8ELNS1_11target_archE1030ELNS1_3gpuE2ELNS1_3repE0EEENS1_30default_config_static_selectorELNS0_4arch9wavefront6targetE0EEEvT1_.uses_flat_scratch, 0
	.set _ZN7rocprim17ROCPRIM_400000_NS6detail17trampoline_kernelINS0_14default_configENS1_25partition_config_selectorILNS1_17partition_subalgoE6EyNS0_10empty_typeEbEEZZNS1_14partition_implILS5_6ELb0ES3_mN6thrust23THRUST_200600_302600_NS6detail15normal_iteratorINSA_10device_ptrIyEEEEPS6_SG_NS0_5tupleIJNSA_16discard_iteratorINSA_11use_defaultEEES6_EEENSH_IJSG_SG_EEES6_PlJNSB_9not_fun_tINSB_14equal_to_valueIyEEEEEEE10hipError_tPvRmT3_T4_T5_T6_T7_T9_mT8_P12ihipStream_tbDpT10_ENKUlT_T0_E_clISt17integral_constantIbLb0EES1A_IbLb1EEEEDaS16_S17_EUlS16_E_NS1_11comp_targetILNS1_3genE8ELNS1_11target_archE1030ELNS1_3gpuE2ELNS1_3repE0EEENS1_30default_config_static_selectorELNS0_4arch9wavefront6targetE0EEEvT1_.has_dyn_sized_stack, 0
	.set _ZN7rocprim17ROCPRIM_400000_NS6detail17trampoline_kernelINS0_14default_configENS1_25partition_config_selectorILNS1_17partition_subalgoE6EyNS0_10empty_typeEbEEZZNS1_14partition_implILS5_6ELb0ES3_mN6thrust23THRUST_200600_302600_NS6detail15normal_iteratorINSA_10device_ptrIyEEEEPS6_SG_NS0_5tupleIJNSA_16discard_iteratorINSA_11use_defaultEEES6_EEENSH_IJSG_SG_EEES6_PlJNSB_9not_fun_tINSB_14equal_to_valueIyEEEEEEE10hipError_tPvRmT3_T4_T5_T6_T7_T9_mT8_P12ihipStream_tbDpT10_ENKUlT_T0_E_clISt17integral_constantIbLb0EES1A_IbLb1EEEEDaS16_S17_EUlS16_E_NS1_11comp_targetILNS1_3genE8ELNS1_11target_archE1030ELNS1_3gpuE2ELNS1_3repE0EEENS1_30default_config_static_selectorELNS0_4arch9wavefront6targetE0EEEvT1_.has_recursion, 0
	.set _ZN7rocprim17ROCPRIM_400000_NS6detail17trampoline_kernelINS0_14default_configENS1_25partition_config_selectorILNS1_17partition_subalgoE6EyNS0_10empty_typeEbEEZZNS1_14partition_implILS5_6ELb0ES3_mN6thrust23THRUST_200600_302600_NS6detail15normal_iteratorINSA_10device_ptrIyEEEEPS6_SG_NS0_5tupleIJNSA_16discard_iteratorINSA_11use_defaultEEES6_EEENSH_IJSG_SG_EEES6_PlJNSB_9not_fun_tINSB_14equal_to_valueIyEEEEEEE10hipError_tPvRmT3_T4_T5_T6_T7_T9_mT8_P12ihipStream_tbDpT10_ENKUlT_T0_E_clISt17integral_constantIbLb0EES1A_IbLb1EEEEDaS16_S17_EUlS16_E_NS1_11comp_targetILNS1_3genE8ELNS1_11target_archE1030ELNS1_3gpuE2ELNS1_3repE0EEENS1_30default_config_static_selectorELNS0_4arch9wavefront6targetE0EEEvT1_.has_indirect_call, 0
	.section	.AMDGPU.csdata,"",@progbits
; Kernel info:
; codeLenInByte = 0
; TotalNumSgprs: 0
; NumVgprs: 0
; ScratchSize: 0
; MemoryBound: 0
; FloatMode: 240
; IeeeMode: 1
; LDSByteSize: 0 bytes/workgroup (compile time only)
; SGPRBlocks: 0
; VGPRBlocks: 0
; NumSGPRsForWavesPerEU: 1
; NumVGPRsForWavesPerEU: 1
; Occupancy: 16
; WaveLimiterHint : 0
; COMPUTE_PGM_RSRC2:SCRATCH_EN: 0
; COMPUTE_PGM_RSRC2:USER_SGPR: 2
; COMPUTE_PGM_RSRC2:TRAP_HANDLER: 0
; COMPUTE_PGM_RSRC2:TGID_X_EN: 1
; COMPUTE_PGM_RSRC2:TGID_Y_EN: 0
; COMPUTE_PGM_RSRC2:TGID_Z_EN: 0
; COMPUTE_PGM_RSRC2:TIDIG_COMP_CNT: 0
	.section	.text._ZN7rocprim17ROCPRIM_400000_NS6detail17trampoline_kernelINS0_14default_configENS1_25partition_config_selectorILNS1_17partition_subalgoE6EjNS0_10empty_typeEbEEZZNS1_14partition_implILS5_6ELb0ES3_mN6thrust23THRUST_200600_302600_NS6detail15normal_iteratorINSA_10device_ptrIjEEEEPS6_SG_NS0_5tupleIJNSA_16discard_iteratorINSA_11use_defaultEEES6_EEENSH_IJSG_SG_EEES6_PlJNSB_9not_fun_tINSB_14equal_to_valueIjEEEEEEE10hipError_tPvRmT3_T4_T5_T6_T7_T9_mT8_P12ihipStream_tbDpT10_ENKUlT_T0_E_clISt17integral_constantIbLb0EES1B_EEDaS16_S17_EUlS16_E_NS1_11comp_targetILNS1_3genE0ELNS1_11target_archE4294967295ELNS1_3gpuE0ELNS1_3repE0EEENS1_30default_config_static_selectorELNS0_4arch9wavefront6targetE0EEEvT1_,"axG",@progbits,_ZN7rocprim17ROCPRIM_400000_NS6detail17trampoline_kernelINS0_14default_configENS1_25partition_config_selectorILNS1_17partition_subalgoE6EjNS0_10empty_typeEbEEZZNS1_14partition_implILS5_6ELb0ES3_mN6thrust23THRUST_200600_302600_NS6detail15normal_iteratorINSA_10device_ptrIjEEEEPS6_SG_NS0_5tupleIJNSA_16discard_iteratorINSA_11use_defaultEEES6_EEENSH_IJSG_SG_EEES6_PlJNSB_9not_fun_tINSB_14equal_to_valueIjEEEEEEE10hipError_tPvRmT3_T4_T5_T6_T7_T9_mT8_P12ihipStream_tbDpT10_ENKUlT_T0_E_clISt17integral_constantIbLb0EES1B_EEDaS16_S17_EUlS16_E_NS1_11comp_targetILNS1_3genE0ELNS1_11target_archE4294967295ELNS1_3gpuE0ELNS1_3repE0EEENS1_30default_config_static_selectorELNS0_4arch9wavefront6targetE0EEEvT1_,comdat
	.protected	_ZN7rocprim17ROCPRIM_400000_NS6detail17trampoline_kernelINS0_14default_configENS1_25partition_config_selectorILNS1_17partition_subalgoE6EjNS0_10empty_typeEbEEZZNS1_14partition_implILS5_6ELb0ES3_mN6thrust23THRUST_200600_302600_NS6detail15normal_iteratorINSA_10device_ptrIjEEEEPS6_SG_NS0_5tupleIJNSA_16discard_iteratorINSA_11use_defaultEEES6_EEENSH_IJSG_SG_EEES6_PlJNSB_9not_fun_tINSB_14equal_to_valueIjEEEEEEE10hipError_tPvRmT3_T4_T5_T6_T7_T9_mT8_P12ihipStream_tbDpT10_ENKUlT_T0_E_clISt17integral_constantIbLb0EES1B_EEDaS16_S17_EUlS16_E_NS1_11comp_targetILNS1_3genE0ELNS1_11target_archE4294967295ELNS1_3gpuE0ELNS1_3repE0EEENS1_30default_config_static_selectorELNS0_4arch9wavefront6targetE0EEEvT1_ ; -- Begin function _ZN7rocprim17ROCPRIM_400000_NS6detail17trampoline_kernelINS0_14default_configENS1_25partition_config_selectorILNS1_17partition_subalgoE6EjNS0_10empty_typeEbEEZZNS1_14partition_implILS5_6ELb0ES3_mN6thrust23THRUST_200600_302600_NS6detail15normal_iteratorINSA_10device_ptrIjEEEEPS6_SG_NS0_5tupleIJNSA_16discard_iteratorINSA_11use_defaultEEES6_EEENSH_IJSG_SG_EEES6_PlJNSB_9not_fun_tINSB_14equal_to_valueIjEEEEEEE10hipError_tPvRmT3_T4_T5_T6_T7_T9_mT8_P12ihipStream_tbDpT10_ENKUlT_T0_E_clISt17integral_constantIbLb0EES1B_EEDaS16_S17_EUlS16_E_NS1_11comp_targetILNS1_3genE0ELNS1_11target_archE4294967295ELNS1_3gpuE0ELNS1_3repE0EEENS1_30default_config_static_selectorELNS0_4arch9wavefront6targetE0EEEvT1_
	.globl	_ZN7rocprim17ROCPRIM_400000_NS6detail17trampoline_kernelINS0_14default_configENS1_25partition_config_selectorILNS1_17partition_subalgoE6EjNS0_10empty_typeEbEEZZNS1_14partition_implILS5_6ELb0ES3_mN6thrust23THRUST_200600_302600_NS6detail15normal_iteratorINSA_10device_ptrIjEEEEPS6_SG_NS0_5tupleIJNSA_16discard_iteratorINSA_11use_defaultEEES6_EEENSH_IJSG_SG_EEES6_PlJNSB_9not_fun_tINSB_14equal_to_valueIjEEEEEEE10hipError_tPvRmT3_T4_T5_T6_T7_T9_mT8_P12ihipStream_tbDpT10_ENKUlT_T0_E_clISt17integral_constantIbLb0EES1B_EEDaS16_S17_EUlS16_E_NS1_11comp_targetILNS1_3genE0ELNS1_11target_archE4294967295ELNS1_3gpuE0ELNS1_3repE0EEENS1_30default_config_static_selectorELNS0_4arch9wavefront6targetE0EEEvT1_
	.p2align	8
	.type	_ZN7rocprim17ROCPRIM_400000_NS6detail17trampoline_kernelINS0_14default_configENS1_25partition_config_selectorILNS1_17partition_subalgoE6EjNS0_10empty_typeEbEEZZNS1_14partition_implILS5_6ELb0ES3_mN6thrust23THRUST_200600_302600_NS6detail15normal_iteratorINSA_10device_ptrIjEEEEPS6_SG_NS0_5tupleIJNSA_16discard_iteratorINSA_11use_defaultEEES6_EEENSH_IJSG_SG_EEES6_PlJNSB_9not_fun_tINSB_14equal_to_valueIjEEEEEEE10hipError_tPvRmT3_T4_T5_T6_T7_T9_mT8_P12ihipStream_tbDpT10_ENKUlT_T0_E_clISt17integral_constantIbLb0EES1B_EEDaS16_S17_EUlS16_E_NS1_11comp_targetILNS1_3genE0ELNS1_11target_archE4294967295ELNS1_3gpuE0ELNS1_3repE0EEENS1_30default_config_static_selectorELNS0_4arch9wavefront6targetE0EEEvT1_,@function
_ZN7rocprim17ROCPRIM_400000_NS6detail17trampoline_kernelINS0_14default_configENS1_25partition_config_selectorILNS1_17partition_subalgoE6EjNS0_10empty_typeEbEEZZNS1_14partition_implILS5_6ELb0ES3_mN6thrust23THRUST_200600_302600_NS6detail15normal_iteratorINSA_10device_ptrIjEEEEPS6_SG_NS0_5tupleIJNSA_16discard_iteratorINSA_11use_defaultEEES6_EEENSH_IJSG_SG_EEES6_PlJNSB_9not_fun_tINSB_14equal_to_valueIjEEEEEEE10hipError_tPvRmT3_T4_T5_T6_T7_T9_mT8_P12ihipStream_tbDpT10_ENKUlT_T0_E_clISt17integral_constantIbLb0EES1B_EEDaS16_S17_EUlS16_E_NS1_11comp_targetILNS1_3genE0ELNS1_11target_archE4294967295ELNS1_3gpuE0ELNS1_3repE0EEENS1_30default_config_static_selectorELNS0_4arch9wavefront6targetE0EEEvT1_: ; @_ZN7rocprim17ROCPRIM_400000_NS6detail17trampoline_kernelINS0_14default_configENS1_25partition_config_selectorILNS1_17partition_subalgoE6EjNS0_10empty_typeEbEEZZNS1_14partition_implILS5_6ELb0ES3_mN6thrust23THRUST_200600_302600_NS6detail15normal_iteratorINSA_10device_ptrIjEEEEPS6_SG_NS0_5tupleIJNSA_16discard_iteratorINSA_11use_defaultEEES6_EEENSH_IJSG_SG_EEES6_PlJNSB_9not_fun_tINSB_14equal_to_valueIjEEEEEEE10hipError_tPvRmT3_T4_T5_T6_T7_T9_mT8_P12ihipStream_tbDpT10_ENKUlT_T0_E_clISt17integral_constantIbLb0EES1B_EEDaS16_S17_EUlS16_E_NS1_11comp_targetILNS1_3genE0ELNS1_11target_archE4294967295ELNS1_3gpuE0ELNS1_3repE0EEENS1_30default_config_static_selectorELNS0_4arch9wavefront6targetE0EEEvT1_
; %bb.0:
	.section	.rodata,"a",@progbits
	.p2align	6, 0x0
	.amdhsa_kernel _ZN7rocprim17ROCPRIM_400000_NS6detail17trampoline_kernelINS0_14default_configENS1_25partition_config_selectorILNS1_17partition_subalgoE6EjNS0_10empty_typeEbEEZZNS1_14partition_implILS5_6ELb0ES3_mN6thrust23THRUST_200600_302600_NS6detail15normal_iteratorINSA_10device_ptrIjEEEEPS6_SG_NS0_5tupleIJNSA_16discard_iteratorINSA_11use_defaultEEES6_EEENSH_IJSG_SG_EEES6_PlJNSB_9not_fun_tINSB_14equal_to_valueIjEEEEEEE10hipError_tPvRmT3_T4_T5_T6_T7_T9_mT8_P12ihipStream_tbDpT10_ENKUlT_T0_E_clISt17integral_constantIbLb0EES1B_EEDaS16_S17_EUlS16_E_NS1_11comp_targetILNS1_3genE0ELNS1_11target_archE4294967295ELNS1_3gpuE0ELNS1_3repE0EEENS1_30default_config_static_selectorELNS0_4arch9wavefront6targetE0EEEvT1_
		.amdhsa_group_segment_fixed_size 0
		.amdhsa_private_segment_fixed_size 0
		.amdhsa_kernarg_size 128
		.amdhsa_user_sgpr_count 2
		.amdhsa_user_sgpr_dispatch_ptr 0
		.amdhsa_user_sgpr_queue_ptr 0
		.amdhsa_user_sgpr_kernarg_segment_ptr 1
		.amdhsa_user_sgpr_dispatch_id 0
		.amdhsa_user_sgpr_private_segment_size 0
		.amdhsa_wavefront_size32 1
		.amdhsa_uses_dynamic_stack 0
		.amdhsa_enable_private_segment 0
		.amdhsa_system_sgpr_workgroup_id_x 1
		.amdhsa_system_sgpr_workgroup_id_y 0
		.amdhsa_system_sgpr_workgroup_id_z 0
		.amdhsa_system_sgpr_workgroup_info 0
		.amdhsa_system_vgpr_workitem_id 0
		.amdhsa_next_free_vgpr 1
		.amdhsa_next_free_sgpr 1
		.amdhsa_reserve_vcc 0
		.amdhsa_float_round_mode_32 0
		.amdhsa_float_round_mode_16_64 0
		.amdhsa_float_denorm_mode_32 3
		.amdhsa_float_denorm_mode_16_64 3
		.amdhsa_fp16_overflow 0
		.amdhsa_workgroup_processor_mode 1
		.amdhsa_memory_ordered 1
		.amdhsa_forward_progress 1
		.amdhsa_inst_pref_size 0
		.amdhsa_round_robin_scheduling 0
		.amdhsa_exception_fp_ieee_invalid_op 0
		.amdhsa_exception_fp_denorm_src 0
		.amdhsa_exception_fp_ieee_div_zero 0
		.amdhsa_exception_fp_ieee_overflow 0
		.amdhsa_exception_fp_ieee_underflow 0
		.amdhsa_exception_fp_ieee_inexact 0
		.amdhsa_exception_int_div_zero 0
	.end_amdhsa_kernel
	.section	.text._ZN7rocprim17ROCPRIM_400000_NS6detail17trampoline_kernelINS0_14default_configENS1_25partition_config_selectorILNS1_17partition_subalgoE6EjNS0_10empty_typeEbEEZZNS1_14partition_implILS5_6ELb0ES3_mN6thrust23THRUST_200600_302600_NS6detail15normal_iteratorINSA_10device_ptrIjEEEEPS6_SG_NS0_5tupleIJNSA_16discard_iteratorINSA_11use_defaultEEES6_EEENSH_IJSG_SG_EEES6_PlJNSB_9not_fun_tINSB_14equal_to_valueIjEEEEEEE10hipError_tPvRmT3_T4_T5_T6_T7_T9_mT8_P12ihipStream_tbDpT10_ENKUlT_T0_E_clISt17integral_constantIbLb0EES1B_EEDaS16_S17_EUlS16_E_NS1_11comp_targetILNS1_3genE0ELNS1_11target_archE4294967295ELNS1_3gpuE0ELNS1_3repE0EEENS1_30default_config_static_selectorELNS0_4arch9wavefront6targetE0EEEvT1_,"axG",@progbits,_ZN7rocprim17ROCPRIM_400000_NS6detail17trampoline_kernelINS0_14default_configENS1_25partition_config_selectorILNS1_17partition_subalgoE6EjNS0_10empty_typeEbEEZZNS1_14partition_implILS5_6ELb0ES3_mN6thrust23THRUST_200600_302600_NS6detail15normal_iteratorINSA_10device_ptrIjEEEEPS6_SG_NS0_5tupleIJNSA_16discard_iteratorINSA_11use_defaultEEES6_EEENSH_IJSG_SG_EEES6_PlJNSB_9not_fun_tINSB_14equal_to_valueIjEEEEEEE10hipError_tPvRmT3_T4_T5_T6_T7_T9_mT8_P12ihipStream_tbDpT10_ENKUlT_T0_E_clISt17integral_constantIbLb0EES1B_EEDaS16_S17_EUlS16_E_NS1_11comp_targetILNS1_3genE0ELNS1_11target_archE4294967295ELNS1_3gpuE0ELNS1_3repE0EEENS1_30default_config_static_selectorELNS0_4arch9wavefront6targetE0EEEvT1_,comdat
.Lfunc_end1661:
	.size	_ZN7rocprim17ROCPRIM_400000_NS6detail17trampoline_kernelINS0_14default_configENS1_25partition_config_selectorILNS1_17partition_subalgoE6EjNS0_10empty_typeEbEEZZNS1_14partition_implILS5_6ELb0ES3_mN6thrust23THRUST_200600_302600_NS6detail15normal_iteratorINSA_10device_ptrIjEEEEPS6_SG_NS0_5tupleIJNSA_16discard_iteratorINSA_11use_defaultEEES6_EEENSH_IJSG_SG_EEES6_PlJNSB_9not_fun_tINSB_14equal_to_valueIjEEEEEEE10hipError_tPvRmT3_T4_T5_T6_T7_T9_mT8_P12ihipStream_tbDpT10_ENKUlT_T0_E_clISt17integral_constantIbLb0EES1B_EEDaS16_S17_EUlS16_E_NS1_11comp_targetILNS1_3genE0ELNS1_11target_archE4294967295ELNS1_3gpuE0ELNS1_3repE0EEENS1_30default_config_static_selectorELNS0_4arch9wavefront6targetE0EEEvT1_, .Lfunc_end1661-_ZN7rocprim17ROCPRIM_400000_NS6detail17trampoline_kernelINS0_14default_configENS1_25partition_config_selectorILNS1_17partition_subalgoE6EjNS0_10empty_typeEbEEZZNS1_14partition_implILS5_6ELb0ES3_mN6thrust23THRUST_200600_302600_NS6detail15normal_iteratorINSA_10device_ptrIjEEEEPS6_SG_NS0_5tupleIJNSA_16discard_iteratorINSA_11use_defaultEEES6_EEENSH_IJSG_SG_EEES6_PlJNSB_9not_fun_tINSB_14equal_to_valueIjEEEEEEE10hipError_tPvRmT3_T4_T5_T6_T7_T9_mT8_P12ihipStream_tbDpT10_ENKUlT_T0_E_clISt17integral_constantIbLb0EES1B_EEDaS16_S17_EUlS16_E_NS1_11comp_targetILNS1_3genE0ELNS1_11target_archE4294967295ELNS1_3gpuE0ELNS1_3repE0EEENS1_30default_config_static_selectorELNS0_4arch9wavefront6targetE0EEEvT1_
                                        ; -- End function
	.set _ZN7rocprim17ROCPRIM_400000_NS6detail17trampoline_kernelINS0_14default_configENS1_25partition_config_selectorILNS1_17partition_subalgoE6EjNS0_10empty_typeEbEEZZNS1_14partition_implILS5_6ELb0ES3_mN6thrust23THRUST_200600_302600_NS6detail15normal_iteratorINSA_10device_ptrIjEEEEPS6_SG_NS0_5tupleIJNSA_16discard_iteratorINSA_11use_defaultEEES6_EEENSH_IJSG_SG_EEES6_PlJNSB_9not_fun_tINSB_14equal_to_valueIjEEEEEEE10hipError_tPvRmT3_T4_T5_T6_T7_T9_mT8_P12ihipStream_tbDpT10_ENKUlT_T0_E_clISt17integral_constantIbLb0EES1B_EEDaS16_S17_EUlS16_E_NS1_11comp_targetILNS1_3genE0ELNS1_11target_archE4294967295ELNS1_3gpuE0ELNS1_3repE0EEENS1_30default_config_static_selectorELNS0_4arch9wavefront6targetE0EEEvT1_.num_vgpr, 0
	.set _ZN7rocprim17ROCPRIM_400000_NS6detail17trampoline_kernelINS0_14default_configENS1_25partition_config_selectorILNS1_17partition_subalgoE6EjNS0_10empty_typeEbEEZZNS1_14partition_implILS5_6ELb0ES3_mN6thrust23THRUST_200600_302600_NS6detail15normal_iteratorINSA_10device_ptrIjEEEEPS6_SG_NS0_5tupleIJNSA_16discard_iteratorINSA_11use_defaultEEES6_EEENSH_IJSG_SG_EEES6_PlJNSB_9not_fun_tINSB_14equal_to_valueIjEEEEEEE10hipError_tPvRmT3_T4_T5_T6_T7_T9_mT8_P12ihipStream_tbDpT10_ENKUlT_T0_E_clISt17integral_constantIbLb0EES1B_EEDaS16_S17_EUlS16_E_NS1_11comp_targetILNS1_3genE0ELNS1_11target_archE4294967295ELNS1_3gpuE0ELNS1_3repE0EEENS1_30default_config_static_selectorELNS0_4arch9wavefront6targetE0EEEvT1_.num_agpr, 0
	.set _ZN7rocprim17ROCPRIM_400000_NS6detail17trampoline_kernelINS0_14default_configENS1_25partition_config_selectorILNS1_17partition_subalgoE6EjNS0_10empty_typeEbEEZZNS1_14partition_implILS5_6ELb0ES3_mN6thrust23THRUST_200600_302600_NS6detail15normal_iteratorINSA_10device_ptrIjEEEEPS6_SG_NS0_5tupleIJNSA_16discard_iteratorINSA_11use_defaultEEES6_EEENSH_IJSG_SG_EEES6_PlJNSB_9not_fun_tINSB_14equal_to_valueIjEEEEEEE10hipError_tPvRmT3_T4_T5_T6_T7_T9_mT8_P12ihipStream_tbDpT10_ENKUlT_T0_E_clISt17integral_constantIbLb0EES1B_EEDaS16_S17_EUlS16_E_NS1_11comp_targetILNS1_3genE0ELNS1_11target_archE4294967295ELNS1_3gpuE0ELNS1_3repE0EEENS1_30default_config_static_selectorELNS0_4arch9wavefront6targetE0EEEvT1_.numbered_sgpr, 0
	.set _ZN7rocprim17ROCPRIM_400000_NS6detail17trampoline_kernelINS0_14default_configENS1_25partition_config_selectorILNS1_17partition_subalgoE6EjNS0_10empty_typeEbEEZZNS1_14partition_implILS5_6ELb0ES3_mN6thrust23THRUST_200600_302600_NS6detail15normal_iteratorINSA_10device_ptrIjEEEEPS6_SG_NS0_5tupleIJNSA_16discard_iteratorINSA_11use_defaultEEES6_EEENSH_IJSG_SG_EEES6_PlJNSB_9not_fun_tINSB_14equal_to_valueIjEEEEEEE10hipError_tPvRmT3_T4_T5_T6_T7_T9_mT8_P12ihipStream_tbDpT10_ENKUlT_T0_E_clISt17integral_constantIbLb0EES1B_EEDaS16_S17_EUlS16_E_NS1_11comp_targetILNS1_3genE0ELNS1_11target_archE4294967295ELNS1_3gpuE0ELNS1_3repE0EEENS1_30default_config_static_selectorELNS0_4arch9wavefront6targetE0EEEvT1_.num_named_barrier, 0
	.set _ZN7rocprim17ROCPRIM_400000_NS6detail17trampoline_kernelINS0_14default_configENS1_25partition_config_selectorILNS1_17partition_subalgoE6EjNS0_10empty_typeEbEEZZNS1_14partition_implILS5_6ELb0ES3_mN6thrust23THRUST_200600_302600_NS6detail15normal_iteratorINSA_10device_ptrIjEEEEPS6_SG_NS0_5tupleIJNSA_16discard_iteratorINSA_11use_defaultEEES6_EEENSH_IJSG_SG_EEES6_PlJNSB_9not_fun_tINSB_14equal_to_valueIjEEEEEEE10hipError_tPvRmT3_T4_T5_T6_T7_T9_mT8_P12ihipStream_tbDpT10_ENKUlT_T0_E_clISt17integral_constantIbLb0EES1B_EEDaS16_S17_EUlS16_E_NS1_11comp_targetILNS1_3genE0ELNS1_11target_archE4294967295ELNS1_3gpuE0ELNS1_3repE0EEENS1_30default_config_static_selectorELNS0_4arch9wavefront6targetE0EEEvT1_.private_seg_size, 0
	.set _ZN7rocprim17ROCPRIM_400000_NS6detail17trampoline_kernelINS0_14default_configENS1_25partition_config_selectorILNS1_17partition_subalgoE6EjNS0_10empty_typeEbEEZZNS1_14partition_implILS5_6ELb0ES3_mN6thrust23THRUST_200600_302600_NS6detail15normal_iteratorINSA_10device_ptrIjEEEEPS6_SG_NS0_5tupleIJNSA_16discard_iteratorINSA_11use_defaultEEES6_EEENSH_IJSG_SG_EEES6_PlJNSB_9not_fun_tINSB_14equal_to_valueIjEEEEEEE10hipError_tPvRmT3_T4_T5_T6_T7_T9_mT8_P12ihipStream_tbDpT10_ENKUlT_T0_E_clISt17integral_constantIbLb0EES1B_EEDaS16_S17_EUlS16_E_NS1_11comp_targetILNS1_3genE0ELNS1_11target_archE4294967295ELNS1_3gpuE0ELNS1_3repE0EEENS1_30default_config_static_selectorELNS0_4arch9wavefront6targetE0EEEvT1_.uses_vcc, 0
	.set _ZN7rocprim17ROCPRIM_400000_NS6detail17trampoline_kernelINS0_14default_configENS1_25partition_config_selectorILNS1_17partition_subalgoE6EjNS0_10empty_typeEbEEZZNS1_14partition_implILS5_6ELb0ES3_mN6thrust23THRUST_200600_302600_NS6detail15normal_iteratorINSA_10device_ptrIjEEEEPS6_SG_NS0_5tupleIJNSA_16discard_iteratorINSA_11use_defaultEEES6_EEENSH_IJSG_SG_EEES6_PlJNSB_9not_fun_tINSB_14equal_to_valueIjEEEEEEE10hipError_tPvRmT3_T4_T5_T6_T7_T9_mT8_P12ihipStream_tbDpT10_ENKUlT_T0_E_clISt17integral_constantIbLb0EES1B_EEDaS16_S17_EUlS16_E_NS1_11comp_targetILNS1_3genE0ELNS1_11target_archE4294967295ELNS1_3gpuE0ELNS1_3repE0EEENS1_30default_config_static_selectorELNS0_4arch9wavefront6targetE0EEEvT1_.uses_flat_scratch, 0
	.set _ZN7rocprim17ROCPRIM_400000_NS6detail17trampoline_kernelINS0_14default_configENS1_25partition_config_selectorILNS1_17partition_subalgoE6EjNS0_10empty_typeEbEEZZNS1_14partition_implILS5_6ELb0ES3_mN6thrust23THRUST_200600_302600_NS6detail15normal_iteratorINSA_10device_ptrIjEEEEPS6_SG_NS0_5tupleIJNSA_16discard_iteratorINSA_11use_defaultEEES6_EEENSH_IJSG_SG_EEES6_PlJNSB_9not_fun_tINSB_14equal_to_valueIjEEEEEEE10hipError_tPvRmT3_T4_T5_T6_T7_T9_mT8_P12ihipStream_tbDpT10_ENKUlT_T0_E_clISt17integral_constantIbLb0EES1B_EEDaS16_S17_EUlS16_E_NS1_11comp_targetILNS1_3genE0ELNS1_11target_archE4294967295ELNS1_3gpuE0ELNS1_3repE0EEENS1_30default_config_static_selectorELNS0_4arch9wavefront6targetE0EEEvT1_.has_dyn_sized_stack, 0
	.set _ZN7rocprim17ROCPRIM_400000_NS6detail17trampoline_kernelINS0_14default_configENS1_25partition_config_selectorILNS1_17partition_subalgoE6EjNS0_10empty_typeEbEEZZNS1_14partition_implILS5_6ELb0ES3_mN6thrust23THRUST_200600_302600_NS6detail15normal_iteratorINSA_10device_ptrIjEEEEPS6_SG_NS0_5tupleIJNSA_16discard_iteratorINSA_11use_defaultEEES6_EEENSH_IJSG_SG_EEES6_PlJNSB_9not_fun_tINSB_14equal_to_valueIjEEEEEEE10hipError_tPvRmT3_T4_T5_T6_T7_T9_mT8_P12ihipStream_tbDpT10_ENKUlT_T0_E_clISt17integral_constantIbLb0EES1B_EEDaS16_S17_EUlS16_E_NS1_11comp_targetILNS1_3genE0ELNS1_11target_archE4294967295ELNS1_3gpuE0ELNS1_3repE0EEENS1_30default_config_static_selectorELNS0_4arch9wavefront6targetE0EEEvT1_.has_recursion, 0
	.set _ZN7rocprim17ROCPRIM_400000_NS6detail17trampoline_kernelINS0_14default_configENS1_25partition_config_selectorILNS1_17partition_subalgoE6EjNS0_10empty_typeEbEEZZNS1_14partition_implILS5_6ELb0ES3_mN6thrust23THRUST_200600_302600_NS6detail15normal_iteratorINSA_10device_ptrIjEEEEPS6_SG_NS0_5tupleIJNSA_16discard_iteratorINSA_11use_defaultEEES6_EEENSH_IJSG_SG_EEES6_PlJNSB_9not_fun_tINSB_14equal_to_valueIjEEEEEEE10hipError_tPvRmT3_T4_T5_T6_T7_T9_mT8_P12ihipStream_tbDpT10_ENKUlT_T0_E_clISt17integral_constantIbLb0EES1B_EEDaS16_S17_EUlS16_E_NS1_11comp_targetILNS1_3genE0ELNS1_11target_archE4294967295ELNS1_3gpuE0ELNS1_3repE0EEENS1_30default_config_static_selectorELNS0_4arch9wavefront6targetE0EEEvT1_.has_indirect_call, 0
	.section	.AMDGPU.csdata,"",@progbits
; Kernel info:
; codeLenInByte = 0
; TotalNumSgprs: 0
; NumVgprs: 0
; ScratchSize: 0
; MemoryBound: 0
; FloatMode: 240
; IeeeMode: 1
; LDSByteSize: 0 bytes/workgroup (compile time only)
; SGPRBlocks: 0
; VGPRBlocks: 0
; NumSGPRsForWavesPerEU: 1
; NumVGPRsForWavesPerEU: 1
; Occupancy: 16
; WaveLimiterHint : 0
; COMPUTE_PGM_RSRC2:SCRATCH_EN: 0
; COMPUTE_PGM_RSRC2:USER_SGPR: 2
; COMPUTE_PGM_RSRC2:TRAP_HANDLER: 0
; COMPUTE_PGM_RSRC2:TGID_X_EN: 1
; COMPUTE_PGM_RSRC2:TGID_Y_EN: 0
; COMPUTE_PGM_RSRC2:TGID_Z_EN: 0
; COMPUTE_PGM_RSRC2:TIDIG_COMP_CNT: 0
	.section	.text._ZN7rocprim17ROCPRIM_400000_NS6detail17trampoline_kernelINS0_14default_configENS1_25partition_config_selectorILNS1_17partition_subalgoE6EjNS0_10empty_typeEbEEZZNS1_14partition_implILS5_6ELb0ES3_mN6thrust23THRUST_200600_302600_NS6detail15normal_iteratorINSA_10device_ptrIjEEEEPS6_SG_NS0_5tupleIJNSA_16discard_iteratorINSA_11use_defaultEEES6_EEENSH_IJSG_SG_EEES6_PlJNSB_9not_fun_tINSB_14equal_to_valueIjEEEEEEE10hipError_tPvRmT3_T4_T5_T6_T7_T9_mT8_P12ihipStream_tbDpT10_ENKUlT_T0_E_clISt17integral_constantIbLb0EES1B_EEDaS16_S17_EUlS16_E_NS1_11comp_targetILNS1_3genE5ELNS1_11target_archE942ELNS1_3gpuE9ELNS1_3repE0EEENS1_30default_config_static_selectorELNS0_4arch9wavefront6targetE0EEEvT1_,"axG",@progbits,_ZN7rocprim17ROCPRIM_400000_NS6detail17trampoline_kernelINS0_14default_configENS1_25partition_config_selectorILNS1_17partition_subalgoE6EjNS0_10empty_typeEbEEZZNS1_14partition_implILS5_6ELb0ES3_mN6thrust23THRUST_200600_302600_NS6detail15normal_iteratorINSA_10device_ptrIjEEEEPS6_SG_NS0_5tupleIJNSA_16discard_iteratorINSA_11use_defaultEEES6_EEENSH_IJSG_SG_EEES6_PlJNSB_9not_fun_tINSB_14equal_to_valueIjEEEEEEE10hipError_tPvRmT3_T4_T5_T6_T7_T9_mT8_P12ihipStream_tbDpT10_ENKUlT_T0_E_clISt17integral_constantIbLb0EES1B_EEDaS16_S17_EUlS16_E_NS1_11comp_targetILNS1_3genE5ELNS1_11target_archE942ELNS1_3gpuE9ELNS1_3repE0EEENS1_30default_config_static_selectorELNS0_4arch9wavefront6targetE0EEEvT1_,comdat
	.protected	_ZN7rocprim17ROCPRIM_400000_NS6detail17trampoline_kernelINS0_14default_configENS1_25partition_config_selectorILNS1_17partition_subalgoE6EjNS0_10empty_typeEbEEZZNS1_14partition_implILS5_6ELb0ES3_mN6thrust23THRUST_200600_302600_NS6detail15normal_iteratorINSA_10device_ptrIjEEEEPS6_SG_NS0_5tupleIJNSA_16discard_iteratorINSA_11use_defaultEEES6_EEENSH_IJSG_SG_EEES6_PlJNSB_9not_fun_tINSB_14equal_to_valueIjEEEEEEE10hipError_tPvRmT3_T4_T5_T6_T7_T9_mT8_P12ihipStream_tbDpT10_ENKUlT_T0_E_clISt17integral_constantIbLb0EES1B_EEDaS16_S17_EUlS16_E_NS1_11comp_targetILNS1_3genE5ELNS1_11target_archE942ELNS1_3gpuE9ELNS1_3repE0EEENS1_30default_config_static_selectorELNS0_4arch9wavefront6targetE0EEEvT1_ ; -- Begin function _ZN7rocprim17ROCPRIM_400000_NS6detail17trampoline_kernelINS0_14default_configENS1_25partition_config_selectorILNS1_17partition_subalgoE6EjNS0_10empty_typeEbEEZZNS1_14partition_implILS5_6ELb0ES3_mN6thrust23THRUST_200600_302600_NS6detail15normal_iteratorINSA_10device_ptrIjEEEEPS6_SG_NS0_5tupleIJNSA_16discard_iteratorINSA_11use_defaultEEES6_EEENSH_IJSG_SG_EEES6_PlJNSB_9not_fun_tINSB_14equal_to_valueIjEEEEEEE10hipError_tPvRmT3_T4_T5_T6_T7_T9_mT8_P12ihipStream_tbDpT10_ENKUlT_T0_E_clISt17integral_constantIbLb0EES1B_EEDaS16_S17_EUlS16_E_NS1_11comp_targetILNS1_3genE5ELNS1_11target_archE942ELNS1_3gpuE9ELNS1_3repE0EEENS1_30default_config_static_selectorELNS0_4arch9wavefront6targetE0EEEvT1_
	.globl	_ZN7rocprim17ROCPRIM_400000_NS6detail17trampoline_kernelINS0_14default_configENS1_25partition_config_selectorILNS1_17partition_subalgoE6EjNS0_10empty_typeEbEEZZNS1_14partition_implILS5_6ELb0ES3_mN6thrust23THRUST_200600_302600_NS6detail15normal_iteratorINSA_10device_ptrIjEEEEPS6_SG_NS0_5tupleIJNSA_16discard_iteratorINSA_11use_defaultEEES6_EEENSH_IJSG_SG_EEES6_PlJNSB_9not_fun_tINSB_14equal_to_valueIjEEEEEEE10hipError_tPvRmT3_T4_T5_T6_T7_T9_mT8_P12ihipStream_tbDpT10_ENKUlT_T0_E_clISt17integral_constantIbLb0EES1B_EEDaS16_S17_EUlS16_E_NS1_11comp_targetILNS1_3genE5ELNS1_11target_archE942ELNS1_3gpuE9ELNS1_3repE0EEENS1_30default_config_static_selectorELNS0_4arch9wavefront6targetE0EEEvT1_
	.p2align	8
	.type	_ZN7rocprim17ROCPRIM_400000_NS6detail17trampoline_kernelINS0_14default_configENS1_25partition_config_selectorILNS1_17partition_subalgoE6EjNS0_10empty_typeEbEEZZNS1_14partition_implILS5_6ELb0ES3_mN6thrust23THRUST_200600_302600_NS6detail15normal_iteratorINSA_10device_ptrIjEEEEPS6_SG_NS0_5tupleIJNSA_16discard_iteratorINSA_11use_defaultEEES6_EEENSH_IJSG_SG_EEES6_PlJNSB_9not_fun_tINSB_14equal_to_valueIjEEEEEEE10hipError_tPvRmT3_T4_T5_T6_T7_T9_mT8_P12ihipStream_tbDpT10_ENKUlT_T0_E_clISt17integral_constantIbLb0EES1B_EEDaS16_S17_EUlS16_E_NS1_11comp_targetILNS1_3genE5ELNS1_11target_archE942ELNS1_3gpuE9ELNS1_3repE0EEENS1_30default_config_static_selectorELNS0_4arch9wavefront6targetE0EEEvT1_,@function
_ZN7rocprim17ROCPRIM_400000_NS6detail17trampoline_kernelINS0_14default_configENS1_25partition_config_selectorILNS1_17partition_subalgoE6EjNS0_10empty_typeEbEEZZNS1_14partition_implILS5_6ELb0ES3_mN6thrust23THRUST_200600_302600_NS6detail15normal_iteratorINSA_10device_ptrIjEEEEPS6_SG_NS0_5tupleIJNSA_16discard_iteratorINSA_11use_defaultEEES6_EEENSH_IJSG_SG_EEES6_PlJNSB_9not_fun_tINSB_14equal_to_valueIjEEEEEEE10hipError_tPvRmT3_T4_T5_T6_T7_T9_mT8_P12ihipStream_tbDpT10_ENKUlT_T0_E_clISt17integral_constantIbLb0EES1B_EEDaS16_S17_EUlS16_E_NS1_11comp_targetILNS1_3genE5ELNS1_11target_archE942ELNS1_3gpuE9ELNS1_3repE0EEENS1_30default_config_static_selectorELNS0_4arch9wavefront6targetE0EEEvT1_: ; @_ZN7rocprim17ROCPRIM_400000_NS6detail17trampoline_kernelINS0_14default_configENS1_25partition_config_selectorILNS1_17partition_subalgoE6EjNS0_10empty_typeEbEEZZNS1_14partition_implILS5_6ELb0ES3_mN6thrust23THRUST_200600_302600_NS6detail15normal_iteratorINSA_10device_ptrIjEEEEPS6_SG_NS0_5tupleIJNSA_16discard_iteratorINSA_11use_defaultEEES6_EEENSH_IJSG_SG_EEES6_PlJNSB_9not_fun_tINSB_14equal_to_valueIjEEEEEEE10hipError_tPvRmT3_T4_T5_T6_T7_T9_mT8_P12ihipStream_tbDpT10_ENKUlT_T0_E_clISt17integral_constantIbLb0EES1B_EEDaS16_S17_EUlS16_E_NS1_11comp_targetILNS1_3genE5ELNS1_11target_archE942ELNS1_3gpuE9ELNS1_3repE0EEENS1_30default_config_static_selectorELNS0_4arch9wavefront6targetE0EEEvT1_
; %bb.0:
	.section	.rodata,"a",@progbits
	.p2align	6, 0x0
	.amdhsa_kernel _ZN7rocprim17ROCPRIM_400000_NS6detail17trampoline_kernelINS0_14default_configENS1_25partition_config_selectorILNS1_17partition_subalgoE6EjNS0_10empty_typeEbEEZZNS1_14partition_implILS5_6ELb0ES3_mN6thrust23THRUST_200600_302600_NS6detail15normal_iteratorINSA_10device_ptrIjEEEEPS6_SG_NS0_5tupleIJNSA_16discard_iteratorINSA_11use_defaultEEES6_EEENSH_IJSG_SG_EEES6_PlJNSB_9not_fun_tINSB_14equal_to_valueIjEEEEEEE10hipError_tPvRmT3_T4_T5_T6_T7_T9_mT8_P12ihipStream_tbDpT10_ENKUlT_T0_E_clISt17integral_constantIbLb0EES1B_EEDaS16_S17_EUlS16_E_NS1_11comp_targetILNS1_3genE5ELNS1_11target_archE942ELNS1_3gpuE9ELNS1_3repE0EEENS1_30default_config_static_selectorELNS0_4arch9wavefront6targetE0EEEvT1_
		.amdhsa_group_segment_fixed_size 0
		.amdhsa_private_segment_fixed_size 0
		.amdhsa_kernarg_size 128
		.amdhsa_user_sgpr_count 2
		.amdhsa_user_sgpr_dispatch_ptr 0
		.amdhsa_user_sgpr_queue_ptr 0
		.amdhsa_user_sgpr_kernarg_segment_ptr 1
		.amdhsa_user_sgpr_dispatch_id 0
		.amdhsa_user_sgpr_private_segment_size 0
		.amdhsa_wavefront_size32 1
		.amdhsa_uses_dynamic_stack 0
		.amdhsa_enable_private_segment 0
		.amdhsa_system_sgpr_workgroup_id_x 1
		.amdhsa_system_sgpr_workgroup_id_y 0
		.amdhsa_system_sgpr_workgroup_id_z 0
		.amdhsa_system_sgpr_workgroup_info 0
		.amdhsa_system_vgpr_workitem_id 0
		.amdhsa_next_free_vgpr 1
		.amdhsa_next_free_sgpr 1
		.amdhsa_reserve_vcc 0
		.amdhsa_float_round_mode_32 0
		.amdhsa_float_round_mode_16_64 0
		.amdhsa_float_denorm_mode_32 3
		.amdhsa_float_denorm_mode_16_64 3
		.amdhsa_fp16_overflow 0
		.amdhsa_workgroup_processor_mode 1
		.amdhsa_memory_ordered 1
		.amdhsa_forward_progress 1
		.amdhsa_inst_pref_size 0
		.amdhsa_round_robin_scheduling 0
		.amdhsa_exception_fp_ieee_invalid_op 0
		.amdhsa_exception_fp_denorm_src 0
		.amdhsa_exception_fp_ieee_div_zero 0
		.amdhsa_exception_fp_ieee_overflow 0
		.amdhsa_exception_fp_ieee_underflow 0
		.amdhsa_exception_fp_ieee_inexact 0
		.amdhsa_exception_int_div_zero 0
	.end_amdhsa_kernel
	.section	.text._ZN7rocprim17ROCPRIM_400000_NS6detail17trampoline_kernelINS0_14default_configENS1_25partition_config_selectorILNS1_17partition_subalgoE6EjNS0_10empty_typeEbEEZZNS1_14partition_implILS5_6ELb0ES3_mN6thrust23THRUST_200600_302600_NS6detail15normal_iteratorINSA_10device_ptrIjEEEEPS6_SG_NS0_5tupleIJNSA_16discard_iteratorINSA_11use_defaultEEES6_EEENSH_IJSG_SG_EEES6_PlJNSB_9not_fun_tINSB_14equal_to_valueIjEEEEEEE10hipError_tPvRmT3_T4_T5_T6_T7_T9_mT8_P12ihipStream_tbDpT10_ENKUlT_T0_E_clISt17integral_constantIbLb0EES1B_EEDaS16_S17_EUlS16_E_NS1_11comp_targetILNS1_3genE5ELNS1_11target_archE942ELNS1_3gpuE9ELNS1_3repE0EEENS1_30default_config_static_selectorELNS0_4arch9wavefront6targetE0EEEvT1_,"axG",@progbits,_ZN7rocprim17ROCPRIM_400000_NS6detail17trampoline_kernelINS0_14default_configENS1_25partition_config_selectorILNS1_17partition_subalgoE6EjNS0_10empty_typeEbEEZZNS1_14partition_implILS5_6ELb0ES3_mN6thrust23THRUST_200600_302600_NS6detail15normal_iteratorINSA_10device_ptrIjEEEEPS6_SG_NS0_5tupleIJNSA_16discard_iteratorINSA_11use_defaultEEES6_EEENSH_IJSG_SG_EEES6_PlJNSB_9not_fun_tINSB_14equal_to_valueIjEEEEEEE10hipError_tPvRmT3_T4_T5_T6_T7_T9_mT8_P12ihipStream_tbDpT10_ENKUlT_T0_E_clISt17integral_constantIbLb0EES1B_EEDaS16_S17_EUlS16_E_NS1_11comp_targetILNS1_3genE5ELNS1_11target_archE942ELNS1_3gpuE9ELNS1_3repE0EEENS1_30default_config_static_selectorELNS0_4arch9wavefront6targetE0EEEvT1_,comdat
.Lfunc_end1662:
	.size	_ZN7rocprim17ROCPRIM_400000_NS6detail17trampoline_kernelINS0_14default_configENS1_25partition_config_selectorILNS1_17partition_subalgoE6EjNS0_10empty_typeEbEEZZNS1_14partition_implILS5_6ELb0ES3_mN6thrust23THRUST_200600_302600_NS6detail15normal_iteratorINSA_10device_ptrIjEEEEPS6_SG_NS0_5tupleIJNSA_16discard_iteratorINSA_11use_defaultEEES6_EEENSH_IJSG_SG_EEES6_PlJNSB_9not_fun_tINSB_14equal_to_valueIjEEEEEEE10hipError_tPvRmT3_T4_T5_T6_T7_T9_mT8_P12ihipStream_tbDpT10_ENKUlT_T0_E_clISt17integral_constantIbLb0EES1B_EEDaS16_S17_EUlS16_E_NS1_11comp_targetILNS1_3genE5ELNS1_11target_archE942ELNS1_3gpuE9ELNS1_3repE0EEENS1_30default_config_static_selectorELNS0_4arch9wavefront6targetE0EEEvT1_, .Lfunc_end1662-_ZN7rocprim17ROCPRIM_400000_NS6detail17trampoline_kernelINS0_14default_configENS1_25partition_config_selectorILNS1_17partition_subalgoE6EjNS0_10empty_typeEbEEZZNS1_14partition_implILS5_6ELb0ES3_mN6thrust23THRUST_200600_302600_NS6detail15normal_iteratorINSA_10device_ptrIjEEEEPS6_SG_NS0_5tupleIJNSA_16discard_iteratorINSA_11use_defaultEEES6_EEENSH_IJSG_SG_EEES6_PlJNSB_9not_fun_tINSB_14equal_to_valueIjEEEEEEE10hipError_tPvRmT3_T4_T5_T6_T7_T9_mT8_P12ihipStream_tbDpT10_ENKUlT_T0_E_clISt17integral_constantIbLb0EES1B_EEDaS16_S17_EUlS16_E_NS1_11comp_targetILNS1_3genE5ELNS1_11target_archE942ELNS1_3gpuE9ELNS1_3repE0EEENS1_30default_config_static_selectorELNS0_4arch9wavefront6targetE0EEEvT1_
                                        ; -- End function
	.set _ZN7rocprim17ROCPRIM_400000_NS6detail17trampoline_kernelINS0_14default_configENS1_25partition_config_selectorILNS1_17partition_subalgoE6EjNS0_10empty_typeEbEEZZNS1_14partition_implILS5_6ELb0ES3_mN6thrust23THRUST_200600_302600_NS6detail15normal_iteratorINSA_10device_ptrIjEEEEPS6_SG_NS0_5tupleIJNSA_16discard_iteratorINSA_11use_defaultEEES6_EEENSH_IJSG_SG_EEES6_PlJNSB_9not_fun_tINSB_14equal_to_valueIjEEEEEEE10hipError_tPvRmT3_T4_T5_T6_T7_T9_mT8_P12ihipStream_tbDpT10_ENKUlT_T0_E_clISt17integral_constantIbLb0EES1B_EEDaS16_S17_EUlS16_E_NS1_11comp_targetILNS1_3genE5ELNS1_11target_archE942ELNS1_3gpuE9ELNS1_3repE0EEENS1_30default_config_static_selectorELNS0_4arch9wavefront6targetE0EEEvT1_.num_vgpr, 0
	.set _ZN7rocprim17ROCPRIM_400000_NS6detail17trampoline_kernelINS0_14default_configENS1_25partition_config_selectorILNS1_17partition_subalgoE6EjNS0_10empty_typeEbEEZZNS1_14partition_implILS5_6ELb0ES3_mN6thrust23THRUST_200600_302600_NS6detail15normal_iteratorINSA_10device_ptrIjEEEEPS6_SG_NS0_5tupleIJNSA_16discard_iteratorINSA_11use_defaultEEES6_EEENSH_IJSG_SG_EEES6_PlJNSB_9not_fun_tINSB_14equal_to_valueIjEEEEEEE10hipError_tPvRmT3_T4_T5_T6_T7_T9_mT8_P12ihipStream_tbDpT10_ENKUlT_T0_E_clISt17integral_constantIbLb0EES1B_EEDaS16_S17_EUlS16_E_NS1_11comp_targetILNS1_3genE5ELNS1_11target_archE942ELNS1_3gpuE9ELNS1_3repE0EEENS1_30default_config_static_selectorELNS0_4arch9wavefront6targetE0EEEvT1_.num_agpr, 0
	.set _ZN7rocprim17ROCPRIM_400000_NS6detail17trampoline_kernelINS0_14default_configENS1_25partition_config_selectorILNS1_17partition_subalgoE6EjNS0_10empty_typeEbEEZZNS1_14partition_implILS5_6ELb0ES3_mN6thrust23THRUST_200600_302600_NS6detail15normal_iteratorINSA_10device_ptrIjEEEEPS6_SG_NS0_5tupleIJNSA_16discard_iteratorINSA_11use_defaultEEES6_EEENSH_IJSG_SG_EEES6_PlJNSB_9not_fun_tINSB_14equal_to_valueIjEEEEEEE10hipError_tPvRmT3_T4_T5_T6_T7_T9_mT8_P12ihipStream_tbDpT10_ENKUlT_T0_E_clISt17integral_constantIbLb0EES1B_EEDaS16_S17_EUlS16_E_NS1_11comp_targetILNS1_3genE5ELNS1_11target_archE942ELNS1_3gpuE9ELNS1_3repE0EEENS1_30default_config_static_selectorELNS0_4arch9wavefront6targetE0EEEvT1_.numbered_sgpr, 0
	.set _ZN7rocprim17ROCPRIM_400000_NS6detail17trampoline_kernelINS0_14default_configENS1_25partition_config_selectorILNS1_17partition_subalgoE6EjNS0_10empty_typeEbEEZZNS1_14partition_implILS5_6ELb0ES3_mN6thrust23THRUST_200600_302600_NS6detail15normal_iteratorINSA_10device_ptrIjEEEEPS6_SG_NS0_5tupleIJNSA_16discard_iteratorINSA_11use_defaultEEES6_EEENSH_IJSG_SG_EEES6_PlJNSB_9not_fun_tINSB_14equal_to_valueIjEEEEEEE10hipError_tPvRmT3_T4_T5_T6_T7_T9_mT8_P12ihipStream_tbDpT10_ENKUlT_T0_E_clISt17integral_constantIbLb0EES1B_EEDaS16_S17_EUlS16_E_NS1_11comp_targetILNS1_3genE5ELNS1_11target_archE942ELNS1_3gpuE9ELNS1_3repE0EEENS1_30default_config_static_selectorELNS0_4arch9wavefront6targetE0EEEvT1_.num_named_barrier, 0
	.set _ZN7rocprim17ROCPRIM_400000_NS6detail17trampoline_kernelINS0_14default_configENS1_25partition_config_selectorILNS1_17partition_subalgoE6EjNS0_10empty_typeEbEEZZNS1_14partition_implILS5_6ELb0ES3_mN6thrust23THRUST_200600_302600_NS6detail15normal_iteratorINSA_10device_ptrIjEEEEPS6_SG_NS0_5tupleIJNSA_16discard_iteratorINSA_11use_defaultEEES6_EEENSH_IJSG_SG_EEES6_PlJNSB_9not_fun_tINSB_14equal_to_valueIjEEEEEEE10hipError_tPvRmT3_T4_T5_T6_T7_T9_mT8_P12ihipStream_tbDpT10_ENKUlT_T0_E_clISt17integral_constantIbLb0EES1B_EEDaS16_S17_EUlS16_E_NS1_11comp_targetILNS1_3genE5ELNS1_11target_archE942ELNS1_3gpuE9ELNS1_3repE0EEENS1_30default_config_static_selectorELNS0_4arch9wavefront6targetE0EEEvT1_.private_seg_size, 0
	.set _ZN7rocprim17ROCPRIM_400000_NS6detail17trampoline_kernelINS0_14default_configENS1_25partition_config_selectorILNS1_17partition_subalgoE6EjNS0_10empty_typeEbEEZZNS1_14partition_implILS5_6ELb0ES3_mN6thrust23THRUST_200600_302600_NS6detail15normal_iteratorINSA_10device_ptrIjEEEEPS6_SG_NS0_5tupleIJNSA_16discard_iteratorINSA_11use_defaultEEES6_EEENSH_IJSG_SG_EEES6_PlJNSB_9not_fun_tINSB_14equal_to_valueIjEEEEEEE10hipError_tPvRmT3_T4_T5_T6_T7_T9_mT8_P12ihipStream_tbDpT10_ENKUlT_T0_E_clISt17integral_constantIbLb0EES1B_EEDaS16_S17_EUlS16_E_NS1_11comp_targetILNS1_3genE5ELNS1_11target_archE942ELNS1_3gpuE9ELNS1_3repE0EEENS1_30default_config_static_selectorELNS0_4arch9wavefront6targetE0EEEvT1_.uses_vcc, 0
	.set _ZN7rocprim17ROCPRIM_400000_NS6detail17trampoline_kernelINS0_14default_configENS1_25partition_config_selectorILNS1_17partition_subalgoE6EjNS0_10empty_typeEbEEZZNS1_14partition_implILS5_6ELb0ES3_mN6thrust23THRUST_200600_302600_NS6detail15normal_iteratorINSA_10device_ptrIjEEEEPS6_SG_NS0_5tupleIJNSA_16discard_iteratorINSA_11use_defaultEEES6_EEENSH_IJSG_SG_EEES6_PlJNSB_9not_fun_tINSB_14equal_to_valueIjEEEEEEE10hipError_tPvRmT3_T4_T5_T6_T7_T9_mT8_P12ihipStream_tbDpT10_ENKUlT_T0_E_clISt17integral_constantIbLb0EES1B_EEDaS16_S17_EUlS16_E_NS1_11comp_targetILNS1_3genE5ELNS1_11target_archE942ELNS1_3gpuE9ELNS1_3repE0EEENS1_30default_config_static_selectorELNS0_4arch9wavefront6targetE0EEEvT1_.uses_flat_scratch, 0
	.set _ZN7rocprim17ROCPRIM_400000_NS6detail17trampoline_kernelINS0_14default_configENS1_25partition_config_selectorILNS1_17partition_subalgoE6EjNS0_10empty_typeEbEEZZNS1_14partition_implILS5_6ELb0ES3_mN6thrust23THRUST_200600_302600_NS6detail15normal_iteratorINSA_10device_ptrIjEEEEPS6_SG_NS0_5tupleIJNSA_16discard_iteratorINSA_11use_defaultEEES6_EEENSH_IJSG_SG_EEES6_PlJNSB_9not_fun_tINSB_14equal_to_valueIjEEEEEEE10hipError_tPvRmT3_T4_T5_T6_T7_T9_mT8_P12ihipStream_tbDpT10_ENKUlT_T0_E_clISt17integral_constantIbLb0EES1B_EEDaS16_S17_EUlS16_E_NS1_11comp_targetILNS1_3genE5ELNS1_11target_archE942ELNS1_3gpuE9ELNS1_3repE0EEENS1_30default_config_static_selectorELNS0_4arch9wavefront6targetE0EEEvT1_.has_dyn_sized_stack, 0
	.set _ZN7rocprim17ROCPRIM_400000_NS6detail17trampoline_kernelINS0_14default_configENS1_25partition_config_selectorILNS1_17partition_subalgoE6EjNS0_10empty_typeEbEEZZNS1_14partition_implILS5_6ELb0ES3_mN6thrust23THRUST_200600_302600_NS6detail15normal_iteratorINSA_10device_ptrIjEEEEPS6_SG_NS0_5tupleIJNSA_16discard_iteratorINSA_11use_defaultEEES6_EEENSH_IJSG_SG_EEES6_PlJNSB_9not_fun_tINSB_14equal_to_valueIjEEEEEEE10hipError_tPvRmT3_T4_T5_T6_T7_T9_mT8_P12ihipStream_tbDpT10_ENKUlT_T0_E_clISt17integral_constantIbLb0EES1B_EEDaS16_S17_EUlS16_E_NS1_11comp_targetILNS1_3genE5ELNS1_11target_archE942ELNS1_3gpuE9ELNS1_3repE0EEENS1_30default_config_static_selectorELNS0_4arch9wavefront6targetE0EEEvT1_.has_recursion, 0
	.set _ZN7rocprim17ROCPRIM_400000_NS6detail17trampoline_kernelINS0_14default_configENS1_25partition_config_selectorILNS1_17partition_subalgoE6EjNS0_10empty_typeEbEEZZNS1_14partition_implILS5_6ELb0ES3_mN6thrust23THRUST_200600_302600_NS6detail15normal_iteratorINSA_10device_ptrIjEEEEPS6_SG_NS0_5tupleIJNSA_16discard_iteratorINSA_11use_defaultEEES6_EEENSH_IJSG_SG_EEES6_PlJNSB_9not_fun_tINSB_14equal_to_valueIjEEEEEEE10hipError_tPvRmT3_T4_T5_T6_T7_T9_mT8_P12ihipStream_tbDpT10_ENKUlT_T0_E_clISt17integral_constantIbLb0EES1B_EEDaS16_S17_EUlS16_E_NS1_11comp_targetILNS1_3genE5ELNS1_11target_archE942ELNS1_3gpuE9ELNS1_3repE0EEENS1_30default_config_static_selectorELNS0_4arch9wavefront6targetE0EEEvT1_.has_indirect_call, 0
	.section	.AMDGPU.csdata,"",@progbits
; Kernel info:
; codeLenInByte = 0
; TotalNumSgprs: 0
; NumVgprs: 0
; ScratchSize: 0
; MemoryBound: 0
; FloatMode: 240
; IeeeMode: 1
; LDSByteSize: 0 bytes/workgroup (compile time only)
; SGPRBlocks: 0
; VGPRBlocks: 0
; NumSGPRsForWavesPerEU: 1
; NumVGPRsForWavesPerEU: 1
; Occupancy: 16
; WaveLimiterHint : 0
; COMPUTE_PGM_RSRC2:SCRATCH_EN: 0
; COMPUTE_PGM_RSRC2:USER_SGPR: 2
; COMPUTE_PGM_RSRC2:TRAP_HANDLER: 0
; COMPUTE_PGM_RSRC2:TGID_X_EN: 1
; COMPUTE_PGM_RSRC2:TGID_Y_EN: 0
; COMPUTE_PGM_RSRC2:TGID_Z_EN: 0
; COMPUTE_PGM_RSRC2:TIDIG_COMP_CNT: 0
	.section	.text._ZN7rocprim17ROCPRIM_400000_NS6detail17trampoline_kernelINS0_14default_configENS1_25partition_config_selectorILNS1_17partition_subalgoE6EjNS0_10empty_typeEbEEZZNS1_14partition_implILS5_6ELb0ES3_mN6thrust23THRUST_200600_302600_NS6detail15normal_iteratorINSA_10device_ptrIjEEEEPS6_SG_NS0_5tupleIJNSA_16discard_iteratorINSA_11use_defaultEEES6_EEENSH_IJSG_SG_EEES6_PlJNSB_9not_fun_tINSB_14equal_to_valueIjEEEEEEE10hipError_tPvRmT3_T4_T5_T6_T7_T9_mT8_P12ihipStream_tbDpT10_ENKUlT_T0_E_clISt17integral_constantIbLb0EES1B_EEDaS16_S17_EUlS16_E_NS1_11comp_targetILNS1_3genE4ELNS1_11target_archE910ELNS1_3gpuE8ELNS1_3repE0EEENS1_30default_config_static_selectorELNS0_4arch9wavefront6targetE0EEEvT1_,"axG",@progbits,_ZN7rocprim17ROCPRIM_400000_NS6detail17trampoline_kernelINS0_14default_configENS1_25partition_config_selectorILNS1_17partition_subalgoE6EjNS0_10empty_typeEbEEZZNS1_14partition_implILS5_6ELb0ES3_mN6thrust23THRUST_200600_302600_NS6detail15normal_iteratorINSA_10device_ptrIjEEEEPS6_SG_NS0_5tupleIJNSA_16discard_iteratorINSA_11use_defaultEEES6_EEENSH_IJSG_SG_EEES6_PlJNSB_9not_fun_tINSB_14equal_to_valueIjEEEEEEE10hipError_tPvRmT3_T4_T5_T6_T7_T9_mT8_P12ihipStream_tbDpT10_ENKUlT_T0_E_clISt17integral_constantIbLb0EES1B_EEDaS16_S17_EUlS16_E_NS1_11comp_targetILNS1_3genE4ELNS1_11target_archE910ELNS1_3gpuE8ELNS1_3repE0EEENS1_30default_config_static_selectorELNS0_4arch9wavefront6targetE0EEEvT1_,comdat
	.protected	_ZN7rocprim17ROCPRIM_400000_NS6detail17trampoline_kernelINS0_14default_configENS1_25partition_config_selectorILNS1_17partition_subalgoE6EjNS0_10empty_typeEbEEZZNS1_14partition_implILS5_6ELb0ES3_mN6thrust23THRUST_200600_302600_NS6detail15normal_iteratorINSA_10device_ptrIjEEEEPS6_SG_NS0_5tupleIJNSA_16discard_iteratorINSA_11use_defaultEEES6_EEENSH_IJSG_SG_EEES6_PlJNSB_9not_fun_tINSB_14equal_to_valueIjEEEEEEE10hipError_tPvRmT3_T4_T5_T6_T7_T9_mT8_P12ihipStream_tbDpT10_ENKUlT_T0_E_clISt17integral_constantIbLb0EES1B_EEDaS16_S17_EUlS16_E_NS1_11comp_targetILNS1_3genE4ELNS1_11target_archE910ELNS1_3gpuE8ELNS1_3repE0EEENS1_30default_config_static_selectorELNS0_4arch9wavefront6targetE0EEEvT1_ ; -- Begin function _ZN7rocprim17ROCPRIM_400000_NS6detail17trampoline_kernelINS0_14default_configENS1_25partition_config_selectorILNS1_17partition_subalgoE6EjNS0_10empty_typeEbEEZZNS1_14partition_implILS5_6ELb0ES3_mN6thrust23THRUST_200600_302600_NS6detail15normal_iteratorINSA_10device_ptrIjEEEEPS6_SG_NS0_5tupleIJNSA_16discard_iteratorINSA_11use_defaultEEES6_EEENSH_IJSG_SG_EEES6_PlJNSB_9not_fun_tINSB_14equal_to_valueIjEEEEEEE10hipError_tPvRmT3_T4_T5_T6_T7_T9_mT8_P12ihipStream_tbDpT10_ENKUlT_T0_E_clISt17integral_constantIbLb0EES1B_EEDaS16_S17_EUlS16_E_NS1_11comp_targetILNS1_3genE4ELNS1_11target_archE910ELNS1_3gpuE8ELNS1_3repE0EEENS1_30default_config_static_selectorELNS0_4arch9wavefront6targetE0EEEvT1_
	.globl	_ZN7rocprim17ROCPRIM_400000_NS6detail17trampoline_kernelINS0_14default_configENS1_25partition_config_selectorILNS1_17partition_subalgoE6EjNS0_10empty_typeEbEEZZNS1_14partition_implILS5_6ELb0ES3_mN6thrust23THRUST_200600_302600_NS6detail15normal_iteratorINSA_10device_ptrIjEEEEPS6_SG_NS0_5tupleIJNSA_16discard_iteratorINSA_11use_defaultEEES6_EEENSH_IJSG_SG_EEES6_PlJNSB_9not_fun_tINSB_14equal_to_valueIjEEEEEEE10hipError_tPvRmT3_T4_T5_T6_T7_T9_mT8_P12ihipStream_tbDpT10_ENKUlT_T0_E_clISt17integral_constantIbLb0EES1B_EEDaS16_S17_EUlS16_E_NS1_11comp_targetILNS1_3genE4ELNS1_11target_archE910ELNS1_3gpuE8ELNS1_3repE0EEENS1_30default_config_static_selectorELNS0_4arch9wavefront6targetE0EEEvT1_
	.p2align	8
	.type	_ZN7rocprim17ROCPRIM_400000_NS6detail17trampoline_kernelINS0_14default_configENS1_25partition_config_selectorILNS1_17partition_subalgoE6EjNS0_10empty_typeEbEEZZNS1_14partition_implILS5_6ELb0ES3_mN6thrust23THRUST_200600_302600_NS6detail15normal_iteratorINSA_10device_ptrIjEEEEPS6_SG_NS0_5tupleIJNSA_16discard_iteratorINSA_11use_defaultEEES6_EEENSH_IJSG_SG_EEES6_PlJNSB_9not_fun_tINSB_14equal_to_valueIjEEEEEEE10hipError_tPvRmT3_T4_T5_T6_T7_T9_mT8_P12ihipStream_tbDpT10_ENKUlT_T0_E_clISt17integral_constantIbLb0EES1B_EEDaS16_S17_EUlS16_E_NS1_11comp_targetILNS1_3genE4ELNS1_11target_archE910ELNS1_3gpuE8ELNS1_3repE0EEENS1_30default_config_static_selectorELNS0_4arch9wavefront6targetE0EEEvT1_,@function
_ZN7rocprim17ROCPRIM_400000_NS6detail17trampoline_kernelINS0_14default_configENS1_25partition_config_selectorILNS1_17partition_subalgoE6EjNS0_10empty_typeEbEEZZNS1_14partition_implILS5_6ELb0ES3_mN6thrust23THRUST_200600_302600_NS6detail15normal_iteratorINSA_10device_ptrIjEEEEPS6_SG_NS0_5tupleIJNSA_16discard_iteratorINSA_11use_defaultEEES6_EEENSH_IJSG_SG_EEES6_PlJNSB_9not_fun_tINSB_14equal_to_valueIjEEEEEEE10hipError_tPvRmT3_T4_T5_T6_T7_T9_mT8_P12ihipStream_tbDpT10_ENKUlT_T0_E_clISt17integral_constantIbLb0EES1B_EEDaS16_S17_EUlS16_E_NS1_11comp_targetILNS1_3genE4ELNS1_11target_archE910ELNS1_3gpuE8ELNS1_3repE0EEENS1_30default_config_static_selectorELNS0_4arch9wavefront6targetE0EEEvT1_: ; @_ZN7rocprim17ROCPRIM_400000_NS6detail17trampoline_kernelINS0_14default_configENS1_25partition_config_selectorILNS1_17partition_subalgoE6EjNS0_10empty_typeEbEEZZNS1_14partition_implILS5_6ELb0ES3_mN6thrust23THRUST_200600_302600_NS6detail15normal_iteratorINSA_10device_ptrIjEEEEPS6_SG_NS0_5tupleIJNSA_16discard_iteratorINSA_11use_defaultEEES6_EEENSH_IJSG_SG_EEES6_PlJNSB_9not_fun_tINSB_14equal_to_valueIjEEEEEEE10hipError_tPvRmT3_T4_T5_T6_T7_T9_mT8_P12ihipStream_tbDpT10_ENKUlT_T0_E_clISt17integral_constantIbLb0EES1B_EEDaS16_S17_EUlS16_E_NS1_11comp_targetILNS1_3genE4ELNS1_11target_archE910ELNS1_3gpuE8ELNS1_3repE0EEENS1_30default_config_static_selectorELNS0_4arch9wavefront6targetE0EEEvT1_
; %bb.0:
	.section	.rodata,"a",@progbits
	.p2align	6, 0x0
	.amdhsa_kernel _ZN7rocprim17ROCPRIM_400000_NS6detail17trampoline_kernelINS0_14default_configENS1_25partition_config_selectorILNS1_17partition_subalgoE6EjNS0_10empty_typeEbEEZZNS1_14partition_implILS5_6ELb0ES3_mN6thrust23THRUST_200600_302600_NS6detail15normal_iteratorINSA_10device_ptrIjEEEEPS6_SG_NS0_5tupleIJNSA_16discard_iteratorINSA_11use_defaultEEES6_EEENSH_IJSG_SG_EEES6_PlJNSB_9not_fun_tINSB_14equal_to_valueIjEEEEEEE10hipError_tPvRmT3_T4_T5_T6_T7_T9_mT8_P12ihipStream_tbDpT10_ENKUlT_T0_E_clISt17integral_constantIbLb0EES1B_EEDaS16_S17_EUlS16_E_NS1_11comp_targetILNS1_3genE4ELNS1_11target_archE910ELNS1_3gpuE8ELNS1_3repE0EEENS1_30default_config_static_selectorELNS0_4arch9wavefront6targetE0EEEvT1_
		.amdhsa_group_segment_fixed_size 0
		.amdhsa_private_segment_fixed_size 0
		.amdhsa_kernarg_size 128
		.amdhsa_user_sgpr_count 2
		.amdhsa_user_sgpr_dispatch_ptr 0
		.amdhsa_user_sgpr_queue_ptr 0
		.amdhsa_user_sgpr_kernarg_segment_ptr 1
		.amdhsa_user_sgpr_dispatch_id 0
		.amdhsa_user_sgpr_private_segment_size 0
		.amdhsa_wavefront_size32 1
		.amdhsa_uses_dynamic_stack 0
		.amdhsa_enable_private_segment 0
		.amdhsa_system_sgpr_workgroup_id_x 1
		.amdhsa_system_sgpr_workgroup_id_y 0
		.amdhsa_system_sgpr_workgroup_id_z 0
		.amdhsa_system_sgpr_workgroup_info 0
		.amdhsa_system_vgpr_workitem_id 0
		.amdhsa_next_free_vgpr 1
		.amdhsa_next_free_sgpr 1
		.amdhsa_reserve_vcc 0
		.amdhsa_float_round_mode_32 0
		.amdhsa_float_round_mode_16_64 0
		.amdhsa_float_denorm_mode_32 3
		.amdhsa_float_denorm_mode_16_64 3
		.amdhsa_fp16_overflow 0
		.amdhsa_workgroup_processor_mode 1
		.amdhsa_memory_ordered 1
		.amdhsa_forward_progress 1
		.amdhsa_inst_pref_size 0
		.amdhsa_round_robin_scheduling 0
		.amdhsa_exception_fp_ieee_invalid_op 0
		.amdhsa_exception_fp_denorm_src 0
		.amdhsa_exception_fp_ieee_div_zero 0
		.amdhsa_exception_fp_ieee_overflow 0
		.amdhsa_exception_fp_ieee_underflow 0
		.amdhsa_exception_fp_ieee_inexact 0
		.amdhsa_exception_int_div_zero 0
	.end_amdhsa_kernel
	.section	.text._ZN7rocprim17ROCPRIM_400000_NS6detail17trampoline_kernelINS0_14default_configENS1_25partition_config_selectorILNS1_17partition_subalgoE6EjNS0_10empty_typeEbEEZZNS1_14partition_implILS5_6ELb0ES3_mN6thrust23THRUST_200600_302600_NS6detail15normal_iteratorINSA_10device_ptrIjEEEEPS6_SG_NS0_5tupleIJNSA_16discard_iteratorINSA_11use_defaultEEES6_EEENSH_IJSG_SG_EEES6_PlJNSB_9not_fun_tINSB_14equal_to_valueIjEEEEEEE10hipError_tPvRmT3_T4_T5_T6_T7_T9_mT8_P12ihipStream_tbDpT10_ENKUlT_T0_E_clISt17integral_constantIbLb0EES1B_EEDaS16_S17_EUlS16_E_NS1_11comp_targetILNS1_3genE4ELNS1_11target_archE910ELNS1_3gpuE8ELNS1_3repE0EEENS1_30default_config_static_selectorELNS0_4arch9wavefront6targetE0EEEvT1_,"axG",@progbits,_ZN7rocprim17ROCPRIM_400000_NS6detail17trampoline_kernelINS0_14default_configENS1_25partition_config_selectorILNS1_17partition_subalgoE6EjNS0_10empty_typeEbEEZZNS1_14partition_implILS5_6ELb0ES3_mN6thrust23THRUST_200600_302600_NS6detail15normal_iteratorINSA_10device_ptrIjEEEEPS6_SG_NS0_5tupleIJNSA_16discard_iteratorINSA_11use_defaultEEES6_EEENSH_IJSG_SG_EEES6_PlJNSB_9not_fun_tINSB_14equal_to_valueIjEEEEEEE10hipError_tPvRmT3_T4_T5_T6_T7_T9_mT8_P12ihipStream_tbDpT10_ENKUlT_T0_E_clISt17integral_constantIbLb0EES1B_EEDaS16_S17_EUlS16_E_NS1_11comp_targetILNS1_3genE4ELNS1_11target_archE910ELNS1_3gpuE8ELNS1_3repE0EEENS1_30default_config_static_selectorELNS0_4arch9wavefront6targetE0EEEvT1_,comdat
.Lfunc_end1663:
	.size	_ZN7rocprim17ROCPRIM_400000_NS6detail17trampoline_kernelINS0_14default_configENS1_25partition_config_selectorILNS1_17partition_subalgoE6EjNS0_10empty_typeEbEEZZNS1_14partition_implILS5_6ELb0ES3_mN6thrust23THRUST_200600_302600_NS6detail15normal_iteratorINSA_10device_ptrIjEEEEPS6_SG_NS0_5tupleIJNSA_16discard_iteratorINSA_11use_defaultEEES6_EEENSH_IJSG_SG_EEES6_PlJNSB_9not_fun_tINSB_14equal_to_valueIjEEEEEEE10hipError_tPvRmT3_T4_T5_T6_T7_T9_mT8_P12ihipStream_tbDpT10_ENKUlT_T0_E_clISt17integral_constantIbLb0EES1B_EEDaS16_S17_EUlS16_E_NS1_11comp_targetILNS1_3genE4ELNS1_11target_archE910ELNS1_3gpuE8ELNS1_3repE0EEENS1_30default_config_static_selectorELNS0_4arch9wavefront6targetE0EEEvT1_, .Lfunc_end1663-_ZN7rocprim17ROCPRIM_400000_NS6detail17trampoline_kernelINS0_14default_configENS1_25partition_config_selectorILNS1_17partition_subalgoE6EjNS0_10empty_typeEbEEZZNS1_14partition_implILS5_6ELb0ES3_mN6thrust23THRUST_200600_302600_NS6detail15normal_iteratorINSA_10device_ptrIjEEEEPS6_SG_NS0_5tupleIJNSA_16discard_iteratorINSA_11use_defaultEEES6_EEENSH_IJSG_SG_EEES6_PlJNSB_9not_fun_tINSB_14equal_to_valueIjEEEEEEE10hipError_tPvRmT3_T4_T5_T6_T7_T9_mT8_P12ihipStream_tbDpT10_ENKUlT_T0_E_clISt17integral_constantIbLb0EES1B_EEDaS16_S17_EUlS16_E_NS1_11comp_targetILNS1_3genE4ELNS1_11target_archE910ELNS1_3gpuE8ELNS1_3repE0EEENS1_30default_config_static_selectorELNS0_4arch9wavefront6targetE0EEEvT1_
                                        ; -- End function
	.set _ZN7rocprim17ROCPRIM_400000_NS6detail17trampoline_kernelINS0_14default_configENS1_25partition_config_selectorILNS1_17partition_subalgoE6EjNS0_10empty_typeEbEEZZNS1_14partition_implILS5_6ELb0ES3_mN6thrust23THRUST_200600_302600_NS6detail15normal_iteratorINSA_10device_ptrIjEEEEPS6_SG_NS0_5tupleIJNSA_16discard_iteratorINSA_11use_defaultEEES6_EEENSH_IJSG_SG_EEES6_PlJNSB_9not_fun_tINSB_14equal_to_valueIjEEEEEEE10hipError_tPvRmT3_T4_T5_T6_T7_T9_mT8_P12ihipStream_tbDpT10_ENKUlT_T0_E_clISt17integral_constantIbLb0EES1B_EEDaS16_S17_EUlS16_E_NS1_11comp_targetILNS1_3genE4ELNS1_11target_archE910ELNS1_3gpuE8ELNS1_3repE0EEENS1_30default_config_static_selectorELNS0_4arch9wavefront6targetE0EEEvT1_.num_vgpr, 0
	.set _ZN7rocprim17ROCPRIM_400000_NS6detail17trampoline_kernelINS0_14default_configENS1_25partition_config_selectorILNS1_17partition_subalgoE6EjNS0_10empty_typeEbEEZZNS1_14partition_implILS5_6ELb0ES3_mN6thrust23THRUST_200600_302600_NS6detail15normal_iteratorINSA_10device_ptrIjEEEEPS6_SG_NS0_5tupleIJNSA_16discard_iteratorINSA_11use_defaultEEES6_EEENSH_IJSG_SG_EEES6_PlJNSB_9not_fun_tINSB_14equal_to_valueIjEEEEEEE10hipError_tPvRmT3_T4_T5_T6_T7_T9_mT8_P12ihipStream_tbDpT10_ENKUlT_T0_E_clISt17integral_constantIbLb0EES1B_EEDaS16_S17_EUlS16_E_NS1_11comp_targetILNS1_3genE4ELNS1_11target_archE910ELNS1_3gpuE8ELNS1_3repE0EEENS1_30default_config_static_selectorELNS0_4arch9wavefront6targetE0EEEvT1_.num_agpr, 0
	.set _ZN7rocprim17ROCPRIM_400000_NS6detail17trampoline_kernelINS0_14default_configENS1_25partition_config_selectorILNS1_17partition_subalgoE6EjNS0_10empty_typeEbEEZZNS1_14partition_implILS5_6ELb0ES3_mN6thrust23THRUST_200600_302600_NS6detail15normal_iteratorINSA_10device_ptrIjEEEEPS6_SG_NS0_5tupleIJNSA_16discard_iteratorINSA_11use_defaultEEES6_EEENSH_IJSG_SG_EEES6_PlJNSB_9not_fun_tINSB_14equal_to_valueIjEEEEEEE10hipError_tPvRmT3_T4_T5_T6_T7_T9_mT8_P12ihipStream_tbDpT10_ENKUlT_T0_E_clISt17integral_constantIbLb0EES1B_EEDaS16_S17_EUlS16_E_NS1_11comp_targetILNS1_3genE4ELNS1_11target_archE910ELNS1_3gpuE8ELNS1_3repE0EEENS1_30default_config_static_selectorELNS0_4arch9wavefront6targetE0EEEvT1_.numbered_sgpr, 0
	.set _ZN7rocprim17ROCPRIM_400000_NS6detail17trampoline_kernelINS0_14default_configENS1_25partition_config_selectorILNS1_17partition_subalgoE6EjNS0_10empty_typeEbEEZZNS1_14partition_implILS5_6ELb0ES3_mN6thrust23THRUST_200600_302600_NS6detail15normal_iteratorINSA_10device_ptrIjEEEEPS6_SG_NS0_5tupleIJNSA_16discard_iteratorINSA_11use_defaultEEES6_EEENSH_IJSG_SG_EEES6_PlJNSB_9not_fun_tINSB_14equal_to_valueIjEEEEEEE10hipError_tPvRmT3_T4_T5_T6_T7_T9_mT8_P12ihipStream_tbDpT10_ENKUlT_T0_E_clISt17integral_constantIbLb0EES1B_EEDaS16_S17_EUlS16_E_NS1_11comp_targetILNS1_3genE4ELNS1_11target_archE910ELNS1_3gpuE8ELNS1_3repE0EEENS1_30default_config_static_selectorELNS0_4arch9wavefront6targetE0EEEvT1_.num_named_barrier, 0
	.set _ZN7rocprim17ROCPRIM_400000_NS6detail17trampoline_kernelINS0_14default_configENS1_25partition_config_selectorILNS1_17partition_subalgoE6EjNS0_10empty_typeEbEEZZNS1_14partition_implILS5_6ELb0ES3_mN6thrust23THRUST_200600_302600_NS6detail15normal_iteratorINSA_10device_ptrIjEEEEPS6_SG_NS0_5tupleIJNSA_16discard_iteratorINSA_11use_defaultEEES6_EEENSH_IJSG_SG_EEES6_PlJNSB_9not_fun_tINSB_14equal_to_valueIjEEEEEEE10hipError_tPvRmT3_T4_T5_T6_T7_T9_mT8_P12ihipStream_tbDpT10_ENKUlT_T0_E_clISt17integral_constantIbLb0EES1B_EEDaS16_S17_EUlS16_E_NS1_11comp_targetILNS1_3genE4ELNS1_11target_archE910ELNS1_3gpuE8ELNS1_3repE0EEENS1_30default_config_static_selectorELNS0_4arch9wavefront6targetE0EEEvT1_.private_seg_size, 0
	.set _ZN7rocprim17ROCPRIM_400000_NS6detail17trampoline_kernelINS0_14default_configENS1_25partition_config_selectorILNS1_17partition_subalgoE6EjNS0_10empty_typeEbEEZZNS1_14partition_implILS5_6ELb0ES3_mN6thrust23THRUST_200600_302600_NS6detail15normal_iteratorINSA_10device_ptrIjEEEEPS6_SG_NS0_5tupleIJNSA_16discard_iteratorINSA_11use_defaultEEES6_EEENSH_IJSG_SG_EEES6_PlJNSB_9not_fun_tINSB_14equal_to_valueIjEEEEEEE10hipError_tPvRmT3_T4_T5_T6_T7_T9_mT8_P12ihipStream_tbDpT10_ENKUlT_T0_E_clISt17integral_constantIbLb0EES1B_EEDaS16_S17_EUlS16_E_NS1_11comp_targetILNS1_3genE4ELNS1_11target_archE910ELNS1_3gpuE8ELNS1_3repE0EEENS1_30default_config_static_selectorELNS0_4arch9wavefront6targetE0EEEvT1_.uses_vcc, 0
	.set _ZN7rocprim17ROCPRIM_400000_NS6detail17trampoline_kernelINS0_14default_configENS1_25partition_config_selectorILNS1_17partition_subalgoE6EjNS0_10empty_typeEbEEZZNS1_14partition_implILS5_6ELb0ES3_mN6thrust23THRUST_200600_302600_NS6detail15normal_iteratorINSA_10device_ptrIjEEEEPS6_SG_NS0_5tupleIJNSA_16discard_iteratorINSA_11use_defaultEEES6_EEENSH_IJSG_SG_EEES6_PlJNSB_9not_fun_tINSB_14equal_to_valueIjEEEEEEE10hipError_tPvRmT3_T4_T5_T6_T7_T9_mT8_P12ihipStream_tbDpT10_ENKUlT_T0_E_clISt17integral_constantIbLb0EES1B_EEDaS16_S17_EUlS16_E_NS1_11comp_targetILNS1_3genE4ELNS1_11target_archE910ELNS1_3gpuE8ELNS1_3repE0EEENS1_30default_config_static_selectorELNS0_4arch9wavefront6targetE0EEEvT1_.uses_flat_scratch, 0
	.set _ZN7rocprim17ROCPRIM_400000_NS6detail17trampoline_kernelINS0_14default_configENS1_25partition_config_selectorILNS1_17partition_subalgoE6EjNS0_10empty_typeEbEEZZNS1_14partition_implILS5_6ELb0ES3_mN6thrust23THRUST_200600_302600_NS6detail15normal_iteratorINSA_10device_ptrIjEEEEPS6_SG_NS0_5tupleIJNSA_16discard_iteratorINSA_11use_defaultEEES6_EEENSH_IJSG_SG_EEES6_PlJNSB_9not_fun_tINSB_14equal_to_valueIjEEEEEEE10hipError_tPvRmT3_T4_T5_T6_T7_T9_mT8_P12ihipStream_tbDpT10_ENKUlT_T0_E_clISt17integral_constantIbLb0EES1B_EEDaS16_S17_EUlS16_E_NS1_11comp_targetILNS1_3genE4ELNS1_11target_archE910ELNS1_3gpuE8ELNS1_3repE0EEENS1_30default_config_static_selectorELNS0_4arch9wavefront6targetE0EEEvT1_.has_dyn_sized_stack, 0
	.set _ZN7rocprim17ROCPRIM_400000_NS6detail17trampoline_kernelINS0_14default_configENS1_25partition_config_selectorILNS1_17partition_subalgoE6EjNS0_10empty_typeEbEEZZNS1_14partition_implILS5_6ELb0ES3_mN6thrust23THRUST_200600_302600_NS6detail15normal_iteratorINSA_10device_ptrIjEEEEPS6_SG_NS0_5tupleIJNSA_16discard_iteratorINSA_11use_defaultEEES6_EEENSH_IJSG_SG_EEES6_PlJNSB_9not_fun_tINSB_14equal_to_valueIjEEEEEEE10hipError_tPvRmT3_T4_T5_T6_T7_T9_mT8_P12ihipStream_tbDpT10_ENKUlT_T0_E_clISt17integral_constantIbLb0EES1B_EEDaS16_S17_EUlS16_E_NS1_11comp_targetILNS1_3genE4ELNS1_11target_archE910ELNS1_3gpuE8ELNS1_3repE0EEENS1_30default_config_static_selectorELNS0_4arch9wavefront6targetE0EEEvT1_.has_recursion, 0
	.set _ZN7rocprim17ROCPRIM_400000_NS6detail17trampoline_kernelINS0_14default_configENS1_25partition_config_selectorILNS1_17partition_subalgoE6EjNS0_10empty_typeEbEEZZNS1_14partition_implILS5_6ELb0ES3_mN6thrust23THRUST_200600_302600_NS6detail15normal_iteratorINSA_10device_ptrIjEEEEPS6_SG_NS0_5tupleIJNSA_16discard_iteratorINSA_11use_defaultEEES6_EEENSH_IJSG_SG_EEES6_PlJNSB_9not_fun_tINSB_14equal_to_valueIjEEEEEEE10hipError_tPvRmT3_T4_T5_T6_T7_T9_mT8_P12ihipStream_tbDpT10_ENKUlT_T0_E_clISt17integral_constantIbLb0EES1B_EEDaS16_S17_EUlS16_E_NS1_11comp_targetILNS1_3genE4ELNS1_11target_archE910ELNS1_3gpuE8ELNS1_3repE0EEENS1_30default_config_static_selectorELNS0_4arch9wavefront6targetE0EEEvT1_.has_indirect_call, 0
	.section	.AMDGPU.csdata,"",@progbits
; Kernel info:
; codeLenInByte = 0
; TotalNumSgprs: 0
; NumVgprs: 0
; ScratchSize: 0
; MemoryBound: 0
; FloatMode: 240
; IeeeMode: 1
; LDSByteSize: 0 bytes/workgroup (compile time only)
; SGPRBlocks: 0
; VGPRBlocks: 0
; NumSGPRsForWavesPerEU: 1
; NumVGPRsForWavesPerEU: 1
; Occupancy: 16
; WaveLimiterHint : 0
; COMPUTE_PGM_RSRC2:SCRATCH_EN: 0
; COMPUTE_PGM_RSRC2:USER_SGPR: 2
; COMPUTE_PGM_RSRC2:TRAP_HANDLER: 0
; COMPUTE_PGM_RSRC2:TGID_X_EN: 1
; COMPUTE_PGM_RSRC2:TGID_Y_EN: 0
; COMPUTE_PGM_RSRC2:TGID_Z_EN: 0
; COMPUTE_PGM_RSRC2:TIDIG_COMP_CNT: 0
	.section	.text._ZN7rocprim17ROCPRIM_400000_NS6detail17trampoline_kernelINS0_14default_configENS1_25partition_config_selectorILNS1_17partition_subalgoE6EjNS0_10empty_typeEbEEZZNS1_14partition_implILS5_6ELb0ES3_mN6thrust23THRUST_200600_302600_NS6detail15normal_iteratorINSA_10device_ptrIjEEEEPS6_SG_NS0_5tupleIJNSA_16discard_iteratorINSA_11use_defaultEEES6_EEENSH_IJSG_SG_EEES6_PlJNSB_9not_fun_tINSB_14equal_to_valueIjEEEEEEE10hipError_tPvRmT3_T4_T5_T6_T7_T9_mT8_P12ihipStream_tbDpT10_ENKUlT_T0_E_clISt17integral_constantIbLb0EES1B_EEDaS16_S17_EUlS16_E_NS1_11comp_targetILNS1_3genE3ELNS1_11target_archE908ELNS1_3gpuE7ELNS1_3repE0EEENS1_30default_config_static_selectorELNS0_4arch9wavefront6targetE0EEEvT1_,"axG",@progbits,_ZN7rocprim17ROCPRIM_400000_NS6detail17trampoline_kernelINS0_14default_configENS1_25partition_config_selectorILNS1_17partition_subalgoE6EjNS0_10empty_typeEbEEZZNS1_14partition_implILS5_6ELb0ES3_mN6thrust23THRUST_200600_302600_NS6detail15normal_iteratorINSA_10device_ptrIjEEEEPS6_SG_NS0_5tupleIJNSA_16discard_iteratorINSA_11use_defaultEEES6_EEENSH_IJSG_SG_EEES6_PlJNSB_9not_fun_tINSB_14equal_to_valueIjEEEEEEE10hipError_tPvRmT3_T4_T5_T6_T7_T9_mT8_P12ihipStream_tbDpT10_ENKUlT_T0_E_clISt17integral_constantIbLb0EES1B_EEDaS16_S17_EUlS16_E_NS1_11comp_targetILNS1_3genE3ELNS1_11target_archE908ELNS1_3gpuE7ELNS1_3repE0EEENS1_30default_config_static_selectorELNS0_4arch9wavefront6targetE0EEEvT1_,comdat
	.protected	_ZN7rocprim17ROCPRIM_400000_NS6detail17trampoline_kernelINS0_14default_configENS1_25partition_config_selectorILNS1_17partition_subalgoE6EjNS0_10empty_typeEbEEZZNS1_14partition_implILS5_6ELb0ES3_mN6thrust23THRUST_200600_302600_NS6detail15normal_iteratorINSA_10device_ptrIjEEEEPS6_SG_NS0_5tupleIJNSA_16discard_iteratorINSA_11use_defaultEEES6_EEENSH_IJSG_SG_EEES6_PlJNSB_9not_fun_tINSB_14equal_to_valueIjEEEEEEE10hipError_tPvRmT3_T4_T5_T6_T7_T9_mT8_P12ihipStream_tbDpT10_ENKUlT_T0_E_clISt17integral_constantIbLb0EES1B_EEDaS16_S17_EUlS16_E_NS1_11comp_targetILNS1_3genE3ELNS1_11target_archE908ELNS1_3gpuE7ELNS1_3repE0EEENS1_30default_config_static_selectorELNS0_4arch9wavefront6targetE0EEEvT1_ ; -- Begin function _ZN7rocprim17ROCPRIM_400000_NS6detail17trampoline_kernelINS0_14default_configENS1_25partition_config_selectorILNS1_17partition_subalgoE6EjNS0_10empty_typeEbEEZZNS1_14partition_implILS5_6ELb0ES3_mN6thrust23THRUST_200600_302600_NS6detail15normal_iteratorINSA_10device_ptrIjEEEEPS6_SG_NS0_5tupleIJNSA_16discard_iteratorINSA_11use_defaultEEES6_EEENSH_IJSG_SG_EEES6_PlJNSB_9not_fun_tINSB_14equal_to_valueIjEEEEEEE10hipError_tPvRmT3_T4_T5_T6_T7_T9_mT8_P12ihipStream_tbDpT10_ENKUlT_T0_E_clISt17integral_constantIbLb0EES1B_EEDaS16_S17_EUlS16_E_NS1_11comp_targetILNS1_3genE3ELNS1_11target_archE908ELNS1_3gpuE7ELNS1_3repE0EEENS1_30default_config_static_selectorELNS0_4arch9wavefront6targetE0EEEvT1_
	.globl	_ZN7rocprim17ROCPRIM_400000_NS6detail17trampoline_kernelINS0_14default_configENS1_25partition_config_selectorILNS1_17partition_subalgoE6EjNS0_10empty_typeEbEEZZNS1_14partition_implILS5_6ELb0ES3_mN6thrust23THRUST_200600_302600_NS6detail15normal_iteratorINSA_10device_ptrIjEEEEPS6_SG_NS0_5tupleIJNSA_16discard_iteratorINSA_11use_defaultEEES6_EEENSH_IJSG_SG_EEES6_PlJNSB_9not_fun_tINSB_14equal_to_valueIjEEEEEEE10hipError_tPvRmT3_T4_T5_T6_T7_T9_mT8_P12ihipStream_tbDpT10_ENKUlT_T0_E_clISt17integral_constantIbLb0EES1B_EEDaS16_S17_EUlS16_E_NS1_11comp_targetILNS1_3genE3ELNS1_11target_archE908ELNS1_3gpuE7ELNS1_3repE0EEENS1_30default_config_static_selectorELNS0_4arch9wavefront6targetE0EEEvT1_
	.p2align	8
	.type	_ZN7rocprim17ROCPRIM_400000_NS6detail17trampoline_kernelINS0_14default_configENS1_25partition_config_selectorILNS1_17partition_subalgoE6EjNS0_10empty_typeEbEEZZNS1_14partition_implILS5_6ELb0ES3_mN6thrust23THRUST_200600_302600_NS6detail15normal_iteratorINSA_10device_ptrIjEEEEPS6_SG_NS0_5tupleIJNSA_16discard_iteratorINSA_11use_defaultEEES6_EEENSH_IJSG_SG_EEES6_PlJNSB_9not_fun_tINSB_14equal_to_valueIjEEEEEEE10hipError_tPvRmT3_T4_T5_T6_T7_T9_mT8_P12ihipStream_tbDpT10_ENKUlT_T0_E_clISt17integral_constantIbLb0EES1B_EEDaS16_S17_EUlS16_E_NS1_11comp_targetILNS1_3genE3ELNS1_11target_archE908ELNS1_3gpuE7ELNS1_3repE0EEENS1_30default_config_static_selectorELNS0_4arch9wavefront6targetE0EEEvT1_,@function
_ZN7rocprim17ROCPRIM_400000_NS6detail17trampoline_kernelINS0_14default_configENS1_25partition_config_selectorILNS1_17partition_subalgoE6EjNS0_10empty_typeEbEEZZNS1_14partition_implILS5_6ELb0ES3_mN6thrust23THRUST_200600_302600_NS6detail15normal_iteratorINSA_10device_ptrIjEEEEPS6_SG_NS0_5tupleIJNSA_16discard_iteratorINSA_11use_defaultEEES6_EEENSH_IJSG_SG_EEES6_PlJNSB_9not_fun_tINSB_14equal_to_valueIjEEEEEEE10hipError_tPvRmT3_T4_T5_T6_T7_T9_mT8_P12ihipStream_tbDpT10_ENKUlT_T0_E_clISt17integral_constantIbLb0EES1B_EEDaS16_S17_EUlS16_E_NS1_11comp_targetILNS1_3genE3ELNS1_11target_archE908ELNS1_3gpuE7ELNS1_3repE0EEENS1_30default_config_static_selectorELNS0_4arch9wavefront6targetE0EEEvT1_: ; @_ZN7rocprim17ROCPRIM_400000_NS6detail17trampoline_kernelINS0_14default_configENS1_25partition_config_selectorILNS1_17partition_subalgoE6EjNS0_10empty_typeEbEEZZNS1_14partition_implILS5_6ELb0ES3_mN6thrust23THRUST_200600_302600_NS6detail15normal_iteratorINSA_10device_ptrIjEEEEPS6_SG_NS0_5tupleIJNSA_16discard_iteratorINSA_11use_defaultEEES6_EEENSH_IJSG_SG_EEES6_PlJNSB_9not_fun_tINSB_14equal_to_valueIjEEEEEEE10hipError_tPvRmT3_T4_T5_T6_T7_T9_mT8_P12ihipStream_tbDpT10_ENKUlT_T0_E_clISt17integral_constantIbLb0EES1B_EEDaS16_S17_EUlS16_E_NS1_11comp_targetILNS1_3genE3ELNS1_11target_archE908ELNS1_3gpuE7ELNS1_3repE0EEENS1_30default_config_static_selectorELNS0_4arch9wavefront6targetE0EEEvT1_
; %bb.0:
	.section	.rodata,"a",@progbits
	.p2align	6, 0x0
	.amdhsa_kernel _ZN7rocprim17ROCPRIM_400000_NS6detail17trampoline_kernelINS0_14default_configENS1_25partition_config_selectorILNS1_17partition_subalgoE6EjNS0_10empty_typeEbEEZZNS1_14partition_implILS5_6ELb0ES3_mN6thrust23THRUST_200600_302600_NS6detail15normal_iteratorINSA_10device_ptrIjEEEEPS6_SG_NS0_5tupleIJNSA_16discard_iteratorINSA_11use_defaultEEES6_EEENSH_IJSG_SG_EEES6_PlJNSB_9not_fun_tINSB_14equal_to_valueIjEEEEEEE10hipError_tPvRmT3_T4_T5_T6_T7_T9_mT8_P12ihipStream_tbDpT10_ENKUlT_T0_E_clISt17integral_constantIbLb0EES1B_EEDaS16_S17_EUlS16_E_NS1_11comp_targetILNS1_3genE3ELNS1_11target_archE908ELNS1_3gpuE7ELNS1_3repE0EEENS1_30default_config_static_selectorELNS0_4arch9wavefront6targetE0EEEvT1_
		.amdhsa_group_segment_fixed_size 0
		.amdhsa_private_segment_fixed_size 0
		.amdhsa_kernarg_size 128
		.amdhsa_user_sgpr_count 2
		.amdhsa_user_sgpr_dispatch_ptr 0
		.amdhsa_user_sgpr_queue_ptr 0
		.amdhsa_user_sgpr_kernarg_segment_ptr 1
		.amdhsa_user_sgpr_dispatch_id 0
		.amdhsa_user_sgpr_private_segment_size 0
		.amdhsa_wavefront_size32 1
		.amdhsa_uses_dynamic_stack 0
		.amdhsa_enable_private_segment 0
		.amdhsa_system_sgpr_workgroup_id_x 1
		.amdhsa_system_sgpr_workgroup_id_y 0
		.amdhsa_system_sgpr_workgroup_id_z 0
		.amdhsa_system_sgpr_workgroup_info 0
		.amdhsa_system_vgpr_workitem_id 0
		.amdhsa_next_free_vgpr 1
		.amdhsa_next_free_sgpr 1
		.amdhsa_reserve_vcc 0
		.amdhsa_float_round_mode_32 0
		.amdhsa_float_round_mode_16_64 0
		.amdhsa_float_denorm_mode_32 3
		.amdhsa_float_denorm_mode_16_64 3
		.amdhsa_fp16_overflow 0
		.amdhsa_workgroup_processor_mode 1
		.amdhsa_memory_ordered 1
		.amdhsa_forward_progress 1
		.amdhsa_inst_pref_size 0
		.amdhsa_round_robin_scheduling 0
		.amdhsa_exception_fp_ieee_invalid_op 0
		.amdhsa_exception_fp_denorm_src 0
		.amdhsa_exception_fp_ieee_div_zero 0
		.amdhsa_exception_fp_ieee_overflow 0
		.amdhsa_exception_fp_ieee_underflow 0
		.amdhsa_exception_fp_ieee_inexact 0
		.amdhsa_exception_int_div_zero 0
	.end_amdhsa_kernel
	.section	.text._ZN7rocprim17ROCPRIM_400000_NS6detail17trampoline_kernelINS0_14default_configENS1_25partition_config_selectorILNS1_17partition_subalgoE6EjNS0_10empty_typeEbEEZZNS1_14partition_implILS5_6ELb0ES3_mN6thrust23THRUST_200600_302600_NS6detail15normal_iteratorINSA_10device_ptrIjEEEEPS6_SG_NS0_5tupleIJNSA_16discard_iteratorINSA_11use_defaultEEES6_EEENSH_IJSG_SG_EEES6_PlJNSB_9not_fun_tINSB_14equal_to_valueIjEEEEEEE10hipError_tPvRmT3_T4_T5_T6_T7_T9_mT8_P12ihipStream_tbDpT10_ENKUlT_T0_E_clISt17integral_constantIbLb0EES1B_EEDaS16_S17_EUlS16_E_NS1_11comp_targetILNS1_3genE3ELNS1_11target_archE908ELNS1_3gpuE7ELNS1_3repE0EEENS1_30default_config_static_selectorELNS0_4arch9wavefront6targetE0EEEvT1_,"axG",@progbits,_ZN7rocprim17ROCPRIM_400000_NS6detail17trampoline_kernelINS0_14default_configENS1_25partition_config_selectorILNS1_17partition_subalgoE6EjNS0_10empty_typeEbEEZZNS1_14partition_implILS5_6ELb0ES3_mN6thrust23THRUST_200600_302600_NS6detail15normal_iteratorINSA_10device_ptrIjEEEEPS6_SG_NS0_5tupleIJNSA_16discard_iteratorINSA_11use_defaultEEES6_EEENSH_IJSG_SG_EEES6_PlJNSB_9not_fun_tINSB_14equal_to_valueIjEEEEEEE10hipError_tPvRmT3_T4_T5_T6_T7_T9_mT8_P12ihipStream_tbDpT10_ENKUlT_T0_E_clISt17integral_constantIbLb0EES1B_EEDaS16_S17_EUlS16_E_NS1_11comp_targetILNS1_3genE3ELNS1_11target_archE908ELNS1_3gpuE7ELNS1_3repE0EEENS1_30default_config_static_selectorELNS0_4arch9wavefront6targetE0EEEvT1_,comdat
.Lfunc_end1664:
	.size	_ZN7rocprim17ROCPRIM_400000_NS6detail17trampoline_kernelINS0_14default_configENS1_25partition_config_selectorILNS1_17partition_subalgoE6EjNS0_10empty_typeEbEEZZNS1_14partition_implILS5_6ELb0ES3_mN6thrust23THRUST_200600_302600_NS6detail15normal_iteratorINSA_10device_ptrIjEEEEPS6_SG_NS0_5tupleIJNSA_16discard_iteratorINSA_11use_defaultEEES6_EEENSH_IJSG_SG_EEES6_PlJNSB_9not_fun_tINSB_14equal_to_valueIjEEEEEEE10hipError_tPvRmT3_T4_T5_T6_T7_T9_mT8_P12ihipStream_tbDpT10_ENKUlT_T0_E_clISt17integral_constantIbLb0EES1B_EEDaS16_S17_EUlS16_E_NS1_11comp_targetILNS1_3genE3ELNS1_11target_archE908ELNS1_3gpuE7ELNS1_3repE0EEENS1_30default_config_static_selectorELNS0_4arch9wavefront6targetE0EEEvT1_, .Lfunc_end1664-_ZN7rocprim17ROCPRIM_400000_NS6detail17trampoline_kernelINS0_14default_configENS1_25partition_config_selectorILNS1_17partition_subalgoE6EjNS0_10empty_typeEbEEZZNS1_14partition_implILS5_6ELb0ES3_mN6thrust23THRUST_200600_302600_NS6detail15normal_iteratorINSA_10device_ptrIjEEEEPS6_SG_NS0_5tupleIJNSA_16discard_iteratorINSA_11use_defaultEEES6_EEENSH_IJSG_SG_EEES6_PlJNSB_9not_fun_tINSB_14equal_to_valueIjEEEEEEE10hipError_tPvRmT3_T4_T5_T6_T7_T9_mT8_P12ihipStream_tbDpT10_ENKUlT_T0_E_clISt17integral_constantIbLb0EES1B_EEDaS16_S17_EUlS16_E_NS1_11comp_targetILNS1_3genE3ELNS1_11target_archE908ELNS1_3gpuE7ELNS1_3repE0EEENS1_30default_config_static_selectorELNS0_4arch9wavefront6targetE0EEEvT1_
                                        ; -- End function
	.set _ZN7rocprim17ROCPRIM_400000_NS6detail17trampoline_kernelINS0_14default_configENS1_25partition_config_selectorILNS1_17partition_subalgoE6EjNS0_10empty_typeEbEEZZNS1_14partition_implILS5_6ELb0ES3_mN6thrust23THRUST_200600_302600_NS6detail15normal_iteratorINSA_10device_ptrIjEEEEPS6_SG_NS0_5tupleIJNSA_16discard_iteratorINSA_11use_defaultEEES6_EEENSH_IJSG_SG_EEES6_PlJNSB_9not_fun_tINSB_14equal_to_valueIjEEEEEEE10hipError_tPvRmT3_T4_T5_T6_T7_T9_mT8_P12ihipStream_tbDpT10_ENKUlT_T0_E_clISt17integral_constantIbLb0EES1B_EEDaS16_S17_EUlS16_E_NS1_11comp_targetILNS1_3genE3ELNS1_11target_archE908ELNS1_3gpuE7ELNS1_3repE0EEENS1_30default_config_static_selectorELNS0_4arch9wavefront6targetE0EEEvT1_.num_vgpr, 0
	.set _ZN7rocprim17ROCPRIM_400000_NS6detail17trampoline_kernelINS0_14default_configENS1_25partition_config_selectorILNS1_17partition_subalgoE6EjNS0_10empty_typeEbEEZZNS1_14partition_implILS5_6ELb0ES3_mN6thrust23THRUST_200600_302600_NS6detail15normal_iteratorINSA_10device_ptrIjEEEEPS6_SG_NS0_5tupleIJNSA_16discard_iteratorINSA_11use_defaultEEES6_EEENSH_IJSG_SG_EEES6_PlJNSB_9not_fun_tINSB_14equal_to_valueIjEEEEEEE10hipError_tPvRmT3_T4_T5_T6_T7_T9_mT8_P12ihipStream_tbDpT10_ENKUlT_T0_E_clISt17integral_constantIbLb0EES1B_EEDaS16_S17_EUlS16_E_NS1_11comp_targetILNS1_3genE3ELNS1_11target_archE908ELNS1_3gpuE7ELNS1_3repE0EEENS1_30default_config_static_selectorELNS0_4arch9wavefront6targetE0EEEvT1_.num_agpr, 0
	.set _ZN7rocprim17ROCPRIM_400000_NS6detail17trampoline_kernelINS0_14default_configENS1_25partition_config_selectorILNS1_17partition_subalgoE6EjNS0_10empty_typeEbEEZZNS1_14partition_implILS5_6ELb0ES3_mN6thrust23THRUST_200600_302600_NS6detail15normal_iteratorINSA_10device_ptrIjEEEEPS6_SG_NS0_5tupleIJNSA_16discard_iteratorINSA_11use_defaultEEES6_EEENSH_IJSG_SG_EEES6_PlJNSB_9not_fun_tINSB_14equal_to_valueIjEEEEEEE10hipError_tPvRmT3_T4_T5_T6_T7_T9_mT8_P12ihipStream_tbDpT10_ENKUlT_T0_E_clISt17integral_constantIbLb0EES1B_EEDaS16_S17_EUlS16_E_NS1_11comp_targetILNS1_3genE3ELNS1_11target_archE908ELNS1_3gpuE7ELNS1_3repE0EEENS1_30default_config_static_selectorELNS0_4arch9wavefront6targetE0EEEvT1_.numbered_sgpr, 0
	.set _ZN7rocprim17ROCPRIM_400000_NS6detail17trampoline_kernelINS0_14default_configENS1_25partition_config_selectorILNS1_17partition_subalgoE6EjNS0_10empty_typeEbEEZZNS1_14partition_implILS5_6ELb0ES3_mN6thrust23THRUST_200600_302600_NS6detail15normal_iteratorINSA_10device_ptrIjEEEEPS6_SG_NS0_5tupleIJNSA_16discard_iteratorINSA_11use_defaultEEES6_EEENSH_IJSG_SG_EEES6_PlJNSB_9not_fun_tINSB_14equal_to_valueIjEEEEEEE10hipError_tPvRmT3_T4_T5_T6_T7_T9_mT8_P12ihipStream_tbDpT10_ENKUlT_T0_E_clISt17integral_constantIbLb0EES1B_EEDaS16_S17_EUlS16_E_NS1_11comp_targetILNS1_3genE3ELNS1_11target_archE908ELNS1_3gpuE7ELNS1_3repE0EEENS1_30default_config_static_selectorELNS0_4arch9wavefront6targetE0EEEvT1_.num_named_barrier, 0
	.set _ZN7rocprim17ROCPRIM_400000_NS6detail17trampoline_kernelINS0_14default_configENS1_25partition_config_selectorILNS1_17partition_subalgoE6EjNS0_10empty_typeEbEEZZNS1_14partition_implILS5_6ELb0ES3_mN6thrust23THRUST_200600_302600_NS6detail15normal_iteratorINSA_10device_ptrIjEEEEPS6_SG_NS0_5tupleIJNSA_16discard_iteratorINSA_11use_defaultEEES6_EEENSH_IJSG_SG_EEES6_PlJNSB_9not_fun_tINSB_14equal_to_valueIjEEEEEEE10hipError_tPvRmT3_T4_T5_T6_T7_T9_mT8_P12ihipStream_tbDpT10_ENKUlT_T0_E_clISt17integral_constantIbLb0EES1B_EEDaS16_S17_EUlS16_E_NS1_11comp_targetILNS1_3genE3ELNS1_11target_archE908ELNS1_3gpuE7ELNS1_3repE0EEENS1_30default_config_static_selectorELNS0_4arch9wavefront6targetE0EEEvT1_.private_seg_size, 0
	.set _ZN7rocprim17ROCPRIM_400000_NS6detail17trampoline_kernelINS0_14default_configENS1_25partition_config_selectorILNS1_17partition_subalgoE6EjNS0_10empty_typeEbEEZZNS1_14partition_implILS5_6ELb0ES3_mN6thrust23THRUST_200600_302600_NS6detail15normal_iteratorINSA_10device_ptrIjEEEEPS6_SG_NS0_5tupleIJNSA_16discard_iteratorINSA_11use_defaultEEES6_EEENSH_IJSG_SG_EEES6_PlJNSB_9not_fun_tINSB_14equal_to_valueIjEEEEEEE10hipError_tPvRmT3_T4_T5_T6_T7_T9_mT8_P12ihipStream_tbDpT10_ENKUlT_T0_E_clISt17integral_constantIbLb0EES1B_EEDaS16_S17_EUlS16_E_NS1_11comp_targetILNS1_3genE3ELNS1_11target_archE908ELNS1_3gpuE7ELNS1_3repE0EEENS1_30default_config_static_selectorELNS0_4arch9wavefront6targetE0EEEvT1_.uses_vcc, 0
	.set _ZN7rocprim17ROCPRIM_400000_NS6detail17trampoline_kernelINS0_14default_configENS1_25partition_config_selectorILNS1_17partition_subalgoE6EjNS0_10empty_typeEbEEZZNS1_14partition_implILS5_6ELb0ES3_mN6thrust23THRUST_200600_302600_NS6detail15normal_iteratorINSA_10device_ptrIjEEEEPS6_SG_NS0_5tupleIJNSA_16discard_iteratorINSA_11use_defaultEEES6_EEENSH_IJSG_SG_EEES6_PlJNSB_9not_fun_tINSB_14equal_to_valueIjEEEEEEE10hipError_tPvRmT3_T4_T5_T6_T7_T9_mT8_P12ihipStream_tbDpT10_ENKUlT_T0_E_clISt17integral_constantIbLb0EES1B_EEDaS16_S17_EUlS16_E_NS1_11comp_targetILNS1_3genE3ELNS1_11target_archE908ELNS1_3gpuE7ELNS1_3repE0EEENS1_30default_config_static_selectorELNS0_4arch9wavefront6targetE0EEEvT1_.uses_flat_scratch, 0
	.set _ZN7rocprim17ROCPRIM_400000_NS6detail17trampoline_kernelINS0_14default_configENS1_25partition_config_selectorILNS1_17partition_subalgoE6EjNS0_10empty_typeEbEEZZNS1_14partition_implILS5_6ELb0ES3_mN6thrust23THRUST_200600_302600_NS6detail15normal_iteratorINSA_10device_ptrIjEEEEPS6_SG_NS0_5tupleIJNSA_16discard_iteratorINSA_11use_defaultEEES6_EEENSH_IJSG_SG_EEES6_PlJNSB_9not_fun_tINSB_14equal_to_valueIjEEEEEEE10hipError_tPvRmT3_T4_T5_T6_T7_T9_mT8_P12ihipStream_tbDpT10_ENKUlT_T0_E_clISt17integral_constantIbLb0EES1B_EEDaS16_S17_EUlS16_E_NS1_11comp_targetILNS1_3genE3ELNS1_11target_archE908ELNS1_3gpuE7ELNS1_3repE0EEENS1_30default_config_static_selectorELNS0_4arch9wavefront6targetE0EEEvT1_.has_dyn_sized_stack, 0
	.set _ZN7rocprim17ROCPRIM_400000_NS6detail17trampoline_kernelINS0_14default_configENS1_25partition_config_selectorILNS1_17partition_subalgoE6EjNS0_10empty_typeEbEEZZNS1_14partition_implILS5_6ELb0ES3_mN6thrust23THRUST_200600_302600_NS6detail15normal_iteratorINSA_10device_ptrIjEEEEPS6_SG_NS0_5tupleIJNSA_16discard_iteratorINSA_11use_defaultEEES6_EEENSH_IJSG_SG_EEES6_PlJNSB_9not_fun_tINSB_14equal_to_valueIjEEEEEEE10hipError_tPvRmT3_T4_T5_T6_T7_T9_mT8_P12ihipStream_tbDpT10_ENKUlT_T0_E_clISt17integral_constantIbLb0EES1B_EEDaS16_S17_EUlS16_E_NS1_11comp_targetILNS1_3genE3ELNS1_11target_archE908ELNS1_3gpuE7ELNS1_3repE0EEENS1_30default_config_static_selectorELNS0_4arch9wavefront6targetE0EEEvT1_.has_recursion, 0
	.set _ZN7rocprim17ROCPRIM_400000_NS6detail17trampoline_kernelINS0_14default_configENS1_25partition_config_selectorILNS1_17partition_subalgoE6EjNS0_10empty_typeEbEEZZNS1_14partition_implILS5_6ELb0ES3_mN6thrust23THRUST_200600_302600_NS6detail15normal_iteratorINSA_10device_ptrIjEEEEPS6_SG_NS0_5tupleIJNSA_16discard_iteratorINSA_11use_defaultEEES6_EEENSH_IJSG_SG_EEES6_PlJNSB_9not_fun_tINSB_14equal_to_valueIjEEEEEEE10hipError_tPvRmT3_T4_T5_T6_T7_T9_mT8_P12ihipStream_tbDpT10_ENKUlT_T0_E_clISt17integral_constantIbLb0EES1B_EEDaS16_S17_EUlS16_E_NS1_11comp_targetILNS1_3genE3ELNS1_11target_archE908ELNS1_3gpuE7ELNS1_3repE0EEENS1_30default_config_static_selectorELNS0_4arch9wavefront6targetE0EEEvT1_.has_indirect_call, 0
	.section	.AMDGPU.csdata,"",@progbits
; Kernel info:
; codeLenInByte = 0
; TotalNumSgprs: 0
; NumVgprs: 0
; ScratchSize: 0
; MemoryBound: 0
; FloatMode: 240
; IeeeMode: 1
; LDSByteSize: 0 bytes/workgroup (compile time only)
; SGPRBlocks: 0
; VGPRBlocks: 0
; NumSGPRsForWavesPerEU: 1
; NumVGPRsForWavesPerEU: 1
; Occupancy: 16
; WaveLimiterHint : 0
; COMPUTE_PGM_RSRC2:SCRATCH_EN: 0
; COMPUTE_PGM_RSRC2:USER_SGPR: 2
; COMPUTE_PGM_RSRC2:TRAP_HANDLER: 0
; COMPUTE_PGM_RSRC2:TGID_X_EN: 1
; COMPUTE_PGM_RSRC2:TGID_Y_EN: 0
; COMPUTE_PGM_RSRC2:TGID_Z_EN: 0
; COMPUTE_PGM_RSRC2:TIDIG_COMP_CNT: 0
	.section	.text._ZN7rocprim17ROCPRIM_400000_NS6detail17trampoline_kernelINS0_14default_configENS1_25partition_config_selectorILNS1_17partition_subalgoE6EjNS0_10empty_typeEbEEZZNS1_14partition_implILS5_6ELb0ES3_mN6thrust23THRUST_200600_302600_NS6detail15normal_iteratorINSA_10device_ptrIjEEEEPS6_SG_NS0_5tupleIJNSA_16discard_iteratorINSA_11use_defaultEEES6_EEENSH_IJSG_SG_EEES6_PlJNSB_9not_fun_tINSB_14equal_to_valueIjEEEEEEE10hipError_tPvRmT3_T4_T5_T6_T7_T9_mT8_P12ihipStream_tbDpT10_ENKUlT_T0_E_clISt17integral_constantIbLb0EES1B_EEDaS16_S17_EUlS16_E_NS1_11comp_targetILNS1_3genE2ELNS1_11target_archE906ELNS1_3gpuE6ELNS1_3repE0EEENS1_30default_config_static_selectorELNS0_4arch9wavefront6targetE0EEEvT1_,"axG",@progbits,_ZN7rocprim17ROCPRIM_400000_NS6detail17trampoline_kernelINS0_14default_configENS1_25partition_config_selectorILNS1_17partition_subalgoE6EjNS0_10empty_typeEbEEZZNS1_14partition_implILS5_6ELb0ES3_mN6thrust23THRUST_200600_302600_NS6detail15normal_iteratorINSA_10device_ptrIjEEEEPS6_SG_NS0_5tupleIJNSA_16discard_iteratorINSA_11use_defaultEEES6_EEENSH_IJSG_SG_EEES6_PlJNSB_9not_fun_tINSB_14equal_to_valueIjEEEEEEE10hipError_tPvRmT3_T4_T5_T6_T7_T9_mT8_P12ihipStream_tbDpT10_ENKUlT_T0_E_clISt17integral_constantIbLb0EES1B_EEDaS16_S17_EUlS16_E_NS1_11comp_targetILNS1_3genE2ELNS1_11target_archE906ELNS1_3gpuE6ELNS1_3repE0EEENS1_30default_config_static_selectorELNS0_4arch9wavefront6targetE0EEEvT1_,comdat
	.protected	_ZN7rocprim17ROCPRIM_400000_NS6detail17trampoline_kernelINS0_14default_configENS1_25partition_config_selectorILNS1_17partition_subalgoE6EjNS0_10empty_typeEbEEZZNS1_14partition_implILS5_6ELb0ES3_mN6thrust23THRUST_200600_302600_NS6detail15normal_iteratorINSA_10device_ptrIjEEEEPS6_SG_NS0_5tupleIJNSA_16discard_iteratorINSA_11use_defaultEEES6_EEENSH_IJSG_SG_EEES6_PlJNSB_9not_fun_tINSB_14equal_to_valueIjEEEEEEE10hipError_tPvRmT3_T4_T5_T6_T7_T9_mT8_P12ihipStream_tbDpT10_ENKUlT_T0_E_clISt17integral_constantIbLb0EES1B_EEDaS16_S17_EUlS16_E_NS1_11comp_targetILNS1_3genE2ELNS1_11target_archE906ELNS1_3gpuE6ELNS1_3repE0EEENS1_30default_config_static_selectorELNS0_4arch9wavefront6targetE0EEEvT1_ ; -- Begin function _ZN7rocprim17ROCPRIM_400000_NS6detail17trampoline_kernelINS0_14default_configENS1_25partition_config_selectorILNS1_17partition_subalgoE6EjNS0_10empty_typeEbEEZZNS1_14partition_implILS5_6ELb0ES3_mN6thrust23THRUST_200600_302600_NS6detail15normal_iteratorINSA_10device_ptrIjEEEEPS6_SG_NS0_5tupleIJNSA_16discard_iteratorINSA_11use_defaultEEES6_EEENSH_IJSG_SG_EEES6_PlJNSB_9not_fun_tINSB_14equal_to_valueIjEEEEEEE10hipError_tPvRmT3_T4_T5_T6_T7_T9_mT8_P12ihipStream_tbDpT10_ENKUlT_T0_E_clISt17integral_constantIbLb0EES1B_EEDaS16_S17_EUlS16_E_NS1_11comp_targetILNS1_3genE2ELNS1_11target_archE906ELNS1_3gpuE6ELNS1_3repE0EEENS1_30default_config_static_selectorELNS0_4arch9wavefront6targetE0EEEvT1_
	.globl	_ZN7rocprim17ROCPRIM_400000_NS6detail17trampoline_kernelINS0_14default_configENS1_25partition_config_selectorILNS1_17partition_subalgoE6EjNS0_10empty_typeEbEEZZNS1_14partition_implILS5_6ELb0ES3_mN6thrust23THRUST_200600_302600_NS6detail15normal_iteratorINSA_10device_ptrIjEEEEPS6_SG_NS0_5tupleIJNSA_16discard_iteratorINSA_11use_defaultEEES6_EEENSH_IJSG_SG_EEES6_PlJNSB_9not_fun_tINSB_14equal_to_valueIjEEEEEEE10hipError_tPvRmT3_T4_T5_T6_T7_T9_mT8_P12ihipStream_tbDpT10_ENKUlT_T0_E_clISt17integral_constantIbLb0EES1B_EEDaS16_S17_EUlS16_E_NS1_11comp_targetILNS1_3genE2ELNS1_11target_archE906ELNS1_3gpuE6ELNS1_3repE0EEENS1_30default_config_static_selectorELNS0_4arch9wavefront6targetE0EEEvT1_
	.p2align	8
	.type	_ZN7rocprim17ROCPRIM_400000_NS6detail17trampoline_kernelINS0_14default_configENS1_25partition_config_selectorILNS1_17partition_subalgoE6EjNS0_10empty_typeEbEEZZNS1_14partition_implILS5_6ELb0ES3_mN6thrust23THRUST_200600_302600_NS6detail15normal_iteratorINSA_10device_ptrIjEEEEPS6_SG_NS0_5tupleIJNSA_16discard_iteratorINSA_11use_defaultEEES6_EEENSH_IJSG_SG_EEES6_PlJNSB_9not_fun_tINSB_14equal_to_valueIjEEEEEEE10hipError_tPvRmT3_T4_T5_T6_T7_T9_mT8_P12ihipStream_tbDpT10_ENKUlT_T0_E_clISt17integral_constantIbLb0EES1B_EEDaS16_S17_EUlS16_E_NS1_11comp_targetILNS1_3genE2ELNS1_11target_archE906ELNS1_3gpuE6ELNS1_3repE0EEENS1_30default_config_static_selectorELNS0_4arch9wavefront6targetE0EEEvT1_,@function
_ZN7rocprim17ROCPRIM_400000_NS6detail17trampoline_kernelINS0_14default_configENS1_25partition_config_selectorILNS1_17partition_subalgoE6EjNS0_10empty_typeEbEEZZNS1_14partition_implILS5_6ELb0ES3_mN6thrust23THRUST_200600_302600_NS6detail15normal_iteratorINSA_10device_ptrIjEEEEPS6_SG_NS0_5tupleIJNSA_16discard_iteratorINSA_11use_defaultEEES6_EEENSH_IJSG_SG_EEES6_PlJNSB_9not_fun_tINSB_14equal_to_valueIjEEEEEEE10hipError_tPvRmT3_T4_T5_T6_T7_T9_mT8_P12ihipStream_tbDpT10_ENKUlT_T0_E_clISt17integral_constantIbLb0EES1B_EEDaS16_S17_EUlS16_E_NS1_11comp_targetILNS1_3genE2ELNS1_11target_archE906ELNS1_3gpuE6ELNS1_3repE0EEENS1_30default_config_static_selectorELNS0_4arch9wavefront6targetE0EEEvT1_: ; @_ZN7rocprim17ROCPRIM_400000_NS6detail17trampoline_kernelINS0_14default_configENS1_25partition_config_selectorILNS1_17partition_subalgoE6EjNS0_10empty_typeEbEEZZNS1_14partition_implILS5_6ELb0ES3_mN6thrust23THRUST_200600_302600_NS6detail15normal_iteratorINSA_10device_ptrIjEEEEPS6_SG_NS0_5tupleIJNSA_16discard_iteratorINSA_11use_defaultEEES6_EEENSH_IJSG_SG_EEES6_PlJNSB_9not_fun_tINSB_14equal_to_valueIjEEEEEEE10hipError_tPvRmT3_T4_T5_T6_T7_T9_mT8_P12ihipStream_tbDpT10_ENKUlT_T0_E_clISt17integral_constantIbLb0EES1B_EEDaS16_S17_EUlS16_E_NS1_11comp_targetILNS1_3genE2ELNS1_11target_archE906ELNS1_3gpuE6ELNS1_3repE0EEENS1_30default_config_static_selectorELNS0_4arch9wavefront6targetE0EEEvT1_
; %bb.0:
	.section	.rodata,"a",@progbits
	.p2align	6, 0x0
	.amdhsa_kernel _ZN7rocprim17ROCPRIM_400000_NS6detail17trampoline_kernelINS0_14default_configENS1_25partition_config_selectorILNS1_17partition_subalgoE6EjNS0_10empty_typeEbEEZZNS1_14partition_implILS5_6ELb0ES3_mN6thrust23THRUST_200600_302600_NS6detail15normal_iteratorINSA_10device_ptrIjEEEEPS6_SG_NS0_5tupleIJNSA_16discard_iteratorINSA_11use_defaultEEES6_EEENSH_IJSG_SG_EEES6_PlJNSB_9not_fun_tINSB_14equal_to_valueIjEEEEEEE10hipError_tPvRmT3_T4_T5_T6_T7_T9_mT8_P12ihipStream_tbDpT10_ENKUlT_T0_E_clISt17integral_constantIbLb0EES1B_EEDaS16_S17_EUlS16_E_NS1_11comp_targetILNS1_3genE2ELNS1_11target_archE906ELNS1_3gpuE6ELNS1_3repE0EEENS1_30default_config_static_selectorELNS0_4arch9wavefront6targetE0EEEvT1_
		.amdhsa_group_segment_fixed_size 0
		.amdhsa_private_segment_fixed_size 0
		.amdhsa_kernarg_size 128
		.amdhsa_user_sgpr_count 2
		.amdhsa_user_sgpr_dispatch_ptr 0
		.amdhsa_user_sgpr_queue_ptr 0
		.amdhsa_user_sgpr_kernarg_segment_ptr 1
		.amdhsa_user_sgpr_dispatch_id 0
		.amdhsa_user_sgpr_private_segment_size 0
		.amdhsa_wavefront_size32 1
		.amdhsa_uses_dynamic_stack 0
		.amdhsa_enable_private_segment 0
		.amdhsa_system_sgpr_workgroup_id_x 1
		.amdhsa_system_sgpr_workgroup_id_y 0
		.amdhsa_system_sgpr_workgroup_id_z 0
		.amdhsa_system_sgpr_workgroup_info 0
		.amdhsa_system_vgpr_workitem_id 0
		.amdhsa_next_free_vgpr 1
		.amdhsa_next_free_sgpr 1
		.amdhsa_reserve_vcc 0
		.amdhsa_float_round_mode_32 0
		.amdhsa_float_round_mode_16_64 0
		.amdhsa_float_denorm_mode_32 3
		.amdhsa_float_denorm_mode_16_64 3
		.amdhsa_fp16_overflow 0
		.amdhsa_workgroup_processor_mode 1
		.amdhsa_memory_ordered 1
		.amdhsa_forward_progress 1
		.amdhsa_inst_pref_size 0
		.amdhsa_round_robin_scheduling 0
		.amdhsa_exception_fp_ieee_invalid_op 0
		.amdhsa_exception_fp_denorm_src 0
		.amdhsa_exception_fp_ieee_div_zero 0
		.amdhsa_exception_fp_ieee_overflow 0
		.amdhsa_exception_fp_ieee_underflow 0
		.amdhsa_exception_fp_ieee_inexact 0
		.amdhsa_exception_int_div_zero 0
	.end_amdhsa_kernel
	.section	.text._ZN7rocprim17ROCPRIM_400000_NS6detail17trampoline_kernelINS0_14default_configENS1_25partition_config_selectorILNS1_17partition_subalgoE6EjNS0_10empty_typeEbEEZZNS1_14partition_implILS5_6ELb0ES3_mN6thrust23THRUST_200600_302600_NS6detail15normal_iteratorINSA_10device_ptrIjEEEEPS6_SG_NS0_5tupleIJNSA_16discard_iteratorINSA_11use_defaultEEES6_EEENSH_IJSG_SG_EEES6_PlJNSB_9not_fun_tINSB_14equal_to_valueIjEEEEEEE10hipError_tPvRmT3_T4_T5_T6_T7_T9_mT8_P12ihipStream_tbDpT10_ENKUlT_T0_E_clISt17integral_constantIbLb0EES1B_EEDaS16_S17_EUlS16_E_NS1_11comp_targetILNS1_3genE2ELNS1_11target_archE906ELNS1_3gpuE6ELNS1_3repE0EEENS1_30default_config_static_selectorELNS0_4arch9wavefront6targetE0EEEvT1_,"axG",@progbits,_ZN7rocprim17ROCPRIM_400000_NS6detail17trampoline_kernelINS0_14default_configENS1_25partition_config_selectorILNS1_17partition_subalgoE6EjNS0_10empty_typeEbEEZZNS1_14partition_implILS5_6ELb0ES3_mN6thrust23THRUST_200600_302600_NS6detail15normal_iteratorINSA_10device_ptrIjEEEEPS6_SG_NS0_5tupleIJNSA_16discard_iteratorINSA_11use_defaultEEES6_EEENSH_IJSG_SG_EEES6_PlJNSB_9not_fun_tINSB_14equal_to_valueIjEEEEEEE10hipError_tPvRmT3_T4_T5_T6_T7_T9_mT8_P12ihipStream_tbDpT10_ENKUlT_T0_E_clISt17integral_constantIbLb0EES1B_EEDaS16_S17_EUlS16_E_NS1_11comp_targetILNS1_3genE2ELNS1_11target_archE906ELNS1_3gpuE6ELNS1_3repE0EEENS1_30default_config_static_selectorELNS0_4arch9wavefront6targetE0EEEvT1_,comdat
.Lfunc_end1665:
	.size	_ZN7rocprim17ROCPRIM_400000_NS6detail17trampoline_kernelINS0_14default_configENS1_25partition_config_selectorILNS1_17partition_subalgoE6EjNS0_10empty_typeEbEEZZNS1_14partition_implILS5_6ELb0ES3_mN6thrust23THRUST_200600_302600_NS6detail15normal_iteratorINSA_10device_ptrIjEEEEPS6_SG_NS0_5tupleIJNSA_16discard_iteratorINSA_11use_defaultEEES6_EEENSH_IJSG_SG_EEES6_PlJNSB_9not_fun_tINSB_14equal_to_valueIjEEEEEEE10hipError_tPvRmT3_T4_T5_T6_T7_T9_mT8_P12ihipStream_tbDpT10_ENKUlT_T0_E_clISt17integral_constantIbLb0EES1B_EEDaS16_S17_EUlS16_E_NS1_11comp_targetILNS1_3genE2ELNS1_11target_archE906ELNS1_3gpuE6ELNS1_3repE0EEENS1_30default_config_static_selectorELNS0_4arch9wavefront6targetE0EEEvT1_, .Lfunc_end1665-_ZN7rocprim17ROCPRIM_400000_NS6detail17trampoline_kernelINS0_14default_configENS1_25partition_config_selectorILNS1_17partition_subalgoE6EjNS0_10empty_typeEbEEZZNS1_14partition_implILS5_6ELb0ES3_mN6thrust23THRUST_200600_302600_NS6detail15normal_iteratorINSA_10device_ptrIjEEEEPS6_SG_NS0_5tupleIJNSA_16discard_iteratorINSA_11use_defaultEEES6_EEENSH_IJSG_SG_EEES6_PlJNSB_9not_fun_tINSB_14equal_to_valueIjEEEEEEE10hipError_tPvRmT3_T4_T5_T6_T7_T9_mT8_P12ihipStream_tbDpT10_ENKUlT_T0_E_clISt17integral_constantIbLb0EES1B_EEDaS16_S17_EUlS16_E_NS1_11comp_targetILNS1_3genE2ELNS1_11target_archE906ELNS1_3gpuE6ELNS1_3repE0EEENS1_30default_config_static_selectorELNS0_4arch9wavefront6targetE0EEEvT1_
                                        ; -- End function
	.set _ZN7rocprim17ROCPRIM_400000_NS6detail17trampoline_kernelINS0_14default_configENS1_25partition_config_selectorILNS1_17partition_subalgoE6EjNS0_10empty_typeEbEEZZNS1_14partition_implILS5_6ELb0ES3_mN6thrust23THRUST_200600_302600_NS6detail15normal_iteratorINSA_10device_ptrIjEEEEPS6_SG_NS0_5tupleIJNSA_16discard_iteratorINSA_11use_defaultEEES6_EEENSH_IJSG_SG_EEES6_PlJNSB_9not_fun_tINSB_14equal_to_valueIjEEEEEEE10hipError_tPvRmT3_T4_T5_T6_T7_T9_mT8_P12ihipStream_tbDpT10_ENKUlT_T0_E_clISt17integral_constantIbLb0EES1B_EEDaS16_S17_EUlS16_E_NS1_11comp_targetILNS1_3genE2ELNS1_11target_archE906ELNS1_3gpuE6ELNS1_3repE0EEENS1_30default_config_static_selectorELNS0_4arch9wavefront6targetE0EEEvT1_.num_vgpr, 0
	.set _ZN7rocprim17ROCPRIM_400000_NS6detail17trampoline_kernelINS0_14default_configENS1_25partition_config_selectorILNS1_17partition_subalgoE6EjNS0_10empty_typeEbEEZZNS1_14partition_implILS5_6ELb0ES3_mN6thrust23THRUST_200600_302600_NS6detail15normal_iteratorINSA_10device_ptrIjEEEEPS6_SG_NS0_5tupleIJNSA_16discard_iteratorINSA_11use_defaultEEES6_EEENSH_IJSG_SG_EEES6_PlJNSB_9not_fun_tINSB_14equal_to_valueIjEEEEEEE10hipError_tPvRmT3_T4_T5_T6_T7_T9_mT8_P12ihipStream_tbDpT10_ENKUlT_T0_E_clISt17integral_constantIbLb0EES1B_EEDaS16_S17_EUlS16_E_NS1_11comp_targetILNS1_3genE2ELNS1_11target_archE906ELNS1_3gpuE6ELNS1_3repE0EEENS1_30default_config_static_selectorELNS0_4arch9wavefront6targetE0EEEvT1_.num_agpr, 0
	.set _ZN7rocprim17ROCPRIM_400000_NS6detail17trampoline_kernelINS0_14default_configENS1_25partition_config_selectorILNS1_17partition_subalgoE6EjNS0_10empty_typeEbEEZZNS1_14partition_implILS5_6ELb0ES3_mN6thrust23THRUST_200600_302600_NS6detail15normal_iteratorINSA_10device_ptrIjEEEEPS6_SG_NS0_5tupleIJNSA_16discard_iteratorINSA_11use_defaultEEES6_EEENSH_IJSG_SG_EEES6_PlJNSB_9not_fun_tINSB_14equal_to_valueIjEEEEEEE10hipError_tPvRmT3_T4_T5_T6_T7_T9_mT8_P12ihipStream_tbDpT10_ENKUlT_T0_E_clISt17integral_constantIbLb0EES1B_EEDaS16_S17_EUlS16_E_NS1_11comp_targetILNS1_3genE2ELNS1_11target_archE906ELNS1_3gpuE6ELNS1_3repE0EEENS1_30default_config_static_selectorELNS0_4arch9wavefront6targetE0EEEvT1_.numbered_sgpr, 0
	.set _ZN7rocprim17ROCPRIM_400000_NS6detail17trampoline_kernelINS0_14default_configENS1_25partition_config_selectorILNS1_17partition_subalgoE6EjNS0_10empty_typeEbEEZZNS1_14partition_implILS5_6ELb0ES3_mN6thrust23THRUST_200600_302600_NS6detail15normal_iteratorINSA_10device_ptrIjEEEEPS6_SG_NS0_5tupleIJNSA_16discard_iteratorINSA_11use_defaultEEES6_EEENSH_IJSG_SG_EEES6_PlJNSB_9not_fun_tINSB_14equal_to_valueIjEEEEEEE10hipError_tPvRmT3_T4_T5_T6_T7_T9_mT8_P12ihipStream_tbDpT10_ENKUlT_T0_E_clISt17integral_constantIbLb0EES1B_EEDaS16_S17_EUlS16_E_NS1_11comp_targetILNS1_3genE2ELNS1_11target_archE906ELNS1_3gpuE6ELNS1_3repE0EEENS1_30default_config_static_selectorELNS0_4arch9wavefront6targetE0EEEvT1_.num_named_barrier, 0
	.set _ZN7rocprim17ROCPRIM_400000_NS6detail17trampoline_kernelINS0_14default_configENS1_25partition_config_selectorILNS1_17partition_subalgoE6EjNS0_10empty_typeEbEEZZNS1_14partition_implILS5_6ELb0ES3_mN6thrust23THRUST_200600_302600_NS6detail15normal_iteratorINSA_10device_ptrIjEEEEPS6_SG_NS0_5tupleIJNSA_16discard_iteratorINSA_11use_defaultEEES6_EEENSH_IJSG_SG_EEES6_PlJNSB_9not_fun_tINSB_14equal_to_valueIjEEEEEEE10hipError_tPvRmT3_T4_T5_T6_T7_T9_mT8_P12ihipStream_tbDpT10_ENKUlT_T0_E_clISt17integral_constantIbLb0EES1B_EEDaS16_S17_EUlS16_E_NS1_11comp_targetILNS1_3genE2ELNS1_11target_archE906ELNS1_3gpuE6ELNS1_3repE0EEENS1_30default_config_static_selectorELNS0_4arch9wavefront6targetE0EEEvT1_.private_seg_size, 0
	.set _ZN7rocprim17ROCPRIM_400000_NS6detail17trampoline_kernelINS0_14default_configENS1_25partition_config_selectorILNS1_17partition_subalgoE6EjNS0_10empty_typeEbEEZZNS1_14partition_implILS5_6ELb0ES3_mN6thrust23THRUST_200600_302600_NS6detail15normal_iteratorINSA_10device_ptrIjEEEEPS6_SG_NS0_5tupleIJNSA_16discard_iteratorINSA_11use_defaultEEES6_EEENSH_IJSG_SG_EEES6_PlJNSB_9not_fun_tINSB_14equal_to_valueIjEEEEEEE10hipError_tPvRmT3_T4_T5_T6_T7_T9_mT8_P12ihipStream_tbDpT10_ENKUlT_T0_E_clISt17integral_constantIbLb0EES1B_EEDaS16_S17_EUlS16_E_NS1_11comp_targetILNS1_3genE2ELNS1_11target_archE906ELNS1_3gpuE6ELNS1_3repE0EEENS1_30default_config_static_selectorELNS0_4arch9wavefront6targetE0EEEvT1_.uses_vcc, 0
	.set _ZN7rocprim17ROCPRIM_400000_NS6detail17trampoline_kernelINS0_14default_configENS1_25partition_config_selectorILNS1_17partition_subalgoE6EjNS0_10empty_typeEbEEZZNS1_14partition_implILS5_6ELb0ES3_mN6thrust23THRUST_200600_302600_NS6detail15normal_iteratorINSA_10device_ptrIjEEEEPS6_SG_NS0_5tupleIJNSA_16discard_iteratorINSA_11use_defaultEEES6_EEENSH_IJSG_SG_EEES6_PlJNSB_9not_fun_tINSB_14equal_to_valueIjEEEEEEE10hipError_tPvRmT3_T4_T5_T6_T7_T9_mT8_P12ihipStream_tbDpT10_ENKUlT_T0_E_clISt17integral_constantIbLb0EES1B_EEDaS16_S17_EUlS16_E_NS1_11comp_targetILNS1_3genE2ELNS1_11target_archE906ELNS1_3gpuE6ELNS1_3repE0EEENS1_30default_config_static_selectorELNS0_4arch9wavefront6targetE0EEEvT1_.uses_flat_scratch, 0
	.set _ZN7rocprim17ROCPRIM_400000_NS6detail17trampoline_kernelINS0_14default_configENS1_25partition_config_selectorILNS1_17partition_subalgoE6EjNS0_10empty_typeEbEEZZNS1_14partition_implILS5_6ELb0ES3_mN6thrust23THRUST_200600_302600_NS6detail15normal_iteratorINSA_10device_ptrIjEEEEPS6_SG_NS0_5tupleIJNSA_16discard_iteratorINSA_11use_defaultEEES6_EEENSH_IJSG_SG_EEES6_PlJNSB_9not_fun_tINSB_14equal_to_valueIjEEEEEEE10hipError_tPvRmT3_T4_T5_T6_T7_T9_mT8_P12ihipStream_tbDpT10_ENKUlT_T0_E_clISt17integral_constantIbLb0EES1B_EEDaS16_S17_EUlS16_E_NS1_11comp_targetILNS1_3genE2ELNS1_11target_archE906ELNS1_3gpuE6ELNS1_3repE0EEENS1_30default_config_static_selectorELNS0_4arch9wavefront6targetE0EEEvT1_.has_dyn_sized_stack, 0
	.set _ZN7rocprim17ROCPRIM_400000_NS6detail17trampoline_kernelINS0_14default_configENS1_25partition_config_selectorILNS1_17partition_subalgoE6EjNS0_10empty_typeEbEEZZNS1_14partition_implILS5_6ELb0ES3_mN6thrust23THRUST_200600_302600_NS6detail15normal_iteratorINSA_10device_ptrIjEEEEPS6_SG_NS0_5tupleIJNSA_16discard_iteratorINSA_11use_defaultEEES6_EEENSH_IJSG_SG_EEES6_PlJNSB_9not_fun_tINSB_14equal_to_valueIjEEEEEEE10hipError_tPvRmT3_T4_T5_T6_T7_T9_mT8_P12ihipStream_tbDpT10_ENKUlT_T0_E_clISt17integral_constantIbLb0EES1B_EEDaS16_S17_EUlS16_E_NS1_11comp_targetILNS1_3genE2ELNS1_11target_archE906ELNS1_3gpuE6ELNS1_3repE0EEENS1_30default_config_static_selectorELNS0_4arch9wavefront6targetE0EEEvT1_.has_recursion, 0
	.set _ZN7rocprim17ROCPRIM_400000_NS6detail17trampoline_kernelINS0_14default_configENS1_25partition_config_selectorILNS1_17partition_subalgoE6EjNS0_10empty_typeEbEEZZNS1_14partition_implILS5_6ELb0ES3_mN6thrust23THRUST_200600_302600_NS6detail15normal_iteratorINSA_10device_ptrIjEEEEPS6_SG_NS0_5tupleIJNSA_16discard_iteratorINSA_11use_defaultEEES6_EEENSH_IJSG_SG_EEES6_PlJNSB_9not_fun_tINSB_14equal_to_valueIjEEEEEEE10hipError_tPvRmT3_T4_T5_T6_T7_T9_mT8_P12ihipStream_tbDpT10_ENKUlT_T0_E_clISt17integral_constantIbLb0EES1B_EEDaS16_S17_EUlS16_E_NS1_11comp_targetILNS1_3genE2ELNS1_11target_archE906ELNS1_3gpuE6ELNS1_3repE0EEENS1_30default_config_static_selectorELNS0_4arch9wavefront6targetE0EEEvT1_.has_indirect_call, 0
	.section	.AMDGPU.csdata,"",@progbits
; Kernel info:
; codeLenInByte = 0
; TotalNumSgprs: 0
; NumVgprs: 0
; ScratchSize: 0
; MemoryBound: 0
; FloatMode: 240
; IeeeMode: 1
; LDSByteSize: 0 bytes/workgroup (compile time only)
; SGPRBlocks: 0
; VGPRBlocks: 0
; NumSGPRsForWavesPerEU: 1
; NumVGPRsForWavesPerEU: 1
; Occupancy: 16
; WaveLimiterHint : 0
; COMPUTE_PGM_RSRC2:SCRATCH_EN: 0
; COMPUTE_PGM_RSRC2:USER_SGPR: 2
; COMPUTE_PGM_RSRC2:TRAP_HANDLER: 0
; COMPUTE_PGM_RSRC2:TGID_X_EN: 1
; COMPUTE_PGM_RSRC2:TGID_Y_EN: 0
; COMPUTE_PGM_RSRC2:TGID_Z_EN: 0
; COMPUTE_PGM_RSRC2:TIDIG_COMP_CNT: 0
	.section	.text._ZN7rocprim17ROCPRIM_400000_NS6detail17trampoline_kernelINS0_14default_configENS1_25partition_config_selectorILNS1_17partition_subalgoE6EjNS0_10empty_typeEbEEZZNS1_14partition_implILS5_6ELb0ES3_mN6thrust23THRUST_200600_302600_NS6detail15normal_iteratorINSA_10device_ptrIjEEEEPS6_SG_NS0_5tupleIJNSA_16discard_iteratorINSA_11use_defaultEEES6_EEENSH_IJSG_SG_EEES6_PlJNSB_9not_fun_tINSB_14equal_to_valueIjEEEEEEE10hipError_tPvRmT3_T4_T5_T6_T7_T9_mT8_P12ihipStream_tbDpT10_ENKUlT_T0_E_clISt17integral_constantIbLb0EES1B_EEDaS16_S17_EUlS16_E_NS1_11comp_targetILNS1_3genE10ELNS1_11target_archE1200ELNS1_3gpuE4ELNS1_3repE0EEENS1_30default_config_static_selectorELNS0_4arch9wavefront6targetE0EEEvT1_,"axG",@progbits,_ZN7rocprim17ROCPRIM_400000_NS6detail17trampoline_kernelINS0_14default_configENS1_25partition_config_selectorILNS1_17partition_subalgoE6EjNS0_10empty_typeEbEEZZNS1_14partition_implILS5_6ELb0ES3_mN6thrust23THRUST_200600_302600_NS6detail15normal_iteratorINSA_10device_ptrIjEEEEPS6_SG_NS0_5tupleIJNSA_16discard_iteratorINSA_11use_defaultEEES6_EEENSH_IJSG_SG_EEES6_PlJNSB_9not_fun_tINSB_14equal_to_valueIjEEEEEEE10hipError_tPvRmT3_T4_T5_T6_T7_T9_mT8_P12ihipStream_tbDpT10_ENKUlT_T0_E_clISt17integral_constantIbLb0EES1B_EEDaS16_S17_EUlS16_E_NS1_11comp_targetILNS1_3genE10ELNS1_11target_archE1200ELNS1_3gpuE4ELNS1_3repE0EEENS1_30default_config_static_selectorELNS0_4arch9wavefront6targetE0EEEvT1_,comdat
	.protected	_ZN7rocprim17ROCPRIM_400000_NS6detail17trampoline_kernelINS0_14default_configENS1_25partition_config_selectorILNS1_17partition_subalgoE6EjNS0_10empty_typeEbEEZZNS1_14partition_implILS5_6ELb0ES3_mN6thrust23THRUST_200600_302600_NS6detail15normal_iteratorINSA_10device_ptrIjEEEEPS6_SG_NS0_5tupleIJNSA_16discard_iteratorINSA_11use_defaultEEES6_EEENSH_IJSG_SG_EEES6_PlJNSB_9not_fun_tINSB_14equal_to_valueIjEEEEEEE10hipError_tPvRmT3_T4_T5_T6_T7_T9_mT8_P12ihipStream_tbDpT10_ENKUlT_T0_E_clISt17integral_constantIbLb0EES1B_EEDaS16_S17_EUlS16_E_NS1_11comp_targetILNS1_3genE10ELNS1_11target_archE1200ELNS1_3gpuE4ELNS1_3repE0EEENS1_30default_config_static_selectorELNS0_4arch9wavefront6targetE0EEEvT1_ ; -- Begin function _ZN7rocprim17ROCPRIM_400000_NS6detail17trampoline_kernelINS0_14default_configENS1_25partition_config_selectorILNS1_17partition_subalgoE6EjNS0_10empty_typeEbEEZZNS1_14partition_implILS5_6ELb0ES3_mN6thrust23THRUST_200600_302600_NS6detail15normal_iteratorINSA_10device_ptrIjEEEEPS6_SG_NS0_5tupleIJNSA_16discard_iteratorINSA_11use_defaultEEES6_EEENSH_IJSG_SG_EEES6_PlJNSB_9not_fun_tINSB_14equal_to_valueIjEEEEEEE10hipError_tPvRmT3_T4_T5_T6_T7_T9_mT8_P12ihipStream_tbDpT10_ENKUlT_T0_E_clISt17integral_constantIbLb0EES1B_EEDaS16_S17_EUlS16_E_NS1_11comp_targetILNS1_3genE10ELNS1_11target_archE1200ELNS1_3gpuE4ELNS1_3repE0EEENS1_30default_config_static_selectorELNS0_4arch9wavefront6targetE0EEEvT1_
	.globl	_ZN7rocprim17ROCPRIM_400000_NS6detail17trampoline_kernelINS0_14default_configENS1_25partition_config_selectorILNS1_17partition_subalgoE6EjNS0_10empty_typeEbEEZZNS1_14partition_implILS5_6ELb0ES3_mN6thrust23THRUST_200600_302600_NS6detail15normal_iteratorINSA_10device_ptrIjEEEEPS6_SG_NS0_5tupleIJNSA_16discard_iteratorINSA_11use_defaultEEES6_EEENSH_IJSG_SG_EEES6_PlJNSB_9not_fun_tINSB_14equal_to_valueIjEEEEEEE10hipError_tPvRmT3_T4_T5_T6_T7_T9_mT8_P12ihipStream_tbDpT10_ENKUlT_T0_E_clISt17integral_constantIbLb0EES1B_EEDaS16_S17_EUlS16_E_NS1_11comp_targetILNS1_3genE10ELNS1_11target_archE1200ELNS1_3gpuE4ELNS1_3repE0EEENS1_30default_config_static_selectorELNS0_4arch9wavefront6targetE0EEEvT1_
	.p2align	8
	.type	_ZN7rocprim17ROCPRIM_400000_NS6detail17trampoline_kernelINS0_14default_configENS1_25partition_config_selectorILNS1_17partition_subalgoE6EjNS0_10empty_typeEbEEZZNS1_14partition_implILS5_6ELb0ES3_mN6thrust23THRUST_200600_302600_NS6detail15normal_iteratorINSA_10device_ptrIjEEEEPS6_SG_NS0_5tupleIJNSA_16discard_iteratorINSA_11use_defaultEEES6_EEENSH_IJSG_SG_EEES6_PlJNSB_9not_fun_tINSB_14equal_to_valueIjEEEEEEE10hipError_tPvRmT3_T4_T5_T6_T7_T9_mT8_P12ihipStream_tbDpT10_ENKUlT_T0_E_clISt17integral_constantIbLb0EES1B_EEDaS16_S17_EUlS16_E_NS1_11comp_targetILNS1_3genE10ELNS1_11target_archE1200ELNS1_3gpuE4ELNS1_3repE0EEENS1_30default_config_static_selectorELNS0_4arch9wavefront6targetE0EEEvT1_,@function
_ZN7rocprim17ROCPRIM_400000_NS6detail17trampoline_kernelINS0_14default_configENS1_25partition_config_selectorILNS1_17partition_subalgoE6EjNS0_10empty_typeEbEEZZNS1_14partition_implILS5_6ELb0ES3_mN6thrust23THRUST_200600_302600_NS6detail15normal_iteratorINSA_10device_ptrIjEEEEPS6_SG_NS0_5tupleIJNSA_16discard_iteratorINSA_11use_defaultEEES6_EEENSH_IJSG_SG_EEES6_PlJNSB_9not_fun_tINSB_14equal_to_valueIjEEEEEEE10hipError_tPvRmT3_T4_T5_T6_T7_T9_mT8_P12ihipStream_tbDpT10_ENKUlT_T0_E_clISt17integral_constantIbLb0EES1B_EEDaS16_S17_EUlS16_E_NS1_11comp_targetILNS1_3genE10ELNS1_11target_archE1200ELNS1_3gpuE4ELNS1_3repE0EEENS1_30default_config_static_selectorELNS0_4arch9wavefront6targetE0EEEvT1_: ; @_ZN7rocprim17ROCPRIM_400000_NS6detail17trampoline_kernelINS0_14default_configENS1_25partition_config_selectorILNS1_17partition_subalgoE6EjNS0_10empty_typeEbEEZZNS1_14partition_implILS5_6ELb0ES3_mN6thrust23THRUST_200600_302600_NS6detail15normal_iteratorINSA_10device_ptrIjEEEEPS6_SG_NS0_5tupleIJNSA_16discard_iteratorINSA_11use_defaultEEES6_EEENSH_IJSG_SG_EEES6_PlJNSB_9not_fun_tINSB_14equal_to_valueIjEEEEEEE10hipError_tPvRmT3_T4_T5_T6_T7_T9_mT8_P12ihipStream_tbDpT10_ENKUlT_T0_E_clISt17integral_constantIbLb0EES1B_EEDaS16_S17_EUlS16_E_NS1_11comp_targetILNS1_3genE10ELNS1_11target_archE1200ELNS1_3gpuE4ELNS1_3repE0EEENS1_30default_config_static_selectorELNS0_4arch9wavefront6targetE0EEEvT1_
; %bb.0:
	s_clause 0x3
	s_load_b128 s[4:7], s[0:1], 0x8
	s_load_b128 s[8:11], s[0:1], 0x48
	s_load_b32 s16, s[0:1], 0x70
	s_load_b64 s[2:3], s[0:1], 0x58
	s_mov_b32 s13, 0
	s_mul_i32 s18, ttmp9, 0xa80
	s_mov_b32 s19, s13
	v_lshlrev_b32_e32 v8, 2, v0
	s_wait_kmcnt 0x0
	s_lshl_b64 s[14:15], s[6:7], 2
	s_load_b64 s[10:11], s[10:11], 0x0
	s_mul_i32 s12, s16, 0xa80
	s_add_co_i32 s16, s16, -1
	s_add_co_i32 s17, s12, s6
	s_add_nc_u64 s[20:21], s[4:5], s[14:15]
	s_add_nc_u64 s[4:5], s[6:7], s[12:13]
	s_sub_co_i32 s15, s2, s17
	s_cmp_eq_u32 ttmp9, s16
	v_cmp_gt_u64_e64 s2, s[2:3], s[4:5]
	s_cselect_b32 s12, -1, 0
	s_cmp_lg_u32 ttmp9, s16
	s_mov_b32 s4, -1
	s_cselect_b32 s3, -1, 0
	s_wait_alu 0xfffe
	s_or_b32 s16, s3, s2
	s_lshl_b64 s[2:3], s[18:19], 2
	s_and_b32 vcc_lo, exec_lo, s16
	s_wait_alu 0xfffe
	s_add_nc_u64 s[2:3], s[20:21], s[2:3]
	s_cbranch_vccz .LBB1666_2
; %bb.1:
	s_wait_alu 0xfffe
	v_add_co_u32 v1, s4, s2, v8
	s_wait_alu 0xf1ff
	v_add_co_ci_u32_e64 v2, null, s3, 0, s4
	s_mov_b32 s4, 0
	s_clause 0x6
	flat_load_b32 v3, v[1:2]
	flat_load_b32 v4, v[1:2] offset:1536
	flat_load_b32 v5, v[1:2] offset:3072
	;; [unrolled: 1-line block ×6, first 2 shown]
	s_wait_loadcnt_dscnt 0x505
	ds_store_2addr_stride64_b32 v8, v3, v4 offset1:6
	s_wait_loadcnt_dscnt 0x304
	ds_store_2addr_stride64_b32 v8, v5, v6 offset0:12 offset1:18
	s_wait_loadcnt_dscnt 0x103
	ds_store_2addr_stride64_b32 v8, v7, v9 offset0:24 offset1:30
	s_wait_loadcnt_dscnt 0x3
	ds_store_b32 v8, v1 offset:9216
	s_wait_dscnt 0x0
	s_barrier_signal -1
	s_barrier_wait -1
.LBB1666_2:
	s_load_b32 s14, s[0:1], 0x78
	s_and_not1_b32 vcc_lo, exec_lo, s4
	s_addk_co_i32 s15, 0xa80
	s_cbranch_vccnz .LBB1666_18
; %bb.3:
	v_mov_b32_e32 v1, 0
	s_mov_b32 s4, exec_lo
	s_delay_alu instid0(VALU_DEP_1)
	v_dual_mov_b32 v2, v1 :: v_dual_mov_b32 v3, v1
	v_dual_mov_b32 v4, v1 :: v_dual_mov_b32 v5, v1
	;; [unrolled: 1-line block ×3, first 2 shown]
	v_cmpx_gt_u32_e64 s15, v0
	s_cbranch_execz .LBB1666_5
; %bb.4:
	v_add_co_u32 v2, s5, s2, v8
	s_wait_alu 0xf1ff
	v_add_co_ci_u32_e64 v3, null, s3, 0, s5
	v_dual_mov_b32 v10, v1 :: v_dual_mov_b32 v11, v1
	v_dual_mov_b32 v12, v1 :: v_dual_mov_b32 v13, v1
	flat_load_b32 v9, v[2:3]
	v_dual_mov_b32 v14, v1 :: v_dual_mov_b32 v15, v1
	s_wait_loadcnt_dscnt 0x0
	v_dual_mov_b32 v1, v9 :: v_dual_mov_b32 v2, v10
	v_dual_mov_b32 v3, v11 :: v_dual_mov_b32 v4, v12
	s_delay_alu instid0(VALU_DEP_3)
	v_dual_mov_b32 v5, v13 :: v_dual_mov_b32 v6, v14
	v_mov_b32_e32 v7, v15
.LBB1666_5:
	s_wait_alu 0xfffe
	s_or_b32 exec_lo, exec_lo, s4
	v_add_nc_u32_e32 v9, 0x180, v0
	s_mov_b32 s4, exec_lo
	s_delay_alu instid0(VALU_DEP_1)
	v_cmpx_gt_u32_e64 s15, v9
	s_cbranch_execz .LBB1666_7
; %bb.6:
	v_add_co_u32 v9, s5, s2, v8
	s_wait_alu 0xf1ff
	v_add_co_ci_u32_e64 v10, null, s3, 0, s5
	flat_load_b32 v2, v[9:10] offset:1536
.LBB1666_7:
	s_wait_alu 0xfffe
	s_or_b32 exec_lo, exec_lo, s4
	v_add_nc_u32_e32 v9, 0x300, v0
	s_mov_b32 s4, exec_lo
	s_delay_alu instid0(VALU_DEP_1)
	v_cmpx_gt_u32_e64 s15, v9
	s_cbranch_execz .LBB1666_9
; %bb.8:
	v_add_co_u32 v9, s5, s2, v8
	s_wait_alu 0xf1ff
	v_add_co_ci_u32_e64 v10, null, s3, 0, s5
	flat_load_b32 v3, v[9:10] offset:3072
.LBB1666_9:
	;; [unrolled: 13-line block ×3, first 2 shown]
	s_wait_alu 0xfffe
	s_or_b32 exec_lo, exec_lo, s4
	v_or_b32_e32 v9, 0x600, v0
	s_mov_b32 s4, exec_lo
	s_delay_alu instid0(VALU_DEP_1)
	v_cmpx_gt_u32_e64 s15, v9
	s_cbranch_execz .LBB1666_13
; %bb.12:
	v_add_co_u32 v9, s5, s2, v8
	s_wait_alu 0xf1ff
	v_add_co_ci_u32_e64 v10, null, s3, 0, s5
	flat_load_b32 v5, v[9:10] offset:6144
.LBB1666_13:
	s_wait_alu 0xfffe
	s_or_b32 exec_lo, exec_lo, s4
	v_add_nc_u32_e32 v9, 0x780, v0
	s_mov_b32 s4, exec_lo
	s_delay_alu instid0(VALU_DEP_1)
	v_cmpx_gt_u32_e64 s15, v9
	s_cbranch_execz .LBB1666_15
; %bb.14:
	v_add_co_u32 v9, s5, s2, v8
	s_wait_alu 0xf1ff
	v_add_co_ci_u32_e64 v10, null, s3, 0, s5
	flat_load_b32 v6, v[9:10] offset:7680
.LBB1666_15:
	s_wait_alu 0xfffe
	s_or_b32 exec_lo, exec_lo, s4
	v_add_nc_u32_e32 v9, 0x900, v0
	s_mov_b32 s4, exec_lo
	s_delay_alu instid0(VALU_DEP_1)
	v_cmpx_gt_u32_e64 s15, v9
	s_cbranch_execz .LBB1666_17
; %bb.16:
	v_add_co_u32 v9, s2, s2, v8
	s_wait_alu 0xf1ff
	v_add_co_ci_u32_e64 v10, null, s3, 0, s2
	flat_load_b32 v7, v[9:10] offset:9216
.LBB1666_17:
	s_wait_alu 0xfffe
	s_or_b32 exec_lo, exec_lo, s4
	s_wait_loadcnt_dscnt 0x0
	ds_store_2addr_stride64_b32 v8, v1, v2 offset1:6
	ds_store_2addr_stride64_b32 v8, v3, v4 offset0:12 offset1:18
	ds_store_2addr_stride64_b32 v8, v5, v6 offset0:24 offset1:30
	ds_store_b32 v8, v7 offset:9216
	s_wait_dscnt 0x0
	s_barrier_signal -1
	s_barrier_wait -1
.LBB1666_18:
	v_mul_u32_u24_e32 v1, 7, v0
	global_inv scope:SCOPE_SE
	s_and_not1_b32 vcc_lo, exec_lo, s16
	v_lshlrev_b32_e32 v27, 2, v1
	ds_load_2addr_b32 v[9:10], v27 offset0:4 offset1:5
	ds_load_b32 v23, v27 offset:24
	ds_load_2addr_b32 v[13:14], v27 offset1:1
	ds_load_2addr_b32 v[11:12], v27 offset0:2 offset1:3
	s_wait_loadcnt_dscnt 0x0
	s_barrier_signal -1
	s_barrier_wait -1
	global_inv scope:SCOPE_SE
	s_wait_kmcnt 0x0
	v_cmp_ne_u32_e64 s2, s14, v9
	v_cmp_ne_u32_e64 s13, s14, v23
	;; [unrolled: 1-line block ×7, first 2 shown]
	s_cbranch_vccnz .LBB1666_20
; %bb.19:
	v_cndmask_b32_e64 v2, 0, 1, s6
	v_cndmask_b32_e64 v3, 0, 1, s7
	s_wait_alu 0xf1ff
	v_cndmask_b32_e64 v4, 0, 1, s4
	v_cndmask_b32_e64 v5, 0, 1, s5
	;; [unrolled: 1-line block ×3, first 2 shown]
	v_lshlrev_b16 v2, 8, v2
	v_lshlrev_b16 v3, 8, v3
	v_cndmask_b32_e64 v24, 0, 1, s3
	s_delay_alu instid0(VALU_DEP_3) | instskip(NEXT) | instid1(VALU_DEP_3)
	v_or_b32_e32 v2, v4, v2
	v_or_b32_e32 v3, v5, v3
	s_delay_alu instid0(VALU_DEP_2) | instskip(NEXT) | instid1(VALU_DEP_2)
	v_and_b32_e32 v2, 0xffff, v2
	v_lshlrev_b32_e32 v3, 16, v3
	s_delay_alu instid0(VALU_DEP_1)
	v_or_b32_e32 v26, v2, v3
	s_cbranch_execz .LBB1666_21
	s_branch .LBB1666_22
.LBB1666_20:
                                        ; implicit-def: $sgpr13
                                        ; implicit-def: $vgpr24
                                        ; implicit-def: $vgpr25
                                        ; implicit-def: $vgpr26
.LBB1666_21:
	v_add_nc_u32_e32 v2, 1, v1
	v_cmp_ne_u32_e32 vcc_lo, s14, v14
	v_add_nc_u32_e32 v3, 3, v1
	v_cmp_ne_u32_e64 s2, s14, v13
	v_cmp_ne_u32_e64 s4, s14, v12
	v_cmp_gt_u32_e64 s3, s15, v2
	v_add_nc_u32_e32 v2, 2, v1
	v_cmp_gt_u32_e64 s6, s15, v3
	v_cmp_ne_u32_e64 s5, s14, v11
	v_add_nc_u32_e32 v5, 5, v1
	s_and_b32 s3, s3, vcc_lo
	v_cmp_gt_u32_e32 vcc_lo, s15, v1
	s_wait_alu 0xfffe
	v_cndmask_b32_e64 v3, 0, 1, s3
	v_cmp_gt_u32_e64 s3, s15, v2
	s_and_b32 s4, s6, s4
	s_and_b32 s2, vcc_lo, s2
	v_lshlrev_b16 v3, 8, v3
	s_wait_alu 0xfffe
	v_cndmask_b32_e64 v4, 0, 1, s2
	v_cndmask_b32_e64 v2, 0, 1, s4
	s_and_b32 s2, s3, s5
	v_cmp_ne_u32_e32 vcc_lo, s14, v10
	s_wait_alu 0xfffe
	v_cndmask_b32_e64 v6, 0, 1, s2
	v_cmp_gt_u32_e64 s2, s15, v5
	v_or_b32_e32 v3, v4, v3
	v_add_nc_u32_e32 v4, 4, v1
	v_lshlrev_b16 v2, 8, v2
	v_cmp_ne_u32_e64 s3, s14, v9
	s_and_b32 s2, s2, vcc_lo
	v_add_nc_u32_e32 v1, 6, v1
	v_cmp_gt_u32_e32 vcc_lo, s15, v4
	v_or_b32_e32 v2, v6, v2
	s_wait_alu 0xfffe
	v_cndmask_b32_e64 v24, 0, 1, s2
	v_and_b32_e32 v3, 0xffff, v3
	s_and_b32 s2, vcc_lo, s3
	v_cmp_gt_u32_e32 vcc_lo, s15, v1
	s_wait_alu 0xfffe
	v_cndmask_b32_e64 v5, 0, 1, s2
	v_cmp_ne_u32_e64 s2, s14, v23
	v_lshlrev_b32_e32 v2, 16, v2
	v_lshlrev_b16 v4, 8, v24
	s_and_not1_b32 s3, s13, exec_lo
	s_and_b32 s2, vcc_lo, s2
	s_delay_alu instid0(VALU_DEP_2) | instskip(NEXT) | instid1(VALU_DEP_2)
	v_or_b32_e32 v26, v3, v2
	v_or_b32_e32 v25, v5, v4
	s_wait_alu 0xfffe
	s_and_b32 s2, s2, exec_lo
	s_wait_alu 0xfffe
	s_or_b32 s13, s3, s2
.LBB1666_22:
	s_delay_alu instid0(VALU_DEP_1)
	v_dual_mov_b32 v2, 0 :: v_dual_and_b32 v31, 0xff, v26
	v_bfe_u32 v30, v26, 8, 8
	v_cndmask_b32_e64 v1, 0, 1, s13
	v_bfe_u32 v33, v26, 16, 8
	s_load_b64 s[4:5], s[0:1], 0x68
	v_lshrrev_b32_e32 v28, 24, v26
	v_and_b32_e32 v32, 0xff, v25
	v_add3_u32 v1, v31, v1, v30
	v_mbcnt_lo_u32_b32 v34, -1, 0
	v_and_b32_e32 v29, 0xff, v24
	s_cmp_lg_u32 ttmp9, 0
	s_mov_b32 s1, -1
	v_add_co_u32 v1, s0, v1, v33
	s_delay_alu instid0(VALU_DEP_1) | instskip(SKIP_1) | instid1(VALU_DEP_3)
	v_add_co_ci_u32_e64 v3, null, 0, 0, s0
	v_and_b32_e32 v35, 15, v34
	v_add_co_u32 v1, vcc_lo, v1, v28
	s_delay_alu instid0(VALU_DEP_1) | instskip(NEXT) | instid1(VALU_DEP_3)
	v_add_co_ci_u32_e64 v3, null, 0, v3, vcc_lo
	v_cmp_ne_u32_e64 s0, 0, v35
	s_delay_alu instid0(VALU_DEP_3) | instskip(SKIP_1) | instid1(VALU_DEP_3)
	v_add_co_u32 v1, vcc_lo, v1, v32
	s_wait_alu 0xfffd
	v_add_co_ci_u32_e64 v3, null, 0, v3, vcc_lo
	s_delay_alu instid0(VALU_DEP_2) | instskip(SKIP_1) | instid1(VALU_DEP_2)
	v_add_co_u32 v15, vcc_lo, v1, v29
	s_wait_alu 0xfffd
	v_add_co_ci_u32_e64 v16, null, 0, v3, vcc_lo
	s_cbranch_scc0 .LBB1666_81
; %bb.23:
	v_mov_b32_e32 v3, v15
	v_mov_b32_dpp v1, v15 row_shr:1 row_mask:0xf bank_mask:0xf
	v_mov_b32_dpp v6, v2 row_shr:1 row_mask:0xf bank_mask:0xf
	v_dual_mov_b32 v5, v15 :: v_dual_mov_b32 v4, v16
	s_and_saveexec_b32 s1, s0
; %bb.24:
	s_delay_alu instid0(VALU_DEP_3) | instskip(SKIP_2) | instid1(VALU_DEP_2)
	v_add_co_u32 v5, vcc_lo, v15, v1
	s_wait_alu 0xfffd
	v_add_co_ci_u32_e64 v2, null, 0, v16, vcc_lo
	v_add_co_u32 v1, vcc_lo, 0, v5
	s_wait_alu 0xfffd
	s_delay_alu instid0(VALU_DEP_2) | instskip(NEXT) | instid1(VALU_DEP_1)
	v_add_co_ci_u32_e64 v2, null, v6, v2, vcc_lo
	v_dual_mov_b32 v4, v2 :: v_dual_mov_b32 v3, v1
; %bb.25:
	s_wait_alu 0xfffe
	s_or_b32 exec_lo, exec_lo, s1
	v_mov_b32_dpp v1, v5 row_shr:2 row_mask:0xf bank_mask:0xf
	v_mov_b32_dpp v6, v2 row_shr:2 row_mask:0xf bank_mask:0xf
	v_cmp_lt_u32_e32 vcc_lo, 1, v35
	s_and_saveexec_b32 s2, vcc_lo
; %bb.26:
	s_delay_alu instid0(VALU_DEP_3) | instskip(SKIP_2) | instid1(VALU_DEP_2)
	v_add_co_u32 v5, s1, v3, v1
	s_wait_alu 0xf1ff
	v_add_co_ci_u32_e64 v2, null, 0, v4, s1
	v_add_co_u32 v1, s1, 0, v5
	s_wait_alu 0xf1ff
	s_delay_alu instid0(VALU_DEP_2) | instskip(NEXT) | instid1(VALU_DEP_1)
	v_add_co_ci_u32_e64 v2, null, v6, v2, s1
	v_dual_mov_b32 v4, v2 :: v_dual_mov_b32 v3, v1
; %bb.27:
	s_wait_alu 0xfffe
	s_or_b32 exec_lo, exec_lo, s2
	v_mov_b32_dpp v1, v5 row_shr:4 row_mask:0xf bank_mask:0xf
	v_mov_b32_dpp v6, v2 row_shr:4 row_mask:0xf bank_mask:0xf
	v_cmp_lt_u32_e64 s1, 3, v35
	s_and_saveexec_b32 s3, s1
; %bb.28:
	v_add_co_u32 v5, s2, v3, v1
	s_wait_alu 0xf1ff
	v_add_co_ci_u32_e64 v2, null, 0, v4, s2
	s_delay_alu instid0(VALU_DEP_2) | instskip(SKIP_1) | instid1(VALU_DEP_2)
	v_add_co_u32 v1, s2, 0, v5
	s_wait_alu 0xf1ff
	v_add_co_ci_u32_e64 v2, null, v6, v2, s2
	s_delay_alu instid0(VALU_DEP_1)
	v_dual_mov_b32 v4, v2 :: v_dual_mov_b32 v3, v1
; %bb.29:
	s_wait_alu 0xfffe
	s_or_b32 exec_lo, exec_lo, s3
	v_mov_b32_dpp v6, v5 row_shr:8 row_mask:0xf bank_mask:0xf
	v_mov_b32_dpp v1, v2 row_shr:8 row_mask:0xf bank_mask:0xf
	v_cmp_lt_u32_e64 s2, 7, v35
	s_and_saveexec_b32 s6, s2
; %bb.30:
	v_add_co_u32 v5, s3, v3, v6
	s_wait_alu 0xf1ff
	v_add_co_ci_u32_e64 v2, null, 0, v4, s3
	s_delay_alu instid0(VALU_DEP_2) | instskip(SKIP_1) | instid1(VALU_DEP_2)
	v_add_co_u32 v3, s3, 0, v5
	s_wait_alu 0xf1ff
	v_add_co_ci_u32_e64 v4, null, v1, v2, s3
	s_delay_alu instid0(VALU_DEP_1)
	v_mov_b32_e32 v2, v4
; %bb.31:
	s_wait_alu 0xfffe
	s_or_b32 exec_lo, exec_lo, s6
	ds_swizzle_b32 v6, v5 offset:swizzle(BROADCAST,32,15)
	ds_swizzle_b32 v1, v2 offset:swizzle(BROADCAST,32,15)
	v_and_b32_e32 v2, 16, v34
	s_mov_b32 s6, exec_lo
	s_delay_alu instid0(VALU_DEP_1)
	v_cmpx_ne_u32_e32 0, v2
	s_cbranch_execz .LBB1666_33
; %bb.32:
	s_wait_dscnt 0x1
	v_add_co_u32 v5, s3, v3, v6
	s_wait_alu 0xf1ff
	v_add_co_ci_u32_e64 v2, null, 0, v4, s3
	s_delay_alu instid0(VALU_DEP_2) | instskip(SKIP_2) | instid1(VALU_DEP_2)
	v_add_co_u32 v3, s3, 0, v5
	s_wait_dscnt 0x0
	s_wait_alu 0xf1ff
	v_add_co_ci_u32_e64 v4, null, v1, v2, s3
.LBB1666_33:
	s_wait_alu 0xfffe
	s_or_b32 exec_lo, exec_lo, s6
	s_wait_dscnt 0x0
	v_and_b32_e32 v1, 0x1e0, v0
	v_lshrrev_b32_e32 v6, 5, v0
	s_mov_b32 s6, exec_lo
	s_delay_alu instid0(VALU_DEP_2) | instskip(NEXT) | instid1(VALU_DEP_1)
	v_min_u32_e32 v1, 0x160, v1
	v_or_b32_e32 v1, 31, v1
	s_delay_alu instid0(VALU_DEP_1)
	v_cmpx_eq_u32_e64 v0, v1
; %bb.34:
	v_lshlrev_b32_e32 v1, 3, v6
	ds_store_b64 v1, v[3:4]
; %bb.35:
	s_wait_alu 0xfffe
	s_or_b32 exec_lo, exec_lo, s6
	s_delay_alu instid0(SALU_CYCLE_1)
	s_mov_b32 s6, exec_lo
	s_wait_loadcnt_dscnt 0x0
	s_barrier_signal -1
	s_barrier_wait -1
	global_inv scope:SCOPE_SE
	v_cmpx_gt_u32_e32 12, v0
	s_cbranch_execz .LBB1666_45
; %bb.36:
	v_lshlrev_b32_e32 v3, 3, v0
	ds_load_b64 v[1:2], v3
	s_wait_dscnt 0x0
	v_mov_b32_dpp v8, v1 row_shr:1 row_mask:0xf bank_mask:0xf
	v_mov_b32_dpp v7, v2 row_shr:1 row_mask:0xf bank_mask:0xf
	v_mov_b32_e32 v4, v1
	s_and_saveexec_b32 s7, s0
; %bb.37:
	s_delay_alu instid0(VALU_DEP_3) | instskip(SKIP_2) | instid1(VALU_DEP_2)
	v_add_co_u32 v4, s3, v1, v8
	s_wait_alu 0xf1ff
	v_add_co_ci_u32_e64 v2, null, 0, v2, s3
	v_add_co_u32 v1, s3, 0, v4
	s_wait_alu 0xf1ff
	s_delay_alu instid0(VALU_DEP_2)
	v_add_co_ci_u32_e64 v2, null, v7, v2, s3
; %bb.38:
	s_wait_alu 0xfffe
	s_or_b32 exec_lo, exec_lo, s7
	v_mov_b32_dpp v8, v4 row_shr:2 row_mask:0xf bank_mask:0xf
	s_delay_alu instid0(VALU_DEP_2)
	v_mov_b32_dpp v7, v2 row_shr:2 row_mask:0xf bank_mask:0xf
	s_and_saveexec_b32 s3, vcc_lo
; %bb.39:
	s_delay_alu instid0(VALU_DEP_2) | instskip(SKIP_2) | instid1(VALU_DEP_2)
	v_add_co_u32 v4, vcc_lo, v1, v8
	s_wait_alu 0xfffd
	v_add_co_ci_u32_e64 v2, null, 0, v2, vcc_lo
	v_add_co_u32 v1, vcc_lo, 0, v4
	s_wait_alu 0xfffd
	s_delay_alu instid0(VALU_DEP_2)
	v_add_co_ci_u32_e64 v2, null, v7, v2, vcc_lo
; %bb.40:
	s_wait_alu 0xfffe
	s_or_b32 exec_lo, exec_lo, s3
	v_mov_b32_dpp v8, v4 row_shr:4 row_mask:0xf bank_mask:0xf
	s_delay_alu instid0(VALU_DEP_2)
	v_mov_b32_dpp v7, v2 row_shr:4 row_mask:0xf bank_mask:0xf
	s_and_saveexec_b32 s3, s1
; %bb.41:
	s_delay_alu instid0(VALU_DEP_2) | instskip(SKIP_2) | instid1(VALU_DEP_2)
	v_add_co_u32 v4, vcc_lo, v1, v8
	s_wait_alu 0xfffd
	v_add_co_ci_u32_e64 v2, null, 0, v2, vcc_lo
	v_add_co_u32 v1, vcc_lo, 0, v4
	s_wait_alu 0xfffd
	s_delay_alu instid0(VALU_DEP_2)
	v_add_co_ci_u32_e64 v2, null, v7, v2, vcc_lo
; %bb.42:
	s_wait_alu 0xfffe
	s_or_b32 exec_lo, exec_lo, s3
	v_mov_b32_dpp v7, v4 row_shr:8 row_mask:0xf bank_mask:0xf
	s_delay_alu instid0(VALU_DEP_2)
	v_mov_b32_dpp v4, v2 row_shr:8 row_mask:0xf bank_mask:0xf
	s_and_saveexec_b32 s1, s2
; %bb.43:
	s_delay_alu instid0(VALU_DEP_2) | instskip(SKIP_2) | instid1(VALU_DEP_2)
	v_add_co_u32 v1, vcc_lo, v1, v7
	s_wait_alu 0xfffd
	v_add_co_ci_u32_e64 v2, null, 0, v2, vcc_lo
	v_add_co_u32 v1, vcc_lo, v1, 0
	s_wait_alu 0xfffd
	s_delay_alu instid0(VALU_DEP_2)
	v_add_co_ci_u32_e64 v2, null, v2, v4, vcc_lo
; %bb.44:
	s_wait_alu 0xfffe
	s_or_b32 exec_lo, exec_lo, s1
	ds_store_b64 v3, v[1:2]
.LBB1666_45:
	s_wait_alu 0xfffe
	s_or_b32 exec_lo, exec_lo, s6
	s_delay_alu instid0(SALU_CYCLE_1)
	s_mov_b32 s2, exec_lo
	v_cmp_gt_u32_e32 vcc_lo, 32, v0
	s_wait_loadcnt_dscnt 0x0
	s_barrier_signal -1
	s_barrier_wait -1
	global_inv scope:SCOPE_SE
                                        ; implicit-def: $vgpr17_vgpr18
	v_cmpx_lt_u32_e32 31, v0
	s_cbranch_execz .LBB1666_47
; %bb.46:
	v_lshl_add_u32 v1, v6, 3, -8
	ds_load_b64 v[17:18], v1
	s_wait_dscnt 0x0
	v_add_nc_u32_e32 v5, v5, v17
.LBB1666_47:
	s_wait_alu 0xfffe
	s_or_b32 exec_lo, exec_lo, s2
	v_sub_co_u32 v1, s1, v34, 1
	s_delay_alu instid0(VALU_DEP_1) | instskip(SKIP_1) | instid1(VALU_DEP_1)
	v_cmp_gt_i32_e64 s2, 0, v1
	s_wait_alu 0xf1ff
	v_cndmask_b32_e64 v1, v1, v34, s2
	s_delay_alu instid0(VALU_DEP_1)
	v_lshlrev_b32_e32 v1, 2, v1
	ds_bpermute_b32 v36, v1, v5
	s_and_saveexec_b32 s2, vcc_lo
	s_cbranch_execz .LBB1666_86
; %bb.48:
	v_mov_b32_e32 v4, 0
	ds_load_b64 v[1:2], v4 offset:88
	s_and_saveexec_b32 s3, s1
	s_cbranch_execz .LBB1666_50
; %bb.49:
	s_add_co_i32 s6, ttmp9, 32
	s_mov_b32 s7, 0
	s_wait_alu 0xfffe
	s_lshl_b64 s[6:7], s[6:7], 4
	s_wait_kmcnt 0x0
	s_wait_alu 0xfffe
	s_add_nc_u64 s[6:7], s[4:5], s[6:7]
	v_mov_b32_e32 v3, 1
	s_wait_alu 0xfffe
	v_dual_mov_b32 v5, s6 :: v_dual_mov_b32 v6, s7
	s_wait_dscnt 0x0
	;;#ASMSTART
	global_store_b128 v[5:6], v[1:4] off scope:SCOPE_DEV	
s_wait_storecnt 0x0
	;;#ASMEND
.LBB1666_50:
	s_wait_alu 0xfffe
	s_or_b32 exec_lo, exec_lo, s3
	v_xad_u32 v19, v34, -1, ttmp9
	s_mov_b32 s6, 0
	s_mov_b32 s3, exec_lo
	s_delay_alu instid0(VALU_DEP_1) | instskip(NEXT) | instid1(VALU_DEP_1)
	v_add_nc_u32_e32 v3, 32, v19
	v_lshlrev_b64_e32 v[3:4], 4, v[3:4]
	s_wait_kmcnt 0x0
	s_delay_alu instid0(VALU_DEP_1) | instskip(SKIP_1) | instid1(VALU_DEP_2)
	v_add_co_u32 v3, vcc_lo, s4, v3
	s_wait_alu 0xfffd
	v_add_co_ci_u32_e64 v4, null, s5, v4, vcc_lo
	;;#ASMSTART
	global_load_b128 v[5:8], v[3:4] off scope:SCOPE_DEV	
s_wait_loadcnt 0x0
	;;#ASMEND
	v_and_b32_e32 v8, 0xff, v7
	s_delay_alu instid0(VALU_DEP_1)
	v_cmpx_eq_u16_e32 0, v8
	s_cbranch_execz .LBB1666_53
.LBB1666_51:                            ; =>This Inner Loop Header: Depth=1
	;;#ASMSTART
	global_load_b128 v[5:8], v[3:4] off scope:SCOPE_DEV	
s_wait_loadcnt 0x0
	;;#ASMEND
	v_and_b32_e32 v8, 0xff, v7
	s_delay_alu instid0(VALU_DEP_1)
	v_cmp_ne_u16_e32 vcc_lo, 0, v8
	s_wait_alu 0xfffe
	s_or_b32 s6, vcc_lo, s6
	s_wait_alu 0xfffe
	s_and_not1_b32 exec_lo, exec_lo, s6
	s_cbranch_execnz .LBB1666_51
; %bb.52:
	s_or_b32 exec_lo, exec_lo, s6
.LBB1666_53:
	s_wait_alu 0xfffe
	s_or_b32 exec_lo, exec_lo, s3
	v_cmp_ne_u32_e32 vcc_lo, 31, v34
	v_and_b32_e32 v4, 0xff, v7
	v_lshlrev_b32_e64 v38, v34, -1
	s_mov_b32 s3, exec_lo
	s_wait_alu 0xfffd
	v_add_co_ci_u32_e64 v3, null, 0, v34, vcc_lo
	v_cmp_eq_u16_e32 vcc_lo, 2, v4
	s_delay_alu instid0(VALU_DEP_2)
	v_dual_mov_b32 v4, v5 :: v_dual_lshlrev_b32 v37, 2, v3
	s_wait_alu 0xfffd
	v_and_or_b32 v3, vcc_lo, v38, 0x80000000
	ds_bpermute_b32 v20, v37, v5
	ds_bpermute_b32 v8, v37, v6
	v_ctz_i32_b32_e32 v3, v3
	s_delay_alu instid0(VALU_DEP_1)
	v_cmpx_lt_u32_e64 v34, v3
	s_cbranch_execz .LBB1666_55
; %bb.54:
	s_wait_dscnt 0x1
	v_add_co_u32 v4, vcc_lo, v5, v20
	s_wait_alu 0xfffd
	v_add_co_ci_u32_e64 v6, null, 0, v6, vcc_lo
	s_delay_alu instid0(VALU_DEP_2) | instskip(SKIP_2) | instid1(VALU_DEP_2)
	v_add_co_u32 v5, vcc_lo, 0, v4
	s_wait_dscnt 0x0
	s_wait_alu 0xfffd
	v_add_co_ci_u32_e64 v6, null, v8, v6, vcc_lo
.LBB1666_55:
	s_wait_alu 0xfffe
	s_or_b32 exec_lo, exec_lo, s3
	v_cmp_gt_u32_e32 vcc_lo, 30, v34
	v_add_nc_u32_e32 v40, 2, v34
	s_mov_b32 s3, exec_lo
	s_wait_dscnt 0x0
	s_wait_alu 0xfffd
	v_cndmask_b32_e64 v8, 0, 2, vcc_lo
	s_delay_alu instid0(VALU_DEP_1)
	v_add_lshl_u32 v39, v8, v34, 2
	ds_bpermute_b32 v20, v39, v4
	ds_bpermute_b32 v8, v39, v6
	v_cmpx_le_u32_e64 v40, v3
	s_cbranch_execz .LBB1666_57
; %bb.56:
	s_wait_dscnt 0x1
	v_add_co_u32 v4, vcc_lo, v5, v20
	s_wait_alu 0xfffd
	v_add_co_ci_u32_e64 v6, null, 0, v6, vcc_lo
	s_delay_alu instid0(VALU_DEP_2) | instskip(SKIP_2) | instid1(VALU_DEP_2)
	v_add_co_u32 v5, vcc_lo, 0, v4
	s_wait_dscnt 0x0
	s_wait_alu 0xfffd
	v_add_co_ci_u32_e64 v6, null, v8, v6, vcc_lo
.LBB1666_57:
	s_wait_alu 0xfffe
	s_or_b32 exec_lo, exec_lo, s3
	v_cmp_gt_u32_e32 vcc_lo, 28, v34
	v_add_nc_u32_e32 v42, 4, v34
	s_mov_b32 s3, exec_lo
	s_wait_dscnt 0x0
	s_wait_alu 0xfffd
	v_cndmask_b32_e64 v8, 0, 4, vcc_lo
	s_delay_alu instid0(VALU_DEP_1)
	v_add_lshl_u32 v41, v8, v34, 2
	ds_bpermute_b32 v20, v41, v4
	ds_bpermute_b32 v8, v41, v6
	v_cmpx_le_u32_e64 v42, v3
	;; [unrolled: 25-line block ×3, first 2 shown]
	s_cbranch_execz .LBB1666_61
; %bb.60:
	s_wait_dscnt 0x1
	v_add_co_u32 v4, vcc_lo, v5, v20
	s_wait_alu 0xfffd
	v_add_co_ci_u32_e64 v6, null, 0, v6, vcc_lo
	s_delay_alu instid0(VALU_DEP_2) | instskip(SKIP_2) | instid1(VALU_DEP_2)
	v_add_co_u32 v5, vcc_lo, 0, v4
	s_wait_dscnt 0x0
	s_wait_alu 0xfffd
	v_add_co_ci_u32_e64 v6, null, v8, v6, vcc_lo
.LBB1666_61:
	s_wait_alu 0xfffe
	s_or_b32 exec_lo, exec_lo, s3
	v_lshl_or_b32 v45, v34, 2, 64
	v_add_nc_u32_e32 v46, 16, v34
	s_mov_b32 s3, exec_lo
	s_wait_dscnt 0x0
	ds_bpermute_b32 v8, v45, v4
	ds_bpermute_b32 v4, v45, v6
	v_cmpx_le_u32_e64 v46, v3
	s_cbranch_execz .LBB1666_63
; %bb.62:
	s_wait_dscnt 0x1
	v_add_co_u32 v3, vcc_lo, v5, v8
	s_wait_alu 0xfffd
	v_add_co_ci_u32_e64 v6, null, 0, v6, vcc_lo
	s_delay_alu instid0(VALU_DEP_2) | instskip(SKIP_2) | instid1(VALU_DEP_2)
	v_add_co_u32 v5, vcc_lo, v3, 0
	s_wait_dscnt 0x0
	s_wait_alu 0xfffd
	v_add_co_ci_u32_e64 v6, null, v6, v4, vcc_lo
.LBB1666_63:
	s_wait_alu 0xfffe
	s_or_b32 exec_lo, exec_lo, s3
	v_mov_b32_e32 v20, 0
	s_branch .LBB1666_66
.LBB1666_64:                            ;   in Loop: Header=BB1666_66 Depth=1
	s_wait_alu 0xfffe
	s_or_b32 exec_lo, exec_lo, s3
	v_add_co_u32 v5, vcc_lo, v5, v3
	v_subrev_nc_u32_e32 v19, 32, v19
	s_wait_alu 0xfffd
	v_add_co_ci_u32_e64 v6, null, v6, v4, vcc_lo
	s_mov_b32 s3, 0
.LBB1666_65:                            ;   in Loop: Header=BB1666_66 Depth=1
	s_wait_alu 0xfffe
	s_and_b32 vcc_lo, exec_lo, s3
	s_wait_alu 0xfffe
	s_cbranch_vccnz .LBB1666_82
.LBB1666_66:                            ; =>This Loop Header: Depth=1
                                        ;     Child Loop BB1666_69 Depth 2
	v_and_b32_e32 v3, 0xff, v7
	s_mov_b32 s3, -1
	s_delay_alu instid0(VALU_DEP_1)
	v_cmp_ne_u16_e32 vcc_lo, 2, v3
	s_wait_dscnt 0x0
	v_dual_mov_b32 v3, v5 :: v_dual_mov_b32 v4, v6
                                        ; implicit-def: $vgpr5_vgpr6
	s_cmp_lg_u32 vcc_lo, exec_lo
	s_cbranch_scc1 .LBB1666_65
; %bb.67:                               ;   in Loop: Header=BB1666_66 Depth=1
	v_lshlrev_b64_e32 v[5:6], 4, v[19:20]
	s_mov_b32 s3, exec_lo
	s_delay_alu instid0(VALU_DEP_1) | instskip(SKIP_1) | instid1(VALU_DEP_2)
	v_add_co_u32 v21, vcc_lo, s4, v5
	s_wait_alu 0xfffd
	v_add_co_ci_u32_e64 v22, null, s5, v6, vcc_lo
	;;#ASMSTART
	global_load_b128 v[5:8], v[21:22] off scope:SCOPE_DEV	
s_wait_loadcnt 0x0
	;;#ASMEND
	v_and_b32_e32 v8, 0xff, v7
	s_delay_alu instid0(VALU_DEP_1)
	v_cmpx_eq_u16_e32 0, v8
	s_cbranch_execz .LBB1666_71
; %bb.68:                               ;   in Loop: Header=BB1666_66 Depth=1
	s_mov_b32 s6, 0
.LBB1666_69:                            ;   Parent Loop BB1666_66 Depth=1
                                        ; =>  This Inner Loop Header: Depth=2
	;;#ASMSTART
	global_load_b128 v[5:8], v[21:22] off scope:SCOPE_DEV	
s_wait_loadcnt 0x0
	;;#ASMEND
	v_and_b32_e32 v8, 0xff, v7
	s_delay_alu instid0(VALU_DEP_1)
	v_cmp_ne_u16_e32 vcc_lo, 0, v8
	s_wait_alu 0xfffe
	s_or_b32 s6, vcc_lo, s6
	s_wait_alu 0xfffe
	s_and_not1_b32 exec_lo, exec_lo, s6
	s_cbranch_execnz .LBB1666_69
; %bb.70:                               ;   in Loop: Header=BB1666_66 Depth=1
	s_or_b32 exec_lo, exec_lo, s6
.LBB1666_71:                            ;   in Loop: Header=BB1666_66 Depth=1
	s_wait_alu 0xfffe
	s_or_b32 exec_lo, exec_lo, s3
	v_dual_mov_b32 v21, v5 :: v_dual_and_b32 v8, 0xff, v7
	ds_bpermute_b32 v47, v37, v5
	ds_bpermute_b32 v22, v37, v6
	s_mov_b32 s3, exec_lo
	v_cmp_eq_u16_e32 vcc_lo, 2, v8
	s_wait_alu 0xfffd
	v_and_or_b32 v8, vcc_lo, v38, 0x80000000
	s_delay_alu instid0(VALU_DEP_1) | instskip(NEXT) | instid1(VALU_DEP_1)
	v_ctz_i32_b32_e32 v8, v8
	v_cmpx_lt_u32_e64 v34, v8
	s_cbranch_execz .LBB1666_73
; %bb.72:                               ;   in Loop: Header=BB1666_66 Depth=1
	s_wait_dscnt 0x1
	v_add_co_u32 v21, vcc_lo, v5, v47
	s_wait_alu 0xfffd
	v_add_co_ci_u32_e64 v6, null, 0, v6, vcc_lo
	s_delay_alu instid0(VALU_DEP_2) | instskip(SKIP_2) | instid1(VALU_DEP_2)
	v_add_co_u32 v5, vcc_lo, 0, v21
	s_wait_dscnt 0x0
	s_wait_alu 0xfffd
	v_add_co_ci_u32_e64 v6, null, v22, v6, vcc_lo
.LBB1666_73:                            ;   in Loop: Header=BB1666_66 Depth=1
	s_wait_alu 0xfffe
	s_or_b32 exec_lo, exec_lo, s3
	s_wait_dscnt 0x1
	ds_bpermute_b32 v47, v39, v21
	s_wait_dscnt 0x1
	ds_bpermute_b32 v22, v39, v6
	s_mov_b32 s3, exec_lo
	v_cmpx_le_u32_e64 v40, v8
	s_cbranch_execz .LBB1666_75
; %bb.74:                               ;   in Loop: Header=BB1666_66 Depth=1
	s_wait_dscnt 0x1
	v_add_co_u32 v21, vcc_lo, v5, v47
	s_wait_alu 0xfffd
	v_add_co_ci_u32_e64 v6, null, 0, v6, vcc_lo
	s_delay_alu instid0(VALU_DEP_2) | instskip(SKIP_2) | instid1(VALU_DEP_2)
	v_add_co_u32 v5, vcc_lo, 0, v21
	s_wait_dscnt 0x0
	s_wait_alu 0xfffd
	v_add_co_ci_u32_e64 v6, null, v22, v6, vcc_lo
.LBB1666_75:                            ;   in Loop: Header=BB1666_66 Depth=1
	s_wait_alu 0xfffe
	s_or_b32 exec_lo, exec_lo, s3
	s_wait_dscnt 0x1
	ds_bpermute_b32 v47, v41, v21
	s_wait_dscnt 0x1
	ds_bpermute_b32 v22, v41, v6
	s_mov_b32 s3, exec_lo
	v_cmpx_le_u32_e64 v42, v8
	;; [unrolled: 20-line block ×3, first 2 shown]
	s_cbranch_execz .LBB1666_79
; %bb.78:                               ;   in Loop: Header=BB1666_66 Depth=1
	s_wait_dscnt 0x1
	v_add_co_u32 v21, vcc_lo, v5, v47
	s_wait_alu 0xfffd
	v_add_co_ci_u32_e64 v6, null, 0, v6, vcc_lo
	s_delay_alu instid0(VALU_DEP_2) | instskip(SKIP_2) | instid1(VALU_DEP_2)
	v_add_co_u32 v5, vcc_lo, 0, v21
	s_wait_dscnt 0x0
	s_wait_alu 0xfffd
	v_add_co_ci_u32_e64 v6, null, v22, v6, vcc_lo
.LBB1666_79:                            ;   in Loop: Header=BB1666_66 Depth=1
	s_wait_alu 0xfffe
	s_or_b32 exec_lo, exec_lo, s3
	s_wait_dscnt 0x0
	ds_bpermute_b32 v22, v45, v21
	ds_bpermute_b32 v21, v45, v6
	s_mov_b32 s3, exec_lo
	v_cmpx_le_u32_e64 v46, v8
	s_cbranch_execz .LBB1666_64
; %bb.80:                               ;   in Loop: Header=BB1666_66 Depth=1
	s_wait_dscnt 0x1
	v_add_co_u32 v5, vcc_lo, v5, v22
	s_wait_alu 0xfffd
	v_add_co_ci_u32_e64 v6, null, 0, v6, vcc_lo
	s_delay_alu instid0(VALU_DEP_2) | instskip(SKIP_2) | instid1(VALU_DEP_2)
	v_add_co_u32 v5, vcc_lo, v5, 0
	s_wait_dscnt 0x0
	s_wait_alu 0xfffd
	v_add_co_ci_u32_e64 v6, null, v6, v21, vcc_lo
	s_branch .LBB1666_64
.LBB1666_81:
                                        ; implicit-def: $vgpr17_vgpr18
                                        ; implicit-def: $vgpr7_vgpr8
                                        ; implicit-def: $vgpr5_vgpr6
                                        ; implicit-def: $vgpr3_vgpr4
                                        ; implicit-def: $vgpr18_vgpr19
                                        ; implicit-def: $vgpr19_vgpr20
                                        ; implicit-def: $vgpr20_vgpr21
                                        ; implicit-def: $vgpr21_vgpr22
	s_and_b32 vcc_lo, exec_lo, s1
	s_wait_alu 0xfffe
	s_cbranch_vccnz .LBB1666_87
	s_branch .LBB1666_114
.LBB1666_82:
	s_and_saveexec_b32 s3, s1
	s_cbranch_execz .LBB1666_84
; %bb.83:
	s_add_co_i32 s6, ttmp9, 32
	s_mov_b32 s7, 0
	v_add_co_u32 v5, vcc_lo, v3, v1
	s_wait_alu 0xfffe
	s_lshl_b64 s[6:7], s[6:7], 4
	v_dual_mov_b32 v7, 2 :: v_dual_mov_b32 v8, 0
	s_wait_alu 0xfffe
	s_add_nc_u64 s[6:7], s[4:5], s[6:7]
	s_wait_alu 0xfffd
	v_add_co_ci_u32_e64 v6, null, v4, v2, vcc_lo
	s_wait_alu 0xfffe
	v_dual_mov_b32 v20, s7 :: v_dual_mov_b32 v19, s6
	;;#ASMSTART
	global_store_b128 v[19:20], v[5:8] off scope:SCOPE_DEV	
s_wait_storecnt 0x0
	;;#ASMEND
	ds_store_b128 v8, v[1:4] offset:10752
.LBB1666_84:
	s_wait_alu 0xfffe
	s_or_b32 exec_lo, exec_lo, s3
	v_cmp_eq_u32_e32 vcc_lo, 0, v0
	s_and_b32 exec_lo, exec_lo, vcc_lo
; %bb.85:
	v_mov_b32_e32 v1, 0
	ds_store_b64 v1, v[3:4] offset:88
.LBB1666_86:
	s_wait_alu 0xfffe
	s_or_b32 exec_lo, exec_lo, s2
	s_wait_dscnt 0x0
	v_cndmask_b32_e64 v4, v36, v17, s1
	v_cmp_ne_u32_e32 vcc_lo, 0, v0
	v_mov_b32_e32 v3, 0
	s_wait_loadcnt 0x0
	s_barrier_signal -1
	s_barrier_wait -1
	global_inv scope:SCOPE_SE
	s_wait_alu 0xfffd
	v_cndmask_b32_e32 v4, 0, v4, vcc_lo
	ds_load_b64 v[1:2], v3 offset:88
	v_cndmask_b32_e64 v5, 0, v18, s1
	s_wait_loadcnt_dscnt 0x0
	s_barrier_signal -1
	s_barrier_wait -1
	global_inv scope:SCOPE_SE
	v_cndmask_b32_e32 v5, 0, v5, vcc_lo
	v_add_co_u32 v21, vcc_lo, v1, v4
	s_wait_alu 0xfffd
	s_delay_alu instid0(VALU_DEP_2) | instskip(NEXT) | instid1(VALU_DEP_2)
	v_add_co_ci_u32_e64 v1, null, v2, v5, vcc_lo
	v_add_co_u32 v20, vcc_lo, v21, v31
	s_wait_alu 0xfffd
	s_delay_alu instid0(VALU_DEP_2) | instskip(NEXT) | instid1(VALU_DEP_2)
	v_add_co_ci_u32_e64 v1, null, 0, v1, vcc_lo
	v_add_co_u32 v19, vcc_lo, v20, v30
	s_wait_alu 0xfffd
	s_delay_alu instid0(VALU_DEP_2) | instskip(SKIP_4) | instid1(VALU_DEP_2)
	v_add_co_ci_u32_e64 v5, null, 0, v1, vcc_lo
	ds_load_b128 v[1:4], v3 offset:10752
	v_add_co_u32 v18, vcc_lo, v19, v33
	s_wait_alu 0xfffd
	v_add_co_ci_u32_e64 v5, null, 0, v5, vcc_lo
	v_add_co_u32 v17, vcc_lo, v18, v28
	s_wait_alu 0xfffd
	s_delay_alu instid0(VALU_DEP_2) | instskip(NEXT) | instid1(VALU_DEP_2)
	v_add_co_ci_u32_e64 v6, null, 0, v5, vcc_lo
	v_add_co_u32 v5, vcc_lo, v17, v32
	s_wait_alu 0xfffd
	s_delay_alu instid0(VALU_DEP_2) | instskip(NEXT) | instid1(VALU_DEP_2)
	v_add_co_ci_u32_e64 v6, null, 0, v6, vcc_lo
	v_add_co_u32 v7, vcc_lo, v5, v29
	s_wait_alu 0xfffd
	s_delay_alu instid0(VALU_DEP_2)
	v_add_co_ci_u32_e64 v6, null, 0, v6, vcc_lo
	s_branch .LBB1666_114
.LBB1666_87:
	s_wait_dscnt 0x0
	v_dual_mov_b32 v2, 0 :: v_dual_mov_b32 v3, v15
	v_mov_b32_dpp v4, v15 row_shr:1 row_mask:0xf bank_mask:0xf
	s_delay_alu instid0(VALU_DEP_2)
	v_mov_b32_dpp v1, v2 row_shr:1 row_mask:0xf bank_mask:0xf
	s_and_saveexec_b32 s1, s0
; %bb.88:
	s_delay_alu instid0(VALU_DEP_2) | instskip(SKIP_2) | instid1(VALU_DEP_2)
	v_add_co_u32 v3, vcc_lo, v15, v4
	s_wait_alu 0xfffd
	v_add_co_ci_u32_e64 v2, null, 0, v16, vcc_lo
	v_add_co_u32 v15, vcc_lo, 0, v3
	s_wait_alu 0xfffd
	s_delay_alu instid0(VALU_DEP_2) | instskip(NEXT) | instid1(VALU_DEP_1)
	v_add_co_ci_u32_e64 v16, null, v1, v2, vcc_lo
	v_mov_b32_e32 v2, v16
; %bb.89:
	s_wait_alu 0xfffe
	s_or_b32 exec_lo, exec_lo, s1
	v_mov_b32_dpp v1, v3 row_shr:2 row_mask:0xf bank_mask:0xf
	s_delay_alu instid0(VALU_DEP_2)
	v_mov_b32_dpp v4, v2 row_shr:2 row_mask:0xf bank_mask:0xf
	v_cmp_lt_u32_e32 vcc_lo, 1, v35
	s_and_saveexec_b32 s2, vcc_lo
; %bb.90:
	s_delay_alu instid0(VALU_DEP_3) | instskip(SKIP_2) | instid1(VALU_DEP_2)
	v_add_co_u32 v3, s1, v15, v1
	s_wait_alu 0xf1ff
	v_add_co_ci_u32_e64 v2, null, 0, v16, s1
	v_add_co_u32 v1, s1, 0, v3
	s_wait_alu 0xf1ff
	s_delay_alu instid0(VALU_DEP_2) | instskip(NEXT) | instid1(VALU_DEP_1)
	v_add_co_ci_u32_e64 v2, null, v4, v2, s1
	v_dual_mov_b32 v16, v2 :: v_dual_mov_b32 v15, v1
; %bb.91:
	s_wait_alu 0xfffe
	s_or_b32 exec_lo, exec_lo, s2
	v_mov_b32_dpp v1, v3 row_shr:4 row_mask:0xf bank_mask:0xf
	v_mov_b32_dpp v4, v2 row_shr:4 row_mask:0xf bank_mask:0xf
	v_cmp_lt_u32_e64 s1, 3, v35
	s_and_saveexec_b32 s3, s1
; %bb.92:
	v_add_co_u32 v3, s2, v15, v1
	s_wait_alu 0xf1ff
	v_add_co_ci_u32_e64 v2, null, 0, v16, s2
	s_delay_alu instid0(VALU_DEP_2) | instskip(SKIP_1) | instid1(VALU_DEP_2)
	v_add_co_u32 v1, s2, 0, v3
	s_wait_alu 0xf1ff
	v_add_co_ci_u32_e64 v2, null, v4, v2, s2
	s_delay_alu instid0(VALU_DEP_1)
	v_dual_mov_b32 v16, v2 :: v_dual_mov_b32 v15, v1
; %bb.93:
	s_wait_alu 0xfffe
	s_or_b32 exec_lo, exec_lo, s3
	v_mov_b32_dpp v4, v3 row_shr:8 row_mask:0xf bank_mask:0xf
	v_mov_b32_dpp v1, v2 row_shr:8 row_mask:0xf bank_mask:0xf
	v_cmp_lt_u32_e64 s2, 7, v35
	s_and_saveexec_b32 s6, s2
; %bb.94:
	v_add_co_u32 v3, s3, v15, v4
	s_wait_alu 0xf1ff
	v_add_co_ci_u32_e64 v2, null, 0, v16, s3
	s_delay_alu instid0(VALU_DEP_2) | instskip(SKIP_1) | instid1(VALU_DEP_2)
	v_add_co_u32 v15, s3, 0, v3
	s_wait_alu 0xf1ff
	v_add_co_ci_u32_e64 v16, null, v1, v2, s3
	s_delay_alu instid0(VALU_DEP_1)
	v_mov_b32_e32 v2, v16
; %bb.95:
	s_wait_alu 0xfffe
	s_or_b32 exec_lo, exec_lo, s6
	ds_swizzle_b32 v3, v3 offset:swizzle(BROADCAST,32,15)
	ds_swizzle_b32 v1, v2 offset:swizzle(BROADCAST,32,15)
	v_and_b32_e32 v2, 16, v34
	s_mov_b32 s6, exec_lo
	s_delay_alu instid0(VALU_DEP_1)
	v_cmpx_ne_u32_e32 0, v2
	s_cbranch_execz .LBB1666_97
; %bb.96:
	s_wait_dscnt 0x1
	v_add_co_u32 v2, s3, v15, v3
	s_wait_alu 0xf1ff
	v_add_co_ci_u32_e64 v3, null, 0, v16, s3
	s_delay_alu instid0(VALU_DEP_2) | instskip(SKIP_2) | instid1(VALU_DEP_2)
	v_add_co_u32 v15, s3, v2, 0
	s_wait_dscnt 0x0
	s_wait_alu 0xf1ff
	v_add_co_ci_u32_e64 v16, null, v3, v1, s3
.LBB1666_97:
	s_wait_alu 0xfffe
	s_or_b32 exec_lo, exec_lo, s6
	s_wait_dscnt 0x0
	v_and_b32_e32 v1, 0x1e0, v0
	v_lshrrev_b32_e32 v3, 5, v0
	s_mov_b32 s6, exec_lo
	s_delay_alu instid0(VALU_DEP_2) | instskip(NEXT) | instid1(VALU_DEP_1)
	v_min_u32_e32 v1, 0x160, v1
	v_or_b32_e32 v1, 31, v1
	s_delay_alu instid0(VALU_DEP_1)
	v_cmpx_eq_u32_e64 v0, v1
; %bb.98:
	v_lshlrev_b32_e32 v1, 3, v3
	ds_store_b64 v1, v[15:16]
; %bb.99:
	s_wait_alu 0xfffe
	s_or_b32 exec_lo, exec_lo, s6
	s_delay_alu instid0(SALU_CYCLE_1)
	s_mov_b32 s6, exec_lo
	s_wait_loadcnt_dscnt 0x0
	s_barrier_signal -1
	s_barrier_wait -1
	global_inv scope:SCOPE_SE
	v_cmpx_gt_u32_e32 12, v0
	s_cbranch_execz .LBB1666_109
; %bb.100:
	v_mad_i32_i24 v1, 0xffffffec, v0, v27
	ds_load_b64 v[1:2], v1
	s_wait_dscnt 0x0
	v_mov_b32_dpp v6, v1 row_shr:1 row_mask:0xf bank_mask:0xf
	v_mov_b32_dpp v5, v2 row_shr:1 row_mask:0xf bank_mask:0xf
	v_mov_b32_e32 v4, v1
	s_and_saveexec_b32 s3, s0
; %bb.101:
	s_delay_alu instid0(VALU_DEP_3) | instskip(SKIP_2) | instid1(VALU_DEP_2)
	v_add_co_u32 v4, s0, v1, v6
	s_wait_alu 0xf1ff
	v_add_co_ci_u32_e64 v2, null, 0, v2, s0
	v_add_co_u32 v1, s0, 0, v4
	s_wait_alu 0xf1ff
	s_delay_alu instid0(VALU_DEP_2)
	v_add_co_ci_u32_e64 v2, null, v5, v2, s0
; %bb.102:
	s_wait_alu 0xfffe
	s_or_b32 exec_lo, exec_lo, s3
	v_mov_b32_dpp v6, v4 row_shr:2 row_mask:0xf bank_mask:0xf
	s_delay_alu instid0(VALU_DEP_2)
	v_mov_b32_dpp v5, v2 row_shr:2 row_mask:0xf bank_mask:0xf
	s_and_saveexec_b32 s0, vcc_lo
; %bb.103:
	s_delay_alu instid0(VALU_DEP_2) | instskip(SKIP_2) | instid1(VALU_DEP_2)
	v_add_co_u32 v4, vcc_lo, v1, v6
	s_wait_alu 0xfffd
	v_add_co_ci_u32_e64 v2, null, 0, v2, vcc_lo
	v_add_co_u32 v1, vcc_lo, 0, v4
	s_wait_alu 0xfffd
	s_delay_alu instid0(VALU_DEP_2)
	v_add_co_ci_u32_e64 v2, null, v5, v2, vcc_lo
; %bb.104:
	s_wait_alu 0xfffe
	s_or_b32 exec_lo, exec_lo, s0
	v_mov_b32_dpp v6, v4 row_shr:4 row_mask:0xf bank_mask:0xf
	s_delay_alu instid0(VALU_DEP_2)
	v_mov_b32_dpp v5, v2 row_shr:4 row_mask:0xf bank_mask:0xf
	s_and_saveexec_b32 s0, s1
; %bb.105:
	s_delay_alu instid0(VALU_DEP_2) | instskip(SKIP_2) | instid1(VALU_DEP_2)
	v_add_co_u32 v4, vcc_lo, v1, v6
	s_wait_alu 0xfffd
	v_add_co_ci_u32_e64 v2, null, 0, v2, vcc_lo
	v_add_co_u32 v1, vcc_lo, 0, v4
	s_wait_alu 0xfffd
	s_delay_alu instid0(VALU_DEP_2)
	v_add_co_ci_u32_e64 v2, null, v5, v2, vcc_lo
; %bb.106:
	s_wait_alu 0xfffe
	s_or_b32 exec_lo, exec_lo, s0
	v_mul_i32_i24_e32 v5, 0xffffffec, v0
	v_mov_b32_dpp v6, v4 row_shr:8 row_mask:0xf bank_mask:0xf
	v_mov_b32_dpp v4, v2 row_shr:8 row_mask:0xf bank_mask:0xf
	s_and_saveexec_b32 s0, s2
; %bb.107:
	s_delay_alu instid0(VALU_DEP_2) | instskip(SKIP_2) | instid1(VALU_DEP_2)
	v_add_co_u32 v1, vcc_lo, v1, v6
	s_wait_alu 0xfffd
	v_add_co_ci_u32_e64 v2, null, 0, v2, vcc_lo
	v_add_co_u32 v1, vcc_lo, v1, 0
	s_wait_alu 0xfffd
	s_delay_alu instid0(VALU_DEP_2)
	v_add_co_ci_u32_e64 v2, null, v2, v4, vcc_lo
; %bb.108:
	s_wait_alu 0xfffe
	s_or_b32 exec_lo, exec_lo, s0
	v_add_nc_u32_e32 v4, v27, v5
	ds_store_b64 v4, v[1:2]
.LBB1666_109:
	s_wait_alu 0xfffe
	s_or_b32 exec_lo, exec_lo, s6
	v_mov_b32_e32 v5, 0
	v_mov_b32_e32 v6, 0
	s_mov_b32 s0, exec_lo
	s_wait_loadcnt_dscnt 0x0
	s_barrier_signal -1
	s_barrier_wait -1
	global_inv scope:SCOPE_SE
	v_cmpx_lt_u32_e32 31, v0
; %bb.110:
	v_lshl_add_u32 v1, v3, 3, -8
	ds_load_b64 v[5:6], v1
; %bb.111:
	s_wait_alu 0xfffe
	s_or_b32 exec_lo, exec_lo, s0
	v_sub_co_u32 v1, vcc_lo, v34, 1
	s_wait_dscnt 0x0
	v_add_nc_u32_e32 v2, v5, v15
	v_mov_b32_e32 v4, 0
	s_delay_alu instid0(VALU_DEP_3) | instskip(SKIP_1) | instid1(VALU_DEP_1)
	v_cmp_gt_i32_e64 s0, 0, v1
	s_wait_alu 0xf1ff
	v_cndmask_b32_e64 v1, v1, v34, s0
	v_cmp_eq_u32_e64 s0, 0, v0
	s_delay_alu instid0(VALU_DEP_2)
	v_lshlrev_b32_e32 v1, 2, v1
	ds_bpermute_b32 v7, v1, v2
	ds_load_b64 v[1:2], v4 offset:88
	s_and_saveexec_b32 s1, s0
	s_cbranch_execz .LBB1666_113
; %bb.112:
	s_wait_kmcnt 0x0
	s_add_nc_u64 s[2:3], s[4:5], 0x200
	s_wait_alu 0xfffe
	v_dual_mov_b32 v3, 2 :: v_dual_mov_b32 v16, s3
	v_mov_b32_e32 v15, s2
	s_wait_dscnt 0x0
	;;#ASMSTART
	global_store_b128 v[15:16], v[1:4] off scope:SCOPE_DEV	
s_wait_storecnt 0x0
	;;#ASMEND
.LBB1666_113:
	s_wait_alu 0xfffe
	s_or_b32 exec_lo, exec_lo, s1
	s_wait_dscnt 0x1
	s_wait_alu 0xfffd
	v_dual_cndmask_b32 v3, v7, v5 :: v_dual_cndmask_b32 v4, 0, v6
	s_wait_loadcnt_dscnt 0x0
	s_barrier_signal -1
	s_barrier_wait -1
	s_delay_alu instid0(VALU_DEP_1)
	v_cndmask_b32_e64 v21, v3, 0, s0
	v_cndmask_b32_e64 v3, v4, 0, s0
	global_inv scope:SCOPE_SE
	v_add_co_u32 v20, vcc_lo, v21, v31
	s_wait_alu 0xfffd
	v_add_co_ci_u32_e64 v3, null, 0, v3, vcc_lo
	s_delay_alu instid0(VALU_DEP_2) | instskip(SKIP_1) | instid1(VALU_DEP_2)
	v_add_co_u32 v19, vcc_lo, v20, v30
	s_wait_alu 0xfffd
	v_add_co_ci_u32_e64 v3, null, 0, v3, vcc_lo
	s_delay_alu instid0(VALU_DEP_2) | instskip(SKIP_1) | instid1(VALU_DEP_2)
	;; [unrolled: 4-line block ×4, first 2 shown]
	v_add_co_u32 v5, vcc_lo, v17, v32
	s_wait_alu 0xfffd
	v_add_co_ci_u32_e64 v6, null, 0, v3, vcc_lo
	v_mov_b32_e32 v3, 0
	v_mov_b32_e32 v4, 0
	v_add_co_u32 v7, vcc_lo, v5, v29
	s_wait_alu 0xfffd
	v_add_co_ci_u32_e64 v6, null, 0, v6, vcc_lo
.LBB1666_114:
	s_wait_dscnt 0x0
	v_cmp_gt_u64_e32 vcc_lo, 0x181, v[1:2]
	v_lshrrev_b32_e32 v8, 8, v26
	v_lshrrev_b32_e32 v6, 16, v26
	s_cbranch_vccz .LBB1666_117
; %bb.115:
	v_cmp_eq_u32_e32 vcc_lo, 0, v0
	s_and_b32 s0, vcc_lo, s12
	s_wait_alu 0xfffe
	s_and_saveexec_b32 s1, s0
	s_cbranch_execnz .LBB1666_132
.LBB1666_116:
	s_endpgm
.LBB1666_117:
	v_and_b32_e32 v15, 1, v26
	s_mov_b32 s0, exec_lo
	s_delay_alu instid0(VALU_DEP_1)
	v_cmpx_eq_u32_e32 1, v15
; %bb.118:
	v_sub_nc_u32_e32 v15, v21, v3
	s_delay_alu instid0(VALU_DEP_1)
	v_lshlrev_b32_e32 v15, 2, v15
	ds_store_b32 v15, v13
; %bb.119:
	s_wait_alu 0xfffe
	s_or_b32 exec_lo, exec_lo, s0
	v_and_b32_e32 v8, 1, v8
	s_mov_b32 s0, exec_lo
	s_delay_alu instid0(VALU_DEP_1)
	v_cmpx_eq_u32_e32 1, v8
; %bb.120:
	v_sub_nc_u32_e32 v8, v20, v3
	s_delay_alu instid0(VALU_DEP_1)
	v_lshlrev_b32_e32 v8, 2, v8
	ds_store_b32 v8, v14
; %bb.121:
	s_wait_alu 0xfffe
	s_or_b32 exec_lo, exec_lo, s0
	;; [unrolled: 12-line block ×6, first 2 shown]
	s_and_saveexec_b32 s0, s13
; %bb.130:
	v_sub_nc_u32_e32 v5, v7, v3
	s_delay_alu instid0(VALU_DEP_1)
	v_lshlrev_b32_e32 v5, 2, v5
	ds_store_b32 v5, v23
; %bb.131:
	s_wait_alu 0xfffe
	s_or_b32 exec_lo, exec_lo, s0
	s_wait_loadcnt_dscnt 0x0
	s_barrier_signal -1
	s_barrier_wait -1
	global_inv scope:SCOPE_SE
	v_cmp_eq_u32_e32 vcc_lo, 0, v0
	s_and_b32 s0, vcc_lo, s12
	s_wait_alu 0xfffe
	s_and_saveexec_b32 s1, s0
	s_cbranch_execz .LBB1666_116
.LBB1666_132:
	v_add_co_u32 v0, vcc_lo, v1, s10
	s_wait_alu 0xfffd
	v_add_co_ci_u32_e64 v1, null, s11, v2, vcc_lo
	v_mov_b32_e32 v2, 0
	s_delay_alu instid0(VALU_DEP_3) | instskip(SKIP_1) | instid1(VALU_DEP_3)
	v_add_co_u32 v0, vcc_lo, v0, v3
	s_wait_alu 0xfffd
	v_add_co_ci_u32_e64 v1, null, v1, v4, vcc_lo
	global_store_b64 v2, v[0:1], s[8:9]
	s_endpgm
	.section	.rodata,"a",@progbits
	.p2align	6, 0x0
	.amdhsa_kernel _ZN7rocprim17ROCPRIM_400000_NS6detail17trampoline_kernelINS0_14default_configENS1_25partition_config_selectorILNS1_17partition_subalgoE6EjNS0_10empty_typeEbEEZZNS1_14partition_implILS5_6ELb0ES3_mN6thrust23THRUST_200600_302600_NS6detail15normal_iteratorINSA_10device_ptrIjEEEEPS6_SG_NS0_5tupleIJNSA_16discard_iteratorINSA_11use_defaultEEES6_EEENSH_IJSG_SG_EEES6_PlJNSB_9not_fun_tINSB_14equal_to_valueIjEEEEEEE10hipError_tPvRmT3_T4_T5_T6_T7_T9_mT8_P12ihipStream_tbDpT10_ENKUlT_T0_E_clISt17integral_constantIbLb0EES1B_EEDaS16_S17_EUlS16_E_NS1_11comp_targetILNS1_3genE10ELNS1_11target_archE1200ELNS1_3gpuE4ELNS1_3repE0EEENS1_30default_config_static_selectorELNS0_4arch9wavefront6targetE0EEEvT1_
		.amdhsa_group_segment_fixed_size 10768
		.amdhsa_private_segment_fixed_size 0
		.amdhsa_kernarg_size 128
		.amdhsa_user_sgpr_count 2
		.amdhsa_user_sgpr_dispatch_ptr 0
		.amdhsa_user_sgpr_queue_ptr 0
		.amdhsa_user_sgpr_kernarg_segment_ptr 1
		.amdhsa_user_sgpr_dispatch_id 0
		.amdhsa_user_sgpr_private_segment_size 0
		.amdhsa_wavefront_size32 1
		.amdhsa_uses_dynamic_stack 0
		.amdhsa_enable_private_segment 0
		.amdhsa_system_sgpr_workgroup_id_x 1
		.amdhsa_system_sgpr_workgroup_id_y 0
		.amdhsa_system_sgpr_workgroup_id_z 0
		.amdhsa_system_sgpr_workgroup_info 0
		.amdhsa_system_vgpr_workitem_id 0
		.amdhsa_next_free_vgpr 48
		.amdhsa_next_free_sgpr 22
		.amdhsa_reserve_vcc 1
		.amdhsa_float_round_mode_32 0
		.amdhsa_float_round_mode_16_64 0
		.amdhsa_float_denorm_mode_32 3
		.amdhsa_float_denorm_mode_16_64 3
		.amdhsa_fp16_overflow 0
		.amdhsa_workgroup_processor_mode 1
		.amdhsa_memory_ordered 1
		.amdhsa_forward_progress 1
		.amdhsa_inst_pref_size 51
		.amdhsa_round_robin_scheduling 0
		.amdhsa_exception_fp_ieee_invalid_op 0
		.amdhsa_exception_fp_denorm_src 0
		.amdhsa_exception_fp_ieee_div_zero 0
		.amdhsa_exception_fp_ieee_overflow 0
		.amdhsa_exception_fp_ieee_underflow 0
		.amdhsa_exception_fp_ieee_inexact 0
		.amdhsa_exception_int_div_zero 0
	.end_amdhsa_kernel
	.section	.text._ZN7rocprim17ROCPRIM_400000_NS6detail17trampoline_kernelINS0_14default_configENS1_25partition_config_selectorILNS1_17partition_subalgoE6EjNS0_10empty_typeEbEEZZNS1_14partition_implILS5_6ELb0ES3_mN6thrust23THRUST_200600_302600_NS6detail15normal_iteratorINSA_10device_ptrIjEEEEPS6_SG_NS0_5tupleIJNSA_16discard_iteratorINSA_11use_defaultEEES6_EEENSH_IJSG_SG_EEES6_PlJNSB_9not_fun_tINSB_14equal_to_valueIjEEEEEEE10hipError_tPvRmT3_T4_T5_T6_T7_T9_mT8_P12ihipStream_tbDpT10_ENKUlT_T0_E_clISt17integral_constantIbLb0EES1B_EEDaS16_S17_EUlS16_E_NS1_11comp_targetILNS1_3genE10ELNS1_11target_archE1200ELNS1_3gpuE4ELNS1_3repE0EEENS1_30default_config_static_selectorELNS0_4arch9wavefront6targetE0EEEvT1_,"axG",@progbits,_ZN7rocprim17ROCPRIM_400000_NS6detail17trampoline_kernelINS0_14default_configENS1_25partition_config_selectorILNS1_17partition_subalgoE6EjNS0_10empty_typeEbEEZZNS1_14partition_implILS5_6ELb0ES3_mN6thrust23THRUST_200600_302600_NS6detail15normal_iteratorINSA_10device_ptrIjEEEEPS6_SG_NS0_5tupleIJNSA_16discard_iteratorINSA_11use_defaultEEES6_EEENSH_IJSG_SG_EEES6_PlJNSB_9not_fun_tINSB_14equal_to_valueIjEEEEEEE10hipError_tPvRmT3_T4_T5_T6_T7_T9_mT8_P12ihipStream_tbDpT10_ENKUlT_T0_E_clISt17integral_constantIbLb0EES1B_EEDaS16_S17_EUlS16_E_NS1_11comp_targetILNS1_3genE10ELNS1_11target_archE1200ELNS1_3gpuE4ELNS1_3repE0EEENS1_30default_config_static_selectorELNS0_4arch9wavefront6targetE0EEEvT1_,comdat
.Lfunc_end1666:
	.size	_ZN7rocprim17ROCPRIM_400000_NS6detail17trampoline_kernelINS0_14default_configENS1_25partition_config_selectorILNS1_17partition_subalgoE6EjNS0_10empty_typeEbEEZZNS1_14partition_implILS5_6ELb0ES3_mN6thrust23THRUST_200600_302600_NS6detail15normal_iteratorINSA_10device_ptrIjEEEEPS6_SG_NS0_5tupleIJNSA_16discard_iteratorINSA_11use_defaultEEES6_EEENSH_IJSG_SG_EEES6_PlJNSB_9not_fun_tINSB_14equal_to_valueIjEEEEEEE10hipError_tPvRmT3_T4_T5_T6_T7_T9_mT8_P12ihipStream_tbDpT10_ENKUlT_T0_E_clISt17integral_constantIbLb0EES1B_EEDaS16_S17_EUlS16_E_NS1_11comp_targetILNS1_3genE10ELNS1_11target_archE1200ELNS1_3gpuE4ELNS1_3repE0EEENS1_30default_config_static_selectorELNS0_4arch9wavefront6targetE0EEEvT1_, .Lfunc_end1666-_ZN7rocprim17ROCPRIM_400000_NS6detail17trampoline_kernelINS0_14default_configENS1_25partition_config_selectorILNS1_17partition_subalgoE6EjNS0_10empty_typeEbEEZZNS1_14partition_implILS5_6ELb0ES3_mN6thrust23THRUST_200600_302600_NS6detail15normal_iteratorINSA_10device_ptrIjEEEEPS6_SG_NS0_5tupleIJNSA_16discard_iteratorINSA_11use_defaultEEES6_EEENSH_IJSG_SG_EEES6_PlJNSB_9not_fun_tINSB_14equal_to_valueIjEEEEEEE10hipError_tPvRmT3_T4_T5_T6_T7_T9_mT8_P12ihipStream_tbDpT10_ENKUlT_T0_E_clISt17integral_constantIbLb0EES1B_EEDaS16_S17_EUlS16_E_NS1_11comp_targetILNS1_3genE10ELNS1_11target_archE1200ELNS1_3gpuE4ELNS1_3repE0EEENS1_30default_config_static_selectorELNS0_4arch9wavefront6targetE0EEEvT1_
                                        ; -- End function
	.set _ZN7rocprim17ROCPRIM_400000_NS6detail17trampoline_kernelINS0_14default_configENS1_25partition_config_selectorILNS1_17partition_subalgoE6EjNS0_10empty_typeEbEEZZNS1_14partition_implILS5_6ELb0ES3_mN6thrust23THRUST_200600_302600_NS6detail15normal_iteratorINSA_10device_ptrIjEEEEPS6_SG_NS0_5tupleIJNSA_16discard_iteratorINSA_11use_defaultEEES6_EEENSH_IJSG_SG_EEES6_PlJNSB_9not_fun_tINSB_14equal_to_valueIjEEEEEEE10hipError_tPvRmT3_T4_T5_T6_T7_T9_mT8_P12ihipStream_tbDpT10_ENKUlT_T0_E_clISt17integral_constantIbLb0EES1B_EEDaS16_S17_EUlS16_E_NS1_11comp_targetILNS1_3genE10ELNS1_11target_archE1200ELNS1_3gpuE4ELNS1_3repE0EEENS1_30default_config_static_selectorELNS0_4arch9wavefront6targetE0EEEvT1_.num_vgpr, 48
	.set _ZN7rocprim17ROCPRIM_400000_NS6detail17trampoline_kernelINS0_14default_configENS1_25partition_config_selectorILNS1_17partition_subalgoE6EjNS0_10empty_typeEbEEZZNS1_14partition_implILS5_6ELb0ES3_mN6thrust23THRUST_200600_302600_NS6detail15normal_iteratorINSA_10device_ptrIjEEEEPS6_SG_NS0_5tupleIJNSA_16discard_iteratorINSA_11use_defaultEEES6_EEENSH_IJSG_SG_EEES6_PlJNSB_9not_fun_tINSB_14equal_to_valueIjEEEEEEE10hipError_tPvRmT3_T4_T5_T6_T7_T9_mT8_P12ihipStream_tbDpT10_ENKUlT_T0_E_clISt17integral_constantIbLb0EES1B_EEDaS16_S17_EUlS16_E_NS1_11comp_targetILNS1_3genE10ELNS1_11target_archE1200ELNS1_3gpuE4ELNS1_3repE0EEENS1_30default_config_static_selectorELNS0_4arch9wavefront6targetE0EEEvT1_.num_agpr, 0
	.set _ZN7rocprim17ROCPRIM_400000_NS6detail17trampoline_kernelINS0_14default_configENS1_25partition_config_selectorILNS1_17partition_subalgoE6EjNS0_10empty_typeEbEEZZNS1_14partition_implILS5_6ELb0ES3_mN6thrust23THRUST_200600_302600_NS6detail15normal_iteratorINSA_10device_ptrIjEEEEPS6_SG_NS0_5tupleIJNSA_16discard_iteratorINSA_11use_defaultEEES6_EEENSH_IJSG_SG_EEES6_PlJNSB_9not_fun_tINSB_14equal_to_valueIjEEEEEEE10hipError_tPvRmT3_T4_T5_T6_T7_T9_mT8_P12ihipStream_tbDpT10_ENKUlT_T0_E_clISt17integral_constantIbLb0EES1B_EEDaS16_S17_EUlS16_E_NS1_11comp_targetILNS1_3genE10ELNS1_11target_archE1200ELNS1_3gpuE4ELNS1_3repE0EEENS1_30default_config_static_selectorELNS0_4arch9wavefront6targetE0EEEvT1_.numbered_sgpr, 22
	.set _ZN7rocprim17ROCPRIM_400000_NS6detail17trampoline_kernelINS0_14default_configENS1_25partition_config_selectorILNS1_17partition_subalgoE6EjNS0_10empty_typeEbEEZZNS1_14partition_implILS5_6ELb0ES3_mN6thrust23THRUST_200600_302600_NS6detail15normal_iteratorINSA_10device_ptrIjEEEEPS6_SG_NS0_5tupleIJNSA_16discard_iteratorINSA_11use_defaultEEES6_EEENSH_IJSG_SG_EEES6_PlJNSB_9not_fun_tINSB_14equal_to_valueIjEEEEEEE10hipError_tPvRmT3_T4_T5_T6_T7_T9_mT8_P12ihipStream_tbDpT10_ENKUlT_T0_E_clISt17integral_constantIbLb0EES1B_EEDaS16_S17_EUlS16_E_NS1_11comp_targetILNS1_3genE10ELNS1_11target_archE1200ELNS1_3gpuE4ELNS1_3repE0EEENS1_30default_config_static_selectorELNS0_4arch9wavefront6targetE0EEEvT1_.num_named_barrier, 0
	.set _ZN7rocprim17ROCPRIM_400000_NS6detail17trampoline_kernelINS0_14default_configENS1_25partition_config_selectorILNS1_17partition_subalgoE6EjNS0_10empty_typeEbEEZZNS1_14partition_implILS5_6ELb0ES3_mN6thrust23THRUST_200600_302600_NS6detail15normal_iteratorINSA_10device_ptrIjEEEEPS6_SG_NS0_5tupleIJNSA_16discard_iteratorINSA_11use_defaultEEES6_EEENSH_IJSG_SG_EEES6_PlJNSB_9not_fun_tINSB_14equal_to_valueIjEEEEEEE10hipError_tPvRmT3_T4_T5_T6_T7_T9_mT8_P12ihipStream_tbDpT10_ENKUlT_T0_E_clISt17integral_constantIbLb0EES1B_EEDaS16_S17_EUlS16_E_NS1_11comp_targetILNS1_3genE10ELNS1_11target_archE1200ELNS1_3gpuE4ELNS1_3repE0EEENS1_30default_config_static_selectorELNS0_4arch9wavefront6targetE0EEEvT1_.private_seg_size, 0
	.set _ZN7rocprim17ROCPRIM_400000_NS6detail17trampoline_kernelINS0_14default_configENS1_25partition_config_selectorILNS1_17partition_subalgoE6EjNS0_10empty_typeEbEEZZNS1_14partition_implILS5_6ELb0ES3_mN6thrust23THRUST_200600_302600_NS6detail15normal_iteratorINSA_10device_ptrIjEEEEPS6_SG_NS0_5tupleIJNSA_16discard_iteratorINSA_11use_defaultEEES6_EEENSH_IJSG_SG_EEES6_PlJNSB_9not_fun_tINSB_14equal_to_valueIjEEEEEEE10hipError_tPvRmT3_T4_T5_T6_T7_T9_mT8_P12ihipStream_tbDpT10_ENKUlT_T0_E_clISt17integral_constantIbLb0EES1B_EEDaS16_S17_EUlS16_E_NS1_11comp_targetILNS1_3genE10ELNS1_11target_archE1200ELNS1_3gpuE4ELNS1_3repE0EEENS1_30default_config_static_selectorELNS0_4arch9wavefront6targetE0EEEvT1_.uses_vcc, 1
	.set _ZN7rocprim17ROCPRIM_400000_NS6detail17trampoline_kernelINS0_14default_configENS1_25partition_config_selectorILNS1_17partition_subalgoE6EjNS0_10empty_typeEbEEZZNS1_14partition_implILS5_6ELb0ES3_mN6thrust23THRUST_200600_302600_NS6detail15normal_iteratorINSA_10device_ptrIjEEEEPS6_SG_NS0_5tupleIJNSA_16discard_iteratorINSA_11use_defaultEEES6_EEENSH_IJSG_SG_EEES6_PlJNSB_9not_fun_tINSB_14equal_to_valueIjEEEEEEE10hipError_tPvRmT3_T4_T5_T6_T7_T9_mT8_P12ihipStream_tbDpT10_ENKUlT_T0_E_clISt17integral_constantIbLb0EES1B_EEDaS16_S17_EUlS16_E_NS1_11comp_targetILNS1_3genE10ELNS1_11target_archE1200ELNS1_3gpuE4ELNS1_3repE0EEENS1_30default_config_static_selectorELNS0_4arch9wavefront6targetE0EEEvT1_.uses_flat_scratch, 1
	.set _ZN7rocprim17ROCPRIM_400000_NS6detail17trampoline_kernelINS0_14default_configENS1_25partition_config_selectorILNS1_17partition_subalgoE6EjNS0_10empty_typeEbEEZZNS1_14partition_implILS5_6ELb0ES3_mN6thrust23THRUST_200600_302600_NS6detail15normal_iteratorINSA_10device_ptrIjEEEEPS6_SG_NS0_5tupleIJNSA_16discard_iteratorINSA_11use_defaultEEES6_EEENSH_IJSG_SG_EEES6_PlJNSB_9not_fun_tINSB_14equal_to_valueIjEEEEEEE10hipError_tPvRmT3_T4_T5_T6_T7_T9_mT8_P12ihipStream_tbDpT10_ENKUlT_T0_E_clISt17integral_constantIbLb0EES1B_EEDaS16_S17_EUlS16_E_NS1_11comp_targetILNS1_3genE10ELNS1_11target_archE1200ELNS1_3gpuE4ELNS1_3repE0EEENS1_30default_config_static_selectorELNS0_4arch9wavefront6targetE0EEEvT1_.has_dyn_sized_stack, 0
	.set _ZN7rocprim17ROCPRIM_400000_NS6detail17trampoline_kernelINS0_14default_configENS1_25partition_config_selectorILNS1_17partition_subalgoE6EjNS0_10empty_typeEbEEZZNS1_14partition_implILS5_6ELb0ES3_mN6thrust23THRUST_200600_302600_NS6detail15normal_iteratorINSA_10device_ptrIjEEEEPS6_SG_NS0_5tupleIJNSA_16discard_iteratorINSA_11use_defaultEEES6_EEENSH_IJSG_SG_EEES6_PlJNSB_9not_fun_tINSB_14equal_to_valueIjEEEEEEE10hipError_tPvRmT3_T4_T5_T6_T7_T9_mT8_P12ihipStream_tbDpT10_ENKUlT_T0_E_clISt17integral_constantIbLb0EES1B_EEDaS16_S17_EUlS16_E_NS1_11comp_targetILNS1_3genE10ELNS1_11target_archE1200ELNS1_3gpuE4ELNS1_3repE0EEENS1_30default_config_static_selectorELNS0_4arch9wavefront6targetE0EEEvT1_.has_recursion, 0
	.set _ZN7rocprim17ROCPRIM_400000_NS6detail17trampoline_kernelINS0_14default_configENS1_25partition_config_selectorILNS1_17partition_subalgoE6EjNS0_10empty_typeEbEEZZNS1_14partition_implILS5_6ELb0ES3_mN6thrust23THRUST_200600_302600_NS6detail15normal_iteratorINSA_10device_ptrIjEEEEPS6_SG_NS0_5tupleIJNSA_16discard_iteratorINSA_11use_defaultEEES6_EEENSH_IJSG_SG_EEES6_PlJNSB_9not_fun_tINSB_14equal_to_valueIjEEEEEEE10hipError_tPvRmT3_T4_T5_T6_T7_T9_mT8_P12ihipStream_tbDpT10_ENKUlT_T0_E_clISt17integral_constantIbLb0EES1B_EEDaS16_S17_EUlS16_E_NS1_11comp_targetILNS1_3genE10ELNS1_11target_archE1200ELNS1_3gpuE4ELNS1_3repE0EEENS1_30default_config_static_selectorELNS0_4arch9wavefront6targetE0EEEvT1_.has_indirect_call, 0
	.section	.AMDGPU.csdata,"",@progbits
; Kernel info:
; codeLenInByte = 6520
; TotalNumSgprs: 24
; NumVgprs: 48
; ScratchSize: 0
; MemoryBound: 0
; FloatMode: 240
; IeeeMode: 1
; LDSByteSize: 10768 bytes/workgroup (compile time only)
; SGPRBlocks: 0
; VGPRBlocks: 5
; NumSGPRsForWavesPerEU: 24
; NumVGPRsForWavesPerEU: 48
; Occupancy: 15
; WaveLimiterHint : 1
; COMPUTE_PGM_RSRC2:SCRATCH_EN: 0
; COMPUTE_PGM_RSRC2:USER_SGPR: 2
; COMPUTE_PGM_RSRC2:TRAP_HANDLER: 0
; COMPUTE_PGM_RSRC2:TGID_X_EN: 1
; COMPUTE_PGM_RSRC2:TGID_Y_EN: 0
; COMPUTE_PGM_RSRC2:TGID_Z_EN: 0
; COMPUTE_PGM_RSRC2:TIDIG_COMP_CNT: 0
	.section	.text._ZN7rocprim17ROCPRIM_400000_NS6detail17trampoline_kernelINS0_14default_configENS1_25partition_config_selectorILNS1_17partition_subalgoE6EjNS0_10empty_typeEbEEZZNS1_14partition_implILS5_6ELb0ES3_mN6thrust23THRUST_200600_302600_NS6detail15normal_iteratorINSA_10device_ptrIjEEEEPS6_SG_NS0_5tupleIJNSA_16discard_iteratorINSA_11use_defaultEEES6_EEENSH_IJSG_SG_EEES6_PlJNSB_9not_fun_tINSB_14equal_to_valueIjEEEEEEE10hipError_tPvRmT3_T4_T5_T6_T7_T9_mT8_P12ihipStream_tbDpT10_ENKUlT_T0_E_clISt17integral_constantIbLb0EES1B_EEDaS16_S17_EUlS16_E_NS1_11comp_targetILNS1_3genE9ELNS1_11target_archE1100ELNS1_3gpuE3ELNS1_3repE0EEENS1_30default_config_static_selectorELNS0_4arch9wavefront6targetE0EEEvT1_,"axG",@progbits,_ZN7rocprim17ROCPRIM_400000_NS6detail17trampoline_kernelINS0_14default_configENS1_25partition_config_selectorILNS1_17partition_subalgoE6EjNS0_10empty_typeEbEEZZNS1_14partition_implILS5_6ELb0ES3_mN6thrust23THRUST_200600_302600_NS6detail15normal_iteratorINSA_10device_ptrIjEEEEPS6_SG_NS0_5tupleIJNSA_16discard_iteratorINSA_11use_defaultEEES6_EEENSH_IJSG_SG_EEES6_PlJNSB_9not_fun_tINSB_14equal_to_valueIjEEEEEEE10hipError_tPvRmT3_T4_T5_T6_T7_T9_mT8_P12ihipStream_tbDpT10_ENKUlT_T0_E_clISt17integral_constantIbLb0EES1B_EEDaS16_S17_EUlS16_E_NS1_11comp_targetILNS1_3genE9ELNS1_11target_archE1100ELNS1_3gpuE3ELNS1_3repE0EEENS1_30default_config_static_selectorELNS0_4arch9wavefront6targetE0EEEvT1_,comdat
	.protected	_ZN7rocprim17ROCPRIM_400000_NS6detail17trampoline_kernelINS0_14default_configENS1_25partition_config_selectorILNS1_17partition_subalgoE6EjNS0_10empty_typeEbEEZZNS1_14partition_implILS5_6ELb0ES3_mN6thrust23THRUST_200600_302600_NS6detail15normal_iteratorINSA_10device_ptrIjEEEEPS6_SG_NS0_5tupleIJNSA_16discard_iteratorINSA_11use_defaultEEES6_EEENSH_IJSG_SG_EEES6_PlJNSB_9not_fun_tINSB_14equal_to_valueIjEEEEEEE10hipError_tPvRmT3_T4_T5_T6_T7_T9_mT8_P12ihipStream_tbDpT10_ENKUlT_T0_E_clISt17integral_constantIbLb0EES1B_EEDaS16_S17_EUlS16_E_NS1_11comp_targetILNS1_3genE9ELNS1_11target_archE1100ELNS1_3gpuE3ELNS1_3repE0EEENS1_30default_config_static_selectorELNS0_4arch9wavefront6targetE0EEEvT1_ ; -- Begin function _ZN7rocprim17ROCPRIM_400000_NS6detail17trampoline_kernelINS0_14default_configENS1_25partition_config_selectorILNS1_17partition_subalgoE6EjNS0_10empty_typeEbEEZZNS1_14partition_implILS5_6ELb0ES3_mN6thrust23THRUST_200600_302600_NS6detail15normal_iteratorINSA_10device_ptrIjEEEEPS6_SG_NS0_5tupleIJNSA_16discard_iteratorINSA_11use_defaultEEES6_EEENSH_IJSG_SG_EEES6_PlJNSB_9not_fun_tINSB_14equal_to_valueIjEEEEEEE10hipError_tPvRmT3_T4_T5_T6_T7_T9_mT8_P12ihipStream_tbDpT10_ENKUlT_T0_E_clISt17integral_constantIbLb0EES1B_EEDaS16_S17_EUlS16_E_NS1_11comp_targetILNS1_3genE9ELNS1_11target_archE1100ELNS1_3gpuE3ELNS1_3repE0EEENS1_30default_config_static_selectorELNS0_4arch9wavefront6targetE0EEEvT1_
	.globl	_ZN7rocprim17ROCPRIM_400000_NS6detail17trampoline_kernelINS0_14default_configENS1_25partition_config_selectorILNS1_17partition_subalgoE6EjNS0_10empty_typeEbEEZZNS1_14partition_implILS5_6ELb0ES3_mN6thrust23THRUST_200600_302600_NS6detail15normal_iteratorINSA_10device_ptrIjEEEEPS6_SG_NS0_5tupleIJNSA_16discard_iteratorINSA_11use_defaultEEES6_EEENSH_IJSG_SG_EEES6_PlJNSB_9not_fun_tINSB_14equal_to_valueIjEEEEEEE10hipError_tPvRmT3_T4_T5_T6_T7_T9_mT8_P12ihipStream_tbDpT10_ENKUlT_T0_E_clISt17integral_constantIbLb0EES1B_EEDaS16_S17_EUlS16_E_NS1_11comp_targetILNS1_3genE9ELNS1_11target_archE1100ELNS1_3gpuE3ELNS1_3repE0EEENS1_30default_config_static_selectorELNS0_4arch9wavefront6targetE0EEEvT1_
	.p2align	8
	.type	_ZN7rocprim17ROCPRIM_400000_NS6detail17trampoline_kernelINS0_14default_configENS1_25partition_config_selectorILNS1_17partition_subalgoE6EjNS0_10empty_typeEbEEZZNS1_14partition_implILS5_6ELb0ES3_mN6thrust23THRUST_200600_302600_NS6detail15normal_iteratorINSA_10device_ptrIjEEEEPS6_SG_NS0_5tupleIJNSA_16discard_iteratorINSA_11use_defaultEEES6_EEENSH_IJSG_SG_EEES6_PlJNSB_9not_fun_tINSB_14equal_to_valueIjEEEEEEE10hipError_tPvRmT3_T4_T5_T6_T7_T9_mT8_P12ihipStream_tbDpT10_ENKUlT_T0_E_clISt17integral_constantIbLb0EES1B_EEDaS16_S17_EUlS16_E_NS1_11comp_targetILNS1_3genE9ELNS1_11target_archE1100ELNS1_3gpuE3ELNS1_3repE0EEENS1_30default_config_static_selectorELNS0_4arch9wavefront6targetE0EEEvT1_,@function
_ZN7rocprim17ROCPRIM_400000_NS6detail17trampoline_kernelINS0_14default_configENS1_25partition_config_selectorILNS1_17partition_subalgoE6EjNS0_10empty_typeEbEEZZNS1_14partition_implILS5_6ELb0ES3_mN6thrust23THRUST_200600_302600_NS6detail15normal_iteratorINSA_10device_ptrIjEEEEPS6_SG_NS0_5tupleIJNSA_16discard_iteratorINSA_11use_defaultEEES6_EEENSH_IJSG_SG_EEES6_PlJNSB_9not_fun_tINSB_14equal_to_valueIjEEEEEEE10hipError_tPvRmT3_T4_T5_T6_T7_T9_mT8_P12ihipStream_tbDpT10_ENKUlT_T0_E_clISt17integral_constantIbLb0EES1B_EEDaS16_S17_EUlS16_E_NS1_11comp_targetILNS1_3genE9ELNS1_11target_archE1100ELNS1_3gpuE3ELNS1_3repE0EEENS1_30default_config_static_selectorELNS0_4arch9wavefront6targetE0EEEvT1_: ; @_ZN7rocprim17ROCPRIM_400000_NS6detail17trampoline_kernelINS0_14default_configENS1_25partition_config_selectorILNS1_17partition_subalgoE6EjNS0_10empty_typeEbEEZZNS1_14partition_implILS5_6ELb0ES3_mN6thrust23THRUST_200600_302600_NS6detail15normal_iteratorINSA_10device_ptrIjEEEEPS6_SG_NS0_5tupleIJNSA_16discard_iteratorINSA_11use_defaultEEES6_EEENSH_IJSG_SG_EEES6_PlJNSB_9not_fun_tINSB_14equal_to_valueIjEEEEEEE10hipError_tPvRmT3_T4_T5_T6_T7_T9_mT8_P12ihipStream_tbDpT10_ENKUlT_T0_E_clISt17integral_constantIbLb0EES1B_EEDaS16_S17_EUlS16_E_NS1_11comp_targetILNS1_3genE9ELNS1_11target_archE1100ELNS1_3gpuE3ELNS1_3repE0EEENS1_30default_config_static_selectorELNS0_4arch9wavefront6targetE0EEEvT1_
; %bb.0:
	.section	.rodata,"a",@progbits
	.p2align	6, 0x0
	.amdhsa_kernel _ZN7rocprim17ROCPRIM_400000_NS6detail17trampoline_kernelINS0_14default_configENS1_25partition_config_selectorILNS1_17partition_subalgoE6EjNS0_10empty_typeEbEEZZNS1_14partition_implILS5_6ELb0ES3_mN6thrust23THRUST_200600_302600_NS6detail15normal_iteratorINSA_10device_ptrIjEEEEPS6_SG_NS0_5tupleIJNSA_16discard_iteratorINSA_11use_defaultEEES6_EEENSH_IJSG_SG_EEES6_PlJNSB_9not_fun_tINSB_14equal_to_valueIjEEEEEEE10hipError_tPvRmT3_T4_T5_T6_T7_T9_mT8_P12ihipStream_tbDpT10_ENKUlT_T0_E_clISt17integral_constantIbLb0EES1B_EEDaS16_S17_EUlS16_E_NS1_11comp_targetILNS1_3genE9ELNS1_11target_archE1100ELNS1_3gpuE3ELNS1_3repE0EEENS1_30default_config_static_selectorELNS0_4arch9wavefront6targetE0EEEvT1_
		.amdhsa_group_segment_fixed_size 0
		.amdhsa_private_segment_fixed_size 0
		.amdhsa_kernarg_size 128
		.amdhsa_user_sgpr_count 2
		.amdhsa_user_sgpr_dispatch_ptr 0
		.amdhsa_user_sgpr_queue_ptr 0
		.amdhsa_user_sgpr_kernarg_segment_ptr 1
		.amdhsa_user_sgpr_dispatch_id 0
		.amdhsa_user_sgpr_private_segment_size 0
		.amdhsa_wavefront_size32 1
		.amdhsa_uses_dynamic_stack 0
		.amdhsa_enable_private_segment 0
		.amdhsa_system_sgpr_workgroup_id_x 1
		.amdhsa_system_sgpr_workgroup_id_y 0
		.amdhsa_system_sgpr_workgroup_id_z 0
		.amdhsa_system_sgpr_workgroup_info 0
		.amdhsa_system_vgpr_workitem_id 0
		.amdhsa_next_free_vgpr 1
		.amdhsa_next_free_sgpr 1
		.amdhsa_reserve_vcc 0
		.amdhsa_float_round_mode_32 0
		.amdhsa_float_round_mode_16_64 0
		.amdhsa_float_denorm_mode_32 3
		.amdhsa_float_denorm_mode_16_64 3
		.amdhsa_fp16_overflow 0
		.amdhsa_workgroup_processor_mode 1
		.amdhsa_memory_ordered 1
		.amdhsa_forward_progress 1
		.amdhsa_inst_pref_size 0
		.amdhsa_round_robin_scheduling 0
		.amdhsa_exception_fp_ieee_invalid_op 0
		.amdhsa_exception_fp_denorm_src 0
		.amdhsa_exception_fp_ieee_div_zero 0
		.amdhsa_exception_fp_ieee_overflow 0
		.amdhsa_exception_fp_ieee_underflow 0
		.amdhsa_exception_fp_ieee_inexact 0
		.amdhsa_exception_int_div_zero 0
	.end_amdhsa_kernel
	.section	.text._ZN7rocprim17ROCPRIM_400000_NS6detail17trampoline_kernelINS0_14default_configENS1_25partition_config_selectorILNS1_17partition_subalgoE6EjNS0_10empty_typeEbEEZZNS1_14partition_implILS5_6ELb0ES3_mN6thrust23THRUST_200600_302600_NS6detail15normal_iteratorINSA_10device_ptrIjEEEEPS6_SG_NS0_5tupleIJNSA_16discard_iteratorINSA_11use_defaultEEES6_EEENSH_IJSG_SG_EEES6_PlJNSB_9not_fun_tINSB_14equal_to_valueIjEEEEEEE10hipError_tPvRmT3_T4_T5_T6_T7_T9_mT8_P12ihipStream_tbDpT10_ENKUlT_T0_E_clISt17integral_constantIbLb0EES1B_EEDaS16_S17_EUlS16_E_NS1_11comp_targetILNS1_3genE9ELNS1_11target_archE1100ELNS1_3gpuE3ELNS1_3repE0EEENS1_30default_config_static_selectorELNS0_4arch9wavefront6targetE0EEEvT1_,"axG",@progbits,_ZN7rocprim17ROCPRIM_400000_NS6detail17trampoline_kernelINS0_14default_configENS1_25partition_config_selectorILNS1_17partition_subalgoE6EjNS0_10empty_typeEbEEZZNS1_14partition_implILS5_6ELb0ES3_mN6thrust23THRUST_200600_302600_NS6detail15normal_iteratorINSA_10device_ptrIjEEEEPS6_SG_NS0_5tupleIJNSA_16discard_iteratorINSA_11use_defaultEEES6_EEENSH_IJSG_SG_EEES6_PlJNSB_9not_fun_tINSB_14equal_to_valueIjEEEEEEE10hipError_tPvRmT3_T4_T5_T6_T7_T9_mT8_P12ihipStream_tbDpT10_ENKUlT_T0_E_clISt17integral_constantIbLb0EES1B_EEDaS16_S17_EUlS16_E_NS1_11comp_targetILNS1_3genE9ELNS1_11target_archE1100ELNS1_3gpuE3ELNS1_3repE0EEENS1_30default_config_static_selectorELNS0_4arch9wavefront6targetE0EEEvT1_,comdat
.Lfunc_end1667:
	.size	_ZN7rocprim17ROCPRIM_400000_NS6detail17trampoline_kernelINS0_14default_configENS1_25partition_config_selectorILNS1_17partition_subalgoE6EjNS0_10empty_typeEbEEZZNS1_14partition_implILS5_6ELb0ES3_mN6thrust23THRUST_200600_302600_NS6detail15normal_iteratorINSA_10device_ptrIjEEEEPS6_SG_NS0_5tupleIJNSA_16discard_iteratorINSA_11use_defaultEEES6_EEENSH_IJSG_SG_EEES6_PlJNSB_9not_fun_tINSB_14equal_to_valueIjEEEEEEE10hipError_tPvRmT3_T4_T5_T6_T7_T9_mT8_P12ihipStream_tbDpT10_ENKUlT_T0_E_clISt17integral_constantIbLb0EES1B_EEDaS16_S17_EUlS16_E_NS1_11comp_targetILNS1_3genE9ELNS1_11target_archE1100ELNS1_3gpuE3ELNS1_3repE0EEENS1_30default_config_static_selectorELNS0_4arch9wavefront6targetE0EEEvT1_, .Lfunc_end1667-_ZN7rocprim17ROCPRIM_400000_NS6detail17trampoline_kernelINS0_14default_configENS1_25partition_config_selectorILNS1_17partition_subalgoE6EjNS0_10empty_typeEbEEZZNS1_14partition_implILS5_6ELb0ES3_mN6thrust23THRUST_200600_302600_NS6detail15normal_iteratorINSA_10device_ptrIjEEEEPS6_SG_NS0_5tupleIJNSA_16discard_iteratorINSA_11use_defaultEEES6_EEENSH_IJSG_SG_EEES6_PlJNSB_9not_fun_tINSB_14equal_to_valueIjEEEEEEE10hipError_tPvRmT3_T4_T5_T6_T7_T9_mT8_P12ihipStream_tbDpT10_ENKUlT_T0_E_clISt17integral_constantIbLb0EES1B_EEDaS16_S17_EUlS16_E_NS1_11comp_targetILNS1_3genE9ELNS1_11target_archE1100ELNS1_3gpuE3ELNS1_3repE0EEENS1_30default_config_static_selectorELNS0_4arch9wavefront6targetE0EEEvT1_
                                        ; -- End function
	.set _ZN7rocprim17ROCPRIM_400000_NS6detail17trampoline_kernelINS0_14default_configENS1_25partition_config_selectorILNS1_17partition_subalgoE6EjNS0_10empty_typeEbEEZZNS1_14partition_implILS5_6ELb0ES3_mN6thrust23THRUST_200600_302600_NS6detail15normal_iteratorINSA_10device_ptrIjEEEEPS6_SG_NS0_5tupleIJNSA_16discard_iteratorINSA_11use_defaultEEES6_EEENSH_IJSG_SG_EEES6_PlJNSB_9not_fun_tINSB_14equal_to_valueIjEEEEEEE10hipError_tPvRmT3_T4_T5_T6_T7_T9_mT8_P12ihipStream_tbDpT10_ENKUlT_T0_E_clISt17integral_constantIbLb0EES1B_EEDaS16_S17_EUlS16_E_NS1_11comp_targetILNS1_3genE9ELNS1_11target_archE1100ELNS1_3gpuE3ELNS1_3repE0EEENS1_30default_config_static_selectorELNS0_4arch9wavefront6targetE0EEEvT1_.num_vgpr, 0
	.set _ZN7rocprim17ROCPRIM_400000_NS6detail17trampoline_kernelINS0_14default_configENS1_25partition_config_selectorILNS1_17partition_subalgoE6EjNS0_10empty_typeEbEEZZNS1_14partition_implILS5_6ELb0ES3_mN6thrust23THRUST_200600_302600_NS6detail15normal_iteratorINSA_10device_ptrIjEEEEPS6_SG_NS0_5tupleIJNSA_16discard_iteratorINSA_11use_defaultEEES6_EEENSH_IJSG_SG_EEES6_PlJNSB_9not_fun_tINSB_14equal_to_valueIjEEEEEEE10hipError_tPvRmT3_T4_T5_T6_T7_T9_mT8_P12ihipStream_tbDpT10_ENKUlT_T0_E_clISt17integral_constantIbLb0EES1B_EEDaS16_S17_EUlS16_E_NS1_11comp_targetILNS1_3genE9ELNS1_11target_archE1100ELNS1_3gpuE3ELNS1_3repE0EEENS1_30default_config_static_selectorELNS0_4arch9wavefront6targetE0EEEvT1_.num_agpr, 0
	.set _ZN7rocprim17ROCPRIM_400000_NS6detail17trampoline_kernelINS0_14default_configENS1_25partition_config_selectorILNS1_17partition_subalgoE6EjNS0_10empty_typeEbEEZZNS1_14partition_implILS5_6ELb0ES3_mN6thrust23THRUST_200600_302600_NS6detail15normal_iteratorINSA_10device_ptrIjEEEEPS6_SG_NS0_5tupleIJNSA_16discard_iteratorINSA_11use_defaultEEES6_EEENSH_IJSG_SG_EEES6_PlJNSB_9not_fun_tINSB_14equal_to_valueIjEEEEEEE10hipError_tPvRmT3_T4_T5_T6_T7_T9_mT8_P12ihipStream_tbDpT10_ENKUlT_T0_E_clISt17integral_constantIbLb0EES1B_EEDaS16_S17_EUlS16_E_NS1_11comp_targetILNS1_3genE9ELNS1_11target_archE1100ELNS1_3gpuE3ELNS1_3repE0EEENS1_30default_config_static_selectorELNS0_4arch9wavefront6targetE0EEEvT1_.numbered_sgpr, 0
	.set _ZN7rocprim17ROCPRIM_400000_NS6detail17trampoline_kernelINS0_14default_configENS1_25partition_config_selectorILNS1_17partition_subalgoE6EjNS0_10empty_typeEbEEZZNS1_14partition_implILS5_6ELb0ES3_mN6thrust23THRUST_200600_302600_NS6detail15normal_iteratorINSA_10device_ptrIjEEEEPS6_SG_NS0_5tupleIJNSA_16discard_iteratorINSA_11use_defaultEEES6_EEENSH_IJSG_SG_EEES6_PlJNSB_9not_fun_tINSB_14equal_to_valueIjEEEEEEE10hipError_tPvRmT3_T4_T5_T6_T7_T9_mT8_P12ihipStream_tbDpT10_ENKUlT_T0_E_clISt17integral_constantIbLb0EES1B_EEDaS16_S17_EUlS16_E_NS1_11comp_targetILNS1_3genE9ELNS1_11target_archE1100ELNS1_3gpuE3ELNS1_3repE0EEENS1_30default_config_static_selectorELNS0_4arch9wavefront6targetE0EEEvT1_.num_named_barrier, 0
	.set _ZN7rocprim17ROCPRIM_400000_NS6detail17trampoline_kernelINS0_14default_configENS1_25partition_config_selectorILNS1_17partition_subalgoE6EjNS0_10empty_typeEbEEZZNS1_14partition_implILS5_6ELb0ES3_mN6thrust23THRUST_200600_302600_NS6detail15normal_iteratorINSA_10device_ptrIjEEEEPS6_SG_NS0_5tupleIJNSA_16discard_iteratorINSA_11use_defaultEEES6_EEENSH_IJSG_SG_EEES6_PlJNSB_9not_fun_tINSB_14equal_to_valueIjEEEEEEE10hipError_tPvRmT3_T4_T5_T6_T7_T9_mT8_P12ihipStream_tbDpT10_ENKUlT_T0_E_clISt17integral_constantIbLb0EES1B_EEDaS16_S17_EUlS16_E_NS1_11comp_targetILNS1_3genE9ELNS1_11target_archE1100ELNS1_3gpuE3ELNS1_3repE0EEENS1_30default_config_static_selectorELNS0_4arch9wavefront6targetE0EEEvT1_.private_seg_size, 0
	.set _ZN7rocprim17ROCPRIM_400000_NS6detail17trampoline_kernelINS0_14default_configENS1_25partition_config_selectorILNS1_17partition_subalgoE6EjNS0_10empty_typeEbEEZZNS1_14partition_implILS5_6ELb0ES3_mN6thrust23THRUST_200600_302600_NS6detail15normal_iteratorINSA_10device_ptrIjEEEEPS6_SG_NS0_5tupleIJNSA_16discard_iteratorINSA_11use_defaultEEES6_EEENSH_IJSG_SG_EEES6_PlJNSB_9not_fun_tINSB_14equal_to_valueIjEEEEEEE10hipError_tPvRmT3_T4_T5_T6_T7_T9_mT8_P12ihipStream_tbDpT10_ENKUlT_T0_E_clISt17integral_constantIbLb0EES1B_EEDaS16_S17_EUlS16_E_NS1_11comp_targetILNS1_3genE9ELNS1_11target_archE1100ELNS1_3gpuE3ELNS1_3repE0EEENS1_30default_config_static_selectorELNS0_4arch9wavefront6targetE0EEEvT1_.uses_vcc, 0
	.set _ZN7rocprim17ROCPRIM_400000_NS6detail17trampoline_kernelINS0_14default_configENS1_25partition_config_selectorILNS1_17partition_subalgoE6EjNS0_10empty_typeEbEEZZNS1_14partition_implILS5_6ELb0ES3_mN6thrust23THRUST_200600_302600_NS6detail15normal_iteratorINSA_10device_ptrIjEEEEPS6_SG_NS0_5tupleIJNSA_16discard_iteratorINSA_11use_defaultEEES6_EEENSH_IJSG_SG_EEES6_PlJNSB_9not_fun_tINSB_14equal_to_valueIjEEEEEEE10hipError_tPvRmT3_T4_T5_T6_T7_T9_mT8_P12ihipStream_tbDpT10_ENKUlT_T0_E_clISt17integral_constantIbLb0EES1B_EEDaS16_S17_EUlS16_E_NS1_11comp_targetILNS1_3genE9ELNS1_11target_archE1100ELNS1_3gpuE3ELNS1_3repE0EEENS1_30default_config_static_selectorELNS0_4arch9wavefront6targetE0EEEvT1_.uses_flat_scratch, 0
	.set _ZN7rocprim17ROCPRIM_400000_NS6detail17trampoline_kernelINS0_14default_configENS1_25partition_config_selectorILNS1_17partition_subalgoE6EjNS0_10empty_typeEbEEZZNS1_14partition_implILS5_6ELb0ES3_mN6thrust23THRUST_200600_302600_NS6detail15normal_iteratorINSA_10device_ptrIjEEEEPS6_SG_NS0_5tupleIJNSA_16discard_iteratorINSA_11use_defaultEEES6_EEENSH_IJSG_SG_EEES6_PlJNSB_9not_fun_tINSB_14equal_to_valueIjEEEEEEE10hipError_tPvRmT3_T4_T5_T6_T7_T9_mT8_P12ihipStream_tbDpT10_ENKUlT_T0_E_clISt17integral_constantIbLb0EES1B_EEDaS16_S17_EUlS16_E_NS1_11comp_targetILNS1_3genE9ELNS1_11target_archE1100ELNS1_3gpuE3ELNS1_3repE0EEENS1_30default_config_static_selectorELNS0_4arch9wavefront6targetE0EEEvT1_.has_dyn_sized_stack, 0
	.set _ZN7rocprim17ROCPRIM_400000_NS6detail17trampoline_kernelINS0_14default_configENS1_25partition_config_selectorILNS1_17partition_subalgoE6EjNS0_10empty_typeEbEEZZNS1_14partition_implILS5_6ELb0ES3_mN6thrust23THRUST_200600_302600_NS6detail15normal_iteratorINSA_10device_ptrIjEEEEPS6_SG_NS0_5tupleIJNSA_16discard_iteratorINSA_11use_defaultEEES6_EEENSH_IJSG_SG_EEES6_PlJNSB_9not_fun_tINSB_14equal_to_valueIjEEEEEEE10hipError_tPvRmT3_T4_T5_T6_T7_T9_mT8_P12ihipStream_tbDpT10_ENKUlT_T0_E_clISt17integral_constantIbLb0EES1B_EEDaS16_S17_EUlS16_E_NS1_11comp_targetILNS1_3genE9ELNS1_11target_archE1100ELNS1_3gpuE3ELNS1_3repE0EEENS1_30default_config_static_selectorELNS0_4arch9wavefront6targetE0EEEvT1_.has_recursion, 0
	.set _ZN7rocprim17ROCPRIM_400000_NS6detail17trampoline_kernelINS0_14default_configENS1_25partition_config_selectorILNS1_17partition_subalgoE6EjNS0_10empty_typeEbEEZZNS1_14partition_implILS5_6ELb0ES3_mN6thrust23THRUST_200600_302600_NS6detail15normal_iteratorINSA_10device_ptrIjEEEEPS6_SG_NS0_5tupleIJNSA_16discard_iteratorINSA_11use_defaultEEES6_EEENSH_IJSG_SG_EEES6_PlJNSB_9not_fun_tINSB_14equal_to_valueIjEEEEEEE10hipError_tPvRmT3_T4_T5_T6_T7_T9_mT8_P12ihipStream_tbDpT10_ENKUlT_T0_E_clISt17integral_constantIbLb0EES1B_EEDaS16_S17_EUlS16_E_NS1_11comp_targetILNS1_3genE9ELNS1_11target_archE1100ELNS1_3gpuE3ELNS1_3repE0EEENS1_30default_config_static_selectorELNS0_4arch9wavefront6targetE0EEEvT1_.has_indirect_call, 0
	.section	.AMDGPU.csdata,"",@progbits
; Kernel info:
; codeLenInByte = 0
; TotalNumSgprs: 0
; NumVgprs: 0
; ScratchSize: 0
; MemoryBound: 0
; FloatMode: 240
; IeeeMode: 1
; LDSByteSize: 0 bytes/workgroup (compile time only)
; SGPRBlocks: 0
; VGPRBlocks: 0
; NumSGPRsForWavesPerEU: 1
; NumVGPRsForWavesPerEU: 1
; Occupancy: 16
; WaveLimiterHint : 0
; COMPUTE_PGM_RSRC2:SCRATCH_EN: 0
; COMPUTE_PGM_RSRC2:USER_SGPR: 2
; COMPUTE_PGM_RSRC2:TRAP_HANDLER: 0
; COMPUTE_PGM_RSRC2:TGID_X_EN: 1
; COMPUTE_PGM_RSRC2:TGID_Y_EN: 0
; COMPUTE_PGM_RSRC2:TGID_Z_EN: 0
; COMPUTE_PGM_RSRC2:TIDIG_COMP_CNT: 0
	.section	.text._ZN7rocprim17ROCPRIM_400000_NS6detail17trampoline_kernelINS0_14default_configENS1_25partition_config_selectorILNS1_17partition_subalgoE6EjNS0_10empty_typeEbEEZZNS1_14partition_implILS5_6ELb0ES3_mN6thrust23THRUST_200600_302600_NS6detail15normal_iteratorINSA_10device_ptrIjEEEEPS6_SG_NS0_5tupleIJNSA_16discard_iteratorINSA_11use_defaultEEES6_EEENSH_IJSG_SG_EEES6_PlJNSB_9not_fun_tINSB_14equal_to_valueIjEEEEEEE10hipError_tPvRmT3_T4_T5_T6_T7_T9_mT8_P12ihipStream_tbDpT10_ENKUlT_T0_E_clISt17integral_constantIbLb0EES1B_EEDaS16_S17_EUlS16_E_NS1_11comp_targetILNS1_3genE8ELNS1_11target_archE1030ELNS1_3gpuE2ELNS1_3repE0EEENS1_30default_config_static_selectorELNS0_4arch9wavefront6targetE0EEEvT1_,"axG",@progbits,_ZN7rocprim17ROCPRIM_400000_NS6detail17trampoline_kernelINS0_14default_configENS1_25partition_config_selectorILNS1_17partition_subalgoE6EjNS0_10empty_typeEbEEZZNS1_14partition_implILS5_6ELb0ES3_mN6thrust23THRUST_200600_302600_NS6detail15normal_iteratorINSA_10device_ptrIjEEEEPS6_SG_NS0_5tupleIJNSA_16discard_iteratorINSA_11use_defaultEEES6_EEENSH_IJSG_SG_EEES6_PlJNSB_9not_fun_tINSB_14equal_to_valueIjEEEEEEE10hipError_tPvRmT3_T4_T5_T6_T7_T9_mT8_P12ihipStream_tbDpT10_ENKUlT_T0_E_clISt17integral_constantIbLb0EES1B_EEDaS16_S17_EUlS16_E_NS1_11comp_targetILNS1_3genE8ELNS1_11target_archE1030ELNS1_3gpuE2ELNS1_3repE0EEENS1_30default_config_static_selectorELNS0_4arch9wavefront6targetE0EEEvT1_,comdat
	.protected	_ZN7rocprim17ROCPRIM_400000_NS6detail17trampoline_kernelINS0_14default_configENS1_25partition_config_selectorILNS1_17partition_subalgoE6EjNS0_10empty_typeEbEEZZNS1_14partition_implILS5_6ELb0ES3_mN6thrust23THRUST_200600_302600_NS6detail15normal_iteratorINSA_10device_ptrIjEEEEPS6_SG_NS0_5tupleIJNSA_16discard_iteratorINSA_11use_defaultEEES6_EEENSH_IJSG_SG_EEES6_PlJNSB_9not_fun_tINSB_14equal_to_valueIjEEEEEEE10hipError_tPvRmT3_T4_T5_T6_T7_T9_mT8_P12ihipStream_tbDpT10_ENKUlT_T0_E_clISt17integral_constantIbLb0EES1B_EEDaS16_S17_EUlS16_E_NS1_11comp_targetILNS1_3genE8ELNS1_11target_archE1030ELNS1_3gpuE2ELNS1_3repE0EEENS1_30default_config_static_selectorELNS0_4arch9wavefront6targetE0EEEvT1_ ; -- Begin function _ZN7rocprim17ROCPRIM_400000_NS6detail17trampoline_kernelINS0_14default_configENS1_25partition_config_selectorILNS1_17partition_subalgoE6EjNS0_10empty_typeEbEEZZNS1_14partition_implILS5_6ELb0ES3_mN6thrust23THRUST_200600_302600_NS6detail15normal_iteratorINSA_10device_ptrIjEEEEPS6_SG_NS0_5tupleIJNSA_16discard_iteratorINSA_11use_defaultEEES6_EEENSH_IJSG_SG_EEES6_PlJNSB_9not_fun_tINSB_14equal_to_valueIjEEEEEEE10hipError_tPvRmT3_T4_T5_T6_T7_T9_mT8_P12ihipStream_tbDpT10_ENKUlT_T0_E_clISt17integral_constantIbLb0EES1B_EEDaS16_S17_EUlS16_E_NS1_11comp_targetILNS1_3genE8ELNS1_11target_archE1030ELNS1_3gpuE2ELNS1_3repE0EEENS1_30default_config_static_selectorELNS0_4arch9wavefront6targetE0EEEvT1_
	.globl	_ZN7rocprim17ROCPRIM_400000_NS6detail17trampoline_kernelINS0_14default_configENS1_25partition_config_selectorILNS1_17partition_subalgoE6EjNS0_10empty_typeEbEEZZNS1_14partition_implILS5_6ELb0ES3_mN6thrust23THRUST_200600_302600_NS6detail15normal_iteratorINSA_10device_ptrIjEEEEPS6_SG_NS0_5tupleIJNSA_16discard_iteratorINSA_11use_defaultEEES6_EEENSH_IJSG_SG_EEES6_PlJNSB_9not_fun_tINSB_14equal_to_valueIjEEEEEEE10hipError_tPvRmT3_T4_T5_T6_T7_T9_mT8_P12ihipStream_tbDpT10_ENKUlT_T0_E_clISt17integral_constantIbLb0EES1B_EEDaS16_S17_EUlS16_E_NS1_11comp_targetILNS1_3genE8ELNS1_11target_archE1030ELNS1_3gpuE2ELNS1_3repE0EEENS1_30default_config_static_selectorELNS0_4arch9wavefront6targetE0EEEvT1_
	.p2align	8
	.type	_ZN7rocprim17ROCPRIM_400000_NS6detail17trampoline_kernelINS0_14default_configENS1_25partition_config_selectorILNS1_17partition_subalgoE6EjNS0_10empty_typeEbEEZZNS1_14partition_implILS5_6ELb0ES3_mN6thrust23THRUST_200600_302600_NS6detail15normal_iteratorINSA_10device_ptrIjEEEEPS6_SG_NS0_5tupleIJNSA_16discard_iteratorINSA_11use_defaultEEES6_EEENSH_IJSG_SG_EEES6_PlJNSB_9not_fun_tINSB_14equal_to_valueIjEEEEEEE10hipError_tPvRmT3_T4_T5_T6_T7_T9_mT8_P12ihipStream_tbDpT10_ENKUlT_T0_E_clISt17integral_constantIbLb0EES1B_EEDaS16_S17_EUlS16_E_NS1_11comp_targetILNS1_3genE8ELNS1_11target_archE1030ELNS1_3gpuE2ELNS1_3repE0EEENS1_30default_config_static_selectorELNS0_4arch9wavefront6targetE0EEEvT1_,@function
_ZN7rocprim17ROCPRIM_400000_NS6detail17trampoline_kernelINS0_14default_configENS1_25partition_config_selectorILNS1_17partition_subalgoE6EjNS0_10empty_typeEbEEZZNS1_14partition_implILS5_6ELb0ES3_mN6thrust23THRUST_200600_302600_NS6detail15normal_iteratorINSA_10device_ptrIjEEEEPS6_SG_NS0_5tupleIJNSA_16discard_iteratorINSA_11use_defaultEEES6_EEENSH_IJSG_SG_EEES6_PlJNSB_9not_fun_tINSB_14equal_to_valueIjEEEEEEE10hipError_tPvRmT3_T4_T5_T6_T7_T9_mT8_P12ihipStream_tbDpT10_ENKUlT_T0_E_clISt17integral_constantIbLb0EES1B_EEDaS16_S17_EUlS16_E_NS1_11comp_targetILNS1_3genE8ELNS1_11target_archE1030ELNS1_3gpuE2ELNS1_3repE0EEENS1_30default_config_static_selectorELNS0_4arch9wavefront6targetE0EEEvT1_: ; @_ZN7rocprim17ROCPRIM_400000_NS6detail17trampoline_kernelINS0_14default_configENS1_25partition_config_selectorILNS1_17partition_subalgoE6EjNS0_10empty_typeEbEEZZNS1_14partition_implILS5_6ELb0ES3_mN6thrust23THRUST_200600_302600_NS6detail15normal_iteratorINSA_10device_ptrIjEEEEPS6_SG_NS0_5tupleIJNSA_16discard_iteratorINSA_11use_defaultEEES6_EEENSH_IJSG_SG_EEES6_PlJNSB_9not_fun_tINSB_14equal_to_valueIjEEEEEEE10hipError_tPvRmT3_T4_T5_T6_T7_T9_mT8_P12ihipStream_tbDpT10_ENKUlT_T0_E_clISt17integral_constantIbLb0EES1B_EEDaS16_S17_EUlS16_E_NS1_11comp_targetILNS1_3genE8ELNS1_11target_archE1030ELNS1_3gpuE2ELNS1_3repE0EEENS1_30default_config_static_selectorELNS0_4arch9wavefront6targetE0EEEvT1_
; %bb.0:
	.section	.rodata,"a",@progbits
	.p2align	6, 0x0
	.amdhsa_kernel _ZN7rocprim17ROCPRIM_400000_NS6detail17trampoline_kernelINS0_14default_configENS1_25partition_config_selectorILNS1_17partition_subalgoE6EjNS0_10empty_typeEbEEZZNS1_14partition_implILS5_6ELb0ES3_mN6thrust23THRUST_200600_302600_NS6detail15normal_iteratorINSA_10device_ptrIjEEEEPS6_SG_NS0_5tupleIJNSA_16discard_iteratorINSA_11use_defaultEEES6_EEENSH_IJSG_SG_EEES6_PlJNSB_9not_fun_tINSB_14equal_to_valueIjEEEEEEE10hipError_tPvRmT3_T4_T5_T6_T7_T9_mT8_P12ihipStream_tbDpT10_ENKUlT_T0_E_clISt17integral_constantIbLb0EES1B_EEDaS16_S17_EUlS16_E_NS1_11comp_targetILNS1_3genE8ELNS1_11target_archE1030ELNS1_3gpuE2ELNS1_3repE0EEENS1_30default_config_static_selectorELNS0_4arch9wavefront6targetE0EEEvT1_
		.amdhsa_group_segment_fixed_size 0
		.amdhsa_private_segment_fixed_size 0
		.amdhsa_kernarg_size 128
		.amdhsa_user_sgpr_count 2
		.amdhsa_user_sgpr_dispatch_ptr 0
		.amdhsa_user_sgpr_queue_ptr 0
		.amdhsa_user_sgpr_kernarg_segment_ptr 1
		.amdhsa_user_sgpr_dispatch_id 0
		.amdhsa_user_sgpr_private_segment_size 0
		.amdhsa_wavefront_size32 1
		.amdhsa_uses_dynamic_stack 0
		.amdhsa_enable_private_segment 0
		.amdhsa_system_sgpr_workgroup_id_x 1
		.amdhsa_system_sgpr_workgroup_id_y 0
		.amdhsa_system_sgpr_workgroup_id_z 0
		.amdhsa_system_sgpr_workgroup_info 0
		.amdhsa_system_vgpr_workitem_id 0
		.amdhsa_next_free_vgpr 1
		.amdhsa_next_free_sgpr 1
		.amdhsa_reserve_vcc 0
		.amdhsa_float_round_mode_32 0
		.amdhsa_float_round_mode_16_64 0
		.amdhsa_float_denorm_mode_32 3
		.amdhsa_float_denorm_mode_16_64 3
		.amdhsa_fp16_overflow 0
		.amdhsa_workgroup_processor_mode 1
		.amdhsa_memory_ordered 1
		.amdhsa_forward_progress 1
		.amdhsa_inst_pref_size 0
		.amdhsa_round_robin_scheduling 0
		.amdhsa_exception_fp_ieee_invalid_op 0
		.amdhsa_exception_fp_denorm_src 0
		.amdhsa_exception_fp_ieee_div_zero 0
		.amdhsa_exception_fp_ieee_overflow 0
		.amdhsa_exception_fp_ieee_underflow 0
		.amdhsa_exception_fp_ieee_inexact 0
		.amdhsa_exception_int_div_zero 0
	.end_amdhsa_kernel
	.section	.text._ZN7rocprim17ROCPRIM_400000_NS6detail17trampoline_kernelINS0_14default_configENS1_25partition_config_selectorILNS1_17partition_subalgoE6EjNS0_10empty_typeEbEEZZNS1_14partition_implILS5_6ELb0ES3_mN6thrust23THRUST_200600_302600_NS6detail15normal_iteratorINSA_10device_ptrIjEEEEPS6_SG_NS0_5tupleIJNSA_16discard_iteratorINSA_11use_defaultEEES6_EEENSH_IJSG_SG_EEES6_PlJNSB_9not_fun_tINSB_14equal_to_valueIjEEEEEEE10hipError_tPvRmT3_T4_T5_T6_T7_T9_mT8_P12ihipStream_tbDpT10_ENKUlT_T0_E_clISt17integral_constantIbLb0EES1B_EEDaS16_S17_EUlS16_E_NS1_11comp_targetILNS1_3genE8ELNS1_11target_archE1030ELNS1_3gpuE2ELNS1_3repE0EEENS1_30default_config_static_selectorELNS0_4arch9wavefront6targetE0EEEvT1_,"axG",@progbits,_ZN7rocprim17ROCPRIM_400000_NS6detail17trampoline_kernelINS0_14default_configENS1_25partition_config_selectorILNS1_17partition_subalgoE6EjNS0_10empty_typeEbEEZZNS1_14partition_implILS5_6ELb0ES3_mN6thrust23THRUST_200600_302600_NS6detail15normal_iteratorINSA_10device_ptrIjEEEEPS6_SG_NS0_5tupleIJNSA_16discard_iteratorINSA_11use_defaultEEES6_EEENSH_IJSG_SG_EEES6_PlJNSB_9not_fun_tINSB_14equal_to_valueIjEEEEEEE10hipError_tPvRmT3_T4_T5_T6_T7_T9_mT8_P12ihipStream_tbDpT10_ENKUlT_T0_E_clISt17integral_constantIbLb0EES1B_EEDaS16_S17_EUlS16_E_NS1_11comp_targetILNS1_3genE8ELNS1_11target_archE1030ELNS1_3gpuE2ELNS1_3repE0EEENS1_30default_config_static_selectorELNS0_4arch9wavefront6targetE0EEEvT1_,comdat
.Lfunc_end1668:
	.size	_ZN7rocprim17ROCPRIM_400000_NS6detail17trampoline_kernelINS0_14default_configENS1_25partition_config_selectorILNS1_17partition_subalgoE6EjNS0_10empty_typeEbEEZZNS1_14partition_implILS5_6ELb0ES3_mN6thrust23THRUST_200600_302600_NS6detail15normal_iteratorINSA_10device_ptrIjEEEEPS6_SG_NS0_5tupleIJNSA_16discard_iteratorINSA_11use_defaultEEES6_EEENSH_IJSG_SG_EEES6_PlJNSB_9not_fun_tINSB_14equal_to_valueIjEEEEEEE10hipError_tPvRmT3_T4_T5_T6_T7_T9_mT8_P12ihipStream_tbDpT10_ENKUlT_T0_E_clISt17integral_constantIbLb0EES1B_EEDaS16_S17_EUlS16_E_NS1_11comp_targetILNS1_3genE8ELNS1_11target_archE1030ELNS1_3gpuE2ELNS1_3repE0EEENS1_30default_config_static_selectorELNS0_4arch9wavefront6targetE0EEEvT1_, .Lfunc_end1668-_ZN7rocprim17ROCPRIM_400000_NS6detail17trampoline_kernelINS0_14default_configENS1_25partition_config_selectorILNS1_17partition_subalgoE6EjNS0_10empty_typeEbEEZZNS1_14partition_implILS5_6ELb0ES3_mN6thrust23THRUST_200600_302600_NS6detail15normal_iteratorINSA_10device_ptrIjEEEEPS6_SG_NS0_5tupleIJNSA_16discard_iteratorINSA_11use_defaultEEES6_EEENSH_IJSG_SG_EEES6_PlJNSB_9not_fun_tINSB_14equal_to_valueIjEEEEEEE10hipError_tPvRmT3_T4_T5_T6_T7_T9_mT8_P12ihipStream_tbDpT10_ENKUlT_T0_E_clISt17integral_constantIbLb0EES1B_EEDaS16_S17_EUlS16_E_NS1_11comp_targetILNS1_3genE8ELNS1_11target_archE1030ELNS1_3gpuE2ELNS1_3repE0EEENS1_30default_config_static_selectorELNS0_4arch9wavefront6targetE0EEEvT1_
                                        ; -- End function
	.set _ZN7rocprim17ROCPRIM_400000_NS6detail17trampoline_kernelINS0_14default_configENS1_25partition_config_selectorILNS1_17partition_subalgoE6EjNS0_10empty_typeEbEEZZNS1_14partition_implILS5_6ELb0ES3_mN6thrust23THRUST_200600_302600_NS6detail15normal_iteratorINSA_10device_ptrIjEEEEPS6_SG_NS0_5tupleIJNSA_16discard_iteratorINSA_11use_defaultEEES6_EEENSH_IJSG_SG_EEES6_PlJNSB_9not_fun_tINSB_14equal_to_valueIjEEEEEEE10hipError_tPvRmT3_T4_T5_T6_T7_T9_mT8_P12ihipStream_tbDpT10_ENKUlT_T0_E_clISt17integral_constantIbLb0EES1B_EEDaS16_S17_EUlS16_E_NS1_11comp_targetILNS1_3genE8ELNS1_11target_archE1030ELNS1_3gpuE2ELNS1_3repE0EEENS1_30default_config_static_selectorELNS0_4arch9wavefront6targetE0EEEvT1_.num_vgpr, 0
	.set _ZN7rocprim17ROCPRIM_400000_NS6detail17trampoline_kernelINS0_14default_configENS1_25partition_config_selectorILNS1_17partition_subalgoE6EjNS0_10empty_typeEbEEZZNS1_14partition_implILS5_6ELb0ES3_mN6thrust23THRUST_200600_302600_NS6detail15normal_iteratorINSA_10device_ptrIjEEEEPS6_SG_NS0_5tupleIJNSA_16discard_iteratorINSA_11use_defaultEEES6_EEENSH_IJSG_SG_EEES6_PlJNSB_9not_fun_tINSB_14equal_to_valueIjEEEEEEE10hipError_tPvRmT3_T4_T5_T6_T7_T9_mT8_P12ihipStream_tbDpT10_ENKUlT_T0_E_clISt17integral_constantIbLb0EES1B_EEDaS16_S17_EUlS16_E_NS1_11comp_targetILNS1_3genE8ELNS1_11target_archE1030ELNS1_3gpuE2ELNS1_3repE0EEENS1_30default_config_static_selectorELNS0_4arch9wavefront6targetE0EEEvT1_.num_agpr, 0
	.set _ZN7rocprim17ROCPRIM_400000_NS6detail17trampoline_kernelINS0_14default_configENS1_25partition_config_selectorILNS1_17partition_subalgoE6EjNS0_10empty_typeEbEEZZNS1_14partition_implILS5_6ELb0ES3_mN6thrust23THRUST_200600_302600_NS6detail15normal_iteratorINSA_10device_ptrIjEEEEPS6_SG_NS0_5tupleIJNSA_16discard_iteratorINSA_11use_defaultEEES6_EEENSH_IJSG_SG_EEES6_PlJNSB_9not_fun_tINSB_14equal_to_valueIjEEEEEEE10hipError_tPvRmT3_T4_T5_T6_T7_T9_mT8_P12ihipStream_tbDpT10_ENKUlT_T0_E_clISt17integral_constantIbLb0EES1B_EEDaS16_S17_EUlS16_E_NS1_11comp_targetILNS1_3genE8ELNS1_11target_archE1030ELNS1_3gpuE2ELNS1_3repE0EEENS1_30default_config_static_selectorELNS0_4arch9wavefront6targetE0EEEvT1_.numbered_sgpr, 0
	.set _ZN7rocprim17ROCPRIM_400000_NS6detail17trampoline_kernelINS0_14default_configENS1_25partition_config_selectorILNS1_17partition_subalgoE6EjNS0_10empty_typeEbEEZZNS1_14partition_implILS5_6ELb0ES3_mN6thrust23THRUST_200600_302600_NS6detail15normal_iteratorINSA_10device_ptrIjEEEEPS6_SG_NS0_5tupleIJNSA_16discard_iteratorINSA_11use_defaultEEES6_EEENSH_IJSG_SG_EEES6_PlJNSB_9not_fun_tINSB_14equal_to_valueIjEEEEEEE10hipError_tPvRmT3_T4_T5_T6_T7_T9_mT8_P12ihipStream_tbDpT10_ENKUlT_T0_E_clISt17integral_constantIbLb0EES1B_EEDaS16_S17_EUlS16_E_NS1_11comp_targetILNS1_3genE8ELNS1_11target_archE1030ELNS1_3gpuE2ELNS1_3repE0EEENS1_30default_config_static_selectorELNS0_4arch9wavefront6targetE0EEEvT1_.num_named_barrier, 0
	.set _ZN7rocprim17ROCPRIM_400000_NS6detail17trampoline_kernelINS0_14default_configENS1_25partition_config_selectorILNS1_17partition_subalgoE6EjNS0_10empty_typeEbEEZZNS1_14partition_implILS5_6ELb0ES3_mN6thrust23THRUST_200600_302600_NS6detail15normal_iteratorINSA_10device_ptrIjEEEEPS6_SG_NS0_5tupleIJNSA_16discard_iteratorINSA_11use_defaultEEES6_EEENSH_IJSG_SG_EEES6_PlJNSB_9not_fun_tINSB_14equal_to_valueIjEEEEEEE10hipError_tPvRmT3_T4_T5_T6_T7_T9_mT8_P12ihipStream_tbDpT10_ENKUlT_T0_E_clISt17integral_constantIbLb0EES1B_EEDaS16_S17_EUlS16_E_NS1_11comp_targetILNS1_3genE8ELNS1_11target_archE1030ELNS1_3gpuE2ELNS1_3repE0EEENS1_30default_config_static_selectorELNS0_4arch9wavefront6targetE0EEEvT1_.private_seg_size, 0
	.set _ZN7rocprim17ROCPRIM_400000_NS6detail17trampoline_kernelINS0_14default_configENS1_25partition_config_selectorILNS1_17partition_subalgoE6EjNS0_10empty_typeEbEEZZNS1_14partition_implILS5_6ELb0ES3_mN6thrust23THRUST_200600_302600_NS6detail15normal_iteratorINSA_10device_ptrIjEEEEPS6_SG_NS0_5tupleIJNSA_16discard_iteratorINSA_11use_defaultEEES6_EEENSH_IJSG_SG_EEES6_PlJNSB_9not_fun_tINSB_14equal_to_valueIjEEEEEEE10hipError_tPvRmT3_T4_T5_T6_T7_T9_mT8_P12ihipStream_tbDpT10_ENKUlT_T0_E_clISt17integral_constantIbLb0EES1B_EEDaS16_S17_EUlS16_E_NS1_11comp_targetILNS1_3genE8ELNS1_11target_archE1030ELNS1_3gpuE2ELNS1_3repE0EEENS1_30default_config_static_selectorELNS0_4arch9wavefront6targetE0EEEvT1_.uses_vcc, 0
	.set _ZN7rocprim17ROCPRIM_400000_NS6detail17trampoline_kernelINS0_14default_configENS1_25partition_config_selectorILNS1_17partition_subalgoE6EjNS0_10empty_typeEbEEZZNS1_14partition_implILS5_6ELb0ES3_mN6thrust23THRUST_200600_302600_NS6detail15normal_iteratorINSA_10device_ptrIjEEEEPS6_SG_NS0_5tupleIJNSA_16discard_iteratorINSA_11use_defaultEEES6_EEENSH_IJSG_SG_EEES6_PlJNSB_9not_fun_tINSB_14equal_to_valueIjEEEEEEE10hipError_tPvRmT3_T4_T5_T6_T7_T9_mT8_P12ihipStream_tbDpT10_ENKUlT_T0_E_clISt17integral_constantIbLb0EES1B_EEDaS16_S17_EUlS16_E_NS1_11comp_targetILNS1_3genE8ELNS1_11target_archE1030ELNS1_3gpuE2ELNS1_3repE0EEENS1_30default_config_static_selectorELNS0_4arch9wavefront6targetE0EEEvT1_.uses_flat_scratch, 0
	.set _ZN7rocprim17ROCPRIM_400000_NS6detail17trampoline_kernelINS0_14default_configENS1_25partition_config_selectorILNS1_17partition_subalgoE6EjNS0_10empty_typeEbEEZZNS1_14partition_implILS5_6ELb0ES3_mN6thrust23THRUST_200600_302600_NS6detail15normal_iteratorINSA_10device_ptrIjEEEEPS6_SG_NS0_5tupleIJNSA_16discard_iteratorINSA_11use_defaultEEES6_EEENSH_IJSG_SG_EEES6_PlJNSB_9not_fun_tINSB_14equal_to_valueIjEEEEEEE10hipError_tPvRmT3_T4_T5_T6_T7_T9_mT8_P12ihipStream_tbDpT10_ENKUlT_T0_E_clISt17integral_constantIbLb0EES1B_EEDaS16_S17_EUlS16_E_NS1_11comp_targetILNS1_3genE8ELNS1_11target_archE1030ELNS1_3gpuE2ELNS1_3repE0EEENS1_30default_config_static_selectorELNS0_4arch9wavefront6targetE0EEEvT1_.has_dyn_sized_stack, 0
	.set _ZN7rocprim17ROCPRIM_400000_NS6detail17trampoline_kernelINS0_14default_configENS1_25partition_config_selectorILNS1_17partition_subalgoE6EjNS0_10empty_typeEbEEZZNS1_14partition_implILS5_6ELb0ES3_mN6thrust23THRUST_200600_302600_NS6detail15normal_iteratorINSA_10device_ptrIjEEEEPS6_SG_NS0_5tupleIJNSA_16discard_iteratorINSA_11use_defaultEEES6_EEENSH_IJSG_SG_EEES6_PlJNSB_9not_fun_tINSB_14equal_to_valueIjEEEEEEE10hipError_tPvRmT3_T4_T5_T6_T7_T9_mT8_P12ihipStream_tbDpT10_ENKUlT_T0_E_clISt17integral_constantIbLb0EES1B_EEDaS16_S17_EUlS16_E_NS1_11comp_targetILNS1_3genE8ELNS1_11target_archE1030ELNS1_3gpuE2ELNS1_3repE0EEENS1_30default_config_static_selectorELNS0_4arch9wavefront6targetE0EEEvT1_.has_recursion, 0
	.set _ZN7rocprim17ROCPRIM_400000_NS6detail17trampoline_kernelINS0_14default_configENS1_25partition_config_selectorILNS1_17partition_subalgoE6EjNS0_10empty_typeEbEEZZNS1_14partition_implILS5_6ELb0ES3_mN6thrust23THRUST_200600_302600_NS6detail15normal_iteratorINSA_10device_ptrIjEEEEPS6_SG_NS0_5tupleIJNSA_16discard_iteratorINSA_11use_defaultEEES6_EEENSH_IJSG_SG_EEES6_PlJNSB_9not_fun_tINSB_14equal_to_valueIjEEEEEEE10hipError_tPvRmT3_T4_T5_T6_T7_T9_mT8_P12ihipStream_tbDpT10_ENKUlT_T0_E_clISt17integral_constantIbLb0EES1B_EEDaS16_S17_EUlS16_E_NS1_11comp_targetILNS1_3genE8ELNS1_11target_archE1030ELNS1_3gpuE2ELNS1_3repE0EEENS1_30default_config_static_selectorELNS0_4arch9wavefront6targetE0EEEvT1_.has_indirect_call, 0
	.section	.AMDGPU.csdata,"",@progbits
; Kernel info:
; codeLenInByte = 0
; TotalNumSgprs: 0
; NumVgprs: 0
; ScratchSize: 0
; MemoryBound: 0
; FloatMode: 240
; IeeeMode: 1
; LDSByteSize: 0 bytes/workgroup (compile time only)
; SGPRBlocks: 0
; VGPRBlocks: 0
; NumSGPRsForWavesPerEU: 1
; NumVGPRsForWavesPerEU: 1
; Occupancy: 16
; WaveLimiterHint : 0
; COMPUTE_PGM_RSRC2:SCRATCH_EN: 0
; COMPUTE_PGM_RSRC2:USER_SGPR: 2
; COMPUTE_PGM_RSRC2:TRAP_HANDLER: 0
; COMPUTE_PGM_RSRC2:TGID_X_EN: 1
; COMPUTE_PGM_RSRC2:TGID_Y_EN: 0
; COMPUTE_PGM_RSRC2:TGID_Z_EN: 0
; COMPUTE_PGM_RSRC2:TIDIG_COMP_CNT: 0
	.section	.text._ZN7rocprim17ROCPRIM_400000_NS6detail17trampoline_kernelINS0_14default_configENS1_25partition_config_selectorILNS1_17partition_subalgoE6EjNS0_10empty_typeEbEEZZNS1_14partition_implILS5_6ELb0ES3_mN6thrust23THRUST_200600_302600_NS6detail15normal_iteratorINSA_10device_ptrIjEEEEPS6_SG_NS0_5tupleIJNSA_16discard_iteratorINSA_11use_defaultEEES6_EEENSH_IJSG_SG_EEES6_PlJNSB_9not_fun_tINSB_14equal_to_valueIjEEEEEEE10hipError_tPvRmT3_T4_T5_T6_T7_T9_mT8_P12ihipStream_tbDpT10_ENKUlT_T0_E_clISt17integral_constantIbLb1EES1B_EEDaS16_S17_EUlS16_E_NS1_11comp_targetILNS1_3genE0ELNS1_11target_archE4294967295ELNS1_3gpuE0ELNS1_3repE0EEENS1_30default_config_static_selectorELNS0_4arch9wavefront6targetE0EEEvT1_,"axG",@progbits,_ZN7rocprim17ROCPRIM_400000_NS6detail17trampoline_kernelINS0_14default_configENS1_25partition_config_selectorILNS1_17partition_subalgoE6EjNS0_10empty_typeEbEEZZNS1_14partition_implILS5_6ELb0ES3_mN6thrust23THRUST_200600_302600_NS6detail15normal_iteratorINSA_10device_ptrIjEEEEPS6_SG_NS0_5tupleIJNSA_16discard_iteratorINSA_11use_defaultEEES6_EEENSH_IJSG_SG_EEES6_PlJNSB_9not_fun_tINSB_14equal_to_valueIjEEEEEEE10hipError_tPvRmT3_T4_T5_T6_T7_T9_mT8_P12ihipStream_tbDpT10_ENKUlT_T0_E_clISt17integral_constantIbLb1EES1B_EEDaS16_S17_EUlS16_E_NS1_11comp_targetILNS1_3genE0ELNS1_11target_archE4294967295ELNS1_3gpuE0ELNS1_3repE0EEENS1_30default_config_static_selectorELNS0_4arch9wavefront6targetE0EEEvT1_,comdat
	.protected	_ZN7rocprim17ROCPRIM_400000_NS6detail17trampoline_kernelINS0_14default_configENS1_25partition_config_selectorILNS1_17partition_subalgoE6EjNS0_10empty_typeEbEEZZNS1_14partition_implILS5_6ELb0ES3_mN6thrust23THRUST_200600_302600_NS6detail15normal_iteratorINSA_10device_ptrIjEEEEPS6_SG_NS0_5tupleIJNSA_16discard_iteratorINSA_11use_defaultEEES6_EEENSH_IJSG_SG_EEES6_PlJNSB_9not_fun_tINSB_14equal_to_valueIjEEEEEEE10hipError_tPvRmT3_T4_T5_T6_T7_T9_mT8_P12ihipStream_tbDpT10_ENKUlT_T0_E_clISt17integral_constantIbLb1EES1B_EEDaS16_S17_EUlS16_E_NS1_11comp_targetILNS1_3genE0ELNS1_11target_archE4294967295ELNS1_3gpuE0ELNS1_3repE0EEENS1_30default_config_static_selectorELNS0_4arch9wavefront6targetE0EEEvT1_ ; -- Begin function _ZN7rocprim17ROCPRIM_400000_NS6detail17trampoline_kernelINS0_14default_configENS1_25partition_config_selectorILNS1_17partition_subalgoE6EjNS0_10empty_typeEbEEZZNS1_14partition_implILS5_6ELb0ES3_mN6thrust23THRUST_200600_302600_NS6detail15normal_iteratorINSA_10device_ptrIjEEEEPS6_SG_NS0_5tupleIJNSA_16discard_iteratorINSA_11use_defaultEEES6_EEENSH_IJSG_SG_EEES6_PlJNSB_9not_fun_tINSB_14equal_to_valueIjEEEEEEE10hipError_tPvRmT3_T4_T5_T6_T7_T9_mT8_P12ihipStream_tbDpT10_ENKUlT_T0_E_clISt17integral_constantIbLb1EES1B_EEDaS16_S17_EUlS16_E_NS1_11comp_targetILNS1_3genE0ELNS1_11target_archE4294967295ELNS1_3gpuE0ELNS1_3repE0EEENS1_30default_config_static_selectorELNS0_4arch9wavefront6targetE0EEEvT1_
	.globl	_ZN7rocprim17ROCPRIM_400000_NS6detail17trampoline_kernelINS0_14default_configENS1_25partition_config_selectorILNS1_17partition_subalgoE6EjNS0_10empty_typeEbEEZZNS1_14partition_implILS5_6ELb0ES3_mN6thrust23THRUST_200600_302600_NS6detail15normal_iteratorINSA_10device_ptrIjEEEEPS6_SG_NS0_5tupleIJNSA_16discard_iteratorINSA_11use_defaultEEES6_EEENSH_IJSG_SG_EEES6_PlJNSB_9not_fun_tINSB_14equal_to_valueIjEEEEEEE10hipError_tPvRmT3_T4_T5_T6_T7_T9_mT8_P12ihipStream_tbDpT10_ENKUlT_T0_E_clISt17integral_constantIbLb1EES1B_EEDaS16_S17_EUlS16_E_NS1_11comp_targetILNS1_3genE0ELNS1_11target_archE4294967295ELNS1_3gpuE0ELNS1_3repE0EEENS1_30default_config_static_selectorELNS0_4arch9wavefront6targetE0EEEvT1_
	.p2align	8
	.type	_ZN7rocprim17ROCPRIM_400000_NS6detail17trampoline_kernelINS0_14default_configENS1_25partition_config_selectorILNS1_17partition_subalgoE6EjNS0_10empty_typeEbEEZZNS1_14partition_implILS5_6ELb0ES3_mN6thrust23THRUST_200600_302600_NS6detail15normal_iteratorINSA_10device_ptrIjEEEEPS6_SG_NS0_5tupleIJNSA_16discard_iteratorINSA_11use_defaultEEES6_EEENSH_IJSG_SG_EEES6_PlJNSB_9not_fun_tINSB_14equal_to_valueIjEEEEEEE10hipError_tPvRmT3_T4_T5_T6_T7_T9_mT8_P12ihipStream_tbDpT10_ENKUlT_T0_E_clISt17integral_constantIbLb1EES1B_EEDaS16_S17_EUlS16_E_NS1_11comp_targetILNS1_3genE0ELNS1_11target_archE4294967295ELNS1_3gpuE0ELNS1_3repE0EEENS1_30default_config_static_selectorELNS0_4arch9wavefront6targetE0EEEvT1_,@function
_ZN7rocprim17ROCPRIM_400000_NS6detail17trampoline_kernelINS0_14default_configENS1_25partition_config_selectorILNS1_17partition_subalgoE6EjNS0_10empty_typeEbEEZZNS1_14partition_implILS5_6ELb0ES3_mN6thrust23THRUST_200600_302600_NS6detail15normal_iteratorINSA_10device_ptrIjEEEEPS6_SG_NS0_5tupleIJNSA_16discard_iteratorINSA_11use_defaultEEES6_EEENSH_IJSG_SG_EEES6_PlJNSB_9not_fun_tINSB_14equal_to_valueIjEEEEEEE10hipError_tPvRmT3_T4_T5_T6_T7_T9_mT8_P12ihipStream_tbDpT10_ENKUlT_T0_E_clISt17integral_constantIbLb1EES1B_EEDaS16_S17_EUlS16_E_NS1_11comp_targetILNS1_3genE0ELNS1_11target_archE4294967295ELNS1_3gpuE0ELNS1_3repE0EEENS1_30default_config_static_selectorELNS0_4arch9wavefront6targetE0EEEvT1_: ; @_ZN7rocprim17ROCPRIM_400000_NS6detail17trampoline_kernelINS0_14default_configENS1_25partition_config_selectorILNS1_17partition_subalgoE6EjNS0_10empty_typeEbEEZZNS1_14partition_implILS5_6ELb0ES3_mN6thrust23THRUST_200600_302600_NS6detail15normal_iteratorINSA_10device_ptrIjEEEEPS6_SG_NS0_5tupleIJNSA_16discard_iteratorINSA_11use_defaultEEES6_EEENSH_IJSG_SG_EEES6_PlJNSB_9not_fun_tINSB_14equal_to_valueIjEEEEEEE10hipError_tPvRmT3_T4_T5_T6_T7_T9_mT8_P12ihipStream_tbDpT10_ENKUlT_T0_E_clISt17integral_constantIbLb1EES1B_EEDaS16_S17_EUlS16_E_NS1_11comp_targetILNS1_3genE0ELNS1_11target_archE4294967295ELNS1_3gpuE0ELNS1_3repE0EEENS1_30default_config_static_selectorELNS0_4arch9wavefront6targetE0EEEvT1_
; %bb.0:
	.section	.rodata,"a",@progbits
	.p2align	6, 0x0
	.amdhsa_kernel _ZN7rocprim17ROCPRIM_400000_NS6detail17trampoline_kernelINS0_14default_configENS1_25partition_config_selectorILNS1_17partition_subalgoE6EjNS0_10empty_typeEbEEZZNS1_14partition_implILS5_6ELb0ES3_mN6thrust23THRUST_200600_302600_NS6detail15normal_iteratorINSA_10device_ptrIjEEEEPS6_SG_NS0_5tupleIJNSA_16discard_iteratorINSA_11use_defaultEEES6_EEENSH_IJSG_SG_EEES6_PlJNSB_9not_fun_tINSB_14equal_to_valueIjEEEEEEE10hipError_tPvRmT3_T4_T5_T6_T7_T9_mT8_P12ihipStream_tbDpT10_ENKUlT_T0_E_clISt17integral_constantIbLb1EES1B_EEDaS16_S17_EUlS16_E_NS1_11comp_targetILNS1_3genE0ELNS1_11target_archE4294967295ELNS1_3gpuE0ELNS1_3repE0EEENS1_30default_config_static_selectorELNS0_4arch9wavefront6targetE0EEEvT1_
		.amdhsa_group_segment_fixed_size 0
		.amdhsa_private_segment_fixed_size 0
		.amdhsa_kernarg_size 136
		.amdhsa_user_sgpr_count 2
		.amdhsa_user_sgpr_dispatch_ptr 0
		.amdhsa_user_sgpr_queue_ptr 0
		.amdhsa_user_sgpr_kernarg_segment_ptr 1
		.amdhsa_user_sgpr_dispatch_id 0
		.amdhsa_user_sgpr_private_segment_size 0
		.amdhsa_wavefront_size32 1
		.amdhsa_uses_dynamic_stack 0
		.amdhsa_enable_private_segment 0
		.amdhsa_system_sgpr_workgroup_id_x 1
		.amdhsa_system_sgpr_workgroup_id_y 0
		.amdhsa_system_sgpr_workgroup_id_z 0
		.amdhsa_system_sgpr_workgroup_info 0
		.amdhsa_system_vgpr_workitem_id 0
		.amdhsa_next_free_vgpr 1
		.amdhsa_next_free_sgpr 1
		.amdhsa_reserve_vcc 0
		.amdhsa_float_round_mode_32 0
		.amdhsa_float_round_mode_16_64 0
		.amdhsa_float_denorm_mode_32 3
		.amdhsa_float_denorm_mode_16_64 3
		.amdhsa_fp16_overflow 0
		.amdhsa_workgroup_processor_mode 1
		.amdhsa_memory_ordered 1
		.amdhsa_forward_progress 1
		.amdhsa_inst_pref_size 0
		.amdhsa_round_robin_scheduling 0
		.amdhsa_exception_fp_ieee_invalid_op 0
		.amdhsa_exception_fp_denorm_src 0
		.amdhsa_exception_fp_ieee_div_zero 0
		.amdhsa_exception_fp_ieee_overflow 0
		.amdhsa_exception_fp_ieee_underflow 0
		.amdhsa_exception_fp_ieee_inexact 0
		.amdhsa_exception_int_div_zero 0
	.end_amdhsa_kernel
	.section	.text._ZN7rocprim17ROCPRIM_400000_NS6detail17trampoline_kernelINS0_14default_configENS1_25partition_config_selectorILNS1_17partition_subalgoE6EjNS0_10empty_typeEbEEZZNS1_14partition_implILS5_6ELb0ES3_mN6thrust23THRUST_200600_302600_NS6detail15normal_iteratorINSA_10device_ptrIjEEEEPS6_SG_NS0_5tupleIJNSA_16discard_iteratorINSA_11use_defaultEEES6_EEENSH_IJSG_SG_EEES6_PlJNSB_9not_fun_tINSB_14equal_to_valueIjEEEEEEE10hipError_tPvRmT3_T4_T5_T6_T7_T9_mT8_P12ihipStream_tbDpT10_ENKUlT_T0_E_clISt17integral_constantIbLb1EES1B_EEDaS16_S17_EUlS16_E_NS1_11comp_targetILNS1_3genE0ELNS1_11target_archE4294967295ELNS1_3gpuE0ELNS1_3repE0EEENS1_30default_config_static_selectorELNS0_4arch9wavefront6targetE0EEEvT1_,"axG",@progbits,_ZN7rocprim17ROCPRIM_400000_NS6detail17trampoline_kernelINS0_14default_configENS1_25partition_config_selectorILNS1_17partition_subalgoE6EjNS0_10empty_typeEbEEZZNS1_14partition_implILS5_6ELb0ES3_mN6thrust23THRUST_200600_302600_NS6detail15normal_iteratorINSA_10device_ptrIjEEEEPS6_SG_NS0_5tupleIJNSA_16discard_iteratorINSA_11use_defaultEEES6_EEENSH_IJSG_SG_EEES6_PlJNSB_9not_fun_tINSB_14equal_to_valueIjEEEEEEE10hipError_tPvRmT3_T4_T5_T6_T7_T9_mT8_P12ihipStream_tbDpT10_ENKUlT_T0_E_clISt17integral_constantIbLb1EES1B_EEDaS16_S17_EUlS16_E_NS1_11comp_targetILNS1_3genE0ELNS1_11target_archE4294967295ELNS1_3gpuE0ELNS1_3repE0EEENS1_30default_config_static_selectorELNS0_4arch9wavefront6targetE0EEEvT1_,comdat
.Lfunc_end1669:
	.size	_ZN7rocprim17ROCPRIM_400000_NS6detail17trampoline_kernelINS0_14default_configENS1_25partition_config_selectorILNS1_17partition_subalgoE6EjNS0_10empty_typeEbEEZZNS1_14partition_implILS5_6ELb0ES3_mN6thrust23THRUST_200600_302600_NS6detail15normal_iteratorINSA_10device_ptrIjEEEEPS6_SG_NS0_5tupleIJNSA_16discard_iteratorINSA_11use_defaultEEES6_EEENSH_IJSG_SG_EEES6_PlJNSB_9not_fun_tINSB_14equal_to_valueIjEEEEEEE10hipError_tPvRmT3_T4_T5_T6_T7_T9_mT8_P12ihipStream_tbDpT10_ENKUlT_T0_E_clISt17integral_constantIbLb1EES1B_EEDaS16_S17_EUlS16_E_NS1_11comp_targetILNS1_3genE0ELNS1_11target_archE4294967295ELNS1_3gpuE0ELNS1_3repE0EEENS1_30default_config_static_selectorELNS0_4arch9wavefront6targetE0EEEvT1_, .Lfunc_end1669-_ZN7rocprim17ROCPRIM_400000_NS6detail17trampoline_kernelINS0_14default_configENS1_25partition_config_selectorILNS1_17partition_subalgoE6EjNS0_10empty_typeEbEEZZNS1_14partition_implILS5_6ELb0ES3_mN6thrust23THRUST_200600_302600_NS6detail15normal_iteratorINSA_10device_ptrIjEEEEPS6_SG_NS0_5tupleIJNSA_16discard_iteratorINSA_11use_defaultEEES6_EEENSH_IJSG_SG_EEES6_PlJNSB_9not_fun_tINSB_14equal_to_valueIjEEEEEEE10hipError_tPvRmT3_T4_T5_T6_T7_T9_mT8_P12ihipStream_tbDpT10_ENKUlT_T0_E_clISt17integral_constantIbLb1EES1B_EEDaS16_S17_EUlS16_E_NS1_11comp_targetILNS1_3genE0ELNS1_11target_archE4294967295ELNS1_3gpuE0ELNS1_3repE0EEENS1_30default_config_static_selectorELNS0_4arch9wavefront6targetE0EEEvT1_
                                        ; -- End function
	.set _ZN7rocprim17ROCPRIM_400000_NS6detail17trampoline_kernelINS0_14default_configENS1_25partition_config_selectorILNS1_17partition_subalgoE6EjNS0_10empty_typeEbEEZZNS1_14partition_implILS5_6ELb0ES3_mN6thrust23THRUST_200600_302600_NS6detail15normal_iteratorINSA_10device_ptrIjEEEEPS6_SG_NS0_5tupleIJNSA_16discard_iteratorINSA_11use_defaultEEES6_EEENSH_IJSG_SG_EEES6_PlJNSB_9not_fun_tINSB_14equal_to_valueIjEEEEEEE10hipError_tPvRmT3_T4_T5_T6_T7_T9_mT8_P12ihipStream_tbDpT10_ENKUlT_T0_E_clISt17integral_constantIbLb1EES1B_EEDaS16_S17_EUlS16_E_NS1_11comp_targetILNS1_3genE0ELNS1_11target_archE4294967295ELNS1_3gpuE0ELNS1_3repE0EEENS1_30default_config_static_selectorELNS0_4arch9wavefront6targetE0EEEvT1_.num_vgpr, 0
	.set _ZN7rocprim17ROCPRIM_400000_NS6detail17trampoline_kernelINS0_14default_configENS1_25partition_config_selectorILNS1_17partition_subalgoE6EjNS0_10empty_typeEbEEZZNS1_14partition_implILS5_6ELb0ES3_mN6thrust23THRUST_200600_302600_NS6detail15normal_iteratorINSA_10device_ptrIjEEEEPS6_SG_NS0_5tupleIJNSA_16discard_iteratorINSA_11use_defaultEEES6_EEENSH_IJSG_SG_EEES6_PlJNSB_9not_fun_tINSB_14equal_to_valueIjEEEEEEE10hipError_tPvRmT3_T4_T5_T6_T7_T9_mT8_P12ihipStream_tbDpT10_ENKUlT_T0_E_clISt17integral_constantIbLb1EES1B_EEDaS16_S17_EUlS16_E_NS1_11comp_targetILNS1_3genE0ELNS1_11target_archE4294967295ELNS1_3gpuE0ELNS1_3repE0EEENS1_30default_config_static_selectorELNS0_4arch9wavefront6targetE0EEEvT1_.num_agpr, 0
	.set _ZN7rocprim17ROCPRIM_400000_NS6detail17trampoline_kernelINS0_14default_configENS1_25partition_config_selectorILNS1_17partition_subalgoE6EjNS0_10empty_typeEbEEZZNS1_14partition_implILS5_6ELb0ES3_mN6thrust23THRUST_200600_302600_NS6detail15normal_iteratorINSA_10device_ptrIjEEEEPS6_SG_NS0_5tupleIJNSA_16discard_iteratorINSA_11use_defaultEEES6_EEENSH_IJSG_SG_EEES6_PlJNSB_9not_fun_tINSB_14equal_to_valueIjEEEEEEE10hipError_tPvRmT3_T4_T5_T6_T7_T9_mT8_P12ihipStream_tbDpT10_ENKUlT_T0_E_clISt17integral_constantIbLb1EES1B_EEDaS16_S17_EUlS16_E_NS1_11comp_targetILNS1_3genE0ELNS1_11target_archE4294967295ELNS1_3gpuE0ELNS1_3repE0EEENS1_30default_config_static_selectorELNS0_4arch9wavefront6targetE0EEEvT1_.numbered_sgpr, 0
	.set _ZN7rocprim17ROCPRIM_400000_NS6detail17trampoline_kernelINS0_14default_configENS1_25partition_config_selectorILNS1_17partition_subalgoE6EjNS0_10empty_typeEbEEZZNS1_14partition_implILS5_6ELb0ES3_mN6thrust23THRUST_200600_302600_NS6detail15normal_iteratorINSA_10device_ptrIjEEEEPS6_SG_NS0_5tupleIJNSA_16discard_iteratorINSA_11use_defaultEEES6_EEENSH_IJSG_SG_EEES6_PlJNSB_9not_fun_tINSB_14equal_to_valueIjEEEEEEE10hipError_tPvRmT3_T4_T5_T6_T7_T9_mT8_P12ihipStream_tbDpT10_ENKUlT_T0_E_clISt17integral_constantIbLb1EES1B_EEDaS16_S17_EUlS16_E_NS1_11comp_targetILNS1_3genE0ELNS1_11target_archE4294967295ELNS1_3gpuE0ELNS1_3repE0EEENS1_30default_config_static_selectorELNS0_4arch9wavefront6targetE0EEEvT1_.num_named_barrier, 0
	.set _ZN7rocprim17ROCPRIM_400000_NS6detail17trampoline_kernelINS0_14default_configENS1_25partition_config_selectorILNS1_17partition_subalgoE6EjNS0_10empty_typeEbEEZZNS1_14partition_implILS5_6ELb0ES3_mN6thrust23THRUST_200600_302600_NS6detail15normal_iteratorINSA_10device_ptrIjEEEEPS6_SG_NS0_5tupleIJNSA_16discard_iteratorINSA_11use_defaultEEES6_EEENSH_IJSG_SG_EEES6_PlJNSB_9not_fun_tINSB_14equal_to_valueIjEEEEEEE10hipError_tPvRmT3_T4_T5_T6_T7_T9_mT8_P12ihipStream_tbDpT10_ENKUlT_T0_E_clISt17integral_constantIbLb1EES1B_EEDaS16_S17_EUlS16_E_NS1_11comp_targetILNS1_3genE0ELNS1_11target_archE4294967295ELNS1_3gpuE0ELNS1_3repE0EEENS1_30default_config_static_selectorELNS0_4arch9wavefront6targetE0EEEvT1_.private_seg_size, 0
	.set _ZN7rocprim17ROCPRIM_400000_NS6detail17trampoline_kernelINS0_14default_configENS1_25partition_config_selectorILNS1_17partition_subalgoE6EjNS0_10empty_typeEbEEZZNS1_14partition_implILS5_6ELb0ES3_mN6thrust23THRUST_200600_302600_NS6detail15normal_iteratorINSA_10device_ptrIjEEEEPS6_SG_NS0_5tupleIJNSA_16discard_iteratorINSA_11use_defaultEEES6_EEENSH_IJSG_SG_EEES6_PlJNSB_9not_fun_tINSB_14equal_to_valueIjEEEEEEE10hipError_tPvRmT3_T4_T5_T6_T7_T9_mT8_P12ihipStream_tbDpT10_ENKUlT_T0_E_clISt17integral_constantIbLb1EES1B_EEDaS16_S17_EUlS16_E_NS1_11comp_targetILNS1_3genE0ELNS1_11target_archE4294967295ELNS1_3gpuE0ELNS1_3repE0EEENS1_30default_config_static_selectorELNS0_4arch9wavefront6targetE0EEEvT1_.uses_vcc, 0
	.set _ZN7rocprim17ROCPRIM_400000_NS6detail17trampoline_kernelINS0_14default_configENS1_25partition_config_selectorILNS1_17partition_subalgoE6EjNS0_10empty_typeEbEEZZNS1_14partition_implILS5_6ELb0ES3_mN6thrust23THRUST_200600_302600_NS6detail15normal_iteratorINSA_10device_ptrIjEEEEPS6_SG_NS0_5tupleIJNSA_16discard_iteratorINSA_11use_defaultEEES6_EEENSH_IJSG_SG_EEES6_PlJNSB_9not_fun_tINSB_14equal_to_valueIjEEEEEEE10hipError_tPvRmT3_T4_T5_T6_T7_T9_mT8_P12ihipStream_tbDpT10_ENKUlT_T0_E_clISt17integral_constantIbLb1EES1B_EEDaS16_S17_EUlS16_E_NS1_11comp_targetILNS1_3genE0ELNS1_11target_archE4294967295ELNS1_3gpuE0ELNS1_3repE0EEENS1_30default_config_static_selectorELNS0_4arch9wavefront6targetE0EEEvT1_.uses_flat_scratch, 0
	.set _ZN7rocprim17ROCPRIM_400000_NS6detail17trampoline_kernelINS0_14default_configENS1_25partition_config_selectorILNS1_17partition_subalgoE6EjNS0_10empty_typeEbEEZZNS1_14partition_implILS5_6ELb0ES3_mN6thrust23THRUST_200600_302600_NS6detail15normal_iteratorINSA_10device_ptrIjEEEEPS6_SG_NS0_5tupleIJNSA_16discard_iteratorINSA_11use_defaultEEES6_EEENSH_IJSG_SG_EEES6_PlJNSB_9not_fun_tINSB_14equal_to_valueIjEEEEEEE10hipError_tPvRmT3_T4_T5_T6_T7_T9_mT8_P12ihipStream_tbDpT10_ENKUlT_T0_E_clISt17integral_constantIbLb1EES1B_EEDaS16_S17_EUlS16_E_NS1_11comp_targetILNS1_3genE0ELNS1_11target_archE4294967295ELNS1_3gpuE0ELNS1_3repE0EEENS1_30default_config_static_selectorELNS0_4arch9wavefront6targetE0EEEvT1_.has_dyn_sized_stack, 0
	.set _ZN7rocprim17ROCPRIM_400000_NS6detail17trampoline_kernelINS0_14default_configENS1_25partition_config_selectorILNS1_17partition_subalgoE6EjNS0_10empty_typeEbEEZZNS1_14partition_implILS5_6ELb0ES3_mN6thrust23THRUST_200600_302600_NS6detail15normal_iteratorINSA_10device_ptrIjEEEEPS6_SG_NS0_5tupleIJNSA_16discard_iteratorINSA_11use_defaultEEES6_EEENSH_IJSG_SG_EEES6_PlJNSB_9not_fun_tINSB_14equal_to_valueIjEEEEEEE10hipError_tPvRmT3_T4_T5_T6_T7_T9_mT8_P12ihipStream_tbDpT10_ENKUlT_T0_E_clISt17integral_constantIbLb1EES1B_EEDaS16_S17_EUlS16_E_NS1_11comp_targetILNS1_3genE0ELNS1_11target_archE4294967295ELNS1_3gpuE0ELNS1_3repE0EEENS1_30default_config_static_selectorELNS0_4arch9wavefront6targetE0EEEvT1_.has_recursion, 0
	.set _ZN7rocprim17ROCPRIM_400000_NS6detail17trampoline_kernelINS0_14default_configENS1_25partition_config_selectorILNS1_17partition_subalgoE6EjNS0_10empty_typeEbEEZZNS1_14partition_implILS5_6ELb0ES3_mN6thrust23THRUST_200600_302600_NS6detail15normal_iteratorINSA_10device_ptrIjEEEEPS6_SG_NS0_5tupleIJNSA_16discard_iteratorINSA_11use_defaultEEES6_EEENSH_IJSG_SG_EEES6_PlJNSB_9not_fun_tINSB_14equal_to_valueIjEEEEEEE10hipError_tPvRmT3_T4_T5_T6_T7_T9_mT8_P12ihipStream_tbDpT10_ENKUlT_T0_E_clISt17integral_constantIbLb1EES1B_EEDaS16_S17_EUlS16_E_NS1_11comp_targetILNS1_3genE0ELNS1_11target_archE4294967295ELNS1_3gpuE0ELNS1_3repE0EEENS1_30default_config_static_selectorELNS0_4arch9wavefront6targetE0EEEvT1_.has_indirect_call, 0
	.section	.AMDGPU.csdata,"",@progbits
; Kernel info:
; codeLenInByte = 0
; TotalNumSgprs: 0
; NumVgprs: 0
; ScratchSize: 0
; MemoryBound: 0
; FloatMode: 240
; IeeeMode: 1
; LDSByteSize: 0 bytes/workgroup (compile time only)
; SGPRBlocks: 0
; VGPRBlocks: 0
; NumSGPRsForWavesPerEU: 1
; NumVGPRsForWavesPerEU: 1
; Occupancy: 16
; WaveLimiterHint : 0
; COMPUTE_PGM_RSRC2:SCRATCH_EN: 0
; COMPUTE_PGM_RSRC2:USER_SGPR: 2
; COMPUTE_PGM_RSRC2:TRAP_HANDLER: 0
; COMPUTE_PGM_RSRC2:TGID_X_EN: 1
; COMPUTE_PGM_RSRC2:TGID_Y_EN: 0
; COMPUTE_PGM_RSRC2:TGID_Z_EN: 0
; COMPUTE_PGM_RSRC2:TIDIG_COMP_CNT: 0
	.section	.text._ZN7rocprim17ROCPRIM_400000_NS6detail17trampoline_kernelINS0_14default_configENS1_25partition_config_selectorILNS1_17partition_subalgoE6EjNS0_10empty_typeEbEEZZNS1_14partition_implILS5_6ELb0ES3_mN6thrust23THRUST_200600_302600_NS6detail15normal_iteratorINSA_10device_ptrIjEEEEPS6_SG_NS0_5tupleIJNSA_16discard_iteratorINSA_11use_defaultEEES6_EEENSH_IJSG_SG_EEES6_PlJNSB_9not_fun_tINSB_14equal_to_valueIjEEEEEEE10hipError_tPvRmT3_T4_T5_T6_T7_T9_mT8_P12ihipStream_tbDpT10_ENKUlT_T0_E_clISt17integral_constantIbLb1EES1B_EEDaS16_S17_EUlS16_E_NS1_11comp_targetILNS1_3genE5ELNS1_11target_archE942ELNS1_3gpuE9ELNS1_3repE0EEENS1_30default_config_static_selectorELNS0_4arch9wavefront6targetE0EEEvT1_,"axG",@progbits,_ZN7rocprim17ROCPRIM_400000_NS6detail17trampoline_kernelINS0_14default_configENS1_25partition_config_selectorILNS1_17partition_subalgoE6EjNS0_10empty_typeEbEEZZNS1_14partition_implILS5_6ELb0ES3_mN6thrust23THRUST_200600_302600_NS6detail15normal_iteratorINSA_10device_ptrIjEEEEPS6_SG_NS0_5tupleIJNSA_16discard_iteratorINSA_11use_defaultEEES6_EEENSH_IJSG_SG_EEES6_PlJNSB_9not_fun_tINSB_14equal_to_valueIjEEEEEEE10hipError_tPvRmT3_T4_T5_T6_T7_T9_mT8_P12ihipStream_tbDpT10_ENKUlT_T0_E_clISt17integral_constantIbLb1EES1B_EEDaS16_S17_EUlS16_E_NS1_11comp_targetILNS1_3genE5ELNS1_11target_archE942ELNS1_3gpuE9ELNS1_3repE0EEENS1_30default_config_static_selectorELNS0_4arch9wavefront6targetE0EEEvT1_,comdat
	.protected	_ZN7rocprim17ROCPRIM_400000_NS6detail17trampoline_kernelINS0_14default_configENS1_25partition_config_selectorILNS1_17partition_subalgoE6EjNS0_10empty_typeEbEEZZNS1_14partition_implILS5_6ELb0ES3_mN6thrust23THRUST_200600_302600_NS6detail15normal_iteratorINSA_10device_ptrIjEEEEPS6_SG_NS0_5tupleIJNSA_16discard_iteratorINSA_11use_defaultEEES6_EEENSH_IJSG_SG_EEES6_PlJNSB_9not_fun_tINSB_14equal_to_valueIjEEEEEEE10hipError_tPvRmT3_T4_T5_T6_T7_T9_mT8_P12ihipStream_tbDpT10_ENKUlT_T0_E_clISt17integral_constantIbLb1EES1B_EEDaS16_S17_EUlS16_E_NS1_11comp_targetILNS1_3genE5ELNS1_11target_archE942ELNS1_3gpuE9ELNS1_3repE0EEENS1_30default_config_static_selectorELNS0_4arch9wavefront6targetE0EEEvT1_ ; -- Begin function _ZN7rocprim17ROCPRIM_400000_NS6detail17trampoline_kernelINS0_14default_configENS1_25partition_config_selectorILNS1_17partition_subalgoE6EjNS0_10empty_typeEbEEZZNS1_14partition_implILS5_6ELb0ES3_mN6thrust23THRUST_200600_302600_NS6detail15normal_iteratorINSA_10device_ptrIjEEEEPS6_SG_NS0_5tupleIJNSA_16discard_iteratorINSA_11use_defaultEEES6_EEENSH_IJSG_SG_EEES6_PlJNSB_9not_fun_tINSB_14equal_to_valueIjEEEEEEE10hipError_tPvRmT3_T4_T5_T6_T7_T9_mT8_P12ihipStream_tbDpT10_ENKUlT_T0_E_clISt17integral_constantIbLb1EES1B_EEDaS16_S17_EUlS16_E_NS1_11comp_targetILNS1_3genE5ELNS1_11target_archE942ELNS1_3gpuE9ELNS1_3repE0EEENS1_30default_config_static_selectorELNS0_4arch9wavefront6targetE0EEEvT1_
	.globl	_ZN7rocprim17ROCPRIM_400000_NS6detail17trampoline_kernelINS0_14default_configENS1_25partition_config_selectorILNS1_17partition_subalgoE6EjNS0_10empty_typeEbEEZZNS1_14partition_implILS5_6ELb0ES3_mN6thrust23THRUST_200600_302600_NS6detail15normal_iteratorINSA_10device_ptrIjEEEEPS6_SG_NS0_5tupleIJNSA_16discard_iteratorINSA_11use_defaultEEES6_EEENSH_IJSG_SG_EEES6_PlJNSB_9not_fun_tINSB_14equal_to_valueIjEEEEEEE10hipError_tPvRmT3_T4_T5_T6_T7_T9_mT8_P12ihipStream_tbDpT10_ENKUlT_T0_E_clISt17integral_constantIbLb1EES1B_EEDaS16_S17_EUlS16_E_NS1_11comp_targetILNS1_3genE5ELNS1_11target_archE942ELNS1_3gpuE9ELNS1_3repE0EEENS1_30default_config_static_selectorELNS0_4arch9wavefront6targetE0EEEvT1_
	.p2align	8
	.type	_ZN7rocprim17ROCPRIM_400000_NS6detail17trampoline_kernelINS0_14default_configENS1_25partition_config_selectorILNS1_17partition_subalgoE6EjNS0_10empty_typeEbEEZZNS1_14partition_implILS5_6ELb0ES3_mN6thrust23THRUST_200600_302600_NS6detail15normal_iteratorINSA_10device_ptrIjEEEEPS6_SG_NS0_5tupleIJNSA_16discard_iteratorINSA_11use_defaultEEES6_EEENSH_IJSG_SG_EEES6_PlJNSB_9not_fun_tINSB_14equal_to_valueIjEEEEEEE10hipError_tPvRmT3_T4_T5_T6_T7_T9_mT8_P12ihipStream_tbDpT10_ENKUlT_T0_E_clISt17integral_constantIbLb1EES1B_EEDaS16_S17_EUlS16_E_NS1_11comp_targetILNS1_3genE5ELNS1_11target_archE942ELNS1_3gpuE9ELNS1_3repE0EEENS1_30default_config_static_selectorELNS0_4arch9wavefront6targetE0EEEvT1_,@function
_ZN7rocprim17ROCPRIM_400000_NS6detail17trampoline_kernelINS0_14default_configENS1_25partition_config_selectorILNS1_17partition_subalgoE6EjNS0_10empty_typeEbEEZZNS1_14partition_implILS5_6ELb0ES3_mN6thrust23THRUST_200600_302600_NS6detail15normal_iteratorINSA_10device_ptrIjEEEEPS6_SG_NS0_5tupleIJNSA_16discard_iteratorINSA_11use_defaultEEES6_EEENSH_IJSG_SG_EEES6_PlJNSB_9not_fun_tINSB_14equal_to_valueIjEEEEEEE10hipError_tPvRmT3_T4_T5_T6_T7_T9_mT8_P12ihipStream_tbDpT10_ENKUlT_T0_E_clISt17integral_constantIbLb1EES1B_EEDaS16_S17_EUlS16_E_NS1_11comp_targetILNS1_3genE5ELNS1_11target_archE942ELNS1_3gpuE9ELNS1_3repE0EEENS1_30default_config_static_selectorELNS0_4arch9wavefront6targetE0EEEvT1_: ; @_ZN7rocprim17ROCPRIM_400000_NS6detail17trampoline_kernelINS0_14default_configENS1_25partition_config_selectorILNS1_17partition_subalgoE6EjNS0_10empty_typeEbEEZZNS1_14partition_implILS5_6ELb0ES3_mN6thrust23THRUST_200600_302600_NS6detail15normal_iteratorINSA_10device_ptrIjEEEEPS6_SG_NS0_5tupleIJNSA_16discard_iteratorINSA_11use_defaultEEES6_EEENSH_IJSG_SG_EEES6_PlJNSB_9not_fun_tINSB_14equal_to_valueIjEEEEEEE10hipError_tPvRmT3_T4_T5_T6_T7_T9_mT8_P12ihipStream_tbDpT10_ENKUlT_T0_E_clISt17integral_constantIbLb1EES1B_EEDaS16_S17_EUlS16_E_NS1_11comp_targetILNS1_3genE5ELNS1_11target_archE942ELNS1_3gpuE9ELNS1_3repE0EEENS1_30default_config_static_selectorELNS0_4arch9wavefront6targetE0EEEvT1_
; %bb.0:
	.section	.rodata,"a",@progbits
	.p2align	6, 0x0
	.amdhsa_kernel _ZN7rocprim17ROCPRIM_400000_NS6detail17trampoline_kernelINS0_14default_configENS1_25partition_config_selectorILNS1_17partition_subalgoE6EjNS0_10empty_typeEbEEZZNS1_14partition_implILS5_6ELb0ES3_mN6thrust23THRUST_200600_302600_NS6detail15normal_iteratorINSA_10device_ptrIjEEEEPS6_SG_NS0_5tupleIJNSA_16discard_iteratorINSA_11use_defaultEEES6_EEENSH_IJSG_SG_EEES6_PlJNSB_9not_fun_tINSB_14equal_to_valueIjEEEEEEE10hipError_tPvRmT3_T4_T5_T6_T7_T9_mT8_P12ihipStream_tbDpT10_ENKUlT_T0_E_clISt17integral_constantIbLb1EES1B_EEDaS16_S17_EUlS16_E_NS1_11comp_targetILNS1_3genE5ELNS1_11target_archE942ELNS1_3gpuE9ELNS1_3repE0EEENS1_30default_config_static_selectorELNS0_4arch9wavefront6targetE0EEEvT1_
		.amdhsa_group_segment_fixed_size 0
		.amdhsa_private_segment_fixed_size 0
		.amdhsa_kernarg_size 136
		.amdhsa_user_sgpr_count 2
		.amdhsa_user_sgpr_dispatch_ptr 0
		.amdhsa_user_sgpr_queue_ptr 0
		.amdhsa_user_sgpr_kernarg_segment_ptr 1
		.amdhsa_user_sgpr_dispatch_id 0
		.amdhsa_user_sgpr_private_segment_size 0
		.amdhsa_wavefront_size32 1
		.amdhsa_uses_dynamic_stack 0
		.amdhsa_enable_private_segment 0
		.amdhsa_system_sgpr_workgroup_id_x 1
		.amdhsa_system_sgpr_workgroup_id_y 0
		.amdhsa_system_sgpr_workgroup_id_z 0
		.amdhsa_system_sgpr_workgroup_info 0
		.amdhsa_system_vgpr_workitem_id 0
		.amdhsa_next_free_vgpr 1
		.amdhsa_next_free_sgpr 1
		.amdhsa_reserve_vcc 0
		.amdhsa_float_round_mode_32 0
		.amdhsa_float_round_mode_16_64 0
		.amdhsa_float_denorm_mode_32 3
		.amdhsa_float_denorm_mode_16_64 3
		.amdhsa_fp16_overflow 0
		.amdhsa_workgroup_processor_mode 1
		.amdhsa_memory_ordered 1
		.amdhsa_forward_progress 1
		.amdhsa_inst_pref_size 0
		.amdhsa_round_robin_scheduling 0
		.amdhsa_exception_fp_ieee_invalid_op 0
		.amdhsa_exception_fp_denorm_src 0
		.amdhsa_exception_fp_ieee_div_zero 0
		.amdhsa_exception_fp_ieee_overflow 0
		.amdhsa_exception_fp_ieee_underflow 0
		.amdhsa_exception_fp_ieee_inexact 0
		.amdhsa_exception_int_div_zero 0
	.end_amdhsa_kernel
	.section	.text._ZN7rocprim17ROCPRIM_400000_NS6detail17trampoline_kernelINS0_14default_configENS1_25partition_config_selectorILNS1_17partition_subalgoE6EjNS0_10empty_typeEbEEZZNS1_14partition_implILS5_6ELb0ES3_mN6thrust23THRUST_200600_302600_NS6detail15normal_iteratorINSA_10device_ptrIjEEEEPS6_SG_NS0_5tupleIJNSA_16discard_iteratorINSA_11use_defaultEEES6_EEENSH_IJSG_SG_EEES6_PlJNSB_9not_fun_tINSB_14equal_to_valueIjEEEEEEE10hipError_tPvRmT3_T4_T5_T6_T7_T9_mT8_P12ihipStream_tbDpT10_ENKUlT_T0_E_clISt17integral_constantIbLb1EES1B_EEDaS16_S17_EUlS16_E_NS1_11comp_targetILNS1_3genE5ELNS1_11target_archE942ELNS1_3gpuE9ELNS1_3repE0EEENS1_30default_config_static_selectorELNS0_4arch9wavefront6targetE0EEEvT1_,"axG",@progbits,_ZN7rocprim17ROCPRIM_400000_NS6detail17trampoline_kernelINS0_14default_configENS1_25partition_config_selectorILNS1_17partition_subalgoE6EjNS0_10empty_typeEbEEZZNS1_14partition_implILS5_6ELb0ES3_mN6thrust23THRUST_200600_302600_NS6detail15normal_iteratorINSA_10device_ptrIjEEEEPS6_SG_NS0_5tupleIJNSA_16discard_iteratorINSA_11use_defaultEEES6_EEENSH_IJSG_SG_EEES6_PlJNSB_9not_fun_tINSB_14equal_to_valueIjEEEEEEE10hipError_tPvRmT3_T4_T5_T6_T7_T9_mT8_P12ihipStream_tbDpT10_ENKUlT_T0_E_clISt17integral_constantIbLb1EES1B_EEDaS16_S17_EUlS16_E_NS1_11comp_targetILNS1_3genE5ELNS1_11target_archE942ELNS1_3gpuE9ELNS1_3repE0EEENS1_30default_config_static_selectorELNS0_4arch9wavefront6targetE0EEEvT1_,comdat
.Lfunc_end1670:
	.size	_ZN7rocprim17ROCPRIM_400000_NS6detail17trampoline_kernelINS0_14default_configENS1_25partition_config_selectorILNS1_17partition_subalgoE6EjNS0_10empty_typeEbEEZZNS1_14partition_implILS5_6ELb0ES3_mN6thrust23THRUST_200600_302600_NS6detail15normal_iteratorINSA_10device_ptrIjEEEEPS6_SG_NS0_5tupleIJNSA_16discard_iteratorINSA_11use_defaultEEES6_EEENSH_IJSG_SG_EEES6_PlJNSB_9not_fun_tINSB_14equal_to_valueIjEEEEEEE10hipError_tPvRmT3_T4_T5_T6_T7_T9_mT8_P12ihipStream_tbDpT10_ENKUlT_T0_E_clISt17integral_constantIbLb1EES1B_EEDaS16_S17_EUlS16_E_NS1_11comp_targetILNS1_3genE5ELNS1_11target_archE942ELNS1_3gpuE9ELNS1_3repE0EEENS1_30default_config_static_selectorELNS0_4arch9wavefront6targetE0EEEvT1_, .Lfunc_end1670-_ZN7rocprim17ROCPRIM_400000_NS6detail17trampoline_kernelINS0_14default_configENS1_25partition_config_selectorILNS1_17partition_subalgoE6EjNS0_10empty_typeEbEEZZNS1_14partition_implILS5_6ELb0ES3_mN6thrust23THRUST_200600_302600_NS6detail15normal_iteratorINSA_10device_ptrIjEEEEPS6_SG_NS0_5tupleIJNSA_16discard_iteratorINSA_11use_defaultEEES6_EEENSH_IJSG_SG_EEES6_PlJNSB_9not_fun_tINSB_14equal_to_valueIjEEEEEEE10hipError_tPvRmT3_T4_T5_T6_T7_T9_mT8_P12ihipStream_tbDpT10_ENKUlT_T0_E_clISt17integral_constantIbLb1EES1B_EEDaS16_S17_EUlS16_E_NS1_11comp_targetILNS1_3genE5ELNS1_11target_archE942ELNS1_3gpuE9ELNS1_3repE0EEENS1_30default_config_static_selectorELNS0_4arch9wavefront6targetE0EEEvT1_
                                        ; -- End function
	.set _ZN7rocprim17ROCPRIM_400000_NS6detail17trampoline_kernelINS0_14default_configENS1_25partition_config_selectorILNS1_17partition_subalgoE6EjNS0_10empty_typeEbEEZZNS1_14partition_implILS5_6ELb0ES3_mN6thrust23THRUST_200600_302600_NS6detail15normal_iteratorINSA_10device_ptrIjEEEEPS6_SG_NS0_5tupleIJNSA_16discard_iteratorINSA_11use_defaultEEES6_EEENSH_IJSG_SG_EEES6_PlJNSB_9not_fun_tINSB_14equal_to_valueIjEEEEEEE10hipError_tPvRmT3_T4_T5_T6_T7_T9_mT8_P12ihipStream_tbDpT10_ENKUlT_T0_E_clISt17integral_constantIbLb1EES1B_EEDaS16_S17_EUlS16_E_NS1_11comp_targetILNS1_3genE5ELNS1_11target_archE942ELNS1_3gpuE9ELNS1_3repE0EEENS1_30default_config_static_selectorELNS0_4arch9wavefront6targetE0EEEvT1_.num_vgpr, 0
	.set _ZN7rocprim17ROCPRIM_400000_NS6detail17trampoline_kernelINS0_14default_configENS1_25partition_config_selectorILNS1_17partition_subalgoE6EjNS0_10empty_typeEbEEZZNS1_14partition_implILS5_6ELb0ES3_mN6thrust23THRUST_200600_302600_NS6detail15normal_iteratorINSA_10device_ptrIjEEEEPS6_SG_NS0_5tupleIJNSA_16discard_iteratorINSA_11use_defaultEEES6_EEENSH_IJSG_SG_EEES6_PlJNSB_9not_fun_tINSB_14equal_to_valueIjEEEEEEE10hipError_tPvRmT3_T4_T5_T6_T7_T9_mT8_P12ihipStream_tbDpT10_ENKUlT_T0_E_clISt17integral_constantIbLb1EES1B_EEDaS16_S17_EUlS16_E_NS1_11comp_targetILNS1_3genE5ELNS1_11target_archE942ELNS1_3gpuE9ELNS1_3repE0EEENS1_30default_config_static_selectorELNS0_4arch9wavefront6targetE0EEEvT1_.num_agpr, 0
	.set _ZN7rocprim17ROCPRIM_400000_NS6detail17trampoline_kernelINS0_14default_configENS1_25partition_config_selectorILNS1_17partition_subalgoE6EjNS0_10empty_typeEbEEZZNS1_14partition_implILS5_6ELb0ES3_mN6thrust23THRUST_200600_302600_NS6detail15normal_iteratorINSA_10device_ptrIjEEEEPS6_SG_NS0_5tupleIJNSA_16discard_iteratorINSA_11use_defaultEEES6_EEENSH_IJSG_SG_EEES6_PlJNSB_9not_fun_tINSB_14equal_to_valueIjEEEEEEE10hipError_tPvRmT3_T4_T5_T6_T7_T9_mT8_P12ihipStream_tbDpT10_ENKUlT_T0_E_clISt17integral_constantIbLb1EES1B_EEDaS16_S17_EUlS16_E_NS1_11comp_targetILNS1_3genE5ELNS1_11target_archE942ELNS1_3gpuE9ELNS1_3repE0EEENS1_30default_config_static_selectorELNS0_4arch9wavefront6targetE0EEEvT1_.numbered_sgpr, 0
	.set _ZN7rocprim17ROCPRIM_400000_NS6detail17trampoline_kernelINS0_14default_configENS1_25partition_config_selectorILNS1_17partition_subalgoE6EjNS0_10empty_typeEbEEZZNS1_14partition_implILS5_6ELb0ES3_mN6thrust23THRUST_200600_302600_NS6detail15normal_iteratorINSA_10device_ptrIjEEEEPS6_SG_NS0_5tupleIJNSA_16discard_iteratorINSA_11use_defaultEEES6_EEENSH_IJSG_SG_EEES6_PlJNSB_9not_fun_tINSB_14equal_to_valueIjEEEEEEE10hipError_tPvRmT3_T4_T5_T6_T7_T9_mT8_P12ihipStream_tbDpT10_ENKUlT_T0_E_clISt17integral_constantIbLb1EES1B_EEDaS16_S17_EUlS16_E_NS1_11comp_targetILNS1_3genE5ELNS1_11target_archE942ELNS1_3gpuE9ELNS1_3repE0EEENS1_30default_config_static_selectorELNS0_4arch9wavefront6targetE0EEEvT1_.num_named_barrier, 0
	.set _ZN7rocprim17ROCPRIM_400000_NS6detail17trampoline_kernelINS0_14default_configENS1_25partition_config_selectorILNS1_17partition_subalgoE6EjNS0_10empty_typeEbEEZZNS1_14partition_implILS5_6ELb0ES3_mN6thrust23THRUST_200600_302600_NS6detail15normal_iteratorINSA_10device_ptrIjEEEEPS6_SG_NS0_5tupleIJNSA_16discard_iteratorINSA_11use_defaultEEES6_EEENSH_IJSG_SG_EEES6_PlJNSB_9not_fun_tINSB_14equal_to_valueIjEEEEEEE10hipError_tPvRmT3_T4_T5_T6_T7_T9_mT8_P12ihipStream_tbDpT10_ENKUlT_T0_E_clISt17integral_constantIbLb1EES1B_EEDaS16_S17_EUlS16_E_NS1_11comp_targetILNS1_3genE5ELNS1_11target_archE942ELNS1_3gpuE9ELNS1_3repE0EEENS1_30default_config_static_selectorELNS0_4arch9wavefront6targetE0EEEvT1_.private_seg_size, 0
	.set _ZN7rocprim17ROCPRIM_400000_NS6detail17trampoline_kernelINS0_14default_configENS1_25partition_config_selectorILNS1_17partition_subalgoE6EjNS0_10empty_typeEbEEZZNS1_14partition_implILS5_6ELb0ES3_mN6thrust23THRUST_200600_302600_NS6detail15normal_iteratorINSA_10device_ptrIjEEEEPS6_SG_NS0_5tupleIJNSA_16discard_iteratorINSA_11use_defaultEEES6_EEENSH_IJSG_SG_EEES6_PlJNSB_9not_fun_tINSB_14equal_to_valueIjEEEEEEE10hipError_tPvRmT3_T4_T5_T6_T7_T9_mT8_P12ihipStream_tbDpT10_ENKUlT_T0_E_clISt17integral_constantIbLb1EES1B_EEDaS16_S17_EUlS16_E_NS1_11comp_targetILNS1_3genE5ELNS1_11target_archE942ELNS1_3gpuE9ELNS1_3repE0EEENS1_30default_config_static_selectorELNS0_4arch9wavefront6targetE0EEEvT1_.uses_vcc, 0
	.set _ZN7rocprim17ROCPRIM_400000_NS6detail17trampoline_kernelINS0_14default_configENS1_25partition_config_selectorILNS1_17partition_subalgoE6EjNS0_10empty_typeEbEEZZNS1_14partition_implILS5_6ELb0ES3_mN6thrust23THRUST_200600_302600_NS6detail15normal_iteratorINSA_10device_ptrIjEEEEPS6_SG_NS0_5tupleIJNSA_16discard_iteratorINSA_11use_defaultEEES6_EEENSH_IJSG_SG_EEES6_PlJNSB_9not_fun_tINSB_14equal_to_valueIjEEEEEEE10hipError_tPvRmT3_T4_T5_T6_T7_T9_mT8_P12ihipStream_tbDpT10_ENKUlT_T0_E_clISt17integral_constantIbLb1EES1B_EEDaS16_S17_EUlS16_E_NS1_11comp_targetILNS1_3genE5ELNS1_11target_archE942ELNS1_3gpuE9ELNS1_3repE0EEENS1_30default_config_static_selectorELNS0_4arch9wavefront6targetE0EEEvT1_.uses_flat_scratch, 0
	.set _ZN7rocprim17ROCPRIM_400000_NS6detail17trampoline_kernelINS0_14default_configENS1_25partition_config_selectorILNS1_17partition_subalgoE6EjNS0_10empty_typeEbEEZZNS1_14partition_implILS5_6ELb0ES3_mN6thrust23THRUST_200600_302600_NS6detail15normal_iteratorINSA_10device_ptrIjEEEEPS6_SG_NS0_5tupleIJNSA_16discard_iteratorINSA_11use_defaultEEES6_EEENSH_IJSG_SG_EEES6_PlJNSB_9not_fun_tINSB_14equal_to_valueIjEEEEEEE10hipError_tPvRmT3_T4_T5_T6_T7_T9_mT8_P12ihipStream_tbDpT10_ENKUlT_T0_E_clISt17integral_constantIbLb1EES1B_EEDaS16_S17_EUlS16_E_NS1_11comp_targetILNS1_3genE5ELNS1_11target_archE942ELNS1_3gpuE9ELNS1_3repE0EEENS1_30default_config_static_selectorELNS0_4arch9wavefront6targetE0EEEvT1_.has_dyn_sized_stack, 0
	.set _ZN7rocprim17ROCPRIM_400000_NS6detail17trampoline_kernelINS0_14default_configENS1_25partition_config_selectorILNS1_17partition_subalgoE6EjNS0_10empty_typeEbEEZZNS1_14partition_implILS5_6ELb0ES3_mN6thrust23THRUST_200600_302600_NS6detail15normal_iteratorINSA_10device_ptrIjEEEEPS6_SG_NS0_5tupleIJNSA_16discard_iteratorINSA_11use_defaultEEES6_EEENSH_IJSG_SG_EEES6_PlJNSB_9not_fun_tINSB_14equal_to_valueIjEEEEEEE10hipError_tPvRmT3_T4_T5_T6_T7_T9_mT8_P12ihipStream_tbDpT10_ENKUlT_T0_E_clISt17integral_constantIbLb1EES1B_EEDaS16_S17_EUlS16_E_NS1_11comp_targetILNS1_3genE5ELNS1_11target_archE942ELNS1_3gpuE9ELNS1_3repE0EEENS1_30default_config_static_selectorELNS0_4arch9wavefront6targetE0EEEvT1_.has_recursion, 0
	.set _ZN7rocprim17ROCPRIM_400000_NS6detail17trampoline_kernelINS0_14default_configENS1_25partition_config_selectorILNS1_17partition_subalgoE6EjNS0_10empty_typeEbEEZZNS1_14partition_implILS5_6ELb0ES3_mN6thrust23THRUST_200600_302600_NS6detail15normal_iteratorINSA_10device_ptrIjEEEEPS6_SG_NS0_5tupleIJNSA_16discard_iteratorINSA_11use_defaultEEES6_EEENSH_IJSG_SG_EEES6_PlJNSB_9not_fun_tINSB_14equal_to_valueIjEEEEEEE10hipError_tPvRmT3_T4_T5_T6_T7_T9_mT8_P12ihipStream_tbDpT10_ENKUlT_T0_E_clISt17integral_constantIbLb1EES1B_EEDaS16_S17_EUlS16_E_NS1_11comp_targetILNS1_3genE5ELNS1_11target_archE942ELNS1_3gpuE9ELNS1_3repE0EEENS1_30default_config_static_selectorELNS0_4arch9wavefront6targetE0EEEvT1_.has_indirect_call, 0
	.section	.AMDGPU.csdata,"",@progbits
; Kernel info:
; codeLenInByte = 0
; TotalNumSgprs: 0
; NumVgprs: 0
; ScratchSize: 0
; MemoryBound: 0
; FloatMode: 240
; IeeeMode: 1
; LDSByteSize: 0 bytes/workgroup (compile time only)
; SGPRBlocks: 0
; VGPRBlocks: 0
; NumSGPRsForWavesPerEU: 1
; NumVGPRsForWavesPerEU: 1
; Occupancy: 16
; WaveLimiterHint : 0
; COMPUTE_PGM_RSRC2:SCRATCH_EN: 0
; COMPUTE_PGM_RSRC2:USER_SGPR: 2
; COMPUTE_PGM_RSRC2:TRAP_HANDLER: 0
; COMPUTE_PGM_RSRC2:TGID_X_EN: 1
; COMPUTE_PGM_RSRC2:TGID_Y_EN: 0
; COMPUTE_PGM_RSRC2:TGID_Z_EN: 0
; COMPUTE_PGM_RSRC2:TIDIG_COMP_CNT: 0
	.section	.text._ZN7rocprim17ROCPRIM_400000_NS6detail17trampoline_kernelINS0_14default_configENS1_25partition_config_selectorILNS1_17partition_subalgoE6EjNS0_10empty_typeEbEEZZNS1_14partition_implILS5_6ELb0ES3_mN6thrust23THRUST_200600_302600_NS6detail15normal_iteratorINSA_10device_ptrIjEEEEPS6_SG_NS0_5tupleIJNSA_16discard_iteratorINSA_11use_defaultEEES6_EEENSH_IJSG_SG_EEES6_PlJNSB_9not_fun_tINSB_14equal_to_valueIjEEEEEEE10hipError_tPvRmT3_T4_T5_T6_T7_T9_mT8_P12ihipStream_tbDpT10_ENKUlT_T0_E_clISt17integral_constantIbLb1EES1B_EEDaS16_S17_EUlS16_E_NS1_11comp_targetILNS1_3genE4ELNS1_11target_archE910ELNS1_3gpuE8ELNS1_3repE0EEENS1_30default_config_static_selectorELNS0_4arch9wavefront6targetE0EEEvT1_,"axG",@progbits,_ZN7rocprim17ROCPRIM_400000_NS6detail17trampoline_kernelINS0_14default_configENS1_25partition_config_selectorILNS1_17partition_subalgoE6EjNS0_10empty_typeEbEEZZNS1_14partition_implILS5_6ELb0ES3_mN6thrust23THRUST_200600_302600_NS6detail15normal_iteratorINSA_10device_ptrIjEEEEPS6_SG_NS0_5tupleIJNSA_16discard_iteratorINSA_11use_defaultEEES6_EEENSH_IJSG_SG_EEES6_PlJNSB_9not_fun_tINSB_14equal_to_valueIjEEEEEEE10hipError_tPvRmT3_T4_T5_T6_T7_T9_mT8_P12ihipStream_tbDpT10_ENKUlT_T0_E_clISt17integral_constantIbLb1EES1B_EEDaS16_S17_EUlS16_E_NS1_11comp_targetILNS1_3genE4ELNS1_11target_archE910ELNS1_3gpuE8ELNS1_3repE0EEENS1_30default_config_static_selectorELNS0_4arch9wavefront6targetE0EEEvT1_,comdat
	.protected	_ZN7rocprim17ROCPRIM_400000_NS6detail17trampoline_kernelINS0_14default_configENS1_25partition_config_selectorILNS1_17partition_subalgoE6EjNS0_10empty_typeEbEEZZNS1_14partition_implILS5_6ELb0ES3_mN6thrust23THRUST_200600_302600_NS6detail15normal_iteratorINSA_10device_ptrIjEEEEPS6_SG_NS0_5tupleIJNSA_16discard_iteratorINSA_11use_defaultEEES6_EEENSH_IJSG_SG_EEES6_PlJNSB_9not_fun_tINSB_14equal_to_valueIjEEEEEEE10hipError_tPvRmT3_T4_T5_T6_T7_T9_mT8_P12ihipStream_tbDpT10_ENKUlT_T0_E_clISt17integral_constantIbLb1EES1B_EEDaS16_S17_EUlS16_E_NS1_11comp_targetILNS1_3genE4ELNS1_11target_archE910ELNS1_3gpuE8ELNS1_3repE0EEENS1_30default_config_static_selectorELNS0_4arch9wavefront6targetE0EEEvT1_ ; -- Begin function _ZN7rocprim17ROCPRIM_400000_NS6detail17trampoline_kernelINS0_14default_configENS1_25partition_config_selectorILNS1_17partition_subalgoE6EjNS0_10empty_typeEbEEZZNS1_14partition_implILS5_6ELb0ES3_mN6thrust23THRUST_200600_302600_NS6detail15normal_iteratorINSA_10device_ptrIjEEEEPS6_SG_NS0_5tupleIJNSA_16discard_iteratorINSA_11use_defaultEEES6_EEENSH_IJSG_SG_EEES6_PlJNSB_9not_fun_tINSB_14equal_to_valueIjEEEEEEE10hipError_tPvRmT3_T4_T5_T6_T7_T9_mT8_P12ihipStream_tbDpT10_ENKUlT_T0_E_clISt17integral_constantIbLb1EES1B_EEDaS16_S17_EUlS16_E_NS1_11comp_targetILNS1_3genE4ELNS1_11target_archE910ELNS1_3gpuE8ELNS1_3repE0EEENS1_30default_config_static_selectorELNS0_4arch9wavefront6targetE0EEEvT1_
	.globl	_ZN7rocprim17ROCPRIM_400000_NS6detail17trampoline_kernelINS0_14default_configENS1_25partition_config_selectorILNS1_17partition_subalgoE6EjNS0_10empty_typeEbEEZZNS1_14partition_implILS5_6ELb0ES3_mN6thrust23THRUST_200600_302600_NS6detail15normal_iteratorINSA_10device_ptrIjEEEEPS6_SG_NS0_5tupleIJNSA_16discard_iteratorINSA_11use_defaultEEES6_EEENSH_IJSG_SG_EEES6_PlJNSB_9not_fun_tINSB_14equal_to_valueIjEEEEEEE10hipError_tPvRmT3_T4_T5_T6_T7_T9_mT8_P12ihipStream_tbDpT10_ENKUlT_T0_E_clISt17integral_constantIbLb1EES1B_EEDaS16_S17_EUlS16_E_NS1_11comp_targetILNS1_3genE4ELNS1_11target_archE910ELNS1_3gpuE8ELNS1_3repE0EEENS1_30default_config_static_selectorELNS0_4arch9wavefront6targetE0EEEvT1_
	.p2align	8
	.type	_ZN7rocprim17ROCPRIM_400000_NS6detail17trampoline_kernelINS0_14default_configENS1_25partition_config_selectorILNS1_17partition_subalgoE6EjNS0_10empty_typeEbEEZZNS1_14partition_implILS5_6ELb0ES3_mN6thrust23THRUST_200600_302600_NS6detail15normal_iteratorINSA_10device_ptrIjEEEEPS6_SG_NS0_5tupleIJNSA_16discard_iteratorINSA_11use_defaultEEES6_EEENSH_IJSG_SG_EEES6_PlJNSB_9not_fun_tINSB_14equal_to_valueIjEEEEEEE10hipError_tPvRmT3_T4_T5_T6_T7_T9_mT8_P12ihipStream_tbDpT10_ENKUlT_T0_E_clISt17integral_constantIbLb1EES1B_EEDaS16_S17_EUlS16_E_NS1_11comp_targetILNS1_3genE4ELNS1_11target_archE910ELNS1_3gpuE8ELNS1_3repE0EEENS1_30default_config_static_selectorELNS0_4arch9wavefront6targetE0EEEvT1_,@function
_ZN7rocprim17ROCPRIM_400000_NS6detail17trampoline_kernelINS0_14default_configENS1_25partition_config_selectorILNS1_17partition_subalgoE6EjNS0_10empty_typeEbEEZZNS1_14partition_implILS5_6ELb0ES3_mN6thrust23THRUST_200600_302600_NS6detail15normal_iteratorINSA_10device_ptrIjEEEEPS6_SG_NS0_5tupleIJNSA_16discard_iteratorINSA_11use_defaultEEES6_EEENSH_IJSG_SG_EEES6_PlJNSB_9not_fun_tINSB_14equal_to_valueIjEEEEEEE10hipError_tPvRmT3_T4_T5_T6_T7_T9_mT8_P12ihipStream_tbDpT10_ENKUlT_T0_E_clISt17integral_constantIbLb1EES1B_EEDaS16_S17_EUlS16_E_NS1_11comp_targetILNS1_3genE4ELNS1_11target_archE910ELNS1_3gpuE8ELNS1_3repE0EEENS1_30default_config_static_selectorELNS0_4arch9wavefront6targetE0EEEvT1_: ; @_ZN7rocprim17ROCPRIM_400000_NS6detail17trampoline_kernelINS0_14default_configENS1_25partition_config_selectorILNS1_17partition_subalgoE6EjNS0_10empty_typeEbEEZZNS1_14partition_implILS5_6ELb0ES3_mN6thrust23THRUST_200600_302600_NS6detail15normal_iteratorINSA_10device_ptrIjEEEEPS6_SG_NS0_5tupleIJNSA_16discard_iteratorINSA_11use_defaultEEES6_EEENSH_IJSG_SG_EEES6_PlJNSB_9not_fun_tINSB_14equal_to_valueIjEEEEEEE10hipError_tPvRmT3_T4_T5_T6_T7_T9_mT8_P12ihipStream_tbDpT10_ENKUlT_T0_E_clISt17integral_constantIbLb1EES1B_EEDaS16_S17_EUlS16_E_NS1_11comp_targetILNS1_3genE4ELNS1_11target_archE910ELNS1_3gpuE8ELNS1_3repE0EEENS1_30default_config_static_selectorELNS0_4arch9wavefront6targetE0EEEvT1_
; %bb.0:
	.section	.rodata,"a",@progbits
	.p2align	6, 0x0
	.amdhsa_kernel _ZN7rocprim17ROCPRIM_400000_NS6detail17trampoline_kernelINS0_14default_configENS1_25partition_config_selectorILNS1_17partition_subalgoE6EjNS0_10empty_typeEbEEZZNS1_14partition_implILS5_6ELb0ES3_mN6thrust23THRUST_200600_302600_NS6detail15normal_iteratorINSA_10device_ptrIjEEEEPS6_SG_NS0_5tupleIJNSA_16discard_iteratorINSA_11use_defaultEEES6_EEENSH_IJSG_SG_EEES6_PlJNSB_9not_fun_tINSB_14equal_to_valueIjEEEEEEE10hipError_tPvRmT3_T4_T5_T6_T7_T9_mT8_P12ihipStream_tbDpT10_ENKUlT_T0_E_clISt17integral_constantIbLb1EES1B_EEDaS16_S17_EUlS16_E_NS1_11comp_targetILNS1_3genE4ELNS1_11target_archE910ELNS1_3gpuE8ELNS1_3repE0EEENS1_30default_config_static_selectorELNS0_4arch9wavefront6targetE0EEEvT1_
		.amdhsa_group_segment_fixed_size 0
		.amdhsa_private_segment_fixed_size 0
		.amdhsa_kernarg_size 136
		.amdhsa_user_sgpr_count 2
		.amdhsa_user_sgpr_dispatch_ptr 0
		.amdhsa_user_sgpr_queue_ptr 0
		.amdhsa_user_sgpr_kernarg_segment_ptr 1
		.amdhsa_user_sgpr_dispatch_id 0
		.amdhsa_user_sgpr_private_segment_size 0
		.amdhsa_wavefront_size32 1
		.amdhsa_uses_dynamic_stack 0
		.amdhsa_enable_private_segment 0
		.amdhsa_system_sgpr_workgroup_id_x 1
		.amdhsa_system_sgpr_workgroup_id_y 0
		.amdhsa_system_sgpr_workgroup_id_z 0
		.amdhsa_system_sgpr_workgroup_info 0
		.amdhsa_system_vgpr_workitem_id 0
		.amdhsa_next_free_vgpr 1
		.amdhsa_next_free_sgpr 1
		.amdhsa_reserve_vcc 0
		.amdhsa_float_round_mode_32 0
		.amdhsa_float_round_mode_16_64 0
		.amdhsa_float_denorm_mode_32 3
		.amdhsa_float_denorm_mode_16_64 3
		.amdhsa_fp16_overflow 0
		.amdhsa_workgroup_processor_mode 1
		.amdhsa_memory_ordered 1
		.amdhsa_forward_progress 1
		.amdhsa_inst_pref_size 0
		.amdhsa_round_robin_scheduling 0
		.amdhsa_exception_fp_ieee_invalid_op 0
		.amdhsa_exception_fp_denorm_src 0
		.amdhsa_exception_fp_ieee_div_zero 0
		.amdhsa_exception_fp_ieee_overflow 0
		.amdhsa_exception_fp_ieee_underflow 0
		.amdhsa_exception_fp_ieee_inexact 0
		.amdhsa_exception_int_div_zero 0
	.end_amdhsa_kernel
	.section	.text._ZN7rocprim17ROCPRIM_400000_NS6detail17trampoline_kernelINS0_14default_configENS1_25partition_config_selectorILNS1_17partition_subalgoE6EjNS0_10empty_typeEbEEZZNS1_14partition_implILS5_6ELb0ES3_mN6thrust23THRUST_200600_302600_NS6detail15normal_iteratorINSA_10device_ptrIjEEEEPS6_SG_NS0_5tupleIJNSA_16discard_iteratorINSA_11use_defaultEEES6_EEENSH_IJSG_SG_EEES6_PlJNSB_9not_fun_tINSB_14equal_to_valueIjEEEEEEE10hipError_tPvRmT3_T4_T5_T6_T7_T9_mT8_P12ihipStream_tbDpT10_ENKUlT_T0_E_clISt17integral_constantIbLb1EES1B_EEDaS16_S17_EUlS16_E_NS1_11comp_targetILNS1_3genE4ELNS1_11target_archE910ELNS1_3gpuE8ELNS1_3repE0EEENS1_30default_config_static_selectorELNS0_4arch9wavefront6targetE0EEEvT1_,"axG",@progbits,_ZN7rocprim17ROCPRIM_400000_NS6detail17trampoline_kernelINS0_14default_configENS1_25partition_config_selectorILNS1_17partition_subalgoE6EjNS0_10empty_typeEbEEZZNS1_14partition_implILS5_6ELb0ES3_mN6thrust23THRUST_200600_302600_NS6detail15normal_iteratorINSA_10device_ptrIjEEEEPS6_SG_NS0_5tupleIJNSA_16discard_iteratorINSA_11use_defaultEEES6_EEENSH_IJSG_SG_EEES6_PlJNSB_9not_fun_tINSB_14equal_to_valueIjEEEEEEE10hipError_tPvRmT3_T4_T5_T6_T7_T9_mT8_P12ihipStream_tbDpT10_ENKUlT_T0_E_clISt17integral_constantIbLb1EES1B_EEDaS16_S17_EUlS16_E_NS1_11comp_targetILNS1_3genE4ELNS1_11target_archE910ELNS1_3gpuE8ELNS1_3repE0EEENS1_30default_config_static_selectorELNS0_4arch9wavefront6targetE0EEEvT1_,comdat
.Lfunc_end1671:
	.size	_ZN7rocprim17ROCPRIM_400000_NS6detail17trampoline_kernelINS0_14default_configENS1_25partition_config_selectorILNS1_17partition_subalgoE6EjNS0_10empty_typeEbEEZZNS1_14partition_implILS5_6ELb0ES3_mN6thrust23THRUST_200600_302600_NS6detail15normal_iteratorINSA_10device_ptrIjEEEEPS6_SG_NS0_5tupleIJNSA_16discard_iteratorINSA_11use_defaultEEES6_EEENSH_IJSG_SG_EEES6_PlJNSB_9not_fun_tINSB_14equal_to_valueIjEEEEEEE10hipError_tPvRmT3_T4_T5_T6_T7_T9_mT8_P12ihipStream_tbDpT10_ENKUlT_T0_E_clISt17integral_constantIbLb1EES1B_EEDaS16_S17_EUlS16_E_NS1_11comp_targetILNS1_3genE4ELNS1_11target_archE910ELNS1_3gpuE8ELNS1_3repE0EEENS1_30default_config_static_selectorELNS0_4arch9wavefront6targetE0EEEvT1_, .Lfunc_end1671-_ZN7rocprim17ROCPRIM_400000_NS6detail17trampoline_kernelINS0_14default_configENS1_25partition_config_selectorILNS1_17partition_subalgoE6EjNS0_10empty_typeEbEEZZNS1_14partition_implILS5_6ELb0ES3_mN6thrust23THRUST_200600_302600_NS6detail15normal_iteratorINSA_10device_ptrIjEEEEPS6_SG_NS0_5tupleIJNSA_16discard_iteratorINSA_11use_defaultEEES6_EEENSH_IJSG_SG_EEES6_PlJNSB_9not_fun_tINSB_14equal_to_valueIjEEEEEEE10hipError_tPvRmT3_T4_T5_T6_T7_T9_mT8_P12ihipStream_tbDpT10_ENKUlT_T0_E_clISt17integral_constantIbLb1EES1B_EEDaS16_S17_EUlS16_E_NS1_11comp_targetILNS1_3genE4ELNS1_11target_archE910ELNS1_3gpuE8ELNS1_3repE0EEENS1_30default_config_static_selectorELNS0_4arch9wavefront6targetE0EEEvT1_
                                        ; -- End function
	.set _ZN7rocprim17ROCPRIM_400000_NS6detail17trampoline_kernelINS0_14default_configENS1_25partition_config_selectorILNS1_17partition_subalgoE6EjNS0_10empty_typeEbEEZZNS1_14partition_implILS5_6ELb0ES3_mN6thrust23THRUST_200600_302600_NS6detail15normal_iteratorINSA_10device_ptrIjEEEEPS6_SG_NS0_5tupleIJNSA_16discard_iteratorINSA_11use_defaultEEES6_EEENSH_IJSG_SG_EEES6_PlJNSB_9not_fun_tINSB_14equal_to_valueIjEEEEEEE10hipError_tPvRmT3_T4_T5_T6_T7_T9_mT8_P12ihipStream_tbDpT10_ENKUlT_T0_E_clISt17integral_constantIbLb1EES1B_EEDaS16_S17_EUlS16_E_NS1_11comp_targetILNS1_3genE4ELNS1_11target_archE910ELNS1_3gpuE8ELNS1_3repE0EEENS1_30default_config_static_selectorELNS0_4arch9wavefront6targetE0EEEvT1_.num_vgpr, 0
	.set _ZN7rocprim17ROCPRIM_400000_NS6detail17trampoline_kernelINS0_14default_configENS1_25partition_config_selectorILNS1_17partition_subalgoE6EjNS0_10empty_typeEbEEZZNS1_14partition_implILS5_6ELb0ES3_mN6thrust23THRUST_200600_302600_NS6detail15normal_iteratorINSA_10device_ptrIjEEEEPS6_SG_NS0_5tupleIJNSA_16discard_iteratorINSA_11use_defaultEEES6_EEENSH_IJSG_SG_EEES6_PlJNSB_9not_fun_tINSB_14equal_to_valueIjEEEEEEE10hipError_tPvRmT3_T4_T5_T6_T7_T9_mT8_P12ihipStream_tbDpT10_ENKUlT_T0_E_clISt17integral_constantIbLb1EES1B_EEDaS16_S17_EUlS16_E_NS1_11comp_targetILNS1_3genE4ELNS1_11target_archE910ELNS1_3gpuE8ELNS1_3repE0EEENS1_30default_config_static_selectorELNS0_4arch9wavefront6targetE0EEEvT1_.num_agpr, 0
	.set _ZN7rocprim17ROCPRIM_400000_NS6detail17trampoline_kernelINS0_14default_configENS1_25partition_config_selectorILNS1_17partition_subalgoE6EjNS0_10empty_typeEbEEZZNS1_14partition_implILS5_6ELb0ES3_mN6thrust23THRUST_200600_302600_NS6detail15normal_iteratorINSA_10device_ptrIjEEEEPS6_SG_NS0_5tupleIJNSA_16discard_iteratorINSA_11use_defaultEEES6_EEENSH_IJSG_SG_EEES6_PlJNSB_9not_fun_tINSB_14equal_to_valueIjEEEEEEE10hipError_tPvRmT3_T4_T5_T6_T7_T9_mT8_P12ihipStream_tbDpT10_ENKUlT_T0_E_clISt17integral_constantIbLb1EES1B_EEDaS16_S17_EUlS16_E_NS1_11comp_targetILNS1_3genE4ELNS1_11target_archE910ELNS1_3gpuE8ELNS1_3repE0EEENS1_30default_config_static_selectorELNS0_4arch9wavefront6targetE0EEEvT1_.numbered_sgpr, 0
	.set _ZN7rocprim17ROCPRIM_400000_NS6detail17trampoline_kernelINS0_14default_configENS1_25partition_config_selectorILNS1_17partition_subalgoE6EjNS0_10empty_typeEbEEZZNS1_14partition_implILS5_6ELb0ES3_mN6thrust23THRUST_200600_302600_NS6detail15normal_iteratorINSA_10device_ptrIjEEEEPS6_SG_NS0_5tupleIJNSA_16discard_iteratorINSA_11use_defaultEEES6_EEENSH_IJSG_SG_EEES6_PlJNSB_9not_fun_tINSB_14equal_to_valueIjEEEEEEE10hipError_tPvRmT3_T4_T5_T6_T7_T9_mT8_P12ihipStream_tbDpT10_ENKUlT_T0_E_clISt17integral_constantIbLb1EES1B_EEDaS16_S17_EUlS16_E_NS1_11comp_targetILNS1_3genE4ELNS1_11target_archE910ELNS1_3gpuE8ELNS1_3repE0EEENS1_30default_config_static_selectorELNS0_4arch9wavefront6targetE0EEEvT1_.num_named_barrier, 0
	.set _ZN7rocprim17ROCPRIM_400000_NS6detail17trampoline_kernelINS0_14default_configENS1_25partition_config_selectorILNS1_17partition_subalgoE6EjNS0_10empty_typeEbEEZZNS1_14partition_implILS5_6ELb0ES3_mN6thrust23THRUST_200600_302600_NS6detail15normal_iteratorINSA_10device_ptrIjEEEEPS6_SG_NS0_5tupleIJNSA_16discard_iteratorINSA_11use_defaultEEES6_EEENSH_IJSG_SG_EEES6_PlJNSB_9not_fun_tINSB_14equal_to_valueIjEEEEEEE10hipError_tPvRmT3_T4_T5_T6_T7_T9_mT8_P12ihipStream_tbDpT10_ENKUlT_T0_E_clISt17integral_constantIbLb1EES1B_EEDaS16_S17_EUlS16_E_NS1_11comp_targetILNS1_3genE4ELNS1_11target_archE910ELNS1_3gpuE8ELNS1_3repE0EEENS1_30default_config_static_selectorELNS0_4arch9wavefront6targetE0EEEvT1_.private_seg_size, 0
	.set _ZN7rocprim17ROCPRIM_400000_NS6detail17trampoline_kernelINS0_14default_configENS1_25partition_config_selectorILNS1_17partition_subalgoE6EjNS0_10empty_typeEbEEZZNS1_14partition_implILS5_6ELb0ES3_mN6thrust23THRUST_200600_302600_NS6detail15normal_iteratorINSA_10device_ptrIjEEEEPS6_SG_NS0_5tupleIJNSA_16discard_iteratorINSA_11use_defaultEEES6_EEENSH_IJSG_SG_EEES6_PlJNSB_9not_fun_tINSB_14equal_to_valueIjEEEEEEE10hipError_tPvRmT3_T4_T5_T6_T7_T9_mT8_P12ihipStream_tbDpT10_ENKUlT_T0_E_clISt17integral_constantIbLb1EES1B_EEDaS16_S17_EUlS16_E_NS1_11comp_targetILNS1_3genE4ELNS1_11target_archE910ELNS1_3gpuE8ELNS1_3repE0EEENS1_30default_config_static_selectorELNS0_4arch9wavefront6targetE0EEEvT1_.uses_vcc, 0
	.set _ZN7rocprim17ROCPRIM_400000_NS6detail17trampoline_kernelINS0_14default_configENS1_25partition_config_selectorILNS1_17partition_subalgoE6EjNS0_10empty_typeEbEEZZNS1_14partition_implILS5_6ELb0ES3_mN6thrust23THRUST_200600_302600_NS6detail15normal_iteratorINSA_10device_ptrIjEEEEPS6_SG_NS0_5tupleIJNSA_16discard_iteratorINSA_11use_defaultEEES6_EEENSH_IJSG_SG_EEES6_PlJNSB_9not_fun_tINSB_14equal_to_valueIjEEEEEEE10hipError_tPvRmT3_T4_T5_T6_T7_T9_mT8_P12ihipStream_tbDpT10_ENKUlT_T0_E_clISt17integral_constantIbLb1EES1B_EEDaS16_S17_EUlS16_E_NS1_11comp_targetILNS1_3genE4ELNS1_11target_archE910ELNS1_3gpuE8ELNS1_3repE0EEENS1_30default_config_static_selectorELNS0_4arch9wavefront6targetE0EEEvT1_.uses_flat_scratch, 0
	.set _ZN7rocprim17ROCPRIM_400000_NS6detail17trampoline_kernelINS0_14default_configENS1_25partition_config_selectorILNS1_17partition_subalgoE6EjNS0_10empty_typeEbEEZZNS1_14partition_implILS5_6ELb0ES3_mN6thrust23THRUST_200600_302600_NS6detail15normal_iteratorINSA_10device_ptrIjEEEEPS6_SG_NS0_5tupleIJNSA_16discard_iteratorINSA_11use_defaultEEES6_EEENSH_IJSG_SG_EEES6_PlJNSB_9not_fun_tINSB_14equal_to_valueIjEEEEEEE10hipError_tPvRmT3_T4_T5_T6_T7_T9_mT8_P12ihipStream_tbDpT10_ENKUlT_T0_E_clISt17integral_constantIbLb1EES1B_EEDaS16_S17_EUlS16_E_NS1_11comp_targetILNS1_3genE4ELNS1_11target_archE910ELNS1_3gpuE8ELNS1_3repE0EEENS1_30default_config_static_selectorELNS0_4arch9wavefront6targetE0EEEvT1_.has_dyn_sized_stack, 0
	.set _ZN7rocprim17ROCPRIM_400000_NS6detail17trampoline_kernelINS0_14default_configENS1_25partition_config_selectorILNS1_17partition_subalgoE6EjNS0_10empty_typeEbEEZZNS1_14partition_implILS5_6ELb0ES3_mN6thrust23THRUST_200600_302600_NS6detail15normal_iteratorINSA_10device_ptrIjEEEEPS6_SG_NS0_5tupleIJNSA_16discard_iteratorINSA_11use_defaultEEES6_EEENSH_IJSG_SG_EEES6_PlJNSB_9not_fun_tINSB_14equal_to_valueIjEEEEEEE10hipError_tPvRmT3_T4_T5_T6_T7_T9_mT8_P12ihipStream_tbDpT10_ENKUlT_T0_E_clISt17integral_constantIbLb1EES1B_EEDaS16_S17_EUlS16_E_NS1_11comp_targetILNS1_3genE4ELNS1_11target_archE910ELNS1_3gpuE8ELNS1_3repE0EEENS1_30default_config_static_selectorELNS0_4arch9wavefront6targetE0EEEvT1_.has_recursion, 0
	.set _ZN7rocprim17ROCPRIM_400000_NS6detail17trampoline_kernelINS0_14default_configENS1_25partition_config_selectorILNS1_17partition_subalgoE6EjNS0_10empty_typeEbEEZZNS1_14partition_implILS5_6ELb0ES3_mN6thrust23THRUST_200600_302600_NS6detail15normal_iteratorINSA_10device_ptrIjEEEEPS6_SG_NS0_5tupleIJNSA_16discard_iteratorINSA_11use_defaultEEES6_EEENSH_IJSG_SG_EEES6_PlJNSB_9not_fun_tINSB_14equal_to_valueIjEEEEEEE10hipError_tPvRmT3_T4_T5_T6_T7_T9_mT8_P12ihipStream_tbDpT10_ENKUlT_T0_E_clISt17integral_constantIbLb1EES1B_EEDaS16_S17_EUlS16_E_NS1_11comp_targetILNS1_3genE4ELNS1_11target_archE910ELNS1_3gpuE8ELNS1_3repE0EEENS1_30default_config_static_selectorELNS0_4arch9wavefront6targetE0EEEvT1_.has_indirect_call, 0
	.section	.AMDGPU.csdata,"",@progbits
; Kernel info:
; codeLenInByte = 0
; TotalNumSgprs: 0
; NumVgprs: 0
; ScratchSize: 0
; MemoryBound: 0
; FloatMode: 240
; IeeeMode: 1
; LDSByteSize: 0 bytes/workgroup (compile time only)
; SGPRBlocks: 0
; VGPRBlocks: 0
; NumSGPRsForWavesPerEU: 1
; NumVGPRsForWavesPerEU: 1
; Occupancy: 16
; WaveLimiterHint : 0
; COMPUTE_PGM_RSRC2:SCRATCH_EN: 0
; COMPUTE_PGM_RSRC2:USER_SGPR: 2
; COMPUTE_PGM_RSRC2:TRAP_HANDLER: 0
; COMPUTE_PGM_RSRC2:TGID_X_EN: 1
; COMPUTE_PGM_RSRC2:TGID_Y_EN: 0
; COMPUTE_PGM_RSRC2:TGID_Z_EN: 0
; COMPUTE_PGM_RSRC2:TIDIG_COMP_CNT: 0
	.section	.text._ZN7rocprim17ROCPRIM_400000_NS6detail17trampoline_kernelINS0_14default_configENS1_25partition_config_selectorILNS1_17partition_subalgoE6EjNS0_10empty_typeEbEEZZNS1_14partition_implILS5_6ELb0ES3_mN6thrust23THRUST_200600_302600_NS6detail15normal_iteratorINSA_10device_ptrIjEEEEPS6_SG_NS0_5tupleIJNSA_16discard_iteratorINSA_11use_defaultEEES6_EEENSH_IJSG_SG_EEES6_PlJNSB_9not_fun_tINSB_14equal_to_valueIjEEEEEEE10hipError_tPvRmT3_T4_T5_T6_T7_T9_mT8_P12ihipStream_tbDpT10_ENKUlT_T0_E_clISt17integral_constantIbLb1EES1B_EEDaS16_S17_EUlS16_E_NS1_11comp_targetILNS1_3genE3ELNS1_11target_archE908ELNS1_3gpuE7ELNS1_3repE0EEENS1_30default_config_static_selectorELNS0_4arch9wavefront6targetE0EEEvT1_,"axG",@progbits,_ZN7rocprim17ROCPRIM_400000_NS6detail17trampoline_kernelINS0_14default_configENS1_25partition_config_selectorILNS1_17partition_subalgoE6EjNS0_10empty_typeEbEEZZNS1_14partition_implILS5_6ELb0ES3_mN6thrust23THRUST_200600_302600_NS6detail15normal_iteratorINSA_10device_ptrIjEEEEPS6_SG_NS0_5tupleIJNSA_16discard_iteratorINSA_11use_defaultEEES6_EEENSH_IJSG_SG_EEES6_PlJNSB_9not_fun_tINSB_14equal_to_valueIjEEEEEEE10hipError_tPvRmT3_T4_T5_T6_T7_T9_mT8_P12ihipStream_tbDpT10_ENKUlT_T0_E_clISt17integral_constantIbLb1EES1B_EEDaS16_S17_EUlS16_E_NS1_11comp_targetILNS1_3genE3ELNS1_11target_archE908ELNS1_3gpuE7ELNS1_3repE0EEENS1_30default_config_static_selectorELNS0_4arch9wavefront6targetE0EEEvT1_,comdat
	.protected	_ZN7rocprim17ROCPRIM_400000_NS6detail17trampoline_kernelINS0_14default_configENS1_25partition_config_selectorILNS1_17partition_subalgoE6EjNS0_10empty_typeEbEEZZNS1_14partition_implILS5_6ELb0ES3_mN6thrust23THRUST_200600_302600_NS6detail15normal_iteratorINSA_10device_ptrIjEEEEPS6_SG_NS0_5tupleIJNSA_16discard_iteratorINSA_11use_defaultEEES6_EEENSH_IJSG_SG_EEES6_PlJNSB_9not_fun_tINSB_14equal_to_valueIjEEEEEEE10hipError_tPvRmT3_T4_T5_T6_T7_T9_mT8_P12ihipStream_tbDpT10_ENKUlT_T0_E_clISt17integral_constantIbLb1EES1B_EEDaS16_S17_EUlS16_E_NS1_11comp_targetILNS1_3genE3ELNS1_11target_archE908ELNS1_3gpuE7ELNS1_3repE0EEENS1_30default_config_static_selectorELNS0_4arch9wavefront6targetE0EEEvT1_ ; -- Begin function _ZN7rocprim17ROCPRIM_400000_NS6detail17trampoline_kernelINS0_14default_configENS1_25partition_config_selectorILNS1_17partition_subalgoE6EjNS0_10empty_typeEbEEZZNS1_14partition_implILS5_6ELb0ES3_mN6thrust23THRUST_200600_302600_NS6detail15normal_iteratorINSA_10device_ptrIjEEEEPS6_SG_NS0_5tupleIJNSA_16discard_iteratorINSA_11use_defaultEEES6_EEENSH_IJSG_SG_EEES6_PlJNSB_9not_fun_tINSB_14equal_to_valueIjEEEEEEE10hipError_tPvRmT3_T4_T5_T6_T7_T9_mT8_P12ihipStream_tbDpT10_ENKUlT_T0_E_clISt17integral_constantIbLb1EES1B_EEDaS16_S17_EUlS16_E_NS1_11comp_targetILNS1_3genE3ELNS1_11target_archE908ELNS1_3gpuE7ELNS1_3repE0EEENS1_30default_config_static_selectorELNS0_4arch9wavefront6targetE0EEEvT1_
	.globl	_ZN7rocprim17ROCPRIM_400000_NS6detail17trampoline_kernelINS0_14default_configENS1_25partition_config_selectorILNS1_17partition_subalgoE6EjNS0_10empty_typeEbEEZZNS1_14partition_implILS5_6ELb0ES3_mN6thrust23THRUST_200600_302600_NS6detail15normal_iteratorINSA_10device_ptrIjEEEEPS6_SG_NS0_5tupleIJNSA_16discard_iteratorINSA_11use_defaultEEES6_EEENSH_IJSG_SG_EEES6_PlJNSB_9not_fun_tINSB_14equal_to_valueIjEEEEEEE10hipError_tPvRmT3_T4_T5_T6_T7_T9_mT8_P12ihipStream_tbDpT10_ENKUlT_T0_E_clISt17integral_constantIbLb1EES1B_EEDaS16_S17_EUlS16_E_NS1_11comp_targetILNS1_3genE3ELNS1_11target_archE908ELNS1_3gpuE7ELNS1_3repE0EEENS1_30default_config_static_selectorELNS0_4arch9wavefront6targetE0EEEvT1_
	.p2align	8
	.type	_ZN7rocprim17ROCPRIM_400000_NS6detail17trampoline_kernelINS0_14default_configENS1_25partition_config_selectorILNS1_17partition_subalgoE6EjNS0_10empty_typeEbEEZZNS1_14partition_implILS5_6ELb0ES3_mN6thrust23THRUST_200600_302600_NS6detail15normal_iteratorINSA_10device_ptrIjEEEEPS6_SG_NS0_5tupleIJNSA_16discard_iteratorINSA_11use_defaultEEES6_EEENSH_IJSG_SG_EEES6_PlJNSB_9not_fun_tINSB_14equal_to_valueIjEEEEEEE10hipError_tPvRmT3_T4_T5_T6_T7_T9_mT8_P12ihipStream_tbDpT10_ENKUlT_T0_E_clISt17integral_constantIbLb1EES1B_EEDaS16_S17_EUlS16_E_NS1_11comp_targetILNS1_3genE3ELNS1_11target_archE908ELNS1_3gpuE7ELNS1_3repE0EEENS1_30default_config_static_selectorELNS0_4arch9wavefront6targetE0EEEvT1_,@function
_ZN7rocprim17ROCPRIM_400000_NS6detail17trampoline_kernelINS0_14default_configENS1_25partition_config_selectorILNS1_17partition_subalgoE6EjNS0_10empty_typeEbEEZZNS1_14partition_implILS5_6ELb0ES3_mN6thrust23THRUST_200600_302600_NS6detail15normal_iteratorINSA_10device_ptrIjEEEEPS6_SG_NS0_5tupleIJNSA_16discard_iteratorINSA_11use_defaultEEES6_EEENSH_IJSG_SG_EEES6_PlJNSB_9not_fun_tINSB_14equal_to_valueIjEEEEEEE10hipError_tPvRmT3_T4_T5_T6_T7_T9_mT8_P12ihipStream_tbDpT10_ENKUlT_T0_E_clISt17integral_constantIbLb1EES1B_EEDaS16_S17_EUlS16_E_NS1_11comp_targetILNS1_3genE3ELNS1_11target_archE908ELNS1_3gpuE7ELNS1_3repE0EEENS1_30default_config_static_selectorELNS0_4arch9wavefront6targetE0EEEvT1_: ; @_ZN7rocprim17ROCPRIM_400000_NS6detail17trampoline_kernelINS0_14default_configENS1_25partition_config_selectorILNS1_17partition_subalgoE6EjNS0_10empty_typeEbEEZZNS1_14partition_implILS5_6ELb0ES3_mN6thrust23THRUST_200600_302600_NS6detail15normal_iteratorINSA_10device_ptrIjEEEEPS6_SG_NS0_5tupleIJNSA_16discard_iteratorINSA_11use_defaultEEES6_EEENSH_IJSG_SG_EEES6_PlJNSB_9not_fun_tINSB_14equal_to_valueIjEEEEEEE10hipError_tPvRmT3_T4_T5_T6_T7_T9_mT8_P12ihipStream_tbDpT10_ENKUlT_T0_E_clISt17integral_constantIbLb1EES1B_EEDaS16_S17_EUlS16_E_NS1_11comp_targetILNS1_3genE3ELNS1_11target_archE908ELNS1_3gpuE7ELNS1_3repE0EEENS1_30default_config_static_selectorELNS0_4arch9wavefront6targetE0EEEvT1_
; %bb.0:
	.section	.rodata,"a",@progbits
	.p2align	6, 0x0
	.amdhsa_kernel _ZN7rocprim17ROCPRIM_400000_NS6detail17trampoline_kernelINS0_14default_configENS1_25partition_config_selectorILNS1_17partition_subalgoE6EjNS0_10empty_typeEbEEZZNS1_14partition_implILS5_6ELb0ES3_mN6thrust23THRUST_200600_302600_NS6detail15normal_iteratorINSA_10device_ptrIjEEEEPS6_SG_NS0_5tupleIJNSA_16discard_iteratorINSA_11use_defaultEEES6_EEENSH_IJSG_SG_EEES6_PlJNSB_9not_fun_tINSB_14equal_to_valueIjEEEEEEE10hipError_tPvRmT3_T4_T5_T6_T7_T9_mT8_P12ihipStream_tbDpT10_ENKUlT_T0_E_clISt17integral_constantIbLb1EES1B_EEDaS16_S17_EUlS16_E_NS1_11comp_targetILNS1_3genE3ELNS1_11target_archE908ELNS1_3gpuE7ELNS1_3repE0EEENS1_30default_config_static_selectorELNS0_4arch9wavefront6targetE0EEEvT1_
		.amdhsa_group_segment_fixed_size 0
		.amdhsa_private_segment_fixed_size 0
		.amdhsa_kernarg_size 136
		.amdhsa_user_sgpr_count 2
		.amdhsa_user_sgpr_dispatch_ptr 0
		.amdhsa_user_sgpr_queue_ptr 0
		.amdhsa_user_sgpr_kernarg_segment_ptr 1
		.amdhsa_user_sgpr_dispatch_id 0
		.amdhsa_user_sgpr_private_segment_size 0
		.amdhsa_wavefront_size32 1
		.amdhsa_uses_dynamic_stack 0
		.amdhsa_enable_private_segment 0
		.amdhsa_system_sgpr_workgroup_id_x 1
		.amdhsa_system_sgpr_workgroup_id_y 0
		.amdhsa_system_sgpr_workgroup_id_z 0
		.amdhsa_system_sgpr_workgroup_info 0
		.amdhsa_system_vgpr_workitem_id 0
		.amdhsa_next_free_vgpr 1
		.amdhsa_next_free_sgpr 1
		.amdhsa_reserve_vcc 0
		.amdhsa_float_round_mode_32 0
		.amdhsa_float_round_mode_16_64 0
		.amdhsa_float_denorm_mode_32 3
		.amdhsa_float_denorm_mode_16_64 3
		.amdhsa_fp16_overflow 0
		.amdhsa_workgroup_processor_mode 1
		.amdhsa_memory_ordered 1
		.amdhsa_forward_progress 1
		.amdhsa_inst_pref_size 0
		.amdhsa_round_robin_scheduling 0
		.amdhsa_exception_fp_ieee_invalid_op 0
		.amdhsa_exception_fp_denorm_src 0
		.amdhsa_exception_fp_ieee_div_zero 0
		.amdhsa_exception_fp_ieee_overflow 0
		.amdhsa_exception_fp_ieee_underflow 0
		.amdhsa_exception_fp_ieee_inexact 0
		.amdhsa_exception_int_div_zero 0
	.end_amdhsa_kernel
	.section	.text._ZN7rocprim17ROCPRIM_400000_NS6detail17trampoline_kernelINS0_14default_configENS1_25partition_config_selectorILNS1_17partition_subalgoE6EjNS0_10empty_typeEbEEZZNS1_14partition_implILS5_6ELb0ES3_mN6thrust23THRUST_200600_302600_NS6detail15normal_iteratorINSA_10device_ptrIjEEEEPS6_SG_NS0_5tupleIJNSA_16discard_iteratorINSA_11use_defaultEEES6_EEENSH_IJSG_SG_EEES6_PlJNSB_9not_fun_tINSB_14equal_to_valueIjEEEEEEE10hipError_tPvRmT3_T4_T5_T6_T7_T9_mT8_P12ihipStream_tbDpT10_ENKUlT_T0_E_clISt17integral_constantIbLb1EES1B_EEDaS16_S17_EUlS16_E_NS1_11comp_targetILNS1_3genE3ELNS1_11target_archE908ELNS1_3gpuE7ELNS1_3repE0EEENS1_30default_config_static_selectorELNS0_4arch9wavefront6targetE0EEEvT1_,"axG",@progbits,_ZN7rocprim17ROCPRIM_400000_NS6detail17trampoline_kernelINS0_14default_configENS1_25partition_config_selectorILNS1_17partition_subalgoE6EjNS0_10empty_typeEbEEZZNS1_14partition_implILS5_6ELb0ES3_mN6thrust23THRUST_200600_302600_NS6detail15normal_iteratorINSA_10device_ptrIjEEEEPS6_SG_NS0_5tupleIJNSA_16discard_iteratorINSA_11use_defaultEEES6_EEENSH_IJSG_SG_EEES6_PlJNSB_9not_fun_tINSB_14equal_to_valueIjEEEEEEE10hipError_tPvRmT3_T4_T5_T6_T7_T9_mT8_P12ihipStream_tbDpT10_ENKUlT_T0_E_clISt17integral_constantIbLb1EES1B_EEDaS16_S17_EUlS16_E_NS1_11comp_targetILNS1_3genE3ELNS1_11target_archE908ELNS1_3gpuE7ELNS1_3repE0EEENS1_30default_config_static_selectorELNS0_4arch9wavefront6targetE0EEEvT1_,comdat
.Lfunc_end1672:
	.size	_ZN7rocprim17ROCPRIM_400000_NS6detail17trampoline_kernelINS0_14default_configENS1_25partition_config_selectorILNS1_17partition_subalgoE6EjNS0_10empty_typeEbEEZZNS1_14partition_implILS5_6ELb0ES3_mN6thrust23THRUST_200600_302600_NS6detail15normal_iteratorINSA_10device_ptrIjEEEEPS6_SG_NS0_5tupleIJNSA_16discard_iteratorINSA_11use_defaultEEES6_EEENSH_IJSG_SG_EEES6_PlJNSB_9not_fun_tINSB_14equal_to_valueIjEEEEEEE10hipError_tPvRmT3_T4_T5_T6_T7_T9_mT8_P12ihipStream_tbDpT10_ENKUlT_T0_E_clISt17integral_constantIbLb1EES1B_EEDaS16_S17_EUlS16_E_NS1_11comp_targetILNS1_3genE3ELNS1_11target_archE908ELNS1_3gpuE7ELNS1_3repE0EEENS1_30default_config_static_selectorELNS0_4arch9wavefront6targetE0EEEvT1_, .Lfunc_end1672-_ZN7rocprim17ROCPRIM_400000_NS6detail17trampoline_kernelINS0_14default_configENS1_25partition_config_selectorILNS1_17partition_subalgoE6EjNS0_10empty_typeEbEEZZNS1_14partition_implILS5_6ELb0ES3_mN6thrust23THRUST_200600_302600_NS6detail15normal_iteratorINSA_10device_ptrIjEEEEPS6_SG_NS0_5tupleIJNSA_16discard_iteratorINSA_11use_defaultEEES6_EEENSH_IJSG_SG_EEES6_PlJNSB_9not_fun_tINSB_14equal_to_valueIjEEEEEEE10hipError_tPvRmT3_T4_T5_T6_T7_T9_mT8_P12ihipStream_tbDpT10_ENKUlT_T0_E_clISt17integral_constantIbLb1EES1B_EEDaS16_S17_EUlS16_E_NS1_11comp_targetILNS1_3genE3ELNS1_11target_archE908ELNS1_3gpuE7ELNS1_3repE0EEENS1_30default_config_static_selectorELNS0_4arch9wavefront6targetE0EEEvT1_
                                        ; -- End function
	.set _ZN7rocprim17ROCPRIM_400000_NS6detail17trampoline_kernelINS0_14default_configENS1_25partition_config_selectorILNS1_17partition_subalgoE6EjNS0_10empty_typeEbEEZZNS1_14partition_implILS5_6ELb0ES3_mN6thrust23THRUST_200600_302600_NS6detail15normal_iteratorINSA_10device_ptrIjEEEEPS6_SG_NS0_5tupleIJNSA_16discard_iteratorINSA_11use_defaultEEES6_EEENSH_IJSG_SG_EEES6_PlJNSB_9not_fun_tINSB_14equal_to_valueIjEEEEEEE10hipError_tPvRmT3_T4_T5_T6_T7_T9_mT8_P12ihipStream_tbDpT10_ENKUlT_T0_E_clISt17integral_constantIbLb1EES1B_EEDaS16_S17_EUlS16_E_NS1_11comp_targetILNS1_3genE3ELNS1_11target_archE908ELNS1_3gpuE7ELNS1_3repE0EEENS1_30default_config_static_selectorELNS0_4arch9wavefront6targetE0EEEvT1_.num_vgpr, 0
	.set _ZN7rocprim17ROCPRIM_400000_NS6detail17trampoline_kernelINS0_14default_configENS1_25partition_config_selectorILNS1_17partition_subalgoE6EjNS0_10empty_typeEbEEZZNS1_14partition_implILS5_6ELb0ES3_mN6thrust23THRUST_200600_302600_NS6detail15normal_iteratorINSA_10device_ptrIjEEEEPS6_SG_NS0_5tupleIJNSA_16discard_iteratorINSA_11use_defaultEEES6_EEENSH_IJSG_SG_EEES6_PlJNSB_9not_fun_tINSB_14equal_to_valueIjEEEEEEE10hipError_tPvRmT3_T4_T5_T6_T7_T9_mT8_P12ihipStream_tbDpT10_ENKUlT_T0_E_clISt17integral_constantIbLb1EES1B_EEDaS16_S17_EUlS16_E_NS1_11comp_targetILNS1_3genE3ELNS1_11target_archE908ELNS1_3gpuE7ELNS1_3repE0EEENS1_30default_config_static_selectorELNS0_4arch9wavefront6targetE0EEEvT1_.num_agpr, 0
	.set _ZN7rocprim17ROCPRIM_400000_NS6detail17trampoline_kernelINS0_14default_configENS1_25partition_config_selectorILNS1_17partition_subalgoE6EjNS0_10empty_typeEbEEZZNS1_14partition_implILS5_6ELb0ES3_mN6thrust23THRUST_200600_302600_NS6detail15normal_iteratorINSA_10device_ptrIjEEEEPS6_SG_NS0_5tupleIJNSA_16discard_iteratorINSA_11use_defaultEEES6_EEENSH_IJSG_SG_EEES6_PlJNSB_9not_fun_tINSB_14equal_to_valueIjEEEEEEE10hipError_tPvRmT3_T4_T5_T6_T7_T9_mT8_P12ihipStream_tbDpT10_ENKUlT_T0_E_clISt17integral_constantIbLb1EES1B_EEDaS16_S17_EUlS16_E_NS1_11comp_targetILNS1_3genE3ELNS1_11target_archE908ELNS1_3gpuE7ELNS1_3repE0EEENS1_30default_config_static_selectorELNS0_4arch9wavefront6targetE0EEEvT1_.numbered_sgpr, 0
	.set _ZN7rocprim17ROCPRIM_400000_NS6detail17trampoline_kernelINS0_14default_configENS1_25partition_config_selectorILNS1_17partition_subalgoE6EjNS0_10empty_typeEbEEZZNS1_14partition_implILS5_6ELb0ES3_mN6thrust23THRUST_200600_302600_NS6detail15normal_iteratorINSA_10device_ptrIjEEEEPS6_SG_NS0_5tupleIJNSA_16discard_iteratorINSA_11use_defaultEEES6_EEENSH_IJSG_SG_EEES6_PlJNSB_9not_fun_tINSB_14equal_to_valueIjEEEEEEE10hipError_tPvRmT3_T4_T5_T6_T7_T9_mT8_P12ihipStream_tbDpT10_ENKUlT_T0_E_clISt17integral_constantIbLb1EES1B_EEDaS16_S17_EUlS16_E_NS1_11comp_targetILNS1_3genE3ELNS1_11target_archE908ELNS1_3gpuE7ELNS1_3repE0EEENS1_30default_config_static_selectorELNS0_4arch9wavefront6targetE0EEEvT1_.num_named_barrier, 0
	.set _ZN7rocprim17ROCPRIM_400000_NS6detail17trampoline_kernelINS0_14default_configENS1_25partition_config_selectorILNS1_17partition_subalgoE6EjNS0_10empty_typeEbEEZZNS1_14partition_implILS5_6ELb0ES3_mN6thrust23THRUST_200600_302600_NS6detail15normal_iteratorINSA_10device_ptrIjEEEEPS6_SG_NS0_5tupleIJNSA_16discard_iteratorINSA_11use_defaultEEES6_EEENSH_IJSG_SG_EEES6_PlJNSB_9not_fun_tINSB_14equal_to_valueIjEEEEEEE10hipError_tPvRmT3_T4_T5_T6_T7_T9_mT8_P12ihipStream_tbDpT10_ENKUlT_T0_E_clISt17integral_constantIbLb1EES1B_EEDaS16_S17_EUlS16_E_NS1_11comp_targetILNS1_3genE3ELNS1_11target_archE908ELNS1_3gpuE7ELNS1_3repE0EEENS1_30default_config_static_selectorELNS0_4arch9wavefront6targetE0EEEvT1_.private_seg_size, 0
	.set _ZN7rocprim17ROCPRIM_400000_NS6detail17trampoline_kernelINS0_14default_configENS1_25partition_config_selectorILNS1_17partition_subalgoE6EjNS0_10empty_typeEbEEZZNS1_14partition_implILS5_6ELb0ES3_mN6thrust23THRUST_200600_302600_NS6detail15normal_iteratorINSA_10device_ptrIjEEEEPS6_SG_NS0_5tupleIJNSA_16discard_iteratorINSA_11use_defaultEEES6_EEENSH_IJSG_SG_EEES6_PlJNSB_9not_fun_tINSB_14equal_to_valueIjEEEEEEE10hipError_tPvRmT3_T4_T5_T6_T7_T9_mT8_P12ihipStream_tbDpT10_ENKUlT_T0_E_clISt17integral_constantIbLb1EES1B_EEDaS16_S17_EUlS16_E_NS1_11comp_targetILNS1_3genE3ELNS1_11target_archE908ELNS1_3gpuE7ELNS1_3repE0EEENS1_30default_config_static_selectorELNS0_4arch9wavefront6targetE0EEEvT1_.uses_vcc, 0
	.set _ZN7rocprim17ROCPRIM_400000_NS6detail17trampoline_kernelINS0_14default_configENS1_25partition_config_selectorILNS1_17partition_subalgoE6EjNS0_10empty_typeEbEEZZNS1_14partition_implILS5_6ELb0ES3_mN6thrust23THRUST_200600_302600_NS6detail15normal_iteratorINSA_10device_ptrIjEEEEPS6_SG_NS0_5tupleIJNSA_16discard_iteratorINSA_11use_defaultEEES6_EEENSH_IJSG_SG_EEES6_PlJNSB_9not_fun_tINSB_14equal_to_valueIjEEEEEEE10hipError_tPvRmT3_T4_T5_T6_T7_T9_mT8_P12ihipStream_tbDpT10_ENKUlT_T0_E_clISt17integral_constantIbLb1EES1B_EEDaS16_S17_EUlS16_E_NS1_11comp_targetILNS1_3genE3ELNS1_11target_archE908ELNS1_3gpuE7ELNS1_3repE0EEENS1_30default_config_static_selectorELNS0_4arch9wavefront6targetE0EEEvT1_.uses_flat_scratch, 0
	.set _ZN7rocprim17ROCPRIM_400000_NS6detail17trampoline_kernelINS0_14default_configENS1_25partition_config_selectorILNS1_17partition_subalgoE6EjNS0_10empty_typeEbEEZZNS1_14partition_implILS5_6ELb0ES3_mN6thrust23THRUST_200600_302600_NS6detail15normal_iteratorINSA_10device_ptrIjEEEEPS6_SG_NS0_5tupleIJNSA_16discard_iteratorINSA_11use_defaultEEES6_EEENSH_IJSG_SG_EEES6_PlJNSB_9not_fun_tINSB_14equal_to_valueIjEEEEEEE10hipError_tPvRmT3_T4_T5_T6_T7_T9_mT8_P12ihipStream_tbDpT10_ENKUlT_T0_E_clISt17integral_constantIbLb1EES1B_EEDaS16_S17_EUlS16_E_NS1_11comp_targetILNS1_3genE3ELNS1_11target_archE908ELNS1_3gpuE7ELNS1_3repE0EEENS1_30default_config_static_selectorELNS0_4arch9wavefront6targetE0EEEvT1_.has_dyn_sized_stack, 0
	.set _ZN7rocprim17ROCPRIM_400000_NS6detail17trampoline_kernelINS0_14default_configENS1_25partition_config_selectorILNS1_17partition_subalgoE6EjNS0_10empty_typeEbEEZZNS1_14partition_implILS5_6ELb0ES3_mN6thrust23THRUST_200600_302600_NS6detail15normal_iteratorINSA_10device_ptrIjEEEEPS6_SG_NS0_5tupleIJNSA_16discard_iteratorINSA_11use_defaultEEES6_EEENSH_IJSG_SG_EEES6_PlJNSB_9not_fun_tINSB_14equal_to_valueIjEEEEEEE10hipError_tPvRmT3_T4_T5_T6_T7_T9_mT8_P12ihipStream_tbDpT10_ENKUlT_T0_E_clISt17integral_constantIbLb1EES1B_EEDaS16_S17_EUlS16_E_NS1_11comp_targetILNS1_3genE3ELNS1_11target_archE908ELNS1_3gpuE7ELNS1_3repE0EEENS1_30default_config_static_selectorELNS0_4arch9wavefront6targetE0EEEvT1_.has_recursion, 0
	.set _ZN7rocprim17ROCPRIM_400000_NS6detail17trampoline_kernelINS0_14default_configENS1_25partition_config_selectorILNS1_17partition_subalgoE6EjNS0_10empty_typeEbEEZZNS1_14partition_implILS5_6ELb0ES3_mN6thrust23THRUST_200600_302600_NS6detail15normal_iteratorINSA_10device_ptrIjEEEEPS6_SG_NS0_5tupleIJNSA_16discard_iteratorINSA_11use_defaultEEES6_EEENSH_IJSG_SG_EEES6_PlJNSB_9not_fun_tINSB_14equal_to_valueIjEEEEEEE10hipError_tPvRmT3_T4_T5_T6_T7_T9_mT8_P12ihipStream_tbDpT10_ENKUlT_T0_E_clISt17integral_constantIbLb1EES1B_EEDaS16_S17_EUlS16_E_NS1_11comp_targetILNS1_3genE3ELNS1_11target_archE908ELNS1_3gpuE7ELNS1_3repE0EEENS1_30default_config_static_selectorELNS0_4arch9wavefront6targetE0EEEvT1_.has_indirect_call, 0
	.section	.AMDGPU.csdata,"",@progbits
; Kernel info:
; codeLenInByte = 0
; TotalNumSgprs: 0
; NumVgprs: 0
; ScratchSize: 0
; MemoryBound: 0
; FloatMode: 240
; IeeeMode: 1
; LDSByteSize: 0 bytes/workgroup (compile time only)
; SGPRBlocks: 0
; VGPRBlocks: 0
; NumSGPRsForWavesPerEU: 1
; NumVGPRsForWavesPerEU: 1
; Occupancy: 16
; WaveLimiterHint : 0
; COMPUTE_PGM_RSRC2:SCRATCH_EN: 0
; COMPUTE_PGM_RSRC2:USER_SGPR: 2
; COMPUTE_PGM_RSRC2:TRAP_HANDLER: 0
; COMPUTE_PGM_RSRC2:TGID_X_EN: 1
; COMPUTE_PGM_RSRC2:TGID_Y_EN: 0
; COMPUTE_PGM_RSRC2:TGID_Z_EN: 0
; COMPUTE_PGM_RSRC2:TIDIG_COMP_CNT: 0
	.section	.text._ZN7rocprim17ROCPRIM_400000_NS6detail17trampoline_kernelINS0_14default_configENS1_25partition_config_selectorILNS1_17partition_subalgoE6EjNS0_10empty_typeEbEEZZNS1_14partition_implILS5_6ELb0ES3_mN6thrust23THRUST_200600_302600_NS6detail15normal_iteratorINSA_10device_ptrIjEEEEPS6_SG_NS0_5tupleIJNSA_16discard_iteratorINSA_11use_defaultEEES6_EEENSH_IJSG_SG_EEES6_PlJNSB_9not_fun_tINSB_14equal_to_valueIjEEEEEEE10hipError_tPvRmT3_T4_T5_T6_T7_T9_mT8_P12ihipStream_tbDpT10_ENKUlT_T0_E_clISt17integral_constantIbLb1EES1B_EEDaS16_S17_EUlS16_E_NS1_11comp_targetILNS1_3genE2ELNS1_11target_archE906ELNS1_3gpuE6ELNS1_3repE0EEENS1_30default_config_static_selectorELNS0_4arch9wavefront6targetE0EEEvT1_,"axG",@progbits,_ZN7rocprim17ROCPRIM_400000_NS6detail17trampoline_kernelINS0_14default_configENS1_25partition_config_selectorILNS1_17partition_subalgoE6EjNS0_10empty_typeEbEEZZNS1_14partition_implILS5_6ELb0ES3_mN6thrust23THRUST_200600_302600_NS6detail15normal_iteratorINSA_10device_ptrIjEEEEPS6_SG_NS0_5tupleIJNSA_16discard_iteratorINSA_11use_defaultEEES6_EEENSH_IJSG_SG_EEES6_PlJNSB_9not_fun_tINSB_14equal_to_valueIjEEEEEEE10hipError_tPvRmT3_T4_T5_T6_T7_T9_mT8_P12ihipStream_tbDpT10_ENKUlT_T0_E_clISt17integral_constantIbLb1EES1B_EEDaS16_S17_EUlS16_E_NS1_11comp_targetILNS1_3genE2ELNS1_11target_archE906ELNS1_3gpuE6ELNS1_3repE0EEENS1_30default_config_static_selectorELNS0_4arch9wavefront6targetE0EEEvT1_,comdat
	.protected	_ZN7rocprim17ROCPRIM_400000_NS6detail17trampoline_kernelINS0_14default_configENS1_25partition_config_selectorILNS1_17partition_subalgoE6EjNS0_10empty_typeEbEEZZNS1_14partition_implILS5_6ELb0ES3_mN6thrust23THRUST_200600_302600_NS6detail15normal_iteratorINSA_10device_ptrIjEEEEPS6_SG_NS0_5tupleIJNSA_16discard_iteratorINSA_11use_defaultEEES6_EEENSH_IJSG_SG_EEES6_PlJNSB_9not_fun_tINSB_14equal_to_valueIjEEEEEEE10hipError_tPvRmT3_T4_T5_T6_T7_T9_mT8_P12ihipStream_tbDpT10_ENKUlT_T0_E_clISt17integral_constantIbLb1EES1B_EEDaS16_S17_EUlS16_E_NS1_11comp_targetILNS1_3genE2ELNS1_11target_archE906ELNS1_3gpuE6ELNS1_3repE0EEENS1_30default_config_static_selectorELNS0_4arch9wavefront6targetE0EEEvT1_ ; -- Begin function _ZN7rocprim17ROCPRIM_400000_NS6detail17trampoline_kernelINS0_14default_configENS1_25partition_config_selectorILNS1_17partition_subalgoE6EjNS0_10empty_typeEbEEZZNS1_14partition_implILS5_6ELb0ES3_mN6thrust23THRUST_200600_302600_NS6detail15normal_iteratorINSA_10device_ptrIjEEEEPS6_SG_NS0_5tupleIJNSA_16discard_iteratorINSA_11use_defaultEEES6_EEENSH_IJSG_SG_EEES6_PlJNSB_9not_fun_tINSB_14equal_to_valueIjEEEEEEE10hipError_tPvRmT3_T4_T5_T6_T7_T9_mT8_P12ihipStream_tbDpT10_ENKUlT_T0_E_clISt17integral_constantIbLb1EES1B_EEDaS16_S17_EUlS16_E_NS1_11comp_targetILNS1_3genE2ELNS1_11target_archE906ELNS1_3gpuE6ELNS1_3repE0EEENS1_30default_config_static_selectorELNS0_4arch9wavefront6targetE0EEEvT1_
	.globl	_ZN7rocprim17ROCPRIM_400000_NS6detail17trampoline_kernelINS0_14default_configENS1_25partition_config_selectorILNS1_17partition_subalgoE6EjNS0_10empty_typeEbEEZZNS1_14partition_implILS5_6ELb0ES3_mN6thrust23THRUST_200600_302600_NS6detail15normal_iteratorINSA_10device_ptrIjEEEEPS6_SG_NS0_5tupleIJNSA_16discard_iteratorINSA_11use_defaultEEES6_EEENSH_IJSG_SG_EEES6_PlJNSB_9not_fun_tINSB_14equal_to_valueIjEEEEEEE10hipError_tPvRmT3_T4_T5_T6_T7_T9_mT8_P12ihipStream_tbDpT10_ENKUlT_T0_E_clISt17integral_constantIbLb1EES1B_EEDaS16_S17_EUlS16_E_NS1_11comp_targetILNS1_3genE2ELNS1_11target_archE906ELNS1_3gpuE6ELNS1_3repE0EEENS1_30default_config_static_selectorELNS0_4arch9wavefront6targetE0EEEvT1_
	.p2align	8
	.type	_ZN7rocprim17ROCPRIM_400000_NS6detail17trampoline_kernelINS0_14default_configENS1_25partition_config_selectorILNS1_17partition_subalgoE6EjNS0_10empty_typeEbEEZZNS1_14partition_implILS5_6ELb0ES3_mN6thrust23THRUST_200600_302600_NS6detail15normal_iteratorINSA_10device_ptrIjEEEEPS6_SG_NS0_5tupleIJNSA_16discard_iteratorINSA_11use_defaultEEES6_EEENSH_IJSG_SG_EEES6_PlJNSB_9not_fun_tINSB_14equal_to_valueIjEEEEEEE10hipError_tPvRmT3_T4_T5_T6_T7_T9_mT8_P12ihipStream_tbDpT10_ENKUlT_T0_E_clISt17integral_constantIbLb1EES1B_EEDaS16_S17_EUlS16_E_NS1_11comp_targetILNS1_3genE2ELNS1_11target_archE906ELNS1_3gpuE6ELNS1_3repE0EEENS1_30default_config_static_selectorELNS0_4arch9wavefront6targetE0EEEvT1_,@function
_ZN7rocprim17ROCPRIM_400000_NS6detail17trampoline_kernelINS0_14default_configENS1_25partition_config_selectorILNS1_17partition_subalgoE6EjNS0_10empty_typeEbEEZZNS1_14partition_implILS5_6ELb0ES3_mN6thrust23THRUST_200600_302600_NS6detail15normal_iteratorINSA_10device_ptrIjEEEEPS6_SG_NS0_5tupleIJNSA_16discard_iteratorINSA_11use_defaultEEES6_EEENSH_IJSG_SG_EEES6_PlJNSB_9not_fun_tINSB_14equal_to_valueIjEEEEEEE10hipError_tPvRmT3_T4_T5_T6_T7_T9_mT8_P12ihipStream_tbDpT10_ENKUlT_T0_E_clISt17integral_constantIbLb1EES1B_EEDaS16_S17_EUlS16_E_NS1_11comp_targetILNS1_3genE2ELNS1_11target_archE906ELNS1_3gpuE6ELNS1_3repE0EEENS1_30default_config_static_selectorELNS0_4arch9wavefront6targetE0EEEvT1_: ; @_ZN7rocprim17ROCPRIM_400000_NS6detail17trampoline_kernelINS0_14default_configENS1_25partition_config_selectorILNS1_17partition_subalgoE6EjNS0_10empty_typeEbEEZZNS1_14partition_implILS5_6ELb0ES3_mN6thrust23THRUST_200600_302600_NS6detail15normal_iteratorINSA_10device_ptrIjEEEEPS6_SG_NS0_5tupleIJNSA_16discard_iteratorINSA_11use_defaultEEES6_EEENSH_IJSG_SG_EEES6_PlJNSB_9not_fun_tINSB_14equal_to_valueIjEEEEEEE10hipError_tPvRmT3_T4_T5_T6_T7_T9_mT8_P12ihipStream_tbDpT10_ENKUlT_T0_E_clISt17integral_constantIbLb1EES1B_EEDaS16_S17_EUlS16_E_NS1_11comp_targetILNS1_3genE2ELNS1_11target_archE906ELNS1_3gpuE6ELNS1_3repE0EEENS1_30default_config_static_selectorELNS0_4arch9wavefront6targetE0EEEvT1_
; %bb.0:
	.section	.rodata,"a",@progbits
	.p2align	6, 0x0
	.amdhsa_kernel _ZN7rocprim17ROCPRIM_400000_NS6detail17trampoline_kernelINS0_14default_configENS1_25partition_config_selectorILNS1_17partition_subalgoE6EjNS0_10empty_typeEbEEZZNS1_14partition_implILS5_6ELb0ES3_mN6thrust23THRUST_200600_302600_NS6detail15normal_iteratorINSA_10device_ptrIjEEEEPS6_SG_NS0_5tupleIJNSA_16discard_iteratorINSA_11use_defaultEEES6_EEENSH_IJSG_SG_EEES6_PlJNSB_9not_fun_tINSB_14equal_to_valueIjEEEEEEE10hipError_tPvRmT3_T4_T5_T6_T7_T9_mT8_P12ihipStream_tbDpT10_ENKUlT_T0_E_clISt17integral_constantIbLb1EES1B_EEDaS16_S17_EUlS16_E_NS1_11comp_targetILNS1_3genE2ELNS1_11target_archE906ELNS1_3gpuE6ELNS1_3repE0EEENS1_30default_config_static_selectorELNS0_4arch9wavefront6targetE0EEEvT1_
		.amdhsa_group_segment_fixed_size 0
		.amdhsa_private_segment_fixed_size 0
		.amdhsa_kernarg_size 136
		.amdhsa_user_sgpr_count 2
		.amdhsa_user_sgpr_dispatch_ptr 0
		.amdhsa_user_sgpr_queue_ptr 0
		.amdhsa_user_sgpr_kernarg_segment_ptr 1
		.amdhsa_user_sgpr_dispatch_id 0
		.amdhsa_user_sgpr_private_segment_size 0
		.amdhsa_wavefront_size32 1
		.amdhsa_uses_dynamic_stack 0
		.amdhsa_enable_private_segment 0
		.amdhsa_system_sgpr_workgroup_id_x 1
		.amdhsa_system_sgpr_workgroup_id_y 0
		.amdhsa_system_sgpr_workgroup_id_z 0
		.amdhsa_system_sgpr_workgroup_info 0
		.amdhsa_system_vgpr_workitem_id 0
		.amdhsa_next_free_vgpr 1
		.amdhsa_next_free_sgpr 1
		.amdhsa_reserve_vcc 0
		.amdhsa_float_round_mode_32 0
		.amdhsa_float_round_mode_16_64 0
		.amdhsa_float_denorm_mode_32 3
		.amdhsa_float_denorm_mode_16_64 3
		.amdhsa_fp16_overflow 0
		.amdhsa_workgroup_processor_mode 1
		.amdhsa_memory_ordered 1
		.amdhsa_forward_progress 1
		.amdhsa_inst_pref_size 0
		.amdhsa_round_robin_scheduling 0
		.amdhsa_exception_fp_ieee_invalid_op 0
		.amdhsa_exception_fp_denorm_src 0
		.amdhsa_exception_fp_ieee_div_zero 0
		.amdhsa_exception_fp_ieee_overflow 0
		.amdhsa_exception_fp_ieee_underflow 0
		.amdhsa_exception_fp_ieee_inexact 0
		.amdhsa_exception_int_div_zero 0
	.end_amdhsa_kernel
	.section	.text._ZN7rocprim17ROCPRIM_400000_NS6detail17trampoline_kernelINS0_14default_configENS1_25partition_config_selectorILNS1_17partition_subalgoE6EjNS0_10empty_typeEbEEZZNS1_14partition_implILS5_6ELb0ES3_mN6thrust23THRUST_200600_302600_NS6detail15normal_iteratorINSA_10device_ptrIjEEEEPS6_SG_NS0_5tupleIJNSA_16discard_iteratorINSA_11use_defaultEEES6_EEENSH_IJSG_SG_EEES6_PlJNSB_9not_fun_tINSB_14equal_to_valueIjEEEEEEE10hipError_tPvRmT3_T4_T5_T6_T7_T9_mT8_P12ihipStream_tbDpT10_ENKUlT_T0_E_clISt17integral_constantIbLb1EES1B_EEDaS16_S17_EUlS16_E_NS1_11comp_targetILNS1_3genE2ELNS1_11target_archE906ELNS1_3gpuE6ELNS1_3repE0EEENS1_30default_config_static_selectorELNS0_4arch9wavefront6targetE0EEEvT1_,"axG",@progbits,_ZN7rocprim17ROCPRIM_400000_NS6detail17trampoline_kernelINS0_14default_configENS1_25partition_config_selectorILNS1_17partition_subalgoE6EjNS0_10empty_typeEbEEZZNS1_14partition_implILS5_6ELb0ES3_mN6thrust23THRUST_200600_302600_NS6detail15normal_iteratorINSA_10device_ptrIjEEEEPS6_SG_NS0_5tupleIJNSA_16discard_iteratorINSA_11use_defaultEEES6_EEENSH_IJSG_SG_EEES6_PlJNSB_9not_fun_tINSB_14equal_to_valueIjEEEEEEE10hipError_tPvRmT3_T4_T5_T6_T7_T9_mT8_P12ihipStream_tbDpT10_ENKUlT_T0_E_clISt17integral_constantIbLb1EES1B_EEDaS16_S17_EUlS16_E_NS1_11comp_targetILNS1_3genE2ELNS1_11target_archE906ELNS1_3gpuE6ELNS1_3repE0EEENS1_30default_config_static_selectorELNS0_4arch9wavefront6targetE0EEEvT1_,comdat
.Lfunc_end1673:
	.size	_ZN7rocprim17ROCPRIM_400000_NS6detail17trampoline_kernelINS0_14default_configENS1_25partition_config_selectorILNS1_17partition_subalgoE6EjNS0_10empty_typeEbEEZZNS1_14partition_implILS5_6ELb0ES3_mN6thrust23THRUST_200600_302600_NS6detail15normal_iteratorINSA_10device_ptrIjEEEEPS6_SG_NS0_5tupleIJNSA_16discard_iteratorINSA_11use_defaultEEES6_EEENSH_IJSG_SG_EEES6_PlJNSB_9not_fun_tINSB_14equal_to_valueIjEEEEEEE10hipError_tPvRmT3_T4_T5_T6_T7_T9_mT8_P12ihipStream_tbDpT10_ENKUlT_T0_E_clISt17integral_constantIbLb1EES1B_EEDaS16_S17_EUlS16_E_NS1_11comp_targetILNS1_3genE2ELNS1_11target_archE906ELNS1_3gpuE6ELNS1_3repE0EEENS1_30default_config_static_selectorELNS0_4arch9wavefront6targetE0EEEvT1_, .Lfunc_end1673-_ZN7rocprim17ROCPRIM_400000_NS6detail17trampoline_kernelINS0_14default_configENS1_25partition_config_selectorILNS1_17partition_subalgoE6EjNS0_10empty_typeEbEEZZNS1_14partition_implILS5_6ELb0ES3_mN6thrust23THRUST_200600_302600_NS6detail15normal_iteratorINSA_10device_ptrIjEEEEPS6_SG_NS0_5tupleIJNSA_16discard_iteratorINSA_11use_defaultEEES6_EEENSH_IJSG_SG_EEES6_PlJNSB_9not_fun_tINSB_14equal_to_valueIjEEEEEEE10hipError_tPvRmT3_T4_T5_T6_T7_T9_mT8_P12ihipStream_tbDpT10_ENKUlT_T0_E_clISt17integral_constantIbLb1EES1B_EEDaS16_S17_EUlS16_E_NS1_11comp_targetILNS1_3genE2ELNS1_11target_archE906ELNS1_3gpuE6ELNS1_3repE0EEENS1_30default_config_static_selectorELNS0_4arch9wavefront6targetE0EEEvT1_
                                        ; -- End function
	.set _ZN7rocprim17ROCPRIM_400000_NS6detail17trampoline_kernelINS0_14default_configENS1_25partition_config_selectorILNS1_17partition_subalgoE6EjNS0_10empty_typeEbEEZZNS1_14partition_implILS5_6ELb0ES3_mN6thrust23THRUST_200600_302600_NS6detail15normal_iteratorINSA_10device_ptrIjEEEEPS6_SG_NS0_5tupleIJNSA_16discard_iteratorINSA_11use_defaultEEES6_EEENSH_IJSG_SG_EEES6_PlJNSB_9not_fun_tINSB_14equal_to_valueIjEEEEEEE10hipError_tPvRmT3_T4_T5_T6_T7_T9_mT8_P12ihipStream_tbDpT10_ENKUlT_T0_E_clISt17integral_constantIbLb1EES1B_EEDaS16_S17_EUlS16_E_NS1_11comp_targetILNS1_3genE2ELNS1_11target_archE906ELNS1_3gpuE6ELNS1_3repE0EEENS1_30default_config_static_selectorELNS0_4arch9wavefront6targetE0EEEvT1_.num_vgpr, 0
	.set _ZN7rocprim17ROCPRIM_400000_NS6detail17trampoline_kernelINS0_14default_configENS1_25partition_config_selectorILNS1_17partition_subalgoE6EjNS0_10empty_typeEbEEZZNS1_14partition_implILS5_6ELb0ES3_mN6thrust23THRUST_200600_302600_NS6detail15normal_iteratorINSA_10device_ptrIjEEEEPS6_SG_NS0_5tupleIJNSA_16discard_iteratorINSA_11use_defaultEEES6_EEENSH_IJSG_SG_EEES6_PlJNSB_9not_fun_tINSB_14equal_to_valueIjEEEEEEE10hipError_tPvRmT3_T4_T5_T6_T7_T9_mT8_P12ihipStream_tbDpT10_ENKUlT_T0_E_clISt17integral_constantIbLb1EES1B_EEDaS16_S17_EUlS16_E_NS1_11comp_targetILNS1_3genE2ELNS1_11target_archE906ELNS1_3gpuE6ELNS1_3repE0EEENS1_30default_config_static_selectorELNS0_4arch9wavefront6targetE0EEEvT1_.num_agpr, 0
	.set _ZN7rocprim17ROCPRIM_400000_NS6detail17trampoline_kernelINS0_14default_configENS1_25partition_config_selectorILNS1_17partition_subalgoE6EjNS0_10empty_typeEbEEZZNS1_14partition_implILS5_6ELb0ES3_mN6thrust23THRUST_200600_302600_NS6detail15normal_iteratorINSA_10device_ptrIjEEEEPS6_SG_NS0_5tupleIJNSA_16discard_iteratorINSA_11use_defaultEEES6_EEENSH_IJSG_SG_EEES6_PlJNSB_9not_fun_tINSB_14equal_to_valueIjEEEEEEE10hipError_tPvRmT3_T4_T5_T6_T7_T9_mT8_P12ihipStream_tbDpT10_ENKUlT_T0_E_clISt17integral_constantIbLb1EES1B_EEDaS16_S17_EUlS16_E_NS1_11comp_targetILNS1_3genE2ELNS1_11target_archE906ELNS1_3gpuE6ELNS1_3repE0EEENS1_30default_config_static_selectorELNS0_4arch9wavefront6targetE0EEEvT1_.numbered_sgpr, 0
	.set _ZN7rocprim17ROCPRIM_400000_NS6detail17trampoline_kernelINS0_14default_configENS1_25partition_config_selectorILNS1_17partition_subalgoE6EjNS0_10empty_typeEbEEZZNS1_14partition_implILS5_6ELb0ES3_mN6thrust23THRUST_200600_302600_NS6detail15normal_iteratorINSA_10device_ptrIjEEEEPS6_SG_NS0_5tupleIJNSA_16discard_iteratorINSA_11use_defaultEEES6_EEENSH_IJSG_SG_EEES6_PlJNSB_9not_fun_tINSB_14equal_to_valueIjEEEEEEE10hipError_tPvRmT3_T4_T5_T6_T7_T9_mT8_P12ihipStream_tbDpT10_ENKUlT_T0_E_clISt17integral_constantIbLb1EES1B_EEDaS16_S17_EUlS16_E_NS1_11comp_targetILNS1_3genE2ELNS1_11target_archE906ELNS1_3gpuE6ELNS1_3repE0EEENS1_30default_config_static_selectorELNS0_4arch9wavefront6targetE0EEEvT1_.num_named_barrier, 0
	.set _ZN7rocprim17ROCPRIM_400000_NS6detail17trampoline_kernelINS0_14default_configENS1_25partition_config_selectorILNS1_17partition_subalgoE6EjNS0_10empty_typeEbEEZZNS1_14partition_implILS5_6ELb0ES3_mN6thrust23THRUST_200600_302600_NS6detail15normal_iteratorINSA_10device_ptrIjEEEEPS6_SG_NS0_5tupleIJNSA_16discard_iteratorINSA_11use_defaultEEES6_EEENSH_IJSG_SG_EEES6_PlJNSB_9not_fun_tINSB_14equal_to_valueIjEEEEEEE10hipError_tPvRmT3_T4_T5_T6_T7_T9_mT8_P12ihipStream_tbDpT10_ENKUlT_T0_E_clISt17integral_constantIbLb1EES1B_EEDaS16_S17_EUlS16_E_NS1_11comp_targetILNS1_3genE2ELNS1_11target_archE906ELNS1_3gpuE6ELNS1_3repE0EEENS1_30default_config_static_selectorELNS0_4arch9wavefront6targetE0EEEvT1_.private_seg_size, 0
	.set _ZN7rocprim17ROCPRIM_400000_NS6detail17trampoline_kernelINS0_14default_configENS1_25partition_config_selectorILNS1_17partition_subalgoE6EjNS0_10empty_typeEbEEZZNS1_14partition_implILS5_6ELb0ES3_mN6thrust23THRUST_200600_302600_NS6detail15normal_iteratorINSA_10device_ptrIjEEEEPS6_SG_NS0_5tupleIJNSA_16discard_iteratorINSA_11use_defaultEEES6_EEENSH_IJSG_SG_EEES6_PlJNSB_9not_fun_tINSB_14equal_to_valueIjEEEEEEE10hipError_tPvRmT3_T4_T5_T6_T7_T9_mT8_P12ihipStream_tbDpT10_ENKUlT_T0_E_clISt17integral_constantIbLb1EES1B_EEDaS16_S17_EUlS16_E_NS1_11comp_targetILNS1_3genE2ELNS1_11target_archE906ELNS1_3gpuE6ELNS1_3repE0EEENS1_30default_config_static_selectorELNS0_4arch9wavefront6targetE0EEEvT1_.uses_vcc, 0
	.set _ZN7rocprim17ROCPRIM_400000_NS6detail17trampoline_kernelINS0_14default_configENS1_25partition_config_selectorILNS1_17partition_subalgoE6EjNS0_10empty_typeEbEEZZNS1_14partition_implILS5_6ELb0ES3_mN6thrust23THRUST_200600_302600_NS6detail15normal_iteratorINSA_10device_ptrIjEEEEPS6_SG_NS0_5tupleIJNSA_16discard_iteratorINSA_11use_defaultEEES6_EEENSH_IJSG_SG_EEES6_PlJNSB_9not_fun_tINSB_14equal_to_valueIjEEEEEEE10hipError_tPvRmT3_T4_T5_T6_T7_T9_mT8_P12ihipStream_tbDpT10_ENKUlT_T0_E_clISt17integral_constantIbLb1EES1B_EEDaS16_S17_EUlS16_E_NS1_11comp_targetILNS1_3genE2ELNS1_11target_archE906ELNS1_3gpuE6ELNS1_3repE0EEENS1_30default_config_static_selectorELNS0_4arch9wavefront6targetE0EEEvT1_.uses_flat_scratch, 0
	.set _ZN7rocprim17ROCPRIM_400000_NS6detail17trampoline_kernelINS0_14default_configENS1_25partition_config_selectorILNS1_17partition_subalgoE6EjNS0_10empty_typeEbEEZZNS1_14partition_implILS5_6ELb0ES3_mN6thrust23THRUST_200600_302600_NS6detail15normal_iteratorINSA_10device_ptrIjEEEEPS6_SG_NS0_5tupleIJNSA_16discard_iteratorINSA_11use_defaultEEES6_EEENSH_IJSG_SG_EEES6_PlJNSB_9not_fun_tINSB_14equal_to_valueIjEEEEEEE10hipError_tPvRmT3_T4_T5_T6_T7_T9_mT8_P12ihipStream_tbDpT10_ENKUlT_T0_E_clISt17integral_constantIbLb1EES1B_EEDaS16_S17_EUlS16_E_NS1_11comp_targetILNS1_3genE2ELNS1_11target_archE906ELNS1_3gpuE6ELNS1_3repE0EEENS1_30default_config_static_selectorELNS0_4arch9wavefront6targetE0EEEvT1_.has_dyn_sized_stack, 0
	.set _ZN7rocprim17ROCPRIM_400000_NS6detail17trampoline_kernelINS0_14default_configENS1_25partition_config_selectorILNS1_17partition_subalgoE6EjNS0_10empty_typeEbEEZZNS1_14partition_implILS5_6ELb0ES3_mN6thrust23THRUST_200600_302600_NS6detail15normal_iteratorINSA_10device_ptrIjEEEEPS6_SG_NS0_5tupleIJNSA_16discard_iteratorINSA_11use_defaultEEES6_EEENSH_IJSG_SG_EEES6_PlJNSB_9not_fun_tINSB_14equal_to_valueIjEEEEEEE10hipError_tPvRmT3_T4_T5_T6_T7_T9_mT8_P12ihipStream_tbDpT10_ENKUlT_T0_E_clISt17integral_constantIbLb1EES1B_EEDaS16_S17_EUlS16_E_NS1_11comp_targetILNS1_3genE2ELNS1_11target_archE906ELNS1_3gpuE6ELNS1_3repE0EEENS1_30default_config_static_selectorELNS0_4arch9wavefront6targetE0EEEvT1_.has_recursion, 0
	.set _ZN7rocprim17ROCPRIM_400000_NS6detail17trampoline_kernelINS0_14default_configENS1_25partition_config_selectorILNS1_17partition_subalgoE6EjNS0_10empty_typeEbEEZZNS1_14partition_implILS5_6ELb0ES3_mN6thrust23THRUST_200600_302600_NS6detail15normal_iteratorINSA_10device_ptrIjEEEEPS6_SG_NS0_5tupleIJNSA_16discard_iteratorINSA_11use_defaultEEES6_EEENSH_IJSG_SG_EEES6_PlJNSB_9not_fun_tINSB_14equal_to_valueIjEEEEEEE10hipError_tPvRmT3_T4_T5_T6_T7_T9_mT8_P12ihipStream_tbDpT10_ENKUlT_T0_E_clISt17integral_constantIbLb1EES1B_EEDaS16_S17_EUlS16_E_NS1_11comp_targetILNS1_3genE2ELNS1_11target_archE906ELNS1_3gpuE6ELNS1_3repE0EEENS1_30default_config_static_selectorELNS0_4arch9wavefront6targetE0EEEvT1_.has_indirect_call, 0
	.section	.AMDGPU.csdata,"",@progbits
; Kernel info:
; codeLenInByte = 0
; TotalNumSgprs: 0
; NumVgprs: 0
; ScratchSize: 0
; MemoryBound: 0
; FloatMode: 240
; IeeeMode: 1
; LDSByteSize: 0 bytes/workgroup (compile time only)
; SGPRBlocks: 0
; VGPRBlocks: 0
; NumSGPRsForWavesPerEU: 1
; NumVGPRsForWavesPerEU: 1
; Occupancy: 16
; WaveLimiterHint : 0
; COMPUTE_PGM_RSRC2:SCRATCH_EN: 0
; COMPUTE_PGM_RSRC2:USER_SGPR: 2
; COMPUTE_PGM_RSRC2:TRAP_HANDLER: 0
; COMPUTE_PGM_RSRC2:TGID_X_EN: 1
; COMPUTE_PGM_RSRC2:TGID_Y_EN: 0
; COMPUTE_PGM_RSRC2:TGID_Z_EN: 0
; COMPUTE_PGM_RSRC2:TIDIG_COMP_CNT: 0
	.section	.text._ZN7rocprim17ROCPRIM_400000_NS6detail17trampoline_kernelINS0_14default_configENS1_25partition_config_selectorILNS1_17partition_subalgoE6EjNS0_10empty_typeEbEEZZNS1_14partition_implILS5_6ELb0ES3_mN6thrust23THRUST_200600_302600_NS6detail15normal_iteratorINSA_10device_ptrIjEEEEPS6_SG_NS0_5tupleIJNSA_16discard_iteratorINSA_11use_defaultEEES6_EEENSH_IJSG_SG_EEES6_PlJNSB_9not_fun_tINSB_14equal_to_valueIjEEEEEEE10hipError_tPvRmT3_T4_T5_T6_T7_T9_mT8_P12ihipStream_tbDpT10_ENKUlT_T0_E_clISt17integral_constantIbLb1EES1B_EEDaS16_S17_EUlS16_E_NS1_11comp_targetILNS1_3genE10ELNS1_11target_archE1200ELNS1_3gpuE4ELNS1_3repE0EEENS1_30default_config_static_selectorELNS0_4arch9wavefront6targetE0EEEvT1_,"axG",@progbits,_ZN7rocprim17ROCPRIM_400000_NS6detail17trampoline_kernelINS0_14default_configENS1_25partition_config_selectorILNS1_17partition_subalgoE6EjNS0_10empty_typeEbEEZZNS1_14partition_implILS5_6ELb0ES3_mN6thrust23THRUST_200600_302600_NS6detail15normal_iteratorINSA_10device_ptrIjEEEEPS6_SG_NS0_5tupleIJNSA_16discard_iteratorINSA_11use_defaultEEES6_EEENSH_IJSG_SG_EEES6_PlJNSB_9not_fun_tINSB_14equal_to_valueIjEEEEEEE10hipError_tPvRmT3_T4_T5_T6_T7_T9_mT8_P12ihipStream_tbDpT10_ENKUlT_T0_E_clISt17integral_constantIbLb1EES1B_EEDaS16_S17_EUlS16_E_NS1_11comp_targetILNS1_3genE10ELNS1_11target_archE1200ELNS1_3gpuE4ELNS1_3repE0EEENS1_30default_config_static_selectorELNS0_4arch9wavefront6targetE0EEEvT1_,comdat
	.protected	_ZN7rocprim17ROCPRIM_400000_NS6detail17trampoline_kernelINS0_14default_configENS1_25partition_config_selectorILNS1_17partition_subalgoE6EjNS0_10empty_typeEbEEZZNS1_14partition_implILS5_6ELb0ES3_mN6thrust23THRUST_200600_302600_NS6detail15normal_iteratorINSA_10device_ptrIjEEEEPS6_SG_NS0_5tupleIJNSA_16discard_iteratorINSA_11use_defaultEEES6_EEENSH_IJSG_SG_EEES6_PlJNSB_9not_fun_tINSB_14equal_to_valueIjEEEEEEE10hipError_tPvRmT3_T4_T5_T6_T7_T9_mT8_P12ihipStream_tbDpT10_ENKUlT_T0_E_clISt17integral_constantIbLb1EES1B_EEDaS16_S17_EUlS16_E_NS1_11comp_targetILNS1_3genE10ELNS1_11target_archE1200ELNS1_3gpuE4ELNS1_3repE0EEENS1_30default_config_static_selectorELNS0_4arch9wavefront6targetE0EEEvT1_ ; -- Begin function _ZN7rocprim17ROCPRIM_400000_NS6detail17trampoline_kernelINS0_14default_configENS1_25partition_config_selectorILNS1_17partition_subalgoE6EjNS0_10empty_typeEbEEZZNS1_14partition_implILS5_6ELb0ES3_mN6thrust23THRUST_200600_302600_NS6detail15normal_iteratorINSA_10device_ptrIjEEEEPS6_SG_NS0_5tupleIJNSA_16discard_iteratorINSA_11use_defaultEEES6_EEENSH_IJSG_SG_EEES6_PlJNSB_9not_fun_tINSB_14equal_to_valueIjEEEEEEE10hipError_tPvRmT3_T4_T5_T6_T7_T9_mT8_P12ihipStream_tbDpT10_ENKUlT_T0_E_clISt17integral_constantIbLb1EES1B_EEDaS16_S17_EUlS16_E_NS1_11comp_targetILNS1_3genE10ELNS1_11target_archE1200ELNS1_3gpuE4ELNS1_3repE0EEENS1_30default_config_static_selectorELNS0_4arch9wavefront6targetE0EEEvT1_
	.globl	_ZN7rocprim17ROCPRIM_400000_NS6detail17trampoline_kernelINS0_14default_configENS1_25partition_config_selectorILNS1_17partition_subalgoE6EjNS0_10empty_typeEbEEZZNS1_14partition_implILS5_6ELb0ES3_mN6thrust23THRUST_200600_302600_NS6detail15normal_iteratorINSA_10device_ptrIjEEEEPS6_SG_NS0_5tupleIJNSA_16discard_iteratorINSA_11use_defaultEEES6_EEENSH_IJSG_SG_EEES6_PlJNSB_9not_fun_tINSB_14equal_to_valueIjEEEEEEE10hipError_tPvRmT3_T4_T5_T6_T7_T9_mT8_P12ihipStream_tbDpT10_ENKUlT_T0_E_clISt17integral_constantIbLb1EES1B_EEDaS16_S17_EUlS16_E_NS1_11comp_targetILNS1_3genE10ELNS1_11target_archE1200ELNS1_3gpuE4ELNS1_3repE0EEENS1_30default_config_static_selectorELNS0_4arch9wavefront6targetE0EEEvT1_
	.p2align	8
	.type	_ZN7rocprim17ROCPRIM_400000_NS6detail17trampoline_kernelINS0_14default_configENS1_25partition_config_selectorILNS1_17partition_subalgoE6EjNS0_10empty_typeEbEEZZNS1_14partition_implILS5_6ELb0ES3_mN6thrust23THRUST_200600_302600_NS6detail15normal_iteratorINSA_10device_ptrIjEEEEPS6_SG_NS0_5tupleIJNSA_16discard_iteratorINSA_11use_defaultEEES6_EEENSH_IJSG_SG_EEES6_PlJNSB_9not_fun_tINSB_14equal_to_valueIjEEEEEEE10hipError_tPvRmT3_T4_T5_T6_T7_T9_mT8_P12ihipStream_tbDpT10_ENKUlT_T0_E_clISt17integral_constantIbLb1EES1B_EEDaS16_S17_EUlS16_E_NS1_11comp_targetILNS1_3genE10ELNS1_11target_archE1200ELNS1_3gpuE4ELNS1_3repE0EEENS1_30default_config_static_selectorELNS0_4arch9wavefront6targetE0EEEvT1_,@function
_ZN7rocprim17ROCPRIM_400000_NS6detail17trampoline_kernelINS0_14default_configENS1_25partition_config_selectorILNS1_17partition_subalgoE6EjNS0_10empty_typeEbEEZZNS1_14partition_implILS5_6ELb0ES3_mN6thrust23THRUST_200600_302600_NS6detail15normal_iteratorINSA_10device_ptrIjEEEEPS6_SG_NS0_5tupleIJNSA_16discard_iteratorINSA_11use_defaultEEES6_EEENSH_IJSG_SG_EEES6_PlJNSB_9not_fun_tINSB_14equal_to_valueIjEEEEEEE10hipError_tPvRmT3_T4_T5_T6_T7_T9_mT8_P12ihipStream_tbDpT10_ENKUlT_T0_E_clISt17integral_constantIbLb1EES1B_EEDaS16_S17_EUlS16_E_NS1_11comp_targetILNS1_3genE10ELNS1_11target_archE1200ELNS1_3gpuE4ELNS1_3repE0EEENS1_30default_config_static_selectorELNS0_4arch9wavefront6targetE0EEEvT1_: ; @_ZN7rocprim17ROCPRIM_400000_NS6detail17trampoline_kernelINS0_14default_configENS1_25partition_config_selectorILNS1_17partition_subalgoE6EjNS0_10empty_typeEbEEZZNS1_14partition_implILS5_6ELb0ES3_mN6thrust23THRUST_200600_302600_NS6detail15normal_iteratorINSA_10device_ptrIjEEEEPS6_SG_NS0_5tupleIJNSA_16discard_iteratorINSA_11use_defaultEEES6_EEENSH_IJSG_SG_EEES6_PlJNSB_9not_fun_tINSB_14equal_to_valueIjEEEEEEE10hipError_tPvRmT3_T4_T5_T6_T7_T9_mT8_P12ihipStream_tbDpT10_ENKUlT_T0_E_clISt17integral_constantIbLb1EES1B_EEDaS16_S17_EUlS16_E_NS1_11comp_targetILNS1_3genE10ELNS1_11target_archE1200ELNS1_3gpuE4ELNS1_3repE0EEENS1_30default_config_static_selectorELNS0_4arch9wavefront6targetE0EEEvT1_
; %bb.0:
	s_endpgm
	.section	.rodata,"a",@progbits
	.p2align	6, 0x0
	.amdhsa_kernel _ZN7rocprim17ROCPRIM_400000_NS6detail17trampoline_kernelINS0_14default_configENS1_25partition_config_selectorILNS1_17partition_subalgoE6EjNS0_10empty_typeEbEEZZNS1_14partition_implILS5_6ELb0ES3_mN6thrust23THRUST_200600_302600_NS6detail15normal_iteratorINSA_10device_ptrIjEEEEPS6_SG_NS0_5tupleIJNSA_16discard_iteratorINSA_11use_defaultEEES6_EEENSH_IJSG_SG_EEES6_PlJNSB_9not_fun_tINSB_14equal_to_valueIjEEEEEEE10hipError_tPvRmT3_T4_T5_T6_T7_T9_mT8_P12ihipStream_tbDpT10_ENKUlT_T0_E_clISt17integral_constantIbLb1EES1B_EEDaS16_S17_EUlS16_E_NS1_11comp_targetILNS1_3genE10ELNS1_11target_archE1200ELNS1_3gpuE4ELNS1_3repE0EEENS1_30default_config_static_selectorELNS0_4arch9wavefront6targetE0EEEvT1_
		.amdhsa_group_segment_fixed_size 0
		.amdhsa_private_segment_fixed_size 0
		.amdhsa_kernarg_size 136
		.amdhsa_user_sgpr_count 2
		.amdhsa_user_sgpr_dispatch_ptr 0
		.amdhsa_user_sgpr_queue_ptr 0
		.amdhsa_user_sgpr_kernarg_segment_ptr 1
		.amdhsa_user_sgpr_dispatch_id 0
		.amdhsa_user_sgpr_private_segment_size 0
		.amdhsa_wavefront_size32 1
		.amdhsa_uses_dynamic_stack 0
		.amdhsa_enable_private_segment 0
		.amdhsa_system_sgpr_workgroup_id_x 1
		.amdhsa_system_sgpr_workgroup_id_y 0
		.amdhsa_system_sgpr_workgroup_id_z 0
		.amdhsa_system_sgpr_workgroup_info 0
		.amdhsa_system_vgpr_workitem_id 0
		.amdhsa_next_free_vgpr 1
		.amdhsa_next_free_sgpr 1
		.amdhsa_reserve_vcc 0
		.amdhsa_float_round_mode_32 0
		.amdhsa_float_round_mode_16_64 0
		.amdhsa_float_denorm_mode_32 3
		.amdhsa_float_denorm_mode_16_64 3
		.amdhsa_fp16_overflow 0
		.amdhsa_workgroup_processor_mode 1
		.amdhsa_memory_ordered 1
		.amdhsa_forward_progress 1
		.amdhsa_inst_pref_size 1
		.amdhsa_round_robin_scheduling 0
		.amdhsa_exception_fp_ieee_invalid_op 0
		.amdhsa_exception_fp_denorm_src 0
		.amdhsa_exception_fp_ieee_div_zero 0
		.amdhsa_exception_fp_ieee_overflow 0
		.amdhsa_exception_fp_ieee_underflow 0
		.amdhsa_exception_fp_ieee_inexact 0
		.amdhsa_exception_int_div_zero 0
	.end_amdhsa_kernel
	.section	.text._ZN7rocprim17ROCPRIM_400000_NS6detail17trampoline_kernelINS0_14default_configENS1_25partition_config_selectorILNS1_17partition_subalgoE6EjNS0_10empty_typeEbEEZZNS1_14partition_implILS5_6ELb0ES3_mN6thrust23THRUST_200600_302600_NS6detail15normal_iteratorINSA_10device_ptrIjEEEEPS6_SG_NS0_5tupleIJNSA_16discard_iteratorINSA_11use_defaultEEES6_EEENSH_IJSG_SG_EEES6_PlJNSB_9not_fun_tINSB_14equal_to_valueIjEEEEEEE10hipError_tPvRmT3_T4_T5_T6_T7_T9_mT8_P12ihipStream_tbDpT10_ENKUlT_T0_E_clISt17integral_constantIbLb1EES1B_EEDaS16_S17_EUlS16_E_NS1_11comp_targetILNS1_3genE10ELNS1_11target_archE1200ELNS1_3gpuE4ELNS1_3repE0EEENS1_30default_config_static_selectorELNS0_4arch9wavefront6targetE0EEEvT1_,"axG",@progbits,_ZN7rocprim17ROCPRIM_400000_NS6detail17trampoline_kernelINS0_14default_configENS1_25partition_config_selectorILNS1_17partition_subalgoE6EjNS0_10empty_typeEbEEZZNS1_14partition_implILS5_6ELb0ES3_mN6thrust23THRUST_200600_302600_NS6detail15normal_iteratorINSA_10device_ptrIjEEEEPS6_SG_NS0_5tupleIJNSA_16discard_iteratorINSA_11use_defaultEEES6_EEENSH_IJSG_SG_EEES6_PlJNSB_9not_fun_tINSB_14equal_to_valueIjEEEEEEE10hipError_tPvRmT3_T4_T5_T6_T7_T9_mT8_P12ihipStream_tbDpT10_ENKUlT_T0_E_clISt17integral_constantIbLb1EES1B_EEDaS16_S17_EUlS16_E_NS1_11comp_targetILNS1_3genE10ELNS1_11target_archE1200ELNS1_3gpuE4ELNS1_3repE0EEENS1_30default_config_static_selectorELNS0_4arch9wavefront6targetE0EEEvT1_,comdat
.Lfunc_end1674:
	.size	_ZN7rocprim17ROCPRIM_400000_NS6detail17trampoline_kernelINS0_14default_configENS1_25partition_config_selectorILNS1_17partition_subalgoE6EjNS0_10empty_typeEbEEZZNS1_14partition_implILS5_6ELb0ES3_mN6thrust23THRUST_200600_302600_NS6detail15normal_iteratorINSA_10device_ptrIjEEEEPS6_SG_NS0_5tupleIJNSA_16discard_iteratorINSA_11use_defaultEEES6_EEENSH_IJSG_SG_EEES6_PlJNSB_9not_fun_tINSB_14equal_to_valueIjEEEEEEE10hipError_tPvRmT3_T4_T5_T6_T7_T9_mT8_P12ihipStream_tbDpT10_ENKUlT_T0_E_clISt17integral_constantIbLb1EES1B_EEDaS16_S17_EUlS16_E_NS1_11comp_targetILNS1_3genE10ELNS1_11target_archE1200ELNS1_3gpuE4ELNS1_3repE0EEENS1_30default_config_static_selectorELNS0_4arch9wavefront6targetE0EEEvT1_, .Lfunc_end1674-_ZN7rocprim17ROCPRIM_400000_NS6detail17trampoline_kernelINS0_14default_configENS1_25partition_config_selectorILNS1_17partition_subalgoE6EjNS0_10empty_typeEbEEZZNS1_14partition_implILS5_6ELb0ES3_mN6thrust23THRUST_200600_302600_NS6detail15normal_iteratorINSA_10device_ptrIjEEEEPS6_SG_NS0_5tupleIJNSA_16discard_iteratorINSA_11use_defaultEEES6_EEENSH_IJSG_SG_EEES6_PlJNSB_9not_fun_tINSB_14equal_to_valueIjEEEEEEE10hipError_tPvRmT3_T4_T5_T6_T7_T9_mT8_P12ihipStream_tbDpT10_ENKUlT_T0_E_clISt17integral_constantIbLb1EES1B_EEDaS16_S17_EUlS16_E_NS1_11comp_targetILNS1_3genE10ELNS1_11target_archE1200ELNS1_3gpuE4ELNS1_3repE0EEENS1_30default_config_static_selectorELNS0_4arch9wavefront6targetE0EEEvT1_
                                        ; -- End function
	.set _ZN7rocprim17ROCPRIM_400000_NS6detail17trampoline_kernelINS0_14default_configENS1_25partition_config_selectorILNS1_17partition_subalgoE6EjNS0_10empty_typeEbEEZZNS1_14partition_implILS5_6ELb0ES3_mN6thrust23THRUST_200600_302600_NS6detail15normal_iteratorINSA_10device_ptrIjEEEEPS6_SG_NS0_5tupleIJNSA_16discard_iteratorINSA_11use_defaultEEES6_EEENSH_IJSG_SG_EEES6_PlJNSB_9not_fun_tINSB_14equal_to_valueIjEEEEEEE10hipError_tPvRmT3_T4_T5_T6_T7_T9_mT8_P12ihipStream_tbDpT10_ENKUlT_T0_E_clISt17integral_constantIbLb1EES1B_EEDaS16_S17_EUlS16_E_NS1_11comp_targetILNS1_3genE10ELNS1_11target_archE1200ELNS1_3gpuE4ELNS1_3repE0EEENS1_30default_config_static_selectorELNS0_4arch9wavefront6targetE0EEEvT1_.num_vgpr, 0
	.set _ZN7rocprim17ROCPRIM_400000_NS6detail17trampoline_kernelINS0_14default_configENS1_25partition_config_selectorILNS1_17partition_subalgoE6EjNS0_10empty_typeEbEEZZNS1_14partition_implILS5_6ELb0ES3_mN6thrust23THRUST_200600_302600_NS6detail15normal_iteratorINSA_10device_ptrIjEEEEPS6_SG_NS0_5tupleIJNSA_16discard_iteratorINSA_11use_defaultEEES6_EEENSH_IJSG_SG_EEES6_PlJNSB_9not_fun_tINSB_14equal_to_valueIjEEEEEEE10hipError_tPvRmT3_T4_T5_T6_T7_T9_mT8_P12ihipStream_tbDpT10_ENKUlT_T0_E_clISt17integral_constantIbLb1EES1B_EEDaS16_S17_EUlS16_E_NS1_11comp_targetILNS1_3genE10ELNS1_11target_archE1200ELNS1_3gpuE4ELNS1_3repE0EEENS1_30default_config_static_selectorELNS0_4arch9wavefront6targetE0EEEvT1_.num_agpr, 0
	.set _ZN7rocprim17ROCPRIM_400000_NS6detail17trampoline_kernelINS0_14default_configENS1_25partition_config_selectorILNS1_17partition_subalgoE6EjNS0_10empty_typeEbEEZZNS1_14partition_implILS5_6ELb0ES3_mN6thrust23THRUST_200600_302600_NS6detail15normal_iteratorINSA_10device_ptrIjEEEEPS6_SG_NS0_5tupleIJNSA_16discard_iteratorINSA_11use_defaultEEES6_EEENSH_IJSG_SG_EEES6_PlJNSB_9not_fun_tINSB_14equal_to_valueIjEEEEEEE10hipError_tPvRmT3_T4_T5_T6_T7_T9_mT8_P12ihipStream_tbDpT10_ENKUlT_T0_E_clISt17integral_constantIbLb1EES1B_EEDaS16_S17_EUlS16_E_NS1_11comp_targetILNS1_3genE10ELNS1_11target_archE1200ELNS1_3gpuE4ELNS1_3repE0EEENS1_30default_config_static_selectorELNS0_4arch9wavefront6targetE0EEEvT1_.numbered_sgpr, 0
	.set _ZN7rocprim17ROCPRIM_400000_NS6detail17trampoline_kernelINS0_14default_configENS1_25partition_config_selectorILNS1_17partition_subalgoE6EjNS0_10empty_typeEbEEZZNS1_14partition_implILS5_6ELb0ES3_mN6thrust23THRUST_200600_302600_NS6detail15normal_iteratorINSA_10device_ptrIjEEEEPS6_SG_NS0_5tupleIJNSA_16discard_iteratorINSA_11use_defaultEEES6_EEENSH_IJSG_SG_EEES6_PlJNSB_9not_fun_tINSB_14equal_to_valueIjEEEEEEE10hipError_tPvRmT3_T4_T5_T6_T7_T9_mT8_P12ihipStream_tbDpT10_ENKUlT_T0_E_clISt17integral_constantIbLb1EES1B_EEDaS16_S17_EUlS16_E_NS1_11comp_targetILNS1_3genE10ELNS1_11target_archE1200ELNS1_3gpuE4ELNS1_3repE0EEENS1_30default_config_static_selectorELNS0_4arch9wavefront6targetE0EEEvT1_.num_named_barrier, 0
	.set _ZN7rocprim17ROCPRIM_400000_NS6detail17trampoline_kernelINS0_14default_configENS1_25partition_config_selectorILNS1_17partition_subalgoE6EjNS0_10empty_typeEbEEZZNS1_14partition_implILS5_6ELb0ES3_mN6thrust23THRUST_200600_302600_NS6detail15normal_iteratorINSA_10device_ptrIjEEEEPS6_SG_NS0_5tupleIJNSA_16discard_iteratorINSA_11use_defaultEEES6_EEENSH_IJSG_SG_EEES6_PlJNSB_9not_fun_tINSB_14equal_to_valueIjEEEEEEE10hipError_tPvRmT3_T4_T5_T6_T7_T9_mT8_P12ihipStream_tbDpT10_ENKUlT_T0_E_clISt17integral_constantIbLb1EES1B_EEDaS16_S17_EUlS16_E_NS1_11comp_targetILNS1_3genE10ELNS1_11target_archE1200ELNS1_3gpuE4ELNS1_3repE0EEENS1_30default_config_static_selectorELNS0_4arch9wavefront6targetE0EEEvT1_.private_seg_size, 0
	.set _ZN7rocprim17ROCPRIM_400000_NS6detail17trampoline_kernelINS0_14default_configENS1_25partition_config_selectorILNS1_17partition_subalgoE6EjNS0_10empty_typeEbEEZZNS1_14partition_implILS5_6ELb0ES3_mN6thrust23THRUST_200600_302600_NS6detail15normal_iteratorINSA_10device_ptrIjEEEEPS6_SG_NS0_5tupleIJNSA_16discard_iteratorINSA_11use_defaultEEES6_EEENSH_IJSG_SG_EEES6_PlJNSB_9not_fun_tINSB_14equal_to_valueIjEEEEEEE10hipError_tPvRmT3_T4_T5_T6_T7_T9_mT8_P12ihipStream_tbDpT10_ENKUlT_T0_E_clISt17integral_constantIbLb1EES1B_EEDaS16_S17_EUlS16_E_NS1_11comp_targetILNS1_3genE10ELNS1_11target_archE1200ELNS1_3gpuE4ELNS1_3repE0EEENS1_30default_config_static_selectorELNS0_4arch9wavefront6targetE0EEEvT1_.uses_vcc, 0
	.set _ZN7rocprim17ROCPRIM_400000_NS6detail17trampoline_kernelINS0_14default_configENS1_25partition_config_selectorILNS1_17partition_subalgoE6EjNS0_10empty_typeEbEEZZNS1_14partition_implILS5_6ELb0ES3_mN6thrust23THRUST_200600_302600_NS6detail15normal_iteratorINSA_10device_ptrIjEEEEPS6_SG_NS0_5tupleIJNSA_16discard_iteratorINSA_11use_defaultEEES6_EEENSH_IJSG_SG_EEES6_PlJNSB_9not_fun_tINSB_14equal_to_valueIjEEEEEEE10hipError_tPvRmT3_T4_T5_T6_T7_T9_mT8_P12ihipStream_tbDpT10_ENKUlT_T0_E_clISt17integral_constantIbLb1EES1B_EEDaS16_S17_EUlS16_E_NS1_11comp_targetILNS1_3genE10ELNS1_11target_archE1200ELNS1_3gpuE4ELNS1_3repE0EEENS1_30default_config_static_selectorELNS0_4arch9wavefront6targetE0EEEvT1_.uses_flat_scratch, 0
	.set _ZN7rocprim17ROCPRIM_400000_NS6detail17trampoline_kernelINS0_14default_configENS1_25partition_config_selectorILNS1_17partition_subalgoE6EjNS0_10empty_typeEbEEZZNS1_14partition_implILS5_6ELb0ES3_mN6thrust23THRUST_200600_302600_NS6detail15normal_iteratorINSA_10device_ptrIjEEEEPS6_SG_NS0_5tupleIJNSA_16discard_iteratorINSA_11use_defaultEEES6_EEENSH_IJSG_SG_EEES6_PlJNSB_9not_fun_tINSB_14equal_to_valueIjEEEEEEE10hipError_tPvRmT3_T4_T5_T6_T7_T9_mT8_P12ihipStream_tbDpT10_ENKUlT_T0_E_clISt17integral_constantIbLb1EES1B_EEDaS16_S17_EUlS16_E_NS1_11comp_targetILNS1_3genE10ELNS1_11target_archE1200ELNS1_3gpuE4ELNS1_3repE0EEENS1_30default_config_static_selectorELNS0_4arch9wavefront6targetE0EEEvT1_.has_dyn_sized_stack, 0
	.set _ZN7rocprim17ROCPRIM_400000_NS6detail17trampoline_kernelINS0_14default_configENS1_25partition_config_selectorILNS1_17partition_subalgoE6EjNS0_10empty_typeEbEEZZNS1_14partition_implILS5_6ELb0ES3_mN6thrust23THRUST_200600_302600_NS6detail15normal_iteratorINSA_10device_ptrIjEEEEPS6_SG_NS0_5tupleIJNSA_16discard_iteratorINSA_11use_defaultEEES6_EEENSH_IJSG_SG_EEES6_PlJNSB_9not_fun_tINSB_14equal_to_valueIjEEEEEEE10hipError_tPvRmT3_T4_T5_T6_T7_T9_mT8_P12ihipStream_tbDpT10_ENKUlT_T0_E_clISt17integral_constantIbLb1EES1B_EEDaS16_S17_EUlS16_E_NS1_11comp_targetILNS1_3genE10ELNS1_11target_archE1200ELNS1_3gpuE4ELNS1_3repE0EEENS1_30default_config_static_selectorELNS0_4arch9wavefront6targetE0EEEvT1_.has_recursion, 0
	.set _ZN7rocprim17ROCPRIM_400000_NS6detail17trampoline_kernelINS0_14default_configENS1_25partition_config_selectorILNS1_17partition_subalgoE6EjNS0_10empty_typeEbEEZZNS1_14partition_implILS5_6ELb0ES3_mN6thrust23THRUST_200600_302600_NS6detail15normal_iteratorINSA_10device_ptrIjEEEEPS6_SG_NS0_5tupleIJNSA_16discard_iteratorINSA_11use_defaultEEES6_EEENSH_IJSG_SG_EEES6_PlJNSB_9not_fun_tINSB_14equal_to_valueIjEEEEEEE10hipError_tPvRmT3_T4_T5_T6_T7_T9_mT8_P12ihipStream_tbDpT10_ENKUlT_T0_E_clISt17integral_constantIbLb1EES1B_EEDaS16_S17_EUlS16_E_NS1_11comp_targetILNS1_3genE10ELNS1_11target_archE1200ELNS1_3gpuE4ELNS1_3repE0EEENS1_30default_config_static_selectorELNS0_4arch9wavefront6targetE0EEEvT1_.has_indirect_call, 0
	.section	.AMDGPU.csdata,"",@progbits
; Kernel info:
; codeLenInByte = 4
; TotalNumSgprs: 0
; NumVgprs: 0
; ScratchSize: 0
; MemoryBound: 0
; FloatMode: 240
; IeeeMode: 1
; LDSByteSize: 0 bytes/workgroup (compile time only)
; SGPRBlocks: 0
; VGPRBlocks: 0
; NumSGPRsForWavesPerEU: 1
; NumVGPRsForWavesPerEU: 1
; Occupancy: 16
; WaveLimiterHint : 0
; COMPUTE_PGM_RSRC2:SCRATCH_EN: 0
; COMPUTE_PGM_RSRC2:USER_SGPR: 2
; COMPUTE_PGM_RSRC2:TRAP_HANDLER: 0
; COMPUTE_PGM_RSRC2:TGID_X_EN: 1
; COMPUTE_PGM_RSRC2:TGID_Y_EN: 0
; COMPUTE_PGM_RSRC2:TGID_Z_EN: 0
; COMPUTE_PGM_RSRC2:TIDIG_COMP_CNT: 0
	.section	.text._ZN7rocprim17ROCPRIM_400000_NS6detail17trampoline_kernelINS0_14default_configENS1_25partition_config_selectorILNS1_17partition_subalgoE6EjNS0_10empty_typeEbEEZZNS1_14partition_implILS5_6ELb0ES3_mN6thrust23THRUST_200600_302600_NS6detail15normal_iteratorINSA_10device_ptrIjEEEEPS6_SG_NS0_5tupleIJNSA_16discard_iteratorINSA_11use_defaultEEES6_EEENSH_IJSG_SG_EEES6_PlJNSB_9not_fun_tINSB_14equal_to_valueIjEEEEEEE10hipError_tPvRmT3_T4_T5_T6_T7_T9_mT8_P12ihipStream_tbDpT10_ENKUlT_T0_E_clISt17integral_constantIbLb1EES1B_EEDaS16_S17_EUlS16_E_NS1_11comp_targetILNS1_3genE9ELNS1_11target_archE1100ELNS1_3gpuE3ELNS1_3repE0EEENS1_30default_config_static_selectorELNS0_4arch9wavefront6targetE0EEEvT1_,"axG",@progbits,_ZN7rocprim17ROCPRIM_400000_NS6detail17trampoline_kernelINS0_14default_configENS1_25partition_config_selectorILNS1_17partition_subalgoE6EjNS0_10empty_typeEbEEZZNS1_14partition_implILS5_6ELb0ES3_mN6thrust23THRUST_200600_302600_NS6detail15normal_iteratorINSA_10device_ptrIjEEEEPS6_SG_NS0_5tupleIJNSA_16discard_iteratorINSA_11use_defaultEEES6_EEENSH_IJSG_SG_EEES6_PlJNSB_9not_fun_tINSB_14equal_to_valueIjEEEEEEE10hipError_tPvRmT3_T4_T5_T6_T7_T9_mT8_P12ihipStream_tbDpT10_ENKUlT_T0_E_clISt17integral_constantIbLb1EES1B_EEDaS16_S17_EUlS16_E_NS1_11comp_targetILNS1_3genE9ELNS1_11target_archE1100ELNS1_3gpuE3ELNS1_3repE0EEENS1_30default_config_static_selectorELNS0_4arch9wavefront6targetE0EEEvT1_,comdat
	.protected	_ZN7rocprim17ROCPRIM_400000_NS6detail17trampoline_kernelINS0_14default_configENS1_25partition_config_selectorILNS1_17partition_subalgoE6EjNS0_10empty_typeEbEEZZNS1_14partition_implILS5_6ELb0ES3_mN6thrust23THRUST_200600_302600_NS6detail15normal_iteratorINSA_10device_ptrIjEEEEPS6_SG_NS0_5tupleIJNSA_16discard_iteratorINSA_11use_defaultEEES6_EEENSH_IJSG_SG_EEES6_PlJNSB_9not_fun_tINSB_14equal_to_valueIjEEEEEEE10hipError_tPvRmT3_T4_T5_T6_T7_T9_mT8_P12ihipStream_tbDpT10_ENKUlT_T0_E_clISt17integral_constantIbLb1EES1B_EEDaS16_S17_EUlS16_E_NS1_11comp_targetILNS1_3genE9ELNS1_11target_archE1100ELNS1_3gpuE3ELNS1_3repE0EEENS1_30default_config_static_selectorELNS0_4arch9wavefront6targetE0EEEvT1_ ; -- Begin function _ZN7rocprim17ROCPRIM_400000_NS6detail17trampoline_kernelINS0_14default_configENS1_25partition_config_selectorILNS1_17partition_subalgoE6EjNS0_10empty_typeEbEEZZNS1_14partition_implILS5_6ELb0ES3_mN6thrust23THRUST_200600_302600_NS6detail15normal_iteratorINSA_10device_ptrIjEEEEPS6_SG_NS0_5tupleIJNSA_16discard_iteratorINSA_11use_defaultEEES6_EEENSH_IJSG_SG_EEES6_PlJNSB_9not_fun_tINSB_14equal_to_valueIjEEEEEEE10hipError_tPvRmT3_T4_T5_T6_T7_T9_mT8_P12ihipStream_tbDpT10_ENKUlT_T0_E_clISt17integral_constantIbLb1EES1B_EEDaS16_S17_EUlS16_E_NS1_11comp_targetILNS1_3genE9ELNS1_11target_archE1100ELNS1_3gpuE3ELNS1_3repE0EEENS1_30default_config_static_selectorELNS0_4arch9wavefront6targetE0EEEvT1_
	.globl	_ZN7rocprim17ROCPRIM_400000_NS6detail17trampoline_kernelINS0_14default_configENS1_25partition_config_selectorILNS1_17partition_subalgoE6EjNS0_10empty_typeEbEEZZNS1_14partition_implILS5_6ELb0ES3_mN6thrust23THRUST_200600_302600_NS6detail15normal_iteratorINSA_10device_ptrIjEEEEPS6_SG_NS0_5tupleIJNSA_16discard_iteratorINSA_11use_defaultEEES6_EEENSH_IJSG_SG_EEES6_PlJNSB_9not_fun_tINSB_14equal_to_valueIjEEEEEEE10hipError_tPvRmT3_T4_T5_T6_T7_T9_mT8_P12ihipStream_tbDpT10_ENKUlT_T0_E_clISt17integral_constantIbLb1EES1B_EEDaS16_S17_EUlS16_E_NS1_11comp_targetILNS1_3genE9ELNS1_11target_archE1100ELNS1_3gpuE3ELNS1_3repE0EEENS1_30default_config_static_selectorELNS0_4arch9wavefront6targetE0EEEvT1_
	.p2align	8
	.type	_ZN7rocprim17ROCPRIM_400000_NS6detail17trampoline_kernelINS0_14default_configENS1_25partition_config_selectorILNS1_17partition_subalgoE6EjNS0_10empty_typeEbEEZZNS1_14partition_implILS5_6ELb0ES3_mN6thrust23THRUST_200600_302600_NS6detail15normal_iteratorINSA_10device_ptrIjEEEEPS6_SG_NS0_5tupleIJNSA_16discard_iteratorINSA_11use_defaultEEES6_EEENSH_IJSG_SG_EEES6_PlJNSB_9not_fun_tINSB_14equal_to_valueIjEEEEEEE10hipError_tPvRmT3_T4_T5_T6_T7_T9_mT8_P12ihipStream_tbDpT10_ENKUlT_T0_E_clISt17integral_constantIbLb1EES1B_EEDaS16_S17_EUlS16_E_NS1_11comp_targetILNS1_3genE9ELNS1_11target_archE1100ELNS1_3gpuE3ELNS1_3repE0EEENS1_30default_config_static_selectorELNS0_4arch9wavefront6targetE0EEEvT1_,@function
_ZN7rocprim17ROCPRIM_400000_NS6detail17trampoline_kernelINS0_14default_configENS1_25partition_config_selectorILNS1_17partition_subalgoE6EjNS0_10empty_typeEbEEZZNS1_14partition_implILS5_6ELb0ES3_mN6thrust23THRUST_200600_302600_NS6detail15normal_iteratorINSA_10device_ptrIjEEEEPS6_SG_NS0_5tupleIJNSA_16discard_iteratorINSA_11use_defaultEEES6_EEENSH_IJSG_SG_EEES6_PlJNSB_9not_fun_tINSB_14equal_to_valueIjEEEEEEE10hipError_tPvRmT3_T4_T5_T6_T7_T9_mT8_P12ihipStream_tbDpT10_ENKUlT_T0_E_clISt17integral_constantIbLb1EES1B_EEDaS16_S17_EUlS16_E_NS1_11comp_targetILNS1_3genE9ELNS1_11target_archE1100ELNS1_3gpuE3ELNS1_3repE0EEENS1_30default_config_static_selectorELNS0_4arch9wavefront6targetE0EEEvT1_: ; @_ZN7rocprim17ROCPRIM_400000_NS6detail17trampoline_kernelINS0_14default_configENS1_25partition_config_selectorILNS1_17partition_subalgoE6EjNS0_10empty_typeEbEEZZNS1_14partition_implILS5_6ELb0ES3_mN6thrust23THRUST_200600_302600_NS6detail15normal_iteratorINSA_10device_ptrIjEEEEPS6_SG_NS0_5tupleIJNSA_16discard_iteratorINSA_11use_defaultEEES6_EEENSH_IJSG_SG_EEES6_PlJNSB_9not_fun_tINSB_14equal_to_valueIjEEEEEEE10hipError_tPvRmT3_T4_T5_T6_T7_T9_mT8_P12ihipStream_tbDpT10_ENKUlT_T0_E_clISt17integral_constantIbLb1EES1B_EEDaS16_S17_EUlS16_E_NS1_11comp_targetILNS1_3genE9ELNS1_11target_archE1100ELNS1_3gpuE3ELNS1_3repE0EEENS1_30default_config_static_selectorELNS0_4arch9wavefront6targetE0EEEvT1_
; %bb.0:
	.section	.rodata,"a",@progbits
	.p2align	6, 0x0
	.amdhsa_kernel _ZN7rocprim17ROCPRIM_400000_NS6detail17trampoline_kernelINS0_14default_configENS1_25partition_config_selectorILNS1_17partition_subalgoE6EjNS0_10empty_typeEbEEZZNS1_14partition_implILS5_6ELb0ES3_mN6thrust23THRUST_200600_302600_NS6detail15normal_iteratorINSA_10device_ptrIjEEEEPS6_SG_NS0_5tupleIJNSA_16discard_iteratorINSA_11use_defaultEEES6_EEENSH_IJSG_SG_EEES6_PlJNSB_9not_fun_tINSB_14equal_to_valueIjEEEEEEE10hipError_tPvRmT3_T4_T5_T6_T7_T9_mT8_P12ihipStream_tbDpT10_ENKUlT_T0_E_clISt17integral_constantIbLb1EES1B_EEDaS16_S17_EUlS16_E_NS1_11comp_targetILNS1_3genE9ELNS1_11target_archE1100ELNS1_3gpuE3ELNS1_3repE0EEENS1_30default_config_static_selectorELNS0_4arch9wavefront6targetE0EEEvT1_
		.amdhsa_group_segment_fixed_size 0
		.amdhsa_private_segment_fixed_size 0
		.amdhsa_kernarg_size 136
		.amdhsa_user_sgpr_count 2
		.amdhsa_user_sgpr_dispatch_ptr 0
		.amdhsa_user_sgpr_queue_ptr 0
		.amdhsa_user_sgpr_kernarg_segment_ptr 1
		.amdhsa_user_sgpr_dispatch_id 0
		.amdhsa_user_sgpr_private_segment_size 0
		.amdhsa_wavefront_size32 1
		.amdhsa_uses_dynamic_stack 0
		.amdhsa_enable_private_segment 0
		.amdhsa_system_sgpr_workgroup_id_x 1
		.amdhsa_system_sgpr_workgroup_id_y 0
		.amdhsa_system_sgpr_workgroup_id_z 0
		.amdhsa_system_sgpr_workgroup_info 0
		.amdhsa_system_vgpr_workitem_id 0
		.amdhsa_next_free_vgpr 1
		.amdhsa_next_free_sgpr 1
		.amdhsa_reserve_vcc 0
		.amdhsa_float_round_mode_32 0
		.amdhsa_float_round_mode_16_64 0
		.amdhsa_float_denorm_mode_32 3
		.amdhsa_float_denorm_mode_16_64 3
		.amdhsa_fp16_overflow 0
		.amdhsa_workgroup_processor_mode 1
		.amdhsa_memory_ordered 1
		.amdhsa_forward_progress 1
		.amdhsa_inst_pref_size 0
		.amdhsa_round_robin_scheduling 0
		.amdhsa_exception_fp_ieee_invalid_op 0
		.amdhsa_exception_fp_denorm_src 0
		.amdhsa_exception_fp_ieee_div_zero 0
		.amdhsa_exception_fp_ieee_overflow 0
		.amdhsa_exception_fp_ieee_underflow 0
		.amdhsa_exception_fp_ieee_inexact 0
		.amdhsa_exception_int_div_zero 0
	.end_amdhsa_kernel
	.section	.text._ZN7rocprim17ROCPRIM_400000_NS6detail17trampoline_kernelINS0_14default_configENS1_25partition_config_selectorILNS1_17partition_subalgoE6EjNS0_10empty_typeEbEEZZNS1_14partition_implILS5_6ELb0ES3_mN6thrust23THRUST_200600_302600_NS6detail15normal_iteratorINSA_10device_ptrIjEEEEPS6_SG_NS0_5tupleIJNSA_16discard_iteratorINSA_11use_defaultEEES6_EEENSH_IJSG_SG_EEES6_PlJNSB_9not_fun_tINSB_14equal_to_valueIjEEEEEEE10hipError_tPvRmT3_T4_T5_T6_T7_T9_mT8_P12ihipStream_tbDpT10_ENKUlT_T0_E_clISt17integral_constantIbLb1EES1B_EEDaS16_S17_EUlS16_E_NS1_11comp_targetILNS1_3genE9ELNS1_11target_archE1100ELNS1_3gpuE3ELNS1_3repE0EEENS1_30default_config_static_selectorELNS0_4arch9wavefront6targetE0EEEvT1_,"axG",@progbits,_ZN7rocprim17ROCPRIM_400000_NS6detail17trampoline_kernelINS0_14default_configENS1_25partition_config_selectorILNS1_17partition_subalgoE6EjNS0_10empty_typeEbEEZZNS1_14partition_implILS5_6ELb0ES3_mN6thrust23THRUST_200600_302600_NS6detail15normal_iteratorINSA_10device_ptrIjEEEEPS6_SG_NS0_5tupleIJNSA_16discard_iteratorINSA_11use_defaultEEES6_EEENSH_IJSG_SG_EEES6_PlJNSB_9not_fun_tINSB_14equal_to_valueIjEEEEEEE10hipError_tPvRmT3_T4_T5_T6_T7_T9_mT8_P12ihipStream_tbDpT10_ENKUlT_T0_E_clISt17integral_constantIbLb1EES1B_EEDaS16_S17_EUlS16_E_NS1_11comp_targetILNS1_3genE9ELNS1_11target_archE1100ELNS1_3gpuE3ELNS1_3repE0EEENS1_30default_config_static_selectorELNS0_4arch9wavefront6targetE0EEEvT1_,comdat
.Lfunc_end1675:
	.size	_ZN7rocprim17ROCPRIM_400000_NS6detail17trampoline_kernelINS0_14default_configENS1_25partition_config_selectorILNS1_17partition_subalgoE6EjNS0_10empty_typeEbEEZZNS1_14partition_implILS5_6ELb0ES3_mN6thrust23THRUST_200600_302600_NS6detail15normal_iteratorINSA_10device_ptrIjEEEEPS6_SG_NS0_5tupleIJNSA_16discard_iteratorINSA_11use_defaultEEES6_EEENSH_IJSG_SG_EEES6_PlJNSB_9not_fun_tINSB_14equal_to_valueIjEEEEEEE10hipError_tPvRmT3_T4_T5_T6_T7_T9_mT8_P12ihipStream_tbDpT10_ENKUlT_T0_E_clISt17integral_constantIbLb1EES1B_EEDaS16_S17_EUlS16_E_NS1_11comp_targetILNS1_3genE9ELNS1_11target_archE1100ELNS1_3gpuE3ELNS1_3repE0EEENS1_30default_config_static_selectorELNS0_4arch9wavefront6targetE0EEEvT1_, .Lfunc_end1675-_ZN7rocprim17ROCPRIM_400000_NS6detail17trampoline_kernelINS0_14default_configENS1_25partition_config_selectorILNS1_17partition_subalgoE6EjNS0_10empty_typeEbEEZZNS1_14partition_implILS5_6ELb0ES3_mN6thrust23THRUST_200600_302600_NS6detail15normal_iteratorINSA_10device_ptrIjEEEEPS6_SG_NS0_5tupleIJNSA_16discard_iteratorINSA_11use_defaultEEES6_EEENSH_IJSG_SG_EEES6_PlJNSB_9not_fun_tINSB_14equal_to_valueIjEEEEEEE10hipError_tPvRmT3_T4_T5_T6_T7_T9_mT8_P12ihipStream_tbDpT10_ENKUlT_T0_E_clISt17integral_constantIbLb1EES1B_EEDaS16_S17_EUlS16_E_NS1_11comp_targetILNS1_3genE9ELNS1_11target_archE1100ELNS1_3gpuE3ELNS1_3repE0EEENS1_30default_config_static_selectorELNS0_4arch9wavefront6targetE0EEEvT1_
                                        ; -- End function
	.set _ZN7rocprim17ROCPRIM_400000_NS6detail17trampoline_kernelINS0_14default_configENS1_25partition_config_selectorILNS1_17partition_subalgoE6EjNS0_10empty_typeEbEEZZNS1_14partition_implILS5_6ELb0ES3_mN6thrust23THRUST_200600_302600_NS6detail15normal_iteratorINSA_10device_ptrIjEEEEPS6_SG_NS0_5tupleIJNSA_16discard_iteratorINSA_11use_defaultEEES6_EEENSH_IJSG_SG_EEES6_PlJNSB_9not_fun_tINSB_14equal_to_valueIjEEEEEEE10hipError_tPvRmT3_T4_T5_T6_T7_T9_mT8_P12ihipStream_tbDpT10_ENKUlT_T0_E_clISt17integral_constantIbLb1EES1B_EEDaS16_S17_EUlS16_E_NS1_11comp_targetILNS1_3genE9ELNS1_11target_archE1100ELNS1_3gpuE3ELNS1_3repE0EEENS1_30default_config_static_selectorELNS0_4arch9wavefront6targetE0EEEvT1_.num_vgpr, 0
	.set _ZN7rocprim17ROCPRIM_400000_NS6detail17trampoline_kernelINS0_14default_configENS1_25partition_config_selectorILNS1_17partition_subalgoE6EjNS0_10empty_typeEbEEZZNS1_14partition_implILS5_6ELb0ES3_mN6thrust23THRUST_200600_302600_NS6detail15normal_iteratorINSA_10device_ptrIjEEEEPS6_SG_NS0_5tupleIJNSA_16discard_iteratorINSA_11use_defaultEEES6_EEENSH_IJSG_SG_EEES6_PlJNSB_9not_fun_tINSB_14equal_to_valueIjEEEEEEE10hipError_tPvRmT3_T4_T5_T6_T7_T9_mT8_P12ihipStream_tbDpT10_ENKUlT_T0_E_clISt17integral_constantIbLb1EES1B_EEDaS16_S17_EUlS16_E_NS1_11comp_targetILNS1_3genE9ELNS1_11target_archE1100ELNS1_3gpuE3ELNS1_3repE0EEENS1_30default_config_static_selectorELNS0_4arch9wavefront6targetE0EEEvT1_.num_agpr, 0
	.set _ZN7rocprim17ROCPRIM_400000_NS6detail17trampoline_kernelINS0_14default_configENS1_25partition_config_selectorILNS1_17partition_subalgoE6EjNS0_10empty_typeEbEEZZNS1_14partition_implILS5_6ELb0ES3_mN6thrust23THRUST_200600_302600_NS6detail15normal_iteratorINSA_10device_ptrIjEEEEPS6_SG_NS0_5tupleIJNSA_16discard_iteratorINSA_11use_defaultEEES6_EEENSH_IJSG_SG_EEES6_PlJNSB_9not_fun_tINSB_14equal_to_valueIjEEEEEEE10hipError_tPvRmT3_T4_T5_T6_T7_T9_mT8_P12ihipStream_tbDpT10_ENKUlT_T0_E_clISt17integral_constantIbLb1EES1B_EEDaS16_S17_EUlS16_E_NS1_11comp_targetILNS1_3genE9ELNS1_11target_archE1100ELNS1_3gpuE3ELNS1_3repE0EEENS1_30default_config_static_selectorELNS0_4arch9wavefront6targetE0EEEvT1_.numbered_sgpr, 0
	.set _ZN7rocprim17ROCPRIM_400000_NS6detail17trampoline_kernelINS0_14default_configENS1_25partition_config_selectorILNS1_17partition_subalgoE6EjNS0_10empty_typeEbEEZZNS1_14partition_implILS5_6ELb0ES3_mN6thrust23THRUST_200600_302600_NS6detail15normal_iteratorINSA_10device_ptrIjEEEEPS6_SG_NS0_5tupleIJNSA_16discard_iteratorINSA_11use_defaultEEES6_EEENSH_IJSG_SG_EEES6_PlJNSB_9not_fun_tINSB_14equal_to_valueIjEEEEEEE10hipError_tPvRmT3_T4_T5_T6_T7_T9_mT8_P12ihipStream_tbDpT10_ENKUlT_T0_E_clISt17integral_constantIbLb1EES1B_EEDaS16_S17_EUlS16_E_NS1_11comp_targetILNS1_3genE9ELNS1_11target_archE1100ELNS1_3gpuE3ELNS1_3repE0EEENS1_30default_config_static_selectorELNS0_4arch9wavefront6targetE0EEEvT1_.num_named_barrier, 0
	.set _ZN7rocprim17ROCPRIM_400000_NS6detail17trampoline_kernelINS0_14default_configENS1_25partition_config_selectorILNS1_17partition_subalgoE6EjNS0_10empty_typeEbEEZZNS1_14partition_implILS5_6ELb0ES3_mN6thrust23THRUST_200600_302600_NS6detail15normal_iteratorINSA_10device_ptrIjEEEEPS6_SG_NS0_5tupleIJNSA_16discard_iteratorINSA_11use_defaultEEES6_EEENSH_IJSG_SG_EEES6_PlJNSB_9not_fun_tINSB_14equal_to_valueIjEEEEEEE10hipError_tPvRmT3_T4_T5_T6_T7_T9_mT8_P12ihipStream_tbDpT10_ENKUlT_T0_E_clISt17integral_constantIbLb1EES1B_EEDaS16_S17_EUlS16_E_NS1_11comp_targetILNS1_3genE9ELNS1_11target_archE1100ELNS1_3gpuE3ELNS1_3repE0EEENS1_30default_config_static_selectorELNS0_4arch9wavefront6targetE0EEEvT1_.private_seg_size, 0
	.set _ZN7rocprim17ROCPRIM_400000_NS6detail17trampoline_kernelINS0_14default_configENS1_25partition_config_selectorILNS1_17partition_subalgoE6EjNS0_10empty_typeEbEEZZNS1_14partition_implILS5_6ELb0ES3_mN6thrust23THRUST_200600_302600_NS6detail15normal_iteratorINSA_10device_ptrIjEEEEPS6_SG_NS0_5tupleIJNSA_16discard_iteratorINSA_11use_defaultEEES6_EEENSH_IJSG_SG_EEES6_PlJNSB_9not_fun_tINSB_14equal_to_valueIjEEEEEEE10hipError_tPvRmT3_T4_T5_T6_T7_T9_mT8_P12ihipStream_tbDpT10_ENKUlT_T0_E_clISt17integral_constantIbLb1EES1B_EEDaS16_S17_EUlS16_E_NS1_11comp_targetILNS1_3genE9ELNS1_11target_archE1100ELNS1_3gpuE3ELNS1_3repE0EEENS1_30default_config_static_selectorELNS0_4arch9wavefront6targetE0EEEvT1_.uses_vcc, 0
	.set _ZN7rocprim17ROCPRIM_400000_NS6detail17trampoline_kernelINS0_14default_configENS1_25partition_config_selectorILNS1_17partition_subalgoE6EjNS0_10empty_typeEbEEZZNS1_14partition_implILS5_6ELb0ES3_mN6thrust23THRUST_200600_302600_NS6detail15normal_iteratorINSA_10device_ptrIjEEEEPS6_SG_NS0_5tupleIJNSA_16discard_iteratorINSA_11use_defaultEEES6_EEENSH_IJSG_SG_EEES6_PlJNSB_9not_fun_tINSB_14equal_to_valueIjEEEEEEE10hipError_tPvRmT3_T4_T5_T6_T7_T9_mT8_P12ihipStream_tbDpT10_ENKUlT_T0_E_clISt17integral_constantIbLb1EES1B_EEDaS16_S17_EUlS16_E_NS1_11comp_targetILNS1_3genE9ELNS1_11target_archE1100ELNS1_3gpuE3ELNS1_3repE0EEENS1_30default_config_static_selectorELNS0_4arch9wavefront6targetE0EEEvT1_.uses_flat_scratch, 0
	.set _ZN7rocprim17ROCPRIM_400000_NS6detail17trampoline_kernelINS0_14default_configENS1_25partition_config_selectorILNS1_17partition_subalgoE6EjNS0_10empty_typeEbEEZZNS1_14partition_implILS5_6ELb0ES3_mN6thrust23THRUST_200600_302600_NS6detail15normal_iteratorINSA_10device_ptrIjEEEEPS6_SG_NS0_5tupleIJNSA_16discard_iteratorINSA_11use_defaultEEES6_EEENSH_IJSG_SG_EEES6_PlJNSB_9not_fun_tINSB_14equal_to_valueIjEEEEEEE10hipError_tPvRmT3_T4_T5_T6_T7_T9_mT8_P12ihipStream_tbDpT10_ENKUlT_T0_E_clISt17integral_constantIbLb1EES1B_EEDaS16_S17_EUlS16_E_NS1_11comp_targetILNS1_3genE9ELNS1_11target_archE1100ELNS1_3gpuE3ELNS1_3repE0EEENS1_30default_config_static_selectorELNS0_4arch9wavefront6targetE0EEEvT1_.has_dyn_sized_stack, 0
	.set _ZN7rocprim17ROCPRIM_400000_NS6detail17trampoline_kernelINS0_14default_configENS1_25partition_config_selectorILNS1_17partition_subalgoE6EjNS0_10empty_typeEbEEZZNS1_14partition_implILS5_6ELb0ES3_mN6thrust23THRUST_200600_302600_NS6detail15normal_iteratorINSA_10device_ptrIjEEEEPS6_SG_NS0_5tupleIJNSA_16discard_iteratorINSA_11use_defaultEEES6_EEENSH_IJSG_SG_EEES6_PlJNSB_9not_fun_tINSB_14equal_to_valueIjEEEEEEE10hipError_tPvRmT3_T4_T5_T6_T7_T9_mT8_P12ihipStream_tbDpT10_ENKUlT_T0_E_clISt17integral_constantIbLb1EES1B_EEDaS16_S17_EUlS16_E_NS1_11comp_targetILNS1_3genE9ELNS1_11target_archE1100ELNS1_3gpuE3ELNS1_3repE0EEENS1_30default_config_static_selectorELNS0_4arch9wavefront6targetE0EEEvT1_.has_recursion, 0
	.set _ZN7rocprim17ROCPRIM_400000_NS6detail17trampoline_kernelINS0_14default_configENS1_25partition_config_selectorILNS1_17partition_subalgoE6EjNS0_10empty_typeEbEEZZNS1_14partition_implILS5_6ELb0ES3_mN6thrust23THRUST_200600_302600_NS6detail15normal_iteratorINSA_10device_ptrIjEEEEPS6_SG_NS0_5tupleIJNSA_16discard_iteratorINSA_11use_defaultEEES6_EEENSH_IJSG_SG_EEES6_PlJNSB_9not_fun_tINSB_14equal_to_valueIjEEEEEEE10hipError_tPvRmT3_T4_T5_T6_T7_T9_mT8_P12ihipStream_tbDpT10_ENKUlT_T0_E_clISt17integral_constantIbLb1EES1B_EEDaS16_S17_EUlS16_E_NS1_11comp_targetILNS1_3genE9ELNS1_11target_archE1100ELNS1_3gpuE3ELNS1_3repE0EEENS1_30default_config_static_selectorELNS0_4arch9wavefront6targetE0EEEvT1_.has_indirect_call, 0
	.section	.AMDGPU.csdata,"",@progbits
; Kernel info:
; codeLenInByte = 0
; TotalNumSgprs: 0
; NumVgprs: 0
; ScratchSize: 0
; MemoryBound: 0
; FloatMode: 240
; IeeeMode: 1
; LDSByteSize: 0 bytes/workgroup (compile time only)
; SGPRBlocks: 0
; VGPRBlocks: 0
; NumSGPRsForWavesPerEU: 1
; NumVGPRsForWavesPerEU: 1
; Occupancy: 16
; WaveLimiterHint : 0
; COMPUTE_PGM_RSRC2:SCRATCH_EN: 0
; COMPUTE_PGM_RSRC2:USER_SGPR: 2
; COMPUTE_PGM_RSRC2:TRAP_HANDLER: 0
; COMPUTE_PGM_RSRC2:TGID_X_EN: 1
; COMPUTE_PGM_RSRC2:TGID_Y_EN: 0
; COMPUTE_PGM_RSRC2:TGID_Z_EN: 0
; COMPUTE_PGM_RSRC2:TIDIG_COMP_CNT: 0
	.section	.text._ZN7rocprim17ROCPRIM_400000_NS6detail17trampoline_kernelINS0_14default_configENS1_25partition_config_selectorILNS1_17partition_subalgoE6EjNS0_10empty_typeEbEEZZNS1_14partition_implILS5_6ELb0ES3_mN6thrust23THRUST_200600_302600_NS6detail15normal_iteratorINSA_10device_ptrIjEEEEPS6_SG_NS0_5tupleIJNSA_16discard_iteratorINSA_11use_defaultEEES6_EEENSH_IJSG_SG_EEES6_PlJNSB_9not_fun_tINSB_14equal_to_valueIjEEEEEEE10hipError_tPvRmT3_T4_T5_T6_T7_T9_mT8_P12ihipStream_tbDpT10_ENKUlT_T0_E_clISt17integral_constantIbLb1EES1B_EEDaS16_S17_EUlS16_E_NS1_11comp_targetILNS1_3genE8ELNS1_11target_archE1030ELNS1_3gpuE2ELNS1_3repE0EEENS1_30default_config_static_selectorELNS0_4arch9wavefront6targetE0EEEvT1_,"axG",@progbits,_ZN7rocprim17ROCPRIM_400000_NS6detail17trampoline_kernelINS0_14default_configENS1_25partition_config_selectorILNS1_17partition_subalgoE6EjNS0_10empty_typeEbEEZZNS1_14partition_implILS5_6ELb0ES3_mN6thrust23THRUST_200600_302600_NS6detail15normal_iteratorINSA_10device_ptrIjEEEEPS6_SG_NS0_5tupleIJNSA_16discard_iteratorINSA_11use_defaultEEES6_EEENSH_IJSG_SG_EEES6_PlJNSB_9not_fun_tINSB_14equal_to_valueIjEEEEEEE10hipError_tPvRmT3_T4_T5_T6_T7_T9_mT8_P12ihipStream_tbDpT10_ENKUlT_T0_E_clISt17integral_constantIbLb1EES1B_EEDaS16_S17_EUlS16_E_NS1_11comp_targetILNS1_3genE8ELNS1_11target_archE1030ELNS1_3gpuE2ELNS1_3repE0EEENS1_30default_config_static_selectorELNS0_4arch9wavefront6targetE0EEEvT1_,comdat
	.protected	_ZN7rocprim17ROCPRIM_400000_NS6detail17trampoline_kernelINS0_14default_configENS1_25partition_config_selectorILNS1_17partition_subalgoE6EjNS0_10empty_typeEbEEZZNS1_14partition_implILS5_6ELb0ES3_mN6thrust23THRUST_200600_302600_NS6detail15normal_iteratorINSA_10device_ptrIjEEEEPS6_SG_NS0_5tupleIJNSA_16discard_iteratorINSA_11use_defaultEEES6_EEENSH_IJSG_SG_EEES6_PlJNSB_9not_fun_tINSB_14equal_to_valueIjEEEEEEE10hipError_tPvRmT3_T4_T5_T6_T7_T9_mT8_P12ihipStream_tbDpT10_ENKUlT_T0_E_clISt17integral_constantIbLb1EES1B_EEDaS16_S17_EUlS16_E_NS1_11comp_targetILNS1_3genE8ELNS1_11target_archE1030ELNS1_3gpuE2ELNS1_3repE0EEENS1_30default_config_static_selectorELNS0_4arch9wavefront6targetE0EEEvT1_ ; -- Begin function _ZN7rocprim17ROCPRIM_400000_NS6detail17trampoline_kernelINS0_14default_configENS1_25partition_config_selectorILNS1_17partition_subalgoE6EjNS0_10empty_typeEbEEZZNS1_14partition_implILS5_6ELb0ES3_mN6thrust23THRUST_200600_302600_NS6detail15normal_iteratorINSA_10device_ptrIjEEEEPS6_SG_NS0_5tupleIJNSA_16discard_iteratorINSA_11use_defaultEEES6_EEENSH_IJSG_SG_EEES6_PlJNSB_9not_fun_tINSB_14equal_to_valueIjEEEEEEE10hipError_tPvRmT3_T4_T5_T6_T7_T9_mT8_P12ihipStream_tbDpT10_ENKUlT_T0_E_clISt17integral_constantIbLb1EES1B_EEDaS16_S17_EUlS16_E_NS1_11comp_targetILNS1_3genE8ELNS1_11target_archE1030ELNS1_3gpuE2ELNS1_3repE0EEENS1_30default_config_static_selectorELNS0_4arch9wavefront6targetE0EEEvT1_
	.globl	_ZN7rocprim17ROCPRIM_400000_NS6detail17trampoline_kernelINS0_14default_configENS1_25partition_config_selectorILNS1_17partition_subalgoE6EjNS0_10empty_typeEbEEZZNS1_14partition_implILS5_6ELb0ES3_mN6thrust23THRUST_200600_302600_NS6detail15normal_iteratorINSA_10device_ptrIjEEEEPS6_SG_NS0_5tupleIJNSA_16discard_iteratorINSA_11use_defaultEEES6_EEENSH_IJSG_SG_EEES6_PlJNSB_9not_fun_tINSB_14equal_to_valueIjEEEEEEE10hipError_tPvRmT3_T4_T5_T6_T7_T9_mT8_P12ihipStream_tbDpT10_ENKUlT_T0_E_clISt17integral_constantIbLb1EES1B_EEDaS16_S17_EUlS16_E_NS1_11comp_targetILNS1_3genE8ELNS1_11target_archE1030ELNS1_3gpuE2ELNS1_3repE0EEENS1_30default_config_static_selectorELNS0_4arch9wavefront6targetE0EEEvT1_
	.p2align	8
	.type	_ZN7rocprim17ROCPRIM_400000_NS6detail17trampoline_kernelINS0_14default_configENS1_25partition_config_selectorILNS1_17partition_subalgoE6EjNS0_10empty_typeEbEEZZNS1_14partition_implILS5_6ELb0ES3_mN6thrust23THRUST_200600_302600_NS6detail15normal_iteratorINSA_10device_ptrIjEEEEPS6_SG_NS0_5tupleIJNSA_16discard_iteratorINSA_11use_defaultEEES6_EEENSH_IJSG_SG_EEES6_PlJNSB_9not_fun_tINSB_14equal_to_valueIjEEEEEEE10hipError_tPvRmT3_T4_T5_T6_T7_T9_mT8_P12ihipStream_tbDpT10_ENKUlT_T0_E_clISt17integral_constantIbLb1EES1B_EEDaS16_S17_EUlS16_E_NS1_11comp_targetILNS1_3genE8ELNS1_11target_archE1030ELNS1_3gpuE2ELNS1_3repE0EEENS1_30default_config_static_selectorELNS0_4arch9wavefront6targetE0EEEvT1_,@function
_ZN7rocprim17ROCPRIM_400000_NS6detail17trampoline_kernelINS0_14default_configENS1_25partition_config_selectorILNS1_17partition_subalgoE6EjNS0_10empty_typeEbEEZZNS1_14partition_implILS5_6ELb0ES3_mN6thrust23THRUST_200600_302600_NS6detail15normal_iteratorINSA_10device_ptrIjEEEEPS6_SG_NS0_5tupleIJNSA_16discard_iteratorINSA_11use_defaultEEES6_EEENSH_IJSG_SG_EEES6_PlJNSB_9not_fun_tINSB_14equal_to_valueIjEEEEEEE10hipError_tPvRmT3_T4_T5_T6_T7_T9_mT8_P12ihipStream_tbDpT10_ENKUlT_T0_E_clISt17integral_constantIbLb1EES1B_EEDaS16_S17_EUlS16_E_NS1_11comp_targetILNS1_3genE8ELNS1_11target_archE1030ELNS1_3gpuE2ELNS1_3repE0EEENS1_30default_config_static_selectorELNS0_4arch9wavefront6targetE0EEEvT1_: ; @_ZN7rocprim17ROCPRIM_400000_NS6detail17trampoline_kernelINS0_14default_configENS1_25partition_config_selectorILNS1_17partition_subalgoE6EjNS0_10empty_typeEbEEZZNS1_14partition_implILS5_6ELb0ES3_mN6thrust23THRUST_200600_302600_NS6detail15normal_iteratorINSA_10device_ptrIjEEEEPS6_SG_NS0_5tupleIJNSA_16discard_iteratorINSA_11use_defaultEEES6_EEENSH_IJSG_SG_EEES6_PlJNSB_9not_fun_tINSB_14equal_to_valueIjEEEEEEE10hipError_tPvRmT3_T4_T5_T6_T7_T9_mT8_P12ihipStream_tbDpT10_ENKUlT_T0_E_clISt17integral_constantIbLb1EES1B_EEDaS16_S17_EUlS16_E_NS1_11comp_targetILNS1_3genE8ELNS1_11target_archE1030ELNS1_3gpuE2ELNS1_3repE0EEENS1_30default_config_static_selectorELNS0_4arch9wavefront6targetE0EEEvT1_
; %bb.0:
	.section	.rodata,"a",@progbits
	.p2align	6, 0x0
	.amdhsa_kernel _ZN7rocprim17ROCPRIM_400000_NS6detail17trampoline_kernelINS0_14default_configENS1_25partition_config_selectorILNS1_17partition_subalgoE6EjNS0_10empty_typeEbEEZZNS1_14partition_implILS5_6ELb0ES3_mN6thrust23THRUST_200600_302600_NS6detail15normal_iteratorINSA_10device_ptrIjEEEEPS6_SG_NS0_5tupleIJNSA_16discard_iteratorINSA_11use_defaultEEES6_EEENSH_IJSG_SG_EEES6_PlJNSB_9not_fun_tINSB_14equal_to_valueIjEEEEEEE10hipError_tPvRmT3_T4_T5_T6_T7_T9_mT8_P12ihipStream_tbDpT10_ENKUlT_T0_E_clISt17integral_constantIbLb1EES1B_EEDaS16_S17_EUlS16_E_NS1_11comp_targetILNS1_3genE8ELNS1_11target_archE1030ELNS1_3gpuE2ELNS1_3repE0EEENS1_30default_config_static_selectorELNS0_4arch9wavefront6targetE0EEEvT1_
		.amdhsa_group_segment_fixed_size 0
		.amdhsa_private_segment_fixed_size 0
		.amdhsa_kernarg_size 136
		.amdhsa_user_sgpr_count 2
		.amdhsa_user_sgpr_dispatch_ptr 0
		.amdhsa_user_sgpr_queue_ptr 0
		.amdhsa_user_sgpr_kernarg_segment_ptr 1
		.amdhsa_user_sgpr_dispatch_id 0
		.amdhsa_user_sgpr_private_segment_size 0
		.amdhsa_wavefront_size32 1
		.amdhsa_uses_dynamic_stack 0
		.amdhsa_enable_private_segment 0
		.amdhsa_system_sgpr_workgroup_id_x 1
		.amdhsa_system_sgpr_workgroup_id_y 0
		.amdhsa_system_sgpr_workgroup_id_z 0
		.amdhsa_system_sgpr_workgroup_info 0
		.amdhsa_system_vgpr_workitem_id 0
		.amdhsa_next_free_vgpr 1
		.amdhsa_next_free_sgpr 1
		.amdhsa_reserve_vcc 0
		.amdhsa_float_round_mode_32 0
		.amdhsa_float_round_mode_16_64 0
		.amdhsa_float_denorm_mode_32 3
		.amdhsa_float_denorm_mode_16_64 3
		.amdhsa_fp16_overflow 0
		.amdhsa_workgroup_processor_mode 1
		.amdhsa_memory_ordered 1
		.amdhsa_forward_progress 1
		.amdhsa_inst_pref_size 0
		.amdhsa_round_robin_scheduling 0
		.amdhsa_exception_fp_ieee_invalid_op 0
		.amdhsa_exception_fp_denorm_src 0
		.amdhsa_exception_fp_ieee_div_zero 0
		.amdhsa_exception_fp_ieee_overflow 0
		.amdhsa_exception_fp_ieee_underflow 0
		.amdhsa_exception_fp_ieee_inexact 0
		.amdhsa_exception_int_div_zero 0
	.end_amdhsa_kernel
	.section	.text._ZN7rocprim17ROCPRIM_400000_NS6detail17trampoline_kernelINS0_14default_configENS1_25partition_config_selectorILNS1_17partition_subalgoE6EjNS0_10empty_typeEbEEZZNS1_14partition_implILS5_6ELb0ES3_mN6thrust23THRUST_200600_302600_NS6detail15normal_iteratorINSA_10device_ptrIjEEEEPS6_SG_NS0_5tupleIJNSA_16discard_iteratorINSA_11use_defaultEEES6_EEENSH_IJSG_SG_EEES6_PlJNSB_9not_fun_tINSB_14equal_to_valueIjEEEEEEE10hipError_tPvRmT3_T4_T5_T6_T7_T9_mT8_P12ihipStream_tbDpT10_ENKUlT_T0_E_clISt17integral_constantIbLb1EES1B_EEDaS16_S17_EUlS16_E_NS1_11comp_targetILNS1_3genE8ELNS1_11target_archE1030ELNS1_3gpuE2ELNS1_3repE0EEENS1_30default_config_static_selectorELNS0_4arch9wavefront6targetE0EEEvT1_,"axG",@progbits,_ZN7rocprim17ROCPRIM_400000_NS6detail17trampoline_kernelINS0_14default_configENS1_25partition_config_selectorILNS1_17partition_subalgoE6EjNS0_10empty_typeEbEEZZNS1_14partition_implILS5_6ELb0ES3_mN6thrust23THRUST_200600_302600_NS6detail15normal_iteratorINSA_10device_ptrIjEEEEPS6_SG_NS0_5tupleIJNSA_16discard_iteratorINSA_11use_defaultEEES6_EEENSH_IJSG_SG_EEES6_PlJNSB_9not_fun_tINSB_14equal_to_valueIjEEEEEEE10hipError_tPvRmT3_T4_T5_T6_T7_T9_mT8_P12ihipStream_tbDpT10_ENKUlT_T0_E_clISt17integral_constantIbLb1EES1B_EEDaS16_S17_EUlS16_E_NS1_11comp_targetILNS1_3genE8ELNS1_11target_archE1030ELNS1_3gpuE2ELNS1_3repE0EEENS1_30default_config_static_selectorELNS0_4arch9wavefront6targetE0EEEvT1_,comdat
.Lfunc_end1676:
	.size	_ZN7rocprim17ROCPRIM_400000_NS6detail17trampoline_kernelINS0_14default_configENS1_25partition_config_selectorILNS1_17partition_subalgoE6EjNS0_10empty_typeEbEEZZNS1_14partition_implILS5_6ELb0ES3_mN6thrust23THRUST_200600_302600_NS6detail15normal_iteratorINSA_10device_ptrIjEEEEPS6_SG_NS0_5tupleIJNSA_16discard_iteratorINSA_11use_defaultEEES6_EEENSH_IJSG_SG_EEES6_PlJNSB_9not_fun_tINSB_14equal_to_valueIjEEEEEEE10hipError_tPvRmT3_T4_T5_T6_T7_T9_mT8_P12ihipStream_tbDpT10_ENKUlT_T0_E_clISt17integral_constantIbLb1EES1B_EEDaS16_S17_EUlS16_E_NS1_11comp_targetILNS1_3genE8ELNS1_11target_archE1030ELNS1_3gpuE2ELNS1_3repE0EEENS1_30default_config_static_selectorELNS0_4arch9wavefront6targetE0EEEvT1_, .Lfunc_end1676-_ZN7rocprim17ROCPRIM_400000_NS6detail17trampoline_kernelINS0_14default_configENS1_25partition_config_selectorILNS1_17partition_subalgoE6EjNS0_10empty_typeEbEEZZNS1_14partition_implILS5_6ELb0ES3_mN6thrust23THRUST_200600_302600_NS6detail15normal_iteratorINSA_10device_ptrIjEEEEPS6_SG_NS0_5tupleIJNSA_16discard_iteratorINSA_11use_defaultEEES6_EEENSH_IJSG_SG_EEES6_PlJNSB_9not_fun_tINSB_14equal_to_valueIjEEEEEEE10hipError_tPvRmT3_T4_T5_T6_T7_T9_mT8_P12ihipStream_tbDpT10_ENKUlT_T0_E_clISt17integral_constantIbLb1EES1B_EEDaS16_S17_EUlS16_E_NS1_11comp_targetILNS1_3genE8ELNS1_11target_archE1030ELNS1_3gpuE2ELNS1_3repE0EEENS1_30default_config_static_selectorELNS0_4arch9wavefront6targetE0EEEvT1_
                                        ; -- End function
	.set _ZN7rocprim17ROCPRIM_400000_NS6detail17trampoline_kernelINS0_14default_configENS1_25partition_config_selectorILNS1_17partition_subalgoE6EjNS0_10empty_typeEbEEZZNS1_14partition_implILS5_6ELb0ES3_mN6thrust23THRUST_200600_302600_NS6detail15normal_iteratorINSA_10device_ptrIjEEEEPS6_SG_NS0_5tupleIJNSA_16discard_iteratorINSA_11use_defaultEEES6_EEENSH_IJSG_SG_EEES6_PlJNSB_9not_fun_tINSB_14equal_to_valueIjEEEEEEE10hipError_tPvRmT3_T4_T5_T6_T7_T9_mT8_P12ihipStream_tbDpT10_ENKUlT_T0_E_clISt17integral_constantIbLb1EES1B_EEDaS16_S17_EUlS16_E_NS1_11comp_targetILNS1_3genE8ELNS1_11target_archE1030ELNS1_3gpuE2ELNS1_3repE0EEENS1_30default_config_static_selectorELNS0_4arch9wavefront6targetE0EEEvT1_.num_vgpr, 0
	.set _ZN7rocprim17ROCPRIM_400000_NS6detail17trampoline_kernelINS0_14default_configENS1_25partition_config_selectorILNS1_17partition_subalgoE6EjNS0_10empty_typeEbEEZZNS1_14partition_implILS5_6ELb0ES3_mN6thrust23THRUST_200600_302600_NS6detail15normal_iteratorINSA_10device_ptrIjEEEEPS6_SG_NS0_5tupleIJNSA_16discard_iteratorINSA_11use_defaultEEES6_EEENSH_IJSG_SG_EEES6_PlJNSB_9not_fun_tINSB_14equal_to_valueIjEEEEEEE10hipError_tPvRmT3_T4_T5_T6_T7_T9_mT8_P12ihipStream_tbDpT10_ENKUlT_T0_E_clISt17integral_constantIbLb1EES1B_EEDaS16_S17_EUlS16_E_NS1_11comp_targetILNS1_3genE8ELNS1_11target_archE1030ELNS1_3gpuE2ELNS1_3repE0EEENS1_30default_config_static_selectorELNS0_4arch9wavefront6targetE0EEEvT1_.num_agpr, 0
	.set _ZN7rocprim17ROCPRIM_400000_NS6detail17trampoline_kernelINS0_14default_configENS1_25partition_config_selectorILNS1_17partition_subalgoE6EjNS0_10empty_typeEbEEZZNS1_14partition_implILS5_6ELb0ES3_mN6thrust23THRUST_200600_302600_NS6detail15normal_iteratorINSA_10device_ptrIjEEEEPS6_SG_NS0_5tupleIJNSA_16discard_iteratorINSA_11use_defaultEEES6_EEENSH_IJSG_SG_EEES6_PlJNSB_9not_fun_tINSB_14equal_to_valueIjEEEEEEE10hipError_tPvRmT3_T4_T5_T6_T7_T9_mT8_P12ihipStream_tbDpT10_ENKUlT_T0_E_clISt17integral_constantIbLb1EES1B_EEDaS16_S17_EUlS16_E_NS1_11comp_targetILNS1_3genE8ELNS1_11target_archE1030ELNS1_3gpuE2ELNS1_3repE0EEENS1_30default_config_static_selectorELNS0_4arch9wavefront6targetE0EEEvT1_.numbered_sgpr, 0
	.set _ZN7rocprim17ROCPRIM_400000_NS6detail17trampoline_kernelINS0_14default_configENS1_25partition_config_selectorILNS1_17partition_subalgoE6EjNS0_10empty_typeEbEEZZNS1_14partition_implILS5_6ELb0ES3_mN6thrust23THRUST_200600_302600_NS6detail15normal_iteratorINSA_10device_ptrIjEEEEPS6_SG_NS0_5tupleIJNSA_16discard_iteratorINSA_11use_defaultEEES6_EEENSH_IJSG_SG_EEES6_PlJNSB_9not_fun_tINSB_14equal_to_valueIjEEEEEEE10hipError_tPvRmT3_T4_T5_T6_T7_T9_mT8_P12ihipStream_tbDpT10_ENKUlT_T0_E_clISt17integral_constantIbLb1EES1B_EEDaS16_S17_EUlS16_E_NS1_11comp_targetILNS1_3genE8ELNS1_11target_archE1030ELNS1_3gpuE2ELNS1_3repE0EEENS1_30default_config_static_selectorELNS0_4arch9wavefront6targetE0EEEvT1_.num_named_barrier, 0
	.set _ZN7rocprim17ROCPRIM_400000_NS6detail17trampoline_kernelINS0_14default_configENS1_25partition_config_selectorILNS1_17partition_subalgoE6EjNS0_10empty_typeEbEEZZNS1_14partition_implILS5_6ELb0ES3_mN6thrust23THRUST_200600_302600_NS6detail15normal_iteratorINSA_10device_ptrIjEEEEPS6_SG_NS0_5tupleIJNSA_16discard_iteratorINSA_11use_defaultEEES6_EEENSH_IJSG_SG_EEES6_PlJNSB_9not_fun_tINSB_14equal_to_valueIjEEEEEEE10hipError_tPvRmT3_T4_T5_T6_T7_T9_mT8_P12ihipStream_tbDpT10_ENKUlT_T0_E_clISt17integral_constantIbLb1EES1B_EEDaS16_S17_EUlS16_E_NS1_11comp_targetILNS1_3genE8ELNS1_11target_archE1030ELNS1_3gpuE2ELNS1_3repE0EEENS1_30default_config_static_selectorELNS0_4arch9wavefront6targetE0EEEvT1_.private_seg_size, 0
	.set _ZN7rocprim17ROCPRIM_400000_NS6detail17trampoline_kernelINS0_14default_configENS1_25partition_config_selectorILNS1_17partition_subalgoE6EjNS0_10empty_typeEbEEZZNS1_14partition_implILS5_6ELb0ES3_mN6thrust23THRUST_200600_302600_NS6detail15normal_iteratorINSA_10device_ptrIjEEEEPS6_SG_NS0_5tupleIJNSA_16discard_iteratorINSA_11use_defaultEEES6_EEENSH_IJSG_SG_EEES6_PlJNSB_9not_fun_tINSB_14equal_to_valueIjEEEEEEE10hipError_tPvRmT3_T4_T5_T6_T7_T9_mT8_P12ihipStream_tbDpT10_ENKUlT_T0_E_clISt17integral_constantIbLb1EES1B_EEDaS16_S17_EUlS16_E_NS1_11comp_targetILNS1_3genE8ELNS1_11target_archE1030ELNS1_3gpuE2ELNS1_3repE0EEENS1_30default_config_static_selectorELNS0_4arch9wavefront6targetE0EEEvT1_.uses_vcc, 0
	.set _ZN7rocprim17ROCPRIM_400000_NS6detail17trampoline_kernelINS0_14default_configENS1_25partition_config_selectorILNS1_17partition_subalgoE6EjNS0_10empty_typeEbEEZZNS1_14partition_implILS5_6ELb0ES3_mN6thrust23THRUST_200600_302600_NS6detail15normal_iteratorINSA_10device_ptrIjEEEEPS6_SG_NS0_5tupleIJNSA_16discard_iteratorINSA_11use_defaultEEES6_EEENSH_IJSG_SG_EEES6_PlJNSB_9not_fun_tINSB_14equal_to_valueIjEEEEEEE10hipError_tPvRmT3_T4_T5_T6_T7_T9_mT8_P12ihipStream_tbDpT10_ENKUlT_T0_E_clISt17integral_constantIbLb1EES1B_EEDaS16_S17_EUlS16_E_NS1_11comp_targetILNS1_3genE8ELNS1_11target_archE1030ELNS1_3gpuE2ELNS1_3repE0EEENS1_30default_config_static_selectorELNS0_4arch9wavefront6targetE0EEEvT1_.uses_flat_scratch, 0
	.set _ZN7rocprim17ROCPRIM_400000_NS6detail17trampoline_kernelINS0_14default_configENS1_25partition_config_selectorILNS1_17partition_subalgoE6EjNS0_10empty_typeEbEEZZNS1_14partition_implILS5_6ELb0ES3_mN6thrust23THRUST_200600_302600_NS6detail15normal_iteratorINSA_10device_ptrIjEEEEPS6_SG_NS0_5tupleIJNSA_16discard_iteratorINSA_11use_defaultEEES6_EEENSH_IJSG_SG_EEES6_PlJNSB_9not_fun_tINSB_14equal_to_valueIjEEEEEEE10hipError_tPvRmT3_T4_T5_T6_T7_T9_mT8_P12ihipStream_tbDpT10_ENKUlT_T0_E_clISt17integral_constantIbLb1EES1B_EEDaS16_S17_EUlS16_E_NS1_11comp_targetILNS1_3genE8ELNS1_11target_archE1030ELNS1_3gpuE2ELNS1_3repE0EEENS1_30default_config_static_selectorELNS0_4arch9wavefront6targetE0EEEvT1_.has_dyn_sized_stack, 0
	.set _ZN7rocprim17ROCPRIM_400000_NS6detail17trampoline_kernelINS0_14default_configENS1_25partition_config_selectorILNS1_17partition_subalgoE6EjNS0_10empty_typeEbEEZZNS1_14partition_implILS5_6ELb0ES3_mN6thrust23THRUST_200600_302600_NS6detail15normal_iteratorINSA_10device_ptrIjEEEEPS6_SG_NS0_5tupleIJNSA_16discard_iteratorINSA_11use_defaultEEES6_EEENSH_IJSG_SG_EEES6_PlJNSB_9not_fun_tINSB_14equal_to_valueIjEEEEEEE10hipError_tPvRmT3_T4_T5_T6_T7_T9_mT8_P12ihipStream_tbDpT10_ENKUlT_T0_E_clISt17integral_constantIbLb1EES1B_EEDaS16_S17_EUlS16_E_NS1_11comp_targetILNS1_3genE8ELNS1_11target_archE1030ELNS1_3gpuE2ELNS1_3repE0EEENS1_30default_config_static_selectorELNS0_4arch9wavefront6targetE0EEEvT1_.has_recursion, 0
	.set _ZN7rocprim17ROCPRIM_400000_NS6detail17trampoline_kernelINS0_14default_configENS1_25partition_config_selectorILNS1_17partition_subalgoE6EjNS0_10empty_typeEbEEZZNS1_14partition_implILS5_6ELb0ES3_mN6thrust23THRUST_200600_302600_NS6detail15normal_iteratorINSA_10device_ptrIjEEEEPS6_SG_NS0_5tupleIJNSA_16discard_iteratorINSA_11use_defaultEEES6_EEENSH_IJSG_SG_EEES6_PlJNSB_9not_fun_tINSB_14equal_to_valueIjEEEEEEE10hipError_tPvRmT3_T4_T5_T6_T7_T9_mT8_P12ihipStream_tbDpT10_ENKUlT_T0_E_clISt17integral_constantIbLb1EES1B_EEDaS16_S17_EUlS16_E_NS1_11comp_targetILNS1_3genE8ELNS1_11target_archE1030ELNS1_3gpuE2ELNS1_3repE0EEENS1_30default_config_static_selectorELNS0_4arch9wavefront6targetE0EEEvT1_.has_indirect_call, 0
	.section	.AMDGPU.csdata,"",@progbits
; Kernel info:
; codeLenInByte = 0
; TotalNumSgprs: 0
; NumVgprs: 0
; ScratchSize: 0
; MemoryBound: 0
; FloatMode: 240
; IeeeMode: 1
; LDSByteSize: 0 bytes/workgroup (compile time only)
; SGPRBlocks: 0
; VGPRBlocks: 0
; NumSGPRsForWavesPerEU: 1
; NumVGPRsForWavesPerEU: 1
; Occupancy: 16
; WaveLimiterHint : 0
; COMPUTE_PGM_RSRC2:SCRATCH_EN: 0
; COMPUTE_PGM_RSRC2:USER_SGPR: 2
; COMPUTE_PGM_RSRC2:TRAP_HANDLER: 0
; COMPUTE_PGM_RSRC2:TGID_X_EN: 1
; COMPUTE_PGM_RSRC2:TGID_Y_EN: 0
; COMPUTE_PGM_RSRC2:TGID_Z_EN: 0
; COMPUTE_PGM_RSRC2:TIDIG_COMP_CNT: 0
	.section	.text._ZN7rocprim17ROCPRIM_400000_NS6detail17trampoline_kernelINS0_14default_configENS1_25partition_config_selectorILNS1_17partition_subalgoE6EjNS0_10empty_typeEbEEZZNS1_14partition_implILS5_6ELb0ES3_mN6thrust23THRUST_200600_302600_NS6detail15normal_iteratorINSA_10device_ptrIjEEEEPS6_SG_NS0_5tupleIJNSA_16discard_iteratorINSA_11use_defaultEEES6_EEENSH_IJSG_SG_EEES6_PlJNSB_9not_fun_tINSB_14equal_to_valueIjEEEEEEE10hipError_tPvRmT3_T4_T5_T6_T7_T9_mT8_P12ihipStream_tbDpT10_ENKUlT_T0_E_clISt17integral_constantIbLb1EES1A_IbLb0EEEEDaS16_S17_EUlS16_E_NS1_11comp_targetILNS1_3genE0ELNS1_11target_archE4294967295ELNS1_3gpuE0ELNS1_3repE0EEENS1_30default_config_static_selectorELNS0_4arch9wavefront6targetE0EEEvT1_,"axG",@progbits,_ZN7rocprim17ROCPRIM_400000_NS6detail17trampoline_kernelINS0_14default_configENS1_25partition_config_selectorILNS1_17partition_subalgoE6EjNS0_10empty_typeEbEEZZNS1_14partition_implILS5_6ELb0ES3_mN6thrust23THRUST_200600_302600_NS6detail15normal_iteratorINSA_10device_ptrIjEEEEPS6_SG_NS0_5tupleIJNSA_16discard_iteratorINSA_11use_defaultEEES6_EEENSH_IJSG_SG_EEES6_PlJNSB_9not_fun_tINSB_14equal_to_valueIjEEEEEEE10hipError_tPvRmT3_T4_T5_T6_T7_T9_mT8_P12ihipStream_tbDpT10_ENKUlT_T0_E_clISt17integral_constantIbLb1EES1A_IbLb0EEEEDaS16_S17_EUlS16_E_NS1_11comp_targetILNS1_3genE0ELNS1_11target_archE4294967295ELNS1_3gpuE0ELNS1_3repE0EEENS1_30default_config_static_selectorELNS0_4arch9wavefront6targetE0EEEvT1_,comdat
	.protected	_ZN7rocprim17ROCPRIM_400000_NS6detail17trampoline_kernelINS0_14default_configENS1_25partition_config_selectorILNS1_17partition_subalgoE6EjNS0_10empty_typeEbEEZZNS1_14partition_implILS5_6ELb0ES3_mN6thrust23THRUST_200600_302600_NS6detail15normal_iteratorINSA_10device_ptrIjEEEEPS6_SG_NS0_5tupleIJNSA_16discard_iteratorINSA_11use_defaultEEES6_EEENSH_IJSG_SG_EEES6_PlJNSB_9not_fun_tINSB_14equal_to_valueIjEEEEEEE10hipError_tPvRmT3_T4_T5_T6_T7_T9_mT8_P12ihipStream_tbDpT10_ENKUlT_T0_E_clISt17integral_constantIbLb1EES1A_IbLb0EEEEDaS16_S17_EUlS16_E_NS1_11comp_targetILNS1_3genE0ELNS1_11target_archE4294967295ELNS1_3gpuE0ELNS1_3repE0EEENS1_30default_config_static_selectorELNS0_4arch9wavefront6targetE0EEEvT1_ ; -- Begin function _ZN7rocprim17ROCPRIM_400000_NS6detail17trampoline_kernelINS0_14default_configENS1_25partition_config_selectorILNS1_17partition_subalgoE6EjNS0_10empty_typeEbEEZZNS1_14partition_implILS5_6ELb0ES3_mN6thrust23THRUST_200600_302600_NS6detail15normal_iteratorINSA_10device_ptrIjEEEEPS6_SG_NS0_5tupleIJNSA_16discard_iteratorINSA_11use_defaultEEES6_EEENSH_IJSG_SG_EEES6_PlJNSB_9not_fun_tINSB_14equal_to_valueIjEEEEEEE10hipError_tPvRmT3_T4_T5_T6_T7_T9_mT8_P12ihipStream_tbDpT10_ENKUlT_T0_E_clISt17integral_constantIbLb1EES1A_IbLb0EEEEDaS16_S17_EUlS16_E_NS1_11comp_targetILNS1_3genE0ELNS1_11target_archE4294967295ELNS1_3gpuE0ELNS1_3repE0EEENS1_30default_config_static_selectorELNS0_4arch9wavefront6targetE0EEEvT1_
	.globl	_ZN7rocprim17ROCPRIM_400000_NS6detail17trampoline_kernelINS0_14default_configENS1_25partition_config_selectorILNS1_17partition_subalgoE6EjNS0_10empty_typeEbEEZZNS1_14partition_implILS5_6ELb0ES3_mN6thrust23THRUST_200600_302600_NS6detail15normal_iteratorINSA_10device_ptrIjEEEEPS6_SG_NS0_5tupleIJNSA_16discard_iteratorINSA_11use_defaultEEES6_EEENSH_IJSG_SG_EEES6_PlJNSB_9not_fun_tINSB_14equal_to_valueIjEEEEEEE10hipError_tPvRmT3_T4_T5_T6_T7_T9_mT8_P12ihipStream_tbDpT10_ENKUlT_T0_E_clISt17integral_constantIbLb1EES1A_IbLb0EEEEDaS16_S17_EUlS16_E_NS1_11comp_targetILNS1_3genE0ELNS1_11target_archE4294967295ELNS1_3gpuE0ELNS1_3repE0EEENS1_30default_config_static_selectorELNS0_4arch9wavefront6targetE0EEEvT1_
	.p2align	8
	.type	_ZN7rocprim17ROCPRIM_400000_NS6detail17trampoline_kernelINS0_14default_configENS1_25partition_config_selectorILNS1_17partition_subalgoE6EjNS0_10empty_typeEbEEZZNS1_14partition_implILS5_6ELb0ES3_mN6thrust23THRUST_200600_302600_NS6detail15normal_iteratorINSA_10device_ptrIjEEEEPS6_SG_NS0_5tupleIJNSA_16discard_iteratorINSA_11use_defaultEEES6_EEENSH_IJSG_SG_EEES6_PlJNSB_9not_fun_tINSB_14equal_to_valueIjEEEEEEE10hipError_tPvRmT3_T4_T5_T6_T7_T9_mT8_P12ihipStream_tbDpT10_ENKUlT_T0_E_clISt17integral_constantIbLb1EES1A_IbLb0EEEEDaS16_S17_EUlS16_E_NS1_11comp_targetILNS1_3genE0ELNS1_11target_archE4294967295ELNS1_3gpuE0ELNS1_3repE0EEENS1_30default_config_static_selectorELNS0_4arch9wavefront6targetE0EEEvT1_,@function
_ZN7rocprim17ROCPRIM_400000_NS6detail17trampoline_kernelINS0_14default_configENS1_25partition_config_selectorILNS1_17partition_subalgoE6EjNS0_10empty_typeEbEEZZNS1_14partition_implILS5_6ELb0ES3_mN6thrust23THRUST_200600_302600_NS6detail15normal_iteratorINSA_10device_ptrIjEEEEPS6_SG_NS0_5tupleIJNSA_16discard_iteratorINSA_11use_defaultEEES6_EEENSH_IJSG_SG_EEES6_PlJNSB_9not_fun_tINSB_14equal_to_valueIjEEEEEEE10hipError_tPvRmT3_T4_T5_T6_T7_T9_mT8_P12ihipStream_tbDpT10_ENKUlT_T0_E_clISt17integral_constantIbLb1EES1A_IbLb0EEEEDaS16_S17_EUlS16_E_NS1_11comp_targetILNS1_3genE0ELNS1_11target_archE4294967295ELNS1_3gpuE0ELNS1_3repE0EEENS1_30default_config_static_selectorELNS0_4arch9wavefront6targetE0EEEvT1_: ; @_ZN7rocprim17ROCPRIM_400000_NS6detail17trampoline_kernelINS0_14default_configENS1_25partition_config_selectorILNS1_17partition_subalgoE6EjNS0_10empty_typeEbEEZZNS1_14partition_implILS5_6ELb0ES3_mN6thrust23THRUST_200600_302600_NS6detail15normal_iteratorINSA_10device_ptrIjEEEEPS6_SG_NS0_5tupleIJNSA_16discard_iteratorINSA_11use_defaultEEES6_EEENSH_IJSG_SG_EEES6_PlJNSB_9not_fun_tINSB_14equal_to_valueIjEEEEEEE10hipError_tPvRmT3_T4_T5_T6_T7_T9_mT8_P12ihipStream_tbDpT10_ENKUlT_T0_E_clISt17integral_constantIbLb1EES1A_IbLb0EEEEDaS16_S17_EUlS16_E_NS1_11comp_targetILNS1_3genE0ELNS1_11target_archE4294967295ELNS1_3gpuE0ELNS1_3repE0EEENS1_30default_config_static_selectorELNS0_4arch9wavefront6targetE0EEEvT1_
; %bb.0:
	.section	.rodata,"a",@progbits
	.p2align	6, 0x0
	.amdhsa_kernel _ZN7rocprim17ROCPRIM_400000_NS6detail17trampoline_kernelINS0_14default_configENS1_25partition_config_selectorILNS1_17partition_subalgoE6EjNS0_10empty_typeEbEEZZNS1_14partition_implILS5_6ELb0ES3_mN6thrust23THRUST_200600_302600_NS6detail15normal_iteratorINSA_10device_ptrIjEEEEPS6_SG_NS0_5tupleIJNSA_16discard_iteratorINSA_11use_defaultEEES6_EEENSH_IJSG_SG_EEES6_PlJNSB_9not_fun_tINSB_14equal_to_valueIjEEEEEEE10hipError_tPvRmT3_T4_T5_T6_T7_T9_mT8_P12ihipStream_tbDpT10_ENKUlT_T0_E_clISt17integral_constantIbLb1EES1A_IbLb0EEEEDaS16_S17_EUlS16_E_NS1_11comp_targetILNS1_3genE0ELNS1_11target_archE4294967295ELNS1_3gpuE0ELNS1_3repE0EEENS1_30default_config_static_selectorELNS0_4arch9wavefront6targetE0EEEvT1_
		.amdhsa_group_segment_fixed_size 0
		.amdhsa_private_segment_fixed_size 0
		.amdhsa_kernarg_size 128
		.amdhsa_user_sgpr_count 2
		.amdhsa_user_sgpr_dispatch_ptr 0
		.amdhsa_user_sgpr_queue_ptr 0
		.amdhsa_user_sgpr_kernarg_segment_ptr 1
		.amdhsa_user_sgpr_dispatch_id 0
		.amdhsa_user_sgpr_private_segment_size 0
		.amdhsa_wavefront_size32 1
		.amdhsa_uses_dynamic_stack 0
		.amdhsa_enable_private_segment 0
		.amdhsa_system_sgpr_workgroup_id_x 1
		.amdhsa_system_sgpr_workgroup_id_y 0
		.amdhsa_system_sgpr_workgroup_id_z 0
		.amdhsa_system_sgpr_workgroup_info 0
		.amdhsa_system_vgpr_workitem_id 0
		.amdhsa_next_free_vgpr 1
		.amdhsa_next_free_sgpr 1
		.amdhsa_reserve_vcc 0
		.amdhsa_float_round_mode_32 0
		.amdhsa_float_round_mode_16_64 0
		.amdhsa_float_denorm_mode_32 3
		.amdhsa_float_denorm_mode_16_64 3
		.amdhsa_fp16_overflow 0
		.amdhsa_workgroup_processor_mode 1
		.amdhsa_memory_ordered 1
		.amdhsa_forward_progress 1
		.amdhsa_inst_pref_size 0
		.amdhsa_round_robin_scheduling 0
		.amdhsa_exception_fp_ieee_invalid_op 0
		.amdhsa_exception_fp_denorm_src 0
		.amdhsa_exception_fp_ieee_div_zero 0
		.amdhsa_exception_fp_ieee_overflow 0
		.amdhsa_exception_fp_ieee_underflow 0
		.amdhsa_exception_fp_ieee_inexact 0
		.amdhsa_exception_int_div_zero 0
	.end_amdhsa_kernel
	.section	.text._ZN7rocprim17ROCPRIM_400000_NS6detail17trampoline_kernelINS0_14default_configENS1_25partition_config_selectorILNS1_17partition_subalgoE6EjNS0_10empty_typeEbEEZZNS1_14partition_implILS5_6ELb0ES3_mN6thrust23THRUST_200600_302600_NS6detail15normal_iteratorINSA_10device_ptrIjEEEEPS6_SG_NS0_5tupleIJNSA_16discard_iteratorINSA_11use_defaultEEES6_EEENSH_IJSG_SG_EEES6_PlJNSB_9not_fun_tINSB_14equal_to_valueIjEEEEEEE10hipError_tPvRmT3_T4_T5_T6_T7_T9_mT8_P12ihipStream_tbDpT10_ENKUlT_T0_E_clISt17integral_constantIbLb1EES1A_IbLb0EEEEDaS16_S17_EUlS16_E_NS1_11comp_targetILNS1_3genE0ELNS1_11target_archE4294967295ELNS1_3gpuE0ELNS1_3repE0EEENS1_30default_config_static_selectorELNS0_4arch9wavefront6targetE0EEEvT1_,"axG",@progbits,_ZN7rocprim17ROCPRIM_400000_NS6detail17trampoline_kernelINS0_14default_configENS1_25partition_config_selectorILNS1_17partition_subalgoE6EjNS0_10empty_typeEbEEZZNS1_14partition_implILS5_6ELb0ES3_mN6thrust23THRUST_200600_302600_NS6detail15normal_iteratorINSA_10device_ptrIjEEEEPS6_SG_NS0_5tupleIJNSA_16discard_iteratorINSA_11use_defaultEEES6_EEENSH_IJSG_SG_EEES6_PlJNSB_9not_fun_tINSB_14equal_to_valueIjEEEEEEE10hipError_tPvRmT3_T4_T5_T6_T7_T9_mT8_P12ihipStream_tbDpT10_ENKUlT_T0_E_clISt17integral_constantIbLb1EES1A_IbLb0EEEEDaS16_S17_EUlS16_E_NS1_11comp_targetILNS1_3genE0ELNS1_11target_archE4294967295ELNS1_3gpuE0ELNS1_3repE0EEENS1_30default_config_static_selectorELNS0_4arch9wavefront6targetE0EEEvT1_,comdat
.Lfunc_end1677:
	.size	_ZN7rocprim17ROCPRIM_400000_NS6detail17trampoline_kernelINS0_14default_configENS1_25partition_config_selectorILNS1_17partition_subalgoE6EjNS0_10empty_typeEbEEZZNS1_14partition_implILS5_6ELb0ES3_mN6thrust23THRUST_200600_302600_NS6detail15normal_iteratorINSA_10device_ptrIjEEEEPS6_SG_NS0_5tupleIJNSA_16discard_iteratorINSA_11use_defaultEEES6_EEENSH_IJSG_SG_EEES6_PlJNSB_9not_fun_tINSB_14equal_to_valueIjEEEEEEE10hipError_tPvRmT3_T4_T5_T6_T7_T9_mT8_P12ihipStream_tbDpT10_ENKUlT_T0_E_clISt17integral_constantIbLb1EES1A_IbLb0EEEEDaS16_S17_EUlS16_E_NS1_11comp_targetILNS1_3genE0ELNS1_11target_archE4294967295ELNS1_3gpuE0ELNS1_3repE0EEENS1_30default_config_static_selectorELNS0_4arch9wavefront6targetE0EEEvT1_, .Lfunc_end1677-_ZN7rocprim17ROCPRIM_400000_NS6detail17trampoline_kernelINS0_14default_configENS1_25partition_config_selectorILNS1_17partition_subalgoE6EjNS0_10empty_typeEbEEZZNS1_14partition_implILS5_6ELb0ES3_mN6thrust23THRUST_200600_302600_NS6detail15normal_iteratorINSA_10device_ptrIjEEEEPS6_SG_NS0_5tupleIJNSA_16discard_iteratorINSA_11use_defaultEEES6_EEENSH_IJSG_SG_EEES6_PlJNSB_9not_fun_tINSB_14equal_to_valueIjEEEEEEE10hipError_tPvRmT3_T4_T5_T6_T7_T9_mT8_P12ihipStream_tbDpT10_ENKUlT_T0_E_clISt17integral_constantIbLb1EES1A_IbLb0EEEEDaS16_S17_EUlS16_E_NS1_11comp_targetILNS1_3genE0ELNS1_11target_archE4294967295ELNS1_3gpuE0ELNS1_3repE0EEENS1_30default_config_static_selectorELNS0_4arch9wavefront6targetE0EEEvT1_
                                        ; -- End function
	.set _ZN7rocprim17ROCPRIM_400000_NS6detail17trampoline_kernelINS0_14default_configENS1_25partition_config_selectorILNS1_17partition_subalgoE6EjNS0_10empty_typeEbEEZZNS1_14partition_implILS5_6ELb0ES3_mN6thrust23THRUST_200600_302600_NS6detail15normal_iteratorINSA_10device_ptrIjEEEEPS6_SG_NS0_5tupleIJNSA_16discard_iteratorINSA_11use_defaultEEES6_EEENSH_IJSG_SG_EEES6_PlJNSB_9not_fun_tINSB_14equal_to_valueIjEEEEEEE10hipError_tPvRmT3_T4_T5_T6_T7_T9_mT8_P12ihipStream_tbDpT10_ENKUlT_T0_E_clISt17integral_constantIbLb1EES1A_IbLb0EEEEDaS16_S17_EUlS16_E_NS1_11comp_targetILNS1_3genE0ELNS1_11target_archE4294967295ELNS1_3gpuE0ELNS1_3repE0EEENS1_30default_config_static_selectorELNS0_4arch9wavefront6targetE0EEEvT1_.num_vgpr, 0
	.set _ZN7rocprim17ROCPRIM_400000_NS6detail17trampoline_kernelINS0_14default_configENS1_25partition_config_selectorILNS1_17partition_subalgoE6EjNS0_10empty_typeEbEEZZNS1_14partition_implILS5_6ELb0ES3_mN6thrust23THRUST_200600_302600_NS6detail15normal_iteratorINSA_10device_ptrIjEEEEPS6_SG_NS0_5tupleIJNSA_16discard_iteratorINSA_11use_defaultEEES6_EEENSH_IJSG_SG_EEES6_PlJNSB_9not_fun_tINSB_14equal_to_valueIjEEEEEEE10hipError_tPvRmT3_T4_T5_T6_T7_T9_mT8_P12ihipStream_tbDpT10_ENKUlT_T0_E_clISt17integral_constantIbLb1EES1A_IbLb0EEEEDaS16_S17_EUlS16_E_NS1_11comp_targetILNS1_3genE0ELNS1_11target_archE4294967295ELNS1_3gpuE0ELNS1_3repE0EEENS1_30default_config_static_selectorELNS0_4arch9wavefront6targetE0EEEvT1_.num_agpr, 0
	.set _ZN7rocprim17ROCPRIM_400000_NS6detail17trampoline_kernelINS0_14default_configENS1_25partition_config_selectorILNS1_17partition_subalgoE6EjNS0_10empty_typeEbEEZZNS1_14partition_implILS5_6ELb0ES3_mN6thrust23THRUST_200600_302600_NS6detail15normal_iteratorINSA_10device_ptrIjEEEEPS6_SG_NS0_5tupleIJNSA_16discard_iteratorINSA_11use_defaultEEES6_EEENSH_IJSG_SG_EEES6_PlJNSB_9not_fun_tINSB_14equal_to_valueIjEEEEEEE10hipError_tPvRmT3_T4_T5_T6_T7_T9_mT8_P12ihipStream_tbDpT10_ENKUlT_T0_E_clISt17integral_constantIbLb1EES1A_IbLb0EEEEDaS16_S17_EUlS16_E_NS1_11comp_targetILNS1_3genE0ELNS1_11target_archE4294967295ELNS1_3gpuE0ELNS1_3repE0EEENS1_30default_config_static_selectorELNS0_4arch9wavefront6targetE0EEEvT1_.numbered_sgpr, 0
	.set _ZN7rocprim17ROCPRIM_400000_NS6detail17trampoline_kernelINS0_14default_configENS1_25partition_config_selectorILNS1_17partition_subalgoE6EjNS0_10empty_typeEbEEZZNS1_14partition_implILS5_6ELb0ES3_mN6thrust23THRUST_200600_302600_NS6detail15normal_iteratorINSA_10device_ptrIjEEEEPS6_SG_NS0_5tupleIJNSA_16discard_iteratorINSA_11use_defaultEEES6_EEENSH_IJSG_SG_EEES6_PlJNSB_9not_fun_tINSB_14equal_to_valueIjEEEEEEE10hipError_tPvRmT3_T4_T5_T6_T7_T9_mT8_P12ihipStream_tbDpT10_ENKUlT_T0_E_clISt17integral_constantIbLb1EES1A_IbLb0EEEEDaS16_S17_EUlS16_E_NS1_11comp_targetILNS1_3genE0ELNS1_11target_archE4294967295ELNS1_3gpuE0ELNS1_3repE0EEENS1_30default_config_static_selectorELNS0_4arch9wavefront6targetE0EEEvT1_.num_named_barrier, 0
	.set _ZN7rocprim17ROCPRIM_400000_NS6detail17trampoline_kernelINS0_14default_configENS1_25partition_config_selectorILNS1_17partition_subalgoE6EjNS0_10empty_typeEbEEZZNS1_14partition_implILS5_6ELb0ES3_mN6thrust23THRUST_200600_302600_NS6detail15normal_iteratorINSA_10device_ptrIjEEEEPS6_SG_NS0_5tupleIJNSA_16discard_iteratorINSA_11use_defaultEEES6_EEENSH_IJSG_SG_EEES6_PlJNSB_9not_fun_tINSB_14equal_to_valueIjEEEEEEE10hipError_tPvRmT3_T4_T5_T6_T7_T9_mT8_P12ihipStream_tbDpT10_ENKUlT_T0_E_clISt17integral_constantIbLb1EES1A_IbLb0EEEEDaS16_S17_EUlS16_E_NS1_11comp_targetILNS1_3genE0ELNS1_11target_archE4294967295ELNS1_3gpuE0ELNS1_3repE0EEENS1_30default_config_static_selectorELNS0_4arch9wavefront6targetE0EEEvT1_.private_seg_size, 0
	.set _ZN7rocprim17ROCPRIM_400000_NS6detail17trampoline_kernelINS0_14default_configENS1_25partition_config_selectorILNS1_17partition_subalgoE6EjNS0_10empty_typeEbEEZZNS1_14partition_implILS5_6ELb0ES3_mN6thrust23THRUST_200600_302600_NS6detail15normal_iteratorINSA_10device_ptrIjEEEEPS6_SG_NS0_5tupleIJNSA_16discard_iteratorINSA_11use_defaultEEES6_EEENSH_IJSG_SG_EEES6_PlJNSB_9not_fun_tINSB_14equal_to_valueIjEEEEEEE10hipError_tPvRmT3_T4_T5_T6_T7_T9_mT8_P12ihipStream_tbDpT10_ENKUlT_T0_E_clISt17integral_constantIbLb1EES1A_IbLb0EEEEDaS16_S17_EUlS16_E_NS1_11comp_targetILNS1_3genE0ELNS1_11target_archE4294967295ELNS1_3gpuE0ELNS1_3repE0EEENS1_30default_config_static_selectorELNS0_4arch9wavefront6targetE0EEEvT1_.uses_vcc, 0
	.set _ZN7rocprim17ROCPRIM_400000_NS6detail17trampoline_kernelINS0_14default_configENS1_25partition_config_selectorILNS1_17partition_subalgoE6EjNS0_10empty_typeEbEEZZNS1_14partition_implILS5_6ELb0ES3_mN6thrust23THRUST_200600_302600_NS6detail15normal_iteratorINSA_10device_ptrIjEEEEPS6_SG_NS0_5tupleIJNSA_16discard_iteratorINSA_11use_defaultEEES6_EEENSH_IJSG_SG_EEES6_PlJNSB_9not_fun_tINSB_14equal_to_valueIjEEEEEEE10hipError_tPvRmT3_T4_T5_T6_T7_T9_mT8_P12ihipStream_tbDpT10_ENKUlT_T0_E_clISt17integral_constantIbLb1EES1A_IbLb0EEEEDaS16_S17_EUlS16_E_NS1_11comp_targetILNS1_3genE0ELNS1_11target_archE4294967295ELNS1_3gpuE0ELNS1_3repE0EEENS1_30default_config_static_selectorELNS0_4arch9wavefront6targetE0EEEvT1_.uses_flat_scratch, 0
	.set _ZN7rocprim17ROCPRIM_400000_NS6detail17trampoline_kernelINS0_14default_configENS1_25partition_config_selectorILNS1_17partition_subalgoE6EjNS0_10empty_typeEbEEZZNS1_14partition_implILS5_6ELb0ES3_mN6thrust23THRUST_200600_302600_NS6detail15normal_iteratorINSA_10device_ptrIjEEEEPS6_SG_NS0_5tupleIJNSA_16discard_iteratorINSA_11use_defaultEEES6_EEENSH_IJSG_SG_EEES6_PlJNSB_9not_fun_tINSB_14equal_to_valueIjEEEEEEE10hipError_tPvRmT3_T4_T5_T6_T7_T9_mT8_P12ihipStream_tbDpT10_ENKUlT_T0_E_clISt17integral_constantIbLb1EES1A_IbLb0EEEEDaS16_S17_EUlS16_E_NS1_11comp_targetILNS1_3genE0ELNS1_11target_archE4294967295ELNS1_3gpuE0ELNS1_3repE0EEENS1_30default_config_static_selectorELNS0_4arch9wavefront6targetE0EEEvT1_.has_dyn_sized_stack, 0
	.set _ZN7rocprim17ROCPRIM_400000_NS6detail17trampoline_kernelINS0_14default_configENS1_25partition_config_selectorILNS1_17partition_subalgoE6EjNS0_10empty_typeEbEEZZNS1_14partition_implILS5_6ELb0ES3_mN6thrust23THRUST_200600_302600_NS6detail15normal_iteratorINSA_10device_ptrIjEEEEPS6_SG_NS0_5tupleIJNSA_16discard_iteratorINSA_11use_defaultEEES6_EEENSH_IJSG_SG_EEES6_PlJNSB_9not_fun_tINSB_14equal_to_valueIjEEEEEEE10hipError_tPvRmT3_T4_T5_T6_T7_T9_mT8_P12ihipStream_tbDpT10_ENKUlT_T0_E_clISt17integral_constantIbLb1EES1A_IbLb0EEEEDaS16_S17_EUlS16_E_NS1_11comp_targetILNS1_3genE0ELNS1_11target_archE4294967295ELNS1_3gpuE0ELNS1_3repE0EEENS1_30default_config_static_selectorELNS0_4arch9wavefront6targetE0EEEvT1_.has_recursion, 0
	.set _ZN7rocprim17ROCPRIM_400000_NS6detail17trampoline_kernelINS0_14default_configENS1_25partition_config_selectorILNS1_17partition_subalgoE6EjNS0_10empty_typeEbEEZZNS1_14partition_implILS5_6ELb0ES3_mN6thrust23THRUST_200600_302600_NS6detail15normal_iteratorINSA_10device_ptrIjEEEEPS6_SG_NS0_5tupleIJNSA_16discard_iteratorINSA_11use_defaultEEES6_EEENSH_IJSG_SG_EEES6_PlJNSB_9not_fun_tINSB_14equal_to_valueIjEEEEEEE10hipError_tPvRmT3_T4_T5_T6_T7_T9_mT8_P12ihipStream_tbDpT10_ENKUlT_T0_E_clISt17integral_constantIbLb1EES1A_IbLb0EEEEDaS16_S17_EUlS16_E_NS1_11comp_targetILNS1_3genE0ELNS1_11target_archE4294967295ELNS1_3gpuE0ELNS1_3repE0EEENS1_30default_config_static_selectorELNS0_4arch9wavefront6targetE0EEEvT1_.has_indirect_call, 0
	.section	.AMDGPU.csdata,"",@progbits
; Kernel info:
; codeLenInByte = 0
; TotalNumSgprs: 0
; NumVgprs: 0
; ScratchSize: 0
; MemoryBound: 0
; FloatMode: 240
; IeeeMode: 1
; LDSByteSize: 0 bytes/workgroup (compile time only)
; SGPRBlocks: 0
; VGPRBlocks: 0
; NumSGPRsForWavesPerEU: 1
; NumVGPRsForWavesPerEU: 1
; Occupancy: 16
; WaveLimiterHint : 0
; COMPUTE_PGM_RSRC2:SCRATCH_EN: 0
; COMPUTE_PGM_RSRC2:USER_SGPR: 2
; COMPUTE_PGM_RSRC2:TRAP_HANDLER: 0
; COMPUTE_PGM_RSRC2:TGID_X_EN: 1
; COMPUTE_PGM_RSRC2:TGID_Y_EN: 0
; COMPUTE_PGM_RSRC2:TGID_Z_EN: 0
; COMPUTE_PGM_RSRC2:TIDIG_COMP_CNT: 0
	.section	.text._ZN7rocprim17ROCPRIM_400000_NS6detail17trampoline_kernelINS0_14default_configENS1_25partition_config_selectorILNS1_17partition_subalgoE6EjNS0_10empty_typeEbEEZZNS1_14partition_implILS5_6ELb0ES3_mN6thrust23THRUST_200600_302600_NS6detail15normal_iteratorINSA_10device_ptrIjEEEEPS6_SG_NS0_5tupleIJNSA_16discard_iteratorINSA_11use_defaultEEES6_EEENSH_IJSG_SG_EEES6_PlJNSB_9not_fun_tINSB_14equal_to_valueIjEEEEEEE10hipError_tPvRmT3_T4_T5_T6_T7_T9_mT8_P12ihipStream_tbDpT10_ENKUlT_T0_E_clISt17integral_constantIbLb1EES1A_IbLb0EEEEDaS16_S17_EUlS16_E_NS1_11comp_targetILNS1_3genE5ELNS1_11target_archE942ELNS1_3gpuE9ELNS1_3repE0EEENS1_30default_config_static_selectorELNS0_4arch9wavefront6targetE0EEEvT1_,"axG",@progbits,_ZN7rocprim17ROCPRIM_400000_NS6detail17trampoline_kernelINS0_14default_configENS1_25partition_config_selectorILNS1_17partition_subalgoE6EjNS0_10empty_typeEbEEZZNS1_14partition_implILS5_6ELb0ES3_mN6thrust23THRUST_200600_302600_NS6detail15normal_iteratorINSA_10device_ptrIjEEEEPS6_SG_NS0_5tupleIJNSA_16discard_iteratorINSA_11use_defaultEEES6_EEENSH_IJSG_SG_EEES6_PlJNSB_9not_fun_tINSB_14equal_to_valueIjEEEEEEE10hipError_tPvRmT3_T4_T5_T6_T7_T9_mT8_P12ihipStream_tbDpT10_ENKUlT_T0_E_clISt17integral_constantIbLb1EES1A_IbLb0EEEEDaS16_S17_EUlS16_E_NS1_11comp_targetILNS1_3genE5ELNS1_11target_archE942ELNS1_3gpuE9ELNS1_3repE0EEENS1_30default_config_static_selectorELNS0_4arch9wavefront6targetE0EEEvT1_,comdat
	.protected	_ZN7rocprim17ROCPRIM_400000_NS6detail17trampoline_kernelINS0_14default_configENS1_25partition_config_selectorILNS1_17partition_subalgoE6EjNS0_10empty_typeEbEEZZNS1_14partition_implILS5_6ELb0ES3_mN6thrust23THRUST_200600_302600_NS6detail15normal_iteratorINSA_10device_ptrIjEEEEPS6_SG_NS0_5tupleIJNSA_16discard_iteratorINSA_11use_defaultEEES6_EEENSH_IJSG_SG_EEES6_PlJNSB_9not_fun_tINSB_14equal_to_valueIjEEEEEEE10hipError_tPvRmT3_T4_T5_T6_T7_T9_mT8_P12ihipStream_tbDpT10_ENKUlT_T0_E_clISt17integral_constantIbLb1EES1A_IbLb0EEEEDaS16_S17_EUlS16_E_NS1_11comp_targetILNS1_3genE5ELNS1_11target_archE942ELNS1_3gpuE9ELNS1_3repE0EEENS1_30default_config_static_selectorELNS0_4arch9wavefront6targetE0EEEvT1_ ; -- Begin function _ZN7rocprim17ROCPRIM_400000_NS6detail17trampoline_kernelINS0_14default_configENS1_25partition_config_selectorILNS1_17partition_subalgoE6EjNS0_10empty_typeEbEEZZNS1_14partition_implILS5_6ELb0ES3_mN6thrust23THRUST_200600_302600_NS6detail15normal_iteratorINSA_10device_ptrIjEEEEPS6_SG_NS0_5tupleIJNSA_16discard_iteratorINSA_11use_defaultEEES6_EEENSH_IJSG_SG_EEES6_PlJNSB_9not_fun_tINSB_14equal_to_valueIjEEEEEEE10hipError_tPvRmT3_T4_T5_T6_T7_T9_mT8_P12ihipStream_tbDpT10_ENKUlT_T0_E_clISt17integral_constantIbLb1EES1A_IbLb0EEEEDaS16_S17_EUlS16_E_NS1_11comp_targetILNS1_3genE5ELNS1_11target_archE942ELNS1_3gpuE9ELNS1_3repE0EEENS1_30default_config_static_selectorELNS0_4arch9wavefront6targetE0EEEvT1_
	.globl	_ZN7rocprim17ROCPRIM_400000_NS6detail17trampoline_kernelINS0_14default_configENS1_25partition_config_selectorILNS1_17partition_subalgoE6EjNS0_10empty_typeEbEEZZNS1_14partition_implILS5_6ELb0ES3_mN6thrust23THRUST_200600_302600_NS6detail15normal_iteratorINSA_10device_ptrIjEEEEPS6_SG_NS0_5tupleIJNSA_16discard_iteratorINSA_11use_defaultEEES6_EEENSH_IJSG_SG_EEES6_PlJNSB_9not_fun_tINSB_14equal_to_valueIjEEEEEEE10hipError_tPvRmT3_T4_T5_T6_T7_T9_mT8_P12ihipStream_tbDpT10_ENKUlT_T0_E_clISt17integral_constantIbLb1EES1A_IbLb0EEEEDaS16_S17_EUlS16_E_NS1_11comp_targetILNS1_3genE5ELNS1_11target_archE942ELNS1_3gpuE9ELNS1_3repE0EEENS1_30default_config_static_selectorELNS0_4arch9wavefront6targetE0EEEvT1_
	.p2align	8
	.type	_ZN7rocprim17ROCPRIM_400000_NS6detail17trampoline_kernelINS0_14default_configENS1_25partition_config_selectorILNS1_17partition_subalgoE6EjNS0_10empty_typeEbEEZZNS1_14partition_implILS5_6ELb0ES3_mN6thrust23THRUST_200600_302600_NS6detail15normal_iteratorINSA_10device_ptrIjEEEEPS6_SG_NS0_5tupleIJNSA_16discard_iteratorINSA_11use_defaultEEES6_EEENSH_IJSG_SG_EEES6_PlJNSB_9not_fun_tINSB_14equal_to_valueIjEEEEEEE10hipError_tPvRmT3_T4_T5_T6_T7_T9_mT8_P12ihipStream_tbDpT10_ENKUlT_T0_E_clISt17integral_constantIbLb1EES1A_IbLb0EEEEDaS16_S17_EUlS16_E_NS1_11comp_targetILNS1_3genE5ELNS1_11target_archE942ELNS1_3gpuE9ELNS1_3repE0EEENS1_30default_config_static_selectorELNS0_4arch9wavefront6targetE0EEEvT1_,@function
_ZN7rocprim17ROCPRIM_400000_NS6detail17trampoline_kernelINS0_14default_configENS1_25partition_config_selectorILNS1_17partition_subalgoE6EjNS0_10empty_typeEbEEZZNS1_14partition_implILS5_6ELb0ES3_mN6thrust23THRUST_200600_302600_NS6detail15normal_iteratorINSA_10device_ptrIjEEEEPS6_SG_NS0_5tupleIJNSA_16discard_iteratorINSA_11use_defaultEEES6_EEENSH_IJSG_SG_EEES6_PlJNSB_9not_fun_tINSB_14equal_to_valueIjEEEEEEE10hipError_tPvRmT3_T4_T5_T6_T7_T9_mT8_P12ihipStream_tbDpT10_ENKUlT_T0_E_clISt17integral_constantIbLb1EES1A_IbLb0EEEEDaS16_S17_EUlS16_E_NS1_11comp_targetILNS1_3genE5ELNS1_11target_archE942ELNS1_3gpuE9ELNS1_3repE0EEENS1_30default_config_static_selectorELNS0_4arch9wavefront6targetE0EEEvT1_: ; @_ZN7rocprim17ROCPRIM_400000_NS6detail17trampoline_kernelINS0_14default_configENS1_25partition_config_selectorILNS1_17partition_subalgoE6EjNS0_10empty_typeEbEEZZNS1_14partition_implILS5_6ELb0ES3_mN6thrust23THRUST_200600_302600_NS6detail15normal_iteratorINSA_10device_ptrIjEEEEPS6_SG_NS0_5tupleIJNSA_16discard_iteratorINSA_11use_defaultEEES6_EEENSH_IJSG_SG_EEES6_PlJNSB_9not_fun_tINSB_14equal_to_valueIjEEEEEEE10hipError_tPvRmT3_T4_T5_T6_T7_T9_mT8_P12ihipStream_tbDpT10_ENKUlT_T0_E_clISt17integral_constantIbLb1EES1A_IbLb0EEEEDaS16_S17_EUlS16_E_NS1_11comp_targetILNS1_3genE5ELNS1_11target_archE942ELNS1_3gpuE9ELNS1_3repE0EEENS1_30default_config_static_selectorELNS0_4arch9wavefront6targetE0EEEvT1_
; %bb.0:
	.section	.rodata,"a",@progbits
	.p2align	6, 0x0
	.amdhsa_kernel _ZN7rocprim17ROCPRIM_400000_NS6detail17trampoline_kernelINS0_14default_configENS1_25partition_config_selectorILNS1_17partition_subalgoE6EjNS0_10empty_typeEbEEZZNS1_14partition_implILS5_6ELb0ES3_mN6thrust23THRUST_200600_302600_NS6detail15normal_iteratorINSA_10device_ptrIjEEEEPS6_SG_NS0_5tupleIJNSA_16discard_iteratorINSA_11use_defaultEEES6_EEENSH_IJSG_SG_EEES6_PlJNSB_9not_fun_tINSB_14equal_to_valueIjEEEEEEE10hipError_tPvRmT3_T4_T5_T6_T7_T9_mT8_P12ihipStream_tbDpT10_ENKUlT_T0_E_clISt17integral_constantIbLb1EES1A_IbLb0EEEEDaS16_S17_EUlS16_E_NS1_11comp_targetILNS1_3genE5ELNS1_11target_archE942ELNS1_3gpuE9ELNS1_3repE0EEENS1_30default_config_static_selectorELNS0_4arch9wavefront6targetE0EEEvT1_
		.amdhsa_group_segment_fixed_size 0
		.amdhsa_private_segment_fixed_size 0
		.amdhsa_kernarg_size 128
		.amdhsa_user_sgpr_count 2
		.amdhsa_user_sgpr_dispatch_ptr 0
		.amdhsa_user_sgpr_queue_ptr 0
		.amdhsa_user_sgpr_kernarg_segment_ptr 1
		.amdhsa_user_sgpr_dispatch_id 0
		.amdhsa_user_sgpr_private_segment_size 0
		.amdhsa_wavefront_size32 1
		.amdhsa_uses_dynamic_stack 0
		.amdhsa_enable_private_segment 0
		.amdhsa_system_sgpr_workgroup_id_x 1
		.amdhsa_system_sgpr_workgroup_id_y 0
		.amdhsa_system_sgpr_workgroup_id_z 0
		.amdhsa_system_sgpr_workgroup_info 0
		.amdhsa_system_vgpr_workitem_id 0
		.amdhsa_next_free_vgpr 1
		.amdhsa_next_free_sgpr 1
		.amdhsa_reserve_vcc 0
		.amdhsa_float_round_mode_32 0
		.amdhsa_float_round_mode_16_64 0
		.amdhsa_float_denorm_mode_32 3
		.amdhsa_float_denorm_mode_16_64 3
		.amdhsa_fp16_overflow 0
		.amdhsa_workgroup_processor_mode 1
		.amdhsa_memory_ordered 1
		.amdhsa_forward_progress 1
		.amdhsa_inst_pref_size 0
		.amdhsa_round_robin_scheduling 0
		.amdhsa_exception_fp_ieee_invalid_op 0
		.amdhsa_exception_fp_denorm_src 0
		.amdhsa_exception_fp_ieee_div_zero 0
		.amdhsa_exception_fp_ieee_overflow 0
		.amdhsa_exception_fp_ieee_underflow 0
		.amdhsa_exception_fp_ieee_inexact 0
		.amdhsa_exception_int_div_zero 0
	.end_amdhsa_kernel
	.section	.text._ZN7rocprim17ROCPRIM_400000_NS6detail17trampoline_kernelINS0_14default_configENS1_25partition_config_selectorILNS1_17partition_subalgoE6EjNS0_10empty_typeEbEEZZNS1_14partition_implILS5_6ELb0ES3_mN6thrust23THRUST_200600_302600_NS6detail15normal_iteratorINSA_10device_ptrIjEEEEPS6_SG_NS0_5tupleIJNSA_16discard_iteratorINSA_11use_defaultEEES6_EEENSH_IJSG_SG_EEES6_PlJNSB_9not_fun_tINSB_14equal_to_valueIjEEEEEEE10hipError_tPvRmT3_T4_T5_T6_T7_T9_mT8_P12ihipStream_tbDpT10_ENKUlT_T0_E_clISt17integral_constantIbLb1EES1A_IbLb0EEEEDaS16_S17_EUlS16_E_NS1_11comp_targetILNS1_3genE5ELNS1_11target_archE942ELNS1_3gpuE9ELNS1_3repE0EEENS1_30default_config_static_selectorELNS0_4arch9wavefront6targetE0EEEvT1_,"axG",@progbits,_ZN7rocprim17ROCPRIM_400000_NS6detail17trampoline_kernelINS0_14default_configENS1_25partition_config_selectorILNS1_17partition_subalgoE6EjNS0_10empty_typeEbEEZZNS1_14partition_implILS5_6ELb0ES3_mN6thrust23THRUST_200600_302600_NS6detail15normal_iteratorINSA_10device_ptrIjEEEEPS6_SG_NS0_5tupleIJNSA_16discard_iteratorINSA_11use_defaultEEES6_EEENSH_IJSG_SG_EEES6_PlJNSB_9not_fun_tINSB_14equal_to_valueIjEEEEEEE10hipError_tPvRmT3_T4_T5_T6_T7_T9_mT8_P12ihipStream_tbDpT10_ENKUlT_T0_E_clISt17integral_constantIbLb1EES1A_IbLb0EEEEDaS16_S17_EUlS16_E_NS1_11comp_targetILNS1_3genE5ELNS1_11target_archE942ELNS1_3gpuE9ELNS1_3repE0EEENS1_30default_config_static_selectorELNS0_4arch9wavefront6targetE0EEEvT1_,comdat
.Lfunc_end1678:
	.size	_ZN7rocprim17ROCPRIM_400000_NS6detail17trampoline_kernelINS0_14default_configENS1_25partition_config_selectorILNS1_17partition_subalgoE6EjNS0_10empty_typeEbEEZZNS1_14partition_implILS5_6ELb0ES3_mN6thrust23THRUST_200600_302600_NS6detail15normal_iteratorINSA_10device_ptrIjEEEEPS6_SG_NS0_5tupleIJNSA_16discard_iteratorINSA_11use_defaultEEES6_EEENSH_IJSG_SG_EEES6_PlJNSB_9not_fun_tINSB_14equal_to_valueIjEEEEEEE10hipError_tPvRmT3_T4_T5_T6_T7_T9_mT8_P12ihipStream_tbDpT10_ENKUlT_T0_E_clISt17integral_constantIbLb1EES1A_IbLb0EEEEDaS16_S17_EUlS16_E_NS1_11comp_targetILNS1_3genE5ELNS1_11target_archE942ELNS1_3gpuE9ELNS1_3repE0EEENS1_30default_config_static_selectorELNS0_4arch9wavefront6targetE0EEEvT1_, .Lfunc_end1678-_ZN7rocprim17ROCPRIM_400000_NS6detail17trampoline_kernelINS0_14default_configENS1_25partition_config_selectorILNS1_17partition_subalgoE6EjNS0_10empty_typeEbEEZZNS1_14partition_implILS5_6ELb0ES3_mN6thrust23THRUST_200600_302600_NS6detail15normal_iteratorINSA_10device_ptrIjEEEEPS6_SG_NS0_5tupleIJNSA_16discard_iteratorINSA_11use_defaultEEES6_EEENSH_IJSG_SG_EEES6_PlJNSB_9not_fun_tINSB_14equal_to_valueIjEEEEEEE10hipError_tPvRmT3_T4_T5_T6_T7_T9_mT8_P12ihipStream_tbDpT10_ENKUlT_T0_E_clISt17integral_constantIbLb1EES1A_IbLb0EEEEDaS16_S17_EUlS16_E_NS1_11comp_targetILNS1_3genE5ELNS1_11target_archE942ELNS1_3gpuE9ELNS1_3repE0EEENS1_30default_config_static_selectorELNS0_4arch9wavefront6targetE0EEEvT1_
                                        ; -- End function
	.set _ZN7rocprim17ROCPRIM_400000_NS6detail17trampoline_kernelINS0_14default_configENS1_25partition_config_selectorILNS1_17partition_subalgoE6EjNS0_10empty_typeEbEEZZNS1_14partition_implILS5_6ELb0ES3_mN6thrust23THRUST_200600_302600_NS6detail15normal_iteratorINSA_10device_ptrIjEEEEPS6_SG_NS0_5tupleIJNSA_16discard_iteratorINSA_11use_defaultEEES6_EEENSH_IJSG_SG_EEES6_PlJNSB_9not_fun_tINSB_14equal_to_valueIjEEEEEEE10hipError_tPvRmT3_T4_T5_T6_T7_T9_mT8_P12ihipStream_tbDpT10_ENKUlT_T0_E_clISt17integral_constantIbLb1EES1A_IbLb0EEEEDaS16_S17_EUlS16_E_NS1_11comp_targetILNS1_3genE5ELNS1_11target_archE942ELNS1_3gpuE9ELNS1_3repE0EEENS1_30default_config_static_selectorELNS0_4arch9wavefront6targetE0EEEvT1_.num_vgpr, 0
	.set _ZN7rocprim17ROCPRIM_400000_NS6detail17trampoline_kernelINS0_14default_configENS1_25partition_config_selectorILNS1_17partition_subalgoE6EjNS0_10empty_typeEbEEZZNS1_14partition_implILS5_6ELb0ES3_mN6thrust23THRUST_200600_302600_NS6detail15normal_iteratorINSA_10device_ptrIjEEEEPS6_SG_NS0_5tupleIJNSA_16discard_iteratorINSA_11use_defaultEEES6_EEENSH_IJSG_SG_EEES6_PlJNSB_9not_fun_tINSB_14equal_to_valueIjEEEEEEE10hipError_tPvRmT3_T4_T5_T6_T7_T9_mT8_P12ihipStream_tbDpT10_ENKUlT_T0_E_clISt17integral_constantIbLb1EES1A_IbLb0EEEEDaS16_S17_EUlS16_E_NS1_11comp_targetILNS1_3genE5ELNS1_11target_archE942ELNS1_3gpuE9ELNS1_3repE0EEENS1_30default_config_static_selectorELNS0_4arch9wavefront6targetE0EEEvT1_.num_agpr, 0
	.set _ZN7rocprim17ROCPRIM_400000_NS6detail17trampoline_kernelINS0_14default_configENS1_25partition_config_selectorILNS1_17partition_subalgoE6EjNS0_10empty_typeEbEEZZNS1_14partition_implILS5_6ELb0ES3_mN6thrust23THRUST_200600_302600_NS6detail15normal_iteratorINSA_10device_ptrIjEEEEPS6_SG_NS0_5tupleIJNSA_16discard_iteratorINSA_11use_defaultEEES6_EEENSH_IJSG_SG_EEES6_PlJNSB_9not_fun_tINSB_14equal_to_valueIjEEEEEEE10hipError_tPvRmT3_T4_T5_T6_T7_T9_mT8_P12ihipStream_tbDpT10_ENKUlT_T0_E_clISt17integral_constantIbLb1EES1A_IbLb0EEEEDaS16_S17_EUlS16_E_NS1_11comp_targetILNS1_3genE5ELNS1_11target_archE942ELNS1_3gpuE9ELNS1_3repE0EEENS1_30default_config_static_selectorELNS0_4arch9wavefront6targetE0EEEvT1_.numbered_sgpr, 0
	.set _ZN7rocprim17ROCPRIM_400000_NS6detail17trampoline_kernelINS0_14default_configENS1_25partition_config_selectorILNS1_17partition_subalgoE6EjNS0_10empty_typeEbEEZZNS1_14partition_implILS5_6ELb0ES3_mN6thrust23THRUST_200600_302600_NS6detail15normal_iteratorINSA_10device_ptrIjEEEEPS6_SG_NS0_5tupleIJNSA_16discard_iteratorINSA_11use_defaultEEES6_EEENSH_IJSG_SG_EEES6_PlJNSB_9not_fun_tINSB_14equal_to_valueIjEEEEEEE10hipError_tPvRmT3_T4_T5_T6_T7_T9_mT8_P12ihipStream_tbDpT10_ENKUlT_T0_E_clISt17integral_constantIbLb1EES1A_IbLb0EEEEDaS16_S17_EUlS16_E_NS1_11comp_targetILNS1_3genE5ELNS1_11target_archE942ELNS1_3gpuE9ELNS1_3repE0EEENS1_30default_config_static_selectorELNS0_4arch9wavefront6targetE0EEEvT1_.num_named_barrier, 0
	.set _ZN7rocprim17ROCPRIM_400000_NS6detail17trampoline_kernelINS0_14default_configENS1_25partition_config_selectorILNS1_17partition_subalgoE6EjNS0_10empty_typeEbEEZZNS1_14partition_implILS5_6ELb0ES3_mN6thrust23THRUST_200600_302600_NS6detail15normal_iteratorINSA_10device_ptrIjEEEEPS6_SG_NS0_5tupleIJNSA_16discard_iteratorINSA_11use_defaultEEES6_EEENSH_IJSG_SG_EEES6_PlJNSB_9not_fun_tINSB_14equal_to_valueIjEEEEEEE10hipError_tPvRmT3_T4_T5_T6_T7_T9_mT8_P12ihipStream_tbDpT10_ENKUlT_T0_E_clISt17integral_constantIbLb1EES1A_IbLb0EEEEDaS16_S17_EUlS16_E_NS1_11comp_targetILNS1_3genE5ELNS1_11target_archE942ELNS1_3gpuE9ELNS1_3repE0EEENS1_30default_config_static_selectorELNS0_4arch9wavefront6targetE0EEEvT1_.private_seg_size, 0
	.set _ZN7rocprim17ROCPRIM_400000_NS6detail17trampoline_kernelINS0_14default_configENS1_25partition_config_selectorILNS1_17partition_subalgoE6EjNS0_10empty_typeEbEEZZNS1_14partition_implILS5_6ELb0ES3_mN6thrust23THRUST_200600_302600_NS6detail15normal_iteratorINSA_10device_ptrIjEEEEPS6_SG_NS0_5tupleIJNSA_16discard_iteratorINSA_11use_defaultEEES6_EEENSH_IJSG_SG_EEES6_PlJNSB_9not_fun_tINSB_14equal_to_valueIjEEEEEEE10hipError_tPvRmT3_T4_T5_T6_T7_T9_mT8_P12ihipStream_tbDpT10_ENKUlT_T0_E_clISt17integral_constantIbLb1EES1A_IbLb0EEEEDaS16_S17_EUlS16_E_NS1_11comp_targetILNS1_3genE5ELNS1_11target_archE942ELNS1_3gpuE9ELNS1_3repE0EEENS1_30default_config_static_selectorELNS0_4arch9wavefront6targetE0EEEvT1_.uses_vcc, 0
	.set _ZN7rocprim17ROCPRIM_400000_NS6detail17trampoline_kernelINS0_14default_configENS1_25partition_config_selectorILNS1_17partition_subalgoE6EjNS0_10empty_typeEbEEZZNS1_14partition_implILS5_6ELb0ES3_mN6thrust23THRUST_200600_302600_NS6detail15normal_iteratorINSA_10device_ptrIjEEEEPS6_SG_NS0_5tupleIJNSA_16discard_iteratorINSA_11use_defaultEEES6_EEENSH_IJSG_SG_EEES6_PlJNSB_9not_fun_tINSB_14equal_to_valueIjEEEEEEE10hipError_tPvRmT3_T4_T5_T6_T7_T9_mT8_P12ihipStream_tbDpT10_ENKUlT_T0_E_clISt17integral_constantIbLb1EES1A_IbLb0EEEEDaS16_S17_EUlS16_E_NS1_11comp_targetILNS1_3genE5ELNS1_11target_archE942ELNS1_3gpuE9ELNS1_3repE0EEENS1_30default_config_static_selectorELNS0_4arch9wavefront6targetE0EEEvT1_.uses_flat_scratch, 0
	.set _ZN7rocprim17ROCPRIM_400000_NS6detail17trampoline_kernelINS0_14default_configENS1_25partition_config_selectorILNS1_17partition_subalgoE6EjNS0_10empty_typeEbEEZZNS1_14partition_implILS5_6ELb0ES3_mN6thrust23THRUST_200600_302600_NS6detail15normal_iteratorINSA_10device_ptrIjEEEEPS6_SG_NS0_5tupleIJNSA_16discard_iteratorINSA_11use_defaultEEES6_EEENSH_IJSG_SG_EEES6_PlJNSB_9not_fun_tINSB_14equal_to_valueIjEEEEEEE10hipError_tPvRmT3_T4_T5_T6_T7_T9_mT8_P12ihipStream_tbDpT10_ENKUlT_T0_E_clISt17integral_constantIbLb1EES1A_IbLb0EEEEDaS16_S17_EUlS16_E_NS1_11comp_targetILNS1_3genE5ELNS1_11target_archE942ELNS1_3gpuE9ELNS1_3repE0EEENS1_30default_config_static_selectorELNS0_4arch9wavefront6targetE0EEEvT1_.has_dyn_sized_stack, 0
	.set _ZN7rocprim17ROCPRIM_400000_NS6detail17trampoline_kernelINS0_14default_configENS1_25partition_config_selectorILNS1_17partition_subalgoE6EjNS0_10empty_typeEbEEZZNS1_14partition_implILS5_6ELb0ES3_mN6thrust23THRUST_200600_302600_NS6detail15normal_iteratorINSA_10device_ptrIjEEEEPS6_SG_NS0_5tupleIJNSA_16discard_iteratorINSA_11use_defaultEEES6_EEENSH_IJSG_SG_EEES6_PlJNSB_9not_fun_tINSB_14equal_to_valueIjEEEEEEE10hipError_tPvRmT3_T4_T5_T6_T7_T9_mT8_P12ihipStream_tbDpT10_ENKUlT_T0_E_clISt17integral_constantIbLb1EES1A_IbLb0EEEEDaS16_S17_EUlS16_E_NS1_11comp_targetILNS1_3genE5ELNS1_11target_archE942ELNS1_3gpuE9ELNS1_3repE0EEENS1_30default_config_static_selectorELNS0_4arch9wavefront6targetE0EEEvT1_.has_recursion, 0
	.set _ZN7rocprim17ROCPRIM_400000_NS6detail17trampoline_kernelINS0_14default_configENS1_25partition_config_selectorILNS1_17partition_subalgoE6EjNS0_10empty_typeEbEEZZNS1_14partition_implILS5_6ELb0ES3_mN6thrust23THRUST_200600_302600_NS6detail15normal_iteratorINSA_10device_ptrIjEEEEPS6_SG_NS0_5tupleIJNSA_16discard_iteratorINSA_11use_defaultEEES6_EEENSH_IJSG_SG_EEES6_PlJNSB_9not_fun_tINSB_14equal_to_valueIjEEEEEEE10hipError_tPvRmT3_T4_T5_T6_T7_T9_mT8_P12ihipStream_tbDpT10_ENKUlT_T0_E_clISt17integral_constantIbLb1EES1A_IbLb0EEEEDaS16_S17_EUlS16_E_NS1_11comp_targetILNS1_3genE5ELNS1_11target_archE942ELNS1_3gpuE9ELNS1_3repE0EEENS1_30default_config_static_selectorELNS0_4arch9wavefront6targetE0EEEvT1_.has_indirect_call, 0
	.section	.AMDGPU.csdata,"",@progbits
; Kernel info:
; codeLenInByte = 0
; TotalNumSgprs: 0
; NumVgprs: 0
; ScratchSize: 0
; MemoryBound: 0
; FloatMode: 240
; IeeeMode: 1
; LDSByteSize: 0 bytes/workgroup (compile time only)
; SGPRBlocks: 0
; VGPRBlocks: 0
; NumSGPRsForWavesPerEU: 1
; NumVGPRsForWavesPerEU: 1
; Occupancy: 16
; WaveLimiterHint : 0
; COMPUTE_PGM_RSRC2:SCRATCH_EN: 0
; COMPUTE_PGM_RSRC2:USER_SGPR: 2
; COMPUTE_PGM_RSRC2:TRAP_HANDLER: 0
; COMPUTE_PGM_RSRC2:TGID_X_EN: 1
; COMPUTE_PGM_RSRC2:TGID_Y_EN: 0
; COMPUTE_PGM_RSRC2:TGID_Z_EN: 0
; COMPUTE_PGM_RSRC2:TIDIG_COMP_CNT: 0
	.section	.text._ZN7rocprim17ROCPRIM_400000_NS6detail17trampoline_kernelINS0_14default_configENS1_25partition_config_selectorILNS1_17partition_subalgoE6EjNS0_10empty_typeEbEEZZNS1_14partition_implILS5_6ELb0ES3_mN6thrust23THRUST_200600_302600_NS6detail15normal_iteratorINSA_10device_ptrIjEEEEPS6_SG_NS0_5tupleIJNSA_16discard_iteratorINSA_11use_defaultEEES6_EEENSH_IJSG_SG_EEES6_PlJNSB_9not_fun_tINSB_14equal_to_valueIjEEEEEEE10hipError_tPvRmT3_T4_T5_T6_T7_T9_mT8_P12ihipStream_tbDpT10_ENKUlT_T0_E_clISt17integral_constantIbLb1EES1A_IbLb0EEEEDaS16_S17_EUlS16_E_NS1_11comp_targetILNS1_3genE4ELNS1_11target_archE910ELNS1_3gpuE8ELNS1_3repE0EEENS1_30default_config_static_selectorELNS0_4arch9wavefront6targetE0EEEvT1_,"axG",@progbits,_ZN7rocprim17ROCPRIM_400000_NS6detail17trampoline_kernelINS0_14default_configENS1_25partition_config_selectorILNS1_17partition_subalgoE6EjNS0_10empty_typeEbEEZZNS1_14partition_implILS5_6ELb0ES3_mN6thrust23THRUST_200600_302600_NS6detail15normal_iteratorINSA_10device_ptrIjEEEEPS6_SG_NS0_5tupleIJNSA_16discard_iteratorINSA_11use_defaultEEES6_EEENSH_IJSG_SG_EEES6_PlJNSB_9not_fun_tINSB_14equal_to_valueIjEEEEEEE10hipError_tPvRmT3_T4_T5_T6_T7_T9_mT8_P12ihipStream_tbDpT10_ENKUlT_T0_E_clISt17integral_constantIbLb1EES1A_IbLb0EEEEDaS16_S17_EUlS16_E_NS1_11comp_targetILNS1_3genE4ELNS1_11target_archE910ELNS1_3gpuE8ELNS1_3repE0EEENS1_30default_config_static_selectorELNS0_4arch9wavefront6targetE0EEEvT1_,comdat
	.protected	_ZN7rocprim17ROCPRIM_400000_NS6detail17trampoline_kernelINS0_14default_configENS1_25partition_config_selectorILNS1_17partition_subalgoE6EjNS0_10empty_typeEbEEZZNS1_14partition_implILS5_6ELb0ES3_mN6thrust23THRUST_200600_302600_NS6detail15normal_iteratorINSA_10device_ptrIjEEEEPS6_SG_NS0_5tupleIJNSA_16discard_iteratorINSA_11use_defaultEEES6_EEENSH_IJSG_SG_EEES6_PlJNSB_9not_fun_tINSB_14equal_to_valueIjEEEEEEE10hipError_tPvRmT3_T4_T5_T6_T7_T9_mT8_P12ihipStream_tbDpT10_ENKUlT_T0_E_clISt17integral_constantIbLb1EES1A_IbLb0EEEEDaS16_S17_EUlS16_E_NS1_11comp_targetILNS1_3genE4ELNS1_11target_archE910ELNS1_3gpuE8ELNS1_3repE0EEENS1_30default_config_static_selectorELNS0_4arch9wavefront6targetE0EEEvT1_ ; -- Begin function _ZN7rocprim17ROCPRIM_400000_NS6detail17trampoline_kernelINS0_14default_configENS1_25partition_config_selectorILNS1_17partition_subalgoE6EjNS0_10empty_typeEbEEZZNS1_14partition_implILS5_6ELb0ES3_mN6thrust23THRUST_200600_302600_NS6detail15normal_iteratorINSA_10device_ptrIjEEEEPS6_SG_NS0_5tupleIJNSA_16discard_iteratorINSA_11use_defaultEEES6_EEENSH_IJSG_SG_EEES6_PlJNSB_9not_fun_tINSB_14equal_to_valueIjEEEEEEE10hipError_tPvRmT3_T4_T5_T6_T7_T9_mT8_P12ihipStream_tbDpT10_ENKUlT_T0_E_clISt17integral_constantIbLb1EES1A_IbLb0EEEEDaS16_S17_EUlS16_E_NS1_11comp_targetILNS1_3genE4ELNS1_11target_archE910ELNS1_3gpuE8ELNS1_3repE0EEENS1_30default_config_static_selectorELNS0_4arch9wavefront6targetE0EEEvT1_
	.globl	_ZN7rocprim17ROCPRIM_400000_NS6detail17trampoline_kernelINS0_14default_configENS1_25partition_config_selectorILNS1_17partition_subalgoE6EjNS0_10empty_typeEbEEZZNS1_14partition_implILS5_6ELb0ES3_mN6thrust23THRUST_200600_302600_NS6detail15normal_iteratorINSA_10device_ptrIjEEEEPS6_SG_NS0_5tupleIJNSA_16discard_iteratorINSA_11use_defaultEEES6_EEENSH_IJSG_SG_EEES6_PlJNSB_9not_fun_tINSB_14equal_to_valueIjEEEEEEE10hipError_tPvRmT3_T4_T5_T6_T7_T9_mT8_P12ihipStream_tbDpT10_ENKUlT_T0_E_clISt17integral_constantIbLb1EES1A_IbLb0EEEEDaS16_S17_EUlS16_E_NS1_11comp_targetILNS1_3genE4ELNS1_11target_archE910ELNS1_3gpuE8ELNS1_3repE0EEENS1_30default_config_static_selectorELNS0_4arch9wavefront6targetE0EEEvT1_
	.p2align	8
	.type	_ZN7rocprim17ROCPRIM_400000_NS6detail17trampoline_kernelINS0_14default_configENS1_25partition_config_selectorILNS1_17partition_subalgoE6EjNS0_10empty_typeEbEEZZNS1_14partition_implILS5_6ELb0ES3_mN6thrust23THRUST_200600_302600_NS6detail15normal_iteratorINSA_10device_ptrIjEEEEPS6_SG_NS0_5tupleIJNSA_16discard_iteratorINSA_11use_defaultEEES6_EEENSH_IJSG_SG_EEES6_PlJNSB_9not_fun_tINSB_14equal_to_valueIjEEEEEEE10hipError_tPvRmT3_T4_T5_T6_T7_T9_mT8_P12ihipStream_tbDpT10_ENKUlT_T0_E_clISt17integral_constantIbLb1EES1A_IbLb0EEEEDaS16_S17_EUlS16_E_NS1_11comp_targetILNS1_3genE4ELNS1_11target_archE910ELNS1_3gpuE8ELNS1_3repE0EEENS1_30default_config_static_selectorELNS0_4arch9wavefront6targetE0EEEvT1_,@function
_ZN7rocprim17ROCPRIM_400000_NS6detail17trampoline_kernelINS0_14default_configENS1_25partition_config_selectorILNS1_17partition_subalgoE6EjNS0_10empty_typeEbEEZZNS1_14partition_implILS5_6ELb0ES3_mN6thrust23THRUST_200600_302600_NS6detail15normal_iteratorINSA_10device_ptrIjEEEEPS6_SG_NS0_5tupleIJNSA_16discard_iteratorINSA_11use_defaultEEES6_EEENSH_IJSG_SG_EEES6_PlJNSB_9not_fun_tINSB_14equal_to_valueIjEEEEEEE10hipError_tPvRmT3_T4_T5_T6_T7_T9_mT8_P12ihipStream_tbDpT10_ENKUlT_T0_E_clISt17integral_constantIbLb1EES1A_IbLb0EEEEDaS16_S17_EUlS16_E_NS1_11comp_targetILNS1_3genE4ELNS1_11target_archE910ELNS1_3gpuE8ELNS1_3repE0EEENS1_30default_config_static_selectorELNS0_4arch9wavefront6targetE0EEEvT1_: ; @_ZN7rocprim17ROCPRIM_400000_NS6detail17trampoline_kernelINS0_14default_configENS1_25partition_config_selectorILNS1_17partition_subalgoE6EjNS0_10empty_typeEbEEZZNS1_14partition_implILS5_6ELb0ES3_mN6thrust23THRUST_200600_302600_NS6detail15normal_iteratorINSA_10device_ptrIjEEEEPS6_SG_NS0_5tupleIJNSA_16discard_iteratorINSA_11use_defaultEEES6_EEENSH_IJSG_SG_EEES6_PlJNSB_9not_fun_tINSB_14equal_to_valueIjEEEEEEE10hipError_tPvRmT3_T4_T5_T6_T7_T9_mT8_P12ihipStream_tbDpT10_ENKUlT_T0_E_clISt17integral_constantIbLb1EES1A_IbLb0EEEEDaS16_S17_EUlS16_E_NS1_11comp_targetILNS1_3genE4ELNS1_11target_archE910ELNS1_3gpuE8ELNS1_3repE0EEENS1_30default_config_static_selectorELNS0_4arch9wavefront6targetE0EEEvT1_
; %bb.0:
	.section	.rodata,"a",@progbits
	.p2align	6, 0x0
	.amdhsa_kernel _ZN7rocprim17ROCPRIM_400000_NS6detail17trampoline_kernelINS0_14default_configENS1_25partition_config_selectorILNS1_17partition_subalgoE6EjNS0_10empty_typeEbEEZZNS1_14partition_implILS5_6ELb0ES3_mN6thrust23THRUST_200600_302600_NS6detail15normal_iteratorINSA_10device_ptrIjEEEEPS6_SG_NS0_5tupleIJNSA_16discard_iteratorINSA_11use_defaultEEES6_EEENSH_IJSG_SG_EEES6_PlJNSB_9not_fun_tINSB_14equal_to_valueIjEEEEEEE10hipError_tPvRmT3_T4_T5_T6_T7_T9_mT8_P12ihipStream_tbDpT10_ENKUlT_T0_E_clISt17integral_constantIbLb1EES1A_IbLb0EEEEDaS16_S17_EUlS16_E_NS1_11comp_targetILNS1_3genE4ELNS1_11target_archE910ELNS1_3gpuE8ELNS1_3repE0EEENS1_30default_config_static_selectorELNS0_4arch9wavefront6targetE0EEEvT1_
		.amdhsa_group_segment_fixed_size 0
		.amdhsa_private_segment_fixed_size 0
		.amdhsa_kernarg_size 128
		.amdhsa_user_sgpr_count 2
		.amdhsa_user_sgpr_dispatch_ptr 0
		.amdhsa_user_sgpr_queue_ptr 0
		.amdhsa_user_sgpr_kernarg_segment_ptr 1
		.amdhsa_user_sgpr_dispatch_id 0
		.amdhsa_user_sgpr_private_segment_size 0
		.amdhsa_wavefront_size32 1
		.amdhsa_uses_dynamic_stack 0
		.amdhsa_enable_private_segment 0
		.amdhsa_system_sgpr_workgroup_id_x 1
		.amdhsa_system_sgpr_workgroup_id_y 0
		.amdhsa_system_sgpr_workgroup_id_z 0
		.amdhsa_system_sgpr_workgroup_info 0
		.amdhsa_system_vgpr_workitem_id 0
		.amdhsa_next_free_vgpr 1
		.amdhsa_next_free_sgpr 1
		.amdhsa_reserve_vcc 0
		.amdhsa_float_round_mode_32 0
		.amdhsa_float_round_mode_16_64 0
		.amdhsa_float_denorm_mode_32 3
		.amdhsa_float_denorm_mode_16_64 3
		.amdhsa_fp16_overflow 0
		.amdhsa_workgroup_processor_mode 1
		.amdhsa_memory_ordered 1
		.amdhsa_forward_progress 1
		.amdhsa_inst_pref_size 0
		.amdhsa_round_robin_scheduling 0
		.amdhsa_exception_fp_ieee_invalid_op 0
		.amdhsa_exception_fp_denorm_src 0
		.amdhsa_exception_fp_ieee_div_zero 0
		.amdhsa_exception_fp_ieee_overflow 0
		.amdhsa_exception_fp_ieee_underflow 0
		.amdhsa_exception_fp_ieee_inexact 0
		.amdhsa_exception_int_div_zero 0
	.end_amdhsa_kernel
	.section	.text._ZN7rocprim17ROCPRIM_400000_NS6detail17trampoline_kernelINS0_14default_configENS1_25partition_config_selectorILNS1_17partition_subalgoE6EjNS0_10empty_typeEbEEZZNS1_14partition_implILS5_6ELb0ES3_mN6thrust23THRUST_200600_302600_NS6detail15normal_iteratorINSA_10device_ptrIjEEEEPS6_SG_NS0_5tupleIJNSA_16discard_iteratorINSA_11use_defaultEEES6_EEENSH_IJSG_SG_EEES6_PlJNSB_9not_fun_tINSB_14equal_to_valueIjEEEEEEE10hipError_tPvRmT3_T4_T5_T6_T7_T9_mT8_P12ihipStream_tbDpT10_ENKUlT_T0_E_clISt17integral_constantIbLb1EES1A_IbLb0EEEEDaS16_S17_EUlS16_E_NS1_11comp_targetILNS1_3genE4ELNS1_11target_archE910ELNS1_3gpuE8ELNS1_3repE0EEENS1_30default_config_static_selectorELNS0_4arch9wavefront6targetE0EEEvT1_,"axG",@progbits,_ZN7rocprim17ROCPRIM_400000_NS6detail17trampoline_kernelINS0_14default_configENS1_25partition_config_selectorILNS1_17partition_subalgoE6EjNS0_10empty_typeEbEEZZNS1_14partition_implILS5_6ELb0ES3_mN6thrust23THRUST_200600_302600_NS6detail15normal_iteratorINSA_10device_ptrIjEEEEPS6_SG_NS0_5tupleIJNSA_16discard_iteratorINSA_11use_defaultEEES6_EEENSH_IJSG_SG_EEES6_PlJNSB_9not_fun_tINSB_14equal_to_valueIjEEEEEEE10hipError_tPvRmT3_T4_T5_T6_T7_T9_mT8_P12ihipStream_tbDpT10_ENKUlT_T0_E_clISt17integral_constantIbLb1EES1A_IbLb0EEEEDaS16_S17_EUlS16_E_NS1_11comp_targetILNS1_3genE4ELNS1_11target_archE910ELNS1_3gpuE8ELNS1_3repE0EEENS1_30default_config_static_selectorELNS0_4arch9wavefront6targetE0EEEvT1_,comdat
.Lfunc_end1679:
	.size	_ZN7rocprim17ROCPRIM_400000_NS6detail17trampoline_kernelINS0_14default_configENS1_25partition_config_selectorILNS1_17partition_subalgoE6EjNS0_10empty_typeEbEEZZNS1_14partition_implILS5_6ELb0ES3_mN6thrust23THRUST_200600_302600_NS6detail15normal_iteratorINSA_10device_ptrIjEEEEPS6_SG_NS0_5tupleIJNSA_16discard_iteratorINSA_11use_defaultEEES6_EEENSH_IJSG_SG_EEES6_PlJNSB_9not_fun_tINSB_14equal_to_valueIjEEEEEEE10hipError_tPvRmT3_T4_T5_T6_T7_T9_mT8_P12ihipStream_tbDpT10_ENKUlT_T0_E_clISt17integral_constantIbLb1EES1A_IbLb0EEEEDaS16_S17_EUlS16_E_NS1_11comp_targetILNS1_3genE4ELNS1_11target_archE910ELNS1_3gpuE8ELNS1_3repE0EEENS1_30default_config_static_selectorELNS0_4arch9wavefront6targetE0EEEvT1_, .Lfunc_end1679-_ZN7rocprim17ROCPRIM_400000_NS6detail17trampoline_kernelINS0_14default_configENS1_25partition_config_selectorILNS1_17partition_subalgoE6EjNS0_10empty_typeEbEEZZNS1_14partition_implILS5_6ELb0ES3_mN6thrust23THRUST_200600_302600_NS6detail15normal_iteratorINSA_10device_ptrIjEEEEPS6_SG_NS0_5tupleIJNSA_16discard_iteratorINSA_11use_defaultEEES6_EEENSH_IJSG_SG_EEES6_PlJNSB_9not_fun_tINSB_14equal_to_valueIjEEEEEEE10hipError_tPvRmT3_T4_T5_T6_T7_T9_mT8_P12ihipStream_tbDpT10_ENKUlT_T0_E_clISt17integral_constantIbLb1EES1A_IbLb0EEEEDaS16_S17_EUlS16_E_NS1_11comp_targetILNS1_3genE4ELNS1_11target_archE910ELNS1_3gpuE8ELNS1_3repE0EEENS1_30default_config_static_selectorELNS0_4arch9wavefront6targetE0EEEvT1_
                                        ; -- End function
	.set _ZN7rocprim17ROCPRIM_400000_NS6detail17trampoline_kernelINS0_14default_configENS1_25partition_config_selectorILNS1_17partition_subalgoE6EjNS0_10empty_typeEbEEZZNS1_14partition_implILS5_6ELb0ES3_mN6thrust23THRUST_200600_302600_NS6detail15normal_iteratorINSA_10device_ptrIjEEEEPS6_SG_NS0_5tupleIJNSA_16discard_iteratorINSA_11use_defaultEEES6_EEENSH_IJSG_SG_EEES6_PlJNSB_9not_fun_tINSB_14equal_to_valueIjEEEEEEE10hipError_tPvRmT3_T4_T5_T6_T7_T9_mT8_P12ihipStream_tbDpT10_ENKUlT_T0_E_clISt17integral_constantIbLb1EES1A_IbLb0EEEEDaS16_S17_EUlS16_E_NS1_11comp_targetILNS1_3genE4ELNS1_11target_archE910ELNS1_3gpuE8ELNS1_3repE0EEENS1_30default_config_static_selectorELNS0_4arch9wavefront6targetE0EEEvT1_.num_vgpr, 0
	.set _ZN7rocprim17ROCPRIM_400000_NS6detail17trampoline_kernelINS0_14default_configENS1_25partition_config_selectorILNS1_17partition_subalgoE6EjNS0_10empty_typeEbEEZZNS1_14partition_implILS5_6ELb0ES3_mN6thrust23THRUST_200600_302600_NS6detail15normal_iteratorINSA_10device_ptrIjEEEEPS6_SG_NS0_5tupleIJNSA_16discard_iteratorINSA_11use_defaultEEES6_EEENSH_IJSG_SG_EEES6_PlJNSB_9not_fun_tINSB_14equal_to_valueIjEEEEEEE10hipError_tPvRmT3_T4_T5_T6_T7_T9_mT8_P12ihipStream_tbDpT10_ENKUlT_T0_E_clISt17integral_constantIbLb1EES1A_IbLb0EEEEDaS16_S17_EUlS16_E_NS1_11comp_targetILNS1_3genE4ELNS1_11target_archE910ELNS1_3gpuE8ELNS1_3repE0EEENS1_30default_config_static_selectorELNS0_4arch9wavefront6targetE0EEEvT1_.num_agpr, 0
	.set _ZN7rocprim17ROCPRIM_400000_NS6detail17trampoline_kernelINS0_14default_configENS1_25partition_config_selectorILNS1_17partition_subalgoE6EjNS0_10empty_typeEbEEZZNS1_14partition_implILS5_6ELb0ES3_mN6thrust23THRUST_200600_302600_NS6detail15normal_iteratorINSA_10device_ptrIjEEEEPS6_SG_NS0_5tupleIJNSA_16discard_iteratorINSA_11use_defaultEEES6_EEENSH_IJSG_SG_EEES6_PlJNSB_9not_fun_tINSB_14equal_to_valueIjEEEEEEE10hipError_tPvRmT3_T4_T5_T6_T7_T9_mT8_P12ihipStream_tbDpT10_ENKUlT_T0_E_clISt17integral_constantIbLb1EES1A_IbLb0EEEEDaS16_S17_EUlS16_E_NS1_11comp_targetILNS1_3genE4ELNS1_11target_archE910ELNS1_3gpuE8ELNS1_3repE0EEENS1_30default_config_static_selectorELNS0_4arch9wavefront6targetE0EEEvT1_.numbered_sgpr, 0
	.set _ZN7rocprim17ROCPRIM_400000_NS6detail17trampoline_kernelINS0_14default_configENS1_25partition_config_selectorILNS1_17partition_subalgoE6EjNS0_10empty_typeEbEEZZNS1_14partition_implILS5_6ELb0ES3_mN6thrust23THRUST_200600_302600_NS6detail15normal_iteratorINSA_10device_ptrIjEEEEPS6_SG_NS0_5tupleIJNSA_16discard_iteratorINSA_11use_defaultEEES6_EEENSH_IJSG_SG_EEES6_PlJNSB_9not_fun_tINSB_14equal_to_valueIjEEEEEEE10hipError_tPvRmT3_T4_T5_T6_T7_T9_mT8_P12ihipStream_tbDpT10_ENKUlT_T0_E_clISt17integral_constantIbLb1EES1A_IbLb0EEEEDaS16_S17_EUlS16_E_NS1_11comp_targetILNS1_3genE4ELNS1_11target_archE910ELNS1_3gpuE8ELNS1_3repE0EEENS1_30default_config_static_selectorELNS0_4arch9wavefront6targetE0EEEvT1_.num_named_barrier, 0
	.set _ZN7rocprim17ROCPRIM_400000_NS6detail17trampoline_kernelINS0_14default_configENS1_25partition_config_selectorILNS1_17partition_subalgoE6EjNS0_10empty_typeEbEEZZNS1_14partition_implILS5_6ELb0ES3_mN6thrust23THRUST_200600_302600_NS6detail15normal_iteratorINSA_10device_ptrIjEEEEPS6_SG_NS0_5tupleIJNSA_16discard_iteratorINSA_11use_defaultEEES6_EEENSH_IJSG_SG_EEES6_PlJNSB_9not_fun_tINSB_14equal_to_valueIjEEEEEEE10hipError_tPvRmT3_T4_T5_T6_T7_T9_mT8_P12ihipStream_tbDpT10_ENKUlT_T0_E_clISt17integral_constantIbLb1EES1A_IbLb0EEEEDaS16_S17_EUlS16_E_NS1_11comp_targetILNS1_3genE4ELNS1_11target_archE910ELNS1_3gpuE8ELNS1_3repE0EEENS1_30default_config_static_selectorELNS0_4arch9wavefront6targetE0EEEvT1_.private_seg_size, 0
	.set _ZN7rocprim17ROCPRIM_400000_NS6detail17trampoline_kernelINS0_14default_configENS1_25partition_config_selectorILNS1_17partition_subalgoE6EjNS0_10empty_typeEbEEZZNS1_14partition_implILS5_6ELb0ES3_mN6thrust23THRUST_200600_302600_NS6detail15normal_iteratorINSA_10device_ptrIjEEEEPS6_SG_NS0_5tupleIJNSA_16discard_iteratorINSA_11use_defaultEEES6_EEENSH_IJSG_SG_EEES6_PlJNSB_9not_fun_tINSB_14equal_to_valueIjEEEEEEE10hipError_tPvRmT3_T4_T5_T6_T7_T9_mT8_P12ihipStream_tbDpT10_ENKUlT_T0_E_clISt17integral_constantIbLb1EES1A_IbLb0EEEEDaS16_S17_EUlS16_E_NS1_11comp_targetILNS1_3genE4ELNS1_11target_archE910ELNS1_3gpuE8ELNS1_3repE0EEENS1_30default_config_static_selectorELNS0_4arch9wavefront6targetE0EEEvT1_.uses_vcc, 0
	.set _ZN7rocprim17ROCPRIM_400000_NS6detail17trampoline_kernelINS0_14default_configENS1_25partition_config_selectorILNS1_17partition_subalgoE6EjNS0_10empty_typeEbEEZZNS1_14partition_implILS5_6ELb0ES3_mN6thrust23THRUST_200600_302600_NS6detail15normal_iteratorINSA_10device_ptrIjEEEEPS6_SG_NS0_5tupleIJNSA_16discard_iteratorINSA_11use_defaultEEES6_EEENSH_IJSG_SG_EEES6_PlJNSB_9not_fun_tINSB_14equal_to_valueIjEEEEEEE10hipError_tPvRmT3_T4_T5_T6_T7_T9_mT8_P12ihipStream_tbDpT10_ENKUlT_T0_E_clISt17integral_constantIbLb1EES1A_IbLb0EEEEDaS16_S17_EUlS16_E_NS1_11comp_targetILNS1_3genE4ELNS1_11target_archE910ELNS1_3gpuE8ELNS1_3repE0EEENS1_30default_config_static_selectorELNS0_4arch9wavefront6targetE0EEEvT1_.uses_flat_scratch, 0
	.set _ZN7rocprim17ROCPRIM_400000_NS6detail17trampoline_kernelINS0_14default_configENS1_25partition_config_selectorILNS1_17partition_subalgoE6EjNS0_10empty_typeEbEEZZNS1_14partition_implILS5_6ELb0ES3_mN6thrust23THRUST_200600_302600_NS6detail15normal_iteratorINSA_10device_ptrIjEEEEPS6_SG_NS0_5tupleIJNSA_16discard_iteratorINSA_11use_defaultEEES6_EEENSH_IJSG_SG_EEES6_PlJNSB_9not_fun_tINSB_14equal_to_valueIjEEEEEEE10hipError_tPvRmT3_T4_T5_T6_T7_T9_mT8_P12ihipStream_tbDpT10_ENKUlT_T0_E_clISt17integral_constantIbLb1EES1A_IbLb0EEEEDaS16_S17_EUlS16_E_NS1_11comp_targetILNS1_3genE4ELNS1_11target_archE910ELNS1_3gpuE8ELNS1_3repE0EEENS1_30default_config_static_selectorELNS0_4arch9wavefront6targetE0EEEvT1_.has_dyn_sized_stack, 0
	.set _ZN7rocprim17ROCPRIM_400000_NS6detail17trampoline_kernelINS0_14default_configENS1_25partition_config_selectorILNS1_17partition_subalgoE6EjNS0_10empty_typeEbEEZZNS1_14partition_implILS5_6ELb0ES3_mN6thrust23THRUST_200600_302600_NS6detail15normal_iteratorINSA_10device_ptrIjEEEEPS6_SG_NS0_5tupleIJNSA_16discard_iteratorINSA_11use_defaultEEES6_EEENSH_IJSG_SG_EEES6_PlJNSB_9not_fun_tINSB_14equal_to_valueIjEEEEEEE10hipError_tPvRmT3_T4_T5_T6_T7_T9_mT8_P12ihipStream_tbDpT10_ENKUlT_T0_E_clISt17integral_constantIbLb1EES1A_IbLb0EEEEDaS16_S17_EUlS16_E_NS1_11comp_targetILNS1_3genE4ELNS1_11target_archE910ELNS1_3gpuE8ELNS1_3repE0EEENS1_30default_config_static_selectorELNS0_4arch9wavefront6targetE0EEEvT1_.has_recursion, 0
	.set _ZN7rocprim17ROCPRIM_400000_NS6detail17trampoline_kernelINS0_14default_configENS1_25partition_config_selectorILNS1_17partition_subalgoE6EjNS0_10empty_typeEbEEZZNS1_14partition_implILS5_6ELb0ES3_mN6thrust23THRUST_200600_302600_NS6detail15normal_iteratorINSA_10device_ptrIjEEEEPS6_SG_NS0_5tupleIJNSA_16discard_iteratorINSA_11use_defaultEEES6_EEENSH_IJSG_SG_EEES6_PlJNSB_9not_fun_tINSB_14equal_to_valueIjEEEEEEE10hipError_tPvRmT3_T4_T5_T6_T7_T9_mT8_P12ihipStream_tbDpT10_ENKUlT_T0_E_clISt17integral_constantIbLb1EES1A_IbLb0EEEEDaS16_S17_EUlS16_E_NS1_11comp_targetILNS1_3genE4ELNS1_11target_archE910ELNS1_3gpuE8ELNS1_3repE0EEENS1_30default_config_static_selectorELNS0_4arch9wavefront6targetE0EEEvT1_.has_indirect_call, 0
	.section	.AMDGPU.csdata,"",@progbits
; Kernel info:
; codeLenInByte = 0
; TotalNumSgprs: 0
; NumVgprs: 0
; ScratchSize: 0
; MemoryBound: 0
; FloatMode: 240
; IeeeMode: 1
; LDSByteSize: 0 bytes/workgroup (compile time only)
; SGPRBlocks: 0
; VGPRBlocks: 0
; NumSGPRsForWavesPerEU: 1
; NumVGPRsForWavesPerEU: 1
; Occupancy: 16
; WaveLimiterHint : 0
; COMPUTE_PGM_RSRC2:SCRATCH_EN: 0
; COMPUTE_PGM_RSRC2:USER_SGPR: 2
; COMPUTE_PGM_RSRC2:TRAP_HANDLER: 0
; COMPUTE_PGM_RSRC2:TGID_X_EN: 1
; COMPUTE_PGM_RSRC2:TGID_Y_EN: 0
; COMPUTE_PGM_RSRC2:TGID_Z_EN: 0
; COMPUTE_PGM_RSRC2:TIDIG_COMP_CNT: 0
	.section	.text._ZN7rocprim17ROCPRIM_400000_NS6detail17trampoline_kernelINS0_14default_configENS1_25partition_config_selectorILNS1_17partition_subalgoE6EjNS0_10empty_typeEbEEZZNS1_14partition_implILS5_6ELb0ES3_mN6thrust23THRUST_200600_302600_NS6detail15normal_iteratorINSA_10device_ptrIjEEEEPS6_SG_NS0_5tupleIJNSA_16discard_iteratorINSA_11use_defaultEEES6_EEENSH_IJSG_SG_EEES6_PlJNSB_9not_fun_tINSB_14equal_to_valueIjEEEEEEE10hipError_tPvRmT3_T4_T5_T6_T7_T9_mT8_P12ihipStream_tbDpT10_ENKUlT_T0_E_clISt17integral_constantIbLb1EES1A_IbLb0EEEEDaS16_S17_EUlS16_E_NS1_11comp_targetILNS1_3genE3ELNS1_11target_archE908ELNS1_3gpuE7ELNS1_3repE0EEENS1_30default_config_static_selectorELNS0_4arch9wavefront6targetE0EEEvT1_,"axG",@progbits,_ZN7rocprim17ROCPRIM_400000_NS6detail17trampoline_kernelINS0_14default_configENS1_25partition_config_selectorILNS1_17partition_subalgoE6EjNS0_10empty_typeEbEEZZNS1_14partition_implILS5_6ELb0ES3_mN6thrust23THRUST_200600_302600_NS6detail15normal_iteratorINSA_10device_ptrIjEEEEPS6_SG_NS0_5tupleIJNSA_16discard_iteratorINSA_11use_defaultEEES6_EEENSH_IJSG_SG_EEES6_PlJNSB_9not_fun_tINSB_14equal_to_valueIjEEEEEEE10hipError_tPvRmT3_T4_T5_T6_T7_T9_mT8_P12ihipStream_tbDpT10_ENKUlT_T0_E_clISt17integral_constantIbLb1EES1A_IbLb0EEEEDaS16_S17_EUlS16_E_NS1_11comp_targetILNS1_3genE3ELNS1_11target_archE908ELNS1_3gpuE7ELNS1_3repE0EEENS1_30default_config_static_selectorELNS0_4arch9wavefront6targetE0EEEvT1_,comdat
	.protected	_ZN7rocprim17ROCPRIM_400000_NS6detail17trampoline_kernelINS0_14default_configENS1_25partition_config_selectorILNS1_17partition_subalgoE6EjNS0_10empty_typeEbEEZZNS1_14partition_implILS5_6ELb0ES3_mN6thrust23THRUST_200600_302600_NS6detail15normal_iteratorINSA_10device_ptrIjEEEEPS6_SG_NS0_5tupleIJNSA_16discard_iteratorINSA_11use_defaultEEES6_EEENSH_IJSG_SG_EEES6_PlJNSB_9not_fun_tINSB_14equal_to_valueIjEEEEEEE10hipError_tPvRmT3_T4_T5_T6_T7_T9_mT8_P12ihipStream_tbDpT10_ENKUlT_T0_E_clISt17integral_constantIbLb1EES1A_IbLb0EEEEDaS16_S17_EUlS16_E_NS1_11comp_targetILNS1_3genE3ELNS1_11target_archE908ELNS1_3gpuE7ELNS1_3repE0EEENS1_30default_config_static_selectorELNS0_4arch9wavefront6targetE0EEEvT1_ ; -- Begin function _ZN7rocprim17ROCPRIM_400000_NS6detail17trampoline_kernelINS0_14default_configENS1_25partition_config_selectorILNS1_17partition_subalgoE6EjNS0_10empty_typeEbEEZZNS1_14partition_implILS5_6ELb0ES3_mN6thrust23THRUST_200600_302600_NS6detail15normal_iteratorINSA_10device_ptrIjEEEEPS6_SG_NS0_5tupleIJNSA_16discard_iteratorINSA_11use_defaultEEES6_EEENSH_IJSG_SG_EEES6_PlJNSB_9not_fun_tINSB_14equal_to_valueIjEEEEEEE10hipError_tPvRmT3_T4_T5_T6_T7_T9_mT8_P12ihipStream_tbDpT10_ENKUlT_T0_E_clISt17integral_constantIbLb1EES1A_IbLb0EEEEDaS16_S17_EUlS16_E_NS1_11comp_targetILNS1_3genE3ELNS1_11target_archE908ELNS1_3gpuE7ELNS1_3repE0EEENS1_30default_config_static_selectorELNS0_4arch9wavefront6targetE0EEEvT1_
	.globl	_ZN7rocprim17ROCPRIM_400000_NS6detail17trampoline_kernelINS0_14default_configENS1_25partition_config_selectorILNS1_17partition_subalgoE6EjNS0_10empty_typeEbEEZZNS1_14partition_implILS5_6ELb0ES3_mN6thrust23THRUST_200600_302600_NS6detail15normal_iteratorINSA_10device_ptrIjEEEEPS6_SG_NS0_5tupleIJNSA_16discard_iteratorINSA_11use_defaultEEES6_EEENSH_IJSG_SG_EEES6_PlJNSB_9not_fun_tINSB_14equal_to_valueIjEEEEEEE10hipError_tPvRmT3_T4_T5_T6_T7_T9_mT8_P12ihipStream_tbDpT10_ENKUlT_T0_E_clISt17integral_constantIbLb1EES1A_IbLb0EEEEDaS16_S17_EUlS16_E_NS1_11comp_targetILNS1_3genE3ELNS1_11target_archE908ELNS1_3gpuE7ELNS1_3repE0EEENS1_30default_config_static_selectorELNS0_4arch9wavefront6targetE0EEEvT1_
	.p2align	8
	.type	_ZN7rocprim17ROCPRIM_400000_NS6detail17trampoline_kernelINS0_14default_configENS1_25partition_config_selectorILNS1_17partition_subalgoE6EjNS0_10empty_typeEbEEZZNS1_14partition_implILS5_6ELb0ES3_mN6thrust23THRUST_200600_302600_NS6detail15normal_iteratorINSA_10device_ptrIjEEEEPS6_SG_NS0_5tupleIJNSA_16discard_iteratorINSA_11use_defaultEEES6_EEENSH_IJSG_SG_EEES6_PlJNSB_9not_fun_tINSB_14equal_to_valueIjEEEEEEE10hipError_tPvRmT3_T4_T5_T6_T7_T9_mT8_P12ihipStream_tbDpT10_ENKUlT_T0_E_clISt17integral_constantIbLb1EES1A_IbLb0EEEEDaS16_S17_EUlS16_E_NS1_11comp_targetILNS1_3genE3ELNS1_11target_archE908ELNS1_3gpuE7ELNS1_3repE0EEENS1_30default_config_static_selectorELNS0_4arch9wavefront6targetE0EEEvT1_,@function
_ZN7rocprim17ROCPRIM_400000_NS6detail17trampoline_kernelINS0_14default_configENS1_25partition_config_selectorILNS1_17partition_subalgoE6EjNS0_10empty_typeEbEEZZNS1_14partition_implILS5_6ELb0ES3_mN6thrust23THRUST_200600_302600_NS6detail15normal_iteratorINSA_10device_ptrIjEEEEPS6_SG_NS0_5tupleIJNSA_16discard_iteratorINSA_11use_defaultEEES6_EEENSH_IJSG_SG_EEES6_PlJNSB_9not_fun_tINSB_14equal_to_valueIjEEEEEEE10hipError_tPvRmT3_T4_T5_T6_T7_T9_mT8_P12ihipStream_tbDpT10_ENKUlT_T0_E_clISt17integral_constantIbLb1EES1A_IbLb0EEEEDaS16_S17_EUlS16_E_NS1_11comp_targetILNS1_3genE3ELNS1_11target_archE908ELNS1_3gpuE7ELNS1_3repE0EEENS1_30default_config_static_selectorELNS0_4arch9wavefront6targetE0EEEvT1_: ; @_ZN7rocprim17ROCPRIM_400000_NS6detail17trampoline_kernelINS0_14default_configENS1_25partition_config_selectorILNS1_17partition_subalgoE6EjNS0_10empty_typeEbEEZZNS1_14partition_implILS5_6ELb0ES3_mN6thrust23THRUST_200600_302600_NS6detail15normal_iteratorINSA_10device_ptrIjEEEEPS6_SG_NS0_5tupleIJNSA_16discard_iteratorINSA_11use_defaultEEES6_EEENSH_IJSG_SG_EEES6_PlJNSB_9not_fun_tINSB_14equal_to_valueIjEEEEEEE10hipError_tPvRmT3_T4_T5_T6_T7_T9_mT8_P12ihipStream_tbDpT10_ENKUlT_T0_E_clISt17integral_constantIbLb1EES1A_IbLb0EEEEDaS16_S17_EUlS16_E_NS1_11comp_targetILNS1_3genE3ELNS1_11target_archE908ELNS1_3gpuE7ELNS1_3repE0EEENS1_30default_config_static_selectorELNS0_4arch9wavefront6targetE0EEEvT1_
; %bb.0:
	.section	.rodata,"a",@progbits
	.p2align	6, 0x0
	.amdhsa_kernel _ZN7rocprim17ROCPRIM_400000_NS6detail17trampoline_kernelINS0_14default_configENS1_25partition_config_selectorILNS1_17partition_subalgoE6EjNS0_10empty_typeEbEEZZNS1_14partition_implILS5_6ELb0ES3_mN6thrust23THRUST_200600_302600_NS6detail15normal_iteratorINSA_10device_ptrIjEEEEPS6_SG_NS0_5tupleIJNSA_16discard_iteratorINSA_11use_defaultEEES6_EEENSH_IJSG_SG_EEES6_PlJNSB_9not_fun_tINSB_14equal_to_valueIjEEEEEEE10hipError_tPvRmT3_T4_T5_T6_T7_T9_mT8_P12ihipStream_tbDpT10_ENKUlT_T0_E_clISt17integral_constantIbLb1EES1A_IbLb0EEEEDaS16_S17_EUlS16_E_NS1_11comp_targetILNS1_3genE3ELNS1_11target_archE908ELNS1_3gpuE7ELNS1_3repE0EEENS1_30default_config_static_selectorELNS0_4arch9wavefront6targetE0EEEvT1_
		.amdhsa_group_segment_fixed_size 0
		.amdhsa_private_segment_fixed_size 0
		.amdhsa_kernarg_size 128
		.amdhsa_user_sgpr_count 2
		.amdhsa_user_sgpr_dispatch_ptr 0
		.amdhsa_user_sgpr_queue_ptr 0
		.amdhsa_user_sgpr_kernarg_segment_ptr 1
		.amdhsa_user_sgpr_dispatch_id 0
		.amdhsa_user_sgpr_private_segment_size 0
		.amdhsa_wavefront_size32 1
		.amdhsa_uses_dynamic_stack 0
		.amdhsa_enable_private_segment 0
		.amdhsa_system_sgpr_workgroup_id_x 1
		.amdhsa_system_sgpr_workgroup_id_y 0
		.amdhsa_system_sgpr_workgroup_id_z 0
		.amdhsa_system_sgpr_workgroup_info 0
		.amdhsa_system_vgpr_workitem_id 0
		.amdhsa_next_free_vgpr 1
		.amdhsa_next_free_sgpr 1
		.amdhsa_reserve_vcc 0
		.amdhsa_float_round_mode_32 0
		.amdhsa_float_round_mode_16_64 0
		.amdhsa_float_denorm_mode_32 3
		.amdhsa_float_denorm_mode_16_64 3
		.amdhsa_fp16_overflow 0
		.amdhsa_workgroup_processor_mode 1
		.amdhsa_memory_ordered 1
		.amdhsa_forward_progress 1
		.amdhsa_inst_pref_size 0
		.amdhsa_round_robin_scheduling 0
		.amdhsa_exception_fp_ieee_invalid_op 0
		.amdhsa_exception_fp_denorm_src 0
		.amdhsa_exception_fp_ieee_div_zero 0
		.amdhsa_exception_fp_ieee_overflow 0
		.amdhsa_exception_fp_ieee_underflow 0
		.amdhsa_exception_fp_ieee_inexact 0
		.amdhsa_exception_int_div_zero 0
	.end_amdhsa_kernel
	.section	.text._ZN7rocprim17ROCPRIM_400000_NS6detail17trampoline_kernelINS0_14default_configENS1_25partition_config_selectorILNS1_17partition_subalgoE6EjNS0_10empty_typeEbEEZZNS1_14partition_implILS5_6ELb0ES3_mN6thrust23THRUST_200600_302600_NS6detail15normal_iteratorINSA_10device_ptrIjEEEEPS6_SG_NS0_5tupleIJNSA_16discard_iteratorINSA_11use_defaultEEES6_EEENSH_IJSG_SG_EEES6_PlJNSB_9not_fun_tINSB_14equal_to_valueIjEEEEEEE10hipError_tPvRmT3_T4_T5_T6_T7_T9_mT8_P12ihipStream_tbDpT10_ENKUlT_T0_E_clISt17integral_constantIbLb1EES1A_IbLb0EEEEDaS16_S17_EUlS16_E_NS1_11comp_targetILNS1_3genE3ELNS1_11target_archE908ELNS1_3gpuE7ELNS1_3repE0EEENS1_30default_config_static_selectorELNS0_4arch9wavefront6targetE0EEEvT1_,"axG",@progbits,_ZN7rocprim17ROCPRIM_400000_NS6detail17trampoline_kernelINS0_14default_configENS1_25partition_config_selectorILNS1_17partition_subalgoE6EjNS0_10empty_typeEbEEZZNS1_14partition_implILS5_6ELb0ES3_mN6thrust23THRUST_200600_302600_NS6detail15normal_iteratorINSA_10device_ptrIjEEEEPS6_SG_NS0_5tupleIJNSA_16discard_iteratorINSA_11use_defaultEEES6_EEENSH_IJSG_SG_EEES6_PlJNSB_9not_fun_tINSB_14equal_to_valueIjEEEEEEE10hipError_tPvRmT3_T4_T5_T6_T7_T9_mT8_P12ihipStream_tbDpT10_ENKUlT_T0_E_clISt17integral_constantIbLb1EES1A_IbLb0EEEEDaS16_S17_EUlS16_E_NS1_11comp_targetILNS1_3genE3ELNS1_11target_archE908ELNS1_3gpuE7ELNS1_3repE0EEENS1_30default_config_static_selectorELNS0_4arch9wavefront6targetE0EEEvT1_,comdat
.Lfunc_end1680:
	.size	_ZN7rocprim17ROCPRIM_400000_NS6detail17trampoline_kernelINS0_14default_configENS1_25partition_config_selectorILNS1_17partition_subalgoE6EjNS0_10empty_typeEbEEZZNS1_14partition_implILS5_6ELb0ES3_mN6thrust23THRUST_200600_302600_NS6detail15normal_iteratorINSA_10device_ptrIjEEEEPS6_SG_NS0_5tupleIJNSA_16discard_iteratorINSA_11use_defaultEEES6_EEENSH_IJSG_SG_EEES6_PlJNSB_9not_fun_tINSB_14equal_to_valueIjEEEEEEE10hipError_tPvRmT3_T4_T5_T6_T7_T9_mT8_P12ihipStream_tbDpT10_ENKUlT_T0_E_clISt17integral_constantIbLb1EES1A_IbLb0EEEEDaS16_S17_EUlS16_E_NS1_11comp_targetILNS1_3genE3ELNS1_11target_archE908ELNS1_3gpuE7ELNS1_3repE0EEENS1_30default_config_static_selectorELNS0_4arch9wavefront6targetE0EEEvT1_, .Lfunc_end1680-_ZN7rocprim17ROCPRIM_400000_NS6detail17trampoline_kernelINS0_14default_configENS1_25partition_config_selectorILNS1_17partition_subalgoE6EjNS0_10empty_typeEbEEZZNS1_14partition_implILS5_6ELb0ES3_mN6thrust23THRUST_200600_302600_NS6detail15normal_iteratorINSA_10device_ptrIjEEEEPS6_SG_NS0_5tupleIJNSA_16discard_iteratorINSA_11use_defaultEEES6_EEENSH_IJSG_SG_EEES6_PlJNSB_9not_fun_tINSB_14equal_to_valueIjEEEEEEE10hipError_tPvRmT3_T4_T5_T6_T7_T9_mT8_P12ihipStream_tbDpT10_ENKUlT_T0_E_clISt17integral_constantIbLb1EES1A_IbLb0EEEEDaS16_S17_EUlS16_E_NS1_11comp_targetILNS1_3genE3ELNS1_11target_archE908ELNS1_3gpuE7ELNS1_3repE0EEENS1_30default_config_static_selectorELNS0_4arch9wavefront6targetE0EEEvT1_
                                        ; -- End function
	.set _ZN7rocprim17ROCPRIM_400000_NS6detail17trampoline_kernelINS0_14default_configENS1_25partition_config_selectorILNS1_17partition_subalgoE6EjNS0_10empty_typeEbEEZZNS1_14partition_implILS5_6ELb0ES3_mN6thrust23THRUST_200600_302600_NS6detail15normal_iteratorINSA_10device_ptrIjEEEEPS6_SG_NS0_5tupleIJNSA_16discard_iteratorINSA_11use_defaultEEES6_EEENSH_IJSG_SG_EEES6_PlJNSB_9not_fun_tINSB_14equal_to_valueIjEEEEEEE10hipError_tPvRmT3_T4_T5_T6_T7_T9_mT8_P12ihipStream_tbDpT10_ENKUlT_T0_E_clISt17integral_constantIbLb1EES1A_IbLb0EEEEDaS16_S17_EUlS16_E_NS1_11comp_targetILNS1_3genE3ELNS1_11target_archE908ELNS1_3gpuE7ELNS1_3repE0EEENS1_30default_config_static_selectorELNS0_4arch9wavefront6targetE0EEEvT1_.num_vgpr, 0
	.set _ZN7rocprim17ROCPRIM_400000_NS6detail17trampoline_kernelINS0_14default_configENS1_25partition_config_selectorILNS1_17partition_subalgoE6EjNS0_10empty_typeEbEEZZNS1_14partition_implILS5_6ELb0ES3_mN6thrust23THRUST_200600_302600_NS6detail15normal_iteratorINSA_10device_ptrIjEEEEPS6_SG_NS0_5tupleIJNSA_16discard_iteratorINSA_11use_defaultEEES6_EEENSH_IJSG_SG_EEES6_PlJNSB_9not_fun_tINSB_14equal_to_valueIjEEEEEEE10hipError_tPvRmT3_T4_T5_T6_T7_T9_mT8_P12ihipStream_tbDpT10_ENKUlT_T0_E_clISt17integral_constantIbLb1EES1A_IbLb0EEEEDaS16_S17_EUlS16_E_NS1_11comp_targetILNS1_3genE3ELNS1_11target_archE908ELNS1_3gpuE7ELNS1_3repE0EEENS1_30default_config_static_selectorELNS0_4arch9wavefront6targetE0EEEvT1_.num_agpr, 0
	.set _ZN7rocprim17ROCPRIM_400000_NS6detail17trampoline_kernelINS0_14default_configENS1_25partition_config_selectorILNS1_17partition_subalgoE6EjNS0_10empty_typeEbEEZZNS1_14partition_implILS5_6ELb0ES3_mN6thrust23THRUST_200600_302600_NS6detail15normal_iteratorINSA_10device_ptrIjEEEEPS6_SG_NS0_5tupleIJNSA_16discard_iteratorINSA_11use_defaultEEES6_EEENSH_IJSG_SG_EEES6_PlJNSB_9not_fun_tINSB_14equal_to_valueIjEEEEEEE10hipError_tPvRmT3_T4_T5_T6_T7_T9_mT8_P12ihipStream_tbDpT10_ENKUlT_T0_E_clISt17integral_constantIbLb1EES1A_IbLb0EEEEDaS16_S17_EUlS16_E_NS1_11comp_targetILNS1_3genE3ELNS1_11target_archE908ELNS1_3gpuE7ELNS1_3repE0EEENS1_30default_config_static_selectorELNS0_4arch9wavefront6targetE0EEEvT1_.numbered_sgpr, 0
	.set _ZN7rocprim17ROCPRIM_400000_NS6detail17trampoline_kernelINS0_14default_configENS1_25partition_config_selectorILNS1_17partition_subalgoE6EjNS0_10empty_typeEbEEZZNS1_14partition_implILS5_6ELb0ES3_mN6thrust23THRUST_200600_302600_NS6detail15normal_iteratorINSA_10device_ptrIjEEEEPS6_SG_NS0_5tupleIJNSA_16discard_iteratorINSA_11use_defaultEEES6_EEENSH_IJSG_SG_EEES6_PlJNSB_9not_fun_tINSB_14equal_to_valueIjEEEEEEE10hipError_tPvRmT3_T4_T5_T6_T7_T9_mT8_P12ihipStream_tbDpT10_ENKUlT_T0_E_clISt17integral_constantIbLb1EES1A_IbLb0EEEEDaS16_S17_EUlS16_E_NS1_11comp_targetILNS1_3genE3ELNS1_11target_archE908ELNS1_3gpuE7ELNS1_3repE0EEENS1_30default_config_static_selectorELNS0_4arch9wavefront6targetE0EEEvT1_.num_named_barrier, 0
	.set _ZN7rocprim17ROCPRIM_400000_NS6detail17trampoline_kernelINS0_14default_configENS1_25partition_config_selectorILNS1_17partition_subalgoE6EjNS0_10empty_typeEbEEZZNS1_14partition_implILS5_6ELb0ES3_mN6thrust23THRUST_200600_302600_NS6detail15normal_iteratorINSA_10device_ptrIjEEEEPS6_SG_NS0_5tupleIJNSA_16discard_iteratorINSA_11use_defaultEEES6_EEENSH_IJSG_SG_EEES6_PlJNSB_9not_fun_tINSB_14equal_to_valueIjEEEEEEE10hipError_tPvRmT3_T4_T5_T6_T7_T9_mT8_P12ihipStream_tbDpT10_ENKUlT_T0_E_clISt17integral_constantIbLb1EES1A_IbLb0EEEEDaS16_S17_EUlS16_E_NS1_11comp_targetILNS1_3genE3ELNS1_11target_archE908ELNS1_3gpuE7ELNS1_3repE0EEENS1_30default_config_static_selectorELNS0_4arch9wavefront6targetE0EEEvT1_.private_seg_size, 0
	.set _ZN7rocprim17ROCPRIM_400000_NS6detail17trampoline_kernelINS0_14default_configENS1_25partition_config_selectorILNS1_17partition_subalgoE6EjNS0_10empty_typeEbEEZZNS1_14partition_implILS5_6ELb0ES3_mN6thrust23THRUST_200600_302600_NS6detail15normal_iteratorINSA_10device_ptrIjEEEEPS6_SG_NS0_5tupleIJNSA_16discard_iteratorINSA_11use_defaultEEES6_EEENSH_IJSG_SG_EEES6_PlJNSB_9not_fun_tINSB_14equal_to_valueIjEEEEEEE10hipError_tPvRmT3_T4_T5_T6_T7_T9_mT8_P12ihipStream_tbDpT10_ENKUlT_T0_E_clISt17integral_constantIbLb1EES1A_IbLb0EEEEDaS16_S17_EUlS16_E_NS1_11comp_targetILNS1_3genE3ELNS1_11target_archE908ELNS1_3gpuE7ELNS1_3repE0EEENS1_30default_config_static_selectorELNS0_4arch9wavefront6targetE0EEEvT1_.uses_vcc, 0
	.set _ZN7rocprim17ROCPRIM_400000_NS6detail17trampoline_kernelINS0_14default_configENS1_25partition_config_selectorILNS1_17partition_subalgoE6EjNS0_10empty_typeEbEEZZNS1_14partition_implILS5_6ELb0ES3_mN6thrust23THRUST_200600_302600_NS6detail15normal_iteratorINSA_10device_ptrIjEEEEPS6_SG_NS0_5tupleIJNSA_16discard_iteratorINSA_11use_defaultEEES6_EEENSH_IJSG_SG_EEES6_PlJNSB_9not_fun_tINSB_14equal_to_valueIjEEEEEEE10hipError_tPvRmT3_T4_T5_T6_T7_T9_mT8_P12ihipStream_tbDpT10_ENKUlT_T0_E_clISt17integral_constantIbLb1EES1A_IbLb0EEEEDaS16_S17_EUlS16_E_NS1_11comp_targetILNS1_3genE3ELNS1_11target_archE908ELNS1_3gpuE7ELNS1_3repE0EEENS1_30default_config_static_selectorELNS0_4arch9wavefront6targetE0EEEvT1_.uses_flat_scratch, 0
	.set _ZN7rocprim17ROCPRIM_400000_NS6detail17trampoline_kernelINS0_14default_configENS1_25partition_config_selectorILNS1_17partition_subalgoE6EjNS0_10empty_typeEbEEZZNS1_14partition_implILS5_6ELb0ES3_mN6thrust23THRUST_200600_302600_NS6detail15normal_iteratorINSA_10device_ptrIjEEEEPS6_SG_NS0_5tupleIJNSA_16discard_iteratorINSA_11use_defaultEEES6_EEENSH_IJSG_SG_EEES6_PlJNSB_9not_fun_tINSB_14equal_to_valueIjEEEEEEE10hipError_tPvRmT3_T4_T5_T6_T7_T9_mT8_P12ihipStream_tbDpT10_ENKUlT_T0_E_clISt17integral_constantIbLb1EES1A_IbLb0EEEEDaS16_S17_EUlS16_E_NS1_11comp_targetILNS1_3genE3ELNS1_11target_archE908ELNS1_3gpuE7ELNS1_3repE0EEENS1_30default_config_static_selectorELNS0_4arch9wavefront6targetE0EEEvT1_.has_dyn_sized_stack, 0
	.set _ZN7rocprim17ROCPRIM_400000_NS6detail17trampoline_kernelINS0_14default_configENS1_25partition_config_selectorILNS1_17partition_subalgoE6EjNS0_10empty_typeEbEEZZNS1_14partition_implILS5_6ELb0ES3_mN6thrust23THRUST_200600_302600_NS6detail15normal_iteratorINSA_10device_ptrIjEEEEPS6_SG_NS0_5tupleIJNSA_16discard_iteratorINSA_11use_defaultEEES6_EEENSH_IJSG_SG_EEES6_PlJNSB_9not_fun_tINSB_14equal_to_valueIjEEEEEEE10hipError_tPvRmT3_T4_T5_T6_T7_T9_mT8_P12ihipStream_tbDpT10_ENKUlT_T0_E_clISt17integral_constantIbLb1EES1A_IbLb0EEEEDaS16_S17_EUlS16_E_NS1_11comp_targetILNS1_3genE3ELNS1_11target_archE908ELNS1_3gpuE7ELNS1_3repE0EEENS1_30default_config_static_selectorELNS0_4arch9wavefront6targetE0EEEvT1_.has_recursion, 0
	.set _ZN7rocprim17ROCPRIM_400000_NS6detail17trampoline_kernelINS0_14default_configENS1_25partition_config_selectorILNS1_17partition_subalgoE6EjNS0_10empty_typeEbEEZZNS1_14partition_implILS5_6ELb0ES3_mN6thrust23THRUST_200600_302600_NS6detail15normal_iteratorINSA_10device_ptrIjEEEEPS6_SG_NS0_5tupleIJNSA_16discard_iteratorINSA_11use_defaultEEES6_EEENSH_IJSG_SG_EEES6_PlJNSB_9not_fun_tINSB_14equal_to_valueIjEEEEEEE10hipError_tPvRmT3_T4_T5_T6_T7_T9_mT8_P12ihipStream_tbDpT10_ENKUlT_T0_E_clISt17integral_constantIbLb1EES1A_IbLb0EEEEDaS16_S17_EUlS16_E_NS1_11comp_targetILNS1_3genE3ELNS1_11target_archE908ELNS1_3gpuE7ELNS1_3repE0EEENS1_30default_config_static_selectorELNS0_4arch9wavefront6targetE0EEEvT1_.has_indirect_call, 0
	.section	.AMDGPU.csdata,"",@progbits
; Kernel info:
; codeLenInByte = 0
; TotalNumSgprs: 0
; NumVgprs: 0
; ScratchSize: 0
; MemoryBound: 0
; FloatMode: 240
; IeeeMode: 1
; LDSByteSize: 0 bytes/workgroup (compile time only)
; SGPRBlocks: 0
; VGPRBlocks: 0
; NumSGPRsForWavesPerEU: 1
; NumVGPRsForWavesPerEU: 1
; Occupancy: 16
; WaveLimiterHint : 0
; COMPUTE_PGM_RSRC2:SCRATCH_EN: 0
; COMPUTE_PGM_RSRC2:USER_SGPR: 2
; COMPUTE_PGM_RSRC2:TRAP_HANDLER: 0
; COMPUTE_PGM_RSRC2:TGID_X_EN: 1
; COMPUTE_PGM_RSRC2:TGID_Y_EN: 0
; COMPUTE_PGM_RSRC2:TGID_Z_EN: 0
; COMPUTE_PGM_RSRC2:TIDIG_COMP_CNT: 0
	.section	.text._ZN7rocprim17ROCPRIM_400000_NS6detail17trampoline_kernelINS0_14default_configENS1_25partition_config_selectorILNS1_17partition_subalgoE6EjNS0_10empty_typeEbEEZZNS1_14partition_implILS5_6ELb0ES3_mN6thrust23THRUST_200600_302600_NS6detail15normal_iteratorINSA_10device_ptrIjEEEEPS6_SG_NS0_5tupleIJNSA_16discard_iteratorINSA_11use_defaultEEES6_EEENSH_IJSG_SG_EEES6_PlJNSB_9not_fun_tINSB_14equal_to_valueIjEEEEEEE10hipError_tPvRmT3_T4_T5_T6_T7_T9_mT8_P12ihipStream_tbDpT10_ENKUlT_T0_E_clISt17integral_constantIbLb1EES1A_IbLb0EEEEDaS16_S17_EUlS16_E_NS1_11comp_targetILNS1_3genE2ELNS1_11target_archE906ELNS1_3gpuE6ELNS1_3repE0EEENS1_30default_config_static_selectorELNS0_4arch9wavefront6targetE0EEEvT1_,"axG",@progbits,_ZN7rocprim17ROCPRIM_400000_NS6detail17trampoline_kernelINS0_14default_configENS1_25partition_config_selectorILNS1_17partition_subalgoE6EjNS0_10empty_typeEbEEZZNS1_14partition_implILS5_6ELb0ES3_mN6thrust23THRUST_200600_302600_NS6detail15normal_iteratorINSA_10device_ptrIjEEEEPS6_SG_NS0_5tupleIJNSA_16discard_iteratorINSA_11use_defaultEEES6_EEENSH_IJSG_SG_EEES6_PlJNSB_9not_fun_tINSB_14equal_to_valueIjEEEEEEE10hipError_tPvRmT3_T4_T5_T6_T7_T9_mT8_P12ihipStream_tbDpT10_ENKUlT_T0_E_clISt17integral_constantIbLb1EES1A_IbLb0EEEEDaS16_S17_EUlS16_E_NS1_11comp_targetILNS1_3genE2ELNS1_11target_archE906ELNS1_3gpuE6ELNS1_3repE0EEENS1_30default_config_static_selectorELNS0_4arch9wavefront6targetE0EEEvT1_,comdat
	.protected	_ZN7rocprim17ROCPRIM_400000_NS6detail17trampoline_kernelINS0_14default_configENS1_25partition_config_selectorILNS1_17partition_subalgoE6EjNS0_10empty_typeEbEEZZNS1_14partition_implILS5_6ELb0ES3_mN6thrust23THRUST_200600_302600_NS6detail15normal_iteratorINSA_10device_ptrIjEEEEPS6_SG_NS0_5tupleIJNSA_16discard_iteratorINSA_11use_defaultEEES6_EEENSH_IJSG_SG_EEES6_PlJNSB_9not_fun_tINSB_14equal_to_valueIjEEEEEEE10hipError_tPvRmT3_T4_T5_T6_T7_T9_mT8_P12ihipStream_tbDpT10_ENKUlT_T0_E_clISt17integral_constantIbLb1EES1A_IbLb0EEEEDaS16_S17_EUlS16_E_NS1_11comp_targetILNS1_3genE2ELNS1_11target_archE906ELNS1_3gpuE6ELNS1_3repE0EEENS1_30default_config_static_selectorELNS0_4arch9wavefront6targetE0EEEvT1_ ; -- Begin function _ZN7rocprim17ROCPRIM_400000_NS6detail17trampoline_kernelINS0_14default_configENS1_25partition_config_selectorILNS1_17partition_subalgoE6EjNS0_10empty_typeEbEEZZNS1_14partition_implILS5_6ELb0ES3_mN6thrust23THRUST_200600_302600_NS6detail15normal_iteratorINSA_10device_ptrIjEEEEPS6_SG_NS0_5tupleIJNSA_16discard_iteratorINSA_11use_defaultEEES6_EEENSH_IJSG_SG_EEES6_PlJNSB_9not_fun_tINSB_14equal_to_valueIjEEEEEEE10hipError_tPvRmT3_T4_T5_T6_T7_T9_mT8_P12ihipStream_tbDpT10_ENKUlT_T0_E_clISt17integral_constantIbLb1EES1A_IbLb0EEEEDaS16_S17_EUlS16_E_NS1_11comp_targetILNS1_3genE2ELNS1_11target_archE906ELNS1_3gpuE6ELNS1_3repE0EEENS1_30default_config_static_selectorELNS0_4arch9wavefront6targetE0EEEvT1_
	.globl	_ZN7rocprim17ROCPRIM_400000_NS6detail17trampoline_kernelINS0_14default_configENS1_25partition_config_selectorILNS1_17partition_subalgoE6EjNS0_10empty_typeEbEEZZNS1_14partition_implILS5_6ELb0ES3_mN6thrust23THRUST_200600_302600_NS6detail15normal_iteratorINSA_10device_ptrIjEEEEPS6_SG_NS0_5tupleIJNSA_16discard_iteratorINSA_11use_defaultEEES6_EEENSH_IJSG_SG_EEES6_PlJNSB_9not_fun_tINSB_14equal_to_valueIjEEEEEEE10hipError_tPvRmT3_T4_T5_T6_T7_T9_mT8_P12ihipStream_tbDpT10_ENKUlT_T0_E_clISt17integral_constantIbLb1EES1A_IbLb0EEEEDaS16_S17_EUlS16_E_NS1_11comp_targetILNS1_3genE2ELNS1_11target_archE906ELNS1_3gpuE6ELNS1_3repE0EEENS1_30default_config_static_selectorELNS0_4arch9wavefront6targetE0EEEvT1_
	.p2align	8
	.type	_ZN7rocprim17ROCPRIM_400000_NS6detail17trampoline_kernelINS0_14default_configENS1_25partition_config_selectorILNS1_17partition_subalgoE6EjNS0_10empty_typeEbEEZZNS1_14partition_implILS5_6ELb0ES3_mN6thrust23THRUST_200600_302600_NS6detail15normal_iteratorINSA_10device_ptrIjEEEEPS6_SG_NS0_5tupleIJNSA_16discard_iteratorINSA_11use_defaultEEES6_EEENSH_IJSG_SG_EEES6_PlJNSB_9not_fun_tINSB_14equal_to_valueIjEEEEEEE10hipError_tPvRmT3_T4_T5_T6_T7_T9_mT8_P12ihipStream_tbDpT10_ENKUlT_T0_E_clISt17integral_constantIbLb1EES1A_IbLb0EEEEDaS16_S17_EUlS16_E_NS1_11comp_targetILNS1_3genE2ELNS1_11target_archE906ELNS1_3gpuE6ELNS1_3repE0EEENS1_30default_config_static_selectorELNS0_4arch9wavefront6targetE0EEEvT1_,@function
_ZN7rocprim17ROCPRIM_400000_NS6detail17trampoline_kernelINS0_14default_configENS1_25partition_config_selectorILNS1_17partition_subalgoE6EjNS0_10empty_typeEbEEZZNS1_14partition_implILS5_6ELb0ES3_mN6thrust23THRUST_200600_302600_NS6detail15normal_iteratorINSA_10device_ptrIjEEEEPS6_SG_NS0_5tupleIJNSA_16discard_iteratorINSA_11use_defaultEEES6_EEENSH_IJSG_SG_EEES6_PlJNSB_9not_fun_tINSB_14equal_to_valueIjEEEEEEE10hipError_tPvRmT3_T4_T5_T6_T7_T9_mT8_P12ihipStream_tbDpT10_ENKUlT_T0_E_clISt17integral_constantIbLb1EES1A_IbLb0EEEEDaS16_S17_EUlS16_E_NS1_11comp_targetILNS1_3genE2ELNS1_11target_archE906ELNS1_3gpuE6ELNS1_3repE0EEENS1_30default_config_static_selectorELNS0_4arch9wavefront6targetE0EEEvT1_: ; @_ZN7rocprim17ROCPRIM_400000_NS6detail17trampoline_kernelINS0_14default_configENS1_25partition_config_selectorILNS1_17partition_subalgoE6EjNS0_10empty_typeEbEEZZNS1_14partition_implILS5_6ELb0ES3_mN6thrust23THRUST_200600_302600_NS6detail15normal_iteratorINSA_10device_ptrIjEEEEPS6_SG_NS0_5tupleIJNSA_16discard_iteratorINSA_11use_defaultEEES6_EEENSH_IJSG_SG_EEES6_PlJNSB_9not_fun_tINSB_14equal_to_valueIjEEEEEEE10hipError_tPvRmT3_T4_T5_T6_T7_T9_mT8_P12ihipStream_tbDpT10_ENKUlT_T0_E_clISt17integral_constantIbLb1EES1A_IbLb0EEEEDaS16_S17_EUlS16_E_NS1_11comp_targetILNS1_3genE2ELNS1_11target_archE906ELNS1_3gpuE6ELNS1_3repE0EEENS1_30default_config_static_selectorELNS0_4arch9wavefront6targetE0EEEvT1_
; %bb.0:
	.section	.rodata,"a",@progbits
	.p2align	6, 0x0
	.amdhsa_kernel _ZN7rocprim17ROCPRIM_400000_NS6detail17trampoline_kernelINS0_14default_configENS1_25partition_config_selectorILNS1_17partition_subalgoE6EjNS0_10empty_typeEbEEZZNS1_14partition_implILS5_6ELb0ES3_mN6thrust23THRUST_200600_302600_NS6detail15normal_iteratorINSA_10device_ptrIjEEEEPS6_SG_NS0_5tupleIJNSA_16discard_iteratorINSA_11use_defaultEEES6_EEENSH_IJSG_SG_EEES6_PlJNSB_9not_fun_tINSB_14equal_to_valueIjEEEEEEE10hipError_tPvRmT3_T4_T5_T6_T7_T9_mT8_P12ihipStream_tbDpT10_ENKUlT_T0_E_clISt17integral_constantIbLb1EES1A_IbLb0EEEEDaS16_S17_EUlS16_E_NS1_11comp_targetILNS1_3genE2ELNS1_11target_archE906ELNS1_3gpuE6ELNS1_3repE0EEENS1_30default_config_static_selectorELNS0_4arch9wavefront6targetE0EEEvT1_
		.amdhsa_group_segment_fixed_size 0
		.amdhsa_private_segment_fixed_size 0
		.amdhsa_kernarg_size 128
		.amdhsa_user_sgpr_count 2
		.amdhsa_user_sgpr_dispatch_ptr 0
		.amdhsa_user_sgpr_queue_ptr 0
		.amdhsa_user_sgpr_kernarg_segment_ptr 1
		.amdhsa_user_sgpr_dispatch_id 0
		.amdhsa_user_sgpr_private_segment_size 0
		.amdhsa_wavefront_size32 1
		.amdhsa_uses_dynamic_stack 0
		.amdhsa_enable_private_segment 0
		.amdhsa_system_sgpr_workgroup_id_x 1
		.amdhsa_system_sgpr_workgroup_id_y 0
		.amdhsa_system_sgpr_workgroup_id_z 0
		.amdhsa_system_sgpr_workgroup_info 0
		.amdhsa_system_vgpr_workitem_id 0
		.amdhsa_next_free_vgpr 1
		.amdhsa_next_free_sgpr 1
		.amdhsa_reserve_vcc 0
		.amdhsa_float_round_mode_32 0
		.amdhsa_float_round_mode_16_64 0
		.amdhsa_float_denorm_mode_32 3
		.amdhsa_float_denorm_mode_16_64 3
		.amdhsa_fp16_overflow 0
		.amdhsa_workgroup_processor_mode 1
		.amdhsa_memory_ordered 1
		.amdhsa_forward_progress 1
		.amdhsa_inst_pref_size 0
		.amdhsa_round_robin_scheduling 0
		.amdhsa_exception_fp_ieee_invalid_op 0
		.amdhsa_exception_fp_denorm_src 0
		.amdhsa_exception_fp_ieee_div_zero 0
		.amdhsa_exception_fp_ieee_overflow 0
		.amdhsa_exception_fp_ieee_underflow 0
		.amdhsa_exception_fp_ieee_inexact 0
		.amdhsa_exception_int_div_zero 0
	.end_amdhsa_kernel
	.section	.text._ZN7rocprim17ROCPRIM_400000_NS6detail17trampoline_kernelINS0_14default_configENS1_25partition_config_selectorILNS1_17partition_subalgoE6EjNS0_10empty_typeEbEEZZNS1_14partition_implILS5_6ELb0ES3_mN6thrust23THRUST_200600_302600_NS6detail15normal_iteratorINSA_10device_ptrIjEEEEPS6_SG_NS0_5tupleIJNSA_16discard_iteratorINSA_11use_defaultEEES6_EEENSH_IJSG_SG_EEES6_PlJNSB_9not_fun_tINSB_14equal_to_valueIjEEEEEEE10hipError_tPvRmT3_T4_T5_T6_T7_T9_mT8_P12ihipStream_tbDpT10_ENKUlT_T0_E_clISt17integral_constantIbLb1EES1A_IbLb0EEEEDaS16_S17_EUlS16_E_NS1_11comp_targetILNS1_3genE2ELNS1_11target_archE906ELNS1_3gpuE6ELNS1_3repE0EEENS1_30default_config_static_selectorELNS0_4arch9wavefront6targetE0EEEvT1_,"axG",@progbits,_ZN7rocprim17ROCPRIM_400000_NS6detail17trampoline_kernelINS0_14default_configENS1_25partition_config_selectorILNS1_17partition_subalgoE6EjNS0_10empty_typeEbEEZZNS1_14partition_implILS5_6ELb0ES3_mN6thrust23THRUST_200600_302600_NS6detail15normal_iteratorINSA_10device_ptrIjEEEEPS6_SG_NS0_5tupleIJNSA_16discard_iteratorINSA_11use_defaultEEES6_EEENSH_IJSG_SG_EEES6_PlJNSB_9not_fun_tINSB_14equal_to_valueIjEEEEEEE10hipError_tPvRmT3_T4_T5_T6_T7_T9_mT8_P12ihipStream_tbDpT10_ENKUlT_T0_E_clISt17integral_constantIbLb1EES1A_IbLb0EEEEDaS16_S17_EUlS16_E_NS1_11comp_targetILNS1_3genE2ELNS1_11target_archE906ELNS1_3gpuE6ELNS1_3repE0EEENS1_30default_config_static_selectorELNS0_4arch9wavefront6targetE0EEEvT1_,comdat
.Lfunc_end1681:
	.size	_ZN7rocprim17ROCPRIM_400000_NS6detail17trampoline_kernelINS0_14default_configENS1_25partition_config_selectorILNS1_17partition_subalgoE6EjNS0_10empty_typeEbEEZZNS1_14partition_implILS5_6ELb0ES3_mN6thrust23THRUST_200600_302600_NS6detail15normal_iteratorINSA_10device_ptrIjEEEEPS6_SG_NS0_5tupleIJNSA_16discard_iteratorINSA_11use_defaultEEES6_EEENSH_IJSG_SG_EEES6_PlJNSB_9not_fun_tINSB_14equal_to_valueIjEEEEEEE10hipError_tPvRmT3_T4_T5_T6_T7_T9_mT8_P12ihipStream_tbDpT10_ENKUlT_T0_E_clISt17integral_constantIbLb1EES1A_IbLb0EEEEDaS16_S17_EUlS16_E_NS1_11comp_targetILNS1_3genE2ELNS1_11target_archE906ELNS1_3gpuE6ELNS1_3repE0EEENS1_30default_config_static_selectorELNS0_4arch9wavefront6targetE0EEEvT1_, .Lfunc_end1681-_ZN7rocprim17ROCPRIM_400000_NS6detail17trampoline_kernelINS0_14default_configENS1_25partition_config_selectorILNS1_17partition_subalgoE6EjNS0_10empty_typeEbEEZZNS1_14partition_implILS5_6ELb0ES3_mN6thrust23THRUST_200600_302600_NS6detail15normal_iteratorINSA_10device_ptrIjEEEEPS6_SG_NS0_5tupleIJNSA_16discard_iteratorINSA_11use_defaultEEES6_EEENSH_IJSG_SG_EEES6_PlJNSB_9not_fun_tINSB_14equal_to_valueIjEEEEEEE10hipError_tPvRmT3_T4_T5_T6_T7_T9_mT8_P12ihipStream_tbDpT10_ENKUlT_T0_E_clISt17integral_constantIbLb1EES1A_IbLb0EEEEDaS16_S17_EUlS16_E_NS1_11comp_targetILNS1_3genE2ELNS1_11target_archE906ELNS1_3gpuE6ELNS1_3repE0EEENS1_30default_config_static_selectorELNS0_4arch9wavefront6targetE0EEEvT1_
                                        ; -- End function
	.set _ZN7rocprim17ROCPRIM_400000_NS6detail17trampoline_kernelINS0_14default_configENS1_25partition_config_selectorILNS1_17partition_subalgoE6EjNS0_10empty_typeEbEEZZNS1_14partition_implILS5_6ELb0ES3_mN6thrust23THRUST_200600_302600_NS6detail15normal_iteratorINSA_10device_ptrIjEEEEPS6_SG_NS0_5tupleIJNSA_16discard_iteratorINSA_11use_defaultEEES6_EEENSH_IJSG_SG_EEES6_PlJNSB_9not_fun_tINSB_14equal_to_valueIjEEEEEEE10hipError_tPvRmT3_T4_T5_T6_T7_T9_mT8_P12ihipStream_tbDpT10_ENKUlT_T0_E_clISt17integral_constantIbLb1EES1A_IbLb0EEEEDaS16_S17_EUlS16_E_NS1_11comp_targetILNS1_3genE2ELNS1_11target_archE906ELNS1_3gpuE6ELNS1_3repE0EEENS1_30default_config_static_selectorELNS0_4arch9wavefront6targetE0EEEvT1_.num_vgpr, 0
	.set _ZN7rocprim17ROCPRIM_400000_NS6detail17trampoline_kernelINS0_14default_configENS1_25partition_config_selectorILNS1_17partition_subalgoE6EjNS0_10empty_typeEbEEZZNS1_14partition_implILS5_6ELb0ES3_mN6thrust23THRUST_200600_302600_NS6detail15normal_iteratorINSA_10device_ptrIjEEEEPS6_SG_NS0_5tupleIJNSA_16discard_iteratorINSA_11use_defaultEEES6_EEENSH_IJSG_SG_EEES6_PlJNSB_9not_fun_tINSB_14equal_to_valueIjEEEEEEE10hipError_tPvRmT3_T4_T5_T6_T7_T9_mT8_P12ihipStream_tbDpT10_ENKUlT_T0_E_clISt17integral_constantIbLb1EES1A_IbLb0EEEEDaS16_S17_EUlS16_E_NS1_11comp_targetILNS1_3genE2ELNS1_11target_archE906ELNS1_3gpuE6ELNS1_3repE0EEENS1_30default_config_static_selectorELNS0_4arch9wavefront6targetE0EEEvT1_.num_agpr, 0
	.set _ZN7rocprim17ROCPRIM_400000_NS6detail17trampoline_kernelINS0_14default_configENS1_25partition_config_selectorILNS1_17partition_subalgoE6EjNS0_10empty_typeEbEEZZNS1_14partition_implILS5_6ELb0ES3_mN6thrust23THRUST_200600_302600_NS6detail15normal_iteratorINSA_10device_ptrIjEEEEPS6_SG_NS0_5tupleIJNSA_16discard_iteratorINSA_11use_defaultEEES6_EEENSH_IJSG_SG_EEES6_PlJNSB_9not_fun_tINSB_14equal_to_valueIjEEEEEEE10hipError_tPvRmT3_T4_T5_T6_T7_T9_mT8_P12ihipStream_tbDpT10_ENKUlT_T0_E_clISt17integral_constantIbLb1EES1A_IbLb0EEEEDaS16_S17_EUlS16_E_NS1_11comp_targetILNS1_3genE2ELNS1_11target_archE906ELNS1_3gpuE6ELNS1_3repE0EEENS1_30default_config_static_selectorELNS0_4arch9wavefront6targetE0EEEvT1_.numbered_sgpr, 0
	.set _ZN7rocprim17ROCPRIM_400000_NS6detail17trampoline_kernelINS0_14default_configENS1_25partition_config_selectorILNS1_17partition_subalgoE6EjNS0_10empty_typeEbEEZZNS1_14partition_implILS5_6ELb0ES3_mN6thrust23THRUST_200600_302600_NS6detail15normal_iteratorINSA_10device_ptrIjEEEEPS6_SG_NS0_5tupleIJNSA_16discard_iteratorINSA_11use_defaultEEES6_EEENSH_IJSG_SG_EEES6_PlJNSB_9not_fun_tINSB_14equal_to_valueIjEEEEEEE10hipError_tPvRmT3_T4_T5_T6_T7_T9_mT8_P12ihipStream_tbDpT10_ENKUlT_T0_E_clISt17integral_constantIbLb1EES1A_IbLb0EEEEDaS16_S17_EUlS16_E_NS1_11comp_targetILNS1_3genE2ELNS1_11target_archE906ELNS1_3gpuE6ELNS1_3repE0EEENS1_30default_config_static_selectorELNS0_4arch9wavefront6targetE0EEEvT1_.num_named_barrier, 0
	.set _ZN7rocprim17ROCPRIM_400000_NS6detail17trampoline_kernelINS0_14default_configENS1_25partition_config_selectorILNS1_17partition_subalgoE6EjNS0_10empty_typeEbEEZZNS1_14partition_implILS5_6ELb0ES3_mN6thrust23THRUST_200600_302600_NS6detail15normal_iteratorINSA_10device_ptrIjEEEEPS6_SG_NS0_5tupleIJNSA_16discard_iteratorINSA_11use_defaultEEES6_EEENSH_IJSG_SG_EEES6_PlJNSB_9not_fun_tINSB_14equal_to_valueIjEEEEEEE10hipError_tPvRmT3_T4_T5_T6_T7_T9_mT8_P12ihipStream_tbDpT10_ENKUlT_T0_E_clISt17integral_constantIbLb1EES1A_IbLb0EEEEDaS16_S17_EUlS16_E_NS1_11comp_targetILNS1_3genE2ELNS1_11target_archE906ELNS1_3gpuE6ELNS1_3repE0EEENS1_30default_config_static_selectorELNS0_4arch9wavefront6targetE0EEEvT1_.private_seg_size, 0
	.set _ZN7rocprim17ROCPRIM_400000_NS6detail17trampoline_kernelINS0_14default_configENS1_25partition_config_selectorILNS1_17partition_subalgoE6EjNS0_10empty_typeEbEEZZNS1_14partition_implILS5_6ELb0ES3_mN6thrust23THRUST_200600_302600_NS6detail15normal_iteratorINSA_10device_ptrIjEEEEPS6_SG_NS0_5tupleIJNSA_16discard_iteratorINSA_11use_defaultEEES6_EEENSH_IJSG_SG_EEES6_PlJNSB_9not_fun_tINSB_14equal_to_valueIjEEEEEEE10hipError_tPvRmT3_T4_T5_T6_T7_T9_mT8_P12ihipStream_tbDpT10_ENKUlT_T0_E_clISt17integral_constantIbLb1EES1A_IbLb0EEEEDaS16_S17_EUlS16_E_NS1_11comp_targetILNS1_3genE2ELNS1_11target_archE906ELNS1_3gpuE6ELNS1_3repE0EEENS1_30default_config_static_selectorELNS0_4arch9wavefront6targetE0EEEvT1_.uses_vcc, 0
	.set _ZN7rocprim17ROCPRIM_400000_NS6detail17trampoline_kernelINS0_14default_configENS1_25partition_config_selectorILNS1_17partition_subalgoE6EjNS0_10empty_typeEbEEZZNS1_14partition_implILS5_6ELb0ES3_mN6thrust23THRUST_200600_302600_NS6detail15normal_iteratorINSA_10device_ptrIjEEEEPS6_SG_NS0_5tupleIJNSA_16discard_iteratorINSA_11use_defaultEEES6_EEENSH_IJSG_SG_EEES6_PlJNSB_9not_fun_tINSB_14equal_to_valueIjEEEEEEE10hipError_tPvRmT3_T4_T5_T6_T7_T9_mT8_P12ihipStream_tbDpT10_ENKUlT_T0_E_clISt17integral_constantIbLb1EES1A_IbLb0EEEEDaS16_S17_EUlS16_E_NS1_11comp_targetILNS1_3genE2ELNS1_11target_archE906ELNS1_3gpuE6ELNS1_3repE0EEENS1_30default_config_static_selectorELNS0_4arch9wavefront6targetE0EEEvT1_.uses_flat_scratch, 0
	.set _ZN7rocprim17ROCPRIM_400000_NS6detail17trampoline_kernelINS0_14default_configENS1_25partition_config_selectorILNS1_17partition_subalgoE6EjNS0_10empty_typeEbEEZZNS1_14partition_implILS5_6ELb0ES3_mN6thrust23THRUST_200600_302600_NS6detail15normal_iteratorINSA_10device_ptrIjEEEEPS6_SG_NS0_5tupleIJNSA_16discard_iteratorINSA_11use_defaultEEES6_EEENSH_IJSG_SG_EEES6_PlJNSB_9not_fun_tINSB_14equal_to_valueIjEEEEEEE10hipError_tPvRmT3_T4_T5_T6_T7_T9_mT8_P12ihipStream_tbDpT10_ENKUlT_T0_E_clISt17integral_constantIbLb1EES1A_IbLb0EEEEDaS16_S17_EUlS16_E_NS1_11comp_targetILNS1_3genE2ELNS1_11target_archE906ELNS1_3gpuE6ELNS1_3repE0EEENS1_30default_config_static_selectorELNS0_4arch9wavefront6targetE0EEEvT1_.has_dyn_sized_stack, 0
	.set _ZN7rocprim17ROCPRIM_400000_NS6detail17trampoline_kernelINS0_14default_configENS1_25partition_config_selectorILNS1_17partition_subalgoE6EjNS0_10empty_typeEbEEZZNS1_14partition_implILS5_6ELb0ES3_mN6thrust23THRUST_200600_302600_NS6detail15normal_iteratorINSA_10device_ptrIjEEEEPS6_SG_NS0_5tupleIJNSA_16discard_iteratorINSA_11use_defaultEEES6_EEENSH_IJSG_SG_EEES6_PlJNSB_9not_fun_tINSB_14equal_to_valueIjEEEEEEE10hipError_tPvRmT3_T4_T5_T6_T7_T9_mT8_P12ihipStream_tbDpT10_ENKUlT_T0_E_clISt17integral_constantIbLb1EES1A_IbLb0EEEEDaS16_S17_EUlS16_E_NS1_11comp_targetILNS1_3genE2ELNS1_11target_archE906ELNS1_3gpuE6ELNS1_3repE0EEENS1_30default_config_static_selectorELNS0_4arch9wavefront6targetE0EEEvT1_.has_recursion, 0
	.set _ZN7rocprim17ROCPRIM_400000_NS6detail17trampoline_kernelINS0_14default_configENS1_25partition_config_selectorILNS1_17partition_subalgoE6EjNS0_10empty_typeEbEEZZNS1_14partition_implILS5_6ELb0ES3_mN6thrust23THRUST_200600_302600_NS6detail15normal_iteratorINSA_10device_ptrIjEEEEPS6_SG_NS0_5tupleIJNSA_16discard_iteratorINSA_11use_defaultEEES6_EEENSH_IJSG_SG_EEES6_PlJNSB_9not_fun_tINSB_14equal_to_valueIjEEEEEEE10hipError_tPvRmT3_T4_T5_T6_T7_T9_mT8_P12ihipStream_tbDpT10_ENKUlT_T0_E_clISt17integral_constantIbLb1EES1A_IbLb0EEEEDaS16_S17_EUlS16_E_NS1_11comp_targetILNS1_3genE2ELNS1_11target_archE906ELNS1_3gpuE6ELNS1_3repE0EEENS1_30default_config_static_selectorELNS0_4arch9wavefront6targetE0EEEvT1_.has_indirect_call, 0
	.section	.AMDGPU.csdata,"",@progbits
; Kernel info:
; codeLenInByte = 0
; TotalNumSgprs: 0
; NumVgprs: 0
; ScratchSize: 0
; MemoryBound: 0
; FloatMode: 240
; IeeeMode: 1
; LDSByteSize: 0 bytes/workgroup (compile time only)
; SGPRBlocks: 0
; VGPRBlocks: 0
; NumSGPRsForWavesPerEU: 1
; NumVGPRsForWavesPerEU: 1
; Occupancy: 16
; WaveLimiterHint : 0
; COMPUTE_PGM_RSRC2:SCRATCH_EN: 0
; COMPUTE_PGM_RSRC2:USER_SGPR: 2
; COMPUTE_PGM_RSRC2:TRAP_HANDLER: 0
; COMPUTE_PGM_RSRC2:TGID_X_EN: 1
; COMPUTE_PGM_RSRC2:TGID_Y_EN: 0
; COMPUTE_PGM_RSRC2:TGID_Z_EN: 0
; COMPUTE_PGM_RSRC2:TIDIG_COMP_CNT: 0
	.section	.text._ZN7rocprim17ROCPRIM_400000_NS6detail17trampoline_kernelINS0_14default_configENS1_25partition_config_selectorILNS1_17partition_subalgoE6EjNS0_10empty_typeEbEEZZNS1_14partition_implILS5_6ELb0ES3_mN6thrust23THRUST_200600_302600_NS6detail15normal_iteratorINSA_10device_ptrIjEEEEPS6_SG_NS0_5tupleIJNSA_16discard_iteratorINSA_11use_defaultEEES6_EEENSH_IJSG_SG_EEES6_PlJNSB_9not_fun_tINSB_14equal_to_valueIjEEEEEEE10hipError_tPvRmT3_T4_T5_T6_T7_T9_mT8_P12ihipStream_tbDpT10_ENKUlT_T0_E_clISt17integral_constantIbLb1EES1A_IbLb0EEEEDaS16_S17_EUlS16_E_NS1_11comp_targetILNS1_3genE10ELNS1_11target_archE1200ELNS1_3gpuE4ELNS1_3repE0EEENS1_30default_config_static_selectorELNS0_4arch9wavefront6targetE0EEEvT1_,"axG",@progbits,_ZN7rocprim17ROCPRIM_400000_NS6detail17trampoline_kernelINS0_14default_configENS1_25partition_config_selectorILNS1_17partition_subalgoE6EjNS0_10empty_typeEbEEZZNS1_14partition_implILS5_6ELb0ES3_mN6thrust23THRUST_200600_302600_NS6detail15normal_iteratorINSA_10device_ptrIjEEEEPS6_SG_NS0_5tupleIJNSA_16discard_iteratorINSA_11use_defaultEEES6_EEENSH_IJSG_SG_EEES6_PlJNSB_9not_fun_tINSB_14equal_to_valueIjEEEEEEE10hipError_tPvRmT3_T4_T5_T6_T7_T9_mT8_P12ihipStream_tbDpT10_ENKUlT_T0_E_clISt17integral_constantIbLb1EES1A_IbLb0EEEEDaS16_S17_EUlS16_E_NS1_11comp_targetILNS1_3genE10ELNS1_11target_archE1200ELNS1_3gpuE4ELNS1_3repE0EEENS1_30default_config_static_selectorELNS0_4arch9wavefront6targetE0EEEvT1_,comdat
	.protected	_ZN7rocprim17ROCPRIM_400000_NS6detail17trampoline_kernelINS0_14default_configENS1_25partition_config_selectorILNS1_17partition_subalgoE6EjNS0_10empty_typeEbEEZZNS1_14partition_implILS5_6ELb0ES3_mN6thrust23THRUST_200600_302600_NS6detail15normal_iteratorINSA_10device_ptrIjEEEEPS6_SG_NS0_5tupleIJNSA_16discard_iteratorINSA_11use_defaultEEES6_EEENSH_IJSG_SG_EEES6_PlJNSB_9not_fun_tINSB_14equal_to_valueIjEEEEEEE10hipError_tPvRmT3_T4_T5_T6_T7_T9_mT8_P12ihipStream_tbDpT10_ENKUlT_T0_E_clISt17integral_constantIbLb1EES1A_IbLb0EEEEDaS16_S17_EUlS16_E_NS1_11comp_targetILNS1_3genE10ELNS1_11target_archE1200ELNS1_3gpuE4ELNS1_3repE0EEENS1_30default_config_static_selectorELNS0_4arch9wavefront6targetE0EEEvT1_ ; -- Begin function _ZN7rocprim17ROCPRIM_400000_NS6detail17trampoline_kernelINS0_14default_configENS1_25partition_config_selectorILNS1_17partition_subalgoE6EjNS0_10empty_typeEbEEZZNS1_14partition_implILS5_6ELb0ES3_mN6thrust23THRUST_200600_302600_NS6detail15normal_iteratorINSA_10device_ptrIjEEEEPS6_SG_NS0_5tupleIJNSA_16discard_iteratorINSA_11use_defaultEEES6_EEENSH_IJSG_SG_EEES6_PlJNSB_9not_fun_tINSB_14equal_to_valueIjEEEEEEE10hipError_tPvRmT3_T4_T5_T6_T7_T9_mT8_P12ihipStream_tbDpT10_ENKUlT_T0_E_clISt17integral_constantIbLb1EES1A_IbLb0EEEEDaS16_S17_EUlS16_E_NS1_11comp_targetILNS1_3genE10ELNS1_11target_archE1200ELNS1_3gpuE4ELNS1_3repE0EEENS1_30default_config_static_selectorELNS0_4arch9wavefront6targetE0EEEvT1_
	.globl	_ZN7rocprim17ROCPRIM_400000_NS6detail17trampoline_kernelINS0_14default_configENS1_25partition_config_selectorILNS1_17partition_subalgoE6EjNS0_10empty_typeEbEEZZNS1_14partition_implILS5_6ELb0ES3_mN6thrust23THRUST_200600_302600_NS6detail15normal_iteratorINSA_10device_ptrIjEEEEPS6_SG_NS0_5tupleIJNSA_16discard_iteratorINSA_11use_defaultEEES6_EEENSH_IJSG_SG_EEES6_PlJNSB_9not_fun_tINSB_14equal_to_valueIjEEEEEEE10hipError_tPvRmT3_T4_T5_T6_T7_T9_mT8_P12ihipStream_tbDpT10_ENKUlT_T0_E_clISt17integral_constantIbLb1EES1A_IbLb0EEEEDaS16_S17_EUlS16_E_NS1_11comp_targetILNS1_3genE10ELNS1_11target_archE1200ELNS1_3gpuE4ELNS1_3repE0EEENS1_30default_config_static_selectorELNS0_4arch9wavefront6targetE0EEEvT1_
	.p2align	8
	.type	_ZN7rocprim17ROCPRIM_400000_NS6detail17trampoline_kernelINS0_14default_configENS1_25partition_config_selectorILNS1_17partition_subalgoE6EjNS0_10empty_typeEbEEZZNS1_14partition_implILS5_6ELb0ES3_mN6thrust23THRUST_200600_302600_NS6detail15normal_iteratorINSA_10device_ptrIjEEEEPS6_SG_NS0_5tupleIJNSA_16discard_iteratorINSA_11use_defaultEEES6_EEENSH_IJSG_SG_EEES6_PlJNSB_9not_fun_tINSB_14equal_to_valueIjEEEEEEE10hipError_tPvRmT3_T4_T5_T6_T7_T9_mT8_P12ihipStream_tbDpT10_ENKUlT_T0_E_clISt17integral_constantIbLb1EES1A_IbLb0EEEEDaS16_S17_EUlS16_E_NS1_11comp_targetILNS1_3genE10ELNS1_11target_archE1200ELNS1_3gpuE4ELNS1_3repE0EEENS1_30default_config_static_selectorELNS0_4arch9wavefront6targetE0EEEvT1_,@function
_ZN7rocprim17ROCPRIM_400000_NS6detail17trampoline_kernelINS0_14default_configENS1_25partition_config_selectorILNS1_17partition_subalgoE6EjNS0_10empty_typeEbEEZZNS1_14partition_implILS5_6ELb0ES3_mN6thrust23THRUST_200600_302600_NS6detail15normal_iteratorINSA_10device_ptrIjEEEEPS6_SG_NS0_5tupleIJNSA_16discard_iteratorINSA_11use_defaultEEES6_EEENSH_IJSG_SG_EEES6_PlJNSB_9not_fun_tINSB_14equal_to_valueIjEEEEEEE10hipError_tPvRmT3_T4_T5_T6_T7_T9_mT8_P12ihipStream_tbDpT10_ENKUlT_T0_E_clISt17integral_constantIbLb1EES1A_IbLb0EEEEDaS16_S17_EUlS16_E_NS1_11comp_targetILNS1_3genE10ELNS1_11target_archE1200ELNS1_3gpuE4ELNS1_3repE0EEENS1_30default_config_static_selectorELNS0_4arch9wavefront6targetE0EEEvT1_: ; @_ZN7rocprim17ROCPRIM_400000_NS6detail17trampoline_kernelINS0_14default_configENS1_25partition_config_selectorILNS1_17partition_subalgoE6EjNS0_10empty_typeEbEEZZNS1_14partition_implILS5_6ELb0ES3_mN6thrust23THRUST_200600_302600_NS6detail15normal_iteratorINSA_10device_ptrIjEEEEPS6_SG_NS0_5tupleIJNSA_16discard_iteratorINSA_11use_defaultEEES6_EEENSH_IJSG_SG_EEES6_PlJNSB_9not_fun_tINSB_14equal_to_valueIjEEEEEEE10hipError_tPvRmT3_T4_T5_T6_T7_T9_mT8_P12ihipStream_tbDpT10_ENKUlT_T0_E_clISt17integral_constantIbLb1EES1A_IbLb0EEEEDaS16_S17_EUlS16_E_NS1_11comp_targetILNS1_3genE10ELNS1_11target_archE1200ELNS1_3gpuE4ELNS1_3repE0EEENS1_30default_config_static_selectorELNS0_4arch9wavefront6targetE0EEEvT1_
; %bb.0:
	s_endpgm
	.section	.rodata,"a",@progbits
	.p2align	6, 0x0
	.amdhsa_kernel _ZN7rocprim17ROCPRIM_400000_NS6detail17trampoline_kernelINS0_14default_configENS1_25partition_config_selectorILNS1_17partition_subalgoE6EjNS0_10empty_typeEbEEZZNS1_14partition_implILS5_6ELb0ES3_mN6thrust23THRUST_200600_302600_NS6detail15normal_iteratorINSA_10device_ptrIjEEEEPS6_SG_NS0_5tupleIJNSA_16discard_iteratorINSA_11use_defaultEEES6_EEENSH_IJSG_SG_EEES6_PlJNSB_9not_fun_tINSB_14equal_to_valueIjEEEEEEE10hipError_tPvRmT3_T4_T5_T6_T7_T9_mT8_P12ihipStream_tbDpT10_ENKUlT_T0_E_clISt17integral_constantIbLb1EES1A_IbLb0EEEEDaS16_S17_EUlS16_E_NS1_11comp_targetILNS1_3genE10ELNS1_11target_archE1200ELNS1_3gpuE4ELNS1_3repE0EEENS1_30default_config_static_selectorELNS0_4arch9wavefront6targetE0EEEvT1_
		.amdhsa_group_segment_fixed_size 0
		.amdhsa_private_segment_fixed_size 0
		.amdhsa_kernarg_size 128
		.amdhsa_user_sgpr_count 2
		.amdhsa_user_sgpr_dispatch_ptr 0
		.amdhsa_user_sgpr_queue_ptr 0
		.amdhsa_user_sgpr_kernarg_segment_ptr 1
		.amdhsa_user_sgpr_dispatch_id 0
		.amdhsa_user_sgpr_private_segment_size 0
		.amdhsa_wavefront_size32 1
		.amdhsa_uses_dynamic_stack 0
		.amdhsa_enable_private_segment 0
		.amdhsa_system_sgpr_workgroup_id_x 1
		.amdhsa_system_sgpr_workgroup_id_y 0
		.amdhsa_system_sgpr_workgroup_id_z 0
		.amdhsa_system_sgpr_workgroup_info 0
		.amdhsa_system_vgpr_workitem_id 0
		.amdhsa_next_free_vgpr 1
		.amdhsa_next_free_sgpr 1
		.amdhsa_reserve_vcc 0
		.amdhsa_float_round_mode_32 0
		.amdhsa_float_round_mode_16_64 0
		.amdhsa_float_denorm_mode_32 3
		.amdhsa_float_denorm_mode_16_64 3
		.amdhsa_fp16_overflow 0
		.amdhsa_workgroup_processor_mode 1
		.amdhsa_memory_ordered 1
		.amdhsa_forward_progress 1
		.amdhsa_inst_pref_size 1
		.amdhsa_round_robin_scheduling 0
		.amdhsa_exception_fp_ieee_invalid_op 0
		.amdhsa_exception_fp_denorm_src 0
		.amdhsa_exception_fp_ieee_div_zero 0
		.amdhsa_exception_fp_ieee_overflow 0
		.amdhsa_exception_fp_ieee_underflow 0
		.amdhsa_exception_fp_ieee_inexact 0
		.amdhsa_exception_int_div_zero 0
	.end_amdhsa_kernel
	.section	.text._ZN7rocprim17ROCPRIM_400000_NS6detail17trampoline_kernelINS0_14default_configENS1_25partition_config_selectorILNS1_17partition_subalgoE6EjNS0_10empty_typeEbEEZZNS1_14partition_implILS5_6ELb0ES3_mN6thrust23THRUST_200600_302600_NS6detail15normal_iteratorINSA_10device_ptrIjEEEEPS6_SG_NS0_5tupleIJNSA_16discard_iteratorINSA_11use_defaultEEES6_EEENSH_IJSG_SG_EEES6_PlJNSB_9not_fun_tINSB_14equal_to_valueIjEEEEEEE10hipError_tPvRmT3_T4_T5_T6_T7_T9_mT8_P12ihipStream_tbDpT10_ENKUlT_T0_E_clISt17integral_constantIbLb1EES1A_IbLb0EEEEDaS16_S17_EUlS16_E_NS1_11comp_targetILNS1_3genE10ELNS1_11target_archE1200ELNS1_3gpuE4ELNS1_3repE0EEENS1_30default_config_static_selectorELNS0_4arch9wavefront6targetE0EEEvT1_,"axG",@progbits,_ZN7rocprim17ROCPRIM_400000_NS6detail17trampoline_kernelINS0_14default_configENS1_25partition_config_selectorILNS1_17partition_subalgoE6EjNS0_10empty_typeEbEEZZNS1_14partition_implILS5_6ELb0ES3_mN6thrust23THRUST_200600_302600_NS6detail15normal_iteratorINSA_10device_ptrIjEEEEPS6_SG_NS0_5tupleIJNSA_16discard_iteratorINSA_11use_defaultEEES6_EEENSH_IJSG_SG_EEES6_PlJNSB_9not_fun_tINSB_14equal_to_valueIjEEEEEEE10hipError_tPvRmT3_T4_T5_T6_T7_T9_mT8_P12ihipStream_tbDpT10_ENKUlT_T0_E_clISt17integral_constantIbLb1EES1A_IbLb0EEEEDaS16_S17_EUlS16_E_NS1_11comp_targetILNS1_3genE10ELNS1_11target_archE1200ELNS1_3gpuE4ELNS1_3repE0EEENS1_30default_config_static_selectorELNS0_4arch9wavefront6targetE0EEEvT1_,comdat
.Lfunc_end1682:
	.size	_ZN7rocprim17ROCPRIM_400000_NS6detail17trampoline_kernelINS0_14default_configENS1_25partition_config_selectorILNS1_17partition_subalgoE6EjNS0_10empty_typeEbEEZZNS1_14partition_implILS5_6ELb0ES3_mN6thrust23THRUST_200600_302600_NS6detail15normal_iteratorINSA_10device_ptrIjEEEEPS6_SG_NS0_5tupleIJNSA_16discard_iteratorINSA_11use_defaultEEES6_EEENSH_IJSG_SG_EEES6_PlJNSB_9not_fun_tINSB_14equal_to_valueIjEEEEEEE10hipError_tPvRmT3_T4_T5_T6_T7_T9_mT8_P12ihipStream_tbDpT10_ENKUlT_T0_E_clISt17integral_constantIbLb1EES1A_IbLb0EEEEDaS16_S17_EUlS16_E_NS1_11comp_targetILNS1_3genE10ELNS1_11target_archE1200ELNS1_3gpuE4ELNS1_3repE0EEENS1_30default_config_static_selectorELNS0_4arch9wavefront6targetE0EEEvT1_, .Lfunc_end1682-_ZN7rocprim17ROCPRIM_400000_NS6detail17trampoline_kernelINS0_14default_configENS1_25partition_config_selectorILNS1_17partition_subalgoE6EjNS0_10empty_typeEbEEZZNS1_14partition_implILS5_6ELb0ES3_mN6thrust23THRUST_200600_302600_NS6detail15normal_iteratorINSA_10device_ptrIjEEEEPS6_SG_NS0_5tupleIJNSA_16discard_iteratorINSA_11use_defaultEEES6_EEENSH_IJSG_SG_EEES6_PlJNSB_9not_fun_tINSB_14equal_to_valueIjEEEEEEE10hipError_tPvRmT3_T4_T5_T6_T7_T9_mT8_P12ihipStream_tbDpT10_ENKUlT_T0_E_clISt17integral_constantIbLb1EES1A_IbLb0EEEEDaS16_S17_EUlS16_E_NS1_11comp_targetILNS1_3genE10ELNS1_11target_archE1200ELNS1_3gpuE4ELNS1_3repE0EEENS1_30default_config_static_selectorELNS0_4arch9wavefront6targetE0EEEvT1_
                                        ; -- End function
	.set _ZN7rocprim17ROCPRIM_400000_NS6detail17trampoline_kernelINS0_14default_configENS1_25partition_config_selectorILNS1_17partition_subalgoE6EjNS0_10empty_typeEbEEZZNS1_14partition_implILS5_6ELb0ES3_mN6thrust23THRUST_200600_302600_NS6detail15normal_iteratorINSA_10device_ptrIjEEEEPS6_SG_NS0_5tupleIJNSA_16discard_iteratorINSA_11use_defaultEEES6_EEENSH_IJSG_SG_EEES6_PlJNSB_9not_fun_tINSB_14equal_to_valueIjEEEEEEE10hipError_tPvRmT3_T4_T5_T6_T7_T9_mT8_P12ihipStream_tbDpT10_ENKUlT_T0_E_clISt17integral_constantIbLb1EES1A_IbLb0EEEEDaS16_S17_EUlS16_E_NS1_11comp_targetILNS1_3genE10ELNS1_11target_archE1200ELNS1_3gpuE4ELNS1_3repE0EEENS1_30default_config_static_selectorELNS0_4arch9wavefront6targetE0EEEvT1_.num_vgpr, 0
	.set _ZN7rocprim17ROCPRIM_400000_NS6detail17trampoline_kernelINS0_14default_configENS1_25partition_config_selectorILNS1_17partition_subalgoE6EjNS0_10empty_typeEbEEZZNS1_14partition_implILS5_6ELb0ES3_mN6thrust23THRUST_200600_302600_NS6detail15normal_iteratorINSA_10device_ptrIjEEEEPS6_SG_NS0_5tupleIJNSA_16discard_iteratorINSA_11use_defaultEEES6_EEENSH_IJSG_SG_EEES6_PlJNSB_9not_fun_tINSB_14equal_to_valueIjEEEEEEE10hipError_tPvRmT3_T4_T5_T6_T7_T9_mT8_P12ihipStream_tbDpT10_ENKUlT_T0_E_clISt17integral_constantIbLb1EES1A_IbLb0EEEEDaS16_S17_EUlS16_E_NS1_11comp_targetILNS1_3genE10ELNS1_11target_archE1200ELNS1_3gpuE4ELNS1_3repE0EEENS1_30default_config_static_selectorELNS0_4arch9wavefront6targetE0EEEvT1_.num_agpr, 0
	.set _ZN7rocprim17ROCPRIM_400000_NS6detail17trampoline_kernelINS0_14default_configENS1_25partition_config_selectorILNS1_17partition_subalgoE6EjNS0_10empty_typeEbEEZZNS1_14partition_implILS5_6ELb0ES3_mN6thrust23THRUST_200600_302600_NS6detail15normal_iteratorINSA_10device_ptrIjEEEEPS6_SG_NS0_5tupleIJNSA_16discard_iteratorINSA_11use_defaultEEES6_EEENSH_IJSG_SG_EEES6_PlJNSB_9not_fun_tINSB_14equal_to_valueIjEEEEEEE10hipError_tPvRmT3_T4_T5_T6_T7_T9_mT8_P12ihipStream_tbDpT10_ENKUlT_T0_E_clISt17integral_constantIbLb1EES1A_IbLb0EEEEDaS16_S17_EUlS16_E_NS1_11comp_targetILNS1_3genE10ELNS1_11target_archE1200ELNS1_3gpuE4ELNS1_3repE0EEENS1_30default_config_static_selectorELNS0_4arch9wavefront6targetE0EEEvT1_.numbered_sgpr, 0
	.set _ZN7rocprim17ROCPRIM_400000_NS6detail17trampoline_kernelINS0_14default_configENS1_25partition_config_selectorILNS1_17partition_subalgoE6EjNS0_10empty_typeEbEEZZNS1_14partition_implILS5_6ELb0ES3_mN6thrust23THRUST_200600_302600_NS6detail15normal_iteratorINSA_10device_ptrIjEEEEPS6_SG_NS0_5tupleIJNSA_16discard_iteratorINSA_11use_defaultEEES6_EEENSH_IJSG_SG_EEES6_PlJNSB_9not_fun_tINSB_14equal_to_valueIjEEEEEEE10hipError_tPvRmT3_T4_T5_T6_T7_T9_mT8_P12ihipStream_tbDpT10_ENKUlT_T0_E_clISt17integral_constantIbLb1EES1A_IbLb0EEEEDaS16_S17_EUlS16_E_NS1_11comp_targetILNS1_3genE10ELNS1_11target_archE1200ELNS1_3gpuE4ELNS1_3repE0EEENS1_30default_config_static_selectorELNS0_4arch9wavefront6targetE0EEEvT1_.num_named_barrier, 0
	.set _ZN7rocprim17ROCPRIM_400000_NS6detail17trampoline_kernelINS0_14default_configENS1_25partition_config_selectorILNS1_17partition_subalgoE6EjNS0_10empty_typeEbEEZZNS1_14partition_implILS5_6ELb0ES3_mN6thrust23THRUST_200600_302600_NS6detail15normal_iteratorINSA_10device_ptrIjEEEEPS6_SG_NS0_5tupleIJNSA_16discard_iteratorINSA_11use_defaultEEES6_EEENSH_IJSG_SG_EEES6_PlJNSB_9not_fun_tINSB_14equal_to_valueIjEEEEEEE10hipError_tPvRmT3_T4_T5_T6_T7_T9_mT8_P12ihipStream_tbDpT10_ENKUlT_T0_E_clISt17integral_constantIbLb1EES1A_IbLb0EEEEDaS16_S17_EUlS16_E_NS1_11comp_targetILNS1_3genE10ELNS1_11target_archE1200ELNS1_3gpuE4ELNS1_3repE0EEENS1_30default_config_static_selectorELNS0_4arch9wavefront6targetE0EEEvT1_.private_seg_size, 0
	.set _ZN7rocprim17ROCPRIM_400000_NS6detail17trampoline_kernelINS0_14default_configENS1_25partition_config_selectorILNS1_17partition_subalgoE6EjNS0_10empty_typeEbEEZZNS1_14partition_implILS5_6ELb0ES3_mN6thrust23THRUST_200600_302600_NS6detail15normal_iteratorINSA_10device_ptrIjEEEEPS6_SG_NS0_5tupleIJNSA_16discard_iteratorINSA_11use_defaultEEES6_EEENSH_IJSG_SG_EEES6_PlJNSB_9not_fun_tINSB_14equal_to_valueIjEEEEEEE10hipError_tPvRmT3_T4_T5_T6_T7_T9_mT8_P12ihipStream_tbDpT10_ENKUlT_T0_E_clISt17integral_constantIbLb1EES1A_IbLb0EEEEDaS16_S17_EUlS16_E_NS1_11comp_targetILNS1_3genE10ELNS1_11target_archE1200ELNS1_3gpuE4ELNS1_3repE0EEENS1_30default_config_static_selectorELNS0_4arch9wavefront6targetE0EEEvT1_.uses_vcc, 0
	.set _ZN7rocprim17ROCPRIM_400000_NS6detail17trampoline_kernelINS0_14default_configENS1_25partition_config_selectorILNS1_17partition_subalgoE6EjNS0_10empty_typeEbEEZZNS1_14partition_implILS5_6ELb0ES3_mN6thrust23THRUST_200600_302600_NS6detail15normal_iteratorINSA_10device_ptrIjEEEEPS6_SG_NS0_5tupleIJNSA_16discard_iteratorINSA_11use_defaultEEES6_EEENSH_IJSG_SG_EEES6_PlJNSB_9not_fun_tINSB_14equal_to_valueIjEEEEEEE10hipError_tPvRmT3_T4_T5_T6_T7_T9_mT8_P12ihipStream_tbDpT10_ENKUlT_T0_E_clISt17integral_constantIbLb1EES1A_IbLb0EEEEDaS16_S17_EUlS16_E_NS1_11comp_targetILNS1_3genE10ELNS1_11target_archE1200ELNS1_3gpuE4ELNS1_3repE0EEENS1_30default_config_static_selectorELNS0_4arch9wavefront6targetE0EEEvT1_.uses_flat_scratch, 0
	.set _ZN7rocprim17ROCPRIM_400000_NS6detail17trampoline_kernelINS0_14default_configENS1_25partition_config_selectorILNS1_17partition_subalgoE6EjNS0_10empty_typeEbEEZZNS1_14partition_implILS5_6ELb0ES3_mN6thrust23THRUST_200600_302600_NS6detail15normal_iteratorINSA_10device_ptrIjEEEEPS6_SG_NS0_5tupleIJNSA_16discard_iteratorINSA_11use_defaultEEES6_EEENSH_IJSG_SG_EEES6_PlJNSB_9not_fun_tINSB_14equal_to_valueIjEEEEEEE10hipError_tPvRmT3_T4_T5_T6_T7_T9_mT8_P12ihipStream_tbDpT10_ENKUlT_T0_E_clISt17integral_constantIbLb1EES1A_IbLb0EEEEDaS16_S17_EUlS16_E_NS1_11comp_targetILNS1_3genE10ELNS1_11target_archE1200ELNS1_3gpuE4ELNS1_3repE0EEENS1_30default_config_static_selectorELNS0_4arch9wavefront6targetE0EEEvT1_.has_dyn_sized_stack, 0
	.set _ZN7rocprim17ROCPRIM_400000_NS6detail17trampoline_kernelINS0_14default_configENS1_25partition_config_selectorILNS1_17partition_subalgoE6EjNS0_10empty_typeEbEEZZNS1_14partition_implILS5_6ELb0ES3_mN6thrust23THRUST_200600_302600_NS6detail15normal_iteratorINSA_10device_ptrIjEEEEPS6_SG_NS0_5tupleIJNSA_16discard_iteratorINSA_11use_defaultEEES6_EEENSH_IJSG_SG_EEES6_PlJNSB_9not_fun_tINSB_14equal_to_valueIjEEEEEEE10hipError_tPvRmT3_T4_T5_T6_T7_T9_mT8_P12ihipStream_tbDpT10_ENKUlT_T0_E_clISt17integral_constantIbLb1EES1A_IbLb0EEEEDaS16_S17_EUlS16_E_NS1_11comp_targetILNS1_3genE10ELNS1_11target_archE1200ELNS1_3gpuE4ELNS1_3repE0EEENS1_30default_config_static_selectorELNS0_4arch9wavefront6targetE0EEEvT1_.has_recursion, 0
	.set _ZN7rocprim17ROCPRIM_400000_NS6detail17trampoline_kernelINS0_14default_configENS1_25partition_config_selectorILNS1_17partition_subalgoE6EjNS0_10empty_typeEbEEZZNS1_14partition_implILS5_6ELb0ES3_mN6thrust23THRUST_200600_302600_NS6detail15normal_iteratorINSA_10device_ptrIjEEEEPS6_SG_NS0_5tupleIJNSA_16discard_iteratorINSA_11use_defaultEEES6_EEENSH_IJSG_SG_EEES6_PlJNSB_9not_fun_tINSB_14equal_to_valueIjEEEEEEE10hipError_tPvRmT3_T4_T5_T6_T7_T9_mT8_P12ihipStream_tbDpT10_ENKUlT_T0_E_clISt17integral_constantIbLb1EES1A_IbLb0EEEEDaS16_S17_EUlS16_E_NS1_11comp_targetILNS1_3genE10ELNS1_11target_archE1200ELNS1_3gpuE4ELNS1_3repE0EEENS1_30default_config_static_selectorELNS0_4arch9wavefront6targetE0EEEvT1_.has_indirect_call, 0
	.section	.AMDGPU.csdata,"",@progbits
; Kernel info:
; codeLenInByte = 4
; TotalNumSgprs: 0
; NumVgprs: 0
; ScratchSize: 0
; MemoryBound: 0
; FloatMode: 240
; IeeeMode: 1
; LDSByteSize: 0 bytes/workgroup (compile time only)
; SGPRBlocks: 0
; VGPRBlocks: 0
; NumSGPRsForWavesPerEU: 1
; NumVGPRsForWavesPerEU: 1
; Occupancy: 16
; WaveLimiterHint : 0
; COMPUTE_PGM_RSRC2:SCRATCH_EN: 0
; COMPUTE_PGM_RSRC2:USER_SGPR: 2
; COMPUTE_PGM_RSRC2:TRAP_HANDLER: 0
; COMPUTE_PGM_RSRC2:TGID_X_EN: 1
; COMPUTE_PGM_RSRC2:TGID_Y_EN: 0
; COMPUTE_PGM_RSRC2:TGID_Z_EN: 0
; COMPUTE_PGM_RSRC2:TIDIG_COMP_CNT: 0
	.section	.text._ZN7rocprim17ROCPRIM_400000_NS6detail17trampoline_kernelINS0_14default_configENS1_25partition_config_selectorILNS1_17partition_subalgoE6EjNS0_10empty_typeEbEEZZNS1_14partition_implILS5_6ELb0ES3_mN6thrust23THRUST_200600_302600_NS6detail15normal_iteratorINSA_10device_ptrIjEEEEPS6_SG_NS0_5tupleIJNSA_16discard_iteratorINSA_11use_defaultEEES6_EEENSH_IJSG_SG_EEES6_PlJNSB_9not_fun_tINSB_14equal_to_valueIjEEEEEEE10hipError_tPvRmT3_T4_T5_T6_T7_T9_mT8_P12ihipStream_tbDpT10_ENKUlT_T0_E_clISt17integral_constantIbLb1EES1A_IbLb0EEEEDaS16_S17_EUlS16_E_NS1_11comp_targetILNS1_3genE9ELNS1_11target_archE1100ELNS1_3gpuE3ELNS1_3repE0EEENS1_30default_config_static_selectorELNS0_4arch9wavefront6targetE0EEEvT1_,"axG",@progbits,_ZN7rocprim17ROCPRIM_400000_NS6detail17trampoline_kernelINS0_14default_configENS1_25partition_config_selectorILNS1_17partition_subalgoE6EjNS0_10empty_typeEbEEZZNS1_14partition_implILS5_6ELb0ES3_mN6thrust23THRUST_200600_302600_NS6detail15normal_iteratorINSA_10device_ptrIjEEEEPS6_SG_NS0_5tupleIJNSA_16discard_iteratorINSA_11use_defaultEEES6_EEENSH_IJSG_SG_EEES6_PlJNSB_9not_fun_tINSB_14equal_to_valueIjEEEEEEE10hipError_tPvRmT3_T4_T5_T6_T7_T9_mT8_P12ihipStream_tbDpT10_ENKUlT_T0_E_clISt17integral_constantIbLb1EES1A_IbLb0EEEEDaS16_S17_EUlS16_E_NS1_11comp_targetILNS1_3genE9ELNS1_11target_archE1100ELNS1_3gpuE3ELNS1_3repE0EEENS1_30default_config_static_selectorELNS0_4arch9wavefront6targetE0EEEvT1_,comdat
	.protected	_ZN7rocprim17ROCPRIM_400000_NS6detail17trampoline_kernelINS0_14default_configENS1_25partition_config_selectorILNS1_17partition_subalgoE6EjNS0_10empty_typeEbEEZZNS1_14partition_implILS5_6ELb0ES3_mN6thrust23THRUST_200600_302600_NS6detail15normal_iteratorINSA_10device_ptrIjEEEEPS6_SG_NS0_5tupleIJNSA_16discard_iteratorINSA_11use_defaultEEES6_EEENSH_IJSG_SG_EEES6_PlJNSB_9not_fun_tINSB_14equal_to_valueIjEEEEEEE10hipError_tPvRmT3_T4_T5_T6_T7_T9_mT8_P12ihipStream_tbDpT10_ENKUlT_T0_E_clISt17integral_constantIbLb1EES1A_IbLb0EEEEDaS16_S17_EUlS16_E_NS1_11comp_targetILNS1_3genE9ELNS1_11target_archE1100ELNS1_3gpuE3ELNS1_3repE0EEENS1_30default_config_static_selectorELNS0_4arch9wavefront6targetE0EEEvT1_ ; -- Begin function _ZN7rocprim17ROCPRIM_400000_NS6detail17trampoline_kernelINS0_14default_configENS1_25partition_config_selectorILNS1_17partition_subalgoE6EjNS0_10empty_typeEbEEZZNS1_14partition_implILS5_6ELb0ES3_mN6thrust23THRUST_200600_302600_NS6detail15normal_iteratorINSA_10device_ptrIjEEEEPS6_SG_NS0_5tupleIJNSA_16discard_iteratorINSA_11use_defaultEEES6_EEENSH_IJSG_SG_EEES6_PlJNSB_9not_fun_tINSB_14equal_to_valueIjEEEEEEE10hipError_tPvRmT3_T4_T5_T6_T7_T9_mT8_P12ihipStream_tbDpT10_ENKUlT_T0_E_clISt17integral_constantIbLb1EES1A_IbLb0EEEEDaS16_S17_EUlS16_E_NS1_11comp_targetILNS1_3genE9ELNS1_11target_archE1100ELNS1_3gpuE3ELNS1_3repE0EEENS1_30default_config_static_selectorELNS0_4arch9wavefront6targetE0EEEvT1_
	.globl	_ZN7rocprim17ROCPRIM_400000_NS6detail17trampoline_kernelINS0_14default_configENS1_25partition_config_selectorILNS1_17partition_subalgoE6EjNS0_10empty_typeEbEEZZNS1_14partition_implILS5_6ELb0ES3_mN6thrust23THRUST_200600_302600_NS6detail15normal_iteratorINSA_10device_ptrIjEEEEPS6_SG_NS0_5tupleIJNSA_16discard_iteratorINSA_11use_defaultEEES6_EEENSH_IJSG_SG_EEES6_PlJNSB_9not_fun_tINSB_14equal_to_valueIjEEEEEEE10hipError_tPvRmT3_T4_T5_T6_T7_T9_mT8_P12ihipStream_tbDpT10_ENKUlT_T0_E_clISt17integral_constantIbLb1EES1A_IbLb0EEEEDaS16_S17_EUlS16_E_NS1_11comp_targetILNS1_3genE9ELNS1_11target_archE1100ELNS1_3gpuE3ELNS1_3repE0EEENS1_30default_config_static_selectorELNS0_4arch9wavefront6targetE0EEEvT1_
	.p2align	8
	.type	_ZN7rocprim17ROCPRIM_400000_NS6detail17trampoline_kernelINS0_14default_configENS1_25partition_config_selectorILNS1_17partition_subalgoE6EjNS0_10empty_typeEbEEZZNS1_14partition_implILS5_6ELb0ES3_mN6thrust23THRUST_200600_302600_NS6detail15normal_iteratorINSA_10device_ptrIjEEEEPS6_SG_NS0_5tupleIJNSA_16discard_iteratorINSA_11use_defaultEEES6_EEENSH_IJSG_SG_EEES6_PlJNSB_9not_fun_tINSB_14equal_to_valueIjEEEEEEE10hipError_tPvRmT3_T4_T5_T6_T7_T9_mT8_P12ihipStream_tbDpT10_ENKUlT_T0_E_clISt17integral_constantIbLb1EES1A_IbLb0EEEEDaS16_S17_EUlS16_E_NS1_11comp_targetILNS1_3genE9ELNS1_11target_archE1100ELNS1_3gpuE3ELNS1_3repE0EEENS1_30default_config_static_selectorELNS0_4arch9wavefront6targetE0EEEvT1_,@function
_ZN7rocprim17ROCPRIM_400000_NS6detail17trampoline_kernelINS0_14default_configENS1_25partition_config_selectorILNS1_17partition_subalgoE6EjNS0_10empty_typeEbEEZZNS1_14partition_implILS5_6ELb0ES3_mN6thrust23THRUST_200600_302600_NS6detail15normal_iteratorINSA_10device_ptrIjEEEEPS6_SG_NS0_5tupleIJNSA_16discard_iteratorINSA_11use_defaultEEES6_EEENSH_IJSG_SG_EEES6_PlJNSB_9not_fun_tINSB_14equal_to_valueIjEEEEEEE10hipError_tPvRmT3_T4_T5_T6_T7_T9_mT8_P12ihipStream_tbDpT10_ENKUlT_T0_E_clISt17integral_constantIbLb1EES1A_IbLb0EEEEDaS16_S17_EUlS16_E_NS1_11comp_targetILNS1_3genE9ELNS1_11target_archE1100ELNS1_3gpuE3ELNS1_3repE0EEENS1_30default_config_static_selectorELNS0_4arch9wavefront6targetE0EEEvT1_: ; @_ZN7rocprim17ROCPRIM_400000_NS6detail17trampoline_kernelINS0_14default_configENS1_25partition_config_selectorILNS1_17partition_subalgoE6EjNS0_10empty_typeEbEEZZNS1_14partition_implILS5_6ELb0ES3_mN6thrust23THRUST_200600_302600_NS6detail15normal_iteratorINSA_10device_ptrIjEEEEPS6_SG_NS0_5tupleIJNSA_16discard_iteratorINSA_11use_defaultEEES6_EEENSH_IJSG_SG_EEES6_PlJNSB_9not_fun_tINSB_14equal_to_valueIjEEEEEEE10hipError_tPvRmT3_T4_T5_T6_T7_T9_mT8_P12ihipStream_tbDpT10_ENKUlT_T0_E_clISt17integral_constantIbLb1EES1A_IbLb0EEEEDaS16_S17_EUlS16_E_NS1_11comp_targetILNS1_3genE9ELNS1_11target_archE1100ELNS1_3gpuE3ELNS1_3repE0EEENS1_30default_config_static_selectorELNS0_4arch9wavefront6targetE0EEEvT1_
; %bb.0:
	.section	.rodata,"a",@progbits
	.p2align	6, 0x0
	.amdhsa_kernel _ZN7rocprim17ROCPRIM_400000_NS6detail17trampoline_kernelINS0_14default_configENS1_25partition_config_selectorILNS1_17partition_subalgoE6EjNS0_10empty_typeEbEEZZNS1_14partition_implILS5_6ELb0ES3_mN6thrust23THRUST_200600_302600_NS6detail15normal_iteratorINSA_10device_ptrIjEEEEPS6_SG_NS0_5tupleIJNSA_16discard_iteratorINSA_11use_defaultEEES6_EEENSH_IJSG_SG_EEES6_PlJNSB_9not_fun_tINSB_14equal_to_valueIjEEEEEEE10hipError_tPvRmT3_T4_T5_T6_T7_T9_mT8_P12ihipStream_tbDpT10_ENKUlT_T0_E_clISt17integral_constantIbLb1EES1A_IbLb0EEEEDaS16_S17_EUlS16_E_NS1_11comp_targetILNS1_3genE9ELNS1_11target_archE1100ELNS1_3gpuE3ELNS1_3repE0EEENS1_30default_config_static_selectorELNS0_4arch9wavefront6targetE0EEEvT1_
		.amdhsa_group_segment_fixed_size 0
		.amdhsa_private_segment_fixed_size 0
		.amdhsa_kernarg_size 128
		.amdhsa_user_sgpr_count 2
		.amdhsa_user_sgpr_dispatch_ptr 0
		.amdhsa_user_sgpr_queue_ptr 0
		.amdhsa_user_sgpr_kernarg_segment_ptr 1
		.amdhsa_user_sgpr_dispatch_id 0
		.amdhsa_user_sgpr_private_segment_size 0
		.amdhsa_wavefront_size32 1
		.amdhsa_uses_dynamic_stack 0
		.amdhsa_enable_private_segment 0
		.amdhsa_system_sgpr_workgroup_id_x 1
		.amdhsa_system_sgpr_workgroup_id_y 0
		.amdhsa_system_sgpr_workgroup_id_z 0
		.amdhsa_system_sgpr_workgroup_info 0
		.amdhsa_system_vgpr_workitem_id 0
		.amdhsa_next_free_vgpr 1
		.amdhsa_next_free_sgpr 1
		.amdhsa_reserve_vcc 0
		.amdhsa_float_round_mode_32 0
		.amdhsa_float_round_mode_16_64 0
		.amdhsa_float_denorm_mode_32 3
		.amdhsa_float_denorm_mode_16_64 3
		.amdhsa_fp16_overflow 0
		.amdhsa_workgroup_processor_mode 1
		.amdhsa_memory_ordered 1
		.amdhsa_forward_progress 1
		.amdhsa_inst_pref_size 0
		.amdhsa_round_robin_scheduling 0
		.amdhsa_exception_fp_ieee_invalid_op 0
		.amdhsa_exception_fp_denorm_src 0
		.amdhsa_exception_fp_ieee_div_zero 0
		.amdhsa_exception_fp_ieee_overflow 0
		.amdhsa_exception_fp_ieee_underflow 0
		.amdhsa_exception_fp_ieee_inexact 0
		.amdhsa_exception_int_div_zero 0
	.end_amdhsa_kernel
	.section	.text._ZN7rocprim17ROCPRIM_400000_NS6detail17trampoline_kernelINS0_14default_configENS1_25partition_config_selectorILNS1_17partition_subalgoE6EjNS0_10empty_typeEbEEZZNS1_14partition_implILS5_6ELb0ES3_mN6thrust23THRUST_200600_302600_NS6detail15normal_iteratorINSA_10device_ptrIjEEEEPS6_SG_NS0_5tupleIJNSA_16discard_iteratorINSA_11use_defaultEEES6_EEENSH_IJSG_SG_EEES6_PlJNSB_9not_fun_tINSB_14equal_to_valueIjEEEEEEE10hipError_tPvRmT3_T4_T5_T6_T7_T9_mT8_P12ihipStream_tbDpT10_ENKUlT_T0_E_clISt17integral_constantIbLb1EES1A_IbLb0EEEEDaS16_S17_EUlS16_E_NS1_11comp_targetILNS1_3genE9ELNS1_11target_archE1100ELNS1_3gpuE3ELNS1_3repE0EEENS1_30default_config_static_selectorELNS0_4arch9wavefront6targetE0EEEvT1_,"axG",@progbits,_ZN7rocprim17ROCPRIM_400000_NS6detail17trampoline_kernelINS0_14default_configENS1_25partition_config_selectorILNS1_17partition_subalgoE6EjNS0_10empty_typeEbEEZZNS1_14partition_implILS5_6ELb0ES3_mN6thrust23THRUST_200600_302600_NS6detail15normal_iteratorINSA_10device_ptrIjEEEEPS6_SG_NS0_5tupleIJNSA_16discard_iteratorINSA_11use_defaultEEES6_EEENSH_IJSG_SG_EEES6_PlJNSB_9not_fun_tINSB_14equal_to_valueIjEEEEEEE10hipError_tPvRmT3_T4_T5_T6_T7_T9_mT8_P12ihipStream_tbDpT10_ENKUlT_T0_E_clISt17integral_constantIbLb1EES1A_IbLb0EEEEDaS16_S17_EUlS16_E_NS1_11comp_targetILNS1_3genE9ELNS1_11target_archE1100ELNS1_3gpuE3ELNS1_3repE0EEENS1_30default_config_static_selectorELNS0_4arch9wavefront6targetE0EEEvT1_,comdat
.Lfunc_end1683:
	.size	_ZN7rocprim17ROCPRIM_400000_NS6detail17trampoline_kernelINS0_14default_configENS1_25partition_config_selectorILNS1_17partition_subalgoE6EjNS0_10empty_typeEbEEZZNS1_14partition_implILS5_6ELb0ES3_mN6thrust23THRUST_200600_302600_NS6detail15normal_iteratorINSA_10device_ptrIjEEEEPS6_SG_NS0_5tupleIJNSA_16discard_iteratorINSA_11use_defaultEEES6_EEENSH_IJSG_SG_EEES6_PlJNSB_9not_fun_tINSB_14equal_to_valueIjEEEEEEE10hipError_tPvRmT3_T4_T5_T6_T7_T9_mT8_P12ihipStream_tbDpT10_ENKUlT_T0_E_clISt17integral_constantIbLb1EES1A_IbLb0EEEEDaS16_S17_EUlS16_E_NS1_11comp_targetILNS1_3genE9ELNS1_11target_archE1100ELNS1_3gpuE3ELNS1_3repE0EEENS1_30default_config_static_selectorELNS0_4arch9wavefront6targetE0EEEvT1_, .Lfunc_end1683-_ZN7rocprim17ROCPRIM_400000_NS6detail17trampoline_kernelINS0_14default_configENS1_25partition_config_selectorILNS1_17partition_subalgoE6EjNS0_10empty_typeEbEEZZNS1_14partition_implILS5_6ELb0ES3_mN6thrust23THRUST_200600_302600_NS6detail15normal_iteratorINSA_10device_ptrIjEEEEPS6_SG_NS0_5tupleIJNSA_16discard_iteratorINSA_11use_defaultEEES6_EEENSH_IJSG_SG_EEES6_PlJNSB_9not_fun_tINSB_14equal_to_valueIjEEEEEEE10hipError_tPvRmT3_T4_T5_T6_T7_T9_mT8_P12ihipStream_tbDpT10_ENKUlT_T0_E_clISt17integral_constantIbLb1EES1A_IbLb0EEEEDaS16_S17_EUlS16_E_NS1_11comp_targetILNS1_3genE9ELNS1_11target_archE1100ELNS1_3gpuE3ELNS1_3repE0EEENS1_30default_config_static_selectorELNS0_4arch9wavefront6targetE0EEEvT1_
                                        ; -- End function
	.set _ZN7rocprim17ROCPRIM_400000_NS6detail17trampoline_kernelINS0_14default_configENS1_25partition_config_selectorILNS1_17partition_subalgoE6EjNS0_10empty_typeEbEEZZNS1_14partition_implILS5_6ELb0ES3_mN6thrust23THRUST_200600_302600_NS6detail15normal_iteratorINSA_10device_ptrIjEEEEPS6_SG_NS0_5tupleIJNSA_16discard_iteratorINSA_11use_defaultEEES6_EEENSH_IJSG_SG_EEES6_PlJNSB_9not_fun_tINSB_14equal_to_valueIjEEEEEEE10hipError_tPvRmT3_T4_T5_T6_T7_T9_mT8_P12ihipStream_tbDpT10_ENKUlT_T0_E_clISt17integral_constantIbLb1EES1A_IbLb0EEEEDaS16_S17_EUlS16_E_NS1_11comp_targetILNS1_3genE9ELNS1_11target_archE1100ELNS1_3gpuE3ELNS1_3repE0EEENS1_30default_config_static_selectorELNS0_4arch9wavefront6targetE0EEEvT1_.num_vgpr, 0
	.set _ZN7rocprim17ROCPRIM_400000_NS6detail17trampoline_kernelINS0_14default_configENS1_25partition_config_selectorILNS1_17partition_subalgoE6EjNS0_10empty_typeEbEEZZNS1_14partition_implILS5_6ELb0ES3_mN6thrust23THRUST_200600_302600_NS6detail15normal_iteratorINSA_10device_ptrIjEEEEPS6_SG_NS0_5tupleIJNSA_16discard_iteratorINSA_11use_defaultEEES6_EEENSH_IJSG_SG_EEES6_PlJNSB_9not_fun_tINSB_14equal_to_valueIjEEEEEEE10hipError_tPvRmT3_T4_T5_T6_T7_T9_mT8_P12ihipStream_tbDpT10_ENKUlT_T0_E_clISt17integral_constantIbLb1EES1A_IbLb0EEEEDaS16_S17_EUlS16_E_NS1_11comp_targetILNS1_3genE9ELNS1_11target_archE1100ELNS1_3gpuE3ELNS1_3repE0EEENS1_30default_config_static_selectorELNS0_4arch9wavefront6targetE0EEEvT1_.num_agpr, 0
	.set _ZN7rocprim17ROCPRIM_400000_NS6detail17trampoline_kernelINS0_14default_configENS1_25partition_config_selectorILNS1_17partition_subalgoE6EjNS0_10empty_typeEbEEZZNS1_14partition_implILS5_6ELb0ES3_mN6thrust23THRUST_200600_302600_NS6detail15normal_iteratorINSA_10device_ptrIjEEEEPS6_SG_NS0_5tupleIJNSA_16discard_iteratorINSA_11use_defaultEEES6_EEENSH_IJSG_SG_EEES6_PlJNSB_9not_fun_tINSB_14equal_to_valueIjEEEEEEE10hipError_tPvRmT3_T4_T5_T6_T7_T9_mT8_P12ihipStream_tbDpT10_ENKUlT_T0_E_clISt17integral_constantIbLb1EES1A_IbLb0EEEEDaS16_S17_EUlS16_E_NS1_11comp_targetILNS1_3genE9ELNS1_11target_archE1100ELNS1_3gpuE3ELNS1_3repE0EEENS1_30default_config_static_selectorELNS0_4arch9wavefront6targetE0EEEvT1_.numbered_sgpr, 0
	.set _ZN7rocprim17ROCPRIM_400000_NS6detail17trampoline_kernelINS0_14default_configENS1_25partition_config_selectorILNS1_17partition_subalgoE6EjNS0_10empty_typeEbEEZZNS1_14partition_implILS5_6ELb0ES3_mN6thrust23THRUST_200600_302600_NS6detail15normal_iteratorINSA_10device_ptrIjEEEEPS6_SG_NS0_5tupleIJNSA_16discard_iteratorINSA_11use_defaultEEES6_EEENSH_IJSG_SG_EEES6_PlJNSB_9not_fun_tINSB_14equal_to_valueIjEEEEEEE10hipError_tPvRmT3_T4_T5_T6_T7_T9_mT8_P12ihipStream_tbDpT10_ENKUlT_T0_E_clISt17integral_constantIbLb1EES1A_IbLb0EEEEDaS16_S17_EUlS16_E_NS1_11comp_targetILNS1_3genE9ELNS1_11target_archE1100ELNS1_3gpuE3ELNS1_3repE0EEENS1_30default_config_static_selectorELNS0_4arch9wavefront6targetE0EEEvT1_.num_named_barrier, 0
	.set _ZN7rocprim17ROCPRIM_400000_NS6detail17trampoline_kernelINS0_14default_configENS1_25partition_config_selectorILNS1_17partition_subalgoE6EjNS0_10empty_typeEbEEZZNS1_14partition_implILS5_6ELb0ES3_mN6thrust23THRUST_200600_302600_NS6detail15normal_iteratorINSA_10device_ptrIjEEEEPS6_SG_NS0_5tupleIJNSA_16discard_iteratorINSA_11use_defaultEEES6_EEENSH_IJSG_SG_EEES6_PlJNSB_9not_fun_tINSB_14equal_to_valueIjEEEEEEE10hipError_tPvRmT3_T4_T5_T6_T7_T9_mT8_P12ihipStream_tbDpT10_ENKUlT_T0_E_clISt17integral_constantIbLb1EES1A_IbLb0EEEEDaS16_S17_EUlS16_E_NS1_11comp_targetILNS1_3genE9ELNS1_11target_archE1100ELNS1_3gpuE3ELNS1_3repE0EEENS1_30default_config_static_selectorELNS0_4arch9wavefront6targetE0EEEvT1_.private_seg_size, 0
	.set _ZN7rocprim17ROCPRIM_400000_NS6detail17trampoline_kernelINS0_14default_configENS1_25partition_config_selectorILNS1_17partition_subalgoE6EjNS0_10empty_typeEbEEZZNS1_14partition_implILS5_6ELb0ES3_mN6thrust23THRUST_200600_302600_NS6detail15normal_iteratorINSA_10device_ptrIjEEEEPS6_SG_NS0_5tupleIJNSA_16discard_iteratorINSA_11use_defaultEEES6_EEENSH_IJSG_SG_EEES6_PlJNSB_9not_fun_tINSB_14equal_to_valueIjEEEEEEE10hipError_tPvRmT3_T4_T5_T6_T7_T9_mT8_P12ihipStream_tbDpT10_ENKUlT_T0_E_clISt17integral_constantIbLb1EES1A_IbLb0EEEEDaS16_S17_EUlS16_E_NS1_11comp_targetILNS1_3genE9ELNS1_11target_archE1100ELNS1_3gpuE3ELNS1_3repE0EEENS1_30default_config_static_selectorELNS0_4arch9wavefront6targetE0EEEvT1_.uses_vcc, 0
	.set _ZN7rocprim17ROCPRIM_400000_NS6detail17trampoline_kernelINS0_14default_configENS1_25partition_config_selectorILNS1_17partition_subalgoE6EjNS0_10empty_typeEbEEZZNS1_14partition_implILS5_6ELb0ES3_mN6thrust23THRUST_200600_302600_NS6detail15normal_iteratorINSA_10device_ptrIjEEEEPS6_SG_NS0_5tupleIJNSA_16discard_iteratorINSA_11use_defaultEEES6_EEENSH_IJSG_SG_EEES6_PlJNSB_9not_fun_tINSB_14equal_to_valueIjEEEEEEE10hipError_tPvRmT3_T4_T5_T6_T7_T9_mT8_P12ihipStream_tbDpT10_ENKUlT_T0_E_clISt17integral_constantIbLb1EES1A_IbLb0EEEEDaS16_S17_EUlS16_E_NS1_11comp_targetILNS1_3genE9ELNS1_11target_archE1100ELNS1_3gpuE3ELNS1_3repE0EEENS1_30default_config_static_selectorELNS0_4arch9wavefront6targetE0EEEvT1_.uses_flat_scratch, 0
	.set _ZN7rocprim17ROCPRIM_400000_NS6detail17trampoline_kernelINS0_14default_configENS1_25partition_config_selectorILNS1_17partition_subalgoE6EjNS0_10empty_typeEbEEZZNS1_14partition_implILS5_6ELb0ES3_mN6thrust23THRUST_200600_302600_NS6detail15normal_iteratorINSA_10device_ptrIjEEEEPS6_SG_NS0_5tupleIJNSA_16discard_iteratorINSA_11use_defaultEEES6_EEENSH_IJSG_SG_EEES6_PlJNSB_9not_fun_tINSB_14equal_to_valueIjEEEEEEE10hipError_tPvRmT3_T4_T5_T6_T7_T9_mT8_P12ihipStream_tbDpT10_ENKUlT_T0_E_clISt17integral_constantIbLb1EES1A_IbLb0EEEEDaS16_S17_EUlS16_E_NS1_11comp_targetILNS1_3genE9ELNS1_11target_archE1100ELNS1_3gpuE3ELNS1_3repE0EEENS1_30default_config_static_selectorELNS0_4arch9wavefront6targetE0EEEvT1_.has_dyn_sized_stack, 0
	.set _ZN7rocprim17ROCPRIM_400000_NS6detail17trampoline_kernelINS0_14default_configENS1_25partition_config_selectorILNS1_17partition_subalgoE6EjNS0_10empty_typeEbEEZZNS1_14partition_implILS5_6ELb0ES3_mN6thrust23THRUST_200600_302600_NS6detail15normal_iteratorINSA_10device_ptrIjEEEEPS6_SG_NS0_5tupleIJNSA_16discard_iteratorINSA_11use_defaultEEES6_EEENSH_IJSG_SG_EEES6_PlJNSB_9not_fun_tINSB_14equal_to_valueIjEEEEEEE10hipError_tPvRmT3_T4_T5_T6_T7_T9_mT8_P12ihipStream_tbDpT10_ENKUlT_T0_E_clISt17integral_constantIbLb1EES1A_IbLb0EEEEDaS16_S17_EUlS16_E_NS1_11comp_targetILNS1_3genE9ELNS1_11target_archE1100ELNS1_3gpuE3ELNS1_3repE0EEENS1_30default_config_static_selectorELNS0_4arch9wavefront6targetE0EEEvT1_.has_recursion, 0
	.set _ZN7rocprim17ROCPRIM_400000_NS6detail17trampoline_kernelINS0_14default_configENS1_25partition_config_selectorILNS1_17partition_subalgoE6EjNS0_10empty_typeEbEEZZNS1_14partition_implILS5_6ELb0ES3_mN6thrust23THRUST_200600_302600_NS6detail15normal_iteratorINSA_10device_ptrIjEEEEPS6_SG_NS0_5tupleIJNSA_16discard_iteratorINSA_11use_defaultEEES6_EEENSH_IJSG_SG_EEES6_PlJNSB_9not_fun_tINSB_14equal_to_valueIjEEEEEEE10hipError_tPvRmT3_T4_T5_T6_T7_T9_mT8_P12ihipStream_tbDpT10_ENKUlT_T0_E_clISt17integral_constantIbLb1EES1A_IbLb0EEEEDaS16_S17_EUlS16_E_NS1_11comp_targetILNS1_3genE9ELNS1_11target_archE1100ELNS1_3gpuE3ELNS1_3repE0EEENS1_30default_config_static_selectorELNS0_4arch9wavefront6targetE0EEEvT1_.has_indirect_call, 0
	.section	.AMDGPU.csdata,"",@progbits
; Kernel info:
; codeLenInByte = 0
; TotalNumSgprs: 0
; NumVgprs: 0
; ScratchSize: 0
; MemoryBound: 0
; FloatMode: 240
; IeeeMode: 1
; LDSByteSize: 0 bytes/workgroup (compile time only)
; SGPRBlocks: 0
; VGPRBlocks: 0
; NumSGPRsForWavesPerEU: 1
; NumVGPRsForWavesPerEU: 1
; Occupancy: 16
; WaveLimiterHint : 0
; COMPUTE_PGM_RSRC2:SCRATCH_EN: 0
; COMPUTE_PGM_RSRC2:USER_SGPR: 2
; COMPUTE_PGM_RSRC2:TRAP_HANDLER: 0
; COMPUTE_PGM_RSRC2:TGID_X_EN: 1
; COMPUTE_PGM_RSRC2:TGID_Y_EN: 0
; COMPUTE_PGM_RSRC2:TGID_Z_EN: 0
; COMPUTE_PGM_RSRC2:TIDIG_COMP_CNT: 0
	.section	.text._ZN7rocprim17ROCPRIM_400000_NS6detail17trampoline_kernelINS0_14default_configENS1_25partition_config_selectorILNS1_17partition_subalgoE6EjNS0_10empty_typeEbEEZZNS1_14partition_implILS5_6ELb0ES3_mN6thrust23THRUST_200600_302600_NS6detail15normal_iteratorINSA_10device_ptrIjEEEEPS6_SG_NS0_5tupleIJNSA_16discard_iteratorINSA_11use_defaultEEES6_EEENSH_IJSG_SG_EEES6_PlJNSB_9not_fun_tINSB_14equal_to_valueIjEEEEEEE10hipError_tPvRmT3_T4_T5_T6_T7_T9_mT8_P12ihipStream_tbDpT10_ENKUlT_T0_E_clISt17integral_constantIbLb1EES1A_IbLb0EEEEDaS16_S17_EUlS16_E_NS1_11comp_targetILNS1_3genE8ELNS1_11target_archE1030ELNS1_3gpuE2ELNS1_3repE0EEENS1_30default_config_static_selectorELNS0_4arch9wavefront6targetE0EEEvT1_,"axG",@progbits,_ZN7rocprim17ROCPRIM_400000_NS6detail17trampoline_kernelINS0_14default_configENS1_25partition_config_selectorILNS1_17partition_subalgoE6EjNS0_10empty_typeEbEEZZNS1_14partition_implILS5_6ELb0ES3_mN6thrust23THRUST_200600_302600_NS6detail15normal_iteratorINSA_10device_ptrIjEEEEPS6_SG_NS0_5tupleIJNSA_16discard_iteratorINSA_11use_defaultEEES6_EEENSH_IJSG_SG_EEES6_PlJNSB_9not_fun_tINSB_14equal_to_valueIjEEEEEEE10hipError_tPvRmT3_T4_T5_T6_T7_T9_mT8_P12ihipStream_tbDpT10_ENKUlT_T0_E_clISt17integral_constantIbLb1EES1A_IbLb0EEEEDaS16_S17_EUlS16_E_NS1_11comp_targetILNS1_3genE8ELNS1_11target_archE1030ELNS1_3gpuE2ELNS1_3repE0EEENS1_30default_config_static_selectorELNS0_4arch9wavefront6targetE0EEEvT1_,comdat
	.protected	_ZN7rocprim17ROCPRIM_400000_NS6detail17trampoline_kernelINS0_14default_configENS1_25partition_config_selectorILNS1_17partition_subalgoE6EjNS0_10empty_typeEbEEZZNS1_14partition_implILS5_6ELb0ES3_mN6thrust23THRUST_200600_302600_NS6detail15normal_iteratorINSA_10device_ptrIjEEEEPS6_SG_NS0_5tupleIJNSA_16discard_iteratorINSA_11use_defaultEEES6_EEENSH_IJSG_SG_EEES6_PlJNSB_9not_fun_tINSB_14equal_to_valueIjEEEEEEE10hipError_tPvRmT3_T4_T5_T6_T7_T9_mT8_P12ihipStream_tbDpT10_ENKUlT_T0_E_clISt17integral_constantIbLb1EES1A_IbLb0EEEEDaS16_S17_EUlS16_E_NS1_11comp_targetILNS1_3genE8ELNS1_11target_archE1030ELNS1_3gpuE2ELNS1_3repE0EEENS1_30default_config_static_selectorELNS0_4arch9wavefront6targetE0EEEvT1_ ; -- Begin function _ZN7rocprim17ROCPRIM_400000_NS6detail17trampoline_kernelINS0_14default_configENS1_25partition_config_selectorILNS1_17partition_subalgoE6EjNS0_10empty_typeEbEEZZNS1_14partition_implILS5_6ELb0ES3_mN6thrust23THRUST_200600_302600_NS6detail15normal_iteratorINSA_10device_ptrIjEEEEPS6_SG_NS0_5tupleIJNSA_16discard_iteratorINSA_11use_defaultEEES6_EEENSH_IJSG_SG_EEES6_PlJNSB_9not_fun_tINSB_14equal_to_valueIjEEEEEEE10hipError_tPvRmT3_T4_T5_T6_T7_T9_mT8_P12ihipStream_tbDpT10_ENKUlT_T0_E_clISt17integral_constantIbLb1EES1A_IbLb0EEEEDaS16_S17_EUlS16_E_NS1_11comp_targetILNS1_3genE8ELNS1_11target_archE1030ELNS1_3gpuE2ELNS1_3repE0EEENS1_30default_config_static_selectorELNS0_4arch9wavefront6targetE0EEEvT1_
	.globl	_ZN7rocprim17ROCPRIM_400000_NS6detail17trampoline_kernelINS0_14default_configENS1_25partition_config_selectorILNS1_17partition_subalgoE6EjNS0_10empty_typeEbEEZZNS1_14partition_implILS5_6ELb0ES3_mN6thrust23THRUST_200600_302600_NS6detail15normal_iteratorINSA_10device_ptrIjEEEEPS6_SG_NS0_5tupleIJNSA_16discard_iteratorINSA_11use_defaultEEES6_EEENSH_IJSG_SG_EEES6_PlJNSB_9not_fun_tINSB_14equal_to_valueIjEEEEEEE10hipError_tPvRmT3_T4_T5_T6_T7_T9_mT8_P12ihipStream_tbDpT10_ENKUlT_T0_E_clISt17integral_constantIbLb1EES1A_IbLb0EEEEDaS16_S17_EUlS16_E_NS1_11comp_targetILNS1_3genE8ELNS1_11target_archE1030ELNS1_3gpuE2ELNS1_3repE0EEENS1_30default_config_static_selectorELNS0_4arch9wavefront6targetE0EEEvT1_
	.p2align	8
	.type	_ZN7rocprim17ROCPRIM_400000_NS6detail17trampoline_kernelINS0_14default_configENS1_25partition_config_selectorILNS1_17partition_subalgoE6EjNS0_10empty_typeEbEEZZNS1_14partition_implILS5_6ELb0ES3_mN6thrust23THRUST_200600_302600_NS6detail15normal_iteratorINSA_10device_ptrIjEEEEPS6_SG_NS0_5tupleIJNSA_16discard_iteratorINSA_11use_defaultEEES6_EEENSH_IJSG_SG_EEES6_PlJNSB_9not_fun_tINSB_14equal_to_valueIjEEEEEEE10hipError_tPvRmT3_T4_T5_T6_T7_T9_mT8_P12ihipStream_tbDpT10_ENKUlT_T0_E_clISt17integral_constantIbLb1EES1A_IbLb0EEEEDaS16_S17_EUlS16_E_NS1_11comp_targetILNS1_3genE8ELNS1_11target_archE1030ELNS1_3gpuE2ELNS1_3repE0EEENS1_30default_config_static_selectorELNS0_4arch9wavefront6targetE0EEEvT1_,@function
_ZN7rocprim17ROCPRIM_400000_NS6detail17trampoline_kernelINS0_14default_configENS1_25partition_config_selectorILNS1_17partition_subalgoE6EjNS0_10empty_typeEbEEZZNS1_14partition_implILS5_6ELb0ES3_mN6thrust23THRUST_200600_302600_NS6detail15normal_iteratorINSA_10device_ptrIjEEEEPS6_SG_NS0_5tupleIJNSA_16discard_iteratorINSA_11use_defaultEEES6_EEENSH_IJSG_SG_EEES6_PlJNSB_9not_fun_tINSB_14equal_to_valueIjEEEEEEE10hipError_tPvRmT3_T4_T5_T6_T7_T9_mT8_P12ihipStream_tbDpT10_ENKUlT_T0_E_clISt17integral_constantIbLb1EES1A_IbLb0EEEEDaS16_S17_EUlS16_E_NS1_11comp_targetILNS1_3genE8ELNS1_11target_archE1030ELNS1_3gpuE2ELNS1_3repE0EEENS1_30default_config_static_selectorELNS0_4arch9wavefront6targetE0EEEvT1_: ; @_ZN7rocprim17ROCPRIM_400000_NS6detail17trampoline_kernelINS0_14default_configENS1_25partition_config_selectorILNS1_17partition_subalgoE6EjNS0_10empty_typeEbEEZZNS1_14partition_implILS5_6ELb0ES3_mN6thrust23THRUST_200600_302600_NS6detail15normal_iteratorINSA_10device_ptrIjEEEEPS6_SG_NS0_5tupleIJNSA_16discard_iteratorINSA_11use_defaultEEES6_EEENSH_IJSG_SG_EEES6_PlJNSB_9not_fun_tINSB_14equal_to_valueIjEEEEEEE10hipError_tPvRmT3_T4_T5_T6_T7_T9_mT8_P12ihipStream_tbDpT10_ENKUlT_T0_E_clISt17integral_constantIbLb1EES1A_IbLb0EEEEDaS16_S17_EUlS16_E_NS1_11comp_targetILNS1_3genE8ELNS1_11target_archE1030ELNS1_3gpuE2ELNS1_3repE0EEENS1_30default_config_static_selectorELNS0_4arch9wavefront6targetE0EEEvT1_
; %bb.0:
	.section	.rodata,"a",@progbits
	.p2align	6, 0x0
	.amdhsa_kernel _ZN7rocprim17ROCPRIM_400000_NS6detail17trampoline_kernelINS0_14default_configENS1_25partition_config_selectorILNS1_17partition_subalgoE6EjNS0_10empty_typeEbEEZZNS1_14partition_implILS5_6ELb0ES3_mN6thrust23THRUST_200600_302600_NS6detail15normal_iteratorINSA_10device_ptrIjEEEEPS6_SG_NS0_5tupleIJNSA_16discard_iteratorINSA_11use_defaultEEES6_EEENSH_IJSG_SG_EEES6_PlJNSB_9not_fun_tINSB_14equal_to_valueIjEEEEEEE10hipError_tPvRmT3_T4_T5_T6_T7_T9_mT8_P12ihipStream_tbDpT10_ENKUlT_T0_E_clISt17integral_constantIbLb1EES1A_IbLb0EEEEDaS16_S17_EUlS16_E_NS1_11comp_targetILNS1_3genE8ELNS1_11target_archE1030ELNS1_3gpuE2ELNS1_3repE0EEENS1_30default_config_static_selectorELNS0_4arch9wavefront6targetE0EEEvT1_
		.amdhsa_group_segment_fixed_size 0
		.amdhsa_private_segment_fixed_size 0
		.amdhsa_kernarg_size 128
		.amdhsa_user_sgpr_count 2
		.amdhsa_user_sgpr_dispatch_ptr 0
		.amdhsa_user_sgpr_queue_ptr 0
		.amdhsa_user_sgpr_kernarg_segment_ptr 1
		.amdhsa_user_sgpr_dispatch_id 0
		.amdhsa_user_sgpr_private_segment_size 0
		.amdhsa_wavefront_size32 1
		.amdhsa_uses_dynamic_stack 0
		.amdhsa_enable_private_segment 0
		.amdhsa_system_sgpr_workgroup_id_x 1
		.amdhsa_system_sgpr_workgroup_id_y 0
		.amdhsa_system_sgpr_workgroup_id_z 0
		.amdhsa_system_sgpr_workgroup_info 0
		.amdhsa_system_vgpr_workitem_id 0
		.amdhsa_next_free_vgpr 1
		.amdhsa_next_free_sgpr 1
		.amdhsa_reserve_vcc 0
		.amdhsa_float_round_mode_32 0
		.amdhsa_float_round_mode_16_64 0
		.amdhsa_float_denorm_mode_32 3
		.amdhsa_float_denorm_mode_16_64 3
		.amdhsa_fp16_overflow 0
		.amdhsa_workgroup_processor_mode 1
		.amdhsa_memory_ordered 1
		.amdhsa_forward_progress 1
		.amdhsa_inst_pref_size 0
		.amdhsa_round_robin_scheduling 0
		.amdhsa_exception_fp_ieee_invalid_op 0
		.amdhsa_exception_fp_denorm_src 0
		.amdhsa_exception_fp_ieee_div_zero 0
		.amdhsa_exception_fp_ieee_overflow 0
		.amdhsa_exception_fp_ieee_underflow 0
		.amdhsa_exception_fp_ieee_inexact 0
		.amdhsa_exception_int_div_zero 0
	.end_amdhsa_kernel
	.section	.text._ZN7rocprim17ROCPRIM_400000_NS6detail17trampoline_kernelINS0_14default_configENS1_25partition_config_selectorILNS1_17partition_subalgoE6EjNS0_10empty_typeEbEEZZNS1_14partition_implILS5_6ELb0ES3_mN6thrust23THRUST_200600_302600_NS6detail15normal_iteratorINSA_10device_ptrIjEEEEPS6_SG_NS0_5tupleIJNSA_16discard_iteratorINSA_11use_defaultEEES6_EEENSH_IJSG_SG_EEES6_PlJNSB_9not_fun_tINSB_14equal_to_valueIjEEEEEEE10hipError_tPvRmT3_T4_T5_T6_T7_T9_mT8_P12ihipStream_tbDpT10_ENKUlT_T0_E_clISt17integral_constantIbLb1EES1A_IbLb0EEEEDaS16_S17_EUlS16_E_NS1_11comp_targetILNS1_3genE8ELNS1_11target_archE1030ELNS1_3gpuE2ELNS1_3repE0EEENS1_30default_config_static_selectorELNS0_4arch9wavefront6targetE0EEEvT1_,"axG",@progbits,_ZN7rocprim17ROCPRIM_400000_NS6detail17trampoline_kernelINS0_14default_configENS1_25partition_config_selectorILNS1_17partition_subalgoE6EjNS0_10empty_typeEbEEZZNS1_14partition_implILS5_6ELb0ES3_mN6thrust23THRUST_200600_302600_NS6detail15normal_iteratorINSA_10device_ptrIjEEEEPS6_SG_NS0_5tupleIJNSA_16discard_iteratorINSA_11use_defaultEEES6_EEENSH_IJSG_SG_EEES6_PlJNSB_9not_fun_tINSB_14equal_to_valueIjEEEEEEE10hipError_tPvRmT3_T4_T5_T6_T7_T9_mT8_P12ihipStream_tbDpT10_ENKUlT_T0_E_clISt17integral_constantIbLb1EES1A_IbLb0EEEEDaS16_S17_EUlS16_E_NS1_11comp_targetILNS1_3genE8ELNS1_11target_archE1030ELNS1_3gpuE2ELNS1_3repE0EEENS1_30default_config_static_selectorELNS0_4arch9wavefront6targetE0EEEvT1_,comdat
.Lfunc_end1684:
	.size	_ZN7rocprim17ROCPRIM_400000_NS6detail17trampoline_kernelINS0_14default_configENS1_25partition_config_selectorILNS1_17partition_subalgoE6EjNS0_10empty_typeEbEEZZNS1_14partition_implILS5_6ELb0ES3_mN6thrust23THRUST_200600_302600_NS6detail15normal_iteratorINSA_10device_ptrIjEEEEPS6_SG_NS0_5tupleIJNSA_16discard_iteratorINSA_11use_defaultEEES6_EEENSH_IJSG_SG_EEES6_PlJNSB_9not_fun_tINSB_14equal_to_valueIjEEEEEEE10hipError_tPvRmT3_T4_T5_T6_T7_T9_mT8_P12ihipStream_tbDpT10_ENKUlT_T0_E_clISt17integral_constantIbLb1EES1A_IbLb0EEEEDaS16_S17_EUlS16_E_NS1_11comp_targetILNS1_3genE8ELNS1_11target_archE1030ELNS1_3gpuE2ELNS1_3repE0EEENS1_30default_config_static_selectorELNS0_4arch9wavefront6targetE0EEEvT1_, .Lfunc_end1684-_ZN7rocprim17ROCPRIM_400000_NS6detail17trampoline_kernelINS0_14default_configENS1_25partition_config_selectorILNS1_17partition_subalgoE6EjNS0_10empty_typeEbEEZZNS1_14partition_implILS5_6ELb0ES3_mN6thrust23THRUST_200600_302600_NS6detail15normal_iteratorINSA_10device_ptrIjEEEEPS6_SG_NS0_5tupleIJNSA_16discard_iteratorINSA_11use_defaultEEES6_EEENSH_IJSG_SG_EEES6_PlJNSB_9not_fun_tINSB_14equal_to_valueIjEEEEEEE10hipError_tPvRmT3_T4_T5_T6_T7_T9_mT8_P12ihipStream_tbDpT10_ENKUlT_T0_E_clISt17integral_constantIbLb1EES1A_IbLb0EEEEDaS16_S17_EUlS16_E_NS1_11comp_targetILNS1_3genE8ELNS1_11target_archE1030ELNS1_3gpuE2ELNS1_3repE0EEENS1_30default_config_static_selectorELNS0_4arch9wavefront6targetE0EEEvT1_
                                        ; -- End function
	.set _ZN7rocprim17ROCPRIM_400000_NS6detail17trampoline_kernelINS0_14default_configENS1_25partition_config_selectorILNS1_17partition_subalgoE6EjNS0_10empty_typeEbEEZZNS1_14partition_implILS5_6ELb0ES3_mN6thrust23THRUST_200600_302600_NS6detail15normal_iteratorINSA_10device_ptrIjEEEEPS6_SG_NS0_5tupleIJNSA_16discard_iteratorINSA_11use_defaultEEES6_EEENSH_IJSG_SG_EEES6_PlJNSB_9not_fun_tINSB_14equal_to_valueIjEEEEEEE10hipError_tPvRmT3_T4_T5_T6_T7_T9_mT8_P12ihipStream_tbDpT10_ENKUlT_T0_E_clISt17integral_constantIbLb1EES1A_IbLb0EEEEDaS16_S17_EUlS16_E_NS1_11comp_targetILNS1_3genE8ELNS1_11target_archE1030ELNS1_3gpuE2ELNS1_3repE0EEENS1_30default_config_static_selectorELNS0_4arch9wavefront6targetE0EEEvT1_.num_vgpr, 0
	.set _ZN7rocprim17ROCPRIM_400000_NS6detail17trampoline_kernelINS0_14default_configENS1_25partition_config_selectorILNS1_17partition_subalgoE6EjNS0_10empty_typeEbEEZZNS1_14partition_implILS5_6ELb0ES3_mN6thrust23THRUST_200600_302600_NS6detail15normal_iteratorINSA_10device_ptrIjEEEEPS6_SG_NS0_5tupleIJNSA_16discard_iteratorINSA_11use_defaultEEES6_EEENSH_IJSG_SG_EEES6_PlJNSB_9not_fun_tINSB_14equal_to_valueIjEEEEEEE10hipError_tPvRmT3_T4_T5_T6_T7_T9_mT8_P12ihipStream_tbDpT10_ENKUlT_T0_E_clISt17integral_constantIbLb1EES1A_IbLb0EEEEDaS16_S17_EUlS16_E_NS1_11comp_targetILNS1_3genE8ELNS1_11target_archE1030ELNS1_3gpuE2ELNS1_3repE0EEENS1_30default_config_static_selectorELNS0_4arch9wavefront6targetE0EEEvT1_.num_agpr, 0
	.set _ZN7rocprim17ROCPRIM_400000_NS6detail17trampoline_kernelINS0_14default_configENS1_25partition_config_selectorILNS1_17partition_subalgoE6EjNS0_10empty_typeEbEEZZNS1_14partition_implILS5_6ELb0ES3_mN6thrust23THRUST_200600_302600_NS6detail15normal_iteratorINSA_10device_ptrIjEEEEPS6_SG_NS0_5tupleIJNSA_16discard_iteratorINSA_11use_defaultEEES6_EEENSH_IJSG_SG_EEES6_PlJNSB_9not_fun_tINSB_14equal_to_valueIjEEEEEEE10hipError_tPvRmT3_T4_T5_T6_T7_T9_mT8_P12ihipStream_tbDpT10_ENKUlT_T0_E_clISt17integral_constantIbLb1EES1A_IbLb0EEEEDaS16_S17_EUlS16_E_NS1_11comp_targetILNS1_3genE8ELNS1_11target_archE1030ELNS1_3gpuE2ELNS1_3repE0EEENS1_30default_config_static_selectorELNS0_4arch9wavefront6targetE0EEEvT1_.numbered_sgpr, 0
	.set _ZN7rocprim17ROCPRIM_400000_NS6detail17trampoline_kernelINS0_14default_configENS1_25partition_config_selectorILNS1_17partition_subalgoE6EjNS0_10empty_typeEbEEZZNS1_14partition_implILS5_6ELb0ES3_mN6thrust23THRUST_200600_302600_NS6detail15normal_iteratorINSA_10device_ptrIjEEEEPS6_SG_NS0_5tupleIJNSA_16discard_iteratorINSA_11use_defaultEEES6_EEENSH_IJSG_SG_EEES6_PlJNSB_9not_fun_tINSB_14equal_to_valueIjEEEEEEE10hipError_tPvRmT3_T4_T5_T6_T7_T9_mT8_P12ihipStream_tbDpT10_ENKUlT_T0_E_clISt17integral_constantIbLb1EES1A_IbLb0EEEEDaS16_S17_EUlS16_E_NS1_11comp_targetILNS1_3genE8ELNS1_11target_archE1030ELNS1_3gpuE2ELNS1_3repE0EEENS1_30default_config_static_selectorELNS0_4arch9wavefront6targetE0EEEvT1_.num_named_barrier, 0
	.set _ZN7rocprim17ROCPRIM_400000_NS6detail17trampoline_kernelINS0_14default_configENS1_25partition_config_selectorILNS1_17partition_subalgoE6EjNS0_10empty_typeEbEEZZNS1_14partition_implILS5_6ELb0ES3_mN6thrust23THRUST_200600_302600_NS6detail15normal_iteratorINSA_10device_ptrIjEEEEPS6_SG_NS0_5tupleIJNSA_16discard_iteratorINSA_11use_defaultEEES6_EEENSH_IJSG_SG_EEES6_PlJNSB_9not_fun_tINSB_14equal_to_valueIjEEEEEEE10hipError_tPvRmT3_T4_T5_T6_T7_T9_mT8_P12ihipStream_tbDpT10_ENKUlT_T0_E_clISt17integral_constantIbLb1EES1A_IbLb0EEEEDaS16_S17_EUlS16_E_NS1_11comp_targetILNS1_3genE8ELNS1_11target_archE1030ELNS1_3gpuE2ELNS1_3repE0EEENS1_30default_config_static_selectorELNS0_4arch9wavefront6targetE0EEEvT1_.private_seg_size, 0
	.set _ZN7rocprim17ROCPRIM_400000_NS6detail17trampoline_kernelINS0_14default_configENS1_25partition_config_selectorILNS1_17partition_subalgoE6EjNS0_10empty_typeEbEEZZNS1_14partition_implILS5_6ELb0ES3_mN6thrust23THRUST_200600_302600_NS6detail15normal_iteratorINSA_10device_ptrIjEEEEPS6_SG_NS0_5tupleIJNSA_16discard_iteratorINSA_11use_defaultEEES6_EEENSH_IJSG_SG_EEES6_PlJNSB_9not_fun_tINSB_14equal_to_valueIjEEEEEEE10hipError_tPvRmT3_T4_T5_T6_T7_T9_mT8_P12ihipStream_tbDpT10_ENKUlT_T0_E_clISt17integral_constantIbLb1EES1A_IbLb0EEEEDaS16_S17_EUlS16_E_NS1_11comp_targetILNS1_3genE8ELNS1_11target_archE1030ELNS1_3gpuE2ELNS1_3repE0EEENS1_30default_config_static_selectorELNS0_4arch9wavefront6targetE0EEEvT1_.uses_vcc, 0
	.set _ZN7rocprim17ROCPRIM_400000_NS6detail17trampoline_kernelINS0_14default_configENS1_25partition_config_selectorILNS1_17partition_subalgoE6EjNS0_10empty_typeEbEEZZNS1_14partition_implILS5_6ELb0ES3_mN6thrust23THRUST_200600_302600_NS6detail15normal_iteratorINSA_10device_ptrIjEEEEPS6_SG_NS0_5tupleIJNSA_16discard_iteratorINSA_11use_defaultEEES6_EEENSH_IJSG_SG_EEES6_PlJNSB_9not_fun_tINSB_14equal_to_valueIjEEEEEEE10hipError_tPvRmT3_T4_T5_T6_T7_T9_mT8_P12ihipStream_tbDpT10_ENKUlT_T0_E_clISt17integral_constantIbLb1EES1A_IbLb0EEEEDaS16_S17_EUlS16_E_NS1_11comp_targetILNS1_3genE8ELNS1_11target_archE1030ELNS1_3gpuE2ELNS1_3repE0EEENS1_30default_config_static_selectorELNS0_4arch9wavefront6targetE0EEEvT1_.uses_flat_scratch, 0
	.set _ZN7rocprim17ROCPRIM_400000_NS6detail17trampoline_kernelINS0_14default_configENS1_25partition_config_selectorILNS1_17partition_subalgoE6EjNS0_10empty_typeEbEEZZNS1_14partition_implILS5_6ELb0ES3_mN6thrust23THRUST_200600_302600_NS6detail15normal_iteratorINSA_10device_ptrIjEEEEPS6_SG_NS0_5tupleIJNSA_16discard_iteratorINSA_11use_defaultEEES6_EEENSH_IJSG_SG_EEES6_PlJNSB_9not_fun_tINSB_14equal_to_valueIjEEEEEEE10hipError_tPvRmT3_T4_T5_T6_T7_T9_mT8_P12ihipStream_tbDpT10_ENKUlT_T0_E_clISt17integral_constantIbLb1EES1A_IbLb0EEEEDaS16_S17_EUlS16_E_NS1_11comp_targetILNS1_3genE8ELNS1_11target_archE1030ELNS1_3gpuE2ELNS1_3repE0EEENS1_30default_config_static_selectorELNS0_4arch9wavefront6targetE0EEEvT1_.has_dyn_sized_stack, 0
	.set _ZN7rocprim17ROCPRIM_400000_NS6detail17trampoline_kernelINS0_14default_configENS1_25partition_config_selectorILNS1_17partition_subalgoE6EjNS0_10empty_typeEbEEZZNS1_14partition_implILS5_6ELb0ES3_mN6thrust23THRUST_200600_302600_NS6detail15normal_iteratorINSA_10device_ptrIjEEEEPS6_SG_NS0_5tupleIJNSA_16discard_iteratorINSA_11use_defaultEEES6_EEENSH_IJSG_SG_EEES6_PlJNSB_9not_fun_tINSB_14equal_to_valueIjEEEEEEE10hipError_tPvRmT3_T4_T5_T6_T7_T9_mT8_P12ihipStream_tbDpT10_ENKUlT_T0_E_clISt17integral_constantIbLb1EES1A_IbLb0EEEEDaS16_S17_EUlS16_E_NS1_11comp_targetILNS1_3genE8ELNS1_11target_archE1030ELNS1_3gpuE2ELNS1_3repE0EEENS1_30default_config_static_selectorELNS0_4arch9wavefront6targetE0EEEvT1_.has_recursion, 0
	.set _ZN7rocprim17ROCPRIM_400000_NS6detail17trampoline_kernelINS0_14default_configENS1_25partition_config_selectorILNS1_17partition_subalgoE6EjNS0_10empty_typeEbEEZZNS1_14partition_implILS5_6ELb0ES3_mN6thrust23THRUST_200600_302600_NS6detail15normal_iteratorINSA_10device_ptrIjEEEEPS6_SG_NS0_5tupleIJNSA_16discard_iteratorINSA_11use_defaultEEES6_EEENSH_IJSG_SG_EEES6_PlJNSB_9not_fun_tINSB_14equal_to_valueIjEEEEEEE10hipError_tPvRmT3_T4_T5_T6_T7_T9_mT8_P12ihipStream_tbDpT10_ENKUlT_T0_E_clISt17integral_constantIbLb1EES1A_IbLb0EEEEDaS16_S17_EUlS16_E_NS1_11comp_targetILNS1_3genE8ELNS1_11target_archE1030ELNS1_3gpuE2ELNS1_3repE0EEENS1_30default_config_static_selectorELNS0_4arch9wavefront6targetE0EEEvT1_.has_indirect_call, 0
	.section	.AMDGPU.csdata,"",@progbits
; Kernel info:
; codeLenInByte = 0
; TotalNumSgprs: 0
; NumVgprs: 0
; ScratchSize: 0
; MemoryBound: 0
; FloatMode: 240
; IeeeMode: 1
; LDSByteSize: 0 bytes/workgroup (compile time only)
; SGPRBlocks: 0
; VGPRBlocks: 0
; NumSGPRsForWavesPerEU: 1
; NumVGPRsForWavesPerEU: 1
; Occupancy: 16
; WaveLimiterHint : 0
; COMPUTE_PGM_RSRC2:SCRATCH_EN: 0
; COMPUTE_PGM_RSRC2:USER_SGPR: 2
; COMPUTE_PGM_RSRC2:TRAP_HANDLER: 0
; COMPUTE_PGM_RSRC2:TGID_X_EN: 1
; COMPUTE_PGM_RSRC2:TGID_Y_EN: 0
; COMPUTE_PGM_RSRC2:TGID_Z_EN: 0
; COMPUTE_PGM_RSRC2:TIDIG_COMP_CNT: 0
	.section	.text._ZN7rocprim17ROCPRIM_400000_NS6detail17trampoline_kernelINS0_14default_configENS1_25partition_config_selectorILNS1_17partition_subalgoE6EjNS0_10empty_typeEbEEZZNS1_14partition_implILS5_6ELb0ES3_mN6thrust23THRUST_200600_302600_NS6detail15normal_iteratorINSA_10device_ptrIjEEEEPS6_SG_NS0_5tupleIJNSA_16discard_iteratorINSA_11use_defaultEEES6_EEENSH_IJSG_SG_EEES6_PlJNSB_9not_fun_tINSB_14equal_to_valueIjEEEEEEE10hipError_tPvRmT3_T4_T5_T6_T7_T9_mT8_P12ihipStream_tbDpT10_ENKUlT_T0_E_clISt17integral_constantIbLb0EES1A_IbLb1EEEEDaS16_S17_EUlS16_E_NS1_11comp_targetILNS1_3genE0ELNS1_11target_archE4294967295ELNS1_3gpuE0ELNS1_3repE0EEENS1_30default_config_static_selectorELNS0_4arch9wavefront6targetE0EEEvT1_,"axG",@progbits,_ZN7rocprim17ROCPRIM_400000_NS6detail17trampoline_kernelINS0_14default_configENS1_25partition_config_selectorILNS1_17partition_subalgoE6EjNS0_10empty_typeEbEEZZNS1_14partition_implILS5_6ELb0ES3_mN6thrust23THRUST_200600_302600_NS6detail15normal_iteratorINSA_10device_ptrIjEEEEPS6_SG_NS0_5tupleIJNSA_16discard_iteratorINSA_11use_defaultEEES6_EEENSH_IJSG_SG_EEES6_PlJNSB_9not_fun_tINSB_14equal_to_valueIjEEEEEEE10hipError_tPvRmT3_T4_T5_T6_T7_T9_mT8_P12ihipStream_tbDpT10_ENKUlT_T0_E_clISt17integral_constantIbLb0EES1A_IbLb1EEEEDaS16_S17_EUlS16_E_NS1_11comp_targetILNS1_3genE0ELNS1_11target_archE4294967295ELNS1_3gpuE0ELNS1_3repE0EEENS1_30default_config_static_selectorELNS0_4arch9wavefront6targetE0EEEvT1_,comdat
	.protected	_ZN7rocprim17ROCPRIM_400000_NS6detail17trampoline_kernelINS0_14default_configENS1_25partition_config_selectorILNS1_17partition_subalgoE6EjNS0_10empty_typeEbEEZZNS1_14partition_implILS5_6ELb0ES3_mN6thrust23THRUST_200600_302600_NS6detail15normal_iteratorINSA_10device_ptrIjEEEEPS6_SG_NS0_5tupleIJNSA_16discard_iteratorINSA_11use_defaultEEES6_EEENSH_IJSG_SG_EEES6_PlJNSB_9not_fun_tINSB_14equal_to_valueIjEEEEEEE10hipError_tPvRmT3_T4_T5_T6_T7_T9_mT8_P12ihipStream_tbDpT10_ENKUlT_T0_E_clISt17integral_constantIbLb0EES1A_IbLb1EEEEDaS16_S17_EUlS16_E_NS1_11comp_targetILNS1_3genE0ELNS1_11target_archE4294967295ELNS1_3gpuE0ELNS1_3repE0EEENS1_30default_config_static_selectorELNS0_4arch9wavefront6targetE0EEEvT1_ ; -- Begin function _ZN7rocprim17ROCPRIM_400000_NS6detail17trampoline_kernelINS0_14default_configENS1_25partition_config_selectorILNS1_17partition_subalgoE6EjNS0_10empty_typeEbEEZZNS1_14partition_implILS5_6ELb0ES3_mN6thrust23THRUST_200600_302600_NS6detail15normal_iteratorINSA_10device_ptrIjEEEEPS6_SG_NS0_5tupleIJNSA_16discard_iteratorINSA_11use_defaultEEES6_EEENSH_IJSG_SG_EEES6_PlJNSB_9not_fun_tINSB_14equal_to_valueIjEEEEEEE10hipError_tPvRmT3_T4_T5_T6_T7_T9_mT8_P12ihipStream_tbDpT10_ENKUlT_T0_E_clISt17integral_constantIbLb0EES1A_IbLb1EEEEDaS16_S17_EUlS16_E_NS1_11comp_targetILNS1_3genE0ELNS1_11target_archE4294967295ELNS1_3gpuE0ELNS1_3repE0EEENS1_30default_config_static_selectorELNS0_4arch9wavefront6targetE0EEEvT1_
	.globl	_ZN7rocprim17ROCPRIM_400000_NS6detail17trampoline_kernelINS0_14default_configENS1_25partition_config_selectorILNS1_17partition_subalgoE6EjNS0_10empty_typeEbEEZZNS1_14partition_implILS5_6ELb0ES3_mN6thrust23THRUST_200600_302600_NS6detail15normal_iteratorINSA_10device_ptrIjEEEEPS6_SG_NS0_5tupleIJNSA_16discard_iteratorINSA_11use_defaultEEES6_EEENSH_IJSG_SG_EEES6_PlJNSB_9not_fun_tINSB_14equal_to_valueIjEEEEEEE10hipError_tPvRmT3_T4_T5_T6_T7_T9_mT8_P12ihipStream_tbDpT10_ENKUlT_T0_E_clISt17integral_constantIbLb0EES1A_IbLb1EEEEDaS16_S17_EUlS16_E_NS1_11comp_targetILNS1_3genE0ELNS1_11target_archE4294967295ELNS1_3gpuE0ELNS1_3repE0EEENS1_30default_config_static_selectorELNS0_4arch9wavefront6targetE0EEEvT1_
	.p2align	8
	.type	_ZN7rocprim17ROCPRIM_400000_NS6detail17trampoline_kernelINS0_14default_configENS1_25partition_config_selectorILNS1_17partition_subalgoE6EjNS0_10empty_typeEbEEZZNS1_14partition_implILS5_6ELb0ES3_mN6thrust23THRUST_200600_302600_NS6detail15normal_iteratorINSA_10device_ptrIjEEEEPS6_SG_NS0_5tupleIJNSA_16discard_iteratorINSA_11use_defaultEEES6_EEENSH_IJSG_SG_EEES6_PlJNSB_9not_fun_tINSB_14equal_to_valueIjEEEEEEE10hipError_tPvRmT3_T4_T5_T6_T7_T9_mT8_P12ihipStream_tbDpT10_ENKUlT_T0_E_clISt17integral_constantIbLb0EES1A_IbLb1EEEEDaS16_S17_EUlS16_E_NS1_11comp_targetILNS1_3genE0ELNS1_11target_archE4294967295ELNS1_3gpuE0ELNS1_3repE0EEENS1_30default_config_static_selectorELNS0_4arch9wavefront6targetE0EEEvT1_,@function
_ZN7rocprim17ROCPRIM_400000_NS6detail17trampoline_kernelINS0_14default_configENS1_25partition_config_selectorILNS1_17partition_subalgoE6EjNS0_10empty_typeEbEEZZNS1_14partition_implILS5_6ELb0ES3_mN6thrust23THRUST_200600_302600_NS6detail15normal_iteratorINSA_10device_ptrIjEEEEPS6_SG_NS0_5tupleIJNSA_16discard_iteratorINSA_11use_defaultEEES6_EEENSH_IJSG_SG_EEES6_PlJNSB_9not_fun_tINSB_14equal_to_valueIjEEEEEEE10hipError_tPvRmT3_T4_T5_T6_T7_T9_mT8_P12ihipStream_tbDpT10_ENKUlT_T0_E_clISt17integral_constantIbLb0EES1A_IbLb1EEEEDaS16_S17_EUlS16_E_NS1_11comp_targetILNS1_3genE0ELNS1_11target_archE4294967295ELNS1_3gpuE0ELNS1_3repE0EEENS1_30default_config_static_selectorELNS0_4arch9wavefront6targetE0EEEvT1_: ; @_ZN7rocprim17ROCPRIM_400000_NS6detail17trampoline_kernelINS0_14default_configENS1_25partition_config_selectorILNS1_17partition_subalgoE6EjNS0_10empty_typeEbEEZZNS1_14partition_implILS5_6ELb0ES3_mN6thrust23THRUST_200600_302600_NS6detail15normal_iteratorINSA_10device_ptrIjEEEEPS6_SG_NS0_5tupleIJNSA_16discard_iteratorINSA_11use_defaultEEES6_EEENSH_IJSG_SG_EEES6_PlJNSB_9not_fun_tINSB_14equal_to_valueIjEEEEEEE10hipError_tPvRmT3_T4_T5_T6_T7_T9_mT8_P12ihipStream_tbDpT10_ENKUlT_T0_E_clISt17integral_constantIbLb0EES1A_IbLb1EEEEDaS16_S17_EUlS16_E_NS1_11comp_targetILNS1_3genE0ELNS1_11target_archE4294967295ELNS1_3gpuE0ELNS1_3repE0EEENS1_30default_config_static_selectorELNS0_4arch9wavefront6targetE0EEEvT1_
; %bb.0:
	.section	.rodata,"a",@progbits
	.p2align	6, 0x0
	.amdhsa_kernel _ZN7rocprim17ROCPRIM_400000_NS6detail17trampoline_kernelINS0_14default_configENS1_25partition_config_selectorILNS1_17partition_subalgoE6EjNS0_10empty_typeEbEEZZNS1_14partition_implILS5_6ELb0ES3_mN6thrust23THRUST_200600_302600_NS6detail15normal_iteratorINSA_10device_ptrIjEEEEPS6_SG_NS0_5tupleIJNSA_16discard_iteratorINSA_11use_defaultEEES6_EEENSH_IJSG_SG_EEES6_PlJNSB_9not_fun_tINSB_14equal_to_valueIjEEEEEEE10hipError_tPvRmT3_T4_T5_T6_T7_T9_mT8_P12ihipStream_tbDpT10_ENKUlT_T0_E_clISt17integral_constantIbLb0EES1A_IbLb1EEEEDaS16_S17_EUlS16_E_NS1_11comp_targetILNS1_3genE0ELNS1_11target_archE4294967295ELNS1_3gpuE0ELNS1_3repE0EEENS1_30default_config_static_selectorELNS0_4arch9wavefront6targetE0EEEvT1_
		.amdhsa_group_segment_fixed_size 0
		.amdhsa_private_segment_fixed_size 0
		.amdhsa_kernarg_size 136
		.amdhsa_user_sgpr_count 2
		.amdhsa_user_sgpr_dispatch_ptr 0
		.amdhsa_user_sgpr_queue_ptr 0
		.amdhsa_user_sgpr_kernarg_segment_ptr 1
		.amdhsa_user_sgpr_dispatch_id 0
		.amdhsa_user_sgpr_private_segment_size 0
		.amdhsa_wavefront_size32 1
		.amdhsa_uses_dynamic_stack 0
		.amdhsa_enable_private_segment 0
		.amdhsa_system_sgpr_workgroup_id_x 1
		.amdhsa_system_sgpr_workgroup_id_y 0
		.amdhsa_system_sgpr_workgroup_id_z 0
		.amdhsa_system_sgpr_workgroup_info 0
		.amdhsa_system_vgpr_workitem_id 0
		.amdhsa_next_free_vgpr 1
		.amdhsa_next_free_sgpr 1
		.amdhsa_reserve_vcc 0
		.amdhsa_float_round_mode_32 0
		.amdhsa_float_round_mode_16_64 0
		.amdhsa_float_denorm_mode_32 3
		.amdhsa_float_denorm_mode_16_64 3
		.amdhsa_fp16_overflow 0
		.amdhsa_workgroup_processor_mode 1
		.amdhsa_memory_ordered 1
		.amdhsa_forward_progress 1
		.amdhsa_inst_pref_size 0
		.amdhsa_round_robin_scheduling 0
		.amdhsa_exception_fp_ieee_invalid_op 0
		.amdhsa_exception_fp_denorm_src 0
		.amdhsa_exception_fp_ieee_div_zero 0
		.amdhsa_exception_fp_ieee_overflow 0
		.amdhsa_exception_fp_ieee_underflow 0
		.amdhsa_exception_fp_ieee_inexact 0
		.amdhsa_exception_int_div_zero 0
	.end_amdhsa_kernel
	.section	.text._ZN7rocprim17ROCPRIM_400000_NS6detail17trampoline_kernelINS0_14default_configENS1_25partition_config_selectorILNS1_17partition_subalgoE6EjNS0_10empty_typeEbEEZZNS1_14partition_implILS5_6ELb0ES3_mN6thrust23THRUST_200600_302600_NS6detail15normal_iteratorINSA_10device_ptrIjEEEEPS6_SG_NS0_5tupleIJNSA_16discard_iteratorINSA_11use_defaultEEES6_EEENSH_IJSG_SG_EEES6_PlJNSB_9not_fun_tINSB_14equal_to_valueIjEEEEEEE10hipError_tPvRmT3_T4_T5_T6_T7_T9_mT8_P12ihipStream_tbDpT10_ENKUlT_T0_E_clISt17integral_constantIbLb0EES1A_IbLb1EEEEDaS16_S17_EUlS16_E_NS1_11comp_targetILNS1_3genE0ELNS1_11target_archE4294967295ELNS1_3gpuE0ELNS1_3repE0EEENS1_30default_config_static_selectorELNS0_4arch9wavefront6targetE0EEEvT1_,"axG",@progbits,_ZN7rocprim17ROCPRIM_400000_NS6detail17trampoline_kernelINS0_14default_configENS1_25partition_config_selectorILNS1_17partition_subalgoE6EjNS0_10empty_typeEbEEZZNS1_14partition_implILS5_6ELb0ES3_mN6thrust23THRUST_200600_302600_NS6detail15normal_iteratorINSA_10device_ptrIjEEEEPS6_SG_NS0_5tupleIJNSA_16discard_iteratorINSA_11use_defaultEEES6_EEENSH_IJSG_SG_EEES6_PlJNSB_9not_fun_tINSB_14equal_to_valueIjEEEEEEE10hipError_tPvRmT3_T4_T5_T6_T7_T9_mT8_P12ihipStream_tbDpT10_ENKUlT_T0_E_clISt17integral_constantIbLb0EES1A_IbLb1EEEEDaS16_S17_EUlS16_E_NS1_11comp_targetILNS1_3genE0ELNS1_11target_archE4294967295ELNS1_3gpuE0ELNS1_3repE0EEENS1_30default_config_static_selectorELNS0_4arch9wavefront6targetE0EEEvT1_,comdat
.Lfunc_end1685:
	.size	_ZN7rocprim17ROCPRIM_400000_NS6detail17trampoline_kernelINS0_14default_configENS1_25partition_config_selectorILNS1_17partition_subalgoE6EjNS0_10empty_typeEbEEZZNS1_14partition_implILS5_6ELb0ES3_mN6thrust23THRUST_200600_302600_NS6detail15normal_iteratorINSA_10device_ptrIjEEEEPS6_SG_NS0_5tupleIJNSA_16discard_iteratorINSA_11use_defaultEEES6_EEENSH_IJSG_SG_EEES6_PlJNSB_9not_fun_tINSB_14equal_to_valueIjEEEEEEE10hipError_tPvRmT3_T4_T5_T6_T7_T9_mT8_P12ihipStream_tbDpT10_ENKUlT_T0_E_clISt17integral_constantIbLb0EES1A_IbLb1EEEEDaS16_S17_EUlS16_E_NS1_11comp_targetILNS1_3genE0ELNS1_11target_archE4294967295ELNS1_3gpuE0ELNS1_3repE0EEENS1_30default_config_static_selectorELNS0_4arch9wavefront6targetE0EEEvT1_, .Lfunc_end1685-_ZN7rocprim17ROCPRIM_400000_NS6detail17trampoline_kernelINS0_14default_configENS1_25partition_config_selectorILNS1_17partition_subalgoE6EjNS0_10empty_typeEbEEZZNS1_14partition_implILS5_6ELb0ES3_mN6thrust23THRUST_200600_302600_NS6detail15normal_iteratorINSA_10device_ptrIjEEEEPS6_SG_NS0_5tupleIJNSA_16discard_iteratorINSA_11use_defaultEEES6_EEENSH_IJSG_SG_EEES6_PlJNSB_9not_fun_tINSB_14equal_to_valueIjEEEEEEE10hipError_tPvRmT3_T4_T5_T6_T7_T9_mT8_P12ihipStream_tbDpT10_ENKUlT_T0_E_clISt17integral_constantIbLb0EES1A_IbLb1EEEEDaS16_S17_EUlS16_E_NS1_11comp_targetILNS1_3genE0ELNS1_11target_archE4294967295ELNS1_3gpuE0ELNS1_3repE0EEENS1_30default_config_static_selectorELNS0_4arch9wavefront6targetE0EEEvT1_
                                        ; -- End function
	.set _ZN7rocprim17ROCPRIM_400000_NS6detail17trampoline_kernelINS0_14default_configENS1_25partition_config_selectorILNS1_17partition_subalgoE6EjNS0_10empty_typeEbEEZZNS1_14partition_implILS5_6ELb0ES3_mN6thrust23THRUST_200600_302600_NS6detail15normal_iteratorINSA_10device_ptrIjEEEEPS6_SG_NS0_5tupleIJNSA_16discard_iteratorINSA_11use_defaultEEES6_EEENSH_IJSG_SG_EEES6_PlJNSB_9not_fun_tINSB_14equal_to_valueIjEEEEEEE10hipError_tPvRmT3_T4_T5_T6_T7_T9_mT8_P12ihipStream_tbDpT10_ENKUlT_T0_E_clISt17integral_constantIbLb0EES1A_IbLb1EEEEDaS16_S17_EUlS16_E_NS1_11comp_targetILNS1_3genE0ELNS1_11target_archE4294967295ELNS1_3gpuE0ELNS1_3repE0EEENS1_30default_config_static_selectorELNS0_4arch9wavefront6targetE0EEEvT1_.num_vgpr, 0
	.set _ZN7rocprim17ROCPRIM_400000_NS6detail17trampoline_kernelINS0_14default_configENS1_25partition_config_selectorILNS1_17partition_subalgoE6EjNS0_10empty_typeEbEEZZNS1_14partition_implILS5_6ELb0ES3_mN6thrust23THRUST_200600_302600_NS6detail15normal_iteratorINSA_10device_ptrIjEEEEPS6_SG_NS0_5tupleIJNSA_16discard_iteratorINSA_11use_defaultEEES6_EEENSH_IJSG_SG_EEES6_PlJNSB_9not_fun_tINSB_14equal_to_valueIjEEEEEEE10hipError_tPvRmT3_T4_T5_T6_T7_T9_mT8_P12ihipStream_tbDpT10_ENKUlT_T0_E_clISt17integral_constantIbLb0EES1A_IbLb1EEEEDaS16_S17_EUlS16_E_NS1_11comp_targetILNS1_3genE0ELNS1_11target_archE4294967295ELNS1_3gpuE0ELNS1_3repE0EEENS1_30default_config_static_selectorELNS0_4arch9wavefront6targetE0EEEvT1_.num_agpr, 0
	.set _ZN7rocprim17ROCPRIM_400000_NS6detail17trampoline_kernelINS0_14default_configENS1_25partition_config_selectorILNS1_17partition_subalgoE6EjNS0_10empty_typeEbEEZZNS1_14partition_implILS5_6ELb0ES3_mN6thrust23THRUST_200600_302600_NS6detail15normal_iteratorINSA_10device_ptrIjEEEEPS6_SG_NS0_5tupleIJNSA_16discard_iteratorINSA_11use_defaultEEES6_EEENSH_IJSG_SG_EEES6_PlJNSB_9not_fun_tINSB_14equal_to_valueIjEEEEEEE10hipError_tPvRmT3_T4_T5_T6_T7_T9_mT8_P12ihipStream_tbDpT10_ENKUlT_T0_E_clISt17integral_constantIbLb0EES1A_IbLb1EEEEDaS16_S17_EUlS16_E_NS1_11comp_targetILNS1_3genE0ELNS1_11target_archE4294967295ELNS1_3gpuE0ELNS1_3repE0EEENS1_30default_config_static_selectorELNS0_4arch9wavefront6targetE0EEEvT1_.numbered_sgpr, 0
	.set _ZN7rocprim17ROCPRIM_400000_NS6detail17trampoline_kernelINS0_14default_configENS1_25partition_config_selectorILNS1_17partition_subalgoE6EjNS0_10empty_typeEbEEZZNS1_14partition_implILS5_6ELb0ES3_mN6thrust23THRUST_200600_302600_NS6detail15normal_iteratorINSA_10device_ptrIjEEEEPS6_SG_NS0_5tupleIJNSA_16discard_iteratorINSA_11use_defaultEEES6_EEENSH_IJSG_SG_EEES6_PlJNSB_9not_fun_tINSB_14equal_to_valueIjEEEEEEE10hipError_tPvRmT3_T4_T5_T6_T7_T9_mT8_P12ihipStream_tbDpT10_ENKUlT_T0_E_clISt17integral_constantIbLb0EES1A_IbLb1EEEEDaS16_S17_EUlS16_E_NS1_11comp_targetILNS1_3genE0ELNS1_11target_archE4294967295ELNS1_3gpuE0ELNS1_3repE0EEENS1_30default_config_static_selectorELNS0_4arch9wavefront6targetE0EEEvT1_.num_named_barrier, 0
	.set _ZN7rocprim17ROCPRIM_400000_NS6detail17trampoline_kernelINS0_14default_configENS1_25partition_config_selectorILNS1_17partition_subalgoE6EjNS0_10empty_typeEbEEZZNS1_14partition_implILS5_6ELb0ES3_mN6thrust23THRUST_200600_302600_NS6detail15normal_iteratorINSA_10device_ptrIjEEEEPS6_SG_NS0_5tupleIJNSA_16discard_iteratorINSA_11use_defaultEEES6_EEENSH_IJSG_SG_EEES6_PlJNSB_9not_fun_tINSB_14equal_to_valueIjEEEEEEE10hipError_tPvRmT3_T4_T5_T6_T7_T9_mT8_P12ihipStream_tbDpT10_ENKUlT_T0_E_clISt17integral_constantIbLb0EES1A_IbLb1EEEEDaS16_S17_EUlS16_E_NS1_11comp_targetILNS1_3genE0ELNS1_11target_archE4294967295ELNS1_3gpuE0ELNS1_3repE0EEENS1_30default_config_static_selectorELNS0_4arch9wavefront6targetE0EEEvT1_.private_seg_size, 0
	.set _ZN7rocprim17ROCPRIM_400000_NS6detail17trampoline_kernelINS0_14default_configENS1_25partition_config_selectorILNS1_17partition_subalgoE6EjNS0_10empty_typeEbEEZZNS1_14partition_implILS5_6ELb0ES3_mN6thrust23THRUST_200600_302600_NS6detail15normal_iteratorINSA_10device_ptrIjEEEEPS6_SG_NS0_5tupleIJNSA_16discard_iteratorINSA_11use_defaultEEES6_EEENSH_IJSG_SG_EEES6_PlJNSB_9not_fun_tINSB_14equal_to_valueIjEEEEEEE10hipError_tPvRmT3_T4_T5_T6_T7_T9_mT8_P12ihipStream_tbDpT10_ENKUlT_T0_E_clISt17integral_constantIbLb0EES1A_IbLb1EEEEDaS16_S17_EUlS16_E_NS1_11comp_targetILNS1_3genE0ELNS1_11target_archE4294967295ELNS1_3gpuE0ELNS1_3repE0EEENS1_30default_config_static_selectorELNS0_4arch9wavefront6targetE0EEEvT1_.uses_vcc, 0
	.set _ZN7rocprim17ROCPRIM_400000_NS6detail17trampoline_kernelINS0_14default_configENS1_25partition_config_selectorILNS1_17partition_subalgoE6EjNS0_10empty_typeEbEEZZNS1_14partition_implILS5_6ELb0ES3_mN6thrust23THRUST_200600_302600_NS6detail15normal_iteratorINSA_10device_ptrIjEEEEPS6_SG_NS0_5tupleIJNSA_16discard_iteratorINSA_11use_defaultEEES6_EEENSH_IJSG_SG_EEES6_PlJNSB_9not_fun_tINSB_14equal_to_valueIjEEEEEEE10hipError_tPvRmT3_T4_T5_T6_T7_T9_mT8_P12ihipStream_tbDpT10_ENKUlT_T0_E_clISt17integral_constantIbLb0EES1A_IbLb1EEEEDaS16_S17_EUlS16_E_NS1_11comp_targetILNS1_3genE0ELNS1_11target_archE4294967295ELNS1_3gpuE0ELNS1_3repE0EEENS1_30default_config_static_selectorELNS0_4arch9wavefront6targetE0EEEvT1_.uses_flat_scratch, 0
	.set _ZN7rocprim17ROCPRIM_400000_NS6detail17trampoline_kernelINS0_14default_configENS1_25partition_config_selectorILNS1_17partition_subalgoE6EjNS0_10empty_typeEbEEZZNS1_14partition_implILS5_6ELb0ES3_mN6thrust23THRUST_200600_302600_NS6detail15normal_iteratorINSA_10device_ptrIjEEEEPS6_SG_NS0_5tupleIJNSA_16discard_iteratorINSA_11use_defaultEEES6_EEENSH_IJSG_SG_EEES6_PlJNSB_9not_fun_tINSB_14equal_to_valueIjEEEEEEE10hipError_tPvRmT3_T4_T5_T6_T7_T9_mT8_P12ihipStream_tbDpT10_ENKUlT_T0_E_clISt17integral_constantIbLb0EES1A_IbLb1EEEEDaS16_S17_EUlS16_E_NS1_11comp_targetILNS1_3genE0ELNS1_11target_archE4294967295ELNS1_3gpuE0ELNS1_3repE0EEENS1_30default_config_static_selectorELNS0_4arch9wavefront6targetE0EEEvT1_.has_dyn_sized_stack, 0
	.set _ZN7rocprim17ROCPRIM_400000_NS6detail17trampoline_kernelINS0_14default_configENS1_25partition_config_selectorILNS1_17partition_subalgoE6EjNS0_10empty_typeEbEEZZNS1_14partition_implILS5_6ELb0ES3_mN6thrust23THRUST_200600_302600_NS6detail15normal_iteratorINSA_10device_ptrIjEEEEPS6_SG_NS0_5tupleIJNSA_16discard_iteratorINSA_11use_defaultEEES6_EEENSH_IJSG_SG_EEES6_PlJNSB_9not_fun_tINSB_14equal_to_valueIjEEEEEEE10hipError_tPvRmT3_T4_T5_T6_T7_T9_mT8_P12ihipStream_tbDpT10_ENKUlT_T0_E_clISt17integral_constantIbLb0EES1A_IbLb1EEEEDaS16_S17_EUlS16_E_NS1_11comp_targetILNS1_3genE0ELNS1_11target_archE4294967295ELNS1_3gpuE0ELNS1_3repE0EEENS1_30default_config_static_selectorELNS0_4arch9wavefront6targetE0EEEvT1_.has_recursion, 0
	.set _ZN7rocprim17ROCPRIM_400000_NS6detail17trampoline_kernelINS0_14default_configENS1_25partition_config_selectorILNS1_17partition_subalgoE6EjNS0_10empty_typeEbEEZZNS1_14partition_implILS5_6ELb0ES3_mN6thrust23THRUST_200600_302600_NS6detail15normal_iteratorINSA_10device_ptrIjEEEEPS6_SG_NS0_5tupleIJNSA_16discard_iteratorINSA_11use_defaultEEES6_EEENSH_IJSG_SG_EEES6_PlJNSB_9not_fun_tINSB_14equal_to_valueIjEEEEEEE10hipError_tPvRmT3_T4_T5_T6_T7_T9_mT8_P12ihipStream_tbDpT10_ENKUlT_T0_E_clISt17integral_constantIbLb0EES1A_IbLb1EEEEDaS16_S17_EUlS16_E_NS1_11comp_targetILNS1_3genE0ELNS1_11target_archE4294967295ELNS1_3gpuE0ELNS1_3repE0EEENS1_30default_config_static_selectorELNS0_4arch9wavefront6targetE0EEEvT1_.has_indirect_call, 0
	.section	.AMDGPU.csdata,"",@progbits
; Kernel info:
; codeLenInByte = 0
; TotalNumSgprs: 0
; NumVgprs: 0
; ScratchSize: 0
; MemoryBound: 0
; FloatMode: 240
; IeeeMode: 1
; LDSByteSize: 0 bytes/workgroup (compile time only)
; SGPRBlocks: 0
; VGPRBlocks: 0
; NumSGPRsForWavesPerEU: 1
; NumVGPRsForWavesPerEU: 1
; Occupancy: 16
; WaveLimiterHint : 0
; COMPUTE_PGM_RSRC2:SCRATCH_EN: 0
; COMPUTE_PGM_RSRC2:USER_SGPR: 2
; COMPUTE_PGM_RSRC2:TRAP_HANDLER: 0
; COMPUTE_PGM_RSRC2:TGID_X_EN: 1
; COMPUTE_PGM_RSRC2:TGID_Y_EN: 0
; COMPUTE_PGM_RSRC2:TGID_Z_EN: 0
; COMPUTE_PGM_RSRC2:TIDIG_COMP_CNT: 0
	.section	.text._ZN7rocprim17ROCPRIM_400000_NS6detail17trampoline_kernelINS0_14default_configENS1_25partition_config_selectorILNS1_17partition_subalgoE6EjNS0_10empty_typeEbEEZZNS1_14partition_implILS5_6ELb0ES3_mN6thrust23THRUST_200600_302600_NS6detail15normal_iteratorINSA_10device_ptrIjEEEEPS6_SG_NS0_5tupleIJNSA_16discard_iteratorINSA_11use_defaultEEES6_EEENSH_IJSG_SG_EEES6_PlJNSB_9not_fun_tINSB_14equal_to_valueIjEEEEEEE10hipError_tPvRmT3_T4_T5_T6_T7_T9_mT8_P12ihipStream_tbDpT10_ENKUlT_T0_E_clISt17integral_constantIbLb0EES1A_IbLb1EEEEDaS16_S17_EUlS16_E_NS1_11comp_targetILNS1_3genE5ELNS1_11target_archE942ELNS1_3gpuE9ELNS1_3repE0EEENS1_30default_config_static_selectorELNS0_4arch9wavefront6targetE0EEEvT1_,"axG",@progbits,_ZN7rocprim17ROCPRIM_400000_NS6detail17trampoline_kernelINS0_14default_configENS1_25partition_config_selectorILNS1_17partition_subalgoE6EjNS0_10empty_typeEbEEZZNS1_14partition_implILS5_6ELb0ES3_mN6thrust23THRUST_200600_302600_NS6detail15normal_iteratorINSA_10device_ptrIjEEEEPS6_SG_NS0_5tupleIJNSA_16discard_iteratorINSA_11use_defaultEEES6_EEENSH_IJSG_SG_EEES6_PlJNSB_9not_fun_tINSB_14equal_to_valueIjEEEEEEE10hipError_tPvRmT3_T4_T5_T6_T7_T9_mT8_P12ihipStream_tbDpT10_ENKUlT_T0_E_clISt17integral_constantIbLb0EES1A_IbLb1EEEEDaS16_S17_EUlS16_E_NS1_11comp_targetILNS1_3genE5ELNS1_11target_archE942ELNS1_3gpuE9ELNS1_3repE0EEENS1_30default_config_static_selectorELNS0_4arch9wavefront6targetE0EEEvT1_,comdat
	.protected	_ZN7rocprim17ROCPRIM_400000_NS6detail17trampoline_kernelINS0_14default_configENS1_25partition_config_selectorILNS1_17partition_subalgoE6EjNS0_10empty_typeEbEEZZNS1_14partition_implILS5_6ELb0ES3_mN6thrust23THRUST_200600_302600_NS6detail15normal_iteratorINSA_10device_ptrIjEEEEPS6_SG_NS0_5tupleIJNSA_16discard_iteratorINSA_11use_defaultEEES6_EEENSH_IJSG_SG_EEES6_PlJNSB_9not_fun_tINSB_14equal_to_valueIjEEEEEEE10hipError_tPvRmT3_T4_T5_T6_T7_T9_mT8_P12ihipStream_tbDpT10_ENKUlT_T0_E_clISt17integral_constantIbLb0EES1A_IbLb1EEEEDaS16_S17_EUlS16_E_NS1_11comp_targetILNS1_3genE5ELNS1_11target_archE942ELNS1_3gpuE9ELNS1_3repE0EEENS1_30default_config_static_selectorELNS0_4arch9wavefront6targetE0EEEvT1_ ; -- Begin function _ZN7rocprim17ROCPRIM_400000_NS6detail17trampoline_kernelINS0_14default_configENS1_25partition_config_selectorILNS1_17partition_subalgoE6EjNS0_10empty_typeEbEEZZNS1_14partition_implILS5_6ELb0ES3_mN6thrust23THRUST_200600_302600_NS6detail15normal_iteratorINSA_10device_ptrIjEEEEPS6_SG_NS0_5tupleIJNSA_16discard_iteratorINSA_11use_defaultEEES6_EEENSH_IJSG_SG_EEES6_PlJNSB_9not_fun_tINSB_14equal_to_valueIjEEEEEEE10hipError_tPvRmT3_T4_T5_T6_T7_T9_mT8_P12ihipStream_tbDpT10_ENKUlT_T0_E_clISt17integral_constantIbLb0EES1A_IbLb1EEEEDaS16_S17_EUlS16_E_NS1_11comp_targetILNS1_3genE5ELNS1_11target_archE942ELNS1_3gpuE9ELNS1_3repE0EEENS1_30default_config_static_selectorELNS0_4arch9wavefront6targetE0EEEvT1_
	.globl	_ZN7rocprim17ROCPRIM_400000_NS6detail17trampoline_kernelINS0_14default_configENS1_25partition_config_selectorILNS1_17partition_subalgoE6EjNS0_10empty_typeEbEEZZNS1_14partition_implILS5_6ELb0ES3_mN6thrust23THRUST_200600_302600_NS6detail15normal_iteratorINSA_10device_ptrIjEEEEPS6_SG_NS0_5tupleIJNSA_16discard_iteratorINSA_11use_defaultEEES6_EEENSH_IJSG_SG_EEES6_PlJNSB_9not_fun_tINSB_14equal_to_valueIjEEEEEEE10hipError_tPvRmT3_T4_T5_T6_T7_T9_mT8_P12ihipStream_tbDpT10_ENKUlT_T0_E_clISt17integral_constantIbLb0EES1A_IbLb1EEEEDaS16_S17_EUlS16_E_NS1_11comp_targetILNS1_3genE5ELNS1_11target_archE942ELNS1_3gpuE9ELNS1_3repE0EEENS1_30default_config_static_selectorELNS0_4arch9wavefront6targetE0EEEvT1_
	.p2align	8
	.type	_ZN7rocprim17ROCPRIM_400000_NS6detail17trampoline_kernelINS0_14default_configENS1_25partition_config_selectorILNS1_17partition_subalgoE6EjNS0_10empty_typeEbEEZZNS1_14partition_implILS5_6ELb0ES3_mN6thrust23THRUST_200600_302600_NS6detail15normal_iteratorINSA_10device_ptrIjEEEEPS6_SG_NS0_5tupleIJNSA_16discard_iteratorINSA_11use_defaultEEES6_EEENSH_IJSG_SG_EEES6_PlJNSB_9not_fun_tINSB_14equal_to_valueIjEEEEEEE10hipError_tPvRmT3_T4_T5_T6_T7_T9_mT8_P12ihipStream_tbDpT10_ENKUlT_T0_E_clISt17integral_constantIbLb0EES1A_IbLb1EEEEDaS16_S17_EUlS16_E_NS1_11comp_targetILNS1_3genE5ELNS1_11target_archE942ELNS1_3gpuE9ELNS1_3repE0EEENS1_30default_config_static_selectorELNS0_4arch9wavefront6targetE0EEEvT1_,@function
_ZN7rocprim17ROCPRIM_400000_NS6detail17trampoline_kernelINS0_14default_configENS1_25partition_config_selectorILNS1_17partition_subalgoE6EjNS0_10empty_typeEbEEZZNS1_14partition_implILS5_6ELb0ES3_mN6thrust23THRUST_200600_302600_NS6detail15normal_iteratorINSA_10device_ptrIjEEEEPS6_SG_NS0_5tupleIJNSA_16discard_iteratorINSA_11use_defaultEEES6_EEENSH_IJSG_SG_EEES6_PlJNSB_9not_fun_tINSB_14equal_to_valueIjEEEEEEE10hipError_tPvRmT3_T4_T5_T6_T7_T9_mT8_P12ihipStream_tbDpT10_ENKUlT_T0_E_clISt17integral_constantIbLb0EES1A_IbLb1EEEEDaS16_S17_EUlS16_E_NS1_11comp_targetILNS1_3genE5ELNS1_11target_archE942ELNS1_3gpuE9ELNS1_3repE0EEENS1_30default_config_static_selectorELNS0_4arch9wavefront6targetE0EEEvT1_: ; @_ZN7rocprim17ROCPRIM_400000_NS6detail17trampoline_kernelINS0_14default_configENS1_25partition_config_selectorILNS1_17partition_subalgoE6EjNS0_10empty_typeEbEEZZNS1_14partition_implILS5_6ELb0ES3_mN6thrust23THRUST_200600_302600_NS6detail15normal_iteratorINSA_10device_ptrIjEEEEPS6_SG_NS0_5tupleIJNSA_16discard_iteratorINSA_11use_defaultEEES6_EEENSH_IJSG_SG_EEES6_PlJNSB_9not_fun_tINSB_14equal_to_valueIjEEEEEEE10hipError_tPvRmT3_T4_T5_T6_T7_T9_mT8_P12ihipStream_tbDpT10_ENKUlT_T0_E_clISt17integral_constantIbLb0EES1A_IbLb1EEEEDaS16_S17_EUlS16_E_NS1_11comp_targetILNS1_3genE5ELNS1_11target_archE942ELNS1_3gpuE9ELNS1_3repE0EEENS1_30default_config_static_selectorELNS0_4arch9wavefront6targetE0EEEvT1_
; %bb.0:
	.section	.rodata,"a",@progbits
	.p2align	6, 0x0
	.amdhsa_kernel _ZN7rocprim17ROCPRIM_400000_NS6detail17trampoline_kernelINS0_14default_configENS1_25partition_config_selectorILNS1_17partition_subalgoE6EjNS0_10empty_typeEbEEZZNS1_14partition_implILS5_6ELb0ES3_mN6thrust23THRUST_200600_302600_NS6detail15normal_iteratorINSA_10device_ptrIjEEEEPS6_SG_NS0_5tupleIJNSA_16discard_iteratorINSA_11use_defaultEEES6_EEENSH_IJSG_SG_EEES6_PlJNSB_9not_fun_tINSB_14equal_to_valueIjEEEEEEE10hipError_tPvRmT3_T4_T5_T6_T7_T9_mT8_P12ihipStream_tbDpT10_ENKUlT_T0_E_clISt17integral_constantIbLb0EES1A_IbLb1EEEEDaS16_S17_EUlS16_E_NS1_11comp_targetILNS1_3genE5ELNS1_11target_archE942ELNS1_3gpuE9ELNS1_3repE0EEENS1_30default_config_static_selectorELNS0_4arch9wavefront6targetE0EEEvT1_
		.amdhsa_group_segment_fixed_size 0
		.amdhsa_private_segment_fixed_size 0
		.amdhsa_kernarg_size 136
		.amdhsa_user_sgpr_count 2
		.amdhsa_user_sgpr_dispatch_ptr 0
		.amdhsa_user_sgpr_queue_ptr 0
		.amdhsa_user_sgpr_kernarg_segment_ptr 1
		.amdhsa_user_sgpr_dispatch_id 0
		.amdhsa_user_sgpr_private_segment_size 0
		.amdhsa_wavefront_size32 1
		.amdhsa_uses_dynamic_stack 0
		.amdhsa_enable_private_segment 0
		.amdhsa_system_sgpr_workgroup_id_x 1
		.amdhsa_system_sgpr_workgroup_id_y 0
		.amdhsa_system_sgpr_workgroup_id_z 0
		.amdhsa_system_sgpr_workgroup_info 0
		.amdhsa_system_vgpr_workitem_id 0
		.amdhsa_next_free_vgpr 1
		.amdhsa_next_free_sgpr 1
		.amdhsa_reserve_vcc 0
		.amdhsa_float_round_mode_32 0
		.amdhsa_float_round_mode_16_64 0
		.amdhsa_float_denorm_mode_32 3
		.amdhsa_float_denorm_mode_16_64 3
		.amdhsa_fp16_overflow 0
		.amdhsa_workgroup_processor_mode 1
		.amdhsa_memory_ordered 1
		.amdhsa_forward_progress 1
		.amdhsa_inst_pref_size 0
		.amdhsa_round_robin_scheduling 0
		.amdhsa_exception_fp_ieee_invalid_op 0
		.amdhsa_exception_fp_denorm_src 0
		.amdhsa_exception_fp_ieee_div_zero 0
		.amdhsa_exception_fp_ieee_overflow 0
		.amdhsa_exception_fp_ieee_underflow 0
		.amdhsa_exception_fp_ieee_inexact 0
		.amdhsa_exception_int_div_zero 0
	.end_amdhsa_kernel
	.section	.text._ZN7rocprim17ROCPRIM_400000_NS6detail17trampoline_kernelINS0_14default_configENS1_25partition_config_selectorILNS1_17partition_subalgoE6EjNS0_10empty_typeEbEEZZNS1_14partition_implILS5_6ELb0ES3_mN6thrust23THRUST_200600_302600_NS6detail15normal_iteratorINSA_10device_ptrIjEEEEPS6_SG_NS0_5tupleIJNSA_16discard_iteratorINSA_11use_defaultEEES6_EEENSH_IJSG_SG_EEES6_PlJNSB_9not_fun_tINSB_14equal_to_valueIjEEEEEEE10hipError_tPvRmT3_T4_T5_T6_T7_T9_mT8_P12ihipStream_tbDpT10_ENKUlT_T0_E_clISt17integral_constantIbLb0EES1A_IbLb1EEEEDaS16_S17_EUlS16_E_NS1_11comp_targetILNS1_3genE5ELNS1_11target_archE942ELNS1_3gpuE9ELNS1_3repE0EEENS1_30default_config_static_selectorELNS0_4arch9wavefront6targetE0EEEvT1_,"axG",@progbits,_ZN7rocprim17ROCPRIM_400000_NS6detail17trampoline_kernelINS0_14default_configENS1_25partition_config_selectorILNS1_17partition_subalgoE6EjNS0_10empty_typeEbEEZZNS1_14partition_implILS5_6ELb0ES3_mN6thrust23THRUST_200600_302600_NS6detail15normal_iteratorINSA_10device_ptrIjEEEEPS6_SG_NS0_5tupleIJNSA_16discard_iteratorINSA_11use_defaultEEES6_EEENSH_IJSG_SG_EEES6_PlJNSB_9not_fun_tINSB_14equal_to_valueIjEEEEEEE10hipError_tPvRmT3_T4_T5_T6_T7_T9_mT8_P12ihipStream_tbDpT10_ENKUlT_T0_E_clISt17integral_constantIbLb0EES1A_IbLb1EEEEDaS16_S17_EUlS16_E_NS1_11comp_targetILNS1_3genE5ELNS1_11target_archE942ELNS1_3gpuE9ELNS1_3repE0EEENS1_30default_config_static_selectorELNS0_4arch9wavefront6targetE0EEEvT1_,comdat
.Lfunc_end1686:
	.size	_ZN7rocprim17ROCPRIM_400000_NS6detail17trampoline_kernelINS0_14default_configENS1_25partition_config_selectorILNS1_17partition_subalgoE6EjNS0_10empty_typeEbEEZZNS1_14partition_implILS5_6ELb0ES3_mN6thrust23THRUST_200600_302600_NS6detail15normal_iteratorINSA_10device_ptrIjEEEEPS6_SG_NS0_5tupleIJNSA_16discard_iteratorINSA_11use_defaultEEES6_EEENSH_IJSG_SG_EEES6_PlJNSB_9not_fun_tINSB_14equal_to_valueIjEEEEEEE10hipError_tPvRmT3_T4_T5_T6_T7_T9_mT8_P12ihipStream_tbDpT10_ENKUlT_T0_E_clISt17integral_constantIbLb0EES1A_IbLb1EEEEDaS16_S17_EUlS16_E_NS1_11comp_targetILNS1_3genE5ELNS1_11target_archE942ELNS1_3gpuE9ELNS1_3repE0EEENS1_30default_config_static_selectorELNS0_4arch9wavefront6targetE0EEEvT1_, .Lfunc_end1686-_ZN7rocprim17ROCPRIM_400000_NS6detail17trampoline_kernelINS0_14default_configENS1_25partition_config_selectorILNS1_17partition_subalgoE6EjNS0_10empty_typeEbEEZZNS1_14partition_implILS5_6ELb0ES3_mN6thrust23THRUST_200600_302600_NS6detail15normal_iteratorINSA_10device_ptrIjEEEEPS6_SG_NS0_5tupleIJNSA_16discard_iteratorINSA_11use_defaultEEES6_EEENSH_IJSG_SG_EEES6_PlJNSB_9not_fun_tINSB_14equal_to_valueIjEEEEEEE10hipError_tPvRmT3_T4_T5_T6_T7_T9_mT8_P12ihipStream_tbDpT10_ENKUlT_T0_E_clISt17integral_constantIbLb0EES1A_IbLb1EEEEDaS16_S17_EUlS16_E_NS1_11comp_targetILNS1_3genE5ELNS1_11target_archE942ELNS1_3gpuE9ELNS1_3repE0EEENS1_30default_config_static_selectorELNS0_4arch9wavefront6targetE0EEEvT1_
                                        ; -- End function
	.set _ZN7rocprim17ROCPRIM_400000_NS6detail17trampoline_kernelINS0_14default_configENS1_25partition_config_selectorILNS1_17partition_subalgoE6EjNS0_10empty_typeEbEEZZNS1_14partition_implILS5_6ELb0ES3_mN6thrust23THRUST_200600_302600_NS6detail15normal_iteratorINSA_10device_ptrIjEEEEPS6_SG_NS0_5tupleIJNSA_16discard_iteratorINSA_11use_defaultEEES6_EEENSH_IJSG_SG_EEES6_PlJNSB_9not_fun_tINSB_14equal_to_valueIjEEEEEEE10hipError_tPvRmT3_T4_T5_T6_T7_T9_mT8_P12ihipStream_tbDpT10_ENKUlT_T0_E_clISt17integral_constantIbLb0EES1A_IbLb1EEEEDaS16_S17_EUlS16_E_NS1_11comp_targetILNS1_3genE5ELNS1_11target_archE942ELNS1_3gpuE9ELNS1_3repE0EEENS1_30default_config_static_selectorELNS0_4arch9wavefront6targetE0EEEvT1_.num_vgpr, 0
	.set _ZN7rocprim17ROCPRIM_400000_NS6detail17trampoline_kernelINS0_14default_configENS1_25partition_config_selectorILNS1_17partition_subalgoE6EjNS0_10empty_typeEbEEZZNS1_14partition_implILS5_6ELb0ES3_mN6thrust23THRUST_200600_302600_NS6detail15normal_iteratorINSA_10device_ptrIjEEEEPS6_SG_NS0_5tupleIJNSA_16discard_iteratorINSA_11use_defaultEEES6_EEENSH_IJSG_SG_EEES6_PlJNSB_9not_fun_tINSB_14equal_to_valueIjEEEEEEE10hipError_tPvRmT3_T4_T5_T6_T7_T9_mT8_P12ihipStream_tbDpT10_ENKUlT_T0_E_clISt17integral_constantIbLb0EES1A_IbLb1EEEEDaS16_S17_EUlS16_E_NS1_11comp_targetILNS1_3genE5ELNS1_11target_archE942ELNS1_3gpuE9ELNS1_3repE0EEENS1_30default_config_static_selectorELNS0_4arch9wavefront6targetE0EEEvT1_.num_agpr, 0
	.set _ZN7rocprim17ROCPRIM_400000_NS6detail17trampoline_kernelINS0_14default_configENS1_25partition_config_selectorILNS1_17partition_subalgoE6EjNS0_10empty_typeEbEEZZNS1_14partition_implILS5_6ELb0ES3_mN6thrust23THRUST_200600_302600_NS6detail15normal_iteratorINSA_10device_ptrIjEEEEPS6_SG_NS0_5tupleIJNSA_16discard_iteratorINSA_11use_defaultEEES6_EEENSH_IJSG_SG_EEES6_PlJNSB_9not_fun_tINSB_14equal_to_valueIjEEEEEEE10hipError_tPvRmT3_T4_T5_T6_T7_T9_mT8_P12ihipStream_tbDpT10_ENKUlT_T0_E_clISt17integral_constantIbLb0EES1A_IbLb1EEEEDaS16_S17_EUlS16_E_NS1_11comp_targetILNS1_3genE5ELNS1_11target_archE942ELNS1_3gpuE9ELNS1_3repE0EEENS1_30default_config_static_selectorELNS0_4arch9wavefront6targetE0EEEvT1_.numbered_sgpr, 0
	.set _ZN7rocprim17ROCPRIM_400000_NS6detail17trampoline_kernelINS0_14default_configENS1_25partition_config_selectorILNS1_17partition_subalgoE6EjNS0_10empty_typeEbEEZZNS1_14partition_implILS5_6ELb0ES3_mN6thrust23THRUST_200600_302600_NS6detail15normal_iteratorINSA_10device_ptrIjEEEEPS6_SG_NS0_5tupleIJNSA_16discard_iteratorINSA_11use_defaultEEES6_EEENSH_IJSG_SG_EEES6_PlJNSB_9not_fun_tINSB_14equal_to_valueIjEEEEEEE10hipError_tPvRmT3_T4_T5_T6_T7_T9_mT8_P12ihipStream_tbDpT10_ENKUlT_T0_E_clISt17integral_constantIbLb0EES1A_IbLb1EEEEDaS16_S17_EUlS16_E_NS1_11comp_targetILNS1_3genE5ELNS1_11target_archE942ELNS1_3gpuE9ELNS1_3repE0EEENS1_30default_config_static_selectorELNS0_4arch9wavefront6targetE0EEEvT1_.num_named_barrier, 0
	.set _ZN7rocprim17ROCPRIM_400000_NS6detail17trampoline_kernelINS0_14default_configENS1_25partition_config_selectorILNS1_17partition_subalgoE6EjNS0_10empty_typeEbEEZZNS1_14partition_implILS5_6ELb0ES3_mN6thrust23THRUST_200600_302600_NS6detail15normal_iteratorINSA_10device_ptrIjEEEEPS6_SG_NS0_5tupleIJNSA_16discard_iteratorINSA_11use_defaultEEES6_EEENSH_IJSG_SG_EEES6_PlJNSB_9not_fun_tINSB_14equal_to_valueIjEEEEEEE10hipError_tPvRmT3_T4_T5_T6_T7_T9_mT8_P12ihipStream_tbDpT10_ENKUlT_T0_E_clISt17integral_constantIbLb0EES1A_IbLb1EEEEDaS16_S17_EUlS16_E_NS1_11comp_targetILNS1_3genE5ELNS1_11target_archE942ELNS1_3gpuE9ELNS1_3repE0EEENS1_30default_config_static_selectorELNS0_4arch9wavefront6targetE0EEEvT1_.private_seg_size, 0
	.set _ZN7rocprim17ROCPRIM_400000_NS6detail17trampoline_kernelINS0_14default_configENS1_25partition_config_selectorILNS1_17partition_subalgoE6EjNS0_10empty_typeEbEEZZNS1_14partition_implILS5_6ELb0ES3_mN6thrust23THRUST_200600_302600_NS6detail15normal_iteratorINSA_10device_ptrIjEEEEPS6_SG_NS0_5tupleIJNSA_16discard_iteratorINSA_11use_defaultEEES6_EEENSH_IJSG_SG_EEES6_PlJNSB_9not_fun_tINSB_14equal_to_valueIjEEEEEEE10hipError_tPvRmT3_T4_T5_T6_T7_T9_mT8_P12ihipStream_tbDpT10_ENKUlT_T0_E_clISt17integral_constantIbLb0EES1A_IbLb1EEEEDaS16_S17_EUlS16_E_NS1_11comp_targetILNS1_3genE5ELNS1_11target_archE942ELNS1_3gpuE9ELNS1_3repE0EEENS1_30default_config_static_selectorELNS0_4arch9wavefront6targetE0EEEvT1_.uses_vcc, 0
	.set _ZN7rocprim17ROCPRIM_400000_NS6detail17trampoline_kernelINS0_14default_configENS1_25partition_config_selectorILNS1_17partition_subalgoE6EjNS0_10empty_typeEbEEZZNS1_14partition_implILS5_6ELb0ES3_mN6thrust23THRUST_200600_302600_NS6detail15normal_iteratorINSA_10device_ptrIjEEEEPS6_SG_NS0_5tupleIJNSA_16discard_iteratorINSA_11use_defaultEEES6_EEENSH_IJSG_SG_EEES6_PlJNSB_9not_fun_tINSB_14equal_to_valueIjEEEEEEE10hipError_tPvRmT3_T4_T5_T6_T7_T9_mT8_P12ihipStream_tbDpT10_ENKUlT_T0_E_clISt17integral_constantIbLb0EES1A_IbLb1EEEEDaS16_S17_EUlS16_E_NS1_11comp_targetILNS1_3genE5ELNS1_11target_archE942ELNS1_3gpuE9ELNS1_3repE0EEENS1_30default_config_static_selectorELNS0_4arch9wavefront6targetE0EEEvT1_.uses_flat_scratch, 0
	.set _ZN7rocprim17ROCPRIM_400000_NS6detail17trampoline_kernelINS0_14default_configENS1_25partition_config_selectorILNS1_17partition_subalgoE6EjNS0_10empty_typeEbEEZZNS1_14partition_implILS5_6ELb0ES3_mN6thrust23THRUST_200600_302600_NS6detail15normal_iteratorINSA_10device_ptrIjEEEEPS6_SG_NS0_5tupleIJNSA_16discard_iteratorINSA_11use_defaultEEES6_EEENSH_IJSG_SG_EEES6_PlJNSB_9not_fun_tINSB_14equal_to_valueIjEEEEEEE10hipError_tPvRmT3_T4_T5_T6_T7_T9_mT8_P12ihipStream_tbDpT10_ENKUlT_T0_E_clISt17integral_constantIbLb0EES1A_IbLb1EEEEDaS16_S17_EUlS16_E_NS1_11comp_targetILNS1_3genE5ELNS1_11target_archE942ELNS1_3gpuE9ELNS1_3repE0EEENS1_30default_config_static_selectorELNS0_4arch9wavefront6targetE0EEEvT1_.has_dyn_sized_stack, 0
	.set _ZN7rocprim17ROCPRIM_400000_NS6detail17trampoline_kernelINS0_14default_configENS1_25partition_config_selectorILNS1_17partition_subalgoE6EjNS0_10empty_typeEbEEZZNS1_14partition_implILS5_6ELb0ES3_mN6thrust23THRUST_200600_302600_NS6detail15normal_iteratorINSA_10device_ptrIjEEEEPS6_SG_NS0_5tupleIJNSA_16discard_iteratorINSA_11use_defaultEEES6_EEENSH_IJSG_SG_EEES6_PlJNSB_9not_fun_tINSB_14equal_to_valueIjEEEEEEE10hipError_tPvRmT3_T4_T5_T6_T7_T9_mT8_P12ihipStream_tbDpT10_ENKUlT_T0_E_clISt17integral_constantIbLb0EES1A_IbLb1EEEEDaS16_S17_EUlS16_E_NS1_11comp_targetILNS1_3genE5ELNS1_11target_archE942ELNS1_3gpuE9ELNS1_3repE0EEENS1_30default_config_static_selectorELNS0_4arch9wavefront6targetE0EEEvT1_.has_recursion, 0
	.set _ZN7rocprim17ROCPRIM_400000_NS6detail17trampoline_kernelINS0_14default_configENS1_25partition_config_selectorILNS1_17partition_subalgoE6EjNS0_10empty_typeEbEEZZNS1_14partition_implILS5_6ELb0ES3_mN6thrust23THRUST_200600_302600_NS6detail15normal_iteratorINSA_10device_ptrIjEEEEPS6_SG_NS0_5tupleIJNSA_16discard_iteratorINSA_11use_defaultEEES6_EEENSH_IJSG_SG_EEES6_PlJNSB_9not_fun_tINSB_14equal_to_valueIjEEEEEEE10hipError_tPvRmT3_T4_T5_T6_T7_T9_mT8_P12ihipStream_tbDpT10_ENKUlT_T0_E_clISt17integral_constantIbLb0EES1A_IbLb1EEEEDaS16_S17_EUlS16_E_NS1_11comp_targetILNS1_3genE5ELNS1_11target_archE942ELNS1_3gpuE9ELNS1_3repE0EEENS1_30default_config_static_selectorELNS0_4arch9wavefront6targetE0EEEvT1_.has_indirect_call, 0
	.section	.AMDGPU.csdata,"",@progbits
; Kernel info:
; codeLenInByte = 0
; TotalNumSgprs: 0
; NumVgprs: 0
; ScratchSize: 0
; MemoryBound: 0
; FloatMode: 240
; IeeeMode: 1
; LDSByteSize: 0 bytes/workgroup (compile time only)
; SGPRBlocks: 0
; VGPRBlocks: 0
; NumSGPRsForWavesPerEU: 1
; NumVGPRsForWavesPerEU: 1
; Occupancy: 16
; WaveLimiterHint : 0
; COMPUTE_PGM_RSRC2:SCRATCH_EN: 0
; COMPUTE_PGM_RSRC2:USER_SGPR: 2
; COMPUTE_PGM_RSRC2:TRAP_HANDLER: 0
; COMPUTE_PGM_RSRC2:TGID_X_EN: 1
; COMPUTE_PGM_RSRC2:TGID_Y_EN: 0
; COMPUTE_PGM_RSRC2:TGID_Z_EN: 0
; COMPUTE_PGM_RSRC2:TIDIG_COMP_CNT: 0
	.section	.text._ZN7rocprim17ROCPRIM_400000_NS6detail17trampoline_kernelINS0_14default_configENS1_25partition_config_selectorILNS1_17partition_subalgoE6EjNS0_10empty_typeEbEEZZNS1_14partition_implILS5_6ELb0ES3_mN6thrust23THRUST_200600_302600_NS6detail15normal_iteratorINSA_10device_ptrIjEEEEPS6_SG_NS0_5tupleIJNSA_16discard_iteratorINSA_11use_defaultEEES6_EEENSH_IJSG_SG_EEES6_PlJNSB_9not_fun_tINSB_14equal_to_valueIjEEEEEEE10hipError_tPvRmT3_T4_T5_T6_T7_T9_mT8_P12ihipStream_tbDpT10_ENKUlT_T0_E_clISt17integral_constantIbLb0EES1A_IbLb1EEEEDaS16_S17_EUlS16_E_NS1_11comp_targetILNS1_3genE4ELNS1_11target_archE910ELNS1_3gpuE8ELNS1_3repE0EEENS1_30default_config_static_selectorELNS0_4arch9wavefront6targetE0EEEvT1_,"axG",@progbits,_ZN7rocprim17ROCPRIM_400000_NS6detail17trampoline_kernelINS0_14default_configENS1_25partition_config_selectorILNS1_17partition_subalgoE6EjNS0_10empty_typeEbEEZZNS1_14partition_implILS5_6ELb0ES3_mN6thrust23THRUST_200600_302600_NS6detail15normal_iteratorINSA_10device_ptrIjEEEEPS6_SG_NS0_5tupleIJNSA_16discard_iteratorINSA_11use_defaultEEES6_EEENSH_IJSG_SG_EEES6_PlJNSB_9not_fun_tINSB_14equal_to_valueIjEEEEEEE10hipError_tPvRmT3_T4_T5_T6_T7_T9_mT8_P12ihipStream_tbDpT10_ENKUlT_T0_E_clISt17integral_constantIbLb0EES1A_IbLb1EEEEDaS16_S17_EUlS16_E_NS1_11comp_targetILNS1_3genE4ELNS1_11target_archE910ELNS1_3gpuE8ELNS1_3repE0EEENS1_30default_config_static_selectorELNS0_4arch9wavefront6targetE0EEEvT1_,comdat
	.protected	_ZN7rocprim17ROCPRIM_400000_NS6detail17trampoline_kernelINS0_14default_configENS1_25partition_config_selectorILNS1_17partition_subalgoE6EjNS0_10empty_typeEbEEZZNS1_14partition_implILS5_6ELb0ES3_mN6thrust23THRUST_200600_302600_NS6detail15normal_iteratorINSA_10device_ptrIjEEEEPS6_SG_NS0_5tupleIJNSA_16discard_iteratorINSA_11use_defaultEEES6_EEENSH_IJSG_SG_EEES6_PlJNSB_9not_fun_tINSB_14equal_to_valueIjEEEEEEE10hipError_tPvRmT3_T4_T5_T6_T7_T9_mT8_P12ihipStream_tbDpT10_ENKUlT_T0_E_clISt17integral_constantIbLb0EES1A_IbLb1EEEEDaS16_S17_EUlS16_E_NS1_11comp_targetILNS1_3genE4ELNS1_11target_archE910ELNS1_3gpuE8ELNS1_3repE0EEENS1_30default_config_static_selectorELNS0_4arch9wavefront6targetE0EEEvT1_ ; -- Begin function _ZN7rocprim17ROCPRIM_400000_NS6detail17trampoline_kernelINS0_14default_configENS1_25partition_config_selectorILNS1_17partition_subalgoE6EjNS0_10empty_typeEbEEZZNS1_14partition_implILS5_6ELb0ES3_mN6thrust23THRUST_200600_302600_NS6detail15normal_iteratorINSA_10device_ptrIjEEEEPS6_SG_NS0_5tupleIJNSA_16discard_iteratorINSA_11use_defaultEEES6_EEENSH_IJSG_SG_EEES6_PlJNSB_9not_fun_tINSB_14equal_to_valueIjEEEEEEE10hipError_tPvRmT3_T4_T5_T6_T7_T9_mT8_P12ihipStream_tbDpT10_ENKUlT_T0_E_clISt17integral_constantIbLb0EES1A_IbLb1EEEEDaS16_S17_EUlS16_E_NS1_11comp_targetILNS1_3genE4ELNS1_11target_archE910ELNS1_3gpuE8ELNS1_3repE0EEENS1_30default_config_static_selectorELNS0_4arch9wavefront6targetE0EEEvT1_
	.globl	_ZN7rocprim17ROCPRIM_400000_NS6detail17trampoline_kernelINS0_14default_configENS1_25partition_config_selectorILNS1_17partition_subalgoE6EjNS0_10empty_typeEbEEZZNS1_14partition_implILS5_6ELb0ES3_mN6thrust23THRUST_200600_302600_NS6detail15normal_iteratorINSA_10device_ptrIjEEEEPS6_SG_NS0_5tupleIJNSA_16discard_iteratorINSA_11use_defaultEEES6_EEENSH_IJSG_SG_EEES6_PlJNSB_9not_fun_tINSB_14equal_to_valueIjEEEEEEE10hipError_tPvRmT3_T4_T5_T6_T7_T9_mT8_P12ihipStream_tbDpT10_ENKUlT_T0_E_clISt17integral_constantIbLb0EES1A_IbLb1EEEEDaS16_S17_EUlS16_E_NS1_11comp_targetILNS1_3genE4ELNS1_11target_archE910ELNS1_3gpuE8ELNS1_3repE0EEENS1_30default_config_static_selectorELNS0_4arch9wavefront6targetE0EEEvT1_
	.p2align	8
	.type	_ZN7rocprim17ROCPRIM_400000_NS6detail17trampoline_kernelINS0_14default_configENS1_25partition_config_selectorILNS1_17partition_subalgoE6EjNS0_10empty_typeEbEEZZNS1_14partition_implILS5_6ELb0ES3_mN6thrust23THRUST_200600_302600_NS6detail15normal_iteratorINSA_10device_ptrIjEEEEPS6_SG_NS0_5tupleIJNSA_16discard_iteratorINSA_11use_defaultEEES6_EEENSH_IJSG_SG_EEES6_PlJNSB_9not_fun_tINSB_14equal_to_valueIjEEEEEEE10hipError_tPvRmT3_T4_T5_T6_T7_T9_mT8_P12ihipStream_tbDpT10_ENKUlT_T0_E_clISt17integral_constantIbLb0EES1A_IbLb1EEEEDaS16_S17_EUlS16_E_NS1_11comp_targetILNS1_3genE4ELNS1_11target_archE910ELNS1_3gpuE8ELNS1_3repE0EEENS1_30default_config_static_selectorELNS0_4arch9wavefront6targetE0EEEvT1_,@function
_ZN7rocprim17ROCPRIM_400000_NS6detail17trampoline_kernelINS0_14default_configENS1_25partition_config_selectorILNS1_17partition_subalgoE6EjNS0_10empty_typeEbEEZZNS1_14partition_implILS5_6ELb0ES3_mN6thrust23THRUST_200600_302600_NS6detail15normal_iteratorINSA_10device_ptrIjEEEEPS6_SG_NS0_5tupleIJNSA_16discard_iteratorINSA_11use_defaultEEES6_EEENSH_IJSG_SG_EEES6_PlJNSB_9not_fun_tINSB_14equal_to_valueIjEEEEEEE10hipError_tPvRmT3_T4_T5_T6_T7_T9_mT8_P12ihipStream_tbDpT10_ENKUlT_T0_E_clISt17integral_constantIbLb0EES1A_IbLb1EEEEDaS16_S17_EUlS16_E_NS1_11comp_targetILNS1_3genE4ELNS1_11target_archE910ELNS1_3gpuE8ELNS1_3repE0EEENS1_30default_config_static_selectorELNS0_4arch9wavefront6targetE0EEEvT1_: ; @_ZN7rocprim17ROCPRIM_400000_NS6detail17trampoline_kernelINS0_14default_configENS1_25partition_config_selectorILNS1_17partition_subalgoE6EjNS0_10empty_typeEbEEZZNS1_14partition_implILS5_6ELb0ES3_mN6thrust23THRUST_200600_302600_NS6detail15normal_iteratorINSA_10device_ptrIjEEEEPS6_SG_NS0_5tupleIJNSA_16discard_iteratorINSA_11use_defaultEEES6_EEENSH_IJSG_SG_EEES6_PlJNSB_9not_fun_tINSB_14equal_to_valueIjEEEEEEE10hipError_tPvRmT3_T4_T5_T6_T7_T9_mT8_P12ihipStream_tbDpT10_ENKUlT_T0_E_clISt17integral_constantIbLb0EES1A_IbLb1EEEEDaS16_S17_EUlS16_E_NS1_11comp_targetILNS1_3genE4ELNS1_11target_archE910ELNS1_3gpuE8ELNS1_3repE0EEENS1_30default_config_static_selectorELNS0_4arch9wavefront6targetE0EEEvT1_
; %bb.0:
	.section	.rodata,"a",@progbits
	.p2align	6, 0x0
	.amdhsa_kernel _ZN7rocprim17ROCPRIM_400000_NS6detail17trampoline_kernelINS0_14default_configENS1_25partition_config_selectorILNS1_17partition_subalgoE6EjNS0_10empty_typeEbEEZZNS1_14partition_implILS5_6ELb0ES3_mN6thrust23THRUST_200600_302600_NS6detail15normal_iteratorINSA_10device_ptrIjEEEEPS6_SG_NS0_5tupleIJNSA_16discard_iteratorINSA_11use_defaultEEES6_EEENSH_IJSG_SG_EEES6_PlJNSB_9not_fun_tINSB_14equal_to_valueIjEEEEEEE10hipError_tPvRmT3_T4_T5_T6_T7_T9_mT8_P12ihipStream_tbDpT10_ENKUlT_T0_E_clISt17integral_constantIbLb0EES1A_IbLb1EEEEDaS16_S17_EUlS16_E_NS1_11comp_targetILNS1_3genE4ELNS1_11target_archE910ELNS1_3gpuE8ELNS1_3repE0EEENS1_30default_config_static_selectorELNS0_4arch9wavefront6targetE0EEEvT1_
		.amdhsa_group_segment_fixed_size 0
		.amdhsa_private_segment_fixed_size 0
		.amdhsa_kernarg_size 136
		.amdhsa_user_sgpr_count 2
		.amdhsa_user_sgpr_dispatch_ptr 0
		.amdhsa_user_sgpr_queue_ptr 0
		.amdhsa_user_sgpr_kernarg_segment_ptr 1
		.amdhsa_user_sgpr_dispatch_id 0
		.amdhsa_user_sgpr_private_segment_size 0
		.amdhsa_wavefront_size32 1
		.amdhsa_uses_dynamic_stack 0
		.amdhsa_enable_private_segment 0
		.amdhsa_system_sgpr_workgroup_id_x 1
		.amdhsa_system_sgpr_workgroup_id_y 0
		.amdhsa_system_sgpr_workgroup_id_z 0
		.amdhsa_system_sgpr_workgroup_info 0
		.amdhsa_system_vgpr_workitem_id 0
		.amdhsa_next_free_vgpr 1
		.amdhsa_next_free_sgpr 1
		.amdhsa_reserve_vcc 0
		.amdhsa_float_round_mode_32 0
		.amdhsa_float_round_mode_16_64 0
		.amdhsa_float_denorm_mode_32 3
		.amdhsa_float_denorm_mode_16_64 3
		.amdhsa_fp16_overflow 0
		.amdhsa_workgroup_processor_mode 1
		.amdhsa_memory_ordered 1
		.amdhsa_forward_progress 1
		.amdhsa_inst_pref_size 0
		.amdhsa_round_robin_scheduling 0
		.amdhsa_exception_fp_ieee_invalid_op 0
		.amdhsa_exception_fp_denorm_src 0
		.amdhsa_exception_fp_ieee_div_zero 0
		.amdhsa_exception_fp_ieee_overflow 0
		.amdhsa_exception_fp_ieee_underflow 0
		.amdhsa_exception_fp_ieee_inexact 0
		.amdhsa_exception_int_div_zero 0
	.end_amdhsa_kernel
	.section	.text._ZN7rocprim17ROCPRIM_400000_NS6detail17trampoline_kernelINS0_14default_configENS1_25partition_config_selectorILNS1_17partition_subalgoE6EjNS0_10empty_typeEbEEZZNS1_14partition_implILS5_6ELb0ES3_mN6thrust23THRUST_200600_302600_NS6detail15normal_iteratorINSA_10device_ptrIjEEEEPS6_SG_NS0_5tupleIJNSA_16discard_iteratorINSA_11use_defaultEEES6_EEENSH_IJSG_SG_EEES6_PlJNSB_9not_fun_tINSB_14equal_to_valueIjEEEEEEE10hipError_tPvRmT3_T4_T5_T6_T7_T9_mT8_P12ihipStream_tbDpT10_ENKUlT_T0_E_clISt17integral_constantIbLb0EES1A_IbLb1EEEEDaS16_S17_EUlS16_E_NS1_11comp_targetILNS1_3genE4ELNS1_11target_archE910ELNS1_3gpuE8ELNS1_3repE0EEENS1_30default_config_static_selectorELNS0_4arch9wavefront6targetE0EEEvT1_,"axG",@progbits,_ZN7rocprim17ROCPRIM_400000_NS6detail17trampoline_kernelINS0_14default_configENS1_25partition_config_selectorILNS1_17partition_subalgoE6EjNS0_10empty_typeEbEEZZNS1_14partition_implILS5_6ELb0ES3_mN6thrust23THRUST_200600_302600_NS6detail15normal_iteratorINSA_10device_ptrIjEEEEPS6_SG_NS0_5tupleIJNSA_16discard_iteratorINSA_11use_defaultEEES6_EEENSH_IJSG_SG_EEES6_PlJNSB_9not_fun_tINSB_14equal_to_valueIjEEEEEEE10hipError_tPvRmT3_T4_T5_T6_T7_T9_mT8_P12ihipStream_tbDpT10_ENKUlT_T0_E_clISt17integral_constantIbLb0EES1A_IbLb1EEEEDaS16_S17_EUlS16_E_NS1_11comp_targetILNS1_3genE4ELNS1_11target_archE910ELNS1_3gpuE8ELNS1_3repE0EEENS1_30default_config_static_selectorELNS0_4arch9wavefront6targetE0EEEvT1_,comdat
.Lfunc_end1687:
	.size	_ZN7rocprim17ROCPRIM_400000_NS6detail17trampoline_kernelINS0_14default_configENS1_25partition_config_selectorILNS1_17partition_subalgoE6EjNS0_10empty_typeEbEEZZNS1_14partition_implILS5_6ELb0ES3_mN6thrust23THRUST_200600_302600_NS6detail15normal_iteratorINSA_10device_ptrIjEEEEPS6_SG_NS0_5tupleIJNSA_16discard_iteratorINSA_11use_defaultEEES6_EEENSH_IJSG_SG_EEES6_PlJNSB_9not_fun_tINSB_14equal_to_valueIjEEEEEEE10hipError_tPvRmT3_T4_T5_T6_T7_T9_mT8_P12ihipStream_tbDpT10_ENKUlT_T0_E_clISt17integral_constantIbLb0EES1A_IbLb1EEEEDaS16_S17_EUlS16_E_NS1_11comp_targetILNS1_3genE4ELNS1_11target_archE910ELNS1_3gpuE8ELNS1_3repE0EEENS1_30default_config_static_selectorELNS0_4arch9wavefront6targetE0EEEvT1_, .Lfunc_end1687-_ZN7rocprim17ROCPRIM_400000_NS6detail17trampoline_kernelINS0_14default_configENS1_25partition_config_selectorILNS1_17partition_subalgoE6EjNS0_10empty_typeEbEEZZNS1_14partition_implILS5_6ELb0ES3_mN6thrust23THRUST_200600_302600_NS6detail15normal_iteratorINSA_10device_ptrIjEEEEPS6_SG_NS0_5tupleIJNSA_16discard_iteratorINSA_11use_defaultEEES6_EEENSH_IJSG_SG_EEES6_PlJNSB_9not_fun_tINSB_14equal_to_valueIjEEEEEEE10hipError_tPvRmT3_T4_T5_T6_T7_T9_mT8_P12ihipStream_tbDpT10_ENKUlT_T0_E_clISt17integral_constantIbLb0EES1A_IbLb1EEEEDaS16_S17_EUlS16_E_NS1_11comp_targetILNS1_3genE4ELNS1_11target_archE910ELNS1_3gpuE8ELNS1_3repE0EEENS1_30default_config_static_selectorELNS0_4arch9wavefront6targetE0EEEvT1_
                                        ; -- End function
	.set _ZN7rocprim17ROCPRIM_400000_NS6detail17trampoline_kernelINS0_14default_configENS1_25partition_config_selectorILNS1_17partition_subalgoE6EjNS0_10empty_typeEbEEZZNS1_14partition_implILS5_6ELb0ES3_mN6thrust23THRUST_200600_302600_NS6detail15normal_iteratorINSA_10device_ptrIjEEEEPS6_SG_NS0_5tupleIJNSA_16discard_iteratorINSA_11use_defaultEEES6_EEENSH_IJSG_SG_EEES6_PlJNSB_9not_fun_tINSB_14equal_to_valueIjEEEEEEE10hipError_tPvRmT3_T4_T5_T6_T7_T9_mT8_P12ihipStream_tbDpT10_ENKUlT_T0_E_clISt17integral_constantIbLb0EES1A_IbLb1EEEEDaS16_S17_EUlS16_E_NS1_11comp_targetILNS1_3genE4ELNS1_11target_archE910ELNS1_3gpuE8ELNS1_3repE0EEENS1_30default_config_static_selectorELNS0_4arch9wavefront6targetE0EEEvT1_.num_vgpr, 0
	.set _ZN7rocprim17ROCPRIM_400000_NS6detail17trampoline_kernelINS0_14default_configENS1_25partition_config_selectorILNS1_17partition_subalgoE6EjNS0_10empty_typeEbEEZZNS1_14partition_implILS5_6ELb0ES3_mN6thrust23THRUST_200600_302600_NS6detail15normal_iteratorINSA_10device_ptrIjEEEEPS6_SG_NS0_5tupleIJNSA_16discard_iteratorINSA_11use_defaultEEES6_EEENSH_IJSG_SG_EEES6_PlJNSB_9not_fun_tINSB_14equal_to_valueIjEEEEEEE10hipError_tPvRmT3_T4_T5_T6_T7_T9_mT8_P12ihipStream_tbDpT10_ENKUlT_T0_E_clISt17integral_constantIbLb0EES1A_IbLb1EEEEDaS16_S17_EUlS16_E_NS1_11comp_targetILNS1_3genE4ELNS1_11target_archE910ELNS1_3gpuE8ELNS1_3repE0EEENS1_30default_config_static_selectorELNS0_4arch9wavefront6targetE0EEEvT1_.num_agpr, 0
	.set _ZN7rocprim17ROCPRIM_400000_NS6detail17trampoline_kernelINS0_14default_configENS1_25partition_config_selectorILNS1_17partition_subalgoE6EjNS0_10empty_typeEbEEZZNS1_14partition_implILS5_6ELb0ES3_mN6thrust23THRUST_200600_302600_NS6detail15normal_iteratorINSA_10device_ptrIjEEEEPS6_SG_NS0_5tupleIJNSA_16discard_iteratorINSA_11use_defaultEEES6_EEENSH_IJSG_SG_EEES6_PlJNSB_9not_fun_tINSB_14equal_to_valueIjEEEEEEE10hipError_tPvRmT3_T4_T5_T6_T7_T9_mT8_P12ihipStream_tbDpT10_ENKUlT_T0_E_clISt17integral_constantIbLb0EES1A_IbLb1EEEEDaS16_S17_EUlS16_E_NS1_11comp_targetILNS1_3genE4ELNS1_11target_archE910ELNS1_3gpuE8ELNS1_3repE0EEENS1_30default_config_static_selectorELNS0_4arch9wavefront6targetE0EEEvT1_.numbered_sgpr, 0
	.set _ZN7rocprim17ROCPRIM_400000_NS6detail17trampoline_kernelINS0_14default_configENS1_25partition_config_selectorILNS1_17partition_subalgoE6EjNS0_10empty_typeEbEEZZNS1_14partition_implILS5_6ELb0ES3_mN6thrust23THRUST_200600_302600_NS6detail15normal_iteratorINSA_10device_ptrIjEEEEPS6_SG_NS0_5tupleIJNSA_16discard_iteratorINSA_11use_defaultEEES6_EEENSH_IJSG_SG_EEES6_PlJNSB_9not_fun_tINSB_14equal_to_valueIjEEEEEEE10hipError_tPvRmT3_T4_T5_T6_T7_T9_mT8_P12ihipStream_tbDpT10_ENKUlT_T0_E_clISt17integral_constantIbLb0EES1A_IbLb1EEEEDaS16_S17_EUlS16_E_NS1_11comp_targetILNS1_3genE4ELNS1_11target_archE910ELNS1_3gpuE8ELNS1_3repE0EEENS1_30default_config_static_selectorELNS0_4arch9wavefront6targetE0EEEvT1_.num_named_barrier, 0
	.set _ZN7rocprim17ROCPRIM_400000_NS6detail17trampoline_kernelINS0_14default_configENS1_25partition_config_selectorILNS1_17partition_subalgoE6EjNS0_10empty_typeEbEEZZNS1_14partition_implILS5_6ELb0ES3_mN6thrust23THRUST_200600_302600_NS6detail15normal_iteratorINSA_10device_ptrIjEEEEPS6_SG_NS0_5tupleIJNSA_16discard_iteratorINSA_11use_defaultEEES6_EEENSH_IJSG_SG_EEES6_PlJNSB_9not_fun_tINSB_14equal_to_valueIjEEEEEEE10hipError_tPvRmT3_T4_T5_T6_T7_T9_mT8_P12ihipStream_tbDpT10_ENKUlT_T0_E_clISt17integral_constantIbLb0EES1A_IbLb1EEEEDaS16_S17_EUlS16_E_NS1_11comp_targetILNS1_3genE4ELNS1_11target_archE910ELNS1_3gpuE8ELNS1_3repE0EEENS1_30default_config_static_selectorELNS0_4arch9wavefront6targetE0EEEvT1_.private_seg_size, 0
	.set _ZN7rocprim17ROCPRIM_400000_NS6detail17trampoline_kernelINS0_14default_configENS1_25partition_config_selectorILNS1_17partition_subalgoE6EjNS0_10empty_typeEbEEZZNS1_14partition_implILS5_6ELb0ES3_mN6thrust23THRUST_200600_302600_NS6detail15normal_iteratorINSA_10device_ptrIjEEEEPS6_SG_NS0_5tupleIJNSA_16discard_iteratorINSA_11use_defaultEEES6_EEENSH_IJSG_SG_EEES6_PlJNSB_9not_fun_tINSB_14equal_to_valueIjEEEEEEE10hipError_tPvRmT3_T4_T5_T6_T7_T9_mT8_P12ihipStream_tbDpT10_ENKUlT_T0_E_clISt17integral_constantIbLb0EES1A_IbLb1EEEEDaS16_S17_EUlS16_E_NS1_11comp_targetILNS1_3genE4ELNS1_11target_archE910ELNS1_3gpuE8ELNS1_3repE0EEENS1_30default_config_static_selectorELNS0_4arch9wavefront6targetE0EEEvT1_.uses_vcc, 0
	.set _ZN7rocprim17ROCPRIM_400000_NS6detail17trampoline_kernelINS0_14default_configENS1_25partition_config_selectorILNS1_17partition_subalgoE6EjNS0_10empty_typeEbEEZZNS1_14partition_implILS5_6ELb0ES3_mN6thrust23THRUST_200600_302600_NS6detail15normal_iteratorINSA_10device_ptrIjEEEEPS6_SG_NS0_5tupleIJNSA_16discard_iteratorINSA_11use_defaultEEES6_EEENSH_IJSG_SG_EEES6_PlJNSB_9not_fun_tINSB_14equal_to_valueIjEEEEEEE10hipError_tPvRmT3_T4_T5_T6_T7_T9_mT8_P12ihipStream_tbDpT10_ENKUlT_T0_E_clISt17integral_constantIbLb0EES1A_IbLb1EEEEDaS16_S17_EUlS16_E_NS1_11comp_targetILNS1_3genE4ELNS1_11target_archE910ELNS1_3gpuE8ELNS1_3repE0EEENS1_30default_config_static_selectorELNS0_4arch9wavefront6targetE0EEEvT1_.uses_flat_scratch, 0
	.set _ZN7rocprim17ROCPRIM_400000_NS6detail17trampoline_kernelINS0_14default_configENS1_25partition_config_selectorILNS1_17partition_subalgoE6EjNS0_10empty_typeEbEEZZNS1_14partition_implILS5_6ELb0ES3_mN6thrust23THRUST_200600_302600_NS6detail15normal_iteratorINSA_10device_ptrIjEEEEPS6_SG_NS0_5tupleIJNSA_16discard_iteratorINSA_11use_defaultEEES6_EEENSH_IJSG_SG_EEES6_PlJNSB_9not_fun_tINSB_14equal_to_valueIjEEEEEEE10hipError_tPvRmT3_T4_T5_T6_T7_T9_mT8_P12ihipStream_tbDpT10_ENKUlT_T0_E_clISt17integral_constantIbLb0EES1A_IbLb1EEEEDaS16_S17_EUlS16_E_NS1_11comp_targetILNS1_3genE4ELNS1_11target_archE910ELNS1_3gpuE8ELNS1_3repE0EEENS1_30default_config_static_selectorELNS0_4arch9wavefront6targetE0EEEvT1_.has_dyn_sized_stack, 0
	.set _ZN7rocprim17ROCPRIM_400000_NS6detail17trampoline_kernelINS0_14default_configENS1_25partition_config_selectorILNS1_17partition_subalgoE6EjNS0_10empty_typeEbEEZZNS1_14partition_implILS5_6ELb0ES3_mN6thrust23THRUST_200600_302600_NS6detail15normal_iteratorINSA_10device_ptrIjEEEEPS6_SG_NS0_5tupleIJNSA_16discard_iteratorINSA_11use_defaultEEES6_EEENSH_IJSG_SG_EEES6_PlJNSB_9not_fun_tINSB_14equal_to_valueIjEEEEEEE10hipError_tPvRmT3_T4_T5_T6_T7_T9_mT8_P12ihipStream_tbDpT10_ENKUlT_T0_E_clISt17integral_constantIbLb0EES1A_IbLb1EEEEDaS16_S17_EUlS16_E_NS1_11comp_targetILNS1_3genE4ELNS1_11target_archE910ELNS1_3gpuE8ELNS1_3repE0EEENS1_30default_config_static_selectorELNS0_4arch9wavefront6targetE0EEEvT1_.has_recursion, 0
	.set _ZN7rocprim17ROCPRIM_400000_NS6detail17trampoline_kernelINS0_14default_configENS1_25partition_config_selectorILNS1_17partition_subalgoE6EjNS0_10empty_typeEbEEZZNS1_14partition_implILS5_6ELb0ES3_mN6thrust23THRUST_200600_302600_NS6detail15normal_iteratorINSA_10device_ptrIjEEEEPS6_SG_NS0_5tupleIJNSA_16discard_iteratorINSA_11use_defaultEEES6_EEENSH_IJSG_SG_EEES6_PlJNSB_9not_fun_tINSB_14equal_to_valueIjEEEEEEE10hipError_tPvRmT3_T4_T5_T6_T7_T9_mT8_P12ihipStream_tbDpT10_ENKUlT_T0_E_clISt17integral_constantIbLb0EES1A_IbLb1EEEEDaS16_S17_EUlS16_E_NS1_11comp_targetILNS1_3genE4ELNS1_11target_archE910ELNS1_3gpuE8ELNS1_3repE0EEENS1_30default_config_static_selectorELNS0_4arch9wavefront6targetE0EEEvT1_.has_indirect_call, 0
	.section	.AMDGPU.csdata,"",@progbits
; Kernel info:
; codeLenInByte = 0
; TotalNumSgprs: 0
; NumVgprs: 0
; ScratchSize: 0
; MemoryBound: 0
; FloatMode: 240
; IeeeMode: 1
; LDSByteSize: 0 bytes/workgroup (compile time only)
; SGPRBlocks: 0
; VGPRBlocks: 0
; NumSGPRsForWavesPerEU: 1
; NumVGPRsForWavesPerEU: 1
; Occupancy: 16
; WaveLimiterHint : 0
; COMPUTE_PGM_RSRC2:SCRATCH_EN: 0
; COMPUTE_PGM_RSRC2:USER_SGPR: 2
; COMPUTE_PGM_RSRC2:TRAP_HANDLER: 0
; COMPUTE_PGM_RSRC2:TGID_X_EN: 1
; COMPUTE_PGM_RSRC2:TGID_Y_EN: 0
; COMPUTE_PGM_RSRC2:TGID_Z_EN: 0
; COMPUTE_PGM_RSRC2:TIDIG_COMP_CNT: 0
	.section	.text._ZN7rocprim17ROCPRIM_400000_NS6detail17trampoline_kernelINS0_14default_configENS1_25partition_config_selectorILNS1_17partition_subalgoE6EjNS0_10empty_typeEbEEZZNS1_14partition_implILS5_6ELb0ES3_mN6thrust23THRUST_200600_302600_NS6detail15normal_iteratorINSA_10device_ptrIjEEEEPS6_SG_NS0_5tupleIJNSA_16discard_iteratorINSA_11use_defaultEEES6_EEENSH_IJSG_SG_EEES6_PlJNSB_9not_fun_tINSB_14equal_to_valueIjEEEEEEE10hipError_tPvRmT3_T4_T5_T6_T7_T9_mT8_P12ihipStream_tbDpT10_ENKUlT_T0_E_clISt17integral_constantIbLb0EES1A_IbLb1EEEEDaS16_S17_EUlS16_E_NS1_11comp_targetILNS1_3genE3ELNS1_11target_archE908ELNS1_3gpuE7ELNS1_3repE0EEENS1_30default_config_static_selectorELNS0_4arch9wavefront6targetE0EEEvT1_,"axG",@progbits,_ZN7rocprim17ROCPRIM_400000_NS6detail17trampoline_kernelINS0_14default_configENS1_25partition_config_selectorILNS1_17partition_subalgoE6EjNS0_10empty_typeEbEEZZNS1_14partition_implILS5_6ELb0ES3_mN6thrust23THRUST_200600_302600_NS6detail15normal_iteratorINSA_10device_ptrIjEEEEPS6_SG_NS0_5tupleIJNSA_16discard_iteratorINSA_11use_defaultEEES6_EEENSH_IJSG_SG_EEES6_PlJNSB_9not_fun_tINSB_14equal_to_valueIjEEEEEEE10hipError_tPvRmT3_T4_T5_T6_T7_T9_mT8_P12ihipStream_tbDpT10_ENKUlT_T0_E_clISt17integral_constantIbLb0EES1A_IbLb1EEEEDaS16_S17_EUlS16_E_NS1_11comp_targetILNS1_3genE3ELNS1_11target_archE908ELNS1_3gpuE7ELNS1_3repE0EEENS1_30default_config_static_selectorELNS0_4arch9wavefront6targetE0EEEvT1_,comdat
	.protected	_ZN7rocprim17ROCPRIM_400000_NS6detail17trampoline_kernelINS0_14default_configENS1_25partition_config_selectorILNS1_17partition_subalgoE6EjNS0_10empty_typeEbEEZZNS1_14partition_implILS5_6ELb0ES3_mN6thrust23THRUST_200600_302600_NS6detail15normal_iteratorINSA_10device_ptrIjEEEEPS6_SG_NS0_5tupleIJNSA_16discard_iteratorINSA_11use_defaultEEES6_EEENSH_IJSG_SG_EEES6_PlJNSB_9not_fun_tINSB_14equal_to_valueIjEEEEEEE10hipError_tPvRmT3_T4_T5_T6_T7_T9_mT8_P12ihipStream_tbDpT10_ENKUlT_T0_E_clISt17integral_constantIbLb0EES1A_IbLb1EEEEDaS16_S17_EUlS16_E_NS1_11comp_targetILNS1_3genE3ELNS1_11target_archE908ELNS1_3gpuE7ELNS1_3repE0EEENS1_30default_config_static_selectorELNS0_4arch9wavefront6targetE0EEEvT1_ ; -- Begin function _ZN7rocprim17ROCPRIM_400000_NS6detail17trampoline_kernelINS0_14default_configENS1_25partition_config_selectorILNS1_17partition_subalgoE6EjNS0_10empty_typeEbEEZZNS1_14partition_implILS5_6ELb0ES3_mN6thrust23THRUST_200600_302600_NS6detail15normal_iteratorINSA_10device_ptrIjEEEEPS6_SG_NS0_5tupleIJNSA_16discard_iteratorINSA_11use_defaultEEES6_EEENSH_IJSG_SG_EEES6_PlJNSB_9not_fun_tINSB_14equal_to_valueIjEEEEEEE10hipError_tPvRmT3_T4_T5_T6_T7_T9_mT8_P12ihipStream_tbDpT10_ENKUlT_T0_E_clISt17integral_constantIbLb0EES1A_IbLb1EEEEDaS16_S17_EUlS16_E_NS1_11comp_targetILNS1_3genE3ELNS1_11target_archE908ELNS1_3gpuE7ELNS1_3repE0EEENS1_30default_config_static_selectorELNS0_4arch9wavefront6targetE0EEEvT1_
	.globl	_ZN7rocprim17ROCPRIM_400000_NS6detail17trampoline_kernelINS0_14default_configENS1_25partition_config_selectorILNS1_17partition_subalgoE6EjNS0_10empty_typeEbEEZZNS1_14partition_implILS5_6ELb0ES3_mN6thrust23THRUST_200600_302600_NS6detail15normal_iteratorINSA_10device_ptrIjEEEEPS6_SG_NS0_5tupleIJNSA_16discard_iteratorINSA_11use_defaultEEES6_EEENSH_IJSG_SG_EEES6_PlJNSB_9not_fun_tINSB_14equal_to_valueIjEEEEEEE10hipError_tPvRmT3_T4_T5_T6_T7_T9_mT8_P12ihipStream_tbDpT10_ENKUlT_T0_E_clISt17integral_constantIbLb0EES1A_IbLb1EEEEDaS16_S17_EUlS16_E_NS1_11comp_targetILNS1_3genE3ELNS1_11target_archE908ELNS1_3gpuE7ELNS1_3repE0EEENS1_30default_config_static_selectorELNS0_4arch9wavefront6targetE0EEEvT1_
	.p2align	8
	.type	_ZN7rocprim17ROCPRIM_400000_NS6detail17trampoline_kernelINS0_14default_configENS1_25partition_config_selectorILNS1_17partition_subalgoE6EjNS0_10empty_typeEbEEZZNS1_14partition_implILS5_6ELb0ES3_mN6thrust23THRUST_200600_302600_NS6detail15normal_iteratorINSA_10device_ptrIjEEEEPS6_SG_NS0_5tupleIJNSA_16discard_iteratorINSA_11use_defaultEEES6_EEENSH_IJSG_SG_EEES6_PlJNSB_9not_fun_tINSB_14equal_to_valueIjEEEEEEE10hipError_tPvRmT3_T4_T5_T6_T7_T9_mT8_P12ihipStream_tbDpT10_ENKUlT_T0_E_clISt17integral_constantIbLb0EES1A_IbLb1EEEEDaS16_S17_EUlS16_E_NS1_11comp_targetILNS1_3genE3ELNS1_11target_archE908ELNS1_3gpuE7ELNS1_3repE0EEENS1_30default_config_static_selectorELNS0_4arch9wavefront6targetE0EEEvT1_,@function
_ZN7rocprim17ROCPRIM_400000_NS6detail17trampoline_kernelINS0_14default_configENS1_25partition_config_selectorILNS1_17partition_subalgoE6EjNS0_10empty_typeEbEEZZNS1_14partition_implILS5_6ELb0ES3_mN6thrust23THRUST_200600_302600_NS6detail15normal_iteratorINSA_10device_ptrIjEEEEPS6_SG_NS0_5tupleIJNSA_16discard_iteratorINSA_11use_defaultEEES6_EEENSH_IJSG_SG_EEES6_PlJNSB_9not_fun_tINSB_14equal_to_valueIjEEEEEEE10hipError_tPvRmT3_T4_T5_T6_T7_T9_mT8_P12ihipStream_tbDpT10_ENKUlT_T0_E_clISt17integral_constantIbLb0EES1A_IbLb1EEEEDaS16_S17_EUlS16_E_NS1_11comp_targetILNS1_3genE3ELNS1_11target_archE908ELNS1_3gpuE7ELNS1_3repE0EEENS1_30default_config_static_selectorELNS0_4arch9wavefront6targetE0EEEvT1_: ; @_ZN7rocprim17ROCPRIM_400000_NS6detail17trampoline_kernelINS0_14default_configENS1_25partition_config_selectorILNS1_17partition_subalgoE6EjNS0_10empty_typeEbEEZZNS1_14partition_implILS5_6ELb0ES3_mN6thrust23THRUST_200600_302600_NS6detail15normal_iteratorINSA_10device_ptrIjEEEEPS6_SG_NS0_5tupleIJNSA_16discard_iteratorINSA_11use_defaultEEES6_EEENSH_IJSG_SG_EEES6_PlJNSB_9not_fun_tINSB_14equal_to_valueIjEEEEEEE10hipError_tPvRmT3_T4_T5_T6_T7_T9_mT8_P12ihipStream_tbDpT10_ENKUlT_T0_E_clISt17integral_constantIbLb0EES1A_IbLb1EEEEDaS16_S17_EUlS16_E_NS1_11comp_targetILNS1_3genE3ELNS1_11target_archE908ELNS1_3gpuE7ELNS1_3repE0EEENS1_30default_config_static_selectorELNS0_4arch9wavefront6targetE0EEEvT1_
; %bb.0:
	.section	.rodata,"a",@progbits
	.p2align	6, 0x0
	.amdhsa_kernel _ZN7rocprim17ROCPRIM_400000_NS6detail17trampoline_kernelINS0_14default_configENS1_25partition_config_selectorILNS1_17partition_subalgoE6EjNS0_10empty_typeEbEEZZNS1_14partition_implILS5_6ELb0ES3_mN6thrust23THRUST_200600_302600_NS6detail15normal_iteratorINSA_10device_ptrIjEEEEPS6_SG_NS0_5tupleIJNSA_16discard_iteratorINSA_11use_defaultEEES6_EEENSH_IJSG_SG_EEES6_PlJNSB_9not_fun_tINSB_14equal_to_valueIjEEEEEEE10hipError_tPvRmT3_T4_T5_T6_T7_T9_mT8_P12ihipStream_tbDpT10_ENKUlT_T0_E_clISt17integral_constantIbLb0EES1A_IbLb1EEEEDaS16_S17_EUlS16_E_NS1_11comp_targetILNS1_3genE3ELNS1_11target_archE908ELNS1_3gpuE7ELNS1_3repE0EEENS1_30default_config_static_selectorELNS0_4arch9wavefront6targetE0EEEvT1_
		.amdhsa_group_segment_fixed_size 0
		.amdhsa_private_segment_fixed_size 0
		.amdhsa_kernarg_size 136
		.amdhsa_user_sgpr_count 2
		.amdhsa_user_sgpr_dispatch_ptr 0
		.amdhsa_user_sgpr_queue_ptr 0
		.amdhsa_user_sgpr_kernarg_segment_ptr 1
		.amdhsa_user_sgpr_dispatch_id 0
		.amdhsa_user_sgpr_private_segment_size 0
		.amdhsa_wavefront_size32 1
		.amdhsa_uses_dynamic_stack 0
		.amdhsa_enable_private_segment 0
		.amdhsa_system_sgpr_workgroup_id_x 1
		.amdhsa_system_sgpr_workgroup_id_y 0
		.amdhsa_system_sgpr_workgroup_id_z 0
		.amdhsa_system_sgpr_workgroup_info 0
		.amdhsa_system_vgpr_workitem_id 0
		.amdhsa_next_free_vgpr 1
		.amdhsa_next_free_sgpr 1
		.amdhsa_reserve_vcc 0
		.amdhsa_float_round_mode_32 0
		.amdhsa_float_round_mode_16_64 0
		.amdhsa_float_denorm_mode_32 3
		.amdhsa_float_denorm_mode_16_64 3
		.amdhsa_fp16_overflow 0
		.amdhsa_workgroup_processor_mode 1
		.amdhsa_memory_ordered 1
		.amdhsa_forward_progress 1
		.amdhsa_inst_pref_size 0
		.amdhsa_round_robin_scheduling 0
		.amdhsa_exception_fp_ieee_invalid_op 0
		.amdhsa_exception_fp_denorm_src 0
		.amdhsa_exception_fp_ieee_div_zero 0
		.amdhsa_exception_fp_ieee_overflow 0
		.amdhsa_exception_fp_ieee_underflow 0
		.amdhsa_exception_fp_ieee_inexact 0
		.amdhsa_exception_int_div_zero 0
	.end_amdhsa_kernel
	.section	.text._ZN7rocprim17ROCPRIM_400000_NS6detail17trampoline_kernelINS0_14default_configENS1_25partition_config_selectorILNS1_17partition_subalgoE6EjNS0_10empty_typeEbEEZZNS1_14partition_implILS5_6ELb0ES3_mN6thrust23THRUST_200600_302600_NS6detail15normal_iteratorINSA_10device_ptrIjEEEEPS6_SG_NS0_5tupleIJNSA_16discard_iteratorINSA_11use_defaultEEES6_EEENSH_IJSG_SG_EEES6_PlJNSB_9not_fun_tINSB_14equal_to_valueIjEEEEEEE10hipError_tPvRmT3_T4_T5_T6_T7_T9_mT8_P12ihipStream_tbDpT10_ENKUlT_T0_E_clISt17integral_constantIbLb0EES1A_IbLb1EEEEDaS16_S17_EUlS16_E_NS1_11comp_targetILNS1_3genE3ELNS1_11target_archE908ELNS1_3gpuE7ELNS1_3repE0EEENS1_30default_config_static_selectorELNS0_4arch9wavefront6targetE0EEEvT1_,"axG",@progbits,_ZN7rocprim17ROCPRIM_400000_NS6detail17trampoline_kernelINS0_14default_configENS1_25partition_config_selectorILNS1_17partition_subalgoE6EjNS0_10empty_typeEbEEZZNS1_14partition_implILS5_6ELb0ES3_mN6thrust23THRUST_200600_302600_NS6detail15normal_iteratorINSA_10device_ptrIjEEEEPS6_SG_NS0_5tupleIJNSA_16discard_iteratorINSA_11use_defaultEEES6_EEENSH_IJSG_SG_EEES6_PlJNSB_9not_fun_tINSB_14equal_to_valueIjEEEEEEE10hipError_tPvRmT3_T4_T5_T6_T7_T9_mT8_P12ihipStream_tbDpT10_ENKUlT_T0_E_clISt17integral_constantIbLb0EES1A_IbLb1EEEEDaS16_S17_EUlS16_E_NS1_11comp_targetILNS1_3genE3ELNS1_11target_archE908ELNS1_3gpuE7ELNS1_3repE0EEENS1_30default_config_static_selectorELNS0_4arch9wavefront6targetE0EEEvT1_,comdat
.Lfunc_end1688:
	.size	_ZN7rocprim17ROCPRIM_400000_NS6detail17trampoline_kernelINS0_14default_configENS1_25partition_config_selectorILNS1_17partition_subalgoE6EjNS0_10empty_typeEbEEZZNS1_14partition_implILS5_6ELb0ES3_mN6thrust23THRUST_200600_302600_NS6detail15normal_iteratorINSA_10device_ptrIjEEEEPS6_SG_NS0_5tupleIJNSA_16discard_iteratorINSA_11use_defaultEEES6_EEENSH_IJSG_SG_EEES6_PlJNSB_9not_fun_tINSB_14equal_to_valueIjEEEEEEE10hipError_tPvRmT3_T4_T5_T6_T7_T9_mT8_P12ihipStream_tbDpT10_ENKUlT_T0_E_clISt17integral_constantIbLb0EES1A_IbLb1EEEEDaS16_S17_EUlS16_E_NS1_11comp_targetILNS1_3genE3ELNS1_11target_archE908ELNS1_3gpuE7ELNS1_3repE0EEENS1_30default_config_static_selectorELNS0_4arch9wavefront6targetE0EEEvT1_, .Lfunc_end1688-_ZN7rocprim17ROCPRIM_400000_NS6detail17trampoline_kernelINS0_14default_configENS1_25partition_config_selectorILNS1_17partition_subalgoE6EjNS0_10empty_typeEbEEZZNS1_14partition_implILS5_6ELb0ES3_mN6thrust23THRUST_200600_302600_NS6detail15normal_iteratorINSA_10device_ptrIjEEEEPS6_SG_NS0_5tupleIJNSA_16discard_iteratorINSA_11use_defaultEEES6_EEENSH_IJSG_SG_EEES6_PlJNSB_9not_fun_tINSB_14equal_to_valueIjEEEEEEE10hipError_tPvRmT3_T4_T5_T6_T7_T9_mT8_P12ihipStream_tbDpT10_ENKUlT_T0_E_clISt17integral_constantIbLb0EES1A_IbLb1EEEEDaS16_S17_EUlS16_E_NS1_11comp_targetILNS1_3genE3ELNS1_11target_archE908ELNS1_3gpuE7ELNS1_3repE0EEENS1_30default_config_static_selectorELNS0_4arch9wavefront6targetE0EEEvT1_
                                        ; -- End function
	.set _ZN7rocprim17ROCPRIM_400000_NS6detail17trampoline_kernelINS0_14default_configENS1_25partition_config_selectorILNS1_17partition_subalgoE6EjNS0_10empty_typeEbEEZZNS1_14partition_implILS5_6ELb0ES3_mN6thrust23THRUST_200600_302600_NS6detail15normal_iteratorINSA_10device_ptrIjEEEEPS6_SG_NS0_5tupleIJNSA_16discard_iteratorINSA_11use_defaultEEES6_EEENSH_IJSG_SG_EEES6_PlJNSB_9not_fun_tINSB_14equal_to_valueIjEEEEEEE10hipError_tPvRmT3_T4_T5_T6_T7_T9_mT8_P12ihipStream_tbDpT10_ENKUlT_T0_E_clISt17integral_constantIbLb0EES1A_IbLb1EEEEDaS16_S17_EUlS16_E_NS1_11comp_targetILNS1_3genE3ELNS1_11target_archE908ELNS1_3gpuE7ELNS1_3repE0EEENS1_30default_config_static_selectorELNS0_4arch9wavefront6targetE0EEEvT1_.num_vgpr, 0
	.set _ZN7rocprim17ROCPRIM_400000_NS6detail17trampoline_kernelINS0_14default_configENS1_25partition_config_selectorILNS1_17partition_subalgoE6EjNS0_10empty_typeEbEEZZNS1_14partition_implILS5_6ELb0ES3_mN6thrust23THRUST_200600_302600_NS6detail15normal_iteratorINSA_10device_ptrIjEEEEPS6_SG_NS0_5tupleIJNSA_16discard_iteratorINSA_11use_defaultEEES6_EEENSH_IJSG_SG_EEES6_PlJNSB_9not_fun_tINSB_14equal_to_valueIjEEEEEEE10hipError_tPvRmT3_T4_T5_T6_T7_T9_mT8_P12ihipStream_tbDpT10_ENKUlT_T0_E_clISt17integral_constantIbLb0EES1A_IbLb1EEEEDaS16_S17_EUlS16_E_NS1_11comp_targetILNS1_3genE3ELNS1_11target_archE908ELNS1_3gpuE7ELNS1_3repE0EEENS1_30default_config_static_selectorELNS0_4arch9wavefront6targetE0EEEvT1_.num_agpr, 0
	.set _ZN7rocprim17ROCPRIM_400000_NS6detail17trampoline_kernelINS0_14default_configENS1_25partition_config_selectorILNS1_17partition_subalgoE6EjNS0_10empty_typeEbEEZZNS1_14partition_implILS5_6ELb0ES3_mN6thrust23THRUST_200600_302600_NS6detail15normal_iteratorINSA_10device_ptrIjEEEEPS6_SG_NS0_5tupleIJNSA_16discard_iteratorINSA_11use_defaultEEES6_EEENSH_IJSG_SG_EEES6_PlJNSB_9not_fun_tINSB_14equal_to_valueIjEEEEEEE10hipError_tPvRmT3_T4_T5_T6_T7_T9_mT8_P12ihipStream_tbDpT10_ENKUlT_T0_E_clISt17integral_constantIbLb0EES1A_IbLb1EEEEDaS16_S17_EUlS16_E_NS1_11comp_targetILNS1_3genE3ELNS1_11target_archE908ELNS1_3gpuE7ELNS1_3repE0EEENS1_30default_config_static_selectorELNS0_4arch9wavefront6targetE0EEEvT1_.numbered_sgpr, 0
	.set _ZN7rocprim17ROCPRIM_400000_NS6detail17trampoline_kernelINS0_14default_configENS1_25partition_config_selectorILNS1_17partition_subalgoE6EjNS0_10empty_typeEbEEZZNS1_14partition_implILS5_6ELb0ES3_mN6thrust23THRUST_200600_302600_NS6detail15normal_iteratorINSA_10device_ptrIjEEEEPS6_SG_NS0_5tupleIJNSA_16discard_iteratorINSA_11use_defaultEEES6_EEENSH_IJSG_SG_EEES6_PlJNSB_9not_fun_tINSB_14equal_to_valueIjEEEEEEE10hipError_tPvRmT3_T4_T5_T6_T7_T9_mT8_P12ihipStream_tbDpT10_ENKUlT_T0_E_clISt17integral_constantIbLb0EES1A_IbLb1EEEEDaS16_S17_EUlS16_E_NS1_11comp_targetILNS1_3genE3ELNS1_11target_archE908ELNS1_3gpuE7ELNS1_3repE0EEENS1_30default_config_static_selectorELNS0_4arch9wavefront6targetE0EEEvT1_.num_named_barrier, 0
	.set _ZN7rocprim17ROCPRIM_400000_NS6detail17trampoline_kernelINS0_14default_configENS1_25partition_config_selectorILNS1_17partition_subalgoE6EjNS0_10empty_typeEbEEZZNS1_14partition_implILS5_6ELb0ES3_mN6thrust23THRUST_200600_302600_NS6detail15normal_iteratorINSA_10device_ptrIjEEEEPS6_SG_NS0_5tupleIJNSA_16discard_iteratorINSA_11use_defaultEEES6_EEENSH_IJSG_SG_EEES6_PlJNSB_9not_fun_tINSB_14equal_to_valueIjEEEEEEE10hipError_tPvRmT3_T4_T5_T6_T7_T9_mT8_P12ihipStream_tbDpT10_ENKUlT_T0_E_clISt17integral_constantIbLb0EES1A_IbLb1EEEEDaS16_S17_EUlS16_E_NS1_11comp_targetILNS1_3genE3ELNS1_11target_archE908ELNS1_3gpuE7ELNS1_3repE0EEENS1_30default_config_static_selectorELNS0_4arch9wavefront6targetE0EEEvT1_.private_seg_size, 0
	.set _ZN7rocprim17ROCPRIM_400000_NS6detail17trampoline_kernelINS0_14default_configENS1_25partition_config_selectorILNS1_17partition_subalgoE6EjNS0_10empty_typeEbEEZZNS1_14partition_implILS5_6ELb0ES3_mN6thrust23THRUST_200600_302600_NS6detail15normal_iteratorINSA_10device_ptrIjEEEEPS6_SG_NS0_5tupleIJNSA_16discard_iteratorINSA_11use_defaultEEES6_EEENSH_IJSG_SG_EEES6_PlJNSB_9not_fun_tINSB_14equal_to_valueIjEEEEEEE10hipError_tPvRmT3_T4_T5_T6_T7_T9_mT8_P12ihipStream_tbDpT10_ENKUlT_T0_E_clISt17integral_constantIbLb0EES1A_IbLb1EEEEDaS16_S17_EUlS16_E_NS1_11comp_targetILNS1_3genE3ELNS1_11target_archE908ELNS1_3gpuE7ELNS1_3repE0EEENS1_30default_config_static_selectorELNS0_4arch9wavefront6targetE0EEEvT1_.uses_vcc, 0
	.set _ZN7rocprim17ROCPRIM_400000_NS6detail17trampoline_kernelINS0_14default_configENS1_25partition_config_selectorILNS1_17partition_subalgoE6EjNS0_10empty_typeEbEEZZNS1_14partition_implILS5_6ELb0ES3_mN6thrust23THRUST_200600_302600_NS6detail15normal_iteratorINSA_10device_ptrIjEEEEPS6_SG_NS0_5tupleIJNSA_16discard_iteratorINSA_11use_defaultEEES6_EEENSH_IJSG_SG_EEES6_PlJNSB_9not_fun_tINSB_14equal_to_valueIjEEEEEEE10hipError_tPvRmT3_T4_T5_T6_T7_T9_mT8_P12ihipStream_tbDpT10_ENKUlT_T0_E_clISt17integral_constantIbLb0EES1A_IbLb1EEEEDaS16_S17_EUlS16_E_NS1_11comp_targetILNS1_3genE3ELNS1_11target_archE908ELNS1_3gpuE7ELNS1_3repE0EEENS1_30default_config_static_selectorELNS0_4arch9wavefront6targetE0EEEvT1_.uses_flat_scratch, 0
	.set _ZN7rocprim17ROCPRIM_400000_NS6detail17trampoline_kernelINS0_14default_configENS1_25partition_config_selectorILNS1_17partition_subalgoE6EjNS0_10empty_typeEbEEZZNS1_14partition_implILS5_6ELb0ES3_mN6thrust23THRUST_200600_302600_NS6detail15normal_iteratorINSA_10device_ptrIjEEEEPS6_SG_NS0_5tupleIJNSA_16discard_iteratorINSA_11use_defaultEEES6_EEENSH_IJSG_SG_EEES6_PlJNSB_9not_fun_tINSB_14equal_to_valueIjEEEEEEE10hipError_tPvRmT3_T4_T5_T6_T7_T9_mT8_P12ihipStream_tbDpT10_ENKUlT_T0_E_clISt17integral_constantIbLb0EES1A_IbLb1EEEEDaS16_S17_EUlS16_E_NS1_11comp_targetILNS1_3genE3ELNS1_11target_archE908ELNS1_3gpuE7ELNS1_3repE0EEENS1_30default_config_static_selectorELNS0_4arch9wavefront6targetE0EEEvT1_.has_dyn_sized_stack, 0
	.set _ZN7rocprim17ROCPRIM_400000_NS6detail17trampoline_kernelINS0_14default_configENS1_25partition_config_selectorILNS1_17partition_subalgoE6EjNS0_10empty_typeEbEEZZNS1_14partition_implILS5_6ELb0ES3_mN6thrust23THRUST_200600_302600_NS6detail15normal_iteratorINSA_10device_ptrIjEEEEPS6_SG_NS0_5tupleIJNSA_16discard_iteratorINSA_11use_defaultEEES6_EEENSH_IJSG_SG_EEES6_PlJNSB_9not_fun_tINSB_14equal_to_valueIjEEEEEEE10hipError_tPvRmT3_T4_T5_T6_T7_T9_mT8_P12ihipStream_tbDpT10_ENKUlT_T0_E_clISt17integral_constantIbLb0EES1A_IbLb1EEEEDaS16_S17_EUlS16_E_NS1_11comp_targetILNS1_3genE3ELNS1_11target_archE908ELNS1_3gpuE7ELNS1_3repE0EEENS1_30default_config_static_selectorELNS0_4arch9wavefront6targetE0EEEvT1_.has_recursion, 0
	.set _ZN7rocprim17ROCPRIM_400000_NS6detail17trampoline_kernelINS0_14default_configENS1_25partition_config_selectorILNS1_17partition_subalgoE6EjNS0_10empty_typeEbEEZZNS1_14partition_implILS5_6ELb0ES3_mN6thrust23THRUST_200600_302600_NS6detail15normal_iteratorINSA_10device_ptrIjEEEEPS6_SG_NS0_5tupleIJNSA_16discard_iteratorINSA_11use_defaultEEES6_EEENSH_IJSG_SG_EEES6_PlJNSB_9not_fun_tINSB_14equal_to_valueIjEEEEEEE10hipError_tPvRmT3_T4_T5_T6_T7_T9_mT8_P12ihipStream_tbDpT10_ENKUlT_T0_E_clISt17integral_constantIbLb0EES1A_IbLb1EEEEDaS16_S17_EUlS16_E_NS1_11comp_targetILNS1_3genE3ELNS1_11target_archE908ELNS1_3gpuE7ELNS1_3repE0EEENS1_30default_config_static_selectorELNS0_4arch9wavefront6targetE0EEEvT1_.has_indirect_call, 0
	.section	.AMDGPU.csdata,"",@progbits
; Kernel info:
; codeLenInByte = 0
; TotalNumSgprs: 0
; NumVgprs: 0
; ScratchSize: 0
; MemoryBound: 0
; FloatMode: 240
; IeeeMode: 1
; LDSByteSize: 0 bytes/workgroup (compile time only)
; SGPRBlocks: 0
; VGPRBlocks: 0
; NumSGPRsForWavesPerEU: 1
; NumVGPRsForWavesPerEU: 1
; Occupancy: 16
; WaveLimiterHint : 0
; COMPUTE_PGM_RSRC2:SCRATCH_EN: 0
; COMPUTE_PGM_RSRC2:USER_SGPR: 2
; COMPUTE_PGM_RSRC2:TRAP_HANDLER: 0
; COMPUTE_PGM_RSRC2:TGID_X_EN: 1
; COMPUTE_PGM_RSRC2:TGID_Y_EN: 0
; COMPUTE_PGM_RSRC2:TGID_Z_EN: 0
; COMPUTE_PGM_RSRC2:TIDIG_COMP_CNT: 0
	.section	.text._ZN7rocprim17ROCPRIM_400000_NS6detail17trampoline_kernelINS0_14default_configENS1_25partition_config_selectorILNS1_17partition_subalgoE6EjNS0_10empty_typeEbEEZZNS1_14partition_implILS5_6ELb0ES3_mN6thrust23THRUST_200600_302600_NS6detail15normal_iteratorINSA_10device_ptrIjEEEEPS6_SG_NS0_5tupleIJNSA_16discard_iteratorINSA_11use_defaultEEES6_EEENSH_IJSG_SG_EEES6_PlJNSB_9not_fun_tINSB_14equal_to_valueIjEEEEEEE10hipError_tPvRmT3_T4_T5_T6_T7_T9_mT8_P12ihipStream_tbDpT10_ENKUlT_T0_E_clISt17integral_constantIbLb0EES1A_IbLb1EEEEDaS16_S17_EUlS16_E_NS1_11comp_targetILNS1_3genE2ELNS1_11target_archE906ELNS1_3gpuE6ELNS1_3repE0EEENS1_30default_config_static_selectorELNS0_4arch9wavefront6targetE0EEEvT1_,"axG",@progbits,_ZN7rocprim17ROCPRIM_400000_NS6detail17trampoline_kernelINS0_14default_configENS1_25partition_config_selectorILNS1_17partition_subalgoE6EjNS0_10empty_typeEbEEZZNS1_14partition_implILS5_6ELb0ES3_mN6thrust23THRUST_200600_302600_NS6detail15normal_iteratorINSA_10device_ptrIjEEEEPS6_SG_NS0_5tupleIJNSA_16discard_iteratorINSA_11use_defaultEEES6_EEENSH_IJSG_SG_EEES6_PlJNSB_9not_fun_tINSB_14equal_to_valueIjEEEEEEE10hipError_tPvRmT3_T4_T5_T6_T7_T9_mT8_P12ihipStream_tbDpT10_ENKUlT_T0_E_clISt17integral_constantIbLb0EES1A_IbLb1EEEEDaS16_S17_EUlS16_E_NS1_11comp_targetILNS1_3genE2ELNS1_11target_archE906ELNS1_3gpuE6ELNS1_3repE0EEENS1_30default_config_static_selectorELNS0_4arch9wavefront6targetE0EEEvT1_,comdat
	.protected	_ZN7rocprim17ROCPRIM_400000_NS6detail17trampoline_kernelINS0_14default_configENS1_25partition_config_selectorILNS1_17partition_subalgoE6EjNS0_10empty_typeEbEEZZNS1_14partition_implILS5_6ELb0ES3_mN6thrust23THRUST_200600_302600_NS6detail15normal_iteratorINSA_10device_ptrIjEEEEPS6_SG_NS0_5tupleIJNSA_16discard_iteratorINSA_11use_defaultEEES6_EEENSH_IJSG_SG_EEES6_PlJNSB_9not_fun_tINSB_14equal_to_valueIjEEEEEEE10hipError_tPvRmT3_T4_T5_T6_T7_T9_mT8_P12ihipStream_tbDpT10_ENKUlT_T0_E_clISt17integral_constantIbLb0EES1A_IbLb1EEEEDaS16_S17_EUlS16_E_NS1_11comp_targetILNS1_3genE2ELNS1_11target_archE906ELNS1_3gpuE6ELNS1_3repE0EEENS1_30default_config_static_selectorELNS0_4arch9wavefront6targetE0EEEvT1_ ; -- Begin function _ZN7rocprim17ROCPRIM_400000_NS6detail17trampoline_kernelINS0_14default_configENS1_25partition_config_selectorILNS1_17partition_subalgoE6EjNS0_10empty_typeEbEEZZNS1_14partition_implILS5_6ELb0ES3_mN6thrust23THRUST_200600_302600_NS6detail15normal_iteratorINSA_10device_ptrIjEEEEPS6_SG_NS0_5tupleIJNSA_16discard_iteratorINSA_11use_defaultEEES6_EEENSH_IJSG_SG_EEES6_PlJNSB_9not_fun_tINSB_14equal_to_valueIjEEEEEEE10hipError_tPvRmT3_T4_T5_T6_T7_T9_mT8_P12ihipStream_tbDpT10_ENKUlT_T0_E_clISt17integral_constantIbLb0EES1A_IbLb1EEEEDaS16_S17_EUlS16_E_NS1_11comp_targetILNS1_3genE2ELNS1_11target_archE906ELNS1_3gpuE6ELNS1_3repE0EEENS1_30default_config_static_selectorELNS0_4arch9wavefront6targetE0EEEvT1_
	.globl	_ZN7rocprim17ROCPRIM_400000_NS6detail17trampoline_kernelINS0_14default_configENS1_25partition_config_selectorILNS1_17partition_subalgoE6EjNS0_10empty_typeEbEEZZNS1_14partition_implILS5_6ELb0ES3_mN6thrust23THRUST_200600_302600_NS6detail15normal_iteratorINSA_10device_ptrIjEEEEPS6_SG_NS0_5tupleIJNSA_16discard_iteratorINSA_11use_defaultEEES6_EEENSH_IJSG_SG_EEES6_PlJNSB_9not_fun_tINSB_14equal_to_valueIjEEEEEEE10hipError_tPvRmT3_T4_T5_T6_T7_T9_mT8_P12ihipStream_tbDpT10_ENKUlT_T0_E_clISt17integral_constantIbLb0EES1A_IbLb1EEEEDaS16_S17_EUlS16_E_NS1_11comp_targetILNS1_3genE2ELNS1_11target_archE906ELNS1_3gpuE6ELNS1_3repE0EEENS1_30default_config_static_selectorELNS0_4arch9wavefront6targetE0EEEvT1_
	.p2align	8
	.type	_ZN7rocprim17ROCPRIM_400000_NS6detail17trampoline_kernelINS0_14default_configENS1_25partition_config_selectorILNS1_17partition_subalgoE6EjNS0_10empty_typeEbEEZZNS1_14partition_implILS5_6ELb0ES3_mN6thrust23THRUST_200600_302600_NS6detail15normal_iteratorINSA_10device_ptrIjEEEEPS6_SG_NS0_5tupleIJNSA_16discard_iteratorINSA_11use_defaultEEES6_EEENSH_IJSG_SG_EEES6_PlJNSB_9not_fun_tINSB_14equal_to_valueIjEEEEEEE10hipError_tPvRmT3_T4_T5_T6_T7_T9_mT8_P12ihipStream_tbDpT10_ENKUlT_T0_E_clISt17integral_constantIbLb0EES1A_IbLb1EEEEDaS16_S17_EUlS16_E_NS1_11comp_targetILNS1_3genE2ELNS1_11target_archE906ELNS1_3gpuE6ELNS1_3repE0EEENS1_30default_config_static_selectorELNS0_4arch9wavefront6targetE0EEEvT1_,@function
_ZN7rocprim17ROCPRIM_400000_NS6detail17trampoline_kernelINS0_14default_configENS1_25partition_config_selectorILNS1_17partition_subalgoE6EjNS0_10empty_typeEbEEZZNS1_14partition_implILS5_6ELb0ES3_mN6thrust23THRUST_200600_302600_NS6detail15normal_iteratorINSA_10device_ptrIjEEEEPS6_SG_NS0_5tupleIJNSA_16discard_iteratorINSA_11use_defaultEEES6_EEENSH_IJSG_SG_EEES6_PlJNSB_9not_fun_tINSB_14equal_to_valueIjEEEEEEE10hipError_tPvRmT3_T4_T5_T6_T7_T9_mT8_P12ihipStream_tbDpT10_ENKUlT_T0_E_clISt17integral_constantIbLb0EES1A_IbLb1EEEEDaS16_S17_EUlS16_E_NS1_11comp_targetILNS1_3genE2ELNS1_11target_archE906ELNS1_3gpuE6ELNS1_3repE0EEENS1_30default_config_static_selectorELNS0_4arch9wavefront6targetE0EEEvT1_: ; @_ZN7rocprim17ROCPRIM_400000_NS6detail17trampoline_kernelINS0_14default_configENS1_25partition_config_selectorILNS1_17partition_subalgoE6EjNS0_10empty_typeEbEEZZNS1_14partition_implILS5_6ELb0ES3_mN6thrust23THRUST_200600_302600_NS6detail15normal_iteratorINSA_10device_ptrIjEEEEPS6_SG_NS0_5tupleIJNSA_16discard_iteratorINSA_11use_defaultEEES6_EEENSH_IJSG_SG_EEES6_PlJNSB_9not_fun_tINSB_14equal_to_valueIjEEEEEEE10hipError_tPvRmT3_T4_T5_T6_T7_T9_mT8_P12ihipStream_tbDpT10_ENKUlT_T0_E_clISt17integral_constantIbLb0EES1A_IbLb1EEEEDaS16_S17_EUlS16_E_NS1_11comp_targetILNS1_3genE2ELNS1_11target_archE906ELNS1_3gpuE6ELNS1_3repE0EEENS1_30default_config_static_selectorELNS0_4arch9wavefront6targetE0EEEvT1_
; %bb.0:
	.section	.rodata,"a",@progbits
	.p2align	6, 0x0
	.amdhsa_kernel _ZN7rocprim17ROCPRIM_400000_NS6detail17trampoline_kernelINS0_14default_configENS1_25partition_config_selectorILNS1_17partition_subalgoE6EjNS0_10empty_typeEbEEZZNS1_14partition_implILS5_6ELb0ES3_mN6thrust23THRUST_200600_302600_NS6detail15normal_iteratorINSA_10device_ptrIjEEEEPS6_SG_NS0_5tupleIJNSA_16discard_iteratorINSA_11use_defaultEEES6_EEENSH_IJSG_SG_EEES6_PlJNSB_9not_fun_tINSB_14equal_to_valueIjEEEEEEE10hipError_tPvRmT3_T4_T5_T6_T7_T9_mT8_P12ihipStream_tbDpT10_ENKUlT_T0_E_clISt17integral_constantIbLb0EES1A_IbLb1EEEEDaS16_S17_EUlS16_E_NS1_11comp_targetILNS1_3genE2ELNS1_11target_archE906ELNS1_3gpuE6ELNS1_3repE0EEENS1_30default_config_static_selectorELNS0_4arch9wavefront6targetE0EEEvT1_
		.amdhsa_group_segment_fixed_size 0
		.amdhsa_private_segment_fixed_size 0
		.amdhsa_kernarg_size 136
		.amdhsa_user_sgpr_count 2
		.amdhsa_user_sgpr_dispatch_ptr 0
		.amdhsa_user_sgpr_queue_ptr 0
		.amdhsa_user_sgpr_kernarg_segment_ptr 1
		.amdhsa_user_sgpr_dispatch_id 0
		.amdhsa_user_sgpr_private_segment_size 0
		.amdhsa_wavefront_size32 1
		.amdhsa_uses_dynamic_stack 0
		.amdhsa_enable_private_segment 0
		.amdhsa_system_sgpr_workgroup_id_x 1
		.amdhsa_system_sgpr_workgroup_id_y 0
		.amdhsa_system_sgpr_workgroup_id_z 0
		.amdhsa_system_sgpr_workgroup_info 0
		.amdhsa_system_vgpr_workitem_id 0
		.amdhsa_next_free_vgpr 1
		.amdhsa_next_free_sgpr 1
		.amdhsa_reserve_vcc 0
		.amdhsa_float_round_mode_32 0
		.amdhsa_float_round_mode_16_64 0
		.amdhsa_float_denorm_mode_32 3
		.amdhsa_float_denorm_mode_16_64 3
		.amdhsa_fp16_overflow 0
		.amdhsa_workgroup_processor_mode 1
		.amdhsa_memory_ordered 1
		.amdhsa_forward_progress 1
		.amdhsa_inst_pref_size 0
		.amdhsa_round_robin_scheduling 0
		.amdhsa_exception_fp_ieee_invalid_op 0
		.amdhsa_exception_fp_denorm_src 0
		.amdhsa_exception_fp_ieee_div_zero 0
		.amdhsa_exception_fp_ieee_overflow 0
		.amdhsa_exception_fp_ieee_underflow 0
		.amdhsa_exception_fp_ieee_inexact 0
		.amdhsa_exception_int_div_zero 0
	.end_amdhsa_kernel
	.section	.text._ZN7rocprim17ROCPRIM_400000_NS6detail17trampoline_kernelINS0_14default_configENS1_25partition_config_selectorILNS1_17partition_subalgoE6EjNS0_10empty_typeEbEEZZNS1_14partition_implILS5_6ELb0ES3_mN6thrust23THRUST_200600_302600_NS6detail15normal_iteratorINSA_10device_ptrIjEEEEPS6_SG_NS0_5tupleIJNSA_16discard_iteratorINSA_11use_defaultEEES6_EEENSH_IJSG_SG_EEES6_PlJNSB_9not_fun_tINSB_14equal_to_valueIjEEEEEEE10hipError_tPvRmT3_T4_T5_T6_T7_T9_mT8_P12ihipStream_tbDpT10_ENKUlT_T0_E_clISt17integral_constantIbLb0EES1A_IbLb1EEEEDaS16_S17_EUlS16_E_NS1_11comp_targetILNS1_3genE2ELNS1_11target_archE906ELNS1_3gpuE6ELNS1_3repE0EEENS1_30default_config_static_selectorELNS0_4arch9wavefront6targetE0EEEvT1_,"axG",@progbits,_ZN7rocprim17ROCPRIM_400000_NS6detail17trampoline_kernelINS0_14default_configENS1_25partition_config_selectorILNS1_17partition_subalgoE6EjNS0_10empty_typeEbEEZZNS1_14partition_implILS5_6ELb0ES3_mN6thrust23THRUST_200600_302600_NS6detail15normal_iteratorINSA_10device_ptrIjEEEEPS6_SG_NS0_5tupleIJNSA_16discard_iteratorINSA_11use_defaultEEES6_EEENSH_IJSG_SG_EEES6_PlJNSB_9not_fun_tINSB_14equal_to_valueIjEEEEEEE10hipError_tPvRmT3_T4_T5_T6_T7_T9_mT8_P12ihipStream_tbDpT10_ENKUlT_T0_E_clISt17integral_constantIbLb0EES1A_IbLb1EEEEDaS16_S17_EUlS16_E_NS1_11comp_targetILNS1_3genE2ELNS1_11target_archE906ELNS1_3gpuE6ELNS1_3repE0EEENS1_30default_config_static_selectorELNS0_4arch9wavefront6targetE0EEEvT1_,comdat
.Lfunc_end1689:
	.size	_ZN7rocprim17ROCPRIM_400000_NS6detail17trampoline_kernelINS0_14default_configENS1_25partition_config_selectorILNS1_17partition_subalgoE6EjNS0_10empty_typeEbEEZZNS1_14partition_implILS5_6ELb0ES3_mN6thrust23THRUST_200600_302600_NS6detail15normal_iteratorINSA_10device_ptrIjEEEEPS6_SG_NS0_5tupleIJNSA_16discard_iteratorINSA_11use_defaultEEES6_EEENSH_IJSG_SG_EEES6_PlJNSB_9not_fun_tINSB_14equal_to_valueIjEEEEEEE10hipError_tPvRmT3_T4_T5_T6_T7_T9_mT8_P12ihipStream_tbDpT10_ENKUlT_T0_E_clISt17integral_constantIbLb0EES1A_IbLb1EEEEDaS16_S17_EUlS16_E_NS1_11comp_targetILNS1_3genE2ELNS1_11target_archE906ELNS1_3gpuE6ELNS1_3repE0EEENS1_30default_config_static_selectorELNS0_4arch9wavefront6targetE0EEEvT1_, .Lfunc_end1689-_ZN7rocprim17ROCPRIM_400000_NS6detail17trampoline_kernelINS0_14default_configENS1_25partition_config_selectorILNS1_17partition_subalgoE6EjNS0_10empty_typeEbEEZZNS1_14partition_implILS5_6ELb0ES3_mN6thrust23THRUST_200600_302600_NS6detail15normal_iteratorINSA_10device_ptrIjEEEEPS6_SG_NS0_5tupleIJNSA_16discard_iteratorINSA_11use_defaultEEES6_EEENSH_IJSG_SG_EEES6_PlJNSB_9not_fun_tINSB_14equal_to_valueIjEEEEEEE10hipError_tPvRmT3_T4_T5_T6_T7_T9_mT8_P12ihipStream_tbDpT10_ENKUlT_T0_E_clISt17integral_constantIbLb0EES1A_IbLb1EEEEDaS16_S17_EUlS16_E_NS1_11comp_targetILNS1_3genE2ELNS1_11target_archE906ELNS1_3gpuE6ELNS1_3repE0EEENS1_30default_config_static_selectorELNS0_4arch9wavefront6targetE0EEEvT1_
                                        ; -- End function
	.set _ZN7rocprim17ROCPRIM_400000_NS6detail17trampoline_kernelINS0_14default_configENS1_25partition_config_selectorILNS1_17partition_subalgoE6EjNS0_10empty_typeEbEEZZNS1_14partition_implILS5_6ELb0ES3_mN6thrust23THRUST_200600_302600_NS6detail15normal_iteratorINSA_10device_ptrIjEEEEPS6_SG_NS0_5tupleIJNSA_16discard_iteratorINSA_11use_defaultEEES6_EEENSH_IJSG_SG_EEES6_PlJNSB_9not_fun_tINSB_14equal_to_valueIjEEEEEEE10hipError_tPvRmT3_T4_T5_T6_T7_T9_mT8_P12ihipStream_tbDpT10_ENKUlT_T0_E_clISt17integral_constantIbLb0EES1A_IbLb1EEEEDaS16_S17_EUlS16_E_NS1_11comp_targetILNS1_3genE2ELNS1_11target_archE906ELNS1_3gpuE6ELNS1_3repE0EEENS1_30default_config_static_selectorELNS0_4arch9wavefront6targetE0EEEvT1_.num_vgpr, 0
	.set _ZN7rocprim17ROCPRIM_400000_NS6detail17trampoline_kernelINS0_14default_configENS1_25partition_config_selectorILNS1_17partition_subalgoE6EjNS0_10empty_typeEbEEZZNS1_14partition_implILS5_6ELb0ES3_mN6thrust23THRUST_200600_302600_NS6detail15normal_iteratorINSA_10device_ptrIjEEEEPS6_SG_NS0_5tupleIJNSA_16discard_iteratorINSA_11use_defaultEEES6_EEENSH_IJSG_SG_EEES6_PlJNSB_9not_fun_tINSB_14equal_to_valueIjEEEEEEE10hipError_tPvRmT3_T4_T5_T6_T7_T9_mT8_P12ihipStream_tbDpT10_ENKUlT_T0_E_clISt17integral_constantIbLb0EES1A_IbLb1EEEEDaS16_S17_EUlS16_E_NS1_11comp_targetILNS1_3genE2ELNS1_11target_archE906ELNS1_3gpuE6ELNS1_3repE0EEENS1_30default_config_static_selectorELNS0_4arch9wavefront6targetE0EEEvT1_.num_agpr, 0
	.set _ZN7rocprim17ROCPRIM_400000_NS6detail17trampoline_kernelINS0_14default_configENS1_25partition_config_selectorILNS1_17partition_subalgoE6EjNS0_10empty_typeEbEEZZNS1_14partition_implILS5_6ELb0ES3_mN6thrust23THRUST_200600_302600_NS6detail15normal_iteratorINSA_10device_ptrIjEEEEPS6_SG_NS0_5tupleIJNSA_16discard_iteratorINSA_11use_defaultEEES6_EEENSH_IJSG_SG_EEES6_PlJNSB_9not_fun_tINSB_14equal_to_valueIjEEEEEEE10hipError_tPvRmT3_T4_T5_T6_T7_T9_mT8_P12ihipStream_tbDpT10_ENKUlT_T0_E_clISt17integral_constantIbLb0EES1A_IbLb1EEEEDaS16_S17_EUlS16_E_NS1_11comp_targetILNS1_3genE2ELNS1_11target_archE906ELNS1_3gpuE6ELNS1_3repE0EEENS1_30default_config_static_selectorELNS0_4arch9wavefront6targetE0EEEvT1_.numbered_sgpr, 0
	.set _ZN7rocprim17ROCPRIM_400000_NS6detail17trampoline_kernelINS0_14default_configENS1_25partition_config_selectorILNS1_17partition_subalgoE6EjNS0_10empty_typeEbEEZZNS1_14partition_implILS5_6ELb0ES3_mN6thrust23THRUST_200600_302600_NS6detail15normal_iteratorINSA_10device_ptrIjEEEEPS6_SG_NS0_5tupleIJNSA_16discard_iteratorINSA_11use_defaultEEES6_EEENSH_IJSG_SG_EEES6_PlJNSB_9not_fun_tINSB_14equal_to_valueIjEEEEEEE10hipError_tPvRmT3_T4_T5_T6_T7_T9_mT8_P12ihipStream_tbDpT10_ENKUlT_T0_E_clISt17integral_constantIbLb0EES1A_IbLb1EEEEDaS16_S17_EUlS16_E_NS1_11comp_targetILNS1_3genE2ELNS1_11target_archE906ELNS1_3gpuE6ELNS1_3repE0EEENS1_30default_config_static_selectorELNS0_4arch9wavefront6targetE0EEEvT1_.num_named_barrier, 0
	.set _ZN7rocprim17ROCPRIM_400000_NS6detail17trampoline_kernelINS0_14default_configENS1_25partition_config_selectorILNS1_17partition_subalgoE6EjNS0_10empty_typeEbEEZZNS1_14partition_implILS5_6ELb0ES3_mN6thrust23THRUST_200600_302600_NS6detail15normal_iteratorINSA_10device_ptrIjEEEEPS6_SG_NS0_5tupleIJNSA_16discard_iteratorINSA_11use_defaultEEES6_EEENSH_IJSG_SG_EEES6_PlJNSB_9not_fun_tINSB_14equal_to_valueIjEEEEEEE10hipError_tPvRmT3_T4_T5_T6_T7_T9_mT8_P12ihipStream_tbDpT10_ENKUlT_T0_E_clISt17integral_constantIbLb0EES1A_IbLb1EEEEDaS16_S17_EUlS16_E_NS1_11comp_targetILNS1_3genE2ELNS1_11target_archE906ELNS1_3gpuE6ELNS1_3repE0EEENS1_30default_config_static_selectorELNS0_4arch9wavefront6targetE0EEEvT1_.private_seg_size, 0
	.set _ZN7rocprim17ROCPRIM_400000_NS6detail17trampoline_kernelINS0_14default_configENS1_25partition_config_selectorILNS1_17partition_subalgoE6EjNS0_10empty_typeEbEEZZNS1_14partition_implILS5_6ELb0ES3_mN6thrust23THRUST_200600_302600_NS6detail15normal_iteratorINSA_10device_ptrIjEEEEPS6_SG_NS0_5tupleIJNSA_16discard_iteratorINSA_11use_defaultEEES6_EEENSH_IJSG_SG_EEES6_PlJNSB_9not_fun_tINSB_14equal_to_valueIjEEEEEEE10hipError_tPvRmT3_T4_T5_T6_T7_T9_mT8_P12ihipStream_tbDpT10_ENKUlT_T0_E_clISt17integral_constantIbLb0EES1A_IbLb1EEEEDaS16_S17_EUlS16_E_NS1_11comp_targetILNS1_3genE2ELNS1_11target_archE906ELNS1_3gpuE6ELNS1_3repE0EEENS1_30default_config_static_selectorELNS0_4arch9wavefront6targetE0EEEvT1_.uses_vcc, 0
	.set _ZN7rocprim17ROCPRIM_400000_NS6detail17trampoline_kernelINS0_14default_configENS1_25partition_config_selectorILNS1_17partition_subalgoE6EjNS0_10empty_typeEbEEZZNS1_14partition_implILS5_6ELb0ES3_mN6thrust23THRUST_200600_302600_NS6detail15normal_iteratorINSA_10device_ptrIjEEEEPS6_SG_NS0_5tupleIJNSA_16discard_iteratorINSA_11use_defaultEEES6_EEENSH_IJSG_SG_EEES6_PlJNSB_9not_fun_tINSB_14equal_to_valueIjEEEEEEE10hipError_tPvRmT3_T4_T5_T6_T7_T9_mT8_P12ihipStream_tbDpT10_ENKUlT_T0_E_clISt17integral_constantIbLb0EES1A_IbLb1EEEEDaS16_S17_EUlS16_E_NS1_11comp_targetILNS1_3genE2ELNS1_11target_archE906ELNS1_3gpuE6ELNS1_3repE0EEENS1_30default_config_static_selectorELNS0_4arch9wavefront6targetE0EEEvT1_.uses_flat_scratch, 0
	.set _ZN7rocprim17ROCPRIM_400000_NS6detail17trampoline_kernelINS0_14default_configENS1_25partition_config_selectorILNS1_17partition_subalgoE6EjNS0_10empty_typeEbEEZZNS1_14partition_implILS5_6ELb0ES3_mN6thrust23THRUST_200600_302600_NS6detail15normal_iteratorINSA_10device_ptrIjEEEEPS6_SG_NS0_5tupleIJNSA_16discard_iteratorINSA_11use_defaultEEES6_EEENSH_IJSG_SG_EEES6_PlJNSB_9not_fun_tINSB_14equal_to_valueIjEEEEEEE10hipError_tPvRmT3_T4_T5_T6_T7_T9_mT8_P12ihipStream_tbDpT10_ENKUlT_T0_E_clISt17integral_constantIbLb0EES1A_IbLb1EEEEDaS16_S17_EUlS16_E_NS1_11comp_targetILNS1_3genE2ELNS1_11target_archE906ELNS1_3gpuE6ELNS1_3repE0EEENS1_30default_config_static_selectorELNS0_4arch9wavefront6targetE0EEEvT1_.has_dyn_sized_stack, 0
	.set _ZN7rocprim17ROCPRIM_400000_NS6detail17trampoline_kernelINS0_14default_configENS1_25partition_config_selectorILNS1_17partition_subalgoE6EjNS0_10empty_typeEbEEZZNS1_14partition_implILS5_6ELb0ES3_mN6thrust23THRUST_200600_302600_NS6detail15normal_iteratorINSA_10device_ptrIjEEEEPS6_SG_NS0_5tupleIJNSA_16discard_iteratorINSA_11use_defaultEEES6_EEENSH_IJSG_SG_EEES6_PlJNSB_9not_fun_tINSB_14equal_to_valueIjEEEEEEE10hipError_tPvRmT3_T4_T5_T6_T7_T9_mT8_P12ihipStream_tbDpT10_ENKUlT_T0_E_clISt17integral_constantIbLb0EES1A_IbLb1EEEEDaS16_S17_EUlS16_E_NS1_11comp_targetILNS1_3genE2ELNS1_11target_archE906ELNS1_3gpuE6ELNS1_3repE0EEENS1_30default_config_static_selectorELNS0_4arch9wavefront6targetE0EEEvT1_.has_recursion, 0
	.set _ZN7rocprim17ROCPRIM_400000_NS6detail17trampoline_kernelINS0_14default_configENS1_25partition_config_selectorILNS1_17partition_subalgoE6EjNS0_10empty_typeEbEEZZNS1_14partition_implILS5_6ELb0ES3_mN6thrust23THRUST_200600_302600_NS6detail15normal_iteratorINSA_10device_ptrIjEEEEPS6_SG_NS0_5tupleIJNSA_16discard_iteratorINSA_11use_defaultEEES6_EEENSH_IJSG_SG_EEES6_PlJNSB_9not_fun_tINSB_14equal_to_valueIjEEEEEEE10hipError_tPvRmT3_T4_T5_T6_T7_T9_mT8_P12ihipStream_tbDpT10_ENKUlT_T0_E_clISt17integral_constantIbLb0EES1A_IbLb1EEEEDaS16_S17_EUlS16_E_NS1_11comp_targetILNS1_3genE2ELNS1_11target_archE906ELNS1_3gpuE6ELNS1_3repE0EEENS1_30default_config_static_selectorELNS0_4arch9wavefront6targetE0EEEvT1_.has_indirect_call, 0
	.section	.AMDGPU.csdata,"",@progbits
; Kernel info:
; codeLenInByte = 0
; TotalNumSgprs: 0
; NumVgprs: 0
; ScratchSize: 0
; MemoryBound: 0
; FloatMode: 240
; IeeeMode: 1
; LDSByteSize: 0 bytes/workgroup (compile time only)
; SGPRBlocks: 0
; VGPRBlocks: 0
; NumSGPRsForWavesPerEU: 1
; NumVGPRsForWavesPerEU: 1
; Occupancy: 16
; WaveLimiterHint : 0
; COMPUTE_PGM_RSRC2:SCRATCH_EN: 0
; COMPUTE_PGM_RSRC2:USER_SGPR: 2
; COMPUTE_PGM_RSRC2:TRAP_HANDLER: 0
; COMPUTE_PGM_RSRC2:TGID_X_EN: 1
; COMPUTE_PGM_RSRC2:TGID_Y_EN: 0
; COMPUTE_PGM_RSRC2:TGID_Z_EN: 0
; COMPUTE_PGM_RSRC2:TIDIG_COMP_CNT: 0
	.section	.text._ZN7rocprim17ROCPRIM_400000_NS6detail17trampoline_kernelINS0_14default_configENS1_25partition_config_selectorILNS1_17partition_subalgoE6EjNS0_10empty_typeEbEEZZNS1_14partition_implILS5_6ELb0ES3_mN6thrust23THRUST_200600_302600_NS6detail15normal_iteratorINSA_10device_ptrIjEEEEPS6_SG_NS0_5tupleIJNSA_16discard_iteratorINSA_11use_defaultEEES6_EEENSH_IJSG_SG_EEES6_PlJNSB_9not_fun_tINSB_14equal_to_valueIjEEEEEEE10hipError_tPvRmT3_T4_T5_T6_T7_T9_mT8_P12ihipStream_tbDpT10_ENKUlT_T0_E_clISt17integral_constantIbLb0EES1A_IbLb1EEEEDaS16_S17_EUlS16_E_NS1_11comp_targetILNS1_3genE10ELNS1_11target_archE1200ELNS1_3gpuE4ELNS1_3repE0EEENS1_30default_config_static_selectorELNS0_4arch9wavefront6targetE0EEEvT1_,"axG",@progbits,_ZN7rocprim17ROCPRIM_400000_NS6detail17trampoline_kernelINS0_14default_configENS1_25partition_config_selectorILNS1_17partition_subalgoE6EjNS0_10empty_typeEbEEZZNS1_14partition_implILS5_6ELb0ES3_mN6thrust23THRUST_200600_302600_NS6detail15normal_iteratorINSA_10device_ptrIjEEEEPS6_SG_NS0_5tupleIJNSA_16discard_iteratorINSA_11use_defaultEEES6_EEENSH_IJSG_SG_EEES6_PlJNSB_9not_fun_tINSB_14equal_to_valueIjEEEEEEE10hipError_tPvRmT3_T4_T5_T6_T7_T9_mT8_P12ihipStream_tbDpT10_ENKUlT_T0_E_clISt17integral_constantIbLb0EES1A_IbLb1EEEEDaS16_S17_EUlS16_E_NS1_11comp_targetILNS1_3genE10ELNS1_11target_archE1200ELNS1_3gpuE4ELNS1_3repE0EEENS1_30default_config_static_selectorELNS0_4arch9wavefront6targetE0EEEvT1_,comdat
	.protected	_ZN7rocprim17ROCPRIM_400000_NS6detail17trampoline_kernelINS0_14default_configENS1_25partition_config_selectorILNS1_17partition_subalgoE6EjNS0_10empty_typeEbEEZZNS1_14partition_implILS5_6ELb0ES3_mN6thrust23THRUST_200600_302600_NS6detail15normal_iteratorINSA_10device_ptrIjEEEEPS6_SG_NS0_5tupleIJNSA_16discard_iteratorINSA_11use_defaultEEES6_EEENSH_IJSG_SG_EEES6_PlJNSB_9not_fun_tINSB_14equal_to_valueIjEEEEEEE10hipError_tPvRmT3_T4_T5_T6_T7_T9_mT8_P12ihipStream_tbDpT10_ENKUlT_T0_E_clISt17integral_constantIbLb0EES1A_IbLb1EEEEDaS16_S17_EUlS16_E_NS1_11comp_targetILNS1_3genE10ELNS1_11target_archE1200ELNS1_3gpuE4ELNS1_3repE0EEENS1_30default_config_static_selectorELNS0_4arch9wavefront6targetE0EEEvT1_ ; -- Begin function _ZN7rocprim17ROCPRIM_400000_NS6detail17trampoline_kernelINS0_14default_configENS1_25partition_config_selectorILNS1_17partition_subalgoE6EjNS0_10empty_typeEbEEZZNS1_14partition_implILS5_6ELb0ES3_mN6thrust23THRUST_200600_302600_NS6detail15normal_iteratorINSA_10device_ptrIjEEEEPS6_SG_NS0_5tupleIJNSA_16discard_iteratorINSA_11use_defaultEEES6_EEENSH_IJSG_SG_EEES6_PlJNSB_9not_fun_tINSB_14equal_to_valueIjEEEEEEE10hipError_tPvRmT3_T4_T5_T6_T7_T9_mT8_P12ihipStream_tbDpT10_ENKUlT_T0_E_clISt17integral_constantIbLb0EES1A_IbLb1EEEEDaS16_S17_EUlS16_E_NS1_11comp_targetILNS1_3genE10ELNS1_11target_archE1200ELNS1_3gpuE4ELNS1_3repE0EEENS1_30default_config_static_selectorELNS0_4arch9wavefront6targetE0EEEvT1_
	.globl	_ZN7rocprim17ROCPRIM_400000_NS6detail17trampoline_kernelINS0_14default_configENS1_25partition_config_selectorILNS1_17partition_subalgoE6EjNS0_10empty_typeEbEEZZNS1_14partition_implILS5_6ELb0ES3_mN6thrust23THRUST_200600_302600_NS6detail15normal_iteratorINSA_10device_ptrIjEEEEPS6_SG_NS0_5tupleIJNSA_16discard_iteratorINSA_11use_defaultEEES6_EEENSH_IJSG_SG_EEES6_PlJNSB_9not_fun_tINSB_14equal_to_valueIjEEEEEEE10hipError_tPvRmT3_T4_T5_T6_T7_T9_mT8_P12ihipStream_tbDpT10_ENKUlT_T0_E_clISt17integral_constantIbLb0EES1A_IbLb1EEEEDaS16_S17_EUlS16_E_NS1_11comp_targetILNS1_3genE10ELNS1_11target_archE1200ELNS1_3gpuE4ELNS1_3repE0EEENS1_30default_config_static_selectorELNS0_4arch9wavefront6targetE0EEEvT1_
	.p2align	8
	.type	_ZN7rocprim17ROCPRIM_400000_NS6detail17trampoline_kernelINS0_14default_configENS1_25partition_config_selectorILNS1_17partition_subalgoE6EjNS0_10empty_typeEbEEZZNS1_14partition_implILS5_6ELb0ES3_mN6thrust23THRUST_200600_302600_NS6detail15normal_iteratorINSA_10device_ptrIjEEEEPS6_SG_NS0_5tupleIJNSA_16discard_iteratorINSA_11use_defaultEEES6_EEENSH_IJSG_SG_EEES6_PlJNSB_9not_fun_tINSB_14equal_to_valueIjEEEEEEE10hipError_tPvRmT3_T4_T5_T6_T7_T9_mT8_P12ihipStream_tbDpT10_ENKUlT_T0_E_clISt17integral_constantIbLb0EES1A_IbLb1EEEEDaS16_S17_EUlS16_E_NS1_11comp_targetILNS1_3genE10ELNS1_11target_archE1200ELNS1_3gpuE4ELNS1_3repE0EEENS1_30default_config_static_selectorELNS0_4arch9wavefront6targetE0EEEvT1_,@function
_ZN7rocprim17ROCPRIM_400000_NS6detail17trampoline_kernelINS0_14default_configENS1_25partition_config_selectorILNS1_17partition_subalgoE6EjNS0_10empty_typeEbEEZZNS1_14partition_implILS5_6ELb0ES3_mN6thrust23THRUST_200600_302600_NS6detail15normal_iteratorINSA_10device_ptrIjEEEEPS6_SG_NS0_5tupleIJNSA_16discard_iteratorINSA_11use_defaultEEES6_EEENSH_IJSG_SG_EEES6_PlJNSB_9not_fun_tINSB_14equal_to_valueIjEEEEEEE10hipError_tPvRmT3_T4_T5_T6_T7_T9_mT8_P12ihipStream_tbDpT10_ENKUlT_T0_E_clISt17integral_constantIbLb0EES1A_IbLb1EEEEDaS16_S17_EUlS16_E_NS1_11comp_targetILNS1_3genE10ELNS1_11target_archE1200ELNS1_3gpuE4ELNS1_3repE0EEENS1_30default_config_static_selectorELNS0_4arch9wavefront6targetE0EEEvT1_: ; @_ZN7rocprim17ROCPRIM_400000_NS6detail17trampoline_kernelINS0_14default_configENS1_25partition_config_selectorILNS1_17partition_subalgoE6EjNS0_10empty_typeEbEEZZNS1_14partition_implILS5_6ELb0ES3_mN6thrust23THRUST_200600_302600_NS6detail15normal_iteratorINSA_10device_ptrIjEEEEPS6_SG_NS0_5tupleIJNSA_16discard_iteratorINSA_11use_defaultEEES6_EEENSH_IJSG_SG_EEES6_PlJNSB_9not_fun_tINSB_14equal_to_valueIjEEEEEEE10hipError_tPvRmT3_T4_T5_T6_T7_T9_mT8_P12ihipStream_tbDpT10_ENKUlT_T0_E_clISt17integral_constantIbLb0EES1A_IbLb1EEEEDaS16_S17_EUlS16_E_NS1_11comp_targetILNS1_3genE10ELNS1_11target_archE1200ELNS1_3gpuE4ELNS1_3repE0EEENS1_30default_config_static_selectorELNS0_4arch9wavefront6targetE0EEEvT1_
; %bb.0:
	s_clause 0x2
	s_load_b64 s[14:15], s[0:1], 0x58
	s_load_b128 s[8:11], s[0:1], 0x48
	s_load_b64 s[12:13], s[0:1], 0x68
	v_cmp_eq_u32_e64 s2, 0, v0
	s_and_saveexec_b32 s3, s2
	s_cbranch_execz .LBB1690_4
; %bb.1:
	s_mov_b32 s5, exec_lo
	s_mov_b32 s4, exec_lo
	v_mbcnt_lo_u32_b32 v1, s5, 0
                                        ; implicit-def: $vgpr2
	s_delay_alu instid0(VALU_DEP_1)
	v_cmpx_eq_u32_e32 0, v1
	s_cbranch_execz .LBB1690_3
; %bb.2:
	s_load_b64 s[6:7], s[0:1], 0x78
	s_bcnt1_i32_b32 s5, s5
	s_wait_alu 0xfffe
	v_dual_mov_b32 v2, 0 :: v_dual_mov_b32 v3, s5
	s_wait_kmcnt 0x0
	global_atomic_add_u32 v2, v2, v3, s[6:7] th:TH_ATOMIC_RETURN scope:SCOPE_DEV
.LBB1690_3:
	s_or_b32 exec_lo, exec_lo, s4
	s_wait_loadcnt 0x0
	v_readfirstlane_b32 s4, v2
	s_wait_alu 0xf1ff
	s_delay_alu instid0(VALU_DEP_1)
	v_dual_mov_b32 v2, 0 :: v_dual_add_nc_u32 v1, s4, v1
	ds_store_b32 v2, v1
.LBB1690_4:
	s_or_b32 exec_lo, exec_lo, s3
	v_mov_b32_e32 v2, 0
	s_clause 0x2
	s_load_b128 s[4:7], s[0:1], 0x8
	s_load_b32 s3, s[0:1], 0x70
	s_load_b32 s16, s[0:1], 0x80
	s_wait_dscnt 0x0
	s_barrier_signal -1
	s_barrier_wait -1
	global_inv scope:SCOPE_SE
	ds_load_b32 v3, v2
	s_wait_loadcnt_dscnt 0x0
	s_barrier_signal -1
	s_barrier_wait -1
	global_inv scope:SCOPE_SE
	s_wait_kmcnt 0x0
	global_load_b64 v[9:10], v2, s[10:11]
	s_mov_b32 s1, 0
	v_lshlrev_b32_e32 v8, 2, v0
	s_lshl_b64 s[18:19], s[6:7], 2
	s_mul_i32 s0, s3, 0xa80
	s_add_co_i32 s10, s3, -1
	s_add_co_i32 s3, s0, s6
	s_add_nc_u64 s[6:7], s[6:7], s[0:1]
	s_sub_co_i32 s0, s14, s3
	v_cmp_gt_u64_e64 s1, s[14:15], s[6:7]
	v_mul_lo_u32 v1, 0xa80, v3
	v_readfirstlane_b32 s11, v3
	v_cmp_ne_u32_e32 vcc_lo, s10, v3
	s_add_nc_u64 s[4:5], s[4:5], s[18:19]
	s_cmp_eq_u32 s11, s10
	v_lshlrev_b64_e32 v[1:2], 2, v[1:2]
	s_cselect_b32 s7, -1, 0
	s_or_b32 s15, s1, vcc_lo
	s_mov_b32 s1, -1
	s_wait_alu 0xfffe
	s_delay_alu instid0(VALU_DEP_1) | instskip(NEXT) | instid1(VALU_DEP_1)
	v_add_co_u32 v11, vcc_lo, s4, v1
	v_add_co_ci_u32_e64 v12, null, s5, v2, vcc_lo
	s_and_b32 vcc_lo, exec_lo, s15
	s_wait_alu 0xfffe
	s_cbranch_vccz .LBB1690_6
; %bb.5:
	v_add_co_u32 v1, vcc_lo, v11, v8
	s_wait_alu 0xfffd
	v_add_co_ci_u32_e64 v2, null, 0, v12, vcc_lo
	s_mov_b32 s1, 0
	s_clause 0x6
	flat_load_b32 v3, v[1:2]
	flat_load_b32 v4, v[1:2] offset:1536
	flat_load_b32 v5, v[1:2] offset:3072
	;; [unrolled: 1-line block ×6, first 2 shown]
	s_wait_loadcnt_dscnt 0x505
	ds_store_2addr_stride64_b32 v8, v3, v4 offset1:6
	s_wait_loadcnt_dscnt 0x304
	ds_store_2addr_stride64_b32 v8, v5, v6 offset0:12 offset1:18
	s_wait_loadcnt_dscnt 0x103
	ds_store_2addr_stride64_b32 v8, v7, v13 offset0:24 offset1:30
	s_wait_loadcnt_dscnt 0x3
	ds_store_b32 v8, v1 offset:9216
	s_wait_dscnt 0x0
	s_barrier_signal -1
	s_barrier_wait -1
.LBB1690_6:
	s_and_not1_b32 vcc_lo, exec_lo, s1
	s_add_co_i32 s14, s0, 0xa80
	s_wait_alu 0xfffe
	s_cbranch_vccnz .LBB1690_22
; %bb.7:
	v_mov_b32_e32 v1, 0
	s_mov_b32 s0, exec_lo
	s_delay_alu instid0(VALU_DEP_1)
	v_dual_mov_b32 v2, v1 :: v_dual_mov_b32 v3, v1
	v_dual_mov_b32 v4, v1 :: v_dual_mov_b32 v5, v1
	v_dual_mov_b32 v6, v1 :: v_dual_mov_b32 v7, v1
	v_cmpx_gt_u32_e64 s14, v0
	s_cbranch_execz .LBB1690_9
; %bb.8:
	v_add_co_u32 v2, vcc_lo, v11, v8
	s_wait_alu 0xfffd
	v_add_co_ci_u32_e64 v3, null, 0, v12, vcc_lo
	v_dual_mov_b32 v14, v1 :: v_dual_mov_b32 v15, v1
	v_dual_mov_b32 v16, v1 :: v_dual_mov_b32 v17, v1
	flat_load_b32 v13, v[2:3]
	v_dual_mov_b32 v18, v1 :: v_dual_mov_b32 v19, v1
	s_wait_loadcnt_dscnt 0x0
	v_dual_mov_b32 v1, v13 :: v_dual_mov_b32 v2, v14
	v_dual_mov_b32 v3, v15 :: v_dual_mov_b32 v4, v16
	s_delay_alu instid0(VALU_DEP_3)
	v_dual_mov_b32 v5, v17 :: v_dual_mov_b32 v6, v18
	v_mov_b32_e32 v7, v19
.LBB1690_9:
	s_or_b32 exec_lo, exec_lo, s0
	v_add_nc_u32_e32 v13, 0x180, v0
	s_mov_b32 s0, exec_lo
	s_delay_alu instid0(VALU_DEP_1)
	v_cmpx_gt_u32_e64 s14, v13
	s_cbranch_execz .LBB1690_11
; %bb.10:
	v_add_co_u32 v13, vcc_lo, v11, v8
	s_wait_alu 0xfffd
	v_add_co_ci_u32_e64 v14, null, 0, v12, vcc_lo
	flat_load_b32 v2, v[13:14] offset:1536
.LBB1690_11:
	s_or_b32 exec_lo, exec_lo, s0
	v_add_nc_u32_e32 v13, 0x300, v0
	s_mov_b32 s0, exec_lo
	s_delay_alu instid0(VALU_DEP_1)
	v_cmpx_gt_u32_e64 s14, v13
	s_cbranch_execz .LBB1690_13
; %bb.12:
	v_add_co_u32 v13, vcc_lo, v11, v8
	s_wait_alu 0xfffd
	v_add_co_ci_u32_e64 v14, null, 0, v12, vcc_lo
	flat_load_b32 v3, v[13:14] offset:3072
.LBB1690_13:
	;; [unrolled: 12-line block ×3, first 2 shown]
	s_or_b32 exec_lo, exec_lo, s0
	v_or_b32_e32 v13, 0x600, v0
	s_mov_b32 s0, exec_lo
	s_delay_alu instid0(VALU_DEP_1)
	v_cmpx_gt_u32_e64 s14, v13
	s_cbranch_execz .LBB1690_17
; %bb.16:
	v_add_co_u32 v13, vcc_lo, v11, v8
	s_wait_alu 0xfffd
	v_add_co_ci_u32_e64 v14, null, 0, v12, vcc_lo
	flat_load_b32 v5, v[13:14] offset:6144
.LBB1690_17:
	s_or_b32 exec_lo, exec_lo, s0
	v_add_nc_u32_e32 v13, 0x780, v0
	s_mov_b32 s0, exec_lo
	s_delay_alu instid0(VALU_DEP_1)
	v_cmpx_gt_u32_e64 s14, v13
	s_cbranch_execz .LBB1690_19
; %bb.18:
	v_add_co_u32 v13, vcc_lo, v11, v8
	s_wait_alu 0xfffd
	v_add_co_ci_u32_e64 v14, null, 0, v12, vcc_lo
	flat_load_b32 v6, v[13:14] offset:7680
.LBB1690_19:
	s_or_b32 exec_lo, exec_lo, s0
	v_add_nc_u32_e32 v13, 0x900, v0
	s_mov_b32 s0, exec_lo
	s_delay_alu instid0(VALU_DEP_1)
	v_cmpx_gt_u32_e64 s14, v13
	s_cbranch_execz .LBB1690_21
; %bb.20:
	v_add_co_u32 v11, vcc_lo, v11, v8
	s_wait_alu 0xfffd
	v_add_co_ci_u32_e64 v12, null, 0, v12, vcc_lo
	flat_load_b32 v7, v[11:12] offset:9216
.LBB1690_21:
	s_or_b32 exec_lo, exec_lo, s0
	s_wait_loadcnt_dscnt 0x0
	ds_store_2addr_stride64_b32 v8, v1, v2 offset1:6
	ds_store_2addr_stride64_b32 v8, v3, v4 offset0:12 offset1:18
	ds_store_2addr_stride64_b32 v8, v5, v6 offset0:24 offset1:30
	ds_store_b32 v8, v7 offset:9216
	s_wait_dscnt 0x0
	s_barrier_signal -1
	s_barrier_wait -1
.LBB1690_22:
	v_mul_u32_u24_e32 v1, 7, v0
	s_wait_loadcnt 0x0
	global_inv scope:SCOPE_SE
	s_and_not1_b32 vcc_lo, exec_lo, s15
	v_lshlrev_b32_e32 v29, 2, v1
	ds_load_2addr_b32 v[11:12], v29 offset0:4 offset1:5
	ds_load_b32 v25, v29 offset:24
	ds_load_2addr_b32 v[15:16], v29 offset1:1
	ds_load_2addr_b32 v[13:14], v29 offset0:2 offset1:3
	s_wait_loadcnt_dscnt 0x0
	s_barrier_signal -1
	s_barrier_wait -1
	global_inv scope:SCOPE_SE
	v_cmp_ne_u32_e64 s0, s16, v11
	v_cmp_ne_u32_e64 s10, s16, v25
	;; [unrolled: 1-line block ×7, first 2 shown]
	s_wait_alu 0xfffe
	s_cbranch_vccnz .LBB1690_24
; %bb.23:
	s_wait_alu 0xf1ff
	v_cndmask_b32_e64 v2, 0, 1, s5
	v_cndmask_b32_e64 v3, 0, 1, s6
	;; [unrolled: 1-line block ×5, first 2 shown]
	v_lshlrev_b16 v2, 8, v2
	v_lshlrev_b16 v3, 8, v3
	v_cndmask_b32_e64 v26, 0, 1, s1
	s_delay_alu instid0(VALU_DEP_3) | instskip(NEXT) | instid1(VALU_DEP_3)
	v_or_b32_e32 v2, v4, v2
	v_or_b32_e32 v3, v5, v3
	s_delay_alu instid0(VALU_DEP_2) | instskip(NEXT) | instid1(VALU_DEP_2)
	v_and_b32_e32 v2, 0xffff, v2
	v_lshlrev_b32_e32 v3, 16, v3
	s_delay_alu instid0(VALU_DEP_1)
	v_or_b32_e32 v28, v2, v3
	s_cbranch_execz .LBB1690_25
	s_branch .LBB1690_26
.LBB1690_24:
                                        ; implicit-def: $sgpr10
                                        ; implicit-def: $vgpr26
                                        ; implicit-def: $vgpr27
                                        ; implicit-def: $vgpr28
.LBB1690_25:
	v_add_nc_u32_e32 v2, 1, v1
	v_cmp_ne_u32_e32 vcc_lo, s16, v16
	v_add_nc_u32_e32 v3, 3, v1
	v_cmp_ne_u32_e64 s0, s16, v15
	v_cmp_ne_u32_e64 s3, s16, v14
	v_cmp_gt_u32_e64 s1, s14, v2
	v_add_nc_u32_e32 v2, 2, v1
	v_cmp_gt_u32_e64 s5, s14, v3
	v_cmp_ne_u32_e64 s4, s16, v13
	v_add_nc_u32_e32 v5, 5, v1
	s_and_b32 s1, s1, vcc_lo
	v_cmp_gt_u32_e32 vcc_lo, s14, v1
	s_wait_alu 0xfffe
	v_cndmask_b32_e64 v3, 0, 1, s1
	v_cmp_gt_u32_e64 s1, s14, v2
	s_and_b32 s3, s5, s3
	s_and_b32 s0, vcc_lo, s0
	v_lshlrev_b16 v3, 8, v3
	s_wait_alu 0xfffe
	v_cndmask_b32_e64 v4, 0, 1, s0
	v_cndmask_b32_e64 v2, 0, 1, s3
	s_and_b32 s0, s1, s4
	v_cmp_ne_u32_e32 vcc_lo, s16, v12
	s_wait_alu 0xfffe
	v_cndmask_b32_e64 v6, 0, 1, s0
	v_cmp_gt_u32_e64 s0, s14, v5
	v_or_b32_e32 v3, v4, v3
	v_add_nc_u32_e32 v4, 4, v1
	v_lshlrev_b16 v2, 8, v2
	v_cmp_ne_u32_e64 s1, s16, v11
	s_and_b32 s0, s0, vcc_lo
	v_add_nc_u32_e32 v1, 6, v1
	v_cmp_gt_u32_e32 vcc_lo, s14, v4
	v_or_b32_e32 v2, v6, v2
	s_wait_alu 0xfffe
	v_cndmask_b32_e64 v26, 0, 1, s0
	v_and_b32_e32 v3, 0xffff, v3
	s_and_b32 s0, vcc_lo, s1
	v_cmp_gt_u32_e32 vcc_lo, s14, v1
	s_wait_alu 0xfffe
	v_cndmask_b32_e64 v5, 0, 1, s0
	v_cmp_ne_u32_e64 s0, s16, v25
	v_lshlrev_b32_e32 v2, 16, v2
	v_lshlrev_b16 v4, 8, v26
	s_and_not1_b32 s1, s10, exec_lo
	s_and_b32 s0, vcc_lo, s0
	s_delay_alu instid0(VALU_DEP_2) | instskip(NEXT) | instid1(VALU_DEP_2)
	v_or_b32_e32 v28, v3, v2
	v_or_b32_e32 v27, v5, v4
	s_wait_alu 0xfffe
	s_and_b32 s0, s0, exec_lo
	s_wait_alu 0xfffe
	s_or_b32 s10, s1, s0
.LBB1690_26:
	s_delay_alu instid0(VALU_DEP_1)
	v_dual_mov_b32 v2, 0 :: v_dual_and_b32 v33, 0xff, v28
	v_bfe_u32 v32, v28, 8, 8
	s_wait_alu 0xfffe
	v_cndmask_b32_e64 v1, 0, 1, s10
	v_bfe_u32 v35, v28, 16, 8
	v_lshrrev_b32_e32 v30, 24, v28
	v_and_b32_e32 v34, 0xff, v27
	v_mbcnt_lo_u32_b32 v36, -1, 0
	v_add3_u32 v1, v33, v1, v32
	v_and_b32_e32 v31, 0xff, v26
	s_cmp_lg_u32 s11, 0
	s_mov_b32 s1, -1
	v_and_b32_e32 v37, 15, v36
	v_add_co_u32 v1, s0, v1, v35
	s_wait_alu 0xf1ff
	v_add_co_ci_u32_e64 v3, null, 0, 0, s0
	s_delay_alu instid0(VALU_DEP_3) | instskip(NEXT) | instid1(VALU_DEP_3)
	v_cmp_ne_u32_e64 s0, 0, v37
	v_add_co_u32 v1, vcc_lo, v1, v30
	s_wait_alu 0xfffd
	s_delay_alu instid0(VALU_DEP_3) | instskip(NEXT) | instid1(VALU_DEP_2)
	v_add_co_ci_u32_e64 v3, null, 0, v3, vcc_lo
	v_add_co_u32 v1, vcc_lo, v1, v34
	s_wait_alu 0xfffd
	s_delay_alu instid0(VALU_DEP_2) | instskip(NEXT) | instid1(VALU_DEP_2)
	v_add_co_ci_u32_e64 v3, null, 0, v3, vcc_lo
	v_add_co_u32 v17, vcc_lo, v1, v31
	s_wait_alu 0xfffd
	s_delay_alu instid0(VALU_DEP_2)
	v_add_co_ci_u32_e64 v18, null, 0, v3, vcc_lo
	s_cbranch_scc0 .LBB1690_85
; %bb.27:
	v_mov_b32_e32 v3, v17
	v_mov_b32_dpp v1, v17 row_shr:1 row_mask:0xf bank_mask:0xf
	v_mov_b32_dpp v6, v2 row_shr:1 row_mask:0xf bank_mask:0xf
	v_dual_mov_b32 v5, v17 :: v_dual_mov_b32 v4, v18
	s_and_saveexec_b32 s1, s0
; %bb.28:
	s_delay_alu instid0(VALU_DEP_3) | instskip(SKIP_2) | instid1(VALU_DEP_2)
	v_add_co_u32 v5, vcc_lo, v17, v1
	s_wait_alu 0xfffd
	v_add_co_ci_u32_e64 v2, null, 0, v18, vcc_lo
	v_add_co_u32 v1, vcc_lo, 0, v5
	s_wait_alu 0xfffd
	s_delay_alu instid0(VALU_DEP_2) | instskip(NEXT) | instid1(VALU_DEP_1)
	v_add_co_ci_u32_e64 v2, null, v6, v2, vcc_lo
	v_dual_mov_b32 v4, v2 :: v_dual_mov_b32 v3, v1
; %bb.29:
	s_wait_alu 0xfffe
	s_or_b32 exec_lo, exec_lo, s1
	v_mov_b32_dpp v1, v5 row_shr:2 row_mask:0xf bank_mask:0xf
	v_mov_b32_dpp v6, v2 row_shr:2 row_mask:0xf bank_mask:0xf
	v_cmp_lt_u32_e32 vcc_lo, 1, v37
	s_and_saveexec_b32 s3, vcc_lo
; %bb.30:
	s_delay_alu instid0(VALU_DEP_3) | instskip(SKIP_2) | instid1(VALU_DEP_2)
	v_add_co_u32 v5, s1, v3, v1
	s_wait_alu 0xf1ff
	v_add_co_ci_u32_e64 v2, null, 0, v4, s1
	v_add_co_u32 v1, s1, 0, v5
	s_wait_alu 0xf1ff
	s_delay_alu instid0(VALU_DEP_2) | instskip(NEXT) | instid1(VALU_DEP_1)
	v_add_co_ci_u32_e64 v2, null, v6, v2, s1
	v_dual_mov_b32 v4, v2 :: v_dual_mov_b32 v3, v1
; %bb.31:
	s_wait_alu 0xfffe
	s_or_b32 exec_lo, exec_lo, s3
	v_mov_b32_dpp v1, v5 row_shr:4 row_mask:0xf bank_mask:0xf
	v_mov_b32_dpp v6, v2 row_shr:4 row_mask:0xf bank_mask:0xf
	v_cmp_lt_u32_e64 s1, 3, v37
	s_and_saveexec_b32 s4, s1
; %bb.32:
	v_add_co_u32 v5, s3, v3, v1
	s_wait_alu 0xf1ff
	v_add_co_ci_u32_e64 v2, null, 0, v4, s3
	s_delay_alu instid0(VALU_DEP_2) | instskip(SKIP_1) | instid1(VALU_DEP_2)
	v_add_co_u32 v1, s3, 0, v5
	s_wait_alu 0xf1ff
	v_add_co_ci_u32_e64 v2, null, v6, v2, s3
	s_delay_alu instid0(VALU_DEP_1)
	v_dual_mov_b32 v4, v2 :: v_dual_mov_b32 v3, v1
; %bb.33:
	s_wait_alu 0xfffe
	s_or_b32 exec_lo, exec_lo, s4
	v_mov_b32_dpp v6, v5 row_shr:8 row_mask:0xf bank_mask:0xf
	v_mov_b32_dpp v1, v2 row_shr:8 row_mask:0xf bank_mask:0xf
	v_cmp_lt_u32_e64 s3, 7, v37
	s_and_saveexec_b32 s5, s3
; %bb.34:
	v_add_co_u32 v5, s4, v3, v6
	s_wait_alu 0xf1ff
	v_add_co_ci_u32_e64 v2, null, 0, v4, s4
	s_delay_alu instid0(VALU_DEP_2) | instskip(SKIP_1) | instid1(VALU_DEP_2)
	v_add_co_u32 v3, s4, 0, v5
	s_wait_alu 0xf1ff
	v_add_co_ci_u32_e64 v4, null, v1, v2, s4
	s_delay_alu instid0(VALU_DEP_1)
	v_mov_b32_e32 v2, v4
; %bb.35:
	s_wait_alu 0xfffe
	s_or_b32 exec_lo, exec_lo, s5
	ds_swizzle_b32 v6, v5 offset:swizzle(BROADCAST,32,15)
	ds_swizzle_b32 v1, v2 offset:swizzle(BROADCAST,32,15)
	v_and_b32_e32 v2, 16, v36
	s_mov_b32 s5, exec_lo
	s_delay_alu instid0(VALU_DEP_1)
	v_cmpx_ne_u32_e32 0, v2
	s_cbranch_execz .LBB1690_37
; %bb.36:
	s_wait_dscnt 0x1
	v_add_co_u32 v5, s4, v3, v6
	s_wait_alu 0xf1ff
	v_add_co_ci_u32_e64 v2, null, 0, v4, s4
	s_delay_alu instid0(VALU_DEP_2) | instskip(SKIP_2) | instid1(VALU_DEP_2)
	v_add_co_u32 v3, s4, 0, v5
	s_wait_dscnt 0x0
	s_wait_alu 0xf1ff
	v_add_co_ci_u32_e64 v4, null, v1, v2, s4
.LBB1690_37:
	s_wait_alu 0xfffe
	s_or_b32 exec_lo, exec_lo, s5
	s_wait_dscnt 0x0
	v_and_b32_e32 v1, 0x1e0, v0
	v_lshrrev_b32_e32 v6, 5, v0
	s_mov_b32 s5, exec_lo
	s_delay_alu instid0(VALU_DEP_2) | instskip(NEXT) | instid1(VALU_DEP_1)
	v_min_u32_e32 v1, 0x160, v1
	v_or_b32_e32 v1, 31, v1
	s_delay_alu instid0(VALU_DEP_1)
	v_cmpx_eq_u32_e64 v0, v1
; %bb.38:
	v_lshlrev_b32_e32 v1, 3, v6
	ds_store_b64 v1, v[3:4]
; %bb.39:
	s_wait_alu 0xfffe
	s_or_b32 exec_lo, exec_lo, s5
	s_delay_alu instid0(SALU_CYCLE_1)
	s_mov_b32 s5, exec_lo
	s_wait_loadcnt_dscnt 0x0
	s_barrier_signal -1
	s_barrier_wait -1
	global_inv scope:SCOPE_SE
	v_cmpx_gt_u32_e32 12, v0
	s_cbranch_execz .LBB1690_49
; %bb.40:
	v_lshlrev_b32_e32 v3, 3, v0
	ds_load_b64 v[1:2], v3
	s_wait_dscnt 0x0
	v_mov_b32_dpp v8, v1 row_shr:1 row_mask:0xf bank_mask:0xf
	v_mov_b32_dpp v7, v2 row_shr:1 row_mask:0xf bank_mask:0xf
	v_mov_b32_e32 v4, v1
	s_and_saveexec_b32 s6, s0
; %bb.41:
	s_delay_alu instid0(VALU_DEP_3) | instskip(SKIP_2) | instid1(VALU_DEP_2)
	v_add_co_u32 v4, s4, v1, v8
	s_wait_alu 0xf1ff
	v_add_co_ci_u32_e64 v2, null, 0, v2, s4
	v_add_co_u32 v1, s4, 0, v4
	s_wait_alu 0xf1ff
	s_delay_alu instid0(VALU_DEP_2)
	v_add_co_ci_u32_e64 v2, null, v7, v2, s4
; %bb.42:
	s_wait_alu 0xfffe
	s_or_b32 exec_lo, exec_lo, s6
	v_mov_b32_dpp v8, v4 row_shr:2 row_mask:0xf bank_mask:0xf
	s_delay_alu instid0(VALU_DEP_2)
	v_mov_b32_dpp v7, v2 row_shr:2 row_mask:0xf bank_mask:0xf
	s_and_saveexec_b32 s4, vcc_lo
; %bb.43:
	s_delay_alu instid0(VALU_DEP_2) | instskip(SKIP_2) | instid1(VALU_DEP_2)
	v_add_co_u32 v4, vcc_lo, v1, v8
	s_wait_alu 0xfffd
	v_add_co_ci_u32_e64 v2, null, 0, v2, vcc_lo
	v_add_co_u32 v1, vcc_lo, 0, v4
	s_wait_alu 0xfffd
	s_delay_alu instid0(VALU_DEP_2)
	v_add_co_ci_u32_e64 v2, null, v7, v2, vcc_lo
; %bb.44:
	s_wait_alu 0xfffe
	s_or_b32 exec_lo, exec_lo, s4
	v_mov_b32_dpp v8, v4 row_shr:4 row_mask:0xf bank_mask:0xf
	s_delay_alu instid0(VALU_DEP_2)
	v_mov_b32_dpp v7, v2 row_shr:4 row_mask:0xf bank_mask:0xf
	s_and_saveexec_b32 s4, s1
; %bb.45:
	s_delay_alu instid0(VALU_DEP_2) | instskip(SKIP_2) | instid1(VALU_DEP_2)
	v_add_co_u32 v4, vcc_lo, v1, v8
	s_wait_alu 0xfffd
	v_add_co_ci_u32_e64 v2, null, 0, v2, vcc_lo
	v_add_co_u32 v1, vcc_lo, 0, v4
	s_wait_alu 0xfffd
	s_delay_alu instid0(VALU_DEP_2)
	v_add_co_ci_u32_e64 v2, null, v7, v2, vcc_lo
; %bb.46:
	s_wait_alu 0xfffe
	s_or_b32 exec_lo, exec_lo, s4
	v_mov_b32_dpp v7, v4 row_shr:8 row_mask:0xf bank_mask:0xf
	s_delay_alu instid0(VALU_DEP_2)
	v_mov_b32_dpp v4, v2 row_shr:8 row_mask:0xf bank_mask:0xf
	s_and_saveexec_b32 s1, s3
; %bb.47:
	s_delay_alu instid0(VALU_DEP_2) | instskip(SKIP_2) | instid1(VALU_DEP_2)
	v_add_co_u32 v1, vcc_lo, v1, v7
	s_wait_alu 0xfffd
	v_add_co_ci_u32_e64 v2, null, 0, v2, vcc_lo
	v_add_co_u32 v1, vcc_lo, v1, 0
	s_wait_alu 0xfffd
	s_delay_alu instid0(VALU_DEP_2)
	v_add_co_ci_u32_e64 v2, null, v2, v4, vcc_lo
; %bb.48:
	s_wait_alu 0xfffe
	s_or_b32 exec_lo, exec_lo, s1
	ds_store_b64 v3, v[1:2]
.LBB1690_49:
	s_wait_alu 0xfffe
	s_or_b32 exec_lo, exec_lo, s5
	s_delay_alu instid0(SALU_CYCLE_1)
	s_mov_b32 s3, exec_lo
	v_cmp_gt_u32_e32 vcc_lo, 32, v0
	s_wait_loadcnt_dscnt 0x0
	s_barrier_signal -1
	s_barrier_wait -1
	global_inv scope:SCOPE_SE
                                        ; implicit-def: $vgpr19_vgpr20
	v_cmpx_lt_u32_e32 31, v0
	s_cbranch_execz .LBB1690_51
; %bb.50:
	v_lshl_add_u32 v1, v6, 3, -8
	ds_load_b64 v[19:20], v1
	s_wait_dscnt 0x0
	v_add_nc_u32_e32 v5, v5, v19
.LBB1690_51:
	s_wait_alu 0xfffe
	s_or_b32 exec_lo, exec_lo, s3
	v_sub_co_u32 v1, s1, v36, 1
	s_delay_alu instid0(VALU_DEP_1) | instskip(SKIP_1) | instid1(VALU_DEP_1)
	v_cmp_gt_i32_e64 s3, 0, v1
	s_wait_alu 0xf1ff
	v_cndmask_b32_e64 v1, v1, v36, s3
	s_delay_alu instid0(VALU_DEP_1)
	v_lshlrev_b32_e32 v1, 2, v1
	ds_bpermute_b32 v38, v1, v5
	s_and_saveexec_b32 s3, vcc_lo
	s_cbranch_execz .LBB1690_90
; %bb.52:
	v_mov_b32_e32 v4, 0
	ds_load_b64 v[1:2], v4 offset:88
	s_and_saveexec_b32 s4, s1
	s_cbranch_execz .LBB1690_54
; %bb.53:
	s_add_co_i32 s14, s11, 32
	s_mov_b32 s15, 0
	s_wait_alu 0xfffe
	s_lshl_b64 s[14:15], s[14:15], 4
	s_wait_alu 0xfffe
	s_add_nc_u64 s[14:15], s[12:13], s[14:15]
	v_mov_b32_e32 v3, 1
	s_wait_alu 0xfffe
	v_dual_mov_b32 v5, s14 :: v_dual_mov_b32 v6, s15
	s_wait_dscnt 0x0
	;;#ASMSTART
	global_store_b128 v[5:6], v[1:4] off scope:SCOPE_DEV	
s_wait_storecnt 0x0
	;;#ASMEND
.LBB1690_54:
	s_wait_alu 0xfffe
	s_or_b32 exec_lo, exec_lo, s4
	v_xad_u32 v21, v36, -1, s11
	s_mov_b32 s5, 0
	s_mov_b32 s4, exec_lo
	s_delay_alu instid0(VALU_DEP_1) | instskip(NEXT) | instid1(VALU_DEP_1)
	v_add_nc_u32_e32 v3, 32, v21
	v_lshlrev_b64_e32 v[3:4], 4, v[3:4]
	s_delay_alu instid0(VALU_DEP_1) | instskip(SKIP_1) | instid1(VALU_DEP_2)
	v_add_co_u32 v3, vcc_lo, s12, v3
	s_wait_alu 0xfffd
	v_add_co_ci_u32_e64 v4, null, s13, v4, vcc_lo
	;;#ASMSTART
	global_load_b128 v[5:8], v[3:4] off scope:SCOPE_DEV	
s_wait_loadcnt 0x0
	;;#ASMEND
	v_and_b32_e32 v8, 0xff, v7
	s_delay_alu instid0(VALU_DEP_1)
	v_cmpx_eq_u16_e32 0, v8
	s_cbranch_execz .LBB1690_57
.LBB1690_55:                            ; =>This Inner Loop Header: Depth=1
	;;#ASMSTART
	global_load_b128 v[5:8], v[3:4] off scope:SCOPE_DEV	
s_wait_loadcnt 0x0
	;;#ASMEND
	v_and_b32_e32 v8, 0xff, v7
	s_delay_alu instid0(VALU_DEP_1)
	v_cmp_ne_u16_e32 vcc_lo, 0, v8
	s_wait_alu 0xfffe
	s_or_b32 s5, vcc_lo, s5
	s_wait_alu 0xfffe
	s_and_not1_b32 exec_lo, exec_lo, s5
	s_cbranch_execnz .LBB1690_55
; %bb.56:
	s_or_b32 exec_lo, exec_lo, s5
.LBB1690_57:
	s_wait_alu 0xfffe
	s_or_b32 exec_lo, exec_lo, s4
	v_cmp_ne_u32_e32 vcc_lo, 31, v36
	v_and_b32_e32 v4, 0xff, v7
	v_lshlrev_b32_e64 v40, v36, -1
	s_mov_b32 s4, exec_lo
	s_wait_alu 0xfffd
	v_add_co_ci_u32_e64 v3, null, 0, v36, vcc_lo
	v_cmp_eq_u16_e32 vcc_lo, 2, v4
	s_delay_alu instid0(VALU_DEP_2)
	v_dual_mov_b32 v4, v5 :: v_dual_lshlrev_b32 v39, 2, v3
	s_wait_alu 0xfffd
	v_and_or_b32 v3, vcc_lo, v40, 0x80000000
	ds_bpermute_b32 v22, v39, v5
	ds_bpermute_b32 v8, v39, v6
	v_ctz_i32_b32_e32 v3, v3
	s_delay_alu instid0(VALU_DEP_1)
	v_cmpx_lt_u32_e64 v36, v3
	s_cbranch_execz .LBB1690_59
; %bb.58:
	s_wait_dscnt 0x1
	v_add_co_u32 v4, vcc_lo, v5, v22
	s_wait_alu 0xfffd
	v_add_co_ci_u32_e64 v6, null, 0, v6, vcc_lo
	s_delay_alu instid0(VALU_DEP_2) | instskip(SKIP_2) | instid1(VALU_DEP_2)
	v_add_co_u32 v5, vcc_lo, 0, v4
	s_wait_dscnt 0x0
	s_wait_alu 0xfffd
	v_add_co_ci_u32_e64 v6, null, v8, v6, vcc_lo
.LBB1690_59:
	s_wait_alu 0xfffe
	s_or_b32 exec_lo, exec_lo, s4
	v_cmp_gt_u32_e32 vcc_lo, 30, v36
	v_add_nc_u32_e32 v42, 2, v36
	s_mov_b32 s4, exec_lo
	s_wait_dscnt 0x0
	s_wait_alu 0xfffd
	v_cndmask_b32_e64 v8, 0, 2, vcc_lo
	s_delay_alu instid0(VALU_DEP_1)
	v_add_lshl_u32 v41, v8, v36, 2
	ds_bpermute_b32 v22, v41, v4
	ds_bpermute_b32 v8, v41, v6
	v_cmpx_le_u32_e64 v42, v3
	s_cbranch_execz .LBB1690_61
; %bb.60:
	s_wait_dscnt 0x1
	v_add_co_u32 v4, vcc_lo, v5, v22
	s_wait_alu 0xfffd
	v_add_co_ci_u32_e64 v6, null, 0, v6, vcc_lo
	s_delay_alu instid0(VALU_DEP_2) | instskip(SKIP_2) | instid1(VALU_DEP_2)
	v_add_co_u32 v5, vcc_lo, 0, v4
	s_wait_dscnt 0x0
	s_wait_alu 0xfffd
	v_add_co_ci_u32_e64 v6, null, v8, v6, vcc_lo
.LBB1690_61:
	s_wait_alu 0xfffe
	s_or_b32 exec_lo, exec_lo, s4
	v_cmp_gt_u32_e32 vcc_lo, 28, v36
	v_add_nc_u32_e32 v44, 4, v36
	s_mov_b32 s4, exec_lo
	s_wait_dscnt 0x0
	s_wait_alu 0xfffd
	v_cndmask_b32_e64 v8, 0, 4, vcc_lo
	s_delay_alu instid0(VALU_DEP_1)
	v_add_lshl_u32 v43, v8, v36, 2
	ds_bpermute_b32 v22, v43, v4
	ds_bpermute_b32 v8, v43, v6
	v_cmpx_le_u32_e64 v44, v3
	;; [unrolled: 25-line block ×3, first 2 shown]
	s_cbranch_execz .LBB1690_65
; %bb.64:
	s_wait_dscnt 0x1
	v_add_co_u32 v4, vcc_lo, v5, v22
	s_wait_alu 0xfffd
	v_add_co_ci_u32_e64 v6, null, 0, v6, vcc_lo
	s_delay_alu instid0(VALU_DEP_2) | instskip(SKIP_2) | instid1(VALU_DEP_2)
	v_add_co_u32 v5, vcc_lo, 0, v4
	s_wait_dscnt 0x0
	s_wait_alu 0xfffd
	v_add_co_ci_u32_e64 v6, null, v8, v6, vcc_lo
.LBB1690_65:
	s_wait_alu 0xfffe
	s_or_b32 exec_lo, exec_lo, s4
	v_lshl_or_b32 v47, v36, 2, 64
	v_add_nc_u32_e32 v48, 16, v36
	s_mov_b32 s4, exec_lo
	s_wait_dscnt 0x0
	ds_bpermute_b32 v8, v47, v4
	ds_bpermute_b32 v4, v47, v6
	v_cmpx_le_u32_e64 v48, v3
	s_cbranch_execz .LBB1690_67
; %bb.66:
	s_wait_dscnt 0x1
	v_add_co_u32 v3, vcc_lo, v5, v8
	s_wait_alu 0xfffd
	v_add_co_ci_u32_e64 v6, null, 0, v6, vcc_lo
	s_delay_alu instid0(VALU_DEP_2) | instskip(SKIP_2) | instid1(VALU_DEP_2)
	v_add_co_u32 v5, vcc_lo, v3, 0
	s_wait_dscnt 0x0
	s_wait_alu 0xfffd
	v_add_co_ci_u32_e64 v6, null, v6, v4, vcc_lo
.LBB1690_67:
	s_wait_alu 0xfffe
	s_or_b32 exec_lo, exec_lo, s4
	v_mov_b32_e32 v22, 0
	s_branch .LBB1690_70
.LBB1690_68:                            ;   in Loop: Header=BB1690_70 Depth=1
	s_wait_alu 0xfffe
	s_or_b32 exec_lo, exec_lo, s4
	v_add_co_u32 v5, vcc_lo, v5, v3
	v_subrev_nc_u32_e32 v21, 32, v21
	s_wait_alu 0xfffd
	v_add_co_ci_u32_e64 v6, null, v6, v4, vcc_lo
	s_mov_b32 s4, 0
.LBB1690_69:                            ;   in Loop: Header=BB1690_70 Depth=1
	s_wait_alu 0xfffe
	s_and_b32 vcc_lo, exec_lo, s4
	s_wait_alu 0xfffe
	s_cbranch_vccnz .LBB1690_86
.LBB1690_70:                            ; =>This Loop Header: Depth=1
                                        ;     Child Loop BB1690_73 Depth 2
	v_and_b32_e32 v3, 0xff, v7
	s_mov_b32 s4, -1
	s_delay_alu instid0(VALU_DEP_1)
	v_cmp_ne_u16_e32 vcc_lo, 2, v3
	s_wait_dscnt 0x0
	v_dual_mov_b32 v3, v5 :: v_dual_mov_b32 v4, v6
                                        ; implicit-def: $vgpr5_vgpr6
	s_cmp_lg_u32 vcc_lo, exec_lo
	s_cbranch_scc1 .LBB1690_69
; %bb.71:                               ;   in Loop: Header=BB1690_70 Depth=1
	v_lshlrev_b64_e32 v[5:6], 4, v[21:22]
	s_mov_b32 s4, exec_lo
	s_delay_alu instid0(VALU_DEP_1) | instskip(SKIP_1) | instid1(VALU_DEP_2)
	v_add_co_u32 v23, vcc_lo, s12, v5
	s_wait_alu 0xfffd
	v_add_co_ci_u32_e64 v24, null, s13, v6, vcc_lo
	;;#ASMSTART
	global_load_b128 v[5:8], v[23:24] off scope:SCOPE_DEV	
s_wait_loadcnt 0x0
	;;#ASMEND
	v_and_b32_e32 v8, 0xff, v7
	s_delay_alu instid0(VALU_DEP_1)
	v_cmpx_eq_u16_e32 0, v8
	s_cbranch_execz .LBB1690_75
; %bb.72:                               ;   in Loop: Header=BB1690_70 Depth=1
	s_mov_b32 s5, 0
.LBB1690_73:                            ;   Parent Loop BB1690_70 Depth=1
                                        ; =>  This Inner Loop Header: Depth=2
	;;#ASMSTART
	global_load_b128 v[5:8], v[23:24] off scope:SCOPE_DEV	
s_wait_loadcnt 0x0
	;;#ASMEND
	v_and_b32_e32 v8, 0xff, v7
	s_delay_alu instid0(VALU_DEP_1)
	v_cmp_ne_u16_e32 vcc_lo, 0, v8
	s_wait_alu 0xfffe
	s_or_b32 s5, vcc_lo, s5
	s_wait_alu 0xfffe
	s_and_not1_b32 exec_lo, exec_lo, s5
	s_cbranch_execnz .LBB1690_73
; %bb.74:                               ;   in Loop: Header=BB1690_70 Depth=1
	s_or_b32 exec_lo, exec_lo, s5
.LBB1690_75:                            ;   in Loop: Header=BB1690_70 Depth=1
	s_wait_alu 0xfffe
	s_or_b32 exec_lo, exec_lo, s4
	v_dual_mov_b32 v23, v5 :: v_dual_and_b32 v8, 0xff, v7
	ds_bpermute_b32 v49, v39, v5
	ds_bpermute_b32 v24, v39, v6
	s_mov_b32 s4, exec_lo
	v_cmp_eq_u16_e32 vcc_lo, 2, v8
	s_wait_alu 0xfffd
	v_and_or_b32 v8, vcc_lo, v40, 0x80000000
	s_delay_alu instid0(VALU_DEP_1) | instskip(NEXT) | instid1(VALU_DEP_1)
	v_ctz_i32_b32_e32 v8, v8
	v_cmpx_lt_u32_e64 v36, v8
	s_cbranch_execz .LBB1690_77
; %bb.76:                               ;   in Loop: Header=BB1690_70 Depth=1
	s_wait_dscnt 0x1
	v_add_co_u32 v23, vcc_lo, v5, v49
	s_wait_alu 0xfffd
	v_add_co_ci_u32_e64 v6, null, 0, v6, vcc_lo
	s_delay_alu instid0(VALU_DEP_2) | instskip(SKIP_2) | instid1(VALU_DEP_2)
	v_add_co_u32 v5, vcc_lo, 0, v23
	s_wait_dscnt 0x0
	s_wait_alu 0xfffd
	v_add_co_ci_u32_e64 v6, null, v24, v6, vcc_lo
.LBB1690_77:                            ;   in Loop: Header=BB1690_70 Depth=1
	s_wait_alu 0xfffe
	s_or_b32 exec_lo, exec_lo, s4
	s_wait_dscnt 0x1
	ds_bpermute_b32 v49, v41, v23
	s_wait_dscnt 0x1
	ds_bpermute_b32 v24, v41, v6
	s_mov_b32 s4, exec_lo
	v_cmpx_le_u32_e64 v42, v8
	s_cbranch_execz .LBB1690_79
; %bb.78:                               ;   in Loop: Header=BB1690_70 Depth=1
	s_wait_dscnt 0x1
	v_add_co_u32 v23, vcc_lo, v5, v49
	s_wait_alu 0xfffd
	v_add_co_ci_u32_e64 v6, null, 0, v6, vcc_lo
	s_delay_alu instid0(VALU_DEP_2) | instskip(SKIP_2) | instid1(VALU_DEP_2)
	v_add_co_u32 v5, vcc_lo, 0, v23
	s_wait_dscnt 0x0
	s_wait_alu 0xfffd
	v_add_co_ci_u32_e64 v6, null, v24, v6, vcc_lo
.LBB1690_79:                            ;   in Loop: Header=BB1690_70 Depth=1
	s_wait_alu 0xfffe
	s_or_b32 exec_lo, exec_lo, s4
	s_wait_dscnt 0x1
	ds_bpermute_b32 v49, v43, v23
	s_wait_dscnt 0x1
	ds_bpermute_b32 v24, v43, v6
	s_mov_b32 s4, exec_lo
	v_cmpx_le_u32_e64 v44, v8
	;; [unrolled: 20-line block ×3, first 2 shown]
	s_cbranch_execz .LBB1690_83
; %bb.82:                               ;   in Loop: Header=BB1690_70 Depth=1
	s_wait_dscnt 0x1
	v_add_co_u32 v23, vcc_lo, v5, v49
	s_wait_alu 0xfffd
	v_add_co_ci_u32_e64 v6, null, 0, v6, vcc_lo
	s_delay_alu instid0(VALU_DEP_2) | instskip(SKIP_2) | instid1(VALU_DEP_2)
	v_add_co_u32 v5, vcc_lo, 0, v23
	s_wait_dscnt 0x0
	s_wait_alu 0xfffd
	v_add_co_ci_u32_e64 v6, null, v24, v6, vcc_lo
.LBB1690_83:                            ;   in Loop: Header=BB1690_70 Depth=1
	s_wait_alu 0xfffe
	s_or_b32 exec_lo, exec_lo, s4
	s_wait_dscnt 0x0
	ds_bpermute_b32 v24, v47, v23
	ds_bpermute_b32 v23, v47, v6
	s_mov_b32 s4, exec_lo
	v_cmpx_le_u32_e64 v48, v8
	s_cbranch_execz .LBB1690_68
; %bb.84:                               ;   in Loop: Header=BB1690_70 Depth=1
	s_wait_dscnt 0x1
	v_add_co_u32 v5, vcc_lo, v5, v24
	s_wait_alu 0xfffd
	v_add_co_ci_u32_e64 v6, null, 0, v6, vcc_lo
	s_delay_alu instid0(VALU_DEP_2) | instskip(SKIP_2) | instid1(VALU_DEP_2)
	v_add_co_u32 v5, vcc_lo, v5, 0
	s_wait_dscnt 0x0
	s_wait_alu 0xfffd
	v_add_co_ci_u32_e64 v6, null, v6, v23, vcc_lo
	s_branch .LBB1690_68
.LBB1690_85:
                                        ; implicit-def: $vgpr19_vgpr20
                                        ; implicit-def: $vgpr7_vgpr8
                                        ; implicit-def: $vgpr5_vgpr6
                                        ; implicit-def: $vgpr3_vgpr4
                                        ; implicit-def: $vgpr20_vgpr21
                                        ; implicit-def: $vgpr21_vgpr22
                                        ; implicit-def: $vgpr22_vgpr23
                                        ; implicit-def: $vgpr23_vgpr24
	s_wait_alu 0xfffe
	s_and_b32 vcc_lo, exec_lo, s1
	s_wait_alu 0xfffe
	s_cbranch_vccnz .LBB1690_91
	s_branch .LBB1690_118
.LBB1690_86:
	s_and_saveexec_b32 s4, s1
	s_cbranch_execz .LBB1690_88
; %bb.87:
	s_add_co_i32 s14, s11, 32
	s_mov_b32 s15, 0
	v_add_co_u32 v5, vcc_lo, v3, v1
	s_wait_alu 0xfffe
	s_lshl_b64 s[14:15], s[14:15], 4
	v_dual_mov_b32 v7, 2 :: v_dual_mov_b32 v8, 0
	s_wait_alu 0xfffe
	s_add_nc_u64 s[14:15], s[12:13], s[14:15]
	s_wait_alu 0xfffd
	v_add_co_ci_u32_e64 v6, null, v4, v2, vcc_lo
	s_wait_alu 0xfffe
	v_dual_mov_b32 v22, s15 :: v_dual_mov_b32 v21, s14
	;;#ASMSTART
	global_store_b128 v[21:22], v[5:8] off scope:SCOPE_DEV	
s_wait_storecnt 0x0
	;;#ASMEND
	ds_store_b128 v8, v[1:4] offset:10752
.LBB1690_88:
	s_wait_alu 0xfffe
	s_or_b32 exec_lo, exec_lo, s4
	s_delay_alu instid0(SALU_CYCLE_1)
	s_and_b32 exec_lo, exec_lo, s2
; %bb.89:
	v_mov_b32_e32 v1, 0
	ds_store_b64 v1, v[3:4] offset:88
.LBB1690_90:
	s_wait_alu 0xfffe
	s_or_b32 exec_lo, exec_lo, s3
	v_mov_b32_e32 v3, 0
	s_wait_loadcnt_dscnt 0x0
	s_barrier_signal -1
	s_barrier_wait -1
	global_inv scope:SCOPE_SE
	ds_load_b64 v[1:2], v3 offset:88
	v_cndmask_b32_e64 v4, v38, v19, s1
	v_cndmask_b32_e64 v5, 0, v20, s1
	s_wait_loadcnt_dscnt 0x0
	s_barrier_signal -1
	s_barrier_wait -1
	v_cndmask_b32_e64 v4, v4, 0, s2
	v_cndmask_b32_e64 v5, v5, 0, s2
	global_inv scope:SCOPE_SE
	v_add_co_u32 v23, vcc_lo, v1, v4
	s_wait_alu 0xfffd
	v_add_co_ci_u32_e64 v1, null, v2, v5, vcc_lo
	s_delay_alu instid0(VALU_DEP_2) | instskip(SKIP_1) | instid1(VALU_DEP_2)
	v_add_co_u32 v22, vcc_lo, v23, v33
	s_wait_alu 0xfffd
	v_add_co_ci_u32_e64 v1, null, 0, v1, vcc_lo
	s_delay_alu instid0(VALU_DEP_2) | instskip(SKIP_1) | instid1(VALU_DEP_2)
	v_add_co_u32 v21, vcc_lo, v22, v32
	s_wait_alu 0xfffd
	v_add_co_ci_u32_e64 v5, null, 0, v1, vcc_lo
	ds_load_b128 v[1:4], v3 offset:10752
	v_add_co_u32 v20, vcc_lo, v21, v35
	s_wait_alu 0xfffd
	v_add_co_ci_u32_e64 v5, null, 0, v5, vcc_lo
	s_delay_alu instid0(VALU_DEP_2) | instskip(SKIP_1) | instid1(VALU_DEP_2)
	v_add_co_u32 v19, vcc_lo, v20, v30
	s_wait_alu 0xfffd
	v_add_co_ci_u32_e64 v6, null, 0, v5, vcc_lo
	s_delay_alu instid0(VALU_DEP_2) | instskip(SKIP_1) | instid1(VALU_DEP_2)
	;; [unrolled: 4-line block ×3, first 2 shown]
	v_add_co_u32 v7, vcc_lo, v5, v31
	s_wait_alu 0xfffd
	v_add_co_ci_u32_e64 v6, null, 0, v6, vcc_lo
	s_branch .LBB1690_118
.LBB1690_91:
	s_wait_dscnt 0x0
	v_dual_mov_b32 v2, 0 :: v_dual_mov_b32 v3, v17
	v_mov_b32_dpp v4, v17 row_shr:1 row_mask:0xf bank_mask:0xf
	s_delay_alu instid0(VALU_DEP_2)
	v_mov_b32_dpp v1, v2 row_shr:1 row_mask:0xf bank_mask:0xf
	s_and_saveexec_b32 s1, s0
; %bb.92:
	s_delay_alu instid0(VALU_DEP_2) | instskip(SKIP_2) | instid1(VALU_DEP_2)
	v_add_co_u32 v3, vcc_lo, v17, v4
	s_wait_alu 0xfffd
	v_add_co_ci_u32_e64 v2, null, 0, v18, vcc_lo
	v_add_co_u32 v17, vcc_lo, 0, v3
	s_wait_alu 0xfffd
	s_delay_alu instid0(VALU_DEP_2) | instskip(NEXT) | instid1(VALU_DEP_1)
	v_add_co_ci_u32_e64 v18, null, v1, v2, vcc_lo
	v_mov_b32_e32 v2, v18
; %bb.93:
	s_wait_alu 0xfffe
	s_or_b32 exec_lo, exec_lo, s1
	v_mov_b32_dpp v1, v3 row_shr:2 row_mask:0xf bank_mask:0xf
	s_delay_alu instid0(VALU_DEP_2)
	v_mov_b32_dpp v4, v2 row_shr:2 row_mask:0xf bank_mask:0xf
	v_cmp_lt_u32_e32 vcc_lo, 1, v37
	s_and_saveexec_b32 s3, vcc_lo
; %bb.94:
	s_delay_alu instid0(VALU_DEP_3) | instskip(SKIP_2) | instid1(VALU_DEP_2)
	v_add_co_u32 v3, s1, v17, v1
	s_wait_alu 0xf1ff
	v_add_co_ci_u32_e64 v2, null, 0, v18, s1
	v_add_co_u32 v1, s1, 0, v3
	s_wait_alu 0xf1ff
	s_delay_alu instid0(VALU_DEP_2) | instskip(NEXT) | instid1(VALU_DEP_1)
	v_add_co_ci_u32_e64 v2, null, v4, v2, s1
	v_dual_mov_b32 v18, v2 :: v_dual_mov_b32 v17, v1
; %bb.95:
	s_wait_alu 0xfffe
	s_or_b32 exec_lo, exec_lo, s3
	v_mov_b32_dpp v1, v3 row_shr:4 row_mask:0xf bank_mask:0xf
	v_mov_b32_dpp v4, v2 row_shr:4 row_mask:0xf bank_mask:0xf
	v_cmp_lt_u32_e64 s1, 3, v37
	s_and_saveexec_b32 s4, s1
; %bb.96:
	v_add_co_u32 v3, s3, v17, v1
	s_wait_alu 0xf1ff
	v_add_co_ci_u32_e64 v2, null, 0, v18, s3
	s_delay_alu instid0(VALU_DEP_2) | instskip(SKIP_1) | instid1(VALU_DEP_2)
	v_add_co_u32 v1, s3, 0, v3
	s_wait_alu 0xf1ff
	v_add_co_ci_u32_e64 v2, null, v4, v2, s3
	s_delay_alu instid0(VALU_DEP_1)
	v_dual_mov_b32 v18, v2 :: v_dual_mov_b32 v17, v1
; %bb.97:
	s_wait_alu 0xfffe
	s_or_b32 exec_lo, exec_lo, s4
	v_mov_b32_dpp v4, v3 row_shr:8 row_mask:0xf bank_mask:0xf
	v_mov_b32_dpp v1, v2 row_shr:8 row_mask:0xf bank_mask:0xf
	v_cmp_lt_u32_e64 s3, 7, v37
	s_and_saveexec_b32 s5, s3
; %bb.98:
	v_add_co_u32 v3, s4, v17, v4
	s_wait_alu 0xf1ff
	v_add_co_ci_u32_e64 v2, null, 0, v18, s4
	s_delay_alu instid0(VALU_DEP_2) | instskip(SKIP_1) | instid1(VALU_DEP_2)
	v_add_co_u32 v17, s4, 0, v3
	s_wait_alu 0xf1ff
	v_add_co_ci_u32_e64 v18, null, v1, v2, s4
	s_delay_alu instid0(VALU_DEP_1)
	v_mov_b32_e32 v2, v18
; %bb.99:
	s_wait_alu 0xfffe
	s_or_b32 exec_lo, exec_lo, s5
	ds_swizzle_b32 v3, v3 offset:swizzle(BROADCAST,32,15)
	ds_swizzle_b32 v1, v2 offset:swizzle(BROADCAST,32,15)
	v_and_b32_e32 v2, 16, v36
	s_mov_b32 s5, exec_lo
	s_delay_alu instid0(VALU_DEP_1)
	v_cmpx_ne_u32_e32 0, v2
	s_cbranch_execz .LBB1690_101
; %bb.100:
	s_wait_dscnt 0x1
	v_add_co_u32 v2, s4, v17, v3
	s_wait_alu 0xf1ff
	v_add_co_ci_u32_e64 v3, null, 0, v18, s4
	s_delay_alu instid0(VALU_DEP_2) | instskip(SKIP_2) | instid1(VALU_DEP_2)
	v_add_co_u32 v17, s4, v2, 0
	s_wait_dscnt 0x0
	s_wait_alu 0xf1ff
	v_add_co_ci_u32_e64 v18, null, v3, v1, s4
.LBB1690_101:
	s_wait_alu 0xfffe
	s_or_b32 exec_lo, exec_lo, s5
	s_wait_dscnt 0x0
	v_and_b32_e32 v1, 0x1e0, v0
	v_lshrrev_b32_e32 v3, 5, v0
	s_mov_b32 s5, exec_lo
	s_delay_alu instid0(VALU_DEP_2) | instskip(NEXT) | instid1(VALU_DEP_1)
	v_min_u32_e32 v1, 0x160, v1
	v_or_b32_e32 v1, 31, v1
	s_delay_alu instid0(VALU_DEP_1)
	v_cmpx_eq_u32_e64 v0, v1
; %bb.102:
	v_lshlrev_b32_e32 v1, 3, v3
	ds_store_b64 v1, v[17:18]
; %bb.103:
	s_wait_alu 0xfffe
	s_or_b32 exec_lo, exec_lo, s5
	s_delay_alu instid0(SALU_CYCLE_1)
	s_mov_b32 s5, exec_lo
	s_wait_loadcnt_dscnt 0x0
	s_barrier_signal -1
	s_barrier_wait -1
	global_inv scope:SCOPE_SE
	v_cmpx_gt_u32_e32 12, v0
	s_cbranch_execz .LBB1690_113
; %bb.104:
	v_mad_i32_i24 v1, 0xffffffec, v0, v29
	ds_load_b64 v[1:2], v1
	s_wait_dscnt 0x0
	v_mov_b32_dpp v6, v1 row_shr:1 row_mask:0xf bank_mask:0xf
	v_mov_b32_dpp v5, v2 row_shr:1 row_mask:0xf bank_mask:0xf
	v_mov_b32_e32 v4, v1
	s_and_saveexec_b32 s4, s0
; %bb.105:
	s_delay_alu instid0(VALU_DEP_3) | instskip(SKIP_2) | instid1(VALU_DEP_2)
	v_add_co_u32 v4, s0, v1, v6
	s_wait_alu 0xf1ff
	v_add_co_ci_u32_e64 v2, null, 0, v2, s0
	v_add_co_u32 v1, s0, 0, v4
	s_wait_alu 0xf1ff
	s_delay_alu instid0(VALU_DEP_2)
	v_add_co_ci_u32_e64 v2, null, v5, v2, s0
; %bb.106:
	s_wait_alu 0xfffe
	s_or_b32 exec_lo, exec_lo, s4
	v_mov_b32_dpp v6, v4 row_shr:2 row_mask:0xf bank_mask:0xf
	s_delay_alu instid0(VALU_DEP_2)
	v_mov_b32_dpp v5, v2 row_shr:2 row_mask:0xf bank_mask:0xf
	s_and_saveexec_b32 s0, vcc_lo
; %bb.107:
	s_delay_alu instid0(VALU_DEP_2) | instskip(SKIP_2) | instid1(VALU_DEP_2)
	v_add_co_u32 v4, vcc_lo, v1, v6
	s_wait_alu 0xfffd
	v_add_co_ci_u32_e64 v2, null, 0, v2, vcc_lo
	v_add_co_u32 v1, vcc_lo, 0, v4
	s_wait_alu 0xfffd
	s_delay_alu instid0(VALU_DEP_2)
	v_add_co_ci_u32_e64 v2, null, v5, v2, vcc_lo
; %bb.108:
	s_wait_alu 0xfffe
	s_or_b32 exec_lo, exec_lo, s0
	v_mov_b32_dpp v6, v4 row_shr:4 row_mask:0xf bank_mask:0xf
	s_delay_alu instid0(VALU_DEP_2)
	v_mov_b32_dpp v5, v2 row_shr:4 row_mask:0xf bank_mask:0xf
	s_and_saveexec_b32 s0, s1
; %bb.109:
	s_delay_alu instid0(VALU_DEP_2) | instskip(SKIP_2) | instid1(VALU_DEP_2)
	v_add_co_u32 v4, vcc_lo, v1, v6
	s_wait_alu 0xfffd
	v_add_co_ci_u32_e64 v2, null, 0, v2, vcc_lo
	v_add_co_u32 v1, vcc_lo, 0, v4
	s_wait_alu 0xfffd
	s_delay_alu instid0(VALU_DEP_2)
	v_add_co_ci_u32_e64 v2, null, v5, v2, vcc_lo
; %bb.110:
	s_wait_alu 0xfffe
	s_or_b32 exec_lo, exec_lo, s0
	v_mul_i32_i24_e32 v5, 0xffffffec, v0
	v_mov_b32_dpp v6, v4 row_shr:8 row_mask:0xf bank_mask:0xf
	v_mov_b32_dpp v4, v2 row_shr:8 row_mask:0xf bank_mask:0xf
	s_and_saveexec_b32 s0, s3
; %bb.111:
	s_delay_alu instid0(VALU_DEP_2) | instskip(SKIP_2) | instid1(VALU_DEP_2)
	v_add_co_u32 v1, vcc_lo, v1, v6
	s_wait_alu 0xfffd
	v_add_co_ci_u32_e64 v2, null, 0, v2, vcc_lo
	v_add_co_u32 v1, vcc_lo, v1, 0
	s_wait_alu 0xfffd
	s_delay_alu instid0(VALU_DEP_2)
	v_add_co_ci_u32_e64 v2, null, v2, v4, vcc_lo
; %bb.112:
	s_wait_alu 0xfffe
	s_or_b32 exec_lo, exec_lo, s0
	v_add_nc_u32_e32 v4, v29, v5
	ds_store_b64 v4, v[1:2]
.LBB1690_113:
	s_wait_alu 0xfffe
	s_or_b32 exec_lo, exec_lo, s5
	v_mov_b32_e32 v5, 0
	v_mov_b32_e32 v6, 0
	s_mov_b32 s0, exec_lo
	s_wait_loadcnt_dscnt 0x0
	s_barrier_signal -1
	s_barrier_wait -1
	global_inv scope:SCOPE_SE
	v_cmpx_lt_u32_e32 31, v0
; %bb.114:
	v_lshl_add_u32 v0, v3, 3, -8
	ds_load_b64 v[5:6], v0
; %bb.115:
	s_wait_alu 0xfffe
	s_or_b32 exec_lo, exec_lo, s0
	v_sub_co_u32 v0, vcc_lo, v36, 1
	s_wait_dscnt 0x0
	v_dual_mov_b32 v4, 0 :: v_dual_add_nc_u32 v1, v5, v17
	s_delay_alu instid0(VALU_DEP_2) | instskip(SKIP_1) | instid1(VALU_DEP_1)
	v_cmp_gt_i32_e64 s0, 0, v0
	s_wait_alu 0xf1ff
	v_cndmask_b32_e64 v0, v0, v36, s0
	s_delay_alu instid0(VALU_DEP_1)
	v_lshlrev_b32_e32 v0, 2, v0
	ds_bpermute_b32 v0, v0, v1
	ds_load_b64 v[1:2], v4 offset:88
	s_and_saveexec_b32 s0, s2
	s_cbranch_execz .LBB1690_117
; %bb.116:
	s_add_nc_u64 s[4:5], s[12:13], 0x200
	s_wait_alu 0xfffe
	v_dual_mov_b32 v3, 2 :: v_dual_mov_b32 v8, s5
	v_mov_b32_e32 v7, s4
	s_wait_dscnt 0x0
	;;#ASMSTART
	global_store_b128 v[7:8], v[1:4] off scope:SCOPE_DEV	
s_wait_storecnt 0x0
	;;#ASMEND
.LBB1690_117:
	s_wait_alu 0xfffe
	s_or_b32 exec_lo, exec_lo, s0
	s_wait_dscnt 0x1
	s_wait_alu 0xfffd
	v_dual_cndmask_b32 v0, v0, v5 :: v_dual_cndmask_b32 v3, 0, v6
	s_wait_loadcnt_dscnt 0x0
	s_barrier_signal -1
	s_barrier_wait -1
	s_delay_alu instid0(VALU_DEP_1)
	v_cndmask_b32_e64 v23, v0, 0, s2
	v_cndmask_b32_e64 v0, v3, 0, s2
	v_mov_b32_e32 v3, 0
	v_mov_b32_e32 v4, 0
	global_inv scope:SCOPE_SE
	v_add_co_u32 v22, vcc_lo, v23, v33
	s_wait_alu 0xfffd
	v_add_co_ci_u32_e64 v0, null, 0, v0, vcc_lo
	s_delay_alu instid0(VALU_DEP_2) | instskip(SKIP_1) | instid1(VALU_DEP_2)
	v_add_co_u32 v21, vcc_lo, v22, v32
	s_wait_alu 0xfffd
	v_add_co_ci_u32_e64 v0, null, 0, v0, vcc_lo
	s_delay_alu instid0(VALU_DEP_2) | instskip(SKIP_1) | instid1(VALU_DEP_2)
	;; [unrolled: 4-line block ×5, first 2 shown]
	v_add_co_u32 v7, vcc_lo, v5, v31
	s_wait_alu 0xfffd
	v_add_co_ci_u32_e64 v0, null, 0, v0, vcc_lo
.LBB1690_118:
	s_wait_dscnt 0x0
	v_cmp_gt_u64_e32 vcc_lo, 0x181, v[1:2]
	v_lshrrev_b32_e32 v6, 8, v28
	v_lshrrev_b32_e32 v0, 16, v28
	s_cbranch_vccz .LBB1690_121
; %bb.119:
	s_and_b32 s0, s2, s7
	s_wait_alu 0xfffe
	s_and_saveexec_b32 s1, s0
	s_cbranch_execnz .LBB1690_136
.LBB1690_120:
	s_endpgm
.LBB1690_121:
	v_and_b32_e32 v8, 1, v28
	s_mov_b32 s0, exec_lo
	s_delay_alu instid0(VALU_DEP_1)
	v_cmpx_eq_u32_e32 1, v8
; %bb.122:
	v_sub_nc_u32_e32 v8, v23, v3
	s_delay_alu instid0(VALU_DEP_1)
	v_lshlrev_b32_e32 v8, 2, v8
	ds_store_b32 v8, v15
; %bb.123:
	s_wait_alu 0xfffe
	s_or_b32 exec_lo, exec_lo, s0
	v_and_b32_e32 v6, 1, v6
	s_mov_b32 s0, exec_lo
	s_delay_alu instid0(VALU_DEP_1)
	v_cmpx_eq_u32_e32 1, v6
; %bb.124:
	v_sub_nc_u32_e32 v6, v22, v3
	s_delay_alu instid0(VALU_DEP_1)
	v_lshlrev_b32_e32 v6, 2, v6
	ds_store_b32 v6, v16
; %bb.125:
	s_wait_alu 0xfffe
	s_or_b32 exec_lo, exec_lo, s0
	;; [unrolled: 12-line block ×6, first 2 shown]
	s_and_saveexec_b32 s0, s10
; %bb.134:
	v_sub_nc_u32_e32 v0, v7, v3
	s_delay_alu instid0(VALU_DEP_1)
	v_lshlrev_b32_e32 v0, 2, v0
	ds_store_b32 v0, v25
; %bb.135:
	s_wait_alu 0xfffe
	s_or_b32 exec_lo, exec_lo, s0
	s_wait_loadcnt_dscnt 0x0
	s_barrier_signal -1
	s_barrier_wait -1
	global_inv scope:SCOPE_SE
	s_and_b32 s0, s2, s7
	s_wait_alu 0xfffe
	s_and_saveexec_b32 s1, s0
	s_cbranch_execz .LBB1690_120
.LBB1690_136:
	v_add_co_u32 v0, vcc_lo, v1, v9
	s_wait_alu 0xfffd
	v_add_co_ci_u32_e64 v1, null, v2, v10, vcc_lo
	v_mov_b32_e32 v2, 0
	s_delay_alu instid0(VALU_DEP_3) | instskip(SKIP_1) | instid1(VALU_DEP_3)
	v_add_co_u32 v0, vcc_lo, v0, v3
	s_wait_alu 0xfffd
	v_add_co_ci_u32_e64 v1, null, v1, v4, vcc_lo
	global_store_b64 v2, v[0:1], s[8:9]
	s_endpgm
	.section	.rodata,"a",@progbits
	.p2align	6, 0x0
	.amdhsa_kernel _ZN7rocprim17ROCPRIM_400000_NS6detail17trampoline_kernelINS0_14default_configENS1_25partition_config_selectorILNS1_17partition_subalgoE6EjNS0_10empty_typeEbEEZZNS1_14partition_implILS5_6ELb0ES3_mN6thrust23THRUST_200600_302600_NS6detail15normal_iteratorINSA_10device_ptrIjEEEEPS6_SG_NS0_5tupleIJNSA_16discard_iteratorINSA_11use_defaultEEES6_EEENSH_IJSG_SG_EEES6_PlJNSB_9not_fun_tINSB_14equal_to_valueIjEEEEEEE10hipError_tPvRmT3_T4_T5_T6_T7_T9_mT8_P12ihipStream_tbDpT10_ENKUlT_T0_E_clISt17integral_constantIbLb0EES1A_IbLb1EEEEDaS16_S17_EUlS16_E_NS1_11comp_targetILNS1_3genE10ELNS1_11target_archE1200ELNS1_3gpuE4ELNS1_3repE0EEENS1_30default_config_static_selectorELNS0_4arch9wavefront6targetE0EEEvT1_
		.amdhsa_group_segment_fixed_size 10768
		.amdhsa_private_segment_fixed_size 0
		.amdhsa_kernarg_size 136
		.amdhsa_user_sgpr_count 2
		.amdhsa_user_sgpr_dispatch_ptr 0
		.amdhsa_user_sgpr_queue_ptr 0
		.amdhsa_user_sgpr_kernarg_segment_ptr 1
		.amdhsa_user_sgpr_dispatch_id 0
		.amdhsa_user_sgpr_private_segment_size 0
		.amdhsa_wavefront_size32 1
		.amdhsa_uses_dynamic_stack 0
		.amdhsa_enable_private_segment 0
		.amdhsa_system_sgpr_workgroup_id_x 1
		.amdhsa_system_sgpr_workgroup_id_y 0
		.amdhsa_system_sgpr_workgroup_id_z 0
		.amdhsa_system_sgpr_workgroup_info 0
		.amdhsa_system_vgpr_workitem_id 0
		.amdhsa_next_free_vgpr 50
		.amdhsa_next_free_sgpr 20
		.amdhsa_reserve_vcc 1
		.amdhsa_float_round_mode_32 0
		.amdhsa_float_round_mode_16_64 0
		.amdhsa_float_denorm_mode_32 3
		.amdhsa_float_denorm_mode_16_64 3
		.amdhsa_fp16_overflow 0
		.amdhsa_workgroup_processor_mode 1
		.amdhsa_memory_ordered 1
		.amdhsa_forward_progress 1
		.amdhsa_inst_pref_size 53
		.amdhsa_round_robin_scheduling 0
		.amdhsa_exception_fp_ieee_invalid_op 0
		.amdhsa_exception_fp_denorm_src 0
		.amdhsa_exception_fp_ieee_div_zero 0
		.amdhsa_exception_fp_ieee_overflow 0
		.amdhsa_exception_fp_ieee_underflow 0
		.amdhsa_exception_fp_ieee_inexact 0
		.amdhsa_exception_int_div_zero 0
	.end_amdhsa_kernel
	.section	.text._ZN7rocprim17ROCPRIM_400000_NS6detail17trampoline_kernelINS0_14default_configENS1_25partition_config_selectorILNS1_17partition_subalgoE6EjNS0_10empty_typeEbEEZZNS1_14partition_implILS5_6ELb0ES3_mN6thrust23THRUST_200600_302600_NS6detail15normal_iteratorINSA_10device_ptrIjEEEEPS6_SG_NS0_5tupleIJNSA_16discard_iteratorINSA_11use_defaultEEES6_EEENSH_IJSG_SG_EEES6_PlJNSB_9not_fun_tINSB_14equal_to_valueIjEEEEEEE10hipError_tPvRmT3_T4_T5_T6_T7_T9_mT8_P12ihipStream_tbDpT10_ENKUlT_T0_E_clISt17integral_constantIbLb0EES1A_IbLb1EEEEDaS16_S17_EUlS16_E_NS1_11comp_targetILNS1_3genE10ELNS1_11target_archE1200ELNS1_3gpuE4ELNS1_3repE0EEENS1_30default_config_static_selectorELNS0_4arch9wavefront6targetE0EEEvT1_,"axG",@progbits,_ZN7rocprim17ROCPRIM_400000_NS6detail17trampoline_kernelINS0_14default_configENS1_25partition_config_selectorILNS1_17partition_subalgoE6EjNS0_10empty_typeEbEEZZNS1_14partition_implILS5_6ELb0ES3_mN6thrust23THRUST_200600_302600_NS6detail15normal_iteratorINSA_10device_ptrIjEEEEPS6_SG_NS0_5tupleIJNSA_16discard_iteratorINSA_11use_defaultEEES6_EEENSH_IJSG_SG_EEES6_PlJNSB_9not_fun_tINSB_14equal_to_valueIjEEEEEEE10hipError_tPvRmT3_T4_T5_T6_T7_T9_mT8_P12ihipStream_tbDpT10_ENKUlT_T0_E_clISt17integral_constantIbLb0EES1A_IbLb1EEEEDaS16_S17_EUlS16_E_NS1_11comp_targetILNS1_3genE10ELNS1_11target_archE1200ELNS1_3gpuE4ELNS1_3repE0EEENS1_30default_config_static_selectorELNS0_4arch9wavefront6targetE0EEEvT1_,comdat
.Lfunc_end1690:
	.size	_ZN7rocprim17ROCPRIM_400000_NS6detail17trampoline_kernelINS0_14default_configENS1_25partition_config_selectorILNS1_17partition_subalgoE6EjNS0_10empty_typeEbEEZZNS1_14partition_implILS5_6ELb0ES3_mN6thrust23THRUST_200600_302600_NS6detail15normal_iteratorINSA_10device_ptrIjEEEEPS6_SG_NS0_5tupleIJNSA_16discard_iteratorINSA_11use_defaultEEES6_EEENSH_IJSG_SG_EEES6_PlJNSB_9not_fun_tINSB_14equal_to_valueIjEEEEEEE10hipError_tPvRmT3_T4_T5_T6_T7_T9_mT8_P12ihipStream_tbDpT10_ENKUlT_T0_E_clISt17integral_constantIbLb0EES1A_IbLb1EEEEDaS16_S17_EUlS16_E_NS1_11comp_targetILNS1_3genE10ELNS1_11target_archE1200ELNS1_3gpuE4ELNS1_3repE0EEENS1_30default_config_static_selectorELNS0_4arch9wavefront6targetE0EEEvT1_, .Lfunc_end1690-_ZN7rocprim17ROCPRIM_400000_NS6detail17trampoline_kernelINS0_14default_configENS1_25partition_config_selectorILNS1_17partition_subalgoE6EjNS0_10empty_typeEbEEZZNS1_14partition_implILS5_6ELb0ES3_mN6thrust23THRUST_200600_302600_NS6detail15normal_iteratorINSA_10device_ptrIjEEEEPS6_SG_NS0_5tupleIJNSA_16discard_iteratorINSA_11use_defaultEEES6_EEENSH_IJSG_SG_EEES6_PlJNSB_9not_fun_tINSB_14equal_to_valueIjEEEEEEE10hipError_tPvRmT3_T4_T5_T6_T7_T9_mT8_P12ihipStream_tbDpT10_ENKUlT_T0_E_clISt17integral_constantIbLb0EES1A_IbLb1EEEEDaS16_S17_EUlS16_E_NS1_11comp_targetILNS1_3genE10ELNS1_11target_archE1200ELNS1_3gpuE4ELNS1_3repE0EEENS1_30default_config_static_selectorELNS0_4arch9wavefront6targetE0EEEvT1_
                                        ; -- End function
	.set _ZN7rocprim17ROCPRIM_400000_NS6detail17trampoline_kernelINS0_14default_configENS1_25partition_config_selectorILNS1_17partition_subalgoE6EjNS0_10empty_typeEbEEZZNS1_14partition_implILS5_6ELb0ES3_mN6thrust23THRUST_200600_302600_NS6detail15normal_iteratorINSA_10device_ptrIjEEEEPS6_SG_NS0_5tupleIJNSA_16discard_iteratorINSA_11use_defaultEEES6_EEENSH_IJSG_SG_EEES6_PlJNSB_9not_fun_tINSB_14equal_to_valueIjEEEEEEE10hipError_tPvRmT3_T4_T5_T6_T7_T9_mT8_P12ihipStream_tbDpT10_ENKUlT_T0_E_clISt17integral_constantIbLb0EES1A_IbLb1EEEEDaS16_S17_EUlS16_E_NS1_11comp_targetILNS1_3genE10ELNS1_11target_archE1200ELNS1_3gpuE4ELNS1_3repE0EEENS1_30default_config_static_selectorELNS0_4arch9wavefront6targetE0EEEvT1_.num_vgpr, 50
	.set _ZN7rocprim17ROCPRIM_400000_NS6detail17trampoline_kernelINS0_14default_configENS1_25partition_config_selectorILNS1_17partition_subalgoE6EjNS0_10empty_typeEbEEZZNS1_14partition_implILS5_6ELb0ES3_mN6thrust23THRUST_200600_302600_NS6detail15normal_iteratorINSA_10device_ptrIjEEEEPS6_SG_NS0_5tupleIJNSA_16discard_iteratorINSA_11use_defaultEEES6_EEENSH_IJSG_SG_EEES6_PlJNSB_9not_fun_tINSB_14equal_to_valueIjEEEEEEE10hipError_tPvRmT3_T4_T5_T6_T7_T9_mT8_P12ihipStream_tbDpT10_ENKUlT_T0_E_clISt17integral_constantIbLb0EES1A_IbLb1EEEEDaS16_S17_EUlS16_E_NS1_11comp_targetILNS1_3genE10ELNS1_11target_archE1200ELNS1_3gpuE4ELNS1_3repE0EEENS1_30default_config_static_selectorELNS0_4arch9wavefront6targetE0EEEvT1_.num_agpr, 0
	.set _ZN7rocprim17ROCPRIM_400000_NS6detail17trampoline_kernelINS0_14default_configENS1_25partition_config_selectorILNS1_17partition_subalgoE6EjNS0_10empty_typeEbEEZZNS1_14partition_implILS5_6ELb0ES3_mN6thrust23THRUST_200600_302600_NS6detail15normal_iteratorINSA_10device_ptrIjEEEEPS6_SG_NS0_5tupleIJNSA_16discard_iteratorINSA_11use_defaultEEES6_EEENSH_IJSG_SG_EEES6_PlJNSB_9not_fun_tINSB_14equal_to_valueIjEEEEEEE10hipError_tPvRmT3_T4_T5_T6_T7_T9_mT8_P12ihipStream_tbDpT10_ENKUlT_T0_E_clISt17integral_constantIbLb0EES1A_IbLb1EEEEDaS16_S17_EUlS16_E_NS1_11comp_targetILNS1_3genE10ELNS1_11target_archE1200ELNS1_3gpuE4ELNS1_3repE0EEENS1_30default_config_static_selectorELNS0_4arch9wavefront6targetE0EEEvT1_.numbered_sgpr, 20
	.set _ZN7rocprim17ROCPRIM_400000_NS6detail17trampoline_kernelINS0_14default_configENS1_25partition_config_selectorILNS1_17partition_subalgoE6EjNS0_10empty_typeEbEEZZNS1_14partition_implILS5_6ELb0ES3_mN6thrust23THRUST_200600_302600_NS6detail15normal_iteratorINSA_10device_ptrIjEEEEPS6_SG_NS0_5tupleIJNSA_16discard_iteratorINSA_11use_defaultEEES6_EEENSH_IJSG_SG_EEES6_PlJNSB_9not_fun_tINSB_14equal_to_valueIjEEEEEEE10hipError_tPvRmT3_T4_T5_T6_T7_T9_mT8_P12ihipStream_tbDpT10_ENKUlT_T0_E_clISt17integral_constantIbLb0EES1A_IbLb1EEEEDaS16_S17_EUlS16_E_NS1_11comp_targetILNS1_3genE10ELNS1_11target_archE1200ELNS1_3gpuE4ELNS1_3repE0EEENS1_30default_config_static_selectorELNS0_4arch9wavefront6targetE0EEEvT1_.num_named_barrier, 0
	.set _ZN7rocprim17ROCPRIM_400000_NS6detail17trampoline_kernelINS0_14default_configENS1_25partition_config_selectorILNS1_17partition_subalgoE6EjNS0_10empty_typeEbEEZZNS1_14partition_implILS5_6ELb0ES3_mN6thrust23THRUST_200600_302600_NS6detail15normal_iteratorINSA_10device_ptrIjEEEEPS6_SG_NS0_5tupleIJNSA_16discard_iteratorINSA_11use_defaultEEES6_EEENSH_IJSG_SG_EEES6_PlJNSB_9not_fun_tINSB_14equal_to_valueIjEEEEEEE10hipError_tPvRmT3_T4_T5_T6_T7_T9_mT8_P12ihipStream_tbDpT10_ENKUlT_T0_E_clISt17integral_constantIbLb0EES1A_IbLb1EEEEDaS16_S17_EUlS16_E_NS1_11comp_targetILNS1_3genE10ELNS1_11target_archE1200ELNS1_3gpuE4ELNS1_3repE0EEENS1_30default_config_static_selectorELNS0_4arch9wavefront6targetE0EEEvT1_.private_seg_size, 0
	.set _ZN7rocprim17ROCPRIM_400000_NS6detail17trampoline_kernelINS0_14default_configENS1_25partition_config_selectorILNS1_17partition_subalgoE6EjNS0_10empty_typeEbEEZZNS1_14partition_implILS5_6ELb0ES3_mN6thrust23THRUST_200600_302600_NS6detail15normal_iteratorINSA_10device_ptrIjEEEEPS6_SG_NS0_5tupleIJNSA_16discard_iteratorINSA_11use_defaultEEES6_EEENSH_IJSG_SG_EEES6_PlJNSB_9not_fun_tINSB_14equal_to_valueIjEEEEEEE10hipError_tPvRmT3_T4_T5_T6_T7_T9_mT8_P12ihipStream_tbDpT10_ENKUlT_T0_E_clISt17integral_constantIbLb0EES1A_IbLb1EEEEDaS16_S17_EUlS16_E_NS1_11comp_targetILNS1_3genE10ELNS1_11target_archE1200ELNS1_3gpuE4ELNS1_3repE0EEENS1_30default_config_static_selectorELNS0_4arch9wavefront6targetE0EEEvT1_.uses_vcc, 1
	.set _ZN7rocprim17ROCPRIM_400000_NS6detail17trampoline_kernelINS0_14default_configENS1_25partition_config_selectorILNS1_17partition_subalgoE6EjNS0_10empty_typeEbEEZZNS1_14partition_implILS5_6ELb0ES3_mN6thrust23THRUST_200600_302600_NS6detail15normal_iteratorINSA_10device_ptrIjEEEEPS6_SG_NS0_5tupleIJNSA_16discard_iteratorINSA_11use_defaultEEES6_EEENSH_IJSG_SG_EEES6_PlJNSB_9not_fun_tINSB_14equal_to_valueIjEEEEEEE10hipError_tPvRmT3_T4_T5_T6_T7_T9_mT8_P12ihipStream_tbDpT10_ENKUlT_T0_E_clISt17integral_constantIbLb0EES1A_IbLb1EEEEDaS16_S17_EUlS16_E_NS1_11comp_targetILNS1_3genE10ELNS1_11target_archE1200ELNS1_3gpuE4ELNS1_3repE0EEENS1_30default_config_static_selectorELNS0_4arch9wavefront6targetE0EEEvT1_.uses_flat_scratch, 1
	.set _ZN7rocprim17ROCPRIM_400000_NS6detail17trampoline_kernelINS0_14default_configENS1_25partition_config_selectorILNS1_17partition_subalgoE6EjNS0_10empty_typeEbEEZZNS1_14partition_implILS5_6ELb0ES3_mN6thrust23THRUST_200600_302600_NS6detail15normal_iteratorINSA_10device_ptrIjEEEEPS6_SG_NS0_5tupleIJNSA_16discard_iteratorINSA_11use_defaultEEES6_EEENSH_IJSG_SG_EEES6_PlJNSB_9not_fun_tINSB_14equal_to_valueIjEEEEEEE10hipError_tPvRmT3_T4_T5_T6_T7_T9_mT8_P12ihipStream_tbDpT10_ENKUlT_T0_E_clISt17integral_constantIbLb0EES1A_IbLb1EEEEDaS16_S17_EUlS16_E_NS1_11comp_targetILNS1_3genE10ELNS1_11target_archE1200ELNS1_3gpuE4ELNS1_3repE0EEENS1_30default_config_static_selectorELNS0_4arch9wavefront6targetE0EEEvT1_.has_dyn_sized_stack, 0
	.set _ZN7rocprim17ROCPRIM_400000_NS6detail17trampoline_kernelINS0_14default_configENS1_25partition_config_selectorILNS1_17partition_subalgoE6EjNS0_10empty_typeEbEEZZNS1_14partition_implILS5_6ELb0ES3_mN6thrust23THRUST_200600_302600_NS6detail15normal_iteratorINSA_10device_ptrIjEEEEPS6_SG_NS0_5tupleIJNSA_16discard_iteratorINSA_11use_defaultEEES6_EEENSH_IJSG_SG_EEES6_PlJNSB_9not_fun_tINSB_14equal_to_valueIjEEEEEEE10hipError_tPvRmT3_T4_T5_T6_T7_T9_mT8_P12ihipStream_tbDpT10_ENKUlT_T0_E_clISt17integral_constantIbLb0EES1A_IbLb1EEEEDaS16_S17_EUlS16_E_NS1_11comp_targetILNS1_3genE10ELNS1_11target_archE1200ELNS1_3gpuE4ELNS1_3repE0EEENS1_30default_config_static_selectorELNS0_4arch9wavefront6targetE0EEEvT1_.has_recursion, 0
	.set _ZN7rocprim17ROCPRIM_400000_NS6detail17trampoline_kernelINS0_14default_configENS1_25partition_config_selectorILNS1_17partition_subalgoE6EjNS0_10empty_typeEbEEZZNS1_14partition_implILS5_6ELb0ES3_mN6thrust23THRUST_200600_302600_NS6detail15normal_iteratorINSA_10device_ptrIjEEEEPS6_SG_NS0_5tupleIJNSA_16discard_iteratorINSA_11use_defaultEEES6_EEENSH_IJSG_SG_EEES6_PlJNSB_9not_fun_tINSB_14equal_to_valueIjEEEEEEE10hipError_tPvRmT3_T4_T5_T6_T7_T9_mT8_P12ihipStream_tbDpT10_ENKUlT_T0_E_clISt17integral_constantIbLb0EES1A_IbLb1EEEEDaS16_S17_EUlS16_E_NS1_11comp_targetILNS1_3genE10ELNS1_11target_archE1200ELNS1_3gpuE4ELNS1_3repE0EEENS1_30default_config_static_selectorELNS0_4arch9wavefront6targetE0EEEvT1_.has_indirect_call, 0
	.section	.AMDGPU.csdata,"",@progbits
; Kernel info:
; codeLenInByte = 6692
; TotalNumSgprs: 22
; NumVgprs: 50
; ScratchSize: 0
; MemoryBound: 0
; FloatMode: 240
; IeeeMode: 1
; LDSByteSize: 10768 bytes/workgroup (compile time only)
; SGPRBlocks: 0
; VGPRBlocks: 6
; NumSGPRsForWavesPerEU: 22
; NumVGPRsForWavesPerEU: 50
; Occupancy: 15
; WaveLimiterHint : 1
; COMPUTE_PGM_RSRC2:SCRATCH_EN: 0
; COMPUTE_PGM_RSRC2:USER_SGPR: 2
; COMPUTE_PGM_RSRC2:TRAP_HANDLER: 0
; COMPUTE_PGM_RSRC2:TGID_X_EN: 1
; COMPUTE_PGM_RSRC2:TGID_Y_EN: 0
; COMPUTE_PGM_RSRC2:TGID_Z_EN: 0
; COMPUTE_PGM_RSRC2:TIDIG_COMP_CNT: 0
	.section	.text._ZN7rocprim17ROCPRIM_400000_NS6detail17trampoline_kernelINS0_14default_configENS1_25partition_config_selectorILNS1_17partition_subalgoE6EjNS0_10empty_typeEbEEZZNS1_14partition_implILS5_6ELb0ES3_mN6thrust23THRUST_200600_302600_NS6detail15normal_iteratorINSA_10device_ptrIjEEEEPS6_SG_NS0_5tupleIJNSA_16discard_iteratorINSA_11use_defaultEEES6_EEENSH_IJSG_SG_EEES6_PlJNSB_9not_fun_tINSB_14equal_to_valueIjEEEEEEE10hipError_tPvRmT3_T4_T5_T6_T7_T9_mT8_P12ihipStream_tbDpT10_ENKUlT_T0_E_clISt17integral_constantIbLb0EES1A_IbLb1EEEEDaS16_S17_EUlS16_E_NS1_11comp_targetILNS1_3genE9ELNS1_11target_archE1100ELNS1_3gpuE3ELNS1_3repE0EEENS1_30default_config_static_selectorELNS0_4arch9wavefront6targetE0EEEvT1_,"axG",@progbits,_ZN7rocprim17ROCPRIM_400000_NS6detail17trampoline_kernelINS0_14default_configENS1_25partition_config_selectorILNS1_17partition_subalgoE6EjNS0_10empty_typeEbEEZZNS1_14partition_implILS5_6ELb0ES3_mN6thrust23THRUST_200600_302600_NS6detail15normal_iteratorINSA_10device_ptrIjEEEEPS6_SG_NS0_5tupleIJNSA_16discard_iteratorINSA_11use_defaultEEES6_EEENSH_IJSG_SG_EEES6_PlJNSB_9not_fun_tINSB_14equal_to_valueIjEEEEEEE10hipError_tPvRmT3_T4_T5_T6_T7_T9_mT8_P12ihipStream_tbDpT10_ENKUlT_T0_E_clISt17integral_constantIbLb0EES1A_IbLb1EEEEDaS16_S17_EUlS16_E_NS1_11comp_targetILNS1_3genE9ELNS1_11target_archE1100ELNS1_3gpuE3ELNS1_3repE0EEENS1_30default_config_static_selectorELNS0_4arch9wavefront6targetE0EEEvT1_,comdat
	.protected	_ZN7rocprim17ROCPRIM_400000_NS6detail17trampoline_kernelINS0_14default_configENS1_25partition_config_selectorILNS1_17partition_subalgoE6EjNS0_10empty_typeEbEEZZNS1_14partition_implILS5_6ELb0ES3_mN6thrust23THRUST_200600_302600_NS6detail15normal_iteratorINSA_10device_ptrIjEEEEPS6_SG_NS0_5tupleIJNSA_16discard_iteratorINSA_11use_defaultEEES6_EEENSH_IJSG_SG_EEES6_PlJNSB_9not_fun_tINSB_14equal_to_valueIjEEEEEEE10hipError_tPvRmT3_T4_T5_T6_T7_T9_mT8_P12ihipStream_tbDpT10_ENKUlT_T0_E_clISt17integral_constantIbLb0EES1A_IbLb1EEEEDaS16_S17_EUlS16_E_NS1_11comp_targetILNS1_3genE9ELNS1_11target_archE1100ELNS1_3gpuE3ELNS1_3repE0EEENS1_30default_config_static_selectorELNS0_4arch9wavefront6targetE0EEEvT1_ ; -- Begin function _ZN7rocprim17ROCPRIM_400000_NS6detail17trampoline_kernelINS0_14default_configENS1_25partition_config_selectorILNS1_17partition_subalgoE6EjNS0_10empty_typeEbEEZZNS1_14partition_implILS5_6ELb0ES3_mN6thrust23THRUST_200600_302600_NS6detail15normal_iteratorINSA_10device_ptrIjEEEEPS6_SG_NS0_5tupleIJNSA_16discard_iteratorINSA_11use_defaultEEES6_EEENSH_IJSG_SG_EEES6_PlJNSB_9not_fun_tINSB_14equal_to_valueIjEEEEEEE10hipError_tPvRmT3_T4_T5_T6_T7_T9_mT8_P12ihipStream_tbDpT10_ENKUlT_T0_E_clISt17integral_constantIbLb0EES1A_IbLb1EEEEDaS16_S17_EUlS16_E_NS1_11comp_targetILNS1_3genE9ELNS1_11target_archE1100ELNS1_3gpuE3ELNS1_3repE0EEENS1_30default_config_static_selectorELNS0_4arch9wavefront6targetE0EEEvT1_
	.globl	_ZN7rocprim17ROCPRIM_400000_NS6detail17trampoline_kernelINS0_14default_configENS1_25partition_config_selectorILNS1_17partition_subalgoE6EjNS0_10empty_typeEbEEZZNS1_14partition_implILS5_6ELb0ES3_mN6thrust23THRUST_200600_302600_NS6detail15normal_iteratorINSA_10device_ptrIjEEEEPS6_SG_NS0_5tupleIJNSA_16discard_iteratorINSA_11use_defaultEEES6_EEENSH_IJSG_SG_EEES6_PlJNSB_9not_fun_tINSB_14equal_to_valueIjEEEEEEE10hipError_tPvRmT3_T4_T5_T6_T7_T9_mT8_P12ihipStream_tbDpT10_ENKUlT_T0_E_clISt17integral_constantIbLb0EES1A_IbLb1EEEEDaS16_S17_EUlS16_E_NS1_11comp_targetILNS1_3genE9ELNS1_11target_archE1100ELNS1_3gpuE3ELNS1_3repE0EEENS1_30default_config_static_selectorELNS0_4arch9wavefront6targetE0EEEvT1_
	.p2align	8
	.type	_ZN7rocprim17ROCPRIM_400000_NS6detail17trampoline_kernelINS0_14default_configENS1_25partition_config_selectorILNS1_17partition_subalgoE6EjNS0_10empty_typeEbEEZZNS1_14partition_implILS5_6ELb0ES3_mN6thrust23THRUST_200600_302600_NS6detail15normal_iteratorINSA_10device_ptrIjEEEEPS6_SG_NS0_5tupleIJNSA_16discard_iteratorINSA_11use_defaultEEES6_EEENSH_IJSG_SG_EEES6_PlJNSB_9not_fun_tINSB_14equal_to_valueIjEEEEEEE10hipError_tPvRmT3_T4_T5_T6_T7_T9_mT8_P12ihipStream_tbDpT10_ENKUlT_T0_E_clISt17integral_constantIbLb0EES1A_IbLb1EEEEDaS16_S17_EUlS16_E_NS1_11comp_targetILNS1_3genE9ELNS1_11target_archE1100ELNS1_3gpuE3ELNS1_3repE0EEENS1_30default_config_static_selectorELNS0_4arch9wavefront6targetE0EEEvT1_,@function
_ZN7rocprim17ROCPRIM_400000_NS6detail17trampoline_kernelINS0_14default_configENS1_25partition_config_selectorILNS1_17partition_subalgoE6EjNS0_10empty_typeEbEEZZNS1_14partition_implILS5_6ELb0ES3_mN6thrust23THRUST_200600_302600_NS6detail15normal_iteratorINSA_10device_ptrIjEEEEPS6_SG_NS0_5tupleIJNSA_16discard_iteratorINSA_11use_defaultEEES6_EEENSH_IJSG_SG_EEES6_PlJNSB_9not_fun_tINSB_14equal_to_valueIjEEEEEEE10hipError_tPvRmT3_T4_T5_T6_T7_T9_mT8_P12ihipStream_tbDpT10_ENKUlT_T0_E_clISt17integral_constantIbLb0EES1A_IbLb1EEEEDaS16_S17_EUlS16_E_NS1_11comp_targetILNS1_3genE9ELNS1_11target_archE1100ELNS1_3gpuE3ELNS1_3repE0EEENS1_30default_config_static_selectorELNS0_4arch9wavefront6targetE0EEEvT1_: ; @_ZN7rocprim17ROCPRIM_400000_NS6detail17trampoline_kernelINS0_14default_configENS1_25partition_config_selectorILNS1_17partition_subalgoE6EjNS0_10empty_typeEbEEZZNS1_14partition_implILS5_6ELb0ES3_mN6thrust23THRUST_200600_302600_NS6detail15normal_iteratorINSA_10device_ptrIjEEEEPS6_SG_NS0_5tupleIJNSA_16discard_iteratorINSA_11use_defaultEEES6_EEENSH_IJSG_SG_EEES6_PlJNSB_9not_fun_tINSB_14equal_to_valueIjEEEEEEE10hipError_tPvRmT3_T4_T5_T6_T7_T9_mT8_P12ihipStream_tbDpT10_ENKUlT_T0_E_clISt17integral_constantIbLb0EES1A_IbLb1EEEEDaS16_S17_EUlS16_E_NS1_11comp_targetILNS1_3genE9ELNS1_11target_archE1100ELNS1_3gpuE3ELNS1_3repE0EEENS1_30default_config_static_selectorELNS0_4arch9wavefront6targetE0EEEvT1_
; %bb.0:
	.section	.rodata,"a",@progbits
	.p2align	6, 0x0
	.amdhsa_kernel _ZN7rocprim17ROCPRIM_400000_NS6detail17trampoline_kernelINS0_14default_configENS1_25partition_config_selectorILNS1_17partition_subalgoE6EjNS0_10empty_typeEbEEZZNS1_14partition_implILS5_6ELb0ES3_mN6thrust23THRUST_200600_302600_NS6detail15normal_iteratorINSA_10device_ptrIjEEEEPS6_SG_NS0_5tupleIJNSA_16discard_iteratorINSA_11use_defaultEEES6_EEENSH_IJSG_SG_EEES6_PlJNSB_9not_fun_tINSB_14equal_to_valueIjEEEEEEE10hipError_tPvRmT3_T4_T5_T6_T7_T9_mT8_P12ihipStream_tbDpT10_ENKUlT_T0_E_clISt17integral_constantIbLb0EES1A_IbLb1EEEEDaS16_S17_EUlS16_E_NS1_11comp_targetILNS1_3genE9ELNS1_11target_archE1100ELNS1_3gpuE3ELNS1_3repE0EEENS1_30default_config_static_selectorELNS0_4arch9wavefront6targetE0EEEvT1_
		.amdhsa_group_segment_fixed_size 0
		.amdhsa_private_segment_fixed_size 0
		.amdhsa_kernarg_size 136
		.amdhsa_user_sgpr_count 2
		.amdhsa_user_sgpr_dispatch_ptr 0
		.amdhsa_user_sgpr_queue_ptr 0
		.amdhsa_user_sgpr_kernarg_segment_ptr 1
		.amdhsa_user_sgpr_dispatch_id 0
		.amdhsa_user_sgpr_private_segment_size 0
		.amdhsa_wavefront_size32 1
		.amdhsa_uses_dynamic_stack 0
		.amdhsa_enable_private_segment 0
		.amdhsa_system_sgpr_workgroup_id_x 1
		.amdhsa_system_sgpr_workgroup_id_y 0
		.amdhsa_system_sgpr_workgroup_id_z 0
		.amdhsa_system_sgpr_workgroup_info 0
		.amdhsa_system_vgpr_workitem_id 0
		.amdhsa_next_free_vgpr 1
		.amdhsa_next_free_sgpr 1
		.amdhsa_reserve_vcc 0
		.amdhsa_float_round_mode_32 0
		.amdhsa_float_round_mode_16_64 0
		.amdhsa_float_denorm_mode_32 3
		.amdhsa_float_denorm_mode_16_64 3
		.amdhsa_fp16_overflow 0
		.amdhsa_workgroup_processor_mode 1
		.amdhsa_memory_ordered 1
		.amdhsa_forward_progress 1
		.amdhsa_inst_pref_size 0
		.amdhsa_round_robin_scheduling 0
		.amdhsa_exception_fp_ieee_invalid_op 0
		.amdhsa_exception_fp_denorm_src 0
		.amdhsa_exception_fp_ieee_div_zero 0
		.amdhsa_exception_fp_ieee_overflow 0
		.amdhsa_exception_fp_ieee_underflow 0
		.amdhsa_exception_fp_ieee_inexact 0
		.amdhsa_exception_int_div_zero 0
	.end_amdhsa_kernel
	.section	.text._ZN7rocprim17ROCPRIM_400000_NS6detail17trampoline_kernelINS0_14default_configENS1_25partition_config_selectorILNS1_17partition_subalgoE6EjNS0_10empty_typeEbEEZZNS1_14partition_implILS5_6ELb0ES3_mN6thrust23THRUST_200600_302600_NS6detail15normal_iteratorINSA_10device_ptrIjEEEEPS6_SG_NS0_5tupleIJNSA_16discard_iteratorINSA_11use_defaultEEES6_EEENSH_IJSG_SG_EEES6_PlJNSB_9not_fun_tINSB_14equal_to_valueIjEEEEEEE10hipError_tPvRmT3_T4_T5_T6_T7_T9_mT8_P12ihipStream_tbDpT10_ENKUlT_T0_E_clISt17integral_constantIbLb0EES1A_IbLb1EEEEDaS16_S17_EUlS16_E_NS1_11comp_targetILNS1_3genE9ELNS1_11target_archE1100ELNS1_3gpuE3ELNS1_3repE0EEENS1_30default_config_static_selectorELNS0_4arch9wavefront6targetE0EEEvT1_,"axG",@progbits,_ZN7rocprim17ROCPRIM_400000_NS6detail17trampoline_kernelINS0_14default_configENS1_25partition_config_selectorILNS1_17partition_subalgoE6EjNS0_10empty_typeEbEEZZNS1_14partition_implILS5_6ELb0ES3_mN6thrust23THRUST_200600_302600_NS6detail15normal_iteratorINSA_10device_ptrIjEEEEPS6_SG_NS0_5tupleIJNSA_16discard_iteratorINSA_11use_defaultEEES6_EEENSH_IJSG_SG_EEES6_PlJNSB_9not_fun_tINSB_14equal_to_valueIjEEEEEEE10hipError_tPvRmT3_T4_T5_T6_T7_T9_mT8_P12ihipStream_tbDpT10_ENKUlT_T0_E_clISt17integral_constantIbLb0EES1A_IbLb1EEEEDaS16_S17_EUlS16_E_NS1_11comp_targetILNS1_3genE9ELNS1_11target_archE1100ELNS1_3gpuE3ELNS1_3repE0EEENS1_30default_config_static_selectorELNS0_4arch9wavefront6targetE0EEEvT1_,comdat
.Lfunc_end1691:
	.size	_ZN7rocprim17ROCPRIM_400000_NS6detail17trampoline_kernelINS0_14default_configENS1_25partition_config_selectorILNS1_17partition_subalgoE6EjNS0_10empty_typeEbEEZZNS1_14partition_implILS5_6ELb0ES3_mN6thrust23THRUST_200600_302600_NS6detail15normal_iteratorINSA_10device_ptrIjEEEEPS6_SG_NS0_5tupleIJNSA_16discard_iteratorINSA_11use_defaultEEES6_EEENSH_IJSG_SG_EEES6_PlJNSB_9not_fun_tINSB_14equal_to_valueIjEEEEEEE10hipError_tPvRmT3_T4_T5_T6_T7_T9_mT8_P12ihipStream_tbDpT10_ENKUlT_T0_E_clISt17integral_constantIbLb0EES1A_IbLb1EEEEDaS16_S17_EUlS16_E_NS1_11comp_targetILNS1_3genE9ELNS1_11target_archE1100ELNS1_3gpuE3ELNS1_3repE0EEENS1_30default_config_static_selectorELNS0_4arch9wavefront6targetE0EEEvT1_, .Lfunc_end1691-_ZN7rocprim17ROCPRIM_400000_NS6detail17trampoline_kernelINS0_14default_configENS1_25partition_config_selectorILNS1_17partition_subalgoE6EjNS0_10empty_typeEbEEZZNS1_14partition_implILS5_6ELb0ES3_mN6thrust23THRUST_200600_302600_NS6detail15normal_iteratorINSA_10device_ptrIjEEEEPS6_SG_NS0_5tupleIJNSA_16discard_iteratorINSA_11use_defaultEEES6_EEENSH_IJSG_SG_EEES6_PlJNSB_9not_fun_tINSB_14equal_to_valueIjEEEEEEE10hipError_tPvRmT3_T4_T5_T6_T7_T9_mT8_P12ihipStream_tbDpT10_ENKUlT_T0_E_clISt17integral_constantIbLb0EES1A_IbLb1EEEEDaS16_S17_EUlS16_E_NS1_11comp_targetILNS1_3genE9ELNS1_11target_archE1100ELNS1_3gpuE3ELNS1_3repE0EEENS1_30default_config_static_selectorELNS0_4arch9wavefront6targetE0EEEvT1_
                                        ; -- End function
	.set _ZN7rocprim17ROCPRIM_400000_NS6detail17trampoline_kernelINS0_14default_configENS1_25partition_config_selectorILNS1_17partition_subalgoE6EjNS0_10empty_typeEbEEZZNS1_14partition_implILS5_6ELb0ES3_mN6thrust23THRUST_200600_302600_NS6detail15normal_iteratorINSA_10device_ptrIjEEEEPS6_SG_NS0_5tupleIJNSA_16discard_iteratorINSA_11use_defaultEEES6_EEENSH_IJSG_SG_EEES6_PlJNSB_9not_fun_tINSB_14equal_to_valueIjEEEEEEE10hipError_tPvRmT3_T4_T5_T6_T7_T9_mT8_P12ihipStream_tbDpT10_ENKUlT_T0_E_clISt17integral_constantIbLb0EES1A_IbLb1EEEEDaS16_S17_EUlS16_E_NS1_11comp_targetILNS1_3genE9ELNS1_11target_archE1100ELNS1_3gpuE3ELNS1_3repE0EEENS1_30default_config_static_selectorELNS0_4arch9wavefront6targetE0EEEvT1_.num_vgpr, 0
	.set _ZN7rocprim17ROCPRIM_400000_NS6detail17trampoline_kernelINS0_14default_configENS1_25partition_config_selectorILNS1_17partition_subalgoE6EjNS0_10empty_typeEbEEZZNS1_14partition_implILS5_6ELb0ES3_mN6thrust23THRUST_200600_302600_NS6detail15normal_iteratorINSA_10device_ptrIjEEEEPS6_SG_NS0_5tupleIJNSA_16discard_iteratorINSA_11use_defaultEEES6_EEENSH_IJSG_SG_EEES6_PlJNSB_9not_fun_tINSB_14equal_to_valueIjEEEEEEE10hipError_tPvRmT3_T4_T5_T6_T7_T9_mT8_P12ihipStream_tbDpT10_ENKUlT_T0_E_clISt17integral_constantIbLb0EES1A_IbLb1EEEEDaS16_S17_EUlS16_E_NS1_11comp_targetILNS1_3genE9ELNS1_11target_archE1100ELNS1_3gpuE3ELNS1_3repE0EEENS1_30default_config_static_selectorELNS0_4arch9wavefront6targetE0EEEvT1_.num_agpr, 0
	.set _ZN7rocprim17ROCPRIM_400000_NS6detail17trampoline_kernelINS0_14default_configENS1_25partition_config_selectorILNS1_17partition_subalgoE6EjNS0_10empty_typeEbEEZZNS1_14partition_implILS5_6ELb0ES3_mN6thrust23THRUST_200600_302600_NS6detail15normal_iteratorINSA_10device_ptrIjEEEEPS6_SG_NS0_5tupleIJNSA_16discard_iteratorINSA_11use_defaultEEES6_EEENSH_IJSG_SG_EEES6_PlJNSB_9not_fun_tINSB_14equal_to_valueIjEEEEEEE10hipError_tPvRmT3_T4_T5_T6_T7_T9_mT8_P12ihipStream_tbDpT10_ENKUlT_T0_E_clISt17integral_constantIbLb0EES1A_IbLb1EEEEDaS16_S17_EUlS16_E_NS1_11comp_targetILNS1_3genE9ELNS1_11target_archE1100ELNS1_3gpuE3ELNS1_3repE0EEENS1_30default_config_static_selectorELNS0_4arch9wavefront6targetE0EEEvT1_.numbered_sgpr, 0
	.set _ZN7rocprim17ROCPRIM_400000_NS6detail17trampoline_kernelINS0_14default_configENS1_25partition_config_selectorILNS1_17partition_subalgoE6EjNS0_10empty_typeEbEEZZNS1_14partition_implILS5_6ELb0ES3_mN6thrust23THRUST_200600_302600_NS6detail15normal_iteratorINSA_10device_ptrIjEEEEPS6_SG_NS0_5tupleIJNSA_16discard_iteratorINSA_11use_defaultEEES6_EEENSH_IJSG_SG_EEES6_PlJNSB_9not_fun_tINSB_14equal_to_valueIjEEEEEEE10hipError_tPvRmT3_T4_T5_T6_T7_T9_mT8_P12ihipStream_tbDpT10_ENKUlT_T0_E_clISt17integral_constantIbLb0EES1A_IbLb1EEEEDaS16_S17_EUlS16_E_NS1_11comp_targetILNS1_3genE9ELNS1_11target_archE1100ELNS1_3gpuE3ELNS1_3repE0EEENS1_30default_config_static_selectorELNS0_4arch9wavefront6targetE0EEEvT1_.num_named_barrier, 0
	.set _ZN7rocprim17ROCPRIM_400000_NS6detail17trampoline_kernelINS0_14default_configENS1_25partition_config_selectorILNS1_17partition_subalgoE6EjNS0_10empty_typeEbEEZZNS1_14partition_implILS5_6ELb0ES3_mN6thrust23THRUST_200600_302600_NS6detail15normal_iteratorINSA_10device_ptrIjEEEEPS6_SG_NS0_5tupleIJNSA_16discard_iteratorINSA_11use_defaultEEES6_EEENSH_IJSG_SG_EEES6_PlJNSB_9not_fun_tINSB_14equal_to_valueIjEEEEEEE10hipError_tPvRmT3_T4_T5_T6_T7_T9_mT8_P12ihipStream_tbDpT10_ENKUlT_T0_E_clISt17integral_constantIbLb0EES1A_IbLb1EEEEDaS16_S17_EUlS16_E_NS1_11comp_targetILNS1_3genE9ELNS1_11target_archE1100ELNS1_3gpuE3ELNS1_3repE0EEENS1_30default_config_static_selectorELNS0_4arch9wavefront6targetE0EEEvT1_.private_seg_size, 0
	.set _ZN7rocprim17ROCPRIM_400000_NS6detail17trampoline_kernelINS0_14default_configENS1_25partition_config_selectorILNS1_17partition_subalgoE6EjNS0_10empty_typeEbEEZZNS1_14partition_implILS5_6ELb0ES3_mN6thrust23THRUST_200600_302600_NS6detail15normal_iteratorINSA_10device_ptrIjEEEEPS6_SG_NS0_5tupleIJNSA_16discard_iteratorINSA_11use_defaultEEES6_EEENSH_IJSG_SG_EEES6_PlJNSB_9not_fun_tINSB_14equal_to_valueIjEEEEEEE10hipError_tPvRmT3_T4_T5_T6_T7_T9_mT8_P12ihipStream_tbDpT10_ENKUlT_T0_E_clISt17integral_constantIbLb0EES1A_IbLb1EEEEDaS16_S17_EUlS16_E_NS1_11comp_targetILNS1_3genE9ELNS1_11target_archE1100ELNS1_3gpuE3ELNS1_3repE0EEENS1_30default_config_static_selectorELNS0_4arch9wavefront6targetE0EEEvT1_.uses_vcc, 0
	.set _ZN7rocprim17ROCPRIM_400000_NS6detail17trampoline_kernelINS0_14default_configENS1_25partition_config_selectorILNS1_17partition_subalgoE6EjNS0_10empty_typeEbEEZZNS1_14partition_implILS5_6ELb0ES3_mN6thrust23THRUST_200600_302600_NS6detail15normal_iteratorINSA_10device_ptrIjEEEEPS6_SG_NS0_5tupleIJNSA_16discard_iteratorINSA_11use_defaultEEES6_EEENSH_IJSG_SG_EEES6_PlJNSB_9not_fun_tINSB_14equal_to_valueIjEEEEEEE10hipError_tPvRmT3_T4_T5_T6_T7_T9_mT8_P12ihipStream_tbDpT10_ENKUlT_T0_E_clISt17integral_constantIbLb0EES1A_IbLb1EEEEDaS16_S17_EUlS16_E_NS1_11comp_targetILNS1_3genE9ELNS1_11target_archE1100ELNS1_3gpuE3ELNS1_3repE0EEENS1_30default_config_static_selectorELNS0_4arch9wavefront6targetE0EEEvT1_.uses_flat_scratch, 0
	.set _ZN7rocprim17ROCPRIM_400000_NS6detail17trampoline_kernelINS0_14default_configENS1_25partition_config_selectorILNS1_17partition_subalgoE6EjNS0_10empty_typeEbEEZZNS1_14partition_implILS5_6ELb0ES3_mN6thrust23THRUST_200600_302600_NS6detail15normal_iteratorINSA_10device_ptrIjEEEEPS6_SG_NS0_5tupleIJNSA_16discard_iteratorINSA_11use_defaultEEES6_EEENSH_IJSG_SG_EEES6_PlJNSB_9not_fun_tINSB_14equal_to_valueIjEEEEEEE10hipError_tPvRmT3_T4_T5_T6_T7_T9_mT8_P12ihipStream_tbDpT10_ENKUlT_T0_E_clISt17integral_constantIbLb0EES1A_IbLb1EEEEDaS16_S17_EUlS16_E_NS1_11comp_targetILNS1_3genE9ELNS1_11target_archE1100ELNS1_3gpuE3ELNS1_3repE0EEENS1_30default_config_static_selectorELNS0_4arch9wavefront6targetE0EEEvT1_.has_dyn_sized_stack, 0
	.set _ZN7rocprim17ROCPRIM_400000_NS6detail17trampoline_kernelINS0_14default_configENS1_25partition_config_selectorILNS1_17partition_subalgoE6EjNS0_10empty_typeEbEEZZNS1_14partition_implILS5_6ELb0ES3_mN6thrust23THRUST_200600_302600_NS6detail15normal_iteratorINSA_10device_ptrIjEEEEPS6_SG_NS0_5tupleIJNSA_16discard_iteratorINSA_11use_defaultEEES6_EEENSH_IJSG_SG_EEES6_PlJNSB_9not_fun_tINSB_14equal_to_valueIjEEEEEEE10hipError_tPvRmT3_T4_T5_T6_T7_T9_mT8_P12ihipStream_tbDpT10_ENKUlT_T0_E_clISt17integral_constantIbLb0EES1A_IbLb1EEEEDaS16_S17_EUlS16_E_NS1_11comp_targetILNS1_3genE9ELNS1_11target_archE1100ELNS1_3gpuE3ELNS1_3repE0EEENS1_30default_config_static_selectorELNS0_4arch9wavefront6targetE0EEEvT1_.has_recursion, 0
	.set _ZN7rocprim17ROCPRIM_400000_NS6detail17trampoline_kernelINS0_14default_configENS1_25partition_config_selectorILNS1_17partition_subalgoE6EjNS0_10empty_typeEbEEZZNS1_14partition_implILS5_6ELb0ES3_mN6thrust23THRUST_200600_302600_NS6detail15normal_iteratorINSA_10device_ptrIjEEEEPS6_SG_NS0_5tupleIJNSA_16discard_iteratorINSA_11use_defaultEEES6_EEENSH_IJSG_SG_EEES6_PlJNSB_9not_fun_tINSB_14equal_to_valueIjEEEEEEE10hipError_tPvRmT3_T4_T5_T6_T7_T9_mT8_P12ihipStream_tbDpT10_ENKUlT_T0_E_clISt17integral_constantIbLb0EES1A_IbLb1EEEEDaS16_S17_EUlS16_E_NS1_11comp_targetILNS1_3genE9ELNS1_11target_archE1100ELNS1_3gpuE3ELNS1_3repE0EEENS1_30default_config_static_selectorELNS0_4arch9wavefront6targetE0EEEvT1_.has_indirect_call, 0
	.section	.AMDGPU.csdata,"",@progbits
; Kernel info:
; codeLenInByte = 0
; TotalNumSgprs: 0
; NumVgprs: 0
; ScratchSize: 0
; MemoryBound: 0
; FloatMode: 240
; IeeeMode: 1
; LDSByteSize: 0 bytes/workgroup (compile time only)
; SGPRBlocks: 0
; VGPRBlocks: 0
; NumSGPRsForWavesPerEU: 1
; NumVGPRsForWavesPerEU: 1
; Occupancy: 16
; WaveLimiterHint : 0
; COMPUTE_PGM_RSRC2:SCRATCH_EN: 0
; COMPUTE_PGM_RSRC2:USER_SGPR: 2
; COMPUTE_PGM_RSRC2:TRAP_HANDLER: 0
; COMPUTE_PGM_RSRC2:TGID_X_EN: 1
; COMPUTE_PGM_RSRC2:TGID_Y_EN: 0
; COMPUTE_PGM_RSRC2:TGID_Z_EN: 0
; COMPUTE_PGM_RSRC2:TIDIG_COMP_CNT: 0
	.section	.text._ZN7rocprim17ROCPRIM_400000_NS6detail17trampoline_kernelINS0_14default_configENS1_25partition_config_selectorILNS1_17partition_subalgoE6EjNS0_10empty_typeEbEEZZNS1_14partition_implILS5_6ELb0ES3_mN6thrust23THRUST_200600_302600_NS6detail15normal_iteratorINSA_10device_ptrIjEEEEPS6_SG_NS0_5tupleIJNSA_16discard_iteratorINSA_11use_defaultEEES6_EEENSH_IJSG_SG_EEES6_PlJNSB_9not_fun_tINSB_14equal_to_valueIjEEEEEEE10hipError_tPvRmT3_T4_T5_T6_T7_T9_mT8_P12ihipStream_tbDpT10_ENKUlT_T0_E_clISt17integral_constantIbLb0EES1A_IbLb1EEEEDaS16_S17_EUlS16_E_NS1_11comp_targetILNS1_3genE8ELNS1_11target_archE1030ELNS1_3gpuE2ELNS1_3repE0EEENS1_30default_config_static_selectorELNS0_4arch9wavefront6targetE0EEEvT1_,"axG",@progbits,_ZN7rocprim17ROCPRIM_400000_NS6detail17trampoline_kernelINS0_14default_configENS1_25partition_config_selectorILNS1_17partition_subalgoE6EjNS0_10empty_typeEbEEZZNS1_14partition_implILS5_6ELb0ES3_mN6thrust23THRUST_200600_302600_NS6detail15normal_iteratorINSA_10device_ptrIjEEEEPS6_SG_NS0_5tupleIJNSA_16discard_iteratorINSA_11use_defaultEEES6_EEENSH_IJSG_SG_EEES6_PlJNSB_9not_fun_tINSB_14equal_to_valueIjEEEEEEE10hipError_tPvRmT3_T4_T5_T6_T7_T9_mT8_P12ihipStream_tbDpT10_ENKUlT_T0_E_clISt17integral_constantIbLb0EES1A_IbLb1EEEEDaS16_S17_EUlS16_E_NS1_11comp_targetILNS1_3genE8ELNS1_11target_archE1030ELNS1_3gpuE2ELNS1_3repE0EEENS1_30default_config_static_selectorELNS0_4arch9wavefront6targetE0EEEvT1_,comdat
	.protected	_ZN7rocprim17ROCPRIM_400000_NS6detail17trampoline_kernelINS0_14default_configENS1_25partition_config_selectorILNS1_17partition_subalgoE6EjNS0_10empty_typeEbEEZZNS1_14partition_implILS5_6ELb0ES3_mN6thrust23THRUST_200600_302600_NS6detail15normal_iteratorINSA_10device_ptrIjEEEEPS6_SG_NS0_5tupleIJNSA_16discard_iteratorINSA_11use_defaultEEES6_EEENSH_IJSG_SG_EEES6_PlJNSB_9not_fun_tINSB_14equal_to_valueIjEEEEEEE10hipError_tPvRmT3_T4_T5_T6_T7_T9_mT8_P12ihipStream_tbDpT10_ENKUlT_T0_E_clISt17integral_constantIbLb0EES1A_IbLb1EEEEDaS16_S17_EUlS16_E_NS1_11comp_targetILNS1_3genE8ELNS1_11target_archE1030ELNS1_3gpuE2ELNS1_3repE0EEENS1_30default_config_static_selectorELNS0_4arch9wavefront6targetE0EEEvT1_ ; -- Begin function _ZN7rocprim17ROCPRIM_400000_NS6detail17trampoline_kernelINS0_14default_configENS1_25partition_config_selectorILNS1_17partition_subalgoE6EjNS0_10empty_typeEbEEZZNS1_14partition_implILS5_6ELb0ES3_mN6thrust23THRUST_200600_302600_NS6detail15normal_iteratorINSA_10device_ptrIjEEEEPS6_SG_NS0_5tupleIJNSA_16discard_iteratorINSA_11use_defaultEEES6_EEENSH_IJSG_SG_EEES6_PlJNSB_9not_fun_tINSB_14equal_to_valueIjEEEEEEE10hipError_tPvRmT3_T4_T5_T6_T7_T9_mT8_P12ihipStream_tbDpT10_ENKUlT_T0_E_clISt17integral_constantIbLb0EES1A_IbLb1EEEEDaS16_S17_EUlS16_E_NS1_11comp_targetILNS1_3genE8ELNS1_11target_archE1030ELNS1_3gpuE2ELNS1_3repE0EEENS1_30default_config_static_selectorELNS0_4arch9wavefront6targetE0EEEvT1_
	.globl	_ZN7rocprim17ROCPRIM_400000_NS6detail17trampoline_kernelINS0_14default_configENS1_25partition_config_selectorILNS1_17partition_subalgoE6EjNS0_10empty_typeEbEEZZNS1_14partition_implILS5_6ELb0ES3_mN6thrust23THRUST_200600_302600_NS6detail15normal_iteratorINSA_10device_ptrIjEEEEPS6_SG_NS0_5tupleIJNSA_16discard_iteratorINSA_11use_defaultEEES6_EEENSH_IJSG_SG_EEES6_PlJNSB_9not_fun_tINSB_14equal_to_valueIjEEEEEEE10hipError_tPvRmT3_T4_T5_T6_T7_T9_mT8_P12ihipStream_tbDpT10_ENKUlT_T0_E_clISt17integral_constantIbLb0EES1A_IbLb1EEEEDaS16_S17_EUlS16_E_NS1_11comp_targetILNS1_3genE8ELNS1_11target_archE1030ELNS1_3gpuE2ELNS1_3repE0EEENS1_30default_config_static_selectorELNS0_4arch9wavefront6targetE0EEEvT1_
	.p2align	8
	.type	_ZN7rocprim17ROCPRIM_400000_NS6detail17trampoline_kernelINS0_14default_configENS1_25partition_config_selectorILNS1_17partition_subalgoE6EjNS0_10empty_typeEbEEZZNS1_14partition_implILS5_6ELb0ES3_mN6thrust23THRUST_200600_302600_NS6detail15normal_iteratorINSA_10device_ptrIjEEEEPS6_SG_NS0_5tupleIJNSA_16discard_iteratorINSA_11use_defaultEEES6_EEENSH_IJSG_SG_EEES6_PlJNSB_9not_fun_tINSB_14equal_to_valueIjEEEEEEE10hipError_tPvRmT3_T4_T5_T6_T7_T9_mT8_P12ihipStream_tbDpT10_ENKUlT_T0_E_clISt17integral_constantIbLb0EES1A_IbLb1EEEEDaS16_S17_EUlS16_E_NS1_11comp_targetILNS1_3genE8ELNS1_11target_archE1030ELNS1_3gpuE2ELNS1_3repE0EEENS1_30default_config_static_selectorELNS0_4arch9wavefront6targetE0EEEvT1_,@function
_ZN7rocprim17ROCPRIM_400000_NS6detail17trampoline_kernelINS0_14default_configENS1_25partition_config_selectorILNS1_17partition_subalgoE6EjNS0_10empty_typeEbEEZZNS1_14partition_implILS5_6ELb0ES3_mN6thrust23THRUST_200600_302600_NS6detail15normal_iteratorINSA_10device_ptrIjEEEEPS6_SG_NS0_5tupleIJNSA_16discard_iteratorINSA_11use_defaultEEES6_EEENSH_IJSG_SG_EEES6_PlJNSB_9not_fun_tINSB_14equal_to_valueIjEEEEEEE10hipError_tPvRmT3_T4_T5_T6_T7_T9_mT8_P12ihipStream_tbDpT10_ENKUlT_T0_E_clISt17integral_constantIbLb0EES1A_IbLb1EEEEDaS16_S17_EUlS16_E_NS1_11comp_targetILNS1_3genE8ELNS1_11target_archE1030ELNS1_3gpuE2ELNS1_3repE0EEENS1_30default_config_static_selectorELNS0_4arch9wavefront6targetE0EEEvT1_: ; @_ZN7rocprim17ROCPRIM_400000_NS6detail17trampoline_kernelINS0_14default_configENS1_25partition_config_selectorILNS1_17partition_subalgoE6EjNS0_10empty_typeEbEEZZNS1_14partition_implILS5_6ELb0ES3_mN6thrust23THRUST_200600_302600_NS6detail15normal_iteratorINSA_10device_ptrIjEEEEPS6_SG_NS0_5tupleIJNSA_16discard_iteratorINSA_11use_defaultEEES6_EEENSH_IJSG_SG_EEES6_PlJNSB_9not_fun_tINSB_14equal_to_valueIjEEEEEEE10hipError_tPvRmT3_T4_T5_T6_T7_T9_mT8_P12ihipStream_tbDpT10_ENKUlT_T0_E_clISt17integral_constantIbLb0EES1A_IbLb1EEEEDaS16_S17_EUlS16_E_NS1_11comp_targetILNS1_3genE8ELNS1_11target_archE1030ELNS1_3gpuE2ELNS1_3repE0EEENS1_30default_config_static_selectorELNS0_4arch9wavefront6targetE0EEEvT1_
; %bb.0:
	.section	.rodata,"a",@progbits
	.p2align	6, 0x0
	.amdhsa_kernel _ZN7rocprim17ROCPRIM_400000_NS6detail17trampoline_kernelINS0_14default_configENS1_25partition_config_selectorILNS1_17partition_subalgoE6EjNS0_10empty_typeEbEEZZNS1_14partition_implILS5_6ELb0ES3_mN6thrust23THRUST_200600_302600_NS6detail15normal_iteratorINSA_10device_ptrIjEEEEPS6_SG_NS0_5tupleIJNSA_16discard_iteratorINSA_11use_defaultEEES6_EEENSH_IJSG_SG_EEES6_PlJNSB_9not_fun_tINSB_14equal_to_valueIjEEEEEEE10hipError_tPvRmT3_T4_T5_T6_T7_T9_mT8_P12ihipStream_tbDpT10_ENKUlT_T0_E_clISt17integral_constantIbLb0EES1A_IbLb1EEEEDaS16_S17_EUlS16_E_NS1_11comp_targetILNS1_3genE8ELNS1_11target_archE1030ELNS1_3gpuE2ELNS1_3repE0EEENS1_30default_config_static_selectorELNS0_4arch9wavefront6targetE0EEEvT1_
		.amdhsa_group_segment_fixed_size 0
		.amdhsa_private_segment_fixed_size 0
		.amdhsa_kernarg_size 136
		.amdhsa_user_sgpr_count 2
		.amdhsa_user_sgpr_dispatch_ptr 0
		.amdhsa_user_sgpr_queue_ptr 0
		.amdhsa_user_sgpr_kernarg_segment_ptr 1
		.amdhsa_user_sgpr_dispatch_id 0
		.amdhsa_user_sgpr_private_segment_size 0
		.amdhsa_wavefront_size32 1
		.amdhsa_uses_dynamic_stack 0
		.amdhsa_enable_private_segment 0
		.amdhsa_system_sgpr_workgroup_id_x 1
		.amdhsa_system_sgpr_workgroup_id_y 0
		.amdhsa_system_sgpr_workgroup_id_z 0
		.amdhsa_system_sgpr_workgroup_info 0
		.amdhsa_system_vgpr_workitem_id 0
		.amdhsa_next_free_vgpr 1
		.amdhsa_next_free_sgpr 1
		.amdhsa_reserve_vcc 0
		.amdhsa_float_round_mode_32 0
		.amdhsa_float_round_mode_16_64 0
		.amdhsa_float_denorm_mode_32 3
		.amdhsa_float_denorm_mode_16_64 3
		.amdhsa_fp16_overflow 0
		.amdhsa_workgroup_processor_mode 1
		.amdhsa_memory_ordered 1
		.amdhsa_forward_progress 1
		.amdhsa_inst_pref_size 0
		.amdhsa_round_robin_scheduling 0
		.amdhsa_exception_fp_ieee_invalid_op 0
		.amdhsa_exception_fp_denorm_src 0
		.amdhsa_exception_fp_ieee_div_zero 0
		.amdhsa_exception_fp_ieee_overflow 0
		.amdhsa_exception_fp_ieee_underflow 0
		.amdhsa_exception_fp_ieee_inexact 0
		.amdhsa_exception_int_div_zero 0
	.end_amdhsa_kernel
	.section	.text._ZN7rocprim17ROCPRIM_400000_NS6detail17trampoline_kernelINS0_14default_configENS1_25partition_config_selectorILNS1_17partition_subalgoE6EjNS0_10empty_typeEbEEZZNS1_14partition_implILS5_6ELb0ES3_mN6thrust23THRUST_200600_302600_NS6detail15normal_iteratorINSA_10device_ptrIjEEEEPS6_SG_NS0_5tupleIJNSA_16discard_iteratorINSA_11use_defaultEEES6_EEENSH_IJSG_SG_EEES6_PlJNSB_9not_fun_tINSB_14equal_to_valueIjEEEEEEE10hipError_tPvRmT3_T4_T5_T6_T7_T9_mT8_P12ihipStream_tbDpT10_ENKUlT_T0_E_clISt17integral_constantIbLb0EES1A_IbLb1EEEEDaS16_S17_EUlS16_E_NS1_11comp_targetILNS1_3genE8ELNS1_11target_archE1030ELNS1_3gpuE2ELNS1_3repE0EEENS1_30default_config_static_selectorELNS0_4arch9wavefront6targetE0EEEvT1_,"axG",@progbits,_ZN7rocprim17ROCPRIM_400000_NS6detail17trampoline_kernelINS0_14default_configENS1_25partition_config_selectorILNS1_17partition_subalgoE6EjNS0_10empty_typeEbEEZZNS1_14partition_implILS5_6ELb0ES3_mN6thrust23THRUST_200600_302600_NS6detail15normal_iteratorINSA_10device_ptrIjEEEEPS6_SG_NS0_5tupleIJNSA_16discard_iteratorINSA_11use_defaultEEES6_EEENSH_IJSG_SG_EEES6_PlJNSB_9not_fun_tINSB_14equal_to_valueIjEEEEEEE10hipError_tPvRmT3_T4_T5_T6_T7_T9_mT8_P12ihipStream_tbDpT10_ENKUlT_T0_E_clISt17integral_constantIbLb0EES1A_IbLb1EEEEDaS16_S17_EUlS16_E_NS1_11comp_targetILNS1_3genE8ELNS1_11target_archE1030ELNS1_3gpuE2ELNS1_3repE0EEENS1_30default_config_static_selectorELNS0_4arch9wavefront6targetE0EEEvT1_,comdat
.Lfunc_end1692:
	.size	_ZN7rocprim17ROCPRIM_400000_NS6detail17trampoline_kernelINS0_14default_configENS1_25partition_config_selectorILNS1_17partition_subalgoE6EjNS0_10empty_typeEbEEZZNS1_14partition_implILS5_6ELb0ES3_mN6thrust23THRUST_200600_302600_NS6detail15normal_iteratorINSA_10device_ptrIjEEEEPS6_SG_NS0_5tupleIJNSA_16discard_iteratorINSA_11use_defaultEEES6_EEENSH_IJSG_SG_EEES6_PlJNSB_9not_fun_tINSB_14equal_to_valueIjEEEEEEE10hipError_tPvRmT3_T4_T5_T6_T7_T9_mT8_P12ihipStream_tbDpT10_ENKUlT_T0_E_clISt17integral_constantIbLb0EES1A_IbLb1EEEEDaS16_S17_EUlS16_E_NS1_11comp_targetILNS1_3genE8ELNS1_11target_archE1030ELNS1_3gpuE2ELNS1_3repE0EEENS1_30default_config_static_selectorELNS0_4arch9wavefront6targetE0EEEvT1_, .Lfunc_end1692-_ZN7rocprim17ROCPRIM_400000_NS6detail17trampoline_kernelINS0_14default_configENS1_25partition_config_selectorILNS1_17partition_subalgoE6EjNS0_10empty_typeEbEEZZNS1_14partition_implILS5_6ELb0ES3_mN6thrust23THRUST_200600_302600_NS6detail15normal_iteratorINSA_10device_ptrIjEEEEPS6_SG_NS0_5tupleIJNSA_16discard_iteratorINSA_11use_defaultEEES6_EEENSH_IJSG_SG_EEES6_PlJNSB_9not_fun_tINSB_14equal_to_valueIjEEEEEEE10hipError_tPvRmT3_T4_T5_T6_T7_T9_mT8_P12ihipStream_tbDpT10_ENKUlT_T0_E_clISt17integral_constantIbLb0EES1A_IbLb1EEEEDaS16_S17_EUlS16_E_NS1_11comp_targetILNS1_3genE8ELNS1_11target_archE1030ELNS1_3gpuE2ELNS1_3repE0EEENS1_30default_config_static_selectorELNS0_4arch9wavefront6targetE0EEEvT1_
                                        ; -- End function
	.set _ZN7rocprim17ROCPRIM_400000_NS6detail17trampoline_kernelINS0_14default_configENS1_25partition_config_selectorILNS1_17partition_subalgoE6EjNS0_10empty_typeEbEEZZNS1_14partition_implILS5_6ELb0ES3_mN6thrust23THRUST_200600_302600_NS6detail15normal_iteratorINSA_10device_ptrIjEEEEPS6_SG_NS0_5tupleIJNSA_16discard_iteratorINSA_11use_defaultEEES6_EEENSH_IJSG_SG_EEES6_PlJNSB_9not_fun_tINSB_14equal_to_valueIjEEEEEEE10hipError_tPvRmT3_T4_T5_T6_T7_T9_mT8_P12ihipStream_tbDpT10_ENKUlT_T0_E_clISt17integral_constantIbLb0EES1A_IbLb1EEEEDaS16_S17_EUlS16_E_NS1_11comp_targetILNS1_3genE8ELNS1_11target_archE1030ELNS1_3gpuE2ELNS1_3repE0EEENS1_30default_config_static_selectorELNS0_4arch9wavefront6targetE0EEEvT1_.num_vgpr, 0
	.set _ZN7rocprim17ROCPRIM_400000_NS6detail17trampoline_kernelINS0_14default_configENS1_25partition_config_selectorILNS1_17partition_subalgoE6EjNS0_10empty_typeEbEEZZNS1_14partition_implILS5_6ELb0ES3_mN6thrust23THRUST_200600_302600_NS6detail15normal_iteratorINSA_10device_ptrIjEEEEPS6_SG_NS0_5tupleIJNSA_16discard_iteratorINSA_11use_defaultEEES6_EEENSH_IJSG_SG_EEES6_PlJNSB_9not_fun_tINSB_14equal_to_valueIjEEEEEEE10hipError_tPvRmT3_T4_T5_T6_T7_T9_mT8_P12ihipStream_tbDpT10_ENKUlT_T0_E_clISt17integral_constantIbLb0EES1A_IbLb1EEEEDaS16_S17_EUlS16_E_NS1_11comp_targetILNS1_3genE8ELNS1_11target_archE1030ELNS1_3gpuE2ELNS1_3repE0EEENS1_30default_config_static_selectorELNS0_4arch9wavefront6targetE0EEEvT1_.num_agpr, 0
	.set _ZN7rocprim17ROCPRIM_400000_NS6detail17trampoline_kernelINS0_14default_configENS1_25partition_config_selectorILNS1_17partition_subalgoE6EjNS0_10empty_typeEbEEZZNS1_14partition_implILS5_6ELb0ES3_mN6thrust23THRUST_200600_302600_NS6detail15normal_iteratorINSA_10device_ptrIjEEEEPS6_SG_NS0_5tupleIJNSA_16discard_iteratorINSA_11use_defaultEEES6_EEENSH_IJSG_SG_EEES6_PlJNSB_9not_fun_tINSB_14equal_to_valueIjEEEEEEE10hipError_tPvRmT3_T4_T5_T6_T7_T9_mT8_P12ihipStream_tbDpT10_ENKUlT_T0_E_clISt17integral_constantIbLb0EES1A_IbLb1EEEEDaS16_S17_EUlS16_E_NS1_11comp_targetILNS1_3genE8ELNS1_11target_archE1030ELNS1_3gpuE2ELNS1_3repE0EEENS1_30default_config_static_selectorELNS0_4arch9wavefront6targetE0EEEvT1_.numbered_sgpr, 0
	.set _ZN7rocprim17ROCPRIM_400000_NS6detail17trampoline_kernelINS0_14default_configENS1_25partition_config_selectorILNS1_17partition_subalgoE6EjNS0_10empty_typeEbEEZZNS1_14partition_implILS5_6ELb0ES3_mN6thrust23THRUST_200600_302600_NS6detail15normal_iteratorINSA_10device_ptrIjEEEEPS6_SG_NS0_5tupleIJNSA_16discard_iteratorINSA_11use_defaultEEES6_EEENSH_IJSG_SG_EEES6_PlJNSB_9not_fun_tINSB_14equal_to_valueIjEEEEEEE10hipError_tPvRmT3_T4_T5_T6_T7_T9_mT8_P12ihipStream_tbDpT10_ENKUlT_T0_E_clISt17integral_constantIbLb0EES1A_IbLb1EEEEDaS16_S17_EUlS16_E_NS1_11comp_targetILNS1_3genE8ELNS1_11target_archE1030ELNS1_3gpuE2ELNS1_3repE0EEENS1_30default_config_static_selectorELNS0_4arch9wavefront6targetE0EEEvT1_.num_named_barrier, 0
	.set _ZN7rocprim17ROCPRIM_400000_NS6detail17trampoline_kernelINS0_14default_configENS1_25partition_config_selectorILNS1_17partition_subalgoE6EjNS0_10empty_typeEbEEZZNS1_14partition_implILS5_6ELb0ES3_mN6thrust23THRUST_200600_302600_NS6detail15normal_iteratorINSA_10device_ptrIjEEEEPS6_SG_NS0_5tupleIJNSA_16discard_iteratorINSA_11use_defaultEEES6_EEENSH_IJSG_SG_EEES6_PlJNSB_9not_fun_tINSB_14equal_to_valueIjEEEEEEE10hipError_tPvRmT3_T4_T5_T6_T7_T9_mT8_P12ihipStream_tbDpT10_ENKUlT_T0_E_clISt17integral_constantIbLb0EES1A_IbLb1EEEEDaS16_S17_EUlS16_E_NS1_11comp_targetILNS1_3genE8ELNS1_11target_archE1030ELNS1_3gpuE2ELNS1_3repE0EEENS1_30default_config_static_selectorELNS0_4arch9wavefront6targetE0EEEvT1_.private_seg_size, 0
	.set _ZN7rocprim17ROCPRIM_400000_NS6detail17trampoline_kernelINS0_14default_configENS1_25partition_config_selectorILNS1_17partition_subalgoE6EjNS0_10empty_typeEbEEZZNS1_14partition_implILS5_6ELb0ES3_mN6thrust23THRUST_200600_302600_NS6detail15normal_iteratorINSA_10device_ptrIjEEEEPS6_SG_NS0_5tupleIJNSA_16discard_iteratorINSA_11use_defaultEEES6_EEENSH_IJSG_SG_EEES6_PlJNSB_9not_fun_tINSB_14equal_to_valueIjEEEEEEE10hipError_tPvRmT3_T4_T5_T6_T7_T9_mT8_P12ihipStream_tbDpT10_ENKUlT_T0_E_clISt17integral_constantIbLb0EES1A_IbLb1EEEEDaS16_S17_EUlS16_E_NS1_11comp_targetILNS1_3genE8ELNS1_11target_archE1030ELNS1_3gpuE2ELNS1_3repE0EEENS1_30default_config_static_selectorELNS0_4arch9wavefront6targetE0EEEvT1_.uses_vcc, 0
	.set _ZN7rocprim17ROCPRIM_400000_NS6detail17trampoline_kernelINS0_14default_configENS1_25partition_config_selectorILNS1_17partition_subalgoE6EjNS0_10empty_typeEbEEZZNS1_14partition_implILS5_6ELb0ES3_mN6thrust23THRUST_200600_302600_NS6detail15normal_iteratorINSA_10device_ptrIjEEEEPS6_SG_NS0_5tupleIJNSA_16discard_iteratorINSA_11use_defaultEEES6_EEENSH_IJSG_SG_EEES6_PlJNSB_9not_fun_tINSB_14equal_to_valueIjEEEEEEE10hipError_tPvRmT3_T4_T5_T6_T7_T9_mT8_P12ihipStream_tbDpT10_ENKUlT_T0_E_clISt17integral_constantIbLb0EES1A_IbLb1EEEEDaS16_S17_EUlS16_E_NS1_11comp_targetILNS1_3genE8ELNS1_11target_archE1030ELNS1_3gpuE2ELNS1_3repE0EEENS1_30default_config_static_selectorELNS0_4arch9wavefront6targetE0EEEvT1_.uses_flat_scratch, 0
	.set _ZN7rocprim17ROCPRIM_400000_NS6detail17trampoline_kernelINS0_14default_configENS1_25partition_config_selectorILNS1_17partition_subalgoE6EjNS0_10empty_typeEbEEZZNS1_14partition_implILS5_6ELb0ES3_mN6thrust23THRUST_200600_302600_NS6detail15normal_iteratorINSA_10device_ptrIjEEEEPS6_SG_NS0_5tupleIJNSA_16discard_iteratorINSA_11use_defaultEEES6_EEENSH_IJSG_SG_EEES6_PlJNSB_9not_fun_tINSB_14equal_to_valueIjEEEEEEE10hipError_tPvRmT3_T4_T5_T6_T7_T9_mT8_P12ihipStream_tbDpT10_ENKUlT_T0_E_clISt17integral_constantIbLb0EES1A_IbLb1EEEEDaS16_S17_EUlS16_E_NS1_11comp_targetILNS1_3genE8ELNS1_11target_archE1030ELNS1_3gpuE2ELNS1_3repE0EEENS1_30default_config_static_selectorELNS0_4arch9wavefront6targetE0EEEvT1_.has_dyn_sized_stack, 0
	.set _ZN7rocprim17ROCPRIM_400000_NS6detail17trampoline_kernelINS0_14default_configENS1_25partition_config_selectorILNS1_17partition_subalgoE6EjNS0_10empty_typeEbEEZZNS1_14partition_implILS5_6ELb0ES3_mN6thrust23THRUST_200600_302600_NS6detail15normal_iteratorINSA_10device_ptrIjEEEEPS6_SG_NS0_5tupleIJNSA_16discard_iteratorINSA_11use_defaultEEES6_EEENSH_IJSG_SG_EEES6_PlJNSB_9not_fun_tINSB_14equal_to_valueIjEEEEEEE10hipError_tPvRmT3_T4_T5_T6_T7_T9_mT8_P12ihipStream_tbDpT10_ENKUlT_T0_E_clISt17integral_constantIbLb0EES1A_IbLb1EEEEDaS16_S17_EUlS16_E_NS1_11comp_targetILNS1_3genE8ELNS1_11target_archE1030ELNS1_3gpuE2ELNS1_3repE0EEENS1_30default_config_static_selectorELNS0_4arch9wavefront6targetE0EEEvT1_.has_recursion, 0
	.set _ZN7rocprim17ROCPRIM_400000_NS6detail17trampoline_kernelINS0_14default_configENS1_25partition_config_selectorILNS1_17partition_subalgoE6EjNS0_10empty_typeEbEEZZNS1_14partition_implILS5_6ELb0ES3_mN6thrust23THRUST_200600_302600_NS6detail15normal_iteratorINSA_10device_ptrIjEEEEPS6_SG_NS0_5tupleIJNSA_16discard_iteratorINSA_11use_defaultEEES6_EEENSH_IJSG_SG_EEES6_PlJNSB_9not_fun_tINSB_14equal_to_valueIjEEEEEEE10hipError_tPvRmT3_T4_T5_T6_T7_T9_mT8_P12ihipStream_tbDpT10_ENKUlT_T0_E_clISt17integral_constantIbLb0EES1A_IbLb1EEEEDaS16_S17_EUlS16_E_NS1_11comp_targetILNS1_3genE8ELNS1_11target_archE1030ELNS1_3gpuE2ELNS1_3repE0EEENS1_30default_config_static_selectorELNS0_4arch9wavefront6targetE0EEEvT1_.has_indirect_call, 0
	.section	.AMDGPU.csdata,"",@progbits
; Kernel info:
; codeLenInByte = 0
; TotalNumSgprs: 0
; NumVgprs: 0
; ScratchSize: 0
; MemoryBound: 0
; FloatMode: 240
; IeeeMode: 1
; LDSByteSize: 0 bytes/workgroup (compile time only)
; SGPRBlocks: 0
; VGPRBlocks: 0
; NumSGPRsForWavesPerEU: 1
; NumVGPRsForWavesPerEU: 1
; Occupancy: 16
; WaveLimiterHint : 0
; COMPUTE_PGM_RSRC2:SCRATCH_EN: 0
; COMPUTE_PGM_RSRC2:USER_SGPR: 2
; COMPUTE_PGM_RSRC2:TRAP_HANDLER: 0
; COMPUTE_PGM_RSRC2:TGID_X_EN: 1
; COMPUTE_PGM_RSRC2:TGID_Y_EN: 0
; COMPUTE_PGM_RSRC2:TGID_Z_EN: 0
; COMPUTE_PGM_RSRC2:TIDIG_COMP_CNT: 0
	.section	.text._ZN7rocprim17ROCPRIM_400000_NS6detail17trampoline_kernelINS0_14default_configENS1_25partition_config_selectorILNS1_17partition_subalgoE6EtNS0_10empty_typeEbEEZZNS1_14partition_implILS5_6ELb0ES3_mN6thrust23THRUST_200600_302600_NS6detail15normal_iteratorINSA_10device_ptrItEEEEPS6_SG_NS0_5tupleIJNSA_16discard_iteratorINSA_11use_defaultEEES6_EEENSH_IJSG_SG_EEES6_PlJNSB_9not_fun_tINSB_14equal_to_valueItEEEEEEE10hipError_tPvRmT3_T4_T5_T6_T7_T9_mT8_P12ihipStream_tbDpT10_ENKUlT_T0_E_clISt17integral_constantIbLb0EES1B_EEDaS16_S17_EUlS16_E_NS1_11comp_targetILNS1_3genE0ELNS1_11target_archE4294967295ELNS1_3gpuE0ELNS1_3repE0EEENS1_30default_config_static_selectorELNS0_4arch9wavefront6targetE0EEEvT1_,"axG",@progbits,_ZN7rocprim17ROCPRIM_400000_NS6detail17trampoline_kernelINS0_14default_configENS1_25partition_config_selectorILNS1_17partition_subalgoE6EtNS0_10empty_typeEbEEZZNS1_14partition_implILS5_6ELb0ES3_mN6thrust23THRUST_200600_302600_NS6detail15normal_iteratorINSA_10device_ptrItEEEEPS6_SG_NS0_5tupleIJNSA_16discard_iteratorINSA_11use_defaultEEES6_EEENSH_IJSG_SG_EEES6_PlJNSB_9not_fun_tINSB_14equal_to_valueItEEEEEEE10hipError_tPvRmT3_T4_T5_T6_T7_T9_mT8_P12ihipStream_tbDpT10_ENKUlT_T0_E_clISt17integral_constantIbLb0EES1B_EEDaS16_S17_EUlS16_E_NS1_11comp_targetILNS1_3genE0ELNS1_11target_archE4294967295ELNS1_3gpuE0ELNS1_3repE0EEENS1_30default_config_static_selectorELNS0_4arch9wavefront6targetE0EEEvT1_,comdat
	.protected	_ZN7rocprim17ROCPRIM_400000_NS6detail17trampoline_kernelINS0_14default_configENS1_25partition_config_selectorILNS1_17partition_subalgoE6EtNS0_10empty_typeEbEEZZNS1_14partition_implILS5_6ELb0ES3_mN6thrust23THRUST_200600_302600_NS6detail15normal_iteratorINSA_10device_ptrItEEEEPS6_SG_NS0_5tupleIJNSA_16discard_iteratorINSA_11use_defaultEEES6_EEENSH_IJSG_SG_EEES6_PlJNSB_9not_fun_tINSB_14equal_to_valueItEEEEEEE10hipError_tPvRmT3_T4_T5_T6_T7_T9_mT8_P12ihipStream_tbDpT10_ENKUlT_T0_E_clISt17integral_constantIbLb0EES1B_EEDaS16_S17_EUlS16_E_NS1_11comp_targetILNS1_3genE0ELNS1_11target_archE4294967295ELNS1_3gpuE0ELNS1_3repE0EEENS1_30default_config_static_selectorELNS0_4arch9wavefront6targetE0EEEvT1_ ; -- Begin function _ZN7rocprim17ROCPRIM_400000_NS6detail17trampoline_kernelINS0_14default_configENS1_25partition_config_selectorILNS1_17partition_subalgoE6EtNS0_10empty_typeEbEEZZNS1_14partition_implILS5_6ELb0ES3_mN6thrust23THRUST_200600_302600_NS6detail15normal_iteratorINSA_10device_ptrItEEEEPS6_SG_NS0_5tupleIJNSA_16discard_iteratorINSA_11use_defaultEEES6_EEENSH_IJSG_SG_EEES6_PlJNSB_9not_fun_tINSB_14equal_to_valueItEEEEEEE10hipError_tPvRmT3_T4_T5_T6_T7_T9_mT8_P12ihipStream_tbDpT10_ENKUlT_T0_E_clISt17integral_constantIbLb0EES1B_EEDaS16_S17_EUlS16_E_NS1_11comp_targetILNS1_3genE0ELNS1_11target_archE4294967295ELNS1_3gpuE0ELNS1_3repE0EEENS1_30default_config_static_selectorELNS0_4arch9wavefront6targetE0EEEvT1_
	.globl	_ZN7rocprim17ROCPRIM_400000_NS6detail17trampoline_kernelINS0_14default_configENS1_25partition_config_selectorILNS1_17partition_subalgoE6EtNS0_10empty_typeEbEEZZNS1_14partition_implILS5_6ELb0ES3_mN6thrust23THRUST_200600_302600_NS6detail15normal_iteratorINSA_10device_ptrItEEEEPS6_SG_NS0_5tupleIJNSA_16discard_iteratorINSA_11use_defaultEEES6_EEENSH_IJSG_SG_EEES6_PlJNSB_9not_fun_tINSB_14equal_to_valueItEEEEEEE10hipError_tPvRmT3_T4_T5_T6_T7_T9_mT8_P12ihipStream_tbDpT10_ENKUlT_T0_E_clISt17integral_constantIbLb0EES1B_EEDaS16_S17_EUlS16_E_NS1_11comp_targetILNS1_3genE0ELNS1_11target_archE4294967295ELNS1_3gpuE0ELNS1_3repE0EEENS1_30default_config_static_selectorELNS0_4arch9wavefront6targetE0EEEvT1_
	.p2align	8
	.type	_ZN7rocprim17ROCPRIM_400000_NS6detail17trampoline_kernelINS0_14default_configENS1_25partition_config_selectorILNS1_17partition_subalgoE6EtNS0_10empty_typeEbEEZZNS1_14partition_implILS5_6ELb0ES3_mN6thrust23THRUST_200600_302600_NS6detail15normal_iteratorINSA_10device_ptrItEEEEPS6_SG_NS0_5tupleIJNSA_16discard_iteratorINSA_11use_defaultEEES6_EEENSH_IJSG_SG_EEES6_PlJNSB_9not_fun_tINSB_14equal_to_valueItEEEEEEE10hipError_tPvRmT3_T4_T5_T6_T7_T9_mT8_P12ihipStream_tbDpT10_ENKUlT_T0_E_clISt17integral_constantIbLb0EES1B_EEDaS16_S17_EUlS16_E_NS1_11comp_targetILNS1_3genE0ELNS1_11target_archE4294967295ELNS1_3gpuE0ELNS1_3repE0EEENS1_30default_config_static_selectorELNS0_4arch9wavefront6targetE0EEEvT1_,@function
_ZN7rocprim17ROCPRIM_400000_NS6detail17trampoline_kernelINS0_14default_configENS1_25partition_config_selectorILNS1_17partition_subalgoE6EtNS0_10empty_typeEbEEZZNS1_14partition_implILS5_6ELb0ES3_mN6thrust23THRUST_200600_302600_NS6detail15normal_iteratorINSA_10device_ptrItEEEEPS6_SG_NS0_5tupleIJNSA_16discard_iteratorINSA_11use_defaultEEES6_EEENSH_IJSG_SG_EEES6_PlJNSB_9not_fun_tINSB_14equal_to_valueItEEEEEEE10hipError_tPvRmT3_T4_T5_T6_T7_T9_mT8_P12ihipStream_tbDpT10_ENKUlT_T0_E_clISt17integral_constantIbLb0EES1B_EEDaS16_S17_EUlS16_E_NS1_11comp_targetILNS1_3genE0ELNS1_11target_archE4294967295ELNS1_3gpuE0ELNS1_3repE0EEENS1_30default_config_static_selectorELNS0_4arch9wavefront6targetE0EEEvT1_: ; @_ZN7rocprim17ROCPRIM_400000_NS6detail17trampoline_kernelINS0_14default_configENS1_25partition_config_selectorILNS1_17partition_subalgoE6EtNS0_10empty_typeEbEEZZNS1_14partition_implILS5_6ELb0ES3_mN6thrust23THRUST_200600_302600_NS6detail15normal_iteratorINSA_10device_ptrItEEEEPS6_SG_NS0_5tupleIJNSA_16discard_iteratorINSA_11use_defaultEEES6_EEENSH_IJSG_SG_EEES6_PlJNSB_9not_fun_tINSB_14equal_to_valueItEEEEEEE10hipError_tPvRmT3_T4_T5_T6_T7_T9_mT8_P12ihipStream_tbDpT10_ENKUlT_T0_E_clISt17integral_constantIbLb0EES1B_EEDaS16_S17_EUlS16_E_NS1_11comp_targetILNS1_3genE0ELNS1_11target_archE4294967295ELNS1_3gpuE0ELNS1_3repE0EEENS1_30default_config_static_selectorELNS0_4arch9wavefront6targetE0EEEvT1_
; %bb.0:
	.section	.rodata,"a",@progbits
	.p2align	6, 0x0
	.amdhsa_kernel _ZN7rocprim17ROCPRIM_400000_NS6detail17trampoline_kernelINS0_14default_configENS1_25partition_config_selectorILNS1_17partition_subalgoE6EtNS0_10empty_typeEbEEZZNS1_14partition_implILS5_6ELb0ES3_mN6thrust23THRUST_200600_302600_NS6detail15normal_iteratorINSA_10device_ptrItEEEEPS6_SG_NS0_5tupleIJNSA_16discard_iteratorINSA_11use_defaultEEES6_EEENSH_IJSG_SG_EEES6_PlJNSB_9not_fun_tINSB_14equal_to_valueItEEEEEEE10hipError_tPvRmT3_T4_T5_T6_T7_T9_mT8_P12ihipStream_tbDpT10_ENKUlT_T0_E_clISt17integral_constantIbLb0EES1B_EEDaS16_S17_EUlS16_E_NS1_11comp_targetILNS1_3genE0ELNS1_11target_archE4294967295ELNS1_3gpuE0ELNS1_3repE0EEENS1_30default_config_static_selectorELNS0_4arch9wavefront6targetE0EEEvT1_
		.amdhsa_group_segment_fixed_size 0
		.amdhsa_private_segment_fixed_size 0
		.amdhsa_kernarg_size 120
		.amdhsa_user_sgpr_count 2
		.amdhsa_user_sgpr_dispatch_ptr 0
		.amdhsa_user_sgpr_queue_ptr 0
		.amdhsa_user_sgpr_kernarg_segment_ptr 1
		.amdhsa_user_sgpr_dispatch_id 0
		.amdhsa_user_sgpr_private_segment_size 0
		.amdhsa_wavefront_size32 1
		.amdhsa_uses_dynamic_stack 0
		.amdhsa_enable_private_segment 0
		.amdhsa_system_sgpr_workgroup_id_x 1
		.amdhsa_system_sgpr_workgroup_id_y 0
		.amdhsa_system_sgpr_workgroup_id_z 0
		.amdhsa_system_sgpr_workgroup_info 0
		.amdhsa_system_vgpr_workitem_id 0
		.amdhsa_next_free_vgpr 1
		.amdhsa_next_free_sgpr 1
		.amdhsa_reserve_vcc 0
		.amdhsa_float_round_mode_32 0
		.amdhsa_float_round_mode_16_64 0
		.amdhsa_float_denorm_mode_32 3
		.amdhsa_float_denorm_mode_16_64 3
		.amdhsa_fp16_overflow 0
		.amdhsa_workgroup_processor_mode 1
		.amdhsa_memory_ordered 1
		.amdhsa_forward_progress 1
		.amdhsa_inst_pref_size 0
		.amdhsa_round_robin_scheduling 0
		.amdhsa_exception_fp_ieee_invalid_op 0
		.amdhsa_exception_fp_denorm_src 0
		.amdhsa_exception_fp_ieee_div_zero 0
		.amdhsa_exception_fp_ieee_overflow 0
		.amdhsa_exception_fp_ieee_underflow 0
		.amdhsa_exception_fp_ieee_inexact 0
		.amdhsa_exception_int_div_zero 0
	.end_amdhsa_kernel
	.section	.text._ZN7rocprim17ROCPRIM_400000_NS6detail17trampoline_kernelINS0_14default_configENS1_25partition_config_selectorILNS1_17partition_subalgoE6EtNS0_10empty_typeEbEEZZNS1_14partition_implILS5_6ELb0ES3_mN6thrust23THRUST_200600_302600_NS6detail15normal_iteratorINSA_10device_ptrItEEEEPS6_SG_NS0_5tupleIJNSA_16discard_iteratorINSA_11use_defaultEEES6_EEENSH_IJSG_SG_EEES6_PlJNSB_9not_fun_tINSB_14equal_to_valueItEEEEEEE10hipError_tPvRmT3_T4_T5_T6_T7_T9_mT8_P12ihipStream_tbDpT10_ENKUlT_T0_E_clISt17integral_constantIbLb0EES1B_EEDaS16_S17_EUlS16_E_NS1_11comp_targetILNS1_3genE0ELNS1_11target_archE4294967295ELNS1_3gpuE0ELNS1_3repE0EEENS1_30default_config_static_selectorELNS0_4arch9wavefront6targetE0EEEvT1_,"axG",@progbits,_ZN7rocprim17ROCPRIM_400000_NS6detail17trampoline_kernelINS0_14default_configENS1_25partition_config_selectorILNS1_17partition_subalgoE6EtNS0_10empty_typeEbEEZZNS1_14partition_implILS5_6ELb0ES3_mN6thrust23THRUST_200600_302600_NS6detail15normal_iteratorINSA_10device_ptrItEEEEPS6_SG_NS0_5tupleIJNSA_16discard_iteratorINSA_11use_defaultEEES6_EEENSH_IJSG_SG_EEES6_PlJNSB_9not_fun_tINSB_14equal_to_valueItEEEEEEE10hipError_tPvRmT3_T4_T5_T6_T7_T9_mT8_P12ihipStream_tbDpT10_ENKUlT_T0_E_clISt17integral_constantIbLb0EES1B_EEDaS16_S17_EUlS16_E_NS1_11comp_targetILNS1_3genE0ELNS1_11target_archE4294967295ELNS1_3gpuE0ELNS1_3repE0EEENS1_30default_config_static_selectorELNS0_4arch9wavefront6targetE0EEEvT1_,comdat
.Lfunc_end1693:
	.size	_ZN7rocprim17ROCPRIM_400000_NS6detail17trampoline_kernelINS0_14default_configENS1_25partition_config_selectorILNS1_17partition_subalgoE6EtNS0_10empty_typeEbEEZZNS1_14partition_implILS5_6ELb0ES3_mN6thrust23THRUST_200600_302600_NS6detail15normal_iteratorINSA_10device_ptrItEEEEPS6_SG_NS0_5tupleIJNSA_16discard_iteratorINSA_11use_defaultEEES6_EEENSH_IJSG_SG_EEES6_PlJNSB_9not_fun_tINSB_14equal_to_valueItEEEEEEE10hipError_tPvRmT3_T4_T5_T6_T7_T9_mT8_P12ihipStream_tbDpT10_ENKUlT_T0_E_clISt17integral_constantIbLb0EES1B_EEDaS16_S17_EUlS16_E_NS1_11comp_targetILNS1_3genE0ELNS1_11target_archE4294967295ELNS1_3gpuE0ELNS1_3repE0EEENS1_30default_config_static_selectorELNS0_4arch9wavefront6targetE0EEEvT1_, .Lfunc_end1693-_ZN7rocprim17ROCPRIM_400000_NS6detail17trampoline_kernelINS0_14default_configENS1_25partition_config_selectorILNS1_17partition_subalgoE6EtNS0_10empty_typeEbEEZZNS1_14partition_implILS5_6ELb0ES3_mN6thrust23THRUST_200600_302600_NS6detail15normal_iteratorINSA_10device_ptrItEEEEPS6_SG_NS0_5tupleIJNSA_16discard_iteratorINSA_11use_defaultEEES6_EEENSH_IJSG_SG_EEES6_PlJNSB_9not_fun_tINSB_14equal_to_valueItEEEEEEE10hipError_tPvRmT3_T4_T5_T6_T7_T9_mT8_P12ihipStream_tbDpT10_ENKUlT_T0_E_clISt17integral_constantIbLb0EES1B_EEDaS16_S17_EUlS16_E_NS1_11comp_targetILNS1_3genE0ELNS1_11target_archE4294967295ELNS1_3gpuE0ELNS1_3repE0EEENS1_30default_config_static_selectorELNS0_4arch9wavefront6targetE0EEEvT1_
                                        ; -- End function
	.set _ZN7rocprim17ROCPRIM_400000_NS6detail17trampoline_kernelINS0_14default_configENS1_25partition_config_selectorILNS1_17partition_subalgoE6EtNS0_10empty_typeEbEEZZNS1_14partition_implILS5_6ELb0ES3_mN6thrust23THRUST_200600_302600_NS6detail15normal_iteratorINSA_10device_ptrItEEEEPS6_SG_NS0_5tupleIJNSA_16discard_iteratorINSA_11use_defaultEEES6_EEENSH_IJSG_SG_EEES6_PlJNSB_9not_fun_tINSB_14equal_to_valueItEEEEEEE10hipError_tPvRmT3_T4_T5_T6_T7_T9_mT8_P12ihipStream_tbDpT10_ENKUlT_T0_E_clISt17integral_constantIbLb0EES1B_EEDaS16_S17_EUlS16_E_NS1_11comp_targetILNS1_3genE0ELNS1_11target_archE4294967295ELNS1_3gpuE0ELNS1_3repE0EEENS1_30default_config_static_selectorELNS0_4arch9wavefront6targetE0EEEvT1_.num_vgpr, 0
	.set _ZN7rocprim17ROCPRIM_400000_NS6detail17trampoline_kernelINS0_14default_configENS1_25partition_config_selectorILNS1_17partition_subalgoE6EtNS0_10empty_typeEbEEZZNS1_14partition_implILS5_6ELb0ES3_mN6thrust23THRUST_200600_302600_NS6detail15normal_iteratorINSA_10device_ptrItEEEEPS6_SG_NS0_5tupleIJNSA_16discard_iteratorINSA_11use_defaultEEES6_EEENSH_IJSG_SG_EEES6_PlJNSB_9not_fun_tINSB_14equal_to_valueItEEEEEEE10hipError_tPvRmT3_T4_T5_T6_T7_T9_mT8_P12ihipStream_tbDpT10_ENKUlT_T0_E_clISt17integral_constantIbLb0EES1B_EEDaS16_S17_EUlS16_E_NS1_11comp_targetILNS1_3genE0ELNS1_11target_archE4294967295ELNS1_3gpuE0ELNS1_3repE0EEENS1_30default_config_static_selectorELNS0_4arch9wavefront6targetE0EEEvT1_.num_agpr, 0
	.set _ZN7rocprim17ROCPRIM_400000_NS6detail17trampoline_kernelINS0_14default_configENS1_25partition_config_selectorILNS1_17partition_subalgoE6EtNS0_10empty_typeEbEEZZNS1_14partition_implILS5_6ELb0ES3_mN6thrust23THRUST_200600_302600_NS6detail15normal_iteratorINSA_10device_ptrItEEEEPS6_SG_NS0_5tupleIJNSA_16discard_iteratorINSA_11use_defaultEEES6_EEENSH_IJSG_SG_EEES6_PlJNSB_9not_fun_tINSB_14equal_to_valueItEEEEEEE10hipError_tPvRmT3_T4_T5_T6_T7_T9_mT8_P12ihipStream_tbDpT10_ENKUlT_T0_E_clISt17integral_constantIbLb0EES1B_EEDaS16_S17_EUlS16_E_NS1_11comp_targetILNS1_3genE0ELNS1_11target_archE4294967295ELNS1_3gpuE0ELNS1_3repE0EEENS1_30default_config_static_selectorELNS0_4arch9wavefront6targetE0EEEvT1_.numbered_sgpr, 0
	.set _ZN7rocprim17ROCPRIM_400000_NS6detail17trampoline_kernelINS0_14default_configENS1_25partition_config_selectorILNS1_17partition_subalgoE6EtNS0_10empty_typeEbEEZZNS1_14partition_implILS5_6ELb0ES3_mN6thrust23THRUST_200600_302600_NS6detail15normal_iteratorINSA_10device_ptrItEEEEPS6_SG_NS0_5tupleIJNSA_16discard_iteratorINSA_11use_defaultEEES6_EEENSH_IJSG_SG_EEES6_PlJNSB_9not_fun_tINSB_14equal_to_valueItEEEEEEE10hipError_tPvRmT3_T4_T5_T6_T7_T9_mT8_P12ihipStream_tbDpT10_ENKUlT_T0_E_clISt17integral_constantIbLb0EES1B_EEDaS16_S17_EUlS16_E_NS1_11comp_targetILNS1_3genE0ELNS1_11target_archE4294967295ELNS1_3gpuE0ELNS1_3repE0EEENS1_30default_config_static_selectorELNS0_4arch9wavefront6targetE0EEEvT1_.num_named_barrier, 0
	.set _ZN7rocprim17ROCPRIM_400000_NS6detail17trampoline_kernelINS0_14default_configENS1_25partition_config_selectorILNS1_17partition_subalgoE6EtNS0_10empty_typeEbEEZZNS1_14partition_implILS5_6ELb0ES3_mN6thrust23THRUST_200600_302600_NS6detail15normal_iteratorINSA_10device_ptrItEEEEPS6_SG_NS0_5tupleIJNSA_16discard_iteratorINSA_11use_defaultEEES6_EEENSH_IJSG_SG_EEES6_PlJNSB_9not_fun_tINSB_14equal_to_valueItEEEEEEE10hipError_tPvRmT3_T4_T5_T6_T7_T9_mT8_P12ihipStream_tbDpT10_ENKUlT_T0_E_clISt17integral_constantIbLb0EES1B_EEDaS16_S17_EUlS16_E_NS1_11comp_targetILNS1_3genE0ELNS1_11target_archE4294967295ELNS1_3gpuE0ELNS1_3repE0EEENS1_30default_config_static_selectorELNS0_4arch9wavefront6targetE0EEEvT1_.private_seg_size, 0
	.set _ZN7rocprim17ROCPRIM_400000_NS6detail17trampoline_kernelINS0_14default_configENS1_25partition_config_selectorILNS1_17partition_subalgoE6EtNS0_10empty_typeEbEEZZNS1_14partition_implILS5_6ELb0ES3_mN6thrust23THRUST_200600_302600_NS6detail15normal_iteratorINSA_10device_ptrItEEEEPS6_SG_NS0_5tupleIJNSA_16discard_iteratorINSA_11use_defaultEEES6_EEENSH_IJSG_SG_EEES6_PlJNSB_9not_fun_tINSB_14equal_to_valueItEEEEEEE10hipError_tPvRmT3_T4_T5_T6_T7_T9_mT8_P12ihipStream_tbDpT10_ENKUlT_T0_E_clISt17integral_constantIbLb0EES1B_EEDaS16_S17_EUlS16_E_NS1_11comp_targetILNS1_3genE0ELNS1_11target_archE4294967295ELNS1_3gpuE0ELNS1_3repE0EEENS1_30default_config_static_selectorELNS0_4arch9wavefront6targetE0EEEvT1_.uses_vcc, 0
	.set _ZN7rocprim17ROCPRIM_400000_NS6detail17trampoline_kernelINS0_14default_configENS1_25partition_config_selectorILNS1_17partition_subalgoE6EtNS0_10empty_typeEbEEZZNS1_14partition_implILS5_6ELb0ES3_mN6thrust23THRUST_200600_302600_NS6detail15normal_iteratorINSA_10device_ptrItEEEEPS6_SG_NS0_5tupleIJNSA_16discard_iteratorINSA_11use_defaultEEES6_EEENSH_IJSG_SG_EEES6_PlJNSB_9not_fun_tINSB_14equal_to_valueItEEEEEEE10hipError_tPvRmT3_T4_T5_T6_T7_T9_mT8_P12ihipStream_tbDpT10_ENKUlT_T0_E_clISt17integral_constantIbLb0EES1B_EEDaS16_S17_EUlS16_E_NS1_11comp_targetILNS1_3genE0ELNS1_11target_archE4294967295ELNS1_3gpuE0ELNS1_3repE0EEENS1_30default_config_static_selectorELNS0_4arch9wavefront6targetE0EEEvT1_.uses_flat_scratch, 0
	.set _ZN7rocprim17ROCPRIM_400000_NS6detail17trampoline_kernelINS0_14default_configENS1_25partition_config_selectorILNS1_17partition_subalgoE6EtNS0_10empty_typeEbEEZZNS1_14partition_implILS5_6ELb0ES3_mN6thrust23THRUST_200600_302600_NS6detail15normal_iteratorINSA_10device_ptrItEEEEPS6_SG_NS0_5tupleIJNSA_16discard_iteratorINSA_11use_defaultEEES6_EEENSH_IJSG_SG_EEES6_PlJNSB_9not_fun_tINSB_14equal_to_valueItEEEEEEE10hipError_tPvRmT3_T4_T5_T6_T7_T9_mT8_P12ihipStream_tbDpT10_ENKUlT_T0_E_clISt17integral_constantIbLb0EES1B_EEDaS16_S17_EUlS16_E_NS1_11comp_targetILNS1_3genE0ELNS1_11target_archE4294967295ELNS1_3gpuE0ELNS1_3repE0EEENS1_30default_config_static_selectorELNS0_4arch9wavefront6targetE0EEEvT1_.has_dyn_sized_stack, 0
	.set _ZN7rocprim17ROCPRIM_400000_NS6detail17trampoline_kernelINS0_14default_configENS1_25partition_config_selectorILNS1_17partition_subalgoE6EtNS0_10empty_typeEbEEZZNS1_14partition_implILS5_6ELb0ES3_mN6thrust23THRUST_200600_302600_NS6detail15normal_iteratorINSA_10device_ptrItEEEEPS6_SG_NS0_5tupleIJNSA_16discard_iteratorINSA_11use_defaultEEES6_EEENSH_IJSG_SG_EEES6_PlJNSB_9not_fun_tINSB_14equal_to_valueItEEEEEEE10hipError_tPvRmT3_T4_T5_T6_T7_T9_mT8_P12ihipStream_tbDpT10_ENKUlT_T0_E_clISt17integral_constantIbLb0EES1B_EEDaS16_S17_EUlS16_E_NS1_11comp_targetILNS1_3genE0ELNS1_11target_archE4294967295ELNS1_3gpuE0ELNS1_3repE0EEENS1_30default_config_static_selectorELNS0_4arch9wavefront6targetE0EEEvT1_.has_recursion, 0
	.set _ZN7rocprim17ROCPRIM_400000_NS6detail17trampoline_kernelINS0_14default_configENS1_25partition_config_selectorILNS1_17partition_subalgoE6EtNS0_10empty_typeEbEEZZNS1_14partition_implILS5_6ELb0ES3_mN6thrust23THRUST_200600_302600_NS6detail15normal_iteratorINSA_10device_ptrItEEEEPS6_SG_NS0_5tupleIJNSA_16discard_iteratorINSA_11use_defaultEEES6_EEENSH_IJSG_SG_EEES6_PlJNSB_9not_fun_tINSB_14equal_to_valueItEEEEEEE10hipError_tPvRmT3_T4_T5_T6_T7_T9_mT8_P12ihipStream_tbDpT10_ENKUlT_T0_E_clISt17integral_constantIbLb0EES1B_EEDaS16_S17_EUlS16_E_NS1_11comp_targetILNS1_3genE0ELNS1_11target_archE4294967295ELNS1_3gpuE0ELNS1_3repE0EEENS1_30default_config_static_selectorELNS0_4arch9wavefront6targetE0EEEvT1_.has_indirect_call, 0
	.section	.AMDGPU.csdata,"",@progbits
; Kernel info:
; codeLenInByte = 0
; TotalNumSgprs: 0
; NumVgprs: 0
; ScratchSize: 0
; MemoryBound: 0
; FloatMode: 240
; IeeeMode: 1
; LDSByteSize: 0 bytes/workgroup (compile time only)
; SGPRBlocks: 0
; VGPRBlocks: 0
; NumSGPRsForWavesPerEU: 1
; NumVGPRsForWavesPerEU: 1
; Occupancy: 16
; WaveLimiterHint : 0
; COMPUTE_PGM_RSRC2:SCRATCH_EN: 0
; COMPUTE_PGM_RSRC2:USER_SGPR: 2
; COMPUTE_PGM_RSRC2:TRAP_HANDLER: 0
; COMPUTE_PGM_RSRC2:TGID_X_EN: 1
; COMPUTE_PGM_RSRC2:TGID_Y_EN: 0
; COMPUTE_PGM_RSRC2:TGID_Z_EN: 0
; COMPUTE_PGM_RSRC2:TIDIG_COMP_CNT: 0
	.section	.text._ZN7rocprim17ROCPRIM_400000_NS6detail17trampoline_kernelINS0_14default_configENS1_25partition_config_selectorILNS1_17partition_subalgoE6EtNS0_10empty_typeEbEEZZNS1_14partition_implILS5_6ELb0ES3_mN6thrust23THRUST_200600_302600_NS6detail15normal_iteratorINSA_10device_ptrItEEEEPS6_SG_NS0_5tupleIJNSA_16discard_iteratorINSA_11use_defaultEEES6_EEENSH_IJSG_SG_EEES6_PlJNSB_9not_fun_tINSB_14equal_to_valueItEEEEEEE10hipError_tPvRmT3_T4_T5_T6_T7_T9_mT8_P12ihipStream_tbDpT10_ENKUlT_T0_E_clISt17integral_constantIbLb0EES1B_EEDaS16_S17_EUlS16_E_NS1_11comp_targetILNS1_3genE5ELNS1_11target_archE942ELNS1_3gpuE9ELNS1_3repE0EEENS1_30default_config_static_selectorELNS0_4arch9wavefront6targetE0EEEvT1_,"axG",@progbits,_ZN7rocprim17ROCPRIM_400000_NS6detail17trampoline_kernelINS0_14default_configENS1_25partition_config_selectorILNS1_17partition_subalgoE6EtNS0_10empty_typeEbEEZZNS1_14partition_implILS5_6ELb0ES3_mN6thrust23THRUST_200600_302600_NS6detail15normal_iteratorINSA_10device_ptrItEEEEPS6_SG_NS0_5tupleIJNSA_16discard_iteratorINSA_11use_defaultEEES6_EEENSH_IJSG_SG_EEES6_PlJNSB_9not_fun_tINSB_14equal_to_valueItEEEEEEE10hipError_tPvRmT3_T4_T5_T6_T7_T9_mT8_P12ihipStream_tbDpT10_ENKUlT_T0_E_clISt17integral_constantIbLb0EES1B_EEDaS16_S17_EUlS16_E_NS1_11comp_targetILNS1_3genE5ELNS1_11target_archE942ELNS1_3gpuE9ELNS1_3repE0EEENS1_30default_config_static_selectorELNS0_4arch9wavefront6targetE0EEEvT1_,comdat
	.protected	_ZN7rocprim17ROCPRIM_400000_NS6detail17trampoline_kernelINS0_14default_configENS1_25partition_config_selectorILNS1_17partition_subalgoE6EtNS0_10empty_typeEbEEZZNS1_14partition_implILS5_6ELb0ES3_mN6thrust23THRUST_200600_302600_NS6detail15normal_iteratorINSA_10device_ptrItEEEEPS6_SG_NS0_5tupleIJNSA_16discard_iteratorINSA_11use_defaultEEES6_EEENSH_IJSG_SG_EEES6_PlJNSB_9not_fun_tINSB_14equal_to_valueItEEEEEEE10hipError_tPvRmT3_T4_T5_T6_T7_T9_mT8_P12ihipStream_tbDpT10_ENKUlT_T0_E_clISt17integral_constantIbLb0EES1B_EEDaS16_S17_EUlS16_E_NS1_11comp_targetILNS1_3genE5ELNS1_11target_archE942ELNS1_3gpuE9ELNS1_3repE0EEENS1_30default_config_static_selectorELNS0_4arch9wavefront6targetE0EEEvT1_ ; -- Begin function _ZN7rocprim17ROCPRIM_400000_NS6detail17trampoline_kernelINS0_14default_configENS1_25partition_config_selectorILNS1_17partition_subalgoE6EtNS0_10empty_typeEbEEZZNS1_14partition_implILS5_6ELb0ES3_mN6thrust23THRUST_200600_302600_NS6detail15normal_iteratorINSA_10device_ptrItEEEEPS6_SG_NS0_5tupleIJNSA_16discard_iteratorINSA_11use_defaultEEES6_EEENSH_IJSG_SG_EEES6_PlJNSB_9not_fun_tINSB_14equal_to_valueItEEEEEEE10hipError_tPvRmT3_T4_T5_T6_T7_T9_mT8_P12ihipStream_tbDpT10_ENKUlT_T0_E_clISt17integral_constantIbLb0EES1B_EEDaS16_S17_EUlS16_E_NS1_11comp_targetILNS1_3genE5ELNS1_11target_archE942ELNS1_3gpuE9ELNS1_3repE0EEENS1_30default_config_static_selectorELNS0_4arch9wavefront6targetE0EEEvT1_
	.globl	_ZN7rocprim17ROCPRIM_400000_NS6detail17trampoline_kernelINS0_14default_configENS1_25partition_config_selectorILNS1_17partition_subalgoE6EtNS0_10empty_typeEbEEZZNS1_14partition_implILS5_6ELb0ES3_mN6thrust23THRUST_200600_302600_NS6detail15normal_iteratorINSA_10device_ptrItEEEEPS6_SG_NS0_5tupleIJNSA_16discard_iteratorINSA_11use_defaultEEES6_EEENSH_IJSG_SG_EEES6_PlJNSB_9not_fun_tINSB_14equal_to_valueItEEEEEEE10hipError_tPvRmT3_T4_T5_T6_T7_T9_mT8_P12ihipStream_tbDpT10_ENKUlT_T0_E_clISt17integral_constantIbLb0EES1B_EEDaS16_S17_EUlS16_E_NS1_11comp_targetILNS1_3genE5ELNS1_11target_archE942ELNS1_3gpuE9ELNS1_3repE0EEENS1_30default_config_static_selectorELNS0_4arch9wavefront6targetE0EEEvT1_
	.p2align	8
	.type	_ZN7rocprim17ROCPRIM_400000_NS6detail17trampoline_kernelINS0_14default_configENS1_25partition_config_selectorILNS1_17partition_subalgoE6EtNS0_10empty_typeEbEEZZNS1_14partition_implILS5_6ELb0ES3_mN6thrust23THRUST_200600_302600_NS6detail15normal_iteratorINSA_10device_ptrItEEEEPS6_SG_NS0_5tupleIJNSA_16discard_iteratorINSA_11use_defaultEEES6_EEENSH_IJSG_SG_EEES6_PlJNSB_9not_fun_tINSB_14equal_to_valueItEEEEEEE10hipError_tPvRmT3_T4_T5_T6_T7_T9_mT8_P12ihipStream_tbDpT10_ENKUlT_T0_E_clISt17integral_constantIbLb0EES1B_EEDaS16_S17_EUlS16_E_NS1_11comp_targetILNS1_3genE5ELNS1_11target_archE942ELNS1_3gpuE9ELNS1_3repE0EEENS1_30default_config_static_selectorELNS0_4arch9wavefront6targetE0EEEvT1_,@function
_ZN7rocprim17ROCPRIM_400000_NS6detail17trampoline_kernelINS0_14default_configENS1_25partition_config_selectorILNS1_17partition_subalgoE6EtNS0_10empty_typeEbEEZZNS1_14partition_implILS5_6ELb0ES3_mN6thrust23THRUST_200600_302600_NS6detail15normal_iteratorINSA_10device_ptrItEEEEPS6_SG_NS0_5tupleIJNSA_16discard_iteratorINSA_11use_defaultEEES6_EEENSH_IJSG_SG_EEES6_PlJNSB_9not_fun_tINSB_14equal_to_valueItEEEEEEE10hipError_tPvRmT3_T4_T5_T6_T7_T9_mT8_P12ihipStream_tbDpT10_ENKUlT_T0_E_clISt17integral_constantIbLb0EES1B_EEDaS16_S17_EUlS16_E_NS1_11comp_targetILNS1_3genE5ELNS1_11target_archE942ELNS1_3gpuE9ELNS1_3repE0EEENS1_30default_config_static_selectorELNS0_4arch9wavefront6targetE0EEEvT1_: ; @_ZN7rocprim17ROCPRIM_400000_NS6detail17trampoline_kernelINS0_14default_configENS1_25partition_config_selectorILNS1_17partition_subalgoE6EtNS0_10empty_typeEbEEZZNS1_14partition_implILS5_6ELb0ES3_mN6thrust23THRUST_200600_302600_NS6detail15normal_iteratorINSA_10device_ptrItEEEEPS6_SG_NS0_5tupleIJNSA_16discard_iteratorINSA_11use_defaultEEES6_EEENSH_IJSG_SG_EEES6_PlJNSB_9not_fun_tINSB_14equal_to_valueItEEEEEEE10hipError_tPvRmT3_T4_T5_T6_T7_T9_mT8_P12ihipStream_tbDpT10_ENKUlT_T0_E_clISt17integral_constantIbLb0EES1B_EEDaS16_S17_EUlS16_E_NS1_11comp_targetILNS1_3genE5ELNS1_11target_archE942ELNS1_3gpuE9ELNS1_3repE0EEENS1_30default_config_static_selectorELNS0_4arch9wavefront6targetE0EEEvT1_
; %bb.0:
	.section	.rodata,"a",@progbits
	.p2align	6, 0x0
	.amdhsa_kernel _ZN7rocprim17ROCPRIM_400000_NS6detail17trampoline_kernelINS0_14default_configENS1_25partition_config_selectorILNS1_17partition_subalgoE6EtNS0_10empty_typeEbEEZZNS1_14partition_implILS5_6ELb0ES3_mN6thrust23THRUST_200600_302600_NS6detail15normal_iteratorINSA_10device_ptrItEEEEPS6_SG_NS0_5tupleIJNSA_16discard_iteratorINSA_11use_defaultEEES6_EEENSH_IJSG_SG_EEES6_PlJNSB_9not_fun_tINSB_14equal_to_valueItEEEEEEE10hipError_tPvRmT3_T4_T5_T6_T7_T9_mT8_P12ihipStream_tbDpT10_ENKUlT_T0_E_clISt17integral_constantIbLb0EES1B_EEDaS16_S17_EUlS16_E_NS1_11comp_targetILNS1_3genE5ELNS1_11target_archE942ELNS1_3gpuE9ELNS1_3repE0EEENS1_30default_config_static_selectorELNS0_4arch9wavefront6targetE0EEEvT1_
		.amdhsa_group_segment_fixed_size 0
		.amdhsa_private_segment_fixed_size 0
		.amdhsa_kernarg_size 120
		.amdhsa_user_sgpr_count 2
		.amdhsa_user_sgpr_dispatch_ptr 0
		.amdhsa_user_sgpr_queue_ptr 0
		.amdhsa_user_sgpr_kernarg_segment_ptr 1
		.amdhsa_user_sgpr_dispatch_id 0
		.amdhsa_user_sgpr_private_segment_size 0
		.amdhsa_wavefront_size32 1
		.amdhsa_uses_dynamic_stack 0
		.amdhsa_enable_private_segment 0
		.amdhsa_system_sgpr_workgroup_id_x 1
		.amdhsa_system_sgpr_workgroup_id_y 0
		.amdhsa_system_sgpr_workgroup_id_z 0
		.amdhsa_system_sgpr_workgroup_info 0
		.amdhsa_system_vgpr_workitem_id 0
		.amdhsa_next_free_vgpr 1
		.amdhsa_next_free_sgpr 1
		.amdhsa_reserve_vcc 0
		.amdhsa_float_round_mode_32 0
		.amdhsa_float_round_mode_16_64 0
		.amdhsa_float_denorm_mode_32 3
		.amdhsa_float_denorm_mode_16_64 3
		.amdhsa_fp16_overflow 0
		.amdhsa_workgroup_processor_mode 1
		.amdhsa_memory_ordered 1
		.amdhsa_forward_progress 1
		.amdhsa_inst_pref_size 0
		.amdhsa_round_robin_scheduling 0
		.amdhsa_exception_fp_ieee_invalid_op 0
		.amdhsa_exception_fp_denorm_src 0
		.amdhsa_exception_fp_ieee_div_zero 0
		.amdhsa_exception_fp_ieee_overflow 0
		.amdhsa_exception_fp_ieee_underflow 0
		.amdhsa_exception_fp_ieee_inexact 0
		.amdhsa_exception_int_div_zero 0
	.end_amdhsa_kernel
	.section	.text._ZN7rocprim17ROCPRIM_400000_NS6detail17trampoline_kernelINS0_14default_configENS1_25partition_config_selectorILNS1_17partition_subalgoE6EtNS0_10empty_typeEbEEZZNS1_14partition_implILS5_6ELb0ES3_mN6thrust23THRUST_200600_302600_NS6detail15normal_iteratorINSA_10device_ptrItEEEEPS6_SG_NS0_5tupleIJNSA_16discard_iteratorINSA_11use_defaultEEES6_EEENSH_IJSG_SG_EEES6_PlJNSB_9not_fun_tINSB_14equal_to_valueItEEEEEEE10hipError_tPvRmT3_T4_T5_T6_T7_T9_mT8_P12ihipStream_tbDpT10_ENKUlT_T0_E_clISt17integral_constantIbLb0EES1B_EEDaS16_S17_EUlS16_E_NS1_11comp_targetILNS1_3genE5ELNS1_11target_archE942ELNS1_3gpuE9ELNS1_3repE0EEENS1_30default_config_static_selectorELNS0_4arch9wavefront6targetE0EEEvT1_,"axG",@progbits,_ZN7rocprim17ROCPRIM_400000_NS6detail17trampoline_kernelINS0_14default_configENS1_25partition_config_selectorILNS1_17partition_subalgoE6EtNS0_10empty_typeEbEEZZNS1_14partition_implILS5_6ELb0ES3_mN6thrust23THRUST_200600_302600_NS6detail15normal_iteratorINSA_10device_ptrItEEEEPS6_SG_NS0_5tupleIJNSA_16discard_iteratorINSA_11use_defaultEEES6_EEENSH_IJSG_SG_EEES6_PlJNSB_9not_fun_tINSB_14equal_to_valueItEEEEEEE10hipError_tPvRmT3_T4_T5_T6_T7_T9_mT8_P12ihipStream_tbDpT10_ENKUlT_T0_E_clISt17integral_constantIbLb0EES1B_EEDaS16_S17_EUlS16_E_NS1_11comp_targetILNS1_3genE5ELNS1_11target_archE942ELNS1_3gpuE9ELNS1_3repE0EEENS1_30default_config_static_selectorELNS0_4arch9wavefront6targetE0EEEvT1_,comdat
.Lfunc_end1694:
	.size	_ZN7rocprim17ROCPRIM_400000_NS6detail17trampoline_kernelINS0_14default_configENS1_25partition_config_selectorILNS1_17partition_subalgoE6EtNS0_10empty_typeEbEEZZNS1_14partition_implILS5_6ELb0ES3_mN6thrust23THRUST_200600_302600_NS6detail15normal_iteratorINSA_10device_ptrItEEEEPS6_SG_NS0_5tupleIJNSA_16discard_iteratorINSA_11use_defaultEEES6_EEENSH_IJSG_SG_EEES6_PlJNSB_9not_fun_tINSB_14equal_to_valueItEEEEEEE10hipError_tPvRmT3_T4_T5_T6_T7_T9_mT8_P12ihipStream_tbDpT10_ENKUlT_T0_E_clISt17integral_constantIbLb0EES1B_EEDaS16_S17_EUlS16_E_NS1_11comp_targetILNS1_3genE5ELNS1_11target_archE942ELNS1_3gpuE9ELNS1_3repE0EEENS1_30default_config_static_selectorELNS0_4arch9wavefront6targetE0EEEvT1_, .Lfunc_end1694-_ZN7rocprim17ROCPRIM_400000_NS6detail17trampoline_kernelINS0_14default_configENS1_25partition_config_selectorILNS1_17partition_subalgoE6EtNS0_10empty_typeEbEEZZNS1_14partition_implILS5_6ELb0ES3_mN6thrust23THRUST_200600_302600_NS6detail15normal_iteratorINSA_10device_ptrItEEEEPS6_SG_NS0_5tupleIJNSA_16discard_iteratorINSA_11use_defaultEEES6_EEENSH_IJSG_SG_EEES6_PlJNSB_9not_fun_tINSB_14equal_to_valueItEEEEEEE10hipError_tPvRmT3_T4_T5_T6_T7_T9_mT8_P12ihipStream_tbDpT10_ENKUlT_T0_E_clISt17integral_constantIbLb0EES1B_EEDaS16_S17_EUlS16_E_NS1_11comp_targetILNS1_3genE5ELNS1_11target_archE942ELNS1_3gpuE9ELNS1_3repE0EEENS1_30default_config_static_selectorELNS0_4arch9wavefront6targetE0EEEvT1_
                                        ; -- End function
	.set _ZN7rocprim17ROCPRIM_400000_NS6detail17trampoline_kernelINS0_14default_configENS1_25partition_config_selectorILNS1_17partition_subalgoE6EtNS0_10empty_typeEbEEZZNS1_14partition_implILS5_6ELb0ES3_mN6thrust23THRUST_200600_302600_NS6detail15normal_iteratorINSA_10device_ptrItEEEEPS6_SG_NS0_5tupleIJNSA_16discard_iteratorINSA_11use_defaultEEES6_EEENSH_IJSG_SG_EEES6_PlJNSB_9not_fun_tINSB_14equal_to_valueItEEEEEEE10hipError_tPvRmT3_T4_T5_T6_T7_T9_mT8_P12ihipStream_tbDpT10_ENKUlT_T0_E_clISt17integral_constantIbLb0EES1B_EEDaS16_S17_EUlS16_E_NS1_11comp_targetILNS1_3genE5ELNS1_11target_archE942ELNS1_3gpuE9ELNS1_3repE0EEENS1_30default_config_static_selectorELNS0_4arch9wavefront6targetE0EEEvT1_.num_vgpr, 0
	.set _ZN7rocprim17ROCPRIM_400000_NS6detail17trampoline_kernelINS0_14default_configENS1_25partition_config_selectorILNS1_17partition_subalgoE6EtNS0_10empty_typeEbEEZZNS1_14partition_implILS5_6ELb0ES3_mN6thrust23THRUST_200600_302600_NS6detail15normal_iteratorINSA_10device_ptrItEEEEPS6_SG_NS0_5tupleIJNSA_16discard_iteratorINSA_11use_defaultEEES6_EEENSH_IJSG_SG_EEES6_PlJNSB_9not_fun_tINSB_14equal_to_valueItEEEEEEE10hipError_tPvRmT3_T4_T5_T6_T7_T9_mT8_P12ihipStream_tbDpT10_ENKUlT_T0_E_clISt17integral_constantIbLb0EES1B_EEDaS16_S17_EUlS16_E_NS1_11comp_targetILNS1_3genE5ELNS1_11target_archE942ELNS1_3gpuE9ELNS1_3repE0EEENS1_30default_config_static_selectorELNS0_4arch9wavefront6targetE0EEEvT1_.num_agpr, 0
	.set _ZN7rocprim17ROCPRIM_400000_NS6detail17trampoline_kernelINS0_14default_configENS1_25partition_config_selectorILNS1_17partition_subalgoE6EtNS0_10empty_typeEbEEZZNS1_14partition_implILS5_6ELb0ES3_mN6thrust23THRUST_200600_302600_NS6detail15normal_iteratorINSA_10device_ptrItEEEEPS6_SG_NS0_5tupleIJNSA_16discard_iteratorINSA_11use_defaultEEES6_EEENSH_IJSG_SG_EEES6_PlJNSB_9not_fun_tINSB_14equal_to_valueItEEEEEEE10hipError_tPvRmT3_T4_T5_T6_T7_T9_mT8_P12ihipStream_tbDpT10_ENKUlT_T0_E_clISt17integral_constantIbLb0EES1B_EEDaS16_S17_EUlS16_E_NS1_11comp_targetILNS1_3genE5ELNS1_11target_archE942ELNS1_3gpuE9ELNS1_3repE0EEENS1_30default_config_static_selectorELNS0_4arch9wavefront6targetE0EEEvT1_.numbered_sgpr, 0
	.set _ZN7rocprim17ROCPRIM_400000_NS6detail17trampoline_kernelINS0_14default_configENS1_25partition_config_selectorILNS1_17partition_subalgoE6EtNS0_10empty_typeEbEEZZNS1_14partition_implILS5_6ELb0ES3_mN6thrust23THRUST_200600_302600_NS6detail15normal_iteratorINSA_10device_ptrItEEEEPS6_SG_NS0_5tupleIJNSA_16discard_iteratorINSA_11use_defaultEEES6_EEENSH_IJSG_SG_EEES6_PlJNSB_9not_fun_tINSB_14equal_to_valueItEEEEEEE10hipError_tPvRmT3_T4_T5_T6_T7_T9_mT8_P12ihipStream_tbDpT10_ENKUlT_T0_E_clISt17integral_constantIbLb0EES1B_EEDaS16_S17_EUlS16_E_NS1_11comp_targetILNS1_3genE5ELNS1_11target_archE942ELNS1_3gpuE9ELNS1_3repE0EEENS1_30default_config_static_selectorELNS0_4arch9wavefront6targetE0EEEvT1_.num_named_barrier, 0
	.set _ZN7rocprim17ROCPRIM_400000_NS6detail17trampoline_kernelINS0_14default_configENS1_25partition_config_selectorILNS1_17partition_subalgoE6EtNS0_10empty_typeEbEEZZNS1_14partition_implILS5_6ELb0ES3_mN6thrust23THRUST_200600_302600_NS6detail15normal_iteratorINSA_10device_ptrItEEEEPS6_SG_NS0_5tupleIJNSA_16discard_iteratorINSA_11use_defaultEEES6_EEENSH_IJSG_SG_EEES6_PlJNSB_9not_fun_tINSB_14equal_to_valueItEEEEEEE10hipError_tPvRmT3_T4_T5_T6_T7_T9_mT8_P12ihipStream_tbDpT10_ENKUlT_T0_E_clISt17integral_constantIbLb0EES1B_EEDaS16_S17_EUlS16_E_NS1_11comp_targetILNS1_3genE5ELNS1_11target_archE942ELNS1_3gpuE9ELNS1_3repE0EEENS1_30default_config_static_selectorELNS0_4arch9wavefront6targetE0EEEvT1_.private_seg_size, 0
	.set _ZN7rocprim17ROCPRIM_400000_NS6detail17trampoline_kernelINS0_14default_configENS1_25partition_config_selectorILNS1_17partition_subalgoE6EtNS0_10empty_typeEbEEZZNS1_14partition_implILS5_6ELb0ES3_mN6thrust23THRUST_200600_302600_NS6detail15normal_iteratorINSA_10device_ptrItEEEEPS6_SG_NS0_5tupleIJNSA_16discard_iteratorINSA_11use_defaultEEES6_EEENSH_IJSG_SG_EEES6_PlJNSB_9not_fun_tINSB_14equal_to_valueItEEEEEEE10hipError_tPvRmT3_T4_T5_T6_T7_T9_mT8_P12ihipStream_tbDpT10_ENKUlT_T0_E_clISt17integral_constantIbLb0EES1B_EEDaS16_S17_EUlS16_E_NS1_11comp_targetILNS1_3genE5ELNS1_11target_archE942ELNS1_3gpuE9ELNS1_3repE0EEENS1_30default_config_static_selectorELNS0_4arch9wavefront6targetE0EEEvT1_.uses_vcc, 0
	.set _ZN7rocprim17ROCPRIM_400000_NS6detail17trampoline_kernelINS0_14default_configENS1_25partition_config_selectorILNS1_17partition_subalgoE6EtNS0_10empty_typeEbEEZZNS1_14partition_implILS5_6ELb0ES3_mN6thrust23THRUST_200600_302600_NS6detail15normal_iteratorINSA_10device_ptrItEEEEPS6_SG_NS0_5tupleIJNSA_16discard_iteratorINSA_11use_defaultEEES6_EEENSH_IJSG_SG_EEES6_PlJNSB_9not_fun_tINSB_14equal_to_valueItEEEEEEE10hipError_tPvRmT3_T4_T5_T6_T7_T9_mT8_P12ihipStream_tbDpT10_ENKUlT_T0_E_clISt17integral_constantIbLb0EES1B_EEDaS16_S17_EUlS16_E_NS1_11comp_targetILNS1_3genE5ELNS1_11target_archE942ELNS1_3gpuE9ELNS1_3repE0EEENS1_30default_config_static_selectorELNS0_4arch9wavefront6targetE0EEEvT1_.uses_flat_scratch, 0
	.set _ZN7rocprim17ROCPRIM_400000_NS6detail17trampoline_kernelINS0_14default_configENS1_25partition_config_selectorILNS1_17partition_subalgoE6EtNS0_10empty_typeEbEEZZNS1_14partition_implILS5_6ELb0ES3_mN6thrust23THRUST_200600_302600_NS6detail15normal_iteratorINSA_10device_ptrItEEEEPS6_SG_NS0_5tupleIJNSA_16discard_iteratorINSA_11use_defaultEEES6_EEENSH_IJSG_SG_EEES6_PlJNSB_9not_fun_tINSB_14equal_to_valueItEEEEEEE10hipError_tPvRmT3_T4_T5_T6_T7_T9_mT8_P12ihipStream_tbDpT10_ENKUlT_T0_E_clISt17integral_constantIbLb0EES1B_EEDaS16_S17_EUlS16_E_NS1_11comp_targetILNS1_3genE5ELNS1_11target_archE942ELNS1_3gpuE9ELNS1_3repE0EEENS1_30default_config_static_selectorELNS0_4arch9wavefront6targetE0EEEvT1_.has_dyn_sized_stack, 0
	.set _ZN7rocprim17ROCPRIM_400000_NS6detail17trampoline_kernelINS0_14default_configENS1_25partition_config_selectorILNS1_17partition_subalgoE6EtNS0_10empty_typeEbEEZZNS1_14partition_implILS5_6ELb0ES3_mN6thrust23THRUST_200600_302600_NS6detail15normal_iteratorINSA_10device_ptrItEEEEPS6_SG_NS0_5tupleIJNSA_16discard_iteratorINSA_11use_defaultEEES6_EEENSH_IJSG_SG_EEES6_PlJNSB_9not_fun_tINSB_14equal_to_valueItEEEEEEE10hipError_tPvRmT3_T4_T5_T6_T7_T9_mT8_P12ihipStream_tbDpT10_ENKUlT_T0_E_clISt17integral_constantIbLb0EES1B_EEDaS16_S17_EUlS16_E_NS1_11comp_targetILNS1_3genE5ELNS1_11target_archE942ELNS1_3gpuE9ELNS1_3repE0EEENS1_30default_config_static_selectorELNS0_4arch9wavefront6targetE0EEEvT1_.has_recursion, 0
	.set _ZN7rocprim17ROCPRIM_400000_NS6detail17trampoline_kernelINS0_14default_configENS1_25partition_config_selectorILNS1_17partition_subalgoE6EtNS0_10empty_typeEbEEZZNS1_14partition_implILS5_6ELb0ES3_mN6thrust23THRUST_200600_302600_NS6detail15normal_iteratorINSA_10device_ptrItEEEEPS6_SG_NS0_5tupleIJNSA_16discard_iteratorINSA_11use_defaultEEES6_EEENSH_IJSG_SG_EEES6_PlJNSB_9not_fun_tINSB_14equal_to_valueItEEEEEEE10hipError_tPvRmT3_T4_T5_T6_T7_T9_mT8_P12ihipStream_tbDpT10_ENKUlT_T0_E_clISt17integral_constantIbLb0EES1B_EEDaS16_S17_EUlS16_E_NS1_11comp_targetILNS1_3genE5ELNS1_11target_archE942ELNS1_3gpuE9ELNS1_3repE0EEENS1_30default_config_static_selectorELNS0_4arch9wavefront6targetE0EEEvT1_.has_indirect_call, 0
	.section	.AMDGPU.csdata,"",@progbits
; Kernel info:
; codeLenInByte = 0
; TotalNumSgprs: 0
; NumVgprs: 0
; ScratchSize: 0
; MemoryBound: 0
; FloatMode: 240
; IeeeMode: 1
; LDSByteSize: 0 bytes/workgroup (compile time only)
; SGPRBlocks: 0
; VGPRBlocks: 0
; NumSGPRsForWavesPerEU: 1
; NumVGPRsForWavesPerEU: 1
; Occupancy: 16
; WaveLimiterHint : 0
; COMPUTE_PGM_RSRC2:SCRATCH_EN: 0
; COMPUTE_PGM_RSRC2:USER_SGPR: 2
; COMPUTE_PGM_RSRC2:TRAP_HANDLER: 0
; COMPUTE_PGM_RSRC2:TGID_X_EN: 1
; COMPUTE_PGM_RSRC2:TGID_Y_EN: 0
; COMPUTE_PGM_RSRC2:TGID_Z_EN: 0
; COMPUTE_PGM_RSRC2:TIDIG_COMP_CNT: 0
	.section	.text._ZN7rocprim17ROCPRIM_400000_NS6detail17trampoline_kernelINS0_14default_configENS1_25partition_config_selectorILNS1_17partition_subalgoE6EtNS0_10empty_typeEbEEZZNS1_14partition_implILS5_6ELb0ES3_mN6thrust23THRUST_200600_302600_NS6detail15normal_iteratorINSA_10device_ptrItEEEEPS6_SG_NS0_5tupleIJNSA_16discard_iteratorINSA_11use_defaultEEES6_EEENSH_IJSG_SG_EEES6_PlJNSB_9not_fun_tINSB_14equal_to_valueItEEEEEEE10hipError_tPvRmT3_T4_T5_T6_T7_T9_mT8_P12ihipStream_tbDpT10_ENKUlT_T0_E_clISt17integral_constantIbLb0EES1B_EEDaS16_S17_EUlS16_E_NS1_11comp_targetILNS1_3genE4ELNS1_11target_archE910ELNS1_3gpuE8ELNS1_3repE0EEENS1_30default_config_static_selectorELNS0_4arch9wavefront6targetE0EEEvT1_,"axG",@progbits,_ZN7rocprim17ROCPRIM_400000_NS6detail17trampoline_kernelINS0_14default_configENS1_25partition_config_selectorILNS1_17partition_subalgoE6EtNS0_10empty_typeEbEEZZNS1_14partition_implILS5_6ELb0ES3_mN6thrust23THRUST_200600_302600_NS6detail15normal_iteratorINSA_10device_ptrItEEEEPS6_SG_NS0_5tupleIJNSA_16discard_iteratorINSA_11use_defaultEEES6_EEENSH_IJSG_SG_EEES6_PlJNSB_9not_fun_tINSB_14equal_to_valueItEEEEEEE10hipError_tPvRmT3_T4_T5_T6_T7_T9_mT8_P12ihipStream_tbDpT10_ENKUlT_T0_E_clISt17integral_constantIbLb0EES1B_EEDaS16_S17_EUlS16_E_NS1_11comp_targetILNS1_3genE4ELNS1_11target_archE910ELNS1_3gpuE8ELNS1_3repE0EEENS1_30default_config_static_selectorELNS0_4arch9wavefront6targetE0EEEvT1_,comdat
	.protected	_ZN7rocprim17ROCPRIM_400000_NS6detail17trampoline_kernelINS0_14default_configENS1_25partition_config_selectorILNS1_17partition_subalgoE6EtNS0_10empty_typeEbEEZZNS1_14partition_implILS5_6ELb0ES3_mN6thrust23THRUST_200600_302600_NS6detail15normal_iteratorINSA_10device_ptrItEEEEPS6_SG_NS0_5tupleIJNSA_16discard_iteratorINSA_11use_defaultEEES6_EEENSH_IJSG_SG_EEES6_PlJNSB_9not_fun_tINSB_14equal_to_valueItEEEEEEE10hipError_tPvRmT3_T4_T5_T6_T7_T9_mT8_P12ihipStream_tbDpT10_ENKUlT_T0_E_clISt17integral_constantIbLb0EES1B_EEDaS16_S17_EUlS16_E_NS1_11comp_targetILNS1_3genE4ELNS1_11target_archE910ELNS1_3gpuE8ELNS1_3repE0EEENS1_30default_config_static_selectorELNS0_4arch9wavefront6targetE0EEEvT1_ ; -- Begin function _ZN7rocprim17ROCPRIM_400000_NS6detail17trampoline_kernelINS0_14default_configENS1_25partition_config_selectorILNS1_17partition_subalgoE6EtNS0_10empty_typeEbEEZZNS1_14partition_implILS5_6ELb0ES3_mN6thrust23THRUST_200600_302600_NS6detail15normal_iteratorINSA_10device_ptrItEEEEPS6_SG_NS0_5tupleIJNSA_16discard_iteratorINSA_11use_defaultEEES6_EEENSH_IJSG_SG_EEES6_PlJNSB_9not_fun_tINSB_14equal_to_valueItEEEEEEE10hipError_tPvRmT3_T4_T5_T6_T7_T9_mT8_P12ihipStream_tbDpT10_ENKUlT_T0_E_clISt17integral_constantIbLb0EES1B_EEDaS16_S17_EUlS16_E_NS1_11comp_targetILNS1_3genE4ELNS1_11target_archE910ELNS1_3gpuE8ELNS1_3repE0EEENS1_30default_config_static_selectorELNS0_4arch9wavefront6targetE0EEEvT1_
	.globl	_ZN7rocprim17ROCPRIM_400000_NS6detail17trampoline_kernelINS0_14default_configENS1_25partition_config_selectorILNS1_17partition_subalgoE6EtNS0_10empty_typeEbEEZZNS1_14partition_implILS5_6ELb0ES3_mN6thrust23THRUST_200600_302600_NS6detail15normal_iteratorINSA_10device_ptrItEEEEPS6_SG_NS0_5tupleIJNSA_16discard_iteratorINSA_11use_defaultEEES6_EEENSH_IJSG_SG_EEES6_PlJNSB_9not_fun_tINSB_14equal_to_valueItEEEEEEE10hipError_tPvRmT3_T4_T5_T6_T7_T9_mT8_P12ihipStream_tbDpT10_ENKUlT_T0_E_clISt17integral_constantIbLb0EES1B_EEDaS16_S17_EUlS16_E_NS1_11comp_targetILNS1_3genE4ELNS1_11target_archE910ELNS1_3gpuE8ELNS1_3repE0EEENS1_30default_config_static_selectorELNS0_4arch9wavefront6targetE0EEEvT1_
	.p2align	8
	.type	_ZN7rocprim17ROCPRIM_400000_NS6detail17trampoline_kernelINS0_14default_configENS1_25partition_config_selectorILNS1_17partition_subalgoE6EtNS0_10empty_typeEbEEZZNS1_14partition_implILS5_6ELb0ES3_mN6thrust23THRUST_200600_302600_NS6detail15normal_iteratorINSA_10device_ptrItEEEEPS6_SG_NS0_5tupleIJNSA_16discard_iteratorINSA_11use_defaultEEES6_EEENSH_IJSG_SG_EEES6_PlJNSB_9not_fun_tINSB_14equal_to_valueItEEEEEEE10hipError_tPvRmT3_T4_T5_T6_T7_T9_mT8_P12ihipStream_tbDpT10_ENKUlT_T0_E_clISt17integral_constantIbLb0EES1B_EEDaS16_S17_EUlS16_E_NS1_11comp_targetILNS1_3genE4ELNS1_11target_archE910ELNS1_3gpuE8ELNS1_3repE0EEENS1_30default_config_static_selectorELNS0_4arch9wavefront6targetE0EEEvT1_,@function
_ZN7rocprim17ROCPRIM_400000_NS6detail17trampoline_kernelINS0_14default_configENS1_25partition_config_selectorILNS1_17partition_subalgoE6EtNS0_10empty_typeEbEEZZNS1_14partition_implILS5_6ELb0ES3_mN6thrust23THRUST_200600_302600_NS6detail15normal_iteratorINSA_10device_ptrItEEEEPS6_SG_NS0_5tupleIJNSA_16discard_iteratorINSA_11use_defaultEEES6_EEENSH_IJSG_SG_EEES6_PlJNSB_9not_fun_tINSB_14equal_to_valueItEEEEEEE10hipError_tPvRmT3_T4_T5_T6_T7_T9_mT8_P12ihipStream_tbDpT10_ENKUlT_T0_E_clISt17integral_constantIbLb0EES1B_EEDaS16_S17_EUlS16_E_NS1_11comp_targetILNS1_3genE4ELNS1_11target_archE910ELNS1_3gpuE8ELNS1_3repE0EEENS1_30default_config_static_selectorELNS0_4arch9wavefront6targetE0EEEvT1_: ; @_ZN7rocprim17ROCPRIM_400000_NS6detail17trampoline_kernelINS0_14default_configENS1_25partition_config_selectorILNS1_17partition_subalgoE6EtNS0_10empty_typeEbEEZZNS1_14partition_implILS5_6ELb0ES3_mN6thrust23THRUST_200600_302600_NS6detail15normal_iteratorINSA_10device_ptrItEEEEPS6_SG_NS0_5tupleIJNSA_16discard_iteratorINSA_11use_defaultEEES6_EEENSH_IJSG_SG_EEES6_PlJNSB_9not_fun_tINSB_14equal_to_valueItEEEEEEE10hipError_tPvRmT3_T4_T5_T6_T7_T9_mT8_P12ihipStream_tbDpT10_ENKUlT_T0_E_clISt17integral_constantIbLb0EES1B_EEDaS16_S17_EUlS16_E_NS1_11comp_targetILNS1_3genE4ELNS1_11target_archE910ELNS1_3gpuE8ELNS1_3repE0EEENS1_30default_config_static_selectorELNS0_4arch9wavefront6targetE0EEEvT1_
; %bb.0:
	.section	.rodata,"a",@progbits
	.p2align	6, 0x0
	.amdhsa_kernel _ZN7rocprim17ROCPRIM_400000_NS6detail17trampoline_kernelINS0_14default_configENS1_25partition_config_selectorILNS1_17partition_subalgoE6EtNS0_10empty_typeEbEEZZNS1_14partition_implILS5_6ELb0ES3_mN6thrust23THRUST_200600_302600_NS6detail15normal_iteratorINSA_10device_ptrItEEEEPS6_SG_NS0_5tupleIJNSA_16discard_iteratorINSA_11use_defaultEEES6_EEENSH_IJSG_SG_EEES6_PlJNSB_9not_fun_tINSB_14equal_to_valueItEEEEEEE10hipError_tPvRmT3_T4_T5_T6_T7_T9_mT8_P12ihipStream_tbDpT10_ENKUlT_T0_E_clISt17integral_constantIbLb0EES1B_EEDaS16_S17_EUlS16_E_NS1_11comp_targetILNS1_3genE4ELNS1_11target_archE910ELNS1_3gpuE8ELNS1_3repE0EEENS1_30default_config_static_selectorELNS0_4arch9wavefront6targetE0EEEvT1_
		.amdhsa_group_segment_fixed_size 0
		.amdhsa_private_segment_fixed_size 0
		.amdhsa_kernarg_size 120
		.amdhsa_user_sgpr_count 2
		.amdhsa_user_sgpr_dispatch_ptr 0
		.amdhsa_user_sgpr_queue_ptr 0
		.amdhsa_user_sgpr_kernarg_segment_ptr 1
		.amdhsa_user_sgpr_dispatch_id 0
		.amdhsa_user_sgpr_private_segment_size 0
		.amdhsa_wavefront_size32 1
		.amdhsa_uses_dynamic_stack 0
		.amdhsa_enable_private_segment 0
		.amdhsa_system_sgpr_workgroup_id_x 1
		.amdhsa_system_sgpr_workgroup_id_y 0
		.amdhsa_system_sgpr_workgroup_id_z 0
		.amdhsa_system_sgpr_workgroup_info 0
		.amdhsa_system_vgpr_workitem_id 0
		.amdhsa_next_free_vgpr 1
		.amdhsa_next_free_sgpr 1
		.amdhsa_reserve_vcc 0
		.amdhsa_float_round_mode_32 0
		.amdhsa_float_round_mode_16_64 0
		.amdhsa_float_denorm_mode_32 3
		.amdhsa_float_denorm_mode_16_64 3
		.amdhsa_fp16_overflow 0
		.amdhsa_workgroup_processor_mode 1
		.amdhsa_memory_ordered 1
		.amdhsa_forward_progress 1
		.amdhsa_inst_pref_size 0
		.amdhsa_round_robin_scheduling 0
		.amdhsa_exception_fp_ieee_invalid_op 0
		.amdhsa_exception_fp_denorm_src 0
		.amdhsa_exception_fp_ieee_div_zero 0
		.amdhsa_exception_fp_ieee_overflow 0
		.amdhsa_exception_fp_ieee_underflow 0
		.amdhsa_exception_fp_ieee_inexact 0
		.amdhsa_exception_int_div_zero 0
	.end_amdhsa_kernel
	.section	.text._ZN7rocprim17ROCPRIM_400000_NS6detail17trampoline_kernelINS0_14default_configENS1_25partition_config_selectorILNS1_17partition_subalgoE6EtNS0_10empty_typeEbEEZZNS1_14partition_implILS5_6ELb0ES3_mN6thrust23THRUST_200600_302600_NS6detail15normal_iteratorINSA_10device_ptrItEEEEPS6_SG_NS0_5tupleIJNSA_16discard_iteratorINSA_11use_defaultEEES6_EEENSH_IJSG_SG_EEES6_PlJNSB_9not_fun_tINSB_14equal_to_valueItEEEEEEE10hipError_tPvRmT3_T4_T5_T6_T7_T9_mT8_P12ihipStream_tbDpT10_ENKUlT_T0_E_clISt17integral_constantIbLb0EES1B_EEDaS16_S17_EUlS16_E_NS1_11comp_targetILNS1_3genE4ELNS1_11target_archE910ELNS1_3gpuE8ELNS1_3repE0EEENS1_30default_config_static_selectorELNS0_4arch9wavefront6targetE0EEEvT1_,"axG",@progbits,_ZN7rocprim17ROCPRIM_400000_NS6detail17trampoline_kernelINS0_14default_configENS1_25partition_config_selectorILNS1_17partition_subalgoE6EtNS0_10empty_typeEbEEZZNS1_14partition_implILS5_6ELb0ES3_mN6thrust23THRUST_200600_302600_NS6detail15normal_iteratorINSA_10device_ptrItEEEEPS6_SG_NS0_5tupleIJNSA_16discard_iteratorINSA_11use_defaultEEES6_EEENSH_IJSG_SG_EEES6_PlJNSB_9not_fun_tINSB_14equal_to_valueItEEEEEEE10hipError_tPvRmT3_T4_T5_T6_T7_T9_mT8_P12ihipStream_tbDpT10_ENKUlT_T0_E_clISt17integral_constantIbLb0EES1B_EEDaS16_S17_EUlS16_E_NS1_11comp_targetILNS1_3genE4ELNS1_11target_archE910ELNS1_3gpuE8ELNS1_3repE0EEENS1_30default_config_static_selectorELNS0_4arch9wavefront6targetE0EEEvT1_,comdat
.Lfunc_end1695:
	.size	_ZN7rocprim17ROCPRIM_400000_NS6detail17trampoline_kernelINS0_14default_configENS1_25partition_config_selectorILNS1_17partition_subalgoE6EtNS0_10empty_typeEbEEZZNS1_14partition_implILS5_6ELb0ES3_mN6thrust23THRUST_200600_302600_NS6detail15normal_iteratorINSA_10device_ptrItEEEEPS6_SG_NS0_5tupleIJNSA_16discard_iteratorINSA_11use_defaultEEES6_EEENSH_IJSG_SG_EEES6_PlJNSB_9not_fun_tINSB_14equal_to_valueItEEEEEEE10hipError_tPvRmT3_T4_T5_T6_T7_T9_mT8_P12ihipStream_tbDpT10_ENKUlT_T0_E_clISt17integral_constantIbLb0EES1B_EEDaS16_S17_EUlS16_E_NS1_11comp_targetILNS1_3genE4ELNS1_11target_archE910ELNS1_3gpuE8ELNS1_3repE0EEENS1_30default_config_static_selectorELNS0_4arch9wavefront6targetE0EEEvT1_, .Lfunc_end1695-_ZN7rocprim17ROCPRIM_400000_NS6detail17trampoline_kernelINS0_14default_configENS1_25partition_config_selectorILNS1_17partition_subalgoE6EtNS0_10empty_typeEbEEZZNS1_14partition_implILS5_6ELb0ES3_mN6thrust23THRUST_200600_302600_NS6detail15normal_iteratorINSA_10device_ptrItEEEEPS6_SG_NS0_5tupleIJNSA_16discard_iteratorINSA_11use_defaultEEES6_EEENSH_IJSG_SG_EEES6_PlJNSB_9not_fun_tINSB_14equal_to_valueItEEEEEEE10hipError_tPvRmT3_T4_T5_T6_T7_T9_mT8_P12ihipStream_tbDpT10_ENKUlT_T0_E_clISt17integral_constantIbLb0EES1B_EEDaS16_S17_EUlS16_E_NS1_11comp_targetILNS1_3genE4ELNS1_11target_archE910ELNS1_3gpuE8ELNS1_3repE0EEENS1_30default_config_static_selectorELNS0_4arch9wavefront6targetE0EEEvT1_
                                        ; -- End function
	.set _ZN7rocprim17ROCPRIM_400000_NS6detail17trampoline_kernelINS0_14default_configENS1_25partition_config_selectorILNS1_17partition_subalgoE6EtNS0_10empty_typeEbEEZZNS1_14partition_implILS5_6ELb0ES3_mN6thrust23THRUST_200600_302600_NS6detail15normal_iteratorINSA_10device_ptrItEEEEPS6_SG_NS0_5tupleIJNSA_16discard_iteratorINSA_11use_defaultEEES6_EEENSH_IJSG_SG_EEES6_PlJNSB_9not_fun_tINSB_14equal_to_valueItEEEEEEE10hipError_tPvRmT3_T4_T5_T6_T7_T9_mT8_P12ihipStream_tbDpT10_ENKUlT_T0_E_clISt17integral_constantIbLb0EES1B_EEDaS16_S17_EUlS16_E_NS1_11comp_targetILNS1_3genE4ELNS1_11target_archE910ELNS1_3gpuE8ELNS1_3repE0EEENS1_30default_config_static_selectorELNS0_4arch9wavefront6targetE0EEEvT1_.num_vgpr, 0
	.set _ZN7rocprim17ROCPRIM_400000_NS6detail17trampoline_kernelINS0_14default_configENS1_25partition_config_selectorILNS1_17partition_subalgoE6EtNS0_10empty_typeEbEEZZNS1_14partition_implILS5_6ELb0ES3_mN6thrust23THRUST_200600_302600_NS6detail15normal_iteratorINSA_10device_ptrItEEEEPS6_SG_NS0_5tupleIJNSA_16discard_iteratorINSA_11use_defaultEEES6_EEENSH_IJSG_SG_EEES6_PlJNSB_9not_fun_tINSB_14equal_to_valueItEEEEEEE10hipError_tPvRmT3_T4_T5_T6_T7_T9_mT8_P12ihipStream_tbDpT10_ENKUlT_T0_E_clISt17integral_constantIbLb0EES1B_EEDaS16_S17_EUlS16_E_NS1_11comp_targetILNS1_3genE4ELNS1_11target_archE910ELNS1_3gpuE8ELNS1_3repE0EEENS1_30default_config_static_selectorELNS0_4arch9wavefront6targetE0EEEvT1_.num_agpr, 0
	.set _ZN7rocprim17ROCPRIM_400000_NS6detail17trampoline_kernelINS0_14default_configENS1_25partition_config_selectorILNS1_17partition_subalgoE6EtNS0_10empty_typeEbEEZZNS1_14partition_implILS5_6ELb0ES3_mN6thrust23THRUST_200600_302600_NS6detail15normal_iteratorINSA_10device_ptrItEEEEPS6_SG_NS0_5tupleIJNSA_16discard_iteratorINSA_11use_defaultEEES6_EEENSH_IJSG_SG_EEES6_PlJNSB_9not_fun_tINSB_14equal_to_valueItEEEEEEE10hipError_tPvRmT3_T4_T5_T6_T7_T9_mT8_P12ihipStream_tbDpT10_ENKUlT_T0_E_clISt17integral_constantIbLb0EES1B_EEDaS16_S17_EUlS16_E_NS1_11comp_targetILNS1_3genE4ELNS1_11target_archE910ELNS1_3gpuE8ELNS1_3repE0EEENS1_30default_config_static_selectorELNS0_4arch9wavefront6targetE0EEEvT1_.numbered_sgpr, 0
	.set _ZN7rocprim17ROCPRIM_400000_NS6detail17trampoline_kernelINS0_14default_configENS1_25partition_config_selectorILNS1_17partition_subalgoE6EtNS0_10empty_typeEbEEZZNS1_14partition_implILS5_6ELb0ES3_mN6thrust23THRUST_200600_302600_NS6detail15normal_iteratorINSA_10device_ptrItEEEEPS6_SG_NS0_5tupleIJNSA_16discard_iteratorINSA_11use_defaultEEES6_EEENSH_IJSG_SG_EEES6_PlJNSB_9not_fun_tINSB_14equal_to_valueItEEEEEEE10hipError_tPvRmT3_T4_T5_T6_T7_T9_mT8_P12ihipStream_tbDpT10_ENKUlT_T0_E_clISt17integral_constantIbLb0EES1B_EEDaS16_S17_EUlS16_E_NS1_11comp_targetILNS1_3genE4ELNS1_11target_archE910ELNS1_3gpuE8ELNS1_3repE0EEENS1_30default_config_static_selectorELNS0_4arch9wavefront6targetE0EEEvT1_.num_named_barrier, 0
	.set _ZN7rocprim17ROCPRIM_400000_NS6detail17trampoline_kernelINS0_14default_configENS1_25partition_config_selectorILNS1_17partition_subalgoE6EtNS0_10empty_typeEbEEZZNS1_14partition_implILS5_6ELb0ES3_mN6thrust23THRUST_200600_302600_NS6detail15normal_iteratorINSA_10device_ptrItEEEEPS6_SG_NS0_5tupleIJNSA_16discard_iteratorINSA_11use_defaultEEES6_EEENSH_IJSG_SG_EEES6_PlJNSB_9not_fun_tINSB_14equal_to_valueItEEEEEEE10hipError_tPvRmT3_T4_T5_T6_T7_T9_mT8_P12ihipStream_tbDpT10_ENKUlT_T0_E_clISt17integral_constantIbLb0EES1B_EEDaS16_S17_EUlS16_E_NS1_11comp_targetILNS1_3genE4ELNS1_11target_archE910ELNS1_3gpuE8ELNS1_3repE0EEENS1_30default_config_static_selectorELNS0_4arch9wavefront6targetE0EEEvT1_.private_seg_size, 0
	.set _ZN7rocprim17ROCPRIM_400000_NS6detail17trampoline_kernelINS0_14default_configENS1_25partition_config_selectorILNS1_17partition_subalgoE6EtNS0_10empty_typeEbEEZZNS1_14partition_implILS5_6ELb0ES3_mN6thrust23THRUST_200600_302600_NS6detail15normal_iteratorINSA_10device_ptrItEEEEPS6_SG_NS0_5tupleIJNSA_16discard_iteratorINSA_11use_defaultEEES6_EEENSH_IJSG_SG_EEES6_PlJNSB_9not_fun_tINSB_14equal_to_valueItEEEEEEE10hipError_tPvRmT3_T4_T5_T6_T7_T9_mT8_P12ihipStream_tbDpT10_ENKUlT_T0_E_clISt17integral_constantIbLb0EES1B_EEDaS16_S17_EUlS16_E_NS1_11comp_targetILNS1_3genE4ELNS1_11target_archE910ELNS1_3gpuE8ELNS1_3repE0EEENS1_30default_config_static_selectorELNS0_4arch9wavefront6targetE0EEEvT1_.uses_vcc, 0
	.set _ZN7rocprim17ROCPRIM_400000_NS6detail17trampoline_kernelINS0_14default_configENS1_25partition_config_selectorILNS1_17partition_subalgoE6EtNS0_10empty_typeEbEEZZNS1_14partition_implILS5_6ELb0ES3_mN6thrust23THRUST_200600_302600_NS6detail15normal_iteratorINSA_10device_ptrItEEEEPS6_SG_NS0_5tupleIJNSA_16discard_iteratorINSA_11use_defaultEEES6_EEENSH_IJSG_SG_EEES6_PlJNSB_9not_fun_tINSB_14equal_to_valueItEEEEEEE10hipError_tPvRmT3_T4_T5_T6_T7_T9_mT8_P12ihipStream_tbDpT10_ENKUlT_T0_E_clISt17integral_constantIbLb0EES1B_EEDaS16_S17_EUlS16_E_NS1_11comp_targetILNS1_3genE4ELNS1_11target_archE910ELNS1_3gpuE8ELNS1_3repE0EEENS1_30default_config_static_selectorELNS0_4arch9wavefront6targetE0EEEvT1_.uses_flat_scratch, 0
	.set _ZN7rocprim17ROCPRIM_400000_NS6detail17trampoline_kernelINS0_14default_configENS1_25partition_config_selectorILNS1_17partition_subalgoE6EtNS0_10empty_typeEbEEZZNS1_14partition_implILS5_6ELb0ES3_mN6thrust23THRUST_200600_302600_NS6detail15normal_iteratorINSA_10device_ptrItEEEEPS6_SG_NS0_5tupleIJNSA_16discard_iteratorINSA_11use_defaultEEES6_EEENSH_IJSG_SG_EEES6_PlJNSB_9not_fun_tINSB_14equal_to_valueItEEEEEEE10hipError_tPvRmT3_T4_T5_T6_T7_T9_mT8_P12ihipStream_tbDpT10_ENKUlT_T0_E_clISt17integral_constantIbLb0EES1B_EEDaS16_S17_EUlS16_E_NS1_11comp_targetILNS1_3genE4ELNS1_11target_archE910ELNS1_3gpuE8ELNS1_3repE0EEENS1_30default_config_static_selectorELNS0_4arch9wavefront6targetE0EEEvT1_.has_dyn_sized_stack, 0
	.set _ZN7rocprim17ROCPRIM_400000_NS6detail17trampoline_kernelINS0_14default_configENS1_25partition_config_selectorILNS1_17partition_subalgoE6EtNS0_10empty_typeEbEEZZNS1_14partition_implILS5_6ELb0ES3_mN6thrust23THRUST_200600_302600_NS6detail15normal_iteratorINSA_10device_ptrItEEEEPS6_SG_NS0_5tupleIJNSA_16discard_iteratorINSA_11use_defaultEEES6_EEENSH_IJSG_SG_EEES6_PlJNSB_9not_fun_tINSB_14equal_to_valueItEEEEEEE10hipError_tPvRmT3_T4_T5_T6_T7_T9_mT8_P12ihipStream_tbDpT10_ENKUlT_T0_E_clISt17integral_constantIbLb0EES1B_EEDaS16_S17_EUlS16_E_NS1_11comp_targetILNS1_3genE4ELNS1_11target_archE910ELNS1_3gpuE8ELNS1_3repE0EEENS1_30default_config_static_selectorELNS0_4arch9wavefront6targetE0EEEvT1_.has_recursion, 0
	.set _ZN7rocprim17ROCPRIM_400000_NS6detail17trampoline_kernelINS0_14default_configENS1_25partition_config_selectorILNS1_17partition_subalgoE6EtNS0_10empty_typeEbEEZZNS1_14partition_implILS5_6ELb0ES3_mN6thrust23THRUST_200600_302600_NS6detail15normal_iteratorINSA_10device_ptrItEEEEPS6_SG_NS0_5tupleIJNSA_16discard_iteratorINSA_11use_defaultEEES6_EEENSH_IJSG_SG_EEES6_PlJNSB_9not_fun_tINSB_14equal_to_valueItEEEEEEE10hipError_tPvRmT3_T4_T5_T6_T7_T9_mT8_P12ihipStream_tbDpT10_ENKUlT_T0_E_clISt17integral_constantIbLb0EES1B_EEDaS16_S17_EUlS16_E_NS1_11comp_targetILNS1_3genE4ELNS1_11target_archE910ELNS1_3gpuE8ELNS1_3repE0EEENS1_30default_config_static_selectorELNS0_4arch9wavefront6targetE0EEEvT1_.has_indirect_call, 0
	.section	.AMDGPU.csdata,"",@progbits
; Kernel info:
; codeLenInByte = 0
; TotalNumSgprs: 0
; NumVgprs: 0
; ScratchSize: 0
; MemoryBound: 0
; FloatMode: 240
; IeeeMode: 1
; LDSByteSize: 0 bytes/workgroup (compile time only)
; SGPRBlocks: 0
; VGPRBlocks: 0
; NumSGPRsForWavesPerEU: 1
; NumVGPRsForWavesPerEU: 1
; Occupancy: 16
; WaveLimiterHint : 0
; COMPUTE_PGM_RSRC2:SCRATCH_EN: 0
; COMPUTE_PGM_RSRC2:USER_SGPR: 2
; COMPUTE_PGM_RSRC2:TRAP_HANDLER: 0
; COMPUTE_PGM_RSRC2:TGID_X_EN: 1
; COMPUTE_PGM_RSRC2:TGID_Y_EN: 0
; COMPUTE_PGM_RSRC2:TGID_Z_EN: 0
; COMPUTE_PGM_RSRC2:TIDIG_COMP_CNT: 0
	.section	.text._ZN7rocprim17ROCPRIM_400000_NS6detail17trampoline_kernelINS0_14default_configENS1_25partition_config_selectorILNS1_17partition_subalgoE6EtNS0_10empty_typeEbEEZZNS1_14partition_implILS5_6ELb0ES3_mN6thrust23THRUST_200600_302600_NS6detail15normal_iteratorINSA_10device_ptrItEEEEPS6_SG_NS0_5tupleIJNSA_16discard_iteratorINSA_11use_defaultEEES6_EEENSH_IJSG_SG_EEES6_PlJNSB_9not_fun_tINSB_14equal_to_valueItEEEEEEE10hipError_tPvRmT3_T4_T5_T6_T7_T9_mT8_P12ihipStream_tbDpT10_ENKUlT_T0_E_clISt17integral_constantIbLb0EES1B_EEDaS16_S17_EUlS16_E_NS1_11comp_targetILNS1_3genE3ELNS1_11target_archE908ELNS1_3gpuE7ELNS1_3repE0EEENS1_30default_config_static_selectorELNS0_4arch9wavefront6targetE0EEEvT1_,"axG",@progbits,_ZN7rocprim17ROCPRIM_400000_NS6detail17trampoline_kernelINS0_14default_configENS1_25partition_config_selectorILNS1_17partition_subalgoE6EtNS0_10empty_typeEbEEZZNS1_14partition_implILS5_6ELb0ES3_mN6thrust23THRUST_200600_302600_NS6detail15normal_iteratorINSA_10device_ptrItEEEEPS6_SG_NS0_5tupleIJNSA_16discard_iteratorINSA_11use_defaultEEES6_EEENSH_IJSG_SG_EEES6_PlJNSB_9not_fun_tINSB_14equal_to_valueItEEEEEEE10hipError_tPvRmT3_T4_T5_T6_T7_T9_mT8_P12ihipStream_tbDpT10_ENKUlT_T0_E_clISt17integral_constantIbLb0EES1B_EEDaS16_S17_EUlS16_E_NS1_11comp_targetILNS1_3genE3ELNS1_11target_archE908ELNS1_3gpuE7ELNS1_3repE0EEENS1_30default_config_static_selectorELNS0_4arch9wavefront6targetE0EEEvT1_,comdat
	.protected	_ZN7rocprim17ROCPRIM_400000_NS6detail17trampoline_kernelINS0_14default_configENS1_25partition_config_selectorILNS1_17partition_subalgoE6EtNS0_10empty_typeEbEEZZNS1_14partition_implILS5_6ELb0ES3_mN6thrust23THRUST_200600_302600_NS6detail15normal_iteratorINSA_10device_ptrItEEEEPS6_SG_NS0_5tupleIJNSA_16discard_iteratorINSA_11use_defaultEEES6_EEENSH_IJSG_SG_EEES6_PlJNSB_9not_fun_tINSB_14equal_to_valueItEEEEEEE10hipError_tPvRmT3_T4_T5_T6_T7_T9_mT8_P12ihipStream_tbDpT10_ENKUlT_T0_E_clISt17integral_constantIbLb0EES1B_EEDaS16_S17_EUlS16_E_NS1_11comp_targetILNS1_3genE3ELNS1_11target_archE908ELNS1_3gpuE7ELNS1_3repE0EEENS1_30default_config_static_selectorELNS0_4arch9wavefront6targetE0EEEvT1_ ; -- Begin function _ZN7rocprim17ROCPRIM_400000_NS6detail17trampoline_kernelINS0_14default_configENS1_25partition_config_selectorILNS1_17partition_subalgoE6EtNS0_10empty_typeEbEEZZNS1_14partition_implILS5_6ELb0ES3_mN6thrust23THRUST_200600_302600_NS6detail15normal_iteratorINSA_10device_ptrItEEEEPS6_SG_NS0_5tupleIJNSA_16discard_iteratorINSA_11use_defaultEEES6_EEENSH_IJSG_SG_EEES6_PlJNSB_9not_fun_tINSB_14equal_to_valueItEEEEEEE10hipError_tPvRmT3_T4_T5_T6_T7_T9_mT8_P12ihipStream_tbDpT10_ENKUlT_T0_E_clISt17integral_constantIbLb0EES1B_EEDaS16_S17_EUlS16_E_NS1_11comp_targetILNS1_3genE3ELNS1_11target_archE908ELNS1_3gpuE7ELNS1_3repE0EEENS1_30default_config_static_selectorELNS0_4arch9wavefront6targetE0EEEvT1_
	.globl	_ZN7rocprim17ROCPRIM_400000_NS6detail17trampoline_kernelINS0_14default_configENS1_25partition_config_selectorILNS1_17partition_subalgoE6EtNS0_10empty_typeEbEEZZNS1_14partition_implILS5_6ELb0ES3_mN6thrust23THRUST_200600_302600_NS6detail15normal_iteratorINSA_10device_ptrItEEEEPS6_SG_NS0_5tupleIJNSA_16discard_iteratorINSA_11use_defaultEEES6_EEENSH_IJSG_SG_EEES6_PlJNSB_9not_fun_tINSB_14equal_to_valueItEEEEEEE10hipError_tPvRmT3_T4_T5_T6_T7_T9_mT8_P12ihipStream_tbDpT10_ENKUlT_T0_E_clISt17integral_constantIbLb0EES1B_EEDaS16_S17_EUlS16_E_NS1_11comp_targetILNS1_3genE3ELNS1_11target_archE908ELNS1_3gpuE7ELNS1_3repE0EEENS1_30default_config_static_selectorELNS0_4arch9wavefront6targetE0EEEvT1_
	.p2align	8
	.type	_ZN7rocprim17ROCPRIM_400000_NS6detail17trampoline_kernelINS0_14default_configENS1_25partition_config_selectorILNS1_17partition_subalgoE6EtNS0_10empty_typeEbEEZZNS1_14partition_implILS5_6ELb0ES3_mN6thrust23THRUST_200600_302600_NS6detail15normal_iteratorINSA_10device_ptrItEEEEPS6_SG_NS0_5tupleIJNSA_16discard_iteratorINSA_11use_defaultEEES6_EEENSH_IJSG_SG_EEES6_PlJNSB_9not_fun_tINSB_14equal_to_valueItEEEEEEE10hipError_tPvRmT3_T4_T5_T6_T7_T9_mT8_P12ihipStream_tbDpT10_ENKUlT_T0_E_clISt17integral_constantIbLb0EES1B_EEDaS16_S17_EUlS16_E_NS1_11comp_targetILNS1_3genE3ELNS1_11target_archE908ELNS1_3gpuE7ELNS1_3repE0EEENS1_30default_config_static_selectorELNS0_4arch9wavefront6targetE0EEEvT1_,@function
_ZN7rocprim17ROCPRIM_400000_NS6detail17trampoline_kernelINS0_14default_configENS1_25partition_config_selectorILNS1_17partition_subalgoE6EtNS0_10empty_typeEbEEZZNS1_14partition_implILS5_6ELb0ES3_mN6thrust23THRUST_200600_302600_NS6detail15normal_iteratorINSA_10device_ptrItEEEEPS6_SG_NS0_5tupleIJNSA_16discard_iteratorINSA_11use_defaultEEES6_EEENSH_IJSG_SG_EEES6_PlJNSB_9not_fun_tINSB_14equal_to_valueItEEEEEEE10hipError_tPvRmT3_T4_T5_T6_T7_T9_mT8_P12ihipStream_tbDpT10_ENKUlT_T0_E_clISt17integral_constantIbLb0EES1B_EEDaS16_S17_EUlS16_E_NS1_11comp_targetILNS1_3genE3ELNS1_11target_archE908ELNS1_3gpuE7ELNS1_3repE0EEENS1_30default_config_static_selectorELNS0_4arch9wavefront6targetE0EEEvT1_: ; @_ZN7rocprim17ROCPRIM_400000_NS6detail17trampoline_kernelINS0_14default_configENS1_25partition_config_selectorILNS1_17partition_subalgoE6EtNS0_10empty_typeEbEEZZNS1_14partition_implILS5_6ELb0ES3_mN6thrust23THRUST_200600_302600_NS6detail15normal_iteratorINSA_10device_ptrItEEEEPS6_SG_NS0_5tupleIJNSA_16discard_iteratorINSA_11use_defaultEEES6_EEENSH_IJSG_SG_EEES6_PlJNSB_9not_fun_tINSB_14equal_to_valueItEEEEEEE10hipError_tPvRmT3_T4_T5_T6_T7_T9_mT8_P12ihipStream_tbDpT10_ENKUlT_T0_E_clISt17integral_constantIbLb0EES1B_EEDaS16_S17_EUlS16_E_NS1_11comp_targetILNS1_3genE3ELNS1_11target_archE908ELNS1_3gpuE7ELNS1_3repE0EEENS1_30default_config_static_selectorELNS0_4arch9wavefront6targetE0EEEvT1_
; %bb.0:
	.section	.rodata,"a",@progbits
	.p2align	6, 0x0
	.amdhsa_kernel _ZN7rocprim17ROCPRIM_400000_NS6detail17trampoline_kernelINS0_14default_configENS1_25partition_config_selectorILNS1_17partition_subalgoE6EtNS0_10empty_typeEbEEZZNS1_14partition_implILS5_6ELb0ES3_mN6thrust23THRUST_200600_302600_NS6detail15normal_iteratorINSA_10device_ptrItEEEEPS6_SG_NS0_5tupleIJNSA_16discard_iteratorINSA_11use_defaultEEES6_EEENSH_IJSG_SG_EEES6_PlJNSB_9not_fun_tINSB_14equal_to_valueItEEEEEEE10hipError_tPvRmT3_T4_T5_T6_T7_T9_mT8_P12ihipStream_tbDpT10_ENKUlT_T0_E_clISt17integral_constantIbLb0EES1B_EEDaS16_S17_EUlS16_E_NS1_11comp_targetILNS1_3genE3ELNS1_11target_archE908ELNS1_3gpuE7ELNS1_3repE0EEENS1_30default_config_static_selectorELNS0_4arch9wavefront6targetE0EEEvT1_
		.amdhsa_group_segment_fixed_size 0
		.amdhsa_private_segment_fixed_size 0
		.amdhsa_kernarg_size 120
		.amdhsa_user_sgpr_count 2
		.amdhsa_user_sgpr_dispatch_ptr 0
		.amdhsa_user_sgpr_queue_ptr 0
		.amdhsa_user_sgpr_kernarg_segment_ptr 1
		.amdhsa_user_sgpr_dispatch_id 0
		.amdhsa_user_sgpr_private_segment_size 0
		.amdhsa_wavefront_size32 1
		.amdhsa_uses_dynamic_stack 0
		.amdhsa_enable_private_segment 0
		.amdhsa_system_sgpr_workgroup_id_x 1
		.amdhsa_system_sgpr_workgroup_id_y 0
		.amdhsa_system_sgpr_workgroup_id_z 0
		.amdhsa_system_sgpr_workgroup_info 0
		.amdhsa_system_vgpr_workitem_id 0
		.amdhsa_next_free_vgpr 1
		.amdhsa_next_free_sgpr 1
		.amdhsa_reserve_vcc 0
		.amdhsa_float_round_mode_32 0
		.amdhsa_float_round_mode_16_64 0
		.amdhsa_float_denorm_mode_32 3
		.amdhsa_float_denorm_mode_16_64 3
		.amdhsa_fp16_overflow 0
		.amdhsa_workgroup_processor_mode 1
		.amdhsa_memory_ordered 1
		.amdhsa_forward_progress 1
		.amdhsa_inst_pref_size 0
		.amdhsa_round_robin_scheduling 0
		.amdhsa_exception_fp_ieee_invalid_op 0
		.amdhsa_exception_fp_denorm_src 0
		.amdhsa_exception_fp_ieee_div_zero 0
		.amdhsa_exception_fp_ieee_overflow 0
		.amdhsa_exception_fp_ieee_underflow 0
		.amdhsa_exception_fp_ieee_inexact 0
		.amdhsa_exception_int_div_zero 0
	.end_amdhsa_kernel
	.section	.text._ZN7rocprim17ROCPRIM_400000_NS6detail17trampoline_kernelINS0_14default_configENS1_25partition_config_selectorILNS1_17partition_subalgoE6EtNS0_10empty_typeEbEEZZNS1_14partition_implILS5_6ELb0ES3_mN6thrust23THRUST_200600_302600_NS6detail15normal_iteratorINSA_10device_ptrItEEEEPS6_SG_NS0_5tupleIJNSA_16discard_iteratorINSA_11use_defaultEEES6_EEENSH_IJSG_SG_EEES6_PlJNSB_9not_fun_tINSB_14equal_to_valueItEEEEEEE10hipError_tPvRmT3_T4_T5_T6_T7_T9_mT8_P12ihipStream_tbDpT10_ENKUlT_T0_E_clISt17integral_constantIbLb0EES1B_EEDaS16_S17_EUlS16_E_NS1_11comp_targetILNS1_3genE3ELNS1_11target_archE908ELNS1_3gpuE7ELNS1_3repE0EEENS1_30default_config_static_selectorELNS0_4arch9wavefront6targetE0EEEvT1_,"axG",@progbits,_ZN7rocprim17ROCPRIM_400000_NS6detail17trampoline_kernelINS0_14default_configENS1_25partition_config_selectorILNS1_17partition_subalgoE6EtNS0_10empty_typeEbEEZZNS1_14partition_implILS5_6ELb0ES3_mN6thrust23THRUST_200600_302600_NS6detail15normal_iteratorINSA_10device_ptrItEEEEPS6_SG_NS0_5tupleIJNSA_16discard_iteratorINSA_11use_defaultEEES6_EEENSH_IJSG_SG_EEES6_PlJNSB_9not_fun_tINSB_14equal_to_valueItEEEEEEE10hipError_tPvRmT3_T4_T5_T6_T7_T9_mT8_P12ihipStream_tbDpT10_ENKUlT_T0_E_clISt17integral_constantIbLb0EES1B_EEDaS16_S17_EUlS16_E_NS1_11comp_targetILNS1_3genE3ELNS1_11target_archE908ELNS1_3gpuE7ELNS1_3repE0EEENS1_30default_config_static_selectorELNS0_4arch9wavefront6targetE0EEEvT1_,comdat
.Lfunc_end1696:
	.size	_ZN7rocprim17ROCPRIM_400000_NS6detail17trampoline_kernelINS0_14default_configENS1_25partition_config_selectorILNS1_17partition_subalgoE6EtNS0_10empty_typeEbEEZZNS1_14partition_implILS5_6ELb0ES3_mN6thrust23THRUST_200600_302600_NS6detail15normal_iteratorINSA_10device_ptrItEEEEPS6_SG_NS0_5tupleIJNSA_16discard_iteratorINSA_11use_defaultEEES6_EEENSH_IJSG_SG_EEES6_PlJNSB_9not_fun_tINSB_14equal_to_valueItEEEEEEE10hipError_tPvRmT3_T4_T5_T6_T7_T9_mT8_P12ihipStream_tbDpT10_ENKUlT_T0_E_clISt17integral_constantIbLb0EES1B_EEDaS16_S17_EUlS16_E_NS1_11comp_targetILNS1_3genE3ELNS1_11target_archE908ELNS1_3gpuE7ELNS1_3repE0EEENS1_30default_config_static_selectorELNS0_4arch9wavefront6targetE0EEEvT1_, .Lfunc_end1696-_ZN7rocprim17ROCPRIM_400000_NS6detail17trampoline_kernelINS0_14default_configENS1_25partition_config_selectorILNS1_17partition_subalgoE6EtNS0_10empty_typeEbEEZZNS1_14partition_implILS5_6ELb0ES3_mN6thrust23THRUST_200600_302600_NS6detail15normal_iteratorINSA_10device_ptrItEEEEPS6_SG_NS0_5tupleIJNSA_16discard_iteratorINSA_11use_defaultEEES6_EEENSH_IJSG_SG_EEES6_PlJNSB_9not_fun_tINSB_14equal_to_valueItEEEEEEE10hipError_tPvRmT3_T4_T5_T6_T7_T9_mT8_P12ihipStream_tbDpT10_ENKUlT_T0_E_clISt17integral_constantIbLb0EES1B_EEDaS16_S17_EUlS16_E_NS1_11comp_targetILNS1_3genE3ELNS1_11target_archE908ELNS1_3gpuE7ELNS1_3repE0EEENS1_30default_config_static_selectorELNS0_4arch9wavefront6targetE0EEEvT1_
                                        ; -- End function
	.set _ZN7rocprim17ROCPRIM_400000_NS6detail17trampoline_kernelINS0_14default_configENS1_25partition_config_selectorILNS1_17partition_subalgoE6EtNS0_10empty_typeEbEEZZNS1_14partition_implILS5_6ELb0ES3_mN6thrust23THRUST_200600_302600_NS6detail15normal_iteratorINSA_10device_ptrItEEEEPS6_SG_NS0_5tupleIJNSA_16discard_iteratorINSA_11use_defaultEEES6_EEENSH_IJSG_SG_EEES6_PlJNSB_9not_fun_tINSB_14equal_to_valueItEEEEEEE10hipError_tPvRmT3_T4_T5_T6_T7_T9_mT8_P12ihipStream_tbDpT10_ENKUlT_T0_E_clISt17integral_constantIbLb0EES1B_EEDaS16_S17_EUlS16_E_NS1_11comp_targetILNS1_3genE3ELNS1_11target_archE908ELNS1_3gpuE7ELNS1_3repE0EEENS1_30default_config_static_selectorELNS0_4arch9wavefront6targetE0EEEvT1_.num_vgpr, 0
	.set _ZN7rocprim17ROCPRIM_400000_NS6detail17trampoline_kernelINS0_14default_configENS1_25partition_config_selectorILNS1_17partition_subalgoE6EtNS0_10empty_typeEbEEZZNS1_14partition_implILS5_6ELb0ES3_mN6thrust23THRUST_200600_302600_NS6detail15normal_iteratorINSA_10device_ptrItEEEEPS6_SG_NS0_5tupleIJNSA_16discard_iteratorINSA_11use_defaultEEES6_EEENSH_IJSG_SG_EEES6_PlJNSB_9not_fun_tINSB_14equal_to_valueItEEEEEEE10hipError_tPvRmT3_T4_T5_T6_T7_T9_mT8_P12ihipStream_tbDpT10_ENKUlT_T0_E_clISt17integral_constantIbLb0EES1B_EEDaS16_S17_EUlS16_E_NS1_11comp_targetILNS1_3genE3ELNS1_11target_archE908ELNS1_3gpuE7ELNS1_3repE0EEENS1_30default_config_static_selectorELNS0_4arch9wavefront6targetE0EEEvT1_.num_agpr, 0
	.set _ZN7rocprim17ROCPRIM_400000_NS6detail17trampoline_kernelINS0_14default_configENS1_25partition_config_selectorILNS1_17partition_subalgoE6EtNS0_10empty_typeEbEEZZNS1_14partition_implILS5_6ELb0ES3_mN6thrust23THRUST_200600_302600_NS6detail15normal_iteratorINSA_10device_ptrItEEEEPS6_SG_NS0_5tupleIJNSA_16discard_iteratorINSA_11use_defaultEEES6_EEENSH_IJSG_SG_EEES6_PlJNSB_9not_fun_tINSB_14equal_to_valueItEEEEEEE10hipError_tPvRmT3_T4_T5_T6_T7_T9_mT8_P12ihipStream_tbDpT10_ENKUlT_T0_E_clISt17integral_constantIbLb0EES1B_EEDaS16_S17_EUlS16_E_NS1_11comp_targetILNS1_3genE3ELNS1_11target_archE908ELNS1_3gpuE7ELNS1_3repE0EEENS1_30default_config_static_selectorELNS0_4arch9wavefront6targetE0EEEvT1_.numbered_sgpr, 0
	.set _ZN7rocprim17ROCPRIM_400000_NS6detail17trampoline_kernelINS0_14default_configENS1_25partition_config_selectorILNS1_17partition_subalgoE6EtNS0_10empty_typeEbEEZZNS1_14partition_implILS5_6ELb0ES3_mN6thrust23THRUST_200600_302600_NS6detail15normal_iteratorINSA_10device_ptrItEEEEPS6_SG_NS0_5tupleIJNSA_16discard_iteratorINSA_11use_defaultEEES6_EEENSH_IJSG_SG_EEES6_PlJNSB_9not_fun_tINSB_14equal_to_valueItEEEEEEE10hipError_tPvRmT3_T4_T5_T6_T7_T9_mT8_P12ihipStream_tbDpT10_ENKUlT_T0_E_clISt17integral_constantIbLb0EES1B_EEDaS16_S17_EUlS16_E_NS1_11comp_targetILNS1_3genE3ELNS1_11target_archE908ELNS1_3gpuE7ELNS1_3repE0EEENS1_30default_config_static_selectorELNS0_4arch9wavefront6targetE0EEEvT1_.num_named_barrier, 0
	.set _ZN7rocprim17ROCPRIM_400000_NS6detail17trampoline_kernelINS0_14default_configENS1_25partition_config_selectorILNS1_17partition_subalgoE6EtNS0_10empty_typeEbEEZZNS1_14partition_implILS5_6ELb0ES3_mN6thrust23THRUST_200600_302600_NS6detail15normal_iteratorINSA_10device_ptrItEEEEPS6_SG_NS0_5tupleIJNSA_16discard_iteratorINSA_11use_defaultEEES6_EEENSH_IJSG_SG_EEES6_PlJNSB_9not_fun_tINSB_14equal_to_valueItEEEEEEE10hipError_tPvRmT3_T4_T5_T6_T7_T9_mT8_P12ihipStream_tbDpT10_ENKUlT_T0_E_clISt17integral_constantIbLb0EES1B_EEDaS16_S17_EUlS16_E_NS1_11comp_targetILNS1_3genE3ELNS1_11target_archE908ELNS1_3gpuE7ELNS1_3repE0EEENS1_30default_config_static_selectorELNS0_4arch9wavefront6targetE0EEEvT1_.private_seg_size, 0
	.set _ZN7rocprim17ROCPRIM_400000_NS6detail17trampoline_kernelINS0_14default_configENS1_25partition_config_selectorILNS1_17partition_subalgoE6EtNS0_10empty_typeEbEEZZNS1_14partition_implILS5_6ELb0ES3_mN6thrust23THRUST_200600_302600_NS6detail15normal_iteratorINSA_10device_ptrItEEEEPS6_SG_NS0_5tupleIJNSA_16discard_iteratorINSA_11use_defaultEEES6_EEENSH_IJSG_SG_EEES6_PlJNSB_9not_fun_tINSB_14equal_to_valueItEEEEEEE10hipError_tPvRmT3_T4_T5_T6_T7_T9_mT8_P12ihipStream_tbDpT10_ENKUlT_T0_E_clISt17integral_constantIbLb0EES1B_EEDaS16_S17_EUlS16_E_NS1_11comp_targetILNS1_3genE3ELNS1_11target_archE908ELNS1_3gpuE7ELNS1_3repE0EEENS1_30default_config_static_selectorELNS0_4arch9wavefront6targetE0EEEvT1_.uses_vcc, 0
	.set _ZN7rocprim17ROCPRIM_400000_NS6detail17trampoline_kernelINS0_14default_configENS1_25partition_config_selectorILNS1_17partition_subalgoE6EtNS0_10empty_typeEbEEZZNS1_14partition_implILS5_6ELb0ES3_mN6thrust23THRUST_200600_302600_NS6detail15normal_iteratorINSA_10device_ptrItEEEEPS6_SG_NS0_5tupleIJNSA_16discard_iteratorINSA_11use_defaultEEES6_EEENSH_IJSG_SG_EEES6_PlJNSB_9not_fun_tINSB_14equal_to_valueItEEEEEEE10hipError_tPvRmT3_T4_T5_T6_T7_T9_mT8_P12ihipStream_tbDpT10_ENKUlT_T0_E_clISt17integral_constantIbLb0EES1B_EEDaS16_S17_EUlS16_E_NS1_11comp_targetILNS1_3genE3ELNS1_11target_archE908ELNS1_3gpuE7ELNS1_3repE0EEENS1_30default_config_static_selectorELNS0_4arch9wavefront6targetE0EEEvT1_.uses_flat_scratch, 0
	.set _ZN7rocprim17ROCPRIM_400000_NS6detail17trampoline_kernelINS0_14default_configENS1_25partition_config_selectorILNS1_17partition_subalgoE6EtNS0_10empty_typeEbEEZZNS1_14partition_implILS5_6ELb0ES3_mN6thrust23THRUST_200600_302600_NS6detail15normal_iteratorINSA_10device_ptrItEEEEPS6_SG_NS0_5tupleIJNSA_16discard_iteratorINSA_11use_defaultEEES6_EEENSH_IJSG_SG_EEES6_PlJNSB_9not_fun_tINSB_14equal_to_valueItEEEEEEE10hipError_tPvRmT3_T4_T5_T6_T7_T9_mT8_P12ihipStream_tbDpT10_ENKUlT_T0_E_clISt17integral_constantIbLb0EES1B_EEDaS16_S17_EUlS16_E_NS1_11comp_targetILNS1_3genE3ELNS1_11target_archE908ELNS1_3gpuE7ELNS1_3repE0EEENS1_30default_config_static_selectorELNS0_4arch9wavefront6targetE0EEEvT1_.has_dyn_sized_stack, 0
	.set _ZN7rocprim17ROCPRIM_400000_NS6detail17trampoline_kernelINS0_14default_configENS1_25partition_config_selectorILNS1_17partition_subalgoE6EtNS0_10empty_typeEbEEZZNS1_14partition_implILS5_6ELb0ES3_mN6thrust23THRUST_200600_302600_NS6detail15normal_iteratorINSA_10device_ptrItEEEEPS6_SG_NS0_5tupleIJNSA_16discard_iteratorINSA_11use_defaultEEES6_EEENSH_IJSG_SG_EEES6_PlJNSB_9not_fun_tINSB_14equal_to_valueItEEEEEEE10hipError_tPvRmT3_T4_T5_T6_T7_T9_mT8_P12ihipStream_tbDpT10_ENKUlT_T0_E_clISt17integral_constantIbLb0EES1B_EEDaS16_S17_EUlS16_E_NS1_11comp_targetILNS1_3genE3ELNS1_11target_archE908ELNS1_3gpuE7ELNS1_3repE0EEENS1_30default_config_static_selectorELNS0_4arch9wavefront6targetE0EEEvT1_.has_recursion, 0
	.set _ZN7rocprim17ROCPRIM_400000_NS6detail17trampoline_kernelINS0_14default_configENS1_25partition_config_selectorILNS1_17partition_subalgoE6EtNS0_10empty_typeEbEEZZNS1_14partition_implILS5_6ELb0ES3_mN6thrust23THRUST_200600_302600_NS6detail15normal_iteratorINSA_10device_ptrItEEEEPS6_SG_NS0_5tupleIJNSA_16discard_iteratorINSA_11use_defaultEEES6_EEENSH_IJSG_SG_EEES6_PlJNSB_9not_fun_tINSB_14equal_to_valueItEEEEEEE10hipError_tPvRmT3_T4_T5_T6_T7_T9_mT8_P12ihipStream_tbDpT10_ENKUlT_T0_E_clISt17integral_constantIbLb0EES1B_EEDaS16_S17_EUlS16_E_NS1_11comp_targetILNS1_3genE3ELNS1_11target_archE908ELNS1_3gpuE7ELNS1_3repE0EEENS1_30default_config_static_selectorELNS0_4arch9wavefront6targetE0EEEvT1_.has_indirect_call, 0
	.section	.AMDGPU.csdata,"",@progbits
; Kernel info:
; codeLenInByte = 0
; TotalNumSgprs: 0
; NumVgprs: 0
; ScratchSize: 0
; MemoryBound: 0
; FloatMode: 240
; IeeeMode: 1
; LDSByteSize: 0 bytes/workgroup (compile time only)
; SGPRBlocks: 0
; VGPRBlocks: 0
; NumSGPRsForWavesPerEU: 1
; NumVGPRsForWavesPerEU: 1
; Occupancy: 16
; WaveLimiterHint : 0
; COMPUTE_PGM_RSRC2:SCRATCH_EN: 0
; COMPUTE_PGM_RSRC2:USER_SGPR: 2
; COMPUTE_PGM_RSRC2:TRAP_HANDLER: 0
; COMPUTE_PGM_RSRC2:TGID_X_EN: 1
; COMPUTE_PGM_RSRC2:TGID_Y_EN: 0
; COMPUTE_PGM_RSRC2:TGID_Z_EN: 0
; COMPUTE_PGM_RSRC2:TIDIG_COMP_CNT: 0
	.section	.text._ZN7rocprim17ROCPRIM_400000_NS6detail17trampoline_kernelINS0_14default_configENS1_25partition_config_selectorILNS1_17partition_subalgoE6EtNS0_10empty_typeEbEEZZNS1_14partition_implILS5_6ELb0ES3_mN6thrust23THRUST_200600_302600_NS6detail15normal_iteratorINSA_10device_ptrItEEEEPS6_SG_NS0_5tupleIJNSA_16discard_iteratorINSA_11use_defaultEEES6_EEENSH_IJSG_SG_EEES6_PlJNSB_9not_fun_tINSB_14equal_to_valueItEEEEEEE10hipError_tPvRmT3_T4_T5_T6_T7_T9_mT8_P12ihipStream_tbDpT10_ENKUlT_T0_E_clISt17integral_constantIbLb0EES1B_EEDaS16_S17_EUlS16_E_NS1_11comp_targetILNS1_3genE2ELNS1_11target_archE906ELNS1_3gpuE6ELNS1_3repE0EEENS1_30default_config_static_selectorELNS0_4arch9wavefront6targetE0EEEvT1_,"axG",@progbits,_ZN7rocprim17ROCPRIM_400000_NS6detail17trampoline_kernelINS0_14default_configENS1_25partition_config_selectorILNS1_17partition_subalgoE6EtNS0_10empty_typeEbEEZZNS1_14partition_implILS5_6ELb0ES3_mN6thrust23THRUST_200600_302600_NS6detail15normal_iteratorINSA_10device_ptrItEEEEPS6_SG_NS0_5tupleIJNSA_16discard_iteratorINSA_11use_defaultEEES6_EEENSH_IJSG_SG_EEES6_PlJNSB_9not_fun_tINSB_14equal_to_valueItEEEEEEE10hipError_tPvRmT3_T4_T5_T6_T7_T9_mT8_P12ihipStream_tbDpT10_ENKUlT_T0_E_clISt17integral_constantIbLb0EES1B_EEDaS16_S17_EUlS16_E_NS1_11comp_targetILNS1_3genE2ELNS1_11target_archE906ELNS1_3gpuE6ELNS1_3repE0EEENS1_30default_config_static_selectorELNS0_4arch9wavefront6targetE0EEEvT1_,comdat
	.protected	_ZN7rocprim17ROCPRIM_400000_NS6detail17trampoline_kernelINS0_14default_configENS1_25partition_config_selectorILNS1_17partition_subalgoE6EtNS0_10empty_typeEbEEZZNS1_14partition_implILS5_6ELb0ES3_mN6thrust23THRUST_200600_302600_NS6detail15normal_iteratorINSA_10device_ptrItEEEEPS6_SG_NS0_5tupleIJNSA_16discard_iteratorINSA_11use_defaultEEES6_EEENSH_IJSG_SG_EEES6_PlJNSB_9not_fun_tINSB_14equal_to_valueItEEEEEEE10hipError_tPvRmT3_T4_T5_T6_T7_T9_mT8_P12ihipStream_tbDpT10_ENKUlT_T0_E_clISt17integral_constantIbLb0EES1B_EEDaS16_S17_EUlS16_E_NS1_11comp_targetILNS1_3genE2ELNS1_11target_archE906ELNS1_3gpuE6ELNS1_3repE0EEENS1_30default_config_static_selectorELNS0_4arch9wavefront6targetE0EEEvT1_ ; -- Begin function _ZN7rocprim17ROCPRIM_400000_NS6detail17trampoline_kernelINS0_14default_configENS1_25partition_config_selectorILNS1_17partition_subalgoE6EtNS0_10empty_typeEbEEZZNS1_14partition_implILS5_6ELb0ES3_mN6thrust23THRUST_200600_302600_NS6detail15normal_iteratorINSA_10device_ptrItEEEEPS6_SG_NS0_5tupleIJNSA_16discard_iteratorINSA_11use_defaultEEES6_EEENSH_IJSG_SG_EEES6_PlJNSB_9not_fun_tINSB_14equal_to_valueItEEEEEEE10hipError_tPvRmT3_T4_T5_T6_T7_T9_mT8_P12ihipStream_tbDpT10_ENKUlT_T0_E_clISt17integral_constantIbLb0EES1B_EEDaS16_S17_EUlS16_E_NS1_11comp_targetILNS1_3genE2ELNS1_11target_archE906ELNS1_3gpuE6ELNS1_3repE0EEENS1_30default_config_static_selectorELNS0_4arch9wavefront6targetE0EEEvT1_
	.globl	_ZN7rocprim17ROCPRIM_400000_NS6detail17trampoline_kernelINS0_14default_configENS1_25partition_config_selectorILNS1_17partition_subalgoE6EtNS0_10empty_typeEbEEZZNS1_14partition_implILS5_6ELb0ES3_mN6thrust23THRUST_200600_302600_NS6detail15normal_iteratorINSA_10device_ptrItEEEEPS6_SG_NS0_5tupleIJNSA_16discard_iteratorINSA_11use_defaultEEES6_EEENSH_IJSG_SG_EEES6_PlJNSB_9not_fun_tINSB_14equal_to_valueItEEEEEEE10hipError_tPvRmT3_T4_T5_T6_T7_T9_mT8_P12ihipStream_tbDpT10_ENKUlT_T0_E_clISt17integral_constantIbLb0EES1B_EEDaS16_S17_EUlS16_E_NS1_11comp_targetILNS1_3genE2ELNS1_11target_archE906ELNS1_3gpuE6ELNS1_3repE0EEENS1_30default_config_static_selectorELNS0_4arch9wavefront6targetE0EEEvT1_
	.p2align	8
	.type	_ZN7rocprim17ROCPRIM_400000_NS6detail17trampoline_kernelINS0_14default_configENS1_25partition_config_selectorILNS1_17partition_subalgoE6EtNS0_10empty_typeEbEEZZNS1_14partition_implILS5_6ELb0ES3_mN6thrust23THRUST_200600_302600_NS6detail15normal_iteratorINSA_10device_ptrItEEEEPS6_SG_NS0_5tupleIJNSA_16discard_iteratorINSA_11use_defaultEEES6_EEENSH_IJSG_SG_EEES6_PlJNSB_9not_fun_tINSB_14equal_to_valueItEEEEEEE10hipError_tPvRmT3_T4_T5_T6_T7_T9_mT8_P12ihipStream_tbDpT10_ENKUlT_T0_E_clISt17integral_constantIbLb0EES1B_EEDaS16_S17_EUlS16_E_NS1_11comp_targetILNS1_3genE2ELNS1_11target_archE906ELNS1_3gpuE6ELNS1_3repE0EEENS1_30default_config_static_selectorELNS0_4arch9wavefront6targetE0EEEvT1_,@function
_ZN7rocprim17ROCPRIM_400000_NS6detail17trampoline_kernelINS0_14default_configENS1_25partition_config_selectorILNS1_17partition_subalgoE6EtNS0_10empty_typeEbEEZZNS1_14partition_implILS5_6ELb0ES3_mN6thrust23THRUST_200600_302600_NS6detail15normal_iteratorINSA_10device_ptrItEEEEPS6_SG_NS0_5tupleIJNSA_16discard_iteratorINSA_11use_defaultEEES6_EEENSH_IJSG_SG_EEES6_PlJNSB_9not_fun_tINSB_14equal_to_valueItEEEEEEE10hipError_tPvRmT3_T4_T5_T6_T7_T9_mT8_P12ihipStream_tbDpT10_ENKUlT_T0_E_clISt17integral_constantIbLb0EES1B_EEDaS16_S17_EUlS16_E_NS1_11comp_targetILNS1_3genE2ELNS1_11target_archE906ELNS1_3gpuE6ELNS1_3repE0EEENS1_30default_config_static_selectorELNS0_4arch9wavefront6targetE0EEEvT1_: ; @_ZN7rocprim17ROCPRIM_400000_NS6detail17trampoline_kernelINS0_14default_configENS1_25partition_config_selectorILNS1_17partition_subalgoE6EtNS0_10empty_typeEbEEZZNS1_14partition_implILS5_6ELb0ES3_mN6thrust23THRUST_200600_302600_NS6detail15normal_iteratorINSA_10device_ptrItEEEEPS6_SG_NS0_5tupleIJNSA_16discard_iteratorINSA_11use_defaultEEES6_EEENSH_IJSG_SG_EEES6_PlJNSB_9not_fun_tINSB_14equal_to_valueItEEEEEEE10hipError_tPvRmT3_T4_T5_T6_T7_T9_mT8_P12ihipStream_tbDpT10_ENKUlT_T0_E_clISt17integral_constantIbLb0EES1B_EEDaS16_S17_EUlS16_E_NS1_11comp_targetILNS1_3genE2ELNS1_11target_archE906ELNS1_3gpuE6ELNS1_3repE0EEENS1_30default_config_static_selectorELNS0_4arch9wavefront6targetE0EEEvT1_
; %bb.0:
	.section	.rodata,"a",@progbits
	.p2align	6, 0x0
	.amdhsa_kernel _ZN7rocprim17ROCPRIM_400000_NS6detail17trampoline_kernelINS0_14default_configENS1_25partition_config_selectorILNS1_17partition_subalgoE6EtNS0_10empty_typeEbEEZZNS1_14partition_implILS5_6ELb0ES3_mN6thrust23THRUST_200600_302600_NS6detail15normal_iteratorINSA_10device_ptrItEEEEPS6_SG_NS0_5tupleIJNSA_16discard_iteratorINSA_11use_defaultEEES6_EEENSH_IJSG_SG_EEES6_PlJNSB_9not_fun_tINSB_14equal_to_valueItEEEEEEE10hipError_tPvRmT3_T4_T5_T6_T7_T9_mT8_P12ihipStream_tbDpT10_ENKUlT_T0_E_clISt17integral_constantIbLb0EES1B_EEDaS16_S17_EUlS16_E_NS1_11comp_targetILNS1_3genE2ELNS1_11target_archE906ELNS1_3gpuE6ELNS1_3repE0EEENS1_30default_config_static_selectorELNS0_4arch9wavefront6targetE0EEEvT1_
		.amdhsa_group_segment_fixed_size 0
		.amdhsa_private_segment_fixed_size 0
		.amdhsa_kernarg_size 120
		.amdhsa_user_sgpr_count 2
		.amdhsa_user_sgpr_dispatch_ptr 0
		.amdhsa_user_sgpr_queue_ptr 0
		.amdhsa_user_sgpr_kernarg_segment_ptr 1
		.amdhsa_user_sgpr_dispatch_id 0
		.amdhsa_user_sgpr_private_segment_size 0
		.amdhsa_wavefront_size32 1
		.amdhsa_uses_dynamic_stack 0
		.amdhsa_enable_private_segment 0
		.amdhsa_system_sgpr_workgroup_id_x 1
		.amdhsa_system_sgpr_workgroup_id_y 0
		.amdhsa_system_sgpr_workgroup_id_z 0
		.amdhsa_system_sgpr_workgroup_info 0
		.amdhsa_system_vgpr_workitem_id 0
		.amdhsa_next_free_vgpr 1
		.amdhsa_next_free_sgpr 1
		.amdhsa_reserve_vcc 0
		.amdhsa_float_round_mode_32 0
		.amdhsa_float_round_mode_16_64 0
		.amdhsa_float_denorm_mode_32 3
		.amdhsa_float_denorm_mode_16_64 3
		.amdhsa_fp16_overflow 0
		.amdhsa_workgroup_processor_mode 1
		.amdhsa_memory_ordered 1
		.amdhsa_forward_progress 1
		.amdhsa_inst_pref_size 0
		.amdhsa_round_robin_scheduling 0
		.amdhsa_exception_fp_ieee_invalid_op 0
		.amdhsa_exception_fp_denorm_src 0
		.amdhsa_exception_fp_ieee_div_zero 0
		.amdhsa_exception_fp_ieee_overflow 0
		.amdhsa_exception_fp_ieee_underflow 0
		.amdhsa_exception_fp_ieee_inexact 0
		.amdhsa_exception_int_div_zero 0
	.end_amdhsa_kernel
	.section	.text._ZN7rocprim17ROCPRIM_400000_NS6detail17trampoline_kernelINS0_14default_configENS1_25partition_config_selectorILNS1_17partition_subalgoE6EtNS0_10empty_typeEbEEZZNS1_14partition_implILS5_6ELb0ES3_mN6thrust23THRUST_200600_302600_NS6detail15normal_iteratorINSA_10device_ptrItEEEEPS6_SG_NS0_5tupleIJNSA_16discard_iteratorINSA_11use_defaultEEES6_EEENSH_IJSG_SG_EEES6_PlJNSB_9not_fun_tINSB_14equal_to_valueItEEEEEEE10hipError_tPvRmT3_T4_T5_T6_T7_T9_mT8_P12ihipStream_tbDpT10_ENKUlT_T0_E_clISt17integral_constantIbLb0EES1B_EEDaS16_S17_EUlS16_E_NS1_11comp_targetILNS1_3genE2ELNS1_11target_archE906ELNS1_3gpuE6ELNS1_3repE0EEENS1_30default_config_static_selectorELNS0_4arch9wavefront6targetE0EEEvT1_,"axG",@progbits,_ZN7rocprim17ROCPRIM_400000_NS6detail17trampoline_kernelINS0_14default_configENS1_25partition_config_selectorILNS1_17partition_subalgoE6EtNS0_10empty_typeEbEEZZNS1_14partition_implILS5_6ELb0ES3_mN6thrust23THRUST_200600_302600_NS6detail15normal_iteratorINSA_10device_ptrItEEEEPS6_SG_NS0_5tupleIJNSA_16discard_iteratorINSA_11use_defaultEEES6_EEENSH_IJSG_SG_EEES6_PlJNSB_9not_fun_tINSB_14equal_to_valueItEEEEEEE10hipError_tPvRmT3_T4_T5_T6_T7_T9_mT8_P12ihipStream_tbDpT10_ENKUlT_T0_E_clISt17integral_constantIbLb0EES1B_EEDaS16_S17_EUlS16_E_NS1_11comp_targetILNS1_3genE2ELNS1_11target_archE906ELNS1_3gpuE6ELNS1_3repE0EEENS1_30default_config_static_selectorELNS0_4arch9wavefront6targetE0EEEvT1_,comdat
.Lfunc_end1697:
	.size	_ZN7rocprim17ROCPRIM_400000_NS6detail17trampoline_kernelINS0_14default_configENS1_25partition_config_selectorILNS1_17partition_subalgoE6EtNS0_10empty_typeEbEEZZNS1_14partition_implILS5_6ELb0ES3_mN6thrust23THRUST_200600_302600_NS6detail15normal_iteratorINSA_10device_ptrItEEEEPS6_SG_NS0_5tupleIJNSA_16discard_iteratorINSA_11use_defaultEEES6_EEENSH_IJSG_SG_EEES6_PlJNSB_9not_fun_tINSB_14equal_to_valueItEEEEEEE10hipError_tPvRmT3_T4_T5_T6_T7_T9_mT8_P12ihipStream_tbDpT10_ENKUlT_T0_E_clISt17integral_constantIbLb0EES1B_EEDaS16_S17_EUlS16_E_NS1_11comp_targetILNS1_3genE2ELNS1_11target_archE906ELNS1_3gpuE6ELNS1_3repE0EEENS1_30default_config_static_selectorELNS0_4arch9wavefront6targetE0EEEvT1_, .Lfunc_end1697-_ZN7rocprim17ROCPRIM_400000_NS6detail17trampoline_kernelINS0_14default_configENS1_25partition_config_selectorILNS1_17partition_subalgoE6EtNS0_10empty_typeEbEEZZNS1_14partition_implILS5_6ELb0ES3_mN6thrust23THRUST_200600_302600_NS6detail15normal_iteratorINSA_10device_ptrItEEEEPS6_SG_NS0_5tupleIJNSA_16discard_iteratorINSA_11use_defaultEEES6_EEENSH_IJSG_SG_EEES6_PlJNSB_9not_fun_tINSB_14equal_to_valueItEEEEEEE10hipError_tPvRmT3_T4_T5_T6_T7_T9_mT8_P12ihipStream_tbDpT10_ENKUlT_T0_E_clISt17integral_constantIbLb0EES1B_EEDaS16_S17_EUlS16_E_NS1_11comp_targetILNS1_3genE2ELNS1_11target_archE906ELNS1_3gpuE6ELNS1_3repE0EEENS1_30default_config_static_selectorELNS0_4arch9wavefront6targetE0EEEvT1_
                                        ; -- End function
	.set _ZN7rocprim17ROCPRIM_400000_NS6detail17trampoline_kernelINS0_14default_configENS1_25partition_config_selectorILNS1_17partition_subalgoE6EtNS0_10empty_typeEbEEZZNS1_14partition_implILS5_6ELb0ES3_mN6thrust23THRUST_200600_302600_NS6detail15normal_iteratorINSA_10device_ptrItEEEEPS6_SG_NS0_5tupleIJNSA_16discard_iteratorINSA_11use_defaultEEES6_EEENSH_IJSG_SG_EEES6_PlJNSB_9not_fun_tINSB_14equal_to_valueItEEEEEEE10hipError_tPvRmT3_T4_T5_T6_T7_T9_mT8_P12ihipStream_tbDpT10_ENKUlT_T0_E_clISt17integral_constantIbLb0EES1B_EEDaS16_S17_EUlS16_E_NS1_11comp_targetILNS1_3genE2ELNS1_11target_archE906ELNS1_3gpuE6ELNS1_3repE0EEENS1_30default_config_static_selectorELNS0_4arch9wavefront6targetE0EEEvT1_.num_vgpr, 0
	.set _ZN7rocprim17ROCPRIM_400000_NS6detail17trampoline_kernelINS0_14default_configENS1_25partition_config_selectorILNS1_17partition_subalgoE6EtNS0_10empty_typeEbEEZZNS1_14partition_implILS5_6ELb0ES3_mN6thrust23THRUST_200600_302600_NS6detail15normal_iteratorINSA_10device_ptrItEEEEPS6_SG_NS0_5tupleIJNSA_16discard_iteratorINSA_11use_defaultEEES6_EEENSH_IJSG_SG_EEES6_PlJNSB_9not_fun_tINSB_14equal_to_valueItEEEEEEE10hipError_tPvRmT3_T4_T5_T6_T7_T9_mT8_P12ihipStream_tbDpT10_ENKUlT_T0_E_clISt17integral_constantIbLb0EES1B_EEDaS16_S17_EUlS16_E_NS1_11comp_targetILNS1_3genE2ELNS1_11target_archE906ELNS1_3gpuE6ELNS1_3repE0EEENS1_30default_config_static_selectorELNS0_4arch9wavefront6targetE0EEEvT1_.num_agpr, 0
	.set _ZN7rocprim17ROCPRIM_400000_NS6detail17trampoline_kernelINS0_14default_configENS1_25partition_config_selectorILNS1_17partition_subalgoE6EtNS0_10empty_typeEbEEZZNS1_14partition_implILS5_6ELb0ES3_mN6thrust23THRUST_200600_302600_NS6detail15normal_iteratorINSA_10device_ptrItEEEEPS6_SG_NS0_5tupleIJNSA_16discard_iteratorINSA_11use_defaultEEES6_EEENSH_IJSG_SG_EEES6_PlJNSB_9not_fun_tINSB_14equal_to_valueItEEEEEEE10hipError_tPvRmT3_T4_T5_T6_T7_T9_mT8_P12ihipStream_tbDpT10_ENKUlT_T0_E_clISt17integral_constantIbLb0EES1B_EEDaS16_S17_EUlS16_E_NS1_11comp_targetILNS1_3genE2ELNS1_11target_archE906ELNS1_3gpuE6ELNS1_3repE0EEENS1_30default_config_static_selectorELNS0_4arch9wavefront6targetE0EEEvT1_.numbered_sgpr, 0
	.set _ZN7rocprim17ROCPRIM_400000_NS6detail17trampoline_kernelINS0_14default_configENS1_25partition_config_selectorILNS1_17partition_subalgoE6EtNS0_10empty_typeEbEEZZNS1_14partition_implILS5_6ELb0ES3_mN6thrust23THRUST_200600_302600_NS6detail15normal_iteratorINSA_10device_ptrItEEEEPS6_SG_NS0_5tupleIJNSA_16discard_iteratorINSA_11use_defaultEEES6_EEENSH_IJSG_SG_EEES6_PlJNSB_9not_fun_tINSB_14equal_to_valueItEEEEEEE10hipError_tPvRmT3_T4_T5_T6_T7_T9_mT8_P12ihipStream_tbDpT10_ENKUlT_T0_E_clISt17integral_constantIbLb0EES1B_EEDaS16_S17_EUlS16_E_NS1_11comp_targetILNS1_3genE2ELNS1_11target_archE906ELNS1_3gpuE6ELNS1_3repE0EEENS1_30default_config_static_selectorELNS0_4arch9wavefront6targetE0EEEvT1_.num_named_barrier, 0
	.set _ZN7rocprim17ROCPRIM_400000_NS6detail17trampoline_kernelINS0_14default_configENS1_25partition_config_selectorILNS1_17partition_subalgoE6EtNS0_10empty_typeEbEEZZNS1_14partition_implILS5_6ELb0ES3_mN6thrust23THRUST_200600_302600_NS6detail15normal_iteratorINSA_10device_ptrItEEEEPS6_SG_NS0_5tupleIJNSA_16discard_iteratorINSA_11use_defaultEEES6_EEENSH_IJSG_SG_EEES6_PlJNSB_9not_fun_tINSB_14equal_to_valueItEEEEEEE10hipError_tPvRmT3_T4_T5_T6_T7_T9_mT8_P12ihipStream_tbDpT10_ENKUlT_T0_E_clISt17integral_constantIbLb0EES1B_EEDaS16_S17_EUlS16_E_NS1_11comp_targetILNS1_3genE2ELNS1_11target_archE906ELNS1_3gpuE6ELNS1_3repE0EEENS1_30default_config_static_selectorELNS0_4arch9wavefront6targetE0EEEvT1_.private_seg_size, 0
	.set _ZN7rocprim17ROCPRIM_400000_NS6detail17trampoline_kernelINS0_14default_configENS1_25partition_config_selectorILNS1_17partition_subalgoE6EtNS0_10empty_typeEbEEZZNS1_14partition_implILS5_6ELb0ES3_mN6thrust23THRUST_200600_302600_NS6detail15normal_iteratorINSA_10device_ptrItEEEEPS6_SG_NS0_5tupleIJNSA_16discard_iteratorINSA_11use_defaultEEES6_EEENSH_IJSG_SG_EEES6_PlJNSB_9not_fun_tINSB_14equal_to_valueItEEEEEEE10hipError_tPvRmT3_T4_T5_T6_T7_T9_mT8_P12ihipStream_tbDpT10_ENKUlT_T0_E_clISt17integral_constantIbLb0EES1B_EEDaS16_S17_EUlS16_E_NS1_11comp_targetILNS1_3genE2ELNS1_11target_archE906ELNS1_3gpuE6ELNS1_3repE0EEENS1_30default_config_static_selectorELNS0_4arch9wavefront6targetE0EEEvT1_.uses_vcc, 0
	.set _ZN7rocprim17ROCPRIM_400000_NS6detail17trampoline_kernelINS0_14default_configENS1_25partition_config_selectorILNS1_17partition_subalgoE6EtNS0_10empty_typeEbEEZZNS1_14partition_implILS5_6ELb0ES3_mN6thrust23THRUST_200600_302600_NS6detail15normal_iteratorINSA_10device_ptrItEEEEPS6_SG_NS0_5tupleIJNSA_16discard_iteratorINSA_11use_defaultEEES6_EEENSH_IJSG_SG_EEES6_PlJNSB_9not_fun_tINSB_14equal_to_valueItEEEEEEE10hipError_tPvRmT3_T4_T5_T6_T7_T9_mT8_P12ihipStream_tbDpT10_ENKUlT_T0_E_clISt17integral_constantIbLb0EES1B_EEDaS16_S17_EUlS16_E_NS1_11comp_targetILNS1_3genE2ELNS1_11target_archE906ELNS1_3gpuE6ELNS1_3repE0EEENS1_30default_config_static_selectorELNS0_4arch9wavefront6targetE0EEEvT1_.uses_flat_scratch, 0
	.set _ZN7rocprim17ROCPRIM_400000_NS6detail17trampoline_kernelINS0_14default_configENS1_25partition_config_selectorILNS1_17partition_subalgoE6EtNS0_10empty_typeEbEEZZNS1_14partition_implILS5_6ELb0ES3_mN6thrust23THRUST_200600_302600_NS6detail15normal_iteratorINSA_10device_ptrItEEEEPS6_SG_NS0_5tupleIJNSA_16discard_iteratorINSA_11use_defaultEEES6_EEENSH_IJSG_SG_EEES6_PlJNSB_9not_fun_tINSB_14equal_to_valueItEEEEEEE10hipError_tPvRmT3_T4_T5_T6_T7_T9_mT8_P12ihipStream_tbDpT10_ENKUlT_T0_E_clISt17integral_constantIbLb0EES1B_EEDaS16_S17_EUlS16_E_NS1_11comp_targetILNS1_3genE2ELNS1_11target_archE906ELNS1_3gpuE6ELNS1_3repE0EEENS1_30default_config_static_selectorELNS0_4arch9wavefront6targetE0EEEvT1_.has_dyn_sized_stack, 0
	.set _ZN7rocprim17ROCPRIM_400000_NS6detail17trampoline_kernelINS0_14default_configENS1_25partition_config_selectorILNS1_17partition_subalgoE6EtNS0_10empty_typeEbEEZZNS1_14partition_implILS5_6ELb0ES3_mN6thrust23THRUST_200600_302600_NS6detail15normal_iteratorINSA_10device_ptrItEEEEPS6_SG_NS0_5tupleIJNSA_16discard_iteratorINSA_11use_defaultEEES6_EEENSH_IJSG_SG_EEES6_PlJNSB_9not_fun_tINSB_14equal_to_valueItEEEEEEE10hipError_tPvRmT3_T4_T5_T6_T7_T9_mT8_P12ihipStream_tbDpT10_ENKUlT_T0_E_clISt17integral_constantIbLb0EES1B_EEDaS16_S17_EUlS16_E_NS1_11comp_targetILNS1_3genE2ELNS1_11target_archE906ELNS1_3gpuE6ELNS1_3repE0EEENS1_30default_config_static_selectorELNS0_4arch9wavefront6targetE0EEEvT1_.has_recursion, 0
	.set _ZN7rocprim17ROCPRIM_400000_NS6detail17trampoline_kernelINS0_14default_configENS1_25partition_config_selectorILNS1_17partition_subalgoE6EtNS0_10empty_typeEbEEZZNS1_14partition_implILS5_6ELb0ES3_mN6thrust23THRUST_200600_302600_NS6detail15normal_iteratorINSA_10device_ptrItEEEEPS6_SG_NS0_5tupleIJNSA_16discard_iteratorINSA_11use_defaultEEES6_EEENSH_IJSG_SG_EEES6_PlJNSB_9not_fun_tINSB_14equal_to_valueItEEEEEEE10hipError_tPvRmT3_T4_T5_T6_T7_T9_mT8_P12ihipStream_tbDpT10_ENKUlT_T0_E_clISt17integral_constantIbLb0EES1B_EEDaS16_S17_EUlS16_E_NS1_11comp_targetILNS1_3genE2ELNS1_11target_archE906ELNS1_3gpuE6ELNS1_3repE0EEENS1_30default_config_static_selectorELNS0_4arch9wavefront6targetE0EEEvT1_.has_indirect_call, 0
	.section	.AMDGPU.csdata,"",@progbits
; Kernel info:
; codeLenInByte = 0
; TotalNumSgprs: 0
; NumVgprs: 0
; ScratchSize: 0
; MemoryBound: 0
; FloatMode: 240
; IeeeMode: 1
; LDSByteSize: 0 bytes/workgroup (compile time only)
; SGPRBlocks: 0
; VGPRBlocks: 0
; NumSGPRsForWavesPerEU: 1
; NumVGPRsForWavesPerEU: 1
; Occupancy: 16
; WaveLimiterHint : 0
; COMPUTE_PGM_RSRC2:SCRATCH_EN: 0
; COMPUTE_PGM_RSRC2:USER_SGPR: 2
; COMPUTE_PGM_RSRC2:TRAP_HANDLER: 0
; COMPUTE_PGM_RSRC2:TGID_X_EN: 1
; COMPUTE_PGM_RSRC2:TGID_Y_EN: 0
; COMPUTE_PGM_RSRC2:TGID_Z_EN: 0
; COMPUTE_PGM_RSRC2:TIDIG_COMP_CNT: 0
	.section	.text._ZN7rocprim17ROCPRIM_400000_NS6detail17trampoline_kernelINS0_14default_configENS1_25partition_config_selectorILNS1_17partition_subalgoE6EtNS0_10empty_typeEbEEZZNS1_14partition_implILS5_6ELb0ES3_mN6thrust23THRUST_200600_302600_NS6detail15normal_iteratorINSA_10device_ptrItEEEEPS6_SG_NS0_5tupleIJNSA_16discard_iteratorINSA_11use_defaultEEES6_EEENSH_IJSG_SG_EEES6_PlJNSB_9not_fun_tINSB_14equal_to_valueItEEEEEEE10hipError_tPvRmT3_T4_T5_T6_T7_T9_mT8_P12ihipStream_tbDpT10_ENKUlT_T0_E_clISt17integral_constantIbLb0EES1B_EEDaS16_S17_EUlS16_E_NS1_11comp_targetILNS1_3genE10ELNS1_11target_archE1200ELNS1_3gpuE4ELNS1_3repE0EEENS1_30default_config_static_selectorELNS0_4arch9wavefront6targetE0EEEvT1_,"axG",@progbits,_ZN7rocprim17ROCPRIM_400000_NS6detail17trampoline_kernelINS0_14default_configENS1_25partition_config_selectorILNS1_17partition_subalgoE6EtNS0_10empty_typeEbEEZZNS1_14partition_implILS5_6ELb0ES3_mN6thrust23THRUST_200600_302600_NS6detail15normal_iteratorINSA_10device_ptrItEEEEPS6_SG_NS0_5tupleIJNSA_16discard_iteratorINSA_11use_defaultEEES6_EEENSH_IJSG_SG_EEES6_PlJNSB_9not_fun_tINSB_14equal_to_valueItEEEEEEE10hipError_tPvRmT3_T4_T5_T6_T7_T9_mT8_P12ihipStream_tbDpT10_ENKUlT_T0_E_clISt17integral_constantIbLb0EES1B_EEDaS16_S17_EUlS16_E_NS1_11comp_targetILNS1_3genE10ELNS1_11target_archE1200ELNS1_3gpuE4ELNS1_3repE0EEENS1_30default_config_static_selectorELNS0_4arch9wavefront6targetE0EEEvT1_,comdat
	.protected	_ZN7rocprim17ROCPRIM_400000_NS6detail17trampoline_kernelINS0_14default_configENS1_25partition_config_selectorILNS1_17partition_subalgoE6EtNS0_10empty_typeEbEEZZNS1_14partition_implILS5_6ELb0ES3_mN6thrust23THRUST_200600_302600_NS6detail15normal_iteratorINSA_10device_ptrItEEEEPS6_SG_NS0_5tupleIJNSA_16discard_iteratorINSA_11use_defaultEEES6_EEENSH_IJSG_SG_EEES6_PlJNSB_9not_fun_tINSB_14equal_to_valueItEEEEEEE10hipError_tPvRmT3_T4_T5_T6_T7_T9_mT8_P12ihipStream_tbDpT10_ENKUlT_T0_E_clISt17integral_constantIbLb0EES1B_EEDaS16_S17_EUlS16_E_NS1_11comp_targetILNS1_3genE10ELNS1_11target_archE1200ELNS1_3gpuE4ELNS1_3repE0EEENS1_30default_config_static_selectorELNS0_4arch9wavefront6targetE0EEEvT1_ ; -- Begin function _ZN7rocprim17ROCPRIM_400000_NS6detail17trampoline_kernelINS0_14default_configENS1_25partition_config_selectorILNS1_17partition_subalgoE6EtNS0_10empty_typeEbEEZZNS1_14partition_implILS5_6ELb0ES3_mN6thrust23THRUST_200600_302600_NS6detail15normal_iteratorINSA_10device_ptrItEEEEPS6_SG_NS0_5tupleIJNSA_16discard_iteratorINSA_11use_defaultEEES6_EEENSH_IJSG_SG_EEES6_PlJNSB_9not_fun_tINSB_14equal_to_valueItEEEEEEE10hipError_tPvRmT3_T4_T5_T6_T7_T9_mT8_P12ihipStream_tbDpT10_ENKUlT_T0_E_clISt17integral_constantIbLb0EES1B_EEDaS16_S17_EUlS16_E_NS1_11comp_targetILNS1_3genE10ELNS1_11target_archE1200ELNS1_3gpuE4ELNS1_3repE0EEENS1_30default_config_static_selectorELNS0_4arch9wavefront6targetE0EEEvT1_
	.globl	_ZN7rocprim17ROCPRIM_400000_NS6detail17trampoline_kernelINS0_14default_configENS1_25partition_config_selectorILNS1_17partition_subalgoE6EtNS0_10empty_typeEbEEZZNS1_14partition_implILS5_6ELb0ES3_mN6thrust23THRUST_200600_302600_NS6detail15normal_iteratorINSA_10device_ptrItEEEEPS6_SG_NS0_5tupleIJNSA_16discard_iteratorINSA_11use_defaultEEES6_EEENSH_IJSG_SG_EEES6_PlJNSB_9not_fun_tINSB_14equal_to_valueItEEEEEEE10hipError_tPvRmT3_T4_T5_T6_T7_T9_mT8_P12ihipStream_tbDpT10_ENKUlT_T0_E_clISt17integral_constantIbLb0EES1B_EEDaS16_S17_EUlS16_E_NS1_11comp_targetILNS1_3genE10ELNS1_11target_archE1200ELNS1_3gpuE4ELNS1_3repE0EEENS1_30default_config_static_selectorELNS0_4arch9wavefront6targetE0EEEvT1_
	.p2align	8
	.type	_ZN7rocprim17ROCPRIM_400000_NS6detail17trampoline_kernelINS0_14default_configENS1_25partition_config_selectorILNS1_17partition_subalgoE6EtNS0_10empty_typeEbEEZZNS1_14partition_implILS5_6ELb0ES3_mN6thrust23THRUST_200600_302600_NS6detail15normal_iteratorINSA_10device_ptrItEEEEPS6_SG_NS0_5tupleIJNSA_16discard_iteratorINSA_11use_defaultEEES6_EEENSH_IJSG_SG_EEES6_PlJNSB_9not_fun_tINSB_14equal_to_valueItEEEEEEE10hipError_tPvRmT3_T4_T5_T6_T7_T9_mT8_P12ihipStream_tbDpT10_ENKUlT_T0_E_clISt17integral_constantIbLb0EES1B_EEDaS16_S17_EUlS16_E_NS1_11comp_targetILNS1_3genE10ELNS1_11target_archE1200ELNS1_3gpuE4ELNS1_3repE0EEENS1_30default_config_static_selectorELNS0_4arch9wavefront6targetE0EEEvT1_,@function
_ZN7rocprim17ROCPRIM_400000_NS6detail17trampoline_kernelINS0_14default_configENS1_25partition_config_selectorILNS1_17partition_subalgoE6EtNS0_10empty_typeEbEEZZNS1_14partition_implILS5_6ELb0ES3_mN6thrust23THRUST_200600_302600_NS6detail15normal_iteratorINSA_10device_ptrItEEEEPS6_SG_NS0_5tupleIJNSA_16discard_iteratorINSA_11use_defaultEEES6_EEENSH_IJSG_SG_EEES6_PlJNSB_9not_fun_tINSB_14equal_to_valueItEEEEEEE10hipError_tPvRmT3_T4_T5_T6_T7_T9_mT8_P12ihipStream_tbDpT10_ENKUlT_T0_E_clISt17integral_constantIbLb0EES1B_EEDaS16_S17_EUlS16_E_NS1_11comp_targetILNS1_3genE10ELNS1_11target_archE1200ELNS1_3gpuE4ELNS1_3repE0EEENS1_30default_config_static_selectorELNS0_4arch9wavefront6targetE0EEEvT1_: ; @_ZN7rocprim17ROCPRIM_400000_NS6detail17trampoline_kernelINS0_14default_configENS1_25partition_config_selectorILNS1_17partition_subalgoE6EtNS0_10empty_typeEbEEZZNS1_14partition_implILS5_6ELb0ES3_mN6thrust23THRUST_200600_302600_NS6detail15normal_iteratorINSA_10device_ptrItEEEEPS6_SG_NS0_5tupleIJNSA_16discard_iteratorINSA_11use_defaultEEES6_EEENSH_IJSG_SG_EEES6_PlJNSB_9not_fun_tINSB_14equal_to_valueItEEEEEEE10hipError_tPvRmT3_T4_T5_T6_T7_T9_mT8_P12ihipStream_tbDpT10_ENKUlT_T0_E_clISt17integral_constantIbLb0EES1B_EEDaS16_S17_EUlS16_E_NS1_11comp_targetILNS1_3genE10ELNS1_11target_archE1200ELNS1_3gpuE4ELNS1_3repE0EEENS1_30default_config_static_selectorELNS0_4arch9wavefront6targetE0EEEvT1_
; %bb.0:
	v_dual_mov_b32 v1, 0 :: v_dual_lshlrev_b32 v18, 1, v0
	s_clause 0x3
	s_load_b128 s[4:7], s[0:1], 0x8
	s_load_b128 s[20:23], s[0:1], 0x48
	s_load_b32 s10, s[0:1], 0x70
	s_load_b64 s[2:3], s[0:1], 0x58
	s_mul_i32 s12, ttmp9, 0x1b00
	global_load_u16 v17, v1, s[0:1] offset:118
	s_wait_kmcnt 0x0
	s_lshl_b64 s[8:9], s[6:7], 1
	s_load_b64 s[22:23], s[22:23], 0x0
	s_add_nc_u64 s[8:9], s[4:5], s[8:9]
	s_mul_i32 s4, s10, 0x1b00
	s_mov_b32 s5, 0
	s_add_co_i32 s11, s4, s6
	s_add_co_i32 s10, s10, -1
	s_add_nc_u64 s[6:7], s[6:7], s[4:5]
	s_sub_co_i32 s26, s2, s11
	s_cmp_eq_u32 ttmp9, s10
	v_cmp_gt_u64_e64 s2, s[2:3], s[6:7]
	s_cselect_b32 s24, -1, 0
	s_cmp_lg_u32 ttmp9, s10
	s_mov_b32 s13, s5
	s_cselect_b32 s3, -1, 0
	s_mov_b32 s4, -1
	s_wait_alu 0xfffe
	s_or_b32 s11, s3, s2
	s_lshl_b64 s[2:3], s[12:13], 1
	s_and_b32 vcc_lo, exec_lo, s11
	s_wait_alu 0xfffe
	s_add_nc_u64 s[2:3], s[8:9], s[2:3]
	s_cbranch_vccz .LBB1698_2
; %bb.1:
	s_wait_alu 0xfffe
	v_add_co_u32 v1, s4, s2, v18
	s_delay_alu instid0(VALU_DEP_1)
	v_add_co_ci_u32_e64 v2, null, s3, 0, s4
	s_mov_b32 s4, 0
	s_clause 0x11
	flat_load_u16 v3, v[1:2]
	flat_load_u16 v4, v[1:2] offset:768
	flat_load_u16 v5, v[1:2] offset:1536
	;; [unrolled: 1-line block ×17, first 2 shown]
	s_wait_loadcnt_dscnt 0x1111
	ds_store_b16 v18, v3
	s_wait_loadcnt_dscnt 0x1011
	ds_store_b16 v18, v4 offset:768
	s_wait_loadcnt_dscnt 0xf11
	ds_store_b16 v18, v5 offset:1536
	;; [unrolled: 2-line block ×17, first 2 shown]
	s_wait_dscnt 0x0
	s_barrier_signal -1
	s_barrier_wait -1
.LBB1698_2:
	s_wait_alu 0xfffe
	s_and_not1_b32 vcc_lo, exec_lo, s4
	s_addk_co_i32 s26, 0x1b00
	s_cbranch_vccnz .LBB1698_40
; %bb.3:
	v_mov_b32_e32 v1, 0
	s_mov_b32 s4, exec_lo
	s_delay_alu instid0(VALU_DEP_1)
	v_dual_mov_b32 v2, v1 :: v_dual_mov_b32 v3, v1
	v_dual_mov_b32 v4, v1 :: v_dual_mov_b32 v5, v1
	;; [unrolled: 1-line block ×4, first 2 shown]
	v_cmpx_gt_u32_e64 s26, v0
	s_cbranch_execz .LBB1698_5
; %bb.4:
	v_add_co_u32 v3, s5, s2, v18
	s_wait_alu 0xf1ff
	v_add_co_ci_u32_e64 v4, null, s3, 0, s5
	v_mov_b32_e32 v2, v1
	v_dual_mov_b32 v6, v1 :: v_dual_mov_b32 v7, v1
	v_dual_mov_b32 v5, v1 :: v_dual_mov_b32 v8, v1
	v_mov_b32_e32 v9, v1
	flat_load_d16_b16 v2, v[3:4]
	v_dual_mov_b32 v3, v1 :: v_dual_mov_b32 v4, v1
	v_mov_b32_e32 v10, v1
	s_wait_loadcnt_dscnt 0x0
	v_mov_b32_e32 v1, v2
	s_delay_alu instid0(VALU_DEP_3)
	v_mov_b32_e32 v2, v3
	v_mov_b32_e32 v3, v4
	;; [unrolled: 1-line block ×15, first 2 shown]
.LBB1698_5:
	s_wait_alu 0xfffe
	s_or_b32 exec_lo, exec_lo, s4
	v_add_nc_u32_e32 v10, 0x180, v0
	s_mov_b32 s4, exec_lo
	s_delay_alu instid0(VALU_DEP_1)
	v_cmpx_gt_u32_e64 s26, v10
	s_cbranch_execz .LBB1698_7
; %bb.6:
	v_add_co_u32 v10, s5, s2, v18
	s_wait_alu 0xf1ff
	v_add_co_ci_u32_e64 v11, null, s3, 0, s5
	flat_load_d16_hi_b16 v1, v[10:11] offset:768
.LBB1698_7:
	s_wait_alu 0xfffe
	s_or_b32 exec_lo, exec_lo, s4
	v_add_nc_u32_e32 v10, 0x300, v0
	s_mov_b32 s4, exec_lo
	s_delay_alu instid0(VALU_DEP_1)
	v_cmpx_gt_u32_e64 s26, v10
	s_cbranch_execz .LBB1698_9
; %bb.8:
	v_add_co_u32 v10, s5, s2, v18
	s_wait_alu 0xf1ff
	v_add_co_ci_u32_e64 v11, null, s3, 0, s5
	flat_load_d16_b16 v2, v[10:11] offset:1536
.LBB1698_9:
	s_wait_alu 0xfffe
	s_or_b32 exec_lo, exec_lo, s4
	v_add_nc_u32_e32 v10, 0x480, v0
	s_mov_b32 s4, exec_lo
	s_delay_alu instid0(VALU_DEP_1)
	v_cmpx_gt_u32_e64 s26, v10
	s_cbranch_execz .LBB1698_11
; %bb.10:
	v_add_co_u32 v10, s5, s2, v18
	s_wait_alu 0xf1ff
	v_add_co_ci_u32_e64 v11, null, s3, 0, s5
	s_wait_loadcnt_dscnt 0x0
	flat_load_d16_hi_b16 v2, v[10:11] offset:2304
.LBB1698_11:
	s_wait_alu 0xfffe
	s_or_b32 exec_lo, exec_lo, s4
	v_or_b32_e32 v10, 0x600, v0
	s_mov_b32 s4, exec_lo
	s_delay_alu instid0(VALU_DEP_1)
	v_cmpx_gt_u32_e64 s26, v10
	s_cbranch_execz .LBB1698_13
; %bb.12:
	v_add_co_u32 v10, s5, s2, v18
	s_wait_alu 0xf1ff
	v_add_co_ci_u32_e64 v11, null, s3, 0, s5
	flat_load_d16_b16 v3, v[10:11] offset:3072
.LBB1698_13:
	s_wait_alu 0xfffe
	s_or_b32 exec_lo, exec_lo, s4
	v_add_nc_u32_e32 v10, 0x780, v0
	s_mov_b32 s4, exec_lo
	s_delay_alu instid0(VALU_DEP_1)
	v_cmpx_gt_u32_e64 s26, v10
	s_cbranch_execz .LBB1698_15
; %bb.14:
	v_add_co_u32 v10, s5, s2, v18
	s_wait_alu 0xf1ff
	v_add_co_ci_u32_e64 v11, null, s3, 0, s5
	s_wait_loadcnt_dscnt 0x0
	flat_load_d16_hi_b16 v3, v[10:11] offset:3840
.LBB1698_15:
	s_wait_alu 0xfffe
	s_or_b32 exec_lo, exec_lo, s4
	v_add_nc_u32_e32 v10, 0x900, v0
	s_mov_b32 s4, exec_lo
	s_delay_alu instid0(VALU_DEP_1)
	v_cmpx_gt_u32_e64 s26, v10
	s_cbranch_execz .LBB1698_17
; %bb.16:
	v_add_co_u32 v10, s5, s2, v18
	s_wait_alu 0xf1ff
	v_add_co_ci_u32_e64 v11, null, s3, 0, s5
	flat_load_d16_b16 v4, v[10:11] offset:4608
.LBB1698_17:
	s_wait_alu 0xfffe
	s_or_b32 exec_lo, exec_lo, s4
	v_add_nc_u32_e32 v10, 0xa80, v0
	s_mov_b32 s4, exec_lo
	s_delay_alu instid0(VALU_DEP_1)
	v_cmpx_gt_u32_e64 s26, v10
	s_cbranch_execz .LBB1698_19
; %bb.18:
	v_add_co_u32 v10, s5, s2, v18
	s_wait_alu 0xf1ff
	v_add_co_ci_u32_e64 v11, null, s3, 0, s5
	s_wait_loadcnt_dscnt 0x0
	flat_load_d16_hi_b16 v4, v[10:11] offset:5376
.LBB1698_19:
	s_wait_alu 0xfffe
	s_or_b32 exec_lo, exec_lo, s4
	v_or_b32_e32 v10, 0xc00, v0
	s_mov_b32 s4, exec_lo
	s_delay_alu instid0(VALU_DEP_1)
	v_cmpx_gt_u32_e64 s26, v10
	s_cbranch_execz .LBB1698_21
; %bb.20:
	v_add_co_u32 v10, s5, s2, v18
	s_wait_alu 0xf1ff
	v_add_co_ci_u32_e64 v11, null, s3, 0, s5
	flat_load_d16_b16 v5, v[10:11] offset:6144
.LBB1698_21:
	s_wait_alu 0xfffe
	s_or_b32 exec_lo, exec_lo, s4
	v_add_nc_u32_e32 v10, 0xd80, v0
	s_mov_b32 s4, exec_lo
	s_delay_alu instid0(VALU_DEP_1)
	v_cmpx_gt_u32_e64 s26, v10
	s_cbranch_execz .LBB1698_23
; %bb.22:
	v_add_co_u32 v10, s5, s2, v18
	s_wait_alu 0xf1ff
	v_add_co_ci_u32_e64 v11, null, s3, 0, s5
	s_wait_loadcnt_dscnt 0x0
	flat_load_d16_hi_b16 v5, v[10:11] offset:6912
.LBB1698_23:
	;; [unrolled: 54-line block ×4, first 2 shown]
	s_wait_alu 0xfffe
	s_or_b32 exec_lo, exec_lo, s4
	s_wait_loadcnt_dscnt 0x0
	ds_store_b16 v18, v1
	ds_store_b16_d16_hi v18, v1 offset:768
	ds_store_b16 v18, v2 offset:1536
	ds_store_b16_d16_hi v18, v2 offset:2304
	ds_store_b16 v18, v3 offset:3072
	;; [unrolled: 2-line block ×8, first 2 shown]
	ds_store_b16_d16_hi v18, v9 offset:13056
	s_wait_dscnt 0x0
	s_barrier_signal -1
	s_barrier_wait -1
.LBB1698_40:
	v_mul_u32_u24_e32 v5, 18, v0
	s_wait_loadcnt 0x0
	global_inv scope:SCOPE_SE
	s_and_not1_b32 vcc_lo, exec_lo, s11
	v_lshlrev_b32_e32 v6, 1, v5
	ds_load_u16 v25, v6 offset:4
	ds_load_u16 v24, v6 offset:34
	ds_load_b32 v26, v6
	ds_load_b128 v[1:4], v6 offset:6
	ds_load_b96 v[13:15], v6 offset:22
	s_wait_loadcnt_dscnt 0x0
	s_barrier_signal -1
	s_barrier_wait -1
	global_inv scope:SCOPE_SE
	v_cmp_ne_u16_e64 s2, v25, v17
	v_cmp_ne_u16_e64 s25, v24, v17
	;; [unrolled: 1-line block ×3, first 2 shown]
	v_lshrrev_b32_e32 v16, 16, v26
	v_cmp_ne_u16_e64 s8, v1, v17
	v_lshrrev_b32_e32 v12, 16, v1
	v_cmp_ne_u16_e64 s10, v2, v17
	;; [unrolled: 2-line block ×7, first 2 shown]
	v_lshrrev_b32_e32 v6, 16, v15
	s_cbranch_vccnz .LBB1698_42
; %bb.41:
	v_cmp_ne_u16_e32 vcc_lo, v16, v17
	v_cndmask_b32_e64 v20, 0, 1, s8
	v_cndmask_b32_e64 v19, 0, 1, s10
	s_wait_alu 0xf1ff
	v_cndmask_b32_e64 v29, 0, 1, s3
	v_cndmask_b32_e64 v30, 0, 1, s2
	v_cndmask_b32_e64 v18, 0, 1, vcc_lo
	v_lshlrev_b16 v20, 8, v20
	v_cmp_ne_u16_e32 vcc_lo, v12, v17
	v_lshlrev_b16 v19, 8, v19
	v_cndmask_b32_e64 v22, 0, 1, s7
	v_lshlrev_b16 v18, 8, v18
	v_lshrrev_b32_e32 v20, 8, v20
	s_wait_alu 0xfffd
	v_cndmask_b32_e64 v31, 0, 1, vcc_lo
	v_cmp_ne_u16_e32 vcc_lo, v11, v17
	v_lshrrev_b32_e32 v19, 8, v19
	v_lshrrev_b32_e32 v18, 8, v18
	v_lshlrev_b16 v20, 8, v20
	v_cndmask_b32_e64 v23, 0, 1, s6
	v_cndmask_b32_e64 v27, 0, 1, s4
	v_lshlrev_b16 v19, 8, v19
	v_lshlrev_b16 v18, 8, v18
	v_or_b32_e32 v20, v30, v20
	v_lshlrev_b16 v22, 8, v22
	v_lshlrev_b16 v23, 8, v23
	;; [unrolled: 1-line block ×3, first 2 shown]
	v_or_b32_e32 v18, v29, v18
	s_wait_alu 0xfffd
	v_cndmask_b32_e64 v29, 0, 1, vcc_lo
	v_cmp_ne_u16_e32 vcc_lo, v10, v17
	v_or_b32_e32 v19, v31, v19
	v_cndmask_b32_e64 v21, 0, 1, s9
	v_cndmask_b32_e64 v28, 0, 1, s5
	v_lshrrev_b32_e32 v27, 8, v27
	s_wait_alu 0xfffd
	v_cndmask_b32_e64 v30, 0, 1, vcc_lo
	v_cmp_ne_u16_e32 vcc_lo, v9, v17
	v_lshrrev_b32_e32 v22, 8, v22
	v_lshrrev_b32_e32 v23, 8, v23
	v_lshlrev_b16 v21, 8, v21
	v_lshlrev_b16 v28, 8, v28
	s_wait_alu 0xfffd
	v_cndmask_b32_e64 v31, 0, 1, vcc_lo
	v_cmp_ne_u16_e32 vcc_lo, v8, v17
	v_lshlrev_b16 v22, 8, v22
	v_lshlrev_b16 v23, 8, v23
	v_lshlrev_b16 v27, 8, v27
	v_or_b32_e32 v21, v29, v21
	s_wait_alu 0xfffd
	v_cndmask_b32_e64 v32, 0, 1, vcc_lo
	v_cmp_ne_u16_e32 vcc_lo, v7, v17
	v_or_b32_e32 v22, v30, v22
	v_or_b32_e32 v23, v31, v23
	v_and_b32_e32 v18, 0xffff, v18
	v_or_b32_e32 v27, v32, v27
	s_wait_alu 0xfffd
	v_cndmask_b32_e64 v33, 0, 1, vcc_lo
	v_lshlrev_b32_e32 v20, 16, v20
	v_and_b32_e32 v19, 0xffff, v19
	v_lshlrev_b32_e32 v21, 16, v21
	v_and_b32_e32 v22, 0xffff, v22
	v_or_b32_e32 v28, v33, v28
	v_lshlrev_b32_e32 v23, 16, v23
	v_and_b32_e32 v29, 0xffff, v27
	v_cmp_ne_u16_e32 vcc_lo, v6, v17
	v_or_b32_e32 v42, v18, v20
	v_lshlrev_b32_e32 v28, 16, v28
	v_or_b32_e32 v36, v19, v21
	v_or_b32_e32 v30, v22, v23
	s_wait_alu 0xfffd
	v_cndmask_b32_e64 v27, 0, 1, vcc_lo
	v_or_b32_e32 v28, v29, v28
	s_cbranch_execz .LBB1698_43
	s_branch .LBB1698_44
.LBB1698_42:
                                        ; implicit-def: $sgpr25
                                        ; implicit-def: $vgpr27
                                        ; implicit-def: $vgpr28
                                        ; implicit-def: $vgpr30
                                        ; implicit-def: $vgpr36
                                        ; implicit-def: $vgpr42
.LBB1698_43:
	v_or_b32_e32 v18, 1, v5
	v_cmp_ne_u16_e32 vcc_lo, v16, v17
	v_add_nc_u32_e32 v19, 3, v5
	v_add_nc_u32_e32 v16, 2, v5
	v_cmp_ne_u16_e64 s9, v2, v17
	v_cmp_gt_u32_e64 s4, s26, v18
	v_add_nc_u32_e32 v18, 4, v5
	v_cmp_gt_u32_e64 s7, s26, v19
	v_cmp_gt_u32_e64 s6, s26, v16
	v_add_nc_u32_e32 v16, 7, v5
	s_and_b32 s4, s4, vcc_lo
	v_cmp_ne_u16_e32 vcc_lo, v1, v17
	v_cmp_gt_u32_e64 s8, s26, v18
	v_add_nc_u32_e32 v18, 5, v5
	s_wait_alu 0xfffe
	v_cndmask_b32_e64 v20, 0, 1, s4
	v_cmp_ne_u16_e64 s4, v12, v17
	s_and_b32 s7, s7, vcc_lo
	v_cmp_ne_u16_e32 vcc_lo, v3, v17
	s_wait_alu 0xfffe
	v_cndmask_b32_e64 v19, 0, 1, s7
	v_cmp_gt_u32_e64 s7, s26, v16
	v_cmp_gt_u32_e64 s10, s26, v18
	v_lshlrev_b16 v12, 8, v20
	v_add_nc_u32_e32 v18, 6, v5
	v_lshlrev_b16 v16, 8, v19
	s_and_b32 s7, s7, vcc_lo
	v_cmp_ne_u16_e32 vcc_lo, v11, v17
	s_wait_alu 0xfffe
	v_cndmask_b32_e64 v19, 0, 1, s7
	s_and_b32 s7, s10, s9
	v_add_nc_u32_e32 v11, 8, v5
	s_wait_alu 0xfffe
	v_cndmask_b32_e64 v20, 0, 1, s7
	v_cmp_gt_u32_e64 s7, s26, v18
	v_lshlrev_b16 v18, 8, v19
	v_cmp_ne_u16_e64 s9, v10, v17
	v_cmp_gt_u32_e64 s10, s26, v11
	v_lshlrev_b16 v19, 8, v20
	v_add_nc_u32_e32 v10, 9, v5
	v_lshrrev_b32_e32 v11, 8, v18
	v_cmp_ne_u16_e64 s11, v4, v17
	v_cmp_ne_u16_e64 s14, v13, v17
	v_lshrrev_b32_e32 v18, 8, v19
	v_add_nc_u32_e32 v19, 11, v5
	v_cmp_gt_u32_e64 s12, s26, v10
	v_add_nc_u32_e32 v10, 10, v5
	v_cmp_ne_u16_e64 s13, v9, v17
	v_cmp_ne_u16_e64 s17, v15, v17
	v_cmp_gt_u32_e64 s15, s26, v19
	s_and_b32 s11, s12, s11
	v_cmp_ne_u16_e64 s2, v26, v17
	s_wait_alu 0xfffe
	v_cndmask_b32_e64 v9, 0, 1, s11
	v_cmp_gt_u32_e64 s11, s26, v10
	s_and_b32 s12, s15, s14
	v_add_nc_u32_e32 v10, 12, v5
	v_cndmask_b32_e64 v19, 0, 1, s12
	v_cmp_ne_u16_e64 s12, v8, v17
	v_add_nc_u32_e32 v8, 13, v5
	v_cmp_ne_u16_e64 s15, v14, v17
	v_cmp_gt_u32_e64 s14, s26, v10
	v_lshlrev_b16 v10, 8, v19
	v_add_nc_u32_e32 v19, 15, v5
	v_cmp_gt_u32_e64 s16, s26, v8
	v_cmp_gt_u32_e64 s3, s26, v5
	v_cmp_ne_u16_e64 s5, v25, v17
	v_cmp_ne_u16_e64 s19, v7, v17
	v_cmp_gt_u32_e64 s18, s26, v19
	s_and_b32 s15, s16, s15
	v_add_nc_u32_e32 v7, 16, v5
	v_cndmask_b32_e64 v8, 0, 1, s15
	s_and_b32 s2, s3, s2
	s_and_b32 s15, s18, s17
	v_add_nc_u32_e32 v20, 14, v5
	s_wait_alu 0xfffe
	v_cndmask_b32_e64 v19, 0, 1, s15
	v_cmp_ne_u16_e64 s15, v6, v17
	v_lshlrev_b16 v6, 8, v8
	v_lshrrev_b32_e32 v8, 8, v12
	v_lshrrev_b32_e32 v12, 8, v16
	v_cndmask_b32_e64 v16, 0, 1, s2
	s_and_b32 s2, s6, s5
	v_cmp_gt_u32_e64 s16, s26, v7
	v_lshlrev_b16 v7, 8, v19
	s_wait_alu 0xfffe
	v_cndmask_b32_e64 v19, 0, 1, s2
	s_and_b32 s2, s8, s4
	v_cmp_gt_u32_e64 s17, s26, v20
	v_lshlrev_b16 v8, 8, v8
	v_lshlrev_b16 v12, 8, v12
	;; [unrolled: 1-line block ×3, first 2 shown]
	s_wait_alu 0xfffe
	v_cndmask_b32_e64 v20, 0, 1, s2
	v_add_nc_u32_e32 v5, 17, v5
	v_or_b32_e32 v8, v16, v8
	v_or_b32_e32 v12, v19, v12
	v_lshlrev_b16 v9, 8, v9
	v_or_b32_e32 v16, v20, v18
	s_and_b32 s4, s7, vcc_lo
	v_cmp_gt_u32_e64 s2, s26, v5
	v_and_b32_e32 v5, 0xffff, v8
	v_lshlrev_b32_e32 v8, 16, v12
	v_and_b32_e32 v12, 0xffff, v16
	s_wait_alu 0xfffe
	v_cndmask_b32_e64 v16, 0, 1, s4
	s_and_b32 s4, s10, s9
	v_cmp_ne_u16_e64 s3, v24, v17
	s_wait_alu 0xfffe
	v_cndmask_b32_e64 v17, 0, 1, s4
	s_and_b32 s4, s11, s13
	v_lshrrev_b32_e32 v7, 8, v7
	v_lshrrev_b32_e32 v6, 8, v6
	;; [unrolled: 1-line block ×4, first 2 shown]
	s_wait_alu 0xfffe
	v_cndmask_b32_e64 v18, 0, 1, s4
	s_and_b32 s4, s14, s12
	v_lshlrev_b16 v11, 8, v11
	s_wait_alu 0xfffe
	v_cndmask_b32_e64 v19, 0, 1, s4
	s_and_b32 s4, s17, s19
	v_lshlrev_b16 v9, 8, v9
	v_lshlrev_b16 v10, 8, v10
	;; [unrolled: 1-line block ×4, first 2 shown]
	s_wait_alu 0xfffe
	v_cndmask_b32_e64 v20, 0, 1, s4
	v_or_b32_e32 v11, v16, v11
	v_or_b32_e32 v9, v17, v9
	;; [unrolled: 1-line block ×5, first 2 shown]
	v_lshlrev_b32_e32 v11, 16, v11
	v_and_b32_e32 v9, 0xffff, v9
	v_lshlrev_b32_e32 v10, 16, v10
	v_and_b32_e32 v6, 0xffff, v6
	v_lshlrev_b32_e32 v7, 16, v7
	s_and_b32 s15, s16, s15
	s_and_b32 s2, s2, s3
	s_wait_alu 0xfffe
	v_cndmask_b32_e64 v27, 0, 1, s15
	v_or_b32_e32 v42, v5, v8
	v_or_b32_e32 v36, v12, v11
	;; [unrolled: 1-line block ×4, first 2 shown]
	s_and_not1_b32 s3, s25, exec_lo
	s_and_b32 s2, s2, exec_lo
	s_wait_alu 0xfffe
	s_or_b32 s25, s3, s2
.LBB1698_44:
	v_dual_mov_b32 v6, 0 :: v_dual_and_b32 v47, 0xff, v42
	v_bfe_u32 v45, v42, 8, 8
	v_cndmask_b32_e64 v5, 0, 1, s25
	v_bfe_u32 v48, v42, 16, 8
	s_load_b64 s[4:5], s[0:1], 0x68
	v_lshrrev_b32_e32 v46, 24, v42
	v_and_b32_e32 v44, 0xff, v36
	v_add3_u32 v5, v47, v5, v45
	v_bfe_u32 v43, v36, 8, 8
	v_bfe_u32 v41, v36, 16, 8
	v_lshrrev_b32_e32 v40, 24, v36
	v_and_b32_e32 v39, 0xff, v30
	v_add_co_u32 v5, s0, v5, v48
	s_delay_alu instid0(VALU_DEP_1) | instskip(SKIP_1) | instid1(VALU_DEP_3)
	v_add_co_ci_u32_e64 v7, null, 0, 0, s0
	v_bfe_u32 v38, v30, 8, 8
	v_add_co_u32 v5, vcc_lo, v5, v46
	s_wait_alu 0xfffd
	s_delay_alu instid0(VALU_DEP_3) | instskip(SKIP_1) | instid1(VALU_DEP_3)
	v_add_co_ci_u32_e64 v7, null, 0, v7, vcc_lo
	v_bfe_u32 v37, v30, 16, 8
	v_add_co_u32 v5, vcc_lo, v5, v44
	s_wait_alu 0xfffd
	s_delay_alu instid0(VALU_DEP_3) | instskip(SKIP_1) | instid1(VALU_DEP_3)
	v_add_co_ci_u32_e64 v7, null, 0, v7, vcc_lo
	v_lshrrev_b32_e32 v35, 24, v30
	v_add_co_u32 v5, vcc_lo, v5, v43
	s_wait_alu 0xfffd
	s_delay_alu instid0(VALU_DEP_3) | instskip(SKIP_1) | instid1(VALU_DEP_3)
	v_add_co_ci_u32_e64 v7, null, 0, v7, vcc_lo
	v_and_b32_e32 v34, 0xff, v28
	v_add_co_u32 v5, vcc_lo, v5, v41
	s_wait_alu 0xfffd
	s_delay_alu instid0(VALU_DEP_3) | instskip(SKIP_1) | instid1(VALU_DEP_3)
	v_add_co_ci_u32_e64 v7, null, 0, v7, vcc_lo
	v_bfe_u32 v33, v28, 8, 8
	v_add_co_u32 v5, vcc_lo, v5, v40
	s_wait_alu 0xfffd
	s_delay_alu instid0(VALU_DEP_3) | instskip(SKIP_1) | instid1(VALU_DEP_3)
	v_add_co_ci_u32_e64 v7, null, 0, v7, vcc_lo
	v_bfe_u32 v32, v28, 16, 8
	v_add_co_u32 v5, vcc_lo, v5, v39
	s_wait_alu 0xfffd
	s_delay_alu instid0(VALU_DEP_3) | instskip(SKIP_1) | instid1(VALU_DEP_3)
	v_add_co_ci_u32_e64 v7, null, 0, v7, vcc_lo
	v_lshrrev_b32_e32 v31, 24, v28
	v_add_co_u32 v5, vcc_lo, v5, v38
	s_wait_alu 0xfffd
	s_delay_alu instid0(VALU_DEP_3) | instskip(SKIP_1) | instid1(VALU_DEP_3)
	v_add_co_ci_u32_e64 v7, null, 0, v7, vcc_lo
	v_mbcnt_lo_u32_b32 v49, -1, 0
	v_add_co_u32 v5, vcc_lo, v5, v37
	s_wait_alu 0xfffd
	s_delay_alu instid0(VALU_DEP_3) | instskip(SKIP_1) | instid1(VALU_DEP_3)
	v_add_co_ci_u32_e64 v7, null, 0, v7, vcc_lo
	v_and_b32_e32 v29, 0xff, v27
	v_add_co_u32 v5, vcc_lo, v5, v35
	s_wait_alu 0xfffd
	s_delay_alu instid0(VALU_DEP_3) | instskip(SKIP_1) | instid1(VALU_DEP_3)
	v_add_co_ci_u32_e64 v7, null, 0, v7, vcc_lo
	v_and_b32_e32 v50, 15, v49
	v_add_co_u32 v5, vcc_lo, v5, v34
	s_wait_alu 0xfffd
	s_delay_alu instid0(VALU_DEP_3) | instskip(NEXT) | instid1(VALU_DEP_3)
	v_add_co_ci_u32_e64 v7, null, 0, v7, vcc_lo
	v_cmp_ne_u32_e64 s0, 0, v50
	s_delay_alu instid0(VALU_DEP_3) | instskip(SKIP_1) | instid1(VALU_DEP_3)
	v_add_co_u32 v5, vcc_lo, v5, v33
	s_wait_alu 0xfffd
	v_add_co_ci_u32_e64 v7, null, 0, v7, vcc_lo
	s_cmp_lg_u32 ttmp9, 0
	v_add_co_u32 v5, vcc_lo, v5, v32
	s_wait_alu 0xfffd
	v_add_co_ci_u32_e64 v7, null, 0, v7, vcc_lo
	s_mov_b32 s1, -1
	v_add_co_u32 v5, vcc_lo, v5, v31
	s_wait_alu 0xfffd
	v_add_co_ci_u32_e64 v7, null, 0, v7, vcc_lo
	s_delay_alu instid0(VALU_DEP_2) | instskip(SKIP_1) | instid1(VALU_DEP_2)
	v_add_co_u32 v16, vcc_lo, v5, v29
	s_wait_alu 0xfffd
	v_add_co_ci_u32_e64 v17, null, 0, v7, vcc_lo
	s_cbranch_scc0 .LBB1698_103
; %bb.45:
	v_mov_b32_e32 v7, v16
	v_mov_b32_dpp v5, v16 row_shr:1 row_mask:0xf bank_mask:0xf
	v_mov_b32_dpp v10, v6 row_shr:1 row_mask:0xf bank_mask:0xf
	v_dual_mov_b32 v9, v16 :: v_dual_mov_b32 v8, v17
	s_and_saveexec_b32 s1, s0
; %bb.46:
	s_delay_alu instid0(VALU_DEP_3) | instskip(SKIP_2) | instid1(VALU_DEP_2)
	v_add_co_u32 v9, vcc_lo, v16, v5
	s_wait_alu 0xfffd
	v_add_co_ci_u32_e64 v6, null, 0, v17, vcc_lo
	v_add_co_u32 v5, vcc_lo, 0, v9
	s_wait_alu 0xfffd
	s_delay_alu instid0(VALU_DEP_2) | instskip(NEXT) | instid1(VALU_DEP_1)
	v_add_co_ci_u32_e64 v6, null, v10, v6, vcc_lo
	v_dual_mov_b32 v8, v6 :: v_dual_mov_b32 v7, v5
; %bb.47:
	s_wait_alu 0xfffe
	s_or_b32 exec_lo, exec_lo, s1
	v_mov_b32_dpp v5, v9 row_shr:2 row_mask:0xf bank_mask:0xf
	v_mov_b32_dpp v10, v6 row_shr:2 row_mask:0xf bank_mask:0xf
	v_cmp_lt_u32_e32 vcc_lo, 1, v50
	s_and_saveexec_b32 s2, vcc_lo
; %bb.48:
	s_delay_alu instid0(VALU_DEP_3) | instskip(SKIP_2) | instid1(VALU_DEP_2)
	v_add_co_u32 v9, s1, v7, v5
	s_wait_alu 0xf1ff
	v_add_co_ci_u32_e64 v6, null, 0, v8, s1
	v_add_co_u32 v5, s1, 0, v9
	s_wait_alu 0xf1ff
	s_delay_alu instid0(VALU_DEP_2) | instskip(NEXT) | instid1(VALU_DEP_1)
	v_add_co_ci_u32_e64 v6, null, v10, v6, s1
	v_dual_mov_b32 v8, v6 :: v_dual_mov_b32 v7, v5
; %bb.49:
	s_wait_alu 0xfffe
	s_or_b32 exec_lo, exec_lo, s2
	v_mov_b32_dpp v5, v9 row_shr:4 row_mask:0xf bank_mask:0xf
	v_mov_b32_dpp v10, v6 row_shr:4 row_mask:0xf bank_mask:0xf
	v_cmp_lt_u32_e64 s1, 3, v50
	s_and_saveexec_b32 s3, s1
; %bb.50:
	v_add_co_u32 v9, s2, v7, v5
	s_wait_alu 0xf1ff
	v_add_co_ci_u32_e64 v6, null, 0, v8, s2
	s_delay_alu instid0(VALU_DEP_2) | instskip(SKIP_1) | instid1(VALU_DEP_2)
	v_add_co_u32 v5, s2, 0, v9
	s_wait_alu 0xf1ff
	v_add_co_ci_u32_e64 v6, null, v10, v6, s2
	s_delay_alu instid0(VALU_DEP_1)
	v_dual_mov_b32 v8, v6 :: v_dual_mov_b32 v7, v5
; %bb.51:
	s_wait_alu 0xfffe
	s_or_b32 exec_lo, exec_lo, s3
	v_mov_b32_dpp v10, v9 row_shr:8 row_mask:0xf bank_mask:0xf
	v_mov_b32_dpp v5, v6 row_shr:8 row_mask:0xf bank_mask:0xf
	v_cmp_lt_u32_e64 s2, 7, v50
	s_and_saveexec_b32 s6, s2
; %bb.52:
	v_add_co_u32 v9, s3, v7, v10
	s_wait_alu 0xf1ff
	v_add_co_ci_u32_e64 v6, null, 0, v8, s3
	s_delay_alu instid0(VALU_DEP_2) | instskip(SKIP_1) | instid1(VALU_DEP_2)
	v_add_co_u32 v7, s3, 0, v9
	s_wait_alu 0xf1ff
	v_add_co_ci_u32_e64 v8, null, v5, v6, s3
	s_delay_alu instid0(VALU_DEP_1)
	v_mov_b32_e32 v6, v8
; %bb.53:
	s_wait_alu 0xfffe
	s_or_b32 exec_lo, exec_lo, s6
	ds_swizzle_b32 v10, v9 offset:swizzle(BROADCAST,32,15)
	ds_swizzle_b32 v5, v6 offset:swizzle(BROADCAST,32,15)
	v_and_b32_e32 v6, 16, v49
	s_mov_b32 s6, exec_lo
	s_delay_alu instid0(VALU_DEP_1)
	v_cmpx_ne_u32_e32 0, v6
	s_cbranch_execz .LBB1698_55
; %bb.54:
	s_wait_dscnt 0x1
	v_add_co_u32 v9, s3, v7, v10
	s_wait_alu 0xf1ff
	v_add_co_ci_u32_e64 v6, null, 0, v8, s3
	s_delay_alu instid0(VALU_DEP_2) | instskip(SKIP_2) | instid1(VALU_DEP_2)
	v_add_co_u32 v7, s3, 0, v9
	s_wait_dscnt 0x0
	s_wait_alu 0xf1ff
	v_add_co_ci_u32_e64 v8, null, v5, v6, s3
.LBB1698_55:
	s_wait_alu 0xfffe
	s_or_b32 exec_lo, exec_lo, s6
	s_wait_dscnt 0x0
	v_and_b32_e32 v5, 0x1e0, v0
	v_lshrrev_b32_e32 v10, 5, v0
	s_mov_b32 s6, exec_lo
	s_delay_alu instid0(VALU_DEP_2) | instskip(NEXT) | instid1(VALU_DEP_1)
	v_min_u32_e32 v5, 0x160, v5
	v_or_b32_e32 v5, 31, v5
	s_delay_alu instid0(VALU_DEP_1)
	v_cmpx_eq_u32_e64 v0, v5
; %bb.56:
	v_lshlrev_b32_e32 v5, 3, v10
	ds_store_b64 v5, v[7:8]
; %bb.57:
	s_wait_alu 0xfffe
	s_or_b32 exec_lo, exec_lo, s6
	s_delay_alu instid0(SALU_CYCLE_1)
	s_mov_b32 s6, exec_lo
	s_wait_loadcnt_dscnt 0x0
	s_barrier_signal -1
	s_barrier_wait -1
	global_inv scope:SCOPE_SE
	v_cmpx_gt_u32_e32 12, v0
	s_cbranch_execz .LBB1698_67
; %bb.58:
	v_lshlrev_b32_e32 v7, 3, v0
	ds_load_b64 v[5:6], v7
	s_wait_dscnt 0x0
	v_mov_b32_dpp v12, v5 row_shr:1 row_mask:0xf bank_mask:0xf
	v_mov_b32_dpp v11, v6 row_shr:1 row_mask:0xf bank_mask:0xf
	v_mov_b32_e32 v8, v5
	s_and_saveexec_b32 s7, s0
; %bb.59:
	s_delay_alu instid0(VALU_DEP_3) | instskip(SKIP_2) | instid1(VALU_DEP_2)
	v_add_co_u32 v8, s3, v5, v12
	s_wait_alu 0xf1ff
	v_add_co_ci_u32_e64 v6, null, 0, v6, s3
	v_add_co_u32 v5, s3, 0, v8
	s_wait_alu 0xf1ff
	s_delay_alu instid0(VALU_DEP_2)
	v_add_co_ci_u32_e64 v6, null, v11, v6, s3
; %bb.60:
	s_wait_alu 0xfffe
	s_or_b32 exec_lo, exec_lo, s7
	v_mov_b32_dpp v12, v8 row_shr:2 row_mask:0xf bank_mask:0xf
	s_delay_alu instid0(VALU_DEP_2)
	v_mov_b32_dpp v11, v6 row_shr:2 row_mask:0xf bank_mask:0xf
	s_and_saveexec_b32 s3, vcc_lo
; %bb.61:
	s_delay_alu instid0(VALU_DEP_2) | instskip(SKIP_2) | instid1(VALU_DEP_2)
	v_add_co_u32 v8, vcc_lo, v5, v12
	s_wait_alu 0xfffd
	v_add_co_ci_u32_e64 v6, null, 0, v6, vcc_lo
	v_add_co_u32 v5, vcc_lo, 0, v8
	s_wait_alu 0xfffd
	s_delay_alu instid0(VALU_DEP_2)
	v_add_co_ci_u32_e64 v6, null, v11, v6, vcc_lo
; %bb.62:
	s_wait_alu 0xfffe
	s_or_b32 exec_lo, exec_lo, s3
	v_mov_b32_dpp v12, v8 row_shr:4 row_mask:0xf bank_mask:0xf
	s_delay_alu instid0(VALU_DEP_2)
	v_mov_b32_dpp v11, v6 row_shr:4 row_mask:0xf bank_mask:0xf
	s_and_saveexec_b32 s3, s1
; %bb.63:
	s_delay_alu instid0(VALU_DEP_2) | instskip(SKIP_2) | instid1(VALU_DEP_2)
	v_add_co_u32 v8, vcc_lo, v5, v12
	s_wait_alu 0xfffd
	v_add_co_ci_u32_e64 v6, null, 0, v6, vcc_lo
	v_add_co_u32 v5, vcc_lo, 0, v8
	s_wait_alu 0xfffd
	s_delay_alu instid0(VALU_DEP_2)
	v_add_co_ci_u32_e64 v6, null, v11, v6, vcc_lo
; %bb.64:
	s_wait_alu 0xfffe
	s_or_b32 exec_lo, exec_lo, s3
	v_mov_b32_dpp v11, v8 row_shr:8 row_mask:0xf bank_mask:0xf
	s_delay_alu instid0(VALU_DEP_2)
	v_mov_b32_dpp v8, v6 row_shr:8 row_mask:0xf bank_mask:0xf
	s_and_saveexec_b32 s1, s2
; %bb.65:
	s_delay_alu instid0(VALU_DEP_2) | instskip(SKIP_2) | instid1(VALU_DEP_2)
	v_add_co_u32 v5, vcc_lo, v5, v11
	s_wait_alu 0xfffd
	v_add_co_ci_u32_e64 v6, null, 0, v6, vcc_lo
	v_add_co_u32 v5, vcc_lo, v5, 0
	s_wait_alu 0xfffd
	s_delay_alu instid0(VALU_DEP_2)
	v_add_co_ci_u32_e64 v6, null, v6, v8, vcc_lo
; %bb.66:
	s_wait_alu 0xfffe
	s_or_b32 exec_lo, exec_lo, s1
	ds_store_b64 v7, v[5:6]
.LBB1698_67:
	s_wait_alu 0xfffe
	s_or_b32 exec_lo, exec_lo, s6
	s_delay_alu instid0(SALU_CYCLE_1)
	s_mov_b32 s2, exec_lo
	v_cmp_gt_u32_e32 vcc_lo, 32, v0
	s_wait_loadcnt_dscnt 0x0
	s_barrier_signal -1
	s_barrier_wait -1
	global_inv scope:SCOPE_SE
                                        ; implicit-def: $vgpr18_vgpr19
	v_cmpx_lt_u32_e32 31, v0
	s_cbranch_execz .LBB1698_69
; %bb.68:
	v_lshl_add_u32 v5, v10, 3, -8
	ds_load_b64 v[18:19], v5
	s_wait_dscnt 0x0
	v_add_nc_u32_e32 v9, v9, v18
.LBB1698_69:
	s_wait_alu 0xfffe
	s_or_b32 exec_lo, exec_lo, s2
	v_sub_co_u32 v5, s1, v49, 1
	s_delay_alu instid0(VALU_DEP_1) | instskip(SKIP_1) | instid1(VALU_DEP_1)
	v_cmp_gt_i32_e64 s2, 0, v5
	s_wait_alu 0xf1ff
	v_cndmask_b32_e64 v5, v5, v49, s2
	s_delay_alu instid0(VALU_DEP_1)
	v_lshlrev_b32_e32 v5, 2, v5
	ds_bpermute_b32 v51, v5, v9
	s_and_saveexec_b32 s2, vcc_lo
	s_cbranch_execz .LBB1698_108
; %bb.70:
	v_mov_b32_e32 v8, 0
	ds_load_b64 v[5:6], v8 offset:88
	s_and_saveexec_b32 s3, s1
	s_cbranch_execz .LBB1698_72
; %bb.71:
	s_add_co_i32 s6, ttmp9, 32
	s_mov_b32 s7, 0
	s_wait_alu 0xfffe
	s_lshl_b64 s[6:7], s[6:7], 4
	s_wait_kmcnt 0x0
	s_wait_alu 0xfffe
	s_add_nc_u64 s[6:7], s[4:5], s[6:7]
	s_wait_alu 0xfffe
	v_dual_mov_b32 v7, 1 :: v_dual_mov_b32 v10, s7
	v_mov_b32_e32 v9, s6
	s_wait_dscnt 0x0
	;;#ASMSTART
	global_store_b128 v[9:10], v[5:8] off scope:SCOPE_DEV	
s_wait_storecnt 0x0
	;;#ASMEND
.LBB1698_72:
	s_wait_alu 0xfffe
	s_or_b32 exec_lo, exec_lo, s3
	v_xad_u32 v20, v49, -1, ttmp9
	s_mov_b32 s6, 0
	s_mov_b32 s3, exec_lo
	s_delay_alu instid0(VALU_DEP_1) | instskip(NEXT) | instid1(VALU_DEP_1)
	v_add_nc_u32_e32 v7, 32, v20
	v_lshlrev_b64_e32 v[7:8], 4, v[7:8]
	s_wait_kmcnt 0x0
	s_delay_alu instid0(VALU_DEP_1) | instskip(SKIP_1) | instid1(VALU_DEP_2)
	v_add_co_u32 v7, vcc_lo, s4, v7
	s_wait_alu 0xfffd
	v_add_co_ci_u32_e64 v8, null, s5, v8, vcc_lo
	;;#ASMSTART
	global_load_b128 v[9:12], v[7:8] off scope:SCOPE_DEV	
s_wait_loadcnt 0x0
	;;#ASMEND
	v_and_b32_e32 v12, 0xff, v11
	s_delay_alu instid0(VALU_DEP_1)
	v_cmpx_eq_u16_e32 0, v12
	s_cbranch_execz .LBB1698_75
.LBB1698_73:                            ; =>This Inner Loop Header: Depth=1
	;;#ASMSTART
	global_load_b128 v[9:12], v[7:8] off scope:SCOPE_DEV	
s_wait_loadcnt 0x0
	;;#ASMEND
	v_and_b32_e32 v12, 0xff, v11
	s_delay_alu instid0(VALU_DEP_1)
	v_cmp_ne_u16_e32 vcc_lo, 0, v12
	s_wait_alu 0xfffe
	s_or_b32 s6, vcc_lo, s6
	s_wait_alu 0xfffe
	s_and_not1_b32 exec_lo, exec_lo, s6
	s_cbranch_execnz .LBB1698_73
; %bb.74:
	s_or_b32 exec_lo, exec_lo, s6
.LBB1698_75:
	s_wait_alu 0xfffe
	s_or_b32 exec_lo, exec_lo, s3
	v_cmp_ne_u32_e32 vcc_lo, 31, v49
	v_and_b32_e32 v8, 0xff, v11
	v_lshlrev_b32_e64 v53, v49, -1
	s_mov_b32 s3, exec_lo
	s_wait_alu 0xfffd
	v_add_co_ci_u32_e64 v7, null, 0, v49, vcc_lo
	v_cmp_eq_u16_e32 vcc_lo, 2, v8
	v_mov_b32_e32 v8, v9
	s_delay_alu instid0(VALU_DEP_3)
	v_lshlrev_b32_e32 v52, 2, v7
	s_wait_alu 0xfffd
	v_and_or_b32 v7, vcc_lo, v53, 0x80000000
	ds_bpermute_b32 v21, v52, v9
	ds_bpermute_b32 v12, v52, v10
	v_ctz_i32_b32_e32 v7, v7
	s_delay_alu instid0(VALU_DEP_1)
	v_cmpx_lt_u32_e64 v49, v7
	s_cbranch_execz .LBB1698_77
; %bb.76:
	s_wait_dscnt 0x1
	v_add_co_u32 v8, vcc_lo, v9, v21
	s_wait_alu 0xfffd
	v_add_co_ci_u32_e64 v10, null, 0, v10, vcc_lo
	s_delay_alu instid0(VALU_DEP_2) | instskip(SKIP_2) | instid1(VALU_DEP_2)
	v_add_co_u32 v9, vcc_lo, 0, v8
	s_wait_dscnt 0x0
	s_wait_alu 0xfffd
	v_add_co_ci_u32_e64 v10, null, v12, v10, vcc_lo
.LBB1698_77:
	s_wait_alu 0xfffe
	s_or_b32 exec_lo, exec_lo, s3
	v_cmp_gt_u32_e32 vcc_lo, 30, v49
	v_add_nc_u32_e32 v55, 2, v49
	s_mov_b32 s3, exec_lo
	s_wait_dscnt 0x0
	s_wait_alu 0xfffd
	v_cndmask_b32_e64 v12, 0, 2, vcc_lo
	s_delay_alu instid0(VALU_DEP_1)
	v_add_lshl_u32 v54, v12, v49, 2
	ds_bpermute_b32 v21, v54, v8
	ds_bpermute_b32 v12, v54, v10
	v_cmpx_le_u32_e64 v55, v7
	s_cbranch_execz .LBB1698_79
; %bb.78:
	s_wait_dscnt 0x1
	v_add_co_u32 v8, vcc_lo, v9, v21
	s_wait_alu 0xfffd
	v_add_co_ci_u32_e64 v10, null, 0, v10, vcc_lo
	s_delay_alu instid0(VALU_DEP_2) | instskip(SKIP_2) | instid1(VALU_DEP_2)
	v_add_co_u32 v9, vcc_lo, 0, v8
	s_wait_dscnt 0x0
	s_wait_alu 0xfffd
	v_add_co_ci_u32_e64 v10, null, v12, v10, vcc_lo
.LBB1698_79:
	s_wait_alu 0xfffe
	s_or_b32 exec_lo, exec_lo, s3
	v_cmp_gt_u32_e32 vcc_lo, 28, v49
	v_add_nc_u32_e32 v57, 4, v49
	s_mov_b32 s3, exec_lo
	s_wait_dscnt 0x0
	s_wait_alu 0xfffd
	v_cndmask_b32_e64 v12, 0, 4, vcc_lo
	s_delay_alu instid0(VALU_DEP_1)
	v_add_lshl_u32 v56, v12, v49, 2
	ds_bpermute_b32 v21, v56, v8
	ds_bpermute_b32 v12, v56, v10
	v_cmpx_le_u32_e64 v57, v7
	;; [unrolled: 25-line block ×3, first 2 shown]
	s_cbranch_execz .LBB1698_83
; %bb.82:
	s_wait_dscnt 0x1
	v_add_co_u32 v8, vcc_lo, v9, v21
	s_wait_alu 0xfffd
	v_add_co_ci_u32_e64 v10, null, 0, v10, vcc_lo
	s_delay_alu instid0(VALU_DEP_2) | instskip(SKIP_2) | instid1(VALU_DEP_2)
	v_add_co_u32 v9, vcc_lo, 0, v8
	s_wait_dscnt 0x0
	s_wait_alu 0xfffd
	v_add_co_ci_u32_e64 v10, null, v12, v10, vcc_lo
.LBB1698_83:
	s_wait_alu 0xfffe
	s_or_b32 exec_lo, exec_lo, s3
	v_lshl_or_b32 v60, v49, 2, 64
	v_add_nc_u32_e32 v61, 16, v49
	s_mov_b32 s3, exec_lo
	s_wait_dscnt 0x0
	ds_bpermute_b32 v12, v60, v8
	ds_bpermute_b32 v8, v60, v10
	v_cmpx_le_u32_e64 v61, v7
	s_cbranch_execz .LBB1698_85
; %bb.84:
	s_wait_dscnt 0x1
	v_add_co_u32 v7, vcc_lo, v9, v12
	s_wait_alu 0xfffd
	v_add_co_ci_u32_e64 v10, null, 0, v10, vcc_lo
	s_delay_alu instid0(VALU_DEP_2) | instskip(SKIP_2) | instid1(VALU_DEP_2)
	v_add_co_u32 v9, vcc_lo, v7, 0
	s_wait_dscnt 0x0
	s_wait_alu 0xfffd
	v_add_co_ci_u32_e64 v10, null, v10, v8, vcc_lo
.LBB1698_85:
	s_wait_alu 0xfffe
	s_or_b32 exec_lo, exec_lo, s3
	v_mov_b32_e32 v21, 0
	s_branch .LBB1698_88
.LBB1698_86:                            ;   in Loop: Header=BB1698_88 Depth=1
	s_wait_alu 0xfffe
	s_or_b32 exec_lo, exec_lo, s3
	v_add_co_u32 v9, vcc_lo, v9, v7
	v_subrev_nc_u32_e32 v20, 32, v20
	s_wait_alu 0xfffd
	v_add_co_ci_u32_e64 v10, null, v10, v8, vcc_lo
	s_mov_b32 s3, 0
.LBB1698_87:                            ;   in Loop: Header=BB1698_88 Depth=1
	s_wait_alu 0xfffe
	s_and_b32 vcc_lo, exec_lo, s3
	s_wait_alu 0xfffe
	s_cbranch_vccnz .LBB1698_104
.LBB1698_88:                            ; =>This Loop Header: Depth=1
                                        ;     Child Loop BB1698_91 Depth 2
	v_and_b32_e32 v7, 0xff, v11
	s_mov_b32 s3, -1
	s_delay_alu instid0(VALU_DEP_1)
	v_cmp_ne_u16_e32 vcc_lo, 2, v7
	s_wait_dscnt 0x0
	v_dual_mov_b32 v7, v9 :: v_dual_mov_b32 v8, v10
                                        ; implicit-def: $vgpr9_vgpr10
	s_cmp_lg_u32 vcc_lo, exec_lo
	s_cbranch_scc1 .LBB1698_87
; %bb.89:                               ;   in Loop: Header=BB1698_88 Depth=1
	v_lshlrev_b64_e32 v[9:10], 4, v[20:21]
	s_mov_b32 s3, exec_lo
	s_delay_alu instid0(VALU_DEP_1) | instskip(SKIP_1) | instid1(VALU_DEP_2)
	v_add_co_u32 v22, vcc_lo, s4, v9
	s_wait_alu 0xfffd
	v_add_co_ci_u32_e64 v23, null, s5, v10, vcc_lo
	;;#ASMSTART
	global_load_b128 v[9:12], v[22:23] off scope:SCOPE_DEV	
s_wait_loadcnt 0x0
	;;#ASMEND
	v_and_b32_e32 v12, 0xff, v11
	s_delay_alu instid0(VALU_DEP_1)
	v_cmpx_eq_u16_e32 0, v12
	s_cbranch_execz .LBB1698_93
; %bb.90:                               ;   in Loop: Header=BB1698_88 Depth=1
	s_mov_b32 s6, 0
.LBB1698_91:                            ;   Parent Loop BB1698_88 Depth=1
                                        ; =>  This Inner Loop Header: Depth=2
	;;#ASMSTART
	global_load_b128 v[9:12], v[22:23] off scope:SCOPE_DEV	
s_wait_loadcnt 0x0
	;;#ASMEND
	v_and_b32_e32 v12, 0xff, v11
	s_delay_alu instid0(VALU_DEP_1)
	v_cmp_ne_u16_e32 vcc_lo, 0, v12
	s_wait_alu 0xfffe
	s_or_b32 s6, vcc_lo, s6
	s_wait_alu 0xfffe
	s_and_not1_b32 exec_lo, exec_lo, s6
	s_cbranch_execnz .LBB1698_91
; %bb.92:                               ;   in Loop: Header=BB1698_88 Depth=1
	s_or_b32 exec_lo, exec_lo, s6
.LBB1698_93:                            ;   in Loop: Header=BB1698_88 Depth=1
	s_wait_alu 0xfffe
	s_or_b32 exec_lo, exec_lo, s3
	v_and_b32_e32 v12, 0xff, v11
	ds_bpermute_b32 v62, v52, v9
	ds_bpermute_b32 v23, v52, v10
	v_mov_b32_e32 v22, v9
	s_mov_b32 s3, exec_lo
	v_cmp_eq_u16_e32 vcc_lo, 2, v12
	s_wait_alu 0xfffd
	v_and_or_b32 v12, vcc_lo, v53, 0x80000000
	s_delay_alu instid0(VALU_DEP_1) | instskip(NEXT) | instid1(VALU_DEP_1)
	v_ctz_i32_b32_e32 v12, v12
	v_cmpx_lt_u32_e64 v49, v12
	s_cbranch_execz .LBB1698_95
; %bb.94:                               ;   in Loop: Header=BB1698_88 Depth=1
	s_wait_dscnt 0x1
	v_add_co_u32 v22, vcc_lo, v9, v62
	s_wait_alu 0xfffd
	v_add_co_ci_u32_e64 v10, null, 0, v10, vcc_lo
	s_delay_alu instid0(VALU_DEP_2) | instskip(SKIP_2) | instid1(VALU_DEP_2)
	v_add_co_u32 v9, vcc_lo, 0, v22
	s_wait_dscnt 0x0
	s_wait_alu 0xfffd
	v_add_co_ci_u32_e64 v10, null, v23, v10, vcc_lo
.LBB1698_95:                            ;   in Loop: Header=BB1698_88 Depth=1
	s_wait_alu 0xfffe
	s_or_b32 exec_lo, exec_lo, s3
	s_wait_dscnt 0x1
	ds_bpermute_b32 v62, v54, v22
	s_wait_dscnt 0x1
	ds_bpermute_b32 v23, v54, v10
	s_mov_b32 s3, exec_lo
	v_cmpx_le_u32_e64 v55, v12
	s_cbranch_execz .LBB1698_97
; %bb.96:                               ;   in Loop: Header=BB1698_88 Depth=1
	s_wait_dscnt 0x1
	v_add_co_u32 v22, vcc_lo, v9, v62
	s_wait_alu 0xfffd
	v_add_co_ci_u32_e64 v10, null, 0, v10, vcc_lo
	s_delay_alu instid0(VALU_DEP_2) | instskip(SKIP_2) | instid1(VALU_DEP_2)
	v_add_co_u32 v9, vcc_lo, 0, v22
	s_wait_dscnt 0x0
	s_wait_alu 0xfffd
	v_add_co_ci_u32_e64 v10, null, v23, v10, vcc_lo
.LBB1698_97:                            ;   in Loop: Header=BB1698_88 Depth=1
	s_wait_alu 0xfffe
	s_or_b32 exec_lo, exec_lo, s3
	s_wait_dscnt 0x1
	ds_bpermute_b32 v62, v56, v22
	s_wait_dscnt 0x1
	ds_bpermute_b32 v23, v56, v10
	s_mov_b32 s3, exec_lo
	v_cmpx_le_u32_e64 v57, v12
	;; [unrolled: 20-line block ×3, first 2 shown]
	s_cbranch_execz .LBB1698_101
; %bb.100:                              ;   in Loop: Header=BB1698_88 Depth=1
	s_wait_dscnt 0x1
	v_add_co_u32 v22, vcc_lo, v9, v62
	s_wait_alu 0xfffd
	v_add_co_ci_u32_e64 v10, null, 0, v10, vcc_lo
	s_delay_alu instid0(VALU_DEP_2) | instskip(SKIP_2) | instid1(VALU_DEP_2)
	v_add_co_u32 v9, vcc_lo, 0, v22
	s_wait_dscnt 0x0
	s_wait_alu 0xfffd
	v_add_co_ci_u32_e64 v10, null, v23, v10, vcc_lo
.LBB1698_101:                           ;   in Loop: Header=BB1698_88 Depth=1
	s_wait_alu 0xfffe
	s_or_b32 exec_lo, exec_lo, s3
	s_wait_dscnt 0x0
	ds_bpermute_b32 v23, v60, v22
	ds_bpermute_b32 v22, v60, v10
	s_mov_b32 s3, exec_lo
	v_cmpx_le_u32_e64 v61, v12
	s_cbranch_execz .LBB1698_86
; %bb.102:                              ;   in Loop: Header=BB1698_88 Depth=1
	s_wait_dscnt 0x1
	v_add_co_u32 v9, vcc_lo, v9, v23
	s_wait_alu 0xfffd
	v_add_co_ci_u32_e64 v10, null, 0, v10, vcc_lo
	s_delay_alu instid0(VALU_DEP_2) | instskip(SKIP_2) | instid1(VALU_DEP_2)
	v_add_co_u32 v9, vcc_lo, v9, 0
	s_wait_dscnt 0x0
	s_wait_alu 0xfffd
	v_add_co_ci_u32_e64 v10, null, v10, v22, vcc_lo
	s_branch .LBB1698_86
.LBB1698_103:
                                        ; implicit-def: $vgpr7_vgpr8
                                        ; implicit-def: $vgpr9_vgpr10
	s_wait_alu 0xfffe
	s_and_b32 vcc_lo, exec_lo, s1
	s_wait_alu 0xfffe
	s_cbranch_vccnz .LBB1698_109
	s_branch .LBB1698_136
.LBB1698_104:
	s_and_saveexec_b32 s3, s1
	s_cbranch_execz .LBB1698_106
; %bb.105:
	s_add_co_i32 s6, ttmp9, 32
	s_mov_b32 s7, 0
	v_add_co_u32 v9, vcc_lo, v7, v5
	s_wait_alu 0xfffe
	s_lshl_b64 s[6:7], s[6:7], 4
	v_dual_mov_b32 v11, 2 :: v_dual_mov_b32 v12, 0
	s_wait_alu 0xfffe
	s_add_nc_u64 s[6:7], s[4:5], s[6:7]
	s_wait_alu 0xfffd
	v_add_co_ci_u32_e64 v10, null, v8, v6, vcc_lo
	s_wait_alu 0xfffe
	v_dual_mov_b32 v21, s7 :: v_dual_mov_b32 v20, s6
	;;#ASMSTART
	global_store_b128 v[20:21], v[9:12] off scope:SCOPE_DEV	
s_wait_storecnt 0x0
	;;#ASMEND
	ds_store_b128 v12, v[5:8] offset:13824
.LBB1698_106:
	s_wait_alu 0xfffe
	s_or_b32 exec_lo, exec_lo, s3
	v_cmp_eq_u32_e32 vcc_lo, 0, v0
	s_and_b32 exec_lo, exec_lo, vcc_lo
; %bb.107:
	v_mov_b32_e32 v5, 0
	ds_store_b64 v5, v[7:8] offset:88
.LBB1698_108:
	s_wait_alu 0xfffe
	s_or_b32 exec_lo, exec_lo, s2
	v_cndmask_b32_e64 v12, 0, v19, s1
	v_cmp_ne_u32_e32 vcc_lo, 0, v0
	v_mov_b32_e32 v5, 0
	s_wait_loadcnt_dscnt 0x0
	s_barrier_signal -1
	s_barrier_wait -1
	global_inv scope:SCOPE_SE
	s_wait_alu 0xfffd
	v_cndmask_b32_e32 v12, 0, v12, vcc_lo
	ds_load_b64 v[9:10], v5 offset:88
	s_wait_loadcnt_dscnt 0x0
	s_barrier_signal -1
	s_barrier_wait -1
	global_inv scope:SCOPE_SE
	ds_load_b128 v[5:8], v5 offset:13824
	v_cndmask_b32_e64 v11, v51, v18, s1
	s_delay_alu instid0(VALU_DEP_1) | instskip(NEXT) | instid1(VALU_DEP_1)
	v_cndmask_b32_e32 v11, 0, v11, vcc_lo
	v_add_co_u32 v9, vcc_lo, v9, v11
	s_wait_alu 0xfffd
	v_add_co_ci_u32_e64 v10, null, v10, v12, vcc_lo
	s_branch .LBB1698_136
.LBB1698_109:
	s_wait_dscnt 0x0
	v_dual_mov_b32 v6, 0 :: v_dual_mov_b32 v7, v16
	v_mov_b32_dpp v8, v16 row_shr:1 row_mask:0xf bank_mask:0xf
	s_delay_alu instid0(VALU_DEP_2)
	v_mov_b32_dpp v5, v6 row_shr:1 row_mask:0xf bank_mask:0xf
	s_and_saveexec_b32 s1, s0
; %bb.110:
	s_delay_alu instid0(VALU_DEP_2) | instskip(SKIP_2) | instid1(VALU_DEP_2)
	v_add_co_u32 v7, vcc_lo, v16, v8
	s_wait_alu 0xfffd
	v_add_co_ci_u32_e64 v6, null, 0, v17, vcc_lo
	v_add_co_u32 v16, vcc_lo, 0, v7
	s_wait_alu 0xfffd
	s_delay_alu instid0(VALU_DEP_2) | instskip(NEXT) | instid1(VALU_DEP_1)
	v_add_co_ci_u32_e64 v17, null, v5, v6, vcc_lo
	v_mov_b32_e32 v6, v17
; %bb.111:
	s_wait_alu 0xfffe
	s_or_b32 exec_lo, exec_lo, s1
	v_mov_b32_dpp v5, v7 row_shr:2 row_mask:0xf bank_mask:0xf
	s_delay_alu instid0(VALU_DEP_2)
	v_mov_b32_dpp v8, v6 row_shr:2 row_mask:0xf bank_mask:0xf
	v_cmp_lt_u32_e32 vcc_lo, 1, v50
	s_and_saveexec_b32 s2, vcc_lo
; %bb.112:
	s_delay_alu instid0(VALU_DEP_3) | instskip(SKIP_2) | instid1(VALU_DEP_2)
	v_add_co_u32 v7, s1, v16, v5
	s_wait_alu 0xf1ff
	v_add_co_ci_u32_e64 v6, null, 0, v17, s1
	v_add_co_u32 v5, s1, 0, v7
	s_wait_alu 0xf1ff
	s_delay_alu instid0(VALU_DEP_2) | instskip(NEXT) | instid1(VALU_DEP_1)
	v_add_co_ci_u32_e64 v6, null, v8, v6, s1
	v_dual_mov_b32 v17, v6 :: v_dual_mov_b32 v16, v5
; %bb.113:
	s_wait_alu 0xfffe
	s_or_b32 exec_lo, exec_lo, s2
	v_mov_b32_dpp v5, v7 row_shr:4 row_mask:0xf bank_mask:0xf
	v_mov_b32_dpp v8, v6 row_shr:4 row_mask:0xf bank_mask:0xf
	v_cmp_lt_u32_e64 s1, 3, v50
	s_and_saveexec_b32 s3, s1
; %bb.114:
	v_add_co_u32 v7, s2, v16, v5
	s_wait_alu 0xf1ff
	v_add_co_ci_u32_e64 v6, null, 0, v17, s2
	s_delay_alu instid0(VALU_DEP_2) | instskip(SKIP_1) | instid1(VALU_DEP_2)
	v_add_co_u32 v5, s2, 0, v7
	s_wait_alu 0xf1ff
	v_add_co_ci_u32_e64 v6, null, v8, v6, s2
	s_delay_alu instid0(VALU_DEP_1)
	v_dual_mov_b32 v17, v6 :: v_dual_mov_b32 v16, v5
; %bb.115:
	s_wait_alu 0xfffe
	s_or_b32 exec_lo, exec_lo, s3
	v_mov_b32_dpp v8, v7 row_shr:8 row_mask:0xf bank_mask:0xf
	v_mov_b32_dpp v5, v6 row_shr:8 row_mask:0xf bank_mask:0xf
	v_cmp_lt_u32_e64 s2, 7, v50
	s_and_saveexec_b32 s6, s2
; %bb.116:
	v_add_co_u32 v7, s3, v16, v8
	s_wait_alu 0xf1ff
	v_add_co_ci_u32_e64 v6, null, 0, v17, s3
	s_delay_alu instid0(VALU_DEP_2) | instskip(SKIP_1) | instid1(VALU_DEP_2)
	v_add_co_u32 v16, s3, 0, v7
	s_wait_alu 0xf1ff
	v_add_co_ci_u32_e64 v17, null, v5, v6, s3
	s_delay_alu instid0(VALU_DEP_1)
	v_mov_b32_e32 v6, v17
; %bb.117:
	s_wait_alu 0xfffe
	s_or_b32 exec_lo, exec_lo, s6
	ds_swizzle_b32 v7, v7 offset:swizzle(BROADCAST,32,15)
	ds_swizzle_b32 v5, v6 offset:swizzle(BROADCAST,32,15)
	v_and_b32_e32 v6, 16, v49
	s_mov_b32 s6, exec_lo
	s_delay_alu instid0(VALU_DEP_1)
	v_cmpx_ne_u32_e32 0, v6
	s_cbranch_execz .LBB1698_119
; %bb.118:
	s_wait_dscnt 0x1
	v_add_co_u32 v6, s3, v16, v7
	s_wait_alu 0xf1ff
	v_add_co_ci_u32_e64 v7, null, 0, v17, s3
	s_delay_alu instid0(VALU_DEP_2) | instskip(SKIP_2) | instid1(VALU_DEP_2)
	v_add_co_u32 v16, s3, v6, 0
	s_wait_dscnt 0x0
	s_wait_alu 0xf1ff
	v_add_co_ci_u32_e64 v17, null, v7, v5, s3
.LBB1698_119:
	s_wait_alu 0xfffe
	s_or_b32 exec_lo, exec_lo, s6
	s_wait_dscnt 0x0
	v_and_b32_e32 v5, 0x1e0, v0
	v_lshrrev_b32_e32 v7, 5, v0
	s_mov_b32 s6, exec_lo
	s_delay_alu instid0(VALU_DEP_2) | instskip(NEXT) | instid1(VALU_DEP_1)
	v_min_u32_e32 v5, 0x160, v5
	v_or_b32_e32 v5, 31, v5
	s_delay_alu instid0(VALU_DEP_1)
	v_cmpx_eq_u32_e64 v0, v5
; %bb.120:
	v_lshlrev_b32_e32 v5, 3, v7
	ds_store_b64 v5, v[16:17]
; %bb.121:
	s_wait_alu 0xfffe
	s_or_b32 exec_lo, exec_lo, s6
	s_delay_alu instid0(SALU_CYCLE_1)
	s_mov_b32 s6, exec_lo
	s_wait_loadcnt_dscnt 0x0
	s_barrier_signal -1
	s_barrier_wait -1
	global_inv scope:SCOPE_SE
	v_cmpx_gt_u32_e32 12, v0
	s_cbranch_execz .LBB1698_131
; %bb.122:
	v_lshlrev_b32_e32 v8, 3, v0
	ds_load_b64 v[5:6], v8
	s_wait_dscnt 0x0
	v_mov_b32_dpp v11, v5 row_shr:1 row_mask:0xf bank_mask:0xf
	v_mov_b32_dpp v10, v6 row_shr:1 row_mask:0xf bank_mask:0xf
	v_mov_b32_e32 v9, v5
	s_and_saveexec_b32 s3, s0
; %bb.123:
	s_delay_alu instid0(VALU_DEP_3) | instskip(SKIP_2) | instid1(VALU_DEP_2)
	v_add_co_u32 v9, s0, v5, v11
	s_wait_alu 0xf1ff
	v_add_co_ci_u32_e64 v6, null, 0, v6, s0
	v_add_co_u32 v5, s0, 0, v9
	s_wait_alu 0xf1ff
	s_delay_alu instid0(VALU_DEP_2)
	v_add_co_ci_u32_e64 v6, null, v10, v6, s0
; %bb.124:
	s_wait_alu 0xfffe
	s_or_b32 exec_lo, exec_lo, s3
	v_mov_b32_dpp v11, v9 row_shr:2 row_mask:0xf bank_mask:0xf
	s_delay_alu instid0(VALU_DEP_2)
	v_mov_b32_dpp v10, v6 row_shr:2 row_mask:0xf bank_mask:0xf
	s_and_saveexec_b32 s0, vcc_lo
; %bb.125:
	s_delay_alu instid0(VALU_DEP_2) | instskip(SKIP_2) | instid1(VALU_DEP_2)
	v_add_co_u32 v9, vcc_lo, v5, v11
	s_wait_alu 0xfffd
	v_add_co_ci_u32_e64 v6, null, 0, v6, vcc_lo
	v_add_co_u32 v5, vcc_lo, 0, v9
	s_wait_alu 0xfffd
	s_delay_alu instid0(VALU_DEP_2)
	v_add_co_ci_u32_e64 v6, null, v10, v6, vcc_lo
; %bb.126:
	s_wait_alu 0xfffe
	s_or_b32 exec_lo, exec_lo, s0
	v_mov_b32_dpp v11, v9 row_shr:4 row_mask:0xf bank_mask:0xf
	s_delay_alu instid0(VALU_DEP_2)
	v_mov_b32_dpp v10, v6 row_shr:4 row_mask:0xf bank_mask:0xf
	s_and_saveexec_b32 s0, s1
; %bb.127:
	s_delay_alu instid0(VALU_DEP_2) | instskip(SKIP_2) | instid1(VALU_DEP_2)
	v_add_co_u32 v9, vcc_lo, v5, v11
	s_wait_alu 0xfffd
	v_add_co_ci_u32_e64 v6, null, 0, v6, vcc_lo
	v_add_co_u32 v5, vcc_lo, 0, v9
	s_wait_alu 0xfffd
	s_delay_alu instid0(VALU_DEP_2)
	v_add_co_ci_u32_e64 v6, null, v10, v6, vcc_lo
; %bb.128:
	s_wait_alu 0xfffe
	s_or_b32 exec_lo, exec_lo, s0
	v_mov_b32_dpp v10, v9 row_shr:8 row_mask:0xf bank_mask:0xf
	s_delay_alu instid0(VALU_DEP_2)
	v_mov_b32_dpp v9, v6 row_shr:8 row_mask:0xf bank_mask:0xf
	s_and_saveexec_b32 s0, s2
; %bb.129:
	s_delay_alu instid0(VALU_DEP_2) | instskip(SKIP_2) | instid1(VALU_DEP_2)
	v_add_co_u32 v5, vcc_lo, v5, v10
	s_wait_alu 0xfffd
	v_add_co_ci_u32_e64 v6, null, 0, v6, vcc_lo
	v_add_co_u32 v5, vcc_lo, v5, 0
	s_wait_alu 0xfffd
	s_delay_alu instid0(VALU_DEP_2)
	v_add_co_ci_u32_e64 v6, null, v6, v9, vcc_lo
; %bb.130:
	s_wait_alu 0xfffe
	s_or_b32 exec_lo, exec_lo, s0
	ds_store_b64 v8, v[5:6]
.LBB1698_131:
	s_wait_alu 0xfffe
	s_or_b32 exec_lo, exec_lo, s6
	s_delay_alu instid0(SALU_CYCLE_1)
	s_mov_b32 s0, exec_lo
	v_mov_b32_e32 v9, 0
	v_mov_b32_e32 v10, 0
	s_wait_loadcnt_dscnt 0x0
	s_barrier_signal -1
	s_barrier_wait -1
	global_inv scope:SCOPE_SE
	v_cmpx_lt_u32_e32 31, v0
; %bb.132:
	v_lshl_add_u32 v5, v7, 3, -8
	ds_load_b64 v[9:10], v5
; %bb.133:
	s_wait_alu 0xfffe
	s_or_b32 exec_lo, exec_lo, s0
	v_sub_co_u32 v5, vcc_lo, v49, 1
	s_wait_dscnt 0x0
	v_add_nc_u32_e32 v6, v9, v16
	v_mov_b32_e32 v8, 0
	s_delay_alu instid0(VALU_DEP_3) | instskip(SKIP_1) | instid1(VALU_DEP_1)
	v_cmp_gt_i32_e64 s0, 0, v5
	s_wait_alu 0xf1ff
	v_cndmask_b32_e64 v5, v5, v49, s0
	v_cmp_eq_u32_e64 s0, 0, v0
	s_delay_alu instid0(VALU_DEP_2)
	v_lshlrev_b32_e32 v5, 2, v5
	ds_bpermute_b32 v10, v5, v6
	ds_load_b64 v[5:6], v8 offset:88
	s_and_saveexec_b32 s1, s0
	s_cbranch_execz .LBB1698_135
; %bb.134:
	s_wait_kmcnt 0x0
	s_add_nc_u64 s[2:3], s[4:5], 0x200
	s_wait_alu 0xfffe
	v_dual_mov_b32 v7, 2 :: v_dual_mov_b32 v12, s3
	v_mov_b32_e32 v11, s2
	s_wait_dscnt 0x0
	;;#ASMSTART
	global_store_b128 v[11:12], v[5:8] off scope:SCOPE_DEV	
s_wait_storecnt 0x0
	;;#ASMEND
.LBB1698_135:
	s_wait_alu 0xfffe
	s_or_b32 exec_lo, exec_lo, s1
	s_wait_dscnt 0x1
	s_wait_alu 0xfffd
	v_cndmask_b32_e32 v9, v10, v9, vcc_lo
	v_mov_b32_e32 v7, 0
	v_mov_b32_e32 v8, 0
	s_wait_loadcnt_dscnt 0x0
	s_barrier_signal -1
	v_cndmask_b32_e64 v9, v9, 0, s0
	s_barrier_wait -1
	global_inv scope:SCOPE_SE
.LBB1698_136:
	s_wait_dscnt 0x0
	v_cmp_gt_u64_e32 vcc_lo, 0x181, v[5:6]
	v_lshrrev_b32_e32 v17, 16, v36
	v_lshrrev_b32_e32 v18, 8, v36
	;; [unrolled: 1-line block ×8, first 2 shown]
	s_cbranch_vccz .LBB1698_139
; %bb.137:
	v_cmp_eq_u32_e32 vcc_lo, 0, v0
	s_and_b32 s0, vcc_lo, s24
	s_wait_alu 0xfffe
	s_and_saveexec_b32 s1, s0
	s_cbranch_execnz .LBB1698_176
.LBB1698_138:
	s_endpgm
.LBB1698_139:
	v_and_b32_e32 v21, 1, v42
	s_mov_b32 s0, exec_lo
	s_delay_alu instid0(VALU_DEP_1)
	v_cmpx_eq_u32_e32 1, v21
; %bb.140:
	v_sub_nc_u32_e32 v21, v9, v7
	s_delay_alu instid0(VALU_DEP_1)
	v_lshlrev_b32_e32 v21, 1, v21
	ds_store_b16 v21, v26
; %bb.141:
	s_wait_alu 0xfffe
	s_or_b32 exec_lo, exec_lo, s0
	v_and_b32_e32 v20, 1, v20
	v_add_co_u32 v9, null, v9, v47
	s_mov_b32 s0, exec_lo
	v_cmpx_eq_u32_e32 1, v20
; %bb.142:
	v_sub_nc_u32_e32 v20, v9, v7
	s_delay_alu instid0(VALU_DEP_1)
	v_lshlrev_b32_e32 v20, 1, v20
	ds_store_b16_d16_hi v20, v26
; %bb.143:
	s_wait_alu 0xfffe
	s_or_b32 exec_lo, exec_lo, s0
	v_and_b32_e32 v19, 1, v19
	v_add_co_u32 v9, null, v9, v45
	s_mov_b32 s0, exec_lo
	v_cmpx_eq_u32_e32 1, v19
; %bb.144:
	v_sub_nc_u32_e32 v19, v9, v7
	s_delay_alu instid0(VALU_DEP_1)
	v_lshlrev_b32_e32 v19, 1, v19
	ds_store_b16 v19, v25
; %bb.145:
	s_wait_alu 0xfffe
	s_or_b32 exec_lo, exec_lo, s0
	v_and_b32_e32 v19, 1, v46
	v_add_co_u32 v9, null, v9, v48
	s_mov_b32 s0, exec_lo
	v_cmpx_eq_u32_e32 1, v19
; %bb.146:
	v_sub_nc_u32_e32 v19, v9, v7
	s_delay_alu instid0(VALU_DEP_1)
	v_lshlrev_b32_e32 v19, 1, v19
	ds_store_b16 v19, v1
; %bb.147:
	s_wait_alu 0xfffe
	s_or_b32 exec_lo, exec_lo, s0
	v_and_b32_e32 v19, 1, v36
	v_add_co_u32 v9, null, v9, v46
	s_mov_b32 s0, exec_lo
	v_cmpx_eq_u32_e32 1, v19
; %bb.148:
	v_sub_nc_u32_e32 v19, v9, v7
	s_delay_alu instid0(VALU_DEP_1)
	v_lshlrev_b32_e32 v19, 1, v19
	ds_store_b16_d16_hi v19, v1
; %bb.149:
	s_wait_alu 0xfffe
	s_or_b32 exec_lo, exec_lo, s0
	v_and_b32_e32 v18, 1, v18
	v_add_co_u32 v1, null, v9, v44
	s_mov_b32 s0, exec_lo
	v_cmpx_eq_u32_e32 1, v18
; %bb.150:
	v_sub_nc_u32_e32 v9, v1, v7
	s_delay_alu instid0(VALU_DEP_1)
	v_lshlrev_b32_e32 v9, 1, v9
	ds_store_b16 v9, v2
; %bb.151:
	s_wait_alu 0xfffe
	s_or_b32 exec_lo, exec_lo, s0
	v_and_b32_e32 v9, 1, v17
	v_add_co_u32 v1, null, v1, v43
	s_mov_b32 s0, exec_lo
	v_cmpx_eq_u32_e32 1, v9
; %bb.152:
	v_sub_nc_u32_e32 v9, v1, v7
	s_delay_alu instid0(VALU_DEP_1)
	v_lshlrev_b32_e32 v9, 1, v9
	ds_store_b16_d16_hi v9, v2
; %bb.153:
	s_wait_alu 0xfffe
	s_or_b32 exec_lo, exec_lo, s0
	v_and_b32_e32 v2, 1, v40
	v_add_co_u32 v1, null, v1, v41
	s_mov_b32 s0, exec_lo
	v_cmpx_eq_u32_e32 1, v2
; %bb.154:
	v_sub_nc_u32_e32 v2, v1, v7
	s_delay_alu instid0(VALU_DEP_1)
	v_lshlrev_b32_e32 v2, 1, v2
	ds_store_b16 v2, v3
; %bb.155:
	s_wait_alu 0xfffe
	s_or_b32 exec_lo, exec_lo, s0
	v_and_b32_e32 v2, 1, v30
	v_add_co_u32 v1, null, v1, v40
	s_mov_b32 s0, exec_lo
	v_cmpx_eq_u32_e32 1, v2
; %bb.156:
	v_sub_nc_u32_e32 v2, v1, v7
	s_delay_alu instid0(VALU_DEP_1)
	v_lshlrev_b32_e32 v2, 1, v2
	ds_store_b16_d16_hi v2, v3
; %bb.157:
	s_wait_alu 0xfffe
	s_or_b32 exec_lo, exec_lo, s0
	v_and_b32_e32 v2, 1, v16
	v_add_co_u32 v1, null, v1, v39
	s_mov_b32 s0, exec_lo
	v_cmpx_eq_u32_e32 1, v2
; %bb.158:
	v_sub_nc_u32_e32 v2, v1, v7
	s_delay_alu instid0(VALU_DEP_1)
	v_lshlrev_b32_e32 v2, 1, v2
	ds_store_b16 v2, v4
; %bb.159:
	s_wait_alu 0xfffe
	s_or_b32 exec_lo, exec_lo, s0
	v_and_b32_e32 v2, 1, v12
	v_add_co_u32 v1, null, v1, v38
	s_mov_b32 s0, exec_lo
	v_cmpx_eq_u32_e32 1, v2
; %bb.160:
	v_sub_nc_u32_e32 v2, v1, v7
	s_delay_alu instid0(VALU_DEP_1)
	v_lshlrev_b32_e32 v2, 1, v2
	ds_store_b16_d16_hi v2, v4
; %bb.161:
	s_wait_alu 0xfffe
	s_or_b32 exec_lo, exec_lo, s0
	v_and_b32_e32 v2, 1, v35
	v_add_co_u32 v1, null, v1, v37
	s_mov_b32 s0, exec_lo
	v_cmpx_eq_u32_e32 1, v2
; %bb.162:
	v_sub_nc_u32_e32 v2, v1, v7
	s_delay_alu instid0(VALU_DEP_1)
	v_lshlrev_b32_e32 v2, 1, v2
	ds_store_b16 v2, v13
; %bb.163:
	s_wait_alu 0xfffe
	s_or_b32 exec_lo, exec_lo, s0
	v_and_b32_e32 v2, 1, v28
	v_add_co_u32 v1, null, v1, v35
	s_mov_b32 s0, exec_lo
	v_cmpx_eq_u32_e32 1, v2
; %bb.164:
	v_sub_nc_u32_e32 v2, v1, v7
	s_delay_alu instid0(VALU_DEP_1)
	v_lshlrev_b32_e32 v2, 1, v2
	ds_store_b16_d16_hi v2, v13
; %bb.165:
	s_wait_alu 0xfffe
	s_or_b32 exec_lo, exec_lo, s0
	v_and_b32_e32 v2, 1, v11
	v_add_co_u32 v1, null, v1, v34
	s_mov_b32 s0, exec_lo
	v_cmpx_eq_u32_e32 1, v2
; %bb.166:
	v_sub_nc_u32_e32 v2, v1, v7
	s_delay_alu instid0(VALU_DEP_1)
	v_lshlrev_b32_e32 v2, 1, v2
	ds_store_b16 v2, v14
; %bb.167:
	s_wait_alu 0xfffe
	s_or_b32 exec_lo, exec_lo, s0
	v_and_b32_e32 v2, 1, v10
	v_add_co_u32 v1, null, v1, v33
	s_mov_b32 s0, exec_lo
	v_cmpx_eq_u32_e32 1, v2
; %bb.168:
	v_sub_nc_u32_e32 v2, v1, v7
	s_delay_alu instid0(VALU_DEP_1)
	v_lshlrev_b32_e32 v2, 1, v2
	ds_store_b16_d16_hi v2, v14
; %bb.169:
	s_wait_alu 0xfffe
	s_or_b32 exec_lo, exec_lo, s0
	v_and_b32_e32 v2, 1, v31
	v_add_co_u32 v1, null, v1, v32
	s_mov_b32 s0, exec_lo
	v_cmpx_eq_u32_e32 1, v2
; %bb.170:
	v_sub_nc_u32_e32 v2, v1, v7
	s_delay_alu instid0(VALU_DEP_1)
	v_lshlrev_b32_e32 v2, 1, v2
	ds_store_b16 v2, v15
; %bb.171:
	s_wait_alu 0xfffe
	s_or_b32 exec_lo, exec_lo, s0
	v_and_b32_e32 v2, 1, v27
	v_add_co_u32 v1, null, v1, v31
	s_mov_b32 s0, exec_lo
	v_cmpx_eq_u32_e32 1, v2
; %bb.172:
	v_sub_nc_u32_e32 v2, v1, v7
	s_delay_alu instid0(VALU_DEP_1)
	v_lshlrev_b32_e32 v2, 1, v2
	ds_store_b16_d16_hi v2, v15
; %bb.173:
	s_wait_alu 0xfffe
	s_or_b32 exec_lo, exec_lo, s0
	s_and_saveexec_b32 s0, s25
; %bb.174:
	v_sub_nc_u32_e32 v2, v29, v7
	s_delay_alu instid0(VALU_DEP_1)
	v_add_lshl_u32 v1, v2, v1, 1
	ds_store_b16 v1, v24
; %bb.175:
	s_wait_alu 0xfffe
	s_or_b32 exec_lo, exec_lo, s0
	s_wait_loadcnt_dscnt 0x0
	s_barrier_signal -1
	s_barrier_wait -1
	global_inv scope:SCOPE_SE
	v_cmp_eq_u32_e32 vcc_lo, 0, v0
	s_and_b32 s0, vcc_lo, s24
	s_wait_alu 0xfffe
	s_and_saveexec_b32 s1, s0
	s_cbranch_execz .LBB1698_138
.LBB1698_176:
	s_wait_kmcnt 0x0
	v_add_co_u32 v0, vcc_lo, v5, s22
	s_wait_alu 0xfffd
	v_add_co_ci_u32_e64 v1, null, s23, v6, vcc_lo
	v_mov_b32_e32 v2, 0
	s_delay_alu instid0(VALU_DEP_3) | instskip(SKIP_1) | instid1(VALU_DEP_3)
	v_add_co_u32 v0, vcc_lo, v0, v7
	s_wait_alu 0xfffd
	v_add_co_ci_u32_e64 v1, null, v1, v8, vcc_lo
	global_store_b64 v2, v[0:1], s[20:21]
	s_endpgm
	.section	.rodata,"a",@progbits
	.p2align	6, 0x0
	.amdhsa_kernel _ZN7rocprim17ROCPRIM_400000_NS6detail17trampoline_kernelINS0_14default_configENS1_25partition_config_selectorILNS1_17partition_subalgoE6EtNS0_10empty_typeEbEEZZNS1_14partition_implILS5_6ELb0ES3_mN6thrust23THRUST_200600_302600_NS6detail15normal_iteratorINSA_10device_ptrItEEEEPS6_SG_NS0_5tupleIJNSA_16discard_iteratorINSA_11use_defaultEEES6_EEENSH_IJSG_SG_EEES6_PlJNSB_9not_fun_tINSB_14equal_to_valueItEEEEEEE10hipError_tPvRmT3_T4_T5_T6_T7_T9_mT8_P12ihipStream_tbDpT10_ENKUlT_T0_E_clISt17integral_constantIbLb0EES1B_EEDaS16_S17_EUlS16_E_NS1_11comp_targetILNS1_3genE10ELNS1_11target_archE1200ELNS1_3gpuE4ELNS1_3repE0EEENS1_30default_config_static_selectorELNS0_4arch9wavefront6targetE0EEEvT1_
		.amdhsa_group_segment_fixed_size 13840
		.amdhsa_private_segment_fixed_size 0
		.amdhsa_kernarg_size 120
		.amdhsa_user_sgpr_count 2
		.amdhsa_user_sgpr_dispatch_ptr 0
		.amdhsa_user_sgpr_queue_ptr 0
		.amdhsa_user_sgpr_kernarg_segment_ptr 1
		.amdhsa_user_sgpr_dispatch_id 0
		.amdhsa_user_sgpr_private_segment_size 0
		.amdhsa_wavefront_size32 1
		.amdhsa_uses_dynamic_stack 0
		.amdhsa_enable_private_segment 0
		.amdhsa_system_sgpr_workgroup_id_x 1
		.amdhsa_system_sgpr_workgroup_id_y 0
		.amdhsa_system_sgpr_workgroup_id_z 0
		.amdhsa_system_sgpr_workgroup_info 0
		.amdhsa_system_vgpr_workitem_id 0
		.amdhsa_next_free_vgpr 63
		.amdhsa_next_free_sgpr 27
		.amdhsa_reserve_vcc 1
		.amdhsa_float_round_mode_32 0
		.amdhsa_float_round_mode_16_64 0
		.amdhsa_float_denorm_mode_32 3
		.amdhsa_float_denorm_mode_16_64 3
		.amdhsa_fp16_overflow 0
		.amdhsa_workgroup_processor_mode 1
		.amdhsa_memory_ordered 1
		.amdhsa_forward_progress 1
		.amdhsa_inst_pref_size 74
		.amdhsa_round_robin_scheduling 0
		.amdhsa_exception_fp_ieee_invalid_op 0
		.amdhsa_exception_fp_denorm_src 0
		.amdhsa_exception_fp_ieee_div_zero 0
		.amdhsa_exception_fp_ieee_overflow 0
		.amdhsa_exception_fp_ieee_underflow 0
		.amdhsa_exception_fp_ieee_inexact 0
		.amdhsa_exception_int_div_zero 0
	.end_amdhsa_kernel
	.section	.text._ZN7rocprim17ROCPRIM_400000_NS6detail17trampoline_kernelINS0_14default_configENS1_25partition_config_selectorILNS1_17partition_subalgoE6EtNS0_10empty_typeEbEEZZNS1_14partition_implILS5_6ELb0ES3_mN6thrust23THRUST_200600_302600_NS6detail15normal_iteratorINSA_10device_ptrItEEEEPS6_SG_NS0_5tupleIJNSA_16discard_iteratorINSA_11use_defaultEEES6_EEENSH_IJSG_SG_EEES6_PlJNSB_9not_fun_tINSB_14equal_to_valueItEEEEEEE10hipError_tPvRmT3_T4_T5_T6_T7_T9_mT8_P12ihipStream_tbDpT10_ENKUlT_T0_E_clISt17integral_constantIbLb0EES1B_EEDaS16_S17_EUlS16_E_NS1_11comp_targetILNS1_3genE10ELNS1_11target_archE1200ELNS1_3gpuE4ELNS1_3repE0EEENS1_30default_config_static_selectorELNS0_4arch9wavefront6targetE0EEEvT1_,"axG",@progbits,_ZN7rocprim17ROCPRIM_400000_NS6detail17trampoline_kernelINS0_14default_configENS1_25partition_config_selectorILNS1_17partition_subalgoE6EtNS0_10empty_typeEbEEZZNS1_14partition_implILS5_6ELb0ES3_mN6thrust23THRUST_200600_302600_NS6detail15normal_iteratorINSA_10device_ptrItEEEEPS6_SG_NS0_5tupleIJNSA_16discard_iteratorINSA_11use_defaultEEES6_EEENSH_IJSG_SG_EEES6_PlJNSB_9not_fun_tINSB_14equal_to_valueItEEEEEEE10hipError_tPvRmT3_T4_T5_T6_T7_T9_mT8_P12ihipStream_tbDpT10_ENKUlT_T0_E_clISt17integral_constantIbLb0EES1B_EEDaS16_S17_EUlS16_E_NS1_11comp_targetILNS1_3genE10ELNS1_11target_archE1200ELNS1_3gpuE4ELNS1_3repE0EEENS1_30default_config_static_selectorELNS0_4arch9wavefront6targetE0EEEvT1_,comdat
.Lfunc_end1698:
	.size	_ZN7rocprim17ROCPRIM_400000_NS6detail17trampoline_kernelINS0_14default_configENS1_25partition_config_selectorILNS1_17partition_subalgoE6EtNS0_10empty_typeEbEEZZNS1_14partition_implILS5_6ELb0ES3_mN6thrust23THRUST_200600_302600_NS6detail15normal_iteratorINSA_10device_ptrItEEEEPS6_SG_NS0_5tupleIJNSA_16discard_iteratorINSA_11use_defaultEEES6_EEENSH_IJSG_SG_EEES6_PlJNSB_9not_fun_tINSB_14equal_to_valueItEEEEEEE10hipError_tPvRmT3_T4_T5_T6_T7_T9_mT8_P12ihipStream_tbDpT10_ENKUlT_T0_E_clISt17integral_constantIbLb0EES1B_EEDaS16_S17_EUlS16_E_NS1_11comp_targetILNS1_3genE10ELNS1_11target_archE1200ELNS1_3gpuE4ELNS1_3repE0EEENS1_30default_config_static_selectorELNS0_4arch9wavefront6targetE0EEEvT1_, .Lfunc_end1698-_ZN7rocprim17ROCPRIM_400000_NS6detail17trampoline_kernelINS0_14default_configENS1_25partition_config_selectorILNS1_17partition_subalgoE6EtNS0_10empty_typeEbEEZZNS1_14partition_implILS5_6ELb0ES3_mN6thrust23THRUST_200600_302600_NS6detail15normal_iteratorINSA_10device_ptrItEEEEPS6_SG_NS0_5tupleIJNSA_16discard_iteratorINSA_11use_defaultEEES6_EEENSH_IJSG_SG_EEES6_PlJNSB_9not_fun_tINSB_14equal_to_valueItEEEEEEE10hipError_tPvRmT3_T4_T5_T6_T7_T9_mT8_P12ihipStream_tbDpT10_ENKUlT_T0_E_clISt17integral_constantIbLb0EES1B_EEDaS16_S17_EUlS16_E_NS1_11comp_targetILNS1_3genE10ELNS1_11target_archE1200ELNS1_3gpuE4ELNS1_3repE0EEENS1_30default_config_static_selectorELNS0_4arch9wavefront6targetE0EEEvT1_
                                        ; -- End function
	.set _ZN7rocprim17ROCPRIM_400000_NS6detail17trampoline_kernelINS0_14default_configENS1_25partition_config_selectorILNS1_17partition_subalgoE6EtNS0_10empty_typeEbEEZZNS1_14partition_implILS5_6ELb0ES3_mN6thrust23THRUST_200600_302600_NS6detail15normal_iteratorINSA_10device_ptrItEEEEPS6_SG_NS0_5tupleIJNSA_16discard_iteratorINSA_11use_defaultEEES6_EEENSH_IJSG_SG_EEES6_PlJNSB_9not_fun_tINSB_14equal_to_valueItEEEEEEE10hipError_tPvRmT3_T4_T5_T6_T7_T9_mT8_P12ihipStream_tbDpT10_ENKUlT_T0_E_clISt17integral_constantIbLb0EES1B_EEDaS16_S17_EUlS16_E_NS1_11comp_targetILNS1_3genE10ELNS1_11target_archE1200ELNS1_3gpuE4ELNS1_3repE0EEENS1_30default_config_static_selectorELNS0_4arch9wavefront6targetE0EEEvT1_.num_vgpr, 63
	.set _ZN7rocprim17ROCPRIM_400000_NS6detail17trampoline_kernelINS0_14default_configENS1_25partition_config_selectorILNS1_17partition_subalgoE6EtNS0_10empty_typeEbEEZZNS1_14partition_implILS5_6ELb0ES3_mN6thrust23THRUST_200600_302600_NS6detail15normal_iteratorINSA_10device_ptrItEEEEPS6_SG_NS0_5tupleIJNSA_16discard_iteratorINSA_11use_defaultEEES6_EEENSH_IJSG_SG_EEES6_PlJNSB_9not_fun_tINSB_14equal_to_valueItEEEEEEE10hipError_tPvRmT3_T4_T5_T6_T7_T9_mT8_P12ihipStream_tbDpT10_ENKUlT_T0_E_clISt17integral_constantIbLb0EES1B_EEDaS16_S17_EUlS16_E_NS1_11comp_targetILNS1_3genE10ELNS1_11target_archE1200ELNS1_3gpuE4ELNS1_3repE0EEENS1_30default_config_static_selectorELNS0_4arch9wavefront6targetE0EEEvT1_.num_agpr, 0
	.set _ZN7rocprim17ROCPRIM_400000_NS6detail17trampoline_kernelINS0_14default_configENS1_25partition_config_selectorILNS1_17partition_subalgoE6EtNS0_10empty_typeEbEEZZNS1_14partition_implILS5_6ELb0ES3_mN6thrust23THRUST_200600_302600_NS6detail15normal_iteratorINSA_10device_ptrItEEEEPS6_SG_NS0_5tupleIJNSA_16discard_iteratorINSA_11use_defaultEEES6_EEENSH_IJSG_SG_EEES6_PlJNSB_9not_fun_tINSB_14equal_to_valueItEEEEEEE10hipError_tPvRmT3_T4_T5_T6_T7_T9_mT8_P12ihipStream_tbDpT10_ENKUlT_T0_E_clISt17integral_constantIbLb0EES1B_EEDaS16_S17_EUlS16_E_NS1_11comp_targetILNS1_3genE10ELNS1_11target_archE1200ELNS1_3gpuE4ELNS1_3repE0EEENS1_30default_config_static_selectorELNS0_4arch9wavefront6targetE0EEEvT1_.numbered_sgpr, 27
	.set _ZN7rocprim17ROCPRIM_400000_NS6detail17trampoline_kernelINS0_14default_configENS1_25partition_config_selectorILNS1_17partition_subalgoE6EtNS0_10empty_typeEbEEZZNS1_14partition_implILS5_6ELb0ES3_mN6thrust23THRUST_200600_302600_NS6detail15normal_iteratorINSA_10device_ptrItEEEEPS6_SG_NS0_5tupleIJNSA_16discard_iteratorINSA_11use_defaultEEES6_EEENSH_IJSG_SG_EEES6_PlJNSB_9not_fun_tINSB_14equal_to_valueItEEEEEEE10hipError_tPvRmT3_T4_T5_T6_T7_T9_mT8_P12ihipStream_tbDpT10_ENKUlT_T0_E_clISt17integral_constantIbLb0EES1B_EEDaS16_S17_EUlS16_E_NS1_11comp_targetILNS1_3genE10ELNS1_11target_archE1200ELNS1_3gpuE4ELNS1_3repE0EEENS1_30default_config_static_selectorELNS0_4arch9wavefront6targetE0EEEvT1_.num_named_barrier, 0
	.set _ZN7rocprim17ROCPRIM_400000_NS6detail17trampoline_kernelINS0_14default_configENS1_25partition_config_selectorILNS1_17partition_subalgoE6EtNS0_10empty_typeEbEEZZNS1_14partition_implILS5_6ELb0ES3_mN6thrust23THRUST_200600_302600_NS6detail15normal_iteratorINSA_10device_ptrItEEEEPS6_SG_NS0_5tupleIJNSA_16discard_iteratorINSA_11use_defaultEEES6_EEENSH_IJSG_SG_EEES6_PlJNSB_9not_fun_tINSB_14equal_to_valueItEEEEEEE10hipError_tPvRmT3_T4_T5_T6_T7_T9_mT8_P12ihipStream_tbDpT10_ENKUlT_T0_E_clISt17integral_constantIbLb0EES1B_EEDaS16_S17_EUlS16_E_NS1_11comp_targetILNS1_3genE10ELNS1_11target_archE1200ELNS1_3gpuE4ELNS1_3repE0EEENS1_30default_config_static_selectorELNS0_4arch9wavefront6targetE0EEEvT1_.private_seg_size, 0
	.set _ZN7rocprim17ROCPRIM_400000_NS6detail17trampoline_kernelINS0_14default_configENS1_25partition_config_selectorILNS1_17partition_subalgoE6EtNS0_10empty_typeEbEEZZNS1_14partition_implILS5_6ELb0ES3_mN6thrust23THRUST_200600_302600_NS6detail15normal_iteratorINSA_10device_ptrItEEEEPS6_SG_NS0_5tupleIJNSA_16discard_iteratorINSA_11use_defaultEEES6_EEENSH_IJSG_SG_EEES6_PlJNSB_9not_fun_tINSB_14equal_to_valueItEEEEEEE10hipError_tPvRmT3_T4_T5_T6_T7_T9_mT8_P12ihipStream_tbDpT10_ENKUlT_T0_E_clISt17integral_constantIbLb0EES1B_EEDaS16_S17_EUlS16_E_NS1_11comp_targetILNS1_3genE10ELNS1_11target_archE1200ELNS1_3gpuE4ELNS1_3repE0EEENS1_30default_config_static_selectorELNS0_4arch9wavefront6targetE0EEEvT1_.uses_vcc, 1
	.set _ZN7rocprim17ROCPRIM_400000_NS6detail17trampoline_kernelINS0_14default_configENS1_25partition_config_selectorILNS1_17partition_subalgoE6EtNS0_10empty_typeEbEEZZNS1_14partition_implILS5_6ELb0ES3_mN6thrust23THRUST_200600_302600_NS6detail15normal_iteratorINSA_10device_ptrItEEEEPS6_SG_NS0_5tupleIJNSA_16discard_iteratorINSA_11use_defaultEEES6_EEENSH_IJSG_SG_EEES6_PlJNSB_9not_fun_tINSB_14equal_to_valueItEEEEEEE10hipError_tPvRmT3_T4_T5_T6_T7_T9_mT8_P12ihipStream_tbDpT10_ENKUlT_T0_E_clISt17integral_constantIbLb0EES1B_EEDaS16_S17_EUlS16_E_NS1_11comp_targetILNS1_3genE10ELNS1_11target_archE1200ELNS1_3gpuE4ELNS1_3repE0EEENS1_30default_config_static_selectorELNS0_4arch9wavefront6targetE0EEEvT1_.uses_flat_scratch, 1
	.set _ZN7rocprim17ROCPRIM_400000_NS6detail17trampoline_kernelINS0_14default_configENS1_25partition_config_selectorILNS1_17partition_subalgoE6EtNS0_10empty_typeEbEEZZNS1_14partition_implILS5_6ELb0ES3_mN6thrust23THRUST_200600_302600_NS6detail15normal_iteratorINSA_10device_ptrItEEEEPS6_SG_NS0_5tupleIJNSA_16discard_iteratorINSA_11use_defaultEEES6_EEENSH_IJSG_SG_EEES6_PlJNSB_9not_fun_tINSB_14equal_to_valueItEEEEEEE10hipError_tPvRmT3_T4_T5_T6_T7_T9_mT8_P12ihipStream_tbDpT10_ENKUlT_T0_E_clISt17integral_constantIbLb0EES1B_EEDaS16_S17_EUlS16_E_NS1_11comp_targetILNS1_3genE10ELNS1_11target_archE1200ELNS1_3gpuE4ELNS1_3repE0EEENS1_30default_config_static_selectorELNS0_4arch9wavefront6targetE0EEEvT1_.has_dyn_sized_stack, 0
	.set _ZN7rocprim17ROCPRIM_400000_NS6detail17trampoline_kernelINS0_14default_configENS1_25partition_config_selectorILNS1_17partition_subalgoE6EtNS0_10empty_typeEbEEZZNS1_14partition_implILS5_6ELb0ES3_mN6thrust23THRUST_200600_302600_NS6detail15normal_iteratorINSA_10device_ptrItEEEEPS6_SG_NS0_5tupleIJNSA_16discard_iteratorINSA_11use_defaultEEES6_EEENSH_IJSG_SG_EEES6_PlJNSB_9not_fun_tINSB_14equal_to_valueItEEEEEEE10hipError_tPvRmT3_T4_T5_T6_T7_T9_mT8_P12ihipStream_tbDpT10_ENKUlT_T0_E_clISt17integral_constantIbLb0EES1B_EEDaS16_S17_EUlS16_E_NS1_11comp_targetILNS1_3genE10ELNS1_11target_archE1200ELNS1_3gpuE4ELNS1_3repE0EEENS1_30default_config_static_selectorELNS0_4arch9wavefront6targetE0EEEvT1_.has_recursion, 0
	.set _ZN7rocprim17ROCPRIM_400000_NS6detail17trampoline_kernelINS0_14default_configENS1_25partition_config_selectorILNS1_17partition_subalgoE6EtNS0_10empty_typeEbEEZZNS1_14partition_implILS5_6ELb0ES3_mN6thrust23THRUST_200600_302600_NS6detail15normal_iteratorINSA_10device_ptrItEEEEPS6_SG_NS0_5tupleIJNSA_16discard_iteratorINSA_11use_defaultEEES6_EEENSH_IJSG_SG_EEES6_PlJNSB_9not_fun_tINSB_14equal_to_valueItEEEEEEE10hipError_tPvRmT3_T4_T5_T6_T7_T9_mT8_P12ihipStream_tbDpT10_ENKUlT_T0_E_clISt17integral_constantIbLb0EES1B_EEDaS16_S17_EUlS16_E_NS1_11comp_targetILNS1_3genE10ELNS1_11target_archE1200ELNS1_3gpuE4ELNS1_3repE0EEENS1_30default_config_static_selectorELNS0_4arch9wavefront6targetE0EEEvT1_.has_indirect_call, 0
	.section	.AMDGPU.csdata,"",@progbits
; Kernel info:
; codeLenInByte = 9368
; TotalNumSgprs: 29
; NumVgprs: 63
; ScratchSize: 0
; MemoryBound: 0
; FloatMode: 240
; IeeeMode: 1
; LDSByteSize: 13840 bytes/workgroup (compile time only)
; SGPRBlocks: 0
; VGPRBlocks: 7
; NumSGPRsForWavesPerEU: 29
; NumVGPRsForWavesPerEU: 63
; Occupancy: 15
; WaveLimiterHint : 1
; COMPUTE_PGM_RSRC2:SCRATCH_EN: 0
; COMPUTE_PGM_RSRC2:USER_SGPR: 2
; COMPUTE_PGM_RSRC2:TRAP_HANDLER: 0
; COMPUTE_PGM_RSRC2:TGID_X_EN: 1
; COMPUTE_PGM_RSRC2:TGID_Y_EN: 0
; COMPUTE_PGM_RSRC2:TGID_Z_EN: 0
; COMPUTE_PGM_RSRC2:TIDIG_COMP_CNT: 0
	.section	.text._ZN7rocprim17ROCPRIM_400000_NS6detail17trampoline_kernelINS0_14default_configENS1_25partition_config_selectorILNS1_17partition_subalgoE6EtNS0_10empty_typeEbEEZZNS1_14partition_implILS5_6ELb0ES3_mN6thrust23THRUST_200600_302600_NS6detail15normal_iteratorINSA_10device_ptrItEEEEPS6_SG_NS0_5tupleIJNSA_16discard_iteratorINSA_11use_defaultEEES6_EEENSH_IJSG_SG_EEES6_PlJNSB_9not_fun_tINSB_14equal_to_valueItEEEEEEE10hipError_tPvRmT3_T4_T5_T6_T7_T9_mT8_P12ihipStream_tbDpT10_ENKUlT_T0_E_clISt17integral_constantIbLb0EES1B_EEDaS16_S17_EUlS16_E_NS1_11comp_targetILNS1_3genE9ELNS1_11target_archE1100ELNS1_3gpuE3ELNS1_3repE0EEENS1_30default_config_static_selectorELNS0_4arch9wavefront6targetE0EEEvT1_,"axG",@progbits,_ZN7rocprim17ROCPRIM_400000_NS6detail17trampoline_kernelINS0_14default_configENS1_25partition_config_selectorILNS1_17partition_subalgoE6EtNS0_10empty_typeEbEEZZNS1_14partition_implILS5_6ELb0ES3_mN6thrust23THRUST_200600_302600_NS6detail15normal_iteratorINSA_10device_ptrItEEEEPS6_SG_NS0_5tupleIJNSA_16discard_iteratorINSA_11use_defaultEEES6_EEENSH_IJSG_SG_EEES6_PlJNSB_9not_fun_tINSB_14equal_to_valueItEEEEEEE10hipError_tPvRmT3_T4_T5_T6_T7_T9_mT8_P12ihipStream_tbDpT10_ENKUlT_T0_E_clISt17integral_constantIbLb0EES1B_EEDaS16_S17_EUlS16_E_NS1_11comp_targetILNS1_3genE9ELNS1_11target_archE1100ELNS1_3gpuE3ELNS1_3repE0EEENS1_30default_config_static_selectorELNS0_4arch9wavefront6targetE0EEEvT1_,comdat
	.protected	_ZN7rocprim17ROCPRIM_400000_NS6detail17trampoline_kernelINS0_14default_configENS1_25partition_config_selectorILNS1_17partition_subalgoE6EtNS0_10empty_typeEbEEZZNS1_14partition_implILS5_6ELb0ES3_mN6thrust23THRUST_200600_302600_NS6detail15normal_iteratorINSA_10device_ptrItEEEEPS6_SG_NS0_5tupleIJNSA_16discard_iteratorINSA_11use_defaultEEES6_EEENSH_IJSG_SG_EEES6_PlJNSB_9not_fun_tINSB_14equal_to_valueItEEEEEEE10hipError_tPvRmT3_T4_T5_T6_T7_T9_mT8_P12ihipStream_tbDpT10_ENKUlT_T0_E_clISt17integral_constantIbLb0EES1B_EEDaS16_S17_EUlS16_E_NS1_11comp_targetILNS1_3genE9ELNS1_11target_archE1100ELNS1_3gpuE3ELNS1_3repE0EEENS1_30default_config_static_selectorELNS0_4arch9wavefront6targetE0EEEvT1_ ; -- Begin function _ZN7rocprim17ROCPRIM_400000_NS6detail17trampoline_kernelINS0_14default_configENS1_25partition_config_selectorILNS1_17partition_subalgoE6EtNS0_10empty_typeEbEEZZNS1_14partition_implILS5_6ELb0ES3_mN6thrust23THRUST_200600_302600_NS6detail15normal_iteratorINSA_10device_ptrItEEEEPS6_SG_NS0_5tupleIJNSA_16discard_iteratorINSA_11use_defaultEEES6_EEENSH_IJSG_SG_EEES6_PlJNSB_9not_fun_tINSB_14equal_to_valueItEEEEEEE10hipError_tPvRmT3_T4_T5_T6_T7_T9_mT8_P12ihipStream_tbDpT10_ENKUlT_T0_E_clISt17integral_constantIbLb0EES1B_EEDaS16_S17_EUlS16_E_NS1_11comp_targetILNS1_3genE9ELNS1_11target_archE1100ELNS1_3gpuE3ELNS1_3repE0EEENS1_30default_config_static_selectorELNS0_4arch9wavefront6targetE0EEEvT1_
	.globl	_ZN7rocprim17ROCPRIM_400000_NS6detail17trampoline_kernelINS0_14default_configENS1_25partition_config_selectorILNS1_17partition_subalgoE6EtNS0_10empty_typeEbEEZZNS1_14partition_implILS5_6ELb0ES3_mN6thrust23THRUST_200600_302600_NS6detail15normal_iteratorINSA_10device_ptrItEEEEPS6_SG_NS0_5tupleIJNSA_16discard_iteratorINSA_11use_defaultEEES6_EEENSH_IJSG_SG_EEES6_PlJNSB_9not_fun_tINSB_14equal_to_valueItEEEEEEE10hipError_tPvRmT3_T4_T5_T6_T7_T9_mT8_P12ihipStream_tbDpT10_ENKUlT_T0_E_clISt17integral_constantIbLb0EES1B_EEDaS16_S17_EUlS16_E_NS1_11comp_targetILNS1_3genE9ELNS1_11target_archE1100ELNS1_3gpuE3ELNS1_3repE0EEENS1_30default_config_static_selectorELNS0_4arch9wavefront6targetE0EEEvT1_
	.p2align	8
	.type	_ZN7rocprim17ROCPRIM_400000_NS6detail17trampoline_kernelINS0_14default_configENS1_25partition_config_selectorILNS1_17partition_subalgoE6EtNS0_10empty_typeEbEEZZNS1_14partition_implILS5_6ELb0ES3_mN6thrust23THRUST_200600_302600_NS6detail15normal_iteratorINSA_10device_ptrItEEEEPS6_SG_NS0_5tupleIJNSA_16discard_iteratorINSA_11use_defaultEEES6_EEENSH_IJSG_SG_EEES6_PlJNSB_9not_fun_tINSB_14equal_to_valueItEEEEEEE10hipError_tPvRmT3_T4_T5_T6_T7_T9_mT8_P12ihipStream_tbDpT10_ENKUlT_T0_E_clISt17integral_constantIbLb0EES1B_EEDaS16_S17_EUlS16_E_NS1_11comp_targetILNS1_3genE9ELNS1_11target_archE1100ELNS1_3gpuE3ELNS1_3repE0EEENS1_30default_config_static_selectorELNS0_4arch9wavefront6targetE0EEEvT1_,@function
_ZN7rocprim17ROCPRIM_400000_NS6detail17trampoline_kernelINS0_14default_configENS1_25partition_config_selectorILNS1_17partition_subalgoE6EtNS0_10empty_typeEbEEZZNS1_14partition_implILS5_6ELb0ES3_mN6thrust23THRUST_200600_302600_NS6detail15normal_iteratorINSA_10device_ptrItEEEEPS6_SG_NS0_5tupleIJNSA_16discard_iteratorINSA_11use_defaultEEES6_EEENSH_IJSG_SG_EEES6_PlJNSB_9not_fun_tINSB_14equal_to_valueItEEEEEEE10hipError_tPvRmT3_T4_T5_T6_T7_T9_mT8_P12ihipStream_tbDpT10_ENKUlT_T0_E_clISt17integral_constantIbLb0EES1B_EEDaS16_S17_EUlS16_E_NS1_11comp_targetILNS1_3genE9ELNS1_11target_archE1100ELNS1_3gpuE3ELNS1_3repE0EEENS1_30default_config_static_selectorELNS0_4arch9wavefront6targetE0EEEvT1_: ; @_ZN7rocprim17ROCPRIM_400000_NS6detail17trampoline_kernelINS0_14default_configENS1_25partition_config_selectorILNS1_17partition_subalgoE6EtNS0_10empty_typeEbEEZZNS1_14partition_implILS5_6ELb0ES3_mN6thrust23THRUST_200600_302600_NS6detail15normal_iteratorINSA_10device_ptrItEEEEPS6_SG_NS0_5tupleIJNSA_16discard_iteratorINSA_11use_defaultEEES6_EEENSH_IJSG_SG_EEES6_PlJNSB_9not_fun_tINSB_14equal_to_valueItEEEEEEE10hipError_tPvRmT3_T4_T5_T6_T7_T9_mT8_P12ihipStream_tbDpT10_ENKUlT_T0_E_clISt17integral_constantIbLb0EES1B_EEDaS16_S17_EUlS16_E_NS1_11comp_targetILNS1_3genE9ELNS1_11target_archE1100ELNS1_3gpuE3ELNS1_3repE0EEENS1_30default_config_static_selectorELNS0_4arch9wavefront6targetE0EEEvT1_
; %bb.0:
	.section	.rodata,"a",@progbits
	.p2align	6, 0x0
	.amdhsa_kernel _ZN7rocprim17ROCPRIM_400000_NS6detail17trampoline_kernelINS0_14default_configENS1_25partition_config_selectorILNS1_17partition_subalgoE6EtNS0_10empty_typeEbEEZZNS1_14partition_implILS5_6ELb0ES3_mN6thrust23THRUST_200600_302600_NS6detail15normal_iteratorINSA_10device_ptrItEEEEPS6_SG_NS0_5tupleIJNSA_16discard_iteratorINSA_11use_defaultEEES6_EEENSH_IJSG_SG_EEES6_PlJNSB_9not_fun_tINSB_14equal_to_valueItEEEEEEE10hipError_tPvRmT3_T4_T5_T6_T7_T9_mT8_P12ihipStream_tbDpT10_ENKUlT_T0_E_clISt17integral_constantIbLb0EES1B_EEDaS16_S17_EUlS16_E_NS1_11comp_targetILNS1_3genE9ELNS1_11target_archE1100ELNS1_3gpuE3ELNS1_3repE0EEENS1_30default_config_static_selectorELNS0_4arch9wavefront6targetE0EEEvT1_
		.amdhsa_group_segment_fixed_size 0
		.amdhsa_private_segment_fixed_size 0
		.amdhsa_kernarg_size 120
		.amdhsa_user_sgpr_count 2
		.amdhsa_user_sgpr_dispatch_ptr 0
		.amdhsa_user_sgpr_queue_ptr 0
		.amdhsa_user_sgpr_kernarg_segment_ptr 1
		.amdhsa_user_sgpr_dispatch_id 0
		.amdhsa_user_sgpr_private_segment_size 0
		.amdhsa_wavefront_size32 1
		.amdhsa_uses_dynamic_stack 0
		.amdhsa_enable_private_segment 0
		.amdhsa_system_sgpr_workgroup_id_x 1
		.amdhsa_system_sgpr_workgroup_id_y 0
		.amdhsa_system_sgpr_workgroup_id_z 0
		.amdhsa_system_sgpr_workgroup_info 0
		.amdhsa_system_vgpr_workitem_id 0
		.amdhsa_next_free_vgpr 1
		.amdhsa_next_free_sgpr 1
		.amdhsa_reserve_vcc 0
		.amdhsa_float_round_mode_32 0
		.amdhsa_float_round_mode_16_64 0
		.amdhsa_float_denorm_mode_32 3
		.amdhsa_float_denorm_mode_16_64 3
		.amdhsa_fp16_overflow 0
		.amdhsa_workgroup_processor_mode 1
		.amdhsa_memory_ordered 1
		.amdhsa_forward_progress 1
		.amdhsa_inst_pref_size 0
		.amdhsa_round_robin_scheduling 0
		.amdhsa_exception_fp_ieee_invalid_op 0
		.amdhsa_exception_fp_denorm_src 0
		.amdhsa_exception_fp_ieee_div_zero 0
		.amdhsa_exception_fp_ieee_overflow 0
		.amdhsa_exception_fp_ieee_underflow 0
		.amdhsa_exception_fp_ieee_inexact 0
		.amdhsa_exception_int_div_zero 0
	.end_amdhsa_kernel
	.section	.text._ZN7rocprim17ROCPRIM_400000_NS6detail17trampoline_kernelINS0_14default_configENS1_25partition_config_selectorILNS1_17partition_subalgoE6EtNS0_10empty_typeEbEEZZNS1_14partition_implILS5_6ELb0ES3_mN6thrust23THRUST_200600_302600_NS6detail15normal_iteratorINSA_10device_ptrItEEEEPS6_SG_NS0_5tupleIJNSA_16discard_iteratorINSA_11use_defaultEEES6_EEENSH_IJSG_SG_EEES6_PlJNSB_9not_fun_tINSB_14equal_to_valueItEEEEEEE10hipError_tPvRmT3_T4_T5_T6_T7_T9_mT8_P12ihipStream_tbDpT10_ENKUlT_T0_E_clISt17integral_constantIbLb0EES1B_EEDaS16_S17_EUlS16_E_NS1_11comp_targetILNS1_3genE9ELNS1_11target_archE1100ELNS1_3gpuE3ELNS1_3repE0EEENS1_30default_config_static_selectorELNS0_4arch9wavefront6targetE0EEEvT1_,"axG",@progbits,_ZN7rocprim17ROCPRIM_400000_NS6detail17trampoline_kernelINS0_14default_configENS1_25partition_config_selectorILNS1_17partition_subalgoE6EtNS0_10empty_typeEbEEZZNS1_14partition_implILS5_6ELb0ES3_mN6thrust23THRUST_200600_302600_NS6detail15normal_iteratorINSA_10device_ptrItEEEEPS6_SG_NS0_5tupleIJNSA_16discard_iteratorINSA_11use_defaultEEES6_EEENSH_IJSG_SG_EEES6_PlJNSB_9not_fun_tINSB_14equal_to_valueItEEEEEEE10hipError_tPvRmT3_T4_T5_T6_T7_T9_mT8_P12ihipStream_tbDpT10_ENKUlT_T0_E_clISt17integral_constantIbLb0EES1B_EEDaS16_S17_EUlS16_E_NS1_11comp_targetILNS1_3genE9ELNS1_11target_archE1100ELNS1_3gpuE3ELNS1_3repE0EEENS1_30default_config_static_selectorELNS0_4arch9wavefront6targetE0EEEvT1_,comdat
.Lfunc_end1699:
	.size	_ZN7rocprim17ROCPRIM_400000_NS6detail17trampoline_kernelINS0_14default_configENS1_25partition_config_selectorILNS1_17partition_subalgoE6EtNS0_10empty_typeEbEEZZNS1_14partition_implILS5_6ELb0ES3_mN6thrust23THRUST_200600_302600_NS6detail15normal_iteratorINSA_10device_ptrItEEEEPS6_SG_NS0_5tupleIJNSA_16discard_iteratorINSA_11use_defaultEEES6_EEENSH_IJSG_SG_EEES6_PlJNSB_9not_fun_tINSB_14equal_to_valueItEEEEEEE10hipError_tPvRmT3_T4_T5_T6_T7_T9_mT8_P12ihipStream_tbDpT10_ENKUlT_T0_E_clISt17integral_constantIbLb0EES1B_EEDaS16_S17_EUlS16_E_NS1_11comp_targetILNS1_3genE9ELNS1_11target_archE1100ELNS1_3gpuE3ELNS1_3repE0EEENS1_30default_config_static_selectorELNS0_4arch9wavefront6targetE0EEEvT1_, .Lfunc_end1699-_ZN7rocprim17ROCPRIM_400000_NS6detail17trampoline_kernelINS0_14default_configENS1_25partition_config_selectorILNS1_17partition_subalgoE6EtNS0_10empty_typeEbEEZZNS1_14partition_implILS5_6ELb0ES3_mN6thrust23THRUST_200600_302600_NS6detail15normal_iteratorINSA_10device_ptrItEEEEPS6_SG_NS0_5tupleIJNSA_16discard_iteratorINSA_11use_defaultEEES6_EEENSH_IJSG_SG_EEES6_PlJNSB_9not_fun_tINSB_14equal_to_valueItEEEEEEE10hipError_tPvRmT3_T4_T5_T6_T7_T9_mT8_P12ihipStream_tbDpT10_ENKUlT_T0_E_clISt17integral_constantIbLb0EES1B_EEDaS16_S17_EUlS16_E_NS1_11comp_targetILNS1_3genE9ELNS1_11target_archE1100ELNS1_3gpuE3ELNS1_3repE0EEENS1_30default_config_static_selectorELNS0_4arch9wavefront6targetE0EEEvT1_
                                        ; -- End function
	.set _ZN7rocprim17ROCPRIM_400000_NS6detail17trampoline_kernelINS0_14default_configENS1_25partition_config_selectorILNS1_17partition_subalgoE6EtNS0_10empty_typeEbEEZZNS1_14partition_implILS5_6ELb0ES3_mN6thrust23THRUST_200600_302600_NS6detail15normal_iteratorINSA_10device_ptrItEEEEPS6_SG_NS0_5tupleIJNSA_16discard_iteratorINSA_11use_defaultEEES6_EEENSH_IJSG_SG_EEES6_PlJNSB_9not_fun_tINSB_14equal_to_valueItEEEEEEE10hipError_tPvRmT3_T4_T5_T6_T7_T9_mT8_P12ihipStream_tbDpT10_ENKUlT_T0_E_clISt17integral_constantIbLb0EES1B_EEDaS16_S17_EUlS16_E_NS1_11comp_targetILNS1_3genE9ELNS1_11target_archE1100ELNS1_3gpuE3ELNS1_3repE0EEENS1_30default_config_static_selectorELNS0_4arch9wavefront6targetE0EEEvT1_.num_vgpr, 0
	.set _ZN7rocprim17ROCPRIM_400000_NS6detail17trampoline_kernelINS0_14default_configENS1_25partition_config_selectorILNS1_17partition_subalgoE6EtNS0_10empty_typeEbEEZZNS1_14partition_implILS5_6ELb0ES3_mN6thrust23THRUST_200600_302600_NS6detail15normal_iteratorINSA_10device_ptrItEEEEPS6_SG_NS0_5tupleIJNSA_16discard_iteratorINSA_11use_defaultEEES6_EEENSH_IJSG_SG_EEES6_PlJNSB_9not_fun_tINSB_14equal_to_valueItEEEEEEE10hipError_tPvRmT3_T4_T5_T6_T7_T9_mT8_P12ihipStream_tbDpT10_ENKUlT_T0_E_clISt17integral_constantIbLb0EES1B_EEDaS16_S17_EUlS16_E_NS1_11comp_targetILNS1_3genE9ELNS1_11target_archE1100ELNS1_3gpuE3ELNS1_3repE0EEENS1_30default_config_static_selectorELNS0_4arch9wavefront6targetE0EEEvT1_.num_agpr, 0
	.set _ZN7rocprim17ROCPRIM_400000_NS6detail17trampoline_kernelINS0_14default_configENS1_25partition_config_selectorILNS1_17partition_subalgoE6EtNS0_10empty_typeEbEEZZNS1_14partition_implILS5_6ELb0ES3_mN6thrust23THRUST_200600_302600_NS6detail15normal_iteratorINSA_10device_ptrItEEEEPS6_SG_NS0_5tupleIJNSA_16discard_iteratorINSA_11use_defaultEEES6_EEENSH_IJSG_SG_EEES6_PlJNSB_9not_fun_tINSB_14equal_to_valueItEEEEEEE10hipError_tPvRmT3_T4_T5_T6_T7_T9_mT8_P12ihipStream_tbDpT10_ENKUlT_T0_E_clISt17integral_constantIbLb0EES1B_EEDaS16_S17_EUlS16_E_NS1_11comp_targetILNS1_3genE9ELNS1_11target_archE1100ELNS1_3gpuE3ELNS1_3repE0EEENS1_30default_config_static_selectorELNS0_4arch9wavefront6targetE0EEEvT1_.numbered_sgpr, 0
	.set _ZN7rocprim17ROCPRIM_400000_NS6detail17trampoline_kernelINS0_14default_configENS1_25partition_config_selectorILNS1_17partition_subalgoE6EtNS0_10empty_typeEbEEZZNS1_14partition_implILS5_6ELb0ES3_mN6thrust23THRUST_200600_302600_NS6detail15normal_iteratorINSA_10device_ptrItEEEEPS6_SG_NS0_5tupleIJNSA_16discard_iteratorINSA_11use_defaultEEES6_EEENSH_IJSG_SG_EEES6_PlJNSB_9not_fun_tINSB_14equal_to_valueItEEEEEEE10hipError_tPvRmT3_T4_T5_T6_T7_T9_mT8_P12ihipStream_tbDpT10_ENKUlT_T0_E_clISt17integral_constantIbLb0EES1B_EEDaS16_S17_EUlS16_E_NS1_11comp_targetILNS1_3genE9ELNS1_11target_archE1100ELNS1_3gpuE3ELNS1_3repE0EEENS1_30default_config_static_selectorELNS0_4arch9wavefront6targetE0EEEvT1_.num_named_barrier, 0
	.set _ZN7rocprim17ROCPRIM_400000_NS6detail17trampoline_kernelINS0_14default_configENS1_25partition_config_selectorILNS1_17partition_subalgoE6EtNS0_10empty_typeEbEEZZNS1_14partition_implILS5_6ELb0ES3_mN6thrust23THRUST_200600_302600_NS6detail15normal_iteratorINSA_10device_ptrItEEEEPS6_SG_NS0_5tupleIJNSA_16discard_iteratorINSA_11use_defaultEEES6_EEENSH_IJSG_SG_EEES6_PlJNSB_9not_fun_tINSB_14equal_to_valueItEEEEEEE10hipError_tPvRmT3_T4_T5_T6_T7_T9_mT8_P12ihipStream_tbDpT10_ENKUlT_T0_E_clISt17integral_constantIbLb0EES1B_EEDaS16_S17_EUlS16_E_NS1_11comp_targetILNS1_3genE9ELNS1_11target_archE1100ELNS1_3gpuE3ELNS1_3repE0EEENS1_30default_config_static_selectorELNS0_4arch9wavefront6targetE0EEEvT1_.private_seg_size, 0
	.set _ZN7rocprim17ROCPRIM_400000_NS6detail17trampoline_kernelINS0_14default_configENS1_25partition_config_selectorILNS1_17partition_subalgoE6EtNS0_10empty_typeEbEEZZNS1_14partition_implILS5_6ELb0ES3_mN6thrust23THRUST_200600_302600_NS6detail15normal_iteratorINSA_10device_ptrItEEEEPS6_SG_NS0_5tupleIJNSA_16discard_iteratorINSA_11use_defaultEEES6_EEENSH_IJSG_SG_EEES6_PlJNSB_9not_fun_tINSB_14equal_to_valueItEEEEEEE10hipError_tPvRmT3_T4_T5_T6_T7_T9_mT8_P12ihipStream_tbDpT10_ENKUlT_T0_E_clISt17integral_constantIbLb0EES1B_EEDaS16_S17_EUlS16_E_NS1_11comp_targetILNS1_3genE9ELNS1_11target_archE1100ELNS1_3gpuE3ELNS1_3repE0EEENS1_30default_config_static_selectorELNS0_4arch9wavefront6targetE0EEEvT1_.uses_vcc, 0
	.set _ZN7rocprim17ROCPRIM_400000_NS6detail17trampoline_kernelINS0_14default_configENS1_25partition_config_selectorILNS1_17partition_subalgoE6EtNS0_10empty_typeEbEEZZNS1_14partition_implILS5_6ELb0ES3_mN6thrust23THRUST_200600_302600_NS6detail15normal_iteratorINSA_10device_ptrItEEEEPS6_SG_NS0_5tupleIJNSA_16discard_iteratorINSA_11use_defaultEEES6_EEENSH_IJSG_SG_EEES6_PlJNSB_9not_fun_tINSB_14equal_to_valueItEEEEEEE10hipError_tPvRmT3_T4_T5_T6_T7_T9_mT8_P12ihipStream_tbDpT10_ENKUlT_T0_E_clISt17integral_constantIbLb0EES1B_EEDaS16_S17_EUlS16_E_NS1_11comp_targetILNS1_3genE9ELNS1_11target_archE1100ELNS1_3gpuE3ELNS1_3repE0EEENS1_30default_config_static_selectorELNS0_4arch9wavefront6targetE0EEEvT1_.uses_flat_scratch, 0
	.set _ZN7rocprim17ROCPRIM_400000_NS6detail17trampoline_kernelINS0_14default_configENS1_25partition_config_selectorILNS1_17partition_subalgoE6EtNS0_10empty_typeEbEEZZNS1_14partition_implILS5_6ELb0ES3_mN6thrust23THRUST_200600_302600_NS6detail15normal_iteratorINSA_10device_ptrItEEEEPS6_SG_NS0_5tupleIJNSA_16discard_iteratorINSA_11use_defaultEEES6_EEENSH_IJSG_SG_EEES6_PlJNSB_9not_fun_tINSB_14equal_to_valueItEEEEEEE10hipError_tPvRmT3_T4_T5_T6_T7_T9_mT8_P12ihipStream_tbDpT10_ENKUlT_T0_E_clISt17integral_constantIbLb0EES1B_EEDaS16_S17_EUlS16_E_NS1_11comp_targetILNS1_3genE9ELNS1_11target_archE1100ELNS1_3gpuE3ELNS1_3repE0EEENS1_30default_config_static_selectorELNS0_4arch9wavefront6targetE0EEEvT1_.has_dyn_sized_stack, 0
	.set _ZN7rocprim17ROCPRIM_400000_NS6detail17trampoline_kernelINS0_14default_configENS1_25partition_config_selectorILNS1_17partition_subalgoE6EtNS0_10empty_typeEbEEZZNS1_14partition_implILS5_6ELb0ES3_mN6thrust23THRUST_200600_302600_NS6detail15normal_iteratorINSA_10device_ptrItEEEEPS6_SG_NS0_5tupleIJNSA_16discard_iteratorINSA_11use_defaultEEES6_EEENSH_IJSG_SG_EEES6_PlJNSB_9not_fun_tINSB_14equal_to_valueItEEEEEEE10hipError_tPvRmT3_T4_T5_T6_T7_T9_mT8_P12ihipStream_tbDpT10_ENKUlT_T0_E_clISt17integral_constantIbLb0EES1B_EEDaS16_S17_EUlS16_E_NS1_11comp_targetILNS1_3genE9ELNS1_11target_archE1100ELNS1_3gpuE3ELNS1_3repE0EEENS1_30default_config_static_selectorELNS0_4arch9wavefront6targetE0EEEvT1_.has_recursion, 0
	.set _ZN7rocprim17ROCPRIM_400000_NS6detail17trampoline_kernelINS0_14default_configENS1_25partition_config_selectorILNS1_17partition_subalgoE6EtNS0_10empty_typeEbEEZZNS1_14partition_implILS5_6ELb0ES3_mN6thrust23THRUST_200600_302600_NS6detail15normal_iteratorINSA_10device_ptrItEEEEPS6_SG_NS0_5tupleIJNSA_16discard_iteratorINSA_11use_defaultEEES6_EEENSH_IJSG_SG_EEES6_PlJNSB_9not_fun_tINSB_14equal_to_valueItEEEEEEE10hipError_tPvRmT3_T4_T5_T6_T7_T9_mT8_P12ihipStream_tbDpT10_ENKUlT_T0_E_clISt17integral_constantIbLb0EES1B_EEDaS16_S17_EUlS16_E_NS1_11comp_targetILNS1_3genE9ELNS1_11target_archE1100ELNS1_3gpuE3ELNS1_3repE0EEENS1_30default_config_static_selectorELNS0_4arch9wavefront6targetE0EEEvT1_.has_indirect_call, 0
	.section	.AMDGPU.csdata,"",@progbits
; Kernel info:
; codeLenInByte = 0
; TotalNumSgprs: 0
; NumVgprs: 0
; ScratchSize: 0
; MemoryBound: 0
; FloatMode: 240
; IeeeMode: 1
; LDSByteSize: 0 bytes/workgroup (compile time only)
; SGPRBlocks: 0
; VGPRBlocks: 0
; NumSGPRsForWavesPerEU: 1
; NumVGPRsForWavesPerEU: 1
; Occupancy: 16
; WaveLimiterHint : 0
; COMPUTE_PGM_RSRC2:SCRATCH_EN: 0
; COMPUTE_PGM_RSRC2:USER_SGPR: 2
; COMPUTE_PGM_RSRC2:TRAP_HANDLER: 0
; COMPUTE_PGM_RSRC2:TGID_X_EN: 1
; COMPUTE_PGM_RSRC2:TGID_Y_EN: 0
; COMPUTE_PGM_RSRC2:TGID_Z_EN: 0
; COMPUTE_PGM_RSRC2:TIDIG_COMP_CNT: 0
	.section	.text._ZN7rocprim17ROCPRIM_400000_NS6detail17trampoline_kernelINS0_14default_configENS1_25partition_config_selectorILNS1_17partition_subalgoE6EtNS0_10empty_typeEbEEZZNS1_14partition_implILS5_6ELb0ES3_mN6thrust23THRUST_200600_302600_NS6detail15normal_iteratorINSA_10device_ptrItEEEEPS6_SG_NS0_5tupleIJNSA_16discard_iteratorINSA_11use_defaultEEES6_EEENSH_IJSG_SG_EEES6_PlJNSB_9not_fun_tINSB_14equal_to_valueItEEEEEEE10hipError_tPvRmT3_T4_T5_T6_T7_T9_mT8_P12ihipStream_tbDpT10_ENKUlT_T0_E_clISt17integral_constantIbLb0EES1B_EEDaS16_S17_EUlS16_E_NS1_11comp_targetILNS1_3genE8ELNS1_11target_archE1030ELNS1_3gpuE2ELNS1_3repE0EEENS1_30default_config_static_selectorELNS0_4arch9wavefront6targetE0EEEvT1_,"axG",@progbits,_ZN7rocprim17ROCPRIM_400000_NS6detail17trampoline_kernelINS0_14default_configENS1_25partition_config_selectorILNS1_17partition_subalgoE6EtNS0_10empty_typeEbEEZZNS1_14partition_implILS5_6ELb0ES3_mN6thrust23THRUST_200600_302600_NS6detail15normal_iteratorINSA_10device_ptrItEEEEPS6_SG_NS0_5tupleIJNSA_16discard_iteratorINSA_11use_defaultEEES6_EEENSH_IJSG_SG_EEES6_PlJNSB_9not_fun_tINSB_14equal_to_valueItEEEEEEE10hipError_tPvRmT3_T4_T5_T6_T7_T9_mT8_P12ihipStream_tbDpT10_ENKUlT_T0_E_clISt17integral_constantIbLb0EES1B_EEDaS16_S17_EUlS16_E_NS1_11comp_targetILNS1_3genE8ELNS1_11target_archE1030ELNS1_3gpuE2ELNS1_3repE0EEENS1_30default_config_static_selectorELNS0_4arch9wavefront6targetE0EEEvT1_,comdat
	.protected	_ZN7rocprim17ROCPRIM_400000_NS6detail17trampoline_kernelINS0_14default_configENS1_25partition_config_selectorILNS1_17partition_subalgoE6EtNS0_10empty_typeEbEEZZNS1_14partition_implILS5_6ELb0ES3_mN6thrust23THRUST_200600_302600_NS6detail15normal_iteratorINSA_10device_ptrItEEEEPS6_SG_NS0_5tupleIJNSA_16discard_iteratorINSA_11use_defaultEEES6_EEENSH_IJSG_SG_EEES6_PlJNSB_9not_fun_tINSB_14equal_to_valueItEEEEEEE10hipError_tPvRmT3_T4_T5_T6_T7_T9_mT8_P12ihipStream_tbDpT10_ENKUlT_T0_E_clISt17integral_constantIbLb0EES1B_EEDaS16_S17_EUlS16_E_NS1_11comp_targetILNS1_3genE8ELNS1_11target_archE1030ELNS1_3gpuE2ELNS1_3repE0EEENS1_30default_config_static_selectorELNS0_4arch9wavefront6targetE0EEEvT1_ ; -- Begin function _ZN7rocprim17ROCPRIM_400000_NS6detail17trampoline_kernelINS0_14default_configENS1_25partition_config_selectorILNS1_17partition_subalgoE6EtNS0_10empty_typeEbEEZZNS1_14partition_implILS5_6ELb0ES3_mN6thrust23THRUST_200600_302600_NS6detail15normal_iteratorINSA_10device_ptrItEEEEPS6_SG_NS0_5tupleIJNSA_16discard_iteratorINSA_11use_defaultEEES6_EEENSH_IJSG_SG_EEES6_PlJNSB_9not_fun_tINSB_14equal_to_valueItEEEEEEE10hipError_tPvRmT3_T4_T5_T6_T7_T9_mT8_P12ihipStream_tbDpT10_ENKUlT_T0_E_clISt17integral_constantIbLb0EES1B_EEDaS16_S17_EUlS16_E_NS1_11comp_targetILNS1_3genE8ELNS1_11target_archE1030ELNS1_3gpuE2ELNS1_3repE0EEENS1_30default_config_static_selectorELNS0_4arch9wavefront6targetE0EEEvT1_
	.globl	_ZN7rocprim17ROCPRIM_400000_NS6detail17trampoline_kernelINS0_14default_configENS1_25partition_config_selectorILNS1_17partition_subalgoE6EtNS0_10empty_typeEbEEZZNS1_14partition_implILS5_6ELb0ES3_mN6thrust23THRUST_200600_302600_NS6detail15normal_iteratorINSA_10device_ptrItEEEEPS6_SG_NS0_5tupleIJNSA_16discard_iteratorINSA_11use_defaultEEES6_EEENSH_IJSG_SG_EEES6_PlJNSB_9not_fun_tINSB_14equal_to_valueItEEEEEEE10hipError_tPvRmT3_T4_T5_T6_T7_T9_mT8_P12ihipStream_tbDpT10_ENKUlT_T0_E_clISt17integral_constantIbLb0EES1B_EEDaS16_S17_EUlS16_E_NS1_11comp_targetILNS1_3genE8ELNS1_11target_archE1030ELNS1_3gpuE2ELNS1_3repE0EEENS1_30default_config_static_selectorELNS0_4arch9wavefront6targetE0EEEvT1_
	.p2align	8
	.type	_ZN7rocprim17ROCPRIM_400000_NS6detail17trampoline_kernelINS0_14default_configENS1_25partition_config_selectorILNS1_17partition_subalgoE6EtNS0_10empty_typeEbEEZZNS1_14partition_implILS5_6ELb0ES3_mN6thrust23THRUST_200600_302600_NS6detail15normal_iteratorINSA_10device_ptrItEEEEPS6_SG_NS0_5tupleIJNSA_16discard_iteratorINSA_11use_defaultEEES6_EEENSH_IJSG_SG_EEES6_PlJNSB_9not_fun_tINSB_14equal_to_valueItEEEEEEE10hipError_tPvRmT3_T4_T5_T6_T7_T9_mT8_P12ihipStream_tbDpT10_ENKUlT_T0_E_clISt17integral_constantIbLb0EES1B_EEDaS16_S17_EUlS16_E_NS1_11comp_targetILNS1_3genE8ELNS1_11target_archE1030ELNS1_3gpuE2ELNS1_3repE0EEENS1_30default_config_static_selectorELNS0_4arch9wavefront6targetE0EEEvT1_,@function
_ZN7rocprim17ROCPRIM_400000_NS6detail17trampoline_kernelINS0_14default_configENS1_25partition_config_selectorILNS1_17partition_subalgoE6EtNS0_10empty_typeEbEEZZNS1_14partition_implILS5_6ELb0ES3_mN6thrust23THRUST_200600_302600_NS6detail15normal_iteratorINSA_10device_ptrItEEEEPS6_SG_NS0_5tupleIJNSA_16discard_iteratorINSA_11use_defaultEEES6_EEENSH_IJSG_SG_EEES6_PlJNSB_9not_fun_tINSB_14equal_to_valueItEEEEEEE10hipError_tPvRmT3_T4_T5_T6_T7_T9_mT8_P12ihipStream_tbDpT10_ENKUlT_T0_E_clISt17integral_constantIbLb0EES1B_EEDaS16_S17_EUlS16_E_NS1_11comp_targetILNS1_3genE8ELNS1_11target_archE1030ELNS1_3gpuE2ELNS1_3repE0EEENS1_30default_config_static_selectorELNS0_4arch9wavefront6targetE0EEEvT1_: ; @_ZN7rocprim17ROCPRIM_400000_NS6detail17trampoline_kernelINS0_14default_configENS1_25partition_config_selectorILNS1_17partition_subalgoE6EtNS0_10empty_typeEbEEZZNS1_14partition_implILS5_6ELb0ES3_mN6thrust23THRUST_200600_302600_NS6detail15normal_iteratorINSA_10device_ptrItEEEEPS6_SG_NS0_5tupleIJNSA_16discard_iteratorINSA_11use_defaultEEES6_EEENSH_IJSG_SG_EEES6_PlJNSB_9not_fun_tINSB_14equal_to_valueItEEEEEEE10hipError_tPvRmT3_T4_T5_T6_T7_T9_mT8_P12ihipStream_tbDpT10_ENKUlT_T0_E_clISt17integral_constantIbLb0EES1B_EEDaS16_S17_EUlS16_E_NS1_11comp_targetILNS1_3genE8ELNS1_11target_archE1030ELNS1_3gpuE2ELNS1_3repE0EEENS1_30default_config_static_selectorELNS0_4arch9wavefront6targetE0EEEvT1_
; %bb.0:
	.section	.rodata,"a",@progbits
	.p2align	6, 0x0
	.amdhsa_kernel _ZN7rocprim17ROCPRIM_400000_NS6detail17trampoline_kernelINS0_14default_configENS1_25partition_config_selectorILNS1_17partition_subalgoE6EtNS0_10empty_typeEbEEZZNS1_14partition_implILS5_6ELb0ES3_mN6thrust23THRUST_200600_302600_NS6detail15normal_iteratorINSA_10device_ptrItEEEEPS6_SG_NS0_5tupleIJNSA_16discard_iteratorINSA_11use_defaultEEES6_EEENSH_IJSG_SG_EEES6_PlJNSB_9not_fun_tINSB_14equal_to_valueItEEEEEEE10hipError_tPvRmT3_T4_T5_T6_T7_T9_mT8_P12ihipStream_tbDpT10_ENKUlT_T0_E_clISt17integral_constantIbLb0EES1B_EEDaS16_S17_EUlS16_E_NS1_11comp_targetILNS1_3genE8ELNS1_11target_archE1030ELNS1_3gpuE2ELNS1_3repE0EEENS1_30default_config_static_selectorELNS0_4arch9wavefront6targetE0EEEvT1_
		.amdhsa_group_segment_fixed_size 0
		.amdhsa_private_segment_fixed_size 0
		.amdhsa_kernarg_size 120
		.amdhsa_user_sgpr_count 2
		.amdhsa_user_sgpr_dispatch_ptr 0
		.amdhsa_user_sgpr_queue_ptr 0
		.amdhsa_user_sgpr_kernarg_segment_ptr 1
		.amdhsa_user_sgpr_dispatch_id 0
		.amdhsa_user_sgpr_private_segment_size 0
		.amdhsa_wavefront_size32 1
		.amdhsa_uses_dynamic_stack 0
		.amdhsa_enable_private_segment 0
		.amdhsa_system_sgpr_workgroup_id_x 1
		.amdhsa_system_sgpr_workgroup_id_y 0
		.amdhsa_system_sgpr_workgroup_id_z 0
		.amdhsa_system_sgpr_workgroup_info 0
		.amdhsa_system_vgpr_workitem_id 0
		.amdhsa_next_free_vgpr 1
		.amdhsa_next_free_sgpr 1
		.amdhsa_reserve_vcc 0
		.amdhsa_float_round_mode_32 0
		.amdhsa_float_round_mode_16_64 0
		.amdhsa_float_denorm_mode_32 3
		.amdhsa_float_denorm_mode_16_64 3
		.amdhsa_fp16_overflow 0
		.amdhsa_workgroup_processor_mode 1
		.amdhsa_memory_ordered 1
		.amdhsa_forward_progress 1
		.amdhsa_inst_pref_size 0
		.amdhsa_round_robin_scheduling 0
		.amdhsa_exception_fp_ieee_invalid_op 0
		.amdhsa_exception_fp_denorm_src 0
		.amdhsa_exception_fp_ieee_div_zero 0
		.amdhsa_exception_fp_ieee_overflow 0
		.amdhsa_exception_fp_ieee_underflow 0
		.amdhsa_exception_fp_ieee_inexact 0
		.amdhsa_exception_int_div_zero 0
	.end_amdhsa_kernel
	.section	.text._ZN7rocprim17ROCPRIM_400000_NS6detail17trampoline_kernelINS0_14default_configENS1_25partition_config_selectorILNS1_17partition_subalgoE6EtNS0_10empty_typeEbEEZZNS1_14partition_implILS5_6ELb0ES3_mN6thrust23THRUST_200600_302600_NS6detail15normal_iteratorINSA_10device_ptrItEEEEPS6_SG_NS0_5tupleIJNSA_16discard_iteratorINSA_11use_defaultEEES6_EEENSH_IJSG_SG_EEES6_PlJNSB_9not_fun_tINSB_14equal_to_valueItEEEEEEE10hipError_tPvRmT3_T4_T5_T6_T7_T9_mT8_P12ihipStream_tbDpT10_ENKUlT_T0_E_clISt17integral_constantIbLb0EES1B_EEDaS16_S17_EUlS16_E_NS1_11comp_targetILNS1_3genE8ELNS1_11target_archE1030ELNS1_3gpuE2ELNS1_3repE0EEENS1_30default_config_static_selectorELNS0_4arch9wavefront6targetE0EEEvT1_,"axG",@progbits,_ZN7rocprim17ROCPRIM_400000_NS6detail17trampoline_kernelINS0_14default_configENS1_25partition_config_selectorILNS1_17partition_subalgoE6EtNS0_10empty_typeEbEEZZNS1_14partition_implILS5_6ELb0ES3_mN6thrust23THRUST_200600_302600_NS6detail15normal_iteratorINSA_10device_ptrItEEEEPS6_SG_NS0_5tupleIJNSA_16discard_iteratorINSA_11use_defaultEEES6_EEENSH_IJSG_SG_EEES6_PlJNSB_9not_fun_tINSB_14equal_to_valueItEEEEEEE10hipError_tPvRmT3_T4_T5_T6_T7_T9_mT8_P12ihipStream_tbDpT10_ENKUlT_T0_E_clISt17integral_constantIbLb0EES1B_EEDaS16_S17_EUlS16_E_NS1_11comp_targetILNS1_3genE8ELNS1_11target_archE1030ELNS1_3gpuE2ELNS1_3repE0EEENS1_30default_config_static_selectorELNS0_4arch9wavefront6targetE0EEEvT1_,comdat
.Lfunc_end1700:
	.size	_ZN7rocprim17ROCPRIM_400000_NS6detail17trampoline_kernelINS0_14default_configENS1_25partition_config_selectorILNS1_17partition_subalgoE6EtNS0_10empty_typeEbEEZZNS1_14partition_implILS5_6ELb0ES3_mN6thrust23THRUST_200600_302600_NS6detail15normal_iteratorINSA_10device_ptrItEEEEPS6_SG_NS0_5tupleIJNSA_16discard_iteratorINSA_11use_defaultEEES6_EEENSH_IJSG_SG_EEES6_PlJNSB_9not_fun_tINSB_14equal_to_valueItEEEEEEE10hipError_tPvRmT3_T4_T5_T6_T7_T9_mT8_P12ihipStream_tbDpT10_ENKUlT_T0_E_clISt17integral_constantIbLb0EES1B_EEDaS16_S17_EUlS16_E_NS1_11comp_targetILNS1_3genE8ELNS1_11target_archE1030ELNS1_3gpuE2ELNS1_3repE0EEENS1_30default_config_static_selectorELNS0_4arch9wavefront6targetE0EEEvT1_, .Lfunc_end1700-_ZN7rocprim17ROCPRIM_400000_NS6detail17trampoline_kernelINS0_14default_configENS1_25partition_config_selectorILNS1_17partition_subalgoE6EtNS0_10empty_typeEbEEZZNS1_14partition_implILS5_6ELb0ES3_mN6thrust23THRUST_200600_302600_NS6detail15normal_iteratorINSA_10device_ptrItEEEEPS6_SG_NS0_5tupleIJNSA_16discard_iteratorINSA_11use_defaultEEES6_EEENSH_IJSG_SG_EEES6_PlJNSB_9not_fun_tINSB_14equal_to_valueItEEEEEEE10hipError_tPvRmT3_T4_T5_T6_T7_T9_mT8_P12ihipStream_tbDpT10_ENKUlT_T0_E_clISt17integral_constantIbLb0EES1B_EEDaS16_S17_EUlS16_E_NS1_11comp_targetILNS1_3genE8ELNS1_11target_archE1030ELNS1_3gpuE2ELNS1_3repE0EEENS1_30default_config_static_selectorELNS0_4arch9wavefront6targetE0EEEvT1_
                                        ; -- End function
	.set _ZN7rocprim17ROCPRIM_400000_NS6detail17trampoline_kernelINS0_14default_configENS1_25partition_config_selectorILNS1_17partition_subalgoE6EtNS0_10empty_typeEbEEZZNS1_14partition_implILS5_6ELb0ES3_mN6thrust23THRUST_200600_302600_NS6detail15normal_iteratorINSA_10device_ptrItEEEEPS6_SG_NS0_5tupleIJNSA_16discard_iteratorINSA_11use_defaultEEES6_EEENSH_IJSG_SG_EEES6_PlJNSB_9not_fun_tINSB_14equal_to_valueItEEEEEEE10hipError_tPvRmT3_T4_T5_T6_T7_T9_mT8_P12ihipStream_tbDpT10_ENKUlT_T0_E_clISt17integral_constantIbLb0EES1B_EEDaS16_S17_EUlS16_E_NS1_11comp_targetILNS1_3genE8ELNS1_11target_archE1030ELNS1_3gpuE2ELNS1_3repE0EEENS1_30default_config_static_selectorELNS0_4arch9wavefront6targetE0EEEvT1_.num_vgpr, 0
	.set _ZN7rocprim17ROCPRIM_400000_NS6detail17trampoline_kernelINS0_14default_configENS1_25partition_config_selectorILNS1_17partition_subalgoE6EtNS0_10empty_typeEbEEZZNS1_14partition_implILS5_6ELb0ES3_mN6thrust23THRUST_200600_302600_NS6detail15normal_iteratorINSA_10device_ptrItEEEEPS6_SG_NS0_5tupleIJNSA_16discard_iteratorINSA_11use_defaultEEES6_EEENSH_IJSG_SG_EEES6_PlJNSB_9not_fun_tINSB_14equal_to_valueItEEEEEEE10hipError_tPvRmT3_T4_T5_T6_T7_T9_mT8_P12ihipStream_tbDpT10_ENKUlT_T0_E_clISt17integral_constantIbLb0EES1B_EEDaS16_S17_EUlS16_E_NS1_11comp_targetILNS1_3genE8ELNS1_11target_archE1030ELNS1_3gpuE2ELNS1_3repE0EEENS1_30default_config_static_selectorELNS0_4arch9wavefront6targetE0EEEvT1_.num_agpr, 0
	.set _ZN7rocprim17ROCPRIM_400000_NS6detail17trampoline_kernelINS0_14default_configENS1_25partition_config_selectorILNS1_17partition_subalgoE6EtNS0_10empty_typeEbEEZZNS1_14partition_implILS5_6ELb0ES3_mN6thrust23THRUST_200600_302600_NS6detail15normal_iteratorINSA_10device_ptrItEEEEPS6_SG_NS0_5tupleIJNSA_16discard_iteratorINSA_11use_defaultEEES6_EEENSH_IJSG_SG_EEES6_PlJNSB_9not_fun_tINSB_14equal_to_valueItEEEEEEE10hipError_tPvRmT3_T4_T5_T6_T7_T9_mT8_P12ihipStream_tbDpT10_ENKUlT_T0_E_clISt17integral_constantIbLb0EES1B_EEDaS16_S17_EUlS16_E_NS1_11comp_targetILNS1_3genE8ELNS1_11target_archE1030ELNS1_3gpuE2ELNS1_3repE0EEENS1_30default_config_static_selectorELNS0_4arch9wavefront6targetE0EEEvT1_.numbered_sgpr, 0
	.set _ZN7rocprim17ROCPRIM_400000_NS6detail17trampoline_kernelINS0_14default_configENS1_25partition_config_selectorILNS1_17partition_subalgoE6EtNS0_10empty_typeEbEEZZNS1_14partition_implILS5_6ELb0ES3_mN6thrust23THRUST_200600_302600_NS6detail15normal_iteratorINSA_10device_ptrItEEEEPS6_SG_NS0_5tupleIJNSA_16discard_iteratorINSA_11use_defaultEEES6_EEENSH_IJSG_SG_EEES6_PlJNSB_9not_fun_tINSB_14equal_to_valueItEEEEEEE10hipError_tPvRmT3_T4_T5_T6_T7_T9_mT8_P12ihipStream_tbDpT10_ENKUlT_T0_E_clISt17integral_constantIbLb0EES1B_EEDaS16_S17_EUlS16_E_NS1_11comp_targetILNS1_3genE8ELNS1_11target_archE1030ELNS1_3gpuE2ELNS1_3repE0EEENS1_30default_config_static_selectorELNS0_4arch9wavefront6targetE0EEEvT1_.num_named_barrier, 0
	.set _ZN7rocprim17ROCPRIM_400000_NS6detail17trampoline_kernelINS0_14default_configENS1_25partition_config_selectorILNS1_17partition_subalgoE6EtNS0_10empty_typeEbEEZZNS1_14partition_implILS5_6ELb0ES3_mN6thrust23THRUST_200600_302600_NS6detail15normal_iteratorINSA_10device_ptrItEEEEPS6_SG_NS0_5tupleIJNSA_16discard_iteratorINSA_11use_defaultEEES6_EEENSH_IJSG_SG_EEES6_PlJNSB_9not_fun_tINSB_14equal_to_valueItEEEEEEE10hipError_tPvRmT3_T4_T5_T6_T7_T9_mT8_P12ihipStream_tbDpT10_ENKUlT_T0_E_clISt17integral_constantIbLb0EES1B_EEDaS16_S17_EUlS16_E_NS1_11comp_targetILNS1_3genE8ELNS1_11target_archE1030ELNS1_3gpuE2ELNS1_3repE0EEENS1_30default_config_static_selectorELNS0_4arch9wavefront6targetE0EEEvT1_.private_seg_size, 0
	.set _ZN7rocprim17ROCPRIM_400000_NS6detail17trampoline_kernelINS0_14default_configENS1_25partition_config_selectorILNS1_17partition_subalgoE6EtNS0_10empty_typeEbEEZZNS1_14partition_implILS5_6ELb0ES3_mN6thrust23THRUST_200600_302600_NS6detail15normal_iteratorINSA_10device_ptrItEEEEPS6_SG_NS0_5tupleIJNSA_16discard_iteratorINSA_11use_defaultEEES6_EEENSH_IJSG_SG_EEES6_PlJNSB_9not_fun_tINSB_14equal_to_valueItEEEEEEE10hipError_tPvRmT3_T4_T5_T6_T7_T9_mT8_P12ihipStream_tbDpT10_ENKUlT_T0_E_clISt17integral_constantIbLb0EES1B_EEDaS16_S17_EUlS16_E_NS1_11comp_targetILNS1_3genE8ELNS1_11target_archE1030ELNS1_3gpuE2ELNS1_3repE0EEENS1_30default_config_static_selectorELNS0_4arch9wavefront6targetE0EEEvT1_.uses_vcc, 0
	.set _ZN7rocprim17ROCPRIM_400000_NS6detail17trampoline_kernelINS0_14default_configENS1_25partition_config_selectorILNS1_17partition_subalgoE6EtNS0_10empty_typeEbEEZZNS1_14partition_implILS5_6ELb0ES3_mN6thrust23THRUST_200600_302600_NS6detail15normal_iteratorINSA_10device_ptrItEEEEPS6_SG_NS0_5tupleIJNSA_16discard_iteratorINSA_11use_defaultEEES6_EEENSH_IJSG_SG_EEES6_PlJNSB_9not_fun_tINSB_14equal_to_valueItEEEEEEE10hipError_tPvRmT3_T4_T5_T6_T7_T9_mT8_P12ihipStream_tbDpT10_ENKUlT_T0_E_clISt17integral_constantIbLb0EES1B_EEDaS16_S17_EUlS16_E_NS1_11comp_targetILNS1_3genE8ELNS1_11target_archE1030ELNS1_3gpuE2ELNS1_3repE0EEENS1_30default_config_static_selectorELNS0_4arch9wavefront6targetE0EEEvT1_.uses_flat_scratch, 0
	.set _ZN7rocprim17ROCPRIM_400000_NS6detail17trampoline_kernelINS0_14default_configENS1_25partition_config_selectorILNS1_17partition_subalgoE6EtNS0_10empty_typeEbEEZZNS1_14partition_implILS5_6ELb0ES3_mN6thrust23THRUST_200600_302600_NS6detail15normal_iteratorINSA_10device_ptrItEEEEPS6_SG_NS0_5tupleIJNSA_16discard_iteratorINSA_11use_defaultEEES6_EEENSH_IJSG_SG_EEES6_PlJNSB_9not_fun_tINSB_14equal_to_valueItEEEEEEE10hipError_tPvRmT3_T4_T5_T6_T7_T9_mT8_P12ihipStream_tbDpT10_ENKUlT_T0_E_clISt17integral_constantIbLb0EES1B_EEDaS16_S17_EUlS16_E_NS1_11comp_targetILNS1_3genE8ELNS1_11target_archE1030ELNS1_3gpuE2ELNS1_3repE0EEENS1_30default_config_static_selectorELNS0_4arch9wavefront6targetE0EEEvT1_.has_dyn_sized_stack, 0
	.set _ZN7rocprim17ROCPRIM_400000_NS6detail17trampoline_kernelINS0_14default_configENS1_25partition_config_selectorILNS1_17partition_subalgoE6EtNS0_10empty_typeEbEEZZNS1_14partition_implILS5_6ELb0ES3_mN6thrust23THRUST_200600_302600_NS6detail15normal_iteratorINSA_10device_ptrItEEEEPS6_SG_NS0_5tupleIJNSA_16discard_iteratorINSA_11use_defaultEEES6_EEENSH_IJSG_SG_EEES6_PlJNSB_9not_fun_tINSB_14equal_to_valueItEEEEEEE10hipError_tPvRmT3_T4_T5_T6_T7_T9_mT8_P12ihipStream_tbDpT10_ENKUlT_T0_E_clISt17integral_constantIbLb0EES1B_EEDaS16_S17_EUlS16_E_NS1_11comp_targetILNS1_3genE8ELNS1_11target_archE1030ELNS1_3gpuE2ELNS1_3repE0EEENS1_30default_config_static_selectorELNS0_4arch9wavefront6targetE0EEEvT1_.has_recursion, 0
	.set _ZN7rocprim17ROCPRIM_400000_NS6detail17trampoline_kernelINS0_14default_configENS1_25partition_config_selectorILNS1_17partition_subalgoE6EtNS0_10empty_typeEbEEZZNS1_14partition_implILS5_6ELb0ES3_mN6thrust23THRUST_200600_302600_NS6detail15normal_iteratorINSA_10device_ptrItEEEEPS6_SG_NS0_5tupleIJNSA_16discard_iteratorINSA_11use_defaultEEES6_EEENSH_IJSG_SG_EEES6_PlJNSB_9not_fun_tINSB_14equal_to_valueItEEEEEEE10hipError_tPvRmT3_T4_T5_T6_T7_T9_mT8_P12ihipStream_tbDpT10_ENKUlT_T0_E_clISt17integral_constantIbLb0EES1B_EEDaS16_S17_EUlS16_E_NS1_11comp_targetILNS1_3genE8ELNS1_11target_archE1030ELNS1_3gpuE2ELNS1_3repE0EEENS1_30default_config_static_selectorELNS0_4arch9wavefront6targetE0EEEvT1_.has_indirect_call, 0
	.section	.AMDGPU.csdata,"",@progbits
; Kernel info:
; codeLenInByte = 0
; TotalNumSgprs: 0
; NumVgprs: 0
; ScratchSize: 0
; MemoryBound: 0
; FloatMode: 240
; IeeeMode: 1
; LDSByteSize: 0 bytes/workgroup (compile time only)
; SGPRBlocks: 0
; VGPRBlocks: 0
; NumSGPRsForWavesPerEU: 1
; NumVGPRsForWavesPerEU: 1
; Occupancy: 16
; WaveLimiterHint : 0
; COMPUTE_PGM_RSRC2:SCRATCH_EN: 0
; COMPUTE_PGM_RSRC2:USER_SGPR: 2
; COMPUTE_PGM_RSRC2:TRAP_HANDLER: 0
; COMPUTE_PGM_RSRC2:TGID_X_EN: 1
; COMPUTE_PGM_RSRC2:TGID_Y_EN: 0
; COMPUTE_PGM_RSRC2:TGID_Z_EN: 0
; COMPUTE_PGM_RSRC2:TIDIG_COMP_CNT: 0
	.section	.text._ZN7rocprim17ROCPRIM_400000_NS6detail17trampoline_kernelINS0_14default_configENS1_25partition_config_selectorILNS1_17partition_subalgoE6EtNS0_10empty_typeEbEEZZNS1_14partition_implILS5_6ELb0ES3_mN6thrust23THRUST_200600_302600_NS6detail15normal_iteratorINSA_10device_ptrItEEEEPS6_SG_NS0_5tupleIJNSA_16discard_iteratorINSA_11use_defaultEEES6_EEENSH_IJSG_SG_EEES6_PlJNSB_9not_fun_tINSB_14equal_to_valueItEEEEEEE10hipError_tPvRmT3_T4_T5_T6_T7_T9_mT8_P12ihipStream_tbDpT10_ENKUlT_T0_E_clISt17integral_constantIbLb1EES1B_EEDaS16_S17_EUlS16_E_NS1_11comp_targetILNS1_3genE0ELNS1_11target_archE4294967295ELNS1_3gpuE0ELNS1_3repE0EEENS1_30default_config_static_selectorELNS0_4arch9wavefront6targetE0EEEvT1_,"axG",@progbits,_ZN7rocprim17ROCPRIM_400000_NS6detail17trampoline_kernelINS0_14default_configENS1_25partition_config_selectorILNS1_17partition_subalgoE6EtNS0_10empty_typeEbEEZZNS1_14partition_implILS5_6ELb0ES3_mN6thrust23THRUST_200600_302600_NS6detail15normal_iteratorINSA_10device_ptrItEEEEPS6_SG_NS0_5tupleIJNSA_16discard_iteratorINSA_11use_defaultEEES6_EEENSH_IJSG_SG_EEES6_PlJNSB_9not_fun_tINSB_14equal_to_valueItEEEEEEE10hipError_tPvRmT3_T4_T5_T6_T7_T9_mT8_P12ihipStream_tbDpT10_ENKUlT_T0_E_clISt17integral_constantIbLb1EES1B_EEDaS16_S17_EUlS16_E_NS1_11comp_targetILNS1_3genE0ELNS1_11target_archE4294967295ELNS1_3gpuE0ELNS1_3repE0EEENS1_30default_config_static_selectorELNS0_4arch9wavefront6targetE0EEEvT1_,comdat
	.protected	_ZN7rocprim17ROCPRIM_400000_NS6detail17trampoline_kernelINS0_14default_configENS1_25partition_config_selectorILNS1_17partition_subalgoE6EtNS0_10empty_typeEbEEZZNS1_14partition_implILS5_6ELb0ES3_mN6thrust23THRUST_200600_302600_NS6detail15normal_iteratorINSA_10device_ptrItEEEEPS6_SG_NS0_5tupleIJNSA_16discard_iteratorINSA_11use_defaultEEES6_EEENSH_IJSG_SG_EEES6_PlJNSB_9not_fun_tINSB_14equal_to_valueItEEEEEEE10hipError_tPvRmT3_T4_T5_T6_T7_T9_mT8_P12ihipStream_tbDpT10_ENKUlT_T0_E_clISt17integral_constantIbLb1EES1B_EEDaS16_S17_EUlS16_E_NS1_11comp_targetILNS1_3genE0ELNS1_11target_archE4294967295ELNS1_3gpuE0ELNS1_3repE0EEENS1_30default_config_static_selectorELNS0_4arch9wavefront6targetE0EEEvT1_ ; -- Begin function _ZN7rocprim17ROCPRIM_400000_NS6detail17trampoline_kernelINS0_14default_configENS1_25partition_config_selectorILNS1_17partition_subalgoE6EtNS0_10empty_typeEbEEZZNS1_14partition_implILS5_6ELb0ES3_mN6thrust23THRUST_200600_302600_NS6detail15normal_iteratorINSA_10device_ptrItEEEEPS6_SG_NS0_5tupleIJNSA_16discard_iteratorINSA_11use_defaultEEES6_EEENSH_IJSG_SG_EEES6_PlJNSB_9not_fun_tINSB_14equal_to_valueItEEEEEEE10hipError_tPvRmT3_T4_T5_T6_T7_T9_mT8_P12ihipStream_tbDpT10_ENKUlT_T0_E_clISt17integral_constantIbLb1EES1B_EEDaS16_S17_EUlS16_E_NS1_11comp_targetILNS1_3genE0ELNS1_11target_archE4294967295ELNS1_3gpuE0ELNS1_3repE0EEENS1_30default_config_static_selectorELNS0_4arch9wavefront6targetE0EEEvT1_
	.globl	_ZN7rocprim17ROCPRIM_400000_NS6detail17trampoline_kernelINS0_14default_configENS1_25partition_config_selectorILNS1_17partition_subalgoE6EtNS0_10empty_typeEbEEZZNS1_14partition_implILS5_6ELb0ES3_mN6thrust23THRUST_200600_302600_NS6detail15normal_iteratorINSA_10device_ptrItEEEEPS6_SG_NS0_5tupleIJNSA_16discard_iteratorINSA_11use_defaultEEES6_EEENSH_IJSG_SG_EEES6_PlJNSB_9not_fun_tINSB_14equal_to_valueItEEEEEEE10hipError_tPvRmT3_T4_T5_T6_T7_T9_mT8_P12ihipStream_tbDpT10_ENKUlT_T0_E_clISt17integral_constantIbLb1EES1B_EEDaS16_S17_EUlS16_E_NS1_11comp_targetILNS1_3genE0ELNS1_11target_archE4294967295ELNS1_3gpuE0ELNS1_3repE0EEENS1_30default_config_static_selectorELNS0_4arch9wavefront6targetE0EEEvT1_
	.p2align	8
	.type	_ZN7rocprim17ROCPRIM_400000_NS6detail17trampoline_kernelINS0_14default_configENS1_25partition_config_selectorILNS1_17partition_subalgoE6EtNS0_10empty_typeEbEEZZNS1_14partition_implILS5_6ELb0ES3_mN6thrust23THRUST_200600_302600_NS6detail15normal_iteratorINSA_10device_ptrItEEEEPS6_SG_NS0_5tupleIJNSA_16discard_iteratorINSA_11use_defaultEEES6_EEENSH_IJSG_SG_EEES6_PlJNSB_9not_fun_tINSB_14equal_to_valueItEEEEEEE10hipError_tPvRmT3_T4_T5_T6_T7_T9_mT8_P12ihipStream_tbDpT10_ENKUlT_T0_E_clISt17integral_constantIbLb1EES1B_EEDaS16_S17_EUlS16_E_NS1_11comp_targetILNS1_3genE0ELNS1_11target_archE4294967295ELNS1_3gpuE0ELNS1_3repE0EEENS1_30default_config_static_selectorELNS0_4arch9wavefront6targetE0EEEvT1_,@function
_ZN7rocprim17ROCPRIM_400000_NS6detail17trampoline_kernelINS0_14default_configENS1_25partition_config_selectorILNS1_17partition_subalgoE6EtNS0_10empty_typeEbEEZZNS1_14partition_implILS5_6ELb0ES3_mN6thrust23THRUST_200600_302600_NS6detail15normal_iteratorINSA_10device_ptrItEEEEPS6_SG_NS0_5tupleIJNSA_16discard_iteratorINSA_11use_defaultEEES6_EEENSH_IJSG_SG_EEES6_PlJNSB_9not_fun_tINSB_14equal_to_valueItEEEEEEE10hipError_tPvRmT3_T4_T5_T6_T7_T9_mT8_P12ihipStream_tbDpT10_ENKUlT_T0_E_clISt17integral_constantIbLb1EES1B_EEDaS16_S17_EUlS16_E_NS1_11comp_targetILNS1_3genE0ELNS1_11target_archE4294967295ELNS1_3gpuE0ELNS1_3repE0EEENS1_30default_config_static_selectorELNS0_4arch9wavefront6targetE0EEEvT1_: ; @_ZN7rocprim17ROCPRIM_400000_NS6detail17trampoline_kernelINS0_14default_configENS1_25partition_config_selectorILNS1_17partition_subalgoE6EtNS0_10empty_typeEbEEZZNS1_14partition_implILS5_6ELb0ES3_mN6thrust23THRUST_200600_302600_NS6detail15normal_iteratorINSA_10device_ptrItEEEEPS6_SG_NS0_5tupleIJNSA_16discard_iteratorINSA_11use_defaultEEES6_EEENSH_IJSG_SG_EEES6_PlJNSB_9not_fun_tINSB_14equal_to_valueItEEEEEEE10hipError_tPvRmT3_T4_T5_T6_T7_T9_mT8_P12ihipStream_tbDpT10_ENKUlT_T0_E_clISt17integral_constantIbLb1EES1B_EEDaS16_S17_EUlS16_E_NS1_11comp_targetILNS1_3genE0ELNS1_11target_archE4294967295ELNS1_3gpuE0ELNS1_3repE0EEENS1_30default_config_static_selectorELNS0_4arch9wavefront6targetE0EEEvT1_
; %bb.0:
	.section	.rodata,"a",@progbits
	.p2align	6, 0x0
	.amdhsa_kernel _ZN7rocprim17ROCPRIM_400000_NS6detail17trampoline_kernelINS0_14default_configENS1_25partition_config_selectorILNS1_17partition_subalgoE6EtNS0_10empty_typeEbEEZZNS1_14partition_implILS5_6ELb0ES3_mN6thrust23THRUST_200600_302600_NS6detail15normal_iteratorINSA_10device_ptrItEEEEPS6_SG_NS0_5tupleIJNSA_16discard_iteratorINSA_11use_defaultEEES6_EEENSH_IJSG_SG_EEES6_PlJNSB_9not_fun_tINSB_14equal_to_valueItEEEEEEE10hipError_tPvRmT3_T4_T5_T6_T7_T9_mT8_P12ihipStream_tbDpT10_ENKUlT_T0_E_clISt17integral_constantIbLb1EES1B_EEDaS16_S17_EUlS16_E_NS1_11comp_targetILNS1_3genE0ELNS1_11target_archE4294967295ELNS1_3gpuE0ELNS1_3repE0EEENS1_30default_config_static_selectorELNS0_4arch9wavefront6targetE0EEEvT1_
		.amdhsa_group_segment_fixed_size 0
		.amdhsa_private_segment_fixed_size 0
		.amdhsa_kernarg_size 136
		.amdhsa_user_sgpr_count 2
		.amdhsa_user_sgpr_dispatch_ptr 0
		.amdhsa_user_sgpr_queue_ptr 0
		.amdhsa_user_sgpr_kernarg_segment_ptr 1
		.amdhsa_user_sgpr_dispatch_id 0
		.amdhsa_user_sgpr_private_segment_size 0
		.amdhsa_wavefront_size32 1
		.amdhsa_uses_dynamic_stack 0
		.amdhsa_enable_private_segment 0
		.amdhsa_system_sgpr_workgroup_id_x 1
		.amdhsa_system_sgpr_workgroup_id_y 0
		.amdhsa_system_sgpr_workgroup_id_z 0
		.amdhsa_system_sgpr_workgroup_info 0
		.amdhsa_system_vgpr_workitem_id 0
		.amdhsa_next_free_vgpr 1
		.amdhsa_next_free_sgpr 1
		.amdhsa_reserve_vcc 0
		.amdhsa_float_round_mode_32 0
		.amdhsa_float_round_mode_16_64 0
		.amdhsa_float_denorm_mode_32 3
		.amdhsa_float_denorm_mode_16_64 3
		.amdhsa_fp16_overflow 0
		.amdhsa_workgroup_processor_mode 1
		.amdhsa_memory_ordered 1
		.amdhsa_forward_progress 1
		.amdhsa_inst_pref_size 0
		.amdhsa_round_robin_scheduling 0
		.amdhsa_exception_fp_ieee_invalid_op 0
		.amdhsa_exception_fp_denorm_src 0
		.amdhsa_exception_fp_ieee_div_zero 0
		.amdhsa_exception_fp_ieee_overflow 0
		.amdhsa_exception_fp_ieee_underflow 0
		.amdhsa_exception_fp_ieee_inexact 0
		.amdhsa_exception_int_div_zero 0
	.end_amdhsa_kernel
	.section	.text._ZN7rocprim17ROCPRIM_400000_NS6detail17trampoline_kernelINS0_14default_configENS1_25partition_config_selectorILNS1_17partition_subalgoE6EtNS0_10empty_typeEbEEZZNS1_14partition_implILS5_6ELb0ES3_mN6thrust23THRUST_200600_302600_NS6detail15normal_iteratorINSA_10device_ptrItEEEEPS6_SG_NS0_5tupleIJNSA_16discard_iteratorINSA_11use_defaultEEES6_EEENSH_IJSG_SG_EEES6_PlJNSB_9not_fun_tINSB_14equal_to_valueItEEEEEEE10hipError_tPvRmT3_T4_T5_T6_T7_T9_mT8_P12ihipStream_tbDpT10_ENKUlT_T0_E_clISt17integral_constantIbLb1EES1B_EEDaS16_S17_EUlS16_E_NS1_11comp_targetILNS1_3genE0ELNS1_11target_archE4294967295ELNS1_3gpuE0ELNS1_3repE0EEENS1_30default_config_static_selectorELNS0_4arch9wavefront6targetE0EEEvT1_,"axG",@progbits,_ZN7rocprim17ROCPRIM_400000_NS6detail17trampoline_kernelINS0_14default_configENS1_25partition_config_selectorILNS1_17partition_subalgoE6EtNS0_10empty_typeEbEEZZNS1_14partition_implILS5_6ELb0ES3_mN6thrust23THRUST_200600_302600_NS6detail15normal_iteratorINSA_10device_ptrItEEEEPS6_SG_NS0_5tupleIJNSA_16discard_iteratorINSA_11use_defaultEEES6_EEENSH_IJSG_SG_EEES6_PlJNSB_9not_fun_tINSB_14equal_to_valueItEEEEEEE10hipError_tPvRmT3_T4_T5_T6_T7_T9_mT8_P12ihipStream_tbDpT10_ENKUlT_T0_E_clISt17integral_constantIbLb1EES1B_EEDaS16_S17_EUlS16_E_NS1_11comp_targetILNS1_3genE0ELNS1_11target_archE4294967295ELNS1_3gpuE0ELNS1_3repE0EEENS1_30default_config_static_selectorELNS0_4arch9wavefront6targetE0EEEvT1_,comdat
.Lfunc_end1701:
	.size	_ZN7rocprim17ROCPRIM_400000_NS6detail17trampoline_kernelINS0_14default_configENS1_25partition_config_selectorILNS1_17partition_subalgoE6EtNS0_10empty_typeEbEEZZNS1_14partition_implILS5_6ELb0ES3_mN6thrust23THRUST_200600_302600_NS6detail15normal_iteratorINSA_10device_ptrItEEEEPS6_SG_NS0_5tupleIJNSA_16discard_iteratorINSA_11use_defaultEEES6_EEENSH_IJSG_SG_EEES6_PlJNSB_9not_fun_tINSB_14equal_to_valueItEEEEEEE10hipError_tPvRmT3_T4_T5_T6_T7_T9_mT8_P12ihipStream_tbDpT10_ENKUlT_T0_E_clISt17integral_constantIbLb1EES1B_EEDaS16_S17_EUlS16_E_NS1_11comp_targetILNS1_3genE0ELNS1_11target_archE4294967295ELNS1_3gpuE0ELNS1_3repE0EEENS1_30default_config_static_selectorELNS0_4arch9wavefront6targetE0EEEvT1_, .Lfunc_end1701-_ZN7rocprim17ROCPRIM_400000_NS6detail17trampoline_kernelINS0_14default_configENS1_25partition_config_selectorILNS1_17partition_subalgoE6EtNS0_10empty_typeEbEEZZNS1_14partition_implILS5_6ELb0ES3_mN6thrust23THRUST_200600_302600_NS6detail15normal_iteratorINSA_10device_ptrItEEEEPS6_SG_NS0_5tupleIJNSA_16discard_iteratorINSA_11use_defaultEEES6_EEENSH_IJSG_SG_EEES6_PlJNSB_9not_fun_tINSB_14equal_to_valueItEEEEEEE10hipError_tPvRmT3_T4_T5_T6_T7_T9_mT8_P12ihipStream_tbDpT10_ENKUlT_T0_E_clISt17integral_constantIbLb1EES1B_EEDaS16_S17_EUlS16_E_NS1_11comp_targetILNS1_3genE0ELNS1_11target_archE4294967295ELNS1_3gpuE0ELNS1_3repE0EEENS1_30default_config_static_selectorELNS0_4arch9wavefront6targetE0EEEvT1_
                                        ; -- End function
	.set _ZN7rocprim17ROCPRIM_400000_NS6detail17trampoline_kernelINS0_14default_configENS1_25partition_config_selectorILNS1_17partition_subalgoE6EtNS0_10empty_typeEbEEZZNS1_14partition_implILS5_6ELb0ES3_mN6thrust23THRUST_200600_302600_NS6detail15normal_iteratorINSA_10device_ptrItEEEEPS6_SG_NS0_5tupleIJNSA_16discard_iteratorINSA_11use_defaultEEES6_EEENSH_IJSG_SG_EEES6_PlJNSB_9not_fun_tINSB_14equal_to_valueItEEEEEEE10hipError_tPvRmT3_T4_T5_T6_T7_T9_mT8_P12ihipStream_tbDpT10_ENKUlT_T0_E_clISt17integral_constantIbLb1EES1B_EEDaS16_S17_EUlS16_E_NS1_11comp_targetILNS1_3genE0ELNS1_11target_archE4294967295ELNS1_3gpuE0ELNS1_3repE0EEENS1_30default_config_static_selectorELNS0_4arch9wavefront6targetE0EEEvT1_.num_vgpr, 0
	.set _ZN7rocprim17ROCPRIM_400000_NS6detail17trampoline_kernelINS0_14default_configENS1_25partition_config_selectorILNS1_17partition_subalgoE6EtNS0_10empty_typeEbEEZZNS1_14partition_implILS5_6ELb0ES3_mN6thrust23THRUST_200600_302600_NS6detail15normal_iteratorINSA_10device_ptrItEEEEPS6_SG_NS0_5tupleIJNSA_16discard_iteratorINSA_11use_defaultEEES6_EEENSH_IJSG_SG_EEES6_PlJNSB_9not_fun_tINSB_14equal_to_valueItEEEEEEE10hipError_tPvRmT3_T4_T5_T6_T7_T9_mT8_P12ihipStream_tbDpT10_ENKUlT_T0_E_clISt17integral_constantIbLb1EES1B_EEDaS16_S17_EUlS16_E_NS1_11comp_targetILNS1_3genE0ELNS1_11target_archE4294967295ELNS1_3gpuE0ELNS1_3repE0EEENS1_30default_config_static_selectorELNS0_4arch9wavefront6targetE0EEEvT1_.num_agpr, 0
	.set _ZN7rocprim17ROCPRIM_400000_NS6detail17trampoline_kernelINS0_14default_configENS1_25partition_config_selectorILNS1_17partition_subalgoE6EtNS0_10empty_typeEbEEZZNS1_14partition_implILS5_6ELb0ES3_mN6thrust23THRUST_200600_302600_NS6detail15normal_iteratorINSA_10device_ptrItEEEEPS6_SG_NS0_5tupleIJNSA_16discard_iteratorINSA_11use_defaultEEES6_EEENSH_IJSG_SG_EEES6_PlJNSB_9not_fun_tINSB_14equal_to_valueItEEEEEEE10hipError_tPvRmT3_T4_T5_T6_T7_T9_mT8_P12ihipStream_tbDpT10_ENKUlT_T0_E_clISt17integral_constantIbLb1EES1B_EEDaS16_S17_EUlS16_E_NS1_11comp_targetILNS1_3genE0ELNS1_11target_archE4294967295ELNS1_3gpuE0ELNS1_3repE0EEENS1_30default_config_static_selectorELNS0_4arch9wavefront6targetE0EEEvT1_.numbered_sgpr, 0
	.set _ZN7rocprim17ROCPRIM_400000_NS6detail17trampoline_kernelINS0_14default_configENS1_25partition_config_selectorILNS1_17partition_subalgoE6EtNS0_10empty_typeEbEEZZNS1_14partition_implILS5_6ELb0ES3_mN6thrust23THRUST_200600_302600_NS6detail15normal_iteratorINSA_10device_ptrItEEEEPS6_SG_NS0_5tupleIJNSA_16discard_iteratorINSA_11use_defaultEEES6_EEENSH_IJSG_SG_EEES6_PlJNSB_9not_fun_tINSB_14equal_to_valueItEEEEEEE10hipError_tPvRmT3_T4_T5_T6_T7_T9_mT8_P12ihipStream_tbDpT10_ENKUlT_T0_E_clISt17integral_constantIbLb1EES1B_EEDaS16_S17_EUlS16_E_NS1_11comp_targetILNS1_3genE0ELNS1_11target_archE4294967295ELNS1_3gpuE0ELNS1_3repE0EEENS1_30default_config_static_selectorELNS0_4arch9wavefront6targetE0EEEvT1_.num_named_barrier, 0
	.set _ZN7rocprim17ROCPRIM_400000_NS6detail17trampoline_kernelINS0_14default_configENS1_25partition_config_selectorILNS1_17partition_subalgoE6EtNS0_10empty_typeEbEEZZNS1_14partition_implILS5_6ELb0ES3_mN6thrust23THRUST_200600_302600_NS6detail15normal_iteratorINSA_10device_ptrItEEEEPS6_SG_NS0_5tupleIJNSA_16discard_iteratorINSA_11use_defaultEEES6_EEENSH_IJSG_SG_EEES6_PlJNSB_9not_fun_tINSB_14equal_to_valueItEEEEEEE10hipError_tPvRmT3_T4_T5_T6_T7_T9_mT8_P12ihipStream_tbDpT10_ENKUlT_T0_E_clISt17integral_constantIbLb1EES1B_EEDaS16_S17_EUlS16_E_NS1_11comp_targetILNS1_3genE0ELNS1_11target_archE4294967295ELNS1_3gpuE0ELNS1_3repE0EEENS1_30default_config_static_selectorELNS0_4arch9wavefront6targetE0EEEvT1_.private_seg_size, 0
	.set _ZN7rocprim17ROCPRIM_400000_NS6detail17trampoline_kernelINS0_14default_configENS1_25partition_config_selectorILNS1_17partition_subalgoE6EtNS0_10empty_typeEbEEZZNS1_14partition_implILS5_6ELb0ES3_mN6thrust23THRUST_200600_302600_NS6detail15normal_iteratorINSA_10device_ptrItEEEEPS6_SG_NS0_5tupleIJNSA_16discard_iteratorINSA_11use_defaultEEES6_EEENSH_IJSG_SG_EEES6_PlJNSB_9not_fun_tINSB_14equal_to_valueItEEEEEEE10hipError_tPvRmT3_T4_T5_T6_T7_T9_mT8_P12ihipStream_tbDpT10_ENKUlT_T0_E_clISt17integral_constantIbLb1EES1B_EEDaS16_S17_EUlS16_E_NS1_11comp_targetILNS1_3genE0ELNS1_11target_archE4294967295ELNS1_3gpuE0ELNS1_3repE0EEENS1_30default_config_static_selectorELNS0_4arch9wavefront6targetE0EEEvT1_.uses_vcc, 0
	.set _ZN7rocprim17ROCPRIM_400000_NS6detail17trampoline_kernelINS0_14default_configENS1_25partition_config_selectorILNS1_17partition_subalgoE6EtNS0_10empty_typeEbEEZZNS1_14partition_implILS5_6ELb0ES3_mN6thrust23THRUST_200600_302600_NS6detail15normal_iteratorINSA_10device_ptrItEEEEPS6_SG_NS0_5tupleIJNSA_16discard_iteratorINSA_11use_defaultEEES6_EEENSH_IJSG_SG_EEES6_PlJNSB_9not_fun_tINSB_14equal_to_valueItEEEEEEE10hipError_tPvRmT3_T4_T5_T6_T7_T9_mT8_P12ihipStream_tbDpT10_ENKUlT_T0_E_clISt17integral_constantIbLb1EES1B_EEDaS16_S17_EUlS16_E_NS1_11comp_targetILNS1_3genE0ELNS1_11target_archE4294967295ELNS1_3gpuE0ELNS1_3repE0EEENS1_30default_config_static_selectorELNS0_4arch9wavefront6targetE0EEEvT1_.uses_flat_scratch, 0
	.set _ZN7rocprim17ROCPRIM_400000_NS6detail17trampoline_kernelINS0_14default_configENS1_25partition_config_selectorILNS1_17partition_subalgoE6EtNS0_10empty_typeEbEEZZNS1_14partition_implILS5_6ELb0ES3_mN6thrust23THRUST_200600_302600_NS6detail15normal_iteratorINSA_10device_ptrItEEEEPS6_SG_NS0_5tupleIJNSA_16discard_iteratorINSA_11use_defaultEEES6_EEENSH_IJSG_SG_EEES6_PlJNSB_9not_fun_tINSB_14equal_to_valueItEEEEEEE10hipError_tPvRmT3_T4_T5_T6_T7_T9_mT8_P12ihipStream_tbDpT10_ENKUlT_T0_E_clISt17integral_constantIbLb1EES1B_EEDaS16_S17_EUlS16_E_NS1_11comp_targetILNS1_3genE0ELNS1_11target_archE4294967295ELNS1_3gpuE0ELNS1_3repE0EEENS1_30default_config_static_selectorELNS0_4arch9wavefront6targetE0EEEvT1_.has_dyn_sized_stack, 0
	.set _ZN7rocprim17ROCPRIM_400000_NS6detail17trampoline_kernelINS0_14default_configENS1_25partition_config_selectorILNS1_17partition_subalgoE6EtNS0_10empty_typeEbEEZZNS1_14partition_implILS5_6ELb0ES3_mN6thrust23THRUST_200600_302600_NS6detail15normal_iteratorINSA_10device_ptrItEEEEPS6_SG_NS0_5tupleIJNSA_16discard_iteratorINSA_11use_defaultEEES6_EEENSH_IJSG_SG_EEES6_PlJNSB_9not_fun_tINSB_14equal_to_valueItEEEEEEE10hipError_tPvRmT3_T4_T5_T6_T7_T9_mT8_P12ihipStream_tbDpT10_ENKUlT_T0_E_clISt17integral_constantIbLb1EES1B_EEDaS16_S17_EUlS16_E_NS1_11comp_targetILNS1_3genE0ELNS1_11target_archE4294967295ELNS1_3gpuE0ELNS1_3repE0EEENS1_30default_config_static_selectorELNS0_4arch9wavefront6targetE0EEEvT1_.has_recursion, 0
	.set _ZN7rocprim17ROCPRIM_400000_NS6detail17trampoline_kernelINS0_14default_configENS1_25partition_config_selectorILNS1_17partition_subalgoE6EtNS0_10empty_typeEbEEZZNS1_14partition_implILS5_6ELb0ES3_mN6thrust23THRUST_200600_302600_NS6detail15normal_iteratorINSA_10device_ptrItEEEEPS6_SG_NS0_5tupleIJNSA_16discard_iteratorINSA_11use_defaultEEES6_EEENSH_IJSG_SG_EEES6_PlJNSB_9not_fun_tINSB_14equal_to_valueItEEEEEEE10hipError_tPvRmT3_T4_T5_T6_T7_T9_mT8_P12ihipStream_tbDpT10_ENKUlT_T0_E_clISt17integral_constantIbLb1EES1B_EEDaS16_S17_EUlS16_E_NS1_11comp_targetILNS1_3genE0ELNS1_11target_archE4294967295ELNS1_3gpuE0ELNS1_3repE0EEENS1_30default_config_static_selectorELNS0_4arch9wavefront6targetE0EEEvT1_.has_indirect_call, 0
	.section	.AMDGPU.csdata,"",@progbits
; Kernel info:
; codeLenInByte = 0
; TotalNumSgprs: 0
; NumVgprs: 0
; ScratchSize: 0
; MemoryBound: 0
; FloatMode: 240
; IeeeMode: 1
; LDSByteSize: 0 bytes/workgroup (compile time only)
; SGPRBlocks: 0
; VGPRBlocks: 0
; NumSGPRsForWavesPerEU: 1
; NumVGPRsForWavesPerEU: 1
; Occupancy: 16
; WaveLimiterHint : 0
; COMPUTE_PGM_RSRC2:SCRATCH_EN: 0
; COMPUTE_PGM_RSRC2:USER_SGPR: 2
; COMPUTE_PGM_RSRC2:TRAP_HANDLER: 0
; COMPUTE_PGM_RSRC2:TGID_X_EN: 1
; COMPUTE_PGM_RSRC2:TGID_Y_EN: 0
; COMPUTE_PGM_RSRC2:TGID_Z_EN: 0
; COMPUTE_PGM_RSRC2:TIDIG_COMP_CNT: 0
	.section	.text._ZN7rocprim17ROCPRIM_400000_NS6detail17trampoline_kernelINS0_14default_configENS1_25partition_config_selectorILNS1_17partition_subalgoE6EtNS0_10empty_typeEbEEZZNS1_14partition_implILS5_6ELb0ES3_mN6thrust23THRUST_200600_302600_NS6detail15normal_iteratorINSA_10device_ptrItEEEEPS6_SG_NS0_5tupleIJNSA_16discard_iteratorINSA_11use_defaultEEES6_EEENSH_IJSG_SG_EEES6_PlJNSB_9not_fun_tINSB_14equal_to_valueItEEEEEEE10hipError_tPvRmT3_T4_T5_T6_T7_T9_mT8_P12ihipStream_tbDpT10_ENKUlT_T0_E_clISt17integral_constantIbLb1EES1B_EEDaS16_S17_EUlS16_E_NS1_11comp_targetILNS1_3genE5ELNS1_11target_archE942ELNS1_3gpuE9ELNS1_3repE0EEENS1_30default_config_static_selectorELNS0_4arch9wavefront6targetE0EEEvT1_,"axG",@progbits,_ZN7rocprim17ROCPRIM_400000_NS6detail17trampoline_kernelINS0_14default_configENS1_25partition_config_selectorILNS1_17partition_subalgoE6EtNS0_10empty_typeEbEEZZNS1_14partition_implILS5_6ELb0ES3_mN6thrust23THRUST_200600_302600_NS6detail15normal_iteratorINSA_10device_ptrItEEEEPS6_SG_NS0_5tupleIJNSA_16discard_iteratorINSA_11use_defaultEEES6_EEENSH_IJSG_SG_EEES6_PlJNSB_9not_fun_tINSB_14equal_to_valueItEEEEEEE10hipError_tPvRmT3_T4_T5_T6_T7_T9_mT8_P12ihipStream_tbDpT10_ENKUlT_T0_E_clISt17integral_constantIbLb1EES1B_EEDaS16_S17_EUlS16_E_NS1_11comp_targetILNS1_3genE5ELNS1_11target_archE942ELNS1_3gpuE9ELNS1_3repE0EEENS1_30default_config_static_selectorELNS0_4arch9wavefront6targetE0EEEvT1_,comdat
	.protected	_ZN7rocprim17ROCPRIM_400000_NS6detail17trampoline_kernelINS0_14default_configENS1_25partition_config_selectorILNS1_17partition_subalgoE6EtNS0_10empty_typeEbEEZZNS1_14partition_implILS5_6ELb0ES3_mN6thrust23THRUST_200600_302600_NS6detail15normal_iteratorINSA_10device_ptrItEEEEPS6_SG_NS0_5tupleIJNSA_16discard_iteratorINSA_11use_defaultEEES6_EEENSH_IJSG_SG_EEES6_PlJNSB_9not_fun_tINSB_14equal_to_valueItEEEEEEE10hipError_tPvRmT3_T4_T5_T6_T7_T9_mT8_P12ihipStream_tbDpT10_ENKUlT_T0_E_clISt17integral_constantIbLb1EES1B_EEDaS16_S17_EUlS16_E_NS1_11comp_targetILNS1_3genE5ELNS1_11target_archE942ELNS1_3gpuE9ELNS1_3repE0EEENS1_30default_config_static_selectorELNS0_4arch9wavefront6targetE0EEEvT1_ ; -- Begin function _ZN7rocprim17ROCPRIM_400000_NS6detail17trampoline_kernelINS0_14default_configENS1_25partition_config_selectorILNS1_17partition_subalgoE6EtNS0_10empty_typeEbEEZZNS1_14partition_implILS5_6ELb0ES3_mN6thrust23THRUST_200600_302600_NS6detail15normal_iteratorINSA_10device_ptrItEEEEPS6_SG_NS0_5tupleIJNSA_16discard_iteratorINSA_11use_defaultEEES6_EEENSH_IJSG_SG_EEES6_PlJNSB_9not_fun_tINSB_14equal_to_valueItEEEEEEE10hipError_tPvRmT3_T4_T5_T6_T7_T9_mT8_P12ihipStream_tbDpT10_ENKUlT_T0_E_clISt17integral_constantIbLb1EES1B_EEDaS16_S17_EUlS16_E_NS1_11comp_targetILNS1_3genE5ELNS1_11target_archE942ELNS1_3gpuE9ELNS1_3repE0EEENS1_30default_config_static_selectorELNS0_4arch9wavefront6targetE0EEEvT1_
	.globl	_ZN7rocprim17ROCPRIM_400000_NS6detail17trampoline_kernelINS0_14default_configENS1_25partition_config_selectorILNS1_17partition_subalgoE6EtNS0_10empty_typeEbEEZZNS1_14partition_implILS5_6ELb0ES3_mN6thrust23THRUST_200600_302600_NS6detail15normal_iteratorINSA_10device_ptrItEEEEPS6_SG_NS0_5tupleIJNSA_16discard_iteratorINSA_11use_defaultEEES6_EEENSH_IJSG_SG_EEES6_PlJNSB_9not_fun_tINSB_14equal_to_valueItEEEEEEE10hipError_tPvRmT3_T4_T5_T6_T7_T9_mT8_P12ihipStream_tbDpT10_ENKUlT_T0_E_clISt17integral_constantIbLb1EES1B_EEDaS16_S17_EUlS16_E_NS1_11comp_targetILNS1_3genE5ELNS1_11target_archE942ELNS1_3gpuE9ELNS1_3repE0EEENS1_30default_config_static_selectorELNS0_4arch9wavefront6targetE0EEEvT1_
	.p2align	8
	.type	_ZN7rocprim17ROCPRIM_400000_NS6detail17trampoline_kernelINS0_14default_configENS1_25partition_config_selectorILNS1_17partition_subalgoE6EtNS0_10empty_typeEbEEZZNS1_14partition_implILS5_6ELb0ES3_mN6thrust23THRUST_200600_302600_NS6detail15normal_iteratorINSA_10device_ptrItEEEEPS6_SG_NS0_5tupleIJNSA_16discard_iteratorINSA_11use_defaultEEES6_EEENSH_IJSG_SG_EEES6_PlJNSB_9not_fun_tINSB_14equal_to_valueItEEEEEEE10hipError_tPvRmT3_T4_T5_T6_T7_T9_mT8_P12ihipStream_tbDpT10_ENKUlT_T0_E_clISt17integral_constantIbLb1EES1B_EEDaS16_S17_EUlS16_E_NS1_11comp_targetILNS1_3genE5ELNS1_11target_archE942ELNS1_3gpuE9ELNS1_3repE0EEENS1_30default_config_static_selectorELNS0_4arch9wavefront6targetE0EEEvT1_,@function
_ZN7rocprim17ROCPRIM_400000_NS6detail17trampoline_kernelINS0_14default_configENS1_25partition_config_selectorILNS1_17partition_subalgoE6EtNS0_10empty_typeEbEEZZNS1_14partition_implILS5_6ELb0ES3_mN6thrust23THRUST_200600_302600_NS6detail15normal_iteratorINSA_10device_ptrItEEEEPS6_SG_NS0_5tupleIJNSA_16discard_iteratorINSA_11use_defaultEEES6_EEENSH_IJSG_SG_EEES6_PlJNSB_9not_fun_tINSB_14equal_to_valueItEEEEEEE10hipError_tPvRmT3_T4_T5_T6_T7_T9_mT8_P12ihipStream_tbDpT10_ENKUlT_T0_E_clISt17integral_constantIbLb1EES1B_EEDaS16_S17_EUlS16_E_NS1_11comp_targetILNS1_3genE5ELNS1_11target_archE942ELNS1_3gpuE9ELNS1_3repE0EEENS1_30default_config_static_selectorELNS0_4arch9wavefront6targetE0EEEvT1_: ; @_ZN7rocprim17ROCPRIM_400000_NS6detail17trampoline_kernelINS0_14default_configENS1_25partition_config_selectorILNS1_17partition_subalgoE6EtNS0_10empty_typeEbEEZZNS1_14partition_implILS5_6ELb0ES3_mN6thrust23THRUST_200600_302600_NS6detail15normal_iteratorINSA_10device_ptrItEEEEPS6_SG_NS0_5tupleIJNSA_16discard_iteratorINSA_11use_defaultEEES6_EEENSH_IJSG_SG_EEES6_PlJNSB_9not_fun_tINSB_14equal_to_valueItEEEEEEE10hipError_tPvRmT3_T4_T5_T6_T7_T9_mT8_P12ihipStream_tbDpT10_ENKUlT_T0_E_clISt17integral_constantIbLb1EES1B_EEDaS16_S17_EUlS16_E_NS1_11comp_targetILNS1_3genE5ELNS1_11target_archE942ELNS1_3gpuE9ELNS1_3repE0EEENS1_30default_config_static_selectorELNS0_4arch9wavefront6targetE0EEEvT1_
; %bb.0:
	.section	.rodata,"a",@progbits
	.p2align	6, 0x0
	.amdhsa_kernel _ZN7rocprim17ROCPRIM_400000_NS6detail17trampoline_kernelINS0_14default_configENS1_25partition_config_selectorILNS1_17partition_subalgoE6EtNS0_10empty_typeEbEEZZNS1_14partition_implILS5_6ELb0ES3_mN6thrust23THRUST_200600_302600_NS6detail15normal_iteratorINSA_10device_ptrItEEEEPS6_SG_NS0_5tupleIJNSA_16discard_iteratorINSA_11use_defaultEEES6_EEENSH_IJSG_SG_EEES6_PlJNSB_9not_fun_tINSB_14equal_to_valueItEEEEEEE10hipError_tPvRmT3_T4_T5_T6_T7_T9_mT8_P12ihipStream_tbDpT10_ENKUlT_T0_E_clISt17integral_constantIbLb1EES1B_EEDaS16_S17_EUlS16_E_NS1_11comp_targetILNS1_3genE5ELNS1_11target_archE942ELNS1_3gpuE9ELNS1_3repE0EEENS1_30default_config_static_selectorELNS0_4arch9wavefront6targetE0EEEvT1_
		.amdhsa_group_segment_fixed_size 0
		.amdhsa_private_segment_fixed_size 0
		.amdhsa_kernarg_size 136
		.amdhsa_user_sgpr_count 2
		.amdhsa_user_sgpr_dispatch_ptr 0
		.amdhsa_user_sgpr_queue_ptr 0
		.amdhsa_user_sgpr_kernarg_segment_ptr 1
		.amdhsa_user_sgpr_dispatch_id 0
		.amdhsa_user_sgpr_private_segment_size 0
		.amdhsa_wavefront_size32 1
		.amdhsa_uses_dynamic_stack 0
		.amdhsa_enable_private_segment 0
		.amdhsa_system_sgpr_workgroup_id_x 1
		.amdhsa_system_sgpr_workgroup_id_y 0
		.amdhsa_system_sgpr_workgroup_id_z 0
		.amdhsa_system_sgpr_workgroup_info 0
		.amdhsa_system_vgpr_workitem_id 0
		.amdhsa_next_free_vgpr 1
		.amdhsa_next_free_sgpr 1
		.amdhsa_reserve_vcc 0
		.amdhsa_float_round_mode_32 0
		.amdhsa_float_round_mode_16_64 0
		.amdhsa_float_denorm_mode_32 3
		.amdhsa_float_denorm_mode_16_64 3
		.amdhsa_fp16_overflow 0
		.amdhsa_workgroup_processor_mode 1
		.amdhsa_memory_ordered 1
		.amdhsa_forward_progress 1
		.amdhsa_inst_pref_size 0
		.amdhsa_round_robin_scheduling 0
		.amdhsa_exception_fp_ieee_invalid_op 0
		.amdhsa_exception_fp_denorm_src 0
		.amdhsa_exception_fp_ieee_div_zero 0
		.amdhsa_exception_fp_ieee_overflow 0
		.amdhsa_exception_fp_ieee_underflow 0
		.amdhsa_exception_fp_ieee_inexact 0
		.amdhsa_exception_int_div_zero 0
	.end_amdhsa_kernel
	.section	.text._ZN7rocprim17ROCPRIM_400000_NS6detail17trampoline_kernelINS0_14default_configENS1_25partition_config_selectorILNS1_17partition_subalgoE6EtNS0_10empty_typeEbEEZZNS1_14partition_implILS5_6ELb0ES3_mN6thrust23THRUST_200600_302600_NS6detail15normal_iteratorINSA_10device_ptrItEEEEPS6_SG_NS0_5tupleIJNSA_16discard_iteratorINSA_11use_defaultEEES6_EEENSH_IJSG_SG_EEES6_PlJNSB_9not_fun_tINSB_14equal_to_valueItEEEEEEE10hipError_tPvRmT3_T4_T5_T6_T7_T9_mT8_P12ihipStream_tbDpT10_ENKUlT_T0_E_clISt17integral_constantIbLb1EES1B_EEDaS16_S17_EUlS16_E_NS1_11comp_targetILNS1_3genE5ELNS1_11target_archE942ELNS1_3gpuE9ELNS1_3repE0EEENS1_30default_config_static_selectorELNS0_4arch9wavefront6targetE0EEEvT1_,"axG",@progbits,_ZN7rocprim17ROCPRIM_400000_NS6detail17trampoline_kernelINS0_14default_configENS1_25partition_config_selectorILNS1_17partition_subalgoE6EtNS0_10empty_typeEbEEZZNS1_14partition_implILS5_6ELb0ES3_mN6thrust23THRUST_200600_302600_NS6detail15normal_iteratorINSA_10device_ptrItEEEEPS6_SG_NS0_5tupleIJNSA_16discard_iteratorINSA_11use_defaultEEES6_EEENSH_IJSG_SG_EEES6_PlJNSB_9not_fun_tINSB_14equal_to_valueItEEEEEEE10hipError_tPvRmT3_T4_T5_T6_T7_T9_mT8_P12ihipStream_tbDpT10_ENKUlT_T0_E_clISt17integral_constantIbLb1EES1B_EEDaS16_S17_EUlS16_E_NS1_11comp_targetILNS1_3genE5ELNS1_11target_archE942ELNS1_3gpuE9ELNS1_3repE0EEENS1_30default_config_static_selectorELNS0_4arch9wavefront6targetE0EEEvT1_,comdat
.Lfunc_end1702:
	.size	_ZN7rocprim17ROCPRIM_400000_NS6detail17trampoline_kernelINS0_14default_configENS1_25partition_config_selectorILNS1_17partition_subalgoE6EtNS0_10empty_typeEbEEZZNS1_14partition_implILS5_6ELb0ES3_mN6thrust23THRUST_200600_302600_NS6detail15normal_iteratorINSA_10device_ptrItEEEEPS6_SG_NS0_5tupleIJNSA_16discard_iteratorINSA_11use_defaultEEES6_EEENSH_IJSG_SG_EEES6_PlJNSB_9not_fun_tINSB_14equal_to_valueItEEEEEEE10hipError_tPvRmT3_T4_T5_T6_T7_T9_mT8_P12ihipStream_tbDpT10_ENKUlT_T0_E_clISt17integral_constantIbLb1EES1B_EEDaS16_S17_EUlS16_E_NS1_11comp_targetILNS1_3genE5ELNS1_11target_archE942ELNS1_3gpuE9ELNS1_3repE0EEENS1_30default_config_static_selectorELNS0_4arch9wavefront6targetE0EEEvT1_, .Lfunc_end1702-_ZN7rocprim17ROCPRIM_400000_NS6detail17trampoline_kernelINS0_14default_configENS1_25partition_config_selectorILNS1_17partition_subalgoE6EtNS0_10empty_typeEbEEZZNS1_14partition_implILS5_6ELb0ES3_mN6thrust23THRUST_200600_302600_NS6detail15normal_iteratorINSA_10device_ptrItEEEEPS6_SG_NS0_5tupleIJNSA_16discard_iteratorINSA_11use_defaultEEES6_EEENSH_IJSG_SG_EEES6_PlJNSB_9not_fun_tINSB_14equal_to_valueItEEEEEEE10hipError_tPvRmT3_T4_T5_T6_T7_T9_mT8_P12ihipStream_tbDpT10_ENKUlT_T0_E_clISt17integral_constantIbLb1EES1B_EEDaS16_S17_EUlS16_E_NS1_11comp_targetILNS1_3genE5ELNS1_11target_archE942ELNS1_3gpuE9ELNS1_3repE0EEENS1_30default_config_static_selectorELNS0_4arch9wavefront6targetE0EEEvT1_
                                        ; -- End function
	.set _ZN7rocprim17ROCPRIM_400000_NS6detail17trampoline_kernelINS0_14default_configENS1_25partition_config_selectorILNS1_17partition_subalgoE6EtNS0_10empty_typeEbEEZZNS1_14partition_implILS5_6ELb0ES3_mN6thrust23THRUST_200600_302600_NS6detail15normal_iteratorINSA_10device_ptrItEEEEPS6_SG_NS0_5tupleIJNSA_16discard_iteratorINSA_11use_defaultEEES6_EEENSH_IJSG_SG_EEES6_PlJNSB_9not_fun_tINSB_14equal_to_valueItEEEEEEE10hipError_tPvRmT3_T4_T5_T6_T7_T9_mT8_P12ihipStream_tbDpT10_ENKUlT_T0_E_clISt17integral_constantIbLb1EES1B_EEDaS16_S17_EUlS16_E_NS1_11comp_targetILNS1_3genE5ELNS1_11target_archE942ELNS1_3gpuE9ELNS1_3repE0EEENS1_30default_config_static_selectorELNS0_4arch9wavefront6targetE0EEEvT1_.num_vgpr, 0
	.set _ZN7rocprim17ROCPRIM_400000_NS6detail17trampoline_kernelINS0_14default_configENS1_25partition_config_selectorILNS1_17partition_subalgoE6EtNS0_10empty_typeEbEEZZNS1_14partition_implILS5_6ELb0ES3_mN6thrust23THRUST_200600_302600_NS6detail15normal_iteratorINSA_10device_ptrItEEEEPS6_SG_NS0_5tupleIJNSA_16discard_iteratorINSA_11use_defaultEEES6_EEENSH_IJSG_SG_EEES6_PlJNSB_9not_fun_tINSB_14equal_to_valueItEEEEEEE10hipError_tPvRmT3_T4_T5_T6_T7_T9_mT8_P12ihipStream_tbDpT10_ENKUlT_T0_E_clISt17integral_constantIbLb1EES1B_EEDaS16_S17_EUlS16_E_NS1_11comp_targetILNS1_3genE5ELNS1_11target_archE942ELNS1_3gpuE9ELNS1_3repE0EEENS1_30default_config_static_selectorELNS0_4arch9wavefront6targetE0EEEvT1_.num_agpr, 0
	.set _ZN7rocprim17ROCPRIM_400000_NS6detail17trampoline_kernelINS0_14default_configENS1_25partition_config_selectorILNS1_17partition_subalgoE6EtNS0_10empty_typeEbEEZZNS1_14partition_implILS5_6ELb0ES3_mN6thrust23THRUST_200600_302600_NS6detail15normal_iteratorINSA_10device_ptrItEEEEPS6_SG_NS0_5tupleIJNSA_16discard_iteratorINSA_11use_defaultEEES6_EEENSH_IJSG_SG_EEES6_PlJNSB_9not_fun_tINSB_14equal_to_valueItEEEEEEE10hipError_tPvRmT3_T4_T5_T6_T7_T9_mT8_P12ihipStream_tbDpT10_ENKUlT_T0_E_clISt17integral_constantIbLb1EES1B_EEDaS16_S17_EUlS16_E_NS1_11comp_targetILNS1_3genE5ELNS1_11target_archE942ELNS1_3gpuE9ELNS1_3repE0EEENS1_30default_config_static_selectorELNS0_4arch9wavefront6targetE0EEEvT1_.numbered_sgpr, 0
	.set _ZN7rocprim17ROCPRIM_400000_NS6detail17trampoline_kernelINS0_14default_configENS1_25partition_config_selectorILNS1_17partition_subalgoE6EtNS0_10empty_typeEbEEZZNS1_14partition_implILS5_6ELb0ES3_mN6thrust23THRUST_200600_302600_NS6detail15normal_iteratorINSA_10device_ptrItEEEEPS6_SG_NS0_5tupleIJNSA_16discard_iteratorINSA_11use_defaultEEES6_EEENSH_IJSG_SG_EEES6_PlJNSB_9not_fun_tINSB_14equal_to_valueItEEEEEEE10hipError_tPvRmT3_T4_T5_T6_T7_T9_mT8_P12ihipStream_tbDpT10_ENKUlT_T0_E_clISt17integral_constantIbLb1EES1B_EEDaS16_S17_EUlS16_E_NS1_11comp_targetILNS1_3genE5ELNS1_11target_archE942ELNS1_3gpuE9ELNS1_3repE0EEENS1_30default_config_static_selectorELNS0_4arch9wavefront6targetE0EEEvT1_.num_named_barrier, 0
	.set _ZN7rocprim17ROCPRIM_400000_NS6detail17trampoline_kernelINS0_14default_configENS1_25partition_config_selectorILNS1_17partition_subalgoE6EtNS0_10empty_typeEbEEZZNS1_14partition_implILS5_6ELb0ES3_mN6thrust23THRUST_200600_302600_NS6detail15normal_iteratorINSA_10device_ptrItEEEEPS6_SG_NS0_5tupleIJNSA_16discard_iteratorINSA_11use_defaultEEES6_EEENSH_IJSG_SG_EEES6_PlJNSB_9not_fun_tINSB_14equal_to_valueItEEEEEEE10hipError_tPvRmT3_T4_T5_T6_T7_T9_mT8_P12ihipStream_tbDpT10_ENKUlT_T0_E_clISt17integral_constantIbLb1EES1B_EEDaS16_S17_EUlS16_E_NS1_11comp_targetILNS1_3genE5ELNS1_11target_archE942ELNS1_3gpuE9ELNS1_3repE0EEENS1_30default_config_static_selectorELNS0_4arch9wavefront6targetE0EEEvT1_.private_seg_size, 0
	.set _ZN7rocprim17ROCPRIM_400000_NS6detail17trampoline_kernelINS0_14default_configENS1_25partition_config_selectorILNS1_17partition_subalgoE6EtNS0_10empty_typeEbEEZZNS1_14partition_implILS5_6ELb0ES3_mN6thrust23THRUST_200600_302600_NS6detail15normal_iteratorINSA_10device_ptrItEEEEPS6_SG_NS0_5tupleIJNSA_16discard_iteratorINSA_11use_defaultEEES6_EEENSH_IJSG_SG_EEES6_PlJNSB_9not_fun_tINSB_14equal_to_valueItEEEEEEE10hipError_tPvRmT3_T4_T5_T6_T7_T9_mT8_P12ihipStream_tbDpT10_ENKUlT_T0_E_clISt17integral_constantIbLb1EES1B_EEDaS16_S17_EUlS16_E_NS1_11comp_targetILNS1_3genE5ELNS1_11target_archE942ELNS1_3gpuE9ELNS1_3repE0EEENS1_30default_config_static_selectorELNS0_4arch9wavefront6targetE0EEEvT1_.uses_vcc, 0
	.set _ZN7rocprim17ROCPRIM_400000_NS6detail17trampoline_kernelINS0_14default_configENS1_25partition_config_selectorILNS1_17partition_subalgoE6EtNS0_10empty_typeEbEEZZNS1_14partition_implILS5_6ELb0ES3_mN6thrust23THRUST_200600_302600_NS6detail15normal_iteratorINSA_10device_ptrItEEEEPS6_SG_NS0_5tupleIJNSA_16discard_iteratorINSA_11use_defaultEEES6_EEENSH_IJSG_SG_EEES6_PlJNSB_9not_fun_tINSB_14equal_to_valueItEEEEEEE10hipError_tPvRmT3_T4_T5_T6_T7_T9_mT8_P12ihipStream_tbDpT10_ENKUlT_T0_E_clISt17integral_constantIbLb1EES1B_EEDaS16_S17_EUlS16_E_NS1_11comp_targetILNS1_3genE5ELNS1_11target_archE942ELNS1_3gpuE9ELNS1_3repE0EEENS1_30default_config_static_selectorELNS0_4arch9wavefront6targetE0EEEvT1_.uses_flat_scratch, 0
	.set _ZN7rocprim17ROCPRIM_400000_NS6detail17trampoline_kernelINS0_14default_configENS1_25partition_config_selectorILNS1_17partition_subalgoE6EtNS0_10empty_typeEbEEZZNS1_14partition_implILS5_6ELb0ES3_mN6thrust23THRUST_200600_302600_NS6detail15normal_iteratorINSA_10device_ptrItEEEEPS6_SG_NS0_5tupleIJNSA_16discard_iteratorINSA_11use_defaultEEES6_EEENSH_IJSG_SG_EEES6_PlJNSB_9not_fun_tINSB_14equal_to_valueItEEEEEEE10hipError_tPvRmT3_T4_T5_T6_T7_T9_mT8_P12ihipStream_tbDpT10_ENKUlT_T0_E_clISt17integral_constantIbLb1EES1B_EEDaS16_S17_EUlS16_E_NS1_11comp_targetILNS1_3genE5ELNS1_11target_archE942ELNS1_3gpuE9ELNS1_3repE0EEENS1_30default_config_static_selectorELNS0_4arch9wavefront6targetE0EEEvT1_.has_dyn_sized_stack, 0
	.set _ZN7rocprim17ROCPRIM_400000_NS6detail17trampoline_kernelINS0_14default_configENS1_25partition_config_selectorILNS1_17partition_subalgoE6EtNS0_10empty_typeEbEEZZNS1_14partition_implILS5_6ELb0ES3_mN6thrust23THRUST_200600_302600_NS6detail15normal_iteratorINSA_10device_ptrItEEEEPS6_SG_NS0_5tupleIJNSA_16discard_iteratorINSA_11use_defaultEEES6_EEENSH_IJSG_SG_EEES6_PlJNSB_9not_fun_tINSB_14equal_to_valueItEEEEEEE10hipError_tPvRmT3_T4_T5_T6_T7_T9_mT8_P12ihipStream_tbDpT10_ENKUlT_T0_E_clISt17integral_constantIbLb1EES1B_EEDaS16_S17_EUlS16_E_NS1_11comp_targetILNS1_3genE5ELNS1_11target_archE942ELNS1_3gpuE9ELNS1_3repE0EEENS1_30default_config_static_selectorELNS0_4arch9wavefront6targetE0EEEvT1_.has_recursion, 0
	.set _ZN7rocprim17ROCPRIM_400000_NS6detail17trampoline_kernelINS0_14default_configENS1_25partition_config_selectorILNS1_17partition_subalgoE6EtNS0_10empty_typeEbEEZZNS1_14partition_implILS5_6ELb0ES3_mN6thrust23THRUST_200600_302600_NS6detail15normal_iteratorINSA_10device_ptrItEEEEPS6_SG_NS0_5tupleIJNSA_16discard_iteratorINSA_11use_defaultEEES6_EEENSH_IJSG_SG_EEES6_PlJNSB_9not_fun_tINSB_14equal_to_valueItEEEEEEE10hipError_tPvRmT3_T4_T5_T6_T7_T9_mT8_P12ihipStream_tbDpT10_ENKUlT_T0_E_clISt17integral_constantIbLb1EES1B_EEDaS16_S17_EUlS16_E_NS1_11comp_targetILNS1_3genE5ELNS1_11target_archE942ELNS1_3gpuE9ELNS1_3repE0EEENS1_30default_config_static_selectorELNS0_4arch9wavefront6targetE0EEEvT1_.has_indirect_call, 0
	.section	.AMDGPU.csdata,"",@progbits
; Kernel info:
; codeLenInByte = 0
; TotalNumSgprs: 0
; NumVgprs: 0
; ScratchSize: 0
; MemoryBound: 0
; FloatMode: 240
; IeeeMode: 1
; LDSByteSize: 0 bytes/workgroup (compile time only)
; SGPRBlocks: 0
; VGPRBlocks: 0
; NumSGPRsForWavesPerEU: 1
; NumVGPRsForWavesPerEU: 1
; Occupancy: 16
; WaveLimiterHint : 0
; COMPUTE_PGM_RSRC2:SCRATCH_EN: 0
; COMPUTE_PGM_RSRC2:USER_SGPR: 2
; COMPUTE_PGM_RSRC2:TRAP_HANDLER: 0
; COMPUTE_PGM_RSRC2:TGID_X_EN: 1
; COMPUTE_PGM_RSRC2:TGID_Y_EN: 0
; COMPUTE_PGM_RSRC2:TGID_Z_EN: 0
; COMPUTE_PGM_RSRC2:TIDIG_COMP_CNT: 0
	.section	.text._ZN7rocprim17ROCPRIM_400000_NS6detail17trampoline_kernelINS0_14default_configENS1_25partition_config_selectorILNS1_17partition_subalgoE6EtNS0_10empty_typeEbEEZZNS1_14partition_implILS5_6ELb0ES3_mN6thrust23THRUST_200600_302600_NS6detail15normal_iteratorINSA_10device_ptrItEEEEPS6_SG_NS0_5tupleIJNSA_16discard_iteratorINSA_11use_defaultEEES6_EEENSH_IJSG_SG_EEES6_PlJNSB_9not_fun_tINSB_14equal_to_valueItEEEEEEE10hipError_tPvRmT3_T4_T5_T6_T7_T9_mT8_P12ihipStream_tbDpT10_ENKUlT_T0_E_clISt17integral_constantIbLb1EES1B_EEDaS16_S17_EUlS16_E_NS1_11comp_targetILNS1_3genE4ELNS1_11target_archE910ELNS1_3gpuE8ELNS1_3repE0EEENS1_30default_config_static_selectorELNS0_4arch9wavefront6targetE0EEEvT1_,"axG",@progbits,_ZN7rocprim17ROCPRIM_400000_NS6detail17trampoline_kernelINS0_14default_configENS1_25partition_config_selectorILNS1_17partition_subalgoE6EtNS0_10empty_typeEbEEZZNS1_14partition_implILS5_6ELb0ES3_mN6thrust23THRUST_200600_302600_NS6detail15normal_iteratorINSA_10device_ptrItEEEEPS6_SG_NS0_5tupleIJNSA_16discard_iteratorINSA_11use_defaultEEES6_EEENSH_IJSG_SG_EEES6_PlJNSB_9not_fun_tINSB_14equal_to_valueItEEEEEEE10hipError_tPvRmT3_T4_T5_T6_T7_T9_mT8_P12ihipStream_tbDpT10_ENKUlT_T0_E_clISt17integral_constantIbLb1EES1B_EEDaS16_S17_EUlS16_E_NS1_11comp_targetILNS1_3genE4ELNS1_11target_archE910ELNS1_3gpuE8ELNS1_3repE0EEENS1_30default_config_static_selectorELNS0_4arch9wavefront6targetE0EEEvT1_,comdat
	.protected	_ZN7rocprim17ROCPRIM_400000_NS6detail17trampoline_kernelINS0_14default_configENS1_25partition_config_selectorILNS1_17partition_subalgoE6EtNS0_10empty_typeEbEEZZNS1_14partition_implILS5_6ELb0ES3_mN6thrust23THRUST_200600_302600_NS6detail15normal_iteratorINSA_10device_ptrItEEEEPS6_SG_NS0_5tupleIJNSA_16discard_iteratorINSA_11use_defaultEEES6_EEENSH_IJSG_SG_EEES6_PlJNSB_9not_fun_tINSB_14equal_to_valueItEEEEEEE10hipError_tPvRmT3_T4_T5_T6_T7_T9_mT8_P12ihipStream_tbDpT10_ENKUlT_T0_E_clISt17integral_constantIbLb1EES1B_EEDaS16_S17_EUlS16_E_NS1_11comp_targetILNS1_3genE4ELNS1_11target_archE910ELNS1_3gpuE8ELNS1_3repE0EEENS1_30default_config_static_selectorELNS0_4arch9wavefront6targetE0EEEvT1_ ; -- Begin function _ZN7rocprim17ROCPRIM_400000_NS6detail17trampoline_kernelINS0_14default_configENS1_25partition_config_selectorILNS1_17partition_subalgoE6EtNS0_10empty_typeEbEEZZNS1_14partition_implILS5_6ELb0ES3_mN6thrust23THRUST_200600_302600_NS6detail15normal_iteratorINSA_10device_ptrItEEEEPS6_SG_NS0_5tupleIJNSA_16discard_iteratorINSA_11use_defaultEEES6_EEENSH_IJSG_SG_EEES6_PlJNSB_9not_fun_tINSB_14equal_to_valueItEEEEEEE10hipError_tPvRmT3_T4_T5_T6_T7_T9_mT8_P12ihipStream_tbDpT10_ENKUlT_T0_E_clISt17integral_constantIbLb1EES1B_EEDaS16_S17_EUlS16_E_NS1_11comp_targetILNS1_3genE4ELNS1_11target_archE910ELNS1_3gpuE8ELNS1_3repE0EEENS1_30default_config_static_selectorELNS0_4arch9wavefront6targetE0EEEvT1_
	.globl	_ZN7rocprim17ROCPRIM_400000_NS6detail17trampoline_kernelINS0_14default_configENS1_25partition_config_selectorILNS1_17partition_subalgoE6EtNS0_10empty_typeEbEEZZNS1_14partition_implILS5_6ELb0ES3_mN6thrust23THRUST_200600_302600_NS6detail15normal_iteratorINSA_10device_ptrItEEEEPS6_SG_NS0_5tupleIJNSA_16discard_iteratorINSA_11use_defaultEEES6_EEENSH_IJSG_SG_EEES6_PlJNSB_9not_fun_tINSB_14equal_to_valueItEEEEEEE10hipError_tPvRmT3_T4_T5_T6_T7_T9_mT8_P12ihipStream_tbDpT10_ENKUlT_T0_E_clISt17integral_constantIbLb1EES1B_EEDaS16_S17_EUlS16_E_NS1_11comp_targetILNS1_3genE4ELNS1_11target_archE910ELNS1_3gpuE8ELNS1_3repE0EEENS1_30default_config_static_selectorELNS0_4arch9wavefront6targetE0EEEvT1_
	.p2align	8
	.type	_ZN7rocprim17ROCPRIM_400000_NS6detail17trampoline_kernelINS0_14default_configENS1_25partition_config_selectorILNS1_17partition_subalgoE6EtNS0_10empty_typeEbEEZZNS1_14partition_implILS5_6ELb0ES3_mN6thrust23THRUST_200600_302600_NS6detail15normal_iteratorINSA_10device_ptrItEEEEPS6_SG_NS0_5tupleIJNSA_16discard_iteratorINSA_11use_defaultEEES6_EEENSH_IJSG_SG_EEES6_PlJNSB_9not_fun_tINSB_14equal_to_valueItEEEEEEE10hipError_tPvRmT3_T4_T5_T6_T7_T9_mT8_P12ihipStream_tbDpT10_ENKUlT_T0_E_clISt17integral_constantIbLb1EES1B_EEDaS16_S17_EUlS16_E_NS1_11comp_targetILNS1_3genE4ELNS1_11target_archE910ELNS1_3gpuE8ELNS1_3repE0EEENS1_30default_config_static_selectorELNS0_4arch9wavefront6targetE0EEEvT1_,@function
_ZN7rocprim17ROCPRIM_400000_NS6detail17trampoline_kernelINS0_14default_configENS1_25partition_config_selectorILNS1_17partition_subalgoE6EtNS0_10empty_typeEbEEZZNS1_14partition_implILS5_6ELb0ES3_mN6thrust23THRUST_200600_302600_NS6detail15normal_iteratorINSA_10device_ptrItEEEEPS6_SG_NS0_5tupleIJNSA_16discard_iteratorINSA_11use_defaultEEES6_EEENSH_IJSG_SG_EEES6_PlJNSB_9not_fun_tINSB_14equal_to_valueItEEEEEEE10hipError_tPvRmT3_T4_T5_T6_T7_T9_mT8_P12ihipStream_tbDpT10_ENKUlT_T0_E_clISt17integral_constantIbLb1EES1B_EEDaS16_S17_EUlS16_E_NS1_11comp_targetILNS1_3genE4ELNS1_11target_archE910ELNS1_3gpuE8ELNS1_3repE0EEENS1_30default_config_static_selectorELNS0_4arch9wavefront6targetE0EEEvT1_: ; @_ZN7rocprim17ROCPRIM_400000_NS6detail17trampoline_kernelINS0_14default_configENS1_25partition_config_selectorILNS1_17partition_subalgoE6EtNS0_10empty_typeEbEEZZNS1_14partition_implILS5_6ELb0ES3_mN6thrust23THRUST_200600_302600_NS6detail15normal_iteratorINSA_10device_ptrItEEEEPS6_SG_NS0_5tupleIJNSA_16discard_iteratorINSA_11use_defaultEEES6_EEENSH_IJSG_SG_EEES6_PlJNSB_9not_fun_tINSB_14equal_to_valueItEEEEEEE10hipError_tPvRmT3_T4_T5_T6_T7_T9_mT8_P12ihipStream_tbDpT10_ENKUlT_T0_E_clISt17integral_constantIbLb1EES1B_EEDaS16_S17_EUlS16_E_NS1_11comp_targetILNS1_3genE4ELNS1_11target_archE910ELNS1_3gpuE8ELNS1_3repE0EEENS1_30default_config_static_selectorELNS0_4arch9wavefront6targetE0EEEvT1_
; %bb.0:
	.section	.rodata,"a",@progbits
	.p2align	6, 0x0
	.amdhsa_kernel _ZN7rocprim17ROCPRIM_400000_NS6detail17trampoline_kernelINS0_14default_configENS1_25partition_config_selectorILNS1_17partition_subalgoE6EtNS0_10empty_typeEbEEZZNS1_14partition_implILS5_6ELb0ES3_mN6thrust23THRUST_200600_302600_NS6detail15normal_iteratorINSA_10device_ptrItEEEEPS6_SG_NS0_5tupleIJNSA_16discard_iteratorINSA_11use_defaultEEES6_EEENSH_IJSG_SG_EEES6_PlJNSB_9not_fun_tINSB_14equal_to_valueItEEEEEEE10hipError_tPvRmT3_T4_T5_T6_T7_T9_mT8_P12ihipStream_tbDpT10_ENKUlT_T0_E_clISt17integral_constantIbLb1EES1B_EEDaS16_S17_EUlS16_E_NS1_11comp_targetILNS1_3genE4ELNS1_11target_archE910ELNS1_3gpuE8ELNS1_3repE0EEENS1_30default_config_static_selectorELNS0_4arch9wavefront6targetE0EEEvT1_
		.amdhsa_group_segment_fixed_size 0
		.amdhsa_private_segment_fixed_size 0
		.amdhsa_kernarg_size 136
		.amdhsa_user_sgpr_count 2
		.amdhsa_user_sgpr_dispatch_ptr 0
		.amdhsa_user_sgpr_queue_ptr 0
		.amdhsa_user_sgpr_kernarg_segment_ptr 1
		.amdhsa_user_sgpr_dispatch_id 0
		.amdhsa_user_sgpr_private_segment_size 0
		.amdhsa_wavefront_size32 1
		.amdhsa_uses_dynamic_stack 0
		.amdhsa_enable_private_segment 0
		.amdhsa_system_sgpr_workgroup_id_x 1
		.amdhsa_system_sgpr_workgroup_id_y 0
		.amdhsa_system_sgpr_workgroup_id_z 0
		.amdhsa_system_sgpr_workgroup_info 0
		.amdhsa_system_vgpr_workitem_id 0
		.amdhsa_next_free_vgpr 1
		.amdhsa_next_free_sgpr 1
		.amdhsa_reserve_vcc 0
		.amdhsa_float_round_mode_32 0
		.amdhsa_float_round_mode_16_64 0
		.amdhsa_float_denorm_mode_32 3
		.amdhsa_float_denorm_mode_16_64 3
		.amdhsa_fp16_overflow 0
		.amdhsa_workgroup_processor_mode 1
		.amdhsa_memory_ordered 1
		.amdhsa_forward_progress 1
		.amdhsa_inst_pref_size 0
		.amdhsa_round_robin_scheduling 0
		.amdhsa_exception_fp_ieee_invalid_op 0
		.amdhsa_exception_fp_denorm_src 0
		.amdhsa_exception_fp_ieee_div_zero 0
		.amdhsa_exception_fp_ieee_overflow 0
		.amdhsa_exception_fp_ieee_underflow 0
		.amdhsa_exception_fp_ieee_inexact 0
		.amdhsa_exception_int_div_zero 0
	.end_amdhsa_kernel
	.section	.text._ZN7rocprim17ROCPRIM_400000_NS6detail17trampoline_kernelINS0_14default_configENS1_25partition_config_selectorILNS1_17partition_subalgoE6EtNS0_10empty_typeEbEEZZNS1_14partition_implILS5_6ELb0ES3_mN6thrust23THRUST_200600_302600_NS6detail15normal_iteratorINSA_10device_ptrItEEEEPS6_SG_NS0_5tupleIJNSA_16discard_iteratorINSA_11use_defaultEEES6_EEENSH_IJSG_SG_EEES6_PlJNSB_9not_fun_tINSB_14equal_to_valueItEEEEEEE10hipError_tPvRmT3_T4_T5_T6_T7_T9_mT8_P12ihipStream_tbDpT10_ENKUlT_T0_E_clISt17integral_constantIbLb1EES1B_EEDaS16_S17_EUlS16_E_NS1_11comp_targetILNS1_3genE4ELNS1_11target_archE910ELNS1_3gpuE8ELNS1_3repE0EEENS1_30default_config_static_selectorELNS0_4arch9wavefront6targetE0EEEvT1_,"axG",@progbits,_ZN7rocprim17ROCPRIM_400000_NS6detail17trampoline_kernelINS0_14default_configENS1_25partition_config_selectorILNS1_17partition_subalgoE6EtNS0_10empty_typeEbEEZZNS1_14partition_implILS5_6ELb0ES3_mN6thrust23THRUST_200600_302600_NS6detail15normal_iteratorINSA_10device_ptrItEEEEPS6_SG_NS0_5tupleIJNSA_16discard_iteratorINSA_11use_defaultEEES6_EEENSH_IJSG_SG_EEES6_PlJNSB_9not_fun_tINSB_14equal_to_valueItEEEEEEE10hipError_tPvRmT3_T4_T5_T6_T7_T9_mT8_P12ihipStream_tbDpT10_ENKUlT_T0_E_clISt17integral_constantIbLb1EES1B_EEDaS16_S17_EUlS16_E_NS1_11comp_targetILNS1_3genE4ELNS1_11target_archE910ELNS1_3gpuE8ELNS1_3repE0EEENS1_30default_config_static_selectorELNS0_4arch9wavefront6targetE0EEEvT1_,comdat
.Lfunc_end1703:
	.size	_ZN7rocprim17ROCPRIM_400000_NS6detail17trampoline_kernelINS0_14default_configENS1_25partition_config_selectorILNS1_17partition_subalgoE6EtNS0_10empty_typeEbEEZZNS1_14partition_implILS5_6ELb0ES3_mN6thrust23THRUST_200600_302600_NS6detail15normal_iteratorINSA_10device_ptrItEEEEPS6_SG_NS0_5tupleIJNSA_16discard_iteratorINSA_11use_defaultEEES6_EEENSH_IJSG_SG_EEES6_PlJNSB_9not_fun_tINSB_14equal_to_valueItEEEEEEE10hipError_tPvRmT3_T4_T5_T6_T7_T9_mT8_P12ihipStream_tbDpT10_ENKUlT_T0_E_clISt17integral_constantIbLb1EES1B_EEDaS16_S17_EUlS16_E_NS1_11comp_targetILNS1_3genE4ELNS1_11target_archE910ELNS1_3gpuE8ELNS1_3repE0EEENS1_30default_config_static_selectorELNS0_4arch9wavefront6targetE0EEEvT1_, .Lfunc_end1703-_ZN7rocprim17ROCPRIM_400000_NS6detail17trampoline_kernelINS0_14default_configENS1_25partition_config_selectorILNS1_17partition_subalgoE6EtNS0_10empty_typeEbEEZZNS1_14partition_implILS5_6ELb0ES3_mN6thrust23THRUST_200600_302600_NS6detail15normal_iteratorINSA_10device_ptrItEEEEPS6_SG_NS0_5tupleIJNSA_16discard_iteratorINSA_11use_defaultEEES6_EEENSH_IJSG_SG_EEES6_PlJNSB_9not_fun_tINSB_14equal_to_valueItEEEEEEE10hipError_tPvRmT3_T4_T5_T6_T7_T9_mT8_P12ihipStream_tbDpT10_ENKUlT_T0_E_clISt17integral_constantIbLb1EES1B_EEDaS16_S17_EUlS16_E_NS1_11comp_targetILNS1_3genE4ELNS1_11target_archE910ELNS1_3gpuE8ELNS1_3repE0EEENS1_30default_config_static_selectorELNS0_4arch9wavefront6targetE0EEEvT1_
                                        ; -- End function
	.set _ZN7rocprim17ROCPRIM_400000_NS6detail17trampoline_kernelINS0_14default_configENS1_25partition_config_selectorILNS1_17partition_subalgoE6EtNS0_10empty_typeEbEEZZNS1_14partition_implILS5_6ELb0ES3_mN6thrust23THRUST_200600_302600_NS6detail15normal_iteratorINSA_10device_ptrItEEEEPS6_SG_NS0_5tupleIJNSA_16discard_iteratorINSA_11use_defaultEEES6_EEENSH_IJSG_SG_EEES6_PlJNSB_9not_fun_tINSB_14equal_to_valueItEEEEEEE10hipError_tPvRmT3_T4_T5_T6_T7_T9_mT8_P12ihipStream_tbDpT10_ENKUlT_T0_E_clISt17integral_constantIbLb1EES1B_EEDaS16_S17_EUlS16_E_NS1_11comp_targetILNS1_3genE4ELNS1_11target_archE910ELNS1_3gpuE8ELNS1_3repE0EEENS1_30default_config_static_selectorELNS0_4arch9wavefront6targetE0EEEvT1_.num_vgpr, 0
	.set _ZN7rocprim17ROCPRIM_400000_NS6detail17trampoline_kernelINS0_14default_configENS1_25partition_config_selectorILNS1_17partition_subalgoE6EtNS0_10empty_typeEbEEZZNS1_14partition_implILS5_6ELb0ES3_mN6thrust23THRUST_200600_302600_NS6detail15normal_iteratorINSA_10device_ptrItEEEEPS6_SG_NS0_5tupleIJNSA_16discard_iteratorINSA_11use_defaultEEES6_EEENSH_IJSG_SG_EEES6_PlJNSB_9not_fun_tINSB_14equal_to_valueItEEEEEEE10hipError_tPvRmT3_T4_T5_T6_T7_T9_mT8_P12ihipStream_tbDpT10_ENKUlT_T0_E_clISt17integral_constantIbLb1EES1B_EEDaS16_S17_EUlS16_E_NS1_11comp_targetILNS1_3genE4ELNS1_11target_archE910ELNS1_3gpuE8ELNS1_3repE0EEENS1_30default_config_static_selectorELNS0_4arch9wavefront6targetE0EEEvT1_.num_agpr, 0
	.set _ZN7rocprim17ROCPRIM_400000_NS6detail17trampoline_kernelINS0_14default_configENS1_25partition_config_selectorILNS1_17partition_subalgoE6EtNS0_10empty_typeEbEEZZNS1_14partition_implILS5_6ELb0ES3_mN6thrust23THRUST_200600_302600_NS6detail15normal_iteratorINSA_10device_ptrItEEEEPS6_SG_NS0_5tupleIJNSA_16discard_iteratorINSA_11use_defaultEEES6_EEENSH_IJSG_SG_EEES6_PlJNSB_9not_fun_tINSB_14equal_to_valueItEEEEEEE10hipError_tPvRmT3_T4_T5_T6_T7_T9_mT8_P12ihipStream_tbDpT10_ENKUlT_T0_E_clISt17integral_constantIbLb1EES1B_EEDaS16_S17_EUlS16_E_NS1_11comp_targetILNS1_3genE4ELNS1_11target_archE910ELNS1_3gpuE8ELNS1_3repE0EEENS1_30default_config_static_selectorELNS0_4arch9wavefront6targetE0EEEvT1_.numbered_sgpr, 0
	.set _ZN7rocprim17ROCPRIM_400000_NS6detail17trampoline_kernelINS0_14default_configENS1_25partition_config_selectorILNS1_17partition_subalgoE6EtNS0_10empty_typeEbEEZZNS1_14partition_implILS5_6ELb0ES3_mN6thrust23THRUST_200600_302600_NS6detail15normal_iteratorINSA_10device_ptrItEEEEPS6_SG_NS0_5tupleIJNSA_16discard_iteratorINSA_11use_defaultEEES6_EEENSH_IJSG_SG_EEES6_PlJNSB_9not_fun_tINSB_14equal_to_valueItEEEEEEE10hipError_tPvRmT3_T4_T5_T6_T7_T9_mT8_P12ihipStream_tbDpT10_ENKUlT_T0_E_clISt17integral_constantIbLb1EES1B_EEDaS16_S17_EUlS16_E_NS1_11comp_targetILNS1_3genE4ELNS1_11target_archE910ELNS1_3gpuE8ELNS1_3repE0EEENS1_30default_config_static_selectorELNS0_4arch9wavefront6targetE0EEEvT1_.num_named_barrier, 0
	.set _ZN7rocprim17ROCPRIM_400000_NS6detail17trampoline_kernelINS0_14default_configENS1_25partition_config_selectorILNS1_17partition_subalgoE6EtNS0_10empty_typeEbEEZZNS1_14partition_implILS5_6ELb0ES3_mN6thrust23THRUST_200600_302600_NS6detail15normal_iteratorINSA_10device_ptrItEEEEPS6_SG_NS0_5tupleIJNSA_16discard_iteratorINSA_11use_defaultEEES6_EEENSH_IJSG_SG_EEES6_PlJNSB_9not_fun_tINSB_14equal_to_valueItEEEEEEE10hipError_tPvRmT3_T4_T5_T6_T7_T9_mT8_P12ihipStream_tbDpT10_ENKUlT_T0_E_clISt17integral_constantIbLb1EES1B_EEDaS16_S17_EUlS16_E_NS1_11comp_targetILNS1_3genE4ELNS1_11target_archE910ELNS1_3gpuE8ELNS1_3repE0EEENS1_30default_config_static_selectorELNS0_4arch9wavefront6targetE0EEEvT1_.private_seg_size, 0
	.set _ZN7rocprim17ROCPRIM_400000_NS6detail17trampoline_kernelINS0_14default_configENS1_25partition_config_selectorILNS1_17partition_subalgoE6EtNS0_10empty_typeEbEEZZNS1_14partition_implILS5_6ELb0ES3_mN6thrust23THRUST_200600_302600_NS6detail15normal_iteratorINSA_10device_ptrItEEEEPS6_SG_NS0_5tupleIJNSA_16discard_iteratorINSA_11use_defaultEEES6_EEENSH_IJSG_SG_EEES6_PlJNSB_9not_fun_tINSB_14equal_to_valueItEEEEEEE10hipError_tPvRmT3_T4_T5_T6_T7_T9_mT8_P12ihipStream_tbDpT10_ENKUlT_T0_E_clISt17integral_constantIbLb1EES1B_EEDaS16_S17_EUlS16_E_NS1_11comp_targetILNS1_3genE4ELNS1_11target_archE910ELNS1_3gpuE8ELNS1_3repE0EEENS1_30default_config_static_selectorELNS0_4arch9wavefront6targetE0EEEvT1_.uses_vcc, 0
	.set _ZN7rocprim17ROCPRIM_400000_NS6detail17trampoline_kernelINS0_14default_configENS1_25partition_config_selectorILNS1_17partition_subalgoE6EtNS0_10empty_typeEbEEZZNS1_14partition_implILS5_6ELb0ES3_mN6thrust23THRUST_200600_302600_NS6detail15normal_iteratorINSA_10device_ptrItEEEEPS6_SG_NS0_5tupleIJNSA_16discard_iteratorINSA_11use_defaultEEES6_EEENSH_IJSG_SG_EEES6_PlJNSB_9not_fun_tINSB_14equal_to_valueItEEEEEEE10hipError_tPvRmT3_T4_T5_T6_T7_T9_mT8_P12ihipStream_tbDpT10_ENKUlT_T0_E_clISt17integral_constantIbLb1EES1B_EEDaS16_S17_EUlS16_E_NS1_11comp_targetILNS1_3genE4ELNS1_11target_archE910ELNS1_3gpuE8ELNS1_3repE0EEENS1_30default_config_static_selectorELNS0_4arch9wavefront6targetE0EEEvT1_.uses_flat_scratch, 0
	.set _ZN7rocprim17ROCPRIM_400000_NS6detail17trampoline_kernelINS0_14default_configENS1_25partition_config_selectorILNS1_17partition_subalgoE6EtNS0_10empty_typeEbEEZZNS1_14partition_implILS5_6ELb0ES3_mN6thrust23THRUST_200600_302600_NS6detail15normal_iteratorINSA_10device_ptrItEEEEPS6_SG_NS0_5tupleIJNSA_16discard_iteratorINSA_11use_defaultEEES6_EEENSH_IJSG_SG_EEES6_PlJNSB_9not_fun_tINSB_14equal_to_valueItEEEEEEE10hipError_tPvRmT3_T4_T5_T6_T7_T9_mT8_P12ihipStream_tbDpT10_ENKUlT_T0_E_clISt17integral_constantIbLb1EES1B_EEDaS16_S17_EUlS16_E_NS1_11comp_targetILNS1_3genE4ELNS1_11target_archE910ELNS1_3gpuE8ELNS1_3repE0EEENS1_30default_config_static_selectorELNS0_4arch9wavefront6targetE0EEEvT1_.has_dyn_sized_stack, 0
	.set _ZN7rocprim17ROCPRIM_400000_NS6detail17trampoline_kernelINS0_14default_configENS1_25partition_config_selectorILNS1_17partition_subalgoE6EtNS0_10empty_typeEbEEZZNS1_14partition_implILS5_6ELb0ES3_mN6thrust23THRUST_200600_302600_NS6detail15normal_iteratorINSA_10device_ptrItEEEEPS6_SG_NS0_5tupleIJNSA_16discard_iteratorINSA_11use_defaultEEES6_EEENSH_IJSG_SG_EEES6_PlJNSB_9not_fun_tINSB_14equal_to_valueItEEEEEEE10hipError_tPvRmT3_T4_T5_T6_T7_T9_mT8_P12ihipStream_tbDpT10_ENKUlT_T0_E_clISt17integral_constantIbLb1EES1B_EEDaS16_S17_EUlS16_E_NS1_11comp_targetILNS1_3genE4ELNS1_11target_archE910ELNS1_3gpuE8ELNS1_3repE0EEENS1_30default_config_static_selectorELNS0_4arch9wavefront6targetE0EEEvT1_.has_recursion, 0
	.set _ZN7rocprim17ROCPRIM_400000_NS6detail17trampoline_kernelINS0_14default_configENS1_25partition_config_selectorILNS1_17partition_subalgoE6EtNS0_10empty_typeEbEEZZNS1_14partition_implILS5_6ELb0ES3_mN6thrust23THRUST_200600_302600_NS6detail15normal_iteratorINSA_10device_ptrItEEEEPS6_SG_NS0_5tupleIJNSA_16discard_iteratorINSA_11use_defaultEEES6_EEENSH_IJSG_SG_EEES6_PlJNSB_9not_fun_tINSB_14equal_to_valueItEEEEEEE10hipError_tPvRmT3_T4_T5_T6_T7_T9_mT8_P12ihipStream_tbDpT10_ENKUlT_T0_E_clISt17integral_constantIbLb1EES1B_EEDaS16_S17_EUlS16_E_NS1_11comp_targetILNS1_3genE4ELNS1_11target_archE910ELNS1_3gpuE8ELNS1_3repE0EEENS1_30default_config_static_selectorELNS0_4arch9wavefront6targetE0EEEvT1_.has_indirect_call, 0
	.section	.AMDGPU.csdata,"",@progbits
; Kernel info:
; codeLenInByte = 0
; TotalNumSgprs: 0
; NumVgprs: 0
; ScratchSize: 0
; MemoryBound: 0
; FloatMode: 240
; IeeeMode: 1
; LDSByteSize: 0 bytes/workgroup (compile time only)
; SGPRBlocks: 0
; VGPRBlocks: 0
; NumSGPRsForWavesPerEU: 1
; NumVGPRsForWavesPerEU: 1
; Occupancy: 16
; WaveLimiterHint : 0
; COMPUTE_PGM_RSRC2:SCRATCH_EN: 0
; COMPUTE_PGM_RSRC2:USER_SGPR: 2
; COMPUTE_PGM_RSRC2:TRAP_HANDLER: 0
; COMPUTE_PGM_RSRC2:TGID_X_EN: 1
; COMPUTE_PGM_RSRC2:TGID_Y_EN: 0
; COMPUTE_PGM_RSRC2:TGID_Z_EN: 0
; COMPUTE_PGM_RSRC2:TIDIG_COMP_CNT: 0
	.section	.text._ZN7rocprim17ROCPRIM_400000_NS6detail17trampoline_kernelINS0_14default_configENS1_25partition_config_selectorILNS1_17partition_subalgoE6EtNS0_10empty_typeEbEEZZNS1_14partition_implILS5_6ELb0ES3_mN6thrust23THRUST_200600_302600_NS6detail15normal_iteratorINSA_10device_ptrItEEEEPS6_SG_NS0_5tupleIJNSA_16discard_iteratorINSA_11use_defaultEEES6_EEENSH_IJSG_SG_EEES6_PlJNSB_9not_fun_tINSB_14equal_to_valueItEEEEEEE10hipError_tPvRmT3_T4_T5_T6_T7_T9_mT8_P12ihipStream_tbDpT10_ENKUlT_T0_E_clISt17integral_constantIbLb1EES1B_EEDaS16_S17_EUlS16_E_NS1_11comp_targetILNS1_3genE3ELNS1_11target_archE908ELNS1_3gpuE7ELNS1_3repE0EEENS1_30default_config_static_selectorELNS0_4arch9wavefront6targetE0EEEvT1_,"axG",@progbits,_ZN7rocprim17ROCPRIM_400000_NS6detail17trampoline_kernelINS0_14default_configENS1_25partition_config_selectorILNS1_17partition_subalgoE6EtNS0_10empty_typeEbEEZZNS1_14partition_implILS5_6ELb0ES3_mN6thrust23THRUST_200600_302600_NS6detail15normal_iteratorINSA_10device_ptrItEEEEPS6_SG_NS0_5tupleIJNSA_16discard_iteratorINSA_11use_defaultEEES6_EEENSH_IJSG_SG_EEES6_PlJNSB_9not_fun_tINSB_14equal_to_valueItEEEEEEE10hipError_tPvRmT3_T4_T5_T6_T7_T9_mT8_P12ihipStream_tbDpT10_ENKUlT_T0_E_clISt17integral_constantIbLb1EES1B_EEDaS16_S17_EUlS16_E_NS1_11comp_targetILNS1_3genE3ELNS1_11target_archE908ELNS1_3gpuE7ELNS1_3repE0EEENS1_30default_config_static_selectorELNS0_4arch9wavefront6targetE0EEEvT1_,comdat
	.protected	_ZN7rocprim17ROCPRIM_400000_NS6detail17trampoline_kernelINS0_14default_configENS1_25partition_config_selectorILNS1_17partition_subalgoE6EtNS0_10empty_typeEbEEZZNS1_14partition_implILS5_6ELb0ES3_mN6thrust23THRUST_200600_302600_NS6detail15normal_iteratorINSA_10device_ptrItEEEEPS6_SG_NS0_5tupleIJNSA_16discard_iteratorINSA_11use_defaultEEES6_EEENSH_IJSG_SG_EEES6_PlJNSB_9not_fun_tINSB_14equal_to_valueItEEEEEEE10hipError_tPvRmT3_T4_T5_T6_T7_T9_mT8_P12ihipStream_tbDpT10_ENKUlT_T0_E_clISt17integral_constantIbLb1EES1B_EEDaS16_S17_EUlS16_E_NS1_11comp_targetILNS1_3genE3ELNS1_11target_archE908ELNS1_3gpuE7ELNS1_3repE0EEENS1_30default_config_static_selectorELNS0_4arch9wavefront6targetE0EEEvT1_ ; -- Begin function _ZN7rocprim17ROCPRIM_400000_NS6detail17trampoline_kernelINS0_14default_configENS1_25partition_config_selectorILNS1_17partition_subalgoE6EtNS0_10empty_typeEbEEZZNS1_14partition_implILS5_6ELb0ES3_mN6thrust23THRUST_200600_302600_NS6detail15normal_iteratorINSA_10device_ptrItEEEEPS6_SG_NS0_5tupleIJNSA_16discard_iteratorINSA_11use_defaultEEES6_EEENSH_IJSG_SG_EEES6_PlJNSB_9not_fun_tINSB_14equal_to_valueItEEEEEEE10hipError_tPvRmT3_T4_T5_T6_T7_T9_mT8_P12ihipStream_tbDpT10_ENKUlT_T0_E_clISt17integral_constantIbLb1EES1B_EEDaS16_S17_EUlS16_E_NS1_11comp_targetILNS1_3genE3ELNS1_11target_archE908ELNS1_3gpuE7ELNS1_3repE0EEENS1_30default_config_static_selectorELNS0_4arch9wavefront6targetE0EEEvT1_
	.globl	_ZN7rocprim17ROCPRIM_400000_NS6detail17trampoline_kernelINS0_14default_configENS1_25partition_config_selectorILNS1_17partition_subalgoE6EtNS0_10empty_typeEbEEZZNS1_14partition_implILS5_6ELb0ES3_mN6thrust23THRUST_200600_302600_NS6detail15normal_iteratorINSA_10device_ptrItEEEEPS6_SG_NS0_5tupleIJNSA_16discard_iteratorINSA_11use_defaultEEES6_EEENSH_IJSG_SG_EEES6_PlJNSB_9not_fun_tINSB_14equal_to_valueItEEEEEEE10hipError_tPvRmT3_T4_T5_T6_T7_T9_mT8_P12ihipStream_tbDpT10_ENKUlT_T0_E_clISt17integral_constantIbLb1EES1B_EEDaS16_S17_EUlS16_E_NS1_11comp_targetILNS1_3genE3ELNS1_11target_archE908ELNS1_3gpuE7ELNS1_3repE0EEENS1_30default_config_static_selectorELNS0_4arch9wavefront6targetE0EEEvT1_
	.p2align	8
	.type	_ZN7rocprim17ROCPRIM_400000_NS6detail17trampoline_kernelINS0_14default_configENS1_25partition_config_selectorILNS1_17partition_subalgoE6EtNS0_10empty_typeEbEEZZNS1_14partition_implILS5_6ELb0ES3_mN6thrust23THRUST_200600_302600_NS6detail15normal_iteratorINSA_10device_ptrItEEEEPS6_SG_NS0_5tupleIJNSA_16discard_iteratorINSA_11use_defaultEEES6_EEENSH_IJSG_SG_EEES6_PlJNSB_9not_fun_tINSB_14equal_to_valueItEEEEEEE10hipError_tPvRmT3_T4_T5_T6_T7_T9_mT8_P12ihipStream_tbDpT10_ENKUlT_T0_E_clISt17integral_constantIbLb1EES1B_EEDaS16_S17_EUlS16_E_NS1_11comp_targetILNS1_3genE3ELNS1_11target_archE908ELNS1_3gpuE7ELNS1_3repE0EEENS1_30default_config_static_selectorELNS0_4arch9wavefront6targetE0EEEvT1_,@function
_ZN7rocprim17ROCPRIM_400000_NS6detail17trampoline_kernelINS0_14default_configENS1_25partition_config_selectorILNS1_17partition_subalgoE6EtNS0_10empty_typeEbEEZZNS1_14partition_implILS5_6ELb0ES3_mN6thrust23THRUST_200600_302600_NS6detail15normal_iteratorINSA_10device_ptrItEEEEPS6_SG_NS0_5tupleIJNSA_16discard_iteratorINSA_11use_defaultEEES6_EEENSH_IJSG_SG_EEES6_PlJNSB_9not_fun_tINSB_14equal_to_valueItEEEEEEE10hipError_tPvRmT3_T4_T5_T6_T7_T9_mT8_P12ihipStream_tbDpT10_ENKUlT_T0_E_clISt17integral_constantIbLb1EES1B_EEDaS16_S17_EUlS16_E_NS1_11comp_targetILNS1_3genE3ELNS1_11target_archE908ELNS1_3gpuE7ELNS1_3repE0EEENS1_30default_config_static_selectorELNS0_4arch9wavefront6targetE0EEEvT1_: ; @_ZN7rocprim17ROCPRIM_400000_NS6detail17trampoline_kernelINS0_14default_configENS1_25partition_config_selectorILNS1_17partition_subalgoE6EtNS0_10empty_typeEbEEZZNS1_14partition_implILS5_6ELb0ES3_mN6thrust23THRUST_200600_302600_NS6detail15normal_iteratorINSA_10device_ptrItEEEEPS6_SG_NS0_5tupleIJNSA_16discard_iteratorINSA_11use_defaultEEES6_EEENSH_IJSG_SG_EEES6_PlJNSB_9not_fun_tINSB_14equal_to_valueItEEEEEEE10hipError_tPvRmT3_T4_T5_T6_T7_T9_mT8_P12ihipStream_tbDpT10_ENKUlT_T0_E_clISt17integral_constantIbLb1EES1B_EEDaS16_S17_EUlS16_E_NS1_11comp_targetILNS1_3genE3ELNS1_11target_archE908ELNS1_3gpuE7ELNS1_3repE0EEENS1_30default_config_static_selectorELNS0_4arch9wavefront6targetE0EEEvT1_
; %bb.0:
	.section	.rodata,"a",@progbits
	.p2align	6, 0x0
	.amdhsa_kernel _ZN7rocprim17ROCPRIM_400000_NS6detail17trampoline_kernelINS0_14default_configENS1_25partition_config_selectorILNS1_17partition_subalgoE6EtNS0_10empty_typeEbEEZZNS1_14partition_implILS5_6ELb0ES3_mN6thrust23THRUST_200600_302600_NS6detail15normal_iteratorINSA_10device_ptrItEEEEPS6_SG_NS0_5tupleIJNSA_16discard_iteratorINSA_11use_defaultEEES6_EEENSH_IJSG_SG_EEES6_PlJNSB_9not_fun_tINSB_14equal_to_valueItEEEEEEE10hipError_tPvRmT3_T4_T5_T6_T7_T9_mT8_P12ihipStream_tbDpT10_ENKUlT_T0_E_clISt17integral_constantIbLb1EES1B_EEDaS16_S17_EUlS16_E_NS1_11comp_targetILNS1_3genE3ELNS1_11target_archE908ELNS1_3gpuE7ELNS1_3repE0EEENS1_30default_config_static_selectorELNS0_4arch9wavefront6targetE0EEEvT1_
		.amdhsa_group_segment_fixed_size 0
		.amdhsa_private_segment_fixed_size 0
		.amdhsa_kernarg_size 136
		.amdhsa_user_sgpr_count 2
		.amdhsa_user_sgpr_dispatch_ptr 0
		.amdhsa_user_sgpr_queue_ptr 0
		.amdhsa_user_sgpr_kernarg_segment_ptr 1
		.amdhsa_user_sgpr_dispatch_id 0
		.amdhsa_user_sgpr_private_segment_size 0
		.amdhsa_wavefront_size32 1
		.amdhsa_uses_dynamic_stack 0
		.amdhsa_enable_private_segment 0
		.amdhsa_system_sgpr_workgroup_id_x 1
		.amdhsa_system_sgpr_workgroup_id_y 0
		.amdhsa_system_sgpr_workgroup_id_z 0
		.amdhsa_system_sgpr_workgroup_info 0
		.amdhsa_system_vgpr_workitem_id 0
		.amdhsa_next_free_vgpr 1
		.amdhsa_next_free_sgpr 1
		.amdhsa_reserve_vcc 0
		.amdhsa_float_round_mode_32 0
		.amdhsa_float_round_mode_16_64 0
		.amdhsa_float_denorm_mode_32 3
		.amdhsa_float_denorm_mode_16_64 3
		.amdhsa_fp16_overflow 0
		.amdhsa_workgroup_processor_mode 1
		.amdhsa_memory_ordered 1
		.amdhsa_forward_progress 1
		.amdhsa_inst_pref_size 0
		.amdhsa_round_robin_scheduling 0
		.amdhsa_exception_fp_ieee_invalid_op 0
		.amdhsa_exception_fp_denorm_src 0
		.amdhsa_exception_fp_ieee_div_zero 0
		.amdhsa_exception_fp_ieee_overflow 0
		.amdhsa_exception_fp_ieee_underflow 0
		.amdhsa_exception_fp_ieee_inexact 0
		.amdhsa_exception_int_div_zero 0
	.end_amdhsa_kernel
	.section	.text._ZN7rocprim17ROCPRIM_400000_NS6detail17trampoline_kernelINS0_14default_configENS1_25partition_config_selectorILNS1_17partition_subalgoE6EtNS0_10empty_typeEbEEZZNS1_14partition_implILS5_6ELb0ES3_mN6thrust23THRUST_200600_302600_NS6detail15normal_iteratorINSA_10device_ptrItEEEEPS6_SG_NS0_5tupleIJNSA_16discard_iteratorINSA_11use_defaultEEES6_EEENSH_IJSG_SG_EEES6_PlJNSB_9not_fun_tINSB_14equal_to_valueItEEEEEEE10hipError_tPvRmT3_T4_T5_T6_T7_T9_mT8_P12ihipStream_tbDpT10_ENKUlT_T0_E_clISt17integral_constantIbLb1EES1B_EEDaS16_S17_EUlS16_E_NS1_11comp_targetILNS1_3genE3ELNS1_11target_archE908ELNS1_3gpuE7ELNS1_3repE0EEENS1_30default_config_static_selectorELNS0_4arch9wavefront6targetE0EEEvT1_,"axG",@progbits,_ZN7rocprim17ROCPRIM_400000_NS6detail17trampoline_kernelINS0_14default_configENS1_25partition_config_selectorILNS1_17partition_subalgoE6EtNS0_10empty_typeEbEEZZNS1_14partition_implILS5_6ELb0ES3_mN6thrust23THRUST_200600_302600_NS6detail15normal_iteratorINSA_10device_ptrItEEEEPS6_SG_NS0_5tupleIJNSA_16discard_iteratorINSA_11use_defaultEEES6_EEENSH_IJSG_SG_EEES6_PlJNSB_9not_fun_tINSB_14equal_to_valueItEEEEEEE10hipError_tPvRmT3_T4_T5_T6_T7_T9_mT8_P12ihipStream_tbDpT10_ENKUlT_T0_E_clISt17integral_constantIbLb1EES1B_EEDaS16_S17_EUlS16_E_NS1_11comp_targetILNS1_3genE3ELNS1_11target_archE908ELNS1_3gpuE7ELNS1_3repE0EEENS1_30default_config_static_selectorELNS0_4arch9wavefront6targetE0EEEvT1_,comdat
.Lfunc_end1704:
	.size	_ZN7rocprim17ROCPRIM_400000_NS6detail17trampoline_kernelINS0_14default_configENS1_25partition_config_selectorILNS1_17partition_subalgoE6EtNS0_10empty_typeEbEEZZNS1_14partition_implILS5_6ELb0ES3_mN6thrust23THRUST_200600_302600_NS6detail15normal_iteratorINSA_10device_ptrItEEEEPS6_SG_NS0_5tupleIJNSA_16discard_iteratorINSA_11use_defaultEEES6_EEENSH_IJSG_SG_EEES6_PlJNSB_9not_fun_tINSB_14equal_to_valueItEEEEEEE10hipError_tPvRmT3_T4_T5_T6_T7_T9_mT8_P12ihipStream_tbDpT10_ENKUlT_T0_E_clISt17integral_constantIbLb1EES1B_EEDaS16_S17_EUlS16_E_NS1_11comp_targetILNS1_3genE3ELNS1_11target_archE908ELNS1_3gpuE7ELNS1_3repE0EEENS1_30default_config_static_selectorELNS0_4arch9wavefront6targetE0EEEvT1_, .Lfunc_end1704-_ZN7rocprim17ROCPRIM_400000_NS6detail17trampoline_kernelINS0_14default_configENS1_25partition_config_selectorILNS1_17partition_subalgoE6EtNS0_10empty_typeEbEEZZNS1_14partition_implILS5_6ELb0ES3_mN6thrust23THRUST_200600_302600_NS6detail15normal_iteratorINSA_10device_ptrItEEEEPS6_SG_NS0_5tupleIJNSA_16discard_iteratorINSA_11use_defaultEEES6_EEENSH_IJSG_SG_EEES6_PlJNSB_9not_fun_tINSB_14equal_to_valueItEEEEEEE10hipError_tPvRmT3_T4_T5_T6_T7_T9_mT8_P12ihipStream_tbDpT10_ENKUlT_T0_E_clISt17integral_constantIbLb1EES1B_EEDaS16_S17_EUlS16_E_NS1_11comp_targetILNS1_3genE3ELNS1_11target_archE908ELNS1_3gpuE7ELNS1_3repE0EEENS1_30default_config_static_selectorELNS0_4arch9wavefront6targetE0EEEvT1_
                                        ; -- End function
	.set _ZN7rocprim17ROCPRIM_400000_NS6detail17trampoline_kernelINS0_14default_configENS1_25partition_config_selectorILNS1_17partition_subalgoE6EtNS0_10empty_typeEbEEZZNS1_14partition_implILS5_6ELb0ES3_mN6thrust23THRUST_200600_302600_NS6detail15normal_iteratorINSA_10device_ptrItEEEEPS6_SG_NS0_5tupleIJNSA_16discard_iteratorINSA_11use_defaultEEES6_EEENSH_IJSG_SG_EEES6_PlJNSB_9not_fun_tINSB_14equal_to_valueItEEEEEEE10hipError_tPvRmT3_T4_T5_T6_T7_T9_mT8_P12ihipStream_tbDpT10_ENKUlT_T0_E_clISt17integral_constantIbLb1EES1B_EEDaS16_S17_EUlS16_E_NS1_11comp_targetILNS1_3genE3ELNS1_11target_archE908ELNS1_3gpuE7ELNS1_3repE0EEENS1_30default_config_static_selectorELNS0_4arch9wavefront6targetE0EEEvT1_.num_vgpr, 0
	.set _ZN7rocprim17ROCPRIM_400000_NS6detail17trampoline_kernelINS0_14default_configENS1_25partition_config_selectorILNS1_17partition_subalgoE6EtNS0_10empty_typeEbEEZZNS1_14partition_implILS5_6ELb0ES3_mN6thrust23THRUST_200600_302600_NS6detail15normal_iteratorINSA_10device_ptrItEEEEPS6_SG_NS0_5tupleIJNSA_16discard_iteratorINSA_11use_defaultEEES6_EEENSH_IJSG_SG_EEES6_PlJNSB_9not_fun_tINSB_14equal_to_valueItEEEEEEE10hipError_tPvRmT3_T4_T5_T6_T7_T9_mT8_P12ihipStream_tbDpT10_ENKUlT_T0_E_clISt17integral_constantIbLb1EES1B_EEDaS16_S17_EUlS16_E_NS1_11comp_targetILNS1_3genE3ELNS1_11target_archE908ELNS1_3gpuE7ELNS1_3repE0EEENS1_30default_config_static_selectorELNS0_4arch9wavefront6targetE0EEEvT1_.num_agpr, 0
	.set _ZN7rocprim17ROCPRIM_400000_NS6detail17trampoline_kernelINS0_14default_configENS1_25partition_config_selectorILNS1_17partition_subalgoE6EtNS0_10empty_typeEbEEZZNS1_14partition_implILS5_6ELb0ES3_mN6thrust23THRUST_200600_302600_NS6detail15normal_iteratorINSA_10device_ptrItEEEEPS6_SG_NS0_5tupleIJNSA_16discard_iteratorINSA_11use_defaultEEES6_EEENSH_IJSG_SG_EEES6_PlJNSB_9not_fun_tINSB_14equal_to_valueItEEEEEEE10hipError_tPvRmT3_T4_T5_T6_T7_T9_mT8_P12ihipStream_tbDpT10_ENKUlT_T0_E_clISt17integral_constantIbLb1EES1B_EEDaS16_S17_EUlS16_E_NS1_11comp_targetILNS1_3genE3ELNS1_11target_archE908ELNS1_3gpuE7ELNS1_3repE0EEENS1_30default_config_static_selectorELNS0_4arch9wavefront6targetE0EEEvT1_.numbered_sgpr, 0
	.set _ZN7rocprim17ROCPRIM_400000_NS6detail17trampoline_kernelINS0_14default_configENS1_25partition_config_selectorILNS1_17partition_subalgoE6EtNS0_10empty_typeEbEEZZNS1_14partition_implILS5_6ELb0ES3_mN6thrust23THRUST_200600_302600_NS6detail15normal_iteratorINSA_10device_ptrItEEEEPS6_SG_NS0_5tupleIJNSA_16discard_iteratorINSA_11use_defaultEEES6_EEENSH_IJSG_SG_EEES6_PlJNSB_9not_fun_tINSB_14equal_to_valueItEEEEEEE10hipError_tPvRmT3_T4_T5_T6_T7_T9_mT8_P12ihipStream_tbDpT10_ENKUlT_T0_E_clISt17integral_constantIbLb1EES1B_EEDaS16_S17_EUlS16_E_NS1_11comp_targetILNS1_3genE3ELNS1_11target_archE908ELNS1_3gpuE7ELNS1_3repE0EEENS1_30default_config_static_selectorELNS0_4arch9wavefront6targetE0EEEvT1_.num_named_barrier, 0
	.set _ZN7rocprim17ROCPRIM_400000_NS6detail17trampoline_kernelINS0_14default_configENS1_25partition_config_selectorILNS1_17partition_subalgoE6EtNS0_10empty_typeEbEEZZNS1_14partition_implILS5_6ELb0ES3_mN6thrust23THRUST_200600_302600_NS6detail15normal_iteratorINSA_10device_ptrItEEEEPS6_SG_NS0_5tupleIJNSA_16discard_iteratorINSA_11use_defaultEEES6_EEENSH_IJSG_SG_EEES6_PlJNSB_9not_fun_tINSB_14equal_to_valueItEEEEEEE10hipError_tPvRmT3_T4_T5_T6_T7_T9_mT8_P12ihipStream_tbDpT10_ENKUlT_T0_E_clISt17integral_constantIbLb1EES1B_EEDaS16_S17_EUlS16_E_NS1_11comp_targetILNS1_3genE3ELNS1_11target_archE908ELNS1_3gpuE7ELNS1_3repE0EEENS1_30default_config_static_selectorELNS0_4arch9wavefront6targetE0EEEvT1_.private_seg_size, 0
	.set _ZN7rocprim17ROCPRIM_400000_NS6detail17trampoline_kernelINS0_14default_configENS1_25partition_config_selectorILNS1_17partition_subalgoE6EtNS0_10empty_typeEbEEZZNS1_14partition_implILS5_6ELb0ES3_mN6thrust23THRUST_200600_302600_NS6detail15normal_iteratorINSA_10device_ptrItEEEEPS6_SG_NS0_5tupleIJNSA_16discard_iteratorINSA_11use_defaultEEES6_EEENSH_IJSG_SG_EEES6_PlJNSB_9not_fun_tINSB_14equal_to_valueItEEEEEEE10hipError_tPvRmT3_T4_T5_T6_T7_T9_mT8_P12ihipStream_tbDpT10_ENKUlT_T0_E_clISt17integral_constantIbLb1EES1B_EEDaS16_S17_EUlS16_E_NS1_11comp_targetILNS1_3genE3ELNS1_11target_archE908ELNS1_3gpuE7ELNS1_3repE0EEENS1_30default_config_static_selectorELNS0_4arch9wavefront6targetE0EEEvT1_.uses_vcc, 0
	.set _ZN7rocprim17ROCPRIM_400000_NS6detail17trampoline_kernelINS0_14default_configENS1_25partition_config_selectorILNS1_17partition_subalgoE6EtNS0_10empty_typeEbEEZZNS1_14partition_implILS5_6ELb0ES3_mN6thrust23THRUST_200600_302600_NS6detail15normal_iteratorINSA_10device_ptrItEEEEPS6_SG_NS0_5tupleIJNSA_16discard_iteratorINSA_11use_defaultEEES6_EEENSH_IJSG_SG_EEES6_PlJNSB_9not_fun_tINSB_14equal_to_valueItEEEEEEE10hipError_tPvRmT3_T4_T5_T6_T7_T9_mT8_P12ihipStream_tbDpT10_ENKUlT_T0_E_clISt17integral_constantIbLb1EES1B_EEDaS16_S17_EUlS16_E_NS1_11comp_targetILNS1_3genE3ELNS1_11target_archE908ELNS1_3gpuE7ELNS1_3repE0EEENS1_30default_config_static_selectorELNS0_4arch9wavefront6targetE0EEEvT1_.uses_flat_scratch, 0
	.set _ZN7rocprim17ROCPRIM_400000_NS6detail17trampoline_kernelINS0_14default_configENS1_25partition_config_selectorILNS1_17partition_subalgoE6EtNS0_10empty_typeEbEEZZNS1_14partition_implILS5_6ELb0ES3_mN6thrust23THRUST_200600_302600_NS6detail15normal_iteratorINSA_10device_ptrItEEEEPS6_SG_NS0_5tupleIJNSA_16discard_iteratorINSA_11use_defaultEEES6_EEENSH_IJSG_SG_EEES6_PlJNSB_9not_fun_tINSB_14equal_to_valueItEEEEEEE10hipError_tPvRmT3_T4_T5_T6_T7_T9_mT8_P12ihipStream_tbDpT10_ENKUlT_T0_E_clISt17integral_constantIbLb1EES1B_EEDaS16_S17_EUlS16_E_NS1_11comp_targetILNS1_3genE3ELNS1_11target_archE908ELNS1_3gpuE7ELNS1_3repE0EEENS1_30default_config_static_selectorELNS0_4arch9wavefront6targetE0EEEvT1_.has_dyn_sized_stack, 0
	.set _ZN7rocprim17ROCPRIM_400000_NS6detail17trampoline_kernelINS0_14default_configENS1_25partition_config_selectorILNS1_17partition_subalgoE6EtNS0_10empty_typeEbEEZZNS1_14partition_implILS5_6ELb0ES3_mN6thrust23THRUST_200600_302600_NS6detail15normal_iteratorINSA_10device_ptrItEEEEPS6_SG_NS0_5tupleIJNSA_16discard_iteratorINSA_11use_defaultEEES6_EEENSH_IJSG_SG_EEES6_PlJNSB_9not_fun_tINSB_14equal_to_valueItEEEEEEE10hipError_tPvRmT3_T4_T5_T6_T7_T9_mT8_P12ihipStream_tbDpT10_ENKUlT_T0_E_clISt17integral_constantIbLb1EES1B_EEDaS16_S17_EUlS16_E_NS1_11comp_targetILNS1_3genE3ELNS1_11target_archE908ELNS1_3gpuE7ELNS1_3repE0EEENS1_30default_config_static_selectorELNS0_4arch9wavefront6targetE0EEEvT1_.has_recursion, 0
	.set _ZN7rocprim17ROCPRIM_400000_NS6detail17trampoline_kernelINS0_14default_configENS1_25partition_config_selectorILNS1_17partition_subalgoE6EtNS0_10empty_typeEbEEZZNS1_14partition_implILS5_6ELb0ES3_mN6thrust23THRUST_200600_302600_NS6detail15normal_iteratorINSA_10device_ptrItEEEEPS6_SG_NS0_5tupleIJNSA_16discard_iteratorINSA_11use_defaultEEES6_EEENSH_IJSG_SG_EEES6_PlJNSB_9not_fun_tINSB_14equal_to_valueItEEEEEEE10hipError_tPvRmT3_T4_T5_T6_T7_T9_mT8_P12ihipStream_tbDpT10_ENKUlT_T0_E_clISt17integral_constantIbLb1EES1B_EEDaS16_S17_EUlS16_E_NS1_11comp_targetILNS1_3genE3ELNS1_11target_archE908ELNS1_3gpuE7ELNS1_3repE0EEENS1_30default_config_static_selectorELNS0_4arch9wavefront6targetE0EEEvT1_.has_indirect_call, 0
	.section	.AMDGPU.csdata,"",@progbits
; Kernel info:
; codeLenInByte = 0
; TotalNumSgprs: 0
; NumVgprs: 0
; ScratchSize: 0
; MemoryBound: 0
; FloatMode: 240
; IeeeMode: 1
; LDSByteSize: 0 bytes/workgroup (compile time only)
; SGPRBlocks: 0
; VGPRBlocks: 0
; NumSGPRsForWavesPerEU: 1
; NumVGPRsForWavesPerEU: 1
; Occupancy: 16
; WaveLimiterHint : 0
; COMPUTE_PGM_RSRC2:SCRATCH_EN: 0
; COMPUTE_PGM_RSRC2:USER_SGPR: 2
; COMPUTE_PGM_RSRC2:TRAP_HANDLER: 0
; COMPUTE_PGM_RSRC2:TGID_X_EN: 1
; COMPUTE_PGM_RSRC2:TGID_Y_EN: 0
; COMPUTE_PGM_RSRC2:TGID_Z_EN: 0
; COMPUTE_PGM_RSRC2:TIDIG_COMP_CNT: 0
	.section	.text._ZN7rocprim17ROCPRIM_400000_NS6detail17trampoline_kernelINS0_14default_configENS1_25partition_config_selectorILNS1_17partition_subalgoE6EtNS0_10empty_typeEbEEZZNS1_14partition_implILS5_6ELb0ES3_mN6thrust23THRUST_200600_302600_NS6detail15normal_iteratorINSA_10device_ptrItEEEEPS6_SG_NS0_5tupleIJNSA_16discard_iteratorINSA_11use_defaultEEES6_EEENSH_IJSG_SG_EEES6_PlJNSB_9not_fun_tINSB_14equal_to_valueItEEEEEEE10hipError_tPvRmT3_T4_T5_T6_T7_T9_mT8_P12ihipStream_tbDpT10_ENKUlT_T0_E_clISt17integral_constantIbLb1EES1B_EEDaS16_S17_EUlS16_E_NS1_11comp_targetILNS1_3genE2ELNS1_11target_archE906ELNS1_3gpuE6ELNS1_3repE0EEENS1_30default_config_static_selectorELNS0_4arch9wavefront6targetE0EEEvT1_,"axG",@progbits,_ZN7rocprim17ROCPRIM_400000_NS6detail17trampoline_kernelINS0_14default_configENS1_25partition_config_selectorILNS1_17partition_subalgoE6EtNS0_10empty_typeEbEEZZNS1_14partition_implILS5_6ELb0ES3_mN6thrust23THRUST_200600_302600_NS6detail15normal_iteratorINSA_10device_ptrItEEEEPS6_SG_NS0_5tupleIJNSA_16discard_iteratorINSA_11use_defaultEEES6_EEENSH_IJSG_SG_EEES6_PlJNSB_9not_fun_tINSB_14equal_to_valueItEEEEEEE10hipError_tPvRmT3_T4_T5_T6_T7_T9_mT8_P12ihipStream_tbDpT10_ENKUlT_T0_E_clISt17integral_constantIbLb1EES1B_EEDaS16_S17_EUlS16_E_NS1_11comp_targetILNS1_3genE2ELNS1_11target_archE906ELNS1_3gpuE6ELNS1_3repE0EEENS1_30default_config_static_selectorELNS0_4arch9wavefront6targetE0EEEvT1_,comdat
	.protected	_ZN7rocprim17ROCPRIM_400000_NS6detail17trampoline_kernelINS0_14default_configENS1_25partition_config_selectorILNS1_17partition_subalgoE6EtNS0_10empty_typeEbEEZZNS1_14partition_implILS5_6ELb0ES3_mN6thrust23THRUST_200600_302600_NS6detail15normal_iteratorINSA_10device_ptrItEEEEPS6_SG_NS0_5tupleIJNSA_16discard_iteratorINSA_11use_defaultEEES6_EEENSH_IJSG_SG_EEES6_PlJNSB_9not_fun_tINSB_14equal_to_valueItEEEEEEE10hipError_tPvRmT3_T4_T5_T6_T7_T9_mT8_P12ihipStream_tbDpT10_ENKUlT_T0_E_clISt17integral_constantIbLb1EES1B_EEDaS16_S17_EUlS16_E_NS1_11comp_targetILNS1_3genE2ELNS1_11target_archE906ELNS1_3gpuE6ELNS1_3repE0EEENS1_30default_config_static_selectorELNS0_4arch9wavefront6targetE0EEEvT1_ ; -- Begin function _ZN7rocprim17ROCPRIM_400000_NS6detail17trampoline_kernelINS0_14default_configENS1_25partition_config_selectorILNS1_17partition_subalgoE6EtNS0_10empty_typeEbEEZZNS1_14partition_implILS5_6ELb0ES3_mN6thrust23THRUST_200600_302600_NS6detail15normal_iteratorINSA_10device_ptrItEEEEPS6_SG_NS0_5tupleIJNSA_16discard_iteratorINSA_11use_defaultEEES6_EEENSH_IJSG_SG_EEES6_PlJNSB_9not_fun_tINSB_14equal_to_valueItEEEEEEE10hipError_tPvRmT3_T4_T5_T6_T7_T9_mT8_P12ihipStream_tbDpT10_ENKUlT_T0_E_clISt17integral_constantIbLb1EES1B_EEDaS16_S17_EUlS16_E_NS1_11comp_targetILNS1_3genE2ELNS1_11target_archE906ELNS1_3gpuE6ELNS1_3repE0EEENS1_30default_config_static_selectorELNS0_4arch9wavefront6targetE0EEEvT1_
	.globl	_ZN7rocprim17ROCPRIM_400000_NS6detail17trampoline_kernelINS0_14default_configENS1_25partition_config_selectorILNS1_17partition_subalgoE6EtNS0_10empty_typeEbEEZZNS1_14partition_implILS5_6ELb0ES3_mN6thrust23THRUST_200600_302600_NS6detail15normal_iteratorINSA_10device_ptrItEEEEPS6_SG_NS0_5tupleIJNSA_16discard_iteratorINSA_11use_defaultEEES6_EEENSH_IJSG_SG_EEES6_PlJNSB_9not_fun_tINSB_14equal_to_valueItEEEEEEE10hipError_tPvRmT3_T4_T5_T6_T7_T9_mT8_P12ihipStream_tbDpT10_ENKUlT_T0_E_clISt17integral_constantIbLb1EES1B_EEDaS16_S17_EUlS16_E_NS1_11comp_targetILNS1_3genE2ELNS1_11target_archE906ELNS1_3gpuE6ELNS1_3repE0EEENS1_30default_config_static_selectorELNS0_4arch9wavefront6targetE0EEEvT1_
	.p2align	8
	.type	_ZN7rocprim17ROCPRIM_400000_NS6detail17trampoline_kernelINS0_14default_configENS1_25partition_config_selectorILNS1_17partition_subalgoE6EtNS0_10empty_typeEbEEZZNS1_14partition_implILS5_6ELb0ES3_mN6thrust23THRUST_200600_302600_NS6detail15normal_iteratorINSA_10device_ptrItEEEEPS6_SG_NS0_5tupleIJNSA_16discard_iteratorINSA_11use_defaultEEES6_EEENSH_IJSG_SG_EEES6_PlJNSB_9not_fun_tINSB_14equal_to_valueItEEEEEEE10hipError_tPvRmT3_T4_T5_T6_T7_T9_mT8_P12ihipStream_tbDpT10_ENKUlT_T0_E_clISt17integral_constantIbLb1EES1B_EEDaS16_S17_EUlS16_E_NS1_11comp_targetILNS1_3genE2ELNS1_11target_archE906ELNS1_3gpuE6ELNS1_3repE0EEENS1_30default_config_static_selectorELNS0_4arch9wavefront6targetE0EEEvT1_,@function
_ZN7rocprim17ROCPRIM_400000_NS6detail17trampoline_kernelINS0_14default_configENS1_25partition_config_selectorILNS1_17partition_subalgoE6EtNS0_10empty_typeEbEEZZNS1_14partition_implILS5_6ELb0ES3_mN6thrust23THRUST_200600_302600_NS6detail15normal_iteratorINSA_10device_ptrItEEEEPS6_SG_NS0_5tupleIJNSA_16discard_iteratorINSA_11use_defaultEEES6_EEENSH_IJSG_SG_EEES6_PlJNSB_9not_fun_tINSB_14equal_to_valueItEEEEEEE10hipError_tPvRmT3_T4_T5_T6_T7_T9_mT8_P12ihipStream_tbDpT10_ENKUlT_T0_E_clISt17integral_constantIbLb1EES1B_EEDaS16_S17_EUlS16_E_NS1_11comp_targetILNS1_3genE2ELNS1_11target_archE906ELNS1_3gpuE6ELNS1_3repE0EEENS1_30default_config_static_selectorELNS0_4arch9wavefront6targetE0EEEvT1_: ; @_ZN7rocprim17ROCPRIM_400000_NS6detail17trampoline_kernelINS0_14default_configENS1_25partition_config_selectorILNS1_17partition_subalgoE6EtNS0_10empty_typeEbEEZZNS1_14partition_implILS5_6ELb0ES3_mN6thrust23THRUST_200600_302600_NS6detail15normal_iteratorINSA_10device_ptrItEEEEPS6_SG_NS0_5tupleIJNSA_16discard_iteratorINSA_11use_defaultEEES6_EEENSH_IJSG_SG_EEES6_PlJNSB_9not_fun_tINSB_14equal_to_valueItEEEEEEE10hipError_tPvRmT3_T4_T5_T6_T7_T9_mT8_P12ihipStream_tbDpT10_ENKUlT_T0_E_clISt17integral_constantIbLb1EES1B_EEDaS16_S17_EUlS16_E_NS1_11comp_targetILNS1_3genE2ELNS1_11target_archE906ELNS1_3gpuE6ELNS1_3repE0EEENS1_30default_config_static_selectorELNS0_4arch9wavefront6targetE0EEEvT1_
; %bb.0:
	.section	.rodata,"a",@progbits
	.p2align	6, 0x0
	.amdhsa_kernel _ZN7rocprim17ROCPRIM_400000_NS6detail17trampoline_kernelINS0_14default_configENS1_25partition_config_selectorILNS1_17partition_subalgoE6EtNS0_10empty_typeEbEEZZNS1_14partition_implILS5_6ELb0ES3_mN6thrust23THRUST_200600_302600_NS6detail15normal_iteratorINSA_10device_ptrItEEEEPS6_SG_NS0_5tupleIJNSA_16discard_iteratorINSA_11use_defaultEEES6_EEENSH_IJSG_SG_EEES6_PlJNSB_9not_fun_tINSB_14equal_to_valueItEEEEEEE10hipError_tPvRmT3_T4_T5_T6_T7_T9_mT8_P12ihipStream_tbDpT10_ENKUlT_T0_E_clISt17integral_constantIbLb1EES1B_EEDaS16_S17_EUlS16_E_NS1_11comp_targetILNS1_3genE2ELNS1_11target_archE906ELNS1_3gpuE6ELNS1_3repE0EEENS1_30default_config_static_selectorELNS0_4arch9wavefront6targetE0EEEvT1_
		.amdhsa_group_segment_fixed_size 0
		.amdhsa_private_segment_fixed_size 0
		.amdhsa_kernarg_size 136
		.amdhsa_user_sgpr_count 2
		.amdhsa_user_sgpr_dispatch_ptr 0
		.amdhsa_user_sgpr_queue_ptr 0
		.amdhsa_user_sgpr_kernarg_segment_ptr 1
		.amdhsa_user_sgpr_dispatch_id 0
		.amdhsa_user_sgpr_private_segment_size 0
		.amdhsa_wavefront_size32 1
		.amdhsa_uses_dynamic_stack 0
		.amdhsa_enable_private_segment 0
		.amdhsa_system_sgpr_workgroup_id_x 1
		.amdhsa_system_sgpr_workgroup_id_y 0
		.amdhsa_system_sgpr_workgroup_id_z 0
		.amdhsa_system_sgpr_workgroup_info 0
		.amdhsa_system_vgpr_workitem_id 0
		.amdhsa_next_free_vgpr 1
		.amdhsa_next_free_sgpr 1
		.amdhsa_reserve_vcc 0
		.amdhsa_float_round_mode_32 0
		.amdhsa_float_round_mode_16_64 0
		.amdhsa_float_denorm_mode_32 3
		.amdhsa_float_denorm_mode_16_64 3
		.amdhsa_fp16_overflow 0
		.amdhsa_workgroup_processor_mode 1
		.amdhsa_memory_ordered 1
		.amdhsa_forward_progress 1
		.amdhsa_inst_pref_size 0
		.amdhsa_round_robin_scheduling 0
		.amdhsa_exception_fp_ieee_invalid_op 0
		.amdhsa_exception_fp_denorm_src 0
		.amdhsa_exception_fp_ieee_div_zero 0
		.amdhsa_exception_fp_ieee_overflow 0
		.amdhsa_exception_fp_ieee_underflow 0
		.amdhsa_exception_fp_ieee_inexact 0
		.amdhsa_exception_int_div_zero 0
	.end_amdhsa_kernel
	.section	.text._ZN7rocprim17ROCPRIM_400000_NS6detail17trampoline_kernelINS0_14default_configENS1_25partition_config_selectorILNS1_17partition_subalgoE6EtNS0_10empty_typeEbEEZZNS1_14partition_implILS5_6ELb0ES3_mN6thrust23THRUST_200600_302600_NS6detail15normal_iteratorINSA_10device_ptrItEEEEPS6_SG_NS0_5tupleIJNSA_16discard_iteratorINSA_11use_defaultEEES6_EEENSH_IJSG_SG_EEES6_PlJNSB_9not_fun_tINSB_14equal_to_valueItEEEEEEE10hipError_tPvRmT3_T4_T5_T6_T7_T9_mT8_P12ihipStream_tbDpT10_ENKUlT_T0_E_clISt17integral_constantIbLb1EES1B_EEDaS16_S17_EUlS16_E_NS1_11comp_targetILNS1_3genE2ELNS1_11target_archE906ELNS1_3gpuE6ELNS1_3repE0EEENS1_30default_config_static_selectorELNS0_4arch9wavefront6targetE0EEEvT1_,"axG",@progbits,_ZN7rocprim17ROCPRIM_400000_NS6detail17trampoline_kernelINS0_14default_configENS1_25partition_config_selectorILNS1_17partition_subalgoE6EtNS0_10empty_typeEbEEZZNS1_14partition_implILS5_6ELb0ES3_mN6thrust23THRUST_200600_302600_NS6detail15normal_iteratorINSA_10device_ptrItEEEEPS6_SG_NS0_5tupleIJNSA_16discard_iteratorINSA_11use_defaultEEES6_EEENSH_IJSG_SG_EEES6_PlJNSB_9not_fun_tINSB_14equal_to_valueItEEEEEEE10hipError_tPvRmT3_T4_T5_T6_T7_T9_mT8_P12ihipStream_tbDpT10_ENKUlT_T0_E_clISt17integral_constantIbLb1EES1B_EEDaS16_S17_EUlS16_E_NS1_11comp_targetILNS1_3genE2ELNS1_11target_archE906ELNS1_3gpuE6ELNS1_3repE0EEENS1_30default_config_static_selectorELNS0_4arch9wavefront6targetE0EEEvT1_,comdat
.Lfunc_end1705:
	.size	_ZN7rocprim17ROCPRIM_400000_NS6detail17trampoline_kernelINS0_14default_configENS1_25partition_config_selectorILNS1_17partition_subalgoE6EtNS0_10empty_typeEbEEZZNS1_14partition_implILS5_6ELb0ES3_mN6thrust23THRUST_200600_302600_NS6detail15normal_iteratorINSA_10device_ptrItEEEEPS6_SG_NS0_5tupleIJNSA_16discard_iteratorINSA_11use_defaultEEES6_EEENSH_IJSG_SG_EEES6_PlJNSB_9not_fun_tINSB_14equal_to_valueItEEEEEEE10hipError_tPvRmT3_T4_T5_T6_T7_T9_mT8_P12ihipStream_tbDpT10_ENKUlT_T0_E_clISt17integral_constantIbLb1EES1B_EEDaS16_S17_EUlS16_E_NS1_11comp_targetILNS1_3genE2ELNS1_11target_archE906ELNS1_3gpuE6ELNS1_3repE0EEENS1_30default_config_static_selectorELNS0_4arch9wavefront6targetE0EEEvT1_, .Lfunc_end1705-_ZN7rocprim17ROCPRIM_400000_NS6detail17trampoline_kernelINS0_14default_configENS1_25partition_config_selectorILNS1_17partition_subalgoE6EtNS0_10empty_typeEbEEZZNS1_14partition_implILS5_6ELb0ES3_mN6thrust23THRUST_200600_302600_NS6detail15normal_iteratorINSA_10device_ptrItEEEEPS6_SG_NS0_5tupleIJNSA_16discard_iteratorINSA_11use_defaultEEES6_EEENSH_IJSG_SG_EEES6_PlJNSB_9not_fun_tINSB_14equal_to_valueItEEEEEEE10hipError_tPvRmT3_T4_T5_T6_T7_T9_mT8_P12ihipStream_tbDpT10_ENKUlT_T0_E_clISt17integral_constantIbLb1EES1B_EEDaS16_S17_EUlS16_E_NS1_11comp_targetILNS1_3genE2ELNS1_11target_archE906ELNS1_3gpuE6ELNS1_3repE0EEENS1_30default_config_static_selectorELNS0_4arch9wavefront6targetE0EEEvT1_
                                        ; -- End function
	.set _ZN7rocprim17ROCPRIM_400000_NS6detail17trampoline_kernelINS0_14default_configENS1_25partition_config_selectorILNS1_17partition_subalgoE6EtNS0_10empty_typeEbEEZZNS1_14partition_implILS5_6ELb0ES3_mN6thrust23THRUST_200600_302600_NS6detail15normal_iteratorINSA_10device_ptrItEEEEPS6_SG_NS0_5tupleIJNSA_16discard_iteratorINSA_11use_defaultEEES6_EEENSH_IJSG_SG_EEES6_PlJNSB_9not_fun_tINSB_14equal_to_valueItEEEEEEE10hipError_tPvRmT3_T4_T5_T6_T7_T9_mT8_P12ihipStream_tbDpT10_ENKUlT_T0_E_clISt17integral_constantIbLb1EES1B_EEDaS16_S17_EUlS16_E_NS1_11comp_targetILNS1_3genE2ELNS1_11target_archE906ELNS1_3gpuE6ELNS1_3repE0EEENS1_30default_config_static_selectorELNS0_4arch9wavefront6targetE0EEEvT1_.num_vgpr, 0
	.set _ZN7rocprim17ROCPRIM_400000_NS6detail17trampoline_kernelINS0_14default_configENS1_25partition_config_selectorILNS1_17partition_subalgoE6EtNS0_10empty_typeEbEEZZNS1_14partition_implILS5_6ELb0ES3_mN6thrust23THRUST_200600_302600_NS6detail15normal_iteratorINSA_10device_ptrItEEEEPS6_SG_NS0_5tupleIJNSA_16discard_iteratorINSA_11use_defaultEEES6_EEENSH_IJSG_SG_EEES6_PlJNSB_9not_fun_tINSB_14equal_to_valueItEEEEEEE10hipError_tPvRmT3_T4_T5_T6_T7_T9_mT8_P12ihipStream_tbDpT10_ENKUlT_T0_E_clISt17integral_constantIbLb1EES1B_EEDaS16_S17_EUlS16_E_NS1_11comp_targetILNS1_3genE2ELNS1_11target_archE906ELNS1_3gpuE6ELNS1_3repE0EEENS1_30default_config_static_selectorELNS0_4arch9wavefront6targetE0EEEvT1_.num_agpr, 0
	.set _ZN7rocprim17ROCPRIM_400000_NS6detail17trampoline_kernelINS0_14default_configENS1_25partition_config_selectorILNS1_17partition_subalgoE6EtNS0_10empty_typeEbEEZZNS1_14partition_implILS5_6ELb0ES3_mN6thrust23THRUST_200600_302600_NS6detail15normal_iteratorINSA_10device_ptrItEEEEPS6_SG_NS0_5tupleIJNSA_16discard_iteratorINSA_11use_defaultEEES6_EEENSH_IJSG_SG_EEES6_PlJNSB_9not_fun_tINSB_14equal_to_valueItEEEEEEE10hipError_tPvRmT3_T4_T5_T6_T7_T9_mT8_P12ihipStream_tbDpT10_ENKUlT_T0_E_clISt17integral_constantIbLb1EES1B_EEDaS16_S17_EUlS16_E_NS1_11comp_targetILNS1_3genE2ELNS1_11target_archE906ELNS1_3gpuE6ELNS1_3repE0EEENS1_30default_config_static_selectorELNS0_4arch9wavefront6targetE0EEEvT1_.numbered_sgpr, 0
	.set _ZN7rocprim17ROCPRIM_400000_NS6detail17trampoline_kernelINS0_14default_configENS1_25partition_config_selectorILNS1_17partition_subalgoE6EtNS0_10empty_typeEbEEZZNS1_14partition_implILS5_6ELb0ES3_mN6thrust23THRUST_200600_302600_NS6detail15normal_iteratorINSA_10device_ptrItEEEEPS6_SG_NS0_5tupleIJNSA_16discard_iteratorINSA_11use_defaultEEES6_EEENSH_IJSG_SG_EEES6_PlJNSB_9not_fun_tINSB_14equal_to_valueItEEEEEEE10hipError_tPvRmT3_T4_T5_T6_T7_T9_mT8_P12ihipStream_tbDpT10_ENKUlT_T0_E_clISt17integral_constantIbLb1EES1B_EEDaS16_S17_EUlS16_E_NS1_11comp_targetILNS1_3genE2ELNS1_11target_archE906ELNS1_3gpuE6ELNS1_3repE0EEENS1_30default_config_static_selectorELNS0_4arch9wavefront6targetE0EEEvT1_.num_named_barrier, 0
	.set _ZN7rocprim17ROCPRIM_400000_NS6detail17trampoline_kernelINS0_14default_configENS1_25partition_config_selectorILNS1_17partition_subalgoE6EtNS0_10empty_typeEbEEZZNS1_14partition_implILS5_6ELb0ES3_mN6thrust23THRUST_200600_302600_NS6detail15normal_iteratorINSA_10device_ptrItEEEEPS6_SG_NS0_5tupleIJNSA_16discard_iteratorINSA_11use_defaultEEES6_EEENSH_IJSG_SG_EEES6_PlJNSB_9not_fun_tINSB_14equal_to_valueItEEEEEEE10hipError_tPvRmT3_T4_T5_T6_T7_T9_mT8_P12ihipStream_tbDpT10_ENKUlT_T0_E_clISt17integral_constantIbLb1EES1B_EEDaS16_S17_EUlS16_E_NS1_11comp_targetILNS1_3genE2ELNS1_11target_archE906ELNS1_3gpuE6ELNS1_3repE0EEENS1_30default_config_static_selectorELNS0_4arch9wavefront6targetE0EEEvT1_.private_seg_size, 0
	.set _ZN7rocprim17ROCPRIM_400000_NS6detail17trampoline_kernelINS0_14default_configENS1_25partition_config_selectorILNS1_17partition_subalgoE6EtNS0_10empty_typeEbEEZZNS1_14partition_implILS5_6ELb0ES3_mN6thrust23THRUST_200600_302600_NS6detail15normal_iteratorINSA_10device_ptrItEEEEPS6_SG_NS0_5tupleIJNSA_16discard_iteratorINSA_11use_defaultEEES6_EEENSH_IJSG_SG_EEES6_PlJNSB_9not_fun_tINSB_14equal_to_valueItEEEEEEE10hipError_tPvRmT3_T4_T5_T6_T7_T9_mT8_P12ihipStream_tbDpT10_ENKUlT_T0_E_clISt17integral_constantIbLb1EES1B_EEDaS16_S17_EUlS16_E_NS1_11comp_targetILNS1_3genE2ELNS1_11target_archE906ELNS1_3gpuE6ELNS1_3repE0EEENS1_30default_config_static_selectorELNS0_4arch9wavefront6targetE0EEEvT1_.uses_vcc, 0
	.set _ZN7rocprim17ROCPRIM_400000_NS6detail17trampoline_kernelINS0_14default_configENS1_25partition_config_selectorILNS1_17partition_subalgoE6EtNS0_10empty_typeEbEEZZNS1_14partition_implILS5_6ELb0ES3_mN6thrust23THRUST_200600_302600_NS6detail15normal_iteratorINSA_10device_ptrItEEEEPS6_SG_NS0_5tupleIJNSA_16discard_iteratorINSA_11use_defaultEEES6_EEENSH_IJSG_SG_EEES6_PlJNSB_9not_fun_tINSB_14equal_to_valueItEEEEEEE10hipError_tPvRmT3_T4_T5_T6_T7_T9_mT8_P12ihipStream_tbDpT10_ENKUlT_T0_E_clISt17integral_constantIbLb1EES1B_EEDaS16_S17_EUlS16_E_NS1_11comp_targetILNS1_3genE2ELNS1_11target_archE906ELNS1_3gpuE6ELNS1_3repE0EEENS1_30default_config_static_selectorELNS0_4arch9wavefront6targetE0EEEvT1_.uses_flat_scratch, 0
	.set _ZN7rocprim17ROCPRIM_400000_NS6detail17trampoline_kernelINS0_14default_configENS1_25partition_config_selectorILNS1_17partition_subalgoE6EtNS0_10empty_typeEbEEZZNS1_14partition_implILS5_6ELb0ES3_mN6thrust23THRUST_200600_302600_NS6detail15normal_iteratorINSA_10device_ptrItEEEEPS6_SG_NS0_5tupleIJNSA_16discard_iteratorINSA_11use_defaultEEES6_EEENSH_IJSG_SG_EEES6_PlJNSB_9not_fun_tINSB_14equal_to_valueItEEEEEEE10hipError_tPvRmT3_T4_T5_T6_T7_T9_mT8_P12ihipStream_tbDpT10_ENKUlT_T0_E_clISt17integral_constantIbLb1EES1B_EEDaS16_S17_EUlS16_E_NS1_11comp_targetILNS1_3genE2ELNS1_11target_archE906ELNS1_3gpuE6ELNS1_3repE0EEENS1_30default_config_static_selectorELNS0_4arch9wavefront6targetE0EEEvT1_.has_dyn_sized_stack, 0
	.set _ZN7rocprim17ROCPRIM_400000_NS6detail17trampoline_kernelINS0_14default_configENS1_25partition_config_selectorILNS1_17partition_subalgoE6EtNS0_10empty_typeEbEEZZNS1_14partition_implILS5_6ELb0ES3_mN6thrust23THRUST_200600_302600_NS6detail15normal_iteratorINSA_10device_ptrItEEEEPS6_SG_NS0_5tupleIJNSA_16discard_iteratorINSA_11use_defaultEEES6_EEENSH_IJSG_SG_EEES6_PlJNSB_9not_fun_tINSB_14equal_to_valueItEEEEEEE10hipError_tPvRmT3_T4_T5_T6_T7_T9_mT8_P12ihipStream_tbDpT10_ENKUlT_T0_E_clISt17integral_constantIbLb1EES1B_EEDaS16_S17_EUlS16_E_NS1_11comp_targetILNS1_3genE2ELNS1_11target_archE906ELNS1_3gpuE6ELNS1_3repE0EEENS1_30default_config_static_selectorELNS0_4arch9wavefront6targetE0EEEvT1_.has_recursion, 0
	.set _ZN7rocprim17ROCPRIM_400000_NS6detail17trampoline_kernelINS0_14default_configENS1_25partition_config_selectorILNS1_17partition_subalgoE6EtNS0_10empty_typeEbEEZZNS1_14partition_implILS5_6ELb0ES3_mN6thrust23THRUST_200600_302600_NS6detail15normal_iteratorINSA_10device_ptrItEEEEPS6_SG_NS0_5tupleIJNSA_16discard_iteratorINSA_11use_defaultEEES6_EEENSH_IJSG_SG_EEES6_PlJNSB_9not_fun_tINSB_14equal_to_valueItEEEEEEE10hipError_tPvRmT3_T4_T5_T6_T7_T9_mT8_P12ihipStream_tbDpT10_ENKUlT_T0_E_clISt17integral_constantIbLb1EES1B_EEDaS16_S17_EUlS16_E_NS1_11comp_targetILNS1_3genE2ELNS1_11target_archE906ELNS1_3gpuE6ELNS1_3repE0EEENS1_30default_config_static_selectorELNS0_4arch9wavefront6targetE0EEEvT1_.has_indirect_call, 0
	.section	.AMDGPU.csdata,"",@progbits
; Kernel info:
; codeLenInByte = 0
; TotalNumSgprs: 0
; NumVgprs: 0
; ScratchSize: 0
; MemoryBound: 0
; FloatMode: 240
; IeeeMode: 1
; LDSByteSize: 0 bytes/workgroup (compile time only)
; SGPRBlocks: 0
; VGPRBlocks: 0
; NumSGPRsForWavesPerEU: 1
; NumVGPRsForWavesPerEU: 1
; Occupancy: 16
; WaveLimiterHint : 0
; COMPUTE_PGM_RSRC2:SCRATCH_EN: 0
; COMPUTE_PGM_RSRC2:USER_SGPR: 2
; COMPUTE_PGM_RSRC2:TRAP_HANDLER: 0
; COMPUTE_PGM_RSRC2:TGID_X_EN: 1
; COMPUTE_PGM_RSRC2:TGID_Y_EN: 0
; COMPUTE_PGM_RSRC2:TGID_Z_EN: 0
; COMPUTE_PGM_RSRC2:TIDIG_COMP_CNT: 0
	.section	.text._ZN7rocprim17ROCPRIM_400000_NS6detail17trampoline_kernelINS0_14default_configENS1_25partition_config_selectorILNS1_17partition_subalgoE6EtNS0_10empty_typeEbEEZZNS1_14partition_implILS5_6ELb0ES3_mN6thrust23THRUST_200600_302600_NS6detail15normal_iteratorINSA_10device_ptrItEEEEPS6_SG_NS0_5tupleIJNSA_16discard_iteratorINSA_11use_defaultEEES6_EEENSH_IJSG_SG_EEES6_PlJNSB_9not_fun_tINSB_14equal_to_valueItEEEEEEE10hipError_tPvRmT3_T4_T5_T6_T7_T9_mT8_P12ihipStream_tbDpT10_ENKUlT_T0_E_clISt17integral_constantIbLb1EES1B_EEDaS16_S17_EUlS16_E_NS1_11comp_targetILNS1_3genE10ELNS1_11target_archE1200ELNS1_3gpuE4ELNS1_3repE0EEENS1_30default_config_static_selectorELNS0_4arch9wavefront6targetE0EEEvT1_,"axG",@progbits,_ZN7rocprim17ROCPRIM_400000_NS6detail17trampoline_kernelINS0_14default_configENS1_25partition_config_selectorILNS1_17partition_subalgoE6EtNS0_10empty_typeEbEEZZNS1_14partition_implILS5_6ELb0ES3_mN6thrust23THRUST_200600_302600_NS6detail15normal_iteratorINSA_10device_ptrItEEEEPS6_SG_NS0_5tupleIJNSA_16discard_iteratorINSA_11use_defaultEEES6_EEENSH_IJSG_SG_EEES6_PlJNSB_9not_fun_tINSB_14equal_to_valueItEEEEEEE10hipError_tPvRmT3_T4_T5_T6_T7_T9_mT8_P12ihipStream_tbDpT10_ENKUlT_T0_E_clISt17integral_constantIbLb1EES1B_EEDaS16_S17_EUlS16_E_NS1_11comp_targetILNS1_3genE10ELNS1_11target_archE1200ELNS1_3gpuE4ELNS1_3repE0EEENS1_30default_config_static_selectorELNS0_4arch9wavefront6targetE0EEEvT1_,comdat
	.protected	_ZN7rocprim17ROCPRIM_400000_NS6detail17trampoline_kernelINS0_14default_configENS1_25partition_config_selectorILNS1_17partition_subalgoE6EtNS0_10empty_typeEbEEZZNS1_14partition_implILS5_6ELb0ES3_mN6thrust23THRUST_200600_302600_NS6detail15normal_iteratorINSA_10device_ptrItEEEEPS6_SG_NS0_5tupleIJNSA_16discard_iteratorINSA_11use_defaultEEES6_EEENSH_IJSG_SG_EEES6_PlJNSB_9not_fun_tINSB_14equal_to_valueItEEEEEEE10hipError_tPvRmT3_T4_T5_T6_T7_T9_mT8_P12ihipStream_tbDpT10_ENKUlT_T0_E_clISt17integral_constantIbLb1EES1B_EEDaS16_S17_EUlS16_E_NS1_11comp_targetILNS1_3genE10ELNS1_11target_archE1200ELNS1_3gpuE4ELNS1_3repE0EEENS1_30default_config_static_selectorELNS0_4arch9wavefront6targetE0EEEvT1_ ; -- Begin function _ZN7rocprim17ROCPRIM_400000_NS6detail17trampoline_kernelINS0_14default_configENS1_25partition_config_selectorILNS1_17partition_subalgoE6EtNS0_10empty_typeEbEEZZNS1_14partition_implILS5_6ELb0ES3_mN6thrust23THRUST_200600_302600_NS6detail15normal_iteratorINSA_10device_ptrItEEEEPS6_SG_NS0_5tupleIJNSA_16discard_iteratorINSA_11use_defaultEEES6_EEENSH_IJSG_SG_EEES6_PlJNSB_9not_fun_tINSB_14equal_to_valueItEEEEEEE10hipError_tPvRmT3_T4_T5_T6_T7_T9_mT8_P12ihipStream_tbDpT10_ENKUlT_T0_E_clISt17integral_constantIbLb1EES1B_EEDaS16_S17_EUlS16_E_NS1_11comp_targetILNS1_3genE10ELNS1_11target_archE1200ELNS1_3gpuE4ELNS1_3repE0EEENS1_30default_config_static_selectorELNS0_4arch9wavefront6targetE0EEEvT1_
	.globl	_ZN7rocprim17ROCPRIM_400000_NS6detail17trampoline_kernelINS0_14default_configENS1_25partition_config_selectorILNS1_17partition_subalgoE6EtNS0_10empty_typeEbEEZZNS1_14partition_implILS5_6ELb0ES3_mN6thrust23THRUST_200600_302600_NS6detail15normal_iteratorINSA_10device_ptrItEEEEPS6_SG_NS0_5tupleIJNSA_16discard_iteratorINSA_11use_defaultEEES6_EEENSH_IJSG_SG_EEES6_PlJNSB_9not_fun_tINSB_14equal_to_valueItEEEEEEE10hipError_tPvRmT3_T4_T5_T6_T7_T9_mT8_P12ihipStream_tbDpT10_ENKUlT_T0_E_clISt17integral_constantIbLb1EES1B_EEDaS16_S17_EUlS16_E_NS1_11comp_targetILNS1_3genE10ELNS1_11target_archE1200ELNS1_3gpuE4ELNS1_3repE0EEENS1_30default_config_static_selectorELNS0_4arch9wavefront6targetE0EEEvT1_
	.p2align	8
	.type	_ZN7rocprim17ROCPRIM_400000_NS6detail17trampoline_kernelINS0_14default_configENS1_25partition_config_selectorILNS1_17partition_subalgoE6EtNS0_10empty_typeEbEEZZNS1_14partition_implILS5_6ELb0ES3_mN6thrust23THRUST_200600_302600_NS6detail15normal_iteratorINSA_10device_ptrItEEEEPS6_SG_NS0_5tupleIJNSA_16discard_iteratorINSA_11use_defaultEEES6_EEENSH_IJSG_SG_EEES6_PlJNSB_9not_fun_tINSB_14equal_to_valueItEEEEEEE10hipError_tPvRmT3_T4_T5_T6_T7_T9_mT8_P12ihipStream_tbDpT10_ENKUlT_T0_E_clISt17integral_constantIbLb1EES1B_EEDaS16_S17_EUlS16_E_NS1_11comp_targetILNS1_3genE10ELNS1_11target_archE1200ELNS1_3gpuE4ELNS1_3repE0EEENS1_30default_config_static_selectorELNS0_4arch9wavefront6targetE0EEEvT1_,@function
_ZN7rocprim17ROCPRIM_400000_NS6detail17trampoline_kernelINS0_14default_configENS1_25partition_config_selectorILNS1_17partition_subalgoE6EtNS0_10empty_typeEbEEZZNS1_14partition_implILS5_6ELb0ES3_mN6thrust23THRUST_200600_302600_NS6detail15normal_iteratorINSA_10device_ptrItEEEEPS6_SG_NS0_5tupleIJNSA_16discard_iteratorINSA_11use_defaultEEES6_EEENSH_IJSG_SG_EEES6_PlJNSB_9not_fun_tINSB_14equal_to_valueItEEEEEEE10hipError_tPvRmT3_T4_T5_T6_T7_T9_mT8_P12ihipStream_tbDpT10_ENKUlT_T0_E_clISt17integral_constantIbLb1EES1B_EEDaS16_S17_EUlS16_E_NS1_11comp_targetILNS1_3genE10ELNS1_11target_archE1200ELNS1_3gpuE4ELNS1_3repE0EEENS1_30default_config_static_selectorELNS0_4arch9wavefront6targetE0EEEvT1_: ; @_ZN7rocprim17ROCPRIM_400000_NS6detail17trampoline_kernelINS0_14default_configENS1_25partition_config_selectorILNS1_17partition_subalgoE6EtNS0_10empty_typeEbEEZZNS1_14partition_implILS5_6ELb0ES3_mN6thrust23THRUST_200600_302600_NS6detail15normal_iteratorINSA_10device_ptrItEEEEPS6_SG_NS0_5tupleIJNSA_16discard_iteratorINSA_11use_defaultEEES6_EEENSH_IJSG_SG_EEES6_PlJNSB_9not_fun_tINSB_14equal_to_valueItEEEEEEE10hipError_tPvRmT3_T4_T5_T6_T7_T9_mT8_P12ihipStream_tbDpT10_ENKUlT_T0_E_clISt17integral_constantIbLb1EES1B_EEDaS16_S17_EUlS16_E_NS1_11comp_targetILNS1_3genE10ELNS1_11target_archE1200ELNS1_3gpuE4ELNS1_3repE0EEENS1_30default_config_static_selectorELNS0_4arch9wavefront6targetE0EEEvT1_
; %bb.0:
	s_endpgm
	.section	.rodata,"a",@progbits
	.p2align	6, 0x0
	.amdhsa_kernel _ZN7rocprim17ROCPRIM_400000_NS6detail17trampoline_kernelINS0_14default_configENS1_25partition_config_selectorILNS1_17partition_subalgoE6EtNS0_10empty_typeEbEEZZNS1_14partition_implILS5_6ELb0ES3_mN6thrust23THRUST_200600_302600_NS6detail15normal_iteratorINSA_10device_ptrItEEEEPS6_SG_NS0_5tupleIJNSA_16discard_iteratorINSA_11use_defaultEEES6_EEENSH_IJSG_SG_EEES6_PlJNSB_9not_fun_tINSB_14equal_to_valueItEEEEEEE10hipError_tPvRmT3_T4_T5_T6_T7_T9_mT8_P12ihipStream_tbDpT10_ENKUlT_T0_E_clISt17integral_constantIbLb1EES1B_EEDaS16_S17_EUlS16_E_NS1_11comp_targetILNS1_3genE10ELNS1_11target_archE1200ELNS1_3gpuE4ELNS1_3repE0EEENS1_30default_config_static_selectorELNS0_4arch9wavefront6targetE0EEEvT1_
		.amdhsa_group_segment_fixed_size 0
		.amdhsa_private_segment_fixed_size 0
		.amdhsa_kernarg_size 136
		.amdhsa_user_sgpr_count 2
		.amdhsa_user_sgpr_dispatch_ptr 0
		.amdhsa_user_sgpr_queue_ptr 0
		.amdhsa_user_sgpr_kernarg_segment_ptr 1
		.amdhsa_user_sgpr_dispatch_id 0
		.amdhsa_user_sgpr_private_segment_size 0
		.amdhsa_wavefront_size32 1
		.amdhsa_uses_dynamic_stack 0
		.amdhsa_enable_private_segment 0
		.amdhsa_system_sgpr_workgroup_id_x 1
		.amdhsa_system_sgpr_workgroup_id_y 0
		.amdhsa_system_sgpr_workgroup_id_z 0
		.amdhsa_system_sgpr_workgroup_info 0
		.amdhsa_system_vgpr_workitem_id 0
		.amdhsa_next_free_vgpr 1
		.amdhsa_next_free_sgpr 1
		.amdhsa_reserve_vcc 0
		.amdhsa_float_round_mode_32 0
		.amdhsa_float_round_mode_16_64 0
		.amdhsa_float_denorm_mode_32 3
		.amdhsa_float_denorm_mode_16_64 3
		.amdhsa_fp16_overflow 0
		.amdhsa_workgroup_processor_mode 1
		.amdhsa_memory_ordered 1
		.amdhsa_forward_progress 1
		.amdhsa_inst_pref_size 1
		.amdhsa_round_robin_scheduling 0
		.amdhsa_exception_fp_ieee_invalid_op 0
		.amdhsa_exception_fp_denorm_src 0
		.amdhsa_exception_fp_ieee_div_zero 0
		.amdhsa_exception_fp_ieee_overflow 0
		.amdhsa_exception_fp_ieee_underflow 0
		.amdhsa_exception_fp_ieee_inexact 0
		.amdhsa_exception_int_div_zero 0
	.end_amdhsa_kernel
	.section	.text._ZN7rocprim17ROCPRIM_400000_NS6detail17trampoline_kernelINS0_14default_configENS1_25partition_config_selectorILNS1_17partition_subalgoE6EtNS0_10empty_typeEbEEZZNS1_14partition_implILS5_6ELb0ES3_mN6thrust23THRUST_200600_302600_NS6detail15normal_iteratorINSA_10device_ptrItEEEEPS6_SG_NS0_5tupleIJNSA_16discard_iteratorINSA_11use_defaultEEES6_EEENSH_IJSG_SG_EEES6_PlJNSB_9not_fun_tINSB_14equal_to_valueItEEEEEEE10hipError_tPvRmT3_T4_T5_T6_T7_T9_mT8_P12ihipStream_tbDpT10_ENKUlT_T0_E_clISt17integral_constantIbLb1EES1B_EEDaS16_S17_EUlS16_E_NS1_11comp_targetILNS1_3genE10ELNS1_11target_archE1200ELNS1_3gpuE4ELNS1_3repE0EEENS1_30default_config_static_selectorELNS0_4arch9wavefront6targetE0EEEvT1_,"axG",@progbits,_ZN7rocprim17ROCPRIM_400000_NS6detail17trampoline_kernelINS0_14default_configENS1_25partition_config_selectorILNS1_17partition_subalgoE6EtNS0_10empty_typeEbEEZZNS1_14partition_implILS5_6ELb0ES3_mN6thrust23THRUST_200600_302600_NS6detail15normal_iteratorINSA_10device_ptrItEEEEPS6_SG_NS0_5tupleIJNSA_16discard_iteratorINSA_11use_defaultEEES6_EEENSH_IJSG_SG_EEES6_PlJNSB_9not_fun_tINSB_14equal_to_valueItEEEEEEE10hipError_tPvRmT3_T4_T5_T6_T7_T9_mT8_P12ihipStream_tbDpT10_ENKUlT_T0_E_clISt17integral_constantIbLb1EES1B_EEDaS16_S17_EUlS16_E_NS1_11comp_targetILNS1_3genE10ELNS1_11target_archE1200ELNS1_3gpuE4ELNS1_3repE0EEENS1_30default_config_static_selectorELNS0_4arch9wavefront6targetE0EEEvT1_,comdat
.Lfunc_end1706:
	.size	_ZN7rocprim17ROCPRIM_400000_NS6detail17trampoline_kernelINS0_14default_configENS1_25partition_config_selectorILNS1_17partition_subalgoE6EtNS0_10empty_typeEbEEZZNS1_14partition_implILS5_6ELb0ES3_mN6thrust23THRUST_200600_302600_NS6detail15normal_iteratorINSA_10device_ptrItEEEEPS6_SG_NS0_5tupleIJNSA_16discard_iteratorINSA_11use_defaultEEES6_EEENSH_IJSG_SG_EEES6_PlJNSB_9not_fun_tINSB_14equal_to_valueItEEEEEEE10hipError_tPvRmT3_T4_T5_T6_T7_T9_mT8_P12ihipStream_tbDpT10_ENKUlT_T0_E_clISt17integral_constantIbLb1EES1B_EEDaS16_S17_EUlS16_E_NS1_11comp_targetILNS1_3genE10ELNS1_11target_archE1200ELNS1_3gpuE4ELNS1_3repE0EEENS1_30default_config_static_selectorELNS0_4arch9wavefront6targetE0EEEvT1_, .Lfunc_end1706-_ZN7rocprim17ROCPRIM_400000_NS6detail17trampoline_kernelINS0_14default_configENS1_25partition_config_selectorILNS1_17partition_subalgoE6EtNS0_10empty_typeEbEEZZNS1_14partition_implILS5_6ELb0ES3_mN6thrust23THRUST_200600_302600_NS6detail15normal_iteratorINSA_10device_ptrItEEEEPS6_SG_NS0_5tupleIJNSA_16discard_iteratorINSA_11use_defaultEEES6_EEENSH_IJSG_SG_EEES6_PlJNSB_9not_fun_tINSB_14equal_to_valueItEEEEEEE10hipError_tPvRmT3_T4_T5_T6_T7_T9_mT8_P12ihipStream_tbDpT10_ENKUlT_T0_E_clISt17integral_constantIbLb1EES1B_EEDaS16_S17_EUlS16_E_NS1_11comp_targetILNS1_3genE10ELNS1_11target_archE1200ELNS1_3gpuE4ELNS1_3repE0EEENS1_30default_config_static_selectorELNS0_4arch9wavefront6targetE0EEEvT1_
                                        ; -- End function
	.set _ZN7rocprim17ROCPRIM_400000_NS6detail17trampoline_kernelINS0_14default_configENS1_25partition_config_selectorILNS1_17partition_subalgoE6EtNS0_10empty_typeEbEEZZNS1_14partition_implILS5_6ELb0ES3_mN6thrust23THRUST_200600_302600_NS6detail15normal_iteratorINSA_10device_ptrItEEEEPS6_SG_NS0_5tupleIJNSA_16discard_iteratorINSA_11use_defaultEEES6_EEENSH_IJSG_SG_EEES6_PlJNSB_9not_fun_tINSB_14equal_to_valueItEEEEEEE10hipError_tPvRmT3_T4_T5_T6_T7_T9_mT8_P12ihipStream_tbDpT10_ENKUlT_T0_E_clISt17integral_constantIbLb1EES1B_EEDaS16_S17_EUlS16_E_NS1_11comp_targetILNS1_3genE10ELNS1_11target_archE1200ELNS1_3gpuE4ELNS1_3repE0EEENS1_30default_config_static_selectorELNS0_4arch9wavefront6targetE0EEEvT1_.num_vgpr, 0
	.set _ZN7rocprim17ROCPRIM_400000_NS6detail17trampoline_kernelINS0_14default_configENS1_25partition_config_selectorILNS1_17partition_subalgoE6EtNS0_10empty_typeEbEEZZNS1_14partition_implILS5_6ELb0ES3_mN6thrust23THRUST_200600_302600_NS6detail15normal_iteratorINSA_10device_ptrItEEEEPS6_SG_NS0_5tupleIJNSA_16discard_iteratorINSA_11use_defaultEEES6_EEENSH_IJSG_SG_EEES6_PlJNSB_9not_fun_tINSB_14equal_to_valueItEEEEEEE10hipError_tPvRmT3_T4_T5_T6_T7_T9_mT8_P12ihipStream_tbDpT10_ENKUlT_T0_E_clISt17integral_constantIbLb1EES1B_EEDaS16_S17_EUlS16_E_NS1_11comp_targetILNS1_3genE10ELNS1_11target_archE1200ELNS1_3gpuE4ELNS1_3repE0EEENS1_30default_config_static_selectorELNS0_4arch9wavefront6targetE0EEEvT1_.num_agpr, 0
	.set _ZN7rocprim17ROCPRIM_400000_NS6detail17trampoline_kernelINS0_14default_configENS1_25partition_config_selectorILNS1_17partition_subalgoE6EtNS0_10empty_typeEbEEZZNS1_14partition_implILS5_6ELb0ES3_mN6thrust23THRUST_200600_302600_NS6detail15normal_iteratorINSA_10device_ptrItEEEEPS6_SG_NS0_5tupleIJNSA_16discard_iteratorINSA_11use_defaultEEES6_EEENSH_IJSG_SG_EEES6_PlJNSB_9not_fun_tINSB_14equal_to_valueItEEEEEEE10hipError_tPvRmT3_T4_T5_T6_T7_T9_mT8_P12ihipStream_tbDpT10_ENKUlT_T0_E_clISt17integral_constantIbLb1EES1B_EEDaS16_S17_EUlS16_E_NS1_11comp_targetILNS1_3genE10ELNS1_11target_archE1200ELNS1_3gpuE4ELNS1_3repE0EEENS1_30default_config_static_selectorELNS0_4arch9wavefront6targetE0EEEvT1_.numbered_sgpr, 0
	.set _ZN7rocprim17ROCPRIM_400000_NS6detail17trampoline_kernelINS0_14default_configENS1_25partition_config_selectorILNS1_17partition_subalgoE6EtNS0_10empty_typeEbEEZZNS1_14partition_implILS5_6ELb0ES3_mN6thrust23THRUST_200600_302600_NS6detail15normal_iteratorINSA_10device_ptrItEEEEPS6_SG_NS0_5tupleIJNSA_16discard_iteratorINSA_11use_defaultEEES6_EEENSH_IJSG_SG_EEES6_PlJNSB_9not_fun_tINSB_14equal_to_valueItEEEEEEE10hipError_tPvRmT3_T4_T5_T6_T7_T9_mT8_P12ihipStream_tbDpT10_ENKUlT_T0_E_clISt17integral_constantIbLb1EES1B_EEDaS16_S17_EUlS16_E_NS1_11comp_targetILNS1_3genE10ELNS1_11target_archE1200ELNS1_3gpuE4ELNS1_3repE0EEENS1_30default_config_static_selectorELNS0_4arch9wavefront6targetE0EEEvT1_.num_named_barrier, 0
	.set _ZN7rocprim17ROCPRIM_400000_NS6detail17trampoline_kernelINS0_14default_configENS1_25partition_config_selectorILNS1_17partition_subalgoE6EtNS0_10empty_typeEbEEZZNS1_14partition_implILS5_6ELb0ES3_mN6thrust23THRUST_200600_302600_NS6detail15normal_iteratorINSA_10device_ptrItEEEEPS6_SG_NS0_5tupleIJNSA_16discard_iteratorINSA_11use_defaultEEES6_EEENSH_IJSG_SG_EEES6_PlJNSB_9not_fun_tINSB_14equal_to_valueItEEEEEEE10hipError_tPvRmT3_T4_T5_T6_T7_T9_mT8_P12ihipStream_tbDpT10_ENKUlT_T0_E_clISt17integral_constantIbLb1EES1B_EEDaS16_S17_EUlS16_E_NS1_11comp_targetILNS1_3genE10ELNS1_11target_archE1200ELNS1_3gpuE4ELNS1_3repE0EEENS1_30default_config_static_selectorELNS0_4arch9wavefront6targetE0EEEvT1_.private_seg_size, 0
	.set _ZN7rocprim17ROCPRIM_400000_NS6detail17trampoline_kernelINS0_14default_configENS1_25partition_config_selectorILNS1_17partition_subalgoE6EtNS0_10empty_typeEbEEZZNS1_14partition_implILS5_6ELb0ES3_mN6thrust23THRUST_200600_302600_NS6detail15normal_iteratorINSA_10device_ptrItEEEEPS6_SG_NS0_5tupleIJNSA_16discard_iteratorINSA_11use_defaultEEES6_EEENSH_IJSG_SG_EEES6_PlJNSB_9not_fun_tINSB_14equal_to_valueItEEEEEEE10hipError_tPvRmT3_T4_T5_T6_T7_T9_mT8_P12ihipStream_tbDpT10_ENKUlT_T0_E_clISt17integral_constantIbLb1EES1B_EEDaS16_S17_EUlS16_E_NS1_11comp_targetILNS1_3genE10ELNS1_11target_archE1200ELNS1_3gpuE4ELNS1_3repE0EEENS1_30default_config_static_selectorELNS0_4arch9wavefront6targetE0EEEvT1_.uses_vcc, 0
	.set _ZN7rocprim17ROCPRIM_400000_NS6detail17trampoline_kernelINS0_14default_configENS1_25partition_config_selectorILNS1_17partition_subalgoE6EtNS0_10empty_typeEbEEZZNS1_14partition_implILS5_6ELb0ES3_mN6thrust23THRUST_200600_302600_NS6detail15normal_iteratorINSA_10device_ptrItEEEEPS6_SG_NS0_5tupleIJNSA_16discard_iteratorINSA_11use_defaultEEES6_EEENSH_IJSG_SG_EEES6_PlJNSB_9not_fun_tINSB_14equal_to_valueItEEEEEEE10hipError_tPvRmT3_T4_T5_T6_T7_T9_mT8_P12ihipStream_tbDpT10_ENKUlT_T0_E_clISt17integral_constantIbLb1EES1B_EEDaS16_S17_EUlS16_E_NS1_11comp_targetILNS1_3genE10ELNS1_11target_archE1200ELNS1_3gpuE4ELNS1_3repE0EEENS1_30default_config_static_selectorELNS0_4arch9wavefront6targetE0EEEvT1_.uses_flat_scratch, 0
	.set _ZN7rocprim17ROCPRIM_400000_NS6detail17trampoline_kernelINS0_14default_configENS1_25partition_config_selectorILNS1_17partition_subalgoE6EtNS0_10empty_typeEbEEZZNS1_14partition_implILS5_6ELb0ES3_mN6thrust23THRUST_200600_302600_NS6detail15normal_iteratorINSA_10device_ptrItEEEEPS6_SG_NS0_5tupleIJNSA_16discard_iteratorINSA_11use_defaultEEES6_EEENSH_IJSG_SG_EEES6_PlJNSB_9not_fun_tINSB_14equal_to_valueItEEEEEEE10hipError_tPvRmT3_T4_T5_T6_T7_T9_mT8_P12ihipStream_tbDpT10_ENKUlT_T0_E_clISt17integral_constantIbLb1EES1B_EEDaS16_S17_EUlS16_E_NS1_11comp_targetILNS1_3genE10ELNS1_11target_archE1200ELNS1_3gpuE4ELNS1_3repE0EEENS1_30default_config_static_selectorELNS0_4arch9wavefront6targetE0EEEvT1_.has_dyn_sized_stack, 0
	.set _ZN7rocprim17ROCPRIM_400000_NS6detail17trampoline_kernelINS0_14default_configENS1_25partition_config_selectorILNS1_17partition_subalgoE6EtNS0_10empty_typeEbEEZZNS1_14partition_implILS5_6ELb0ES3_mN6thrust23THRUST_200600_302600_NS6detail15normal_iteratorINSA_10device_ptrItEEEEPS6_SG_NS0_5tupleIJNSA_16discard_iteratorINSA_11use_defaultEEES6_EEENSH_IJSG_SG_EEES6_PlJNSB_9not_fun_tINSB_14equal_to_valueItEEEEEEE10hipError_tPvRmT3_T4_T5_T6_T7_T9_mT8_P12ihipStream_tbDpT10_ENKUlT_T0_E_clISt17integral_constantIbLb1EES1B_EEDaS16_S17_EUlS16_E_NS1_11comp_targetILNS1_3genE10ELNS1_11target_archE1200ELNS1_3gpuE4ELNS1_3repE0EEENS1_30default_config_static_selectorELNS0_4arch9wavefront6targetE0EEEvT1_.has_recursion, 0
	.set _ZN7rocprim17ROCPRIM_400000_NS6detail17trampoline_kernelINS0_14default_configENS1_25partition_config_selectorILNS1_17partition_subalgoE6EtNS0_10empty_typeEbEEZZNS1_14partition_implILS5_6ELb0ES3_mN6thrust23THRUST_200600_302600_NS6detail15normal_iteratorINSA_10device_ptrItEEEEPS6_SG_NS0_5tupleIJNSA_16discard_iteratorINSA_11use_defaultEEES6_EEENSH_IJSG_SG_EEES6_PlJNSB_9not_fun_tINSB_14equal_to_valueItEEEEEEE10hipError_tPvRmT3_T4_T5_T6_T7_T9_mT8_P12ihipStream_tbDpT10_ENKUlT_T0_E_clISt17integral_constantIbLb1EES1B_EEDaS16_S17_EUlS16_E_NS1_11comp_targetILNS1_3genE10ELNS1_11target_archE1200ELNS1_3gpuE4ELNS1_3repE0EEENS1_30default_config_static_selectorELNS0_4arch9wavefront6targetE0EEEvT1_.has_indirect_call, 0
	.section	.AMDGPU.csdata,"",@progbits
; Kernel info:
; codeLenInByte = 4
; TotalNumSgprs: 0
; NumVgprs: 0
; ScratchSize: 0
; MemoryBound: 0
; FloatMode: 240
; IeeeMode: 1
; LDSByteSize: 0 bytes/workgroup (compile time only)
; SGPRBlocks: 0
; VGPRBlocks: 0
; NumSGPRsForWavesPerEU: 1
; NumVGPRsForWavesPerEU: 1
; Occupancy: 16
; WaveLimiterHint : 0
; COMPUTE_PGM_RSRC2:SCRATCH_EN: 0
; COMPUTE_PGM_RSRC2:USER_SGPR: 2
; COMPUTE_PGM_RSRC2:TRAP_HANDLER: 0
; COMPUTE_PGM_RSRC2:TGID_X_EN: 1
; COMPUTE_PGM_RSRC2:TGID_Y_EN: 0
; COMPUTE_PGM_RSRC2:TGID_Z_EN: 0
; COMPUTE_PGM_RSRC2:TIDIG_COMP_CNT: 0
	.section	.text._ZN7rocprim17ROCPRIM_400000_NS6detail17trampoline_kernelINS0_14default_configENS1_25partition_config_selectorILNS1_17partition_subalgoE6EtNS0_10empty_typeEbEEZZNS1_14partition_implILS5_6ELb0ES3_mN6thrust23THRUST_200600_302600_NS6detail15normal_iteratorINSA_10device_ptrItEEEEPS6_SG_NS0_5tupleIJNSA_16discard_iteratorINSA_11use_defaultEEES6_EEENSH_IJSG_SG_EEES6_PlJNSB_9not_fun_tINSB_14equal_to_valueItEEEEEEE10hipError_tPvRmT3_T4_T5_T6_T7_T9_mT8_P12ihipStream_tbDpT10_ENKUlT_T0_E_clISt17integral_constantIbLb1EES1B_EEDaS16_S17_EUlS16_E_NS1_11comp_targetILNS1_3genE9ELNS1_11target_archE1100ELNS1_3gpuE3ELNS1_3repE0EEENS1_30default_config_static_selectorELNS0_4arch9wavefront6targetE0EEEvT1_,"axG",@progbits,_ZN7rocprim17ROCPRIM_400000_NS6detail17trampoline_kernelINS0_14default_configENS1_25partition_config_selectorILNS1_17partition_subalgoE6EtNS0_10empty_typeEbEEZZNS1_14partition_implILS5_6ELb0ES3_mN6thrust23THRUST_200600_302600_NS6detail15normal_iteratorINSA_10device_ptrItEEEEPS6_SG_NS0_5tupleIJNSA_16discard_iteratorINSA_11use_defaultEEES6_EEENSH_IJSG_SG_EEES6_PlJNSB_9not_fun_tINSB_14equal_to_valueItEEEEEEE10hipError_tPvRmT3_T4_T5_T6_T7_T9_mT8_P12ihipStream_tbDpT10_ENKUlT_T0_E_clISt17integral_constantIbLb1EES1B_EEDaS16_S17_EUlS16_E_NS1_11comp_targetILNS1_3genE9ELNS1_11target_archE1100ELNS1_3gpuE3ELNS1_3repE0EEENS1_30default_config_static_selectorELNS0_4arch9wavefront6targetE0EEEvT1_,comdat
	.protected	_ZN7rocprim17ROCPRIM_400000_NS6detail17trampoline_kernelINS0_14default_configENS1_25partition_config_selectorILNS1_17partition_subalgoE6EtNS0_10empty_typeEbEEZZNS1_14partition_implILS5_6ELb0ES3_mN6thrust23THRUST_200600_302600_NS6detail15normal_iteratorINSA_10device_ptrItEEEEPS6_SG_NS0_5tupleIJNSA_16discard_iteratorINSA_11use_defaultEEES6_EEENSH_IJSG_SG_EEES6_PlJNSB_9not_fun_tINSB_14equal_to_valueItEEEEEEE10hipError_tPvRmT3_T4_T5_T6_T7_T9_mT8_P12ihipStream_tbDpT10_ENKUlT_T0_E_clISt17integral_constantIbLb1EES1B_EEDaS16_S17_EUlS16_E_NS1_11comp_targetILNS1_3genE9ELNS1_11target_archE1100ELNS1_3gpuE3ELNS1_3repE0EEENS1_30default_config_static_selectorELNS0_4arch9wavefront6targetE0EEEvT1_ ; -- Begin function _ZN7rocprim17ROCPRIM_400000_NS6detail17trampoline_kernelINS0_14default_configENS1_25partition_config_selectorILNS1_17partition_subalgoE6EtNS0_10empty_typeEbEEZZNS1_14partition_implILS5_6ELb0ES3_mN6thrust23THRUST_200600_302600_NS6detail15normal_iteratorINSA_10device_ptrItEEEEPS6_SG_NS0_5tupleIJNSA_16discard_iteratorINSA_11use_defaultEEES6_EEENSH_IJSG_SG_EEES6_PlJNSB_9not_fun_tINSB_14equal_to_valueItEEEEEEE10hipError_tPvRmT3_T4_T5_T6_T7_T9_mT8_P12ihipStream_tbDpT10_ENKUlT_T0_E_clISt17integral_constantIbLb1EES1B_EEDaS16_S17_EUlS16_E_NS1_11comp_targetILNS1_3genE9ELNS1_11target_archE1100ELNS1_3gpuE3ELNS1_3repE0EEENS1_30default_config_static_selectorELNS0_4arch9wavefront6targetE0EEEvT1_
	.globl	_ZN7rocprim17ROCPRIM_400000_NS6detail17trampoline_kernelINS0_14default_configENS1_25partition_config_selectorILNS1_17partition_subalgoE6EtNS0_10empty_typeEbEEZZNS1_14partition_implILS5_6ELb0ES3_mN6thrust23THRUST_200600_302600_NS6detail15normal_iteratorINSA_10device_ptrItEEEEPS6_SG_NS0_5tupleIJNSA_16discard_iteratorINSA_11use_defaultEEES6_EEENSH_IJSG_SG_EEES6_PlJNSB_9not_fun_tINSB_14equal_to_valueItEEEEEEE10hipError_tPvRmT3_T4_T5_T6_T7_T9_mT8_P12ihipStream_tbDpT10_ENKUlT_T0_E_clISt17integral_constantIbLb1EES1B_EEDaS16_S17_EUlS16_E_NS1_11comp_targetILNS1_3genE9ELNS1_11target_archE1100ELNS1_3gpuE3ELNS1_3repE0EEENS1_30default_config_static_selectorELNS0_4arch9wavefront6targetE0EEEvT1_
	.p2align	8
	.type	_ZN7rocprim17ROCPRIM_400000_NS6detail17trampoline_kernelINS0_14default_configENS1_25partition_config_selectorILNS1_17partition_subalgoE6EtNS0_10empty_typeEbEEZZNS1_14partition_implILS5_6ELb0ES3_mN6thrust23THRUST_200600_302600_NS6detail15normal_iteratorINSA_10device_ptrItEEEEPS6_SG_NS0_5tupleIJNSA_16discard_iteratorINSA_11use_defaultEEES6_EEENSH_IJSG_SG_EEES6_PlJNSB_9not_fun_tINSB_14equal_to_valueItEEEEEEE10hipError_tPvRmT3_T4_T5_T6_T7_T9_mT8_P12ihipStream_tbDpT10_ENKUlT_T0_E_clISt17integral_constantIbLb1EES1B_EEDaS16_S17_EUlS16_E_NS1_11comp_targetILNS1_3genE9ELNS1_11target_archE1100ELNS1_3gpuE3ELNS1_3repE0EEENS1_30default_config_static_selectorELNS0_4arch9wavefront6targetE0EEEvT1_,@function
_ZN7rocprim17ROCPRIM_400000_NS6detail17trampoline_kernelINS0_14default_configENS1_25partition_config_selectorILNS1_17partition_subalgoE6EtNS0_10empty_typeEbEEZZNS1_14partition_implILS5_6ELb0ES3_mN6thrust23THRUST_200600_302600_NS6detail15normal_iteratorINSA_10device_ptrItEEEEPS6_SG_NS0_5tupleIJNSA_16discard_iteratorINSA_11use_defaultEEES6_EEENSH_IJSG_SG_EEES6_PlJNSB_9not_fun_tINSB_14equal_to_valueItEEEEEEE10hipError_tPvRmT3_T4_T5_T6_T7_T9_mT8_P12ihipStream_tbDpT10_ENKUlT_T0_E_clISt17integral_constantIbLb1EES1B_EEDaS16_S17_EUlS16_E_NS1_11comp_targetILNS1_3genE9ELNS1_11target_archE1100ELNS1_3gpuE3ELNS1_3repE0EEENS1_30default_config_static_selectorELNS0_4arch9wavefront6targetE0EEEvT1_: ; @_ZN7rocprim17ROCPRIM_400000_NS6detail17trampoline_kernelINS0_14default_configENS1_25partition_config_selectorILNS1_17partition_subalgoE6EtNS0_10empty_typeEbEEZZNS1_14partition_implILS5_6ELb0ES3_mN6thrust23THRUST_200600_302600_NS6detail15normal_iteratorINSA_10device_ptrItEEEEPS6_SG_NS0_5tupleIJNSA_16discard_iteratorINSA_11use_defaultEEES6_EEENSH_IJSG_SG_EEES6_PlJNSB_9not_fun_tINSB_14equal_to_valueItEEEEEEE10hipError_tPvRmT3_T4_T5_T6_T7_T9_mT8_P12ihipStream_tbDpT10_ENKUlT_T0_E_clISt17integral_constantIbLb1EES1B_EEDaS16_S17_EUlS16_E_NS1_11comp_targetILNS1_3genE9ELNS1_11target_archE1100ELNS1_3gpuE3ELNS1_3repE0EEENS1_30default_config_static_selectorELNS0_4arch9wavefront6targetE0EEEvT1_
; %bb.0:
	.section	.rodata,"a",@progbits
	.p2align	6, 0x0
	.amdhsa_kernel _ZN7rocprim17ROCPRIM_400000_NS6detail17trampoline_kernelINS0_14default_configENS1_25partition_config_selectorILNS1_17partition_subalgoE6EtNS0_10empty_typeEbEEZZNS1_14partition_implILS5_6ELb0ES3_mN6thrust23THRUST_200600_302600_NS6detail15normal_iteratorINSA_10device_ptrItEEEEPS6_SG_NS0_5tupleIJNSA_16discard_iteratorINSA_11use_defaultEEES6_EEENSH_IJSG_SG_EEES6_PlJNSB_9not_fun_tINSB_14equal_to_valueItEEEEEEE10hipError_tPvRmT3_T4_T5_T6_T7_T9_mT8_P12ihipStream_tbDpT10_ENKUlT_T0_E_clISt17integral_constantIbLb1EES1B_EEDaS16_S17_EUlS16_E_NS1_11comp_targetILNS1_3genE9ELNS1_11target_archE1100ELNS1_3gpuE3ELNS1_3repE0EEENS1_30default_config_static_selectorELNS0_4arch9wavefront6targetE0EEEvT1_
		.amdhsa_group_segment_fixed_size 0
		.amdhsa_private_segment_fixed_size 0
		.amdhsa_kernarg_size 136
		.amdhsa_user_sgpr_count 2
		.amdhsa_user_sgpr_dispatch_ptr 0
		.amdhsa_user_sgpr_queue_ptr 0
		.amdhsa_user_sgpr_kernarg_segment_ptr 1
		.amdhsa_user_sgpr_dispatch_id 0
		.amdhsa_user_sgpr_private_segment_size 0
		.amdhsa_wavefront_size32 1
		.amdhsa_uses_dynamic_stack 0
		.amdhsa_enable_private_segment 0
		.amdhsa_system_sgpr_workgroup_id_x 1
		.amdhsa_system_sgpr_workgroup_id_y 0
		.amdhsa_system_sgpr_workgroup_id_z 0
		.amdhsa_system_sgpr_workgroup_info 0
		.amdhsa_system_vgpr_workitem_id 0
		.amdhsa_next_free_vgpr 1
		.amdhsa_next_free_sgpr 1
		.amdhsa_reserve_vcc 0
		.amdhsa_float_round_mode_32 0
		.amdhsa_float_round_mode_16_64 0
		.amdhsa_float_denorm_mode_32 3
		.amdhsa_float_denorm_mode_16_64 3
		.amdhsa_fp16_overflow 0
		.amdhsa_workgroup_processor_mode 1
		.amdhsa_memory_ordered 1
		.amdhsa_forward_progress 1
		.amdhsa_inst_pref_size 0
		.amdhsa_round_robin_scheduling 0
		.amdhsa_exception_fp_ieee_invalid_op 0
		.amdhsa_exception_fp_denorm_src 0
		.amdhsa_exception_fp_ieee_div_zero 0
		.amdhsa_exception_fp_ieee_overflow 0
		.amdhsa_exception_fp_ieee_underflow 0
		.amdhsa_exception_fp_ieee_inexact 0
		.amdhsa_exception_int_div_zero 0
	.end_amdhsa_kernel
	.section	.text._ZN7rocprim17ROCPRIM_400000_NS6detail17trampoline_kernelINS0_14default_configENS1_25partition_config_selectorILNS1_17partition_subalgoE6EtNS0_10empty_typeEbEEZZNS1_14partition_implILS5_6ELb0ES3_mN6thrust23THRUST_200600_302600_NS6detail15normal_iteratorINSA_10device_ptrItEEEEPS6_SG_NS0_5tupleIJNSA_16discard_iteratorINSA_11use_defaultEEES6_EEENSH_IJSG_SG_EEES6_PlJNSB_9not_fun_tINSB_14equal_to_valueItEEEEEEE10hipError_tPvRmT3_T4_T5_T6_T7_T9_mT8_P12ihipStream_tbDpT10_ENKUlT_T0_E_clISt17integral_constantIbLb1EES1B_EEDaS16_S17_EUlS16_E_NS1_11comp_targetILNS1_3genE9ELNS1_11target_archE1100ELNS1_3gpuE3ELNS1_3repE0EEENS1_30default_config_static_selectorELNS0_4arch9wavefront6targetE0EEEvT1_,"axG",@progbits,_ZN7rocprim17ROCPRIM_400000_NS6detail17trampoline_kernelINS0_14default_configENS1_25partition_config_selectorILNS1_17partition_subalgoE6EtNS0_10empty_typeEbEEZZNS1_14partition_implILS5_6ELb0ES3_mN6thrust23THRUST_200600_302600_NS6detail15normal_iteratorINSA_10device_ptrItEEEEPS6_SG_NS0_5tupleIJNSA_16discard_iteratorINSA_11use_defaultEEES6_EEENSH_IJSG_SG_EEES6_PlJNSB_9not_fun_tINSB_14equal_to_valueItEEEEEEE10hipError_tPvRmT3_T4_T5_T6_T7_T9_mT8_P12ihipStream_tbDpT10_ENKUlT_T0_E_clISt17integral_constantIbLb1EES1B_EEDaS16_S17_EUlS16_E_NS1_11comp_targetILNS1_3genE9ELNS1_11target_archE1100ELNS1_3gpuE3ELNS1_3repE0EEENS1_30default_config_static_selectorELNS0_4arch9wavefront6targetE0EEEvT1_,comdat
.Lfunc_end1707:
	.size	_ZN7rocprim17ROCPRIM_400000_NS6detail17trampoline_kernelINS0_14default_configENS1_25partition_config_selectorILNS1_17partition_subalgoE6EtNS0_10empty_typeEbEEZZNS1_14partition_implILS5_6ELb0ES3_mN6thrust23THRUST_200600_302600_NS6detail15normal_iteratorINSA_10device_ptrItEEEEPS6_SG_NS0_5tupleIJNSA_16discard_iteratorINSA_11use_defaultEEES6_EEENSH_IJSG_SG_EEES6_PlJNSB_9not_fun_tINSB_14equal_to_valueItEEEEEEE10hipError_tPvRmT3_T4_T5_T6_T7_T9_mT8_P12ihipStream_tbDpT10_ENKUlT_T0_E_clISt17integral_constantIbLb1EES1B_EEDaS16_S17_EUlS16_E_NS1_11comp_targetILNS1_3genE9ELNS1_11target_archE1100ELNS1_3gpuE3ELNS1_3repE0EEENS1_30default_config_static_selectorELNS0_4arch9wavefront6targetE0EEEvT1_, .Lfunc_end1707-_ZN7rocprim17ROCPRIM_400000_NS6detail17trampoline_kernelINS0_14default_configENS1_25partition_config_selectorILNS1_17partition_subalgoE6EtNS0_10empty_typeEbEEZZNS1_14partition_implILS5_6ELb0ES3_mN6thrust23THRUST_200600_302600_NS6detail15normal_iteratorINSA_10device_ptrItEEEEPS6_SG_NS0_5tupleIJNSA_16discard_iteratorINSA_11use_defaultEEES6_EEENSH_IJSG_SG_EEES6_PlJNSB_9not_fun_tINSB_14equal_to_valueItEEEEEEE10hipError_tPvRmT3_T4_T5_T6_T7_T9_mT8_P12ihipStream_tbDpT10_ENKUlT_T0_E_clISt17integral_constantIbLb1EES1B_EEDaS16_S17_EUlS16_E_NS1_11comp_targetILNS1_3genE9ELNS1_11target_archE1100ELNS1_3gpuE3ELNS1_3repE0EEENS1_30default_config_static_selectorELNS0_4arch9wavefront6targetE0EEEvT1_
                                        ; -- End function
	.set _ZN7rocprim17ROCPRIM_400000_NS6detail17trampoline_kernelINS0_14default_configENS1_25partition_config_selectorILNS1_17partition_subalgoE6EtNS0_10empty_typeEbEEZZNS1_14partition_implILS5_6ELb0ES3_mN6thrust23THRUST_200600_302600_NS6detail15normal_iteratorINSA_10device_ptrItEEEEPS6_SG_NS0_5tupleIJNSA_16discard_iteratorINSA_11use_defaultEEES6_EEENSH_IJSG_SG_EEES6_PlJNSB_9not_fun_tINSB_14equal_to_valueItEEEEEEE10hipError_tPvRmT3_T4_T5_T6_T7_T9_mT8_P12ihipStream_tbDpT10_ENKUlT_T0_E_clISt17integral_constantIbLb1EES1B_EEDaS16_S17_EUlS16_E_NS1_11comp_targetILNS1_3genE9ELNS1_11target_archE1100ELNS1_3gpuE3ELNS1_3repE0EEENS1_30default_config_static_selectorELNS0_4arch9wavefront6targetE0EEEvT1_.num_vgpr, 0
	.set _ZN7rocprim17ROCPRIM_400000_NS6detail17trampoline_kernelINS0_14default_configENS1_25partition_config_selectorILNS1_17partition_subalgoE6EtNS0_10empty_typeEbEEZZNS1_14partition_implILS5_6ELb0ES3_mN6thrust23THRUST_200600_302600_NS6detail15normal_iteratorINSA_10device_ptrItEEEEPS6_SG_NS0_5tupleIJNSA_16discard_iteratorINSA_11use_defaultEEES6_EEENSH_IJSG_SG_EEES6_PlJNSB_9not_fun_tINSB_14equal_to_valueItEEEEEEE10hipError_tPvRmT3_T4_T5_T6_T7_T9_mT8_P12ihipStream_tbDpT10_ENKUlT_T0_E_clISt17integral_constantIbLb1EES1B_EEDaS16_S17_EUlS16_E_NS1_11comp_targetILNS1_3genE9ELNS1_11target_archE1100ELNS1_3gpuE3ELNS1_3repE0EEENS1_30default_config_static_selectorELNS0_4arch9wavefront6targetE0EEEvT1_.num_agpr, 0
	.set _ZN7rocprim17ROCPRIM_400000_NS6detail17trampoline_kernelINS0_14default_configENS1_25partition_config_selectorILNS1_17partition_subalgoE6EtNS0_10empty_typeEbEEZZNS1_14partition_implILS5_6ELb0ES3_mN6thrust23THRUST_200600_302600_NS6detail15normal_iteratorINSA_10device_ptrItEEEEPS6_SG_NS0_5tupleIJNSA_16discard_iteratorINSA_11use_defaultEEES6_EEENSH_IJSG_SG_EEES6_PlJNSB_9not_fun_tINSB_14equal_to_valueItEEEEEEE10hipError_tPvRmT3_T4_T5_T6_T7_T9_mT8_P12ihipStream_tbDpT10_ENKUlT_T0_E_clISt17integral_constantIbLb1EES1B_EEDaS16_S17_EUlS16_E_NS1_11comp_targetILNS1_3genE9ELNS1_11target_archE1100ELNS1_3gpuE3ELNS1_3repE0EEENS1_30default_config_static_selectorELNS0_4arch9wavefront6targetE0EEEvT1_.numbered_sgpr, 0
	.set _ZN7rocprim17ROCPRIM_400000_NS6detail17trampoline_kernelINS0_14default_configENS1_25partition_config_selectorILNS1_17partition_subalgoE6EtNS0_10empty_typeEbEEZZNS1_14partition_implILS5_6ELb0ES3_mN6thrust23THRUST_200600_302600_NS6detail15normal_iteratorINSA_10device_ptrItEEEEPS6_SG_NS0_5tupleIJNSA_16discard_iteratorINSA_11use_defaultEEES6_EEENSH_IJSG_SG_EEES6_PlJNSB_9not_fun_tINSB_14equal_to_valueItEEEEEEE10hipError_tPvRmT3_T4_T5_T6_T7_T9_mT8_P12ihipStream_tbDpT10_ENKUlT_T0_E_clISt17integral_constantIbLb1EES1B_EEDaS16_S17_EUlS16_E_NS1_11comp_targetILNS1_3genE9ELNS1_11target_archE1100ELNS1_3gpuE3ELNS1_3repE0EEENS1_30default_config_static_selectorELNS0_4arch9wavefront6targetE0EEEvT1_.num_named_barrier, 0
	.set _ZN7rocprim17ROCPRIM_400000_NS6detail17trampoline_kernelINS0_14default_configENS1_25partition_config_selectorILNS1_17partition_subalgoE6EtNS0_10empty_typeEbEEZZNS1_14partition_implILS5_6ELb0ES3_mN6thrust23THRUST_200600_302600_NS6detail15normal_iteratorINSA_10device_ptrItEEEEPS6_SG_NS0_5tupleIJNSA_16discard_iteratorINSA_11use_defaultEEES6_EEENSH_IJSG_SG_EEES6_PlJNSB_9not_fun_tINSB_14equal_to_valueItEEEEEEE10hipError_tPvRmT3_T4_T5_T6_T7_T9_mT8_P12ihipStream_tbDpT10_ENKUlT_T0_E_clISt17integral_constantIbLb1EES1B_EEDaS16_S17_EUlS16_E_NS1_11comp_targetILNS1_3genE9ELNS1_11target_archE1100ELNS1_3gpuE3ELNS1_3repE0EEENS1_30default_config_static_selectorELNS0_4arch9wavefront6targetE0EEEvT1_.private_seg_size, 0
	.set _ZN7rocprim17ROCPRIM_400000_NS6detail17trampoline_kernelINS0_14default_configENS1_25partition_config_selectorILNS1_17partition_subalgoE6EtNS0_10empty_typeEbEEZZNS1_14partition_implILS5_6ELb0ES3_mN6thrust23THRUST_200600_302600_NS6detail15normal_iteratorINSA_10device_ptrItEEEEPS6_SG_NS0_5tupleIJNSA_16discard_iteratorINSA_11use_defaultEEES6_EEENSH_IJSG_SG_EEES6_PlJNSB_9not_fun_tINSB_14equal_to_valueItEEEEEEE10hipError_tPvRmT3_T4_T5_T6_T7_T9_mT8_P12ihipStream_tbDpT10_ENKUlT_T0_E_clISt17integral_constantIbLb1EES1B_EEDaS16_S17_EUlS16_E_NS1_11comp_targetILNS1_3genE9ELNS1_11target_archE1100ELNS1_3gpuE3ELNS1_3repE0EEENS1_30default_config_static_selectorELNS0_4arch9wavefront6targetE0EEEvT1_.uses_vcc, 0
	.set _ZN7rocprim17ROCPRIM_400000_NS6detail17trampoline_kernelINS0_14default_configENS1_25partition_config_selectorILNS1_17partition_subalgoE6EtNS0_10empty_typeEbEEZZNS1_14partition_implILS5_6ELb0ES3_mN6thrust23THRUST_200600_302600_NS6detail15normal_iteratorINSA_10device_ptrItEEEEPS6_SG_NS0_5tupleIJNSA_16discard_iteratorINSA_11use_defaultEEES6_EEENSH_IJSG_SG_EEES6_PlJNSB_9not_fun_tINSB_14equal_to_valueItEEEEEEE10hipError_tPvRmT3_T4_T5_T6_T7_T9_mT8_P12ihipStream_tbDpT10_ENKUlT_T0_E_clISt17integral_constantIbLb1EES1B_EEDaS16_S17_EUlS16_E_NS1_11comp_targetILNS1_3genE9ELNS1_11target_archE1100ELNS1_3gpuE3ELNS1_3repE0EEENS1_30default_config_static_selectorELNS0_4arch9wavefront6targetE0EEEvT1_.uses_flat_scratch, 0
	.set _ZN7rocprim17ROCPRIM_400000_NS6detail17trampoline_kernelINS0_14default_configENS1_25partition_config_selectorILNS1_17partition_subalgoE6EtNS0_10empty_typeEbEEZZNS1_14partition_implILS5_6ELb0ES3_mN6thrust23THRUST_200600_302600_NS6detail15normal_iteratorINSA_10device_ptrItEEEEPS6_SG_NS0_5tupleIJNSA_16discard_iteratorINSA_11use_defaultEEES6_EEENSH_IJSG_SG_EEES6_PlJNSB_9not_fun_tINSB_14equal_to_valueItEEEEEEE10hipError_tPvRmT3_T4_T5_T6_T7_T9_mT8_P12ihipStream_tbDpT10_ENKUlT_T0_E_clISt17integral_constantIbLb1EES1B_EEDaS16_S17_EUlS16_E_NS1_11comp_targetILNS1_3genE9ELNS1_11target_archE1100ELNS1_3gpuE3ELNS1_3repE0EEENS1_30default_config_static_selectorELNS0_4arch9wavefront6targetE0EEEvT1_.has_dyn_sized_stack, 0
	.set _ZN7rocprim17ROCPRIM_400000_NS6detail17trampoline_kernelINS0_14default_configENS1_25partition_config_selectorILNS1_17partition_subalgoE6EtNS0_10empty_typeEbEEZZNS1_14partition_implILS5_6ELb0ES3_mN6thrust23THRUST_200600_302600_NS6detail15normal_iteratorINSA_10device_ptrItEEEEPS6_SG_NS0_5tupleIJNSA_16discard_iteratorINSA_11use_defaultEEES6_EEENSH_IJSG_SG_EEES6_PlJNSB_9not_fun_tINSB_14equal_to_valueItEEEEEEE10hipError_tPvRmT3_T4_T5_T6_T7_T9_mT8_P12ihipStream_tbDpT10_ENKUlT_T0_E_clISt17integral_constantIbLb1EES1B_EEDaS16_S17_EUlS16_E_NS1_11comp_targetILNS1_3genE9ELNS1_11target_archE1100ELNS1_3gpuE3ELNS1_3repE0EEENS1_30default_config_static_selectorELNS0_4arch9wavefront6targetE0EEEvT1_.has_recursion, 0
	.set _ZN7rocprim17ROCPRIM_400000_NS6detail17trampoline_kernelINS0_14default_configENS1_25partition_config_selectorILNS1_17partition_subalgoE6EtNS0_10empty_typeEbEEZZNS1_14partition_implILS5_6ELb0ES3_mN6thrust23THRUST_200600_302600_NS6detail15normal_iteratorINSA_10device_ptrItEEEEPS6_SG_NS0_5tupleIJNSA_16discard_iteratorINSA_11use_defaultEEES6_EEENSH_IJSG_SG_EEES6_PlJNSB_9not_fun_tINSB_14equal_to_valueItEEEEEEE10hipError_tPvRmT3_T4_T5_T6_T7_T9_mT8_P12ihipStream_tbDpT10_ENKUlT_T0_E_clISt17integral_constantIbLb1EES1B_EEDaS16_S17_EUlS16_E_NS1_11comp_targetILNS1_3genE9ELNS1_11target_archE1100ELNS1_3gpuE3ELNS1_3repE0EEENS1_30default_config_static_selectorELNS0_4arch9wavefront6targetE0EEEvT1_.has_indirect_call, 0
	.section	.AMDGPU.csdata,"",@progbits
; Kernel info:
; codeLenInByte = 0
; TotalNumSgprs: 0
; NumVgprs: 0
; ScratchSize: 0
; MemoryBound: 0
; FloatMode: 240
; IeeeMode: 1
; LDSByteSize: 0 bytes/workgroup (compile time only)
; SGPRBlocks: 0
; VGPRBlocks: 0
; NumSGPRsForWavesPerEU: 1
; NumVGPRsForWavesPerEU: 1
; Occupancy: 16
; WaveLimiterHint : 0
; COMPUTE_PGM_RSRC2:SCRATCH_EN: 0
; COMPUTE_PGM_RSRC2:USER_SGPR: 2
; COMPUTE_PGM_RSRC2:TRAP_HANDLER: 0
; COMPUTE_PGM_RSRC2:TGID_X_EN: 1
; COMPUTE_PGM_RSRC2:TGID_Y_EN: 0
; COMPUTE_PGM_RSRC2:TGID_Z_EN: 0
; COMPUTE_PGM_RSRC2:TIDIG_COMP_CNT: 0
	.section	.text._ZN7rocprim17ROCPRIM_400000_NS6detail17trampoline_kernelINS0_14default_configENS1_25partition_config_selectorILNS1_17partition_subalgoE6EtNS0_10empty_typeEbEEZZNS1_14partition_implILS5_6ELb0ES3_mN6thrust23THRUST_200600_302600_NS6detail15normal_iteratorINSA_10device_ptrItEEEEPS6_SG_NS0_5tupleIJNSA_16discard_iteratorINSA_11use_defaultEEES6_EEENSH_IJSG_SG_EEES6_PlJNSB_9not_fun_tINSB_14equal_to_valueItEEEEEEE10hipError_tPvRmT3_T4_T5_T6_T7_T9_mT8_P12ihipStream_tbDpT10_ENKUlT_T0_E_clISt17integral_constantIbLb1EES1B_EEDaS16_S17_EUlS16_E_NS1_11comp_targetILNS1_3genE8ELNS1_11target_archE1030ELNS1_3gpuE2ELNS1_3repE0EEENS1_30default_config_static_selectorELNS0_4arch9wavefront6targetE0EEEvT1_,"axG",@progbits,_ZN7rocprim17ROCPRIM_400000_NS6detail17trampoline_kernelINS0_14default_configENS1_25partition_config_selectorILNS1_17partition_subalgoE6EtNS0_10empty_typeEbEEZZNS1_14partition_implILS5_6ELb0ES3_mN6thrust23THRUST_200600_302600_NS6detail15normal_iteratorINSA_10device_ptrItEEEEPS6_SG_NS0_5tupleIJNSA_16discard_iteratorINSA_11use_defaultEEES6_EEENSH_IJSG_SG_EEES6_PlJNSB_9not_fun_tINSB_14equal_to_valueItEEEEEEE10hipError_tPvRmT3_T4_T5_T6_T7_T9_mT8_P12ihipStream_tbDpT10_ENKUlT_T0_E_clISt17integral_constantIbLb1EES1B_EEDaS16_S17_EUlS16_E_NS1_11comp_targetILNS1_3genE8ELNS1_11target_archE1030ELNS1_3gpuE2ELNS1_3repE0EEENS1_30default_config_static_selectorELNS0_4arch9wavefront6targetE0EEEvT1_,comdat
	.protected	_ZN7rocprim17ROCPRIM_400000_NS6detail17trampoline_kernelINS0_14default_configENS1_25partition_config_selectorILNS1_17partition_subalgoE6EtNS0_10empty_typeEbEEZZNS1_14partition_implILS5_6ELb0ES3_mN6thrust23THRUST_200600_302600_NS6detail15normal_iteratorINSA_10device_ptrItEEEEPS6_SG_NS0_5tupleIJNSA_16discard_iteratorINSA_11use_defaultEEES6_EEENSH_IJSG_SG_EEES6_PlJNSB_9not_fun_tINSB_14equal_to_valueItEEEEEEE10hipError_tPvRmT3_T4_T5_T6_T7_T9_mT8_P12ihipStream_tbDpT10_ENKUlT_T0_E_clISt17integral_constantIbLb1EES1B_EEDaS16_S17_EUlS16_E_NS1_11comp_targetILNS1_3genE8ELNS1_11target_archE1030ELNS1_3gpuE2ELNS1_3repE0EEENS1_30default_config_static_selectorELNS0_4arch9wavefront6targetE0EEEvT1_ ; -- Begin function _ZN7rocprim17ROCPRIM_400000_NS6detail17trampoline_kernelINS0_14default_configENS1_25partition_config_selectorILNS1_17partition_subalgoE6EtNS0_10empty_typeEbEEZZNS1_14partition_implILS5_6ELb0ES3_mN6thrust23THRUST_200600_302600_NS6detail15normal_iteratorINSA_10device_ptrItEEEEPS6_SG_NS0_5tupleIJNSA_16discard_iteratorINSA_11use_defaultEEES6_EEENSH_IJSG_SG_EEES6_PlJNSB_9not_fun_tINSB_14equal_to_valueItEEEEEEE10hipError_tPvRmT3_T4_T5_T6_T7_T9_mT8_P12ihipStream_tbDpT10_ENKUlT_T0_E_clISt17integral_constantIbLb1EES1B_EEDaS16_S17_EUlS16_E_NS1_11comp_targetILNS1_3genE8ELNS1_11target_archE1030ELNS1_3gpuE2ELNS1_3repE0EEENS1_30default_config_static_selectorELNS0_4arch9wavefront6targetE0EEEvT1_
	.globl	_ZN7rocprim17ROCPRIM_400000_NS6detail17trampoline_kernelINS0_14default_configENS1_25partition_config_selectorILNS1_17partition_subalgoE6EtNS0_10empty_typeEbEEZZNS1_14partition_implILS5_6ELb0ES3_mN6thrust23THRUST_200600_302600_NS6detail15normal_iteratorINSA_10device_ptrItEEEEPS6_SG_NS0_5tupleIJNSA_16discard_iteratorINSA_11use_defaultEEES6_EEENSH_IJSG_SG_EEES6_PlJNSB_9not_fun_tINSB_14equal_to_valueItEEEEEEE10hipError_tPvRmT3_T4_T5_T6_T7_T9_mT8_P12ihipStream_tbDpT10_ENKUlT_T0_E_clISt17integral_constantIbLb1EES1B_EEDaS16_S17_EUlS16_E_NS1_11comp_targetILNS1_3genE8ELNS1_11target_archE1030ELNS1_3gpuE2ELNS1_3repE0EEENS1_30default_config_static_selectorELNS0_4arch9wavefront6targetE0EEEvT1_
	.p2align	8
	.type	_ZN7rocprim17ROCPRIM_400000_NS6detail17trampoline_kernelINS0_14default_configENS1_25partition_config_selectorILNS1_17partition_subalgoE6EtNS0_10empty_typeEbEEZZNS1_14partition_implILS5_6ELb0ES3_mN6thrust23THRUST_200600_302600_NS6detail15normal_iteratorINSA_10device_ptrItEEEEPS6_SG_NS0_5tupleIJNSA_16discard_iteratorINSA_11use_defaultEEES6_EEENSH_IJSG_SG_EEES6_PlJNSB_9not_fun_tINSB_14equal_to_valueItEEEEEEE10hipError_tPvRmT3_T4_T5_T6_T7_T9_mT8_P12ihipStream_tbDpT10_ENKUlT_T0_E_clISt17integral_constantIbLb1EES1B_EEDaS16_S17_EUlS16_E_NS1_11comp_targetILNS1_3genE8ELNS1_11target_archE1030ELNS1_3gpuE2ELNS1_3repE0EEENS1_30default_config_static_selectorELNS0_4arch9wavefront6targetE0EEEvT1_,@function
_ZN7rocprim17ROCPRIM_400000_NS6detail17trampoline_kernelINS0_14default_configENS1_25partition_config_selectorILNS1_17partition_subalgoE6EtNS0_10empty_typeEbEEZZNS1_14partition_implILS5_6ELb0ES3_mN6thrust23THRUST_200600_302600_NS6detail15normal_iteratorINSA_10device_ptrItEEEEPS6_SG_NS0_5tupleIJNSA_16discard_iteratorINSA_11use_defaultEEES6_EEENSH_IJSG_SG_EEES6_PlJNSB_9not_fun_tINSB_14equal_to_valueItEEEEEEE10hipError_tPvRmT3_T4_T5_T6_T7_T9_mT8_P12ihipStream_tbDpT10_ENKUlT_T0_E_clISt17integral_constantIbLb1EES1B_EEDaS16_S17_EUlS16_E_NS1_11comp_targetILNS1_3genE8ELNS1_11target_archE1030ELNS1_3gpuE2ELNS1_3repE0EEENS1_30default_config_static_selectorELNS0_4arch9wavefront6targetE0EEEvT1_: ; @_ZN7rocprim17ROCPRIM_400000_NS6detail17trampoline_kernelINS0_14default_configENS1_25partition_config_selectorILNS1_17partition_subalgoE6EtNS0_10empty_typeEbEEZZNS1_14partition_implILS5_6ELb0ES3_mN6thrust23THRUST_200600_302600_NS6detail15normal_iteratorINSA_10device_ptrItEEEEPS6_SG_NS0_5tupleIJNSA_16discard_iteratorINSA_11use_defaultEEES6_EEENSH_IJSG_SG_EEES6_PlJNSB_9not_fun_tINSB_14equal_to_valueItEEEEEEE10hipError_tPvRmT3_T4_T5_T6_T7_T9_mT8_P12ihipStream_tbDpT10_ENKUlT_T0_E_clISt17integral_constantIbLb1EES1B_EEDaS16_S17_EUlS16_E_NS1_11comp_targetILNS1_3genE8ELNS1_11target_archE1030ELNS1_3gpuE2ELNS1_3repE0EEENS1_30default_config_static_selectorELNS0_4arch9wavefront6targetE0EEEvT1_
; %bb.0:
	.section	.rodata,"a",@progbits
	.p2align	6, 0x0
	.amdhsa_kernel _ZN7rocprim17ROCPRIM_400000_NS6detail17trampoline_kernelINS0_14default_configENS1_25partition_config_selectorILNS1_17partition_subalgoE6EtNS0_10empty_typeEbEEZZNS1_14partition_implILS5_6ELb0ES3_mN6thrust23THRUST_200600_302600_NS6detail15normal_iteratorINSA_10device_ptrItEEEEPS6_SG_NS0_5tupleIJNSA_16discard_iteratorINSA_11use_defaultEEES6_EEENSH_IJSG_SG_EEES6_PlJNSB_9not_fun_tINSB_14equal_to_valueItEEEEEEE10hipError_tPvRmT3_T4_T5_T6_T7_T9_mT8_P12ihipStream_tbDpT10_ENKUlT_T0_E_clISt17integral_constantIbLb1EES1B_EEDaS16_S17_EUlS16_E_NS1_11comp_targetILNS1_3genE8ELNS1_11target_archE1030ELNS1_3gpuE2ELNS1_3repE0EEENS1_30default_config_static_selectorELNS0_4arch9wavefront6targetE0EEEvT1_
		.amdhsa_group_segment_fixed_size 0
		.amdhsa_private_segment_fixed_size 0
		.amdhsa_kernarg_size 136
		.amdhsa_user_sgpr_count 2
		.amdhsa_user_sgpr_dispatch_ptr 0
		.amdhsa_user_sgpr_queue_ptr 0
		.amdhsa_user_sgpr_kernarg_segment_ptr 1
		.amdhsa_user_sgpr_dispatch_id 0
		.amdhsa_user_sgpr_private_segment_size 0
		.amdhsa_wavefront_size32 1
		.amdhsa_uses_dynamic_stack 0
		.amdhsa_enable_private_segment 0
		.amdhsa_system_sgpr_workgroup_id_x 1
		.amdhsa_system_sgpr_workgroup_id_y 0
		.amdhsa_system_sgpr_workgroup_id_z 0
		.amdhsa_system_sgpr_workgroup_info 0
		.amdhsa_system_vgpr_workitem_id 0
		.amdhsa_next_free_vgpr 1
		.amdhsa_next_free_sgpr 1
		.amdhsa_reserve_vcc 0
		.amdhsa_float_round_mode_32 0
		.amdhsa_float_round_mode_16_64 0
		.amdhsa_float_denorm_mode_32 3
		.amdhsa_float_denorm_mode_16_64 3
		.amdhsa_fp16_overflow 0
		.amdhsa_workgroup_processor_mode 1
		.amdhsa_memory_ordered 1
		.amdhsa_forward_progress 1
		.amdhsa_inst_pref_size 0
		.amdhsa_round_robin_scheduling 0
		.amdhsa_exception_fp_ieee_invalid_op 0
		.amdhsa_exception_fp_denorm_src 0
		.amdhsa_exception_fp_ieee_div_zero 0
		.amdhsa_exception_fp_ieee_overflow 0
		.amdhsa_exception_fp_ieee_underflow 0
		.amdhsa_exception_fp_ieee_inexact 0
		.amdhsa_exception_int_div_zero 0
	.end_amdhsa_kernel
	.section	.text._ZN7rocprim17ROCPRIM_400000_NS6detail17trampoline_kernelINS0_14default_configENS1_25partition_config_selectorILNS1_17partition_subalgoE6EtNS0_10empty_typeEbEEZZNS1_14partition_implILS5_6ELb0ES3_mN6thrust23THRUST_200600_302600_NS6detail15normal_iteratorINSA_10device_ptrItEEEEPS6_SG_NS0_5tupleIJNSA_16discard_iteratorINSA_11use_defaultEEES6_EEENSH_IJSG_SG_EEES6_PlJNSB_9not_fun_tINSB_14equal_to_valueItEEEEEEE10hipError_tPvRmT3_T4_T5_T6_T7_T9_mT8_P12ihipStream_tbDpT10_ENKUlT_T0_E_clISt17integral_constantIbLb1EES1B_EEDaS16_S17_EUlS16_E_NS1_11comp_targetILNS1_3genE8ELNS1_11target_archE1030ELNS1_3gpuE2ELNS1_3repE0EEENS1_30default_config_static_selectorELNS0_4arch9wavefront6targetE0EEEvT1_,"axG",@progbits,_ZN7rocprim17ROCPRIM_400000_NS6detail17trampoline_kernelINS0_14default_configENS1_25partition_config_selectorILNS1_17partition_subalgoE6EtNS0_10empty_typeEbEEZZNS1_14partition_implILS5_6ELb0ES3_mN6thrust23THRUST_200600_302600_NS6detail15normal_iteratorINSA_10device_ptrItEEEEPS6_SG_NS0_5tupleIJNSA_16discard_iteratorINSA_11use_defaultEEES6_EEENSH_IJSG_SG_EEES6_PlJNSB_9not_fun_tINSB_14equal_to_valueItEEEEEEE10hipError_tPvRmT3_T4_T5_T6_T7_T9_mT8_P12ihipStream_tbDpT10_ENKUlT_T0_E_clISt17integral_constantIbLb1EES1B_EEDaS16_S17_EUlS16_E_NS1_11comp_targetILNS1_3genE8ELNS1_11target_archE1030ELNS1_3gpuE2ELNS1_3repE0EEENS1_30default_config_static_selectorELNS0_4arch9wavefront6targetE0EEEvT1_,comdat
.Lfunc_end1708:
	.size	_ZN7rocprim17ROCPRIM_400000_NS6detail17trampoline_kernelINS0_14default_configENS1_25partition_config_selectorILNS1_17partition_subalgoE6EtNS0_10empty_typeEbEEZZNS1_14partition_implILS5_6ELb0ES3_mN6thrust23THRUST_200600_302600_NS6detail15normal_iteratorINSA_10device_ptrItEEEEPS6_SG_NS0_5tupleIJNSA_16discard_iteratorINSA_11use_defaultEEES6_EEENSH_IJSG_SG_EEES6_PlJNSB_9not_fun_tINSB_14equal_to_valueItEEEEEEE10hipError_tPvRmT3_T4_T5_T6_T7_T9_mT8_P12ihipStream_tbDpT10_ENKUlT_T0_E_clISt17integral_constantIbLb1EES1B_EEDaS16_S17_EUlS16_E_NS1_11comp_targetILNS1_3genE8ELNS1_11target_archE1030ELNS1_3gpuE2ELNS1_3repE0EEENS1_30default_config_static_selectorELNS0_4arch9wavefront6targetE0EEEvT1_, .Lfunc_end1708-_ZN7rocprim17ROCPRIM_400000_NS6detail17trampoline_kernelINS0_14default_configENS1_25partition_config_selectorILNS1_17partition_subalgoE6EtNS0_10empty_typeEbEEZZNS1_14partition_implILS5_6ELb0ES3_mN6thrust23THRUST_200600_302600_NS6detail15normal_iteratorINSA_10device_ptrItEEEEPS6_SG_NS0_5tupleIJNSA_16discard_iteratorINSA_11use_defaultEEES6_EEENSH_IJSG_SG_EEES6_PlJNSB_9not_fun_tINSB_14equal_to_valueItEEEEEEE10hipError_tPvRmT3_T4_T5_T6_T7_T9_mT8_P12ihipStream_tbDpT10_ENKUlT_T0_E_clISt17integral_constantIbLb1EES1B_EEDaS16_S17_EUlS16_E_NS1_11comp_targetILNS1_3genE8ELNS1_11target_archE1030ELNS1_3gpuE2ELNS1_3repE0EEENS1_30default_config_static_selectorELNS0_4arch9wavefront6targetE0EEEvT1_
                                        ; -- End function
	.set _ZN7rocprim17ROCPRIM_400000_NS6detail17trampoline_kernelINS0_14default_configENS1_25partition_config_selectorILNS1_17partition_subalgoE6EtNS0_10empty_typeEbEEZZNS1_14partition_implILS5_6ELb0ES3_mN6thrust23THRUST_200600_302600_NS6detail15normal_iteratorINSA_10device_ptrItEEEEPS6_SG_NS0_5tupleIJNSA_16discard_iteratorINSA_11use_defaultEEES6_EEENSH_IJSG_SG_EEES6_PlJNSB_9not_fun_tINSB_14equal_to_valueItEEEEEEE10hipError_tPvRmT3_T4_T5_T6_T7_T9_mT8_P12ihipStream_tbDpT10_ENKUlT_T0_E_clISt17integral_constantIbLb1EES1B_EEDaS16_S17_EUlS16_E_NS1_11comp_targetILNS1_3genE8ELNS1_11target_archE1030ELNS1_3gpuE2ELNS1_3repE0EEENS1_30default_config_static_selectorELNS0_4arch9wavefront6targetE0EEEvT1_.num_vgpr, 0
	.set _ZN7rocprim17ROCPRIM_400000_NS6detail17trampoline_kernelINS0_14default_configENS1_25partition_config_selectorILNS1_17partition_subalgoE6EtNS0_10empty_typeEbEEZZNS1_14partition_implILS5_6ELb0ES3_mN6thrust23THRUST_200600_302600_NS6detail15normal_iteratorINSA_10device_ptrItEEEEPS6_SG_NS0_5tupleIJNSA_16discard_iteratorINSA_11use_defaultEEES6_EEENSH_IJSG_SG_EEES6_PlJNSB_9not_fun_tINSB_14equal_to_valueItEEEEEEE10hipError_tPvRmT3_T4_T5_T6_T7_T9_mT8_P12ihipStream_tbDpT10_ENKUlT_T0_E_clISt17integral_constantIbLb1EES1B_EEDaS16_S17_EUlS16_E_NS1_11comp_targetILNS1_3genE8ELNS1_11target_archE1030ELNS1_3gpuE2ELNS1_3repE0EEENS1_30default_config_static_selectorELNS0_4arch9wavefront6targetE0EEEvT1_.num_agpr, 0
	.set _ZN7rocprim17ROCPRIM_400000_NS6detail17trampoline_kernelINS0_14default_configENS1_25partition_config_selectorILNS1_17partition_subalgoE6EtNS0_10empty_typeEbEEZZNS1_14partition_implILS5_6ELb0ES3_mN6thrust23THRUST_200600_302600_NS6detail15normal_iteratorINSA_10device_ptrItEEEEPS6_SG_NS0_5tupleIJNSA_16discard_iteratorINSA_11use_defaultEEES6_EEENSH_IJSG_SG_EEES6_PlJNSB_9not_fun_tINSB_14equal_to_valueItEEEEEEE10hipError_tPvRmT3_T4_T5_T6_T7_T9_mT8_P12ihipStream_tbDpT10_ENKUlT_T0_E_clISt17integral_constantIbLb1EES1B_EEDaS16_S17_EUlS16_E_NS1_11comp_targetILNS1_3genE8ELNS1_11target_archE1030ELNS1_3gpuE2ELNS1_3repE0EEENS1_30default_config_static_selectorELNS0_4arch9wavefront6targetE0EEEvT1_.numbered_sgpr, 0
	.set _ZN7rocprim17ROCPRIM_400000_NS6detail17trampoline_kernelINS0_14default_configENS1_25partition_config_selectorILNS1_17partition_subalgoE6EtNS0_10empty_typeEbEEZZNS1_14partition_implILS5_6ELb0ES3_mN6thrust23THRUST_200600_302600_NS6detail15normal_iteratorINSA_10device_ptrItEEEEPS6_SG_NS0_5tupleIJNSA_16discard_iteratorINSA_11use_defaultEEES6_EEENSH_IJSG_SG_EEES6_PlJNSB_9not_fun_tINSB_14equal_to_valueItEEEEEEE10hipError_tPvRmT3_T4_T5_T6_T7_T9_mT8_P12ihipStream_tbDpT10_ENKUlT_T0_E_clISt17integral_constantIbLb1EES1B_EEDaS16_S17_EUlS16_E_NS1_11comp_targetILNS1_3genE8ELNS1_11target_archE1030ELNS1_3gpuE2ELNS1_3repE0EEENS1_30default_config_static_selectorELNS0_4arch9wavefront6targetE0EEEvT1_.num_named_barrier, 0
	.set _ZN7rocprim17ROCPRIM_400000_NS6detail17trampoline_kernelINS0_14default_configENS1_25partition_config_selectorILNS1_17partition_subalgoE6EtNS0_10empty_typeEbEEZZNS1_14partition_implILS5_6ELb0ES3_mN6thrust23THRUST_200600_302600_NS6detail15normal_iteratorINSA_10device_ptrItEEEEPS6_SG_NS0_5tupleIJNSA_16discard_iteratorINSA_11use_defaultEEES6_EEENSH_IJSG_SG_EEES6_PlJNSB_9not_fun_tINSB_14equal_to_valueItEEEEEEE10hipError_tPvRmT3_T4_T5_T6_T7_T9_mT8_P12ihipStream_tbDpT10_ENKUlT_T0_E_clISt17integral_constantIbLb1EES1B_EEDaS16_S17_EUlS16_E_NS1_11comp_targetILNS1_3genE8ELNS1_11target_archE1030ELNS1_3gpuE2ELNS1_3repE0EEENS1_30default_config_static_selectorELNS0_4arch9wavefront6targetE0EEEvT1_.private_seg_size, 0
	.set _ZN7rocprim17ROCPRIM_400000_NS6detail17trampoline_kernelINS0_14default_configENS1_25partition_config_selectorILNS1_17partition_subalgoE6EtNS0_10empty_typeEbEEZZNS1_14partition_implILS5_6ELb0ES3_mN6thrust23THRUST_200600_302600_NS6detail15normal_iteratorINSA_10device_ptrItEEEEPS6_SG_NS0_5tupleIJNSA_16discard_iteratorINSA_11use_defaultEEES6_EEENSH_IJSG_SG_EEES6_PlJNSB_9not_fun_tINSB_14equal_to_valueItEEEEEEE10hipError_tPvRmT3_T4_T5_T6_T7_T9_mT8_P12ihipStream_tbDpT10_ENKUlT_T0_E_clISt17integral_constantIbLb1EES1B_EEDaS16_S17_EUlS16_E_NS1_11comp_targetILNS1_3genE8ELNS1_11target_archE1030ELNS1_3gpuE2ELNS1_3repE0EEENS1_30default_config_static_selectorELNS0_4arch9wavefront6targetE0EEEvT1_.uses_vcc, 0
	.set _ZN7rocprim17ROCPRIM_400000_NS6detail17trampoline_kernelINS0_14default_configENS1_25partition_config_selectorILNS1_17partition_subalgoE6EtNS0_10empty_typeEbEEZZNS1_14partition_implILS5_6ELb0ES3_mN6thrust23THRUST_200600_302600_NS6detail15normal_iteratorINSA_10device_ptrItEEEEPS6_SG_NS0_5tupleIJNSA_16discard_iteratorINSA_11use_defaultEEES6_EEENSH_IJSG_SG_EEES6_PlJNSB_9not_fun_tINSB_14equal_to_valueItEEEEEEE10hipError_tPvRmT3_T4_T5_T6_T7_T9_mT8_P12ihipStream_tbDpT10_ENKUlT_T0_E_clISt17integral_constantIbLb1EES1B_EEDaS16_S17_EUlS16_E_NS1_11comp_targetILNS1_3genE8ELNS1_11target_archE1030ELNS1_3gpuE2ELNS1_3repE0EEENS1_30default_config_static_selectorELNS0_4arch9wavefront6targetE0EEEvT1_.uses_flat_scratch, 0
	.set _ZN7rocprim17ROCPRIM_400000_NS6detail17trampoline_kernelINS0_14default_configENS1_25partition_config_selectorILNS1_17partition_subalgoE6EtNS0_10empty_typeEbEEZZNS1_14partition_implILS5_6ELb0ES3_mN6thrust23THRUST_200600_302600_NS6detail15normal_iteratorINSA_10device_ptrItEEEEPS6_SG_NS0_5tupleIJNSA_16discard_iteratorINSA_11use_defaultEEES6_EEENSH_IJSG_SG_EEES6_PlJNSB_9not_fun_tINSB_14equal_to_valueItEEEEEEE10hipError_tPvRmT3_T4_T5_T6_T7_T9_mT8_P12ihipStream_tbDpT10_ENKUlT_T0_E_clISt17integral_constantIbLb1EES1B_EEDaS16_S17_EUlS16_E_NS1_11comp_targetILNS1_3genE8ELNS1_11target_archE1030ELNS1_3gpuE2ELNS1_3repE0EEENS1_30default_config_static_selectorELNS0_4arch9wavefront6targetE0EEEvT1_.has_dyn_sized_stack, 0
	.set _ZN7rocprim17ROCPRIM_400000_NS6detail17trampoline_kernelINS0_14default_configENS1_25partition_config_selectorILNS1_17partition_subalgoE6EtNS0_10empty_typeEbEEZZNS1_14partition_implILS5_6ELb0ES3_mN6thrust23THRUST_200600_302600_NS6detail15normal_iteratorINSA_10device_ptrItEEEEPS6_SG_NS0_5tupleIJNSA_16discard_iteratorINSA_11use_defaultEEES6_EEENSH_IJSG_SG_EEES6_PlJNSB_9not_fun_tINSB_14equal_to_valueItEEEEEEE10hipError_tPvRmT3_T4_T5_T6_T7_T9_mT8_P12ihipStream_tbDpT10_ENKUlT_T0_E_clISt17integral_constantIbLb1EES1B_EEDaS16_S17_EUlS16_E_NS1_11comp_targetILNS1_3genE8ELNS1_11target_archE1030ELNS1_3gpuE2ELNS1_3repE0EEENS1_30default_config_static_selectorELNS0_4arch9wavefront6targetE0EEEvT1_.has_recursion, 0
	.set _ZN7rocprim17ROCPRIM_400000_NS6detail17trampoline_kernelINS0_14default_configENS1_25partition_config_selectorILNS1_17partition_subalgoE6EtNS0_10empty_typeEbEEZZNS1_14partition_implILS5_6ELb0ES3_mN6thrust23THRUST_200600_302600_NS6detail15normal_iteratorINSA_10device_ptrItEEEEPS6_SG_NS0_5tupleIJNSA_16discard_iteratorINSA_11use_defaultEEES6_EEENSH_IJSG_SG_EEES6_PlJNSB_9not_fun_tINSB_14equal_to_valueItEEEEEEE10hipError_tPvRmT3_T4_T5_T6_T7_T9_mT8_P12ihipStream_tbDpT10_ENKUlT_T0_E_clISt17integral_constantIbLb1EES1B_EEDaS16_S17_EUlS16_E_NS1_11comp_targetILNS1_3genE8ELNS1_11target_archE1030ELNS1_3gpuE2ELNS1_3repE0EEENS1_30default_config_static_selectorELNS0_4arch9wavefront6targetE0EEEvT1_.has_indirect_call, 0
	.section	.AMDGPU.csdata,"",@progbits
; Kernel info:
; codeLenInByte = 0
; TotalNumSgprs: 0
; NumVgprs: 0
; ScratchSize: 0
; MemoryBound: 0
; FloatMode: 240
; IeeeMode: 1
; LDSByteSize: 0 bytes/workgroup (compile time only)
; SGPRBlocks: 0
; VGPRBlocks: 0
; NumSGPRsForWavesPerEU: 1
; NumVGPRsForWavesPerEU: 1
; Occupancy: 16
; WaveLimiterHint : 0
; COMPUTE_PGM_RSRC2:SCRATCH_EN: 0
; COMPUTE_PGM_RSRC2:USER_SGPR: 2
; COMPUTE_PGM_RSRC2:TRAP_HANDLER: 0
; COMPUTE_PGM_RSRC2:TGID_X_EN: 1
; COMPUTE_PGM_RSRC2:TGID_Y_EN: 0
; COMPUTE_PGM_RSRC2:TGID_Z_EN: 0
; COMPUTE_PGM_RSRC2:TIDIG_COMP_CNT: 0
	.section	.text._ZN7rocprim17ROCPRIM_400000_NS6detail17trampoline_kernelINS0_14default_configENS1_25partition_config_selectorILNS1_17partition_subalgoE6EtNS0_10empty_typeEbEEZZNS1_14partition_implILS5_6ELb0ES3_mN6thrust23THRUST_200600_302600_NS6detail15normal_iteratorINSA_10device_ptrItEEEEPS6_SG_NS0_5tupleIJNSA_16discard_iteratorINSA_11use_defaultEEES6_EEENSH_IJSG_SG_EEES6_PlJNSB_9not_fun_tINSB_14equal_to_valueItEEEEEEE10hipError_tPvRmT3_T4_T5_T6_T7_T9_mT8_P12ihipStream_tbDpT10_ENKUlT_T0_E_clISt17integral_constantIbLb1EES1A_IbLb0EEEEDaS16_S17_EUlS16_E_NS1_11comp_targetILNS1_3genE0ELNS1_11target_archE4294967295ELNS1_3gpuE0ELNS1_3repE0EEENS1_30default_config_static_selectorELNS0_4arch9wavefront6targetE0EEEvT1_,"axG",@progbits,_ZN7rocprim17ROCPRIM_400000_NS6detail17trampoline_kernelINS0_14default_configENS1_25partition_config_selectorILNS1_17partition_subalgoE6EtNS0_10empty_typeEbEEZZNS1_14partition_implILS5_6ELb0ES3_mN6thrust23THRUST_200600_302600_NS6detail15normal_iteratorINSA_10device_ptrItEEEEPS6_SG_NS0_5tupleIJNSA_16discard_iteratorINSA_11use_defaultEEES6_EEENSH_IJSG_SG_EEES6_PlJNSB_9not_fun_tINSB_14equal_to_valueItEEEEEEE10hipError_tPvRmT3_T4_T5_T6_T7_T9_mT8_P12ihipStream_tbDpT10_ENKUlT_T0_E_clISt17integral_constantIbLb1EES1A_IbLb0EEEEDaS16_S17_EUlS16_E_NS1_11comp_targetILNS1_3genE0ELNS1_11target_archE4294967295ELNS1_3gpuE0ELNS1_3repE0EEENS1_30default_config_static_selectorELNS0_4arch9wavefront6targetE0EEEvT1_,comdat
	.protected	_ZN7rocprim17ROCPRIM_400000_NS6detail17trampoline_kernelINS0_14default_configENS1_25partition_config_selectorILNS1_17partition_subalgoE6EtNS0_10empty_typeEbEEZZNS1_14partition_implILS5_6ELb0ES3_mN6thrust23THRUST_200600_302600_NS6detail15normal_iteratorINSA_10device_ptrItEEEEPS6_SG_NS0_5tupleIJNSA_16discard_iteratorINSA_11use_defaultEEES6_EEENSH_IJSG_SG_EEES6_PlJNSB_9not_fun_tINSB_14equal_to_valueItEEEEEEE10hipError_tPvRmT3_T4_T5_T6_T7_T9_mT8_P12ihipStream_tbDpT10_ENKUlT_T0_E_clISt17integral_constantIbLb1EES1A_IbLb0EEEEDaS16_S17_EUlS16_E_NS1_11comp_targetILNS1_3genE0ELNS1_11target_archE4294967295ELNS1_3gpuE0ELNS1_3repE0EEENS1_30default_config_static_selectorELNS0_4arch9wavefront6targetE0EEEvT1_ ; -- Begin function _ZN7rocprim17ROCPRIM_400000_NS6detail17trampoline_kernelINS0_14default_configENS1_25partition_config_selectorILNS1_17partition_subalgoE6EtNS0_10empty_typeEbEEZZNS1_14partition_implILS5_6ELb0ES3_mN6thrust23THRUST_200600_302600_NS6detail15normal_iteratorINSA_10device_ptrItEEEEPS6_SG_NS0_5tupleIJNSA_16discard_iteratorINSA_11use_defaultEEES6_EEENSH_IJSG_SG_EEES6_PlJNSB_9not_fun_tINSB_14equal_to_valueItEEEEEEE10hipError_tPvRmT3_T4_T5_T6_T7_T9_mT8_P12ihipStream_tbDpT10_ENKUlT_T0_E_clISt17integral_constantIbLb1EES1A_IbLb0EEEEDaS16_S17_EUlS16_E_NS1_11comp_targetILNS1_3genE0ELNS1_11target_archE4294967295ELNS1_3gpuE0ELNS1_3repE0EEENS1_30default_config_static_selectorELNS0_4arch9wavefront6targetE0EEEvT1_
	.globl	_ZN7rocprim17ROCPRIM_400000_NS6detail17trampoline_kernelINS0_14default_configENS1_25partition_config_selectorILNS1_17partition_subalgoE6EtNS0_10empty_typeEbEEZZNS1_14partition_implILS5_6ELb0ES3_mN6thrust23THRUST_200600_302600_NS6detail15normal_iteratorINSA_10device_ptrItEEEEPS6_SG_NS0_5tupleIJNSA_16discard_iteratorINSA_11use_defaultEEES6_EEENSH_IJSG_SG_EEES6_PlJNSB_9not_fun_tINSB_14equal_to_valueItEEEEEEE10hipError_tPvRmT3_T4_T5_T6_T7_T9_mT8_P12ihipStream_tbDpT10_ENKUlT_T0_E_clISt17integral_constantIbLb1EES1A_IbLb0EEEEDaS16_S17_EUlS16_E_NS1_11comp_targetILNS1_3genE0ELNS1_11target_archE4294967295ELNS1_3gpuE0ELNS1_3repE0EEENS1_30default_config_static_selectorELNS0_4arch9wavefront6targetE0EEEvT1_
	.p2align	8
	.type	_ZN7rocprim17ROCPRIM_400000_NS6detail17trampoline_kernelINS0_14default_configENS1_25partition_config_selectorILNS1_17partition_subalgoE6EtNS0_10empty_typeEbEEZZNS1_14partition_implILS5_6ELb0ES3_mN6thrust23THRUST_200600_302600_NS6detail15normal_iteratorINSA_10device_ptrItEEEEPS6_SG_NS0_5tupleIJNSA_16discard_iteratorINSA_11use_defaultEEES6_EEENSH_IJSG_SG_EEES6_PlJNSB_9not_fun_tINSB_14equal_to_valueItEEEEEEE10hipError_tPvRmT3_T4_T5_T6_T7_T9_mT8_P12ihipStream_tbDpT10_ENKUlT_T0_E_clISt17integral_constantIbLb1EES1A_IbLb0EEEEDaS16_S17_EUlS16_E_NS1_11comp_targetILNS1_3genE0ELNS1_11target_archE4294967295ELNS1_3gpuE0ELNS1_3repE0EEENS1_30default_config_static_selectorELNS0_4arch9wavefront6targetE0EEEvT1_,@function
_ZN7rocprim17ROCPRIM_400000_NS6detail17trampoline_kernelINS0_14default_configENS1_25partition_config_selectorILNS1_17partition_subalgoE6EtNS0_10empty_typeEbEEZZNS1_14partition_implILS5_6ELb0ES3_mN6thrust23THRUST_200600_302600_NS6detail15normal_iteratorINSA_10device_ptrItEEEEPS6_SG_NS0_5tupleIJNSA_16discard_iteratorINSA_11use_defaultEEES6_EEENSH_IJSG_SG_EEES6_PlJNSB_9not_fun_tINSB_14equal_to_valueItEEEEEEE10hipError_tPvRmT3_T4_T5_T6_T7_T9_mT8_P12ihipStream_tbDpT10_ENKUlT_T0_E_clISt17integral_constantIbLb1EES1A_IbLb0EEEEDaS16_S17_EUlS16_E_NS1_11comp_targetILNS1_3genE0ELNS1_11target_archE4294967295ELNS1_3gpuE0ELNS1_3repE0EEENS1_30default_config_static_selectorELNS0_4arch9wavefront6targetE0EEEvT1_: ; @_ZN7rocprim17ROCPRIM_400000_NS6detail17trampoline_kernelINS0_14default_configENS1_25partition_config_selectorILNS1_17partition_subalgoE6EtNS0_10empty_typeEbEEZZNS1_14partition_implILS5_6ELb0ES3_mN6thrust23THRUST_200600_302600_NS6detail15normal_iteratorINSA_10device_ptrItEEEEPS6_SG_NS0_5tupleIJNSA_16discard_iteratorINSA_11use_defaultEEES6_EEENSH_IJSG_SG_EEES6_PlJNSB_9not_fun_tINSB_14equal_to_valueItEEEEEEE10hipError_tPvRmT3_T4_T5_T6_T7_T9_mT8_P12ihipStream_tbDpT10_ENKUlT_T0_E_clISt17integral_constantIbLb1EES1A_IbLb0EEEEDaS16_S17_EUlS16_E_NS1_11comp_targetILNS1_3genE0ELNS1_11target_archE4294967295ELNS1_3gpuE0ELNS1_3repE0EEENS1_30default_config_static_selectorELNS0_4arch9wavefront6targetE0EEEvT1_
; %bb.0:
	.section	.rodata,"a",@progbits
	.p2align	6, 0x0
	.amdhsa_kernel _ZN7rocprim17ROCPRIM_400000_NS6detail17trampoline_kernelINS0_14default_configENS1_25partition_config_selectorILNS1_17partition_subalgoE6EtNS0_10empty_typeEbEEZZNS1_14partition_implILS5_6ELb0ES3_mN6thrust23THRUST_200600_302600_NS6detail15normal_iteratorINSA_10device_ptrItEEEEPS6_SG_NS0_5tupleIJNSA_16discard_iteratorINSA_11use_defaultEEES6_EEENSH_IJSG_SG_EEES6_PlJNSB_9not_fun_tINSB_14equal_to_valueItEEEEEEE10hipError_tPvRmT3_T4_T5_T6_T7_T9_mT8_P12ihipStream_tbDpT10_ENKUlT_T0_E_clISt17integral_constantIbLb1EES1A_IbLb0EEEEDaS16_S17_EUlS16_E_NS1_11comp_targetILNS1_3genE0ELNS1_11target_archE4294967295ELNS1_3gpuE0ELNS1_3repE0EEENS1_30default_config_static_selectorELNS0_4arch9wavefront6targetE0EEEvT1_
		.amdhsa_group_segment_fixed_size 0
		.amdhsa_private_segment_fixed_size 0
		.amdhsa_kernarg_size 120
		.amdhsa_user_sgpr_count 2
		.amdhsa_user_sgpr_dispatch_ptr 0
		.amdhsa_user_sgpr_queue_ptr 0
		.amdhsa_user_sgpr_kernarg_segment_ptr 1
		.amdhsa_user_sgpr_dispatch_id 0
		.amdhsa_user_sgpr_private_segment_size 0
		.amdhsa_wavefront_size32 1
		.amdhsa_uses_dynamic_stack 0
		.amdhsa_enable_private_segment 0
		.amdhsa_system_sgpr_workgroup_id_x 1
		.amdhsa_system_sgpr_workgroup_id_y 0
		.amdhsa_system_sgpr_workgroup_id_z 0
		.amdhsa_system_sgpr_workgroup_info 0
		.amdhsa_system_vgpr_workitem_id 0
		.amdhsa_next_free_vgpr 1
		.amdhsa_next_free_sgpr 1
		.amdhsa_reserve_vcc 0
		.amdhsa_float_round_mode_32 0
		.amdhsa_float_round_mode_16_64 0
		.amdhsa_float_denorm_mode_32 3
		.amdhsa_float_denorm_mode_16_64 3
		.amdhsa_fp16_overflow 0
		.amdhsa_workgroup_processor_mode 1
		.amdhsa_memory_ordered 1
		.amdhsa_forward_progress 1
		.amdhsa_inst_pref_size 0
		.amdhsa_round_robin_scheduling 0
		.amdhsa_exception_fp_ieee_invalid_op 0
		.amdhsa_exception_fp_denorm_src 0
		.amdhsa_exception_fp_ieee_div_zero 0
		.amdhsa_exception_fp_ieee_overflow 0
		.amdhsa_exception_fp_ieee_underflow 0
		.amdhsa_exception_fp_ieee_inexact 0
		.amdhsa_exception_int_div_zero 0
	.end_amdhsa_kernel
	.section	.text._ZN7rocprim17ROCPRIM_400000_NS6detail17trampoline_kernelINS0_14default_configENS1_25partition_config_selectorILNS1_17partition_subalgoE6EtNS0_10empty_typeEbEEZZNS1_14partition_implILS5_6ELb0ES3_mN6thrust23THRUST_200600_302600_NS6detail15normal_iteratorINSA_10device_ptrItEEEEPS6_SG_NS0_5tupleIJNSA_16discard_iteratorINSA_11use_defaultEEES6_EEENSH_IJSG_SG_EEES6_PlJNSB_9not_fun_tINSB_14equal_to_valueItEEEEEEE10hipError_tPvRmT3_T4_T5_T6_T7_T9_mT8_P12ihipStream_tbDpT10_ENKUlT_T0_E_clISt17integral_constantIbLb1EES1A_IbLb0EEEEDaS16_S17_EUlS16_E_NS1_11comp_targetILNS1_3genE0ELNS1_11target_archE4294967295ELNS1_3gpuE0ELNS1_3repE0EEENS1_30default_config_static_selectorELNS0_4arch9wavefront6targetE0EEEvT1_,"axG",@progbits,_ZN7rocprim17ROCPRIM_400000_NS6detail17trampoline_kernelINS0_14default_configENS1_25partition_config_selectorILNS1_17partition_subalgoE6EtNS0_10empty_typeEbEEZZNS1_14partition_implILS5_6ELb0ES3_mN6thrust23THRUST_200600_302600_NS6detail15normal_iteratorINSA_10device_ptrItEEEEPS6_SG_NS0_5tupleIJNSA_16discard_iteratorINSA_11use_defaultEEES6_EEENSH_IJSG_SG_EEES6_PlJNSB_9not_fun_tINSB_14equal_to_valueItEEEEEEE10hipError_tPvRmT3_T4_T5_T6_T7_T9_mT8_P12ihipStream_tbDpT10_ENKUlT_T0_E_clISt17integral_constantIbLb1EES1A_IbLb0EEEEDaS16_S17_EUlS16_E_NS1_11comp_targetILNS1_3genE0ELNS1_11target_archE4294967295ELNS1_3gpuE0ELNS1_3repE0EEENS1_30default_config_static_selectorELNS0_4arch9wavefront6targetE0EEEvT1_,comdat
.Lfunc_end1709:
	.size	_ZN7rocprim17ROCPRIM_400000_NS6detail17trampoline_kernelINS0_14default_configENS1_25partition_config_selectorILNS1_17partition_subalgoE6EtNS0_10empty_typeEbEEZZNS1_14partition_implILS5_6ELb0ES3_mN6thrust23THRUST_200600_302600_NS6detail15normal_iteratorINSA_10device_ptrItEEEEPS6_SG_NS0_5tupleIJNSA_16discard_iteratorINSA_11use_defaultEEES6_EEENSH_IJSG_SG_EEES6_PlJNSB_9not_fun_tINSB_14equal_to_valueItEEEEEEE10hipError_tPvRmT3_T4_T5_T6_T7_T9_mT8_P12ihipStream_tbDpT10_ENKUlT_T0_E_clISt17integral_constantIbLb1EES1A_IbLb0EEEEDaS16_S17_EUlS16_E_NS1_11comp_targetILNS1_3genE0ELNS1_11target_archE4294967295ELNS1_3gpuE0ELNS1_3repE0EEENS1_30default_config_static_selectorELNS0_4arch9wavefront6targetE0EEEvT1_, .Lfunc_end1709-_ZN7rocprim17ROCPRIM_400000_NS6detail17trampoline_kernelINS0_14default_configENS1_25partition_config_selectorILNS1_17partition_subalgoE6EtNS0_10empty_typeEbEEZZNS1_14partition_implILS5_6ELb0ES3_mN6thrust23THRUST_200600_302600_NS6detail15normal_iteratorINSA_10device_ptrItEEEEPS6_SG_NS0_5tupleIJNSA_16discard_iteratorINSA_11use_defaultEEES6_EEENSH_IJSG_SG_EEES6_PlJNSB_9not_fun_tINSB_14equal_to_valueItEEEEEEE10hipError_tPvRmT3_T4_T5_T6_T7_T9_mT8_P12ihipStream_tbDpT10_ENKUlT_T0_E_clISt17integral_constantIbLb1EES1A_IbLb0EEEEDaS16_S17_EUlS16_E_NS1_11comp_targetILNS1_3genE0ELNS1_11target_archE4294967295ELNS1_3gpuE0ELNS1_3repE0EEENS1_30default_config_static_selectorELNS0_4arch9wavefront6targetE0EEEvT1_
                                        ; -- End function
	.set _ZN7rocprim17ROCPRIM_400000_NS6detail17trampoline_kernelINS0_14default_configENS1_25partition_config_selectorILNS1_17partition_subalgoE6EtNS0_10empty_typeEbEEZZNS1_14partition_implILS5_6ELb0ES3_mN6thrust23THRUST_200600_302600_NS6detail15normal_iteratorINSA_10device_ptrItEEEEPS6_SG_NS0_5tupleIJNSA_16discard_iteratorINSA_11use_defaultEEES6_EEENSH_IJSG_SG_EEES6_PlJNSB_9not_fun_tINSB_14equal_to_valueItEEEEEEE10hipError_tPvRmT3_T4_T5_T6_T7_T9_mT8_P12ihipStream_tbDpT10_ENKUlT_T0_E_clISt17integral_constantIbLb1EES1A_IbLb0EEEEDaS16_S17_EUlS16_E_NS1_11comp_targetILNS1_3genE0ELNS1_11target_archE4294967295ELNS1_3gpuE0ELNS1_3repE0EEENS1_30default_config_static_selectorELNS0_4arch9wavefront6targetE0EEEvT1_.num_vgpr, 0
	.set _ZN7rocprim17ROCPRIM_400000_NS6detail17trampoline_kernelINS0_14default_configENS1_25partition_config_selectorILNS1_17partition_subalgoE6EtNS0_10empty_typeEbEEZZNS1_14partition_implILS5_6ELb0ES3_mN6thrust23THRUST_200600_302600_NS6detail15normal_iteratorINSA_10device_ptrItEEEEPS6_SG_NS0_5tupleIJNSA_16discard_iteratorINSA_11use_defaultEEES6_EEENSH_IJSG_SG_EEES6_PlJNSB_9not_fun_tINSB_14equal_to_valueItEEEEEEE10hipError_tPvRmT3_T4_T5_T6_T7_T9_mT8_P12ihipStream_tbDpT10_ENKUlT_T0_E_clISt17integral_constantIbLb1EES1A_IbLb0EEEEDaS16_S17_EUlS16_E_NS1_11comp_targetILNS1_3genE0ELNS1_11target_archE4294967295ELNS1_3gpuE0ELNS1_3repE0EEENS1_30default_config_static_selectorELNS0_4arch9wavefront6targetE0EEEvT1_.num_agpr, 0
	.set _ZN7rocprim17ROCPRIM_400000_NS6detail17trampoline_kernelINS0_14default_configENS1_25partition_config_selectorILNS1_17partition_subalgoE6EtNS0_10empty_typeEbEEZZNS1_14partition_implILS5_6ELb0ES3_mN6thrust23THRUST_200600_302600_NS6detail15normal_iteratorINSA_10device_ptrItEEEEPS6_SG_NS0_5tupleIJNSA_16discard_iteratorINSA_11use_defaultEEES6_EEENSH_IJSG_SG_EEES6_PlJNSB_9not_fun_tINSB_14equal_to_valueItEEEEEEE10hipError_tPvRmT3_T4_T5_T6_T7_T9_mT8_P12ihipStream_tbDpT10_ENKUlT_T0_E_clISt17integral_constantIbLb1EES1A_IbLb0EEEEDaS16_S17_EUlS16_E_NS1_11comp_targetILNS1_3genE0ELNS1_11target_archE4294967295ELNS1_3gpuE0ELNS1_3repE0EEENS1_30default_config_static_selectorELNS0_4arch9wavefront6targetE0EEEvT1_.numbered_sgpr, 0
	.set _ZN7rocprim17ROCPRIM_400000_NS6detail17trampoline_kernelINS0_14default_configENS1_25partition_config_selectorILNS1_17partition_subalgoE6EtNS0_10empty_typeEbEEZZNS1_14partition_implILS5_6ELb0ES3_mN6thrust23THRUST_200600_302600_NS6detail15normal_iteratorINSA_10device_ptrItEEEEPS6_SG_NS0_5tupleIJNSA_16discard_iteratorINSA_11use_defaultEEES6_EEENSH_IJSG_SG_EEES6_PlJNSB_9not_fun_tINSB_14equal_to_valueItEEEEEEE10hipError_tPvRmT3_T4_T5_T6_T7_T9_mT8_P12ihipStream_tbDpT10_ENKUlT_T0_E_clISt17integral_constantIbLb1EES1A_IbLb0EEEEDaS16_S17_EUlS16_E_NS1_11comp_targetILNS1_3genE0ELNS1_11target_archE4294967295ELNS1_3gpuE0ELNS1_3repE0EEENS1_30default_config_static_selectorELNS0_4arch9wavefront6targetE0EEEvT1_.num_named_barrier, 0
	.set _ZN7rocprim17ROCPRIM_400000_NS6detail17trampoline_kernelINS0_14default_configENS1_25partition_config_selectorILNS1_17partition_subalgoE6EtNS0_10empty_typeEbEEZZNS1_14partition_implILS5_6ELb0ES3_mN6thrust23THRUST_200600_302600_NS6detail15normal_iteratorINSA_10device_ptrItEEEEPS6_SG_NS0_5tupleIJNSA_16discard_iteratorINSA_11use_defaultEEES6_EEENSH_IJSG_SG_EEES6_PlJNSB_9not_fun_tINSB_14equal_to_valueItEEEEEEE10hipError_tPvRmT3_T4_T5_T6_T7_T9_mT8_P12ihipStream_tbDpT10_ENKUlT_T0_E_clISt17integral_constantIbLb1EES1A_IbLb0EEEEDaS16_S17_EUlS16_E_NS1_11comp_targetILNS1_3genE0ELNS1_11target_archE4294967295ELNS1_3gpuE0ELNS1_3repE0EEENS1_30default_config_static_selectorELNS0_4arch9wavefront6targetE0EEEvT1_.private_seg_size, 0
	.set _ZN7rocprim17ROCPRIM_400000_NS6detail17trampoline_kernelINS0_14default_configENS1_25partition_config_selectorILNS1_17partition_subalgoE6EtNS0_10empty_typeEbEEZZNS1_14partition_implILS5_6ELb0ES3_mN6thrust23THRUST_200600_302600_NS6detail15normal_iteratorINSA_10device_ptrItEEEEPS6_SG_NS0_5tupleIJNSA_16discard_iteratorINSA_11use_defaultEEES6_EEENSH_IJSG_SG_EEES6_PlJNSB_9not_fun_tINSB_14equal_to_valueItEEEEEEE10hipError_tPvRmT3_T4_T5_T6_T7_T9_mT8_P12ihipStream_tbDpT10_ENKUlT_T0_E_clISt17integral_constantIbLb1EES1A_IbLb0EEEEDaS16_S17_EUlS16_E_NS1_11comp_targetILNS1_3genE0ELNS1_11target_archE4294967295ELNS1_3gpuE0ELNS1_3repE0EEENS1_30default_config_static_selectorELNS0_4arch9wavefront6targetE0EEEvT1_.uses_vcc, 0
	.set _ZN7rocprim17ROCPRIM_400000_NS6detail17trampoline_kernelINS0_14default_configENS1_25partition_config_selectorILNS1_17partition_subalgoE6EtNS0_10empty_typeEbEEZZNS1_14partition_implILS5_6ELb0ES3_mN6thrust23THRUST_200600_302600_NS6detail15normal_iteratorINSA_10device_ptrItEEEEPS6_SG_NS0_5tupleIJNSA_16discard_iteratorINSA_11use_defaultEEES6_EEENSH_IJSG_SG_EEES6_PlJNSB_9not_fun_tINSB_14equal_to_valueItEEEEEEE10hipError_tPvRmT3_T4_T5_T6_T7_T9_mT8_P12ihipStream_tbDpT10_ENKUlT_T0_E_clISt17integral_constantIbLb1EES1A_IbLb0EEEEDaS16_S17_EUlS16_E_NS1_11comp_targetILNS1_3genE0ELNS1_11target_archE4294967295ELNS1_3gpuE0ELNS1_3repE0EEENS1_30default_config_static_selectorELNS0_4arch9wavefront6targetE0EEEvT1_.uses_flat_scratch, 0
	.set _ZN7rocprim17ROCPRIM_400000_NS6detail17trampoline_kernelINS0_14default_configENS1_25partition_config_selectorILNS1_17partition_subalgoE6EtNS0_10empty_typeEbEEZZNS1_14partition_implILS5_6ELb0ES3_mN6thrust23THRUST_200600_302600_NS6detail15normal_iteratorINSA_10device_ptrItEEEEPS6_SG_NS0_5tupleIJNSA_16discard_iteratorINSA_11use_defaultEEES6_EEENSH_IJSG_SG_EEES6_PlJNSB_9not_fun_tINSB_14equal_to_valueItEEEEEEE10hipError_tPvRmT3_T4_T5_T6_T7_T9_mT8_P12ihipStream_tbDpT10_ENKUlT_T0_E_clISt17integral_constantIbLb1EES1A_IbLb0EEEEDaS16_S17_EUlS16_E_NS1_11comp_targetILNS1_3genE0ELNS1_11target_archE4294967295ELNS1_3gpuE0ELNS1_3repE0EEENS1_30default_config_static_selectorELNS0_4arch9wavefront6targetE0EEEvT1_.has_dyn_sized_stack, 0
	.set _ZN7rocprim17ROCPRIM_400000_NS6detail17trampoline_kernelINS0_14default_configENS1_25partition_config_selectorILNS1_17partition_subalgoE6EtNS0_10empty_typeEbEEZZNS1_14partition_implILS5_6ELb0ES3_mN6thrust23THRUST_200600_302600_NS6detail15normal_iteratorINSA_10device_ptrItEEEEPS6_SG_NS0_5tupleIJNSA_16discard_iteratorINSA_11use_defaultEEES6_EEENSH_IJSG_SG_EEES6_PlJNSB_9not_fun_tINSB_14equal_to_valueItEEEEEEE10hipError_tPvRmT3_T4_T5_T6_T7_T9_mT8_P12ihipStream_tbDpT10_ENKUlT_T0_E_clISt17integral_constantIbLb1EES1A_IbLb0EEEEDaS16_S17_EUlS16_E_NS1_11comp_targetILNS1_3genE0ELNS1_11target_archE4294967295ELNS1_3gpuE0ELNS1_3repE0EEENS1_30default_config_static_selectorELNS0_4arch9wavefront6targetE0EEEvT1_.has_recursion, 0
	.set _ZN7rocprim17ROCPRIM_400000_NS6detail17trampoline_kernelINS0_14default_configENS1_25partition_config_selectorILNS1_17partition_subalgoE6EtNS0_10empty_typeEbEEZZNS1_14partition_implILS5_6ELb0ES3_mN6thrust23THRUST_200600_302600_NS6detail15normal_iteratorINSA_10device_ptrItEEEEPS6_SG_NS0_5tupleIJNSA_16discard_iteratorINSA_11use_defaultEEES6_EEENSH_IJSG_SG_EEES6_PlJNSB_9not_fun_tINSB_14equal_to_valueItEEEEEEE10hipError_tPvRmT3_T4_T5_T6_T7_T9_mT8_P12ihipStream_tbDpT10_ENKUlT_T0_E_clISt17integral_constantIbLb1EES1A_IbLb0EEEEDaS16_S17_EUlS16_E_NS1_11comp_targetILNS1_3genE0ELNS1_11target_archE4294967295ELNS1_3gpuE0ELNS1_3repE0EEENS1_30default_config_static_selectorELNS0_4arch9wavefront6targetE0EEEvT1_.has_indirect_call, 0
	.section	.AMDGPU.csdata,"",@progbits
; Kernel info:
; codeLenInByte = 0
; TotalNumSgprs: 0
; NumVgprs: 0
; ScratchSize: 0
; MemoryBound: 0
; FloatMode: 240
; IeeeMode: 1
; LDSByteSize: 0 bytes/workgroup (compile time only)
; SGPRBlocks: 0
; VGPRBlocks: 0
; NumSGPRsForWavesPerEU: 1
; NumVGPRsForWavesPerEU: 1
; Occupancy: 16
; WaveLimiterHint : 0
; COMPUTE_PGM_RSRC2:SCRATCH_EN: 0
; COMPUTE_PGM_RSRC2:USER_SGPR: 2
; COMPUTE_PGM_RSRC2:TRAP_HANDLER: 0
; COMPUTE_PGM_RSRC2:TGID_X_EN: 1
; COMPUTE_PGM_RSRC2:TGID_Y_EN: 0
; COMPUTE_PGM_RSRC2:TGID_Z_EN: 0
; COMPUTE_PGM_RSRC2:TIDIG_COMP_CNT: 0
	.section	.text._ZN7rocprim17ROCPRIM_400000_NS6detail17trampoline_kernelINS0_14default_configENS1_25partition_config_selectorILNS1_17partition_subalgoE6EtNS0_10empty_typeEbEEZZNS1_14partition_implILS5_6ELb0ES3_mN6thrust23THRUST_200600_302600_NS6detail15normal_iteratorINSA_10device_ptrItEEEEPS6_SG_NS0_5tupleIJNSA_16discard_iteratorINSA_11use_defaultEEES6_EEENSH_IJSG_SG_EEES6_PlJNSB_9not_fun_tINSB_14equal_to_valueItEEEEEEE10hipError_tPvRmT3_T4_T5_T6_T7_T9_mT8_P12ihipStream_tbDpT10_ENKUlT_T0_E_clISt17integral_constantIbLb1EES1A_IbLb0EEEEDaS16_S17_EUlS16_E_NS1_11comp_targetILNS1_3genE5ELNS1_11target_archE942ELNS1_3gpuE9ELNS1_3repE0EEENS1_30default_config_static_selectorELNS0_4arch9wavefront6targetE0EEEvT1_,"axG",@progbits,_ZN7rocprim17ROCPRIM_400000_NS6detail17trampoline_kernelINS0_14default_configENS1_25partition_config_selectorILNS1_17partition_subalgoE6EtNS0_10empty_typeEbEEZZNS1_14partition_implILS5_6ELb0ES3_mN6thrust23THRUST_200600_302600_NS6detail15normal_iteratorINSA_10device_ptrItEEEEPS6_SG_NS0_5tupleIJNSA_16discard_iteratorINSA_11use_defaultEEES6_EEENSH_IJSG_SG_EEES6_PlJNSB_9not_fun_tINSB_14equal_to_valueItEEEEEEE10hipError_tPvRmT3_T4_T5_T6_T7_T9_mT8_P12ihipStream_tbDpT10_ENKUlT_T0_E_clISt17integral_constantIbLb1EES1A_IbLb0EEEEDaS16_S17_EUlS16_E_NS1_11comp_targetILNS1_3genE5ELNS1_11target_archE942ELNS1_3gpuE9ELNS1_3repE0EEENS1_30default_config_static_selectorELNS0_4arch9wavefront6targetE0EEEvT1_,comdat
	.protected	_ZN7rocprim17ROCPRIM_400000_NS6detail17trampoline_kernelINS0_14default_configENS1_25partition_config_selectorILNS1_17partition_subalgoE6EtNS0_10empty_typeEbEEZZNS1_14partition_implILS5_6ELb0ES3_mN6thrust23THRUST_200600_302600_NS6detail15normal_iteratorINSA_10device_ptrItEEEEPS6_SG_NS0_5tupleIJNSA_16discard_iteratorINSA_11use_defaultEEES6_EEENSH_IJSG_SG_EEES6_PlJNSB_9not_fun_tINSB_14equal_to_valueItEEEEEEE10hipError_tPvRmT3_T4_T5_T6_T7_T9_mT8_P12ihipStream_tbDpT10_ENKUlT_T0_E_clISt17integral_constantIbLb1EES1A_IbLb0EEEEDaS16_S17_EUlS16_E_NS1_11comp_targetILNS1_3genE5ELNS1_11target_archE942ELNS1_3gpuE9ELNS1_3repE0EEENS1_30default_config_static_selectorELNS0_4arch9wavefront6targetE0EEEvT1_ ; -- Begin function _ZN7rocprim17ROCPRIM_400000_NS6detail17trampoline_kernelINS0_14default_configENS1_25partition_config_selectorILNS1_17partition_subalgoE6EtNS0_10empty_typeEbEEZZNS1_14partition_implILS5_6ELb0ES3_mN6thrust23THRUST_200600_302600_NS6detail15normal_iteratorINSA_10device_ptrItEEEEPS6_SG_NS0_5tupleIJNSA_16discard_iteratorINSA_11use_defaultEEES6_EEENSH_IJSG_SG_EEES6_PlJNSB_9not_fun_tINSB_14equal_to_valueItEEEEEEE10hipError_tPvRmT3_T4_T5_T6_T7_T9_mT8_P12ihipStream_tbDpT10_ENKUlT_T0_E_clISt17integral_constantIbLb1EES1A_IbLb0EEEEDaS16_S17_EUlS16_E_NS1_11comp_targetILNS1_3genE5ELNS1_11target_archE942ELNS1_3gpuE9ELNS1_3repE0EEENS1_30default_config_static_selectorELNS0_4arch9wavefront6targetE0EEEvT1_
	.globl	_ZN7rocprim17ROCPRIM_400000_NS6detail17trampoline_kernelINS0_14default_configENS1_25partition_config_selectorILNS1_17partition_subalgoE6EtNS0_10empty_typeEbEEZZNS1_14partition_implILS5_6ELb0ES3_mN6thrust23THRUST_200600_302600_NS6detail15normal_iteratorINSA_10device_ptrItEEEEPS6_SG_NS0_5tupleIJNSA_16discard_iteratorINSA_11use_defaultEEES6_EEENSH_IJSG_SG_EEES6_PlJNSB_9not_fun_tINSB_14equal_to_valueItEEEEEEE10hipError_tPvRmT3_T4_T5_T6_T7_T9_mT8_P12ihipStream_tbDpT10_ENKUlT_T0_E_clISt17integral_constantIbLb1EES1A_IbLb0EEEEDaS16_S17_EUlS16_E_NS1_11comp_targetILNS1_3genE5ELNS1_11target_archE942ELNS1_3gpuE9ELNS1_3repE0EEENS1_30default_config_static_selectorELNS0_4arch9wavefront6targetE0EEEvT1_
	.p2align	8
	.type	_ZN7rocprim17ROCPRIM_400000_NS6detail17trampoline_kernelINS0_14default_configENS1_25partition_config_selectorILNS1_17partition_subalgoE6EtNS0_10empty_typeEbEEZZNS1_14partition_implILS5_6ELb0ES3_mN6thrust23THRUST_200600_302600_NS6detail15normal_iteratorINSA_10device_ptrItEEEEPS6_SG_NS0_5tupleIJNSA_16discard_iteratorINSA_11use_defaultEEES6_EEENSH_IJSG_SG_EEES6_PlJNSB_9not_fun_tINSB_14equal_to_valueItEEEEEEE10hipError_tPvRmT3_T4_T5_T6_T7_T9_mT8_P12ihipStream_tbDpT10_ENKUlT_T0_E_clISt17integral_constantIbLb1EES1A_IbLb0EEEEDaS16_S17_EUlS16_E_NS1_11comp_targetILNS1_3genE5ELNS1_11target_archE942ELNS1_3gpuE9ELNS1_3repE0EEENS1_30default_config_static_selectorELNS0_4arch9wavefront6targetE0EEEvT1_,@function
_ZN7rocprim17ROCPRIM_400000_NS6detail17trampoline_kernelINS0_14default_configENS1_25partition_config_selectorILNS1_17partition_subalgoE6EtNS0_10empty_typeEbEEZZNS1_14partition_implILS5_6ELb0ES3_mN6thrust23THRUST_200600_302600_NS6detail15normal_iteratorINSA_10device_ptrItEEEEPS6_SG_NS0_5tupleIJNSA_16discard_iteratorINSA_11use_defaultEEES6_EEENSH_IJSG_SG_EEES6_PlJNSB_9not_fun_tINSB_14equal_to_valueItEEEEEEE10hipError_tPvRmT3_T4_T5_T6_T7_T9_mT8_P12ihipStream_tbDpT10_ENKUlT_T0_E_clISt17integral_constantIbLb1EES1A_IbLb0EEEEDaS16_S17_EUlS16_E_NS1_11comp_targetILNS1_3genE5ELNS1_11target_archE942ELNS1_3gpuE9ELNS1_3repE0EEENS1_30default_config_static_selectorELNS0_4arch9wavefront6targetE0EEEvT1_: ; @_ZN7rocprim17ROCPRIM_400000_NS6detail17trampoline_kernelINS0_14default_configENS1_25partition_config_selectorILNS1_17partition_subalgoE6EtNS0_10empty_typeEbEEZZNS1_14partition_implILS5_6ELb0ES3_mN6thrust23THRUST_200600_302600_NS6detail15normal_iteratorINSA_10device_ptrItEEEEPS6_SG_NS0_5tupleIJNSA_16discard_iteratorINSA_11use_defaultEEES6_EEENSH_IJSG_SG_EEES6_PlJNSB_9not_fun_tINSB_14equal_to_valueItEEEEEEE10hipError_tPvRmT3_T4_T5_T6_T7_T9_mT8_P12ihipStream_tbDpT10_ENKUlT_T0_E_clISt17integral_constantIbLb1EES1A_IbLb0EEEEDaS16_S17_EUlS16_E_NS1_11comp_targetILNS1_3genE5ELNS1_11target_archE942ELNS1_3gpuE9ELNS1_3repE0EEENS1_30default_config_static_selectorELNS0_4arch9wavefront6targetE0EEEvT1_
; %bb.0:
	.section	.rodata,"a",@progbits
	.p2align	6, 0x0
	.amdhsa_kernel _ZN7rocprim17ROCPRIM_400000_NS6detail17trampoline_kernelINS0_14default_configENS1_25partition_config_selectorILNS1_17partition_subalgoE6EtNS0_10empty_typeEbEEZZNS1_14partition_implILS5_6ELb0ES3_mN6thrust23THRUST_200600_302600_NS6detail15normal_iteratorINSA_10device_ptrItEEEEPS6_SG_NS0_5tupleIJNSA_16discard_iteratorINSA_11use_defaultEEES6_EEENSH_IJSG_SG_EEES6_PlJNSB_9not_fun_tINSB_14equal_to_valueItEEEEEEE10hipError_tPvRmT3_T4_T5_T6_T7_T9_mT8_P12ihipStream_tbDpT10_ENKUlT_T0_E_clISt17integral_constantIbLb1EES1A_IbLb0EEEEDaS16_S17_EUlS16_E_NS1_11comp_targetILNS1_3genE5ELNS1_11target_archE942ELNS1_3gpuE9ELNS1_3repE0EEENS1_30default_config_static_selectorELNS0_4arch9wavefront6targetE0EEEvT1_
		.amdhsa_group_segment_fixed_size 0
		.amdhsa_private_segment_fixed_size 0
		.amdhsa_kernarg_size 120
		.amdhsa_user_sgpr_count 2
		.amdhsa_user_sgpr_dispatch_ptr 0
		.amdhsa_user_sgpr_queue_ptr 0
		.amdhsa_user_sgpr_kernarg_segment_ptr 1
		.amdhsa_user_sgpr_dispatch_id 0
		.amdhsa_user_sgpr_private_segment_size 0
		.amdhsa_wavefront_size32 1
		.amdhsa_uses_dynamic_stack 0
		.amdhsa_enable_private_segment 0
		.amdhsa_system_sgpr_workgroup_id_x 1
		.amdhsa_system_sgpr_workgroup_id_y 0
		.amdhsa_system_sgpr_workgroup_id_z 0
		.amdhsa_system_sgpr_workgroup_info 0
		.amdhsa_system_vgpr_workitem_id 0
		.amdhsa_next_free_vgpr 1
		.amdhsa_next_free_sgpr 1
		.amdhsa_reserve_vcc 0
		.amdhsa_float_round_mode_32 0
		.amdhsa_float_round_mode_16_64 0
		.amdhsa_float_denorm_mode_32 3
		.amdhsa_float_denorm_mode_16_64 3
		.amdhsa_fp16_overflow 0
		.amdhsa_workgroup_processor_mode 1
		.amdhsa_memory_ordered 1
		.amdhsa_forward_progress 1
		.amdhsa_inst_pref_size 0
		.amdhsa_round_robin_scheduling 0
		.amdhsa_exception_fp_ieee_invalid_op 0
		.amdhsa_exception_fp_denorm_src 0
		.amdhsa_exception_fp_ieee_div_zero 0
		.amdhsa_exception_fp_ieee_overflow 0
		.amdhsa_exception_fp_ieee_underflow 0
		.amdhsa_exception_fp_ieee_inexact 0
		.amdhsa_exception_int_div_zero 0
	.end_amdhsa_kernel
	.section	.text._ZN7rocprim17ROCPRIM_400000_NS6detail17trampoline_kernelINS0_14default_configENS1_25partition_config_selectorILNS1_17partition_subalgoE6EtNS0_10empty_typeEbEEZZNS1_14partition_implILS5_6ELb0ES3_mN6thrust23THRUST_200600_302600_NS6detail15normal_iteratorINSA_10device_ptrItEEEEPS6_SG_NS0_5tupleIJNSA_16discard_iteratorINSA_11use_defaultEEES6_EEENSH_IJSG_SG_EEES6_PlJNSB_9not_fun_tINSB_14equal_to_valueItEEEEEEE10hipError_tPvRmT3_T4_T5_T6_T7_T9_mT8_P12ihipStream_tbDpT10_ENKUlT_T0_E_clISt17integral_constantIbLb1EES1A_IbLb0EEEEDaS16_S17_EUlS16_E_NS1_11comp_targetILNS1_3genE5ELNS1_11target_archE942ELNS1_3gpuE9ELNS1_3repE0EEENS1_30default_config_static_selectorELNS0_4arch9wavefront6targetE0EEEvT1_,"axG",@progbits,_ZN7rocprim17ROCPRIM_400000_NS6detail17trampoline_kernelINS0_14default_configENS1_25partition_config_selectorILNS1_17partition_subalgoE6EtNS0_10empty_typeEbEEZZNS1_14partition_implILS5_6ELb0ES3_mN6thrust23THRUST_200600_302600_NS6detail15normal_iteratorINSA_10device_ptrItEEEEPS6_SG_NS0_5tupleIJNSA_16discard_iteratorINSA_11use_defaultEEES6_EEENSH_IJSG_SG_EEES6_PlJNSB_9not_fun_tINSB_14equal_to_valueItEEEEEEE10hipError_tPvRmT3_T4_T5_T6_T7_T9_mT8_P12ihipStream_tbDpT10_ENKUlT_T0_E_clISt17integral_constantIbLb1EES1A_IbLb0EEEEDaS16_S17_EUlS16_E_NS1_11comp_targetILNS1_3genE5ELNS1_11target_archE942ELNS1_3gpuE9ELNS1_3repE0EEENS1_30default_config_static_selectorELNS0_4arch9wavefront6targetE0EEEvT1_,comdat
.Lfunc_end1710:
	.size	_ZN7rocprim17ROCPRIM_400000_NS6detail17trampoline_kernelINS0_14default_configENS1_25partition_config_selectorILNS1_17partition_subalgoE6EtNS0_10empty_typeEbEEZZNS1_14partition_implILS5_6ELb0ES3_mN6thrust23THRUST_200600_302600_NS6detail15normal_iteratorINSA_10device_ptrItEEEEPS6_SG_NS0_5tupleIJNSA_16discard_iteratorINSA_11use_defaultEEES6_EEENSH_IJSG_SG_EEES6_PlJNSB_9not_fun_tINSB_14equal_to_valueItEEEEEEE10hipError_tPvRmT3_T4_T5_T6_T7_T9_mT8_P12ihipStream_tbDpT10_ENKUlT_T0_E_clISt17integral_constantIbLb1EES1A_IbLb0EEEEDaS16_S17_EUlS16_E_NS1_11comp_targetILNS1_3genE5ELNS1_11target_archE942ELNS1_3gpuE9ELNS1_3repE0EEENS1_30default_config_static_selectorELNS0_4arch9wavefront6targetE0EEEvT1_, .Lfunc_end1710-_ZN7rocprim17ROCPRIM_400000_NS6detail17trampoline_kernelINS0_14default_configENS1_25partition_config_selectorILNS1_17partition_subalgoE6EtNS0_10empty_typeEbEEZZNS1_14partition_implILS5_6ELb0ES3_mN6thrust23THRUST_200600_302600_NS6detail15normal_iteratorINSA_10device_ptrItEEEEPS6_SG_NS0_5tupleIJNSA_16discard_iteratorINSA_11use_defaultEEES6_EEENSH_IJSG_SG_EEES6_PlJNSB_9not_fun_tINSB_14equal_to_valueItEEEEEEE10hipError_tPvRmT3_T4_T5_T6_T7_T9_mT8_P12ihipStream_tbDpT10_ENKUlT_T0_E_clISt17integral_constantIbLb1EES1A_IbLb0EEEEDaS16_S17_EUlS16_E_NS1_11comp_targetILNS1_3genE5ELNS1_11target_archE942ELNS1_3gpuE9ELNS1_3repE0EEENS1_30default_config_static_selectorELNS0_4arch9wavefront6targetE0EEEvT1_
                                        ; -- End function
	.set _ZN7rocprim17ROCPRIM_400000_NS6detail17trampoline_kernelINS0_14default_configENS1_25partition_config_selectorILNS1_17partition_subalgoE6EtNS0_10empty_typeEbEEZZNS1_14partition_implILS5_6ELb0ES3_mN6thrust23THRUST_200600_302600_NS6detail15normal_iteratorINSA_10device_ptrItEEEEPS6_SG_NS0_5tupleIJNSA_16discard_iteratorINSA_11use_defaultEEES6_EEENSH_IJSG_SG_EEES6_PlJNSB_9not_fun_tINSB_14equal_to_valueItEEEEEEE10hipError_tPvRmT3_T4_T5_T6_T7_T9_mT8_P12ihipStream_tbDpT10_ENKUlT_T0_E_clISt17integral_constantIbLb1EES1A_IbLb0EEEEDaS16_S17_EUlS16_E_NS1_11comp_targetILNS1_3genE5ELNS1_11target_archE942ELNS1_3gpuE9ELNS1_3repE0EEENS1_30default_config_static_selectorELNS0_4arch9wavefront6targetE0EEEvT1_.num_vgpr, 0
	.set _ZN7rocprim17ROCPRIM_400000_NS6detail17trampoline_kernelINS0_14default_configENS1_25partition_config_selectorILNS1_17partition_subalgoE6EtNS0_10empty_typeEbEEZZNS1_14partition_implILS5_6ELb0ES3_mN6thrust23THRUST_200600_302600_NS6detail15normal_iteratorINSA_10device_ptrItEEEEPS6_SG_NS0_5tupleIJNSA_16discard_iteratorINSA_11use_defaultEEES6_EEENSH_IJSG_SG_EEES6_PlJNSB_9not_fun_tINSB_14equal_to_valueItEEEEEEE10hipError_tPvRmT3_T4_T5_T6_T7_T9_mT8_P12ihipStream_tbDpT10_ENKUlT_T0_E_clISt17integral_constantIbLb1EES1A_IbLb0EEEEDaS16_S17_EUlS16_E_NS1_11comp_targetILNS1_3genE5ELNS1_11target_archE942ELNS1_3gpuE9ELNS1_3repE0EEENS1_30default_config_static_selectorELNS0_4arch9wavefront6targetE0EEEvT1_.num_agpr, 0
	.set _ZN7rocprim17ROCPRIM_400000_NS6detail17trampoline_kernelINS0_14default_configENS1_25partition_config_selectorILNS1_17partition_subalgoE6EtNS0_10empty_typeEbEEZZNS1_14partition_implILS5_6ELb0ES3_mN6thrust23THRUST_200600_302600_NS6detail15normal_iteratorINSA_10device_ptrItEEEEPS6_SG_NS0_5tupleIJNSA_16discard_iteratorINSA_11use_defaultEEES6_EEENSH_IJSG_SG_EEES6_PlJNSB_9not_fun_tINSB_14equal_to_valueItEEEEEEE10hipError_tPvRmT3_T4_T5_T6_T7_T9_mT8_P12ihipStream_tbDpT10_ENKUlT_T0_E_clISt17integral_constantIbLb1EES1A_IbLb0EEEEDaS16_S17_EUlS16_E_NS1_11comp_targetILNS1_3genE5ELNS1_11target_archE942ELNS1_3gpuE9ELNS1_3repE0EEENS1_30default_config_static_selectorELNS0_4arch9wavefront6targetE0EEEvT1_.numbered_sgpr, 0
	.set _ZN7rocprim17ROCPRIM_400000_NS6detail17trampoline_kernelINS0_14default_configENS1_25partition_config_selectorILNS1_17partition_subalgoE6EtNS0_10empty_typeEbEEZZNS1_14partition_implILS5_6ELb0ES3_mN6thrust23THRUST_200600_302600_NS6detail15normal_iteratorINSA_10device_ptrItEEEEPS6_SG_NS0_5tupleIJNSA_16discard_iteratorINSA_11use_defaultEEES6_EEENSH_IJSG_SG_EEES6_PlJNSB_9not_fun_tINSB_14equal_to_valueItEEEEEEE10hipError_tPvRmT3_T4_T5_T6_T7_T9_mT8_P12ihipStream_tbDpT10_ENKUlT_T0_E_clISt17integral_constantIbLb1EES1A_IbLb0EEEEDaS16_S17_EUlS16_E_NS1_11comp_targetILNS1_3genE5ELNS1_11target_archE942ELNS1_3gpuE9ELNS1_3repE0EEENS1_30default_config_static_selectorELNS0_4arch9wavefront6targetE0EEEvT1_.num_named_barrier, 0
	.set _ZN7rocprim17ROCPRIM_400000_NS6detail17trampoline_kernelINS0_14default_configENS1_25partition_config_selectorILNS1_17partition_subalgoE6EtNS0_10empty_typeEbEEZZNS1_14partition_implILS5_6ELb0ES3_mN6thrust23THRUST_200600_302600_NS6detail15normal_iteratorINSA_10device_ptrItEEEEPS6_SG_NS0_5tupleIJNSA_16discard_iteratorINSA_11use_defaultEEES6_EEENSH_IJSG_SG_EEES6_PlJNSB_9not_fun_tINSB_14equal_to_valueItEEEEEEE10hipError_tPvRmT3_T4_T5_T6_T7_T9_mT8_P12ihipStream_tbDpT10_ENKUlT_T0_E_clISt17integral_constantIbLb1EES1A_IbLb0EEEEDaS16_S17_EUlS16_E_NS1_11comp_targetILNS1_3genE5ELNS1_11target_archE942ELNS1_3gpuE9ELNS1_3repE0EEENS1_30default_config_static_selectorELNS0_4arch9wavefront6targetE0EEEvT1_.private_seg_size, 0
	.set _ZN7rocprim17ROCPRIM_400000_NS6detail17trampoline_kernelINS0_14default_configENS1_25partition_config_selectorILNS1_17partition_subalgoE6EtNS0_10empty_typeEbEEZZNS1_14partition_implILS5_6ELb0ES3_mN6thrust23THRUST_200600_302600_NS6detail15normal_iteratorINSA_10device_ptrItEEEEPS6_SG_NS0_5tupleIJNSA_16discard_iteratorINSA_11use_defaultEEES6_EEENSH_IJSG_SG_EEES6_PlJNSB_9not_fun_tINSB_14equal_to_valueItEEEEEEE10hipError_tPvRmT3_T4_T5_T6_T7_T9_mT8_P12ihipStream_tbDpT10_ENKUlT_T0_E_clISt17integral_constantIbLb1EES1A_IbLb0EEEEDaS16_S17_EUlS16_E_NS1_11comp_targetILNS1_3genE5ELNS1_11target_archE942ELNS1_3gpuE9ELNS1_3repE0EEENS1_30default_config_static_selectorELNS0_4arch9wavefront6targetE0EEEvT1_.uses_vcc, 0
	.set _ZN7rocprim17ROCPRIM_400000_NS6detail17trampoline_kernelINS0_14default_configENS1_25partition_config_selectorILNS1_17partition_subalgoE6EtNS0_10empty_typeEbEEZZNS1_14partition_implILS5_6ELb0ES3_mN6thrust23THRUST_200600_302600_NS6detail15normal_iteratorINSA_10device_ptrItEEEEPS6_SG_NS0_5tupleIJNSA_16discard_iteratorINSA_11use_defaultEEES6_EEENSH_IJSG_SG_EEES6_PlJNSB_9not_fun_tINSB_14equal_to_valueItEEEEEEE10hipError_tPvRmT3_T4_T5_T6_T7_T9_mT8_P12ihipStream_tbDpT10_ENKUlT_T0_E_clISt17integral_constantIbLb1EES1A_IbLb0EEEEDaS16_S17_EUlS16_E_NS1_11comp_targetILNS1_3genE5ELNS1_11target_archE942ELNS1_3gpuE9ELNS1_3repE0EEENS1_30default_config_static_selectorELNS0_4arch9wavefront6targetE0EEEvT1_.uses_flat_scratch, 0
	.set _ZN7rocprim17ROCPRIM_400000_NS6detail17trampoline_kernelINS0_14default_configENS1_25partition_config_selectorILNS1_17partition_subalgoE6EtNS0_10empty_typeEbEEZZNS1_14partition_implILS5_6ELb0ES3_mN6thrust23THRUST_200600_302600_NS6detail15normal_iteratorINSA_10device_ptrItEEEEPS6_SG_NS0_5tupleIJNSA_16discard_iteratorINSA_11use_defaultEEES6_EEENSH_IJSG_SG_EEES6_PlJNSB_9not_fun_tINSB_14equal_to_valueItEEEEEEE10hipError_tPvRmT3_T4_T5_T6_T7_T9_mT8_P12ihipStream_tbDpT10_ENKUlT_T0_E_clISt17integral_constantIbLb1EES1A_IbLb0EEEEDaS16_S17_EUlS16_E_NS1_11comp_targetILNS1_3genE5ELNS1_11target_archE942ELNS1_3gpuE9ELNS1_3repE0EEENS1_30default_config_static_selectorELNS0_4arch9wavefront6targetE0EEEvT1_.has_dyn_sized_stack, 0
	.set _ZN7rocprim17ROCPRIM_400000_NS6detail17trampoline_kernelINS0_14default_configENS1_25partition_config_selectorILNS1_17partition_subalgoE6EtNS0_10empty_typeEbEEZZNS1_14partition_implILS5_6ELb0ES3_mN6thrust23THRUST_200600_302600_NS6detail15normal_iteratorINSA_10device_ptrItEEEEPS6_SG_NS0_5tupleIJNSA_16discard_iteratorINSA_11use_defaultEEES6_EEENSH_IJSG_SG_EEES6_PlJNSB_9not_fun_tINSB_14equal_to_valueItEEEEEEE10hipError_tPvRmT3_T4_T5_T6_T7_T9_mT8_P12ihipStream_tbDpT10_ENKUlT_T0_E_clISt17integral_constantIbLb1EES1A_IbLb0EEEEDaS16_S17_EUlS16_E_NS1_11comp_targetILNS1_3genE5ELNS1_11target_archE942ELNS1_3gpuE9ELNS1_3repE0EEENS1_30default_config_static_selectorELNS0_4arch9wavefront6targetE0EEEvT1_.has_recursion, 0
	.set _ZN7rocprim17ROCPRIM_400000_NS6detail17trampoline_kernelINS0_14default_configENS1_25partition_config_selectorILNS1_17partition_subalgoE6EtNS0_10empty_typeEbEEZZNS1_14partition_implILS5_6ELb0ES3_mN6thrust23THRUST_200600_302600_NS6detail15normal_iteratorINSA_10device_ptrItEEEEPS6_SG_NS0_5tupleIJNSA_16discard_iteratorINSA_11use_defaultEEES6_EEENSH_IJSG_SG_EEES6_PlJNSB_9not_fun_tINSB_14equal_to_valueItEEEEEEE10hipError_tPvRmT3_T4_T5_T6_T7_T9_mT8_P12ihipStream_tbDpT10_ENKUlT_T0_E_clISt17integral_constantIbLb1EES1A_IbLb0EEEEDaS16_S17_EUlS16_E_NS1_11comp_targetILNS1_3genE5ELNS1_11target_archE942ELNS1_3gpuE9ELNS1_3repE0EEENS1_30default_config_static_selectorELNS0_4arch9wavefront6targetE0EEEvT1_.has_indirect_call, 0
	.section	.AMDGPU.csdata,"",@progbits
; Kernel info:
; codeLenInByte = 0
; TotalNumSgprs: 0
; NumVgprs: 0
; ScratchSize: 0
; MemoryBound: 0
; FloatMode: 240
; IeeeMode: 1
; LDSByteSize: 0 bytes/workgroup (compile time only)
; SGPRBlocks: 0
; VGPRBlocks: 0
; NumSGPRsForWavesPerEU: 1
; NumVGPRsForWavesPerEU: 1
; Occupancy: 16
; WaveLimiterHint : 0
; COMPUTE_PGM_RSRC2:SCRATCH_EN: 0
; COMPUTE_PGM_RSRC2:USER_SGPR: 2
; COMPUTE_PGM_RSRC2:TRAP_HANDLER: 0
; COMPUTE_PGM_RSRC2:TGID_X_EN: 1
; COMPUTE_PGM_RSRC2:TGID_Y_EN: 0
; COMPUTE_PGM_RSRC2:TGID_Z_EN: 0
; COMPUTE_PGM_RSRC2:TIDIG_COMP_CNT: 0
	.section	.text._ZN7rocprim17ROCPRIM_400000_NS6detail17trampoline_kernelINS0_14default_configENS1_25partition_config_selectorILNS1_17partition_subalgoE6EtNS0_10empty_typeEbEEZZNS1_14partition_implILS5_6ELb0ES3_mN6thrust23THRUST_200600_302600_NS6detail15normal_iteratorINSA_10device_ptrItEEEEPS6_SG_NS0_5tupleIJNSA_16discard_iteratorINSA_11use_defaultEEES6_EEENSH_IJSG_SG_EEES6_PlJNSB_9not_fun_tINSB_14equal_to_valueItEEEEEEE10hipError_tPvRmT3_T4_T5_T6_T7_T9_mT8_P12ihipStream_tbDpT10_ENKUlT_T0_E_clISt17integral_constantIbLb1EES1A_IbLb0EEEEDaS16_S17_EUlS16_E_NS1_11comp_targetILNS1_3genE4ELNS1_11target_archE910ELNS1_3gpuE8ELNS1_3repE0EEENS1_30default_config_static_selectorELNS0_4arch9wavefront6targetE0EEEvT1_,"axG",@progbits,_ZN7rocprim17ROCPRIM_400000_NS6detail17trampoline_kernelINS0_14default_configENS1_25partition_config_selectorILNS1_17partition_subalgoE6EtNS0_10empty_typeEbEEZZNS1_14partition_implILS5_6ELb0ES3_mN6thrust23THRUST_200600_302600_NS6detail15normal_iteratorINSA_10device_ptrItEEEEPS6_SG_NS0_5tupleIJNSA_16discard_iteratorINSA_11use_defaultEEES6_EEENSH_IJSG_SG_EEES6_PlJNSB_9not_fun_tINSB_14equal_to_valueItEEEEEEE10hipError_tPvRmT3_T4_T5_T6_T7_T9_mT8_P12ihipStream_tbDpT10_ENKUlT_T0_E_clISt17integral_constantIbLb1EES1A_IbLb0EEEEDaS16_S17_EUlS16_E_NS1_11comp_targetILNS1_3genE4ELNS1_11target_archE910ELNS1_3gpuE8ELNS1_3repE0EEENS1_30default_config_static_selectorELNS0_4arch9wavefront6targetE0EEEvT1_,comdat
	.protected	_ZN7rocprim17ROCPRIM_400000_NS6detail17trampoline_kernelINS0_14default_configENS1_25partition_config_selectorILNS1_17partition_subalgoE6EtNS0_10empty_typeEbEEZZNS1_14partition_implILS5_6ELb0ES3_mN6thrust23THRUST_200600_302600_NS6detail15normal_iteratorINSA_10device_ptrItEEEEPS6_SG_NS0_5tupleIJNSA_16discard_iteratorINSA_11use_defaultEEES6_EEENSH_IJSG_SG_EEES6_PlJNSB_9not_fun_tINSB_14equal_to_valueItEEEEEEE10hipError_tPvRmT3_T4_T5_T6_T7_T9_mT8_P12ihipStream_tbDpT10_ENKUlT_T0_E_clISt17integral_constantIbLb1EES1A_IbLb0EEEEDaS16_S17_EUlS16_E_NS1_11comp_targetILNS1_3genE4ELNS1_11target_archE910ELNS1_3gpuE8ELNS1_3repE0EEENS1_30default_config_static_selectorELNS0_4arch9wavefront6targetE0EEEvT1_ ; -- Begin function _ZN7rocprim17ROCPRIM_400000_NS6detail17trampoline_kernelINS0_14default_configENS1_25partition_config_selectorILNS1_17partition_subalgoE6EtNS0_10empty_typeEbEEZZNS1_14partition_implILS5_6ELb0ES3_mN6thrust23THRUST_200600_302600_NS6detail15normal_iteratorINSA_10device_ptrItEEEEPS6_SG_NS0_5tupleIJNSA_16discard_iteratorINSA_11use_defaultEEES6_EEENSH_IJSG_SG_EEES6_PlJNSB_9not_fun_tINSB_14equal_to_valueItEEEEEEE10hipError_tPvRmT3_T4_T5_T6_T7_T9_mT8_P12ihipStream_tbDpT10_ENKUlT_T0_E_clISt17integral_constantIbLb1EES1A_IbLb0EEEEDaS16_S17_EUlS16_E_NS1_11comp_targetILNS1_3genE4ELNS1_11target_archE910ELNS1_3gpuE8ELNS1_3repE0EEENS1_30default_config_static_selectorELNS0_4arch9wavefront6targetE0EEEvT1_
	.globl	_ZN7rocprim17ROCPRIM_400000_NS6detail17trampoline_kernelINS0_14default_configENS1_25partition_config_selectorILNS1_17partition_subalgoE6EtNS0_10empty_typeEbEEZZNS1_14partition_implILS5_6ELb0ES3_mN6thrust23THRUST_200600_302600_NS6detail15normal_iteratorINSA_10device_ptrItEEEEPS6_SG_NS0_5tupleIJNSA_16discard_iteratorINSA_11use_defaultEEES6_EEENSH_IJSG_SG_EEES6_PlJNSB_9not_fun_tINSB_14equal_to_valueItEEEEEEE10hipError_tPvRmT3_T4_T5_T6_T7_T9_mT8_P12ihipStream_tbDpT10_ENKUlT_T0_E_clISt17integral_constantIbLb1EES1A_IbLb0EEEEDaS16_S17_EUlS16_E_NS1_11comp_targetILNS1_3genE4ELNS1_11target_archE910ELNS1_3gpuE8ELNS1_3repE0EEENS1_30default_config_static_selectorELNS0_4arch9wavefront6targetE0EEEvT1_
	.p2align	8
	.type	_ZN7rocprim17ROCPRIM_400000_NS6detail17trampoline_kernelINS0_14default_configENS1_25partition_config_selectorILNS1_17partition_subalgoE6EtNS0_10empty_typeEbEEZZNS1_14partition_implILS5_6ELb0ES3_mN6thrust23THRUST_200600_302600_NS6detail15normal_iteratorINSA_10device_ptrItEEEEPS6_SG_NS0_5tupleIJNSA_16discard_iteratorINSA_11use_defaultEEES6_EEENSH_IJSG_SG_EEES6_PlJNSB_9not_fun_tINSB_14equal_to_valueItEEEEEEE10hipError_tPvRmT3_T4_T5_T6_T7_T9_mT8_P12ihipStream_tbDpT10_ENKUlT_T0_E_clISt17integral_constantIbLb1EES1A_IbLb0EEEEDaS16_S17_EUlS16_E_NS1_11comp_targetILNS1_3genE4ELNS1_11target_archE910ELNS1_3gpuE8ELNS1_3repE0EEENS1_30default_config_static_selectorELNS0_4arch9wavefront6targetE0EEEvT1_,@function
_ZN7rocprim17ROCPRIM_400000_NS6detail17trampoline_kernelINS0_14default_configENS1_25partition_config_selectorILNS1_17partition_subalgoE6EtNS0_10empty_typeEbEEZZNS1_14partition_implILS5_6ELb0ES3_mN6thrust23THRUST_200600_302600_NS6detail15normal_iteratorINSA_10device_ptrItEEEEPS6_SG_NS0_5tupleIJNSA_16discard_iteratorINSA_11use_defaultEEES6_EEENSH_IJSG_SG_EEES6_PlJNSB_9not_fun_tINSB_14equal_to_valueItEEEEEEE10hipError_tPvRmT3_T4_T5_T6_T7_T9_mT8_P12ihipStream_tbDpT10_ENKUlT_T0_E_clISt17integral_constantIbLb1EES1A_IbLb0EEEEDaS16_S17_EUlS16_E_NS1_11comp_targetILNS1_3genE4ELNS1_11target_archE910ELNS1_3gpuE8ELNS1_3repE0EEENS1_30default_config_static_selectorELNS0_4arch9wavefront6targetE0EEEvT1_: ; @_ZN7rocprim17ROCPRIM_400000_NS6detail17trampoline_kernelINS0_14default_configENS1_25partition_config_selectorILNS1_17partition_subalgoE6EtNS0_10empty_typeEbEEZZNS1_14partition_implILS5_6ELb0ES3_mN6thrust23THRUST_200600_302600_NS6detail15normal_iteratorINSA_10device_ptrItEEEEPS6_SG_NS0_5tupleIJNSA_16discard_iteratorINSA_11use_defaultEEES6_EEENSH_IJSG_SG_EEES6_PlJNSB_9not_fun_tINSB_14equal_to_valueItEEEEEEE10hipError_tPvRmT3_T4_T5_T6_T7_T9_mT8_P12ihipStream_tbDpT10_ENKUlT_T0_E_clISt17integral_constantIbLb1EES1A_IbLb0EEEEDaS16_S17_EUlS16_E_NS1_11comp_targetILNS1_3genE4ELNS1_11target_archE910ELNS1_3gpuE8ELNS1_3repE0EEENS1_30default_config_static_selectorELNS0_4arch9wavefront6targetE0EEEvT1_
; %bb.0:
	.section	.rodata,"a",@progbits
	.p2align	6, 0x0
	.amdhsa_kernel _ZN7rocprim17ROCPRIM_400000_NS6detail17trampoline_kernelINS0_14default_configENS1_25partition_config_selectorILNS1_17partition_subalgoE6EtNS0_10empty_typeEbEEZZNS1_14partition_implILS5_6ELb0ES3_mN6thrust23THRUST_200600_302600_NS6detail15normal_iteratorINSA_10device_ptrItEEEEPS6_SG_NS0_5tupleIJNSA_16discard_iteratorINSA_11use_defaultEEES6_EEENSH_IJSG_SG_EEES6_PlJNSB_9not_fun_tINSB_14equal_to_valueItEEEEEEE10hipError_tPvRmT3_T4_T5_T6_T7_T9_mT8_P12ihipStream_tbDpT10_ENKUlT_T0_E_clISt17integral_constantIbLb1EES1A_IbLb0EEEEDaS16_S17_EUlS16_E_NS1_11comp_targetILNS1_3genE4ELNS1_11target_archE910ELNS1_3gpuE8ELNS1_3repE0EEENS1_30default_config_static_selectorELNS0_4arch9wavefront6targetE0EEEvT1_
		.amdhsa_group_segment_fixed_size 0
		.amdhsa_private_segment_fixed_size 0
		.amdhsa_kernarg_size 120
		.amdhsa_user_sgpr_count 2
		.amdhsa_user_sgpr_dispatch_ptr 0
		.amdhsa_user_sgpr_queue_ptr 0
		.amdhsa_user_sgpr_kernarg_segment_ptr 1
		.amdhsa_user_sgpr_dispatch_id 0
		.amdhsa_user_sgpr_private_segment_size 0
		.amdhsa_wavefront_size32 1
		.amdhsa_uses_dynamic_stack 0
		.amdhsa_enable_private_segment 0
		.amdhsa_system_sgpr_workgroup_id_x 1
		.amdhsa_system_sgpr_workgroup_id_y 0
		.amdhsa_system_sgpr_workgroup_id_z 0
		.amdhsa_system_sgpr_workgroup_info 0
		.amdhsa_system_vgpr_workitem_id 0
		.amdhsa_next_free_vgpr 1
		.amdhsa_next_free_sgpr 1
		.amdhsa_reserve_vcc 0
		.amdhsa_float_round_mode_32 0
		.amdhsa_float_round_mode_16_64 0
		.amdhsa_float_denorm_mode_32 3
		.amdhsa_float_denorm_mode_16_64 3
		.amdhsa_fp16_overflow 0
		.amdhsa_workgroup_processor_mode 1
		.amdhsa_memory_ordered 1
		.amdhsa_forward_progress 1
		.amdhsa_inst_pref_size 0
		.amdhsa_round_robin_scheduling 0
		.amdhsa_exception_fp_ieee_invalid_op 0
		.amdhsa_exception_fp_denorm_src 0
		.amdhsa_exception_fp_ieee_div_zero 0
		.amdhsa_exception_fp_ieee_overflow 0
		.amdhsa_exception_fp_ieee_underflow 0
		.amdhsa_exception_fp_ieee_inexact 0
		.amdhsa_exception_int_div_zero 0
	.end_amdhsa_kernel
	.section	.text._ZN7rocprim17ROCPRIM_400000_NS6detail17trampoline_kernelINS0_14default_configENS1_25partition_config_selectorILNS1_17partition_subalgoE6EtNS0_10empty_typeEbEEZZNS1_14partition_implILS5_6ELb0ES3_mN6thrust23THRUST_200600_302600_NS6detail15normal_iteratorINSA_10device_ptrItEEEEPS6_SG_NS0_5tupleIJNSA_16discard_iteratorINSA_11use_defaultEEES6_EEENSH_IJSG_SG_EEES6_PlJNSB_9not_fun_tINSB_14equal_to_valueItEEEEEEE10hipError_tPvRmT3_T4_T5_T6_T7_T9_mT8_P12ihipStream_tbDpT10_ENKUlT_T0_E_clISt17integral_constantIbLb1EES1A_IbLb0EEEEDaS16_S17_EUlS16_E_NS1_11comp_targetILNS1_3genE4ELNS1_11target_archE910ELNS1_3gpuE8ELNS1_3repE0EEENS1_30default_config_static_selectorELNS0_4arch9wavefront6targetE0EEEvT1_,"axG",@progbits,_ZN7rocprim17ROCPRIM_400000_NS6detail17trampoline_kernelINS0_14default_configENS1_25partition_config_selectorILNS1_17partition_subalgoE6EtNS0_10empty_typeEbEEZZNS1_14partition_implILS5_6ELb0ES3_mN6thrust23THRUST_200600_302600_NS6detail15normal_iteratorINSA_10device_ptrItEEEEPS6_SG_NS0_5tupleIJNSA_16discard_iteratorINSA_11use_defaultEEES6_EEENSH_IJSG_SG_EEES6_PlJNSB_9not_fun_tINSB_14equal_to_valueItEEEEEEE10hipError_tPvRmT3_T4_T5_T6_T7_T9_mT8_P12ihipStream_tbDpT10_ENKUlT_T0_E_clISt17integral_constantIbLb1EES1A_IbLb0EEEEDaS16_S17_EUlS16_E_NS1_11comp_targetILNS1_3genE4ELNS1_11target_archE910ELNS1_3gpuE8ELNS1_3repE0EEENS1_30default_config_static_selectorELNS0_4arch9wavefront6targetE0EEEvT1_,comdat
.Lfunc_end1711:
	.size	_ZN7rocprim17ROCPRIM_400000_NS6detail17trampoline_kernelINS0_14default_configENS1_25partition_config_selectorILNS1_17partition_subalgoE6EtNS0_10empty_typeEbEEZZNS1_14partition_implILS5_6ELb0ES3_mN6thrust23THRUST_200600_302600_NS6detail15normal_iteratorINSA_10device_ptrItEEEEPS6_SG_NS0_5tupleIJNSA_16discard_iteratorINSA_11use_defaultEEES6_EEENSH_IJSG_SG_EEES6_PlJNSB_9not_fun_tINSB_14equal_to_valueItEEEEEEE10hipError_tPvRmT3_T4_T5_T6_T7_T9_mT8_P12ihipStream_tbDpT10_ENKUlT_T0_E_clISt17integral_constantIbLb1EES1A_IbLb0EEEEDaS16_S17_EUlS16_E_NS1_11comp_targetILNS1_3genE4ELNS1_11target_archE910ELNS1_3gpuE8ELNS1_3repE0EEENS1_30default_config_static_selectorELNS0_4arch9wavefront6targetE0EEEvT1_, .Lfunc_end1711-_ZN7rocprim17ROCPRIM_400000_NS6detail17trampoline_kernelINS0_14default_configENS1_25partition_config_selectorILNS1_17partition_subalgoE6EtNS0_10empty_typeEbEEZZNS1_14partition_implILS5_6ELb0ES3_mN6thrust23THRUST_200600_302600_NS6detail15normal_iteratorINSA_10device_ptrItEEEEPS6_SG_NS0_5tupleIJNSA_16discard_iteratorINSA_11use_defaultEEES6_EEENSH_IJSG_SG_EEES6_PlJNSB_9not_fun_tINSB_14equal_to_valueItEEEEEEE10hipError_tPvRmT3_T4_T5_T6_T7_T9_mT8_P12ihipStream_tbDpT10_ENKUlT_T0_E_clISt17integral_constantIbLb1EES1A_IbLb0EEEEDaS16_S17_EUlS16_E_NS1_11comp_targetILNS1_3genE4ELNS1_11target_archE910ELNS1_3gpuE8ELNS1_3repE0EEENS1_30default_config_static_selectorELNS0_4arch9wavefront6targetE0EEEvT1_
                                        ; -- End function
	.set _ZN7rocprim17ROCPRIM_400000_NS6detail17trampoline_kernelINS0_14default_configENS1_25partition_config_selectorILNS1_17partition_subalgoE6EtNS0_10empty_typeEbEEZZNS1_14partition_implILS5_6ELb0ES3_mN6thrust23THRUST_200600_302600_NS6detail15normal_iteratorINSA_10device_ptrItEEEEPS6_SG_NS0_5tupleIJNSA_16discard_iteratorINSA_11use_defaultEEES6_EEENSH_IJSG_SG_EEES6_PlJNSB_9not_fun_tINSB_14equal_to_valueItEEEEEEE10hipError_tPvRmT3_T4_T5_T6_T7_T9_mT8_P12ihipStream_tbDpT10_ENKUlT_T0_E_clISt17integral_constantIbLb1EES1A_IbLb0EEEEDaS16_S17_EUlS16_E_NS1_11comp_targetILNS1_3genE4ELNS1_11target_archE910ELNS1_3gpuE8ELNS1_3repE0EEENS1_30default_config_static_selectorELNS0_4arch9wavefront6targetE0EEEvT1_.num_vgpr, 0
	.set _ZN7rocprim17ROCPRIM_400000_NS6detail17trampoline_kernelINS0_14default_configENS1_25partition_config_selectorILNS1_17partition_subalgoE6EtNS0_10empty_typeEbEEZZNS1_14partition_implILS5_6ELb0ES3_mN6thrust23THRUST_200600_302600_NS6detail15normal_iteratorINSA_10device_ptrItEEEEPS6_SG_NS0_5tupleIJNSA_16discard_iteratorINSA_11use_defaultEEES6_EEENSH_IJSG_SG_EEES6_PlJNSB_9not_fun_tINSB_14equal_to_valueItEEEEEEE10hipError_tPvRmT3_T4_T5_T6_T7_T9_mT8_P12ihipStream_tbDpT10_ENKUlT_T0_E_clISt17integral_constantIbLb1EES1A_IbLb0EEEEDaS16_S17_EUlS16_E_NS1_11comp_targetILNS1_3genE4ELNS1_11target_archE910ELNS1_3gpuE8ELNS1_3repE0EEENS1_30default_config_static_selectorELNS0_4arch9wavefront6targetE0EEEvT1_.num_agpr, 0
	.set _ZN7rocprim17ROCPRIM_400000_NS6detail17trampoline_kernelINS0_14default_configENS1_25partition_config_selectorILNS1_17partition_subalgoE6EtNS0_10empty_typeEbEEZZNS1_14partition_implILS5_6ELb0ES3_mN6thrust23THRUST_200600_302600_NS6detail15normal_iteratorINSA_10device_ptrItEEEEPS6_SG_NS0_5tupleIJNSA_16discard_iteratorINSA_11use_defaultEEES6_EEENSH_IJSG_SG_EEES6_PlJNSB_9not_fun_tINSB_14equal_to_valueItEEEEEEE10hipError_tPvRmT3_T4_T5_T6_T7_T9_mT8_P12ihipStream_tbDpT10_ENKUlT_T0_E_clISt17integral_constantIbLb1EES1A_IbLb0EEEEDaS16_S17_EUlS16_E_NS1_11comp_targetILNS1_3genE4ELNS1_11target_archE910ELNS1_3gpuE8ELNS1_3repE0EEENS1_30default_config_static_selectorELNS0_4arch9wavefront6targetE0EEEvT1_.numbered_sgpr, 0
	.set _ZN7rocprim17ROCPRIM_400000_NS6detail17trampoline_kernelINS0_14default_configENS1_25partition_config_selectorILNS1_17partition_subalgoE6EtNS0_10empty_typeEbEEZZNS1_14partition_implILS5_6ELb0ES3_mN6thrust23THRUST_200600_302600_NS6detail15normal_iteratorINSA_10device_ptrItEEEEPS6_SG_NS0_5tupleIJNSA_16discard_iteratorINSA_11use_defaultEEES6_EEENSH_IJSG_SG_EEES6_PlJNSB_9not_fun_tINSB_14equal_to_valueItEEEEEEE10hipError_tPvRmT3_T4_T5_T6_T7_T9_mT8_P12ihipStream_tbDpT10_ENKUlT_T0_E_clISt17integral_constantIbLb1EES1A_IbLb0EEEEDaS16_S17_EUlS16_E_NS1_11comp_targetILNS1_3genE4ELNS1_11target_archE910ELNS1_3gpuE8ELNS1_3repE0EEENS1_30default_config_static_selectorELNS0_4arch9wavefront6targetE0EEEvT1_.num_named_barrier, 0
	.set _ZN7rocprim17ROCPRIM_400000_NS6detail17trampoline_kernelINS0_14default_configENS1_25partition_config_selectorILNS1_17partition_subalgoE6EtNS0_10empty_typeEbEEZZNS1_14partition_implILS5_6ELb0ES3_mN6thrust23THRUST_200600_302600_NS6detail15normal_iteratorINSA_10device_ptrItEEEEPS6_SG_NS0_5tupleIJNSA_16discard_iteratorINSA_11use_defaultEEES6_EEENSH_IJSG_SG_EEES6_PlJNSB_9not_fun_tINSB_14equal_to_valueItEEEEEEE10hipError_tPvRmT3_T4_T5_T6_T7_T9_mT8_P12ihipStream_tbDpT10_ENKUlT_T0_E_clISt17integral_constantIbLb1EES1A_IbLb0EEEEDaS16_S17_EUlS16_E_NS1_11comp_targetILNS1_3genE4ELNS1_11target_archE910ELNS1_3gpuE8ELNS1_3repE0EEENS1_30default_config_static_selectorELNS0_4arch9wavefront6targetE0EEEvT1_.private_seg_size, 0
	.set _ZN7rocprim17ROCPRIM_400000_NS6detail17trampoline_kernelINS0_14default_configENS1_25partition_config_selectorILNS1_17partition_subalgoE6EtNS0_10empty_typeEbEEZZNS1_14partition_implILS5_6ELb0ES3_mN6thrust23THRUST_200600_302600_NS6detail15normal_iteratorINSA_10device_ptrItEEEEPS6_SG_NS0_5tupleIJNSA_16discard_iteratorINSA_11use_defaultEEES6_EEENSH_IJSG_SG_EEES6_PlJNSB_9not_fun_tINSB_14equal_to_valueItEEEEEEE10hipError_tPvRmT3_T4_T5_T6_T7_T9_mT8_P12ihipStream_tbDpT10_ENKUlT_T0_E_clISt17integral_constantIbLb1EES1A_IbLb0EEEEDaS16_S17_EUlS16_E_NS1_11comp_targetILNS1_3genE4ELNS1_11target_archE910ELNS1_3gpuE8ELNS1_3repE0EEENS1_30default_config_static_selectorELNS0_4arch9wavefront6targetE0EEEvT1_.uses_vcc, 0
	.set _ZN7rocprim17ROCPRIM_400000_NS6detail17trampoline_kernelINS0_14default_configENS1_25partition_config_selectorILNS1_17partition_subalgoE6EtNS0_10empty_typeEbEEZZNS1_14partition_implILS5_6ELb0ES3_mN6thrust23THRUST_200600_302600_NS6detail15normal_iteratorINSA_10device_ptrItEEEEPS6_SG_NS0_5tupleIJNSA_16discard_iteratorINSA_11use_defaultEEES6_EEENSH_IJSG_SG_EEES6_PlJNSB_9not_fun_tINSB_14equal_to_valueItEEEEEEE10hipError_tPvRmT3_T4_T5_T6_T7_T9_mT8_P12ihipStream_tbDpT10_ENKUlT_T0_E_clISt17integral_constantIbLb1EES1A_IbLb0EEEEDaS16_S17_EUlS16_E_NS1_11comp_targetILNS1_3genE4ELNS1_11target_archE910ELNS1_3gpuE8ELNS1_3repE0EEENS1_30default_config_static_selectorELNS0_4arch9wavefront6targetE0EEEvT1_.uses_flat_scratch, 0
	.set _ZN7rocprim17ROCPRIM_400000_NS6detail17trampoline_kernelINS0_14default_configENS1_25partition_config_selectorILNS1_17partition_subalgoE6EtNS0_10empty_typeEbEEZZNS1_14partition_implILS5_6ELb0ES3_mN6thrust23THRUST_200600_302600_NS6detail15normal_iteratorINSA_10device_ptrItEEEEPS6_SG_NS0_5tupleIJNSA_16discard_iteratorINSA_11use_defaultEEES6_EEENSH_IJSG_SG_EEES6_PlJNSB_9not_fun_tINSB_14equal_to_valueItEEEEEEE10hipError_tPvRmT3_T4_T5_T6_T7_T9_mT8_P12ihipStream_tbDpT10_ENKUlT_T0_E_clISt17integral_constantIbLb1EES1A_IbLb0EEEEDaS16_S17_EUlS16_E_NS1_11comp_targetILNS1_3genE4ELNS1_11target_archE910ELNS1_3gpuE8ELNS1_3repE0EEENS1_30default_config_static_selectorELNS0_4arch9wavefront6targetE0EEEvT1_.has_dyn_sized_stack, 0
	.set _ZN7rocprim17ROCPRIM_400000_NS6detail17trampoline_kernelINS0_14default_configENS1_25partition_config_selectorILNS1_17partition_subalgoE6EtNS0_10empty_typeEbEEZZNS1_14partition_implILS5_6ELb0ES3_mN6thrust23THRUST_200600_302600_NS6detail15normal_iteratorINSA_10device_ptrItEEEEPS6_SG_NS0_5tupleIJNSA_16discard_iteratorINSA_11use_defaultEEES6_EEENSH_IJSG_SG_EEES6_PlJNSB_9not_fun_tINSB_14equal_to_valueItEEEEEEE10hipError_tPvRmT3_T4_T5_T6_T7_T9_mT8_P12ihipStream_tbDpT10_ENKUlT_T0_E_clISt17integral_constantIbLb1EES1A_IbLb0EEEEDaS16_S17_EUlS16_E_NS1_11comp_targetILNS1_3genE4ELNS1_11target_archE910ELNS1_3gpuE8ELNS1_3repE0EEENS1_30default_config_static_selectorELNS0_4arch9wavefront6targetE0EEEvT1_.has_recursion, 0
	.set _ZN7rocprim17ROCPRIM_400000_NS6detail17trampoline_kernelINS0_14default_configENS1_25partition_config_selectorILNS1_17partition_subalgoE6EtNS0_10empty_typeEbEEZZNS1_14partition_implILS5_6ELb0ES3_mN6thrust23THRUST_200600_302600_NS6detail15normal_iteratorINSA_10device_ptrItEEEEPS6_SG_NS0_5tupleIJNSA_16discard_iteratorINSA_11use_defaultEEES6_EEENSH_IJSG_SG_EEES6_PlJNSB_9not_fun_tINSB_14equal_to_valueItEEEEEEE10hipError_tPvRmT3_T4_T5_T6_T7_T9_mT8_P12ihipStream_tbDpT10_ENKUlT_T0_E_clISt17integral_constantIbLb1EES1A_IbLb0EEEEDaS16_S17_EUlS16_E_NS1_11comp_targetILNS1_3genE4ELNS1_11target_archE910ELNS1_3gpuE8ELNS1_3repE0EEENS1_30default_config_static_selectorELNS0_4arch9wavefront6targetE0EEEvT1_.has_indirect_call, 0
	.section	.AMDGPU.csdata,"",@progbits
; Kernel info:
; codeLenInByte = 0
; TotalNumSgprs: 0
; NumVgprs: 0
; ScratchSize: 0
; MemoryBound: 0
; FloatMode: 240
; IeeeMode: 1
; LDSByteSize: 0 bytes/workgroup (compile time only)
; SGPRBlocks: 0
; VGPRBlocks: 0
; NumSGPRsForWavesPerEU: 1
; NumVGPRsForWavesPerEU: 1
; Occupancy: 16
; WaveLimiterHint : 0
; COMPUTE_PGM_RSRC2:SCRATCH_EN: 0
; COMPUTE_PGM_RSRC2:USER_SGPR: 2
; COMPUTE_PGM_RSRC2:TRAP_HANDLER: 0
; COMPUTE_PGM_RSRC2:TGID_X_EN: 1
; COMPUTE_PGM_RSRC2:TGID_Y_EN: 0
; COMPUTE_PGM_RSRC2:TGID_Z_EN: 0
; COMPUTE_PGM_RSRC2:TIDIG_COMP_CNT: 0
	.section	.text._ZN7rocprim17ROCPRIM_400000_NS6detail17trampoline_kernelINS0_14default_configENS1_25partition_config_selectorILNS1_17partition_subalgoE6EtNS0_10empty_typeEbEEZZNS1_14partition_implILS5_6ELb0ES3_mN6thrust23THRUST_200600_302600_NS6detail15normal_iteratorINSA_10device_ptrItEEEEPS6_SG_NS0_5tupleIJNSA_16discard_iteratorINSA_11use_defaultEEES6_EEENSH_IJSG_SG_EEES6_PlJNSB_9not_fun_tINSB_14equal_to_valueItEEEEEEE10hipError_tPvRmT3_T4_T5_T6_T7_T9_mT8_P12ihipStream_tbDpT10_ENKUlT_T0_E_clISt17integral_constantIbLb1EES1A_IbLb0EEEEDaS16_S17_EUlS16_E_NS1_11comp_targetILNS1_3genE3ELNS1_11target_archE908ELNS1_3gpuE7ELNS1_3repE0EEENS1_30default_config_static_selectorELNS0_4arch9wavefront6targetE0EEEvT1_,"axG",@progbits,_ZN7rocprim17ROCPRIM_400000_NS6detail17trampoline_kernelINS0_14default_configENS1_25partition_config_selectorILNS1_17partition_subalgoE6EtNS0_10empty_typeEbEEZZNS1_14partition_implILS5_6ELb0ES3_mN6thrust23THRUST_200600_302600_NS6detail15normal_iteratorINSA_10device_ptrItEEEEPS6_SG_NS0_5tupleIJNSA_16discard_iteratorINSA_11use_defaultEEES6_EEENSH_IJSG_SG_EEES6_PlJNSB_9not_fun_tINSB_14equal_to_valueItEEEEEEE10hipError_tPvRmT3_T4_T5_T6_T7_T9_mT8_P12ihipStream_tbDpT10_ENKUlT_T0_E_clISt17integral_constantIbLb1EES1A_IbLb0EEEEDaS16_S17_EUlS16_E_NS1_11comp_targetILNS1_3genE3ELNS1_11target_archE908ELNS1_3gpuE7ELNS1_3repE0EEENS1_30default_config_static_selectorELNS0_4arch9wavefront6targetE0EEEvT1_,comdat
	.protected	_ZN7rocprim17ROCPRIM_400000_NS6detail17trampoline_kernelINS0_14default_configENS1_25partition_config_selectorILNS1_17partition_subalgoE6EtNS0_10empty_typeEbEEZZNS1_14partition_implILS5_6ELb0ES3_mN6thrust23THRUST_200600_302600_NS6detail15normal_iteratorINSA_10device_ptrItEEEEPS6_SG_NS0_5tupleIJNSA_16discard_iteratorINSA_11use_defaultEEES6_EEENSH_IJSG_SG_EEES6_PlJNSB_9not_fun_tINSB_14equal_to_valueItEEEEEEE10hipError_tPvRmT3_T4_T5_T6_T7_T9_mT8_P12ihipStream_tbDpT10_ENKUlT_T0_E_clISt17integral_constantIbLb1EES1A_IbLb0EEEEDaS16_S17_EUlS16_E_NS1_11comp_targetILNS1_3genE3ELNS1_11target_archE908ELNS1_3gpuE7ELNS1_3repE0EEENS1_30default_config_static_selectorELNS0_4arch9wavefront6targetE0EEEvT1_ ; -- Begin function _ZN7rocprim17ROCPRIM_400000_NS6detail17trampoline_kernelINS0_14default_configENS1_25partition_config_selectorILNS1_17partition_subalgoE6EtNS0_10empty_typeEbEEZZNS1_14partition_implILS5_6ELb0ES3_mN6thrust23THRUST_200600_302600_NS6detail15normal_iteratorINSA_10device_ptrItEEEEPS6_SG_NS0_5tupleIJNSA_16discard_iteratorINSA_11use_defaultEEES6_EEENSH_IJSG_SG_EEES6_PlJNSB_9not_fun_tINSB_14equal_to_valueItEEEEEEE10hipError_tPvRmT3_T4_T5_T6_T7_T9_mT8_P12ihipStream_tbDpT10_ENKUlT_T0_E_clISt17integral_constantIbLb1EES1A_IbLb0EEEEDaS16_S17_EUlS16_E_NS1_11comp_targetILNS1_3genE3ELNS1_11target_archE908ELNS1_3gpuE7ELNS1_3repE0EEENS1_30default_config_static_selectorELNS0_4arch9wavefront6targetE0EEEvT1_
	.globl	_ZN7rocprim17ROCPRIM_400000_NS6detail17trampoline_kernelINS0_14default_configENS1_25partition_config_selectorILNS1_17partition_subalgoE6EtNS0_10empty_typeEbEEZZNS1_14partition_implILS5_6ELb0ES3_mN6thrust23THRUST_200600_302600_NS6detail15normal_iteratorINSA_10device_ptrItEEEEPS6_SG_NS0_5tupleIJNSA_16discard_iteratorINSA_11use_defaultEEES6_EEENSH_IJSG_SG_EEES6_PlJNSB_9not_fun_tINSB_14equal_to_valueItEEEEEEE10hipError_tPvRmT3_T4_T5_T6_T7_T9_mT8_P12ihipStream_tbDpT10_ENKUlT_T0_E_clISt17integral_constantIbLb1EES1A_IbLb0EEEEDaS16_S17_EUlS16_E_NS1_11comp_targetILNS1_3genE3ELNS1_11target_archE908ELNS1_3gpuE7ELNS1_3repE0EEENS1_30default_config_static_selectorELNS0_4arch9wavefront6targetE0EEEvT1_
	.p2align	8
	.type	_ZN7rocprim17ROCPRIM_400000_NS6detail17trampoline_kernelINS0_14default_configENS1_25partition_config_selectorILNS1_17partition_subalgoE6EtNS0_10empty_typeEbEEZZNS1_14partition_implILS5_6ELb0ES3_mN6thrust23THRUST_200600_302600_NS6detail15normal_iteratorINSA_10device_ptrItEEEEPS6_SG_NS0_5tupleIJNSA_16discard_iteratorINSA_11use_defaultEEES6_EEENSH_IJSG_SG_EEES6_PlJNSB_9not_fun_tINSB_14equal_to_valueItEEEEEEE10hipError_tPvRmT3_T4_T5_T6_T7_T9_mT8_P12ihipStream_tbDpT10_ENKUlT_T0_E_clISt17integral_constantIbLb1EES1A_IbLb0EEEEDaS16_S17_EUlS16_E_NS1_11comp_targetILNS1_3genE3ELNS1_11target_archE908ELNS1_3gpuE7ELNS1_3repE0EEENS1_30default_config_static_selectorELNS0_4arch9wavefront6targetE0EEEvT1_,@function
_ZN7rocprim17ROCPRIM_400000_NS6detail17trampoline_kernelINS0_14default_configENS1_25partition_config_selectorILNS1_17partition_subalgoE6EtNS0_10empty_typeEbEEZZNS1_14partition_implILS5_6ELb0ES3_mN6thrust23THRUST_200600_302600_NS6detail15normal_iteratorINSA_10device_ptrItEEEEPS6_SG_NS0_5tupleIJNSA_16discard_iteratorINSA_11use_defaultEEES6_EEENSH_IJSG_SG_EEES6_PlJNSB_9not_fun_tINSB_14equal_to_valueItEEEEEEE10hipError_tPvRmT3_T4_T5_T6_T7_T9_mT8_P12ihipStream_tbDpT10_ENKUlT_T0_E_clISt17integral_constantIbLb1EES1A_IbLb0EEEEDaS16_S17_EUlS16_E_NS1_11comp_targetILNS1_3genE3ELNS1_11target_archE908ELNS1_3gpuE7ELNS1_3repE0EEENS1_30default_config_static_selectorELNS0_4arch9wavefront6targetE0EEEvT1_: ; @_ZN7rocprim17ROCPRIM_400000_NS6detail17trampoline_kernelINS0_14default_configENS1_25partition_config_selectorILNS1_17partition_subalgoE6EtNS0_10empty_typeEbEEZZNS1_14partition_implILS5_6ELb0ES3_mN6thrust23THRUST_200600_302600_NS6detail15normal_iteratorINSA_10device_ptrItEEEEPS6_SG_NS0_5tupleIJNSA_16discard_iteratorINSA_11use_defaultEEES6_EEENSH_IJSG_SG_EEES6_PlJNSB_9not_fun_tINSB_14equal_to_valueItEEEEEEE10hipError_tPvRmT3_T4_T5_T6_T7_T9_mT8_P12ihipStream_tbDpT10_ENKUlT_T0_E_clISt17integral_constantIbLb1EES1A_IbLb0EEEEDaS16_S17_EUlS16_E_NS1_11comp_targetILNS1_3genE3ELNS1_11target_archE908ELNS1_3gpuE7ELNS1_3repE0EEENS1_30default_config_static_selectorELNS0_4arch9wavefront6targetE0EEEvT1_
; %bb.0:
	.section	.rodata,"a",@progbits
	.p2align	6, 0x0
	.amdhsa_kernel _ZN7rocprim17ROCPRIM_400000_NS6detail17trampoline_kernelINS0_14default_configENS1_25partition_config_selectorILNS1_17partition_subalgoE6EtNS0_10empty_typeEbEEZZNS1_14partition_implILS5_6ELb0ES3_mN6thrust23THRUST_200600_302600_NS6detail15normal_iteratorINSA_10device_ptrItEEEEPS6_SG_NS0_5tupleIJNSA_16discard_iteratorINSA_11use_defaultEEES6_EEENSH_IJSG_SG_EEES6_PlJNSB_9not_fun_tINSB_14equal_to_valueItEEEEEEE10hipError_tPvRmT3_T4_T5_T6_T7_T9_mT8_P12ihipStream_tbDpT10_ENKUlT_T0_E_clISt17integral_constantIbLb1EES1A_IbLb0EEEEDaS16_S17_EUlS16_E_NS1_11comp_targetILNS1_3genE3ELNS1_11target_archE908ELNS1_3gpuE7ELNS1_3repE0EEENS1_30default_config_static_selectorELNS0_4arch9wavefront6targetE0EEEvT1_
		.amdhsa_group_segment_fixed_size 0
		.amdhsa_private_segment_fixed_size 0
		.amdhsa_kernarg_size 120
		.amdhsa_user_sgpr_count 2
		.amdhsa_user_sgpr_dispatch_ptr 0
		.amdhsa_user_sgpr_queue_ptr 0
		.amdhsa_user_sgpr_kernarg_segment_ptr 1
		.amdhsa_user_sgpr_dispatch_id 0
		.amdhsa_user_sgpr_private_segment_size 0
		.amdhsa_wavefront_size32 1
		.amdhsa_uses_dynamic_stack 0
		.amdhsa_enable_private_segment 0
		.amdhsa_system_sgpr_workgroup_id_x 1
		.amdhsa_system_sgpr_workgroup_id_y 0
		.amdhsa_system_sgpr_workgroup_id_z 0
		.amdhsa_system_sgpr_workgroup_info 0
		.amdhsa_system_vgpr_workitem_id 0
		.amdhsa_next_free_vgpr 1
		.amdhsa_next_free_sgpr 1
		.amdhsa_reserve_vcc 0
		.amdhsa_float_round_mode_32 0
		.amdhsa_float_round_mode_16_64 0
		.amdhsa_float_denorm_mode_32 3
		.amdhsa_float_denorm_mode_16_64 3
		.amdhsa_fp16_overflow 0
		.amdhsa_workgroup_processor_mode 1
		.amdhsa_memory_ordered 1
		.amdhsa_forward_progress 1
		.amdhsa_inst_pref_size 0
		.amdhsa_round_robin_scheduling 0
		.amdhsa_exception_fp_ieee_invalid_op 0
		.amdhsa_exception_fp_denorm_src 0
		.amdhsa_exception_fp_ieee_div_zero 0
		.amdhsa_exception_fp_ieee_overflow 0
		.amdhsa_exception_fp_ieee_underflow 0
		.amdhsa_exception_fp_ieee_inexact 0
		.amdhsa_exception_int_div_zero 0
	.end_amdhsa_kernel
	.section	.text._ZN7rocprim17ROCPRIM_400000_NS6detail17trampoline_kernelINS0_14default_configENS1_25partition_config_selectorILNS1_17partition_subalgoE6EtNS0_10empty_typeEbEEZZNS1_14partition_implILS5_6ELb0ES3_mN6thrust23THRUST_200600_302600_NS6detail15normal_iteratorINSA_10device_ptrItEEEEPS6_SG_NS0_5tupleIJNSA_16discard_iteratorINSA_11use_defaultEEES6_EEENSH_IJSG_SG_EEES6_PlJNSB_9not_fun_tINSB_14equal_to_valueItEEEEEEE10hipError_tPvRmT3_T4_T5_T6_T7_T9_mT8_P12ihipStream_tbDpT10_ENKUlT_T0_E_clISt17integral_constantIbLb1EES1A_IbLb0EEEEDaS16_S17_EUlS16_E_NS1_11comp_targetILNS1_3genE3ELNS1_11target_archE908ELNS1_3gpuE7ELNS1_3repE0EEENS1_30default_config_static_selectorELNS0_4arch9wavefront6targetE0EEEvT1_,"axG",@progbits,_ZN7rocprim17ROCPRIM_400000_NS6detail17trampoline_kernelINS0_14default_configENS1_25partition_config_selectorILNS1_17partition_subalgoE6EtNS0_10empty_typeEbEEZZNS1_14partition_implILS5_6ELb0ES3_mN6thrust23THRUST_200600_302600_NS6detail15normal_iteratorINSA_10device_ptrItEEEEPS6_SG_NS0_5tupleIJNSA_16discard_iteratorINSA_11use_defaultEEES6_EEENSH_IJSG_SG_EEES6_PlJNSB_9not_fun_tINSB_14equal_to_valueItEEEEEEE10hipError_tPvRmT3_T4_T5_T6_T7_T9_mT8_P12ihipStream_tbDpT10_ENKUlT_T0_E_clISt17integral_constantIbLb1EES1A_IbLb0EEEEDaS16_S17_EUlS16_E_NS1_11comp_targetILNS1_3genE3ELNS1_11target_archE908ELNS1_3gpuE7ELNS1_3repE0EEENS1_30default_config_static_selectorELNS0_4arch9wavefront6targetE0EEEvT1_,comdat
.Lfunc_end1712:
	.size	_ZN7rocprim17ROCPRIM_400000_NS6detail17trampoline_kernelINS0_14default_configENS1_25partition_config_selectorILNS1_17partition_subalgoE6EtNS0_10empty_typeEbEEZZNS1_14partition_implILS5_6ELb0ES3_mN6thrust23THRUST_200600_302600_NS6detail15normal_iteratorINSA_10device_ptrItEEEEPS6_SG_NS0_5tupleIJNSA_16discard_iteratorINSA_11use_defaultEEES6_EEENSH_IJSG_SG_EEES6_PlJNSB_9not_fun_tINSB_14equal_to_valueItEEEEEEE10hipError_tPvRmT3_T4_T5_T6_T7_T9_mT8_P12ihipStream_tbDpT10_ENKUlT_T0_E_clISt17integral_constantIbLb1EES1A_IbLb0EEEEDaS16_S17_EUlS16_E_NS1_11comp_targetILNS1_3genE3ELNS1_11target_archE908ELNS1_3gpuE7ELNS1_3repE0EEENS1_30default_config_static_selectorELNS0_4arch9wavefront6targetE0EEEvT1_, .Lfunc_end1712-_ZN7rocprim17ROCPRIM_400000_NS6detail17trampoline_kernelINS0_14default_configENS1_25partition_config_selectorILNS1_17partition_subalgoE6EtNS0_10empty_typeEbEEZZNS1_14partition_implILS5_6ELb0ES3_mN6thrust23THRUST_200600_302600_NS6detail15normal_iteratorINSA_10device_ptrItEEEEPS6_SG_NS0_5tupleIJNSA_16discard_iteratorINSA_11use_defaultEEES6_EEENSH_IJSG_SG_EEES6_PlJNSB_9not_fun_tINSB_14equal_to_valueItEEEEEEE10hipError_tPvRmT3_T4_T5_T6_T7_T9_mT8_P12ihipStream_tbDpT10_ENKUlT_T0_E_clISt17integral_constantIbLb1EES1A_IbLb0EEEEDaS16_S17_EUlS16_E_NS1_11comp_targetILNS1_3genE3ELNS1_11target_archE908ELNS1_3gpuE7ELNS1_3repE0EEENS1_30default_config_static_selectorELNS0_4arch9wavefront6targetE0EEEvT1_
                                        ; -- End function
	.set _ZN7rocprim17ROCPRIM_400000_NS6detail17trampoline_kernelINS0_14default_configENS1_25partition_config_selectorILNS1_17partition_subalgoE6EtNS0_10empty_typeEbEEZZNS1_14partition_implILS5_6ELb0ES3_mN6thrust23THRUST_200600_302600_NS6detail15normal_iteratorINSA_10device_ptrItEEEEPS6_SG_NS0_5tupleIJNSA_16discard_iteratorINSA_11use_defaultEEES6_EEENSH_IJSG_SG_EEES6_PlJNSB_9not_fun_tINSB_14equal_to_valueItEEEEEEE10hipError_tPvRmT3_T4_T5_T6_T7_T9_mT8_P12ihipStream_tbDpT10_ENKUlT_T0_E_clISt17integral_constantIbLb1EES1A_IbLb0EEEEDaS16_S17_EUlS16_E_NS1_11comp_targetILNS1_3genE3ELNS1_11target_archE908ELNS1_3gpuE7ELNS1_3repE0EEENS1_30default_config_static_selectorELNS0_4arch9wavefront6targetE0EEEvT1_.num_vgpr, 0
	.set _ZN7rocprim17ROCPRIM_400000_NS6detail17trampoline_kernelINS0_14default_configENS1_25partition_config_selectorILNS1_17partition_subalgoE6EtNS0_10empty_typeEbEEZZNS1_14partition_implILS5_6ELb0ES3_mN6thrust23THRUST_200600_302600_NS6detail15normal_iteratorINSA_10device_ptrItEEEEPS6_SG_NS0_5tupleIJNSA_16discard_iteratorINSA_11use_defaultEEES6_EEENSH_IJSG_SG_EEES6_PlJNSB_9not_fun_tINSB_14equal_to_valueItEEEEEEE10hipError_tPvRmT3_T4_T5_T6_T7_T9_mT8_P12ihipStream_tbDpT10_ENKUlT_T0_E_clISt17integral_constantIbLb1EES1A_IbLb0EEEEDaS16_S17_EUlS16_E_NS1_11comp_targetILNS1_3genE3ELNS1_11target_archE908ELNS1_3gpuE7ELNS1_3repE0EEENS1_30default_config_static_selectorELNS0_4arch9wavefront6targetE0EEEvT1_.num_agpr, 0
	.set _ZN7rocprim17ROCPRIM_400000_NS6detail17trampoline_kernelINS0_14default_configENS1_25partition_config_selectorILNS1_17partition_subalgoE6EtNS0_10empty_typeEbEEZZNS1_14partition_implILS5_6ELb0ES3_mN6thrust23THRUST_200600_302600_NS6detail15normal_iteratorINSA_10device_ptrItEEEEPS6_SG_NS0_5tupleIJNSA_16discard_iteratorINSA_11use_defaultEEES6_EEENSH_IJSG_SG_EEES6_PlJNSB_9not_fun_tINSB_14equal_to_valueItEEEEEEE10hipError_tPvRmT3_T4_T5_T6_T7_T9_mT8_P12ihipStream_tbDpT10_ENKUlT_T0_E_clISt17integral_constantIbLb1EES1A_IbLb0EEEEDaS16_S17_EUlS16_E_NS1_11comp_targetILNS1_3genE3ELNS1_11target_archE908ELNS1_3gpuE7ELNS1_3repE0EEENS1_30default_config_static_selectorELNS0_4arch9wavefront6targetE0EEEvT1_.numbered_sgpr, 0
	.set _ZN7rocprim17ROCPRIM_400000_NS6detail17trampoline_kernelINS0_14default_configENS1_25partition_config_selectorILNS1_17partition_subalgoE6EtNS0_10empty_typeEbEEZZNS1_14partition_implILS5_6ELb0ES3_mN6thrust23THRUST_200600_302600_NS6detail15normal_iteratorINSA_10device_ptrItEEEEPS6_SG_NS0_5tupleIJNSA_16discard_iteratorINSA_11use_defaultEEES6_EEENSH_IJSG_SG_EEES6_PlJNSB_9not_fun_tINSB_14equal_to_valueItEEEEEEE10hipError_tPvRmT3_T4_T5_T6_T7_T9_mT8_P12ihipStream_tbDpT10_ENKUlT_T0_E_clISt17integral_constantIbLb1EES1A_IbLb0EEEEDaS16_S17_EUlS16_E_NS1_11comp_targetILNS1_3genE3ELNS1_11target_archE908ELNS1_3gpuE7ELNS1_3repE0EEENS1_30default_config_static_selectorELNS0_4arch9wavefront6targetE0EEEvT1_.num_named_barrier, 0
	.set _ZN7rocprim17ROCPRIM_400000_NS6detail17trampoline_kernelINS0_14default_configENS1_25partition_config_selectorILNS1_17partition_subalgoE6EtNS0_10empty_typeEbEEZZNS1_14partition_implILS5_6ELb0ES3_mN6thrust23THRUST_200600_302600_NS6detail15normal_iteratorINSA_10device_ptrItEEEEPS6_SG_NS0_5tupleIJNSA_16discard_iteratorINSA_11use_defaultEEES6_EEENSH_IJSG_SG_EEES6_PlJNSB_9not_fun_tINSB_14equal_to_valueItEEEEEEE10hipError_tPvRmT3_T4_T5_T6_T7_T9_mT8_P12ihipStream_tbDpT10_ENKUlT_T0_E_clISt17integral_constantIbLb1EES1A_IbLb0EEEEDaS16_S17_EUlS16_E_NS1_11comp_targetILNS1_3genE3ELNS1_11target_archE908ELNS1_3gpuE7ELNS1_3repE0EEENS1_30default_config_static_selectorELNS0_4arch9wavefront6targetE0EEEvT1_.private_seg_size, 0
	.set _ZN7rocprim17ROCPRIM_400000_NS6detail17trampoline_kernelINS0_14default_configENS1_25partition_config_selectorILNS1_17partition_subalgoE6EtNS0_10empty_typeEbEEZZNS1_14partition_implILS5_6ELb0ES3_mN6thrust23THRUST_200600_302600_NS6detail15normal_iteratorINSA_10device_ptrItEEEEPS6_SG_NS0_5tupleIJNSA_16discard_iteratorINSA_11use_defaultEEES6_EEENSH_IJSG_SG_EEES6_PlJNSB_9not_fun_tINSB_14equal_to_valueItEEEEEEE10hipError_tPvRmT3_T4_T5_T6_T7_T9_mT8_P12ihipStream_tbDpT10_ENKUlT_T0_E_clISt17integral_constantIbLb1EES1A_IbLb0EEEEDaS16_S17_EUlS16_E_NS1_11comp_targetILNS1_3genE3ELNS1_11target_archE908ELNS1_3gpuE7ELNS1_3repE0EEENS1_30default_config_static_selectorELNS0_4arch9wavefront6targetE0EEEvT1_.uses_vcc, 0
	.set _ZN7rocprim17ROCPRIM_400000_NS6detail17trampoline_kernelINS0_14default_configENS1_25partition_config_selectorILNS1_17partition_subalgoE6EtNS0_10empty_typeEbEEZZNS1_14partition_implILS5_6ELb0ES3_mN6thrust23THRUST_200600_302600_NS6detail15normal_iteratorINSA_10device_ptrItEEEEPS6_SG_NS0_5tupleIJNSA_16discard_iteratorINSA_11use_defaultEEES6_EEENSH_IJSG_SG_EEES6_PlJNSB_9not_fun_tINSB_14equal_to_valueItEEEEEEE10hipError_tPvRmT3_T4_T5_T6_T7_T9_mT8_P12ihipStream_tbDpT10_ENKUlT_T0_E_clISt17integral_constantIbLb1EES1A_IbLb0EEEEDaS16_S17_EUlS16_E_NS1_11comp_targetILNS1_3genE3ELNS1_11target_archE908ELNS1_3gpuE7ELNS1_3repE0EEENS1_30default_config_static_selectorELNS0_4arch9wavefront6targetE0EEEvT1_.uses_flat_scratch, 0
	.set _ZN7rocprim17ROCPRIM_400000_NS6detail17trampoline_kernelINS0_14default_configENS1_25partition_config_selectorILNS1_17partition_subalgoE6EtNS0_10empty_typeEbEEZZNS1_14partition_implILS5_6ELb0ES3_mN6thrust23THRUST_200600_302600_NS6detail15normal_iteratorINSA_10device_ptrItEEEEPS6_SG_NS0_5tupleIJNSA_16discard_iteratorINSA_11use_defaultEEES6_EEENSH_IJSG_SG_EEES6_PlJNSB_9not_fun_tINSB_14equal_to_valueItEEEEEEE10hipError_tPvRmT3_T4_T5_T6_T7_T9_mT8_P12ihipStream_tbDpT10_ENKUlT_T0_E_clISt17integral_constantIbLb1EES1A_IbLb0EEEEDaS16_S17_EUlS16_E_NS1_11comp_targetILNS1_3genE3ELNS1_11target_archE908ELNS1_3gpuE7ELNS1_3repE0EEENS1_30default_config_static_selectorELNS0_4arch9wavefront6targetE0EEEvT1_.has_dyn_sized_stack, 0
	.set _ZN7rocprim17ROCPRIM_400000_NS6detail17trampoline_kernelINS0_14default_configENS1_25partition_config_selectorILNS1_17partition_subalgoE6EtNS0_10empty_typeEbEEZZNS1_14partition_implILS5_6ELb0ES3_mN6thrust23THRUST_200600_302600_NS6detail15normal_iteratorINSA_10device_ptrItEEEEPS6_SG_NS0_5tupleIJNSA_16discard_iteratorINSA_11use_defaultEEES6_EEENSH_IJSG_SG_EEES6_PlJNSB_9not_fun_tINSB_14equal_to_valueItEEEEEEE10hipError_tPvRmT3_T4_T5_T6_T7_T9_mT8_P12ihipStream_tbDpT10_ENKUlT_T0_E_clISt17integral_constantIbLb1EES1A_IbLb0EEEEDaS16_S17_EUlS16_E_NS1_11comp_targetILNS1_3genE3ELNS1_11target_archE908ELNS1_3gpuE7ELNS1_3repE0EEENS1_30default_config_static_selectorELNS0_4arch9wavefront6targetE0EEEvT1_.has_recursion, 0
	.set _ZN7rocprim17ROCPRIM_400000_NS6detail17trampoline_kernelINS0_14default_configENS1_25partition_config_selectorILNS1_17partition_subalgoE6EtNS0_10empty_typeEbEEZZNS1_14partition_implILS5_6ELb0ES3_mN6thrust23THRUST_200600_302600_NS6detail15normal_iteratorINSA_10device_ptrItEEEEPS6_SG_NS0_5tupleIJNSA_16discard_iteratorINSA_11use_defaultEEES6_EEENSH_IJSG_SG_EEES6_PlJNSB_9not_fun_tINSB_14equal_to_valueItEEEEEEE10hipError_tPvRmT3_T4_T5_T6_T7_T9_mT8_P12ihipStream_tbDpT10_ENKUlT_T0_E_clISt17integral_constantIbLb1EES1A_IbLb0EEEEDaS16_S17_EUlS16_E_NS1_11comp_targetILNS1_3genE3ELNS1_11target_archE908ELNS1_3gpuE7ELNS1_3repE0EEENS1_30default_config_static_selectorELNS0_4arch9wavefront6targetE0EEEvT1_.has_indirect_call, 0
	.section	.AMDGPU.csdata,"",@progbits
; Kernel info:
; codeLenInByte = 0
; TotalNumSgprs: 0
; NumVgprs: 0
; ScratchSize: 0
; MemoryBound: 0
; FloatMode: 240
; IeeeMode: 1
; LDSByteSize: 0 bytes/workgroup (compile time only)
; SGPRBlocks: 0
; VGPRBlocks: 0
; NumSGPRsForWavesPerEU: 1
; NumVGPRsForWavesPerEU: 1
; Occupancy: 16
; WaveLimiterHint : 0
; COMPUTE_PGM_RSRC2:SCRATCH_EN: 0
; COMPUTE_PGM_RSRC2:USER_SGPR: 2
; COMPUTE_PGM_RSRC2:TRAP_HANDLER: 0
; COMPUTE_PGM_RSRC2:TGID_X_EN: 1
; COMPUTE_PGM_RSRC2:TGID_Y_EN: 0
; COMPUTE_PGM_RSRC2:TGID_Z_EN: 0
; COMPUTE_PGM_RSRC2:TIDIG_COMP_CNT: 0
	.section	.text._ZN7rocprim17ROCPRIM_400000_NS6detail17trampoline_kernelINS0_14default_configENS1_25partition_config_selectorILNS1_17partition_subalgoE6EtNS0_10empty_typeEbEEZZNS1_14partition_implILS5_6ELb0ES3_mN6thrust23THRUST_200600_302600_NS6detail15normal_iteratorINSA_10device_ptrItEEEEPS6_SG_NS0_5tupleIJNSA_16discard_iteratorINSA_11use_defaultEEES6_EEENSH_IJSG_SG_EEES6_PlJNSB_9not_fun_tINSB_14equal_to_valueItEEEEEEE10hipError_tPvRmT3_T4_T5_T6_T7_T9_mT8_P12ihipStream_tbDpT10_ENKUlT_T0_E_clISt17integral_constantIbLb1EES1A_IbLb0EEEEDaS16_S17_EUlS16_E_NS1_11comp_targetILNS1_3genE2ELNS1_11target_archE906ELNS1_3gpuE6ELNS1_3repE0EEENS1_30default_config_static_selectorELNS0_4arch9wavefront6targetE0EEEvT1_,"axG",@progbits,_ZN7rocprim17ROCPRIM_400000_NS6detail17trampoline_kernelINS0_14default_configENS1_25partition_config_selectorILNS1_17partition_subalgoE6EtNS0_10empty_typeEbEEZZNS1_14partition_implILS5_6ELb0ES3_mN6thrust23THRUST_200600_302600_NS6detail15normal_iteratorINSA_10device_ptrItEEEEPS6_SG_NS0_5tupleIJNSA_16discard_iteratorINSA_11use_defaultEEES6_EEENSH_IJSG_SG_EEES6_PlJNSB_9not_fun_tINSB_14equal_to_valueItEEEEEEE10hipError_tPvRmT3_T4_T5_T6_T7_T9_mT8_P12ihipStream_tbDpT10_ENKUlT_T0_E_clISt17integral_constantIbLb1EES1A_IbLb0EEEEDaS16_S17_EUlS16_E_NS1_11comp_targetILNS1_3genE2ELNS1_11target_archE906ELNS1_3gpuE6ELNS1_3repE0EEENS1_30default_config_static_selectorELNS0_4arch9wavefront6targetE0EEEvT1_,comdat
	.protected	_ZN7rocprim17ROCPRIM_400000_NS6detail17trampoline_kernelINS0_14default_configENS1_25partition_config_selectorILNS1_17partition_subalgoE6EtNS0_10empty_typeEbEEZZNS1_14partition_implILS5_6ELb0ES3_mN6thrust23THRUST_200600_302600_NS6detail15normal_iteratorINSA_10device_ptrItEEEEPS6_SG_NS0_5tupleIJNSA_16discard_iteratorINSA_11use_defaultEEES6_EEENSH_IJSG_SG_EEES6_PlJNSB_9not_fun_tINSB_14equal_to_valueItEEEEEEE10hipError_tPvRmT3_T4_T5_T6_T7_T9_mT8_P12ihipStream_tbDpT10_ENKUlT_T0_E_clISt17integral_constantIbLb1EES1A_IbLb0EEEEDaS16_S17_EUlS16_E_NS1_11comp_targetILNS1_3genE2ELNS1_11target_archE906ELNS1_3gpuE6ELNS1_3repE0EEENS1_30default_config_static_selectorELNS0_4arch9wavefront6targetE0EEEvT1_ ; -- Begin function _ZN7rocprim17ROCPRIM_400000_NS6detail17trampoline_kernelINS0_14default_configENS1_25partition_config_selectorILNS1_17partition_subalgoE6EtNS0_10empty_typeEbEEZZNS1_14partition_implILS5_6ELb0ES3_mN6thrust23THRUST_200600_302600_NS6detail15normal_iteratorINSA_10device_ptrItEEEEPS6_SG_NS0_5tupleIJNSA_16discard_iteratorINSA_11use_defaultEEES6_EEENSH_IJSG_SG_EEES6_PlJNSB_9not_fun_tINSB_14equal_to_valueItEEEEEEE10hipError_tPvRmT3_T4_T5_T6_T7_T9_mT8_P12ihipStream_tbDpT10_ENKUlT_T0_E_clISt17integral_constantIbLb1EES1A_IbLb0EEEEDaS16_S17_EUlS16_E_NS1_11comp_targetILNS1_3genE2ELNS1_11target_archE906ELNS1_3gpuE6ELNS1_3repE0EEENS1_30default_config_static_selectorELNS0_4arch9wavefront6targetE0EEEvT1_
	.globl	_ZN7rocprim17ROCPRIM_400000_NS6detail17trampoline_kernelINS0_14default_configENS1_25partition_config_selectorILNS1_17partition_subalgoE6EtNS0_10empty_typeEbEEZZNS1_14partition_implILS5_6ELb0ES3_mN6thrust23THRUST_200600_302600_NS6detail15normal_iteratorINSA_10device_ptrItEEEEPS6_SG_NS0_5tupleIJNSA_16discard_iteratorINSA_11use_defaultEEES6_EEENSH_IJSG_SG_EEES6_PlJNSB_9not_fun_tINSB_14equal_to_valueItEEEEEEE10hipError_tPvRmT3_T4_T5_T6_T7_T9_mT8_P12ihipStream_tbDpT10_ENKUlT_T0_E_clISt17integral_constantIbLb1EES1A_IbLb0EEEEDaS16_S17_EUlS16_E_NS1_11comp_targetILNS1_3genE2ELNS1_11target_archE906ELNS1_3gpuE6ELNS1_3repE0EEENS1_30default_config_static_selectorELNS0_4arch9wavefront6targetE0EEEvT1_
	.p2align	8
	.type	_ZN7rocprim17ROCPRIM_400000_NS6detail17trampoline_kernelINS0_14default_configENS1_25partition_config_selectorILNS1_17partition_subalgoE6EtNS0_10empty_typeEbEEZZNS1_14partition_implILS5_6ELb0ES3_mN6thrust23THRUST_200600_302600_NS6detail15normal_iteratorINSA_10device_ptrItEEEEPS6_SG_NS0_5tupleIJNSA_16discard_iteratorINSA_11use_defaultEEES6_EEENSH_IJSG_SG_EEES6_PlJNSB_9not_fun_tINSB_14equal_to_valueItEEEEEEE10hipError_tPvRmT3_T4_T5_T6_T7_T9_mT8_P12ihipStream_tbDpT10_ENKUlT_T0_E_clISt17integral_constantIbLb1EES1A_IbLb0EEEEDaS16_S17_EUlS16_E_NS1_11comp_targetILNS1_3genE2ELNS1_11target_archE906ELNS1_3gpuE6ELNS1_3repE0EEENS1_30default_config_static_selectorELNS0_4arch9wavefront6targetE0EEEvT1_,@function
_ZN7rocprim17ROCPRIM_400000_NS6detail17trampoline_kernelINS0_14default_configENS1_25partition_config_selectorILNS1_17partition_subalgoE6EtNS0_10empty_typeEbEEZZNS1_14partition_implILS5_6ELb0ES3_mN6thrust23THRUST_200600_302600_NS6detail15normal_iteratorINSA_10device_ptrItEEEEPS6_SG_NS0_5tupleIJNSA_16discard_iteratorINSA_11use_defaultEEES6_EEENSH_IJSG_SG_EEES6_PlJNSB_9not_fun_tINSB_14equal_to_valueItEEEEEEE10hipError_tPvRmT3_T4_T5_T6_T7_T9_mT8_P12ihipStream_tbDpT10_ENKUlT_T0_E_clISt17integral_constantIbLb1EES1A_IbLb0EEEEDaS16_S17_EUlS16_E_NS1_11comp_targetILNS1_3genE2ELNS1_11target_archE906ELNS1_3gpuE6ELNS1_3repE0EEENS1_30default_config_static_selectorELNS0_4arch9wavefront6targetE0EEEvT1_: ; @_ZN7rocprim17ROCPRIM_400000_NS6detail17trampoline_kernelINS0_14default_configENS1_25partition_config_selectorILNS1_17partition_subalgoE6EtNS0_10empty_typeEbEEZZNS1_14partition_implILS5_6ELb0ES3_mN6thrust23THRUST_200600_302600_NS6detail15normal_iteratorINSA_10device_ptrItEEEEPS6_SG_NS0_5tupleIJNSA_16discard_iteratorINSA_11use_defaultEEES6_EEENSH_IJSG_SG_EEES6_PlJNSB_9not_fun_tINSB_14equal_to_valueItEEEEEEE10hipError_tPvRmT3_T4_T5_T6_T7_T9_mT8_P12ihipStream_tbDpT10_ENKUlT_T0_E_clISt17integral_constantIbLb1EES1A_IbLb0EEEEDaS16_S17_EUlS16_E_NS1_11comp_targetILNS1_3genE2ELNS1_11target_archE906ELNS1_3gpuE6ELNS1_3repE0EEENS1_30default_config_static_selectorELNS0_4arch9wavefront6targetE0EEEvT1_
; %bb.0:
	.section	.rodata,"a",@progbits
	.p2align	6, 0x0
	.amdhsa_kernel _ZN7rocprim17ROCPRIM_400000_NS6detail17trampoline_kernelINS0_14default_configENS1_25partition_config_selectorILNS1_17partition_subalgoE6EtNS0_10empty_typeEbEEZZNS1_14partition_implILS5_6ELb0ES3_mN6thrust23THRUST_200600_302600_NS6detail15normal_iteratorINSA_10device_ptrItEEEEPS6_SG_NS0_5tupleIJNSA_16discard_iteratorINSA_11use_defaultEEES6_EEENSH_IJSG_SG_EEES6_PlJNSB_9not_fun_tINSB_14equal_to_valueItEEEEEEE10hipError_tPvRmT3_T4_T5_T6_T7_T9_mT8_P12ihipStream_tbDpT10_ENKUlT_T0_E_clISt17integral_constantIbLb1EES1A_IbLb0EEEEDaS16_S17_EUlS16_E_NS1_11comp_targetILNS1_3genE2ELNS1_11target_archE906ELNS1_3gpuE6ELNS1_3repE0EEENS1_30default_config_static_selectorELNS0_4arch9wavefront6targetE0EEEvT1_
		.amdhsa_group_segment_fixed_size 0
		.amdhsa_private_segment_fixed_size 0
		.amdhsa_kernarg_size 120
		.amdhsa_user_sgpr_count 2
		.amdhsa_user_sgpr_dispatch_ptr 0
		.amdhsa_user_sgpr_queue_ptr 0
		.amdhsa_user_sgpr_kernarg_segment_ptr 1
		.amdhsa_user_sgpr_dispatch_id 0
		.amdhsa_user_sgpr_private_segment_size 0
		.amdhsa_wavefront_size32 1
		.amdhsa_uses_dynamic_stack 0
		.amdhsa_enable_private_segment 0
		.amdhsa_system_sgpr_workgroup_id_x 1
		.amdhsa_system_sgpr_workgroup_id_y 0
		.amdhsa_system_sgpr_workgroup_id_z 0
		.amdhsa_system_sgpr_workgroup_info 0
		.amdhsa_system_vgpr_workitem_id 0
		.amdhsa_next_free_vgpr 1
		.amdhsa_next_free_sgpr 1
		.amdhsa_reserve_vcc 0
		.amdhsa_float_round_mode_32 0
		.amdhsa_float_round_mode_16_64 0
		.amdhsa_float_denorm_mode_32 3
		.amdhsa_float_denorm_mode_16_64 3
		.amdhsa_fp16_overflow 0
		.amdhsa_workgroup_processor_mode 1
		.amdhsa_memory_ordered 1
		.amdhsa_forward_progress 1
		.amdhsa_inst_pref_size 0
		.amdhsa_round_robin_scheduling 0
		.amdhsa_exception_fp_ieee_invalid_op 0
		.amdhsa_exception_fp_denorm_src 0
		.amdhsa_exception_fp_ieee_div_zero 0
		.amdhsa_exception_fp_ieee_overflow 0
		.amdhsa_exception_fp_ieee_underflow 0
		.amdhsa_exception_fp_ieee_inexact 0
		.amdhsa_exception_int_div_zero 0
	.end_amdhsa_kernel
	.section	.text._ZN7rocprim17ROCPRIM_400000_NS6detail17trampoline_kernelINS0_14default_configENS1_25partition_config_selectorILNS1_17partition_subalgoE6EtNS0_10empty_typeEbEEZZNS1_14partition_implILS5_6ELb0ES3_mN6thrust23THRUST_200600_302600_NS6detail15normal_iteratorINSA_10device_ptrItEEEEPS6_SG_NS0_5tupleIJNSA_16discard_iteratorINSA_11use_defaultEEES6_EEENSH_IJSG_SG_EEES6_PlJNSB_9not_fun_tINSB_14equal_to_valueItEEEEEEE10hipError_tPvRmT3_T4_T5_T6_T7_T9_mT8_P12ihipStream_tbDpT10_ENKUlT_T0_E_clISt17integral_constantIbLb1EES1A_IbLb0EEEEDaS16_S17_EUlS16_E_NS1_11comp_targetILNS1_3genE2ELNS1_11target_archE906ELNS1_3gpuE6ELNS1_3repE0EEENS1_30default_config_static_selectorELNS0_4arch9wavefront6targetE0EEEvT1_,"axG",@progbits,_ZN7rocprim17ROCPRIM_400000_NS6detail17trampoline_kernelINS0_14default_configENS1_25partition_config_selectorILNS1_17partition_subalgoE6EtNS0_10empty_typeEbEEZZNS1_14partition_implILS5_6ELb0ES3_mN6thrust23THRUST_200600_302600_NS6detail15normal_iteratorINSA_10device_ptrItEEEEPS6_SG_NS0_5tupleIJNSA_16discard_iteratorINSA_11use_defaultEEES6_EEENSH_IJSG_SG_EEES6_PlJNSB_9not_fun_tINSB_14equal_to_valueItEEEEEEE10hipError_tPvRmT3_T4_T5_T6_T7_T9_mT8_P12ihipStream_tbDpT10_ENKUlT_T0_E_clISt17integral_constantIbLb1EES1A_IbLb0EEEEDaS16_S17_EUlS16_E_NS1_11comp_targetILNS1_3genE2ELNS1_11target_archE906ELNS1_3gpuE6ELNS1_3repE0EEENS1_30default_config_static_selectorELNS0_4arch9wavefront6targetE0EEEvT1_,comdat
.Lfunc_end1713:
	.size	_ZN7rocprim17ROCPRIM_400000_NS6detail17trampoline_kernelINS0_14default_configENS1_25partition_config_selectorILNS1_17partition_subalgoE6EtNS0_10empty_typeEbEEZZNS1_14partition_implILS5_6ELb0ES3_mN6thrust23THRUST_200600_302600_NS6detail15normal_iteratorINSA_10device_ptrItEEEEPS6_SG_NS0_5tupleIJNSA_16discard_iteratorINSA_11use_defaultEEES6_EEENSH_IJSG_SG_EEES6_PlJNSB_9not_fun_tINSB_14equal_to_valueItEEEEEEE10hipError_tPvRmT3_T4_T5_T6_T7_T9_mT8_P12ihipStream_tbDpT10_ENKUlT_T0_E_clISt17integral_constantIbLb1EES1A_IbLb0EEEEDaS16_S17_EUlS16_E_NS1_11comp_targetILNS1_3genE2ELNS1_11target_archE906ELNS1_3gpuE6ELNS1_3repE0EEENS1_30default_config_static_selectorELNS0_4arch9wavefront6targetE0EEEvT1_, .Lfunc_end1713-_ZN7rocprim17ROCPRIM_400000_NS6detail17trampoline_kernelINS0_14default_configENS1_25partition_config_selectorILNS1_17partition_subalgoE6EtNS0_10empty_typeEbEEZZNS1_14partition_implILS5_6ELb0ES3_mN6thrust23THRUST_200600_302600_NS6detail15normal_iteratorINSA_10device_ptrItEEEEPS6_SG_NS0_5tupleIJNSA_16discard_iteratorINSA_11use_defaultEEES6_EEENSH_IJSG_SG_EEES6_PlJNSB_9not_fun_tINSB_14equal_to_valueItEEEEEEE10hipError_tPvRmT3_T4_T5_T6_T7_T9_mT8_P12ihipStream_tbDpT10_ENKUlT_T0_E_clISt17integral_constantIbLb1EES1A_IbLb0EEEEDaS16_S17_EUlS16_E_NS1_11comp_targetILNS1_3genE2ELNS1_11target_archE906ELNS1_3gpuE6ELNS1_3repE0EEENS1_30default_config_static_selectorELNS0_4arch9wavefront6targetE0EEEvT1_
                                        ; -- End function
	.set _ZN7rocprim17ROCPRIM_400000_NS6detail17trampoline_kernelINS0_14default_configENS1_25partition_config_selectorILNS1_17partition_subalgoE6EtNS0_10empty_typeEbEEZZNS1_14partition_implILS5_6ELb0ES3_mN6thrust23THRUST_200600_302600_NS6detail15normal_iteratorINSA_10device_ptrItEEEEPS6_SG_NS0_5tupleIJNSA_16discard_iteratorINSA_11use_defaultEEES6_EEENSH_IJSG_SG_EEES6_PlJNSB_9not_fun_tINSB_14equal_to_valueItEEEEEEE10hipError_tPvRmT3_T4_T5_T6_T7_T9_mT8_P12ihipStream_tbDpT10_ENKUlT_T0_E_clISt17integral_constantIbLb1EES1A_IbLb0EEEEDaS16_S17_EUlS16_E_NS1_11comp_targetILNS1_3genE2ELNS1_11target_archE906ELNS1_3gpuE6ELNS1_3repE0EEENS1_30default_config_static_selectorELNS0_4arch9wavefront6targetE0EEEvT1_.num_vgpr, 0
	.set _ZN7rocprim17ROCPRIM_400000_NS6detail17trampoline_kernelINS0_14default_configENS1_25partition_config_selectorILNS1_17partition_subalgoE6EtNS0_10empty_typeEbEEZZNS1_14partition_implILS5_6ELb0ES3_mN6thrust23THRUST_200600_302600_NS6detail15normal_iteratorINSA_10device_ptrItEEEEPS6_SG_NS0_5tupleIJNSA_16discard_iteratorINSA_11use_defaultEEES6_EEENSH_IJSG_SG_EEES6_PlJNSB_9not_fun_tINSB_14equal_to_valueItEEEEEEE10hipError_tPvRmT3_T4_T5_T6_T7_T9_mT8_P12ihipStream_tbDpT10_ENKUlT_T0_E_clISt17integral_constantIbLb1EES1A_IbLb0EEEEDaS16_S17_EUlS16_E_NS1_11comp_targetILNS1_3genE2ELNS1_11target_archE906ELNS1_3gpuE6ELNS1_3repE0EEENS1_30default_config_static_selectorELNS0_4arch9wavefront6targetE0EEEvT1_.num_agpr, 0
	.set _ZN7rocprim17ROCPRIM_400000_NS6detail17trampoline_kernelINS0_14default_configENS1_25partition_config_selectorILNS1_17partition_subalgoE6EtNS0_10empty_typeEbEEZZNS1_14partition_implILS5_6ELb0ES3_mN6thrust23THRUST_200600_302600_NS6detail15normal_iteratorINSA_10device_ptrItEEEEPS6_SG_NS0_5tupleIJNSA_16discard_iteratorINSA_11use_defaultEEES6_EEENSH_IJSG_SG_EEES6_PlJNSB_9not_fun_tINSB_14equal_to_valueItEEEEEEE10hipError_tPvRmT3_T4_T5_T6_T7_T9_mT8_P12ihipStream_tbDpT10_ENKUlT_T0_E_clISt17integral_constantIbLb1EES1A_IbLb0EEEEDaS16_S17_EUlS16_E_NS1_11comp_targetILNS1_3genE2ELNS1_11target_archE906ELNS1_3gpuE6ELNS1_3repE0EEENS1_30default_config_static_selectorELNS0_4arch9wavefront6targetE0EEEvT1_.numbered_sgpr, 0
	.set _ZN7rocprim17ROCPRIM_400000_NS6detail17trampoline_kernelINS0_14default_configENS1_25partition_config_selectorILNS1_17partition_subalgoE6EtNS0_10empty_typeEbEEZZNS1_14partition_implILS5_6ELb0ES3_mN6thrust23THRUST_200600_302600_NS6detail15normal_iteratorINSA_10device_ptrItEEEEPS6_SG_NS0_5tupleIJNSA_16discard_iteratorINSA_11use_defaultEEES6_EEENSH_IJSG_SG_EEES6_PlJNSB_9not_fun_tINSB_14equal_to_valueItEEEEEEE10hipError_tPvRmT3_T4_T5_T6_T7_T9_mT8_P12ihipStream_tbDpT10_ENKUlT_T0_E_clISt17integral_constantIbLb1EES1A_IbLb0EEEEDaS16_S17_EUlS16_E_NS1_11comp_targetILNS1_3genE2ELNS1_11target_archE906ELNS1_3gpuE6ELNS1_3repE0EEENS1_30default_config_static_selectorELNS0_4arch9wavefront6targetE0EEEvT1_.num_named_barrier, 0
	.set _ZN7rocprim17ROCPRIM_400000_NS6detail17trampoline_kernelINS0_14default_configENS1_25partition_config_selectorILNS1_17partition_subalgoE6EtNS0_10empty_typeEbEEZZNS1_14partition_implILS5_6ELb0ES3_mN6thrust23THRUST_200600_302600_NS6detail15normal_iteratorINSA_10device_ptrItEEEEPS6_SG_NS0_5tupleIJNSA_16discard_iteratorINSA_11use_defaultEEES6_EEENSH_IJSG_SG_EEES6_PlJNSB_9not_fun_tINSB_14equal_to_valueItEEEEEEE10hipError_tPvRmT3_T4_T5_T6_T7_T9_mT8_P12ihipStream_tbDpT10_ENKUlT_T0_E_clISt17integral_constantIbLb1EES1A_IbLb0EEEEDaS16_S17_EUlS16_E_NS1_11comp_targetILNS1_3genE2ELNS1_11target_archE906ELNS1_3gpuE6ELNS1_3repE0EEENS1_30default_config_static_selectorELNS0_4arch9wavefront6targetE0EEEvT1_.private_seg_size, 0
	.set _ZN7rocprim17ROCPRIM_400000_NS6detail17trampoline_kernelINS0_14default_configENS1_25partition_config_selectorILNS1_17partition_subalgoE6EtNS0_10empty_typeEbEEZZNS1_14partition_implILS5_6ELb0ES3_mN6thrust23THRUST_200600_302600_NS6detail15normal_iteratorINSA_10device_ptrItEEEEPS6_SG_NS0_5tupleIJNSA_16discard_iteratorINSA_11use_defaultEEES6_EEENSH_IJSG_SG_EEES6_PlJNSB_9not_fun_tINSB_14equal_to_valueItEEEEEEE10hipError_tPvRmT3_T4_T5_T6_T7_T9_mT8_P12ihipStream_tbDpT10_ENKUlT_T0_E_clISt17integral_constantIbLb1EES1A_IbLb0EEEEDaS16_S17_EUlS16_E_NS1_11comp_targetILNS1_3genE2ELNS1_11target_archE906ELNS1_3gpuE6ELNS1_3repE0EEENS1_30default_config_static_selectorELNS0_4arch9wavefront6targetE0EEEvT1_.uses_vcc, 0
	.set _ZN7rocprim17ROCPRIM_400000_NS6detail17trampoline_kernelINS0_14default_configENS1_25partition_config_selectorILNS1_17partition_subalgoE6EtNS0_10empty_typeEbEEZZNS1_14partition_implILS5_6ELb0ES3_mN6thrust23THRUST_200600_302600_NS6detail15normal_iteratorINSA_10device_ptrItEEEEPS6_SG_NS0_5tupleIJNSA_16discard_iteratorINSA_11use_defaultEEES6_EEENSH_IJSG_SG_EEES6_PlJNSB_9not_fun_tINSB_14equal_to_valueItEEEEEEE10hipError_tPvRmT3_T4_T5_T6_T7_T9_mT8_P12ihipStream_tbDpT10_ENKUlT_T0_E_clISt17integral_constantIbLb1EES1A_IbLb0EEEEDaS16_S17_EUlS16_E_NS1_11comp_targetILNS1_3genE2ELNS1_11target_archE906ELNS1_3gpuE6ELNS1_3repE0EEENS1_30default_config_static_selectorELNS0_4arch9wavefront6targetE0EEEvT1_.uses_flat_scratch, 0
	.set _ZN7rocprim17ROCPRIM_400000_NS6detail17trampoline_kernelINS0_14default_configENS1_25partition_config_selectorILNS1_17partition_subalgoE6EtNS0_10empty_typeEbEEZZNS1_14partition_implILS5_6ELb0ES3_mN6thrust23THRUST_200600_302600_NS6detail15normal_iteratorINSA_10device_ptrItEEEEPS6_SG_NS0_5tupleIJNSA_16discard_iteratorINSA_11use_defaultEEES6_EEENSH_IJSG_SG_EEES6_PlJNSB_9not_fun_tINSB_14equal_to_valueItEEEEEEE10hipError_tPvRmT3_T4_T5_T6_T7_T9_mT8_P12ihipStream_tbDpT10_ENKUlT_T0_E_clISt17integral_constantIbLb1EES1A_IbLb0EEEEDaS16_S17_EUlS16_E_NS1_11comp_targetILNS1_3genE2ELNS1_11target_archE906ELNS1_3gpuE6ELNS1_3repE0EEENS1_30default_config_static_selectorELNS0_4arch9wavefront6targetE0EEEvT1_.has_dyn_sized_stack, 0
	.set _ZN7rocprim17ROCPRIM_400000_NS6detail17trampoline_kernelINS0_14default_configENS1_25partition_config_selectorILNS1_17partition_subalgoE6EtNS0_10empty_typeEbEEZZNS1_14partition_implILS5_6ELb0ES3_mN6thrust23THRUST_200600_302600_NS6detail15normal_iteratorINSA_10device_ptrItEEEEPS6_SG_NS0_5tupleIJNSA_16discard_iteratorINSA_11use_defaultEEES6_EEENSH_IJSG_SG_EEES6_PlJNSB_9not_fun_tINSB_14equal_to_valueItEEEEEEE10hipError_tPvRmT3_T4_T5_T6_T7_T9_mT8_P12ihipStream_tbDpT10_ENKUlT_T0_E_clISt17integral_constantIbLb1EES1A_IbLb0EEEEDaS16_S17_EUlS16_E_NS1_11comp_targetILNS1_3genE2ELNS1_11target_archE906ELNS1_3gpuE6ELNS1_3repE0EEENS1_30default_config_static_selectorELNS0_4arch9wavefront6targetE0EEEvT1_.has_recursion, 0
	.set _ZN7rocprim17ROCPRIM_400000_NS6detail17trampoline_kernelINS0_14default_configENS1_25partition_config_selectorILNS1_17partition_subalgoE6EtNS0_10empty_typeEbEEZZNS1_14partition_implILS5_6ELb0ES3_mN6thrust23THRUST_200600_302600_NS6detail15normal_iteratorINSA_10device_ptrItEEEEPS6_SG_NS0_5tupleIJNSA_16discard_iteratorINSA_11use_defaultEEES6_EEENSH_IJSG_SG_EEES6_PlJNSB_9not_fun_tINSB_14equal_to_valueItEEEEEEE10hipError_tPvRmT3_T4_T5_T6_T7_T9_mT8_P12ihipStream_tbDpT10_ENKUlT_T0_E_clISt17integral_constantIbLb1EES1A_IbLb0EEEEDaS16_S17_EUlS16_E_NS1_11comp_targetILNS1_3genE2ELNS1_11target_archE906ELNS1_3gpuE6ELNS1_3repE0EEENS1_30default_config_static_selectorELNS0_4arch9wavefront6targetE0EEEvT1_.has_indirect_call, 0
	.section	.AMDGPU.csdata,"",@progbits
; Kernel info:
; codeLenInByte = 0
; TotalNumSgprs: 0
; NumVgprs: 0
; ScratchSize: 0
; MemoryBound: 0
; FloatMode: 240
; IeeeMode: 1
; LDSByteSize: 0 bytes/workgroup (compile time only)
; SGPRBlocks: 0
; VGPRBlocks: 0
; NumSGPRsForWavesPerEU: 1
; NumVGPRsForWavesPerEU: 1
; Occupancy: 16
; WaveLimiterHint : 0
; COMPUTE_PGM_RSRC2:SCRATCH_EN: 0
; COMPUTE_PGM_RSRC2:USER_SGPR: 2
; COMPUTE_PGM_RSRC2:TRAP_HANDLER: 0
; COMPUTE_PGM_RSRC2:TGID_X_EN: 1
; COMPUTE_PGM_RSRC2:TGID_Y_EN: 0
; COMPUTE_PGM_RSRC2:TGID_Z_EN: 0
; COMPUTE_PGM_RSRC2:TIDIG_COMP_CNT: 0
	.section	.text._ZN7rocprim17ROCPRIM_400000_NS6detail17trampoline_kernelINS0_14default_configENS1_25partition_config_selectorILNS1_17partition_subalgoE6EtNS0_10empty_typeEbEEZZNS1_14partition_implILS5_6ELb0ES3_mN6thrust23THRUST_200600_302600_NS6detail15normal_iteratorINSA_10device_ptrItEEEEPS6_SG_NS0_5tupleIJNSA_16discard_iteratorINSA_11use_defaultEEES6_EEENSH_IJSG_SG_EEES6_PlJNSB_9not_fun_tINSB_14equal_to_valueItEEEEEEE10hipError_tPvRmT3_T4_T5_T6_T7_T9_mT8_P12ihipStream_tbDpT10_ENKUlT_T0_E_clISt17integral_constantIbLb1EES1A_IbLb0EEEEDaS16_S17_EUlS16_E_NS1_11comp_targetILNS1_3genE10ELNS1_11target_archE1200ELNS1_3gpuE4ELNS1_3repE0EEENS1_30default_config_static_selectorELNS0_4arch9wavefront6targetE0EEEvT1_,"axG",@progbits,_ZN7rocprim17ROCPRIM_400000_NS6detail17trampoline_kernelINS0_14default_configENS1_25partition_config_selectorILNS1_17partition_subalgoE6EtNS0_10empty_typeEbEEZZNS1_14partition_implILS5_6ELb0ES3_mN6thrust23THRUST_200600_302600_NS6detail15normal_iteratorINSA_10device_ptrItEEEEPS6_SG_NS0_5tupleIJNSA_16discard_iteratorINSA_11use_defaultEEES6_EEENSH_IJSG_SG_EEES6_PlJNSB_9not_fun_tINSB_14equal_to_valueItEEEEEEE10hipError_tPvRmT3_T4_T5_T6_T7_T9_mT8_P12ihipStream_tbDpT10_ENKUlT_T0_E_clISt17integral_constantIbLb1EES1A_IbLb0EEEEDaS16_S17_EUlS16_E_NS1_11comp_targetILNS1_3genE10ELNS1_11target_archE1200ELNS1_3gpuE4ELNS1_3repE0EEENS1_30default_config_static_selectorELNS0_4arch9wavefront6targetE0EEEvT1_,comdat
	.protected	_ZN7rocprim17ROCPRIM_400000_NS6detail17trampoline_kernelINS0_14default_configENS1_25partition_config_selectorILNS1_17partition_subalgoE6EtNS0_10empty_typeEbEEZZNS1_14partition_implILS5_6ELb0ES3_mN6thrust23THRUST_200600_302600_NS6detail15normal_iteratorINSA_10device_ptrItEEEEPS6_SG_NS0_5tupleIJNSA_16discard_iteratorINSA_11use_defaultEEES6_EEENSH_IJSG_SG_EEES6_PlJNSB_9not_fun_tINSB_14equal_to_valueItEEEEEEE10hipError_tPvRmT3_T4_T5_T6_T7_T9_mT8_P12ihipStream_tbDpT10_ENKUlT_T0_E_clISt17integral_constantIbLb1EES1A_IbLb0EEEEDaS16_S17_EUlS16_E_NS1_11comp_targetILNS1_3genE10ELNS1_11target_archE1200ELNS1_3gpuE4ELNS1_3repE0EEENS1_30default_config_static_selectorELNS0_4arch9wavefront6targetE0EEEvT1_ ; -- Begin function _ZN7rocprim17ROCPRIM_400000_NS6detail17trampoline_kernelINS0_14default_configENS1_25partition_config_selectorILNS1_17partition_subalgoE6EtNS0_10empty_typeEbEEZZNS1_14partition_implILS5_6ELb0ES3_mN6thrust23THRUST_200600_302600_NS6detail15normal_iteratorINSA_10device_ptrItEEEEPS6_SG_NS0_5tupleIJNSA_16discard_iteratorINSA_11use_defaultEEES6_EEENSH_IJSG_SG_EEES6_PlJNSB_9not_fun_tINSB_14equal_to_valueItEEEEEEE10hipError_tPvRmT3_T4_T5_T6_T7_T9_mT8_P12ihipStream_tbDpT10_ENKUlT_T0_E_clISt17integral_constantIbLb1EES1A_IbLb0EEEEDaS16_S17_EUlS16_E_NS1_11comp_targetILNS1_3genE10ELNS1_11target_archE1200ELNS1_3gpuE4ELNS1_3repE0EEENS1_30default_config_static_selectorELNS0_4arch9wavefront6targetE0EEEvT1_
	.globl	_ZN7rocprim17ROCPRIM_400000_NS6detail17trampoline_kernelINS0_14default_configENS1_25partition_config_selectorILNS1_17partition_subalgoE6EtNS0_10empty_typeEbEEZZNS1_14partition_implILS5_6ELb0ES3_mN6thrust23THRUST_200600_302600_NS6detail15normal_iteratorINSA_10device_ptrItEEEEPS6_SG_NS0_5tupleIJNSA_16discard_iteratorINSA_11use_defaultEEES6_EEENSH_IJSG_SG_EEES6_PlJNSB_9not_fun_tINSB_14equal_to_valueItEEEEEEE10hipError_tPvRmT3_T4_T5_T6_T7_T9_mT8_P12ihipStream_tbDpT10_ENKUlT_T0_E_clISt17integral_constantIbLb1EES1A_IbLb0EEEEDaS16_S17_EUlS16_E_NS1_11comp_targetILNS1_3genE10ELNS1_11target_archE1200ELNS1_3gpuE4ELNS1_3repE0EEENS1_30default_config_static_selectorELNS0_4arch9wavefront6targetE0EEEvT1_
	.p2align	8
	.type	_ZN7rocprim17ROCPRIM_400000_NS6detail17trampoline_kernelINS0_14default_configENS1_25partition_config_selectorILNS1_17partition_subalgoE6EtNS0_10empty_typeEbEEZZNS1_14partition_implILS5_6ELb0ES3_mN6thrust23THRUST_200600_302600_NS6detail15normal_iteratorINSA_10device_ptrItEEEEPS6_SG_NS0_5tupleIJNSA_16discard_iteratorINSA_11use_defaultEEES6_EEENSH_IJSG_SG_EEES6_PlJNSB_9not_fun_tINSB_14equal_to_valueItEEEEEEE10hipError_tPvRmT3_T4_T5_T6_T7_T9_mT8_P12ihipStream_tbDpT10_ENKUlT_T0_E_clISt17integral_constantIbLb1EES1A_IbLb0EEEEDaS16_S17_EUlS16_E_NS1_11comp_targetILNS1_3genE10ELNS1_11target_archE1200ELNS1_3gpuE4ELNS1_3repE0EEENS1_30default_config_static_selectorELNS0_4arch9wavefront6targetE0EEEvT1_,@function
_ZN7rocprim17ROCPRIM_400000_NS6detail17trampoline_kernelINS0_14default_configENS1_25partition_config_selectorILNS1_17partition_subalgoE6EtNS0_10empty_typeEbEEZZNS1_14partition_implILS5_6ELb0ES3_mN6thrust23THRUST_200600_302600_NS6detail15normal_iteratorINSA_10device_ptrItEEEEPS6_SG_NS0_5tupleIJNSA_16discard_iteratorINSA_11use_defaultEEES6_EEENSH_IJSG_SG_EEES6_PlJNSB_9not_fun_tINSB_14equal_to_valueItEEEEEEE10hipError_tPvRmT3_T4_T5_T6_T7_T9_mT8_P12ihipStream_tbDpT10_ENKUlT_T0_E_clISt17integral_constantIbLb1EES1A_IbLb0EEEEDaS16_S17_EUlS16_E_NS1_11comp_targetILNS1_3genE10ELNS1_11target_archE1200ELNS1_3gpuE4ELNS1_3repE0EEENS1_30default_config_static_selectorELNS0_4arch9wavefront6targetE0EEEvT1_: ; @_ZN7rocprim17ROCPRIM_400000_NS6detail17trampoline_kernelINS0_14default_configENS1_25partition_config_selectorILNS1_17partition_subalgoE6EtNS0_10empty_typeEbEEZZNS1_14partition_implILS5_6ELb0ES3_mN6thrust23THRUST_200600_302600_NS6detail15normal_iteratorINSA_10device_ptrItEEEEPS6_SG_NS0_5tupleIJNSA_16discard_iteratorINSA_11use_defaultEEES6_EEENSH_IJSG_SG_EEES6_PlJNSB_9not_fun_tINSB_14equal_to_valueItEEEEEEE10hipError_tPvRmT3_T4_T5_T6_T7_T9_mT8_P12ihipStream_tbDpT10_ENKUlT_T0_E_clISt17integral_constantIbLb1EES1A_IbLb0EEEEDaS16_S17_EUlS16_E_NS1_11comp_targetILNS1_3genE10ELNS1_11target_archE1200ELNS1_3gpuE4ELNS1_3repE0EEENS1_30default_config_static_selectorELNS0_4arch9wavefront6targetE0EEEvT1_
; %bb.0:
	s_endpgm
	.section	.rodata,"a",@progbits
	.p2align	6, 0x0
	.amdhsa_kernel _ZN7rocprim17ROCPRIM_400000_NS6detail17trampoline_kernelINS0_14default_configENS1_25partition_config_selectorILNS1_17partition_subalgoE6EtNS0_10empty_typeEbEEZZNS1_14partition_implILS5_6ELb0ES3_mN6thrust23THRUST_200600_302600_NS6detail15normal_iteratorINSA_10device_ptrItEEEEPS6_SG_NS0_5tupleIJNSA_16discard_iteratorINSA_11use_defaultEEES6_EEENSH_IJSG_SG_EEES6_PlJNSB_9not_fun_tINSB_14equal_to_valueItEEEEEEE10hipError_tPvRmT3_T4_T5_T6_T7_T9_mT8_P12ihipStream_tbDpT10_ENKUlT_T0_E_clISt17integral_constantIbLb1EES1A_IbLb0EEEEDaS16_S17_EUlS16_E_NS1_11comp_targetILNS1_3genE10ELNS1_11target_archE1200ELNS1_3gpuE4ELNS1_3repE0EEENS1_30default_config_static_selectorELNS0_4arch9wavefront6targetE0EEEvT1_
		.amdhsa_group_segment_fixed_size 0
		.amdhsa_private_segment_fixed_size 0
		.amdhsa_kernarg_size 120
		.amdhsa_user_sgpr_count 2
		.amdhsa_user_sgpr_dispatch_ptr 0
		.amdhsa_user_sgpr_queue_ptr 0
		.amdhsa_user_sgpr_kernarg_segment_ptr 1
		.amdhsa_user_sgpr_dispatch_id 0
		.amdhsa_user_sgpr_private_segment_size 0
		.amdhsa_wavefront_size32 1
		.amdhsa_uses_dynamic_stack 0
		.amdhsa_enable_private_segment 0
		.amdhsa_system_sgpr_workgroup_id_x 1
		.amdhsa_system_sgpr_workgroup_id_y 0
		.amdhsa_system_sgpr_workgroup_id_z 0
		.amdhsa_system_sgpr_workgroup_info 0
		.amdhsa_system_vgpr_workitem_id 0
		.amdhsa_next_free_vgpr 1
		.amdhsa_next_free_sgpr 1
		.amdhsa_reserve_vcc 0
		.amdhsa_float_round_mode_32 0
		.amdhsa_float_round_mode_16_64 0
		.amdhsa_float_denorm_mode_32 3
		.amdhsa_float_denorm_mode_16_64 3
		.amdhsa_fp16_overflow 0
		.amdhsa_workgroup_processor_mode 1
		.amdhsa_memory_ordered 1
		.amdhsa_forward_progress 1
		.amdhsa_inst_pref_size 1
		.amdhsa_round_robin_scheduling 0
		.amdhsa_exception_fp_ieee_invalid_op 0
		.amdhsa_exception_fp_denorm_src 0
		.amdhsa_exception_fp_ieee_div_zero 0
		.amdhsa_exception_fp_ieee_overflow 0
		.amdhsa_exception_fp_ieee_underflow 0
		.amdhsa_exception_fp_ieee_inexact 0
		.amdhsa_exception_int_div_zero 0
	.end_amdhsa_kernel
	.section	.text._ZN7rocprim17ROCPRIM_400000_NS6detail17trampoline_kernelINS0_14default_configENS1_25partition_config_selectorILNS1_17partition_subalgoE6EtNS0_10empty_typeEbEEZZNS1_14partition_implILS5_6ELb0ES3_mN6thrust23THRUST_200600_302600_NS6detail15normal_iteratorINSA_10device_ptrItEEEEPS6_SG_NS0_5tupleIJNSA_16discard_iteratorINSA_11use_defaultEEES6_EEENSH_IJSG_SG_EEES6_PlJNSB_9not_fun_tINSB_14equal_to_valueItEEEEEEE10hipError_tPvRmT3_T4_T5_T6_T7_T9_mT8_P12ihipStream_tbDpT10_ENKUlT_T0_E_clISt17integral_constantIbLb1EES1A_IbLb0EEEEDaS16_S17_EUlS16_E_NS1_11comp_targetILNS1_3genE10ELNS1_11target_archE1200ELNS1_3gpuE4ELNS1_3repE0EEENS1_30default_config_static_selectorELNS0_4arch9wavefront6targetE0EEEvT1_,"axG",@progbits,_ZN7rocprim17ROCPRIM_400000_NS6detail17trampoline_kernelINS0_14default_configENS1_25partition_config_selectorILNS1_17partition_subalgoE6EtNS0_10empty_typeEbEEZZNS1_14partition_implILS5_6ELb0ES3_mN6thrust23THRUST_200600_302600_NS6detail15normal_iteratorINSA_10device_ptrItEEEEPS6_SG_NS0_5tupleIJNSA_16discard_iteratorINSA_11use_defaultEEES6_EEENSH_IJSG_SG_EEES6_PlJNSB_9not_fun_tINSB_14equal_to_valueItEEEEEEE10hipError_tPvRmT3_T4_T5_T6_T7_T9_mT8_P12ihipStream_tbDpT10_ENKUlT_T0_E_clISt17integral_constantIbLb1EES1A_IbLb0EEEEDaS16_S17_EUlS16_E_NS1_11comp_targetILNS1_3genE10ELNS1_11target_archE1200ELNS1_3gpuE4ELNS1_3repE0EEENS1_30default_config_static_selectorELNS0_4arch9wavefront6targetE0EEEvT1_,comdat
.Lfunc_end1714:
	.size	_ZN7rocprim17ROCPRIM_400000_NS6detail17trampoline_kernelINS0_14default_configENS1_25partition_config_selectorILNS1_17partition_subalgoE6EtNS0_10empty_typeEbEEZZNS1_14partition_implILS5_6ELb0ES3_mN6thrust23THRUST_200600_302600_NS6detail15normal_iteratorINSA_10device_ptrItEEEEPS6_SG_NS0_5tupleIJNSA_16discard_iteratorINSA_11use_defaultEEES6_EEENSH_IJSG_SG_EEES6_PlJNSB_9not_fun_tINSB_14equal_to_valueItEEEEEEE10hipError_tPvRmT3_T4_T5_T6_T7_T9_mT8_P12ihipStream_tbDpT10_ENKUlT_T0_E_clISt17integral_constantIbLb1EES1A_IbLb0EEEEDaS16_S17_EUlS16_E_NS1_11comp_targetILNS1_3genE10ELNS1_11target_archE1200ELNS1_3gpuE4ELNS1_3repE0EEENS1_30default_config_static_selectorELNS0_4arch9wavefront6targetE0EEEvT1_, .Lfunc_end1714-_ZN7rocprim17ROCPRIM_400000_NS6detail17trampoline_kernelINS0_14default_configENS1_25partition_config_selectorILNS1_17partition_subalgoE6EtNS0_10empty_typeEbEEZZNS1_14partition_implILS5_6ELb0ES3_mN6thrust23THRUST_200600_302600_NS6detail15normal_iteratorINSA_10device_ptrItEEEEPS6_SG_NS0_5tupleIJNSA_16discard_iteratorINSA_11use_defaultEEES6_EEENSH_IJSG_SG_EEES6_PlJNSB_9not_fun_tINSB_14equal_to_valueItEEEEEEE10hipError_tPvRmT3_T4_T5_T6_T7_T9_mT8_P12ihipStream_tbDpT10_ENKUlT_T0_E_clISt17integral_constantIbLb1EES1A_IbLb0EEEEDaS16_S17_EUlS16_E_NS1_11comp_targetILNS1_3genE10ELNS1_11target_archE1200ELNS1_3gpuE4ELNS1_3repE0EEENS1_30default_config_static_selectorELNS0_4arch9wavefront6targetE0EEEvT1_
                                        ; -- End function
	.set _ZN7rocprim17ROCPRIM_400000_NS6detail17trampoline_kernelINS0_14default_configENS1_25partition_config_selectorILNS1_17partition_subalgoE6EtNS0_10empty_typeEbEEZZNS1_14partition_implILS5_6ELb0ES3_mN6thrust23THRUST_200600_302600_NS6detail15normal_iteratorINSA_10device_ptrItEEEEPS6_SG_NS0_5tupleIJNSA_16discard_iteratorINSA_11use_defaultEEES6_EEENSH_IJSG_SG_EEES6_PlJNSB_9not_fun_tINSB_14equal_to_valueItEEEEEEE10hipError_tPvRmT3_T4_T5_T6_T7_T9_mT8_P12ihipStream_tbDpT10_ENKUlT_T0_E_clISt17integral_constantIbLb1EES1A_IbLb0EEEEDaS16_S17_EUlS16_E_NS1_11comp_targetILNS1_3genE10ELNS1_11target_archE1200ELNS1_3gpuE4ELNS1_3repE0EEENS1_30default_config_static_selectorELNS0_4arch9wavefront6targetE0EEEvT1_.num_vgpr, 0
	.set _ZN7rocprim17ROCPRIM_400000_NS6detail17trampoline_kernelINS0_14default_configENS1_25partition_config_selectorILNS1_17partition_subalgoE6EtNS0_10empty_typeEbEEZZNS1_14partition_implILS5_6ELb0ES3_mN6thrust23THRUST_200600_302600_NS6detail15normal_iteratorINSA_10device_ptrItEEEEPS6_SG_NS0_5tupleIJNSA_16discard_iteratorINSA_11use_defaultEEES6_EEENSH_IJSG_SG_EEES6_PlJNSB_9not_fun_tINSB_14equal_to_valueItEEEEEEE10hipError_tPvRmT3_T4_T5_T6_T7_T9_mT8_P12ihipStream_tbDpT10_ENKUlT_T0_E_clISt17integral_constantIbLb1EES1A_IbLb0EEEEDaS16_S17_EUlS16_E_NS1_11comp_targetILNS1_3genE10ELNS1_11target_archE1200ELNS1_3gpuE4ELNS1_3repE0EEENS1_30default_config_static_selectorELNS0_4arch9wavefront6targetE0EEEvT1_.num_agpr, 0
	.set _ZN7rocprim17ROCPRIM_400000_NS6detail17trampoline_kernelINS0_14default_configENS1_25partition_config_selectorILNS1_17partition_subalgoE6EtNS0_10empty_typeEbEEZZNS1_14partition_implILS5_6ELb0ES3_mN6thrust23THRUST_200600_302600_NS6detail15normal_iteratorINSA_10device_ptrItEEEEPS6_SG_NS0_5tupleIJNSA_16discard_iteratorINSA_11use_defaultEEES6_EEENSH_IJSG_SG_EEES6_PlJNSB_9not_fun_tINSB_14equal_to_valueItEEEEEEE10hipError_tPvRmT3_T4_T5_T6_T7_T9_mT8_P12ihipStream_tbDpT10_ENKUlT_T0_E_clISt17integral_constantIbLb1EES1A_IbLb0EEEEDaS16_S17_EUlS16_E_NS1_11comp_targetILNS1_3genE10ELNS1_11target_archE1200ELNS1_3gpuE4ELNS1_3repE0EEENS1_30default_config_static_selectorELNS0_4arch9wavefront6targetE0EEEvT1_.numbered_sgpr, 0
	.set _ZN7rocprim17ROCPRIM_400000_NS6detail17trampoline_kernelINS0_14default_configENS1_25partition_config_selectorILNS1_17partition_subalgoE6EtNS0_10empty_typeEbEEZZNS1_14partition_implILS5_6ELb0ES3_mN6thrust23THRUST_200600_302600_NS6detail15normal_iteratorINSA_10device_ptrItEEEEPS6_SG_NS0_5tupleIJNSA_16discard_iteratorINSA_11use_defaultEEES6_EEENSH_IJSG_SG_EEES6_PlJNSB_9not_fun_tINSB_14equal_to_valueItEEEEEEE10hipError_tPvRmT3_T4_T5_T6_T7_T9_mT8_P12ihipStream_tbDpT10_ENKUlT_T0_E_clISt17integral_constantIbLb1EES1A_IbLb0EEEEDaS16_S17_EUlS16_E_NS1_11comp_targetILNS1_3genE10ELNS1_11target_archE1200ELNS1_3gpuE4ELNS1_3repE0EEENS1_30default_config_static_selectorELNS0_4arch9wavefront6targetE0EEEvT1_.num_named_barrier, 0
	.set _ZN7rocprim17ROCPRIM_400000_NS6detail17trampoline_kernelINS0_14default_configENS1_25partition_config_selectorILNS1_17partition_subalgoE6EtNS0_10empty_typeEbEEZZNS1_14partition_implILS5_6ELb0ES3_mN6thrust23THRUST_200600_302600_NS6detail15normal_iteratorINSA_10device_ptrItEEEEPS6_SG_NS0_5tupleIJNSA_16discard_iteratorINSA_11use_defaultEEES6_EEENSH_IJSG_SG_EEES6_PlJNSB_9not_fun_tINSB_14equal_to_valueItEEEEEEE10hipError_tPvRmT3_T4_T5_T6_T7_T9_mT8_P12ihipStream_tbDpT10_ENKUlT_T0_E_clISt17integral_constantIbLb1EES1A_IbLb0EEEEDaS16_S17_EUlS16_E_NS1_11comp_targetILNS1_3genE10ELNS1_11target_archE1200ELNS1_3gpuE4ELNS1_3repE0EEENS1_30default_config_static_selectorELNS0_4arch9wavefront6targetE0EEEvT1_.private_seg_size, 0
	.set _ZN7rocprim17ROCPRIM_400000_NS6detail17trampoline_kernelINS0_14default_configENS1_25partition_config_selectorILNS1_17partition_subalgoE6EtNS0_10empty_typeEbEEZZNS1_14partition_implILS5_6ELb0ES3_mN6thrust23THRUST_200600_302600_NS6detail15normal_iteratorINSA_10device_ptrItEEEEPS6_SG_NS0_5tupleIJNSA_16discard_iteratorINSA_11use_defaultEEES6_EEENSH_IJSG_SG_EEES6_PlJNSB_9not_fun_tINSB_14equal_to_valueItEEEEEEE10hipError_tPvRmT3_T4_T5_T6_T7_T9_mT8_P12ihipStream_tbDpT10_ENKUlT_T0_E_clISt17integral_constantIbLb1EES1A_IbLb0EEEEDaS16_S17_EUlS16_E_NS1_11comp_targetILNS1_3genE10ELNS1_11target_archE1200ELNS1_3gpuE4ELNS1_3repE0EEENS1_30default_config_static_selectorELNS0_4arch9wavefront6targetE0EEEvT1_.uses_vcc, 0
	.set _ZN7rocprim17ROCPRIM_400000_NS6detail17trampoline_kernelINS0_14default_configENS1_25partition_config_selectorILNS1_17partition_subalgoE6EtNS0_10empty_typeEbEEZZNS1_14partition_implILS5_6ELb0ES3_mN6thrust23THRUST_200600_302600_NS6detail15normal_iteratorINSA_10device_ptrItEEEEPS6_SG_NS0_5tupleIJNSA_16discard_iteratorINSA_11use_defaultEEES6_EEENSH_IJSG_SG_EEES6_PlJNSB_9not_fun_tINSB_14equal_to_valueItEEEEEEE10hipError_tPvRmT3_T4_T5_T6_T7_T9_mT8_P12ihipStream_tbDpT10_ENKUlT_T0_E_clISt17integral_constantIbLb1EES1A_IbLb0EEEEDaS16_S17_EUlS16_E_NS1_11comp_targetILNS1_3genE10ELNS1_11target_archE1200ELNS1_3gpuE4ELNS1_3repE0EEENS1_30default_config_static_selectorELNS0_4arch9wavefront6targetE0EEEvT1_.uses_flat_scratch, 0
	.set _ZN7rocprim17ROCPRIM_400000_NS6detail17trampoline_kernelINS0_14default_configENS1_25partition_config_selectorILNS1_17partition_subalgoE6EtNS0_10empty_typeEbEEZZNS1_14partition_implILS5_6ELb0ES3_mN6thrust23THRUST_200600_302600_NS6detail15normal_iteratorINSA_10device_ptrItEEEEPS6_SG_NS0_5tupleIJNSA_16discard_iteratorINSA_11use_defaultEEES6_EEENSH_IJSG_SG_EEES6_PlJNSB_9not_fun_tINSB_14equal_to_valueItEEEEEEE10hipError_tPvRmT3_T4_T5_T6_T7_T9_mT8_P12ihipStream_tbDpT10_ENKUlT_T0_E_clISt17integral_constantIbLb1EES1A_IbLb0EEEEDaS16_S17_EUlS16_E_NS1_11comp_targetILNS1_3genE10ELNS1_11target_archE1200ELNS1_3gpuE4ELNS1_3repE0EEENS1_30default_config_static_selectorELNS0_4arch9wavefront6targetE0EEEvT1_.has_dyn_sized_stack, 0
	.set _ZN7rocprim17ROCPRIM_400000_NS6detail17trampoline_kernelINS0_14default_configENS1_25partition_config_selectorILNS1_17partition_subalgoE6EtNS0_10empty_typeEbEEZZNS1_14partition_implILS5_6ELb0ES3_mN6thrust23THRUST_200600_302600_NS6detail15normal_iteratorINSA_10device_ptrItEEEEPS6_SG_NS0_5tupleIJNSA_16discard_iteratorINSA_11use_defaultEEES6_EEENSH_IJSG_SG_EEES6_PlJNSB_9not_fun_tINSB_14equal_to_valueItEEEEEEE10hipError_tPvRmT3_T4_T5_T6_T7_T9_mT8_P12ihipStream_tbDpT10_ENKUlT_T0_E_clISt17integral_constantIbLb1EES1A_IbLb0EEEEDaS16_S17_EUlS16_E_NS1_11comp_targetILNS1_3genE10ELNS1_11target_archE1200ELNS1_3gpuE4ELNS1_3repE0EEENS1_30default_config_static_selectorELNS0_4arch9wavefront6targetE0EEEvT1_.has_recursion, 0
	.set _ZN7rocprim17ROCPRIM_400000_NS6detail17trampoline_kernelINS0_14default_configENS1_25partition_config_selectorILNS1_17partition_subalgoE6EtNS0_10empty_typeEbEEZZNS1_14partition_implILS5_6ELb0ES3_mN6thrust23THRUST_200600_302600_NS6detail15normal_iteratorINSA_10device_ptrItEEEEPS6_SG_NS0_5tupleIJNSA_16discard_iteratorINSA_11use_defaultEEES6_EEENSH_IJSG_SG_EEES6_PlJNSB_9not_fun_tINSB_14equal_to_valueItEEEEEEE10hipError_tPvRmT3_T4_T5_T6_T7_T9_mT8_P12ihipStream_tbDpT10_ENKUlT_T0_E_clISt17integral_constantIbLb1EES1A_IbLb0EEEEDaS16_S17_EUlS16_E_NS1_11comp_targetILNS1_3genE10ELNS1_11target_archE1200ELNS1_3gpuE4ELNS1_3repE0EEENS1_30default_config_static_selectorELNS0_4arch9wavefront6targetE0EEEvT1_.has_indirect_call, 0
	.section	.AMDGPU.csdata,"",@progbits
; Kernel info:
; codeLenInByte = 4
; TotalNumSgprs: 0
; NumVgprs: 0
; ScratchSize: 0
; MemoryBound: 0
; FloatMode: 240
; IeeeMode: 1
; LDSByteSize: 0 bytes/workgroup (compile time only)
; SGPRBlocks: 0
; VGPRBlocks: 0
; NumSGPRsForWavesPerEU: 1
; NumVGPRsForWavesPerEU: 1
; Occupancy: 16
; WaveLimiterHint : 0
; COMPUTE_PGM_RSRC2:SCRATCH_EN: 0
; COMPUTE_PGM_RSRC2:USER_SGPR: 2
; COMPUTE_PGM_RSRC2:TRAP_HANDLER: 0
; COMPUTE_PGM_RSRC2:TGID_X_EN: 1
; COMPUTE_PGM_RSRC2:TGID_Y_EN: 0
; COMPUTE_PGM_RSRC2:TGID_Z_EN: 0
; COMPUTE_PGM_RSRC2:TIDIG_COMP_CNT: 0
	.section	.text._ZN7rocprim17ROCPRIM_400000_NS6detail17trampoline_kernelINS0_14default_configENS1_25partition_config_selectorILNS1_17partition_subalgoE6EtNS0_10empty_typeEbEEZZNS1_14partition_implILS5_6ELb0ES3_mN6thrust23THRUST_200600_302600_NS6detail15normal_iteratorINSA_10device_ptrItEEEEPS6_SG_NS0_5tupleIJNSA_16discard_iteratorINSA_11use_defaultEEES6_EEENSH_IJSG_SG_EEES6_PlJNSB_9not_fun_tINSB_14equal_to_valueItEEEEEEE10hipError_tPvRmT3_T4_T5_T6_T7_T9_mT8_P12ihipStream_tbDpT10_ENKUlT_T0_E_clISt17integral_constantIbLb1EES1A_IbLb0EEEEDaS16_S17_EUlS16_E_NS1_11comp_targetILNS1_3genE9ELNS1_11target_archE1100ELNS1_3gpuE3ELNS1_3repE0EEENS1_30default_config_static_selectorELNS0_4arch9wavefront6targetE0EEEvT1_,"axG",@progbits,_ZN7rocprim17ROCPRIM_400000_NS6detail17trampoline_kernelINS0_14default_configENS1_25partition_config_selectorILNS1_17partition_subalgoE6EtNS0_10empty_typeEbEEZZNS1_14partition_implILS5_6ELb0ES3_mN6thrust23THRUST_200600_302600_NS6detail15normal_iteratorINSA_10device_ptrItEEEEPS6_SG_NS0_5tupleIJNSA_16discard_iteratorINSA_11use_defaultEEES6_EEENSH_IJSG_SG_EEES6_PlJNSB_9not_fun_tINSB_14equal_to_valueItEEEEEEE10hipError_tPvRmT3_T4_T5_T6_T7_T9_mT8_P12ihipStream_tbDpT10_ENKUlT_T0_E_clISt17integral_constantIbLb1EES1A_IbLb0EEEEDaS16_S17_EUlS16_E_NS1_11comp_targetILNS1_3genE9ELNS1_11target_archE1100ELNS1_3gpuE3ELNS1_3repE0EEENS1_30default_config_static_selectorELNS0_4arch9wavefront6targetE0EEEvT1_,comdat
	.protected	_ZN7rocprim17ROCPRIM_400000_NS6detail17trampoline_kernelINS0_14default_configENS1_25partition_config_selectorILNS1_17partition_subalgoE6EtNS0_10empty_typeEbEEZZNS1_14partition_implILS5_6ELb0ES3_mN6thrust23THRUST_200600_302600_NS6detail15normal_iteratorINSA_10device_ptrItEEEEPS6_SG_NS0_5tupleIJNSA_16discard_iteratorINSA_11use_defaultEEES6_EEENSH_IJSG_SG_EEES6_PlJNSB_9not_fun_tINSB_14equal_to_valueItEEEEEEE10hipError_tPvRmT3_T4_T5_T6_T7_T9_mT8_P12ihipStream_tbDpT10_ENKUlT_T0_E_clISt17integral_constantIbLb1EES1A_IbLb0EEEEDaS16_S17_EUlS16_E_NS1_11comp_targetILNS1_3genE9ELNS1_11target_archE1100ELNS1_3gpuE3ELNS1_3repE0EEENS1_30default_config_static_selectorELNS0_4arch9wavefront6targetE0EEEvT1_ ; -- Begin function _ZN7rocprim17ROCPRIM_400000_NS6detail17trampoline_kernelINS0_14default_configENS1_25partition_config_selectorILNS1_17partition_subalgoE6EtNS0_10empty_typeEbEEZZNS1_14partition_implILS5_6ELb0ES3_mN6thrust23THRUST_200600_302600_NS6detail15normal_iteratorINSA_10device_ptrItEEEEPS6_SG_NS0_5tupleIJNSA_16discard_iteratorINSA_11use_defaultEEES6_EEENSH_IJSG_SG_EEES6_PlJNSB_9not_fun_tINSB_14equal_to_valueItEEEEEEE10hipError_tPvRmT3_T4_T5_T6_T7_T9_mT8_P12ihipStream_tbDpT10_ENKUlT_T0_E_clISt17integral_constantIbLb1EES1A_IbLb0EEEEDaS16_S17_EUlS16_E_NS1_11comp_targetILNS1_3genE9ELNS1_11target_archE1100ELNS1_3gpuE3ELNS1_3repE0EEENS1_30default_config_static_selectorELNS0_4arch9wavefront6targetE0EEEvT1_
	.globl	_ZN7rocprim17ROCPRIM_400000_NS6detail17trampoline_kernelINS0_14default_configENS1_25partition_config_selectorILNS1_17partition_subalgoE6EtNS0_10empty_typeEbEEZZNS1_14partition_implILS5_6ELb0ES3_mN6thrust23THRUST_200600_302600_NS6detail15normal_iteratorINSA_10device_ptrItEEEEPS6_SG_NS0_5tupleIJNSA_16discard_iteratorINSA_11use_defaultEEES6_EEENSH_IJSG_SG_EEES6_PlJNSB_9not_fun_tINSB_14equal_to_valueItEEEEEEE10hipError_tPvRmT3_T4_T5_T6_T7_T9_mT8_P12ihipStream_tbDpT10_ENKUlT_T0_E_clISt17integral_constantIbLb1EES1A_IbLb0EEEEDaS16_S17_EUlS16_E_NS1_11comp_targetILNS1_3genE9ELNS1_11target_archE1100ELNS1_3gpuE3ELNS1_3repE0EEENS1_30default_config_static_selectorELNS0_4arch9wavefront6targetE0EEEvT1_
	.p2align	8
	.type	_ZN7rocprim17ROCPRIM_400000_NS6detail17trampoline_kernelINS0_14default_configENS1_25partition_config_selectorILNS1_17partition_subalgoE6EtNS0_10empty_typeEbEEZZNS1_14partition_implILS5_6ELb0ES3_mN6thrust23THRUST_200600_302600_NS6detail15normal_iteratorINSA_10device_ptrItEEEEPS6_SG_NS0_5tupleIJNSA_16discard_iteratorINSA_11use_defaultEEES6_EEENSH_IJSG_SG_EEES6_PlJNSB_9not_fun_tINSB_14equal_to_valueItEEEEEEE10hipError_tPvRmT3_T4_T5_T6_T7_T9_mT8_P12ihipStream_tbDpT10_ENKUlT_T0_E_clISt17integral_constantIbLb1EES1A_IbLb0EEEEDaS16_S17_EUlS16_E_NS1_11comp_targetILNS1_3genE9ELNS1_11target_archE1100ELNS1_3gpuE3ELNS1_3repE0EEENS1_30default_config_static_selectorELNS0_4arch9wavefront6targetE0EEEvT1_,@function
_ZN7rocprim17ROCPRIM_400000_NS6detail17trampoline_kernelINS0_14default_configENS1_25partition_config_selectorILNS1_17partition_subalgoE6EtNS0_10empty_typeEbEEZZNS1_14partition_implILS5_6ELb0ES3_mN6thrust23THRUST_200600_302600_NS6detail15normal_iteratorINSA_10device_ptrItEEEEPS6_SG_NS0_5tupleIJNSA_16discard_iteratorINSA_11use_defaultEEES6_EEENSH_IJSG_SG_EEES6_PlJNSB_9not_fun_tINSB_14equal_to_valueItEEEEEEE10hipError_tPvRmT3_T4_T5_T6_T7_T9_mT8_P12ihipStream_tbDpT10_ENKUlT_T0_E_clISt17integral_constantIbLb1EES1A_IbLb0EEEEDaS16_S17_EUlS16_E_NS1_11comp_targetILNS1_3genE9ELNS1_11target_archE1100ELNS1_3gpuE3ELNS1_3repE0EEENS1_30default_config_static_selectorELNS0_4arch9wavefront6targetE0EEEvT1_: ; @_ZN7rocprim17ROCPRIM_400000_NS6detail17trampoline_kernelINS0_14default_configENS1_25partition_config_selectorILNS1_17partition_subalgoE6EtNS0_10empty_typeEbEEZZNS1_14partition_implILS5_6ELb0ES3_mN6thrust23THRUST_200600_302600_NS6detail15normal_iteratorINSA_10device_ptrItEEEEPS6_SG_NS0_5tupleIJNSA_16discard_iteratorINSA_11use_defaultEEES6_EEENSH_IJSG_SG_EEES6_PlJNSB_9not_fun_tINSB_14equal_to_valueItEEEEEEE10hipError_tPvRmT3_T4_T5_T6_T7_T9_mT8_P12ihipStream_tbDpT10_ENKUlT_T0_E_clISt17integral_constantIbLb1EES1A_IbLb0EEEEDaS16_S17_EUlS16_E_NS1_11comp_targetILNS1_3genE9ELNS1_11target_archE1100ELNS1_3gpuE3ELNS1_3repE0EEENS1_30default_config_static_selectorELNS0_4arch9wavefront6targetE0EEEvT1_
; %bb.0:
	.section	.rodata,"a",@progbits
	.p2align	6, 0x0
	.amdhsa_kernel _ZN7rocprim17ROCPRIM_400000_NS6detail17trampoline_kernelINS0_14default_configENS1_25partition_config_selectorILNS1_17partition_subalgoE6EtNS0_10empty_typeEbEEZZNS1_14partition_implILS5_6ELb0ES3_mN6thrust23THRUST_200600_302600_NS6detail15normal_iteratorINSA_10device_ptrItEEEEPS6_SG_NS0_5tupleIJNSA_16discard_iteratorINSA_11use_defaultEEES6_EEENSH_IJSG_SG_EEES6_PlJNSB_9not_fun_tINSB_14equal_to_valueItEEEEEEE10hipError_tPvRmT3_T4_T5_T6_T7_T9_mT8_P12ihipStream_tbDpT10_ENKUlT_T0_E_clISt17integral_constantIbLb1EES1A_IbLb0EEEEDaS16_S17_EUlS16_E_NS1_11comp_targetILNS1_3genE9ELNS1_11target_archE1100ELNS1_3gpuE3ELNS1_3repE0EEENS1_30default_config_static_selectorELNS0_4arch9wavefront6targetE0EEEvT1_
		.amdhsa_group_segment_fixed_size 0
		.amdhsa_private_segment_fixed_size 0
		.amdhsa_kernarg_size 120
		.amdhsa_user_sgpr_count 2
		.amdhsa_user_sgpr_dispatch_ptr 0
		.amdhsa_user_sgpr_queue_ptr 0
		.amdhsa_user_sgpr_kernarg_segment_ptr 1
		.amdhsa_user_sgpr_dispatch_id 0
		.amdhsa_user_sgpr_private_segment_size 0
		.amdhsa_wavefront_size32 1
		.amdhsa_uses_dynamic_stack 0
		.amdhsa_enable_private_segment 0
		.amdhsa_system_sgpr_workgroup_id_x 1
		.amdhsa_system_sgpr_workgroup_id_y 0
		.amdhsa_system_sgpr_workgroup_id_z 0
		.amdhsa_system_sgpr_workgroup_info 0
		.amdhsa_system_vgpr_workitem_id 0
		.amdhsa_next_free_vgpr 1
		.amdhsa_next_free_sgpr 1
		.amdhsa_reserve_vcc 0
		.amdhsa_float_round_mode_32 0
		.amdhsa_float_round_mode_16_64 0
		.amdhsa_float_denorm_mode_32 3
		.amdhsa_float_denorm_mode_16_64 3
		.amdhsa_fp16_overflow 0
		.amdhsa_workgroup_processor_mode 1
		.amdhsa_memory_ordered 1
		.amdhsa_forward_progress 1
		.amdhsa_inst_pref_size 0
		.amdhsa_round_robin_scheduling 0
		.amdhsa_exception_fp_ieee_invalid_op 0
		.amdhsa_exception_fp_denorm_src 0
		.amdhsa_exception_fp_ieee_div_zero 0
		.amdhsa_exception_fp_ieee_overflow 0
		.amdhsa_exception_fp_ieee_underflow 0
		.amdhsa_exception_fp_ieee_inexact 0
		.amdhsa_exception_int_div_zero 0
	.end_amdhsa_kernel
	.section	.text._ZN7rocprim17ROCPRIM_400000_NS6detail17trampoline_kernelINS0_14default_configENS1_25partition_config_selectorILNS1_17partition_subalgoE6EtNS0_10empty_typeEbEEZZNS1_14partition_implILS5_6ELb0ES3_mN6thrust23THRUST_200600_302600_NS6detail15normal_iteratorINSA_10device_ptrItEEEEPS6_SG_NS0_5tupleIJNSA_16discard_iteratorINSA_11use_defaultEEES6_EEENSH_IJSG_SG_EEES6_PlJNSB_9not_fun_tINSB_14equal_to_valueItEEEEEEE10hipError_tPvRmT3_T4_T5_T6_T7_T9_mT8_P12ihipStream_tbDpT10_ENKUlT_T0_E_clISt17integral_constantIbLb1EES1A_IbLb0EEEEDaS16_S17_EUlS16_E_NS1_11comp_targetILNS1_3genE9ELNS1_11target_archE1100ELNS1_3gpuE3ELNS1_3repE0EEENS1_30default_config_static_selectorELNS0_4arch9wavefront6targetE0EEEvT1_,"axG",@progbits,_ZN7rocprim17ROCPRIM_400000_NS6detail17trampoline_kernelINS0_14default_configENS1_25partition_config_selectorILNS1_17partition_subalgoE6EtNS0_10empty_typeEbEEZZNS1_14partition_implILS5_6ELb0ES3_mN6thrust23THRUST_200600_302600_NS6detail15normal_iteratorINSA_10device_ptrItEEEEPS6_SG_NS0_5tupleIJNSA_16discard_iteratorINSA_11use_defaultEEES6_EEENSH_IJSG_SG_EEES6_PlJNSB_9not_fun_tINSB_14equal_to_valueItEEEEEEE10hipError_tPvRmT3_T4_T5_T6_T7_T9_mT8_P12ihipStream_tbDpT10_ENKUlT_T0_E_clISt17integral_constantIbLb1EES1A_IbLb0EEEEDaS16_S17_EUlS16_E_NS1_11comp_targetILNS1_3genE9ELNS1_11target_archE1100ELNS1_3gpuE3ELNS1_3repE0EEENS1_30default_config_static_selectorELNS0_4arch9wavefront6targetE0EEEvT1_,comdat
.Lfunc_end1715:
	.size	_ZN7rocprim17ROCPRIM_400000_NS6detail17trampoline_kernelINS0_14default_configENS1_25partition_config_selectorILNS1_17partition_subalgoE6EtNS0_10empty_typeEbEEZZNS1_14partition_implILS5_6ELb0ES3_mN6thrust23THRUST_200600_302600_NS6detail15normal_iteratorINSA_10device_ptrItEEEEPS6_SG_NS0_5tupleIJNSA_16discard_iteratorINSA_11use_defaultEEES6_EEENSH_IJSG_SG_EEES6_PlJNSB_9not_fun_tINSB_14equal_to_valueItEEEEEEE10hipError_tPvRmT3_T4_T5_T6_T7_T9_mT8_P12ihipStream_tbDpT10_ENKUlT_T0_E_clISt17integral_constantIbLb1EES1A_IbLb0EEEEDaS16_S17_EUlS16_E_NS1_11comp_targetILNS1_3genE9ELNS1_11target_archE1100ELNS1_3gpuE3ELNS1_3repE0EEENS1_30default_config_static_selectorELNS0_4arch9wavefront6targetE0EEEvT1_, .Lfunc_end1715-_ZN7rocprim17ROCPRIM_400000_NS6detail17trampoline_kernelINS0_14default_configENS1_25partition_config_selectorILNS1_17partition_subalgoE6EtNS0_10empty_typeEbEEZZNS1_14partition_implILS5_6ELb0ES3_mN6thrust23THRUST_200600_302600_NS6detail15normal_iteratorINSA_10device_ptrItEEEEPS6_SG_NS0_5tupleIJNSA_16discard_iteratorINSA_11use_defaultEEES6_EEENSH_IJSG_SG_EEES6_PlJNSB_9not_fun_tINSB_14equal_to_valueItEEEEEEE10hipError_tPvRmT3_T4_T5_T6_T7_T9_mT8_P12ihipStream_tbDpT10_ENKUlT_T0_E_clISt17integral_constantIbLb1EES1A_IbLb0EEEEDaS16_S17_EUlS16_E_NS1_11comp_targetILNS1_3genE9ELNS1_11target_archE1100ELNS1_3gpuE3ELNS1_3repE0EEENS1_30default_config_static_selectorELNS0_4arch9wavefront6targetE0EEEvT1_
                                        ; -- End function
	.set _ZN7rocprim17ROCPRIM_400000_NS6detail17trampoline_kernelINS0_14default_configENS1_25partition_config_selectorILNS1_17partition_subalgoE6EtNS0_10empty_typeEbEEZZNS1_14partition_implILS5_6ELb0ES3_mN6thrust23THRUST_200600_302600_NS6detail15normal_iteratorINSA_10device_ptrItEEEEPS6_SG_NS0_5tupleIJNSA_16discard_iteratorINSA_11use_defaultEEES6_EEENSH_IJSG_SG_EEES6_PlJNSB_9not_fun_tINSB_14equal_to_valueItEEEEEEE10hipError_tPvRmT3_T4_T5_T6_T7_T9_mT8_P12ihipStream_tbDpT10_ENKUlT_T0_E_clISt17integral_constantIbLb1EES1A_IbLb0EEEEDaS16_S17_EUlS16_E_NS1_11comp_targetILNS1_3genE9ELNS1_11target_archE1100ELNS1_3gpuE3ELNS1_3repE0EEENS1_30default_config_static_selectorELNS0_4arch9wavefront6targetE0EEEvT1_.num_vgpr, 0
	.set _ZN7rocprim17ROCPRIM_400000_NS6detail17trampoline_kernelINS0_14default_configENS1_25partition_config_selectorILNS1_17partition_subalgoE6EtNS0_10empty_typeEbEEZZNS1_14partition_implILS5_6ELb0ES3_mN6thrust23THRUST_200600_302600_NS6detail15normal_iteratorINSA_10device_ptrItEEEEPS6_SG_NS0_5tupleIJNSA_16discard_iteratorINSA_11use_defaultEEES6_EEENSH_IJSG_SG_EEES6_PlJNSB_9not_fun_tINSB_14equal_to_valueItEEEEEEE10hipError_tPvRmT3_T4_T5_T6_T7_T9_mT8_P12ihipStream_tbDpT10_ENKUlT_T0_E_clISt17integral_constantIbLb1EES1A_IbLb0EEEEDaS16_S17_EUlS16_E_NS1_11comp_targetILNS1_3genE9ELNS1_11target_archE1100ELNS1_3gpuE3ELNS1_3repE0EEENS1_30default_config_static_selectorELNS0_4arch9wavefront6targetE0EEEvT1_.num_agpr, 0
	.set _ZN7rocprim17ROCPRIM_400000_NS6detail17trampoline_kernelINS0_14default_configENS1_25partition_config_selectorILNS1_17partition_subalgoE6EtNS0_10empty_typeEbEEZZNS1_14partition_implILS5_6ELb0ES3_mN6thrust23THRUST_200600_302600_NS6detail15normal_iteratorINSA_10device_ptrItEEEEPS6_SG_NS0_5tupleIJNSA_16discard_iteratorINSA_11use_defaultEEES6_EEENSH_IJSG_SG_EEES6_PlJNSB_9not_fun_tINSB_14equal_to_valueItEEEEEEE10hipError_tPvRmT3_T4_T5_T6_T7_T9_mT8_P12ihipStream_tbDpT10_ENKUlT_T0_E_clISt17integral_constantIbLb1EES1A_IbLb0EEEEDaS16_S17_EUlS16_E_NS1_11comp_targetILNS1_3genE9ELNS1_11target_archE1100ELNS1_3gpuE3ELNS1_3repE0EEENS1_30default_config_static_selectorELNS0_4arch9wavefront6targetE0EEEvT1_.numbered_sgpr, 0
	.set _ZN7rocprim17ROCPRIM_400000_NS6detail17trampoline_kernelINS0_14default_configENS1_25partition_config_selectorILNS1_17partition_subalgoE6EtNS0_10empty_typeEbEEZZNS1_14partition_implILS5_6ELb0ES3_mN6thrust23THRUST_200600_302600_NS6detail15normal_iteratorINSA_10device_ptrItEEEEPS6_SG_NS0_5tupleIJNSA_16discard_iteratorINSA_11use_defaultEEES6_EEENSH_IJSG_SG_EEES6_PlJNSB_9not_fun_tINSB_14equal_to_valueItEEEEEEE10hipError_tPvRmT3_T4_T5_T6_T7_T9_mT8_P12ihipStream_tbDpT10_ENKUlT_T0_E_clISt17integral_constantIbLb1EES1A_IbLb0EEEEDaS16_S17_EUlS16_E_NS1_11comp_targetILNS1_3genE9ELNS1_11target_archE1100ELNS1_3gpuE3ELNS1_3repE0EEENS1_30default_config_static_selectorELNS0_4arch9wavefront6targetE0EEEvT1_.num_named_barrier, 0
	.set _ZN7rocprim17ROCPRIM_400000_NS6detail17trampoline_kernelINS0_14default_configENS1_25partition_config_selectorILNS1_17partition_subalgoE6EtNS0_10empty_typeEbEEZZNS1_14partition_implILS5_6ELb0ES3_mN6thrust23THRUST_200600_302600_NS6detail15normal_iteratorINSA_10device_ptrItEEEEPS6_SG_NS0_5tupleIJNSA_16discard_iteratorINSA_11use_defaultEEES6_EEENSH_IJSG_SG_EEES6_PlJNSB_9not_fun_tINSB_14equal_to_valueItEEEEEEE10hipError_tPvRmT3_T4_T5_T6_T7_T9_mT8_P12ihipStream_tbDpT10_ENKUlT_T0_E_clISt17integral_constantIbLb1EES1A_IbLb0EEEEDaS16_S17_EUlS16_E_NS1_11comp_targetILNS1_3genE9ELNS1_11target_archE1100ELNS1_3gpuE3ELNS1_3repE0EEENS1_30default_config_static_selectorELNS0_4arch9wavefront6targetE0EEEvT1_.private_seg_size, 0
	.set _ZN7rocprim17ROCPRIM_400000_NS6detail17trampoline_kernelINS0_14default_configENS1_25partition_config_selectorILNS1_17partition_subalgoE6EtNS0_10empty_typeEbEEZZNS1_14partition_implILS5_6ELb0ES3_mN6thrust23THRUST_200600_302600_NS6detail15normal_iteratorINSA_10device_ptrItEEEEPS6_SG_NS0_5tupleIJNSA_16discard_iteratorINSA_11use_defaultEEES6_EEENSH_IJSG_SG_EEES6_PlJNSB_9not_fun_tINSB_14equal_to_valueItEEEEEEE10hipError_tPvRmT3_T4_T5_T6_T7_T9_mT8_P12ihipStream_tbDpT10_ENKUlT_T0_E_clISt17integral_constantIbLb1EES1A_IbLb0EEEEDaS16_S17_EUlS16_E_NS1_11comp_targetILNS1_3genE9ELNS1_11target_archE1100ELNS1_3gpuE3ELNS1_3repE0EEENS1_30default_config_static_selectorELNS0_4arch9wavefront6targetE0EEEvT1_.uses_vcc, 0
	.set _ZN7rocprim17ROCPRIM_400000_NS6detail17trampoline_kernelINS0_14default_configENS1_25partition_config_selectorILNS1_17partition_subalgoE6EtNS0_10empty_typeEbEEZZNS1_14partition_implILS5_6ELb0ES3_mN6thrust23THRUST_200600_302600_NS6detail15normal_iteratorINSA_10device_ptrItEEEEPS6_SG_NS0_5tupleIJNSA_16discard_iteratorINSA_11use_defaultEEES6_EEENSH_IJSG_SG_EEES6_PlJNSB_9not_fun_tINSB_14equal_to_valueItEEEEEEE10hipError_tPvRmT3_T4_T5_T6_T7_T9_mT8_P12ihipStream_tbDpT10_ENKUlT_T0_E_clISt17integral_constantIbLb1EES1A_IbLb0EEEEDaS16_S17_EUlS16_E_NS1_11comp_targetILNS1_3genE9ELNS1_11target_archE1100ELNS1_3gpuE3ELNS1_3repE0EEENS1_30default_config_static_selectorELNS0_4arch9wavefront6targetE0EEEvT1_.uses_flat_scratch, 0
	.set _ZN7rocprim17ROCPRIM_400000_NS6detail17trampoline_kernelINS0_14default_configENS1_25partition_config_selectorILNS1_17partition_subalgoE6EtNS0_10empty_typeEbEEZZNS1_14partition_implILS5_6ELb0ES3_mN6thrust23THRUST_200600_302600_NS6detail15normal_iteratorINSA_10device_ptrItEEEEPS6_SG_NS0_5tupleIJNSA_16discard_iteratorINSA_11use_defaultEEES6_EEENSH_IJSG_SG_EEES6_PlJNSB_9not_fun_tINSB_14equal_to_valueItEEEEEEE10hipError_tPvRmT3_T4_T5_T6_T7_T9_mT8_P12ihipStream_tbDpT10_ENKUlT_T0_E_clISt17integral_constantIbLb1EES1A_IbLb0EEEEDaS16_S17_EUlS16_E_NS1_11comp_targetILNS1_3genE9ELNS1_11target_archE1100ELNS1_3gpuE3ELNS1_3repE0EEENS1_30default_config_static_selectorELNS0_4arch9wavefront6targetE0EEEvT1_.has_dyn_sized_stack, 0
	.set _ZN7rocprim17ROCPRIM_400000_NS6detail17trampoline_kernelINS0_14default_configENS1_25partition_config_selectorILNS1_17partition_subalgoE6EtNS0_10empty_typeEbEEZZNS1_14partition_implILS5_6ELb0ES3_mN6thrust23THRUST_200600_302600_NS6detail15normal_iteratorINSA_10device_ptrItEEEEPS6_SG_NS0_5tupleIJNSA_16discard_iteratorINSA_11use_defaultEEES6_EEENSH_IJSG_SG_EEES6_PlJNSB_9not_fun_tINSB_14equal_to_valueItEEEEEEE10hipError_tPvRmT3_T4_T5_T6_T7_T9_mT8_P12ihipStream_tbDpT10_ENKUlT_T0_E_clISt17integral_constantIbLb1EES1A_IbLb0EEEEDaS16_S17_EUlS16_E_NS1_11comp_targetILNS1_3genE9ELNS1_11target_archE1100ELNS1_3gpuE3ELNS1_3repE0EEENS1_30default_config_static_selectorELNS0_4arch9wavefront6targetE0EEEvT1_.has_recursion, 0
	.set _ZN7rocprim17ROCPRIM_400000_NS6detail17trampoline_kernelINS0_14default_configENS1_25partition_config_selectorILNS1_17partition_subalgoE6EtNS0_10empty_typeEbEEZZNS1_14partition_implILS5_6ELb0ES3_mN6thrust23THRUST_200600_302600_NS6detail15normal_iteratorINSA_10device_ptrItEEEEPS6_SG_NS0_5tupleIJNSA_16discard_iteratorINSA_11use_defaultEEES6_EEENSH_IJSG_SG_EEES6_PlJNSB_9not_fun_tINSB_14equal_to_valueItEEEEEEE10hipError_tPvRmT3_T4_T5_T6_T7_T9_mT8_P12ihipStream_tbDpT10_ENKUlT_T0_E_clISt17integral_constantIbLb1EES1A_IbLb0EEEEDaS16_S17_EUlS16_E_NS1_11comp_targetILNS1_3genE9ELNS1_11target_archE1100ELNS1_3gpuE3ELNS1_3repE0EEENS1_30default_config_static_selectorELNS0_4arch9wavefront6targetE0EEEvT1_.has_indirect_call, 0
	.section	.AMDGPU.csdata,"",@progbits
; Kernel info:
; codeLenInByte = 0
; TotalNumSgprs: 0
; NumVgprs: 0
; ScratchSize: 0
; MemoryBound: 0
; FloatMode: 240
; IeeeMode: 1
; LDSByteSize: 0 bytes/workgroup (compile time only)
; SGPRBlocks: 0
; VGPRBlocks: 0
; NumSGPRsForWavesPerEU: 1
; NumVGPRsForWavesPerEU: 1
; Occupancy: 16
; WaveLimiterHint : 0
; COMPUTE_PGM_RSRC2:SCRATCH_EN: 0
; COMPUTE_PGM_RSRC2:USER_SGPR: 2
; COMPUTE_PGM_RSRC2:TRAP_HANDLER: 0
; COMPUTE_PGM_RSRC2:TGID_X_EN: 1
; COMPUTE_PGM_RSRC2:TGID_Y_EN: 0
; COMPUTE_PGM_RSRC2:TGID_Z_EN: 0
; COMPUTE_PGM_RSRC2:TIDIG_COMP_CNT: 0
	.section	.text._ZN7rocprim17ROCPRIM_400000_NS6detail17trampoline_kernelINS0_14default_configENS1_25partition_config_selectorILNS1_17partition_subalgoE6EtNS0_10empty_typeEbEEZZNS1_14partition_implILS5_6ELb0ES3_mN6thrust23THRUST_200600_302600_NS6detail15normal_iteratorINSA_10device_ptrItEEEEPS6_SG_NS0_5tupleIJNSA_16discard_iteratorINSA_11use_defaultEEES6_EEENSH_IJSG_SG_EEES6_PlJNSB_9not_fun_tINSB_14equal_to_valueItEEEEEEE10hipError_tPvRmT3_T4_T5_T6_T7_T9_mT8_P12ihipStream_tbDpT10_ENKUlT_T0_E_clISt17integral_constantIbLb1EES1A_IbLb0EEEEDaS16_S17_EUlS16_E_NS1_11comp_targetILNS1_3genE8ELNS1_11target_archE1030ELNS1_3gpuE2ELNS1_3repE0EEENS1_30default_config_static_selectorELNS0_4arch9wavefront6targetE0EEEvT1_,"axG",@progbits,_ZN7rocprim17ROCPRIM_400000_NS6detail17trampoline_kernelINS0_14default_configENS1_25partition_config_selectorILNS1_17partition_subalgoE6EtNS0_10empty_typeEbEEZZNS1_14partition_implILS5_6ELb0ES3_mN6thrust23THRUST_200600_302600_NS6detail15normal_iteratorINSA_10device_ptrItEEEEPS6_SG_NS0_5tupleIJNSA_16discard_iteratorINSA_11use_defaultEEES6_EEENSH_IJSG_SG_EEES6_PlJNSB_9not_fun_tINSB_14equal_to_valueItEEEEEEE10hipError_tPvRmT3_T4_T5_T6_T7_T9_mT8_P12ihipStream_tbDpT10_ENKUlT_T0_E_clISt17integral_constantIbLb1EES1A_IbLb0EEEEDaS16_S17_EUlS16_E_NS1_11comp_targetILNS1_3genE8ELNS1_11target_archE1030ELNS1_3gpuE2ELNS1_3repE0EEENS1_30default_config_static_selectorELNS0_4arch9wavefront6targetE0EEEvT1_,comdat
	.protected	_ZN7rocprim17ROCPRIM_400000_NS6detail17trampoline_kernelINS0_14default_configENS1_25partition_config_selectorILNS1_17partition_subalgoE6EtNS0_10empty_typeEbEEZZNS1_14partition_implILS5_6ELb0ES3_mN6thrust23THRUST_200600_302600_NS6detail15normal_iteratorINSA_10device_ptrItEEEEPS6_SG_NS0_5tupleIJNSA_16discard_iteratorINSA_11use_defaultEEES6_EEENSH_IJSG_SG_EEES6_PlJNSB_9not_fun_tINSB_14equal_to_valueItEEEEEEE10hipError_tPvRmT3_T4_T5_T6_T7_T9_mT8_P12ihipStream_tbDpT10_ENKUlT_T0_E_clISt17integral_constantIbLb1EES1A_IbLb0EEEEDaS16_S17_EUlS16_E_NS1_11comp_targetILNS1_3genE8ELNS1_11target_archE1030ELNS1_3gpuE2ELNS1_3repE0EEENS1_30default_config_static_selectorELNS0_4arch9wavefront6targetE0EEEvT1_ ; -- Begin function _ZN7rocprim17ROCPRIM_400000_NS6detail17trampoline_kernelINS0_14default_configENS1_25partition_config_selectorILNS1_17partition_subalgoE6EtNS0_10empty_typeEbEEZZNS1_14partition_implILS5_6ELb0ES3_mN6thrust23THRUST_200600_302600_NS6detail15normal_iteratorINSA_10device_ptrItEEEEPS6_SG_NS0_5tupleIJNSA_16discard_iteratorINSA_11use_defaultEEES6_EEENSH_IJSG_SG_EEES6_PlJNSB_9not_fun_tINSB_14equal_to_valueItEEEEEEE10hipError_tPvRmT3_T4_T5_T6_T7_T9_mT8_P12ihipStream_tbDpT10_ENKUlT_T0_E_clISt17integral_constantIbLb1EES1A_IbLb0EEEEDaS16_S17_EUlS16_E_NS1_11comp_targetILNS1_3genE8ELNS1_11target_archE1030ELNS1_3gpuE2ELNS1_3repE0EEENS1_30default_config_static_selectorELNS0_4arch9wavefront6targetE0EEEvT1_
	.globl	_ZN7rocprim17ROCPRIM_400000_NS6detail17trampoline_kernelINS0_14default_configENS1_25partition_config_selectorILNS1_17partition_subalgoE6EtNS0_10empty_typeEbEEZZNS1_14partition_implILS5_6ELb0ES3_mN6thrust23THRUST_200600_302600_NS6detail15normal_iteratorINSA_10device_ptrItEEEEPS6_SG_NS0_5tupleIJNSA_16discard_iteratorINSA_11use_defaultEEES6_EEENSH_IJSG_SG_EEES6_PlJNSB_9not_fun_tINSB_14equal_to_valueItEEEEEEE10hipError_tPvRmT3_T4_T5_T6_T7_T9_mT8_P12ihipStream_tbDpT10_ENKUlT_T0_E_clISt17integral_constantIbLb1EES1A_IbLb0EEEEDaS16_S17_EUlS16_E_NS1_11comp_targetILNS1_3genE8ELNS1_11target_archE1030ELNS1_3gpuE2ELNS1_3repE0EEENS1_30default_config_static_selectorELNS0_4arch9wavefront6targetE0EEEvT1_
	.p2align	8
	.type	_ZN7rocprim17ROCPRIM_400000_NS6detail17trampoline_kernelINS0_14default_configENS1_25partition_config_selectorILNS1_17partition_subalgoE6EtNS0_10empty_typeEbEEZZNS1_14partition_implILS5_6ELb0ES3_mN6thrust23THRUST_200600_302600_NS6detail15normal_iteratorINSA_10device_ptrItEEEEPS6_SG_NS0_5tupleIJNSA_16discard_iteratorINSA_11use_defaultEEES6_EEENSH_IJSG_SG_EEES6_PlJNSB_9not_fun_tINSB_14equal_to_valueItEEEEEEE10hipError_tPvRmT3_T4_T5_T6_T7_T9_mT8_P12ihipStream_tbDpT10_ENKUlT_T0_E_clISt17integral_constantIbLb1EES1A_IbLb0EEEEDaS16_S17_EUlS16_E_NS1_11comp_targetILNS1_3genE8ELNS1_11target_archE1030ELNS1_3gpuE2ELNS1_3repE0EEENS1_30default_config_static_selectorELNS0_4arch9wavefront6targetE0EEEvT1_,@function
_ZN7rocprim17ROCPRIM_400000_NS6detail17trampoline_kernelINS0_14default_configENS1_25partition_config_selectorILNS1_17partition_subalgoE6EtNS0_10empty_typeEbEEZZNS1_14partition_implILS5_6ELb0ES3_mN6thrust23THRUST_200600_302600_NS6detail15normal_iteratorINSA_10device_ptrItEEEEPS6_SG_NS0_5tupleIJNSA_16discard_iteratorINSA_11use_defaultEEES6_EEENSH_IJSG_SG_EEES6_PlJNSB_9not_fun_tINSB_14equal_to_valueItEEEEEEE10hipError_tPvRmT3_T4_T5_T6_T7_T9_mT8_P12ihipStream_tbDpT10_ENKUlT_T0_E_clISt17integral_constantIbLb1EES1A_IbLb0EEEEDaS16_S17_EUlS16_E_NS1_11comp_targetILNS1_3genE8ELNS1_11target_archE1030ELNS1_3gpuE2ELNS1_3repE0EEENS1_30default_config_static_selectorELNS0_4arch9wavefront6targetE0EEEvT1_: ; @_ZN7rocprim17ROCPRIM_400000_NS6detail17trampoline_kernelINS0_14default_configENS1_25partition_config_selectorILNS1_17partition_subalgoE6EtNS0_10empty_typeEbEEZZNS1_14partition_implILS5_6ELb0ES3_mN6thrust23THRUST_200600_302600_NS6detail15normal_iteratorINSA_10device_ptrItEEEEPS6_SG_NS0_5tupleIJNSA_16discard_iteratorINSA_11use_defaultEEES6_EEENSH_IJSG_SG_EEES6_PlJNSB_9not_fun_tINSB_14equal_to_valueItEEEEEEE10hipError_tPvRmT3_T4_T5_T6_T7_T9_mT8_P12ihipStream_tbDpT10_ENKUlT_T0_E_clISt17integral_constantIbLb1EES1A_IbLb0EEEEDaS16_S17_EUlS16_E_NS1_11comp_targetILNS1_3genE8ELNS1_11target_archE1030ELNS1_3gpuE2ELNS1_3repE0EEENS1_30default_config_static_selectorELNS0_4arch9wavefront6targetE0EEEvT1_
; %bb.0:
	.section	.rodata,"a",@progbits
	.p2align	6, 0x0
	.amdhsa_kernel _ZN7rocprim17ROCPRIM_400000_NS6detail17trampoline_kernelINS0_14default_configENS1_25partition_config_selectorILNS1_17partition_subalgoE6EtNS0_10empty_typeEbEEZZNS1_14partition_implILS5_6ELb0ES3_mN6thrust23THRUST_200600_302600_NS6detail15normal_iteratorINSA_10device_ptrItEEEEPS6_SG_NS0_5tupleIJNSA_16discard_iteratorINSA_11use_defaultEEES6_EEENSH_IJSG_SG_EEES6_PlJNSB_9not_fun_tINSB_14equal_to_valueItEEEEEEE10hipError_tPvRmT3_T4_T5_T6_T7_T9_mT8_P12ihipStream_tbDpT10_ENKUlT_T0_E_clISt17integral_constantIbLb1EES1A_IbLb0EEEEDaS16_S17_EUlS16_E_NS1_11comp_targetILNS1_3genE8ELNS1_11target_archE1030ELNS1_3gpuE2ELNS1_3repE0EEENS1_30default_config_static_selectorELNS0_4arch9wavefront6targetE0EEEvT1_
		.amdhsa_group_segment_fixed_size 0
		.amdhsa_private_segment_fixed_size 0
		.amdhsa_kernarg_size 120
		.amdhsa_user_sgpr_count 2
		.amdhsa_user_sgpr_dispatch_ptr 0
		.amdhsa_user_sgpr_queue_ptr 0
		.amdhsa_user_sgpr_kernarg_segment_ptr 1
		.amdhsa_user_sgpr_dispatch_id 0
		.amdhsa_user_sgpr_private_segment_size 0
		.amdhsa_wavefront_size32 1
		.amdhsa_uses_dynamic_stack 0
		.amdhsa_enable_private_segment 0
		.amdhsa_system_sgpr_workgroup_id_x 1
		.amdhsa_system_sgpr_workgroup_id_y 0
		.amdhsa_system_sgpr_workgroup_id_z 0
		.amdhsa_system_sgpr_workgroup_info 0
		.amdhsa_system_vgpr_workitem_id 0
		.amdhsa_next_free_vgpr 1
		.amdhsa_next_free_sgpr 1
		.amdhsa_reserve_vcc 0
		.amdhsa_float_round_mode_32 0
		.amdhsa_float_round_mode_16_64 0
		.amdhsa_float_denorm_mode_32 3
		.amdhsa_float_denorm_mode_16_64 3
		.amdhsa_fp16_overflow 0
		.amdhsa_workgroup_processor_mode 1
		.amdhsa_memory_ordered 1
		.amdhsa_forward_progress 1
		.amdhsa_inst_pref_size 0
		.amdhsa_round_robin_scheduling 0
		.amdhsa_exception_fp_ieee_invalid_op 0
		.amdhsa_exception_fp_denorm_src 0
		.amdhsa_exception_fp_ieee_div_zero 0
		.amdhsa_exception_fp_ieee_overflow 0
		.amdhsa_exception_fp_ieee_underflow 0
		.amdhsa_exception_fp_ieee_inexact 0
		.amdhsa_exception_int_div_zero 0
	.end_amdhsa_kernel
	.section	.text._ZN7rocprim17ROCPRIM_400000_NS6detail17trampoline_kernelINS0_14default_configENS1_25partition_config_selectorILNS1_17partition_subalgoE6EtNS0_10empty_typeEbEEZZNS1_14partition_implILS5_6ELb0ES3_mN6thrust23THRUST_200600_302600_NS6detail15normal_iteratorINSA_10device_ptrItEEEEPS6_SG_NS0_5tupleIJNSA_16discard_iteratorINSA_11use_defaultEEES6_EEENSH_IJSG_SG_EEES6_PlJNSB_9not_fun_tINSB_14equal_to_valueItEEEEEEE10hipError_tPvRmT3_T4_T5_T6_T7_T9_mT8_P12ihipStream_tbDpT10_ENKUlT_T0_E_clISt17integral_constantIbLb1EES1A_IbLb0EEEEDaS16_S17_EUlS16_E_NS1_11comp_targetILNS1_3genE8ELNS1_11target_archE1030ELNS1_3gpuE2ELNS1_3repE0EEENS1_30default_config_static_selectorELNS0_4arch9wavefront6targetE0EEEvT1_,"axG",@progbits,_ZN7rocprim17ROCPRIM_400000_NS6detail17trampoline_kernelINS0_14default_configENS1_25partition_config_selectorILNS1_17partition_subalgoE6EtNS0_10empty_typeEbEEZZNS1_14partition_implILS5_6ELb0ES3_mN6thrust23THRUST_200600_302600_NS6detail15normal_iteratorINSA_10device_ptrItEEEEPS6_SG_NS0_5tupleIJNSA_16discard_iteratorINSA_11use_defaultEEES6_EEENSH_IJSG_SG_EEES6_PlJNSB_9not_fun_tINSB_14equal_to_valueItEEEEEEE10hipError_tPvRmT3_T4_T5_T6_T7_T9_mT8_P12ihipStream_tbDpT10_ENKUlT_T0_E_clISt17integral_constantIbLb1EES1A_IbLb0EEEEDaS16_S17_EUlS16_E_NS1_11comp_targetILNS1_3genE8ELNS1_11target_archE1030ELNS1_3gpuE2ELNS1_3repE0EEENS1_30default_config_static_selectorELNS0_4arch9wavefront6targetE0EEEvT1_,comdat
.Lfunc_end1716:
	.size	_ZN7rocprim17ROCPRIM_400000_NS6detail17trampoline_kernelINS0_14default_configENS1_25partition_config_selectorILNS1_17partition_subalgoE6EtNS0_10empty_typeEbEEZZNS1_14partition_implILS5_6ELb0ES3_mN6thrust23THRUST_200600_302600_NS6detail15normal_iteratorINSA_10device_ptrItEEEEPS6_SG_NS0_5tupleIJNSA_16discard_iteratorINSA_11use_defaultEEES6_EEENSH_IJSG_SG_EEES6_PlJNSB_9not_fun_tINSB_14equal_to_valueItEEEEEEE10hipError_tPvRmT3_T4_T5_T6_T7_T9_mT8_P12ihipStream_tbDpT10_ENKUlT_T0_E_clISt17integral_constantIbLb1EES1A_IbLb0EEEEDaS16_S17_EUlS16_E_NS1_11comp_targetILNS1_3genE8ELNS1_11target_archE1030ELNS1_3gpuE2ELNS1_3repE0EEENS1_30default_config_static_selectorELNS0_4arch9wavefront6targetE0EEEvT1_, .Lfunc_end1716-_ZN7rocprim17ROCPRIM_400000_NS6detail17trampoline_kernelINS0_14default_configENS1_25partition_config_selectorILNS1_17partition_subalgoE6EtNS0_10empty_typeEbEEZZNS1_14partition_implILS5_6ELb0ES3_mN6thrust23THRUST_200600_302600_NS6detail15normal_iteratorINSA_10device_ptrItEEEEPS6_SG_NS0_5tupleIJNSA_16discard_iteratorINSA_11use_defaultEEES6_EEENSH_IJSG_SG_EEES6_PlJNSB_9not_fun_tINSB_14equal_to_valueItEEEEEEE10hipError_tPvRmT3_T4_T5_T6_T7_T9_mT8_P12ihipStream_tbDpT10_ENKUlT_T0_E_clISt17integral_constantIbLb1EES1A_IbLb0EEEEDaS16_S17_EUlS16_E_NS1_11comp_targetILNS1_3genE8ELNS1_11target_archE1030ELNS1_3gpuE2ELNS1_3repE0EEENS1_30default_config_static_selectorELNS0_4arch9wavefront6targetE0EEEvT1_
                                        ; -- End function
	.set _ZN7rocprim17ROCPRIM_400000_NS6detail17trampoline_kernelINS0_14default_configENS1_25partition_config_selectorILNS1_17partition_subalgoE6EtNS0_10empty_typeEbEEZZNS1_14partition_implILS5_6ELb0ES3_mN6thrust23THRUST_200600_302600_NS6detail15normal_iteratorINSA_10device_ptrItEEEEPS6_SG_NS0_5tupleIJNSA_16discard_iteratorINSA_11use_defaultEEES6_EEENSH_IJSG_SG_EEES6_PlJNSB_9not_fun_tINSB_14equal_to_valueItEEEEEEE10hipError_tPvRmT3_T4_T5_T6_T7_T9_mT8_P12ihipStream_tbDpT10_ENKUlT_T0_E_clISt17integral_constantIbLb1EES1A_IbLb0EEEEDaS16_S17_EUlS16_E_NS1_11comp_targetILNS1_3genE8ELNS1_11target_archE1030ELNS1_3gpuE2ELNS1_3repE0EEENS1_30default_config_static_selectorELNS0_4arch9wavefront6targetE0EEEvT1_.num_vgpr, 0
	.set _ZN7rocprim17ROCPRIM_400000_NS6detail17trampoline_kernelINS0_14default_configENS1_25partition_config_selectorILNS1_17partition_subalgoE6EtNS0_10empty_typeEbEEZZNS1_14partition_implILS5_6ELb0ES3_mN6thrust23THRUST_200600_302600_NS6detail15normal_iteratorINSA_10device_ptrItEEEEPS6_SG_NS0_5tupleIJNSA_16discard_iteratorINSA_11use_defaultEEES6_EEENSH_IJSG_SG_EEES6_PlJNSB_9not_fun_tINSB_14equal_to_valueItEEEEEEE10hipError_tPvRmT3_T4_T5_T6_T7_T9_mT8_P12ihipStream_tbDpT10_ENKUlT_T0_E_clISt17integral_constantIbLb1EES1A_IbLb0EEEEDaS16_S17_EUlS16_E_NS1_11comp_targetILNS1_3genE8ELNS1_11target_archE1030ELNS1_3gpuE2ELNS1_3repE0EEENS1_30default_config_static_selectorELNS0_4arch9wavefront6targetE0EEEvT1_.num_agpr, 0
	.set _ZN7rocprim17ROCPRIM_400000_NS6detail17trampoline_kernelINS0_14default_configENS1_25partition_config_selectorILNS1_17partition_subalgoE6EtNS0_10empty_typeEbEEZZNS1_14partition_implILS5_6ELb0ES3_mN6thrust23THRUST_200600_302600_NS6detail15normal_iteratorINSA_10device_ptrItEEEEPS6_SG_NS0_5tupleIJNSA_16discard_iteratorINSA_11use_defaultEEES6_EEENSH_IJSG_SG_EEES6_PlJNSB_9not_fun_tINSB_14equal_to_valueItEEEEEEE10hipError_tPvRmT3_T4_T5_T6_T7_T9_mT8_P12ihipStream_tbDpT10_ENKUlT_T0_E_clISt17integral_constantIbLb1EES1A_IbLb0EEEEDaS16_S17_EUlS16_E_NS1_11comp_targetILNS1_3genE8ELNS1_11target_archE1030ELNS1_3gpuE2ELNS1_3repE0EEENS1_30default_config_static_selectorELNS0_4arch9wavefront6targetE0EEEvT1_.numbered_sgpr, 0
	.set _ZN7rocprim17ROCPRIM_400000_NS6detail17trampoline_kernelINS0_14default_configENS1_25partition_config_selectorILNS1_17partition_subalgoE6EtNS0_10empty_typeEbEEZZNS1_14partition_implILS5_6ELb0ES3_mN6thrust23THRUST_200600_302600_NS6detail15normal_iteratorINSA_10device_ptrItEEEEPS6_SG_NS0_5tupleIJNSA_16discard_iteratorINSA_11use_defaultEEES6_EEENSH_IJSG_SG_EEES6_PlJNSB_9not_fun_tINSB_14equal_to_valueItEEEEEEE10hipError_tPvRmT3_T4_T5_T6_T7_T9_mT8_P12ihipStream_tbDpT10_ENKUlT_T0_E_clISt17integral_constantIbLb1EES1A_IbLb0EEEEDaS16_S17_EUlS16_E_NS1_11comp_targetILNS1_3genE8ELNS1_11target_archE1030ELNS1_3gpuE2ELNS1_3repE0EEENS1_30default_config_static_selectorELNS0_4arch9wavefront6targetE0EEEvT1_.num_named_barrier, 0
	.set _ZN7rocprim17ROCPRIM_400000_NS6detail17trampoline_kernelINS0_14default_configENS1_25partition_config_selectorILNS1_17partition_subalgoE6EtNS0_10empty_typeEbEEZZNS1_14partition_implILS5_6ELb0ES3_mN6thrust23THRUST_200600_302600_NS6detail15normal_iteratorINSA_10device_ptrItEEEEPS6_SG_NS0_5tupleIJNSA_16discard_iteratorINSA_11use_defaultEEES6_EEENSH_IJSG_SG_EEES6_PlJNSB_9not_fun_tINSB_14equal_to_valueItEEEEEEE10hipError_tPvRmT3_T4_T5_T6_T7_T9_mT8_P12ihipStream_tbDpT10_ENKUlT_T0_E_clISt17integral_constantIbLb1EES1A_IbLb0EEEEDaS16_S17_EUlS16_E_NS1_11comp_targetILNS1_3genE8ELNS1_11target_archE1030ELNS1_3gpuE2ELNS1_3repE0EEENS1_30default_config_static_selectorELNS0_4arch9wavefront6targetE0EEEvT1_.private_seg_size, 0
	.set _ZN7rocprim17ROCPRIM_400000_NS6detail17trampoline_kernelINS0_14default_configENS1_25partition_config_selectorILNS1_17partition_subalgoE6EtNS0_10empty_typeEbEEZZNS1_14partition_implILS5_6ELb0ES3_mN6thrust23THRUST_200600_302600_NS6detail15normal_iteratorINSA_10device_ptrItEEEEPS6_SG_NS0_5tupleIJNSA_16discard_iteratorINSA_11use_defaultEEES6_EEENSH_IJSG_SG_EEES6_PlJNSB_9not_fun_tINSB_14equal_to_valueItEEEEEEE10hipError_tPvRmT3_T4_T5_T6_T7_T9_mT8_P12ihipStream_tbDpT10_ENKUlT_T0_E_clISt17integral_constantIbLb1EES1A_IbLb0EEEEDaS16_S17_EUlS16_E_NS1_11comp_targetILNS1_3genE8ELNS1_11target_archE1030ELNS1_3gpuE2ELNS1_3repE0EEENS1_30default_config_static_selectorELNS0_4arch9wavefront6targetE0EEEvT1_.uses_vcc, 0
	.set _ZN7rocprim17ROCPRIM_400000_NS6detail17trampoline_kernelINS0_14default_configENS1_25partition_config_selectorILNS1_17partition_subalgoE6EtNS0_10empty_typeEbEEZZNS1_14partition_implILS5_6ELb0ES3_mN6thrust23THRUST_200600_302600_NS6detail15normal_iteratorINSA_10device_ptrItEEEEPS6_SG_NS0_5tupleIJNSA_16discard_iteratorINSA_11use_defaultEEES6_EEENSH_IJSG_SG_EEES6_PlJNSB_9not_fun_tINSB_14equal_to_valueItEEEEEEE10hipError_tPvRmT3_T4_T5_T6_T7_T9_mT8_P12ihipStream_tbDpT10_ENKUlT_T0_E_clISt17integral_constantIbLb1EES1A_IbLb0EEEEDaS16_S17_EUlS16_E_NS1_11comp_targetILNS1_3genE8ELNS1_11target_archE1030ELNS1_3gpuE2ELNS1_3repE0EEENS1_30default_config_static_selectorELNS0_4arch9wavefront6targetE0EEEvT1_.uses_flat_scratch, 0
	.set _ZN7rocprim17ROCPRIM_400000_NS6detail17trampoline_kernelINS0_14default_configENS1_25partition_config_selectorILNS1_17partition_subalgoE6EtNS0_10empty_typeEbEEZZNS1_14partition_implILS5_6ELb0ES3_mN6thrust23THRUST_200600_302600_NS6detail15normal_iteratorINSA_10device_ptrItEEEEPS6_SG_NS0_5tupleIJNSA_16discard_iteratorINSA_11use_defaultEEES6_EEENSH_IJSG_SG_EEES6_PlJNSB_9not_fun_tINSB_14equal_to_valueItEEEEEEE10hipError_tPvRmT3_T4_T5_T6_T7_T9_mT8_P12ihipStream_tbDpT10_ENKUlT_T0_E_clISt17integral_constantIbLb1EES1A_IbLb0EEEEDaS16_S17_EUlS16_E_NS1_11comp_targetILNS1_3genE8ELNS1_11target_archE1030ELNS1_3gpuE2ELNS1_3repE0EEENS1_30default_config_static_selectorELNS0_4arch9wavefront6targetE0EEEvT1_.has_dyn_sized_stack, 0
	.set _ZN7rocprim17ROCPRIM_400000_NS6detail17trampoline_kernelINS0_14default_configENS1_25partition_config_selectorILNS1_17partition_subalgoE6EtNS0_10empty_typeEbEEZZNS1_14partition_implILS5_6ELb0ES3_mN6thrust23THRUST_200600_302600_NS6detail15normal_iteratorINSA_10device_ptrItEEEEPS6_SG_NS0_5tupleIJNSA_16discard_iteratorINSA_11use_defaultEEES6_EEENSH_IJSG_SG_EEES6_PlJNSB_9not_fun_tINSB_14equal_to_valueItEEEEEEE10hipError_tPvRmT3_T4_T5_T6_T7_T9_mT8_P12ihipStream_tbDpT10_ENKUlT_T0_E_clISt17integral_constantIbLb1EES1A_IbLb0EEEEDaS16_S17_EUlS16_E_NS1_11comp_targetILNS1_3genE8ELNS1_11target_archE1030ELNS1_3gpuE2ELNS1_3repE0EEENS1_30default_config_static_selectorELNS0_4arch9wavefront6targetE0EEEvT1_.has_recursion, 0
	.set _ZN7rocprim17ROCPRIM_400000_NS6detail17trampoline_kernelINS0_14default_configENS1_25partition_config_selectorILNS1_17partition_subalgoE6EtNS0_10empty_typeEbEEZZNS1_14partition_implILS5_6ELb0ES3_mN6thrust23THRUST_200600_302600_NS6detail15normal_iteratorINSA_10device_ptrItEEEEPS6_SG_NS0_5tupleIJNSA_16discard_iteratorINSA_11use_defaultEEES6_EEENSH_IJSG_SG_EEES6_PlJNSB_9not_fun_tINSB_14equal_to_valueItEEEEEEE10hipError_tPvRmT3_T4_T5_T6_T7_T9_mT8_P12ihipStream_tbDpT10_ENKUlT_T0_E_clISt17integral_constantIbLb1EES1A_IbLb0EEEEDaS16_S17_EUlS16_E_NS1_11comp_targetILNS1_3genE8ELNS1_11target_archE1030ELNS1_3gpuE2ELNS1_3repE0EEENS1_30default_config_static_selectorELNS0_4arch9wavefront6targetE0EEEvT1_.has_indirect_call, 0
	.section	.AMDGPU.csdata,"",@progbits
; Kernel info:
; codeLenInByte = 0
; TotalNumSgprs: 0
; NumVgprs: 0
; ScratchSize: 0
; MemoryBound: 0
; FloatMode: 240
; IeeeMode: 1
; LDSByteSize: 0 bytes/workgroup (compile time only)
; SGPRBlocks: 0
; VGPRBlocks: 0
; NumSGPRsForWavesPerEU: 1
; NumVGPRsForWavesPerEU: 1
; Occupancy: 16
; WaveLimiterHint : 0
; COMPUTE_PGM_RSRC2:SCRATCH_EN: 0
; COMPUTE_PGM_RSRC2:USER_SGPR: 2
; COMPUTE_PGM_RSRC2:TRAP_HANDLER: 0
; COMPUTE_PGM_RSRC2:TGID_X_EN: 1
; COMPUTE_PGM_RSRC2:TGID_Y_EN: 0
; COMPUTE_PGM_RSRC2:TGID_Z_EN: 0
; COMPUTE_PGM_RSRC2:TIDIG_COMP_CNT: 0
	.section	.text._ZN7rocprim17ROCPRIM_400000_NS6detail17trampoline_kernelINS0_14default_configENS1_25partition_config_selectorILNS1_17partition_subalgoE6EtNS0_10empty_typeEbEEZZNS1_14partition_implILS5_6ELb0ES3_mN6thrust23THRUST_200600_302600_NS6detail15normal_iteratorINSA_10device_ptrItEEEEPS6_SG_NS0_5tupleIJNSA_16discard_iteratorINSA_11use_defaultEEES6_EEENSH_IJSG_SG_EEES6_PlJNSB_9not_fun_tINSB_14equal_to_valueItEEEEEEE10hipError_tPvRmT3_T4_T5_T6_T7_T9_mT8_P12ihipStream_tbDpT10_ENKUlT_T0_E_clISt17integral_constantIbLb0EES1A_IbLb1EEEEDaS16_S17_EUlS16_E_NS1_11comp_targetILNS1_3genE0ELNS1_11target_archE4294967295ELNS1_3gpuE0ELNS1_3repE0EEENS1_30default_config_static_selectorELNS0_4arch9wavefront6targetE0EEEvT1_,"axG",@progbits,_ZN7rocprim17ROCPRIM_400000_NS6detail17trampoline_kernelINS0_14default_configENS1_25partition_config_selectorILNS1_17partition_subalgoE6EtNS0_10empty_typeEbEEZZNS1_14partition_implILS5_6ELb0ES3_mN6thrust23THRUST_200600_302600_NS6detail15normal_iteratorINSA_10device_ptrItEEEEPS6_SG_NS0_5tupleIJNSA_16discard_iteratorINSA_11use_defaultEEES6_EEENSH_IJSG_SG_EEES6_PlJNSB_9not_fun_tINSB_14equal_to_valueItEEEEEEE10hipError_tPvRmT3_T4_T5_T6_T7_T9_mT8_P12ihipStream_tbDpT10_ENKUlT_T0_E_clISt17integral_constantIbLb0EES1A_IbLb1EEEEDaS16_S17_EUlS16_E_NS1_11comp_targetILNS1_3genE0ELNS1_11target_archE4294967295ELNS1_3gpuE0ELNS1_3repE0EEENS1_30default_config_static_selectorELNS0_4arch9wavefront6targetE0EEEvT1_,comdat
	.protected	_ZN7rocprim17ROCPRIM_400000_NS6detail17trampoline_kernelINS0_14default_configENS1_25partition_config_selectorILNS1_17partition_subalgoE6EtNS0_10empty_typeEbEEZZNS1_14partition_implILS5_6ELb0ES3_mN6thrust23THRUST_200600_302600_NS6detail15normal_iteratorINSA_10device_ptrItEEEEPS6_SG_NS0_5tupleIJNSA_16discard_iteratorINSA_11use_defaultEEES6_EEENSH_IJSG_SG_EEES6_PlJNSB_9not_fun_tINSB_14equal_to_valueItEEEEEEE10hipError_tPvRmT3_T4_T5_T6_T7_T9_mT8_P12ihipStream_tbDpT10_ENKUlT_T0_E_clISt17integral_constantIbLb0EES1A_IbLb1EEEEDaS16_S17_EUlS16_E_NS1_11comp_targetILNS1_3genE0ELNS1_11target_archE4294967295ELNS1_3gpuE0ELNS1_3repE0EEENS1_30default_config_static_selectorELNS0_4arch9wavefront6targetE0EEEvT1_ ; -- Begin function _ZN7rocprim17ROCPRIM_400000_NS6detail17trampoline_kernelINS0_14default_configENS1_25partition_config_selectorILNS1_17partition_subalgoE6EtNS0_10empty_typeEbEEZZNS1_14partition_implILS5_6ELb0ES3_mN6thrust23THRUST_200600_302600_NS6detail15normal_iteratorINSA_10device_ptrItEEEEPS6_SG_NS0_5tupleIJNSA_16discard_iteratorINSA_11use_defaultEEES6_EEENSH_IJSG_SG_EEES6_PlJNSB_9not_fun_tINSB_14equal_to_valueItEEEEEEE10hipError_tPvRmT3_T4_T5_T6_T7_T9_mT8_P12ihipStream_tbDpT10_ENKUlT_T0_E_clISt17integral_constantIbLb0EES1A_IbLb1EEEEDaS16_S17_EUlS16_E_NS1_11comp_targetILNS1_3genE0ELNS1_11target_archE4294967295ELNS1_3gpuE0ELNS1_3repE0EEENS1_30default_config_static_selectorELNS0_4arch9wavefront6targetE0EEEvT1_
	.globl	_ZN7rocprim17ROCPRIM_400000_NS6detail17trampoline_kernelINS0_14default_configENS1_25partition_config_selectorILNS1_17partition_subalgoE6EtNS0_10empty_typeEbEEZZNS1_14partition_implILS5_6ELb0ES3_mN6thrust23THRUST_200600_302600_NS6detail15normal_iteratorINSA_10device_ptrItEEEEPS6_SG_NS0_5tupleIJNSA_16discard_iteratorINSA_11use_defaultEEES6_EEENSH_IJSG_SG_EEES6_PlJNSB_9not_fun_tINSB_14equal_to_valueItEEEEEEE10hipError_tPvRmT3_T4_T5_T6_T7_T9_mT8_P12ihipStream_tbDpT10_ENKUlT_T0_E_clISt17integral_constantIbLb0EES1A_IbLb1EEEEDaS16_S17_EUlS16_E_NS1_11comp_targetILNS1_3genE0ELNS1_11target_archE4294967295ELNS1_3gpuE0ELNS1_3repE0EEENS1_30default_config_static_selectorELNS0_4arch9wavefront6targetE0EEEvT1_
	.p2align	8
	.type	_ZN7rocprim17ROCPRIM_400000_NS6detail17trampoline_kernelINS0_14default_configENS1_25partition_config_selectorILNS1_17partition_subalgoE6EtNS0_10empty_typeEbEEZZNS1_14partition_implILS5_6ELb0ES3_mN6thrust23THRUST_200600_302600_NS6detail15normal_iteratorINSA_10device_ptrItEEEEPS6_SG_NS0_5tupleIJNSA_16discard_iteratorINSA_11use_defaultEEES6_EEENSH_IJSG_SG_EEES6_PlJNSB_9not_fun_tINSB_14equal_to_valueItEEEEEEE10hipError_tPvRmT3_T4_T5_T6_T7_T9_mT8_P12ihipStream_tbDpT10_ENKUlT_T0_E_clISt17integral_constantIbLb0EES1A_IbLb1EEEEDaS16_S17_EUlS16_E_NS1_11comp_targetILNS1_3genE0ELNS1_11target_archE4294967295ELNS1_3gpuE0ELNS1_3repE0EEENS1_30default_config_static_selectorELNS0_4arch9wavefront6targetE0EEEvT1_,@function
_ZN7rocprim17ROCPRIM_400000_NS6detail17trampoline_kernelINS0_14default_configENS1_25partition_config_selectorILNS1_17partition_subalgoE6EtNS0_10empty_typeEbEEZZNS1_14partition_implILS5_6ELb0ES3_mN6thrust23THRUST_200600_302600_NS6detail15normal_iteratorINSA_10device_ptrItEEEEPS6_SG_NS0_5tupleIJNSA_16discard_iteratorINSA_11use_defaultEEES6_EEENSH_IJSG_SG_EEES6_PlJNSB_9not_fun_tINSB_14equal_to_valueItEEEEEEE10hipError_tPvRmT3_T4_T5_T6_T7_T9_mT8_P12ihipStream_tbDpT10_ENKUlT_T0_E_clISt17integral_constantIbLb0EES1A_IbLb1EEEEDaS16_S17_EUlS16_E_NS1_11comp_targetILNS1_3genE0ELNS1_11target_archE4294967295ELNS1_3gpuE0ELNS1_3repE0EEENS1_30default_config_static_selectorELNS0_4arch9wavefront6targetE0EEEvT1_: ; @_ZN7rocprim17ROCPRIM_400000_NS6detail17trampoline_kernelINS0_14default_configENS1_25partition_config_selectorILNS1_17partition_subalgoE6EtNS0_10empty_typeEbEEZZNS1_14partition_implILS5_6ELb0ES3_mN6thrust23THRUST_200600_302600_NS6detail15normal_iteratorINSA_10device_ptrItEEEEPS6_SG_NS0_5tupleIJNSA_16discard_iteratorINSA_11use_defaultEEES6_EEENSH_IJSG_SG_EEES6_PlJNSB_9not_fun_tINSB_14equal_to_valueItEEEEEEE10hipError_tPvRmT3_T4_T5_T6_T7_T9_mT8_P12ihipStream_tbDpT10_ENKUlT_T0_E_clISt17integral_constantIbLb0EES1A_IbLb1EEEEDaS16_S17_EUlS16_E_NS1_11comp_targetILNS1_3genE0ELNS1_11target_archE4294967295ELNS1_3gpuE0ELNS1_3repE0EEENS1_30default_config_static_selectorELNS0_4arch9wavefront6targetE0EEEvT1_
; %bb.0:
	.section	.rodata,"a",@progbits
	.p2align	6, 0x0
	.amdhsa_kernel _ZN7rocprim17ROCPRIM_400000_NS6detail17trampoline_kernelINS0_14default_configENS1_25partition_config_selectorILNS1_17partition_subalgoE6EtNS0_10empty_typeEbEEZZNS1_14partition_implILS5_6ELb0ES3_mN6thrust23THRUST_200600_302600_NS6detail15normal_iteratorINSA_10device_ptrItEEEEPS6_SG_NS0_5tupleIJNSA_16discard_iteratorINSA_11use_defaultEEES6_EEENSH_IJSG_SG_EEES6_PlJNSB_9not_fun_tINSB_14equal_to_valueItEEEEEEE10hipError_tPvRmT3_T4_T5_T6_T7_T9_mT8_P12ihipStream_tbDpT10_ENKUlT_T0_E_clISt17integral_constantIbLb0EES1A_IbLb1EEEEDaS16_S17_EUlS16_E_NS1_11comp_targetILNS1_3genE0ELNS1_11target_archE4294967295ELNS1_3gpuE0ELNS1_3repE0EEENS1_30default_config_static_selectorELNS0_4arch9wavefront6targetE0EEEvT1_
		.amdhsa_group_segment_fixed_size 0
		.amdhsa_private_segment_fixed_size 0
		.amdhsa_kernarg_size 136
		.amdhsa_user_sgpr_count 2
		.amdhsa_user_sgpr_dispatch_ptr 0
		.amdhsa_user_sgpr_queue_ptr 0
		.amdhsa_user_sgpr_kernarg_segment_ptr 1
		.amdhsa_user_sgpr_dispatch_id 0
		.amdhsa_user_sgpr_private_segment_size 0
		.amdhsa_wavefront_size32 1
		.amdhsa_uses_dynamic_stack 0
		.amdhsa_enable_private_segment 0
		.amdhsa_system_sgpr_workgroup_id_x 1
		.amdhsa_system_sgpr_workgroup_id_y 0
		.amdhsa_system_sgpr_workgroup_id_z 0
		.amdhsa_system_sgpr_workgroup_info 0
		.amdhsa_system_vgpr_workitem_id 0
		.amdhsa_next_free_vgpr 1
		.amdhsa_next_free_sgpr 1
		.amdhsa_reserve_vcc 0
		.amdhsa_float_round_mode_32 0
		.amdhsa_float_round_mode_16_64 0
		.amdhsa_float_denorm_mode_32 3
		.amdhsa_float_denorm_mode_16_64 3
		.amdhsa_fp16_overflow 0
		.amdhsa_workgroup_processor_mode 1
		.amdhsa_memory_ordered 1
		.amdhsa_forward_progress 1
		.amdhsa_inst_pref_size 0
		.amdhsa_round_robin_scheduling 0
		.amdhsa_exception_fp_ieee_invalid_op 0
		.amdhsa_exception_fp_denorm_src 0
		.amdhsa_exception_fp_ieee_div_zero 0
		.amdhsa_exception_fp_ieee_overflow 0
		.amdhsa_exception_fp_ieee_underflow 0
		.amdhsa_exception_fp_ieee_inexact 0
		.amdhsa_exception_int_div_zero 0
	.end_amdhsa_kernel
	.section	.text._ZN7rocprim17ROCPRIM_400000_NS6detail17trampoline_kernelINS0_14default_configENS1_25partition_config_selectorILNS1_17partition_subalgoE6EtNS0_10empty_typeEbEEZZNS1_14partition_implILS5_6ELb0ES3_mN6thrust23THRUST_200600_302600_NS6detail15normal_iteratorINSA_10device_ptrItEEEEPS6_SG_NS0_5tupleIJNSA_16discard_iteratorINSA_11use_defaultEEES6_EEENSH_IJSG_SG_EEES6_PlJNSB_9not_fun_tINSB_14equal_to_valueItEEEEEEE10hipError_tPvRmT3_T4_T5_T6_T7_T9_mT8_P12ihipStream_tbDpT10_ENKUlT_T0_E_clISt17integral_constantIbLb0EES1A_IbLb1EEEEDaS16_S17_EUlS16_E_NS1_11comp_targetILNS1_3genE0ELNS1_11target_archE4294967295ELNS1_3gpuE0ELNS1_3repE0EEENS1_30default_config_static_selectorELNS0_4arch9wavefront6targetE0EEEvT1_,"axG",@progbits,_ZN7rocprim17ROCPRIM_400000_NS6detail17trampoline_kernelINS0_14default_configENS1_25partition_config_selectorILNS1_17partition_subalgoE6EtNS0_10empty_typeEbEEZZNS1_14partition_implILS5_6ELb0ES3_mN6thrust23THRUST_200600_302600_NS6detail15normal_iteratorINSA_10device_ptrItEEEEPS6_SG_NS0_5tupleIJNSA_16discard_iteratorINSA_11use_defaultEEES6_EEENSH_IJSG_SG_EEES6_PlJNSB_9not_fun_tINSB_14equal_to_valueItEEEEEEE10hipError_tPvRmT3_T4_T5_T6_T7_T9_mT8_P12ihipStream_tbDpT10_ENKUlT_T0_E_clISt17integral_constantIbLb0EES1A_IbLb1EEEEDaS16_S17_EUlS16_E_NS1_11comp_targetILNS1_3genE0ELNS1_11target_archE4294967295ELNS1_3gpuE0ELNS1_3repE0EEENS1_30default_config_static_selectorELNS0_4arch9wavefront6targetE0EEEvT1_,comdat
.Lfunc_end1717:
	.size	_ZN7rocprim17ROCPRIM_400000_NS6detail17trampoline_kernelINS0_14default_configENS1_25partition_config_selectorILNS1_17partition_subalgoE6EtNS0_10empty_typeEbEEZZNS1_14partition_implILS5_6ELb0ES3_mN6thrust23THRUST_200600_302600_NS6detail15normal_iteratorINSA_10device_ptrItEEEEPS6_SG_NS0_5tupleIJNSA_16discard_iteratorINSA_11use_defaultEEES6_EEENSH_IJSG_SG_EEES6_PlJNSB_9not_fun_tINSB_14equal_to_valueItEEEEEEE10hipError_tPvRmT3_T4_T5_T6_T7_T9_mT8_P12ihipStream_tbDpT10_ENKUlT_T0_E_clISt17integral_constantIbLb0EES1A_IbLb1EEEEDaS16_S17_EUlS16_E_NS1_11comp_targetILNS1_3genE0ELNS1_11target_archE4294967295ELNS1_3gpuE0ELNS1_3repE0EEENS1_30default_config_static_selectorELNS0_4arch9wavefront6targetE0EEEvT1_, .Lfunc_end1717-_ZN7rocprim17ROCPRIM_400000_NS6detail17trampoline_kernelINS0_14default_configENS1_25partition_config_selectorILNS1_17partition_subalgoE6EtNS0_10empty_typeEbEEZZNS1_14partition_implILS5_6ELb0ES3_mN6thrust23THRUST_200600_302600_NS6detail15normal_iteratorINSA_10device_ptrItEEEEPS6_SG_NS0_5tupleIJNSA_16discard_iteratorINSA_11use_defaultEEES6_EEENSH_IJSG_SG_EEES6_PlJNSB_9not_fun_tINSB_14equal_to_valueItEEEEEEE10hipError_tPvRmT3_T4_T5_T6_T7_T9_mT8_P12ihipStream_tbDpT10_ENKUlT_T0_E_clISt17integral_constantIbLb0EES1A_IbLb1EEEEDaS16_S17_EUlS16_E_NS1_11comp_targetILNS1_3genE0ELNS1_11target_archE4294967295ELNS1_3gpuE0ELNS1_3repE0EEENS1_30default_config_static_selectorELNS0_4arch9wavefront6targetE0EEEvT1_
                                        ; -- End function
	.set _ZN7rocprim17ROCPRIM_400000_NS6detail17trampoline_kernelINS0_14default_configENS1_25partition_config_selectorILNS1_17partition_subalgoE6EtNS0_10empty_typeEbEEZZNS1_14partition_implILS5_6ELb0ES3_mN6thrust23THRUST_200600_302600_NS6detail15normal_iteratorINSA_10device_ptrItEEEEPS6_SG_NS0_5tupleIJNSA_16discard_iteratorINSA_11use_defaultEEES6_EEENSH_IJSG_SG_EEES6_PlJNSB_9not_fun_tINSB_14equal_to_valueItEEEEEEE10hipError_tPvRmT3_T4_T5_T6_T7_T9_mT8_P12ihipStream_tbDpT10_ENKUlT_T0_E_clISt17integral_constantIbLb0EES1A_IbLb1EEEEDaS16_S17_EUlS16_E_NS1_11comp_targetILNS1_3genE0ELNS1_11target_archE4294967295ELNS1_3gpuE0ELNS1_3repE0EEENS1_30default_config_static_selectorELNS0_4arch9wavefront6targetE0EEEvT1_.num_vgpr, 0
	.set _ZN7rocprim17ROCPRIM_400000_NS6detail17trampoline_kernelINS0_14default_configENS1_25partition_config_selectorILNS1_17partition_subalgoE6EtNS0_10empty_typeEbEEZZNS1_14partition_implILS5_6ELb0ES3_mN6thrust23THRUST_200600_302600_NS6detail15normal_iteratorINSA_10device_ptrItEEEEPS6_SG_NS0_5tupleIJNSA_16discard_iteratorINSA_11use_defaultEEES6_EEENSH_IJSG_SG_EEES6_PlJNSB_9not_fun_tINSB_14equal_to_valueItEEEEEEE10hipError_tPvRmT3_T4_T5_T6_T7_T9_mT8_P12ihipStream_tbDpT10_ENKUlT_T0_E_clISt17integral_constantIbLb0EES1A_IbLb1EEEEDaS16_S17_EUlS16_E_NS1_11comp_targetILNS1_3genE0ELNS1_11target_archE4294967295ELNS1_3gpuE0ELNS1_3repE0EEENS1_30default_config_static_selectorELNS0_4arch9wavefront6targetE0EEEvT1_.num_agpr, 0
	.set _ZN7rocprim17ROCPRIM_400000_NS6detail17trampoline_kernelINS0_14default_configENS1_25partition_config_selectorILNS1_17partition_subalgoE6EtNS0_10empty_typeEbEEZZNS1_14partition_implILS5_6ELb0ES3_mN6thrust23THRUST_200600_302600_NS6detail15normal_iteratorINSA_10device_ptrItEEEEPS6_SG_NS0_5tupleIJNSA_16discard_iteratorINSA_11use_defaultEEES6_EEENSH_IJSG_SG_EEES6_PlJNSB_9not_fun_tINSB_14equal_to_valueItEEEEEEE10hipError_tPvRmT3_T4_T5_T6_T7_T9_mT8_P12ihipStream_tbDpT10_ENKUlT_T0_E_clISt17integral_constantIbLb0EES1A_IbLb1EEEEDaS16_S17_EUlS16_E_NS1_11comp_targetILNS1_3genE0ELNS1_11target_archE4294967295ELNS1_3gpuE0ELNS1_3repE0EEENS1_30default_config_static_selectorELNS0_4arch9wavefront6targetE0EEEvT1_.numbered_sgpr, 0
	.set _ZN7rocprim17ROCPRIM_400000_NS6detail17trampoline_kernelINS0_14default_configENS1_25partition_config_selectorILNS1_17partition_subalgoE6EtNS0_10empty_typeEbEEZZNS1_14partition_implILS5_6ELb0ES3_mN6thrust23THRUST_200600_302600_NS6detail15normal_iteratorINSA_10device_ptrItEEEEPS6_SG_NS0_5tupleIJNSA_16discard_iteratorINSA_11use_defaultEEES6_EEENSH_IJSG_SG_EEES6_PlJNSB_9not_fun_tINSB_14equal_to_valueItEEEEEEE10hipError_tPvRmT3_T4_T5_T6_T7_T9_mT8_P12ihipStream_tbDpT10_ENKUlT_T0_E_clISt17integral_constantIbLb0EES1A_IbLb1EEEEDaS16_S17_EUlS16_E_NS1_11comp_targetILNS1_3genE0ELNS1_11target_archE4294967295ELNS1_3gpuE0ELNS1_3repE0EEENS1_30default_config_static_selectorELNS0_4arch9wavefront6targetE0EEEvT1_.num_named_barrier, 0
	.set _ZN7rocprim17ROCPRIM_400000_NS6detail17trampoline_kernelINS0_14default_configENS1_25partition_config_selectorILNS1_17partition_subalgoE6EtNS0_10empty_typeEbEEZZNS1_14partition_implILS5_6ELb0ES3_mN6thrust23THRUST_200600_302600_NS6detail15normal_iteratorINSA_10device_ptrItEEEEPS6_SG_NS0_5tupleIJNSA_16discard_iteratorINSA_11use_defaultEEES6_EEENSH_IJSG_SG_EEES6_PlJNSB_9not_fun_tINSB_14equal_to_valueItEEEEEEE10hipError_tPvRmT3_T4_T5_T6_T7_T9_mT8_P12ihipStream_tbDpT10_ENKUlT_T0_E_clISt17integral_constantIbLb0EES1A_IbLb1EEEEDaS16_S17_EUlS16_E_NS1_11comp_targetILNS1_3genE0ELNS1_11target_archE4294967295ELNS1_3gpuE0ELNS1_3repE0EEENS1_30default_config_static_selectorELNS0_4arch9wavefront6targetE0EEEvT1_.private_seg_size, 0
	.set _ZN7rocprim17ROCPRIM_400000_NS6detail17trampoline_kernelINS0_14default_configENS1_25partition_config_selectorILNS1_17partition_subalgoE6EtNS0_10empty_typeEbEEZZNS1_14partition_implILS5_6ELb0ES3_mN6thrust23THRUST_200600_302600_NS6detail15normal_iteratorINSA_10device_ptrItEEEEPS6_SG_NS0_5tupleIJNSA_16discard_iteratorINSA_11use_defaultEEES6_EEENSH_IJSG_SG_EEES6_PlJNSB_9not_fun_tINSB_14equal_to_valueItEEEEEEE10hipError_tPvRmT3_T4_T5_T6_T7_T9_mT8_P12ihipStream_tbDpT10_ENKUlT_T0_E_clISt17integral_constantIbLb0EES1A_IbLb1EEEEDaS16_S17_EUlS16_E_NS1_11comp_targetILNS1_3genE0ELNS1_11target_archE4294967295ELNS1_3gpuE0ELNS1_3repE0EEENS1_30default_config_static_selectorELNS0_4arch9wavefront6targetE0EEEvT1_.uses_vcc, 0
	.set _ZN7rocprim17ROCPRIM_400000_NS6detail17trampoline_kernelINS0_14default_configENS1_25partition_config_selectorILNS1_17partition_subalgoE6EtNS0_10empty_typeEbEEZZNS1_14partition_implILS5_6ELb0ES3_mN6thrust23THRUST_200600_302600_NS6detail15normal_iteratorINSA_10device_ptrItEEEEPS6_SG_NS0_5tupleIJNSA_16discard_iteratorINSA_11use_defaultEEES6_EEENSH_IJSG_SG_EEES6_PlJNSB_9not_fun_tINSB_14equal_to_valueItEEEEEEE10hipError_tPvRmT3_T4_T5_T6_T7_T9_mT8_P12ihipStream_tbDpT10_ENKUlT_T0_E_clISt17integral_constantIbLb0EES1A_IbLb1EEEEDaS16_S17_EUlS16_E_NS1_11comp_targetILNS1_3genE0ELNS1_11target_archE4294967295ELNS1_3gpuE0ELNS1_3repE0EEENS1_30default_config_static_selectorELNS0_4arch9wavefront6targetE0EEEvT1_.uses_flat_scratch, 0
	.set _ZN7rocprim17ROCPRIM_400000_NS6detail17trampoline_kernelINS0_14default_configENS1_25partition_config_selectorILNS1_17partition_subalgoE6EtNS0_10empty_typeEbEEZZNS1_14partition_implILS5_6ELb0ES3_mN6thrust23THRUST_200600_302600_NS6detail15normal_iteratorINSA_10device_ptrItEEEEPS6_SG_NS0_5tupleIJNSA_16discard_iteratorINSA_11use_defaultEEES6_EEENSH_IJSG_SG_EEES6_PlJNSB_9not_fun_tINSB_14equal_to_valueItEEEEEEE10hipError_tPvRmT3_T4_T5_T6_T7_T9_mT8_P12ihipStream_tbDpT10_ENKUlT_T0_E_clISt17integral_constantIbLb0EES1A_IbLb1EEEEDaS16_S17_EUlS16_E_NS1_11comp_targetILNS1_3genE0ELNS1_11target_archE4294967295ELNS1_3gpuE0ELNS1_3repE0EEENS1_30default_config_static_selectorELNS0_4arch9wavefront6targetE0EEEvT1_.has_dyn_sized_stack, 0
	.set _ZN7rocprim17ROCPRIM_400000_NS6detail17trampoline_kernelINS0_14default_configENS1_25partition_config_selectorILNS1_17partition_subalgoE6EtNS0_10empty_typeEbEEZZNS1_14partition_implILS5_6ELb0ES3_mN6thrust23THRUST_200600_302600_NS6detail15normal_iteratorINSA_10device_ptrItEEEEPS6_SG_NS0_5tupleIJNSA_16discard_iteratorINSA_11use_defaultEEES6_EEENSH_IJSG_SG_EEES6_PlJNSB_9not_fun_tINSB_14equal_to_valueItEEEEEEE10hipError_tPvRmT3_T4_T5_T6_T7_T9_mT8_P12ihipStream_tbDpT10_ENKUlT_T0_E_clISt17integral_constantIbLb0EES1A_IbLb1EEEEDaS16_S17_EUlS16_E_NS1_11comp_targetILNS1_3genE0ELNS1_11target_archE4294967295ELNS1_3gpuE0ELNS1_3repE0EEENS1_30default_config_static_selectorELNS0_4arch9wavefront6targetE0EEEvT1_.has_recursion, 0
	.set _ZN7rocprim17ROCPRIM_400000_NS6detail17trampoline_kernelINS0_14default_configENS1_25partition_config_selectorILNS1_17partition_subalgoE6EtNS0_10empty_typeEbEEZZNS1_14partition_implILS5_6ELb0ES3_mN6thrust23THRUST_200600_302600_NS6detail15normal_iteratorINSA_10device_ptrItEEEEPS6_SG_NS0_5tupleIJNSA_16discard_iteratorINSA_11use_defaultEEES6_EEENSH_IJSG_SG_EEES6_PlJNSB_9not_fun_tINSB_14equal_to_valueItEEEEEEE10hipError_tPvRmT3_T4_T5_T6_T7_T9_mT8_P12ihipStream_tbDpT10_ENKUlT_T0_E_clISt17integral_constantIbLb0EES1A_IbLb1EEEEDaS16_S17_EUlS16_E_NS1_11comp_targetILNS1_3genE0ELNS1_11target_archE4294967295ELNS1_3gpuE0ELNS1_3repE0EEENS1_30default_config_static_selectorELNS0_4arch9wavefront6targetE0EEEvT1_.has_indirect_call, 0
	.section	.AMDGPU.csdata,"",@progbits
; Kernel info:
; codeLenInByte = 0
; TotalNumSgprs: 0
; NumVgprs: 0
; ScratchSize: 0
; MemoryBound: 0
; FloatMode: 240
; IeeeMode: 1
; LDSByteSize: 0 bytes/workgroup (compile time only)
; SGPRBlocks: 0
; VGPRBlocks: 0
; NumSGPRsForWavesPerEU: 1
; NumVGPRsForWavesPerEU: 1
; Occupancy: 16
; WaveLimiterHint : 0
; COMPUTE_PGM_RSRC2:SCRATCH_EN: 0
; COMPUTE_PGM_RSRC2:USER_SGPR: 2
; COMPUTE_PGM_RSRC2:TRAP_HANDLER: 0
; COMPUTE_PGM_RSRC2:TGID_X_EN: 1
; COMPUTE_PGM_RSRC2:TGID_Y_EN: 0
; COMPUTE_PGM_RSRC2:TGID_Z_EN: 0
; COMPUTE_PGM_RSRC2:TIDIG_COMP_CNT: 0
	.section	.text._ZN7rocprim17ROCPRIM_400000_NS6detail17trampoline_kernelINS0_14default_configENS1_25partition_config_selectorILNS1_17partition_subalgoE6EtNS0_10empty_typeEbEEZZNS1_14partition_implILS5_6ELb0ES3_mN6thrust23THRUST_200600_302600_NS6detail15normal_iteratorINSA_10device_ptrItEEEEPS6_SG_NS0_5tupleIJNSA_16discard_iteratorINSA_11use_defaultEEES6_EEENSH_IJSG_SG_EEES6_PlJNSB_9not_fun_tINSB_14equal_to_valueItEEEEEEE10hipError_tPvRmT3_T4_T5_T6_T7_T9_mT8_P12ihipStream_tbDpT10_ENKUlT_T0_E_clISt17integral_constantIbLb0EES1A_IbLb1EEEEDaS16_S17_EUlS16_E_NS1_11comp_targetILNS1_3genE5ELNS1_11target_archE942ELNS1_3gpuE9ELNS1_3repE0EEENS1_30default_config_static_selectorELNS0_4arch9wavefront6targetE0EEEvT1_,"axG",@progbits,_ZN7rocprim17ROCPRIM_400000_NS6detail17trampoline_kernelINS0_14default_configENS1_25partition_config_selectorILNS1_17partition_subalgoE6EtNS0_10empty_typeEbEEZZNS1_14partition_implILS5_6ELb0ES3_mN6thrust23THRUST_200600_302600_NS6detail15normal_iteratorINSA_10device_ptrItEEEEPS6_SG_NS0_5tupleIJNSA_16discard_iteratorINSA_11use_defaultEEES6_EEENSH_IJSG_SG_EEES6_PlJNSB_9not_fun_tINSB_14equal_to_valueItEEEEEEE10hipError_tPvRmT3_T4_T5_T6_T7_T9_mT8_P12ihipStream_tbDpT10_ENKUlT_T0_E_clISt17integral_constantIbLb0EES1A_IbLb1EEEEDaS16_S17_EUlS16_E_NS1_11comp_targetILNS1_3genE5ELNS1_11target_archE942ELNS1_3gpuE9ELNS1_3repE0EEENS1_30default_config_static_selectorELNS0_4arch9wavefront6targetE0EEEvT1_,comdat
	.protected	_ZN7rocprim17ROCPRIM_400000_NS6detail17trampoline_kernelINS0_14default_configENS1_25partition_config_selectorILNS1_17partition_subalgoE6EtNS0_10empty_typeEbEEZZNS1_14partition_implILS5_6ELb0ES3_mN6thrust23THRUST_200600_302600_NS6detail15normal_iteratorINSA_10device_ptrItEEEEPS6_SG_NS0_5tupleIJNSA_16discard_iteratorINSA_11use_defaultEEES6_EEENSH_IJSG_SG_EEES6_PlJNSB_9not_fun_tINSB_14equal_to_valueItEEEEEEE10hipError_tPvRmT3_T4_T5_T6_T7_T9_mT8_P12ihipStream_tbDpT10_ENKUlT_T0_E_clISt17integral_constantIbLb0EES1A_IbLb1EEEEDaS16_S17_EUlS16_E_NS1_11comp_targetILNS1_3genE5ELNS1_11target_archE942ELNS1_3gpuE9ELNS1_3repE0EEENS1_30default_config_static_selectorELNS0_4arch9wavefront6targetE0EEEvT1_ ; -- Begin function _ZN7rocprim17ROCPRIM_400000_NS6detail17trampoline_kernelINS0_14default_configENS1_25partition_config_selectorILNS1_17partition_subalgoE6EtNS0_10empty_typeEbEEZZNS1_14partition_implILS5_6ELb0ES3_mN6thrust23THRUST_200600_302600_NS6detail15normal_iteratorINSA_10device_ptrItEEEEPS6_SG_NS0_5tupleIJNSA_16discard_iteratorINSA_11use_defaultEEES6_EEENSH_IJSG_SG_EEES6_PlJNSB_9not_fun_tINSB_14equal_to_valueItEEEEEEE10hipError_tPvRmT3_T4_T5_T6_T7_T9_mT8_P12ihipStream_tbDpT10_ENKUlT_T0_E_clISt17integral_constantIbLb0EES1A_IbLb1EEEEDaS16_S17_EUlS16_E_NS1_11comp_targetILNS1_3genE5ELNS1_11target_archE942ELNS1_3gpuE9ELNS1_3repE0EEENS1_30default_config_static_selectorELNS0_4arch9wavefront6targetE0EEEvT1_
	.globl	_ZN7rocprim17ROCPRIM_400000_NS6detail17trampoline_kernelINS0_14default_configENS1_25partition_config_selectorILNS1_17partition_subalgoE6EtNS0_10empty_typeEbEEZZNS1_14partition_implILS5_6ELb0ES3_mN6thrust23THRUST_200600_302600_NS6detail15normal_iteratorINSA_10device_ptrItEEEEPS6_SG_NS0_5tupleIJNSA_16discard_iteratorINSA_11use_defaultEEES6_EEENSH_IJSG_SG_EEES6_PlJNSB_9not_fun_tINSB_14equal_to_valueItEEEEEEE10hipError_tPvRmT3_T4_T5_T6_T7_T9_mT8_P12ihipStream_tbDpT10_ENKUlT_T0_E_clISt17integral_constantIbLb0EES1A_IbLb1EEEEDaS16_S17_EUlS16_E_NS1_11comp_targetILNS1_3genE5ELNS1_11target_archE942ELNS1_3gpuE9ELNS1_3repE0EEENS1_30default_config_static_selectorELNS0_4arch9wavefront6targetE0EEEvT1_
	.p2align	8
	.type	_ZN7rocprim17ROCPRIM_400000_NS6detail17trampoline_kernelINS0_14default_configENS1_25partition_config_selectorILNS1_17partition_subalgoE6EtNS0_10empty_typeEbEEZZNS1_14partition_implILS5_6ELb0ES3_mN6thrust23THRUST_200600_302600_NS6detail15normal_iteratorINSA_10device_ptrItEEEEPS6_SG_NS0_5tupleIJNSA_16discard_iteratorINSA_11use_defaultEEES6_EEENSH_IJSG_SG_EEES6_PlJNSB_9not_fun_tINSB_14equal_to_valueItEEEEEEE10hipError_tPvRmT3_T4_T5_T6_T7_T9_mT8_P12ihipStream_tbDpT10_ENKUlT_T0_E_clISt17integral_constantIbLb0EES1A_IbLb1EEEEDaS16_S17_EUlS16_E_NS1_11comp_targetILNS1_3genE5ELNS1_11target_archE942ELNS1_3gpuE9ELNS1_3repE0EEENS1_30default_config_static_selectorELNS0_4arch9wavefront6targetE0EEEvT1_,@function
_ZN7rocprim17ROCPRIM_400000_NS6detail17trampoline_kernelINS0_14default_configENS1_25partition_config_selectorILNS1_17partition_subalgoE6EtNS0_10empty_typeEbEEZZNS1_14partition_implILS5_6ELb0ES3_mN6thrust23THRUST_200600_302600_NS6detail15normal_iteratorINSA_10device_ptrItEEEEPS6_SG_NS0_5tupleIJNSA_16discard_iteratorINSA_11use_defaultEEES6_EEENSH_IJSG_SG_EEES6_PlJNSB_9not_fun_tINSB_14equal_to_valueItEEEEEEE10hipError_tPvRmT3_T4_T5_T6_T7_T9_mT8_P12ihipStream_tbDpT10_ENKUlT_T0_E_clISt17integral_constantIbLb0EES1A_IbLb1EEEEDaS16_S17_EUlS16_E_NS1_11comp_targetILNS1_3genE5ELNS1_11target_archE942ELNS1_3gpuE9ELNS1_3repE0EEENS1_30default_config_static_selectorELNS0_4arch9wavefront6targetE0EEEvT1_: ; @_ZN7rocprim17ROCPRIM_400000_NS6detail17trampoline_kernelINS0_14default_configENS1_25partition_config_selectorILNS1_17partition_subalgoE6EtNS0_10empty_typeEbEEZZNS1_14partition_implILS5_6ELb0ES3_mN6thrust23THRUST_200600_302600_NS6detail15normal_iteratorINSA_10device_ptrItEEEEPS6_SG_NS0_5tupleIJNSA_16discard_iteratorINSA_11use_defaultEEES6_EEENSH_IJSG_SG_EEES6_PlJNSB_9not_fun_tINSB_14equal_to_valueItEEEEEEE10hipError_tPvRmT3_T4_T5_T6_T7_T9_mT8_P12ihipStream_tbDpT10_ENKUlT_T0_E_clISt17integral_constantIbLb0EES1A_IbLb1EEEEDaS16_S17_EUlS16_E_NS1_11comp_targetILNS1_3genE5ELNS1_11target_archE942ELNS1_3gpuE9ELNS1_3repE0EEENS1_30default_config_static_selectorELNS0_4arch9wavefront6targetE0EEEvT1_
; %bb.0:
	.section	.rodata,"a",@progbits
	.p2align	6, 0x0
	.amdhsa_kernel _ZN7rocprim17ROCPRIM_400000_NS6detail17trampoline_kernelINS0_14default_configENS1_25partition_config_selectorILNS1_17partition_subalgoE6EtNS0_10empty_typeEbEEZZNS1_14partition_implILS5_6ELb0ES3_mN6thrust23THRUST_200600_302600_NS6detail15normal_iteratorINSA_10device_ptrItEEEEPS6_SG_NS0_5tupleIJNSA_16discard_iteratorINSA_11use_defaultEEES6_EEENSH_IJSG_SG_EEES6_PlJNSB_9not_fun_tINSB_14equal_to_valueItEEEEEEE10hipError_tPvRmT3_T4_T5_T6_T7_T9_mT8_P12ihipStream_tbDpT10_ENKUlT_T0_E_clISt17integral_constantIbLb0EES1A_IbLb1EEEEDaS16_S17_EUlS16_E_NS1_11comp_targetILNS1_3genE5ELNS1_11target_archE942ELNS1_3gpuE9ELNS1_3repE0EEENS1_30default_config_static_selectorELNS0_4arch9wavefront6targetE0EEEvT1_
		.amdhsa_group_segment_fixed_size 0
		.amdhsa_private_segment_fixed_size 0
		.amdhsa_kernarg_size 136
		.amdhsa_user_sgpr_count 2
		.amdhsa_user_sgpr_dispatch_ptr 0
		.amdhsa_user_sgpr_queue_ptr 0
		.amdhsa_user_sgpr_kernarg_segment_ptr 1
		.amdhsa_user_sgpr_dispatch_id 0
		.amdhsa_user_sgpr_private_segment_size 0
		.amdhsa_wavefront_size32 1
		.amdhsa_uses_dynamic_stack 0
		.amdhsa_enable_private_segment 0
		.amdhsa_system_sgpr_workgroup_id_x 1
		.amdhsa_system_sgpr_workgroup_id_y 0
		.amdhsa_system_sgpr_workgroup_id_z 0
		.amdhsa_system_sgpr_workgroup_info 0
		.amdhsa_system_vgpr_workitem_id 0
		.amdhsa_next_free_vgpr 1
		.amdhsa_next_free_sgpr 1
		.amdhsa_reserve_vcc 0
		.amdhsa_float_round_mode_32 0
		.amdhsa_float_round_mode_16_64 0
		.amdhsa_float_denorm_mode_32 3
		.amdhsa_float_denorm_mode_16_64 3
		.amdhsa_fp16_overflow 0
		.amdhsa_workgroup_processor_mode 1
		.amdhsa_memory_ordered 1
		.amdhsa_forward_progress 1
		.amdhsa_inst_pref_size 0
		.amdhsa_round_robin_scheduling 0
		.amdhsa_exception_fp_ieee_invalid_op 0
		.amdhsa_exception_fp_denorm_src 0
		.amdhsa_exception_fp_ieee_div_zero 0
		.amdhsa_exception_fp_ieee_overflow 0
		.amdhsa_exception_fp_ieee_underflow 0
		.amdhsa_exception_fp_ieee_inexact 0
		.amdhsa_exception_int_div_zero 0
	.end_amdhsa_kernel
	.section	.text._ZN7rocprim17ROCPRIM_400000_NS6detail17trampoline_kernelINS0_14default_configENS1_25partition_config_selectorILNS1_17partition_subalgoE6EtNS0_10empty_typeEbEEZZNS1_14partition_implILS5_6ELb0ES3_mN6thrust23THRUST_200600_302600_NS6detail15normal_iteratorINSA_10device_ptrItEEEEPS6_SG_NS0_5tupleIJNSA_16discard_iteratorINSA_11use_defaultEEES6_EEENSH_IJSG_SG_EEES6_PlJNSB_9not_fun_tINSB_14equal_to_valueItEEEEEEE10hipError_tPvRmT3_T4_T5_T6_T7_T9_mT8_P12ihipStream_tbDpT10_ENKUlT_T0_E_clISt17integral_constantIbLb0EES1A_IbLb1EEEEDaS16_S17_EUlS16_E_NS1_11comp_targetILNS1_3genE5ELNS1_11target_archE942ELNS1_3gpuE9ELNS1_3repE0EEENS1_30default_config_static_selectorELNS0_4arch9wavefront6targetE0EEEvT1_,"axG",@progbits,_ZN7rocprim17ROCPRIM_400000_NS6detail17trampoline_kernelINS0_14default_configENS1_25partition_config_selectorILNS1_17partition_subalgoE6EtNS0_10empty_typeEbEEZZNS1_14partition_implILS5_6ELb0ES3_mN6thrust23THRUST_200600_302600_NS6detail15normal_iteratorINSA_10device_ptrItEEEEPS6_SG_NS0_5tupleIJNSA_16discard_iteratorINSA_11use_defaultEEES6_EEENSH_IJSG_SG_EEES6_PlJNSB_9not_fun_tINSB_14equal_to_valueItEEEEEEE10hipError_tPvRmT3_T4_T5_T6_T7_T9_mT8_P12ihipStream_tbDpT10_ENKUlT_T0_E_clISt17integral_constantIbLb0EES1A_IbLb1EEEEDaS16_S17_EUlS16_E_NS1_11comp_targetILNS1_3genE5ELNS1_11target_archE942ELNS1_3gpuE9ELNS1_3repE0EEENS1_30default_config_static_selectorELNS0_4arch9wavefront6targetE0EEEvT1_,comdat
.Lfunc_end1718:
	.size	_ZN7rocprim17ROCPRIM_400000_NS6detail17trampoline_kernelINS0_14default_configENS1_25partition_config_selectorILNS1_17partition_subalgoE6EtNS0_10empty_typeEbEEZZNS1_14partition_implILS5_6ELb0ES3_mN6thrust23THRUST_200600_302600_NS6detail15normal_iteratorINSA_10device_ptrItEEEEPS6_SG_NS0_5tupleIJNSA_16discard_iteratorINSA_11use_defaultEEES6_EEENSH_IJSG_SG_EEES6_PlJNSB_9not_fun_tINSB_14equal_to_valueItEEEEEEE10hipError_tPvRmT3_T4_T5_T6_T7_T9_mT8_P12ihipStream_tbDpT10_ENKUlT_T0_E_clISt17integral_constantIbLb0EES1A_IbLb1EEEEDaS16_S17_EUlS16_E_NS1_11comp_targetILNS1_3genE5ELNS1_11target_archE942ELNS1_3gpuE9ELNS1_3repE0EEENS1_30default_config_static_selectorELNS0_4arch9wavefront6targetE0EEEvT1_, .Lfunc_end1718-_ZN7rocprim17ROCPRIM_400000_NS6detail17trampoline_kernelINS0_14default_configENS1_25partition_config_selectorILNS1_17partition_subalgoE6EtNS0_10empty_typeEbEEZZNS1_14partition_implILS5_6ELb0ES3_mN6thrust23THRUST_200600_302600_NS6detail15normal_iteratorINSA_10device_ptrItEEEEPS6_SG_NS0_5tupleIJNSA_16discard_iteratorINSA_11use_defaultEEES6_EEENSH_IJSG_SG_EEES6_PlJNSB_9not_fun_tINSB_14equal_to_valueItEEEEEEE10hipError_tPvRmT3_T4_T5_T6_T7_T9_mT8_P12ihipStream_tbDpT10_ENKUlT_T0_E_clISt17integral_constantIbLb0EES1A_IbLb1EEEEDaS16_S17_EUlS16_E_NS1_11comp_targetILNS1_3genE5ELNS1_11target_archE942ELNS1_3gpuE9ELNS1_3repE0EEENS1_30default_config_static_selectorELNS0_4arch9wavefront6targetE0EEEvT1_
                                        ; -- End function
	.set _ZN7rocprim17ROCPRIM_400000_NS6detail17trampoline_kernelINS0_14default_configENS1_25partition_config_selectorILNS1_17partition_subalgoE6EtNS0_10empty_typeEbEEZZNS1_14partition_implILS5_6ELb0ES3_mN6thrust23THRUST_200600_302600_NS6detail15normal_iteratorINSA_10device_ptrItEEEEPS6_SG_NS0_5tupleIJNSA_16discard_iteratorINSA_11use_defaultEEES6_EEENSH_IJSG_SG_EEES6_PlJNSB_9not_fun_tINSB_14equal_to_valueItEEEEEEE10hipError_tPvRmT3_T4_T5_T6_T7_T9_mT8_P12ihipStream_tbDpT10_ENKUlT_T0_E_clISt17integral_constantIbLb0EES1A_IbLb1EEEEDaS16_S17_EUlS16_E_NS1_11comp_targetILNS1_3genE5ELNS1_11target_archE942ELNS1_3gpuE9ELNS1_3repE0EEENS1_30default_config_static_selectorELNS0_4arch9wavefront6targetE0EEEvT1_.num_vgpr, 0
	.set _ZN7rocprim17ROCPRIM_400000_NS6detail17trampoline_kernelINS0_14default_configENS1_25partition_config_selectorILNS1_17partition_subalgoE6EtNS0_10empty_typeEbEEZZNS1_14partition_implILS5_6ELb0ES3_mN6thrust23THRUST_200600_302600_NS6detail15normal_iteratorINSA_10device_ptrItEEEEPS6_SG_NS0_5tupleIJNSA_16discard_iteratorINSA_11use_defaultEEES6_EEENSH_IJSG_SG_EEES6_PlJNSB_9not_fun_tINSB_14equal_to_valueItEEEEEEE10hipError_tPvRmT3_T4_T5_T6_T7_T9_mT8_P12ihipStream_tbDpT10_ENKUlT_T0_E_clISt17integral_constantIbLb0EES1A_IbLb1EEEEDaS16_S17_EUlS16_E_NS1_11comp_targetILNS1_3genE5ELNS1_11target_archE942ELNS1_3gpuE9ELNS1_3repE0EEENS1_30default_config_static_selectorELNS0_4arch9wavefront6targetE0EEEvT1_.num_agpr, 0
	.set _ZN7rocprim17ROCPRIM_400000_NS6detail17trampoline_kernelINS0_14default_configENS1_25partition_config_selectorILNS1_17partition_subalgoE6EtNS0_10empty_typeEbEEZZNS1_14partition_implILS5_6ELb0ES3_mN6thrust23THRUST_200600_302600_NS6detail15normal_iteratorINSA_10device_ptrItEEEEPS6_SG_NS0_5tupleIJNSA_16discard_iteratorINSA_11use_defaultEEES6_EEENSH_IJSG_SG_EEES6_PlJNSB_9not_fun_tINSB_14equal_to_valueItEEEEEEE10hipError_tPvRmT3_T4_T5_T6_T7_T9_mT8_P12ihipStream_tbDpT10_ENKUlT_T0_E_clISt17integral_constantIbLb0EES1A_IbLb1EEEEDaS16_S17_EUlS16_E_NS1_11comp_targetILNS1_3genE5ELNS1_11target_archE942ELNS1_3gpuE9ELNS1_3repE0EEENS1_30default_config_static_selectorELNS0_4arch9wavefront6targetE0EEEvT1_.numbered_sgpr, 0
	.set _ZN7rocprim17ROCPRIM_400000_NS6detail17trampoline_kernelINS0_14default_configENS1_25partition_config_selectorILNS1_17partition_subalgoE6EtNS0_10empty_typeEbEEZZNS1_14partition_implILS5_6ELb0ES3_mN6thrust23THRUST_200600_302600_NS6detail15normal_iteratorINSA_10device_ptrItEEEEPS6_SG_NS0_5tupleIJNSA_16discard_iteratorINSA_11use_defaultEEES6_EEENSH_IJSG_SG_EEES6_PlJNSB_9not_fun_tINSB_14equal_to_valueItEEEEEEE10hipError_tPvRmT3_T4_T5_T6_T7_T9_mT8_P12ihipStream_tbDpT10_ENKUlT_T0_E_clISt17integral_constantIbLb0EES1A_IbLb1EEEEDaS16_S17_EUlS16_E_NS1_11comp_targetILNS1_3genE5ELNS1_11target_archE942ELNS1_3gpuE9ELNS1_3repE0EEENS1_30default_config_static_selectorELNS0_4arch9wavefront6targetE0EEEvT1_.num_named_barrier, 0
	.set _ZN7rocprim17ROCPRIM_400000_NS6detail17trampoline_kernelINS0_14default_configENS1_25partition_config_selectorILNS1_17partition_subalgoE6EtNS0_10empty_typeEbEEZZNS1_14partition_implILS5_6ELb0ES3_mN6thrust23THRUST_200600_302600_NS6detail15normal_iteratorINSA_10device_ptrItEEEEPS6_SG_NS0_5tupleIJNSA_16discard_iteratorINSA_11use_defaultEEES6_EEENSH_IJSG_SG_EEES6_PlJNSB_9not_fun_tINSB_14equal_to_valueItEEEEEEE10hipError_tPvRmT3_T4_T5_T6_T7_T9_mT8_P12ihipStream_tbDpT10_ENKUlT_T0_E_clISt17integral_constantIbLb0EES1A_IbLb1EEEEDaS16_S17_EUlS16_E_NS1_11comp_targetILNS1_3genE5ELNS1_11target_archE942ELNS1_3gpuE9ELNS1_3repE0EEENS1_30default_config_static_selectorELNS0_4arch9wavefront6targetE0EEEvT1_.private_seg_size, 0
	.set _ZN7rocprim17ROCPRIM_400000_NS6detail17trampoline_kernelINS0_14default_configENS1_25partition_config_selectorILNS1_17partition_subalgoE6EtNS0_10empty_typeEbEEZZNS1_14partition_implILS5_6ELb0ES3_mN6thrust23THRUST_200600_302600_NS6detail15normal_iteratorINSA_10device_ptrItEEEEPS6_SG_NS0_5tupleIJNSA_16discard_iteratorINSA_11use_defaultEEES6_EEENSH_IJSG_SG_EEES6_PlJNSB_9not_fun_tINSB_14equal_to_valueItEEEEEEE10hipError_tPvRmT3_T4_T5_T6_T7_T9_mT8_P12ihipStream_tbDpT10_ENKUlT_T0_E_clISt17integral_constantIbLb0EES1A_IbLb1EEEEDaS16_S17_EUlS16_E_NS1_11comp_targetILNS1_3genE5ELNS1_11target_archE942ELNS1_3gpuE9ELNS1_3repE0EEENS1_30default_config_static_selectorELNS0_4arch9wavefront6targetE0EEEvT1_.uses_vcc, 0
	.set _ZN7rocprim17ROCPRIM_400000_NS6detail17trampoline_kernelINS0_14default_configENS1_25partition_config_selectorILNS1_17partition_subalgoE6EtNS0_10empty_typeEbEEZZNS1_14partition_implILS5_6ELb0ES3_mN6thrust23THRUST_200600_302600_NS6detail15normal_iteratorINSA_10device_ptrItEEEEPS6_SG_NS0_5tupleIJNSA_16discard_iteratorINSA_11use_defaultEEES6_EEENSH_IJSG_SG_EEES6_PlJNSB_9not_fun_tINSB_14equal_to_valueItEEEEEEE10hipError_tPvRmT3_T4_T5_T6_T7_T9_mT8_P12ihipStream_tbDpT10_ENKUlT_T0_E_clISt17integral_constantIbLb0EES1A_IbLb1EEEEDaS16_S17_EUlS16_E_NS1_11comp_targetILNS1_3genE5ELNS1_11target_archE942ELNS1_3gpuE9ELNS1_3repE0EEENS1_30default_config_static_selectorELNS0_4arch9wavefront6targetE0EEEvT1_.uses_flat_scratch, 0
	.set _ZN7rocprim17ROCPRIM_400000_NS6detail17trampoline_kernelINS0_14default_configENS1_25partition_config_selectorILNS1_17partition_subalgoE6EtNS0_10empty_typeEbEEZZNS1_14partition_implILS5_6ELb0ES3_mN6thrust23THRUST_200600_302600_NS6detail15normal_iteratorINSA_10device_ptrItEEEEPS6_SG_NS0_5tupleIJNSA_16discard_iteratorINSA_11use_defaultEEES6_EEENSH_IJSG_SG_EEES6_PlJNSB_9not_fun_tINSB_14equal_to_valueItEEEEEEE10hipError_tPvRmT3_T4_T5_T6_T7_T9_mT8_P12ihipStream_tbDpT10_ENKUlT_T0_E_clISt17integral_constantIbLb0EES1A_IbLb1EEEEDaS16_S17_EUlS16_E_NS1_11comp_targetILNS1_3genE5ELNS1_11target_archE942ELNS1_3gpuE9ELNS1_3repE0EEENS1_30default_config_static_selectorELNS0_4arch9wavefront6targetE0EEEvT1_.has_dyn_sized_stack, 0
	.set _ZN7rocprim17ROCPRIM_400000_NS6detail17trampoline_kernelINS0_14default_configENS1_25partition_config_selectorILNS1_17partition_subalgoE6EtNS0_10empty_typeEbEEZZNS1_14partition_implILS5_6ELb0ES3_mN6thrust23THRUST_200600_302600_NS6detail15normal_iteratorINSA_10device_ptrItEEEEPS6_SG_NS0_5tupleIJNSA_16discard_iteratorINSA_11use_defaultEEES6_EEENSH_IJSG_SG_EEES6_PlJNSB_9not_fun_tINSB_14equal_to_valueItEEEEEEE10hipError_tPvRmT3_T4_T5_T6_T7_T9_mT8_P12ihipStream_tbDpT10_ENKUlT_T0_E_clISt17integral_constantIbLb0EES1A_IbLb1EEEEDaS16_S17_EUlS16_E_NS1_11comp_targetILNS1_3genE5ELNS1_11target_archE942ELNS1_3gpuE9ELNS1_3repE0EEENS1_30default_config_static_selectorELNS0_4arch9wavefront6targetE0EEEvT1_.has_recursion, 0
	.set _ZN7rocprim17ROCPRIM_400000_NS6detail17trampoline_kernelINS0_14default_configENS1_25partition_config_selectorILNS1_17partition_subalgoE6EtNS0_10empty_typeEbEEZZNS1_14partition_implILS5_6ELb0ES3_mN6thrust23THRUST_200600_302600_NS6detail15normal_iteratorINSA_10device_ptrItEEEEPS6_SG_NS0_5tupleIJNSA_16discard_iteratorINSA_11use_defaultEEES6_EEENSH_IJSG_SG_EEES6_PlJNSB_9not_fun_tINSB_14equal_to_valueItEEEEEEE10hipError_tPvRmT3_T4_T5_T6_T7_T9_mT8_P12ihipStream_tbDpT10_ENKUlT_T0_E_clISt17integral_constantIbLb0EES1A_IbLb1EEEEDaS16_S17_EUlS16_E_NS1_11comp_targetILNS1_3genE5ELNS1_11target_archE942ELNS1_3gpuE9ELNS1_3repE0EEENS1_30default_config_static_selectorELNS0_4arch9wavefront6targetE0EEEvT1_.has_indirect_call, 0
	.section	.AMDGPU.csdata,"",@progbits
; Kernel info:
; codeLenInByte = 0
; TotalNumSgprs: 0
; NumVgprs: 0
; ScratchSize: 0
; MemoryBound: 0
; FloatMode: 240
; IeeeMode: 1
; LDSByteSize: 0 bytes/workgroup (compile time only)
; SGPRBlocks: 0
; VGPRBlocks: 0
; NumSGPRsForWavesPerEU: 1
; NumVGPRsForWavesPerEU: 1
; Occupancy: 16
; WaveLimiterHint : 0
; COMPUTE_PGM_RSRC2:SCRATCH_EN: 0
; COMPUTE_PGM_RSRC2:USER_SGPR: 2
; COMPUTE_PGM_RSRC2:TRAP_HANDLER: 0
; COMPUTE_PGM_RSRC2:TGID_X_EN: 1
; COMPUTE_PGM_RSRC2:TGID_Y_EN: 0
; COMPUTE_PGM_RSRC2:TGID_Z_EN: 0
; COMPUTE_PGM_RSRC2:TIDIG_COMP_CNT: 0
	.section	.text._ZN7rocprim17ROCPRIM_400000_NS6detail17trampoline_kernelINS0_14default_configENS1_25partition_config_selectorILNS1_17partition_subalgoE6EtNS0_10empty_typeEbEEZZNS1_14partition_implILS5_6ELb0ES3_mN6thrust23THRUST_200600_302600_NS6detail15normal_iteratorINSA_10device_ptrItEEEEPS6_SG_NS0_5tupleIJNSA_16discard_iteratorINSA_11use_defaultEEES6_EEENSH_IJSG_SG_EEES6_PlJNSB_9not_fun_tINSB_14equal_to_valueItEEEEEEE10hipError_tPvRmT3_T4_T5_T6_T7_T9_mT8_P12ihipStream_tbDpT10_ENKUlT_T0_E_clISt17integral_constantIbLb0EES1A_IbLb1EEEEDaS16_S17_EUlS16_E_NS1_11comp_targetILNS1_3genE4ELNS1_11target_archE910ELNS1_3gpuE8ELNS1_3repE0EEENS1_30default_config_static_selectorELNS0_4arch9wavefront6targetE0EEEvT1_,"axG",@progbits,_ZN7rocprim17ROCPRIM_400000_NS6detail17trampoline_kernelINS0_14default_configENS1_25partition_config_selectorILNS1_17partition_subalgoE6EtNS0_10empty_typeEbEEZZNS1_14partition_implILS5_6ELb0ES3_mN6thrust23THRUST_200600_302600_NS6detail15normal_iteratorINSA_10device_ptrItEEEEPS6_SG_NS0_5tupleIJNSA_16discard_iteratorINSA_11use_defaultEEES6_EEENSH_IJSG_SG_EEES6_PlJNSB_9not_fun_tINSB_14equal_to_valueItEEEEEEE10hipError_tPvRmT3_T4_T5_T6_T7_T9_mT8_P12ihipStream_tbDpT10_ENKUlT_T0_E_clISt17integral_constantIbLb0EES1A_IbLb1EEEEDaS16_S17_EUlS16_E_NS1_11comp_targetILNS1_3genE4ELNS1_11target_archE910ELNS1_3gpuE8ELNS1_3repE0EEENS1_30default_config_static_selectorELNS0_4arch9wavefront6targetE0EEEvT1_,comdat
	.protected	_ZN7rocprim17ROCPRIM_400000_NS6detail17trampoline_kernelINS0_14default_configENS1_25partition_config_selectorILNS1_17partition_subalgoE6EtNS0_10empty_typeEbEEZZNS1_14partition_implILS5_6ELb0ES3_mN6thrust23THRUST_200600_302600_NS6detail15normal_iteratorINSA_10device_ptrItEEEEPS6_SG_NS0_5tupleIJNSA_16discard_iteratorINSA_11use_defaultEEES6_EEENSH_IJSG_SG_EEES6_PlJNSB_9not_fun_tINSB_14equal_to_valueItEEEEEEE10hipError_tPvRmT3_T4_T5_T6_T7_T9_mT8_P12ihipStream_tbDpT10_ENKUlT_T0_E_clISt17integral_constantIbLb0EES1A_IbLb1EEEEDaS16_S17_EUlS16_E_NS1_11comp_targetILNS1_3genE4ELNS1_11target_archE910ELNS1_3gpuE8ELNS1_3repE0EEENS1_30default_config_static_selectorELNS0_4arch9wavefront6targetE0EEEvT1_ ; -- Begin function _ZN7rocprim17ROCPRIM_400000_NS6detail17trampoline_kernelINS0_14default_configENS1_25partition_config_selectorILNS1_17partition_subalgoE6EtNS0_10empty_typeEbEEZZNS1_14partition_implILS5_6ELb0ES3_mN6thrust23THRUST_200600_302600_NS6detail15normal_iteratorINSA_10device_ptrItEEEEPS6_SG_NS0_5tupleIJNSA_16discard_iteratorINSA_11use_defaultEEES6_EEENSH_IJSG_SG_EEES6_PlJNSB_9not_fun_tINSB_14equal_to_valueItEEEEEEE10hipError_tPvRmT3_T4_T5_T6_T7_T9_mT8_P12ihipStream_tbDpT10_ENKUlT_T0_E_clISt17integral_constantIbLb0EES1A_IbLb1EEEEDaS16_S17_EUlS16_E_NS1_11comp_targetILNS1_3genE4ELNS1_11target_archE910ELNS1_3gpuE8ELNS1_3repE0EEENS1_30default_config_static_selectorELNS0_4arch9wavefront6targetE0EEEvT1_
	.globl	_ZN7rocprim17ROCPRIM_400000_NS6detail17trampoline_kernelINS0_14default_configENS1_25partition_config_selectorILNS1_17partition_subalgoE6EtNS0_10empty_typeEbEEZZNS1_14partition_implILS5_6ELb0ES3_mN6thrust23THRUST_200600_302600_NS6detail15normal_iteratorINSA_10device_ptrItEEEEPS6_SG_NS0_5tupleIJNSA_16discard_iteratorINSA_11use_defaultEEES6_EEENSH_IJSG_SG_EEES6_PlJNSB_9not_fun_tINSB_14equal_to_valueItEEEEEEE10hipError_tPvRmT3_T4_T5_T6_T7_T9_mT8_P12ihipStream_tbDpT10_ENKUlT_T0_E_clISt17integral_constantIbLb0EES1A_IbLb1EEEEDaS16_S17_EUlS16_E_NS1_11comp_targetILNS1_3genE4ELNS1_11target_archE910ELNS1_3gpuE8ELNS1_3repE0EEENS1_30default_config_static_selectorELNS0_4arch9wavefront6targetE0EEEvT1_
	.p2align	8
	.type	_ZN7rocprim17ROCPRIM_400000_NS6detail17trampoline_kernelINS0_14default_configENS1_25partition_config_selectorILNS1_17partition_subalgoE6EtNS0_10empty_typeEbEEZZNS1_14partition_implILS5_6ELb0ES3_mN6thrust23THRUST_200600_302600_NS6detail15normal_iteratorINSA_10device_ptrItEEEEPS6_SG_NS0_5tupleIJNSA_16discard_iteratorINSA_11use_defaultEEES6_EEENSH_IJSG_SG_EEES6_PlJNSB_9not_fun_tINSB_14equal_to_valueItEEEEEEE10hipError_tPvRmT3_T4_T5_T6_T7_T9_mT8_P12ihipStream_tbDpT10_ENKUlT_T0_E_clISt17integral_constantIbLb0EES1A_IbLb1EEEEDaS16_S17_EUlS16_E_NS1_11comp_targetILNS1_3genE4ELNS1_11target_archE910ELNS1_3gpuE8ELNS1_3repE0EEENS1_30default_config_static_selectorELNS0_4arch9wavefront6targetE0EEEvT1_,@function
_ZN7rocprim17ROCPRIM_400000_NS6detail17trampoline_kernelINS0_14default_configENS1_25partition_config_selectorILNS1_17partition_subalgoE6EtNS0_10empty_typeEbEEZZNS1_14partition_implILS5_6ELb0ES3_mN6thrust23THRUST_200600_302600_NS6detail15normal_iteratorINSA_10device_ptrItEEEEPS6_SG_NS0_5tupleIJNSA_16discard_iteratorINSA_11use_defaultEEES6_EEENSH_IJSG_SG_EEES6_PlJNSB_9not_fun_tINSB_14equal_to_valueItEEEEEEE10hipError_tPvRmT3_T4_T5_T6_T7_T9_mT8_P12ihipStream_tbDpT10_ENKUlT_T0_E_clISt17integral_constantIbLb0EES1A_IbLb1EEEEDaS16_S17_EUlS16_E_NS1_11comp_targetILNS1_3genE4ELNS1_11target_archE910ELNS1_3gpuE8ELNS1_3repE0EEENS1_30default_config_static_selectorELNS0_4arch9wavefront6targetE0EEEvT1_: ; @_ZN7rocprim17ROCPRIM_400000_NS6detail17trampoline_kernelINS0_14default_configENS1_25partition_config_selectorILNS1_17partition_subalgoE6EtNS0_10empty_typeEbEEZZNS1_14partition_implILS5_6ELb0ES3_mN6thrust23THRUST_200600_302600_NS6detail15normal_iteratorINSA_10device_ptrItEEEEPS6_SG_NS0_5tupleIJNSA_16discard_iteratorINSA_11use_defaultEEES6_EEENSH_IJSG_SG_EEES6_PlJNSB_9not_fun_tINSB_14equal_to_valueItEEEEEEE10hipError_tPvRmT3_T4_T5_T6_T7_T9_mT8_P12ihipStream_tbDpT10_ENKUlT_T0_E_clISt17integral_constantIbLb0EES1A_IbLb1EEEEDaS16_S17_EUlS16_E_NS1_11comp_targetILNS1_3genE4ELNS1_11target_archE910ELNS1_3gpuE8ELNS1_3repE0EEENS1_30default_config_static_selectorELNS0_4arch9wavefront6targetE0EEEvT1_
; %bb.0:
	.section	.rodata,"a",@progbits
	.p2align	6, 0x0
	.amdhsa_kernel _ZN7rocprim17ROCPRIM_400000_NS6detail17trampoline_kernelINS0_14default_configENS1_25partition_config_selectorILNS1_17partition_subalgoE6EtNS0_10empty_typeEbEEZZNS1_14partition_implILS5_6ELb0ES3_mN6thrust23THRUST_200600_302600_NS6detail15normal_iteratorINSA_10device_ptrItEEEEPS6_SG_NS0_5tupleIJNSA_16discard_iteratorINSA_11use_defaultEEES6_EEENSH_IJSG_SG_EEES6_PlJNSB_9not_fun_tINSB_14equal_to_valueItEEEEEEE10hipError_tPvRmT3_T4_T5_T6_T7_T9_mT8_P12ihipStream_tbDpT10_ENKUlT_T0_E_clISt17integral_constantIbLb0EES1A_IbLb1EEEEDaS16_S17_EUlS16_E_NS1_11comp_targetILNS1_3genE4ELNS1_11target_archE910ELNS1_3gpuE8ELNS1_3repE0EEENS1_30default_config_static_selectorELNS0_4arch9wavefront6targetE0EEEvT1_
		.amdhsa_group_segment_fixed_size 0
		.amdhsa_private_segment_fixed_size 0
		.amdhsa_kernarg_size 136
		.amdhsa_user_sgpr_count 2
		.amdhsa_user_sgpr_dispatch_ptr 0
		.amdhsa_user_sgpr_queue_ptr 0
		.amdhsa_user_sgpr_kernarg_segment_ptr 1
		.amdhsa_user_sgpr_dispatch_id 0
		.amdhsa_user_sgpr_private_segment_size 0
		.amdhsa_wavefront_size32 1
		.amdhsa_uses_dynamic_stack 0
		.amdhsa_enable_private_segment 0
		.amdhsa_system_sgpr_workgroup_id_x 1
		.amdhsa_system_sgpr_workgroup_id_y 0
		.amdhsa_system_sgpr_workgroup_id_z 0
		.amdhsa_system_sgpr_workgroup_info 0
		.amdhsa_system_vgpr_workitem_id 0
		.amdhsa_next_free_vgpr 1
		.amdhsa_next_free_sgpr 1
		.amdhsa_reserve_vcc 0
		.amdhsa_float_round_mode_32 0
		.amdhsa_float_round_mode_16_64 0
		.amdhsa_float_denorm_mode_32 3
		.amdhsa_float_denorm_mode_16_64 3
		.amdhsa_fp16_overflow 0
		.amdhsa_workgroup_processor_mode 1
		.amdhsa_memory_ordered 1
		.amdhsa_forward_progress 1
		.amdhsa_inst_pref_size 0
		.amdhsa_round_robin_scheduling 0
		.amdhsa_exception_fp_ieee_invalid_op 0
		.amdhsa_exception_fp_denorm_src 0
		.amdhsa_exception_fp_ieee_div_zero 0
		.amdhsa_exception_fp_ieee_overflow 0
		.amdhsa_exception_fp_ieee_underflow 0
		.amdhsa_exception_fp_ieee_inexact 0
		.amdhsa_exception_int_div_zero 0
	.end_amdhsa_kernel
	.section	.text._ZN7rocprim17ROCPRIM_400000_NS6detail17trampoline_kernelINS0_14default_configENS1_25partition_config_selectorILNS1_17partition_subalgoE6EtNS0_10empty_typeEbEEZZNS1_14partition_implILS5_6ELb0ES3_mN6thrust23THRUST_200600_302600_NS6detail15normal_iteratorINSA_10device_ptrItEEEEPS6_SG_NS0_5tupleIJNSA_16discard_iteratorINSA_11use_defaultEEES6_EEENSH_IJSG_SG_EEES6_PlJNSB_9not_fun_tINSB_14equal_to_valueItEEEEEEE10hipError_tPvRmT3_T4_T5_T6_T7_T9_mT8_P12ihipStream_tbDpT10_ENKUlT_T0_E_clISt17integral_constantIbLb0EES1A_IbLb1EEEEDaS16_S17_EUlS16_E_NS1_11comp_targetILNS1_3genE4ELNS1_11target_archE910ELNS1_3gpuE8ELNS1_3repE0EEENS1_30default_config_static_selectorELNS0_4arch9wavefront6targetE0EEEvT1_,"axG",@progbits,_ZN7rocprim17ROCPRIM_400000_NS6detail17trampoline_kernelINS0_14default_configENS1_25partition_config_selectorILNS1_17partition_subalgoE6EtNS0_10empty_typeEbEEZZNS1_14partition_implILS5_6ELb0ES3_mN6thrust23THRUST_200600_302600_NS6detail15normal_iteratorINSA_10device_ptrItEEEEPS6_SG_NS0_5tupleIJNSA_16discard_iteratorINSA_11use_defaultEEES6_EEENSH_IJSG_SG_EEES6_PlJNSB_9not_fun_tINSB_14equal_to_valueItEEEEEEE10hipError_tPvRmT3_T4_T5_T6_T7_T9_mT8_P12ihipStream_tbDpT10_ENKUlT_T0_E_clISt17integral_constantIbLb0EES1A_IbLb1EEEEDaS16_S17_EUlS16_E_NS1_11comp_targetILNS1_3genE4ELNS1_11target_archE910ELNS1_3gpuE8ELNS1_3repE0EEENS1_30default_config_static_selectorELNS0_4arch9wavefront6targetE0EEEvT1_,comdat
.Lfunc_end1719:
	.size	_ZN7rocprim17ROCPRIM_400000_NS6detail17trampoline_kernelINS0_14default_configENS1_25partition_config_selectorILNS1_17partition_subalgoE6EtNS0_10empty_typeEbEEZZNS1_14partition_implILS5_6ELb0ES3_mN6thrust23THRUST_200600_302600_NS6detail15normal_iteratorINSA_10device_ptrItEEEEPS6_SG_NS0_5tupleIJNSA_16discard_iteratorINSA_11use_defaultEEES6_EEENSH_IJSG_SG_EEES6_PlJNSB_9not_fun_tINSB_14equal_to_valueItEEEEEEE10hipError_tPvRmT3_T4_T5_T6_T7_T9_mT8_P12ihipStream_tbDpT10_ENKUlT_T0_E_clISt17integral_constantIbLb0EES1A_IbLb1EEEEDaS16_S17_EUlS16_E_NS1_11comp_targetILNS1_3genE4ELNS1_11target_archE910ELNS1_3gpuE8ELNS1_3repE0EEENS1_30default_config_static_selectorELNS0_4arch9wavefront6targetE0EEEvT1_, .Lfunc_end1719-_ZN7rocprim17ROCPRIM_400000_NS6detail17trampoline_kernelINS0_14default_configENS1_25partition_config_selectorILNS1_17partition_subalgoE6EtNS0_10empty_typeEbEEZZNS1_14partition_implILS5_6ELb0ES3_mN6thrust23THRUST_200600_302600_NS6detail15normal_iteratorINSA_10device_ptrItEEEEPS6_SG_NS0_5tupleIJNSA_16discard_iteratorINSA_11use_defaultEEES6_EEENSH_IJSG_SG_EEES6_PlJNSB_9not_fun_tINSB_14equal_to_valueItEEEEEEE10hipError_tPvRmT3_T4_T5_T6_T7_T9_mT8_P12ihipStream_tbDpT10_ENKUlT_T0_E_clISt17integral_constantIbLb0EES1A_IbLb1EEEEDaS16_S17_EUlS16_E_NS1_11comp_targetILNS1_3genE4ELNS1_11target_archE910ELNS1_3gpuE8ELNS1_3repE0EEENS1_30default_config_static_selectorELNS0_4arch9wavefront6targetE0EEEvT1_
                                        ; -- End function
	.set _ZN7rocprim17ROCPRIM_400000_NS6detail17trampoline_kernelINS0_14default_configENS1_25partition_config_selectorILNS1_17partition_subalgoE6EtNS0_10empty_typeEbEEZZNS1_14partition_implILS5_6ELb0ES3_mN6thrust23THRUST_200600_302600_NS6detail15normal_iteratorINSA_10device_ptrItEEEEPS6_SG_NS0_5tupleIJNSA_16discard_iteratorINSA_11use_defaultEEES6_EEENSH_IJSG_SG_EEES6_PlJNSB_9not_fun_tINSB_14equal_to_valueItEEEEEEE10hipError_tPvRmT3_T4_T5_T6_T7_T9_mT8_P12ihipStream_tbDpT10_ENKUlT_T0_E_clISt17integral_constantIbLb0EES1A_IbLb1EEEEDaS16_S17_EUlS16_E_NS1_11comp_targetILNS1_3genE4ELNS1_11target_archE910ELNS1_3gpuE8ELNS1_3repE0EEENS1_30default_config_static_selectorELNS0_4arch9wavefront6targetE0EEEvT1_.num_vgpr, 0
	.set _ZN7rocprim17ROCPRIM_400000_NS6detail17trampoline_kernelINS0_14default_configENS1_25partition_config_selectorILNS1_17partition_subalgoE6EtNS0_10empty_typeEbEEZZNS1_14partition_implILS5_6ELb0ES3_mN6thrust23THRUST_200600_302600_NS6detail15normal_iteratorINSA_10device_ptrItEEEEPS6_SG_NS0_5tupleIJNSA_16discard_iteratorINSA_11use_defaultEEES6_EEENSH_IJSG_SG_EEES6_PlJNSB_9not_fun_tINSB_14equal_to_valueItEEEEEEE10hipError_tPvRmT3_T4_T5_T6_T7_T9_mT8_P12ihipStream_tbDpT10_ENKUlT_T0_E_clISt17integral_constantIbLb0EES1A_IbLb1EEEEDaS16_S17_EUlS16_E_NS1_11comp_targetILNS1_3genE4ELNS1_11target_archE910ELNS1_3gpuE8ELNS1_3repE0EEENS1_30default_config_static_selectorELNS0_4arch9wavefront6targetE0EEEvT1_.num_agpr, 0
	.set _ZN7rocprim17ROCPRIM_400000_NS6detail17trampoline_kernelINS0_14default_configENS1_25partition_config_selectorILNS1_17partition_subalgoE6EtNS0_10empty_typeEbEEZZNS1_14partition_implILS5_6ELb0ES3_mN6thrust23THRUST_200600_302600_NS6detail15normal_iteratorINSA_10device_ptrItEEEEPS6_SG_NS0_5tupleIJNSA_16discard_iteratorINSA_11use_defaultEEES6_EEENSH_IJSG_SG_EEES6_PlJNSB_9not_fun_tINSB_14equal_to_valueItEEEEEEE10hipError_tPvRmT3_T4_T5_T6_T7_T9_mT8_P12ihipStream_tbDpT10_ENKUlT_T0_E_clISt17integral_constantIbLb0EES1A_IbLb1EEEEDaS16_S17_EUlS16_E_NS1_11comp_targetILNS1_3genE4ELNS1_11target_archE910ELNS1_3gpuE8ELNS1_3repE0EEENS1_30default_config_static_selectorELNS0_4arch9wavefront6targetE0EEEvT1_.numbered_sgpr, 0
	.set _ZN7rocprim17ROCPRIM_400000_NS6detail17trampoline_kernelINS0_14default_configENS1_25partition_config_selectorILNS1_17partition_subalgoE6EtNS0_10empty_typeEbEEZZNS1_14partition_implILS5_6ELb0ES3_mN6thrust23THRUST_200600_302600_NS6detail15normal_iteratorINSA_10device_ptrItEEEEPS6_SG_NS0_5tupleIJNSA_16discard_iteratorINSA_11use_defaultEEES6_EEENSH_IJSG_SG_EEES6_PlJNSB_9not_fun_tINSB_14equal_to_valueItEEEEEEE10hipError_tPvRmT3_T4_T5_T6_T7_T9_mT8_P12ihipStream_tbDpT10_ENKUlT_T0_E_clISt17integral_constantIbLb0EES1A_IbLb1EEEEDaS16_S17_EUlS16_E_NS1_11comp_targetILNS1_3genE4ELNS1_11target_archE910ELNS1_3gpuE8ELNS1_3repE0EEENS1_30default_config_static_selectorELNS0_4arch9wavefront6targetE0EEEvT1_.num_named_barrier, 0
	.set _ZN7rocprim17ROCPRIM_400000_NS6detail17trampoline_kernelINS0_14default_configENS1_25partition_config_selectorILNS1_17partition_subalgoE6EtNS0_10empty_typeEbEEZZNS1_14partition_implILS5_6ELb0ES3_mN6thrust23THRUST_200600_302600_NS6detail15normal_iteratorINSA_10device_ptrItEEEEPS6_SG_NS0_5tupleIJNSA_16discard_iteratorINSA_11use_defaultEEES6_EEENSH_IJSG_SG_EEES6_PlJNSB_9not_fun_tINSB_14equal_to_valueItEEEEEEE10hipError_tPvRmT3_T4_T5_T6_T7_T9_mT8_P12ihipStream_tbDpT10_ENKUlT_T0_E_clISt17integral_constantIbLb0EES1A_IbLb1EEEEDaS16_S17_EUlS16_E_NS1_11comp_targetILNS1_3genE4ELNS1_11target_archE910ELNS1_3gpuE8ELNS1_3repE0EEENS1_30default_config_static_selectorELNS0_4arch9wavefront6targetE0EEEvT1_.private_seg_size, 0
	.set _ZN7rocprim17ROCPRIM_400000_NS6detail17trampoline_kernelINS0_14default_configENS1_25partition_config_selectorILNS1_17partition_subalgoE6EtNS0_10empty_typeEbEEZZNS1_14partition_implILS5_6ELb0ES3_mN6thrust23THRUST_200600_302600_NS6detail15normal_iteratorINSA_10device_ptrItEEEEPS6_SG_NS0_5tupleIJNSA_16discard_iteratorINSA_11use_defaultEEES6_EEENSH_IJSG_SG_EEES6_PlJNSB_9not_fun_tINSB_14equal_to_valueItEEEEEEE10hipError_tPvRmT3_T4_T5_T6_T7_T9_mT8_P12ihipStream_tbDpT10_ENKUlT_T0_E_clISt17integral_constantIbLb0EES1A_IbLb1EEEEDaS16_S17_EUlS16_E_NS1_11comp_targetILNS1_3genE4ELNS1_11target_archE910ELNS1_3gpuE8ELNS1_3repE0EEENS1_30default_config_static_selectorELNS0_4arch9wavefront6targetE0EEEvT1_.uses_vcc, 0
	.set _ZN7rocprim17ROCPRIM_400000_NS6detail17trampoline_kernelINS0_14default_configENS1_25partition_config_selectorILNS1_17partition_subalgoE6EtNS0_10empty_typeEbEEZZNS1_14partition_implILS5_6ELb0ES3_mN6thrust23THRUST_200600_302600_NS6detail15normal_iteratorINSA_10device_ptrItEEEEPS6_SG_NS0_5tupleIJNSA_16discard_iteratorINSA_11use_defaultEEES6_EEENSH_IJSG_SG_EEES6_PlJNSB_9not_fun_tINSB_14equal_to_valueItEEEEEEE10hipError_tPvRmT3_T4_T5_T6_T7_T9_mT8_P12ihipStream_tbDpT10_ENKUlT_T0_E_clISt17integral_constantIbLb0EES1A_IbLb1EEEEDaS16_S17_EUlS16_E_NS1_11comp_targetILNS1_3genE4ELNS1_11target_archE910ELNS1_3gpuE8ELNS1_3repE0EEENS1_30default_config_static_selectorELNS0_4arch9wavefront6targetE0EEEvT1_.uses_flat_scratch, 0
	.set _ZN7rocprim17ROCPRIM_400000_NS6detail17trampoline_kernelINS0_14default_configENS1_25partition_config_selectorILNS1_17partition_subalgoE6EtNS0_10empty_typeEbEEZZNS1_14partition_implILS5_6ELb0ES3_mN6thrust23THRUST_200600_302600_NS6detail15normal_iteratorINSA_10device_ptrItEEEEPS6_SG_NS0_5tupleIJNSA_16discard_iteratorINSA_11use_defaultEEES6_EEENSH_IJSG_SG_EEES6_PlJNSB_9not_fun_tINSB_14equal_to_valueItEEEEEEE10hipError_tPvRmT3_T4_T5_T6_T7_T9_mT8_P12ihipStream_tbDpT10_ENKUlT_T0_E_clISt17integral_constantIbLb0EES1A_IbLb1EEEEDaS16_S17_EUlS16_E_NS1_11comp_targetILNS1_3genE4ELNS1_11target_archE910ELNS1_3gpuE8ELNS1_3repE0EEENS1_30default_config_static_selectorELNS0_4arch9wavefront6targetE0EEEvT1_.has_dyn_sized_stack, 0
	.set _ZN7rocprim17ROCPRIM_400000_NS6detail17trampoline_kernelINS0_14default_configENS1_25partition_config_selectorILNS1_17partition_subalgoE6EtNS0_10empty_typeEbEEZZNS1_14partition_implILS5_6ELb0ES3_mN6thrust23THRUST_200600_302600_NS6detail15normal_iteratorINSA_10device_ptrItEEEEPS6_SG_NS0_5tupleIJNSA_16discard_iteratorINSA_11use_defaultEEES6_EEENSH_IJSG_SG_EEES6_PlJNSB_9not_fun_tINSB_14equal_to_valueItEEEEEEE10hipError_tPvRmT3_T4_T5_T6_T7_T9_mT8_P12ihipStream_tbDpT10_ENKUlT_T0_E_clISt17integral_constantIbLb0EES1A_IbLb1EEEEDaS16_S17_EUlS16_E_NS1_11comp_targetILNS1_3genE4ELNS1_11target_archE910ELNS1_3gpuE8ELNS1_3repE0EEENS1_30default_config_static_selectorELNS0_4arch9wavefront6targetE0EEEvT1_.has_recursion, 0
	.set _ZN7rocprim17ROCPRIM_400000_NS6detail17trampoline_kernelINS0_14default_configENS1_25partition_config_selectorILNS1_17partition_subalgoE6EtNS0_10empty_typeEbEEZZNS1_14partition_implILS5_6ELb0ES3_mN6thrust23THRUST_200600_302600_NS6detail15normal_iteratorINSA_10device_ptrItEEEEPS6_SG_NS0_5tupleIJNSA_16discard_iteratorINSA_11use_defaultEEES6_EEENSH_IJSG_SG_EEES6_PlJNSB_9not_fun_tINSB_14equal_to_valueItEEEEEEE10hipError_tPvRmT3_T4_T5_T6_T7_T9_mT8_P12ihipStream_tbDpT10_ENKUlT_T0_E_clISt17integral_constantIbLb0EES1A_IbLb1EEEEDaS16_S17_EUlS16_E_NS1_11comp_targetILNS1_3genE4ELNS1_11target_archE910ELNS1_3gpuE8ELNS1_3repE0EEENS1_30default_config_static_selectorELNS0_4arch9wavefront6targetE0EEEvT1_.has_indirect_call, 0
	.section	.AMDGPU.csdata,"",@progbits
; Kernel info:
; codeLenInByte = 0
; TotalNumSgprs: 0
; NumVgprs: 0
; ScratchSize: 0
; MemoryBound: 0
; FloatMode: 240
; IeeeMode: 1
; LDSByteSize: 0 bytes/workgroup (compile time only)
; SGPRBlocks: 0
; VGPRBlocks: 0
; NumSGPRsForWavesPerEU: 1
; NumVGPRsForWavesPerEU: 1
; Occupancy: 16
; WaveLimiterHint : 0
; COMPUTE_PGM_RSRC2:SCRATCH_EN: 0
; COMPUTE_PGM_RSRC2:USER_SGPR: 2
; COMPUTE_PGM_RSRC2:TRAP_HANDLER: 0
; COMPUTE_PGM_RSRC2:TGID_X_EN: 1
; COMPUTE_PGM_RSRC2:TGID_Y_EN: 0
; COMPUTE_PGM_RSRC2:TGID_Z_EN: 0
; COMPUTE_PGM_RSRC2:TIDIG_COMP_CNT: 0
	.section	.text._ZN7rocprim17ROCPRIM_400000_NS6detail17trampoline_kernelINS0_14default_configENS1_25partition_config_selectorILNS1_17partition_subalgoE6EtNS0_10empty_typeEbEEZZNS1_14partition_implILS5_6ELb0ES3_mN6thrust23THRUST_200600_302600_NS6detail15normal_iteratorINSA_10device_ptrItEEEEPS6_SG_NS0_5tupleIJNSA_16discard_iteratorINSA_11use_defaultEEES6_EEENSH_IJSG_SG_EEES6_PlJNSB_9not_fun_tINSB_14equal_to_valueItEEEEEEE10hipError_tPvRmT3_T4_T5_T6_T7_T9_mT8_P12ihipStream_tbDpT10_ENKUlT_T0_E_clISt17integral_constantIbLb0EES1A_IbLb1EEEEDaS16_S17_EUlS16_E_NS1_11comp_targetILNS1_3genE3ELNS1_11target_archE908ELNS1_3gpuE7ELNS1_3repE0EEENS1_30default_config_static_selectorELNS0_4arch9wavefront6targetE0EEEvT1_,"axG",@progbits,_ZN7rocprim17ROCPRIM_400000_NS6detail17trampoline_kernelINS0_14default_configENS1_25partition_config_selectorILNS1_17partition_subalgoE6EtNS0_10empty_typeEbEEZZNS1_14partition_implILS5_6ELb0ES3_mN6thrust23THRUST_200600_302600_NS6detail15normal_iteratorINSA_10device_ptrItEEEEPS6_SG_NS0_5tupleIJNSA_16discard_iteratorINSA_11use_defaultEEES6_EEENSH_IJSG_SG_EEES6_PlJNSB_9not_fun_tINSB_14equal_to_valueItEEEEEEE10hipError_tPvRmT3_T4_T5_T6_T7_T9_mT8_P12ihipStream_tbDpT10_ENKUlT_T0_E_clISt17integral_constantIbLb0EES1A_IbLb1EEEEDaS16_S17_EUlS16_E_NS1_11comp_targetILNS1_3genE3ELNS1_11target_archE908ELNS1_3gpuE7ELNS1_3repE0EEENS1_30default_config_static_selectorELNS0_4arch9wavefront6targetE0EEEvT1_,comdat
	.protected	_ZN7rocprim17ROCPRIM_400000_NS6detail17trampoline_kernelINS0_14default_configENS1_25partition_config_selectorILNS1_17partition_subalgoE6EtNS0_10empty_typeEbEEZZNS1_14partition_implILS5_6ELb0ES3_mN6thrust23THRUST_200600_302600_NS6detail15normal_iteratorINSA_10device_ptrItEEEEPS6_SG_NS0_5tupleIJNSA_16discard_iteratorINSA_11use_defaultEEES6_EEENSH_IJSG_SG_EEES6_PlJNSB_9not_fun_tINSB_14equal_to_valueItEEEEEEE10hipError_tPvRmT3_T4_T5_T6_T7_T9_mT8_P12ihipStream_tbDpT10_ENKUlT_T0_E_clISt17integral_constantIbLb0EES1A_IbLb1EEEEDaS16_S17_EUlS16_E_NS1_11comp_targetILNS1_3genE3ELNS1_11target_archE908ELNS1_3gpuE7ELNS1_3repE0EEENS1_30default_config_static_selectorELNS0_4arch9wavefront6targetE0EEEvT1_ ; -- Begin function _ZN7rocprim17ROCPRIM_400000_NS6detail17trampoline_kernelINS0_14default_configENS1_25partition_config_selectorILNS1_17partition_subalgoE6EtNS0_10empty_typeEbEEZZNS1_14partition_implILS5_6ELb0ES3_mN6thrust23THRUST_200600_302600_NS6detail15normal_iteratorINSA_10device_ptrItEEEEPS6_SG_NS0_5tupleIJNSA_16discard_iteratorINSA_11use_defaultEEES6_EEENSH_IJSG_SG_EEES6_PlJNSB_9not_fun_tINSB_14equal_to_valueItEEEEEEE10hipError_tPvRmT3_T4_T5_T6_T7_T9_mT8_P12ihipStream_tbDpT10_ENKUlT_T0_E_clISt17integral_constantIbLb0EES1A_IbLb1EEEEDaS16_S17_EUlS16_E_NS1_11comp_targetILNS1_3genE3ELNS1_11target_archE908ELNS1_3gpuE7ELNS1_3repE0EEENS1_30default_config_static_selectorELNS0_4arch9wavefront6targetE0EEEvT1_
	.globl	_ZN7rocprim17ROCPRIM_400000_NS6detail17trampoline_kernelINS0_14default_configENS1_25partition_config_selectorILNS1_17partition_subalgoE6EtNS0_10empty_typeEbEEZZNS1_14partition_implILS5_6ELb0ES3_mN6thrust23THRUST_200600_302600_NS6detail15normal_iteratorINSA_10device_ptrItEEEEPS6_SG_NS0_5tupleIJNSA_16discard_iteratorINSA_11use_defaultEEES6_EEENSH_IJSG_SG_EEES6_PlJNSB_9not_fun_tINSB_14equal_to_valueItEEEEEEE10hipError_tPvRmT3_T4_T5_T6_T7_T9_mT8_P12ihipStream_tbDpT10_ENKUlT_T0_E_clISt17integral_constantIbLb0EES1A_IbLb1EEEEDaS16_S17_EUlS16_E_NS1_11comp_targetILNS1_3genE3ELNS1_11target_archE908ELNS1_3gpuE7ELNS1_3repE0EEENS1_30default_config_static_selectorELNS0_4arch9wavefront6targetE0EEEvT1_
	.p2align	8
	.type	_ZN7rocprim17ROCPRIM_400000_NS6detail17trampoline_kernelINS0_14default_configENS1_25partition_config_selectorILNS1_17partition_subalgoE6EtNS0_10empty_typeEbEEZZNS1_14partition_implILS5_6ELb0ES3_mN6thrust23THRUST_200600_302600_NS6detail15normal_iteratorINSA_10device_ptrItEEEEPS6_SG_NS0_5tupleIJNSA_16discard_iteratorINSA_11use_defaultEEES6_EEENSH_IJSG_SG_EEES6_PlJNSB_9not_fun_tINSB_14equal_to_valueItEEEEEEE10hipError_tPvRmT3_T4_T5_T6_T7_T9_mT8_P12ihipStream_tbDpT10_ENKUlT_T0_E_clISt17integral_constantIbLb0EES1A_IbLb1EEEEDaS16_S17_EUlS16_E_NS1_11comp_targetILNS1_3genE3ELNS1_11target_archE908ELNS1_3gpuE7ELNS1_3repE0EEENS1_30default_config_static_selectorELNS0_4arch9wavefront6targetE0EEEvT1_,@function
_ZN7rocprim17ROCPRIM_400000_NS6detail17trampoline_kernelINS0_14default_configENS1_25partition_config_selectorILNS1_17partition_subalgoE6EtNS0_10empty_typeEbEEZZNS1_14partition_implILS5_6ELb0ES3_mN6thrust23THRUST_200600_302600_NS6detail15normal_iteratorINSA_10device_ptrItEEEEPS6_SG_NS0_5tupleIJNSA_16discard_iteratorINSA_11use_defaultEEES6_EEENSH_IJSG_SG_EEES6_PlJNSB_9not_fun_tINSB_14equal_to_valueItEEEEEEE10hipError_tPvRmT3_T4_T5_T6_T7_T9_mT8_P12ihipStream_tbDpT10_ENKUlT_T0_E_clISt17integral_constantIbLb0EES1A_IbLb1EEEEDaS16_S17_EUlS16_E_NS1_11comp_targetILNS1_3genE3ELNS1_11target_archE908ELNS1_3gpuE7ELNS1_3repE0EEENS1_30default_config_static_selectorELNS0_4arch9wavefront6targetE0EEEvT1_: ; @_ZN7rocprim17ROCPRIM_400000_NS6detail17trampoline_kernelINS0_14default_configENS1_25partition_config_selectorILNS1_17partition_subalgoE6EtNS0_10empty_typeEbEEZZNS1_14partition_implILS5_6ELb0ES3_mN6thrust23THRUST_200600_302600_NS6detail15normal_iteratorINSA_10device_ptrItEEEEPS6_SG_NS0_5tupleIJNSA_16discard_iteratorINSA_11use_defaultEEES6_EEENSH_IJSG_SG_EEES6_PlJNSB_9not_fun_tINSB_14equal_to_valueItEEEEEEE10hipError_tPvRmT3_T4_T5_T6_T7_T9_mT8_P12ihipStream_tbDpT10_ENKUlT_T0_E_clISt17integral_constantIbLb0EES1A_IbLb1EEEEDaS16_S17_EUlS16_E_NS1_11comp_targetILNS1_3genE3ELNS1_11target_archE908ELNS1_3gpuE7ELNS1_3repE0EEENS1_30default_config_static_selectorELNS0_4arch9wavefront6targetE0EEEvT1_
; %bb.0:
	.section	.rodata,"a",@progbits
	.p2align	6, 0x0
	.amdhsa_kernel _ZN7rocprim17ROCPRIM_400000_NS6detail17trampoline_kernelINS0_14default_configENS1_25partition_config_selectorILNS1_17partition_subalgoE6EtNS0_10empty_typeEbEEZZNS1_14partition_implILS5_6ELb0ES3_mN6thrust23THRUST_200600_302600_NS6detail15normal_iteratorINSA_10device_ptrItEEEEPS6_SG_NS0_5tupleIJNSA_16discard_iteratorINSA_11use_defaultEEES6_EEENSH_IJSG_SG_EEES6_PlJNSB_9not_fun_tINSB_14equal_to_valueItEEEEEEE10hipError_tPvRmT3_T4_T5_T6_T7_T9_mT8_P12ihipStream_tbDpT10_ENKUlT_T0_E_clISt17integral_constantIbLb0EES1A_IbLb1EEEEDaS16_S17_EUlS16_E_NS1_11comp_targetILNS1_3genE3ELNS1_11target_archE908ELNS1_3gpuE7ELNS1_3repE0EEENS1_30default_config_static_selectorELNS0_4arch9wavefront6targetE0EEEvT1_
		.amdhsa_group_segment_fixed_size 0
		.amdhsa_private_segment_fixed_size 0
		.amdhsa_kernarg_size 136
		.amdhsa_user_sgpr_count 2
		.amdhsa_user_sgpr_dispatch_ptr 0
		.amdhsa_user_sgpr_queue_ptr 0
		.amdhsa_user_sgpr_kernarg_segment_ptr 1
		.amdhsa_user_sgpr_dispatch_id 0
		.amdhsa_user_sgpr_private_segment_size 0
		.amdhsa_wavefront_size32 1
		.amdhsa_uses_dynamic_stack 0
		.amdhsa_enable_private_segment 0
		.amdhsa_system_sgpr_workgroup_id_x 1
		.amdhsa_system_sgpr_workgroup_id_y 0
		.amdhsa_system_sgpr_workgroup_id_z 0
		.amdhsa_system_sgpr_workgroup_info 0
		.amdhsa_system_vgpr_workitem_id 0
		.amdhsa_next_free_vgpr 1
		.amdhsa_next_free_sgpr 1
		.amdhsa_reserve_vcc 0
		.amdhsa_float_round_mode_32 0
		.amdhsa_float_round_mode_16_64 0
		.amdhsa_float_denorm_mode_32 3
		.amdhsa_float_denorm_mode_16_64 3
		.amdhsa_fp16_overflow 0
		.amdhsa_workgroup_processor_mode 1
		.amdhsa_memory_ordered 1
		.amdhsa_forward_progress 1
		.amdhsa_inst_pref_size 0
		.amdhsa_round_robin_scheduling 0
		.amdhsa_exception_fp_ieee_invalid_op 0
		.amdhsa_exception_fp_denorm_src 0
		.amdhsa_exception_fp_ieee_div_zero 0
		.amdhsa_exception_fp_ieee_overflow 0
		.amdhsa_exception_fp_ieee_underflow 0
		.amdhsa_exception_fp_ieee_inexact 0
		.amdhsa_exception_int_div_zero 0
	.end_amdhsa_kernel
	.section	.text._ZN7rocprim17ROCPRIM_400000_NS6detail17trampoline_kernelINS0_14default_configENS1_25partition_config_selectorILNS1_17partition_subalgoE6EtNS0_10empty_typeEbEEZZNS1_14partition_implILS5_6ELb0ES3_mN6thrust23THRUST_200600_302600_NS6detail15normal_iteratorINSA_10device_ptrItEEEEPS6_SG_NS0_5tupleIJNSA_16discard_iteratorINSA_11use_defaultEEES6_EEENSH_IJSG_SG_EEES6_PlJNSB_9not_fun_tINSB_14equal_to_valueItEEEEEEE10hipError_tPvRmT3_T4_T5_T6_T7_T9_mT8_P12ihipStream_tbDpT10_ENKUlT_T0_E_clISt17integral_constantIbLb0EES1A_IbLb1EEEEDaS16_S17_EUlS16_E_NS1_11comp_targetILNS1_3genE3ELNS1_11target_archE908ELNS1_3gpuE7ELNS1_3repE0EEENS1_30default_config_static_selectorELNS0_4arch9wavefront6targetE0EEEvT1_,"axG",@progbits,_ZN7rocprim17ROCPRIM_400000_NS6detail17trampoline_kernelINS0_14default_configENS1_25partition_config_selectorILNS1_17partition_subalgoE6EtNS0_10empty_typeEbEEZZNS1_14partition_implILS5_6ELb0ES3_mN6thrust23THRUST_200600_302600_NS6detail15normal_iteratorINSA_10device_ptrItEEEEPS6_SG_NS0_5tupleIJNSA_16discard_iteratorINSA_11use_defaultEEES6_EEENSH_IJSG_SG_EEES6_PlJNSB_9not_fun_tINSB_14equal_to_valueItEEEEEEE10hipError_tPvRmT3_T4_T5_T6_T7_T9_mT8_P12ihipStream_tbDpT10_ENKUlT_T0_E_clISt17integral_constantIbLb0EES1A_IbLb1EEEEDaS16_S17_EUlS16_E_NS1_11comp_targetILNS1_3genE3ELNS1_11target_archE908ELNS1_3gpuE7ELNS1_3repE0EEENS1_30default_config_static_selectorELNS0_4arch9wavefront6targetE0EEEvT1_,comdat
.Lfunc_end1720:
	.size	_ZN7rocprim17ROCPRIM_400000_NS6detail17trampoline_kernelINS0_14default_configENS1_25partition_config_selectorILNS1_17partition_subalgoE6EtNS0_10empty_typeEbEEZZNS1_14partition_implILS5_6ELb0ES3_mN6thrust23THRUST_200600_302600_NS6detail15normal_iteratorINSA_10device_ptrItEEEEPS6_SG_NS0_5tupleIJNSA_16discard_iteratorINSA_11use_defaultEEES6_EEENSH_IJSG_SG_EEES6_PlJNSB_9not_fun_tINSB_14equal_to_valueItEEEEEEE10hipError_tPvRmT3_T4_T5_T6_T7_T9_mT8_P12ihipStream_tbDpT10_ENKUlT_T0_E_clISt17integral_constantIbLb0EES1A_IbLb1EEEEDaS16_S17_EUlS16_E_NS1_11comp_targetILNS1_3genE3ELNS1_11target_archE908ELNS1_3gpuE7ELNS1_3repE0EEENS1_30default_config_static_selectorELNS0_4arch9wavefront6targetE0EEEvT1_, .Lfunc_end1720-_ZN7rocprim17ROCPRIM_400000_NS6detail17trampoline_kernelINS0_14default_configENS1_25partition_config_selectorILNS1_17partition_subalgoE6EtNS0_10empty_typeEbEEZZNS1_14partition_implILS5_6ELb0ES3_mN6thrust23THRUST_200600_302600_NS6detail15normal_iteratorINSA_10device_ptrItEEEEPS6_SG_NS0_5tupleIJNSA_16discard_iteratorINSA_11use_defaultEEES6_EEENSH_IJSG_SG_EEES6_PlJNSB_9not_fun_tINSB_14equal_to_valueItEEEEEEE10hipError_tPvRmT3_T4_T5_T6_T7_T9_mT8_P12ihipStream_tbDpT10_ENKUlT_T0_E_clISt17integral_constantIbLb0EES1A_IbLb1EEEEDaS16_S17_EUlS16_E_NS1_11comp_targetILNS1_3genE3ELNS1_11target_archE908ELNS1_3gpuE7ELNS1_3repE0EEENS1_30default_config_static_selectorELNS0_4arch9wavefront6targetE0EEEvT1_
                                        ; -- End function
	.set _ZN7rocprim17ROCPRIM_400000_NS6detail17trampoline_kernelINS0_14default_configENS1_25partition_config_selectorILNS1_17partition_subalgoE6EtNS0_10empty_typeEbEEZZNS1_14partition_implILS5_6ELb0ES3_mN6thrust23THRUST_200600_302600_NS6detail15normal_iteratorINSA_10device_ptrItEEEEPS6_SG_NS0_5tupleIJNSA_16discard_iteratorINSA_11use_defaultEEES6_EEENSH_IJSG_SG_EEES6_PlJNSB_9not_fun_tINSB_14equal_to_valueItEEEEEEE10hipError_tPvRmT3_T4_T5_T6_T7_T9_mT8_P12ihipStream_tbDpT10_ENKUlT_T0_E_clISt17integral_constantIbLb0EES1A_IbLb1EEEEDaS16_S17_EUlS16_E_NS1_11comp_targetILNS1_3genE3ELNS1_11target_archE908ELNS1_3gpuE7ELNS1_3repE0EEENS1_30default_config_static_selectorELNS0_4arch9wavefront6targetE0EEEvT1_.num_vgpr, 0
	.set _ZN7rocprim17ROCPRIM_400000_NS6detail17trampoline_kernelINS0_14default_configENS1_25partition_config_selectorILNS1_17partition_subalgoE6EtNS0_10empty_typeEbEEZZNS1_14partition_implILS5_6ELb0ES3_mN6thrust23THRUST_200600_302600_NS6detail15normal_iteratorINSA_10device_ptrItEEEEPS6_SG_NS0_5tupleIJNSA_16discard_iteratorINSA_11use_defaultEEES6_EEENSH_IJSG_SG_EEES6_PlJNSB_9not_fun_tINSB_14equal_to_valueItEEEEEEE10hipError_tPvRmT3_T4_T5_T6_T7_T9_mT8_P12ihipStream_tbDpT10_ENKUlT_T0_E_clISt17integral_constantIbLb0EES1A_IbLb1EEEEDaS16_S17_EUlS16_E_NS1_11comp_targetILNS1_3genE3ELNS1_11target_archE908ELNS1_3gpuE7ELNS1_3repE0EEENS1_30default_config_static_selectorELNS0_4arch9wavefront6targetE0EEEvT1_.num_agpr, 0
	.set _ZN7rocprim17ROCPRIM_400000_NS6detail17trampoline_kernelINS0_14default_configENS1_25partition_config_selectorILNS1_17partition_subalgoE6EtNS0_10empty_typeEbEEZZNS1_14partition_implILS5_6ELb0ES3_mN6thrust23THRUST_200600_302600_NS6detail15normal_iteratorINSA_10device_ptrItEEEEPS6_SG_NS0_5tupleIJNSA_16discard_iteratorINSA_11use_defaultEEES6_EEENSH_IJSG_SG_EEES6_PlJNSB_9not_fun_tINSB_14equal_to_valueItEEEEEEE10hipError_tPvRmT3_T4_T5_T6_T7_T9_mT8_P12ihipStream_tbDpT10_ENKUlT_T0_E_clISt17integral_constantIbLb0EES1A_IbLb1EEEEDaS16_S17_EUlS16_E_NS1_11comp_targetILNS1_3genE3ELNS1_11target_archE908ELNS1_3gpuE7ELNS1_3repE0EEENS1_30default_config_static_selectorELNS0_4arch9wavefront6targetE0EEEvT1_.numbered_sgpr, 0
	.set _ZN7rocprim17ROCPRIM_400000_NS6detail17trampoline_kernelINS0_14default_configENS1_25partition_config_selectorILNS1_17partition_subalgoE6EtNS0_10empty_typeEbEEZZNS1_14partition_implILS5_6ELb0ES3_mN6thrust23THRUST_200600_302600_NS6detail15normal_iteratorINSA_10device_ptrItEEEEPS6_SG_NS0_5tupleIJNSA_16discard_iteratorINSA_11use_defaultEEES6_EEENSH_IJSG_SG_EEES6_PlJNSB_9not_fun_tINSB_14equal_to_valueItEEEEEEE10hipError_tPvRmT3_T4_T5_T6_T7_T9_mT8_P12ihipStream_tbDpT10_ENKUlT_T0_E_clISt17integral_constantIbLb0EES1A_IbLb1EEEEDaS16_S17_EUlS16_E_NS1_11comp_targetILNS1_3genE3ELNS1_11target_archE908ELNS1_3gpuE7ELNS1_3repE0EEENS1_30default_config_static_selectorELNS0_4arch9wavefront6targetE0EEEvT1_.num_named_barrier, 0
	.set _ZN7rocprim17ROCPRIM_400000_NS6detail17trampoline_kernelINS0_14default_configENS1_25partition_config_selectorILNS1_17partition_subalgoE6EtNS0_10empty_typeEbEEZZNS1_14partition_implILS5_6ELb0ES3_mN6thrust23THRUST_200600_302600_NS6detail15normal_iteratorINSA_10device_ptrItEEEEPS6_SG_NS0_5tupleIJNSA_16discard_iteratorINSA_11use_defaultEEES6_EEENSH_IJSG_SG_EEES6_PlJNSB_9not_fun_tINSB_14equal_to_valueItEEEEEEE10hipError_tPvRmT3_T4_T5_T6_T7_T9_mT8_P12ihipStream_tbDpT10_ENKUlT_T0_E_clISt17integral_constantIbLb0EES1A_IbLb1EEEEDaS16_S17_EUlS16_E_NS1_11comp_targetILNS1_3genE3ELNS1_11target_archE908ELNS1_3gpuE7ELNS1_3repE0EEENS1_30default_config_static_selectorELNS0_4arch9wavefront6targetE0EEEvT1_.private_seg_size, 0
	.set _ZN7rocprim17ROCPRIM_400000_NS6detail17trampoline_kernelINS0_14default_configENS1_25partition_config_selectorILNS1_17partition_subalgoE6EtNS0_10empty_typeEbEEZZNS1_14partition_implILS5_6ELb0ES3_mN6thrust23THRUST_200600_302600_NS6detail15normal_iteratorINSA_10device_ptrItEEEEPS6_SG_NS0_5tupleIJNSA_16discard_iteratorINSA_11use_defaultEEES6_EEENSH_IJSG_SG_EEES6_PlJNSB_9not_fun_tINSB_14equal_to_valueItEEEEEEE10hipError_tPvRmT3_T4_T5_T6_T7_T9_mT8_P12ihipStream_tbDpT10_ENKUlT_T0_E_clISt17integral_constantIbLb0EES1A_IbLb1EEEEDaS16_S17_EUlS16_E_NS1_11comp_targetILNS1_3genE3ELNS1_11target_archE908ELNS1_3gpuE7ELNS1_3repE0EEENS1_30default_config_static_selectorELNS0_4arch9wavefront6targetE0EEEvT1_.uses_vcc, 0
	.set _ZN7rocprim17ROCPRIM_400000_NS6detail17trampoline_kernelINS0_14default_configENS1_25partition_config_selectorILNS1_17partition_subalgoE6EtNS0_10empty_typeEbEEZZNS1_14partition_implILS5_6ELb0ES3_mN6thrust23THRUST_200600_302600_NS6detail15normal_iteratorINSA_10device_ptrItEEEEPS6_SG_NS0_5tupleIJNSA_16discard_iteratorINSA_11use_defaultEEES6_EEENSH_IJSG_SG_EEES6_PlJNSB_9not_fun_tINSB_14equal_to_valueItEEEEEEE10hipError_tPvRmT3_T4_T5_T6_T7_T9_mT8_P12ihipStream_tbDpT10_ENKUlT_T0_E_clISt17integral_constantIbLb0EES1A_IbLb1EEEEDaS16_S17_EUlS16_E_NS1_11comp_targetILNS1_3genE3ELNS1_11target_archE908ELNS1_3gpuE7ELNS1_3repE0EEENS1_30default_config_static_selectorELNS0_4arch9wavefront6targetE0EEEvT1_.uses_flat_scratch, 0
	.set _ZN7rocprim17ROCPRIM_400000_NS6detail17trampoline_kernelINS0_14default_configENS1_25partition_config_selectorILNS1_17partition_subalgoE6EtNS0_10empty_typeEbEEZZNS1_14partition_implILS5_6ELb0ES3_mN6thrust23THRUST_200600_302600_NS6detail15normal_iteratorINSA_10device_ptrItEEEEPS6_SG_NS0_5tupleIJNSA_16discard_iteratorINSA_11use_defaultEEES6_EEENSH_IJSG_SG_EEES6_PlJNSB_9not_fun_tINSB_14equal_to_valueItEEEEEEE10hipError_tPvRmT3_T4_T5_T6_T7_T9_mT8_P12ihipStream_tbDpT10_ENKUlT_T0_E_clISt17integral_constantIbLb0EES1A_IbLb1EEEEDaS16_S17_EUlS16_E_NS1_11comp_targetILNS1_3genE3ELNS1_11target_archE908ELNS1_3gpuE7ELNS1_3repE0EEENS1_30default_config_static_selectorELNS0_4arch9wavefront6targetE0EEEvT1_.has_dyn_sized_stack, 0
	.set _ZN7rocprim17ROCPRIM_400000_NS6detail17trampoline_kernelINS0_14default_configENS1_25partition_config_selectorILNS1_17partition_subalgoE6EtNS0_10empty_typeEbEEZZNS1_14partition_implILS5_6ELb0ES3_mN6thrust23THRUST_200600_302600_NS6detail15normal_iteratorINSA_10device_ptrItEEEEPS6_SG_NS0_5tupleIJNSA_16discard_iteratorINSA_11use_defaultEEES6_EEENSH_IJSG_SG_EEES6_PlJNSB_9not_fun_tINSB_14equal_to_valueItEEEEEEE10hipError_tPvRmT3_T4_T5_T6_T7_T9_mT8_P12ihipStream_tbDpT10_ENKUlT_T0_E_clISt17integral_constantIbLb0EES1A_IbLb1EEEEDaS16_S17_EUlS16_E_NS1_11comp_targetILNS1_3genE3ELNS1_11target_archE908ELNS1_3gpuE7ELNS1_3repE0EEENS1_30default_config_static_selectorELNS0_4arch9wavefront6targetE0EEEvT1_.has_recursion, 0
	.set _ZN7rocprim17ROCPRIM_400000_NS6detail17trampoline_kernelINS0_14default_configENS1_25partition_config_selectorILNS1_17partition_subalgoE6EtNS0_10empty_typeEbEEZZNS1_14partition_implILS5_6ELb0ES3_mN6thrust23THRUST_200600_302600_NS6detail15normal_iteratorINSA_10device_ptrItEEEEPS6_SG_NS0_5tupleIJNSA_16discard_iteratorINSA_11use_defaultEEES6_EEENSH_IJSG_SG_EEES6_PlJNSB_9not_fun_tINSB_14equal_to_valueItEEEEEEE10hipError_tPvRmT3_T4_T5_T6_T7_T9_mT8_P12ihipStream_tbDpT10_ENKUlT_T0_E_clISt17integral_constantIbLb0EES1A_IbLb1EEEEDaS16_S17_EUlS16_E_NS1_11comp_targetILNS1_3genE3ELNS1_11target_archE908ELNS1_3gpuE7ELNS1_3repE0EEENS1_30default_config_static_selectorELNS0_4arch9wavefront6targetE0EEEvT1_.has_indirect_call, 0
	.section	.AMDGPU.csdata,"",@progbits
; Kernel info:
; codeLenInByte = 0
; TotalNumSgprs: 0
; NumVgprs: 0
; ScratchSize: 0
; MemoryBound: 0
; FloatMode: 240
; IeeeMode: 1
; LDSByteSize: 0 bytes/workgroup (compile time only)
; SGPRBlocks: 0
; VGPRBlocks: 0
; NumSGPRsForWavesPerEU: 1
; NumVGPRsForWavesPerEU: 1
; Occupancy: 16
; WaveLimiterHint : 0
; COMPUTE_PGM_RSRC2:SCRATCH_EN: 0
; COMPUTE_PGM_RSRC2:USER_SGPR: 2
; COMPUTE_PGM_RSRC2:TRAP_HANDLER: 0
; COMPUTE_PGM_RSRC2:TGID_X_EN: 1
; COMPUTE_PGM_RSRC2:TGID_Y_EN: 0
; COMPUTE_PGM_RSRC2:TGID_Z_EN: 0
; COMPUTE_PGM_RSRC2:TIDIG_COMP_CNT: 0
	.section	.text._ZN7rocprim17ROCPRIM_400000_NS6detail17trampoline_kernelINS0_14default_configENS1_25partition_config_selectorILNS1_17partition_subalgoE6EtNS0_10empty_typeEbEEZZNS1_14partition_implILS5_6ELb0ES3_mN6thrust23THRUST_200600_302600_NS6detail15normal_iteratorINSA_10device_ptrItEEEEPS6_SG_NS0_5tupleIJNSA_16discard_iteratorINSA_11use_defaultEEES6_EEENSH_IJSG_SG_EEES6_PlJNSB_9not_fun_tINSB_14equal_to_valueItEEEEEEE10hipError_tPvRmT3_T4_T5_T6_T7_T9_mT8_P12ihipStream_tbDpT10_ENKUlT_T0_E_clISt17integral_constantIbLb0EES1A_IbLb1EEEEDaS16_S17_EUlS16_E_NS1_11comp_targetILNS1_3genE2ELNS1_11target_archE906ELNS1_3gpuE6ELNS1_3repE0EEENS1_30default_config_static_selectorELNS0_4arch9wavefront6targetE0EEEvT1_,"axG",@progbits,_ZN7rocprim17ROCPRIM_400000_NS6detail17trampoline_kernelINS0_14default_configENS1_25partition_config_selectorILNS1_17partition_subalgoE6EtNS0_10empty_typeEbEEZZNS1_14partition_implILS5_6ELb0ES3_mN6thrust23THRUST_200600_302600_NS6detail15normal_iteratorINSA_10device_ptrItEEEEPS6_SG_NS0_5tupleIJNSA_16discard_iteratorINSA_11use_defaultEEES6_EEENSH_IJSG_SG_EEES6_PlJNSB_9not_fun_tINSB_14equal_to_valueItEEEEEEE10hipError_tPvRmT3_T4_T5_T6_T7_T9_mT8_P12ihipStream_tbDpT10_ENKUlT_T0_E_clISt17integral_constantIbLb0EES1A_IbLb1EEEEDaS16_S17_EUlS16_E_NS1_11comp_targetILNS1_3genE2ELNS1_11target_archE906ELNS1_3gpuE6ELNS1_3repE0EEENS1_30default_config_static_selectorELNS0_4arch9wavefront6targetE0EEEvT1_,comdat
	.protected	_ZN7rocprim17ROCPRIM_400000_NS6detail17trampoline_kernelINS0_14default_configENS1_25partition_config_selectorILNS1_17partition_subalgoE6EtNS0_10empty_typeEbEEZZNS1_14partition_implILS5_6ELb0ES3_mN6thrust23THRUST_200600_302600_NS6detail15normal_iteratorINSA_10device_ptrItEEEEPS6_SG_NS0_5tupleIJNSA_16discard_iteratorINSA_11use_defaultEEES6_EEENSH_IJSG_SG_EEES6_PlJNSB_9not_fun_tINSB_14equal_to_valueItEEEEEEE10hipError_tPvRmT3_T4_T5_T6_T7_T9_mT8_P12ihipStream_tbDpT10_ENKUlT_T0_E_clISt17integral_constantIbLb0EES1A_IbLb1EEEEDaS16_S17_EUlS16_E_NS1_11comp_targetILNS1_3genE2ELNS1_11target_archE906ELNS1_3gpuE6ELNS1_3repE0EEENS1_30default_config_static_selectorELNS0_4arch9wavefront6targetE0EEEvT1_ ; -- Begin function _ZN7rocprim17ROCPRIM_400000_NS6detail17trampoline_kernelINS0_14default_configENS1_25partition_config_selectorILNS1_17partition_subalgoE6EtNS0_10empty_typeEbEEZZNS1_14partition_implILS5_6ELb0ES3_mN6thrust23THRUST_200600_302600_NS6detail15normal_iteratorINSA_10device_ptrItEEEEPS6_SG_NS0_5tupleIJNSA_16discard_iteratorINSA_11use_defaultEEES6_EEENSH_IJSG_SG_EEES6_PlJNSB_9not_fun_tINSB_14equal_to_valueItEEEEEEE10hipError_tPvRmT3_T4_T5_T6_T7_T9_mT8_P12ihipStream_tbDpT10_ENKUlT_T0_E_clISt17integral_constantIbLb0EES1A_IbLb1EEEEDaS16_S17_EUlS16_E_NS1_11comp_targetILNS1_3genE2ELNS1_11target_archE906ELNS1_3gpuE6ELNS1_3repE0EEENS1_30default_config_static_selectorELNS0_4arch9wavefront6targetE0EEEvT1_
	.globl	_ZN7rocprim17ROCPRIM_400000_NS6detail17trampoline_kernelINS0_14default_configENS1_25partition_config_selectorILNS1_17partition_subalgoE6EtNS0_10empty_typeEbEEZZNS1_14partition_implILS5_6ELb0ES3_mN6thrust23THRUST_200600_302600_NS6detail15normal_iteratorINSA_10device_ptrItEEEEPS6_SG_NS0_5tupleIJNSA_16discard_iteratorINSA_11use_defaultEEES6_EEENSH_IJSG_SG_EEES6_PlJNSB_9not_fun_tINSB_14equal_to_valueItEEEEEEE10hipError_tPvRmT3_T4_T5_T6_T7_T9_mT8_P12ihipStream_tbDpT10_ENKUlT_T0_E_clISt17integral_constantIbLb0EES1A_IbLb1EEEEDaS16_S17_EUlS16_E_NS1_11comp_targetILNS1_3genE2ELNS1_11target_archE906ELNS1_3gpuE6ELNS1_3repE0EEENS1_30default_config_static_selectorELNS0_4arch9wavefront6targetE0EEEvT1_
	.p2align	8
	.type	_ZN7rocprim17ROCPRIM_400000_NS6detail17trampoline_kernelINS0_14default_configENS1_25partition_config_selectorILNS1_17partition_subalgoE6EtNS0_10empty_typeEbEEZZNS1_14partition_implILS5_6ELb0ES3_mN6thrust23THRUST_200600_302600_NS6detail15normal_iteratorINSA_10device_ptrItEEEEPS6_SG_NS0_5tupleIJNSA_16discard_iteratorINSA_11use_defaultEEES6_EEENSH_IJSG_SG_EEES6_PlJNSB_9not_fun_tINSB_14equal_to_valueItEEEEEEE10hipError_tPvRmT3_T4_T5_T6_T7_T9_mT8_P12ihipStream_tbDpT10_ENKUlT_T0_E_clISt17integral_constantIbLb0EES1A_IbLb1EEEEDaS16_S17_EUlS16_E_NS1_11comp_targetILNS1_3genE2ELNS1_11target_archE906ELNS1_3gpuE6ELNS1_3repE0EEENS1_30default_config_static_selectorELNS0_4arch9wavefront6targetE0EEEvT1_,@function
_ZN7rocprim17ROCPRIM_400000_NS6detail17trampoline_kernelINS0_14default_configENS1_25partition_config_selectorILNS1_17partition_subalgoE6EtNS0_10empty_typeEbEEZZNS1_14partition_implILS5_6ELb0ES3_mN6thrust23THRUST_200600_302600_NS6detail15normal_iteratorINSA_10device_ptrItEEEEPS6_SG_NS0_5tupleIJNSA_16discard_iteratorINSA_11use_defaultEEES6_EEENSH_IJSG_SG_EEES6_PlJNSB_9not_fun_tINSB_14equal_to_valueItEEEEEEE10hipError_tPvRmT3_T4_T5_T6_T7_T9_mT8_P12ihipStream_tbDpT10_ENKUlT_T0_E_clISt17integral_constantIbLb0EES1A_IbLb1EEEEDaS16_S17_EUlS16_E_NS1_11comp_targetILNS1_3genE2ELNS1_11target_archE906ELNS1_3gpuE6ELNS1_3repE0EEENS1_30default_config_static_selectorELNS0_4arch9wavefront6targetE0EEEvT1_: ; @_ZN7rocprim17ROCPRIM_400000_NS6detail17trampoline_kernelINS0_14default_configENS1_25partition_config_selectorILNS1_17partition_subalgoE6EtNS0_10empty_typeEbEEZZNS1_14partition_implILS5_6ELb0ES3_mN6thrust23THRUST_200600_302600_NS6detail15normal_iteratorINSA_10device_ptrItEEEEPS6_SG_NS0_5tupleIJNSA_16discard_iteratorINSA_11use_defaultEEES6_EEENSH_IJSG_SG_EEES6_PlJNSB_9not_fun_tINSB_14equal_to_valueItEEEEEEE10hipError_tPvRmT3_T4_T5_T6_T7_T9_mT8_P12ihipStream_tbDpT10_ENKUlT_T0_E_clISt17integral_constantIbLb0EES1A_IbLb1EEEEDaS16_S17_EUlS16_E_NS1_11comp_targetILNS1_3genE2ELNS1_11target_archE906ELNS1_3gpuE6ELNS1_3repE0EEENS1_30default_config_static_selectorELNS0_4arch9wavefront6targetE0EEEvT1_
; %bb.0:
	.section	.rodata,"a",@progbits
	.p2align	6, 0x0
	.amdhsa_kernel _ZN7rocprim17ROCPRIM_400000_NS6detail17trampoline_kernelINS0_14default_configENS1_25partition_config_selectorILNS1_17partition_subalgoE6EtNS0_10empty_typeEbEEZZNS1_14partition_implILS5_6ELb0ES3_mN6thrust23THRUST_200600_302600_NS6detail15normal_iteratorINSA_10device_ptrItEEEEPS6_SG_NS0_5tupleIJNSA_16discard_iteratorINSA_11use_defaultEEES6_EEENSH_IJSG_SG_EEES6_PlJNSB_9not_fun_tINSB_14equal_to_valueItEEEEEEE10hipError_tPvRmT3_T4_T5_T6_T7_T9_mT8_P12ihipStream_tbDpT10_ENKUlT_T0_E_clISt17integral_constantIbLb0EES1A_IbLb1EEEEDaS16_S17_EUlS16_E_NS1_11comp_targetILNS1_3genE2ELNS1_11target_archE906ELNS1_3gpuE6ELNS1_3repE0EEENS1_30default_config_static_selectorELNS0_4arch9wavefront6targetE0EEEvT1_
		.amdhsa_group_segment_fixed_size 0
		.amdhsa_private_segment_fixed_size 0
		.amdhsa_kernarg_size 136
		.amdhsa_user_sgpr_count 2
		.amdhsa_user_sgpr_dispatch_ptr 0
		.amdhsa_user_sgpr_queue_ptr 0
		.amdhsa_user_sgpr_kernarg_segment_ptr 1
		.amdhsa_user_sgpr_dispatch_id 0
		.amdhsa_user_sgpr_private_segment_size 0
		.amdhsa_wavefront_size32 1
		.amdhsa_uses_dynamic_stack 0
		.amdhsa_enable_private_segment 0
		.amdhsa_system_sgpr_workgroup_id_x 1
		.amdhsa_system_sgpr_workgroup_id_y 0
		.amdhsa_system_sgpr_workgroup_id_z 0
		.amdhsa_system_sgpr_workgroup_info 0
		.amdhsa_system_vgpr_workitem_id 0
		.amdhsa_next_free_vgpr 1
		.amdhsa_next_free_sgpr 1
		.amdhsa_reserve_vcc 0
		.amdhsa_float_round_mode_32 0
		.amdhsa_float_round_mode_16_64 0
		.amdhsa_float_denorm_mode_32 3
		.amdhsa_float_denorm_mode_16_64 3
		.amdhsa_fp16_overflow 0
		.amdhsa_workgroup_processor_mode 1
		.amdhsa_memory_ordered 1
		.amdhsa_forward_progress 1
		.amdhsa_inst_pref_size 0
		.amdhsa_round_robin_scheduling 0
		.amdhsa_exception_fp_ieee_invalid_op 0
		.amdhsa_exception_fp_denorm_src 0
		.amdhsa_exception_fp_ieee_div_zero 0
		.amdhsa_exception_fp_ieee_overflow 0
		.amdhsa_exception_fp_ieee_underflow 0
		.amdhsa_exception_fp_ieee_inexact 0
		.amdhsa_exception_int_div_zero 0
	.end_amdhsa_kernel
	.section	.text._ZN7rocprim17ROCPRIM_400000_NS6detail17trampoline_kernelINS0_14default_configENS1_25partition_config_selectorILNS1_17partition_subalgoE6EtNS0_10empty_typeEbEEZZNS1_14partition_implILS5_6ELb0ES3_mN6thrust23THRUST_200600_302600_NS6detail15normal_iteratorINSA_10device_ptrItEEEEPS6_SG_NS0_5tupleIJNSA_16discard_iteratorINSA_11use_defaultEEES6_EEENSH_IJSG_SG_EEES6_PlJNSB_9not_fun_tINSB_14equal_to_valueItEEEEEEE10hipError_tPvRmT3_T4_T5_T6_T7_T9_mT8_P12ihipStream_tbDpT10_ENKUlT_T0_E_clISt17integral_constantIbLb0EES1A_IbLb1EEEEDaS16_S17_EUlS16_E_NS1_11comp_targetILNS1_3genE2ELNS1_11target_archE906ELNS1_3gpuE6ELNS1_3repE0EEENS1_30default_config_static_selectorELNS0_4arch9wavefront6targetE0EEEvT1_,"axG",@progbits,_ZN7rocprim17ROCPRIM_400000_NS6detail17trampoline_kernelINS0_14default_configENS1_25partition_config_selectorILNS1_17partition_subalgoE6EtNS0_10empty_typeEbEEZZNS1_14partition_implILS5_6ELb0ES3_mN6thrust23THRUST_200600_302600_NS6detail15normal_iteratorINSA_10device_ptrItEEEEPS6_SG_NS0_5tupleIJNSA_16discard_iteratorINSA_11use_defaultEEES6_EEENSH_IJSG_SG_EEES6_PlJNSB_9not_fun_tINSB_14equal_to_valueItEEEEEEE10hipError_tPvRmT3_T4_T5_T6_T7_T9_mT8_P12ihipStream_tbDpT10_ENKUlT_T0_E_clISt17integral_constantIbLb0EES1A_IbLb1EEEEDaS16_S17_EUlS16_E_NS1_11comp_targetILNS1_3genE2ELNS1_11target_archE906ELNS1_3gpuE6ELNS1_3repE0EEENS1_30default_config_static_selectorELNS0_4arch9wavefront6targetE0EEEvT1_,comdat
.Lfunc_end1721:
	.size	_ZN7rocprim17ROCPRIM_400000_NS6detail17trampoline_kernelINS0_14default_configENS1_25partition_config_selectorILNS1_17partition_subalgoE6EtNS0_10empty_typeEbEEZZNS1_14partition_implILS5_6ELb0ES3_mN6thrust23THRUST_200600_302600_NS6detail15normal_iteratorINSA_10device_ptrItEEEEPS6_SG_NS0_5tupleIJNSA_16discard_iteratorINSA_11use_defaultEEES6_EEENSH_IJSG_SG_EEES6_PlJNSB_9not_fun_tINSB_14equal_to_valueItEEEEEEE10hipError_tPvRmT3_T4_T5_T6_T7_T9_mT8_P12ihipStream_tbDpT10_ENKUlT_T0_E_clISt17integral_constantIbLb0EES1A_IbLb1EEEEDaS16_S17_EUlS16_E_NS1_11comp_targetILNS1_3genE2ELNS1_11target_archE906ELNS1_3gpuE6ELNS1_3repE0EEENS1_30default_config_static_selectorELNS0_4arch9wavefront6targetE0EEEvT1_, .Lfunc_end1721-_ZN7rocprim17ROCPRIM_400000_NS6detail17trampoline_kernelINS0_14default_configENS1_25partition_config_selectorILNS1_17partition_subalgoE6EtNS0_10empty_typeEbEEZZNS1_14partition_implILS5_6ELb0ES3_mN6thrust23THRUST_200600_302600_NS6detail15normal_iteratorINSA_10device_ptrItEEEEPS6_SG_NS0_5tupleIJNSA_16discard_iteratorINSA_11use_defaultEEES6_EEENSH_IJSG_SG_EEES6_PlJNSB_9not_fun_tINSB_14equal_to_valueItEEEEEEE10hipError_tPvRmT3_T4_T5_T6_T7_T9_mT8_P12ihipStream_tbDpT10_ENKUlT_T0_E_clISt17integral_constantIbLb0EES1A_IbLb1EEEEDaS16_S17_EUlS16_E_NS1_11comp_targetILNS1_3genE2ELNS1_11target_archE906ELNS1_3gpuE6ELNS1_3repE0EEENS1_30default_config_static_selectorELNS0_4arch9wavefront6targetE0EEEvT1_
                                        ; -- End function
	.set _ZN7rocprim17ROCPRIM_400000_NS6detail17trampoline_kernelINS0_14default_configENS1_25partition_config_selectorILNS1_17partition_subalgoE6EtNS0_10empty_typeEbEEZZNS1_14partition_implILS5_6ELb0ES3_mN6thrust23THRUST_200600_302600_NS6detail15normal_iteratorINSA_10device_ptrItEEEEPS6_SG_NS0_5tupleIJNSA_16discard_iteratorINSA_11use_defaultEEES6_EEENSH_IJSG_SG_EEES6_PlJNSB_9not_fun_tINSB_14equal_to_valueItEEEEEEE10hipError_tPvRmT3_T4_T5_T6_T7_T9_mT8_P12ihipStream_tbDpT10_ENKUlT_T0_E_clISt17integral_constantIbLb0EES1A_IbLb1EEEEDaS16_S17_EUlS16_E_NS1_11comp_targetILNS1_3genE2ELNS1_11target_archE906ELNS1_3gpuE6ELNS1_3repE0EEENS1_30default_config_static_selectorELNS0_4arch9wavefront6targetE0EEEvT1_.num_vgpr, 0
	.set _ZN7rocprim17ROCPRIM_400000_NS6detail17trampoline_kernelINS0_14default_configENS1_25partition_config_selectorILNS1_17partition_subalgoE6EtNS0_10empty_typeEbEEZZNS1_14partition_implILS5_6ELb0ES3_mN6thrust23THRUST_200600_302600_NS6detail15normal_iteratorINSA_10device_ptrItEEEEPS6_SG_NS0_5tupleIJNSA_16discard_iteratorINSA_11use_defaultEEES6_EEENSH_IJSG_SG_EEES6_PlJNSB_9not_fun_tINSB_14equal_to_valueItEEEEEEE10hipError_tPvRmT3_T4_T5_T6_T7_T9_mT8_P12ihipStream_tbDpT10_ENKUlT_T0_E_clISt17integral_constantIbLb0EES1A_IbLb1EEEEDaS16_S17_EUlS16_E_NS1_11comp_targetILNS1_3genE2ELNS1_11target_archE906ELNS1_3gpuE6ELNS1_3repE0EEENS1_30default_config_static_selectorELNS0_4arch9wavefront6targetE0EEEvT1_.num_agpr, 0
	.set _ZN7rocprim17ROCPRIM_400000_NS6detail17trampoline_kernelINS0_14default_configENS1_25partition_config_selectorILNS1_17partition_subalgoE6EtNS0_10empty_typeEbEEZZNS1_14partition_implILS5_6ELb0ES3_mN6thrust23THRUST_200600_302600_NS6detail15normal_iteratorINSA_10device_ptrItEEEEPS6_SG_NS0_5tupleIJNSA_16discard_iteratorINSA_11use_defaultEEES6_EEENSH_IJSG_SG_EEES6_PlJNSB_9not_fun_tINSB_14equal_to_valueItEEEEEEE10hipError_tPvRmT3_T4_T5_T6_T7_T9_mT8_P12ihipStream_tbDpT10_ENKUlT_T0_E_clISt17integral_constantIbLb0EES1A_IbLb1EEEEDaS16_S17_EUlS16_E_NS1_11comp_targetILNS1_3genE2ELNS1_11target_archE906ELNS1_3gpuE6ELNS1_3repE0EEENS1_30default_config_static_selectorELNS0_4arch9wavefront6targetE0EEEvT1_.numbered_sgpr, 0
	.set _ZN7rocprim17ROCPRIM_400000_NS6detail17trampoline_kernelINS0_14default_configENS1_25partition_config_selectorILNS1_17partition_subalgoE6EtNS0_10empty_typeEbEEZZNS1_14partition_implILS5_6ELb0ES3_mN6thrust23THRUST_200600_302600_NS6detail15normal_iteratorINSA_10device_ptrItEEEEPS6_SG_NS0_5tupleIJNSA_16discard_iteratorINSA_11use_defaultEEES6_EEENSH_IJSG_SG_EEES6_PlJNSB_9not_fun_tINSB_14equal_to_valueItEEEEEEE10hipError_tPvRmT3_T4_T5_T6_T7_T9_mT8_P12ihipStream_tbDpT10_ENKUlT_T0_E_clISt17integral_constantIbLb0EES1A_IbLb1EEEEDaS16_S17_EUlS16_E_NS1_11comp_targetILNS1_3genE2ELNS1_11target_archE906ELNS1_3gpuE6ELNS1_3repE0EEENS1_30default_config_static_selectorELNS0_4arch9wavefront6targetE0EEEvT1_.num_named_barrier, 0
	.set _ZN7rocprim17ROCPRIM_400000_NS6detail17trampoline_kernelINS0_14default_configENS1_25partition_config_selectorILNS1_17partition_subalgoE6EtNS0_10empty_typeEbEEZZNS1_14partition_implILS5_6ELb0ES3_mN6thrust23THRUST_200600_302600_NS6detail15normal_iteratorINSA_10device_ptrItEEEEPS6_SG_NS0_5tupleIJNSA_16discard_iteratorINSA_11use_defaultEEES6_EEENSH_IJSG_SG_EEES6_PlJNSB_9not_fun_tINSB_14equal_to_valueItEEEEEEE10hipError_tPvRmT3_T4_T5_T6_T7_T9_mT8_P12ihipStream_tbDpT10_ENKUlT_T0_E_clISt17integral_constantIbLb0EES1A_IbLb1EEEEDaS16_S17_EUlS16_E_NS1_11comp_targetILNS1_3genE2ELNS1_11target_archE906ELNS1_3gpuE6ELNS1_3repE0EEENS1_30default_config_static_selectorELNS0_4arch9wavefront6targetE0EEEvT1_.private_seg_size, 0
	.set _ZN7rocprim17ROCPRIM_400000_NS6detail17trampoline_kernelINS0_14default_configENS1_25partition_config_selectorILNS1_17partition_subalgoE6EtNS0_10empty_typeEbEEZZNS1_14partition_implILS5_6ELb0ES3_mN6thrust23THRUST_200600_302600_NS6detail15normal_iteratorINSA_10device_ptrItEEEEPS6_SG_NS0_5tupleIJNSA_16discard_iteratorINSA_11use_defaultEEES6_EEENSH_IJSG_SG_EEES6_PlJNSB_9not_fun_tINSB_14equal_to_valueItEEEEEEE10hipError_tPvRmT3_T4_T5_T6_T7_T9_mT8_P12ihipStream_tbDpT10_ENKUlT_T0_E_clISt17integral_constantIbLb0EES1A_IbLb1EEEEDaS16_S17_EUlS16_E_NS1_11comp_targetILNS1_3genE2ELNS1_11target_archE906ELNS1_3gpuE6ELNS1_3repE0EEENS1_30default_config_static_selectorELNS0_4arch9wavefront6targetE0EEEvT1_.uses_vcc, 0
	.set _ZN7rocprim17ROCPRIM_400000_NS6detail17trampoline_kernelINS0_14default_configENS1_25partition_config_selectorILNS1_17partition_subalgoE6EtNS0_10empty_typeEbEEZZNS1_14partition_implILS5_6ELb0ES3_mN6thrust23THRUST_200600_302600_NS6detail15normal_iteratorINSA_10device_ptrItEEEEPS6_SG_NS0_5tupleIJNSA_16discard_iteratorINSA_11use_defaultEEES6_EEENSH_IJSG_SG_EEES6_PlJNSB_9not_fun_tINSB_14equal_to_valueItEEEEEEE10hipError_tPvRmT3_T4_T5_T6_T7_T9_mT8_P12ihipStream_tbDpT10_ENKUlT_T0_E_clISt17integral_constantIbLb0EES1A_IbLb1EEEEDaS16_S17_EUlS16_E_NS1_11comp_targetILNS1_3genE2ELNS1_11target_archE906ELNS1_3gpuE6ELNS1_3repE0EEENS1_30default_config_static_selectorELNS0_4arch9wavefront6targetE0EEEvT1_.uses_flat_scratch, 0
	.set _ZN7rocprim17ROCPRIM_400000_NS6detail17trampoline_kernelINS0_14default_configENS1_25partition_config_selectorILNS1_17partition_subalgoE6EtNS0_10empty_typeEbEEZZNS1_14partition_implILS5_6ELb0ES3_mN6thrust23THRUST_200600_302600_NS6detail15normal_iteratorINSA_10device_ptrItEEEEPS6_SG_NS0_5tupleIJNSA_16discard_iteratorINSA_11use_defaultEEES6_EEENSH_IJSG_SG_EEES6_PlJNSB_9not_fun_tINSB_14equal_to_valueItEEEEEEE10hipError_tPvRmT3_T4_T5_T6_T7_T9_mT8_P12ihipStream_tbDpT10_ENKUlT_T0_E_clISt17integral_constantIbLb0EES1A_IbLb1EEEEDaS16_S17_EUlS16_E_NS1_11comp_targetILNS1_3genE2ELNS1_11target_archE906ELNS1_3gpuE6ELNS1_3repE0EEENS1_30default_config_static_selectorELNS0_4arch9wavefront6targetE0EEEvT1_.has_dyn_sized_stack, 0
	.set _ZN7rocprim17ROCPRIM_400000_NS6detail17trampoline_kernelINS0_14default_configENS1_25partition_config_selectorILNS1_17partition_subalgoE6EtNS0_10empty_typeEbEEZZNS1_14partition_implILS5_6ELb0ES3_mN6thrust23THRUST_200600_302600_NS6detail15normal_iteratorINSA_10device_ptrItEEEEPS6_SG_NS0_5tupleIJNSA_16discard_iteratorINSA_11use_defaultEEES6_EEENSH_IJSG_SG_EEES6_PlJNSB_9not_fun_tINSB_14equal_to_valueItEEEEEEE10hipError_tPvRmT3_T4_T5_T6_T7_T9_mT8_P12ihipStream_tbDpT10_ENKUlT_T0_E_clISt17integral_constantIbLb0EES1A_IbLb1EEEEDaS16_S17_EUlS16_E_NS1_11comp_targetILNS1_3genE2ELNS1_11target_archE906ELNS1_3gpuE6ELNS1_3repE0EEENS1_30default_config_static_selectorELNS0_4arch9wavefront6targetE0EEEvT1_.has_recursion, 0
	.set _ZN7rocprim17ROCPRIM_400000_NS6detail17trampoline_kernelINS0_14default_configENS1_25partition_config_selectorILNS1_17partition_subalgoE6EtNS0_10empty_typeEbEEZZNS1_14partition_implILS5_6ELb0ES3_mN6thrust23THRUST_200600_302600_NS6detail15normal_iteratorINSA_10device_ptrItEEEEPS6_SG_NS0_5tupleIJNSA_16discard_iteratorINSA_11use_defaultEEES6_EEENSH_IJSG_SG_EEES6_PlJNSB_9not_fun_tINSB_14equal_to_valueItEEEEEEE10hipError_tPvRmT3_T4_T5_T6_T7_T9_mT8_P12ihipStream_tbDpT10_ENKUlT_T0_E_clISt17integral_constantIbLb0EES1A_IbLb1EEEEDaS16_S17_EUlS16_E_NS1_11comp_targetILNS1_3genE2ELNS1_11target_archE906ELNS1_3gpuE6ELNS1_3repE0EEENS1_30default_config_static_selectorELNS0_4arch9wavefront6targetE0EEEvT1_.has_indirect_call, 0
	.section	.AMDGPU.csdata,"",@progbits
; Kernel info:
; codeLenInByte = 0
; TotalNumSgprs: 0
; NumVgprs: 0
; ScratchSize: 0
; MemoryBound: 0
; FloatMode: 240
; IeeeMode: 1
; LDSByteSize: 0 bytes/workgroup (compile time only)
; SGPRBlocks: 0
; VGPRBlocks: 0
; NumSGPRsForWavesPerEU: 1
; NumVGPRsForWavesPerEU: 1
; Occupancy: 16
; WaveLimiterHint : 0
; COMPUTE_PGM_RSRC2:SCRATCH_EN: 0
; COMPUTE_PGM_RSRC2:USER_SGPR: 2
; COMPUTE_PGM_RSRC2:TRAP_HANDLER: 0
; COMPUTE_PGM_RSRC2:TGID_X_EN: 1
; COMPUTE_PGM_RSRC2:TGID_Y_EN: 0
; COMPUTE_PGM_RSRC2:TGID_Z_EN: 0
; COMPUTE_PGM_RSRC2:TIDIG_COMP_CNT: 0
	.section	.text._ZN7rocprim17ROCPRIM_400000_NS6detail17trampoline_kernelINS0_14default_configENS1_25partition_config_selectorILNS1_17partition_subalgoE6EtNS0_10empty_typeEbEEZZNS1_14partition_implILS5_6ELb0ES3_mN6thrust23THRUST_200600_302600_NS6detail15normal_iteratorINSA_10device_ptrItEEEEPS6_SG_NS0_5tupleIJNSA_16discard_iteratorINSA_11use_defaultEEES6_EEENSH_IJSG_SG_EEES6_PlJNSB_9not_fun_tINSB_14equal_to_valueItEEEEEEE10hipError_tPvRmT3_T4_T5_T6_T7_T9_mT8_P12ihipStream_tbDpT10_ENKUlT_T0_E_clISt17integral_constantIbLb0EES1A_IbLb1EEEEDaS16_S17_EUlS16_E_NS1_11comp_targetILNS1_3genE10ELNS1_11target_archE1200ELNS1_3gpuE4ELNS1_3repE0EEENS1_30default_config_static_selectorELNS0_4arch9wavefront6targetE0EEEvT1_,"axG",@progbits,_ZN7rocprim17ROCPRIM_400000_NS6detail17trampoline_kernelINS0_14default_configENS1_25partition_config_selectorILNS1_17partition_subalgoE6EtNS0_10empty_typeEbEEZZNS1_14partition_implILS5_6ELb0ES3_mN6thrust23THRUST_200600_302600_NS6detail15normal_iteratorINSA_10device_ptrItEEEEPS6_SG_NS0_5tupleIJNSA_16discard_iteratorINSA_11use_defaultEEES6_EEENSH_IJSG_SG_EEES6_PlJNSB_9not_fun_tINSB_14equal_to_valueItEEEEEEE10hipError_tPvRmT3_T4_T5_T6_T7_T9_mT8_P12ihipStream_tbDpT10_ENKUlT_T0_E_clISt17integral_constantIbLb0EES1A_IbLb1EEEEDaS16_S17_EUlS16_E_NS1_11comp_targetILNS1_3genE10ELNS1_11target_archE1200ELNS1_3gpuE4ELNS1_3repE0EEENS1_30default_config_static_selectorELNS0_4arch9wavefront6targetE0EEEvT1_,comdat
	.protected	_ZN7rocprim17ROCPRIM_400000_NS6detail17trampoline_kernelINS0_14default_configENS1_25partition_config_selectorILNS1_17partition_subalgoE6EtNS0_10empty_typeEbEEZZNS1_14partition_implILS5_6ELb0ES3_mN6thrust23THRUST_200600_302600_NS6detail15normal_iteratorINSA_10device_ptrItEEEEPS6_SG_NS0_5tupleIJNSA_16discard_iteratorINSA_11use_defaultEEES6_EEENSH_IJSG_SG_EEES6_PlJNSB_9not_fun_tINSB_14equal_to_valueItEEEEEEE10hipError_tPvRmT3_T4_T5_T6_T7_T9_mT8_P12ihipStream_tbDpT10_ENKUlT_T0_E_clISt17integral_constantIbLb0EES1A_IbLb1EEEEDaS16_S17_EUlS16_E_NS1_11comp_targetILNS1_3genE10ELNS1_11target_archE1200ELNS1_3gpuE4ELNS1_3repE0EEENS1_30default_config_static_selectorELNS0_4arch9wavefront6targetE0EEEvT1_ ; -- Begin function _ZN7rocprim17ROCPRIM_400000_NS6detail17trampoline_kernelINS0_14default_configENS1_25partition_config_selectorILNS1_17partition_subalgoE6EtNS0_10empty_typeEbEEZZNS1_14partition_implILS5_6ELb0ES3_mN6thrust23THRUST_200600_302600_NS6detail15normal_iteratorINSA_10device_ptrItEEEEPS6_SG_NS0_5tupleIJNSA_16discard_iteratorINSA_11use_defaultEEES6_EEENSH_IJSG_SG_EEES6_PlJNSB_9not_fun_tINSB_14equal_to_valueItEEEEEEE10hipError_tPvRmT3_T4_T5_T6_T7_T9_mT8_P12ihipStream_tbDpT10_ENKUlT_T0_E_clISt17integral_constantIbLb0EES1A_IbLb1EEEEDaS16_S17_EUlS16_E_NS1_11comp_targetILNS1_3genE10ELNS1_11target_archE1200ELNS1_3gpuE4ELNS1_3repE0EEENS1_30default_config_static_selectorELNS0_4arch9wavefront6targetE0EEEvT1_
	.globl	_ZN7rocprim17ROCPRIM_400000_NS6detail17trampoline_kernelINS0_14default_configENS1_25partition_config_selectorILNS1_17partition_subalgoE6EtNS0_10empty_typeEbEEZZNS1_14partition_implILS5_6ELb0ES3_mN6thrust23THRUST_200600_302600_NS6detail15normal_iteratorINSA_10device_ptrItEEEEPS6_SG_NS0_5tupleIJNSA_16discard_iteratorINSA_11use_defaultEEES6_EEENSH_IJSG_SG_EEES6_PlJNSB_9not_fun_tINSB_14equal_to_valueItEEEEEEE10hipError_tPvRmT3_T4_T5_T6_T7_T9_mT8_P12ihipStream_tbDpT10_ENKUlT_T0_E_clISt17integral_constantIbLb0EES1A_IbLb1EEEEDaS16_S17_EUlS16_E_NS1_11comp_targetILNS1_3genE10ELNS1_11target_archE1200ELNS1_3gpuE4ELNS1_3repE0EEENS1_30default_config_static_selectorELNS0_4arch9wavefront6targetE0EEEvT1_
	.p2align	8
	.type	_ZN7rocprim17ROCPRIM_400000_NS6detail17trampoline_kernelINS0_14default_configENS1_25partition_config_selectorILNS1_17partition_subalgoE6EtNS0_10empty_typeEbEEZZNS1_14partition_implILS5_6ELb0ES3_mN6thrust23THRUST_200600_302600_NS6detail15normal_iteratorINSA_10device_ptrItEEEEPS6_SG_NS0_5tupleIJNSA_16discard_iteratorINSA_11use_defaultEEES6_EEENSH_IJSG_SG_EEES6_PlJNSB_9not_fun_tINSB_14equal_to_valueItEEEEEEE10hipError_tPvRmT3_T4_T5_T6_T7_T9_mT8_P12ihipStream_tbDpT10_ENKUlT_T0_E_clISt17integral_constantIbLb0EES1A_IbLb1EEEEDaS16_S17_EUlS16_E_NS1_11comp_targetILNS1_3genE10ELNS1_11target_archE1200ELNS1_3gpuE4ELNS1_3repE0EEENS1_30default_config_static_selectorELNS0_4arch9wavefront6targetE0EEEvT1_,@function
_ZN7rocprim17ROCPRIM_400000_NS6detail17trampoline_kernelINS0_14default_configENS1_25partition_config_selectorILNS1_17partition_subalgoE6EtNS0_10empty_typeEbEEZZNS1_14partition_implILS5_6ELb0ES3_mN6thrust23THRUST_200600_302600_NS6detail15normal_iteratorINSA_10device_ptrItEEEEPS6_SG_NS0_5tupleIJNSA_16discard_iteratorINSA_11use_defaultEEES6_EEENSH_IJSG_SG_EEES6_PlJNSB_9not_fun_tINSB_14equal_to_valueItEEEEEEE10hipError_tPvRmT3_T4_T5_T6_T7_T9_mT8_P12ihipStream_tbDpT10_ENKUlT_T0_E_clISt17integral_constantIbLb0EES1A_IbLb1EEEEDaS16_S17_EUlS16_E_NS1_11comp_targetILNS1_3genE10ELNS1_11target_archE1200ELNS1_3gpuE4ELNS1_3repE0EEENS1_30default_config_static_selectorELNS0_4arch9wavefront6targetE0EEEvT1_: ; @_ZN7rocprim17ROCPRIM_400000_NS6detail17trampoline_kernelINS0_14default_configENS1_25partition_config_selectorILNS1_17partition_subalgoE6EtNS0_10empty_typeEbEEZZNS1_14partition_implILS5_6ELb0ES3_mN6thrust23THRUST_200600_302600_NS6detail15normal_iteratorINSA_10device_ptrItEEEEPS6_SG_NS0_5tupleIJNSA_16discard_iteratorINSA_11use_defaultEEES6_EEENSH_IJSG_SG_EEES6_PlJNSB_9not_fun_tINSB_14equal_to_valueItEEEEEEE10hipError_tPvRmT3_T4_T5_T6_T7_T9_mT8_P12ihipStream_tbDpT10_ENKUlT_T0_E_clISt17integral_constantIbLb0EES1A_IbLb1EEEEDaS16_S17_EUlS16_E_NS1_11comp_targetILNS1_3genE10ELNS1_11target_archE1200ELNS1_3gpuE4ELNS1_3repE0EEENS1_30default_config_static_selectorELNS0_4arch9wavefront6targetE0EEEvT1_
; %bb.0:
	s_clause 0x2
	s_load_b64 s[8:9], s[0:1], 0x58
	s_load_b128 s[20:23], s[0:1], 0x48
	s_load_b64 s[24:25], s[0:1], 0x68
	v_cmp_eq_u32_e64 s2, 0, v0
	s_and_saveexec_b32 s3, s2
	s_cbranch_execz .LBB1722_4
; %bb.1:
	s_mov_b32 s5, exec_lo
	s_mov_b32 s4, exec_lo
	v_mbcnt_lo_u32_b32 v1, s5, 0
                                        ; implicit-def: $vgpr2
	s_delay_alu instid0(VALU_DEP_1)
	v_cmpx_eq_u32_e32 0, v1
	s_cbranch_execz .LBB1722_3
; %bb.2:
	s_load_b64 s[6:7], s[0:1], 0x78
	s_bcnt1_i32_b32 s5, s5
	s_wait_alu 0xfffe
	v_dual_mov_b32 v2, 0 :: v_dual_mov_b32 v3, s5
	s_wait_kmcnt 0x0
	global_atomic_add_u32 v2, v2, v3, s[6:7] th:TH_ATOMIC_RETURN scope:SCOPE_DEV
.LBB1722_3:
	s_or_b32 exec_lo, exec_lo, s4
	s_wait_loadcnt 0x0
	v_readfirstlane_b32 s4, v2
	s_wait_alu 0xf1ff
	s_delay_alu instid0(VALU_DEP_1)
	v_dual_mov_b32 v2, 0 :: v_dual_add_nc_u32 v1, s4, v1
	ds_store_b32 v2, v1
.LBB1722_4:
	s_or_b32 exec_lo, exec_lo, s3
	v_dual_mov_b32 v2, 0 :: v_dual_lshlrev_b32 v19, 1, v0
	s_clause 0x2
	s_load_b128 s[4:7], s[0:1], 0x8
	s_load_b32 s3, s[0:1], 0x70
	s_load_b32 s26, s[0:1], 0x80
	s_wait_dscnt 0x0
	s_barrier_signal -1
	s_barrier_wait -1
	global_inv scope:SCOPE_SE
	ds_load_b32 v3, v2
	s_wait_loadcnt_dscnt 0x0
	s_barrier_signal -1
	s_barrier_wait -1
	global_inv scope:SCOPE_SE
	s_wait_kmcnt 0x0
	global_load_b64 v[17:18], v2, s[22:23]
	s_mov_b32 s11, 0
	s_lshl_b64 s[0:1], s[6:7], 1
	s_mul_i32 s10, s3, 0x1b00
	s_add_co_i32 s12, s3, -1
	s_add_co_i32 s3, s10, s6
	s_add_nc_u64 s[6:7], s[6:7], s[10:11]
	s_sub_co_i32 s27, s8, s3
	v_cmp_gt_u64_e64 s3, s[8:9], s[6:7]
	v_mul_lo_u32 v1, 0x1b00, v3
	v_readfirstlane_b32 s23, v3
	v_cmp_ne_u32_e32 vcc_lo, s12, v3
	s_add_nc_u64 s[0:1], s[4:5], s[0:1]
	s_cmp_eq_u32 s23, s12
	v_lshlrev_b64_e32 v[1:2], 1, v[1:2]
	s_cselect_b32 s19, -1, 0
	s_or_b32 s10, s3, vcc_lo
	s_delay_alu instid0(VALU_DEP_1) | instskip(NEXT) | instid1(VALU_DEP_1)
	v_add_co_u32 v20, vcc_lo, s0, v1
	v_add_co_ci_u32_e64 v21, null, s1, v2, vcc_lo
	s_and_b32 vcc_lo, exec_lo, s10
	s_mov_b32 s0, -1
	s_wait_alu 0xfffe
	s_cbranch_vccz .LBB1722_6
; %bb.5:
	v_add_co_u32 v1, vcc_lo, v20, v19
	s_wait_alu 0xfffd
	v_add_co_ci_u32_e64 v2, null, 0, v21, vcc_lo
	s_mov_b32 s0, 0
	s_clause 0x11
	flat_load_u16 v3, v[1:2]
	flat_load_u16 v4, v[1:2] offset:768
	flat_load_u16 v5, v[1:2] offset:1536
	flat_load_u16 v6, v[1:2] offset:2304
	flat_load_u16 v7, v[1:2] offset:3072
	flat_load_u16 v8, v[1:2] offset:3840
	flat_load_u16 v9, v[1:2] offset:4608
	flat_load_u16 v10, v[1:2] offset:5376
	flat_load_u16 v11, v[1:2] offset:6144
	flat_load_u16 v12, v[1:2] offset:6912
	flat_load_u16 v13, v[1:2] offset:7680
	flat_load_u16 v14, v[1:2] offset:8448
	flat_load_u16 v15, v[1:2] offset:9216
	flat_load_u16 v16, v[1:2] offset:9984
	flat_load_u16 v22, v[1:2] offset:10752
	flat_load_u16 v23, v[1:2] offset:11520
	flat_load_u16 v24, v[1:2] offset:12288
	flat_load_u16 v1, v[1:2] offset:13056
	s_wait_loadcnt_dscnt 0x1111
	ds_store_b16 v19, v3
	s_wait_loadcnt_dscnt 0x1011
	ds_store_b16 v19, v4 offset:768
	s_wait_loadcnt_dscnt 0xf11
	ds_store_b16 v19, v5 offset:1536
	;; [unrolled: 2-line block ×17, first 2 shown]
	s_wait_dscnt 0x0
	s_barrier_signal -1
	s_barrier_wait -1
.LBB1722_6:
	s_wait_alu 0xfffe
	s_and_not1_b32 vcc_lo, exec_lo, s0
	s_addk_co_i32 s27, 0x1b00
	s_wait_alu 0xfffe
	s_cbranch_vccnz .LBB1722_44
; %bb.7:
	v_mov_b32_e32 v1, 0
	s_mov_b32 s0, exec_lo
	s_delay_alu instid0(VALU_DEP_1)
	v_dual_mov_b32 v2, v1 :: v_dual_mov_b32 v3, v1
	v_dual_mov_b32 v4, v1 :: v_dual_mov_b32 v5, v1
	;; [unrolled: 1-line block ×4, first 2 shown]
	v_cmpx_gt_u32_e64 s27, v0
	s_cbranch_execz .LBB1722_9
; %bb.8:
	v_add_co_u32 v3, vcc_lo, v20, v19
	s_wait_alu 0xfffd
	v_add_co_ci_u32_e64 v4, null, 0, v21, vcc_lo
	v_mov_b32_e32 v2, v1
	v_dual_mov_b32 v6, v1 :: v_dual_mov_b32 v7, v1
	v_dual_mov_b32 v5, v1 :: v_dual_mov_b32 v8, v1
	v_mov_b32_e32 v9, v1
	flat_load_d16_b16 v2, v[3:4]
	v_dual_mov_b32 v3, v1 :: v_dual_mov_b32 v4, v1
	v_mov_b32_e32 v10, v1
	s_wait_loadcnt_dscnt 0x0
	v_mov_b32_e32 v1, v2
	s_delay_alu instid0(VALU_DEP_3)
	v_mov_b32_e32 v2, v3
	v_mov_b32_e32 v3, v4
	;; [unrolled: 1-line block ×15, first 2 shown]
.LBB1722_9:
	s_wait_alu 0xfffe
	s_or_b32 exec_lo, exec_lo, s0
	v_add_nc_u32_e32 v10, 0x180, v0
	s_mov_b32 s0, exec_lo
	s_delay_alu instid0(VALU_DEP_1)
	v_cmpx_gt_u32_e64 s27, v10
	s_cbranch_execz .LBB1722_11
; %bb.10:
	v_add_co_u32 v10, vcc_lo, v20, v19
	s_wait_alu 0xfffd
	v_add_co_ci_u32_e64 v11, null, 0, v21, vcc_lo
	flat_load_d16_hi_b16 v1, v[10:11] offset:768
.LBB1722_11:
	s_wait_alu 0xfffe
	s_or_b32 exec_lo, exec_lo, s0
	v_add_nc_u32_e32 v10, 0x300, v0
	s_mov_b32 s0, exec_lo
	s_delay_alu instid0(VALU_DEP_1)
	v_cmpx_gt_u32_e64 s27, v10
	s_cbranch_execz .LBB1722_13
; %bb.12:
	v_add_co_u32 v10, vcc_lo, v20, v19
	s_wait_alu 0xfffd
	v_add_co_ci_u32_e64 v11, null, 0, v21, vcc_lo
	flat_load_d16_b16 v2, v[10:11] offset:1536
.LBB1722_13:
	s_wait_alu 0xfffe
	s_or_b32 exec_lo, exec_lo, s0
	v_add_nc_u32_e32 v10, 0x480, v0
	s_mov_b32 s0, exec_lo
	s_delay_alu instid0(VALU_DEP_1)
	v_cmpx_gt_u32_e64 s27, v10
	s_cbranch_execz .LBB1722_15
; %bb.14:
	v_add_co_u32 v10, vcc_lo, v20, v19
	s_wait_alu 0xfffd
	v_add_co_ci_u32_e64 v11, null, 0, v21, vcc_lo
	s_wait_loadcnt_dscnt 0x0
	flat_load_d16_hi_b16 v2, v[10:11] offset:2304
.LBB1722_15:
	s_wait_alu 0xfffe
	s_or_b32 exec_lo, exec_lo, s0
	v_or_b32_e32 v10, 0x600, v0
	s_mov_b32 s0, exec_lo
	s_delay_alu instid0(VALU_DEP_1)
	v_cmpx_gt_u32_e64 s27, v10
	s_cbranch_execz .LBB1722_17
; %bb.16:
	v_add_co_u32 v10, vcc_lo, v20, v19
	s_wait_alu 0xfffd
	v_add_co_ci_u32_e64 v11, null, 0, v21, vcc_lo
	flat_load_d16_b16 v3, v[10:11] offset:3072
.LBB1722_17:
	s_wait_alu 0xfffe
	s_or_b32 exec_lo, exec_lo, s0
	v_add_nc_u32_e32 v10, 0x780, v0
	s_mov_b32 s0, exec_lo
	s_delay_alu instid0(VALU_DEP_1)
	v_cmpx_gt_u32_e64 s27, v10
	s_cbranch_execz .LBB1722_19
; %bb.18:
	v_add_co_u32 v10, vcc_lo, v20, v19
	s_wait_alu 0xfffd
	v_add_co_ci_u32_e64 v11, null, 0, v21, vcc_lo
	s_wait_loadcnt_dscnt 0x0
	flat_load_d16_hi_b16 v3, v[10:11] offset:3840
.LBB1722_19:
	s_wait_alu 0xfffe
	s_or_b32 exec_lo, exec_lo, s0
	v_add_nc_u32_e32 v10, 0x900, v0
	s_mov_b32 s0, exec_lo
	s_delay_alu instid0(VALU_DEP_1)
	v_cmpx_gt_u32_e64 s27, v10
	s_cbranch_execz .LBB1722_21
; %bb.20:
	v_add_co_u32 v10, vcc_lo, v20, v19
	s_wait_alu 0xfffd
	v_add_co_ci_u32_e64 v11, null, 0, v21, vcc_lo
	flat_load_d16_b16 v4, v[10:11] offset:4608
.LBB1722_21:
	s_wait_alu 0xfffe
	s_or_b32 exec_lo, exec_lo, s0
	v_add_nc_u32_e32 v10, 0xa80, v0
	s_mov_b32 s0, exec_lo
	s_delay_alu instid0(VALU_DEP_1)
	v_cmpx_gt_u32_e64 s27, v10
	s_cbranch_execz .LBB1722_23
; %bb.22:
	v_add_co_u32 v10, vcc_lo, v20, v19
	s_wait_alu 0xfffd
	v_add_co_ci_u32_e64 v11, null, 0, v21, vcc_lo
	s_wait_loadcnt_dscnt 0x0
	flat_load_d16_hi_b16 v4, v[10:11] offset:5376
.LBB1722_23:
	s_wait_alu 0xfffe
	s_or_b32 exec_lo, exec_lo, s0
	v_or_b32_e32 v10, 0xc00, v0
	s_mov_b32 s0, exec_lo
	s_delay_alu instid0(VALU_DEP_1)
	v_cmpx_gt_u32_e64 s27, v10
	s_cbranch_execz .LBB1722_25
; %bb.24:
	v_add_co_u32 v10, vcc_lo, v20, v19
	s_wait_alu 0xfffd
	v_add_co_ci_u32_e64 v11, null, 0, v21, vcc_lo
	flat_load_d16_b16 v5, v[10:11] offset:6144
.LBB1722_25:
	s_wait_alu 0xfffe
	s_or_b32 exec_lo, exec_lo, s0
	v_add_nc_u32_e32 v10, 0xd80, v0
	s_mov_b32 s0, exec_lo
	s_delay_alu instid0(VALU_DEP_1)
	v_cmpx_gt_u32_e64 s27, v10
	s_cbranch_execz .LBB1722_27
; %bb.26:
	v_add_co_u32 v10, vcc_lo, v20, v19
	s_wait_alu 0xfffd
	v_add_co_ci_u32_e64 v11, null, 0, v21, vcc_lo
	s_wait_loadcnt_dscnt 0x0
	flat_load_d16_hi_b16 v5, v[10:11] offset:6912
.LBB1722_27:
	;; [unrolled: 54-line block ×4, first 2 shown]
	s_wait_alu 0xfffe
	s_or_b32 exec_lo, exec_lo, s0
	s_wait_loadcnt_dscnt 0x0
	ds_store_b16 v19, v1
	ds_store_b16_d16_hi v19, v1 offset:768
	ds_store_b16 v19, v2 offset:1536
	ds_store_b16_d16_hi v19, v2 offset:2304
	ds_store_b16 v19, v3 offset:3072
	;; [unrolled: 2-line block ×8, first 2 shown]
	ds_store_b16_d16_hi v19, v9 offset:13056
	s_wait_dscnt 0x0
	s_barrier_signal -1
	s_barrier_wait -1
.LBB1722_44:
	v_mul_u32_u24_e32 v5, 18, v0
	s_wait_loadcnt 0x0
	global_inv scope:SCOPE_SE
	s_and_not1_b32 vcc_lo, exec_lo, s10
	v_lshlrev_b32_e32 v6, 1, v5
	ds_load_u16 v27, v6 offset:4
	ds_load_u16 v16, v6 offset:34
	ds_load_b32 v28, v6
	ds_load_b128 v[1:4], v6 offset:6
	ds_load_b96 v[13:15], v6 offset:22
	s_wait_loadcnt_dscnt 0x0
	s_barrier_signal -1
	s_barrier_wait -1
	global_inv scope:SCOPE_SE
	v_cmp_ne_u16_e64 s0, s26, v27
	v_cmp_ne_u16_e64 s22, s26, v16
	;; [unrolled: 1-line block ×3, first 2 shown]
	v_lshrrev_b32_e32 v19, 16, v28
	v_cmp_ne_u16_e64 s7, s26, v1
	v_lshrrev_b32_e32 v12, 16, v1
	v_cmp_ne_u16_e64 s9, s26, v2
	;; [unrolled: 2-line block ×7, first 2 shown]
	v_lshrrev_b32_e32 v6, 16, v15
	s_wait_alu 0xfffe
	s_cbranch_vccnz .LBB1722_46
; %bb.45:
	v_cmp_ne_u16_e32 vcc_lo, s26, v19
	s_wait_alu 0xf1ff
	v_cndmask_b32_e64 v22, 0, 1, s7
	v_cndmask_b32_e64 v21, 0, 1, s9
	;; [unrolled: 1-line block ×4, first 2 shown]
	s_wait_alu 0xfffd
	v_cndmask_b32_e64 v20, 0, 1, vcc_lo
	v_lshlrev_b16 v22, 8, v22
	v_cmp_ne_u16_e32 vcc_lo, s26, v12
	v_lshlrev_b16 v21, 8, v21
	v_cndmask_b32_e64 v24, 0, 1, s6
	v_lshlrev_b16 v20, 8, v20
	v_lshrrev_b32_e32 v22, 8, v22
	s_wait_alu 0xfffd
	v_cndmask_b32_e64 v32, 0, 1, vcc_lo
	v_cmp_ne_u16_e32 vcc_lo, s26, v11
	v_lshrrev_b32_e32 v21, 8, v21
	v_lshrrev_b32_e32 v20, 8, v20
	v_lshlrev_b16 v22, 8, v22
	v_cndmask_b32_e64 v25, 0, 1, s5
	v_cndmask_b32_e64 v26, 0, 1, s3
	v_lshlrev_b16 v21, 8, v21
	v_lshlrev_b16 v20, 8, v20
	v_or_b32_e32 v22, v31, v22
	v_lshlrev_b16 v24, 8, v24
	v_lshlrev_b16 v25, 8, v25
	;; [unrolled: 1-line block ×3, first 2 shown]
	v_or_b32_e32 v20, v30, v20
	s_wait_alu 0xfffd
	v_cndmask_b32_e64 v30, 0, 1, vcc_lo
	v_cmp_ne_u16_e32 vcc_lo, s26, v10
	v_or_b32_e32 v21, v32, v21
	v_cndmask_b32_e64 v23, 0, 1, s8
	v_cndmask_b32_e64 v29, 0, 1, s4
	v_lshrrev_b32_e32 v26, 8, v26
	s_wait_alu 0xfffd
	v_cndmask_b32_e64 v31, 0, 1, vcc_lo
	v_cmp_ne_u16_e32 vcc_lo, s26, v9
	v_lshrrev_b32_e32 v24, 8, v24
	v_lshrrev_b32_e32 v25, 8, v25
	v_lshlrev_b16 v23, 8, v23
	v_lshlrev_b16 v29, 8, v29
	s_wait_alu 0xfffd
	v_cndmask_b32_e64 v32, 0, 1, vcc_lo
	v_cmp_ne_u16_e32 vcc_lo, s26, v8
	v_lshlrev_b16 v24, 8, v24
	v_lshlrev_b16 v25, 8, v25
	;; [unrolled: 1-line block ×3, first 2 shown]
	v_or_b32_e32 v23, v30, v23
	s_wait_alu 0xfffd
	v_cndmask_b32_e64 v33, 0, 1, vcc_lo
	v_cmp_ne_u16_e32 vcc_lo, s26, v7
	v_or_b32_e32 v24, v31, v24
	v_or_b32_e32 v25, v32, v25
	v_and_b32_e32 v20, 0xffff, v20
	v_or_b32_e32 v26, v33, v26
	s_wait_alu 0xfffd
	v_cndmask_b32_e64 v34, 0, 1, vcc_lo
	v_lshlrev_b32_e32 v22, 16, v22
	v_and_b32_e32 v21, 0xffff, v21
	v_lshlrev_b32_e32 v23, 16, v23
	v_and_b32_e32 v24, 0xffff, v24
	v_or_b32_e32 v29, v34, v29
	v_lshlrev_b32_e32 v25, 16, v25
	v_and_b32_e32 v26, 0xffff, v26
	v_cmp_ne_u16_e32 vcc_lo, s26, v6
	v_or_b32_e32 v44, v20, v22
	v_lshlrev_b32_e32 v30, 16, v29
	v_or_b32_e32 v38, v21, v23
	v_or_b32_e32 v32, v24, v25
	s_wait_alu 0xfffd
	v_cndmask_b32_e64 v29, 0, 1, vcc_lo
	v_or_b32_e32 v30, v26, v30
	s_cbranch_execz .LBB1722_47
	s_branch .LBB1722_48
.LBB1722_46:
                                        ; implicit-def: $sgpr22
                                        ; implicit-def: $vgpr29
                                        ; implicit-def: $vgpr30
                                        ; implicit-def: $vgpr32
                                        ; implicit-def: $vgpr38
                                        ; implicit-def: $vgpr44
.LBB1722_47:
	v_or_b32_e32 v20, 1, v5
	v_cmp_ne_u16_e32 vcc_lo, s26, v19
	v_add_nc_u32_e32 v21, 3, v5
	v_add_nc_u32_e32 v19, 2, v5
	v_cmp_ne_u16_e64 s8, s26, v2
	v_cmp_gt_u32_e64 s3, s27, v20
	v_add_nc_u32_e32 v20, 4, v5
	v_cmp_gt_u32_e64 s6, s27, v21
	v_cmp_gt_u32_e64 s5, s27, v19
	v_add_nc_u32_e32 v19, 7, v5
	s_and_b32 s3, s3, vcc_lo
	v_cmp_ne_u16_e32 vcc_lo, s26, v1
	v_cmp_gt_u32_e64 s7, s27, v20
	v_add_nc_u32_e32 v20, 5, v5
	s_wait_alu 0xfffe
	v_cndmask_b32_e64 v22, 0, 1, s3
	v_cmp_ne_u16_e64 s3, s26, v12
	s_and_b32 s6, s6, vcc_lo
	v_cmp_ne_u16_e32 vcc_lo, s26, v3
	s_wait_alu 0xfffe
	v_cndmask_b32_e64 v21, 0, 1, s6
	v_cmp_gt_u32_e64 s6, s27, v19
	v_cmp_gt_u32_e64 s9, s27, v20
	v_lshlrev_b16 v12, 8, v22
	v_add_nc_u32_e32 v20, 6, v5
	v_lshlrev_b16 v19, 8, v21
	s_and_b32 s6, s6, vcc_lo
	v_cmp_ne_u16_e32 vcc_lo, s26, v11
	s_wait_alu 0xfffe
	v_cndmask_b32_e64 v21, 0, 1, s6
	s_and_b32 s6, s9, s8
	v_add_nc_u32_e32 v11, 8, v5
	s_wait_alu 0xfffe
	v_cndmask_b32_e64 v22, 0, 1, s6
	v_cmp_gt_u32_e64 s6, s27, v20
	v_lshlrev_b16 v20, 8, v21
	v_cmp_ne_u16_e64 s8, s26, v10
	v_cmp_gt_u32_e64 s9, s27, v11
	v_lshlrev_b16 v21, 8, v22
	v_add_nc_u32_e32 v10, 9, v5
	v_lshrrev_b32_e32 v11, 8, v20
	v_cmp_ne_u16_e64 s10, s26, v4
	v_cmp_ne_u16_e64 s13, s26, v13
	v_lshrrev_b32_e32 v20, 8, v21
	v_add_nc_u32_e32 v21, 11, v5
	v_cmp_gt_u32_e64 s11, s27, v10
	v_add_nc_u32_e32 v10, 10, v5
	v_cmp_ne_u16_e64 s12, s26, v9
	v_cmp_ne_u16_e64 s16, s26, v15
	v_cmp_gt_u32_e64 s14, s27, v21
	s_and_b32 s10, s11, s10
	v_cmp_ne_u16_e64 s0, s26, v28
	v_cndmask_b32_e64 v9, 0, 1, s10
	v_cmp_gt_u32_e64 s10, s27, v10
	s_and_b32 s11, s14, s13
	v_add_nc_u32_e32 v10, 12, v5
	s_wait_alu 0xfffe
	v_cndmask_b32_e64 v21, 0, 1, s11
	v_cmp_ne_u16_e64 s11, s26, v8
	v_add_nc_u32_e32 v8, 13, v5
	v_cmp_ne_u16_e64 s14, s26, v14
	v_cmp_gt_u32_e64 s13, s27, v10
	v_lshlrev_b16 v10, 8, v21
	v_add_nc_u32_e32 v21, 15, v5
	v_cmp_gt_u32_e64 s15, s27, v8
	v_cmp_gt_u32_e64 s1, s27, v5
	v_cmp_ne_u16_e64 s4, s26, v27
	v_cmp_ne_u16_e64 s18, s26, v7
	v_cmp_gt_u32_e64 s17, s27, v21
	s_and_b32 s14, s15, s14
	v_add_nc_u32_e32 v7, 16, v5
	v_cndmask_b32_e64 v8, 0, 1, s14
	s_and_b32 s0, s1, s0
	s_and_b32 s14, s17, s16
	v_add_nc_u32_e32 v22, 14, v5
	s_wait_alu 0xfffe
	v_cndmask_b32_e64 v21, 0, 1, s14
	v_cmp_ne_u16_e64 s14, s26, v6
	v_lshlrev_b16 v6, 8, v8
	v_lshrrev_b32_e32 v8, 8, v12
	v_lshrrev_b32_e32 v12, 8, v19
	v_cndmask_b32_e64 v19, 0, 1, s0
	s_and_b32 s0, s5, s4
	v_cmp_gt_u32_e64 s15, s27, v7
	v_lshlrev_b16 v7, 8, v21
	s_wait_alu 0xfffe
	v_cndmask_b32_e64 v21, 0, 1, s0
	s_and_b32 s0, s7, s3
	v_cmp_gt_u32_e64 s16, s27, v22
	v_lshlrev_b16 v8, 8, v8
	v_lshlrev_b16 v12, 8, v12
	;; [unrolled: 1-line block ×3, first 2 shown]
	s_wait_alu 0xfffe
	v_cndmask_b32_e64 v22, 0, 1, s0
	v_add_nc_u32_e32 v5, 17, v5
	v_or_b32_e32 v8, v19, v8
	v_or_b32_e32 v12, v21, v12
	v_lshlrev_b16 v9, 8, v9
	v_or_b32_e32 v19, v22, v20
	s_and_b32 s3, s6, vcc_lo
	v_cmp_gt_u32_e64 s0, s27, v5
	v_and_b32_e32 v5, 0xffff, v8
	v_lshlrev_b32_e32 v8, 16, v12
	v_and_b32_e32 v12, 0xffff, v19
	s_wait_alu 0xfffe
	v_cndmask_b32_e64 v19, 0, 1, s3
	s_and_b32 s3, s9, s8
	v_lshrrev_b32_e32 v7, 8, v7
	s_wait_alu 0xfffe
	v_cndmask_b32_e64 v20, 0, 1, s3
	s_and_b32 s3, s10, s12
	v_lshrrev_b32_e32 v6, 8, v6
	v_lshrrev_b32_e32 v9, 8, v9
	;; [unrolled: 1-line block ×3, first 2 shown]
	s_wait_alu 0xfffe
	v_cndmask_b32_e64 v21, 0, 1, s3
	s_and_b32 s3, s13, s11
	v_lshlrev_b16 v11, 8, v11
	s_wait_alu 0xfffe
	v_cndmask_b32_e64 v22, 0, 1, s3
	s_and_b32 s3, s16, s18
	v_lshlrev_b16 v9, 8, v9
	v_lshlrev_b16 v10, 8, v10
	;; [unrolled: 1-line block ×4, first 2 shown]
	s_wait_alu 0xfffe
	v_cndmask_b32_e64 v23, 0, 1, s3
	v_or_b32_e32 v11, v19, v11
	v_or_b32_e32 v9, v20, v9
	;; [unrolled: 1-line block ×5, first 2 shown]
	v_cmp_ne_u16_e64 s1, s26, v16
	v_lshlrev_b32_e32 v11, 16, v11
	v_and_b32_e32 v9, 0xffff, v9
	v_lshlrev_b32_e32 v10, 16, v10
	v_and_b32_e32 v6, 0xffff, v6
	v_lshlrev_b32_e32 v7, 16, v7
	s_and_b32 s14, s15, s14
	s_and_b32 s0, s0, s1
	s_wait_alu 0xfffe
	v_cndmask_b32_e64 v29, 0, 1, s14
	v_or_b32_e32 v44, v5, v8
	v_or_b32_e32 v38, v12, v11
	;; [unrolled: 1-line block ×4, first 2 shown]
	s_and_not1_b32 s1, s22, exec_lo
	s_and_b32 s0, s0, exec_lo
	s_wait_alu 0xfffe
	s_or_b32 s22, s1, s0
.LBB1722_48:
	v_dual_mov_b32 v6, 0 :: v_dual_and_b32 v49, 0xff, v44
	v_bfe_u32 v47, v44, 8, 8
	v_cndmask_b32_e64 v5, 0, 1, s22
	v_bfe_u32 v50, v44, 16, 8
	v_lshrrev_b32_e32 v48, 24, v44
	v_and_b32_e32 v46, 0xff, v38
	v_bfe_u32 v45, v38, 8, 8
	v_add3_u32 v5, v49, v5, v47
	v_bfe_u32 v43, v38, 16, 8
	v_lshrrev_b32_e32 v42, 24, v38
	v_and_b32_e32 v41, 0xff, v32
	v_bfe_u32 v40, v32, 8, 8
	v_add_co_u32 v5, s0, v5, v50
	s_wait_alu 0xf1ff
	v_add_co_ci_u32_e64 v7, null, 0, 0, s0
	v_bfe_u32 v39, v32, 16, 8
	s_delay_alu instid0(VALU_DEP_3) | instskip(SKIP_1) | instid1(VALU_DEP_3)
	v_add_co_u32 v5, vcc_lo, v5, v48
	s_wait_alu 0xfffd
	v_add_co_ci_u32_e64 v7, null, 0, v7, vcc_lo
	v_lshrrev_b32_e32 v37, 24, v32
	s_delay_alu instid0(VALU_DEP_3) | instskip(SKIP_1) | instid1(VALU_DEP_3)
	v_add_co_u32 v5, vcc_lo, v5, v46
	s_wait_alu 0xfffd
	v_add_co_ci_u32_e64 v7, null, 0, v7, vcc_lo
	v_and_b32_e32 v36, 0xff, v30
	s_delay_alu instid0(VALU_DEP_3) | instskip(SKIP_1) | instid1(VALU_DEP_3)
	v_add_co_u32 v5, vcc_lo, v5, v45
	s_wait_alu 0xfffd
	v_add_co_ci_u32_e64 v7, null, 0, v7, vcc_lo
	v_bfe_u32 v35, v30, 8, 8
	s_delay_alu instid0(VALU_DEP_3) | instskip(SKIP_1) | instid1(VALU_DEP_3)
	v_add_co_u32 v5, vcc_lo, v5, v43
	s_wait_alu 0xfffd
	v_add_co_ci_u32_e64 v7, null, 0, v7, vcc_lo
	v_bfe_u32 v34, v30, 16, 8
	s_delay_alu instid0(VALU_DEP_3) | instskip(SKIP_1) | instid1(VALU_DEP_3)
	v_add_co_u32 v5, vcc_lo, v5, v42
	s_wait_alu 0xfffd
	v_add_co_ci_u32_e64 v7, null, 0, v7, vcc_lo
	v_lshrrev_b32_e32 v33, 24, v30
	s_delay_alu instid0(VALU_DEP_3) | instskip(SKIP_1) | instid1(VALU_DEP_3)
	v_add_co_u32 v5, vcc_lo, v5, v41
	s_wait_alu 0xfffd
	v_add_co_ci_u32_e64 v7, null, 0, v7, vcc_lo
	v_mbcnt_lo_u32_b32 v51, -1, 0
	s_delay_alu instid0(VALU_DEP_3) | instskip(SKIP_1) | instid1(VALU_DEP_3)
	v_add_co_u32 v5, vcc_lo, v5, v40
	s_wait_alu 0xfffd
	v_add_co_ci_u32_e64 v7, null, 0, v7, vcc_lo
	v_and_b32_e32 v31, 0xff, v29
	s_delay_alu instid0(VALU_DEP_3) | instskip(SKIP_1) | instid1(VALU_DEP_3)
	v_add_co_u32 v5, vcc_lo, v5, v39
	s_wait_alu 0xfffd
	v_add_co_ci_u32_e64 v7, null, 0, v7, vcc_lo
	v_and_b32_e32 v52, 15, v51
	s_delay_alu instid0(VALU_DEP_3) | instskip(SKIP_1) | instid1(VALU_DEP_3)
	v_add_co_u32 v5, vcc_lo, v5, v37
	s_wait_alu 0xfffd
	v_add_co_ci_u32_e64 v7, null, 0, v7, vcc_lo
	s_delay_alu instid0(VALU_DEP_3) | instskip(NEXT) | instid1(VALU_DEP_3)
	v_cmp_ne_u32_e64 s0, 0, v52
	v_add_co_u32 v5, vcc_lo, v5, v36
	s_wait_alu 0xfffd
	s_delay_alu instid0(VALU_DEP_3)
	v_add_co_ci_u32_e64 v7, null, 0, v7, vcc_lo
	s_cmp_lg_u32 s23, 0
	v_add_co_u32 v5, vcc_lo, v5, v35
	s_wait_alu 0xfffd
	v_add_co_ci_u32_e64 v7, null, 0, v7, vcc_lo
	s_mov_b32 s1, -1
	v_add_co_u32 v5, vcc_lo, v5, v34
	s_wait_alu 0xfffd
	v_add_co_ci_u32_e64 v7, null, 0, v7, vcc_lo
	s_delay_alu instid0(VALU_DEP_2) | instskip(SKIP_1) | instid1(VALU_DEP_2)
	v_add_co_u32 v5, vcc_lo, v5, v33
	s_wait_alu 0xfffd
	v_add_co_ci_u32_e64 v7, null, 0, v7, vcc_lo
	s_delay_alu instid0(VALU_DEP_2) | instskip(SKIP_1) | instid1(VALU_DEP_2)
	v_add_co_u32 v19, vcc_lo, v5, v31
	s_wait_alu 0xfffd
	v_add_co_ci_u32_e64 v20, null, 0, v7, vcc_lo
	s_cbranch_scc0 .LBB1722_107
; %bb.49:
	v_mov_b32_e32 v7, v19
	v_mov_b32_dpp v5, v19 row_shr:1 row_mask:0xf bank_mask:0xf
	v_mov_b32_dpp v10, v6 row_shr:1 row_mask:0xf bank_mask:0xf
	v_dual_mov_b32 v9, v19 :: v_dual_mov_b32 v8, v20
	s_and_saveexec_b32 s1, s0
; %bb.50:
	s_delay_alu instid0(VALU_DEP_3) | instskip(SKIP_2) | instid1(VALU_DEP_2)
	v_add_co_u32 v9, vcc_lo, v19, v5
	s_wait_alu 0xfffd
	v_add_co_ci_u32_e64 v6, null, 0, v20, vcc_lo
	v_add_co_u32 v5, vcc_lo, 0, v9
	s_wait_alu 0xfffd
	s_delay_alu instid0(VALU_DEP_2) | instskip(NEXT) | instid1(VALU_DEP_1)
	v_add_co_ci_u32_e64 v6, null, v10, v6, vcc_lo
	v_dual_mov_b32 v8, v6 :: v_dual_mov_b32 v7, v5
; %bb.51:
	s_wait_alu 0xfffe
	s_or_b32 exec_lo, exec_lo, s1
	v_mov_b32_dpp v5, v9 row_shr:2 row_mask:0xf bank_mask:0xf
	v_mov_b32_dpp v10, v6 row_shr:2 row_mask:0xf bank_mask:0xf
	v_cmp_lt_u32_e32 vcc_lo, 1, v52
	s_and_saveexec_b32 s3, vcc_lo
; %bb.52:
	s_delay_alu instid0(VALU_DEP_3) | instskip(SKIP_2) | instid1(VALU_DEP_2)
	v_add_co_u32 v9, s1, v7, v5
	s_wait_alu 0xf1ff
	v_add_co_ci_u32_e64 v6, null, 0, v8, s1
	v_add_co_u32 v5, s1, 0, v9
	s_wait_alu 0xf1ff
	s_delay_alu instid0(VALU_DEP_2) | instskip(NEXT) | instid1(VALU_DEP_1)
	v_add_co_ci_u32_e64 v6, null, v10, v6, s1
	v_dual_mov_b32 v8, v6 :: v_dual_mov_b32 v7, v5
; %bb.53:
	s_wait_alu 0xfffe
	s_or_b32 exec_lo, exec_lo, s3
	v_mov_b32_dpp v5, v9 row_shr:4 row_mask:0xf bank_mask:0xf
	v_mov_b32_dpp v10, v6 row_shr:4 row_mask:0xf bank_mask:0xf
	v_cmp_lt_u32_e64 s1, 3, v52
	s_and_saveexec_b32 s4, s1
; %bb.54:
	v_add_co_u32 v9, s3, v7, v5
	s_wait_alu 0xf1ff
	v_add_co_ci_u32_e64 v6, null, 0, v8, s3
	s_delay_alu instid0(VALU_DEP_2) | instskip(SKIP_1) | instid1(VALU_DEP_2)
	v_add_co_u32 v5, s3, 0, v9
	s_wait_alu 0xf1ff
	v_add_co_ci_u32_e64 v6, null, v10, v6, s3
	s_delay_alu instid0(VALU_DEP_1)
	v_dual_mov_b32 v8, v6 :: v_dual_mov_b32 v7, v5
; %bb.55:
	s_wait_alu 0xfffe
	s_or_b32 exec_lo, exec_lo, s4
	v_mov_b32_dpp v10, v9 row_shr:8 row_mask:0xf bank_mask:0xf
	v_mov_b32_dpp v5, v6 row_shr:8 row_mask:0xf bank_mask:0xf
	v_cmp_lt_u32_e64 s3, 7, v52
	s_and_saveexec_b32 s5, s3
; %bb.56:
	v_add_co_u32 v9, s4, v7, v10
	s_wait_alu 0xf1ff
	v_add_co_ci_u32_e64 v6, null, 0, v8, s4
	s_delay_alu instid0(VALU_DEP_2) | instskip(SKIP_1) | instid1(VALU_DEP_2)
	v_add_co_u32 v7, s4, 0, v9
	s_wait_alu 0xf1ff
	v_add_co_ci_u32_e64 v8, null, v5, v6, s4
	s_delay_alu instid0(VALU_DEP_1)
	v_mov_b32_e32 v6, v8
; %bb.57:
	s_wait_alu 0xfffe
	s_or_b32 exec_lo, exec_lo, s5
	ds_swizzle_b32 v10, v9 offset:swizzle(BROADCAST,32,15)
	ds_swizzle_b32 v5, v6 offset:swizzle(BROADCAST,32,15)
	v_and_b32_e32 v6, 16, v51
	s_mov_b32 s5, exec_lo
	s_delay_alu instid0(VALU_DEP_1)
	v_cmpx_ne_u32_e32 0, v6
	s_cbranch_execz .LBB1722_59
; %bb.58:
	s_wait_dscnt 0x1
	v_add_co_u32 v9, s4, v7, v10
	s_wait_alu 0xf1ff
	v_add_co_ci_u32_e64 v6, null, 0, v8, s4
	s_delay_alu instid0(VALU_DEP_2) | instskip(SKIP_2) | instid1(VALU_DEP_2)
	v_add_co_u32 v7, s4, 0, v9
	s_wait_dscnt 0x0
	s_wait_alu 0xf1ff
	v_add_co_ci_u32_e64 v8, null, v5, v6, s4
.LBB1722_59:
	s_wait_alu 0xfffe
	s_or_b32 exec_lo, exec_lo, s5
	s_wait_dscnt 0x0
	v_and_b32_e32 v5, 0x1e0, v0
	v_lshrrev_b32_e32 v10, 5, v0
	s_mov_b32 s5, exec_lo
	s_delay_alu instid0(VALU_DEP_2) | instskip(NEXT) | instid1(VALU_DEP_1)
	v_min_u32_e32 v5, 0x160, v5
	v_or_b32_e32 v5, 31, v5
	s_delay_alu instid0(VALU_DEP_1)
	v_cmpx_eq_u32_e64 v0, v5
; %bb.60:
	v_lshlrev_b32_e32 v5, 3, v10
	ds_store_b64 v5, v[7:8]
; %bb.61:
	s_wait_alu 0xfffe
	s_or_b32 exec_lo, exec_lo, s5
	s_delay_alu instid0(SALU_CYCLE_1)
	s_mov_b32 s5, exec_lo
	s_wait_loadcnt_dscnt 0x0
	s_barrier_signal -1
	s_barrier_wait -1
	global_inv scope:SCOPE_SE
	v_cmpx_gt_u32_e32 12, v0
	s_cbranch_execz .LBB1722_71
; %bb.62:
	v_lshlrev_b32_e32 v7, 3, v0
	ds_load_b64 v[5:6], v7
	s_wait_dscnt 0x0
	v_mov_b32_dpp v12, v5 row_shr:1 row_mask:0xf bank_mask:0xf
	v_mov_b32_dpp v11, v6 row_shr:1 row_mask:0xf bank_mask:0xf
	v_mov_b32_e32 v8, v5
	s_and_saveexec_b32 s6, s0
; %bb.63:
	s_delay_alu instid0(VALU_DEP_3) | instskip(SKIP_2) | instid1(VALU_DEP_2)
	v_add_co_u32 v8, s4, v5, v12
	s_wait_alu 0xf1ff
	v_add_co_ci_u32_e64 v6, null, 0, v6, s4
	v_add_co_u32 v5, s4, 0, v8
	s_wait_alu 0xf1ff
	s_delay_alu instid0(VALU_DEP_2)
	v_add_co_ci_u32_e64 v6, null, v11, v6, s4
; %bb.64:
	s_wait_alu 0xfffe
	s_or_b32 exec_lo, exec_lo, s6
	v_mov_b32_dpp v12, v8 row_shr:2 row_mask:0xf bank_mask:0xf
	s_delay_alu instid0(VALU_DEP_2)
	v_mov_b32_dpp v11, v6 row_shr:2 row_mask:0xf bank_mask:0xf
	s_and_saveexec_b32 s4, vcc_lo
; %bb.65:
	s_delay_alu instid0(VALU_DEP_2) | instskip(SKIP_2) | instid1(VALU_DEP_2)
	v_add_co_u32 v8, vcc_lo, v5, v12
	s_wait_alu 0xfffd
	v_add_co_ci_u32_e64 v6, null, 0, v6, vcc_lo
	v_add_co_u32 v5, vcc_lo, 0, v8
	s_wait_alu 0xfffd
	s_delay_alu instid0(VALU_DEP_2)
	v_add_co_ci_u32_e64 v6, null, v11, v6, vcc_lo
; %bb.66:
	s_wait_alu 0xfffe
	s_or_b32 exec_lo, exec_lo, s4
	v_mov_b32_dpp v12, v8 row_shr:4 row_mask:0xf bank_mask:0xf
	s_delay_alu instid0(VALU_DEP_2)
	v_mov_b32_dpp v11, v6 row_shr:4 row_mask:0xf bank_mask:0xf
	s_and_saveexec_b32 s4, s1
; %bb.67:
	s_delay_alu instid0(VALU_DEP_2) | instskip(SKIP_2) | instid1(VALU_DEP_2)
	v_add_co_u32 v8, vcc_lo, v5, v12
	s_wait_alu 0xfffd
	v_add_co_ci_u32_e64 v6, null, 0, v6, vcc_lo
	v_add_co_u32 v5, vcc_lo, 0, v8
	s_wait_alu 0xfffd
	s_delay_alu instid0(VALU_DEP_2)
	v_add_co_ci_u32_e64 v6, null, v11, v6, vcc_lo
; %bb.68:
	s_wait_alu 0xfffe
	s_or_b32 exec_lo, exec_lo, s4
	v_mov_b32_dpp v11, v8 row_shr:8 row_mask:0xf bank_mask:0xf
	s_delay_alu instid0(VALU_DEP_2)
	v_mov_b32_dpp v8, v6 row_shr:8 row_mask:0xf bank_mask:0xf
	s_and_saveexec_b32 s1, s3
; %bb.69:
	s_delay_alu instid0(VALU_DEP_2) | instskip(SKIP_2) | instid1(VALU_DEP_2)
	v_add_co_u32 v5, vcc_lo, v5, v11
	s_wait_alu 0xfffd
	v_add_co_ci_u32_e64 v6, null, 0, v6, vcc_lo
	v_add_co_u32 v5, vcc_lo, v5, 0
	s_wait_alu 0xfffd
	s_delay_alu instid0(VALU_DEP_2)
	v_add_co_ci_u32_e64 v6, null, v6, v8, vcc_lo
; %bb.70:
	s_wait_alu 0xfffe
	s_or_b32 exec_lo, exec_lo, s1
	ds_store_b64 v7, v[5:6]
.LBB1722_71:
	s_wait_alu 0xfffe
	s_or_b32 exec_lo, exec_lo, s5
	s_delay_alu instid0(SALU_CYCLE_1)
	s_mov_b32 s3, exec_lo
	v_cmp_gt_u32_e32 vcc_lo, 32, v0
	s_wait_loadcnt_dscnt 0x0
	s_barrier_signal -1
	s_barrier_wait -1
	global_inv scope:SCOPE_SE
                                        ; implicit-def: $vgpr21_vgpr22
	v_cmpx_lt_u32_e32 31, v0
	s_cbranch_execz .LBB1722_73
; %bb.72:
	v_lshl_add_u32 v5, v10, 3, -8
	ds_load_b64 v[21:22], v5
	s_wait_dscnt 0x0
	v_add_nc_u32_e32 v9, v9, v21
.LBB1722_73:
	s_wait_alu 0xfffe
	s_or_b32 exec_lo, exec_lo, s3
	v_sub_co_u32 v5, s1, v51, 1
	s_delay_alu instid0(VALU_DEP_1) | instskip(SKIP_1) | instid1(VALU_DEP_1)
	v_cmp_gt_i32_e64 s3, 0, v5
	s_wait_alu 0xf1ff
	v_cndmask_b32_e64 v5, v5, v51, s3
	s_delay_alu instid0(VALU_DEP_1)
	v_lshlrev_b32_e32 v5, 2, v5
	ds_bpermute_b32 v53, v5, v9
	s_and_saveexec_b32 s3, vcc_lo
	s_cbranch_execz .LBB1722_112
; %bb.74:
	v_mov_b32_e32 v8, 0
	ds_load_b64 v[5:6], v8 offset:88
	s_and_saveexec_b32 s4, s1
	s_cbranch_execz .LBB1722_76
; %bb.75:
	s_add_co_i32 s6, s23, 32
	s_mov_b32 s7, 0
	s_wait_alu 0xfffe
	s_lshl_b64 s[6:7], s[6:7], 4
	s_wait_alu 0xfffe
	s_add_nc_u64 s[6:7], s[24:25], s[6:7]
	s_wait_alu 0xfffe
	v_dual_mov_b32 v7, 1 :: v_dual_mov_b32 v10, s7
	v_mov_b32_e32 v9, s6
	s_wait_dscnt 0x0
	;;#ASMSTART
	global_store_b128 v[9:10], v[5:8] off scope:SCOPE_DEV	
s_wait_storecnt 0x0
	;;#ASMEND
.LBB1722_76:
	s_wait_alu 0xfffe
	s_or_b32 exec_lo, exec_lo, s4
	v_xad_u32 v23, v51, -1, s23
	s_mov_b32 s5, 0
	s_mov_b32 s4, exec_lo
	s_delay_alu instid0(VALU_DEP_1) | instskip(NEXT) | instid1(VALU_DEP_1)
	v_add_nc_u32_e32 v7, 32, v23
	v_lshlrev_b64_e32 v[7:8], 4, v[7:8]
	s_delay_alu instid0(VALU_DEP_1) | instskip(SKIP_1) | instid1(VALU_DEP_2)
	v_add_co_u32 v7, vcc_lo, s24, v7
	s_wait_alu 0xfffd
	v_add_co_ci_u32_e64 v8, null, s25, v8, vcc_lo
	;;#ASMSTART
	global_load_b128 v[9:12], v[7:8] off scope:SCOPE_DEV	
s_wait_loadcnt 0x0
	;;#ASMEND
	v_and_b32_e32 v12, 0xff, v11
	s_delay_alu instid0(VALU_DEP_1)
	v_cmpx_eq_u16_e32 0, v12
	s_cbranch_execz .LBB1722_79
.LBB1722_77:                            ; =>This Inner Loop Header: Depth=1
	;;#ASMSTART
	global_load_b128 v[9:12], v[7:8] off scope:SCOPE_DEV	
s_wait_loadcnt 0x0
	;;#ASMEND
	v_and_b32_e32 v12, 0xff, v11
	s_delay_alu instid0(VALU_DEP_1)
	v_cmp_ne_u16_e32 vcc_lo, 0, v12
	s_wait_alu 0xfffe
	s_or_b32 s5, vcc_lo, s5
	s_wait_alu 0xfffe
	s_and_not1_b32 exec_lo, exec_lo, s5
	s_cbranch_execnz .LBB1722_77
; %bb.78:
	s_or_b32 exec_lo, exec_lo, s5
.LBB1722_79:
	s_wait_alu 0xfffe
	s_or_b32 exec_lo, exec_lo, s4
	v_cmp_ne_u32_e32 vcc_lo, 31, v51
	v_and_b32_e32 v8, 0xff, v11
	v_lshlrev_b32_e64 v55, v51, -1
	s_mov_b32 s4, exec_lo
	s_wait_alu 0xfffd
	v_add_co_ci_u32_e64 v7, null, 0, v51, vcc_lo
	v_cmp_eq_u16_e32 vcc_lo, 2, v8
	v_mov_b32_e32 v8, v9
	s_delay_alu instid0(VALU_DEP_3)
	v_lshlrev_b32_e32 v54, 2, v7
	s_wait_alu 0xfffd
	v_and_or_b32 v7, vcc_lo, v55, 0x80000000
	ds_bpermute_b32 v24, v54, v9
	ds_bpermute_b32 v12, v54, v10
	v_ctz_i32_b32_e32 v7, v7
	s_delay_alu instid0(VALU_DEP_1)
	v_cmpx_lt_u32_e64 v51, v7
	s_cbranch_execz .LBB1722_81
; %bb.80:
	s_wait_dscnt 0x1
	v_add_co_u32 v8, vcc_lo, v9, v24
	s_wait_alu 0xfffd
	v_add_co_ci_u32_e64 v10, null, 0, v10, vcc_lo
	s_delay_alu instid0(VALU_DEP_2) | instskip(SKIP_2) | instid1(VALU_DEP_2)
	v_add_co_u32 v9, vcc_lo, 0, v8
	s_wait_dscnt 0x0
	s_wait_alu 0xfffd
	v_add_co_ci_u32_e64 v10, null, v12, v10, vcc_lo
.LBB1722_81:
	s_wait_alu 0xfffe
	s_or_b32 exec_lo, exec_lo, s4
	v_cmp_gt_u32_e32 vcc_lo, 30, v51
	v_add_nc_u32_e32 v57, 2, v51
	s_mov_b32 s4, exec_lo
	s_wait_dscnt 0x0
	s_wait_alu 0xfffd
	v_cndmask_b32_e64 v12, 0, 2, vcc_lo
	s_delay_alu instid0(VALU_DEP_1)
	v_add_lshl_u32 v56, v12, v51, 2
	ds_bpermute_b32 v24, v56, v8
	ds_bpermute_b32 v12, v56, v10
	v_cmpx_le_u32_e64 v57, v7
	s_cbranch_execz .LBB1722_83
; %bb.82:
	s_wait_dscnt 0x1
	v_add_co_u32 v8, vcc_lo, v9, v24
	s_wait_alu 0xfffd
	v_add_co_ci_u32_e64 v10, null, 0, v10, vcc_lo
	s_delay_alu instid0(VALU_DEP_2) | instskip(SKIP_2) | instid1(VALU_DEP_2)
	v_add_co_u32 v9, vcc_lo, 0, v8
	s_wait_dscnt 0x0
	s_wait_alu 0xfffd
	v_add_co_ci_u32_e64 v10, null, v12, v10, vcc_lo
.LBB1722_83:
	s_wait_alu 0xfffe
	s_or_b32 exec_lo, exec_lo, s4
	v_cmp_gt_u32_e32 vcc_lo, 28, v51
	v_add_nc_u32_e32 v59, 4, v51
	s_mov_b32 s4, exec_lo
	s_wait_dscnt 0x0
	s_wait_alu 0xfffd
	v_cndmask_b32_e64 v12, 0, 4, vcc_lo
	s_delay_alu instid0(VALU_DEP_1)
	v_add_lshl_u32 v58, v12, v51, 2
	ds_bpermute_b32 v24, v58, v8
	ds_bpermute_b32 v12, v58, v10
	v_cmpx_le_u32_e64 v59, v7
	;; [unrolled: 25-line block ×3, first 2 shown]
	s_cbranch_execz .LBB1722_87
; %bb.86:
	s_wait_dscnt 0x1
	v_add_co_u32 v8, vcc_lo, v9, v24
	s_wait_alu 0xfffd
	v_add_co_ci_u32_e64 v10, null, 0, v10, vcc_lo
	s_delay_alu instid0(VALU_DEP_2) | instskip(SKIP_2) | instid1(VALU_DEP_2)
	v_add_co_u32 v9, vcc_lo, 0, v8
	s_wait_dscnt 0x0
	s_wait_alu 0xfffd
	v_add_co_ci_u32_e64 v10, null, v12, v10, vcc_lo
.LBB1722_87:
	s_wait_alu 0xfffe
	s_or_b32 exec_lo, exec_lo, s4
	v_lshl_or_b32 v62, v51, 2, 64
	v_add_nc_u32_e32 v63, 16, v51
	s_mov_b32 s4, exec_lo
	s_wait_dscnt 0x0
	ds_bpermute_b32 v12, v62, v8
	ds_bpermute_b32 v8, v62, v10
	v_cmpx_le_u32_e64 v63, v7
	s_cbranch_execz .LBB1722_89
; %bb.88:
	s_wait_dscnt 0x1
	v_add_co_u32 v7, vcc_lo, v9, v12
	s_wait_alu 0xfffd
	v_add_co_ci_u32_e64 v10, null, 0, v10, vcc_lo
	s_delay_alu instid0(VALU_DEP_2) | instskip(SKIP_2) | instid1(VALU_DEP_2)
	v_add_co_u32 v9, vcc_lo, v7, 0
	s_wait_dscnt 0x0
	s_wait_alu 0xfffd
	v_add_co_ci_u32_e64 v10, null, v10, v8, vcc_lo
.LBB1722_89:
	s_wait_alu 0xfffe
	s_or_b32 exec_lo, exec_lo, s4
	v_mov_b32_e32 v24, 0
	s_branch .LBB1722_92
.LBB1722_90:                            ;   in Loop: Header=BB1722_92 Depth=1
	s_wait_alu 0xfffe
	s_or_b32 exec_lo, exec_lo, s4
	v_add_co_u32 v9, vcc_lo, v9, v7
	v_subrev_nc_u32_e32 v23, 32, v23
	s_wait_alu 0xfffd
	v_add_co_ci_u32_e64 v10, null, v10, v8, vcc_lo
	s_mov_b32 s4, 0
.LBB1722_91:                            ;   in Loop: Header=BB1722_92 Depth=1
	s_wait_alu 0xfffe
	s_and_b32 vcc_lo, exec_lo, s4
	s_wait_alu 0xfffe
	s_cbranch_vccnz .LBB1722_108
.LBB1722_92:                            ; =>This Loop Header: Depth=1
                                        ;     Child Loop BB1722_95 Depth 2
	v_and_b32_e32 v7, 0xff, v11
	s_mov_b32 s4, -1
	s_delay_alu instid0(VALU_DEP_1)
	v_cmp_ne_u16_e32 vcc_lo, 2, v7
	s_wait_dscnt 0x0
	v_dual_mov_b32 v7, v9 :: v_dual_mov_b32 v8, v10
                                        ; implicit-def: $vgpr9_vgpr10
	s_cmp_lg_u32 vcc_lo, exec_lo
	s_cbranch_scc1 .LBB1722_91
; %bb.93:                               ;   in Loop: Header=BB1722_92 Depth=1
	v_lshlrev_b64_e32 v[9:10], 4, v[23:24]
	s_mov_b32 s4, exec_lo
	s_delay_alu instid0(VALU_DEP_1) | instskip(SKIP_1) | instid1(VALU_DEP_2)
	v_add_co_u32 v25, vcc_lo, s24, v9
	s_wait_alu 0xfffd
	v_add_co_ci_u32_e64 v26, null, s25, v10, vcc_lo
	;;#ASMSTART
	global_load_b128 v[9:12], v[25:26] off scope:SCOPE_DEV	
s_wait_loadcnt 0x0
	;;#ASMEND
	v_and_b32_e32 v12, 0xff, v11
	s_delay_alu instid0(VALU_DEP_1)
	v_cmpx_eq_u16_e32 0, v12
	s_cbranch_execz .LBB1722_97
; %bb.94:                               ;   in Loop: Header=BB1722_92 Depth=1
	s_mov_b32 s5, 0
.LBB1722_95:                            ;   Parent Loop BB1722_92 Depth=1
                                        ; =>  This Inner Loop Header: Depth=2
	;;#ASMSTART
	global_load_b128 v[9:12], v[25:26] off scope:SCOPE_DEV	
s_wait_loadcnt 0x0
	;;#ASMEND
	v_and_b32_e32 v12, 0xff, v11
	s_delay_alu instid0(VALU_DEP_1)
	v_cmp_ne_u16_e32 vcc_lo, 0, v12
	s_wait_alu 0xfffe
	s_or_b32 s5, vcc_lo, s5
	s_wait_alu 0xfffe
	s_and_not1_b32 exec_lo, exec_lo, s5
	s_cbranch_execnz .LBB1722_95
; %bb.96:                               ;   in Loop: Header=BB1722_92 Depth=1
	s_or_b32 exec_lo, exec_lo, s5
.LBB1722_97:                            ;   in Loop: Header=BB1722_92 Depth=1
	s_wait_alu 0xfffe
	s_or_b32 exec_lo, exec_lo, s4
	v_dual_mov_b32 v25, v9 :: v_dual_and_b32 v12, 0xff, v11
	ds_bpermute_b32 v64, v54, v9
	ds_bpermute_b32 v26, v54, v10
	s_mov_b32 s4, exec_lo
	v_cmp_eq_u16_e32 vcc_lo, 2, v12
	s_wait_alu 0xfffd
	v_and_or_b32 v12, vcc_lo, v55, 0x80000000
	s_delay_alu instid0(VALU_DEP_1) | instskip(NEXT) | instid1(VALU_DEP_1)
	v_ctz_i32_b32_e32 v12, v12
	v_cmpx_lt_u32_e64 v51, v12
	s_cbranch_execz .LBB1722_99
; %bb.98:                               ;   in Loop: Header=BB1722_92 Depth=1
	s_wait_dscnt 0x1
	v_add_co_u32 v25, vcc_lo, v9, v64
	s_wait_alu 0xfffd
	v_add_co_ci_u32_e64 v10, null, 0, v10, vcc_lo
	s_delay_alu instid0(VALU_DEP_2) | instskip(SKIP_2) | instid1(VALU_DEP_2)
	v_add_co_u32 v9, vcc_lo, 0, v25
	s_wait_dscnt 0x0
	s_wait_alu 0xfffd
	v_add_co_ci_u32_e64 v10, null, v26, v10, vcc_lo
.LBB1722_99:                            ;   in Loop: Header=BB1722_92 Depth=1
	s_wait_alu 0xfffe
	s_or_b32 exec_lo, exec_lo, s4
	s_wait_dscnt 0x1
	ds_bpermute_b32 v64, v56, v25
	s_wait_dscnt 0x1
	ds_bpermute_b32 v26, v56, v10
	s_mov_b32 s4, exec_lo
	v_cmpx_le_u32_e64 v57, v12
	s_cbranch_execz .LBB1722_101
; %bb.100:                              ;   in Loop: Header=BB1722_92 Depth=1
	s_wait_dscnt 0x1
	v_add_co_u32 v25, vcc_lo, v9, v64
	s_wait_alu 0xfffd
	v_add_co_ci_u32_e64 v10, null, 0, v10, vcc_lo
	s_delay_alu instid0(VALU_DEP_2) | instskip(SKIP_2) | instid1(VALU_DEP_2)
	v_add_co_u32 v9, vcc_lo, 0, v25
	s_wait_dscnt 0x0
	s_wait_alu 0xfffd
	v_add_co_ci_u32_e64 v10, null, v26, v10, vcc_lo
.LBB1722_101:                           ;   in Loop: Header=BB1722_92 Depth=1
	s_wait_alu 0xfffe
	s_or_b32 exec_lo, exec_lo, s4
	s_wait_dscnt 0x1
	ds_bpermute_b32 v64, v58, v25
	s_wait_dscnt 0x1
	ds_bpermute_b32 v26, v58, v10
	s_mov_b32 s4, exec_lo
	v_cmpx_le_u32_e64 v59, v12
	s_cbranch_execz .LBB1722_103
; %bb.102:                              ;   in Loop: Header=BB1722_92 Depth=1
	s_wait_dscnt 0x1
	v_add_co_u32 v25, vcc_lo, v9, v64
	s_wait_alu 0xfffd
	v_add_co_ci_u32_e64 v10, null, 0, v10, vcc_lo
	s_delay_alu instid0(VALU_DEP_2) | instskip(SKIP_2) | instid1(VALU_DEP_2)
	v_add_co_u32 v9, vcc_lo, 0, v25
	s_wait_dscnt 0x0
	s_wait_alu 0xfffd
	v_add_co_ci_u32_e64 v10, null, v26, v10, vcc_lo
.LBB1722_103:                           ;   in Loop: Header=BB1722_92 Depth=1
	;; [unrolled: 20-line block ×3, first 2 shown]
	s_wait_alu 0xfffe
	s_or_b32 exec_lo, exec_lo, s4
	s_wait_dscnt 0x0
	ds_bpermute_b32 v26, v62, v25
	ds_bpermute_b32 v25, v62, v10
	s_mov_b32 s4, exec_lo
	v_cmpx_le_u32_e64 v63, v12
	s_cbranch_execz .LBB1722_90
; %bb.106:                              ;   in Loop: Header=BB1722_92 Depth=1
	s_wait_dscnt 0x1
	v_add_co_u32 v9, vcc_lo, v9, v26
	s_wait_alu 0xfffd
	v_add_co_ci_u32_e64 v10, null, 0, v10, vcc_lo
	s_delay_alu instid0(VALU_DEP_2) | instskip(SKIP_2) | instid1(VALU_DEP_2)
	v_add_co_u32 v9, vcc_lo, v9, 0
	s_wait_dscnt 0x0
	s_wait_alu 0xfffd
	v_add_co_ci_u32_e64 v10, null, v10, v25, vcc_lo
	s_branch .LBB1722_90
.LBB1722_107:
                                        ; implicit-def: $vgpr7_vgpr8
                                        ; implicit-def: $vgpr9_vgpr10
	s_wait_alu 0xfffe
	s_and_b32 vcc_lo, exec_lo, s1
	s_wait_alu 0xfffe
	s_cbranch_vccnz .LBB1722_113
	s_branch .LBB1722_140
.LBB1722_108:
	s_and_saveexec_b32 s4, s1
	s_cbranch_execz .LBB1722_110
; %bb.109:
	s_add_co_i32 s6, s23, 32
	s_mov_b32 s7, 0
	v_add_co_u32 v9, vcc_lo, v7, v5
	s_wait_alu 0xfffe
	s_lshl_b64 s[6:7], s[6:7], 4
	v_dual_mov_b32 v11, 2 :: v_dual_mov_b32 v12, 0
	s_wait_alu 0xfffe
	s_add_nc_u64 s[6:7], s[24:25], s[6:7]
	s_wait_alu 0xfffd
	v_add_co_ci_u32_e64 v10, null, v8, v6, vcc_lo
	s_wait_alu 0xfffe
	v_dual_mov_b32 v24, s7 :: v_dual_mov_b32 v23, s6
	;;#ASMSTART
	global_store_b128 v[23:24], v[9:12] off scope:SCOPE_DEV	
s_wait_storecnt 0x0
	;;#ASMEND
	ds_store_b128 v12, v[5:8] offset:13824
.LBB1722_110:
	s_wait_alu 0xfffe
	s_or_b32 exec_lo, exec_lo, s4
	s_delay_alu instid0(SALU_CYCLE_1)
	s_and_b32 exec_lo, exec_lo, s2
; %bb.111:
	v_mov_b32_e32 v5, 0
	ds_store_b64 v5, v[7:8] offset:88
.LBB1722_112:
	s_wait_alu 0xfffe
	s_or_b32 exec_lo, exec_lo, s3
	v_mov_b32_e32 v5, 0
	s_wait_loadcnt_dscnt 0x0
	s_barrier_signal -1
	s_barrier_wait -1
	global_inv scope:SCOPE_SE
	ds_load_b64 v[9:10], v5 offset:88
	s_wait_loadcnt_dscnt 0x0
	s_barrier_signal -1
	s_barrier_wait -1
	global_inv scope:SCOPE_SE
	ds_load_b128 v[5:8], v5 offset:13824
	v_cndmask_b32_e64 v11, v53, v21, s1
	v_cndmask_b32_e64 v12, 0, v22, s1
	s_delay_alu instid0(VALU_DEP_2) | instskip(NEXT) | instid1(VALU_DEP_2)
	v_cndmask_b32_e64 v11, v11, 0, s2
	v_cndmask_b32_e64 v12, v12, 0, s2
	s_delay_alu instid0(VALU_DEP_2) | instskip(SKIP_1) | instid1(VALU_DEP_2)
	v_add_co_u32 v9, vcc_lo, v9, v11
	s_wait_alu 0xfffd
	v_add_co_ci_u32_e64 v10, null, v10, v12, vcc_lo
	s_branch .LBB1722_140
.LBB1722_113:
	s_wait_dscnt 0x0
	v_dual_mov_b32 v6, 0 :: v_dual_mov_b32 v7, v19
	v_mov_b32_dpp v8, v19 row_shr:1 row_mask:0xf bank_mask:0xf
	s_delay_alu instid0(VALU_DEP_2)
	v_mov_b32_dpp v5, v6 row_shr:1 row_mask:0xf bank_mask:0xf
	s_and_saveexec_b32 s1, s0
; %bb.114:
	s_delay_alu instid0(VALU_DEP_2) | instskip(SKIP_2) | instid1(VALU_DEP_2)
	v_add_co_u32 v7, vcc_lo, v19, v8
	s_wait_alu 0xfffd
	v_add_co_ci_u32_e64 v6, null, 0, v20, vcc_lo
	v_add_co_u32 v19, vcc_lo, 0, v7
	s_wait_alu 0xfffd
	s_delay_alu instid0(VALU_DEP_2) | instskip(NEXT) | instid1(VALU_DEP_1)
	v_add_co_ci_u32_e64 v20, null, v5, v6, vcc_lo
	v_mov_b32_e32 v6, v20
; %bb.115:
	s_wait_alu 0xfffe
	s_or_b32 exec_lo, exec_lo, s1
	v_mov_b32_dpp v5, v7 row_shr:2 row_mask:0xf bank_mask:0xf
	s_delay_alu instid0(VALU_DEP_2)
	v_mov_b32_dpp v8, v6 row_shr:2 row_mask:0xf bank_mask:0xf
	v_cmp_lt_u32_e32 vcc_lo, 1, v52
	s_and_saveexec_b32 s3, vcc_lo
; %bb.116:
	s_delay_alu instid0(VALU_DEP_3) | instskip(SKIP_2) | instid1(VALU_DEP_2)
	v_add_co_u32 v7, s1, v19, v5
	s_wait_alu 0xf1ff
	v_add_co_ci_u32_e64 v6, null, 0, v20, s1
	v_add_co_u32 v5, s1, 0, v7
	s_wait_alu 0xf1ff
	s_delay_alu instid0(VALU_DEP_2) | instskip(NEXT) | instid1(VALU_DEP_1)
	v_add_co_ci_u32_e64 v6, null, v8, v6, s1
	v_dual_mov_b32 v20, v6 :: v_dual_mov_b32 v19, v5
; %bb.117:
	s_wait_alu 0xfffe
	s_or_b32 exec_lo, exec_lo, s3
	v_mov_b32_dpp v5, v7 row_shr:4 row_mask:0xf bank_mask:0xf
	v_mov_b32_dpp v8, v6 row_shr:4 row_mask:0xf bank_mask:0xf
	v_cmp_lt_u32_e64 s1, 3, v52
	s_and_saveexec_b32 s4, s1
; %bb.118:
	v_add_co_u32 v7, s3, v19, v5
	s_wait_alu 0xf1ff
	v_add_co_ci_u32_e64 v6, null, 0, v20, s3
	s_delay_alu instid0(VALU_DEP_2) | instskip(SKIP_1) | instid1(VALU_DEP_2)
	v_add_co_u32 v5, s3, 0, v7
	s_wait_alu 0xf1ff
	v_add_co_ci_u32_e64 v6, null, v8, v6, s3
	s_delay_alu instid0(VALU_DEP_1)
	v_dual_mov_b32 v20, v6 :: v_dual_mov_b32 v19, v5
; %bb.119:
	s_wait_alu 0xfffe
	s_or_b32 exec_lo, exec_lo, s4
	v_mov_b32_dpp v8, v7 row_shr:8 row_mask:0xf bank_mask:0xf
	v_mov_b32_dpp v5, v6 row_shr:8 row_mask:0xf bank_mask:0xf
	v_cmp_lt_u32_e64 s3, 7, v52
	s_and_saveexec_b32 s5, s3
; %bb.120:
	v_add_co_u32 v7, s4, v19, v8
	s_wait_alu 0xf1ff
	v_add_co_ci_u32_e64 v6, null, 0, v20, s4
	s_delay_alu instid0(VALU_DEP_2) | instskip(SKIP_1) | instid1(VALU_DEP_2)
	v_add_co_u32 v19, s4, 0, v7
	s_wait_alu 0xf1ff
	v_add_co_ci_u32_e64 v20, null, v5, v6, s4
	s_delay_alu instid0(VALU_DEP_1)
	v_mov_b32_e32 v6, v20
; %bb.121:
	s_wait_alu 0xfffe
	s_or_b32 exec_lo, exec_lo, s5
	ds_swizzle_b32 v7, v7 offset:swizzle(BROADCAST,32,15)
	ds_swizzle_b32 v5, v6 offset:swizzle(BROADCAST,32,15)
	v_and_b32_e32 v6, 16, v51
	s_mov_b32 s5, exec_lo
	s_delay_alu instid0(VALU_DEP_1)
	v_cmpx_ne_u32_e32 0, v6
	s_cbranch_execz .LBB1722_123
; %bb.122:
	s_wait_dscnt 0x1
	v_add_co_u32 v6, s4, v19, v7
	s_wait_alu 0xf1ff
	v_add_co_ci_u32_e64 v7, null, 0, v20, s4
	s_delay_alu instid0(VALU_DEP_2) | instskip(SKIP_2) | instid1(VALU_DEP_2)
	v_add_co_u32 v19, s4, v6, 0
	s_wait_dscnt 0x0
	s_wait_alu 0xf1ff
	v_add_co_ci_u32_e64 v20, null, v7, v5, s4
.LBB1722_123:
	s_wait_alu 0xfffe
	s_or_b32 exec_lo, exec_lo, s5
	s_wait_dscnt 0x0
	v_and_b32_e32 v5, 0x1e0, v0
	v_lshrrev_b32_e32 v7, 5, v0
	s_mov_b32 s5, exec_lo
	s_delay_alu instid0(VALU_DEP_2) | instskip(NEXT) | instid1(VALU_DEP_1)
	v_min_u32_e32 v5, 0x160, v5
	v_or_b32_e32 v5, 31, v5
	s_delay_alu instid0(VALU_DEP_1)
	v_cmpx_eq_u32_e64 v0, v5
; %bb.124:
	v_lshlrev_b32_e32 v5, 3, v7
	ds_store_b64 v5, v[19:20]
; %bb.125:
	s_wait_alu 0xfffe
	s_or_b32 exec_lo, exec_lo, s5
	s_delay_alu instid0(SALU_CYCLE_1)
	s_mov_b32 s5, exec_lo
	s_wait_loadcnt_dscnt 0x0
	s_barrier_signal -1
	s_barrier_wait -1
	global_inv scope:SCOPE_SE
	v_cmpx_gt_u32_e32 12, v0
	s_cbranch_execz .LBB1722_135
; %bb.126:
	v_lshlrev_b32_e32 v8, 3, v0
	ds_load_b64 v[5:6], v8
	s_wait_dscnt 0x0
	v_mov_b32_dpp v11, v5 row_shr:1 row_mask:0xf bank_mask:0xf
	v_mov_b32_dpp v10, v6 row_shr:1 row_mask:0xf bank_mask:0xf
	v_mov_b32_e32 v9, v5
	s_and_saveexec_b32 s4, s0
; %bb.127:
	s_delay_alu instid0(VALU_DEP_3) | instskip(SKIP_2) | instid1(VALU_DEP_2)
	v_add_co_u32 v9, s0, v5, v11
	s_wait_alu 0xf1ff
	v_add_co_ci_u32_e64 v6, null, 0, v6, s0
	v_add_co_u32 v5, s0, 0, v9
	s_wait_alu 0xf1ff
	s_delay_alu instid0(VALU_DEP_2)
	v_add_co_ci_u32_e64 v6, null, v10, v6, s0
; %bb.128:
	s_wait_alu 0xfffe
	s_or_b32 exec_lo, exec_lo, s4
	v_mov_b32_dpp v11, v9 row_shr:2 row_mask:0xf bank_mask:0xf
	s_delay_alu instid0(VALU_DEP_2)
	v_mov_b32_dpp v10, v6 row_shr:2 row_mask:0xf bank_mask:0xf
	s_and_saveexec_b32 s0, vcc_lo
; %bb.129:
	s_delay_alu instid0(VALU_DEP_2) | instskip(SKIP_2) | instid1(VALU_DEP_2)
	v_add_co_u32 v9, vcc_lo, v5, v11
	s_wait_alu 0xfffd
	v_add_co_ci_u32_e64 v6, null, 0, v6, vcc_lo
	v_add_co_u32 v5, vcc_lo, 0, v9
	s_wait_alu 0xfffd
	s_delay_alu instid0(VALU_DEP_2)
	v_add_co_ci_u32_e64 v6, null, v10, v6, vcc_lo
; %bb.130:
	s_wait_alu 0xfffe
	s_or_b32 exec_lo, exec_lo, s0
	v_mov_b32_dpp v11, v9 row_shr:4 row_mask:0xf bank_mask:0xf
	s_delay_alu instid0(VALU_DEP_2)
	v_mov_b32_dpp v10, v6 row_shr:4 row_mask:0xf bank_mask:0xf
	s_and_saveexec_b32 s0, s1
; %bb.131:
	s_delay_alu instid0(VALU_DEP_2) | instskip(SKIP_2) | instid1(VALU_DEP_2)
	v_add_co_u32 v9, vcc_lo, v5, v11
	s_wait_alu 0xfffd
	v_add_co_ci_u32_e64 v6, null, 0, v6, vcc_lo
	v_add_co_u32 v5, vcc_lo, 0, v9
	s_wait_alu 0xfffd
	s_delay_alu instid0(VALU_DEP_2)
	v_add_co_ci_u32_e64 v6, null, v10, v6, vcc_lo
; %bb.132:
	s_wait_alu 0xfffe
	s_or_b32 exec_lo, exec_lo, s0
	v_mov_b32_dpp v10, v9 row_shr:8 row_mask:0xf bank_mask:0xf
	s_delay_alu instid0(VALU_DEP_2)
	v_mov_b32_dpp v9, v6 row_shr:8 row_mask:0xf bank_mask:0xf
	s_and_saveexec_b32 s0, s3
; %bb.133:
	s_delay_alu instid0(VALU_DEP_2) | instskip(SKIP_2) | instid1(VALU_DEP_2)
	v_add_co_u32 v5, vcc_lo, v5, v10
	s_wait_alu 0xfffd
	v_add_co_ci_u32_e64 v6, null, 0, v6, vcc_lo
	v_add_co_u32 v5, vcc_lo, v5, 0
	s_wait_alu 0xfffd
	s_delay_alu instid0(VALU_DEP_2)
	v_add_co_ci_u32_e64 v6, null, v6, v9, vcc_lo
; %bb.134:
	s_wait_alu 0xfffe
	s_or_b32 exec_lo, exec_lo, s0
	ds_store_b64 v8, v[5:6]
.LBB1722_135:
	s_wait_alu 0xfffe
	s_or_b32 exec_lo, exec_lo, s5
	s_delay_alu instid0(SALU_CYCLE_1)
	s_mov_b32 s0, exec_lo
	v_mov_b32_e32 v9, 0
	v_mov_b32_e32 v10, 0
	s_wait_loadcnt_dscnt 0x0
	s_barrier_signal -1
	s_barrier_wait -1
	global_inv scope:SCOPE_SE
	v_cmpx_lt_u32_e32 31, v0
; %bb.136:
	v_lshl_add_u32 v0, v7, 3, -8
	ds_load_b64 v[9:10], v0
; %bb.137:
	s_wait_alu 0xfffe
	s_or_b32 exec_lo, exec_lo, s0
	v_sub_co_u32 v0, vcc_lo, v51, 1
	s_wait_dscnt 0x0
	v_dual_mov_b32 v8, 0 :: v_dual_add_nc_u32 v5, v9, v19
	s_delay_alu instid0(VALU_DEP_2) | instskip(SKIP_1) | instid1(VALU_DEP_1)
	v_cmp_gt_i32_e64 s0, 0, v0
	s_wait_alu 0xf1ff
	v_cndmask_b32_e64 v0, v0, v51, s0
	s_delay_alu instid0(VALU_DEP_1)
	v_lshlrev_b32_e32 v0, 2, v0
	ds_bpermute_b32 v0, v0, v5
	ds_load_b64 v[5:6], v8 offset:88
	s_and_saveexec_b32 s0, s2
	s_cbranch_execz .LBB1722_139
; %bb.138:
	s_add_nc_u64 s[4:5], s[24:25], 0x200
	v_mov_b32_e32 v7, 2
	s_wait_alu 0xfffe
	v_dual_mov_b32 v11, s5 :: v_dual_mov_b32 v10, s4
	s_wait_dscnt 0x0
	;;#ASMSTART
	global_store_b128 v[10:11], v[5:8] off scope:SCOPE_DEV	
s_wait_storecnt 0x0
	;;#ASMEND
.LBB1722_139:
	s_wait_alu 0xfffe
	s_or_b32 exec_lo, exec_lo, s0
	s_wait_dscnt 0x1
	s_wait_alu 0xfffd
	v_dual_cndmask_b32 v0, v0, v9 :: v_dual_mov_b32 v7, 0
	v_mov_b32_e32 v8, 0
	s_wait_loadcnt_dscnt 0x0
	s_barrier_signal -1
	s_delay_alu instid0(VALU_DEP_2)
	v_cndmask_b32_e64 v9, v0, 0, s2
	s_barrier_wait -1
	global_inv scope:SCOPE_SE
.LBB1722_140:
	s_wait_dscnt 0x0
	v_cmp_gt_u64_e32 vcc_lo, 0x181, v[5:6]
	v_lshrrev_b32_e32 v19, 16, v38
	v_lshrrev_b32_e32 v20, 8, v38
	;; [unrolled: 1-line block ×8, first 2 shown]
	s_cbranch_vccz .LBB1722_143
; %bb.141:
	s_and_b32 s0, s2, s19
	s_wait_alu 0xfffe
	s_and_saveexec_b32 s1, s0
	s_cbranch_execnz .LBB1722_180
.LBB1722_142:
	s_endpgm
.LBB1722_143:
	v_and_b32_e32 v23, 1, v44
	s_mov_b32 s0, exec_lo
	s_delay_alu instid0(VALU_DEP_1)
	v_cmpx_eq_u32_e32 1, v23
; %bb.144:
	v_sub_nc_u32_e32 v23, v9, v7
	s_delay_alu instid0(VALU_DEP_1)
	v_lshlrev_b32_e32 v23, 1, v23
	ds_store_b16 v23, v28
; %bb.145:
	s_wait_alu 0xfffe
	s_or_b32 exec_lo, exec_lo, s0
	v_and_b32_e32 v22, 1, v22
	v_add_co_u32 v9, null, v9, v49
	s_mov_b32 s0, exec_lo
	v_cmpx_eq_u32_e32 1, v22
; %bb.146:
	v_sub_nc_u32_e32 v22, v9, v7
	s_delay_alu instid0(VALU_DEP_1)
	v_lshlrev_b32_e32 v22, 1, v22
	ds_store_b16_d16_hi v22, v28
; %bb.147:
	s_wait_alu 0xfffe
	s_or_b32 exec_lo, exec_lo, s0
	v_and_b32_e32 v21, 1, v21
	v_add_co_u32 v9, null, v9, v47
	s_mov_b32 s0, exec_lo
	v_cmpx_eq_u32_e32 1, v21
; %bb.148:
	v_sub_nc_u32_e32 v21, v9, v7
	s_delay_alu instid0(VALU_DEP_1)
	v_lshlrev_b32_e32 v21, 1, v21
	ds_store_b16 v21, v27
; %bb.149:
	s_wait_alu 0xfffe
	s_or_b32 exec_lo, exec_lo, s0
	v_and_b32_e32 v21, 1, v48
	v_add_co_u32 v9, null, v9, v50
	s_mov_b32 s0, exec_lo
	v_cmpx_eq_u32_e32 1, v21
; %bb.150:
	v_sub_nc_u32_e32 v21, v9, v7
	s_delay_alu instid0(VALU_DEP_1)
	v_lshlrev_b32_e32 v21, 1, v21
	ds_store_b16 v21, v1
; %bb.151:
	s_wait_alu 0xfffe
	s_or_b32 exec_lo, exec_lo, s0
	v_and_b32_e32 v21, 1, v38
	v_add_co_u32 v9, null, v9, v48
	s_mov_b32 s0, exec_lo
	v_cmpx_eq_u32_e32 1, v21
; %bb.152:
	v_sub_nc_u32_e32 v21, v9, v7
	s_delay_alu instid0(VALU_DEP_1)
	v_lshlrev_b32_e32 v21, 1, v21
	ds_store_b16_d16_hi v21, v1
; %bb.153:
	s_wait_alu 0xfffe
	s_or_b32 exec_lo, exec_lo, s0
	v_and_b32_e32 v20, 1, v20
	v_add_co_u32 v1, null, v9, v46
	s_mov_b32 s0, exec_lo
	v_cmpx_eq_u32_e32 1, v20
; %bb.154:
	v_sub_nc_u32_e32 v9, v1, v7
	s_delay_alu instid0(VALU_DEP_1)
	v_lshlrev_b32_e32 v9, 1, v9
	ds_store_b16 v9, v2
; %bb.155:
	s_wait_alu 0xfffe
	s_or_b32 exec_lo, exec_lo, s0
	v_and_b32_e32 v9, 1, v19
	v_add_co_u32 v1, null, v1, v45
	s_mov_b32 s0, exec_lo
	v_cmpx_eq_u32_e32 1, v9
; %bb.156:
	v_sub_nc_u32_e32 v9, v1, v7
	s_delay_alu instid0(VALU_DEP_1)
	v_lshlrev_b32_e32 v9, 1, v9
	ds_store_b16_d16_hi v9, v2
	;; [unrolled: 24-line block ×7, first 2 shown]
; %bb.177:
	s_wait_alu 0xfffe
	s_or_b32 exec_lo, exec_lo, s0
	s_and_saveexec_b32 s0, s22
; %bb.178:
	v_sub_nc_u32_e32 v1, v31, v7
	s_delay_alu instid0(VALU_DEP_1)
	v_add_lshl_u32 v0, v1, v0, 1
	ds_store_b16 v0, v16
; %bb.179:
	s_wait_alu 0xfffe
	s_or_b32 exec_lo, exec_lo, s0
	s_wait_loadcnt_dscnt 0x0
	s_barrier_signal -1
	s_barrier_wait -1
	global_inv scope:SCOPE_SE
	s_and_b32 s0, s2, s19
	s_wait_alu 0xfffe
	s_and_saveexec_b32 s1, s0
	s_cbranch_execz .LBB1722_142
.LBB1722_180:
	v_add_co_u32 v0, vcc_lo, v5, v17
	s_wait_alu 0xfffd
	v_add_co_ci_u32_e64 v1, null, v6, v18, vcc_lo
	v_mov_b32_e32 v2, 0
	s_delay_alu instid0(VALU_DEP_3) | instskip(SKIP_1) | instid1(VALU_DEP_3)
	v_add_co_u32 v0, vcc_lo, v0, v7
	s_wait_alu 0xfffd
	v_add_co_ci_u32_e64 v1, null, v1, v8, vcc_lo
	global_store_b64 v2, v[0:1], s[20:21]
	s_endpgm
	.section	.rodata,"a",@progbits
	.p2align	6, 0x0
	.amdhsa_kernel _ZN7rocprim17ROCPRIM_400000_NS6detail17trampoline_kernelINS0_14default_configENS1_25partition_config_selectorILNS1_17partition_subalgoE6EtNS0_10empty_typeEbEEZZNS1_14partition_implILS5_6ELb0ES3_mN6thrust23THRUST_200600_302600_NS6detail15normal_iteratorINSA_10device_ptrItEEEEPS6_SG_NS0_5tupleIJNSA_16discard_iteratorINSA_11use_defaultEEES6_EEENSH_IJSG_SG_EEES6_PlJNSB_9not_fun_tINSB_14equal_to_valueItEEEEEEE10hipError_tPvRmT3_T4_T5_T6_T7_T9_mT8_P12ihipStream_tbDpT10_ENKUlT_T0_E_clISt17integral_constantIbLb0EES1A_IbLb1EEEEDaS16_S17_EUlS16_E_NS1_11comp_targetILNS1_3genE10ELNS1_11target_archE1200ELNS1_3gpuE4ELNS1_3repE0EEENS1_30default_config_static_selectorELNS0_4arch9wavefront6targetE0EEEvT1_
		.amdhsa_group_segment_fixed_size 13840
		.amdhsa_private_segment_fixed_size 0
		.amdhsa_kernarg_size 136
		.amdhsa_user_sgpr_count 2
		.amdhsa_user_sgpr_dispatch_ptr 0
		.amdhsa_user_sgpr_queue_ptr 0
		.amdhsa_user_sgpr_kernarg_segment_ptr 1
		.amdhsa_user_sgpr_dispatch_id 0
		.amdhsa_user_sgpr_private_segment_size 0
		.amdhsa_wavefront_size32 1
		.amdhsa_uses_dynamic_stack 0
		.amdhsa_enable_private_segment 0
		.amdhsa_system_sgpr_workgroup_id_x 1
		.amdhsa_system_sgpr_workgroup_id_y 0
		.amdhsa_system_sgpr_workgroup_id_z 0
		.amdhsa_system_sgpr_workgroup_info 0
		.amdhsa_system_vgpr_workitem_id 0
		.amdhsa_next_free_vgpr 65
		.amdhsa_next_free_sgpr 28
		.amdhsa_reserve_vcc 1
		.amdhsa_float_round_mode_32 0
		.amdhsa_float_round_mode_16_64 0
		.amdhsa_float_denorm_mode_32 3
		.amdhsa_float_denorm_mode_16_64 3
		.amdhsa_fp16_overflow 0
		.amdhsa_workgroup_processor_mode 1
		.amdhsa_memory_ordered 1
		.amdhsa_forward_progress 1
		.amdhsa_inst_pref_size 75
		.amdhsa_round_robin_scheduling 0
		.amdhsa_exception_fp_ieee_invalid_op 0
		.amdhsa_exception_fp_denorm_src 0
		.amdhsa_exception_fp_ieee_div_zero 0
		.amdhsa_exception_fp_ieee_overflow 0
		.amdhsa_exception_fp_ieee_underflow 0
		.amdhsa_exception_fp_ieee_inexact 0
		.amdhsa_exception_int_div_zero 0
	.end_amdhsa_kernel
	.section	.text._ZN7rocprim17ROCPRIM_400000_NS6detail17trampoline_kernelINS0_14default_configENS1_25partition_config_selectorILNS1_17partition_subalgoE6EtNS0_10empty_typeEbEEZZNS1_14partition_implILS5_6ELb0ES3_mN6thrust23THRUST_200600_302600_NS6detail15normal_iteratorINSA_10device_ptrItEEEEPS6_SG_NS0_5tupleIJNSA_16discard_iteratorINSA_11use_defaultEEES6_EEENSH_IJSG_SG_EEES6_PlJNSB_9not_fun_tINSB_14equal_to_valueItEEEEEEE10hipError_tPvRmT3_T4_T5_T6_T7_T9_mT8_P12ihipStream_tbDpT10_ENKUlT_T0_E_clISt17integral_constantIbLb0EES1A_IbLb1EEEEDaS16_S17_EUlS16_E_NS1_11comp_targetILNS1_3genE10ELNS1_11target_archE1200ELNS1_3gpuE4ELNS1_3repE0EEENS1_30default_config_static_selectorELNS0_4arch9wavefront6targetE0EEEvT1_,"axG",@progbits,_ZN7rocprim17ROCPRIM_400000_NS6detail17trampoline_kernelINS0_14default_configENS1_25partition_config_selectorILNS1_17partition_subalgoE6EtNS0_10empty_typeEbEEZZNS1_14partition_implILS5_6ELb0ES3_mN6thrust23THRUST_200600_302600_NS6detail15normal_iteratorINSA_10device_ptrItEEEEPS6_SG_NS0_5tupleIJNSA_16discard_iteratorINSA_11use_defaultEEES6_EEENSH_IJSG_SG_EEES6_PlJNSB_9not_fun_tINSB_14equal_to_valueItEEEEEEE10hipError_tPvRmT3_T4_T5_T6_T7_T9_mT8_P12ihipStream_tbDpT10_ENKUlT_T0_E_clISt17integral_constantIbLb0EES1A_IbLb1EEEEDaS16_S17_EUlS16_E_NS1_11comp_targetILNS1_3genE10ELNS1_11target_archE1200ELNS1_3gpuE4ELNS1_3repE0EEENS1_30default_config_static_selectorELNS0_4arch9wavefront6targetE0EEEvT1_,comdat
.Lfunc_end1722:
	.size	_ZN7rocprim17ROCPRIM_400000_NS6detail17trampoline_kernelINS0_14default_configENS1_25partition_config_selectorILNS1_17partition_subalgoE6EtNS0_10empty_typeEbEEZZNS1_14partition_implILS5_6ELb0ES3_mN6thrust23THRUST_200600_302600_NS6detail15normal_iteratorINSA_10device_ptrItEEEEPS6_SG_NS0_5tupleIJNSA_16discard_iteratorINSA_11use_defaultEEES6_EEENSH_IJSG_SG_EEES6_PlJNSB_9not_fun_tINSB_14equal_to_valueItEEEEEEE10hipError_tPvRmT3_T4_T5_T6_T7_T9_mT8_P12ihipStream_tbDpT10_ENKUlT_T0_E_clISt17integral_constantIbLb0EES1A_IbLb1EEEEDaS16_S17_EUlS16_E_NS1_11comp_targetILNS1_3genE10ELNS1_11target_archE1200ELNS1_3gpuE4ELNS1_3repE0EEENS1_30default_config_static_selectorELNS0_4arch9wavefront6targetE0EEEvT1_, .Lfunc_end1722-_ZN7rocprim17ROCPRIM_400000_NS6detail17trampoline_kernelINS0_14default_configENS1_25partition_config_selectorILNS1_17partition_subalgoE6EtNS0_10empty_typeEbEEZZNS1_14partition_implILS5_6ELb0ES3_mN6thrust23THRUST_200600_302600_NS6detail15normal_iteratorINSA_10device_ptrItEEEEPS6_SG_NS0_5tupleIJNSA_16discard_iteratorINSA_11use_defaultEEES6_EEENSH_IJSG_SG_EEES6_PlJNSB_9not_fun_tINSB_14equal_to_valueItEEEEEEE10hipError_tPvRmT3_T4_T5_T6_T7_T9_mT8_P12ihipStream_tbDpT10_ENKUlT_T0_E_clISt17integral_constantIbLb0EES1A_IbLb1EEEEDaS16_S17_EUlS16_E_NS1_11comp_targetILNS1_3genE10ELNS1_11target_archE1200ELNS1_3gpuE4ELNS1_3repE0EEENS1_30default_config_static_selectorELNS0_4arch9wavefront6targetE0EEEvT1_
                                        ; -- End function
	.set _ZN7rocprim17ROCPRIM_400000_NS6detail17trampoline_kernelINS0_14default_configENS1_25partition_config_selectorILNS1_17partition_subalgoE6EtNS0_10empty_typeEbEEZZNS1_14partition_implILS5_6ELb0ES3_mN6thrust23THRUST_200600_302600_NS6detail15normal_iteratorINSA_10device_ptrItEEEEPS6_SG_NS0_5tupleIJNSA_16discard_iteratorINSA_11use_defaultEEES6_EEENSH_IJSG_SG_EEES6_PlJNSB_9not_fun_tINSB_14equal_to_valueItEEEEEEE10hipError_tPvRmT3_T4_T5_T6_T7_T9_mT8_P12ihipStream_tbDpT10_ENKUlT_T0_E_clISt17integral_constantIbLb0EES1A_IbLb1EEEEDaS16_S17_EUlS16_E_NS1_11comp_targetILNS1_3genE10ELNS1_11target_archE1200ELNS1_3gpuE4ELNS1_3repE0EEENS1_30default_config_static_selectorELNS0_4arch9wavefront6targetE0EEEvT1_.num_vgpr, 65
	.set _ZN7rocprim17ROCPRIM_400000_NS6detail17trampoline_kernelINS0_14default_configENS1_25partition_config_selectorILNS1_17partition_subalgoE6EtNS0_10empty_typeEbEEZZNS1_14partition_implILS5_6ELb0ES3_mN6thrust23THRUST_200600_302600_NS6detail15normal_iteratorINSA_10device_ptrItEEEEPS6_SG_NS0_5tupleIJNSA_16discard_iteratorINSA_11use_defaultEEES6_EEENSH_IJSG_SG_EEES6_PlJNSB_9not_fun_tINSB_14equal_to_valueItEEEEEEE10hipError_tPvRmT3_T4_T5_T6_T7_T9_mT8_P12ihipStream_tbDpT10_ENKUlT_T0_E_clISt17integral_constantIbLb0EES1A_IbLb1EEEEDaS16_S17_EUlS16_E_NS1_11comp_targetILNS1_3genE10ELNS1_11target_archE1200ELNS1_3gpuE4ELNS1_3repE0EEENS1_30default_config_static_selectorELNS0_4arch9wavefront6targetE0EEEvT1_.num_agpr, 0
	.set _ZN7rocprim17ROCPRIM_400000_NS6detail17trampoline_kernelINS0_14default_configENS1_25partition_config_selectorILNS1_17partition_subalgoE6EtNS0_10empty_typeEbEEZZNS1_14partition_implILS5_6ELb0ES3_mN6thrust23THRUST_200600_302600_NS6detail15normal_iteratorINSA_10device_ptrItEEEEPS6_SG_NS0_5tupleIJNSA_16discard_iteratorINSA_11use_defaultEEES6_EEENSH_IJSG_SG_EEES6_PlJNSB_9not_fun_tINSB_14equal_to_valueItEEEEEEE10hipError_tPvRmT3_T4_T5_T6_T7_T9_mT8_P12ihipStream_tbDpT10_ENKUlT_T0_E_clISt17integral_constantIbLb0EES1A_IbLb1EEEEDaS16_S17_EUlS16_E_NS1_11comp_targetILNS1_3genE10ELNS1_11target_archE1200ELNS1_3gpuE4ELNS1_3repE0EEENS1_30default_config_static_selectorELNS0_4arch9wavefront6targetE0EEEvT1_.numbered_sgpr, 28
	.set _ZN7rocprim17ROCPRIM_400000_NS6detail17trampoline_kernelINS0_14default_configENS1_25partition_config_selectorILNS1_17partition_subalgoE6EtNS0_10empty_typeEbEEZZNS1_14partition_implILS5_6ELb0ES3_mN6thrust23THRUST_200600_302600_NS6detail15normal_iteratorINSA_10device_ptrItEEEEPS6_SG_NS0_5tupleIJNSA_16discard_iteratorINSA_11use_defaultEEES6_EEENSH_IJSG_SG_EEES6_PlJNSB_9not_fun_tINSB_14equal_to_valueItEEEEEEE10hipError_tPvRmT3_T4_T5_T6_T7_T9_mT8_P12ihipStream_tbDpT10_ENKUlT_T0_E_clISt17integral_constantIbLb0EES1A_IbLb1EEEEDaS16_S17_EUlS16_E_NS1_11comp_targetILNS1_3genE10ELNS1_11target_archE1200ELNS1_3gpuE4ELNS1_3repE0EEENS1_30default_config_static_selectorELNS0_4arch9wavefront6targetE0EEEvT1_.num_named_barrier, 0
	.set _ZN7rocprim17ROCPRIM_400000_NS6detail17trampoline_kernelINS0_14default_configENS1_25partition_config_selectorILNS1_17partition_subalgoE6EtNS0_10empty_typeEbEEZZNS1_14partition_implILS5_6ELb0ES3_mN6thrust23THRUST_200600_302600_NS6detail15normal_iteratorINSA_10device_ptrItEEEEPS6_SG_NS0_5tupleIJNSA_16discard_iteratorINSA_11use_defaultEEES6_EEENSH_IJSG_SG_EEES6_PlJNSB_9not_fun_tINSB_14equal_to_valueItEEEEEEE10hipError_tPvRmT3_T4_T5_T6_T7_T9_mT8_P12ihipStream_tbDpT10_ENKUlT_T0_E_clISt17integral_constantIbLb0EES1A_IbLb1EEEEDaS16_S17_EUlS16_E_NS1_11comp_targetILNS1_3genE10ELNS1_11target_archE1200ELNS1_3gpuE4ELNS1_3repE0EEENS1_30default_config_static_selectorELNS0_4arch9wavefront6targetE0EEEvT1_.private_seg_size, 0
	.set _ZN7rocprim17ROCPRIM_400000_NS6detail17trampoline_kernelINS0_14default_configENS1_25partition_config_selectorILNS1_17partition_subalgoE6EtNS0_10empty_typeEbEEZZNS1_14partition_implILS5_6ELb0ES3_mN6thrust23THRUST_200600_302600_NS6detail15normal_iteratorINSA_10device_ptrItEEEEPS6_SG_NS0_5tupleIJNSA_16discard_iteratorINSA_11use_defaultEEES6_EEENSH_IJSG_SG_EEES6_PlJNSB_9not_fun_tINSB_14equal_to_valueItEEEEEEE10hipError_tPvRmT3_T4_T5_T6_T7_T9_mT8_P12ihipStream_tbDpT10_ENKUlT_T0_E_clISt17integral_constantIbLb0EES1A_IbLb1EEEEDaS16_S17_EUlS16_E_NS1_11comp_targetILNS1_3genE10ELNS1_11target_archE1200ELNS1_3gpuE4ELNS1_3repE0EEENS1_30default_config_static_selectorELNS0_4arch9wavefront6targetE0EEEvT1_.uses_vcc, 1
	.set _ZN7rocprim17ROCPRIM_400000_NS6detail17trampoline_kernelINS0_14default_configENS1_25partition_config_selectorILNS1_17partition_subalgoE6EtNS0_10empty_typeEbEEZZNS1_14partition_implILS5_6ELb0ES3_mN6thrust23THRUST_200600_302600_NS6detail15normal_iteratorINSA_10device_ptrItEEEEPS6_SG_NS0_5tupleIJNSA_16discard_iteratorINSA_11use_defaultEEES6_EEENSH_IJSG_SG_EEES6_PlJNSB_9not_fun_tINSB_14equal_to_valueItEEEEEEE10hipError_tPvRmT3_T4_T5_T6_T7_T9_mT8_P12ihipStream_tbDpT10_ENKUlT_T0_E_clISt17integral_constantIbLb0EES1A_IbLb1EEEEDaS16_S17_EUlS16_E_NS1_11comp_targetILNS1_3genE10ELNS1_11target_archE1200ELNS1_3gpuE4ELNS1_3repE0EEENS1_30default_config_static_selectorELNS0_4arch9wavefront6targetE0EEEvT1_.uses_flat_scratch, 1
	.set _ZN7rocprim17ROCPRIM_400000_NS6detail17trampoline_kernelINS0_14default_configENS1_25partition_config_selectorILNS1_17partition_subalgoE6EtNS0_10empty_typeEbEEZZNS1_14partition_implILS5_6ELb0ES3_mN6thrust23THRUST_200600_302600_NS6detail15normal_iteratorINSA_10device_ptrItEEEEPS6_SG_NS0_5tupleIJNSA_16discard_iteratorINSA_11use_defaultEEES6_EEENSH_IJSG_SG_EEES6_PlJNSB_9not_fun_tINSB_14equal_to_valueItEEEEEEE10hipError_tPvRmT3_T4_T5_T6_T7_T9_mT8_P12ihipStream_tbDpT10_ENKUlT_T0_E_clISt17integral_constantIbLb0EES1A_IbLb1EEEEDaS16_S17_EUlS16_E_NS1_11comp_targetILNS1_3genE10ELNS1_11target_archE1200ELNS1_3gpuE4ELNS1_3repE0EEENS1_30default_config_static_selectorELNS0_4arch9wavefront6targetE0EEEvT1_.has_dyn_sized_stack, 0
	.set _ZN7rocprim17ROCPRIM_400000_NS6detail17trampoline_kernelINS0_14default_configENS1_25partition_config_selectorILNS1_17partition_subalgoE6EtNS0_10empty_typeEbEEZZNS1_14partition_implILS5_6ELb0ES3_mN6thrust23THRUST_200600_302600_NS6detail15normal_iteratorINSA_10device_ptrItEEEEPS6_SG_NS0_5tupleIJNSA_16discard_iteratorINSA_11use_defaultEEES6_EEENSH_IJSG_SG_EEES6_PlJNSB_9not_fun_tINSB_14equal_to_valueItEEEEEEE10hipError_tPvRmT3_T4_T5_T6_T7_T9_mT8_P12ihipStream_tbDpT10_ENKUlT_T0_E_clISt17integral_constantIbLb0EES1A_IbLb1EEEEDaS16_S17_EUlS16_E_NS1_11comp_targetILNS1_3genE10ELNS1_11target_archE1200ELNS1_3gpuE4ELNS1_3repE0EEENS1_30default_config_static_selectorELNS0_4arch9wavefront6targetE0EEEvT1_.has_recursion, 0
	.set _ZN7rocprim17ROCPRIM_400000_NS6detail17trampoline_kernelINS0_14default_configENS1_25partition_config_selectorILNS1_17partition_subalgoE6EtNS0_10empty_typeEbEEZZNS1_14partition_implILS5_6ELb0ES3_mN6thrust23THRUST_200600_302600_NS6detail15normal_iteratorINSA_10device_ptrItEEEEPS6_SG_NS0_5tupleIJNSA_16discard_iteratorINSA_11use_defaultEEES6_EEENSH_IJSG_SG_EEES6_PlJNSB_9not_fun_tINSB_14equal_to_valueItEEEEEEE10hipError_tPvRmT3_T4_T5_T6_T7_T9_mT8_P12ihipStream_tbDpT10_ENKUlT_T0_E_clISt17integral_constantIbLb0EES1A_IbLb1EEEEDaS16_S17_EUlS16_E_NS1_11comp_targetILNS1_3genE10ELNS1_11target_archE1200ELNS1_3gpuE4ELNS1_3repE0EEENS1_30default_config_static_selectorELNS0_4arch9wavefront6targetE0EEEvT1_.has_indirect_call, 0
	.section	.AMDGPU.csdata,"",@progbits
; Kernel info:
; codeLenInByte = 9552
; TotalNumSgprs: 30
; NumVgprs: 65
; ScratchSize: 0
; MemoryBound: 0
; FloatMode: 240
; IeeeMode: 1
; LDSByteSize: 13840 bytes/workgroup (compile time only)
; SGPRBlocks: 0
; VGPRBlocks: 8
; NumSGPRsForWavesPerEU: 30
; NumVGPRsForWavesPerEU: 65
; Occupancy: 15
; WaveLimiterHint : 1
; COMPUTE_PGM_RSRC2:SCRATCH_EN: 0
; COMPUTE_PGM_RSRC2:USER_SGPR: 2
; COMPUTE_PGM_RSRC2:TRAP_HANDLER: 0
; COMPUTE_PGM_RSRC2:TGID_X_EN: 1
; COMPUTE_PGM_RSRC2:TGID_Y_EN: 0
; COMPUTE_PGM_RSRC2:TGID_Z_EN: 0
; COMPUTE_PGM_RSRC2:TIDIG_COMP_CNT: 0
	.section	.text._ZN7rocprim17ROCPRIM_400000_NS6detail17trampoline_kernelINS0_14default_configENS1_25partition_config_selectorILNS1_17partition_subalgoE6EtNS0_10empty_typeEbEEZZNS1_14partition_implILS5_6ELb0ES3_mN6thrust23THRUST_200600_302600_NS6detail15normal_iteratorINSA_10device_ptrItEEEEPS6_SG_NS0_5tupleIJNSA_16discard_iteratorINSA_11use_defaultEEES6_EEENSH_IJSG_SG_EEES6_PlJNSB_9not_fun_tINSB_14equal_to_valueItEEEEEEE10hipError_tPvRmT3_T4_T5_T6_T7_T9_mT8_P12ihipStream_tbDpT10_ENKUlT_T0_E_clISt17integral_constantIbLb0EES1A_IbLb1EEEEDaS16_S17_EUlS16_E_NS1_11comp_targetILNS1_3genE9ELNS1_11target_archE1100ELNS1_3gpuE3ELNS1_3repE0EEENS1_30default_config_static_selectorELNS0_4arch9wavefront6targetE0EEEvT1_,"axG",@progbits,_ZN7rocprim17ROCPRIM_400000_NS6detail17trampoline_kernelINS0_14default_configENS1_25partition_config_selectorILNS1_17partition_subalgoE6EtNS0_10empty_typeEbEEZZNS1_14partition_implILS5_6ELb0ES3_mN6thrust23THRUST_200600_302600_NS6detail15normal_iteratorINSA_10device_ptrItEEEEPS6_SG_NS0_5tupleIJNSA_16discard_iteratorINSA_11use_defaultEEES6_EEENSH_IJSG_SG_EEES6_PlJNSB_9not_fun_tINSB_14equal_to_valueItEEEEEEE10hipError_tPvRmT3_T4_T5_T6_T7_T9_mT8_P12ihipStream_tbDpT10_ENKUlT_T0_E_clISt17integral_constantIbLb0EES1A_IbLb1EEEEDaS16_S17_EUlS16_E_NS1_11comp_targetILNS1_3genE9ELNS1_11target_archE1100ELNS1_3gpuE3ELNS1_3repE0EEENS1_30default_config_static_selectorELNS0_4arch9wavefront6targetE0EEEvT1_,comdat
	.protected	_ZN7rocprim17ROCPRIM_400000_NS6detail17trampoline_kernelINS0_14default_configENS1_25partition_config_selectorILNS1_17partition_subalgoE6EtNS0_10empty_typeEbEEZZNS1_14partition_implILS5_6ELb0ES3_mN6thrust23THRUST_200600_302600_NS6detail15normal_iteratorINSA_10device_ptrItEEEEPS6_SG_NS0_5tupleIJNSA_16discard_iteratorINSA_11use_defaultEEES6_EEENSH_IJSG_SG_EEES6_PlJNSB_9not_fun_tINSB_14equal_to_valueItEEEEEEE10hipError_tPvRmT3_T4_T5_T6_T7_T9_mT8_P12ihipStream_tbDpT10_ENKUlT_T0_E_clISt17integral_constantIbLb0EES1A_IbLb1EEEEDaS16_S17_EUlS16_E_NS1_11comp_targetILNS1_3genE9ELNS1_11target_archE1100ELNS1_3gpuE3ELNS1_3repE0EEENS1_30default_config_static_selectorELNS0_4arch9wavefront6targetE0EEEvT1_ ; -- Begin function _ZN7rocprim17ROCPRIM_400000_NS6detail17trampoline_kernelINS0_14default_configENS1_25partition_config_selectorILNS1_17partition_subalgoE6EtNS0_10empty_typeEbEEZZNS1_14partition_implILS5_6ELb0ES3_mN6thrust23THRUST_200600_302600_NS6detail15normal_iteratorINSA_10device_ptrItEEEEPS6_SG_NS0_5tupleIJNSA_16discard_iteratorINSA_11use_defaultEEES6_EEENSH_IJSG_SG_EEES6_PlJNSB_9not_fun_tINSB_14equal_to_valueItEEEEEEE10hipError_tPvRmT3_T4_T5_T6_T7_T9_mT8_P12ihipStream_tbDpT10_ENKUlT_T0_E_clISt17integral_constantIbLb0EES1A_IbLb1EEEEDaS16_S17_EUlS16_E_NS1_11comp_targetILNS1_3genE9ELNS1_11target_archE1100ELNS1_3gpuE3ELNS1_3repE0EEENS1_30default_config_static_selectorELNS0_4arch9wavefront6targetE0EEEvT1_
	.globl	_ZN7rocprim17ROCPRIM_400000_NS6detail17trampoline_kernelINS0_14default_configENS1_25partition_config_selectorILNS1_17partition_subalgoE6EtNS0_10empty_typeEbEEZZNS1_14partition_implILS5_6ELb0ES3_mN6thrust23THRUST_200600_302600_NS6detail15normal_iteratorINSA_10device_ptrItEEEEPS6_SG_NS0_5tupleIJNSA_16discard_iteratorINSA_11use_defaultEEES6_EEENSH_IJSG_SG_EEES6_PlJNSB_9not_fun_tINSB_14equal_to_valueItEEEEEEE10hipError_tPvRmT3_T4_T5_T6_T7_T9_mT8_P12ihipStream_tbDpT10_ENKUlT_T0_E_clISt17integral_constantIbLb0EES1A_IbLb1EEEEDaS16_S17_EUlS16_E_NS1_11comp_targetILNS1_3genE9ELNS1_11target_archE1100ELNS1_3gpuE3ELNS1_3repE0EEENS1_30default_config_static_selectorELNS0_4arch9wavefront6targetE0EEEvT1_
	.p2align	8
	.type	_ZN7rocprim17ROCPRIM_400000_NS6detail17trampoline_kernelINS0_14default_configENS1_25partition_config_selectorILNS1_17partition_subalgoE6EtNS0_10empty_typeEbEEZZNS1_14partition_implILS5_6ELb0ES3_mN6thrust23THRUST_200600_302600_NS6detail15normal_iteratorINSA_10device_ptrItEEEEPS6_SG_NS0_5tupleIJNSA_16discard_iteratorINSA_11use_defaultEEES6_EEENSH_IJSG_SG_EEES6_PlJNSB_9not_fun_tINSB_14equal_to_valueItEEEEEEE10hipError_tPvRmT3_T4_T5_T6_T7_T9_mT8_P12ihipStream_tbDpT10_ENKUlT_T0_E_clISt17integral_constantIbLb0EES1A_IbLb1EEEEDaS16_S17_EUlS16_E_NS1_11comp_targetILNS1_3genE9ELNS1_11target_archE1100ELNS1_3gpuE3ELNS1_3repE0EEENS1_30default_config_static_selectorELNS0_4arch9wavefront6targetE0EEEvT1_,@function
_ZN7rocprim17ROCPRIM_400000_NS6detail17trampoline_kernelINS0_14default_configENS1_25partition_config_selectorILNS1_17partition_subalgoE6EtNS0_10empty_typeEbEEZZNS1_14partition_implILS5_6ELb0ES3_mN6thrust23THRUST_200600_302600_NS6detail15normal_iteratorINSA_10device_ptrItEEEEPS6_SG_NS0_5tupleIJNSA_16discard_iteratorINSA_11use_defaultEEES6_EEENSH_IJSG_SG_EEES6_PlJNSB_9not_fun_tINSB_14equal_to_valueItEEEEEEE10hipError_tPvRmT3_T4_T5_T6_T7_T9_mT8_P12ihipStream_tbDpT10_ENKUlT_T0_E_clISt17integral_constantIbLb0EES1A_IbLb1EEEEDaS16_S17_EUlS16_E_NS1_11comp_targetILNS1_3genE9ELNS1_11target_archE1100ELNS1_3gpuE3ELNS1_3repE0EEENS1_30default_config_static_selectorELNS0_4arch9wavefront6targetE0EEEvT1_: ; @_ZN7rocprim17ROCPRIM_400000_NS6detail17trampoline_kernelINS0_14default_configENS1_25partition_config_selectorILNS1_17partition_subalgoE6EtNS0_10empty_typeEbEEZZNS1_14partition_implILS5_6ELb0ES3_mN6thrust23THRUST_200600_302600_NS6detail15normal_iteratorINSA_10device_ptrItEEEEPS6_SG_NS0_5tupleIJNSA_16discard_iteratorINSA_11use_defaultEEES6_EEENSH_IJSG_SG_EEES6_PlJNSB_9not_fun_tINSB_14equal_to_valueItEEEEEEE10hipError_tPvRmT3_T4_T5_T6_T7_T9_mT8_P12ihipStream_tbDpT10_ENKUlT_T0_E_clISt17integral_constantIbLb0EES1A_IbLb1EEEEDaS16_S17_EUlS16_E_NS1_11comp_targetILNS1_3genE9ELNS1_11target_archE1100ELNS1_3gpuE3ELNS1_3repE0EEENS1_30default_config_static_selectorELNS0_4arch9wavefront6targetE0EEEvT1_
; %bb.0:
	.section	.rodata,"a",@progbits
	.p2align	6, 0x0
	.amdhsa_kernel _ZN7rocprim17ROCPRIM_400000_NS6detail17trampoline_kernelINS0_14default_configENS1_25partition_config_selectorILNS1_17partition_subalgoE6EtNS0_10empty_typeEbEEZZNS1_14partition_implILS5_6ELb0ES3_mN6thrust23THRUST_200600_302600_NS6detail15normal_iteratorINSA_10device_ptrItEEEEPS6_SG_NS0_5tupleIJNSA_16discard_iteratorINSA_11use_defaultEEES6_EEENSH_IJSG_SG_EEES6_PlJNSB_9not_fun_tINSB_14equal_to_valueItEEEEEEE10hipError_tPvRmT3_T4_T5_T6_T7_T9_mT8_P12ihipStream_tbDpT10_ENKUlT_T0_E_clISt17integral_constantIbLb0EES1A_IbLb1EEEEDaS16_S17_EUlS16_E_NS1_11comp_targetILNS1_3genE9ELNS1_11target_archE1100ELNS1_3gpuE3ELNS1_3repE0EEENS1_30default_config_static_selectorELNS0_4arch9wavefront6targetE0EEEvT1_
		.amdhsa_group_segment_fixed_size 0
		.amdhsa_private_segment_fixed_size 0
		.amdhsa_kernarg_size 136
		.amdhsa_user_sgpr_count 2
		.amdhsa_user_sgpr_dispatch_ptr 0
		.amdhsa_user_sgpr_queue_ptr 0
		.amdhsa_user_sgpr_kernarg_segment_ptr 1
		.amdhsa_user_sgpr_dispatch_id 0
		.amdhsa_user_sgpr_private_segment_size 0
		.amdhsa_wavefront_size32 1
		.amdhsa_uses_dynamic_stack 0
		.amdhsa_enable_private_segment 0
		.amdhsa_system_sgpr_workgroup_id_x 1
		.amdhsa_system_sgpr_workgroup_id_y 0
		.amdhsa_system_sgpr_workgroup_id_z 0
		.amdhsa_system_sgpr_workgroup_info 0
		.amdhsa_system_vgpr_workitem_id 0
		.amdhsa_next_free_vgpr 1
		.amdhsa_next_free_sgpr 1
		.amdhsa_reserve_vcc 0
		.amdhsa_float_round_mode_32 0
		.amdhsa_float_round_mode_16_64 0
		.amdhsa_float_denorm_mode_32 3
		.amdhsa_float_denorm_mode_16_64 3
		.amdhsa_fp16_overflow 0
		.amdhsa_workgroup_processor_mode 1
		.amdhsa_memory_ordered 1
		.amdhsa_forward_progress 1
		.amdhsa_inst_pref_size 0
		.amdhsa_round_robin_scheduling 0
		.amdhsa_exception_fp_ieee_invalid_op 0
		.amdhsa_exception_fp_denorm_src 0
		.amdhsa_exception_fp_ieee_div_zero 0
		.amdhsa_exception_fp_ieee_overflow 0
		.amdhsa_exception_fp_ieee_underflow 0
		.amdhsa_exception_fp_ieee_inexact 0
		.amdhsa_exception_int_div_zero 0
	.end_amdhsa_kernel
	.section	.text._ZN7rocprim17ROCPRIM_400000_NS6detail17trampoline_kernelINS0_14default_configENS1_25partition_config_selectorILNS1_17partition_subalgoE6EtNS0_10empty_typeEbEEZZNS1_14partition_implILS5_6ELb0ES3_mN6thrust23THRUST_200600_302600_NS6detail15normal_iteratorINSA_10device_ptrItEEEEPS6_SG_NS0_5tupleIJNSA_16discard_iteratorINSA_11use_defaultEEES6_EEENSH_IJSG_SG_EEES6_PlJNSB_9not_fun_tINSB_14equal_to_valueItEEEEEEE10hipError_tPvRmT3_T4_T5_T6_T7_T9_mT8_P12ihipStream_tbDpT10_ENKUlT_T0_E_clISt17integral_constantIbLb0EES1A_IbLb1EEEEDaS16_S17_EUlS16_E_NS1_11comp_targetILNS1_3genE9ELNS1_11target_archE1100ELNS1_3gpuE3ELNS1_3repE0EEENS1_30default_config_static_selectorELNS0_4arch9wavefront6targetE0EEEvT1_,"axG",@progbits,_ZN7rocprim17ROCPRIM_400000_NS6detail17trampoline_kernelINS0_14default_configENS1_25partition_config_selectorILNS1_17partition_subalgoE6EtNS0_10empty_typeEbEEZZNS1_14partition_implILS5_6ELb0ES3_mN6thrust23THRUST_200600_302600_NS6detail15normal_iteratorINSA_10device_ptrItEEEEPS6_SG_NS0_5tupleIJNSA_16discard_iteratorINSA_11use_defaultEEES6_EEENSH_IJSG_SG_EEES6_PlJNSB_9not_fun_tINSB_14equal_to_valueItEEEEEEE10hipError_tPvRmT3_T4_T5_T6_T7_T9_mT8_P12ihipStream_tbDpT10_ENKUlT_T0_E_clISt17integral_constantIbLb0EES1A_IbLb1EEEEDaS16_S17_EUlS16_E_NS1_11comp_targetILNS1_3genE9ELNS1_11target_archE1100ELNS1_3gpuE3ELNS1_3repE0EEENS1_30default_config_static_selectorELNS0_4arch9wavefront6targetE0EEEvT1_,comdat
.Lfunc_end1723:
	.size	_ZN7rocprim17ROCPRIM_400000_NS6detail17trampoline_kernelINS0_14default_configENS1_25partition_config_selectorILNS1_17partition_subalgoE6EtNS0_10empty_typeEbEEZZNS1_14partition_implILS5_6ELb0ES3_mN6thrust23THRUST_200600_302600_NS6detail15normal_iteratorINSA_10device_ptrItEEEEPS6_SG_NS0_5tupleIJNSA_16discard_iteratorINSA_11use_defaultEEES6_EEENSH_IJSG_SG_EEES6_PlJNSB_9not_fun_tINSB_14equal_to_valueItEEEEEEE10hipError_tPvRmT3_T4_T5_T6_T7_T9_mT8_P12ihipStream_tbDpT10_ENKUlT_T0_E_clISt17integral_constantIbLb0EES1A_IbLb1EEEEDaS16_S17_EUlS16_E_NS1_11comp_targetILNS1_3genE9ELNS1_11target_archE1100ELNS1_3gpuE3ELNS1_3repE0EEENS1_30default_config_static_selectorELNS0_4arch9wavefront6targetE0EEEvT1_, .Lfunc_end1723-_ZN7rocprim17ROCPRIM_400000_NS6detail17trampoline_kernelINS0_14default_configENS1_25partition_config_selectorILNS1_17partition_subalgoE6EtNS0_10empty_typeEbEEZZNS1_14partition_implILS5_6ELb0ES3_mN6thrust23THRUST_200600_302600_NS6detail15normal_iteratorINSA_10device_ptrItEEEEPS6_SG_NS0_5tupleIJNSA_16discard_iteratorINSA_11use_defaultEEES6_EEENSH_IJSG_SG_EEES6_PlJNSB_9not_fun_tINSB_14equal_to_valueItEEEEEEE10hipError_tPvRmT3_T4_T5_T6_T7_T9_mT8_P12ihipStream_tbDpT10_ENKUlT_T0_E_clISt17integral_constantIbLb0EES1A_IbLb1EEEEDaS16_S17_EUlS16_E_NS1_11comp_targetILNS1_3genE9ELNS1_11target_archE1100ELNS1_3gpuE3ELNS1_3repE0EEENS1_30default_config_static_selectorELNS0_4arch9wavefront6targetE0EEEvT1_
                                        ; -- End function
	.set _ZN7rocprim17ROCPRIM_400000_NS6detail17trampoline_kernelINS0_14default_configENS1_25partition_config_selectorILNS1_17partition_subalgoE6EtNS0_10empty_typeEbEEZZNS1_14partition_implILS5_6ELb0ES3_mN6thrust23THRUST_200600_302600_NS6detail15normal_iteratorINSA_10device_ptrItEEEEPS6_SG_NS0_5tupleIJNSA_16discard_iteratorINSA_11use_defaultEEES6_EEENSH_IJSG_SG_EEES6_PlJNSB_9not_fun_tINSB_14equal_to_valueItEEEEEEE10hipError_tPvRmT3_T4_T5_T6_T7_T9_mT8_P12ihipStream_tbDpT10_ENKUlT_T0_E_clISt17integral_constantIbLb0EES1A_IbLb1EEEEDaS16_S17_EUlS16_E_NS1_11comp_targetILNS1_3genE9ELNS1_11target_archE1100ELNS1_3gpuE3ELNS1_3repE0EEENS1_30default_config_static_selectorELNS0_4arch9wavefront6targetE0EEEvT1_.num_vgpr, 0
	.set _ZN7rocprim17ROCPRIM_400000_NS6detail17trampoline_kernelINS0_14default_configENS1_25partition_config_selectorILNS1_17partition_subalgoE6EtNS0_10empty_typeEbEEZZNS1_14partition_implILS5_6ELb0ES3_mN6thrust23THRUST_200600_302600_NS6detail15normal_iteratorINSA_10device_ptrItEEEEPS6_SG_NS0_5tupleIJNSA_16discard_iteratorINSA_11use_defaultEEES6_EEENSH_IJSG_SG_EEES6_PlJNSB_9not_fun_tINSB_14equal_to_valueItEEEEEEE10hipError_tPvRmT3_T4_T5_T6_T7_T9_mT8_P12ihipStream_tbDpT10_ENKUlT_T0_E_clISt17integral_constantIbLb0EES1A_IbLb1EEEEDaS16_S17_EUlS16_E_NS1_11comp_targetILNS1_3genE9ELNS1_11target_archE1100ELNS1_3gpuE3ELNS1_3repE0EEENS1_30default_config_static_selectorELNS0_4arch9wavefront6targetE0EEEvT1_.num_agpr, 0
	.set _ZN7rocprim17ROCPRIM_400000_NS6detail17trampoline_kernelINS0_14default_configENS1_25partition_config_selectorILNS1_17partition_subalgoE6EtNS0_10empty_typeEbEEZZNS1_14partition_implILS5_6ELb0ES3_mN6thrust23THRUST_200600_302600_NS6detail15normal_iteratorINSA_10device_ptrItEEEEPS6_SG_NS0_5tupleIJNSA_16discard_iteratorINSA_11use_defaultEEES6_EEENSH_IJSG_SG_EEES6_PlJNSB_9not_fun_tINSB_14equal_to_valueItEEEEEEE10hipError_tPvRmT3_T4_T5_T6_T7_T9_mT8_P12ihipStream_tbDpT10_ENKUlT_T0_E_clISt17integral_constantIbLb0EES1A_IbLb1EEEEDaS16_S17_EUlS16_E_NS1_11comp_targetILNS1_3genE9ELNS1_11target_archE1100ELNS1_3gpuE3ELNS1_3repE0EEENS1_30default_config_static_selectorELNS0_4arch9wavefront6targetE0EEEvT1_.numbered_sgpr, 0
	.set _ZN7rocprim17ROCPRIM_400000_NS6detail17trampoline_kernelINS0_14default_configENS1_25partition_config_selectorILNS1_17partition_subalgoE6EtNS0_10empty_typeEbEEZZNS1_14partition_implILS5_6ELb0ES3_mN6thrust23THRUST_200600_302600_NS6detail15normal_iteratorINSA_10device_ptrItEEEEPS6_SG_NS0_5tupleIJNSA_16discard_iteratorINSA_11use_defaultEEES6_EEENSH_IJSG_SG_EEES6_PlJNSB_9not_fun_tINSB_14equal_to_valueItEEEEEEE10hipError_tPvRmT3_T4_T5_T6_T7_T9_mT8_P12ihipStream_tbDpT10_ENKUlT_T0_E_clISt17integral_constantIbLb0EES1A_IbLb1EEEEDaS16_S17_EUlS16_E_NS1_11comp_targetILNS1_3genE9ELNS1_11target_archE1100ELNS1_3gpuE3ELNS1_3repE0EEENS1_30default_config_static_selectorELNS0_4arch9wavefront6targetE0EEEvT1_.num_named_barrier, 0
	.set _ZN7rocprim17ROCPRIM_400000_NS6detail17trampoline_kernelINS0_14default_configENS1_25partition_config_selectorILNS1_17partition_subalgoE6EtNS0_10empty_typeEbEEZZNS1_14partition_implILS5_6ELb0ES3_mN6thrust23THRUST_200600_302600_NS6detail15normal_iteratorINSA_10device_ptrItEEEEPS6_SG_NS0_5tupleIJNSA_16discard_iteratorINSA_11use_defaultEEES6_EEENSH_IJSG_SG_EEES6_PlJNSB_9not_fun_tINSB_14equal_to_valueItEEEEEEE10hipError_tPvRmT3_T4_T5_T6_T7_T9_mT8_P12ihipStream_tbDpT10_ENKUlT_T0_E_clISt17integral_constantIbLb0EES1A_IbLb1EEEEDaS16_S17_EUlS16_E_NS1_11comp_targetILNS1_3genE9ELNS1_11target_archE1100ELNS1_3gpuE3ELNS1_3repE0EEENS1_30default_config_static_selectorELNS0_4arch9wavefront6targetE0EEEvT1_.private_seg_size, 0
	.set _ZN7rocprim17ROCPRIM_400000_NS6detail17trampoline_kernelINS0_14default_configENS1_25partition_config_selectorILNS1_17partition_subalgoE6EtNS0_10empty_typeEbEEZZNS1_14partition_implILS5_6ELb0ES3_mN6thrust23THRUST_200600_302600_NS6detail15normal_iteratorINSA_10device_ptrItEEEEPS6_SG_NS0_5tupleIJNSA_16discard_iteratorINSA_11use_defaultEEES6_EEENSH_IJSG_SG_EEES6_PlJNSB_9not_fun_tINSB_14equal_to_valueItEEEEEEE10hipError_tPvRmT3_T4_T5_T6_T7_T9_mT8_P12ihipStream_tbDpT10_ENKUlT_T0_E_clISt17integral_constantIbLb0EES1A_IbLb1EEEEDaS16_S17_EUlS16_E_NS1_11comp_targetILNS1_3genE9ELNS1_11target_archE1100ELNS1_3gpuE3ELNS1_3repE0EEENS1_30default_config_static_selectorELNS0_4arch9wavefront6targetE0EEEvT1_.uses_vcc, 0
	.set _ZN7rocprim17ROCPRIM_400000_NS6detail17trampoline_kernelINS0_14default_configENS1_25partition_config_selectorILNS1_17partition_subalgoE6EtNS0_10empty_typeEbEEZZNS1_14partition_implILS5_6ELb0ES3_mN6thrust23THRUST_200600_302600_NS6detail15normal_iteratorINSA_10device_ptrItEEEEPS6_SG_NS0_5tupleIJNSA_16discard_iteratorINSA_11use_defaultEEES6_EEENSH_IJSG_SG_EEES6_PlJNSB_9not_fun_tINSB_14equal_to_valueItEEEEEEE10hipError_tPvRmT3_T4_T5_T6_T7_T9_mT8_P12ihipStream_tbDpT10_ENKUlT_T0_E_clISt17integral_constantIbLb0EES1A_IbLb1EEEEDaS16_S17_EUlS16_E_NS1_11comp_targetILNS1_3genE9ELNS1_11target_archE1100ELNS1_3gpuE3ELNS1_3repE0EEENS1_30default_config_static_selectorELNS0_4arch9wavefront6targetE0EEEvT1_.uses_flat_scratch, 0
	.set _ZN7rocprim17ROCPRIM_400000_NS6detail17trampoline_kernelINS0_14default_configENS1_25partition_config_selectorILNS1_17partition_subalgoE6EtNS0_10empty_typeEbEEZZNS1_14partition_implILS5_6ELb0ES3_mN6thrust23THRUST_200600_302600_NS6detail15normal_iteratorINSA_10device_ptrItEEEEPS6_SG_NS0_5tupleIJNSA_16discard_iteratorINSA_11use_defaultEEES6_EEENSH_IJSG_SG_EEES6_PlJNSB_9not_fun_tINSB_14equal_to_valueItEEEEEEE10hipError_tPvRmT3_T4_T5_T6_T7_T9_mT8_P12ihipStream_tbDpT10_ENKUlT_T0_E_clISt17integral_constantIbLb0EES1A_IbLb1EEEEDaS16_S17_EUlS16_E_NS1_11comp_targetILNS1_3genE9ELNS1_11target_archE1100ELNS1_3gpuE3ELNS1_3repE0EEENS1_30default_config_static_selectorELNS0_4arch9wavefront6targetE0EEEvT1_.has_dyn_sized_stack, 0
	.set _ZN7rocprim17ROCPRIM_400000_NS6detail17trampoline_kernelINS0_14default_configENS1_25partition_config_selectorILNS1_17partition_subalgoE6EtNS0_10empty_typeEbEEZZNS1_14partition_implILS5_6ELb0ES3_mN6thrust23THRUST_200600_302600_NS6detail15normal_iteratorINSA_10device_ptrItEEEEPS6_SG_NS0_5tupleIJNSA_16discard_iteratorINSA_11use_defaultEEES6_EEENSH_IJSG_SG_EEES6_PlJNSB_9not_fun_tINSB_14equal_to_valueItEEEEEEE10hipError_tPvRmT3_T4_T5_T6_T7_T9_mT8_P12ihipStream_tbDpT10_ENKUlT_T0_E_clISt17integral_constantIbLb0EES1A_IbLb1EEEEDaS16_S17_EUlS16_E_NS1_11comp_targetILNS1_3genE9ELNS1_11target_archE1100ELNS1_3gpuE3ELNS1_3repE0EEENS1_30default_config_static_selectorELNS0_4arch9wavefront6targetE0EEEvT1_.has_recursion, 0
	.set _ZN7rocprim17ROCPRIM_400000_NS6detail17trampoline_kernelINS0_14default_configENS1_25partition_config_selectorILNS1_17partition_subalgoE6EtNS0_10empty_typeEbEEZZNS1_14partition_implILS5_6ELb0ES3_mN6thrust23THRUST_200600_302600_NS6detail15normal_iteratorINSA_10device_ptrItEEEEPS6_SG_NS0_5tupleIJNSA_16discard_iteratorINSA_11use_defaultEEES6_EEENSH_IJSG_SG_EEES6_PlJNSB_9not_fun_tINSB_14equal_to_valueItEEEEEEE10hipError_tPvRmT3_T4_T5_T6_T7_T9_mT8_P12ihipStream_tbDpT10_ENKUlT_T0_E_clISt17integral_constantIbLb0EES1A_IbLb1EEEEDaS16_S17_EUlS16_E_NS1_11comp_targetILNS1_3genE9ELNS1_11target_archE1100ELNS1_3gpuE3ELNS1_3repE0EEENS1_30default_config_static_selectorELNS0_4arch9wavefront6targetE0EEEvT1_.has_indirect_call, 0
	.section	.AMDGPU.csdata,"",@progbits
; Kernel info:
; codeLenInByte = 0
; TotalNumSgprs: 0
; NumVgprs: 0
; ScratchSize: 0
; MemoryBound: 0
; FloatMode: 240
; IeeeMode: 1
; LDSByteSize: 0 bytes/workgroup (compile time only)
; SGPRBlocks: 0
; VGPRBlocks: 0
; NumSGPRsForWavesPerEU: 1
; NumVGPRsForWavesPerEU: 1
; Occupancy: 16
; WaveLimiterHint : 0
; COMPUTE_PGM_RSRC2:SCRATCH_EN: 0
; COMPUTE_PGM_RSRC2:USER_SGPR: 2
; COMPUTE_PGM_RSRC2:TRAP_HANDLER: 0
; COMPUTE_PGM_RSRC2:TGID_X_EN: 1
; COMPUTE_PGM_RSRC2:TGID_Y_EN: 0
; COMPUTE_PGM_RSRC2:TGID_Z_EN: 0
; COMPUTE_PGM_RSRC2:TIDIG_COMP_CNT: 0
	.section	.text._ZN7rocprim17ROCPRIM_400000_NS6detail17trampoline_kernelINS0_14default_configENS1_25partition_config_selectorILNS1_17partition_subalgoE6EtNS0_10empty_typeEbEEZZNS1_14partition_implILS5_6ELb0ES3_mN6thrust23THRUST_200600_302600_NS6detail15normal_iteratorINSA_10device_ptrItEEEEPS6_SG_NS0_5tupleIJNSA_16discard_iteratorINSA_11use_defaultEEES6_EEENSH_IJSG_SG_EEES6_PlJNSB_9not_fun_tINSB_14equal_to_valueItEEEEEEE10hipError_tPvRmT3_T4_T5_T6_T7_T9_mT8_P12ihipStream_tbDpT10_ENKUlT_T0_E_clISt17integral_constantIbLb0EES1A_IbLb1EEEEDaS16_S17_EUlS16_E_NS1_11comp_targetILNS1_3genE8ELNS1_11target_archE1030ELNS1_3gpuE2ELNS1_3repE0EEENS1_30default_config_static_selectorELNS0_4arch9wavefront6targetE0EEEvT1_,"axG",@progbits,_ZN7rocprim17ROCPRIM_400000_NS6detail17trampoline_kernelINS0_14default_configENS1_25partition_config_selectorILNS1_17partition_subalgoE6EtNS0_10empty_typeEbEEZZNS1_14partition_implILS5_6ELb0ES3_mN6thrust23THRUST_200600_302600_NS6detail15normal_iteratorINSA_10device_ptrItEEEEPS6_SG_NS0_5tupleIJNSA_16discard_iteratorINSA_11use_defaultEEES6_EEENSH_IJSG_SG_EEES6_PlJNSB_9not_fun_tINSB_14equal_to_valueItEEEEEEE10hipError_tPvRmT3_T4_T5_T6_T7_T9_mT8_P12ihipStream_tbDpT10_ENKUlT_T0_E_clISt17integral_constantIbLb0EES1A_IbLb1EEEEDaS16_S17_EUlS16_E_NS1_11comp_targetILNS1_3genE8ELNS1_11target_archE1030ELNS1_3gpuE2ELNS1_3repE0EEENS1_30default_config_static_selectorELNS0_4arch9wavefront6targetE0EEEvT1_,comdat
	.protected	_ZN7rocprim17ROCPRIM_400000_NS6detail17trampoline_kernelINS0_14default_configENS1_25partition_config_selectorILNS1_17partition_subalgoE6EtNS0_10empty_typeEbEEZZNS1_14partition_implILS5_6ELb0ES3_mN6thrust23THRUST_200600_302600_NS6detail15normal_iteratorINSA_10device_ptrItEEEEPS6_SG_NS0_5tupleIJNSA_16discard_iteratorINSA_11use_defaultEEES6_EEENSH_IJSG_SG_EEES6_PlJNSB_9not_fun_tINSB_14equal_to_valueItEEEEEEE10hipError_tPvRmT3_T4_T5_T6_T7_T9_mT8_P12ihipStream_tbDpT10_ENKUlT_T0_E_clISt17integral_constantIbLb0EES1A_IbLb1EEEEDaS16_S17_EUlS16_E_NS1_11comp_targetILNS1_3genE8ELNS1_11target_archE1030ELNS1_3gpuE2ELNS1_3repE0EEENS1_30default_config_static_selectorELNS0_4arch9wavefront6targetE0EEEvT1_ ; -- Begin function _ZN7rocprim17ROCPRIM_400000_NS6detail17trampoline_kernelINS0_14default_configENS1_25partition_config_selectorILNS1_17partition_subalgoE6EtNS0_10empty_typeEbEEZZNS1_14partition_implILS5_6ELb0ES3_mN6thrust23THRUST_200600_302600_NS6detail15normal_iteratorINSA_10device_ptrItEEEEPS6_SG_NS0_5tupleIJNSA_16discard_iteratorINSA_11use_defaultEEES6_EEENSH_IJSG_SG_EEES6_PlJNSB_9not_fun_tINSB_14equal_to_valueItEEEEEEE10hipError_tPvRmT3_T4_T5_T6_T7_T9_mT8_P12ihipStream_tbDpT10_ENKUlT_T0_E_clISt17integral_constantIbLb0EES1A_IbLb1EEEEDaS16_S17_EUlS16_E_NS1_11comp_targetILNS1_3genE8ELNS1_11target_archE1030ELNS1_3gpuE2ELNS1_3repE0EEENS1_30default_config_static_selectorELNS0_4arch9wavefront6targetE0EEEvT1_
	.globl	_ZN7rocprim17ROCPRIM_400000_NS6detail17trampoline_kernelINS0_14default_configENS1_25partition_config_selectorILNS1_17partition_subalgoE6EtNS0_10empty_typeEbEEZZNS1_14partition_implILS5_6ELb0ES3_mN6thrust23THRUST_200600_302600_NS6detail15normal_iteratorINSA_10device_ptrItEEEEPS6_SG_NS0_5tupleIJNSA_16discard_iteratorINSA_11use_defaultEEES6_EEENSH_IJSG_SG_EEES6_PlJNSB_9not_fun_tINSB_14equal_to_valueItEEEEEEE10hipError_tPvRmT3_T4_T5_T6_T7_T9_mT8_P12ihipStream_tbDpT10_ENKUlT_T0_E_clISt17integral_constantIbLb0EES1A_IbLb1EEEEDaS16_S17_EUlS16_E_NS1_11comp_targetILNS1_3genE8ELNS1_11target_archE1030ELNS1_3gpuE2ELNS1_3repE0EEENS1_30default_config_static_selectorELNS0_4arch9wavefront6targetE0EEEvT1_
	.p2align	8
	.type	_ZN7rocprim17ROCPRIM_400000_NS6detail17trampoline_kernelINS0_14default_configENS1_25partition_config_selectorILNS1_17partition_subalgoE6EtNS0_10empty_typeEbEEZZNS1_14partition_implILS5_6ELb0ES3_mN6thrust23THRUST_200600_302600_NS6detail15normal_iteratorINSA_10device_ptrItEEEEPS6_SG_NS0_5tupleIJNSA_16discard_iteratorINSA_11use_defaultEEES6_EEENSH_IJSG_SG_EEES6_PlJNSB_9not_fun_tINSB_14equal_to_valueItEEEEEEE10hipError_tPvRmT3_T4_T5_T6_T7_T9_mT8_P12ihipStream_tbDpT10_ENKUlT_T0_E_clISt17integral_constantIbLb0EES1A_IbLb1EEEEDaS16_S17_EUlS16_E_NS1_11comp_targetILNS1_3genE8ELNS1_11target_archE1030ELNS1_3gpuE2ELNS1_3repE0EEENS1_30default_config_static_selectorELNS0_4arch9wavefront6targetE0EEEvT1_,@function
_ZN7rocprim17ROCPRIM_400000_NS6detail17trampoline_kernelINS0_14default_configENS1_25partition_config_selectorILNS1_17partition_subalgoE6EtNS0_10empty_typeEbEEZZNS1_14partition_implILS5_6ELb0ES3_mN6thrust23THRUST_200600_302600_NS6detail15normal_iteratorINSA_10device_ptrItEEEEPS6_SG_NS0_5tupleIJNSA_16discard_iteratorINSA_11use_defaultEEES6_EEENSH_IJSG_SG_EEES6_PlJNSB_9not_fun_tINSB_14equal_to_valueItEEEEEEE10hipError_tPvRmT3_T4_T5_T6_T7_T9_mT8_P12ihipStream_tbDpT10_ENKUlT_T0_E_clISt17integral_constantIbLb0EES1A_IbLb1EEEEDaS16_S17_EUlS16_E_NS1_11comp_targetILNS1_3genE8ELNS1_11target_archE1030ELNS1_3gpuE2ELNS1_3repE0EEENS1_30default_config_static_selectorELNS0_4arch9wavefront6targetE0EEEvT1_: ; @_ZN7rocprim17ROCPRIM_400000_NS6detail17trampoline_kernelINS0_14default_configENS1_25partition_config_selectorILNS1_17partition_subalgoE6EtNS0_10empty_typeEbEEZZNS1_14partition_implILS5_6ELb0ES3_mN6thrust23THRUST_200600_302600_NS6detail15normal_iteratorINSA_10device_ptrItEEEEPS6_SG_NS0_5tupleIJNSA_16discard_iteratorINSA_11use_defaultEEES6_EEENSH_IJSG_SG_EEES6_PlJNSB_9not_fun_tINSB_14equal_to_valueItEEEEEEE10hipError_tPvRmT3_T4_T5_T6_T7_T9_mT8_P12ihipStream_tbDpT10_ENKUlT_T0_E_clISt17integral_constantIbLb0EES1A_IbLb1EEEEDaS16_S17_EUlS16_E_NS1_11comp_targetILNS1_3genE8ELNS1_11target_archE1030ELNS1_3gpuE2ELNS1_3repE0EEENS1_30default_config_static_selectorELNS0_4arch9wavefront6targetE0EEEvT1_
; %bb.0:
	.section	.rodata,"a",@progbits
	.p2align	6, 0x0
	.amdhsa_kernel _ZN7rocprim17ROCPRIM_400000_NS6detail17trampoline_kernelINS0_14default_configENS1_25partition_config_selectorILNS1_17partition_subalgoE6EtNS0_10empty_typeEbEEZZNS1_14partition_implILS5_6ELb0ES3_mN6thrust23THRUST_200600_302600_NS6detail15normal_iteratorINSA_10device_ptrItEEEEPS6_SG_NS0_5tupleIJNSA_16discard_iteratorINSA_11use_defaultEEES6_EEENSH_IJSG_SG_EEES6_PlJNSB_9not_fun_tINSB_14equal_to_valueItEEEEEEE10hipError_tPvRmT3_T4_T5_T6_T7_T9_mT8_P12ihipStream_tbDpT10_ENKUlT_T0_E_clISt17integral_constantIbLb0EES1A_IbLb1EEEEDaS16_S17_EUlS16_E_NS1_11comp_targetILNS1_3genE8ELNS1_11target_archE1030ELNS1_3gpuE2ELNS1_3repE0EEENS1_30default_config_static_selectorELNS0_4arch9wavefront6targetE0EEEvT1_
		.amdhsa_group_segment_fixed_size 0
		.amdhsa_private_segment_fixed_size 0
		.amdhsa_kernarg_size 136
		.amdhsa_user_sgpr_count 2
		.amdhsa_user_sgpr_dispatch_ptr 0
		.amdhsa_user_sgpr_queue_ptr 0
		.amdhsa_user_sgpr_kernarg_segment_ptr 1
		.amdhsa_user_sgpr_dispatch_id 0
		.amdhsa_user_sgpr_private_segment_size 0
		.amdhsa_wavefront_size32 1
		.amdhsa_uses_dynamic_stack 0
		.amdhsa_enable_private_segment 0
		.amdhsa_system_sgpr_workgroup_id_x 1
		.amdhsa_system_sgpr_workgroup_id_y 0
		.amdhsa_system_sgpr_workgroup_id_z 0
		.amdhsa_system_sgpr_workgroup_info 0
		.amdhsa_system_vgpr_workitem_id 0
		.amdhsa_next_free_vgpr 1
		.amdhsa_next_free_sgpr 1
		.amdhsa_reserve_vcc 0
		.amdhsa_float_round_mode_32 0
		.amdhsa_float_round_mode_16_64 0
		.amdhsa_float_denorm_mode_32 3
		.amdhsa_float_denorm_mode_16_64 3
		.amdhsa_fp16_overflow 0
		.amdhsa_workgroup_processor_mode 1
		.amdhsa_memory_ordered 1
		.amdhsa_forward_progress 1
		.amdhsa_inst_pref_size 0
		.amdhsa_round_robin_scheduling 0
		.amdhsa_exception_fp_ieee_invalid_op 0
		.amdhsa_exception_fp_denorm_src 0
		.amdhsa_exception_fp_ieee_div_zero 0
		.amdhsa_exception_fp_ieee_overflow 0
		.amdhsa_exception_fp_ieee_underflow 0
		.amdhsa_exception_fp_ieee_inexact 0
		.amdhsa_exception_int_div_zero 0
	.end_amdhsa_kernel
	.section	.text._ZN7rocprim17ROCPRIM_400000_NS6detail17trampoline_kernelINS0_14default_configENS1_25partition_config_selectorILNS1_17partition_subalgoE6EtNS0_10empty_typeEbEEZZNS1_14partition_implILS5_6ELb0ES3_mN6thrust23THRUST_200600_302600_NS6detail15normal_iteratorINSA_10device_ptrItEEEEPS6_SG_NS0_5tupleIJNSA_16discard_iteratorINSA_11use_defaultEEES6_EEENSH_IJSG_SG_EEES6_PlJNSB_9not_fun_tINSB_14equal_to_valueItEEEEEEE10hipError_tPvRmT3_T4_T5_T6_T7_T9_mT8_P12ihipStream_tbDpT10_ENKUlT_T0_E_clISt17integral_constantIbLb0EES1A_IbLb1EEEEDaS16_S17_EUlS16_E_NS1_11comp_targetILNS1_3genE8ELNS1_11target_archE1030ELNS1_3gpuE2ELNS1_3repE0EEENS1_30default_config_static_selectorELNS0_4arch9wavefront6targetE0EEEvT1_,"axG",@progbits,_ZN7rocprim17ROCPRIM_400000_NS6detail17trampoline_kernelINS0_14default_configENS1_25partition_config_selectorILNS1_17partition_subalgoE6EtNS0_10empty_typeEbEEZZNS1_14partition_implILS5_6ELb0ES3_mN6thrust23THRUST_200600_302600_NS6detail15normal_iteratorINSA_10device_ptrItEEEEPS6_SG_NS0_5tupleIJNSA_16discard_iteratorINSA_11use_defaultEEES6_EEENSH_IJSG_SG_EEES6_PlJNSB_9not_fun_tINSB_14equal_to_valueItEEEEEEE10hipError_tPvRmT3_T4_T5_T6_T7_T9_mT8_P12ihipStream_tbDpT10_ENKUlT_T0_E_clISt17integral_constantIbLb0EES1A_IbLb1EEEEDaS16_S17_EUlS16_E_NS1_11comp_targetILNS1_3genE8ELNS1_11target_archE1030ELNS1_3gpuE2ELNS1_3repE0EEENS1_30default_config_static_selectorELNS0_4arch9wavefront6targetE0EEEvT1_,comdat
.Lfunc_end1724:
	.size	_ZN7rocprim17ROCPRIM_400000_NS6detail17trampoline_kernelINS0_14default_configENS1_25partition_config_selectorILNS1_17partition_subalgoE6EtNS0_10empty_typeEbEEZZNS1_14partition_implILS5_6ELb0ES3_mN6thrust23THRUST_200600_302600_NS6detail15normal_iteratorINSA_10device_ptrItEEEEPS6_SG_NS0_5tupleIJNSA_16discard_iteratorINSA_11use_defaultEEES6_EEENSH_IJSG_SG_EEES6_PlJNSB_9not_fun_tINSB_14equal_to_valueItEEEEEEE10hipError_tPvRmT3_T4_T5_T6_T7_T9_mT8_P12ihipStream_tbDpT10_ENKUlT_T0_E_clISt17integral_constantIbLb0EES1A_IbLb1EEEEDaS16_S17_EUlS16_E_NS1_11comp_targetILNS1_3genE8ELNS1_11target_archE1030ELNS1_3gpuE2ELNS1_3repE0EEENS1_30default_config_static_selectorELNS0_4arch9wavefront6targetE0EEEvT1_, .Lfunc_end1724-_ZN7rocprim17ROCPRIM_400000_NS6detail17trampoline_kernelINS0_14default_configENS1_25partition_config_selectorILNS1_17partition_subalgoE6EtNS0_10empty_typeEbEEZZNS1_14partition_implILS5_6ELb0ES3_mN6thrust23THRUST_200600_302600_NS6detail15normal_iteratorINSA_10device_ptrItEEEEPS6_SG_NS0_5tupleIJNSA_16discard_iteratorINSA_11use_defaultEEES6_EEENSH_IJSG_SG_EEES6_PlJNSB_9not_fun_tINSB_14equal_to_valueItEEEEEEE10hipError_tPvRmT3_T4_T5_T6_T7_T9_mT8_P12ihipStream_tbDpT10_ENKUlT_T0_E_clISt17integral_constantIbLb0EES1A_IbLb1EEEEDaS16_S17_EUlS16_E_NS1_11comp_targetILNS1_3genE8ELNS1_11target_archE1030ELNS1_3gpuE2ELNS1_3repE0EEENS1_30default_config_static_selectorELNS0_4arch9wavefront6targetE0EEEvT1_
                                        ; -- End function
	.set _ZN7rocprim17ROCPRIM_400000_NS6detail17trampoline_kernelINS0_14default_configENS1_25partition_config_selectorILNS1_17partition_subalgoE6EtNS0_10empty_typeEbEEZZNS1_14partition_implILS5_6ELb0ES3_mN6thrust23THRUST_200600_302600_NS6detail15normal_iteratorINSA_10device_ptrItEEEEPS6_SG_NS0_5tupleIJNSA_16discard_iteratorINSA_11use_defaultEEES6_EEENSH_IJSG_SG_EEES6_PlJNSB_9not_fun_tINSB_14equal_to_valueItEEEEEEE10hipError_tPvRmT3_T4_T5_T6_T7_T9_mT8_P12ihipStream_tbDpT10_ENKUlT_T0_E_clISt17integral_constantIbLb0EES1A_IbLb1EEEEDaS16_S17_EUlS16_E_NS1_11comp_targetILNS1_3genE8ELNS1_11target_archE1030ELNS1_3gpuE2ELNS1_3repE0EEENS1_30default_config_static_selectorELNS0_4arch9wavefront6targetE0EEEvT1_.num_vgpr, 0
	.set _ZN7rocprim17ROCPRIM_400000_NS6detail17trampoline_kernelINS0_14default_configENS1_25partition_config_selectorILNS1_17partition_subalgoE6EtNS0_10empty_typeEbEEZZNS1_14partition_implILS5_6ELb0ES3_mN6thrust23THRUST_200600_302600_NS6detail15normal_iteratorINSA_10device_ptrItEEEEPS6_SG_NS0_5tupleIJNSA_16discard_iteratorINSA_11use_defaultEEES6_EEENSH_IJSG_SG_EEES6_PlJNSB_9not_fun_tINSB_14equal_to_valueItEEEEEEE10hipError_tPvRmT3_T4_T5_T6_T7_T9_mT8_P12ihipStream_tbDpT10_ENKUlT_T0_E_clISt17integral_constantIbLb0EES1A_IbLb1EEEEDaS16_S17_EUlS16_E_NS1_11comp_targetILNS1_3genE8ELNS1_11target_archE1030ELNS1_3gpuE2ELNS1_3repE0EEENS1_30default_config_static_selectorELNS0_4arch9wavefront6targetE0EEEvT1_.num_agpr, 0
	.set _ZN7rocprim17ROCPRIM_400000_NS6detail17trampoline_kernelINS0_14default_configENS1_25partition_config_selectorILNS1_17partition_subalgoE6EtNS0_10empty_typeEbEEZZNS1_14partition_implILS5_6ELb0ES3_mN6thrust23THRUST_200600_302600_NS6detail15normal_iteratorINSA_10device_ptrItEEEEPS6_SG_NS0_5tupleIJNSA_16discard_iteratorINSA_11use_defaultEEES6_EEENSH_IJSG_SG_EEES6_PlJNSB_9not_fun_tINSB_14equal_to_valueItEEEEEEE10hipError_tPvRmT3_T4_T5_T6_T7_T9_mT8_P12ihipStream_tbDpT10_ENKUlT_T0_E_clISt17integral_constantIbLb0EES1A_IbLb1EEEEDaS16_S17_EUlS16_E_NS1_11comp_targetILNS1_3genE8ELNS1_11target_archE1030ELNS1_3gpuE2ELNS1_3repE0EEENS1_30default_config_static_selectorELNS0_4arch9wavefront6targetE0EEEvT1_.numbered_sgpr, 0
	.set _ZN7rocprim17ROCPRIM_400000_NS6detail17trampoline_kernelINS0_14default_configENS1_25partition_config_selectorILNS1_17partition_subalgoE6EtNS0_10empty_typeEbEEZZNS1_14partition_implILS5_6ELb0ES3_mN6thrust23THRUST_200600_302600_NS6detail15normal_iteratorINSA_10device_ptrItEEEEPS6_SG_NS0_5tupleIJNSA_16discard_iteratorINSA_11use_defaultEEES6_EEENSH_IJSG_SG_EEES6_PlJNSB_9not_fun_tINSB_14equal_to_valueItEEEEEEE10hipError_tPvRmT3_T4_T5_T6_T7_T9_mT8_P12ihipStream_tbDpT10_ENKUlT_T0_E_clISt17integral_constantIbLb0EES1A_IbLb1EEEEDaS16_S17_EUlS16_E_NS1_11comp_targetILNS1_3genE8ELNS1_11target_archE1030ELNS1_3gpuE2ELNS1_3repE0EEENS1_30default_config_static_selectorELNS0_4arch9wavefront6targetE0EEEvT1_.num_named_barrier, 0
	.set _ZN7rocprim17ROCPRIM_400000_NS6detail17trampoline_kernelINS0_14default_configENS1_25partition_config_selectorILNS1_17partition_subalgoE6EtNS0_10empty_typeEbEEZZNS1_14partition_implILS5_6ELb0ES3_mN6thrust23THRUST_200600_302600_NS6detail15normal_iteratorINSA_10device_ptrItEEEEPS6_SG_NS0_5tupleIJNSA_16discard_iteratorINSA_11use_defaultEEES6_EEENSH_IJSG_SG_EEES6_PlJNSB_9not_fun_tINSB_14equal_to_valueItEEEEEEE10hipError_tPvRmT3_T4_T5_T6_T7_T9_mT8_P12ihipStream_tbDpT10_ENKUlT_T0_E_clISt17integral_constantIbLb0EES1A_IbLb1EEEEDaS16_S17_EUlS16_E_NS1_11comp_targetILNS1_3genE8ELNS1_11target_archE1030ELNS1_3gpuE2ELNS1_3repE0EEENS1_30default_config_static_selectorELNS0_4arch9wavefront6targetE0EEEvT1_.private_seg_size, 0
	.set _ZN7rocprim17ROCPRIM_400000_NS6detail17trampoline_kernelINS0_14default_configENS1_25partition_config_selectorILNS1_17partition_subalgoE6EtNS0_10empty_typeEbEEZZNS1_14partition_implILS5_6ELb0ES3_mN6thrust23THRUST_200600_302600_NS6detail15normal_iteratorINSA_10device_ptrItEEEEPS6_SG_NS0_5tupleIJNSA_16discard_iteratorINSA_11use_defaultEEES6_EEENSH_IJSG_SG_EEES6_PlJNSB_9not_fun_tINSB_14equal_to_valueItEEEEEEE10hipError_tPvRmT3_T4_T5_T6_T7_T9_mT8_P12ihipStream_tbDpT10_ENKUlT_T0_E_clISt17integral_constantIbLb0EES1A_IbLb1EEEEDaS16_S17_EUlS16_E_NS1_11comp_targetILNS1_3genE8ELNS1_11target_archE1030ELNS1_3gpuE2ELNS1_3repE0EEENS1_30default_config_static_selectorELNS0_4arch9wavefront6targetE0EEEvT1_.uses_vcc, 0
	.set _ZN7rocprim17ROCPRIM_400000_NS6detail17trampoline_kernelINS0_14default_configENS1_25partition_config_selectorILNS1_17partition_subalgoE6EtNS0_10empty_typeEbEEZZNS1_14partition_implILS5_6ELb0ES3_mN6thrust23THRUST_200600_302600_NS6detail15normal_iteratorINSA_10device_ptrItEEEEPS6_SG_NS0_5tupleIJNSA_16discard_iteratorINSA_11use_defaultEEES6_EEENSH_IJSG_SG_EEES6_PlJNSB_9not_fun_tINSB_14equal_to_valueItEEEEEEE10hipError_tPvRmT3_T4_T5_T6_T7_T9_mT8_P12ihipStream_tbDpT10_ENKUlT_T0_E_clISt17integral_constantIbLb0EES1A_IbLb1EEEEDaS16_S17_EUlS16_E_NS1_11comp_targetILNS1_3genE8ELNS1_11target_archE1030ELNS1_3gpuE2ELNS1_3repE0EEENS1_30default_config_static_selectorELNS0_4arch9wavefront6targetE0EEEvT1_.uses_flat_scratch, 0
	.set _ZN7rocprim17ROCPRIM_400000_NS6detail17trampoline_kernelINS0_14default_configENS1_25partition_config_selectorILNS1_17partition_subalgoE6EtNS0_10empty_typeEbEEZZNS1_14partition_implILS5_6ELb0ES3_mN6thrust23THRUST_200600_302600_NS6detail15normal_iteratorINSA_10device_ptrItEEEEPS6_SG_NS0_5tupleIJNSA_16discard_iteratorINSA_11use_defaultEEES6_EEENSH_IJSG_SG_EEES6_PlJNSB_9not_fun_tINSB_14equal_to_valueItEEEEEEE10hipError_tPvRmT3_T4_T5_T6_T7_T9_mT8_P12ihipStream_tbDpT10_ENKUlT_T0_E_clISt17integral_constantIbLb0EES1A_IbLb1EEEEDaS16_S17_EUlS16_E_NS1_11comp_targetILNS1_3genE8ELNS1_11target_archE1030ELNS1_3gpuE2ELNS1_3repE0EEENS1_30default_config_static_selectorELNS0_4arch9wavefront6targetE0EEEvT1_.has_dyn_sized_stack, 0
	.set _ZN7rocprim17ROCPRIM_400000_NS6detail17trampoline_kernelINS0_14default_configENS1_25partition_config_selectorILNS1_17partition_subalgoE6EtNS0_10empty_typeEbEEZZNS1_14partition_implILS5_6ELb0ES3_mN6thrust23THRUST_200600_302600_NS6detail15normal_iteratorINSA_10device_ptrItEEEEPS6_SG_NS0_5tupleIJNSA_16discard_iteratorINSA_11use_defaultEEES6_EEENSH_IJSG_SG_EEES6_PlJNSB_9not_fun_tINSB_14equal_to_valueItEEEEEEE10hipError_tPvRmT3_T4_T5_T6_T7_T9_mT8_P12ihipStream_tbDpT10_ENKUlT_T0_E_clISt17integral_constantIbLb0EES1A_IbLb1EEEEDaS16_S17_EUlS16_E_NS1_11comp_targetILNS1_3genE8ELNS1_11target_archE1030ELNS1_3gpuE2ELNS1_3repE0EEENS1_30default_config_static_selectorELNS0_4arch9wavefront6targetE0EEEvT1_.has_recursion, 0
	.set _ZN7rocprim17ROCPRIM_400000_NS6detail17trampoline_kernelINS0_14default_configENS1_25partition_config_selectorILNS1_17partition_subalgoE6EtNS0_10empty_typeEbEEZZNS1_14partition_implILS5_6ELb0ES3_mN6thrust23THRUST_200600_302600_NS6detail15normal_iteratorINSA_10device_ptrItEEEEPS6_SG_NS0_5tupleIJNSA_16discard_iteratorINSA_11use_defaultEEES6_EEENSH_IJSG_SG_EEES6_PlJNSB_9not_fun_tINSB_14equal_to_valueItEEEEEEE10hipError_tPvRmT3_T4_T5_T6_T7_T9_mT8_P12ihipStream_tbDpT10_ENKUlT_T0_E_clISt17integral_constantIbLb0EES1A_IbLb1EEEEDaS16_S17_EUlS16_E_NS1_11comp_targetILNS1_3genE8ELNS1_11target_archE1030ELNS1_3gpuE2ELNS1_3repE0EEENS1_30default_config_static_selectorELNS0_4arch9wavefront6targetE0EEEvT1_.has_indirect_call, 0
	.section	.AMDGPU.csdata,"",@progbits
; Kernel info:
; codeLenInByte = 0
; TotalNumSgprs: 0
; NumVgprs: 0
; ScratchSize: 0
; MemoryBound: 0
; FloatMode: 240
; IeeeMode: 1
; LDSByteSize: 0 bytes/workgroup (compile time only)
; SGPRBlocks: 0
; VGPRBlocks: 0
; NumSGPRsForWavesPerEU: 1
; NumVGPRsForWavesPerEU: 1
; Occupancy: 16
; WaveLimiterHint : 0
; COMPUTE_PGM_RSRC2:SCRATCH_EN: 0
; COMPUTE_PGM_RSRC2:USER_SGPR: 2
; COMPUTE_PGM_RSRC2:TRAP_HANDLER: 0
; COMPUTE_PGM_RSRC2:TGID_X_EN: 1
; COMPUTE_PGM_RSRC2:TGID_Y_EN: 0
; COMPUTE_PGM_RSRC2:TGID_Z_EN: 0
; COMPUTE_PGM_RSRC2:TIDIG_COMP_CNT: 0
	.section	.text._ZN7rocprim17ROCPRIM_400000_NS6detail17trampoline_kernelINS0_14default_configENS1_25partition_config_selectorILNS1_17partition_subalgoE6ExNS0_10empty_typeEbEEZZNS1_14partition_implILS5_6ELb0ES3_mN6thrust23THRUST_200600_302600_NS6detail15normal_iteratorINSA_10device_ptrIxEEEEPS6_SG_NS0_5tupleIJNSA_16discard_iteratorINSA_11use_defaultEEES6_EEENSH_IJSG_SG_EEES6_PlJNSB_9not_fun_tINSB_14equal_to_valueIxEEEEEEE10hipError_tPvRmT3_T4_T5_T6_T7_T9_mT8_P12ihipStream_tbDpT10_ENKUlT_T0_E_clISt17integral_constantIbLb0EES1B_EEDaS16_S17_EUlS16_E_NS1_11comp_targetILNS1_3genE0ELNS1_11target_archE4294967295ELNS1_3gpuE0ELNS1_3repE0EEENS1_30default_config_static_selectorELNS0_4arch9wavefront6targetE0EEEvT1_,"axG",@progbits,_ZN7rocprim17ROCPRIM_400000_NS6detail17trampoline_kernelINS0_14default_configENS1_25partition_config_selectorILNS1_17partition_subalgoE6ExNS0_10empty_typeEbEEZZNS1_14partition_implILS5_6ELb0ES3_mN6thrust23THRUST_200600_302600_NS6detail15normal_iteratorINSA_10device_ptrIxEEEEPS6_SG_NS0_5tupleIJNSA_16discard_iteratorINSA_11use_defaultEEES6_EEENSH_IJSG_SG_EEES6_PlJNSB_9not_fun_tINSB_14equal_to_valueIxEEEEEEE10hipError_tPvRmT3_T4_T5_T6_T7_T9_mT8_P12ihipStream_tbDpT10_ENKUlT_T0_E_clISt17integral_constantIbLb0EES1B_EEDaS16_S17_EUlS16_E_NS1_11comp_targetILNS1_3genE0ELNS1_11target_archE4294967295ELNS1_3gpuE0ELNS1_3repE0EEENS1_30default_config_static_selectorELNS0_4arch9wavefront6targetE0EEEvT1_,comdat
	.protected	_ZN7rocprim17ROCPRIM_400000_NS6detail17trampoline_kernelINS0_14default_configENS1_25partition_config_selectorILNS1_17partition_subalgoE6ExNS0_10empty_typeEbEEZZNS1_14partition_implILS5_6ELb0ES3_mN6thrust23THRUST_200600_302600_NS6detail15normal_iteratorINSA_10device_ptrIxEEEEPS6_SG_NS0_5tupleIJNSA_16discard_iteratorINSA_11use_defaultEEES6_EEENSH_IJSG_SG_EEES6_PlJNSB_9not_fun_tINSB_14equal_to_valueIxEEEEEEE10hipError_tPvRmT3_T4_T5_T6_T7_T9_mT8_P12ihipStream_tbDpT10_ENKUlT_T0_E_clISt17integral_constantIbLb0EES1B_EEDaS16_S17_EUlS16_E_NS1_11comp_targetILNS1_3genE0ELNS1_11target_archE4294967295ELNS1_3gpuE0ELNS1_3repE0EEENS1_30default_config_static_selectorELNS0_4arch9wavefront6targetE0EEEvT1_ ; -- Begin function _ZN7rocprim17ROCPRIM_400000_NS6detail17trampoline_kernelINS0_14default_configENS1_25partition_config_selectorILNS1_17partition_subalgoE6ExNS0_10empty_typeEbEEZZNS1_14partition_implILS5_6ELb0ES3_mN6thrust23THRUST_200600_302600_NS6detail15normal_iteratorINSA_10device_ptrIxEEEEPS6_SG_NS0_5tupleIJNSA_16discard_iteratorINSA_11use_defaultEEES6_EEENSH_IJSG_SG_EEES6_PlJNSB_9not_fun_tINSB_14equal_to_valueIxEEEEEEE10hipError_tPvRmT3_T4_T5_T6_T7_T9_mT8_P12ihipStream_tbDpT10_ENKUlT_T0_E_clISt17integral_constantIbLb0EES1B_EEDaS16_S17_EUlS16_E_NS1_11comp_targetILNS1_3genE0ELNS1_11target_archE4294967295ELNS1_3gpuE0ELNS1_3repE0EEENS1_30default_config_static_selectorELNS0_4arch9wavefront6targetE0EEEvT1_
	.globl	_ZN7rocprim17ROCPRIM_400000_NS6detail17trampoline_kernelINS0_14default_configENS1_25partition_config_selectorILNS1_17partition_subalgoE6ExNS0_10empty_typeEbEEZZNS1_14partition_implILS5_6ELb0ES3_mN6thrust23THRUST_200600_302600_NS6detail15normal_iteratorINSA_10device_ptrIxEEEEPS6_SG_NS0_5tupleIJNSA_16discard_iteratorINSA_11use_defaultEEES6_EEENSH_IJSG_SG_EEES6_PlJNSB_9not_fun_tINSB_14equal_to_valueIxEEEEEEE10hipError_tPvRmT3_T4_T5_T6_T7_T9_mT8_P12ihipStream_tbDpT10_ENKUlT_T0_E_clISt17integral_constantIbLb0EES1B_EEDaS16_S17_EUlS16_E_NS1_11comp_targetILNS1_3genE0ELNS1_11target_archE4294967295ELNS1_3gpuE0ELNS1_3repE0EEENS1_30default_config_static_selectorELNS0_4arch9wavefront6targetE0EEEvT1_
	.p2align	8
	.type	_ZN7rocprim17ROCPRIM_400000_NS6detail17trampoline_kernelINS0_14default_configENS1_25partition_config_selectorILNS1_17partition_subalgoE6ExNS0_10empty_typeEbEEZZNS1_14partition_implILS5_6ELb0ES3_mN6thrust23THRUST_200600_302600_NS6detail15normal_iteratorINSA_10device_ptrIxEEEEPS6_SG_NS0_5tupleIJNSA_16discard_iteratorINSA_11use_defaultEEES6_EEENSH_IJSG_SG_EEES6_PlJNSB_9not_fun_tINSB_14equal_to_valueIxEEEEEEE10hipError_tPvRmT3_T4_T5_T6_T7_T9_mT8_P12ihipStream_tbDpT10_ENKUlT_T0_E_clISt17integral_constantIbLb0EES1B_EEDaS16_S17_EUlS16_E_NS1_11comp_targetILNS1_3genE0ELNS1_11target_archE4294967295ELNS1_3gpuE0ELNS1_3repE0EEENS1_30default_config_static_selectorELNS0_4arch9wavefront6targetE0EEEvT1_,@function
_ZN7rocprim17ROCPRIM_400000_NS6detail17trampoline_kernelINS0_14default_configENS1_25partition_config_selectorILNS1_17partition_subalgoE6ExNS0_10empty_typeEbEEZZNS1_14partition_implILS5_6ELb0ES3_mN6thrust23THRUST_200600_302600_NS6detail15normal_iteratorINSA_10device_ptrIxEEEEPS6_SG_NS0_5tupleIJNSA_16discard_iteratorINSA_11use_defaultEEES6_EEENSH_IJSG_SG_EEES6_PlJNSB_9not_fun_tINSB_14equal_to_valueIxEEEEEEE10hipError_tPvRmT3_T4_T5_T6_T7_T9_mT8_P12ihipStream_tbDpT10_ENKUlT_T0_E_clISt17integral_constantIbLb0EES1B_EEDaS16_S17_EUlS16_E_NS1_11comp_targetILNS1_3genE0ELNS1_11target_archE4294967295ELNS1_3gpuE0ELNS1_3repE0EEENS1_30default_config_static_selectorELNS0_4arch9wavefront6targetE0EEEvT1_: ; @_ZN7rocprim17ROCPRIM_400000_NS6detail17trampoline_kernelINS0_14default_configENS1_25partition_config_selectorILNS1_17partition_subalgoE6ExNS0_10empty_typeEbEEZZNS1_14partition_implILS5_6ELb0ES3_mN6thrust23THRUST_200600_302600_NS6detail15normal_iteratorINSA_10device_ptrIxEEEEPS6_SG_NS0_5tupleIJNSA_16discard_iteratorINSA_11use_defaultEEES6_EEENSH_IJSG_SG_EEES6_PlJNSB_9not_fun_tINSB_14equal_to_valueIxEEEEEEE10hipError_tPvRmT3_T4_T5_T6_T7_T9_mT8_P12ihipStream_tbDpT10_ENKUlT_T0_E_clISt17integral_constantIbLb0EES1B_EEDaS16_S17_EUlS16_E_NS1_11comp_targetILNS1_3genE0ELNS1_11target_archE4294967295ELNS1_3gpuE0ELNS1_3repE0EEENS1_30default_config_static_selectorELNS0_4arch9wavefront6targetE0EEEvT1_
; %bb.0:
	.section	.rodata,"a",@progbits
	.p2align	6, 0x0
	.amdhsa_kernel _ZN7rocprim17ROCPRIM_400000_NS6detail17trampoline_kernelINS0_14default_configENS1_25partition_config_selectorILNS1_17partition_subalgoE6ExNS0_10empty_typeEbEEZZNS1_14partition_implILS5_6ELb0ES3_mN6thrust23THRUST_200600_302600_NS6detail15normal_iteratorINSA_10device_ptrIxEEEEPS6_SG_NS0_5tupleIJNSA_16discard_iteratorINSA_11use_defaultEEES6_EEENSH_IJSG_SG_EEES6_PlJNSB_9not_fun_tINSB_14equal_to_valueIxEEEEEEE10hipError_tPvRmT3_T4_T5_T6_T7_T9_mT8_P12ihipStream_tbDpT10_ENKUlT_T0_E_clISt17integral_constantIbLb0EES1B_EEDaS16_S17_EUlS16_E_NS1_11comp_targetILNS1_3genE0ELNS1_11target_archE4294967295ELNS1_3gpuE0ELNS1_3repE0EEENS1_30default_config_static_selectorELNS0_4arch9wavefront6targetE0EEEvT1_
		.amdhsa_group_segment_fixed_size 0
		.amdhsa_private_segment_fixed_size 0
		.amdhsa_kernarg_size 128
		.amdhsa_user_sgpr_count 2
		.amdhsa_user_sgpr_dispatch_ptr 0
		.amdhsa_user_sgpr_queue_ptr 0
		.amdhsa_user_sgpr_kernarg_segment_ptr 1
		.amdhsa_user_sgpr_dispatch_id 0
		.amdhsa_user_sgpr_private_segment_size 0
		.amdhsa_wavefront_size32 1
		.amdhsa_uses_dynamic_stack 0
		.amdhsa_enable_private_segment 0
		.amdhsa_system_sgpr_workgroup_id_x 1
		.amdhsa_system_sgpr_workgroup_id_y 0
		.amdhsa_system_sgpr_workgroup_id_z 0
		.amdhsa_system_sgpr_workgroup_info 0
		.amdhsa_system_vgpr_workitem_id 0
		.amdhsa_next_free_vgpr 1
		.amdhsa_next_free_sgpr 1
		.amdhsa_reserve_vcc 0
		.amdhsa_float_round_mode_32 0
		.amdhsa_float_round_mode_16_64 0
		.amdhsa_float_denorm_mode_32 3
		.amdhsa_float_denorm_mode_16_64 3
		.amdhsa_fp16_overflow 0
		.amdhsa_workgroup_processor_mode 1
		.amdhsa_memory_ordered 1
		.amdhsa_forward_progress 1
		.amdhsa_inst_pref_size 0
		.amdhsa_round_robin_scheduling 0
		.amdhsa_exception_fp_ieee_invalid_op 0
		.amdhsa_exception_fp_denorm_src 0
		.amdhsa_exception_fp_ieee_div_zero 0
		.amdhsa_exception_fp_ieee_overflow 0
		.amdhsa_exception_fp_ieee_underflow 0
		.amdhsa_exception_fp_ieee_inexact 0
		.amdhsa_exception_int_div_zero 0
	.end_amdhsa_kernel
	.section	.text._ZN7rocprim17ROCPRIM_400000_NS6detail17trampoline_kernelINS0_14default_configENS1_25partition_config_selectorILNS1_17partition_subalgoE6ExNS0_10empty_typeEbEEZZNS1_14partition_implILS5_6ELb0ES3_mN6thrust23THRUST_200600_302600_NS6detail15normal_iteratorINSA_10device_ptrIxEEEEPS6_SG_NS0_5tupleIJNSA_16discard_iteratorINSA_11use_defaultEEES6_EEENSH_IJSG_SG_EEES6_PlJNSB_9not_fun_tINSB_14equal_to_valueIxEEEEEEE10hipError_tPvRmT3_T4_T5_T6_T7_T9_mT8_P12ihipStream_tbDpT10_ENKUlT_T0_E_clISt17integral_constantIbLb0EES1B_EEDaS16_S17_EUlS16_E_NS1_11comp_targetILNS1_3genE0ELNS1_11target_archE4294967295ELNS1_3gpuE0ELNS1_3repE0EEENS1_30default_config_static_selectorELNS0_4arch9wavefront6targetE0EEEvT1_,"axG",@progbits,_ZN7rocprim17ROCPRIM_400000_NS6detail17trampoline_kernelINS0_14default_configENS1_25partition_config_selectorILNS1_17partition_subalgoE6ExNS0_10empty_typeEbEEZZNS1_14partition_implILS5_6ELb0ES3_mN6thrust23THRUST_200600_302600_NS6detail15normal_iteratorINSA_10device_ptrIxEEEEPS6_SG_NS0_5tupleIJNSA_16discard_iteratorINSA_11use_defaultEEES6_EEENSH_IJSG_SG_EEES6_PlJNSB_9not_fun_tINSB_14equal_to_valueIxEEEEEEE10hipError_tPvRmT3_T4_T5_T6_T7_T9_mT8_P12ihipStream_tbDpT10_ENKUlT_T0_E_clISt17integral_constantIbLb0EES1B_EEDaS16_S17_EUlS16_E_NS1_11comp_targetILNS1_3genE0ELNS1_11target_archE4294967295ELNS1_3gpuE0ELNS1_3repE0EEENS1_30default_config_static_selectorELNS0_4arch9wavefront6targetE0EEEvT1_,comdat
.Lfunc_end1725:
	.size	_ZN7rocprim17ROCPRIM_400000_NS6detail17trampoline_kernelINS0_14default_configENS1_25partition_config_selectorILNS1_17partition_subalgoE6ExNS0_10empty_typeEbEEZZNS1_14partition_implILS5_6ELb0ES3_mN6thrust23THRUST_200600_302600_NS6detail15normal_iteratorINSA_10device_ptrIxEEEEPS6_SG_NS0_5tupleIJNSA_16discard_iteratorINSA_11use_defaultEEES6_EEENSH_IJSG_SG_EEES6_PlJNSB_9not_fun_tINSB_14equal_to_valueIxEEEEEEE10hipError_tPvRmT3_T4_T5_T6_T7_T9_mT8_P12ihipStream_tbDpT10_ENKUlT_T0_E_clISt17integral_constantIbLb0EES1B_EEDaS16_S17_EUlS16_E_NS1_11comp_targetILNS1_3genE0ELNS1_11target_archE4294967295ELNS1_3gpuE0ELNS1_3repE0EEENS1_30default_config_static_selectorELNS0_4arch9wavefront6targetE0EEEvT1_, .Lfunc_end1725-_ZN7rocprim17ROCPRIM_400000_NS6detail17trampoline_kernelINS0_14default_configENS1_25partition_config_selectorILNS1_17partition_subalgoE6ExNS0_10empty_typeEbEEZZNS1_14partition_implILS5_6ELb0ES3_mN6thrust23THRUST_200600_302600_NS6detail15normal_iteratorINSA_10device_ptrIxEEEEPS6_SG_NS0_5tupleIJNSA_16discard_iteratorINSA_11use_defaultEEES6_EEENSH_IJSG_SG_EEES6_PlJNSB_9not_fun_tINSB_14equal_to_valueIxEEEEEEE10hipError_tPvRmT3_T4_T5_T6_T7_T9_mT8_P12ihipStream_tbDpT10_ENKUlT_T0_E_clISt17integral_constantIbLb0EES1B_EEDaS16_S17_EUlS16_E_NS1_11comp_targetILNS1_3genE0ELNS1_11target_archE4294967295ELNS1_3gpuE0ELNS1_3repE0EEENS1_30default_config_static_selectorELNS0_4arch9wavefront6targetE0EEEvT1_
                                        ; -- End function
	.set _ZN7rocprim17ROCPRIM_400000_NS6detail17trampoline_kernelINS0_14default_configENS1_25partition_config_selectorILNS1_17partition_subalgoE6ExNS0_10empty_typeEbEEZZNS1_14partition_implILS5_6ELb0ES3_mN6thrust23THRUST_200600_302600_NS6detail15normal_iteratorINSA_10device_ptrIxEEEEPS6_SG_NS0_5tupleIJNSA_16discard_iteratorINSA_11use_defaultEEES6_EEENSH_IJSG_SG_EEES6_PlJNSB_9not_fun_tINSB_14equal_to_valueIxEEEEEEE10hipError_tPvRmT3_T4_T5_T6_T7_T9_mT8_P12ihipStream_tbDpT10_ENKUlT_T0_E_clISt17integral_constantIbLb0EES1B_EEDaS16_S17_EUlS16_E_NS1_11comp_targetILNS1_3genE0ELNS1_11target_archE4294967295ELNS1_3gpuE0ELNS1_3repE0EEENS1_30default_config_static_selectorELNS0_4arch9wavefront6targetE0EEEvT1_.num_vgpr, 0
	.set _ZN7rocprim17ROCPRIM_400000_NS6detail17trampoline_kernelINS0_14default_configENS1_25partition_config_selectorILNS1_17partition_subalgoE6ExNS0_10empty_typeEbEEZZNS1_14partition_implILS5_6ELb0ES3_mN6thrust23THRUST_200600_302600_NS6detail15normal_iteratorINSA_10device_ptrIxEEEEPS6_SG_NS0_5tupleIJNSA_16discard_iteratorINSA_11use_defaultEEES6_EEENSH_IJSG_SG_EEES6_PlJNSB_9not_fun_tINSB_14equal_to_valueIxEEEEEEE10hipError_tPvRmT3_T4_T5_T6_T7_T9_mT8_P12ihipStream_tbDpT10_ENKUlT_T0_E_clISt17integral_constantIbLb0EES1B_EEDaS16_S17_EUlS16_E_NS1_11comp_targetILNS1_3genE0ELNS1_11target_archE4294967295ELNS1_3gpuE0ELNS1_3repE0EEENS1_30default_config_static_selectorELNS0_4arch9wavefront6targetE0EEEvT1_.num_agpr, 0
	.set _ZN7rocprim17ROCPRIM_400000_NS6detail17trampoline_kernelINS0_14default_configENS1_25partition_config_selectorILNS1_17partition_subalgoE6ExNS0_10empty_typeEbEEZZNS1_14partition_implILS5_6ELb0ES3_mN6thrust23THRUST_200600_302600_NS6detail15normal_iteratorINSA_10device_ptrIxEEEEPS6_SG_NS0_5tupleIJNSA_16discard_iteratorINSA_11use_defaultEEES6_EEENSH_IJSG_SG_EEES6_PlJNSB_9not_fun_tINSB_14equal_to_valueIxEEEEEEE10hipError_tPvRmT3_T4_T5_T6_T7_T9_mT8_P12ihipStream_tbDpT10_ENKUlT_T0_E_clISt17integral_constantIbLb0EES1B_EEDaS16_S17_EUlS16_E_NS1_11comp_targetILNS1_3genE0ELNS1_11target_archE4294967295ELNS1_3gpuE0ELNS1_3repE0EEENS1_30default_config_static_selectorELNS0_4arch9wavefront6targetE0EEEvT1_.numbered_sgpr, 0
	.set _ZN7rocprim17ROCPRIM_400000_NS6detail17trampoline_kernelINS0_14default_configENS1_25partition_config_selectorILNS1_17partition_subalgoE6ExNS0_10empty_typeEbEEZZNS1_14partition_implILS5_6ELb0ES3_mN6thrust23THRUST_200600_302600_NS6detail15normal_iteratorINSA_10device_ptrIxEEEEPS6_SG_NS0_5tupleIJNSA_16discard_iteratorINSA_11use_defaultEEES6_EEENSH_IJSG_SG_EEES6_PlJNSB_9not_fun_tINSB_14equal_to_valueIxEEEEEEE10hipError_tPvRmT3_T4_T5_T6_T7_T9_mT8_P12ihipStream_tbDpT10_ENKUlT_T0_E_clISt17integral_constantIbLb0EES1B_EEDaS16_S17_EUlS16_E_NS1_11comp_targetILNS1_3genE0ELNS1_11target_archE4294967295ELNS1_3gpuE0ELNS1_3repE0EEENS1_30default_config_static_selectorELNS0_4arch9wavefront6targetE0EEEvT1_.num_named_barrier, 0
	.set _ZN7rocprim17ROCPRIM_400000_NS6detail17trampoline_kernelINS0_14default_configENS1_25partition_config_selectorILNS1_17partition_subalgoE6ExNS0_10empty_typeEbEEZZNS1_14partition_implILS5_6ELb0ES3_mN6thrust23THRUST_200600_302600_NS6detail15normal_iteratorINSA_10device_ptrIxEEEEPS6_SG_NS0_5tupleIJNSA_16discard_iteratorINSA_11use_defaultEEES6_EEENSH_IJSG_SG_EEES6_PlJNSB_9not_fun_tINSB_14equal_to_valueIxEEEEEEE10hipError_tPvRmT3_T4_T5_T6_T7_T9_mT8_P12ihipStream_tbDpT10_ENKUlT_T0_E_clISt17integral_constantIbLb0EES1B_EEDaS16_S17_EUlS16_E_NS1_11comp_targetILNS1_3genE0ELNS1_11target_archE4294967295ELNS1_3gpuE0ELNS1_3repE0EEENS1_30default_config_static_selectorELNS0_4arch9wavefront6targetE0EEEvT1_.private_seg_size, 0
	.set _ZN7rocprim17ROCPRIM_400000_NS6detail17trampoline_kernelINS0_14default_configENS1_25partition_config_selectorILNS1_17partition_subalgoE6ExNS0_10empty_typeEbEEZZNS1_14partition_implILS5_6ELb0ES3_mN6thrust23THRUST_200600_302600_NS6detail15normal_iteratorINSA_10device_ptrIxEEEEPS6_SG_NS0_5tupleIJNSA_16discard_iteratorINSA_11use_defaultEEES6_EEENSH_IJSG_SG_EEES6_PlJNSB_9not_fun_tINSB_14equal_to_valueIxEEEEEEE10hipError_tPvRmT3_T4_T5_T6_T7_T9_mT8_P12ihipStream_tbDpT10_ENKUlT_T0_E_clISt17integral_constantIbLb0EES1B_EEDaS16_S17_EUlS16_E_NS1_11comp_targetILNS1_3genE0ELNS1_11target_archE4294967295ELNS1_3gpuE0ELNS1_3repE0EEENS1_30default_config_static_selectorELNS0_4arch9wavefront6targetE0EEEvT1_.uses_vcc, 0
	.set _ZN7rocprim17ROCPRIM_400000_NS6detail17trampoline_kernelINS0_14default_configENS1_25partition_config_selectorILNS1_17partition_subalgoE6ExNS0_10empty_typeEbEEZZNS1_14partition_implILS5_6ELb0ES3_mN6thrust23THRUST_200600_302600_NS6detail15normal_iteratorINSA_10device_ptrIxEEEEPS6_SG_NS0_5tupleIJNSA_16discard_iteratorINSA_11use_defaultEEES6_EEENSH_IJSG_SG_EEES6_PlJNSB_9not_fun_tINSB_14equal_to_valueIxEEEEEEE10hipError_tPvRmT3_T4_T5_T6_T7_T9_mT8_P12ihipStream_tbDpT10_ENKUlT_T0_E_clISt17integral_constantIbLb0EES1B_EEDaS16_S17_EUlS16_E_NS1_11comp_targetILNS1_3genE0ELNS1_11target_archE4294967295ELNS1_3gpuE0ELNS1_3repE0EEENS1_30default_config_static_selectorELNS0_4arch9wavefront6targetE0EEEvT1_.uses_flat_scratch, 0
	.set _ZN7rocprim17ROCPRIM_400000_NS6detail17trampoline_kernelINS0_14default_configENS1_25partition_config_selectorILNS1_17partition_subalgoE6ExNS0_10empty_typeEbEEZZNS1_14partition_implILS5_6ELb0ES3_mN6thrust23THRUST_200600_302600_NS6detail15normal_iteratorINSA_10device_ptrIxEEEEPS6_SG_NS0_5tupleIJNSA_16discard_iteratorINSA_11use_defaultEEES6_EEENSH_IJSG_SG_EEES6_PlJNSB_9not_fun_tINSB_14equal_to_valueIxEEEEEEE10hipError_tPvRmT3_T4_T5_T6_T7_T9_mT8_P12ihipStream_tbDpT10_ENKUlT_T0_E_clISt17integral_constantIbLb0EES1B_EEDaS16_S17_EUlS16_E_NS1_11comp_targetILNS1_3genE0ELNS1_11target_archE4294967295ELNS1_3gpuE0ELNS1_3repE0EEENS1_30default_config_static_selectorELNS0_4arch9wavefront6targetE0EEEvT1_.has_dyn_sized_stack, 0
	.set _ZN7rocprim17ROCPRIM_400000_NS6detail17trampoline_kernelINS0_14default_configENS1_25partition_config_selectorILNS1_17partition_subalgoE6ExNS0_10empty_typeEbEEZZNS1_14partition_implILS5_6ELb0ES3_mN6thrust23THRUST_200600_302600_NS6detail15normal_iteratorINSA_10device_ptrIxEEEEPS6_SG_NS0_5tupleIJNSA_16discard_iteratorINSA_11use_defaultEEES6_EEENSH_IJSG_SG_EEES6_PlJNSB_9not_fun_tINSB_14equal_to_valueIxEEEEEEE10hipError_tPvRmT3_T4_T5_T6_T7_T9_mT8_P12ihipStream_tbDpT10_ENKUlT_T0_E_clISt17integral_constantIbLb0EES1B_EEDaS16_S17_EUlS16_E_NS1_11comp_targetILNS1_3genE0ELNS1_11target_archE4294967295ELNS1_3gpuE0ELNS1_3repE0EEENS1_30default_config_static_selectorELNS0_4arch9wavefront6targetE0EEEvT1_.has_recursion, 0
	.set _ZN7rocprim17ROCPRIM_400000_NS6detail17trampoline_kernelINS0_14default_configENS1_25partition_config_selectorILNS1_17partition_subalgoE6ExNS0_10empty_typeEbEEZZNS1_14partition_implILS5_6ELb0ES3_mN6thrust23THRUST_200600_302600_NS6detail15normal_iteratorINSA_10device_ptrIxEEEEPS6_SG_NS0_5tupleIJNSA_16discard_iteratorINSA_11use_defaultEEES6_EEENSH_IJSG_SG_EEES6_PlJNSB_9not_fun_tINSB_14equal_to_valueIxEEEEEEE10hipError_tPvRmT3_T4_T5_T6_T7_T9_mT8_P12ihipStream_tbDpT10_ENKUlT_T0_E_clISt17integral_constantIbLb0EES1B_EEDaS16_S17_EUlS16_E_NS1_11comp_targetILNS1_3genE0ELNS1_11target_archE4294967295ELNS1_3gpuE0ELNS1_3repE0EEENS1_30default_config_static_selectorELNS0_4arch9wavefront6targetE0EEEvT1_.has_indirect_call, 0
	.section	.AMDGPU.csdata,"",@progbits
; Kernel info:
; codeLenInByte = 0
; TotalNumSgprs: 0
; NumVgprs: 0
; ScratchSize: 0
; MemoryBound: 0
; FloatMode: 240
; IeeeMode: 1
; LDSByteSize: 0 bytes/workgroup (compile time only)
; SGPRBlocks: 0
; VGPRBlocks: 0
; NumSGPRsForWavesPerEU: 1
; NumVGPRsForWavesPerEU: 1
; Occupancy: 16
; WaveLimiterHint : 0
; COMPUTE_PGM_RSRC2:SCRATCH_EN: 0
; COMPUTE_PGM_RSRC2:USER_SGPR: 2
; COMPUTE_PGM_RSRC2:TRAP_HANDLER: 0
; COMPUTE_PGM_RSRC2:TGID_X_EN: 1
; COMPUTE_PGM_RSRC2:TGID_Y_EN: 0
; COMPUTE_PGM_RSRC2:TGID_Z_EN: 0
; COMPUTE_PGM_RSRC2:TIDIG_COMP_CNT: 0
	.section	.text._ZN7rocprim17ROCPRIM_400000_NS6detail17trampoline_kernelINS0_14default_configENS1_25partition_config_selectorILNS1_17partition_subalgoE6ExNS0_10empty_typeEbEEZZNS1_14partition_implILS5_6ELb0ES3_mN6thrust23THRUST_200600_302600_NS6detail15normal_iteratorINSA_10device_ptrIxEEEEPS6_SG_NS0_5tupleIJNSA_16discard_iteratorINSA_11use_defaultEEES6_EEENSH_IJSG_SG_EEES6_PlJNSB_9not_fun_tINSB_14equal_to_valueIxEEEEEEE10hipError_tPvRmT3_T4_T5_T6_T7_T9_mT8_P12ihipStream_tbDpT10_ENKUlT_T0_E_clISt17integral_constantIbLb0EES1B_EEDaS16_S17_EUlS16_E_NS1_11comp_targetILNS1_3genE5ELNS1_11target_archE942ELNS1_3gpuE9ELNS1_3repE0EEENS1_30default_config_static_selectorELNS0_4arch9wavefront6targetE0EEEvT1_,"axG",@progbits,_ZN7rocprim17ROCPRIM_400000_NS6detail17trampoline_kernelINS0_14default_configENS1_25partition_config_selectorILNS1_17partition_subalgoE6ExNS0_10empty_typeEbEEZZNS1_14partition_implILS5_6ELb0ES3_mN6thrust23THRUST_200600_302600_NS6detail15normal_iteratorINSA_10device_ptrIxEEEEPS6_SG_NS0_5tupleIJNSA_16discard_iteratorINSA_11use_defaultEEES6_EEENSH_IJSG_SG_EEES6_PlJNSB_9not_fun_tINSB_14equal_to_valueIxEEEEEEE10hipError_tPvRmT3_T4_T5_T6_T7_T9_mT8_P12ihipStream_tbDpT10_ENKUlT_T0_E_clISt17integral_constantIbLb0EES1B_EEDaS16_S17_EUlS16_E_NS1_11comp_targetILNS1_3genE5ELNS1_11target_archE942ELNS1_3gpuE9ELNS1_3repE0EEENS1_30default_config_static_selectorELNS0_4arch9wavefront6targetE0EEEvT1_,comdat
	.protected	_ZN7rocprim17ROCPRIM_400000_NS6detail17trampoline_kernelINS0_14default_configENS1_25partition_config_selectorILNS1_17partition_subalgoE6ExNS0_10empty_typeEbEEZZNS1_14partition_implILS5_6ELb0ES3_mN6thrust23THRUST_200600_302600_NS6detail15normal_iteratorINSA_10device_ptrIxEEEEPS6_SG_NS0_5tupleIJNSA_16discard_iteratorINSA_11use_defaultEEES6_EEENSH_IJSG_SG_EEES6_PlJNSB_9not_fun_tINSB_14equal_to_valueIxEEEEEEE10hipError_tPvRmT3_T4_T5_T6_T7_T9_mT8_P12ihipStream_tbDpT10_ENKUlT_T0_E_clISt17integral_constantIbLb0EES1B_EEDaS16_S17_EUlS16_E_NS1_11comp_targetILNS1_3genE5ELNS1_11target_archE942ELNS1_3gpuE9ELNS1_3repE0EEENS1_30default_config_static_selectorELNS0_4arch9wavefront6targetE0EEEvT1_ ; -- Begin function _ZN7rocprim17ROCPRIM_400000_NS6detail17trampoline_kernelINS0_14default_configENS1_25partition_config_selectorILNS1_17partition_subalgoE6ExNS0_10empty_typeEbEEZZNS1_14partition_implILS5_6ELb0ES3_mN6thrust23THRUST_200600_302600_NS6detail15normal_iteratorINSA_10device_ptrIxEEEEPS6_SG_NS0_5tupleIJNSA_16discard_iteratorINSA_11use_defaultEEES6_EEENSH_IJSG_SG_EEES6_PlJNSB_9not_fun_tINSB_14equal_to_valueIxEEEEEEE10hipError_tPvRmT3_T4_T5_T6_T7_T9_mT8_P12ihipStream_tbDpT10_ENKUlT_T0_E_clISt17integral_constantIbLb0EES1B_EEDaS16_S17_EUlS16_E_NS1_11comp_targetILNS1_3genE5ELNS1_11target_archE942ELNS1_3gpuE9ELNS1_3repE0EEENS1_30default_config_static_selectorELNS0_4arch9wavefront6targetE0EEEvT1_
	.globl	_ZN7rocprim17ROCPRIM_400000_NS6detail17trampoline_kernelINS0_14default_configENS1_25partition_config_selectorILNS1_17partition_subalgoE6ExNS0_10empty_typeEbEEZZNS1_14partition_implILS5_6ELb0ES3_mN6thrust23THRUST_200600_302600_NS6detail15normal_iteratorINSA_10device_ptrIxEEEEPS6_SG_NS0_5tupleIJNSA_16discard_iteratorINSA_11use_defaultEEES6_EEENSH_IJSG_SG_EEES6_PlJNSB_9not_fun_tINSB_14equal_to_valueIxEEEEEEE10hipError_tPvRmT3_T4_T5_T6_T7_T9_mT8_P12ihipStream_tbDpT10_ENKUlT_T0_E_clISt17integral_constantIbLb0EES1B_EEDaS16_S17_EUlS16_E_NS1_11comp_targetILNS1_3genE5ELNS1_11target_archE942ELNS1_3gpuE9ELNS1_3repE0EEENS1_30default_config_static_selectorELNS0_4arch9wavefront6targetE0EEEvT1_
	.p2align	8
	.type	_ZN7rocprim17ROCPRIM_400000_NS6detail17trampoline_kernelINS0_14default_configENS1_25partition_config_selectorILNS1_17partition_subalgoE6ExNS0_10empty_typeEbEEZZNS1_14partition_implILS5_6ELb0ES3_mN6thrust23THRUST_200600_302600_NS6detail15normal_iteratorINSA_10device_ptrIxEEEEPS6_SG_NS0_5tupleIJNSA_16discard_iteratorINSA_11use_defaultEEES6_EEENSH_IJSG_SG_EEES6_PlJNSB_9not_fun_tINSB_14equal_to_valueIxEEEEEEE10hipError_tPvRmT3_T4_T5_T6_T7_T9_mT8_P12ihipStream_tbDpT10_ENKUlT_T0_E_clISt17integral_constantIbLb0EES1B_EEDaS16_S17_EUlS16_E_NS1_11comp_targetILNS1_3genE5ELNS1_11target_archE942ELNS1_3gpuE9ELNS1_3repE0EEENS1_30default_config_static_selectorELNS0_4arch9wavefront6targetE0EEEvT1_,@function
_ZN7rocprim17ROCPRIM_400000_NS6detail17trampoline_kernelINS0_14default_configENS1_25partition_config_selectorILNS1_17partition_subalgoE6ExNS0_10empty_typeEbEEZZNS1_14partition_implILS5_6ELb0ES3_mN6thrust23THRUST_200600_302600_NS6detail15normal_iteratorINSA_10device_ptrIxEEEEPS6_SG_NS0_5tupleIJNSA_16discard_iteratorINSA_11use_defaultEEES6_EEENSH_IJSG_SG_EEES6_PlJNSB_9not_fun_tINSB_14equal_to_valueIxEEEEEEE10hipError_tPvRmT3_T4_T5_T6_T7_T9_mT8_P12ihipStream_tbDpT10_ENKUlT_T0_E_clISt17integral_constantIbLb0EES1B_EEDaS16_S17_EUlS16_E_NS1_11comp_targetILNS1_3genE5ELNS1_11target_archE942ELNS1_3gpuE9ELNS1_3repE0EEENS1_30default_config_static_selectorELNS0_4arch9wavefront6targetE0EEEvT1_: ; @_ZN7rocprim17ROCPRIM_400000_NS6detail17trampoline_kernelINS0_14default_configENS1_25partition_config_selectorILNS1_17partition_subalgoE6ExNS0_10empty_typeEbEEZZNS1_14partition_implILS5_6ELb0ES3_mN6thrust23THRUST_200600_302600_NS6detail15normal_iteratorINSA_10device_ptrIxEEEEPS6_SG_NS0_5tupleIJNSA_16discard_iteratorINSA_11use_defaultEEES6_EEENSH_IJSG_SG_EEES6_PlJNSB_9not_fun_tINSB_14equal_to_valueIxEEEEEEE10hipError_tPvRmT3_T4_T5_T6_T7_T9_mT8_P12ihipStream_tbDpT10_ENKUlT_T0_E_clISt17integral_constantIbLb0EES1B_EEDaS16_S17_EUlS16_E_NS1_11comp_targetILNS1_3genE5ELNS1_11target_archE942ELNS1_3gpuE9ELNS1_3repE0EEENS1_30default_config_static_selectorELNS0_4arch9wavefront6targetE0EEEvT1_
; %bb.0:
	.section	.rodata,"a",@progbits
	.p2align	6, 0x0
	.amdhsa_kernel _ZN7rocprim17ROCPRIM_400000_NS6detail17trampoline_kernelINS0_14default_configENS1_25partition_config_selectorILNS1_17partition_subalgoE6ExNS0_10empty_typeEbEEZZNS1_14partition_implILS5_6ELb0ES3_mN6thrust23THRUST_200600_302600_NS6detail15normal_iteratorINSA_10device_ptrIxEEEEPS6_SG_NS0_5tupleIJNSA_16discard_iteratorINSA_11use_defaultEEES6_EEENSH_IJSG_SG_EEES6_PlJNSB_9not_fun_tINSB_14equal_to_valueIxEEEEEEE10hipError_tPvRmT3_T4_T5_T6_T7_T9_mT8_P12ihipStream_tbDpT10_ENKUlT_T0_E_clISt17integral_constantIbLb0EES1B_EEDaS16_S17_EUlS16_E_NS1_11comp_targetILNS1_3genE5ELNS1_11target_archE942ELNS1_3gpuE9ELNS1_3repE0EEENS1_30default_config_static_selectorELNS0_4arch9wavefront6targetE0EEEvT1_
		.amdhsa_group_segment_fixed_size 0
		.amdhsa_private_segment_fixed_size 0
		.amdhsa_kernarg_size 128
		.amdhsa_user_sgpr_count 2
		.amdhsa_user_sgpr_dispatch_ptr 0
		.amdhsa_user_sgpr_queue_ptr 0
		.amdhsa_user_sgpr_kernarg_segment_ptr 1
		.amdhsa_user_sgpr_dispatch_id 0
		.amdhsa_user_sgpr_private_segment_size 0
		.amdhsa_wavefront_size32 1
		.amdhsa_uses_dynamic_stack 0
		.amdhsa_enable_private_segment 0
		.amdhsa_system_sgpr_workgroup_id_x 1
		.amdhsa_system_sgpr_workgroup_id_y 0
		.amdhsa_system_sgpr_workgroup_id_z 0
		.amdhsa_system_sgpr_workgroup_info 0
		.amdhsa_system_vgpr_workitem_id 0
		.amdhsa_next_free_vgpr 1
		.amdhsa_next_free_sgpr 1
		.amdhsa_reserve_vcc 0
		.amdhsa_float_round_mode_32 0
		.amdhsa_float_round_mode_16_64 0
		.amdhsa_float_denorm_mode_32 3
		.amdhsa_float_denorm_mode_16_64 3
		.amdhsa_fp16_overflow 0
		.amdhsa_workgroup_processor_mode 1
		.amdhsa_memory_ordered 1
		.amdhsa_forward_progress 1
		.amdhsa_inst_pref_size 0
		.amdhsa_round_robin_scheduling 0
		.amdhsa_exception_fp_ieee_invalid_op 0
		.amdhsa_exception_fp_denorm_src 0
		.amdhsa_exception_fp_ieee_div_zero 0
		.amdhsa_exception_fp_ieee_overflow 0
		.amdhsa_exception_fp_ieee_underflow 0
		.amdhsa_exception_fp_ieee_inexact 0
		.amdhsa_exception_int_div_zero 0
	.end_amdhsa_kernel
	.section	.text._ZN7rocprim17ROCPRIM_400000_NS6detail17trampoline_kernelINS0_14default_configENS1_25partition_config_selectorILNS1_17partition_subalgoE6ExNS0_10empty_typeEbEEZZNS1_14partition_implILS5_6ELb0ES3_mN6thrust23THRUST_200600_302600_NS6detail15normal_iteratorINSA_10device_ptrIxEEEEPS6_SG_NS0_5tupleIJNSA_16discard_iteratorINSA_11use_defaultEEES6_EEENSH_IJSG_SG_EEES6_PlJNSB_9not_fun_tINSB_14equal_to_valueIxEEEEEEE10hipError_tPvRmT3_T4_T5_T6_T7_T9_mT8_P12ihipStream_tbDpT10_ENKUlT_T0_E_clISt17integral_constantIbLb0EES1B_EEDaS16_S17_EUlS16_E_NS1_11comp_targetILNS1_3genE5ELNS1_11target_archE942ELNS1_3gpuE9ELNS1_3repE0EEENS1_30default_config_static_selectorELNS0_4arch9wavefront6targetE0EEEvT1_,"axG",@progbits,_ZN7rocprim17ROCPRIM_400000_NS6detail17trampoline_kernelINS0_14default_configENS1_25partition_config_selectorILNS1_17partition_subalgoE6ExNS0_10empty_typeEbEEZZNS1_14partition_implILS5_6ELb0ES3_mN6thrust23THRUST_200600_302600_NS6detail15normal_iteratorINSA_10device_ptrIxEEEEPS6_SG_NS0_5tupleIJNSA_16discard_iteratorINSA_11use_defaultEEES6_EEENSH_IJSG_SG_EEES6_PlJNSB_9not_fun_tINSB_14equal_to_valueIxEEEEEEE10hipError_tPvRmT3_T4_T5_T6_T7_T9_mT8_P12ihipStream_tbDpT10_ENKUlT_T0_E_clISt17integral_constantIbLb0EES1B_EEDaS16_S17_EUlS16_E_NS1_11comp_targetILNS1_3genE5ELNS1_11target_archE942ELNS1_3gpuE9ELNS1_3repE0EEENS1_30default_config_static_selectorELNS0_4arch9wavefront6targetE0EEEvT1_,comdat
.Lfunc_end1726:
	.size	_ZN7rocprim17ROCPRIM_400000_NS6detail17trampoline_kernelINS0_14default_configENS1_25partition_config_selectorILNS1_17partition_subalgoE6ExNS0_10empty_typeEbEEZZNS1_14partition_implILS5_6ELb0ES3_mN6thrust23THRUST_200600_302600_NS6detail15normal_iteratorINSA_10device_ptrIxEEEEPS6_SG_NS0_5tupleIJNSA_16discard_iteratorINSA_11use_defaultEEES6_EEENSH_IJSG_SG_EEES6_PlJNSB_9not_fun_tINSB_14equal_to_valueIxEEEEEEE10hipError_tPvRmT3_T4_T5_T6_T7_T9_mT8_P12ihipStream_tbDpT10_ENKUlT_T0_E_clISt17integral_constantIbLb0EES1B_EEDaS16_S17_EUlS16_E_NS1_11comp_targetILNS1_3genE5ELNS1_11target_archE942ELNS1_3gpuE9ELNS1_3repE0EEENS1_30default_config_static_selectorELNS0_4arch9wavefront6targetE0EEEvT1_, .Lfunc_end1726-_ZN7rocprim17ROCPRIM_400000_NS6detail17trampoline_kernelINS0_14default_configENS1_25partition_config_selectorILNS1_17partition_subalgoE6ExNS0_10empty_typeEbEEZZNS1_14partition_implILS5_6ELb0ES3_mN6thrust23THRUST_200600_302600_NS6detail15normal_iteratorINSA_10device_ptrIxEEEEPS6_SG_NS0_5tupleIJNSA_16discard_iteratorINSA_11use_defaultEEES6_EEENSH_IJSG_SG_EEES6_PlJNSB_9not_fun_tINSB_14equal_to_valueIxEEEEEEE10hipError_tPvRmT3_T4_T5_T6_T7_T9_mT8_P12ihipStream_tbDpT10_ENKUlT_T0_E_clISt17integral_constantIbLb0EES1B_EEDaS16_S17_EUlS16_E_NS1_11comp_targetILNS1_3genE5ELNS1_11target_archE942ELNS1_3gpuE9ELNS1_3repE0EEENS1_30default_config_static_selectorELNS0_4arch9wavefront6targetE0EEEvT1_
                                        ; -- End function
	.set _ZN7rocprim17ROCPRIM_400000_NS6detail17trampoline_kernelINS0_14default_configENS1_25partition_config_selectorILNS1_17partition_subalgoE6ExNS0_10empty_typeEbEEZZNS1_14partition_implILS5_6ELb0ES3_mN6thrust23THRUST_200600_302600_NS6detail15normal_iteratorINSA_10device_ptrIxEEEEPS6_SG_NS0_5tupleIJNSA_16discard_iteratorINSA_11use_defaultEEES6_EEENSH_IJSG_SG_EEES6_PlJNSB_9not_fun_tINSB_14equal_to_valueIxEEEEEEE10hipError_tPvRmT3_T4_T5_T6_T7_T9_mT8_P12ihipStream_tbDpT10_ENKUlT_T0_E_clISt17integral_constantIbLb0EES1B_EEDaS16_S17_EUlS16_E_NS1_11comp_targetILNS1_3genE5ELNS1_11target_archE942ELNS1_3gpuE9ELNS1_3repE0EEENS1_30default_config_static_selectorELNS0_4arch9wavefront6targetE0EEEvT1_.num_vgpr, 0
	.set _ZN7rocprim17ROCPRIM_400000_NS6detail17trampoline_kernelINS0_14default_configENS1_25partition_config_selectorILNS1_17partition_subalgoE6ExNS0_10empty_typeEbEEZZNS1_14partition_implILS5_6ELb0ES3_mN6thrust23THRUST_200600_302600_NS6detail15normal_iteratorINSA_10device_ptrIxEEEEPS6_SG_NS0_5tupleIJNSA_16discard_iteratorINSA_11use_defaultEEES6_EEENSH_IJSG_SG_EEES6_PlJNSB_9not_fun_tINSB_14equal_to_valueIxEEEEEEE10hipError_tPvRmT3_T4_T5_T6_T7_T9_mT8_P12ihipStream_tbDpT10_ENKUlT_T0_E_clISt17integral_constantIbLb0EES1B_EEDaS16_S17_EUlS16_E_NS1_11comp_targetILNS1_3genE5ELNS1_11target_archE942ELNS1_3gpuE9ELNS1_3repE0EEENS1_30default_config_static_selectorELNS0_4arch9wavefront6targetE0EEEvT1_.num_agpr, 0
	.set _ZN7rocprim17ROCPRIM_400000_NS6detail17trampoline_kernelINS0_14default_configENS1_25partition_config_selectorILNS1_17partition_subalgoE6ExNS0_10empty_typeEbEEZZNS1_14partition_implILS5_6ELb0ES3_mN6thrust23THRUST_200600_302600_NS6detail15normal_iteratorINSA_10device_ptrIxEEEEPS6_SG_NS0_5tupleIJNSA_16discard_iteratorINSA_11use_defaultEEES6_EEENSH_IJSG_SG_EEES6_PlJNSB_9not_fun_tINSB_14equal_to_valueIxEEEEEEE10hipError_tPvRmT3_T4_T5_T6_T7_T9_mT8_P12ihipStream_tbDpT10_ENKUlT_T0_E_clISt17integral_constantIbLb0EES1B_EEDaS16_S17_EUlS16_E_NS1_11comp_targetILNS1_3genE5ELNS1_11target_archE942ELNS1_3gpuE9ELNS1_3repE0EEENS1_30default_config_static_selectorELNS0_4arch9wavefront6targetE0EEEvT1_.numbered_sgpr, 0
	.set _ZN7rocprim17ROCPRIM_400000_NS6detail17trampoline_kernelINS0_14default_configENS1_25partition_config_selectorILNS1_17partition_subalgoE6ExNS0_10empty_typeEbEEZZNS1_14partition_implILS5_6ELb0ES3_mN6thrust23THRUST_200600_302600_NS6detail15normal_iteratorINSA_10device_ptrIxEEEEPS6_SG_NS0_5tupleIJNSA_16discard_iteratorINSA_11use_defaultEEES6_EEENSH_IJSG_SG_EEES6_PlJNSB_9not_fun_tINSB_14equal_to_valueIxEEEEEEE10hipError_tPvRmT3_T4_T5_T6_T7_T9_mT8_P12ihipStream_tbDpT10_ENKUlT_T0_E_clISt17integral_constantIbLb0EES1B_EEDaS16_S17_EUlS16_E_NS1_11comp_targetILNS1_3genE5ELNS1_11target_archE942ELNS1_3gpuE9ELNS1_3repE0EEENS1_30default_config_static_selectorELNS0_4arch9wavefront6targetE0EEEvT1_.num_named_barrier, 0
	.set _ZN7rocprim17ROCPRIM_400000_NS6detail17trampoline_kernelINS0_14default_configENS1_25partition_config_selectorILNS1_17partition_subalgoE6ExNS0_10empty_typeEbEEZZNS1_14partition_implILS5_6ELb0ES3_mN6thrust23THRUST_200600_302600_NS6detail15normal_iteratorINSA_10device_ptrIxEEEEPS6_SG_NS0_5tupleIJNSA_16discard_iteratorINSA_11use_defaultEEES6_EEENSH_IJSG_SG_EEES6_PlJNSB_9not_fun_tINSB_14equal_to_valueIxEEEEEEE10hipError_tPvRmT3_T4_T5_T6_T7_T9_mT8_P12ihipStream_tbDpT10_ENKUlT_T0_E_clISt17integral_constantIbLb0EES1B_EEDaS16_S17_EUlS16_E_NS1_11comp_targetILNS1_3genE5ELNS1_11target_archE942ELNS1_3gpuE9ELNS1_3repE0EEENS1_30default_config_static_selectorELNS0_4arch9wavefront6targetE0EEEvT1_.private_seg_size, 0
	.set _ZN7rocprim17ROCPRIM_400000_NS6detail17trampoline_kernelINS0_14default_configENS1_25partition_config_selectorILNS1_17partition_subalgoE6ExNS0_10empty_typeEbEEZZNS1_14partition_implILS5_6ELb0ES3_mN6thrust23THRUST_200600_302600_NS6detail15normal_iteratorINSA_10device_ptrIxEEEEPS6_SG_NS0_5tupleIJNSA_16discard_iteratorINSA_11use_defaultEEES6_EEENSH_IJSG_SG_EEES6_PlJNSB_9not_fun_tINSB_14equal_to_valueIxEEEEEEE10hipError_tPvRmT3_T4_T5_T6_T7_T9_mT8_P12ihipStream_tbDpT10_ENKUlT_T0_E_clISt17integral_constantIbLb0EES1B_EEDaS16_S17_EUlS16_E_NS1_11comp_targetILNS1_3genE5ELNS1_11target_archE942ELNS1_3gpuE9ELNS1_3repE0EEENS1_30default_config_static_selectorELNS0_4arch9wavefront6targetE0EEEvT1_.uses_vcc, 0
	.set _ZN7rocprim17ROCPRIM_400000_NS6detail17trampoline_kernelINS0_14default_configENS1_25partition_config_selectorILNS1_17partition_subalgoE6ExNS0_10empty_typeEbEEZZNS1_14partition_implILS5_6ELb0ES3_mN6thrust23THRUST_200600_302600_NS6detail15normal_iteratorINSA_10device_ptrIxEEEEPS6_SG_NS0_5tupleIJNSA_16discard_iteratorINSA_11use_defaultEEES6_EEENSH_IJSG_SG_EEES6_PlJNSB_9not_fun_tINSB_14equal_to_valueIxEEEEEEE10hipError_tPvRmT3_T4_T5_T6_T7_T9_mT8_P12ihipStream_tbDpT10_ENKUlT_T0_E_clISt17integral_constantIbLb0EES1B_EEDaS16_S17_EUlS16_E_NS1_11comp_targetILNS1_3genE5ELNS1_11target_archE942ELNS1_3gpuE9ELNS1_3repE0EEENS1_30default_config_static_selectorELNS0_4arch9wavefront6targetE0EEEvT1_.uses_flat_scratch, 0
	.set _ZN7rocprim17ROCPRIM_400000_NS6detail17trampoline_kernelINS0_14default_configENS1_25partition_config_selectorILNS1_17partition_subalgoE6ExNS0_10empty_typeEbEEZZNS1_14partition_implILS5_6ELb0ES3_mN6thrust23THRUST_200600_302600_NS6detail15normal_iteratorINSA_10device_ptrIxEEEEPS6_SG_NS0_5tupleIJNSA_16discard_iteratorINSA_11use_defaultEEES6_EEENSH_IJSG_SG_EEES6_PlJNSB_9not_fun_tINSB_14equal_to_valueIxEEEEEEE10hipError_tPvRmT3_T4_T5_T6_T7_T9_mT8_P12ihipStream_tbDpT10_ENKUlT_T0_E_clISt17integral_constantIbLb0EES1B_EEDaS16_S17_EUlS16_E_NS1_11comp_targetILNS1_3genE5ELNS1_11target_archE942ELNS1_3gpuE9ELNS1_3repE0EEENS1_30default_config_static_selectorELNS0_4arch9wavefront6targetE0EEEvT1_.has_dyn_sized_stack, 0
	.set _ZN7rocprim17ROCPRIM_400000_NS6detail17trampoline_kernelINS0_14default_configENS1_25partition_config_selectorILNS1_17partition_subalgoE6ExNS0_10empty_typeEbEEZZNS1_14partition_implILS5_6ELb0ES3_mN6thrust23THRUST_200600_302600_NS6detail15normal_iteratorINSA_10device_ptrIxEEEEPS6_SG_NS0_5tupleIJNSA_16discard_iteratorINSA_11use_defaultEEES6_EEENSH_IJSG_SG_EEES6_PlJNSB_9not_fun_tINSB_14equal_to_valueIxEEEEEEE10hipError_tPvRmT3_T4_T5_T6_T7_T9_mT8_P12ihipStream_tbDpT10_ENKUlT_T0_E_clISt17integral_constantIbLb0EES1B_EEDaS16_S17_EUlS16_E_NS1_11comp_targetILNS1_3genE5ELNS1_11target_archE942ELNS1_3gpuE9ELNS1_3repE0EEENS1_30default_config_static_selectorELNS0_4arch9wavefront6targetE0EEEvT1_.has_recursion, 0
	.set _ZN7rocprim17ROCPRIM_400000_NS6detail17trampoline_kernelINS0_14default_configENS1_25partition_config_selectorILNS1_17partition_subalgoE6ExNS0_10empty_typeEbEEZZNS1_14partition_implILS5_6ELb0ES3_mN6thrust23THRUST_200600_302600_NS6detail15normal_iteratorINSA_10device_ptrIxEEEEPS6_SG_NS0_5tupleIJNSA_16discard_iteratorINSA_11use_defaultEEES6_EEENSH_IJSG_SG_EEES6_PlJNSB_9not_fun_tINSB_14equal_to_valueIxEEEEEEE10hipError_tPvRmT3_T4_T5_T6_T7_T9_mT8_P12ihipStream_tbDpT10_ENKUlT_T0_E_clISt17integral_constantIbLb0EES1B_EEDaS16_S17_EUlS16_E_NS1_11comp_targetILNS1_3genE5ELNS1_11target_archE942ELNS1_3gpuE9ELNS1_3repE0EEENS1_30default_config_static_selectorELNS0_4arch9wavefront6targetE0EEEvT1_.has_indirect_call, 0
	.section	.AMDGPU.csdata,"",@progbits
; Kernel info:
; codeLenInByte = 0
; TotalNumSgprs: 0
; NumVgprs: 0
; ScratchSize: 0
; MemoryBound: 0
; FloatMode: 240
; IeeeMode: 1
; LDSByteSize: 0 bytes/workgroup (compile time only)
; SGPRBlocks: 0
; VGPRBlocks: 0
; NumSGPRsForWavesPerEU: 1
; NumVGPRsForWavesPerEU: 1
; Occupancy: 16
; WaveLimiterHint : 0
; COMPUTE_PGM_RSRC2:SCRATCH_EN: 0
; COMPUTE_PGM_RSRC2:USER_SGPR: 2
; COMPUTE_PGM_RSRC2:TRAP_HANDLER: 0
; COMPUTE_PGM_RSRC2:TGID_X_EN: 1
; COMPUTE_PGM_RSRC2:TGID_Y_EN: 0
; COMPUTE_PGM_RSRC2:TGID_Z_EN: 0
; COMPUTE_PGM_RSRC2:TIDIG_COMP_CNT: 0
	.section	.text._ZN7rocprim17ROCPRIM_400000_NS6detail17trampoline_kernelINS0_14default_configENS1_25partition_config_selectorILNS1_17partition_subalgoE6ExNS0_10empty_typeEbEEZZNS1_14partition_implILS5_6ELb0ES3_mN6thrust23THRUST_200600_302600_NS6detail15normal_iteratorINSA_10device_ptrIxEEEEPS6_SG_NS0_5tupleIJNSA_16discard_iteratorINSA_11use_defaultEEES6_EEENSH_IJSG_SG_EEES6_PlJNSB_9not_fun_tINSB_14equal_to_valueIxEEEEEEE10hipError_tPvRmT3_T4_T5_T6_T7_T9_mT8_P12ihipStream_tbDpT10_ENKUlT_T0_E_clISt17integral_constantIbLb0EES1B_EEDaS16_S17_EUlS16_E_NS1_11comp_targetILNS1_3genE4ELNS1_11target_archE910ELNS1_3gpuE8ELNS1_3repE0EEENS1_30default_config_static_selectorELNS0_4arch9wavefront6targetE0EEEvT1_,"axG",@progbits,_ZN7rocprim17ROCPRIM_400000_NS6detail17trampoline_kernelINS0_14default_configENS1_25partition_config_selectorILNS1_17partition_subalgoE6ExNS0_10empty_typeEbEEZZNS1_14partition_implILS5_6ELb0ES3_mN6thrust23THRUST_200600_302600_NS6detail15normal_iteratorINSA_10device_ptrIxEEEEPS6_SG_NS0_5tupleIJNSA_16discard_iteratorINSA_11use_defaultEEES6_EEENSH_IJSG_SG_EEES6_PlJNSB_9not_fun_tINSB_14equal_to_valueIxEEEEEEE10hipError_tPvRmT3_T4_T5_T6_T7_T9_mT8_P12ihipStream_tbDpT10_ENKUlT_T0_E_clISt17integral_constantIbLb0EES1B_EEDaS16_S17_EUlS16_E_NS1_11comp_targetILNS1_3genE4ELNS1_11target_archE910ELNS1_3gpuE8ELNS1_3repE0EEENS1_30default_config_static_selectorELNS0_4arch9wavefront6targetE0EEEvT1_,comdat
	.protected	_ZN7rocprim17ROCPRIM_400000_NS6detail17trampoline_kernelINS0_14default_configENS1_25partition_config_selectorILNS1_17partition_subalgoE6ExNS0_10empty_typeEbEEZZNS1_14partition_implILS5_6ELb0ES3_mN6thrust23THRUST_200600_302600_NS6detail15normal_iteratorINSA_10device_ptrIxEEEEPS6_SG_NS0_5tupleIJNSA_16discard_iteratorINSA_11use_defaultEEES6_EEENSH_IJSG_SG_EEES6_PlJNSB_9not_fun_tINSB_14equal_to_valueIxEEEEEEE10hipError_tPvRmT3_T4_T5_T6_T7_T9_mT8_P12ihipStream_tbDpT10_ENKUlT_T0_E_clISt17integral_constantIbLb0EES1B_EEDaS16_S17_EUlS16_E_NS1_11comp_targetILNS1_3genE4ELNS1_11target_archE910ELNS1_3gpuE8ELNS1_3repE0EEENS1_30default_config_static_selectorELNS0_4arch9wavefront6targetE0EEEvT1_ ; -- Begin function _ZN7rocprim17ROCPRIM_400000_NS6detail17trampoline_kernelINS0_14default_configENS1_25partition_config_selectorILNS1_17partition_subalgoE6ExNS0_10empty_typeEbEEZZNS1_14partition_implILS5_6ELb0ES3_mN6thrust23THRUST_200600_302600_NS6detail15normal_iteratorINSA_10device_ptrIxEEEEPS6_SG_NS0_5tupleIJNSA_16discard_iteratorINSA_11use_defaultEEES6_EEENSH_IJSG_SG_EEES6_PlJNSB_9not_fun_tINSB_14equal_to_valueIxEEEEEEE10hipError_tPvRmT3_T4_T5_T6_T7_T9_mT8_P12ihipStream_tbDpT10_ENKUlT_T0_E_clISt17integral_constantIbLb0EES1B_EEDaS16_S17_EUlS16_E_NS1_11comp_targetILNS1_3genE4ELNS1_11target_archE910ELNS1_3gpuE8ELNS1_3repE0EEENS1_30default_config_static_selectorELNS0_4arch9wavefront6targetE0EEEvT1_
	.globl	_ZN7rocprim17ROCPRIM_400000_NS6detail17trampoline_kernelINS0_14default_configENS1_25partition_config_selectorILNS1_17partition_subalgoE6ExNS0_10empty_typeEbEEZZNS1_14partition_implILS5_6ELb0ES3_mN6thrust23THRUST_200600_302600_NS6detail15normal_iteratorINSA_10device_ptrIxEEEEPS6_SG_NS0_5tupleIJNSA_16discard_iteratorINSA_11use_defaultEEES6_EEENSH_IJSG_SG_EEES6_PlJNSB_9not_fun_tINSB_14equal_to_valueIxEEEEEEE10hipError_tPvRmT3_T4_T5_T6_T7_T9_mT8_P12ihipStream_tbDpT10_ENKUlT_T0_E_clISt17integral_constantIbLb0EES1B_EEDaS16_S17_EUlS16_E_NS1_11comp_targetILNS1_3genE4ELNS1_11target_archE910ELNS1_3gpuE8ELNS1_3repE0EEENS1_30default_config_static_selectorELNS0_4arch9wavefront6targetE0EEEvT1_
	.p2align	8
	.type	_ZN7rocprim17ROCPRIM_400000_NS6detail17trampoline_kernelINS0_14default_configENS1_25partition_config_selectorILNS1_17partition_subalgoE6ExNS0_10empty_typeEbEEZZNS1_14partition_implILS5_6ELb0ES3_mN6thrust23THRUST_200600_302600_NS6detail15normal_iteratorINSA_10device_ptrIxEEEEPS6_SG_NS0_5tupleIJNSA_16discard_iteratorINSA_11use_defaultEEES6_EEENSH_IJSG_SG_EEES6_PlJNSB_9not_fun_tINSB_14equal_to_valueIxEEEEEEE10hipError_tPvRmT3_T4_T5_T6_T7_T9_mT8_P12ihipStream_tbDpT10_ENKUlT_T0_E_clISt17integral_constantIbLb0EES1B_EEDaS16_S17_EUlS16_E_NS1_11comp_targetILNS1_3genE4ELNS1_11target_archE910ELNS1_3gpuE8ELNS1_3repE0EEENS1_30default_config_static_selectorELNS0_4arch9wavefront6targetE0EEEvT1_,@function
_ZN7rocprim17ROCPRIM_400000_NS6detail17trampoline_kernelINS0_14default_configENS1_25partition_config_selectorILNS1_17partition_subalgoE6ExNS0_10empty_typeEbEEZZNS1_14partition_implILS5_6ELb0ES3_mN6thrust23THRUST_200600_302600_NS6detail15normal_iteratorINSA_10device_ptrIxEEEEPS6_SG_NS0_5tupleIJNSA_16discard_iteratorINSA_11use_defaultEEES6_EEENSH_IJSG_SG_EEES6_PlJNSB_9not_fun_tINSB_14equal_to_valueIxEEEEEEE10hipError_tPvRmT3_T4_T5_T6_T7_T9_mT8_P12ihipStream_tbDpT10_ENKUlT_T0_E_clISt17integral_constantIbLb0EES1B_EEDaS16_S17_EUlS16_E_NS1_11comp_targetILNS1_3genE4ELNS1_11target_archE910ELNS1_3gpuE8ELNS1_3repE0EEENS1_30default_config_static_selectorELNS0_4arch9wavefront6targetE0EEEvT1_: ; @_ZN7rocprim17ROCPRIM_400000_NS6detail17trampoline_kernelINS0_14default_configENS1_25partition_config_selectorILNS1_17partition_subalgoE6ExNS0_10empty_typeEbEEZZNS1_14partition_implILS5_6ELb0ES3_mN6thrust23THRUST_200600_302600_NS6detail15normal_iteratorINSA_10device_ptrIxEEEEPS6_SG_NS0_5tupleIJNSA_16discard_iteratorINSA_11use_defaultEEES6_EEENSH_IJSG_SG_EEES6_PlJNSB_9not_fun_tINSB_14equal_to_valueIxEEEEEEE10hipError_tPvRmT3_T4_T5_T6_T7_T9_mT8_P12ihipStream_tbDpT10_ENKUlT_T0_E_clISt17integral_constantIbLb0EES1B_EEDaS16_S17_EUlS16_E_NS1_11comp_targetILNS1_3genE4ELNS1_11target_archE910ELNS1_3gpuE8ELNS1_3repE0EEENS1_30default_config_static_selectorELNS0_4arch9wavefront6targetE0EEEvT1_
; %bb.0:
	.section	.rodata,"a",@progbits
	.p2align	6, 0x0
	.amdhsa_kernel _ZN7rocprim17ROCPRIM_400000_NS6detail17trampoline_kernelINS0_14default_configENS1_25partition_config_selectorILNS1_17partition_subalgoE6ExNS0_10empty_typeEbEEZZNS1_14partition_implILS5_6ELb0ES3_mN6thrust23THRUST_200600_302600_NS6detail15normal_iteratorINSA_10device_ptrIxEEEEPS6_SG_NS0_5tupleIJNSA_16discard_iteratorINSA_11use_defaultEEES6_EEENSH_IJSG_SG_EEES6_PlJNSB_9not_fun_tINSB_14equal_to_valueIxEEEEEEE10hipError_tPvRmT3_T4_T5_T6_T7_T9_mT8_P12ihipStream_tbDpT10_ENKUlT_T0_E_clISt17integral_constantIbLb0EES1B_EEDaS16_S17_EUlS16_E_NS1_11comp_targetILNS1_3genE4ELNS1_11target_archE910ELNS1_3gpuE8ELNS1_3repE0EEENS1_30default_config_static_selectorELNS0_4arch9wavefront6targetE0EEEvT1_
		.amdhsa_group_segment_fixed_size 0
		.amdhsa_private_segment_fixed_size 0
		.amdhsa_kernarg_size 128
		.amdhsa_user_sgpr_count 2
		.amdhsa_user_sgpr_dispatch_ptr 0
		.amdhsa_user_sgpr_queue_ptr 0
		.amdhsa_user_sgpr_kernarg_segment_ptr 1
		.amdhsa_user_sgpr_dispatch_id 0
		.amdhsa_user_sgpr_private_segment_size 0
		.amdhsa_wavefront_size32 1
		.amdhsa_uses_dynamic_stack 0
		.amdhsa_enable_private_segment 0
		.amdhsa_system_sgpr_workgroup_id_x 1
		.amdhsa_system_sgpr_workgroup_id_y 0
		.amdhsa_system_sgpr_workgroup_id_z 0
		.amdhsa_system_sgpr_workgroup_info 0
		.amdhsa_system_vgpr_workitem_id 0
		.amdhsa_next_free_vgpr 1
		.amdhsa_next_free_sgpr 1
		.amdhsa_reserve_vcc 0
		.amdhsa_float_round_mode_32 0
		.amdhsa_float_round_mode_16_64 0
		.amdhsa_float_denorm_mode_32 3
		.amdhsa_float_denorm_mode_16_64 3
		.amdhsa_fp16_overflow 0
		.amdhsa_workgroup_processor_mode 1
		.amdhsa_memory_ordered 1
		.amdhsa_forward_progress 1
		.amdhsa_inst_pref_size 0
		.amdhsa_round_robin_scheduling 0
		.amdhsa_exception_fp_ieee_invalid_op 0
		.amdhsa_exception_fp_denorm_src 0
		.amdhsa_exception_fp_ieee_div_zero 0
		.amdhsa_exception_fp_ieee_overflow 0
		.amdhsa_exception_fp_ieee_underflow 0
		.amdhsa_exception_fp_ieee_inexact 0
		.amdhsa_exception_int_div_zero 0
	.end_amdhsa_kernel
	.section	.text._ZN7rocprim17ROCPRIM_400000_NS6detail17trampoline_kernelINS0_14default_configENS1_25partition_config_selectorILNS1_17partition_subalgoE6ExNS0_10empty_typeEbEEZZNS1_14partition_implILS5_6ELb0ES3_mN6thrust23THRUST_200600_302600_NS6detail15normal_iteratorINSA_10device_ptrIxEEEEPS6_SG_NS0_5tupleIJNSA_16discard_iteratorINSA_11use_defaultEEES6_EEENSH_IJSG_SG_EEES6_PlJNSB_9not_fun_tINSB_14equal_to_valueIxEEEEEEE10hipError_tPvRmT3_T4_T5_T6_T7_T9_mT8_P12ihipStream_tbDpT10_ENKUlT_T0_E_clISt17integral_constantIbLb0EES1B_EEDaS16_S17_EUlS16_E_NS1_11comp_targetILNS1_3genE4ELNS1_11target_archE910ELNS1_3gpuE8ELNS1_3repE0EEENS1_30default_config_static_selectorELNS0_4arch9wavefront6targetE0EEEvT1_,"axG",@progbits,_ZN7rocprim17ROCPRIM_400000_NS6detail17trampoline_kernelINS0_14default_configENS1_25partition_config_selectorILNS1_17partition_subalgoE6ExNS0_10empty_typeEbEEZZNS1_14partition_implILS5_6ELb0ES3_mN6thrust23THRUST_200600_302600_NS6detail15normal_iteratorINSA_10device_ptrIxEEEEPS6_SG_NS0_5tupleIJNSA_16discard_iteratorINSA_11use_defaultEEES6_EEENSH_IJSG_SG_EEES6_PlJNSB_9not_fun_tINSB_14equal_to_valueIxEEEEEEE10hipError_tPvRmT3_T4_T5_T6_T7_T9_mT8_P12ihipStream_tbDpT10_ENKUlT_T0_E_clISt17integral_constantIbLb0EES1B_EEDaS16_S17_EUlS16_E_NS1_11comp_targetILNS1_3genE4ELNS1_11target_archE910ELNS1_3gpuE8ELNS1_3repE0EEENS1_30default_config_static_selectorELNS0_4arch9wavefront6targetE0EEEvT1_,comdat
.Lfunc_end1727:
	.size	_ZN7rocprim17ROCPRIM_400000_NS6detail17trampoline_kernelINS0_14default_configENS1_25partition_config_selectorILNS1_17partition_subalgoE6ExNS0_10empty_typeEbEEZZNS1_14partition_implILS5_6ELb0ES3_mN6thrust23THRUST_200600_302600_NS6detail15normal_iteratorINSA_10device_ptrIxEEEEPS6_SG_NS0_5tupleIJNSA_16discard_iteratorINSA_11use_defaultEEES6_EEENSH_IJSG_SG_EEES6_PlJNSB_9not_fun_tINSB_14equal_to_valueIxEEEEEEE10hipError_tPvRmT3_T4_T5_T6_T7_T9_mT8_P12ihipStream_tbDpT10_ENKUlT_T0_E_clISt17integral_constantIbLb0EES1B_EEDaS16_S17_EUlS16_E_NS1_11comp_targetILNS1_3genE4ELNS1_11target_archE910ELNS1_3gpuE8ELNS1_3repE0EEENS1_30default_config_static_selectorELNS0_4arch9wavefront6targetE0EEEvT1_, .Lfunc_end1727-_ZN7rocprim17ROCPRIM_400000_NS6detail17trampoline_kernelINS0_14default_configENS1_25partition_config_selectorILNS1_17partition_subalgoE6ExNS0_10empty_typeEbEEZZNS1_14partition_implILS5_6ELb0ES3_mN6thrust23THRUST_200600_302600_NS6detail15normal_iteratorINSA_10device_ptrIxEEEEPS6_SG_NS0_5tupleIJNSA_16discard_iteratorINSA_11use_defaultEEES6_EEENSH_IJSG_SG_EEES6_PlJNSB_9not_fun_tINSB_14equal_to_valueIxEEEEEEE10hipError_tPvRmT3_T4_T5_T6_T7_T9_mT8_P12ihipStream_tbDpT10_ENKUlT_T0_E_clISt17integral_constantIbLb0EES1B_EEDaS16_S17_EUlS16_E_NS1_11comp_targetILNS1_3genE4ELNS1_11target_archE910ELNS1_3gpuE8ELNS1_3repE0EEENS1_30default_config_static_selectorELNS0_4arch9wavefront6targetE0EEEvT1_
                                        ; -- End function
	.set _ZN7rocprim17ROCPRIM_400000_NS6detail17trampoline_kernelINS0_14default_configENS1_25partition_config_selectorILNS1_17partition_subalgoE6ExNS0_10empty_typeEbEEZZNS1_14partition_implILS5_6ELb0ES3_mN6thrust23THRUST_200600_302600_NS6detail15normal_iteratorINSA_10device_ptrIxEEEEPS6_SG_NS0_5tupleIJNSA_16discard_iteratorINSA_11use_defaultEEES6_EEENSH_IJSG_SG_EEES6_PlJNSB_9not_fun_tINSB_14equal_to_valueIxEEEEEEE10hipError_tPvRmT3_T4_T5_T6_T7_T9_mT8_P12ihipStream_tbDpT10_ENKUlT_T0_E_clISt17integral_constantIbLb0EES1B_EEDaS16_S17_EUlS16_E_NS1_11comp_targetILNS1_3genE4ELNS1_11target_archE910ELNS1_3gpuE8ELNS1_3repE0EEENS1_30default_config_static_selectorELNS0_4arch9wavefront6targetE0EEEvT1_.num_vgpr, 0
	.set _ZN7rocprim17ROCPRIM_400000_NS6detail17trampoline_kernelINS0_14default_configENS1_25partition_config_selectorILNS1_17partition_subalgoE6ExNS0_10empty_typeEbEEZZNS1_14partition_implILS5_6ELb0ES3_mN6thrust23THRUST_200600_302600_NS6detail15normal_iteratorINSA_10device_ptrIxEEEEPS6_SG_NS0_5tupleIJNSA_16discard_iteratorINSA_11use_defaultEEES6_EEENSH_IJSG_SG_EEES6_PlJNSB_9not_fun_tINSB_14equal_to_valueIxEEEEEEE10hipError_tPvRmT3_T4_T5_T6_T7_T9_mT8_P12ihipStream_tbDpT10_ENKUlT_T0_E_clISt17integral_constantIbLb0EES1B_EEDaS16_S17_EUlS16_E_NS1_11comp_targetILNS1_3genE4ELNS1_11target_archE910ELNS1_3gpuE8ELNS1_3repE0EEENS1_30default_config_static_selectorELNS0_4arch9wavefront6targetE0EEEvT1_.num_agpr, 0
	.set _ZN7rocprim17ROCPRIM_400000_NS6detail17trampoline_kernelINS0_14default_configENS1_25partition_config_selectorILNS1_17partition_subalgoE6ExNS0_10empty_typeEbEEZZNS1_14partition_implILS5_6ELb0ES3_mN6thrust23THRUST_200600_302600_NS6detail15normal_iteratorINSA_10device_ptrIxEEEEPS6_SG_NS0_5tupleIJNSA_16discard_iteratorINSA_11use_defaultEEES6_EEENSH_IJSG_SG_EEES6_PlJNSB_9not_fun_tINSB_14equal_to_valueIxEEEEEEE10hipError_tPvRmT3_T4_T5_T6_T7_T9_mT8_P12ihipStream_tbDpT10_ENKUlT_T0_E_clISt17integral_constantIbLb0EES1B_EEDaS16_S17_EUlS16_E_NS1_11comp_targetILNS1_3genE4ELNS1_11target_archE910ELNS1_3gpuE8ELNS1_3repE0EEENS1_30default_config_static_selectorELNS0_4arch9wavefront6targetE0EEEvT1_.numbered_sgpr, 0
	.set _ZN7rocprim17ROCPRIM_400000_NS6detail17trampoline_kernelINS0_14default_configENS1_25partition_config_selectorILNS1_17partition_subalgoE6ExNS0_10empty_typeEbEEZZNS1_14partition_implILS5_6ELb0ES3_mN6thrust23THRUST_200600_302600_NS6detail15normal_iteratorINSA_10device_ptrIxEEEEPS6_SG_NS0_5tupleIJNSA_16discard_iteratorINSA_11use_defaultEEES6_EEENSH_IJSG_SG_EEES6_PlJNSB_9not_fun_tINSB_14equal_to_valueIxEEEEEEE10hipError_tPvRmT3_T4_T5_T6_T7_T9_mT8_P12ihipStream_tbDpT10_ENKUlT_T0_E_clISt17integral_constantIbLb0EES1B_EEDaS16_S17_EUlS16_E_NS1_11comp_targetILNS1_3genE4ELNS1_11target_archE910ELNS1_3gpuE8ELNS1_3repE0EEENS1_30default_config_static_selectorELNS0_4arch9wavefront6targetE0EEEvT1_.num_named_barrier, 0
	.set _ZN7rocprim17ROCPRIM_400000_NS6detail17trampoline_kernelINS0_14default_configENS1_25partition_config_selectorILNS1_17partition_subalgoE6ExNS0_10empty_typeEbEEZZNS1_14partition_implILS5_6ELb0ES3_mN6thrust23THRUST_200600_302600_NS6detail15normal_iteratorINSA_10device_ptrIxEEEEPS6_SG_NS0_5tupleIJNSA_16discard_iteratorINSA_11use_defaultEEES6_EEENSH_IJSG_SG_EEES6_PlJNSB_9not_fun_tINSB_14equal_to_valueIxEEEEEEE10hipError_tPvRmT3_T4_T5_T6_T7_T9_mT8_P12ihipStream_tbDpT10_ENKUlT_T0_E_clISt17integral_constantIbLb0EES1B_EEDaS16_S17_EUlS16_E_NS1_11comp_targetILNS1_3genE4ELNS1_11target_archE910ELNS1_3gpuE8ELNS1_3repE0EEENS1_30default_config_static_selectorELNS0_4arch9wavefront6targetE0EEEvT1_.private_seg_size, 0
	.set _ZN7rocprim17ROCPRIM_400000_NS6detail17trampoline_kernelINS0_14default_configENS1_25partition_config_selectorILNS1_17partition_subalgoE6ExNS0_10empty_typeEbEEZZNS1_14partition_implILS5_6ELb0ES3_mN6thrust23THRUST_200600_302600_NS6detail15normal_iteratorINSA_10device_ptrIxEEEEPS6_SG_NS0_5tupleIJNSA_16discard_iteratorINSA_11use_defaultEEES6_EEENSH_IJSG_SG_EEES6_PlJNSB_9not_fun_tINSB_14equal_to_valueIxEEEEEEE10hipError_tPvRmT3_T4_T5_T6_T7_T9_mT8_P12ihipStream_tbDpT10_ENKUlT_T0_E_clISt17integral_constantIbLb0EES1B_EEDaS16_S17_EUlS16_E_NS1_11comp_targetILNS1_3genE4ELNS1_11target_archE910ELNS1_3gpuE8ELNS1_3repE0EEENS1_30default_config_static_selectorELNS0_4arch9wavefront6targetE0EEEvT1_.uses_vcc, 0
	.set _ZN7rocprim17ROCPRIM_400000_NS6detail17trampoline_kernelINS0_14default_configENS1_25partition_config_selectorILNS1_17partition_subalgoE6ExNS0_10empty_typeEbEEZZNS1_14partition_implILS5_6ELb0ES3_mN6thrust23THRUST_200600_302600_NS6detail15normal_iteratorINSA_10device_ptrIxEEEEPS6_SG_NS0_5tupleIJNSA_16discard_iteratorINSA_11use_defaultEEES6_EEENSH_IJSG_SG_EEES6_PlJNSB_9not_fun_tINSB_14equal_to_valueIxEEEEEEE10hipError_tPvRmT3_T4_T5_T6_T7_T9_mT8_P12ihipStream_tbDpT10_ENKUlT_T0_E_clISt17integral_constantIbLb0EES1B_EEDaS16_S17_EUlS16_E_NS1_11comp_targetILNS1_3genE4ELNS1_11target_archE910ELNS1_3gpuE8ELNS1_3repE0EEENS1_30default_config_static_selectorELNS0_4arch9wavefront6targetE0EEEvT1_.uses_flat_scratch, 0
	.set _ZN7rocprim17ROCPRIM_400000_NS6detail17trampoline_kernelINS0_14default_configENS1_25partition_config_selectorILNS1_17partition_subalgoE6ExNS0_10empty_typeEbEEZZNS1_14partition_implILS5_6ELb0ES3_mN6thrust23THRUST_200600_302600_NS6detail15normal_iteratorINSA_10device_ptrIxEEEEPS6_SG_NS0_5tupleIJNSA_16discard_iteratorINSA_11use_defaultEEES6_EEENSH_IJSG_SG_EEES6_PlJNSB_9not_fun_tINSB_14equal_to_valueIxEEEEEEE10hipError_tPvRmT3_T4_T5_T6_T7_T9_mT8_P12ihipStream_tbDpT10_ENKUlT_T0_E_clISt17integral_constantIbLb0EES1B_EEDaS16_S17_EUlS16_E_NS1_11comp_targetILNS1_3genE4ELNS1_11target_archE910ELNS1_3gpuE8ELNS1_3repE0EEENS1_30default_config_static_selectorELNS0_4arch9wavefront6targetE0EEEvT1_.has_dyn_sized_stack, 0
	.set _ZN7rocprim17ROCPRIM_400000_NS6detail17trampoline_kernelINS0_14default_configENS1_25partition_config_selectorILNS1_17partition_subalgoE6ExNS0_10empty_typeEbEEZZNS1_14partition_implILS5_6ELb0ES3_mN6thrust23THRUST_200600_302600_NS6detail15normal_iteratorINSA_10device_ptrIxEEEEPS6_SG_NS0_5tupleIJNSA_16discard_iteratorINSA_11use_defaultEEES6_EEENSH_IJSG_SG_EEES6_PlJNSB_9not_fun_tINSB_14equal_to_valueIxEEEEEEE10hipError_tPvRmT3_T4_T5_T6_T7_T9_mT8_P12ihipStream_tbDpT10_ENKUlT_T0_E_clISt17integral_constantIbLb0EES1B_EEDaS16_S17_EUlS16_E_NS1_11comp_targetILNS1_3genE4ELNS1_11target_archE910ELNS1_3gpuE8ELNS1_3repE0EEENS1_30default_config_static_selectorELNS0_4arch9wavefront6targetE0EEEvT1_.has_recursion, 0
	.set _ZN7rocprim17ROCPRIM_400000_NS6detail17trampoline_kernelINS0_14default_configENS1_25partition_config_selectorILNS1_17partition_subalgoE6ExNS0_10empty_typeEbEEZZNS1_14partition_implILS5_6ELb0ES3_mN6thrust23THRUST_200600_302600_NS6detail15normal_iteratorINSA_10device_ptrIxEEEEPS6_SG_NS0_5tupleIJNSA_16discard_iteratorINSA_11use_defaultEEES6_EEENSH_IJSG_SG_EEES6_PlJNSB_9not_fun_tINSB_14equal_to_valueIxEEEEEEE10hipError_tPvRmT3_T4_T5_T6_T7_T9_mT8_P12ihipStream_tbDpT10_ENKUlT_T0_E_clISt17integral_constantIbLb0EES1B_EEDaS16_S17_EUlS16_E_NS1_11comp_targetILNS1_3genE4ELNS1_11target_archE910ELNS1_3gpuE8ELNS1_3repE0EEENS1_30default_config_static_selectorELNS0_4arch9wavefront6targetE0EEEvT1_.has_indirect_call, 0
	.section	.AMDGPU.csdata,"",@progbits
; Kernel info:
; codeLenInByte = 0
; TotalNumSgprs: 0
; NumVgprs: 0
; ScratchSize: 0
; MemoryBound: 0
; FloatMode: 240
; IeeeMode: 1
; LDSByteSize: 0 bytes/workgroup (compile time only)
; SGPRBlocks: 0
; VGPRBlocks: 0
; NumSGPRsForWavesPerEU: 1
; NumVGPRsForWavesPerEU: 1
; Occupancy: 16
; WaveLimiterHint : 0
; COMPUTE_PGM_RSRC2:SCRATCH_EN: 0
; COMPUTE_PGM_RSRC2:USER_SGPR: 2
; COMPUTE_PGM_RSRC2:TRAP_HANDLER: 0
; COMPUTE_PGM_RSRC2:TGID_X_EN: 1
; COMPUTE_PGM_RSRC2:TGID_Y_EN: 0
; COMPUTE_PGM_RSRC2:TGID_Z_EN: 0
; COMPUTE_PGM_RSRC2:TIDIG_COMP_CNT: 0
	.section	.text._ZN7rocprim17ROCPRIM_400000_NS6detail17trampoline_kernelINS0_14default_configENS1_25partition_config_selectorILNS1_17partition_subalgoE6ExNS0_10empty_typeEbEEZZNS1_14partition_implILS5_6ELb0ES3_mN6thrust23THRUST_200600_302600_NS6detail15normal_iteratorINSA_10device_ptrIxEEEEPS6_SG_NS0_5tupleIJNSA_16discard_iteratorINSA_11use_defaultEEES6_EEENSH_IJSG_SG_EEES6_PlJNSB_9not_fun_tINSB_14equal_to_valueIxEEEEEEE10hipError_tPvRmT3_T4_T5_T6_T7_T9_mT8_P12ihipStream_tbDpT10_ENKUlT_T0_E_clISt17integral_constantIbLb0EES1B_EEDaS16_S17_EUlS16_E_NS1_11comp_targetILNS1_3genE3ELNS1_11target_archE908ELNS1_3gpuE7ELNS1_3repE0EEENS1_30default_config_static_selectorELNS0_4arch9wavefront6targetE0EEEvT1_,"axG",@progbits,_ZN7rocprim17ROCPRIM_400000_NS6detail17trampoline_kernelINS0_14default_configENS1_25partition_config_selectorILNS1_17partition_subalgoE6ExNS0_10empty_typeEbEEZZNS1_14partition_implILS5_6ELb0ES3_mN6thrust23THRUST_200600_302600_NS6detail15normal_iteratorINSA_10device_ptrIxEEEEPS6_SG_NS0_5tupleIJNSA_16discard_iteratorINSA_11use_defaultEEES6_EEENSH_IJSG_SG_EEES6_PlJNSB_9not_fun_tINSB_14equal_to_valueIxEEEEEEE10hipError_tPvRmT3_T4_T5_T6_T7_T9_mT8_P12ihipStream_tbDpT10_ENKUlT_T0_E_clISt17integral_constantIbLb0EES1B_EEDaS16_S17_EUlS16_E_NS1_11comp_targetILNS1_3genE3ELNS1_11target_archE908ELNS1_3gpuE7ELNS1_3repE0EEENS1_30default_config_static_selectorELNS0_4arch9wavefront6targetE0EEEvT1_,comdat
	.protected	_ZN7rocprim17ROCPRIM_400000_NS6detail17trampoline_kernelINS0_14default_configENS1_25partition_config_selectorILNS1_17partition_subalgoE6ExNS0_10empty_typeEbEEZZNS1_14partition_implILS5_6ELb0ES3_mN6thrust23THRUST_200600_302600_NS6detail15normal_iteratorINSA_10device_ptrIxEEEEPS6_SG_NS0_5tupleIJNSA_16discard_iteratorINSA_11use_defaultEEES6_EEENSH_IJSG_SG_EEES6_PlJNSB_9not_fun_tINSB_14equal_to_valueIxEEEEEEE10hipError_tPvRmT3_T4_T5_T6_T7_T9_mT8_P12ihipStream_tbDpT10_ENKUlT_T0_E_clISt17integral_constantIbLb0EES1B_EEDaS16_S17_EUlS16_E_NS1_11comp_targetILNS1_3genE3ELNS1_11target_archE908ELNS1_3gpuE7ELNS1_3repE0EEENS1_30default_config_static_selectorELNS0_4arch9wavefront6targetE0EEEvT1_ ; -- Begin function _ZN7rocprim17ROCPRIM_400000_NS6detail17trampoline_kernelINS0_14default_configENS1_25partition_config_selectorILNS1_17partition_subalgoE6ExNS0_10empty_typeEbEEZZNS1_14partition_implILS5_6ELb0ES3_mN6thrust23THRUST_200600_302600_NS6detail15normal_iteratorINSA_10device_ptrIxEEEEPS6_SG_NS0_5tupleIJNSA_16discard_iteratorINSA_11use_defaultEEES6_EEENSH_IJSG_SG_EEES6_PlJNSB_9not_fun_tINSB_14equal_to_valueIxEEEEEEE10hipError_tPvRmT3_T4_T5_T6_T7_T9_mT8_P12ihipStream_tbDpT10_ENKUlT_T0_E_clISt17integral_constantIbLb0EES1B_EEDaS16_S17_EUlS16_E_NS1_11comp_targetILNS1_3genE3ELNS1_11target_archE908ELNS1_3gpuE7ELNS1_3repE0EEENS1_30default_config_static_selectorELNS0_4arch9wavefront6targetE0EEEvT1_
	.globl	_ZN7rocprim17ROCPRIM_400000_NS6detail17trampoline_kernelINS0_14default_configENS1_25partition_config_selectorILNS1_17partition_subalgoE6ExNS0_10empty_typeEbEEZZNS1_14partition_implILS5_6ELb0ES3_mN6thrust23THRUST_200600_302600_NS6detail15normal_iteratorINSA_10device_ptrIxEEEEPS6_SG_NS0_5tupleIJNSA_16discard_iteratorINSA_11use_defaultEEES6_EEENSH_IJSG_SG_EEES6_PlJNSB_9not_fun_tINSB_14equal_to_valueIxEEEEEEE10hipError_tPvRmT3_T4_T5_T6_T7_T9_mT8_P12ihipStream_tbDpT10_ENKUlT_T0_E_clISt17integral_constantIbLb0EES1B_EEDaS16_S17_EUlS16_E_NS1_11comp_targetILNS1_3genE3ELNS1_11target_archE908ELNS1_3gpuE7ELNS1_3repE0EEENS1_30default_config_static_selectorELNS0_4arch9wavefront6targetE0EEEvT1_
	.p2align	8
	.type	_ZN7rocprim17ROCPRIM_400000_NS6detail17trampoline_kernelINS0_14default_configENS1_25partition_config_selectorILNS1_17partition_subalgoE6ExNS0_10empty_typeEbEEZZNS1_14partition_implILS5_6ELb0ES3_mN6thrust23THRUST_200600_302600_NS6detail15normal_iteratorINSA_10device_ptrIxEEEEPS6_SG_NS0_5tupleIJNSA_16discard_iteratorINSA_11use_defaultEEES6_EEENSH_IJSG_SG_EEES6_PlJNSB_9not_fun_tINSB_14equal_to_valueIxEEEEEEE10hipError_tPvRmT3_T4_T5_T6_T7_T9_mT8_P12ihipStream_tbDpT10_ENKUlT_T0_E_clISt17integral_constantIbLb0EES1B_EEDaS16_S17_EUlS16_E_NS1_11comp_targetILNS1_3genE3ELNS1_11target_archE908ELNS1_3gpuE7ELNS1_3repE0EEENS1_30default_config_static_selectorELNS0_4arch9wavefront6targetE0EEEvT1_,@function
_ZN7rocprim17ROCPRIM_400000_NS6detail17trampoline_kernelINS0_14default_configENS1_25partition_config_selectorILNS1_17partition_subalgoE6ExNS0_10empty_typeEbEEZZNS1_14partition_implILS5_6ELb0ES3_mN6thrust23THRUST_200600_302600_NS6detail15normal_iteratorINSA_10device_ptrIxEEEEPS6_SG_NS0_5tupleIJNSA_16discard_iteratorINSA_11use_defaultEEES6_EEENSH_IJSG_SG_EEES6_PlJNSB_9not_fun_tINSB_14equal_to_valueIxEEEEEEE10hipError_tPvRmT3_T4_T5_T6_T7_T9_mT8_P12ihipStream_tbDpT10_ENKUlT_T0_E_clISt17integral_constantIbLb0EES1B_EEDaS16_S17_EUlS16_E_NS1_11comp_targetILNS1_3genE3ELNS1_11target_archE908ELNS1_3gpuE7ELNS1_3repE0EEENS1_30default_config_static_selectorELNS0_4arch9wavefront6targetE0EEEvT1_: ; @_ZN7rocprim17ROCPRIM_400000_NS6detail17trampoline_kernelINS0_14default_configENS1_25partition_config_selectorILNS1_17partition_subalgoE6ExNS0_10empty_typeEbEEZZNS1_14partition_implILS5_6ELb0ES3_mN6thrust23THRUST_200600_302600_NS6detail15normal_iteratorINSA_10device_ptrIxEEEEPS6_SG_NS0_5tupleIJNSA_16discard_iteratorINSA_11use_defaultEEES6_EEENSH_IJSG_SG_EEES6_PlJNSB_9not_fun_tINSB_14equal_to_valueIxEEEEEEE10hipError_tPvRmT3_T4_T5_T6_T7_T9_mT8_P12ihipStream_tbDpT10_ENKUlT_T0_E_clISt17integral_constantIbLb0EES1B_EEDaS16_S17_EUlS16_E_NS1_11comp_targetILNS1_3genE3ELNS1_11target_archE908ELNS1_3gpuE7ELNS1_3repE0EEENS1_30default_config_static_selectorELNS0_4arch9wavefront6targetE0EEEvT1_
; %bb.0:
	.section	.rodata,"a",@progbits
	.p2align	6, 0x0
	.amdhsa_kernel _ZN7rocprim17ROCPRIM_400000_NS6detail17trampoline_kernelINS0_14default_configENS1_25partition_config_selectorILNS1_17partition_subalgoE6ExNS0_10empty_typeEbEEZZNS1_14partition_implILS5_6ELb0ES3_mN6thrust23THRUST_200600_302600_NS6detail15normal_iteratorINSA_10device_ptrIxEEEEPS6_SG_NS0_5tupleIJNSA_16discard_iteratorINSA_11use_defaultEEES6_EEENSH_IJSG_SG_EEES6_PlJNSB_9not_fun_tINSB_14equal_to_valueIxEEEEEEE10hipError_tPvRmT3_T4_T5_T6_T7_T9_mT8_P12ihipStream_tbDpT10_ENKUlT_T0_E_clISt17integral_constantIbLb0EES1B_EEDaS16_S17_EUlS16_E_NS1_11comp_targetILNS1_3genE3ELNS1_11target_archE908ELNS1_3gpuE7ELNS1_3repE0EEENS1_30default_config_static_selectorELNS0_4arch9wavefront6targetE0EEEvT1_
		.amdhsa_group_segment_fixed_size 0
		.amdhsa_private_segment_fixed_size 0
		.amdhsa_kernarg_size 128
		.amdhsa_user_sgpr_count 2
		.amdhsa_user_sgpr_dispatch_ptr 0
		.amdhsa_user_sgpr_queue_ptr 0
		.amdhsa_user_sgpr_kernarg_segment_ptr 1
		.amdhsa_user_sgpr_dispatch_id 0
		.amdhsa_user_sgpr_private_segment_size 0
		.amdhsa_wavefront_size32 1
		.amdhsa_uses_dynamic_stack 0
		.amdhsa_enable_private_segment 0
		.amdhsa_system_sgpr_workgroup_id_x 1
		.amdhsa_system_sgpr_workgroup_id_y 0
		.amdhsa_system_sgpr_workgroup_id_z 0
		.amdhsa_system_sgpr_workgroup_info 0
		.amdhsa_system_vgpr_workitem_id 0
		.amdhsa_next_free_vgpr 1
		.amdhsa_next_free_sgpr 1
		.amdhsa_reserve_vcc 0
		.amdhsa_float_round_mode_32 0
		.amdhsa_float_round_mode_16_64 0
		.amdhsa_float_denorm_mode_32 3
		.amdhsa_float_denorm_mode_16_64 3
		.amdhsa_fp16_overflow 0
		.amdhsa_workgroup_processor_mode 1
		.amdhsa_memory_ordered 1
		.amdhsa_forward_progress 1
		.amdhsa_inst_pref_size 0
		.amdhsa_round_robin_scheduling 0
		.amdhsa_exception_fp_ieee_invalid_op 0
		.amdhsa_exception_fp_denorm_src 0
		.amdhsa_exception_fp_ieee_div_zero 0
		.amdhsa_exception_fp_ieee_overflow 0
		.amdhsa_exception_fp_ieee_underflow 0
		.amdhsa_exception_fp_ieee_inexact 0
		.amdhsa_exception_int_div_zero 0
	.end_amdhsa_kernel
	.section	.text._ZN7rocprim17ROCPRIM_400000_NS6detail17trampoline_kernelINS0_14default_configENS1_25partition_config_selectorILNS1_17partition_subalgoE6ExNS0_10empty_typeEbEEZZNS1_14partition_implILS5_6ELb0ES3_mN6thrust23THRUST_200600_302600_NS6detail15normal_iteratorINSA_10device_ptrIxEEEEPS6_SG_NS0_5tupleIJNSA_16discard_iteratorINSA_11use_defaultEEES6_EEENSH_IJSG_SG_EEES6_PlJNSB_9not_fun_tINSB_14equal_to_valueIxEEEEEEE10hipError_tPvRmT3_T4_T5_T6_T7_T9_mT8_P12ihipStream_tbDpT10_ENKUlT_T0_E_clISt17integral_constantIbLb0EES1B_EEDaS16_S17_EUlS16_E_NS1_11comp_targetILNS1_3genE3ELNS1_11target_archE908ELNS1_3gpuE7ELNS1_3repE0EEENS1_30default_config_static_selectorELNS0_4arch9wavefront6targetE0EEEvT1_,"axG",@progbits,_ZN7rocprim17ROCPRIM_400000_NS6detail17trampoline_kernelINS0_14default_configENS1_25partition_config_selectorILNS1_17partition_subalgoE6ExNS0_10empty_typeEbEEZZNS1_14partition_implILS5_6ELb0ES3_mN6thrust23THRUST_200600_302600_NS6detail15normal_iteratorINSA_10device_ptrIxEEEEPS6_SG_NS0_5tupleIJNSA_16discard_iteratorINSA_11use_defaultEEES6_EEENSH_IJSG_SG_EEES6_PlJNSB_9not_fun_tINSB_14equal_to_valueIxEEEEEEE10hipError_tPvRmT3_T4_T5_T6_T7_T9_mT8_P12ihipStream_tbDpT10_ENKUlT_T0_E_clISt17integral_constantIbLb0EES1B_EEDaS16_S17_EUlS16_E_NS1_11comp_targetILNS1_3genE3ELNS1_11target_archE908ELNS1_3gpuE7ELNS1_3repE0EEENS1_30default_config_static_selectorELNS0_4arch9wavefront6targetE0EEEvT1_,comdat
.Lfunc_end1728:
	.size	_ZN7rocprim17ROCPRIM_400000_NS6detail17trampoline_kernelINS0_14default_configENS1_25partition_config_selectorILNS1_17partition_subalgoE6ExNS0_10empty_typeEbEEZZNS1_14partition_implILS5_6ELb0ES3_mN6thrust23THRUST_200600_302600_NS6detail15normal_iteratorINSA_10device_ptrIxEEEEPS6_SG_NS0_5tupleIJNSA_16discard_iteratorINSA_11use_defaultEEES6_EEENSH_IJSG_SG_EEES6_PlJNSB_9not_fun_tINSB_14equal_to_valueIxEEEEEEE10hipError_tPvRmT3_T4_T5_T6_T7_T9_mT8_P12ihipStream_tbDpT10_ENKUlT_T0_E_clISt17integral_constantIbLb0EES1B_EEDaS16_S17_EUlS16_E_NS1_11comp_targetILNS1_3genE3ELNS1_11target_archE908ELNS1_3gpuE7ELNS1_3repE0EEENS1_30default_config_static_selectorELNS0_4arch9wavefront6targetE0EEEvT1_, .Lfunc_end1728-_ZN7rocprim17ROCPRIM_400000_NS6detail17trampoline_kernelINS0_14default_configENS1_25partition_config_selectorILNS1_17partition_subalgoE6ExNS0_10empty_typeEbEEZZNS1_14partition_implILS5_6ELb0ES3_mN6thrust23THRUST_200600_302600_NS6detail15normal_iteratorINSA_10device_ptrIxEEEEPS6_SG_NS0_5tupleIJNSA_16discard_iteratorINSA_11use_defaultEEES6_EEENSH_IJSG_SG_EEES6_PlJNSB_9not_fun_tINSB_14equal_to_valueIxEEEEEEE10hipError_tPvRmT3_T4_T5_T6_T7_T9_mT8_P12ihipStream_tbDpT10_ENKUlT_T0_E_clISt17integral_constantIbLb0EES1B_EEDaS16_S17_EUlS16_E_NS1_11comp_targetILNS1_3genE3ELNS1_11target_archE908ELNS1_3gpuE7ELNS1_3repE0EEENS1_30default_config_static_selectorELNS0_4arch9wavefront6targetE0EEEvT1_
                                        ; -- End function
	.set _ZN7rocprim17ROCPRIM_400000_NS6detail17trampoline_kernelINS0_14default_configENS1_25partition_config_selectorILNS1_17partition_subalgoE6ExNS0_10empty_typeEbEEZZNS1_14partition_implILS5_6ELb0ES3_mN6thrust23THRUST_200600_302600_NS6detail15normal_iteratorINSA_10device_ptrIxEEEEPS6_SG_NS0_5tupleIJNSA_16discard_iteratorINSA_11use_defaultEEES6_EEENSH_IJSG_SG_EEES6_PlJNSB_9not_fun_tINSB_14equal_to_valueIxEEEEEEE10hipError_tPvRmT3_T4_T5_T6_T7_T9_mT8_P12ihipStream_tbDpT10_ENKUlT_T0_E_clISt17integral_constantIbLb0EES1B_EEDaS16_S17_EUlS16_E_NS1_11comp_targetILNS1_3genE3ELNS1_11target_archE908ELNS1_3gpuE7ELNS1_3repE0EEENS1_30default_config_static_selectorELNS0_4arch9wavefront6targetE0EEEvT1_.num_vgpr, 0
	.set _ZN7rocprim17ROCPRIM_400000_NS6detail17trampoline_kernelINS0_14default_configENS1_25partition_config_selectorILNS1_17partition_subalgoE6ExNS0_10empty_typeEbEEZZNS1_14partition_implILS5_6ELb0ES3_mN6thrust23THRUST_200600_302600_NS6detail15normal_iteratorINSA_10device_ptrIxEEEEPS6_SG_NS0_5tupleIJNSA_16discard_iteratorINSA_11use_defaultEEES6_EEENSH_IJSG_SG_EEES6_PlJNSB_9not_fun_tINSB_14equal_to_valueIxEEEEEEE10hipError_tPvRmT3_T4_T5_T6_T7_T9_mT8_P12ihipStream_tbDpT10_ENKUlT_T0_E_clISt17integral_constantIbLb0EES1B_EEDaS16_S17_EUlS16_E_NS1_11comp_targetILNS1_3genE3ELNS1_11target_archE908ELNS1_3gpuE7ELNS1_3repE0EEENS1_30default_config_static_selectorELNS0_4arch9wavefront6targetE0EEEvT1_.num_agpr, 0
	.set _ZN7rocprim17ROCPRIM_400000_NS6detail17trampoline_kernelINS0_14default_configENS1_25partition_config_selectorILNS1_17partition_subalgoE6ExNS0_10empty_typeEbEEZZNS1_14partition_implILS5_6ELb0ES3_mN6thrust23THRUST_200600_302600_NS6detail15normal_iteratorINSA_10device_ptrIxEEEEPS6_SG_NS0_5tupleIJNSA_16discard_iteratorINSA_11use_defaultEEES6_EEENSH_IJSG_SG_EEES6_PlJNSB_9not_fun_tINSB_14equal_to_valueIxEEEEEEE10hipError_tPvRmT3_T4_T5_T6_T7_T9_mT8_P12ihipStream_tbDpT10_ENKUlT_T0_E_clISt17integral_constantIbLb0EES1B_EEDaS16_S17_EUlS16_E_NS1_11comp_targetILNS1_3genE3ELNS1_11target_archE908ELNS1_3gpuE7ELNS1_3repE0EEENS1_30default_config_static_selectorELNS0_4arch9wavefront6targetE0EEEvT1_.numbered_sgpr, 0
	.set _ZN7rocprim17ROCPRIM_400000_NS6detail17trampoline_kernelINS0_14default_configENS1_25partition_config_selectorILNS1_17partition_subalgoE6ExNS0_10empty_typeEbEEZZNS1_14partition_implILS5_6ELb0ES3_mN6thrust23THRUST_200600_302600_NS6detail15normal_iteratorINSA_10device_ptrIxEEEEPS6_SG_NS0_5tupleIJNSA_16discard_iteratorINSA_11use_defaultEEES6_EEENSH_IJSG_SG_EEES6_PlJNSB_9not_fun_tINSB_14equal_to_valueIxEEEEEEE10hipError_tPvRmT3_T4_T5_T6_T7_T9_mT8_P12ihipStream_tbDpT10_ENKUlT_T0_E_clISt17integral_constantIbLb0EES1B_EEDaS16_S17_EUlS16_E_NS1_11comp_targetILNS1_3genE3ELNS1_11target_archE908ELNS1_3gpuE7ELNS1_3repE0EEENS1_30default_config_static_selectorELNS0_4arch9wavefront6targetE0EEEvT1_.num_named_barrier, 0
	.set _ZN7rocprim17ROCPRIM_400000_NS6detail17trampoline_kernelINS0_14default_configENS1_25partition_config_selectorILNS1_17partition_subalgoE6ExNS0_10empty_typeEbEEZZNS1_14partition_implILS5_6ELb0ES3_mN6thrust23THRUST_200600_302600_NS6detail15normal_iteratorINSA_10device_ptrIxEEEEPS6_SG_NS0_5tupleIJNSA_16discard_iteratorINSA_11use_defaultEEES6_EEENSH_IJSG_SG_EEES6_PlJNSB_9not_fun_tINSB_14equal_to_valueIxEEEEEEE10hipError_tPvRmT3_T4_T5_T6_T7_T9_mT8_P12ihipStream_tbDpT10_ENKUlT_T0_E_clISt17integral_constantIbLb0EES1B_EEDaS16_S17_EUlS16_E_NS1_11comp_targetILNS1_3genE3ELNS1_11target_archE908ELNS1_3gpuE7ELNS1_3repE0EEENS1_30default_config_static_selectorELNS0_4arch9wavefront6targetE0EEEvT1_.private_seg_size, 0
	.set _ZN7rocprim17ROCPRIM_400000_NS6detail17trampoline_kernelINS0_14default_configENS1_25partition_config_selectorILNS1_17partition_subalgoE6ExNS0_10empty_typeEbEEZZNS1_14partition_implILS5_6ELb0ES3_mN6thrust23THRUST_200600_302600_NS6detail15normal_iteratorINSA_10device_ptrIxEEEEPS6_SG_NS0_5tupleIJNSA_16discard_iteratorINSA_11use_defaultEEES6_EEENSH_IJSG_SG_EEES6_PlJNSB_9not_fun_tINSB_14equal_to_valueIxEEEEEEE10hipError_tPvRmT3_T4_T5_T6_T7_T9_mT8_P12ihipStream_tbDpT10_ENKUlT_T0_E_clISt17integral_constantIbLb0EES1B_EEDaS16_S17_EUlS16_E_NS1_11comp_targetILNS1_3genE3ELNS1_11target_archE908ELNS1_3gpuE7ELNS1_3repE0EEENS1_30default_config_static_selectorELNS0_4arch9wavefront6targetE0EEEvT1_.uses_vcc, 0
	.set _ZN7rocprim17ROCPRIM_400000_NS6detail17trampoline_kernelINS0_14default_configENS1_25partition_config_selectorILNS1_17partition_subalgoE6ExNS0_10empty_typeEbEEZZNS1_14partition_implILS5_6ELb0ES3_mN6thrust23THRUST_200600_302600_NS6detail15normal_iteratorINSA_10device_ptrIxEEEEPS6_SG_NS0_5tupleIJNSA_16discard_iteratorINSA_11use_defaultEEES6_EEENSH_IJSG_SG_EEES6_PlJNSB_9not_fun_tINSB_14equal_to_valueIxEEEEEEE10hipError_tPvRmT3_T4_T5_T6_T7_T9_mT8_P12ihipStream_tbDpT10_ENKUlT_T0_E_clISt17integral_constantIbLb0EES1B_EEDaS16_S17_EUlS16_E_NS1_11comp_targetILNS1_3genE3ELNS1_11target_archE908ELNS1_3gpuE7ELNS1_3repE0EEENS1_30default_config_static_selectorELNS0_4arch9wavefront6targetE0EEEvT1_.uses_flat_scratch, 0
	.set _ZN7rocprim17ROCPRIM_400000_NS6detail17trampoline_kernelINS0_14default_configENS1_25partition_config_selectorILNS1_17partition_subalgoE6ExNS0_10empty_typeEbEEZZNS1_14partition_implILS5_6ELb0ES3_mN6thrust23THRUST_200600_302600_NS6detail15normal_iteratorINSA_10device_ptrIxEEEEPS6_SG_NS0_5tupleIJNSA_16discard_iteratorINSA_11use_defaultEEES6_EEENSH_IJSG_SG_EEES6_PlJNSB_9not_fun_tINSB_14equal_to_valueIxEEEEEEE10hipError_tPvRmT3_T4_T5_T6_T7_T9_mT8_P12ihipStream_tbDpT10_ENKUlT_T0_E_clISt17integral_constantIbLb0EES1B_EEDaS16_S17_EUlS16_E_NS1_11comp_targetILNS1_3genE3ELNS1_11target_archE908ELNS1_3gpuE7ELNS1_3repE0EEENS1_30default_config_static_selectorELNS0_4arch9wavefront6targetE0EEEvT1_.has_dyn_sized_stack, 0
	.set _ZN7rocprim17ROCPRIM_400000_NS6detail17trampoline_kernelINS0_14default_configENS1_25partition_config_selectorILNS1_17partition_subalgoE6ExNS0_10empty_typeEbEEZZNS1_14partition_implILS5_6ELb0ES3_mN6thrust23THRUST_200600_302600_NS6detail15normal_iteratorINSA_10device_ptrIxEEEEPS6_SG_NS0_5tupleIJNSA_16discard_iteratorINSA_11use_defaultEEES6_EEENSH_IJSG_SG_EEES6_PlJNSB_9not_fun_tINSB_14equal_to_valueIxEEEEEEE10hipError_tPvRmT3_T4_T5_T6_T7_T9_mT8_P12ihipStream_tbDpT10_ENKUlT_T0_E_clISt17integral_constantIbLb0EES1B_EEDaS16_S17_EUlS16_E_NS1_11comp_targetILNS1_3genE3ELNS1_11target_archE908ELNS1_3gpuE7ELNS1_3repE0EEENS1_30default_config_static_selectorELNS0_4arch9wavefront6targetE0EEEvT1_.has_recursion, 0
	.set _ZN7rocprim17ROCPRIM_400000_NS6detail17trampoline_kernelINS0_14default_configENS1_25partition_config_selectorILNS1_17partition_subalgoE6ExNS0_10empty_typeEbEEZZNS1_14partition_implILS5_6ELb0ES3_mN6thrust23THRUST_200600_302600_NS6detail15normal_iteratorINSA_10device_ptrIxEEEEPS6_SG_NS0_5tupleIJNSA_16discard_iteratorINSA_11use_defaultEEES6_EEENSH_IJSG_SG_EEES6_PlJNSB_9not_fun_tINSB_14equal_to_valueIxEEEEEEE10hipError_tPvRmT3_T4_T5_T6_T7_T9_mT8_P12ihipStream_tbDpT10_ENKUlT_T0_E_clISt17integral_constantIbLb0EES1B_EEDaS16_S17_EUlS16_E_NS1_11comp_targetILNS1_3genE3ELNS1_11target_archE908ELNS1_3gpuE7ELNS1_3repE0EEENS1_30default_config_static_selectorELNS0_4arch9wavefront6targetE0EEEvT1_.has_indirect_call, 0
	.section	.AMDGPU.csdata,"",@progbits
; Kernel info:
; codeLenInByte = 0
; TotalNumSgprs: 0
; NumVgprs: 0
; ScratchSize: 0
; MemoryBound: 0
; FloatMode: 240
; IeeeMode: 1
; LDSByteSize: 0 bytes/workgroup (compile time only)
; SGPRBlocks: 0
; VGPRBlocks: 0
; NumSGPRsForWavesPerEU: 1
; NumVGPRsForWavesPerEU: 1
; Occupancy: 16
; WaveLimiterHint : 0
; COMPUTE_PGM_RSRC2:SCRATCH_EN: 0
; COMPUTE_PGM_RSRC2:USER_SGPR: 2
; COMPUTE_PGM_RSRC2:TRAP_HANDLER: 0
; COMPUTE_PGM_RSRC2:TGID_X_EN: 1
; COMPUTE_PGM_RSRC2:TGID_Y_EN: 0
; COMPUTE_PGM_RSRC2:TGID_Z_EN: 0
; COMPUTE_PGM_RSRC2:TIDIG_COMP_CNT: 0
	.section	.text._ZN7rocprim17ROCPRIM_400000_NS6detail17trampoline_kernelINS0_14default_configENS1_25partition_config_selectorILNS1_17partition_subalgoE6ExNS0_10empty_typeEbEEZZNS1_14partition_implILS5_6ELb0ES3_mN6thrust23THRUST_200600_302600_NS6detail15normal_iteratorINSA_10device_ptrIxEEEEPS6_SG_NS0_5tupleIJNSA_16discard_iteratorINSA_11use_defaultEEES6_EEENSH_IJSG_SG_EEES6_PlJNSB_9not_fun_tINSB_14equal_to_valueIxEEEEEEE10hipError_tPvRmT3_T4_T5_T6_T7_T9_mT8_P12ihipStream_tbDpT10_ENKUlT_T0_E_clISt17integral_constantIbLb0EES1B_EEDaS16_S17_EUlS16_E_NS1_11comp_targetILNS1_3genE2ELNS1_11target_archE906ELNS1_3gpuE6ELNS1_3repE0EEENS1_30default_config_static_selectorELNS0_4arch9wavefront6targetE0EEEvT1_,"axG",@progbits,_ZN7rocprim17ROCPRIM_400000_NS6detail17trampoline_kernelINS0_14default_configENS1_25partition_config_selectorILNS1_17partition_subalgoE6ExNS0_10empty_typeEbEEZZNS1_14partition_implILS5_6ELb0ES3_mN6thrust23THRUST_200600_302600_NS6detail15normal_iteratorINSA_10device_ptrIxEEEEPS6_SG_NS0_5tupleIJNSA_16discard_iteratorINSA_11use_defaultEEES6_EEENSH_IJSG_SG_EEES6_PlJNSB_9not_fun_tINSB_14equal_to_valueIxEEEEEEE10hipError_tPvRmT3_T4_T5_T6_T7_T9_mT8_P12ihipStream_tbDpT10_ENKUlT_T0_E_clISt17integral_constantIbLb0EES1B_EEDaS16_S17_EUlS16_E_NS1_11comp_targetILNS1_3genE2ELNS1_11target_archE906ELNS1_3gpuE6ELNS1_3repE0EEENS1_30default_config_static_selectorELNS0_4arch9wavefront6targetE0EEEvT1_,comdat
	.protected	_ZN7rocprim17ROCPRIM_400000_NS6detail17trampoline_kernelINS0_14default_configENS1_25partition_config_selectorILNS1_17partition_subalgoE6ExNS0_10empty_typeEbEEZZNS1_14partition_implILS5_6ELb0ES3_mN6thrust23THRUST_200600_302600_NS6detail15normal_iteratorINSA_10device_ptrIxEEEEPS6_SG_NS0_5tupleIJNSA_16discard_iteratorINSA_11use_defaultEEES6_EEENSH_IJSG_SG_EEES6_PlJNSB_9not_fun_tINSB_14equal_to_valueIxEEEEEEE10hipError_tPvRmT3_T4_T5_T6_T7_T9_mT8_P12ihipStream_tbDpT10_ENKUlT_T0_E_clISt17integral_constantIbLb0EES1B_EEDaS16_S17_EUlS16_E_NS1_11comp_targetILNS1_3genE2ELNS1_11target_archE906ELNS1_3gpuE6ELNS1_3repE0EEENS1_30default_config_static_selectorELNS0_4arch9wavefront6targetE0EEEvT1_ ; -- Begin function _ZN7rocprim17ROCPRIM_400000_NS6detail17trampoline_kernelINS0_14default_configENS1_25partition_config_selectorILNS1_17partition_subalgoE6ExNS0_10empty_typeEbEEZZNS1_14partition_implILS5_6ELb0ES3_mN6thrust23THRUST_200600_302600_NS6detail15normal_iteratorINSA_10device_ptrIxEEEEPS6_SG_NS0_5tupleIJNSA_16discard_iteratorINSA_11use_defaultEEES6_EEENSH_IJSG_SG_EEES6_PlJNSB_9not_fun_tINSB_14equal_to_valueIxEEEEEEE10hipError_tPvRmT3_T4_T5_T6_T7_T9_mT8_P12ihipStream_tbDpT10_ENKUlT_T0_E_clISt17integral_constantIbLb0EES1B_EEDaS16_S17_EUlS16_E_NS1_11comp_targetILNS1_3genE2ELNS1_11target_archE906ELNS1_3gpuE6ELNS1_3repE0EEENS1_30default_config_static_selectorELNS0_4arch9wavefront6targetE0EEEvT1_
	.globl	_ZN7rocprim17ROCPRIM_400000_NS6detail17trampoline_kernelINS0_14default_configENS1_25partition_config_selectorILNS1_17partition_subalgoE6ExNS0_10empty_typeEbEEZZNS1_14partition_implILS5_6ELb0ES3_mN6thrust23THRUST_200600_302600_NS6detail15normal_iteratorINSA_10device_ptrIxEEEEPS6_SG_NS0_5tupleIJNSA_16discard_iteratorINSA_11use_defaultEEES6_EEENSH_IJSG_SG_EEES6_PlJNSB_9not_fun_tINSB_14equal_to_valueIxEEEEEEE10hipError_tPvRmT3_T4_T5_T6_T7_T9_mT8_P12ihipStream_tbDpT10_ENKUlT_T0_E_clISt17integral_constantIbLb0EES1B_EEDaS16_S17_EUlS16_E_NS1_11comp_targetILNS1_3genE2ELNS1_11target_archE906ELNS1_3gpuE6ELNS1_3repE0EEENS1_30default_config_static_selectorELNS0_4arch9wavefront6targetE0EEEvT1_
	.p2align	8
	.type	_ZN7rocprim17ROCPRIM_400000_NS6detail17trampoline_kernelINS0_14default_configENS1_25partition_config_selectorILNS1_17partition_subalgoE6ExNS0_10empty_typeEbEEZZNS1_14partition_implILS5_6ELb0ES3_mN6thrust23THRUST_200600_302600_NS6detail15normal_iteratorINSA_10device_ptrIxEEEEPS6_SG_NS0_5tupleIJNSA_16discard_iteratorINSA_11use_defaultEEES6_EEENSH_IJSG_SG_EEES6_PlJNSB_9not_fun_tINSB_14equal_to_valueIxEEEEEEE10hipError_tPvRmT3_T4_T5_T6_T7_T9_mT8_P12ihipStream_tbDpT10_ENKUlT_T0_E_clISt17integral_constantIbLb0EES1B_EEDaS16_S17_EUlS16_E_NS1_11comp_targetILNS1_3genE2ELNS1_11target_archE906ELNS1_3gpuE6ELNS1_3repE0EEENS1_30default_config_static_selectorELNS0_4arch9wavefront6targetE0EEEvT1_,@function
_ZN7rocprim17ROCPRIM_400000_NS6detail17trampoline_kernelINS0_14default_configENS1_25partition_config_selectorILNS1_17partition_subalgoE6ExNS0_10empty_typeEbEEZZNS1_14partition_implILS5_6ELb0ES3_mN6thrust23THRUST_200600_302600_NS6detail15normal_iteratorINSA_10device_ptrIxEEEEPS6_SG_NS0_5tupleIJNSA_16discard_iteratorINSA_11use_defaultEEES6_EEENSH_IJSG_SG_EEES6_PlJNSB_9not_fun_tINSB_14equal_to_valueIxEEEEEEE10hipError_tPvRmT3_T4_T5_T6_T7_T9_mT8_P12ihipStream_tbDpT10_ENKUlT_T0_E_clISt17integral_constantIbLb0EES1B_EEDaS16_S17_EUlS16_E_NS1_11comp_targetILNS1_3genE2ELNS1_11target_archE906ELNS1_3gpuE6ELNS1_3repE0EEENS1_30default_config_static_selectorELNS0_4arch9wavefront6targetE0EEEvT1_: ; @_ZN7rocprim17ROCPRIM_400000_NS6detail17trampoline_kernelINS0_14default_configENS1_25partition_config_selectorILNS1_17partition_subalgoE6ExNS0_10empty_typeEbEEZZNS1_14partition_implILS5_6ELb0ES3_mN6thrust23THRUST_200600_302600_NS6detail15normal_iteratorINSA_10device_ptrIxEEEEPS6_SG_NS0_5tupleIJNSA_16discard_iteratorINSA_11use_defaultEEES6_EEENSH_IJSG_SG_EEES6_PlJNSB_9not_fun_tINSB_14equal_to_valueIxEEEEEEE10hipError_tPvRmT3_T4_T5_T6_T7_T9_mT8_P12ihipStream_tbDpT10_ENKUlT_T0_E_clISt17integral_constantIbLb0EES1B_EEDaS16_S17_EUlS16_E_NS1_11comp_targetILNS1_3genE2ELNS1_11target_archE906ELNS1_3gpuE6ELNS1_3repE0EEENS1_30default_config_static_selectorELNS0_4arch9wavefront6targetE0EEEvT1_
; %bb.0:
	.section	.rodata,"a",@progbits
	.p2align	6, 0x0
	.amdhsa_kernel _ZN7rocprim17ROCPRIM_400000_NS6detail17trampoline_kernelINS0_14default_configENS1_25partition_config_selectorILNS1_17partition_subalgoE6ExNS0_10empty_typeEbEEZZNS1_14partition_implILS5_6ELb0ES3_mN6thrust23THRUST_200600_302600_NS6detail15normal_iteratorINSA_10device_ptrIxEEEEPS6_SG_NS0_5tupleIJNSA_16discard_iteratorINSA_11use_defaultEEES6_EEENSH_IJSG_SG_EEES6_PlJNSB_9not_fun_tINSB_14equal_to_valueIxEEEEEEE10hipError_tPvRmT3_T4_T5_T6_T7_T9_mT8_P12ihipStream_tbDpT10_ENKUlT_T0_E_clISt17integral_constantIbLb0EES1B_EEDaS16_S17_EUlS16_E_NS1_11comp_targetILNS1_3genE2ELNS1_11target_archE906ELNS1_3gpuE6ELNS1_3repE0EEENS1_30default_config_static_selectorELNS0_4arch9wavefront6targetE0EEEvT1_
		.amdhsa_group_segment_fixed_size 0
		.amdhsa_private_segment_fixed_size 0
		.amdhsa_kernarg_size 128
		.amdhsa_user_sgpr_count 2
		.amdhsa_user_sgpr_dispatch_ptr 0
		.amdhsa_user_sgpr_queue_ptr 0
		.amdhsa_user_sgpr_kernarg_segment_ptr 1
		.amdhsa_user_sgpr_dispatch_id 0
		.amdhsa_user_sgpr_private_segment_size 0
		.amdhsa_wavefront_size32 1
		.amdhsa_uses_dynamic_stack 0
		.amdhsa_enable_private_segment 0
		.amdhsa_system_sgpr_workgroup_id_x 1
		.amdhsa_system_sgpr_workgroup_id_y 0
		.amdhsa_system_sgpr_workgroup_id_z 0
		.amdhsa_system_sgpr_workgroup_info 0
		.amdhsa_system_vgpr_workitem_id 0
		.amdhsa_next_free_vgpr 1
		.amdhsa_next_free_sgpr 1
		.amdhsa_reserve_vcc 0
		.amdhsa_float_round_mode_32 0
		.amdhsa_float_round_mode_16_64 0
		.amdhsa_float_denorm_mode_32 3
		.amdhsa_float_denorm_mode_16_64 3
		.amdhsa_fp16_overflow 0
		.amdhsa_workgroup_processor_mode 1
		.amdhsa_memory_ordered 1
		.amdhsa_forward_progress 1
		.amdhsa_inst_pref_size 0
		.amdhsa_round_robin_scheduling 0
		.amdhsa_exception_fp_ieee_invalid_op 0
		.amdhsa_exception_fp_denorm_src 0
		.amdhsa_exception_fp_ieee_div_zero 0
		.amdhsa_exception_fp_ieee_overflow 0
		.amdhsa_exception_fp_ieee_underflow 0
		.amdhsa_exception_fp_ieee_inexact 0
		.amdhsa_exception_int_div_zero 0
	.end_amdhsa_kernel
	.section	.text._ZN7rocprim17ROCPRIM_400000_NS6detail17trampoline_kernelINS0_14default_configENS1_25partition_config_selectorILNS1_17partition_subalgoE6ExNS0_10empty_typeEbEEZZNS1_14partition_implILS5_6ELb0ES3_mN6thrust23THRUST_200600_302600_NS6detail15normal_iteratorINSA_10device_ptrIxEEEEPS6_SG_NS0_5tupleIJNSA_16discard_iteratorINSA_11use_defaultEEES6_EEENSH_IJSG_SG_EEES6_PlJNSB_9not_fun_tINSB_14equal_to_valueIxEEEEEEE10hipError_tPvRmT3_T4_T5_T6_T7_T9_mT8_P12ihipStream_tbDpT10_ENKUlT_T0_E_clISt17integral_constantIbLb0EES1B_EEDaS16_S17_EUlS16_E_NS1_11comp_targetILNS1_3genE2ELNS1_11target_archE906ELNS1_3gpuE6ELNS1_3repE0EEENS1_30default_config_static_selectorELNS0_4arch9wavefront6targetE0EEEvT1_,"axG",@progbits,_ZN7rocprim17ROCPRIM_400000_NS6detail17trampoline_kernelINS0_14default_configENS1_25partition_config_selectorILNS1_17partition_subalgoE6ExNS0_10empty_typeEbEEZZNS1_14partition_implILS5_6ELb0ES3_mN6thrust23THRUST_200600_302600_NS6detail15normal_iteratorINSA_10device_ptrIxEEEEPS6_SG_NS0_5tupleIJNSA_16discard_iteratorINSA_11use_defaultEEES6_EEENSH_IJSG_SG_EEES6_PlJNSB_9not_fun_tINSB_14equal_to_valueIxEEEEEEE10hipError_tPvRmT3_T4_T5_T6_T7_T9_mT8_P12ihipStream_tbDpT10_ENKUlT_T0_E_clISt17integral_constantIbLb0EES1B_EEDaS16_S17_EUlS16_E_NS1_11comp_targetILNS1_3genE2ELNS1_11target_archE906ELNS1_3gpuE6ELNS1_3repE0EEENS1_30default_config_static_selectorELNS0_4arch9wavefront6targetE0EEEvT1_,comdat
.Lfunc_end1729:
	.size	_ZN7rocprim17ROCPRIM_400000_NS6detail17trampoline_kernelINS0_14default_configENS1_25partition_config_selectorILNS1_17partition_subalgoE6ExNS0_10empty_typeEbEEZZNS1_14partition_implILS5_6ELb0ES3_mN6thrust23THRUST_200600_302600_NS6detail15normal_iteratorINSA_10device_ptrIxEEEEPS6_SG_NS0_5tupleIJNSA_16discard_iteratorINSA_11use_defaultEEES6_EEENSH_IJSG_SG_EEES6_PlJNSB_9not_fun_tINSB_14equal_to_valueIxEEEEEEE10hipError_tPvRmT3_T4_T5_T6_T7_T9_mT8_P12ihipStream_tbDpT10_ENKUlT_T0_E_clISt17integral_constantIbLb0EES1B_EEDaS16_S17_EUlS16_E_NS1_11comp_targetILNS1_3genE2ELNS1_11target_archE906ELNS1_3gpuE6ELNS1_3repE0EEENS1_30default_config_static_selectorELNS0_4arch9wavefront6targetE0EEEvT1_, .Lfunc_end1729-_ZN7rocprim17ROCPRIM_400000_NS6detail17trampoline_kernelINS0_14default_configENS1_25partition_config_selectorILNS1_17partition_subalgoE6ExNS0_10empty_typeEbEEZZNS1_14partition_implILS5_6ELb0ES3_mN6thrust23THRUST_200600_302600_NS6detail15normal_iteratorINSA_10device_ptrIxEEEEPS6_SG_NS0_5tupleIJNSA_16discard_iteratorINSA_11use_defaultEEES6_EEENSH_IJSG_SG_EEES6_PlJNSB_9not_fun_tINSB_14equal_to_valueIxEEEEEEE10hipError_tPvRmT3_T4_T5_T6_T7_T9_mT8_P12ihipStream_tbDpT10_ENKUlT_T0_E_clISt17integral_constantIbLb0EES1B_EEDaS16_S17_EUlS16_E_NS1_11comp_targetILNS1_3genE2ELNS1_11target_archE906ELNS1_3gpuE6ELNS1_3repE0EEENS1_30default_config_static_selectorELNS0_4arch9wavefront6targetE0EEEvT1_
                                        ; -- End function
	.set _ZN7rocprim17ROCPRIM_400000_NS6detail17trampoline_kernelINS0_14default_configENS1_25partition_config_selectorILNS1_17partition_subalgoE6ExNS0_10empty_typeEbEEZZNS1_14partition_implILS5_6ELb0ES3_mN6thrust23THRUST_200600_302600_NS6detail15normal_iteratorINSA_10device_ptrIxEEEEPS6_SG_NS0_5tupleIJNSA_16discard_iteratorINSA_11use_defaultEEES6_EEENSH_IJSG_SG_EEES6_PlJNSB_9not_fun_tINSB_14equal_to_valueIxEEEEEEE10hipError_tPvRmT3_T4_T5_T6_T7_T9_mT8_P12ihipStream_tbDpT10_ENKUlT_T0_E_clISt17integral_constantIbLb0EES1B_EEDaS16_S17_EUlS16_E_NS1_11comp_targetILNS1_3genE2ELNS1_11target_archE906ELNS1_3gpuE6ELNS1_3repE0EEENS1_30default_config_static_selectorELNS0_4arch9wavefront6targetE0EEEvT1_.num_vgpr, 0
	.set _ZN7rocprim17ROCPRIM_400000_NS6detail17trampoline_kernelINS0_14default_configENS1_25partition_config_selectorILNS1_17partition_subalgoE6ExNS0_10empty_typeEbEEZZNS1_14partition_implILS5_6ELb0ES3_mN6thrust23THRUST_200600_302600_NS6detail15normal_iteratorINSA_10device_ptrIxEEEEPS6_SG_NS0_5tupleIJNSA_16discard_iteratorINSA_11use_defaultEEES6_EEENSH_IJSG_SG_EEES6_PlJNSB_9not_fun_tINSB_14equal_to_valueIxEEEEEEE10hipError_tPvRmT3_T4_T5_T6_T7_T9_mT8_P12ihipStream_tbDpT10_ENKUlT_T0_E_clISt17integral_constantIbLb0EES1B_EEDaS16_S17_EUlS16_E_NS1_11comp_targetILNS1_3genE2ELNS1_11target_archE906ELNS1_3gpuE6ELNS1_3repE0EEENS1_30default_config_static_selectorELNS0_4arch9wavefront6targetE0EEEvT1_.num_agpr, 0
	.set _ZN7rocprim17ROCPRIM_400000_NS6detail17trampoline_kernelINS0_14default_configENS1_25partition_config_selectorILNS1_17partition_subalgoE6ExNS0_10empty_typeEbEEZZNS1_14partition_implILS5_6ELb0ES3_mN6thrust23THRUST_200600_302600_NS6detail15normal_iteratorINSA_10device_ptrIxEEEEPS6_SG_NS0_5tupleIJNSA_16discard_iteratorINSA_11use_defaultEEES6_EEENSH_IJSG_SG_EEES6_PlJNSB_9not_fun_tINSB_14equal_to_valueIxEEEEEEE10hipError_tPvRmT3_T4_T5_T6_T7_T9_mT8_P12ihipStream_tbDpT10_ENKUlT_T0_E_clISt17integral_constantIbLb0EES1B_EEDaS16_S17_EUlS16_E_NS1_11comp_targetILNS1_3genE2ELNS1_11target_archE906ELNS1_3gpuE6ELNS1_3repE0EEENS1_30default_config_static_selectorELNS0_4arch9wavefront6targetE0EEEvT1_.numbered_sgpr, 0
	.set _ZN7rocprim17ROCPRIM_400000_NS6detail17trampoline_kernelINS0_14default_configENS1_25partition_config_selectorILNS1_17partition_subalgoE6ExNS0_10empty_typeEbEEZZNS1_14partition_implILS5_6ELb0ES3_mN6thrust23THRUST_200600_302600_NS6detail15normal_iteratorINSA_10device_ptrIxEEEEPS6_SG_NS0_5tupleIJNSA_16discard_iteratorINSA_11use_defaultEEES6_EEENSH_IJSG_SG_EEES6_PlJNSB_9not_fun_tINSB_14equal_to_valueIxEEEEEEE10hipError_tPvRmT3_T4_T5_T6_T7_T9_mT8_P12ihipStream_tbDpT10_ENKUlT_T0_E_clISt17integral_constantIbLb0EES1B_EEDaS16_S17_EUlS16_E_NS1_11comp_targetILNS1_3genE2ELNS1_11target_archE906ELNS1_3gpuE6ELNS1_3repE0EEENS1_30default_config_static_selectorELNS0_4arch9wavefront6targetE0EEEvT1_.num_named_barrier, 0
	.set _ZN7rocprim17ROCPRIM_400000_NS6detail17trampoline_kernelINS0_14default_configENS1_25partition_config_selectorILNS1_17partition_subalgoE6ExNS0_10empty_typeEbEEZZNS1_14partition_implILS5_6ELb0ES3_mN6thrust23THRUST_200600_302600_NS6detail15normal_iteratorINSA_10device_ptrIxEEEEPS6_SG_NS0_5tupleIJNSA_16discard_iteratorINSA_11use_defaultEEES6_EEENSH_IJSG_SG_EEES6_PlJNSB_9not_fun_tINSB_14equal_to_valueIxEEEEEEE10hipError_tPvRmT3_T4_T5_T6_T7_T9_mT8_P12ihipStream_tbDpT10_ENKUlT_T0_E_clISt17integral_constantIbLb0EES1B_EEDaS16_S17_EUlS16_E_NS1_11comp_targetILNS1_3genE2ELNS1_11target_archE906ELNS1_3gpuE6ELNS1_3repE0EEENS1_30default_config_static_selectorELNS0_4arch9wavefront6targetE0EEEvT1_.private_seg_size, 0
	.set _ZN7rocprim17ROCPRIM_400000_NS6detail17trampoline_kernelINS0_14default_configENS1_25partition_config_selectorILNS1_17partition_subalgoE6ExNS0_10empty_typeEbEEZZNS1_14partition_implILS5_6ELb0ES3_mN6thrust23THRUST_200600_302600_NS6detail15normal_iteratorINSA_10device_ptrIxEEEEPS6_SG_NS0_5tupleIJNSA_16discard_iteratorINSA_11use_defaultEEES6_EEENSH_IJSG_SG_EEES6_PlJNSB_9not_fun_tINSB_14equal_to_valueIxEEEEEEE10hipError_tPvRmT3_T4_T5_T6_T7_T9_mT8_P12ihipStream_tbDpT10_ENKUlT_T0_E_clISt17integral_constantIbLb0EES1B_EEDaS16_S17_EUlS16_E_NS1_11comp_targetILNS1_3genE2ELNS1_11target_archE906ELNS1_3gpuE6ELNS1_3repE0EEENS1_30default_config_static_selectorELNS0_4arch9wavefront6targetE0EEEvT1_.uses_vcc, 0
	.set _ZN7rocprim17ROCPRIM_400000_NS6detail17trampoline_kernelINS0_14default_configENS1_25partition_config_selectorILNS1_17partition_subalgoE6ExNS0_10empty_typeEbEEZZNS1_14partition_implILS5_6ELb0ES3_mN6thrust23THRUST_200600_302600_NS6detail15normal_iteratorINSA_10device_ptrIxEEEEPS6_SG_NS0_5tupleIJNSA_16discard_iteratorINSA_11use_defaultEEES6_EEENSH_IJSG_SG_EEES6_PlJNSB_9not_fun_tINSB_14equal_to_valueIxEEEEEEE10hipError_tPvRmT3_T4_T5_T6_T7_T9_mT8_P12ihipStream_tbDpT10_ENKUlT_T0_E_clISt17integral_constantIbLb0EES1B_EEDaS16_S17_EUlS16_E_NS1_11comp_targetILNS1_3genE2ELNS1_11target_archE906ELNS1_3gpuE6ELNS1_3repE0EEENS1_30default_config_static_selectorELNS0_4arch9wavefront6targetE0EEEvT1_.uses_flat_scratch, 0
	.set _ZN7rocprim17ROCPRIM_400000_NS6detail17trampoline_kernelINS0_14default_configENS1_25partition_config_selectorILNS1_17partition_subalgoE6ExNS0_10empty_typeEbEEZZNS1_14partition_implILS5_6ELb0ES3_mN6thrust23THRUST_200600_302600_NS6detail15normal_iteratorINSA_10device_ptrIxEEEEPS6_SG_NS0_5tupleIJNSA_16discard_iteratorINSA_11use_defaultEEES6_EEENSH_IJSG_SG_EEES6_PlJNSB_9not_fun_tINSB_14equal_to_valueIxEEEEEEE10hipError_tPvRmT3_T4_T5_T6_T7_T9_mT8_P12ihipStream_tbDpT10_ENKUlT_T0_E_clISt17integral_constantIbLb0EES1B_EEDaS16_S17_EUlS16_E_NS1_11comp_targetILNS1_3genE2ELNS1_11target_archE906ELNS1_3gpuE6ELNS1_3repE0EEENS1_30default_config_static_selectorELNS0_4arch9wavefront6targetE0EEEvT1_.has_dyn_sized_stack, 0
	.set _ZN7rocprim17ROCPRIM_400000_NS6detail17trampoline_kernelINS0_14default_configENS1_25partition_config_selectorILNS1_17partition_subalgoE6ExNS0_10empty_typeEbEEZZNS1_14partition_implILS5_6ELb0ES3_mN6thrust23THRUST_200600_302600_NS6detail15normal_iteratorINSA_10device_ptrIxEEEEPS6_SG_NS0_5tupleIJNSA_16discard_iteratorINSA_11use_defaultEEES6_EEENSH_IJSG_SG_EEES6_PlJNSB_9not_fun_tINSB_14equal_to_valueIxEEEEEEE10hipError_tPvRmT3_T4_T5_T6_T7_T9_mT8_P12ihipStream_tbDpT10_ENKUlT_T0_E_clISt17integral_constantIbLb0EES1B_EEDaS16_S17_EUlS16_E_NS1_11comp_targetILNS1_3genE2ELNS1_11target_archE906ELNS1_3gpuE6ELNS1_3repE0EEENS1_30default_config_static_selectorELNS0_4arch9wavefront6targetE0EEEvT1_.has_recursion, 0
	.set _ZN7rocprim17ROCPRIM_400000_NS6detail17trampoline_kernelINS0_14default_configENS1_25partition_config_selectorILNS1_17partition_subalgoE6ExNS0_10empty_typeEbEEZZNS1_14partition_implILS5_6ELb0ES3_mN6thrust23THRUST_200600_302600_NS6detail15normal_iteratorINSA_10device_ptrIxEEEEPS6_SG_NS0_5tupleIJNSA_16discard_iteratorINSA_11use_defaultEEES6_EEENSH_IJSG_SG_EEES6_PlJNSB_9not_fun_tINSB_14equal_to_valueIxEEEEEEE10hipError_tPvRmT3_T4_T5_T6_T7_T9_mT8_P12ihipStream_tbDpT10_ENKUlT_T0_E_clISt17integral_constantIbLb0EES1B_EEDaS16_S17_EUlS16_E_NS1_11comp_targetILNS1_3genE2ELNS1_11target_archE906ELNS1_3gpuE6ELNS1_3repE0EEENS1_30default_config_static_selectorELNS0_4arch9wavefront6targetE0EEEvT1_.has_indirect_call, 0
	.section	.AMDGPU.csdata,"",@progbits
; Kernel info:
; codeLenInByte = 0
; TotalNumSgprs: 0
; NumVgprs: 0
; ScratchSize: 0
; MemoryBound: 0
; FloatMode: 240
; IeeeMode: 1
; LDSByteSize: 0 bytes/workgroup (compile time only)
; SGPRBlocks: 0
; VGPRBlocks: 0
; NumSGPRsForWavesPerEU: 1
; NumVGPRsForWavesPerEU: 1
; Occupancy: 16
; WaveLimiterHint : 0
; COMPUTE_PGM_RSRC2:SCRATCH_EN: 0
; COMPUTE_PGM_RSRC2:USER_SGPR: 2
; COMPUTE_PGM_RSRC2:TRAP_HANDLER: 0
; COMPUTE_PGM_RSRC2:TGID_X_EN: 1
; COMPUTE_PGM_RSRC2:TGID_Y_EN: 0
; COMPUTE_PGM_RSRC2:TGID_Z_EN: 0
; COMPUTE_PGM_RSRC2:TIDIG_COMP_CNT: 0
	.section	.text._ZN7rocprim17ROCPRIM_400000_NS6detail17trampoline_kernelINS0_14default_configENS1_25partition_config_selectorILNS1_17partition_subalgoE6ExNS0_10empty_typeEbEEZZNS1_14partition_implILS5_6ELb0ES3_mN6thrust23THRUST_200600_302600_NS6detail15normal_iteratorINSA_10device_ptrIxEEEEPS6_SG_NS0_5tupleIJNSA_16discard_iteratorINSA_11use_defaultEEES6_EEENSH_IJSG_SG_EEES6_PlJNSB_9not_fun_tINSB_14equal_to_valueIxEEEEEEE10hipError_tPvRmT3_T4_T5_T6_T7_T9_mT8_P12ihipStream_tbDpT10_ENKUlT_T0_E_clISt17integral_constantIbLb0EES1B_EEDaS16_S17_EUlS16_E_NS1_11comp_targetILNS1_3genE10ELNS1_11target_archE1200ELNS1_3gpuE4ELNS1_3repE0EEENS1_30default_config_static_selectorELNS0_4arch9wavefront6targetE0EEEvT1_,"axG",@progbits,_ZN7rocprim17ROCPRIM_400000_NS6detail17trampoline_kernelINS0_14default_configENS1_25partition_config_selectorILNS1_17partition_subalgoE6ExNS0_10empty_typeEbEEZZNS1_14partition_implILS5_6ELb0ES3_mN6thrust23THRUST_200600_302600_NS6detail15normal_iteratorINSA_10device_ptrIxEEEEPS6_SG_NS0_5tupleIJNSA_16discard_iteratorINSA_11use_defaultEEES6_EEENSH_IJSG_SG_EEES6_PlJNSB_9not_fun_tINSB_14equal_to_valueIxEEEEEEE10hipError_tPvRmT3_T4_T5_T6_T7_T9_mT8_P12ihipStream_tbDpT10_ENKUlT_T0_E_clISt17integral_constantIbLb0EES1B_EEDaS16_S17_EUlS16_E_NS1_11comp_targetILNS1_3genE10ELNS1_11target_archE1200ELNS1_3gpuE4ELNS1_3repE0EEENS1_30default_config_static_selectorELNS0_4arch9wavefront6targetE0EEEvT1_,comdat
	.protected	_ZN7rocprim17ROCPRIM_400000_NS6detail17trampoline_kernelINS0_14default_configENS1_25partition_config_selectorILNS1_17partition_subalgoE6ExNS0_10empty_typeEbEEZZNS1_14partition_implILS5_6ELb0ES3_mN6thrust23THRUST_200600_302600_NS6detail15normal_iteratorINSA_10device_ptrIxEEEEPS6_SG_NS0_5tupleIJNSA_16discard_iteratorINSA_11use_defaultEEES6_EEENSH_IJSG_SG_EEES6_PlJNSB_9not_fun_tINSB_14equal_to_valueIxEEEEEEE10hipError_tPvRmT3_T4_T5_T6_T7_T9_mT8_P12ihipStream_tbDpT10_ENKUlT_T0_E_clISt17integral_constantIbLb0EES1B_EEDaS16_S17_EUlS16_E_NS1_11comp_targetILNS1_3genE10ELNS1_11target_archE1200ELNS1_3gpuE4ELNS1_3repE0EEENS1_30default_config_static_selectorELNS0_4arch9wavefront6targetE0EEEvT1_ ; -- Begin function _ZN7rocprim17ROCPRIM_400000_NS6detail17trampoline_kernelINS0_14default_configENS1_25partition_config_selectorILNS1_17partition_subalgoE6ExNS0_10empty_typeEbEEZZNS1_14partition_implILS5_6ELb0ES3_mN6thrust23THRUST_200600_302600_NS6detail15normal_iteratorINSA_10device_ptrIxEEEEPS6_SG_NS0_5tupleIJNSA_16discard_iteratorINSA_11use_defaultEEES6_EEENSH_IJSG_SG_EEES6_PlJNSB_9not_fun_tINSB_14equal_to_valueIxEEEEEEE10hipError_tPvRmT3_T4_T5_T6_T7_T9_mT8_P12ihipStream_tbDpT10_ENKUlT_T0_E_clISt17integral_constantIbLb0EES1B_EEDaS16_S17_EUlS16_E_NS1_11comp_targetILNS1_3genE10ELNS1_11target_archE1200ELNS1_3gpuE4ELNS1_3repE0EEENS1_30default_config_static_selectorELNS0_4arch9wavefront6targetE0EEEvT1_
	.globl	_ZN7rocprim17ROCPRIM_400000_NS6detail17trampoline_kernelINS0_14default_configENS1_25partition_config_selectorILNS1_17partition_subalgoE6ExNS0_10empty_typeEbEEZZNS1_14partition_implILS5_6ELb0ES3_mN6thrust23THRUST_200600_302600_NS6detail15normal_iteratorINSA_10device_ptrIxEEEEPS6_SG_NS0_5tupleIJNSA_16discard_iteratorINSA_11use_defaultEEES6_EEENSH_IJSG_SG_EEES6_PlJNSB_9not_fun_tINSB_14equal_to_valueIxEEEEEEE10hipError_tPvRmT3_T4_T5_T6_T7_T9_mT8_P12ihipStream_tbDpT10_ENKUlT_T0_E_clISt17integral_constantIbLb0EES1B_EEDaS16_S17_EUlS16_E_NS1_11comp_targetILNS1_3genE10ELNS1_11target_archE1200ELNS1_3gpuE4ELNS1_3repE0EEENS1_30default_config_static_selectorELNS0_4arch9wavefront6targetE0EEEvT1_
	.p2align	8
	.type	_ZN7rocprim17ROCPRIM_400000_NS6detail17trampoline_kernelINS0_14default_configENS1_25partition_config_selectorILNS1_17partition_subalgoE6ExNS0_10empty_typeEbEEZZNS1_14partition_implILS5_6ELb0ES3_mN6thrust23THRUST_200600_302600_NS6detail15normal_iteratorINSA_10device_ptrIxEEEEPS6_SG_NS0_5tupleIJNSA_16discard_iteratorINSA_11use_defaultEEES6_EEENSH_IJSG_SG_EEES6_PlJNSB_9not_fun_tINSB_14equal_to_valueIxEEEEEEE10hipError_tPvRmT3_T4_T5_T6_T7_T9_mT8_P12ihipStream_tbDpT10_ENKUlT_T0_E_clISt17integral_constantIbLb0EES1B_EEDaS16_S17_EUlS16_E_NS1_11comp_targetILNS1_3genE10ELNS1_11target_archE1200ELNS1_3gpuE4ELNS1_3repE0EEENS1_30default_config_static_selectorELNS0_4arch9wavefront6targetE0EEEvT1_,@function
_ZN7rocprim17ROCPRIM_400000_NS6detail17trampoline_kernelINS0_14default_configENS1_25partition_config_selectorILNS1_17partition_subalgoE6ExNS0_10empty_typeEbEEZZNS1_14partition_implILS5_6ELb0ES3_mN6thrust23THRUST_200600_302600_NS6detail15normal_iteratorINSA_10device_ptrIxEEEEPS6_SG_NS0_5tupleIJNSA_16discard_iteratorINSA_11use_defaultEEES6_EEENSH_IJSG_SG_EEES6_PlJNSB_9not_fun_tINSB_14equal_to_valueIxEEEEEEE10hipError_tPvRmT3_T4_T5_T6_T7_T9_mT8_P12ihipStream_tbDpT10_ENKUlT_T0_E_clISt17integral_constantIbLb0EES1B_EEDaS16_S17_EUlS16_E_NS1_11comp_targetILNS1_3genE10ELNS1_11target_archE1200ELNS1_3gpuE4ELNS1_3repE0EEENS1_30default_config_static_selectorELNS0_4arch9wavefront6targetE0EEEvT1_: ; @_ZN7rocprim17ROCPRIM_400000_NS6detail17trampoline_kernelINS0_14default_configENS1_25partition_config_selectorILNS1_17partition_subalgoE6ExNS0_10empty_typeEbEEZZNS1_14partition_implILS5_6ELb0ES3_mN6thrust23THRUST_200600_302600_NS6detail15normal_iteratorINSA_10device_ptrIxEEEEPS6_SG_NS0_5tupleIJNSA_16discard_iteratorINSA_11use_defaultEEES6_EEENSH_IJSG_SG_EEES6_PlJNSB_9not_fun_tINSB_14equal_to_valueIxEEEEEEE10hipError_tPvRmT3_T4_T5_T6_T7_T9_mT8_P12ihipStream_tbDpT10_ENKUlT_T0_E_clISt17integral_constantIbLb0EES1B_EEDaS16_S17_EUlS16_E_NS1_11comp_targetILNS1_3genE10ELNS1_11target_archE1200ELNS1_3gpuE4ELNS1_3repE0EEENS1_30default_config_static_selectorELNS0_4arch9wavefront6targetE0EEEvT1_
; %bb.0:
	s_clause 0x3
	s_load_b128 s[4:7], s[0:1], 0x8
	s_load_b128 s[8:11], s[0:1], 0x48
	s_load_b32 s14, s[0:1], 0x70
	s_load_b64 s[12:13], s[0:1], 0x58
	s_mov_b32 s17, 0
	s_lshl_b32 s2, ttmp9, 10
	s_mov_b32 s3, s17
	v_lshrrev_b32_e32 v9, 2, v0
	v_or_b32_e32 v12, 0x100, v0
	v_or_b32_e32 v11, 0x200, v0
	;; [unrolled: 1-line block ×3, first 2 shown]
	s_mov_b32 s15, -1
	s_wait_kmcnt 0x0
	s_lshl_b64 s[18:19], s[6:7], 3
	s_load_b64 s[10:11], s[10:11], 0x0
	s_add_co_i32 s20, s14, -1
	s_lshl_b32 s16, s14, 10
	s_lshl_b32 s14, s20, 10
	s_add_nc_u64 s[16:17], s[6:7], s[16:17]
	s_add_co_i32 s14, s6, s14
	s_cmp_eq_u32 ttmp9, s20
	v_cmp_gt_u64_e64 s16, s[12:13], s[16:17]
	s_cselect_b32 s13, -1, 0
	s_cmp_lg_u32 ttmp9, s20
	s_add_nc_u64 s[6:7], s[4:5], s[18:19]
	s_cselect_b32 s17, -1, 0
	s_lshl_b64 s[2:3], s[2:3], 3
	s_wait_alu 0xfffe
	s_or_b32 s4, s17, s16
	s_add_nc_u64 s[2:3], s[6:7], s[2:3]
	s_and_b32 vcc_lo, exec_lo, s4
	s_cbranch_vccz .LBB1730_2
; %bb.1:
	v_lshlrev_b32_e32 v13, 3, v0
	v_lshrrev_b32_e32 v14, 2, v12
	v_lshrrev_b32_e32 v15, 2, v11
	;; [unrolled: 1-line block ×3, first 2 shown]
	v_and_b32_e32 v17, 56, v9
	v_add_co_u32 v1, s5, s2, v13
	s_delay_alu instid0(VALU_DEP_1)
	v_add_co_ci_u32_e64 v2, null, s3, 0, s5
	v_and_b32_e32 v14, 0x78, v14
	v_and_b32_e32 v15, 0xb8, v15
	v_and_b32_e32 v16, 0xf8, v16
	s_clause 0x3
	flat_load_b64 v[3:4], v[1:2]
	flat_load_b64 v[5:6], v[1:2] offset:2048
	flat_load_b64 v[7:8], v[1:2] offset:4096
	;; [unrolled: 1-line block ×3, first 2 shown]
	v_add_nc_u32_e32 v17, v17, v13
	v_add_nc_u32_e32 v14, v14, v13
	v_add_nc_u32_e32 v15, v15, v13
	v_add_nc_u32_e32 v13, v16, v13
	s_mov_b32 s15, 0
	s_wait_loadcnt_dscnt 0x303
	ds_store_b64 v17, v[3:4]
	s_wait_loadcnt_dscnt 0x203
	ds_store_b64 v14, v[5:6] offset:2048
	s_wait_loadcnt_dscnt 0x103
	ds_store_b64 v15, v[7:8] offset:4096
	;; [unrolled: 2-line block ×3, first 2 shown]
	s_wait_dscnt 0x0
	s_barrier_signal -1
	s_barrier_wait -1
.LBB1730_2:
	s_load_b64 s[6:7], s[0:1], 0x78
	s_and_not1_b32 vcc_lo, exec_lo, s15
	s_sub_co_i32 s14, s12, s14
	s_cbranch_vccnz .LBB1730_9
; %bb.3:
	v_mov_b32_e32 v1, 0
	s_mov_b32 s5, exec_lo
	s_delay_alu instid0(VALU_DEP_1)
	v_dual_mov_b32 v2, v1 :: v_dual_mov_b32 v3, v1
	v_dual_mov_b32 v4, v1 :: v_dual_mov_b32 v5, v1
	v_dual_mov_b32 v6, v1 :: v_dual_mov_b32 v7, v1
	v_mov_b32_e32 v8, v1
	v_cmpx_gt_u32_e64 s14, v0
	s_cbranch_execnz .LBB1730_114
; %bb.4:
	s_wait_alu 0xfffe
	s_or_b32 exec_lo, exec_lo, s5
	s_delay_alu instid0(SALU_CYCLE_1)
	s_mov_b32 s5, exec_lo
	v_cmpx_gt_u32_e64 s14, v12
	s_cbranch_execnz .LBB1730_115
.LBB1730_5:
	s_wait_alu 0xfffe
	s_or_b32 exec_lo, exec_lo, s5
	s_delay_alu instid0(SALU_CYCLE_1)
	s_mov_b32 s5, exec_lo
	v_cmpx_gt_u32_e64 s14, v11
	s_cbranch_execnz .LBB1730_116
.LBB1730_6:
	s_wait_alu 0xfffe
	s_or_b32 exec_lo, exec_lo, s5
	s_delay_alu instid0(SALU_CYCLE_1)
	s_mov_b32 s5, exec_lo
	v_cmpx_gt_u32_e64 s14, v10
	s_cbranch_execz .LBB1730_8
.LBB1730_7:
	v_lshlrev_b32_e32 v7, 3, v0
	s_delay_alu instid0(VALU_DEP_1)
	v_add_co_u32 v7, s2, s2, v7
	s_wait_alu 0xf1ff
	v_add_co_ci_u32_e64 v8, null, s3, 0, s2
	flat_load_b64 v[7:8], v[7:8] offset:6144
.LBB1730_8:
	s_wait_alu 0xfffe
	s_or_b32 exec_lo, exec_lo, s5
	v_lshrrev_b32_e32 v12, 2, v12
	v_lshrrev_b32_e32 v11, 2, v11
	;; [unrolled: 1-line block ×3, first 2 shown]
	v_and_b32_e32 v9, 56, v9
	v_lshlrev_b32_e32 v13, 3, v0
	v_and_b32_e32 v12, 0x78, v12
	v_and_b32_e32 v11, 0xf8, v11
	;; [unrolled: 1-line block ×3, first 2 shown]
	s_delay_alu instid0(VALU_DEP_4) | instskip(NEXT) | instid1(VALU_DEP_4)
	v_add_nc_u32_e32 v9, v9, v13
	v_add_nc_u32_e32 v12, v12, v13
	s_delay_alu instid0(VALU_DEP_4) | instskip(NEXT) | instid1(VALU_DEP_4)
	v_add_nc_u32_e32 v11, v11, v13
	v_add_nc_u32_e32 v10, v10, v13
	ds_store_b64 v9, v[1:2]
	s_wait_loadcnt_dscnt 0x1
	ds_store_b64 v12, v[3:4] offset:2048
	ds_store_b64 v11, v[5:6] offset:4096
	;; [unrolled: 1-line block ×3, first 2 shown]
	s_wait_dscnt 0x0
	s_barrier_signal -1
	s_barrier_wait -1
.LBB1730_9:
	v_and_b32_e32 v1, 0xf8, v0
	global_inv scope:SCOPE_SE
	s_and_not1_b32 vcc_lo, exec_lo, s4
	v_lshl_add_u32 v5, v0, 5, v1
	ds_load_2addr_b64 v[1:4], v5 offset1:3
	ds_load_2addr_b64 v[5:8], v5 offset0:1 offset1:2
	s_wait_loadcnt_dscnt 0x0
	s_barrier_signal -1
	s_barrier_wait -1
	global_inv scope:SCOPE_SE
	s_wait_kmcnt 0x0
	v_cmp_ne_u64_e64 s2, s[6:7], v[1:2]
	v_cmp_ne_u64_e64 s12, s[6:7], v[3:4]
	s_cbranch_vccnz .LBB1730_11
; %bb.10:
	v_cmp_ne_u64_e32 vcc_lo, s[6:7], v[7:8]
	s_wait_alu 0xf1ff
	v_cndmask_b32_e64 v27, 0, 1, s2
	v_cndmask_b32_e64 v25, 0, 1, vcc_lo
	v_cmp_ne_u64_e32 vcc_lo, s[6:7], v[5:6]
	s_delay_alu instid0(VALU_DEP_2) | instskip(SKIP_2) | instid1(VALU_DEP_1)
	v_lshlrev_b16 v10, 8, v25
	s_wait_alu 0xfffd
	v_cndmask_b32_e64 v9, 0, 1, vcc_lo
	v_or_b32_e32 v26, v9, v10
	s_cbranch_execz .LBB1730_12
	s_branch .LBB1730_13
.LBB1730_11:
                                        ; implicit-def: $sgpr12
                                        ; implicit-def: $vgpr27
                                        ; implicit-def: $vgpr26
                                        ; implicit-def: $vgpr25
.LBB1730_12:
	v_lshlrev_b32_e32 v9, 2, v0
	v_cmp_ne_u64_e64 s2, s[6:7], v[7:8]
	v_cmp_ne_u64_e64 s4, s[6:7], v[5:6]
	v_cmp_ne_u64_e32 vcc_lo, s[6:7], v[1:2]
	v_cmp_ne_u64_e64 s5, s[6:7], v[3:4]
	v_or_b32_e32 v10, 2, v9
	v_or_b32_e32 v11, 1, v9
	s_delay_alu instid0(VALU_DEP_2) | instskip(NEXT) | instid1(VALU_DEP_2)
	v_cmp_gt_u32_e64 s3, s14, v10
	v_cmp_gt_u32_e64 s6, s14, v11
	v_or_b32_e32 v10, 3, v9
	s_and_b32 s2, s3, s2
	s_and_b32 s4, s6, s4
	s_wait_alu 0xfffe
	v_cndmask_b32_e64 v25, 0, 1, s2
	v_cmp_gt_u32_e64 s2, s14, v9
	v_cmp_gt_u32_e64 s3, s14, v10
	v_cndmask_b32_e64 v9, 0, 1, s4
	s_delay_alu instid0(VALU_DEP_4)
	v_lshlrev_b16 v10, 8, v25
	s_and_b32 s2, s2, vcc_lo
	s_wait_alu 0xfffe
	v_cndmask_b32_e64 v27, 0, 1, s2
	s_and_b32 s2, s3, s5
	v_or_b32_e32 v26, v9, v10
	s_and_not1_b32 s3, s12, exec_lo
	s_wait_alu 0xfffe
	s_and_b32 s2, s2, exec_lo
	s_wait_alu 0xfffe
	s_or_b32 s12, s3, s2
.LBB1730_13:
	s_load_b64 s[4:5], s[0:1], 0x68
	v_and_b32_e32 v29, 0xff, v27
	v_dual_mov_b32 v11, 0 :: v_dual_and_b32 v28, 0xff, v26
	v_cndmask_b32_e64 v9, 0, 1, s12
	v_mbcnt_lo_u32_b32 v31, -1, 0
	v_and_b32_e32 v30, 0xff, v25
	s_cmp_lg_u32 ttmp9, 0
	s_mov_b32 s1, -1
	v_add3_u32 v9, v29, v9, v28
	v_and_b32_e32 v32, 15, v31
	s_delay_alu instid0(VALU_DEP_2) | instskip(NEXT) | instid1(VALU_DEP_1)
	v_add_co_u32 v17, s0, v9, v30
	v_add_co_ci_u32_e64 v18, null, 0, 0, s0
	s_delay_alu instid0(VALU_DEP_3)
	v_cmp_ne_u32_e64 s0, 0, v32
	s_cbranch_scc0 .LBB1730_70
; %bb.14:
	v_dual_mov_b32 v12, v17 :: v_dual_mov_b32 v9, v17
	v_mov_b32_dpp v14, v17 row_shr:1 row_mask:0xf bank_mask:0xf
	v_mov_b32_dpp v13, v11 row_shr:1 row_mask:0xf bank_mask:0xf
	v_mov_b32_e32 v10, v18
	s_and_saveexec_b32 s1, s0
; %bb.15:
	s_delay_alu instid0(VALU_DEP_3) | instskip(SKIP_2) | instid1(VALU_DEP_2)
	v_add_co_u32 v12, vcc_lo, v17, v14
	s_wait_alu 0xfffd
	v_add_co_ci_u32_e64 v9, null, 0, v18, vcc_lo
	v_add_co_u32 v10, vcc_lo, 0, v12
	s_wait_alu 0xfffd
	s_delay_alu instid0(VALU_DEP_2) | instskip(NEXT) | instid1(VALU_DEP_2)
	v_add_co_ci_u32_e64 v11, null, v13, v9, vcc_lo
	v_mov_b32_e32 v9, v10
	s_delay_alu instid0(VALU_DEP_2)
	v_mov_b32_e32 v10, v11
; %bb.16:
	s_wait_alu 0xfffe
	s_or_b32 exec_lo, exec_lo, s1
	v_mov_b32_dpp v14, v12 row_shr:2 row_mask:0xf bank_mask:0xf
	v_mov_b32_dpp v13, v11 row_shr:2 row_mask:0xf bank_mask:0xf
	s_mov_b32 s1, exec_lo
	v_cmpx_lt_u32_e32 1, v32
; %bb.17:
	s_delay_alu instid0(VALU_DEP_3) | instskip(SKIP_2) | instid1(VALU_DEP_2)
	v_add_co_u32 v12, vcc_lo, v9, v14
	s_wait_alu 0xfffd
	v_add_co_ci_u32_e64 v9, null, 0, v10, vcc_lo
	v_add_co_u32 v10, vcc_lo, 0, v12
	s_wait_alu 0xfffd
	s_delay_alu instid0(VALU_DEP_2) | instskip(NEXT) | instid1(VALU_DEP_2)
	v_add_co_ci_u32_e64 v11, null, v13, v9, vcc_lo
	v_mov_b32_e32 v9, v10
	s_delay_alu instid0(VALU_DEP_2)
	v_mov_b32_e32 v10, v11
; %bb.18:
	s_wait_alu 0xfffe
	s_or_b32 exec_lo, exec_lo, s1
	v_mov_b32_dpp v14, v12 row_shr:4 row_mask:0xf bank_mask:0xf
	v_mov_b32_dpp v13, v11 row_shr:4 row_mask:0xf bank_mask:0xf
	s_mov_b32 s1, exec_lo
	v_cmpx_lt_u32_e32 3, v32
	;; [unrolled: 19-line block ×3, first 2 shown]
; %bb.21:
	s_delay_alu instid0(VALU_DEP_3) | instskip(SKIP_2) | instid1(VALU_DEP_2)
	v_add_co_u32 v12, vcc_lo, v9, v14
	s_wait_alu 0xfffd
	v_add_co_ci_u32_e64 v10, null, 0, v10, vcc_lo
	v_add_co_u32 v9, vcc_lo, 0, v12
	s_wait_alu 0xfffd
	s_delay_alu instid0(VALU_DEP_2) | instskip(NEXT) | instid1(VALU_DEP_1)
	v_add_co_ci_u32_e64 v10, null, v13, v10, vcc_lo
	v_mov_b32_e32 v11, v10
; %bb.22:
	s_wait_alu 0xfffe
	s_or_b32 exec_lo, exec_lo, s1
	ds_swizzle_b32 v13, v12 offset:swizzle(BROADCAST,32,15)
	ds_swizzle_b32 v11, v11 offset:swizzle(BROADCAST,32,15)
	v_and_b32_e32 v14, 16, v31
	s_mov_b32 s1, exec_lo
	s_delay_alu instid0(VALU_DEP_1)
	v_cmpx_ne_u32_e32 0, v14
	s_cbranch_execz .LBB1730_24
; %bb.23:
	s_wait_dscnt 0x1
	v_add_co_u32 v12, vcc_lo, v9, v13
	s_wait_alu 0xfffd
	v_add_co_ci_u32_e64 v10, null, 0, v10, vcc_lo
	s_delay_alu instid0(VALU_DEP_2) | instskip(SKIP_2) | instid1(VALU_DEP_2)
	v_add_co_u32 v9, vcc_lo, 0, v12
	s_wait_dscnt 0x0
	s_wait_alu 0xfffd
	v_add_co_ci_u32_e64 v10, null, v11, v10, vcc_lo
.LBB1730_24:
	s_wait_alu 0xfffe
	s_or_b32 exec_lo, exec_lo, s1
	s_wait_dscnt 0x1
	v_or_b32_e32 v13, 31, v0
	s_wait_dscnt 0x0
	v_lshrrev_b32_e32 v11, 5, v0
	s_mov_b32 s1, exec_lo
	s_delay_alu instid0(VALU_DEP_2)
	v_cmpx_eq_u32_e64 v0, v13
; %bb.25:
	s_delay_alu instid0(VALU_DEP_2)
	v_lshlrev_b32_e32 v13, 3, v11
	ds_store_b64 v13, v[9:10]
; %bb.26:
	s_wait_alu 0xfffe
	s_or_b32 exec_lo, exec_lo, s1
	s_delay_alu instid0(SALU_CYCLE_1)
	s_mov_b32 s1, exec_lo
	s_wait_loadcnt_dscnt 0x0
	s_barrier_signal -1
	s_barrier_wait -1
	global_inv scope:SCOPE_SE
	v_cmpx_gt_u32_e32 8, v0
	s_cbranch_execz .LBB1730_34
; %bb.27:
	v_lshlrev_b32_e32 v13, 3, v0
	s_mov_b32 s2, exec_lo
	ds_load_b64 v[9:10], v13
	s_wait_dscnt 0x0
	v_dual_mov_b32 v15, v9 :: v_dual_and_b32 v14, 7, v31
	v_mov_b32_dpp v19, v9 row_shr:1 row_mask:0xf bank_mask:0xf
	v_mov_b32_dpp v16, v10 row_shr:1 row_mask:0xf bank_mask:0xf
	s_delay_alu instid0(VALU_DEP_3)
	v_cmpx_ne_u32_e32 0, v14
; %bb.28:
	s_delay_alu instid0(VALU_DEP_3) | instskip(SKIP_2) | instid1(VALU_DEP_2)
	v_add_co_u32 v15, vcc_lo, v9, v19
	s_wait_alu 0xfffd
	v_add_co_ci_u32_e64 v10, null, 0, v10, vcc_lo
	v_add_co_u32 v9, vcc_lo, 0, v15
	s_wait_alu 0xfffd
	s_delay_alu instid0(VALU_DEP_2)
	v_add_co_ci_u32_e64 v10, null, v16, v10, vcc_lo
; %bb.29:
	s_wait_alu 0xfffe
	s_or_b32 exec_lo, exec_lo, s2
	v_mov_b32_dpp v19, v15 row_shr:2 row_mask:0xf bank_mask:0xf
	s_delay_alu instid0(VALU_DEP_2)
	v_mov_b32_dpp v16, v10 row_shr:2 row_mask:0xf bank_mask:0xf
	s_mov_b32 s2, exec_lo
	v_cmpx_lt_u32_e32 1, v14
; %bb.30:
	s_delay_alu instid0(VALU_DEP_3) | instskip(SKIP_2) | instid1(VALU_DEP_2)
	v_add_co_u32 v15, vcc_lo, v9, v19
	s_wait_alu 0xfffd
	v_add_co_ci_u32_e64 v10, null, 0, v10, vcc_lo
	v_add_co_u32 v9, vcc_lo, 0, v15
	s_wait_alu 0xfffd
	s_delay_alu instid0(VALU_DEP_2)
	v_add_co_ci_u32_e64 v10, null, v16, v10, vcc_lo
; %bb.31:
	s_wait_alu 0xfffe
	s_or_b32 exec_lo, exec_lo, s2
	v_mov_b32_dpp v16, v15 row_shr:4 row_mask:0xf bank_mask:0xf
	s_delay_alu instid0(VALU_DEP_2)
	v_mov_b32_dpp v15, v10 row_shr:4 row_mask:0xf bank_mask:0xf
	s_mov_b32 s2, exec_lo
	v_cmpx_lt_u32_e32 3, v14
; %bb.32:
	s_delay_alu instid0(VALU_DEP_3) | instskip(SKIP_2) | instid1(VALU_DEP_2)
	v_add_co_u32 v9, vcc_lo, v9, v16
	s_wait_alu 0xfffd
	v_add_co_ci_u32_e64 v10, null, 0, v10, vcc_lo
	v_add_co_u32 v9, vcc_lo, v9, 0
	s_wait_alu 0xfffd
	s_delay_alu instid0(VALU_DEP_2)
	v_add_co_ci_u32_e64 v10, null, v10, v15, vcc_lo
; %bb.33:
	s_wait_alu 0xfffe
	s_or_b32 exec_lo, exec_lo, s2
	ds_store_b64 v13, v[9:10]
.LBB1730_34:
	s_wait_alu 0xfffe
	s_or_b32 exec_lo, exec_lo, s1
	s_delay_alu instid0(SALU_CYCLE_1)
	s_mov_b32 s2, exec_lo
	v_cmp_gt_u32_e32 vcc_lo, 32, v0
	s_wait_loadcnt_dscnt 0x0
	s_barrier_signal -1
	s_barrier_wait -1
	global_inv scope:SCOPE_SE
                                        ; implicit-def: $vgpr19_vgpr20
	v_cmpx_lt_u32_e32 31, v0
	s_cbranch_execz .LBB1730_36
; %bb.35:
	v_lshl_add_u32 v9, v11, 3, -8
	ds_load_b64 v[19:20], v9
	s_wait_dscnt 0x0
	v_add_nc_u32_e32 v12, v12, v19
.LBB1730_36:
	s_wait_alu 0xfffe
	s_or_b32 exec_lo, exec_lo, s2
	v_sub_co_u32 v9, s1, v31, 1
	s_delay_alu instid0(VALU_DEP_1) | instskip(SKIP_1) | instid1(VALU_DEP_1)
	v_cmp_gt_i32_e64 s2, 0, v9
	s_wait_alu 0xf1ff
	v_cndmask_b32_e64 v9, v9, v31, s2
	s_delay_alu instid0(VALU_DEP_1)
	v_lshlrev_b32_e32 v9, 2, v9
	ds_bpermute_b32 v33, v9, v12
	s_and_saveexec_b32 s2, vcc_lo
	s_cbranch_execz .LBB1730_75
; %bb.37:
	v_mov_b32_e32 v12, 0
	ds_load_b64 v[9:10], v12 offset:56
	s_and_saveexec_b32 s3, s1
	s_cbranch_execz .LBB1730_39
; %bb.38:
	s_add_co_i32 s6, ttmp9, 32
	s_mov_b32 s7, 0
	s_wait_alu 0xfffe
	s_lshl_b64 s[6:7], s[6:7], 4
	s_wait_kmcnt 0x0
	s_wait_alu 0xfffe
	s_add_nc_u64 s[6:7], s[4:5], s[6:7]
	s_wait_alu 0xfffe
	v_dual_mov_b32 v11, 1 :: v_dual_mov_b32 v14, s7
	v_mov_b32_e32 v13, s6
	s_wait_dscnt 0x0
	;;#ASMSTART
	global_store_b128 v[13:14], v[9:12] off scope:SCOPE_DEV	
s_wait_storecnt 0x0
	;;#ASMEND
.LBB1730_39:
	s_wait_alu 0xfffe
	s_or_b32 exec_lo, exec_lo, s3
	v_xad_u32 v21, v31, -1, ttmp9
	s_mov_b32 s6, 0
	s_mov_b32 s3, exec_lo
	s_delay_alu instid0(VALU_DEP_1) | instskip(NEXT) | instid1(VALU_DEP_1)
	v_add_nc_u32_e32 v11, 32, v21
	v_lshlrev_b64_e32 v[11:12], 4, v[11:12]
	s_wait_kmcnt 0x0
	s_delay_alu instid0(VALU_DEP_1) | instskip(SKIP_1) | instid1(VALU_DEP_2)
	v_add_co_u32 v11, vcc_lo, s4, v11
	s_wait_alu 0xfffd
	v_add_co_ci_u32_e64 v12, null, s5, v12, vcc_lo
	;;#ASMSTART
	global_load_b128 v[13:16], v[11:12] off scope:SCOPE_DEV	
s_wait_loadcnt 0x0
	;;#ASMEND
	v_and_b32_e32 v16, 0xff, v15
	s_delay_alu instid0(VALU_DEP_1)
	v_cmpx_eq_u16_e32 0, v16
	s_cbranch_execz .LBB1730_42
.LBB1730_40:                            ; =>This Inner Loop Header: Depth=1
	;;#ASMSTART
	global_load_b128 v[13:16], v[11:12] off scope:SCOPE_DEV	
s_wait_loadcnt 0x0
	;;#ASMEND
	v_and_b32_e32 v16, 0xff, v15
	s_delay_alu instid0(VALU_DEP_1)
	v_cmp_ne_u16_e32 vcc_lo, 0, v16
	s_wait_alu 0xfffe
	s_or_b32 s6, vcc_lo, s6
	s_wait_alu 0xfffe
	s_and_not1_b32 exec_lo, exec_lo, s6
	s_cbranch_execnz .LBB1730_40
; %bb.41:
	s_or_b32 exec_lo, exec_lo, s6
.LBB1730_42:
	s_wait_alu 0xfffe
	s_or_b32 exec_lo, exec_lo, s3
	v_cmp_ne_u32_e32 vcc_lo, 31, v31
	v_and_b32_e32 v12, 0xff, v15
	v_lshlrev_b32_e64 v35, v31, -1
	s_mov_b32 s3, exec_lo
	s_wait_alu 0xfffd
	v_add_co_ci_u32_e64 v11, null, 0, v31, vcc_lo
	v_cmp_eq_u16_e32 vcc_lo, 2, v12
	v_mov_b32_e32 v12, v13
	s_delay_alu instid0(VALU_DEP_3)
	v_lshlrev_b32_e32 v34, 2, v11
	s_wait_alu 0xfffd
	v_and_or_b32 v11, vcc_lo, v35, 0x80000000
	ds_bpermute_b32 v22, v34, v13
	ds_bpermute_b32 v16, v34, v14
	v_ctz_i32_b32_e32 v11, v11
	s_delay_alu instid0(VALU_DEP_1)
	v_cmpx_lt_u32_e64 v31, v11
	s_cbranch_execz .LBB1730_44
; %bb.43:
	s_wait_dscnt 0x1
	v_add_co_u32 v12, vcc_lo, v13, v22
	s_wait_alu 0xfffd
	v_add_co_ci_u32_e64 v14, null, 0, v14, vcc_lo
	s_delay_alu instid0(VALU_DEP_2) | instskip(SKIP_2) | instid1(VALU_DEP_2)
	v_add_co_u32 v13, vcc_lo, 0, v12
	s_wait_dscnt 0x0
	s_wait_alu 0xfffd
	v_add_co_ci_u32_e64 v14, null, v16, v14, vcc_lo
.LBB1730_44:
	s_wait_alu 0xfffe
	s_or_b32 exec_lo, exec_lo, s3
	v_cmp_gt_u32_e32 vcc_lo, 30, v31
	v_add_nc_u32_e32 v37, 2, v31
	s_mov_b32 s3, exec_lo
	s_wait_dscnt 0x0
	s_wait_alu 0xfffd
	v_cndmask_b32_e64 v16, 0, 2, vcc_lo
	s_delay_alu instid0(VALU_DEP_1)
	v_add_lshl_u32 v36, v16, v31, 2
	ds_bpermute_b32 v22, v36, v12
	ds_bpermute_b32 v16, v36, v14
	v_cmpx_le_u32_e64 v37, v11
	s_cbranch_execz .LBB1730_46
; %bb.45:
	s_wait_dscnt 0x1
	v_add_co_u32 v12, vcc_lo, v13, v22
	s_wait_alu 0xfffd
	v_add_co_ci_u32_e64 v14, null, 0, v14, vcc_lo
	s_delay_alu instid0(VALU_DEP_2) | instskip(SKIP_2) | instid1(VALU_DEP_2)
	v_add_co_u32 v13, vcc_lo, 0, v12
	s_wait_dscnt 0x0
	s_wait_alu 0xfffd
	v_add_co_ci_u32_e64 v14, null, v16, v14, vcc_lo
.LBB1730_46:
	s_wait_alu 0xfffe
	s_or_b32 exec_lo, exec_lo, s3
	v_cmp_gt_u32_e32 vcc_lo, 28, v31
	v_add_nc_u32_e32 v39, 4, v31
	s_mov_b32 s3, exec_lo
	s_wait_dscnt 0x0
	s_wait_alu 0xfffd
	v_cndmask_b32_e64 v16, 0, 4, vcc_lo
	s_delay_alu instid0(VALU_DEP_1)
	v_add_lshl_u32 v38, v16, v31, 2
	ds_bpermute_b32 v22, v38, v12
	ds_bpermute_b32 v16, v38, v14
	v_cmpx_le_u32_e64 v39, v11
	;; [unrolled: 25-line block ×3, first 2 shown]
	s_cbranch_execz .LBB1730_50
; %bb.49:
	s_wait_dscnt 0x1
	v_add_co_u32 v12, vcc_lo, v13, v22
	s_wait_alu 0xfffd
	v_add_co_ci_u32_e64 v14, null, 0, v14, vcc_lo
	s_delay_alu instid0(VALU_DEP_2) | instskip(SKIP_2) | instid1(VALU_DEP_2)
	v_add_co_u32 v13, vcc_lo, 0, v12
	s_wait_dscnt 0x0
	s_wait_alu 0xfffd
	v_add_co_ci_u32_e64 v14, null, v16, v14, vcc_lo
.LBB1730_50:
	s_wait_alu 0xfffe
	s_or_b32 exec_lo, exec_lo, s3
	v_lshl_or_b32 v42, v31, 2, 64
	v_add_nc_u32_e32 v43, 16, v31
	s_mov_b32 s3, exec_lo
	s_wait_dscnt 0x0
	ds_bpermute_b32 v16, v42, v12
	ds_bpermute_b32 v12, v42, v14
	v_cmpx_le_u32_e64 v43, v11
	s_cbranch_execz .LBB1730_52
; %bb.51:
	s_wait_dscnt 0x1
	v_add_co_u32 v11, vcc_lo, v13, v16
	s_wait_alu 0xfffd
	v_add_co_ci_u32_e64 v14, null, 0, v14, vcc_lo
	s_delay_alu instid0(VALU_DEP_2) | instskip(SKIP_2) | instid1(VALU_DEP_2)
	v_add_co_u32 v13, vcc_lo, v11, 0
	s_wait_dscnt 0x0
	s_wait_alu 0xfffd
	v_add_co_ci_u32_e64 v14, null, v14, v12, vcc_lo
.LBB1730_52:
	s_wait_alu 0xfffe
	s_or_b32 exec_lo, exec_lo, s3
	v_mov_b32_e32 v22, 0
	s_branch .LBB1730_55
.LBB1730_53:                            ;   in Loop: Header=BB1730_55 Depth=1
	s_wait_alu 0xfffe
	s_or_b32 exec_lo, exec_lo, s3
	v_add_co_u32 v13, vcc_lo, v13, v11
	v_subrev_nc_u32_e32 v21, 32, v21
	s_wait_alu 0xfffd
	v_add_co_ci_u32_e64 v14, null, v14, v12, vcc_lo
	s_mov_b32 s3, 0
.LBB1730_54:                            ;   in Loop: Header=BB1730_55 Depth=1
	s_wait_alu 0xfffe
	s_and_b32 vcc_lo, exec_lo, s3
	s_wait_alu 0xfffe
	s_cbranch_vccnz .LBB1730_71
.LBB1730_55:                            ; =>This Loop Header: Depth=1
                                        ;     Child Loop BB1730_58 Depth 2
	v_and_b32_e32 v11, 0xff, v15
	s_mov_b32 s3, -1
	s_delay_alu instid0(VALU_DEP_1)
	v_cmp_ne_u16_e32 vcc_lo, 2, v11
	s_wait_dscnt 0x0
	v_dual_mov_b32 v11, v13 :: v_dual_mov_b32 v12, v14
                                        ; implicit-def: $vgpr13_vgpr14
	s_cmp_lg_u32 vcc_lo, exec_lo
	s_cbranch_scc1 .LBB1730_54
; %bb.56:                               ;   in Loop: Header=BB1730_55 Depth=1
	v_lshlrev_b64_e32 v[13:14], 4, v[21:22]
	s_mov_b32 s3, exec_lo
	s_delay_alu instid0(VALU_DEP_1) | instskip(SKIP_1) | instid1(VALU_DEP_2)
	v_add_co_u32 v23, vcc_lo, s4, v13
	s_wait_alu 0xfffd
	v_add_co_ci_u32_e64 v24, null, s5, v14, vcc_lo
	;;#ASMSTART
	global_load_b128 v[13:16], v[23:24] off scope:SCOPE_DEV	
s_wait_loadcnt 0x0
	;;#ASMEND
	v_and_b32_e32 v16, 0xff, v15
	s_delay_alu instid0(VALU_DEP_1)
	v_cmpx_eq_u16_e32 0, v16
	s_cbranch_execz .LBB1730_60
; %bb.57:                               ;   in Loop: Header=BB1730_55 Depth=1
	s_mov_b32 s6, 0
.LBB1730_58:                            ;   Parent Loop BB1730_55 Depth=1
                                        ; =>  This Inner Loop Header: Depth=2
	;;#ASMSTART
	global_load_b128 v[13:16], v[23:24] off scope:SCOPE_DEV	
s_wait_loadcnt 0x0
	;;#ASMEND
	v_and_b32_e32 v16, 0xff, v15
	s_delay_alu instid0(VALU_DEP_1)
	v_cmp_ne_u16_e32 vcc_lo, 0, v16
	s_wait_alu 0xfffe
	s_or_b32 s6, vcc_lo, s6
	s_wait_alu 0xfffe
	s_and_not1_b32 exec_lo, exec_lo, s6
	s_cbranch_execnz .LBB1730_58
; %bb.59:                               ;   in Loop: Header=BB1730_55 Depth=1
	s_or_b32 exec_lo, exec_lo, s6
.LBB1730_60:                            ;   in Loop: Header=BB1730_55 Depth=1
	s_wait_alu 0xfffe
	s_or_b32 exec_lo, exec_lo, s3
	v_dual_mov_b32 v23, v13 :: v_dual_and_b32 v16, 0xff, v15
	ds_bpermute_b32 v44, v34, v13
	ds_bpermute_b32 v24, v34, v14
	s_mov_b32 s3, exec_lo
	v_cmp_eq_u16_e32 vcc_lo, 2, v16
	s_wait_alu 0xfffd
	v_and_or_b32 v16, vcc_lo, v35, 0x80000000
	s_delay_alu instid0(VALU_DEP_1) | instskip(NEXT) | instid1(VALU_DEP_1)
	v_ctz_i32_b32_e32 v16, v16
	v_cmpx_lt_u32_e64 v31, v16
	s_cbranch_execz .LBB1730_62
; %bb.61:                               ;   in Loop: Header=BB1730_55 Depth=1
	s_wait_dscnt 0x1
	v_add_co_u32 v23, vcc_lo, v13, v44
	s_wait_alu 0xfffd
	v_add_co_ci_u32_e64 v14, null, 0, v14, vcc_lo
	s_delay_alu instid0(VALU_DEP_2) | instskip(SKIP_2) | instid1(VALU_DEP_2)
	v_add_co_u32 v13, vcc_lo, 0, v23
	s_wait_dscnt 0x0
	s_wait_alu 0xfffd
	v_add_co_ci_u32_e64 v14, null, v24, v14, vcc_lo
.LBB1730_62:                            ;   in Loop: Header=BB1730_55 Depth=1
	s_wait_alu 0xfffe
	s_or_b32 exec_lo, exec_lo, s3
	s_wait_dscnt 0x1
	ds_bpermute_b32 v44, v36, v23
	s_wait_dscnt 0x1
	ds_bpermute_b32 v24, v36, v14
	s_mov_b32 s3, exec_lo
	v_cmpx_le_u32_e64 v37, v16
	s_cbranch_execz .LBB1730_64
; %bb.63:                               ;   in Loop: Header=BB1730_55 Depth=1
	s_wait_dscnt 0x1
	v_add_co_u32 v23, vcc_lo, v13, v44
	s_wait_alu 0xfffd
	v_add_co_ci_u32_e64 v14, null, 0, v14, vcc_lo
	s_delay_alu instid0(VALU_DEP_2) | instskip(SKIP_2) | instid1(VALU_DEP_2)
	v_add_co_u32 v13, vcc_lo, 0, v23
	s_wait_dscnt 0x0
	s_wait_alu 0xfffd
	v_add_co_ci_u32_e64 v14, null, v24, v14, vcc_lo
.LBB1730_64:                            ;   in Loop: Header=BB1730_55 Depth=1
	s_wait_alu 0xfffe
	s_or_b32 exec_lo, exec_lo, s3
	s_wait_dscnt 0x1
	ds_bpermute_b32 v44, v38, v23
	s_wait_dscnt 0x1
	ds_bpermute_b32 v24, v38, v14
	s_mov_b32 s3, exec_lo
	v_cmpx_le_u32_e64 v39, v16
	;; [unrolled: 20-line block ×3, first 2 shown]
	s_cbranch_execz .LBB1730_68
; %bb.67:                               ;   in Loop: Header=BB1730_55 Depth=1
	s_wait_dscnt 0x1
	v_add_co_u32 v23, vcc_lo, v13, v44
	s_wait_alu 0xfffd
	v_add_co_ci_u32_e64 v14, null, 0, v14, vcc_lo
	s_delay_alu instid0(VALU_DEP_2) | instskip(SKIP_2) | instid1(VALU_DEP_2)
	v_add_co_u32 v13, vcc_lo, 0, v23
	s_wait_dscnt 0x0
	s_wait_alu 0xfffd
	v_add_co_ci_u32_e64 v14, null, v24, v14, vcc_lo
.LBB1730_68:                            ;   in Loop: Header=BB1730_55 Depth=1
	s_wait_alu 0xfffe
	s_or_b32 exec_lo, exec_lo, s3
	s_wait_dscnt 0x0
	ds_bpermute_b32 v24, v42, v23
	ds_bpermute_b32 v23, v42, v14
	s_mov_b32 s3, exec_lo
	v_cmpx_le_u32_e64 v43, v16
	s_cbranch_execz .LBB1730_53
; %bb.69:                               ;   in Loop: Header=BB1730_55 Depth=1
	s_wait_dscnt 0x1
	v_add_co_u32 v13, vcc_lo, v13, v24
	s_wait_alu 0xfffd
	v_add_co_ci_u32_e64 v14, null, 0, v14, vcc_lo
	s_delay_alu instid0(VALU_DEP_2) | instskip(SKIP_2) | instid1(VALU_DEP_2)
	v_add_co_u32 v13, vcc_lo, v13, 0
	s_wait_dscnt 0x0
	s_wait_alu 0xfffd
	v_add_co_ci_u32_e64 v14, null, v14, v23, vcc_lo
	s_branch .LBB1730_53
.LBB1730_70:
                                        ; implicit-def: $vgpr13_vgpr14
                                        ; implicit-def: $vgpr19_vgpr20
                                        ; implicit-def: $vgpr11_vgpr12
                                        ; implicit-def: $vgpr14_vgpr15
                                        ; implicit-def: $vgpr15_vgpr16
	s_and_b32 vcc_lo, exec_lo, s1
	s_wait_alu 0xfffe
	s_cbranch_vccnz .LBB1730_76
	s_branch .LBB1730_101
.LBB1730_71:
	s_and_saveexec_b32 s3, s1
	s_cbranch_execz .LBB1730_73
; %bb.72:
	s_add_co_i32 s6, ttmp9, 32
	s_mov_b32 s7, 0
	v_add_co_u32 v13, vcc_lo, v11, v9
	s_wait_alu 0xfffe
	s_lshl_b64 s[6:7], s[6:7], 4
	v_dual_mov_b32 v15, 2 :: v_dual_mov_b32 v16, 0
	s_wait_alu 0xfffe
	s_add_nc_u64 s[6:7], s[4:5], s[6:7]
	s_wait_alu 0xfffd
	v_add_co_ci_u32_e64 v14, null, v12, v10, vcc_lo
	s_wait_alu 0xfffe
	v_dual_mov_b32 v22, s7 :: v_dual_mov_b32 v21, s6
	;;#ASMSTART
	global_store_b128 v[21:22], v[13:16] off scope:SCOPE_DEV	
s_wait_storecnt 0x0
	;;#ASMEND
	ds_store_b128 v16, v[9:12] offset:8448
.LBB1730_73:
	s_wait_alu 0xfffe
	s_or_b32 exec_lo, exec_lo, s3
	v_cmp_eq_u32_e32 vcc_lo, 0, v0
	s_and_b32 exec_lo, exec_lo, vcc_lo
; %bb.74:
	v_mov_b32_e32 v9, 0
	ds_store_b64 v9, v[11:12] offset:56
.LBB1730_75:
	s_wait_alu 0xfffe
	s_or_b32 exec_lo, exec_lo, s2
	s_wait_dscnt 0x0
	v_cndmask_b32_e64 v10, v33, v19, s1
	v_cmp_ne_u32_e32 vcc_lo, 0, v0
	v_mov_b32_e32 v9, 0
	s_wait_loadcnt 0x0
	s_barrier_signal -1
	s_barrier_wait -1
	global_inv scope:SCOPE_SE
	s_wait_alu 0xfffd
	v_cndmask_b32_e32 v16, 0, v10, vcc_lo
	ds_load_b64 v[13:14], v9 offset:56
	v_cndmask_b32_e64 v11, 0, v20, s1
	s_wait_loadcnt_dscnt 0x0
	s_barrier_signal -1
	s_barrier_wait -1
	global_inv scope:SCOPE_SE
	v_cndmask_b32_e32 v15, 0, v11, vcc_lo
	ds_load_b128 v[9:12], v9 offset:8448
	v_add_co_u32 v19, vcc_lo, v13, v16
	s_wait_alu 0xfffd
	v_add_co_ci_u32_e64 v13, null, v14, v15, vcc_lo
	s_delay_alu instid0(VALU_DEP_2) | instskip(SKIP_1) | instid1(VALU_DEP_2)
	v_add_co_u32 v15, vcc_lo, v19, v29
	s_wait_alu 0xfffd
	v_add_co_ci_u32_e64 v13, null, 0, v13, vcc_lo
	s_delay_alu instid0(VALU_DEP_2) | instskip(SKIP_1) | instid1(VALU_DEP_2)
	;; [unrolled: 4-line block ×3, first 2 shown]
	v_add_co_u32 v13, vcc_lo, v14, v30
	s_wait_alu 0xfffd
	v_add_co_ci_u32_e64 v16, null, 0, v16, vcc_lo
	s_branch .LBB1730_101
.LBB1730_76:
	s_wait_dscnt 0x0
	v_dual_mov_b32 v10, 0 :: v_dual_mov_b32 v11, v17
	v_mov_b32_dpp v12, v17 row_shr:1 row_mask:0xf bank_mask:0xf
	s_delay_alu instid0(VALU_DEP_2)
	v_mov_b32_dpp v9, v10 row_shr:1 row_mask:0xf bank_mask:0xf
	s_and_saveexec_b32 s1, s0
; %bb.77:
	s_delay_alu instid0(VALU_DEP_2) | instskip(SKIP_2) | instid1(VALU_DEP_2)
	v_add_co_u32 v11, vcc_lo, v17, v12
	s_wait_alu 0xfffd
	v_add_co_ci_u32_e64 v10, null, 0, v18, vcc_lo
	v_add_co_u32 v17, vcc_lo, 0, v11
	s_wait_alu 0xfffd
	s_delay_alu instid0(VALU_DEP_2) | instskip(NEXT) | instid1(VALU_DEP_1)
	v_add_co_ci_u32_e64 v18, null, v9, v10, vcc_lo
	v_mov_b32_e32 v10, v18
; %bb.78:
	s_wait_alu 0xfffe
	s_or_b32 exec_lo, exec_lo, s1
	v_mov_b32_dpp v9, v11 row_shr:2 row_mask:0xf bank_mask:0xf
	s_delay_alu instid0(VALU_DEP_2)
	v_mov_b32_dpp v12, v10 row_shr:2 row_mask:0xf bank_mask:0xf
	s_mov_b32 s0, exec_lo
	v_cmpx_lt_u32_e32 1, v32
; %bb.79:
	s_delay_alu instid0(VALU_DEP_3) | instskip(SKIP_2) | instid1(VALU_DEP_2)
	v_add_co_u32 v11, vcc_lo, v17, v9
	s_wait_alu 0xfffd
	v_add_co_ci_u32_e64 v10, null, 0, v18, vcc_lo
	v_add_co_u32 v9, vcc_lo, 0, v11
	s_wait_alu 0xfffd
	s_delay_alu instid0(VALU_DEP_2) | instskip(NEXT) | instid1(VALU_DEP_1)
	v_add_co_ci_u32_e64 v10, null, v12, v10, vcc_lo
	v_dual_mov_b32 v18, v10 :: v_dual_mov_b32 v17, v9
; %bb.80:
	s_wait_alu 0xfffe
	s_or_b32 exec_lo, exec_lo, s0
	v_mov_b32_dpp v9, v11 row_shr:4 row_mask:0xf bank_mask:0xf
	v_mov_b32_dpp v12, v10 row_shr:4 row_mask:0xf bank_mask:0xf
	s_mov_b32 s0, exec_lo
	v_cmpx_lt_u32_e32 3, v32
; %bb.81:
	s_delay_alu instid0(VALU_DEP_3) | instskip(SKIP_2) | instid1(VALU_DEP_2)
	v_add_co_u32 v11, vcc_lo, v17, v9
	s_wait_alu 0xfffd
	v_add_co_ci_u32_e64 v10, null, 0, v18, vcc_lo
	v_add_co_u32 v9, vcc_lo, 0, v11
	s_wait_alu 0xfffd
	s_delay_alu instid0(VALU_DEP_2) | instskip(NEXT) | instid1(VALU_DEP_1)
	v_add_co_ci_u32_e64 v10, null, v12, v10, vcc_lo
	v_dual_mov_b32 v18, v10 :: v_dual_mov_b32 v17, v9
; %bb.82:
	s_wait_alu 0xfffe
	s_or_b32 exec_lo, exec_lo, s0
	v_mov_b32_dpp v12, v11 row_shr:8 row_mask:0xf bank_mask:0xf
	v_mov_b32_dpp v9, v10 row_shr:8 row_mask:0xf bank_mask:0xf
	s_mov_b32 s0, exec_lo
	v_cmpx_lt_u32_e32 7, v32
; %bb.83:
	s_delay_alu instid0(VALU_DEP_3) | instskip(SKIP_2) | instid1(VALU_DEP_2)
	v_add_co_u32 v11, vcc_lo, v17, v12
	s_wait_alu 0xfffd
	v_add_co_ci_u32_e64 v10, null, 0, v18, vcc_lo
	v_add_co_u32 v17, vcc_lo, 0, v11
	s_wait_alu 0xfffd
	s_delay_alu instid0(VALU_DEP_2) | instskip(NEXT) | instid1(VALU_DEP_1)
	v_add_co_ci_u32_e64 v18, null, v9, v10, vcc_lo
	v_mov_b32_e32 v10, v18
; %bb.84:
	s_wait_alu 0xfffe
	s_or_b32 exec_lo, exec_lo, s0
	ds_swizzle_b32 v11, v11 offset:swizzle(BROADCAST,32,15)
	ds_swizzle_b32 v9, v10 offset:swizzle(BROADCAST,32,15)
	v_and_b32_e32 v10, 16, v31
	s_mov_b32 s0, exec_lo
	s_delay_alu instid0(VALU_DEP_1)
	v_cmpx_ne_u32_e32 0, v10
	s_cbranch_execz .LBB1730_86
; %bb.85:
	s_wait_dscnt 0x1
	v_add_co_u32 v10, vcc_lo, v17, v11
	s_wait_alu 0xfffd
	v_add_co_ci_u32_e64 v11, null, 0, v18, vcc_lo
	s_delay_alu instid0(VALU_DEP_2) | instskip(SKIP_2) | instid1(VALU_DEP_2)
	v_add_co_u32 v17, vcc_lo, v10, 0
	s_wait_dscnt 0x0
	s_wait_alu 0xfffd
	v_add_co_ci_u32_e64 v18, null, v11, v9, vcc_lo
.LBB1730_86:
	s_wait_alu 0xfffe
	s_or_b32 exec_lo, exec_lo, s0
	s_wait_dscnt 0x0
	v_or_b32_e32 v9, 31, v0
	v_lshrrev_b32_e32 v11, 5, v0
	s_mov_b32 s0, exec_lo
	s_delay_alu instid0(VALU_DEP_2)
	v_cmpx_eq_u32_e64 v0, v9
; %bb.87:
	s_delay_alu instid0(VALU_DEP_2)
	v_lshlrev_b32_e32 v9, 3, v11
	ds_store_b64 v9, v[17:18]
; %bb.88:
	s_wait_alu 0xfffe
	s_or_b32 exec_lo, exec_lo, s0
	s_delay_alu instid0(SALU_CYCLE_1)
	s_mov_b32 s0, exec_lo
	s_wait_loadcnt_dscnt 0x0
	s_barrier_signal -1
	s_barrier_wait -1
	global_inv scope:SCOPE_SE
	v_cmpx_gt_u32_e32 8, v0
	s_cbranch_execz .LBB1730_96
; %bb.89:
	v_lshlrev_b32_e32 v12, 3, v0
	s_mov_b32 s1, exec_lo
	ds_load_b64 v[9:10], v12
	s_wait_dscnt 0x0
	v_dual_mov_b32 v14, v9 :: v_dual_and_b32 v13, 7, v31
	v_mov_b32_dpp v16, v9 row_shr:1 row_mask:0xf bank_mask:0xf
	v_mov_b32_dpp v15, v10 row_shr:1 row_mask:0xf bank_mask:0xf
	s_delay_alu instid0(VALU_DEP_3)
	v_cmpx_ne_u32_e32 0, v13
; %bb.90:
	s_delay_alu instid0(VALU_DEP_3) | instskip(SKIP_2) | instid1(VALU_DEP_2)
	v_add_co_u32 v14, vcc_lo, v9, v16
	s_wait_alu 0xfffd
	v_add_co_ci_u32_e64 v10, null, 0, v10, vcc_lo
	v_add_co_u32 v9, vcc_lo, 0, v14
	s_wait_alu 0xfffd
	s_delay_alu instid0(VALU_DEP_2)
	v_add_co_ci_u32_e64 v10, null, v15, v10, vcc_lo
; %bb.91:
	s_wait_alu 0xfffe
	s_or_b32 exec_lo, exec_lo, s1
	v_mov_b32_dpp v16, v14 row_shr:2 row_mask:0xf bank_mask:0xf
	s_delay_alu instid0(VALU_DEP_2)
	v_mov_b32_dpp v15, v10 row_shr:2 row_mask:0xf bank_mask:0xf
	s_mov_b32 s1, exec_lo
	v_cmpx_lt_u32_e32 1, v13
; %bb.92:
	s_delay_alu instid0(VALU_DEP_3) | instskip(SKIP_2) | instid1(VALU_DEP_2)
	v_add_co_u32 v14, vcc_lo, v9, v16
	s_wait_alu 0xfffd
	v_add_co_ci_u32_e64 v10, null, 0, v10, vcc_lo
	v_add_co_u32 v9, vcc_lo, 0, v14
	s_wait_alu 0xfffd
	s_delay_alu instid0(VALU_DEP_2)
	v_add_co_ci_u32_e64 v10, null, v15, v10, vcc_lo
; %bb.93:
	s_wait_alu 0xfffe
	s_or_b32 exec_lo, exec_lo, s1
	v_mov_b32_dpp v15, v14 row_shr:4 row_mask:0xf bank_mask:0xf
	s_delay_alu instid0(VALU_DEP_2)
	v_mov_b32_dpp v14, v10 row_shr:4 row_mask:0xf bank_mask:0xf
	s_mov_b32 s1, exec_lo
	v_cmpx_lt_u32_e32 3, v13
; %bb.94:
	s_delay_alu instid0(VALU_DEP_3) | instskip(SKIP_2) | instid1(VALU_DEP_2)
	v_add_co_u32 v9, vcc_lo, v9, v15
	s_wait_alu 0xfffd
	v_add_co_ci_u32_e64 v10, null, 0, v10, vcc_lo
	v_add_co_u32 v9, vcc_lo, v9, 0
	s_wait_alu 0xfffd
	s_delay_alu instid0(VALU_DEP_2)
	v_add_co_ci_u32_e64 v10, null, v10, v14, vcc_lo
; %bb.95:
	s_wait_alu 0xfffe
	s_or_b32 exec_lo, exec_lo, s1
	ds_store_b64 v12, v[9:10]
.LBB1730_96:
	s_wait_alu 0xfffe
	s_or_b32 exec_lo, exec_lo, s0
	v_mov_b32_e32 v13, 0
	v_mov_b32_e32 v14, 0
	s_mov_b32 s0, exec_lo
	s_wait_loadcnt_dscnt 0x0
	s_barrier_signal -1
	s_barrier_wait -1
	global_inv scope:SCOPE_SE
	v_cmpx_lt_u32_e32 31, v0
; %bb.97:
	v_lshl_add_u32 v9, v11, 3, -8
	ds_load_b64 v[13:14], v9
; %bb.98:
	s_wait_alu 0xfffe
	s_or_b32 exec_lo, exec_lo, s0
	v_sub_co_u32 v9, vcc_lo, v31, 1
	s_wait_dscnt 0x0
	v_add_nc_u32_e32 v10, v13, v17
	v_mov_b32_e32 v12, 0
	s_delay_alu instid0(VALU_DEP_3) | instskip(SKIP_1) | instid1(VALU_DEP_1)
	v_cmp_gt_i32_e64 s0, 0, v9
	s_wait_alu 0xf1ff
	v_cndmask_b32_e64 v9, v9, v31, s0
	v_cmp_eq_u32_e64 s0, 0, v0
	s_delay_alu instid0(VALU_DEP_2)
	v_lshlrev_b32_e32 v9, 2, v9
	ds_bpermute_b32 v15, v9, v10
	ds_load_b64 v[9:10], v12 offset:56
	s_and_saveexec_b32 s1, s0
	s_cbranch_execz .LBB1730_100
; %bb.99:
	s_wait_kmcnt 0x0
	s_add_nc_u64 s[2:3], s[4:5], 0x200
	v_mov_b32_e32 v11, 2
	s_wait_alu 0xfffe
	v_dual_mov_b32 v17, s3 :: v_dual_mov_b32 v16, s2
	s_wait_dscnt 0x0
	;;#ASMSTART
	global_store_b128 v[16:17], v[9:12] off scope:SCOPE_DEV	
s_wait_storecnt 0x0
	;;#ASMEND
.LBB1730_100:
	s_wait_alu 0xfffe
	s_or_b32 exec_lo, exec_lo, s1
	s_wait_dscnt 0x1
	s_wait_alu 0xfffd
	v_dual_cndmask_b32 v11, v15, v13 :: v_dual_cndmask_b32 v12, 0, v14
	s_wait_loadcnt_dscnt 0x0
	s_barrier_signal -1
	s_barrier_wait -1
	s_delay_alu instid0(VALU_DEP_1)
	v_cndmask_b32_e64 v19, v11, 0, s0
	v_cndmask_b32_e64 v11, v12, 0, s0
	global_inv scope:SCOPE_SE
	v_add_co_u32 v15, vcc_lo, v19, v29
	s_wait_alu 0xfffd
	v_add_co_ci_u32_e64 v11, null, 0, v11, vcc_lo
	s_delay_alu instid0(VALU_DEP_2) | instskip(SKIP_1) | instid1(VALU_DEP_2)
	v_add_co_u32 v14, vcc_lo, v15, v28
	s_wait_alu 0xfffd
	v_add_co_ci_u32_e64 v16, null, 0, v11, vcc_lo
	v_mov_b32_e32 v11, 0
	v_mov_b32_e32 v12, 0
	v_add_co_u32 v13, vcc_lo, v14, v30
	s_wait_alu 0xfffd
	v_add_co_ci_u32_e64 v16, null, 0, v16, vcc_lo
.LBB1730_101:
	s_wait_dscnt 0x0
	v_cmp_gt_u64_e32 vcc_lo, 0x101, v[9:10]
	s_cbranch_vccz .LBB1730_104
; %bb.102:
	v_cmp_eq_u32_e32 vcc_lo, 0, v0
	s_and_b32 s0, vcc_lo, s13
	s_wait_alu 0xfffe
	s_and_saveexec_b32 s1, s0
	s_cbranch_execnz .LBB1730_113
.LBB1730_103:
	s_endpgm
.LBB1730_104:
	v_and_b32_e32 v16, 1, v27
	s_mov_b32 s0, exec_lo
	s_delay_alu instid0(VALU_DEP_1)
	v_cmpx_eq_u32_e32 1, v16
; %bb.105:
	v_sub_nc_u32_e32 v16, v19, v11
	s_delay_alu instid0(VALU_DEP_1)
	v_lshlrev_b32_e32 v16, 3, v16
	ds_store_b64 v16, v[1:2]
; %bb.106:
	s_wait_alu 0xfffe
	s_or_b32 exec_lo, exec_lo, s0
	v_and_b32_e32 v1, 1, v26
	s_mov_b32 s0, exec_lo
	s_delay_alu instid0(VALU_DEP_1)
	v_cmpx_eq_u32_e32 1, v1
; %bb.107:
	v_sub_nc_u32_e32 v1, v15, v11
	s_delay_alu instid0(VALU_DEP_1)
	v_lshlrev_b32_e32 v1, 3, v1
	ds_store_b64 v1, v[5:6]
; %bb.108:
	s_wait_alu 0xfffe
	s_or_b32 exec_lo, exec_lo, s0
	;; [unrolled: 12-line block ×3, first 2 shown]
	s_and_saveexec_b32 s0, s12
; %bb.111:
	v_sub_nc_u32_e32 v1, v13, v11
	s_delay_alu instid0(VALU_DEP_1)
	v_lshlrev_b32_e32 v1, 3, v1
	ds_store_b64 v1, v[3:4]
; %bb.112:
	s_wait_alu 0xfffe
	s_or_b32 exec_lo, exec_lo, s0
	s_wait_loadcnt_dscnt 0x0
	s_barrier_signal -1
	s_barrier_wait -1
	global_inv scope:SCOPE_SE
	v_cmp_eq_u32_e32 vcc_lo, 0, v0
	s_and_b32 s0, vcc_lo, s13
	s_wait_alu 0xfffe
	s_and_saveexec_b32 s1, s0
	s_cbranch_execz .LBB1730_103
.LBB1730_113:
	v_add_co_u32 v0, vcc_lo, v9, s10
	s_wait_alu 0xfffd
	v_add_co_ci_u32_e64 v1, null, s11, v10, vcc_lo
	v_mov_b32_e32 v2, 0
	s_delay_alu instid0(VALU_DEP_3) | instskip(SKIP_1) | instid1(VALU_DEP_3)
	v_add_co_u32 v0, vcc_lo, v0, v11
	s_wait_alu 0xfffd
	v_add_co_ci_u32_e64 v1, null, v1, v12, vcc_lo
	global_store_b64 v2, v[0:1], s[8:9]
	s_endpgm
.LBB1730_114:
	v_dual_mov_b32 v15, v1 :: v_dual_lshlrev_b32 v2, 3, v0
	v_dual_mov_b32 v16, v1 :: v_dual_mov_b32 v17, v1
	v_dual_mov_b32 v18, v1 :: v_dual_mov_b32 v19, v1
	s_delay_alu instid0(VALU_DEP_3)
	v_add_co_u32 v2, s12, s2, v2
	s_wait_alu 0xf1ff
	v_add_co_ci_u32_e64 v3, null, s3, 0, s12
	v_mov_b32_e32 v20, v1
	flat_load_b64 v[13:14], v[2:3]
	s_wait_loadcnt_dscnt 0x0
	v_dual_mov_b32 v1, v13 :: v_dual_mov_b32 v2, v14
	v_dual_mov_b32 v3, v15 :: v_dual_mov_b32 v4, v16
	;; [unrolled: 1-line block ×4, first 2 shown]
	s_wait_alu 0xfffe
	s_or_b32 exec_lo, exec_lo, s5
	s_delay_alu instid0(SALU_CYCLE_1)
	s_mov_b32 s5, exec_lo
	v_cmpx_gt_u32_e64 s14, v12
	s_cbranch_execz .LBB1730_5
.LBB1730_115:
	v_lshlrev_b32_e32 v3, 3, v0
	s_delay_alu instid0(VALU_DEP_1)
	v_add_co_u32 v3, s12, s2, v3
	s_wait_alu 0xf1ff
	v_add_co_ci_u32_e64 v4, null, s3, 0, s12
	flat_load_b64 v[3:4], v[3:4] offset:2048
	s_wait_alu 0xfffe
	s_or_b32 exec_lo, exec_lo, s5
	s_delay_alu instid0(SALU_CYCLE_1)
	s_mov_b32 s5, exec_lo
	v_cmpx_gt_u32_e64 s14, v11
	s_cbranch_execz .LBB1730_6
.LBB1730_116:
	v_lshlrev_b32_e32 v5, 3, v0
	s_delay_alu instid0(VALU_DEP_1)
	v_add_co_u32 v5, s12, s2, v5
	s_wait_alu 0xf1ff
	v_add_co_ci_u32_e64 v6, null, s3, 0, s12
	flat_load_b64 v[5:6], v[5:6] offset:4096
	s_wait_alu 0xfffe
	s_or_b32 exec_lo, exec_lo, s5
	s_delay_alu instid0(SALU_CYCLE_1)
	s_mov_b32 s5, exec_lo
	v_cmpx_gt_u32_e64 s14, v10
	s_cbranch_execnz .LBB1730_7
	s_branch .LBB1730_8
	.section	.rodata,"a",@progbits
	.p2align	6, 0x0
	.amdhsa_kernel _ZN7rocprim17ROCPRIM_400000_NS6detail17trampoline_kernelINS0_14default_configENS1_25partition_config_selectorILNS1_17partition_subalgoE6ExNS0_10empty_typeEbEEZZNS1_14partition_implILS5_6ELb0ES3_mN6thrust23THRUST_200600_302600_NS6detail15normal_iteratorINSA_10device_ptrIxEEEEPS6_SG_NS0_5tupleIJNSA_16discard_iteratorINSA_11use_defaultEEES6_EEENSH_IJSG_SG_EEES6_PlJNSB_9not_fun_tINSB_14equal_to_valueIxEEEEEEE10hipError_tPvRmT3_T4_T5_T6_T7_T9_mT8_P12ihipStream_tbDpT10_ENKUlT_T0_E_clISt17integral_constantIbLb0EES1B_EEDaS16_S17_EUlS16_E_NS1_11comp_targetILNS1_3genE10ELNS1_11target_archE1200ELNS1_3gpuE4ELNS1_3repE0EEENS1_30default_config_static_selectorELNS0_4arch9wavefront6targetE0EEEvT1_
		.amdhsa_group_segment_fixed_size 8464
		.amdhsa_private_segment_fixed_size 0
		.amdhsa_kernarg_size 128
		.amdhsa_user_sgpr_count 2
		.amdhsa_user_sgpr_dispatch_ptr 0
		.amdhsa_user_sgpr_queue_ptr 0
		.amdhsa_user_sgpr_kernarg_segment_ptr 1
		.amdhsa_user_sgpr_dispatch_id 0
		.amdhsa_user_sgpr_private_segment_size 0
		.amdhsa_wavefront_size32 1
		.amdhsa_uses_dynamic_stack 0
		.amdhsa_enable_private_segment 0
		.amdhsa_system_sgpr_workgroup_id_x 1
		.amdhsa_system_sgpr_workgroup_id_y 0
		.amdhsa_system_sgpr_workgroup_id_z 0
		.amdhsa_system_sgpr_workgroup_info 0
		.amdhsa_system_vgpr_workitem_id 0
		.amdhsa_next_free_vgpr 45
		.amdhsa_next_free_sgpr 21
		.amdhsa_reserve_vcc 1
		.amdhsa_float_round_mode_32 0
		.amdhsa_float_round_mode_16_64 0
		.amdhsa_float_denorm_mode_32 3
		.amdhsa_float_denorm_mode_16_64 3
		.amdhsa_fp16_overflow 0
		.amdhsa_workgroup_processor_mode 1
		.amdhsa_memory_ordered 1
		.amdhsa_forward_progress 1
		.amdhsa_inst_pref_size 45
		.amdhsa_round_robin_scheduling 0
		.amdhsa_exception_fp_ieee_invalid_op 0
		.amdhsa_exception_fp_denorm_src 0
		.amdhsa_exception_fp_ieee_div_zero 0
		.amdhsa_exception_fp_ieee_overflow 0
		.amdhsa_exception_fp_ieee_underflow 0
		.amdhsa_exception_fp_ieee_inexact 0
		.amdhsa_exception_int_div_zero 0
	.end_amdhsa_kernel
	.section	.text._ZN7rocprim17ROCPRIM_400000_NS6detail17trampoline_kernelINS0_14default_configENS1_25partition_config_selectorILNS1_17partition_subalgoE6ExNS0_10empty_typeEbEEZZNS1_14partition_implILS5_6ELb0ES3_mN6thrust23THRUST_200600_302600_NS6detail15normal_iteratorINSA_10device_ptrIxEEEEPS6_SG_NS0_5tupleIJNSA_16discard_iteratorINSA_11use_defaultEEES6_EEENSH_IJSG_SG_EEES6_PlJNSB_9not_fun_tINSB_14equal_to_valueIxEEEEEEE10hipError_tPvRmT3_T4_T5_T6_T7_T9_mT8_P12ihipStream_tbDpT10_ENKUlT_T0_E_clISt17integral_constantIbLb0EES1B_EEDaS16_S17_EUlS16_E_NS1_11comp_targetILNS1_3genE10ELNS1_11target_archE1200ELNS1_3gpuE4ELNS1_3repE0EEENS1_30default_config_static_selectorELNS0_4arch9wavefront6targetE0EEEvT1_,"axG",@progbits,_ZN7rocprim17ROCPRIM_400000_NS6detail17trampoline_kernelINS0_14default_configENS1_25partition_config_selectorILNS1_17partition_subalgoE6ExNS0_10empty_typeEbEEZZNS1_14partition_implILS5_6ELb0ES3_mN6thrust23THRUST_200600_302600_NS6detail15normal_iteratorINSA_10device_ptrIxEEEEPS6_SG_NS0_5tupleIJNSA_16discard_iteratorINSA_11use_defaultEEES6_EEENSH_IJSG_SG_EEES6_PlJNSB_9not_fun_tINSB_14equal_to_valueIxEEEEEEE10hipError_tPvRmT3_T4_T5_T6_T7_T9_mT8_P12ihipStream_tbDpT10_ENKUlT_T0_E_clISt17integral_constantIbLb0EES1B_EEDaS16_S17_EUlS16_E_NS1_11comp_targetILNS1_3genE10ELNS1_11target_archE1200ELNS1_3gpuE4ELNS1_3repE0EEENS1_30default_config_static_selectorELNS0_4arch9wavefront6targetE0EEEvT1_,comdat
.Lfunc_end1730:
	.size	_ZN7rocprim17ROCPRIM_400000_NS6detail17trampoline_kernelINS0_14default_configENS1_25partition_config_selectorILNS1_17partition_subalgoE6ExNS0_10empty_typeEbEEZZNS1_14partition_implILS5_6ELb0ES3_mN6thrust23THRUST_200600_302600_NS6detail15normal_iteratorINSA_10device_ptrIxEEEEPS6_SG_NS0_5tupleIJNSA_16discard_iteratorINSA_11use_defaultEEES6_EEENSH_IJSG_SG_EEES6_PlJNSB_9not_fun_tINSB_14equal_to_valueIxEEEEEEE10hipError_tPvRmT3_T4_T5_T6_T7_T9_mT8_P12ihipStream_tbDpT10_ENKUlT_T0_E_clISt17integral_constantIbLb0EES1B_EEDaS16_S17_EUlS16_E_NS1_11comp_targetILNS1_3genE10ELNS1_11target_archE1200ELNS1_3gpuE4ELNS1_3repE0EEENS1_30default_config_static_selectorELNS0_4arch9wavefront6targetE0EEEvT1_, .Lfunc_end1730-_ZN7rocprim17ROCPRIM_400000_NS6detail17trampoline_kernelINS0_14default_configENS1_25partition_config_selectorILNS1_17partition_subalgoE6ExNS0_10empty_typeEbEEZZNS1_14partition_implILS5_6ELb0ES3_mN6thrust23THRUST_200600_302600_NS6detail15normal_iteratorINSA_10device_ptrIxEEEEPS6_SG_NS0_5tupleIJNSA_16discard_iteratorINSA_11use_defaultEEES6_EEENSH_IJSG_SG_EEES6_PlJNSB_9not_fun_tINSB_14equal_to_valueIxEEEEEEE10hipError_tPvRmT3_T4_T5_T6_T7_T9_mT8_P12ihipStream_tbDpT10_ENKUlT_T0_E_clISt17integral_constantIbLb0EES1B_EEDaS16_S17_EUlS16_E_NS1_11comp_targetILNS1_3genE10ELNS1_11target_archE1200ELNS1_3gpuE4ELNS1_3repE0EEENS1_30default_config_static_selectorELNS0_4arch9wavefront6targetE0EEEvT1_
                                        ; -- End function
	.set _ZN7rocprim17ROCPRIM_400000_NS6detail17trampoline_kernelINS0_14default_configENS1_25partition_config_selectorILNS1_17partition_subalgoE6ExNS0_10empty_typeEbEEZZNS1_14partition_implILS5_6ELb0ES3_mN6thrust23THRUST_200600_302600_NS6detail15normal_iteratorINSA_10device_ptrIxEEEEPS6_SG_NS0_5tupleIJNSA_16discard_iteratorINSA_11use_defaultEEES6_EEENSH_IJSG_SG_EEES6_PlJNSB_9not_fun_tINSB_14equal_to_valueIxEEEEEEE10hipError_tPvRmT3_T4_T5_T6_T7_T9_mT8_P12ihipStream_tbDpT10_ENKUlT_T0_E_clISt17integral_constantIbLb0EES1B_EEDaS16_S17_EUlS16_E_NS1_11comp_targetILNS1_3genE10ELNS1_11target_archE1200ELNS1_3gpuE4ELNS1_3repE0EEENS1_30default_config_static_selectorELNS0_4arch9wavefront6targetE0EEEvT1_.num_vgpr, 45
	.set _ZN7rocprim17ROCPRIM_400000_NS6detail17trampoline_kernelINS0_14default_configENS1_25partition_config_selectorILNS1_17partition_subalgoE6ExNS0_10empty_typeEbEEZZNS1_14partition_implILS5_6ELb0ES3_mN6thrust23THRUST_200600_302600_NS6detail15normal_iteratorINSA_10device_ptrIxEEEEPS6_SG_NS0_5tupleIJNSA_16discard_iteratorINSA_11use_defaultEEES6_EEENSH_IJSG_SG_EEES6_PlJNSB_9not_fun_tINSB_14equal_to_valueIxEEEEEEE10hipError_tPvRmT3_T4_T5_T6_T7_T9_mT8_P12ihipStream_tbDpT10_ENKUlT_T0_E_clISt17integral_constantIbLb0EES1B_EEDaS16_S17_EUlS16_E_NS1_11comp_targetILNS1_3genE10ELNS1_11target_archE1200ELNS1_3gpuE4ELNS1_3repE0EEENS1_30default_config_static_selectorELNS0_4arch9wavefront6targetE0EEEvT1_.num_agpr, 0
	.set _ZN7rocprim17ROCPRIM_400000_NS6detail17trampoline_kernelINS0_14default_configENS1_25partition_config_selectorILNS1_17partition_subalgoE6ExNS0_10empty_typeEbEEZZNS1_14partition_implILS5_6ELb0ES3_mN6thrust23THRUST_200600_302600_NS6detail15normal_iteratorINSA_10device_ptrIxEEEEPS6_SG_NS0_5tupleIJNSA_16discard_iteratorINSA_11use_defaultEEES6_EEENSH_IJSG_SG_EEES6_PlJNSB_9not_fun_tINSB_14equal_to_valueIxEEEEEEE10hipError_tPvRmT3_T4_T5_T6_T7_T9_mT8_P12ihipStream_tbDpT10_ENKUlT_T0_E_clISt17integral_constantIbLb0EES1B_EEDaS16_S17_EUlS16_E_NS1_11comp_targetILNS1_3genE10ELNS1_11target_archE1200ELNS1_3gpuE4ELNS1_3repE0EEENS1_30default_config_static_selectorELNS0_4arch9wavefront6targetE0EEEvT1_.numbered_sgpr, 21
	.set _ZN7rocprim17ROCPRIM_400000_NS6detail17trampoline_kernelINS0_14default_configENS1_25partition_config_selectorILNS1_17partition_subalgoE6ExNS0_10empty_typeEbEEZZNS1_14partition_implILS5_6ELb0ES3_mN6thrust23THRUST_200600_302600_NS6detail15normal_iteratorINSA_10device_ptrIxEEEEPS6_SG_NS0_5tupleIJNSA_16discard_iteratorINSA_11use_defaultEEES6_EEENSH_IJSG_SG_EEES6_PlJNSB_9not_fun_tINSB_14equal_to_valueIxEEEEEEE10hipError_tPvRmT3_T4_T5_T6_T7_T9_mT8_P12ihipStream_tbDpT10_ENKUlT_T0_E_clISt17integral_constantIbLb0EES1B_EEDaS16_S17_EUlS16_E_NS1_11comp_targetILNS1_3genE10ELNS1_11target_archE1200ELNS1_3gpuE4ELNS1_3repE0EEENS1_30default_config_static_selectorELNS0_4arch9wavefront6targetE0EEEvT1_.num_named_barrier, 0
	.set _ZN7rocprim17ROCPRIM_400000_NS6detail17trampoline_kernelINS0_14default_configENS1_25partition_config_selectorILNS1_17partition_subalgoE6ExNS0_10empty_typeEbEEZZNS1_14partition_implILS5_6ELb0ES3_mN6thrust23THRUST_200600_302600_NS6detail15normal_iteratorINSA_10device_ptrIxEEEEPS6_SG_NS0_5tupleIJNSA_16discard_iteratorINSA_11use_defaultEEES6_EEENSH_IJSG_SG_EEES6_PlJNSB_9not_fun_tINSB_14equal_to_valueIxEEEEEEE10hipError_tPvRmT3_T4_T5_T6_T7_T9_mT8_P12ihipStream_tbDpT10_ENKUlT_T0_E_clISt17integral_constantIbLb0EES1B_EEDaS16_S17_EUlS16_E_NS1_11comp_targetILNS1_3genE10ELNS1_11target_archE1200ELNS1_3gpuE4ELNS1_3repE0EEENS1_30default_config_static_selectorELNS0_4arch9wavefront6targetE0EEEvT1_.private_seg_size, 0
	.set _ZN7rocprim17ROCPRIM_400000_NS6detail17trampoline_kernelINS0_14default_configENS1_25partition_config_selectorILNS1_17partition_subalgoE6ExNS0_10empty_typeEbEEZZNS1_14partition_implILS5_6ELb0ES3_mN6thrust23THRUST_200600_302600_NS6detail15normal_iteratorINSA_10device_ptrIxEEEEPS6_SG_NS0_5tupleIJNSA_16discard_iteratorINSA_11use_defaultEEES6_EEENSH_IJSG_SG_EEES6_PlJNSB_9not_fun_tINSB_14equal_to_valueIxEEEEEEE10hipError_tPvRmT3_T4_T5_T6_T7_T9_mT8_P12ihipStream_tbDpT10_ENKUlT_T0_E_clISt17integral_constantIbLb0EES1B_EEDaS16_S17_EUlS16_E_NS1_11comp_targetILNS1_3genE10ELNS1_11target_archE1200ELNS1_3gpuE4ELNS1_3repE0EEENS1_30default_config_static_selectorELNS0_4arch9wavefront6targetE0EEEvT1_.uses_vcc, 1
	.set _ZN7rocprim17ROCPRIM_400000_NS6detail17trampoline_kernelINS0_14default_configENS1_25partition_config_selectorILNS1_17partition_subalgoE6ExNS0_10empty_typeEbEEZZNS1_14partition_implILS5_6ELb0ES3_mN6thrust23THRUST_200600_302600_NS6detail15normal_iteratorINSA_10device_ptrIxEEEEPS6_SG_NS0_5tupleIJNSA_16discard_iteratorINSA_11use_defaultEEES6_EEENSH_IJSG_SG_EEES6_PlJNSB_9not_fun_tINSB_14equal_to_valueIxEEEEEEE10hipError_tPvRmT3_T4_T5_T6_T7_T9_mT8_P12ihipStream_tbDpT10_ENKUlT_T0_E_clISt17integral_constantIbLb0EES1B_EEDaS16_S17_EUlS16_E_NS1_11comp_targetILNS1_3genE10ELNS1_11target_archE1200ELNS1_3gpuE4ELNS1_3repE0EEENS1_30default_config_static_selectorELNS0_4arch9wavefront6targetE0EEEvT1_.uses_flat_scratch, 1
	.set _ZN7rocprim17ROCPRIM_400000_NS6detail17trampoline_kernelINS0_14default_configENS1_25partition_config_selectorILNS1_17partition_subalgoE6ExNS0_10empty_typeEbEEZZNS1_14partition_implILS5_6ELb0ES3_mN6thrust23THRUST_200600_302600_NS6detail15normal_iteratorINSA_10device_ptrIxEEEEPS6_SG_NS0_5tupleIJNSA_16discard_iteratorINSA_11use_defaultEEES6_EEENSH_IJSG_SG_EEES6_PlJNSB_9not_fun_tINSB_14equal_to_valueIxEEEEEEE10hipError_tPvRmT3_T4_T5_T6_T7_T9_mT8_P12ihipStream_tbDpT10_ENKUlT_T0_E_clISt17integral_constantIbLb0EES1B_EEDaS16_S17_EUlS16_E_NS1_11comp_targetILNS1_3genE10ELNS1_11target_archE1200ELNS1_3gpuE4ELNS1_3repE0EEENS1_30default_config_static_selectorELNS0_4arch9wavefront6targetE0EEEvT1_.has_dyn_sized_stack, 0
	.set _ZN7rocprim17ROCPRIM_400000_NS6detail17trampoline_kernelINS0_14default_configENS1_25partition_config_selectorILNS1_17partition_subalgoE6ExNS0_10empty_typeEbEEZZNS1_14partition_implILS5_6ELb0ES3_mN6thrust23THRUST_200600_302600_NS6detail15normal_iteratorINSA_10device_ptrIxEEEEPS6_SG_NS0_5tupleIJNSA_16discard_iteratorINSA_11use_defaultEEES6_EEENSH_IJSG_SG_EEES6_PlJNSB_9not_fun_tINSB_14equal_to_valueIxEEEEEEE10hipError_tPvRmT3_T4_T5_T6_T7_T9_mT8_P12ihipStream_tbDpT10_ENKUlT_T0_E_clISt17integral_constantIbLb0EES1B_EEDaS16_S17_EUlS16_E_NS1_11comp_targetILNS1_3genE10ELNS1_11target_archE1200ELNS1_3gpuE4ELNS1_3repE0EEENS1_30default_config_static_selectorELNS0_4arch9wavefront6targetE0EEEvT1_.has_recursion, 0
	.set _ZN7rocprim17ROCPRIM_400000_NS6detail17trampoline_kernelINS0_14default_configENS1_25partition_config_selectorILNS1_17partition_subalgoE6ExNS0_10empty_typeEbEEZZNS1_14partition_implILS5_6ELb0ES3_mN6thrust23THRUST_200600_302600_NS6detail15normal_iteratorINSA_10device_ptrIxEEEEPS6_SG_NS0_5tupleIJNSA_16discard_iteratorINSA_11use_defaultEEES6_EEENSH_IJSG_SG_EEES6_PlJNSB_9not_fun_tINSB_14equal_to_valueIxEEEEEEE10hipError_tPvRmT3_T4_T5_T6_T7_T9_mT8_P12ihipStream_tbDpT10_ENKUlT_T0_E_clISt17integral_constantIbLb0EES1B_EEDaS16_S17_EUlS16_E_NS1_11comp_targetILNS1_3genE10ELNS1_11target_archE1200ELNS1_3gpuE4ELNS1_3repE0EEENS1_30default_config_static_selectorELNS0_4arch9wavefront6targetE0EEEvT1_.has_indirect_call, 0
	.section	.AMDGPU.csdata,"",@progbits
; Kernel info:
; codeLenInByte = 5756
; TotalNumSgprs: 23
; NumVgprs: 45
; ScratchSize: 0
; MemoryBound: 0
; FloatMode: 240
; IeeeMode: 1
; LDSByteSize: 8464 bytes/workgroup (compile time only)
; SGPRBlocks: 0
; VGPRBlocks: 5
; NumSGPRsForWavesPerEU: 23
; NumVGPRsForWavesPerEU: 45
; Occupancy: 16
; WaveLimiterHint : 1
; COMPUTE_PGM_RSRC2:SCRATCH_EN: 0
; COMPUTE_PGM_RSRC2:USER_SGPR: 2
; COMPUTE_PGM_RSRC2:TRAP_HANDLER: 0
; COMPUTE_PGM_RSRC2:TGID_X_EN: 1
; COMPUTE_PGM_RSRC2:TGID_Y_EN: 0
; COMPUTE_PGM_RSRC2:TGID_Z_EN: 0
; COMPUTE_PGM_RSRC2:TIDIG_COMP_CNT: 0
	.section	.text._ZN7rocprim17ROCPRIM_400000_NS6detail17trampoline_kernelINS0_14default_configENS1_25partition_config_selectorILNS1_17partition_subalgoE6ExNS0_10empty_typeEbEEZZNS1_14partition_implILS5_6ELb0ES3_mN6thrust23THRUST_200600_302600_NS6detail15normal_iteratorINSA_10device_ptrIxEEEEPS6_SG_NS0_5tupleIJNSA_16discard_iteratorINSA_11use_defaultEEES6_EEENSH_IJSG_SG_EEES6_PlJNSB_9not_fun_tINSB_14equal_to_valueIxEEEEEEE10hipError_tPvRmT3_T4_T5_T6_T7_T9_mT8_P12ihipStream_tbDpT10_ENKUlT_T0_E_clISt17integral_constantIbLb0EES1B_EEDaS16_S17_EUlS16_E_NS1_11comp_targetILNS1_3genE9ELNS1_11target_archE1100ELNS1_3gpuE3ELNS1_3repE0EEENS1_30default_config_static_selectorELNS0_4arch9wavefront6targetE0EEEvT1_,"axG",@progbits,_ZN7rocprim17ROCPRIM_400000_NS6detail17trampoline_kernelINS0_14default_configENS1_25partition_config_selectorILNS1_17partition_subalgoE6ExNS0_10empty_typeEbEEZZNS1_14partition_implILS5_6ELb0ES3_mN6thrust23THRUST_200600_302600_NS6detail15normal_iteratorINSA_10device_ptrIxEEEEPS6_SG_NS0_5tupleIJNSA_16discard_iteratorINSA_11use_defaultEEES6_EEENSH_IJSG_SG_EEES6_PlJNSB_9not_fun_tINSB_14equal_to_valueIxEEEEEEE10hipError_tPvRmT3_T4_T5_T6_T7_T9_mT8_P12ihipStream_tbDpT10_ENKUlT_T0_E_clISt17integral_constantIbLb0EES1B_EEDaS16_S17_EUlS16_E_NS1_11comp_targetILNS1_3genE9ELNS1_11target_archE1100ELNS1_3gpuE3ELNS1_3repE0EEENS1_30default_config_static_selectorELNS0_4arch9wavefront6targetE0EEEvT1_,comdat
	.protected	_ZN7rocprim17ROCPRIM_400000_NS6detail17trampoline_kernelINS0_14default_configENS1_25partition_config_selectorILNS1_17partition_subalgoE6ExNS0_10empty_typeEbEEZZNS1_14partition_implILS5_6ELb0ES3_mN6thrust23THRUST_200600_302600_NS6detail15normal_iteratorINSA_10device_ptrIxEEEEPS6_SG_NS0_5tupleIJNSA_16discard_iteratorINSA_11use_defaultEEES6_EEENSH_IJSG_SG_EEES6_PlJNSB_9not_fun_tINSB_14equal_to_valueIxEEEEEEE10hipError_tPvRmT3_T4_T5_T6_T7_T9_mT8_P12ihipStream_tbDpT10_ENKUlT_T0_E_clISt17integral_constantIbLb0EES1B_EEDaS16_S17_EUlS16_E_NS1_11comp_targetILNS1_3genE9ELNS1_11target_archE1100ELNS1_3gpuE3ELNS1_3repE0EEENS1_30default_config_static_selectorELNS0_4arch9wavefront6targetE0EEEvT1_ ; -- Begin function _ZN7rocprim17ROCPRIM_400000_NS6detail17trampoline_kernelINS0_14default_configENS1_25partition_config_selectorILNS1_17partition_subalgoE6ExNS0_10empty_typeEbEEZZNS1_14partition_implILS5_6ELb0ES3_mN6thrust23THRUST_200600_302600_NS6detail15normal_iteratorINSA_10device_ptrIxEEEEPS6_SG_NS0_5tupleIJNSA_16discard_iteratorINSA_11use_defaultEEES6_EEENSH_IJSG_SG_EEES6_PlJNSB_9not_fun_tINSB_14equal_to_valueIxEEEEEEE10hipError_tPvRmT3_T4_T5_T6_T7_T9_mT8_P12ihipStream_tbDpT10_ENKUlT_T0_E_clISt17integral_constantIbLb0EES1B_EEDaS16_S17_EUlS16_E_NS1_11comp_targetILNS1_3genE9ELNS1_11target_archE1100ELNS1_3gpuE3ELNS1_3repE0EEENS1_30default_config_static_selectorELNS0_4arch9wavefront6targetE0EEEvT1_
	.globl	_ZN7rocprim17ROCPRIM_400000_NS6detail17trampoline_kernelINS0_14default_configENS1_25partition_config_selectorILNS1_17partition_subalgoE6ExNS0_10empty_typeEbEEZZNS1_14partition_implILS5_6ELb0ES3_mN6thrust23THRUST_200600_302600_NS6detail15normal_iteratorINSA_10device_ptrIxEEEEPS6_SG_NS0_5tupleIJNSA_16discard_iteratorINSA_11use_defaultEEES6_EEENSH_IJSG_SG_EEES6_PlJNSB_9not_fun_tINSB_14equal_to_valueIxEEEEEEE10hipError_tPvRmT3_T4_T5_T6_T7_T9_mT8_P12ihipStream_tbDpT10_ENKUlT_T0_E_clISt17integral_constantIbLb0EES1B_EEDaS16_S17_EUlS16_E_NS1_11comp_targetILNS1_3genE9ELNS1_11target_archE1100ELNS1_3gpuE3ELNS1_3repE0EEENS1_30default_config_static_selectorELNS0_4arch9wavefront6targetE0EEEvT1_
	.p2align	8
	.type	_ZN7rocprim17ROCPRIM_400000_NS6detail17trampoline_kernelINS0_14default_configENS1_25partition_config_selectorILNS1_17partition_subalgoE6ExNS0_10empty_typeEbEEZZNS1_14partition_implILS5_6ELb0ES3_mN6thrust23THRUST_200600_302600_NS6detail15normal_iteratorINSA_10device_ptrIxEEEEPS6_SG_NS0_5tupleIJNSA_16discard_iteratorINSA_11use_defaultEEES6_EEENSH_IJSG_SG_EEES6_PlJNSB_9not_fun_tINSB_14equal_to_valueIxEEEEEEE10hipError_tPvRmT3_T4_T5_T6_T7_T9_mT8_P12ihipStream_tbDpT10_ENKUlT_T0_E_clISt17integral_constantIbLb0EES1B_EEDaS16_S17_EUlS16_E_NS1_11comp_targetILNS1_3genE9ELNS1_11target_archE1100ELNS1_3gpuE3ELNS1_3repE0EEENS1_30default_config_static_selectorELNS0_4arch9wavefront6targetE0EEEvT1_,@function
_ZN7rocprim17ROCPRIM_400000_NS6detail17trampoline_kernelINS0_14default_configENS1_25partition_config_selectorILNS1_17partition_subalgoE6ExNS0_10empty_typeEbEEZZNS1_14partition_implILS5_6ELb0ES3_mN6thrust23THRUST_200600_302600_NS6detail15normal_iteratorINSA_10device_ptrIxEEEEPS6_SG_NS0_5tupleIJNSA_16discard_iteratorINSA_11use_defaultEEES6_EEENSH_IJSG_SG_EEES6_PlJNSB_9not_fun_tINSB_14equal_to_valueIxEEEEEEE10hipError_tPvRmT3_T4_T5_T6_T7_T9_mT8_P12ihipStream_tbDpT10_ENKUlT_T0_E_clISt17integral_constantIbLb0EES1B_EEDaS16_S17_EUlS16_E_NS1_11comp_targetILNS1_3genE9ELNS1_11target_archE1100ELNS1_3gpuE3ELNS1_3repE0EEENS1_30default_config_static_selectorELNS0_4arch9wavefront6targetE0EEEvT1_: ; @_ZN7rocprim17ROCPRIM_400000_NS6detail17trampoline_kernelINS0_14default_configENS1_25partition_config_selectorILNS1_17partition_subalgoE6ExNS0_10empty_typeEbEEZZNS1_14partition_implILS5_6ELb0ES3_mN6thrust23THRUST_200600_302600_NS6detail15normal_iteratorINSA_10device_ptrIxEEEEPS6_SG_NS0_5tupleIJNSA_16discard_iteratorINSA_11use_defaultEEES6_EEENSH_IJSG_SG_EEES6_PlJNSB_9not_fun_tINSB_14equal_to_valueIxEEEEEEE10hipError_tPvRmT3_T4_T5_T6_T7_T9_mT8_P12ihipStream_tbDpT10_ENKUlT_T0_E_clISt17integral_constantIbLb0EES1B_EEDaS16_S17_EUlS16_E_NS1_11comp_targetILNS1_3genE9ELNS1_11target_archE1100ELNS1_3gpuE3ELNS1_3repE0EEENS1_30default_config_static_selectorELNS0_4arch9wavefront6targetE0EEEvT1_
; %bb.0:
	.section	.rodata,"a",@progbits
	.p2align	6, 0x0
	.amdhsa_kernel _ZN7rocprim17ROCPRIM_400000_NS6detail17trampoline_kernelINS0_14default_configENS1_25partition_config_selectorILNS1_17partition_subalgoE6ExNS0_10empty_typeEbEEZZNS1_14partition_implILS5_6ELb0ES3_mN6thrust23THRUST_200600_302600_NS6detail15normal_iteratorINSA_10device_ptrIxEEEEPS6_SG_NS0_5tupleIJNSA_16discard_iteratorINSA_11use_defaultEEES6_EEENSH_IJSG_SG_EEES6_PlJNSB_9not_fun_tINSB_14equal_to_valueIxEEEEEEE10hipError_tPvRmT3_T4_T5_T6_T7_T9_mT8_P12ihipStream_tbDpT10_ENKUlT_T0_E_clISt17integral_constantIbLb0EES1B_EEDaS16_S17_EUlS16_E_NS1_11comp_targetILNS1_3genE9ELNS1_11target_archE1100ELNS1_3gpuE3ELNS1_3repE0EEENS1_30default_config_static_selectorELNS0_4arch9wavefront6targetE0EEEvT1_
		.amdhsa_group_segment_fixed_size 0
		.amdhsa_private_segment_fixed_size 0
		.amdhsa_kernarg_size 128
		.amdhsa_user_sgpr_count 2
		.amdhsa_user_sgpr_dispatch_ptr 0
		.amdhsa_user_sgpr_queue_ptr 0
		.amdhsa_user_sgpr_kernarg_segment_ptr 1
		.amdhsa_user_sgpr_dispatch_id 0
		.amdhsa_user_sgpr_private_segment_size 0
		.amdhsa_wavefront_size32 1
		.amdhsa_uses_dynamic_stack 0
		.amdhsa_enable_private_segment 0
		.amdhsa_system_sgpr_workgroup_id_x 1
		.amdhsa_system_sgpr_workgroup_id_y 0
		.amdhsa_system_sgpr_workgroup_id_z 0
		.amdhsa_system_sgpr_workgroup_info 0
		.amdhsa_system_vgpr_workitem_id 0
		.amdhsa_next_free_vgpr 1
		.amdhsa_next_free_sgpr 1
		.amdhsa_reserve_vcc 0
		.amdhsa_float_round_mode_32 0
		.amdhsa_float_round_mode_16_64 0
		.amdhsa_float_denorm_mode_32 3
		.amdhsa_float_denorm_mode_16_64 3
		.amdhsa_fp16_overflow 0
		.amdhsa_workgroup_processor_mode 1
		.amdhsa_memory_ordered 1
		.amdhsa_forward_progress 1
		.amdhsa_inst_pref_size 0
		.amdhsa_round_robin_scheduling 0
		.amdhsa_exception_fp_ieee_invalid_op 0
		.amdhsa_exception_fp_denorm_src 0
		.amdhsa_exception_fp_ieee_div_zero 0
		.amdhsa_exception_fp_ieee_overflow 0
		.amdhsa_exception_fp_ieee_underflow 0
		.amdhsa_exception_fp_ieee_inexact 0
		.amdhsa_exception_int_div_zero 0
	.end_amdhsa_kernel
	.section	.text._ZN7rocprim17ROCPRIM_400000_NS6detail17trampoline_kernelINS0_14default_configENS1_25partition_config_selectorILNS1_17partition_subalgoE6ExNS0_10empty_typeEbEEZZNS1_14partition_implILS5_6ELb0ES3_mN6thrust23THRUST_200600_302600_NS6detail15normal_iteratorINSA_10device_ptrIxEEEEPS6_SG_NS0_5tupleIJNSA_16discard_iteratorINSA_11use_defaultEEES6_EEENSH_IJSG_SG_EEES6_PlJNSB_9not_fun_tINSB_14equal_to_valueIxEEEEEEE10hipError_tPvRmT3_T4_T5_T6_T7_T9_mT8_P12ihipStream_tbDpT10_ENKUlT_T0_E_clISt17integral_constantIbLb0EES1B_EEDaS16_S17_EUlS16_E_NS1_11comp_targetILNS1_3genE9ELNS1_11target_archE1100ELNS1_3gpuE3ELNS1_3repE0EEENS1_30default_config_static_selectorELNS0_4arch9wavefront6targetE0EEEvT1_,"axG",@progbits,_ZN7rocprim17ROCPRIM_400000_NS6detail17trampoline_kernelINS0_14default_configENS1_25partition_config_selectorILNS1_17partition_subalgoE6ExNS0_10empty_typeEbEEZZNS1_14partition_implILS5_6ELb0ES3_mN6thrust23THRUST_200600_302600_NS6detail15normal_iteratorINSA_10device_ptrIxEEEEPS6_SG_NS0_5tupleIJNSA_16discard_iteratorINSA_11use_defaultEEES6_EEENSH_IJSG_SG_EEES6_PlJNSB_9not_fun_tINSB_14equal_to_valueIxEEEEEEE10hipError_tPvRmT3_T4_T5_T6_T7_T9_mT8_P12ihipStream_tbDpT10_ENKUlT_T0_E_clISt17integral_constantIbLb0EES1B_EEDaS16_S17_EUlS16_E_NS1_11comp_targetILNS1_3genE9ELNS1_11target_archE1100ELNS1_3gpuE3ELNS1_3repE0EEENS1_30default_config_static_selectorELNS0_4arch9wavefront6targetE0EEEvT1_,comdat
.Lfunc_end1731:
	.size	_ZN7rocprim17ROCPRIM_400000_NS6detail17trampoline_kernelINS0_14default_configENS1_25partition_config_selectorILNS1_17partition_subalgoE6ExNS0_10empty_typeEbEEZZNS1_14partition_implILS5_6ELb0ES3_mN6thrust23THRUST_200600_302600_NS6detail15normal_iteratorINSA_10device_ptrIxEEEEPS6_SG_NS0_5tupleIJNSA_16discard_iteratorINSA_11use_defaultEEES6_EEENSH_IJSG_SG_EEES6_PlJNSB_9not_fun_tINSB_14equal_to_valueIxEEEEEEE10hipError_tPvRmT3_T4_T5_T6_T7_T9_mT8_P12ihipStream_tbDpT10_ENKUlT_T0_E_clISt17integral_constantIbLb0EES1B_EEDaS16_S17_EUlS16_E_NS1_11comp_targetILNS1_3genE9ELNS1_11target_archE1100ELNS1_3gpuE3ELNS1_3repE0EEENS1_30default_config_static_selectorELNS0_4arch9wavefront6targetE0EEEvT1_, .Lfunc_end1731-_ZN7rocprim17ROCPRIM_400000_NS6detail17trampoline_kernelINS0_14default_configENS1_25partition_config_selectorILNS1_17partition_subalgoE6ExNS0_10empty_typeEbEEZZNS1_14partition_implILS5_6ELb0ES3_mN6thrust23THRUST_200600_302600_NS6detail15normal_iteratorINSA_10device_ptrIxEEEEPS6_SG_NS0_5tupleIJNSA_16discard_iteratorINSA_11use_defaultEEES6_EEENSH_IJSG_SG_EEES6_PlJNSB_9not_fun_tINSB_14equal_to_valueIxEEEEEEE10hipError_tPvRmT3_T4_T5_T6_T7_T9_mT8_P12ihipStream_tbDpT10_ENKUlT_T0_E_clISt17integral_constantIbLb0EES1B_EEDaS16_S17_EUlS16_E_NS1_11comp_targetILNS1_3genE9ELNS1_11target_archE1100ELNS1_3gpuE3ELNS1_3repE0EEENS1_30default_config_static_selectorELNS0_4arch9wavefront6targetE0EEEvT1_
                                        ; -- End function
	.set _ZN7rocprim17ROCPRIM_400000_NS6detail17trampoline_kernelINS0_14default_configENS1_25partition_config_selectorILNS1_17partition_subalgoE6ExNS0_10empty_typeEbEEZZNS1_14partition_implILS5_6ELb0ES3_mN6thrust23THRUST_200600_302600_NS6detail15normal_iteratorINSA_10device_ptrIxEEEEPS6_SG_NS0_5tupleIJNSA_16discard_iteratorINSA_11use_defaultEEES6_EEENSH_IJSG_SG_EEES6_PlJNSB_9not_fun_tINSB_14equal_to_valueIxEEEEEEE10hipError_tPvRmT3_T4_T5_T6_T7_T9_mT8_P12ihipStream_tbDpT10_ENKUlT_T0_E_clISt17integral_constantIbLb0EES1B_EEDaS16_S17_EUlS16_E_NS1_11comp_targetILNS1_3genE9ELNS1_11target_archE1100ELNS1_3gpuE3ELNS1_3repE0EEENS1_30default_config_static_selectorELNS0_4arch9wavefront6targetE0EEEvT1_.num_vgpr, 0
	.set _ZN7rocprim17ROCPRIM_400000_NS6detail17trampoline_kernelINS0_14default_configENS1_25partition_config_selectorILNS1_17partition_subalgoE6ExNS0_10empty_typeEbEEZZNS1_14partition_implILS5_6ELb0ES3_mN6thrust23THRUST_200600_302600_NS6detail15normal_iteratorINSA_10device_ptrIxEEEEPS6_SG_NS0_5tupleIJNSA_16discard_iteratorINSA_11use_defaultEEES6_EEENSH_IJSG_SG_EEES6_PlJNSB_9not_fun_tINSB_14equal_to_valueIxEEEEEEE10hipError_tPvRmT3_T4_T5_T6_T7_T9_mT8_P12ihipStream_tbDpT10_ENKUlT_T0_E_clISt17integral_constantIbLb0EES1B_EEDaS16_S17_EUlS16_E_NS1_11comp_targetILNS1_3genE9ELNS1_11target_archE1100ELNS1_3gpuE3ELNS1_3repE0EEENS1_30default_config_static_selectorELNS0_4arch9wavefront6targetE0EEEvT1_.num_agpr, 0
	.set _ZN7rocprim17ROCPRIM_400000_NS6detail17trampoline_kernelINS0_14default_configENS1_25partition_config_selectorILNS1_17partition_subalgoE6ExNS0_10empty_typeEbEEZZNS1_14partition_implILS5_6ELb0ES3_mN6thrust23THRUST_200600_302600_NS6detail15normal_iteratorINSA_10device_ptrIxEEEEPS6_SG_NS0_5tupleIJNSA_16discard_iteratorINSA_11use_defaultEEES6_EEENSH_IJSG_SG_EEES6_PlJNSB_9not_fun_tINSB_14equal_to_valueIxEEEEEEE10hipError_tPvRmT3_T4_T5_T6_T7_T9_mT8_P12ihipStream_tbDpT10_ENKUlT_T0_E_clISt17integral_constantIbLb0EES1B_EEDaS16_S17_EUlS16_E_NS1_11comp_targetILNS1_3genE9ELNS1_11target_archE1100ELNS1_3gpuE3ELNS1_3repE0EEENS1_30default_config_static_selectorELNS0_4arch9wavefront6targetE0EEEvT1_.numbered_sgpr, 0
	.set _ZN7rocprim17ROCPRIM_400000_NS6detail17trampoline_kernelINS0_14default_configENS1_25partition_config_selectorILNS1_17partition_subalgoE6ExNS0_10empty_typeEbEEZZNS1_14partition_implILS5_6ELb0ES3_mN6thrust23THRUST_200600_302600_NS6detail15normal_iteratorINSA_10device_ptrIxEEEEPS6_SG_NS0_5tupleIJNSA_16discard_iteratorINSA_11use_defaultEEES6_EEENSH_IJSG_SG_EEES6_PlJNSB_9not_fun_tINSB_14equal_to_valueIxEEEEEEE10hipError_tPvRmT3_T4_T5_T6_T7_T9_mT8_P12ihipStream_tbDpT10_ENKUlT_T0_E_clISt17integral_constantIbLb0EES1B_EEDaS16_S17_EUlS16_E_NS1_11comp_targetILNS1_3genE9ELNS1_11target_archE1100ELNS1_3gpuE3ELNS1_3repE0EEENS1_30default_config_static_selectorELNS0_4arch9wavefront6targetE0EEEvT1_.num_named_barrier, 0
	.set _ZN7rocprim17ROCPRIM_400000_NS6detail17trampoline_kernelINS0_14default_configENS1_25partition_config_selectorILNS1_17partition_subalgoE6ExNS0_10empty_typeEbEEZZNS1_14partition_implILS5_6ELb0ES3_mN6thrust23THRUST_200600_302600_NS6detail15normal_iteratorINSA_10device_ptrIxEEEEPS6_SG_NS0_5tupleIJNSA_16discard_iteratorINSA_11use_defaultEEES6_EEENSH_IJSG_SG_EEES6_PlJNSB_9not_fun_tINSB_14equal_to_valueIxEEEEEEE10hipError_tPvRmT3_T4_T5_T6_T7_T9_mT8_P12ihipStream_tbDpT10_ENKUlT_T0_E_clISt17integral_constantIbLb0EES1B_EEDaS16_S17_EUlS16_E_NS1_11comp_targetILNS1_3genE9ELNS1_11target_archE1100ELNS1_3gpuE3ELNS1_3repE0EEENS1_30default_config_static_selectorELNS0_4arch9wavefront6targetE0EEEvT1_.private_seg_size, 0
	.set _ZN7rocprim17ROCPRIM_400000_NS6detail17trampoline_kernelINS0_14default_configENS1_25partition_config_selectorILNS1_17partition_subalgoE6ExNS0_10empty_typeEbEEZZNS1_14partition_implILS5_6ELb0ES3_mN6thrust23THRUST_200600_302600_NS6detail15normal_iteratorINSA_10device_ptrIxEEEEPS6_SG_NS0_5tupleIJNSA_16discard_iteratorINSA_11use_defaultEEES6_EEENSH_IJSG_SG_EEES6_PlJNSB_9not_fun_tINSB_14equal_to_valueIxEEEEEEE10hipError_tPvRmT3_T4_T5_T6_T7_T9_mT8_P12ihipStream_tbDpT10_ENKUlT_T0_E_clISt17integral_constantIbLb0EES1B_EEDaS16_S17_EUlS16_E_NS1_11comp_targetILNS1_3genE9ELNS1_11target_archE1100ELNS1_3gpuE3ELNS1_3repE0EEENS1_30default_config_static_selectorELNS0_4arch9wavefront6targetE0EEEvT1_.uses_vcc, 0
	.set _ZN7rocprim17ROCPRIM_400000_NS6detail17trampoline_kernelINS0_14default_configENS1_25partition_config_selectorILNS1_17partition_subalgoE6ExNS0_10empty_typeEbEEZZNS1_14partition_implILS5_6ELb0ES3_mN6thrust23THRUST_200600_302600_NS6detail15normal_iteratorINSA_10device_ptrIxEEEEPS6_SG_NS0_5tupleIJNSA_16discard_iteratorINSA_11use_defaultEEES6_EEENSH_IJSG_SG_EEES6_PlJNSB_9not_fun_tINSB_14equal_to_valueIxEEEEEEE10hipError_tPvRmT3_T4_T5_T6_T7_T9_mT8_P12ihipStream_tbDpT10_ENKUlT_T0_E_clISt17integral_constantIbLb0EES1B_EEDaS16_S17_EUlS16_E_NS1_11comp_targetILNS1_3genE9ELNS1_11target_archE1100ELNS1_3gpuE3ELNS1_3repE0EEENS1_30default_config_static_selectorELNS0_4arch9wavefront6targetE0EEEvT1_.uses_flat_scratch, 0
	.set _ZN7rocprim17ROCPRIM_400000_NS6detail17trampoline_kernelINS0_14default_configENS1_25partition_config_selectorILNS1_17partition_subalgoE6ExNS0_10empty_typeEbEEZZNS1_14partition_implILS5_6ELb0ES3_mN6thrust23THRUST_200600_302600_NS6detail15normal_iteratorINSA_10device_ptrIxEEEEPS6_SG_NS0_5tupleIJNSA_16discard_iteratorINSA_11use_defaultEEES6_EEENSH_IJSG_SG_EEES6_PlJNSB_9not_fun_tINSB_14equal_to_valueIxEEEEEEE10hipError_tPvRmT3_T4_T5_T6_T7_T9_mT8_P12ihipStream_tbDpT10_ENKUlT_T0_E_clISt17integral_constantIbLb0EES1B_EEDaS16_S17_EUlS16_E_NS1_11comp_targetILNS1_3genE9ELNS1_11target_archE1100ELNS1_3gpuE3ELNS1_3repE0EEENS1_30default_config_static_selectorELNS0_4arch9wavefront6targetE0EEEvT1_.has_dyn_sized_stack, 0
	.set _ZN7rocprim17ROCPRIM_400000_NS6detail17trampoline_kernelINS0_14default_configENS1_25partition_config_selectorILNS1_17partition_subalgoE6ExNS0_10empty_typeEbEEZZNS1_14partition_implILS5_6ELb0ES3_mN6thrust23THRUST_200600_302600_NS6detail15normal_iteratorINSA_10device_ptrIxEEEEPS6_SG_NS0_5tupleIJNSA_16discard_iteratorINSA_11use_defaultEEES6_EEENSH_IJSG_SG_EEES6_PlJNSB_9not_fun_tINSB_14equal_to_valueIxEEEEEEE10hipError_tPvRmT3_T4_T5_T6_T7_T9_mT8_P12ihipStream_tbDpT10_ENKUlT_T0_E_clISt17integral_constantIbLb0EES1B_EEDaS16_S17_EUlS16_E_NS1_11comp_targetILNS1_3genE9ELNS1_11target_archE1100ELNS1_3gpuE3ELNS1_3repE0EEENS1_30default_config_static_selectorELNS0_4arch9wavefront6targetE0EEEvT1_.has_recursion, 0
	.set _ZN7rocprim17ROCPRIM_400000_NS6detail17trampoline_kernelINS0_14default_configENS1_25partition_config_selectorILNS1_17partition_subalgoE6ExNS0_10empty_typeEbEEZZNS1_14partition_implILS5_6ELb0ES3_mN6thrust23THRUST_200600_302600_NS6detail15normal_iteratorINSA_10device_ptrIxEEEEPS6_SG_NS0_5tupleIJNSA_16discard_iteratorINSA_11use_defaultEEES6_EEENSH_IJSG_SG_EEES6_PlJNSB_9not_fun_tINSB_14equal_to_valueIxEEEEEEE10hipError_tPvRmT3_T4_T5_T6_T7_T9_mT8_P12ihipStream_tbDpT10_ENKUlT_T0_E_clISt17integral_constantIbLb0EES1B_EEDaS16_S17_EUlS16_E_NS1_11comp_targetILNS1_3genE9ELNS1_11target_archE1100ELNS1_3gpuE3ELNS1_3repE0EEENS1_30default_config_static_selectorELNS0_4arch9wavefront6targetE0EEEvT1_.has_indirect_call, 0
	.section	.AMDGPU.csdata,"",@progbits
; Kernel info:
; codeLenInByte = 0
; TotalNumSgprs: 0
; NumVgprs: 0
; ScratchSize: 0
; MemoryBound: 0
; FloatMode: 240
; IeeeMode: 1
; LDSByteSize: 0 bytes/workgroup (compile time only)
; SGPRBlocks: 0
; VGPRBlocks: 0
; NumSGPRsForWavesPerEU: 1
; NumVGPRsForWavesPerEU: 1
; Occupancy: 16
; WaveLimiterHint : 0
; COMPUTE_PGM_RSRC2:SCRATCH_EN: 0
; COMPUTE_PGM_RSRC2:USER_SGPR: 2
; COMPUTE_PGM_RSRC2:TRAP_HANDLER: 0
; COMPUTE_PGM_RSRC2:TGID_X_EN: 1
; COMPUTE_PGM_RSRC2:TGID_Y_EN: 0
; COMPUTE_PGM_RSRC2:TGID_Z_EN: 0
; COMPUTE_PGM_RSRC2:TIDIG_COMP_CNT: 0
	.section	.text._ZN7rocprim17ROCPRIM_400000_NS6detail17trampoline_kernelINS0_14default_configENS1_25partition_config_selectorILNS1_17partition_subalgoE6ExNS0_10empty_typeEbEEZZNS1_14partition_implILS5_6ELb0ES3_mN6thrust23THRUST_200600_302600_NS6detail15normal_iteratorINSA_10device_ptrIxEEEEPS6_SG_NS0_5tupleIJNSA_16discard_iteratorINSA_11use_defaultEEES6_EEENSH_IJSG_SG_EEES6_PlJNSB_9not_fun_tINSB_14equal_to_valueIxEEEEEEE10hipError_tPvRmT3_T4_T5_T6_T7_T9_mT8_P12ihipStream_tbDpT10_ENKUlT_T0_E_clISt17integral_constantIbLb0EES1B_EEDaS16_S17_EUlS16_E_NS1_11comp_targetILNS1_3genE8ELNS1_11target_archE1030ELNS1_3gpuE2ELNS1_3repE0EEENS1_30default_config_static_selectorELNS0_4arch9wavefront6targetE0EEEvT1_,"axG",@progbits,_ZN7rocprim17ROCPRIM_400000_NS6detail17trampoline_kernelINS0_14default_configENS1_25partition_config_selectorILNS1_17partition_subalgoE6ExNS0_10empty_typeEbEEZZNS1_14partition_implILS5_6ELb0ES3_mN6thrust23THRUST_200600_302600_NS6detail15normal_iteratorINSA_10device_ptrIxEEEEPS6_SG_NS0_5tupleIJNSA_16discard_iteratorINSA_11use_defaultEEES6_EEENSH_IJSG_SG_EEES6_PlJNSB_9not_fun_tINSB_14equal_to_valueIxEEEEEEE10hipError_tPvRmT3_T4_T5_T6_T7_T9_mT8_P12ihipStream_tbDpT10_ENKUlT_T0_E_clISt17integral_constantIbLb0EES1B_EEDaS16_S17_EUlS16_E_NS1_11comp_targetILNS1_3genE8ELNS1_11target_archE1030ELNS1_3gpuE2ELNS1_3repE0EEENS1_30default_config_static_selectorELNS0_4arch9wavefront6targetE0EEEvT1_,comdat
	.protected	_ZN7rocprim17ROCPRIM_400000_NS6detail17trampoline_kernelINS0_14default_configENS1_25partition_config_selectorILNS1_17partition_subalgoE6ExNS0_10empty_typeEbEEZZNS1_14partition_implILS5_6ELb0ES3_mN6thrust23THRUST_200600_302600_NS6detail15normal_iteratorINSA_10device_ptrIxEEEEPS6_SG_NS0_5tupleIJNSA_16discard_iteratorINSA_11use_defaultEEES6_EEENSH_IJSG_SG_EEES6_PlJNSB_9not_fun_tINSB_14equal_to_valueIxEEEEEEE10hipError_tPvRmT3_T4_T5_T6_T7_T9_mT8_P12ihipStream_tbDpT10_ENKUlT_T0_E_clISt17integral_constantIbLb0EES1B_EEDaS16_S17_EUlS16_E_NS1_11comp_targetILNS1_3genE8ELNS1_11target_archE1030ELNS1_3gpuE2ELNS1_3repE0EEENS1_30default_config_static_selectorELNS0_4arch9wavefront6targetE0EEEvT1_ ; -- Begin function _ZN7rocprim17ROCPRIM_400000_NS6detail17trampoline_kernelINS0_14default_configENS1_25partition_config_selectorILNS1_17partition_subalgoE6ExNS0_10empty_typeEbEEZZNS1_14partition_implILS5_6ELb0ES3_mN6thrust23THRUST_200600_302600_NS6detail15normal_iteratorINSA_10device_ptrIxEEEEPS6_SG_NS0_5tupleIJNSA_16discard_iteratorINSA_11use_defaultEEES6_EEENSH_IJSG_SG_EEES6_PlJNSB_9not_fun_tINSB_14equal_to_valueIxEEEEEEE10hipError_tPvRmT3_T4_T5_T6_T7_T9_mT8_P12ihipStream_tbDpT10_ENKUlT_T0_E_clISt17integral_constantIbLb0EES1B_EEDaS16_S17_EUlS16_E_NS1_11comp_targetILNS1_3genE8ELNS1_11target_archE1030ELNS1_3gpuE2ELNS1_3repE0EEENS1_30default_config_static_selectorELNS0_4arch9wavefront6targetE0EEEvT1_
	.globl	_ZN7rocprim17ROCPRIM_400000_NS6detail17trampoline_kernelINS0_14default_configENS1_25partition_config_selectorILNS1_17partition_subalgoE6ExNS0_10empty_typeEbEEZZNS1_14partition_implILS5_6ELb0ES3_mN6thrust23THRUST_200600_302600_NS6detail15normal_iteratorINSA_10device_ptrIxEEEEPS6_SG_NS0_5tupleIJNSA_16discard_iteratorINSA_11use_defaultEEES6_EEENSH_IJSG_SG_EEES6_PlJNSB_9not_fun_tINSB_14equal_to_valueIxEEEEEEE10hipError_tPvRmT3_T4_T5_T6_T7_T9_mT8_P12ihipStream_tbDpT10_ENKUlT_T0_E_clISt17integral_constantIbLb0EES1B_EEDaS16_S17_EUlS16_E_NS1_11comp_targetILNS1_3genE8ELNS1_11target_archE1030ELNS1_3gpuE2ELNS1_3repE0EEENS1_30default_config_static_selectorELNS0_4arch9wavefront6targetE0EEEvT1_
	.p2align	8
	.type	_ZN7rocprim17ROCPRIM_400000_NS6detail17trampoline_kernelINS0_14default_configENS1_25partition_config_selectorILNS1_17partition_subalgoE6ExNS0_10empty_typeEbEEZZNS1_14partition_implILS5_6ELb0ES3_mN6thrust23THRUST_200600_302600_NS6detail15normal_iteratorINSA_10device_ptrIxEEEEPS6_SG_NS0_5tupleIJNSA_16discard_iteratorINSA_11use_defaultEEES6_EEENSH_IJSG_SG_EEES6_PlJNSB_9not_fun_tINSB_14equal_to_valueIxEEEEEEE10hipError_tPvRmT3_T4_T5_T6_T7_T9_mT8_P12ihipStream_tbDpT10_ENKUlT_T0_E_clISt17integral_constantIbLb0EES1B_EEDaS16_S17_EUlS16_E_NS1_11comp_targetILNS1_3genE8ELNS1_11target_archE1030ELNS1_3gpuE2ELNS1_3repE0EEENS1_30default_config_static_selectorELNS0_4arch9wavefront6targetE0EEEvT1_,@function
_ZN7rocprim17ROCPRIM_400000_NS6detail17trampoline_kernelINS0_14default_configENS1_25partition_config_selectorILNS1_17partition_subalgoE6ExNS0_10empty_typeEbEEZZNS1_14partition_implILS5_6ELb0ES3_mN6thrust23THRUST_200600_302600_NS6detail15normal_iteratorINSA_10device_ptrIxEEEEPS6_SG_NS0_5tupleIJNSA_16discard_iteratorINSA_11use_defaultEEES6_EEENSH_IJSG_SG_EEES6_PlJNSB_9not_fun_tINSB_14equal_to_valueIxEEEEEEE10hipError_tPvRmT3_T4_T5_T6_T7_T9_mT8_P12ihipStream_tbDpT10_ENKUlT_T0_E_clISt17integral_constantIbLb0EES1B_EEDaS16_S17_EUlS16_E_NS1_11comp_targetILNS1_3genE8ELNS1_11target_archE1030ELNS1_3gpuE2ELNS1_3repE0EEENS1_30default_config_static_selectorELNS0_4arch9wavefront6targetE0EEEvT1_: ; @_ZN7rocprim17ROCPRIM_400000_NS6detail17trampoline_kernelINS0_14default_configENS1_25partition_config_selectorILNS1_17partition_subalgoE6ExNS0_10empty_typeEbEEZZNS1_14partition_implILS5_6ELb0ES3_mN6thrust23THRUST_200600_302600_NS6detail15normal_iteratorINSA_10device_ptrIxEEEEPS6_SG_NS0_5tupleIJNSA_16discard_iteratorINSA_11use_defaultEEES6_EEENSH_IJSG_SG_EEES6_PlJNSB_9not_fun_tINSB_14equal_to_valueIxEEEEEEE10hipError_tPvRmT3_T4_T5_T6_T7_T9_mT8_P12ihipStream_tbDpT10_ENKUlT_T0_E_clISt17integral_constantIbLb0EES1B_EEDaS16_S17_EUlS16_E_NS1_11comp_targetILNS1_3genE8ELNS1_11target_archE1030ELNS1_3gpuE2ELNS1_3repE0EEENS1_30default_config_static_selectorELNS0_4arch9wavefront6targetE0EEEvT1_
; %bb.0:
	.section	.rodata,"a",@progbits
	.p2align	6, 0x0
	.amdhsa_kernel _ZN7rocprim17ROCPRIM_400000_NS6detail17trampoline_kernelINS0_14default_configENS1_25partition_config_selectorILNS1_17partition_subalgoE6ExNS0_10empty_typeEbEEZZNS1_14partition_implILS5_6ELb0ES3_mN6thrust23THRUST_200600_302600_NS6detail15normal_iteratorINSA_10device_ptrIxEEEEPS6_SG_NS0_5tupleIJNSA_16discard_iteratorINSA_11use_defaultEEES6_EEENSH_IJSG_SG_EEES6_PlJNSB_9not_fun_tINSB_14equal_to_valueIxEEEEEEE10hipError_tPvRmT3_T4_T5_T6_T7_T9_mT8_P12ihipStream_tbDpT10_ENKUlT_T0_E_clISt17integral_constantIbLb0EES1B_EEDaS16_S17_EUlS16_E_NS1_11comp_targetILNS1_3genE8ELNS1_11target_archE1030ELNS1_3gpuE2ELNS1_3repE0EEENS1_30default_config_static_selectorELNS0_4arch9wavefront6targetE0EEEvT1_
		.amdhsa_group_segment_fixed_size 0
		.amdhsa_private_segment_fixed_size 0
		.amdhsa_kernarg_size 128
		.amdhsa_user_sgpr_count 2
		.amdhsa_user_sgpr_dispatch_ptr 0
		.amdhsa_user_sgpr_queue_ptr 0
		.amdhsa_user_sgpr_kernarg_segment_ptr 1
		.amdhsa_user_sgpr_dispatch_id 0
		.amdhsa_user_sgpr_private_segment_size 0
		.amdhsa_wavefront_size32 1
		.amdhsa_uses_dynamic_stack 0
		.amdhsa_enable_private_segment 0
		.amdhsa_system_sgpr_workgroup_id_x 1
		.amdhsa_system_sgpr_workgroup_id_y 0
		.amdhsa_system_sgpr_workgroup_id_z 0
		.amdhsa_system_sgpr_workgroup_info 0
		.amdhsa_system_vgpr_workitem_id 0
		.amdhsa_next_free_vgpr 1
		.amdhsa_next_free_sgpr 1
		.amdhsa_reserve_vcc 0
		.amdhsa_float_round_mode_32 0
		.amdhsa_float_round_mode_16_64 0
		.amdhsa_float_denorm_mode_32 3
		.amdhsa_float_denorm_mode_16_64 3
		.amdhsa_fp16_overflow 0
		.amdhsa_workgroup_processor_mode 1
		.amdhsa_memory_ordered 1
		.amdhsa_forward_progress 1
		.amdhsa_inst_pref_size 0
		.amdhsa_round_robin_scheduling 0
		.amdhsa_exception_fp_ieee_invalid_op 0
		.amdhsa_exception_fp_denorm_src 0
		.amdhsa_exception_fp_ieee_div_zero 0
		.amdhsa_exception_fp_ieee_overflow 0
		.amdhsa_exception_fp_ieee_underflow 0
		.amdhsa_exception_fp_ieee_inexact 0
		.amdhsa_exception_int_div_zero 0
	.end_amdhsa_kernel
	.section	.text._ZN7rocprim17ROCPRIM_400000_NS6detail17trampoline_kernelINS0_14default_configENS1_25partition_config_selectorILNS1_17partition_subalgoE6ExNS0_10empty_typeEbEEZZNS1_14partition_implILS5_6ELb0ES3_mN6thrust23THRUST_200600_302600_NS6detail15normal_iteratorINSA_10device_ptrIxEEEEPS6_SG_NS0_5tupleIJNSA_16discard_iteratorINSA_11use_defaultEEES6_EEENSH_IJSG_SG_EEES6_PlJNSB_9not_fun_tINSB_14equal_to_valueIxEEEEEEE10hipError_tPvRmT3_T4_T5_T6_T7_T9_mT8_P12ihipStream_tbDpT10_ENKUlT_T0_E_clISt17integral_constantIbLb0EES1B_EEDaS16_S17_EUlS16_E_NS1_11comp_targetILNS1_3genE8ELNS1_11target_archE1030ELNS1_3gpuE2ELNS1_3repE0EEENS1_30default_config_static_selectorELNS0_4arch9wavefront6targetE0EEEvT1_,"axG",@progbits,_ZN7rocprim17ROCPRIM_400000_NS6detail17trampoline_kernelINS0_14default_configENS1_25partition_config_selectorILNS1_17partition_subalgoE6ExNS0_10empty_typeEbEEZZNS1_14partition_implILS5_6ELb0ES3_mN6thrust23THRUST_200600_302600_NS6detail15normal_iteratorINSA_10device_ptrIxEEEEPS6_SG_NS0_5tupleIJNSA_16discard_iteratorINSA_11use_defaultEEES6_EEENSH_IJSG_SG_EEES6_PlJNSB_9not_fun_tINSB_14equal_to_valueIxEEEEEEE10hipError_tPvRmT3_T4_T5_T6_T7_T9_mT8_P12ihipStream_tbDpT10_ENKUlT_T0_E_clISt17integral_constantIbLb0EES1B_EEDaS16_S17_EUlS16_E_NS1_11comp_targetILNS1_3genE8ELNS1_11target_archE1030ELNS1_3gpuE2ELNS1_3repE0EEENS1_30default_config_static_selectorELNS0_4arch9wavefront6targetE0EEEvT1_,comdat
.Lfunc_end1732:
	.size	_ZN7rocprim17ROCPRIM_400000_NS6detail17trampoline_kernelINS0_14default_configENS1_25partition_config_selectorILNS1_17partition_subalgoE6ExNS0_10empty_typeEbEEZZNS1_14partition_implILS5_6ELb0ES3_mN6thrust23THRUST_200600_302600_NS6detail15normal_iteratorINSA_10device_ptrIxEEEEPS6_SG_NS0_5tupleIJNSA_16discard_iteratorINSA_11use_defaultEEES6_EEENSH_IJSG_SG_EEES6_PlJNSB_9not_fun_tINSB_14equal_to_valueIxEEEEEEE10hipError_tPvRmT3_T4_T5_T6_T7_T9_mT8_P12ihipStream_tbDpT10_ENKUlT_T0_E_clISt17integral_constantIbLb0EES1B_EEDaS16_S17_EUlS16_E_NS1_11comp_targetILNS1_3genE8ELNS1_11target_archE1030ELNS1_3gpuE2ELNS1_3repE0EEENS1_30default_config_static_selectorELNS0_4arch9wavefront6targetE0EEEvT1_, .Lfunc_end1732-_ZN7rocprim17ROCPRIM_400000_NS6detail17trampoline_kernelINS0_14default_configENS1_25partition_config_selectorILNS1_17partition_subalgoE6ExNS0_10empty_typeEbEEZZNS1_14partition_implILS5_6ELb0ES3_mN6thrust23THRUST_200600_302600_NS6detail15normal_iteratorINSA_10device_ptrIxEEEEPS6_SG_NS0_5tupleIJNSA_16discard_iteratorINSA_11use_defaultEEES6_EEENSH_IJSG_SG_EEES6_PlJNSB_9not_fun_tINSB_14equal_to_valueIxEEEEEEE10hipError_tPvRmT3_T4_T5_T6_T7_T9_mT8_P12ihipStream_tbDpT10_ENKUlT_T0_E_clISt17integral_constantIbLb0EES1B_EEDaS16_S17_EUlS16_E_NS1_11comp_targetILNS1_3genE8ELNS1_11target_archE1030ELNS1_3gpuE2ELNS1_3repE0EEENS1_30default_config_static_selectorELNS0_4arch9wavefront6targetE0EEEvT1_
                                        ; -- End function
	.set _ZN7rocprim17ROCPRIM_400000_NS6detail17trampoline_kernelINS0_14default_configENS1_25partition_config_selectorILNS1_17partition_subalgoE6ExNS0_10empty_typeEbEEZZNS1_14partition_implILS5_6ELb0ES3_mN6thrust23THRUST_200600_302600_NS6detail15normal_iteratorINSA_10device_ptrIxEEEEPS6_SG_NS0_5tupleIJNSA_16discard_iteratorINSA_11use_defaultEEES6_EEENSH_IJSG_SG_EEES6_PlJNSB_9not_fun_tINSB_14equal_to_valueIxEEEEEEE10hipError_tPvRmT3_T4_T5_T6_T7_T9_mT8_P12ihipStream_tbDpT10_ENKUlT_T0_E_clISt17integral_constantIbLb0EES1B_EEDaS16_S17_EUlS16_E_NS1_11comp_targetILNS1_3genE8ELNS1_11target_archE1030ELNS1_3gpuE2ELNS1_3repE0EEENS1_30default_config_static_selectorELNS0_4arch9wavefront6targetE0EEEvT1_.num_vgpr, 0
	.set _ZN7rocprim17ROCPRIM_400000_NS6detail17trampoline_kernelINS0_14default_configENS1_25partition_config_selectorILNS1_17partition_subalgoE6ExNS0_10empty_typeEbEEZZNS1_14partition_implILS5_6ELb0ES3_mN6thrust23THRUST_200600_302600_NS6detail15normal_iteratorINSA_10device_ptrIxEEEEPS6_SG_NS0_5tupleIJNSA_16discard_iteratorINSA_11use_defaultEEES6_EEENSH_IJSG_SG_EEES6_PlJNSB_9not_fun_tINSB_14equal_to_valueIxEEEEEEE10hipError_tPvRmT3_T4_T5_T6_T7_T9_mT8_P12ihipStream_tbDpT10_ENKUlT_T0_E_clISt17integral_constantIbLb0EES1B_EEDaS16_S17_EUlS16_E_NS1_11comp_targetILNS1_3genE8ELNS1_11target_archE1030ELNS1_3gpuE2ELNS1_3repE0EEENS1_30default_config_static_selectorELNS0_4arch9wavefront6targetE0EEEvT1_.num_agpr, 0
	.set _ZN7rocprim17ROCPRIM_400000_NS6detail17trampoline_kernelINS0_14default_configENS1_25partition_config_selectorILNS1_17partition_subalgoE6ExNS0_10empty_typeEbEEZZNS1_14partition_implILS5_6ELb0ES3_mN6thrust23THRUST_200600_302600_NS6detail15normal_iteratorINSA_10device_ptrIxEEEEPS6_SG_NS0_5tupleIJNSA_16discard_iteratorINSA_11use_defaultEEES6_EEENSH_IJSG_SG_EEES6_PlJNSB_9not_fun_tINSB_14equal_to_valueIxEEEEEEE10hipError_tPvRmT3_T4_T5_T6_T7_T9_mT8_P12ihipStream_tbDpT10_ENKUlT_T0_E_clISt17integral_constantIbLb0EES1B_EEDaS16_S17_EUlS16_E_NS1_11comp_targetILNS1_3genE8ELNS1_11target_archE1030ELNS1_3gpuE2ELNS1_3repE0EEENS1_30default_config_static_selectorELNS0_4arch9wavefront6targetE0EEEvT1_.numbered_sgpr, 0
	.set _ZN7rocprim17ROCPRIM_400000_NS6detail17trampoline_kernelINS0_14default_configENS1_25partition_config_selectorILNS1_17partition_subalgoE6ExNS0_10empty_typeEbEEZZNS1_14partition_implILS5_6ELb0ES3_mN6thrust23THRUST_200600_302600_NS6detail15normal_iteratorINSA_10device_ptrIxEEEEPS6_SG_NS0_5tupleIJNSA_16discard_iteratorINSA_11use_defaultEEES6_EEENSH_IJSG_SG_EEES6_PlJNSB_9not_fun_tINSB_14equal_to_valueIxEEEEEEE10hipError_tPvRmT3_T4_T5_T6_T7_T9_mT8_P12ihipStream_tbDpT10_ENKUlT_T0_E_clISt17integral_constantIbLb0EES1B_EEDaS16_S17_EUlS16_E_NS1_11comp_targetILNS1_3genE8ELNS1_11target_archE1030ELNS1_3gpuE2ELNS1_3repE0EEENS1_30default_config_static_selectorELNS0_4arch9wavefront6targetE0EEEvT1_.num_named_barrier, 0
	.set _ZN7rocprim17ROCPRIM_400000_NS6detail17trampoline_kernelINS0_14default_configENS1_25partition_config_selectorILNS1_17partition_subalgoE6ExNS0_10empty_typeEbEEZZNS1_14partition_implILS5_6ELb0ES3_mN6thrust23THRUST_200600_302600_NS6detail15normal_iteratorINSA_10device_ptrIxEEEEPS6_SG_NS0_5tupleIJNSA_16discard_iteratorINSA_11use_defaultEEES6_EEENSH_IJSG_SG_EEES6_PlJNSB_9not_fun_tINSB_14equal_to_valueIxEEEEEEE10hipError_tPvRmT3_T4_T5_T6_T7_T9_mT8_P12ihipStream_tbDpT10_ENKUlT_T0_E_clISt17integral_constantIbLb0EES1B_EEDaS16_S17_EUlS16_E_NS1_11comp_targetILNS1_3genE8ELNS1_11target_archE1030ELNS1_3gpuE2ELNS1_3repE0EEENS1_30default_config_static_selectorELNS0_4arch9wavefront6targetE0EEEvT1_.private_seg_size, 0
	.set _ZN7rocprim17ROCPRIM_400000_NS6detail17trampoline_kernelINS0_14default_configENS1_25partition_config_selectorILNS1_17partition_subalgoE6ExNS0_10empty_typeEbEEZZNS1_14partition_implILS5_6ELb0ES3_mN6thrust23THRUST_200600_302600_NS6detail15normal_iteratorINSA_10device_ptrIxEEEEPS6_SG_NS0_5tupleIJNSA_16discard_iteratorINSA_11use_defaultEEES6_EEENSH_IJSG_SG_EEES6_PlJNSB_9not_fun_tINSB_14equal_to_valueIxEEEEEEE10hipError_tPvRmT3_T4_T5_T6_T7_T9_mT8_P12ihipStream_tbDpT10_ENKUlT_T0_E_clISt17integral_constantIbLb0EES1B_EEDaS16_S17_EUlS16_E_NS1_11comp_targetILNS1_3genE8ELNS1_11target_archE1030ELNS1_3gpuE2ELNS1_3repE0EEENS1_30default_config_static_selectorELNS0_4arch9wavefront6targetE0EEEvT1_.uses_vcc, 0
	.set _ZN7rocprim17ROCPRIM_400000_NS6detail17trampoline_kernelINS0_14default_configENS1_25partition_config_selectorILNS1_17partition_subalgoE6ExNS0_10empty_typeEbEEZZNS1_14partition_implILS5_6ELb0ES3_mN6thrust23THRUST_200600_302600_NS6detail15normal_iteratorINSA_10device_ptrIxEEEEPS6_SG_NS0_5tupleIJNSA_16discard_iteratorINSA_11use_defaultEEES6_EEENSH_IJSG_SG_EEES6_PlJNSB_9not_fun_tINSB_14equal_to_valueIxEEEEEEE10hipError_tPvRmT3_T4_T5_T6_T7_T9_mT8_P12ihipStream_tbDpT10_ENKUlT_T0_E_clISt17integral_constantIbLb0EES1B_EEDaS16_S17_EUlS16_E_NS1_11comp_targetILNS1_3genE8ELNS1_11target_archE1030ELNS1_3gpuE2ELNS1_3repE0EEENS1_30default_config_static_selectorELNS0_4arch9wavefront6targetE0EEEvT1_.uses_flat_scratch, 0
	.set _ZN7rocprim17ROCPRIM_400000_NS6detail17trampoline_kernelINS0_14default_configENS1_25partition_config_selectorILNS1_17partition_subalgoE6ExNS0_10empty_typeEbEEZZNS1_14partition_implILS5_6ELb0ES3_mN6thrust23THRUST_200600_302600_NS6detail15normal_iteratorINSA_10device_ptrIxEEEEPS6_SG_NS0_5tupleIJNSA_16discard_iteratorINSA_11use_defaultEEES6_EEENSH_IJSG_SG_EEES6_PlJNSB_9not_fun_tINSB_14equal_to_valueIxEEEEEEE10hipError_tPvRmT3_T4_T5_T6_T7_T9_mT8_P12ihipStream_tbDpT10_ENKUlT_T0_E_clISt17integral_constantIbLb0EES1B_EEDaS16_S17_EUlS16_E_NS1_11comp_targetILNS1_3genE8ELNS1_11target_archE1030ELNS1_3gpuE2ELNS1_3repE0EEENS1_30default_config_static_selectorELNS0_4arch9wavefront6targetE0EEEvT1_.has_dyn_sized_stack, 0
	.set _ZN7rocprim17ROCPRIM_400000_NS6detail17trampoline_kernelINS0_14default_configENS1_25partition_config_selectorILNS1_17partition_subalgoE6ExNS0_10empty_typeEbEEZZNS1_14partition_implILS5_6ELb0ES3_mN6thrust23THRUST_200600_302600_NS6detail15normal_iteratorINSA_10device_ptrIxEEEEPS6_SG_NS0_5tupleIJNSA_16discard_iteratorINSA_11use_defaultEEES6_EEENSH_IJSG_SG_EEES6_PlJNSB_9not_fun_tINSB_14equal_to_valueIxEEEEEEE10hipError_tPvRmT3_T4_T5_T6_T7_T9_mT8_P12ihipStream_tbDpT10_ENKUlT_T0_E_clISt17integral_constantIbLb0EES1B_EEDaS16_S17_EUlS16_E_NS1_11comp_targetILNS1_3genE8ELNS1_11target_archE1030ELNS1_3gpuE2ELNS1_3repE0EEENS1_30default_config_static_selectorELNS0_4arch9wavefront6targetE0EEEvT1_.has_recursion, 0
	.set _ZN7rocprim17ROCPRIM_400000_NS6detail17trampoline_kernelINS0_14default_configENS1_25partition_config_selectorILNS1_17partition_subalgoE6ExNS0_10empty_typeEbEEZZNS1_14partition_implILS5_6ELb0ES3_mN6thrust23THRUST_200600_302600_NS6detail15normal_iteratorINSA_10device_ptrIxEEEEPS6_SG_NS0_5tupleIJNSA_16discard_iteratorINSA_11use_defaultEEES6_EEENSH_IJSG_SG_EEES6_PlJNSB_9not_fun_tINSB_14equal_to_valueIxEEEEEEE10hipError_tPvRmT3_T4_T5_T6_T7_T9_mT8_P12ihipStream_tbDpT10_ENKUlT_T0_E_clISt17integral_constantIbLb0EES1B_EEDaS16_S17_EUlS16_E_NS1_11comp_targetILNS1_3genE8ELNS1_11target_archE1030ELNS1_3gpuE2ELNS1_3repE0EEENS1_30default_config_static_selectorELNS0_4arch9wavefront6targetE0EEEvT1_.has_indirect_call, 0
	.section	.AMDGPU.csdata,"",@progbits
; Kernel info:
; codeLenInByte = 0
; TotalNumSgprs: 0
; NumVgprs: 0
; ScratchSize: 0
; MemoryBound: 0
; FloatMode: 240
; IeeeMode: 1
; LDSByteSize: 0 bytes/workgroup (compile time only)
; SGPRBlocks: 0
; VGPRBlocks: 0
; NumSGPRsForWavesPerEU: 1
; NumVGPRsForWavesPerEU: 1
; Occupancy: 16
; WaveLimiterHint : 0
; COMPUTE_PGM_RSRC2:SCRATCH_EN: 0
; COMPUTE_PGM_RSRC2:USER_SGPR: 2
; COMPUTE_PGM_RSRC2:TRAP_HANDLER: 0
; COMPUTE_PGM_RSRC2:TGID_X_EN: 1
; COMPUTE_PGM_RSRC2:TGID_Y_EN: 0
; COMPUTE_PGM_RSRC2:TGID_Z_EN: 0
; COMPUTE_PGM_RSRC2:TIDIG_COMP_CNT: 0
	.section	.text._ZN7rocprim17ROCPRIM_400000_NS6detail17trampoline_kernelINS0_14default_configENS1_25partition_config_selectorILNS1_17partition_subalgoE6ExNS0_10empty_typeEbEEZZNS1_14partition_implILS5_6ELb0ES3_mN6thrust23THRUST_200600_302600_NS6detail15normal_iteratorINSA_10device_ptrIxEEEEPS6_SG_NS0_5tupleIJNSA_16discard_iteratorINSA_11use_defaultEEES6_EEENSH_IJSG_SG_EEES6_PlJNSB_9not_fun_tINSB_14equal_to_valueIxEEEEEEE10hipError_tPvRmT3_T4_T5_T6_T7_T9_mT8_P12ihipStream_tbDpT10_ENKUlT_T0_E_clISt17integral_constantIbLb1EES1B_EEDaS16_S17_EUlS16_E_NS1_11comp_targetILNS1_3genE0ELNS1_11target_archE4294967295ELNS1_3gpuE0ELNS1_3repE0EEENS1_30default_config_static_selectorELNS0_4arch9wavefront6targetE0EEEvT1_,"axG",@progbits,_ZN7rocprim17ROCPRIM_400000_NS6detail17trampoline_kernelINS0_14default_configENS1_25partition_config_selectorILNS1_17partition_subalgoE6ExNS0_10empty_typeEbEEZZNS1_14partition_implILS5_6ELb0ES3_mN6thrust23THRUST_200600_302600_NS6detail15normal_iteratorINSA_10device_ptrIxEEEEPS6_SG_NS0_5tupleIJNSA_16discard_iteratorINSA_11use_defaultEEES6_EEENSH_IJSG_SG_EEES6_PlJNSB_9not_fun_tINSB_14equal_to_valueIxEEEEEEE10hipError_tPvRmT3_T4_T5_T6_T7_T9_mT8_P12ihipStream_tbDpT10_ENKUlT_T0_E_clISt17integral_constantIbLb1EES1B_EEDaS16_S17_EUlS16_E_NS1_11comp_targetILNS1_3genE0ELNS1_11target_archE4294967295ELNS1_3gpuE0ELNS1_3repE0EEENS1_30default_config_static_selectorELNS0_4arch9wavefront6targetE0EEEvT1_,comdat
	.protected	_ZN7rocprim17ROCPRIM_400000_NS6detail17trampoline_kernelINS0_14default_configENS1_25partition_config_selectorILNS1_17partition_subalgoE6ExNS0_10empty_typeEbEEZZNS1_14partition_implILS5_6ELb0ES3_mN6thrust23THRUST_200600_302600_NS6detail15normal_iteratorINSA_10device_ptrIxEEEEPS6_SG_NS0_5tupleIJNSA_16discard_iteratorINSA_11use_defaultEEES6_EEENSH_IJSG_SG_EEES6_PlJNSB_9not_fun_tINSB_14equal_to_valueIxEEEEEEE10hipError_tPvRmT3_T4_T5_T6_T7_T9_mT8_P12ihipStream_tbDpT10_ENKUlT_T0_E_clISt17integral_constantIbLb1EES1B_EEDaS16_S17_EUlS16_E_NS1_11comp_targetILNS1_3genE0ELNS1_11target_archE4294967295ELNS1_3gpuE0ELNS1_3repE0EEENS1_30default_config_static_selectorELNS0_4arch9wavefront6targetE0EEEvT1_ ; -- Begin function _ZN7rocprim17ROCPRIM_400000_NS6detail17trampoline_kernelINS0_14default_configENS1_25partition_config_selectorILNS1_17partition_subalgoE6ExNS0_10empty_typeEbEEZZNS1_14partition_implILS5_6ELb0ES3_mN6thrust23THRUST_200600_302600_NS6detail15normal_iteratorINSA_10device_ptrIxEEEEPS6_SG_NS0_5tupleIJNSA_16discard_iteratorINSA_11use_defaultEEES6_EEENSH_IJSG_SG_EEES6_PlJNSB_9not_fun_tINSB_14equal_to_valueIxEEEEEEE10hipError_tPvRmT3_T4_T5_T6_T7_T9_mT8_P12ihipStream_tbDpT10_ENKUlT_T0_E_clISt17integral_constantIbLb1EES1B_EEDaS16_S17_EUlS16_E_NS1_11comp_targetILNS1_3genE0ELNS1_11target_archE4294967295ELNS1_3gpuE0ELNS1_3repE0EEENS1_30default_config_static_selectorELNS0_4arch9wavefront6targetE0EEEvT1_
	.globl	_ZN7rocprim17ROCPRIM_400000_NS6detail17trampoline_kernelINS0_14default_configENS1_25partition_config_selectorILNS1_17partition_subalgoE6ExNS0_10empty_typeEbEEZZNS1_14partition_implILS5_6ELb0ES3_mN6thrust23THRUST_200600_302600_NS6detail15normal_iteratorINSA_10device_ptrIxEEEEPS6_SG_NS0_5tupleIJNSA_16discard_iteratorINSA_11use_defaultEEES6_EEENSH_IJSG_SG_EEES6_PlJNSB_9not_fun_tINSB_14equal_to_valueIxEEEEEEE10hipError_tPvRmT3_T4_T5_T6_T7_T9_mT8_P12ihipStream_tbDpT10_ENKUlT_T0_E_clISt17integral_constantIbLb1EES1B_EEDaS16_S17_EUlS16_E_NS1_11comp_targetILNS1_3genE0ELNS1_11target_archE4294967295ELNS1_3gpuE0ELNS1_3repE0EEENS1_30default_config_static_selectorELNS0_4arch9wavefront6targetE0EEEvT1_
	.p2align	8
	.type	_ZN7rocprim17ROCPRIM_400000_NS6detail17trampoline_kernelINS0_14default_configENS1_25partition_config_selectorILNS1_17partition_subalgoE6ExNS0_10empty_typeEbEEZZNS1_14partition_implILS5_6ELb0ES3_mN6thrust23THRUST_200600_302600_NS6detail15normal_iteratorINSA_10device_ptrIxEEEEPS6_SG_NS0_5tupleIJNSA_16discard_iteratorINSA_11use_defaultEEES6_EEENSH_IJSG_SG_EEES6_PlJNSB_9not_fun_tINSB_14equal_to_valueIxEEEEEEE10hipError_tPvRmT3_T4_T5_T6_T7_T9_mT8_P12ihipStream_tbDpT10_ENKUlT_T0_E_clISt17integral_constantIbLb1EES1B_EEDaS16_S17_EUlS16_E_NS1_11comp_targetILNS1_3genE0ELNS1_11target_archE4294967295ELNS1_3gpuE0ELNS1_3repE0EEENS1_30default_config_static_selectorELNS0_4arch9wavefront6targetE0EEEvT1_,@function
_ZN7rocprim17ROCPRIM_400000_NS6detail17trampoline_kernelINS0_14default_configENS1_25partition_config_selectorILNS1_17partition_subalgoE6ExNS0_10empty_typeEbEEZZNS1_14partition_implILS5_6ELb0ES3_mN6thrust23THRUST_200600_302600_NS6detail15normal_iteratorINSA_10device_ptrIxEEEEPS6_SG_NS0_5tupleIJNSA_16discard_iteratorINSA_11use_defaultEEES6_EEENSH_IJSG_SG_EEES6_PlJNSB_9not_fun_tINSB_14equal_to_valueIxEEEEEEE10hipError_tPvRmT3_T4_T5_T6_T7_T9_mT8_P12ihipStream_tbDpT10_ENKUlT_T0_E_clISt17integral_constantIbLb1EES1B_EEDaS16_S17_EUlS16_E_NS1_11comp_targetILNS1_3genE0ELNS1_11target_archE4294967295ELNS1_3gpuE0ELNS1_3repE0EEENS1_30default_config_static_selectorELNS0_4arch9wavefront6targetE0EEEvT1_: ; @_ZN7rocprim17ROCPRIM_400000_NS6detail17trampoline_kernelINS0_14default_configENS1_25partition_config_selectorILNS1_17partition_subalgoE6ExNS0_10empty_typeEbEEZZNS1_14partition_implILS5_6ELb0ES3_mN6thrust23THRUST_200600_302600_NS6detail15normal_iteratorINSA_10device_ptrIxEEEEPS6_SG_NS0_5tupleIJNSA_16discard_iteratorINSA_11use_defaultEEES6_EEENSH_IJSG_SG_EEES6_PlJNSB_9not_fun_tINSB_14equal_to_valueIxEEEEEEE10hipError_tPvRmT3_T4_T5_T6_T7_T9_mT8_P12ihipStream_tbDpT10_ENKUlT_T0_E_clISt17integral_constantIbLb1EES1B_EEDaS16_S17_EUlS16_E_NS1_11comp_targetILNS1_3genE0ELNS1_11target_archE4294967295ELNS1_3gpuE0ELNS1_3repE0EEENS1_30default_config_static_selectorELNS0_4arch9wavefront6targetE0EEEvT1_
; %bb.0:
	.section	.rodata,"a",@progbits
	.p2align	6, 0x0
	.amdhsa_kernel _ZN7rocprim17ROCPRIM_400000_NS6detail17trampoline_kernelINS0_14default_configENS1_25partition_config_selectorILNS1_17partition_subalgoE6ExNS0_10empty_typeEbEEZZNS1_14partition_implILS5_6ELb0ES3_mN6thrust23THRUST_200600_302600_NS6detail15normal_iteratorINSA_10device_ptrIxEEEEPS6_SG_NS0_5tupleIJNSA_16discard_iteratorINSA_11use_defaultEEES6_EEENSH_IJSG_SG_EEES6_PlJNSB_9not_fun_tINSB_14equal_to_valueIxEEEEEEE10hipError_tPvRmT3_T4_T5_T6_T7_T9_mT8_P12ihipStream_tbDpT10_ENKUlT_T0_E_clISt17integral_constantIbLb1EES1B_EEDaS16_S17_EUlS16_E_NS1_11comp_targetILNS1_3genE0ELNS1_11target_archE4294967295ELNS1_3gpuE0ELNS1_3repE0EEENS1_30default_config_static_selectorELNS0_4arch9wavefront6targetE0EEEvT1_
		.amdhsa_group_segment_fixed_size 0
		.amdhsa_private_segment_fixed_size 0
		.amdhsa_kernarg_size 136
		.amdhsa_user_sgpr_count 2
		.amdhsa_user_sgpr_dispatch_ptr 0
		.amdhsa_user_sgpr_queue_ptr 0
		.amdhsa_user_sgpr_kernarg_segment_ptr 1
		.amdhsa_user_sgpr_dispatch_id 0
		.amdhsa_user_sgpr_private_segment_size 0
		.amdhsa_wavefront_size32 1
		.amdhsa_uses_dynamic_stack 0
		.amdhsa_enable_private_segment 0
		.amdhsa_system_sgpr_workgroup_id_x 1
		.amdhsa_system_sgpr_workgroup_id_y 0
		.amdhsa_system_sgpr_workgroup_id_z 0
		.amdhsa_system_sgpr_workgroup_info 0
		.amdhsa_system_vgpr_workitem_id 0
		.amdhsa_next_free_vgpr 1
		.amdhsa_next_free_sgpr 1
		.amdhsa_reserve_vcc 0
		.amdhsa_float_round_mode_32 0
		.amdhsa_float_round_mode_16_64 0
		.amdhsa_float_denorm_mode_32 3
		.amdhsa_float_denorm_mode_16_64 3
		.amdhsa_fp16_overflow 0
		.amdhsa_workgroup_processor_mode 1
		.amdhsa_memory_ordered 1
		.amdhsa_forward_progress 1
		.amdhsa_inst_pref_size 0
		.amdhsa_round_robin_scheduling 0
		.amdhsa_exception_fp_ieee_invalid_op 0
		.amdhsa_exception_fp_denorm_src 0
		.amdhsa_exception_fp_ieee_div_zero 0
		.amdhsa_exception_fp_ieee_overflow 0
		.amdhsa_exception_fp_ieee_underflow 0
		.amdhsa_exception_fp_ieee_inexact 0
		.amdhsa_exception_int_div_zero 0
	.end_amdhsa_kernel
	.section	.text._ZN7rocprim17ROCPRIM_400000_NS6detail17trampoline_kernelINS0_14default_configENS1_25partition_config_selectorILNS1_17partition_subalgoE6ExNS0_10empty_typeEbEEZZNS1_14partition_implILS5_6ELb0ES3_mN6thrust23THRUST_200600_302600_NS6detail15normal_iteratorINSA_10device_ptrIxEEEEPS6_SG_NS0_5tupleIJNSA_16discard_iteratorINSA_11use_defaultEEES6_EEENSH_IJSG_SG_EEES6_PlJNSB_9not_fun_tINSB_14equal_to_valueIxEEEEEEE10hipError_tPvRmT3_T4_T5_T6_T7_T9_mT8_P12ihipStream_tbDpT10_ENKUlT_T0_E_clISt17integral_constantIbLb1EES1B_EEDaS16_S17_EUlS16_E_NS1_11comp_targetILNS1_3genE0ELNS1_11target_archE4294967295ELNS1_3gpuE0ELNS1_3repE0EEENS1_30default_config_static_selectorELNS0_4arch9wavefront6targetE0EEEvT1_,"axG",@progbits,_ZN7rocprim17ROCPRIM_400000_NS6detail17trampoline_kernelINS0_14default_configENS1_25partition_config_selectorILNS1_17partition_subalgoE6ExNS0_10empty_typeEbEEZZNS1_14partition_implILS5_6ELb0ES3_mN6thrust23THRUST_200600_302600_NS6detail15normal_iteratorINSA_10device_ptrIxEEEEPS6_SG_NS0_5tupleIJNSA_16discard_iteratorINSA_11use_defaultEEES6_EEENSH_IJSG_SG_EEES6_PlJNSB_9not_fun_tINSB_14equal_to_valueIxEEEEEEE10hipError_tPvRmT3_T4_T5_T6_T7_T9_mT8_P12ihipStream_tbDpT10_ENKUlT_T0_E_clISt17integral_constantIbLb1EES1B_EEDaS16_S17_EUlS16_E_NS1_11comp_targetILNS1_3genE0ELNS1_11target_archE4294967295ELNS1_3gpuE0ELNS1_3repE0EEENS1_30default_config_static_selectorELNS0_4arch9wavefront6targetE0EEEvT1_,comdat
.Lfunc_end1733:
	.size	_ZN7rocprim17ROCPRIM_400000_NS6detail17trampoline_kernelINS0_14default_configENS1_25partition_config_selectorILNS1_17partition_subalgoE6ExNS0_10empty_typeEbEEZZNS1_14partition_implILS5_6ELb0ES3_mN6thrust23THRUST_200600_302600_NS6detail15normal_iteratorINSA_10device_ptrIxEEEEPS6_SG_NS0_5tupleIJNSA_16discard_iteratorINSA_11use_defaultEEES6_EEENSH_IJSG_SG_EEES6_PlJNSB_9not_fun_tINSB_14equal_to_valueIxEEEEEEE10hipError_tPvRmT3_T4_T5_T6_T7_T9_mT8_P12ihipStream_tbDpT10_ENKUlT_T0_E_clISt17integral_constantIbLb1EES1B_EEDaS16_S17_EUlS16_E_NS1_11comp_targetILNS1_3genE0ELNS1_11target_archE4294967295ELNS1_3gpuE0ELNS1_3repE0EEENS1_30default_config_static_selectorELNS0_4arch9wavefront6targetE0EEEvT1_, .Lfunc_end1733-_ZN7rocprim17ROCPRIM_400000_NS6detail17trampoline_kernelINS0_14default_configENS1_25partition_config_selectorILNS1_17partition_subalgoE6ExNS0_10empty_typeEbEEZZNS1_14partition_implILS5_6ELb0ES3_mN6thrust23THRUST_200600_302600_NS6detail15normal_iteratorINSA_10device_ptrIxEEEEPS6_SG_NS0_5tupleIJNSA_16discard_iteratorINSA_11use_defaultEEES6_EEENSH_IJSG_SG_EEES6_PlJNSB_9not_fun_tINSB_14equal_to_valueIxEEEEEEE10hipError_tPvRmT3_T4_T5_T6_T7_T9_mT8_P12ihipStream_tbDpT10_ENKUlT_T0_E_clISt17integral_constantIbLb1EES1B_EEDaS16_S17_EUlS16_E_NS1_11comp_targetILNS1_3genE0ELNS1_11target_archE4294967295ELNS1_3gpuE0ELNS1_3repE0EEENS1_30default_config_static_selectorELNS0_4arch9wavefront6targetE0EEEvT1_
                                        ; -- End function
	.set _ZN7rocprim17ROCPRIM_400000_NS6detail17trampoline_kernelINS0_14default_configENS1_25partition_config_selectorILNS1_17partition_subalgoE6ExNS0_10empty_typeEbEEZZNS1_14partition_implILS5_6ELb0ES3_mN6thrust23THRUST_200600_302600_NS6detail15normal_iteratorINSA_10device_ptrIxEEEEPS6_SG_NS0_5tupleIJNSA_16discard_iteratorINSA_11use_defaultEEES6_EEENSH_IJSG_SG_EEES6_PlJNSB_9not_fun_tINSB_14equal_to_valueIxEEEEEEE10hipError_tPvRmT3_T4_T5_T6_T7_T9_mT8_P12ihipStream_tbDpT10_ENKUlT_T0_E_clISt17integral_constantIbLb1EES1B_EEDaS16_S17_EUlS16_E_NS1_11comp_targetILNS1_3genE0ELNS1_11target_archE4294967295ELNS1_3gpuE0ELNS1_3repE0EEENS1_30default_config_static_selectorELNS0_4arch9wavefront6targetE0EEEvT1_.num_vgpr, 0
	.set _ZN7rocprim17ROCPRIM_400000_NS6detail17trampoline_kernelINS0_14default_configENS1_25partition_config_selectorILNS1_17partition_subalgoE6ExNS0_10empty_typeEbEEZZNS1_14partition_implILS5_6ELb0ES3_mN6thrust23THRUST_200600_302600_NS6detail15normal_iteratorINSA_10device_ptrIxEEEEPS6_SG_NS0_5tupleIJNSA_16discard_iteratorINSA_11use_defaultEEES6_EEENSH_IJSG_SG_EEES6_PlJNSB_9not_fun_tINSB_14equal_to_valueIxEEEEEEE10hipError_tPvRmT3_T4_T5_T6_T7_T9_mT8_P12ihipStream_tbDpT10_ENKUlT_T0_E_clISt17integral_constantIbLb1EES1B_EEDaS16_S17_EUlS16_E_NS1_11comp_targetILNS1_3genE0ELNS1_11target_archE4294967295ELNS1_3gpuE0ELNS1_3repE0EEENS1_30default_config_static_selectorELNS0_4arch9wavefront6targetE0EEEvT1_.num_agpr, 0
	.set _ZN7rocprim17ROCPRIM_400000_NS6detail17trampoline_kernelINS0_14default_configENS1_25partition_config_selectorILNS1_17partition_subalgoE6ExNS0_10empty_typeEbEEZZNS1_14partition_implILS5_6ELb0ES3_mN6thrust23THRUST_200600_302600_NS6detail15normal_iteratorINSA_10device_ptrIxEEEEPS6_SG_NS0_5tupleIJNSA_16discard_iteratorINSA_11use_defaultEEES6_EEENSH_IJSG_SG_EEES6_PlJNSB_9not_fun_tINSB_14equal_to_valueIxEEEEEEE10hipError_tPvRmT3_T4_T5_T6_T7_T9_mT8_P12ihipStream_tbDpT10_ENKUlT_T0_E_clISt17integral_constantIbLb1EES1B_EEDaS16_S17_EUlS16_E_NS1_11comp_targetILNS1_3genE0ELNS1_11target_archE4294967295ELNS1_3gpuE0ELNS1_3repE0EEENS1_30default_config_static_selectorELNS0_4arch9wavefront6targetE0EEEvT1_.numbered_sgpr, 0
	.set _ZN7rocprim17ROCPRIM_400000_NS6detail17trampoline_kernelINS0_14default_configENS1_25partition_config_selectorILNS1_17partition_subalgoE6ExNS0_10empty_typeEbEEZZNS1_14partition_implILS5_6ELb0ES3_mN6thrust23THRUST_200600_302600_NS6detail15normal_iteratorINSA_10device_ptrIxEEEEPS6_SG_NS0_5tupleIJNSA_16discard_iteratorINSA_11use_defaultEEES6_EEENSH_IJSG_SG_EEES6_PlJNSB_9not_fun_tINSB_14equal_to_valueIxEEEEEEE10hipError_tPvRmT3_T4_T5_T6_T7_T9_mT8_P12ihipStream_tbDpT10_ENKUlT_T0_E_clISt17integral_constantIbLb1EES1B_EEDaS16_S17_EUlS16_E_NS1_11comp_targetILNS1_3genE0ELNS1_11target_archE4294967295ELNS1_3gpuE0ELNS1_3repE0EEENS1_30default_config_static_selectorELNS0_4arch9wavefront6targetE0EEEvT1_.num_named_barrier, 0
	.set _ZN7rocprim17ROCPRIM_400000_NS6detail17trampoline_kernelINS0_14default_configENS1_25partition_config_selectorILNS1_17partition_subalgoE6ExNS0_10empty_typeEbEEZZNS1_14partition_implILS5_6ELb0ES3_mN6thrust23THRUST_200600_302600_NS6detail15normal_iteratorINSA_10device_ptrIxEEEEPS6_SG_NS0_5tupleIJNSA_16discard_iteratorINSA_11use_defaultEEES6_EEENSH_IJSG_SG_EEES6_PlJNSB_9not_fun_tINSB_14equal_to_valueIxEEEEEEE10hipError_tPvRmT3_T4_T5_T6_T7_T9_mT8_P12ihipStream_tbDpT10_ENKUlT_T0_E_clISt17integral_constantIbLb1EES1B_EEDaS16_S17_EUlS16_E_NS1_11comp_targetILNS1_3genE0ELNS1_11target_archE4294967295ELNS1_3gpuE0ELNS1_3repE0EEENS1_30default_config_static_selectorELNS0_4arch9wavefront6targetE0EEEvT1_.private_seg_size, 0
	.set _ZN7rocprim17ROCPRIM_400000_NS6detail17trampoline_kernelINS0_14default_configENS1_25partition_config_selectorILNS1_17partition_subalgoE6ExNS0_10empty_typeEbEEZZNS1_14partition_implILS5_6ELb0ES3_mN6thrust23THRUST_200600_302600_NS6detail15normal_iteratorINSA_10device_ptrIxEEEEPS6_SG_NS0_5tupleIJNSA_16discard_iteratorINSA_11use_defaultEEES6_EEENSH_IJSG_SG_EEES6_PlJNSB_9not_fun_tINSB_14equal_to_valueIxEEEEEEE10hipError_tPvRmT3_T4_T5_T6_T7_T9_mT8_P12ihipStream_tbDpT10_ENKUlT_T0_E_clISt17integral_constantIbLb1EES1B_EEDaS16_S17_EUlS16_E_NS1_11comp_targetILNS1_3genE0ELNS1_11target_archE4294967295ELNS1_3gpuE0ELNS1_3repE0EEENS1_30default_config_static_selectorELNS0_4arch9wavefront6targetE0EEEvT1_.uses_vcc, 0
	.set _ZN7rocprim17ROCPRIM_400000_NS6detail17trampoline_kernelINS0_14default_configENS1_25partition_config_selectorILNS1_17partition_subalgoE6ExNS0_10empty_typeEbEEZZNS1_14partition_implILS5_6ELb0ES3_mN6thrust23THRUST_200600_302600_NS6detail15normal_iteratorINSA_10device_ptrIxEEEEPS6_SG_NS0_5tupleIJNSA_16discard_iteratorINSA_11use_defaultEEES6_EEENSH_IJSG_SG_EEES6_PlJNSB_9not_fun_tINSB_14equal_to_valueIxEEEEEEE10hipError_tPvRmT3_T4_T5_T6_T7_T9_mT8_P12ihipStream_tbDpT10_ENKUlT_T0_E_clISt17integral_constantIbLb1EES1B_EEDaS16_S17_EUlS16_E_NS1_11comp_targetILNS1_3genE0ELNS1_11target_archE4294967295ELNS1_3gpuE0ELNS1_3repE0EEENS1_30default_config_static_selectorELNS0_4arch9wavefront6targetE0EEEvT1_.uses_flat_scratch, 0
	.set _ZN7rocprim17ROCPRIM_400000_NS6detail17trampoline_kernelINS0_14default_configENS1_25partition_config_selectorILNS1_17partition_subalgoE6ExNS0_10empty_typeEbEEZZNS1_14partition_implILS5_6ELb0ES3_mN6thrust23THRUST_200600_302600_NS6detail15normal_iteratorINSA_10device_ptrIxEEEEPS6_SG_NS0_5tupleIJNSA_16discard_iteratorINSA_11use_defaultEEES6_EEENSH_IJSG_SG_EEES6_PlJNSB_9not_fun_tINSB_14equal_to_valueIxEEEEEEE10hipError_tPvRmT3_T4_T5_T6_T7_T9_mT8_P12ihipStream_tbDpT10_ENKUlT_T0_E_clISt17integral_constantIbLb1EES1B_EEDaS16_S17_EUlS16_E_NS1_11comp_targetILNS1_3genE0ELNS1_11target_archE4294967295ELNS1_3gpuE0ELNS1_3repE0EEENS1_30default_config_static_selectorELNS0_4arch9wavefront6targetE0EEEvT1_.has_dyn_sized_stack, 0
	.set _ZN7rocprim17ROCPRIM_400000_NS6detail17trampoline_kernelINS0_14default_configENS1_25partition_config_selectorILNS1_17partition_subalgoE6ExNS0_10empty_typeEbEEZZNS1_14partition_implILS5_6ELb0ES3_mN6thrust23THRUST_200600_302600_NS6detail15normal_iteratorINSA_10device_ptrIxEEEEPS6_SG_NS0_5tupleIJNSA_16discard_iteratorINSA_11use_defaultEEES6_EEENSH_IJSG_SG_EEES6_PlJNSB_9not_fun_tINSB_14equal_to_valueIxEEEEEEE10hipError_tPvRmT3_T4_T5_T6_T7_T9_mT8_P12ihipStream_tbDpT10_ENKUlT_T0_E_clISt17integral_constantIbLb1EES1B_EEDaS16_S17_EUlS16_E_NS1_11comp_targetILNS1_3genE0ELNS1_11target_archE4294967295ELNS1_3gpuE0ELNS1_3repE0EEENS1_30default_config_static_selectorELNS0_4arch9wavefront6targetE0EEEvT1_.has_recursion, 0
	.set _ZN7rocprim17ROCPRIM_400000_NS6detail17trampoline_kernelINS0_14default_configENS1_25partition_config_selectorILNS1_17partition_subalgoE6ExNS0_10empty_typeEbEEZZNS1_14partition_implILS5_6ELb0ES3_mN6thrust23THRUST_200600_302600_NS6detail15normal_iteratorINSA_10device_ptrIxEEEEPS6_SG_NS0_5tupleIJNSA_16discard_iteratorINSA_11use_defaultEEES6_EEENSH_IJSG_SG_EEES6_PlJNSB_9not_fun_tINSB_14equal_to_valueIxEEEEEEE10hipError_tPvRmT3_T4_T5_T6_T7_T9_mT8_P12ihipStream_tbDpT10_ENKUlT_T0_E_clISt17integral_constantIbLb1EES1B_EEDaS16_S17_EUlS16_E_NS1_11comp_targetILNS1_3genE0ELNS1_11target_archE4294967295ELNS1_3gpuE0ELNS1_3repE0EEENS1_30default_config_static_selectorELNS0_4arch9wavefront6targetE0EEEvT1_.has_indirect_call, 0
	.section	.AMDGPU.csdata,"",@progbits
; Kernel info:
; codeLenInByte = 0
; TotalNumSgprs: 0
; NumVgprs: 0
; ScratchSize: 0
; MemoryBound: 0
; FloatMode: 240
; IeeeMode: 1
; LDSByteSize: 0 bytes/workgroup (compile time only)
; SGPRBlocks: 0
; VGPRBlocks: 0
; NumSGPRsForWavesPerEU: 1
; NumVGPRsForWavesPerEU: 1
; Occupancy: 16
; WaveLimiterHint : 0
; COMPUTE_PGM_RSRC2:SCRATCH_EN: 0
; COMPUTE_PGM_RSRC2:USER_SGPR: 2
; COMPUTE_PGM_RSRC2:TRAP_HANDLER: 0
; COMPUTE_PGM_RSRC2:TGID_X_EN: 1
; COMPUTE_PGM_RSRC2:TGID_Y_EN: 0
; COMPUTE_PGM_RSRC2:TGID_Z_EN: 0
; COMPUTE_PGM_RSRC2:TIDIG_COMP_CNT: 0
	.section	.text._ZN7rocprim17ROCPRIM_400000_NS6detail17trampoline_kernelINS0_14default_configENS1_25partition_config_selectorILNS1_17partition_subalgoE6ExNS0_10empty_typeEbEEZZNS1_14partition_implILS5_6ELb0ES3_mN6thrust23THRUST_200600_302600_NS6detail15normal_iteratorINSA_10device_ptrIxEEEEPS6_SG_NS0_5tupleIJNSA_16discard_iteratorINSA_11use_defaultEEES6_EEENSH_IJSG_SG_EEES6_PlJNSB_9not_fun_tINSB_14equal_to_valueIxEEEEEEE10hipError_tPvRmT3_T4_T5_T6_T7_T9_mT8_P12ihipStream_tbDpT10_ENKUlT_T0_E_clISt17integral_constantIbLb1EES1B_EEDaS16_S17_EUlS16_E_NS1_11comp_targetILNS1_3genE5ELNS1_11target_archE942ELNS1_3gpuE9ELNS1_3repE0EEENS1_30default_config_static_selectorELNS0_4arch9wavefront6targetE0EEEvT1_,"axG",@progbits,_ZN7rocprim17ROCPRIM_400000_NS6detail17trampoline_kernelINS0_14default_configENS1_25partition_config_selectorILNS1_17partition_subalgoE6ExNS0_10empty_typeEbEEZZNS1_14partition_implILS5_6ELb0ES3_mN6thrust23THRUST_200600_302600_NS6detail15normal_iteratorINSA_10device_ptrIxEEEEPS6_SG_NS0_5tupleIJNSA_16discard_iteratorINSA_11use_defaultEEES6_EEENSH_IJSG_SG_EEES6_PlJNSB_9not_fun_tINSB_14equal_to_valueIxEEEEEEE10hipError_tPvRmT3_T4_T5_T6_T7_T9_mT8_P12ihipStream_tbDpT10_ENKUlT_T0_E_clISt17integral_constantIbLb1EES1B_EEDaS16_S17_EUlS16_E_NS1_11comp_targetILNS1_3genE5ELNS1_11target_archE942ELNS1_3gpuE9ELNS1_3repE0EEENS1_30default_config_static_selectorELNS0_4arch9wavefront6targetE0EEEvT1_,comdat
	.protected	_ZN7rocprim17ROCPRIM_400000_NS6detail17trampoline_kernelINS0_14default_configENS1_25partition_config_selectorILNS1_17partition_subalgoE6ExNS0_10empty_typeEbEEZZNS1_14partition_implILS5_6ELb0ES3_mN6thrust23THRUST_200600_302600_NS6detail15normal_iteratorINSA_10device_ptrIxEEEEPS6_SG_NS0_5tupleIJNSA_16discard_iteratorINSA_11use_defaultEEES6_EEENSH_IJSG_SG_EEES6_PlJNSB_9not_fun_tINSB_14equal_to_valueIxEEEEEEE10hipError_tPvRmT3_T4_T5_T6_T7_T9_mT8_P12ihipStream_tbDpT10_ENKUlT_T0_E_clISt17integral_constantIbLb1EES1B_EEDaS16_S17_EUlS16_E_NS1_11comp_targetILNS1_3genE5ELNS1_11target_archE942ELNS1_3gpuE9ELNS1_3repE0EEENS1_30default_config_static_selectorELNS0_4arch9wavefront6targetE0EEEvT1_ ; -- Begin function _ZN7rocprim17ROCPRIM_400000_NS6detail17trampoline_kernelINS0_14default_configENS1_25partition_config_selectorILNS1_17partition_subalgoE6ExNS0_10empty_typeEbEEZZNS1_14partition_implILS5_6ELb0ES3_mN6thrust23THRUST_200600_302600_NS6detail15normal_iteratorINSA_10device_ptrIxEEEEPS6_SG_NS0_5tupleIJNSA_16discard_iteratorINSA_11use_defaultEEES6_EEENSH_IJSG_SG_EEES6_PlJNSB_9not_fun_tINSB_14equal_to_valueIxEEEEEEE10hipError_tPvRmT3_T4_T5_T6_T7_T9_mT8_P12ihipStream_tbDpT10_ENKUlT_T0_E_clISt17integral_constantIbLb1EES1B_EEDaS16_S17_EUlS16_E_NS1_11comp_targetILNS1_3genE5ELNS1_11target_archE942ELNS1_3gpuE9ELNS1_3repE0EEENS1_30default_config_static_selectorELNS0_4arch9wavefront6targetE0EEEvT1_
	.globl	_ZN7rocprim17ROCPRIM_400000_NS6detail17trampoline_kernelINS0_14default_configENS1_25partition_config_selectorILNS1_17partition_subalgoE6ExNS0_10empty_typeEbEEZZNS1_14partition_implILS5_6ELb0ES3_mN6thrust23THRUST_200600_302600_NS6detail15normal_iteratorINSA_10device_ptrIxEEEEPS6_SG_NS0_5tupleIJNSA_16discard_iteratorINSA_11use_defaultEEES6_EEENSH_IJSG_SG_EEES6_PlJNSB_9not_fun_tINSB_14equal_to_valueIxEEEEEEE10hipError_tPvRmT3_T4_T5_T6_T7_T9_mT8_P12ihipStream_tbDpT10_ENKUlT_T0_E_clISt17integral_constantIbLb1EES1B_EEDaS16_S17_EUlS16_E_NS1_11comp_targetILNS1_3genE5ELNS1_11target_archE942ELNS1_3gpuE9ELNS1_3repE0EEENS1_30default_config_static_selectorELNS0_4arch9wavefront6targetE0EEEvT1_
	.p2align	8
	.type	_ZN7rocprim17ROCPRIM_400000_NS6detail17trampoline_kernelINS0_14default_configENS1_25partition_config_selectorILNS1_17partition_subalgoE6ExNS0_10empty_typeEbEEZZNS1_14partition_implILS5_6ELb0ES3_mN6thrust23THRUST_200600_302600_NS6detail15normal_iteratorINSA_10device_ptrIxEEEEPS6_SG_NS0_5tupleIJNSA_16discard_iteratorINSA_11use_defaultEEES6_EEENSH_IJSG_SG_EEES6_PlJNSB_9not_fun_tINSB_14equal_to_valueIxEEEEEEE10hipError_tPvRmT3_T4_T5_T6_T7_T9_mT8_P12ihipStream_tbDpT10_ENKUlT_T0_E_clISt17integral_constantIbLb1EES1B_EEDaS16_S17_EUlS16_E_NS1_11comp_targetILNS1_3genE5ELNS1_11target_archE942ELNS1_3gpuE9ELNS1_3repE0EEENS1_30default_config_static_selectorELNS0_4arch9wavefront6targetE0EEEvT1_,@function
_ZN7rocprim17ROCPRIM_400000_NS6detail17trampoline_kernelINS0_14default_configENS1_25partition_config_selectorILNS1_17partition_subalgoE6ExNS0_10empty_typeEbEEZZNS1_14partition_implILS5_6ELb0ES3_mN6thrust23THRUST_200600_302600_NS6detail15normal_iteratorINSA_10device_ptrIxEEEEPS6_SG_NS0_5tupleIJNSA_16discard_iteratorINSA_11use_defaultEEES6_EEENSH_IJSG_SG_EEES6_PlJNSB_9not_fun_tINSB_14equal_to_valueIxEEEEEEE10hipError_tPvRmT3_T4_T5_T6_T7_T9_mT8_P12ihipStream_tbDpT10_ENKUlT_T0_E_clISt17integral_constantIbLb1EES1B_EEDaS16_S17_EUlS16_E_NS1_11comp_targetILNS1_3genE5ELNS1_11target_archE942ELNS1_3gpuE9ELNS1_3repE0EEENS1_30default_config_static_selectorELNS0_4arch9wavefront6targetE0EEEvT1_: ; @_ZN7rocprim17ROCPRIM_400000_NS6detail17trampoline_kernelINS0_14default_configENS1_25partition_config_selectorILNS1_17partition_subalgoE6ExNS0_10empty_typeEbEEZZNS1_14partition_implILS5_6ELb0ES3_mN6thrust23THRUST_200600_302600_NS6detail15normal_iteratorINSA_10device_ptrIxEEEEPS6_SG_NS0_5tupleIJNSA_16discard_iteratorINSA_11use_defaultEEES6_EEENSH_IJSG_SG_EEES6_PlJNSB_9not_fun_tINSB_14equal_to_valueIxEEEEEEE10hipError_tPvRmT3_T4_T5_T6_T7_T9_mT8_P12ihipStream_tbDpT10_ENKUlT_T0_E_clISt17integral_constantIbLb1EES1B_EEDaS16_S17_EUlS16_E_NS1_11comp_targetILNS1_3genE5ELNS1_11target_archE942ELNS1_3gpuE9ELNS1_3repE0EEENS1_30default_config_static_selectorELNS0_4arch9wavefront6targetE0EEEvT1_
; %bb.0:
	.section	.rodata,"a",@progbits
	.p2align	6, 0x0
	.amdhsa_kernel _ZN7rocprim17ROCPRIM_400000_NS6detail17trampoline_kernelINS0_14default_configENS1_25partition_config_selectorILNS1_17partition_subalgoE6ExNS0_10empty_typeEbEEZZNS1_14partition_implILS5_6ELb0ES3_mN6thrust23THRUST_200600_302600_NS6detail15normal_iteratorINSA_10device_ptrIxEEEEPS6_SG_NS0_5tupleIJNSA_16discard_iteratorINSA_11use_defaultEEES6_EEENSH_IJSG_SG_EEES6_PlJNSB_9not_fun_tINSB_14equal_to_valueIxEEEEEEE10hipError_tPvRmT3_T4_T5_T6_T7_T9_mT8_P12ihipStream_tbDpT10_ENKUlT_T0_E_clISt17integral_constantIbLb1EES1B_EEDaS16_S17_EUlS16_E_NS1_11comp_targetILNS1_3genE5ELNS1_11target_archE942ELNS1_3gpuE9ELNS1_3repE0EEENS1_30default_config_static_selectorELNS0_4arch9wavefront6targetE0EEEvT1_
		.amdhsa_group_segment_fixed_size 0
		.amdhsa_private_segment_fixed_size 0
		.amdhsa_kernarg_size 136
		.amdhsa_user_sgpr_count 2
		.amdhsa_user_sgpr_dispatch_ptr 0
		.amdhsa_user_sgpr_queue_ptr 0
		.amdhsa_user_sgpr_kernarg_segment_ptr 1
		.amdhsa_user_sgpr_dispatch_id 0
		.amdhsa_user_sgpr_private_segment_size 0
		.amdhsa_wavefront_size32 1
		.amdhsa_uses_dynamic_stack 0
		.amdhsa_enable_private_segment 0
		.amdhsa_system_sgpr_workgroup_id_x 1
		.amdhsa_system_sgpr_workgroup_id_y 0
		.amdhsa_system_sgpr_workgroup_id_z 0
		.amdhsa_system_sgpr_workgroup_info 0
		.amdhsa_system_vgpr_workitem_id 0
		.amdhsa_next_free_vgpr 1
		.amdhsa_next_free_sgpr 1
		.amdhsa_reserve_vcc 0
		.amdhsa_float_round_mode_32 0
		.amdhsa_float_round_mode_16_64 0
		.amdhsa_float_denorm_mode_32 3
		.amdhsa_float_denorm_mode_16_64 3
		.amdhsa_fp16_overflow 0
		.amdhsa_workgroup_processor_mode 1
		.amdhsa_memory_ordered 1
		.amdhsa_forward_progress 1
		.amdhsa_inst_pref_size 0
		.amdhsa_round_robin_scheduling 0
		.amdhsa_exception_fp_ieee_invalid_op 0
		.amdhsa_exception_fp_denorm_src 0
		.amdhsa_exception_fp_ieee_div_zero 0
		.amdhsa_exception_fp_ieee_overflow 0
		.amdhsa_exception_fp_ieee_underflow 0
		.amdhsa_exception_fp_ieee_inexact 0
		.amdhsa_exception_int_div_zero 0
	.end_amdhsa_kernel
	.section	.text._ZN7rocprim17ROCPRIM_400000_NS6detail17trampoline_kernelINS0_14default_configENS1_25partition_config_selectorILNS1_17partition_subalgoE6ExNS0_10empty_typeEbEEZZNS1_14partition_implILS5_6ELb0ES3_mN6thrust23THRUST_200600_302600_NS6detail15normal_iteratorINSA_10device_ptrIxEEEEPS6_SG_NS0_5tupleIJNSA_16discard_iteratorINSA_11use_defaultEEES6_EEENSH_IJSG_SG_EEES6_PlJNSB_9not_fun_tINSB_14equal_to_valueIxEEEEEEE10hipError_tPvRmT3_T4_T5_T6_T7_T9_mT8_P12ihipStream_tbDpT10_ENKUlT_T0_E_clISt17integral_constantIbLb1EES1B_EEDaS16_S17_EUlS16_E_NS1_11comp_targetILNS1_3genE5ELNS1_11target_archE942ELNS1_3gpuE9ELNS1_3repE0EEENS1_30default_config_static_selectorELNS0_4arch9wavefront6targetE0EEEvT1_,"axG",@progbits,_ZN7rocprim17ROCPRIM_400000_NS6detail17trampoline_kernelINS0_14default_configENS1_25partition_config_selectorILNS1_17partition_subalgoE6ExNS0_10empty_typeEbEEZZNS1_14partition_implILS5_6ELb0ES3_mN6thrust23THRUST_200600_302600_NS6detail15normal_iteratorINSA_10device_ptrIxEEEEPS6_SG_NS0_5tupleIJNSA_16discard_iteratorINSA_11use_defaultEEES6_EEENSH_IJSG_SG_EEES6_PlJNSB_9not_fun_tINSB_14equal_to_valueIxEEEEEEE10hipError_tPvRmT3_T4_T5_T6_T7_T9_mT8_P12ihipStream_tbDpT10_ENKUlT_T0_E_clISt17integral_constantIbLb1EES1B_EEDaS16_S17_EUlS16_E_NS1_11comp_targetILNS1_3genE5ELNS1_11target_archE942ELNS1_3gpuE9ELNS1_3repE0EEENS1_30default_config_static_selectorELNS0_4arch9wavefront6targetE0EEEvT1_,comdat
.Lfunc_end1734:
	.size	_ZN7rocprim17ROCPRIM_400000_NS6detail17trampoline_kernelINS0_14default_configENS1_25partition_config_selectorILNS1_17partition_subalgoE6ExNS0_10empty_typeEbEEZZNS1_14partition_implILS5_6ELb0ES3_mN6thrust23THRUST_200600_302600_NS6detail15normal_iteratorINSA_10device_ptrIxEEEEPS6_SG_NS0_5tupleIJNSA_16discard_iteratorINSA_11use_defaultEEES6_EEENSH_IJSG_SG_EEES6_PlJNSB_9not_fun_tINSB_14equal_to_valueIxEEEEEEE10hipError_tPvRmT3_T4_T5_T6_T7_T9_mT8_P12ihipStream_tbDpT10_ENKUlT_T0_E_clISt17integral_constantIbLb1EES1B_EEDaS16_S17_EUlS16_E_NS1_11comp_targetILNS1_3genE5ELNS1_11target_archE942ELNS1_3gpuE9ELNS1_3repE0EEENS1_30default_config_static_selectorELNS0_4arch9wavefront6targetE0EEEvT1_, .Lfunc_end1734-_ZN7rocprim17ROCPRIM_400000_NS6detail17trampoline_kernelINS0_14default_configENS1_25partition_config_selectorILNS1_17partition_subalgoE6ExNS0_10empty_typeEbEEZZNS1_14partition_implILS5_6ELb0ES3_mN6thrust23THRUST_200600_302600_NS6detail15normal_iteratorINSA_10device_ptrIxEEEEPS6_SG_NS0_5tupleIJNSA_16discard_iteratorINSA_11use_defaultEEES6_EEENSH_IJSG_SG_EEES6_PlJNSB_9not_fun_tINSB_14equal_to_valueIxEEEEEEE10hipError_tPvRmT3_T4_T5_T6_T7_T9_mT8_P12ihipStream_tbDpT10_ENKUlT_T0_E_clISt17integral_constantIbLb1EES1B_EEDaS16_S17_EUlS16_E_NS1_11comp_targetILNS1_3genE5ELNS1_11target_archE942ELNS1_3gpuE9ELNS1_3repE0EEENS1_30default_config_static_selectorELNS0_4arch9wavefront6targetE0EEEvT1_
                                        ; -- End function
	.set _ZN7rocprim17ROCPRIM_400000_NS6detail17trampoline_kernelINS0_14default_configENS1_25partition_config_selectorILNS1_17partition_subalgoE6ExNS0_10empty_typeEbEEZZNS1_14partition_implILS5_6ELb0ES3_mN6thrust23THRUST_200600_302600_NS6detail15normal_iteratorINSA_10device_ptrIxEEEEPS6_SG_NS0_5tupleIJNSA_16discard_iteratorINSA_11use_defaultEEES6_EEENSH_IJSG_SG_EEES6_PlJNSB_9not_fun_tINSB_14equal_to_valueIxEEEEEEE10hipError_tPvRmT3_T4_T5_T6_T7_T9_mT8_P12ihipStream_tbDpT10_ENKUlT_T0_E_clISt17integral_constantIbLb1EES1B_EEDaS16_S17_EUlS16_E_NS1_11comp_targetILNS1_3genE5ELNS1_11target_archE942ELNS1_3gpuE9ELNS1_3repE0EEENS1_30default_config_static_selectorELNS0_4arch9wavefront6targetE0EEEvT1_.num_vgpr, 0
	.set _ZN7rocprim17ROCPRIM_400000_NS6detail17trampoline_kernelINS0_14default_configENS1_25partition_config_selectorILNS1_17partition_subalgoE6ExNS0_10empty_typeEbEEZZNS1_14partition_implILS5_6ELb0ES3_mN6thrust23THRUST_200600_302600_NS6detail15normal_iteratorINSA_10device_ptrIxEEEEPS6_SG_NS0_5tupleIJNSA_16discard_iteratorINSA_11use_defaultEEES6_EEENSH_IJSG_SG_EEES6_PlJNSB_9not_fun_tINSB_14equal_to_valueIxEEEEEEE10hipError_tPvRmT3_T4_T5_T6_T7_T9_mT8_P12ihipStream_tbDpT10_ENKUlT_T0_E_clISt17integral_constantIbLb1EES1B_EEDaS16_S17_EUlS16_E_NS1_11comp_targetILNS1_3genE5ELNS1_11target_archE942ELNS1_3gpuE9ELNS1_3repE0EEENS1_30default_config_static_selectorELNS0_4arch9wavefront6targetE0EEEvT1_.num_agpr, 0
	.set _ZN7rocprim17ROCPRIM_400000_NS6detail17trampoline_kernelINS0_14default_configENS1_25partition_config_selectorILNS1_17partition_subalgoE6ExNS0_10empty_typeEbEEZZNS1_14partition_implILS5_6ELb0ES3_mN6thrust23THRUST_200600_302600_NS6detail15normal_iteratorINSA_10device_ptrIxEEEEPS6_SG_NS0_5tupleIJNSA_16discard_iteratorINSA_11use_defaultEEES6_EEENSH_IJSG_SG_EEES6_PlJNSB_9not_fun_tINSB_14equal_to_valueIxEEEEEEE10hipError_tPvRmT3_T4_T5_T6_T7_T9_mT8_P12ihipStream_tbDpT10_ENKUlT_T0_E_clISt17integral_constantIbLb1EES1B_EEDaS16_S17_EUlS16_E_NS1_11comp_targetILNS1_3genE5ELNS1_11target_archE942ELNS1_3gpuE9ELNS1_3repE0EEENS1_30default_config_static_selectorELNS0_4arch9wavefront6targetE0EEEvT1_.numbered_sgpr, 0
	.set _ZN7rocprim17ROCPRIM_400000_NS6detail17trampoline_kernelINS0_14default_configENS1_25partition_config_selectorILNS1_17partition_subalgoE6ExNS0_10empty_typeEbEEZZNS1_14partition_implILS5_6ELb0ES3_mN6thrust23THRUST_200600_302600_NS6detail15normal_iteratorINSA_10device_ptrIxEEEEPS6_SG_NS0_5tupleIJNSA_16discard_iteratorINSA_11use_defaultEEES6_EEENSH_IJSG_SG_EEES6_PlJNSB_9not_fun_tINSB_14equal_to_valueIxEEEEEEE10hipError_tPvRmT3_T4_T5_T6_T7_T9_mT8_P12ihipStream_tbDpT10_ENKUlT_T0_E_clISt17integral_constantIbLb1EES1B_EEDaS16_S17_EUlS16_E_NS1_11comp_targetILNS1_3genE5ELNS1_11target_archE942ELNS1_3gpuE9ELNS1_3repE0EEENS1_30default_config_static_selectorELNS0_4arch9wavefront6targetE0EEEvT1_.num_named_barrier, 0
	.set _ZN7rocprim17ROCPRIM_400000_NS6detail17trampoline_kernelINS0_14default_configENS1_25partition_config_selectorILNS1_17partition_subalgoE6ExNS0_10empty_typeEbEEZZNS1_14partition_implILS5_6ELb0ES3_mN6thrust23THRUST_200600_302600_NS6detail15normal_iteratorINSA_10device_ptrIxEEEEPS6_SG_NS0_5tupleIJNSA_16discard_iteratorINSA_11use_defaultEEES6_EEENSH_IJSG_SG_EEES6_PlJNSB_9not_fun_tINSB_14equal_to_valueIxEEEEEEE10hipError_tPvRmT3_T4_T5_T6_T7_T9_mT8_P12ihipStream_tbDpT10_ENKUlT_T0_E_clISt17integral_constantIbLb1EES1B_EEDaS16_S17_EUlS16_E_NS1_11comp_targetILNS1_3genE5ELNS1_11target_archE942ELNS1_3gpuE9ELNS1_3repE0EEENS1_30default_config_static_selectorELNS0_4arch9wavefront6targetE0EEEvT1_.private_seg_size, 0
	.set _ZN7rocprim17ROCPRIM_400000_NS6detail17trampoline_kernelINS0_14default_configENS1_25partition_config_selectorILNS1_17partition_subalgoE6ExNS0_10empty_typeEbEEZZNS1_14partition_implILS5_6ELb0ES3_mN6thrust23THRUST_200600_302600_NS6detail15normal_iteratorINSA_10device_ptrIxEEEEPS6_SG_NS0_5tupleIJNSA_16discard_iteratorINSA_11use_defaultEEES6_EEENSH_IJSG_SG_EEES6_PlJNSB_9not_fun_tINSB_14equal_to_valueIxEEEEEEE10hipError_tPvRmT3_T4_T5_T6_T7_T9_mT8_P12ihipStream_tbDpT10_ENKUlT_T0_E_clISt17integral_constantIbLb1EES1B_EEDaS16_S17_EUlS16_E_NS1_11comp_targetILNS1_3genE5ELNS1_11target_archE942ELNS1_3gpuE9ELNS1_3repE0EEENS1_30default_config_static_selectorELNS0_4arch9wavefront6targetE0EEEvT1_.uses_vcc, 0
	.set _ZN7rocprim17ROCPRIM_400000_NS6detail17trampoline_kernelINS0_14default_configENS1_25partition_config_selectorILNS1_17partition_subalgoE6ExNS0_10empty_typeEbEEZZNS1_14partition_implILS5_6ELb0ES3_mN6thrust23THRUST_200600_302600_NS6detail15normal_iteratorINSA_10device_ptrIxEEEEPS6_SG_NS0_5tupleIJNSA_16discard_iteratorINSA_11use_defaultEEES6_EEENSH_IJSG_SG_EEES6_PlJNSB_9not_fun_tINSB_14equal_to_valueIxEEEEEEE10hipError_tPvRmT3_T4_T5_T6_T7_T9_mT8_P12ihipStream_tbDpT10_ENKUlT_T0_E_clISt17integral_constantIbLb1EES1B_EEDaS16_S17_EUlS16_E_NS1_11comp_targetILNS1_3genE5ELNS1_11target_archE942ELNS1_3gpuE9ELNS1_3repE0EEENS1_30default_config_static_selectorELNS0_4arch9wavefront6targetE0EEEvT1_.uses_flat_scratch, 0
	.set _ZN7rocprim17ROCPRIM_400000_NS6detail17trampoline_kernelINS0_14default_configENS1_25partition_config_selectorILNS1_17partition_subalgoE6ExNS0_10empty_typeEbEEZZNS1_14partition_implILS5_6ELb0ES3_mN6thrust23THRUST_200600_302600_NS6detail15normal_iteratorINSA_10device_ptrIxEEEEPS6_SG_NS0_5tupleIJNSA_16discard_iteratorINSA_11use_defaultEEES6_EEENSH_IJSG_SG_EEES6_PlJNSB_9not_fun_tINSB_14equal_to_valueIxEEEEEEE10hipError_tPvRmT3_T4_T5_T6_T7_T9_mT8_P12ihipStream_tbDpT10_ENKUlT_T0_E_clISt17integral_constantIbLb1EES1B_EEDaS16_S17_EUlS16_E_NS1_11comp_targetILNS1_3genE5ELNS1_11target_archE942ELNS1_3gpuE9ELNS1_3repE0EEENS1_30default_config_static_selectorELNS0_4arch9wavefront6targetE0EEEvT1_.has_dyn_sized_stack, 0
	.set _ZN7rocprim17ROCPRIM_400000_NS6detail17trampoline_kernelINS0_14default_configENS1_25partition_config_selectorILNS1_17partition_subalgoE6ExNS0_10empty_typeEbEEZZNS1_14partition_implILS5_6ELb0ES3_mN6thrust23THRUST_200600_302600_NS6detail15normal_iteratorINSA_10device_ptrIxEEEEPS6_SG_NS0_5tupleIJNSA_16discard_iteratorINSA_11use_defaultEEES6_EEENSH_IJSG_SG_EEES6_PlJNSB_9not_fun_tINSB_14equal_to_valueIxEEEEEEE10hipError_tPvRmT3_T4_T5_T6_T7_T9_mT8_P12ihipStream_tbDpT10_ENKUlT_T0_E_clISt17integral_constantIbLb1EES1B_EEDaS16_S17_EUlS16_E_NS1_11comp_targetILNS1_3genE5ELNS1_11target_archE942ELNS1_3gpuE9ELNS1_3repE0EEENS1_30default_config_static_selectorELNS0_4arch9wavefront6targetE0EEEvT1_.has_recursion, 0
	.set _ZN7rocprim17ROCPRIM_400000_NS6detail17trampoline_kernelINS0_14default_configENS1_25partition_config_selectorILNS1_17partition_subalgoE6ExNS0_10empty_typeEbEEZZNS1_14partition_implILS5_6ELb0ES3_mN6thrust23THRUST_200600_302600_NS6detail15normal_iteratorINSA_10device_ptrIxEEEEPS6_SG_NS0_5tupleIJNSA_16discard_iteratorINSA_11use_defaultEEES6_EEENSH_IJSG_SG_EEES6_PlJNSB_9not_fun_tINSB_14equal_to_valueIxEEEEEEE10hipError_tPvRmT3_T4_T5_T6_T7_T9_mT8_P12ihipStream_tbDpT10_ENKUlT_T0_E_clISt17integral_constantIbLb1EES1B_EEDaS16_S17_EUlS16_E_NS1_11comp_targetILNS1_3genE5ELNS1_11target_archE942ELNS1_3gpuE9ELNS1_3repE0EEENS1_30default_config_static_selectorELNS0_4arch9wavefront6targetE0EEEvT1_.has_indirect_call, 0
	.section	.AMDGPU.csdata,"",@progbits
; Kernel info:
; codeLenInByte = 0
; TotalNumSgprs: 0
; NumVgprs: 0
; ScratchSize: 0
; MemoryBound: 0
; FloatMode: 240
; IeeeMode: 1
; LDSByteSize: 0 bytes/workgroup (compile time only)
; SGPRBlocks: 0
; VGPRBlocks: 0
; NumSGPRsForWavesPerEU: 1
; NumVGPRsForWavesPerEU: 1
; Occupancy: 16
; WaveLimiterHint : 0
; COMPUTE_PGM_RSRC2:SCRATCH_EN: 0
; COMPUTE_PGM_RSRC2:USER_SGPR: 2
; COMPUTE_PGM_RSRC2:TRAP_HANDLER: 0
; COMPUTE_PGM_RSRC2:TGID_X_EN: 1
; COMPUTE_PGM_RSRC2:TGID_Y_EN: 0
; COMPUTE_PGM_RSRC2:TGID_Z_EN: 0
; COMPUTE_PGM_RSRC2:TIDIG_COMP_CNT: 0
	.section	.text._ZN7rocprim17ROCPRIM_400000_NS6detail17trampoline_kernelINS0_14default_configENS1_25partition_config_selectorILNS1_17partition_subalgoE6ExNS0_10empty_typeEbEEZZNS1_14partition_implILS5_6ELb0ES3_mN6thrust23THRUST_200600_302600_NS6detail15normal_iteratorINSA_10device_ptrIxEEEEPS6_SG_NS0_5tupleIJNSA_16discard_iteratorINSA_11use_defaultEEES6_EEENSH_IJSG_SG_EEES6_PlJNSB_9not_fun_tINSB_14equal_to_valueIxEEEEEEE10hipError_tPvRmT3_T4_T5_T6_T7_T9_mT8_P12ihipStream_tbDpT10_ENKUlT_T0_E_clISt17integral_constantIbLb1EES1B_EEDaS16_S17_EUlS16_E_NS1_11comp_targetILNS1_3genE4ELNS1_11target_archE910ELNS1_3gpuE8ELNS1_3repE0EEENS1_30default_config_static_selectorELNS0_4arch9wavefront6targetE0EEEvT1_,"axG",@progbits,_ZN7rocprim17ROCPRIM_400000_NS6detail17trampoline_kernelINS0_14default_configENS1_25partition_config_selectorILNS1_17partition_subalgoE6ExNS0_10empty_typeEbEEZZNS1_14partition_implILS5_6ELb0ES3_mN6thrust23THRUST_200600_302600_NS6detail15normal_iteratorINSA_10device_ptrIxEEEEPS6_SG_NS0_5tupleIJNSA_16discard_iteratorINSA_11use_defaultEEES6_EEENSH_IJSG_SG_EEES6_PlJNSB_9not_fun_tINSB_14equal_to_valueIxEEEEEEE10hipError_tPvRmT3_T4_T5_T6_T7_T9_mT8_P12ihipStream_tbDpT10_ENKUlT_T0_E_clISt17integral_constantIbLb1EES1B_EEDaS16_S17_EUlS16_E_NS1_11comp_targetILNS1_3genE4ELNS1_11target_archE910ELNS1_3gpuE8ELNS1_3repE0EEENS1_30default_config_static_selectorELNS0_4arch9wavefront6targetE0EEEvT1_,comdat
	.protected	_ZN7rocprim17ROCPRIM_400000_NS6detail17trampoline_kernelINS0_14default_configENS1_25partition_config_selectorILNS1_17partition_subalgoE6ExNS0_10empty_typeEbEEZZNS1_14partition_implILS5_6ELb0ES3_mN6thrust23THRUST_200600_302600_NS6detail15normal_iteratorINSA_10device_ptrIxEEEEPS6_SG_NS0_5tupleIJNSA_16discard_iteratorINSA_11use_defaultEEES6_EEENSH_IJSG_SG_EEES6_PlJNSB_9not_fun_tINSB_14equal_to_valueIxEEEEEEE10hipError_tPvRmT3_T4_T5_T6_T7_T9_mT8_P12ihipStream_tbDpT10_ENKUlT_T0_E_clISt17integral_constantIbLb1EES1B_EEDaS16_S17_EUlS16_E_NS1_11comp_targetILNS1_3genE4ELNS1_11target_archE910ELNS1_3gpuE8ELNS1_3repE0EEENS1_30default_config_static_selectorELNS0_4arch9wavefront6targetE0EEEvT1_ ; -- Begin function _ZN7rocprim17ROCPRIM_400000_NS6detail17trampoline_kernelINS0_14default_configENS1_25partition_config_selectorILNS1_17partition_subalgoE6ExNS0_10empty_typeEbEEZZNS1_14partition_implILS5_6ELb0ES3_mN6thrust23THRUST_200600_302600_NS6detail15normal_iteratorINSA_10device_ptrIxEEEEPS6_SG_NS0_5tupleIJNSA_16discard_iteratorINSA_11use_defaultEEES6_EEENSH_IJSG_SG_EEES6_PlJNSB_9not_fun_tINSB_14equal_to_valueIxEEEEEEE10hipError_tPvRmT3_T4_T5_T6_T7_T9_mT8_P12ihipStream_tbDpT10_ENKUlT_T0_E_clISt17integral_constantIbLb1EES1B_EEDaS16_S17_EUlS16_E_NS1_11comp_targetILNS1_3genE4ELNS1_11target_archE910ELNS1_3gpuE8ELNS1_3repE0EEENS1_30default_config_static_selectorELNS0_4arch9wavefront6targetE0EEEvT1_
	.globl	_ZN7rocprim17ROCPRIM_400000_NS6detail17trampoline_kernelINS0_14default_configENS1_25partition_config_selectorILNS1_17partition_subalgoE6ExNS0_10empty_typeEbEEZZNS1_14partition_implILS5_6ELb0ES3_mN6thrust23THRUST_200600_302600_NS6detail15normal_iteratorINSA_10device_ptrIxEEEEPS6_SG_NS0_5tupleIJNSA_16discard_iteratorINSA_11use_defaultEEES6_EEENSH_IJSG_SG_EEES6_PlJNSB_9not_fun_tINSB_14equal_to_valueIxEEEEEEE10hipError_tPvRmT3_T4_T5_T6_T7_T9_mT8_P12ihipStream_tbDpT10_ENKUlT_T0_E_clISt17integral_constantIbLb1EES1B_EEDaS16_S17_EUlS16_E_NS1_11comp_targetILNS1_3genE4ELNS1_11target_archE910ELNS1_3gpuE8ELNS1_3repE0EEENS1_30default_config_static_selectorELNS0_4arch9wavefront6targetE0EEEvT1_
	.p2align	8
	.type	_ZN7rocprim17ROCPRIM_400000_NS6detail17trampoline_kernelINS0_14default_configENS1_25partition_config_selectorILNS1_17partition_subalgoE6ExNS0_10empty_typeEbEEZZNS1_14partition_implILS5_6ELb0ES3_mN6thrust23THRUST_200600_302600_NS6detail15normal_iteratorINSA_10device_ptrIxEEEEPS6_SG_NS0_5tupleIJNSA_16discard_iteratorINSA_11use_defaultEEES6_EEENSH_IJSG_SG_EEES6_PlJNSB_9not_fun_tINSB_14equal_to_valueIxEEEEEEE10hipError_tPvRmT3_T4_T5_T6_T7_T9_mT8_P12ihipStream_tbDpT10_ENKUlT_T0_E_clISt17integral_constantIbLb1EES1B_EEDaS16_S17_EUlS16_E_NS1_11comp_targetILNS1_3genE4ELNS1_11target_archE910ELNS1_3gpuE8ELNS1_3repE0EEENS1_30default_config_static_selectorELNS0_4arch9wavefront6targetE0EEEvT1_,@function
_ZN7rocprim17ROCPRIM_400000_NS6detail17trampoline_kernelINS0_14default_configENS1_25partition_config_selectorILNS1_17partition_subalgoE6ExNS0_10empty_typeEbEEZZNS1_14partition_implILS5_6ELb0ES3_mN6thrust23THRUST_200600_302600_NS6detail15normal_iteratorINSA_10device_ptrIxEEEEPS6_SG_NS0_5tupleIJNSA_16discard_iteratorINSA_11use_defaultEEES6_EEENSH_IJSG_SG_EEES6_PlJNSB_9not_fun_tINSB_14equal_to_valueIxEEEEEEE10hipError_tPvRmT3_T4_T5_T6_T7_T9_mT8_P12ihipStream_tbDpT10_ENKUlT_T0_E_clISt17integral_constantIbLb1EES1B_EEDaS16_S17_EUlS16_E_NS1_11comp_targetILNS1_3genE4ELNS1_11target_archE910ELNS1_3gpuE8ELNS1_3repE0EEENS1_30default_config_static_selectorELNS0_4arch9wavefront6targetE0EEEvT1_: ; @_ZN7rocprim17ROCPRIM_400000_NS6detail17trampoline_kernelINS0_14default_configENS1_25partition_config_selectorILNS1_17partition_subalgoE6ExNS0_10empty_typeEbEEZZNS1_14partition_implILS5_6ELb0ES3_mN6thrust23THRUST_200600_302600_NS6detail15normal_iteratorINSA_10device_ptrIxEEEEPS6_SG_NS0_5tupleIJNSA_16discard_iteratorINSA_11use_defaultEEES6_EEENSH_IJSG_SG_EEES6_PlJNSB_9not_fun_tINSB_14equal_to_valueIxEEEEEEE10hipError_tPvRmT3_T4_T5_T6_T7_T9_mT8_P12ihipStream_tbDpT10_ENKUlT_T0_E_clISt17integral_constantIbLb1EES1B_EEDaS16_S17_EUlS16_E_NS1_11comp_targetILNS1_3genE4ELNS1_11target_archE910ELNS1_3gpuE8ELNS1_3repE0EEENS1_30default_config_static_selectorELNS0_4arch9wavefront6targetE0EEEvT1_
; %bb.0:
	.section	.rodata,"a",@progbits
	.p2align	6, 0x0
	.amdhsa_kernel _ZN7rocprim17ROCPRIM_400000_NS6detail17trampoline_kernelINS0_14default_configENS1_25partition_config_selectorILNS1_17partition_subalgoE6ExNS0_10empty_typeEbEEZZNS1_14partition_implILS5_6ELb0ES3_mN6thrust23THRUST_200600_302600_NS6detail15normal_iteratorINSA_10device_ptrIxEEEEPS6_SG_NS0_5tupleIJNSA_16discard_iteratorINSA_11use_defaultEEES6_EEENSH_IJSG_SG_EEES6_PlJNSB_9not_fun_tINSB_14equal_to_valueIxEEEEEEE10hipError_tPvRmT3_T4_T5_T6_T7_T9_mT8_P12ihipStream_tbDpT10_ENKUlT_T0_E_clISt17integral_constantIbLb1EES1B_EEDaS16_S17_EUlS16_E_NS1_11comp_targetILNS1_3genE4ELNS1_11target_archE910ELNS1_3gpuE8ELNS1_3repE0EEENS1_30default_config_static_selectorELNS0_4arch9wavefront6targetE0EEEvT1_
		.amdhsa_group_segment_fixed_size 0
		.amdhsa_private_segment_fixed_size 0
		.amdhsa_kernarg_size 136
		.amdhsa_user_sgpr_count 2
		.amdhsa_user_sgpr_dispatch_ptr 0
		.amdhsa_user_sgpr_queue_ptr 0
		.amdhsa_user_sgpr_kernarg_segment_ptr 1
		.amdhsa_user_sgpr_dispatch_id 0
		.amdhsa_user_sgpr_private_segment_size 0
		.amdhsa_wavefront_size32 1
		.amdhsa_uses_dynamic_stack 0
		.amdhsa_enable_private_segment 0
		.amdhsa_system_sgpr_workgroup_id_x 1
		.amdhsa_system_sgpr_workgroup_id_y 0
		.amdhsa_system_sgpr_workgroup_id_z 0
		.amdhsa_system_sgpr_workgroup_info 0
		.amdhsa_system_vgpr_workitem_id 0
		.amdhsa_next_free_vgpr 1
		.amdhsa_next_free_sgpr 1
		.amdhsa_reserve_vcc 0
		.amdhsa_float_round_mode_32 0
		.amdhsa_float_round_mode_16_64 0
		.amdhsa_float_denorm_mode_32 3
		.amdhsa_float_denorm_mode_16_64 3
		.amdhsa_fp16_overflow 0
		.amdhsa_workgroup_processor_mode 1
		.amdhsa_memory_ordered 1
		.amdhsa_forward_progress 1
		.amdhsa_inst_pref_size 0
		.amdhsa_round_robin_scheduling 0
		.amdhsa_exception_fp_ieee_invalid_op 0
		.amdhsa_exception_fp_denorm_src 0
		.amdhsa_exception_fp_ieee_div_zero 0
		.amdhsa_exception_fp_ieee_overflow 0
		.amdhsa_exception_fp_ieee_underflow 0
		.amdhsa_exception_fp_ieee_inexact 0
		.amdhsa_exception_int_div_zero 0
	.end_amdhsa_kernel
	.section	.text._ZN7rocprim17ROCPRIM_400000_NS6detail17trampoline_kernelINS0_14default_configENS1_25partition_config_selectorILNS1_17partition_subalgoE6ExNS0_10empty_typeEbEEZZNS1_14partition_implILS5_6ELb0ES3_mN6thrust23THRUST_200600_302600_NS6detail15normal_iteratorINSA_10device_ptrIxEEEEPS6_SG_NS0_5tupleIJNSA_16discard_iteratorINSA_11use_defaultEEES6_EEENSH_IJSG_SG_EEES6_PlJNSB_9not_fun_tINSB_14equal_to_valueIxEEEEEEE10hipError_tPvRmT3_T4_T5_T6_T7_T9_mT8_P12ihipStream_tbDpT10_ENKUlT_T0_E_clISt17integral_constantIbLb1EES1B_EEDaS16_S17_EUlS16_E_NS1_11comp_targetILNS1_3genE4ELNS1_11target_archE910ELNS1_3gpuE8ELNS1_3repE0EEENS1_30default_config_static_selectorELNS0_4arch9wavefront6targetE0EEEvT1_,"axG",@progbits,_ZN7rocprim17ROCPRIM_400000_NS6detail17trampoline_kernelINS0_14default_configENS1_25partition_config_selectorILNS1_17partition_subalgoE6ExNS0_10empty_typeEbEEZZNS1_14partition_implILS5_6ELb0ES3_mN6thrust23THRUST_200600_302600_NS6detail15normal_iteratorINSA_10device_ptrIxEEEEPS6_SG_NS0_5tupleIJNSA_16discard_iteratorINSA_11use_defaultEEES6_EEENSH_IJSG_SG_EEES6_PlJNSB_9not_fun_tINSB_14equal_to_valueIxEEEEEEE10hipError_tPvRmT3_T4_T5_T6_T7_T9_mT8_P12ihipStream_tbDpT10_ENKUlT_T0_E_clISt17integral_constantIbLb1EES1B_EEDaS16_S17_EUlS16_E_NS1_11comp_targetILNS1_3genE4ELNS1_11target_archE910ELNS1_3gpuE8ELNS1_3repE0EEENS1_30default_config_static_selectorELNS0_4arch9wavefront6targetE0EEEvT1_,comdat
.Lfunc_end1735:
	.size	_ZN7rocprim17ROCPRIM_400000_NS6detail17trampoline_kernelINS0_14default_configENS1_25partition_config_selectorILNS1_17partition_subalgoE6ExNS0_10empty_typeEbEEZZNS1_14partition_implILS5_6ELb0ES3_mN6thrust23THRUST_200600_302600_NS6detail15normal_iteratorINSA_10device_ptrIxEEEEPS6_SG_NS0_5tupleIJNSA_16discard_iteratorINSA_11use_defaultEEES6_EEENSH_IJSG_SG_EEES6_PlJNSB_9not_fun_tINSB_14equal_to_valueIxEEEEEEE10hipError_tPvRmT3_T4_T5_T6_T7_T9_mT8_P12ihipStream_tbDpT10_ENKUlT_T0_E_clISt17integral_constantIbLb1EES1B_EEDaS16_S17_EUlS16_E_NS1_11comp_targetILNS1_3genE4ELNS1_11target_archE910ELNS1_3gpuE8ELNS1_3repE0EEENS1_30default_config_static_selectorELNS0_4arch9wavefront6targetE0EEEvT1_, .Lfunc_end1735-_ZN7rocprim17ROCPRIM_400000_NS6detail17trampoline_kernelINS0_14default_configENS1_25partition_config_selectorILNS1_17partition_subalgoE6ExNS0_10empty_typeEbEEZZNS1_14partition_implILS5_6ELb0ES3_mN6thrust23THRUST_200600_302600_NS6detail15normal_iteratorINSA_10device_ptrIxEEEEPS6_SG_NS0_5tupleIJNSA_16discard_iteratorINSA_11use_defaultEEES6_EEENSH_IJSG_SG_EEES6_PlJNSB_9not_fun_tINSB_14equal_to_valueIxEEEEEEE10hipError_tPvRmT3_T4_T5_T6_T7_T9_mT8_P12ihipStream_tbDpT10_ENKUlT_T0_E_clISt17integral_constantIbLb1EES1B_EEDaS16_S17_EUlS16_E_NS1_11comp_targetILNS1_3genE4ELNS1_11target_archE910ELNS1_3gpuE8ELNS1_3repE0EEENS1_30default_config_static_selectorELNS0_4arch9wavefront6targetE0EEEvT1_
                                        ; -- End function
	.set _ZN7rocprim17ROCPRIM_400000_NS6detail17trampoline_kernelINS0_14default_configENS1_25partition_config_selectorILNS1_17partition_subalgoE6ExNS0_10empty_typeEbEEZZNS1_14partition_implILS5_6ELb0ES3_mN6thrust23THRUST_200600_302600_NS6detail15normal_iteratorINSA_10device_ptrIxEEEEPS6_SG_NS0_5tupleIJNSA_16discard_iteratorINSA_11use_defaultEEES6_EEENSH_IJSG_SG_EEES6_PlJNSB_9not_fun_tINSB_14equal_to_valueIxEEEEEEE10hipError_tPvRmT3_T4_T5_T6_T7_T9_mT8_P12ihipStream_tbDpT10_ENKUlT_T0_E_clISt17integral_constantIbLb1EES1B_EEDaS16_S17_EUlS16_E_NS1_11comp_targetILNS1_3genE4ELNS1_11target_archE910ELNS1_3gpuE8ELNS1_3repE0EEENS1_30default_config_static_selectorELNS0_4arch9wavefront6targetE0EEEvT1_.num_vgpr, 0
	.set _ZN7rocprim17ROCPRIM_400000_NS6detail17trampoline_kernelINS0_14default_configENS1_25partition_config_selectorILNS1_17partition_subalgoE6ExNS0_10empty_typeEbEEZZNS1_14partition_implILS5_6ELb0ES3_mN6thrust23THRUST_200600_302600_NS6detail15normal_iteratorINSA_10device_ptrIxEEEEPS6_SG_NS0_5tupleIJNSA_16discard_iteratorINSA_11use_defaultEEES6_EEENSH_IJSG_SG_EEES6_PlJNSB_9not_fun_tINSB_14equal_to_valueIxEEEEEEE10hipError_tPvRmT3_T4_T5_T6_T7_T9_mT8_P12ihipStream_tbDpT10_ENKUlT_T0_E_clISt17integral_constantIbLb1EES1B_EEDaS16_S17_EUlS16_E_NS1_11comp_targetILNS1_3genE4ELNS1_11target_archE910ELNS1_3gpuE8ELNS1_3repE0EEENS1_30default_config_static_selectorELNS0_4arch9wavefront6targetE0EEEvT1_.num_agpr, 0
	.set _ZN7rocprim17ROCPRIM_400000_NS6detail17trampoline_kernelINS0_14default_configENS1_25partition_config_selectorILNS1_17partition_subalgoE6ExNS0_10empty_typeEbEEZZNS1_14partition_implILS5_6ELb0ES3_mN6thrust23THRUST_200600_302600_NS6detail15normal_iteratorINSA_10device_ptrIxEEEEPS6_SG_NS0_5tupleIJNSA_16discard_iteratorINSA_11use_defaultEEES6_EEENSH_IJSG_SG_EEES6_PlJNSB_9not_fun_tINSB_14equal_to_valueIxEEEEEEE10hipError_tPvRmT3_T4_T5_T6_T7_T9_mT8_P12ihipStream_tbDpT10_ENKUlT_T0_E_clISt17integral_constantIbLb1EES1B_EEDaS16_S17_EUlS16_E_NS1_11comp_targetILNS1_3genE4ELNS1_11target_archE910ELNS1_3gpuE8ELNS1_3repE0EEENS1_30default_config_static_selectorELNS0_4arch9wavefront6targetE0EEEvT1_.numbered_sgpr, 0
	.set _ZN7rocprim17ROCPRIM_400000_NS6detail17trampoline_kernelINS0_14default_configENS1_25partition_config_selectorILNS1_17partition_subalgoE6ExNS0_10empty_typeEbEEZZNS1_14partition_implILS5_6ELb0ES3_mN6thrust23THRUST_200600_302600_NS6detail15normal_iteratorINSA_10device_ptrIxEEEEPS6_SG_NS0_5tupleIJNSA_16discard_iteratorINSA_11use_defaultEEES6_EEENSH_IJSG_SG_EEES6_PlJNSB_9not_fun_tINSB_14equal_to_valueIxEEEEEEE10hipError_tPvRmT3_T4_T5_T6_T7_T9_mT8_P12ihipStream_tbDpT10_ENKUlT_T0_E_clISt17integral_constantIbLb1EES1B_EEDaS16_S17_EUlS16_E_NS1_11comp_targetILNS1_3genE4ELNS1_11target_archE910ELNS1_3gpuE8ELNS1_3repE0EEENS1_30default_config_static_selectorELNS0_4arch9wavefront6targetE0EEEvT1_.num_named_barrier, 0
	.set _ZN7rocprim17ROCPRIM_400000_NS6detail17trampoline_kernelINS0_14default_configENS1_25partition_config_selectorILNS1_17partition_subalgoE6ExNS0_10empty_typeEbEEZZNS1_14partition_implILS5_6ELb0ES3_mN6thrust23THRUST_200600_302600_NS6detail15normal_iteratorINSA_10device_ptrIxEEEEPS6_SG_NS0_5tupleIJNSA_16discard_iteratorINSA_11use_defaultEEES6_EEENSH_IJSG_SG_EEES6_PlJNSB_9not_fun_tINSB_14equal_to_valueIxEEEEEEE10hipError_tPvRmT3_T4_T5_T6_T7_T9_mT8_P12ihipStream_tbDpT10_ENKUlT_T0_E_clISt17integral_constantIbLb1EES1B_EEDaS16_S17_EUlS16_E_NS1_11comp_targetILNS1_3genE4ELNS1_11target_archE910ELNS1_3gpuE8ELNS1_3repE0EEENS1_30default_config_static_selectorELNS0_4arch9wavefront6targetE0EEEvT1_.private_seg_size, 0
	.set _ZN7rocprim17ROCPRIM_400000_NS6detail17trampoline_kernelINS0_14default_configENS1_25partition_config_selectorILNS1_17partition_subalgoE6ExNS0_10empty_typeEbEEZZNS1_14partition_implILS5_6ELb0ES3_mN6thrust23THRUST_200600_302600_NS6detail15normal_iteratorINSA_10device_ptrIxEEEEPS6_SG_NS0_5tupleIJNSA_16discard_iteratorINSA_11use_defaultEEES6_EEENSH_IJSG_SG_EEES6_PlJNSB_9not_fun_tINSB_14equal_to_valueIxEEEEEEE10hipError_tPvRmT3_T4_T5_T6_T7_T9_mT8_P12ihipStream_tbDpT10_ENKUlT_T0_E_clISt17integral_constantIbLb1EES1B_EEDaS16_S17_EUlS16_E_NS1_11comp_targetILNS1_3genE4ELNS1_11target_archE910ELNS1_3gpuE8ELNS1_3repE0EEENS1_30default_config_static_selectorELNS0_4arch9wavefront6targetE0EEEvT1_.uses_vcc, 0
	.set _ZN7rocprim17ROCPRIM_400000_NS6detail17trampoline_kernelINS0_14default_configENS1_25partition_config_selectorILNS1_17partition_subalgoE6ExNS0_10empty_typeEbEEZZNS1_14partition_implILS5_6ELb0ES3_mN6thrust23THRUST_200600_302600_NS6detail15normal_iteratorINSA_10device_ptrIxEEEEPS6_SG_NS0_5tupleIJNSA_16discard_iteratorINSA_11use_defaultEEES6_EEENSH_IJSG_SG_EEES6_PlJNSB_9not_fun_tINSB_14equal_to_valueIxEEEEEEE10hipError_tPvRmT3_T4_T5_T6_T7_T9_mT8_P12ihipStream_tbDpT10_ENKUlT_T0_E_clISt17integral_constantIbLb1EES1B_EEDaS16_S17_EUlS16_E_NS1_11comp_targetILNS1_3genE4ELNS1_11target_archE910ELNS1_3gpuE8ELNS1_3repE0EEENS1_30default_config_static_selectorELNS0_4arch9wavefront6targetE0EEEvT1_.uses_flat_scratch, 0
	.set _ZN7rocprim17ROCPRIM_400000_NS6detail17trampoline_kernelINS0_14default_configENS1_25partition_config_selectorILNS1_17partition_subalgoE6ExNS0_10empty_typeEbEEZZNS1_14partition_implILS5_6ELb0ES3_mN6thrust23THRUST_200600_302600_NS6detail15normal_iteratorINSA_10device_ptrIxEEEEPS6_SG_NS0_5tupleIJNSA_16discard_iteratorINSA_11use_defaultEEES6_EEENSH_IJSG_SG_EEES6_PlJNSB_9not_fun_tINSB_14equal_to_valueIxEEEEEEE10hipError_tPvRmT3_T4_T5_T6_T7_T9_mT8_P12ihipStream_tbDpT10_ENKUlT_T0_E_clISt17integral_constantIbLb1EES1B_EEDaS16_S17_EUlS16_E_NS1_11comp_targetILNS1_3genE4ELNS1_11target_archE910ELNS1_3gpuE8ELNS1_3repE0EEENS1_30default_config_static_selectorELNS0_4arch9wavefront6targetE0EEEvT1_.has_dyn_sized_stack, 0
	.set _ZN7rocprim17ROCPRIM_400000_NS6detail17trampoline_kernelINS0_14default_configENS1_25partition_config_selectorILNS1_17partition_subalgoE6ExNS0_10empty_typeEbEEZZNS1_14partition_implILS5_6ELb0ES3_mN6thrust23THRUST_200600_302600_NS6detail15normal_iteratorINSA_10device_ptrIxEEEEPS6_SG_NS0_5tupleIJNSA_16discard_iteratorINSA_11use_defaultEEES6_EEENSH_IJSG_SG_EEES6_PlJNSB_9not_fun_tINSB_14equal_to_valueIxEEEEEEE10hipError_tPvRmT3_T4_T5_T6_T7_T9_mT8_P12ihipStream_tbDpT10_ENKUlT_T0_E_clISt17integral_constantIbLb1EES1B_EEDaS16_S17_EUlS16_E_NS1_11comp_targetILNS1_3genE4ELNS1_11target_archE910ELNS1_3gpuE8ELNS1_3repE0EEENS1_30default_config_static_selectorELNS0_4arch9wavefront6targetE0EEEvT1_.has_recursion, 0
	.set _ZN7rocprim17ROCPRIM_400000_NS6detail17trampoline_kernelINS0_14default_configENS1_25partition_config_selectorILNS1_17partition_subalgoE6ExNS0_10empty_typeEbEEZZNS1_14partition_implILS5_6ELb0ES3_mN6thrust23THRUST_200600_302600_NS6detail15normal_iteratorINSA_10device_ptrIxEEEEPS6_SG_NS0_5tupleIJNSA_16discard_iteratorINSA_11use_defaultEEES6_EEENSH_IJSG_SG_EEES6_PlJNSB_9not_fun_tINSB_14equal_to_valueIxEEEEEEE10hipError_tPvRmT3_T4_T5_T6_T7_T9_mT8_P12ihipStream_tbDpT10_ENKUlT_T0_E_clISt17integral_constantIbLb1EES1B_EEDaS16_S17_EUlS16_E_NS1_11comp_targetILNS1_3genE4ELNS1_11target_archE910ELNS1_3gpuE8ELNS1_3repE0EEENS1_30default_config_static_selectorELNS0_4arch9wavefront6targetE0EEEvT1_.has_indirect_call, 0
	.section	.AMDGPU.csdata,"",@progbits
; Kernel info:
; codeLenInByte = 0
; TotalNumSgprs: 0
; NumVgprs: 0
; ScratchSize: 0
; MemoryBound: 0
; FloatMode: 240
; IeeeMode: 1
; LDSByteSize: 0 bytes/workgroup (compile time only)
; SGPRBlocks: 0
; VGPRBlocks: 0
; NumSGPRsForWavesPerEU: 1
; NumVGPRsForWavesPerEU: 1
; Occupancy: 16
; WaveLimiterHint : 0
; COMPUTE_PGM_RSRC2:SCRATCH_EN: 0
; COMPUTE_PGM_RSRC2:USER_SGPR: 2
; COMPUTE_PGM_RSRC2:TRAP_HANDLER: 0
; COMPUTE_PGM_RSRC2:TGID_X_EN: 1
; COMPUTE_PGM_RSRC2:TGID_Y_EN: 0
; COMPUTE_PGM_RSRC2:TGID_Z_EN: 0
; COMPUTE_PGM_RSRC2:TIDIG_COMP_CNT: 0
	.section	.text._ZN7rocprim17ROCPRIM_400000_NS6detail17trampoline_kernelINS0_14default_configENS1_25partition_config_selectorILNS1_17partition_subalgoE6ExNS0_10empty_typeEbEEZZNS1_14partition_implILS5_6ELb0ES3_mN6thrust23THRUST_200600_302600_NS6detail15normal_iteratorINSA_10device_ptrIxEEEEPS6_SG_NS0_5tupleIJNSA_16discard_iteratorINSA_11use_defaultEEES6_EEENSH_IJSG_SG_EEES6_PlJNSB_9not_fun_tINSB_14equal_to_valueIxEEEEEEE10hipError_tPvRmT3_T4_T5_T6_T7_T9_mT8_P12ihipStream_tbDpT10_ENKUlT_T0_E_clISt17integral_constantIbLb1EES1B_EEDaS16_S17_EUlS16_E_NS1_11comp_targetILNS1_3genE3ELNS1_11target_archE908ELNS1_3gpuE7ELNS1_3repE0EEENS1_30default_config_static_selectorELNS0_4arch9wavefront6targetE0EEEvT1_,"axG",@progbits,_ZN7rocprim17ROCPRIM_400000_NS6detail17trampoline_kernelINS0_14default_configENS1_25partition_config_selectorILNS1_17partition_subalgoE6ExNS0_10empty_typeEbEEZZNS1_14partition_implILS5_6ELb0ES3_mN6thrust23THRUST_200600_302600_NS6detail15normal_iteratorINSA_10device_ptrIxEEEEPS6_SG_NS0_5tupleIJNSA_16discard_iteratorINSA_11use_defaultEEES6_EEENSH_IJSG_SG_EEES6_PlJNSB_9not_fun_tINSB_14equal_to_valueIxEEEEEEE10hipError_tPvRmT3_T4_T5_T6_T7_T9_mT8_P12ihipStream_tbDpT10_ENKUlT_T0_E_clISt17integral_constantIbLb1EES1B_EEDaS16_S17_EUlS16_E_NS1_11comp_targetILNS1_3genE3ELNS1_11target_archE908ELNS1_3gpuE7ELNS1_3repE0EEENS1_30default_config_static_selectorELNS0_4arch9wavefront6targetE0EEEvT1_,comdat
	.protected	_ZN7rocprim17ROCPRIM_400000_NS6detail17trampoline_kernelINS0_14default_configENS1_25partition_config_selectorILNS1_17partition_subalgoE6ExNS0_10empty_typeEbEEZZNS1_14partition_implILS5_6ELb0ES3_mN6thrust23THRUST_200600_302600_NS6detail15normal_iteratorINSA_10device_ptrIxEEEEPS6_SG_NS0_5tupleIJNSA_16discard_iteratorINSA_11use_defaultEEES6_EEENSH_IJSG_SG_EEES6_PlJNSB_9not_fun_tINSB_14equal_to_valueIxEEEEEEE10hipError_tPvRmT3_T4_T5_T6_T7_T9_mT8_P12ihipStream_tbDpT10_ENKUlT_T0_E_clISt17integral_constantIbLb1EES1B_EEDaS16_S17_EUlS16_E_NS1_11comp_targetILNS1_3genE3ELNS1_11target_archE908ELNS1_3gpuE7ELNS1_3repE0EEENS1_30default_config_static_selectorELNS0_4arch9wavefront6targetE0EEEvT1_ ; -- Begin function _ZN7rocprim17ROCPRIM_400000_NS6detail17trampoline_kernelINS0_14default_configENS1_25partition_config_selectorILNS1_17partition_subalgoE6ExNS0_10empty_typeEbEEZZNS1_14partition_implILS5_6ELb0ES3_mN6thrust23THRUST_200600_302600_NS6detail15normal_iteratorINSA_10device_ptrIxEEEEPS6_SG_NS0_5tupleIJNSA_16discard_iteratorINSA_11use_defaultEEES6_EEENSH_IJSG_SG_EEES6_PlJNSB_9not_fun_tINSB_14equal_to_valueIxEEEEEEE10hipError_tPvRmT3_T4_T5_T6_T7_T9_mT8_P12ihipStream_tbDpT10_ENKUlT_T0_E_clISt17integral_constantIbLb1EES1B_EEDaS16_S17_EUlS16_E_NS1_11comp_targetILNS1_3genE3ELNS1_11target_archE908ELNS1_3gpuE7ELNS1_3repE0EEENS1_30default_config_static_selectorELNS0_4arch9wavefront6targetE0EEEvT1_
	.globl	_ZN7rocprim17ROCPRIM_400000_NS6detail17trampoline_kernelINS0_14default_configENS1_25partition_config_selectorILNS1_17partition_subalgoE6ExNS0_10empty_typeEbEEZZNS1_14partition_implILS5_6ELb0ES3_mN6thrust23THRUST_200600_302600_NS6detail15normal_iteratorINSA_10device_ptrIxEEEEPS6_SG_NS0_5tupleIJNSA_16discard_iteratorINSA_11use_defaultEEES6_EEENSH_IJSG_SG_EEES6_PlJNSB_9not_fun_tINSB_14equal_to_valueIxEEEEEEE10hipError_tPvRmT3_T4_T5_T6_T7_T9_mT8_P12ihipStream_tbDpT10_ENKUlT_T0_E_clISt17integral_constantIbLb1EES1B_EEDaS16_S17_EUlS16_E_NS1_11comp_targetILNS1_3genE3ELNS1_11target_archE908ELNS1_3gpuE7ELNS1_3repE0EEENS1_30default_config_static_selectorELNS0_4arch9wavefront6targetE0EEEvT1_
	.p2align	8
	.type	_ZN7rocprim17ROCPRIM_400000_NS6detail17trampoline_kernelINS0_14default_configENS1_25partition_config_selectorILNS1_17partition_subalgoE6ExNS0_10empty_typeEbEEZZNS1_14partition_implILS5_6ELb0ES3_mN6thrust23THRUST_200600_302600_NS6detail15normal_iteratorINSA_10device_ptrIxEEEEPS6_SG_NS0_5tupleIJNSA_16discard_iteratorINSA_11use_defaultEEES6_EEENSH_IJSG_SG_EEES6_PlJNSB_9not_fun_tINSB_14equal_to_valueIxEEEEEEE10hipError_tPvRmT3_T4_T5_T6_T7_T9_mT8_P12ihipStream_tbDpT10_ENKUlT_T0_E_clISt17integral_constantIbLb1EES1B_EEDaS16_S17_EUlS16_E_NS1_11comp_targetILNS1_3genE3ELNS1_11target_archE908ELNS1_3gpuE7ELNS1_3repE0EEENS1_30default_config_static_selectorELNS0_4arch9wavefront6targetE0EEEvT1_,@function
_ZN7rocprim17ROCPRIM_400000_NS6detail17trampoline_kernelINS0_14default_configENS1_25partition_config_selectorILNS1_17partition_subalgoE6ExNS0_10empty_typeEbEEZZNS1_14partition_implILS5_6ELb0ES3_mN6thrust23THRUST_200600_302600_NS6detail15normal_iteratorINSA_10device_ptrIxEEEEPS6_SG_NS0_5tupleIJNSA_16discard_iteratorINSA_11use_defaultEEES6_EEENSH_IJSG_SG_EEES6_PlJNSB_9not_fun_tINSB_14equal_to_valueIxEEEEEEE10hipError_tPvRmT3_T4_T5_T6_T7_T9_mT8_P12ihipStream_tbDpT10_ENKUlT_T0_E_clISt17integral_constantIbLb1EES1B_EEDaS16_S17_EUlS16_E_NS1_11comp_targetILNS1_3genE3ELNS1_11target_archE908ELNS1_3gpuE7ELNS1_3repE0EEENS1_30default_config_static_selectorELNS0_4arch9wavefront6targetE0EEEvT1_: ; @_ZN7rocprim17ROCPRIM_400000_NS6detail17trampoline_kernelINS0_14default_configENS1_25partition_config_selectorILNS1_17partition_subalgoE6ExNS0_10empty_typeEbEEZZNS1_14partition_implILS5_6ELb0ES3_mN6thrust23THRUST_200600_302600_NS6detail15normal_iteratorINSA_10device_ptrIxEEEEPS6_SG_NS0_5tupleIJNSA_16discard_iteratorINSA_11use_defaultEEES6_EEENSH_IJSG_SG_EEES6_PlJNSB_9not_fun_tINSB_14equal_to_valueIxEEEEEEE10hipError_tPvRmT3_T4_T5_T6_T7_T9_mT8_P12ihipStream_tbDpT10_ENKUlT_T0_E_clISt17integral_constantIbLb1EES1B_EEDaS16_S17_EUlS16_E_NS1_11comp_targetILNS1_3genE3ELNS1_11target_archE908ELNS1_3gpuE7ELNS1_3repE0EEENS1_30default_config_static_selectorELNS0_4arch9wavefront6targetE0EEEvT1_
; %bb.0:
	.section	.rodata,"a",@progbits
	.p2align	6, 0x0
	.amdhsa_kernel _ZN7rocprim17ROCPRIM_400000_NS6detail17trampoline_kernelINS0_14default_configENS1_25partition_config_selectorILNS1_17partition_subalgoE6ExNS0_10empty_typeEbEEZZNS1_14partition_implILS5_6ELb0ES3_mN6thrust23THRUST_200600_302600_NS6detail15normal_iteratorINSA_10device_ptrIxEEEEPS6_SG_NS0_5tupleIJNSA_16discard_iteratorINSA_11use_defaultEEES6_EEENSH_IJSG_SG_EEES6_PlJNSB_9not_fun_tINSB_14equal_to_valueIxEEEEEEE10hipError_tPvRmT3_T4_T5_T6_T7_T9_mT8_P12ihipStream_tbDpT10_ENKUlT_T0_E_clISt17integral_constantIbLb1EES1B_EEDaS16_S17_EUlS16_E_NS1_11comp_targetILNS1_3genE3ELNS1_11target_archE908ELNS1_3gpuE7ELNS1_3repE0EEENS1_30default_config_static_selectorELNS0_4arch9wavefront6targetE0EEEvT1_
		.amdhsa_group_segment_fixed_size 0
		.amdhsa_private_segment_fixed_size 0
		.amdhsa_kernarg_size 136
		.amdhsa_user_sgpr_count 2
		.amdhsa_user_sgpr_dispatch_ptr 0
		.amdhsa_user_sgpr_queue_ptr 0
		.amdhsa_user_sgpr_kernarg_segment_ptr 1
		.amdhsa_user_sgpr_dispatch_id 0
		.amdhsa_user_sgpr_private_segment_size 0
		.amdhsa_wavefront_size32 1
		.amdhsa_uses_dynamic_stack 0
		.amdhsa_enable_private_segment 0
		.amdhsa_system_sgpr_workgroup_id_x 1
		.amdhsa_system_sgpr_workgroup_id_y 0
		.amdhsa_system_sgpr_workgroup_id_z 0
		.amdhsa_system_sgpr_workgroup_info 0
		.amdhsa_system_vgpr_workitem_id 0
		.amdhsa_next_free_vgpr 1
		.amdhsa_next_free_sgpr 1
		.amdhsa_reserve_vcc 0
		.amdhsa_float_round_mode_32 0
		.amdhsa_float_round_mode_16_64 0
		.amdhsa_float_denorm_mode_32 3
		.amdhsa_float_denorm_mode_16_64 3
		.amdhsa_fp16_overflow 0
		.amdhsa_workgroup_processor_mode 1
		.amdhsa_memory_ordered 1
		.amdhsa_forward_progress 1
		.amdhsa_inst_pref_size 0
		.amdhsa_round_robin_scheduling 0
		.amdhsa_exception_fp_ieee_invalid_op 0
		.amdhsa_exception_fp_denorm_src 0
		.amdhsa_exception_fp_ieee_div_zero 0
		.amdhsa_exception_fp_ieee_overflow 0
		.amdhsa_exception_fp_ieee_underflow 0
		.amdhsa_exception_fp_ieee_inexact 0
		.amdhsa_exception_int_div_zero 0
	.end_amdhsa_kernel
	.section	.text._ZN7rocprim17ROCPRIM_400000_NS6detail17trampoline_kernelINS0_14default_configENS1_25partition_config_selectorILNS1_17partition_subalgoE6ExNS0_10empty_typeEbEEZZNS1_14partition_implILS5_6ELb0ES3_mN6thrust23THRUST_200600_302600_NS6detail15normal_iteratorINSA_10device_ptrIxEEEEPS6_SG_NS0_5tupleIJNSA_16discard_iteratorINSA_11use_defaultEEES6_EEENSH_IJSG_SG_EEES6_PlJNSB_9not_fun_tINSB_14equal_to_valueIxEEEEEEE10hipError_tPvRmT3_T4_T5_T6_T7_T9_mT8_P12ihipStream_tbDpT10_ENKUlT_T0_E_clISt17integral_constantIbLb1EES1B_EEDaS16_S17_EUlS16_E_NS1_11comp_targetILNS1_3genE3ELNS1_11target_archE908ELNS1_3gpuE7ELNS1_3repE0EEENS1_30default_config_static_selectorELNS0_4arch9wavefront6targetE0EEEvT1_,"axG",@progbits,_ZN7rocprim17ROCPRIM_400000_NS6detail17trampoline_kernelINS0_14default_configENS1_25partition_config_selectorILNS1_17partition_subalgoE6ExNS0_10empty_typeEbEEZZNS1_14partition_implILS5_6ELb0ES3_mN6thrust23THRUST_200600_302600_NS6detail15normal_iteratorINSA_10device_ptrIxEEEEPS6_SG_NS0_5tupleIJNSA_16discard_iteratorINSA_11use_defaultEEES6_EEENSH_IJSG_SG_EEES6_PlJNSB_9not_fun_tINSB_14equal_to_valueIxEEEEEEE10hipError_tPvRmT3_T4_T5_T6_T7_T9_mT8_P12ihipStream_tbDpT10_ENKUlT_T0_E_clISt17integral_constantIbLb1EES1B_EEDaS16_S17_EUlS16_E_NS1_11comp_targetILNS1_3genE3ELNS1_11target_archE908ELNS1_3gpuE7ELNS1_3repE0EEENS1_30default_config_static_selectorELNS0_4arch9wavefront6targetE0EEEvT1_,comdat
.Lfunc_end1736:
	.size	_ZN7rocprim17ROCPRIM_400000_NS6detail17trampoline_kernelINS0_14default_configENS1_25partition_config_selectorILNS1_17partition_subalgoE6ExNS0_10empty_typeEbEEZZNS1_14partition_implILS5_6ELb0ES3_mN6thrust23THRUST_200600_302600_NS6detail15normal_iteratorINSA_10device_ptrIxEEEEPS6_SG_NS0_5tupleIJNSA_16discard_iteratorINSA_11use_defaultEEES6_EEENSH_IJSG_SG_EEES6_PlJNSB_9not_fun_tINSB_14equal_to_valueIxEEEEEEE10hipError_tPvRmT3_T4_T5_T6_T7_T9_mT8_P12ihipStream_tbDpT10_ENKUlT_T0_E_clISt17integral_constantIbLb1EES1B_EEDaS16_S17_EUlS16_E_NS1_11comp_targetILNS1_3genE3ELNS1_11target_archE908ELNS1_3gpuE7ELNS1_3repE0EEENS1_30default_config_static_selectorELNS0_4arch9wavefront6targetE0EEEvT1_, .Lfunc_end1736-_ZN7rocprim17ROCPRIM_400000_NS6detail17trampoline_kernelINS0_14default_configENS1_25partition_config_selectorILNS1_17partition_subalgoE6ExNS0_10empty_typeEbEEZZNS1_14partition_implILS5_6ELb0ES3_mN6thrust23THRUST_200600_302600_NS6detail15normal_iteratorINSA_10device_ptrIxEEEEPS6_SG_NS0_5tupleIJNSA_16discard_iteratorINSA_11use_defaultEEES6_EEENSH_IJSG_SG_EEES6_PlJNSB_9not_fun_tINSB_14equal_to_valueIxEEEEEEE10hipError_tPvRmT3_T4_T5_T6_T7_T9_mT8_P12ihipStream_tbDpT10_ENKUlT_T0_E_clISt17integral_constantIbLb1EES1B_EEDaS16_S17_EUlS16_E_NS1_11comp_targetILNS1_3genE3ELNS1_11target_archE908ELNS1_3gpuE7ELNS1_3repE0EEENS1_30default_config_static_selectorELNS0_4arch9wavefront6targetE0EEEvT1_
                                        ; -- End function
	.set _ZN7rocprim17ROCPRIM_400000_NS6detail17trampoline_kernelINS0_14default_configENS1_25partition_config_selectorILNS1_17partition_subalgoE6ExNS0_10empty_typeEbEEZZNS1_14partition_implILS5_6ELb0ES3_mN6thrust23THRUST_200600_302600_NS6detail15normal_iteratorINSA_10device_ptrIxEEEEPS6_SG_NS0_5tupleIJNSA_16discard_iteratorINSA_11use_defaultEEES6_EEENSH_IJSG_SG_EEES6_PlJNSB_9not_fun_tINSB_14equal_to_valueIxEEEEEEE10hipError_tPvRmT3_T4_T5_T6_T7_T9_mT8_P12ihipStream_tbDpT10_ENKUlT_T0_E_clISt17integral_constantIbLb1EES1B_EEDaS16_S17_EUlS16_E_NS1_11comp_targetILNS1_3genE3ELNS1_11target_archE908ELNS1_3gpuE7ELNS1_3repE0EEENS1_30default_config_static_selectorELNS0_4arch9wavefront6targetE0EEEvT1_.num_vgpr, 0
	.set _ZN7rocprim17ROCPRIM_400000_NS6detail17trampoline_kernelINS0_14default_configENS1_25partition_config_selectorILNS1_17partition_subalgoE6ExNS0_10empty_typeEbEEZZNS1_14partition_implILS5_6ELb0ES3_mN6thrust23THRUST_200600_302600_NS6detail15normal_iteratorINSA_10device_ptrIxEEEEPS6_SG_NS0_5tupleIJNSA_16discard_iteratorINSA_11use_defaultEEES6_EEENSH_IJSG_SG_EEES6_PlJNSB_9not_fun_tINSB_14equal_to_valueIxEEEEEEE10hipError_tPvRmT3_T4_T5_T6_T7_T9_mT8_P12ihipStream_tbDpT10_ENKUlT_T0_E_clISt17integral_constantIbLb1EES1B_EEDaS16_S17_EUlS16_E_NS1_11comp_targetILNS1_3genE3ELNS1_11target_archE908ELNS1_3gpuE7ELNS1_3repE0EEENS1_30default_config_static_selectorELNS0_4arch9wavefront6targetE0EEEvT1_.num_agpr, 0
	.set _ZN7rocprim17ROCPRIM_400000_NS6detail17trampoline_kernelINS0_14default_configENS1_25partition_config_selectorILNS1_17partition_subalgoE6ExNS0_10empty_typeEbEEZZNS1_14partition_implILS5_6ELb0ES3_mN6thrust23THRUST_200600_302600_NS6detail15normal_iteratorINSA_10device_ptrIxEEEEPS6_SG_NS0_5tupleIJNSA_16discard_iteratorINSA_11use_defaultEEES6_EEENSH_IJSG_SG_EEES6_PlJNSB_9not_fun_tINSB_14equal_to_valueIxEEEEEEE10hipError_tPvRmT3_T4_T5_T6_T7_T9_mT8_P12ihipStream_tbDpT10_ENKUlT_T0_E_clISt17integral_constantIbLb1EES1B_EEDaS16_S17_EUlS16_E_NS1_11comp_targetILNS1_3genE3ELNS1_11target_archE908ELNS1_3gpuE7ELNS1_3repE0EEENS1_30default_config_static_selectorELNS0_4arch9wavefront6targetE0EEEvT1_.numbered_sgpr, 0
	.set _ZN7rocprim17ROCPRIM_400000_NS6detail17trampoline_kernelINS0_14default_configENS1_25partition_config_selectorILNS1_17partition_subalgoE6ExNS0_10empty_typeEbEEZZNS1_14partition_implILS5_6ELb0ES3_mN6thrust23THRUST_200600_302600_NS6detail15normal_iteratorINSA_10device_ptrIxEEEEPS6_SG_NS0_5tupleIJNSA_16discard_iteratorINSA_11use_defaultEEES6_EEENSH_IJSG_SG_EEES6_PlJNSB_9not_fun_tINSB_14equal_to_valueIxEEEEEEE10hipError_tPvRmT3_T4_T5_T6_T7_T9_mT8_P12ihipStream_tbDpT10_ENKUlT_T0_E_clISt17integral_constantIbLb1EES1B_EEDaS16_S17_EUlS16_E_NS1_11comp_targetILNS1_3genE3ELNS1_11target_archE908ELNS1_3gpuE7ELNS1_3repE0EEENS1_30default_config_static_selectorELNS0_4arch9wavefront6targetE0EEEvT1_.num_named_barrier, 0
	.set _ZN7rocprim17ROCPRIM_400000_NS6detail17trampoline_kernelINS0_14default_configENS1_25partition_config_selectorILNS1_17partition_subalgoE6ExNS0_10empty_typeEbEEZZNS1_14partition_implILS5_6ELb0ES3_mN6thrust23THRUST_200600_302600_NS6detail15normal_iteratorINSA_10device_ptrIxEEEEPS6_SG_NS0_5tupleIJNSA_16discard_iteratorINSA_11use_defaultEEES6_EEENSH_IJSG_SG_EEES6_PlJNSB_9not_fun_tINSB_14equal_to_valueIxEEEEEEE10hipError_tPvRmT3_T4_T5_T6_T7_T9_mT8_P12ihipStream_tbDpT10_ENKUlT_T0_E_clISt17integral_constantIbLb1EES1B_EEDaS16_S17_EUlS16_E_NS1_11comp_targetILNS1_3genE3ELNS1_11target_archE908ELNS1_3gpuE7ELNS1_3repE0EEENS1_30default_config_static_selectorELNS0_4arch9wavefront6targetE0EEEvT1_.private_seg_size, 0
	.set _ZN7rocprim17ROCPRIM_400000_NS6detail17trampoline_kernelINS0_14default_configENS1_25partition_config_selectorILNS1_17partition_subalgoE6ExNS0_10empty_typeEbEEZZNS1_14partition_implILS5_6ELb0ES3_mN6thrust23THRUST_200600_302600_NS6detail15normal_iteratorINSA_10device_ptrIxEEEEPS6_SG_NS0_5tupleIJNSA_16discard_iteratorINSA_11use_defaultEEES6_EEENSH_IJSG_SG_EEES6_PlJNSB_9not_fun_tINSB_14equal_to_valueIxEEEEEEE10hipError_tPvRmT3_T4_T5_T6_T7_T9_mT8_P12ihipStream_tbDpT10_ENKUlT_T0_E_clISt17integral_constantIbLb1EES1B_EEDaS16_S17_EUlS16_E_NS1_11comp_targetILNS1_3genE3ELNS1_11target_archE908ELNS1_3gpuE7ELNS1_3repE0EEENS1_30default_config_static_selectorELNS0_4arch9wavefront6targetE0EEEvT1_.uses_vcc, 0
	.set _ZN7rocprim17ROCPRIM_400000_NS6detail17trampoline_kernelINS0_14default_configENS1_25partition_config_selectorILNS1_17partition_subalgoE6ExNS0_10empty_typeEbEEZZNS1_14partition_implILS5_6ELb0ES3_mN6thrust23THRUST_200600_302600_NS6detail15normal_iteratorINSA_10device_ptrIxEEEEPS6_SG_NS0_5tupleIJNSA_16discard_iteratorINSA_11use_defaultEEES6_EEENSH_IJSG_SG_EEES6_PlJNSB_9not_fun_tINSB_14equal_to_valueIxEEEEEEE10hipError_tPvRmT3_T4_T5_T6_T7_T9_mT8_P12ihipStream_tbDpT10_ENKUlT_T0_E_clISt17integral_constantIbLb1EES1B_EEDaS16_S17_EUlS16_E_NS1_11comp_targetILNS1_3genE3ELNS1_11target_archE908ELNS1_3gpuE7ELNS1_3repE0EEENS1_30default_config_static_selectorELNS0_4arch9wavefront6targetE0EEEvT1_.uses_flat_scratch, 0
	.set _ZN7rocprim17ROCPRIM_400000_NS6detail17trampoline_kernelINS0_14default_configENS1_25partition_config_selectorILNS1_17partition_subalgoE6ExNS0_10empty_typeEbEEZZNS1_14partition_implILS5_6ELb0ES3_mN6thrust23THRUST_200600_302600_NS6detail15normal_iteratorINSA_10device_ptrIxEEEEPS6_SG_NS0_5tupleIJNSA_16discard_iteratorINSA_11use_defaultEEES6_EEENSH_IJSG_SG_EEES6_PlJNSB_9not_fun_tINSB_14equal_to_valueIxEEEEEEE10hipError_tPvRmT3_T4_T5_T6_T7_T9_mT8_P12ihipStream_tbDpT10_ENKUlT_T0_E_clISt17integral_constantIbLb1EES1B_EEDaS16_S17_EUlS16_E_NS1_11comp_targetILNS1_3genE3ELNS1_11target_archE908ELNS1_3gpuE7ELNS1_3repE0EEENS1_30default_config_static_selectorELNS0_4arch9wavefront6targetE0EEEvT1_.has_dyn_sized_stack, 0
	.set _ZN7rocprim17ROCPRIM_400000_NS6detail17trampoline_kernelINS0_14default_configENS1_25partition_config_selectorILNS1_17partition_subalgoE6ExNS0_10empty_typeEbEEZZNS1_14partition_implILS5_6ELb0ES3_mN6thrust23THRUST_200600_302600_NS6detail15normal_iteratorINSA_10device_ptrIxEEEEPS6_SG_NS0_5tupleIJNSA_16discard_iteratorINSA_11use_defaultEEES6_EEENSH_IJSG_SG_EEES6_PlJNSB_9not_fun_tINSB_14equal_to_valueIxEEEEEEE10hipError_tPvRmT3_T4_T5_T6_T7_T9_mT8_P12ihipStream_tbDpT10_ENKUlT_T0_E_clISt17integral_constantIbLb1EES1B_EEDaS16_S17_EUlS16_E_NS1_11comp_targetILNS1_3genE3ELNS1_11target_archE908ELNS1_3gpuE7ELNS1_3repE0EEENS1_30default_config_static_selectorELNS0_4arch9wavefront6targetE0EEEvT1_.has_recursion, 0
	.set _ZN7rocprim17ROCPRIM_400000_NS6detail17trampoline_kernelINS0_14default_configENS1_25partition_config_selectorILNS1_17partition_subalgoE6ExNS0_10empty_typeEbEEZZNS1_14partition_implILS5_6ELb0ES3_mN6thrust23THRUST_200600_302600_NS6detail15normal_iteratorINSA_10device_ptrIxEEEEPS6_SG_NS0_5tupleIJNSA_16discard_iteratorINSA_11use_defaultEEES6_EEENSH_IJSG_SG_EEES6_PlJNSB_9not_fun_tINSB_14equal_to_valueIxEEEEEEE10hipError_tPvRmT3_T4_T5_T6_T7_T9_mT8_P12ihipStream_tbDpT10_ENKUlT_T0_E_clISt17integral_constantIbLb1EES1B_EEDaS16_S17_EUlS16_E_NS1_11comp_targetILNS1_3genE3ELNS1_11target_archE908ELNS1_3gpuE7ELNS1_3repE0EEENS1_30default_config_static_selectorELNS0_4arch9wavefront6targetE0EEEvT1_.has_indirect_call, 0
	.section	.AMDGPU.csdata,"",@progbits
; Kernel info:
; codeLenInByte = 0
; TotalNumSgprs: 0
; NumVgprs: 0
; ScratchSize: 0
; MemoryBound: 0
; FloatMode: 240
; IeeeMode: 1
; LDSByteSize: 0 bytes/workgroup (compile time only)
; SGPRBlocks: 0
; VGPRBlocks: 0
; NumSGPRsForWavesPerEU: 1
; NumVGPRsForWavesPerEU: 1
; Occupancy: 16
; WaveLimiterHint : 0
; COMPUTE_PGM_RSRC2:SCRATCH_EN: 0
; COMPUTE_PGM_RSRC2:USER_SGPR: 2
; COMPUTE_PGM_RSRC2:TRAP_HANDLER: 0
; COMPUTE_PGM_RSRC2:TGID_X_EN: 1
; COMPUTE_PGM_RSRC2:TGID_Y_EN: 0
; COMPUTE_PGM_RSRC2:TGID_Z_EN: 0
; COMPUTE_PGM_RSRC2:TIDIG_COMP_CNT: 0
	.section	.text._ZN7rocprim17ROCPRIM_400000_NS6detail17trampoline_kernelINS0_14default_configENS1_25partition_config_selectorILNS1_17partition_subalgoE6ExNS0_10empty_typeEbEEZZNS1_14partition_implILS5_6ELb0ES3_mN6thrust23THRUST_200600_302600_NS6detail15normal_iteratorINSA_10device_ptrIxEEEEPS6_SG_NS0_5tupleIJNSA_16discard_iteratorINSA_11use_defaultEEES6_EEENSH_IJSG_SG_EEES6_PlJNSB_9not_fun_tINSB_14equal_to_valueIxEEEEEEE10hipError_tPvRmT3_T4_T5_T6_T7_T9_mT8_P12ihipStream_tbDpT10_ENKUlT_T0_E_clISt17integral_constantIbLb1EES1B_EEDaS16_S17_EUlS16_E_NS1_11comp_targetILNS1_3genE2ELNS1_11target_archE906ELNS1_3gpuE6ELNS1_3repE0EEENS1_30default_config_static_selectorELNS0_4arch9wavefront6targetE0EEEvT1_,"axG",@progbits,_ZN7rocprim17ROCPRIM_400000_NS6detail17trampoline_kernelINS0_14default_configENS1_25partition_config_selectorILNS1_17partition_subalgoE6ExNS0_10empty_typeEbEEZZNS1_14partition_implILS5_6ELb0ES3_mN6thrust23THRUST_200600_302600_NS6detail15normal_iteratorINSA_10device_ptrIxEEEEPS6_SG_NS0_5tupleIJNSA_16discard_iteratorINSA_11use_defaultEEES6_EEENSH_IJSG_SG_EEES6_PlJNSB_9not_fun_tINSB_14equal_to_valueIxEEEEEEE10hipError_tPvRmT3_T4_T5_T6_T7_T9_mT8_P12ihipStream_tbDpT10_ENKUlT_T0_E_clISt17integral_constantIbLb1EES1B_EEDaS16_S17_EUlS16_E_NS1_11comp_targetILNS1_3genE2ELNS1_11target_archE906ELNS1_3gpuE6ELNS1_3repE0EEENS1_30default_config_static_selectorELNS0_4arch9wavefront6targetE0EEEvT1_,comdat
	.protected	_ZN7rocprim17ROCPRIM_400000_NS6detail17trampoline_kernelINS0_14default_configENS1_25partition_config_selectorILNS1_17partition_subalgoE6ExNS0_10empty_typeEbEEZZNS1_14partition_implILS5_6ELb0ES3_mN6thrust23THRUST_200600_302600_NS6detail15normal_iteratorINSA_10device_ptrIxEEEEPS6_SG_NS0_5tupleIJNSA_16discard_iteratorINSA_11use_defaultEEES6_EEENSH_IJSG_SG_EEES6_PlJNSB_9not_fun_tINSB_14equal_to_valueIxEEEEEEE10hipError_tPvRmT3_T4_T5_T6_T7_T9_mT8_P12ihipStream_tbDpT10_ENKUlT_T0_E_clISt17integral_constantIbLb1EES1B_EEDaS16_S17_EUlS16_E_NS1_11comp_targetILNS1_3genE2ELNS1_11target_archE906ELNS1_3gpuE6ELNS1_3repE0EEENS1_30default_config_static_selectorELNS0_4arch9wavefront6targetE0EEEvT1_ ; -- Begin function _ZN7rocprim17ROCPRIM_400000_NS6detail17trampoline_kernelINS0_14default_configENS1_25partition_config_selectorILNS1_17partition_subalgoE6ExNS0_10empty_typeEbEEZZNS1_14partition_implILS5_6ELb0ES3_mN6thrust23THRUST_200600_302600_NS6detail15normal_iteratorINSA_10device_ptrIxEEEEPS6_SG_NS0_5tupleIJNSA_16discard_iteratorINSA_11use_defaultEEES6_EEENSH_IJSG_SG_EEES6_PlJNSB_9not_fun_tINSB_14equal_to_valueIxEEEEEEE10hipError_tPvRmT3_T4_T5_T6_T7_T9_mT8_P12ihipStream_tbDpT10_ENKUlT_T0_E_clISt17integral_constantIbLb1EES1B_EEDaS16_S17_EUlS16_E_NS1_11comp_targetILNS1_3genE2ELNS1_11target_archE906ELNS1_3gpuE6ELNS1_3repE0EEENS1_30default_config_static_selectorELNS0_4arch9wavefront6targetE0EEEvT1_
	.globl	_ZN7rocprim17ROCPRIM_400000_NS6detail17trampoline_kernelINS0_14default_configENS1_25partition_config_selectorILNS1_17partition_subalgoE6ExNS0_10empty_typeEbEEZZNS1_14partition_implILS5_6ELb0ES3_mN6thrust23THRUST_200600_302600_NS6detail15normal_iteratorINSA_10device_ptrIxEEEEPS6_SG_NS0_5tupleIJNSA_16discard_iteratorINSA_11use_defaultEEES6_EEENSH_IJSG_SG_EEES6_PlJNSB_9not_fun_tINSB_14equal_to_valueIxEEEEEEE10hipError_tPvRmT3_T4_T5_T6_T7_T9_mT8_P12ihipStream_tbDpT10_ENKUlT_T0_E_clISt17integral_constantIbLb1EES1B_EEDaS16_S17_EUlS16_E_NS1_11comp_targetILNS1_3genE2ELNS1_11target_archE906ELNS1_3gpuE6ELNS1_3repE0EEENS1_30default_config_static_selectorELNS0_4arch9wavefront6targetE0EEEvT1_
	.p2align	8
	.type	_ZN7rocprim17ROCPRIM_400000_NS6detail17trampoline_kernelINS0_14default_configENS1_25partition_config_selectorILNS1_17partition_subalgoE6ExNS0_10empty_typeEbEEZZNS1_14partition_implILS5_6ELb0ES3_mN6thrust23THRUST_200600_302600_NS6detail15normal_iteratorINSA_10device_ptrIxEEEEPS6_SG_NS0_5tupleIJNSA_16discard_iteratorINSA_11use_defaultEEES6_EEENSH_IJSG_SG_EEES6_PlJNSB_9not_fun_tINSB_14equal_to_valueIxEEEEEEE10hipError_tPvRmT3_T4_T5_T6_T7_T9_mT8_P12ihipStream_tbDpT10_ENKUlT_T0_E_clISt17integral_constantIbLb1EES1B_EEDaS16_S17_EUlS16_E_NS1_11comp_targetILNS1_3genE2ELNS1_11target_archE906ELNS1_3gpuE6ELNS1_3repE0EEENS1_30default_config_static_selectorELNS0_4arch9wavefront6targetE0EEEvT1_,@function
_ZN7rocprim17ROCPRIM_400000_NS6detail17trampoline_kernelINS0_14default_configENS1_25partition_config_selectorILNS1_17partition_subalgoE6ExNS0_10empty_typeEbEEZZNS1_14partition_implILS5_6ELb0ES3_mN6thrust23THRUST_200600_302600_NS6detail15normal_iteratorINSA_10device_ptrIxEEEEPS6_SG_NS0_5tupleIJNSA_16discard_iteratorINSA_11use_defaultEEES6_EEENSH_IJSG_SG_EEES6_PlJNSB_9not_fun_tINSB_14equal_to_valueIxEEEEEEE10hipError_tPvRmT3_T4_T5_T6_T7_T9_mT8_P12ihipStream_tbDpT10_ENKUlT_T0_E_clISt17integral_constantIbLb1EES1B_EEDaS16_S17_EUlS16_E_NS1_11comp_targetILNS1_3genE2ELNS1_11target_archE906ELNS1_3gpuE6ELNS1_3repE0EEENS1_30default_config_static_selectorELNS0_4arch9wavefront6targetE0EEEvT1_: ; @_ZN7rocprim17ROCPRIM_400000_NS6detail17trampoline_kernelINS0_14default_configENS1_25partition_config_selectorILNS1_17partition_subalgoE6ExNS0_10empty_typeEbEEZZNS1_14partition_implILS5_6ELb0ES3_mN6thrust23THRUST_200600_302600_NS6detail15normal_iteratorINSA_10device_ptrIxEEEEPS6_SG_NS0_5tupleIJNSA_16discard_iteratorINSA_11use_defaultEEES6_EEENSH_IJSG_SG_EEES6_PlJNSB_9not_fun_tINSB_14equal_to_valueIxEEEEEEE10hipError_tPvRmT3_T4_T5_T6_T7_T9_mT8_P12ihipStream_tbDpT10_ENKUlT_T0_E_clISt17integral_constantIbLb1EES1B_EEDaS16_S17_EUlS16_E_NS1_11comp_targetILNS1_3genE2ELNS1_11target_archE906ELNS1_3gpuE6ELNS1_3repE0EEENS1_30default_config_static_selectorELNS0_4arch9wavefront6targetE0EEEvT1_
; %bb.0:
	.section	.rodata,"a",@progbits
	.p2align	6, 0x0
	.amdhsa_kernel _ZN7rocprim17ROCPRIM_400000_NS6detail17trampoline_kernelINS0_14default_configENS1_25partition_config_selectorILNS1_17partition_subalgoE6ExNS0_10empty_typeEbEEZZNS1_14partition_implILS5_6ELb0ES3_mN6thrust23THRUST_200600_302600_NS6detail15normal_iteratorINSA_10device_ptrIxEEEEPS6_SG_NS0_5tupleIJNSA_16discard_iteratorINSA_11use_defaultEEES6_EEENSH_IJSG_SG_EEES6_PlJNSB_9not_fun_tINSB_14equal_to_valueIxEEEEEEE10hipError_tPvRmT3_T4_T5_T6_T7_T9_mT8_P12ihipStream_tbDpT10_ENKUlT_T0_E_clISt17integral_constantIbLb1EES1B_EEDaS16_S17_EUlS16_E_NS1_11comp_targetILNS1_3genE2ELNS1_11target_archE906ELNS1_3gpuE6ELNS1_3repE0EEENS1_30default_config_static_selectorELNS0_4arch9wavefront6targetE0EEEvT1_
		.amdhsa_group_segment_fixed_size 0
		.amdhsa_private_segment_fixed_size 0
		.amdhsa_kernarg_size 136
		.amdhsa_user_sgpr_count 2
		.amdhsa_user_sgpr_dispatch_ptr 0
		.amdhsa_user_sgpr_queue_ptr 0
		.amdhsa_user_sgpr_kernarg_segment_ptr 1
		.amdhsa_user_sgpr_dispatch_id 0
		.amdhsa_user_sgpr_private_segment_size 0
		.amdhsa_wavefront_size32 1
		.amdhsa_uses_dynamic_stack 0
		.amdhsa_enable_private_segment 0
		.amdhsa_system_sgpr_workgroup_id_x 1
		.amdhsa_system_sgpr_workgroup_id_y 0
		.amdhsa_system_sgpr_workgroup_id_z 0
		.amdhsa_system_sgpr_workgroup_info 0
		.amdhsa_system_vgpr_workitem_id 0
		.amdhsa_next_free_vgpr 1
		.amdhsa_next_free_sgpr 1
		.amdhsa_reserve_vcc 0
		.amdhsa_float_round_mode_32 0
		.amdhsa_float_round_mode_16_64 0
		.amdhsa_float_denorm_mode_32 3
		.amdhsa_float_denorm_mode_16_64 3
		.amdhsa_fp16_overflow 0
		.amdhsa_workgroup_processor_mode 1
		.amdhsa_memory_ordered 1
		.amdhsa_forward_progress 1
		.amdhsa_inst_pref_size 0
		.amdhsa_round_robin_scheduling 0
		.amdhsa_exception_fp_ieee_invalid_op 0
		.amdhsa_exception_fp_denorm_src 0
		.amdhsa_exception_fp_ieee_div_zero 0
		.amdhsa_exception_fp_ieee_overflow 0
		.amdhsa_exception_fp_ieee_underflow 0
		.amdhsa_exception_fp_ieee_inexact 0
		.amdhsa_exception_int_div_zero 0
	.end_amdhsa_kernel
	.section	.text._ZN7rocprim17ROCPRIM_400000_NS6detail17trampoline_kernelINS0_14default_configENS1_25partition_config_selectorILNS1_17partition_subalgoE6ExNS0_10empty_typeEbEEZZNS1_14partition_implILS5_6ELb0ES3_mN6thrust23THRUST_200600_302600_NS6detail15normal_iteratorINSA_10device_ptrIxEEEEPS6_SG_NS0_5tupleIJNSA_16discard_iteratorINSA_11use_defaultEEES6_EEENSH_IJSG_SG_EEES6_PlJNSB_9not_fun_tINSB_14equal_to_valueIxEEEEEEE10hipError_tPvRmT3_T4_T5_T6_T7_T9_mT8_P12ihipStream_tbDpT10_ENKUlT_T0_E_clISt17integral_constantIbLb1EES1B_EEDaS16_S17_EUlS16_E_NS1_11comp_targetILNS1_3genE2ELNS1_11target_archE906ELNS1_3gpuE6ELNS1_3repE0EEENS1_30default_config_static_selectorELNS0_4arch9wavefront6targetE0EEEvT1_,"axG",@progbits,_ZN7rocprim17ROCPRIM_400000_NS6detail17trampoline_kernelINS0_14default_configENS1_25partition_config_selectorILNS1_17partition_subalgoE6ExNS0_10empty_typeEbEEZZNS1_14partition_implILS5_6ELb0ES3_mN6thrust23THRUST_200600_302600_NS6detail15normal_iteratorINSA_10device_ptrIxEEEEPS6_SG_NS0_5tupleIJNSA_16discard_iteratorINSA_11use_defaultEEES6_EEENSH_IJSG_SG_EEES6_PlJNSB_9not_fun_tINSB_14equal_to_valueIxEEEEEEE10hipError_tPvRmT3_T4_T5_T6_T7_T9_mT8_P12ihipStream_tbDpT10_ENKUlT_T0_E_clISt17integral_constantIbLb1EES1B_EEDaS16_S17_EUlS16_E_NS1_11comp_targetILNS1_3genE2ELNS1_11target_archE906ELNS1_3gpuE6ELNS1_3repE0EEENS1_30default_config_static_selectorELNS0_4arch9wavefront6targetE0EEEvT1_,comdat
.Lfunc_end1737:
	.size	_ZN7rocprim17ROCPRIM_400000_NS6detail17trampoline_kernelINS0_14default_configENS1_25partition_config_selectorILNS1_17partition_subalgoE6ExNS0_10empty_typeEbEEZZNS1_14partition_implILS5_6ELb0ES3_mN6thrust23THRUST_200600_302600_NS6detail15normal_iteratorINSA_10device_ptrIxEEEEPS6_SG_NS0_5tupleIJNSA_16discard_iteratorINSA_11use_defaultEEES6_EEENSH_IJSG_SG_EEES6_PlJNSB_9not_fun_tINSB_14equal_to_valueIxEEEEEEE10hipError_tPvRmT3_T4_T5_T6_T7_T9_mT8_P12ihipStream_tbDpT10_ENKUlT_T0_E_clISt17integral_constantIbLb1EES1B_EEDaS16_S17_EUlS16_E_NS1_11comp_targetILNS1_3genE2ELNS1_11target_archE906ELNS1_3gpuE6ELNS1_3repE0EEENS1_30default_config_static_selectorELNS0_4arch9wavefront6targetE0EEEvT1_, .Lfunc_end1737-_ZN7rocprim17ROCPRIM_400000_NS6detail17trampoline_kernelINS0_14default_configENS1_25partition_config_selectorILNS1_17partition_subalgoE6ExNS0_10empty_typeEbEEZZNS1_14partition_implILS5_6ELb0ES3_mN6thrust23THRUST_200600_302600_NS6detail15normal_iteratorINSA_10device_ptrIxEEEEPS6_SG_NS0_5tupleIJNSA_16discard_iteratorINSA_11use_defaultEEES6_EEENSH_IJSG_SG_EEES6_PlJNSB_9not_fun_tINSB_14equal_to_valueIxEEEEEEE10hipError_tPvRmT3_T4_T5_T6_T7_T9_mT8_P12ihipStream_tbDpT10_ENKUlT_T0_E_clISt17integral_constantIbLb1EES1B_EEDaS16_S17_EUlS16_E_NS1_11comp_targetILNS1_3genE2ELNS1_11target_archE906ELNS1_3gpuE6ELNS1_3repE0EEENS1_30default_config_static_selectorELNS0_4arch9wavefront6targetE0EEEvT1_
                                        ; -- End function
	.set _ZN7rocprim17ROCPRIM_400000_NS6detail17trampoline_kernelINS0_14default_configENS1_25partition_config_selectorILNS1_17partition_subalgoE6ExNS0_10empty_typeEbEEZZNS1_14partition_implILS5_6ELb0ES3_mN6thrust23THRUST_200600_302600_NS6detail15normal_iteratorINSA_10device_ptrIxEEEEPS6_SG_NS0_5tupleIJNSA_16discard_iteratorINSA_11use_defaultEEES6_EEENSH_IJSG_SG_EEES6_PlJNSB_9not_fun_tINSB_14equal_to_valueIxEEEEEEE10hipError_tPvRmT3_T4_T5_T6_T7_T9_mT8_P12ihipStream_tbDpT10_ENKUlT_T0_E_clISt17integral_constantIbLb1EES1B_EEDaS16_S17_EUlS16_E_NS1_11comp_targetILNS1_3genE2ELNS1_11target_archE906ELNS1_3gpuE6ELNS1_3repE0EEENS1_30default_config_static_selectorELNS0_4arch9wavefront6targetE0EEEvT1_.num_vgpr, 0
	.set _ZN7rocprim17ROCPRIM_400000_NS6detail17trampoline_kernelINS0_14default_configENS1_25partition_config_selectorILNS1_17partition_subalgoE6ExNS0_10empty_typeEbEEZZNS1_14partition_implILS5_6ELb0ES3_mN6thrust23THRUST_200600_302600_NS6detail15normal_iteratorINSA_10device_ptrIxEEEEPS6_SG_NS0_5tupleIJNSA_16discard_iteratorINSA_11use_defaultEEES6_EEENSH_IJSG_SG_EEES6_PlJNSB_9not_fun_tINSB_14equal_to_valueIxEEEEEEE10hipError_tPvRmT3_T4_T5_T6_T7_T9_mT8_P12ihipStream_tbDpT10_ENKUlT_T0_E_clISt17integral_constantIbLb1EES1B_EEDaS16_S17_EUlS16_E_NS1_11comp_targetILNS1_3genE2ELNS1_11target_archE906ELNS1_3gpuE6ELNS1_3repE0EEENS1_30default_config_static_selectorELNS0_4arch9wavefront6targetE0EEEvT1_.num_agpr, 0
	.set _ZN7rocprim17ROCPRIM_400000_NS6detail17trampoline_kernelINS0_14default_configENS1_25partition_config_selectorILNS1_17partition_subalgoE6ExNS0_10empty_typeEbEEZZNS1_14partition_implILS5_6ELb0ES3_mN6thrust23THRUST_200600_302600_NS6detail15normal_iteratorINSA_10device_ptrIxEEEEPS6_SG_NS0_5tupleIJNSA_16discard_iteratorINSA_11use_defaultEEES6_EEENSH_IJSG_SG_EEES6_PlJNSB_9not_fun_tINSB_14equal_to_valueIxEEEEEEE10hipError_tPvRmT3_T4_T5_T6_T7_T9_mT8_P12ihipStream_tbDpT10_ENKUlT_T0_E_clISt17integral_constantIbLb1EES1B_EEDaS16_S17_EUlS16_E_NS1_11comp_targetILNS1_3genE2ELNS1_11target_archE906ELNS1_3gpuE6ELNS1_3repE0EEENS1_30default_config_static_selectorELNS0_4arch9wavefront6targetE0EEEvT1_.numbered_sgpr, 0
	.set _ZN7rocprim17ROCPRIM_400000_NS6detail17trampoline_kernelINS0_14default_configENS1_25partition_config_selectorILNS1_17partition_subalgoE6ExNS0_10empty_typeEbEEZZNS1_14partition_implILS5_6ELb0ES3_mN6thrust23THRUST_200600_302600_NS6detail15normal_iteratorINSA_10device_ptrIxEEEEPS6_SG_NS0_5tupleIJNSA_16discard_iteratorINSA_11use_defaultEEES6_EEENSH_IJSG_SG_EEES6_PlJNSB_9not_fun_tINSB_14equal_to_valueIxEEEEEEE10hipError_tPvRmT3_T4_T5_T6_T7_T9_mT8_P12ihipStream_tbDpT10_ENKUlT_T0_E_clISt17integral_constantIbLb1EES1B_EEDaS16_S17_EUlS16_E_NS1_11comp_targetILNS1_3genE2ELNS1_11target_archE906ELNS1_3gpuE6ELNS1_3repE0EEENS1_30default_config_static_selectorELNS0_4arch9wavefront6targetE0EEEvT1_.num_named_barrier, 0
	.set _ZN7rocprim17ROCPRIM_400000_NS6detail17trampoline_kernelINS0_14default_configENS1_25partition_config_selectorILNS1_17partition_subalgoE6ExNS0_10empty_typeEbEEZZNS1_14partition_implILS5_6ELb0ES3_mN6thrust23THRUST_200600_302600_NS6detail15normal_iteratorINSA_10device_ptrIxEEEEPS6_SG_NS0_5tupleIJNSA_16discard_iteratorINSA_11use_defaultEEES6_EEENSH_IJSG_SG_EEES6_PlJNSB_9not_fun_tINSB_14equal_to_valueIxEEEEEEE10hipError_tPvRmT3_T4_T5_T6_T7_T9_mT8_P12ihipStream_tbDpT10_ENKUlT_T0_E_clISt17integral_constantIbLb1EES1B_EEDaS16_S17_EUlS16_E_NS1_11comp_targetILNS1_3genE2ELNS1_11target_archE906ELNS1_3gpuE6ELNS1_3repE0EEENS1_30default_config_static_selectorELNS0_4arch9wavefront6targetE0EEEvT1_.private_seg_size, 0
	.set _ZN7rocprim17ROCPRIM_400000_NS6detail17trampoline_kernelINS0_14default_configENS1_25partition_config_selectorILNS1_17partition_subalgoE6ExNS0_10empty_typeEbEEZZNS1_14partition_implILS5_6ELb0ES3_mN6thrust23THRUST_200600_302600_NS6detail15normal_iteratorINSA_10device_ptrIxEEEEPS6_SG_NS0_5tupleIJNSA_16discard_iteratorINSA_11use_defaultEEES6_EEENSH_IJSG_SG_EEES6_PlJNSB_9not_fun_tINSB_14equal_to_valueIxEEEEEEE10hipError_tPvRmT3_T4_T5_T6_T7_T9_mT8_P12ihipStream_tbDpT10_ENKUlT_T0_E_clISt17integral_constantIbLb1EES1B_EEDaS16_S17_EUlS16_E_NS1_11comp_targetILNS1_3genE2ELNS1_11target_archE906ELNS1_3gpuE6ELNS1_3repE0EEENS1_30default_config_static_selectorELNS0_4arch9wavefront6targetE0EEEvT1_.uses_vcc, 0
	.set _ZN7rocprim17ROCPRIM_400000_NS6detail17trampoline_kernelINS0_14default_configENS1_25partition_config_selectorILNS1_17partition_subalgoE6ExNS0_10empty_typeEbEEZZNS1_14partition_implILS5_6ELb0ES3_mN6thrust23THRUST_200600_302600_NS6detail15normal_iteratorINSA_10device_ptrIxEEEEPS6_SG_NS0_5tupleIJNSA_16discard_iteratorINSA_11use_defaultEEES6_EEENSH_IJSG_SG_EEES6_PlJNSB_9not_fun_tINSB_14equal_to_valueIxEEEEEEE10hipError_tPvRmT3_T4_T5_T6_T7_T9_mT8_P12ihipStream_tbDpT10_ENKUlT_T0_E_clISt17integral_constantIbLb1EES1B_EEDaS16_S17_EUlS16_E_NS1_11comp_targetILNS1_3genE2ELNS1_11target_archE906ELNS1_3gpuE6ELNS1_3repE0EEENS1_30default_config_static_selectorELNS0_4arch9wavefront6targetE0EEEvT1_.uses_flat_scratch, 0
	.set _ZN7rocprim17ROCPRIM_400000_NS6detail17trampoline_kernelINS0_14default_configENS1_25partition_config_selectorILNS1_17partition_subalgoE6ExNS0_10empty_typeEbEEZZNS1_14partition_implILS5_6ELb0ES3_mN6thrust23THRUST_200600_302600_NS6detail15normal_iteratorINSA_10device_ptrIxEEEEPS6_SG_NS0_5tupleIJNSA_16discard_iteratorINSA_11use_defaultEEES6_EEENSH_IJSG_SG_EEES6_PlJNSB_9not_fun_tINSB_14equal_to_valueIxEEEEEEE10hipError_tPvRmT3_T4_T5_T6_T7_T9_mT8_P12ihipStream_tbDpT10_ENKUlT_T0_E_clISt17integral_constantIbLb1EES1B_EEDaS16_S17_EUlS16_E_NS1_11comp_targetILNS1_3genE2ELNS1_11target_archE906ELNS1_3gpuE6ELNS1_3repE0EEENS1_30default_config_static_selectorELNS0_4arch9wavefront6targetE0EEEvT1_.has_dyn_sized_stack, 0
	.set _ZN7rocprim17ROCPRIM_400000_NS6detail17trampoline_kernelINS0_14default_configENS1_25partition_config_selectorILNS1_17partition_subalgoE6ExNS0_10empty_typeEbEEZZNS1_14partition_implILS5_6ELb0ES3_mN6thrust23THRUST_200600_302600_NS6detail15normal_iteratorINSA_10device_ptrIxEEEEPS6_SG_NS0_5tupleIJNSA_16discard_iteratorINSA_11use_defaultEEES6_EEENSH_IJSG_SG_EEES6_PlJNSB_9not_fun_tINSB_14equal_to_valueIxEEEEEEE10hipError_tPvRmT3_T4_T5_T6_T7_T9_mT8_P12ihipStream_tbDpT10_ENKUlT_T0_E_clISt17integral_constantIbLb1EES1B_EEDaS16_S17_EUlS16_E_NS1_11comp_targetILNS1_3genE2ELNS1_11target_archE906ELNS1_3gpuE6ELNS1_3repE0EEENS1_30default_config_static_selectorELNS0_4arch9wavefront6targetE0EEEvT1_.has_recursion, 0
	.set _ZN7rocprim17ROCPRIM_400000_NS6detail17trampoline_kernelINS0_14default_configENS1_25partition_config_selectorILNS1_17partition_subalgoE6ExNS0_10empty_typeEbEEZZNS1_14partition_implILS5_6ELb0ES3_mN6thrust23THRUST_200600_302600_NS6detail15normal_iteratorINSA_10device_ptrIxEEEEPS6_SG_NS0_5tupleIJNSA_16discard_iteratorINSA_11use_defaultEEES6_EEENSH_IJSG_SG_EEES6_PlJNSB_9not_fun_tINSB_14equal_to_valueIxEEEEEEE10hipError_tPvRmT3_T4_T5_T6_T7_T9_mT8_P12ihipStream_tbDpT10_ENKUlT_T0_E_clISt17integral_constantIbLb1EES1B_EEDaS16_S17_EUlS16_E_NS1_11comp_targetILNS1_3genE2ELNS1_11target_archE906ELNS1_3gpuE6ELNS1_3repE0EEENS1_30default_config_static_selectorELNS0_4arch9wavefront6targetE0EEEvT1_.has_indirect_call, 0
	.section	.AMDGPU.csdata,"",@progbits
; Kernel info:
; codeLenInByte = 0
; TotalNumSgprs: 0
; NumVgprs: 0
; ScratchSize: 0
; MemoryBound: 0
; FloatMode: 240
; IeeeMode: 1
; LDSByteSize: 0 bytes/workgroup (compile time only)
; SGPRBlocks: 0
; VGPRBlocks: 0
; NumSGPRsForWavesPerEU: 1
; NumVGPRsForWavesPerEU: 1
; Occupancy: 16
; WaveLimiterHint : 0
; COMPUTE_PGM_RSRC2:SCRATCH_EN: 0
; COMPUTE_PGM_RSRC2:USER_SGPR: 2
; COMPUTE_PGM_RSRC2:TRAP_HANDLER: 0
; COMPUTE_PGM_RSRC2:TGID_X_EN: 1
; COMPUTE_PGM_RSRC2:TGID_Y_EN: 0
; COMPUTE_PGM_RSRC2:TGID_Z_EN: 0
; COMPUTE_PGM_RSRC2:TIDIG_COMP_CNT: 0
	.section	.text._ZN7rocprim17ROCPRIM_400000_NS6detail17trampoline_kernelINS0_14default_configENS1_25partition_config_selectorILNS1_17partition_subalgoE6ExNS0_10empty_typeEbEEZZNS1_14partition_implILS5_6ELb0ES3_mN6thrust23THRUST_200600_302600_NS6detail15normal_iteratorINSA_10device_ptrIxEEEEPS6_SG_NS0_5tupleIJNSA_16discard_iteratorINSA_11use_defaultEEES6_EEENSH_IJSG_SG_EEES6_PlJNSB_9not_fun_tINSB_14equal_to_valueIxEEEEEEE10hipError_tPvRmT3_T4_T5_T6_T7_T9_mT8_P12ihipStream_tbDpT10_ENKUlT_T0_E_clISt17integral_constantIbLb1EES1B_EEDaS16_S17_EUlS16_E_NS1_11comp_targetILNS1_3genE10ELNS1_11target_archE1200ELNS1_3gpuE4ELNS1_3repE0EEENS1_30default_config_static_selectorELNS0_4arch9wavefront6targetE0EEEvT1_,"axG",@progbits,_ZN7rocprim17ROCPRIM_400000_NS6detail17trampoline_kernelINS0_14default_configENS1_25partition_config_selectorILNS1_17partition_subalgoE6ExNS0_10empty_typeEbEEZZNS1_14partition_implILS5_6ELb0ES3_mN6thrust23THRUST_200600_302600_NS6detail15normal_iteratorINSA_10device_ptrIxEEEEPS6_SG_NS0_5tupleIJNSA_16discard_iteratorINSA_11use_defaultEEES6_EEENSH_IJSG_SG_EEES6_PlJNSB_9not_fun_tINSB_14equal_to_valueIxEEEEEEE10hipError_tPvRmT3_T4_T5_T6_T7_T9_mT8_P12ihipStream_tbDpT10_ENKUlT_T0_E_clISt17integral_constantIbLb1EES1B_EEDaS16_S17_EUlS16_E_NS1_11comp_targetILNS1_3genE10ELNS1_11target_archE1200ELNS1_3gpuE4ELNS1_3repE0EEENS1_30default_config_static_selectorELNS0_4arch9wavefront6targetE0EEEvT1_,comdat
	.protected	_ZN7rocprim17ROCPRIM_400000_NS6detail17trampoline_kernelINS0_14default_configENS1_25partition_config_selectorILNS1_17partition_subalgoE6ExNS0_10empty_typeEbEEZZNS1_14partition_implILS5_6ELb0ES3_mN6thrust23THRUST_200600_302600_NS6detail15normal_iteratorINSA_10device_ptrIxEEEEPS6_SG_NS0_5tupleIJNSA_16discard_iteratorINSA_11use_defaultEEES6_EEENSH_IJSG_SG_EEES6_PlJNSB_9not_fun_tINSB_14equal_to_valueIxEEEEEEE10hipError_tPvRmT3_T4_T5_T6_T7_T9_mT8_P12ihipStream_tbDpT10_ENKUlT_T0_E_clISt17integral_constantIbLb1EES1B_EEDaS16_S17_EUlS16_E_NS1_11comp_targetILNS1_3genE10ELNS1_11target_archE1200ELNS1_3gpuE4ELNS1_3repE0EEENS1_30default_config_static_selectorELNS0_4arch9wavefront6targetE0EEEvT1_ ; -- Begin function _ZN7rocprim17ROCPRIM_400000_NS6detail17trampoline_kernelINS0_14default_configENS1_25partition_config_selectorILNS1_17partition_subalgoE6ExNS0_10empty_typeEbEEZZNS1_14partition_implILS5_6ELb0ES3_mN6thrust23THRUST_200600_302600_NS6detail15normal_iteratorINSA_10device_ptrIxEEEEPS6_SG_NS0_5tupleIJNSA_16discard_iteratorINSA_11use_defaultEEES6_EEENSH_IJSG_SG_EEES6_PlJNSB_9not_fun_tINSB_14equal_to_valueIxEEEEEEE10hipError_tPvRmT3_T4_T5_T6_T7_T9_mT8_P12ihipStream_tbDpT10_ENKUlT_T0_E_clISt17integral_constantIbLb1EES1B_EEDaS16_S17_EUlS16_E_NS1_11comp_targetILNS1_3genE10ELNS1_11target_archE1200ELNS1_3gpuE4ELNS1_3repE0EEENS1_30default_config_static_selectorELNS0_4arch9wavefront6targetE0EEEvT1_
	.globl	_ZN7rocprim17ROCPRIM_400000_NS6detail17trampoline_kernelINS0_14default_configENS1_25partition_config_selectorILNS1_17partition_subalgoE6ExNS0_10empty_typeEbEEZZNS1_14partition_implILS5_6ELb0ES3_mN6thrust23THRUST_200600_302600_NS6detail15normal_iteratorINSA_10device_ptrIxEEEEPS6_SG_NS0_5tupleIJNSA_16discard_iteratorINSA_11use_defaultEEES6_EEENSH_IJSG_SG_EEES6_PlJNSB_9not_fun_tINSB_14equal_to_valueIxEEEEEEE10hipError_tPvRmT3_T4_T5_T6_T7_T9_mT8_P12ihipStream_tbDpT10_ENKUlT_T0_E_clISt17integral_constantIbLb1EES1B_EEDaS16_S17_EUlS16_E_NS1_11comp_targetILNS1_3genE10ELNS1_11target_archE1200ELNS1_3gpuE4ELNS1_3repE0EEENS1_30default_config_static_selectorELNS0_4arch9wavefront6targetE0EEEvT1_
	.p2align	8
	.type	_ZN7rocprim17ROCPRIM_400000_NS6detail17trampoline_kernelINS0_14default_configENS1_25partition_config_selectorILNS1_17partition_subalgoE6ExNS0_10empty_typeEbEEZZNS1_14partition_implILS5_6ELb0ES3_mN6thrust23THRUST_200600_302600_NS6detail15normal_iteratorINSA_10device_ptrIxEEEEPS6_SG_NS0_5tupleIJNSA_16discard_iteratorINSA_11use_defaultEEES6_EEENSH_IJSG_SG_EEES6_PlJNSB_9not_fun_tINSB_14equal_to_valueIxEEEEEEE10hipError_tPvRmT3_T4_T5_T6_T7_T9_mT8_P12ihipStream_tbDpT10_ENKUlT_T0_E_clISt17integral_constantIbLb1EES1B_EEDaS16_S17_EUlS16_E_NS1_11comp_targetILNS1_3genE10ELNS1_11target_archE1200ELNS1_3gpuE4ELNS1_3repE0EEENS1_30default_config_static_selectorELNS0_4arch9wavefront6targetE0EEEvT1_,@function
_ZN7rocprim17ROCPRIM_400000_NS6detail17trampoline_kernelINS0_14default_configENS1_25partition_config_selectorILNS1_17partition_subalgoE6ExNS0_10empty_typeEbEEZZNS1_14partition_implILS5_6ELb0ES3_mN6thrust23THRUST_200600_302600_NS6detail15normal_iteratorINSA_10device_ptrIxEEEEPS6_SG_NS0_5tupleIJNSA_16discard_iteratorINSA_11use_defaultEEES6_EEENSH_IJSG_SG_EEES6_PlJNSB_9not_fun_tINSB_14equal_to_valueIxEEEEEEE10hipError_tPvRmT3_T4_T5_T6_T7_T9_mT8_P12ihipStream_tbDpT10_ENKUlT_T0_E_clISt17integral_constantIbLb1EES1B_EEDaS16_S17_EUlS16_E_NS1_11comp_targetILNS1_3genE10ELNS1_11target_archE1200ELNS1_3gpuE4ELNS1_3repE0EEENS1_30default_config_static_selectorELNS0_4arch9wavefront6targetE0EEEvT1_: ; @_ZN7rocprim17ROCPRIM_400000_NS6detail17trampoline_kernelINS0_14default_configENS1_25partition_config_selectorILNS1_17partition_subalgoE6ExNS0_10empty_typeEbEEZZNS1_14partition_implILS5_6ELb0ES3_mN6thrust23THRUST_200600_302600_NS6detail15normal_iteratorINSA_10device_ptrIxEEEEPS6_SG_NS0_5tupleIJNSA_16discard_iteratorINSA_11use_defaultEEES6_EEENSH_IJSG_SG_EEES6_PlJNSB_9not_fun_tINSB_14equal_to_valueIxEEEEEEE10hipError_tPvRmT3_T4_T5_T6_T7_T9_mT8_P12ihipStream_tbDpT10_ENKUlT_T0_E_clISt17integral_constantIbLb1EES1B_EEDaS16_S17_EUlS16_E_NS1_11comp_targetILNS1_3genE10ELNS1_11target_archE1200ELNS1_3gpuE4ELNS1_3repE0EEENS1_30default_config_static_selectorELNS0_4arch9wavefront6targetE0EEEvT1_
; %bb.0:
	s_endpgm
	.section	.rodata,"a",@progbits
	.p2align	6, 0x0
	.amdhsa_kernel _ZN7rocprim17ROCPRIM_400000_NS6detail17trampoline_kernelINS0_14default_configENS1_25partition_config_selectorILNS1_17partition_subalgoE6ExNS0_10empty_typeEbEEZZNS1_14partition_implILS5_6ELb0ES3_mN6thrust23THRUST_200600_302600_NS6detail15normal_iteratorINSA_10device_ptrIxEEEEPS6_SG_NS0_5tupleIJNSA_16discard_iteratorINSA_11use_defaultEEES6_EEENSH_IJSG_SG_EEES6_PlJNSB_9not_fun_tINSB_14equal_to_valueIxEEEEEEE10hipError_tPvRmT3_T4_T5_T6_T7_T9_mT8_P12ihipStream_tbDpT10_ENKUlT_T0_E_clISt17integral_constantIbLb1EES1B_EEDaS16_S17_EUlS16_E_NS1_11comp_targetILNS1_3genE10ELNS1_11target_archE1200ELNS1_3gpuE4ELNS1_3repE0EEENS1_30default_config_static_selectorELNS0_4arch9wavefront6targetE0EEEvT1_
		.amdhsa_group_segment_fixed_size 0
		.amdhsa_private_segment_fixed_size 0
		.amdhsa_kernarg_size 136
		.amdhsa_user_sgpr_count 2
		.amdhsa_user_sgpr_dispatch_ptr 0
		.amdhsa_user_sgpr_queue_ptr 0
		.amdhsa_user_sgpr_kernarg_segment_ptr 1
		.amdhsa_user_sgpr_dispatch_id 0
		.amdhsa_user_sgpr_private_segment_size 0
		.amdhsa_wavefront_size32 1
		.amdhsa_uses_dynamic_stack 0
		.amdhsa_enable_private_segment 0
		.amdhsa_system_sgpr_workgroup_id_x 1
		.amdhsa_system_sgpr_workgroup_id_y 0
		.amdhsa_system_sgpr_workgroup_id_z 0
		.amdhsa_system_sgpr_workgroup_info 0
		.amdhsa_system_vgpr_workitem_id 0
		.amdhsa_next_free_vgpr 1
		.amdhsa_next_free_sgpr 1
		.amdhsa_reserve_vcc 0
		.amdhsa_float_round_mode_32 0
		.amdhsa_float_round_mode_16_64 0
		.amdhsa_float_denorm_mode_32 3
		.amdhsa_float_denorm_mode_16_64 3
		.amdhsa_fp16_overflow 0
		.amdhsa_workgroup_processor_mode 1
		.amdhsa_memory_ordered 1
		.amdhsa_forward_progress 1
		.amdhsa_inst_pref_size 1
		.amdhsa_round_robin_scheduling 0
		.amdhsa_exception_fp_ieee_invalid_op 0
		.amdhsa_exception_fp_denorm_src 0
		.amdhsa_exception_fp_ieee_div_zero 0
		.amdhsa_exception_fp_ieee_overflow 0
		.amdhsa_exception_fp_ieee_underflow 0
		.amdhsa_exception_fp_ieee_inexact 0
		.amdhsa_exception_int_div_zero 0
	.end_amdhsa_kernel
	.section	.text._ZN7rocprim17ROCPRIM_400000_NS6detail17trampoline_kernelINS0_14default_configENS1_25partition_config_selectorILNS1_17partition_subalgoE6ExNS0_10empty_typeEbEEZZNS1_14partition_implILS5_6ELb0ES3_mN6thrust23THRUST_200600_302600_NS6detail15normal_iteratorINSA_10device_ptrIxEEEEPS6_SG_NS0_5tupleIJNSA_16discard_iteratorINSA_11use_defaultEEES6_EEENSH_IJSG_SG_EEES6_PlJNSB_9not_fun_tINSB_14equal_to_valueIxEEEEEEE10hipError_tPvRmT3_T4_T5_T6_T7_T9_mT8_P12ihipStream_tbDpT10_ENKUlT_T0_E_clISt17integral_constantIbLb1EES1B_EEDaS16_S17_EUlS16_E_NS1_11comp_targetILNS1_3genE10ELNS1_11target_archE1200ELNS1_3gpuE4ELNS1_3repE0EEENS1_30default_config_static_selectorELNS0_4arch9wavefront6targetE0EEEvT1_,"axG",@progbits,_ZN7rocprim17ROCPRIM_400000_NS6detail17trampoline_kernelINS0_14default_configENS1_25partition_config_selectorILNS1_17partition_subalgoE6ExNS0_10empty_typeEbEEZZNS1_14partition_implILS5_6ELb0ES3_mN6thrust23THRUST_200600_302600_NS6detail15normal_iteratorINSA_10device_ptrIxEEEEPS6_SG_NS0_5tupleIJNSA_16discard_iteratorINSA_11use_defaultEEES6_EEENSH_IJSG_SG_EEES6_PlJNSB_9not_fun_tINSB_14equal_to_valueIxEEEEEEE10hipError_tPvRmT3_T4_T5_T6_T7_T9_mT8_P12ihipStream_tbDpT10_ENKUlT_T0_E_clISt17integral_constantIbLb1EES1B_EEDaS16_S17_EUlS16_E_NS1_11comp_targetILNS1_3genE10ELNS1_11target_archE1200ELNS1_3gpuE4ELNS1_3repE0EEENS1_30default_config_static_selectorELNS0_4arch9wavefront6targetE0EEEvT1_,comdat
.Lfunc_end1738:
	.size	_ZN7rocprim17ROCPRIM_400000_NS6detail17trampoline_kernelINS0_14default_configENS1_25partition_config_selectorILNS1_17partition_subalgoE6ExNS0_10empty_typeEbEEZZNS1_14partition_implILS5_6ELb0ES3_mN6thrust23THRUST_200600_302600_NS6detail15normal_iteratorINSA_10device_ptrIxEEEEPS6_SG_NS0_5tupleIJNSA_16discard_iteratorINSA_11use_defaultEEES6_EEENSH_IJSG_SG_EEES6_PlJNSB_9not_fun_tINSB_14equal_to_valueIxEEEEEEE10hipError_tPvRmT3_T4_T5_T6_T7_T9_mT8_P12ihipStream_tbDpT10_ENKUlT_T0_E_clISt17integral_constantIbLb1EES1B_EEDaS16_S17_EUlS16_E_NS1_11comp_targetILNS1_3genE10ELNS1_11target_archE1200ELNS1_3gpuE4ELNS1_3repE0EEENS1_30default_config_static_selectorELNS0_4arch9wavefront6targetE0EEEvT1_, .Lfunc_end1738-_ZN7rocprim17ROCPRIM_400000_NS6detail17trampoline_kernelINS0_14default_configENS1_25partition_config_selectorILNS1_17partition_subalgoE6ExNS0_10empty_typeEbEEZZNS1_14partition_implILS5_6ELb0ES3_mN6thrust23THRUST_200600_302600_NS6detail15normal_iteratorINSA_10device_ptrIxEEEEPS6_SG_NS0_5tupleIJNSA_16discard_iteratorINSA_11use_defaultEEES6_EEENSH_IJSG_SG_EEES6_PlJNSB_9not_fun_tINSB_14equal_to_valueIxEEEEEEE10hipError_tPvRmT3_T4_T5_T6_T7_T9_mT8_P12ihipStream_tbDpT10_ENKUlT_T0_E_clISt17integral_constantIbLb1EES1B_EEDaS16_S17_EUlS16_E_NS1_11comp_targetILNS1_3genE10ELNS1_11target_archE1200ELNS1_3gpuE4ELNS1_3repE0EEENS1_30default_config_static_selectorELNS0_4arch9wavefront6targetE0EEEvT1_
                                        ; -- End function
	.set _ZN7rocprim17ROCPRIM_400000_NS6detail17trampoline_kernelINS0_14default_configENS1_25partition_config_selectorILNS1_17partition_subalgoE6ExNS0_10empty_typeEbEEZZNS1_14partition_implILS5_6ELb0ES3_mN6thrust23THRUST_200600_302600_NS6detail15normal_iteratorINSA_10device_ptrIxEEEEPS6_SG_NS0_5tupleIJNSA_16discard_iteratorINSA_11use_defaultEEES6_EEENSH_IJSG_SG_EEES6_PlJNSB_9not_fun_tINSB_14equal_to_valueIxEEEEEEE10hipError_tPvRmT3_T4_T5_T6_T7_T9_mT8_P12ihipStream_tbDpT10_ENKUlT_T0_E_clISt17integral_constantIbLb1EES1B_EEDaS16_S17_EUlS16_E_NS1_11comp_targetILNS1_3genE10ELNS1_11target_archE1200ELNS1_3gpuE4ELNS1_3repE0EEENS1_30default_config_static_selectorELNS0_4arch9wavefront6targetE0EEEvT1_.num_vgpr, 0
	.set _ZN7rocprim17ROCPRIM_400000_NS6detail17trampoline_kernelINS0_14default_configENS1_25partition_config_selectorILNS1_17partition_subalgoE6ExNS0_10empty_typeEbEEZZNS1_14partition_implILS5_6ELb0ES3_mN6thrust23THRUST_200600_302600_NS6detail15normal_iteratorINSA_10device_ptrIxEEEEPS6_SG_NS0_5tupleIJNSA_16discard_iteratorINSA_11use_defaultEEES6_EEENSH_IJSG_SG_EEES6_PlJNSB_9not_fun_tINSB_14equal_to_valueIxEEEEEEE10hipError_tPvRmT3_T4_T5_T6_T7_T9_mT8_P12ihipStream_tbDpT10_ENKUlT_T0_E_clISt17integral_constantIbLb1EES1B_EEDaS16_S17_EUlS16_E_NS1_11comp_targetILNS1_3genE10ELNS1_11target_archE1200ELNS1_3gpuE4ELNS1_3repE0EEENS1_30default_config_static_selectorELNS0_4arch9wavefront6targetE0EEEvT1_.num_agpr, 0
	.set _ZN7rocprim17ROCPRIM_400000_NS6detail17trampoline_kernelINS0_14default_configENS1_25partition_config_selectorILNS1_17partition_subalgoE6ExNS0_10empty_typeEbEEZZNS1_14partition_implILS5_6ELb0ES3_mN6thrust23THRUST_200600_302600_NS6detail15normal_iteratorINSA_10device_ptrIxEEEEPS6_SG_NS0_5tupleIJNSA_16discard_iteratorINSA_11use_defaultEEES6_EEENSH_IJSG_SG_EEES6_PlJNSB_9not_fun_tINSB_14equal_to_valueIxEEEEEEE10hipError_tPvRmT3_T4_T5_T6_T7_T9_mT8_P12ihipStream_tbDpT10_ENKUlT_T0_E_clISt17integral_constantIbLb1EES1B_EEDaS16_S17_EUlS16_E_NS1_11comp_targetILNS1_3genE10ELNS1_11target_archE1200ELNS1_3gpuE4ELNS1_3repE0EEENS1_30default_config_static_selectorELNS0_4arch9wavefront6targetE0EEEvT1_.numbered_sgpr, 0
	.set _ZN7rocprim17ROCPRIM_400000_NS6detail17trampoline_kernelINS0_14default_configENS1_25partition_config_selectorILNS1_17partition_subalgoE6ExNS0_10empty_typeEbEEZZNS1_14partition_implILS5_6ELb0ES3_mN6thrust23THRUST_200600_302600_NS6detail15normal_iteratorINSA_10device_ptrIxEEEEPS6_SG_NS0_5tupleIJNSA_16discard_iteratorINSA_11use_defaultEEES6_EEENSH_IJSG_SG_EEES6_PlJNSB_9not_fun_tINSB_14equal_to_valueIxEEEEEEE10hipError_tPvRmT3_T4_T5_T6_T7_T9_mT8_P12ihipStream_tbDpT10_ENKUlT_T0_E_clISt17integral_constantIbLb1EES1B_EEDaS16_S17_EUlS16_E_NS1_11comp_targetILNS1_3genE10ELNS1_11target_archE1200ELNS1_3gpuE4ELNS1_3repE0EEENS1_30default_config_static_selectorELNS0_4arch9wavefront6targetE0EEEvT1_.num_named_barrier, 0
	.set _ZN7rocprim17ROCPRIM_400000_NS6detail17trampoline_kernelINS0_14default_configENS1_25partition_config_selectorILNS1_17partition_subalgoE6ExNS0_10empty_typeEbEEZZNS1_14partition_implILS5_6ELb0ES3_mN6thrust23THRUST_200600_302600_NS6detail15normal_iteratorINSA_10device_ptrIxEEEEPS6_SG_NS0_5tupleIJNSA_16discard_iteratorINSA_11use_defaultEEES6_EEENSH_IJSG_SG_EEES6_PlJNSB_9not_fun_tINSB_14equal_to_valueIxEEEEEEE10hipError_tPvRmT3_T4_T5_T6_T7_T9_mT8_P12ihipStream_tbDpT10_ENKUlT_T0_E_clISt17integral_constantIbLb1EES1B_EEDaS16_S17_EUlS16_E_NS1_11comp_targetILNS1_3genE10ELNS1_11target_archE1200ELNS1_3gpuE4ELNS1_3repE0EEENS1_30default_config_static_selectorELNS0_4arch9wavefront6targetE0EEEvT1_.private_seg_size, 0
	.set _ZN7rocprim17ROCPRIM_400000_NS6detail17trampoline_kernelINS0_14default_configENS1_25partition_config_selectorILNS1_17partition_subalgoE6ExNS0_10empty_typeEbEEZZNS1_14partition_implILS5_6ELb0ES3_mN6thrust23THRUST_200600_302600_NS6detail15normal_iteratorINSA_10device_ptrIxEEEEPS6_SG_NS0_5tupleIJNSA_16discard_iteratorINSA_11use_defaultEEES6_EEENSH_IJSG_SG_EEES6_PlJNSB_9not_fun_tINSB_14equal_to_valueIxEEEEEEE10hipError_tPvRmT3_T4_T5_T6_T7_T9_mT8_P12ihipStream_tbDpT10_ENKUlT_T0_E_clISt17integral_constantIbLb1EES1B_EEDaS16_S17_EUlS16_E_NS1_11comp_targetILNS1_3genE10ELNS1_11target_archE1200ELNS1_3gpuE4ELNS1_3repE0EEENS1_30default_config_static_selectorELNS0_4arch9wavefront6targetE0EEEvT1_.uses_vcc, 0
	.set _ZN7rocprim17ROCPRIM_400000_NS6detail17trampoline_kernelINS0_14default_configENS1_25partition_config_selectorILNS1_17partition_subalgoE6ExNS0_10empty_typeEbEEZZNS1_14partition_implILS5_6ELb0ES3_mN6thrust23THRUST_200600_302600_NS6detail15normal_iteratorINSA_10device_ptrIxEEEEPS6_SG_NS0_5tupleIJNSA_16discard_iteratorINSA_11use_defaultEEES6_EEENSH_IJSG_SG_EEES6_PlJNSB_9not_fun_tINSB_14equal_to_valueIxEEEEEEE10hipError_tPvRmT3_T4_T5_T6_T7_T9_mT8_P12ihipStream_tbDpT10_ENKUlT_T0_E_clISt17integral_constantIbLb1EES1B_EEDaS16_S17_EUlS16_E_NS1_11comp_targetILNS1_3genE10ELNS1_11target_archE1200ELNS1_3gpuE4ELNS1_3repE0EEENS1_30default_config_static_selectorELNS0_4arch9wavefront6targetE0EEEvT1_.uses_flat_scratch, 0
	.set _ZN7rocprim17ROCPRIM_400000_NS6detail17trampoline_kernelINS0_14default_configENS1_25partition_config_selectorILNS1_17partition_subalgoE6ExNS0_10empty_typeEbEEZZNS1_14partition_implILS5_6ELb0ES3_mN6thrust23THRUST_200600_302600_NS6detail15normal_iteratorINSA_10device_ptrIxEEEEPS6_SG_NS0_5tupleIJNSA_16discard_iteratorINSA_11use_defaultEEES6_EEENSH_IJSG_SG_EEES6_PlJNSB_9not_fun_tINSB_14equal_to_valueIxEEEEEEE10hipError_tPvRmT3_T4_T5_T6_T7_T9_mT8_P12ihipStream_tbDpT10_ENKUlT_T0_E_clISt17integral_constantIbLb1EES1B_EEDaS16_S17_EUlS16_E_NS1_11comp_targetILNS1_3genE10ELNS1_11target_archE1200ELNS1_3gpuE4ELNS1_3repE0EEENS1_30default_config_static_selectorELNS0_4arch9wavefront6targetE0EEEvT1_.has_dyn_sized_stack, 0
	.set _ZN7rocprim17ROCPRIM_400000_NS6detail17trampoline_kernelINS0_14default_configENS1_25partition_config_selectorILNS1_17partition_subalgoE6ExNS0_10empty_typeEbEEZZNS1_14partition_implILS5_6ELb0ES3_mN6thrust23THRUST_200600_302600_NS6detail15normal_iteratorINSA_10device_ptrIxEEEEPS6_SG_NS0_5tupleIJNSA_16discard_iteratorINSA_11use_defaultEEES6_EEENSH_IJSG_SG_EEES6_PlJNSB_9not_fun_tINSB_14equal_to_valueIxEEEEEEE10hipError_tPvRmT3_T4_T5_T6_T7_T9_mT8_P12ihipStream_tbDpT10_ENKUlT_T0_E_clISt17integral_constantIbLb1EES1B_EEDaS16_S17_EUlS16_E_NS1_11comp_targetILNS1_3genE10ELNS1_11target_archE1200ELNS1_3gpuE4ELNS1_3repE0EEENS1_30default_config_static_selectorELNS0_4arch9wavefront6targetE0EEEvT1_.has_recursion, 0
	.set _ZN7rocprim17ROCPRIM_400000_NS6detail17trampoline_kernelINS0_14default_configENS1_25partition_config_selectorILNS1_17partition_subalgoE6ExNS0_10empty_typeEbEEZZNS1_14partition_implILS5_6ELb0ES3_mN6thrust23THRUST_200600_302600_NS6detail15normal_iteratorINSA_10device_ptrIxEEEEPS6_SG_NS0_5tupleIJNSA_16discard_iteratorINSA_11use_defaultEEES6_EEENSH_IJSG_SG_EEES6_PlJNSB_9not_fun_tINSB_14equal_to_valueIxEEEEEEE10hipError_tPvRmT3_T4_T5_T6_T7_T9_mT8_P12ihipStream_tbDpT10_ENKUlT_T0_E_clISt17integral_constantIbLb1EES1B_EEDaS16_S17_EUlS16_E_NS1_11comp_targetILNS1_3genE10ELNS1_11target_archE1200ELNS1_3gpuE4ELNS1_3repE0EEENS1_30default_config_static_selectorELNS0_4arch9wavefront6targetE0EEEvT1_.has_indirect_call, 0
	.section	.AMDGPU.csdata,"",@progbits
; Kernel info:
; codeLenInByte = 4
; TotalNumSgprs: 0
; NumVgprs: 0
; ScratchSize: 0
; MemoryBound: 0
; FloatMode: 240
; IeeeMode: 1
; LDSByteSize: 0 bytes/workgroup (compile time only)
; SGPRBlocks: 0
; VGPRBlocks: 0
; NumSGPRsForWavesPerEU: 1
; NumVGPRsForWavesPerEU: 1
; Occupancy: 16
; WaveLimiterHint : 0
; COMPUTE_PGM_RSRC2:SCRATCH_EN: 0
; COMPUTE_PGM_RSRC2:USER_SGPR: 2
; COMPUTE_PGM_RSRC2:TRAP_HANDLER: 0
; COMPUTE_PGM_RSRC2:TGID_X_EN: 1
; COMPUTE_PGM_RSRC2:TGID_Y_EN: 0
; COMPUTE_PGM_RSRC2:TGID_Z_EN: 0
; COMPUTE_PGM_RSRC2:TIDIG_COMP_CNT: 0
	.section	.text._ZN7rocprim17ROCPRIM_400000_NS6detail17trampoline_kernelINS0_14default_configENS1_25partition_config_selectorILNS1_17partition_subalgoE6ExNS0_10empty_typeEbEEZZNS1_14partition_implILS5_6ELb0ES3_mN6thrust23THRUST_200600_302600_NS6detail15normal_iteratorINSA_10device_ptrIxEEEEPS6_SG_NS0_5tupleIJNSA_16discard_iteratorINSA_11use_defaultEEES6_EEENSH_IJSG_SG_EEES6_PlJNSB_9not_fun_tINSB_14equal_to_valueIxEEEEEEE10hipError_tPvRmT3_T4_T5_T6_T7_T9_mT8_P12ihipStream_tbDpT10_ENKUlT_T0_E_clISt17integral_constantIbLb1EES1B_EEDaS16_S17_EUlS16_E_NS1_11comp_targetILNS1_3genE9ELNS1_11target_archE1100ELNS1_3gpuE3ELNS1_3repE0EEENS1_30default_config_static_selectorELNS0_4arch9wavefront6targetE0EEEvT1_,"axG",@progbits,_ZN7rocprim17ROCPRIM_400000_NS6detail17trampoline_kernelINS0_14default_configENS1_25partition_config_selectorILNS1_17partition_subalgoE6ExNS0_10empty_typeEbEEZZNS1_14partition_implILS5_6ELb0ES3_mN6thrust23THRUST_200600_302600_NS6detail15normal_iteratorINSA_10device_ptrIxEEEEPS6_SG_NS0_5tupleIJNSA_16discard_iteratorINSA_11use_defaultEEES6_EEENSH_IJSG_SG_EEES6_PlJNSB_9not_fun_tINSB_14equal_to_valueIxEEEEEEE10hipError_tPvRmT3_T4_T5_T6_T7_T9_mT8_P12ihipStream_tbDpT10_ENKUlT_T0_E_clISt17integral_constantIbLb1EES1B_EEDaS16_S17_EUlS16_E_NS1_11comp_targetILNS1_3genE9ELNS1_11target_archE1100ELNS1_3gpuE3ELNS1_3repE0EEENS1_30default_config_static_selectorELNS0_4arch9wavefront6targetE0EEEvT1_,comdat
	.protected	_ZN7rocprim17ROCPRIM_400000_NS6detail17trampoline_kernelINS0_14default_configENS1_25partition_config_selectorILNS1_17partition_subalgoE6ExNS0_10empty_typeEbEEZZNS1_14partition_implILS5_6ELb0ES3_mN6thrust23THRUST_200600_302600_NS6detail15normal_iteratorINSA_10device_ptrIxEEEEPS6_SG_NS0_5tupleIJNSA_16discard_iteratorINSA_11use_defaultEEES6_EEENSH_IJSG_SG_EEES6_PlJNSB_9not_fun_tINSB_14equal_to_valueIxEEEEEEE10hipError_tPvRmT3_T4_T5_T6_T7_T9_mT8_P12ihipStream_tbDpT10_ENKUlT_T0_E_clISt17integral_constantIbLb1EES1B_EEDaS16_S17_EUlS16_E_NS1_11comp_targetILNS1_3genE9ELNS1_11target_archE1100ELNS1_3gpuE3ELNS1_3repE0EEENS1_30default_config_static_selectorELNS0_4arch9wavefront6targetE0EEEvT1_ ; -- Begin function _ZN7rocprim17ROCPRIM_400000_NS6detail17trampoline_kernelINS0_14default_configENS1_25partition_config_selectorILNS1_17partition_subalgoE6ExNS0_10empty_typeEbEEZZNS1_14partition_implILS5_6ELb0ES3_mN6thrust23THRUST_200600_302600_NS6detail15normal_iteratorINSA_10device_ptrIxEEEEPS6_SG_NS0_5tupleIJNSA_16discard_iteratorINSA_11use_defaultEEES6_EEENSH_IJSG_SG_EEES6_PlJNSB_9not_fun_tINSB_14equal_to_valueIxEEEEEEE10hipError_tPvRmT3_T4_T5_T6_T7_T9_mT8_P12ihipStream_tbDpT10_ENKUlT_T0_E_clISt17integral_constantIbLb1EES1B_EEDaS16_S17_EUlS16_E_NS1_11comp_targetILNS1_3genE9ELNS1_11target_archE1100ELNS1_3gpuE3ELNS1_3repE0EEENS1_30default_config_static_selectorELNS0_4arch9wavefront6targetE0EEEvT1_
	.globl	_ZN7rocprim17ROCPRIM_400000_NS6detail17trampoline_kernelINS0_14default_configENS1_25partition_config_selectorILNS1_17partition_subalgoE6ExNS0_10empty_typeEbEEZZNS1_14partition_implILS5_6ELb0ES3_mN6thrust23THRUST_200600_302600_NS6detail15normal_iteratorINSA_10device_ptrIxEEEEPS6_SG_NS0_5tupleIJNSA_16discard_iteratorINSA_11use_defaultEEES6_EEENSH_IJSG_SG_EEES6_PlJNSB_9not_fun_tINSB_14equal_to_valueIxEEEEEEE10hipError_tPvRmT3_T4_T5_T6_T7_T9_mT8_P12ihipStream_tbDpT10_ENKUlT_T0_E_clISt17integral_constantIbLb1EES1B_EEDaS16_S17_EUlS16_E_NS1_11comp_targetILNS1_3genE9ELNS1_11target_archE1100ELNS1_3gpuE3ELNS1_3repE0EEENS1_30default_config_static_selectorELNS0_4arch9wavefront6targetE0EEEvT1_
	.p2align	8
	.type	_ZN7rocprim17ROCPRIM_400000_NS6detail17trampoline_kernelINS0_14default_configENS1_25partition_config_selectorILNS1_17partition_subalgoE6ExNS0_10empty_typeEbEEZZNS1_14partition_implILS5_6ELb0ES3_mN6thrust23THRUST_200600_302600_NS6detail15normal_iteratorINSA_10device_ptrIxEEEEPS6_SG_NS0_5tupleIJNSA_16discard_iteratorINSA_11use_defaultEEES6_EEENSH_IJSG_SG_EEES6_PlJNSB_9not_fun_tINSB_14equal_to_valueIxEEEEEEE10hipError_tPvRmT3_T4_T5_T6_T7_T9_mT8_P12ihipStream_tbDpT10_ENKUlT_T0_E_clISt17integral_constantIbLb1EES1B_EEDaS16_S17_EUlS16_E_NS1_11comp_targetILNS1_3genE9ELNS1_11target_archE1100ELNS1_3gpuE3ELNS1_3repE0EEENS1_30default_config_static_selectorELNS0_4arch9wavefront6targetE0EEEvT1_,@function
_ZN7rocprim17ROCPRIM_400000_NS6detail17trampoline_kernelINS0_14default_configENS1_25partition_config_selectorILNS1_17partition_subalgoE6ExNS0_10empty_typeEbEEZZNS1_14partition_implILS5_6ELb0ES3_mN6thrust23THRUST_200600_302600_NS6detail15normal_iteratorINSA_10device_ptrIxEEEEPS6_SG_NS0_5tupleIJNSA_16discard_iteratorINSA_11use_defaultEEES6_EEENSH_IJSG_SG_EEES6_PlJNSB_9not_fun_tINSB_14equal_to_valueIxEEEEEEE10hipError_tPvRmT3_T4_T5_T6_T7_T9_mT8_P12ihipStream_tbDpT10_ENKUlT_T0_E_clISt17integral_constantIbLb1EES1B_EEDaS16_S17_EUlS16_E_NS1_11comp_targetILNS1_3genE9ELNS1_11target_archE1100ELNS1_3gpuE3ELNS1_3repE0EEENS1_30default_config_static_selectorELNS0_4arch9wavefront6targetE0EEEvT1_: ; @_ZN7rocprim17ROCPRIM_400000_NS6detail17trampoline_kernelINS0_14default_configENS1_25partition_config_selectorILNS1_17partition_subalgoE6ExNS0_10empty_typeEbEEZZNS1_14partition_implILS5_6ELb0ES3_mN6thrust23THRUST_200600_302600_NS6detail15normal_iteratorINSA_10device_ptrIxEEEEPS6_SG_NS0_5tupleIJNSA_16discard_iteratorINSA_11use_defaultEEES6_EEENSH_IJSG_SG_EEES6_PlJNSB_9not_fun_tINSB_14equal_to_valueIxEEEEEEE10hipError_tPvRmT3_T4_T5_T6_T7_T9_mT8_P12ihipStream_tbDpT10_ENKUlT_T0_E_clISt17integral_constantIbLb1EES1B_EEDaS16_S17_EUlS16_E_NS1_11comp_targetILNS1_3genE9ELNS1_11target_archE1100ELNS1_3gpuE3ELNS1_3repE0EEENS1_30default_config_static_selectorELNS0_4arch9wavefront6targetE0EEEvT1_
; %bb.0:
	.section	.rodata,"a",@progbits
	.p2align	6, 0x0
	.amdhsa_kernel _ZN7rocprim17ROCPRIM_400000_NS6detail17trampoline_kernelINS0_14default_configENS1_25partition_config_selectorILNS1_17partition_subalgoE6ExNS0_10empty_typeEbEEZZNS1_14partition_implILS5_6ELb0ES3_mN6thrust23THRUST_200600_302600_NS6detail15normal_iteratorINSA_10device_ptrIxEEEEPS6_SG_NS0_5tupleIJNSA_16discard_iteratorINSA_11use_defaultEEES6_EEENSH_IJSG_SG_EEES6_PlJNSB_9not_fun_tINSB_14equal_to_valueIxEEEEEEE10hipError_tPvRmT3_T4_T5_T6_T7_T9_mT8_P12ihipStream_tbDpT10_ENKUlT_T0_E_clISt17integral_constantIbLb1EES1B_EEDaS16_S17_EUlS16_E_NS1_11comp_targetILNS1_3genE9ELNS1_11target_archE1100ELNS1_3gpuE3ELNS1_3repE0EEENS1_30default_config_static_selectorELNS0_4arch9wavefront6targetE0EEEvT1_
		.amdhsa_group_segment_fixed_size 0
		.amdhsa_private_segment_fixed_size 0
		.amdhsa_kernarg_size 136
		.amdhsa_user_sgpr_count 2
		.amdhsa_user_sgpr_dispatch_ptr 0
		.amdhsa_user_sgpr_queue_ptr 0
		.amdhsa_user_sgpr_kernarg_segment_ptr 1
		.amdhsa_user_sgpr_dispatch_id 0
		.amdhsa_user_sgpr_private_segment_size 0
		.amdhsa_wavefront_size32 1
		.amdhsa_uses_dynamic_stack 0
		.amdhsa_enable_private_segment 0
		.amdhsa_system_sgpr_workgroup_id_x 1
		.amdhsa_system_sgpr_workgroup_id_y 0
		.amdhsa_system_sgpr_workgroup_id_z 0
		.amdhsa_system_sgpr_workgroup_info 0
		.amdhsa_system_vgpr_workitem_id 0
		.amdhsa_next_free_vgpr 1
		.amdhsa_next_free_sgpr 1
		.amdhsa_reserve_vcc 0
		.amdhsa_float_round_mode_32 0
		.amdhsa_float_round_mode_16_64 0
		.amdhsa_float_denorm_mode_32 3
		.amdhsa_float_denorm_mode_16_64 3
		.amdhsa_fp16_overflow 0
		.amdhsa_workgroup_processor_mode 1
		.amdhsa_memory_ordered 1
		.amdhsa_forward_progress 1
		.amdhsa_inst_pref_size 0
		.amdhsa_round_robin_scheduling 0
		.amdhsa_exception_fp_ieee_invalid_op 0
		.amdhsa_exception_fp_denorm_src 0
		.amdhsa_exception_fp_ieee_div_zero 0
		.amdhsa_exception_fp_ieee_overflow 0
		.amdhsa_exception_fp_ieee_underflow 0
		.amdhsa_exception_fp_ieee_inexact 0
		.amdhsa_exception_int_div_zero 0
	.end_amdhsa_kernel
	.section	.text._ZN7rocprim17ROCPRIM_400000_NS6detail17trampoline_kernelINS0_14default_configENS1_25partition_config_selectorILNS1_17partition_subalgoE6ExNS0_10empty_typeEbEEZZNS1_14partition_implILS5_6ELb0ES3_mN6thrust23THRUST_200600_302600_NS6detail15normal_iteratorINSA_10device_ptrIxEEEEPS6_SG_NS0_5tupleIJNSA_16discard_iteratorINSA_11use_defaultEEES6_EEENSH_IJSG_SG_EEES6_PlJNSB_9not_fun_tINSB_14equal_to_valueIxEEEEEEE10hipError_tPvRmT3_T4_T5_T6_T7_T9_mT8_P12ihipStream_tbDpT10_ENKUlT_T0_E_clISt17integral_constantIbLb1EES1B_EEDaS16_S17_EUlS16_E_NS1_11comp_targetILNS1_3genE9ELNS1_11target_archE1100ELNS1_3gpuE3ELNS1_3repE0EEENS1_30default_config_static_selectorELNS0_4arch9wavefront6targetE0EEEvT1_,"axG",@progbits,_ZN7rocprim17ROCPRIM_400000_NS6detail17trampoline_kernelINS0_14default_configENS1_25partition_config_selectorILNS1_17partition_subalgoE6ExNS0_10empty_typeEbEEZZNS1_14partition_implILS5_6ELb0ES3_mN6thrust23THRUST_200600_302600_NS6detail15normal_iteratorINSA_10device_ptrIxEEEEPS6_SG_NS0_5tupleIJNSA_16discard_iteratorINSA_11use_defaultEEES6_EEENSH_IJSG_SG_EEES6_PlJNSB_9not_fun_tINSB_14equal_to_valueIxEEEEEEE10hipError_tPvRmT3_T4_T5_T6_T7_T9_mT8_P12ihipStream_tbDpT10_ENKUlT_T0_E_clISt17integral_constantIbLb1EES1B_EEDaS16_S17_EUlS16_E_NS1_11comp_targetILNS1_3genE9ELNS1_11target_archE1100ELNS1_3gpuE3ELNS1_3repE0EEENS1_30default_config_static_selectorELNS0_4arch9wavefront6targetE0EEEvT1_,comdat
.Lfunc_end1739:
	.size	_ZN7rocprim17ROCPRIM_400000_NS6detail17trampoline_kernelINS0_14default_configENS1_25partition_config_selectorILNS1_17partition_subalgoE6ExNS0_10empty_typeEbEEZZNS1_14partition_implILS5_6ELb0ES3_mN6thrust23THRUST_200600_302600_NS6detail15normal_iteratorINSA_10device_ptrIxEEEEPS6_SG_NS0_5tupleIJNSA_16discard_iteratorINSA_11use_defaultEEES6_EEENSH_IJSG_SG_EEES6_PlJNSB_9not_fun_tINSB_14equal_to_valueIxEEEEEEE10hipError_tPvRmT3_T4_T5_T6_T7_T9_mT8_P12ihipStream_tbDpT10_ENKUlT_T0_E_clISt17integral_constantIbLb1EES1B_EEDaS16_S17_EUlS16_E_NS1_11comp_targetILNS1_3genE9ELNS1_11target_archE1100ELNS1_3gpuE3ELNS1_3repE0EEENS1_30default_config_static_selectorELNS0_4arch9wavefront6targetE0EEEvT1_, .Lfunc_end1739-_ZN7rocprim17ROCPRIM_400000_NS6detail17trampoline_kernelINS0_14default_configENS1_25partition_config_selectorILNS1_17partition_subalgoE6ExNS0_10empty_typeEbEEZZNS1_14partition_implILS5_6ELb0ES3_mN6thrust23THRUST_200600_302600_NS6detail15normal_iteratorINSA_10device_ptrIxEEEEPS6_SG_NS0_5tupleIJNSA_16discard_iteratorINSA_11use_defaultEEES6_EEENSH_IJSG_SG_EEES6_PlJNSB_9not_fun_tINSB_14equal_to_valueIxEEEEEEE10hipError_tPvRmT3_T4_T5_T6_T7_T9_mT8_P12ihipStream_tbDpT10_ENKUlT_T0_E_clISt17integral_constantIbLb1EES1B_EEDaS16_S17_EUlS16_E_NS1_11comp_targetILNS1_3genE9ELNS1_11target_archE1100ELNS1_3gpuE3ELNS1_3repE0EEENS1_30default_config_static_selectorELNS0_4arch9wavefront6targetE0EEEvT1_
                                        ; -- End function
	.set _ZN7rocprim17ROCPRIM_400000_NS6detail17trampoline_kernelINS0_14default_configENS1_25partition_config_selectorILNS1_17partition_subalgoE6ExNS0_10empty_typeEbEEZZNS1_14partition_implILS5_6ELb0ES3_mN6thrust23THRUST_200600_302600_NS6detail15normal_iteratorINSA_10device_ptrIxEEEEPS6_SG_NS0_5tupleIJNSA_16discard_iteratorINSA_11use_defaultEEES6_EEENSH_IJSG_SG_EEES6_PlJNSB_9not_fun_tINSB_14equal_to_valueIxEEEEEEE10hipError_tPvRmT3_T4_T5_T6_T7_T9_mT8_P12ihipStream_tbDpT10_ENKUlT_T0_E_clISt17integral_constantIbLb1EES1B_EEDaS16_S17_EUlS16_E_NS1_11comp_targetILNS1_3genE9ELNS1_11target_archE1100ELNS1_3gpuE3ELNS1_3repE0EEENS1_30default_config_static_selectorELNS0_4arch9wavefront6targetE0EEEvT1_.num_vgpr, 0
	.set _ZN7rocprim17ROCPRIM_400000_NS6detail17trampoline_kernelINS0_14default_configENS1_25partition_config_selectorILNS1_17partition_subalgoE6ExNS0_10empty_typeEbEEZZNS1_14partition_implILS5_6ELb0ES3_mN6thrust23THRUST_200600_302600_NS6detail15normal_iteratorINSA_10device_ptrIxEEEEPS6_SG_NS0_5tupleIJNSA_16discard_iteratorINSA_11use_defaultEEES6_EEENSH_IJSG_SG_EEES6_PlJNSB_9not_fun_tINSB_14equal_to_valueIxEEEEEEE10hipError_tPvRmT3_T4_T5_T6_T7_T9_mT8_P12ihipStream_tbDpT10_ENKUlT_T0_E_clISt17integral_constantIbLb1EES1B_EEDaS16_S17_EUlS16_E_NS1_11comp_targetILNS1_3genE9ELNS1_11target_archE1100ELNS1_3gpuE3ELNS1_3repE0EEENS1_30default_config_static_selectorELNS0_4arch9wavefront6targetE0EEEvT1_.num_agpr, 0
	.set _ZN7rocprim17ROCPRIM_400000_NS6detail17trampoline_kernelINS0_14default_configENS1_25partition_config_selectorILNS1_17partition_subalgoE6ExNS0_10empty_typeEbEEZZNS1_14partition_implILS5_6ELb0ES3_mN6thrust23THRUST_200600_302600_NS6detail15normal_iteratorINSA_10device_ptrIxEEEEPS6_SG_NS0_5tupleIJNSA_16discard_iteratorINSA_11use_defaultEEES6_EEENSH_IJSG_SG_EEES6_PlJNSB_9not_fun_tINSB_14equal_to_valueIxEEEEEEE10hipError_tPvRmT3_T4_T5_T6_T7_T9_mT8_P12ihipStream_tbDpT10_ENKUlT_T0_E_clISt17integral_constantIbLb1EES1B_EEDaS16_S17_EUlS16_E_NS1_11comp_targetILNS1_3genE9ELNS1_11target_archE1100ELNS1_3gpuE3ELNS1_3repE0EEENS1_30default_config_static_selectorELNS0_4arch9wavefront6targetE0EEEvT1_.numbered_sgpr, 0
	.set _ZN7rocprim17ROCPRIM_400000_NS6detail17trampoline_kernelINS0_14default_configENS1_25partition_config_selectorILNS1_17partition_subalgoE6ExNS0_10empty_typeEbEEZZNS1_14partition_implILS5_6ELb0ES3_mN6thrust23THRUST_200600_302600_NS6detail15normal_iteratorINSA_10device_ptrIxEEEEPS6_SG_NS0_5tupleIJNSA_16discard_iteratorINSA_11use_defaultEEES6_EEENSH_IJSG_SG_EEES6_PlJNSB_9not_fun_tINSB_14equal_to_valueIxEEEEEEE10hipError_tPvRmT3_T4_T5_T6_T7_T9_mT8_P12ihipStream_tbDpT10_ENKUlT_T0_E_clISt17integral_constantIbLb1EES1B_EEDaS16_S17_EUlS16_E_NS1_11comp_targetILNS1_3genE9ELNS1_11target_archE1100ELNS1_3gpuE3ELNS1_3repE0EEENS1_30default_config_static_selectorELNS0_4arch9wavefront6targetE0EEEvT1_.num_named_barrier, 0
	.set _ZN7rocprim17ROCPRIM_400000_NS6detail17trampoline_kernelINS0_14default_configENS1_25partition_config_selectorILNS1_17partition_subalgoE6ExNS0_10empty_typeEbEEZZNS1_14partition_implILS5_6ELb0ES3_mN6thrust23THRUST_200600_302600_NS6detail15normal_iteratorINSA_10device_ptrIxEEEEPS6_SG_NS0_5tupleIJNSA_16discard_iteratorINSA_11use_defaultEEES6_EEENSH_IJSG_SG_EEES6_PlJNSB_9not_fun_tINSB_14equal_to_valueIxEEEEEEE10hipError_tPvRmT3_T4_T5_T6_T7_T9_mT8_P12ihipStream_tbDpT10_ENKUlT_T0_E_clISt17integral_constantIbLb1EES1B_EEDaS16_S17_EUlS16_E_NS1_11comp_targetILNS1_3genE9ELNS1_11target_archE1100ELNS1_3gpuE3ELNS1_3repE0EEENS1_30default_config_static_selectorELNS0_4arch9wavefront6targetE0EEEvT1_.private_seg_size, 0
	.set _ZN7rocprim17ROCPRIM_400000_NS6detail17trampoline_kernelINS0_14default_configENS1_25partition_config_selectorILNS1_17partition_subalgoE6ExNS0_10empty_typeEbEEZZNS1_14partition_implILS5_6ELb0ES3_mN6thrust23THRUST_200600_302600_NS6detail15normal_iteratorINSA_10device_ptrIxEEEEPS6_SG_NS0_5tupleIJNSA_16discard_iteratorINSA_11use_defaultEEES6_EEENSH_IJSG_SG_EEES6_PlJNSB_9not_fun_tINSB_14equal_to_valueIxEEEEEEE10hipError_tPvRmT3_T4_T5_T6_T7_T9_mT8_P12ihipStream_tbDpT10_ENKUlT_T0_E_clISt17integral_constantIbLb1EES1B_EEDaS16_S17_EUlS16_E_NS1_11comp_targetILNS1_3genE9ELNS1_11target_archE1100ELNS1_3gpuE3ELNS1_3repE0EEENS1_30default_config_static_selectorELNS0_4arch9wavefront6targetE0EEEvT1_.uses_vcc, 0
	.set _ZN7rocprim17ROCPRIM_400000_NS6detail17trampoline_kernelINS0_14default_configENS1_25partition_config_selectorILNS1_17partition_subalgoE6ExNS0_10empty_typeEbEEZZNS1_14partition_implILS5_6ELb0ES3_mN6thrust23THRUST_200600_302600_NS6detail15normal_iteratorINSA_10device_ptrIxEEEEPS6_SG_NS0_5tupleIJNSA_16discard_iteratorINSA_11use_defaultEEES6_EEENSH_IJSG_SG_EEES6_PlJNSB_9not_fun_tINSB_14equal_to_valueIxEEEEEEE10hipError_tPvRmT3_T4_T5_T6_T7_T9_mT8_P12ihipStream_tbDpT10_ENKUlT_T0_E_clISt17integral_constantIbLb1EES1B_EEDaS16_S17_EUlS16_E_NS1_11comp_targetILNS1_3genE9ELNS1_11target_archE1100ELNS1_3gpuE3ELNS1_3repE0EEENS1_30default_config_static_selectorELNS0_4arch9wavefront6targetE0EEEvT1_.uses_flat_scratch, 0
	.set _ZN7rocprim17ROCPRIM_400000_NS6detail17trampoline_kernelINS0_14default_configENS1_25partition_config_selectorILNS1_17partition_subalgoE6ExNS0_10empty_typeEbEEZZNS1_14partition_implILS5_6ELb0ES3_mN6thrust23THRUST_200600_302600_NS6detail15normal_iteratorINSA_10device_ptrIxEEEEPS6_SG_NS0_5tupleIJNSA_16discard_iteratorINSA_11use_defaultEEES6_EEENSH_IJSG_SG_EEES6_PlJNSB_9not_fun_tINSB_14equal_to_valueIxEEEEEEE10hipError_tPvRmT3_T4_T5_T6_T7_T9_mT8_P12ihipStream_tbDpT10_ENKUlT_T0_E_clISt17integral_constantIbLb1EES1B_EEDaS16_S17_EUlS16_E_NS1_11comp_targetILNS1_3genE9ELNS1_11target_archE1100ELNS1_3gpuE3ELNS1_3repE0EEENS1_30default_config_static_selectorELNS0_4arch9wavefront6targetE0EEEvT1_.has_dyn_sized_stack, 0
	.set _ZN7rocprim17ROCPRIM_400000_NS6detail17trampoline_kernelINS0_14default_configENS1_25partition_config_selectorILNS1_17partition_subalgoE6ExNS0_10empty_typeEbEEZZNS1_14partition_implILS5_6ELb0ES3_mN6thrust23THRUST_200600_302600_NS6detail15normal_iteratorINSA_10device_ptrIxEEEEPS6_SG_NS0_5tupleIJNSA_16discard_iteratorINSA_11use_defaultEEES6_EEENSH_IJSG_SG_EEES6_PlJNSB_9not_fun_tINSB_14equal_to_valueIxEEEEEEE10hipError_tPvRmT3_T4_T5_T6_T7_T9_mT8_P12ihipStream_tbDpT10_ENKUlT_T0_E_clISt17integral_constantIbLb1EES1B_EEDaS16_S17_EUlS16_E_NS1_11comp_targetILNS1_3genE9ELNS1_11target_archE1100ELNS1_3gpuE3ELNS1_3repE0EEENS1_30default_config_static_selectorELNS0_4arch9wavefront6targetE0EEEvT1_.has_recursion, 0
	.set _ZN7rocprim17ROCPRIM_400000_NS6detail17trampoline_kernelINS0_14default_configENS1_25partition_config_selectorILNS1_17partition_subalgoE6ExNS0_10empty_typeEbEEZZNS1_14partition_implILS5_6ELb0ES3_mN6thrust23THRUST_200600_302600_NS6detail15normal_iteratorINSA_10device_ptrIxEEEEPS6_SG_NS0_5tupleIJNSA_16discard_iteratorINSA_11use_defaultEEES6_EEENSH_IJSG_SG_EEES6_PlJNSB_9not_fun_tINSB_14equal_to_valueIxEEEEEEE10hipError_tPvRmT3_T4_T5_T6_T7_T9_mT8_P12ihipStream_tbDpT10_ENKUlT_T0_E_clISt17integral_constantIbLb1EES1B_EEDaS16_S17_EUlS16_E_NS1_11comp_targetILNS1_3genE9ELNS1_11target_archE1100ELNS1_3gpuE3ELNS1_3repE0EEENS1_30default_config_static_selectorELNS0_4arch9wavefront6targetE0EEEvT1_.has_indirect_call, 0
	.section	.AMDGPU.csdata,"",@progbits
; Kernel info:
; codeLenInByte = 0
; TotalNumSgprs: 0
; NumVgprs: 0
; ScratchSize: 0
; MemoryBound: 0
; FloatMode: 240
; IeeeMode: 1
; LDSByteSize: 0 bytes/workgroup (compile time only)
; SGPRBlocks: 0
; VGPRBlocks: 0
; NumSGPRsForWavesPerEU: 1
; NumVGPRsForWavesPerEU: 1
; Occupancy: 16
; WaveLimiterHint : 0
; COMPUTE_PGM_RSRC2:SCRATCH_EN: 0
; COMPUTE_PGM_RSRC2:USER_SGPR: 2
; COMPUTE_PGM_RSRC2:TRAP_HANDLER: 0
; COMPUTE_PGM_RSRC2:TGID_X_EN: 1
; COMPUTE_PGM_RSRC2:TGID_Y_EN: 0
; COMPUTE_PGM_RSRC2:TGID_Z_EN: 0
; COMPUTE_PGM_RSRC2:TIDIG_COMP_CNT: 0
	.section	.text._ZN7rocprim17ROCPRIM_400000_NS6detail17trampoline_kernelINS0_14default_configENS1_25partition_config_selectorILNS1_17partition_subalgoE6ExNS0_10empty_typeEbEEZZNS1_14partition_implILS5_6ELb0ES3_mN6thrust23THRUST_200600_302600_NS6detail15normal_iteratorINSA_10device_ptrIxEEEEPS6_SG_NS0_5tupleIJNSA_16discard_iteratorINSA_11use_defaultEEES6_EEENSH_IJSG_SG_EEES6_PlJNSB_9not_fun_tINSB_14equal_to_valueIxEEEEEEE10hipError_tPvRmT3_T4_T5_T6_T7_T9_mT8_P12ihipStream_tbDpT10_ENKUlT_T0_E_clISt17integral_constantIbLb1EES1B_EEDaS16_S17_EUlS16_E_NS1_11comp_targetILNS1_3genE8ELNS1_11target_archE1030ELNS1_3gpuE2ELNS1_3repE0EEENS1_30default_config_static_selectorELNS0_4arch9wavefront6targetE0EEEvT1_,"axG",@progbits,_ZN7rocprim17ROCPRIM_400000_NS6detail17trampoline_kernelINS0_14default_configENS1_25partition_config_selectorILNS1_17partition_subalgoE6ExNS0_10empty_typeEbEEZZNS1_14partition_implILS5_6ELb0ES3_mN6thrust23THRUST_200600_302600_NS6detail15normal_iteratorINSA_10device_ptrIxEEEEPS6_SG_NS0_5tupleIJNSA_16discard_iteratorINSA_11use_defaultEEES6_EEENSH_IJSG_SG_EEES6_PlJNSB_9not_fun_tINSB_14equal_to_valueIxEEEEEEE10hipError_tPvRmT3_T4_T5_T6_T7_T9_mT8_P12ihipStream_tbDpT10_ENKUlT_T0_E_clISt17integral_constantIbLb1EES1B_EEDaS16_S17_EUlS16_E_NS1_11comp_targetILNS1_3genE8ELNS1_11target_archE1030ELNS1_3gpuE2ELNS1_3repE0EEENS1_30default_config_static_selectorELNS0_4arch9wavefront6targetE0EEEvT1_,comdat
	.protected	_ZN7rocprim17ROCPRIM_400000_NS6detail17trampoline_kernelINS0_14default_configENS1_25partition_config_selectorILNS1_17partition_subalgoE6ExNS0_10empty_typeEbEEZZNS1_14partition_implILS5_6ELb0ES3_mN6thrust23THRUST_200600_302600_NS6detail15normal_iteratorINSA_10device_ptrIxEEEEPS6_SG_NS0_5tupleIJNSA_16discard_iteratorINSA_11use_defaultEEES6_EEENSH_IJSG_SG_EEES6_PlJNSB_9not_fun_tINSB_14equal_to_valueIxEEEEEEE10hipError_tPvRmT3_T4_T5_T6_T7_T9_mT8_P12ihipStream_tbDpT10_ENKUlT_T0_E_clISt17integral_constantIbLb1EES1B_EEDaS16_S17_EUlS16_E_NS1_11comp_targetILNS1_3genE8ELNS1_11target_archE1030ELNS1_3gpuE2ELNS1_3repE0EEENS1_30default_config_static_selectorELNS0_4arch9wavefront6targetE0EEEvT1_ ; -- Begin function _ZN7rocprim17ROCPRIM_400000_NS6detail17trampoline_kernelINS0_14default_configENS1_25partition_config_selectorILNS1_17partition_subalgoE6ExNS0_10empty_typeEbEEZZNS1_14partition_implILS5_6ELb0ES3_mN6thrust23THRUST_200600_302600_NS6detail15normal_iteratorINSA_10device_ptrIxEEEEPS6_SG_NS0_5tupleIJNSA_16discard_iteratorINSA_11use_defaultEEES6_EEENSH_IJSG_SG_EEES6_PlJNSB_9not_fun_tINSB_14equal_to_valueIxEEEEEEE10hipError_tPvRmT3_T4_T5_T6_T7_T9_mT8_P12ihipStream_tbDpT10_ENKUlT_T0_E_clISt17integral_constantIbLb1EES1B_EEDaS16_S17_EUlS16_E_NS1_11comp_targetILNS1_3genE8ELNS1_11target_archE1030ELNS1_3gpuE2ELNS1_3repE0EEENS1_30default_config_static_selectorELNS0_4arch9wavefront6targetE0EEEvT1_
	.globl	_ZN7rocprim17ROCPRIM_400000_NS6detail17trampoline_kernelINS0_14default_configENS1_25partition_config_selectorILNS1_17partition_subalgoE6ExNS0_10empty_typeEbEEZZNS1_14partition_implILS5_6ELb0ES3_mN6thrust23THRUST_200600_302600_NS6detail15normal_iteratorINSA_10device_ptrIxEEEEPS6_SG_NS0_5tupleIJNSA_16discard_iteratorINSA_11use_defaultEEES6_EEENSH_IJSG_SG_EEES6_PlJNSB_9not_fun_tINSB_14equal_to_valueIxEEEEEEE10hipError_tPvRmT3_T4_T5_T6_T7_T9_mT8_P12ihipStream_tbDpT10_ENKUlT_T0_E_clISt17integral_constantIbLb1EES1B_EEDaS16_S17_EUlS16_E_NS1_11comp_targetILNS1_3genE8ELNS1_11target_archE1030ELNS1_3gpuE2ELNS1_3repE0EEENS1_30default_config_static_selectorELNS0_4arch9wavefront6targetE0EEEvT1_
	.p2align	8
	.type	_ZN7rocprim17ROCPRIM_400000_NS6detail17trampoline_kernelINS0_14default_configENS1_25partition_config_selectorILNS1_17partition_subalgoE6ExNS0_10empty_typeEbEEZZNS1_14partition_implILS5_6ELb0ES3_mN6thrust23THRUST_200600_302600_NS6detail15normal_iteratorINSA_10device_ptrIxEEEEPS6_SG_NS0_5tupleIJNSA_16discard_iteratorINSA_11use_defaultEEES6_EEENSH_IJSG_SG_EEES6_PlJNSB_9not_fun_tINSB_14equal_to_valueIxEEEEEEE10hipError_tPvRmT3_T4_T5_T6_T7_T9_mT8_P12ihipStream_tbDpT10_ENKUlT_T0_E_clISt17integral_constantIbLb1EES1B_EEDaS16_S17_EUlS16_E_NS1_11comp_targetILNS1_3genE8ELNS1_11target_archE1030ELNS1_3gpuE2ELNS1_3repE0EEENS1_30default_config_static_selectorELNS0_4arch9wavefront6targetE0EEEvT1_,@function
_ZN7rocprim17ROCPRIM_400000_NS6detail17trampoline_kernelINS0_14default_configENS1_25partition_config_selectorILNS1_17partition_subalgoE6ExNS0_10empty_typeEbEEZZNS1_14partition_implILS5_6ELb0ES3_mN6thrust23THRUST_200600_302600_NS6detail15normal_iteratorINSA_10device_ptrIxEEEEPS6_SG_NS0_5tupleIJNSA_16discard_iteratorINSA_11use_defaultEEES6_EEENSH_IJSG_SG_EEES6_PlJNSB_9not_fun_tINSB_14equal_to_valueIxEEEEEEE10hipError_tPvRmT3_T4_T5_T6_T7_T9_mT8_P12ihipStream_tbDpT10_ENKUlT_T0_E_clISt17integral_constantIbLb1EES1B_EEDaS16_S17_EUlS16_E_NS1_11comp_targetILNS1_3genE8ELNS1_11target_archE1030ELNS1_3gpuE2ELNS1_3repE0EEENS1_30default_config_static_selectorELNS0_4arch9wavefront6targetE0EEEvT1_: ; @_ZN7rocprim17ROCPRIM_400000_NS6detail17trampoline_kernelINS0_14default_configENS1_25partition_config_selectorILNS1_17partition_subalgoE6ExNS0_10empty_typeEbEEZZNS1_14partition_implILS5_6ELb0ES3_mN6thrust23THRUST_200600_302600_NS6detail15normal_iteratorINSA_10device_ptrIxEEEEPS6_SG_NS0_5tupleIJNSA_16discard_iteratorINSA_11use_defaultEEES6_EEENSH_IJSG_SG_EEES6_PlJNSB_9not_fun_tINSB_14equal_to_valueIxEEEEEEE10hipError_tPvRmT3_T4_T5_T6_T7_T9_mT8_P12ihipStream_tbDpT10_ENKUlT_T0_E_clISt17integral_constantIbLb1EES1B_EEDaS16_S17_EUlS16_E_NS1_11comp_targetILNS1_3genE8ELNS1_11target_archE1030ELNS1_3gpuE2ELNS1_3repE0EEENS1_30default_config_static_selectorELNS0_4arch9wavefront6targetE0EEEvT1_
; %bb.0:
	.section	.rodata,"a",@progbits
	.p2align	6, 0x0
	.amdhsa_kernel _ZN7rocprim17ROCPRIM_400000_NS6detail17trampoline_kernelINS0_14default_configENS1_25partition_config_selectorILNS1_17partition_subalgoE6ExNS0_10empty_typeEbEEZZNS1_14partition_implILS5_6ELb0ES3_mN6thrust23THRUST_200600_302600_NS6detail15normal_iteratorINSA_10device_ptrIxEEEEPS6_SG_NS0_5tupleIJNSA_16discard_iteratorINSA_11use_defaultEEES6_EEENSH_IJSG_SG_EEES6_PlJNSB_9not_fun_tINSB_14equal_to_valueIxEEEEEEE10hipError_tPvRmT3_T4_T5_T6_T7_T9_mT8_P12ihipStream_tbDpT10_ENKUlT_T0_E_clISt17integral_constantIbLb1EES1B_EEDaS16_S17_EUlS16_E_NS1_11comp_targetILNS1_3genE8ELNS1_11target_archE1030ELNS1_3gpuE2ELNS1_3repE0EEENS1_30default_config_static_selectorELNS0_4arch9wavefront6targetE0EEEvT1_
		.amdhsa_group_segment_fixed_size 0
		.amdhsa_private_segment_fixed_size 0
		.amdhsa_kernarg_size 136
		.amdhsa_user_sgpr_count 2
		.amdhsa_user_sgpr_dispatch_ptr 0
		.amdhsa_user_sgpr_queue_ptr 0
		.amdhsa_user_sgpr_kernarg_segment_ptr 1
		.amdhsa_user_sgpr_dispatch_id 0
		.amdhsa_user_sgpr_private_segment_size 0
		.amdhsa_wavefront_size32 1
		.amdhsa_uses_dynamic_stack 0
		.amdhsa_enable_private_segment 0
		.amdhsa_system_sgpr_workgroup_id_x 1
		.amdhsa_system_sgpr_workgroup_id_y 0
		.amdhsa_system_sgpr_workgroup_id_z 0
		.amdhsa_system_sgpr_workgroup_info 0
		.amdhsa_system_vgpr_workitem_id 0
		.amdhsa_next_free_vgpr 1
		.amdhsa_next_free_sgpr 1
		.amdhsa_reserve_vcc 0
		.amdhsa_float_round_mode_32 0
		.amdhsa_float_round_mode_16_64 0
		.amdhsa_float_denorm_mode_32 3
		.amdhsa_float_denorm_mode_16_64 3
		.amdhsa_fp16_overflow 0
		.amdhsa_workgroup_processor_mode 1
		.amdhsa_memory_ordered 1
		.amdhsa_forward_progress 1
		.amdhsa_inst_pref_size 0
		.amdhsa_round_robin_scheduling 0
		.amdhsa_exception_fp_ieee_invalid_op 0
		.amdhsa_exception_fp_denorm_src 0
		.amdhsa_exception_fp_ieee_div_zero 0
		.amdhsa_exception_fp_ieee_overflow 0
		.amdhsa_exception_fp_ieee_underflow 0
		.amdhsa_exception_fp_ieee_inexact 0
		.amdhsa_exception_int_div_zero 0
	.end_amdhsa_kernel
	.section	.text._ZN7rocprim17ROCPRIM_400000_NS6detail17trampoline_kernelINS0_14default_configENS1_25partition_config_selectorILNS1_17partition_subalgoE6ExNS0_10empty_typeEbEEZZNS1_14partition_implILS5_6ELb0ES3_mN6thrust23THRUST_200600_302600_NS6detail15normal_iteratorINSA_10device_ptrIxEEEEPS6_SG_NS0_5tupleIJNSA_16discard_iteratorINSA_11use_defaultEEES6_EEENSH_IJSG_SG_EEES6_PlJNSB_9not_fun_tINSB_14equal_to_valueIxEEEEEEE10hipError_tPvRmT3_T4_T5_T6_T7_T9_mT8_P12ihipStream_tbDpT10_ENKUlT_T0_E_clISt17integral_constantIbLb1EES1B_EEDaS16_S17_EUlS16_E_NS1_11comp_targetILNS1_3genE8ELNS1_11target_archE1030ELNS1_3gpuE2ELNS1_3repE0EEENS1_30default_config_static_selectorELNS0_4arch9wavefront6targetE0EEEvT1_,"axG",@progbits,_ZN7rocprim17ROCPRIM_400000_NS6detail17trampoline_kernelINS0_14default_configENS1_25partition_config_selectorILNS1_17partition_subalgoE6ExNS0_10empty_typeEbEEZZNS1_14partition_implILS5_6ELb0ES3_mN6thrust23THRUST_200600_302600_NS6detail15normal_iteratorINSA_10device_ptrIxEEEEPS6_SG_NS0_5tupleIJNSA_16discard_iteratorINSA_11use_defaultEEES6_EEENSH_IJSG_SG_EEES6_PlJNSB_9not_fun_tINSB_14equal_to_valueIxEEEEEEE10hipError_tPvRmT3_T4_T5_T6_T7_T9_mT8_P12ihipStream_tbDpT10_ENKUlT_T0_E_clISt17integral_constantIbLb1EES1B_EEDaS16_S17_EUlS16_E_NS1_11comp_targetILNS1_3genE8ELNS1_11target_archE1030ELNS1_3gpuE2ELNS1_3repE0EEENS1_30default_config_static_selectorELNS0_4arch9wavefront6targetE0EEEvT1_,comdat
.Lfunc_end1740:
	.size	_ZN7rocprim17ROCPRIM_400000_NS6detail17trampoline_kernelINS0_14default_configENS1_25partition_config_selectorILNS1_17partition_subalgoE6ExNS0_10empty_typeEbEEZZNS1_14partition_implILS5_6ELb0ES3_mN6thrust23THRUST_200600_302600_NS6detail15normal_iteratorINSA_10device_ptrIxEEEEPS6_SG_NS0_5tupleIJNSA_16discard_iteratorINSA_11use_defaultEEES6_EEENSH_IJSG_SG_EEES6_PlJNSB_9not_fun_tINSB_14equal_to_valueIxEEEEEEE10hipError_tPvRmT3_T4_T5_T6_T7_T9_mT8_P12ihipStream_tbDpT10_ENKUlT_T0_E_clISt17integral_constantIbLb1EES1B_EEDaS16_S17_EUlS16_E_NS1_11comp_targetILNS1_3genE8ELNS1_11target_archE1030ELNS1_3gpuE2ELNS1_3repE0EEENS1_30default_config_static_selectorELNS0_4arch9wavefront6targetE0EEEvT1_, .Lfunc_end1740-_ZN7rocprim17ROCPRIM_400000_NS6detail17trampoline_kernelINS0_14default_configENS1_25partition_config_selectorILNS1_17partition_subalgoE6ExNS0_10empty_typeEbEEZZNS1_14partition_implILS5_6ELb0ES3_mN6thrust23THRUST_200600_302600_NS6detail15normal_iteratorINSA_10device_ptrIxEEEEPS6_SG_NS0_5tupleIJNSA_16discard_iteratorINSA_11use_defaultEEES6_EEENSH_IJSG_SG_EEES6_PlJNSB_9not_fun_tINSB_14equal_to_valueIxEEEEEEE10hipError_tPvRmT3_T4_T5_T6_T7_T9_mT8_P12ihipStream_tbDpT10_ENKUlT_T0_E_clISt17integral_constantIbLb1EES1B_EEDaS16_S17_EUlS16_E_NS1_11comp_targetILNS1_3genE8ELNS1_11target_archE1030ELNS1_3gpuE2ELNS1_3repE0EEENS1_30default_config_static_selectorELNS0_4arch9wavefront6targetE0EEEvT1_
                                        ; -- End function
	.set _ZN7rocprim17ROCPRIM_400000_NS6detail17trampoline_kernelINS0_14default_configENS1_25partition_config_selectorILNS1_17partition_subalgoE6ExNS0_10empty_typeEbEEZZNS1_14partition_implILS5_6ELb0ES3_mN6thrust23THRUST_200600_302600_NS6detail15normal_iteratorINSA_10device_ptrIxEEEEPS6_SG_NS0_5tupleIJNSA_16discard_iteratorINSA_11use_defaultEEES6_EEENSH_IJSG_SG_EEES6_PlJNSB_9not_fun_tINSB_14equal_to_valueIxEEEEEEE10hipError_tPvRmT3_T4_T5_T6_T7_T9_mT8_P12ihipStream_tbDpT10_ENKUlT_T0_E_clISt17integral_constantIbLb1EES1B_EEDaS16_S17_EUlS16_E_NS1_11comp_targetILNS1_3genE8ELNS1_11target_archE1030ELNS1_3gpuE2ELNS1_3repE0EEENS1_30default_config_static_selectorELNS0_4arch9wavefront6targetE0EEEvT1_.num_vgpr, 0
	.set _ZN7rocprim17ROCPRIM_400000_NS6detail17trampoline_kernelINS0_14default_configENS1_25partition_config_selectorILNS1_17partition_subalgoE6ExNS0_10empty_typeEbEEZZNS1_14partition_implILS5_6ELb0ES3_mN6thrust23THRUST_200600_302600_NS6detail15normal_iteratorINSA_10device_ptrIxEEEEPS6_SG_NS0_5tupleIJNSA_16discard_iteratorINSA_11use_defaultEEES6_EEENSH_IJSG_SG_EEES6_PlJNSB_9not_fun_tINSB_14equal_to_valueIxEEEEEEE10hipError_tPvRmT3_T4_T5_T6_T7_T9_mT8_P12ihipStream_tbDpT10_ENKUlT_T0_E_clISt17integral_constantIbLb1EES1B_EEDaS16_S17_EUlS16_E_NS1_11comp_targetILNS1_3genE8ELNS1_11target_archE1030ELNS1_3gpuE2ELNS1_3repE0EEENS1_30default_config_static_selectorELNS0_4arch9wavefront6targetE0EEEvT1_.num_agpr, 0
	.set _ZN7rocprim17ROCPRIM_400000_NS6detail17trampoline_kernelINS0_14default_configENS1_25partition_config_selectorILNS1_17partition_subalgoE6ExNS0_10empty_typeEbEEZZNS1_14partition_implILS5_6ELb0ES3_mN6thrust23THRUST_200600_302600_NS6detail15normal_iteratorINSA_10device_ptrIxEEEEPS6_SG_NS0_5tupleIJNSA_16discard_iteratorINSA_11use_defaultEEES6_EEENSH_IJSG_SG_EEES6_PlJNSB_9not_fun_tINSB_14equal_to_valueIxEEEEEEE10hipError_tPvRmT3_T4_T5_T6_T7_T9_mT8_P12ihipStream_tbDpT10_ENKUlT_T0_E_clISt17integral_constantIbLb1EES1B_EEDaS16_S17_EUlS16_E_NS1_11comp_targetILNS1_3genE8ELNS1_11target_archE1030ELNS1_3gpuE2ELNS1_3repE0EEENS1_30default_config_static_selectorELNS0_4arch9wavefront6targetE0EEEvT1_.numbered_sgpr, 0
	.set _ZN7rocprim17ROCPRIM_400000_NS6detail17trampoline_kernelINS0_14default_configENS1_25partition_config_selectorILNS1_17partition_subalgoE6ExNS0_10empty_typeEbEEZZNS1_14partition_implILS5_6ELb0ES3_mN6thrust23THRUST_200600_302600_NS6detail15normal_iteratorINSA_10device_ptrIxEEEEPS6_SG_NS0_5tupleIJNSA_16discard_iteratorINSA_11use_defaultEEES6_EEENSH_IJSG_SG_EEES6_PlJNSB_9not_fun_tINSB_14equal_to_valueIxEEEEEEE10hipError_tPvRmT3_T4_T5_T6_T7_T9_mT8_P12ihipStream_tbDpT10_ENKUlT_T0_E_clISt17integral_constantIbLb1EES1B_EEDaS16_S17_EUlS16_E_NS1_11comp_targetILNS1_3genE8ELNS1_11target_archE1030ELNS1_3gpuE2ELNS1_3repE0EEENS1_30default_config_static_selectorELNS0_4arch9wavefront6targetE0EEEvT1_.num_named_barrier, 0
	.set _ZN7rocprim17ROCPRIM_400000_NS6detail17trampoline_kernelINS0_14default_configENS1_25partition_config_selectorILNS1_17partition_subalgoE6ExNS0_10empty_typeEbEEZZNS1_14partition_implILS5_6ELb0ES3_mN6thrust23THRUST_200600_302600_NS6detail15normal_iteratorINSA_10device_ptrIxEEEEPS6_SG_NS0_5tupleIJNSA_16discard_iteratorINSA_11use_defaultEEES6_EEENSH_IJSG_SG_EEES6_PlJNSB_9not_fun_tINSB_14equal_to_valueIxEEEEEEE10hipError_tPvRmT3_T4_T5_T6_T7_T9_mT8_P12ihipStream_tbDpT10_ENKUlT_T0_E_clISt17integral_constantIbLb1EES1B_EEDaS16_S17_EUlS16_E_NS1_11comp_targetILNS1_3genE8ELNS1_11target_archE1030ELNS1_3gpuE2ELNS1_3repE0EEENS1_30default_config_static_selectorELNS0_4arch9wavefront6targetE0EEEvT1_.private_seg_size, 0
	.set _ZN7rocprim17ROCPRIM_400000_NS6detail17trampoline_kernelINS0_14default_configENS1_25partition_config_selectorILNS1_17partition_subalgoE6ExNS0_10empty_typeEbEEZZNS1_14partition_implILS5_6ELb0ES3_mN6thrust23THRUST_200600_302600_NS6detail15normal_iteratorINSA_10device_ptrIxEEEEPS6_SG_NS0_5tupleIJNSA_16discard_iteratorINSA_11use_defaultEEES6_EEENSH_IJSG_SG_EEES6_PlJNSB_9not_fun_tINSB_14equal_to_valueIxEEEEEEE10hipError_tPvRmT3_T4_T5_T6_T7_T9_mT8_P12ihipStream_tbDpT10_ENKUlT_T0_E_clISt17integral_constantIbLb1EES1B_EEDaS16_S17_EUlS16_E_NS1_11comp_targetILNS1_3genE8ELNS1_11target_archE1030ELNS1_3gpuE2ELNS1_3repE0EEENS1_30default_config_static_selectorELNS0_4arch9wavefront6targetE0EEEvT1_.uses_vcc, 0
	.set _ZN7rocprim17ROCPRIM_400000_NS6detail17trampoline_kernelINS0_14default_configENS1_25partition_config_selectorILNS1_17partition_subalgoE6ExNS0_10empty_typeEbEEZZNS1_14partition_implILS5_6ELb0ES3_mN6thrust23THRUST_200600_302600_NS6detail15normal_iteratorINSA_10device_ptrIxEEEEPS6_SG_NS0_5tupleIJNSA_16discard_iteratorINSA_11use_defaultEEES6_EEENSH_IJSG_SG_EEES6_PlJNSB_9not_fun_tINSB_14equal_to_valueIxEEEEEEE10hipError_tPvRmT3_T4_T5_T6_T7_T9_mT8_P12ihipStream_tbDpT10_ENKUlT_T0_E_clISt17integral_constantIbLb1EES1B_EEDaS16_S17_EUlS16_E_NS1_11comp_targetILNS1_3genE8ELNS1_11target_archE1030ELNS1_3gpuE2ELNS1_3repE0EEENS1_30default_config_static_selectorELNS0_4arch9wavefront6targetE0EEEvT1_.uses_flat_scratch, 0
	.set _ZN7rocprim17ROCPRIM_400000_NS6detail17trampoline_kernelINS0_14default_configENS1_25partition_config_selectorILNS1_17partition_subalgoE6ExNS0_10empty_typeEbEEZZNS1_14partition_implILS5_6ELb0ES3_mN6thrust23THRUST_200600_302600_NS6detail15normal_iteratorINSA_10device_ptrIxEEEEPS6_SG_NS0_5tupleIJNSA_16discard_iteratorINSA_11use_defaultEEES6_EEENSH_IJSG_SG_EEES6_PlJNSB_9not_fun_tINSB_14equal_to_valueIxEEEEEEE10hipError_tPvRmT3_T4_T5_T6_T7_T9_mT8_P12ihipStream_tbDpT10_ENKUlT_T0_E_clISt17integral_constantIbLb1EES1B_EEDaS16_S17_EUlS16_E_NS1_11comp_targetILNS1_3genE8ELNS1_11target_archE1030ELNS1_3gpuE2ELNS1_3repE0EEENS1_30default_config_static_selectorELNS0_4arch9wavefront6targetE0EEEvT1_.has_dyn_sized_stack, 0
	.set _ZN7rocprim17ROCPRIM_400000_NS6detail17trampoline_kernelINS0_14default_configENS1_25partition_config_selectorILNS1_17partition_subalgoE6ExNS0_10empty_typeEbEEZZNS1_14partition_implILS5_6ELb0ES3_mN6thrust23THRUST_200600_302600_NS6detail15normal_iteratorINSA_10device_ptrIxEEEEPS6_SG_NS0_5tupleIJNSA_16discard_iteratorINSA_11use_defaultEEES6_EEENSH_IJSG_SG_EEES6_PlJNSB_9not_fun_tINSB_14equal_to_valueIxEEEEEEE10hipError_tPvRmT3_T4_T5_T6_T7_T9_mT8_P12ihipStream_tbDpT10_ENKUlT_T0_E_clISt17integral_constantIbLb1EES1B_EEDaS16_S17_EUlS16_E_NS1_11comp_targetILNS1_3genE8ELNS1_11target_archE1030ELNS1_3gpuE2ELNS1_3repE0EEENS1_30default_config_static_selectorELNS0_4arch9wavefront6targetE0EEEvT1_.has_recursion, 0
	.set _ZN7rocprim17ROCPRIM_400000_NS6detail17trampoline_kernelINS0_14default_configENS1_25partition_config_selectorILNS1_17partition_subalgoE6ExNS0_10empty_typeEbEEZZNS1_14partition_implILS5_6ELb0ES3_mN6thrust23THRUST_200600_302600_NS6detail15normal_iteratorINSA_10device_ptrIxEEEEPS6_SG_NS0_5tupleIJNSA_16discard_iteratorINSA_11use_defaultEEES6_EEENSH_IJSG_SG_EEES6_PlJNSB_9not_fun_tINSB_14equal_to_valueIxEEEEEEE10hipError_tPvRmT3_T4_T5_T6_T7_T9_mT8_P12ihipStream_tbDpT10_ENKUlT_T0_E_clISt17integral_constantIbLb1EES1B_EEDaS16_S17_EUlS16_E_NS1_11comp_targetILNS1_3genE8ELNS1_11target_archE1030ELNS1_3gpuE2ELNS1_3repE0EEENS1_30default_config_static_selectorELNS0_4arch9wavefront6targetE0EEEvT1_.has_indirect_call, 0
	.section	.AMDGPU.csdata,"",@progbits
; Kernel info:
; codeLenInByte = 0
; TotalNumSgprs: 0
; NumVgprs: 0
; ScratchSize: 0
; MemoryBound: 0
; FloatMode: 240
; IeeeMode: 1
; LDSByteSize: 0 bytes/workgroup (compile time only)
; SGPRBlocks: 0
; VGPRBlocks: 0
; NumSGPRsForWavesPerEU: 1
; NumVGPRsForWavesPerEU: 1
; Occupancy: 16
; WaveLimiterHint : 0
; COMPUTE_PGM_RSRC2:SCRATCH_EN: 0
; COMPUTE_PGM_RSRC2:USER_SGPR: 2
; COMPUTE_PGM_RSRC2:TRAP_HANDLER: 0
; COMPUTE_PGM_RSRC2:TGID_X_EN: 1
; COMPUTE_PGM_RSRC2:TGID_Y_EN: 0
; COMPUTE_PGM_RSRC2:TGID_Z_EN: 0
; COMPUTE_PGM_RSRC2:TIDIG_COMP_CNT: 0
	.section	.text._ZN7rocprim17ROCPRIM_400000_NS6detail17trampoline_kernelINS0_14default_configENS1_25partition_config_selectorILNS1_17partition_subalgoE6ExNS0_10empty_typeEbEEZZNS1_14partition_implILS5_6ELb0ES3_mN6thrust23THRUST_200600_302600_NS6detail15normal_iteratorINSA_10device_ptrIxEEEEPS6_SG_NS0_5tupleIJNSA_16discard_iteratorINSA_11use_defaultEEES6_EEENSH_IJSG_SG_EEES6_PlJNSB_9not_fun_tINSB_14equal_to_valueIxEEEEEEE10hipError_tPvRmT3_T4_T5_T6_T7_T9_mT8_P12ihipStream_tbDpT10_ENKUlT_T0_E_clISt17integral_constantIbLb1EES1A_IbLb0EEEEDaS16_S17_EUlS16_E_NS1_11comp_targetILNS1_3genE0ELNS1_11target_archE4294967295ELNS1_3gpuE0ELNS1_3repE0EEENS1_30default_config_static_selectorELNS0_4arch9wavefront6targetE0EEEvT1_,"axG",@progbits,_ZN7rocprim17ROCPRIM_400000_NS6detail17trampoline_kernelINS0_14default_configENS1_25partition_config_selectorILNS1_17partition_subalgoE6ExNS0_10empty_typeEbEEZZNS1_14partition_implILS5_6ELb0ES3_mN6thrust23THRUST_200600_302600_NS6detail15normal_iteratorINSA_10device_ptrIxEEEEPS6_SG_NS0_5tupleIJNSA_16discard_iteratorINSA_11use_defaultEEES6_EEENSH_IJSG_SG_EEES6_PlJNSB_9not_fun_tINSB_14equal_to_valueIxEEEEEEE10hipError_tPvRmT3_T4_T5_T6_T7_T9_mT8_P12ihipStream_tbDpT10_ENKUlT_T0_E_clISt17integral_constantIbLb1EES1A_IbLb0EEEEDaS16_S17_EUlS16_E_NS1_11comp_targetILNS1_3genE0ELNS1_11target_archE4294967295ELNS1_3gpuE0ELNS1_3repE0EEENS1_30default_config_static_selectorELNS0_4arch9wavefront6targetE0EEEvT1_,comdat
	.protected	_ZN7rocprim17ROCPRIM_400000_NS6detail17trampoline_kernelINS0_14default_configENS1_25partition_config_selectorILNS1_17partition_subalgoE6ExNS0_10empty_typeEbEEZZNS1_14partition_implILS5_6ELb0ES3_mN6thrust23THRUST_200600_302600_NS6detail15normal_iteratorINSA_10device_ptrIxEEEEPS6_SG_NS0_5tupleIJNSA_16discard_iteratorINSA_11use_defaultEEES6_EEENSH_IJSG_SG_EEES6_PlJNSB_9not_fun_tINSB_14equal_to_valueIxEEEEEEE10hipError_tPvRmT3_T4_T5_T6_T7_T9_mT8_P12ihipStream_tbDpT10_ENKUlT_T0_E_clISt17integral_constantIbLb1EES1A_IbLb0EEEEDaS16_S17_EUlS16_E_NS1_11comp_targetILNS1_3genE0ELNS1_11target_archE4294967295ELNS1_3gpuE0ELNS1_3repE0EEENS1_30default_config_static_selectorELNS0_4arch9wavefront6targetE0EEEvT1_ ; -- Begin function _ZN7rocprim17ROCPRIM_400000_NS6detail17trampoline_kernelINS0_14default_configENS1_25partition_config_selectorILNS1_17partition_subalgoE6ExNS0_10empty_typeEbEEZZNS1_14partition_implILS5_6ELb0ES3_mN6thrust23THRUST_200600_302600_NS6detail15normal_iteratorINSA_10device_ptrIxEEEEPS6_SG_NS0_5tupleIJNSA_16discard_iteratorINSA_11use_defaultEEES6_EEENSH_IJSG_SG_EEES6_PlJNSB_9not_fun_tINSB_14equal_to_valueIxEEEEEEE10hipError_tPvRmT3_T4_T5_T6_T7_T9_mT8_P12ihipStream_tbDpT10_ENKUlT_T0_E_clISt17integral_constantIbLb1EES1A_IbLb0EEEEDaS16_S17_EUlS16_E_NS1_11comp_targetILNS1_3genE0ELNS1_11target_archE4294967295ELNS1_3gpuE0ELNS1_3repE0EEENS1_30default_config_static_selectorELNS0_4arch9wavefront6targetE0EEEvT1_
	.globl	_ZN7rocprim17ROCPRIM_400000_NS6detail17trampoline_kernelINS0_14default_configENS1_25partition_config_selectorILNS1_17partition_subalgoE6ExNS0_10empty_typeEbEEZZNS1_14partition_implILS5_6ELb0ES3_mN6thrust23THRUST_200600_302600_NS6detail15normal_iteratorINSA_10device_ptrIxEEEEPS6_SG_NS0_5tupleIJNSA_16discard_iteratorINSA_11use_defaultEEES6_EEENSH_IJSG_SG_EEES6_PlJNSB_9not_fun_tINSB_14equal_to_valueIxEEEEEEE10hipError_tPvRmT3_T4_T5_T6_T7_T9_mT8_P12ihipStream_tbDpT10_ENKUlT_T0_E_clISt17integral_constantIbLb1EES1A_IbLb0EEEEDaS16_S17_EUlS16_E_NS1_11comp_targetILNS1_3genE0ELNS1_11target_archE4294967295ELNS1_3gpuE0ELNS1_3repE0EEENS1_30default_config_static_selectorELNS0_4arch9wavefront6targetE0EEEvT1_
	.p2align	8
	.type	_ZN7rocprim17ROCPRIM_400000_NS6detail17trampoline_kernelINS0_14default_configENS1_25partition_config_selectorILNS1_17partition_subalgoE6ExNS0_10empty_typeEbEEZZNS1_14partition_implILS5_6ELb0ES3_mN6thrust23THRUST_200600_302600_NS6detail15normal_iteratorINSA_10device_ptrIxEEEEPS6_SG_NS0_5tupleIJNSA_16discard_iteratorINSA_11use_defaultEEES6_EEENSH_IJSG_SG_EEES6_PlJNSB_9not_fun_tINSB_14equal_to_valueIxEEEEEEE10hipError_tPvRmT3_T4_T5_T6_T7_T9_mT8_P12ihipStream_tbDpT10_ENKUlT_T0_E_clISt17integral_constantIbLb1EES1A_IbLb0EEEEDaS16_S17_EUlS16_E_NS1_11comp_targetILNS1_3genE0ELNS1_11target_archE4294967295ELNS1_3gpuE0ELNS1_3repE0EEENS1_30default_config_static_selectorELNS0_4arch9wavefront6targetE0EEEvT1_,@function
_ZN7rocprim17ROCPRIM_400000_NS6detail17trampoline_kernelINS0_14default_configENS1_25partition_config_selectorILNS1_17partition_subalgoE6ExNS0_10empty_typeEbEEZZNS1_14partition_implILS5_6ELb0ES3_mN6thrust23THRUST_200600_302600_NS6detail15normal_iteratorINSA_10device_ptrIxEEEEPS6_SG_NS0_5tupleIJNSA_16discard_iteratorINSA_11use_defaultEEES6_EEENSH_IJSG_SG_EEES6_PlJNSB_9not_fun_tINSB_14equal_to_valueIxEEEEEEE10hipError_tPvRmT3_T4_T5_T6_T7_T9_mT8_P12ihipStream_tbDpT10_ENKUlT_T0_E_clISt17integral_constantIbLb1EES1A_IbLb0EEEEDaS16_S17_EUlS16_E_NS1_11comp_targetILNS1_3genE0ELNS1_11target_archE4294967295ELNS1_3gpuE0ELNS1_3repE0EEENS1_30default_config_static_selectorELNS0_4arch9wavefront6targetE0EEEvT1_: ; @_ZN7rocprim17ROCPRIM_400000_NS6detail17trampoline_kernelINS0_14default_configENS1_25partition_config_selectorILNS1_17partition_subalgoE6ExNS0_10empty_typeEbEEZZNS1_14partition_implILS5_6ELb0ES3_mN6thrust23THRUST_200600_302600_NS6detail15normal_iteratorINSA_10device_ptrIxEEEEPS6_SG_NS0_5tupleIJNSA_16discard_iteratorINSA_11use_defaultEEES6_EEENSH_IJSG_SG_EEES6_PlJNSB_9not_fun_tINSB_14equal_to_valueIxEEEEEEE10hipError_tPvRmT3_T4_T5_T6_T7_T9_mT8_P12ihipStream_tbDpT10_ENKUlT_T0_E_clISt17integral_constantIbLb1EES1A_IbLb0EEEEDaS16_S17_EUlS16_E_NS1_11comp_targetILNS1_3genE0ELNS1_11target_archE4294967295ELNS1_3gpuE0ELNS1_3repE0EEENS1_30default_config_static_selectorELNS0_4arch9wavefront6targetE0EEEvT1_
; %bb.0:
	.section	.rodata,"a",@progbits
	.p2align	6, 0x0
	.amdhsa_kernel _ZN7rocprim17ROCPRIM_400000_NS6detail17trampoline_kernelINS0_14default_configENS1_25partition_config_selectorILNS1_17partition_subalgoE6ExNS0_10empty_typeEbEEZZNS1_14partition_implILS5_6ELb0ES3_mN6thrust23THRUST_200600_302600_NS6detail15normal_iteratorINSA_10device_ptrIxEEEEPS6_SG_NS0_5tupleIJNSA_16discard_iteratorINSA_11use_defaultEEES6_EEENSH_IJSG_SG_EEES6_PlJNSB_9not_fun_tINSB_14equal_to_valueIxEEEEEEE10hipError_tPvRmT3_T4_T5_T6_T7_T9_mT8_P12ihipStream_tbDpT10_ENKUlT_T0_E_clISt17integral_constantIbLb1EES1A_IbLb0EEEEDaS16_S17_EUlS16_E_NS1_11comp_targetILNS1_3genE0ELNS1_11target_archE4294967295ELNS1_3gpuE0ELNS1_3repE0EEENS1_30default_config_static_selectorELNS0_4arch9wavefront6targetE0EEEvT1_
		.amdhsa_group_segment_fixed_size 0
		.amdhsa_private_segment_fixed_size 0
		.amdhsa_kernarg_size 128
		.amdhsa_user_sgpr_count 2
		.amdhsa_user_sgpr_dispatch_ptr 0
		.amdhsa_user_sgpr_queue_ptr 0
		.amdhsa_user_sgpr_kernarg_segment_ptr 1
		.amdhsa_user_sgpr_dispatch_id 0
		.amdhsa_user_sgpr_private_segment_size 0
		.amdhsa_wavefront_size32 1
		.amdhsa_uses_dynamic_stack 0
		.amdhsa_enable_private_segment 0
		.amdhsa_system_sgpr_workgroup_id_x 1
		.amdhsa_system_sgpr_workgroup_id_y 0
		.amdhsa_system_sgpr_workgroup_id_z 0
		.amdhsa_system_sgpr_workgroup_info 0
		.amdhsa_system_vgpr_workitem_id 0
		.amdhsa_next_free_vgpr 1
		.amdhsa_next_free_sgpr 1
		.amdhsa_reserve_vcc 0
		.amdhsa_float_round_mode_32 0
		.amdhsa_float_round_mode_16_64 0
		.amdhsa_float_denorm_mode_32 3
		.amdhsa_float_denorm_mode_16_64 3
		.amdhsa_fp16_overflow 0
		.amdhsa_workgroup_processor_mode 1
		.amdhsa_memory_ordered 1
		.amdhsa_forward_progress 1
		.amdhsa_inst_pref_size 0
		.amdhsa_round_robin_scheduling 0
		.amdhsa_exception_fp_ieee_invalid_op 0
		.amdhsa_exception_fp_denorm_src 0
		.amdhsa_exception_fp_ieee_div_zero 0
		.amdhsa_exception_fp_ieee_overflow 0
		.amdhsa_exception_fp_ieee_underflow 0
		.amdhsa_exception_fp_ieee_inexact 0
		.amdhsa_exception_int_div_zero 0
	.end_amdhsa_kernel
	.section	.text._ZN7rocprim17ROCPRIM_400000_NS6detail17trampoline_kernelINS0_14default_configENS1_25partition_config_selectorILNS1_17partition_subalgoE6ExNS0_10empty_typeEbEEZZNS1_14partition_implILS5_6ELb0ES3_mN6thrust23THRUST_200600_302600_NS6detail15normal_iteratorINSA_10device_ptrIxEEEEPS6_SG_NS0_5tupleIJNSA_16discard_iteratorINSA_11use_defaultEEES6_EEENSH_IJSG_SG_EEES6_PlJNSB_9not_fun_tINSB_14equal_to_valueIxEEEEEEE10hipError_tPvRmT3_T4_T5_T6_T7_T9_mT8_P12ihipStream_tbDpT10_ENKUlT_T0_E_clISt17integral_constantIbLb1EES1A_IbLb0EEEEDaS16_S17_EUlS16_E_NS1_11comp_targetILNS1_3genE0ELNS1_11target_archE4294967295ELNS1_3gpuE0ELNS1_3repE0EEENS1_30default_config_static_selectorELNS0_4arch9wavefront6targetE0EEEvT1_,"axG",@progbits,_ZN7rocprim17ROCPRIM_400000_NS6detail17trampoline_kernelINS0_14default_configENS1_25partition_config_selectorILNS1_17partition_subalgoE6ExNS0_10empty_typeEbEEZZNS1_14partition_implILS5_6ELb0ES3_mN6thrust23THRUST_200600_302600_NS6detail15normal_iteratorINSA_10device_ptrIxEEEEPS6_SG_NS0_5tupleIJNSA_16discard_iteratorINSA_11use_defaultEEES6_EEENSH_IJSG_SG_EEES6_PlJNSB_9not_fun_tINSB_14equal_to_valueIxEEEEEEE10hipError_tPvRmT3_T4_T5_T6_T7_T9_mT8_P12ihipStream_tbDpT10_ENKUlT_T0_E_clISt17integral_constantIbLb1EES1A_IbLb0EEEEDaS16_S17_EUlS16_E_NS1_11comp_targetILNS1_3genE0ELNS1_11target_archE4294967295ELNS1_3gpuE0ELNS1_3repE0EEENS1_30default_config_static_selectorELNS0_4arch9wavefront6targetE0EEEvT1_,comdat
.Lfunc_end1741:
	.size	_ZN7rocprim17ROCPRIM_400000_NS6detail17trampoline_kernelINS0_14default_configENS1_25partition_config_selectorILNS1_17partition_subalgoE6ExNS0_10empty_typeEbEEZZNS1_14partition_implILS5_6ELb0ES3_mN6thrust23THRUST_200600_302600_NS6detail15normal_iteratorINSA_10device_ptrIxEEEEPS6_SG_NS0_5tupleIJNSA_16discard_iteratorINSA_11use_defaultEEES6_EEENSH_IJSG_SG_EEES6_PlJNSB_9not_fun_tINSB_14equal_to_valueIxEEEEEEE10hipError_tPvRmT3_T4_T5_T6_T7_T9_mT8_P12ihipStream_tbDpT10_ENKUlT_T0_E_clISt17integral_constantIbLb1EES1A_IbLb0EEEEDaS16_S17_EUlS16_E_NS1_11comp_targetILNS1_3genE0ELNS1_11target_archE4294967295ELNS1_3gpuE0ELNS1_3repE0EEENS1_30default_config_static_selectorELNS0_4arch9wavefront6targetE0EEEvT1_, .Lfunc_end1741-_ZN7rocprim17ROCPRIM_400000_NS6detail17trampoline_kernelINS0_14default_configENS1_25partition_config_selectorILNS1_17partition_subalgoE6ExNS0_10empty_typeEbEEZZNS1_14partition_implILS5_6ELb0ES3_mN6thrust23THRUST_200600_302600_NS6detail15normal_iteratorINSA_10device_ptrIxEEEEPS6_SG_NS0_5tupleIJNSA_16discard_iteratorINSA_11use_defaultEEES6_EEENSH_IJSG_SG_EEES6_PlJNSB_9not_fun_tINSB_14equal_to_valueIxEEEEEEE10hipError_tPvRmT3_T4_T5_T6_T7_T9_mT8_P12ihipStream_tbDpT10_ENKUlT_T0_E_clISt17integral_constantIbLb1EES1A_IbLb0EEEEDaS16_S17_EUlS16_E_NS1_11comp_targetILNS1_3genE0ELNS1_11target_archE4294967295ELNS1_3gpuE0ELNS1_3repE0EEENS1_30default_config_static_selectorELNS0_4arch9wavefront6targetE0EEEvT1_
                                        ; -- End function
	.set _ZN7rocprim17ROCPRIM_400000_NS6detail17trampoline_kernelINS0_14default_configENS1_25partition_config_selectorILNS1_17partition_subalgoE6ExNS0_10empty_typeEbEEZZNS1_14partition_implILS5_6ELb0ES3_mN6thrust23THRUST_200600_302600_NS6detail15normal_iteratorINSA_10device_ptrIxEEEEPS6_SG_NS0_5tupleIJNSA_16discard_iteratorINSA_11use_defaultEEES6_EEENSH_IJSG_SG_EEES6_PlJNSB_9not_fun_tINSB_14equal_to_valueIxEEEEEEE10hipError_tPvRmT3_T4_T5_T6_T7_T9_mT8_P12ihipStream_tbDpT10_ENKUlT_T0_E_clISt17integral_constantIbLb1EES1A_IbLb0EEEEDaS16_S17_EUlS16_E_NS1_11comp_targetILNS1_3genE0ELNS1_11target_archE4294967295ELNS1_3gpuE0ELNS1_3repE0EEENS1_30default_config_static_selectorELNS0_4arch9wavefront6targetE0EEEvT1_.num_vgpr, 0
	.set _ZN7rocprim17ROCPRIM_400000_NS6detail17trampoline_kernelINS0_14default_configENS1_25partition_config_selectorILNS1_17partition_subalgoE6ExNS0_10empty_typeEbEEZZNS1_14partition_implILS5_6ELb0ES3_mN6thrust23THRUST_200600_302600_NS6detail15normal_iteratorINSA_10device_ptrIxEEEEPS6_SG_NS0_5tupleIJNSA_16discard_iteratorINSA_11use_defaultEEES6_EEENSH_IJSG_SG_EEES6_PlJNSB_9not_fun_tINSB_14equal_to_valueIxEEEEEEE10hipError_tPvRmT3_T4_T5_T6_T7_T9_mT8_P12ihipStream_tbDpT10_ENKUlT_T0_E_clISt17integral_constantIbLb1EES1A_IbLb0EEEEDaS16_S17_EUlS16_E_NS1_11comp_targetILNS1_3genE0ELNS1_11target_archE4294967295ELNS1_3gpuE0ELNS1_3repE0EEENS1_30default_config_static_selectorELNS0_4arch9wavefront6targetE0EEEvT1_.num_agpr, 0
	.set _ZN7rocprim17ROCPRIM_400000_NS6detail17trampoline_kernelINS0_14default_configENS1_25partition_config_selectorILNS1_17partition_subalgoE6ExNS0_10empty_typeEbEEZZNS1_14partition_implILS5_6ELb0ES3_mN6thrust23THRUST_200600_302600_NS6detail15normal_iteratorINSA_10device_ptrIxEEEEPS6_SG_NS0_5tupleIJNSA_16discard_iteratorINSA_11use_defaultEEES6_EEENSH_IJSG_SG_EEES6_PlJNSB_9not_fun_tINSB_14equal_to_valueIxEEEEEEE10hipError_tPvRmT3_T4_T5_T6_T7_T9_mT8_P12ihipStream_tbDpT10_ENKUlT_T0_E_clISt17integral_constantIbLb1EES1A_IbLb0EEEEDaS16_S17_EUlS16_E_NS1_11comp_targetILNS1_3genE0ELNS1_11target_archE4294967295ELNS1_3gpuE0ELNS1_3repE0EEENS1_30default_config_static_selectorELNS0_4arch9wavefront6targetE0EEEvT1_.numbered_sgpr, 0
	.set _ZN7rocprim17ROCPRIM_400000_NS6detail17trampoline_kernelINS0_14default_configENS1_25partition_config_selectorILNS1_17partition_subalgoE6ExNS0_10empty_typeEbEEZZNS1_14partition_implILS5_6ELb0ES3_mN6thrust23THRUST_200600_302600_NS6detail15normal_iteratorINSA_10device_ptrIxEEEEPS6_SG_NS0_5tupleIJNSA_16discard_iteratorINSA_11use_defaultEEES6_EEENSH_IJSG_SG_EEES6_PlJNSB_9not_fun_tINSB_14equal_to_valueIxEEEEEEE10hipError_tPvRmT3_T4_T5_T6_T7_T9_mT8_P12ihipStream_tbDpT10_ENKUlT_T0_E_clISt17integral_constantIbLb1EES1A_IbLb0EEEEDaS16_S17_EUlS16_E_NS1_11comp_targetILNS1_3genE0ELNS1_11target_archE4294967295ELNS1_3gpuE0ELNS1_3repE0EEENS1_30default_config_static_selectorELNS0_4arch9wavefront6targetE0EEEvT1_.num_named_barrier, 0
	.set _ZN7rocprim17ROCPRIM_400000_NS6detail17trampoline_kernelINS0_14default_configENS1_25partition_config_selectorILNS1_17partition_subalgoE6ExNS0_10empty_typeEbEEZZNS1_14partition_implILS5_6ELb0ES3_mN6thrust23THRUST_200600_302600_NS6detail15normal_iteratorINSA_10device_ptrIxEEEEPS6_SG_NS0_5tupleIJNSA_16discard_iteratorINSA_11use_defaultEEES6_EEENSH_IJSG_SG_EEES6_PlJNSB_9not_fun_tINSB_14equal_to_valueIxEEEEEEE10hipError_tPvRmT3_T4_T5_T6_T7_T9_mT8_P12ihipStream_tbDpT10_ENKUlT_T0_E_clISt17integral_constantIbLb1EES1A_IbLb0EEEEDaS16_S17_EUlS16_E_NS1_11comp_targetILNS1_3genE0ELNS1_11target_archE4294967295ELNS1_3gpuE0ELNS1_3repE0EEENS1_30default_config_static_selectorELNS0_4arch9wavefront6targetE0EEEvT1_.private_seg_size, 0
	.set _ZN7rocprim17ROCPRIM_400000_NS6detail17trampoline_kernelINS0_14default_configENS1_25partition_config_selectorILNS1_17partition_subalgoE6ExNS0_10empty_typeEbEEZZNS1_14partition_implILS5_6ELb0ES3_mN6thrust23THRUST_200600_302600_NS6detail15normal_iteratorINSA_10device_ptrIxEEEEPS6_SG_NS0_5tupleIJNSA_16discard_iteratorINSA_11use_defaultEEES6_EEENSH_IJSG_SG_EEES6_PlJNSB_9not_fun_tINSB_14equal_to_valueIxEEEEEEE10hipError_tPvRmT3_T4_T5_T6_T7_T9_mT8_P12ihipStream_tbDpT10_ENKUlT_T0_E_clISt17integral_constantIbLb1EES1A_IbLb0EEEEDaS16_S17_EUlS16_E_NS1_11comp_targetILNS1_3genE0ELNS1_11target_archE4294967295ELNS1_3gpuE0ELNS1_3repE0EEENS1_30default_config_static_selectorELNS0_4arch9wavefront6targetE0EEEvT1_.uses_vcc, 0
	.set _ZN7rocprim17ROCPRIM_400000_NS6detail17trampoline_kernelINS0_14default_configENS1_25partition_config_selectorILNS1_17partition_subalgoE6ExNS0_10empty_typeEbEEZZNS1_14partition_implILS5_6ELb0ES3_mN6thrust23THRUST_200600_302600_NS6detail15normal_iteratorINSA_10device_ptrIxEEEEPS6_SG_NS0_5tupleIJNSA_16discard_iteratorINSA_11use_defaultEEES6_EEENSH_IJSG_SG_EEES6_PlJNSB_9not_fun_tINSB_14equal_to_valueIxEEEEEEE10hipError_tPvRmT3_T4_T5_T6_T7_T9_mT8_P12ihipStream_tbDpT10_ENKUlT_T0_E_clISt17integral_constantIbLb1EES1A_IbLb0EEEEDaS16_S17_EUlS16_E_NS1_11comp_targetILNS1_3genE0ELNS1_11target_archE4294967295ELNS1_3gpuE0ELNS1_3repE0EEENS1_30default_config_static_selectorELNS0_4arch9wavefront6targetE0EEEvT1_.uses_flat_scratch, 0
	.set _ZN7rocprim17ROCPRIM_400000_NS6detail17trampoline_kernelINS0_14default_configENS1_25partition_config_selectorILNS1_17partition_subalgoE6ExNS0_10empty_typeEbEEZZNS1_14partition_implILS5_6ELb0ES3_mN6thrust23THRUST_200600_302600_NS6detail15normal_iteratorINSA_10device_ptrIxEEEEPS6_SG_NS0_5tupleIJNSA_16discard_iteratorINSA_11use_defaultEEES6_EEENSH_IJSG_SG_EEES6_PlJNSB_9not_fun_tINSB_14equal_to_valueIxEEEEEEE10hipError_tPvRmT3_T4_T5_T6_T7_T9_mT8_P12ihipStream_tbDpT10_ENKUlT_T0_E_clISt17integral_constantIbLb1EES1A_IbLb0EEEEDaS16_S17_EUlS16_E_NS1_11comp_targetILNS1_3genE0ELNS1_11target_archE4294967295ELNS1_3gpuE0ELNS1_3repE0EEENS1_30default_config_static_selectorELNS0_4arch9wavefront6targetE0EEEvT1_.has_dyn_sized_stack, 0
	.set _ZN7rocprim17ROCPRIM_400000_NS6detail17trampoline_kernelINS0_14default_configENS1_25partition_config_selectorILNS1_17partition_subalgoE6ExNS0_10empty_typeEbEEZZNS1_14partition_implILS5_6ELb0ES3_mN6thrust23THRUST_200600_302600_NS6detail15normal_iteratorINSA_10device_ptrIxEEEEPS6_SG_NS0_5tupleIJNSA_16discard_iteratorINSA_11use_defaultEEES6_EEENSH_IJSG_SG_EEES6_PlJNSB_9not_fun_tINSB_14equal_to_valueIxEEEEEEE10hipError_tPvRmT3_T4_T5_T6_T7_T9_mT8_P12ihipStream_tbDpT10_ENKUlT_T0_E_clISt17integral_constantIbLb1EES1A_IbLb0EEEEDaS16_S17_EUlS16_E_NS1_11comp_targetILNS1_3genE0ELNS1_11target_archE4294967295ELNS1_3gpuE0ELNS1_3repE0EEENS1_30default_config_static_selectorELNS0_4arch9wavefront6targetE0EEEvT1_.has_recursion, 0
	.set _ZN7rocprim17ROCPRIM_400000_NS6detail17trampoline_kernelINS0_14default_configENS1_25partition_config_selectorILNS1_17partition_subalgoE6ExNS0_10empty_typeEbEEZZNS1_14partition_implILS5_6ELb0ES3_mN6thrust23THRUST_200600_302600_NS6detail15normal_iteratorINSA_10device_ptrIxEEEEPS6_SG_NS0_5tupleIJNSA_16discard_iteratorINSA_11use_defaultEEES6_EEENSH_IJSG_SG_EEES6_PlJNSB_9not_fun_tINSB_14equal_to_valueIxEEEEEEE10hipError_tPvRmT3_T4_T5_T6_T7_T9_mT8_P12ihipStream_tbDpT10_ENKUlT_T0_E_clISt17integral_constantIbLb1EES1A_IbLb0EEEEDaS16_S17_EUlS16_E_NS1_11comp_targetILNS1_3genE0ELNS1_11target_archE4294967295ELNS1_3gpuE0ELNS1_3repE0EEENS1_30default_config_static_selectorELNS0_4arch9wavefront6targetE0EEEvT1_.has_indirect_call, 0
	.section	.AMDGPU.csdata,"",@progbits
; Kernel info:
; codeLenInByte = 0
; TotalNumSgprs: 0
; NumVgprs: 0
; ScratchSize: 0
; MemoryBound: 0
; FloatMode: 240
; IeeeMode: 1
; LDSByteSize: 0 bytes/workgroup (compile time only)
; SGPRBlocks: 0
; VGPRBlocks: 0
; NumSGPRsForWavesPerEU: 1
; NumVGPRsForWavesPerEU: 1
; Occupancy: 16
; WaveLimiterHint : 0
; COMPUTE_PGM_RSRC2:SCRATCH_EN: 0
; COMPUTE_PGM_RSRC2:USER_SGPR: 2
; COMPUTE_PGM_RSRC2:TRAP_HANDLER: 0
; COMPUTE_PGM_RSRC2:TGID_X_EN: 1
; COMPUTE_PGM_RSRC2:TGID_Y_EN: 0
; COMPUTE_PGM_RSRC2:TGID_Z_EN: 0
; COMPUTE_PGM_RSRC2:TIDIG_COMP_CNT: 0
	.section	.text._ZN7rocprim17ROCPRIM_400000_NS6detail17trampoline_kernelINS0_14default_configENS1_25partition_config_selectorILNS1_17partition_subalgoE6ExNS0_10empty_typeEbEEZZNS1_14partition_implILS5_6ELb0ES3_mN6thrust23THRUST_200600_302600_NS6detail15normal_iteratorINSA_10device_ptrIxEEEEPS6_SG_NS0_5tupleIJNSA_16discard_iteratorINSA_11use_defaultEEES6_EEENSH_IJSG_SG_EEES6_PlJNSB_9not_fun_tINSB_14equal_to_valueIxEEEEEEE10hipError_tPvRmT3_T4_T5_T6_T7_T9_mT8_P12ihipStream_tbDpT10_ENKUlT_T0_E_clISt17integral_constantIbLb1EES1A_IbLb0EEEEDaS16_S17_EUlS16_E_NS1_11comp_targetILNS1_3genE5ELNS1_11target_archE942ELNS1_3gpuE9ELNS1_3repE0EEENS1_30default_config_static_selectorELNS0_4arch9wavefront6targetE0EEEvT1_,"axG",@progbits,_ZN7rocprim17ROCPRIM_400000_NS6detail17trampoline_kernelINS0_14default_configENS1_25partition_config_selectorILNS1_17partition_subalgoE6ExNS0_10empty_typeEbEEZZNS1_14partition_implILS5_6ELb0ES3_mN6thrust23THRUST_200600_302600_NS6detail15normal_iteratorINSA_10device_ptrIxEEEEPS6_SG_NS0_5tupleIJNSA_16discard_iteratorINSA_11use_defaultEEES6_EEENSH_IJSG_SG_EEES6_PlJNSB_9not_fun_tINSB_14equal_to_valueIxEEEEEEE10hipError_tPvRmT3_T4_T5_T6_T7_T9_mT8_P12ihipStream_tbDpT10_ENKUlT_T0_E_clISt17integral_constantIbLb1EES1A_IbLb0EEEEDaS16_S17_EUlS16_E_NS1_11comp_targetILNS1_3genE5ELNS1_11target_archE942ELNS1_3gpuE9ELNS1_3repE0EEENS1_30default_config_static_selectorELNS0_4arch9wavefront6targetE0EEEvT1_,comdat
	.protected	_ZN7rocprim17ROCPRIM_400000_NS6detail17trampoline_kernelINS0_14default_configENS1_25partition_config_selectorILNS1_17partition_subalgoE6ExNS0_10empty_typeEbEEZZNS1_14partition_implILS5_6ELb0ES3_mN6thrust23THRUST_200600_302600_NS6detail15normal_iteratorINSA_10device_ptrIxEEEEPS6_SG_NS0_5tupleIJNSA_16discard_iteratorINSA_11use_defaultEEES6_EEENSH_IJSG_SG_EEES6_PlJNSB_9not_fun_tINSB_14equal_to_valueIxEEEEEEE10hipError_tPvRmT3_T4_T5_T6_T7_T9_mT8_P12ihipStream_tbDpT10_ENKUlT_T0_E_clISt17integral_constantIbLb1EES1A_IbLb0EEEEDaS16_S17_EUlS16_E_NS1_11comp_targetILNS1_3genE5ELNS1_11target_archE942ELNS1_3gpuE9ELNS1_3repE0EEENS1_30default_config_static_selectorELNS0_4arch9wavefront6targetE0EEEvT1_ ; -- Begin function _ZN7rocprim17ROCPRIM_400000_NS6detail17trampoline_kernelINS0_14default_configENS1_25partition_config_selectorILNS1_17partition_subalgoE6ExNS0_10empty_typeEbEEZZNS1_14partition_implILS5_6ELb0ES3_mN6thrust23THRUST_200600_302600_NS6detail15normal_iteratorINSA_10device_ptrIxEEEEPS6_SG_NS0_5tupleIJNSA_16discard_iteratorINSA_11use_defaultEEES6_EEENSH_IJSG_SG_EEES6_PlJNSB_9not_fun_tINSB_14equal_to_valueIxEEEEEEE10hipError_tPvRmT3_T4_T5_T6_T7_T9_mT8_P12ihipStream_tbDpT10_ENKUlT_T0_E_clISt17integral_constantIbLb1EES1A_IbLb0EEEEDaS16_S17_EUlS16_E_NS1_11comp_targetILNS1_3genE5ELNS1_11target_archE942ELNS1_3gpuE9ELNS1_3repE0EEENS1_30default_config_static_selectorELNS0_4arch9wavefront6targetE0EEEvT1_
	.globl	_ZN7rocprim17ROCPRIM_400000_NS6detail17trampoline_kernelINS0_14default_configENS1_25partition_config_selectorILNS1_17partition_subalgoE6ExNS0_10empty_typeEbEEZZNS1_14partition_implILS5_6ELb0ES3_mN6thrust23THRUST_200600_302600_NS6detail15normal_iteratorINSA_10device_ptrIxEEEEPS6_SG_NS0_5tupleIJNSA_16discard_iteratorINSA_11use_defaultEEES6_EEENSH_IJSG_SG_EEES6_PlJNSB_9not_fun_tINSB_14equal_to_valueIxEEEEEEE10hipError_tPvRmT3_T4_T5_T6_T7_T9_mT8_P12ihipStream_tbDpT10_ENKUlT_T0_E_clISt17integral_constantIbLb1EES1A_IbLb0EEEEDaS16_S17_EUlS16_E_NS1_11comp_targetILNS1_3genE5ELNS1_11target_archE942ELNS1_3gpuE9ELNS1_3repE0EEENS1_30default_config_static_selectorELNS0_4arch9wavefront6targetE0EEEvT1_
	.p2align	8
	.type	_ZN7rocprim17ROCPRIM_400000_NS6detail17trampoline_kernelINS0_14default_configENS1_25partition_config_selectorILNS1_17partition_subalgoE6ExNS0_10empty_typeEbEEZZNS1_14partition_implILS5_6ELb0ES3_mN6thrust23THRUST_200600_302600_NS6detail15normal_iteratorINSA_10device_ptrIxEEEEPS6_SG_NS0_5tupleIJNSA_16discard_iteratorINSA_11use_defaultEEES6_EEENSH_IJSG_SG_EEES6_PlJNSB_9not_fun_tINSB_14equal_to_valueIxEEEEEEE10hipError_tPvRmT3_T4_T5_T6_T7_T9_mT8_P12ihipStream_tbDpT10_ENKUlT_T0_E_clISt17integral_constantIbLb1EES1A_IbLb0EEEEDaS16_S17_EUlS16_E_NS1_11comp_targetILNS1_3genE5ELNS1_11target_archE942ELNS1_3gpuE9ELNS1_3repE0EEENS1_30default_config_static_selectorELNS0_4arch9wavefront6targetE0EEEvT1_,@function
_ZN7rocprim17ROCPRIM_400000_NS6detail17trampoline_kernelINS0_14default_configENS1_25partition_config_selectorILNS1_17partition_subalgoE6ExNS0_10empty_typeEbEEZZNS1_14partition_implILS5_6ELb0ES3_mN6thrust23THRUST_200600_302600_NS6detail15normal_iteratorINSA_10device_ptrIxEEEEPS6_SG_NS0_5tupleIJNSA_16discard_iteratorINSA_11use_defaultEEES6_EEENSH_IJSG_SG_EEES6_PlJNSB_9not_fun_tINSB_14equal_to_valueIxEEEEEEE10hipError_tPvRmT3_T4_T5_T6_T7_T9_mT8_P12ihipStream_tbDpT10_ENKUlT_T0_E_clISt17integral_constantIbLb1EES1A_IbLb0EEEEDaS16_S17_EUlS16_E_NS1_11comp_targetILNS1_3genE5ELNS1_11target_archE942ELNS1_3gpuE9ELNS1_3repE0EEENS1_30default_config_static_selectorELNS0_4arch9wavefront6targetE0EEEvT1_: ; @_ZN7rocprim17ROCPRIM_400000_NS6detail17trampoline_kernelINS0_14default_configENS1_25partition_config_selectorILNS1_17partition_subalgoE6ExNS0_10empty_typeEbEEZZNS1_14partition_implILS5_6ELb0ES3_mN6thrust23THRUST_200600_302600_NS6detail15normal_iteratorINSA_10device_ptrIxEEEEPS6_SG_NS0_5tupleIJNSA_16discard_iteratorINSA_11use_defaultEEES6_EEENSH_IJSG_SG_EEES6_PlJNSB_9not_fun_tINSB_14equal_to_valueIxEEEEEEE10hipError_tPvRmT3_T4_T5_T6_T7_T9_mT8_P12ihipStream_tbDpT10_ENKUlT_T0_E_clISt17integral_constantIbLb1EES1A_IbLb0EEEEDaS16_S17_EUlS16_E_NS1_11comp_targetILNS1_3genE5ELNS1_11target_archE942ELNS1_3gpuE9ELNS1_3repE0EEENS1_30default_config_static_selectorELNS0_4arch9wavefront6targetE0EEEvT1_
; %bb.0:
	.section	.rodata,"a",@progbits
	.p2align	6, 0x0
	.amdhsa_kernel _ZN7rocprim17ROCPRIM_400000_NS6detail17trampoline_kernelINS0_14default_configENS1_25partition_config_selectorILNS1_17partition_subalgoE6ExNS0_10empty_typeEbEEZZNS1_14partition_implILS5_6ELb0ES3_mN6thrust23THRUST_200600_302600_NS6detail15normal_iteratorINSA_10device_ptrIxEEEEPS6_SG_NS0_5tupleIJNSA_16discard_iteratorINSA_11use_defaultEEES6_EEENSH_IJSG_SG_EEES6_PlJNSB_9not_fun_tINSB_14equal_to_valueIxEEEEEEE10hipError_tPvRmT3_T4_T5_T6_T7_T9_mT8_P12ihipStream_tbDpT10_ENKUlT_T0_E_clISt17integral_constantIbLb1EES1A_IbLb0EEEEDaS16_S17_EUlS16_E_NS1_11comp_targetILNS1_3genE5ELNS1_11target_archE942ELNS1_3gpuE9ELNS1_3repE0EEENS1_30default_config_static_selectorELNS0_4arch9wavefront6targetE0EEEvT1_
		.amdhsa_group_segment_fixed_size 0
		.amdhsa_private_segment_fixed_size 0
		.amdhsa_kernarg_size 128
		.amdhsa_user_sgpr_count 2
		.amdhsa_user_sgpr_dispatch_ptr 0
		.amdhsa_user_sgpr_queue_ptr 0
		.amdhsa_user_sgpr_kernarg_segment_ptr 1
		.amdhsa_user_sgpr_dispatch_id 0
		.amdhsa_user_sgpr_private_segment_size 0
		.amdhsa_wavefront_size32 1
		.amdhsa_uses_dynamic_stack 0
		.amdhsa_enable_private_segment 0
		.amdhsa_system_sgpr_workgroup_id_x 1
		.amdhsa_system_sgpr_workgroup_id_y 0
		.amdhsa_system_sgpr_workgroup_id_z 0
		.amdhsa_system_sgpr_workgroup_info 0
		.amdhsa_system_vgpr_workitem_id 0
		.amdhsa_next_free_vgpr 1
		.amdhsa_next_free_sgpr 1
		.amdhsa_reserve_vcc 0
		.amdhsa_float_round_mode_32 0
		.amdhsa_float_round_mode_16_64 0
		.amdhsa_float_denorm_mode_32 3
		.amdhsa_float_denorm_mode_16_64 3
		.amdhsa_fp16_overflow 0
		.amdhsa_workgroup_processor_mode 1
		.amdhsa_memory_ordered 1
		.amdhsa_forward_progress 1
		.amdhsa_inst_pref_size 0
		.amdhsa_round_robin_scheduling 0
		.amdhsa_exception_fp_ieee_invalid_op 0
		.amdhsa_exception_fp_denorm_src 0
		.amdhsa_exception_fp_ieee_div_zero 0
		.amdhsa_exception_fp_ieee_overflow 0
		.amdhsa_exception_fp_ieee_underflow 0
		.amdhsa_exception_fp_ieee_inexact 0
		.amdhsa_exception_int_div_zero 0
	.end_amdhsa_kernel
	.section	.text._ZN7rocprim17ROCPRIM_400000_NS6detail17trampoline_kernelINS0_14default_configENS1_25partition_config_selectorILNS1_17partition_subalgoE6ExNS0_10empty_typeEbEEZZNS1_14partition_implILS5_6ELb0ES3_mN6thrust23THRUST_200600_302600_NS6detail15normal_iteratorINSA_10device_ptrIxEEEEPS6_SG_NS0_5tupleIJNSA_16discard_iteratorINSA_11use_defaultEEES6_EEENSH_IJSG_SG_EEES6_PlJNSB_9not_fun_tINSB_14equal_to_valueIxEEEEEEE10hipError_tPvRmT3_T4_T5_T6_T7_T9_mT8_P12ihipStream_tbDpT10_ENKUlT_T0_E_clISt17integral_constantIbLb1EES1A_IbLb0EEEEDaS16_S17_EUlS16_E_NS1_11comp_targetILNS1_3genE5ELNS1_11target_archE942ELNS1_3gpuE9ELNS1_3repE0EEENS1_30default_config_static_selectorELNS0_4arch9wavefront6targetE0EEEvT1_,"axG",@progbits,_ZN7rocprim17ROCPRIM_400000_NS6detail17trampoline_kernelINS0_14default_configENS1_25partition_config_selectorILNS1_17partition_subalgoE6ExNS0_10empty_typeEbEEZZNS1_14partition_implILS5_6ELb0ES3_mN6thrust23THRUST_200600_302600_NS6detail15normal_iteratorINSA_10device_ptrIxEEEEPS6_SG_NS0_5tupleIJNSA_16discard_iteratorINSA_11use_defaultEEES6_EEENSH_IJSG_SG_EEES6_PlJNSB_9not_fun_tINSB_14equal_to_valueIxEEEEEEE10hipError_tPvRmT3_T4_T5_T6_T7_T9_mT8_P12ihipStream_tbDpT10_ENKUlT_T0_E_clISt17integral_constantIbLb1EES1A_IbLb0EEEEDaS16_S17_EUlS16_E_NS1_11comp_targetILNS1_3genE5ELNS1_11target_archE942ELNS1_3gpuE9ELNS1_3repE0EEENS1_30default_config_static_selectorELNS0_4arch9wavefront6targetE0EEEvT1_,comdat
.Lfunc_end1742:
	.size	_ZN7rocprim17ROCPRIM_400000_NS6detail17trampoline_kernelINS0_14default_configENS1_25partition_config_selectorILNS1_17partition_subalgoE6ExNS0_10empty_typeEbEEZZNS1_14partition_implILS5_6ELb0ES3_mN6thrust23THRUST_200600_302600_NS6detail15normal_iteratorINSA_10device_ptrIxEEEEPS6_SG_NS0_5tupleIJNSA_16discard_iteratorINSA_11use_defaultEEES6_EEENSH_IJSG_SG_EEES6_PlJNSB_9not_fun_tINSB_14equal_to_valueIxEEEEEEE10hipError_tPvRmT3_T4_T5_T6_T7_T9_mT8_P12ihipStream_tbDpT10_ENKUlT_T0_E_clISt17integral_constantIbLb1EES1A_IbLb0EEEEDaS16_S17_EUlS16_E_NS1_11comp_targetILNS1_3genE5ELNS1_11target_archE942ELNS1_3gpuE9ELNS1_3repE0EEENS1_30default_config_static_selectorELNS0_4arch9wavefront6targetE0EEEvT1_, .Lfunc_end1742-_ZN7rocprim17ROCPRIM_400000_NS6detail17trampoline_kernelINS0_14default_configENS1_25partition_config_selectorILNS1_17partition_subalgoE6ExNS0_10empty_typeEbEEZZNS1_14partition_implILS5_6ELb0ES3_mN6thrust23THRUST_200600_302600_NS6detail15normal_iteratorINSA_10device_ptrIxEEEEPS6_SG_NS0_5tupleIJNSA_16discard_iteratorINSA_11use_defaultEEES6_EEENSH_IJSG_SG_EEES6_PlJNSB_9not_fun_tINSB_14equal_to_valueIxEEEEEEE10hipError_tPvRmT3_T4_T5_T6_T7_T9_mT8_P12ihipStream_tbDpT10_ENKUlT_T0_E_clISt17integral_constantIbLb1EES1A_IbLb0EEEEDaS16_S17_EUlS16_E_NS1_11comp_targetILNS1_3genE5ELNS1_11target_archE942ELNS1_3gpuE9ELNS1_3repE0EEENS1_30default_config_static_selectorELNS0_4arch9wavefront6targetE0EEEvT1_
                                        ; -- End function
	.set _ZN7rocprim17ROCPRIM_400000_NS6detail17trampoline_kernelINS0_14default_configENS1_25partition_config_selectorILNS1_17partition_subalgoE6ExNS0_10empty_typeEbEEZZNS1_14partition_implILS5_6ELb0ES3_mN6thrust23THRUST_200600_302600_NS6detail15normal_iteratorINSA_10device_ptrIxEEEEPS6_SG_NS0_5tupleIJNSA_16discard_iteratorINSA_11use_defaultEEES6_EEENSH_IJSG_SG_EEES6_PlJNSB_9not_fun_tINSB_14equal_to_valueIxEEEEEEE10hipError_tPvRmT3_T4_T5_T6_T7_T9_mT8_P12ihipStream_tbDpT10_ENKUlT_T0_E_clISt17integral_constantIbLb1EES1A_IbLb0EEEEDaS16_S17_EUlS16_E_NS1_11comp_targetILNS1_3genE5ELNS1_11target_archE942ELNS1_3gpuE9ELNS1_3repE0EEENS1_30default_config_static_selectorELNS0_4arch9wavefront6targetE0EEEvT1_.num_vgpr, 0
	.set _ZN7rocprim17ROCPRIM_400000_NS6detail17trampoline_kernelINS0_14default_configENS1_25partition_config_selectorILNS1_17partition_subalgoE6ExNS0_10empty_typeEbEEZZNS1_14partition_implILS5_6ELb0ES3_mN6thrust23THRUST_200600_302600_NS6detail15normal_iteratorINSA_10device_ptrIxEEEEPS6_SG_NS0_5tupleIJNSA_16discard_iteratorINSA_11use_defaultEEES6_EEENSH_IJSG_SG_EEES6_PlJNSB_9not_fun_tINSB_14equal_to_valueIxEEEEEEE10hipError_tPvRmT3_T4_T5_T6_T7_T9_mT8_P12ihipStream_tbDpT10_ENKUlT_T0_E_clISt17integral_constantIbLb1EES1A_IbLb0EEEEDaS16_S17_EUlS16_E_NS1_11comp_targetILNS1_3genE5ELNS1_11target_archE942ELNS1_3gpuE9ELNS1_3repE0EEENS1_30default_config_static_selectorELNS0_4arch9wavefront6targetE0EEEvT1_.num_agpr, 0
	.set _ZN7rocprim17ROCPRIM_400000_NS6detail17trampoline_kernelINS0_14default_configENS1_25partition_config_selectorILNS1_17partition_subalgoE6ExNS0_10empty_typeEbEEZZNS1_14partition_implILS5_6ELb0ES3_mN6thrust23THRUST_200600_302600_NS6detail15normal_iteratorINSA_10device_ptrIxEEEEPS6_SG_NS0_5tupleIJNSA_16discard_iteratorINSA_11use_defaultEEES6_EEENSH_IJSG_SG_EEES6_PlJNSB_9not_fun_tINSB_14equal_to_valueIxEEEEEEE10hipError_tPvRmT3_T4_T5_T6_T7_T9_mT8_P12ihipStream_tbDpT10_ENKUlT_T0_E_clISt17integral_constantIbLb1EES1A_IbLb0EEEEDaS16_S17_EUlS16_E_NS1_11comp_targetILNS1_3genE5ELNS1_11target_archE942ELNS1_3gpuE9ELNS1_3repE0EEENS1_30default_config_static_selectorELNS0_4arch9wavefront6targetE0EEEvT1_.numbered_sgpr, 0
	.set _ZN7rocprim17ROCPRIM_400000_NS6detail17trampoline_kernelINS0_14default_configENS1_25partition_config_selectorILNS1_17partition_subalgoE6ExNS0_10empty_typeEbEEZZNS1_14partition_implILS5_6ELb0ES3_mN6thrust23THRUST_200600_302600_NS6detail15normal_iteratorINSA_10device_ptrIxEEEEPS6_SG_NS0_5tupleIJNSA_16discard_iteratorINSA_11use_defaultEEES6_EEENSH_IJSG_SG_EEES6_PlJNSB_9not_fun_tINSB_14equal_to_valueIxEEEEEEE10hipError_tPvRmT3_T4_T5_T6_T7_T9_mT8_P12ihipStream_tbDpT10_ENKUlT_T0_E_clISt17integral_constantIbLb1EES1A_IbLb0EEEEDaS16_S17_EUlS16_E_NS1_11comp_targetILNS1_3genE5ELNS1_11target_archE942ELNS1_3gpuE9ELNS1_3repE0EEENS1_30default_config_static_selectorELNS0_4arch9wavefront6targetE0EEEvT1_.num_named_barrier, 0
	.set _ZN7rocprim17ROCPRIM_400000_NS6detail17trampoline_kernelINS0_14default_configENS1_25partition_config_selectorILNS1_17partition_subalgoE6ExNS0_10empty_typeEbEEZZNS1_14partition_implILS5_6ELb0ES3_mN6thrust23THRUST_200600_302600_NS6detail15normal_iteratorINSA_10device_ptrIxEEEEPS6_SG_NS0_5tupleIJNSA_16discard_iteratorINSA_11use_defaultEEES6_EEENSH_IJSG_SG_EEES6_PlJNSB_9not_fun_tINSB_14equal_to_valueIxEEEEEEE10hipError_tPvRmT3_T4_T5_T6_T7_T9_mT8_P12ihipStream_tbDpT10_ENKUlT_T0_E_clISt17integral_constantIbLb1EES1A_IbLb0EEEEDaS16_S17_EUlS16_E_NS1_11comp_targetILNS1_3genE5ELNS1_11target_archE942ELNS1_3gpuE9ELNS1_3repE0EEENS1_30default_config_static_selectorELNS0_4arch9wavefront6targetE0EEEvT1_.private_seg_size, 0
	.set _ZN7rocprim17ROCPRIM_400000_NS6detail17trampoline_kernelINS0_14default_configENS1_25partition_config_selectorILNS1_17partition_subalgoE6ExNS0_10empty_typeEbEEZZNS1_14partition_implILS5_6ELb0ES3_mN6thrust23THRUST_200600_302600_NS6detail15normal_iteratorINSA_10device_ptrIxEEEEPS6_SG_NS0_5tupleIJNSA_16discard_iteratorINSA_11use_defaultEEES6_EEENSH_IJSG_SG_EEES6_PlJNSB_9not_fun_tINSB_14equal_to_valueIxEEEEEEE10hipError_tPvRmT3_T4_T5_T6_T7_T9_mT8_P12ihipStream_tbDpT10_ENKUlT_T0_E_clISt17integral_constantIbLb1EES1A_IbLb0EEEEDaS16_S17_EUlS16_E_NS1_11comp_targetILNS1_3genE5ELNS1_11target_archE942ELNS1_3gpuE9ELNS1_3repE0EEENS1_30default_config_static_selectorELNS0_4arch9wavefront6targetE0EEEvT1_.uses_vcc, 0
	.set _ZN7rocprim17ROCPRIM_400000_NS6detail17trampoline_kernelINS0_14default_configENS1_25partition_config_selectorILNS1_17partition_subalgoE6ExNS0_10empty_typeEbEEZZNS1_14partition_implILS5_6ELb0ES3_mN6thrust23THRUST_200600_302600_NS6detail15normal_iteratorINSA_10device_ptrIxEEEEPS6_SG_NS0_5tupleIJNSA_16discard_iteratorINSA_11use_defaultEEES6_EEENSH_IJSG_SG_EEES6_PlJNSB_9not_fun_tINSB_14equal_to_valueIxEEEEEEE10hipError_tPvRmT3_T4_T5_T6_T7_T9_mT8_P12ihipStream_tbDpT10_ENKUlT_T0_E_clISt17integral_constantIbLb1EES1A_IbLb0EEEEDaS16_S17_EUlS16_E_NS1_11comp_targetILNS1_3genE5ELNS1_11target_archE942ELNS1_3gpuE9ELNS1_3repE0EEENS1_30default_config_static_selectorELNS0_4arch9wavefront6targetE0EEEvT1_.uses_flat_scratch, 0
	.set _ZN7rocprim17ROCPRIM_400000_NS6detail17trampoline_kernelINS0_14default_configENS1_25partition_config_selectorILNS1_17partition_subalgoE6ExNS0_10empty_typeEbEEZZNS1_14partition_implILS5_6ELb0ES3_mN6thrust23THRUST_200600_302600_NS6detail15normal_iteratorINSA_10device_ptrIxEEEEPS6_SG_NS0_5tupleIJNSA_16discard_iteratorINSA_11use_defaultEEES6_EEENSH_IJSG_SG_EEES6_PlJNSB_9not_fun_tINSB_14equal_to_valueIxEEEEEEE10hipError_tPvRmT3_T4_T5_T6_T7_T9_mT8_P12ihipStream_tbDpT10_ENKUlT_T0_E_clISt17integral_constantIbLb1EES1A_IbLb0EEEEDaS16_S17_EUlS16_E_NS1_11comp_targetILNS1_3genE5ELNS1_11target_archE942ELNS1_3gpuE9ELNS1_3repE0EEENS1_30default_config_static_selectorELNS0_4arch9wavefront6targetE0EEEvT1_.has_dyn_sized_stack, 0
	.set _ZN7rocprim17ROCPRIM_400000_NS6detail17trampoline_kernelINS0_14default_configENS1_25partition_config_selectorILNS1_17partition_subalgoE6ExNS0_10empty_typeEbEEZZNS1_14partition_implILS5_6ELb0ES3_mN6thrust23THRUST_200600_302600_NS6detail15normal_iteratorINSA_10device_ptrIxEEEEPS6_SG_NS0_5tupleIJNSA_16discard_iteratorINSA_11use_defaultEEES6_EEENSH_IJSG_SG_EEES6_PlJNSB_9not_fun_tINSB_14equal_to_valueIxEEEEEEE10hipError_tPvRmT3_T4_T5_T6_T7_T9_mT8_P12ihipStream_tbDpT10_ENKUlT_T0_E_clISt17integral_constantIbLb1EES1A_IbLb0EEEEDaS16_S17_EUlS16_E_NS1_11comp_targetILNS1_3genE5ELNS1_11target_archE942ELNS1_3gpuE9ELNS1_3repE0EEENS1_30default_config_static_selectorELNS0_4arch9wavefront6targetE0EEEvT1_.has_recursion, 0
	.set _ZN7rocprim17ROCPRIM_400000_NS6detail17trampoline_kernelINS0_14default_configENS1_25partition_config_selectorILNS1_17partition_subalgoE6ExNS0_10empty_typeEbEEZZNS1_14partition_implILS5_6ELb0ES3_mN6thrust23THRUST_200600_302600_NS6detail15normal_iteratorINSA_10device_ptrIxEEEEPS6_SG_NS0_5tupleIJNSA_16discard_iteratorINSA_11use_defaultEEES6_EEENSH_IJSG_SG_EEES6_PlJNSB_9not_fun_tINSB_14equal_to_valueIxEEEEEEE10hipError_tPvRmT3_T4_T5_T6_T7_T9_mT8_P12ihipStream_tbDpT10_ENKUlT_T0_E_clISt17integral_constantIbLb1EES1A_IbLb0EEEEDaS16_S17_EUlS16_E_NS1_11comp_targetILNS1_3genE5ELNS1_11target_archE942ELNS1_3gpuE9ELNS1_3repE0EEENS1_30default_config_static_selectorELNS0_4arch9wavefront6targetE0EEEvT1_.has_indirect_call, 0
	.section	.AMDGPU.csdata,"",@progbits
; Kernel info:
; codeLenInByte = 0
; TotalNumSgprs: 0
; NumVgprs: 0
; ScratchSize: 0
; MemoryBound: 0
; FloatMode: 240
; IeeeMode: 1
; LDSByteSize: 0 bytes/workgroup (compile time only)
; SGPRBlocks: 0
; VGPRBlocks: 0
; NumSGPRsForWavesPerEU: 1
; NumVGPRsForWavesPerEU: 1
; Occupancy: 16
; WaveLimiterHint : 0
; COMPUTE_PGM_RSRC2:SCRATCH_EN: 0
; COMPUTE_PGM_RSRC2:USER_SGPR: 2
; COMPUTE_PGM_RSRC2:TRAP_HANDLER: 0
; COMPUTE_PGM_RSRC2:TGID_X_EN: 1
; COMPUTE_PGM_RSRC2:TGID_Y_EN: 0
; COMPUTE_PGM_RSRC2:TGID_Z_EN: 0
; COMPUTE_PGM_RSRC2:TIDIG_COMP_CNT: 0
	.section	.text._ZN7rocprim17ROCPRIM_400000_NS6detail17trampoline_kernelINS0_14default_configENS1_25partition_config_selectorILNS1_17partition_subalgoE6ExNS0_10empty_typeEbEEZZNS1_14partition_implILS5_6ELb0ES3_mN6thrust23THRUST_200600_302600_NS6detail15normal_iteratorINSA_10device_ptrIxEEEEPS6_SG_NS0_5tupleIJNSA_16discard_iteratorINSA_11use_defaultEEES6_EEENSH_IJSG_SG_EEES6_PlJNSB_9not_fun_tINSB_14equal_to_valueIxEEEEEEE10hipError_tPvRmT3_T4_T5_T6_T7_T9_mT8_P12ihipStream_tbDpT10_ENKUlT_T0_E_clISt17integral_constantIbLb1EES1A_IbLb0EEEEDaS16_S17_EUlS16_E_NS1_11comp_targetILNS1_3genE4ELNS1_11target_archE910ELNS1_3gpuE8ELNS1_3repE0EEENS1_30default_config_static_selectorELNS0_4arch9wavefront6targetE0EEEvT1_,"axG",@progbits,_ZN7rocprim17ROCPRIM_400000_NS6detail17trampoline_kernelINS0_14default_configENS1_25partition_config_selectorILNS1_17partition_subalgoE6ExNS0_10empty_typeEbEEZZNS1_14partition_implILS5_6ELb0ES3_mN6thrust23THRUST_200600_302600_NS6detail15normal_iteratorINSA_10device_ptrIxEEEEPS6_SG_NS0_5tupleIJNSA_16discard_iteratorINSA_11use_defaultEEES6_EEENSH_IJSG_SG_EEES6_PlJNSB_9not_fun_tINSB_14equal_to_valueIxEEEEEEE10hipError_tPvRmT3_T4_T5_T6_T7_T9_mT8_P12ihipStream_tbDpT10_ENKUlT_T0_E_clISt17integral_constantIbLb1EES1A_IbLb0EEEEDaS16_S17_EUlS16_E_NS1_11comp_targetILNS1_3genE4ELNS1_11target_archE910ELNS1_3gpuE8ELNS1_3repE0EEENS1_30default_config_static_selectorELNS0_4arch9wavefront6targetE0EEEvT1_,comdat
	.protected	_ZN7rocprim17ROCPRIM_400000_NS6detail17trampoline_kernelINS0_14default_configENS1_25partition_config_selectorILNS1_17partition_subalgoE6ExNS0_10empty_typeEbEEZZNS1_14partition_implILS5_6ELb0ES3_mN6thrust23THRUST_200600_302600_NS6detail15normal_iteratorINSA_10device_ptrIxEEEEPS6_SG_NS0_5tupleIJNSA_16discard_iteratorINSA_11use_defaultEEES6_EEENSH_IJSG_SG_EEES6_PlJNSB_9not_fun_tINSB_14equal_to_valueIxEEEEEEE10hipError_tPvRmT3_T4_T5_T6_T7_T9_mT8_P12ihipStream_tbDpT10_ENKUlT_T0_E_clISt17integral_constantIbLb1EES1A_IbLb0EEEEDaS16_S17_EUlS16_E_NS1_11comp_targetILNS1_3genE4ELNS1_11target_archE910ELNS1_3gpuE8ELNS1_3repE0EEENS1_30default_config_static_selectorELNS0_4arch9wavefront6targetE0EEEvT1_ ; -- Begin function _ZN7rocprim17ROCPRIM_400000_NS6detail17trampoline_kernelINS0_14default_configENS1_25partition_config_selectorILNS1_17partition_subalgoE6ExNS0_10empty_typeEbEEZZNS1_14partition_implILS5_6ELb0ES3_mN6thrust23THRUST_200600_302600_NS6detail15normal_iteratorINSA_10device_ptrIxEEEEPS6_SG_NS0_5tupleIJNSA_16discard_iteratorINSA_11use_defaultEEES6_EEENSH_IJSG_SG_EEES6_PlJNSB_9not_fun_tINSB_14equal_to_valueIxEEEEEEE10hipError_tPvRmT3_T4_T5_T6_T7_T9_mT8_P12ihipStream_tbDpT10_ENKUlT_T0_E_clISt17integral_constantIbLb1EES1A_IbLb0EEEEDaS16_S17_EUlS16_E_NS1_11comp_targetILNS1_3genE4ELNS1_11target_archE910ELNS1_3gpuE8ELNS1_3repE0EEENS1_30default_config_static_selectorELNS0_4arch9wavefront6targetE0EEEvT1_
	.globl	_ZN7rocprim17ROCPRIM_400000_NS6detail17trampoline_kernelINS0_14default_configENS1_25partition_config_selectorILNS1_17partition_subalgoE6ExNS0_10empty_typeEbEEZZNS1_14partition_implILS5_6ELb0ES3_mN6thrust23THRUST_200600_302600_NS6detail15normal_iteratorINSA_10device_ptrIxEEEEPS6_SG_NS0_5tupleIJNSA_16discard_iteratorINSA_11use_defaultEEES6_EEENSH_IJSG_SG_EEES6_PlJNSB_9not_fun_tINSB_14equal_to_valueIxEEEEEEE10hipError_tPvRmT3_T4_T5_T6_T7_T9_mT8_P12ihipStream_tbDpT10_ENKUlT_T0_E_clISt17integral_constantIbLb1EES1A_IbLb0EEEEDaS16_S17_EUlS16_E_NS1_11comp_targetILNS1_3genE4ELNS1_11target_archE910ELNS1_3gpuE8ELNS1_3repE0EEENS1_30default_config_static_selectorELNS0_4arch9wavefront6targetE0EEEvT1_
	.p2align	8
	.type	_ZN7rocprim17ROCPRIM_400000_NS6detail17trampoline_kernelINS0_14default_configENS1_25partition_config_selectorILNS1_17partition_subalgoE6ExNS0_10empty_typeEbEEZZNS1_14partition_implILS5_6ELb0ES3_mN6thrust23THRUST_200600_302600_NS6detail15normal_iteratorINSA_10device_ptrIxEEEEPS6_SG_NS0_5tupleIJNSA_16discard_iteratorINSA_11use_defaultEEES6_EEENSH_IJSG_SG_EEES6_PlJNSB_9not_fun_tINSB_14equal_to_valueIxEEEEEEE10hipError_tPvRmT3_T4_T5_T6_T7_T9_mT8_P12ihipStream_tbDpT10_ENKUlT_T0_E_clISt17integral_constantIbLb1EES1A_IbLb0EEEEDaS16_S17_EUlS16_E_NS1_11comp_targetILNS1_3genE4ELNS1_11target_archE910ELNS1_3gpuE8ELNS1_3repE0EEENS1_30default_config_static_selectorELNS0_4arch9wavefront6targetE0EEEvT1_,@function
_ZN7rocprim17ROCPRIM_400000_NS6detail17trampoline_kernelINS0_14default_configENS1_25partition_config_selectorILNS1_17partition_subalgoE6ExNS0_10empty_typeEbEEZZNS1_14partition_implILS5_6ELb0ES3_mN6thrust23THRUST_200600_302600_NS6detail15normal_iteratorINSA_10device_ptrIxEEEEPS6_SG_NS0_5tupleIJNSA_16discard_iteratorINSA_11use_defaultEEES6_EEENSH_IJSG_SG_EEES6_PlJNSB_9not_fun_tINSB_14equal_to_valueIxEEEEEEE10hipError_tPvRmT3_T4_T5_T6_T7_T9_mT8_P12ihipStream_tbDpT10_ENKUlT_T0_E_clISt17integral_constantIbLb1EES1A_IbLb0EEEEDaS16_S17_EUlS16_E_NS1_11comp_targetILNS1_3genE4ELNS1_11target_archE910ELNS1_3gpuE8ELNS1_3repE0EEENS1_30default_config_static_selectorELNS0_4arch9wavefront6targetE0EEEvT1_: ; @_ZN7rocprim17ROCPRIM_400000_NS6detail17trampoline_kernelINS0_14default_configENS1_25partition_config_selectorILNS1_17partition_subalgoE6ExNS0_10empty_typeEbEEZZNS1_14partition_implILS5_6ELb0ES3_mN6thrust23THRUST_200600_302600_NS6detail15normal_iteratorINSA_10device_ptrIxEEEEPS6_SG_NS0_5tupleIJNSA_16discard_iteratorINSA_11use_defaultEEES6_EEENSH_IJSG_SG_EEES6_PlJNSB_9not_fun_tINSB_14equal_to_valueIxEEEEEEE10hipError_tPvRmT3_T4_T5_T6_T7_T9_mT8_P12ihipStream_tbDpT10_ENKUlT_T0_E_clISt17integral_constantIbLb1EES1A_IbLb0EEEEDaS16_S17_EUlS16_E_NS1_11comp_targetILNS1_3genE4ELNS1_11target_archE910ELNS1_3gpuE8ELNS1_3repE0EEENS1_30default_config_static_selectorELNS0_4arch9wavefront6targetE0EEEvT1_
; %bb.0:
	.section	.rodata,"a",@progbits
	.p2align	6, 0x0
	.amdhsa_kernel _ZN7rocprim17ROCPRIM_400000_NS6detail17trampoline_kernelINS0_14default_configENS1_25partition_config_selectorILNS1_17partition_subalgoE6ExNS0_10empty_typeEbEEZZNS1_14partition_implILS5_6ELb0ES3_mN6thrust23THRUST_200600_302600_NS6detail15normal_iteratorINSA_10device_ptrIxEEEEPS6_SG_NS0_5tupleIJNSA_16discard_iteratorINSA_11use_defaultEEES6_EEENSH_IJSG_SG_EEES6_PlJNSB_9not_fun_tINSB_14equal_to_valueIxEEEEEEE10hipError_tPvRmT3_T4_T5_T6_T7_T9_mT8_P12ihipStream_tbDpT10_ENKUlT_T0_E_clISt17integral_constantIbLb1EES1A_IbLb0EEEEDaS16_S17_EUlS16_E_NS1_11comp_targetILNS1_3genE4ELNS1_11target_archE910ELNS1_3gpuE8ELNS1_3repE0EEENS1_30default_config_static_selectorELNS0_4arch9wavefront6targetE0EEEvT1_
		.amdhsa_group_segment_fixed_size 0
		.amdhsa_private_segment_fixed_size 0
		.amdhsa_kernarg_size 128
		.amdhsa_user_sgpr_count 2
		.amdhsa_user_sgpr_dispatch_ptr 0
		.amdhsa_user_sgpr_queue_ptr 0
		.amdhsa_user_sgpr_kernarg_segment_ptr 1
		.amdhsa_user_sgpr_dispatch_id 0
		.amdhsa_user_sgpr_private_segment_size 0
		.amdhsa_wavefront_size32 1
		.amdhsa_uses_dynamic_stack 0
		.amdhsa_enable_private_segment 0
		.amdhsa_system_sgpr_workgroup_id_x 1
		.amdhsa_system_sgpr_workgroup_id_y 0
		.amdhsa_system_sgpr_workgroup_id_z 0
		.amdhsa_system_sgpr_workgroup_info 0
		.amdhsa_system_vgpr_workitem_id 0
		.amdhsa_next_free_vgpr 1
		.amdhsa_next_free_sgpr 1
		.amdhsa_reserve_vcc 0
		.amdhsa_float_round_mode_32 0
		.amdhsa_float_round_mode_16_64 0
		.amdhsa_float_denorm_mode_32 3
		.amdhsa_float_denorm_mode_16_64 3
		.amdhsa_fp16_overflow 0
		.amdhsa_workgroup_processor_mode 1
		.amdhsa_memory_ordered 1
		.amdhsa_forward_progress 1
		.amdhsa_inst_pref_size 0
		.amdhsa_round_robin_scheduling 0
		.amdhsa_exception_fp_ieee_invalid_op 0
		.amdhsa_exception_fp_denorm_src 0
		.amdhsa_exception_fp_ieee_div_zero 0
		.amdhsa_exception_fp_ieee_overflow 0
		.amdhsa_exception_fp_ieee_underflow 0
		.amdhsa_exception_fp_ieee_inexact 0
		.amdhsa_exception_int_div_zero 0
	.end_amdhsa_kernel
	.section	.text._ZN7rocprim17ROCPRIM_400000_NS6detail17trampoline_kernelINS0_14default_configENS1_25partition_config_selectorILNS1_17partition_subalgoE6ExNS0_10empty_typeEbEEZZNS1_14partition_implILS5_6ELb0ES3_mN6thrust23THRUST_200600_302600_NS6detail15normal_iteratorINSA_10device_ptrIxEEEEPS6_SG_NS0_5tupleIJNSA_16discard_iteratorINSA_11use_defaultEEES6_EEENSH_IJSG_SG_EEES6_PlJNSB_9not_fun_tINSB_14equal_to_valueIxEEEEEEE10hipError_tPvRmT3_T4_T5_T6_T7_T9_mT8_P12ihipStream_tbDpT10_ENKUlT_T0_E_clISt17integral_constantIbLb1EES1A_IbLb0EEEEDaS16_S17_EUlS16_E_NS1_11comp_targetILNS1_3genE4ELNS1_11target_archE910ELNS1_3gpuE8ELNS1_3repE0EEENS1_30default_config_static_selectorELNS0_4arch9wavefront6targetE0EEEvT1_,"axG",@progbits,_ZN7rocprim17ROCPRIM_400000_NS6detail17trampoline_kernelINS0_14default_configENS1_25partition_config_selectorILNS1_17partition_subalgoE6ExNS0_10empty_typeEbEEZZNS1_14partition_implILS5_6ELb0ES3_mN6thrust23THRUST_200600_302600_NS6detail15normal_iteratorINSA_10device_ptrIxEEEEPS6_SG_NS0_5tupleIJNSA_16discard_iteratorINSA_11use_defaultEEES6_EEENSH_IJSG_SG_EEES6_PlJNSB_9not_fun_tINSB_14equal_to_valueIxEEEEEEE10hipError_tPvRmT3_T4_T5_T6_T7_T9_mT8_P12ihipStream_tbDpT10_ENKUlT_T0_E_clISt17integral_constantIbLb1EES1A_IbLb0EEEEDaS16_S17_EUlS16_E_NS1_11comp_targetILNS1_3genE4ELNS1_11target_archE910ELNS1_3gpuE8ELNS1_3repE0EEENS1_30default_config_static_selectorELNS0_4arch9wavefront6targetE0EEEvT1_,comdat
.Lfunc_end1743:
	.size	_ZN7rocprim17ROCPRIM_400000_NS6detail17trampoline_kernelINS0_14default_configENS1_25partition_config_selectorILNS1_17partition_subalgoE6ExNS0_10empty_typeEbEEZZNS1_14partition_implILS5_6ELb0ES3_mN6thrust23THRUST_200600_302600_NS6detail15normal_iteratorINSA_10device_ptrIxEEEEPS6_SG_NS0_5tupleIJNSA_16discard_iteratorINSA_11use_defaultEEES6_EEENSH_IJSG_SG_EEES6_PlJNSB_9not_fun_tINSB_14equal_to_valueIxEEEEEEE10hipError_tPvRmT3_T4_T5_T6_T7_T9_mT8_P12ihipStream_tbDpT10_ENKUlT_T0_E_clISt17integral_constantIbLb1EES1A_IbLb0EEEEDaS16_S17_EUlS16_E_NS1_11comp_targetILNS1_3genE4ELNS1_11target_archE910ELNS1_3gpuE8ELNS1_3repE0EEENS1_30default_config_static_selectorELNS0_4arch9wavefront6targetE0EEEvT1_, .Lfunc_end1743-_ZN7rocprim17ROCPRIM_400000_NS6detail17trampoline_kernelINS0_14default_configENS1_25partition_config_selectorILNS1_17partition_subalgoE6ExNS0_10empty_typeEbEEZZNS1_14partition_implILS5_6ELb0ES3_mN6thrust23THRUST_200600_302600_NS6detail15normal_iteratorINSA_10device_ptrIxEEEEPS6_SG_NS0_5tupleIJNSA_16discard_iteratorINSA_11use_defaultEEES6_EEENSH_IJSG_SG_EEES6_PlJNSB_9not_fun_tINSB_14equal_to_valueIxEEEEEEE10hipError_tPvRmT3_T4_T5_T6_T7_T9_mT8_P12ihipStream_tbDpT10_ENKUlT_T0_E_clISt17integral_constantIbLb1EES1A_IbLb0EEEEDaS16_S17_EUlS16_E_NS1_11comp_targetILNS1_3genE4ELNS1_11target_archE910ELNS1_3gpuE8ELNS1_3repE0EEENS1_30default_config_static_selectorELNS0_4arch9wavefront6targetE0EEEvT1_
                                        ; -- End function
	.set _ZN7rocprim17ROCPRIM_400000_NS6detail17trampoline_kernelINS0_14default_configENS1_25partition_config_selectorILNS1_17partition_subalgoE6ExNS0_10empty_typeEbEEZZNS1_14partition_implILS5_6ELb0ES3_mN6thrust23THRUST_200600_302600_NS6detail15normal_iteratorINSA_10device_ptrIxEEEEPS6_SG_NS0_5tupleIJNSA_16discard_iteratorINSA_11use_defaultEEES6_EEENSH_IJSG_SG_EEES6_PlJNSB_9not_fun_tINSB_14equal_to_valueIxEEEEEEE10hipError_tPvRmT3_T4_T5_T6_T7_T9_mT8_P12ihipStream_tbDpT10_ENKUlT_T0_E_clISt17integral_constantIbLb1EES1A_IbLb0EEEEDaS16_S17_EUlS16_E_NS1_11comp_targetILNS1_3genE4ELNS1_11target_archE910ELNS1_3gpuE8ELNS1_3repE0EEENS1_30default_config_static_selectorELNS0_4arch9wavefront6targetE0EEEvT1_.num_vgpr, 0
	.set _ZN7rocprim17ROCPRIM_400000_NS6detail17trampoline_kernelINS0_14default_configENS1_25partition_config_selectorILNS1_17partition_subalgoE6ExNS0_10empty_typeEbEEZZNS1_14partition_implILS5_6ELb0ES3_mN6thrust23THRUST_200600_302600_NS6detail15normal_iteratorINSA_10device_ptrIxEEEEPS6_SG_NS0_5tupleIJNSA_16discard_iteratorINSA_11use_defaultEEES6_EEENSH_IJSG_SG_EEES6_PlJNSB_9not_fun_tINSB_14equal_to_valueIxEEEEEEE10hipError_tPvRmT3_T4_T5_T6_T7_T9_mT8_P12ihipStream_tbDpT10_ENKUlT_T0_E_clISt17integral_constantIbLb1EES1A_IbLb0EEEEDaS16_S17_EUlS16_E_NS1_11comp_targetILNS1_3genE4ELNS1_11target_archE910ELNS1_3gpuE8ELNS1_3repE0EEENS1_30default_config_static_selectorELNS0_4arch9wavefront6targetE0EEEvT1_.num_agpr, 0
	.set _ZN7rocprim17ROCPRIM_400000_NS6detail17trampoline_kernelINS0_14default_configENS1_25partition_config_selectorILNS1_17partition_subalgoE6ExNS0_10empty_typeEbEEZZNS1_14partition_implILS5_6ELb0ES3_mN6thrust23THRUST_200600_302600_NS6detail15normal_iteratorINSA_10device_ptrIxEEEEPS6_SG_NS0_5tupleIJNSA_16discard_iteratorINSA_11use_defaultEEES6_EEENSH_IJSG_SG_EEES6_PlJNSB_9not_fun_tINSB_14equal_to_valueIxEEEEEEE10hipError_tPvRmT3_T4_T5_T6_T7_T9_mT8_P12ihipStream_tbDpT10_ENKUlT_T0_E_clISt17integral_constantIbLb1EES1A_IbLb0EEEEDaS16_S17_EUlS16_E_NS1_11comp_targetILNS1_3genE4ELNS1_11target_archE910ELNS1_3gpuE8ELNS1_3repE0EEENS1_30default_config_static_selectorELNS0_4arch9wavefront6targetE0EEEvT1_.numbered_sgpr, 0
	.set _ZN7rocprim17ROCPRIM_400000_NS6detail17trampoline_kernelINS0_14default_configENS1_25partition_config_selectorILNS1_17partition_subalgoE6ExNS0_10empty_typeEbEEZZNS1_14partition_implILS5_6ELb0ES3_mN6thrust23THRUST_200600_302600_NS6detail15normal_iteratorINSA_10device_ptrIxEEEEPS6_SG_NS0_5tupleIJNSA_16discard_iteratorINSA_11use_defaultEEES6_EEENSH_IJSG_SG_EEES6_PlJNSB_9not_fun_tINSB_14equal_to_valueIxEEEEEEE10hipError_tPvRmT3_T4_T5_T6_T7_T9_mT8_P12ihipStream_tbDpT10_ENKUlT_T0_E_clISt17integral_constantIbLb1EES1A_IbLb0EEEEDaS16_S17_EUlS16_E_NS1_11comp_targetILNS1_3genE4ELNS1_11target_archE910ELNS1_3gpuE8ELNS1_3repE0EEENS1_30default_config_static_selectorELNS0_4arch9wavefront6targetE0EEEvT1_.num_named_barrier, 0
	.set _ZN7rocprim17ROCPRIM_400000_NS6detail17trampoline_kernelINS0_14default_configENS1_25partition_config_selectorILNS1_17partition_subalgoE6ExNS0_10empty_typeEbEEZZNS1_14partition_implILS5_6ELb0ES3_mN6thrust23THRUST_200600_302600_NS6detail15normal_iteratorINSA_10device_ptrIxEEEEPS6_SG_NS0_5tupleIJNSA_16discard_iteratorINSA_11use_defaultEEES6_EEENSH_IJSG_SG_EEES6_PlJNSB_9not_fun_tINSB_14equal_to_valueIxEEEEEEE10hipError_tPvRmT3_T4_T5_T6_T7_T9_mT8_P12ihipStream_tbDpT10_ENKUlT_T0_E_clISt17integral_constantIbLb1EES1A_IbLb0EEEEDaS16_S17_EUlS16_E_NS1_11comp_targetILNS1_3genE4ELNS1_11target_archE910ELNS1_3gpuE8ELNS1_3repE0EEENS1_30default_config_static_selectorELNS0_4arch9wavefront6targetE0EEEvT1_.private_seg_size, 0
	.set _ZN7rocprim17ROCPRIM_400000_NS6detail17trampoline_kernelINS0_14default_configENS1_25partition_config_selectorILNS1_17partition_subalgoE6ExNS0_10empty_typeEbEEZZNS1_14partition_implILS5_6ELb0ES3_mN6thrust23THRUST_200600_302600_NS6detail15normal_iteratorINSA_10device_ptrIxEEEEPS6_SG_NS0_5tupleIJNSA_16discard_iteratorINSA_11use_defaultEEES6_EEENSH_IJSG_SG_EEES6_PlJNSB_9not_fun_tINSB_14equal_to_valueIxEEEEEEE10hipError_tPvRmT3_T4_T5_T6_T7_T9_mT8_P12ihipStream_tbDpT10_ENKUlT_T0_E_clISt17integral_constantIbLb1EES1A_IbLb0EEEEDaS16_S17_EUlS16_E_NS1_11comp_targetILNS1_3genE4ELNS1_11target_archE910ELNS1_3gpuE8ELNS1_3repE0EEENS1_30default_config_static_selectorELNS0_4arch9wavefront6targetE0EEEvT1_.uses_vcc, 0
	.set _ZN7rocprim17ROCPRIM_400000_NS6detail17trampoline_kernelINS0_14default_configENS1_25partition_config_selectorILNS1_17partition_subalgoE6ExNS0_10empty_typeEbEEZZNS1_14partition_implILS5_6ELb0ES3_mN6thrust23THRUST_200600_302600_NS6detail15normal_iteratorINSA_10device_ptrIxEEEEPS6_SG_NS0_5tupleIJNSA_16discard_iteratorINSA_11use_defaultEEES6_EEENSH_IJSG_SG_EEES6_PlJNSB_9not_fun_tINSB_14equal_to_valueIxEEEEEEE10hipError_tPvRmT3_T4_T5_T6_T7_T9_mT8_P12ihipStream_tbDpT10_ENKUlT_T0_E_clISt17integral_constantIbLb1EES1A_IbLb0EEEEDaS16_S17_EUlS16_E_NS1_11comp_targetILNS1_3genE4ELNS1_11target_archE910ELNS1_3gpuE8ELNS1_3repE0EEENS1_30default_config_static_selectorELNS0_4arch9wavefront6targetE0EEEvT1_.uses_flat_scratch, 0
	.set _ZN7rocprim17ROCPRIM_400000_NS6detail17trampoline_kernelINS0_14default_configENS1_25partition_config_selectorILNS1_17partition_subalgoE6ExNS0_10empty_typeEbEEZZNS1_14partition_implILS5_6ELb0ES3_mN6thrust23THRUST_200600_302600_NS6detail15normal_iteratorINSA_10device_ptrIxEEEEPS6_SG_NS0_5tupleIJNSA_16discard_iteratorINSA_11use_defaultEEES6_EEENSH_IJSG_SG_EEES6_PlJNSB_9not_fun_tINSB_14equal_to_valueIxEEEEEEE10hipError_tPvRmT3_T4_T5_T6_T7_T9_mT8_P12ihipStream_tbDpT10_ENKUlT_T0_E_clISt17integral_constantIbLb1EES1A_IbLb0EEEEDaS16_S17_EUlS16_E_NS1_11comp_targetILNS1_3genE4ELNS1_11target_archE910ELNS1_3gpuE8ELNS1_3repE0EEENS1_30default_config_static_selectorELNS0_4arch9wavefront6targetE0EEEvT1_.has_dyn_sized_stack, 0
	.set _ZN7rocprim17ROCPRIM_400000_NS6detail17trampoline_kernelINS0_14default_configENS1_25partition_config_selectorILNS1_17partition_subalgoE6ExNS0_10empty_typeEbEEZZNS1_14partition_implILS5_6ELb0ES3_mN6thrust23THRUST_200600_302600_NS6detail15normal_iteratorINSA_10device_ptrIxEEEEPS6_SG_NS0_5tupleIJNSA_16discard_iteratorINSA_11use_defaultEEES6_EEENSH_IJSG_SG_EEES6_PlJNSB_9not_fun_tINSB_14equal_to_valueIxEEEEEEE10hipError_tPvRmT3_T4_T5_T6_T7_T9_mT8_P12ihipStream_tbDpT10_ENKUlT_T0_E_clISt17integral_constantIbLb1EES1A_IbLb0EEEEDaS16_S17_EUlS16_E_NS1_11comp_targetILNS1_3genE4ELNS1_11target_archE910ELNS1_3gpuE8ELNS1_3repE0EEENS1_30default_config_static_selectorELNS0_4arch9wavefront6targetE0EEEvT1_.has_recursion, 0
	.set _ZN7rocprim17ROCPRIM_400000_NS6detail17trampoline_kernelINS0_14default_configENS1_25partition_config_selectorILNS1_17partition_subalgoE6ExNS0_10empty_typeEbEEZZNS1_14partition_implILS5_6ELb0ES3_mN6thrust23THRUST_200600_302600_NS6detail15normal_iteratorINSA_10device_ptrIxEEEEPS6_SG_NS0_5tupleIJNSA_16discard_iteratorINSA_11use_defaultEEES6_EEENSH_IJSG_SG_EEES6_PlJNSB_9not_fun_tINSB_14equal_to_valueIxEEEEEEE10hipError_tPvRmT3_T4_T5_T6_T7_T9_mT8_P12ihipStream_tbDpT10_ENKUlT_T0_E_clISt17integral_constantIbLb1EES1A_IbLb0EEEEDaS16_S17_EUlS16_E_NS1_11comp_targetILNS1_3genE4ELNS1_11target_archE910ELNS1_3gpuE8ELNS1_3repE0EEENS1_30default_config_static_selectorELNS0_4arch9wavefront6targetE0EEEvT1_.has_indirect_call, 0
	.section	.AMDGPU.csdata,"",@progbits
; Kernel info:
; codeLenInByte = 0
; TotalNumSgprs: 0
; NumVgprs: 0
; ScratchSize: 0
; MemoryBound: 0
; FloatMode: 240
; IeeeMode: 1
; LDSByteSize: 0 bytes/workgroup (compile time only)
; SGPRBlocks: 0
; VGPRBlocks: 0
; NumSGPRsForWavesPerEU: 1
; NumVGPRsForWavesPerEU: 1
; Occupancy: 16
; WaveLimiterHint : 0
; COMPUTE_PGM_RSRC2:SCRATCH_EN: 0
; COMPUTE_PGM_RSRC2:USER_SGPR: 2
; COMPUTE_PGM_RSRC2:TRAP_HANDLER: 0
; COMPUTE_PGM_RSRC2:TGID_X_EN: 1
; COMPUTE_PGM_RSRC2:TGID_Y_EN: 0
; COMPUTE_PGM_RSRC2:TGID_Z_EN: 0
; COMPUTE_PGM_RSRC2:TIDIG_COMP_CNT: 0
	.section	.text._ZN7rocprim17ROCPRIM_400000_NS6detail17trampoline_kernelINS0_14default_configENS1_25partition_config_selectorILNS1_17partition_subalgoE6ExNS0_10empty_typeEbEEZZNS1_14partition_implILS5_6ELb0ES3_mN6thrust23THRUST_200600_302600_NS6detail15normal_iteratorINSA_10device_ptrIxEEEEPS6_SG_NS0_5tupleIJNSA_16discard_iteratorINSA_11use_defaultEEES6_EEENSH_IJSG_SG_EEES6_PlJNSB_9not_fun_tINSB_14equal_to_valueIxEEEEEEE10hipError_tPvRmT3_T4_T5_T6_T7_T9_mT8_P12ihipStream_tbDpT10_ENKUlT_T0_E_clISt17integral_constantIbLb1EES1A_IbLb0EEEEDaS16_S17_EUlS16_E_NS1_11comp_targetILNS1_3genE3ELNS1_11target_archE908ELNS1_3gpuE7ELNS1_3repE0EEENS1_30default_config_static_selectorELNS0_4arch9wavefront6targetE0EEEvT1_,"axG",@progbits,_ZN7rocprim17ROCPRIM_400000_NS6detail17trampoline_kernelINS0_14default_configENS1_25partition_config_selectorILNS1_17partition_subalgoE6ExNS0_10empty_typeEbEEZZNS1_14partition_implILS5_6ELb0ES3_mN6thrust23THRUST_200600_302600_NS6detail15normal_iteratorINSA_10device_ptrIxEEEEPS6_SG_NS0_5tupleIJNSA_16discard_iteratorINSA_11use_defaultEEES6_EEENSH_IJSG_SG_EEES6_PlJNSB_9not_fun_tINSB_14equal_to_valueIxEEEEEEE10hipError_tPvRmT3_T4_T5_T6_T7_T9_mT8_P12ihipStream_tbDpT10_ENKUlT_T0_E_clISt17integral_constantIbLb1EES1A_IbLb0EEEEDaS16_S17_EUlS16_E_NS1_11comp_targetILNS1_3genE3ELNS1_11target_archE908ELNS1_3gpuE7ELNS1_3repE0EEENS1_30default_config_static_selectorELNS0_4arch9wavefront6targetE0EEEvT1_,comdat
	.protected	_ZN7rocprim17ROCPRIM_400000_NS6detail17trampoline_kernelINS0_14default_configENS1_25partition_config_selectorILNS1_17partition_subalgoE6ExNS0_10empty_typeEbEEZZNS1_14partition_implILS5_6ELb0ES3_mN6thrust23THRUST_200600_302600_NS6detail15normal_iteratorINSA_10device_ptrIxEEEEPS6_SG_NS0_5tupleIJNSA_16discard_iteratorINSA_11use_defaultEEES6_EEENSH_IJSG_SG_EEES6_PlJNSB_9not_fun_tINSB_14equal_to_valueIxEEEEEEE10hipError_tPvRmT3_T4_T5_T6_T7_T9_mT8_P12ihipStream_tbDpT10_ENKUlT_T0_E_clISt17integral_constantIbLb1EES1A_IbLb0EEEEDaS16_S17_EUlS16_E_NS1_11comp_targetILNS1_3genE3ELNS1_11target_archE908ELNS1_3gpuE7ELNS1_3repE0EEENS1_30default_config_static_selectorELNS0_4arch9wavefront6targetE0EEEvT1_ ; -- Begin function _ZN7rocprim17ROCPRIM_400000_NS6detail17trampoline_kernelINS0_14default_configENS1_25partition_config_selectorILNS1_17partition_subalgoE6ExNS0_10empty_typeEbEEZZNS1_14partition_implILS5_6ELb0ES3_mN6thrust23THRUST_200600_302600_NS6detail15normal_iteratorINSA_10device_ptrIxEEEEPS6_SG_NS0_5tupleIJNSA_16discard_iteratorINSA_11use_defaultEEES6_EEENSH_IJSG_SG_EEES6_PlJNSB_9not_fun_tINSB_14equal_to_valueIxEEEEEEE10hipError_tPvRmT3_T4_T5_T6_T7_T9_mT8_P12ihipStream_tbDpT10_ENKUlT_T0_E_clISt17integral_constantIbLb1EES1A_IbLb0EEEEDaS16_S17_EUlS16_E_NS1_11comp_targetILNS1_3genE3ELNS1_11target_archE908ELNS1_3gpuE7ELNS1_3repE0EEENS1_30default_config_static_selectorELNS0_4arch9wavefront6targetE0EEEvT1_
	.globl	_ZN7rocprim17ROCPRIM_400000_NS6detail17trampoline_kernelINS0_14default_configENS1_25partition_config_selectorILNS1_17partition_subalgoE6ExNS0_10empty_typeEbEEZZNS1_14partition_implILS5_6ELb0ES3_mN6thrust23THRUST_200600_302600_NS6detail15normal_iteratorINSA_10device_ptrIxEEEEPS6_SG_NS0_5tupleIJNSA_16discard_iteratorINSA_11use_defaultEEES6_EEENSH_IJSG_SG_EEES6_PlJNSB_9not_fun_tINSB_14equal_to_valueIxEEEEEEE10hipError_tPvRmT3_T4_T5_T6_T7_T9_mT8_P12ihipStream_tbDpT10_ENKUlT_T0_E_clISt17integral_constantIbLb1EES1A_IbLb0EEEEDaS16_S17_EUlS16_E_NS1_11comp_targetILNS1_3genE3ELNS1_11target_archE908ELNS1_3gpuE7ELNS1_3repE0EEENS1_30default_config_static_selectorELNS0_4arch9wavefront6targetE0EEEvT1_
	.p2align	8
	.type	_ZN7rocprim17ROCPRIM_400000_NS6detail17trampoline_kernelINS0_14default_configENS1_25partition_config_selectorILNS1_17partition_subalgoE6ExNS0_10empty_typeEbEEZZNS1_14partition_implILS5_6ELb0ES3_mN6thrust23THRUST_200600_302600_NS6detail15normal_iteratorINSA_10device_ptrIxEEEEPS6_SG_NS0_5tupleIJNSA_16discard_iteratorINSA_11use_defaultEEES6_EEENSH_IJSG_SG_EEES6_PlJNSB_9not_fun_tINSB_14equal_to_valueIxEEEEEEE10hipError_tPvRmT3_T4_T5_T6_T7_T9_mT8_P12ihipStream_tbDpT10_ENKUlT_T0_E_clISt17integral_constantIbLb1EES1A_IbLb0EEEEDaS16_S17_EUlS16_E_NS1_11comp_targetILNS1_3genE3ELNS1_11target_archE908ELNS1_3gpuE7ELNS1_3repE0EEENS1_30default_config_static_selectorELNS0_4arch9wavefront6targetE0EEEvT1_,@function
_ZN7rocprim17ROCPRIM_400000_NS6detail17trampoline_kernelINS0_14default_configENS1_25partition_config_selectorILNS1_17partition_subalgoE6ExNS0_10empty_typeEbEEZZNS1_14partition_implILS5_6ELb0ES3_mN6thrust23THRUST_200600_302600_NS6detail15normal_iteratorINSA_10device_ptrIxEEEEPS6_SG_NS0_5tupleIJNSA_16discard_iteratorINSA_11use_defaultEEES6_EEENSH_IJSG_SG_EEES6_PlJNSB_9not_fun_tINSB_14equal_to_valueIxEEEEEEE10hipError_tPvRmT3_T4_T5_T6_T7_T9_mT8_P12ihipStream_tbDpT10_ENKUlT_T0_E_clISt17integral_constantIbLb1EES1A_IbLb0EEEEDaS16_S17_EUlS16_E_NS1_11comp_targetILNS1_3genE3ELNS1_11target_archE908ELNS1_3gpuE7ELNS1_3repE0EEENS1_30default_config_static_selectorELNS0_4arch9wavefront6targetE0EEEvT1_: ; @_ZN7rocprim17ROCPRIM_400000_NS6detail17trampoline_kernelINS0_14default_configENS1_25partition_config_selectorILNS1_17partition_subalgoE6ExNS0_10empty_typeEbEEZZNS1_14partition_implILS5_6ELb0ES3_mN6thrust23THRUST_200600_302600_NS6detail15normal_iteratorINSA_10device_ptrIxEEEEPS6_SG_NS0_5tupleIJNSA_16discard_iteratorINSA_11use_defaultEEES6_EEENSH_IJSG_SG_EEES6_PlJNSB_9not_fun_tINSB_14equal_to_valueIxEEEEEEE10hipError_tPvRmT3_T4_T5_T6_T7_T9_mT8_P12ihipStream_tbDpT10_ENKUlT_T0_E_clISt17integral_constantIbLb1EES1A_IbLb0EEEEDaS16_S17_EUlS16_E_NS1_11comp_targetILNS1_3genE3ELNS1_11target_archE908ELNS1_3gpuE7ELNS1_3repE0EEENS1_30default_config_static_selectorELNS0_4arch9wavefront6targetE0EEEvT1_
; %bb.0:
	.section	.rodata,"a",@progbits
	.p2align	6, 0x0
	.amdhsa_kernel _ZN7rocprim17ROCPRIM_400000_NS6detail17trampoline_kernelINS0_14default_configENS1_25partition_config_selectorILNS1_17partition_subalgoE6ExNS0_10empty_typeEbEEZZNS1_14partition_implILS5_6ELb0ES3_mN6thrust23THRUST_200600_302600_NS6detail15normal_iteratorINSA_10device_ptrIxEEEEPS6_SG_NS0_5tupleIJNSA_16discard_iteratorINSA_11use_defaultEEES6_EEENSH_IJSG_SG_EEES6_PlJNSB_9not_fun_tINSB_14equal_to_valueIxEEEEEEE10hipError_tPvRmT3_T4_T5_T6_T7_T9_mT8_P12ihipStream_tbDpT10_ENKUlT_T0_E_clISt17integral_constantIbLb1EES1A_IbLb0EEEEDaS16_S17_EUlS16_E_NS1_11comp_targetILNS1_3genE3ELNS1_11target_archE908ELNS1_3gpuE7ELNS1_3repE0EEENS1_30default_config_static_selectorELNS0_4arch9wavefront6targetE0EEEvT1_
		.amdhsa_group_segment_fixed_size 0
		.amdhsa_private_segment_fixed_size 0
		.amdhsa_kernarg_size 128
		.amdhsa_user_sgpr_count 2
		.amdhsa_user_sgpr_dispatch_ptr 0
		.amdhsa_user_sgpr_queue_ptr 0
		.amdhsa_user_sgpr_kernarg_segment_ptr 1
		.amdhsa_user_sgpr_dispatch_id 0
		.amdhsa_user_sgpr_private_segment_size 0
		.amdhsa_wavefront_size32 1
		.amdhsa_uses_dynamic_stack 0
		.amdhsa_enable_private_segment 0
		.amdhsa_system_sgpr_workgroup_id_x 1
		.amdhsa_system_sgpr_workgroup_id_y 0
		.amdhsa_system_sgpr_workgroup_id_z 0
		.amdhsa_system_sgpr_workgroup_info 0
		.amdhsa_system_vgpr_workitem_id 0
		.amdhsa_next_free_vgpr 1
		.amdhsa_next_free_sgpr 1
		.amdhsa_reserve_vcc 0
		.amdhsa_float_round_mode_32 0
		.amdhsa_float_round_mode_16_64 0
		.amdhsa_float_denorm_mode_32 3
		.amdhsa_float_denorm_mode_16_64 3
		.amdhsa_fp16_overflow 0
		.amdhsa_workgroup_processor_mode 1
		.amdhsa_memory_ordered 1
		.amdhsa_forward_progress 1
		.amdhsa_inst_pref_size 0
		.amdhsa_round_robin_scheduling 0
		.amdhsa_exception_fp_ieee_invalid_op 0
		.amdhsa_exception_fp_denorm_src 0
		.amdhsa_exception_fp_ieee_div_zero 0
		.amdhsa_exception_fp_ieee_overflow 0
		.amdhsa_exception_fp_ieee_underflow 0
		.amdhsa_exception_fp_ieee_inexact 0
		.amdhsa_exception_int_div_zero 0
	.end_amdhsa_kernel
	.section	.text._ZN7rocprim17ROCPRIM_400000_NS6detail17trampoline_kernelINS0_14default_configENS1_25partition_config_selectorILNS1_17partition_subalgoE6ExNS0_10empty_typeEbEEZZNS1_14partition_implILS5_6ELb0ES3_mN6thrust23THRUST_200600_302600_NS6detail15normal_iteratorINSA_10device_ptrIxEEEEPS6_SG_NS0_5tupleIJNSA_16discard_iteratorINSA_11use_defaultEEES6_EEENSH_IJSG_SG_EEES6_PlJNSB_9not_fun_tINSB_14equal_to_valueIxEEEEEEE10hipError_tPvRmT3_T4_T5_T6_T7_T9_mT8_P12ihipStream_tbDpT10_ENKUlT_T0_E_clISt17integral_constantIbLb1EES1A_IbLb0EEEEDaS16_S17_EUlS16_E_NS1_11comp_targetILNS1_3genE3ELNS1_11target_archE908ELNS1_3gpuE7ELNS1_3repE0EEENS1_30default_config_static_selectorELNS0_4arch9wavefront6targetE0EEEvT1_,"axG",@progbits,_ZN7rocprim17ROCPRIM_400000_NS6detail17trampoline_kernelINS0_14default_configENS1_25partition_config_selectorILNS1_17partition_subalgoE6ExNS0_10empty_typeEbEEZZNS1_14partition_implILS5_6ELb0ES3_mN6thrust23THRUST_200600_302600_NS6detail15normal_iteratorINSA_10device_ptrIxEEEEPS6_SG_NS0_5tupleIJNSA_16discard_iteratorINSA_11use_defaultEEES6_EEENSH_IJSG_SG_EEES6_PlJNSB_9not_fun_tINSB_14equal_to_valueIxEEEEEEE10hipError_tPvRmT3_T4_T5_T6_T7_T9_mT8_P12ihipStream_tbDpT10_ENKUlT_T0_E_clISt17integral_constantIbLb1EES1A_IbLb0EEEEDaS16_S17_EUlS16_E_NS1_11comp_targetILNS1_3genE3ELNS1_11target_archE908ELNS1_3gpuE7ELNS1_3repE0EEENS1_30default_config_static_selectorELNS0_4arch9wavefront6targetE0EEEvT1_,comdat
.Lfunc_end1744:
	.size	_ZN7rocprim17ROCPRIM_400000_NS6detail17trampoline_kernelINS0_14default_configENS1_25partition_config_selectorILNS1_17partition_subalgoE6ExNS0_10empty_typeEbEEZZNS1_14partition_implILS5_6ELb0ES3_mN6thrust23THRUST_200600_302600_NS6detail15normal_iteratorINSA_10device_ptrIxEEEEPS6_SG_NS0_5tupleIJNSA_16discard_iteratorINSA_11use_defaultEEES6_EEENSH_IJSG_SG_EEES6_PlJNSB_9not_fun_tINSB_14equal_to_valueIxEEEEEEE10hipError_tPvRmT3_T4_T5_T6_T7_T9_mT8_P12ihipStream_tbDpT10_ENKUlT_T0_E_clISt17integral_constantIbLb1EES1A_IbLb0EEEEDaS16_S17_EUlS16_E_NS1_11comp_targetILNS1_3genE3ELNS1_11target_archE908ELNS1_3gpuE7ELNS1_3repE0EEENS1_30default_config_static_selectorELNS0_4arch9wavefront6targetE0EEEvT1_, .Lfunc_end1744-_ZN7rocprim17ROCPRIM_400000_NS6detail17trampoline_kernelINS0_14default_configENS1_25partition_config_selectorILNS1_17partition_subalgoE6ExNS0_10empty_typeEbEEZZNS1_14partition_implILS5_6ELb0ES3_mN6thrust23THRUST_200600_302600_NS6detail15normal_iteratorINSA_10device_ptrIxEEEEPS6_SG_NS0_5tupleIJNSA_16discard_iteratorINSA_11use_defaultEEES6_EEENSH_IJSG_SG_EEES6_PlJNSB_9not_fun_tINSB_14equal_to_valueIxEEEEEEE10hipError_tPvRmT3_T4_T5_T6_T7_T9_mT8_P12ihipStream_tbDpT10_ENKUlT_T0_E_clISt17integral_constantIbLb1EES1A_IbLb0EEEEDaS16_S17_EUlS16_E_NS1_11comp_targetILNS1_3genE3ELNS1_11target_archE908ELNS1_3gpuE7ELNS1_3repE0EEENS1_30default_config_static_selectorELNS0_4arch9wavefront6targetE0EEEvT1_
                                        ; -- End function
	.set _ZN7rocprim17ROCPRIM_400000_NS6detail17trampoline_kernelINS0_14default_configENS1_25partition_config_selectorILNS1_17partition_subalgoE6ExNS0_10empty_typeEbEEZZNS1_14partition_implILS5_6ELb0ES3_mN6thrust23THRUST_200600_302600_NS6detail15normal_iteratorINSA_10device_ptrIxEEEEPS6_SG_NS0_5tupleIJNSA_16discard_iteratorINSA_11use_defaultEEES6_EEENSH_IJSG_SG_EEES6_PlJNSB_9not_fun_tINSB_14equal_to_valueIxEEEEEEE10hipError_tPvRmT3_T4_T5_T6_T7_T9_mT8_P12ihipStream_tbDpT10_ENKUlT_T0_E_clISt17integral_constantIbLb1EES1A_IbLb0EEEEDaS16_S17_EUlS16_E_NS1_11comp_targetILNS1_3genE3ELNS1_11target_archE908ELNS1_3gpuE7ELNS1_3repE0EEENS1_30default_config_static_selectorELNS0_4arch9wavefront6targetE0EEEvT1_.num_vgpr, 0
	.set _ZN7rocprim17ROCPRIM_400000_NS6detail17trampoline_kernelINS0_14default_configENS1_25partition_config_selectorILNS1_17partition_subalgoE6ExNS0_10empty_typeEbEEZZNS1_14partition_implILS5_6ELb0ES3_mN6thrust23THRUST_200600_302600_NS6detail15normal_iteratorINSA_10device_ptrIxEEEEPS6_SG_NS0_5tupleIJNSA_16discard_iteratorINSA_11use_defaultEEES6_EEENSH_IJSG_SG_EEES6_PlJNSB_9not_fun_tINSB_14equal_to_valueIxEEEEEEE10hipError_tPvRmT3_T4_T5_T6_T7_T9_mT8_P12ihipStream_tbDpT10_ENKUlT_T0_E_clISt17integral_constantIbLb1EES1A_IbLb0EEEEDaS16_S17_EUlS16_E_NS1_11comp_targetILNS1_3genE3ELNS1_11target_archE908ELNS1_3gpuE7ELNS1_3repE0EEENS1_30default_config_static_selectorELNS0_4arch9wavefront6targetE0EEEvT1_.num_agpr, 0
	.set _ZN7rocprim17ROCPRIM_400000_NS6detail17trampoline_kernelINS0_14default_configENS1_25partition_config_selectorILNS1_17partition_subalgoE6ExNS0_10empty_typeEbEEZZNS1_14partition_implILS5_6ELb0ES3_mN6thrust23THRUST_200600_302600_NS6detail15normal_iteratorINSA_10device_ptrIxEEEEPS6_SG_NS0_5tupleIJNSA_16discard_iteratorINSA_11use_defaultEEES6_EEENSH_IJSG_SG_EEES6_PlJNSB_9not_fun_tINSB_14equal_to_valueIxEEEEEEE10hipError_tPvRmT3_T4_T5_T6_T7_T9_mT8_P12ihipStream_tbDpT10_ENKUlT_T0_E_clISt17integral_constantIbLb1EES1A_IbLb0EEEEDaS16_S17_EUlS16_E_NS1_11comp_targetILNS1_3genE3ELNS1_11target_archE908ELNS1_3gpuE7ELNS1_3repE0EEENS1_30default_config_static_selectorELNS0_4arch9wavefront6targetE0EEEvT1_.numbered_sgpr, 0
	.set _ZN7rocprim17ROCPRIM_400000_NS6detail17trampoline_kernelINS0_14default_configENS1_25partition_config_selectorILNS1_17partition_subalgoE6ExNS0_10empty_typeEbEEZZNS1_14partition_implILS5_6ELb0ES3_mN6thrust23THRUST_200600_302600_NS6detail15normal_iteratorINSA_10device_ptrIxEEEEPS6_SG_NS0_5tupleIJNSA_16discard_iteratorINSA_11use_defaultEEES6_EEENSH_IJSG_SG_EEES6_PlJNSB_9not_fun_tINSB_14equal_to_valueIxEEEEEEE10hipError_tPvRmT3_T4_T5_T6_T7_T9_mT8_P12ihipStream_tbDpT10_ENKUlT_T0_E_clISt17integral_constantIbLb1EES1A_IbLb0EEEEDaS16_S17_EUlS16_E_NS1_11comp_targetILNS1_3genE3ELNS1_11target_archE908ELNS1_3gpuE7ELNS1_3repE0EEENS1_30default_config_static_selectorELNS0_4arch9wavefront6targetE0EEEvT1_.num_named_barrier, 0
	.set _ZN7rocprim17ROCPRIM_400000_NS6detail17trampoline_kernelINS0_14default_configENS1_25partition_config_selectorILNS1_17partition_subalgoE6ExNS0_10empty_typeEbEEZZNS1_14partition_implILS5_6ELb0ES3_mN6thrust23THRUST_200600_302600_NS6detail15normal_iteratorINSA_10device_ptrIxEEEEPS6_SG_NS0_5tupleIJNSA_16discard_iteratorINSA_11use_defaultEEES6_EEENSH_IJSG_SG_EEES6_PlJNSB_9not_fun_tINSB_14equal_to_valueIxEEEEEEE10hipError_tPvRmT3_T4_T5_T6_T7_T9_mT8_P12ihipStream_tbDpT10_ENKUlT_T0_E_clISt17integral_constantIbLb1EES1A_IbLb0EEEEDaS16_S17_EUlS16_E_NS1_11comp_targetILNS1_3genE3ELNS1_11target_archE908ELNS1_3gpuE7ELNS1_3repE0EEENS1_30default_config_static_selectorELNS0_4arch9wavefront6targetE0EEEvT1_.private_seg_size, 0
	.set _ZN7rocprim17ROCPRIM_400000_NS6detail17trampoline_kernelINS0_14default_configENS1_25partition_config_selectorILNS1_17partition_subalgoE6ExNS0_10empty_typeEbEEZZNS1_14partition_implILS5_6ELb0ES3_mN6thrust23THRUST_200600_302600_NS6detail15normal_iteratorINSA_10device_ptrIxEEEEPS6_SG_NS0_5tupleIJNSA_16discard_iteratorINSA_11use_defaultEEES6_EEENSH_IJSG_SG_EEES6_PlJNSB_9not_fun_tINSB_14equal_to_valueIxEEEEEEE10hipError_tPvRmT3_T4_T5_T6_T7_T9_mT8_P12ihipStream_tbDpT10_ENKUlT_T0_E_clISt17integral_constantIbLb1EES1A_IbLb0EEEEDaS16_S17_EUlS16_E_NS1_11comp_targetILNS1_3genE3ELNS1_11target_archE908ELNS1_3gpuE7ELNS1_3repE0EEENS1_30default_config_static_selectorELNS0_4arch9wavefront6targetE0EEEvT1_.uses_vcc, 0
	.set _ZN7rocprim17ROCPRIM_400000_NS6detail17trampoline_kernelINS0_14default_configENS1_25partition_config_selectorILNS1_17partition_subalgoE6ExNS0_10empty_typeEbEEZZNS1_14partition_implILS5_6ELb0ES3_mN6thrust23THRUST_200600_302600_NS6detail15normal_iteratorINSA_10device_ptrIxEEEEPS6_SG_NS0_5tupleIJNSA_16discard_iteratorINSA_11use_defaultEEES6_EEENSH_IJSG_SG_EEES6_PlJNSB_9not_fun_tINSB_14equal_to_valueIxEEEEEEE10hipError_tPvRmT3_T4_T5_T6_T7_T9_mT8_P12ihipStream_tbDpT10_ENKUlT_T0_E_clISt17integral_constantIbLb1EES1A_IbLb0EEEEDaS16_S17_EUlS16_E_NS1_11comp_targetILNS1_3genE3ELNS1_11target_archE908ELNS1_3gpuE7ELNS1_3repE0EEENS1_30default_config_static_selectorELNS0_4arch9wavefront6targetE0EEEvT1_.uses_flat_scratch, 0
	.set _ZN7rocprim17ROCPRIM_400000_NS6detail17trampoline_kernelINS0_14default_configENS1_25partition_config_selectorILNS1_17partition_subalgoE6ExNS0_10empty_typeEbEEZZNS1_14partition_implILS5_6ELb0ES3_mN6thrust23THRUST_200600_302600_NS6detail15normal_iteratorINSA_10device_ptrIxEEEEPS6_SG_NS0_5tupleIJNSA_16discard_iteratorINSA_11use_defaultEEES6_EEENSH_IJSG_SG_EEES6_PlJNSB_9not_fun_tINSB_14equal_to_valueIxEEEEEEE10hipError_tPvRmT3_T4_T5_T6_T7_T9_mT8_P12ihipStream_tbDpT10_ENKUlT_T0_E_clISt17integral_constantIbLb1EES1A_IbLb0EEEEDaS16_S17_EUlS16_E_NS1_11comp_targetILNS1_3genE3ELNS1_11target_archE908ELNS1_3gpuE7ELNS1_3repE0EEENS1_30default_config_static_selectorELNS0_4arch9wavefront6targetE0EEEvT1_.has_dyn_sized_stack, 0
	.set _ZN7rocprim17ROCPRIM_400000_NS6detail17trampoline_kernelINS0_14default_configENS1_25partition_config_selectorILNS1_17partition_subalgoE6ExNS0_10empty_typeEbEEZZNS1_14partition_implILS5_6ELb0ES3_mN6thrust23THRUST_200600_302600_NS6detail15normal_iteratorINSA_10device_ptrIxEEEEPS6_SG_NS0_5tupleIJNSA_16discard_iteratorINSA_11use_defaultEEES6_EEENSH_IJSG_SG_EEES6_PlJNSB_9not_fun_tINSB_14equal_to_valueIxEEEEEEE10hipError_tPvRmT3_T4_T5_T6_T7_T9_mT8_P12ihipStream_tbDpT10_ENKUlT_T0_E_clISt17integral_constantIbLb1EES1A_IbLb0EEEEDaS16_S17_EUlS16_E_NS1_11comp_targetILNS1_3genE3ELNS1_11target_archE908ELNS1_3gpuE7ELNS1_3repE0EEENS1_30default_config_static_selectorELNS0_4arch9wavefront6targetE0EEEvT1_.has_recursion, 0
	.set _ZN7rocprim17ROCPRIM_400000_NS6detail17trampoline_kernelINS0_14default_configENS1_25partition_config_selectorILNS1_17partition_subalgoE6ExNS0_10empty_typeEbEEZZNS1_14partition_implILS5_6ELb0ES3_mN6thrust23THRUST_200600_302600_NS6detail15normal_iteratorINSA_10device_ptrIxEEEEPS6_SG_NS0_5tupleIJNSA_16discard_iteratorINSA_11use_defaultEEES6_EEENSH_IJSG_SG_EEES6_PlJNSB_9not_fun_tINSB_14equal_to_valueIxEEEEEEE10hipError_tPvRmT3_T4_T5_T6_T7_T9_mT8_P12ihipStream_tbDpT10_ENKUlT_T0_E_clISt17integral_constantIbLb1EES1A_IbLb0EEEEDaS16_S17_EUlS16_E_NS1_11comp_targetILNS1_3genE3ELNS1_11target_archE908ELNS1_3gpuE7ELNS1_3repE0EEENS1_30default_config_static_selectorELNS0_4arch9wavefront6targetE0EEEvT1_.has_indirect_call, 0
	.section	.AMDGPU.csdata,"",@progbits
; Kernel info:
; codeLenInByte = 0
; TotalNumSgprs: 0
; NumVgprs: 0
; ScratchSize: 0
; MemoryBound: 0
; FloatMode: 240
; IeeeMode: 1
; LDSByteSize: 0 bytes/workgroup (compile time only)
; SGPRBlocks: 0
; VGPRBlocks: 0
; NumSGPRsForWavesPerEU: 1
; NumVGPRsForWavesPerEU: 1
; Occupancy: 16
; WaveLimiterHint : 0
; COMPUTE_PGM_RSRC2:SCRATCH_EN: 0
; COMPUTE_PGM_RSRC2:USER_SGPR: 2
; COMPUTE_PGM_RSRC2:TRAP_HANDLER: 0
; COMPUTE_PGM_RSRC2:TGID_X_EN: 1
; COMPUTE_PGM_RSRC2:TGID_Y_EN: 0
; COMPUTE_PGM_RSRC2:TGID_Z_EN: 0
; COMPUTE_PGM_RSRC2:TIDIG_COMP_CNT: 0
	.section	.text._ZN7rocprim17ROCPRIM_400000_NS6detail17trampoline_kernelINS0_14default_configENS1_25partition_config_selectorILNS1_17partition_subalgoE6ExNS0_10empty_typeEbEEZZNS1_14partition_implILS5_6ELb0ES3_mN6thrust23THRUST_200600_302600_NS6detail15normal_iteratorINSA_10device_ptrIxEEEEPS6_SG_NS0_5tupleIJNSA_16discard_iteratorINSA_11use_defaultEEES6_EEENSH_IJSG_SG_EEES6_PlJNSB_9not_fun_tINSB_14equal_to_valueIxEEEEEEE10hipError_tPvRmT3_T4_T5_T6_T7_T9_mT8_P12ihipStream_tbDpT10_ENKUlT_T0_E_clISt17integral_constantIbLb1EES1A_IbLb0EEEEDaS16_S17_EUlS16_E_NS1_11comp_targetILNS1_3genE2ELNS1_11target_archE906ELNS1_3gpuE6ELNS1_3repE0EEENS1_30default_config_static_selectorELNS0_4arch9wavefront6targetE0EEEvT1_,"axG",@progbits,_ZN7rocprim17ROCPRIM_400000_NS6detail17trampoline_kernelINS0_14default_configENS1_25partition_config_selectorILNS1_17partition_subalgoE6ExNS0_10empty_typeEbEEZZNS1_14partition_implILS5_6ELb0ES3_mN6thrust23THRUST_200600_302600_NS6detail15normal_iteratorINSA_10device_ptrIxEEEEPS6_SG_NS0_5tupleIJNSA_16discard_iteratorINSA_11use_defaultEEES6_EEENSH_IJSG_SG_EEES6_PlJNSB_9not_fun_tINSB_14equal_to_valueIxEEEEEEE10hipError_tPvRmT3_T4_T5_T6_T7_T9_mT8_P12ihipStream_tbDpT10_ENKUlT_T0_E_clISt17integral_constantIbLb1EES1A_IbLb0EEEEDaS16_S17_EUlS16_E_NS1_11comp_targetILNS1_3genE2ELNS1_11target_archE906ELNS1_3gpuE6ELNS1_3repE0EEENS1_30default_config_static_selectorELNS0_4arch9wavefront6targetE0EEEvT1_,comdat
	.protected	_ZN7rocprim17ROCPRIM_400000_NS6detail17trampoline_kernelINS0_14default_configENS1_25partition_config_selectorILNS1_17partition_subalgoE6ExNS0_10empty_typeEbEEZZNS1_14partition_implILS5_6ELb0ES3_mN6thrust23THRUST_200600_302600_NS6detail15normal_iteratorINSA_10device_ptrIxEEEEPS6_SG_NS0_5tupleIJNSA_16discard_iteratorINSA_11use_defaultEEES6_EEENSH_IJSG_SG_EEES6_PlJNSB_9not_fun_tINSB_14equal_to_valueIxEEEEEEE10hipError_tPvRmT3_T4_T5_T6_T7_T9_mT8_P12ihipStream_tbDpT10_ENKUlT_T0_E_clISt17integral_constantIbLb1EES1A_IbLb0EEEEDaS16_S17_EUlS16_E_NS1_11comp_targetILNS1_3genE2ELNS1_11target_archE906ELNS1_3gpuE6ELNS1_3repE0EEENS1_30default_config_static_selectorELNS0_4arch9wavefront6targetE0EEEvT1_ ; -- Begin function _ZN7rocprim17ROCPRIM_400000_NS6detail17trampoline_kernelINS0_14default_configENS1_25partition_config_selectorILNS1_17partition_subalgoE6ExNS0_10empty_typeEbEEZZNS1_14partition_implILS5_6ELb0ES3_mN6thrust23THRUST_200600_302600_NS6detail15normal_iteratorINSA_10device_ptrIxEEEEPS6_SG_NS0_5tupleIJNSA_16discard_iteratorINSA_11use_defaultEEES6_EEENSH_IJSG_SG_EEES6_PlJNSB_9not_fun_tINSB_14equal_to_valueIxEEEEEEE10hipError_tPvRmT3_T4_T5_T6_T7_T9_mT8_P12ihipStream_tbDpT10_ENKUlT_T0_E_clISt17integral_constantIbLb1EES1A_IbLb0EEEEDaS16_S17_EUlS16_E_NS1_11comp_targetILNS1_3genE2ELNS1_11target_archE906ELNS1_3gpuE6ELNS1_3repE0EEENS1_30default_config_static_selectorELNS0_4arch9wavefront6targetE0EEEvT1_
	.globl	_ZN7rocprim17ROCPRIM_400000_NS6detail17trampoline_kernelINS0_14default_configENS1_25partition_config_selectorILNS1_17partition_subalgoE6ExNS0_10empty_typeEbEEZZNS1_14partition_implILS5_6ELb0ES3_mN6thrust23THRUST_200600_302600_NS6detail15normal_iteratorINSA_10device_ptrIxEEEEPS6_SG_NS0_5tupleIJNSA_16discard_iteratorINSA_11use_defaultEEES6_EEENSH_IJSG_SG_EEES6_PlJNSB_9not_fun_tINSB_14equal_to_valueIxEEEEEEE10hipError_tPvRmT3_T4_T5_T6_T7_T9_mT8_P12ihipStream_tbDpT10_ENKUlT_T0_E_clISt17integral_constantIbLb1EES1A_IbLb0EEEEDaS16_S17_EUlS16_E_NS1_11comp_targetILNS1_3genE2ELNS1_11target_archE906ELNS1_3gpuE6ELNS1_3repE0EEENS1_30default_config_static_selectorELNS0_4arch9wavefront6targetE0EEEvT1_
	.p2align	8
	.type	_ZN7rocprim17ROCPRIM_400000_NS6detail17trampoline_kernelINS0_14default_configENS1_25partition_config_selectorILNS1_17partition_subalgoE6ExNS0_10empty_typeEbEEZZNS1_14partition_implILS5_6ELb0ES3_mN6thrust23THRUST_200600_302600_NS6detail15normal_iteratorINSA_10device_ptrIxEEEEPS6_SG_NS0_5tupleIJNSA_16discard_iteratorINSA_11use_defaultEEES6_EEENSH_IJSG_SG_EEES6_PlJNSB_9not_fun_tINSB_14equal_to_valueIxEEEEEEE10hipError_tPvRmT3_T4_T5_T6_T7_T9_mT8_P12ihipStream_tbDpT10_ENKUlT_T0_E_clISt17integral_constantIbLb1EES1A_IbLb0EEEEDaS16_S17_EUlS16_E_NS1_11comp_targetILNS1_3genE2ELNS1_11target_archE906ELNS1_3gpuE6ELNS1_3repE0EEENS1_30default_config_static_selectorELNS0_4arch9wavefront6targetE0EEEvT1_,@function
_ZN7rocprim17ROCPRIM_400000_NS6detail17trampoline_kernelINS0_14default_configENS1_25partition_config_selectorILNS1_17partition_subalgoE6ExNS0_10empty_typeEbEEZZNS1_14partition_implILS5_6ELb0ES3_mN6thrust23THRUST_200600_302600_NS6detail15normal_iteratorINSA_10device_ptrIxEEEEPS6_SG_NS0_5tupleIJNSA_16discard_iteratorINSA_11use_defaultEEES6_EEENSH_IJSG_SG_EEES6_PlJNSB_9not_fun_tINSB_14equal_to_valueIxEEEEEEE10hipError_tPvRmT3_T4_T5_T6_T7_T9_mT8_P12ihipStream_tbDpT10_ENKUlT_T0_E_clISt17integral_constantIbLb1EES1A_IbLb0EEEEDaS16_S17_EUlS16_E_NS1_11comp_targetILNS1_3genE2ELNS1_11target_archE906ELNS1_3gpuE6ELNS1_3repE0EEENS1_30default_config_static_selectorELNS0_4arch9wavefront6targetE0EEEvT1_: ; @_ZN7rocprim17ROCPRIM_400000_NS6detail17trampoline_kernelINS0_14default_configENS1_25partition_config_selectorILNS1_17partition_subalgoE6ExNS0_10empty_typeEbEEZZNS1_14partition_implILS5_6ELb0ES3_mN6thrust23THRUST_200600_302600_NS6detail15normal_iteratorINSA_10device_ptrIxEEEEPS6_SG_NS0_5tupleIJNSA_16discard_iteratorINSA_11use_defaultEEES6_EEENSH_IJSG_SG_EEES6_PlJNSB_9not_fun_tINSB_14equal_to_valueIxEEEEEEE10hipError_tPvRmT3_T4_T5_T6_T7_T9_mT8_P12ihipStream_tbDpT10_ENKUlT_T0_E_clISt17integral_constantIbLb1EES1A_IbLb0EEEEDaS16_S17_EUlS16_E_NS1_11comp_targetILNS1_3genE2ELNS1_11target_archE906ELNS1_3gpuE6ELNS1_3repE0EEENS1_30default_config_static_selectorELNS0_4arch9wavefront6targetE0EEEvT1_
; %bb.0:
	.section	.rodata,"a",@progbits
	.p2align	6, 0x0
	.amdhsa_kernel _ZN7rocprim17ROCPRIM_400000_NS6detail17trampoline_kernelINS0_14default_configENS1_25partition_config_selectorILNS1_17partition_subalgoE6ExNS0_10empty_typeEbEEZZNS1_14partition_implILS5_6ELb0ES3_mN6thrust23THRUST_200600_302600_NS6detail15normal_iteratorINSA_10device_ptrIxEEEEPS6_SG_NS0_5tupleIJNSA_16discard_iteratorINSA_11use_defaultEEES6_EEENSH_IJSG_SG_EEES6_PlJNSB_9not_fun_tINSB_14equal_to_valueIxEEEEEEE10hipError_tPvRmT3_T4_T5_T6_T7_T9_mT8_P12ihipStream_tbDpT10_ENKUlT_T0_E_clISt17integral_constantIbLb1EES1A_IbLb0EEEEDaS16_S17_EUlS16_E_NS1_11comp_targetILNS1_3genE2ELNS1_11target_archE906ELNS1_3gpuE6ELNS1_3repE0EEENS1_30default_config_static_selectorELNS0_4arch9wavefront6targetE0EEEvT1_
		.amdhsa_group_segment_fixed_size 0
		.amdhsa_private_segment_fixed_size 0
		.amdhsa_kernarg_size 128
		.amdhsa_user_sgpr_count 2
		.amdhsa_user_sgpr_dispatch_ptr 0
		.amdhsa_user_sgpr_queue_ptr 0
		.amdhsa_user_sgpr_kernarg_segment_ptr 1
		.amdhsa_user_sgpr_dispatch_id 0
		.amdhsa_user_sgpr_private_segment_size 0
		.amdhsa_wavefront_size32 1
		.amdhsa_uses_dynamic_stack 0
		.amdhsa_enable_private_segment 0
		.amdhsa_system_sgpr_workgroup_id_x 1
		.amdhsa_system_sgpr_workgroup_id_y 0
		.amdhsa_system_sgpr_workgroup_id_z 0
		.amdhsa_system_sgpr_workgroup_info 0
		.amdhsa_system_vgpr_workitem_id 0
		.amdhsa_next_free_vgpr 1
		.amdhsa_next_free_sgpr 1
		.amdhsa_reserve_vcc 0
		.amdhsa_float_round_mode_32 0
		.amdhsa_float_round_mode_16_64 0
		.amdhsa_float_denorm_mode_32 3
		.amdhsa_float_denorm_mode_16_64 3
		.amdhsa_fp16_overflow 0
		.amdhsa_workgroup_processor_mode 1
		.amdhsa_memory_ordered 1
		.amdhsa_forward_progress 1
		.amdhsa_inst_pref_size 0
		.amdhsa_round_robin_scheduling 0
		.amdhsa_exception_fp_ieee_invalid_op 0
		.amdhsa_exception_fp_denorm_src 0
		.amdhsa_exception_fp_ieee_div_zero 0
		.amdhsa_exception_fp_ieee_overflow 0
		.amdhsa_exception_fp_ieee_underflow 0
		.amdhsa_exception_fp_ieee_inexact 0
		.amdhsa_exception_int_div_zero 0
	.end_amdhsa_kernel
	.section	.text._ZN7rocprim17ROCPRIM_400000_NS6detail17trampoline_kernelINS0_14default_configENS1_25partition_config_selectorILNS1_17partition_subalgoE6ExNS0_10empty_typeEbEEZZNS1_14partition_implILS5_6ELb0ES3_mN6thrust23THRUST_200600_302600_NS6detail15normal_iteratorINSA_10device_ptrIxEEEEPS6_SG_NS0_5tupleIJNSA_16discard_iteratorINSA_11use_defaultEEES6_EEENSH_IJSG_SG_EEES6_PlJNSB_9not_fun_tINSB_14equal_to_valueIxEEEEEEE10hipError_tPvRmT3_T4_T5_T6_T7_T9_mT8_P12ihipStream_tbDpT10_ENKUlT_T0_E_clISt17integral_constantIbLb1EES1A_IbLb0EEEEDaS16_S17_EUlS16_E_NS1_11comp_targetILNS1_3genE2ELNS1_11target_archE906ELNS1_3gpuE6ELNS1_3repE0EEENS1_30default_config_static_selectorELNS0_4arch9wavefront6targetE0EEEvT1_,"axG",@progbits,_ZN7rocprim17ROCPRIM_400000_NS6detail17trampoline_kernelINS0_14default_configENS1_25partition_config_selectorILNS1_17partition_subalgoE6ExNS0_10empty_typeEbEEZZNS1_14partition_implILS5_6ELb0ES3_mN6thrust23THRUST_200600_302600_NS6detail15normal_iteratorINSA_10device_ptrIxEEEEPS6_SG_NS0_5tupleIJNSA_16discard_iteratorINSA_11use_defaultEEES6_EEENSH_IJSG_SG_EEES6_PlJNSB_9not_fun_tINSB_14equal_to_valueIxEEEEEEE10hipError_tPvRmT3_T4_T5_T6_T7_T9_mT8_P12ihipStream_tbDpT10_ENKUlT_T0_E_clISt17integral_constantIbLb1EES1A_IbLb0EEEEDaS16_S17_EUlS16_E_NS1_11comp_targetILNS1_3genE2ELNS1_11target_archE906ELNS1_3gpuE6ELNS1_3repE0EEENS1_30default_config_static_selectorELNS0_4arch9wavefront6targetE0EEEvT1_,comdat
.Lfunc_end1745:
	.size	_ZN7rocprim17ROCPRIM_400000_NS6detail17trampoline_kernelINS0_14default_configENS1_25partition_config_selectorILNS1_17partition_subalgoE6ExNS0_10empty_typeEbEEZZNS1_14partition_implILS5_6ELb0ES3_mN6thrust23THRUST_200600_302600_NS6detail15normal_iteratorINSA_10device_ptrIxEEEEPS6_SG_NS0_5tupleIJNSA_16discard_iteratorINSA_11use_defaultEEES6_EEENSH_IJSG_SG_EEES6_PlJNSB_9not_fun_tINSB_14equal_to_valueIxEEEEEEE10hipError_tPvRmT3_T4_T5_T6_T7_T9_mT8_P12ihipStream_tbDpT10_ENKUlT_T0_E_clISt17integral_constantIbLb1EES1A_IbLb0EEEEDaS16_S17_EUlS16_E_NS1_11comp_targetILNS1_3genE2ELNS1_11target_archE906ELNS1_3gpuE6ELNS1_3repE0EEENS1_30default_config_static_selectorELNS0_4arch9wavefront6targetE0EEEvT1_, .Lfunc_end1745-_ZN7rocprim17ROCPRIM_400000_NS6detail17trampoline_kernelINS0_14default_configENS1_25partition_config_selectorILNS1_17partition_subalgoE6ExNS0_10empty_typeEbEEZZNS1_14partition_implILS5_6ELb0ES3_mN6thrust23THRUST_200600_302600_NS6detail15normal_iteratorINSA_10device_ptrIxEEEEPS6_SG_NS0_5tupleIJNSA_16discard_iteratorINSA_11use_defaultEEES6_EEENSH_IJSG_SG_EEES6_PlJNSB_9not_fun_tINSB_14equal_to_valueIxEEEEEEE10hipError_tPvRmT3_T4_T5_T6_T7_T9_mT8_P12ihipStream_tbDpT10_ENKUlT_T0_E_clISt17integral_constantIbLb1EES1A_IbLb0EEEEDaS16_S17_EUlS16_E_NS1_11comp_targetILNS1_3genE2ELNS1_11target_archE906ELNS1_3gpuE6ELNS1_3repE0EEENS1_30default_config_static_selectorELNS0_4arch9wavefront6targetE0EEEvT1_
                                        ; -- End function
	.set _ZN7rocprim17ROCPRIM_400000_NS6detail17trampoline_kernelINS0_14default_configENS1_25partition_config_selectorILNS1_17partition_subalgoE6ExNS0_10empty_typeEbEEZZNS1_14partition_implILS5_6ELb0ES3_mN6thrust23THRUST_200600_302600_NS6detail15normal_iteratorINSA_10device_ptrIxEEEEPS6_SG_NS0_5tupleIJNSA_16discard_iteratorINSA_11use_defaultEEES6_EEENSH_IJSG_SG_EEES6_PlJNSB_9not_fun_tINSB_14equal_to_valueIxEEEEEEE10hipError_tPvRmT3_T4_T5_T6_T7_T9_mT8_P12ihipStream_tbDpT10_ENKUlT_T0_E_clISt17integral_constantIbLb1EES1A_IbLb0EEEEDaS16_S17_EUlS16_E_NS1_11comp_targetILNS1_3genE2ELNS1_11target_archE906ELNS1_3gpuE6ELNS1_3repE0EEENS1_30default_config_static_selectorELNS0_4arch9wavefront6targetE0EEEvT1_.num_vgpr, 0
	.set _ZN7rocprim17ROCPRIM_400000_NS6detail17trampoline_kernelINS0_14default_configENS1_25partition_config_selectorILNS1_17partition_subalgoE6ExNS0_10empty_typeEbEEZZNS1_14partition_implILS5_6ELb0ES3_mN6thrust23THRUST_200600_302600_NS6detail15normal_iteratorINSA_10device_ptrIxEEEEPS6_SG_NS0_5tupleIJNSA_16discard_iteratorINSA_11use_defaultEEES6_EEENSH_IJSG_SG_EEES6_PlJNSB_9not_fun_tINSB_14equal_to_valueIxEEEEEEE10hipError_tPvRmT3_T4_T5_T6_T7_T9_mT8_P12ihipStream_tbDpT10_ENKUlT_T0_E_clISt17integral_constantIbLb1EES1A_IbLb0EEEEDaS16_S17_EUlS16_E_NS1_11comp_targetILNS1_3genE2ELNS1_11target_archE906ELNS1_3gpuE6ELNS1_3repE0EEENS1_30default_config_static_selectorELNS0_4arch9wavefront6targetE0EEEvT1_.num_agpr, 0
	.set _ZN7rocprim17ROCPRIM_400000_NS6detail17trampoline_kernelINS0_14default_configENS1_25partition_config_selectorILNS1_17partition_subalgoE6ExNS0_10empty_typeEbEEZZNS1_14partition_implILS5_6ELb0ES3_mN6thrust23THRUST_200600_302600_NS6detail15normal_iteratorINSA_10device_ptrIxEEEEPS6_SG_NS0_5tupleIJNSA_16discard_iteratorINSA_11use_defaultEEES6_EEENSH_IJSG_SG_EEES6_PlJNSB_9not_fun_tINSB_14equal_to_valueIxEEEEEEE10hipError_tPvRmT3_T4_T5_T6_T7_T9_mT8_P12ihipStream_tbDpT10_ENKUlT_T0_E_clISt17integral_constantIbLb1EES1A_IbLb0EEEEDaS16_S17_EUlS16_E_NS1_11comp_targetILNS1_3genE2ELNS1_11target_archE906ELNS1_3gpuE6ELNS1_3repE0EEENS1_30default_config_static_selectorELNS0_4arch9wavefront6targetE0EEEvT1_.numbered_sgpr, 0
	.set _ZN7rocprim17ROCPRIM_400000_NS6detail17trampoline_kernelINS0_14default_configENS1_25partition_config_selectorILNS1_17partition_subalgoE6ExNS0_10empty_typeEbEEZZNS1_14partition_implILS5_6ELb0ES3_mN6thrust23THRUST_200600_302600_NS6detail15normal_iteratorINSA_10device_ptrIxEEEEPS6_SG_NS0_5tupleIJNSA_16discard_iteratorINSA_11use_defaultEEES6_EEENSH_IJSG_SG_EEES6_PlJNSB_9not_fun_tINSB_14equal_to_valueIxEEEEEEE10hipError_tPvRmT3_T4_T5_T6_T7_T9_mT8_P12ihipStream_tbDpT10_ENKUlT_T0_E_clISt17integral_constantIbLb1EES1A_IbLb0EEEEDaS16_S17_EUlS16_E_NS1_11comp_targetILNS1_3genE2ELNS1_11target_archE906ELNS1_3gpuE6ELNS1_3repE0EEENS1_30default_config_static_selectorELNS0_4arch9wavefront6targetE0EEEvT1_.num_named_barrier, 0
	.set _ZN7rocprim17ROCPRIM_400000_NS6detail17trampoline_kernelINS0_14default_configENS1_25partition_config_selectorILNS1_17partition_subalgoE6ExNS0_10empty_typeEbEEZZNS1_14partition_implILS5_6ELb0ES3_mN6thrust23THRUST_200600_302600_NS6detail15normal_iteratorINSA_10device_ptrIxEEEEPS6_SG_NS0_5tupleIJNSA_16discard_iteratorINSA_11use_defaultEEES6_EEENSH_IJSG_SG_EEES6_PlJNSB_9not_fun_tINSB_14equal_to_valueIxEEEEEEE10hipError_tPvRmT3_T4_T5_T6_T7_T9_mT8_P12ihipStream_tbDpT10_ENKUlT_T0_E_clISt17integral_constantIbLb1EES1A_IbLb0EEEEDaS16_S17_EUlS16_E_NS1_11comp_targetILNS1_3genE2ELNS1_11target_archE906ELNS1_3gpuE6ELNS1_3repE0EEENS1_30default_config_static_selectorELNS0_4arch9wavefront6targetE0EEEvT1_.private_seg_size, 0
	.set _ZN7rocprim17ROCPRIM_400000_NS6detail17trampoline_kernelINS0_14default_configENS1_25partition_config_selectorILNS1_17partition_subalgoE6ExNS0_10empty_typeEbEEZZNS1_14partition_implILS5_6ELb0ES3_mN6thrust23THRUST_200600_302600_NS6detail15normal_iteratorINSA_10device_ptrIxEEEEPS6_SG_NS0_5tupleIJNSA_16discard_iteratorINSA_11use_defaultEEES6_EEENSH_IJSG_SG_EEES6_PlJNSB_9not_fun_tINSB_14equal_to_valueIxEEEEEEE10hipError_tPvRmT3_T4_T5_T6_T7_T9_mT8_P12ihipStream_tbDpT10_ENKUlT_T0_E_clISt17integral_constantIbLb1EES1A_IbLb0EEEEDaS16_S17_EUlS16_E_NS1_11comp_targetILNS1_3genE2ELNS1_11target_archE906ELNS1_3gpuE6ELNS1_3repE0EEENS1_30default_config_static_selectorELNS0_4arch9wavefront6targetE0EEEvT1_.uses_vcc, 0
	.set _ZN7rocprim17ROCPRIM_400000_NS6detail17trampoline_kernelINS0_14default_configENS1_25partition_config_selectorILNS1_17partition_subalgoE6ExNS0_10empty_typeEbEEZZNS1_14partition_implILS5_6ELb0ES3_mN6thrust23THRUST_200600_302600_NS6detail15normal_iteratorINSA_10device_ptrIxEEEEPS6_SG_NS0_5tupleIJNSA_16discard_iteratorINSA_11use_defaultEEES6_EEENSH_IJSG_SG_EEES6_PlJNSB_9not_fun_tINSB_14equal_to_valueIxEEEEEEE10hipError_tPvRmT3_T4_T5_T6_T7_T9_mT8_P12ihipStream_tbDpT10_ENKUlT_T0_E_clISt17integral_constantIbLb1EES1A_IbLb0EEEEDaS16_S17_EUlS16_E_NS1_11comp_targetILNS1_3genE2ELNS1_11target_archE906ELNS1_3gpuE6ELNS1_3repE0EEENS1_30default_config_static_selectorELNS0_4arch9wavefront6targetE0EEEvT1_.uses_flat_scratch, 0
	.set _ZN7rocprim17ROCPRIM_400000_NS6detail17trampoline_kernelINS0_14default_configENS1_25partition_config_selectorILNS1_17partition_subalgoE6ExNS0_10empty_typeEbEEZZNS1_14partition_implILS5_6ELb0ES3_mN6thrust23THRUST_200600_302600_NS6detail15normal_iteratorINSA_10device_ptrIxEEEEPS6_SG_NS0_5tupleIJNSA_16discard_iteratorINSA_11use_defaultEEES6_EEENSH_IJSG_SG_EEES6_PlJNSB_9not_fun_tINSB_14equal_to_valueIxEEEEEEE10hipError_tPvRmT3_T4_T5_T6_T7_T9_mT8_P12ihipStream_tbDpT10_ENKUlT_T0_E_clISt17integral_constantIbLb1EES1A_IbLb0EEEEDaS16_S17_EUlS16_E_NS1_11comp_targetILNS1_3genE2ELNS1_11target_archE906ELNS1_3gpuE6ELNS1_3repE0EEENS1_30default_config_static_selectorELNS0_4arch9wavefront6targetE0EEEvT1_.has_dyn_sized_stack, 0
	.set _ZN7rocprim17ROCPRIM_400000_NS6detail17trampoline_kernelINS0_14default_configENS1_25partition_config_selectorILNS1_17partition_subalgoE6ExNS0_10empty_typeEbEEZZNS1_14partition_implILS5_6ELb0ES3_mN6thrust23THRUST_200600_302600_NS6detail15normal_iteratorINSA_10device_ptrIxEEEEPS6_SG_NS0_5tupleIJNSA_16discard_iteratorINSA_11use_defaultEEES6_EEENSH_IJSG_SG_EEES6_PlJNSB_9not_fun_tINSB_14equal_to_valueIxEEEEEEE10hipError_tPvRmT3_T4_T5_T6_T7_T9_mT8_P12ihipStream_tbDpT10_ENKUlT_T0_E_clISt17integral_constantIbLb1EES1A_IbLb0EEEEDaS16_S17_EUlS16_E_NS1_11comp_targetILNS1_3genE2ELNS1_11target_archE906ELNS1_3gpuE6ELNS1_3repE0EEENS1_30default_config_static_selectorELNS0_4arch9wavefront6targetE0EEEvT1_.has_recursion, 0
	.set _ZN7rocprim17ROCPRIM_400000_NS6detail17trampoline_kernelINS0_14default_configENS1_25partition_config_selectorILNS1_17partition_subalgoE6ExNS0_10empty_typeEbEEZZNS1_14partition_implILS5_6ELb0ES3_mN6thrust23THRUST_200600_302600_NS6detail15normal_iteratorINSA_10device_ptrIxEEEEPS6_SG_NS0_5tupleIJNSA_16discard_iteratorINSA_11use_defaultEEES6_EEENSH_IJSG_SG_EEES6_PlJNSB_9not_fun_tINSB_14equal_to_valueIxEEEEEEE10hipError_tPvRmT3_T4_T5_T6_T7_T9_mT8_P12ihipStream_tbDpT10_ENKUlT_T0_E_clISt17integral_constantIbLb1EES1A_IbLb0EEEEDaS16_S17_EUlS16_E_NS1_11comp_targetILNS1_3genE2ELNS1_11target_archE906ELNS1_3gpuE6ELNS1_3repE0EEENS1_30default_config_static_selectorELNS0_4arch9wavefront6targetE0EEEvT1_.has_indirect_call, 0
	.section	.AMDGPU.csdata,"",@progbits
; Kernel info:
; codeLenInByte = 0
; TotalNumSgprs: 0
; NumVgprs: 0
; ScratchSize: 0
; MemoryBound: 0
; FloatMode: 240
; IeeeMode: 1
; LDSByteSize: 0 bytes/workgroup (compile time only)
; SGPRBlocks: 0
; VGPRBlocks: 0
; NumSGPRsForWavesPerEU: 1
; NumVGPRsForWavesPerEU: 1
; Occupancy: 16
; WaveLimiterHint : 0
; COMPUTE_PGM_RSRC2:SCRATCH_EN: 0
; COMPUTE_PGM_RSRC2:USER_SGPR: 2
; COMPUTE_PGM_RSRC2:TRAP_HANDLER: 0
; COMPUTE_PGM_RSRC2:TGID_X_EN: 1
; COMPUTE_PGM_RSRC2:TGID_Y_EN: 0
; COMPUTE_PGM_RSRC2:TGID_Z_EN: 0
; COMPUTE_PGM_RSRC2:TIDIG_COMP_CNT: 0
	.section	.text._ZN7rocprim17ROCPRIM_400000_NS6detail17trampoline_kernelINS0_14default_configENS1_25partition_config_selectorILNS1_17partition_subalgoE6ExNS0_10empty_typeEbEEZZNS1_14partition_implILS5_6ELb0ES3_mN6thrust23THRUST_200600_302600_NS6detail15normal_iteratorINSA_10device_ptrIxEEEEPS6_SG_NS0_5tupleIJNSA_16discard_iteratorINSA_11use_defaultEEES6_EEENSH_IJSG_SG_EEES6_PlJNSB_9not_fun_tINSB_14equal_to_valueIxEEEEEEE10hipError_tPvRmT3_T4_T5_T6_T7_T9_mT8_P12ihipStream_tbDpT10_ENKUlT_T0_E_clISt17integral_constantIbLb1EES1A_IbLb0EEEEDaS16_S17_EUlS16_E_NS1_11comp_targetILNS1_3genE10ELNS1_11target_archE1200ELNS1_3gpuE4ELNS1_3repE0EEENS1_30default_config_static_selectorELNS0_4arch9wavefront6targetE0EEEvT1_,"axG",@progbits,_ZN7rocprim17ROCPRIM_400000_NS6detail17trampoline_kernelINS0_14default_configENS1_25partition_config_selectorILNS1_17partition_subalgoE6ExNS0_10empty_typeEbEEZZNS1_14partition_implILS5_6ELb0ES3_mN6thrust23THRUST_200600_302600_NS6detail15normal_iteratorINSA_10device_ptrIxEEEEPS6_SG_NS0_5tupleIJNSA_16discard_iteratorINSA_11use_defaultEEES6_EEENSH_IJSG_SG_EEES6_PlJNSB_9not_fun_tINSB_14equal_to_valueIxEEEEEEE10hipError_tPvRmT3_T4_T5_T6_T7_T9_mT8_P12ihipStream_tbDpT10_ENKUlT_T0_E_clISt17integral_constantIbLb1EES1A_IbLb0EEEEDaS16_S17_EUlS16_E_NS1_11comp_targetILNS1_3genE10ELNS1_11target_archE1200ELNS1_3gpuE4ELNS1_3repE0EEENS1_30default_config_static_selectorELNS0_4arch9wavefront6targetE0EEEvT1_,comdat
	.protected	_ZN7rocprim17ROCPRIM_400000_NS6detail17trampoline_kernelINS0_14default_configENS1_25partition_config_selectorILNS1_17partition_subalgoE6ExNS0_10empty_typeEbEEZZNS1_14partition_implILS5_6ELb0ES3_mN6thrust23THRUST_200600_302600_NS6detail15normal_iteratorINSA_10device_ptrIxEEEEPS6_SG_NS0_5tupleIJNSA_16discard_iteratorINSA_11use_defaultEEES6_EEENSH_IJSG_SG_EEES6_PlJNSB_9not_fun_tINSB_14equal_to_valueIxEEEEEEE10hipError_tPvRmT3_T4_T5_T6_T7_T9_mT8_P12ihipStream_tbDpT10_ENKUlT_T0_E_clISt17integral_constantIbLb1EES1A_IbLb0EEEEDaS16_S17_EUlS16_E_NS1_11comp_targetILNS1_3genE10ELNS1_11target_archE1200ELNS1_3gpuE4ELNS1_3repE0EEENS1_30default_config_static_selectorELNS0_4arch9wavefront6targetE0EEEvT1_ ; -- Begin function _ZN7rocprim17ROCPRIM_400000_NS6detail17trampoline_kernelINS0_14default_configENS1_25partition_config_selectorILNS1_17partition_subalgoE6ExNS0_10empty_typeEbEEZZNS1_14partition_implILS5_6ELb0ES3_mN6thrust23THRUST_200600_302600_NS6detail15normal_iteratorINSA_10device_ptrIxEEEEPS6_SG_NS0_5tupleIJNSA_16discard_iteratorINSA_11use_defaultEEES6_EEENSH_IJSG_SG_EEES6_PlJNSB_9not_fun_tINSB_14equal_to_valueIxEEEEEEE10hipError_tPvRmT3_T4_T5_T6_T7_T9_mT8_P12ihipStream_tbDpT10_ENKUlT_T0_E_clISt17integral_constantIbLb1EES1A_IbLb0EEEEDaS16_S17_EUlS16_E_NS1_11comp_targetILNS1_3genE10ELNS1_11target_archE1200ELNS1_3gpuE4ELNS1_3repE0EEENS1_30default_config_static_selectorELNS0_4arch9wavefront6targetE0EEEvT1_
	.globl	_ZN7rocprim17ROCPRIM_400000_NS6detail17trampoline_kernelINS0_14default_configENS1_25partition_config_selectorILNS1_17partition_subalgoE6ExNS0_10empty_typeEbEEZZNS1_14partition_implILS5_6ELb0ES3_mN6thrust23THRUST_200600_302600_NS6detail15normal_iteratorINSA_10device_ptrIxEEEEPS6_SG_NS0_5tupleIJNSA_16discard_iteratorINSA_11use_defaultEEES6_EEENSH_IJSG_SG_EEES6_PlJNSB_9not_fun_tINSB_14equal_to_valueIxEEEEEEE10hipError_tPvRmT3_T4_T5_T6_T7_T9_mT8_P12ihipStream_tbDpT10_ENKUlT_T0_E_clISt17integral_constantIbLb1EES1A_IbLb0EEEEDaS16_S17_EUlS16_E_NS1_11comp_targetILNS1_3genE10ELNS1_11target_archE1200ELNS1_3gpuE4ELNS1_3repE0EEENS1_30default_config_static_selectorELNS0_4arch9wavefront6targetE0EEEvT1_
	.p2align	8
	.type	_ZN7rocprim17ROCPRIM_400000_NS6detail17trampoline_kernelINS0_14default_configENS1_25partition_config_selectorILNS1_17partition_subalgoE6ExNS0_10empty_typeEbEEZZNS1_14partition_implILS5_6ELb0ES3_mN6thrust23THRUST_200600_302600_NS6detail15normal_iteratorINSA_10device_ptrIxEEEEPS6_SG_NS0_5tupleIJNSA_16discard_iteratorINSA_11use_defaultEEES6_EEENSH_IJSG_SG_EEES6_PlJNSB_9not_fun_tINSB_14equal_to_valueIxEEEEEEE10hipError_tPvRmT3_T4_T5_T6_T7_T9_mT8_P12ihipStream_tbDpT10_ENKUlT_T0_E_clISt17integral_constantIbLb1EES1A_IbLb0EEEEDaS16_S17_EUlS16_E_NS1_11comp_targetILNS1_3genE10ELNS1_11target_archE1200ELNS1_3gpuE4ELNS1_3repE0EEENS1_30default_config_static_selectorELNS0_4arch9wavefront6targetE0EEEvT1_,@function
_ZN7rocprim17ROCPRIM_400000_NS6detail17trampoline_kernelINS0_14default_configENS1_25partition_config_selectorILNS1_17partition_subalgoE6ExNS0_10empty_typeEbEEZZNS1_14partition_implILS5_6ELb0ES3_mN6thrust23THRUST_200600_302600_NS6detail15normal_iteratorINSA_10device_ptrIxEEEEPS6_SG_NS0_5tupleIJNSA_16discard_iteratorINSA_11use_defaultEEES6_EEENSH_IJSG_SG_EEES6_PlJNSB_9not_fun_tINSB_14equal_to_valueIxEEEEEEE10hipError_tPvRmT3_T4_T5_T6_T7_T9_mT8_P12ihipStream_tbDpT10_ENKUlT_T0_E_clISt17integral_constantIbLb1EES1A_IbLb0EEEEDaS16_S17_EUlS16_E_NS1_11comp_targetILNS1_3genE10ELNS1_11target_archE1200ELNS1_3gpuE4ELNS1_3repE0EEENS1_30default_config_static_selectorELNS0_4arch9wavefront6targetE0EEEvT1_: ; @_ZN7rocprim17ROCPRIM_400000_NS6detail17trampoline_kernelINS0_14default_configENS1_25partition_config_selectorILNS1_17partition_subalgoE6ExNS0_10empty_typeEbEEZZNS1_14partition_implILS5_6ELb0ES3_mN6thrust23THRUST_200600_302600_NS6detail15normal_iteratorINSA_10device_ptrIxEEEEPS6_SG_NS0_5tupleIJNSA_16discard_iteratorINSA_11use_defaultEEES6_EEENSH_IJSG_SG_EEES6_PlJNSB_9not_fun_tINSB_14equal_to_valueIxEEEEEEE10hipError_tPvRmT3_T4_T5_T6_T7_T9_mT8_P12ihipStream_tbDpT10_ENKUlT_T0_E_clISt17integral_constantIbLb1EES1A_IbLb0EEEEDaS16_S17_EUlS16_E_NS1_11comp_targetILNS1_3genE10ELNS1_11target_archE1200ELNS1_3gpuE4ELNS1_3repE0EEENS1_30default_config_static_selectorELNS0_4arch9wavefront6targetE0EEEvT1_
; %bb.0:
	s_endpgm
	.section	.rodata,"a",@progbits
	.p2align	6, 0x0
	.amdhsa_kernel _ZN7rocprim17ROCPRIM_400000_NS6detail17trampoline_kernelINS0_14default_configENS1_25partition_config_selectorILNS1_17partition_subalgoE6ExNS0_10empty_typeEbEEZZNS1_14partition_implILS5_6ELb0ES3_mN6thrust23THRUST_200600_302600_NS6detail15normal_iteratorINSA_10device_ptrIxEEEEPS6_SG_NS0_5tupleIJNSA_16discard_iteratorINSA_11use_defaultEEES6_EEENSH_IJSG_SG_EEES6_PlJNSB_9not_fun_tINSB_14equal_to_valueIxEEEEEEE10hipError_tPvRmT3_T4_T5_T6_T7_T9_mT8_P12ihipStream_tbDpT10_ENKUlT_T0_E_clISt17integral_constantIbLb1EES1A_IbLb0EEEEDaS16_S17_EUlS16_E_NS1_11comp_targetILNS1_3genE10ELNS1_11target_archE1200ELNS1_3gpuE4ELNS1_3repE0EEENS1_30default_config_static_selectorELNS0_4arch9wavefront6targetE0EEEvT1_
		.amdhsa_group_segment_fixed_size 0
		.amdhsa_private_segment_fixed_size 0
		.amdhsa_kernarg_size 128
		.amdhsa_user_sgpr_count 2
		.amdhsa_user_sgpr_dispatch_ptr 0
		.amdhsa_user_sgpr_queue_ptr 0
		.amdhsa_user_sgpr_kernarg_segment_ptr 1
		.amdhsa_user_sgpr_dispatch_id 0
		.amdhsa_user_sgpr_private_segment_size 0
		.amdhsa_wavefront_size32 1
		.amdhsa_uses_dynamic_stack 0
		.amdhsa_enable_private_segment 0
		.amdhsa_system_sgpr_workgroup_id_x 1
		.amdhsa_system_sgpr_workgroup_id_y 0
		.amdhsa_system_sgpr_workgroup_id_z 0
		.amdhsa_system_sgpr_workgroup_info 0
		.amdhsa_system_vgpr_workitem_id 0
		.amdhsa_next_free_vgpr 1
		.amdhsa_next_free_sgpr 1
		.amdhsa_reserve_vcc 0
		.amdhsa_float_round_mode_32 0
		.amdhsa_float_round_mode_16_64 0
		.amdhsa_float_denorm_mode_32 3
		.amdhsa_float_denorm_mode_16_64 3
		.amdhsa_fp16_overflow 0
		.amdhsa_workgroup_processor_mode 1
		.amdhsa_memory_ordered 1
		.amdhsa_forward_progress 1
		.amdhsa_inst_pref_size 1
		.amdhsa_round_robin_scheduling 0
		.amdhsa_exception_fp_ieee_invalid_op 0
		.amdhsa_exception_fp_denorm_src 0
		.amdhsa_exception_fp_ieee_div_zero 0
		.amdhsa_exception_fp_ieee_overflow 0
		.amdhsa_exception_fp_ieee_underflow 0
		.amdhsa_exception_fp_ieee_inexact 0
		.amdhsa_exception_int_div_zero 0
	.end_amdhsa_kernel
	.section	.text._ZN7rocprim17ROCPRIM_400000_NS6detail17trampoline_kernelINS0_14default_configENS1_25partition_config_selectorILNS1_17partition_subalgoE6ExNS0_10empty_typeEbEEZZNS1_14partition_implILS5_6ELb0ES3_mN6thrust23THRUST_200600_302600_NS6detail15normal_iteratorINSA_10device_ptrIxEEEEPS6_SG_NS0_5tupleIJNSA_16discard_iteratorINSA_11use_defaultEEES6_EEENSH_IJSG_SG_EEES6_PlJNSB_9not_fun_tINSB_14equal_to_valueIxEEEEEEE10hipError_tPvRmT3_T4_T5_T6_T7_T9_mT8_P12ihipStream_tbDpT10_ENKUlT_T0_E_clISt17integral_constantIbLb1EES1A_IbLb0EEEEDaS16_S17_EUlS16_E_NS1_11comp_targetILNS1_3genE10ELNS1_11target_archE1200ELNS1_3gpuE4ELNS1_3repE0EEENS1_30default_config_static_selectorELNS0_4arch9wavefront6targetE0EEEvT1_,"axG",@progbits,_ZN7rocprim17ROCPRIM_400000_NS6detail17trampoline_kernelINS0_14default_configENS1_25partition_config_selectorILNS1_17partition_subalgoE6ExNS0_10empty_typeEbEEZZNS1_14partition_implILS5_6ELb0ES3_mN6thrust23THRUST_200600_302600_NS6detail15normal_iteratorINSA_10device_ptrIxEEEEPS6_SG_NS0_5tupleIJNSA_16discard_iteratorINSA_11use_defaultEEES6_EEENSH_IJSG_SG_EEES6_PlJNSB_9not_fun_tINSB_14equal_to_valueIxEEEEEEE10hipError_tPvRmT3_T4_T5_T6_T7_T9_mT8_P12ihipStream_tbDpT10_ENKUlT_T0_E_clISt17integral_constantIbLb1EES1A_IbLb0EEEEDaS16_S17_EUlS16_E_NS1_11comp_targetILNS1_3genE10ELNS1_11target_archE1200ELNS1_3gpuE4ELNS1_3repE0EEENS1_30default_config_static_selectorELNS0_4arch9wavefront6targetE0EEEvT1_,comdat
.Lfunc_end1746:
	.size	_ZN7rocprim17ROCPRIM_400000_NS6detail17trampoline_kernelINS0_14default_configENS1_25partition_config_selectorILNS1_17partition_subalgoE6ExNS0_10empty_typeEbEEZZNS1_14partition_implILS5_6ELb0ES3_mN6thrust23THRUST_200600_302600_NS6detail15normal_iteratorINSA_10device_ptrIxEEEEPS6_SG_NS0_5tupleIJNSA_16discard_iteratorINSA_11use_defaultEEES6_EEENSH_IJSG_SG_EEES6_PlJNSB_9not_fun_tINSB_14equal_to_valueIxEEEEEEE10hipError_tPvRmT3_T4_T5_T6_T7_T9_mT8_P12ihipStream_tbDpT10_ENKUlT_T0_E_clISt17integral_constantIbLb1EES1A_IbLb0EEEEDaS16_S17_EUlS16_E_NS1_11comp_targetILNS1_3genE10ELNS1_11target_archE1200ELNS1_3gpuE4ELNS1_3repE0EEENS1_30default_config_static_selectorELNS0_4arch9wavefront6targetE0EEEvT1_, .Lfunc_end1746-_ZN7rocprim17ROCPRIM_400000_NS6detail17trampoline_kernelINS0_14default_configENS1_25partition_config_selectorILNS1_17partition_subalgoE6ExNS0_10empty_typeEbEEZZNS1_14partition_implILS5_6ELb0ES3_mN6thrust23THRUST_200600_302600_NS6detail15normal_iteratorINSA_10device_ptrIxEEEEPS6_SG_NS0_5tupleIJNSA_16discard_iteratorINSA_11use_defaultEEES6_EEENSH_IJSG_SG_EEES6_PlJNSB_9not_fun_tINSB_14equal_to_valueIxEEEEEEE10hipError_tPvRmT3_T4_T5_T6_T7_T9_mT8_P12ihipStream_tbDpT10_ENKUlT_T0_E_clISt17integral_constantIbLb1EES1A_IbLb0EEEEDaS16_S17_EUlS16_E_NS1_11comp_targetILNS1_3genE10ELNS1_11target_archE1200ELNS1_3gpuE4ELNS1_3repE0EEENS1_30default_config_static_selectorELNS0_4arch9wavefront6targetE0EEEvT1_
                                        ; -- End function
	.set _ZN7rocprim17ROCPRIM_400000_NS6detail17trampoline_kernelINS0_14default_configENS1_25partition_config_selectorILNS1_17partition_subalgoE6ExNS0_10empty_typeEbEEZZNS1_14partition_implILS5_6ELb0ES3_mN6thrust23THRUST_200600_302600_NS6detail15normal_iteratorINSA_10device_ptrIxEEEEPS6_SG_NS0_5tupleIJNSA_16discard_iteratorINSA_11use_defaultEEES6_EEENSH_IJSG_SG_EEES6_PlJNSB_9not_fun_tINSB_14equal_to_valueIxEEEEEEE10hipError_tPvRmT3_T4_T5_T6_T7_T9_mT8_P12ihipStream_tbDpT10_ENKUlT_T0_E_clISt17integral_constantIbLb1EES1A_IbLb0EEEEDaS16_S17_EUlS16_E_NS1_11comp_targetILNS1_3genE10ELNS1_11target_archE1200ELNS1_3gpuE4ELNS1_3repE0EEENS1_30default_config_static_selectorELNS0_4arch9wavefront6targetE0EEEvT1_.num_vgpr, 0
	.set _ZN7rocprim17ROCPRIM_400000_NS6detail17trampoline_kernelINS0_14default_configENS1_25partition_config_selectorILNS1_17partition_subalgoE6ExNS0_10empty_typeEbEEZZNS1_14partition_implILS5_6ELb0ES3_mN6thrust23THRUST_200600_302600_NS6detail15normal_iteratorINSA_10device_ptrIxEEEEPS6_SG_NS0_5tupleIJNSA_16discard_iteratorINSA_11use_defaultEEES6_EEENSH_IJSG_SG_EEES6_PlJNSB_9not_fun_tINSB_14equal_to_valueIxEEEEEEE10hipError_tPvRmT3_T4_T5_T6_T7_T9_mT8_P12ihipStream_tbDpT10_ENKUlT_T0_E_clISt17integral_constantIbLb1EES1A_IbLb0EEEEDaS16_S17_EUlS16_E_NS1_11comp_targetILNS1_3genE10ELNS1_11target_archE1200ELNS1_3gpuE4ELNS1_3repE0EEENS1_30default_config_static_selectorELNS0_4arch9wavefront6targetE0EEEvT1_.num_agpr, 0
	.set _ZN7rocprim17ROCPRIM_400000_NS6detail17trampoline_kernelINS0_14default_configENS1_25partition_config_selectorILNS1_17partition_subalgoE6ExNS0_10empty_typeEbEEZZNS1_14partition_implILS5_6ELb0ES3_mN6thrust23THRUST_200600_302600_NS6detail15normal_iteratorINSA_10device_ptrIxEEEEPS6_SG_NS0_5tupleIJNSA_16discard_iteratorINSA_11use_defaultEEES6_EEENSH_IJSG_SG_EEES6_PlJNSB_9not_fun_tINSB_14equal_to_valueIxEEEEEEE10hipError_tPvRmT3_T4_T5_T6_T7_T9_mT8_P12ihipStream_tbDpT10_ENKUlT_T0_E_clISt17integral_constantIbLb1EES1A_IbLb0EEEEDaS16_S17_EUlS16_E_NS1_11comp_targetILNS1_3genE10ELNS1_11target_archE1200ELNS1_3gpuE4ELNS1_3repE0EEENS1_30default_config_static_selectorELNS0_4arch9wavefront6targetE0EEEvT1_.numbered_sgpr, 0
	.set _ZN7rocprim17ROCPRIM_400000_NS6detail17trampoline_kernelINS0_14default_configENS1_25partition_config_selectorILNS1_17partition_subalgoE6ExNS0_10empty_typeEbEEZZNS1_14partition_implILS5_6ELb0ES3_mN6thrust23THRUST_200600_302600_NS6detail15normal_iteratorINSA_10device_ptrIxEEEEPS6_SG_NS0_5tupleIJNSA_16discard_iteratorINSA_11use_defaultEEES6_EEENSH_IJSG_SG_EEES6_PlJNSB_9not_fun_tINSB_14equal_to_valueIxEEEEEEE10hipError_tPvRmT3_T4_T5_T6_T7_T9_mT8_P12ihipStream_tbDpT10_ENKUlT_T0_E_clISt17integral_constantIbLb1EES1A_IbLb0EEEEDaS16_S17_EUlS16_E_NS1_11comp_targetILNS1_3genE10ELNS1_11target_archE1200ELNS1_3gpuE4ELNS1_3repE0EEENS1_30default_config_static_selectorELNS0_4arch9wavefront6targetE0EEEvT1_.num_named_barrier, 0
	.set _ZN7rocprim17ROCPRIM_400000_NS6detail17trampoline_kernelINS0_14default_configENS1_25partition_config_selectorILNS1_17partition_subalgoE6ExNS0_10empty_typeEbEEZZNS1_14partition_implILS5_6ELb0ES3_mN6thrust23THRUST_200600_302600_NS6detail15normal_iteratorINSA_10device_ptrIxEEEEPS6_SG_NS0_5tupleIJNSA_16discard_iteratorINSA_11use_defaultEEES6_EEENSH_IJSG_SG_EEES6_PlJNSB_9not_fun_tINSB_14equal_to_valueIxEEEEEEE10hipError_tPvRmT3_T4_T5_T6_T7_T9_mT8_P12ihipStream_tbDpT10_ENKUlT_T0_E_clISt17integral_constantIbLb1EES1A_IbLb0EEEEDaS16_S17_EUlS16_E_NS1_11comp_targetILNS1_3genE10ELNS1_11target_archE1200ELNS1_3gpuE4ELNS1_3repE0EEENS1_30default_config_static_selectorELNS0_4arch9wavefront6targetE0EEEvT1_.private_seg_size, 0
	.set _ZN7rocprim17ROCPRIM_400000_NS6detail17trampoline_kernelINS0_14default_configENS1_25partition_config_selectorILNS1_17partition_subalgoE6ExNS0_10empty_typeEbEEZZNS1_14partition_implILS5_6ELb0ES3_mN6thrust23THRUST_200600_302600_NS6detail15normal_iteratorINSA_10device_ptrIxEEEEPS6_SG_NS0_5tupleIJNSA_16discard_iteratorINSA_11use_defaultEEES6_EEENSH_IJSG_SG_EEES6_PlJNSB_9not_fun_tINSB_14equal_to_valueIxEEEEEEE10hipError_tPvRmT3_T4_T5_T6_T7_T9_mT8_P12ihipStream_tbDpT10_ENKUlT_T0_E_clISt17integral_constantIbLb1EES1A_IbLb0EEEEDaS16_S17_EUlS16_E_NS1_11comp_targetILNS1_3genE10ELNS1_11target_archE1200ELNS1_3gpuE4ELNS1_3repE0EEENS1_30default_config_static_selectorELNS0_4arch9wavefront6targetE0EEEvT1_.uses_vcc, 0
	.set _ZN7rocprim17ROCPRIM_400000_NS6detail17trampoline_kernelINS0_14default_configENS1_25partition_config_selectorILNS1_17partition_subalgoE6ExNS0_10empty_typeEbEEZZNS1_14partition_implILS5_6ELb0ES3_mN6thrust23THRUST_200600_302600_NS6detail15normal_iteratorINSA_10device_ptrIxEEEEPS6_SG_NS0_5tupleIJNSA_16discard_iteratorINSA_11use_defaultEEES6_EEENSH_IJSG_SG_EEES6_PlJNSB_9not_fun_tINSB_14equal_to_valueIxEEEEEEE10hipError_tPvRmT3_T4_T5_T6_T7_T9_mT8_P12ihipStream_tbDpT10_ENKUlT_T0_E_clISt17integral_constantIbLb1EES1A_IbLb0EEEEDaS16_S17_EUlS16_E_NS1_11comp_targetILNS1_3genE10ELNS1_11target_archE1200ELNS1_3gpuE4ELNS1_3repE0EEENS1_30default_config_static_selectorELNS0_4arch9wavefront6targetE0EEEvT1_.uses_flat_scratch, 0
	.set _ZN7rocprim17ROCPRIM_400000_NS6detail17trampoline_kernelINS0_14default_configENS1_25partition_config_selectorILNS1_17partition_subalgoE6ExNS0_10empty_typeEbEEZZNS1_14partition_implILS5_6ELb0ES3_mN6thrust23THRUST_200600_302600_NS6detail15normal_iteratorINSA_10device_ptrIxEEEEPS6_SG_NS0_5tupleIJNSA_16discard_iteratorINSA_11use_defaultEEES6_EEENSH_IJSG_SG_EEES6_PlJNSB_9not_fun_tINSB_14equal_to_valueIxEEEEEEE10hipError_tPvRmT3_T4_T5_T6_T7_T9_mT8_P12ihipStream_tbDpT10_ENKUlT_T0_E_clISt17integral_constantIbLb1EES1A_IbLb0EEEEDaS16_S17_EUlS16_E_NS1_11comp_targetILNS1_3genE10ELNS1_11target_archE1200ELNS1_3gpuE4ELNS1_3repE0EEENS1_30default_config_static_selectorELNS0_4arch9wavefront6targetE0EEEvT1_.has_dyn_sized_stack, 0
	.set _ZN7rocprim17ROCPRIM_400000_NS6detail17trampoline_kernelINS0_14default_configENS1_25partition_config_selectorILNS1_17partition_subalgoE6ExNS0_10empty_typeEbEEZZNS1_14partition_implILS5_6ELb0ES3_mN6thrust23THRUST_200600_302600_NS6detail15normal_iteratorINSA_10device_ptrIxEEEEPS6_SG_NS0_5tupleIJNSA_16discard_iteratorINSA_11use_defaultEEES6_EEENSH_IJSG_SG_EEES6_PlJNSB_9not_fun_tINSB_14equal_to_valueIxEEEEEEE10hipError_tPvRmT3_T4_T5_T6_T7_T9_mT8_P12ihipStream_tbDpT10_ENKUlT_T0_E_clISt17integral_constantIbLb1EES1A_IbLb0EEEEDaS16_S17_EUlS16_E_NS1_11comp_targetILNS1_3genE10ELNS1_11target_archE1200ELNS1_3gpuE4ELNS1_3repE0EEENS1_30default_config_static_selectorELNS0_4arch9wavefront6targetE0EEEvT1_.has_recursion, 0
	.set _ZN7rocprim17ROCPRIM_400000_NS6detail17trampoline_kernelINS0_14default_configENS1_25partition_config_selectorILNS1_17partition_subalgoE6ExNS0_10empty_typeEbEEZZNS1_14partition_implILS5_6ELb0ES3_mN6thrust23THRUST_200600_302600_NS6detail15normal_iteratorINSA_10device_ptrIxEEEEPS6_SG_NS0_5tupleIJNSA_16discard_iteratorINSA_11use_defaultEEES6_EEENSH_IJSG_SG_EEES6_PlJNSB_9not_fun_tINSB_14equal_to_valueIxEEEEEEE10hipError_tPvRmT3_T4_T5_T6_T7_T9_mT8_P12ihipStream_tbDpT10_ENKUlT_T0_E_clISt17integral_constantIbLb1EES1A_IbLb0EEEEDaS16_S17_EUlS16_E_NS1_11comp_targetILNS1_3genE10ELNS1_11target_archE1200ELNS1_3gpuE4ELNS1_3repE0EEENS1_30default_config_static_selectorELNS0_4arch9wavefront6targetE0EEEvT1_.has_indirect_call, 0
	.section	.AMDGPU.csdata,"",@progbits
; Kernel info:
; codeLenInByte = 4
; TotalNumSgprs: 0
; NumVgprs: 0
; ScratchSize: 0
; MemoryBound: 0
; FloatMode: 240
; IeeeMode: 1
; LDSByteSize: 0 bytes/workgroup (compile time only)
; SGPRBlocks: 0
; VGPRBlocks: 0
; NumSGPRsForWavesPerEU: 1
; NumVGPRsForWavesPerEU: 1
; Occupancy: 16
; WaveLimiterHint : 0
; COMPUTE_PGM_RSRC2:SCRATCH_EN: 0
; COMPUTE_PGM_RSRC2:USER_SGPR: 2
; COMPUTE_PGM_RSRC2:TRAP_HANDLER: 0
; COMPUTE_PGM_RSRC2:TGID_X_EN: 1
; COMPUTE_PGM_RSRC2:TGID_Y_EN: 0
; COMPUTE_PGM_RSRC2:TGID_Z_EN: 0
; COMPUTE_PGM_RSRC2:TIDIG_COMP_CNT: 0
	.section	.text._ZN7rocprim17ROCPRIM_400000_NS6detail17trampoline_kernelINS0_14default_configENS1_25partition_config_selectorILNS1_17partition_subalgoE6ExNS0_10empty_typeEbEEZZNS1_14partition_implILS5_6ELb0ES3_mN6thrust23THRUST_200600_302600_NS6detail15normal_iteratorINSA_10device_ptrIxEEEEPS6_SG_NS0_5tupleIJNSA_16discard_iteratorINSA_11use_defaultEEES6_EEENSH_IJSG_SG_EEES6_PlJNSB_9not_fun_tINSB_14equal_to_valueIxEEEEEEE10hipError_tPvRmT3_T4_T5_T6_T7_T9_mT8_P12ihipStream_tbDpT10_ENKUlT_T0_E_clISt17integral_constantIbLb1EES1A_IbLb0EEEEDaS16_S17_EUlS16_E_NS1_11comp_targetILNS1_3genE9ELNS1_11target_archE1100ELNS1_3gpuE3ELNS1_3repE0EEENS1_30default_config_static_selectorELNS0_4arch9wavefront6targetE0EEEvT1_,"axG",@progbits,_ZN7rocprim17ROCPRIM_400000_NS6detail17trampoline_kernelINS0_14default_configENS1_25partition_config_selectorILNS1_17partition_subalgoE6ExNS0_10empty_typeEbEEZZNS1_14partition_implILS5_6ELb0ES3_mN6thrust23THRUST_200600_302600_NS6detail15normal_iteratorINSA_10device_ptrIxEEEEPS6_SG_NS0_5tupleIJNSA_16discard_iteratorINSA_11use_defaultEEES6_EEENSH_IJSG_SG_EEES6_PlJNSB_9not_fun_tINSB_14equal_to_valueIxEEEEEEE10hipError_tPvRmT3_T4_T5_T6_T7_T9_mT8_P12ihipStream_tbDpT10_ENKUlT_T0_E_clISt17integral_constantIbLb1EES1A_IbLb0EEEEDaS16_S17_EUlS16_E_NS1_11comp_targetILNS1_3genE9ELNS1_11target_archE1100ELNS1_3gpuE3ELNS1_3repE0EEENS1_30default_config_static_selectorELNS0_4arch9wavefront6targetE0EEEvT1_,comdat
	.protected	_ZN7rocprim17ROCPRIM_400000_NS6detail17trampoline_kernelINS0_14default_configENS1_25partition_config_selectorILNS1_17partition_subalgoE6ExNS0_10empty_typeEbEEZZNS1_14partition_implILS5_6ELb0ES3_mN6thrust23THRUST_200600_302600_NS6detail15normal_iteratorINSA_10device_ptrIxEEEEPS6_SG_NS0_5tupleIJNSA_16discard_iteratorINSA_11use_defaultEEES6_EEENSH_IJSG_SG_EEES6_PlJNSB_9not_fun_tINSB_14equal_to_valueIxEEEEEEE10hipError_tPvRmT3_T4_T5_T6_T7_T9_mT8_P12ihipStream_tbDpT10_ENKUlT_T0_E_clISt17integral_constantIbLb1EES1A_IbLb0EEEEDaS16_S17_EUlS16_E_NS1_11comp_targetILNS1_3genE9ELNS1_11target_archE1100ELNS1_3gpuE3ELNS1_3repE0EEENS1_30default_config_static_selectorELNS0_4arch9wavefront6targetE0EEEvT1_ ; -- Begin function _ZN7rocprim17ROCPRIM_400000_NS6detail17trampoline_kernelINS0_14default_configENS1_25partition_config_selectorILNS1_17partition_subalgoE6ExNS0_10empty_typeEbEEZZNS1_14partition_implILS5_6ELb0ES3_mN6thrust23THRUST_200600_302600_NS6detail15normal_iteratorINSA_10device_ptrIxEEEEPS6_SG_NS0_5tupleIJNSA_16discard_iteratorINSA_11use_defaultEEES6_EEENSH_IJSG_SG_EEES6_PlJNSB_9not_fun_tINSB_14equal_to_valueIxEEEEEEE10hipError_tPvRmT3_T4_T5_T6_T7_T9_mT8_P12ihipStream_tbDpT10_ENKUlT_T0_E_clISt17integral_constantIbLb1EES1A_IbLb0EEEEDaS16_S17_EUlS16_E_NS1_11comp_targetILNS1_3genE9ELNS1_11target_archE1100ELNS1_3gpuE3ELNS1_3repE0EEENS1_30default_config_static_selectorELNS0_4arch9wavefront6targetE0EEEvT1_
	.globl	_ZN7rocprim17ROCPRIM_400000_NS6detail17trampoline_kernelINS0_14default_configENS1_25partition_config_selectorILNS1_17partition_subalgoE6ExNS0_10empty_typeEbEEZZNS1_14partition_implILS5_6ELb0ES3_mN6thrust23THRUST_200600_302600_NS6detail15normal_iteratorINSA_10device_ptrIxEEEEPS6_SG_NS0_5tupleIJNSA_16discard_iteratorINSA_11use_defaultEEES6_EEENSH_IJSG_SG_EEES6_PlJNSB_9not_fun_tINSB_14equal_to_valueIxEEEEEEE10hipError_tPvRmT3_T4_T5_T6_T7_T9_mT8_P12ihipStream_tbDpT10_ENKUlT_T0_E_clISt17integral_constantIbLb1EES1A_IbLb0EEEEDaS16_S17_EUlS16_E_NS1_11comp_targetILNS1_3genE9ELNS1_11target_archE1100ELNS1_3gpuE3ELNS1_3repE0EEENS1_30default_config_static_selectorELNS0_4arch9wavefront6targetE0EEEvT1_
	.p2align	8
	.type	_ZN7rocprim17ROCPRIM_400000_NS6detail17trampoline_kernelINS0_14default_configENS1_25partition_config_selectorILNS1_17partition_subalgoE6ExNS0_10empty_typeEbEEZZNS1_14partition_implILS5_6ELb0ES3_mN6thrust23THRUST_200600_302600_NS6detail15normal_iteratorINSA_10device_ptrIxEEEEPS6_SG_NS0_5tupleIJNSA_16discard_iteratorINSA_11use_defaultEEES6_EEENSH_IJSG_SG_EEES6_PlJNSB_9not_fun_tINSB_14equal_to_valueIxEEEEEEE10hipError_tPvRmT3_T4_T5_T6_T7_T9_mT8_P12ihipStream_tbDpT10_ENKUlT_T0_E_clISt17integral_constantIbLb1EES1A_IbLb0EEEEDaS16_S17_EUlS16_E_NS1_11comp_targetILNS1_3genE9ELNS1_11target_archE1100ELNS1_3gpuE3ELNS1_3repE0EEENS1_30default_config_static_selectorELNS0_4arch9wavefront6targetE0EEEvT1_,@function
_ZN7rocprim17ROCPRIM_400000_NS6detail17trampoline_kernelINS0_14default_configENS1_25partition_config_selectorILNS1_17partition_subalgoE6ExNS0_10empty_typeEbEEZZNS1_14partition_implILS5_6ELb0ES3_mN6thrust23THRUST_200600_302600_NS6detail15normal_iteratorINSA_10device_ptrIxEEEEPS6_SG_NS0_5tupleIJNSA_16discard_iteratorINSA_11use_defaultEEES6_EEENSH_IJSG_SG_EEES6_PlJNSB_9not_fun_tINSB_14equal_to_valueIxEEEEEEE10hipError_tPvRmT3_T4_T5_T6_T7_T9_mT8_P12ihipStream_tbDpT10_ENKUlT_T0_E_clISt17integral_constantIbLb1EES1A_IbLb0EEEEDaS16_S17_EUlS16_E_NS1_11comp_targetILNS1_3genE9ELNS1_11target_archE1100ELNS1_3gpuE3ELNS1_3repE0EEENS1_30default_config_static_selectorELNS0_4arch9wavefront6targetE0EEEvT1_: ; @_ZN7rocprim17ROCPRIM_400000_NS6detail17trampoline_kernelINS0_14default_configENS1_25partition_config_selectorILNS1_17partition_subalgoE6ExNS0_10empty_typeEbEEZZNS1_14partition_implILS5_6ELb0ES3_mN6thrust23THRUST_200600_302600_NS6detail15normal_iteratorINSA_10device_ptrIxEEEEPS6_SG_NS0_5tupleIJNSA_16discard_iteratorINSA_11use_defaultEEES6_EEENSH_IJSG_SG_EEES6_PlJNSB_9not_fun_tINSB_14equal_to_valueIxEEEEEEE10hipError_tPvRmT3_T4_T5_T6_T7_T9_mT8_P12ihipStream_tbDpT10_ENKUlT_T0_E_clISt17integral_constantIbLb1EES1A_IbLb0EEEEDaS16_S17_EUlS16_E_NS1_11comp_targetILNS1_3genE9ELNS1_11target_archE1100ELNS1_3gpuE3ELNS1_3repE0EEENS1_30default_config_static_selectorELNS0_4arch9wavefront6targetE0EEEvT1_
; %bb.0:
	.section	.rodata,"a",@progbits
	.p2align	6, 0x0
	.amdhsa_kernel _ZN7rocprim17ROCPRIM_400000_NS6detail17trampoline_kernelINS0_14default_configENS1_25partition_config_selectorILNS1_17partition_subalgoE6ExNS0_10empty_typeEbEEZZNS1_14partition_implILS5_6ELb0ES3_mN6thrust23THRUST_200600_302600_NS6detail15normal_iteratorINSA_10device_ptrIxEEEEPS6_SG_NS0_5tupleIJNSA_16discard_iteratorINSA_11use_defaultEEES6_EEENSH_IJSG_SG_EEES6_PlJNSB_9not_fun_tINSB_14equal_to_valueIxEEEEEEE10hipError_tPvRmT3_T4_T5_T6_T7_T9_mT8_P12ihipStream_tbDpT10_ENKUlT_T0_E_clISt17integral_constantIbLb1EES1A_IbLb0EEEEDaS16_S17_EUlS16_E_NS1_11comp_targetILNS1_3genE9ELNS1_11target_archE1100ELNS1_3gpuE3ELNS1_3repE0EEENS1_30default_config_static_selectorELNS0_4arch9wavefront6targetE0EEEvT1_
		.amdhsa_group_segment_fixed_size 0
		.amdhsa_private_segment_fixed_size 0
		.amdhsa_kernarg_size 128
		.amdhsa_user_sgpr_count 2
		.amdhsa_user_sgpr_dispatch_ptr 0
		.amdhsa_user_sgpr_queue_ptr 0
		.amdhsa_user_sgpr_kernarg_segment_ptr 1
		.amdhsa_user_sgpr_dispatch_id 0
		.amdhsa_user_sgpr_private_segment_size 0
		.amdhsa_wavefront_size32 1
		.amdhsa_uses_dynamic_stack 0
		.amdhsa_enable_private_segment 0
		.amdhsa_system_sgpr_workgroup_id_x 1
		.amdhsa_system_sgpr_workgroup_id_y 0
		.amdhsa_system_sgpr_workgroup_id_z 0
		.amdhsa_system_sgpr_workgroup_info 0
		.amdhsa_system_vgpr_workitem_id 0
		.amdhsa_next_free_vgpr 1
		.amdhsa_next_free_sgpr 1
		.amdhsa_reserve_vcc 0
		.amdhsa_float_round_mode_32 0
		.amdhsa_float_round_mode_16_64 0
		.amdhsa_float_denorm_mode_32 3
		.amdhsa_float_denorm_mode_16_64 3
		.amdhsa_fp16_overflow 0
		.amdhsa_workgroup_processor_mode 1
		.amdhsa_memory_ordered 1
		.amdhsa_forward_progress 1
		.amdhsa_inst_pref_size 0
		.amdhsa_round_robin_scheduling 0
		.amdhsa_exception_fp_ieee_invalid_op 0
		.amdhsa_exception_fp_denorm_src 0
		.amdhsa_exception_fp_ieee_div_zero 0
		.amdhsa_exception_fp_ieee_overflow 0
		.amdhsa_exception_fp_ieee_underflow 0
		.amdhsa_exception_fp_ieee_inexact 0
		.amdhsa_exception_int_div_zero 0
	.end_amdhsa_kernel
	.section	.text._ZN7rocprim17ROCPRIM_400000_NS6detail17trampoline_kernelINS0_14default_configENS1_25partition_config_selectorILNS1_17partition_subalgoE6ExNS0_10empty_typeEbEEZZNS1_14partition_implILS5_6ELb0ES3_mN6thrust23THRUST_200600_302600_NS6detail15normal_iteratorINSA_10device_ptrIxEEEEPS6_SG_NS0_5tupleIJNSA_16discard_iteratorINSA_11use_defaultEEES6_EEENSH_IJSG_SG_EEES6_PlJNSB_9not_fun_tINSB_14equal_to_valueIxEEEEEEE10hipError_tPvRmT3_T4_T5_T6_T7_T9_mT8_P12ihipStream_tbDpT10_ENKUlT_T0_E_clISt17integral_constantIbLb1EES1A_IbLb0EEEEDaS16_S17_EUlS16_E_NS1_11comp_targetILNS1_3genE9ELNS1_11target_archE1100ELNS1_3gpuE3ELNS1_3repE0EEENS1_30default_config_static_selectorELNS0_4arch9wavefront6targetE0EEEvT1_,"axG",@progbits,_ZN7rocprim17ROCPRIM_400000_NS6detail17trampoline_kernelINS0_14default_configENS1_25partition_config_selectorILNS1_17partition_subalgoE6ExNS0_10empty_typeEbEEZZNS1_14partition_implILS5_6ELb0ES3_mN6thrust23THRUST_200600_302600_NS6detail15normal_iteratorINSA_10device_ptrIxEEEEPS6_SG_NS0_5tupleIJNSA_16discard_iteratorINSA_11use_defaultEEES6_EEENSH_IJSG_SG_EEES6_PlJNSB_9not_fun_tINSB_14equal_to_valueIxEEEEEEE10hipError_tPvRmT3_T4_T5_T6_T7_T9_mT8_P12ihipStream_tbDpT10_ENKUlT_T0_E_clISt17integral_constantIbLb1EES1A_IbLb0EEEEDaS16_S17_EUlS16_E_NS1_11comp_targetILNS1_3genE9ELNS1_11target_archE1100ELNS1_3gpuE3ELNS1_3repE0EEENS1_30default_config_static_selectorELNS0_4arch9wavefront6targetE0EEEvT1_,comdat
.Lfunc_end1747:
	.size	_ZN7rocprim17ROCPRIM_400000_NS6detail17trampoline_kernelINS0_14default_configENS1_25partition_config_selectorILNS1_17partition_subalgoE6ExNS0_10empty_typeEbEEZZNS1_14partition_implILS5_6ELb0ES3_mN6thrust23THRUST_200600_302600_NS6detail15normal_iteratorINSA_10device_ptrIxEEEEPS6_SG_NS0_5tupleIJNSA_16discard_iteratorINSA_11use_defaultEEES6_EEENSH_IJSG_SG_EEES6_PlJNSB_9not_fun_tINSB_14equal_to_valueIxEEEEEEE10hipError_tPvRmT3_T4_T5_T6_T7_T9_mT8_P12ihipStream_tbDpT10_ENKUlT_T0_E_clISt17integral_constantIbLb1EES1A_IbLb0EEEEDaS16_S17_EUlS16_E_NS1_11comp_targetILNS1_3genE9ELNS1_11target_archE1100ELNS1_3gpuE3ELNS1_3repE0EEENS1_30default_config_static_selectorELNS0_4arch9wavefront6targetE0EEEvT1_, .Lfunc_end1747-_ZN7rocprim17ROCPRIM_400000_NS6detail17trampoline_kernelINS0_14default_configENS1_25partition_config_selectorILNS1_17partition_subalgoE6ExNS0_10empty_typeEbEEZZNS1_14partition_implILS5_6ELb0ES3_mN6thrust23THRUST_200600_302600_NS6detail15normal_iteratorINSA_10device_ptrIxEEEEPS6_SG_NS0_5tupleIJNSA_16discard_iteratorINSA_11use_defaultEEES6_EEENSH_IJSG_SG_EEES6_PlJNSB_9not_fun_tINSB_14equal_to_valueIxEEEEEEE10hipError_tPvRmT3_T4_T5_T6_T7_T9_mT8_P12ihipStream_tbDpT10_ENKUlT_T0_E_clISt17integral_constantIbLb1EES1A_IbLb0EEEEDaS16_S17_EUlS16_E_NS1_11comp_targetILNS1_3genE9ELNS1_11target_archE1100ELNS1_3gpuE3ELNS1_3repE0EEENS1_30default_config_static_selectorELNS0_4arch9wavefront6targetE0EEEvT1_
                                        ; -- End function
	.set _ZN7rocprim17ROCPRIM_400000_NS6detail17trampoline_kernelINS0_14default_configENS1_25partition_config_selectorILNS1_17partition_subalgoE6ExNS0_10empty_typeEbEEZZNS1_14partition_implILS5_6ELb0ES3_mN6thrust23THRUST_200600_302600_NS6detail15normal_iteratorINSA_10device_ptrIxEEEEPS6_SG_NS0_5tupleIJNSA_16discard_iteratorINSA_11use_defaultEEES6_EEENSH_IJSG_SG_EEES6_PlJNSB_9not_fun_tINSB_14equal_to_valueIxEEEEEEE10hipError_tPvRmT3_T4_T5_T6_T7_T9_mT8_P12ihipStream_tbDpT10_ENKUlT_T0_E_clISt17integral_constantIbLb1EES1A_IbLb0EEEEDaS16_S17_EUlS16_E_NS1_11comp_targetILNS1_3genE9ELNS1_11target_archE1100ELNS1_3gpuE3ELNS1_3repE0EEENS1_30default_config_static_selectorELNS0_4arch9wavefront6targetE0EEEvT1_.num_vgpr, 0
	.set _ZN7rocprim17ROCPRIM_400000_NS6detail17trampoline_kernelINS0_14default_configENS1_25partition_config_selectorILNS1_17partition_subalgoE6ExNS0_10empty_typeEbEEZZNS1_14partition_implILS5_6ELb0ES3_mN6thrust23THRUST_200600_302600_NS6detail15normal_iteratorINSA_10device_ptrIxEEEEPS6_SG_NS0_5tupleIJNSA_16discard_iteratorINSA_11use_defaultEEES6_EEENSH_IJSG_SG_EEES6_PlJNSB_9not_fun_tINSB_14equal_to_valueIxEEEEEEE10hipError_tPvRmT3_T4_T5_T6_T7_T9_mT8_P12ihipStream_tbDpT10_ENKUlT_T0_E_clISt17integral_constantIbLb1EES1A_IbLb0EEEEDaS16_S17_EUlS16_E_NS1_11comp_targetILNS1_3genE9ELNS1_11target_archE1100ELNS1_3gpuE3ELNS1_3repE0EEENS1_30default_config_static_selectorELNS0_4arch9wavefront6targetE0EEEvT1_.num_agpr, 0
	.set _ZN7rocprim17ROCPRIM_400000_NS6detail17trampoline_kernelINS0_14default_configENS1_25partition_config_selectorILNS1_17partition_subalgoE6ExNS0_10empty_typeEbEEZZNS1_14partition_implILS5_6ELb0ES3_mN6thrust23THRUST_200600_302600_NS6detail15normal_iteratorINSA_10device_ptrIxEEEEPS6_SG_NS0_5tupleIJNSA_16discard_iteratorINSA_11use_defaultEEES6_EEENSH_IJSG_SG_EEES6_PlJNSB_9not_fun_tINSB_14equal_to_valueIxEEEEEEE10hipError_tPvRmT3_T4_T5_T6_T7_T9_mT8_P12ihipStream_tbDpT10_ENKUlT_T0_E_clISt17integral_constantIbLb1EES1A_IbLb0EEEEDaS16_S17_EUlS16_E_NS1_11comp_targetILNS1_3genE9ELNS1_11target_archE1100ELNS1_3gpuE3ELNS1_3repE0EEENS1_30default_config_static_selectorELNS0_4arch9wavefront6targetE0EEEvT1_.numbered_sgpr, 0
	.set _ZN7rocprim17ROCPRIM_400000_NS6detail17trampoline_kernelINS0_14default_configENS1_25partition_config_selectorILNS1_17partition_subalgoE6ExNS0_10empty_typeEbEEZZNS1_14partition_implILS5_6ELb0ES3_mN6thrust23THRUST_200600_302600_NS6detail15normal_iteratorINSA_10device_ptrIxEEEEPS6_SG_NS0_5tupleIJNSA_16discard_iteratorINSA_11use_defaultEEES6_EEENSH_IJSG_SG_EEES6_PlJNSB_9not_fun_tINSB_14equal_to_valueIxEEEEEEE10hipError_tPvRmT3_T4_T5_T6_T7_T9_mT8_P12ihipStream_tbDpT10_ENKUlT_T0_E_clISt17integral_constantIbLb1EES1A_IbLb0EEEEDaS16_S17_EUlS16_E_NS1_11comp_targetILNS1_3genE9ELNS1_11target_archE1100ELNS1_3gpuE3ELNS1_3repE0EEENS1_30default_config_static_selectorELNS0_4arch9wavefront6targetE0EEEvT1_.num_named_barrier, 0
	.set _ZN7rocprim17ROCPRIM_400000_NS6detail17trampoline_kernelINS0_14default_configENS1_25partition_config_selectorILNS1_17partition_subalgoE6ExNS0_10empty_typeEbEEZZNS1_14partition_implILS5_6ELb0ES3_mN6thrust23THRUST_200600_302600_NS6detail15normal_iteratorINSA_10device_ptrIxEEEEPS6_SG_NS0_5tupleIJNSA_16discard_iteratorINSA_11use_defaultEEES6_EEENSH_IJSG_SG_EEES6_PlJNSB_9not_fun_tINSB_14equal_to_valueIxEEEEEEE10hipError_tPvRmT3_T4_T5_T6_T7_T9_mT8_P12ihipStream_tbDpT10_ENKUlT_T0_E_clISt17integral_constantIbLb1EES1A_IbLb0EEEEDaS16_S17_EUlS16_E_NS1_11comp_targetILNS1_3genE9ELNS1_11target_archE1100ELNS1_3gpuE3ELNS1_3repE0EEENS1_30default_config_static_selectorELNS0_4arch9wavefront6targetE0EEEvT1_.private_seg_size, 0
	.set _ZN7rocprim17ROCPRIM_400000_NS6detail17trampoline_kernelINS0_14default_configENS1_25partition_config_selectorILNS1_17partition_subalgoE6ExNS0_10empty_typeEbEEZZNS1_14partition_implILS5_6ELb0ES3_mN6thrust23THRUST_200600_302600_NS6detail15normal_iteratorINSA_10device_ptrIxEEEEPS6_SG_NS0_5tupleIJNSA_16discard_iteratorINSA_11use_defaultEEES6_EEENSH_IJSG_SG_EEES6_PlJNSB_9not_fun_tINSB_14equal_to_valueIxEEEEEEE10hipError_tPvRmT3_T4_T5_T6_T7_T9_mT8_P12ihipStream_tbDpT10_ENKUlT_T0_E_clISt17integral_constantIbLb1EES1A_IbLb0EEEEDaS16_S17_EUlS16_E_NS1_11comp_targetILNS1_3genE9ELNS1_11target_archE1100ELNS1_3gpuE3ELNS1_3repE0EEENS1_30default_config_static_selectorELNS0_4arch9wavefront6targetE0EEEvT1_.uses_vcc, 0
	.set _ZN7rocprim17ROCPRIM_400000_NS6detail17trampoline_kernelINS0_14default_configENS1_25partition_config_selectorILNS1_17partition_subalgoE6ExNS0_10empty_typeEbEEZZNS1_14partition_implILS5_6ELb0ES3_mN6thrust23THRUST_200600_302600_NS6detail15normal_iteratorINSA_10device_ptrIxEEEEPS6_SG_NS0_5tupleIJNSA_16discard_iteratorINSA_11use_defaultEEES6_EEENSH_IJSG_SG_EEES6_PlJNSB_9not_fun_tINSB_14equal_to_valueIxEEEEEEE10hipError_tPvRmT3_T4_T5_T6_T7_T9_mT8_P12ihipStream_tbDpT10_ENKUlT_T0_E_clISt17integral_constantIbLb1EES1A_IbLb0EEEEDaS16_S17_EUlS16_E_NS1_11comp_targetILNS1_3genE9ELNS1_11target_archE1100ELNS1_3gpuE3ELNS1_3repE0EEENS1_30default_config_static_selectorELNS0_4arch9wavefront6targetE0EEEvT1_.uses_flat_scratch, 0
	.set _ZN7rocprim17ROCPRIM_400000_NS6detail17trampoline_kernelINS0_14default_configENS1_25partition_config_selectorILNS1_17partition_subalgoE6ExNS0_10empty_typeEbEEZZNS1_14partition_implILS5_6ELb0ES3_mN6thrust23THRUST_200600_302600_NS6detail15normal_iteratorINSA_10device_ptrIxEEEEPS6_SG_NS0_5tupleIJNSA_16discard_iteratorINSA_11use_defaultEEES6_EEENSH_IJSG_SG_EEES6_PlJNSB_9not_fun_tINSB_14equal_to_valueIxEEEEEEE10hipError_tPvRmT3_T4_T5_T6_T7_T9_mT8_P12ihipStream_tbDpT10_ENKUlT_T0_E_clISt17integral_constantIbLb1EES1A_IbLb0EEEEDaS16_S17_EUlS16_E_NS1_11comp_targetILNS1_3genE9ELNS1_11target_archE1100ELNS1_3gpuE3ELNS1_3repE0EEENS1_30default_config_static_selectorELNS0_4arch9wavefront6targetE0EEEvT1_.has_dyn_sized_stack, 0
	.set _ZN7rocprim17ROCPRIM_400000_NS6detail17trampoline_kernelINS0_14default_configENS1_25partition_config_selectorILNS1_17partition_subalgoE6ExNS0_10empty_typeEbEEZZNS1_14partition_implILS5_6ELb0ES3_mN6thrust23THRUST_200600_302600_NS6detail15normal_iteratorINSA_10device_ptrIxEEEEPS6_SG_NS0_5tupleIJNSA_16discard_iteratorINSA_11use_defaultEEES6_EEENSH_IJSG_SG_EEES6_PlJNSB_9not_fun_tINSB_14equal_to_valueIxEEEEEEE10hipError_tPvRmT3_T4_T5_T6_T7_T9_mT8_P12ihipStream_tbDpT10_ENKUlT_T0_E_clISt17integral_constantIbLb1EES1A_IbLb0EEEEDaS16_S17_EUlS16_E_NS1_11comp_targetILNS1_3genE9ELNS1_11target_archE1100ELNS1_3gpuE3ELNS1_3repE0EEENS1_30default_config_static_selectorELNS0_4arch9wavefront6targetE0EEEvT1_.has_recursion, 0
	.set _ZN7rocprim17ROCPRIM_400000_NS6detail17trampoline_kernelINS0_14default_configENS1_25partition_config_selectorILNS1_17partition_subalgoE6ExNS0_10empty_typeEbEEZZNS1_14partition_implILS5_6ELb0ES3_mN6thrust23THRUST_200600_302600_NS6detail15normal_iteratorINSA_10device_ptrIxEEEEPS6_SG_NS0_5tupleIJNSA_16discard_iteratorINSA_11use_defaultEEES6_EEENSH_IJSG_SG_EEES6_PlJNSB_9not_fun_tINSB_14equal_to_valueIxEEEEEEE10hipError_tPvRmT3_T4_T5_T6_T7_T9_mT8_P12ihipStream_tbDpT10_ENKUlT_T0_E_clISt17integral_constantIbLb1EES1A_IbLb0EEEEDaS16_S17_EUlS16_E_NS1_11comp_targetILNS1_3genE9ELNS1_11target_archE1100ELNS1_3gpuE3ELNS1_3repE0EEENS1_30default_config_static_selectorELNS0_4arch9wavefront6targetE0EEEvT1_.has_indirect_call, 0
	.section	.AMDGPU.csdata,"",@progbits
; Kernel info:
; codeLenInByte = 0
; TotalNumSgprs: 0
; NumVgprs: 0
; ScratchSize: 0
; MemoryBound: 0
; FloatMode: 240
; IeeeMode: 1
; LDSByteSize: 0 bytes/workgroup (compile time only)
; SGPRBlocks: 0
; VGPRBlocks: 0
; NumSGPRsForWavesPerEU: 1
; NumVGPRsForWavesPerEU: 1
; Occupancy: 16
; WaveLimiterHint : 0
; COMPUTE_PGM_RSRC2:SCRATCH_EN: 0
; COMPUTE_PGM_RSRC2:USER_SGPR: 2
; COMPUTE_PGM_RSRC2:TRAP_HANDLER: 0
; COMPUTE_PGM_RSRC2:TGID_X_EN: 1
; COMPUTE_PGM_RSRC2:TGID_Y_EN: 0
; COMPUTE_PGM_RSRC2:TGID_Z_EN: 0
; COMPUTE_PGM_RSRC2:TIDIG_COMP_CNT: 0
	.section	.text._ZN7rocprim17ROCPRIM_400000_NS6detail17trampoline_kernelINS0_14default_configENS1_25partition_config_selectorILNS1_17partition_subalgoE6ExNS0_10empty_typeEbEEZZNS1_14partition_implILS5_6ELb0ES3_mN6thrust23THRUST_200600_302600_NS6detail15normal_iteratorINSA_10device_ptrIxEEEEPS6_SG_NS0_5tupleIJNSA_16discard_iteratorINSA_11use_defaultEEES6_EEENSH_IJSG_SG_EEES6_PlJNSB_9not_fun_tINSB_14equal_to_valueIxEEEEEEE10hipError_tPvRmT3_T4_T5_T6_T7_T9_mT8_P12ihipStream_tbDpT10_ENKUlT_T0_E_clISt17integral_constantIbLb1EES1A_IbLb0EEEEDaS16_S17_EUlS16_E_NS1_11comp_targetILNS1_3genE8ELNS1_11target_archE1030ELNS1_3gpuE2ELNS1_3repE0EEENS1_30default_config_static_selectorELNS0_4arch9wavefront6targetE0EEEvT1_,"axG",@progbits,_ZN7rocprim17ROCPRIM_400000_NS6detail17trampoline_kernelINS0_14default_configENS1_25partition_config_selectorILNS1_17partition_subalgoE6ExNS0_10empty_typeEbEEZZNS1_14partition_implILS5_6ELb0ES3_mN6thrust23THRUST_200600_302600_NS6detail15normal_iteratorINSA_10device_ptrIxEEEEPS6_SG_NS0_5tupleIJNSA_16discard_iteratorINSA_11use_defaultEEES6_EEENSH_IJSG_SG_EEES6_PlJNSB_9not_fun_tINSB_14equal_to_valueIxEEEEEEE10hipError_tPvRmT3_T4_T5_T6_T7_T9_mT8_P12ihipStream_tbDpT10_ENKUlT_T0_E_clISt17integral_constantIbLb1EES1A_IbLb0EEEEDaS16_S17_EUlS16_E_NS1_11comp_targetILNS1_3genE8ELNS1_11target_archE1030ELNS1_3gpuE2ELNS1_3repE0EEENS1_30default_config_static_selectorELNS0_4arch9wavefront6targetE0EEEvT1_,comdat
	.protected	_ZN7rocprim17ROCPRIM_400000_NS6detail17trampoline_kernelINS0_14default_configENS1_25partition_config_selectorILNS1_17partition_subalgoE6ExNS0_10empty_typeEbEEZZNS1_14partition_implILS5_6ELb0ES3_mN6thrust23THRUST_200600_302600_NS6detail15normal_iteratorINSA_10device_ptrIxEEEEPS6_SG_NS0_5tupleIJNSA_16discard_iteratorINSA_11use_defaultEEES6_EEENSH_IJSG_SG_EEES6_PlJNSB_9not_fun_tINSB_14equal_to_valueIxEEEEEEE10hipError_tPvRmT3_T4_T5_T6_T7_T9_mT8_P12ihipStream_tbDpT10_ENKUlT_T0_E_clISt17integral_constantIbLb1EES1A_IbLb0EEEEDaS16_S17_EUlS16_E_NS1_11comp_targetILNS1_3genE8ELNS1_11target_archE1030ELNS1_3gpuE2ELNS1_3repE0EEENS1_30default_config_static_selectorELNS0_4arch9wavefront6targetE0EEEvT1_ ; -- Begin function _ZN7rocprim17ROCPRIM_400000_NS6detail17trampoline_kernelINS0_14default_configENS1_25partition_config_selectorILNS1_17partition_subalgoE6ExNS0_10empty_typeEbEEZZNS1_14partition_implILS5_6ELb0ES3_mN6thrust23THRUST_200600_302600_NS6detail15normal_iteratorINSA_10device_ptrIxEEEEPS6_SG_NS0_5tupleIJNSA_16discard_iteratorINSA_11use_defaultEEES6_EEENSH_IJSG_SG_EEES6_PlJNSB_9not_fun_tINSB_14equal_to_valueIxEEEEEEE10hipError_tPvRmT3_T4_T5_T6_T7_T9_mT8_P12ihipStream_tbDpT10_ENKUlT_T0_E_clISt17integral_constantIbLb1EES1A_IbLb0EEEEDaS16_S17_EUlS16_E_NS1_11comp_targetILNS1_3genE8ELNS1_11target_archE1030ELNS1_3gpuE2ELNS1_3repE0EEENS1_30default_config_static_selectorELNS0_4arch9wavefront6targetE0EEEvT1_
	.globl	_ZN7rocprim17ROCPRIM_400000_NS6detail17trampoline_kernelINS0_14default_configENS1_25partition_config_selectorILNS1_17partition_subalgoE6ExNS0_10empty_typeEbEEZZNS1_14partition_implILS5_6ELb0ES3_mN6thrust23THRUST_200600_302600_NS6detail15normal_iteratorINSA_10device_ptrIxEEEEPS6_SG_NS0_5tupleIJNSA_16discard_iteratorINSA_11use_defaultEEES6_EEENSH_IJSG_SG_EEES6_PlJNSB_9not_fun_tINSB_14equal_to_valueIxEEEEEEE10hipError_tPvRmT3_T4_T5_T6_T7_T9_mT8_P12ihipStream_tbDpT10_ENKUlT_T0_E_clISt17integral_constantIbLb1EES1A_IbLb0EEEEDaS16_S17_EUlS16_E_NS1_11comp_targetILNS1_3genE8ELNS1_11target_archE1030ELNS1_3gpuE2ELNS1_3repE0EEENS1_30default_config_static_selectorELNS0_4arch9wavefront6targetE0EEEvT1_
	.p2align	8
	.type	_ZN7rocprim17ROCPRIM_400000_NS6detail17trampoline_kernelINS0_14default_configENS1_25partition_config_selectorILNS1_17partition_subalgoE6ExNS0_10empty_typeEbEEZZNS1_14partition_implILS5_6ELb0ES3_mN6thrust23THRUST_200600_302600_NS6detail15normal_iteratorINSA_10device_ptrIxEEEEPS6_SG_NS0_5tupleIJNSA_16discard_iteratorINSA_11use_defaultEEES6_EEENSH_IJSG_SG_EEES6_PlJNSB_9not_fun_tINSB_14equal_to_valueIxEEEEEEE10hipError_tPvRmT3_T4_T5_T6_T7_T9_mT8_P12ihipStream_tbDpT10_ENKUlT_T0_E_clISt17integral_constantIbLb1EES1A_IbLb0EEEEDaS16_S17_EUlS16_E_NS1_11comp_targetILNS1_3genE8ELNS1_11target_archE1030ELNS1_3gpuE2ELNS1_3repE0EEENS1_30default_config_static_selectorELNS0_4arch9wavefront6targetE0EEEvT1_,@function
_ZN7rocprim17ROCPRIM_400000_NS6detail17trampoline_kernelINS0_14default_configENS1_25partition_config_selectorILNS1_17partition_subalgoE6ExNS0_10empty_typeEbEEZZNS1_14partition_implILS5_6ELb0ES3_mN6thrust23THRUST_200600_302600_NS6detail15normal_iteratorINSA_10device_ptrIxEEEEPS6_SG_NS0_5tupleIJNSA_16discard_iteratorINSA_11use_defaultEEES6_EEENSH_IJSG_SG_EEES6_PlJNSB_9not_fun_tINSB_14equal_to_valueIxEEEEEEE10hipError_tPvRmT3_T4_T5_T6_T7_T9_mT8_P12ihipStream_tbDpT10_ENKUlT_T0_E_clISt17integral_constantIbLb1EES1A_IbLb0EEEEDaS16_S17_EUlS16_E_NS1_11comp_targetILNS1_3genE8ELNS1_11target_archE1030ELNS1_3gpuE2ELNS1_3repE0EEENS1_30default_config_static_selectorELNS0_4arch9wavefront6targetE0EEEvT1_: ; @_ZN7rocprim17ROCPRIM_400000_NS6detail17trampoline_kernelINS0_14default_configENS1_25partition_config_selectorILNS1_17partition_subalgoE6ExNS0_10empty_typeEbEEZZNS1_14partition_implILS5_6ELb0ES3_mN6thrust23THRUST_200600_302600_NS6detail15normal_iteratorINSA_10device_ptrIxEEEEPS6_SG_NS0_5tupleIJNSA_16discard_iteratorINSA_11use_defaultEEES6_EEENSH_IJSG_SG_EEES6_PlJNSB_9not_fun_tINSB_14equal_to_valueIxEEEEEEE10hipError_tPvRmT3_T4_T5_T6_T7_T9_mT8_P12ihipStream_tbDpT10_ENKUlT_T0_E_clISt17integral_constantIbLb1EES1A_IbLb0EEEEDaS16_S17_EUlS16_E_NS1_11comp_targetILNS1_3genE8ELNS1_11target_archE1030ELNS1_3gpuE2ELNS1_3repE0EEENS1_30default_config_static_selectorELNS0_4arch9wavefront6targetE0EEEvT1_
; %bb.0:
	.section	.rodata,"a",@progbits
	.p2align	6, 0x0
	.amdhsa_kernel _ZN7rocprim17ROCPRIM_400000_NS6detail17trampoline_kernelINS0_14default_configENS1_25partition_config_selectorILNS1_17partition_subalgoE6ExNS0_10empty_typeEbEEZZNS1_14partition_implILS5_6ELb0ES3_mN6thrust23THRUST_200600_302600_NS6detail15normal_iteratorINSA_10device_ptrIxEEEEPS6_SG_NS0_5tupleIJNSA_16discard_iteratorINSA_11use_defaultEEES6_EEENSH_IJSG_SG_EEES6_PlJNSB_9not_fun_tINSB_14equal_to_valueIxEEEEEEE10hipError_tPvRmT3_T4_T5_T6_T7_T9_mT8_P12ihipStream_tbDpT10_ENKUlT_T0_E_clISt17integral_constantIbLb1EES1A_IbLb0EEEEDaS16_S17_EUlS16_E_NS1_11comp_targetILNS1_3genE8ELNS1_11target_archE1030ELNS1_3gpuE2ELNS1_3repE0EEENS1_30default_config_static_selectorELNS0_4arch9wavefront6targetE0EEEvT1_
		.amdhsa_group_segment_fixed_size 0
		.amdhsa_private_segment_fixed_size 0
		.amdhsa_kernarg_size 128
		.amdhsa_user_sgpr_count 2
		.amdhsa_user_sgpr_dispatch_ptr 0
		.amdhsa_user_sgpr_queue_ptr 0
		.amdhsa_user_sgpr_kernarg_segment_ptr 1
		.amdhsa_user_sgpr_dispatch_id 0
		.amdhsa_user_sgpr_private_segment_size 0
		.amdhsa_wavefront_size32 1
		.amdhsa_uses_dynamic_stack 0
		.amdhsa_enable_private_segment 0
		.amdhsa_system_sgpr_workgroup_id_x 1
		.amdhsa_system_sgpr_workgroup_id_y 0
		.amdhsa_system_sgpr_workgroup_id_z 0
		.amdhsa_system_sgpr_workgroup_info 0
		.amdhsa_system_vgpr_workitem_id 0
		.amdhsa_next_free_vgpr 1
		.amdhsa_next_free_sgpr 1
		.amdhsa_reserve_vcc 0
		.amdhsa_float_round_mode_32 0
		.amdhsa_float_round_mode_16_64 0
		.amdhsa_float_denorm_mode_32 3
		.amdhsa_float_denorm_mode_16_64 3
		.amdhsa_fp16_overflow 0
		.amdhsa_workgroup_processor_mode 1
		.amdhsa_memory_ordered 1
		.amdhsa_forward_progress 1
		.amdhsa_inst_pref_size 0
		.amdhsa_round_robin_scheduling 0
		.amdhsa_exception_fp_ieee_invalid_op 0
		.amdhsa_exception_fp_denorm_src 0
		.amdhsa_exception_fp_ieee_div_zero 0
		.amdhsa_exception_fp_ieee_overflow 0
		.amdhsa_exception_fp_ieee_underflow 0
		.amdhsa_exception_fp_ieee_inexact 0
		.amdhsa_exception_int_div_zero 0
	.end_amdhsa_kernel
	.section	.text._ZN7rocprim17ROCPRIM_400000_NS6detail17trampoline_kernelINS0_14default_configENS1_25partition_config_selectorILNS1_17partition_subalgoE6ExNS0_10empty_typeEbEEZZNS1_14partition_implILS5_6ELb0ES3_mN6thrust23THRUST_200600_302600_NS6detail15normal_iteratorINSA_10device_ptrIxEEEEPS6_SG_NS0_5tupleIJNSA_16discard_iteratorINSA_11use_defaultEEES6_EEENSH_IJSG_SG_EEES6_PlJNSB_9not_fun_tINSB_14equal_to_valueIxEEEEEEE10hipError_tPvRmT3_T4_T5_T6_T7_T9_mT8_P12ihipStream_tbDpT10_ENKUlT_T0_E_clISt17integral_constantIbLb1EES1A_IbLb0EEEEDaS16_S17_EUlS16_E_NS1_11comp_targetILNS1_3genE8ELNS1_11target_archE1030ELNS1_3gpuE2ELNS1_3repE0EEENS1_30default_config_static_selectorELNS0_4arch9wavefront6targetE0EEEvT1_,"axG",@progbits,_ZN7rocprim17ROCPRIM_400000_NS6detail17trampoline_kernelINS0_14default_configENS1_25partition_config_selectorILNS1_17partition_subalgoE6ExNS0_10empty_typeEbEEZZNS1_14partition_implILS5_6ELb0ES3_mN6thrust23THRUST_200600_302600_NS6detail15normal_iteratorINSA_10device_ptrIxEEEEPS6_SG_NS0_5tupleIJNSA_16discard_iteratorINSA_11use_defaultEEES6_EEENSH_IJSG_SG_EEES6_PlJNSB_9not_fun_tINSB_14equal_to_valueIxEEEEEEE10hipError_tPvRmT3_T4_T5_T6_T7_T9_mT8_P12ihipStream_tbDpT10_ENKUlT_T0_E_clISt17integral_constantIbLb1EES1A_IbLb0EEEEDaS16_S17_EUlS16_E_NS1_11comp_targetILNS1_3genE8ELNS1_11target_archE1030ELNS1_3gpuE2ELNS1_3repE0EEENS1_30default_config_static_selectorELNS0_4arch9wavefront6targetE0EEEvT1_,comdat
.Lfunc_end1748:
	.size	_ZN7rocprim17ROCPRIM_400000_NS6detail17trampoline_kernelINS0_14default_configENS1_25partition_config_selectorILNS1_17partition_subalgoE6ExNS0_10empty_typeEbEEZZNS1_14partition_implILS5_6ELb0ES3_mN6thrust23THRUST_200600_302600_NS6detail15normal_iteratorINSA_10device_ptrIxEEEEPS6_SG_NS0_5tupleIJNSA_16discard_iteratorINSA_11use_defaultEEES6_EEENSH_IJSG_SG_EEES6_PlJNSB_9not_fun_tINSB_14equal_to_valueIxEEEEEEE10hipError_tPvRmT3_T4_T5_T6_T7_T9_mT8_P12ihipStream_tbDpT10_ENKUlT_T0_E_clISt17integral_constantIbLb1EES1A_IbLb0EEEEDaS16_S17_EUlS16_E_NS1_11comp_targetILNS1_3genE8ELNS1_11target_archE1030ELNS1_3gpuE2ELNS1_3repE0EEENS1_30default_config_static_selectorELNS0_4arch9wavefront6targetE0EEEvT1_, .Lfunc_end1748-_ZN7rocprim17ROCPRIM_400000_NS6detail17trampoline_kernelINS0_14default_configENS1_25partition_config_selectorILNS1_17partition_subalgoE6ExNS0_10empty_typeEbEEZZNS1_14partition_implILS5_6ELb0ES3_mN6thrust23THRUST_200600_302600_NS6detail15normal_iteratorINSA_10device_ptrIxEEEEPS6_SG_NS0_5tupleIJNSA_16discard_iteratorINSA_11use_defaultEEES6_EEENSH_IJSG_SG_EEES6_PlJNSB_9not_fun_tINSB_14equal_to_valueIxEEEEEEE10hipError_tPvRmT3_T4_T5_T6_T7_T9_mT8_P12ihipStream_tbDpT10_ENKUlT_T0_E_clISt17integral_constantIbLb1EES1A_IbLb0EEEEDaS16_S17_EUlS16_E_NS1_11comp_targetILNS1_3genE8ELNS1_11target_archE1030ELNS1_3gpuE2ELNS1_3repE0EEENS1_30default_config_static_selectorELNS0_4arch9wavefront6targetE0EEEvT1_
                                        ; -- End function
	.set _ZN7rocprim17ROCPRIM_400000_NS6detail17trampoline_kernelINS0_14default_configENS1_25partition_config_selectorILNS1_17partition_subalgoE6ExNS0_10empty_typeEbEEZZNS1_14partition_implILS5_6ELb0ES3_mN6thrust23THRUST_200600_302600_NS6detail15normal_iteratorINSA_10device_ptrIxEEEEPS6_SG_NS0_5tupleIJNSA_16discard_iteratorINSA_11use_defaultEEES6_EEENSH_IJSG_SG_EEES6_PlJNSB_9not_fun_tINSB_14equal_to_valueIxEEEEEEE10hipError_tPvRmT3_T4_T5_T6_T7_T9_mT8_P12ihipStream_tbDpT10_ENKUlT_T0_E_clISt17integral_constantIbLb1EES1A_IbLb0EEEEDaS16_S17_EUlS16_E_NS1_11comp_targetILNS1_3genE8ELNS1_11target_archE1030ELNS1_3gpuE2ELNS1_3repE0EEENS1_30default_config_static_selectorELNS0_4arch9wavefront6targetE0EEEvT1_.num_vgpr, 0
	.set _ZN7rocprim17ROCPRIM_400000_NS6detail17trampoline_kernelINS0_14default_configENS1_25partition_config_selectorILNS1_17partition_subalgoE6ExNS0_10empty_typeEbEEZZNS1_14partition_implILS5_6ELb0ES3_mN6thrust23THRUST_200600_302600_NS6detail15normal_iteratorINSA_10device_ptrIxEEEEPS6_SG_NS0_5tupleIJNSA_16discard_iteratorINSA_11use_defaultEEES6_EEENSH_IJSG_SG_EEES6_PlJNSB_9not_fun_tINSB_14equal_to_valueIxEEEEEEE10hipError_tPvRmT3_T4_T5_T6_T7_T9_mT8_P12ihipStream_tbDpT10_ENKUlT_T0_E_clISt17integral_constantIbLb1EES1A_IbLb0EEEEDaS16_S17_EUlS16_E_NS1_11comp_targetILNS1_3genE8ELNS1_11target_archE1030ELNS1_3gpuE2ELNS1_3repE0EEENS1_30default_config_static_selectorELNS0_4arch9wavefront6targetE0EEEvT1_.num_agpr, 0
	.set _ZN7rocprim17ROCPRIM_400000_NS6detail17trampoline_kernelINS0_14default_configENS1_25partition_config_selectorILNS1_17partition_subalgoE6ExNS0_10empty_typeEbEEZZNS1_14partition_implILS5_6ELb0ES3_mN6thrust23THRUST_200600_302600_NS6detail15normal_iteratorINSA_10device_ptrIxEEEEPS6_SG_NS0_5tupleIJNSA_16discard_iteratorINSA_11use_defaultEEES6_EEENSH_IJSG_SG_EEES6_PlJNSB_9not_fun_tINSB_14equal_to_valueIxEEEEEEE10hipError_tPvRmT3_T4_T5_T6_T7_T9_mT8_P12ihipStream_tbDpT10_ENKUlT_T0_E_clISt17integral_constantIbLb1EES1A_IbLb0EEEEDaS16_S17_EUlS16_E_NS1_11comp_targetILNS1_3genE8ELNS1_11target_archE1030ELNS1_3gpuE2ELNS1_3repE0EEENS1_30default_config_static_selectorELNS0_4arch9wavefront6targetE0EEEvT1_.numbered_sgpr, 0
	.set _ZN7rocprim17ROCPRIM_400000_NS6detail17trampoline_kernelINS0_14default_configENS1_25partition_config_selectorILNS1_17partition_subalgoE6ExNS0_10empty_typeEbEEZZNS1_14partition_implILS5_6ELb0ES3_mN6thrust23THRUST_200600_302600_NS6detail15normal_iteratorINSA_10device_ptrIxEEEEPS6_SG_NS0_5tupleIJNSA_16discard_iteratorINSA_11use_defaultEEES6_EEENSH_IJSG_SG_EEES6_PlJNSB_9not_fun_tINSB_14equal_to_valueIxEEEEEEE10hipError_tPvRmT3_T4_T5_T6_T7_T9_mT8_P12ihipStream_tbDpT10_ENKUlT_T0_E_clISt17integral_constantIbLb1EES1A_IbLb0EEEEDaS16_S17_EUlS16_E_NS1_11comp_targetILNS1_3genE8ELNS1_11target_archE1030ELNS1_3gpuE2ELNS1_3repE0EEENS1_30default_config_static_selectorELNS0_4arch9wavefront6targetE0EEEvT1_.num_named_barrier, 0
	.set _ZN7rocprim17ROCPRIM_400000_NS6detail17trampoline_kernelINS0_14default_configENS1_25partition_config_selectorILNS1_17partition_subalgoE6ExNS0_10empty_typeEbEEZZNS1_14partition_implILS5_6ELb0ES3_mN6thrust23THRUST_200600_302600_NS6detail15normal_iteratorINSA_10device_ptrIxEEEEPS6_SG_NS0_5tupleIJNSA_16discard_iteratorINSA_11use_defaultEEES6_EEENSH_IJSG_SG_EEES6_PlJNSB_9not_fun_tINSB_14equal_to_valueIxEEEEEEE10hipError_tPvRmT3_T4_T5_T6_T7_T9_mT8_P12ihipStream_tbDpT10_ENKUlT_T0_E_clISt17integral_constantIbLb1EES1A_IbLb0EEEEDaS16_S17_EUlS16_E_NS1_11comp_targetILNS1_3genE8ELNS1_11target_archE1030ELNS1_3gpuE2ELNS1_3repE0EEENS1_30default_config_static_selectorELNS0_4arch9wavefront6targetE0EEEvT1_.private_seg_size, 0
	.set _ZN7rocprim17ROCPRIM_400000_NS6detail17trampoline_kernelINS0_14default_configENS1_25partition_config_selectorILNS1_17partition_subalgoE6ExNS0_10empty_typeEbEEZZNS1_14partition_implILS5_6ELb0ES3_mN6thrust23THRUST_200600_302600_NS6detail15normal_iteratorINSA_10device_ptrIxEEEEPS6_SG_NS0_5tupleIJNSA_16discard_iteratorINSA_11use_defaultEEES6_EEENSH_IJSG_SG_EEES6_PlJNSB_9not_fun_tINSB_14equal_to_valueIxEEEEEEE10hipError_tPvRmT3_T4_T5_T6_T7_T9_mT8_P12ihipStream_tbDpT10_ENKUlT_T0_E_clISt17integral_constantIbLb1EES1A_IbLb0EEEEDaS16_S17_EUlS16_E_NS1_11comp_targetILNS1_3genE8ELNS1_11target_archE1030ELNS1_3gpuE2ELNS1_3repE0EEENS1_30default_config_static_selectorELNS0_4arch9wavefront6targetE0EEEvT1_.uses_vcc, 0
	.set _ZN7rocprim17ROCPRIM_400000_NS6detail17trampoline_kernelINS0_14default_configENS1_25partition_config_selectorILNS1_17partition_subalgoE6ExNS0_10empty_typeEbEEZZNS1_14partition_implILS5_6ELb0ES3_mN6thrust23THRUST_200600_302600_NS6detail15normal_iteratorINSA_10device_ptrIxEEEEPS6_SG_NS0_5tupleIJNSA_16discard_iteratorINSA_11use_defaultEEES6_EEENSH_IJSG_SG_EEES6_PlJNSB_9not_fun_tINSB_14equal_to_valueIxEEEEEEE10hipError_tPvRmT3_T4_T5_T6_T7_T9_mT8_P12ihipStream_tbDpT10_ENKUlT_T0_E_clISt17integral_constantIbLb1EES1A_IbLb0EEEEDaS16_S17_EUlS16_E_NS1_11comp_targetILNS1_3genE8ELNS1_11target_archE1030ELNS1_3gpuE2ELNS1_3repE0EEENS1_30default_config_static_selectorELNS0_4arch9wavefront6targetE0EEEvT1_.uses_flat_scratch, 0
	.set _ZN7rocprim17ROCPRIM_400000_NS6detail17trampoline_kernelINS0_14default_configENS1_25partition_config_selectorILNS1_17partition_subalgoE6ExNS0_10empty_typeEbEEZZNS1_14partition_implILS5_6ELb0ES3_mN6thrust23THRUST_200600_302600_NS6detail15normal_iteratorINSA_10device_ptrIxEEEEPS6_SG_NS0_5tupleIJNSA_16discard_iteratorINSA_11use_defaultEEES6_EEENSH_IJSG_SG_EEES6_PlJNSB_9not_fun_tINSB_14equal_to_valueIxEEEEEEE10hipError_tPvRmT3_T4_T5_T6_T7_T9_mT8_P12ihipStream_tbDpT10_ENKUlT_T0_E_clISt17integral_constantIbLb1EES1A_IbLb0EEEEDaS16_S17_EUlS16_E_NS1_11comp_targetILNS1_3genE8ELNS1_11target_archE1030ELNS1_3gpuE2ELNS1_3repE0EEENS1_30default_config_static_selectorELNS0_4arch9wavefront6targetE0EEEvT1_.has_dyn_sized_stack, 0
	.set _ZN7rocprim17ROCPRIM_400000_NS6detail17trampoline_kernelINS0_14default_configENS1_25partition_config_selectorILNS1_17partition_subalgoE6ExNS0_10empty_typeEbEEZZNS1_14partition_implILS5_6ELb0ES3_mN6thrust23THRUST_200600_302600_NS6detail15normal_iteratorINSA_10device_ptrIxEEEEPS6_SG_NS0_5tupleIJNSA_16discard_iteratorINSA_11use_defaultEEES6_EEENSH_IJSG_SG_EEES6_PlJNSB_9not_fun_tINSB_14equal_to_valueIxEEEEEEE10hipError_tPvRmT3_T4_T5_T6_T7_T9_mT8_P12ihipStream_tbDpT10_ENKUlT_T0_E_clISt17integral_constantIbLb1EES1A_IbLb0EEEEDaS16_S17_EUlS16_E_NS1_11comp_targetILNS1_3genE8ELNS1_11target_archE1030ELNS1_3gpuE2ELNS1_3repE0EEENS1_30default_config_static_selectorELNS0_4arch9wavefront6targetE0EEEvT1_.has_recursion, 0
	.set _ZN7rocprim17ROCPRIM_400000_NS6detail17trampoline_kernelINS0_14default_configENS1_25partition_config_selectorILNS1_17partition_subalgoE6ExNS0_10empty_typeEbEEZZNS1_14partition_implILS5_6ELb0ES3_mN6thrust23THRUST_200600_302600_NS6detail15normal_iteratorINSA_10device_ptrIxEEEEPS6_SG_NS0_5tupleIJNSA_16discard_iteratorINSA_11use_defaultEEES6_EEENSH_IJSG_SG_EEES6_PlJNSB_9not_fun_tINSB_14equal_to_valueIxEEEEEEE10hipError_tPvRmT3_T4_T5_T6_T7_T9_mT8_P12ihipStream_tbDpT10_ENKUlT_T0_E_clISt17integral_constantIbLb1EES1A_IbLb0EEEEDaS16_S17_EUlS16_E_NS1_11comp_targetILNS1_3genE8ELNS1_11target_archE1030ELNS1_3gpuE2ELNS1_3repE0EEENS1_30default_config_static_selectorELNS0_4arch9wavefront6targetE0EEEvT1_.has_indirect_call, 0
	.section	.AMDGPU.csdata,"",@progbits
; Kernel info:
; codeLenInByte = 0
; TotalNumSgprs: 0
; NumVgprs: 0
; ScratchSize: 0
; MemoryBound: 0
; FloatMode: 240
; IeeeMode: 1
; LDSByteSize: 0 bytes/workgroup (compile time only)
; SGPRBlocks: 0
; VGPRBlocks: 0
; NumSGPRsForWavesPerEU: 1
; NumVGPRsForWavesPerEU: 1
; Occupancy: 16
; WaveLimiterHint : 0
; COMPUTE_PGM_RSRC2:SCRATCH_EN: 0
; COMPUTE_PGM_RSRC2:USER_SGPR: 2
; COMPUTE_PGM_RSRC2:TRAP_HANDLER: 0
; COMPUTE_PGM_RSRC2:TGID_X_EN: 1
; COMPUTE_PGM_RSRC2:TGID_Y_EN: 0
; COMPUTE_PGM_RSRC2:TGID_Z_EN: 0
; COMPUTE_PGM_RSRC2:TIDIG_COMP_CNT: 0
	.section	.text._ZN7rocprim17ROCPRIM_400000_NS6detail17trampoline_kernelINS0_14default_configENS1_25partition_config_selectorILNS1_17partition_subalgoE6ExNS0_10empty_typeEbEEZZNS1_14partition_implILS5_6ELb0ES3_mN6thrust23THRUST_200600_302600_NS6detail15normal_iteratorINSA_10device_ptrIxEEEEPS6_SG_NS0_5tupleIJNSA_16discard_iteratorINSA_11use_defaultEEES6_EEENSH_IJSG_SG_EEES6_PlJNSB_9not_fun_tINSB_14equal_to_valueIxEEEEEEE10hipError_tPvRmT3_T4_T5_T6_T7_T9_mT8_P12ihipStream_tbDpT10_ENKUlT_T0_E_clISt17integral_constantIbLb0EES1A_IbLb1EEEEDaS16_S17_EUlS16_E_NS1_11comp_targetILNS1_3genE0ELNS1_11target_archE4294967295ELNS1_3gpuE0ELNS1_3repE0EEENS1_30default_config_static_selectorELNS0_4arch9wavefront6targetE0EEEvT1_,"axG",@progbits,_ZN7rocprim17ROCPRIM_400000_NS6detail17trampoline_kernelINS0_14default_configENS1_25partition_config_selectorILNS1_17partition_subalgoE6ExNS0_10empty_typeEbEEZZNS1_14partition_implILS5_6ELb0ES3_mN6thrust23THRUST_200600_302600_NS6detail15normal_iteratorINSA_10device_ptrIxEEEEPS6_SG_NS0_5tupleIJNSA_16discard_iteratorINSA_11use_defaultEEES6_EEENSH_IJSG_SG_EEES6_PlJNSB_9not_fun_tINSB_14equal_to_valueIxEEEEEEE10hipError_tPvRmT3_T4_T5_T6_T7_T9_mT8_P12ihipStream_tbDpT10_ENKUlT_T0_E_clISt17integral_constantIbLb0EES1A_IbLb1EEEEDaS16_S17_EUlS16_E_NS1_11comp_targetILNS1_3genE0ELNS1_11target_archE4294967295ELNS1_3gpuE0ELNS1_3repE0EEENS1_30default_config_static_selectorELNS0_4arch9wavefront6targetE0EEEvT1_,comdat
	.protected	_ZN7rocprim17ROCPRIM_400000_NS6detail17trampoline_kernelINS0_14default_configENS1_25partition_config_selectorILNS1_17partition_subalgoE6ExNS0_10empty_typeEbEEZZNS1_14partition_implILS5_6ELb0ES3_mN6thrust23THRUST_200600_302600_NS6detail15normal_iteratorINSA_10device_ptrIxEEEEPS6_SG_NS0_5tupleIJNSA_16discard_iteratorINSA_11use_defaultEEES6_EEENSH_IJSG_SG_EEES6_PlJNSB_9not_fun_tINSB_14equal_to_valueIxEEEEEEE10hipError_tPvRmT3_T4_T5_T6_T7_T9_mT8_P12ihipStream_tbDpT10_ENKUlT_T0_E_clISt17integral_constantIbLb0EES1A_IbLb1EEEEDaS16_S17_EUlS16_E_NS1_11comp_targetILNS1_3genE0ELNS1_11target_archE4294967295ELNS1_3gpuE0ELNS1_3repE0EEENS1_30default_config_static_selectorELNS0_4arch9wavefront6targetE0EEEvT1_ ; -- Begin function _ZN7rocprim17ROCPRIM_400000_NS6detail17trampoline_kernelINS0_14default_configENS1_25partition_config_selectorILNS1_17partition_subalgoE6ExNS0_10empty_typeEbEEZZNS1_14partition_implILS5_6ELb0ES3_mN6thrust23THRUST_200600_302600_NS6detail15normal_iteratorINSA_10device_ptrIxEEEEPS6_SG_NS0_5tupleIJNSA_16discard_iteratorINSA_11use_defaultEEES6_EEENSH_IJSG_SG_EEES6_PlJNSB_9not_fun_tINSB_14equal_to_valueIxEEEEEEE10hipError_tPvRmT3_T4_T5_T6_T7_T9_mT8_P12ihipStream_tbDpT10_ENKUlT_T0_E_clISt17integral_constantIbLb0EES1A_IbLb1EEEEDaS16_S17_EUlS16_E_NS1_11comp_targetILNS1_3genE0ELNS1_11target_archE4294967295ELNS1_3gpuE0ELNS1_3repE0EEENS1_30default_config_static_selectorELNS0_4arch9wavefront6targetE0EEEvT1_
	.globl	_ZN7rocprim17ROCPRIM_400000_NS6detail17trampoline_kernelINS0_14default_configENS1_25partition_config_selectorILNS1_17partition_subalgoE6ExNS0_10empty_typeEbEEZZNS1_14partition_implILS5_6ELb0ES3_mN6thrust23THRUST_200600_302600_NS6detail15normal_iteratorINSA_10device_ptrIxEEEEPS6_SG_NS0_5tupleIJNSA_16discard_iteratorINSA_11use_defaultEEES6_EEENSH_IJSG_SG_EEES6_PlJNSB_9not_fun_tINSB_14equal_to_valueIxEEEEEEE10hipError_tPvRmT3_T4_T5_T6_T7_T9_mT8_P12ihipStream_tbDpT10_ENKUlT_T0_E_clISt17integral_constantIbLb0EES1A_IbLb1EEEEDaS16_S17_EUlS16_E_NS1_11comp_targetILNS1_3genE0ELNS1_11target_archE4294967295ELNS1_3gpuE0ELNS1_3repE0EEENS1_30default_config_static_selectorELNS0_4arch9wavefront6targetE0EEEvT1_
	.p2align	8
	.type	_ZN7rocprim17ROCPRIM_400000_NS6detail17trampoline_kernelINS0_14default_configENS1_25partition_config_selectorILNS1_17partition_subalgoE6ExNS0_10empty_typeEbEEZZNS1_14partition_implILS5_6ELb0ES3_mN6thrust23THRUST_200600_302600_NS6detail15normal_iteratorINSA_10device_ptrIxEEEEPS6_SG_NS0_5tupleIJNSA_16discard_iteratorINSA_11use_defaultEEES6_EEENSH_IJSG_SG_EEES6_PlJNSB_9not_fun_tINSB_14equal_to_valueIxEEEEEEE10hipError_tPvRmT3_T4_T5_T6_T7_T9_mT8_P12ihipStream_tbDpT10_ENKUlT_T0_E_clISt17integral_constantIbLb0EES1A_IbLb1EEEEDaS16_S17_EUlS16_E_NS1_11comp_targetILNS1_3genE0ELNS1_11target_archE4294967295ELNS1_3gpuE0ELNS1_3repE0EEENS1_30default_config_static_selectorELNS0_4arch9wavefront6targetE0EEEvT1_,@function
_ZN7rocprim17ROCPRIM_400000_NS6detail17trampoline_kernelINS0_14default_configENS1_25partition_config_selectorILNS1_17partition_subalgoE6ExNS0_10empty_typeEbEEZZNS1_14partition_implILS5_6ELb0ES3_mN6thrust23THRUST_200600_302600_NS6detail15normal_iteratorINSA_10device_ptrIxEEEEPS6_SG_NS0_5tupleIJNSA_16discard_iteratorINSA_11use_defaultEEES6_EEENSH_IJSG_SG_EEES6_PlJNSB_9not_fun_tINSB_14equal_to_valueIxEEEEEEE10hipError_tPvRmT3_T4_T5_T6_T7_T9_mT8_P12ihipStream_tbDpT10_ENKUlT_T0_E_clISt17integral_constantIbLb0EES1A_IbLb1EEEEDaS16_S17_EUlS16_E_NS1_11comp_targetILNS1_3genE0ELNS1_11target_archE4294967295ELNS1_3gpuE0ELNS1_3repE0EEENS1_30default_config_static_selectorELNS0_4arch9wavefront6targetE0EEEvT1_: ; @_ZN7rocprim17ROCPRIM_400000_NS6detail17trampoline_kernelINS0_14default_configENS1_25partition_config_selectorILNS1_17partition_subalgoE6ExNS0_10empty_typeEbEEZZNS1_14partition_implILS5_6ELb0ES3_mN6thrust23THRUST_200600_302600_NS6detail15normal_iteratorINSA_10device_ptrIxEEEEPS6_SG_NS0_5tupleIJNSA_16discard_iteratorINSA_11use_defaultEEES6_EEENSH_IJSG_SG_EEES6_PlJNSB_9not_fun_tINSB_14equal_to_valueIxEEEEEEE10hipError_tPvRmT3_T4_T5_T6_T7_T9_mT8_P12ihipStream_tbDpT10_ENKUlT_T0_E_clISt17integral_constantIbLb0EES1A_IbLb1EEEEDaS16_S17_EUlS16_E_NS1_11comp_targetILNS1_3genE0ELNS1_11target_archE4294967295ELNS1_3gpuE0ELNS1_3repE0EEENS1_30default_config_static_selectorELNS0_4arch9wavefront6targetE0EEEvT1_
; %bb.0:
	.section	.rodata,"a",@progbits
	.p2align	6, 0x0
	.amdhsa_kernel _ZN7rocprim17ROCPRIM_400000_NS6detail17trampoline_kernelINS0_14default_configENS1_25partition_config_selectorILNS1_17partition_subalgoE6ExNS0_10empty_typeEbEEZZNS1_14partition_implILS5_6ELb0ES3_mN6thrust23THRUST_200600_302600_NS6detail15normal_iteratorINSA_10device_ptrIxEEEEPS6_SG_NS0_5tupleIJNSA_16discard_iteratorINSA_11use_defaultEEES6_EEENSH_IJSG_SG_EEES6_PlJNSB_9not_fun_tINSB_14equal_to_valueIxEEEEEEE10hipError_tPvRmT3_T4_T5_T6_T7_T9_mT8_P12ihipStream_tbDpT10_ENKUlT_T0_E_clISt17integral_constantIbLb0EES1A_IbLb1EEEEDaS16_S17_EUlS16_E_NS1_11comp_targetILNS1_3genE0ELNS1_11target_archE4294967295ELNS1_3gpuE0ELNS1_3repE0EEENS1_30default_config_static_selectorELNS0_4arch9wavefront6targetE0EEEvT1_
		.amdhsa_group_segment_fixed_size 0
		.amdhsa_private_segment_fixed_size 0
		.amdhsa_kernarg_size 136
		.amdhsa_user_sgpr_count 2
		.amdhsa_user_sgpr_dispatch_ptr 0
		.amdhsa_user_sgpr_queue_ptr 0
		.amdhsa_user_sgpr_kernarg_segment_ptr 1
		.amdhsa_user_sgpr_dispatch_id 0
		.amdhsa_user_sgpr_private_segment_size 0
		.amdhsa_wavefront_size32 1
		.amdhsa_uses_dynamic_stack 0
		.amdhsa_enable_private_segment 0
		.amdhsa_system_sgpr_workgroup_id_x 1
		.amdhsa_system_sgpr_workgroup_id_y 0
		.amdhsa_system_sgpr_workgroup_id_z 0
		.amdhsa_system_sgpr_workgroup_info 0
		.amdhsa_system_vgpr_workitem_id 0
		.amdhsa_next_free_vgpr 1
		.amdhsa_next_free_sgpr 1
		.amdhsa_reserve_vcc 0
		.amdhsa_float_round_mode_32 0
		.amdhsa_float_round_mode_16_64 0
		.amdhsa_float_denorm_mode_32 3
		.amdhsa_float_denorm_mode_16_64 3
		.amdhsa_fp16_overflow 0
		.amdhsa_workgroup_processor_mode 1
		.amdhsa_memory_ordered 1
		.amdhsa_forward_progress 1
		.amdhsa_inst_pref_size 0
		.amdhsa_round_robin_scheduling 0
		.amdhsa_exception_fp_ieee_invalid_op 0
		.amdhsa_exception_fp_denorm_src 0
		.amdhsa_exception_fp_ieee_div_zero 0
		.amdhsa_exception_fp_ieee_overflow 0
		.amdhsa_exception_fp_ieee_underflow 0
		.amdhsa_exception_fp_ieee_inexact 0
		.amdhsa_exception_int_div_zero 0
	.end_amdhsa_kernel
	.section	.text._ZN7rocprim17ROCPRIM_400000_NS6detail17trampoline_kernelINS0_14default_configENS1_25partition_config_selectorILNS1_17partition_subalgoE6ExNS0_10empty_typeEbEEZZNS1_14partition_implILS5_6ELb0ES3_mN6thrust23THRUST_200600_302600_NS6detail15normal_iteratorINSA_10device_ptrIxEEEEPS6_SG_NS0_5tupleIJNSA_16discard_iteratorINSA_11use_defaultEEES6_EEENSH_IJSG_SG_EEES6_PlJNSB_9not_fun_tINSB_14equal_to_valueIxEEEEEEE10hipError_tPvRmT3_T4_T5_T6_T7_T9_mT8_P12ihipStream_tbDpT10_ENKUlT_T0_E_clISt17integral_constantIbLb0EES1A_IbLb1EEEEDaS16_S17_EUlS16_E_NS1_11comp_targetILNS1_3genE0ELNS1_11target_archE4294967295ELNS1_3gpuE0ELNS1_3repE0EEENS1_30default_config_static_selectorELNS0_4arch9wavefront6targetE0EEEvT1_,"axG",@progbits,_ZN7rocprim17ROCPRIM_400000_NS6detail17trampoline_kernelINS0_14default_configENS1_25partition_config_selectorILNS1_17partition_subalgoE6ExNS0_10empty_typeEbEEZZNS1_14partition_implILS5_6ELb0ES3_mN6thrust23THRUST_200600_302600_NS6detail15normal_iteratorINSA_10device_ptrIxEEEEPS6_SG_NS0_5tupleIJNSA_16discard_iteratorINSA_11use_defaultEEES6_EEENSH_IJSG_SG_EEES6_PlJNSB_9not_fun_tINSB_14equal_to_valueIxEEEEEEE10hipError_tPvRmT3_T4_T5_T6_T7_T9_mT8_P12ihipStream_tbDpT10_ENKUlT_T0_E_clISt17integral_constantIbLb0EES1A_IbLb1EEEEDaS16_S17_EUlS16_E_NS1_11comp_targetILNS1_3genE0ELNS1_11target_archE4294967295ELNS1_3gpuE0ELNS1_3repE0EEENS1_30default_config_static_selectorELNS0_4arch9wavefront6targetE0EEEvT1_,comdat
.Lfunc_end1749:
	.size	_ZN7rocprim17ROCPRIM_400000_NS6detail17trampoline_kernelINS0_14default_configENS1_25partition_config_selectorILNS1_17partition_subalgoE6ExNS0_10empty_typeEbEEZZNS1_14partition_implILS5_6ELb0ES3_mN6thrust23THRUST_200600_302600_NS6detail15normal_iteratorINSA_10device_ptrIxEEEEPS6_SG_NS0_5tupleIJNSA_16discard_iteratorINSA_11use_defaultEEES6_EEENSH_IJSG_SG_EEES6_PlJNSB_9not_fun_tINSB_14equal_to_valueIxEEEEEEE10hipError_tPvRmT3_T4_T5_T6_T7_T9_mT8_P12ihipStream_tbDpT10_ENKUlT_T0_E_clISt17integral_constantIbLb0EES1A_IbLb1EEEEDaS16_S17_EUlS16_E_NS1_11comp_targetILNS1_3genE0ELNS1_11target_archE4294967295ELNS1_3gpuE0ELNS1_3repE0EEENS1_30default_config_static_selectorELNS0_4arch9wavefront6targetE0EEEvT1_, .Lfunc_end1749-_ZN7rocprim17ROCPRIM_400000_NS6detail17trampoline_kernelINS0_14default_configENS1_25partition_config_selectorILNS1_17partition_subalgoE6ExNS0_10empty_typeEbEEZZNS1_14partition_implILS5_6ELb0ES3_mN6thrust23THRUST_200600_302600_NS6detail15normal_iteratorINSA_10device_ptrIxEEEEPS6_SG_NS0_5tupleIJNSA_16discard_iteratorINSA_11use_defaultEEES6_EEENSH_IJSG_SG_EEES6_PlJNSB_9not_fun_tINSB_14equal_to_valueIxEEEEEEE10hipError_tPvRmT3_T4_T5_T6_T7_T9_mT8_P12ihipStream_tbDpT10_ENKUlT_T0_E_clISt17integral_constantIbLb0EES1A_IbLb1EEEEDaS16_S17_EUlS16_E_NS1_11comp_targetILNS1_3genE0ELNS1_11target_archE4294967295ELNS1_3gpuE0ELNS1_3repE0EEENS1_30default_config_static_selectorELNS0_4arch9wavefront6targetE0EEEvT1_
                                        ; -- End function
	.set _ZN7rocprim17ROCPRIM_400000_NS6detail17trampoline_kernelINS0_14default_configENS1_25partition_config_selectorILNS1_17partition_subalgoE6ExNS0_10empty_typeEbEEZZNS1_14partition_implILS5_6ELb0ES3_mN6thrust23THRUST_200600_302600_NS6detail15normal_iteratorINSA_10device_ptrIxEEEEPS6_SG_NS0_5tupleIJNSA_16discard_iteratorINSA_11use_defaultEEES6_EEENSH_IJSG_SG_EEES6_PlJNSB_9not_fun_tINSB_14equal_to_valueIxEEEEEEE10hipError_tPvRmT3_T4_T5_T6_T7_T9_mT8_P12ihipStream_tbDpT10_ENKUlT_T0_E_clISt17integral_constantIbLb0EES1A_IbLb1EEEEDaS16_S17_EUlS16_E_NS1_11comp_targetILNS1_3genE0ELNS1_11target_archE4294967295ELNS1_3gpuE0ELNS1_3repE0EEENS1_30default_config_static_selectorELNS0_4arch9wavefront6targetE0EEEvT1_.num_vgpr, 0
	.set _ZN7rocprim17ROCPRIM_400000_NS6detail17trampoline_kernelINS0_14default_configENS1_25partition_config_selectorILNS1_17partition_subalgoE6ExNS0_10empty_typeEbEEZZNS1_14partition_implILS5_6ELb0ES3_mN6thrust23THRUST_200600_302600_NS6detail15normal_iteratorINSA_10device_ptrIxEEEEPS6_SG_NS0_5tupleIJNSA_16discard_iteratorINSA_11use_defaultEEES6_EEENSH_IJSG_SG_EEES6_PlJNSB_9not_fun_tINSB_14equal_to_valueIxEEEEEEE10hipError_tPvRmT3_T4_T5_T6_T7_T9_mT8_P12ihipStream_tbDpT10_ENKUlT_T0_E_clISt17integral_constantIbLb0EES1A_IbLb1EEEEDaS16_S17_EUlS16_E_NS1_11comp_targetILNS1_3genE0ELNS1_11target_archE4294967295ELNS1_3gpuE0ELNS1_3repE0EEENS1_30default_config_static_selectorELNS0_4arch9wavefront6targetE0EEEvT1_.num_agpr, 0
	.set _ZN7rocprim17ROCPRIM_400000_NS6detail17trampoline_kernelINS0_14default_configENS1_25partition_config_selectorILNS1_17partition_subalgoE6ExNS0_10empty_typeEbEEZZNS1_14partition_implILS5_6ELb0ES3_mN6thrust23THRUST_200600_302600_NS6detail15normal_iteratorINSA_10device_ptrIxEEEEPS6_SG_NS0_5tupleIJNSA_16discard_iteratorINSA_11use_defaultEEES6_EEENSH_IJSG_SG_EEES6_PlJNSB_9not_fun_tINSB_14equal_to_valueIxEEEEEEE10hipError_tPvRmT3_T4_T5_T6_T7_T9_mT8_P12ihipStream_tbDpT10_ENKUlT_T0_E_clISt17integral_constantIbLb0EES1A_IbLb1EEEEDaS16_S17_EUlS16_E_NS1_11comp_targetILNS1_3genE0ELNS1_11target_archE4294967295ELNS1_3gpuE0ELNS1_3repE0EEENS1_30default_config_static_selectorELNS0_4arch9wavefront6targetE0EEEvT1_.numbered_sgpr, 0
	.set _ZN7rocprim17ROCPRIM_400000_NS6detail17trampoline_kernelINS0_14default_configENS1_25partition_config_selectorILNS1_17partition_subalgoE6ExNS0_10empty_typeEbEEZZNS1_14partition_implILS5_6ELb0ES3_mN6thrust23THRUST_200600_302600_NS6detail15normal_iteratorINSA_10device_ptrIxEEEEPS6_SG_NS0_5tupleIJNSA_16discard_iteratorINSA_11use_defaultEEES6_EEENSH_IJSG_SG_EEES6_PlJNSB_9not_fun_tINSB_14equal_to_valueIxEEEEEEE10hipError_tPvRmT3_T4_T5_T6_T7_T9_mT8_P12ihipStream_tbDpT10_ENKUlT_T0_E_clISt17integral_constantIbLb0EES1A_IbLb1EEEEDaS16_S17_EUlS16_E_NS1_11comp_targetILNS1_3genE0ELNS1_11target_archE4294967295ELNS1_3gpuE0ELNS1_3repE0EEENS1_30default_config_static_selectorELNS0_4arch9wavefront6targetE0EEEvT1_.num_named_barrier, 0
	.set _ZN7rocprim17ROCPRIM_400000_NS6detail17trampoline_kernelINS0_14default_configENS1_25partition_config_selectorILNS1_17partition_subalgoE6ExNS0_10empty_typeEbEEZZNS1_14partition_implILS5_6ELb0ES3_mN6thrust23THRUST_200600_302600_NS6detail15normal_iteratorINSA_10device_ptrIxEEEEPS6_SG_NS0_5tupleIJNSA_16discard_iteratorINSA_11use_defaultEEES6_EEENSH_IJSG_SG_EEES6_PlJNSB_9not_fun_tINSB_14equal_to_valueIxEEEEEEE10hipError_tPvRmT3_T4_T5_T6_T7_T9_mT8_P12ihipStream_tbDpT10_ENKUlT_T0_E_clISt17integral_constantIbLb0EES1A_IbLb1EEEEDaS16_S17_EUlS16_E_NS1_11comp_targetILNS1_3genE0ELNS1_11target_archE4294967295ELNS1_3gpuE0ELNS1_3repE0EEENS1_30default_config_static_selectorELNS0_4arch9wavefront6targetE0EEEvT1_.private_seg_size, 0
	.set _ZN7rocprim17ROCPRIM_400000_NS6detail17trampoline_kernelINS0_14default_configENS1_25partition_config_selectorILNS1_17partition_subalgoE6ExNS0_10empty_typeEbEEZZNS1_14partition_implILS5_6ELb0ES3_mN6thrust23THRUST_200600_302600_NS6detail15normal_iteratorINSA_10device_ptrIxEEEEPS6_SG_NS0_5tupleIJNSA_16discard_iteratorINSA_11use_defaultEEES6_EEENSH_IJSG_SG_EEES6_PlJNSB_9not_fun_tINSB_14equal_to_valueIxEEEEEEE10hipError_tPvRmT3_T4_T5_T6_T7_T9_mT8_P12ihipStream_tbDpT10_ENKUlT_T0_E_clISt17integral_constantIbLb0EES1A_IbLb1EEEEDaS16_S17_EUlS16_E_NS1_11comp_targetILNS1_3genE0ELNS1_11target_archE4294967295ELNS1_3gpuE0ELNS1_3repE0EEENS1_30default_config_static_selectorELNS0_4arch9wavefront6targetE0EEEvT1_.uses_vcc, 0
	.set _ZN7rocprim17ROCPRIM_400000_NS6detail17trampoline_kernelINS0_14default_configENS1_25partition_config_selectorILNS1_17partition_subalgoE6ExNS0_10empty_typeEbEEZZNS1_14partition_implILS5_6ELb0ES3_mN6thrust23THRUST_200600_302600_NS6detail15normal_iteratorINSA_10device_ptrIxEEEEPS6_SG_NS0_5tupleIJNSA_16discard_iteratorINSA_11use_defaultEEES6_EEENSH_IJSG_SG_EEES6_PlJNSB_9not_fun_tINSB_14equal_to_valueIxEEEEEEE10hipError_tPvRmT3_T4_T5_T6_T7_T9_mT8_P12ihipStream_tbDpT10_ENKUlT_T0_E_clISt17integral_constantIbLb0EES1A_IbLb1EEEEDaS16_S17_EUlS16_E_NS1_11comp_targetILNS1_3genE0ELNS1_11target_archE4294967295ELNS1_3gpuE0ELNS1_3repE0EEENS1_30default_config_static_selectorELNS0_4arch9wavefront6targetE0EEEvT1_.uses_flat_scratch, 0
	.set _ZN7rocprim17ROCPRIM_400000_NS6detail17trampoline_kernelINS0_14default_configENS1_25partition_config_selectorILNS1_17partition_subalgoE6ExNS0_10empty_typeEbEEZZNS1_14partition_implILS5_6ELb0ES3_mN6thrust23THRUST_200600_302600_NS6detail15normal_iteratorINSA_10device_ptrIxEEEEPS6_SG_NS0_5tupleIJNSA_16discard_iteratorINSA_11use_defaultEEES6_EEENSH_IJSG_SG_EEES6_PlJNSB_9not_fun_tINSB_14equal_to_valueIxEEEEEEE10hipError_tPvRmT3_T4_T5_T6_T7_T9_mT8_P12ihipStream_tbDpT10_ENKUlT_T0_E_clISt17integral_constantIbLb0EES1A_IbLb1EEEEDaS16_S17_EUlS16_E_NS1_11comp_targetILNS1_3genE0ELNS1_11target_archE4294967295ELNS1_3gpuE0ELNS1_3repE0EEENS1_30default_config_static_selectorELNS0_4arch9wavefront6targetE0EEEvT1_.has_dyn_sized_stack, 0
	.set _ZN7rocprim17ROCPRIM_400000_NS6detail17trampoline_kernelINS0_14default_configENS1_25partition_config_selectorILNS1_17partition_subalgoE6ExNS0_10empty_typeEbEEZZNS1_14partition_implILS5_6ELb0ES3_mN6thrust23THRUST_200600_302600_NS6detail15normal_iteratorINSA_10device_ptrIxEEEEPS6_SG_NS0_5tupleIJNSA_16discard_iteratorINSA_11use_defaultEEES6_EEENSH_IJSG_SG_EEES6_PlJNSB_9not_fun_tINSB_14equal_to_valueIxEEEEEEE10hipError_tPvRmT3_T4_T5_T6_T7_T9_mT8_P12ihipStream_tbDpT10_ENKUlT_T0_E_clISt17integral_constantIbLb0EES1A_IbLb1EEEEDaS16_S17_EUlS16_E_NS1_11comp_targetILNS1_3genE0ELNS1_11target_archE4294967295ELNS1_3gpuE0ELNS1_3repE0EEENS1_30default_config_static_selectorELNS0_4arch9wavefront6targetE0EEEvT1_.has_recursion, 0
	.set _ZN7rocprim17ROCPRIM_400000_NS6detail17trampoline_kernelINS0_14default_configENS1_25partition_config_selectorILNS1_17partition_subalgoE6ExNS0_10empty_typeEbEEZZNS1_14partition_implILS5_6ELb0ES3_mN6thrust23THRUST_200600_302600_NS6detail15normal_iteratorINSA_10device_ptrIxEEEEPS6_SG_NS0_5tupleIJNSA_16discard_iteratorINSA_11use_defaultEEES6_EEENSH_IJSG_SG_EEES6_PlJNSB_9not_fun_tINSB_14equal_to_valueIxEEEEEEE10hipError_tPvRmT3_T4_T5_T6_T7_T9_mT8_P12ihipStream_tbDpT10_ENKUlT_T0_E_clISt17integral_constantIbLb0EES1A_IbLb1EEEEDaS16_S17_EUlS16_E_NS1_11comp_targetILNS1_3genE0ELNS1_11target_archE4294967295ELNS1_3gpuE0ELNS1_3repE0EEENS1_30default_config_static_selectorELNS0_4arch9wavefront6targetE0EEEvT1_.has_indirect_call, 0
	.section	.AMDGPU.csdata,"",@progbits
; Kernel info:
; codeLenInByte = 0
; TotalNumSgprs: 0
; NumVgprs: 0
; ScratchSize: 0
; MemoryBound: 0
; FloatMode: 240
; IeeeMode: 1
; LDSByteSize: 0 bytes/workgroup (compile time only)
; SGPRBlocks: 0
; VGPRBlocks: 0
; NumSGPRsForWavesPerEU: 1
; NumVGPRsForWavesPerEU: 1
; Occupancy: 16
; WaveLimiterHint : 0
; COMPUTE_PGM_RSRC2:SCRATCH_EN: 0
; COMPUTE_PGM_RSRC2:USER_SGPR: 2
; COMPUTE_PGM_RSRC2:TRAP_HANDLER: 0
; COMPUTE_PGM_RSRC2:TGID_X_EN: 1
; COMPUTE_PGM_RSRC2:TGID_Y_EN: 0
; COMPUTE_PGM_RSRC2:TGID_Z_EN: 0
; COMPUTE_PGM_RSRC2:TIDIG_COMP_CNT: 0
	.section	.text._ZN7rocprim17ROCPRIM_400000_NS6detail17trampoline_kernelINS0_14default_configENS1_25partition_config_selectorILNS1_17partition_subalgoE6ExNS0_10empty_typeEbEEZZNS1_14partition_implILS5_6ELb0ES3_mN6thrust23THRUST_200600_302600_NS6detail15normal_iteratorINSA_10device_ptrIxEEEEPS6_SG_NS0_5tupleIJNSA_16discard_iteratorINSA_11use_defaultEEES6_EEENSH_IJSG_SG_EEES6_PlJNSB_9not_fun_tINSB_14equal_to_valueIxEEEEEEE10hipError_tPvRmT3_T4_T5_T6_T7_T9_mT8_P12ihipStream_tbDpT10_ENKUlT_T0_E_clISt17integral_constantIbLb0EES1A_IbLb1EEEEDaS16_S17_EUlS16_E_NS1_11comp_targetILNS1_3genE5ELNS1_11target_archE942ELNS1_3gpuE9ELNS1_3repE0EEENS1_30default_config_static_selectorELNS0_4arch9wavefront6targetE0EEEvT1_,"axG",@progbits,_ZN7rocprim17ROCPRIM_400000_NS6detail17trampoline_kernelINS0_14default_configENS1_25partition_config_selectorILNS1_17partition_subalgoE6ExNS0_10empty_typeEbEEZZNS1_14partition_implILS5_6ELb0ES3_mN6thrust23THRUST_200600_302600_NS6detail15normal_iteratorINSA_10device_ptrIxEEEEPS6_SG_NS0_5tupleIJNSA_16discard_iteratorINSA_11use_defaultEEES6_EEENSH_IJSG_SG_EEES6_PlJNSB_9not_fun_tINSB_14equal_to_valueIxEEEEEEE10hipError_tPvRmT3_T4_T5_T6_T7_T9_mT8_P12ihipStream_tbDpT10_ENKUlT_T0_E_clISt17integral_constantIbLb0EES1A_IbLb1EEEEDaS16_S17_EUlS16_E_NS1_11comp_targetILNS1_3genE5ELNS1_11target_archE942ELNS1_3gpuE9ELNS1_3repE0EEENS1_30default_config_static_selectorELNS0_4arch9wavefront6targetE0EEEvT1_,comdat
	.protected	_ZN7rocprim17ROCPRIM_400000_NS6detail17trampoline_kernelINS0_14default_configENS1_25partition_config_selectorILNS1_17partition_subalgoE6ExNS0_10empty_typeEbEEZZNS1_14partition_implILS5_6ELb0ES3_mN6thrust23THRUST_200600_302600_NS6detail15normal_iteratorINSA_10device_ptrIxEEEEPS6_SG_NS0_5tupleIJNSA_16discard_iteratorINSA_11use_defaultEEES6_EEENSH_IJSG_SG_EEES6_PlJNSB_9not_fun_tINSB_14equal_to_valueIxEEEEEEE10hipError_tPvRmT3_T4_T5_T6_T7_T9_mT8_P12ihipStream_tbDpT10_ENKUlT_T0_E_clISt17integral_constantIbLb0EES1A_IbLb1EEEEDaS16_S17_EUlS16_E_NS1_11comp_targetILNS1_3genE5ELNS1_11target_archE942ELNS1_3gpuE9ELNS1_3repE0EEENS1_30default_config_static_selectorELNS0_4arch9wavefront6targetE0EEEvT1_ ; -- Begin function _ZN7rocprim17ROCPRIM_400000_NS6detail17trampoline_kernelINS0_14default_configENS1_25partition_config_selectorILNS1_17partition_subalgoE6ExNS0_10empty_typeEbEEZZNS1_14partition_implILS5_6ELb0ES3_mN6thrust23THRUST_200600_302600_NS6detail15normal_iteratorINSA_10device_ptrIxEEEEPS6_SG_NS0_5tupleIJNSA_16discard_iteratorINSA_11use_defaultEEES6_EEENSH_IJSG_SG_EEES6_PlJNSB_9not_fun_tINSB_14equal_to_valueIxEEEEEEE10hipError_tPvRmT3_T4_T5_T6_T7_T9_mT8_P12ihipStream_tbDpT10_ENKUlT_T0_E_clISt17integral_constantIbLb0EES1A_IbLb1EEEEDaS16_S17_EUlS16_E_NS1_11comp_targetILNS1_3genE5ELNS1_11target_archE942ELNS1_3gpuE9ELNS1_3repE0EEENS1_30default_config_static_selectorELNS0_4arch9wavefront6targetE0EEEvT1_
	.globl	_ZN7rocprim17ROCPRIM_400000_NS6detail17trampoline_kernelINS0_14default_configENS1_25partition_config_selectorILNS1_17partition_subalgoE6ExNS0_10empty_typeEbEEZZNS1_14partition_implILS5_6ELb0ES3_mN6thrust23THRUST_200600_302600_NS6detail15normal_iteratorINSA_10device_ptrIxEEEEPS6_SG_NS0_5tupleIJNSA_16discard_iteratorINSA_11use_defaultEEES6_EEENSH_IJSG_SG_EEES6_PlJNSB_9not_fun_tINSB_14equal_to_valueIxEEEEEEE10hipError_tPvRmT3_T4_T5_T6_T7_T9_mT8_P12ihipStream_tbDpT10_ENKUlT_T0_E_clISt17integral_constantIbLb0EES1A_IbLb1EEEEDaS16_S17_EUlS16_E_NS1_11comp_targetILNS1_3genE5ELNS1_11target_archE942ELNS1_3gpuE9ELNS1_3repE0EEENS1_30default_config_static_selectorELNS0_4arch9wavefront6targetE0EEEvT1_
	.p2align	8
	.type	_ZN7rocprim17ROCPRIM_400000_NS6detail17trampoline_kernelINS0_14default_configENS1_25partition_config_selectorILNS1_17partition_subalgoE6ExNS0_10empty_typeEbEEZZNS1_14partition_implILS5_6ELb0ES3_mN6thrust23THRUST_200600_302600_NS6detail15normal_iteratorINSA_10device_ptrIxEEEEPS6_SG_NS0_5tupleIJNSA_16discard_iteratorINSA_11use_defaultEEES6_EEENSH_IJSG_SG_EEES6_PlJNSB_9not_fun_tINSB_14equal_to_valueIxEEEEEEE10hipError_tPvRmT3_T4_T5_T6_T7_T9_mT8_P12ihipStream_tbDpT10_ENKUlT_T0_E_clISt17integral_constantIbLb0EES1A_IbLb1EEEEDaS16_S17_EUlS16_E_NS1_11comp_targetILNS1_3genE5ELNS1_11target_archE942ELNS1_3gpuE9ELNS1_3repE0EEENS1_30default_config_static_selectorELNS0_4arch9wavefront6targetE0EEEvT1_,@function
_ZN7rocprim17ROCPRIM_400000_NS6detail17trampoline_kernelINS0_14default_configENS1_25partition_config_selectorILNS1_17partition_subalgoE6ExNS0_10empty_typeEbEEZZNS1_14partition_implILS5_6ELb0ES3_mN6thrust23THRUST_200600_302600_NS6detail15normal_iteratorINSA_10device_ptrIxEEEEPS6_SG_NS0_5tupleIJNSA_16discard_iteratorINSA_11use_defaultEEES6_EEENSH_IJSG_SG_EEES6_PlJNSB_9not_fun_tINSB_14equal_to_valueIxEEEEEEE10hipError_tPvRmT3_T4_T5_T6_T7_T9_mT8_P12ihipStream_tbDpT10_ENKUlT_T0_E_clISt17integral_constantIbLb0EES1A_IbLb1EEEEDaS16_S17_EUlS16_E_NS1_11comp_targetILNS1_3genE5ELNS1_11target_archE942ELNS1_3gpuE9ELNS1_3repE0EEENS1_30default_config_static_selectorELNS0_4arch9wavefront6targetE0EEEvT1_: ; @_ZN7rocprim17ROCPRIM_400000_NS6detail17trampoline_kernelINS0_14default_configENS1_25partition_config_selectorILNS1_17partition_subalgoE6ExNS0_10empty_typeEbEEZZNS1_14partition_implILS5_6ELb0ES3_mN6thrust23THRUST_200600_302600_NS6detail15normal_iteratorINSA_10device_ptrIxEEEEPS6_SG_NS0_5tupleIJNSA_16discard_iteratorINSA_11use_defaultEEES6_EEENSH_IJSG_SG_EEES6_PlJNSB_9not_fun_tINSB_14equal_to_valueIxEEEEEEE10hipError_tPvRmT3_T4_T5_T6_T7_T9_mT8_P12ihipStream_tbDpT10_ENKUlT_T0_E_clISt17integral_constantIbLb0EES1A_IbLb1EEEEDaS16_S17_EUlS16_E_NS1_11comp_targetILNS1_3genE5ELNS1_11target_archE942ELNS1_3gpuE9ELNS1_3repE0EEENS1_30default_config_static_selectorELNS0_4arch9wavefront6targetE0EEEvT1_
; %bb.0:
	.section	.rodata,"a",@progbits
	.p2align	6, 0x0
	.amdhsa_kernel _ZN7rocprim17ROCPRIM_400000_NS6detail17trampoline_kernelINS0_14default_configENS1_25partition_config_selectorILNS1_17partition_subalgoE6ExNS0_10empty_typeEbEEZZNS1_14partition_implILS5_6ELb0ES3_mN6thrust23THRUST_200600_302600_NS6detail15normal_iteratorINSA_10device_ptrIxEEEEPS6_SG_NS0_5tupleIJNSA_16discard_iteratorINSA_11use_defaultEEES6_EEENSH_IJSG_SG_EEES6_PlJNSB_9not_fun_tINSB_14equal_to_valueIxEEEEEEE10hipError_tPvRmT3_T4_T5_T6_T7_T9_mT8_P12ihipStream_tbDpT10_ENKUlT_T0_E_clISt17integral_constantIbLb0EES1A_IbLb1EEEEDaS16_S17_EUlS16_E_NS1_11comp_targetILNS1_3genE5ELNS1_11target_archE942ELNS1_3gpuE9ELNS1_3repE0EEENS1_30default_config_static_selectorELNS0_4arch9wavefront6targetE0EEEvT1_
		.amdhsa_group_segment_fixed_size 0
		.amdhsa_private_segment_fixed_size 0
		.amdhsa_kernarg_size 136
		.amdhsa_user_sgpr_count 2
		.amdhsa_user_sgpr_dispatch_ptr 0
		.amdhsa_user_sgpr_queue_ptr 0
		.amdhsa_user_sgpr_kernarg_segment_ptr 1
		.amdhsa_user_sgpr_dispatch_id 0
		.amdhsa_user_sgpr_private_segment_size 0
		.amdhsa_wavefront_size32 1
		.amdhsa_uses_dynamic_stack 0
		.amdhsa_enable_private_segment 0
		.amdhsa_system_sgpr_workgroup_id_x 1
		.amdhsa_system_sgpr_workgroup_id_y 0
		.amdhsa_system_sgpr_workgroup_id_z 0
		.amdhsa_system_sgpr_workgroup_info 0
		.amdhsa_system_vgpr_workitem_id 0
		.amdhsa_next_free_vgpr 1
		.amdhsa_next_free_sgpr 1
		.amdhsa_reserve_vcc 0
		.amdhsa_float_round_mode_32 0
		.amdhsa_float_round_mode_16_64 0
		.amdhsa_float_denorm_mode_32 3
		.amdhsa_float_denorm_mode_16_64 3
		.amdhsa_fp16_overflow 0
		.amdhsa_workgroup_processor_mode 1
		.amdhsa_memory_ordered 1
		.amdhsa_forward_progress 1
		.amdhsa_inst_pref_size 0
		.amdhsa_round_robin_scheduling 0
		.amdhsa_exception_fp_ieee_invalid_op 0
		.amdhsa_exception_fp_denorm_src 0
		.amdhsa_exception_fp_ieee_div_zero 0
		.amdhsa_exception_fp_ieee_overflow 0
		.amdhsa_exception_fp_ieee_underflow 0
		.amdhsa_exception_fp_ieee_inexact 0
		.amdhsa_exception_int_div_zero 0
	.end_amdhsa_kernel
	.section	.text._ZN7rocprim17ROCPRIM_400000_NS6detail17trampoline_kernelINS0_14default_configENS1_25partition_config_selectorILNS1_17partition_subalgoE6ExNS0_10empty_typeEbEEZZNS1_14partition_implILS5_6ELb0ES3_mN6thrust23THRUST_200600_302600_NS6detail15normal_iteratorINSA_10device_ptrIxEEEEPS6_SG_NS0_5tupleIJNSA_16discard_iteratorINSA_11use_defaultEEES6_EEENSH_IJSG_SG_EEES6_PlJNSB_9not_fun_tINSB_14equal_to_valueIxEEEEEEE10hipError_tPvRmT3_T4_T5_T6_T7_T9_mT8_P12ihipStream_tbDpT10_ENKUlT_T0_E_clISt17integral_constantIbLb0EES1A_IbLb1EEEEDaS16_S17_EUlS16_E_NS1_11comp_targetILNS1_3genE5ELNS1_11target_archE942ELNS1_3gpuE9ELNS1_3repE0EEENS1_30default_config_static_selectorELNS0_4arch9wavefront6targetE0EEEvT1_,"axG",@progbits,_ZN7rocprim17ROCPRIM_400000_NS6detail17trampoline_kernelINS0_14default_configENS1_25partition_config_selectorILNS1_17partition_subalgoE6ExNS0_10empty_typeEbEEZZNS1_14partition_implILS5_6ELb0ES3_mN6thrust23THRUST_200600_302600_NS6detail15normal_iteratorINSA_10device_ptrIxEEEEPS6_SG_NS0_5tupleIJNSA_16discard_iteratorINSA_11use_defaultEEES6_EEENSH_IJSG_SG_EEES6_PlJNSB_9not_fun_tINSB_14equal_to_valueIxEEEEEEE10hipError_tPvRmT3_T4_T5_T6_T7_T9_mT8_P12ihipStream_tbDpT10_ENKUlT_T0_E_clISt17integral_constantIbLb0EES1A_IbLb1EEEEDaS16_S17_EUlS16_E_NS1_11comp_targetILNS1_3genE5ELNS1_11target_archE942ELNS1_3gpuE9ELNS1_3repE0EEENS1_30default_config_static_selectorELNS0_4arch9wavefront6targetE0EEEvT1_,comdat
.Lfunc_end1750:
	.size	_ZN7rocprim17ROCPRIM_400000_NS6detail17trampoline_kernelINS0_14default_configENS1_25partition_config_selectorILNS1_17partition_subalgoE6ExNS0_10empty_typeEbEEZZNS1_14partition_implILS5_6ELb0ES3_mN6thrust23THRUST_200600_302600_NS6detail15normal_iteratorINSA_10device_ptrIxEEEEPS6_SG_NS0_5tupleIJNSA_16discard_iteratorINSA_11use_defaultEEES6_EEENSH_IJSG_SG_EEES6_PlJNSB_9not_fun_tINSB_14equal_to_valueIxEEEEEEE10hipError_tPvRmT3_T4_T5_T6_T7_T9_mT8_P12ihipStream_tbDpT10_ENKUlT_T0_E_clISt17integral_constantIbLb0EES1A_IbLb1EEEEDaS16_S17_EUlS16_E_NS1_11comp_targetILNS1_3genE5ELNS1_11target_archE942ELNS1_3gpuE9ELNS1_3repE0EEENS1_30default_config_static_selectorELNS0_4arch9wavefront6targetE0EEEvT1_, .Lfunc_end1750-_ZN7rocprim17ROCPRIM_400000_NS6detail17trampoline_kernelINS0_14default_configENS1_25partition_config_selectorILNS1_17partition_subalgoE6ExNS0_10empty_typeEbEEZZNS1_14partition_implILS5_6ELb0ES3_mN6thrust23THRUST_200600_302600_NS6detail15normal_iteratorINSA_10device_ptrIxEEEEPS6_SG_NS0_5tupleIJNSA_16discard_iteratorINSA_11use_defaultEEES6_EEENSH_IJSG_SG_EEES6_PlJNSB_9not_fun_tINSB_14equal_to_valueIxEEEEEEE10hipError_tPvRmT3_T4_T5_T6_T7_T9_mT8_P12ihipStream_tbDpT10_ENKUlT_T0_E_clISt17integral_constantIbLb0EES1A_IbLb1EEEEDaS16_S17_EUlS16_E_NS1_11comp_targetILNS1_3genE5ELNS1_11target_archE942ELNS1_3gpuE9ELNS1_3repE0EEENS1_30default_config_static_selectorELNS0_4arch9wavefront6targetE0EEEvT1_
                                        ; -- End function
	.set _ZN7rocprim17ROCPRIM_400000_NS6detail17trampoline_kernelINS0_14default_configENS1_25partition_config_selectorILNS1_17partition_subalgoE6ExNS0_10empty_typeEbEEZZNS1_14partition_implILS5_6ELb0ES3_mN6thrust23THRUST_200600_302600_NS6detail15normal_iteratorINSA_10device_ptrIxEEEEPS6_SG_NS0_5tupleIJNSA_16discard_iteratorINSA_11use_defaultEEES6_EEENSH_IJSG_SG_EEES6_PlJNSB_9not_fun_tINSB_14equal_to_valueIxEEEEEEE10hipError_tPvRmT3_T4_T5_T6_T7_T9_mT8_P12ihipStream_tbDpT10_ENKUlT_T0_E_clISt17integral_constantIbLb0EES1A_IbLb1EEEEDaS16_S17_EUlS16_E_NS1_11comp_targetILNS1_3genE5ELNS1_11target_archE942ELNS1_3gpuE9ELNS1_3repE0EEENS1_30default_config_static_selectorELNS0_4arch9wavefront6targetE0EEEvT1_.num_vgpr, 0
	.set _ZN7rocprim17ROCPRIM_400000_NS6detail17trampoline_kernelINS0_14default_configENS1_25partition_config_selectorILNS1_17partition_subalgoE6ExNS0_10empty_typeEbEEZZNS1_14partition_implILS5_6ELb0ES3_mN6thrust23THRUST_200600_302600_NS6detail15normal_iteratorINSA_10device_ptrIxEEEEPS6_SG_NS0_5tupleIJNSA_16discard_iteratorINSA_11use_defaultEEES6_EEENSH_IJSG_SG_EEES6_PlJNSB_9not_fun_tINSB_14equal_to_valueIxEEEEEEE10hipError_tPvRmT3_T4_T5_T6_T7_T9_mT8_P12ihipStream_tbDpT10_ENKUlT_T0_E_clISt17integral_constantIbLb0EES1A_IbLb1EEEEDaS16_S17_EUlS16_E_NS1_11comp_targetILNS1_3genE5ELNS1_11target_archE942ELNS1_3gpuE9ELNS1_3repE0EEENS1_30default_config_static_selectorELNS0_4arch9wavefront6targetE0EEEvT1_.num_agpr, 0
	.set _ZN7rocprim17ROCPRIM_400000_NS6detail17trampoline_kernelINS0_14default_configENS1_25partition_config_selectorILNS1_17partition_subalgoE6ExNS0_10empty_typeEbEEZZNS1_14partition_implILS5_6ELb0ES3_mN6thrust23THRUST_200600_302600_NS6detail15normal_iteratorINSA_10device_ptrIxEEEEPS6_SG_NS0_5tupleIJNSA_16discard_iteratorINSA_11use_defaultEEES6_EEENSH_IJSG_SG_EEES6_PlJNSB_9not_fun_tINSB_14equal_to_valueIxEEEEEEE10hipError_tPvRmT3_T4_T5_T6_T7_T9_mT8_P12ihipStream_tbDpT10_ENKUlT_T0_E_clISt17integral_constantIbLb0EES1A_IbLb1EEEEDaS16_S17_EUlS16_E_NS1_11comp_targetILNS1_3genE5ELNS1_11target_archE942ELNS1_3gpuE9ELNS1_3repE0EEENS1_30default_config_static_selectorELNS0_4arch9wavefront6targetE0EEEvT1_.numbered_sgpr, 0
	.set _ZN7rocprim17ROCPRIM_400000_NS6detail17trampoline_kernelINS0_14default_configENS1_25partition_config_selectorILNS1_17partition_subalgoE6ExNS0_10empty_typeEbEEZZNS1_14partition_implILS5_6ELb0ES3_mN6thrust23THRUST_200600_302600_NS6detail15normal_iteratorINSA_10device_ptrIxEEEEPS6_SG_NS0_5tupleIJNSA_16discard_iteratorINSA_11use_defaultEEES6_EEENSH_IJSG_SG_EEES6_PlJNSB_9not_fun_tINSB_14equal_to_valueIxEEEEEEE10hipError_tPvRmT3_T4_T5_T6_T7_T9_mT8_P12ihipStream_tbDpT10_ENKUlT_T0_E_clISt17integral_constantIbLb0EES1A_IbLb1EEEEDaS16_S17_EUlS16_E_NS1_11comp_targetILNS1_3genE5ELNS1_11target_archE942ELNS1_3gpuE9ELNS1_3repE0EEENS1_30default_config_static_selectorELNS0_4arch9wavefront6targetE0EEEvT1_.num_named_barrier, 0
	.set _ZN7rocprim17ROCPRIM_400000_NS6detail17trampoline_kernelINS0_14default_configENS1_25partition_config_selectorILNS1_17partition_subalgoE6ExNS0_10empty_typeEbEEZZNS1_14partition_implILS5_6ELb0ES3_mN6thrust23THRUST_200600_302600_NS6detail15normal_iteratorINSA_10device_ptrIxEEEEPS6_SG_NS0_5tupleIJNSA_16discard_iteratorINSA_11use_defaultEEES6_EEENSH_IJSG_SG_EEES6_PlJNSB_9not_fun_tINSB_14equal_to_valueIxEEEEEEE10hipError_tPvRmT3_T4_T5_T6_T7_T9_mT8_P12ihipStream_tbDpT10_ENKUlT_T0_E_clISt17integral_constantIbLb0EES1A_IbLb1EEEEDaS16_S17_EUlS16_E_NS1_11comp_targetILNS1_3genE5ELNS1_11target_archE942ELNS1_3gpuE9ELNS1_3repE0EEENS1_30default_config_static_selectorELNS0_4arch9wavefront6targetE0EEEvT1_.private_seg_size, 0
	.set _ZN7rocprim17ROCPRIM_400000_NS6detail17trampoline_kernelINS0_14default_configENS1_25partition_config_selectorILNS1_17partition_subalgoE6ExNS0_10empty_typeEbEEZZNS1_14partition_implILS5_6ELb0ES3_mN6thrust23THRUST_200600_302600_NS6detail15normal_iteratorINSA_10device_ptrIxEEEEPS6_SG_NS0_5tupleIJNSA_16discard_iteratorINSA_11use_defaultEEES6_EEENSH_IJSG_SG_EEES6_PlJNSB_9not_fun_tINSB_14equal_to_valueIxEEEEEEE10hipError_tPvRmT3_T4_T5_T6_T7_T9_mT8_P12ihipStream_tbDpT10_ENKUlT_T0_E_clISt17integral_constantIbLb0EES1A_IbLb1EEEEDaS16_S17_EUlS16_E_NS1_11comp_targetILNS1_3genE5ELNS1_11target_archE942ELNS1_3gpuE9ELNS1_3repE0EEENS1_30default_config_static_selectorELNS0_4arch9wavefront6targetE0EEEvT1_.uses_vcc, 0
	.set _ZN7rocprim17ROCPRIM_400000_NS6detail17trampoline_kernelINS0_14default_configENS1_25partition_config_selectorILNS1_17partition_subalgoE6ExNS0_10empty_typeEbEEZZNS1_14partition_implILS5_6ELb0ES3_mN6thrust23THRUST_200600_302600_NS6detail15normal_iteratorINSA_10device_ptrIxEEEEPS6_SG_NS0_5tupleIJNSA_16discard_iteratorINSA_11use_defaultEEES6_EEENSH_IJSG_SG_EEES6_PlJNSB_9not_fun_tINSB_14equal_to_valueIxEEEEEEE10hipError_tPvRmT3_T4_T5_T6_T7_T9_mT8_P12ihipStream_tbDpT10_ENKUlT_T0_E_clISt17integral_constantIbLb0EES1A_IbLb1EEEEDaS16_S17_EUlS16_E_NS1_11comp_targetILNS1_3genE5ELNS1_11target_archE942ELNS1_3gpuE9ELNS1_3repE0EEENS1_30default_config_static_selectorELNS0_4arch9wavefront6targetE0EEEvT1_.uses_flat_scratch, 0
	.set _ZN7rocprim17ROCPRIM_400000_NS6detail17trampoline_kernelINS0_14default_configENS1_25partition_config_selectorILNS1_17partition_subalgoE6ExNS0_10empty_typeEbEEZZNS1_14partition_implILS5_6ELb0ES3_mN6thrust23THRUST_200600_302600_NS6detail15normal_iteratorINSA_10device_ptrIxEEEEPS6_SG_NS0_5tupleIJNSA_16discard_iteratorINSA_11use_defaultEEES6_EEENSH_IJSG_SG_EEES6_PlJNSB_9not_fun_tINSB_14equal_to_valueIxEEEEEEE10hipError_tPvRmT3_T4_T5_T6_T7_T9_mT8_P12ihipStream_tbDpT10_ENKUlT_T0_E_clISt17integral_constantIbLb0EES1A_IbLb1EEEEDaS16_S17_EUlS16_E_NS1_11comp_targetILNS1_3genE5ELNS1_11target_archE942ELNS1_3gpuE9ELNS1_3repE0EEENS1_30default_config_static_selectorELNS0_4arch9wavefront6targetE0EEEvT1_.has_dyn_sized_stack, 0
	.set _ZN7rocprim17ROCPRIM_400000_NS6detail17trampoline_kernelINS0_14default_configENS1_25partition_config_selectorILNS1_17partition_subalgoE6ExNS0_10empty_typeEbEEZZNS1_14partition_implILS5_6ELb0ES3_mN6thrust23THRUST_200600_302600_NS6detail15normal_iteratorINSA_10device_ptrIxEEEEPS6_SG_NS0_5tupleIJNSA_16discard_iteratorINSA_11use_defaultEEES6_EEENSH_IJSG_SG_EEES6_PlJNSB_9not_fun_tINSB_14equal_to_valueIxEEEEEEE10hipError_tPvRmT3_T4_T5_T6_T7_T9_mT8_P12ihipStream_tbDpT10_ENKUlT_T0_E_clISt17integral_constantIbLb0EES1A_IbLb1EEEEDaS16_S17_EUlS16_E_NS1_11comp_targetILNS1_3genE5ELNS1_11target_archE942ELNS1_3gpuE9ELNS1_3repE0EEENS1_30default_config_static_selectorELNS0_4arch9wavefront6targetE0EEEvT1_.has_recursion, 0
	.set _ZN7rocprim17ROCPRIM_400000_NS6detail17trampoline_kernelINS0_14default_configENS1_25partition_config_selectorILNS1_17partition_subalgoE6ExNS0_10empty_typeEbEEZZNS1_14partition_implILS5_6ELb0ES3_mN6thrust23THRUST_200600_302600_NS6detail15normal_iteratorINSA_10device_ptrIxEEEEPS6_SG_NS0_5tupleIJNSA_16discard_iteratorINSA_11use_defaultEEES6_EEENSH_IJSG_SG_EEES6_PlJNSB_9not_fun_tINSB_14equal_to_valueIxEEEEEEE10hipError_tPvRmT3_T4_T5_T6_T7_T9_mT8_P12ihipStream_tbDpT10_ENKUlT_T0_E_clISt17integral_constantIbLb0EES1A_IbLb1EEEEDaS16_S17_EUlS16_E_NS1_11comp_targetILNS1_3genE5ELNS1_11target_archE942ELNS1_3gpuE9ELNS1_3repE0EEENS1_30default_config_static_selectorELNS0_4arch9wavefront6targetE0EEEvT1_.has_indirect_call, 0
	.section	.AMDGPU.csdata,"",@progbits
; Kernel info:
; codeLenInByte = 0
; TotalNumSgprs: 0
; NumVgprs: 0
; ScratchSize: 0
; MemoryBound: 0
; FloatMode: 240
; IeeeMode: 1
; LDSByteSize: 0 bytes/workgroup (compile time only)
; SGPRBlocks: 0
; VGPRBlocks: 0
; NumSGPRsForWavesPerEU: 1
; NumVGPRsForWavesPerEU: 1
; Occupancy: 16
; WaveLimiterHint : 0
; COMPUTE_PGM_RSRC2:SCRATCH_EN: 0
; COMPUTE_PGM_RSRC2:USER_SGPR: 2
; COMPUTE_PGM_RSRC2:TRAP_HANDLER: 0
; COMPUTE_PGM_RSRC2:TGID_X_EN: 1
; COMPUTE_PGM_RSRC2:TGID_Y_EN: 0
; COMPUTE_PGM_RSRC2:TGID_Z_EN: 0
; COMPUTE_PGM_RSRC2:TIDIG_COMP_CNT: 0
	.section	.text._ZN7rocprim17ROCPRIM_400000_NS6detail17trampoline_kernelINS0_14default_configENS1_25partition_config_selectorILNS1_17partition_subalgoE6ExNS0_10empty_typeEbEEZZNS1_14partition_implILS5_6ELb0ES3_mN6thrust23THRUST_200600_302600_NS6detail15normal_iteratorINSA_10device_ptrIxEEEEPS6_SG_NS0_5tupleIJNSA_16discard_iteratorINSA_11use_defaultEEES6_EEENSH_IJSG_SG_EEES6_PlJNSB_9not_fun_tINSB_14equal_to_valueIxEEEEEEE10hipError_tPvRmT3_T4_T5_T6_T7_T9_mT8_P12ihipStream_tbDpT10_ENKUlT_T0_E_clISt17integral_constantIbLb0EES1A_IbLb1EEEEDaS16_S17_EUlS16_E_NS1_11comp_targetILNS1_3genE4ELNS1_11target_archE910ELNS1_3gpuE8ELNS1_3repE0EEENS1_30default_config_static_selectorELNS0_4arch9wavefront6targetE0EEEvT1_,"axG",@progbits,_ZN7rocprim17ROCPRIM_400000_NS6detail17trampoline_kernelINS0_14default_configENS1_25partition_config_selectorILNS1_17partition_subalgoE6ExNS0_10empty_typeEbEEZZNS1_14partition_implILS5_6ELb0ES3_mN6thrust23THRUST_200600_302600_NS6detail15normal_iteratorINSA_10device_ptrIxEEEEPS6_SG_NS0_5tupleIJNSA_16discard_iteratorINSA_11use_defaultEEES6_EEENSH_IJSG_SG_EEES6_PlJNSB_9not_fun_tINSB_14equal_to_valueIxEEEEEEE10hipError_tPvRmT3_T4_T5_T6_T7_T9_mT8_P12ihipStream_tbDpT10_ENKUlT_T0_E_clISt17integral_constantIbLb0EES1A_IbLb1EEEEDaS16_S17_EUlS16_E_NS1_11comp_targetILNS1_3genE4ELNS1_11target_archE910ELNS1_3gpuE8ELNS1_3repE0EEENS1_30default_config_static_selectorELNS0_4arch9wavefront6targetE0EEEvT1_,comdat
	.protected	_ZN7rocprim17ROCPRIM_400000_NS6detail17trampoline_kernelINS0_14default_configENS1_25partition_config_selectorILNS1_17partition_subalgoE6ExNS0_10empty_typeEbEEZZNS1_14partition_implILS5_6ELb0ES3_mN6thrust23THRUST_200600_302600_NS6detail15normal_iteratorINSA_10device_ptrIxEEEEPS6_SG_NS0_5tupleIJNSA_16discard_iteratorINSA_11use_defaultEEES6_EEENSH_IJSG_SG_EEES6_PlJNSB_9not_fun_tINSB_14equal_to_valueIxEEEEEEE10hipError_tPvRmT3_T4_T5_T6_T7_T9_mT8_P12ihipStream_tbDpT10_ENKUlT_T0_E_clISt17integral_constantIbLb0EES1A_IbLb1EEEEDaS16_S17_EUlS16_E_NS1_11comp_targetILNS1_3genE4ELNS1_11target_archE910ELNS1_3gpuE8ELNS1_3repE0EEENS1_30default_config_static_selectorELNS0_4arch9wavefront6targetE0EEEvT1_ ; -- Begin function _ZN7rocprim17ROCPRIM_400000_NS6detail17trampoline_kernelINS0_14default_configENS1_25partition_config_selectorILNS1_17partition_subalgoE6ExNS0_10empty_typeEbEEZZNS1_14partition_implILS5_6ELb0ES3_mN6thrust23THRUST_200600_302600_NS6detail15normal_iteratorINSA_10device_ptrIxEEEEPS6_SG_NS0_5tupleIJNSA_16discard_iteratorINSA_11use_defaultEEES6_EEENSH_IJSG_SG_EEES6_PlJNSB_9not_fun_tINSB_14equal_to_valueIxEEEEEEE10hipError_tPvRmT3_T4_T5_T6_T7_T9_mT8_P12ihipStream_tbDpT10_ENKUlT_T0_E_clISt17integral_constantIbLb0EES1A_IbLb1EEEEDaS16_S17_EUlS16_E_NS1_11comp_targetILNS1_3genE4ELNS1_11target_archE910ELNS1_3gpuE8ELNS1_3repE0EEENS1_30default_config_static_selectorELNS0_4arch9wavefront6targetE0EEEvT1_
	.globl	_ZN7rocprim17ROCPRIM_400000_NS6detail17trampoline_kernelINS0_14default_configENS1_25partition_config_selectorILNS1_17partition_subalgoE6ExNS0_10empty_typeEbEEZZNS1_14partition_implILS5_6ELb0ES3_mN6thrust23THRUST_200600_302600_NS6detail15normal_iteratorINSA_10device_ptrIxEEEEPS6_SG_NS0_5tupleIJNSA_16discard_iteratorINSA_11use_defaultEEES6_EEENSH_IJSG_SG_EEES6_PlJNSB_9not_fun_tINSB_14equal_to_valueIxEEEEEEE10hipError_tPvRmT3_T4_T5_T6_T7_T9_mT8_P12ihipStream_tbDpT10_ENKUlT_T0_E_clISt17integral_constantIbLb0EES1A_IbLb1EEEEDaS16_S17_EUlS16_E_NS1_11comp_targetILNS1_3genE4ELNS1_11target_archE910ELNS1_3gpuE8ELNS1_3repE0EEENS1_30default_config_static_selectorELNS0_4arch9wavefront6targetE0EEEvT1_
	.p2align	8
	.type	_ZN7rocprim17ROCPRIM_400000_NS6detail17trampoline_kernelINS0_14default_configENS1_25partition_config_selectorILNS1_17partition_subalgoE6ExNS0_10empty_typeEbEEZZNS1_14partition_implILS5_6ELb0ES3_mN6thrust23THRUST_200600_302600_NS6detail15normal_iteratorINSA_10device_ptrIxEEEEPS6_SG_NS0_5tupleIJNSA_16discard_iteratorINSA_11use_defaultEEES6_EEENSH_IJSG_SG_EEES6_PlJNSB_9not_fun_tINSB_14equal_to_valueIxEEEEEEE10hipError_tPvRmT3_T4_T5_T6_T7_T9_mT8_P12ihipStream_tbDpT10_ENKUlT_T0_E_clISt17integral_constantIbLb0EES1A_IbLb1EEEEDaS16_S17_EUlS16_E_NS1_11comp_targetILNS1_3genE4ELNS1_11target_archE910ELNS1_3gpuE8ELNS1_3repE0EEENS1_30default_config_static_selectorELNS0_4arch9wavefront6targetE0EEEvT1_,@function
_ZN7rocprim17ROCPRIM_400000_NS6detail17trampoline_kernelINS0_14default_configENS1_25partition_config_selectorILNS1_17partition_subalgoE6ExNS0_10empty_typeEbEEZZNS1_14partition_implILS5_6ELb0ES3_mN6thrust23THRUST_200600_302600_NS6detail15normal_iteratorINSA_10device_ptrIxEEEEPS6_SG_NS0_5tupleIJNSA_16discard_iteratorINSA_11use_defaultEEES6_EEENSH_IJSG_SG_EEES6_PlJNSB_9not_fun_tINSB_14equal_to_valueIxEEEEEEE10hipError_tPvRmT3_T4_T5_T6_T7_T9_mT8_P12ihipStream_tbDpT10_ENKUlT_T0_E_clISt17integral_constantIbLb0EES1A_IbLb1EEEEDaS16_S17_EUlS16_E_NS1_11comp_targetILNS1_3genE4ELNS1_11target_archE910ELNS1_3gpuE8ELNS1_3repE0EEENS1_30default_config_static_selectorELNS0_4arch9wavefront6targetE0EEEvT1_: ; @_ZN7rocprim17ROCPRIM_400000_NS6detail17trampoline_kernelINS0_14default_configENS1_25partition_config_selectorILNS1_17partition_subalgoE6ExNS0_10empty_typeEbEEZZNS1_14partition_implILS5_6ELb0ES3_mN6thrust23THRUST_200600_302600_NS6detail15normal_iteratorINSA_10device_ptrIxEEEEPS6_SG_NS0_5tupleIJNSA_16discard_iteratorINSA_11use_defaultEEES6_EEENSH_IJSG_SG_EEES6_PlJNSB_9not_fun_tINSB_14equal_to_valueIxEEEEEEE10hipError_tPvRmT3_T4_T5_T6_T7_T9_mT8_P12ihipStream_tbDpT10_ENKUlT_T0_E_clISt17integral_constantIbLb0EES1A_IbLb1EEEEDaS16_S17_EUlS16_E_NS1_11comp_targetILNS1_3genE4ELNS1_11target_archE910ELNS1_3gpuE8ELNS1_3repE0EEENS1_30default_config_static_selectorELNS0_4arch9wavefront6targetE0EEEvT1_
; %bb.0:
	.section	.rodata,"a",@progbits
	.p2align	6, 0x0
	.amdhsa_kernel _ZN7rocprim17ROCPRIM_400000_NS6detail17trampoline_kernelINS0_14default_configENS1_25partition_config_selectorILNS1_17partition_subalgoE6ExNS0_10empty_typeEbEEZZNS1_14partition_implILS5_6ELb0ES3_mN6thrust23THRUST_200600_302600_NS6detail15normal_iteratorINSA_10device_ptrIxEEEEPS6_SG_NS0_5tupleIJNSA_16discard_iteratorINSA_11use_defaultEEES6_EEENSH_IJSG_SG_EEES6_PlJNSB_9not_fun_tINSB_14equal_to_valueIxEEEEEEE10hipError_tPvRmT3_T4_T5_T6_T7_T9_mT8_P12ihipStream_tbDpT10_ENKUlT_T0_E_clISt17integral_constantIbLb0EES1A_IbLb1EEEEDaS16_S17_EUlS16_E_NS1_11comp_targetILNS1_3genE4ELNS1_11target_archE910ELNS1_3gpuE8ELNS1_3repE0EEENS1_30default_config_static_selectorELNS0_4arch9wavefront6targetE0EEEvT1_
		.amdhsa_group_segment_fixed_size 0
		.amdhsa_private_segment_fixed_size 0
		.amdhsa_kernarg_size 136
		.amdhsa_user_sgpr_count 2
		.amdhsa_user_sgpr_dispatch_ptr 0
		.amdhsa_user_sgpr_queue_ptr 0
		.amdhsa_user_sgpr_kernarg_segment_ptr 1
		.amdhsa_user_sgpr_dispatch_id 0
		.amdhsa_user_sgpr_private_segment_size 0
		.amdhsa_wavefront_size32 1
		.amdhsa_uses_dynamic_stack 0
		.amdhsa_enable_private_segment 0
		.amdhsa_system_sgpr_workgroup_id_x 1
		.amdhsa_system_sgpr_workgroup_id_y 0
		.amdhsa_system_sgpr_workgroup_id_z 0
		.amdhsa_system_sgpr_workgroup_info 0
		.amdhsa_system_vgpr_workitem_id 0
		.amdhsa_next_free_vgpr 1
		.amdhsa_next_free_sgpr 1
		.amdhsa_reserve_vcc 0
		.amdhsa_float_round_mode_32 0
		.amdhsa_float_round_mode_16_64 0
		.amdhsa_float_denorm_mode_32 3
		.amdhsa_float_denorm_mode_16_64 3
		.amdhsa_fp16_overflow 0
		.amdhsa_workgroup_processor_mode 1
		.amdhsa_memory_ordered 1
		.amdhsa_forward_progress 1
		.amdhsa_inst_pref_size 0
		.amdhsa_round_robin_scheduling 0
		.amdhsa_exception_fp_ieee_invalid_op 0
		.amdhsa_exception_fp_denorm_src 0
		.amdhsa_exception_fp_ieee_div_zero 0
		.amdhsa_exception_fp_ieee_overflow 0
		.amdhsa_exception_fp_ieee_underflow 0
		.amdhsa_exception_fp_ieee_inexact 0
		.amdhsa_exception_int_div_zero 0
	.end_amdhsa_kernel
	.section	.text._ZN7rocprim17ROCPRIM_400000_NS6detail17trampoline_kernelINS0_14default_configENS1_25partition_config_selectorILNS1_17partition_subalgoE6ExNS0_10empty_typeEbEEZZNS1_14partition_implILS5_6ELb0ES3_mN6thrust23THRUST_200600_302600_NS6detail15normal_iteratorINSA_10device_ptrIxEEEEPS6_SG_NS0_5tupleIJNSA_16discard_iteratorINSA_11use_defaultEEES6_EEENSH_IJSG_SG_EEES6_PlJNSB_9not_fun_tINSB_14equal_to_valueIxEEEEEEE10hipError_tPvRmT3_T4_T5_T6_T7_T9_mT8_P12ihipStream_tbDpT10_ENKUlT_T0_E_clISt17integral_constantIbLb0EES1A_IbLb1EEEEDaS16_S17_EUlS16_E_NS1_11comp_targetILNS1_3genE4ELNS1_11target_archE910ELNS1_3gpuE8ELNS1_3repE0EEENS1_30default_config_static_selectorELNS0_4arch9wavefront6targetE0EEEvT1_,"axG",@progbits,_ZN7rocprim17ROCPRIM_400000_NS6detail17trampoline_kernelINS0_14default_configENS1_25partition_config_selectorILNS1_17partition_subalgoE6ExNS0_10empty_typeEbEEZZNS1_14partition_implILS5_6ELb0ES3_mN6thrust23THRUST_200600_302600_NS6detail15normal_iteratorINSA_10device_ptrIxEEEEPS6_SG_NS0_5tupleIJNSA_16discard_iteratorINSA_11use_defaultEEES6_EEENSH_IJSG_SG_EEES6_PlJNSB_9not_fun_tINSB_14equal_to_valueIxEEEEEEE10hipError_tPvRmT3_T4_T5_T6_T7_T9_mT8_P12ihipStream_tbDpT10_ENKUlT_T0_E_clISt17integral_constantIbLb0EES1A_IbLb1EEEEDaS16_S17_EUlS16_E_NS1_11comp_targetILNS1_3genE4ELNS1_11target_archE910ELNS1_3gpuE8ELNS1_3repE0EEENS1_30default_config_static_selectorELNS0_4arch9wavefront6targetE0EEEvT1_,comdat
.Lfunc_end1751:
	.size	_ZN7rocprim17ROCPRIM_400000_NS6detail17trampoline_kernelINS0_14default_configENS1_25partition_config_selectorILNS1_17partition_subalgoE6ExNS0_10empty_typeEbEEZZNS1_14partition_implILS5_6ELb0ES3_mN6thrust23THRUST_200600_302600_NS6detail15normal_iteratorINSA_10device_ptrIxEEEEPS6_SG_NS0_5tupleIJNSA_16discard_iteratorINSA_11use_defaultEEES6_EEENSH_IJSG_SG_EEES6_PlJNSB_9not_fun_tINSB_14equal_to_valueIxEEEEEEE10hipError_tPvRmT3_T4_T5_T6_T7_T9_mT8_P12ihipStream_tbDpT10_ENKUlT_T0_E_clISt17integral_constantIbLb0EES1A_IbLb1EEEEDaS16_S17_EUlS16_E_NS1_11comp_targetILNS1_3genE4ELNS1_11target_archE910ELNS1_3gpuE8ELNS1_3repE0EEENS1_30default_config_static_selectorELNS0_4arch9wavefront6targetE0EEEvT1_, .Lfunc_end1751-_ZN7rocprim17ROCPRIM_400000_NS6detail17trampoline_kernelINS0_14default_configENS1_25partition_config_selectorILNS1_17partition_subalgoE6ExNS0_10empty_typeEbEEZZNS1_14partition_implILS5_6ELb0ES3_mN6thrust23THRUST_200600_302600_NS6detail15normal_iteratorINSA_10device_ptrIxEEEEPS6_SG_NS0_5tupleIJNSA_16discard_iteratorINSA_11use_defaultEEES6_EEENSH_IJSG_SG_EEES6_PlJNSB_9not_fun_tINSB_14equal_to_valueIxEEEEEEE10hipError_tPvRmT3_T4_T5_T6_T7_T9_mT8_P12ihipStream_tbDpT10_ENKUlT_T0_E_clISt17integral_constantIbLb0EES1A_IbLb1EEEEDaS16_S17_EUlS16_E_NS1_11comp_targetILNS1_3genE4ELNS1_11target_archE910ELNS1_3gpuE8ELNS1_3repE0EEENS1_30default_config_static_selectorELNS0_4arch9wavefront6targetE0EEEvT1_
                                        ; -- End function
	.set _ZN7rocprim17ROCPRIM_400000_NS6detail17trampoline_kernelINS0_14default_configENS1_25partition_config_selectorILNS1_17partition_subalgoE6ExNS0_10empty_typeEbEEZZNS1_14partition_implILS5_6ELb0ES3_mN6thrust23THRUST_200600_302600_NS6detail15normal_iteratorINSA_10device_ptrIxEEEEPS6_SG_NS0_5tupleIJNSA_16discard_iteratorINSA_11use_defaultEEES6_EEENSH_IJSG_SG_EEES6_PlJNSB_9not_fun_tINSB_14equal_to_valueIxEEEEEEE10hipError_tPvRmT3_T4_T5_T6_T7_T9_mT8_P12ihipStream_tbDpT10_ENKUlT_T0_E_clISt17integral_constantIbLb0EES1A_IbLb1EEEEDaS16_S17_EUlS16_E_NS1_11comp_targetILNS1_3genE4ELNS1_11target_archE910ELNS1_3gpuE8ELNS1_3repE0EEENS1_30default_config_static_selectorELNS0_4arch9wavefront6targetE0EEEvT1_.num_vgpr, 0
	.set _ZN7rocprim17ROCPRIM_400000_NS6detail17trampoline_kernelINS0_14default_configENS1_25partition_config_selectorILNS1_17partition_subalgoE6ExNS0_10empty_typeEbEEZZNS1_14partition_implILS5_6ELb0ES3_mN6thrust23THRUST_200600_302600_NS6detail15normal_iteratorINSA_10device_ptrIxEEEEPS6_SG_NS0_5tupleIJNSA_16discard_iteratorINSA_11use_defaultEEES6_EEENSH_IJSG_SG_EEES6_PlJNSB_9not_fun_tINSB_14equal_to_valueIxEEEEEEE10hipError_tPvRmT3_T4_T5_T6_T7_T9_mT8_P12ihipStream_tbDpT10_ENKUlT_T0_E_clISt17integral_constantIbLb0EES1A_IbLb1EEEEDaS16_S17_EUlS16_E_NS1_11comp_targetILNS1_3genE4ELNS1_11target_archE910ELNS1_3gpuE8ELNS1_3repE0EEENS1_30default_config_static_selectorELNS0_4arch9wavefront6targetE0EEEvT1_.num_agpr, 0
	.set _ZN7rocprim17ROCPRIM_400000_NS6detail17trampoline_kernelINS0_14default_configENS1_25partition_config_selectorILNS1_17partition_subalgoE6ExNS0_10empty_typeEbEEZZNS1_14partition_implILS5_6ELb0ES3_mN6thrust23THRUST_200600_302600_NS6detail15normal_iteratorINSA_10device_ptrIxEEEEPS6_SG_NS0_5tupleIJNSA_16discard_iteratorINSA_11use_defaultEEES6_EEENSH_IJSG_SG_EEES6_PlJNSB_9not_fun_tINSB_14equal_to_valueIxEEEEEEE10hipError_tPvRmT3_T4_T5_T6_T7_T9_mT8_P12ihipStream_tbDpT10_ENKUlT_T0_E_clISt17integral_constantIbLb0EES1A_IbLb1EEEEDaS16_S17_EUlS16_E_NS1_11comp_targetILNS1_3genE4ELNS1_11target_archE910ELNS1_3gpuE8ELNS1_3repE0EEENS1_30default_config_static_selectorELNS0_4arch9wavefront6targetE0EEEvT1_.numbered_sgpr, 0
	.set _ZN7rocprim17ROCPRIM_400000_NS6detail17trampoline_kernelINS0_14default_configENS1_25partition_config_selectorILNS1_17partition_subalgoE6ExNS0_10empty_typeEbEEZZNS1_14partition_implILS5_6ELb0ES3_mN6thrust23THRUST_200600_302600_NS6detail15normal_iteratorINSA_10device_ptrIxEEEEPS6_SG_NS0_5tupleIJNSA_16discard_iteratorINSA_11use_defaultEEES6_EEENSH_IJSG_SG_EEES6_PlJNSB_9not_fun_tINSB_14equal_to_valueIxEEEEEEE10hipError_tPvRmT3_T4_T5_T6_T7_T9_mT8_P12ihipStream_tbDpT10_ENKUlT_T0_E_clISt17integral_constantIbLb0EES1A_IbLb1EEEEDaS16_S17_EUlS16_E_NS1_11comp_targetILNS1_3genE4ELNS1_11target_archE910ELNS1_3gpuE8ELNS1_3repE0EEENS1_30default_config_static_selectorELNS0_4arch9wavefront6targetE0EEEvT1_.num_named_barrier, 0
	.set _ZN7rocprim17ROCPRIM_400000_NS6detail17trampoline_kernelINS0_14default_configENS1_25partition_config_selectorILNS1_17partition_subalgoE6ExNS0_10empty_typeEbEEZZNS1_14partition_implILS5_6ELb0ES3_mN6thrust23THRUST_200600_302600_NS6detail15normal_iteratorINSA_10device_ptrIxEEEEPS6_SG_NS0_5tupleIJNSA_16discard_iteratorINSA_11use_defaultEEES6_EEENSH_IJSG_SG_EEES6_PlJNSB_9not_fun_tINSB_14equal_to_valueIxEEEEEEE10hipError_tPvRmT3_T4_T5_T6_T7_T9_mT8_P12ihipStream_tbDpT10_ENKUlT_T0_E_clISt17integral_constantIbLb0EES1A_IbLb1EEEEDaS16_S17_EUlS16_E_NS1_11comp_targetILNS1_3genE4ELNS1_11target_archE910ELNS1_3gpuE8ELNS1_3repE0EEENS1_30default_config_static_selectorELNS0_4arch9wavefront6targetE0EEEvT1_.private_seg_size, 0
	.set _ZN7rocprim17ROCPRIM_400000_NS6detail17trampoline_kernelINS0_14default_configENS1_25partition_config_selectorILNS1_17partition_subalgoE6ExNS0_10empty_typeEbEEZZNS1_14partition_implILS5_6ELb0ES3_mN6thrust23THRUST_200600_302600_NS6detail15normal_iteratorINSA_10device_ptrIxEEEEPS6_SG_NS0_5tupleIJNSA_16discard_iteratorINSA_11use_defaultEEES6_EEENSH_IJSG_SG_EEES6_PlJNSB_9not_fun_tINSB_14equal_to_valueIxEEEEEEE10hipError_tPvRmT3_T4_T5_T6_T7_T9_mT8_P12ihipStream_tbDpT10_ENKUlT_T0_E_clISt17integral_constantIbLb0EES1A_IbLb1EEEEDaS16_S17_EUlS16_E_NS1_11comp_targetILNS1_3genE4ELNS1_11target_archE910ELNS1_3gpuE8ELNS1_3repE0EEENS1_30default_config_static_selectorELNS0_4arch9wavefront6targetE0EEEvT1_.uses_vcc, 0
	.set _ZN7rocprim17ROCPRIM_400000_NS6detail17trampoline_kernelINS0_14default_configENS1_25partition_config_selectorILNS1_17partition_subalgoE6ExNS0_10empty_typeEbEEZZNS1_14partition_implILS5_6ELb0ES3_mN6thrust23THRUST_200600_302600_NS6detail15normal_iteratorINSA_10device_ptrIxEEEEPS6_SG_NS0_5tupleIJNSA_16discard_iteratorINSA_11use_defaultEEES6_EEENSH_IJSG_SG_EEES6_PlJNSB_9not_fun_tINSB_14equal_to_valueIxEEEEEEE10hipError_tPvRmT3_T4_T5_T6_T7_T9_mT8_P12ihipStream_tbDpT10_ENKUlT_T0_E_clISt17integral_constantIbLb0EES1A_IbLb1EEEEDaS16_S17_EUlS16_E_NS1_11comp_targetILNS1_3genE4ELNS1_11target_archE910ELNS1_3gpuE8ELNS1_3repE0EEENS1_30default_config_static_selectorELNS0_4arch9wavefront6targetE0EEEvT1_.uses_flat_scratch, 0
	.set _ZN7rocprim17ROCPRIM_400000_NS6detail17trampoline_kernelINS0_14default_configENS1_25partition_config_selectorILNS1_17partition_subalgoE6ExNS0_10empty_typeEbEEZZNS1_14partition_implILS5_6ELb0ES3_mN6thrust23THRUST_200600_302600_NS6detail15normal_iteratorINSA_10device_ptrIxEEEEPS6_SG_NS0_5tupleIJNSA_16discard_iteratorINSA_11use_defaultEEES6_EEENSH_IJSG_SG_EEES6_PlJNSB_9not_fun_tINSB_14equal_to_valueIxEEEEEEE10hipError_tPvRmT3_T4_T5_T6_T7_T9_mT8_P12ihipStream_tbDpT10_ENKUlT_T0_E_clISt17integral_constantIbLb0EES1A_IbLb1EEEEDaS16_S17_EUlS16_E_NS1_11comp_targetILNS1_3genE4ELNS1_11target_archE910ELNS1_3gpuE8ELNS1_3repE0EEENS1_30default_config_static_selectorELNS0_4arch9wavefront6targetE0EEEvT1_.has_dyn_sized_stack, 0
	.set _ZN7rocprim17ROCPRIM_400000_NS6detail17trampoline_kernelINS0_14default_configENS1_25partition_config_selectorILNS1_17partition_subalgoE6ExNS0_10empty_typeEbEEZZNS1_14partition_implILS5_6ELb0ES3_mN6thrust23THRUST_200600_302600_NS6detail15normal_iteratorINSA_10device_ptrIxEEEEPS6_SG_NS0_5tupleIJNSA_16discard_iteratorINSA_11use_defaultEEES6_EEENSH_IJSG_SG_EEES6_PlJNSB_9not_fun_tINSB_14equal_to_valueIxEEEEEEE10hipError_tPvRmT3_T4_T5_T6_T7_T9_mT8_P12ihipStream_tbDpT10_ENKUlT_T0_E_clISt17integral_constantIbLb0EES1A_IbLb1EEEEDaS16_S17_EUlS16_E_NS1_11comp_targetILNS1_3genE4ELNS1_11target_archE910ELNS1_3gpuE8ELNS1_3repE0EEENS1_30default_config_static_selectorELNS0_4arch9wavefront6targetE0EEEvT1_.has_recursion, 0
	.set _ZN7rocprim17ROCPRIM_400000_NS6detail17trampoline_kernelINS0_14default_configENS1_25partition_config_selectorILNS1_17partition_subalgoE6ExNS0_10empty_typeEbEEZZNS1_14partition_implILS5_6ELb0ES3_mN6thrust23THRUST_200600_302600_NS6detail15normal_iteratorINSA_10device_ptrIxEEEEPS6_SG_NS0_5tupleIJNSA_16discard_iteratorINSA_11use_defaultEEES6_EEENSH_IJSG_SG_EEES6_PlJNSB_9not_fun_tINSB_14equal_to_valueIxEEEEEEE10hipError_tPvRmT3_T4_T5_T6_T7_T9_mT8_P12ihipStream_tbDpT10_ENKUlT_T0_E_clISt17integral_constantIbLb0EES1A_IbLb1EEEEDaS16_S17_EUlS16_E_NS1_11comp_targetILNS1_3genE4ELNS1_11target_archE910ELNS1_3gpuE8ELNS1_3repE0EEENS1_30default_config_static_selectorELNS0_4arch9wavefront6targetE0EEEvT1_.has_indirect_call, 0
	.section	.AMDGPU.csdata,"",@progbits
; Kernel info:
; codeLenInByte = 0
; TotalNumSgprs: 0
; NumVgprs: 0
; ScratchSize: 0
; MemoryBound: 0
; FloatMode: 240
; IeeeMode: 1
; LDSByteSize: 0 bytes/workgroup (compile time only)
; SGPRBlocks: 0
; VGPRBlocks: 0
; NumSGPRsForWavesPerEU: 1
; NumVGPRsForWavesPerEU: 1
; Occupancy: 16
; WaveLimiterHint : 0
; COMPUTE_PGM_RSRC2:SCRATCH_EN: 0
; COMPUTE_PGM_RSRC2:USER_SGPR: 2
; COMPUTE_PGM_RSRC2:TRAP_HANDLER: 0
; COMPUTE_PGM_RSRC2:TGID_X_EN: 1
; COMPUTE_PGM_RSRC2:TGID_Y_EN: 0
; COMPUTE_PGM_RSRC2:TGID_Z_EN: 0
; COMPUTE_PGM_RSRC2:TIDIG_COMP_CNT: 0
	.section	.text._ZN7rocprim17ROCPRIM_400000_NS6detail17trampoline_kernelINS0_14default_configENS1_25partition_config_selectorILNS1_17partition_subalgoE6ExNS0_10empty_typeEbEEZZNS1_14partition_implILS5_6ELb0ES3_mN6thrust23THRUST_200600_302600_NS6detail15normal_iteratorINSA_10device_ptrIxEEEEPS6_SG_NS0_5tupleIJNSA_16discard_iteratorINSA_11use_defaultEEES6_EEENSH_IJSG_SG_EEES6_PlJNSB_9not_fun_tINSB_14equal_to_valueIxEEEEEEE10hipError_tPvRmT3_T4_T5_T6_T7_T9_mT8_P12ihipStream_tbDpT10_ENKUlT_T0_E_clISt17integral_constantIbLb0EES1A_IbLb1EEEEDaS16_S17_EUlS16_E_NS1_11comp_targetILNS1_3genE3ELNS1_11target_archE908ELNS1_3gpuE7ELNS1_3repE0EEENS1_30default_config_static_selectorELNS0_4arch9wavefront6targetE0EEEvT1_,"axG",@progbits,_ZN7rocprim17ROCPRIM_400000_NS6detail17trampoline_kernelINS0_14default_configENS1_25partition_config_selectorILNS1_17partition_subalgoE6ExNS0_10empty_typeEbEEZZNS1_14partition_implILS5_6ELb0ES3_mN6thrust23THRUST_200600_302600_NS6detail15normal_iteratorINSA_10device_ptrIxEEEEPS6_SG_NS0_5tupleIJNSA_16discard_iteratorINSA_11use_defaultEEES6_EEENSH_IJSG_SG_EEES6_PlJNSB_9not_fun_tINSB_14equal_to_valueIxEEEEEEE10hipError_tPvRmT3_T4_T5_T6_T7_T9_mT8_P12ihipStream_tbDpT10_ENKUlT_T0_E_clISt17integral_constantIbLb0EES1A_IbLb1EEEEDaS16_S17_EUlS16_E_NS1_11comp_targetILNS1_3genE3ELNS1_11target_archE908ELNS1_3gpuE7ELNS1_3repE0EEENS1_30default_config_static_selectorELNS0_4arch9wavefront6targetE0EEEvT1_,comdat
	.protected	_ZN7rocprim17ROCPRIM_400000_NS6detail17trampoline_kernelINS0_14default_configENS1_25partition_config_selectorILNS1_17partition_subalgoE6ExNS0_10empty_typeEbEEZZNS1_14partition_implILS5_6ELb0ES3_mN6thrust23THRUST_200600_302600_NS6detail15normal_iteratorINSA_10device_ptrIxEEEEPS6_SG_NS0_5tupleIJNSA_16discard_iteratorINSA_11use_defaultEEES6_EEENSH_IJSG_SG_EEES6_PlJNSB_9not_fun_tINSB_14equal_to_valueIxEEEEEEE10hipError_tPvRmT3_T4_T5_T6_T7_T9_mT8_P12ihipStream_tbDpT10_ENKUlT_T0_E_clISt17integral_constantIbLb0EES1A_IbLb1EEEEDaS16_S17_EUlS16_E_NS1_11comp_targetILNS1_3genE3ELNS1_11target_archE908ELNS1_3gpuE7ELNS1_3repE0EEENS1_30default_config_static_selectorELNS0_4arch9wavefront6targetE0EEEvT1_ ; -- Begin function _ZN7rocprim17ROCPRIM_400000_NS6detail17trampoline_kernelINS0_14default_configENS1_25partition_config_selectorILNS1_17partition_subalgoE6ExNS0_10empty_typeEbEEZZNS1_14partition_implILS5_6ELb0ES3_mN6thrust23THRUST_200600_302600_NS6detail15normal_iteratorINSA_10device_ptrIxEEEEPS6_SG_NS0_5tupleIJNSA_16discard_iteratorINSA_11use_defaultEEES6_EEENSH_IJSG_SG_EEES6_PlJNSB_9not_fun_tINSB_14equal_to_valueIxEEEEEEE10hipError_tPvRmT3_T4_T5_T6_T7_T9_mT8_P12ihipStream_tbDpT10_ENKUlT_T0_E_clISt17integral_constantIbLb0EES1A_IbLb1EEEEDaS16_S17_EUlS16_E_NS1_11comp_targetILNS1_3genE3ELNS1_11target_archE908ELNS1_3gpuE7ELNS1_3repE0EEENS1_30default_config_static_selectorELNS0_4arch9wavefront6targetE0EEEvT1_
	.globl	_ZN7rocprim17ROCPRIM_400000_NS6detail17trampoline_kernelINS0_14default_configENS1_25partition_config_selectorILNS1_17partition_subalgoE6ExNS0_10empty_typeEbEEZZNS1_14partition_implILS5_6ELb0ES3_mN6thrust23THRUST_200600_302600_NS6detail15normal_iteratorINSA_10device_ptrIxEEEEPS6_SG_NS0_5tupleIJNSA_16discard_iteratorINSA_11use_defaultEEES6_EEENSH_IJSG_SG_EEES6_PlJNSB_9not_fun_tINSB_14equal_to_valueIxEEEEEEE10hipError_tPvRmT3_T4_T5_T6_T7_T9_mT8_P12ihipStream_tbDpT10_ENKUlT_T0_E_clISt17integral_constantIbLb0EES1A_IbLb1EEEEDaS16_S17_EUlS16_E_NS1_11comp_targetILNS1_3genE3ELNS1_11target_archE908ELNS1_3gpuE7ELNS1_3repE0EEENS1_30default_config_static_selectorELNS0_4arch9wavefront6targetE0EEEvT1_
	.p2align	8
	.type	_ZN7rocprim17ROCPRIM_400000_NS6detail17trampoline_kernelINS0_14default_configENS1_25partition_config_selectorILNS1_17partition_subalgoE6ExNS0_10empty_typeEbEEZZNS1_14partition_implILS5_6ELb0ES3_mN6thrust23THRUST_200600_302600_NS6detail15normal_iteratorINSA_10device_ptrIxEEEEPS6_SG_NS0_5tupleIJNSA_16discard_iteratorINSA_11use_defaultEEES6_EEENSH_IJSG_SG_EEES6_PlJNSB_9not_fun_tINSB_14equal_to_valueIxEEEEEEE10hipError_tPvRmT3_T4_T5_T6_T7_T9_mT8_P12ihipStream_tbDpT10_ENKUlT_T0_E_clISt17integral_constantIbLb0EES1A_IbLb1EEEEDaS16_S17_EUlS16_E_NS1_11comp_targetILNS1_3genE3ELNS1_11target_archE908ELNS1_3gpuE7ELNS1_3repE0EEENS1_30default_config_static_selectorELNS0_4arch9wavefront6targetE0EEEvT1_,@function
_ZN7rocprim17ROCPRIM_400000_NS6detail17trampoline_kernelINS0_14default_configENS1_25partition_config_selectorILNS1_17partition_subalgoE6ExNS0_10empty_typeEbEEZZNS1_14partition_implILS5_6ELb0ES3_mN6thrust23THRUST_200600_302600_NS6detail15normal_iteratorINSA_10device_ptrIxEEEEPS6_SG_NS0_5tupleIJNSA_16discard_iteratorINSA_11use_defaultEEES6_EEENSH_IJSG_SG_EEES6_PlJNSB_9not_fun_tINSB_14equal_to_valueIxEEEEEEE10hipError_tPvRmT3_T4_T5_T6_T7_T9_mT8_P12ihipStream_tbDpT10_ENKUlT_T0_E_clISt17integral_constantIbLb0EES1A_IbLb1EEEEDaS16_S17_EUlS16_E_NS1_11comp_targetILNS1_3genE3ELNS1_11target_archE908ELNS1_3gpuE7ELNS1_3repE0EEENS1_30default_config_static_selectorELNS0_4arch9wavefront6targetE0EEEvT1_: ; @_ZN7rocprim17ROCPRIM_400000_NS6detail17trampoline_kernelINS0_14default_configENS1_25partition_config_selectorILNS1_17partition_subalgoE6ExNS0_10empty_typeEbEEZZNS1_14partition_implILS5_6ELb0ES3_mN6thrust23THRUST_200600_302600_NS6detail15normal_iteratorINSA_10device_ptrIxEEEEPS6_SG_NS0_5tupleIJNSA_16discard_iteratorINSA_11use_defaultEEES6_EEENSH_IJSG_SG_EEES6_PlJNSB_9not_fun_tINSB_14equal_to_valueIxEEEEEEE10hipError_tPvRmT3_T4_T5_T6_T7_T9_mT8_P12ihipStream_tbDpT10_ENKUlT_T0_E_clISt17integral_constantIbLb0EES1A_IbLb1EEEEDaS16_S17_EUlS16_E_NS1_11comp_targetILNS1_3genE3ELNS1_11target_archE908ELNS1_3gpuE7ELNS1_3repE0EEENS1_30default_config_static_selectorELNS0_4arch9wavefront6targetE0EEEvT1_
; %bb.0:
	.section	.rodata,"a",@progbits
	.p2align	6, 0x0
	.amdhsa_kernel _ZN7rocprim17ROCPRIM_400000_NS6detail17trampoline_kernelINS0_14default_configENS1_25partition_config_selectorILNS1_17partition_subalgoE6ExNS0_10empty_typeEbEEZZNS1_14partition_implILS5_6ELb0ES3_mN6thrust23THRUST_200600_302600_NS6detail15normal_iteratorINSA_10device_ptrIxEEEEPS6_SG_NS0_5tupleIJNSA_16discard_iteratorINSA_11use_defaultEEES6_EEENSH_IJSG_SG_EEES6_PlJNSB_9not_fun_tINSB_14equal_to_valueIxEEEEEEE10hipError_tPvRmT3_T4_T5_T6_T7_T9_mT8_P12ihipStream_tbDpT10_ENKUlT_T0_E_clISt17integral_constantIbLb0EES1A_IbLb1EEEEDaS16_S17_EUlS16_E_NS1_11comp_targetILNS1_3genE3ELNS1_11target_archE908ELNS1_3gpuE7ELNS1_3repE0EEENS1_30default_config_static_selectorELNS0_4arch9wavefront6targetE0EEEvT1_
		.amdhsa_group_segment_fixed_size 0
		.amdhsa_private_segment_fixed_size 0
		.amdhsa_kernarg_size 136
		.amdhsa_user_sgpr_count 2
		.amdhsa_user_sgpr_dispatch_ptr 0
		.amdhsa_user_sgpr_queue_ptr 0
		.amdhsa_user_sgpr_kernarg_segment_ptr 1
		.amdhsa_user_sgpr_dispatch_id 0
		.amdhsa_user_sgpr_private_segment_size 0
		.amdhsa_wavefront_size32 1
		.amdhsa_uses_dynamic_stack 0
		.amdhsa_enable_private_segment 0
		.amdhsa_system_sgpr_workgroup_id_x 1
		.amdhsa_system_sgpr_workgroup_id_y 0
		.amdhsa_system_sgpr_workgroup_id_z 0
		.amdhsa_system_sgpr_workgroup_info 0
		.amdhsa_system_vgpr_workitem_id 0
		.amdhsa_next_free_vgpr 1
		.amdhsa_next_free_sgpr 1
		.amdhsa_reserve_vcc 0
		.amdhsa_float_round_mode_32 0
		.amdhsa_float_round_mode_16_64 0
		.amdhsa_float_denorm_mode_32 3
		.amdhsa_float_denorm_mode_16_64 3
		.amdhsa_fp16_overflow 0
		.amdhsa_workgroup_processor_mode 1
		.amdhsa_memory_ordered 1
		.amdhsa_forward_progress 1
		.amdhsa_inst_pref_size 0
		.amdhsa_round_robin_scheduling 0
		.amdhsa_exception_fp_ieee_invalid_op 0
		.amdhsa_exception_fp_denorm_src 0
		.amdhsa_exception_fp_ieee_div_zero 0
		.amdhsa_exception_fp_ieee_overflow 0
		.amdhsa_exception_fp_ieee_underflow 0
		.amdhsa_exception_fp_ieee_inexact 0
		.amdhsa_exception_int_div_zero 0
	.end_amdhsa_kernel
	.section	.text._ZN7rocprim17ROCPRIM_400000_NS6detail17trampoline_kernelINS0_14default_configENS1_25partition_config_selectorILNS1_17partition_subalgoE6ExNS0_10empty_typeEbEEZZNS1_14partition_implILS5_6ELb0ES3_mN6thrust23THRUST_200600_302600_NS6detail15normal_iteratorINSA_10device_ptrIxEEEEPS6_SG_NS0_5tupleIJNSA_16discard_iteratorINSA_11use_defaultEEES6_EEENSH_IJSG_SG_EEES6_PlJNSB_9not_fun_tINSB_14equal_to_valueIxEEEEEEE10hipError_tPvRmT3_T4_T5_T6_T7_T9_mT8_P12ihipStream_tbDpT10_ENKUlT_T0_E_clISt17integral_constantIbLb0EES1A_IbLb1EEEEDaS16_S17_EUlS16_E_NS1_11comp_targetILNS1_3genE3ELNS1_11target_archE908ELNS1_3gpuE7ELNS1_3repE0EEENS1_30default_config_static_selectorELNS0_4arch9wavefront6targetE0EEEvT1_,"axG",@progbits,_ZN7rocprim17ROCPRIM_400000_NS6detail17trampoline_kernelINS0_14default_configENS1_25partition_config_selectorILNS1_17partition_subalgoE6ExNS0_10empty_typeEbEEZZNS1_14partition_implILS5_6ELb0ES3_mN6thrust23THRUST_200600_302600_NS6detail15normal_iteratorINSA_10device_ptrIxEEEEPS6_SG_NS0_5tupleIJNSA_16discard_iteratorINSA_11use_defaultEEES6_EEENSH_IJSG_SG_EEES6_PlJNSB_9not_fun_tINSB_14equal_to_valueIxEEEEEEE10hipError_tPvRmT3_T4_T5_T6_T7_T9_mT8_P12ihipStream_tbDpT10_ENKUlT_T0_E_clISt17integral_constantIbLb0EES1A_IbLb1EEEEDaS16_S17_EUlS16_E_NS1_11comp_targetILNS1_3genE3ELNS1_11target_archE908ELNS1_3gpuE7ELNS1_3repE0EEENS1_30default_config_static_selectorELNS0_4arch9wavefront6targetE0EEEvT1_,comdat
.Lfunc_end1752:
	.size	_ZN7rocprim17ROCPRIM_400000_NS6detail17trampoline_kernelINS0_14default_configENS1_25partition_config_selectorILNS1_17partition_subalgoE6ExNS0_10empty_typeEbEEZZNS1_14partition_implILS5_6ELb0ES3_mN6thrust23THRUST_200600_302600_NS6detail15normal_iteratorINSA_10device_ptrIxEEEEPS6_SG_NS0_5tupleIJNSA_16discard_iteratorINSA_11use_defaultEEES6_EEENSH_IJSG_SG_EEES6_PlJNSB_9not_fun_tINSB_14equal_to_valueIxEEEEEEE10hipError_tPvRmT3_T4_T5_T6_T7_T9_mT8_P12ihipStream_tbDpT10_ENKUlT_T0_E_clISt17integral_constantIbLb0EES1A_IbLb1EEEEDaS16_S17_EUlS16_E_NS1_11comp_targetILNS1_3genE3ELNS1_11target_archE908ELNS1_3gpuE7ELNS1_3repE0EEENS1_30default_config_static_selectorELNS0_4arch9wavefront6targetE0EEEvT1_, .Lfunc_end1752-_ZN7rocprim17ROCPRIM_400000_NS6detail17trampoline_kernelINS0_14default_configENS1_25partition_config_selectorILNS1_17partition_subalgoE6ExNS0_10empty_typeEbEEZZNS1_14partition_implILS5_6ELb0ES3_mN6thrust23THRUST_200600_302600_NS6detail15normal_iteratorINSA_10device_ptrIxEEEEPS6_SG_NS0_5tupleIJNSA_16discard_iteratorINSA_11use_defaultEEES6_EEENSH_IJSG_SG_EEES6_PlJNSB_9not_fun_tINSB_14equal_to_valueIxEEEEEEE10hipError_tPvRmT3_T4_T5_T6_T7_T9_mT8_P12ihipStream_tbDpT10_ENKUlT_T0_E_clISt17integral_constantIbLb0EES1A_IbLb1EEEEDaS16_S17_EUlS16_E_NS1_11comp_targetILNS1_3genE3ELNS1_11target_archE908ELNS1_3gpuE7ELNS1_3repE0EEENS1_30default_config_static_selectorELNS0_4arch9wavefront6targetE0EEEvT1_
                                        ; -- End function
	.set _ZN7rocprim17ROCPRIM_400000_NS6detail17trampoline_kernelINS0_14default_configENS1_25partition_config_selectorILNS1_17partition_subalgoE6ExNS0_10empty_typeEbEEZZNS1_14partition_implILS5_6ELb0ES3_mN6thrust23THRUST_200600_302600_NS6detail15normal_iteratorINSA_10device_ptrIxEEEEPS6_SG_NS0_5tupleIJNSA_16discard_iteratorINSA_11use_defaultEEES6_EEENSH_IJSG_SG_EEES6_PlJNSB_9not_fun_tINSB_14equal_to_valueIxEEEEEEE10hipError_tPvRmT3_T4_T5_T6_T7_T9_mT8_P12ihipStream_tbDpT10_ENKUlT_T0_E_clISt17integral_constantIbLb0EES1A_IbLb1EEEEDaS16_S17_EUlS16_E_NS1_11comp_targetILNS1_3genE3ELNS1_11target_archE908ELNS1_3gpuE7ELNS1_3repE0EEENS1_30default_config_static_selectorELNS0_4arch9wavefront6targetE0EEEvT1_.num_vgpr, 0
	.set _ZN7rocprim17ROCPRIM_400000_NS6detail17trampoline_kernelINS0_14default_configENS1_25partition_config_selectorILNS1_17partition_subalgoE6ExNS0_10empty_typeEbEEZZNS1_14partition_implILS5_6ELb0ES3_mN6thrust23THRUST_200600_302600_NS6detail15normal_iteratorINSA_10device_ptrIxEEEEPS6_SG_NS0_5tupleIJNSA_16discard_iteratorINSA_11use_defaultEEES6_EEENSH_IJSG_SG_EEES6_PlJNSB_9not_fun_tINSB_14equal_to_valueIxEEEEEEE10hipError_tPvRmT3_T4_T5_T6_T7_T9_mT8_P12ihipStream_tbDpT10_ENKUlT_T0_E_clISt17integral_constantIbLb0EES1A_IbLb1EEEEDaS16_S17_EUlS16_E_NS1_11comp_targetILNS1_3genE3ELNS1_11target_archE908ELNS1_3gpuE7ELNS1_3repE0EEENS1_30default_config_static_selectorELNS0_4arch9wavefront6targetE0EEEvT1_.num_agpr, 0
	.set _ZN7rocprim17ROCPRIM_400000_NS6detail17trampoline_kernelINS0_14default_configENS1_25partition_config_selectorILNS1_17partition_subalgoE6ExNS0_10empty_typeEbEEZZNS1_14partition_implILS5_6ELb0ES3_mN6thrust23THRUST_200600_302600_NS6detail15normal_iteratorINSA_10device_ptrIxEEEEPS6_SG_NS0_5tupleIJNSA_16discard_iteratorINSA_11use_defaultEEES6_EEENSH_IJSG_SG_EEES6_PlJNSB_9not_fun_tINSB_14equal_to_valueIxEEEEEEE10hipError_tPvRmT3_T4_T5_T6_T7_T9_mT8_P12ihipStream_tbDpT10_ENKUlT_T0_E_clISt17integral_constantIbLb0EES1A_IbLb1EEEEDaS16_S17_EUlS16_E_NS1_11comp_targetILNS1_3genE3ELNS1_11target_archE908ELNS1_3gpuE7ELNS1_3repE0EEENS1_30default_config_static_selectorELNS0_4arch9wavefront6targetE0EEEvT1_.numbered_sgpr, 0
	.set _ZN7rocprim17ROCPRIM_400000_NS6detail17trampoline_kernelINS0_14default_configENS1_25partition_config_selectorILNS1_17partition_subalgoE6ExNS0_10empty_typeEbEEZZNS1_14partition_implILS5_6ELb0ES3_mN6thrust23THRUST_200600_302600_NS6detail15normal_iteratorINSA_10device_ptrIxEEEEPS6_SG_NS0_5tupleIJNSA_16discard_iteratorINSA_11use_defaultEEES6_EEENSH_IJSG_SG_EEES6_PlJNSB_9not_fun_tINSB_14equal_to_valueIxEEEEEEE10hipError_tPvRmT3_T4_T5_T6_T7_T9_mT8_P12ihipStream_tbDpT10_ENKUlT_T0_E_clISt17integral_constantIbLb0EES1A_IbLb1EEEEDaS16_S17_EUlS16_E_NS1_11comp_targetILNS1_3genE3ELNS1_11target_archE908ELNS1_3gpuE7ELNS1_3repE0EEENS1_30default_config_static_selectorELNS0_4arch9wavefront6targetE0EEEvT1_.num_named_barrier, 0
	.set _ZN7rocprim17ROCPRIM_400000_NS6detail17trampoline_kernelINS0_14default_configENS1_25partition_config_selectorILNS1_17partition_subalgoE6ExNS0_10empty_typeEbEEZZNS1_14partition_implILS5_6ELb0ES3_mN6thrust23THRUST_200600_302600_NS6detail15normal_iteratorINSA_10device_ptrIxEEEEPS6_SG_NS0_5tupleIJNSA_16discard_iteratorINSA_11use_defaultEEES6_EEENSH_IJSG_SG_EEES6_PlJNSB_9not_fun_tINSB_14equal_to_valueIxEEEEEEE10hipError_tPvRmT3_T4_T5_T6_T7_T9_mT8_P12ihipStream_tbDpT10_ENKUlT_T0_E_clISt17integral_constantIbLb0EES1A_IbLb1EEEEDaS16_S17_EUlS16_E_NS1_11comp_targetILNS1_3genE3ELNS1_11target_archE908ELNS1_3gpuE7ELNS1_3repE0EEENS1_30default_config_static_selectorELNS0_4arch9wavefront6targetE0EEEvT1_.private_seg_size, 0
	.set _ZN7rocprim17ROCPRIM_400000_NS6detail17trampoline_kernelINS0_14default_configENS1_25partition_config_selectorILNS1_17partition_subalgoE6ExNS0_10empty_typeEbEEZZNS1_14partition_implILS5_6ELb0ES3_mN6thrust23THRUST_200600_302600_NS6detail15normal_iteratorINSA_10device_ptrIxEEEEPS6_SG_NS0_5tupleIJNSA_16discard_iteratorINSA_11use_defaultEEES6_EEENSH_IJSG_SG_EEES6_PlJNSB_9not_fun_tINSB_14equal_to_valueIxEEEEEEE10hipError_tPvRmT3_T4_T5_T6_T7_T9_mT8_P12ihipStream_tbDpT10_ENKUlT_T0_E_clISt17integral_constantIbLb0EES1A_IbLb1EEEEDaS16_S17_EUlS16_E_NS1_11comp_targetILNS1_3genE3ELNS1_11target_archE908ELNS1_3gpuE7ELNS1_3repE0EEENS1_30default_config_static_selectorELNS0_4arch9wavefront6targetE0EEEvT1_.uses_vcc, 0
	.set _ZN7rocprim17ROCPRIM_400000_NS6detail17trampoline_kernelINS0_14default_configENS1_25partition_config_selectorILNS1_17partition_subalgoE6ExNS0_10empty_typeEbEEZZNS1_14partition_implILS5_6ELb0ES3_mN6thrust23THRUST_200600_302600_NS6detail15normal_iteratorINSA_10device_ptrIxEEEEPS6_SG_NS0_5tupleIJNSA_16discard_iteratorINSA_11use_defaultEEES6_EEENSH_IJSG_SG_EEES6_PlJNSB_9not_fun_tINSB_14equal_to_valueIxEEEEEEE10hipError_tPvRmT3_T4_T5_T6_T7_T9_mT8_P12ihipStream_tbDpT10_ENKUlT_T0_E_clISt17integral_constantIbLb0EES1A_IbLb1EEEEDaS16_S17_EUlS16_E_NS1_11comp_targetILNS1_3genE3ELNS1_11target_archE908ELNS1_3gpuE7ELNS1_3repE0EEENS1_30default_config_static_selectorELNS0_4arch9wavefront6targetE0EEEvT1_.uses_flat_scratch, 0
	.set _ZN7rocprim17ROCPRIM_400000_NS6detail17trampoline_kernelINS0_14default_configENS1_25partition_config_selectorILNS1_17partition_subalgoE6ExNS0_10empty_typeEbEEZZNS1_14partition_implILS5_6ELb0ES3_mN6thrust23THRUST_200600_302600_NS6detail15normal_iteratorINSA_10device_ptrIxEEEEPS6_SG_NS0_5tupleIJNSA_16discard_iteratorINSA_11use_defaultEEES6_EEENSH_IJSG_SG_EEES6_PlJNSB_9not_fun_tINSB_14equal_to_valueIxEEEEEEE10hipError_tPvRmT3_T4_T5_T6_T7_T9_mT8_P12ihipStream_tbDpT10_ENKUlT_T0_E_clISt17integral_constantIbLb0EES1A_IbLb1EEEEDaS16_S17_EUlS16_E_NS1_11comp_targetILNS1_3genE3ELNS1_11target_archE908ELNS1_3gpuE7ELNS1_3repE0EEENS1_30default_config_static_selectorELNS0_4arch9wavefront6targetE0EEEvT1_.has_dyn_sized_stack, 0
	.set _ZN7rocprim17ROCPRIM_400000_NS6detail17trampoline_kernelINS0_14default_configENS1_25partition_config_selectorILNS1_17partition_subalgoE6ExNS0_10empty_typeEbEEZZNS1_14partition_implILS5_6ELb0ES3_mN6thrust23THRUST_200600_302600_NS6detail15normal_iteratorINSA_10device_ptrIxEEEEPS6_SG_NS0_5tupleIJNSA_16discard_iteratorINSA_11use_defaultEEES6_EEENSH_IJSG_SG_EEES6_PlJNSB_9not_fun_tINSB_14equal_to_valueIxEEEEEEE10hipError_tPvRmT3_T4_T5_T6_T7_T9_mT8_P12ihipStream_tbDpT10_ENKUlT_T0_E_clISt17integral_constantIbLb0EES1A_IbLb1EEEEDaS16_S17_EUlS16_E_NS1_11comp_targetILNS1_3genE3ELNS1_11target_archE908ELNS1_3gpuE7ELNS1_3repE0EEENS1_30default_config_static_selectorELNS0_4arch9wavefront6targetE0EEEvT1_.has_recursion, 0
	.set _ZN7rocprim17ROCPRIM_400000_NS6detail17trampoline_kernelINS0_14default_configENS1_25partition_config_selectorILNS1_17partition_subalgoE6ExNS0_10empty_typeEbEEZZNS1_14partition_implILS5_6ELb0ES3_mN6thrust23THRUST_200600_302600_NS6detail15normal_iteratorINSA_10device_ptrIxEEEEPS6_SG_NS0_5tupleIJNSA_16discard_iteratorINSA_11use_defaultEEES6_EEENSH_IJSG_SG_EEES6_PlJNSB_9not_fun_tINSB_14equal_to_valueIxEEEEEEE10hipError_tPvRmT3_T4_T5_T6_T7_T9_mT8_P12ihipStream_tbDpT10_ENKUlT_T0_E_clISt17integral_constantIbLb0EES1A_IbLb1EEEEDaS16_S17_EUlS16_E_NS1_11comp_targetILNS1_3genE3ELNS1_11target_archE908ELNS1_3gpuE7ELNS1_3repE0EEENS1_30default_config_static_selectorELNS0_4arch9wavefront6targetE0EEEvT1_.has_indirect_call, 0
	.section	.AMDGPU.csdata,"",@progbits
; Kernel info:
; codeLenInByte = 0
; TotalNumSgprs: 0
; NumVgprs: 0
; ScratchSize: 0
; MemoryBound: 0
; FloatMode: 240
; IeeeMode: 1
; LDSByteSize: 0 bytes/workgroup (compile time only)
; SGPRBlocks: 0
; VGPRBlocks: 0
; NumSGPRsForWavesPerEU: 1
; NumVGPRsForWavesPerEU: 1
; Occupancy: 16
; WaveLimiterHint : 0
; COMPUTE_PGM_RSRC2:SCRATCH_EN: 0
; COMPUTE_PGM_RSRC2:USER_SGPR: 2
; COMPUTE_PGM_RSRC2:TRAP_HANDLER: 0
; COMPUTE_PGM_RSRC2:TGID_X_EN: 1
; COMPUTE_PGM_RSRC2:TGID_Y_EN: 0
; COMPUTE_PGM_RSRC2:TGID_Z_EN: 0
; COMPUTE_PGM_RSRC2:TIDIG_COMP_CNT: 0
	.section	.text._ZN7rocprim17ROCPRIM_400000_NS6detail17trampoline_kernelINS0_14default_configENS1_25partition_config_selectorILNS1_17partition_subalgoE6ExNS0_10empty_typeEbEEZZNS1_14partition_implILS5_6ELb0ES3_mN6thrust23THRUST_200600_302600_NS6detail15normal_iteratorINSA_10device_ptrIxEEEEPS6_SG_NS0_5tupleIJNSA_16discard_iteratorINSA_11use_defaultEEES6_EEENSH_IJSG_SG_EEES6_PlJNSB_9not_fun_tINSB_14equal_to_valueIxEEEEEEE10hipError_tPvRmT3_T4_T5_T6_T7_T9_mT8_P12ihipStream_tbDpT10_ENKUlT_T0_E_clISt17integral_constantIbLb0EES1A_IbLb1EEEEDaS16_S17_EUlS16_E_NS1_11comp_targetILNS1_3genE2ELNS1_11target_archE906ELNS1_3gpuE6ELNS1_3repE0EEENS1_30default_config_static_selectorELNS0_4arch9wavefront6targetE0EEEvT1_,"axG",@progbits,_ZN7rocprim17ROCPRIM_400000_NS6detail17trampoline_kernelINS0_14default_configENS1_25partition_config_selectorILNS1_17partition_subalgoE6ExNS0_10empty_typeEbEEZZNS1_14partition_implILS5_6ELb0ES3_mN6thrust23THRUST_200600_302600_NS6detail15normal_iteratorINSA_10device_ptrIxEEEEPS6_SG_NS0_5tupleIJNSA_16discard_iteratorINSA_11use_defaultEEES6_EEENSH_IJSG_SG_EEES6_PlJNSB_9not_fun_tINSB_14equal_to_valueIxEEEEEEE10hipError_tPvRmT3_T4_T5_T6_T7_T9_mT8_P12ihipStream_tbDpT10_ENKUlT_T0_E_clISt17integral_constantIbLb0EES1A_IbLb1EEEEDaS16_S17_EUlS16_E_NS1_11comp_targetILNS1_3genE2ELNS1_11target_archE906ELNS1_3gpuE6ELNS1_3repE0EEENS1_30default_config_static_selectorELNS0_4arch9wavefront6targetE0EEEvT1_,comdat
	.protected	_ZN7rocprim17ROCPRIM_400000_NS6detail17trampoline_kernelINS0_14default_configENS1_25partition_config_selectorILNS1_17partition_subalgoE6ExNS0_10empty_typeEbEEZZNS1_14partition_implILS5_6ELb0ES3_mN6thrust23THRUST_200600_302600_NS6detail15normal_iteratorINSA_10device_ptrIxEEEEPS6_SG_NS0_5tupleIJNSA_16discard_iteratorINSA_11use_defaultEEES6_EEENSH_IJSG_SG_EEES6_PlJNSB_9not_fun_tINSB_14equal_to_valueIxEEEEEEE10hipError_tPvRmT3_T4_T5_T6_T7_T9_mT8_P12ihipStream_tbDpT10_ENKUlT_T0_E_clISt17integral_constantIbLb0EES1A_IbLb1EEEEDaS16_S17_EUlS16_E_NS1_11comp_targetILNS1_3genE2ELNS1_11target_archE906ELNS1_3gpuE6ELNS1_3repE0EEENS1_30default_config_static_selectorELNS0_4arch9wavefront6targetE0EEEvT1_ ; -- Begin function _ZN7rocprim17ROCPRIM_400000_NS6detail17trampoline_kernelINS0_14default_configENS1_25partition_config_selectorILNS1_17partition_subalgoE6ExNS0_10empty_typeEbEEZZNS1_14partition_implILS5_6ELb0ES3_mN6thrust23THRUST_200600_302600_NS6detail15normal_iteratorINSA_10device_ptrIxEEEEPS6_SG_NS0_5tupleIJNSA_16discard_iteratorINSA_11use_defaultEEES6_EEENSH_IJSG_SG_EEES6_PlJNSB_9not_fun_tINSB_14equal_to_valueIxEEEEEEE10hipError_tPvRmT3_T4_T5_T6_T7_T9_mT8_P12ihipStream_tbDpT10_ENKUlT_T0_E_clISt17integral_constantIbLb0EES1A_IbLb1EEEEDaS16_S17_EUlS16_E_NS1_11comp_targetILNS1_3genE2ELNS1_11target_archE906ELNS1_3gpuE6ELNS1_3repE0EEENS1_30default_config_static_selectorELNS0_4arch9wavefront6targetE0EEEvT1_
	.globl	_ZN7rocprim17ROCPRIM_400000_NS6detail17trampoline_kernelINS0_14default_configENS1_25partition_config_selectorILNS1_17partition_subalgoE6ExNS0_10empty_typeEbEEZZNS1_14partition_implILS5_6ELb0ES3_mN6thrust23THRUST_200600_302600_NS6detail15normal_iteratorINSA_10device_ptrIxEEEEPS6_SG_NS0_5tupleIJNSA_16discard_iteratorINSA_11use_defaultEEES6_EEENSH_IJSG_SG_EEES6_PlJNSB_9not_fun_tINSB_14equal_to_valueIxEEEEEEE10hipError_tPvRmT3_T4_T5_T6_T7_T9_mT8_P12ihipStream_tbDpT10_ENKUlT_T0_E_clISt17integral_constantIbLb0EES1A_IbLb1EEEEDaS16_S17_EUlS16_E_NS1_11comp_targetILNS1_3genE2ELNS1_11target_archE906ELNS1_3gpuE6ELNS1_3repE0EEENS1_30default_config_static_selectorELNS0_4arch9wavefront6targetE0EEEvT1_
	.p2align	8
	.type	_ZN7rocprim17ROCPRIM_400000_NS6detail17trampoline_kernelINS0_14default_configENS1_25partition_config_selectorILNS1_17partition_subalgoE6ExNS0_10empty_typeEbEEZZNS1_14partition_implILS5_6ELb0ES3_mN6thrust23THRUST_200600_302600_NS6detail15normal_iteratorINSA_10device_ptrIxEEEEPS6_SG_NS0_5tupleIJNSA_16discard_iteratorINSA_11use_defaultEEES6_EEENSH_IJSG_SG_EEES6_PlJNSB_9not_fun_tINSB_14equal_to_valueIxEEEEEEE10hipError_tPvRmT3_T4_T5_T6_T7_T9_mT8_P12ihipStream_tbDpT10_ENKUlT_T0_E_clISt17integral_constantIbLb0EES1A_IbLb1EEEEDaS16_S17_EUlS16_E_NS1_11comp_targetILNS1_3genE2ELNS1_11target_archE906ELNS1_3gpuE6ELNS1_3repE0EEENS1_30default_config_static_selectorELNS0_4arch9wavefront6targetE0EEEvT1_,@function
_ZN7rocprim17ROCPRIM_400000_NS6detail17trampoline_kernelINS0_14default_configENS1_25partition_config_selectorILNS1_17partition_subalgoE6ExNS0_10empty_typeEbEEZZNS1_14partition_implILS5_6ELb0ES3_mN6thrust23THRUST_200600_302600_NS6detail15normal_iteratorINSA_10device_ptrIxEEEEPS6_SG_NS0_5tupleIJNSA_16discard_iteratorINSA_11use_defaultEEES6_EEENSH_IJSG_SG_EEES6_PlJNSB_9not_fun_tINSB_14equal_to_valueIxEEEEEEE10hipError_tPvRmT3_T4_T5_T6_T7_T9_mT8_P12ihipStream_tbDpT10_ENKUlT_T0_E_clISt17integral_constantIbLb0EES1A_IbLb1EEEEDaS16_S17_EUlS16_E_NS1_11comp_targetILNS1_3genE2ELNS1_11target_archE906ELNS1_3gpuE6ELNS1_3repE0EEENS1_30default_config_static_selectorELNS0_4arch9wavefront6targetE0EEEvT1_: ; @_ZN7rocprim17ROCPRIM_400000_NS6detail17trampoline_kernelINS0_14default_configENS1_25partition_config_selectorILNS1_17partition_subalgoE6ExNS0_10empty_typeEbEEZZNS1_14partition_implILS5_6ELb0ES3_mN6thrust23THRUST_200600_302600_NS6detail15normal_iteratorINSA_10device_ptrIxEEEEPS6_SG_NS0_5tupleIJNSA_16discard_iteratorINSA_11use_defaultEEES6_EEENSH_IJSG_SG_EEES6_PlJNSB_9not_fun_tINSB_14equal_to_valueIxEEEEEEE10hipError_tPvRmT3_T4_T5_T6_T7_T9_mT8_P12ihipStream_tbDpT10_ENKUlT_T0_E_clISt17integral_constantIbLb0EES1A_IbLb1EEEEDaS16_S17_EUlS16_E_NS1_11comp_targetILNS1_3genE2ELNS1_11target_archE906ELNS1_3gpuE6ELNS1_3repE0EEENS1_30default_config_static_selectorELNS0_4arch9wavefront6targetE0EEEvT1_
; %bb.0:
	.section	.rodata,"a",@progbits
	.p2align	6, 0x0
	.amdhsa_kernel _ZN7rocprim17ROCPRIM_400000_NS6detail17trampoline_kernelINS0_14default_configENS1_25partition_config_selectorILNS1_17partition_subalgoE6ExNS0_10empty_typeEbEEZZNS1_14partition_implILS5_6ELb0ES3_mN6thrust23THRUST_200600_302600_NS6detail15normal_iteratorINSA_10device_ptrIxEEEEPS6_SG_NS0_5tupleIJNSA_16discard_iteratorINSA_11use_defaultEEES6_EEENSH_IJSG_SG_EEES6_PlJNSB_9not_fun_tINSB_14equal_to_valueIxEEEEEEE10hipError_tPvRmT3_T4_T5_T6_T7_T9_mT8_P12ihipStream_tbDpT10_ENKUlT_T0_E_clISt17integral_constantIbLb0EES1A_IbLb1EEEEDaS16_S17_EUlS16_E_NS1_11comp_targetILNS1_3genE2ELNS1_11target_archE906ELNS1_3gpuE6ELNS1_3repE0EEENS1_30default_config_static_selectorELNS0_4arch9wavefront6targetE0EEEvT1_
		.amdhsa_group_segment_fixed_size 0
		.amdhsa_private_segment_fixed_size 0
		.amdhsa_kernarg_size 136
		.amdhsa_user_sgpr_count 2
		.amdhsa_user_sgpr_dispatch_ptr 0
		.amdhsa_user_sgpr_queue_ptr 0
		.amdhsa_user_sgpr_kernarg_segment_ptr 1
		.amdhsa_user_sgpr_dispatch_id 0
		.amdhsa_user_sgpr_private_segment_size 0
		.amdhsa_wavefront_size32 1
		.amdhsa_uses_dynamic_stack 0
		.amdhsa_enable_private_segment 0
		.amdhsa_system_sgpr_workgroup_id_x 1
		.amdhsa_system_sgpr_workgroup_id_y 0
		.amdhsa_system_sgpr_workgroup_id_z 0
		.amdhsa_system_sgpr_workgroup_info 0
		.amdhsa_system_vgpr_workitem_id 0
		.amdhsa_next_free_vgpr 1
		.amdhsa_next_free_sgpr 1
		.amdhsa_reserve_vcc 0
		.amdhsa_float_round_mode_32 0
		.amdhsa_float_round_mode_16_64 0
		.amdhsa_float_denorm_mode_32 3
		.amdhsa_float_denorm_mode_16_64 3
		.amdhsa_fp16_overflow 0
		.amdhsa_workgroup_processor_mode 1
		.amdhsa_memory_ordered 1
		.amdhsa_forward_progress 1
		.amdhsa_inst_pref_size 0
		.amdhsa_round_robin_scheduling 0
		.amdhsa_exception_fp_ieee_invalid_op 0
		.amdhsa_exception_fp_denorm_src 0
		.amdhsa_exception_fp_ieee_div_zero 0
		.amdhsa_exception_fp_ieee_overflow 0
		.amdhsa_exception_fp_ieee_underflow 0
		.amdhsa_exception_fp_ieee_inexact 0
		.amdhsa_exception_int_div_zero 0
	.end_amdhsa_kernel
	.section	.text._ZN7rocprim17ROCPRIM_400000_NS6detail17trampoline_kernelINS0_14default_configENS1_25partition_config_selectorILNS1_17partition_subalgoE6ExNS0_10empty_typeEbEEZZNS1_14partition_implILS5_6ELb0ES3_mN6thrust23THRUST_200600_302600_NS6detail15normal_iteratorINSA_10device_ptrIxEEEEPS6_SG_NS0_5tupleIJNSA_16discard_iteratorINSA_11use_defaultEEES6_EEENSH_IJSG_SG_EEES6_PlJNSB_9not_fun_tINSB_14equal_to_valueIxEEEEEEE10hipError_tPvRmT3_T4_T5_T6_T7_T9_mT8_P12ihipStream_tbDpT10_ENKUlT_T0_E_clISt17integral_constantIbLb0EES1A_IbLb1EEEEDaS16_S17_EUlS16_E_NS1_11comp_targetILNS1_3genE2ELNS1_11target_archE906ELNS1_3gpuE6ELNS1_3repE0EEENS1_30default_config_static_selectorELNS0_4arch9wavefront6targetE0EEEvT1_,"axG",@progbits,_ZN7rocprim17ROCPRIM_400000_NS6detail17trampoline_kernelINS0_14default_configENS1_25partition_config_selectorILNS1_17partition_subalgoE6ExNS0_10empty_typeEbEEZZNS1_14partition_implILS5_6ELb0ES3_mN6thrust23THRUST_200600_302600_NS6detail15normal_iteratorINSA_10device_ptrIxEEEEPS6_SG_NS0_5tupleIJNSA_16discard_iteratorINSA_11use_defaultEEES6_EEENSH_IJSG_SG_EEES6_PlJNSB_9not_fun_tINSB_14equal_to_valueIxEEEEEEE10hipError_tPvRmT3_T4_T5_T6_T7_T9_mT8_P12ihipStream_tbDpT10_ENKUlT_T0_E_clISt17integral_constantIbLb0EES1A_IbLb1EEEEDaS16_S17_EUlS16_E_NS1_11comp_targetILNS1_3genE2ELNS1_11target_archE906ELNS1_3gpuE6ELNS1_3repE0EEENS1_30default_config_static_selectorELNS0_4arch9wavefront6targetE0EEEvT1_,comdat
.Lfunc_end1753:
	.size	_ZN7rocprim17ROCPRIM_400000_NS6detail17trampoline_kernelINS0_14default_configENS1_25partition_config_selectorILNS1_17partition_subalgoE6ExNS0_10empty_typeEbEEZZNS1_14partition_implILS5_6ELb0ES3_mN6thrust23THRUST_200600_302600_NS6detail15normal_iteratorINSA_10device_ptrIxEEEEPS6_SG_NS0_5tupleIJNSA_16discard_iteratorINSA_11use_defaultEEES6_EEENSH_IJSG_SG_EEES6_PlJNSB_9not_fun_tINSB_14equal_to_valueIxEEEEEEE10hipError_tPvRmT3_T4_T5_T6_T7_T9_mT8_P12ihipStream_tbDpT10_ENKUlT_T0_E_clISt17integral_constantIbLb0EES1A_IbLb1EEEEDaS16_S17_EUlS16_E_NS1_11comp_targetILNS1_3genE2ELNS1_11target_archE906ELNS1_3gpuE6ELNS1_3repE0EEENS1_30default_config_static_selectorELNS0_4arch9wavefront6targetE0EEEvT1_, .Lfunc_end1753-_ZN7rocprim17ROCPRIM_400000_NS6detail17trampoline_kernelINS0_14default_configENS1_25partition_config_selectorILNS1_17partition_subalgoE6ExNS0_10empty_typeEbEEZZNS1_14partition_implILS5_6ELb0ES3_mN6thrust23THRUST_200600_302600_NS6detail15normal_iteratorINSA_10device_ptrIxEEEEPS6_SG_NS0_5tupleIJNSA_16discard_iteratorINSA_11use_defaultEEES6_EEENSH_IJSG_SG_EEES6_PlJNSB_9not_fun_tINSB_14equal_to_valueIxEEEEEEE10hipError_tPvRmT3_T4_T5_T6_T7_T9_mT8_P12ihipStream_tbDpT10_ENKUlT_T0_E_clISt17integral_constantIbLb0EES1A_IbLb1EEEEDaS16_S17_EUlS16_E_NS1_11comp_targetILNS1_3genE2ELNS1_11target_archE906ELNS1_3gpuE6ELNS1_3repE0EEENS1_30default_config_static_selectorELNS0_4arch9wavefront6targetE0EEEvT1_
                                        ; -- End function
	.set _ZN7rocprim17ROCPRIM_400000_NS6detail17trampoline_kernelINS0_14default_configENS1_25partition_config_selectorILNS1_17partition_subalgoE6ExNS0_10empty_typeEbEEZZNS1_14partition_implILS5_6ELb0ES3_mN6thrust23THRUST_200600_302600_NS6detail15normal_iteratorINSA_10device_ptrIxEEEEPS6_SG_NS0_5tupleIJNSA_16discard_iteratorINSA_11use_defaultEEES6_EEENSH_IJSG_SG_EEES6_PlJNSB_9not_fun_tINSB_14equal_to_valueIxEEEEEEE10hipError_tPvRmT3_T4_T5_T6_T7_T9_mT8_P12ihipStream_tbDpT10_ENKUlT_T0_E_clISt17integral_constantIbLb0EES1A_IbLb1EEEEDaS16_S17_EUlS16_E_NS1_11comp_targetILNS1_3genE2ELNS1_11target_archE906ELNS1_3gpuE6ELNS1_3repE0EEENS1_30default_config_static_selectorELNS0_4arch9wavefront6targetE0EEEvT1_.num_vgpr, 0
	.set _ZN7rocprim17ROCPRIM_400000_NS6detail17trampoline_kernelINS0_14default_configENS1_25partition_config_selectorILNS1_17partition_subalgoE6ExNS0_10empty_typeEbEEZZNS1_14partition_implILS5_6ELb0ES3_mN6thrust23THRUST_200600_302600_NS6detail15normal_iteratorINSA_10device_ptrIxEEEEPS6_SG_NS0_5tupleIJNSA_16discard_iteratorINSA_11use_defaultEEES6_EEENSH_IJSG_SG_EEES6_PlJNSB_9not_fun_tINSB_14equal_to_valueIxEEEEEEE10hipError_tPvRmT3_T4_T5_T6_T7_T9_mT8_P12ihipStream_tbDpT10_ENKUlT_T0_E_clISt17integral_constantIbLb0EES1A_IbLb1EEEEDaS16_S17_EUlS16_E_NS1_11comp_targetILNS1_3genE2ELNS1_11target_archE906ELNS1_3gpuE6ELNS1_3repE0EEENS1_30default_config_static_selectorELNS0_4arch9wavefront6targetE0EEEvT1_.num_agpr, 0
	.set _ZN7rocprim17ROCPRIM_400000_NS6detail17trampoline_kernelINS0_14default_configENS1_25partition_config_selectorILNS1_17partition_subalgoE6ExNS0_10empty_typeEbEEZZNS1_14partition_implILS5_6ELb0ES3_mN6thrust23THRUST_200600_302600_NS6detail15normal_iteratorINSA_10device_ptrIxEEEEPS6_SG_NS0_5tupleIJNSA_16discard_iteratorINSA_11use_defaultEEES6_EEENSH_IJSG_SG_EEES6_PlJNSB_9not_fun_tINSB_14equal_to_valueIxEEEEEEE10hipError_tPvRmT3_T4_T5_T6_T7_T9_mT8_P12ihipStream_tbDpT10_ENKUlT_T0_E_clISt17integral_constantIbLb0EES1A_IbLb1EEEEDaS16_S17_EUlS16_E_NS1_11comp_targetILNS1_3genE2ELNS1_11target_archE906ELNS1_3gpuE6ELNS1_3repE0EEENS1_30default_config_static_selectorELNS0_4arch9wavefront6targetE0EEEvT1_.numbered_sgpr, 0
	.set _ZN7rocprim17ROCPRIM_400000_NS6detail17trampoline_kernelINS0_14default_configENS1_25partition_config_selectorILNS1_17partition_subalgoE6ExNS0_10empty_typeEbEEZZNS1_14partition_implILS5_6ELb0ES3_mN6thrust23THRUST_200600_302600_NS6detail15normal_iteratorINSA_10device_ptrIxEEEEPS6_SG_NS0_5tupleIJNSA_16discard_iteratorINSA_11use_defaultEEES6_EEENSH_IJSG_SG_EEES6_PlJNSB_9not_fun_tINSB_14equal_to_valueIxEEEEEEE10hipError_tPvRmT3_T4_T5_T6_T7_T9_mT8_P12ihipStream_tbDpT10_ENKUlT_T0_E_clISt17integral_constantIbLb0EES1A_IbLb1EEEEDaS16_S17_EUlS16_E_NS1_11comp_targetILNS1_3genE2ELNS1_11target_archE906ELNS1_3gpuE6ELNS1_3repE0EEENS1_30default_config_static_selectorELNS0_4arch9wavefront6targetE0EEEvT1_.num_named_barrier, 0
	.set _ZN7rocprim17ROCPRIM_400000_NS6detail17trampoline_kernelINS0_14default_configENS1_25partition_config_selectorILNS1_17partition_subalgoE6ExNS0_10empty_typeEbEEZZNS1_14partition_implILS5_6ELb0ES3_mN6thrust23THRUST_200600_302600_NS6detail15normal_iteratorINSA_10device_ptrIxEEEEPS6_SG_NS0_5tupleIJNSA_16discard_iteratorINSA_11use_defaultEEES6_EEENSH_IJSG_SG_EEES6_PlJNSB_9not_fun_tINSB_14equal_to_valueIxEEEEEEE10hipError_tPvRmT3_T4_T5_T6_T7_T9_mT8_P12ihipStream_tbDpT10_ENKUlT_T0_E_clISt17integral_constantIbLb0EES1A_IbLb1EEEEDaS16_S17_EUlS16_E_NS1_11comp_targetILNS1_3genE2ELNS1_11target_archE906ELNS1_3gpuE6ELNS1_3repE0EEENS1_30default_config_static_selectorELNS0_4arch9wavefront6targetE0EEEvT1_.private_seg_size, 0
	.set _ZN7rocprim17ROCPRIM_400000_NS6detail17trampoline_kernelINS0_14default_configENS1_25partition_config_selectorILNS1_17partition_subalgoE6ExNS0_10empty_typeEbEEZZNS1_14partition_implILS5_6ELb0ES3_mN6thrust23THRUST_200600_302600_NS6detail15normal_iteratorINSA_10device_ptrIxEEEEPS6_SG_NS0_5tupleIJNSA_16discard_iteratorINSA_11use_defaultEEES6_EEENSH_IJSG_SG_EEES6_PlJNSB_9not_fun_tINSB_14equal_to_valueIxEEEEEEE10hipError_tPvRmT3_T4_T5_T6_T7_T9_mT8_P12ihipStream_tbDpT10_ENKUlT_T0_E_clISt17integral_constantIbLb0EES1A_IbLb1EEEEDaS16_S17_EUlS16_E_NS1_11comp_targetILNS1_3genE2ELNS1_11target_archE906ELNS1_3gpuE6ELNS1_3repE0EEENS1_30default_config_static_selectorELNS0_4arch9wavefront6targetE0EEEvT1_.uses_vcc, 0
	.set _ZN7rocprim17ROCPRIM_400000_NS6detail17trampoline_kernelINS0_14default_configENS1_25partition_config_selectorILNS1_17partition_subalgoE6ExNS0_10empty_typeEbEEZZNS1_14partition_implILS5_6ELb0ES3_mN6thrust23THRUST_200600_302600_NS6detail15normal_iteratorINSA_10device_ptrIxEEEEPS6_SG_NS0_5tupleIJNSA_16discard_iteratorINSA_11use_defaultEEES6_EEENSH_IJSG_SG_EEES6_PlJNSB_9not_fun_tINSB_14equal_to_valueIxEEEEEEE10hipError_tPvRmT3_T4_T5_T6_T7_T9_mT8_P12ihipStream_tbDpT10_ENKUlT_T0_E_clISt17integral_constantIbLb0EES1A_IbLb1EEEEDaS16_S17_EUlS16_E_NS1_11comp_targetILNS1_3genE2ELNS1_11target_archE906ELNS1_3gpuE6ELNS1_3repE0EEENS1_30default_config_static_selectorELNS0_4arch9wavefront6targetE0EEEvT1_.uses_flat_scratch, 0
	.set _ZN7rocprim17ROCPRIM_400000_NS6detail17trampoline_kernelINS0_14default_configENS1_25partition_config_selectorILNS1_17partition_subalgoE6ExNS0_10empty_typeEbEEZZNS1_14partition_implILS5_6ELb0ES3_mN6thrust23THRUST_200600_302600_NS6detail15normal_iteratorINSA_10device_ptrIxEEEEPS6_SG_NS0_5tupleIJNSA_16discard_iteratorINSA_11use_defaultEEES6_EEENSH_IJSG_SG_EEES6_PlJNSB_9not_fun_tINSB_14equal_to_valueIxEEEEEEE10hipError_tPvRmT3_T4_T5_T6_T7_T9_mT8_P12ihipStream_tbDpT10_ENKUlT_T0_E_clISt17integral_constantIbLb0EES1A_IbLb1EEEEDaS16_S17_EUlS16_E_NS1_11comp_targetILNS1_3genE2ELNS1_11target_archE906ELNS1_3gpuE6ELNS1_3repE0EEENS1_30default_config_static_selectorELNS0_4arch9wavefront6targetE0EEEvT1_.has_dyn_sized_stack, 0
	.set _ZN7rocprim17ROCPRIM_400000_NS6detail17trampoline_kernelINS0_14default_configENS1_25partition_config_selectorILNS1_17partition_subalgoE6ExNS0_10empty_typeEbEEZZNS1_14partition_implILS5_6ELb0ES3_mN6thrust23THRUST_200600_302600_NS6detail15normal_iteratorINSA_10device_ptrIxEEEEPS6_SG_NS0_5tupleIJNSA_16discard_iteratorINSA_11use_defaultEEES6_EEENSH_IJSG_SG_EEES6_PlJNSB_9not_fun_tINSB_14equal_to_valueIxEEEEEEE10hipError_tPvRmT3_T4_T5_T6_T7_T9_mT8_P12ihipStream_tbDpT10_ENKUlT_T0_E_clISt17integral_constantIbLb0EES1A_IbLb1EEEEDaS16_S17_EUlS16_E_NS1_11comp_targetILNS1_3genE2ELNS1_11target_archE906ELNS1_3gpuE6ELNS1_3repE0EEENS1_30default_config_static_selectorELNS0_4arch9wavefront6targetE0EEEvT1_.has_recursion, 0
	.set _ZN7rocprim17ROCPRIM_400000_NS6detail17trampoline_kernelINS0_14default_configENS1_25partition_config_selectorILNS1_17partition_subalgoE6ExNS0_10empty_typeEbEEZZNS1_14partition_implILS5_6ELb0ES3_mN6thrust23THRUST_200600_302600_NS6detail15normal_iteratorINSA_10device_ptrIxEEEEPS6_SG_NS0_5tupleIJNSA_16discard_iteratorINSA_11use_defaultEEES6_EEENSH_IJSG_SG_EEES6_PlJNSB_9not_fun_tINSB_14equal_to_valueIxEEEEEEE10hipError_tPvRmT3_T4_T5_T6_T7_T9_mT8_P12ihipStream_tbDpT10_ENKUlT_T0_E_clISt17integral_constantIbLb0EES1A_IbLb1EEEEDaS16_S17_EUlS16_E_NS1_11comp_targetILNS1_3genE2ELNS1_11target_archE906ELNS1_3gpuE6ELNS1_3repE0EEENS1_30default_config_static_selectorELNS0_4arch9wavefront6targetE0EEEvT1_.has_indirect_call, 0
	.section	.AMDGPU.csdata,"",@progbits
; Kernel info:
; codeLenInByte = 0
; TotalNumSgprs: 0
; NumVgprs: 0
; ScratchSize: 0
; MemoryBound: 0
; FloatMode: 240
; IeeeMode: 1
; LDSByteSize: 0 bytes/workgroup (compile time only)
; SGPRBlocks: 0
; VGPRBlocks: 0
; NumSGPRsForWavesPerEU: 1
; NumVGPRsForWavesPerEU: 1
; Occupancy: 16
; WaveLimiterHint : 0
; COMPUTE_PGM_RSRC2:SCRATCH_EN: 0
; COMPUTE_PGM_RSRC2:USER_SGPR: 2
; COMPUTE_PGM_RSRC2:TRAP_HANDLER: 0
; COMPUTE_PGM_RSRC2:TGID_X_EN: 1
; COMPUTE_PGM_RSRC2:TGID_Y_EN: 0
; COMPUTE_PGM_RSRC2:TGID_Z_EN: 0
; COMPUTE_PGM_RSRC2:TIDIG_COMP_CNT: 0
	.section	.text._ZN7rocprim17ROCPRIM_400000_NS6detail17trampoline_kernelINS0_14default_configENS1_25partition_config_selectorILNS1_17partition_subalgoE6ExNS0_10empty_typeEbEEZZNS1_14partition_implILS5_6ELb0ES3_mN6thrust23THRUST_200600_302600_NS6detail15normal_iteratorINSA_10device_ptrIxEEEEPS6_SG_NS0_5tupleIJNSA_16discard_iteratorINSA_11use_defaultEEES6_EEENSH_IJSG_SG_EEES6_PlJNSB_9not_fun_tINSB_14equal_to_valueIxEEEEEEE10hipError_tPvRmT3_T4_T5_T6_T7_T9_mT8_P12ihipStream_tbDpT10_ENKUlT_T0_E_clISt17integral_constantIbLb0EES1A_IbLb1EEEEDaS16_S17_EUlS16_E_NS1_11comp_targetILNS1_3genE10ELNS1_11target_archE1200ELNS1_3gpuE4ELNS1_3repE0EEENS1_30default_config_static_selectorELNS0_4arch9wavefront6targetE0EEEvT1_,"axG",@progbits,_ZN7rocprim17ROCPRIM_400000_NS6detail17trampoline_kernelINS0_14default_configENS1_25partition_config_selectorILNS1_17partition_subalgoE6ExNS0_10empty_typeEbEEZZNS1_14partition_implILS5_6ELb0ES3_mN6thrust23THRUST_200600_302600_NS6detail15normal_iteratorINSA_10device_ptrIxEEEEPS6_SG_NS0_5tupleIJNSA_16discard_iteratorINSA_11use_defaultEEES6_EEENSH_IJSG_SG_EEES6_PlJNSB_9not_fun_tINSB_14equal_to_valueIxEEEEEEE10hipError_tPvRmT3_T4_T5_T6_T7_T9_mT8_P12ihipStream_tbDpT10_ENKUlT_T0_E_clISt17integral_constantIbLb0EES1A_IbLb1EEEEDaS16_S17_EUlS16_E_NS1_11comp_targetILNS1_3genE10ELNS1_11target_archE1200ELNS1_3gpuE4ELNS1_3repE0EEENS1_30default_config_static_selectorELNS0_4arch9wavefront6targetE0EEEvT1_,comdat
	.protected	_ZN7rocprim17ROCPRIM_400000_NS6detail17trampoline_kernelINS0_14default_configENS1_25partition_config_selectorILNS1_17partition_subalgoE6ExNS0_10empty_typeEbEEZZNS1_14partition_implILS5_6ELb0ES3_mN6thrust23THRUST_200600_302600_NS6detail15normal_iteratorINSA_10device_ptrIxEEEEPS6_SG_NS0_5tupleIJNSA_16discard_iteratorINSA_11use_defaultEEES6_EEENSH_IJSG_SG_EEES6_PlJNSB_9not_fun_tINSB_14equal_to_valueIxEEEEEEE10hipError_tPvRmT3_T4_T5_T6_T7_T9_mT8_P12ihipStream_tbDpT10_ENKUlT_T0_E_clISt17integral_constantIbLb0EES1A_IbLb1EEEEDaS16_S17_EUlS16_E_NS1_11comp_targetILNS1_3genE10ELNS1_11target_archE1200ELNS1_3gpuE4ELNS1_3repE0EEENS1_30default_config_static_selectorELNS0_4arch9wavefront6targetE0EEEvT1_ ; -- Begin function _ZN7rocprim17ROCPRIM_400000_NS6detail17trampoline_kernelINS0_14default_configENS1_25partition_config_selectorILNS1_17partition_subalgoE6ExNS0_10empty_typeEbEEZZNS1_14partition_implILS5_6ELb0ES3_mN6thrust23THRUST_200600_302600_NS6detail15normal_iteratorINSA_10device_ptrIxEEEEPS6_SG_NS0_5tupleIJNSA_16discard_iteratorINSA_11use_defaultEEES6_EEENSH_IJSG_SG_EEES6_PlJNSB_9not_fun_tINSB_14equal_to_valueIxEEEEEEE10hipError_tPvRmT3_T4_T5_T6_T7_T9_mT8_P12ihipStream_tbDpT10_ENKUlT_T0_E_clISt17integral_constantIbLb0EES1A_IbLb1EEEEDaS16_S17_EUlS16_E_NS1_11comp_targetILNS1_3genE10ELNS1_11target_archE1200ELNS1_3gpuE4ELNS1_3repE0EEENS1_30default_config_static_selectorELNS0_4arch9wavefront6targetE0EEEvT1_
	.globl	_ZN7rocprim17ROCPRIM_400000_NS6detail17trampoline_kernelINS0_14default_configENS1_25partition_config_selectorILNS1_17partition_subalgoE6ExNS0_10empty_typeEbEEZZNS1_14partition_implILS5_6ELb0ES3_mN6thrust23THRUST_200600_302600_NS6detail15normal_iteratorINSA_10device_ptrIxEEEEPS6_SG_NS0_5tupleIJNSA_16discard_iteratorINSA_11use_defaultEEES6_EEENSH_IJSG_SG_EEES6_PlJNSB_9not_fun_tINSB_14equal_to_valueIxEEEEEEE10hipError_tPvRmT3_T4_T5_T6_T7_T9_mT8_P12ihipStream_tbDpT10_ENKUlT_T0_E_clISt17integral_constantIbLb0EES1A_IbLb1EEEEDaS16_S17_EUlS16_E_NS1_11comp_targetILNS1_3genE10ELNS1_11target_archE1200ELNS1_3gpuE4ELNS1_3repE0EEENS1_30default_config_static_selectorELNS0_4arch9wavefront6targetE0EEEvT1_
	.p2align	8
	.type	_ZN7rocprim17ROCPRIM_400000_NS6detail17trampoline_kernelINS0_14default_configENS1_25partition_config_selectorILNS1_17partition_subalgoE6ExNS0_10empty_typeEbEEZZNS1_14partition_implILS5_6ELb0ES3_mN6thrust23THRUST_200600_302600_NS6detail15normal_iteratorINSA_10device_ptrIxEEEEPS6_SG_NS0_5tupleIJNSA_16discard_iteratorINSA_11use_defaultEEES6_EEENSH_IJSG_SG_EEES6_PlJNSB_9not_fun_tINSB_14equal_to_valueIxEEEEEEE10hipError_tPvRmT3_T4_T5_T6_T7_T9_mT8_P12ihipStream_tbDpT10_ENKUlT_T0_E_clISt17integral_constantIbLb0EES1A_IbLb1EEEEDaS16_S17_EUlS16_E_NS1_11comp_targetILNS1_3genE10ELNS1_11target_archE1200ELNS1_3gpuE4ELNS1_3repE0EEENS1_30default_config_static_selectorELNS0_4arch9wavefront6targetE0EEEvT1_,@function
_ZN7rocprim17ROCPRIM_400000_NS6detail17trampoline_kernelINS0_14default_configENS1_25partition_config_selectorILNS1_17partition_subalgoE6ExNS0_10empty_typeEbEEZZNS1_14partition_implILS5_6ELb0ES3_mN6thrust23THRUST_200600_302600_NS6detail15normal_iteratorINSA_10device_ptrIxEEEEPS6_SG_NS0_5tupleIJNSA_16discard_iteratorINSA_11use_defaultEEES6_EEENSH_IJSG_SG_EEES6_PlJNSB_9not_fun_tINSB_14equal_to_valueIxEEEEEEE10hipError_tPvRmT3_T4_T5_T6_T7_T9_mT8_P12ihipStream_tbDpT10_ENKUlT_T0_E_clISt17integral_constantIbLb0EES1A_IbLb1EEEEDaS16_S17_EUlS16_E_NS1_11comp_targetILNS1_3genE10ELNS1_11target_archE1200ELNS1_3gpuE4ELNS1_3repE0EEENS1_30default_config_static_selectorELNS0_4arch9wavefront6targetE0EEEvT1_: ; @_ZN7rocprim17ROCPRIM_400000_NS6detail17trampoline_kernelINS0_14default_configENS1_25partition_config_selectorILNS1_17partition_subalgoE6ExNS0_10empty_typeEbEEZZNS1_14partition_implILS5_6ELb0ES3_mN6thrust23THRUST_200600_302600_NS6detail15normal_iteratorINSA_10device_ptrIxEEEEPS6_SG_NS0_5tupleIJNSA_16discard_iteratorINSA_11use_defaultEEES6_EEENSH_IJSG_SG_EEES6_PlJNSB_9not_fun_tINSB_14equal_to_valueIxEEEEEEE10hipError_tPvRmT3_T4_T5_T6_T7_T9_mT8_P12ihipStream_tbDpT10_ENKUlT_T0_E_clISt17integral_constantIbLb0EES1A_IbLb1EEEEDaS16_S17_EUlS16_E_NS1_11comp_targetILNS1_3genE10ELNS1_11target_archE1200ELNS1_3gpuE4ELNS1_3repE0EEENS1_30default_config_static_selectorELNS0_4arch9wavefront6targetE0EEEvT1_
; %bb.0:
	s_clause 0x2
	s_load_b64 s[16:17], s[0:1], 0x58
	s_load_b128 s[8:11], s[0:1], 0x48
	s_load_b64 s[12:13], s[0:1], 0x68
	v_cmp_eq_u32_e64 s2, 0, v0
	s_and_saveexec_b32 s3, s2
	s_cbranch_execz .LBB1754_4
; %bb.1:
	s_mov_b32 s5, exec_lo
	s_mov_b32 s4, exec_lo
	v_mbcnt_lo_u32_b32 v1, s5, 0
                                        ; implicit-def: $vgpr2
	s_delay_alu instid0(VALU_DEP_1)
	v_cmpx_eq_u32_e32 0, v1
	s_cbranch_execz .LBB1754_3
; %bb.2:
	s_load_b64 s[6:7], s[0:1], 0x78
	s_bcnt1_i32_b32 s5, s5
	s_wait_alu 0xfffe
	v_dual_mov_b32 v2, 0 :: v_dual_mov_b32 v3, s5
	s_wait_kmcnt 0x0
	global_atomic_add_u32 v2, v2, v3, s[6:7] th:TH_ATOMIC_RETURN scope:SCOPE_DEV
.LBB1754_3:
	s_or_b32 exec_lo, exec_lo, s4
	s_wait_loadcnt 0x0
	v_readfirstlane_b32 s4, v2
	s_wait_alu 0xf1ff
	s_delay_alu instid0(VALU_DEP_1)
	v_dual_mov_b32 v2, 0 :: v_dual_add_nc_u32 v1, s4, v1
	ds_store_b32 v2, v1
.LBB1754_4:
	s_or_b32 exec_lo, exec_lo, s3
	v_mov_b32_e32 v2, 0
	s_clause 0x2
	s_load_b128 s[4:7], s[0:1], 0x8
	s_load_b32 s3, s[0:1], 0x70
	s_load_b64 s[14:15], s[0:1], 0x80
	s_wait_dscnt 0x0
	s_barrier_signal -1
	s_barrier_wait -1
	global_inv scope:SCOPE_SE
	ds_load_b32 v3, v2
	s_wait_loadcnt_dscnt 0x0
	s_barrier_signal -1
	s_barrier_wait -1
	global_inv scope:SCOPE_SE
	s_mov_b32 s1, 0
	v_lshrrev_b32_e32 v9, 2, v0
	v_or_b32_e32 v12, 0x100, v0
	v_or_b32_e32 v11, 0x200, v0
	;; [unrolled: 1-line block ×3, first 2 shown]
	s_wait_kmcnt 0x0
	s_lshl_b64 s[18:19], s[6:7], 3
	s_lshl_b32 s0, s3, 10
	s_add_nc_u64 s[4:5], s[4:5], s[18:19]
	s_add_nc_u64 s[20:21], s[6:7], s[0:1]
	s_delay_alu instid0(SALU_CYCLE_1)
	v_cmp_gt_u64_e64 s1, s[16:17], s[20:21]
	v_lshlrev_b32_e32 v1, 10, v3
	global_load_b64 v[17:18], v2, s[10:11]
	v_readfirstlane_b32 s10, v3
	s_add_co_i32 s11, s3, -1
	v_lshlrev_b64_e32 v[1:2], 3, v[1:2]
	s_lshl_b32 s3, s11, 10
	v_cmp_ne_u32_e32 vcc_lo, s11, v3
	s_add_co_i32 s0, s6, s3
	s_cmp_eq_u32 s10, s11
	s_mov_b32 s3, -1
	s_cselect_b32 s6, -1, 0
	s_or_b32 s1, s1, vcc_lo
	s_wait_alu 0xfffe
	v_add_co_u32 v13, vcc_lo, s4, v1
	s_delay_alu instid0(VALU_DEP_1)
	v_add_co_ci_u32_e64 v14, null, s5, v2, vcc_lo
	s_and_b32 vcc_lo, exec_lo, s1
	s_wait_alu 0xfffe
	s_cbranch_vccz .LBB1754_6
; %bb.5:
	v_lshlrev_b32_e32 v15, 3, v0
	v_lshrrev_b32_e32 v16, 2, v12
	v_lshrrev_b32_e32 v19, 2, v11
	;; [unrolled: 1-line block ×3, first 2 shown]
	v_and_b32_e32 v21, 56, v9
	v_add_co_u32 v1, vcc_lo, v13, v15
	s_wait_alu 0xfffd
	v_add_co_ci_u32_e64 v2, null, 0, v14, vcc_lo
	v_and_b32_e32 v16, 0x78, v16
	v_and_b32_e32 v19, 0xb8, v19
	;; [unrolled: 1-line block ×3, first 2 shown]
	s_clause 0x3
	flat_load_b64 v[3:4], v[1:2]
	flat_load_b64 v[5:6], v[1:2] offset:2048
	flat_load_b64 v[7:8], v[1:2] offset:4096
	;; [unrolled: 1-line block ×3, first 2 shown]
	v_add_nc_u32_e32 v21, v21, v15
	v_add_nc_u32_e32 v16, v16, v15
	v_add_nc_u32_e32 v19, v19, v15
	v_add_nc_u32_e32 v15, v20, v15
	s_mov_b32 s3, 0
	s_wait_loadcnt_dscnt 0x303
	ds_store_b64 v21, v[3:4]
	s_wait_loadcnt_dscnt 0x203
	ds_store_b64 v16, v[5:6] offset:2048
	s_wait_loadcnt_dscnt 0x103
	ds_store_b64 v19, v[7:8] offset:4096
	;; [unrolled: 2-line block ×3, first 2 shown]
	s_wait_dscnt 0x0
	s_barrier_signal -1
	s_barrier_wait -1
.LBB1754_6:
	s_and_not1_b32 vcc_lo, exec_lo, s3
	s_sub_co_i32 s11, s16, s0
	s_wait_alu 0xfffe
	s_cbranch_vccnz .LBB1754_13
; %bb.7:
	v_mov_b32_e32 v1, 0
	s_mov_b32 s0, exec_lo
	s_delay_alu instid0(VALU_DEP_1)
	v_dual_mov_b32 v2, v1 :: v_dual_mov_b32 v3, v1
	v_dual_mov_b32 v4, v1 :: v_dual_mov_b32 v5, v1
	;; [unrolled: 1-line block ×3, first 2 shown]
	v_mov_b32_e32 v8, v1
	v_cmpx_gt_u32_e64 s11, v0
	s_cbranch_execnz .LBB1754_118
; %bb.8:
	s_or_b32 exec_lo, exec_lo, s0
	s_delay_alu instid0(SALU_CYCLE_1)
	s_mov_b32 s0, exec_lo
	v_cmpx_gt_u32_e64 s11, v12
	s_cbranch_execnz .LBB1754_119
.LBB1754_9:
	s_or_b32 exec_lo, exec_lo, s0
	s_delay_alu instid0(SALU_CYCLE_1)
	s_mov_b32 s0, exec_lo
	v_cmpx_gt_u32_e64 s11, v11
	s_cbranch_execnz .LBB1754_120
.LBB1754_10:
	s_or_b32 exec_lo, exec_lo, s0
	s_delay_alu instid0(SALU_CYCLE_1)
	s_mov_b32 s0, exec_lo
	v_cmpx_gt_u32_e64 s11, v10
	s_cbranch_execz .LBB1754_12
.LBB1754_11:
	v_lshlrev_b32_e32 v7, 3, v0
	s_delay_alu instid0(VALU_DEP_1)
	v_add_co_u32 v7, vcc_lo, v13, v7
	s_wait_alu 0xfffd
	v_add_co_ci_u32_e64 v8, null, 0, v14, vcc_lo
	flat_load_b64 v[7:8], v[7:8] offset:6144
.LBB1754_12:
	s_or_b32 exec_lo, exec_lo, s0
	v_lshrrev_b32_e32 v12, 2, v12
	v_lshrrev_b32_e32 v11, 2, v11
	;; [unrolled: 1-line block ×3, first 2 shown]
	v_and_b32_e32 v9, 56, v9
	v_lshlrev_b32_e32 v13, 3, v0
	v_and_b32_e32 v12, 0x78, v12
	v_and_b32_e32 v11, 0xf8, v11
	;; [unrolled: 1-line block ×3, first 2 shown]
	s_delay_alu instid0(VALU_DEP_4) | instskip(NEXT) | instid1(VALU_DEP_4)
	v_add_nc_u32_e32 v9, v9, v13
	v_add_nc_u32_e32 v12, v12, v13
	s_delay_alu instid0(VALU_DEP_4) | instskip(NEXT) | instid1(VALU_DEP_4)
	v_add_nc_u32_e32 v11, v11, v13
	v_add_nc_u32_e32 v10, v10, v13
	ds_store_b64 v9, v[1:2]
	s_wait_loadcnt_dscnt 0x1
	ds_store_b64 v12, v[3:4] offset:2048
	ds_store_b64 v11, v[5:6] offset:4096
	;; [unrolled: 1-line block ×3, first 2 shown]
	s_wait_dscnt 0x0
	s_barrier_signal -1
	s_barrier_wait -1
.LBB1754_13:
	v_and_b32_e32 v1, 0xf8, v0
	s_wait_loadcnt 0x0
	global_inv scope:SCOPE_SE
	s_and_not1_b32 vcc_lo, exec_lo, s1
	v_lshl_add_u32 v5, v0, 5, v1
	ds_load_2addr_b64 v[1:4], v5 offset1:3
	ds_load_2addr_b64 v[5:8], v5 offset0:1 offset1:2
	s_wait_loadcnt_dscnt 0x0
	s_barrier_signal -1
	s_barrier_wait -1
	global_inv scope:SCOPE_SE
	v_cmp_ne_u64_e64 s0, s[14:15], v[1:2]
	v_cmp_ne_u64_e64 s7, s[14:15], v[3:4]
	s_wait_alu 0xfffe
	s_cbranch_vccnz .LBB1754_15
; %bb.14:
	v_cmp_ne_u64_e32 vcc_lo, s[14:15], v[7:8]
	v_cndmask_b32_e64 v29, 0, 1, s0
	s_wait_alu 0xfffd
	v_cndmask_b32_e64 v27, 0, 1, vcc_lo
	v_cmp_ne_u64_e32 vcc_lo, s[14:15], v[5:6]
	s_delay_alu instid0(VALU_DEP_2) | instskip(SKIP_2) | instid1(VALU_DEP_1)
	v_lshlrev_b16 v10, 8, v27
	s_wait_alu 0xfffd
	v_cndmask_b32_e64 v9, 0, 1, vcc_lo
	v_or_b32_e32 v28, v9, v10
	s_cbranch_execz .LBB1754_16
	s_branch .LBB1754_17
.LBB1754_15:
                                        ; implicit-def: $sgpr7
                                        ; implicit-def: $vgpr29
                                        ; implicit-def: $vgpr28
                                        ; implicit-def: $vgpr27
.LBB1754_16:
	v_lshlrev_b32_e32 v9, 2, v0
	v_cmp_ne_u64_e64 s0, s[14:15], v[7:8]
	v_cmp_ne_u64_e64 s3, s[14:15], v[5:6]
	v_cmp_ne_u64_e32 vcc_lo, s[14:15], v[1:2]
	v_cmp_ne_u64_e64 s4, s[14:15], v[3:4]
	v_or_b32_e32 v10, 2, v9
	v_or_b32_e32 v11, 1, v9
	s_delay_alu instid0(VALU_DEP_2) | instskip(NEXT) | instid1(VALU_DEP_2)
	v_cmp_gt_u32_e64 s1, s11, v10
	v_cmp_gt_u32_e64 s5, s11, v11
	v_or_b32_e32 v10, 3, v9
	s_and_b32 s0, s1, s0
	s_and_b32 s3, s5, s3
	s_wait_alu 0xfffe
	v_cndmask_b32_e64 v27, 0, 1, s0
	v_cmp_gt_u32_e64 s0, s11, v9
	v_cmp_gt_u32_e64 s1, s11, v10
	v_cndmask_b32_e64 v9, 0, 1, s3
	s_delay_alu instid0(VALU_DEP_4)
	v_lshlrev_b16 v10, 8, v27
	s_and_b32 s0, s0, vcc_lo
	s_wait_alu 0xfffe
	v_cndmask_b32_e64 v29, 0, 1, s0
	s_and_b32 s0, s1, s4
	v_or_b32_e32 v28, v9, v10
	s_and_not1_b32 s1, s7, exec_lo
	s_wait_alu 0xfffe
	s_and_b32 s0, s0, exec_lo
	s_wait_alu 0xfffe
	s_or_b32 s7, s1, s0
.LBB1754_17:
	v_and_b32_e32 v31, 0xff, v29
	s_delay_alu instid0(VALU_DEP_2)
	v_dual_mov_b32 v11, 0 :: v_dual_and_b32 v30, 0xff, v28
	v_cndmask_b32_e64 v9, 0, 1, s7
	v_mbcnt_lo_u32_b32 v33, -1, 0
	v_and_b32_e32 v32, 0xff, v27
	s_cmp_lg_u32 s10, 0
	s_mov_b32 s1, -1
	v_add3_u32 v9, v31, v9, v30
	v_and_b32_e32 v34, 15, v33
	s_delay_alu instid0(VALU_DEP_2) | instskip(SKIP_2) | instid1(VALU_DEP_3)
	v_add_co_u32 v19, s0, v9, v32
	s_wait_alu 0xf1ff
	v_add_co_ci_u32_e64 v20, null, 0, 0, s0
	v_cmp_ne_u32_e64 s0, 0, v34
	s_cbranch_scc0 .LBB1754_74
; %bb.18:
	v_dual_mov_b32 v12, v19 :: v_dual_mov_b32 v9, v19
	v_mov_b32_dpp v14, v19 row_shr:1 row_mask:0xf bank_mask:0xf
	v_mov_b32_dpp v13, v11 row_shr:1 row_mask:0xf bank_mask:0xf
	v_mov_b32_e32 v10, v20
	s_and_saveexec_b32 s1, s0
; %bb.19:
	s_delay_alu instid0(VALU_DEP_3) | instskip(SKIP_2) | instid1(VALU_DEP_2)
	v_add_co_u32 v12, vcc_lo, v19, v14
	s_wait_alu 0xfffd
	v_add_co_ci_u32_e64 v9, null, 0, v20, vcc_lo
	v_add_co_u32 v10, vcc_lo, 0, v12
	s_wait_alu 0xfffd
	s_delay_alu instid0(VALU_DEP_2) | instskip(NEXT) | instid1(VALU_DEP_2)
	v_add_co_ci_u32_e64 v11, null, v13, v9, vcc_lo
	v_mov_b32_e32 v9, v10
	s_delay_alu instid0(VALU_DEP_2)
	v_mov_b32_e32 v10, v11
; %bb.20:
	s_wait_alu 0xfffe
	s_or_b32 exec_lo, exec_lo, s1
	v_mov_b32_dpp v14, v12 row_shr:2 row_mask:0xf bank_mask:0xf
	v_mov_b32_dpp v13, v11 row_shr:2 row_mask:0xf bank_mask:0xf
	s_mov_b32 s1, exec_lo
	v_cmpx_lt_u32_e32 1, v34
; %bb.21:
	s_delay_alu instid0(VALU_DEP_3) | instskip(SKIP_2) | instid1(VALU_DEP_2)
	v_add_co_u32 v12, vcc_lo, v9, v14
	s_wait_alu 0xfffd
	v_add_co_ci_u32_e64 v9, null, 0, v10, vcc_lo
	v_add_co_u32 v10, vcc_lo, 0, v12
	s_wait_alu 0xfffd
	s_delay_alu instid0(VALU_DEP_2) | instskip(NEXT) | instid1(VALU_DEP_2)
	v_add_co_ci_u32_e64 v11, null, v13, v9, vcc_lo
	v_mov_b32_e32 v9, v10
	s_delay_alu instid0(VALU_DEP_2)
	v_mov_b32_e32 v10, v11
; %bb.22:
	s_wait_alu 0xfffe
	s_or_b32 exec_lo, exec_lo, s1
	v_mov_b32_dpp v14, v12 row_shr:4 row_mask:0xf bank_mask:0xf
	v_mov_b32_dpp v13, v11 row_shr:4 row_mask:0xf bank_mask:0xf
	s_mov_b32 s1, exec_lo
	v_cmpx_lt_u32_e32 3, v34
	;; [unrolled: 19-line block ×3, first 2 shown]
; %bb.25:
	s_delay_alu instid0(VALU_DEP_3) | instskip(SKIP_2) | instid1(VALU_DEP_2)
	v_add_co_u32 v12, vcc_lo, v9, v14
	s_wait_alu 0xfffd
	v_add_co_ci_u32_e64 v10, null, 0, v10, vcc_lo
	v_add_co_u32 v9, vcc_lo, 0, v12
	s_wait_alu 0xfffd
	s_delay_alu instid0(VALU_DEP_2) | instskip(NEXT) | instid1(VALU_DEP_1)
	v_add_co_ci_u32_e64 v10, null, v13, v10, vcc_lo
	v_mov_b32_e32 v11, v10
; %bb.26:
	s_wait_alu 0xfffe
	s_or_b32 exec_lo, exec_lo, s1
	ds_swizzle_b32 v13, v12 offset:swizzle(BROADCAST,32,15)
	ds_swizzle_b32 v11, v11 offset:swizzle(BROADCAST,32,15)
	v_and_b32_e32 v14, 16, v33
	s_mov_b32 s1, exec_lo
	s_delay_alu instid0(VALU_DEP_1)
	v_cmpx_ne_u32_e32 0, v14
	s_cbranch_execz .LBB1754_28
; %bb.27:
	s_wait_dscnt 0x1
	v_add_co_u32 v12, vcc_lo, v9, v13
	s_wait_alu 0xfffd
	v_add_co_ci_u32_e64 v10, null, 0, v10, vcc_lo
	s_delay_alu instid0(VALU_DEP_2) | instskip(SKIP_2) | instid1(VALU_DEP_2)
	v_add_co_u32 v9, vcc_lo, 0, v12
	s_wait_dscnt 0x0
	s_wait_alu 0xfffd
	v_add_co_ci_u32_e64 v10, null, v11, v10, vcc_lo
.LBB1754_28:
	s_wait_alu 0xfffe
	s_or_b32 exec_lo, exec_lo, s1
	s_wait_dscnt 0x1
	v_or_b32_e32 v13, 31, v0
	s_wait_dscnt 0x0
	v_lshrrev_b32_e32 v11, 5, v0
	s_mov_b32 s1, exec_lo
	s_delay_alu instid0(VALU_DEP_2)
	v_cmpx_eq_u32_e64 v0, v13
; %bb.29:
	s_delay_alu instid0(VALU_DEP_2)
	v_lshlrev_b32_e32 v13, 3, v11
	ds_store_b64 v13, v[9:10]
; %bb.30:
	s_wait_alu 0xfffe
	s_or_b32 exec_lo, exec_lo, s1
	s_delay_alu instid0(SALU_CYCLE_1)
	s_mov_b32 s1, exec_lo
	s_wait_loadcnt_dscnt 0x0
	s_barrier_signal -1
	s_barrier_wait -1
	global_inv scope:SCOPE_SE
	v_cmpx_gt_u32_e32 8, v0
	s_cbranch_execz .LBB1754_38
; %bb.31:
	v_lshlrev_b32_e32 v13, 3, v0
	s_mov_b32 s3, exec_lo
	ds_load_b64 v[9:10], v13
	s_wait_dscnt 0x0
	v_dual_mov_b32 v15, v9 :: v_dual_and_b32 v14, 7, v33
	v_mov_b32_dpp v21, v9 row_shr:1 row_mask:0xf bank_mask:0xf
	v_mov_b32_dpp v16, v10 row_shr:1 row_mask:0xf bank_mask:0xf
	s_delay_alu instid0(VALU_DEP_3)
	v_cmpx_ne_u32_e32 0, v14
; %bb.32:
	s_delay_alu instid0(VALU_DEP_3) | instskip(SKIP_2) | instid1(VALU_DEP_2)
	v_add_co_u32 v15, vcc_lo, v9, v21
	s_wait_alu 0xfffd
	v_add_co_ci_u32_e64 v10, null, 0, v10, vcc_lo
	v_add_co_u32 v9, vcc_lo, 0, v15
	s_wait_alu 0xfffd
	s_delay_alu instid0(VALU_DEP_2)
	v_add_co_ci_u32_e64 v10, null, v16, v10, vcc_lo
; %bb.33:
	s_wait_alu 0xfffe
	s_or_b32 exec_lo, exec_lo, s3
	v_mov_b32_dpp v21, v15 row_shr:2 row_mask:0xf bank_mask:0xf
	s_delay_alu instid0(VALU_DEP_2)
	v_mov_b32_dpp v16, v10 row_shr:2 row_mask:0xf bank_mask:0xf
	s_mov_b32 s3, exec_lo
	v_cmpx_lt_u32_e32 1, v14
; %bb.34:
	s_delay_alu instid0(VALU_DEP_3) | instskip(SKIP_2) | instid1(VALU_DEP_2)
	v_add_co_u32 v15, vcc_lo, v9, v21
	s_wait_alu 0xfffd
	v_add_co_ci_u32_e64 v10, null, 0, v10, vcc_lo
	v_add_co_u32 v9, vcc_lo, 0, v15
	s_wait_alu 0xfffd
	s_delay_alu instid0(VALU_DEP_2)
	v_add_co_ci_u32_e64 v10, null, v16, v10, vcc_lo
; %bb.35:
	s_wait_alu 0xfffe
	s_or_b32 exec_lo, exec_lo, s3
	v_mov_b32_dpp v16, v15 row_shr:4 row_mask:0xf bank_mask:0xf
	s_delay_alu instid0(VALU_DEP_2)
	v_mov_b32_dpp v15, v10 row_shr:4 row_mask:0xf bank_mask:0xf
	s_mov_b32 s3, exec_lo
	v_cmpx_lt_u32_e32 3, v14
; %bb.36:
	s_delay_alu instid0(VALU_DEP_3) | instskip(SKIP_2) | instid1(VALU_DEP_2)
	v_add_co_u32 v9, vcc_lo, v9, v16
	s_wait_alu 0xfffd
	v_add_co_ci_u32_e64 v10, null, 0, v10, vcc_lo
	v_add_co_u32 v9, vcc_lo, v9, 0
	s_wait_alu 0xfffd
	s_delay_alu instid0(VALU_DEP_2)
	v_add_co_ci_u32_e64 v10, null, v10, v15, vcc_lo
; %bb.37:
	s_wait_alu 0xfffe
	s_or_b32 exec_lo, exec_lo, s3
	ds_store_b64 v13, v[9:10]
.LBB1754_38:
	s_wait_alu 0xfffe
	s_or_b32 exec_lo, exec_lo, s1
	s_delay_alu instid0(SALU_CYCLE_1)
	s_mov_b32 s3, exec_lo
	v_cmp_gt_u32_e32 vcc_lo, 32, v0
	s_wait_loadcnt_dscnt 0x0
	s_barrier_signal -1
	s_barrier_wait -1
	global_inv scope:SCOPE_SE
                                        ; implicit-def: $vgpr21_vgpr22
	v_cmpx_lt_u32_e32 31, v0
	s_cbranch_execz .LBB1754_40
; %bb.39:
	v_lshl_add_u32 v9, v11, 3, -8
	ds_load_b64 v[21:22], v9
	s_wait_dscnt 0x0
	v_add_nc_u32_e32 v12, v12, v21
.LBB1754_40:
	s_wait_alu 0xfffe
	s_or_b32 exec_lo, exec_lo, s3
	v_sub_co_u32 v9, s1, v33, 1
	s_delay_alu instid0(VALU_DEP_1) | instskip(SKIP_1) | instid1(VALU_DEP_1)
	v_cmp_gt_i32_e64 s3, 0, v9
	s_wait_alu 0xf1ff
	v_cndmask_b32_e64 v9, v9, v33, s3
	s_delay_alu instid0(VALU_DEP_1)
	v_lshlrev_b32_e32 v9, 2, v9
	ds_bpermute_b32 v35, v9, v12
	s_and_saveexec_b32 s3, vcc_lo
	s_cbranch_execz .LBB1754_79
; %bb.41:
	v_mov_b32_e32 v12, 0
	ds_load_b64 v[9:10], v12 offset:56
	s_and_saveexec_b32 s4, s1
	s_cbranch_execz .LBB1754_43
; %bb.42:
	s_add_co_i32 s14, s10, 32
	s_mov_b32 s15, 0
	s_wait_alu 0xfffe
	s_lshl_b64 s[14:15], s[14:15], 4
	s_wait_alu 0xfffe
	s_add_nc_u64 s[14:15], s[12:13], s[14:15]
	v_mov_b32_e32 v11, 1
	s_wait_alu 0xfffe
	v_dual_mov_b32 v13, s14 :: v_dual_mov_b32 v14, s15
	s_wait_dscnt 0x0
	;;#ASMSTART
	global_store_b128 v[13:14], v[9:12] off scope:SCOPE_DEV	
s_wait_storecnt 0x0
	;;#ASMEND
.LBB1754_43:
	s_wait_alu 0xfffe
	s_or_b32 exec_lo, exec_lo, s4
	v_xad_u32 v23, v33, -1, s10
	s_mov_b32 s5, 0
	s_mov_b32 s4, exec_lo
	s_delay_alu instid0(VALU_DEP_1) | instskip(NEXT) | instid1(VALU_DEP_1)
	v_add_nc_u32_e32 v11, 32, v23
	v_lshlrev_b64_e32 v[11:12], 4, v[11:12]
	s_delay_alu instid0(VALU_DEP_1) | instskip(SKIP_1) | instid1(VALU_DEP_2)
	v_add_co_u32 v11, vcc_lo, s12, v11
	s_wait_alu 0xfffd
	v_add_co_ci_u32_e64 v12, null, s13, v12, vcc_lo
	;;#ASMSTART
	global_load_b128 v[13:16], v[11:12] off scope:SCOPE_DEV	
s_wait_loadcnt 0x0
	;;#ASMEND
	v_and_b32_e32 v16, 0xff, v15
	s_delay_alu instid0(VALU_DEP_1)
	v_cmpx_eq_u16_e32 0, v16
	s_cbranch_execz .LBB1754_46
.LBB1754_44:                            ; =>This Inner Loop Header: Depth=1
	;;#ASMSTART
	global_load_b128 v[13:16], v[11:12] off scope:SCOPE_DEV	
s_wait_loadcnt 0x0
	;;#ASMEND
	v_and_b32_e32 v16, 0xff, v15
	s_delay_alu instid0(VALU_DEP_1)
	v_cmp_ne_u16_e32 vcc_lo, 0, v16
	s_wait_alu 0xfffe
	s_or_b32 s5, vcc_lo, s5
	s_wait_alu 0xfffe
	s_and_not1_b32 exec_lo, exec_lo, s5
	s_cbranch_execnz .LBB1754_44
; %bb.45:
	s_or_b32 exec_lo, exec_lo, s5
.LBB1754_46:
	s_wait_alu 0xfffe
	s_or_b32 exec_lo, exec_lo, s4
	v_cmp_ne_u32_e32 vcc_lo, 31, v33
	v_and_b32_e32 v12, 0xff, v15
	v_lshlrev_b32_e64 v37, v33, -1
	s_mov_b32 s4, exec_lo
	s_wait_alu 0xfffd
	v_add_co_ci_u32_e64 v11, null, 0, v33, vcc_lo
	v_cmp_eq_u16_e32 vcc_lo, 2, v12
	v_mov_b32_e32 v12, v13
	s_delay_alu instid0(VALU_DEP_3)
	v_lshlrev_b32_e32 v36, 2, v11
	s_wait_alu 0xfffd
	v_and_or_b32 v11, vcc_lo, v37, 0x80000000
	ds_bpermute_b32 v24, v36, v13
	ds_bpermute_b32 v16, v36, v14
	v_ctz_i32_b32_e32 v11, v11
	s_delay_alu instid0(VALU_DEP_1)
	v_cmpx_lt_u32_e64 v33, v11
	s_cbranch_execz .LBB1754_48
; %bb.47:
	s_wait_dscnt 0x1
	v_add_co_u32 v12, vcc_lo, v13, v24
	s_wait_alu 0xfffd
	v_add_co_ci_u32_e64 v14, null, 0, v14, vcc_lo
	s_delay_alu instid0(VALU_DEP_2) | instskip(SKIP_2) | instid1(VALU_DEP_2)
	v_add_co_u32 v13, vcc_lo, 0, v12
	s_wait_dscnt 0x0
	s_wait_alu 0xfffd
	v_add_co_ci_u32_e64 v14, null, v16, v14, vcc_lo
.LBB1754_48:
	s_wait_alu 0xfffe
	s_or_b32 exec_lo, exec_lo, s4
	v_cmp_gt_u32_e32 vcc_lo, 30, v33
	v_add_nc_u32_e32 v39, 2, v33
	s_mov_b32 s4, exec_lo
	s_wait_dscnt 0x0
	s_wait_alu 0xfffd
	v_cndmask_b32_e64 v16, 0, 2, vcc_lo
	s_delay_alu instid0(VALU_DEP_1)
	v_add_lshl_u32 v38, v16, v33, 2
	ds_bpermute_b32 v24, v38, v12
	ds_bpermute_b32 v16, v38, v14
	v_cmpx_le_u32_e64 v39, v11
	s_cbranch_execz .LBB1754_50
; %bb.49:
	s_wait_dscnt 0x1
	v_add_co_u32 v12, vcc_lo, v13, v24
	s_wait_alu 0xfffd
	v_add_co_ci_u32_e64 v14, null, 0, v14, vcc_lo
	s_delay_alu instid0(VALU_DEP_2) | instskip(SKIP_2) | instid1(VALU_DEP_2)
	v_add_co_u32 v13, vcc_lo, 0, v12
	s_wait_dscnt 0x0
	s_wait_alu 0xfffd
	v_add_co_ci_u32_e64 v14, null, v16, v14, vcc_lo
.LBB1754_50:
	s_wait_alu 0xfffe
	s_or_b32 exec_lo, exec_lo, s4
	v_cmp_gt_u32_e32 vcc_lo, 28, v33
	v_add_nc_u32_e32 v41, 4, v33
	s_mov_b32 s4, exec_lo
	s_wait_dscnt 0x0
	s_wait_alu 0xfffd
	v_cndmask_b32_e64 v16, 0, 4, vcc_lo
	s_delay_alu instid0(VALU_DEP_1)
	v_add_lshl_u32 v40, v16, v33, 2
	ds_bpermute_b32 v24, v40, v12
	ds_bpermute_b32 v16, v40, v14
	v_cmpx_le_u32_e64 v41, v11
	;; [unrolled: 25-line block ×3, first 2 shown]
	s_cbranch_execz .LBB1754_54
; %bb.53:
	s_wait_dscnt 0x1
	v_add_co_u32 v12, vcc_lo, v13, v24
	s_wait_alu 0xfffd
	v_add_co_ci_u32_e64 v14, null, 0, v14, vcc_lo
	s_delay_alu instid0(VALU_DEP_2) | instskip(SKIP_2) | instid1(VALU_DEP_2)
	v_add_co_u32 v13, vcc_lo, 0, v12
	s_wait_dscnt 0x0
	s_wait_alu 0xfffd
	v_add_co_ci_u32_e64 v14, null, v16, v14, vcc_lo
.LBB1754_54:
	s_wait_alu 0xfffe
	s_or_b32 exec_lo, exec_lo, s4
	v_lshl_or_b32 v44, v33, 2, 64
	v_add_nc_u32_e32 v45, 16, v33
	s_mov_b32 s4, exec_lo
	s_wait_dscnt 0x0
	ds_bpermute_b32 v16, v44, v12
	ds_bpermute_b32 v12, v44, v14
	v_cmpx_le_u32_e64 v45, v11
	s_cbranch_execz .LBB1754_56
; %bb.55:
	s_wait_dscnt 0x1
	v_add_co_u32 v11, vcc_lo, v13, v16
	s_wait_alu 0xfffd
	v_add_co_ci_u32_e64 v14, null, 0, v14, vcc_lo
	s_delay_alu instid0(VALU_DEP_2) | instskip(SKIP_2) | instid1(VALU_DEP_2)
	v_add_co_u32 v13, vcc_lo, v11, 0
	s_wait_dscnt 0x0
	s_wait_alu 0xfffd
	v_add_co_ci_u32_e64 v14, null, v14, v12, vcc_lo
.LBB1754_56:
	s_wait_alu 0xfffe
	s_or_b32 exec_lo, exec_lo, s4
	v_mov_b32_e32 v24, 0
	s_branch .LBB1754_59
.LBB1754_57:                            ;   in Loop: Header=BB1754_59 Depth=1
	s_wait_alu 0xfffe
	s_or_b32 exec_lo, exec_lo, s4
	v_add_co_u32 v13, vcc_lo, v13, v11
	v_subrev_nc_u32_e32 v23, 32, v23
	s_wait_alu 0xfffd
	v_add_co_ci_u32_e64 v14, null, v14, v12, vcc_lo
	s_mov_b32 s4, 0
.LBB1754_58:                            ;   in Loop: Header=BB1754_59 Depth=1
	s_wait_alu 0xfffe
	s_and_b32 vcc_lo, exec_lo, s4
	s_wait_alu 0xfffe
	s_cbranch_vccnz .LBB1754_75
.LBB1754_59:                            ; =>This Loop Header: Depth=1
                                        ;     Child Loop BB1754_62 Depth 2
	v_and_b32_e32 v11, 0xff, v15
	s_mov_b32 s4, -1
	s_delay_alu instid0(VALU_DEP_1)
	v_cmp_ne_u16_e32 vcc_lo, 2, v11
	s_wait_dscnt 0x0
	v_dual_mov_b32 v11, v13 :: v_dual_mov_b32 v12, v14
                                        ; implicit-def: $vgpr13_vgpr14
	s_cmp_lg_u32 vcc_lo, exec_lo
	s_cbranch_scc1 .LBB1754_58
; %bb.60:                               ;   in Loop: Header=BB1754_59 Depth=1
	v_lshlrev_b64_e32 v[13:14], 4, v[23:24]
	s_mov_b32 s4, exec_lo
	s_delay_alu instid0(VALU_DEP_1) | instskip(SKIP_1) | instid1(VALU_DEP_2)
	v_add_co_u32 v25, vcc_lo, s12, v13
	s_wait_alu 0xfffd
	v_add_co_ci_u32_e64 v26, null, s13, v14, vcc_lo
	;;#ASMSTART
	global_load_b128 v[13:16], v[25:26] off scope:SCOPE_DEV	
s_wait_loadcnt 0x0
	;;#ASMEND
	v_and_b32_e32 v16, 0xff, v15
	s_delay_alu instid0(VALU_DEP_1)
	v_cmpx_eq_u16_e32 0, v16
	s_cbranch_execz .LBB1754_64
; %bb.61:                               ;   in Loop: Header=BB1754_59 Depth=1
	s_mov_b32 s5, 0
.LBB1754_62:                            ;   Parent Loop BB1754_59 Depth=1
                                        ; =>  This Inner Loop Header: Depth=2
	;;#ASMSTART
	global_load_b128 v[13:16], v[25:26] off scope:SCOPE_DEV	
s_wait_loadcnt 0x0
	;;#ASMEND
	v_and_b32_e32 v16, 0xff, v15
	s_delay_alu instid0(VALU_DEP_1)
	v_cmp_ne_u16_e32 vcc_lo, 0, v16
	s_wait_alu 0xfffe
	s_or_b32 s5, vcc_lo, s5
	s_wait_alu 0xfffe
	s_and_not1_b32 exec_lo, exec_lo, s5
	s_cbranch_execnz .LBB1754_62
; %bb.63:                               ;   in Loop: Header=BB1754_59 Depth=1
	s_or_b32 exec_lo, exec_lo, s5
.LBB1754_64:                            ;   in Loop: Header=BB1754_59 Depth=1
	s_wait_alu 0xfffe
	s_or_b32 exec_lo, exec_lo, s4
	v_dual_mov_b32 v25, v13 :: v_dual_and_b32 v16, 0xff, v15
	ds_bpermute_b32 v46, v36, v13
	ds_bpermute_b32 v26, v36, v14
	s_mov_b32 s4, exec_lo
	v_cmp_eq_u16_e32 vcc_lo, 2, v16
	s_wait_alu 0xfffd
	v_and_or_b32 v16, vcc_lo, v37, 0x80000000
	s_delay_alu instid0(VALU_DEP_1) | instskip(NEXT) | instid1(VALU_DEP_1)
	v_ctz_i32_b32_e32 v16, v16
	v_cmpx_lt_u32_e64 v33, v16
	s_cbranch_execz .LBB1754_66
; %bb.65:                               ;   in Loop: Header=BB1754_59 Depth=1
	s_wait_dscnt 0x1
	v_add_co_u32 v25, vcc_lo, v13, v46
	s_wait_alu 0xfffd
	v_add_co_ci_u32_e64 v14, null, 0, v14, vcc_lo
	s_delay_alu instid0(VALU_DEP_2) | instskip(SKIP_2) | instid1(VALU_DEP_2)
	v_add_co_u32 v13, vcc_lo, 0, v25
	s_wait_dscnt 0x0
	s_wait_alu 0xfffd
	v_add_co_ci_u32_e64 v14, null, v26, v14, vcc_lo
.LBB1754_66:                            ;   in Loop: Header=BB1754_59 Depth=1
	s_wait_alu 0xfffe
	s_or_b32 exec_lo, exec_lo, s4
	s_wait_dscnt 0x1
	ds_bpermute_b32 v46, v38, v25
	s_wait_dscnt 0x1
	ds_bpermute_b32 v26, v38, v14
	s_mov_b32 s4, exec_lo
	v_cmpx_le_u32_e64 v39, v16
	s_cbranch_execz .LBB1754_68
; %bb.67:                               ;   in Loop: Header=BB1754_59 Depth=1
	s_wait_dscnt 0x1
	v_add_co_u32 v25, vcc_lo, v13, v46
	s_wait_alu 0xfffd
	v_add_co_ci_u32_e64 v14, null, 0, v14, vcc_lo
	s_delay_alu instid0(VALU_DEP_2) | instskip(SKIP_2) | instid1(VALU_DEP_2)
	v_add_co_u32 v13, vcc_lo, 0, v25
	s_wait_dscnt 0x0
	s_wait_alu 0xfffd
	v_add_co_ci_u32_e64 v14, null, v26, v14, vcc_lo
.LBB1754_68:                            ;   in Loop: Header=BB1754_59 Depth=1
	s_wait_alu 0xfffe
	s_or_b32 exec_lo, exec_lo, s4
	s_wait_dscnt 0x1
	ds_bpermute_b32 v46, v40, v25
	s_wait_dscnt 0x1
	ds_bpermute_b32 v26, v40, v14
	s_mov_b32 s4, exec_lo
	v_cmpx_le_u32_e64 v41, v16
	;; [unrolled: 20-line block ×3, first 2 shown]
	s_cbranch_execz .LBB1754_72
; %bb.71:                               ;   in Loop: Header=BB1754_59 Depth=1
	s_wait_dscnt 0x1
	v_add_co_u32 v25, vcc_lo, v13, v46
	s_wait_alu 0xfffd
	v_add_co_ci_u32_e64 v14, null, 0, v14, vcc_lo
	s_delay_alu instid0(VALU_DEP_2) | instskip(SKIP_2) | instid1(VALU_DEP_2)
	v_add_co_u32 v13, vcc_lo, 0, v25
	s_wait_dscnt 0x0
	s_wait_alu 0xfffd
	v_add_co_ci_u32_e64 v14, null, v26, v14, vcc_lo
.LBB1754_72:                            ;   in Loop: Header=BB1754_59 Depth=1
	s_wait_alu 0xfffe
	s_or_b32 exec_lo, exec_lo, s4
	s_wait_dscnt 0x0
	ds_bpermute_b32 v26, v44, v25
	ds_bpermute_b32 v25, v44, v14
	s_mov_b32 s4, exec_lo
	v_cmpx_le_u32_e64 v45, v16
	s_cbranch_execz .LBB1754_57
; %bb.73:                               ;   in Loop: Header=BB1754_59 Depth=1
	s_wait_dscnt 0x1
	v_add_co_u32 v13, vcc_lo, v13, v26
	s_wait_alu 0xfffd
	v_add_co_ci_u32_e64 v14, null, 0, v14, vcc_lo
	s_delay_alu instid0(VALU_DEP_2) | instskip(SKIP_2) | instid1(VALU_DEP_2)
	v_add_co_u32 v13, vcc_lo, v13, 0
	s_wait_dscnt 0x0
	s_wait_alu 0xfffd
	v_add_co_ci_u32_e64 v14, null, v14, v25, vcc_lo
	s_branch .LBB1754_57
.LBB1754_74:
                                        ; implicit-def: $vgpr13_vgpr14
                                        ; implicit-def: $vgpr21_vgpr22
                                        ; implicit-def: $vgpr11_vgpr12
                                        ; implicit-def: $vgpr14_vgpr15
                                        ; implicit-def: $vgpr15_vgpr16
	s_wait_alu 0xfffe
	s_and_b32 vcc_lo, exec_lo, s1
	s_wait_alu 0xfffe
	s_cbranch_vccnz .LBB1754_80
	s_branch .LBB1754_105
.LBB1754_75:
	s_and_saveexec_b32 s4, s1
	s_cbranch_execz .LBB1754_77
; %bb.76:
	s_add_co_i32 s10, s10, 32
	s_mov_b32 s11, 0
	v_add_co_u32 v13, vcc_lo, v11, v9
	s_wait_alu 0xfffe
	s_lshl_b64 s[10:11], s[10:11], 4
	v_dual_mov_b32 v15, 2 :: v_dual_mov_b32 v16, 0
	s_wait_alu 0xfffe
	s_add_nc_u64 s[10:11], s[12:13], s[10:11]
	s_wait_alu 0xfffd
	v_add_co_ci_u32_e64 v14, null, v12, v10, vcc_lo
	s_wait_alu 0xfffe
	v_dual_mov_b32 v24, s11 :: v_dual_mov_b32 v23, s10
	;;#ASMSTART
	global_store_b128 v[23:24], v[13:16] off scope:SCOPE_DEV	
s_wait_storecnt 0x0
	;;#ASMEND
	ds_store_b128 v16, v[9:12] offset:8448
.LBB1754_77:
	s_wait_alu 0xfffe
	s_or_b32 exec_lo, exec_lo, s4
	s_delay_alu instid0(SALU_CYCLE_1)
	s_and_b32 exec_lo, exec_lo, s2
; %bb.78:
	v_mov_b32_e32 v9, 0
	ds_store_b64 v9, v[11:12] offset:56
.LBB1754_79:
	s_wait_alu 0xfffe
	s_or_b32 exec_lo, exec_lo, s3
	v_mov_b32_e32 v9, 0
	s_wait_loadcnt_dscnt 0x0
	s_barrier_signal -1
	s_barrier_wait -1
	global_inv scope:SCOPE_SE
	ds_load_b64 v[13:14], v9 offset:56
	v_cndmask_b32_e64 v11, v35, v21, s1
	v_cndmask_b32_e64 v10, 0, v22, s1
	s_wait_loadcnt_dscnt 0x0
	s_barrier_signal -1
	s_barrier_wait -1
	v_cndmask_b32_e64 v16, v11, 0, s2
	v_cndmask_b32_e64 v15, v10, 0, s2
	global_inv scope:SCOPE_SE
	ds_load_b128 v[9:12], v9 offset:8448
	v_add_co_u32 v21, vcc_lo, v13, v16
	s_wait_alu 0xfffd
	v_add_co_ci_u32_e64 v13, null, v14, v15, vcc_lo
	s_delay_alu instid0(VALU_DEP_2) | instskip(SKIP_1) | instid1(VALU_DEP_2)
	v_add_co_u32 v15, vcc_lo, v21, v31
	s_wait_alu 0xfffd
	v_add_co_ci_u32_e64 v13, null, 0, v13, vcc_lo
	s_delay_alu instid0(VALU_DEP_2) | instskip(SKIP_1) | instid1(VALU_DEP_2)
	;; [unrolled: 4-line block ×3, first 2 shown]
	v_add_co_u32 v13, vcc_lo, v14, v32
	s_wait_alu 0xfffd
	v_add_co_ci_u32_e64 v16, null, 0, v16, vcc_lo
	s_branch .LBB1754_105
.LBB1754_80:
	s_wait_dscnt 0x0
	v_dual_mov_b32 v10, 0 :: v_dual_mov_b32 v11, v19
	v_mov_b32_dpp v12, v19 row_shr:1 row_mask:0xf bank_mask:0xf
	s_delay_alu instid0(VALU_DEP_2)
	v_mov_b32_dpp v9, v10 row_shr:1 row_mask:0xf bank_mask:0xf
	s_and_saveexec_b32 s1, s0
; %bb.81:
	s_delay_alu instid0(VALU_DEP_2) | instskip(SKIP_2) | instid1(VALU_DEP_2)
	v_add_co_u32 v11, vcc_lo, v19, v12
	s_wait_alu 0xfffd
	v_add_co_ci_u32_e64 v10, null, 0, v20, vcc_lo
	v_add_co_u32 v19, vcc_lo, 0, v11
	s_wait_alu 0xfffd
	s_delay_alu instid0(VALU_DEP_2) | instskip(NEXT) | instid1(VALU_DEP_1)
	v_add_co_ci_u32_e64 v20, null, v9, v10, vcc_lo
	v_mov_b32_e32 v10, v20
; %bb.82:
	s_wait_alu 0xfffe
	s_or_b32 exec_lo, exec_lo, s1
	v_mov_b32_dpp v9, v11 row_shr:2 row_mask:0xf bank_mask:0xf
	s_delay_alu instid0(VALU_DEP_2)
	v_mov_b32_dpp v12, v10 row_shr:2 row_mask:0xf bank_mask:0xf
	s_mov_b32 s0, exec_lo
	v_cmpx_lt_u32_e32 1, v34
; %bb.83:
	s_delay_alu instid0(VALU_DEP_3) | instskip(SKIP_2) | instid1(VALU_DEP_2)
	v_add_co_u32 v11, vcc_lo, v19, v9
	s_wait_alu 0xfffd
	v_add_co_ci_u32_e64 v10, null, 0, v20, vcc_lo
	v_add_co_u32 v9, vcc_lo, 0, v11
	s_wait_alu 0xfffd
	s_delay_alu instid0(VALU_DEP_2) | instskip(NEXT) | instid1(VALU_DEP_1)
	v_add_co_ci_u32_e64 v10, null, v12, v10, vcc_lo
	v_dual_mov_b32 v20, v10 :: v_dual_mov_b32 v19, v9
; %bb.84:
	s_wait_alu 0xfffe
	s_or_b32 exec_lo, exec_lo, s0
	v_mov_b32_dpp v9, v11 row_shr:4 row_mask:0xf bank_mask:0xf
	v_mov_b32_dpp v12, v10 row_shr:4 row_mask:0xf bank_mask:0xf
	s_mov_b32 s0, exec_lo
	v_cmpx_lt_u32_e32 3, v34
; %bb.85:
	s_delay_alu instid0(VALU_DEP_3) | instskip(SKIP_2) | instid1(VALU_DEP_2)
	v_add_co_u32 v11, vcc_lo, v19, v9
	s_wait_alu 0xfffd
	v_add_co_ci_u32_e64 v10, null, 0, v20, vcc_lo
	v_add_co_u32 v9, vcc_lo, 0, v11
	s_wait_alu 0xfffd
	s_delay_alu instid0(VALU_DEP_2) | instskip(NEXT) | instid1(VALU_DEP_1)
	v_add_co_ci_u32_e64 v10, null, v12, v10, vcc_lo
	v_dual_mov_b32 v20, v10 :: v_dual_mov_b32 v19, v9
; %bb.86:
	s_wait_alu 0xfffe
	s_or_b32 exec_lo, exec_lo, s0
	v_mov_b32_dpp v12, v11 row_shr:8 row_mask:0xf bank_mask:0xf
	v_mov_b32_dpp v9, v10 row_shr:8 row_mask:0xf bank_mask:0xf
	s_mov_b32 s0, exec_lo
	v_cmpx_lt_u32_e32 7, v34
; %bb.87:
	s_delay_alu instid0(VALU_DEP_3) | instskip(SKIP_2) | instid1(VALU_DEP_2)
	v_add_co_u32 v11, vcc_lo, v19, v12
	s_wait_alu 0xfffd
	v_add_co_ci_u32_e64 v10, null, 0, v20, vcc_lo
	v_add_co_u32 v19, vcc_lo, 0, v11
	s_wait_alu 0xfffd
	s_delay_alu instid0(VALU_DEP_2) | instskip(NEXT) | instid1(VALU_DEP_1)
	v_add_co_ci_u32_e64 v20, null, v9, v10, vcc_lo
	v_mov_b32_e32 v10, v20
; %bb.88:
	s_wait_alu 0xfffe
	s_or_b32 exec_lo, exec_lo, s0
	ds_swizzle_b32 v11, v11 offset:swizzle(BROADCAST,32,15)
	ds_swizzle_b32 v9, v10 offset:swizzle(BROADCAST,32,15)
	v_and_b32_e32 v10, 16, v33
	s_mov_b32 s0, exec_lo
	s_delay_alu instid0(VALU_DEP_1)
	v_cmpx_ne_u32_e32 0, v10
	s_cbranch_execz .LBB1754_90
; %bb.89:
	s_wait_dscnt 0x1
	v_add_co_u32 v10, vcc_lo, v19, v11
	s_wait_alu 0xfffd
	v_add_co_ci_u32_e64 v11, null, 0, v20, vcc_lo
	s_delay_alu instid0(VALU_DEP_2) | instskip(SKIP_2) | instid1(VALU_DEP_2)
	v_add_co_u32 v19, vcc_lo, v10, 0
	s_wait_dscnt 0x0
	s_wait_alu 0xfffd
	v_add_co_ci_u32_e64 v20, null, v11, v9, vcc_lo
.LBB1754_90:
	s_wait_alu 0xfffe
	s_or_b32 exec_lo, exec_lo, s0
	s_wait_dscnt 0x0
	v_or_b32_e32 v9, 31, v0
	v_lshrrev_b32_e32 v11, 5, v0
	s_mov_b32 s0, exec_lo
	s_delay_alu instid0(VALU_DEP_2)
	v_cmpx_eq_u32_e64 v0, v9
; %bb.91:
	s_delay_alu instid0(VALU_DEP_2)
	v_lshlrev_b32_e32 v9, 3, v11
	ds_store_b64 v9, v[19:20]
; %bb.92:
	s_wait_alu 0xfffe
	s_or_b32 exec_lo, exec_lo, s0
	s_delay_alu instid0(SALU_CYCLE_1)
	s_mov_b32 s0, exec_lo
	s_wait_loadcnt_dscnt 0x0
	s_barrier_signal -1
	s_barrier_wait -1
	global_inv scope:SCOPE_SE
	v_cmpx_gt_u32_e32 8, v0
	s_cbranch_execz .LBB1754_100
; %bb.93:
	v_lshlrev_b32_e32 v12, 3, v0
	s_mov_b32 s1, exec_lo
	ds_load_b64 v[9:10], v12
	s_wait_dscnt 0x0
	v_dual_mov_b32 v14, v9 :: v_dual_and_b32 v13, 7, v33
	v_mov_b32_dpp v16, v9 row_shr:1 row_mask:0xf bank_mask:0xf
	v_mov_b32_dpp v15, v10 row_shr:1 row_mask:0xf bank_mask:0xf
	s_delay_alu instid0(VALU_DEP_3)
	v_cmpx_ne_u32_e32 0, v13
; %bb.94:
	s_delay_alu instid0(VALU_DEP_3) | instskip(SKIP_2) | instid1(VALU_DEP_2)
	v_add_co_u32 v14, vcc_lo, v9, v16
	s_wait_alu 0xfffd
	v_add_co_ci_u32_e64 v10, null, 0, v10, vcc_lo
	v_add_co_u32 v9, vcc_lo, 0, v14
	s_wait_alu 0xfffd
	s_delay_alu instid0(VALU_DEP_2)
	v_add_co_ci_u32_e64 v10, null, v15, v10, vcc_lo
; %bb.95:
	s_wait_alu 0xfffe
	s_or_b32 exec_lo, exec_lo, s1
	v_mov_b32_dpp v16, v14 row_shr:2 row_mask:0xf bank_mask:0xf
	s_delay_alu instid0(VALU_DEP_2)
	v_mov_b32_dpp v15, v10 row_shr:2 row_mask:0xf bank_mask:0xf
	s_mov_b32 s1, exec_lo
	v_cmpx_lt_u32_e32 1, v13
; %bb.96:
	s_delay_alu instid0(VALU_DEP_3) | instskip(SKIP_2) | instid1(VALU_DEP_2)
	v_add_co_u32 v14, vcc_lo, v9, v16
	s_wait_alu 0xfffd
	v_add_co_ci_u32_e64 v10, null, 0, v10, vcc_lo
	v_add_co_u32 v9, vcc_lo, 0, v14
	s_wait_alu 0xfffd
	s_delay_alu instid0(VALU_DEP_2)
	v_add_co_ci_u32_e64 v10, null, v15, v10, vcc_lo
; %bb.97:
	s_wait_alu 0xfffe
	s_or_b32 exec_lo, exec_lo, s1
	v_mov_b32_dpp v15, v14 row_shr:4 row_mask:0xf bank_mask:0xf
	s_delay_alu instid0(VALU_DEP_2)
	v_mov_b32_dpp v14, v10 row_shr:4 row_mask:0xf bank_mask:0xf
	s_mov_b32 s1, exec_lo
	v_cmpx_lt_u32_e32 3, v13
; %bb.98:
	s_delay_alu instid0(VALU_DEP_3) | instskip(SKIP_2) | instid1(VALU_DEP_2)
	v_add_co_u32 v9, vcc_lo, v9, v15
	s_wait_alu 0xfffd
	v_add_co_ci_u32_e64 v10, null, 0, v10, vcc_lo
	v_add_co_u32 v9, vcc_lo, v9, 0
	s_wait_alu 0xfffd
	s_delay_alu instid0(VALU_DEP_2)
	v_add_co_ci_u32_e64 v10, null, v10, v14, vcc_lo
; %bb.99:
	s_wait_alu 0xfffe
	s_or_b32 exec_lo, exec_lo, s1
	ds_store_b64 v12, v[9:10]
.LBB1754_100:
	s_wait_alu 0xfffe
	s_or_b32 exec_lo, exec_lo, s0
	v_mov_b32_e32 v13, 0
	v_mov_b32_e32 v14, 0
	s_mov_b32 s0, exec_lo
	s_wait_loadcnt_dscnt 0x0
	s_barrier_signal -1
	s_barrier_wait -1
	global_inv scope:SCOPE_SE
	v_cmpx_lt_u32_e32 31, v0
; %bb.101:
	v_lshl_add_u32 v0, v11, 3, -8
	ds_load_b64 v[13:14], v0
; %bb.102:
	s_wait_alu 0xfffe
	s_or_b32 exec_lo, exec_lo, s0
	v_sub_co_u32 v0, vcc_lo, v33, 1
	s_wait_dscnt 0x0
	v_dual_mov_b32 v12, 0 :: v_dual_add_nc_u32 v9, v13, v19
	s_delay_alu instid0(VALU_DEP_2) | instskip(SKIP_1) | instid1(VALU_DEP_1)
	v_cmp_gt_i32_e64 s0, 0, v0
	s_wait_alu 0xf1ff
	v_cndmask_b32_e64 v0, v0, v33, s0
	s_delay_alu instid0(VALU_DEP_1)
	v_lshlrev_b32_e32 v0, 2, v0
	ds_bpermute_b32 v0, v0, v9
	ds_load_b64 v[9:10], v12 offset:56
	s_and_saveexec_b32 s0, s2
	s_cbranch_execz .LBB1754_104
; %bb.103:
	s_add_nc_u64 s[4:5], s[12:13], 0x200
	s_wait_alu 0xfffe
	v_dual_mov_b32 v11, 2 :: v_dual_mov_b32 v16, s5
	v_mov_b32_e32 v15, s4
	s_wait_dscnt 0x0
	;;#ASMSTART
	global_store_b128 v[15:16], v[9:12] off scope:SCOPE_DEV	
s_wait_storecnt 0x0
	;;#ASMEND
.LBB1754_104:
	s_wait_alu 0xfffe
	s_or_b32 exec_lo, exec_lo, s0
	s_wait_dscnt 0x1
	s_wait_alu 0xfffd
	v_dual_cndmask_b32 v0, v0, v13 :: v_dual_cndmask_b32 v11, 0, v14
	s_wait_loadcnt_dscnt 0x0
	s_barrier_signal -1
	s_barrier_wait -1
	s_delay_alu instid0(VALU_DEP_1)
	v_cndmask_b32_e64 v21, v0, 0, s2
	v_cndmask_b32_e64 v0, v11, 0, s2
	v_mov_b32_e32 v11, 0
	v_mov_b32_e32 v12, 0
	global_inv scope:SCOPE_SE
	v_add_co_u32 v15, vcc_lo, v21, v31
	s_wait_alu 0xfffd
	v_add_co_ci_u32_e64 v0, null, 0, v0, vcc_lo
	s_delay_alu instid0(VALU_DEP_2) | instskip(SKIP_1) | instid1(VALU_DEP_2)
	v_add_co_u32 v14, vcc_lo, v15, v30
	s_wait_alu 0xfffd
	v_add_co_ci_u32_e64 v0, null, 0, v0, vcc_lo
	s_delay_alu instid0(VALU_DEP_2) | instskip(SKIP_1) | instid1(VALU_DEP_2)
	v_add_co_u32 v13, vcc_lo, v14, v32
	s_wait_alu 0xfffd
	v_add_co_ci_u32_e64 v0, null, 0, v0, vcc_lo
.LBB1754_105:
	s_wait_dscnt 0x0
	v_cmp_gt_u64_e32 vcc_lo, 0x101, v[9:10]
	s_cbranch_vccz .LBB1754_108
; %bb.106:
	s_and_b32 s0, s2, s6
	s_wait_alu 0xfffe
	s_and_saveexec_b32 s1, s0
	s_cbranch_execnz .LBB1754_117
.LBB1754_107:
	s_endpgm
.LBB1754_108:
	v_and_b32_e32 v0, 1, v29
	s_mov_b32 s0, exec_lo
	s_delay_alu instid0(VALU_DEP_1)
	v_cmpx_eq_u32_e32 1, v0
; %bb.109:
	v_sub_nc_u32_e32 v0, v21, v11
	s_delay_alu instid0(VALU_DEP_1)
	v_lshlrev_b32_e32 v0, 3, v0
	ds_store_b64 v0, v[1:2]
; %bb.110:
	s_wait_alu 0xfffe
	s_or_b32 exec_lo, exec_lo, s0
	v_and_b32_e32 v0, 1, v28
	s_mov_b32 s0, exec_lo
	s_delay_alu instid0(VALU_DEP_1)
	v_cmpx_eq_u32_e32 1, v0
; %bb.111:
	v_sub_nc_u32_e32 v0, v15, v11
	s_delay_alu instid0(VALU_DEP_1)
	v_lshlrev_b32_e32 v0, 3, v0
	ds_store_b64 v0, v[5:6]
; %bb.112:
	s_wait_alu 0xfffe
	s_or_b32 exec_lo, exec_lo, s0
	;; [unrolled: 12-line block ×3, first 2 shown]
	s_and_saveexec_b32 s0, s7
; %bb.115:
	v_sub_nc_u32_e32 v0, v13, v11
	s_delay_alu instid0(VALU_DEP_1)
	v_lshlrev_b32_e32 v0, 3, v0
	ds_store_b64 v0, v[3:4]
; %bb.116:
	s_wait_alu 0xfffe
	s_or_b32 exec_lo, exec_lo, s0
	s_wait_loadcnt_dscnt 0x0
	s_barrier_signal -1
	s_barrier_wait -1
	global_inv scope:SCOPE_SE
	s_and_b32 s0, s2, s6
	s_wait_alu 0xfffe
	s_and_saveexec_b32 s1, s0
	s_cbranch_execz .LBB1754_107
.LBB1754_117:
	v_add_co_u32 v0, vcc_lo, v9, v17
	s_wait_alu 0xfffd
	v_add_co_ci_u32_e64 v1, null, v10, v18, vcc_lo
	v_mov_b32_e32 v2, 0
	s_delay_alu instid0(VALU_DEP_3) | instskip(SKIP_1) | instid1(VALU_DEP_3)
	v_add_co_u32 v0, vcc_lo, v0, v11
	s_wait_alu 0xfffd
	v_add_co_ci_u32_e64 v1, null, v1, v12, vcc_lo
	global_store_b64 v2, v[0:1], s[8:9]
	s_endpgm
.LBB1754_118:
	v_dual_mov_b32 v21, v1 :: v_dual_lshlrev_b32 v2, 3, v0
	v_dual_mov_b32 v22, v1 :: v_dual_mov_b32 v23, v1
	v_dual_mov_b32 v24, v1 :: v_dual_mov_b32 v25, v1
	s_delay_alu instid0(VALU_DEP_3)
	v_add_co_u32 v2, vcc_lo, v13, v2
	s_wait_alu 0xfffd
	v_add_co_ci_u32_e64 v3, null, 0, v14, vcc_lo
	v_mov_b32_e32 v26, v1
	flat_load_b64 v[19:20], v[2:3]
	s_wait_loadcnt_dscnt 0x0
	v_dual_mov_b32 v1, v19 :: v_dual_mov_b32 v2, v20
	v_dual_mov_b32 v3, v21 :: v_dual_mov_b32 v4, v22
	;; [unrolled: 1-line block ×4, first 2 shown]
	s_or_b32 exec_lo, exec_lo, s0
	s_delay_alu instid0(SALU_CYCLE_1)
	s_mov_b32 s0, exec_lo
	v_cmpx_gt_u32_e64 s11, v12
	s_cbranch_execz .LBB1754_9
.LBB1754_119:
	v_lshlrev_b32_e32 v3, 3, v0
	s_delay_alu instid0(VALU_DEP_1) | instskip(SKIP_4) | instid1(SALU_CYCLE_1)
	v_add_co_u32 v3, vcc_lo, v13, v3
	s_wait_alu 0xfffd
	v_add_co_ci_u32_e64 v4, null, 0, v14, vcc_lo
	flat_load_b64 v[3:4], v[3:4] offset:2048
	s_or_b32 exec_lo, exec_lo, s0
	s_mov_b32 s0, exec_lo
	v_cmpx_gt_u32_e64 s11, v11
	s_cbranch_execz .LBB1754_10
.LBB1754_120:
	v_lshlrev_b32_e32 v5, 3, v0
	s_delay_alu instid0(VALU_DEP_1) | instskip(SKIP_4) | instid1(SALU_CYCLE_1)
	v_add_co_u32 v5, vcc_lo, v13, v5
	s_wait_alu 0xfffd
	v_add_co_ci_u32_e64 v6, null, 0, v14, vcc_lo
	flat_load_b64 v[5:6], v[5:6] offset:4096
	s_or_b32 exec_lo, exec_lo, s0
	s_mov_b32 s0, exec_lo
	v_cmpx_gt_u32_e64 s11, v10
	s_cbranch_execnz .LBB1754_11
	s_branch .LBB1754_12
	.section	.rodata,"a",@progbits
	.p2align	6, 0x0
	.amdhsa_kernel _ZN7rocprim17ROCPRIM_400000_NS6detail17trampoline_kernelINS0_14default_configENS1_25partition_config_selectorILNS1_17partition_subalgoE6ExNS0_10empty_typeEbEEZZNS1_14partition_implILS5_6ELb0ES3_mN6thrust23THRUST_200600_302600_NS6detail15normal_iteratorINSA_10device_ptrIxEEEEPS6_SG_NS0_5tupleIJNSA_16discard_iteratorINSA_11use_defaultEEES6_EEENSH_IJSG_SG_EEES6_PlJNSB_9not_fun_tINSB_14equal_to_valueIxEEEEEEE10hipError_tPvRmT3_T4_T5_T6_T7_T9_mT8_P12ihipStream_tbDpT10_ENKUlT_T0_E_clISt17integral_constantIbLb0EES1A_IbLb1EEEEDaS16_S17_EUlS16_E_NS1_11comp_targetILNS1_3genE10ELNS1_11target_archE1200ELNS1_3gpuE4ELNS1_3repE0EEENS1_30default_config_static_selectorELNS0_4arch9wavefront6targetE0EEEvT1_
		.amdhsa_group_segment_fixed_size 8464
		.amdhsa_private_segment_fixed_size 0
		.amdhsa_kernarg_size 136
		.amdhsa_user_sgpr_count 2
		.amdhsa_user_sgpr_dispatch_ptr 0
		.amdhsa_user_sgpr_queue_ptr 0
		.amdhsa_user_sgpr_kernarg_segment_ptr 1
		.amdhsa_user_sgpr_dispatch_id 0
		.amdhsa_user_sgpr_private_segment_size 0
		.amdhsa_wavefront_size32 1
		.amdhsa_uses_dynamic_stack 0
		.amdhsa_enable_private_segment 0
		.amdhsa_system_sgpr_workgroup_id_x 1
		.amdhsa_system_sgpr_workgroup_id_y 0
		.amdhsa_system_sgpr_workgroup_id_z 0
		.amdhsa_system_sgpr_workgroup_info 0
		.amdhsa_system_vgpr_workitem_id 0
		.amdhsa_next_free_vgpr 47
		.amdhsa_next_free_sgpr 22
		.amdhsa_reserve_vcc 1
		.amdhsa_float_round_mode_32 0
		.amdhsa_float_round_mode_16_64 0
		.amdhsa_float_denorm_mode_32 3
		.amdhsa_float_denorm_mode_16_64 3
		.amdhsa_fp16_overflow 0
		.amdhsa_workgroup_processor_mode 1
		.amdhsa_memory_ordered 1
		.amdhsa_forward_progress 1
		.amdhsa_inst_pref_size 47
		.amdhsa_round_robin_scheduling 0
		.amdhsa_exception_fp_ieee_invalid_op 0
		.amdhsa_exception_fp_denorm_src 0
		.amdhsa_exception_fp_ieee_div_zero 0
		.amdhsa_exception_fp_ieee_overflow 0
		.amdhsa_exception_fp_ieee_underflow 0
		.amdhsa_exception_fp_ieee_inexact 0
		.amdhsa_exception_int_div_zero 0
	.end_amdhsa_kernel
	.section	.text._ZN7rocprim17ROCPRIM_400000_NS6detail17trampoline_kernelINS0_14default_configENS1_25partition_config_selectorILNS1_17partition_subalgoE6ExNS0_10empty_typeEbEEZZNS1_14partition_implILS5_6ELb0ES3_mN6thrust23THRUST_200600_302600_NS6detail15normal_iteratorINSA_10device_ptrIxEEEEPS6_SG_NS0_5tupleIJNSA_16discard_iteratorINSA_11use_defaultEEES6_EEENSH_IJSG_SG_EEES6_PlJNSB_9not_fun_tINSB_14equal_to_valueIxEEEEEEE10hipError_tPvRmT3_T4_T5_T6_T7_T9_mT8_P12ihipStream_tbDpT10_ENKUlT_T0_E_clISt17integral_constantIbLb0EES1A_IbLb1EEEEDaS16_S17_EUlS16_E_NS1_11comp_targetILNS1_3genE10ELNS1_11target_archE1200ELNS1_3gpuE4ELNS1_3repE0EEENS1_30default_config_static_selectorELNS0_4arch9wavefront6targetE0EEEvT1_,"axG",@progbits,_ZN7rocprim17ROCPRIM_400000_NS6detail17trampoline_kernelINS0_14default_configENS1_25partition_config_selectorILNS1_17partition_subalgoE6ExNS0_10empty_typeEbEEZZNS1_14partition_implILS5_6ELb0ES3_mN6thrust23THRUST_200600_302600_NS6detail15normal_iteratorINSA_10device_ptrIxEEEEPS6_SG_NS0_5tupleIJNSA_16discard_iteratorINSA_11use_defaultEEES6_EEENSH_IJSG_SG_EEES6_PlJNSB_9not_fun_tINSB_14equal_to_valueIxEEEEEEE10hipError_tPvRmT3_T4_T5_T6_T7_T9_mT8_P12ihipStream_tbDpT10_ENKUlT_T0_E_clISt17integral_constantIbLb0EES1A_IbLb1EEEEDaS16_S17_EUlS16_E_NS1_11comp_targetILNS1_3genE10ELNS1_11target_archE1200ELNS1_3gpuE4ELNS1_3repE0EEENS1_30default_config_static_selectorELNS0_4arch9wavefront6targetE0EEEvT1_,comdat
.Lfunc_end1754:
	.size	_ZN7rocprim17ROCPRIM_400000_NS6detail17trampoline_kernelINS0_14default_configENS1_25partition_config_selectorILNS1_17partition_subalgoE6ExNS0_10empty_typeEbEEZZNS1_14partition_implILS5_6ELb0ES3_mN6thrust23THRUST_200600_302600_NS6detail15normal_iteratorINSA_10device_ptrIxEEEEPS6_SG_NS0_5tupleIJNSA_16discard_iteratorINSA_11use_defaultEEES6_EEENSH_IJSG_SG_EEES6_PlJNSB_9not_fun_tINSB_14equal_to_valueIxEEEEEEE10hipError_tPvRmT3_T4_T5_T6_T7_T9_mT8_P12ihipStream_tbDpT10_ENKUlT_T0_E_clISt17integral_constantIbLb0EES1A_IbLb1EEEEDaS16_S17_EUlS16_E_NS1_11comp_targetILNS1_3genE10ELNS1_11target_archE1200ELNS1_3gpuE4ELNS1_3repE0EEENS1_30default_config_static_selectorELNS0_4arch9wavefront6targetE0EEEvT1_, .Lfunc_end1754-_ZN7rocprim17ROCPRIM_400000_NS6detail17trampoline_kernelINS0_14default_configENS1_25partition_config_selectorILNS1_17partition_subalgoE6ExNS0_10empty_typeEbEEZZNS1_14partition_implILS5_6ELb0ES3_mN6thrust23THRUST_200600_302600_NS6detail15normal_iteratorINSA_10device_ptrIxEEEEPS6_SG_NS0_5tupleIJNSA_16discard_iteratorINSA_11use_defaultEEES6_EEENSH_IJSG_SG_EEES6_PlJNSB_9not_fun_tINSB_14equal_to_valueIxEEEEEEE10hipError_tPvRmT3_T4_T5_T6_T7_T9_mT8_P12ihipStream_tbDpT10_ENKUlT_T0_E_clISt17integral_constantIbLb0EES1A_IbLb1EEEEDaS16_S17_EUlS16_E_NS1_11comp_targetILNS1_3genE10ELNS1_11target_archE1200ELNS1_3gpuE4ELNS1_3repE0EEENS1_30default_config_static_selectorELNS0_4arch9wavefront6targetE0EEEvT1_
                                        ; -- End function
	.set _ZN7rocprim17ROCPRIM_400000_NS6detail17trampoline_kernelINS0_14default_configENS1_25partition_config_selectorILNS1_17partition_subalgoE6ExNS0_10empty_typeEbEEZZNS1_14partition_implILS5_6ELb0ES3_mN6thrust23THRUST_200600_302600_NS6detail15normal_iteratorINSA_10device_ptrIxEEEEPS6_SG_NS0_5tupleIJNSA_16discard_iteratorINSA_11use_defaultEEES6_EEENSH_IJSG_SG_EEES6_PlJNSB_9not_fun_tINSB_14equal_to_valueIxEEEEEEE10hipError_tPvRmT3_T4_T5_T6_T7_T9_mT8_P12ihipStream_tbDpT10_ENKUlT_T0_E_clISt17integral_constantIbLb0EES1A_IbLb1EEEEDaS16_S17_EUlS16_E_NS1_11comp_targetILNS1_3genE10ELNS1_11target_archE1200ELNS1_3gpuE4ELNS1_3repE0EEENS1_30default_config_static_selectorELNS0_4arch9wavefront6targetE0EEEvT1_.num_vgpr, 47
	.set _ZN7rocprim17ROCPRIM_400000_NS6detail17trampoline_kernelINS0_14default_configENS1_25partition_config_selectorILNS1_17partition_subalgoE6ExNS0_10empty_typeEbEEZZNS1_14partition_implILS5_6ELb0ES3_mN6thrust23THRUST_200600_302600_NS6detail15normal_iteratorINSA_10device_ptrIxEEEEPS6_SG_NS0_5tupleIJNSA_16discard_iteratorINSA_11use_defaultEEES6_EEENSH_IJSG_SG_EEES6_PlJNSB_9not_fun_tINSB_14equal_to_valueIxEEEEEEE10hipError_tPvRmT3_T4_T5_T6_T7_T9_mT8_P12ihipStream_tbDpT10_ENKUlT_T0_E_clISt17integral_constantIbLb0EES1A_IbLb1EEEEDaS16_S17_EUlS16_E_NS1_11comp_targetILNS1_3genE10ELNS1_11target_archE1200ELNS1_3gpuE4ELNS1_3repE0EEENS1_30default_config_static_selectorELNS0_4arch9wavefront6targetE0EEEvT1_.num_agpr, 0
	.set _ZN7rocprim17ROCPRIM_400000_NS6detail17trampoline_kernelINS0_14default_configENS1_25partition_config_selectorILNS1_17partition_subalgoE6ExNS0_10empty_typeEbEEZZNS1_14partition_implILS5_6ELb0ES3_mN6thrust23THRUST_200600_302600_NS6detail15normal_iteratorINSA_10device_ptrIxEEEEPS6_SG_NS0_5tupleIJNSA_16discard_iteratorINSA_11use_defaultEEES6_EEENSH_IJSG_SG_EEES6_PlJNSB_9not_fun_tINSB_14equal_to_valueIxEEEEEEE10hipError_tPvRmT3_T4_T5_T6_T7_T9_mT8_P12ihipStream_tbDpT10_ENKUlT_T0_E_clISt17integral_constantIbLb0EES1A_IbLb1EEEEDaS16_S17_EUlS16_E_NS1_11comp_targetILNS1_3genE10ELNS1_11target_archE1200ELNS1_3gpuE4ELNS1_3repE0EEENS1_30default_config_static_selectorELNS0_4arch9wavefront6targetE0EEEvT1_.numbered_sgpr, 22
	.set _ZN7rocprim17ROCPRIM_400000_NS6detail17trampoline_kernelINS0_14default_configENS1_25partition_config_selectorILNS1_17partition_subalgoE6ExNS0_10empty_typeEbEEZZNS1_14partition_implILS5_6ELb0ES3_mN6thrust23THRUST_200600_302600_NS6detail15normal_iteratorINSA_10device_ptrIxEEEEPS6_SG_NS0_5tupleIJNSA_16discard_iteratorINSA_11use_defaultEEES6_EEENSH_IJSG_SG_EEES6_PlJNSB_9not_fun_tINSB_14equal_to_valueIxEEEEEEE10hipError_tPvRmT3_T4_T5_T6_T7_T9_mT8_P12ihipStream_tbDpT10_ENKUlT_T0_E_clISt17integral_constantIbLb0EES1A_IbLb1EEEEDaS16_S17_EUlS16_E_NS1_11comp_targetILNS1_3genE10ELNS1_11target_archE1200ELNS1_3gpuE4ELNS1_3repE0EEENS1_30default_config_static_selectorELNS0_4arch9wavefront6targetE0EEEvT1_.num_named_barrier, 0
	.set _ZN7rocprim17ROCPRIM_400000_NS6detail17trampoline_kernelINS0_14default_configENS1_25partition_config_selectorILNS1_17partition_subalgoE6ExNS0_10empty_typeEbEEZZNS1_14partition_implILS5_6ELb0ES3_mN6thrust23THRUST_200600_302600_NS6detail15normal_iteratorINSA_10device_ptrIxEEEEPS6_SG_NS0_5tupleIJNSA_16discard_iteratorINSA_11use_defaultEEES6_EEENSH_IJSG_SG_EEES6_PlJNSB_9not_fun_tINSB_14equal_to_valueIxEEEEEEE10hipError_tPvRmT3_T4_T5_T6_T7_T9_mT8_P12ihipStream_tbDpT10_ENKUlT_T0_E_clISt17integral_constantIbLb0EES1A_IbLb1EEEEDaS16_S17_EUlS16_E_NS1_11comp_targetILNS1_3genE10ELNS1_11target_archE1200ELNS1_3gpuE4ELNS1_3repE0EEENS1_30default_config_static_selectorELNS0_4arch9wavefront6targetE0EEEvT1_.private_seg_size, 0
	.set _ZN7rocprim17ROCPRIM_400000_NS6detail17trampoline_kernelINS0_14default_configENS1_25partition_config_selectorILNS1_17partition_subalgoE6ExNS0_10empty_typeEbEEZZNS1_14partition_implILS5_6ELb0ES3_mN6thrust23THRUST_200600_302600_NS6detail15normal_iteratorINSA_10device_ptrIxEEEEPS6_SG_NS0_5tupleIJNSA_16discard_iteratorINSA_11use_defaultEEES6_EEENSH_IJSG_SG_EEES6_PlJNSB_9not_fun_tINSB_14equal_to_valueIxEEEEEEE10hipError_tPvRmT3_T4_T5_T6_T7_T9_mT8_P12ihipStream_tbDpT10_ENKUlT_T0_E_clISt17integral_constantIbLb0EES1A_IbLb1EEEEDaS16_S17_EUlS16_E_NS1_11comp_targetILNS1_3genE10ELNS1_11target_archE1200ELNS1_3gpuE4ELNS1_3repE0EEENS1_30default_config_static_selectorELNS0_4arch9wavefront6targetE0EEEvT1_.uses_vcc, 1
	.set _ZN7rocprim17ROCPRIM_400000_NS6detail17trampoline_kernelINS0_14default_configENS1_25partition_config_selectorILNS1_17partition_subalgoE6ExNS0_10empty_typeEbEEZZNS1_14partition_implILS5_6ELb0ES3_mN6thrust23THRUST_200600_302600_NS6detail15normal_iteratorINSA_10device_ptrIxEEEEPS6_SG_NS0_5tupleIJNSA_16discard_iteratorINSA_11use_defaultEEES6_EEENSH_IJSG_SG_EEES6_PlJNSB_9not_fun_tINSB_14equal_to_valueIxEEEEEEE10hipError_tPvRmT3_T4_T5_T6_T7_T9_mT8_P12ihipStream_tbDpT10_ENKUlT_T0_E_clISt17integral_constantIbLb0EES1A_IbLb1EEEEDaS16_S17_EUlS16_E_NS1_11comp_targetILNS1_3genE10ELNS1_11target_archE1200ELNS1_3gpuE4ELNS1_3repE0EEENS1_30default_config_static_selectorELNS0_4arch9wavefront6targetE0EEEvT1_.uses_flat_scratch, 1
	.set _ZN7rocprim17ROCPRIM_400000_NS6detail17trampoline_kernelINS0_14default_configENS1_25partition_config_selectorILNS1_17partition_subalgoE6ExNS0_10empty_typeEbEEZZNS1_14partition_implILS5_6ELb0ES3_mN6thrust23THRUST_200600_302600_NS6detail15normal_iteratorINSA_10device_ptrIxEEEEPS6_SG_NS0_5tupleIJNSA_16discard_iteratorINSA_11use_defaultEEES6_EEENSH_IJSG_SG_EEES6_PlJNSB_9not_fun_tINSB_14equal_to_valueIxEEEEEEE10hipError_tPvRmT3_T4_T5_T6_T7_T9_mT8_P12ihipStream_tbDpT10_ENKUlT_T0_E_clISt17integral_constantIbLb0EES1A_IbLb1EEEEDaS16_S17_EUlS16_E_NS1_11comp_targetILNS1_3genE10ELNS1_11target_archE1200ELNS1_3gpuE4ELNS1_3repE0EEENS1_30default_config_static_selectorELNS0_4arch9wavefront6targetE0EEEvT1_.has_dyn_sized_stack, 0
	.set _ZN7rocprim17ROCPRIM_400000_NS6detail17trampoline_kernelINS0_14default_configENS1_25partition_config_selectorILNS1_17partition_subalgoE6ExNS0_10empty_typeEbEEZZNS1_14partition_implILS5_6ELb0ES3_mN6thrust23THRUST_200600_302600_NS6detail15normal_iteratorINSA_10device_ptrIxEEEEPS6_SG_NS0_5tupleIJNSA_16discard_iteratorINSA_11use_defaultEEES6_EEENSH_IJSG_SG_EEES6_PlJNSB_9not_fun_tINSB_14equal_to_valueIxEEEEEEE10hipError_tPvRmT3_T4_T5_T6_T7_T9_mT8_P12ihipStream_tbDpT10_ENKUlT_T0_E_clISt17integral_constantIbLb0EES1A_IbLb1EEEEDaS16_S17_EUlS16_E_NS1_11comp_targetILNS1_3genE10ELNS1_11target_archE1200ELNS1_3gpuE4ELNS1_3repE0EEENS1_30default_config_static_selectorELNS0_4arch9wavefront6targetE0EEEvT1_.has_recursion, 0
	.set _ZN7rocprim17ROCPRIM_400000_NS6detail17trampoline_kernelINS0_14default_configENS1_25partition_config_selectorILNS1_17partition_subalgoE6ExNS0_10empty_typeEbEEZZNS1_14partition_implILS5_6ELb0ES3_mN6thrust23THRUST_200600_302600_NS6detail15normal_iteratorINSA_10device_ptrIxEEEEPS6_SG_NS0_5tupleIJNSA_16discard_iteratorINSA_11use_defaultEEES6_EEENSH_IJSG_SG_EEES6_PlJNSB_9not_fun_tINSB_14equal_to_valueIxEEEEEEE10hipError_tPvRmT3_T4_T5_T6_T7_T9_mT8_P12ihipStream_tbDpT10_ENKUlT_T0_E_clISt17integral_constantIbLb0EES1A_IbLb1EEEEDaS16_S17_EUlS16_E_NS1_11comp_targetILNS1_3genE10ELNS1_11target_archE1200ELNS1_3gpuE4ELNS1_3repE0EEENS1_30default_config_static_selectorELNS0_4arch9wavefront6targetE0EEEvT1_.has_indirect_call, 0
	.section	.AMDGPU.csdata,"",@progbits
; Kernel info:
; codeLenInByte = 5920
; TotalNumSgprs: 24
; NumVgprs: 47
; ScratchSize: 0
; MemoryBound: 0
; FloatMode: 240
; IeeeMode: 1
; LDSByteSize: 8464 bytes/workgroup (compile time only)
; SGPRBlocks: 0
; VGPRBlocks: 5
; NumSGPRsForWavesPerEU: 24
; NumVGPRsForWavesPerEU: 47
; Occupancy: 16
; WaveLimiterHint : 1
; COMPUTE_PGM_RSRC2:SCRATCH_EN: 0
; COMPUTE_PGM_RSRC2:USER_SGPR: 2
; COMPUTE_PGM_RSRC2:TRAP_HANDLER: 0
; COMPUTE_PGM_RSRC2:TGID_X_EN: 1
; COMPUTE_PGM_RSRC2:TGID_Y_EN: 0
; COMPUTE_PGM_RSRC2:TGID_Z_EN: 0
; COMPUTE_PGM_RSRC2:TIDIG_COMP_CNT: 0
	.section	.text._ZN7rocprim17ROCPRIM_400000_NS6detail17trampoline_kernelINS0_14default_configENS1_25partition_config_selectorILNS1_17partition_subalgoE6ExNS0_10empty_typeEbEEZZNS1_14partition_implILS5_6ELb0ES3_mN6thrust23THRUST_200600_302600_NS6detail15normal_iteratorINSA_10device_ptrIxEEEEPS6_SG_NS0_5tupleIJNSA_16discard_iteratorINSA_11use_defaultEEES6_EEENSH_IJSG_SG_EEES6_PlJNSB_9not_fun_tINSB_14equal_to_valueIxEEEEEEE10hipError_tPvRmT3_T4_T5_T6_T7_T9_mT8_P12ihipStream_tbDpT10_ENKUlT_T0_E_clISt17integral_constantIbLb0EES1A_IbLb1EEEEDaS16_S17_EUlS16_E_NS1_11comp_targetILNS1_3genE9ELNS1_11target_archE1100ELNS1_3gpuE3ELNS1_3repE0EEENS1_30default_config_static_selectorELNS0_4arch9wavefront6targetE0EEEvT1_,"axG",@progbits,_ZN7rocprim17ROCPRIM_400000_NS6detail17trampoline_kernelINS0_14default_configENS1_25partition_config_selectorILNS1_17partition_subalgoE6ExNS0_10empty_typeEbEEZZNS1_14partition_implILS5_6ELb0ES3_mN6thrust23THRUST_200600_302600_NS6detail15normal_iteratorINSA_10device_ptrIxEEEEPS6_SG_NS0_5tupleIJNSA_16discard_iteratorINSA_11use_defaultEEES6_EEENSH_IJSG_SG_EEES6_PlJNSB_9not_fun_tINSB_14equal_to_valueIxEEEEEEE10hipError_tPvRmT3_T4_T5_T6_T7_T9_mT8_P12ihipStream_tbDpT10_ENKUlT_T0_E_clISt17integral_constantIbLb0EES1A_IbLb1EEEEDaS16_S17_EUlS16_E_NS1_11comp_targetILNS1_3genE9ELNS1_11target_archE1100ELNS1_3gpuE3ELNS1_3repE0EEENS1_30default_config_static_selectorELNS0_4arch9wavefront6targetE0EEEvT1_,comdat
	.protected	_ZN7rocprim17ROCPRIM_400000_NS6detail17trampoline_kernelINS0_14default_configENS1_25partition_config_selectorILNS1_17partition_subalgoE6ExNS0_10empty_typeEbEEZZNS1_14partition_implILS5_6ELb0ES3_mN6thrust23THRUST_200600_302600_NS6detail15normal_iteratorINSA_10device_ptrIxEEEEPS6_SG_NS0_5tupleIJNSA_16discard_iteratorINSA_11use_defaultEEES6_EEENSH_IJSG_SG_EEES6_PlJNSB_9not_fun_tINSB_14equal_to_valueIxEEEEEEE10hipError_tPvRmT3_T4_T5_T6_T7_T9_mT8_P12ihipStream_tbDpT10_ENKUlT_T0_E_clISt17integral_constantIbLb0EES1A_IbLb1EEEEDaS16_S17_EUlS16_E_NS1_11comp_targetILNS1_3genE9ELNS1_11target_archE1100ELNS1_3gpuE3ELNS1_3repE0EEENS1_30default_config_static_selectorELNS0_4arch9wavefront6targetE0EEEvT1_ ; -- Begin function _ZN7rocprim17ROCPRIM_400000_NS6detail17trampoline_kernelINS0_14default_configENS1_25partition_config_selectorILNS1_17partition_subalgoE6ExNS0_10empty_typeEbEEZZNS1_14partition_implILS5_6ELb0ES3_mN6thrust23THRUST_200600_302600_NS6detail15normal_iteratorINSA_10device_ptrIxEEEEPS6_SG_NS0_5tupleIJNSA_16discard_iteratorINSA_11use_defaultEEES6_EEENSH_IJSG_SG_EEES6_PlJNSB_9not_fun_tINSB_14equal_to_valueIxEEEEEEE10hipError_tPvRmT3_T4_T5_T6_T7_T9_mT8_P12ihipStream_tbDpT10_ENKUlT_T0_E_clISt17integral_constantIbLb0EES1A_IbLb1EEEEDaS16_S17_EUlS16_E_NS1_11comp_targetILNS1_3genE9ELNS1_11target_archE1100ELNS1_3gpuE3ELNS1_3repE0EEENS1_30default_config_static_selectorELNS0_4arch9wavefront6targetE0EEEvT1_
	.globl	_ZN7rocprim17ROCPRIM_400000_NS6detail17trampoline_kernelINS0_14default_configENS1_25partition_config_selectorILNS1_17partition_subalgoE6ExNS0_10empty_typeEbEEZZNS1_14partition_implILS5_6ELb0ES3_mN6thrust23THRUST_200600_302600_NS6detail15normal_iteratorINSA_10device_ptrIxEEEEPS6_SG_NS0_5tupleIJNSA_16discard_iteratorINSA_11use_defaultEEES6_EEENSH_IJSG_SG_EEES6_PlJNSB_9not_fun_tINSB_14equal_to_valueIxEEEEEEE10hipError_tPvRmT3_T4_T5_T6_T7_T9_mT8_P12ihipStream_tbDpT10_ENKUlT_T0_E_clISt17integral_constantIbLb0EES1A_IbLb1EEEEDaS16_S17_EUlS16_E_NS1_11comp_targetILNS1_3genE9ELNS1_11target_archE1100ELNS1_3gpuE3ELNS1_3repE0EEENS1_30default_config_static_selectorELNS0_4arch9wavefront6targetE0EEEvT1_
	.p2align	8
	.type	_ZN7rocprim17ROCPRIM_400000_NS6detail17trampoline_kernelINS0_14default_configENS1_25partition_config_selectorILNS1_17partition_subalgoE6ExNS0_10empty_typeEbEEZZNS1_14partition_implILS5_6ELb0ES3_mN6thrust23THRUST_200600_302600_NS6detail15normal_iteratorINSA_10device_ptrIxEEEEPS6_SG_NS0_5tupleIJNSA_16discard_iteratorINSA_11use_defaultEEES6_EEENSH_IJSG_SG_EEES6_PlJNSB_9not_fun_tINSB_14equal_to_valueIxEEEEEEE10hipError_tPvRmT3_T4_T5_T6_T7_T9_mT8_P12ihipStream_tbDpT10_ENKUlT_T0_E_clISt17integral_constantIbLb0EES1A_IbLb1EEEEDaS16_S17_EUlS16_E_NS1_11comp_targetILNS1_3genE9ELNS1_11target_archE1100ELNS1_3gpuE3ELNS1_3repE0EEENS1_30default_config_static_selectorELNS0_4arch9wavefront6targetE0EEEvT1_,@function
_ZN7rocprim17ROCPRIM_400000_NS6detail17trampoline_kernelINS0_14default_configENS1_25partition_config_selectorILNS1_17partition_subalgoE6ExNS0_10empty_typeEbEEZZNS1_14partition_implILS5_6ELb0ES3_mN6thrust23THRUST_200600_302600_NS6detail15normal_iteratorINSA_10device_ptrIxEEEEPS6_SG_NS0_5tupleIJNSA_16discard_iteratorINSA_11use_defaultEEES6_EEENSH_IJSG_SG_EEES6_PlJNSB_9not_fun_tINSB_14equal_to_valueIxEEEEEEE10hipError_tPvRmT3_T4_T5_T6_T7_T9_mT8_P12ihipStream_tbDpT10_ENKUlT_T0_E_clISt17integral_constantIbLb0EES1A_IbLb1EEEEDaS16_S17_EUlS16_E_NS1_11comp_targetILNS1_3genE9ELNS1_11target_archE1100ELNS1_3gpuE3ELNS1_3repE0EEENS1_30default_config_static_selectorELNS0_4arch9wavefront6targetE0EEEvT1_: ; @_ZN7rocprim17ROCPRIM_400000_NS6detail17trampoline_kernelINS0_14default_configENS1_25partition_config_selectorILNS1_17partition_subalgoE6ExNS0_10empty_typeEbEEZZNS1_14partition_implILS5_6ELb0ES3_mN6thrust23THRUST_200600_302600_NS6detail15normal_iteratorINSA_10device_ptrIxEEEEPS6_SG_NS0_5tupleIJNSA_16discard_iteratorINSA_11use_defaultEEES6_EEENSH_IJSG_SG_EEES6_PlJNSB_9not_fun_tINSB_14equal_to_valueIxEEEEEEE10hipError_tPvRmT3_T4_T5_T6_T7_T9_mT8_P12ihipStream_tbDpT10_ENKUlT_T0_E_clISt17integral_constantIbLb0EES1A_IbLb1EEEEDaS16_S17_EUlS16_E_NS1_11comp_targetILNS1_3genE9ELNS1_11target_archE1100ELNS1_3gpuE3ELNS1_3repE0EEENS1_30default_config_static_selectorELNS0_4arch9wavefront6targetE0EEEvT1_
; %bb.0:
	.section	.rodata,"a",@progbits
	.p2align	6, 0x0
	.amdhsa_kernel _ZN7rocprim17ROCPRIM_400000_NS6detail17trampoline_kernelINS0_14default_configENS1_25partition_config_selectorILNS1_17partition_subalgoE6ExNS0_10empty_typeEbEEZZNS1_14partition_implILS5_6ELb0ES3_mN6thrust23THRUST_200600_302600_NS6detail15normal_iteratorINSA_10device_ptrIxEEEEPS6_SG_NS0_5tupleIJNSA_16discard_iteratorINSA_11use_defaultEEES6_EEENSH_IJSG_SG_EEES6_PlJNSB_9not_fun_tINSB_14equal_to_valueIxEEEEEEE10hipError_tPvRmT3_T4_T5_T6_T7_T9_mT8_P12ihipStream_tbDpT10_ENKUlT_T0_E_clISt17integral_constantIbLb0EES1A_IbLb1EEEEDaS16_S17_EUlS16_E_NS1_11comp_targetILNS1_3genE9ELNS1_11target_archE1100ELNS1_3gpuE3ELNS1_3repE0EEENS1_30default_config_static_selectorELNS0_4arch9wavefront6targetE0EEEvT1_
		.amdhsa_group_segment_fixed_size 0
		.amdhsa_private_segment_fixed_size 0
		.amdhsa_kernarg_size 136
		.amdhsa_user_sgpr_count 2
		.amdhsa_user_sgpr_dispatch_ptr 0
		.amdhsa_user_sgpr_queue_ptr 0
		.amdhsa_user_sgpr_kernarg_segment_ptr 1
		.amdhsa_user_sgpr_dispatch_id 0
		.amdhsa_user_sgpr_private_segment_size 0
		.amdhsa_wavefront_size32 1
		.amdhsa_uses_dynamic_stack 0
		.amdhsa_enable_private_segment 0
		.amdhsa_system_sgpr_workgroup_id_x 1
		.amdhsa_system_sgpr_workgroup_id_y 0
		.amdhsa_system_sgpr_workgroup_id_z 0
		.amdhsa_system_sgpr_workgroup_info 0
		.amdhsa_system_vgpr_workitem_id 0
		.amdhsa_next_free_vgpr 1
		.amdhsa_next_free_sgpr 1
		.amdhsa_reserve_vcc 0
		.amdhsa_float_round_mode_32 0
		.amdhsa_float_round_mode_16_64 0
		.amdhsa_float_denorm_mode_32 3
		.amdhsa_float_denorm_mode_16_64 3
		.amdhsa_fp16_overflow 0
		.amdhsa_workgroup_processor_mode 1
		.amdhsa_memory_ordered 1
		.amdhsa_forward_progress 1
		.amdhsa_inst_pref_size 0
		.amdhsa_round_robin_scheduling 0
		.amdhsa_exception_fp_ieee_invalid_op 0
		.amdhsa_exception_fp_denorm_src 0
		.amdhsa_exception_fp_ieee_div_zero 0
		.amdhsa_exception_fp_ieee_overflow 0
		.amdhsa_exception_fp_ieee_underflow 0
		.amdhsa_exception_fp_ieee_inexact 0
		.amdhsa_exception_int_div_zero 0
	.end_amdhsa_kernel
	.section	.text._ZN7rocprim17ROCPRIM_400000_NS6detail17trampoline_kernelINS0_14default_configENS1_25partition_config_selectorILNS1_17partition_subalgoE6ExNS0_10empty_typeEbEEZZNS1_14partition_implILS5_6ELb0ES3_mN6thrust23THRUST_200600_302600_NS6detail15normal_iteratorINSA_10device_ptrIxEEEEPS6_SG_NS0_5tupleIJNSA_16discard_iteratorINSA_11use_defaultEEES6_EEENSH_IJSG_SG_EEES6_PlJNSB_9not_fun_tINSB_14equal_to_valueIxEEEEEEE10hipError_tPvRmT3_T4_T5_T6_T7_T9_mT8_P12ihipStream_tbDpT10_ENKUlT_T0_E_clISt17integral_constantIbLb0EES1A_IbLb1EEEEDaS16_S17_EUlS16_E_NS1_11comp_targetILNS1_3genE9ELNS1_11target_archE1100ELNS1_3gpuE3ELNS1_3repE0EEENS1_30default_config_static_selectorELNS0_4arch9wavefront6targetE0EEEvT1_,"axG",@progbits,_ZN7rocprim17ROCPRIM_400000_NS6detail17trampoline_kernelINS0_14default_configENS1_25partition_config_selectorILNS1_17partition_subalgoE6ExNS0_10empty_typeEbEEZZNS1_14partition_implILS5_6ELb0ES3_mN6thrust23THRUST_200600_302600_NS6detail15normal_iteratorINSA_10device_ptrIxEEEEPS6_SG_NS0_5tupleIJNSA_16discard_iteratorINSA_11use_defaultEEES6_EEENSH_IJSG_SG_EEES6_PlJNSB_9not_fun_tINSB_14equal_to_valueIxEEEEEEE10hipError_tPvRmT3_T4_T5_T6_T7_T9_mT8_P12ihipStream_tbDpT10_ENKUlT_T0_E_clISt17integral_constantIbLb0EES1A_IbLb1EEEEDaS16_S17_EUlS16_E_NS1_11comp_targetILNS1_3genE9ELNS1_11target_archE1100ELNS1_3gpuE3ELNS1_3repE0EEENS1_30default_config_static_selectorELNS0_4arch9wavefront6targetE0EEEvT1_,comdat
.Lfunc_end1755:
	.size	_ZN7rocprim17ROCPRIM_400000_NS6detail17trampoline_kernelINS0_14default_configENS1_25partition_config_selectorILNS1_17partition_subalgoE6ExNS0_10empty_typeEbEEZZNS1_14partition_implILS5_6ELb0ES3_mN6thrust23THRUST_200600_302600_NS6detail15normal_iteratorINSA_10device_ptrIxEEEEPS6_SG_NS0_5tupleIJNSA_16discard_iteratorINSA_11use_defaultEEES6_EEENSH_IJSG_SG_EEES6_PlJNSB_9not_fun_tINSB_14equal_to_valueIxEEEEEEE10hipError_tPvRmT3_T4_T5_T6_T7_T9_mT8_P12ihipStream_tbDpT10_ENKUlT_T0_E_clISt17integral_constantIbLb0EES1A_IbLb1EEEEDaS16_S17_EUlS16_E_NS1_11comp_targetILNS1_3genE9ELNS1_11target_archE1100ELNS1_3gpuE3ELNS1_3repE0EEENS1_30default_config_static_selectorELNS0_4arch9wavefront6targetE0EEEvT1_, .Lfunc_end1755-_ZN7rocprim17ROCPRIM_400000_NS6detail17trampoline_kernelINS0_14default_configENS1_25partition_config_selectorILNS1_17partition_subalgoE6ExNS0_10empty_typeEbEEZZNS1_14partition_implILS5_6ELb0ES3_mN6thrust23THRUST_200600_302600_NS6detail15normal_iteratorINSA_10device_ptrIxEEEEPS6_SG_NS0_5tupleIJNSA_16discard_iteratorINSA_11use_defaultEEES6_EEENSH_IJSG_SG_EEES6_PlJNSB_9not_fun_tINSB_14equal_to_valueIxEEEEEEE10hipError_tPvRmT3_T4_T5_T6_T7_T9_mT8_P12ihipStream_tbDpT10_ENKUlT_T0_E_clISt17integral_constantIbLb0EES1A_IbLb1EEEEDaS16_S17_EUlS16_E_NS1_11comp_targetILNS1_3genE9ELNS1_11target_archE1100ELNS1_3gpuE3ELNS1_3repE0EEENS1_30default_config_static_selectorELNS0_4arch9wavefront6targetE0EEEvT1_
                                        ; -- End function
	.set _ZN7rocprim17ROCPRIM_400000_NS6detail17trampoline_kernelINS0_14default_configENS1_25partition_config_selectorILNS1_17partition_subalgoE6ExNS0_10empty_typeEbEEZZNS1_14partition_implILS5_6ELb0ES3_mN6thrust23THRUST_200600_302600_NS6detail15normal_iteratorINSA_10device_ptrIxEEEEPS6_SG_NS0_5tupleIJNSA_16discard_iteratorINSA_11use_defaultEEES6_EEENSH_IJSG_SG_EEES6_PlJNSB_9not_fun_tINSB_14equal_to_valueIxEEEEEEE10hipError_tPvRmT3_T4_T5_T6_T7_T9_mT8_P12ihipStream_tbDpT10_ENKUlT_T0_E_clISt17integral_constantIbLb0EES1A_IbLb1EEEEDaS16_S17_EUlS16_E_NS1_11comp_targetILNS1_3genE9ELNS1_11target_archE1100ELNS1_3gpuE3ELNS1_3repE0EEENS1_30default_config_static_selectorELNS0_4arch9wavefront6targetE0EEEvT1_.num_vgpr, 0
	.set _ZN7rocprim17ROCPRIM_400000_NS6detail17trampoline_kernelINS0_14default_configENS1_25partition_config_selectorILNS1_17partition_subalgoE6ExNS0_10empty_typeEbEEZZNS1_14partition_implILS5_6ELb0ES3_mN6thrust23THRUST_200600_302600_NS6detail15normal_iteratorINSA_10device_ptrIxEEEEPS6_SG_NS0_5tupleIJNSA_16discard_iteratorINSA_11use_defaultEEES6_EEENSH_IJSG_SG_EEES6_PlJNSB_9not_fun_tINSB_14equal_to_valueIxEEEEEEE10hipError_tPvRmT3_T4_T5_T6_T7_T9_mT8_P12ihipStream_tbDpT10_ENKUlT_T0_E_clISt17integral_constantIbLb0EES1A_IbLb1EEEEDaS16_S17_EUlS16_E_NS1_11comp_targetILNS1_3genE9ELNS1_11target_archE1100ELNS1_3gpuE3ELNS1_3repE0EEENS1_30default_config_static_selectorELNS0_4arch9wavefront6targetE0EEEvT1_.num_agpr, 0
	.set _ZN7rocprim17ROCPRIM_400000_NS6detail17trampoline_kernelINS0_14default_configENS1_25partition_config_selectorILNS1_17partition_subalgoE6ExNS0_10empty_typeEbEEZZNS1_14partition_implILS5_6ELb0ES3_mN6thrust23THRUST_200600_302600_NS6detail15normal_iteratorINSA_10device_ptrIxEEEEPS6_SG_NS0_5tupleIJNSA_16discard_iteratorINSA_11use_defaultEEES6_EEENSH_IJSG_SG_EEES6_PlJNSB_9not_fun_tINSB_14equal_to_valueIxEEEEEEE10hipError_tPvRmT3_T4_T5_T6_T7_T9_mT8_P12ihipStream_tbDpT10_ENKUlT_T0_E_clISt17integral_constantIbLb0EES1A_IbLb1EEEEDaS16_S17_EUlS16_E_NS1_11comp_targetILNS1_3genE9ELNS1_11target_archE1100ELNS1_3gpuE3ELNS1_3repE0EEENS1_30default_config_static_selectorELNS0_4arch9wavefront6targetE0EEEvT1_.numbered_sgpr, 0
	.set _ZN7rocprim17ROCPRIM_400000_NS6detail17trampoline_kernelINS0_14default_configENS1_25partition_config_selectorILNS1_17partition_subalgoE6ExNS0_10empty_typeEbEEZZNS1_14partition_implILS5_6ELb0ES3_mN6thrust23THRUST_200600_302600_NS6detail15normal_iteratorINSA_10device_ptrIxEEEEPS6_SG_NS0_5tupleIJNSA_16discard_iteratorINSA_11use_defaultEEES6_EEENSH_IJSG_SG_EEES6_PlJNSB_9not_fun_tINSB_14equal_to_valueIxEEEEEEE10hipError_tPvRmT3_T4_T5_T6_T7_T9_mT8_P12ihipStream_tbDpT10_ENKUlT_T0_E_clISt17integral_constantIbLb0EES1A_IbLb1EEEEDaS16_S17_EUlS16_E_NS1_11comp_targetILNS1_3genE9ELNS1_11target_archE1100ELNS1_3gpuE3ELNS1_3repE0EEENS1_30default_config_static_selectorELNS0_4arch9wavefront6targetE0EEEvT1_.num_named_barrier, 0
	.set _ZN7rocprim17ROCPRIM_400000_NS6detail17trampoline_kernelINS0_14default_configENS1_25partition_config_selectorILNS1_17partition_subalgoE6ExNS0_10empty_typeEbEEZZNS1_14partition_implILS5_6ELb0ES3_mN6thrust23THRUST_200600_302600_NS6detail15normal_iteratorINSA_10device_ptrIxEEEEPS6_SG_NS0_5tupleIJNSA_16discard_iteratorINSA_11use_defaultEEES6_EEENSH_IJSG_SG_EEES6_PlJNSB_9not_fun_tINSB_14equal_to_valueIxEEEEEEE10hipError_tPvRmT3_T4_T5_T6_T7_T9_mT8_P12ihipStream_tbDpT10_ENKUlT_T0_E_clISt17integral_constantIbLb0EES1A_IbLb1EEEEDaS16_S17_EUlS16_E_NS1_11comp_targetILNS1_3genE9ELNS1_11target_archE1100ELNS1_3gpuE3ELNS1_3repE0EEENS1_30default_config_static_selectorELNS0_4arch9wavefront6targetE0EEEvT1_.private_seg_size, 0
	.set _ZN7rocprim17ROCPRIM_400000_NS6detail17trampoline_kernelINS0_14default_configENS1_25partition_config_selectorILNS1_17partition_subalgoE6ExNS0_10empty_typeEbEEZZNS1_14partition_implILS5_6ELb0ES3_mN6thrust23THRUST_200600_302600_NS6detail15normal_iteratorINSA_10device_ptrIxEEEEPS6_SG_NS0_5tupleIJNSA_16discard_iteratorINSA_11use_defaultEEES6_EEENSH_IJSG_SG_EEES6_PlJNSB_9not_fun_tINSB_14equal_to_valueIxEEEEEEE10hipError_tPvRmT3_T4_T5_T6_T7_T9_mT8_P12ihipStream_tbDpT10_ENKUlT_T0_E_clISt17integral_constantIbLb0EES1A_IbLb1EEEEDaS16_S17_EUlS16_E_NS1_11comp_targetILNS1_3genE9ELNS1_11target_archE1100ELNS1_3gpuE3ELNS1_3repE0EEENS1_30default_config_static_selectorELNS0_4arch9wavefront6targetE0EEEvT1_.uses_vcc, 0
	.set _ZN7rocprim17ROCPRIM_400000_NS6detail17trampoline_kernelINS0_14default_configENS1_25partition_config_selectorILNS1_17partition_subalgoE6ExNS0_10empty_typeEbEEZZNS1_14partition_implILS5_6ELb0ES3_mN6thrust23THRUST_200600_302600_NS6detail15normal_iteratorINSA_10device_ptrIxEEEEPS6_SG_NS0_5tupleIJNSA_16discard_iteratorINSA_11use_defaultEEES6_EEENSH_IJSG_SG_EEES6_PlJNSB_9not_fun_tINSB_14equal_to_valueIxEEEEEEE10hipError_tPvRmT3_T4_T5_T6_T7_T9_mT8_P12ihipStream_tbDpT10_ENKUlT_T0_E_clISt17integral_constantIbLb0EES1A_IbLb1EEEEDaS16_S17_EUlS16_E_NS1_11comp_targetILNS1_3genE9ELNS1_11target_archE1100ELNS1_3gpuE3ELNS1_3repE0EEENS1_30default_config_static_selectorELNS0_4arch9wavefront6targetE0EEEvT1_.uses_flat_scratch, 0
	.set _ZN7rocprim17ROCPRIM_400000_NS6detail17trampoline_kernelINS0_14default_configENS1_25partition_config_selectorILNS1_17partition_subalgoE6ExNS0_10empty_typeEbEEZZNS1_14partition_implILS5_6ELb0ES3_mN6thrust23THRUST_200600_302600_NS6detail15normal_iteratorINSA_10device_ptrIxEEEEPS6_SG_NS0_5tupleIJNSA_16discard_iteratorINSA_11use_defaultEEES6_EEENSH_IJSG_SG_EEES6_PlJNSB_9not_fun_tINSB_14equal_to_valueIxEEEEEEE10hipError_tPvRmT3_T4_T5_T6_T7_T9_mT8_P12ihipStream_tbDpT10_ENKUlT_T0_E_clISt17integral_constantIbLb0EES1A_IbLb1EEEEDaS16_S17_EUlS16_E_NS1_11comp_targetILNS1_3genE9ELNS1_11target_archE1100ELNS1_3gpuE3ELNS1_3repE0EEENS1_30default_config_static_selectorELNS0_4arch9wavefront6targetE0EEEvT1_.has_dyn_sized_stack, 0
	.set _ZN7rocprim17ROCPRIM_400000_NS6detail17trampoline_kernelINS0_14default_configENS1_25partition_config_selectorILNS1_17partition_subalgoE6ExNS0_10empty_typeEbEEZZNS1_14partition_implILS5_6ELb0ES3_mN6thrust23THRUST_200600_302600_NS6detail15normal_iteratorINSA_10device_ptrIxEEEEPS6_SG_NS0_5tupleIJNSA_16discard_iteratorINSA_11use_defaultEEES6_EEENSH_IJSG_SG_EEES6_PlJNSB_9not_fun_tINSB_14equal_to_valueIxEEEEEEE10hipError_tPvRmT3_T4_T5_T6_T7_T9_mT8_P12ihipStream_tbDpT10_ENKUlT_T0_E_clISt17integral_constantIbLb0EES1A_IbLb1EEEEDaS16_S17_EUlS16_E_NS1_11comp_targetILNS1_3genE9ELNS1_11target_archE1100ELNS1_3gpuE3ELNS1_3repE0EEENS1_30default_config_static_selectorELNS0_4arch9wavefront6targetE0EEEvT1_.has_recursion, 0
	.set _ZN7rocprim17ROCPRIM_400000_NS6detail17trampoline_kernelINS0_14default_configENS1_25partition_config_selectorILNS1_17partition_subalgoE6ExNS0_10empty_typeEbEEZZNS1_14partition_implILS5_6ELb0ES3_mN6thrust23THRUST_200600_302600_NS6detail15normal_iteratorINSA_10device_ptrIxEEEEPS6_SG_NS0_5tupleIJNSA_16discard_iteratorINSA_11use_defaultEEES6_EEENSH_IJSG_SG_EEES6_PlJNSB_9not_fun_tINSB_14equal_to_valueIxEEEEEEE10hipError_tPvRmT3_T4_T5_T6_T7_T9_mT8_P12ihipStream_tbDpT10_ENKUlT_T0_E_clISt17integral_constantIbLb0EES1A_IbLb1EEEEDaS16_S17_EUlS16_E_NS1_11comp_targetILNS1_3genE9ELNS1_11target_archE1100ELNS1_3gpuE3ELNS1_3repE0EEENS1_30default_config_static_selectorELNS0_4arch9wavefront6targetE0EEEvT1_.has_indirect_call, 0
	.section	.AMDGPU.csdata,"",@progbits
; Kernel info:
; codeLenInByte = 0
; TotalNumSgprs: 0
; NumVgprs: 0
; ScratchSize: 0
; MemoryBound: 0
; FloatMode: 240
; IeeeMode: 1
; LDSByteSize: 0 bytes/workgroup (compile time only)
; SGPRBlocks: 0
; VGPRBlocks: 0
; NumSGPRsForWavesPerEU: 1
; NumVGPRsForWavesPerEU: 1
; Occupancy: 16
; WaveLimiterHint : 0
; COMPUTE_PGM_RSRC2:SCRATCH_EN: 0
; COMPUTE_PGM_RSRC2:USER_SGPR: 2
; COMPUTE_PGM_RSRC2:TRAP_HANDLER: 0
; COMPUTE_PGM_RSRC2:TGID_X_EN: 1
; COMPUTE_PGM_RSRC2:TGID_Y_EN: 0
; COMPUTE_PGM_RSRC2:TGID_Z_EN: 0
; COMPUTE_PGM_RSRC2:TIDIG_COMP_CNT: 0
	.section	.text._ZN7rocprim17ROCPRIM_400000_NS6detail17trampoline_kernelINS0_14default_configENS1_25partition_config_selectorILNS1_17partition_subalgoE6ExNS0_10empty_typeEbEEZZNS1_14partition_implILS5_6ELb0ES3_mN6thrust23THRUST_200600_302600_NS6detail15normal_iteratorINSA_10device_ptrIxEEEEPS6_SG_NS0_5tupleIJNSA_16discard_iteratorINSA_11use_defaultEEES6_EEENSH_IJSG_SG_EEES6_PlJNSB_9not_fun_tINSB_14equal_to_valueIxEEEEEEE10hipError_tPvRmT3_T4_T5_T6_T7_T9_mT8_P12ihipStream_tbDpT10_ENKUlT_T0_E_clISt17integral_constantIbLb0EES1A_IbLb1EEEEDaS16_S17_EUlS16_E_NS1_11comp_targetILNS1_3genE8ELNS1_11target_archE1030ELNS1_3gpuE2ELNS1_3repE0EEENS1_30default_config_static_selectorELNS0_4arch9wavefront6targetE0EEEvT1_,"axG",@progbits,_ZN7rocprim17ROCPRIM_400000_NS6detail17trampoline_kernelINS0_14default_configENS1_25partition_config_selectorILNS1_17partition_subalgoE6ExNS0_10empty_typeEbEEZZNS1_14partition_implILS5_6ELb0ES3_mN6thrust23THRUST_200600_302600_NS6detail15normal_iteratorINSA_10device_ptrIxEEEEPS6_SG_NS0_5tupleIJNSA_16discard_iteratorINSA_11use_defaultEEES6_EEENSH_IJSG_SG_EEES6_PlJNSB_9not_fun_tINSB_14equal_to_valueIxEEEEEEE10hipError_tPvRmT3_T4_T5_T6_T7_T9_mT8_P12ihipStream_tbDpT10_ENKUlT_T0_E_clISt17integral_constantIbLb0EES1A_IbLb1EEEEDaS16_S17_EUlS16_E_NS1_11comp_targetILNS1_3genE8ELNS1_11target_archE1030ELNS1_3gpuE2ELNS1_3repE0EEENS1_30default_config_static_selectorELNS0_4arch9wavefront6targetE0EEEvT1_,comdat
	.protected	_ZN7rocprim17ROCPRIM_400000_NS6detail17trampoline_kernelINS0_14default_configENS1_25partition_config_selectorILNS1_17partition_subalgoE6ExNS0_10empty_typeEbEEZZNS1_14partition_implILS5_6ELb0ES3_mN6thrust23THRUST_200600_302600_NS6detail15normal_iteratorINSA_10device_ptrIxEEEEPS6_SG_NS0_5tupleIJNSA_16discard_iteratorINSA_11use_defaultEEES6_EEENSH_IJSG_SG_EEES6_PlJNSB_9not_fun_tINSB_14equal_to_valueIxEEEEEEE10hipError_tPvRmT3_T4_T5_T6_T7_T9_mT8_P12ihipStream_tbDpT10_ENKUlT_T0_E_clISt17integral_constantIbLb0EES1A_IbLb1EEEEDaS16_S17_EUlS16_E_NS1_11comp_targetILNS1_3genE8ELNS1_11target_archE1030ELNS1_3gpuE2ELNS1_3repE0EEENS1_30default_config_static_selectorELNS0_4arch9wavefront6targetE0EEEvT1_ ; -- Begin function _ZN7rocprim17ROCPRIM_400000_NS6detail17trampoline_kernelINS0_14default_configENS1_25partition_config_selectorILNS1_17partition_subalgoE6ExNS0_10empty_typeEbEEZZNS1_14partition_implILS5_6ELb0ES3_mN6thrust23THRUST_200600_302600_NS6detail15normal_iteratorINSA_10device_ptrIxEEEEPS6_SG_NS0_5tupleIJNSA_16discard_iteratorINSA_11use_defaultEEES6_EEENSH_IJSG_SG_EEES6_PlJNSB_9not_fun_tINSB_14equal_to_valueIxEEEEEEE10hipError_tPvRmT3_T4_T5_T6_T7_T9_mT8_P12ihipStream_tbDpT10_ENKUlT_T0_E_clISt17integral_constantIbLb0EES1A_IbLb1EEEEDaS16_S17_EUlS16_E_NS1_11comp_targetILNS1_3genE8ELNS1_11target_archE1030ELNS1_3gpuE2ELNS1_3repE0EEENS1_30default_config_static_selectorELNS0_4arch9wavefront6targetE0EEEvT1_
	.globl	_ZN7rocprim17ROCPRIM_400000_NS6detail17trampoline_kernelINS0_14default_configENS1_25partition_config_selectorILNS1_17partition_subalgoE6ExNS0_10empty_typeEbEEZZNS1_14partition_implILS5_6ELb0ES3_mN6thrust23THRUST_200600_302600_NS6detail15normal_iteratorINSA_10device_ptrIxEEEEPS6_SG_NS0_5tupleIJNSA_16discard_iteratorINSA_11use_defaultEEES6_EEENSH_IJSG_SG_EEES6_PlJNSB_9not_fun_tINSB_14equal_to_valueIxEEEEEEE10hipError_tPvRmT3_T4_T5_T6_T7_T9_mT8_P12ihipStream_tbDpT10_ENKUlT_T0_E_clISt17integral_constantIbLb0EES1A_IbLb1EEEEDaS16_S17_EUlS16_E_NS1_11comp_targetILNS1_3genE8ELNS1_11target_archE1030ELNS1_3gpuE2ELNS1_3repE0EEENS1_30default_config_static_selectorELNS0_4arch9wavefront6targetE0EEEvT1_
	.p2align	8
	.type	_ZN7rocprim17ROCPRIM_400000_NS6detail17trampoline_kernelINS0_14default_configENS1_25partition_config_selectorILNS1_17partition_subalgoE6ExNS0_10empty_typeEbEEZZNS1_14partition_implILS5_6ELb0ES3_mN6thrust23THRUST_200600_302600_NS6detail15normal_iteratorINSA_10device_ptrIxEEEEPS6_SG_NS0_5tupleIJNSA_16discard_iteratorINSA_11use_defaultEEES6_EEENSH_IJSG_SG_EEES6_PlJNSB_9not_fun_tINSB_14equal_to_valueIxEEEEEEE10hipError_tPvRmT3_T4_T5_T6_T7_T9_mT8_P12ihipStream_tbDpT10_ENKUlT_T0_E_clISt17integral_constantIbLb0EES1A_IbLb1EEEEDaS16_S17_EUlS16_E_NS1_11comp_targetILNS1_3genE8ELNS1_11target_archE1030ELNS1_3gpuE2ELNS1_3repE0EEENS1_30default_config_static_selectorELNS0_4arch9wavefront6targetE0EEEvT1_,@function
_ZN7rocprim17ROCPRIM_400000_NS6detail17trampoline_kernelINS0_14default_configENS1_25partition_config_selectorILNS1_17partition_subalgoE6ExNS0_10empty_typeEbEEZZNS1_14partition_implILS5_6ELb0ES3_mN6thrust23THRUST_200600_302600_NS6detail15normal_iteratorINSA_10device_ptrIxEEEEPS6_SG_NS0_5tupleIJNSA_16discard_iteratorINSA_11use_defaultEEES6_EEENSH_IJSG_SG_EEES6_PlJNSB_9not_fun_tINSB_14equal_to_valueIxEEEEEEE10hipError_tPvRmT3_T4_T5_T6_T7_T9_mT8_P12ihipStream_tbDpT10_ENKUlT_T0_E_clISt17integral_constantIbLb0EES1A_IbLb1EEEEDaS16_S17_EUlS16_E_NS1_11comp_targetILNS1_3genE8ELNS1_11target_archE1030ELNS1_3gpuE2ELNS1_3repE0EEENS1_30default_config_static_selectorELNS0_4arch9wavefront6targetE0EEEvT1_: ; @_ZN7rocprim17ROCPRIM_400000_NS6detail17trampoline_kernelINS0_14default_configENS1_25partition_config_selectorILNS1_17partition_subalgoE6ExNS0_10empty_typeEbEEZZNS1_14partition_implILS5_6ELb0ES3_mN6thrust23THRUST_200600_302600_NS6detail15normal_iteratorINSA_10device_ptrIxEEEEPS6_SG_NS0_5tupleIJNSA_16discard_iteratorINSA_11use_defaultEEES6_EEENSH_IJSG_SG_EEES6_PlJNSB_9not_fun_tINSB_14equal_to_valueIxEEEEEEE10hipError_tPvRmT3_T4_T5_T6_T7_T9_mT8_P12ihipStream_tbDpT10_ENKUlT_T0_E_clISt17integral_constantIbLb0EES1A_IbLb1EEEEDaS16_S17_EUlS16_E_NS1_11comp_targetILNS1_3genE8ELNS1_11target_archE1030ELNS1_3gpuE2ELNS1_3repE0EEENS1_30default_config_static_selectorELNS0_4arch9wavefront6targetE0EEEvT1_
; %bb.0:
	.section	.rodata,"a",@progbits
	.p2align	6, 0x0
	.amdhsa_kernel _ZN7rocprim17ROCPRIM_400000_NS6detail17trampoline_kernelINS0_14default_configENS1_25partition_config_selectorILNS1_17partition_subalgoE6ExNS0_10empty_typeEbEEZZNS1_14partition_implILS5_6ELb0ES3_mN6thrust23THRUST_200600_302600_NS6detail15normal_iteratorINSA_10device_ptrIxEEEEPS6_SG_NS0_5tupleIJNSA_16discard_iteratorINSA_11use_defaultEEES6_EEENSH_IJSG_SG_EEES6_PlJNSB_9not_fun_tINSB_14equal_to_valueIxEEEEEEE10hipError_tPvRmT3_T4_T5_T6_T7_T9_mT8_P12ihipStream_tbDpT10_ENKUlT_T0_E_clISt17integral_constantIbLb0EES1A_IbLb1EEEEDaS16_S17_EUlS16_E_NS1_11comp_targetILNS1_3genE8ELNS1_11target_archE1030ELNS1_3gpuE2ELNS1_3repE0EEENS1_30default_config_static_selectorELNS0_4arch9wavefront6targetE0EEEvT1_
		.amdhsa_group_segment_fixed_size 0
		.amdhsa_private_segment_fixed_size 0
		.amdhsa_kernarg_size 136
		.amdhsa_user_sgpr_count 2
		.amdhsa_user_sgpr_dispatch_ptr 0
		.amdhsa_user_sgpr_queue_ptr 0
		.amdhsa_user_sgpr_kernarg_segment_ptr 1
		.amdhsa_user_sgpr_dispatch_id 0
		.amdhsa_user_sgpr_private_segment_size 0
		.amdhsa_wavefront_size32 1
		.amdhsa_uses_dynamic_stack 0
		.amdhsa_enable_private_segment 0
		.amdhsa_system_sgpr_workgroup_id_x 1
		.amdhsa_system_sgpr_workgroup_id_y 0
		.amdhsa_system_sgpr_workgroup_id_z 0
		.amdhsa_system_sgpr_workgroup_info 0
		.amdhsa_system_vgpr_workitem_id 0
		.amdhsa_next_free_vgpr 1
		.amdhsa_next_free_sgpr 1
		.amdhsa_reserve_vcc 0
		.amdhsa_float_round_mode_32 0
		.amdhsa_float_round_mode_16_64 0
		.amdhsa_float_denorm_mode_32 3
		.amdhsa_float_denorm_mode_16_64 3
		.amdhsa_fp16_overflow 0
		.amdhsa_workgroup_processor_mode 1
		.amdhsa_memory_ordered 1
		.amdhsa_forward_progress 1
		.amdhsa_inst_pref_size 0
		.amdhsa_round_robin_scheduling 0
		.amdhsa_exception_fp_ieee_invalid_op 0
		.amdhsa_exception_fp_denorm_src 0
		.amdhsa_exception_fp_ieee_div_zero 0
		.amdhsa_exception_fp_ieee_overflow 0
		.amdhsa_exception_fp_ieee_underflow 0
		.amdhsa_exception_fp_ieee_inexact 0
		.amdhsa_exception_int_div_zero 0
	.end_amdhsa_kernel
	.section	.text._ZN7rocprim17ROCPRIM_400000_NS6detail17trampoline_kernelINS0_14default_configENS1_25partition_config_selectorILNS1_17partition_subalgoE6ExNS0_10empty_typeEbEEZZNS1_14partition_implILS5_6ELb0ES3_mN6thrust23THRUST_200600_302600_NS6detail15normal_iteratorINSA_10device_ptrIxEEEEPS6_SG_NS0_5tupleIJNSA_16discard_iteratorINSA_11use_defaultEEES6_EEENSH_IJSG_SG_EEES6_PlJNSB_9not_fun_tINSB_14equal_to_valueIxEEEEEEE10hipError_tPvRmT3_T4_T5_T6_T7_T9_mT8_P12ihipStream_tbDpT10_ENKUlT_T0_E_clISt17integral_constantIbLb0EES1A_IbLb1EEEEDaS16_S17_EUlS16_E_NS1_11comp_targetILNS1_3genE8ELNS1_11target_archE1030ELNS1_3gpuE2ELNS1_3repE0EEENS1_30default_config_static_selectorELNS0_4arch9wavefront6targetE0EEEvT1_,"axG",@progbits,_ZN7rocprim17ROCPRIM_400000_NS6detail17trampoline_kernelINS0_14default_configENS1_25partition_config_selectorILNS1_17partition_subalgoE6ExNS0_10empty_typeEbEEZZNS1_14partition_implILS5_6ELb0ES3_mN6thrust23THRUST_200600_302600_NS6detail15normal_iteratorINSA_10device_ptrIxEEEEPS6_SG_NS0_5tupleIJNSA_16discard_iteratorINSA_11use_defaultEEES6_EEENSH_IJSG_SG_EEES6_PlJNSB_9not_fun_tINSB_14equal_to_valueIxEEEEEEE10hipError_tPvRmT3_T4_T5_T6_T7_T9_mT8_P12ihipStream_tbDpT10_ENKUlT_T0_E_clISt17integral_constantIbLb0EES1A_IbLb1EEEEDaS16_S17_EUlS16_E_NS1_11comp_targetILNS1_3genE8ELNS1_11target_archE1030ELNS1_3gpuE2ELNS1_3repE0EEENS1_30default_config_static_selectorELNS0_4arch9wavefront6targetE0EEEvT1_,comdat
.Lfunc_end1756:
	.size	_ZN7rocprim17ROCPRIM_400000_NS6detail17trampoline_kernelINS0_14default_configENS1_25partition_config_selectorILNS1_17partition_subalgoE6ExNS0_10empty_typeEbEEZZNS1_14partition_implILS5_6ELb0ES3_mN6thrust23THRUST_200600_302600_NS6detail15normal_iteratorINSA_10device_ptrIxEEEEPS6_SG_NS0_5tupleIJNSA_16discard_iteratorINSA_11use_defaultEEES6_EEENSH_IJSG_SG_EEES6_PlJNSB_9not_fun_tINSB_14equal_to_valueIxEEEEEEE10hipError_tPvRmT3_T4_T5_T6_T7_T9_mT8_P12ihipStream_tbDpT10_ENKUlT_T0_E_clISt17integral_constantIbLb0EES1A_IbLb1EEEEDaS16_S17_EUlS16_E_NS1_11comp_targetILNS1_3genE8ELNS1_11target_archE1030ELNS1_3gpuE2ELNS1_3repE0EEENS1_30default_config_static_selectorELNS0_4arch9wavefront6targetE0EEEvT1_, .Lfunc_end1756-_ZN7rocprim17ROCPRIM_400000_NS6detail17trampoline_kernelINS0_14default_configENS1_25partition_config_selectorILNS1_17partition_subalgoE6ExNS0_10empty_typeEbEEZZNS1_14partition_implILS5_6ELb0ES3_mN6thrust23THRUST_200600_302600_NS6detail15normal_iteratorINSA_10device_ptrIxEEEEPS6_SG_NS0_5tupleIJNSA_16discard_iteratorINSA_11use_defaultEEES6_EEENSH_IJSG_SG_EEES6_PlJNSB_9not_fun_tINSB_14equal_to_valueIxEEEEEEE10hipError_tPvRmT3_T4_T5_T6_T7_T9_mT8_P12ihipStream_tbDpT10_ENKUlT_T0_E_clISt17integral_constantIbLb0EES1A_IbLb1EEEEDaS16_S17_EUlS16_E_NS1_11comp_targetILNS1_3genE8ELNS1_11target_archE1030ELNS1_3gpuE2ELNS1_3repE0EEENS1_30default_config_static_selectorELNS0_4arch9wavefront6targetE0EEEvT1_
                                        ; -- End function
	.set _ZN7rocprim17ROCPRIM_400000_NS6detail17trampoline_kernelINS0_14default_configENS1_25partition_config_selectorILNS1_17partition_subalgoE6ExNS0_10empty_typeEbEEZZNS1_14partition_implILS5_6ELb0ES3_mN6thrust23THRUST_200600_302600_NS6detail15normal_iteratorINSA_10device_ptrIxEEEEPS6_SG_NS0_5tupleIJNSA_16discard_iteratorINSA_11use_defaultEEES6_EEENSH_IJSG_SG_EEES6_PlJNSB_9not_fun_tINSB_14equal_to_valueIxEEEEEEE10hipError_tPvRmT3_T4_T5_T6_T7_T9_mT8_P12ihipStream_tbDpT10_ENKUlT_T0_E_clISt17integral_constantIbLb0EES1A_IbLb1EEEEDaS16_S17_EUlS16_E_NS1_11comp_targetILNS1_3genE8ELNS1_11target_archE1030ELNS1_3gpuE2ELNS1_3repE0EEENS1_30default_config_static_selectorELNS0_4arch9wavefront6targetE0EEEvT1_.num_vgpr, 0
	.set _ZN7rocprim17ROCPRIM_400000_NS6detail17trampoline_kernelINS0_14default_configENS1_25partition_config_selectorILNS1_17partition_subalgoE6ExNS0_10empty_typeEbEEZZNS1_14partition_implILS5_6ELb0ES3_mN6thrust23THRUST_200600_302600_NS6detail15normal_iteratorINSA_10device_ptrIxEEEEPS6_SG_NS0_5tupleIJNSA_16discard_iteratorINSA_11use_defaultEEES6_EEENSH_IJSG_SG_EEES6_PlJNSB_9not_fun_tINSB_14equal_to_valueIxEEEEEEE10hipError_tPvRmT3_T4_T5_T6_T7_T9_mT8_P12ihipStream_tbDpT10_ENKUlT_T0_E_clISt17integral_constantIbLb0EES1A_IbLb1EEEEDaS16_S17_EUlS16_E_NS1_11comp_targetILNS1_3genE8ELNS1_11target_archE1030ELNS1_3gpuE2ELNS1_3repE0EEENS1_30default_config_static_selectorELNS0_4arch9wavefront6targetE0EEEvT1_.num_agpr, 0
	.set _ZN7rocprim17ROCPRIM_400000_NS6detail17trampoline_kernelINS0_14default_configENS1_25partition_config_selectorILNS1_17partition_subalgoE6ExNS0_10empty_typeEbEEZZNS1_14partition_implILS5_6ELb0ES3_mN6thrust23THRUST_200600_302600_NS6detail15normal_iteratorINSA_10device_ptrIxEEEEPS6_SG_NS0_5tupleIJNSA_16discard_iteratorINSA_11use_defaultEEES6_EEENSH_IJSG_SG_EEES6_PlJNSB_9not_fun_tINSB_14equal_to_valueIxEEEEEEE10hipError_tPvRmT3_T4_T5_T6_T7_T9_mT8_P12ihipStream_tbDpT10_ENKUlT_T0_E_clISt17integral_constantIbLb0EES1A_IbLb1EEEEDaS16_S17_EUlS16_E_NS1_11comp_targetILNS1_3genE8ELNS1_11target_archE1030ELNS1_3gpuE2ELNS1_3repE0EEENS1_30default_config_static_selectorELNS0_4arch9wavefront6targetE0EEEvT1_.numbered_sgpr, 0
	.set _ZN7rocprim17ROCPRIM_400000_NS6detail17trampoline_kernelINS0_14default_configENS1_25partition_config_selectorILNS1_17partition_subalgoE6ExNS0_10empty_typeEbEEZZNS1_14partition_implILS5_6ELb0ES3_mN6thrust23THRUST_200600_302600_NS6detail15normal_iteratorINSA_10device_ptrIxEEEEPS6_SG_NS0_5tupleIJNSA_16discard_iteratorINSA_11use_defaultEEES6_EEENSH_IJSG_SG_EEES6_PlJNSB_9not_fun_tINSB_14equal_to_valueIxEEEEEEE10hipError_tPvRmT3_T4_T5_T6_T7_T9_mT8_P12ihipStream_tbDpT10_ENKUlT_T0_E_clISt17integral_constantIbLb0EES1A_IbLb1EEEEDaS16_S17_EUlS16_E_NS1_11comp_targetILNS1_3genE8ELNS1_11target_archE1030ELNS1_3gpuE2ELNS1_3repE0EEENS1_30default_config_static_selectorELNS0_4arch9wavefront6targetE0EEEvT1_.num_named_barrier, 0
	.set _ZN7rocprim17ROCPRIM_400000_NS6detail17trampoline_kernelINS0_14default_configENS1_25partition_config_selectorILNS1_17partition_subalgoE6ExNS0_10empty_typeEbEEZZNS1_14partition_implILS5_6ELb0ES3_mN6thrust23THRUST_200600_302600_NS6detail15normal_iteratorINSA_10device_ptrIxEEEEPS6_SG_NS0_5tupleIJNSA_16discard_iteratorINSA_11use_defaultEEES6_EEENSH_IJSG_SG_EEES6_PlJNSB_9not_fun_tINSB_14equal_to_valueIxEEEEEEE10hipError_tPvRmT3_T4_T5_T6_T7_T9_mT8_P12ihipStream_tbDpT10_ENKUlT_T0_E_clISt17integral_constantIbLb0EES1A_IbLb1EEEEDaS16_S17_EUlS16_E_NS1_11comp_targetILNS1_3genE8ELNS1_11target_archE1030ELNS1_3gpuE2ELNS1_3repE0EEENS1_30default_config_static_selectorELNS0_4arch9wavefront6targetE0EEEvT1_.private_seg_size, 0
	.set _ZN7rocprim17ROCPRIM_400000_NS6detail17trampoline_kernelINS0_14default_configENS1_25partition_config_selectorILNS1_17partition_subalgoE6ExNS0_10empty_typeEbEEZZNS1_14partition_implILS5_6ELb0ES3_mN6thrust23THRUST_200600_302600_NS6detail15normal_iteratorINSA_10device_ptrIxEEEEPS6_SG_NS0_5tupleIJNSA_16discard_iteratorINSA_11use_defaultEEES6_EEENSH_IJSG_SG_EEES6_PlJNSB_9not_fun_tINSB_14equal_to_valueIxEEEEEEE10hipError_tPvRmT3_T4_T5_T6_T7_T9_mT8_P12ihipStream_tbDpT10_ENKUlT_T0_E_clISt17integral_constantIbLb0EES1A_IbLb1EEEEDaS16_S17_EUlS16_E_NS1_11comp_targetILNS1_3genE8ELNS1_11target_archE1030ELNS1_3gpuE2ELNS1_3repE0EEENS1_30default_config_static_selectorELNS0_4arch9wavefront6targetE0EEEvT1_.uses_vcc, 0
	.set _ZN7rocprim17ROCPRIM_400000_NS6detail17trampoline_kernelINS0_14default_configENS1_25partition_config_selectorILNS1_17partition_subalgoE6ExNS0_10empty_typeEbEEZZNS1_14partition_implILS5_6ELb0ES3_mN6thrust23THRUST_200600_302600_NS6detail15normal_iteratorINSA_10device_ptrIxEEEEPS6_SG_NS0_5tupleIJNSA_16discard_iteratorINSA_11use_defaultEEES6_EEENSH_IJSG_SG_EEES6_PlJNSB_9not_fun_tINSB_14equal_to_valueIxEEEEEEE10hipError_tPvRmT3_T4_T5_T6_T7_T9_mT8_P12ihipStream_tbDpT10_ENKUlT_T0_E_clISt17integral_constantIbLb0EES1A_IbLb1EEEEDaS16_S17_EUlS16_E_NS1_11comp_targetILNS1_3genE8ELNS1_11target_archE1030ELNS1_3gpuE2ELNS1_3repE0EEENS1_30default_config_static_selectorELNS0_4arch9wavefront6targetE0EEEvT1_.uses_flat_scratch, 0
	.set _ZN7rocprim17ROCPRIM_400000_NS6detail17trampoline_kernelINS0_14default_configENS1_25partition_config_selectorILNS1_17partition_subalgoE6ExNS0_10empty_typeEbEEZZNS1_14partition_implILS5_6ELb0ES3_mN6thrust23THRUST_200600_302600_NS6detail15normal_iteratorINSA_10device_ptrIxEEEEPS6_SG_NS0_5tupleIJNSA_16discard_iteratorINSA_11use_defaultEEES6_EEENSH_IJSG_SG_EEES6_PlJNSB_9not_fun_tINSB_14equal_to_valueIxEEEEEEE10hipError_tPvRmT3_T4_T5_T6_T7_T9_mT8_P12ihipStream_tbDpT10_ENKUlT_T0_E_clISt17integral_constantIbLb0EES1A_IbLb1EEEEDaS16_S17_EUlS16_E_NS1_11comp_targetILNS1_3genE8ELNS1_11target_archE1030ELNS1_3gpuE2ELNS1_3repE0EEENS1_30default_config_static_selectorELNS0_4arch9wavefront6targetE0EEEvT1_.has_dyn_sized_stack, 0
	.set _ZN7rocprim17ROCPRIM_400000_NS6detail17trampoline_kernelINS0_14default_configENS1_25partition_config_selectorILNS1_17partition_subalgoE6ExNS0_10empty_typeEbEEZZNS1_14partition_implILS5_6ELb0ES3_mN6thrust23THRUST_200600_302600_NS6detail15normal_iteratorINSA_10device_ptrIxEEEEPS6_SG_NS0_5tupleIJNSA_16discard_iteratorINSA_11use_defaultEEES6_EEENSH_IJSG_SG_EEES6_PlJNSB_9not_fun_tINSB_14equal_to_valueIxEEEEEEE10hipError_tPvRmT3_T4_T5_T6_T7_T9_mT8_P12ihipStream_tbDpT10_ENKUlT_T0_E_clISt17integral_constantIbLb0EES1A_IbLb1EEEEDaS16_S17_EUlS16_E_NS1_11comp_targetILNS1_3genE8ELNS1_11target_archE1030ELNS1_3gpuE2ELNS1_3repE0EEENS1_30default_config_static_selectorELNS0_4arch9wavefront6targetE0EEEvT1_.has_recursion, 0
	.set _ZN7rocprim17ROCPRIM_400000_NS6detail17trampoline_kernelINS0_14default_configENS1_25partition_config_selectorILNS1_17partition_subalgoE6ExNS0_10empty_typeEbEEZZNS1_14partition_implILS5_6ELb0ES3_mN6thrust23THRUST_200600_302600_NS6detail15normal_iteratorINSA_10device_ptrIxEEEEPS6_SG_NS0_5tupleIJNSA_16discard_iteratorINSA_11use_defaultEEES6_EEENSH_IJSG_SG_EEES6_PlJNSB_9not_fun_tINSB_14equal_to_valueIxEEEEEEE10hipError_tPvRmT3_T4_T5_T6_T7_T9_mT8_P12ihipStream_tbDpT10_ENKUlT_T0_E_clISt17integral_constantIbLb0EES1A_IbLb1EEEEDaS16_S17_EUlS16_E_NS1_11comp_targetILNS1_3genE8ELNS1_11target_archE1030ELNS1_3gpuE2ELNS1_3repE0EEENS1_30default_config_static_selectorELNS0_4arch9wavefront6targetE0EEEvT1_.has_indirect_call, 0
	.section	.AMDGPU.csdata,"",@progbits
; Kernel info:
; codeLenInByte = 0
; TotalNumSgprs: 0
; NumVgprs: 0
; ScratchSize: 0
; MemoryBound: 0
; FloatMode: 240
; IeeeMode: 1
; LDSByteSize: 0 bytes/workgroup (compile time only)
; SGPRBlocks: 0
; VGPRBlocks: 0
; NumSGPRsForWavesPerEU: 1
; NumVGPRsForWavesPerEU: 1
; Occupancy: 16
; WaveLimiterHint : 0
; COMPUTE_PGM_RSRC2:SCRATCH_EN: 0
; COMPUTE_PGM_RSRC2:USER_SGPR: 2
; COMPUTE_PGM_RSRC2:TRAP_HANDLER: 0
; COMPUTE_PGM_RSRC2:TGID_X_EN: 1
; COMPUTE_PGM_RSRC2:TGID_Y_EN: 0
; COMPUTE_PGM_RSRC2:TGID_Z_EN: 0
; COMPUTE_PGM_RSRC2:TIDIG_COMP_CNT: 0
	.section	.text._ZN7rocprim17ROCPRIM_400000_NS6detail17trampoline_kernelINS0_14default_configENS1_25partition_config_selectorILNS1_17partition_subalgoE6EiNS0_10empty_typeEbEEZZNS1_14partition_implILS5_6ELb0ES3_mN6thrust23THRUST_200600_302600_NS6detail15normal_iteratorINSA_10device_ptrIiEEEEPS6_SG_NS0_5tupleIJNSA_16discard_iteratorINSA_11use_defaultEEES6_EEENSH_IJSG_SG_EEES6_PlJNSB_9not_fun_tINSB_14equal_to_valueIiEEEEEEE10hipError_tPvRmT3_T4_T5_T6_T7_T9_mT8_P12ihipStream_tbDpT10_ENKUlT_T0_E_clISt17integral_constantIbLb0EES1B_EEDaS16_S17_EUlS16_E_NS1_11comp_targetILNS1_3genE0ELNS1_11target_archE4294967295ELNS1_3gpuE0ELNS1_3repE0EEENS1_30default_config_static_selectorELNS0_4arch9wavefront6targetE0EEEvT1_,"axG",@progbits,_ZN7rocprim17ROCPRIM_400000_NS6detail17trampoline_kernelINS0_14default_configENS1_25partition_config_selectorILNS1_17partition_subalgoE6EiNS0_10empty_typeEbEEZZNS1_14partition_implILS5_6ELb0ES3_mN6thrust23THRUST_200600_302600_NS6detail15normal_iteratorINSA_10device_ptrIiEEEEPS6_SG_NS0_5tupleIJNSA_16discard_iteratorINSA_11use_defaultEEES6_EEENSH_IJSG_SG_EEES6_PlJNSB_9not_fun_tINSB_14equal_to_valueIiEEEEEEE10hipError_tPvRmT3_T4_T5_T6_T7_T9_mT8_P12ihipStream_tbDpT10_ENKUlT_T0_E_clISt17integral_constantIbLb0EES1B_EEDaS16_S17_EUlS16_E_NS1_11comp_targetILNS1_3genE0ELNS1_11target_archE4294967295ELNS1_3gpuE0ELNS1_3repE0EEENS1_30default_config_static_selectorELNS0_4arch9wavefront6targetE0EEEvT1_,comdat
	.protected	_ZN7rocprim17ROCPRIM_400000_NS6detail17trampoline_kernelINS0_14default_configENS1_25partition_config_selectorILNS1_17partition_subalgoE6EiNS0_10empty_typeEbEEZZNS1_14partition_implILS5_6ELb0ES3_mN6thrust23THRUST_200600_302600_NS6detail15normal_iteratorINSA_10device_ptrIiEEEEPS6_SG_NS0_5tupleIJNSA_16discard_iteratorINSA_11use_defaultEEES6_EEENSH_IJSG_SG_EEES6_PlJNSB_9not_fun_tINSB_14equal_to_valueIiEEEEEEE10hipError_tPvRmT3_T4_T5_T6_T7_T9_mT8_P12ihipStream_tbDpT10_ENKUlT_T0_E_clISt17integral_constantIbLb0EES1B_EEDaS16_S17_EUlS16_E_NS1_11comp_targetILNS1_3genE0ELNS1_11target_archE4294967295ELNS1_3gpuE0ELNS1_3repE0EEENS1_30default_config_static_selectorELNS0_4arch9wavefront6targetE0EEEvT1_ ; -- Begin function _ZN7rocprim17ROCPRIM_400000_NS6detail17trampoline_kernelINS0_14default_configENS1_25partition_config_selectorILNS1_17partition_subalgoE6EiNS0_10empty_typeEbEEZZNS1_14partition_implILS5_6ELb0ES3_mN6thrust23THRUST_200600_302600_NS6detail15normal_iteratorINSA_10device_ptrIiEEEEPS6_SG_NS0_5tupleIJNSA_16discard_iteratorINSA_11use_defaultEEES6_EEENSH_IJSG_SG_EEES6_PlJNSB_9not_fun_tINSB_14equal_to_valueIiEEEEEEE10hipError_tPvRmT3_T4_T5_T6_T7_T9_mT8_P12ihipStream_tbDpT10_ENKUlT_T0_E_clISt17integral_constantIbLb0EES1B_EEDaS16_S17_EUlS16_E_NS1_11comp_targetILNS1_3genE0ELNS1_11target_archE4294967295ELNS1_3gpuE0ELNS1_3repE0EEENS1_30default_config_static_selectorELNS0_4arch9wavefront6targetE0EEEvT1_
	.globl	_ZN7rocprim17ROCPRIM_400000_NS6detail17trampoline_kernelINS0_14default_configENS1_25partition_config_selectorILNS1_17partition_subalgoE6EiNS0_10empty_typeEbEEZZNS1_14partition_implILS5_6ELb0ES3_mN6thrust23THRUST_200600_302600_NS6detail15normal_iteratorINSA_10device_ptrIiEEEEPS6_SG_NS0_5tupleIJNSA_16discard_iteratorINSA_11use_defaultEEES6_EEENSH_IJSG_SG_EEES6_PlJNSB_9not_fun_tINSB_14equal_to_valueIiEEEEEEE10hipError_tPvRmT3_T4_T5_T6_T7_T9_mT8_P12ihipStream_tbDpT10_ENKUlT_T0_E_clISt17integral_constantIbLb0EES1B_EEDaS16_S17_EUlS16_E_NS1_11comp_targetILNS1_3genE0ELNS1_11target_archE4294967295ELNS1_3gpuE0ELNS1_3repE0EEENS1_30default_config_static_selectorELNS0_4arch9wavefront6targetE0EEEvT1_
	.p2align	8
	.type	_ZN7rocprim17ROCPRIM_400000_NS6detail17trampoline_kernelINS0_14default_configENS1_25partition_config_selectorILNS1_17partition_subalgoE6EiNS0_10empty_typeEbEEZZNS1_14partition_implILS5_6ELb0ES3_mN6thrust23THRUST_200600_302600_NS6detail15normal_iteratorINSA_10device_ptrIiEEEEPS6_SG_NS0_5tupleIJNSA_16discard_iteratorINSA_11use_defaultEEES6_EEENSH_IJSG_SG_EEES6_PlJNSB_9not_fun_tINSB_14equal_to_valueIiEEEEEEE10hipError_tPvRmT3_T4_T5_T6_T7_T9_mT8_P12ihipStream_tbDpT10_ENKUlT_T0_E_clISt17integral_constantIbLb0EES1B_EEDaS16_S17_EUlS16_E_NS1_11comp_targetILNS1_3genE0ELNS1_11target_archE4294967295ELNS1_3gpuE0ELNS1_3repE0EEENS1_30default_config_static_selectorELNS0_4arch9wavefront6targetE0EEEvT1_,@function
_ZN7rocprim17ROCPRIM_400000_NS6detail17trampoline_kernelINS0_14default_configENS1_25partition_config_selectorILNS1_17partition_subalgoE6EiNS0_10empty_typeEbEEZZNS1_14partition_implILS5_6ELb0ES3_mN6thrust23THRUST_200600_302600_NS6detail15normal_iteratorINSA_10device_ptrIiEEEEPS6_SG_NS0_5tupleIJNSA_16discard_iteratorINSA_11use_defaultEEES6_EEENSH_IJSG_SG_EEES6_PlJNSB_9not_fun_tINSB_14equal_to_valueIiEEEEEEE10hipError_tPvRmT3_T4_T5_T6_T7_T9_mT8_P12ihipStream_tbDpT10_ENKUlT_T0_E_clISt17integral_constantIbLb0EES1B_EEDaS16_S17_EUlS16_E_NS1_11comp_targetILNS1_3genE0ELNS1_11target_archE4294967295ELNS1_3gpuE0ELNS1_3repE0EEENS1_30default_config_static_selectorELNS0_4arch9wavefront6targetE0EEEvT1_: ; @_ZN7rocprim17ROCPRIM_400000_NS6detail17trampoline_kernelINS0_14default_configENS1_25partition_config_selectorILNS1_17partition_subalgoE6EiNS0_10empty_typeEbEEZZNS1_14partition_implILS5_6ELb0ES3_mN6thrust23THRUST_200600_302600_NS6detail15normal_iteratorINSA_10device_ptrIiEEEEPS6_SG_NS0_5tupleIJNSA_16discard_iteratorINSA_11use_defaultEEES6_EEENSH_IJSG_SG_EEES6_PlJNSB_9not_fun_tINSB_14equal_to_valueIiEEEEEEE10hipError_tPvRmT3_T4_T5_T6_T7_T9_mT8_P12ihipStream_tbDpT10_ENKUlT_T0_E_clISt17integral_constantIbLb0EES1B_EEDaS16_S17_EUlS16_E_NS1_11comp_targetILNS1_3genE0ELNS1_11target_archE4294967295ELNS1_3gpuE0ELNS1_3repE0EEENS1_30default_config_static_selectorELNS0_4arch9wavefront6targetE0EEEvT1_
; %bb.0:
	.section	.rodata,"a",@progbits
	.p2align	6, 0x0
	.amdhsa_kernel _ZN7rocprim17ROCPRIM_400000_NS6detail17trampoline_kernelINS0_14default_configENS1_25partition_config_selectorILNS1_17partition_subalgoE6EiNS0_10empty_typeEbEEZZNS1_14partition_implILS5_6ELb0ES3_mN6thrust23THRUST_200600_302600_NS6detail15normal_iteratorINSA_10device_ptrIiEEEEPS6_SG_NS0_5tupleIJNSA_16discard_iteratorINSA_11use_defaultEEES6_EEENSH_IJSG_SG_EEES6_PlJNSB_9not_fun_tINSB_14equal_to_valueIiEEEEEEE10hipError_tPvRmT3_T4_T5_T6_T7_T9_mT8_P12ihipStream_tbDpT10_ENKUlT_T0_E_clISt17integral_constantIbLb0EES1B_EEDaS16_S17_EUlS16_E_NS1_11comp_targetILNS1_3genE0ELNS1_11target_archE4294967295ELNS1_3gpuE0ELNS1_3repE0EEENS1_30default_config_static_selectorELNS0_4arch9wavefront6targetE0EEEvT1_
		.amdhsa_group_segment_fixed_size 0
		.amdhsa_private_segment_fixed_size 0
		.amdhsa_kernarg_size 128
		.amdhsa_user_sgpr_count 2
		.amdhsa_user_sgpr_dispatch_ptr 0
		.amdhsa_user_sgpr_queue_ptr 0
		.amdhsa_user_sgpr_kernarg_segment_ptr 1
		.amdhsa_user_sgpr_dispatch_id 0
		.amdhsa_user_sgpr_private_segment_size 0
		.amdhsa_wavefront_size32 1
		.amdhsa_uses_dynamic_stack 0
		.amdhsa_enable_private_segment 0
		.amdhsa_system_sgpr_workgroup_id_x 1
		.amdhsa_system_sgpr_workgroup_id_y 0
		.amdhsa_system_sgpr_workgroup_id_z 0
		.amdhsa_system_sgpr_workgroup_info 0
		.amdhsa_system_vgpr_workitem_id 0
		.amdhsa_next_free_vgpr 1
		.amdhsa_next_free_sgpr 1
		.amdhsa_reserve_vcc 0
		.amdhsa_float_round_mode_32 0
		.amdhsa_float_round_mode_16_64 0
		.amdhsa_float_denorm_mode_32 3
		.amdhsa_float_denorm_mode_16_64 3
		.amdhsa_fp16_overflow 0
		.amdhsa_workgroup_processor_mode 1
		.amdhsa_memory_ordered 1
		.amdhsa_forward_progress 1
		.amdhsa_inst_pref_size 0
		.amdhsa_round_robin_scheduling 0
		.amdhsa_exception_fp_ieee_invalid_op 0
		.amdhsa_exception_fp_denorm_src 0
		.amdhsa_exception_fp_ieee_div_zero 0
		.amdhsa_exception_fp_ieee_overflow 0
		.amdhsa_exception_fp_ieee_underflow 0
		.amdhsa_exception_fp_ieee_inexact 0
		.amdhsa_exception_int_div_zero 0
	.end_amdhsa_kernel
	.section	.text._ZN7rocprim17ROCPRIM_400000_NS6detail17trampoline_kernelINS0_14default_configENS1_25partition_config_selectorILNS1_17partition_subalgoE6EiNS0_10empty_typeEbEEZZNS1_14partition_implILS5_6ELb0ES3_mN6thrust23THRUST_200600_302600_NS6detail15normal_iteratorINSA_10device_ptrIiEEEEPS6_SG_NS0_5tupleIJNSA_16discard_iteratorINSA_11use_defaultEEES6_EEENSH_IJSG_SG_EEES6_PlJNSB_9not_fun_tINSB_14equal_to_valueIiEEEEEEE10hipError_tPvRmT3_T4_T5_T6_T7_T9_mT8_P12ihipStream_tbDpT10_ENKUlT_T0_E_clISt17integral_constantIbLb0EES1B_EEDaS16_S17_EUlS16_E_NS1_11comp_targetILNS1_3genE0ELNS1_11target_archE4294967295ELNS1_3gpuE0ELNS1_3repE0EEENS1_30default_config_static_selectorELNS0_4arch9wavefront6targetE0EEEvT1_,"axG",@progbits,_ZN7rocprim17ROCPRIM_400000_NS6detail17trampoline_kernelINS0_14default_configENS1_25partition_config_selectorILNS1_17partition_subalgoE6EiNS0_10empty_typeEbEEZZNS1_14partition_implILS5_6ELb0ES3_mN6thrust23THRUST_200600_302600_NS6detail15normal_iteratorINSA_10device_ptrIiEEEEPS6_SG_NS0_5tupleIJNSA_16discard_iteratorINSA_11use_defaultEEES6_EEENSH_IJSG_SG_EEES6_PlJNSB_9not_fun_tINSB_14equal_to_valueIiEEEEEEE10hipError_tPvRmT3_T4_T5_T6_T7_T9_mT8_P12ihipStream_tbDpT10_ENKUlT_T0_E_clISt17integral_constantIbLb0EES1B_EEDaS16_S17_EUlS16_E_NS1_11comp_targetILNS1_3genE0ELNS1_11target_archE4294967295ELNS1_3gpuE0ELNS1_3repE0EEENS1_30default_config_static_selectorELNS0_4arch9wavefront6targetE0EEEvT1_,comdat
.Lfunc_end1757:
	.size	_ZN7rocprim17ROCPRIM_400000_NS6detail17trampoline_kernelINS0_14default_configENS1_25partition_config_selectorILNS1_17partition_subalgoE6EiNS0_10empty_typeEbEEZZNS1_14partition_implILS5_6ELb0ES3_mN6thrust23THRUST_200600_302600_NS6detail15normal_iteratorINSA_10device_ptrIiEEEEPS6_SG_NS0_5tupleIJNSA_16discard_iteratorINSA_11use_defaultEEES6_EEENSH_IJSG_SG_EEES6_PlJNSB_9not_fun_tINSB_14equal_to_valueIiEEEEEEE10hipError_tPvRmT3_T4_T5_T6_T7_T9_mT8_P12ihipStream_tbDpT10_ENKUlT_T0_E_clISt17integral_constantIbLb0EES1B_EEDaS16_S17_EUlS16_E_NS1_11comp_targetILNS1_3genE0ELNS1_11target_archE4294967295ELNS1_3gpuE0ELNS1_3repE0EEENS1_30default_config_static_selectorELNS0_4arch9wavefront6targetE0EEEvT1_, .Lfunc_end1757-_ZN7rocprim17ROCPRIM_400000_NS6detail17trampoline_kernelINS0_14default_configENS1_25partition_config_selectorILNS1_17partition_subalgoE6EiNS0_10empty_typeEbEEZZNS1_14partition_implILS5_6ELb0ES3_mN6thrust23THRUST_200600_302600_NS6detail15normal_iteratorINSA_10device_ptrIiEEEEPS6_SG_NS0_5tupleIJNSA_16discard_iteratorINSA_11use_defaultEEES6_EEENSH_IJSG_SG_EEES6_PlJNSB_9not_fun_tINSB_14equal_to_valueIiEEEEEEE10hipError_tPvRmT3_T4_T5_T6_T7_T9_mT8_P12ihipStream_tbDpT10_ENKUlT_T0_E_clISt17integral_constantIbLb0EES1B_EEDaS16_S17_EUlS16_E_NS1_11comp_targetILNS1_3genE0ELNS1_11target_archE4294967295ELNS1_3gpuE0ELNS1_3repE0EEENS1_30default_config_static_selectorELNS0_4arch9wavefront6targetE0EEEvT1_
                                        ; -- End function
	.set _ZN7rocprim17ROCPRIM_400000_NS6detail17trampoline_kernelINS0_14default_configENS1_25partition_config_selectorILNS1_17partition_subalgoE6EiNS0_10empty_typeEbEEZZNS1_14partition_implILS5_6ELb0ES3_mN6thrust23THRUST_200600_302600_NS6detail15normal_iteratorINSA_10device_ptrIiEEEEPS6_SG_NS0_5tupleIJNSA_16discard_iteratorINSA_11use_defaultEEES6_EEENSH_IJSG_SG_EEES6_PlJNSB_9not_fun_tINSB_14equal_to_valueIiEEEEEEE10hipError_tPvRmT3_T4_T5_T6_T7_T9_mT8_P12ihipStream_tbDpT10_ENKUlT_T0_E_clISt17integral_constantIbLb0EES1B_EEDaS16_S17_EUlS16_E_NS1_11comp_targetILNS1_3genE0ELNS1_11target_archE4294967295ELNS1_3gpuE0ELNS1_3repE0EEENS1_30default_config_static_selectorELNS0_4arch9wavefront6targetE0EEEvT1_.num_vgpr, 0
	.set _ZN7rocprim17ROCPRIM_400000_NS6detail17trampoline_kernelINS0_14default_configENS1_25partition_config_selectorILNS1_17partition_subalgoE6EiNS0_10empty_typeEbEEZZNS1_14partition_implILS5_6ELb0ES3_mN6thrust23THRUST_200600_302600_NS6detail15normal_iteratorINSA_10device_ptrIiEEEEPS6_SG_NS0_5tupleIJNSA_16discard_iteratorINSA_11use_defaultEEES6_EEENSH_IJSG_SG_EEES6_PlJNSB_9not_fun_tINSB_14equal_to_valueIiEEEEEEE10hipError_tPvRmT3_T4_T5_T6_T7_T9_mT8_P12ihipStream_tbDpT10_ENKUlT_T0_E_clISt17integral_constantIbLb0EES1B_EEDaS16_S17_EUlS16_E_NS1_11comp_targetILNS1_3genE0ELNS1_11target_archE4294967295ELNS1_3gpuE0ELNS1_3repE0EEENS1_30default_config_static_selectorELNS0_4arch9wavefront6targetE0EEEvT1_.num_agpr, 0
	.set _ZN7rocprim17ROCPRIM_400000_NS6detail17trampoline_kernelINS0_14default_configENS1_25partition_config_selectorILNS1_17partition_subalgoE6EiNS0_10empty_typeEbEEZZNS1_14partition_implILS5_6ELb0ES3_mN6thrust23THRUST_200600_302600_NS6detail15normal_iteratorINSA_10device_ptrIiEEEEPS6_SG_NS0_5tupleIJNSA_16discard_iteratorINSA_11use_defaultEEES6_EEENSH_IJSG_SG_EEES6_PlJNSB_9not_fun_tINSB_14equal_to_valueIiEEEEEEE10hipError_tPvRmT3_T4_T5_T6_T7_T9_mT8_P12ihipStream_tbDpT10_ENKUlT_T0_E_clISt17integral_constantIbLb0EES1B_EEDaS16_S17_EUlS16_E_NS1_11comp_targetILNS1_3genE0ELNS1_11target_archE4294967295ELNS1_3gpuE0ELNS1_3repE0EEENS1_30default_config_static_selectorELNS0_4arch9wavefront6targetE0EEEvT1_.numbered_sgpr, 0
	.set _ZN7rocprim17ROCPRIM_400000_NS6detail17trampoline_kernelINS0_14default_configENS1_25partition_config_selectorILNS1_17partition_subalgoE6EiNS0_10empty_typeEbEEZZNS1_14partition_implILS5_6ELb0ES3_mN6thrust23THRUST_200600_302600_NS6detail15normal_iteratorINSA_10device_ptrIiEEEEPS6_SG_NS0_5tupleIJNSA_16discard_iteratorINSA_11use_defaultEEES6_EEENSH_IJSG_SG_EEES6_PlJNSB_9not_fun_tINSB_14equal_to_valueIiEEEEEEE10hipError_tPvRmT3_T4_T5_T6_T7_T9_mT8_P12ihipStream_tbDpT10_ENKUlT_T0_E_clISt17integral_constantIbLb0EES1B_EEDaS16_S17_EUlS16_E_NS1_11comp_targetILNS1_3genE0ELNS1_11target_archE4294967295ELNS1_3gpuE0ELNS1_3repE0EEENS1_30default_config_static_selectorELNS0_4arch9wavefront6targetE0EEEvT1_.num_named_barrier, 0
	.set _ZN7rocprim17ROCPRIM_400000_NS6detail17trampoline_kernelINS0_14default_configENS1_25partition_config_selectorILNS1_17partition_subalgoE6EiNS0_10empty_typeEbEEZZNS1_14partition_implILS5_6ELb0ES3_mN6thrust23THRUST_200600_302600_NS6detail15normal_iteratorINSA_10device_ptrIiEEEEPS6_SG_NS0_5tupleIJNSA_16discard_iteratorINSA_11use_defaultEEES6_EEENSH_IJSG_SG_EEES6_PlJNSB_9not_fun_tINSB_14equal_to_valueIiEEEEEEE10hipError_tPvRmT3_T4_T5_T6_T7_T9_mT8_P12ihipStream_tbDpT10_ENKUlT_T0_E_clISt17integral_constantIbLb0EES1B_EEDaS16_S17_EUlS16_E_NS1_11comp_targetILNS1_3genE0ELNS1_11target_archE4294967295ELNS1_3gpuE0ELNS1_3repE0EEENS1_30default_config_static_selectorELNS0_4arch9wavefront6targetE0EEEvT1_.private_seg_size, 0
	.set _ZN7rocprim17ROCPRIM_400000_NS6detail17trampoline_kernelINS0_14default_configENS1_25partition_config_selectorILNS1_17partition_subalgoE6EiNS0_10empty_typeEbEEZZNS1_14partition_implILS5_6ELb0ES3_mN6thrust23THRUST_200600_302600_NS6detail15normal_iteratorINSA_10device_ptrIiEEEEPS6_SG_NS0_5tupleIJNSA_16discard_iteratorINSA_11use_defaultEEES6_EEENSH_IJSG_SG_EEES6_PlJNSB_9not_fun_tINSB_14equal_to_valueIiEEEEEEE10hipError_tPvRmT3_T4_T5_T6_T7_T9_mT8_P12ihipStream_tbDpT10_ENKUlT_T0_E_clISt17integral_constantIbLb0EES1B_EEDaS16_S17_EUlS16_E_NS1_11comp_targetILNS1_3genE0ELNS1_11target_archE4294967295ELNS1_3gpuE0ELNS1_3repE0EEENS1_30default_config_static_selectorELNS0_4arch9wavefront6targetE0EEEvT1_.uses_vcc, 0
	.set _ZN7rocprim17ROCPRIM_400000_NS6detail17trampoline_kernelINS0_14default_configENS1_25partition_config_selectorILNS1_17partition_subalgoE6EiNS0_10empty_typeEbEEZZNS1_14partition_implILS5_6ELb0ES3_mN6thrust23THRUST_200600_302600_NS6detail15normal_iteratorINSA_10device_ptrIiEEEEPS6_SG_NS0_5tupleIJNSA_16discard_iteratorINSA_11use_defaultEEES6_EEENSH_IJSG_SG_EEES6_PlJNSB_9not_fun_tINSB_14equal_to_valueIiEEEEEEE10hipError_tPvRmT3_T4_T5_T6_T7_T9_mT8_P12ihipStream_tbDpT10_ENKUlT_T0_E_clISt17integral_constantIbLb0EES1B_EEDaS16_S17_EUlS16_E_NS1_11comp_targetILNS1_3genE0ELNS1_11target_archE4294967295ELNS1_3gpuE0ELNS1_3repE0EEENS1_30default_config_static_selectorELNS0_4arch9wavefront6targetE0EEEvT1_.uses_flat_scratch, 0
	.set _ZN7rocprim17ROCPRIM_400000_NS6detail17trampoline_kernelINS0_14default_configENS1_25partition_config_selectorILNS1_17partition_subalgoE6EiNS0_10empty_typeEbEEZZNS1_14partition_implILS5_6ELb0ES3_mN6thrust23THRUST_200600_302600_NS6detail15normal_iteratorINSA_10device_ptrIiEEEEPS6_SG_NS0_5tupleIJNSA_16discard_iteratorINSA_11use_defaultEEES6_EEENSH_IJSG_SG_EEES6_PlJNSB_9not_fun_tINSB_14equal_to_valueIiEEEEEEE10hipError_tPvRmT3_T4_T5_T6_T7_T9_mT8_P12ihipStream_tbDpT10_ENKUlT_T0_E_clISt17integral_constantIbLb0EES1B_EEDaS16_S17_EUlS16_E_NS1_11comp_targetILNS1_3genE0ELNS1_11target_archE4294967295ELNS1_3gpuE0ELNS1_3repE0EEENS1_30default_config_static_selectorELNS0_4arch9wavefront6targetE0EEEvT1_.has_dyn_sized_stack, 0
	.set _ZN7rocprim17ROCPRIM_400000_NS6detail17trampoline_kernelINS0_14default_configENS1_25partition_config_selectorILNS1_17partition_subalgoE6EiNS0_10empty_typeEbEEZZNS1_14partition_implILS5_6ELb0ES3_mN6thrust23THRUST_200600_302600_NS6detail15normal_iteratorINSA_10device_ptrIiEEEEPS6_SG_NS0_5tupleIJNSA_16discard_iteratorINSA_11use_defaultEEES6_EEENSH_IJSG_SG_EEES6_PlJNSB_9not_fun_tINSB_14equal_to_valueIiEEEEEEE10hipError_tPvRmT3_T4_T5_T6_T7_T9_mT8_P12ihipStream_tbDpT10_ENKUlT_T0_E_clISt17integral_constantIbLb0EES1B_EEDaS16_S17_EUlS16_E_NS1_11comp_targetILNS1_3genE0ELNS1_11target_archE4294967295ELNS1_3gpuE0ELNS1_3repE0EEENS1_30default_config_static_selectorELNS0_4arch9wavefront6targetE0EEEvT1_.has_recursion, 0
	.set _ZN7rocprim17ROCPRIM_400000_NS6detail17trampoline_kernelINS0_14default_configENS1_25partition_config_selectorILNS1_17partition_subalgoE6EiNS0_10empty_typeEbEEZZNS1_14partition_implILS5_6ELb0ES3_mN6thrust23THRUST_200600_302600_NS6detail15normal_iteratorINSA_10device_ptrIiEEEEPS6_SG_NS0_5tupleIJNSA_16discard_iteratorINSA_11use_defaultEEES6_EEENSH_IJSG_SG_EEES6_PlJNSB_9not_fun_tINSB_14equal_to_valueIiEEEEEEE10hipError_tPvRmT3_T4_T5_T6_T7_T9_mT8_P12ihipStream_tbDpT10_ENKUlT_T0_E_clISt17integral_constantIbLb0EES1B_EEDaS16_S17_EUlS16_E_NS1_11comp_targetILNS1_3genE0ELNS1_11target_archE4294967295ELNS1_3gpuE0ELNS1_3repE0EEENS1_30default_config_static_selectorELNS0_4arch9wavefront6targetE0EEEvT1_.has_indirect_call, 0
	.section	.AMDGPU.csdata,"",@progbits
; Kernel info:
; codeLenInByte = 0
; TotalNumSgprs: 0
; NumVgprs: 0
; ScratchSize: 0
; MemoryBound: 0
; FloatMode: 240
; IeeeMode: 1
; LDSByteSize: 0 bytes/workgroup (compile time only)
; SGPRBlocks: 0
; VGPRBlocks: 0
; NumSGPRsForWavesPerEU: 1
; NumVGPRsForWavesPerEU: 1
; Occupancy: 16
; WaveLimiterHint : 0
; COMPUTE_PGM_RSRC2:SCRATCH_EN: 0
; COMPUTE_PGM_RSRC2:USER_SGPR: 2
; COMPUTE_PGM_RSRC2:TRAP_HANDLER: 0
; COMPUTE_PGM_RSRC2:TGID_X_EN: 1
; COMPUTE_PGM_RSRC2:TGID_Y_EN: 0
; COMPUTE_PGM_RSRC2:TGID_Z_EN: 0
; COMPUTE_PGM_RSRC2:TIDIG_COMP_CNT: 0
	.section	.text._ZN7rocprim17ROCPRIM_400000_NS6detail17trampoline_kernelINS0_14default_configENS1_25partition_config_selectorILNS1_17partition_subalgoE6EiNS0_10empty_typeEbEEZZNS1_14partition_implILS5_6ELb0ES3_mN6thrust23THRUST_200600_302600_NS6detail15normal_iteratorINSA_10device_ptrIiEEEEPS6_SG_NS0_5tupleIJNSA_16discard_iteratorINSA_11use_defaultEEES6_EEENSH_IJSG_SG_EEES6_PlJNSB_9not_fun_tINSB_14equal_to_valueIiEEEEEEE10hipError_tPvRmT3_T4_T5_T6_T7_T9_mT8_P12ihipStream_tbDpT10_ENKUlT_T0_E_clISt17integral_constantIbLb0EES1B_EEDaS16_S17_EUlS16_E_NS1_11comp_targetILNS1_3genE5ELNS1_11target_archE942ELNS1_3gpuE9ELNS1_3repE0EEENS1_30default_config_static_selectorELNS0_4arch9wavefront6targetE0EEEvT1_,"axG",@progbits,_ZN7rocprim17ROCPRIM_400000_NS6detail17trampoline_kernelINS0_14default_configENS1_25partition_config_selectorILNS1_17partition_subalgoE6EiNS0_10empty_typeEbEEZZNS1_14partition_implILS5_6ELb0ES3_mN6thrust23THRUST_200600_302600_NS6detail15normal_iteratorINSA_10device_ptrIiEEEEPS6_SG_NS0_5tupleIJNSA_16discard_iteratorINSA_11use_defaultEEES6_EEENSH_IJSG_SG_EEES6_PlJNSB_9not_fun_tINSB_14equal_to_valueIiEEEEEEE10hipError_tPvRmT3_T4_T5_T6_T7_T9_mT8_P12ihipStream_tbDpT10_ENKUlT_T0_E_clISt17integral_constantIbLb0EES1B_EEDaS16_S17_EUlS16_E_NS1_11comp_targetILNS1_3genE5ELNS1_11target_archE942ELNS1_3gpuE9ELNS1_3repE0EEENS1_30default_config_static_selectorELNS0_4arch9wavefront6targetE0EEEvT1_,comdat
	.protected	_ZN7rocprim17ROCPRIM_400000_NS6detail17trampoline_kernelINS0_14default_configENS1_25partition_config_selectorILNS1_17partition_subalgoE6EiNS0_10empty_typeEbEEZZNS1_14partition_implILS5_6ELb0ES3_mN6thrust23THRUST_200600_302600_NS6detail15normal_iteratorINSA_10device_ptrIiEEEEPS6_SG_NS0_5tupleIJNSA_16discard_iteratorINSA_11use_defaultEEES6_EEENSH_IJSG_SG_EEES6_PlJNSB_9not_fun_tINSB_14equal_to_valueIiEEEEEEE10hipError_tPvRmT3_T4_T5_T6_T7_T9_mT8_P12ihipStream_tbDpT10_ENKUlT_T0_E_clISt17integral_constantIbLb0EES1B_EEDaS16_S17_EUlS16_E_NS1_11comp_targetILNS1_3genE5ELNS1_11target_archE942ELNS1_3gpuE9ELNS1_3repE0EEENS1_30default_config_static_selectorELNS0_4arch9wavefront6targetE0EEEvT1_ ; -- Begin function _ZN7rocprim17ROCPRIM_400000_NS6detail17trampoline_kernelINS0_14default_configENS1_25partition_config_selectorILNS1_17partition_subalgoE6EiNS0_10empty_typeEbEEZZNS1_14partition_implILS5_6ELb0ES3_mN6thrust23THRUST_200600_302600_NS6detail15normal_iteratorINSA_10device_ptrIiEEEEPS6_SG_NS0_5tupleIJNSA_16discard_iteratorINSA_11use_defaultEEES6_EEENSH_IJSG_SG_EEES6_PlJNSB_9not_fun_tINSB_14equal_to_valueIiEEEEEEE10hipError_tPvRmT3_T4_T5_T6_T7_T9_mT8_P12ihipStream_tbDpT10_ENKUlT_T0_E_clISt17integral_constantIbLb0EES1B_EEDaS16_S17_EUlS16_E_NS1_11comp_targetILNS1_3genE5ELNS1_11target_archE942ELNS1_3gpuE9ELNS1_3repE0EEENS1_30default_config_static_selectorELNS0_4arch9wavefront6targetE0EEEvT1_
	.globl	_ZN7rocprim17ROCPRIM_400000_NS6detail17trampoline_kernelINS0_14default_configENS1_25partition_config_selectorILNS1_17partition_subalgoE6EiNS0_10empty_typeEbEEZZNS1_14partition_implILS5_6ELb0ES3_mN6thrust23THRUST_200600_302600_NS6detail15normal_iteratorINSA_10device_ptrIiEEEEPS6_SG_NS0_5tupleIJNSA_16discard_iteratorINSA_11use_defaultEEES6_EEENSH_IJSG_SG_EEES6_PlJNSB_9not_fun_tINSB_14equal_to_valueIiEEEEEEE10hipError_tPvRmT3_T4_T5_T6_T7_T9_mT8_P12ihipStream_tbDpT10_ENKUlT_T0_E_clISt17integral_constantIbLb0EES1B_EEDaS16_S17_EUlS16_E_NS1_11comp_targetILNS1_3genE5ELNS1_11target_archE942ELNS1_3gpuE9ELNS1_3repE0EEENS1_30default_config_static_selectorELNS0_4arch9wavefront6targetE0EEEvT1_
	.p2align	8
	.type	_ZN7rocprim17ROCPRIM_400000_NS6detail17trampoline_kernelINS0_14default_configENS1_25partition_config_selectorILNS1_17partition_subalgoE6EiNS0_10empty_typeEbEEZZNS1_14partition_implILS5_6ELb0ES3_mN6thrust23THRUST_200600_302600_NS6detail15normal_iteratorINSA_10device_ptrIiEEEEPS6_SG_NS0_5tupleIJNSA_16discard_iteratorINSA_11use_defaultEEES6_EEENSH_IJSG_SG_EEES6_PlJNSB_9not_fun_tINSB_14equal_to_valueIiEEEEEEE10hipError_tPvRmT3_T4_T5_T6_T7_T9_mT8_P12ihipStream_tbDpT10_ENKUlT_T0_E_clISt17integral_constantIbLb0EES1B_EEDaS16_S17_EUlS16_E_NS1_11comp_targetILNS1_3genE5ELNS1_11target_archE942ELNS1_3gpuE9ELNS1_3repE0EEENS1_30default_config_static_selectorELNS0_4arch9wavefront6targetE0EEEvT1_,@function
_ZN7rocprim17ROCPRIM_400000_NS6detail17trampoline_kernelINS0_14default_configENS1_25partition_config_selectorILNS1_17partition_subalgoE6EiNS0_10empty_typeEbEEZZNS1_14partition_implILS5_6ELb0ES3_mN6thrust23THRUST_200600_302600_NS6detail15normal_iteratorINSA_10device_ptrIiEEEEPS6_SG_NS0_5tupleIJNSA_16discard_iteratorINSA_11use_defaultEEES6_EEENSH_IJSG_SG_EEES6_PlJNSB_9not_fun_tINSB_14equal_to_valueIiEEEEEEE10hipError_tPvRmT3_T4_T5_T6_T7_T9_mT8_P12ihipStream_tbDpT10_ENKUlT_T0_E_clISt17integral_constantIbLb0EES1B_EEDaS16_S17_EUlS16_E_NS1_11comp_targetILNS1_3genE5ELNS1_11target_archE942ELNS1_3gpuE9ELNS1_3repE0EEENS1_30default_config_static_selectorELNS0_4arch9wavefront6targetE0EEEvT1_: ; @_ZN7rocprim17ROCPRIM_400000_NS6detail17trampoline_kernelINS0_14default_configENS1_25partition_config_selectorILNS1_17partition_subalgoE6EiNS0_10empty_typeEbEEZZNS1_14partition_implILS5_6ELb0ES3_mN6thrust23THRUST_200600_302600_NS6detail15normal_iteratorINSA_10device_ptrIiEEEEPS6_SG_NS0_5tupleIJNSA_16discard_iteratorINSA_11use_defaultEEES6_EEENSH_IJSG_SG_EEES6_PlJNSB_9not_fun_tINSB_14equal_to_valueIiEEEEEEE10hipError_tPvRmT3_T4_T5_T6_T7_T9_mT8_P12ihipStream_tbDpT10_ENKUlT_T0_E_clISt17integral_constantIbLb0EES1B_EEDaS16_S17_EUlS16_E_NS1_11comp_targetILNS1_3genE5ELNS1_11target_archE942ELNS1_3gpuE9ELNS1_3repE0EEENS1_30default_config_static_selectorELNS0_4arch9wavefront6targetE0EEEvT1_
; %bb.0:
	.section	.rodata,"a",@progbits
	.p2align	6, 0x0
	.amdhsa_kernel _ZN7rocprim17ROCPRIM_400000_NS6detail17trampoline_kernelINS0_14default_configENS1_25partition_config_selectorILNS1_17partition_subalgoE6EiNS0_10empty_typeEbEEZZNS1_14partition_implILS5_6ELb0ES3_mN6thrust23THRUST_200600_302600_NS6detail15normal_iteratorINSA_10device_ptrIiEEEEPS6_SG_NS0_5tupleIJNSA_16discard_iteratorINSA_11use_defaultEEES6_EEENSH_IJSG_SG_EEES6_PlJNSB_9not_fun_tINSB_14equal_to_valueIiEEEEEEE10hipError_tPvRmT3_T4_T5_T6_T7_T9_mT8_P12ihipStream_tbDpT10_ENKUlT_T0_E_clISt17integral_constantIbLb0EES1B_EEDaS16_S17_EUlS16_E_NS1_11comp_targetILNS1_3genE5ELNS1_11target_archE942ELNS1_3gpuE9ELNS1_3repE0EEENS1_30default_config_static_selectorELNS0_4arch9wavefront6targetE0EEEvT1_
		.amdhsa_group_segment_fixed_size 0
		.amdhsa_private_segment_fixed_size 0
		.amdhsa_kernarg_size 128
		.amdhsa_user_sgpr_count 2
		.amdhsa_user_sgpr_dispatch_ptr 0
		.amdhsa_user_sgpr_queue_ptr 0
		.amdhsa_user_sgpr_kernarg_segment_ptr 1
		.amdhsa_user_sgpr_dispatch_id 0
		.amdhsa_user_sgpr_private_segment_size 0
		.amdhsa_wavefront_size32 1
		.amdhsa_uses_dynamic_stack 0
		.amdhsa_enable_private_segment 0
		.amdhsa_system_sgpr_workgroup_id_x 1
		.amdhsa_system_sgpr_workgroup_id_y 0
		.amdhsa_system_sgpr_workgroup_id_z 0
		.amdhsa_system_sgpr_workgroup_info 0
		.amdhsa_system_vgpr_workitem_id 0
		.amdhsa_next_free_vgpr 1
		.amdhsa_next_free_sgpr 1
		.amdhsa_reserve_vcc 0
		.amdhsa_float_round_mode_32 0
		.amdhsa_float_round_mode_16_64 0
		.amdhsa_float_denorm_mode_32 3
		.amdhsa_float_denorm_mode_16_64 3
		.amdhsa_fp16_overflow 0
		.amdhsa_workgroup_processor_mode 1
		.amdhsa_memory_ordered 1
		.amdhsa_forward_progress 1
		.amdhsa_inst_pref_size 0
		.amdhsa_round_robin_scheduling 0
		.amdhsa_exception_fp_ieee_invalid_op 0
		.amdhsa_exception_fp_denorm_src 0
		.amdhsa_exception_fp_ieee_div_zero 0
		.amdhsa_exception_fp_ieee_overflow 0
		.amdhsa_exception_fp_ieee_underflow 0
		.amdhsa_exception_fp_ieee_inexact 0
		.amdhsa_exception_int_div_zero 0
	.end_amdhsa_kernel
	.section	.text._ZN7rocprim17ROCPRIM_400000_NS6detail17trampoline_kernelINS0_14default_configENS1_25partition_config_selectorILNS1_17partition_subalgoE6EiNS0_10empty_typeEbEEZZNS1_14partition_implILS5_6ELb0ES3_mN6thrust23THRUST_200600_302600_NS6detail15normal_iteratorINSA_10device_ptrIiEEEEPS6_SG_NS0_5tupleIJNSA_16discard_iteratorINSA_11use_defaultEEES6_EEENSH_IJSG_SG_EEES6_PlJNSB_9not_fun_tINSB_14equal_to_valueIiEEEEEEE10hipError_tPvRmT3_T4_T5_T6_T7_T9_mT8_P12ihipStream_tbDpT10_ENKUlT_T0_E_clISt17integral_constantIbLb0EES1B_EEDaS16_S17_EUlS16_E_NS1_11comp_targetILNS1_3genE5ELNS1_11target_archE942ELNS1_3gpuE9ELNS1_3repE0EEENS1_30default_config_static_selectorELNS0_4arch9wavefront6targetE0EEEvT1_,"axG",@progbits,_ZN7rocprim17ROCPRIM_400000_NS6detail17trampoline_kernelINS0_14default_configENS1_25partition_config_selectorILNS1_17partition_subalgoE6EiNS0_10empty_typeEbEEZZNS1_14partition_implILS5_6ELb0ES3_mN6thrust23THRUST_200600_302600_NS6detail15normal_iteratorINSA_10device_ptrIiEEEEPS6_SG_NS0_5tupleIJNSA_16discard_iteratorINSA_11use_defaultEEES6_EEENSH_IJSG_SG_EEES6_PlJNSB_9not_fun_tINSB_14equal_to_valueIiEEEEEEE10hipError_tPvRmT3_T4_T5_T6_T7_T9_mT8_P12ihipStream_tbDpT10_ENKUlT_T0_E_clISt17integral_constantIbLb0EES1B_EEDaS16_S17_EUlS16_E_NS1_11comp_targetILNS1_3genE5ELNS1_11target_archE942ELNS1_3gpuE9ELNS1_3repE0EEENS1_30default_config_static_selectorELNS0_4arch9wavefront6targetE0EEEvT1_,comdat
.Lfunc_end1758:
	.size	_ZN7rocprim17ROCPRIM_400000_NS6detail17trampoline_kernelINS0_14default_configENS1_25partition_config_selectorILNS1_17partition_subalgoE6EiNS0_10empty_typeEbEEZZNS1_14partition_implILS5_6ELb0ES3_mN6thrust23THRUST_200600_302600_NS6detail15normal_iteratorINSA_10device_ptrIiEEEEPS6_SG_NS0_5tupleIJNSA_16discard_iteratorINSA_11use_defaultEEES6_EEENSH_IJSG_SG_EEES6_PlJNSB_9not_fun_tINSB_14equal_to_valueIiEEEEEEE10hipError_tPvRmT3_T4_T5_T6_T7_T9_mT8_P12ihipStream_tbDpT10_ENKUlT_T0_E_clISt17integral_constantIbLb0EES1B_EEDaS16_S17_EUlS16_E_NS1_11comp_targetILNS1_3genE5ELNS1_11target_archE942ELNS1_3gpuE9ELNS1_3repE0EEENS1_30default_config_static_selectorELNS0_4arch9wavefront6targetE0EEEvT1_, .Lfunc_end1758-_ZN7rocprim17ROCPRIM_400000_NS6detail17trampoline_kernelINS0_14default_configENS1_25partition_config_selectorILNS1_17partition_subalgoE6EiNS0_10empty_typeEbEEZZNS1_14partition_implILS5_6ELb0ES3_mN6thrust23THRUST_200600_302600_NS6detail15normal_iteratorINSA_10device_ptrIiEEEEPS6_SG_NS0_5tupleIJNSA_16discard_iteratorINSA_11use_defaultEEES6_EEENSH_IJSG_SG_EEES6_PlJNSB_9not_fun_tINSB_14equal_to_valueIiEEEEEEE10hipError_tPvRmT3_T4_T5_T6_T7_T9_mT8_P12ihipStream_tbDpT10_ENKUlT_T0_E_clISt17integral_constantIbLb0EES1B_EEDaS16_S17_EUlS16_E_NS1_11comp_targetILNS1_3genE5ELNS1_11target_archE942ELNS1_3gpuE9ELNS1_3repE0EEENS1_30default_config_static_selectorELNS0_4arch9wavefront6targetE0EEEvT1_
                                        ; -- End function
	.set _ZN7rocprim17ROCPRIM_400000_NS6detail17trampoline_kernelINS0_14default_configENS1_25partition_config_selectorILNS1_17partition_subalgoE6EiNS0_10empty_typeEbEEZZNS1_14partition_implILS5_6ELb0ES3_mN6thrust23THRUST_200600_302600_NS6detail15normal_iteratorINSA_10device_ptrIiEEEEPS6_SG_NS0_5tupleIJNSA_16discard_iteratorINSA_11use_defaultEEES6_EEENSH_IJSG_SG_EEES6_PlJNSB_9not_fun_tINSB_14equal_to_valueIiEEEEEEE10hipError_tPvRmT3_T4_T5_T6_T7_T9_mT8_P12ihipStream_tbDpT10_ENKUlT_T0_E_clISt17integral_constantIbLb0EES1B_EEDaS16_S17_EUlS16_E_NS1_11comp_targetILNS1_3genE5ELNS1_11target_archE942ELNS1_3gpuE9ELNS1_3repE0EEENS1_30default_config_static_selectorELNS0_4arch9wavefront6targetE0EEEvT1_.num_vgpr, 0
	.set _ZN7rocprim17ROCPRIM_400000_NS6detail17trampoline_kernelINS0_14default_configENS1_25partition_config_selectorILNS1_17partition_subalgoE6EiNS0_10empty_typeEbEEZZNS1_14partition_implILS5_6ELb0ES3_mN6thrust23THRUST_200600_302600_NS6detail15normal_iteratorINSA_10device_ptrIiEEEEPS6_SG_NS0_5tupleIJNSA_16discard_iteratorINSA_11use_defaultEEES6_EEENSH_IJSG_SG_EEES6_PlJNSB_9not_fun_tINSB_14equal_to_valueIiEEEEEEE10hipError_tPvRmT3_T4_T5_T6_T7_T9_mT8_P12ihipStream_tbDpT10_ENKUlT_T0_E_clISt17integral_constantIbLb0EES1B_EEDaS16_S17_EUlS16_E_NS1_11comp_targetILNS1_3genE5ELNS1_11target_archE942ELNS1_3gpuE9ELNS1_3repE0EEENS1_30default_config_static_selectorELNS0_4arch9wavefront6targetE0EEEvT1_.num_agpr, 0
	.set _ZN7rocprim17ROCPRIM_400000_NS6detail17trampoline_kernelINS0_14default_configENS1_25partition_config_selectorILNS1_17partition_subalgoE6EiNS0_10empty_typeEbEEZZNS1_14partition_implILS5_6ELb0ES3_mN6thrust23THRUST_200600_302600_NS6detail15normal_iteratorINSA_10device_ptrIiEEEEPS6_SG_NS0_5tupleIJNSA_16discard_iteratorINSA_11use_defaultEEES6_EEENSH_IJSG_SG_EEES6_PlJNSB_9not_fun_tINSB_14equal_to_valueIiEEEEEEE10hipError_tPvRmT3_T4_T5_T6_T7_T9_mT8_P12ihipStream_tbDpT10_ENKUlT_T0_E_clISt17integral_constantIbLb0EES1B_EEDaS16_S17_EUlS16_E_NS1_11comp_targetILNS1_3genE5ELNS1_11target_archE942ELNS1_3gpuE9ELNS1_3repE0EEENS1_30default_config_static_selectorELNS0_4arch9wavefront6targetE0EEEvT1_.numbered_sgpr, 0
	.set _ZN7rocprim17ROCPRIM_400000_NS6detail17trampoline_kernelINS0_14default_configENS1_25partition_config_selectorILNS1_17partition_subalgoE6EiNS0_10empty_typeEbEEZZNS1_14partition_implILS5_6ELb0ES3_mN6thrust23THRUST_200600_302600_NS6detail15normal_iteratorINSA_10device_ptrIiEEEEPS6_SG_NS0_5tupleIJNSA_16discard_iteratorINSA_11use_defaultEEES6_EEENSH_IJSG_SG_EEES6_PlJNSB_9not_fun_tINSB_14equal_to_valueIiEEEEEEE10hipError_tPvRmT3_T4_T5_T6_T7_T9_mT8_P12ihipStream_tbDpT10_ENKUlT_T0_E_clISt17integral_constantIbLb0EES1B_EEDaS16_S17_EUlS16_E_NS1_11comp_targetILNS1_3genE5ELNS1_11target_archE942ELNS1_3gpuE9ELNS1_3repE0EEENS1_30default_config_static_selectorELNS0_4arch9wavefront6targetE0EEEvT1_.num_named_barrier, 0
	.set _ZN7rocprim17ROCPRIM_400000_NS6detail17trampoline_kernelINS0_14default_configENS1_25partition_config_selectorILNS1_17partition_subalgoE6EiNS0_10empty_typeEbEEZZNS1_14partition_implILS5_6ELb0ES3_mN6thrust23THRUST_200600_302600_NS6detail15normal_iteratorINSA_10device_ptrIiEEEEPS6_SG_NS0_5tupleIJNSA_16discard_iteratorINSA_11use_defaultEEES6_EEENSH_IJSG_SG_EEES6_PlJNSB_9not_fun_tINSB_14equal_to_valueIiEEEEEEE10hipError_tPvRmT3_T4_T5_T6_T7_T9_mT8_P12ihipStream_tbDpT10_ENKUlT_T0_E_clISt17integral_constantIbLb0EES1B_EEDaS16_S17_EUlS16_E_NS1_11comp_targetILNS1_3genE5ELNS1_11target_archE942ELNS1_3gpuE9ELNS1_3repE0EEENS1_30default_config_static_selectorELNS0_4arch9wavefront6targetE0EEEvT1_.private_seg_size, 0
	.set _ZN7rocprim17ROCPRIM_400000_NS6detail17trampoline_kernelINS0_14default_configENS1_25partition_config_selectorILNS1_17partition_subalgoE6EiNS0_10empty_typeEbEEZZNS1_14partition_implILS5_6ELb0ES3_mN6thrust23THRUST_200600_302600_NS6detail15normal_iteratorINSA_10device_ptrIiEEEEPS6_SG_NS0_5tupleIJNSA_16discard_iteratorINSA_11use_defaultEEES6_EEENSH_IJSG_SG_EEES6_PlJNSB_9not_fun_tINSB_14equal_to_valueIiEEEEEEE10hipError_tPvRmT3_T4_T5_T6_T7_T9_mT8_P12ihipStream_tbDpT10_ENKUlT_T0_E_clISt17integral_constantIbLb0EES1B_EEDaS16_S17_EUlS16_E_NS1_11comp_targetILNS1_3genE5ELNS1_11target_archE942ELNS1_3gpuE9ELNS1_3repE0EEENS1_30default_config_static_selectorELNS0_4arch9wavefront6targetE0EEEvT1_.uses_vcc, 0
	.set _ZN7rocprim17ROCPRIM_400000_NS6detail17trampoline_kernelINS0_14default_configENS1_25partition_config_selectorILNS1_17partition_subalgoE6EiNS0_10empty_typeEbEEZZNS1_14partition_implILS5_6ELb0ES3_mN6thrust23THRUST_200600_302600_NS6detail15normal_iteratorINSA_10device_ptrIiEEEEPS6_SG_NS0_5tupleIJNSA_16discard_iteratorINSA_11use_defaultEEES6_EEENSH_IJSG_SG_EEES6_PlJNSB_9not_fun_tINSB_14equal_to_valueIiEEEEEEE10hipError_tPvRmT3_T4_T5_T6_T7_T9_mT8_P12ihipStream_tbDpT10_ENKUlT_T0_E_clISt17integral_constantIbLb0EES1B_EEDaS16_S17_EUlS16_E_NS1_11comp_targetILNS1_3genE5ELNS1_11target_archE942ELNS1_3gpuE9ELNS1_3repE0EEENS1_30default_config_static_selectorELNS0_4arch9wavefront6targetE0EEEvT1_.uses_flat_scratch, 0
	.set _ZN7rocprim17ROCPRIM_400000_NS6detail17trampoline_kernelINS0_14default_configENS1_25partition_config_selectorILNS1_17partition_subalgoE6EiNS0_10empty_typeEbEEZZNS1_14partition_implILS5_6ELb0ES3_mN6thrust23THRUST_200600_302600_NS6detail15normal_iteratorINSA_10device_ptrIiEEEEPS6_SG_NS0_5tupleIJNSA_16discard_iteratorINSA_11use_defaultEEES6_EEENSH_IJSG_SG_EEES6_PlJNSB_9not_fun_tINSB_14equal_to_valueIiEEEEEEE10hipError_tPvRmT3_T4_T5_T6_T7_T9_mT8_P12ihipStream_tbDpT10_ENKUlT_T0_E_clISt17integral_constantIbLb0EES1B_EEDaS16_S17_EUlS16_E_NS1_11comp_targetILNS1_3genE5ELNS1_11target_archE942ELNS1_3gpuE9ELNS1_3repE0EEENS1_30default_config_static_selectorELNS0_4arch9wavefront6targetE0EEEvT1_.has_dyn_sized_stack, 0
	.set _ZN7rocprim17ROCPRIM_400000_NS6detail17trampoline_kernelINS0_14default_configENS1_25partition_config_selectorILNS1_17partition_subalgoE6EiNS0_10empty_typeEbEEZZNS1_14partition_implILS5_6ELb0ES3_mN6thrust23THRUST_200600_302600_NS6detail15normal_iteratorINSA_10device_ptrIiEEEEPS6_SG_NS0_5tupleIJNSA_16discard_iteratorINSA_11use_defaultEEES6_EEENSH_IJSG_SG_EEES6_PlJNSB_9not_fun_tINSB_14equal_to_valueIiEEEEEEE10hipError_tPvRmT3_T4_T5_T6_T7_T9_mT8_P12ihipStream_tbDpT10_ENKUlT_T0_E_clISt17integral_constantIbLb0EES1B_EEDaS16_S17_EUlS16_E_NS1_11comp_targetILNS1_3genE5ELNS1_11target_archE942ELNS1_3gpuE9ELNS1_3repE0EEENS1_30default_config_static_selectorELNS0_4arch9wavefront6targetE0EEEvT1_.has_recursion, 0
	.set _ZN7rocprim17ROCPRIM_400000_NS6detail17trampoline_kernelINS0_14default_configENS1_25partition_config_selectorILNS1_17partition_subalgoE6EiNS0_10empty_typeEbEEZZNS1_14partition_implILS5_6ELb0ES3_mN6thrust23THRUST_200600_302600_NS6detail15normal_iteratorINSA_10device_ptrIiEEEEPS6_SG_NS0_5tupleIJNSA_16discard_iteratorINSA_11use_defaultEEES6_EEENSH_IJSG_SG_EEES6_PlJNSB_9not_fun_tINSB_14equal_to_valueIiEEEEEEE10hipError_tPvRmT3_T4_T5_T6_T7_T9_mT8_P12ihipStream_tbDpT10_ENKUlT_T0_E_clISt17integral_constantIbLb0EES1B_EEDaS16_S17_EUlS16_E_NS1_11comp_targetILNS1_3genE5ELNS1_11target_archE942ELNS1_3gpuE9ELNS1_3repE0EEENS1_30default_config_static_selectorELNS0_4arch9wavefront6targetE0EEEvT1_.has_indirect_call, 0
	.section	.AMDGPU.csdata,"",@progbits
; Kernel info:
; codeLenInByte = 0
; TotalNumSgprs: 0
; NumVgprs: 0
; ScratchSize: 0
; MemoryBound: 0
; FloatMode: 240
; IeeeMode: 1
; LDSByteSize: 0 bytes/workgroup (compile time only)
; SGPRBlocks: 0
; VGPRBlocks: 0
; NumSGPRsForWavesPerEU: 1
; NumVGPRsForWavesPerEU: 1
; Occupancy: 16
; WaveLimiterHint : 0
; COMPUTE_PGM_RSRC2:SCRATCH_EN: 0
; COMPUTE_PGM_RSRC2:USER_SGPR: 2
; COMPUTE_PGM_RSRC2:TRAP_HANDLER: 0
; COMPUTE_PGM_RSRC2:TGID_X_EN: 1
; COMPUTE_PGM_RSRC2:TGID_Y_EN: 0
; COMPUTE_PGM_RSRC2:TGID_Z_EN: 0
; COMPUTE_PGM_RSRC2:TIDIG_COMP_CNT: 0
	.section	.text._ZN7rocprim17ROCPRIM_400000_NS6detail17trampoline_kernelINS0_14default_configENS1_25partition_config_selectorILNS1_17partition_subalgoE6EiNS0_10empty_typeEbEEZZNS1_14partition_implILS5_6ELb0ES3_mN6thrust23THRUST_200600_302600_NS6detail15normal_iteratorINSA_10device_ptrIiEEEEPS6_SG_NS0_5tupleIJNSA_16discard_iteratorINSA_11use_defaultEEES6_EEENSH_IJSG_SG_EEES6_PlJNSB_9not_fun_tINSB_14equal_to_valueIiEEEEEEE10hipError_tPvRmT3_T4_T5_T6_T7_T9_mT8_P12ihipStream_tbDpT10_ENKUlT_T0_E_clISt17integral_constantIbLb0EES1B_EEDaS16_S17_EUlS16_E_NS1_11comp_targetILNS1_3genE4ELNS1_11target_archE910ELNS1_3gpuE8ELNS1_3repE0EEENS1_30default_config_static_selectorELNS0_4arch9wavefront6targetE0EEEvT1_,"axG",@progbits,_ZN7rocprim17ROCPRIM_400000_NS6detail17trampoline_kernelINS0_14default_configENS1_25partition_config_selectorILNS1_17partition_subalgoE6EiNS0_10empty_typeEbEEZZNS1_14partition_implILS5_6ELb0ES3_mN6thrust23THRUST_200600_302600_NS6detail15normal_iteratorINSA_10device_ptrIiEEEEPS6_SG_NS0_5tupleIJNSA_16discard_iteratorINSA_11use_defaultEEES6_EEENSH_IJSG_SG_EEES6_PlJNSB_9not_fun_tINSB_14equal_to_valueIiEEEEEEE10hipError_tPvRmT3_T4_T5_T6_T7_T9_mT8_P12ihipStream_tbDpT10_ENKUlT_T0_E_clISt17integral_constantIbLb0EES1B_EEDaS16_S17_EUlS16_E_NS1_11comp_targetILNS1_3genE4ELNS1_11target_archE910ELNS1_3gpuE8ELNS1_3repE0EEENS1_30default_config_static_selectorELNS0_4arch9wavefront6targetE0EEEvT1_,comdat
	.protected	_ZN7rocprim17ROCPRIM_400000_NS6detail17trampoline_kernelINS0_14default_configENS1_25partition_config_selectorILNS1_17partition_subalgoE6EiNS0_10empty_typeEbEEZZNS1_14partition_implILS5_6ELb0ES3_mN6thrust23THRUST_200600_302600_NS6detail15normal_iteratorINSA_10device_ptrIiEEEEPS6_SG_NS0_5tupleIJNSA_16discard_iteratorINSA_11use_defaultEEES6_EEENSH_IJSG_SG_EEES6_PlJNSB_9not_fun_tINSB_14equal_to_valueIiEEEEEEE10hipError_tPvRmT3_T4_T5_T6_T7_T9_mT8_P12ihipStream_tbDpT10_ENKUlT_T0_E_clISt17integral_constantIbLb0EES1B_EEDaS16_S17_EUlS16_E_NS1_11comp_targetILNS1_3genE4ELNS1_11target_archE910ELNS1_3gpuE8ELNS1_3repE0EEENS1_30default_config_static_selectorELNS0_4arch9wavefront6targetE0EEEvT1_ ; -- Begin function _ZN7rocprim17ROCPRIM_400000_NS6detail17trampoline_kernelINS0_14default_configENS1_25partition_config_selectorILNS1_17partition_subalgoE6EiNS0_10empty_typeEbEEZZNS1_14partition_implILS5_6ELb0ES3_mN6thrust23THRUST_200600_302600_NS6detail15normal_iteratorINSA_10device_ptrIiEEEEPS6_SG_NS0_5tupleIJNSA_16discard_iteratorINSA_11use_defaultEEES6_EEENSH_IJSG_SG_EEES6_PlJNSB_9not_fun_tINSB_14equal_to_valueIiEEEEEEE10hipError_tPvRmT3_T4_T5_T6_T7_T9_mT8_P12ihipStream_tbDpT10_ENKUlT_T0_E_clISt17integral_constantIbLb0EES1B_EEDaS16_S17_EUlS16_E_NS1_11comp_targetILNS1_3genE4ELNS1_11target_archE910ELNS1_3gpuE8ELNS1_3repE0EEENS1_30default_config_static_selectorELNS0_4arch9wavefront6targetE0EEEvT1_
	.globl	_ZN7rocprim17ROCPRIM_400000_NS6detail17trampoline_kernelINS0_14default_configENS1_25partition_config_selectorILNS1_17partition_subalgoE6EiNS0_10empty_typeEbEEZZNS1_14partition_implILS5_6ELb0ES3_mN6thrust23THRUST_200600_302600_NS6detail15normal_iteratorINSA_10device_ptrIiEEEEPS6_SG_NS0_5tupleIJNSA_16discard_iteratorINSA_11use_defaultEEES6_EEENSH_IJSG_SG_EEES6_PlJNSB_9not_fun_tINSB_14equal_to_valueIiEEEEEEE10hipError_tPvRmT3_T4_T5_T6_T7_T9_mT8_P12ihipStream_tbDpT10_ENKUlT_T0_E_clISt17integral_constantIbLb0EES1B_EEDaS16_S17_EUlS16_E_NS1_11comp_targetILNS1_3genE4ELNS1_11target_archE910ELNS1_3gpuE8ELNS1_3repE0EEENS1_30default_config_static_selectorELNS0_4arch9wavefront6targetE0EEEvT1_
	.p2align	8
	.type	_ZN7rocprim17ROCPRIM_400000_NS6detail17trampoline_kernelINS0_14default_configENS1_25partition_config_selectorILNS1_17partition_subalgoE6EiNS0_10empty_typeEbEEZZNS1_14partition_implILS5_6ELb0ES3_mN6thrust23THRUST_200600_302600_NS6detail15normal_iteratorINSA_10device_ptrIiEEEEPS6_SG_NS0_5tupleIJNSA_16discard_iteratorINSA_11use_defaultEEES6_EEENSH_IJSG_SG_EEES6_PlJNSB_9not_fun_tINSB_14equal_to_valueIiEEEEEEE10hipError_tPvRmT3_T4_T5_T6_T7_T9_mT8_P12ihipStream_tbDpT10_ENKUlT_T0_E_clISt17integral_constantIbLb0EES1B_EEDaS16_S17_EUlS16_E_NS1_11comp_targetILNS1_3genE4ELNS1_11target_archE910ELNS1_3gpuE8ELNS1_3repE0EEENS1_30default_config_static_selectorELNS0_4arch9wavefront6targetE0EEEvT1_,@function
_ZN7rocprim17ROCPRIM_400000_NS6detail17trampoline_kernelINS0_14default_configENS1_25partition_config_selectorILNS1_17partition_subalgoE6EiNS0_10empty_typeEbEEZZNS1_14partition_implILS5_6ELb0ES3_mN6thrust23THRUST_200600_302600_NS6detail15normal_iteratorINSA_10device_ptrIiEEEEPS6_SG_NS0_5tupleIJNSA_16discard_iteratorINSA_11use_defaultEEES6_EEENSH_IJSG_SG_EEES6_PlJNSB_9not_fun_tINSB_14equal_to_valueIiEEEEEEE10hipError_tPvRmT3_T4_T5_T6_T7_T9_mT8_P12ihipStream_tbDpT10_ENKUlT_T0_E_clISt17integral_constantIbLb0EES1B_EEDaS16_S17_EUlS16_E_NS1_11comp_targetILNS1_3genE4ELNS1_11target_archE910ELNS1_3gpuE8ELNS1_3repE0EEENS1_30default_config_static_selectorELNS0_4arch9wavefront6targetE0EEEvT1_: ; @_ZN7rocprim17ROCPRIM_400000_NS6detail17trampoline_kernelINS0_14default_configENS1_25partition_config_selectorILNS1_17partition_subalgoE6EiNS0_10empty_typeEbEEZZNS1_14partition_implILS5_6ELb0ES3_mN6thrust23THRUST_200600_302600_NS6detail15normal_iteratorINSA_10device_ptrIiEEEEPS6_SG_NS0_5tupleIJNSA_16discard_iteratorINSA_11use_defaultEEES6_EEENSH_IJSG_SG_EEES6_PlJNSB_9not_fun_tINSB_14equal_to_valueIiEEEEEEE10hipError_tPvRmT3_T4_T5_T6_T7_T9_mT8_P12ihipStream_tbDpT10_ENKUlT_T0_E_clISt17integral_constantIbLb0EES1B_EEDaS16_S17_EUlS16_E_NS1_11comp_targetILNS1_3genE4ELNS1_11target_archE910ELNS1_3gpuE8ELNS1_3repE0EEENS1_30default_config_static_selectorELNS0_4arch9wavefront6targetE0EEEvT1_
; %bb.0:
	.section	.rodata,"a",@progbits
	.p2align	6, 0x0
	.amdhsa_kernel _ZN7rocprim17ROCPRIM_400000_NS6detail17trampoline_kernelINS0_14default_configENS1_25partition_config_selectorILNS1_17partition_subalgoE6EiNS0_10empty_typeEbEEZZNS1_14partition_implILS5_6ELb0ES3_mN6thrust23THRUST_200600_302600_NS6detail15normal_iteratorINSA_10device_ptrIiEEEEPS6_SG_NS0_5tupleIJNSA_16discard_iteratorINSA_11use_defaultEEES6_EEENSH_IJSG_SG_EEES6_PlJNSB_9not_fun_tINSB_14equal_to_valueIiEEEEEEE10hipError_tPvRmT3_T4_T5_T6_T7_T9_mT8_P12ihipStream_tbDpT10_ENKUlT_T0_E_clISt17integral_constantIbLb0EES1B_EEDaS16_S17_EUlS16_E_NS1_11comp_targetILNS1_3genE4ELNS1_11target_archE910ELNS1_3gpuE8ELNS1_3repE0EEENS1_30default_config_static_selectorELNS0_4arch9wavefront6targetE0EEEvT1_
		.amdhsa_group_segment_fixed_size 0
		.amdhsa_private_segment_fixed_size 0
		.amdhsa_kernarg_size 128
		.amdhsa_user_sgpr_count 2
		.amdhsa_user_sgpr_dispatch_ptr 0
		.amdhsa_user_sgpr_queue_ptr 0
		.amdhsa_user_sgpr_kernarg_segment_ptr 1
		.amdhsa_user_sgpr_dispatch_id 0
		.amdhsa_user_sgpr_private_segment_size 0
		.amdhsa_wavefront_size32 1
		.amdhsa_uses_dynamic_stack 0
		.amdhsa_enable_private_segment 0
		.amdhsa_system_sgpr_workgroup_id_x 1
		.amdhsa_system_sgpr_workgroup_id_y 0
		.amdhsa_system_sgpr_workgroup_id_z 0
		.amdhsa_system_sgpr_workgroup_info 0
		.amdhsa_system_vgpr_workitem_id 0
		.amdhsa_next_free_vgpr 1
		.amdhsa_next_free_sgpr 1
		.amdhsa_reserve_vcc 0
		.amdhsa_float_round_mode_32 0
		.amdhsa_float_round_mode_16_64 0
		.amdhsa_float_denorm_mode_32 3
		.amdhsa_float_denorm_mode_16_64 3
		.amdhsa_fp16_overflow 0
		.amdhsa_workgroup_processor_mode 1
		.amdhsa_memory_ordered 1
		.amdhsa_forward_progress 1
		.amdhsa_inst_pref_size 0
		.amdhsa_round_robin_scheduling 0
		.amdhsa_exception_fp_ieee_invalid_op 0
		.amdhsa_exception_fp_denorm_src 0
		.amdhsa_exception_fp_ieee_div_zero 0
		.amdhsa_exception_fp_ieee_overflow 0
		.amdhsa_exception_fp_ieee_underflow 0
		.amdhsa_exception_fp_ieee_inexact 0
		.amdhsa_exception_int_div_zero 0
	.end_amdhsa_kernel
	.section	.text._ZN7rocprim17ROCPRIM_400000_NS6detail17trampoline_kernelINS0_14default_configENS1_25partition_config_selectorILNS1_17partition_subalgoE6EiNS0_10empty_typeEbEEZZNS1_14partition_implILS5_6ELb0ES3_mN6thrust23THRUST_200600_302600_NS6detail15normal_iteratorINSA_10device_ptrIiEEEEPS6_SG_NS0_5tupleIJNSA_16discard_iteratorINSA_11use_defaultEEES6_EEENSH_IJSG_SG_EEES6_PlJNSB_9not_fun_tINSB_14equal_to_valueIiEEEEEEE10hipError_tPvRmT3_T4_T5_T6_T7_T9_mT8_P12ihipStream_tbDpT10_ENKUlT_T0_E_clISt17integral_constantIbLb0EES1B_EEDaS16_S17_EUlS16_E_NS1_11comp_targetILNS1_3genE4ELNS1_11target_archE910ELNS1_3gpuE8ELNS1_3repE0EEENS1_30default_config_static_selectorELNS0_4arch9wavefront6targetE0EEEvT1_,"axG",@progbits,_ZN7rocprim17ROCPRIM_400000_NS6detail17trampoline_kernelINS0_14default_configENS1_25partition_config_selectorILNS1_17partition_subalgoE6EiNS0_10empty_typeEbEEZZNS1_14partition_implILS5_6ELb0ES3_mN6thrust23THRUST_200600_302600_NS6detail15normal_iteratorINSA_10device_ptrIiEEEEPS6_SG_NS0_5tupleIJNSA_16discard_iteratorINSA_11use_defaultEEES6_EEENSH_IJSG_SG_EEES6_PlJNSB_9not_fun_tINSB_14equal_to_valueIiEEEEEEE10hipError_tPvRmT3_T4_T5_T6_T7_T9_mT8_P12ihipStream_tbDpT10_ENKUlT_T0_E_clISt17integral_constantIbLb0EES1B_EEDaS16_S17_EUlS16_E_NS1_11comp_targetILNS1_3genE4ELNS1_11target_archE910ELNS1_3gpuE8ELNS1_3repE0EEENS1_30default_config_static_selectorELNS0_4arch9wavefront6targetE0EEEvT1_,comdat
.Lfunc_end1759:
	.size	_ZN7rocprim17ROCPRIM_400000_NS6detail17trampoline_kernelINS0_14default_configENS1_25partition_config_selectorILNS1_17partition_subalgoE6EiNS0_10empty_typeEbEEZZNS1_14partition_implILS5_6ELb0ES3_mN6thrust23THRUST_200600_302600_NS6detail15normal_iteratorINSA_10device_ptrIiEEEEPS6_SG_NS0_5tupleIJNSA_16discard_iteratorINSA_11use_defaultEEES6_EEENSH_IJSG_SG_EEES6_PlJNSB_9not_fun_tINSB_14equal_to_valueIiEEEEEEE10hipError_tPvRmT3_T4_T5_T6_T7_T9_mT8_P12ihipStream_tbDpT10_ENKUlT_T0_E_clISt17integral_constantIbLb0EES1B_EEDaS16_S17_EUlS16_E_NS1_11comp_targetILNS1_3genE4ELNS1_11target_archE910ELNS1_3gpuE8ELNS1_3repE0EEENS1_30default_config_static_selectorELNS0_4arch9wavefront6targetE0EEEvT1_, .Lfunc_end1759-_ZN7rocprim17ROCPRIM_400000_NS6detail17trampoline_kernelINS0_14default_configENS1_25partition_config_selectorILNS1_17partition_subalgoE6EiNS0_10empty_typeEbEEZZNS1_14partition_implILS5_6ELb0ES3_mN6thrust23THRUST_200600_302600_NS6detail15normal_iteratorINSA_10device_ptrIiEEEEPS6_SG_NS0_5tupleIJNSA_16discard_iteratorINSA_11use_defaultEEES6_EEENSH_IJSG_SG_EEES6_PlJNSB_9not_fun_tINSB_14equal_to_valueIiEEEEEEE10hipError_tPvRmT3_T4_T5_T6_T7_T9_mT8_P12ihipStream_tbDpT10_ENKUlT_T0_E_clISt17integral_constantIbLb0EES1B_EEDaS16_S17_EUlS16_E_NS1_11comp_targetILNS1_3genE4ELNS1_11target_archE910ELNS1_3gpuE8ELNS1_3repE0EEENS1_30default_config_static_selectorELNS0_4arch9wavefront6targetE0EEEvT1_
                                        ; -- End function
	.set _ZN7rocprim17ROCPRIM_400000_NS6detail17trampoline_kernelINS0_14default_configENS1_25partition_config_selectorILNS1_17partition_subalgoE6EiNS0_10empty_typeEbEEZZNS1_14partition_implILS5_6ELb0ES3_mN6thrust23THRUST_200600_302600_NS6detail15normal_iteratorINSA_10device_ptrIiEEEEPS6_SG_NS0_5tupleIJNSA_16discard_iteratorINSA_11use_defaultEEES6_EEENSH_IJSG_SG_EEES6_PlJNSB_9not_fun_tINSB_14equal_to_valueIiEEEEEEE10hipError_tPvRmT3_T4_T5_T6_T7_T9_mT8_P12ihipStream_tbDpT10_ENKUlT_T0_E_clISt17integral_constantIbLb0EES1B_EEDaS16_S17_EUlS16_E_NS1_11comp_targetILNS1_3genE4ELNS1_11target_archE910ELNS1_3gpuE8ELNS1_3repE0EEENS1_30default_config_static_selectorELNS0_4arch9wavefront6targetE0EEEvT1_.num_vgpr, 0
	.set _ZN7rocprim17ROCPRIM_400000_NS6detail17trampoline_kernelINS0_14default_configENS1_25partition_config_selectorILNS1_17partition_subalgoE6EiNS0_10empty_typeEbEEZZNS1_14partition_implILS5_6ELb0ES3_mN6thrust23THRUST_200600_302600_NS6detail15normal_iteratorINSA_10device_ptrIiEEEEPS6_SG_NS0_5tupleIJNSA_16discard_iteratorINSA_11use_defaultEEES6_EEENSH_IJSG_SG_EEES6_PlJNSB_9not_fun_tINSB_14equal_to_valueIiEEEEEEE10hipError_tPvRmT3_T4_T5_T6_T7_T9_mT8_P12ihipStream_tbDpT10_ENKUlT_T0_E_clISt17integral_constantIbLb0EES1B_EEDaS16_S17_EUlS16_E_NS1_11comp_targetILNS1_3genE4ELNS1_11target_archE910ELNS1_3gpuE8ELNS1_3repE0EEENS1_30default_config_static_selectorELNS0_4arch9wavefront6targetE0EEEvT1_.num_agpr, 0
	.set _ZN7rocprim17ROCPRIM_400000_NS6detail17trampoline_kernelINS0_14default_configENS1_25partition_config_selectorILNS1_17partition_subalgoE6EiNS0_10empty_typeEbEEZZNS1_14partition_implILS5_6ELb0ES3_mN6thrust23THRUST_200600_302600_NS6detail15normal_iteratorINSA_10device_ptrIiEEEEPS6_SG_NS0_5tupleIJNSA_16discard_iteratorINSA_11use_defaultEEES6_EEENSH_IJSG_SG_EEES6_PlJNSB_9not_fun_tINSB_14equal_to_valueIiEEEEEEE10hipError_tPvRmT3_T4_T5_T6_T7_T9_mT8_P12ihipStream_tbDpT10_ENKUlT_T0_E_clISt17integral_constantIbLb0EES1B_EEDaS16_S17_EUlS16_E_NS1_11comp_targetILNS1_3genE4ELNS1_11target_archE910ELNS1_3gpuE8ELNS1_3repE0EEENS1_30default_config_static_selectorELNS0_4arch9wavefront6targetE0EEEvT1_.numbered_sgpr, 0
	.set _ZN7rocprim17ROCPRIM_400000_NS6detail17trampoline_kernelINS0_14default_configENS1_25partition_config_selectorILNS1_17partition_subalgoE6EiNS0_10empty_typeEbEEZZNS1_14partition_implILS5_6ELb0ES3_mN6thrust23THRUST_200600_302600_NS6detail15normal_iteratorINSA_10device_ptrIiEEEEPS6_SG_NS0_5tupleIJNSA_16discard_iteratorINSA_11use_defaultEEES6_EEENSH_IJSG_SG_EEES6_PlJNSB_9not_fun_tINSB_14equal_to_valueIiEEEEEEE10hipError_tPvRmT3_T4_T5_T6_T7_T9_mT8_P12ihipStream_tbDpT10_ENKUlT_T0_E_clISt17integral_constantIbLb0EES1B_EEDaS16_S17_EUlS16_E_NS1_11comp_targetILNS1_3genE4ELNS1_11target_archE910ELNS1_3gpuE8ELNS1_3repE0EEENS1_30default_config_static_selectorELNS0_4arch9wavefront6targetE0EEEvT1_.num_named_barrier, 0
	.set _ZN7rocprim17ROCPRIM_400000_NS6detail17trampoline_kernelINS0_14default_configENS1_25partition_config_selectorILNS1_17partition_subalgoE6EiNS0_10empty_typeEbEEZZNS1_14partition_implILS5_6ELb0ES3_mN6thrust23THRUST_200600_302600_NS6detail15normal_iteratorINSA_10device_ptrIiEEEEPS6_SG_NS0_5tupleIJNSA_16discard_iteratorINSA_11use_defaultEEES6_EEENSH_IJSG_SG_EEES6_PlJNSB_9not_fun_tINSB_14equal_to_valueIiEEEEEEE10hipError_tPvRmT3_T4_T5_T6_T7_T9_mT8_P12ihipStream_tbDpT10_ENKUlT_T0_E_clISt17integral_constantIbLb0EES1B_EEDaS16_S17_EUlS16_E_NS1_11comp_targetILNS1_3genE4ELNS1_11target_archE910ELNS1_3gpuE8ELNS1_3repE0EEENS1_30default_config_static_selectorELNS0_4arch9wavefront6targetE0EEEvT1_.private_seg_size, 0
	.set _ZN7rocprim17ROCPRIM_400000_NS6detail17trampoline_kernelINS0_14default_configENS1_25partition_config_selectorILNS1_17partition_subalgoE6EiNS0_10empty_typeEbEEZZNS1_14partition_implILS5_6ELb0ES3_mN6thrust23THRUST_200600_302600_NS6detail15normal_iteratorINSA_10device_ptrIiEEEEPS6_SG_NS0_5tupleIJNSA_16discard_iteratorINSA_11use_defaultEEES6_EEENSH_IJSG_SG_EEES6_PlJNSB_9not_fun_tINSB_14equal_to_valueIiEEEEEEE10hipError_tPvRmT3_T4_T5_T6_T7_T9_mT8_P12ihipStream_tbDpT10_ENKUlT_T0_E_clISt17integral_constantIbLb0EES1B_EEDaS16_S17_EUlS16_E_NS1_11comp_targetILNS1_3genE4ELNS1_11target_archE910ELNS1_3gpuE8ELNS1_3repE0EEENS1_30default_config_static_selectorELNS0_4arch9wavefront6targetE0EEEvT1_.uses_vcc, 0
	.set _ZN7rocprim17ROCPRIM_400000_NS6detail17trampoline_kernelINS0_14default_configENS1_25partition_config_selectorILNS1_17partition_subalgoE6EiNS0_10empty_typeEbEEZZNS1_14partition_implILS5_6ELb0ES3_mN6thrust23THRUST_200600_302600_NS6detail15normal_iteratorINSA_10device_ptrIiEEEEPS6_SG_NS0_5tupleIJNSA_16discard_iteratorINSA_11use_defaultEEES6_EEENSH_IJSG_SG_EEES6_PlJNSB_9not_fun_tINSB_14equal_to_valueIiEEEEEEE10hipError_tPvRmT3_T4_T5_T6_T7_T9_mT8_P12ihipStream_tbDpT10_ENKUlT_T0_E_clISt17integral_constantIbLb0EES1B_EEDaS16_S17_EUlS16_E_NS1_11comp_targetILNS1_3genE4ELNS1_11target_archE910ELNS1_3gpuE8ELNS1_3repE0EEENS1_30default_config_static_selectorELNS0_4arch9wavefront6targetE0EEEvT1_.uses_flat_scratch, 0
	.set _ZN7rocprim17ROCPRIM_400000_NS6detail17trampoline_kernelINS0_14default_configENS1_25partition_config_selectorILNS1_17partition_subalgoE6EiNS0_10empty_typeEbEEZZNS1_14partition_implILS5_6ELb0ES3_mN6thrust23THRUST_200600_302600_NS6detail15normal_iteratorINSA_10device_ptrIiEEEEPS6_SG_NS0_5tupleIJNSA_16discard_iteratorINSA_11use_defaultEEES6_EEENSH_IJSG_SG_EEES6_PlJNSB_9not_fun_tINSB_14equal_to_valueIiEEEEEEE10hipError_tPvRmT3_T4_T5_T6_T7_T9_mT8_P12ihipStream_tbDpT10_ENKUlT_T0_E_clISt17integral_constantIbLb0EES1B_EEDaS16_S17_EUlS16_E_NS1_11comp_targetILNS1_3genE4ELNS1_11target_archE910ELNS1_3gpuE8ELNS1_3repE0EEENS1_30default_config_static_selectorELNS0_4arch9wavefront6targetE0EEEvT1_.has_dyn_sized_stack, 0
	.set _ZN7rocprim17ROCPRIM_400000_NS6detail17trampoline_kernelINS0_14default_configENS1_25partition_config_selectorILNS1_17partition_subalgoE6EiNS0_10empty_typeEbEEZZNS1_14partition_implILS5_6ELb0ES3_mN6thrust23THRUST_200600_302600_NS6detail15normal_iteratorINSA_10device_ptrIiEEEEPS6_SG_NS0_5tupleIJNSA_16discard_iteratorINSA_11use_defaultEEES6_EEENSH_IJSG_SG_EEES6_PlJNSB_9not_fun_tINSB_14equal_to_valueIiEEEEEEE10hipError_tPvRmT3_T4_T5_T6_T7_T9_mT8_P12ihipStream_tbDpT10_ENKUlT_T0_E_clISt17integral_constantIbLb0EES1B_EEDaS16_S17_EUlS16_E_NS1_11comp_targetILNS1_3genE4ELNS1_11target_archE910ELNS1_3gpuE8ELNS1_3repE0EEENS1_30default_config_static_selectorELNS0_4arch9wavefront6targetE0EEEvT1_.has_recursion, 0
	.set _ZN7rocprim17ROCPRIM_400000_NS6detail17trampoline_kernelINS0_14default_configENS1_25partition_config_selectorILNS1_17partition_subalgoE6EiNS0_10empty_typeEbEEZZNS1_14partition_implILS5_6ELb0ES3_mN6thrust23THRUST_200600_302600_NS6detail15normal_iteratorINSA_10device_ptrIiEEEEPS6_SG_NS0_5tupleIJNSA_16discard_iteratorINSA_11use_defaultEEES6_EEENSH_IJSG_SG_EEES6_PlJNSB_9not_fun_tINSB_14equal_to_valueIiEEEEEEE10hipError_tPvRmT3_T4_T5_T6_T7_T9_mT8_P12ihipStream_tbDpT10_ENKUlT_T0_E_clISt17integral_constantIbLb0EES1B_EEDaS16_S17_EUlS16_E_NS1_11comp_targetILNS1_3genE4ELNS1_11target_archE910ELNS1_3gpuE8ELNS1_3repE0EEENS1_30default_config_static_selectorELNS0_4arch9wavefront6targetE0EEEvT1_.has_indirect_call, 0
	.section	.AMDGPU.csdata,"",@progbits
; Kernel info:
; codeLenInByte = 0
; TotalNumSgprs: 0
; NumVgprs: 0
; ScratchSize: 0
; MemoryBound: 0
; FloatMode: 240
; IeeeMode: 1
; LDSByteSize: 0 bytes/workgroup (compile time only)
; SGPRBlocks: 0
; VGPRBlocks: 0
; NumSGPRsForWavesPerEU: 1
; NumVGPRsForWavesPerEU: 1
; Occupancy: 16
; WaveLimiterHint : 0
; COMPUTE_PGM_RSRC2:SCRATCH_EN: 0
; COMPUTE_PGM_RSRC2:USER_SGPR: 2
; COMPUTE_PGM_RSRC2:TRAP_HANDLER: 0
; COMPUTE_PGM_RSRC2:TGID_X_EN: 1
; COMPUTE_PGM_RSRC2:TGID_Y_EN: 0
; COMPUTE_PGM_RSRC2:TGID_Z_EN: 0
; COMPUTE_PGM_RSRC2:TIDIG_COMP_CNT: 0
	.section	.text._ZN7rocprim17ROCPRIM_400000_NS6detail17trampoline_kernelINS0_14default_configENS1_25partition_config_selectorILNS1_17partition_subalgoE6EiNS0_10empty_typeEbEEZZNS1_14partition_implILS5_6ELb0ES3_mN6thrust23THRUST_200600_302600_NS6detail15normal_iteratorINSA_10device_ptrIiEEEEPS6_SG_NS0_5tupleIJNSA_16discard_iteratorINSA_11use_defaultEEES6_EEENSH_IJSG_SG_EEES6_PlJNSB_9not_fun_tINSB_14equal_to_valueIiEEEEEEE10hipError_tPvRmT3_T4_T5_T6_T7_T9_mT8_P12ihipStream_tbDpT10_ENKUlT_T0_E_clISt17integral_constantIbLb0EES1B_EEDaS16_S17_EUlS16_E_NS1_11comp_targetILNS1_3genE3ELNS1_11target_archE908ELNS1_3gpuE7ELNS1_3repE0EEENS1_30default_config_static_selectorELNS0_4arch9wavefront6targetE0EEEvT1_,"axG",@progbits,_ZN7rocprim17ROCPRIM_400000_NS6detail17trampoline_kernelINS0_14default_configENS1_25partition_config_selectorILNS1_17partition_subalgoE6EiNS0_10empty_typeEbEEZZNS1_14partition_implILS5_6ELb0ES3_mN6thrust23THRUST_200600_302600_NS6detail15normal_iteratorINSA_10device_ptrIiEEEEPS6_SG_NS0_5tupleIJNSA_16discard_iteratorINSA_11use_defaultEEES6_EEENSH_IJSG_SG_EEES6_PlJNSB_9not_fun_tINSB_14equal_to_valueIiEEEEEEE10hipError_tPvRmT3_T4_T5_T6_T7_T9_mT8_P12ihipStream_tbDpT10_ENKUlT_T0_E_clISt17integral_constantIbLb0EES1B_EEDaS16_S17_EUlS16_E_NS1_11comp_targetILNS1_3genE3ELNS1_11target_archE908ELNS1_3gpuE7ELNS1_3repE0EEENS1_30default_config_static_selectorELNS0_4arch9wavefront6targetE0EEEvT1_,comdat
	.protected	_ZN7rocprim17ROCPRIM_400000_NS6detail17trampoline_kernelINS0_14default_configENS1_25partition_config_selectorILNS1_17partition_subalgoE6EiNS0_10empty_typeEbEEZZNS1_14partition_implILS5_6ELb0ES3_mN6thrust23THRUST_200600_302600_NS6detail15normal_iteratorINSA_10device_ptrIiEEEEPS6_SG_NS0_5tupleIJNSA_16discard_iteratorINSA_11use_defaultEEES6_EEENSH_IJSG_SG_EEES6_PlJNSB_9not_fun_tINSB_14equal_to_valueIiEEEEEEE10hipError_tPvRmT3_T4_T5_T6_T7_T9_mT8_P12ihipStream_tbDpT10_ENKUlT_T0_E_clISt17integral_constantIbLb0EES1B_EEDaS16_S17_EUlS16_E_NS1_11comp_targetILNS1_3genE3ELNS1_11target_archE908ELNS1_3gpuE7ELNS1_3repE0EEENS1_30default_config_static_selectorELNS0_4arch9wavefront6targetE0EEEvT1_ ; -- Begin function _ZN7rocprim17ROCPRIM_400000_NS6detail17trampoline_kernelINS0_14default_configENS1_25partition_config_selectorILNS1_17partition_subalgoE6EiNS0_10empty_typeEbEEZZNS1_14partition_implILS5_6ELb0ES3_mN6thrust23THRUST_200600_302600_NS6detail15normal_iteratorINSA_10device_ptrIiEEEEPS6_SG_NS0_5tupleIJNSA_16discard_iteratorINSA_11use_defaultEEES6_EEENSH_IJSG_SG_EEES6_PlJNSB_9not_fun_tINSB_14equal_to_valueIiEEEEEEE10hipError_tPvRmT3_T4_T5_T6_T7_T9_mT8_P12ihipStream_tbDpT10_ENKUlT_T0_E_clISt17integral_constantIbLb0EES1B_EEDaS16_S17_EUlS16_E_NS1_11comp_targetILNS1_3genE3ELNS1_11target_archE908ELNS1_3gpuE7ELNS1_3repE0EEENS1_30default_config_static_selectorELNS0_4arch9wavefront6targetE0EEEvT1_
	.globl	_ZN7rocprim17ROCPRIM_400000_NS6detail17trampoline_kernelINS0_14default_configENS1_25partition_config_selectorILNS1_17partition_subalgoE6EiNS0_10empty_typeEbEEZZNS1_14partition_implILS5_6ELb0ES3_mN6thrust23THRUST_200600_302600_NS6detail15normal_iteratorINSA_10device_ptrIiEEEEPS6_SG_NS0_5tupleIJNSA_16discard_iteratorINSA_11use_defaultEEES6_EEENSH_IJSG_SG_EEES6_PlJNSB_9not_fun_tINSB_14equal_to_valueIiEEEEEEE10hipError_tPvRmT3_T4_T5_T6_T7_T9_mT8_P12ihipStream_tbDpT10_ENKUlT_T0_E_clISt17integral_constantIbLb0EES1B_EEDaS16_S17_EUlS16_E_NS1_11comp_targetILNS1_3genE3ELNS1_11target_archE908ELNS1_3gpuE7ELNS1_3repE0EEENS1_30default_config_static_selectorELNS0_4arch9wavefront6targetE0EEEvT1_
	.p2align	8
	.type	_ZN7rocprim17ROCPRIM_400000_NS6detail17trampoline_kernelINS0_14default_configENS1_25partition_config_selectorILNS1_17partition_subalgoE6EiNS0_10empty_typeEbEEZZNS1_14partition_implILS5_6ELb0ES3_mN6thrust23THRUST_200600_302600_NS6detail15normal_iteratorINSA_10device_ptrIiEEEEPS6_SG_NS0_5tupleIJNSA_16discard_iteratorINSA_11use_defaultEEES6_EEENSH_IJSG_SG_EEES6_PlJNSB_9not_fun_tINSB_14equal_to_valueIiEEEEEEE10hipError_tPvRmT3_T4_T5_T6_T7_T9_mT8_P12ihipStream_tbDpT10_ENKUlT_T0_E_clISt17integral_constantIbLb0EES1B_EEDaS16_S17_EUlS16_E_NS1_11comp_targetILNS1_3genE3ELNS1_11target_archE908ELNS1_3gpuE7ELNS1_3repE0EEENS1_30default_config_static_selectorELNS0_4arch9wavefront6targetE0EEEvT1_,@function
_ZN7rocprim17ROCPRIM_400000_NS6detail17trampoline_kernelINS0_14default_configENS1_25partition_config_selectorILNS1_17partition_subalgoE6EiNS0_10empty_typeEbEEZZNS1_14partition_implILS5_6ELb0ES3_mN6thrust23THRUST_200600_302600_NS6detail15normal_iteratorINSA_10device_ptrIiEEEEPS6_SG_NS0_5tupleIJNSA_16discard_iteratorINSA_11use_defaultEEES6_EEENSH_IJSG_SG_EEES6_PlJNSB_9not_fun_tINSB_14equal_to_valueIiEEEEEEE10hipError_tPvRmT3_T4_T5_T6_T7_T9_mT8_P12ihipStream_tbDpT10_ENKUlT_T0_E_clISt17integral_constantIbLb0EES1B_EEDaS16_S17_EUlS16_E_NS1_11comp_targetILNS1_3genE3ELNS1_11target_archE908ELNS1_3gpuE7ELNS1_3repE0EEENS1_30default_config_static_selectorELNS0_4arch9wavefront6targetE0EEEvT1_: ; @_ZN7rocprim17ROCPRIM_400000_NS6detail17trampoline_kernelINS0_14default_configENS1_25partition_config_selectorILNS1_17partition_subalgoE6EiNS0_10empty_typeEbEEZZNS1_14partition_implILS5_6ELb0ES3_mN6thrust23THRUST_200600_302600_NS6detail15normal_iteratorINSA_10device_ptrIiEEEEPS6_SG_NS0_5tupleIJNSA_16discard_iteratorINSA_11use_defaultEEES6_EEENSH_IJSG_SG_EEES6_PlJNSB_9not_fun_tINSB_14equal_to_valueIiEEEEEEE10hipError_tPvRmT3_T4_T5_T6_T7_T9_mT8_P12ihipStream_tbDpT10_ENKUlT_T0_E_clISt17integral_constantIbLb0EES1B_EEDaS16_S17_EUlS16_E_NS1_11comp_targetILNS1_3genE3ELNS1_11target_archE908ELNS1_3gpuE7ELNS1_3repE0EEENS1_30default_config_static_selectorELNS0_4arch9wavefront6targetE0EEEvT1_
; %bb.0:
	.section	.rodata,"a",@progbits
	.p2align	6, 0x0
	.amdhsa_kernel _ZN7rocprim17ROCPRIM_400000_NS6detail17trampoline_kernelINS0_14default_configENS1_25partition_config_selectorILNS1_17partition_subalgoE6EiNS0_10empty_typeEbEEZZNS1_14partition_implILS5_6ELb0ES3_mN6thrust23THRUST_200600_302600_NS6detail15normal_iteratorINSA_10device_ptrIiEEEEPS6_SG_NS0_5tupleIJNSA_16discard_iteratorINSA_11use_defaultEEES6_EEENSH_IJSG_SG_EEES6_PlJNSB_9not_fun_tINSB_14equal_to_valueIiEEEEEEE10hipError_tPvRmT3_T4_T5_T6_T7_T9_mT8_P12ihipStream_tbDpT10_ENKUlT_T0_E_clISt17integral_constantIbLb0EES1B_EEDaS16_S17_EUlS16_E_NS1_11comp_targetILNS1_3genE3ELNS1_11target_archE908ELNS1_3gpuE7ELNS1_3repE0EEENS1_30default_config_static_selectorELNS0_4arch9wavefront6targetE0EEEvT1_
		.amdhsa_group_segment_fixed_size 0
		.amdhsa_private_segment_fixed_size 0
		.amdhsa_kernarg_size 128
		.amdhsa_user_sgpr_count 2
		.amdhsa_user_sgpr_dispatch_ptr 0
		.amdhsa_user_sgpr_queue_ptr 0
		.amdhsa_user_sgpr_kernarg_segment_ptr 1
		.amdhsa_user_sgpr_dispatch_id 0
		.amdhsa_user_sgpr_private_segment_size 0
		.amdhsa_wavefront_size32 1
		.amdhsa_uses_dynamic_stack 0
		.amdhsa_enable_private_segment 0
		.amdhsa_system_sgpr_workgroup_id_x 1
		.amdhsa_system_sgpr_workgroup_id_y 0
		.amdhsa_system_sgpr_workgroup_id_z 0
		.amdhsa_system_sgpr_workgroup_info 0
		.amdhsa_system_vgpr_workitem_id 0
		.amdhsa_next_free_vgpr 1
		.amdhsa_next_free_sgpr 1
		.amdhsa_reserve_vcc 0
		.amdhsa_float_round_mode_32 0
		.amdhsa_float_round_mode_16_64 0
		.amdhsa_float_denorm_mode_32 3
		.amdhsa_float_denorm_mode_16_64 3
		.amdhsa_fp16_overflow 0
		.amdhsa_workgroup_processor_mode 1
		.amdhsa_memory_ordered 1
		.amdhsa_forward_progress 1
		.amdhsa_inst_pref_size 0
		.amdhsa_round_robin_scheduling 0
		.amdhsa_exception_fp_ieee_invalid_op 0
		.amdhsa_exception_fp_denorm_src 0
		.amdhsa_exception_fp_ieee_div_zero 0
		.amdhsa_exception_fp_ieee_overflow 0
		.amdhsa_exception_fp_ieee_underflow 0
		.amdhsa_exception_fp_ieee_inexact 0
		.amdhsa_exception_int_div_zero 0
	.end_amdhsa_kernel
	.section	.text._ZN7rocprim17ROCPRIM_400000_NS6detail17trampoline_kernelINS0_14default_configENS1_25partition_config_selectorILNS1_17partition_subalgoE6EiNS0_10empty_typeEbEEZZNS1_14partition_implILS5_6ELb0ES3_mN6thrust23THRUST_200600_302600_NS6detail15normal_iteratorINSA_10device_ptrIiEEEEPS6_SG_NS0_5tupleIJNSA_16discard_iteratorINSA_11use_defaultEEES6_EEENSH_IJSG_SG_EEES6_PlJNSB_9not_fun_tINSB_14equal_to_valueIiEEEEEEE10hipError_tPvRmT3_T4_T5_T6_T7_T9_mT8_P12ihipStream_tbDpT10_ENKUlT_T0_E_clISt17integral_constantIbLb0EES1B_EEDaS16_S17_EUlS16_E_NS1_11comp_targetILNS1_3genE3ELNS1_11target_archE908ELNS1_3gpuE7ELNS1_3repE0EEENS1_30default_config_static_selectorELNS0_4arch9wavefront6targetE0EEEvT1_,"axG",@progbits,_ZN7rocprim17ROCPRIM_400000_NS6detail17trampoline_kernelINS0_14default_configENS1_25partition_config_selectorILNS1_17partition_subalgoE6EiNS0_10empty_typeEbEEZZNS1_14partition_implILS5_6ELb0ES3_mN6thrust23THRUST_200600_302600_NS6detail15normal_iteratorINSA_10device_ptrIiEEEEPS6_SG_NS0_5tupleIJNSA_16discard_iteratorINSA_11use_defaultEEES6_EEENSH_IJSG_SG_EEES6_PlJNSB_9not_fun_tINSB_14equal_to_valueIiEEEEEEE10hipError_tPvRmT3_T4_T5_T6_T7_T9_mT8_P12ihipStream_tbDpT10_ENKUlT_T0_E_clISt17integral_constantIbLb0EES1B_EEDaS16_S17_EUlS16_E_NS1_11comp_targetILNS1_3genE3ELNS1_11target_archE908ELNS1_3gpuE7ELNS1_3repE0EEENS1_30default_config_static_selectorELNS0_4arch9wavefront6targetE0EEEvT1_,comdat
.Lfunc_end1760:
	.size	_ZN7rocprim17ROCPRIM_400000_NS6detail17trampoline_kernelINS0_14default_configENS1_25partition_config_selectorILNS1_17partition_subalgoE6EiNS0_10empty_typeEbEEZZNS1_14partition_implILS5_6ELb0ES3_mN6thrust23THRUST_200600_302600_NS6detail15normal_iteratorINSA_10device_ptrIiEEEEPS6_SG_NS0_5tupleIJNSA_16discard_iteratorINSA_11use_defaultEEES6_EEENSH_IJSG_SG_EEES6_PlJNSB_9not_fun_tINSB_14equal_to_valueIiEEEEEEE10hipError_tPvRmT3_T4_T5_T6_T7_T9_mT8_P12ihipStream_tbDpT10_ENKUlT_T0_E_clISt17integral_constantIbLb0EES1B_EEDaS16_S17_EUlS16_E_NS1_11comp_targetILNS1_3genE3ELNS1_11target_archE908ELNS1_3gpuE7ELNS1_3repE0EEENS1_30default_config_static_selectorELNS0_4arch9wavefront6targetE0EEEvT1_, .Lfunc_end1760-_ZN7rocprim17ROCPRIM_400000_NS6detail17trampoline_kernelINS0_14default_configENS1_25partition_config_selectorILNS1_17partition_subalgoE6EiNS0_10empty_typeEbEEZZNS1_14partition_implILS5_6ELb0ES3_mN6thrust23THRUST_200600_302600_NS6detail15normal_iteratorINSA_10device_ptrIiEEEEPS6_SG_NS0_5tupleIJNSA_16discard_iteratorINSA_11use_defaultEEES6_EEENSH_IJSG_SG_EEES6_PlJNSB_9not_fun_tINSB_14equal_to_valueIiEEEEEEE10hipError_tPvRmT3_T4_T5_T6_T7_T9_mT8_P12ihipStream_tbDpT10_ENKUlT_T0_E_clISt17integral_constantIbLb0EES1B_EEDaS16_S17_EUlS16_E_NS1_11comp_targetILNS1_3genE3ELNS1_11target_archE908ELNS1_3gpuE7ELNS1_3repE0EEENS1_30default_config_static_selectorELNS0_4arch9wavefront6targetE0EEEvT1_
                                        ; -- End function
	.set _ZN7rocprim17ROCPRIM_400000_NS6detail17trampoline_kernelINS0_14default_configENS1_25partition_config_selectorILNS1_17partition_subalgoE6EiNS0_10empty_typeEbEEZZNS1_14partition_implILS5_6ELb0ES3_mN6thrust23THRUST_200600_302600_NS6detail15normal_iteratorINSA_10device_ptrIiEEEEPS6_SG_NS0_5tupleIJNSA_16discard_iteratorINSA_11use_defaultEEES6_EEENSH_IJSG_SG_EEES6_PlJNSB_9not_fun_tINSB_14equal_to_valueIiEEEEEEE10hipError_tPvRmT3_T4_T5_T6_T7_T9_mT8_P12ihipStream_tbDpT10_ENKUlT_T0_E_clISt17integral_constantIbLb0EES1B_EEDaS16_S17_EUlS16_E_NS1_11comp_targetILNS1_3genE3ELNS1_11target_archE908ELNS1_3gpuE7ELNS1_3repE0EEENS1_30default_config_static_selectorELNS0_4arch9wavefront6targetE0EEEvT1_.num_vgpr, 0
	.set _ZN7rocprim17ROCPRIM_400000_NS6detail17trampoline_kernelINS0_14default_configENS1_25partition_config_selectorILNS1_17partition_subalgoE6EiNS0_10empty_typeEbEEZZNS1_14partition_implILS5_6ELb0ES3_mN6thrust23THRUST_200600_302600_NS6detail15normal_iteratorINSA_10device_ptrIiEEEEPS6_SG_NS0_5tupleIJNSA_16discard_iteratorINSA_11use_defaultEEES6_EEENSH_IJSG_SG_EEES6_PlJNSB_9not_fun_tINSB_14equal_to_valueIiEEEEEEE10hipError_tPvRmT3_T4_T5_T6_T7_T9_mT8_P12ihipStream_tbDpT10_ENKUlT_T0_E_clISt17integral_constantIbLb0EES1B_EEDaS16_S17_EUlS16_E_NS1_11comp_targetILNS1_3genE3ELNS1_11target_archE908ELNS1_3gpuE7ELNS1_3repE0EEENS1_30default_config_static_selectorELNS0_4arch9wavefront6targetE0EEEvT1_.num_agpr, 0
	.set _ZN7rocprim17ROCPRIM_400000_NS6detail17trampoline_kernelINS0_14default_configENS1_25partition_config_selectorILNS1_17partition_subalgoE6EiNS0_10empty_typeEbEEZZNS1_14partition_implILS5_6ELb0ES3_mN6thrust23THRUST_200600_302600_NS6detail15normal_iteratorINSA_10device_ptrIiEEEEPS6_SG_NS0_5tupleIJNSA_16discard_iteratorINSA_11use_defaultEEES6_EEENSH_IJSG_SG_EEES6_PlJNSB_9not_fun_tINSB_14equal_to_valueIiEEEEEEE10hipError_tPvRmT3_T4_T5_T6_T7_T9_mT8_P12ihipStream_tbDpT10_ENKUlT_T0_E_clISt17integral_constantIbLb0EES1B_EEDaS16_S17_EUlS16_E_NS1_11comp_targetILNS1_3genE3ELNS1_11target_archE908ELNS1_3gpuE7ELNS1_3repE0EEENS1_30default_config_static_selectorELNS0_4arch9wavefront6targetE0EEEvT1_.numbered_sgpr, 0
	.set _ZN7rocprim17ROCPRIM_400000_NS6detail17trampoline_kernelINS0_14default_configENS1_25partition_config_selectorILNS1_17partition_subalgoE6EiNS0_10empty_typeEbEEZZNS1_14partition_implILS5_6ELb0ES3_mN6thrust23THRUST_200600_302600_NS6detail15normal_iteratorINSA_10device_ptrIiEEEEPS6_SG_NS0_5tupleIJNSA_16discard_iteratorINSA_11use_defaultEEES6_EEENSH_IJSG_SG_EEES6_PlJNSB_9not_fun_tINSB_14equal_to_valueIiEEEEEEE10hipError_tPvRmT3_T4_T5_T6_T7_T9_mT8_P12ihipStream_tbDpT10_ENKUlT_T0_E_clISt17integral_constantIbLb0EES1B_EEDaS16_S17_EUlS16_E_NS1_11comp_targetILNS1_3genE3ELNS1_11target_archE908ELNS1_3gpuE7ELNS1_3repE0EEENS1_30default_config_static_selectorELNS0_4arch9wavefront6targetE0EEEvT1_.num_named_barrier, 0
	.set _ZN7rocprim17ROCPRIM_400000_NS6detail17trampoline_kernelINS0_14default_configENS1_25partition_config_selectorILNS1_17partition_subalgoE6EiNS0_10empty_typeEbEEZZNS1_14partition_implILS5_6ELb0ES3_mN6thrust23THRUST_200600_302600_NS6detail15normal_iteratorINSA_10device_ptrIiEEEEPS6_SG_NS0_5tupleIJNSA_16discard_iteratorINSA_11use_defaultEEES6_EEENSH_IJSG_SG_EEES6_PlJNSB_9not_fun_tINSB_14equal_to_valueIiEEEEEEE10hipError_tPvRmT3_T4_T5_T6_T7_T9_mT8_P12ihipStream_tbDpT10_ENKUlT_T0_E_clISt17integral_constantIbLb0EES1B_EEDaS16_S17_EUlS16_E_NS1_11comp_targetILNS1_3genE3ELNS1_11target_archE908ELNS1_3gpuE7ELNS1_3repE0EEENS1_30default_config_static_selectorELNS0_4arch9wavefront6targetE0EEEvT1_.private_seg_size, 0
	.set _ZN7rocprim17ROCPRIM_400000_NS6detail17trampoline_kernelINS0_14default_configENS1_25partition_config_selectorILNS1_17partition_subalgoE6EiNS0_10empty_typeEbEEZZNS1_14partition_implILS5_6ELb0ES3_mN6thrust23THRUST_200600_302600_NS6detail15normal_iteratorINSA_10device_ptrIiEEEEPS6_SG_NS0_5tupleIJNSA_16discard_iteratorINSA_11use_defaultEEES6_EEENSH_IJSG_SG_EEES6_PlJNSB_9not_fun_tINSB_14equal_to_valueIiEEEEEEE10hipError_tPvRmT3_T4_T5_T6_T7_T9_mT8_P12ihipStream_tbDpT10_ENKUlT_T0_E_clISt17integral_constantIbLb0EES1B_EEDaS16_S17_EUlS16_E_NS1_11comp_targetILNS1_3genE3ELNS1_11target_archE908ELNS1_3gpuE7ELNS1_3repE0EEENS1_30default_config_static_selectorELNS0_4arch9wavefront6targetE0EEEvT1_.uses_vcc, 0
	.set _ZN7rocprim17ROCPRIM_400000_NS6detail17trampoline_kernelINS0_14default_configENS1_25partition_config_selectorILNS1_17partition_subalgoE6EiNS0_10empty_typeEbEEZZNS1_14partition_implILS5_6ELb0ES3_mN6thrust23THRUST_200600_302600_NS6detail15normal_iteratorINSA_10device_ptrIiEEEEPS6_SG_NS0_5tupleIJNSA_16discard_iteratorINSA_11use_defaultEEES6_EEENSH_IJSG_SG_EEES6_PlJNSB_9not_fun_tINSB_14equal_to_valueIiEEEEEEE10hipError_tPvRmT3_T4_T5_T6_T7_T9_mT8_P12ihipStream_tbDpT10_ENKUlT_T0_E_clISt17integral_constantIbLb0EES1B_EEDaS16_S17_EUlS16_E_NS1_11comp_targetILNS1_3genE3ELNS1_11target_archE908ELNS1_3gpuE7ELNS1_3repE0EEENS1_30default_config_static_selectorELNS0_4arch9wavefront6targetE0EEEvT1_.uses_flat_scratch, 0
	.set _ZN7rocprim17ROCPRIM_400000_NS6detail17trampoline_kernelINS0_14default_configENS1_25partition_config_selectorILNS1_17partition_subalgoE6EiNS0_10empty_typeEbEEZZNS1_14partition_implILS5_6ELb0ES3_mN6thrust23THRUST_200600_302600_NS6detail15normal_iteratorINSA_10device_ptrIiEEEEPS6_SG_NS0_5tupleIJNSA_16discard_iteratorINSA_11use_defaultEEES6_EEENSH_IJSG_SG_EEES6_PlJNSB_9not_fun_tINSB_14equal_to_valueIiEEEEEEE10hipError_tPvRmT3_T4_T5_T6_T7_T9_mT8_P12ihipStream_tbDpT10_ENKUlT_T0_E_clISt17integral_constantIbLb0EES1B_EEDaS16_S17_EUlS16_E_NS1_11comp_targetILNS1_3genE3ELNS1_11target_archE908ELNS1_3gpuE7ELNS1_3repE0EEENS1_30default_config_static_selectorELNS0_4arch9wavefront6targetE0EEEvT1_.has_dyn_sized_stack, 0
	.set _ZN7rocprim17ROCPRIM_400000_NS6detail17trampoline_kernelINS0_14default_configENS1_25partition_config_selectorILNS1_17partition_subalgoE6EiNS0_10empty_typeEbEEZZNS1_14partition_implILS5_6ELb0ES3_mN6thrust23THRUST_200600_302600_NS6detail15normal_iteratorINSA_10device_ptrIiEEEEPS6_SG_NS0_5tupleIJNSA_16discard_iteratorINSA_11use_defaultEEES6_EEENSH_IJSG_SG_EEES6_PlJNSB_9not_fun_tINSB_14equal_to_valueIiEEEEEEE10hipError_tPvRmT3_T4_T5_T6_T7_T9_mT8_P12ihipStream_tbDpT10_ENKUlT_T0_E_clISt17integral_constantIbLb0EES1B_EEDaS16_S17_EUlS16_E_NS1_11comp_targetILNS1_3genE3ELNS1_11target_archE908ELNS1_3gpuE7ELNS1_3repE0EEENS1_30default_config_static_selectorELNS0_4arch9wavefront6targetE0EEEvT1_.has_recursion, 0
	.set _ZN7rocprim17ROCPRIM_400000_NS6detail17trampoline_kernelINS0_14default_configENS1_25partition_config_selectorILNS1_17partition_subalgoE6EiNS0_10empty_typeEbEEZZNS1_14partition_implILS5_6ELb0ES3_mN6thrust23THRUST_200600_302600_NS6detail15normal_iteratorINSA_10device_ptrIiEEEEPS6_SG_NS0_5tupleIJNSA_16discard_iteratorINSA_11use_defaultEEES6_EEENSH_IJSG_SG_EEES6_PlJNSB_9not_fun_tINSB_14equal_to_valueIiEEEEEEE10hipError_tPvRmT3_T4_T5_T6_T7_T9_mT8_P12ihipStream_tbDpT10_ENKUlT_T0_E_clISt17integral_constantIbLb0EES1B_EEDaS16_S17_EUlS16_E_NS1_11comp_targetILNS1_3genE3ELNS1_11target_archE908ELNS1_3gpuE7ELNS1_3repE0EEENS1_30default_config_static_selectorELNS0_4arch9wavefront6targetE0EEEvT1_.has_indirect_call, 0
	.section	.AMDGPU.csdata,"",@progbits
; Kernel info:
; codeLenInByte = 0
; TotalNumSgprs: 0
; NumVgprs: 0
; ScratchSize: 0
; MemoryBound: 0
; FloatMode: 240
; IeeeMode: 1
; LDSByteSize: 0 bytes/workgroup (compile time only)
; SGPRBlocks: 0
; VGPRBlocks: 0
; NumSGPRsForWavesPerEU: 1
; NumVGPRsForWavesPerEU: 1
; Occupancy: 16
; WaveLimiterHint : 0
; COMPUTE_PGM_RSRC2:SCRATCH_EN: 0
; COMPUTE_PGM_RSRC2:USER_SGPR: 2
; COMPUTE_PGM_RSRC2:TRAP_HANDLER: 0
; COMPUTE_PGM_RSRC2:TGID_X_EN: 1
; COMPUTE_PGM_RSRC2:TGID_Y_EN: 0
; COMPUTE_PGM_RSRC2:TGID_Z_EN: 0
; COMPUTE_PGM_RSRC2:TIDIG_COMP_CNT: 0
	.section	.text._ZN7rocprim17ROCPRIM_400000_NS6detail17trampoline_kernelINS0_14default_configENS1_25partition_config_selectorILNS1_17partition_subalgoE6EiNS0_10empty_typeEbEEZZNS1_14partition_implILS5_6ELb0ES3_mN6thrust23THRUST_200600_302600_NS6detail15normal_iteratorINSA_10device_ptrIiEEEEPS6_SG_NS0_5tupleIJNSA_16discard_iteratorINSA_11use_defaultEEES6_EEENSH_IJSG_SG_EEES6_PlJNSB_9not_fun_tINSB_14equal_to_valueIiEEEEEEE10hipError_tPvRmT3_T4_T5_T6_T7_T9_mT8_P12ihipStream_tbDpT10_ENKUlT_T0_E_clISt17integral_constantIbLb0EES1B_EEDaS16_S17_EUlS16_E_NS1_11comp_targetILNS1_3genE2ELNS1_11target_archE906ELNS1_3gpuE6ELNS1_3repE0EEENS1_30default_config_static_selectorELNS0_4arch9wavefront6targetE0EEEvT1_,"axG",@progbits,_ZN7rocprim17ROCPRIM_400000_NS6detail17trampoline_kernelINS0_14default_configENS1_25partition_config_selectorILNS1_17partition_subalgoE6EiNS0_10empty_typeEbEEZZNS1_14partition_implILS5_6ELb0ES3_mN6thrust23THRUST_200600_302600_NS6detail15normal_iteratorINSA_10device_ptrIiEEEEPS6_SG_NS0_5tupleIJNSA_16discard_iteratorINSA_11use_defaultEEES6_EEENSH_IJSG_SG_EEES6_PlJNSB_9not_fun_tINSB_14equal_to_valueIiEEEEEEE10hipError_tPvRmT3_T4_T5_T6_T7_T9_mT8_P12ihipStream_tbDpT10_ENKUlT_T0_E_clISt17integral_constantIbLb0EES1B_EEDaS16_S17_EUlS16_E_NS1_11comp_targetILNS1_3genE2ELNS1_11target_archE906ELNS1_3gpuE6ELNS1_3repE0EEENS1_30default_config_static_selectorELNS0_4arch9wavefront6targetE0EEEvT1_,comdat
	.protected	_ZN7rocprim17ROCPRIM_400000_NS6detail17trampoline_kernelINS0_14default_configENS1_25partition_config_selectorILNS1_17partition_subalgoE6EiNS0_10empty_typeEbEEZZNS1_14partition_implILS5_6ELb0ES3_mN6thrust23THRUST_200600_302600_NS6detail15normal_iteratorINSA_10device_ptrIiEEEEPS6_SG_NS0_5tupleIJNSA_16discard_iteratorINSA_11use_defaultEEES6_EEENSH_IJSG_SG_EEES6_PlJNSB_9not_fun_tINSB_14equal_to_valueIiEEEEEEE10hipError_tPvRmT3_T4_T5_T6_T7_T9_mT8_P12ihipStream_tbDpT10_ENKUlT_T0_E_clISt17integral_constantIbLb0EES1B_EEDaS16_S17_EUlS16_E_NS1_11comp_targetILNS1_3genE2ELNS1_11target_archE906ELNS1_3gpuE6ELNS1_3repE0EEENS1_30default_config_static_selectorELNS0_4arch9wavefront6targetE0EEEvT1_ ; -- Begin function _ZN7rocprim17ROCPRIM_400000_NS6detail17trampoline_kernelINS0_14default_configENS1_25partition_config_selectorILNS1_17partition_subalgoE6EiNS0_10empty_typeEbEEZZNS1_14partition_implILS5_6ELb0ES3_mN6thrust23THRUST_200600_302600_NS6detail15normal_iteratorINSA_10device_ptrIiEEEEPS6_SG_NS0_5tupleIJNSA_16discard_iteratorINSA_11use_defaultEEES6_EEENSH_IJSG_SG_EEES6_PlJNSB_9not_fun_tINSB_14equal_to_valueIiEEEEEEE10hipError_tPvRmT3_T4_T5_T6_T7_T9_mT8_P12ihipStream_tbDpT10_ENKUlT_T0_E_clISt17integral_constantIbLb0EES1B_EEDaS16_S17_EUlS16_E_NS1_11comp_targetILNS1_3genE2ELNS1_11target_archE906ELNS1_3gpuE6ELNS1_3repE0EEENS1_30default_config_static_selectorELNS0_4arch9wavefront6targetE0EEEvT1_
	.globl	_ZN7rocprim17ROCPRIM_400000_NS6detail17trampoline_kernelINS0_14default_configENS1_25partition_config_selectorILNS1_17partition_subalgoE6EiNS0_10empty_typeEbEEZZNS1_14partition_implILS5_6ELb0ES3_mN6thrust23THRUST_200600_302600_NS6detail15normal_iteratorINSA_10device_ptrIiEEEEPS6_SG_NS0_5tupleIJNSA_16discard_iteratorINSA_11use_defaultEEES6_EEENSH_IJSG_SG_EEES6_PlJNSB_9not_fun_tINSB_14equal_to_valueIiEEEEEEE10hipError_tPvRmT3_T4_T5_T6_T7_T9_mT8_P12ihipStream_tbDpT10_ENKUlT_T0_E_clISt17integral_constantIbLb0EES1B_EEDaS16_S17_EUlS16_E_NS1_11comp_targetILNS1_3genE2ELNS1_11target_archE906ELNS1_3gpuE6ELNS1_3repE0EEENS1_30default_config_static_selectorELNS0_4arch9wavefront6targetE0EEEvT1_
	.p2align	8
	.type	_ZN7rocprim17ROCPRIM_400000_NS6detail17trampoline_kernelINS0_14default_configENS1_25partition_config_selectorILNS1_17partition_subalgoE6EiNS0_10empty_typeEbEEZZNS1_14partition_implILS5_6ELb0ES3_mN6thrust23THRUST_200600_302600_NS6detail15normal_iteratorINSA_10device_ptrIiEEEEPS6_SG_NS0_5tupleIJNSA_16discard_iteratorINSA_11use_defaultEEES6_EEENSH_IJSG_SG_EEES6_PlJNSB_9not_fun_tINSB_14equal_to_valueIiEEEEEEE10hipError_tPvRmT3_T4_T5_T6_T7_T9_mT8_P12ihipStream_tbDpT10_ENKUlT_T0_E_clISt17integral_constantIbLb0EES1B_EEDaS16_S17_EUlS16_E_NS1_11comp_targetILNS1_3genE2ELNS1_11target_archE906ELNS1_3gpuE6ELNS1_3repE0EEENS1_30default_config_static_selectorELNS0_4arch9wavefront6targetE0EEEvT1_,@function
_ZN7rocprim17ROCPRIM_400000_NS6detail17trampoline_kernelINS0_14default_configENS1_25partition_config_selectorILNS1_17partition_subalgoE6EiNS0_10empty_typeEbEEZZNS1_14partition_implILS5_6ELb0ES3_mN6thrust23THRUST_200600_302600_NS6detail15normal_iteratorINSA_10device_ptrIiEEEEPS6_SG_NS0_5tupleIJNSA_16discard_iteratorINSA_11use_defaultEEES6_EEENSH_IJSG_SG_EEES6_PlJNSB_9not_fun_tINSB_14equal_to_valueIiEEEEEEE10hipError_tPvRmT3_T4_T5_T6_T7_T9_mT8_P12ihipStream_tbDpT10_ENKUlT_T0_E_clISt17integral_constantIbLb0EES1B_EEDaS16_S17_EUlS16_E_NS1_11comp_targetILNS1_3genE2ELNS1_11target_archE906ELNS1_3gpuE6ELNS1_3repE0EEENS1_30default_config_static_selectorELNS0_4arch9wavefront6targetE0EEEvT1_: ; @_ZN7rocprim17ROCPRIM_400000_NS6detail17trampoline_kernelINS0_14default_configENS1_25partition_config_selectorILNS1_17partition_subalgoE6EiNS0_10empty_typeEbEEZZNS1_14partition_implILS5_6ELb0ES3_mN6thrust23THRUST_200600_302600_NS6detail15normal_iteratorINSA_10device_ptrIiEEEEPS6_SG_NS0_5tupleIJNSA_16discard_iteratorINSA_11use_defaultEEES6_EEENSH_IJSG_SG_EEES6_PlJNSB_9not_fun_tINSB_14equal_to_valueIiEEEEEEE10hipError_tPvRmT3_T4_T5_T6_T7_T9_mT8_P12ihipStream_tbDpT10_ENKUlT_T0_E_clISt17integral_constantIbLb0EES1B_EEDaS16_S17_EUlS16_E_NS1_11comp_targetILNS1_3genE2ELNS1_11target_archE906ELNS1_3gpuE6ELNS1_3repE0EEENS1_30default_config_static_selectorELNS0_4arch9wavefront6targetE0EEEvT1_
; %bb.0:
	.section	.rodata,"a",@progbits
	.p2align	6, 0x0
	.amdhsa_kernel _ZN7rocprim17ROCPRIM_400000_NS6detail17trampoline_kernelINS0_14default_configENS1_25partition_config_selectorILNS1_17partition_subalgoE6EiNS0_10empty_typeEbEEZZNS1_14partition_implILS5_6ELb0ES3_mN6thrust23THRUST_200600_302600_NS6detail15normal_iteratorINSA_10device_ptrIiEEEEPS6_SG_NS0_5tupleIJNSA_16discard_iteratorINSA_11use_defaultEEES6_EEENSH_IJSG_SG_EEES6_PlJNSB_9not_fun_tINSB_14equal_to_valueIiEEEEEEE10hipError_tPvRmT3_T4_T5_T6_T7_T9_mT8_P12ihipStream_tbDpT10_ENKUlT_T0_E_clISt17integral_constantIbLb0EES1B_EEDaS16_S17_EUlS16_E_NS1_11comp_targetILNS1_3genE2ELNS1_11target_archE906ELNS1_3gpuE6ELNS1_3repE0EEENS1_30default_config_static_selectorELNS0_4arch9wavefront6targetE0EEEvT1_
		.amdhsa_group_segment_fixed_size 0
		.amdhsa_private_segment_fixed_size 0
		.amdhsa_kernarg_size 128
		.amdhsa_user_sgpr_count 2
		.amdhsa_user_sgpr_dispatch_ptr 0
		.amdhsa_user_sgpr_queue_ptr 0
		.amdhsa_user_sgpr_kernarg_segment_ptr 1
		.amdhsa_user_sgpr_dispatch_id 0
		.amdhsa_user_sgpr_private_segment_size 0
		.amdhsa_wavefront_size32 1
		.amdhsa_uses_dynamic_stack 0
		.amdhsa_enable_private_segment 0
		.amdhsa_system_sgpr_workgroup_id_x 1
		.amdhsa_system_sgpr_workgroup_id_y 0
		.amdhsa_system_sgpr_workgroup_id_z 0
		.amdhsa_system_sgpr_workgroup_info 0
		.amdhsa_system_vgpr_workitem_id 0
		.amdhsa_next_free_vgpr 1
		.amdhsa_next_free_sgpr 1
		.amdhsa_reserve_vcc 0
		.amdhsa_float_round_mode_32 0
		.amdhsa_float_round_mode_16_64 0
		.amdhsa_float_denorm_mode_32 3
		.amdhsa_float_denorm_mode_16_64 3
		.amdhsa_fp16_overflow 0
		.amdhsa_workgroup_processor_mode 1
		.amdhsa_memory_ordered 1
		.amdhsa_forward_progress 1
		.amdhsa_inst_pref_size 0
		.amdhsa_round_robin_scheduling 0
		.amdhsa_exception_fp_ieee_invalid_op 0
		.amdhsa_exception_fp_denorm_src 0
		.amdhsa_exception_fp_ieee_div_zero 0
		.amdhsa_exception_fp_ieee_overflow 0
		.amdhsa_exception_fp_ieee_underflow 0
		.amdhsa_exception_fp_ieee_inexact 0
		.amdhsa_exception_int_div_zero 0
	.end_amdhsa_kernel
	.section	.text._ZN7rocprim17ROCPRIM_400000_NS6detail17trampoline_kernelINS0_14default_configENS1_25partition_config_selectorILNS1_17partition_subalgoE6EiNS0_10empty_typeEbEEZZNS1_14partition_implILS5_6ELb0ES3_mN6thrust23THRUST_200600_302600_NS6detail15normal_iteratorINSA_10device_ptrIiEEEEPS6_SG_NS0_5tupleIJNSA_16discard_iteratorINSA_11use_defaultEEES6_EEENSH_IJSG_SG_EEES6_PlJNSB_9not_fun_tINSB_14equal_to_valueIiEEEEEEE10hipError_tPvRmT3_T4_T5_T6_T7_T9_mT8_P12ihipStream_tbDpT10_ENKUlT_T0_E_clISt17integral_constantIbLb0EES1B_EEDaS16_S17_EUlS16_E_NS1_11comp_targetILNS1_3genE2ELNS1_11target_archE906ELNS1_3gpuE6ELNS1_3repE0EEENS1_30default_config_static_selectorELNS0_4arch9wavefront6targetE0EEEvT1_,"axG",@progbits,_ZN7rocprim17ROCPRIM_400000_NS6detail17trampoline_kernelINS0_14default_configENS1_25partition_config_selectorILNS1_17partition_subalgoE6EiNS0_10empty_typeEbEEZZNS1_14partition_implILS5_6ELb0ES3_mN6thrust23THRUST_200600_302600_NS6detail15normal_iteratorINSA_10device_ptrIiEEEEPS6_SG_NS0_5tupleIJNSA_16discard_iteratorINSA_11use_defaultEEES6_EEENSH_IJSG_SG_EEES6_PlJNSB_9not_fun_tINSB_14equal_to_valueIiEEEEEEE10hipError_tPvRmT3_T4_T5_T6_T7_T9_mT8_P12ihipStream_tbDpT10_ENKUlT_T0_E_clISt17integral_constantIbLb0EES1B_EEDaS16_S17_EUlS16_E_NS1_11comp_targetILNS1_3genE2ELNS1_11target_archE906ELNS1_3gpuE6ELNS1_3repE0EEENS1_30default_config_static_selectorELNS0_4arch9wavefront6targetE0EEEvT1_,comdat
.Lfunc_end1761:
	.size	_ZN7rocprim17ROCPRIM_400000_NS6detail17trampoline_kernelINS0_14default_configENS1_25partition_config_selectorILNS1_17partition_subalgoE6EiNS0_10empty_typeEbEEZZNS1_14partition_implILS5_6ELb0ES3_mN6thrust23THRUST_200600_302600_NS6detail15normal_iteratorINSA_10device_ptrIiEEEEPS6_SG_NS0_5tupleIJNSA_16discard_iteratorINSA_11use_defaultEEES6_EEENSH_IJSG_SG_EEES6_PlJNSB_9not_fun_tINSB_14equal_to_valueIiEEEEEEE10hipError_tPvRmT3_T4_T5_T6_T7_T9_mT8_P12ihipStream_tbDpT10_ENKUlT_T0_E_clISt17integral_constantIbLb0EES1B_EEDaS16_S17_EUlS16_E_NS1_11comp_targetILNS1_3genE2ELNS1_11target_archE906ELNS1_3gpuE6ELNS1_3repE0EEENS1_30default_config_static_selectorELNS0_4arch9wavefront6targetE0EEEvT1_, .Lfunc_end1761-_ZN7rocprim17ROCPRIM_400000_NS6detail17trampoline_kernelINS0_14default_configENS1_25partition_config_selectorILNS1_17partition_subalgoE6EiNS0_10empty_typeEbEEZZNS1_14partition_implILS5_6ELb0ES3_mN6thrust23THRUST_200600_302600_NS6detail15normal_iteratorINSA_10device_ptrIiEEEEPS6_SG_NS0_5tupleIJNSA_16discard_iteratorINSA_11use_defaultEEES6_EEENSH_IJSG_SG_EEES6_PlJNSB_9not_fun_tINSB_14equal_to_valueIiEEEEEEE10hipError_tPvRmT3_T4_T5_T6_T7_T9_mT8_P12ihipStream_tbDpT10_ENKUlT_T0_E_clISt17integral_constantIbLb0EES1B_EEDaS16_S17_EUlS16_E_NS1_11comp_targetILNS1_3genE2ELNS1_11target_archE906ELNS1_3gpuE6ELNS1_3repE0EEENS1_30default_config_static_selectorELNS0_4arch9wavefront6targetE0EEEvT1_
                                        ; -- End function
	.set _ZN7rocprim17ROCPRIM_400000_NS6detail17trampoline_kernelINS0_14default_configENS1_25partition_config_selectorILNS1_17partition_subalgoE6EiNS0_10empty_typeEbEEZZNS1_14partition_implILS5_6ELb0ES3_mN6thrust23THRUST_200600_302600_NS6detail15normal_iteratorINSA_10device_ptrIiEEEEPS6_SG_NS0_5tupleIJNSA_16discard_iteratorINSA_11use_defaultEEES6_EEENSH_IJSG_SG_EEES6_PlJNSB_9not_fun_tINSB_14equal_to_valueIiEEEEEEE10hipError_tPvRmT3_T4_T5_T6_T7_T9_mT8_P12ihipStream_tbDpT10_ENKUlT_T0_E_clISt17integral_constantIbLb0EES1B_EEDaS16_S17_EUlS16_E_NS1_11comp_targetILNS1_3genE2ELNS1_11target_archE906ELNS1_3gpuE6ELNS1_3repE0EEENS1_30default_config_static_selectorELNS0_4arch9wavefront6targetE0EEEvT1_.num_vgpr, 0
	.set _ZN7rocprim17ROCPRIM_400000_NS6detail17trampoline_kernelINS0_14default_configENS1_25partition_config_selectorILNS1_17partition_subalgoE6EiNS0_10empty_typeEbEEZZNS1_14partition_implILS5_6ELb0ES3_mN6thrust23THRUST_200600_302600_NS6detail15normal_iteratorINSA_10device_ptrIiEEEEPS6_SG_NS0_5tupleIJNSA_16discard_iteratorINSA_11use_defaultEEES6_EEENSH_IJSG_SG_EEES6_PlJNSB_9not_fun_tINSB_14equal_to_valueIiEEEEEEE10hipError_tPvRmT3_T4_T5_T6_T7_T9_mT8_P12ihipStream_tbDpT10_ENKUlT_T0_E_clISt17integral_constantIbLb0EES1B_EEDaS16_S17_EUlS16_E_NS1_11comp_targetILNS1_3genE2ELNS1_11target_archE906ELNS1_3gpuE6ELNS1_3repE0EEENS1_30default_config_static_selectorELNS0_4arch9wavefront6targetE0EEEvT1_.num_agpr, 0
	.set _ZN7rocprim17ROCPRIM_400000_NS6detail17trampoline_kernelINS0_14default_configENS1_25partition_config_selectorILNS1_17partition_subalgoE6EiNS0_10empty_typeEbEEZZNS1_14partition_implILS5_6ELb0ES3_mN6thrust23THRUST_200600_302600_NS6detail15normal_iteratorINSA_10device_ptrIiEEEEPS6_SG_NS0_5tupleIJNSA_16discard_iteratorINSA_11use_defaultEEES6_EEENSH_IJSG_SG_EEES6_PlJNSB_9not_fun_tINSB_14equal_to_valueIiEEEEEEE10hipError_tPvRmT3_T4_T5_T6_T7_T9_mT8_P12ihipStream_tbDpT10_ENKUlT_T0_E_clISt17integral_constantIbLb0EES1B_EEDaS16_S17_EUlS16_E_NS1_11comp_targetILNS1_3genE2ELNS1_11target_archE906ELNS1_3gpuE6ELNS1_3repE0EEENS1_30default_config_static_selectorELNS0_4arch9wavefront6targetE0EEEvT1_.numbered_sgpr, 0
	.set _ZN7rocprim17ROCPRIM_400000_NS6detail17trampoline_kernelINS0_14default_configENS1_25partition_config_selectorILNS1_17partition_subalgoE6EiNS0_10empty_typeEbEEZZNS1_14partition_implILS5_6ELb0ES3_mN6thrust23THRUST_200600_302600_NS6detail15normal_iteratorINSA_10device_ptrIiEEEEPS6_SG_NS0_5tupleIJNSA_16discard_iteratorINSA_11use_defaultEEES6_EEENSH_IJSG_SG_EEES6_PlJNSB_9not_fun_tINSB_14equal_to_valueIiEEEEEEE10hipError_tPvRmT3_T4_T5_T6_T7_T9_mT8_P12ihipStream_tbDpT10_ENKUlT_T0_E_clISt17integral_constantIbLb0EES1B_EEDaS16_S17_EUlS16_E_NS1_11comp_targetILNS1_3genE2ELNS1_11target_archE906ELNS1_3gpuE6ELNS1_3repE0EEENS1_30default_config_static_selectorELNS0_4arch9wavefront6targetE0EEEvT1_.num_named_barrier, 0
	.set _ZN7rocprim17ROCPRIM_400000_NS6detail17trampoline_kernelINS0_14default_configENS1_25partition_config_selectorILNS1_17partition_subalgoE6EiNS0_10empty_typeEbEEZZNS1_14partition_implILS5_6ELb0ES3_mN6thrust23THRUST_200600_302600_NS6detail15normal_iteratorINSA_10device_ptrIiEEEEPS6_SG_NS0_5tupleIJNSA_16discard_iteratorINSA_11use_defaultEEES6_EEENSH_IJSG_SG_EEES6_PlJNSB_9not_fun_tINSB_14equal_to_valueIiEEEEEEE10hipError_tPvRmT3_T4_T5_T6_T7_T9_mT8_P12ihipStream_tbDpT10_ENKUlT_T0_E_clISt17integral_constantIbLb0EES1B_EEDaS16_S17_EUlS16_E_NS1_11comp_targetILNS1_3genE2ELNS1_11target_archE906ELNS1_3gpuE6ELNS1_3repE0EEENS1_30default_config_static_selectorELNS0_4arch9wavefront6targetE0EEEvT1_.private_seg_size, 0
	.set _ZN7rocprim17ROCPRIM_400000_NS6detail17trampoline_kernelINS0_14default_configENS1_25partition_config_selectorILNS1_17partition_subalgoE6EiNS0_10empty_typeEbEEZZNS1_14partition_implILS5_6ELb0ES3_mN6thrust23THRUST_200600_302600_NS6detail15normal_iteratorINSA_10device_ptrIiEEEEPS6_SG_NS0_5tupleIJNSA_16discard_iteratorINSA_11use_defaultEEES6_EEENSH_IJSG_SG_EEES6_PlJNSB_9not_fun_tINSB_14equal_to_valueIiEEEEEEE10hipError_tPvRmT3_T4_T5_T6_T7_T9_mT8_P12ihipStream_tbDpT10_ENKUlT_T0_E_clISt17integral_constantIbLb0EES1B_EEDaS16_S17_EUlS16_E_NS1_11comp_targetILNS1_3genE2ELNS1_11target_archE906ELNS1_3gpuE6ELNS1_3repE0EEENS1_30default_config_static_selectorELNS0_4arch9wavefront6targetE0EEEvT1_.uses_vcc, 0
	.set _ZN7rocprim17ROCPRIM_400000_NS6detail17trampoline_kernelINS0_14default_configENS1_25partition_config_selectorILNS1_17partition_subalgoE6EiNS0_10empty_typeEbEEZZNS1_14partition_implILS5_6ELb0ES3_mN6thrust23THRUST_200600_302600_NS6detail15normal_iteratorINSA_10device_ptrIiEEEEPS6_SG_NS0_5tupleIJNSA_16discard_iteratorINSA_11use_defaultEEES6_EEENSH_IJSG_SG_EEES6_PlJNSB_9not_fun_tINSB_14equal_to_valueIiEEEEEEE10hipError_tPvRmT3_T4_T5_T6_T7_T9_mT8_P12ihipStream_tbDpT10_ENKUlT_T0_E_clISt17integral_constantIbLb0EES1B_EEDaS16_S17_EUlS16_E_NS1_11comp_targetILNS1_3genE2ELNS1_11target_archE906ELNS1_3gpuE6ELNS1_3repE0EEENS1_30default_config_static_selectorELNS0_4arch9wavefront6targetE0EEEvT1_.uses_flat_scratch, 0
	.set _ZN7rocprim17ROCPRIM_400000_NS6detail17trampoline_kernelINS0_14default_configENS1_25partition_config_selectorILNS1_17partition_subalgoE6EiNS0_10empty_typeEbEEZZNS1_14partition_implILS5_6ELb0ES3_mN6thrust23THRUST_200600_302600_NS6detail15normal_iteratorINSA_10device_ptrIiEEEEPS6_SG_NS0_5tupleIJNSA_16discard_iteratorINSA_11use_defaultEEES6_EEENSH_IJSG_SG_EEES6_PlJNSB_9not_fun_tINSB_14equal_to_valueIiEEEEEEE10hipError_tPvRmT3_T4_T5_T6_T7_T9_mT8_P12ihipStream_tbDpT10_ENKUlT_T0_E_clISt17integral_constantIbLb0EES1B_EEDaS16_S17_EUlS16_E_NS1_11comp_targetILNS1_3genE2ELNS1_11target_archE906ELNS1_3gpuE6ELNS1_3repE0EEENS1_30default_config_static_selectorELNS0_4arch9wavefront6targetE0EEEvT1_.has_dyn_sized_stack, 0
	.set _ZN7rocprim17ROCPRIM_400000_NS6detail17trampoline_kernelINS0_14default_configENS1_25partition_config_selectorILNS1_17partition_subalgoE6EiNS0_10empty_typeEbEEZZNS1_14partition_implILS5_6ELb0ES3_mN6thrust23THRUST_200600_302600_NS6detail15normal_iteratorINSA_10device_ptrIiEEEEPS6_SG_NS0_5tupleIJNSA_16discard_iteratorINSA_11use_defaultEEES6_EEENSH_IJSG_SG_EEES6_PlJNSB_9not_fun_tINSB_14equal_to_valueIiEEEEEEE10hipError_tPvRmT3_T4_T5_T6_T7_T9_mT8_P12ihipStream_tbDpT10_ENKUlT_T0_E_clISt17integral_constantIbLb0EES1B_EEDaS16_S17_EUlS16_E_NS1_11comp_targetILNS1_3genE2ELNS1_11target_archE906ELNS1_3gpuE6ELNS1_3repE0EEENS1_30default_config_static_selectorELNS0_4arch9wavefront6targetE0EEEvT1_.has_recursion, 0
	.set _ZN7rocprim17ROCPRIM_400000_NS6detail17trampoline_kernelINS0_14default_configENS1_25partition_config_selectorILNS1_17partition_subalgoE6EiNS0_10empty_typeEbEEZZNS1_14partition_implILS5_6ELb0ES3_mN6thrust23THRUST_200600_302600_NS6detail15normal_iteratorINSA_10device_ptrIiEEEEPS6_SG_NS0_5tupleIJNSA_16discard_iteratorINSA_11use_defaultEEES6_EEENSH_IJSG_SG_EEES6_PlJNSB_9not_fun_tINSB_14equal_to_valueIiEEEEEEE10hipError_tPvRmT3_T4_T5_T6_T7_T9_mT8_P12ihipStream_tbDpT10_ENKUlT_T0_E_clISt17integral_constantIbLb0EES1B_EEDaS16_S17_EUlS16_E_NS1_11comp_targetILNS1_3genE2ELNS1_11target_archE906ELNS1_3gpuE6ELNS1_3repE0EEENS1_30default_config_static_selectorELNS0_4arch9wavefront6targetE0EEEvT1_.has_indirect_call, 0
	.section	.AMDGPU.csdata,"",@progbits
; Kernel info:
; codeLenInByte = 0
; TotalNumSgprs: 0
; NumVgprs: 0
; ScratchSize: 0
; MemoryBound: 0
; FloatMode: 240
; IeeeMode: 1
; LDSByteSize: 0 bytes/workgroup (compile time only)
; SGPRBlocks: 0
; VGPRBlocks: 0
; NumSGPRsForWavesPerEU: 1
; NumVGPRsForWavesPerEU: 1
; Occupancy: 16
; WaveLimiterHint : 0
; COMPUTE_PGM_RSRC2:SCRATCH_EN: 0
; COMPUTE_PGM_RSRC2:USER_SGPR: 2
; COMPUTE_PGM_RSRC2:TRAP_HANDLER: 0
; COMPUTE_PGM_RSRC2:TGID_X_EN: 1
; COMPUTE_PGM_RSRC2:TGID_Y_EN: 0
; COMPUTE_PGM_RSRC2:TGID_Z_EN: 0
; COMPUTE_PGM_RSRC2:TIDIG_COMP_CNT: 0
	.section	.text._ZN7rocprim17ROCPRIM_400000_NS6detail17trampoline_kernelINS0_14default_configENS1_25partition_config_selectorILNS1_17partition_subalgoE6EiNS0_10empty_typeEbEEZZNS1_14partition_implILS5_6ELb0ES3_mN6thrust23THRUST_200600_302600_NS6detail15normal_iteratorINSA_10device_ptrIiEEEEPS6_SG_NS0_5tupleIJNSA_16discard_iteratorINSA_11use_defaultEEES6_EEENSH_IJSG_SG_EEES6_PlJNSB_9not_fun_tINSB_14equal_to_valueIiEEEEEEE10hipError_tPvRmT3_T4_T5_T6_T7_T9_mT8_P12ihipStream_tbDpT10_ENKUlT_T0_E_clISt17integral_constantIbLb0EES1B_EEDaS16_S17_EUlS16_E_NS1_11comp_targetILNS1_3genE10ELNS1_11target_archE1200ELNS1_3gpuE4ELNS1_3repE0EEENS1_30default_config_static_selectorELNS0_4arch9wavefront6targetE0EEEvT1_,"axG",@progbits,_ZN7rocprim17ROCPRIM_400000_NS6detail17trampoline_kernelINS0_14default_configENS1_25partition_config_selectorILNS1_17partition_subalgoE6EiNS0_10empty_typeEbEEZZNS1_14partition_implILS5_6ELb0ES3_mN6thrust23THRUST_200600_302600_NS6detail15normal_iteratorINSA_10device_ptrIiEEEEPS6_SG_NS0_5tupleIJNSA_16discard_iteratorINSA_11use_defaultEEES6_EEENSH_IJSG_SG_EEES6_PlJNSB_9not_fun_tINSB_14equal_to_valueIiEEEEEEE10hipError_tPvRmT3_T4_T5_T6_T7_T9_mT8_P12ihipStream_tbDpT10_ENKUlT_T0_E_clISt17integral_constantIbLb0EES1B_EEDaS16_S17_EUlS16_E_NS1_11comp_targetILNS1_3genE10ELNS1_11target_archE1200ELNS1_3gpuE4ELNS1_3repE0EEENS1_30default_config_static_selectorELNS0_4arch9wavefront6targetE0EEEvT1_,comdat
	.protected	_ZN7rocprim17ROCPRIM_400000_NS6detail17trampoline_kernelINS0_14default_configENS1_25partition_config_selectorILNS1_17partition_subalgoE6EiNS0_10empty_typeEbEEZZNS1_14partition_implILS5_6ELb0ES3_mN6thrust23THRUST_200600_302600_NS6detail15normal_iteratorINSA_10device_ptrIiEEEEPS6_SG_NS0_5tupleIJNSA_16discard_iteratorINSA_11use_defaultEEES6_EEENSH_IJSG_SG_EEES6_PlJNSB_9not_fun_tINSB_14equal_to_valueIiEEEEEEE10hipError_tPvRmT3_T4_T5_T6_T7_T9_mT8_P12ihipStream_tbDpT10_ENKUlT_T0_E_clISt17integral_constantIbLb0EES1B_EEDaS16_S17_EUlS16_E_NS1_11comp_targetILNS1_3genE10ELNS1_11target_archE1200ELNS1_3gpuE4ELNS1_3repE0EEENS1_30default_config_static_selectorELNS0_4arch9wavefront6targetE0EEEvT1_ ; -- Begin function _ZN7rocprim17ROCPRIM_400000_NS6detail17trampoline_kernelINS0_14default_configENS1_25partition_config_selectorILNS1_17partition_subalgoE6EiNS0_10empty_typeEbEEZZNS1_14partition_implILS5_6ELb0ES3_mN6thrust23THRUST_200600_302600_NS6detail15normal_iteratorINSA_10device_ptrIiEEEEPS6_SG_NS0_5tupleIJNSA_16discard_iteratorINSA_11use_defaultEEES6_EEENSH_IJSG_SG_EEES6_PlJNSB_9not_fun_tINSB_14equal_to_valueIiEEEEEEE10hipError_tPvRmT3_T4_T5_T6_T7_T9_mT8_P12ihipStream_tbDpT10_ENKUlT_T0_E_clISt17integral_constantIbLb0EES1B_EEDaS16_S17_EUlS16_E_NS1_11comp_targetILNS1_3genE10ELNS1_11target_archE1200ELNS1_3gpuE4ELNS1_3repE0EEENS1_30default_config_static_selectorELNS0_4arch9wavefront6targetE0EEEvT1_
	.globl	_ZN7rocprim17ROCPRIM_400000_NS6detail17trampoline_kernelINS0_14default_configENS1_25partition_config_selectorILNS1_17partition_subalgoE6EiNS0_10empty_typeEbEEZZNS1_14partition_implILS5_6ELb0ES3_mN6thrust23THRUST_200600_302600_NS6detail15normal_iteratorINSA_10device_ptrIiEEEEPS6_SG_NS0_5tupleIJNSA_16discard_iteratorINSA_11use_defaultEEES6_EEENSH_IJSG_SG_EEES6_PlJNSB_9not_fun_tINSB_14equal_to_valueIiEEEEEEE10hipError_tPvRmT3_T4_T5_T6_T7_T9_mT8_P12ihipStream_tbDpT10_ENKUlT_T0_E_clISt17integral_constantIbLb0EES1B_EEDaS16_S17_EUlS16_E_NS1_11comp_targetILNS1_3genE10ELNS1_11target_archE1200ELNS1_3gpuE4ELNS1_3repE0EEENS1_30default_config_static_selectorELNS0_4arch9wavefront6targetE0EEEvT1_
	.p2align	8
	.type	_ZN7rocprim17ROCPRIM_400000_NS6detail17trampoline_kernelINS0_14default_configENS1_25partition_config_selectorILNS1_17partition_subalgoE6EiNS0_10empty_typeEbEEZZNS1_14partition_implILS5_6ELb0ES3_mN6thrust23THRUST_200600_302600_NS6detail15normal_iteratorINSA_10device_ptrIiEEEEPS6_SG_NS0_5tupleIJNSA_16discard_iteratorINSA_11use_defaultEEES6_EEENSH_IJSG_SG_EEES6_PlJNSB_9not_fun_tINSB_14equal_to_valueIiEEEEEEE10hipError_tPvRmT3_T4_T5_T6_T7_T9_mT8_P12ihipStream_tbDpT10_ENKUlT_T0_E_clISt17integral_constantIbLb0EES1B_EEDaS16_S17_EUlS16_E_NS1_11comp_targetILNS1_3genE10ELNS1_11target_archE1200ELNS1_3gpuE4ELNS1_3repE0EEENS1_30default_config_static_selectorELNS0_4arch9wavefront6targetE0EEEvT1_,@function
_ZN7rocprim17ROCPRIM_400000_NS6detail17trampoline_kernelINS0_14default_configENS1_25partition_config_selectorILNS1_17partition_subalgoE6EiNS0_10empty_typeEbEEZZNS1_14partition_implILS5_6ELb0ES3_mN6thrust23THRUST_200600_302600_NS6detail15normal_iteratorINSA_10device_ptrIiEEEEPS6_SG_NS0_5tupleIJNSA_16discard_iteratorINSA_11use_defaultEEES6_EEENSH_IJSG_SG_EEES6_PlJNSB_9not_fun_tINSB_14equal_to_valueIiEEEEEEE10hipError_tPvRmT3_T4_T5_T6_T7_T9_mT8_P12ihipStream_tbDpT10_ENKUlT_T0_E_clISt17integral_constantIbLb0EES1B_EEDaS16_S17_EUlS16_E_NS1_11comp_targetILNS1_3genE10ELNS1_11target_archE1200ELNS1_3gpuE4ELNS1_3repE0EEENS1_30default_config_static_selectorELNS0_4arch9wavefront6targetE0EEEvT1_: ; @_ZN7rocprim17ROCPRIM_400000_NS6detail17trampoline_kernelINS0_14default_configENS1_25partition_config_selectorILNS1_17partition_subalgoE6EiNS0_10empty_typeEbEEZZNS1_14partition_implILS5_6ELb0ES3_mN6thrust23THRUST_200600_302600_NS6detail15normal_iteratorINSA_10device_ptrIiEEEEPS6_SG_NS0_5tupleIJNSA_16discard_iteratorINSA_11use_defaultEEES6_EEENSH_IJSG_SG_EEES6_PlJNSB_9not_fun_tINSB_14equal_to_valueIiEEEEEEE10hipError_tPvRmT3_T4_T5_T6_T7_T9_mT8_P12ihipStream_tbDpT10_ENKUlT_T0_E_clISt17integral_constantIbLb0EES1B_EEDaS16_S17_EUlS16_E_NS1_11comp_targetILNS1_3genE10ELNS1_11target_archE1200ELNS1_3gpuE4ELNS1_3repE0EEENS1_30default_config_static_selectorELNS0_4arch9wavefront6targetE0EEEvT1_
; %bb.0:
	s_clause 0x3
	s_load_b128 s[4:7], s[0:1], 0x8
	s_load_b128 s[8:11], s[0:1], 0x48
	s_load_b32 s16, s[0:1], 0x70
	s_load_b64 s[2:3], s[0:1], 0x58
	s_mov_b32 s13, 0
	s_mul_i32 s18, ttmp9, 0xa80
	s_mov_b32 s19, s13
	v_lshlrev_b32_e32 v8, 2, v0
	s_wait_kmcnt 0x0
	s_lshl_b64 s[14:15], s[6:7], 2
	s_load_b64 s[10:11], s[10:11], 0x0
	s_mul_i32 s12, s16, 0xa80
	s_add_co_i32 s16, s16, -1
	s_add_co_i32 s17, s12, s6
	s_add_nc_u64 s[20:21], s[4:5], s[14:15]
	s_add_nc_u64 s[4:5], s[6:7], s[12:13]
	s_sub_co_i32 s15, s2, s17
	s_cmp_eq_u32 ttmp9, s16
	v_cmp_gt_u64_e64 s2, s[2:3], s[4:5]
	s_cselect_b32 s12, -1, 0
	s_cmp_lg_u32 ttmp9, s16
	s_mov_b32 s4, -1
	s_cselect_b32 s3, -1, 0
	s_wait_alu 0xfffe
	s_or_b32 s16, s3, s2
	s_lshl_b64 s[2:3], s[18:19], 2
	s_and_b32 vcc_lo, exec_lo, s16
	s_wait_alu 0xfffe
	s_add_nc_u64 s[2:3], s[20:21], s[2:3]
	s_cbranch_vccz .LBB1762_2
; %bb.1:
	s_wait_alu 0xfffe
	v_add_co_u32 v1, s4, s2, v8
	s_wait_alu 0xf1ff
	v_add_co_ci_u32_e64 v2, null, s3, 0, s4
	s_mov_b32 s4, 0
	s_clause 0x6
	flat_load_b32 v3, v[1:2]
	flat_load_b32 v4, v[1:2] offset:1536
	flat_load_b32 v5, v[1:2] offset:3072
	flat_load_b32 v6, v[1:2] offset:4608
	flat_load_b32 v7, v[1:2] offset:6144
	flat_load_b32 v9, v[1:2] offset:7680
	flat_load_b32 v1, v[1:2] offset:9216
	s_wait_loadcnt_dscnt 0x505
	ds_store_2addr_stride64_b32 v8, v3, v4 offset1:6
	s_wait_loadcnt_dscnt 0x304
	ds_store_2addr_stride64_b32 v8, v5, v6 offset0:12 offset1:18
	s_wait_loadcnt_dscnt 0x103
	ds_store_2addr_stride64_b32 v8, v7, v9 offset0:24 offset1:30
	s_wait_loadcnt_dscnt 0x3
	ds_store_b32 v8, v1 offset:9216
	s_wait_dscnt 0x0
	s_barrier_signal -1
	s_barrier_wait -1
.LBB1762_2:
	s_load_b32 s14, s[0:1], 0x78
	s_and_not1_b32 vcc_lo, exec_lo, s4
	s_addk_co_i32 s15, 0xa80
	s_cbranch_vccnz .LBB1762_18
; %bb.3:
	v_mov_b32_e32 v1, 0
	s_mov_b32 s4, exec_lo
	s_delay_alu instid0(VALU_DEP_1)
	v_dual_mov_b32 v2, v1 :: v_dual_mov_b32 v3, v1
	v_dual_mov_b32 v4, v1 :: v_dual_mov_b32 v5, v1
	;; [unrolled: 1-line block ×3, first 2 shown]
	v_cmpx_gt_u32_e64 s15, v0
	s_cbranch_execz .LBB1762_5
; %bb.4:
	v_add_co_u32 v2, s5, s2, v8
	s_wait_alu 0xf1ff
	v_add_co_ci_u32_e64 v3, null, s3, 0, s5
	v_dual_mov_b32 v10, v1 :: v_dual_mov_b32 v11, v1
	v_dual_mov_b32 v12, v1 :: v_dual_mov_b32 v13, v1
	flat_load_b32 v9, v[2:3]
	v_dual_mov_b32 v14, v1 :: v_dual_mov_b32 v15, v1
	s_wait_loadcnt_dscnt 0x0
	v_dual_mov_b32 v1, v9 :: v_dual_mov_b32 v2, v10
	v_dual_mov_b32 v3, v11 :: v_dual_mov_b32 v4, v12
	s_delay_alu instid0(VALU_DEP_3)
	v_dual_mov_b32 v5, v13 :: v_dual_mov_b32 v6, v14
	v_mov_b32_e32 v7, v15
.LBB1762_5:
	s_wait_alu 0xfffe
	s_or_b32 exec_lo, exec_lo, s4
	v_add_nc_u32_e32 v9, 0x180, v0
	s_mov_b32 s4, exec_lo
	s_delay_alu instid0(VALU_DEP_1)
	v_cmpx_gt_u32_e64 s15, v9
	s_cbranch_execz .LBB1762_7
; %bb.6:
	v_add_co_u32 v9, s5, s2, v8
	s_wait_alu 0xf1ff
	v_add_co_ci_u32_e64 v10, null, s3, 0, s5
	flat_load_b32 v2, v[9:10] offset:1536
.LBB1762_7:
	s_wait_alu 0xfffe
	s_or_b32 exec_lo, exec_lo, s4
	v_add_nc_u32_e32 v9, 0x300, v0
	s_mov_b32 s4, exec_lo
	s_delay_alu instid0(VALU_DEP_1)
	v_cmpx_gt_u32_e64 s15, v9
	s_cbranch_execz .LBB1762_9
; %bb.8:
	v_add_co_u32 v9, s5, s2, v8
	s_wait_alu 0xf1ff
	v_add_co_ci_u32_e64 v10, null, s3, 0, s5
	flat_load_b32 v3, v[9:10] offset:3072
.LBB1762_9:
	;; [unrolled: 13-line block ×3, first 2 shown]
	s_wait_alu 0xfffe
	s_or_b32 exec_lo, exec_lo, s4
	v_or_b32_e32 v9, 0x600, v0
	s_mov_b32 s4, exec_lo
	s_delay_alu instid0(VALU_DEP_1)
	v_cmpx_gt_u32_e64 s15, v9
	s_cbranch_execz .LBB1762_13
; %bb.12:
	v_add_co_u32 v9, s5, s2, v8
	s_wait_alu 0xf1ff
	v_add_co_ci_u32_e64 v10, null, s3, 0, s5
	flat_load_b32 v5, v[9:10] offset:6144
.LBB1762_13:
	s_wait_alu 0xfffe
	s_or_b32 exec_lo, exec_lo, s4
	v_add_nc_u32_e32 v9, 0x780, v0
	s_mov_b32 s4, exec_lo
	s_delay_alu instid0(VALU_DEP_1)
	v_cmpx_gt_u32_e64 s15, v9
	s_cbranch_execz .LBB1762_15
; %bb.14:
	v_add_co_u32 v9, s5, s2, v8
	s_wait_alu 0xf1ff
	v_add_co_ci_u32_e64 v10, null, s3, 0, s5
	flat_load_b32 v6, v[9:10] offset:7680
.LBB1762_15:
	s_wait_alu 0xfffe
	s_or_b32 exec_lo, exec_lo, s4
	v_add_nc_u32_e32 v9, 0x900, v0
	s_mov_b32 s4, exec_lo
	s_delay_alu instid0(VALU_DEP_1)
	v_cmpx_gt_u32_e64 s15, v9
	s_cbranch_execz .LBB1762_17
; %bb.16:
	v_add_co_u32 v9, s2, s2, v8
	s_wait_alu 0xf1ff
	v_add_co_ci_u32_e64 v10, null, s3, 0, s2
	flat_load_b32 v7, v[9:10] offset:9216
.LBB1762_17:
	s_wait_alu 0xfffe
	s_or_b32 exec_lo, exec_lo, s4
	s_wait_loadcnt_dscnt 0x0
	ds_store_2addr_stride64_b32 v8, v1, v2 offset1:6
	ds_store_2addr_stride64_b32 v8, v3, v4 offset0:12 offset1:18
	ds_store_2addr_stride64_b32 v8, v5, v6 offset0:24 offset1:30
	ds_store_b32 v8, v7 offset:9216
	s_wait_dscnt 0x0
	s_barrier_signal -1
	s_barrier_wait -1
.LBB1762_18:
	v_mul_u32_u24_e32 v1, 7, v0
	global_inv scope:SCOPE_SE
	s_and_not1_b32 vcc_lo, exec_lo, s16
	v_lshlrev_b32_e32 v27, 2, v1
	ds_load_2addr_b32 v[9:10], v27 offset0:4 offset1:5
	ds_load_b32 v23, v27 offset:24
	ds_load_2addr_b32 v[13:14], v27 offset1:1
	ds_load_2addr_b32 v[11:12], v27 offset0:2 offset1:3
	s_wait_loadcnt_dscnt 0x0
	s_barrier_signal -1
	s_barrier_wait -1
	global_inv scope:SCOPE_SE
	s_wait_kmcnt 0x0
	v_cmp_ne_u32_e64 s2, s14, v9
	v_cmp_ne_u32_e64 s13, s14, v23
	;; [unrolled: 1-line block ×7, first 2 shown]
	s_cbranch_vccnz .LBB1762_20
; %bb.19:
	v_cndmask_b32_e64 v2, 0, 1, s6
	v_cndmask_b32_e64 v3, 0, 1, s7
	s_wait_alu 0xf1ff
	v_cndmask_b32_e64 v4, 0, 1, s4
	v_cndmask_b32_e64 v5, 0, 1, s5
	;; [unrolled: 1-line block ×3, first 2 shown]
	v_lshlrev_b16 v2, 8, v2
	v_lshlrev_b16 v3, 8, v3
	v_cndmask_b32_e64 v24, 0, 1, s3
	s_delay_alu instid0(VALU_DEP_3) | instskip(NEXT) | instid1(VALU_DEP_3)
	v_or_b32_e32 v2, v4, v2
	v_or_b32_e32 v3, v5, v3
	s_delay_alu instid0(VALU_DEP_2) | instskip(NEXT) | instid1(VALU_DEP_2)
	v_and_b32_e32 v2, 0xffff, v2
	v_lshlrev_b32_e32 v3, 16, v3
	s_delay_alu instid0(VALU_DEP_1)
	v_or_b32_e32 v26, v2, v3
	s_cbranch_execz .LBB1762_21
	s_branch .LBB1762_22
.LBB1762_20:
                                        ; implicit-def: $sgpr13
                                        ; implicit-def: $vgpr24
                                        ; implicit-def: $vgpr25
                                        ; implicit-def: $vgpr26
.LBB1762_21:
	v_add_nc_u32_e32 v2, 1, v1
	v_cmp_ne_u32_e32 vcc_lo, s14, v14
	v_add_nc_u32_e32 v3, 3, v1
	v_cmp_ne_u32_e64 s2, s14, v13
	v_cmp_ne_u32_e64 s4, s14, v12
	v_cmp_gt_u32_e64 s3, s15, v2
	v_add_nc_u32_e32 v2, 2, v1
	v_cmp_gt_u32_e64 s6, s15, v3
	v_cmp_ne_u32_e64 s5, s14, v11
	v_add_nc_u32_e32 v5, 5, v1
	s_and_b32 s3, s3, vcc_lo
	v_cmp_gt_u32_e32 vcc_lo, s15, v1
	s_wait_alu 0xfffe
	v_cndmask_b32_e64 v3, 0, 1, s3
	v_cmp_gt_u32_e64 s3, s15, v2
	s_and_b32 s4, s6, s4
	s_and_b32 s2, vcc_lo, s2
	v_lshlrev_b16 v3, 8, v3
	s_wait_alu 0xfffe
	v_cndmask_b32_e64 v4, 0, 1, s2
	v_cndmask_b32_e64 v2, 0, 1, s4
	s_and_b32 s2, s3, s5
	v_cmp_ne_u32_e32 vcc_lo, s14, v10
	s_wait_alu 0xfffe
	v_cndmask_b32_e64 v6, 0, 1, s2
	v_cmp_gt_u32_e64 s2, s15, v5
	v_or_b32_e32 v3, v4, v3
	v_add_nc_u32_e32 v4, 4, v1
	v_lshlrev_b16 v2, 8, v2
	v_cmp_ne_u32_e64 s3, s14, v9
	s_and_b32 s2, s2, vcc_lo
	v_add_nc_u32_e32 v1, 6, v1
	v_cmp_gt_u32_e32 vcc_lo, s15, v4
	v_or_b32_e32 v2, v6, v2
	s_wait_alu 0xfffe
	v_cndmask_b32_e64 v24, 0, 1, s2
	v_and_b32_e32 v3, 0xffff, v3
	s_and_b32 s2, vcc_lo, s3
	v_cmp_gt_u32_e32 vcc_lo, s15, v1
	s_wait_alu 0xfffe
	v_cndmask_b32_e64 v5, 0, 1, s2
	v_cmp_ne_u32_e64 s2, s14, v23
	v_lshlrev_b32_e32 v2, 16, v2
	v_lshlrev_b16 v4, 8, v24
	s_and_not1_b32 s3, s13, exec_lo
	s_and_b32 s2, vcc_lo, s2
	s_delay_alu instid0(VALU_DEP_2) | instskip(NEXT) | instid1(VALU_DEP_2)
	v_or_b32_e32 v26, v3, v2
	v_or_b32_e32 v25, v5, v4
	s_wait_alu 0xfffe
	s_and_b32 s2, s2, exec_lo
	s_wait_alu 0xfffe
	s_or_b32 s13, s3, s2
.LBB1762_22:
	s_delay_alu instid0(VALU_DEP_1)
	v_dual_mov_b32 v2, 0 :: v_dual_and_b32 v31, 0xff, v26
	v_bfe_u32 v30, v26, 8, 8
	v_cndmask_b32_e64 v1, 0, 1, s13
	v_bfe_u32 v33, v26, 16, 8
	s_load_b64 s[4:5], s[0:1], 0x68
	v_lshrrev_b32_e32 v28, 24, v26
	v_and_b32_e32 v32, 0xff, v25
	v_add3_u32 v1, v31, v1, v30
	v_mbcnt_lo_u32_b32 v34, -1, 0
	v_and_b32_e32 v29, 0xff, v24
	s_cmp_lg_u32 ttmp9, 0
	s_mov_b32 s1, -1
	v_add_co_u32 v1, s0, v1, v33
	s_delay_alu instid0(VALU_DEP_1) | instskip(SKIP_1) | instid1(VALU_DEP_3)
	v_add_co_ci_u32_e64 v3, null, 0, 0, s0
	v_and_b32_e32 v35, 15, v34
	v_add_co_u32 v1, vcc_lo, v1, v28
	s_delay_alu instid0(VALU_DEP_1) | instskip(NEXT) | instid1(VALU_DEP_3)
	v_add_co_ci_u32_e64 v3, null, 0, v3, vcc_lo
	v_cmp_ne_u32_e64 s0, 0, v35
	s_delay_alu instid0(VALU_DEP_3) | instskip(SKIP_1) | instid1(VALU_DEP_3)
	v_add_co_u32 v1, vcc_lo, v1, v32
	s_wait_alu 0xfffd
	v_add_co_ci_u32_e64 v3, null, 0, v3, vcc_lo
	s_delay_alu instid0(VALU_DEP_2) | instskip(SKIP_1) | instid1(VALU_DEP_2)
	v_add_co_u32 v15, vcc_lo, v1, v29
	s_wait_alu 0xfffd
	v_add_co_ci_u32_e64 v16, null, 0, v3, vcc_lo
	s_cbranch_scc0 .LBB1762_81
; %bb.23:
	v_mov_b32_e32 v3, v15
	v_mov_b32_dpp v1, v15 row_shr:1 row_mask:0xf bank_mask:0xf
	v_mov_b32_dpp v6, v2 row_shr:1 row_mask:0xf bank_mask:0xf
	v_dual_mov_b32 v5, v15 :: v_dual_mov_b32 v4, v16
	s_and_saveexec_b32 s1, s0
; %bb.24:
	s_delay_alu instid0(VALU_DEP_3) | instskip(SKIP_2) | instid1(VALU_DEP_2)
	v_add_co_u32 v5, vcc_lo, v15, v1
	s_wait_alu 0xfffd
	v_add_co_ci_u32_e64 v2, null, 0, v16, vcc_lo
	v_add_co_u32 v1, vcc_lo, 0, v5
	s_wait_alu 0xfffd
	s_delay_alu instid0(VALU_DEP_2) | instskip(NEXT) | instid1(VALU_DEP_1)
	v_add_co_ci_u32_e64 v2, null, v6, v2, vcc_lo
	v_dual_mov_b32 v4, v2 :: v_dual_mov_b32 v3, v1
; %bb.25:
	s_wait_alu 0xfffe
	s_or_b32 exec_lo, exec_lo, s1
	v_mov_b32_dpp v1, v5 row_shr:2 row_mask:0xf bank_mask:0xf
	v_mov_b32_dpp v6, v2 row_shr:2 row_mask:0xf bank_mask:0xf
	v_cmp_lt_u32_e32 vcc_lo, 1, v35
	s_and_saveexec_b32 s2, vcc_lo
; %bb.26:
	s_delay_alu instid0(VALU_DEP_3) | instskip(SKIP_2) | instid1(VALU_DEP_2)
	v_add_co_u32 v5, s1, v3, v1
	s_wait_alu 0xf1ff
	v_add_co_ci_u32_e64 v2, null, 0, v4, s1
	v_add_co_u32 v1, s1, 0, v5
	s_wait_alu 0xf1ff
	s_delay_alu instid0(VALU_DEP_2) | instskip(NEXT) | instid1(VALU_DEP_1)
	v_add_co_ci_u32_e64 v2, null, v6, v2, s1
	v_dual_mov_b32 v4, v2 :: v_dual_mov_b32 v3, v1
; %bb.27:
	s_wait_alu 0xfffe
	s_or_b32 exec_lo, exec_lo, s2
	v_mov_b32_dpp v1, v5 row_shr:4 row_mask:0xf bank_mask:0xf
	v_mov_b32_dpp v6, v2 row_shr:4 row_mask:0xf bank_mask:0xf
	v_cmp_lt_u32_e64 s1, 3, v35
	s_and_saveexec_b32 s3, s1
; %bb.28:
	v_add_co_u32 v5, s2, v3, v1
	s_wait_alu 0xf1ff
	v_add_co_ci_u32_e64 v2, null, 0, v4, s2
	s_delay_alu instid0(VALU_DEP_2) | instskip(SKIP_1) | instid1(VALU_DEP_2)
	v_add_co_u32 v1, s2, 0, v5
	s_wait_alu 0xf1ff
	v_add_co_ci_u32_e64 v2, null, v6, v2, s2
	s_delay_alu instid0(VALU_DEP_1)
	v_dual_mov_b32 v4, v2 :: v_dual_mov_b32 v3, v1
; %bb.29:
	s_wait_alu 0xfffe
	s_or_b32 exec_lo, exec_lo, s3
	v_mov_b32_dpp v6, v5 row_shr:8 row_mask:0xf bank_mask:0xf
	v_mov_b32_dpp v1, v2 row_shr:8 row_mask:0xf bank_mask:0xf
	v_cmp_lt_u32_e64 s2, 7, v35
	s_and_saveexec_b32 s6, s2
; %bb.30:
	v_add_co_u32 v5, s3, v3, v6
	s_wait_alu 0xf1ff
	v_add_co_ci_u32_e64 v2, null, 0, v4, s3
	s_delay_alu instid0(VALU_DEP_2) | instskip(SKIP_1) | instid1(VALU_DEP_2)
	v_add_co_u32 v3, s3, 0, v5
	s_wait_alu 0xf1ff
	v_add_co_ci_u32_e64 v4, null, v1, v2, s3
	s_delay_alu instid0(VALU_DEP_1)
	v_mov_b32_e32 v2, v4
; %bb.31:
	s_wait_alu 0xfffe
	s_or_b32 exec_lo, exec_lo, s6
	ds_swizzle_b32 v6, v5 offset:swizzle(BROADCAST,32,15)
	ds_swizzle_b32 v1, v2 offset:swizzle(BROADCAST,32,15)
	v_and_b32_e32 v2, 16, v34
	s_mov_b32 s6, exec_lo
	s_delay_alu instid0(VALU_DEP_1)
	v_cmpx_ne_u32_e32 0, v2
	s_cbranch_execz .LBB1762_33
; %bb.32:
	s_wait_dscnt 0x1
	v_add_co_u32 v5, s3, v3, v6
	s_wait_alu 0xf1ff
	v_add_co_ci_u32_e64 v2, null, 0, v4, s3
	s_delay_alu instid0(VALU_DEP_2) | instskip(SKIP_2) | instid1(VALU_DEP_2)
	v_add_co_u32 v3, s3, 0, v5
	s_wait_dscnt 0x0
	s_wait_alu 0xf1ff
	v_add_co_ci_u32_e64 v4, null, v1, v2, s3
.LBB1762_33:
	s_wait_alu 0xfffe
	s_or_b32 exec_lo, exec_lo, s6
	s_wait_dscnt 0x0
	v_and_b32_e32 v1, 0x1e0, v0
	v_lshrrev_b32_e32 v6, 5, v0
	s_mov_b32 s6, exec_lo
	s_delay_alu instid0(VALU_DEP_2) | instskip(NEXT) | instid1(VALU_DEP_1)
	v_min_u32_e32 v1, 0x160, v1
	v_or_b32_e32 v1, 31, v1
	s_delay_alu instid0(VALU_DEP_1)
	v_cmpx_eq_u32_e64 v0, v1
; %bb.34:
	v_lshlrev_b32_e32 v1, 3, v6
	ds_store_b64 v1, v[3:4]
; %bb.35:
	s_wait_alu 0xfffe
	s_or_b32 exec_lo, exec_lo, s6
	s_delay_alu instid0(SALU_CYCLE_1)
	s_mov_b32 s6, exec_lo
	s_wait_loadcnt_dscnt 0x0
	s_barrier_signal -1
	s_barrier_wait -1
	global_inv scope:SCOPE_SE
	v_cmpx_gt_u32_e32 12, v0
	s_cbranch_execz .LBB1762_45
; %bb.36:
	v_lshlrev_b32_e32 v3, 3, v0
	ds_load_b64 v[1:2], v3
	s_wait_dscnt 0x0
	v_mov_b32_dpp v8, v1 row_shr:1 row_mask:0xf bank_mask:0xf
	v_mov_b32_dpp v7, v2 row_shr:1 row_mask:0xf bank_mask:0xf
	v_mov_b32_e32 v4, v1
	s_and_saveexec_b32 s7, s0
; %bb.37:
	s_delay_alu instid0(VALU_DEP_3) | instskip(SKIP_2) | instid1(VALU_DEP_2)
	v_add_co_u32 v4, s3, v1, v8
	s_wait_alu 0xf1ff
	v_add_co_ci_u32_e64 v2, null, 0, v2, s3
	v_add_co_u32 v1, s3, 0, v4
	s_wait_alu 0xf1ff
	s_delay_alu instid0(VALU_DEP_2)
	v_add_co_ci_u32_e64 v2, null, v7, v2, s3
; %bb.38:
	s_wait_alu 0xfffe
	s_or_b32 exec_lo, exec_lo, s7
	v_mov_b32_dpp v8, v4 row_shr:2 row_mask:0xf bank_mask:0xf
	s_delay_alu instid0(VALU_DEP_2)
	v_mov_b32_dpp v7, v2 row_shr:2 row_mask:0xf bank_mask:0xf
	s_and_saveexec_b32 s3, vcc_lo
; %bb.39:
	s_delay_alu instid0(VALU_DEP_2) | instskip(SKIP_2) | instid1(VALU_DEP_2)
	v_add_co_u32 v4, vcc_lo, v1, v8
	s_wait_alu 0xfffd
	v_add_co_ci_u32_e64 v2, null, 0, v2, vcc_lo
	v_add_co_u32 v1, vcc_lo, 0, v4
	s_wait_alu 0xfffd
	s_delay_alu instid0(VALU_DEP_2)
	v_add_co_ci_u32_e64 v2, null, v7, v2, vcc_lo
; %bb.40:
	s_wait_alu 0xfffe
	s_or_b32 exec_lo, exec_lo, s3
	v_mov_b32_dpp v8, v4 row_shr:4 row_mask:0xf bank_mask:0xf
	s_delay_alu instid0(VALU_DEP_2)
	v_mov_b32_dpp v7, v2 row_shr:4 row_mask:0xf bank_mask:0xf
	s_and_saveexec_b32 s3, s1
; %bb.41:
	s_delay_alu instid0(VALU_DEP_2) | instskip(SKIP_2) | instid1(VALU_DEP_2)
	v_add_co_u32 v4, vcc_lo, v1, v8
	s_wait_alu 0xfffd
	v_add_co_ci_u32_e64 v2, null, 0, v2, vcc_lo
	v_add_co_u32 v1, vcc_lo, 0, v4
	s_wait_alu 0xfffd
	s_delay_alu instid0(VALU_DEP_2)
	v_add_co_ci_u32_e64 v2, null, v7, v2, vcc_lo
; %bb.42:
	s_wait_alu 0xfffe
	s_or_b32 exec_lo, exec_lo, s3
	v_mov_b32_dpp v7, v4 row_shr:8 row_mask:0xf bank_mask:0xf
	s_delay_alu instid0(VALU_DEP_2)
	v_mov_b32_dpp v4, v2 row_shr:8 row_mask:0xf bank_mask:0xf
	s_and_saveexec_b32 s1, s2
; %bb.43:
	s_delay_alu instid0(VALU_DEP_2) | instskip(SKIP_2) | instid1(VALU_DEP_2)
	v_add_co_u32 v1, vcc_lo, v1, v7
	s_wait_alu 0xfffd
	v_add_co_ci_u32_e64 v2, null, 0, v2, vcc_lo
	v_add_co_u32 v1, vcc_lo, v1, 0
	s_wait_alu 0xfffd
	s_delay_alu instid0(VALU_DEP_2)
	v_add_co_ci_u32_e64 v2, null, v2, v4, vcc_lo
; %bb.44:
	s_wait_alu 0xfffe
	s_or_b32 exec_lo, exec_lo, s1
	ds_store_b64 v3, v[1:2]
.LBB1762_45:
	s_wait_alu 0xfffe
	s_or_b32 exec_lo, exec_lo, s6
	s_delay_alu instid0(SALU_CYCLE_1)
	s_mov_b32 s2, exec_lo
	v_cmp_gt_u32_e32 vcc_lo, 32, v0
	s_wait_loadcnt_dscnt 0x0
	s_barrier_signal -1
	s_barrier_wait -1
	global_inv scope:SCOPE_SE
                                        ; implicit-def: $vgpr17_vgpr18
	v_cmpx_lt_u32_e32 31, v0
	s_cbranch_execz .LBB1762_47
; %bb.46:
	v_lshl_add_u32 v1, v6, 3, -8
	ds_load_b64 v[17:18], v1
	s_wait_dscnt 0x0
	v_add_nc_u32_e32 v5, v5, v17
.LBB1762_47:
	s_wait_alu 0xfffe
	s_or_b32 exec_lo, exec_lo, s2
	v_sub_co_u32 v1, s1, v34, 1
	s_delay_alu instid0(VALU_DEP_1) | instskip(SKIP_1) | instid1(VALU_DEP_1)
	v_cmp_gt_i32_e64 s2, 0, v1
	s_wait_alu 0xf1ff
	v_cndmask_b32_e64 v1, v1, v34, s2
	s_delay_alu instid0(VALU_DEP_1)
	v_lshlrev_b32_e32 v1, 2, v1
	ds_bpermute_b32 v36, v1, v5
	s_and_saveexec_b32 s2, vcc_lo
	s_cbranch_execz .LBB1762_86
; %bb.48:
	v_mov_b32_e32 v4, 0
	ds_load_b64 v[1:2], v4 offset:88
	s_and_saveexec_b32 s3, s1
	s_cbranch_execz .LBB1762_50
; %bb.49:
	s_add_co_i32 s6, ttmp9, 32
	s_mov_b32 s7, 0
	s_wait_alu 0xfffe
	s_lshl_b64 s[6:7], s[6:7], 4
	s_wait_kmcnt 0x0
	s_wait_alu 0xfffe
	s_add_nc_u64 s[6:7], s[4:5], s[6:7]
	v_mov_b32_e32 v3, 1
	s_wait_alu 0xfffe
	v_dual_mov_b32 v5, s6 :: v_dual_mov_b32 v6, s7
	s_wait_dscnt 0x0
	;;#ASMSTART
	global_store_b128 v[5:6], v[1:4] off scope:SCOPE_DEV	
s_wait_storecnt 0x0
	;;#ASMEND
.LBB1762_50:
	s_wait_alu 0xfffe
	s_or_b32 exec_lo, exec_lo, s3
	v_xad_u32 v19, v34, -1, ttmp9
	s_mov_b32 s6, 0
	s_mov_b32 s3, exec_lo
	s_delay_alu instid0(VALU_DEP_1) | instskip(NEXT) | instid1(VALU_DEP_1)
	v_add_nc_u32_e32 v3, 32, v19
	v_lshlrev_b64_e32 v[3:4], 4, v[3:4]
	s_wait_kmcnt 0x0
	s_delay_alu instid0(VALU_DEP_1) | instskip(SKIP_1) | instid1(VALU_DEP_2)
	v_add_co_u32 v3, vcc_lo, s4, v3
	s_wait_alu 0xfffd
	v_add_co_ci_u32_e64 v4, null, s5, v4, vcc_lo
	;;#ASMSTART
	global_load_b128 v[5:8], v[3:4] off scope:SCOPE_DEV	
s_wait_loadcnt 0x0
	;;#ASMEND
	v_and_b32_e32 v8, 0xff, v7
	s_delay_alu instid0(VALU_DEP_1)
	v_cmpx_eq_u16_e32 0, v8
	s_cbranch_execz .LBB1762_53
.LBB1762_51:                            ; =>This Inner Loop Header: Depth=1
	;;#ASMSTART
	global_load_b128 v[5:8], v[3:4] off scope:SCOPE_DEV	
s_wait_loadcnt 0x0
	;;#ASMEND
	v_and_b32_e32 v8, 0xff, v7
	s_delay_alu instid0(VALU_DEP_1)
	v_cmp_ne_u16_e32 vcc_lo, 0, v8
	s_wait_alu 0xfffe
	s_or_b32 s6, vcc_lo, s6
	s_wait_alu 0xfffe
	s_and_not1_b32 exec_lo, exec_lo, s6
	s_cbranch_execnz .LBB1762_51
; %bb.52:
	s_or_b32 exec_lo, exec_lo, s6
.LBB1762_53:
	s_wait_alu 0xfffe
	s_or_b32 exec_lo, exec_lo, s3
	v_cmp_ne_u32_e32 vcc_lo, 31, v34
	v_and_b32_e32 v4, 0xff, v7
	v_lshlrev_b32_e64 v38, v34, -1
	s_mov_b32 s3, exec_lo
	s_wait_alu 0xfffd
	v_add_co_ci_u32_e64 v3, null, 0, v34, vcc_lo
	v_cmp_eq_u16_e32 vcc_lo, 2, v4
	s_delay_alu instid0(VALU_DEP_2)
	v_dual_mov_b32 v4, v5 :: v_dual_lshlrev_b32 v37, 2, v3
	s_wait_alu 0xfffd
	v_and_or_b32 v3, vcc_lo, v38, 0x80000000
	ds_bpermute_b32 v20, v37, v5
	ds_bpermute_b32 v8, v37, v6
	v_ctz_i32_b32_e32 v3, v3
	s_delay_alu instid0(VALU_DEP_1)
	v_cmpx_lt_u32_e64 v34, v3
	s_cbranch_execz .LBB1762_55
; %bb.54:
	s_wait_dscnt 0x1
	v_add_co_u32 v4, vcc_lo, v5, v20
	s_wait_alu 0xfffd
	v_add_co_ci_u32_e64 v6, null, 0, v6, vcc_lo
	s_delay_alu instid0(VALU_DEP_2) | instskip(SKIP_2) | instid1(VALU_DEP_2)
	v_add_co_u32 v5, vcc_lo, 0, v4
	s_wait_dscnt 0x0
	s_wait_alu 0xfffd
	v_add_co_ci_u32_e64 v6, null, v8, v6, vcc_lo
.LBB1762_55:
	s_wait_alu 0xfffe
	s_or_b32 exec_lo, exec_lo, s3
	v_cmp_gt_u32_e32 vcc_lo, 30, v34
	v_add_nc_u32_e32 v40, 2, v34
	s_mov_b32 s3, exec_lo
	s_wait_dscnt 0x0
	s_wait_alu 0xfffd
	v_cndmask_b32_e64 v8, 0, 2, vcc_lo
	s_delay_alu instid0(VALU_DEP_1)
	v_add_lshl_u32 v39, v8, v34, 2
	ds_bpermute_b32 v20, v39, v4
	ds_bpermute_b32 v8, v39, v6
	v_cmpx_le_u32_e64 v40, v3
	s_cbranch_execz .LBB1762_57
; %bb.56:
	s_wait_dscnt 0x1
	v_add_co_u32 v4, vcc_lo, v5, v20
	s_wait_alu 0xfffd
	v_add_co_ci_u32_e64 v6, null, 0, v6, vcc_lo
	s_delay_alu instid0(VALU_DEP_2) | instskip(SKIP_2) | instid1(VALU_DEP_2)
	v_add_co_u32 v5, vcc_lo, 0, v4
	s_wait_dscnt 0x0
	s_wait_alu 0xfffd
	v_add_co_ci_u32_e64 v6, null, v8, v6, vcc_lo
.LBB1762_57:
	s_wait_alu 0xfffe
	s_or_b32 exec_lo, exec_lo, s3
	v_cmp_gt_u32_e32 vcc_lo, 28, v34
	v_add_nc_u32_e32 v42, 4, v34
	s_mov_b32 s3, exec_lo
	s_wait_dscnt 0x0
	s_wait_alu 0xfffd
	v_cndmask_b32_e64 v8, 0, 4, vcc_lo
	s_delay_alu instid0(VALU_DEP_1)
	v_add_lshl_u32 v41, v8, v34, 2
	ds_bpermute_b32 v20, v41, v4
	ds_bpermute_b32 v8, v41, v6
	v_cmpx_le_u32_e64 v42, v3
	;; [unrolled: 25-line block ×3, first 2 shown]
	s_cbranch_execz .LBB1762_61
; %bb.60:
	s_wait_dscnt 0x1
	v_add_co_u32 v4, vcc_lo, v5, v20
	s_wait_alu 0xfffd
	v_add_co_ci_u32_e64 v6, null, 0, v6, vcc_lo
	s_delay_alu instid0(VALU_DEP_2) | instskip(SKIP_2) | instid1(VALU_DEP_2)
	v_add_co_u32 v5, vcc_lo, 0, v4
	s_wait_dscnt 0x0
	s_wait_alu 0xfffd
	v_add_co_ci_u32_e64 v6, null, v8, v6, vcc_lo
.LBB1762_61:
	s_wait_alu 0xfffe
	s_or_b32 exec_lo, exec_lo, s3
	v_lshl_or_b32 v45, v34, 2, 64
	v_add_nc_u32_e32 v46, 16, v34
	s_mov_b32 s3, exec_lo
	s_wait_dscnt 0x0
	ds_bpermute_b32 v8, v45, v4
	ds_bpermute_b32 v4, v45, v6
	v_cmpx_le_u32_e64 v46, v3
	s_cbranch_execz .LBB1762_63
; %bb.62:
	s_wait_dscnt 0x1
	v_add_co_u32 v3, vcc_lo, v5, v8
	s_wait_alu 0xfffd
	v_add_co_ci_u32_e64 v6, null, 0, v6, vcc_lo
	s_delay_alu instid0(VALU_DEP_2) | instskip(SKIP_2) | instid1(VALU_DEP_2)
	v_add_co_u32 v5, vcc_lo, v3, 0
	s_wait_dscnt 0x0
	s_wait_alu 0xfffd
	v_add_co_ci_u32_e64 v6, null, v6, v4, vcc_lo
.LBB1762_63:
	s_wait_alu 0xfffe
	s_or_b32 exec_lo, exec_lo, s3
	v_mov_b32_e32 v20, 0
	s_branch .LBB1762_66
.LBB1762_64:                            ;   in Loop: Header=BB1762_66 Depth=1
	s_wait_alu 0xfffe
	s_or_b32 exec_lo, exec_lo, s3
	v_add_co_u32 v5, vcc_lo, v5, v3
	v_subrev_nc_u32_e32 v19, 32, v19
	s_wait_alu 0xfffd
	v_add_co_ci_u32_e64 v6, null, v6, v4, vcc_lo
	s_mov_b32 s3, 0
.LBB1762_65:                            ;   in Loop: Header=BB1762_66 Depth=1
	s_wait_alu 0xfffe
	s_and_b32 vcc_lo, exec_lo, s3
	s_wait_alu 0xfffe
	s_cbranch_vccnz .LBB1762_82
.LBB1762_66:                            ; =>This Loop Header: Depth=1
                                        ;     Child Loop BB1762_69 Depth 2
	v_and_b32_e32 v3, 0xff, v7
	s_mov_b32 s3, -1
	s_delay_alu instid0(VALU_DEP_1)
	v_cmp_ne_u16_e32 vcc_lo, 2, v3
	s_wait_dscnt 0x0
	v_dual_mov_b32 v3, v5 :: v_dual_mov_b32 v4, v6
                                        ; implicit-def: $vgpr5_vgpr6
	s_cmp_lg_u32 vcc_lo, exec_lo
	s_cbranch_scc1 .LBB1762_65
; %bb.67:                               ;   in Loop: Header=BB1762_66 Depth=1
	v_lshlrev_b64_e32 v[5:6], 4, v[19:20]
	s_mov_b32 s3, exec_lo
	s_delay_alu instid0(VALU_DEP_1) | instskip(SKIP_1) | instid1(VALU_DEP_2)
	v_add_co_u32 v21, vcc_lo, s4, v5
	s_wait_alu 0xfffd
	v_add_co_ci_u32_e64 v22, null, s5, v6, vcc_lo
	;;#ASMSTART
	global_load_b128 v[5:8], v[21:22] off scope:SCOPE_DEV	
s_wait_loadcnt 0x0
	;;#ASMEND
	v_and_b32_e32 v8, 0xff, v7
	s_delay_alu instid0(VALU_DEP_1)
	v_cmpx_eq_u16_e32 0, v8
	s_cbranch_execz .LBB1762_71
; %bb.68:                               ;   in Loop: Header=BB1762_66 Depth=1
	s_mov_b32 s6, 0
.LBB1762_69:                            ;   Parent Loop BB1762_66 Depth=1
                                        ; =>  This Inner Loop Header: Depth=2
	;;#ASMSTART
	global_load_b128 v[5:8], v[21:22] off scope:SCOPE_DEV	
s_wait_loadcnt 0x0
	;;#ASMEND
	v_and_b32_e32 v8, 0xff, v7
	s_delay_alu instid0(VALU_DEP_1)
	v_cmp_ne_u16_e32 vcc_lo, 0, v8
	s_wait_alu 0xfffe
	s_or_b32 s6, vcc_lo, s6
	s_wait_alu 0xfffe
	s_and_not1_b32 exec_lo, exec_lo, s6
	s_cbranch_execnz .LBB1762_69
; %bb.70:                               ;   in Loop: Header=BB1762_66 Depth=1
	s_or_b32 exec_lo, exec_lo, s6
.LBB1762_71:                            ;   in Loop: Header=BB1762_66 Depth=1
	s_wait_alu 0xfffe
	s_or_b32 exec_lo, exec_lo, s3
	v_dual_mov_b32 v21, v5 :: v_dual_and_b32 v8, 0xff, v7
	ds_bpermute_b32 v47, v37, v5
	ds_bpermute_b32 v22, v37, v6
	s_mov_b32 s3, exec_lo
	v_cmp_eq_u16_e32 vcc_lo, 2, v8
	s_wait_alu 0xfffd
	v_and_or_b32 v8, vcc_lo, v38, 0x80000000
	s_delay_alu instid0(VALU_DEP_1) | instskip(NEXT) | instid1(VALU_DEP_1)
	v_ctz_i32_b32_e32 v8, v8
	v_cmpx_lt_u32_e64 v34, v8
	s_cbranch_execz .LBB1762_73
; %bb.72:                               ;   in Loop: Header=BB1762_66 Depth=1
	s_wait_dscnt 0x1
	v_add_co_u32 v21, vcc_lo, v5, v47
	s_wait_alu 0xfffd
	v_add_co_ci_u32_e64 v6, null, 0, v6, vcc_lo
	s_delay_alu instid0(VALU_DEP_2) | instskip(SKIP_2) | instid1(VALU_DEP_2)
	v_add_co_u32 v5, vcc_lo, 0, v21
	s_wait_dscnt 0x0
	s_wait_alu 0xfffd
	v_add_co_ci_u32_e64 v6, null, v22, v6, vcc_lo
.LBB1762_73:                            ;   in Loop: Header=BB1762_66 Depth=1
	s_wait_alu 0xfffe
	s_or_b32 exec_lo, exec_lo, s3
	s_wait_dscnt 0x1
	ds_bpermute_b32 v47, v39, v21
	s_wait_dscnt 0x1
	ds_bpermute_b32 v22, v39, v6
	s_mov_b32 s3, exec_lo
	v_cmpx_le_u32_e64 v40, v8
	s_cbranch_execz .LBB1762_75
; %bb.74:                               ;   in Loop: Header=BB1762_66 Depth=1
	s_wait_dscnt 0x1
	v_add_co_u32 v21, vcc_lo, v5, v47
	s_wait_alu 0xfffd
	v_add_co_ci_u32_e64 v6, null, 0, v6, vcc_lo
	s_delay_alu instid0(VALU_DEP_2) | instskip(SKIP_2) | instid1(VALU_DEP_2)
	v_add_co_u32 v5, vcc_lo, 0, v21
	s_wait_dscnt 0x0
	s_wait_alu 0xfffd
	v_add_co_ci_u32_e64 v6, null, v22, v6, vcc_lo
.LBB1762_75:                            ;   in Loop: Header=BB1762_66 Depth=1
	s_wait_alu 0xfffe
	s_or_b32 exec_lo, exec_lo, s3
	s_wait_dscnt 0x1
	ds_bpermute_b32 v47, v41, v21
	s_wait_dscnt 0x1
	ds_bpermute_b32 v22, v41, v6
	s_mov_b32 s3, exec_lo
	v_cmpx_le_u32_e64 v42, v8
	;; [unrolled: 20-line block ×3, first 2 shown]
	s_cbranch_execz .LBB1762_79
; %bb.78:                               ;   in Loop: Header=BB1762_66 Depth=1
	s_wait_dscnt 0x1
	v_add_co_u32 v21, vcc_lo, v5, v47
	s_wait_alu 0xfffd
	v_add_co_ci_u32_e64 v6, null, 0, v6, vcc_lo
	s_delay_alu instid0(VALU_DEP_2) | instskip(SKIP_2) | instid1(VALU_DEP_2)
	v_add_co_u32 v5, vcc_lo, 0, v21
	s_wait_dscnt 0x0
	s_wait_alu 0xfffd
	v_add_co_ci_u32_e64 v6, null, v22, v6, vcc_lo
.LBB1762_79:                            ;   in Loop: Header=BB1762_66 Depth=1
	s_wait_alu 0xfffe
	s_or_b32 exec_lo, exec_lo, s3
	s_wait_dscnt 0x0
	ds_bpermute_b32 v22, v45, v21
	ds_bpermute_b32 v21, v45, v6
	s_mov_b32 s3, exec_lo
	v_cmpx_le_u32_e64 v46, v8
	s_cbranch_execz .LBB1762_64
; %bb.80:                               ;   in Loop: Header=BB1762_66 Depth=1
	s_wait_dscnt 0x1
	v_add_co_u32 v5, vcc_lo, v5, v22
	s_wait_alu 0xfffd
	v_add_co_ci_u32_e64 v6, null, 0, v6, vcc_lo
	s_delay_alu instid0(VALU_DEP_2) | instskip(SKIP_2) | instid1(VALU_DEP_2)
	v_add_co_u32 v5, vcc_lo, v5, 0
	s_wait_dscnt 0x0
	s_wait_alu 0xfffd
	v_add_co_ci_u32_e64 v6, null, v6, v21, vcc_lo
	s_branch .LBB1762_64
.LBB1762_81:
                                        ; implicit-def: $vgpr17_vgpr18
                                        ; implicit-def: $vgpr7_vgpr8
                                        ; implicit-def: $vgpr5_vgpr6
                                        ; implicit-def: $vgpr3_vgpr4
                                        ; implicit-def: $vgpr18_vgpr19
                                        ; implicit-def: $vgpr19_vgpr20
                                        ; implicit-def: $vgpr20_vgpr21
                                        ; implicit-def: $vgpr21_vgpr22
	s_and_b32 vcc_lo, exec_lo, s1
	s_wait_alu 0xfffe
	s_cbranch_vccnz .LBB1762_87
	s_branch .LBB1762_114
.LBB1762_82:
	s_and_saveexec_b32 s3, s1
	s_cbranch_execz .LBB1762_84
; %bb.83:
	s_add_co_i32 s6, ttmp9, 32
	s_mov_b32 s7, 0
	v_add_co_u32 v5, vcc_lo, v3, v1
	s_wait_alu 0xfffe
	s_lshl_b64 s[6:7], s[6:7], 4
	v_dual_mov_b32 v7, 2 :: v_dual_mov_b32 v8, 0
	s_wait_alu 0xfffe
	s_add_nc_u64 s[6:7], s[4:5], s[6:7]
	s_wait_alu 0xfffd
	v_add_co_ci_u32_e64 v6, null, v4, v2, vcc_lo
	s_wait_alu 0xfffe
	v_dual_mov_b32 v20, s7 :: v_dual_mov_b32 v19, s6
	;;#ASMSTART
	global_store_b128 v[19:20], v[5:8] off scope:SCOPE_DEV	
s_wait_storecnt 0x0
	;;#ASMEND
	ds_store_b128 v8, v[1:4] offset:10752
.LBB1762_84:
	s_wait_alu 0xfffe
	s_or_b32 exec_lo, exec_lo, s3
	v_cmp_eq_u32_e32 vcc_lo, 0, v0
	s_and_b32 exec_lo, exec_lo, vcc_lo
; %bb.85:
	v_mov_b32_e32 v1, 0
	ds_store_b64 v1, v[3:4] offset:88
.LBB1762_86:
	s_wait_alu 0xfffe
	s_or_b32 exec_lo, exec_lo, s2
	s_wait_dscnt 0x0
	v_cndmask_b32_e64 v4, v36, v17, s1
	v_cmp_ne_u32_e32 vcc_lo, 0, v0
	v_mov_b32_e32 v3, 0
	s_wait_loadcnt 0x0
	s_barrier_signal -1
	s_barrier_wait -1
	global_inv scope:SCOPE_SE
	s_wait_alu 0xfffd
	v_cndmask_b32_e32 v4, 0, v4, vcc_lo
	ds_load_b64 v[1:2], v3 offset:88
	v_cndmask_b32_e64 v5, 0, v18, s1
	s_wait_loadcnt_dscnt 0x0
	s_barrier_signal -1
	s_barrier_wait -1
	global_inv scope:SCOPE_SE
	v_cndmask_b32_e32 v5, 0, v5, vcc_lo
	v_add_co_u32 v21, vcc_lo, v1, v4
	s_wait_alu 0xfffd
	s_delay_alu instid0(VALU_DEP_2) | instskip(NEXT) | instid1(VALU_DEP_2)
	v_add_co_ci_u32_e64 v1, null, v2, v5, vcc_lo
	v_add_co_u32 v20, vcc_lo, v21, v31
	s_wait_alu 0xfffd
	s_delay_alu instid0(VALU_DEP_2) | instskip(NEXT) | instid1(VALU_DEP_2)
	v_add_co_ci_u32_e64 v1, null, 0, v1, vcc_lo
	v_add_co_u32 v19, vcc_lo, v20, v30
	s_wait_alu 0xfffd
	s_delay_alu instid0(VALU_DEP_2) | instskip(SKIP_4) | instid1(VALU_DEP_2)
	v_add_co_ci_u32_e64 v5, null, 0, v1, vcc_lo
	ds_load_b128 v[1:4], v3 offset:10752
	v_add_co_u32 v18, vcc_lo, v19, v33
	s_wait_alu 0xfffd
	v_add_co_ci_u32_e64 v5, null, 0, v5, vcc_lo
	v_add_co_u32 v17, vcc_lo, v18, v28
	s_wait_alu 0xfffd
	s_delay_alu instid0(VALU_DEP_2) | instskip(NEXT) | instid1(VALU_DEP_2)
	v_add_co_ci_u32_e64 v6, null, 0, v5, vcc_lo
	v_add_co_u32 v5, vcc_lo, v17, v32
	s_wait_alu 0xfffd
	s_delay_alu instid0(VALU_DEP_2) | instskip(NEXT) | instid1(VALU_DEP_2)
	v_add_co_ci_u32_e64 v6, null, 0, v6, vcc_lo
	v_add_co_u32 v7, vcc_lo, v5, v29
	s_wait_alu 0xfffd
	s_delay_alu instid0(VALU_DEP_2)
	v_add_co_ci_u32_e64 v6, null, 0, v6, vcc_lo
	s_branch .LBB1762_114
.LBB1762_87:
	s_wait_dscnt 0x0
	v_dual_mov_b32 v2, 0 :: v_dual_mov_b32 v3, v15
	v_mov_b32_dpp v4, v15 row_shr:1 row_mask:0xf bank_mask:0xf
	s_delay_alu instid0(VALU_DEP_2)
	v_mov_b32_dpp v1, v2 row_shr:1 row_mask:0xf bank_mask:0xf
	s_and_saveexec_b32 s1, s0
; %bb.88:
	s_delay_alu instid0(VALU_DEP_2) | instskip(SKIP_2) | instid1(VALU_DEP_2)
	v_add_co_u32 v3, vcc_lo, v15, v4
	s_wait_alu 0xfffd
	v_add_co_ci_u32_e64 v2, null, 0, v16, vcc_lo
	v_add_co_u32 v15, vcc_lo, 0, v3
	s_wait_alu 0xfffd
	s_delay_alu instid0(VALU_DEP_2) | instskip(NEXT) | instid1(VALU_DEP_1)
	v_add_co_ci_u32_e64 v16, null, v1, v2, vcc_lo
	v_mov_b32_e32 v2, v16
; %bb.89:
	s_wait_alu 0xfffe
	s_or_b32 exec_lo, exec_lo, s1
	v_mov_b32_dpp v1, v3 row_shr:2 row_mask:0xf bank_mask:0xf
	s_delay_alu instid0(VALU_DEP_2)
	v_mov_b32_dpp v4, v2 row_shr:2 row_mask:0xf bank_mask:0xf
	v_cmp_lt_u32_e32 vcc_lo, 1, v35
	s_and_saveexec_b32 s2, vcc_lo
; %bb.90:
	s_delay_alu instid0(VALU_DEP_3) | instskip(SKIP_2) | instid1(VALU_DEP_2)
	v_add_co_u32 v3, s1, v15, v1
	s_wait_alu 0xf1ff
	v_add_co_ci_u32_e64 v2, null, 0, v16, s1
	v_add_co_u32 v1, s1, 0, v3
	s_wait_alu 0xf1ff
	s_delay_alu instid0(VALU_DEP_2) | instskip(NEXT) | instid1(VALU_DEP_1)
	v_add_co_ci_u32_e64 v2, null, v4, v2, s1
	v_dual_mov_b32 v16, v2 :: v_dual_mov_b32 v15, v1
; %bb.91:
	s_wait_alu 0xfffe
	s_or_b32 exec_lo, exec_lo, s2
	v_mov_b32_dpp v1, v3 row_shr:4 row_mask:0xf bank_mask:0xf
	v_mov_b32_dpp v4, v2 row_shr:4 row_mask:0xf bank_mask:0xf
	v_cmp_lt_u32_e64 s1, 3, v35
	s_and_saveexec_b32 s3, s1
; %bb.92:
	v_add_co_u32 v3, s2, v15, v1
	s_wait_alu 0xf1ff
	v_add_co_ci_u32_e64 v2, null, 0, v16, s2
	s_delay_alu instid0(VALU_DEP_2) | instskip(SKIP_1) | instid1(VALU_DEP_2)
	v_add_co_u32 v1, s2, 0, v3
	s_wait_alu 0xf1ff
	v_add_co_ci_u32_e64 v2, null, v4, v2, s2
	s_delay_alu instid0(VALU_DEP_1)
	v_dual_mov_b32 v16, v2 :: v_dual_mov_b32 v15, v1
; %bb.93:
	s_wait_alu 0xfffe
	s_or_b32 exec_lo, exec_lo, s3
	v_mov_b32_dpp v4, v3 row_shr:8 row_mask:0xf bank_mask:0xf
	v_mov_b32_dpp v1, v2 row_shr:8 row_mask:0xf bank_mask:0xf
	v_cmp_lt_u32_e64 s2, 7, v35
	s_and_saveexec_b32 s6, s2
; %bb.94:
	v_add_co_u32 v3, s3, v15, v4
	s_wait_alu 0xf1ff
	v_add_co_ci_u32_e64 v2, null, 0, v16, s3
	s_delay_alu instid0(VALU_DEP_2) | instskip(SKIP_1) | instid1(VALU_DEP_2)
	v_add_co_u32 v15, s3, 0, v3
	s_wait_alu 0xf1ff
	v_add_co_ci_u32_e64 v16, null, v1, v2, s3
	s_delay_alu instid0(VALU_DEP_1)
	v_mov_b32_e32 v2, v16
; %bb.95:
	s_wait_alu 0xfffe
	s_or_b32 exec_lo, exec_lo, s6
	ds_swizzle_b32 v3, v3 offset:swizzle(BROADCAST,32,15)
	ds_swizzle_b32 v1, v2 offset:swizzle(BROADCAST,32,15)
	v_and_b32_e32 v2, 16, v34
	s_mov_b32 s6, exec_lo
	s_delay_alu instid0(VALU_DEP_1)
	v_cmpx_ne_u32_e32 0, v2
	s_cbranch_execz .LBB1762_97
; %bb.96:
	s_wait_dscnt 0x1
	v_add_co_u32 v2, s3, v15, v3
	s_wait_alu 0xf1ff
	v_add_co_ci_u32_e64 v3, null, 0, v16, s3
	s_delay_alu instid0(VALU_DEP_2) | instskip(SKIP_2) | instid1(VALU_DEP_2)
	v_add_co_u32 v15, s3, v2, 0
	s_wait_dscnt 0x0
	s_wait_alu 0xf1ff
	v_add_co_ci_u32_e64 v16, null, v3, v1, s3
.LBB1762_97:
	s_wait_alu 0xfffe
	s_or_b32 exec_lo, exec_lo, s6
	s_wait_dscnt 0x0
	v_and_b32_e32 v1, 0x1e0, v0
	v_lshrrev_b32_e32 v3, 5, v0
	s_mov_b32 s6, exec_lo
	s_delay_alu instid0(VALU_DEP_2) | instskip(NEXT) | instid1(VALU_DEP_1)
	v_min_u32_e32 v1, 0x160, v1
	v_or_b32_e32 v1, 31, v1
	s_delay_alu instid0(VALU_DEP_1)
	v_cmpx_eq_u32_e64 v0, v1
; %bb.98:
	v_lshlrev_b32_e32 v1, 3, v3
	ds_store_b64 v1, v[15:16]
; %bb.99:
	s_wait_alu 0xfffe
	s_or_b32 exec_lo, exec_lo, s6
	s_delay_alu instid0(SALU_CYCLE_1)
	s_mov_b32 s6, exec_lo
	s_wait_loadcnt_dscnt 0x0
	s_barrier_signal -1
	s_barrier_wait -1
	global_inv scope:SCOPE_SE
	v_cmpx_gt_u32_e32 12, v0
	s_cbranch_execz .LBB1762_109
; %bb.100:
	v_mad_i32_i24 v1, 0xffffffec, v0, v27
	ds_load_b64 v[1:2], v1
	s_wait_dscnt 0x0
	v_mov_b32_dpp v6, v1 row_shr:1 row_mask:0xf bank_mask:0xf
	v_mov_b32_dpp v5, v2 row_shr:1 row_mask:0xf bank_mask:0xf
	v_mov_b32_e32 v4, v1
	s_and_saveexec_b32 s3, s0
; %bb.101:
	s_delay_alu instid0(VALU_DEP_3) | instskip(SKIP_2) | instid1(VALU_DEP_2)
	v_add_co_u32 v4, s0, v1, v6
	s_wait_alu 0xf1ff
	v_add_co_ci_u32_e64 v2, null, 0, v2, s0
	v_add_co_u32 v1, s0, 0, v4
	s_wait_alu 0xf1ff
	s_delay_alu instid0(VALU_DEP_2)
	v_add_co_ci_u32_e64 v2, null, v5, v2, s0
; %bb.102:
	s_wait_alu 0xfffe
	s_or_b32 exec_lo, exec_lo, s3
	v_mov_b32_dpp v6, v4 row_shr:2 row_mask:0xf bank_mask:0xf
	s_delay_alu instid0(VALU_DEP_2)
	v_mov_b32_dpp v5, v2 row_shr:2 row_mask:0xf bank_mask:0xf
	s_and_saveexec_b32 s0, vcc_lo
; %bb.103:
	s_delay_alu instid0(VALU_DEP_2) | instskip(SKIP_2) | instid1(VALU_DEP_2)
	v_add_co_u32 v4, vcc_lo, v1, v6
	s_wait_alu 0xfffd
	v_add_co_ci_u32_e64 v2, null, 0, v2, vcc_lo
	v_add_co_u32 v1, vcc_lo, 0, v4
	s_wait_alu 0xfffd
	s_delay_alu instid0(VALU_DEP_2)
	v_add_co_ci_u32_e64 v2, null, v5, v2, vcc_lo
; %bb.104:
	s_wait_alu 0xfffe
	s_or_b32 exec_lo, exec_lo, s0
	v_mov_b32_dpp v6, v4 row_shr:4 row_mask:0xf bank_mask:0xf
	s_delay_alu instid0(VALU_DEP_2)
	v_mov_b32_dpp v5, v2 row_shr:4 row_mask:0xf bank_mask:0xf
	s_and_saveexec_b32 s0, s1
; %bb.105:
	s_delay_alu instid0(VALU_DEP_2) | instskip(SKIP_2) | instid1(VALU_DEP_2)
	v_add_co_u32 v4, vcc_lo, v1, v6
	s_wait_alu 0xfffd
	v_add_co_ci_u32_e64 v2, null, 0, v2, vcc_lo
	v_add_co_u32 v1, vcc_lo, 0, v4
	s_wait_alu 0xfffd
	s_delay_alu instid0(VALU_DEP_2)
	v_add_co_ci_u32_e64 v2, null, v5, v2, vcc_lo
; %bb.106:
	s_wait_alu 0xfffe
	s_or_b32 exec_lo, exec_lo, s0
	v_mul_i32_i24_e32 v5, 0xffffffec, v0
	v_mov_b32_dpp v6, v4 row_shr:8 row_mask:0xf bank_mask:0xf
	v_mov_b32_dpp v4, v2 row_shr:8 row_mask:0xf bank_mask:0xf
	s_and_saveexec_b32 s0, s2
; %bb.107:
	s_delay_alu instid0(VALU_DEP_2) | instskip(SKIP_2) | instid1(VALU_DEP_2)
	v_add_co_u32 v1, vcc_lo, v1, v6
	s_wait_alu 0xfffd
	v_add_co_ci_u32_e64 v2, null, 0, v2, vcc_lo
	v_add_co_u32 v1, vcc_lo, v1, 0
	s_wait_alu 0xfffd
	s_delay_alu instid0(VALU_DEP_2)
	v_add_co_ci_u32_e64 v2, null, v2, v4, vcc_lo
; %bb.108:
	s_wait_alu 0xfffe
	s_or_b32 exec_lo, exec_lo, s0
	v_add_nc_u32_e32 v4, v27, v5
	ds_store_b64 v4, v[1:2]
.LBB1762_109:
	s_wait_alu 0xfffe
	s_or_b32 exec_lo, exec_lo, s6
	v_mov_b32_e32 v5, 0
	v_mov_b32_e32 v6, 0
	s_mov_b32 s0, exec_lo
	s_wait_loadcnt_dscnt 0x0
	s_barrier_signal -1
	s_barrier_wait -1
	global_inv scope:SCOPE_SE
	v_cmpx_lt_u32_e32 31, v0
; %bb.110:
	v_lshl_add_u32 v1, v3, 3, -8
	ds_load_b64 v[5:6], v1
; %bb.111:
	s_wait_alu 0xfffe
	s_or_b32 exec_lo, exec_lo, s0
	v_sub_co_u32 v1, vcc_lo, v34, 1
	s_wait_dscnt 0x0
	v_add_nc_u32_e32 v2, v5, v15
	v_mov_b32_e32 v4, 0
	s_delay_alu instid0(VALU_DEP_3) | instskip(SKIP_1) | instid1(VALU_DEP_1)
	v_cmp_gt_i32_e64 s0, 0, v1
	s_wait_alu 0xf1ff
	v_cndmask_b32_e64 v1, v1, v34, s0
	v_cmp_eq_u32_e64 s0, 0, v0
	s_delay_alu instid0(VALU_DEP_2)
	v_lshlrev_b32_e32 v1, 2, v1
	ds_bpermute_b32 v7, v1, v2
	ds_load_b64 v[1:2], v4 offset:88
	s_and_saveexec_b32 s1, s0
	s_cbranch_execz .LBB1762_113
; %bb.112:
	s_wait_kmcnt 0x0
	s_add_nc_u64 s[2:3], s[4:5], 0x200
	s_wait_alu 0xfffe
	v_dual_mov_b32 v3, 2 :: v_dual_mov_b32 v16, s3
	v_mov_b32_e32 v15, s2
	s_wait_dscnt 0x0
	;;#ASMSTART
	global_store_b128 v[15:16], v[1:4] off scope:SCOPE_DEV	
s_wait_storecnt 0x0
	;;#ASMEND
.LBB1762_113:
	s_wait_alu 0xfffe
	s_or_b32 exec_lo, exec_lo, s1
	s_wait_dscnt 0x1
	s_wait_alu 0xfffd
	v_dual_cndmask_b32 v3, v7, v5 :: v_dual_cndmask_b32 v4, 0, v6
	s_wait_loadcnt_dscnt 0x0
	s_barrier_signal -1
	s_barrier_wait -1
	s_delay_alu instid0(VALU_DEP_1)
	v_cndmask_b32_e64 v21, v3, 0, s0
	v_cndmask_b32_e64 v3, v4, 0, s0
	global_inv scope:SCOPE_SE
	v_add_co_u32 v20, vcc_lo, v21, v31
	s_wait_alu 0xfffd
	v_add_co_ci_u32_e64 v3, null, 0, v3, vcc_lo
	s_delay_alu instid0(VALU_DEP_2) | instskip(SKIP_1) | instid1(VALU_DEP_2)
	v_add_co_u32 v19, vcc_lo, v20, v30
	s_wait_alu 0xfffd
	v_add_co_ci_u32_e64 v3, null, 0, v3, vcc_lo
	s_delay_alu instid0(VALU_DEP_2) | instskip(SKIP_1) | instid1(VALU_DEP_2)
	;; [unrolled: 4-line block ×4, first 2 shown]
	v_add_co_u32 v5, vcc_lo, v17, v32
	s_wait_alu 0xfffd
	v_add_co_ci_u32_e64 v6, null, 0, v3, vcc_lo
	v_mov_b32_e32 v3, 0
	v_mov_b32_e32 v4, 0
	v_add_co_u32 v7, vcc_lo, v5, v29
	s_wait_alu 0xfffd
	v_add_co_ci_u32_e64 v6, null, 0, v6, vcc_lo
.LBB1762_114:
	s_wait_dscnt 0x0
	v_cmp_gt_u64_e32 vcc_lo, 0x181, v[1:2]
	v_lshrrev_b32_e32 v8, 8, v26
	v_lshrrev_b32_e32 v6, 16, v26
	s_cbranch_vccz .LBB1762_117
; %bb.115:
	v_cmp_eq_u32_e32 vcc_lo, 0, v0
	s_and_b32 s0, vcc_lo, s12
	s_wait_alu 0xfffe
	s_and_saveexec_b32 s1, s0
	s_cbranch_execnz .LBB1762_132
.LBB1762_116:
	s_endpgm
.LBB1762_117:
	v_and_b32_e32 v15, 1, v26
	s_mov_b32 s0, exec_lo
	s_delay_alu instid0(VALU_DEP_1)
	v_cmpx_eq_u32_e32 1, v15
; %bb.118:
	v_sub_nc_u32_e32 v15, v21, v3
	s_delay_alu instid0(VALU_DEP_1)
	v_lshlrev_b32_e32 v15, 2, v15
	ds_store_b32 v15, v13
; %bb.119:
	s_wait_alu 0xfffe
	s_or_b32 exec_lo, exec_lo, s0
	v_and_b32_e32 v8, 1, v8
	s_mov_b32 s0, exec_lo
	s_delay_alu instid0(VALU_DEP_1)
	v_cmpx_eq_u32_e32 1, v8
; %bb.120:
	v_sub_nc_u32_e32 v8, v20, v3
	s_delay_alu instid0(VALU_DEP_1)
	v_lshlrev_b32_e32 v8, 2, v8
	ds_store_b32 v8, v14
; %bb.121:
	s_wait_alu 0xfffe
	s_or_b32 exec_lo, exec_lo, s0
	;; [unrolled: 12-line block ×6, first 2 shown]
	s_and_saveexec_b32 s0, s13
; %bb.130:
	v_sub_nc_u32_e32 v5, v7, v3
	s_delay_alu instid0(VALU_DEP_1)
	v_lshlrev_b32_e32 v5, 2, v5
	ds_store_b32 v5, v23
; %bb.131:
	s_wait_alu 0xfffe
	s_or_b32 exec_lo, exec_lo, s0
	s_wait_loadcnt_dscnt 0x0
	s_barrier_signal -1
	s_barrier_wait -1
	global_inv scope:SCOPE_SE
	v_cmp_eq_u32_e32 vcc_lo, 0, v0
	s_and_b32 s0, vcc_lo, s12
	s_wait_alu 0xfffe
	s_and_saveexec_b32 s1, s0
	s_cbranch_execz .LBB1762_116
.LBB1762_132:
	v_add_co_u32 v0, vcc_lo, v1, s10
	s_wait_alu 0xfffd
	v_add_co_ci_u32_e64 v1, null, s11, v2, vcc_lo
	v_mov_b32_e32 v2, 0
	s_delay_alu instid0(VALU_DEP_3) | instskip(SKIP_1) | instid1(VALU_DEP_3)
	v_add_co_u32 v0, vcc_lo, v0, v3
	s_wait_alu 0xfffd
	v_add_co_ci_u32_e64 v1, null, v1, v4, vcc_lo
	global_store_b64 v2, v[0:1], s[8:9]
	s_endpgm
	.section	.rodata,"a",@progbits
	.p2align	6, 0x0
	.amdhsa_kernel _ZN7rocprim17ROCPRIM_400000_NS6detail17trampoline_kernelINS0_14default_configENS1_25partition_config_selectorILNS1_17partition_subalgoE6EiNS0_10empty_typeEbEEZZNS1_14partition_implILS5_6ELb0ES3_mN6thrust23THRUST_200600_302600_NS6detail15normal_iteratorINSA_10device_ptrIiEEEEPS6_SG_NS0_5tupleIJNSA_16discard_iteratorINSA_11use_defaultEEES6_EEENSH_IJSG_SG_EEES6_PlJNSB_9not_fun_tINSB_14equal_to_valueIiEEEEEEE10hipError_tPvRmT3_T4_T5_T6_T7_T9_mT8_P12ihipStream_tbDpT10_ENKUlT_T0_E_clISt17integral_constantIbLb0EES1B_EEDaS16_S17_EUlS16_E_NS1_11comp_targetILNS1_3genE10ELNS1_11target_archE1200ELNS1_3gpuE4ELNS1_3repE0EEENS1_30default_config_static_selectorELNS0_4arch9wavefront6targetE0EEEvT1_
		.amdhsa_group_segment_fixed_size 10768
		.amdhsa_private_segment_fixed_size 0
		.amdhsa_kernarg_size 128
		.amdhsa_user_sgpr_count 2
		.amdhsa_user_sgpr_dispatch_ptr 0
		.amdhsa_user_sgpr_queue_ptr 0
		.amdhsa_user_sgpr_kernarg_segment_ptr 1
		.amdhsa_user_sgpr_dispatch_id 0
		.amdhsa_user_sgpr_private_segment_size 0
		.amdhsa_wavefront_size32 1
		.amdhsa_uses_dynamic_stack 0
		.amdhsa_enable_private_segment 0
		.amdhsa_system_sgpr_workgroup_id_x 1
		.amdhsa_system_sgpr_workgroup_id_y 0
		.amdhsa_system_sgpr_workgroup_id_z 0
		.amdhsa_system_sgpr_workgroup_info 0
		.amdhsa_system_vgpr_workitem_id 0
		.amdhsa_next_free_vgpr 48
		.amdhsa_next_free_sgpr 22
		.amdhsa_reserve_vcc 1
		.amdhsa_float_round_mode_32 0
		.amdhsa_float_round_mode_16_64 0
		.amdhsa_float_denorm_mode_32 3
		.amdhsa_float_denorm_mode_16_64 3
		.amdhsa_fp16_overflow 0
		.amdhsa_workgroup_processor_mode 1
		.amdhsa_memory_ordered 1
		.amdhsa_forward_progress 1
		.amdhsa_inst_pref_size 51
		.amdhsa_round_robin_scheduling 0
		.amdhsa_exception_fp_ieee_invalid_op 0
		.amdhsa_exception_fp_denorm_src 0
		.amdhsa_exception_fp_ieee_div_zero 0
		.amdhsa_exception_fp_ieee_overflow 0
		.amdhsa_exception_fp_ieee_underflow 0
		.amdhsa_exception_fp_ieee_inexact 0
		.amdhsa_exception_int_div_zero 0
	.end_amdhsa_kernel
	.section	.text._ZN7rocprim17ROCPRIM_400000_NS6detail17trampoline_kernelINS0_14default_configENS1_25partition_config_selectorILNS1_17partition_subalgoE6EiNS0_10empty_typeEbEEZZNS1_14partition_implILS5_6ELb0ES3_mN6thrust23THRUST_200600_302600_NS6detail15normal_iteratorINSA_10device_ptrIiEEEEPS6_SG_NS0_5tupleIJNSA_16discard_iteratorINSA_11use_defaultEEES6_EEENSH_IJSG_SG_EEES6_PlJNSB_9not_fun_tINSB_14equal_to_valueIiEEEEEEE10hipError_tPvRmT3_T4_T5_T6_T7_T9_mT8_P12ihipStream_tbDpT10_ENKUlT_T0_E_clISt17integral_constantIbLb0EES1B_EEDaS16_S17_EUlS16_E_NS1_11comp_targetILNS1_3genE10ELNS1_11target_archE1200ELNS1_3gpuE4ELNS1_3repE0EEENS1_30default_config_static_selectorELNS0_4arch9wavefront6targetE0EEEvT1_,"axG",@progbits,_ZN7rocprim17ROCPRIM_400000_NS6detail17trampoline_kernelINS0_14default_configENS1_25partition_config_selectorILNS1_17partition_subalgoE6EiNS0_10empty_typeEbEEZZNS1_14partition_implILS5_6ELb0ES3_mN6thrust23THRUST_200600_302600_NS6detail15normal_iteratorINSA_10device_ptrIiEEEEPS6_SG_NS0_5tupleIJNSA_16discard_iteratorINSA_11use_defaultEEES6_EEENSH_IJSG_SG_EEES6_PlJNSB_9not_fun_tINSB_14equal_to_valueIiEEEEEEE10hipError_tPvRmT3_T4_T5_T6_T7_T9_mT8_P12ihipStream_tbDpT10_ENKUlT_T0_E_clISt17integral_constantIbLb0EES1B_EEDaS16_S17_EUlS16_E_NS1_11comp_targetILNS1_3genE10ELNS1_11target_archE1200ELNS1_3gpuE4ELNS1_3repE0EEENS1_30default_config_static_selectorELNS0_4arch9wavefront6targetE0EEEvT1_,comdat
.Lfunc_end1762:
	.size	_ZN7rocprim17ROCPRIM_400000_NS6detail17trampoline_kernelINS0_14default_configENS1_25partition_config_selectorILNS1_17partition_subalgoE6EiNS0_10empty_typeEbEEZZNS1_14partition_implILS5_6ELb0ES3_mN6thrust23THRUST_200600_302600_NS6detail15normal_iteratorINSA_10device_ptrIiEEEEPS6_SG_NS0_5tupleIJNSA_16discard_iteratorINSA_11use_defaultEEES6_EEENSH_IJSG_SG_EEES6_PlJNSB_9not_fun_tINSB_14equal_to_valueIiEEEEEEE10hipError_tPvRmT3_T4_T5_T6_T7_T9_mT8_P12ihipStream_tbDpT10_ENKUlT_T0_E_clISt17integral_constantIbLb0EES1B_EEDaS16_S17_EUlS16_E_NS1_11comp_targetILNS1_3genE10ELNS1_11target_archE1200ELNS1_3gpuE4ELNS1_3repE0EEENS1_30default_config_static_selectorELNS0_4arch9wavefront6targetE0EEEvT1_, .Lfunc_end1762-_ZN7rocprim17ROCPRIM_400000_NS6detail17trampoline_kernelINS0_14default_configENS1_25partition_config_selectorILNS1_17partition_subalgoE6EiNS0_10empty_typeEbEEZZNS1_14partition_implILS5_6ELb0ES3_mN6thrust23THRUST_200600_302600_NS6detail15normal_iteratorINSA_10device_ptrIiEEEEPS6_SG_NS0_5tupleIJNSA_16discard_iteratorINSA_11use_defaultEEES6_EEENSH_IJSG_SG_EEES6_PlJNSB_9not_fun_tINSB_14equal_to_valueIiEEEEEEE10hipError_tPvRmT3_T4_T5_T6_T7_T9_mT8_P12ihipStream_tbDpT10_ENKUlT_T0_E_clISt17integral_constantIbLb0EES1B_EEDaS16_S17_EUlS16_E_NS1_11comp_targetILNS1_3genE10ELNS1_11target_archE1200ELNS1_3gpuE4ELNS1_3repE0EEENS1_30default_config_static_selectorELNS0_4arch9wavefront6targetE0EEEvT1_
                                        ; -- End function
	.set _ZN7rocprim17ROCPRIM_400000_NS6detail17trampoline_kernelINS0_14default_configENS1_25partition_config_selectorILNS1_17partition_subalgoE6EiNS0_10empty_typeEbEEZZNS1_14partition_implILS5_6ELb0ES3_mN6thrust23THRUST_200600_302600_NS6detail15normal_iteratorINSA_10device_ptrIiEEEEPS6_SG_NS0_5tupleIJNSA_16discard_iteratorINSA_11use_defaultEEES6_EEENSH_IJSG_SG_EEES6_PlJNSB_9not_fun_tINSB_14equal_to_valueIiEEEEEEE10hipError_tPvRmT3_T4_T5_T6_T7_T9_mT8_P12ihipStream_tbDpT10_ENKUlT_T0_E_clISt17integral_constantIbLb0EES1B_EEDaS16_S17_EUlS16_E_NS1_11comp_targetILNS1_3genE10ELNS1_11target_archE1200ELNS1_3gpuE4ELNS1_3repE0EEENS1_30default_config_static_selectorELNS0_4arch9wavefront6targetE0EEEvT1_.num_vgpr, 48
	.set _ZN7rocprim17ROCPRIM_400000_NS6detail17trampoline_kernelINS0_14default_configENS1_25partition_config_selectorILNS1_17partition_subalgoE6EiNS0_10empty_typeEbEEZZNS1_14partition_implILS5_6ELb0ES3_mN6thrust23THRUST_200600_302600_NS6detail15normal_iteratorINSA_10device_ptrIiEEEEPS6_SG_NS0_5tupleIJNSA_16discard_iteratorINSA_11use_defaultEEES6_EEENSH_IJSG_SG_EEES6_PlJNSB_9not_fun_tINSB_14equal_to_valueIiEEEEEEE10hipError_tPvRmT3_T4_T5_T6_T7_T9_mT8_P12ihipStream_tbDpT10_ENKUlT_T0_E_clISt17integral_constantIbLb0EES1B_EEDaS16_S17_EUlS16_E_NS1_11comp_targetILNS1_3genE10ELNS1_11target_archE1200ELNS1_3gpuE4ELNS1_3repE0EEENS1_30default_config_static_selectorELNS0_4arch9wavefront6targetE0EEEvT1_.num_agpr, 0
	.set _ZN7rocprim17ROCPRIM_400000_NS6detail17trampoline_kernelINS0_14default_configENS1_25partition_config_selectorILNS1_17partition_subalgoE6EiNS0_10empty_typeEbEEZZNS1_14partition_implILS5_6ELb0ES3_mN6thrust23THRUST_200600_302600_NS6detail15normal_iteratorINSA_10device_ptrIiEEEEPS6_SG_NS0_5tupleIJNSA_16discard_iteratorINSA_11use_defaultEEES6_EEENSH_IJSG_SG_EEES6_PlJNSB_9not_fun_tINSB_14equal_to_valueIiEEEEEEE10hipError_tPvRmT3_T4_T5_T6_T7_T9_mT8_P12ihipStream_tbDpT10_ENKUlT_T0_E_clISt17integral_constantIbLb0EES1B_EEDaS16_S17_EUlS16_E_NS1_11comp_targetILNS1_3genE10ELNS1_11target_archE1200ELNS1_3gpuE4ELNS1_3repE0EEENS1_30default_config_static_selectorELNS0_4arch9wavefront6targetE0EEEvT1_.numbered_sgpr, 22
	.set _ZN7rocprim17ROCPRIM_400000_NS6detail17trampoline_kernelINS0_14default_configENS1_25partition_config_selectorILNS1_17partition_subalgoE6EiNS0_10empty_typeEbEEZZNS1_14partition_implILS5_6ELb0ES3_mN6thrust23THRUST_200600_302600_NS6detail15normal_iteratorINSA_10device_ptrIiEEEEPS6_SG_NS0_5tupleIJNSA_16discard_iteratorINSA_11use_defaultEEES6_EEENSH_IJSG_SG_EEES6_PlJNSB_9not_fun_tINSB_14equal_to_valueIiEEEEEEE10hipError_tPvRmT3_T4_T5_T6_T7_T9_mT8_P12ihipStream_tbDpT10_ENKUlT_T0_E_clISt17integral_constantIbLb0EES1B_EEDaS16_S17_EUlS16_E_NS1_11comp_targetILNS1_3genE10ELNS1_11target_archE1200ELNS1_3gpuE4ELNS1_3repE0EEENS1_30default_config_static_selectorELNS0_4arch9wavefront6targetE0EEEvT1_.num_named_barrier, 0
	.set _ZN7rocprim17ROCPRIM_400000_NS6detail17trampoline_kernelINS0_14default_configENS1_25partition_config_selectorILNS1_17partition_subalgoE6EiNS0_10empty_typeEbEEZZNS1_14partition_implILS5_6ELb0ES3_mN6thrust23THRUST_200600_302600_NS6detail15normal_iteratorINSA_10device_ptrIiEEEEPS6_SG_NS0_5tupleIJNSA_16discard_iteratorINSA_11use_defaultEEES6_EEENSH_IJSG_SG_EEES6_PlJNSB_9not_fun_tINSB_14equal_to_valueIiEEEEEEE10hipError_tPvRmT3_T4_T5_T6_T7_T9_mT8_P12ihipStream_tbDpT10_ENKUlT_T0_E_clISt17integral_constantIbLb0EES1B_EEDaS16_S17_EUlS16_E_NS1_11comp_targetILNS1_3genE10ELNS1_11target_archE1200ELNS1_3gpuE4ELNS1_3repE0EEENS1_30default_config_static_selectorELNS0_4arch9wavefront6targetE0EEEvT1_.private_seg_size, 0
	.set _ZN7rocprim17ROCPRIM_400000_NS6detail17trampoline_kernelINS0_14default_configENS1_25partition_config_selectorILNS1_17partition_subalgoE6EiNS0_10empty_typeEbEEZZNS1_14partition_implILS5_6ELb0ES3_mN6thrust23THRUST_200600_302600_NS6detail15normal_iteratorINSA_10device_ptrIiEEEEPS6_SG_NS0_5tupleIJNSA_16discard_iteratorINSA_11use_defaultEEES6_EEENSH_IJSG_SG_EEES6_PlJNSB_9not_fun_tINSB_14equal_to_valueIiEEEEEEE10hipError_tPvRmT3_T4_T5_T6_T7_T9_mT8_P12ihipStream_tbDpT10_ENKUlT_T0_E_clISt17integral_constantIbLb0EES1B_EEDaS16_S17_EUlS16_E_NS1_11comp_targetILNS1_3genE10ELNS1_11target_archE1200ELNS1_3gpuE4ELNS1_3repE0EEENS1_30default_config_static_selectorELNS0_4arch9wavefront6targetE0EEEvT1_.uses_vcc, 1
	.set _ZN7rocprim17ROCPRIM_400000_NS6detail17trampoline_kernelINS0_14default_configENS1_25partition_config_selectorILNS1_17partition_subalgoE6EiNS0_10empty_typeEbEEZZNS1_14partition_implILS5_6ELb0ES3_mN6thrust23THRUST_200600_302600_NS6detail15normal_iteratorINSA_10device_ptrIiEEEEPS6_SG_NS0_5tupleIJNSA_16discard_iteratorINSA_11use_defaultEEES6_EEENSH_IJSG_SG_EEES6_PlJNSB_9not_fun_tINSB_14equal_to_valueIiEEEEEEE10hipError_tPvRmT3_T4_T5_T6_T7_T9_mT8_P12ihipStream_tbDpT10_ENKUlT_T0_E_clISt17integral_constantIbLb0EES1B_EEDaS16_S17_EUlS16_E_NS1_11comp_targetILNS1_3genE10ELNS1_11target_archE1200ELNS1_3gpuE4ELNS1_3repE0EEENS1_30default_config_static_selectorELNS0_4arch9wavefront6targetE0EEEvT1_.uses_flat_scratch, 1
	.set _ZN7rocprim17ROCPRIM_400000_NS6detail17trampoline_kernelINS0_14default_configENS1_25partition_config_selectorILNS1_17partition_subalgoE6EiNS0_10empty_typeEbEEZZNS1_14partition_implILS5_6ELb0ES3_mN6thrust23THRUST_200600_302600_NS6detail15normal_iteratorINSA_10device_ptrIiEEEEPS6_SG_NS0_5tupleIJNSA_16discard_iteratorINSA_11use_defaultEEES6_EEENSH_IJSG_SG_EEES6_PlJNSB_9not_fun_tINSB_14equal_to_valueIiEEEEEEE10hipError_tPvRmT3_T4_T5_T6_T7_T9_mT8_P12ihipStream_tbDpT10_ENKUlT_T0_E_clISt17integral_constantIbLb0EES1B_EEDaS16_S17_EUlS16_E_NS1_11comp_targetILNS1_3genE10ELNS1_11target_archE1200ELNS1_3gpuE4ELNS1_3repE0EEENS1_30default_config_static_selectorELNS0_4arch9wavefront6targetE0EEEvT1_.has_dyn_sized_stack, 0
	.set _ZN7rocprim17ROCPRIM_400000_NS6detail17trampoline_kernelINS0_14default_configENS1_25partition_config_selectorILNS1_17partition_subalgoE6EiNS0_10empty_typeEbEEZZNS1_14partition_implILS5_6ELb0ES3_mN6thrust23THRUST_200600_302600_NS6detail15normal_iteratorINSA_10device_ptrIiEEEEPS6_SG_NS0_5tupleIJNSA_16discard_iteratorINSA_11use_defaultEEES6_EEENSH_IJSG_SG_EEES6_PlJNSB_9not_fun_tINSB_14equal_to_valueIiEEEEEEE10hipError_tPvRmT3_T4_T5_T6_T7_T9_mT8_P12ihipStream_tbDpT10_ENKUlT_T0_E_clISt17integral_constantIbLb0EES1B_EEDaS16_S17_EUlS16_E_NS1_11comp_targetILNS1_3genE10ELNS1_11target_archE1200ELNS1_3gpuE4ELNS1_3repE0EEENS1_30default_config_static_selectorELNS0_4arch9wavefront6targetE0EEEvT1_.has_recursion, 0
	.set _ZN7rocprim17ROCPRIM_400000_NS6detail17trampoline_kernelINS0_14default_configENS1_25partition_config_selectorILNS1_17partition_subalgoE6EiNS0_10empty_typeEbEEZZNS1_14partition_implILS5_6ELb0ES3_mN6thrust23THRUST_200600_302600_NS6detail15normal_iteratorINSA_10device_ptrIiEEEEPS6_SG_NS0_5tupleIJNSA_16discard_iteratorINSA_11use_defaultEEES6_EEENSH_IJSG_SG_EEES6_PlJNSB_9not_fun_tINSB_14equal_to_valueIiEEEEEEE10hipError_tPvRmT3_T4_T5_T6_T7_T9_mT8_P12ihipStream_tbDpT10_ENKUlT_T0_E_clISt17integral_constantIbLb0EES1B_EEDaS16_S17_EUlS16_E_NS1_11comp_targetILNS1_3genE10ELNS1_11target_archE1200ELNS1_3gpuE4ELNS1_3repE0EEENS1_30default_config_static_selectorELNS0_4arch9wavefront6targetE0EEEvT1_.has_indirect_call, 0
	.section	.AMDGPU.csdata,"",@progbits
; Kernel info:
; codeLenInByte = 6520
; TotalNumSgprs: 24
; NumVgprs: 48
; ScratchSize: 0
; MemoryBound: 0
; FloatMode: 240
; IeeeMode: 1
; LDSByteSize: 10768 bytes/workgroup (compile time only)
; SGPRBlocks: 0
; VGPRBlocks: 5
; NumSGPRsForWavesPerEU: 24
; NumVGPRsForWavesPerEU: 48
; Occupancy: 15
; WaveLimiterHint : 1
; COMPUTE_PGM_RSRC2:SCRATCH_EN: 0
; COMPUTE_PGM_RSRC2:USER_SGPR: 2
; COMPUTE_PGM_RSRC2:TRAP_HANDLER: 0
; COMPUTE_PGM_RSRC2:TGID_X_EN: 1
; COMPUTE_PGM_RSRC2:TGID_Y_EN: 0
; COMPUTE_PGM_RSRC2:TGID_Z_EN: 0
; COMPUTE_PGM_RSRC2:TIDIG_COMP_CNT: 0
	.section	.text._ZN7rocprim17ROCPRIM_400000_NS6detail17trampoline_kernelINS0_14default_configENS1_25partition_config_selectorILNS1_17partition_subalgoE6EiNS0_10empty_typeEbEEZZNS1_14partition_implILS5_6ELb0ES3_mN6thrust23THRUST_200600_302600_NS6detail15normal_iteratorINSA_10device_ptrIiEEEEPS6_SG_NS0_5tupleIJNSA_16discard_iteratorINSA_11use_defaultEEES6_EEENSH_IJSG_SG_EEES6_PlJNSB_9not_fun_tINSB_14equal_to_valueIiEEEEEEE10hipError_tPvRmT3_T4_T5_T6_T7_T9_mT8_P12ihipStream_tbDpT10_ENKUlT_T0_E_clISt17integral_constantIbLb0EES1B_EEDaS16_S17_EUlS16_E_NS1_11comp_targetILNS1_3genE9ELNS1_11target_archE1100ELNS1_3gpuE3ELNS1_3repE0EEENS1_30default_config_static_selectorELNS0_4arch9wavefront6targetE0EEEvT1_,"axG",@progbits,_ZN7rocprim17ROCPRIM_400000_NS6detail17trampoline_kernelINS0_14default_configENS1_25partition_config_selectorILNS1_17partition_subalgoE6EiNS0_10empty_typeEbEEZZNS1_14partition_implILS5_6ELb0ES3_mN6thrust23THRUST_200600_302600_NS6detail15normal_iteratorINSA_10device_ptrIiEEEEPS6_SG_NS0_5tupleIJNSA_16discard_iteratorINSA_11use_defaultEEES6_EEENSH_IJSG_SG_EEES6_PlJNSB_9not_fun_tINSB_14equal_to_valueIiEEEEEEE10hipError_tPvRmT3_T4_T5_T6_T7_T9_mT8_P12ihipStream_tbDpT10_ENKUlT_T0_E_clISt17integral_constantIbLb0EES1B_EEDaS16_S17_EUlS16_E_NS1_11comp_targetILNS1_3genE9ELNS1_11target_archE1100ELNS1_3gpuE3ELNS1_3repE0EEENS1_30default_config_static_selectorELNS0_4arch9wavefront6targetE0EEEvT1_,comdat
	.protected	_ZN7rocprim17ROCPRIM_400000_NS6detail17trampoline_kernelINS0_14default_configENS1_25partition_config_selectorILNS1_17partition_subalgoE6EiNS0_10empty_typeEbEEZZNS1_14partition_implILS5_6ELb0ES3_mN6thrust23THRUST_200600_302600_NS6detail15normal_iteratorINSA_10device_ptrIiEEEEPS6_SG_NS0_5tupleIJNSA_16discard_iteratorINSA_11use_defaultEEES6_EEENSH_IJSG_SG_EEES6_PlJNSB_9not_fun_tINSB_14equal_to_valueIiEEEEEEE10hipError_tPvRmT3_T4_T5_T6_T7_T9_mT8_P12ihipStream_tbDpT10_ENKUlT_T0_E_clISt17integral_constantIbLb0EES1B_EEDaS16_S17_EUlS16_E_NS1_11comp_targetILNS1_3genE9ELNS1_11target_archE1100ELNS1_3gpuE3ELNS1_3repE0EEENS1_30default_config_static_selectorELNS0_4arch9wavefront6targetE0EEEvT1_ ; -- Begin function _ZN7rocprim17ROCPRIM_400000_NS6detail17trampoline_kernelINS0_14default_configENS1_25partition_config_selectorILNS1_17partition_subalgoE6EiNS0_10empty_typeEbEEZZNS1_14partition_implILS5_6ELb0ES3_mN6thrust23THRUST_200600_302600_NS6detail15normal_iteratorINSA_10device_ptrIiEEEEPS6_SG_NS0_5tupleIJNSA_16discard_iteratorINSA_11use_defaultEEES6_EEENSH_IJSG_SG_EEES6_PlJNSB_9not_fun_tINSB_14equal_to_valueIiEEEEEEE10hipError_tPvRmT3_T4_T5_T6_T7_T9_mT8_P12ihipStream_tbDpT10_ENKUlT_T0_E_clISt17integral_constantIbLb0EES1B_EEDaS16_S17_EUlS16_E_NS1_11comp_targetILNS1_3genE9ELNS1_11target_archE1100ELNS1_3gpuE3ELNS1_3repE0EEENS1_30default_config_static_selectorELNS0_4arch9wavefront6targetE0EEEvT1_
	.globl	_ZN7rocprim17ROCPRIM_400000_NS6detail17trampoline_kernelINS0_14default_configENS1_25partition_config_selectorILNS1_17partition_subalgoE6EiNS0_10empty_typeEbEEZZNS1_14partition_implILS5_6ELb0ES3_mN6thrust23THRUST_200600_302600_NS6detail15normal_iteratorINSA_10device_ptrIiEEEEPS6_SG_NS0_5tupleIJNSA_16discard_iteratorINSA_11use_defaultEEES6_EEENSH_IJSG_SG_EEES6_PlJNSB_9not_fun_tINSB_14equal_to_valueIiEEEEEEE10hipError_tPvRmT3_T4_T5_T6_T7_T9_mT8_P12ihipStream_tbDpT10_ENKUlT_T0_E_clISt17integral_constantIbLb0EES1B_EEDaS16_S17_EUlS16_E_NS1_11comp_targetILNS1_3genE9ELNS1_11target_archE1100ELNS1_3gpuE3ELNS1_3repE0EEENS1_30default_config_static_selectorELNS0_4arch9wavefront6targetE0EEEvT1_
	.p2align	8
	.type	_ZN7rocprim17ROCPRIM_400000_NS6detail17trampoline_kernelINS0_14default_configENS1_25partition_config_selectorILNS1_17partition_subalgoE6EiNS0_10empty_typeEbEEZZNS1_14partition_implILS5_6ELb0ES3_mN6thrust23THRUST_200600_302600_NS6detail15normal_iteratorINSA_10device_ptrIiEEEEPS6_SG_NS0_5tupleIJNSA_16discard_iteratorINSA_11use_defaultEEES6_EEENSH_IJSG_SG_EEES6_PlJNSB_9not_fun_tINSB_14equal_to_valueIiEEEEEEE10hipError_tPvRmT3_T4_T5_T6_T7_T9_mT8_P12ihipStream_tbDpT10_ENKUlT_T0_E_clISt17integral_constantIbLb0EES1B_EEDaS16_S17_EUlS16_E_NS1_11comp_targetILNS1_3genE9ELNS1_11target_archE1100ELNS1_3gpuE3ELNS1_3repE0EEENS1_30default_config_static_selectorELNS0_4arch9wavefront6targetE0EEEvT1_,@function
_ZN7rocprim17ROCPRIM_400000_NS6detail17trampoline_kernelINS0_14default_configENS1_25partition_config_selectorILNS1_17partition_subalgoE6EiNS0_10empty_typeEbEEZZNS1_14partition_implILS5_6ELb0ES3_mN6thrust23THRUST_200600_302600_NS6detail15normal_iteratorINSA_10device_ptrIiEEEEPS6_SG_NS0_5tupleIJNSA_16discard_iteratorINSA_11use_defaultEEES6_EEENSH_IJSG_SG_EEES6_PlJNSB_9not_fun_tINSB_14equal_to_valueIiEEEEEEE10hipError_tPvRmT3_T4_T5_T6_T7_T9_mT8_P12ihipStream_tbDpT10_ENKUlT_T0_E_clISt17integral_constantIbLb0EES1B_EEDaS16_S17_EUlS16_E_NS1_11comp_targetILNS1_3genE9ELNS1_11target_archE1100ELNS1_3gpuE3ELNS1_3repE0EEENS1_30default_config_static_selectorELNS0_4arch9wavefront6targetE0EEEvT1_: ; @_ZN7rocprim17ROCPRIM_400000_NS6detail17trampoline_kernelINS0_14default_configENS1_25partition_config_selectorILNS1_17partition_subalgoE6EiNS0_10empty_typeEbEEZZNS1_14partition_implILS5_6ELb0ES3_mN6thrust23THRUST_200600_302600_NS6detail15normal_iteratorINSA_10device_ptrIiEEEEPS6_SG_NS0_5tupleIJNSA_16discard_iteratorINSA_11use_defaultEEES6_EEENSH_IJSG_SG_EEES6_PlJNSB_9not_fun_tINSB_14equal_to_valueIiEEEEEEE10hipError_tPvRmT3_T4_T5_T6_T7_T9_mT8_P12ihipStream_tbDpT10_ENKUlT_T0_E_clISt17integral_constantIbLb0EES1B_EEDaS16_S17_EUlS16_E_NS1_11comp_targetILNS1_3genE9ELNS1_11target_archE1100ELNS1_3gpuE3ELNS1_3repE0EEENS1_30default_config_static_selectorELNS0_4arch9wavefront6targetE0EEEvT1_
; %bb.0:
	.section	.rodata,"a",@progbits
	.p2align	6, 0x0
	.amdhsa_kernel _ZN7rocprim17ROCPRIM_400000_NS6detail17trampoline_kernelINS0_14default_configENS1_25partition_config_selectorILNS1_17partition_subalgoE6EiNS0_10empty_typeEbEEZZNS1_14partition_implILS5_6ELb0ES3_mN6thrust23THRUST_200600_302600_NS6detail15normal_iteratorINSA_10device_ptrIiEEEEPS6_SG_NS0_5tupleIJNSA_16discard_iteratorINSA_11use_defaultEEES6_EEENSH_IJSG_SG_EEES6_PlJNSB_9not_fun_tINSB_14equal_to_valueIiEEEEEEE10hipError_tPvRmT3_T4_T5_T6_T7_T9_mT8_P12ihipStream_tbDpT10_ENKUlT_T0_E_clISt17integral_constantIbLb0EES1B_EEDaS16_S17_EUlS16_E_NS1_11comp_targetILNS1_3genE9ELNS1_11target_archE1100ELNS1_3gpuE3ELNS1_3repE0EEENS1_30default_config_static_selectorELNS0_4arch9wavefront6targetE0EEEvT1_
		.amdhsa_group_segment_fixed_size 0
		.amdhsa_private_segment_fixed_size 0
		.amdhsa_kernarg_size 128
		.amdhsa_user_sgpr_count 2
		.amdhsa_user_sgpr_dispatch_ptr 0
		.amdhsa_user_sgpr_queue_ptr 0
		.amdhsa_user_sgpr_kernarg_segment_ptr 1
		.amdhsa_user_sgpr_dispatch_id 0
		.amdhsa_user_sgpr_private_segment_size 0
		.amdhsa_wavefront_size32 1
		.amdhsa_uses_dynamic_stack 0
		.amdhsa_enable_private_segment 0
		.amdhsa_system_sgpr_workgroup_id_x 1
		.amdhsa_system_sgpr_workgroup_id_y 0
		.amdhsa_system_sgpr_workgroup_id_z 0
		.amdhsa_system_sgpr_workgroup_info 0
		.amdhsa_system_vgpr_workitem_id 0
		.amdhsa_next_free_vgpr 1
		.amdhsa_next_free_sgpr 1
		.amdhsa_reserve_vcc 0
		.amdhsa_float_round_mode_32 0
		.amdhsa_float_round_mode_16_64 0
		.amdhsa_float_denorm_mode_32 3
		.amdhsa_float_denorm_mode_16_64 3
		.amdhsa_fp16_overflow 0
		.amdhsa_workgroup_processor_mode 1
		.amdhsa_memory_ordered 1
		.amdhsa_forward_progress 1
		.amdhsa_inst_pref_size 0
		.amdhsa_round_robin_scheduling 0
		.amdhsa_exception_fp_ieee_invalid_op 0
		.amdhsa_exception_fp_denorm_src 0
		.amdhsa_exception_fp_ieee_div_zero 0
		.amdhsa_exception_fp_ieee_overflow 0
		.amdhsa_exception_fp_ieee_underflow 0
		.amdhsa_exception_fp_ieee_inexact 0
		.amdhsa_exception_int_div_zero 0
	.end_amdhsa_kernel
	.section	.text._ZN7rocprim17ROCPRIM_400000_NS6detail17trampoline_kernelINS0_14default_configENS1_25partition_config_selectorILNS1_17partition_subalgoE6EiNS0_10empty_typeEbEEZZNS1_14partition_implILS5_6ELb0ES3_mN6thrust23THRUST_200600_302600_NS6detail15normal_iteratorINSA_10device_ptrIiEEEEPS6_SG_NS0_5tupleIJNSA_16discard_iteratorINSA_11use_defaultEEES6_EEENSH_IJSG_SG_EEES6_PlJNSB_9not_fun_tINSB_14equal_to_valueIiEEEEEEE10hipError_tPvRmT3_T4_T5_T6_T7_T9_mT8_P12ihipStream_tbDpT10_ENKUlT_T0_E_clISt17integral_constantIbLb0EES1B_EEDaS16_S17_EUlS16_E_NS1_11comp_targetILNS1_3genE9ELNS1_11target_archE1100ELNS1_3gpuE3ELNS1_3repE0EEENS1_30default_config_static_selectorELNS0_4arch9wavefront6targetE0EEEvT1_,"axG",@progbits,_ZN7rocprim17ROCPRIM_400000_NS6detail17trampoline_kernelINS0_14default_configENS1_25partition_config_selectorILNS1_17partition_subalgoE6EiNS0_10empty_typeEbEEZZNS1_14partition_implILS5_6ELb0ES3_mN6thrust23THRUST_200600_302600_NS6detail15normal_iteratorINSA_10device_ptrIiEEEEPS6_SG_NS0_5tupleIJNSA_16discard_iteratorINSA_11use_defaultEEES6_EEENSH_IJSG_SG_EEES6_PlJNSB_9not_fun_tINSB_14equal_to_valueIiEEEEEEE10hipError_tPvRmT3_T4_T5_T6_T7_T9_mT8_P12ihipStream_tbDpT10_ENKUlT_T0_E_clISt17integral_constantIbLb0EES1B_EEDaS16_S17_EUlS16_E_NS1_11comp_targetILNS1_3genE9ELNS1_11target_archE1100ELNS1_3gpuE3ELNS1_3repE0EEENS1_30default_config_static_selectorELNS0_4arch9wavefront6targetE0EEEvT1_,comdat
.Lfunc_end1763:
	.size	_ZN7rocprim17ROCPRIM_400000_NS6detail17trampoline_kernelINS0_14default_configENS1_25partition_config_selectorILNS1_17partition_subalgoE6EiNS0_10empty_typeEbEEZZNS1_14partition_implILS5_6ELb0ES3_mN6thrust23THRUST_200600_302600_NS6detail15normal_iteratorINSA_10device_ptrIiEEEEPS6_SG_NS0_5tupleIJNSA_16discard_iteratorINSA_11use_defaultEEES6_EEENSH_IJSG_SG_EEES6_PlJNSB_9not_fun_tINSB_14equal_to_valueIiEEEEEEE10hipError_tPvRmT3_T4_T5_T6_T7_T9_mT8_P12ihipStream_tbDpT10_ENKUlT_T0_E_clISt17integral_constantIbLb0EES1B_EEDaS16_S17_EUlS16_E_NS1_11comp_targetILNS1_3genE9ELNS1_11target_archE1100ELNS1_3gpuE3ELNS1_3repE0EEENS1_30default_config_static_selectorELNS0_4arch9wavefront6targetE0EEEvT1_, .Lfunc_end1763-_ZN7rocprim17ROCPRIM_400000_NS6detail17trampoline_kernelINS0_14default_configENS1_25partition_config_selectorILNS1_17partition_subalgoE6EiNS0_10empty_typeEbEEZZNS1_14partition_implILS5_6ELb0ES3_mN6thrust23THRUST_200600_302600_NS6detail15normal_iteratorINSA_10device_ptrIiEEEEPS6_SG_NS0_5tupleIJNSA_16discard_iteratorINSA_11use_defaultEEES6_EEENSH_IJSG_SG_EEES6_PlJNSB_9not_fun_tINSB_14equal_to_valueIiEEEEEEE10hipError_tPvRmT3_T4_T5_T6_T7_T9_mT8_P12ihipStream_tbDpT10_ENKUlT_T0_E_clISt17integral_constantIbLb0EES1B_EEDaS16_S17_EUlS16_E_NS1_11comp_targetILNS1_3genE9ELNS1_11target_archE1100ELNS1_3gpuE3ELNS1_3repE0EEENS1_30default_config_static_selectorELNS0_4arch9wavefront6targetE0EEEvT1_
                                        ; -- End function
	.set _ZN7rocprim17ROCPRIM_400000_NS6detail17trampoline_kernelINS0_14default_configENS1_25partition_config_selectorILNS1_17partition_subalgoE6EiNS0_10empty_typeEbEEZZNS1_14partition_implILS5_6ELb0ES3_mN6thrust23THRUST_200600_302600_NS6detail15normal_iteratorINSA_10device_ptrIiEEEEPS6_SG_NS0_5tupleIJNSA_16discard_iteratorINSA_11use_defaultEEES6_EEENSH_IJSG_SG_EEES6_PlJNSB_9not_fun_tINSB_14equal_to_valueIiEEEEEEE10hipError_tPvRmT3_T4_T5_T6_T7_T9_mT8_P12ihipStream_tbDpT10_ENKUlT_T0_E_clISt17integral_constantIbLb0EES1B_EEDaS16_S17_EUlS16_E_NS1_11comp_targetILNS1_3genE9ELNS1_11target_archE1100ELNS1_3gpuE3ELNS1_3repE0EEENS1_30default_config_static_selectorELNS0_4arch9wavefront6targetE0EEEvT1_.num_vgpr, 0
	.set _ZN7rocprim17ROCPRIM_400000_NS6detail17trampoline_kernelINS0_14default_configENS1_25partition_config_selectorILNS1_17partition_subalgoE6EiNS0_10empty_typeEbEEZZNS1_14partition_implILS5_6ELb0ES3_mN6thrust23THRUST_200600_302600_NS6detail15normal_iteratorINSA_10device_ptrIiEEEEPS6_SG_NS0_5tupleIJNSA_16discard_iteratorINSA_11use_defaultEEES6_EEENSH_IJSG_SG_EEES6_PlJNSB_9not_fun_tINSB_14equal_to_valueIiEEEEEEE10hipError_tPvRmT3_T4_T5_T6_T7_T9_mT8_P12ihipStream_tbDpT10_ENKUlT_T0_E_clISt17integral_constantIbLb0EES1B_EEDaS16_S17_EUlS16_E_NS1_11comp_targetILNS1_3genE9ELNS1_11target_archE1100ELNS1_3gpuE3ELNS1_3repE0EEENS1_30default_config_static_selectorELNS0_4arch9wavefront6targetE0EEEvT1_.num_agpr, 0
	.set _ZN7rocprim17ROCPRIM_400000_NS6detail17trampoline_kernelINS0_14default_configENS1_25partition_config_selectorILNS1_17partition_subalgoE6EiNS0_10empty_typeEbEEZZNS1_14partition_implILS5_6ELb0ES3_mN6thrust23THRUST_200600_302600_NS6detail15normal_iteratorINSA_10device_ptrIiEEEEPS6_SG_NS0_5tupleIJNSA_16discard_iteratorINSA_11use_defaultEEES6_EEENSH_IJSG_SG_EEES6_PlJNSB_9not_fun_tINSB_14equal_to_valueIiEEEEEEE10hipError_tPvRmT3_T4_T5_T6_T7_T9_mT8_P12ihipStream_tbDpT10_ENKUlT_T0_E_clISt17integral_constantIbLb0EES1B_EEDaS16_S17_EUlS16_E_NS1_11comp_targetILNS1_3genE9ELNS1_11target_archE1100ELNS1_3gpuE3ELNS1_3repE0EEENS1_30default_config_static_selectorELNS0_4arch9wavefront6targetE0EEEvT1_.numbered_sgpr, 0
	.set _ZN7rocprim17ROCPRIM_400000_NS6detail17trampoline_kernelINS0_14default_configENS1_25partition_config_selectorILNS1_17partition_subalgoE6EiNS0_10empty_typeEbEEZZNS1_14partition_implILS5_6ELb0ES3_mN6thrust23THRUST_200600_302600_NS6detail15normal_iteratorINSA_10device_ptrIiEEEEPS6_SG_NS0_5tupleIJNSA_16discard_iteratorINSA_11use_defaultEEES6_EEENSH_IJSG_SG_EEES6_PlJNSB_9not_fun_tINSB_14equal_to_valueIiEEEEEEE10hipError_tPvRmT3_T4_T5_T6_T7_T9_mT8_P12ihipStream_tbDpT10_ENKUlT_T0_E_clISt17integral_constantIbLb0EES1B_EEDaS16_S17_EUlS16_E_NS1_11comp_targetILNS1_3genE9ELNS1_11target_archE1100ELNS1_3gpuE3ELNS1_3repE0EEENS1_30default_config_static_selectorELNS0_4arch9wavefront6targetE0EEEvT1_.num_named_barrier, 0
	.set _ZN7rocprim17ROCPRIM_400000_NS6detail17trampoline_kernelINS0_14default_configENS1_25partition_config_selectorILNS1_17partition_subalgoE6EiNS0_10empty_typeEbEEZZNS1_14partition_implILS5_6ELb0ES3_mN6thrust23THRUST_200600_302600_NS6detail15normal_iteratorINSA_10device_ptrIiEEEEPS6_SG_NS0_5tupleIJNSA_16discard_iteratorINSA_11use_defaultEEES6_EEENSH_IJSG_SG_EEES6_PlJNSB_9not_fun_tINSB_14equal_to_valueIiEEEEEEE10hipError_tPvRmT3_T4_T5_T6_T7_T9_mT8_P12ihipStream_tbDpT10_ENKUlT_T0_E_clISt17integral_constantIbLb0EES1B_EEDaS16_S17_EUlS16_E_NS1_11comp_targetILNS1_3genE9ELNS1_11target_archE1100ELNS1_3gpuE3ELNS1_3repE0EEENS1_30default_config_static_selectorELNS0_4arch9wavefront6targetE0EEEvT1_.private_seg_size, 0
	.set _ZN7rocprim17ROCPRIM_400000_NS6detail17trampoline_kernelINS0_14default_configENS1_25partition_config_selectorILNS1_17partition_subalgoE6EiNS0_10empty_typeEbEEZZNS1_14partition_implILS5_6ELb0ES3_mN6thrust23THRUST_200600_302600_NS6detail15normal_iteratorINSA_10device_ptrIiEEEEPS6_SG_NS0_5tupleIJNSA_16discard_iteratorINSA_11use_defaultEEES6_EEENSH_IJSG_SG_EEES6_PlJNSB_9not_fun_tINSB_14equal_to_valueIiEEEEEEE10hipError_tPvRmT3_T4_T5_T6_T7_T9_mT8_P12ihipStream_tbDpT10_ENKUlT_T0_E_clISt17integral_constantIbLb0EES1B_EEDaS16_S17_EUlS16_E_NS1_11comp_targetILNS1_3genE9ELNS1_11target_archE1100ELNS1_3gpuE3ELNS1_3repE0EEENS1_30default_config_static_selectorELNS0_4arch9wavefront6targetE0EEEvT1_.uses_vcc, 0
	.set _ZN7rocprim17ROCPRIM_400000_NS6detail17trampoline_kernelINS0_14default_configENS1_25partition_config_selectorILNS1_17partition_subalgoE6EiNS0_10empty_typeEbEEZZNS1_14partition_implILS5_6ELb0ES3_mN6thrust23THRUST_200600_302600_NS6detail15normal_iteratorINSA_10device_ptrIiEEEEPS6_SG_NS0_5tupleIJNSA_16discard_iteratorINSA_11use_defaultEEES6_EEENSH_IJSG_SG_EEES6_PlJNSB_9not_fun_tINSB_14equal_to_valueIiEEEEEEE10hipError_tPvRmT3_T4_T5_T6_T7_T9_mT8_P12ihipStream_tbDpT10_ENKUlT_T0_E_clISt17integral_constantIbLb0EES1B_EEDaS16_S17_EUlS16_E_NS1_11comp_targetILNS1_3genE9ELNS1_11target_archE1100ELNS1_3gpuE3ELNS1_3repE0EEENS1_30default_config_static_selectorELNS0_4arch9wavefront6targetE0EEEvT1_.uses_flat_scratch, 0
	.set _ZN7rocprim17ROCPRIM_400000_NS6detail17trampoline_kernelINS0_14default_configENS1_25partition_config_selectorILNS1_17partition_subalgoE6EiNS0_10empty_typeEbEEZZNS1_14partition_implILS5_6ELb0ES3_mN6thrust23THRUST_200600_302600_NS6detail15normal_iteratorINSA_10device_ptrIiEEEEPS6_SG_NS0_5tupleIJNSA_16discard_iteratorINSA_11use_defaultEEES6_EEENSH_IJSG_SG_EEES6_PlJNSB_9not_fun_tINSB_14equal_to_valueIiEEEEEEE10hipError_tPvRmT3_T4_T5_T6_T7_T9_mT8_P12ihipStream_tbDpT10_ENKUlT_T0_E_clISt17integral_constantIbLb0EES1B_EEDaS16_S17_EUlS16_E_NS1_11comp_targetILNS1_3genE9ELNS1_11target_archE1100ELNS1_3gpuE3ELNS1_3repE0EEENS1_30default_config_static_selectorELNS0_4arch9wavefront6targetE0EEEvT1_.has_dyn_sized_stack, 0
	.set _ZN7rocprim17ROCPRIM_400000_NS6detail17trampoline_kernelINS0_14default_configENS1_25partition_config_selectorILNS1_17partition_subalgoE6EiNS0_10empty_typeEbEEZZNS1_14partition_implILS5_6ELb0ES3_mN6thrust23THRUST_200600_302600_NS6detail15normal_iteratorINSA_10device_ptrIiEEEEPS6_SG_NS0_5tupleIJNSA_16discard_iteratorINSA_11use_defaultEEES6_EEENSH_IJSG_SG_EEES6_PlJNSB_9not_fun_tINSB_14equal_to_valueIiEEEEEEE10hipError_tPvRmT3_T4_T5_T6_T7_T9_mT8_P12ihipStream_tbDpT10_ENKUlT_T0_E_clISt17integral_constantIbLb0EES1B_EEDaS16_S17_EUlS16_E_NS1_11comp_targetILNS1_3genE9ELNS1_11target_archE1100ELNS1_3gpuE3ELNS1_3repE0EEENS1_30default_config_static_selectorELNS0_4arch9wavefront6targetE0EEEvT1_.has_recursion, 0
	.set _ZN7rocprim17ROCPRIM_400000_NS6detail17trampoline_kernelINS0_14default_configENS1_25partition_config_selectorILNS1_17partition_subalgoE6EiNS0_10empty_typeEbEEZZNS1_14partition_implILS5_6ELb0ES3_mN6thrust23THRUST_200600_302600_NS6detail15normal_iteratorINSA_10device_ptrIiEEEEPS6_SG_NS0_5tupleIJNSA_16discard_iteratorINSA_11use_defaultEEES6_EEENSH_IJSG_SG_EEES6_PlJNSB_9not_fun_tINSB_14equal_to_valueIiEEEEEEE10hipError_tPvRmT3_T4_T5_T6_T7_T9_mT8_P12ihipStream_tbDpT10_ENKUlT_T0_E_clISt17integral_constantIbLb0EES1B_EEDaS16_S17_EUlS16_E_NS1_11comp_targetILNS1_3genE9ELNS1_11target_archE1100ELNS1_3gpuE3ELNS1_3repE0EEENS1_30default_config_static_selectorELNS0_4arch9wavefront6targetE0EEEvT1_.has_indirect_call, 0
	.section	.AMDGPU.csdata,"",@progbits
; Kernel info:
; codeLenInByte = 0
; TotalNumSgprs: 0
; NumVgprs: 0
; ScratchSize: 0
; MemoryBound: 0
; FloatMode: 240
; IeeeMode: 1
; LDSByteSize: 0 bytes/workgroup (compile time only)
; SGPRBlocks: 0
; VGPRBlocks: 0
; NumSGPRsForWavesPerEU: 1
; NumVGPRsForWavesPerEU: 1
; Occupancy: 16
; WaveLimiterHint : 0
; COMPUTE_PGM_RSRC2:SCRATCH_EN: 0
; COMPUTE_PGM_RSRC2:USER_SGPR: 2
; COMPUTE_PGM_RSRC2:TRAP_HANDLER: 0
; COMPUTE_PGM_RSRC2:TGID_X_EN: 1
; COMPUTE_PGM_RSRC2:TGID_Y_EN: 0
; COMPUTE_PGM_RSRC2:TGID_Z_EN: 0
; COMPUTE_PGM_RSRC2:TIDIG_COMP_CNT: 0
	.section	.text._ZN7rocprim17ROCPRIM_400000_NS6detail17trampoline_kernelINS0_14default_configENS1_25partition_config_selectorILNS1_17partition_subalgoE6EiNS0_10empty_typeEbEEZZNS1_14partition_implILS5_6ELb0ES3_mN6thrust23THRUST_200600_302600_NS6detail15normal_iteratorINSA_10device_ptrIiEEEEPS6_SG_NS0_5tupleIJNSA_16discard_iteratorINSA_11use_defaultEEES6_EEENSH_IJSG_SG_EEES6_PlJNSB_9not_fun_tINSB_14equal_to_valueIiEEEEEEE10hipError_tPvRmT3_T4_T5_T6_T7_T9_mT8_P12ihipStream_tbDpT10_ENKUlT_T0_E_clISt17integral_constantIbLb0EES1B_EEDaS16_S17_EUlS16_E_NS1_11comp_targetILNS1_3genE8ELNS1_11target_archE1030ELNS1_3gpuE2ELNS1_3repE0EEENS1_30default_config_static_selectorELNS0_4arch9wavefront6targetE0EEEvT1_,"axG",@progbits,_ZN7rocprim17ROCPRIM_400000_NS6detail17trampoline_kernelINS0_14default_configENS1_25partition_config_selectorILNS1_17partition_subalgoE6EiNS0_10empty_typeEbEEZZNS1_14partition_implILS5_6ELb0ES3_mN6thrust23THRUST_200600_302600_NS6detail15normal_iteratorINSA_10device_ptrIiEEEEPS6_SG_NS0_5tupleIJNSA_16discard_iteratorINSA_11use_defaultEEES6_EEENSH_IJSG_SG_EEES6_PlJNSB_9not_fun_tINSB_14equal_to_valueIiEEEEEEE10hipError_tPvRmT3_T4_T5_T6_T7_T9_mT8_P12ihipStream_tbDpT10_ENKUlT_T0_E_clISt17integral_constantIbLb0EES1B_EEDaS16_S17_EUlS16_E_NS1_11comp_targetILNS1_3genE8ELNS1_11target_archE1030ELNS1_3gpuE2ELNS1_3repE0EEENS1_30default_config_static_selectorELNS0_4arch9wavefront6targetE0EEEvT1_,comdat
	.protected	_ZN7rocprim17ROCPRIM_400000_NS6detail17trampoline_kernelINS0_14default_configENS1_25partition_config_selectorILNS1_17partition_subalgoE6EiNS0_10empty_typeEbEEZZNS1_14partition_implILS5_6ELb0ES3_mN6thrust23THRUST_200600_302600_NS6detail15normal_iteratorINSA_10device_ptrIiEEEEPS6_SG_NS0_5tupleIJNSA_16discard_iteratorINSA_11use_defaultEEES6_EEENSH_IJSG_SG_EEES6_PlJNSB_9not_fun_tINSB_14equal_to_valueIiEEEEEEE10hipError_tPvRmT3_T4_T5_T6_T7_T9_mT8_P12ihipStream_tbDpT10_ENKUlT_T0_E_clISt17integral_constantIbLb0EES1B_EEDaS16_S17_EUlS16_E_NS1_11comp_targetILNS1_3genE8ELNS1_11target_archE1030ELNS1_3gpuE2ELNS1_3repE0EEENS1_30default_config_static_selectorELNS0_4arch9wavefront6targetE0EEEvT1_ ; -- Begin function _ZN7rocprim17ROCPRIM_400000_NS6detail17trampoline_kernelINS0_14default_configENS1_25partition_config_selectorILNS1_17partition_subalgoE6EiNS0_10empty_typeEbEEZZNS1_14partition_implILS5_6ELb0ES3_mN6thrust23THRUST_200600_302600_NS6detail15normal_iteratorINSA_10device_ptrIiEEEEPS6_SG_NS0_5tupleIJNSA_16discard_iteratorINSA_11use_defaultEEES6_EEENSH_IJSG_SG_EEES6_PlJNSB_9not_fun_tINSB_14equal_to_valueIiEEEEEEE10hipError_tPvRmT3_T4_T5_T6_T7_T9_mT8_P12ihipStream_tbDpT10_ENKUlT_T0_E_clISt17integral_constantIbLb0EES1B_EEDaS16_S17_EUlS16_E_NS1_11comp_targetILNS1_3genE8ELNS1_11target_archE1030ELNS1_3gpuE2ELNS1_3repE0EEENS1_30default_config_static_selectorELNS0_4arch9wavefront6targetE0EEEvT1_
	.globl	_ZN7rocprim17ROCPRIM_400000_NS6detail17trampoline_kernelINS0_14default_configENS1_25partition_config_selectorILNS1_17partition_subalgoE6EiNS0_10empty_typeEbEEZZNS1_14partition_implILS5_6ELb0ES3_mN6thrust23THRUST_200600_302600_NS6detail15normal_iteratorINSA_10device_ptrIiEEEEPS6_SG_NS0_5tupleIJNSA_16discard_iteratorINSA_11use_defaultEEES6_EEENSH_IJSG_SG_EEES6_PlJNSB_9not_fun_tINSB_14equal_to_valueIiEEEEEEE10hipError_tPvRmT3_T4_T5_T6_T7_T9_mT8_P12ihipStream_tbDpT10_ENKUlT_T0_E_clISt17integral_constantIbLb0EES1B_EEDaS16_S17_EUlS16_E_NS1_11comp_targetILNS1_3genE8ELNS1_11target_archE1030ELNS1_3gpuE2ELNS1_3repE0EEENS1_30default_config_static_selectorELNS0_4arch9wavefront6targetE0EEEvT1_
	.p2align	8
	.type	_ZN7rocprim17ROCPRIM_400000_NS6detail17trampoline_kernelINS0_14default_configENS1_25partition_config_selectorILNS1_17partition_subalgoE6EiNS0_10empty_typeEbEEZZNS1_14partition_implILS5_6ELb0ES3_mN6thrust23THRUST_200600_302600_NS6detail15normal_iteratorINSA_10device_ptrIiEEEEPS6_SG_NS0_5tupleIJNSA_16discard_iteratorINSA_11use_defaultEEES6_EEENSH_IJSG_SG_EEES6_PlJNSB_9not_fun_tINSB_14equal_to_valueIiEEEEEEE10hipError_tPvRmT3_T4_T5_T6_T7_T9_mT8_P12ihipStream_tbDpT10_ENKUlT_T0_E_clISt17integral_constantIbLb0EES1B_EEDaS16_S17_EUlS16_E_NS1_11comp_targetILNS1_3genE8ELNS1_11target_archE1030ELNS1_3gpuE2ELNS1_3repE0EEENS1_30default_config_static_selectorELNS0_4arch9wavefront6targetE0EEEvT1_,@function
_ZN7rocprim17ROCPRIM_400000_NS6detail17trampoline_kernelINS0_14default_configENS1_25partition_config_selectorILNS1_17partition_subalgoE6EiNS0_10empty_typeEbEEZZNS1_14partition_implILS5_6ELb0ES3_mN6thrust23THRUST_200600_302600_NS6detail15normal_iteratorINSA_10device_ptrIiEEEEPS6_SG_NS0_5tupleIJNSA_16discard_iteratorINSA_11use_defaultEEES6_EEENSH_IJSG_SG_EEES6_PlJNSB_9not_fun_tINSB_14equal_to_valueIiEEEEEEE10hipError_tPvRmT3_T4_T5_T6_T7_T9_mT8_P12ihipStream_tbDpT10_ENKUlT_T0_E_clISt17integral_constantIbLb0EES1B_EEDaS16_S17_EUlS16_E_NS1_11comp_targetILNS1_3genE8ELNS1_11target_archE1030ELNS1_3gpuE2ELNS1_3repE0EEENS1_30default_config_static_selectorELNS0_4arch9wavefront6targetE0EEEvT1_: ; @_ZN7rocprim17ROCPRIM_400000_NS6detail17trampoline_kernelINS0_14default_configENS1_25partition_config_selectorILNS1_17partition_subalgoE6EiNS0_10empty_typeEbEEZZNS1_14partition_implILS5_6ELb0ES3_mN6thrust23THRUST_200600_302600_NS6detail15normal_iteratorINSA_10device_ptrIiEEEEPS6_SG_NS0_5tupleIJNSA_16discard_iteratorINSA_11use_defaultEEES6_EEENSH_IJSG_SG_EEES6_PlJNSB_9not_fun_tINSB_14equal_to_valueIiEEEEEEE10hipError_tPvRmT3_T4_T5_T6_T7_T9_mT8_P12ihipStream_tbDpT10_ENKUlT_T0_E_clISt17integral_constantIbLb0EES1B_EEDaS16_S17_EUlS16_E_NS1_11comp_targetILNS1_3genE8ELNS1_11target_archE1030ELNS1_3gpuE2ELNS1_3repE0EEENS1_30default_config_static_selectorELNS0_4arch9wavefront6targetE0EEEvT1_
; %bb.0:
	.section	.rodata,"a",@progbits
	.p2align	6, 0x0
	.amdhsa_kernel _ZN7rocprim17ROCPRIM_400000_NS6detail17trampoline_kernelINS0_14default_configENS1_25partition_config_selectorILNS1_17partition_subalgoE6EiNS0_10empty_typeEbEEZZNS1_14partition_implILS5_6ELb0ES3_mN6thrust23THRUST_200600_302600_NS6detail15normal_iteratorINSA_10device_ptrIiEEEEPS6_SG_NS0_5tupleIJNSA_16discard_iteratorINSA_11use_defaultEEES6_EEENSH_IJSG_SG_EEES6_PlJNSB_9not_fun_tINSB_14equal_to_valueIiEEEEEEE10hipError_tPvRmT3_T4_T5_T6_T7_T9_mT8_P12ihipStream_tbDpT10_ENKUlT_T0_E_clISt17integral_constantIbLb0EES1B_EEDaS16_S17_EUlS16_E_NS1_11comp_targetILNS1_3genE8ELNS1_11target_archE1030ELNS1_3gpuE2ELNS1_3repE0EEENS1_30default_config_static_selectorELNS0_4arch9wavefront6targetE0EEEvT1_
		.amdhsa_group_segment_fixed_size 0
		.amdhsa_private_segment_fixed_size 0
		.amdhsa_kernarg_size 128
		.amdhsa_user_sgpr_count 2
		.amdhsa_user_sgpr_dispatch_ptr 0
		.amdhsa_user_sgpr_queue_ptr 0
		.amdhsa_user_sgpr_kernarg_segment_ptr 1
		.amdhsa_user_sgpr_dispatch_id 0
		.amdhsa_user_sgpr_private_segment_size 0
		.amdhsa_wavefront_size32 1
		.amdhsa_uses_dynamic_stack 0
		.amdhsa_enable_private_segment 0
		.amdhsa_system_sgpr_workgroup_id_x 1
		.amdhsa_system_sgpr_workgroup_id_y 0
		.amdhsa_system_sgpr_workgroup_id_z 0
		.amdhsa_system_sgpr_workgroup_info 0
		.amdhsa_system_vgpr_workitem_id 0
		.amdhsa_next_free_vgpr 1
		.amdhsa_next_free_sgpr 1
		.amdhsa_reserve_vcc 0
		.amdhsa_float_round_mode_32 0
		.amdhsa_float_round_mode_16_64 0
		.amdhsa_float_denorm_mode_32 3
		.amdhsa_float_denorm_mode_16_64 3
		.amdhsa_fp16_overflow 0
		.amdhsa_workgroup_processor_mode 1
		.amdhsa_memory_ordered 1
		.amdhsa_forward_progress 1
		.amdhsa_inst_pref_size 0
		.amdhsa_round_robin_scheduling 0
		.amdhsa_exception_fp_ieee_invalid_op 0
		.amdhsa_exception_fp_denorm_src 0
		.amdhsa_exception_fp_ieee_div_zero 0
		.amdhsa_exception_fp_ieee_overflow 0
		.amdhsa_exception_fp_ieee_underflow 0
		.amdhsa_exception_fp_ieee_inexact 0
		.amdhsa_exception_int_div_zero 0
	.end_amdhsa_kernel
	.section	.text._ZN7rocprim17ROCPRIM_400000_NS6detail17trampoline_kernelINS0_14default_configENS1_25partition_config_selectorILNS1_17partition_subalgoE6EiNS0_10empty_typeEbEEZZNS1_14partition_implILS5_6ELb0ES3_mN6thrust23THRUST_200600_302600_NS6detail15normal_iteratorINSA_10device_ptrIiEEEEPS6_SG_NS0_5tupleIJNSA_16discard_iteratorINSA_11use_defaultEEES6_EEENSH_IJSG_SG_EEES6_PlJNSB_9not_fun_tINSB_14equal_to_valueIiEEEEEEE10hipError_tPvRmT3_T4_T5_T6_T7_T9_mT8_P12ihipStream_tbDpT10_ENKUlT_T0_E_clISt17integral_constantIbLb0EES1B_EEDaS16_S17_EUlS16_E_NS1_11comp_targetILNS1_3genE8ELNS1_11target_archE1030ELNS1_3gpuE2ELNS1_3repE0EEENS1_30default_config_static_selectorELNS0_4arch9wavefront6targetE0EEEvT1_,"axG",@progbits,_ZN7rocprim17ROCPRIM_400000_NS6detail17trampoline_kernelINS0_14default_configENS1_25partition_config_selectorILNS1_17partition_subalgoE6EiNS0_10empty_typeEbEEZZNS1_14partition_implILS5_6ELb0ES3_mN6thrust23THRUST_200600_302600_NS6detail15normal_iteratorINSA_10device_ptrIiEEEEPS6_SG_NS0_5tupleIJNSA_16discard_iteratorINSA_11use_defaultEEES6_EEENSH_IJSG_SG_EEES6_PlJNSB_9not_fun_tINSB_14equal_to_valueIiEEEEEEE10hipError_tPvRmT3_T4_T5_T6_T7_T9_mT8_P12ihipStream_tbDpT10_ENKUlT_T0_E_clISt17integral_constantIbLb0EES1B_EEDaS16_S17_EUlS16_E_NS1_11comp_targetILNS1_3genE8ELNS1_11target_archE1030ELNS1_3gpuE2ELNS1_3repE0EEENS1_30default_config_static_selectorELNS0_4arch9wavefront6targetE0EEEvT1_,comdat
.Lfunc_end1764:
	.size	_ZN7rocprim17ROCPRIM_400000_NS6detail17trampoline_kernelINS0_14default_configENS1_25partition_config_selectorILNS1_17partition_subalgoE6EiNS0_10empty_typeEbEEZZNS1_14partition_implILS5_6ELb0ES3_mN6thrust23THRUST_200600_302600_NS6detail15normal_iteratorINSA_10device_ptrIiEEEEPS6_SG_NS0_5tupleIJNSA_16discard_iteratorINSA_11use_defaultEEES6_EEENSH_IJSG_SG_EEES6_PlJNSB_9not_fun_tINSB_14equal_to_valueIiEEEEEEE10hipError_tPvRmT3_T4_T5_T6_T7_T9_mT8_P12ihipStream_tbDpT10_ENKUlT_T0_E_clISt17integral_constantIbLb0EES1B_EEDaS16_S17_EUlS16_E_NS1_11comp_targetILNS1_3genE8ELNS1_11target_archE1030ELNS1_3gpuE2ELNS1_3repE0EEENS1_30default_config_static_selectorELNS0_4arch9wavefront6targetE0EEEvT1_, .Lfunc_end1764-_ZN7rocprim17ROCPRIM_400000_NS6detail17trampoline_kernelINS0_14default_configENS1_25partition_config_selectorILNS1_17partition_subalgoE6EiNS0_10empty_typeEbEEZZNS1_14partition_implILS5_6ELb0ES3_mN6thrust23THRUST_200600_302600_NS6detail15normal_iteratorINSA_10device_ptrIiEEEEPS6_SG_NS0_5tupleIJNSA_16discard_iteratorINSA_11use_defaultEEES6_EEENSH_IJSG_SG_EEES6_PlJNSB_9not_fun_tINSB_14equal_to_valueIiEEEEEEE10hipError_tPvRmT3_T4_T5_T6_T7_T9_mT8_P12ihipStream_tbDpT10_ENKUlT_T0_E_clISt17integral_constantIbLb0EES1B_EEDaS16_S17_EUlS16_E_NS1_11comp_targetILNS1_3genE8ELNS1_11target_archE1030ELNS1_3gpuE2ELNS1_3repE0EEENS1_30default_config_static_selectorELNS0_4arch9wavefront6targetE0EEEvT1_
                                        ; -- End function
	.set _ZN7rocprim17ROCPRIM_400000_NS6detail17trampoline_kernelINS0_14default_configENS1_25partition_config_selectorILNS1_17partition_subalgoE6EiNS0_10empty_typeEbEEZZNS1_14partition_implILS5_6ELb0ES3_mN6thrust23THRUST_200600_302600_NS6detail15normal_iteratorINSA_10device_ptrIiEEEEPS6_SG_NS0_5tupleIJNSA_16discard_iteratorINSA_11use_defaultEEES6_EEENSH_IJSG_SG_EEES6_PlJNSB_9not_fun_tINSB_14equal_to_valueIiEEEEEEE10hipError_tPvRmT3_T4_T5_T6_T7_T9_mT8_P12ihipStream_tbDpT10_ENKUlT_T0_E_clISt17integral_constantIbLb0EES1B_EEDaS16_S17_EUlS16_E_NS1_11comp_targetILNS1_3genE8ELNS1_11target_archE1030ELNS1_3gpuE2ELNS1_3repE0EEENS1_30default_config_static_selectorELNS0_4arch9wavefront6targetE0EEEvT1_.num_vgpr, 0
	.set _ZN7rocprim17ROCPRIM_400000_NS6detail17trampoline_kernelINS0_14default_configENS1_25partition_config_selectorILNS1_17partition_subalgoE6EiNS0_10empty_typeEbEEZZNS1_14partition_implILS5_6ELb0ES3_mN6thrust23THRUST_200600_302600_NS6detail15normal_iteratorINSA_10device_ptrIiEEEEPS6_SG_NS0_5tupleIJNSA_16discard_iteratorINSA_11use_defaultEEES6_EEENSH_IJSG_SG_EEES6_PlJNSB_9not_fun_tINSB_14equal_to_valueIiEEEEEEE10hipError_tPvRmT3_T4_T5_T6_T7_T9_mT8_P12ihipStream_tbDpT10_ENKUlT_T0_E_clISt17integral_constantIbLb0EES1B_EEDaS16_S17_EUlS16_E_NS1_11comp_targetILNS1_3genE8ELNS1_11target_archE1030ELNS1_3gpuE2ELNS1_3repE0EEENS1_30default_config_static_selectorELNS0_4arch9wavefront6targetE0EEEvT1_.num_agpr, 0
	.set _ZN7rocprim17ROCPRIM_400000_NS6detail17trampoline_kernelINS0_14default_configENS1_25partition_config_selectorILNS1_17partition_subalgoE6EiNS0_10empty_typeEbEEZZNS1_14partition_implILS5_6ELb0ES3_mN6thrust23THRUST_200600_302600_NS6detail15normal_iteratorINSA_10device_ptrIiEEEEPS6_SG_NS0_5tupleIJNSA_16discard_iteratorINSA_11use_defaultEEES6_EEENSH_IJSG_SG_EEES6_PlJNSB_9not_fun_tINSB_14equal_to_valueIiEEEEEEE10hipError_tPvRmT3_T4_T5_T6_T7_T9_mT8_P12ihipStream_tbDpT10_ENKUlT_T0_E_clISt17integral_constantIbLb0EES1B_EEDaS16_S17_EUlS16_E_NS1_11comp_targetILNS1_3genE8ELNS1_11target_archE1030ELNS1_3gpuE2ELNS1_3repE0EEENS1_30default_config_static_selectorELNS0_4arch9wavefront6targetE0EEEvT1_.numbered_sgpr, 0
	.set _ZN7rocprim17ROCPRIM_400000_NS6detail17trampoline_kernelINS0_14default_configENS1_25partition_config_selectorILNS1_17partition_subalgoE6EiNS0_10empty_typeEbEEZZNS1_14partition_implILS5_6ELb0ES3_mN6thrust23THRUST_200600_302600_NS6detail15normal_iteratorINSA_10device_ptrIiEEEEPS6_SG_NS0_5tupleIJNSA_16discard_iteratorINSA_11use_defaultEEES6_EEENSH_IJSG_SG_EEES6_PlJNSB_9not_fun_tINSB_14equal_to_valueIiEEEEEEE10hipError_tPvRmT3_T4_T5_T6_T7_T9_mT8_P12ihipStream_tbDpT10_ENKUlT_T0_E_clISt17integral_constantIbLb0EES1B_EEDaS16_S17_EUlS16_E_NS1_11comp_targetILNS1_3genE8ELNS1_11target_archE1030ELNS1_3gpuE2ELNS1_3repE0EEENS1_30default_config_static_selectorELNS0_4arch9wavefront6targetE0EEEvT1_.num_named_barrier, 0
	.set _ZN7rocprim17ROCPRIM_400000_NS6detail17trampoline_kernelINS0_14default_configENS1_25partition_config_selectorILNS1_17partition_subalgoE6EiNS0_10empty_typeEbEEZZNS1_14partition_implILS5_6ELb0ES3_mN6thrust23THRUST_200600_302600_NS6detail15normal_iteratorINSA_10device_ptrIiEEEEPS6_SG_NS0_5tupleIJNSA_16discard_iteratorINSA_11use_defaultEEES6_EEENSH_IJSG_SG_EEES6_PlJNSB_9not_fun_tINSB_14equal_to_valueIiEEEEEEE10hipError_tPvRmT3_T4_T5_T6_T7_T9_mT8_P12ihipStream_tbDpT10_ENKUlT_T0_E_clISt17integral_constantIbLb0EES1B_EEDaS16_S17_EUlS16_E_NS1_11comp_targetILNS1_3genE8ELNS1_11target_archE1030ELNS1_3gpuE2ELNS1_3repE0EEENS1_30default_config_static_selectorELNS0_4arch9wavefront6targetE0EEEvT1_.private_seg_size, 0
	.set _ZN7rocprim17ROCPRIM_400000_NS6detail17trampoline_kernelINS0_14default_configENS1_25partition_config_selectorILNS1_17partition_subalgoE6EiNS0_10empty_typeEbEEZZNS1_14partition_implILS5_6ELb0ES3_mN6thrust23THRUST_200600_302600_NS6detail15normal_iteratorINSA_10device_ptrIiEEEEPS6_SG_NS0_5tupleIJNSA_16discard_iteratorINSA_11use_defaultEEES6_EEENSH_IJSG_SG_EEES6_PlJNSB_9not_fun_tINSB_14equal_to_valueIiEEEEEEE10hipError_tPvRmT3_T4_T5_T6_T7_T9_mT8_P12ihipStream_tbDpT10_ENKUlT_T0_E_clISt17integral_constantIbLb0EES1B_EEDaS16_S17_EUlS16_E_NS1_11comp_targetILNS1_3genE8ELNS1_11target_archE1030ELNS1_3gpuE2ELNS1_3repE0EEENS1_30default_config_static_selectorELNS0_4arch9wavefront6targetE0EEEvT1_.uses_vcc, 0
	.set _ZN7rocprim17ROCPRIM_400000_NS6detail17trampoline_kernelINS0_14default_configENS1_25partition_config_selectorILNS1_17partition_subalgoE6EiNS0_10empty_typeEbEEZZNS1_14partition_implILS5_6ELb0ES3_mN6thrust23THRUST_200600_302600_NS6detail15normal_iteratorINSA_10device_ptrIiEEEEPS6_SG_NS0_5tupleIJNSA_16discard_iteratorINSA_11use_defaultEEES6_EEENSH_IJSG_SG_EEES6_PlJNSB_9not_fun_tINSB_14equal_to_valueIiEEEEEEE10hipError_tPvRmT3_T4_T5_T6_T7_T9_mT8_P12ihipStream_tbDpT10_ENKUlT_T0_E_clISt17integral_constantIbLb0EES1B_EEDaS16_S17_EUlS16_E_NS1_11comp_targetILNS1_3genE8ELNS1_11target_archE1030ELNS1_3gpuE2ELNS1_3repE0EEENS1_30default_config_static_selectorELNS0_4arch9wavefront6targetE0EEEvT1_.uses_flat_scratch, 0
	.set _ZN7rocprim17ROCPRIM_400000_NS6detail17trampoline_kernelINS0_14default_configENS1_25partition_config_selectorILNS1_17partition_subalgoE6EiNS0_10empty_typeEbEEZZNS1_14partition_implILS5_6ELb0ES3_mN6thrust23THRUST_200600_302600_NS6detail15normal_iteratorINSA_10device_ptrIiEEEEPS6_SG_NS0_5tupleIJNSA_16discard_iteratorINSA_11use_defaultEEES6_EEENSH_IJSG_SG_EEES6_PlJNSB_9not_fun_tINSB_14equal_to_valueIiEEEEEEE10hipError_tPvRmT3_T4_T5_T6_T7_T9_mT8_P12ihipStream_tbDpT10_ENKUlT_T0_E_clISt17integral_constantIbLb0EES1B_EEDaS16_S17_EUlS16_E_NS1_11comp_targetILNS1_3genE8ELNS1_11target_archE1030ELNS1_3gpuE2ELNS1_3repE0EEENS1_30default_config_static_selectorELNS0_4arch9wavefront6targetE0EEEvT1_.has_dyn_sized_stack, 0
	.set _ZN7rocprim17ROCPRIM_400000_NS6detail17trampoline_kernelINS0_14default_configENS1_25partition_config_selectorILNS1_17partition_subalgoE6EiNS0_10empty_typeEbEEZZNS1_14partition_implILS5_6ELb0ES3_mN6thrust23THRUST_200600_302600_NS6detail15normal_iteratorINSA_10device_ptrIiEEEEPS6_SG_NS0_5tupleIJNSA_16discard_iteratorINSA_11use_defaultEEES6_EEENSH_IJSG_SG_EEES6_PlJNSB_9not_fun_tINSB_14equal_to_valueIiEEEEEEE10hipError_tPvRmT3_T4_T5_T6_T7_T9_mT8_P12ihipStream_tbDpT10_ENKUlT_T0_E_clISt17integral_constantIbLb0EES1B_EEDaS16_S17_EUlS16_E_NS1_11comp_targetILNS1_3genE8ELNS1_11target_archE1030ELNS1_3gpuE2ELNS1_3repE0EEENS1_30default_config_static_selectorELNS0_4arch9wavefront6targetE0EEEvT1_.has_recursion, 0
	.set _ZN7rocprim17ROCPRIM_400000_NS6detail17trampoline_kernelINS0_14default_configENS1_25partition_config_selectorILNS1_17partition_subalgoE6EiNS0_10empty_typeEbEEZZNS1_14partition_implILS5_6ELb0ES3_mN6thrust23THRUST_200600_302600_NS6detail15normal_iteratorINSA_10device_ptrIiEEEEPS6_SG_NS0_5tupleIJNSA_16discard_iteratorINSA_11use_defaultEEES6_EEENSH_IJSG_SG_EEES6_PlJNSB_9not_fun_tINSB_14equal_to_valueIiEEEEEEE10hipError_tPvRmT3_T4_T5_T6_T7_T9_mT8_P12ihipStream_tbDpT10_ENKUlT_T0_E_clISt17integral_constantIbLb0EES1B_EEDaS16_S17_EUlS16_E_NS1_11comp_targetILNS1_3genE8ELNS1_11target_archE1030ELNS1_3gpuE2ELNS1_3repE0EEENS1_30default_config_static_selectorELNS0_4arch9wavefront6targetE0EEEvT1_.has_indirect_call, 0
	.section	.AMDGPU.csdata,"",@progbits
; Kernel info:
; codeLenInByte = 0
; TotalNumSgprs: 0
; NumVgprs: 0
; ScratchSize: 0
; MemoryBound: 0
; FloatMode: 240
; IeeeMode: 1
; LDSByteSize: 0 bytes/workgroup (compile time only)
; SGPRBlocks: 0
; VGPRBlocks: 0
; NumSGPRsForWavesPerEU: 1
; NumVGPRsForWavesPerEU: 1
; Occupancy: 16
; WaveLimiterHint : 0
; COMPUTE_PGM_RSRC2:SCRATCH_EN: 0
; COMPUTE_PGM_RSRC2:USER_SGPR: 2
; COMPUTE_PGM_RSRC2:TRAP_HANDLER: 0
; COMPUTE_PGM_RSRC2:TGID_X_EN: 1
; COMPUTE_PGM_RSRC2:TGID_Y_EN: 0
; COMPUTE_PGM_RSRC2:TGID_Z_EN: 0
; COMPUTE_PGM_RSRC2:TIDIG_COMP_CNT: 0
	.section	.text._ZN7rocprim17ROCPRIM_400000_NS6detail17trampoline_kernelINS0_14default_configENS1_25partition_config_selectorILNS1_17partition_subalgoE6EiNS0_10empty_typeEbEEZZNS1_14partition_implILS5_6ELb0ES3_mN6thrust23THRUST_200600_302600_NS6detail15normal_iteratorINSA_10device_ptrIiEEEEPS6_SG_NS0_5tupleIJNSA_16discard_iteratorINSA_11use_defaultEEES6_EEENSH_IJSG_SG_EEES6_PlJNSB_9not_fun_tINSB_14equal_to_valueIiEEEEEEE10hipError_tPvRmT3_T4_T5_T6_T7_T9_mT8_P12ihipStream_tbDpT10_ENKUlT_T0_E_clISt17integral_constantIbLb1EES1B_EEDaS16_S17_EUlS16_E_NS1_11comp_targetILNS1_3genE0ELNS1_11target_archE4294967295ELNS1_3gpuE0ELNS1_3repE0EEENS1_30default_config_static_selectorELNS0_4arch9wavefront6targetE0EEEvT1_,"axG",@progbits,_ZN7rocprim17ROCPRIM_400000_NS6detail17trampoline_kernelINS0_14default_configENS1_25partition_config_selectorILNS1_17partition_subalgoE6EiNS0_10empty_typeEbEEZZNS1_14partition_implILS5_6ELb0ES3_mN6thrust23THRUST_200600_302600_NS6detail15normal_iteratorINSA_10device_ptrIiEEEEPS6_SG_NS0_5tupleIJNSA_16discard_iteratorINSA_11use_defaultEEES6_EEENSH_IJSG_SG_EEES6_PlJNSB_9not_fun_tINSB_14equal_to_valueIiEEEEEEE10hipError_tPvRmT3_T4_T5_T6_T7_T9_mT8_P12ihipStream_tbDpT10_ENKUlT_T0_E_clISt17integral_constantIbLb1EES1B_EEDaS16_S17_EUlS16_E_NS1_11comp_targetILNS1_3genE0ELNS1_11target_archE4294967295ELNS1_3gpuE0ELNS1_3repE0EEENS1_30default_config_static_selectorELNS0_4arch9wavefront6targetE0EEEvT1_,comdat
	.protected	_ZN7rocprim17ROCPRIM_400000_NS6detail17trampoline_kernelINS0_14default_configENS1_25partition_config_selectorILNS1_17partition_subalgoE6EiNS0_10empty_typeEbEEZZNS1_14partition_implILS5_6ELb0ES3_mN6thrust23THRUST_200600_302600_NS6detail15normal_iteratorINSA_10device_ptrIiEEEEPS6_SG_NS0_5tupleIJNSA_16discard_iteratorINSA_11use_defaultEEES6_EEENSH_IJSG_SG_EEES6_PlJNSB_9not_fun_tINSB_14equal_to_valueIiEEEEEEE10hipError_tPvRmT3_T4_T5_T6_T7_T9_mT8_P12ihipStream_tbDpT10_ENKUlT_T0_E_clISt17integral_constantIbLb1EES1B_EEDaS16_S17_EUlS16_E_NS1_11comp_targetILNS1_3genE0ELNS1_11target_archE4294967295ELNS1_3gpuE0ELNS1_3repE0EEENS1_30default_config_static_selectorELNS0_4arch9wavefront6targetE0EEEvT1_ ; -- Begin function _ZN7rocprim17ROCPRIM_400000_NS6detail17trampoline_kernelINS0_14default_configENS1_25partition_config_selectorILNS1_17partition_subalgoE6EiNS0_10empty_typeEbEEZZNS1_14partition_implILS5_6ELb0ES3_mN6thrust23THRUST_200600_302600_NS6detail15normal_iteratorINSA_10device_ptrIiEEEEPS6_SG_NS0_5tupleIJNSA_16discard_iteratorINSA_11use_defaultEEES6_EEENSH_IJSG_SG_EEES6_PlJNSB_9not_fun_tINSB_14equal_to_valueIiEEEEEEE10hipError_tPvRmT3_T4_T5_T6_T7_T9_mT8_P12ihipStream_tbDpT10_ENKUlT_T0_E_clISt17integral_constantIbLb1EES1B_EEDaS16_S17_EUlS16_E_NS1_11comp_targetILNS1_3genE0ELNS1_11target_archE4294967295ELNS1_3gpuE0ELNS1_3repE0EEENS1_30default_config_static_selectorELNS0_4arch9wavefront6targetE0EEEvT1_
	.globl	_ZN7rocprim17ROCPRIM_400000_NS6detail17trampoline_kernelINS0_14default_configENS1_25partition_config_selectorILNS1_17partition_subalgoE6EiNS0_10empty_typeEbEEZZNS1_14partition_implILS5_6ELb0ES3_mN6thrust23THRUST_200600_302600_NS6detail15normal_iteratorINSA_10device_ptrIiEEEEPS6_SG_NS0_5tupleIJNSA_16discard_iteratorINSA_11use_defaultEEES6_EEENSH_IJSG_SG_EEES6_PlJNSB_9not_fun_tINSB_14equal_to_valueIiEEEEEEE10hipError_tPvRmT3_T4_T5_T6_T7_T9_mT8_P12ihipStream_tbDpT10_ENKUlT_T0_E_clISt17integral_constantIbLb1EES1B_EEDaS16_S17_EUlS16_E_NS1_11comp_targetILNS1_3genE0ELNS1_11target_archE4294967295ELNS1_3gpuE0ELNS1_3repE0EEENS1_30default_config_static_selectorELNS0_4arch9wavefront6targetE0EEEvT1_
	.p2align	8
	.type	_ZN7rocprim17ROCPRIM_400000_NS6detail17trampoline_kernelINS0_14default_configENS1_25partition_config_selectorILNS1_17partition_subalgoE6EiNS0_10empty_typeEbEEZZNS1_14partition_implILS5_6ELb0ES3_mN6thrust23THRUST_200600_302600_NS6detail15normal_iteratorINSA_10device_ptrIiEEEEPS6_SG_NS0_5tupleIJNSA_16discard_iteratorINSA_11use_defaultEEES6_EEENSH_IJSG_SG_EEES6_PlJNSB_9not_fun_tINSB_14equal_to_valueIiEEEEEEE10hipError_tPvRmT3_T4_T5_T6_T7_T9_mT8_P12ihipStream_tbDpT10_ENKUlT_T0_E_clISt17integral_constantIbLb1EES1B_EEDaS16_S17_EUlS16_E_NS1_11comp_targetILNS1_3genE0ELNS1_11target_archE4294967295ELNS1_3gpuE0ELNS1_3repE0EEENS1_30default_config_static_selectorELNS0_4arch9wavefront6targetE0EEEvT1_,@function
_ZN7rocprim17ROCPRIM_400000_NS6detail17trampoline_kernelINS0_14default_configENS1_25partition_config_selectorILNS1_17partition_subalgoE6EiNS0_10empty_typeEbEEZZNS1_14partition_implILS5_6ELb0ES3_mN6thrust23THRUST_200600_302600_NS6detail15normal_iteratorINSA_10device_ptrIiEEEEPS6_SG_NS0_5tupleIJNSA_16discard_iteratorINSA_11use_defaultEEES6_EEENSH_IJSG_SG_EEES6_PlJNSB_9not_fun_tINSB_14equal_to_valueIiEEEEEEE10hipError_tPvRmT3_T4_T5_T6_T7_T9_mT8_P12ihipStream_tbDpT10_ENKUlT_T0_E_clISt17integral_constantIbLb1EES1B_EEDaS16_S17_EUlS16_E_NS1_11comp_targetILNS1_3genE0ELNS1_11target_archE4294967295ELNS1_3gpuE0ELNS1_3repE0EEENS1_30default_config_static_selectorELNS0_4arch9wavefront6targetE0EEEvT1_: ; @_ZN7rocprim17ROCPRIM_400000_NS6detail17trampoline_kernelINS0_14default_configENS1_25partition_config_selectorILNS1_17partition_subalgoE6EiNS0_10empty_typeEbEEZZNS1_14partition_implILS5_6ELb0ES3_mN6thrust23THRUST_200600_302600_NS6detail15normal_iteratorINSA_10device_ptrIiEEEEPS6_SG_NS0_5tupleIJNSA_16discard_iteratorINSA_11use_defaultEEES6_EEENSH_IJSG_SG_EEES6_PlJNSB_9not_fun_tINSB_14equal_to_valueIiEEEEEEE10hipError_tPvRmT3_T4_T5_T6_T7_T9_mT8_P12ihipStream_tbDpT10_ENKUlT_T0_E_clISt17integral_constantIbLb1EES1B_EEDaS16_S17_EUlS16_E_NS1_11comp_targetILNS1_3genE0ELNS1_11target_archE4294967295ELNS1_3gpuE0ELNS1_3repE0EEENS1_30default_config_static_selectorELNS0_4arch9wavefront6targetE0EEEvT1_
; %bb.0:
	.section	.rodata,"a",@progbits
	.p2align	6, 0x0
	.amdhsa_kernel _ZN7rocprim17ROCPRIM_400000_NS6detail17trampoline_kernelINS0_14default_configENS1_25partition_config_selectorILNS1_17partition_subalgoE6EiNS0_10empty_typeEbEEZZNS1_14partition_implILS5_6ELb0ES3_mN6thrust23THRUST_200600_302600_NS6detail15normal_iteratorINSA_10device_ptrIiEEEEPS6_SG_NS0_5tupleIJNSA_16discard_iteratorINSA_11use_defaultEEES6_EEENSH_IJSG_SG_EEES6_PlJNSB_9not_fun_tINSB_14equal_to_valueIiEEEEEEE10hipError_tPvRmT3_T4_T5_T6_T7_T9_mT8_P12ihipStream_tbDpT10_ENKUlT_T0_E_clISt17integral_constantIbLb1EES1B_EEDaS16_S17_EUlS16_E_NS1_11comp_targetILNS1_3genE0ELNS1_11target_archE4294967295ELNS1_3gpuE0ELNS1_3repE0EEENS1_30default_config_static_selectorELNS0_4arch9wavefront6targetE0EEEvT1_
		.amdhsa_group_segment_fixed_size 0
		.amdhsa_private_segment_fixed_size 0
		.amdhsa_kernarg_size 136
		.amdhsa_user_sgpr_count 2
		.amdhsa_user_sgpr_dispatch_ptr 0
		.amdhsa_user_sgpr_queue_ptr 0
		.amdhsa_user_sgpr_kernarg_segment_ptr 1
		.amdhsa_user_sgpr_dispatch_id 0
		.amdhsa_user_sgpr_private_segment_size 0
		.amdhsa_wavefront_size32 1
		.amdhsa_uses_dynamic_stack 0
		.amdhsa_enable_private_segment 0
		.amdhsa_system_sgpr_workgroup_id_x 1
		.amdhsa_system_sgpr_workgroup_id_y 0
		.amdhsa_system_sgpr_workgroup_id_z 0
		.amdhsa_system_sgpr_workgroup_info 0
		.amdhsa_system_vgpr_workitem_id 0
		.amdhsa_next_free_vgpr 1
		.amdhsa_next_free_sgpr 1
		.amdhsa_reserve_vcc 0
		.amdhsa_float_round_mode_32 0
		.amdhsa_float_round_mode_16_64 0
		.amdhsa_float_denorm_mode_32 3
		.amdhsa_float_denorm_mode_16_64 3
		.amdhsa_fp16_overflow 0
		.amdhsa_workgroup_processor_mode 1
		.amdhsa_memory_ordered 1
		.amdhsa_forward_progress 1
		.amdhsa_inst_pref_size 0
		.amdhsa_round_robin_scheduling 0
		.amdhsa_exception_fp_ieee_invalid_op 0
		.amdhsa_exception_fp_denorm_src 0
		.amdhsa_exception_fp_ieee_div_zero 0
		.amdhsa_exception_fp_ieee_overflow 0
		.amdhsa_exception_fp_ieee_underflow 0
		.amdhsa_exception_fp_ieee_inexact 0
		.amdhsa_exception_int_div_zero 0
	.end_amdhsa_kernel
	.section	.text._ZN7rocprim17ROCPRIM_400000_NS6detail17trampoline_kernelINS0_14default_configENS1_25partition_config_selectorILNS1_17partition_subalgoE6EiNS0_10empty_typeEbEEZZNS1_14partition_implILS5_6ELb0ES3_mN6thrust23THRUST_200600_302600_NS6detail15normal_iteratorINSA_10device_ptrIiEEEEPS6_SG_NS0_5tupleIJNSA_16discard_iteratorINSA_11use_defaultEEES6_EEENSH_IJSG_SG_EEES6_PlJNSB_9not_fun_tINSB_14equal_to_valueIiEEEEEEE10hipError_tPvRmT3_T4_T5_T6_T7_T9_mT8_P12ihipStream_tbDpT10_ENKUlT_T0_E_clISt17integral_constantIbLb1EES1B_EEDaS16_S17_EUlS16_E_NS1_11comp_targetILNS1_3genE0ELNS1_11target_archE4294967295ELNS1_3gpuE0ELNS1_3repE0EEENS1_30default_config_static_selectorELNS0_4arch9wavefront6targetE0EEEvT1_,"axG",@progbits,_ZN7rocprim17ROCPRIM_400000_NS6detail17trampoline_kernelINS0_14default_configENS1_25partition_config_selectorILNS1_17partition_subalgoE6EiNS0_10empty_typeEbEEZZNS1_14partition_implILS5_6ELb0ES3_mN6thrust23THRUST_200600_302600_NS6detail15normal_iteratorINSA_10device_ptrIiEEEEPS6_SG_NS0_5tupleIJNSA_16discard_iteratorINSA_11use_defaultEEES6_EEENSH_IJSG_SG_EEES6_PlJNSB_9not_fun_tINSB_14equal_to_valueIiEEEEEEE10hipError_tPvRmT3_T4_T5_T6_T7_T9_mT8_P12ihipStream_tbDpT10_ENKUlT_T0_E_clISt17integral_constantIbLb1EES1B_EEDaS16_S17_EUlS16_E_NS1_11comp_targetILNS1_3genE0ELNS1_11target_archE4294967295ELNS1_3gpuE0ELNS1_3repE0EEENS1_30default_config_static_selectorELNS0_4arch9wavefront6targetE0EEEvT1_,comdat
.Lfunc_end1765:
	.size	_ZN7rocprim17ROCPRIM_400000_NS6detail17trampoline_kernelINS0_14default_configENS1_25partition_config_selectorILNS1_17partition_subalgoE6EiNS0_10empty_typeEbEEZZNS1_14partition_implILS5_6ELb0ES3_mN6thrust23THRUST_200600_302600_NS6detail15normal_iteratorINSA_10device_ptrIiEEEEPS6_SG_NS0_5tupleIJNSA_16discard_iteratorINSA_11use_defaultEEES6_EEENSH_IJSG_SG_EEES6_PlJNSB_9not_fun_tINSB_14equal_to_valueIiEEEEEEE10hipError_tPvRmT3_T4_T5_T6_T7_T9_mT8_P12ihipStream_tbDpT10_ENKUlT_T0_E_clISt17integral_constantIbLb1EES1B_EEDaS16_S17_EUlS16_E_NS1_11comp_targetILNS1_3genE0ELNS1_11target_archE4294967295ELNS1_3gpuE0ELNS1_3repE0EEENS1_30default_config_static_selectorELNS0_4arch9wavefront6targetE0EEEvT1_, .Lfunc_end1765-_ZN7rocprim17ROCPRIM_400000_NS6detail17trampoline_kernelINS0_14default_configENS1_25partition_config_selectorILNS1_17partition_subalgoE6EiNS0_10empty_typeEbEEZZNS1_14partition_implILS5_6ELb0ES3_mN6thrust23THRUST_200600_302600_NS6detail15normal_iteratorINSA_10device_ptrIiEEEEPS6_SG_NS0_5tupleIJNSA_16discard_iteratorINSA_11use_defaultEEES6_EEENSH_IJSG_SG_EEES6_PlJNSB_9not_fun_tINSB_14equal_to_valueIiEEEEEEE10hipError_tPvRmT3_T4_T5_T6_T7_T9_mT8_P12ihipStream_tbDpT10_ENKUlT_T0_E_clISt17integral_constantIbLb1EES1B_EEDaS16_S17_EUlS16_E_NS1_11comp_targetILNS1_3genE0ELNS1_11target_archE4294967295ELNS1_3gpuE0ELNS1_3repE0EEENS1_30default_config_static_selectorELNS0_4arch9wavefront6targetE0EEEvT1_
                                        ; -- End function
	.set _ZN7rocprim17ROCPRIM_400000_NS6detail17trampoline_kernelINS0_14default_configENS1_25partition_config_selectorILNS1_17partition_subalgoE6EiNS0_10empty_typeEbEEZZNS1_14partition_implILS5_6ELb0ES3_mN6thrust23THRUST_200600_302600_NS6detail15normal_iteratorINSA_10device_ptrIiEEEEPS6_SG_NS0_5tupleIJNSA_16discard_iteratorINSA_11use_defaultEEES6_EEENSH_IJSG_SG_EEES6_PlJNSB_9not_fun_tINSB_14equal_to_valueIiEEEEEEE10hipError_tPvRmT3_T4_T5_T6_T7_T9_mT8_P12ihipStream_tbDpT10_ENKUlT_T0_E_clISt17integral_constantIbLb1EES1B_EEDaS16_S17_EUlS16_E_NS1_11comp_targetILNS1_3genE0ELNS1_11target_archE4294967295ELNS1_3gpuE0ELNS1_3repE0EEENS1_30default_config_static_selectorELNS0_4arch9wavefront6targetE0EEEvT1_.num_vgpr, 0
	.set _ZN7rocprim17ROCPRIM_400000_NS6detail17trampoline_kernelINS0_14default_configENS1_25partition_config_selectorILNS1_17partition_subalgoE6EiNS0_10empty_typeEbEEZZNS1_14partition_implILS5_6ELb0ES3_mN6thrust23THRUST_200600_302600_NS6detail15normal_iteratorINSA_10device_ptrIiEEEEPS6_SG_NS0_5tupleIJNSA_16discard_iteratorINSA_11use_defaultEEES6_EEENSH_IJSG_SG_EEES6_PlJNSB_9not_fun_tINSB_14equal_to_valueIiEEEEEEE10hipError_tPvRmT3_T4_T5_T6_T7_T9_mT8_P12ihipStream_tbDpT10_ENKUlT_T0_E_clISt17integral_constantIbLb1EES1B_EEDaS16_S17_EUlS16_E_NS1_11comp_targetILNS1_3genE0ELNS1_11target_archE4294967295ELNS1_3gpuE0ELNS1_3repE0EEENS1_30default_config_static_selectorELNS0_4arch9wavefront6targetE0EEEvT1_.num_agpr, 0
	.set _ZN7rocprim17ROCPRIM_400000_NS6detail17trampoline_kernelINS0_14default_configENS1_25partition_config_selectorILNS1_17partition_subalgoE6EiNS0_10empty_typeEbEEZZNS1_14partition_implILS5_6ELb0ES3_mN6thrust23THRUST_200600_302600_NS6detail15normal_iteratorINSA_10device_ptrIiEEEEPS6_SG_NS0_5tupleIJNSA_16discard_iteratorINSA_11use_defaultEEES6_EEENSH_IJSG_SG_EEES6_PlJNSB_9not_fun_tINSB_14equal_to_valueIiEEEEEEE10hipError_tPvRmT3_T4_T5_T6_T7_T9_mT8_P12ihipStream_tbDpT10_ENKUlT_T0_E_clISt17integral_constantIbLb1EES1B_EEDaS16_S17_EUlS16_E_NS1_11comp_targetILNS1_3genE0ELNS1_11target_archE4294967295ELNS1_3gpuE0ELNS1_3repE0EEENS1_30default_config_static_selectorELNS0_4arch9wavefront6targetE0EEEvT1_.numbered_sgpr, 0
	.set _ZN7rocprim17ROCPRIM_400000_NS6detail17trampoline_kernelINS0_14default_configENS1_25partition_config_selectorILNS1_17partition_subalgoE6EiNS0_10empty_typeEbEEZZNS1_14partition_implILS5_6ELb0ES3_mN6thrust23THRUST_200600_302600_NS6detail15normal_iteratorINSA_10device_ptrIiEEEEPS6_SG_NS0_5tupleIJNSA_16discard_iteratorINSA_11use_defaultEEES6_EEENSH_IJSG_SG_EEES6_PlJNSB_9not_fun_tINSB_14equal_to_valueIiEEEEEEE10hipError_tPvRmT3_T4_T5_T6_T7_T9_mT8_P12ihipStream_tbDpT10_ENKUlT_T0_E_clISt17integral_constantIbLb1EES1B_EEDaS16_S17_EUlS16_E_NS1_11comp_targetILNS1_3genE0ELNS1_11target_archE4294967295ELNS1_3gpuE0ELNS1_3repE0EEENS1_30default_config_static_selectorELNS0_4arch9wavefront6targetE0EEEvT1_.num_named_barrier, 0
	.set _ZN7rocprim17ROCPRIM_400000_NS6detail17trampoline_kernelINS0_14default_configENS1_25partition_config_selectorILNS1_17partition_subalgoE6EiNS0_10empty_typeEbEEZZNS1_14partition_implILS5_6ELb0ES3_mN6thrust23THRUST_200600_302600_NS6detail15normal_iteratorINSA_10device_ptrIiEEEEPS6_SG_NS0_5tupleIJNSA_16discard_iteratorINSA_11use_defaultEEES6_EEENSH_IJSG_SG_EEES6_PlJNSB_9not_fun_tINSB_14equal_to_valueIiEEEEEEE10hipError_tPvRmT3_T4_T5_T6_T7_T9_mT8_P12ihipStream_tbDpT10_ENKUlT_T0_E_clISt17integral_constantIbLb1EES1B_EEDaS16_S17_EUlS16_E_NS1_11comp_targetILNS1_3genE0ELNS1_11target_archE4294967295ELNS1_3gpuE0ELNS1_3repE0EEENS1_30default_config_static_selectorELNS0_4arch9wavefront6targetE0EEEvT1_.private_seg_size, 0
	.set _ZN7rocprim17ROCPRIM_400000_NS6detail17trampoline_kernelINS0_14default_configENS1_25partition_config_selectorILNS1_17partition_subalgoE6EiNS0_10empty_typeEbEEZZNS1_14partition_implILS5_6ELb0ES3_mN6thrust23THRUST_200600_302600_NS6detail15normal_iteratorINSA_10device_ptrIiEEEEPS6_SG_NS0_5tupleIJNSA_16discard_iteratorINSA_11use_defaultEEES6_EEENSH_IJSG_SG_EEES6_PlJNSB_9not_fun_tINSB_14equal_to_valueIiEEEEEEE10hipError_tPvRmT3_T4_T5_T6_T7_T9_mT8_P12ihipStream_tbDpT10_ENKUlT_T0_E_clISt17integral_constantIbLb1EES1B_EEDaS16_S17_EUlS16_E_NS1_11comp_targetILNS1_3genE0ELNS1_11target_archE4294967295ELNS1_3gpuE0ELNS1_3repE0EEENS1_30default_config_static_selectorELNS0_4arch9wavefront6targetE0EEEvT1_.uses_vcc, 0
	.set _ZN7rocprim17ROCPRIM_400000_NS6detail17trampoline_kernelINS0_14default_configENS1_25partition_config_selectorILNS1_17partition_subalgoE6EiNS0_10empty_typeEbEEZZNS1_14partition_implILS5_6ELb0ES3_mN6thrust23THRUST_200600_302600_NS6detail15normal_iteratorINSA_10device_ptrIiEEEEPS6_SG_NS0_5tupleIJNSA_16discard_iteratorINSA_11use_defaultEEES6_EEENSH_IJSG_SG_EEES6_PlJNSB_9not_fun_tINSB_14equal_to_valueIiEEEEEEE10hipError_tPvRmT3_T4_T5_T6_T7_T9_mT8_P12ihipStream_tbDpT10_ENKUlT_T0_E_clISt17integral_constantIbLb1EES1B_EEDaS16_S17_EUlS16_E_NS1_11comp_targetILNS1_3genE0ELNS1_11target_archE4294967295ELNS1_3gpuE0ELNS1_3repE0EEENS1_30default_config_static_selectorELNS0_4arch9wavefront6targetE0EEEvT1_.uses_flat_scratch, 0
	.set _ZN7rocprim17ROCPRIM_400000_NS6detail17trampoline_kernelINS0_14default_configENS1_25partition_config_selectorILNS1_17partition_subalgoE6EiNS0_10empty_typeEbEEZZNS1_14partition_implILS5_6ELb0ES3_mN6thrust23THRUST_200600_302600_NS6detail15normal_iteratorINSA_10device_ptrIiEEEEPS6_SG_NS0_5tupleIJNSA_16discard_iteratorINSA_11use_defaultEEES6_EEENSH_IJSG_SG_EEES6_PlJNSB_9not_fun_tINSB_14equal_to_valueIiEEEEEEE10hipError_tPvRmT3_T4_T5_T6_T7_T9_mT8_P12ihipStream_tbDpT10_ENKUlT_T0_E_clISt17integral_constantIbLb1EES1B_EEDaS16_S17_EUlS16_E_NS1_11comp_targetILNS1_3genE0ELNS1_11target_archE4294967295ELNS1_3gpuE0ELNS1_3repE0EEENS1_30default_config_static_selectorELNS0_4arch9wavefront6targetE0EEEvT1_.has_dyn_sized_stack, 0
	.set _ZN7rocprim17ROCPRIM_400000_NS6detail17trampoline_kernelINS0_14default_configENS1_25partition_config_selectorILNS1_17partition_subalgoE6EiNS0_10empty_typeEbEEZZNS1_14partition_implILS5_6ELb0ES3_mN6thrust23THRUST_200600_302600_NS6detail15normal_iteratorINSA_10device_ptrIiEEEEPS6_SG_NS0_5tupleIJNSA_16discard_iteratorINSA_11use_defaultEEES6_EEENSH_IJSG_SG_EEES6_PlJNSB_9not_fun_tINSB_14equal_to_valueIiEEEEEEE10hipError_tPvRmT3_T4_T5_T6_T7_T9_mT8_P12ihipStream_tbDpT10_ENKUlT_T0_E_clISt17integral_constantIbLb1EES1B_EEDaS16_S17_EUlS16_E_NS1_11comp_targetILNS1_3genE0ELNS1_11target_archE4294967295ELNS1_3gpuE0ELNS1_3repE0EEENS1_30default_config_static_selectorELNS0_4arch9wavefront6targetE0EEEvT1_.has_recursion, 0
	.set _ZN7rocprim17ROCPRIM_400000_NS6detail17trampoline_kernelINS0_14default_configENS1_25partition_config_selectorILNS1_17partition_subalgoE6EiNS0_10empty_typeEbEEZZNS1_14partition_implILS5_6ELb0ES3_mN6thrust23THRUST_200600_302600_NS6detail15normal_iteratorINSA_10device_ptrIiEEEEPS6_SG_NS0_5tupleIJNSA_16discard_iteratorINSA_11use_defaultEEES6_EEENSH_IJSG_SG_EEES6_PlJNSB_9not_fun_tINSB_14equal_to_valueIiEEEEEEE10hipError_tPvRmT3_T4_T5_T6_T7_T9_mT8_P12ihipStream_tbDpT10_ENKUlT_T0_E_clISt17integral_constantIbLb1EES1B_EEDaS16_S17_EUlS16_E_NS1_11comp_targetILNS1_3genE0ELNS1_11target_archE4294967295ELNS1_3gpuE0ELNS1_3repE0EEENS1_30default_config_static_selectorELNS0_4arch9wavefront6targetE0EEEvT1_.has_indirect_call, 0
	.section	.AMDGPU.csdata,"",@progbits
; Kernel info:
; codeLenInByte = 0
; TotalNumSgprs: 0
; NumVgprs: 0
; ScratchSize: 0
; MemoryBound: 0
; FloatMode: 240
; IeeeMode: 1
; LDSByteSize: 0 bytes/workgroup (compile time only)
; SGPRBlocks: 0
; VGPRBlocks: 0
; NumSGPRsForWavesPerEU: 1
; NumVGPRsForWavesPerEU: 1
; Occupancy: 16
; WaveLimiterHint : 0
; COMPUTE_PGM_RSRC2:SCRATCH_EN: 0
; COMPUTE_PGM_RSRC2:USER_SGPR: 2
; COMPUTE_PGM_RSRC2:TRAP_HANDLER: 0
; COMPUTE_PGM_RSRC2:TGID_X_EN: 1
; COMPUTE_PGM_RSRC2:TGID_Y_EN: 0
; COMPUTE_PGM_RSRC2:TGID_Z_EN: 0
; COMPUTE_PGM_RSRC2:TIDIG_COMP_CNT: 0
	.section	.text._ZN7rocprim17ROCPRIM_400000_NS6detail17trampoline_kernelINS0_14default_configENS1_25partition_config_selectorILNS1_17partition_subalgoE6EiNS0_10empty_typeEbEEZZNS1_14partition_implILS5_6ELb0ES3_mN6thrust23THRUST_200600_302600_NS6detail15normal_iteratorINSA_10device_ptrIiEEEEPS6_SG_NS0_5tupleIJNSA_16discard_iteratorINSA_11use_defaultEEES6_EEENSH_IJSG_SG_EEES6_PlJNSB_9not_fun_tINSB_14equal_to_valueIiEEEEEEE10hipError_tPvRmT3_T4_T5_T6_T7_T9_mT8_P12ihipStream_tbDpT10_ENKUlT_T0_E_clISt17integral_constantIbLb1EES1B_EEDaS16_S17_EUlS16_E_NS1_11comp_targetILNS1_3genE5ELNS1_11target_archE942ELNS1_3gpuE9ELNS1_3repE0EEENS1_30default_config_static_selectorELNS0_4arch9wavefront6targetE0EEEvT1_,"axG",@progbits,_ZN7rocprim17ROCPRIM_400000_NS6detail17trampoline_kernelINS0_14default_configENS1_25partition_config_selectorILNS1_17partition_subalgoE6EiNS0_10empty_typeEbEEZZNS1_14partition_implILS5_6ELb0ES3_mN6thrust23THRUST_200600_302600_NS6detail15normal_iteratorINSA_10device_ptrIiEEEEPS6_SG_NS0_5tupleIJNSA_16discard_iteratorINSA_11use_defaultEEES6_EEENSH_IJSG_SG_EEES6_PlJNSB_9not_fun_tINSB_14equal_to_valueIiEEEEEEE10hipError_tPvRmT3_T4_T5_T6_T7_T9_mT8_P12ihipStream_tbDpT10_ENKUlT_T0_E_clISt17integral_constantIbLb1EES1B_EEDaS16_S17_EUlS16_E_NS1_11comp_targetILNS1_3genE5ELNS1_11target_archE942ELNS1_3gpuE9ELNS1_3repE0EEENS1_30default_config_static_selectorELNS0_4arch9wavefront6targetE0EEEvT1_,comdat
	.protected	_ZN7rocprim17ROCPRIM_400000_NS6detail17trampoline_kernelINS0_14default_configENS1_25partition_config_selectorILNS1_17partition_subalgoE6EiNS0_10empty_typeEbEEZZNS1_14partition_implILS5_6ELb0ES3_mN6thrust23THRUST_200600_302600_NS6detail15normal_iteratorINSA_10device_ptrIiEEEEPS6_SG_NS0_5tupleIJNSA_16discard_iteratorINSA_11use_defaultEEES6_EEENSH_IJSG_SG_EEES6_PlJNSB_9not_fun_tINSB_14equal_to_valueIiEEEEEEE10hipError_tPvRmT3_T4_T5_T6_T7_T9_mT8_P12ihipStream_tbDpT10_ENKUlT_T0_E_clISt17integral_constantIbLb1EES1B_EEDaS16_S17_EUlS16_E_NS1_11comp_targetILNS1_3genE5ELNS1_11target_archE942ELNS1_3gpuE9ELNS1_3repE0EEENS1_30default_config_static_selectorELNS0_4arch9wavefront6targetE0EEEvT1_ ; -- Begin function _ZN7rocprim17ROCPRIM_400000_NS6detail17trampoline_kernelINS0_14default_configENS1_25partition_config_selectorILNS1_17partition_subalgoE6EiNS0_10empty_typeEbEEZZNS1_14partition_implILS5_6ELb0ES3_mN6thrust23THRUST_200600_302600_NS6detail15normal_iteratorINSA_10device_ptrIiEEEEPS6_SG_NS0_5tupleIJNSA_16discard_iteratorINSA_11use_defaultEEES6_EEENSH_IJSG_SG_EEES6_PlJNSB_9not_fun_tINSB_14equal_to_valueIiEEEEEEE10hipError_tPvRmT3_T4_T5_T6_T7_T9_mT8_P12ihipStream_tbDpT10_ENKUlT_T0_E_clISt17integral_constantIbLb1EES1B_EEDaS16_S17_EUlS16_E_NS1_11comp_targetILNS1_3genE5ELNS1_11target_archE942ELNS1_3gpuE9ELNS1_3repE0EEENS1_30default_config_static_selectorELNS0_4arch9wavefront6targetE0EEEvT1_
	.globl	_ZN7rocprim17ROCPRIM_400000_NS6detail17trampoline_kernelINS0_14default_configENS1_25partition_config_selectorILNS1_17partition_subalgoE6EiNS0_10empty_typeEbEEZZNS1_14partition_implILS5_6ELb0ES3_mN6thrust23THRUST_200600_302600_NS6detail15normal_iteratorINSA_10device_ptrIiEEEEPS6_SG_NS0_5tupleIJNSA_16discard_iteratorINSA_11use_defaultEEES6_EEENSH_IJSG_SG_EEES6_PlJNSB_9not_fun_tINSB_14equal_to_valueIiEEEEEEE10hipError_tPvRmT3_T4_T5_T6_T7_T9_mT8_P12ihipStream_tbDpT10_ENKUlT_T0_E_clISt17integral_constantIbLb1EES1B_EEDaS16_S17_EUlS16_E_NS1_11comp_targetILNS1_3genE5ELNS1_11target_archE942ELNS1_3gpuE9ELNS1_3repE0EEENS1_30default_config_static_selectorELNS0_4arch9wavefront6targetE0EEEvT1_
	.p2align	8
	.type	_ZN7rocprim17ROCPRIM_400000_NS6detail17trampoline_kernelINS0_14default_configENS1_25partition_config_selectorILNS1_17partition_subalgoE6EiNS0_10empty_typeEbEEZZNS1_14partition_implILS5_6ELb0ES3_mN6thrust23THRUST_200600_302600_NS6detail15normal_iteratorINSA_10device_ptrIiEEEEPS6_SG_NS0_5tupleIJNSA_16discard_iteratorINSA_11use_defaultEEES6_EEENSH_IJSG_SG_EEES6_PlJNSB_9not_fun_tINSB_14equal_to_valueIiEEEEEEE10hipError_tPvRmT3_T4_T5_T6_T7_T9_mT8_P12ihipStream_tbDpT10_ENKUlT_T0_E_clISt17integral_constantIbLb1EES1B_EEDaS16_S17_EUlS16_E_NS1_11comp_targetILNS1_3genE5ELNS1_11target_archE942ELNS1_3gpuE9ELNS1_3repE0EEENS1_30default_config_static_selectorELNS0_4arch9wavefront6targetE0EEEvT1_,@function
_ZN7rocprim17ROCPRIM_400000_NS6detail17trampoline_kernelINS0_14default_configENS1_25partition_config_selectorILNS1_17partition_subalgoE6EiNS0_10empty_typeEbEEZZNS1_14partition_implILS5_6ELb0ES3_mN6thrust23THRUST_200600_302600_NS6detail15normal_iteratorINSA_10device_ptrIiEEEEPS6_SG_NS0_5tupleIJNSA_16discard_iteratorINSA_11use_defaultEEES6_EEENSH_IJSG_SG_EEES6_PlJNSB_9not_fun_tINSB_14equal_to_valueIiEEEEEEE10hipError_tPvRmT3_T4_T5_T6_T7_T9_mT8_P12ihipStream_tbDpT10_ENKUlT_T0_E_clISt17integral_constantIbLb1EES1B_EEDaS16_S17_EUlS16_E_NS1_11comp_targetILNS1_3genE5ELNS1_11target_archE942ELNS1_3gpuE9ELNS1_3repE0EEENS1_30default_config_static_selectorELNS0_4arch9wavefront6targetE0EEEvT1_: ; @_ZN7rocprim17ROCPRIM_400000_NS6detail17trampoline_kernelINS0_14default_configENS1_25partition_config_selectorILNS1_17partition_subalgoE6EiNS0_10empty_typeEbEEZZNS1_14partition_implILS5_6ELb0ES3_mN6thrust23THRUST_200600_302600_NS6detail15normal_iteratorINSA_10device_ptrIiEEEEPS6_SG_NS0_5tupleIJNSA_16discard_iteratorINSA_11use_defaultEEES6_EEENSH_IJSG_SG_EEES6_PlJNSB_9not_fun_tINSB_14equal_to_valueIiEEEEEEE10hipError_tPvRmT3_T4_T5_T6_T7_T9_mT8_P12ihipStream_tbDpT10_ENKUlT_T0_E_clISt17integral_constantIbLb1EES1B_EEDaS16_S17_EUlS16_E_NS1_11comp_targetILNS1_3genE5ELNS1_11target_archE942ELNS1_3gpuE9ELNS1_3repE0EEENS1_30default_config_static_selectorELNS0_4arch9wavefront6targetE0EEEvT1_
; %bb.0:
	.section	.rodata,"a",@progbits
	.p2align	6, 0x0
	.amdhsa_kernel _ZN7rocprim17ROCPRIM_400000_NS6detail17trampoline_kernelINS0_14default_configENS1_25partition_config_selectorILNS1_17partition_subalgoE6EiNS0_10empty_typeEbEEZZNS1_14partition_implILS5_6ELb0ES3_mN6thrust23THRUST_200600_302600_NS6detail15normal_iteratorINSA_10device_ptrIiEEEEPS6_SG_NS0_5tupleIJNSA_16discard_iteratorINSA_11use_defaultEEES6_EEENSH_IJSG_SG_EEES6_PlJNSB_9not_fun_tINSB_14equal_to_valueIiEEEEEEE10hipError_tPvRmT3_T4_T5_T6_T7_T9_mT8_P12ihipStream_tbDpT10_ENKUlT_T0_E_clISt17integral_constantIbLb1EES1B_EEDaS16_S17_EUlS16_E_NS1_11comp_targetILNS1_3genE5ELNS1_11target_archE942ELNS1_3gpuE9ELNS1_3repE0EEENS1_30default_config_static_selectorELNS0_4arch9wavefront6targetE0EEEvT1_
		.amdhsa_group_segment_fixed_size 0
		.amdhsa_private_segment_fixed_size 0
		.amdhsa_kernarg_size 136
		.amdhsa_user_sgpr_count 2
		.amdhsa_user_sgpr_dispatch_ptr 0
		.amdhsa_user_sgpr_queue_ptr 0
		.amdhsa_user_sgpr_kernarg_segment_ptr 1
		.amdhsa_user_sgpr_dispatch_id 0
		.amdhsa_user_sgpr_private_segment_size 0
		.amdhsa_wavefront_size32 1
		.amdhsa_uses_dynamic_stack 0
		.amdhsa_enable_private_segment 0
		.amdhsa_system_sgpr_workgroup_id_x 1
		.amdhsa_system_sgpr_workgroup_id_y 0
		.amdhsa_system_sgpr_workgroup_id_z 0
		.amdhsa_system_sgpr_workgroup_info 0
		.amdhsa_system_vgpr_workitem_id 0
		.amdhsa_next_free_vgpr 1
		.amdhsa_next_free_sgpr 1
		.amdhsa_reserve_vcc 0
		.amdhsa_float_round_mode_32 0
		.amdhsa_float_round_mode_16_64 0
		.amdhsa_float_denorm_mode_32 3
		.amdhsa_float_denorm_mode_16_64 3
		.amdhsa_fp16_overflow 0
		.amdhsa_workgroup_processor_mode 1
		.amdhsa_memory_ordered 1
		.amdhsa_forward_progress 1
		.amdhsa_inst_pref_size 0
		.amdhsa_round_robin_scheduling 0
		.amdhsa_exception_fp_ieee_invalid_op 0
		.amdhsa_exception_fp_denorm_src 0
		.amdhsa_exception_fp_ieee_div_zero 0
		.amdhsa_exception_fp_ieee_overflow 0
		.amdhsa_exception_fp_ieee_underflow 0
		.amdhsa_exception_fp_ieee_inexact 0
		.amdhsa_exception_int_div_zero 0
	.end_amdhsa_kernel
	.section	.text._ZN7rocprim17ROCPRIM_400000_NS6detail17trampoline_kernelINS0_14default_configENS1_25partition_config_selectorILNS1_17partition_subalgoE6EiNS0_10empty_typeEbEEZZNS1_14partition_implILS5_6ELb0ES3_mN6thrust23THRUST_200600_302600_NS6detail15normal_iteratorINSA_10device_ptrIiEEEEPS6_SG_NS0_5tupleIJNSA_16discard_iteratorINSA_11use_defaultEEES6_EEENSH_IJSG_SG_EEES6_PlJNSB_9not_fun_tINSB_14equal_to_valueIiEEEEEEE10hipError_tPvRmT3_T4_T5_T6_T7_T9_mT8_P12ihipStream_tbDpT10_ENKUlT_T0_E_clISt17integral_constantIbLb1EES1B_EEDaS16_S17_EUlS16_E_NS1_11comp_targetILNS1_3genE5ELNS1_11target_archE942ELNS1_3gpuE9ELNS1_3repE0EEENS1_30default_config_static_selectorELNS0_4arch9wavefront6targetE0EEEvT1_,"axG",@progbits,_ZN7rocprim17ROCPRIM_400000_NS6detail17trampoline_kernelINS0_14default_configENS1_25partition_config_selectorILNS1_17partition_subalgoE6EiNS0_10empty_typeEbEEZZNS1_14partition_implILS5_6ELb0ES3_mN6thrust23THRUST_200600_302600_NS6detail15normal_iteratorINSA_10device_ptrIiEEEEPS6_SG_NS0_5tupleIJNSA_16discard_iteratorINSA_11use_defaultEEES6_EEENSH_IJSG_SG_EEES6_PlJNSB_9not_fun_tINSB_14equal_to_valueIiEEEEEEE10hipError_tPvRmT3_T4_T5_T6_T7_T9_mT8_P12ihipStream_tbDpT10_ENKUlT_T0_E_clISt17integral_constantIbLb1EES1B_EEDaS16_S17_EUlS16_E_NS1_11comp_targetILNS1_3genE5ELNS1_11target_archE942ELNS1_3gpuE9ELNS1_3repE0EEENS1_30default_config_static_selectorELNS0_4arch9wavefront6targetE0EEEvT1_,comdat
.Lfunc_end1766:
	.size	_ZN7rocprim17ROCPRIM_400000_NS6detail17trampoline_kernelINS0_14default_configENS1_25partition_config_selectorILNS1_17partition_subalgoE6EiNS0_10empty_typeEbEEZZNS1_14partition_implILS5_6ELb0ES3_mN6thrust23THRUST_200600_302600_NS6detail15normal_iteratorINSA_10device_ptrIiEEEEPS6_SG_NS0_5tupleIJNSA_16discard_iteratorINSA_11use_defaultEEES6_EEENSH_IJSG_SG_EEES6_PlJNSB_9not_fun_tINSB_14equal_to_valueIiEEEEEEE10hipError_tPvRmT3_T4_T5_T6_T7_T9_mT8_P12ihipStream_tbDpT10_ENKUlT_T0_E_clISt17integral_constantIbLb1EES1B_EEDaS16_S17_EUlS16_E_NS1_11comp_targetILNS1_3genE5ELNS1_11target_archE942ELNS1_3gpuE9ELNS1_3repE0EEENS1_30default_config_static_selectorELNS0_4arch9wavefront6targetE0EEEvT1_, .Lfunc_end1766-_ZN7rocprim17ROCPRIM_400000_NS6detail17trampoline_kernelINS0_14default_configENS1_25partition_config_selectorILNS1_17partition_subalgoE6EiNS0_10empty_typeEbEEZZNS1_14partition_implILS5_6ELb0ES3_mN6thrust23THRUST_200600_302600_NS6detail15normal_iteratorINSA_10device_ptrIiEEEEPS6_SG_NS0_5tupleIJNSA_16discard_iteratorINSA_11use_defaultEEES6_EEENSH_IJSG_SG_EEES6_PlJNSB_9not_fun_tINSB_14equal_to_valueIiEEEEEEE10hipError_tPvRmT3_T4_T5_T6_T7_T9_mT8_P12ihipStream_tbDpT10_ENKUlT_T0_E_clISt17integral_constantIbLb1EES1B_EEDaS16_S17_EUlS16_E_NS1_11comp_targetILNS1_3genE5ELNS1_11target_archE942ELNS1_3gpuE9ELNS1_3repE0EEENS1_30default_config_static_selectorELNS0_4arch9wavefront6targetE0EEEvT1_
                                        ; -- End function
	.set _ZN7rocprim17ROCPRIM_400000_NS6detail17trampoline_kernelINS0_14default_configENS1_25partition_config_selectorILNS1_17partition_subalgoE6EiNS0_10empty_typeEbEEZZNS1_14partition_implILS5_6ELb0ES3_mN6thrust23THRUST_200600_302600_NS6detail15normal_iteratorINSA_10device_ptrIiEEEEPS6_SG_NS0_5tupleIJNSA_16discard_iteratorINSA_11use_defaultEEES6_EEENSH_IJSG_SG_EEES6_PlJNSB_9not_fun_tINSB_14equal_to_valueIiEEEEEEE10hipError_tPvRmT3_T4_T5_T6_T7_T9_mT8_P12ihipStream_tbDpT10_ENKUlT_T0_E_clISt17integral_constantIbLb1EES1B_EEDaS16_S17_EUlS16_E_NS1_11comp_targetILNS1_3genE5ELNS1_11target_archE942ELNS1_3gpuE9ELNS1_3repE0EEENS1_30default_config_static_selectorELNS0_4arch9wavefront6targetE0EEEvT1_.num_vgpr, 0
	.set _ZN7rocprim17ROCPRIM_400000_NS6detail17trampoline_kernelINS0_14default_configENS1_25partition_config_selectorILNS1_17partition_subalgoE6EiNS0_10empty_typeEbEEZZNS1_14partition_implILS5_6ELb0ES3_mN6thrust23THRUST_200600_302600_NS6detail15normal_iteratorINSA_10device_ptrIiEEEEPS6_SG_NS0_5tupleIJNSA_16discard_iteratorINSA_11use_defaultEEES6_EEENSH_IJSG_SG_EEES6_PlJNSB_9not_fun_tINSB_14equal_to_valueIiEEEEEEE10hipError_tPvRmT3_T4_T5_T6_T7_T9_mT8_P12ihipStream_tbDpT10_ENKUlT_T0_E_clISt17integral_constantIbLb1EES1B_EEDaS16_S17_EUlS16_E_NS1_11comp_targetILNS1_3genE5ELNS1_11target_archE942ELNS1_3gpuE9ELNS1_3repE0EEENS1_30default_config_static_selectorELNS0_4arch9wavefront6targetE0EEEvT1_.num_agpr, 0
	.set _ZN7rocprim17ROCPRIM_400000_NS6detail17trampoline_kernelINS0_14default_configENS1_25partition_config_selectorILNS1_17partition_subalgoE6EiNS0_10empty_typeEbEEZZNS1_14partition_implILS5_6ELb0ES3_mN6thrust23THRUST_200600_302600_NS6detail15normal_iteratorINSA_10device_ptrIiEEEEPS6_SG_NS0_5tupleIJNSA_16discard_iteratorINSA_11use_defaultEEES6_EEENSH_IJSG_SG_EEES6_PlJNSB_9not_fun_tINSB_14equal_to_valueIiEEEEEEE10hipError_tPvRmT3_T4_T5_T6_T7_T9_mT8_P12ihipStream_tbDpT10_ENKUlT_T0_E_clISt17integral_constantIbLb1EES1B_EEDaS16_S17_EUlS16_E_NS1_11comp_targetILNS1_3genE5ELNS1_11target_archE942ELNS1_3gpuE9ELNS1_3repE0EEENS1_30default_config_static_selectorELNS0_4arch9wavefront6targetE0EEEvT1_.numbered_sgpr, 0
	.set _ZN7rocprim17ROCPRIM_400000_NS6detail17trampoline_kernelINS0_14default_configENS1_25partition_config_selectorILNS1_17partition_subalgoE6EiNS0_10empty_typeEbEEZZNS1_14partition_implILS5_6ELb0ES3_mN6thrust23THRUST_200600_302600_NS6detail15normal_iteratorINSA_10device_ptrIiEEEEPS6_SG_NS0_5tupleIJNSA_16discard_iteratorINSA_11use_defaultEEES6_EEENSH_IJSG_SG_EEES6_PlJNSB_9not_fun_tINSB_14equal_to_valueIiEEEEEEE10hipError_tPvRmT3_T4_T5_T6_T7_T9_mT8_P12ihipStream_tbDpT10_ENKUlT_T0_E_clISt17integral_constantIbLb1EES1B_EEDaS16_S17_EUlS16_E_NS1_11comp_targetILNS1_3genE5ELNS1_11target_archE942ELNS1_3gpuE9ELNS1_3repE0EEENS1_30default_config_static_selectorELNS0_4arch9wavefront6targetE0EEEvT1_.num_named_barrier, 0
	.set _ZN7rocprim17ROCPRIM_400000_NS6detail17trampoline_kernelINS0_14default_configENS1_25partition_config_selectorILNS1_17partition_subalgoE6EiNS0_10empty_typeEbEEZZNS1_14partition_implILS5_6ELb0ES3_mN6thrust23THRUST_200600_302600_NS6detail15normal_iteratorINSA_10device_ptrIiEEEEPS6_SG_NS0_5tupleIJNSA_16discard_iteratorINSA_11use_defaultEEES6_EEENSH_IJSG_SG_EEES6_PlJNSB_9not_fun_tINSB_14equal_to_valueIiEEEEEEE10hipError_tPvRmT3_T4_T5_T6_T7_T9_mT8_P12ihipStream_tbDpT10_ENKUlT_T0_E_clISt17integral_constantIbLb1EES1B_EEDaS16_S17_EUlS16_E_NS1_11comp_targetILNS1_3genE5ELNS1_11target_archE942ELNS1_3gpuE9ELNS1_3repE0EEENS1_30default_config_static_selectorELNS0_4arch9wavefront6targetE0EEEvT1_.private_seg_size, 0
	.set _ZN7rocprim17ROCPRIM_400000_NS6detail17trampoline_kernelINS0_14default_configENS1_25partition_config_selectorILNS1_17partition_subalgoE6EiNS0_10empty_typeEbEEZZNS1_14partition_implILS5_6ELb0ES3_mN6thrust23THRUST_200600_302600_NS6detail15normal_iteratorINSA_10device_ptrIiEEEEPS6_SG_NS0_5tupleIJNSA_16discard_iteratorINSA_11use_defaultEEES6_EEENSH_IJSG_SG_EEES6_PlJNSB_9not_fun_tINSB_14equal_to_valueIiEEEEEEE10hipError_tPvRmT3_T4_T5_T6_T7_T9_mT8_P12ihipStream_tbDpT10_ENKUlT_T0_E_clISt17integral_constantIbLb1EES1B_EEDaS16_S17_EUlS16_E_NS1_11comp_targetILNS1_3genE5ELNS1_11target_archE942ELNS1_3gpuE9ELNS1_3repE0EEENS1_30default_config_static_selectorELNS0_4arch9wavefront6targetE0EEEvT1_.uses_vcc, 0
	.set _ZN7rocprim17ROCPRIM_400000_NS6detail17trampoline_kernelINS0_14default_configENS1_25partition_config_selectorILNS1_17partition_subalgoE6EiNS0_10empty_typeEbEEZZNS1_14partition_implILS5_6ELb0ES3_mN6thrust23THRUST_200600_302600_NS6detail15normal_iteratorINSA_10device_ptrIiEEEEPS6_SG_NS0_5tupleIJNSA_16discard_iteratorINSA_11use_defaultEEES6_EEENSH_IJSG_SG_EEES6_PlJNSB_9not_fun_tINSB_14equal_to_valueIiEEEEEEE10hipError_tPvRmT3_T4_T5_T6_T7_T9_mT8_P12ihipStream_tbDpT10_ENKUlT_T0_E_clISt17integral_constantIbLb1EES1B_EEDaS16_S17_EUlS16_E_NS1_11comp_targetILNS1_3genE5ELNS1_11target_archE942ELNS1_3gpuE9ELNS1_3repE0EEENS1_30default_config_static_selectorELNS0_4arch9wavefront6targetE0EEEvT1_.uses_flat_scratch, 0
	.set _ZN7rocprim17ROCPRIM_400000_NS6detail17trampoline_kernelINS0_14default_configENS1_25partition_config_selectorILNS1_17partition_subalgoE6EiNS0_10empty_typeEbEEZZNS1_14partition_implILS5_6ELb0ES3_mN6thrust23THRUST_200600_302600_NS6detail15normal_iteratorINSA_10device_ptrIiEEEEPS6_SG_NS0_5tupleIJNSA_16discard_iteratorINSA_11use_defaultEEES6_EEENSH_IJSG_SG_EEES6_PlJNSB_9not_fun_tINSB_14equal_to_valueIiEEEEEEE10hipError_tPvRmT3_T4_T5_T6_T7_T9_mT8_P12ihipStream_tbDpT10_ENKUlT_T0_E_clISt17integral_constantIbLb1EES1B_EEDaS16_S17_EUlS16_E_NS1_11comp_targetILNS1_3genE5ELNS1_11target_archE942ELNS1_3gpuE9ELNS1_3repE0EEENS1_30default_config_static_selectorELNS0_4arch9wavefront6targetE0EEEvT1_.has_dyn_sized_stack, 0
	.set _ZN7rocprim17ROCPRIM_400000_NS6detail17trampoline_kernelINS0_14default_configENS1_25partition_config_selectorILNS1_17partition_subalgoE6EiNS0_10empty_typeEbEEZZNS1_14partition_implILS5_6ELb0ES3_mN6thrust23THRUST_200600_302600_NS6detail15normal_iteratorINSA_10device_ptrIiEEEEPS6_SG_NS0_5tupleIJNSA_16discard_iteratorINSA_11use_defaultEEES6_EEENSH_IJSG_SG_EEES6_PlJNSB_9not_fun_tINSB_14equal_to_valueIiEEEEEEE10hipError_tPvRmT3_T4_T5_T6_T7_T9_mT8_P12ihipStream_tbDpT10_ENKUlT_T0_E_clISt17integral_constantIbLb1EES1B_EEDaS16_S17_EUlS16_E_NS1_11comp_targetILNS1_3genE5ELNS1_11target_archE942ELNS1_3gpuE9ELNS1_3repE0EEENS1_30default_config_static_selectorELNS0_4arch9wavefront6targetE0EEEvT1_.has_recursion, 0
	.set _ZN7rocprim17ROCPRIM_400000_NS6detail17trampoline_kernelINS0_14default_configENS1_25partition_config_selectorILNS1_17partition_subalgoE6EiNS0_10empty_typeEbEEZZNS1_14partition_implILS5_6ELb0ES3_mN6thrust23THRUST_200600_302600_NS6detail15normal_iteratorINSA_10device_ptrIiEEEEPS6_SG_NS0_5tupleIJNSA_16discard_iteratorINSA_11use_defaultEEES6_EEENSH_IJSG_SG_EEES6_PlJNSB_9not_fun_tINSB_14equal_to_valueIiEEEEEEE10hipError_tPvRmT3_T4_T5_T6_T7_T9_mT8_P12ihipStream_tbDpT10_ENKUlT_T0_E_clISt17integral_constantIbLb1EES1B_EEDaS16_S17_EUlS16_E_NS1_11comp_targetILNS1_3genE5ELNS1_11target_archE942ELNS1_3gpuE9ELNS1_3repE0EEENS1_30default_config_static_selectorELNS0_4arch9wavefront6targetE0EEEvT1_.has_indirect_call, 0
	.section	.AMDGPU.csdata,"",@progbits
; Kernel info:
; codeLenInByte = 0
; TotalNumSgprs: 0
; NumVgprs: 0
; ScratchSize: 0
; MemoryBound: 0
; FloatMode: 240
; IeeeMode: 1
; LDSByteSize: 0 bytes/workgroup (compile time only)
; SGPRBlocks: 0
; VGPRBlocks: 0
; NumSGPRsForWavesPerEU: 1
; NumVGPRsForWavesPerEU: 1
; Occupancy: 16
; WaveLimiterHint : 0
; COMPUTE_PGM_RSRC2:SCRATCH_EN: 0
; COMPUTE_PGM_RSRC2:USER_SGPR: 2
; COMPUTE_PGM_RSRC2:TRAP_HANDLER: 0
; COMPUTE_PGM_RSRC2:TGID_X_EN: 1
; COMPUTE_PGM_RSRC2:TGID_Y_EN: 0
; COMPUTE_PGM_RSRC2:TGID_Z_EN: 0
; COMPUTE_PGM_RSRC2:TIDIG_COMP_CNT: 0
	.section	.text._ZN7rocprim17ROCPRIM_400000_NS6detail17trampoline_kernelINS0_14default_configENS1_25partition_config_selectorILNS1_17partition_subalgoE6EiNS0_10empty_typeEbEEZZNS1_14partition_implILS5_6ELb0ES3_mN6thrust23THRUST_200600_302600_NS6detail15normal_iteratorINSA_10device_ptrIiEEEEPS6_SG_NS0_5tupleIJNSA_16discard_iteratorINSA_11use_defaultEEES6_EEENSH_IJSG_SG_EEES6_PlJNSB_9not_fun_tINSB_14equal_to_valueIiEEEEEEE10hipError_tPvRmT3_T4_T5_T6_T7_T9_mT8_P12ihipStream_tbDpT10_ENKUlT_T0_E_clISt17integral_constantIbLb1EES1B_EEDaS16_S17_EUlS16_E_NS1_11comp_targetILNS1_3genE4ELNS1_11target_archE910ELNS1_3gpuE8ELNS1_3repE0EEENS1_30default_config_static_selectorELNS0_4arch9wavefront6targetE0EEEvT1_,"axG",@progbits,_ZN7rocprim17ROCPRIM_400000_NS6detail17trampoline_kernelINS0_14default_configENS1_25partition_config_selectorILNS1_17partition_subalgoE6EiNS0_10empty_typeEbEEZZNS1_14partition_implILS5_6ELb0ES3_mN6thrust23THRUST_200600_302600_NS6detail15normal_iteratorINSA_10device_ptrIiEEEEPS6_SG_NS0_5tupleIJNSA_16discard_iteratorINSA_11use_defaultEEES6_EEENSH_IJSG_SG_EEES6_PlJNSB_9not_fun_tINSB_14equal_to_valueIiEEEEEEE10hipError_tPvRmT3_T4_T5_T6_T7_T9_mT8_P12ihipStream_tbDpT10_ENKUlT_T0_E_clISt17integral_constantIbLb1EES1B_EEDaS16_S17_EUlS16_E_NS1_11comp_targetILNS1_3genE4ELNS1_11target_archE910ELNS1_3gpuE8ELNS1_3repE0EEENS1_30default_config_static_selectorELNS0_4arch9wavefront6targetE0EEEvT1_,comdat
	.protected	_ZN7rocprim17ROCPRIM_400000_NS6detail17trampoline_kernelINS0_14default_configENS1_25partition_config_selectorILNS1_17partition_subalgoE6EiNS0_10empty_typeEbEEZZNS1_14partition_implILS5_6ELb0ES3_mN6thrust23THRUST_200600_302600_NS6detail15normal_iteratorINSA_10device_ptrIiEEEEPS6_SG_NS0_5tupleIJNSA_16discard_iteratorINSA_11use_defaultEEES6_EEENSH_IJSG_SG_EEES6_PlJNSB_9not_fun_tINSB_14equal_to_valueIiEEEEEEE10hipError_tPvRmT3_T4_T5_T6_T7_T9_mT8_P12ihipStream_tbDpT10_ENKUlT_T0_E_clISt17integral_constantIbLb1EES1B_EEDaS16_S17_EUlS16_E_NS1_11comp_targetILNS1_3genE4ELNS1_11target_archE910ELNS1_3gpuE8ELNS1_3repE0EEENS1_30default_config_static_selectorELNS0_4arch9wavefront6targetE0EEEvT1_ ; -- Begin function _ZN7rocprim17ROCPRIM_400000_NS6detail17trampoline_kernelINS0_14default_configENS1_25partition_config_selectorILNS1_17partition_subalgoE6EiNS0_10empty_typeEbEEZZNS1_14partition_implILS5_6ELb0ES3_mN6thrust23THRUST_200600_302600_NS6detail15normal_iteratorINSA_10device_ptrIiEEEEPS6_SG_NS0_5tupleIJNSA_16discard_iteratorINSA_11use_defaultEEES6_EEENSH_IJSG_SG_EEES6_PlJNSB_9not_fun_tINSB_14equal_to_valueIiEEEEEEE10hipError_tPvRmT3_T4_T5_T6_T7_T9_mT8_P12ihipStream_tbDpT10_ENKUlT_T0_E_clISt17integral_constantIbLb1EES1B_EEDaS16_S17_EUlS16_E_NS1_11comp_targetILNS1_3genE4ELNS1_11target_archE910ELNS1_3gpuE8ELNS1_3repE0EEENS1_30default_config_static_selectorELNS0_4arch9wavefront6targetE0EEEvT1_
	.globl	_ZN7rocprim17ROCPRIM_400000_NS6detail17trampoline_kernelINS0_14default_configENS1_25partition_config_selectorILNS1_17partition_subalgoE6EiNS0_10empty_typeEbEEZZNS1_14partition_implILS5_6ELb0ES3_mN6thrust23THRUST_200600_302600_NS6detail15normal_iteratorINSA_10device_ptrIiEEEEPS6_SG_NS0_5tupleIJNSA_16discard_iteratorINSA_11use_defaultEEES6_EEENSH_IJSG_SG_EEES6_PlJNSB_9not_fun_tINSB_14equal_to_valueIiEEEEEEE10hipError_tPvRmT3_T4_T5_T6_T7_T9_mT8_P12ihipStream_tbDpT10_ENKUlT_T0_E_clISt17integral_constantIbLb1EES1B_EEDaS16_S17_EUlS16_E_NS1_11comp_targetILNS1_3genE4ELNS1_11target_archE910ELNS1_3gpuE8ELNS1_3repE0EEENS1_30default_config_static_selectorELNS0_4arch9wavefront6targetE0EEEvT1_
	.p2align	8
	.type	_ZN7rocprim17ROCPRIM_400000_NS6detail17trampoline_kernelINS0_14default_configENS1_25partition_config_selectorILNS1_17partition_subalgoE6EiNS0_10empty_typeEbEEZZNS1_14partition_implILS5_6ELb0ES3_mN6thrust23THRUST_200600_302600_NS6detail15normal_iteratorINSA_10device_ptrIiEEEEPS6_SG_NS0_5tupleIJNSA_16discard_iteratorINSA_11use_defaultEEES6_EEENSH_IJSG_SG_EEES6_PlJNSB_9not_fun_tINSB_14equal_to_valueIiEEEEEEE10hipError_tPvRmT3_T4_T5_T6_T7_T9_mT8_P12ihipStream_tbDpT10_ENKUlT_T0_E_clISt17integral_constantIbLb1EES1B_EEDaS16_S17_EUlS16_E_NS1_11comp_targetILNS1_3genE4ELNS1_11target_archE910ELNS1_3gpuE8ELNS1_3repE0EEENS1_30default_config_static_selectorELNS0_4arch9wavefront6targetE0EEEvT1_,@function
_ZN7rocprim17ROCPRIM_400000_NS6detail17trampoline_kernelINS0_14default_configENS1_25partition_config_selectorILNS1_17partition_subalgoE6EiNS0_10empty_typeEbEEZZNS1_14partition_implILS5_6ELb0ES3_mN6thrust23THRUST_200600_302600_NS6detail15normal_iteratorINSA_10device_ptrIiEEEEPS6_SG_NS0_5tupleIJNSA_16discard_iteratorINSA_11use_defaultEEES6_EEENSH_IJSG_SG_EEES6_PlJNSB_9not_fun_tINSB_14equal_to_valueIiEEEEEEE10hipError_tPvRmT3_T4_T5_T6_T7_T9_mT8_P12ihipStream_tbDpT10_ENKUlT_T0_E_clISt17integral_constantIbLb1EES1B_EEDaS16_S17_EUlS16_E_NS1_11comp_targetILNS1_3genE4ELNS1_11target_archE910ELNS1_3gpuE8ELNS1_3repE0EEENS1_30default_config_static_selectorELNS0_4arch9wavefront6targetE0EEEvT1_: ; @_ZN7rocprim17ROCPRIM_400000_NS6detail17trampoline_kernelINS0_14default_configENS1_25partition_config_selectorILNS1_17partition_subalgoE6EiNS0_10empty_typeEbEEZZNS1_14partition_implILS5_6ELb0ES3_mN6thrust23THRUST_200600_302600_NS6detail15normal_iteratorINSA_10device_ptrIiEEEEPS6_SG_NS0_5tupleIJNSA_16discard_iteratorINSA_11use_defaultEEES6_EEENSH_IJSG_SG_EEES6_PlJNSB_9not_fun_tINSB_14equal_to_valueIiEEEEEEE10hipError_tPvRmT3_T4_T5_T6_T7_T9_mT8_P12ihipStream_tbDpT10_ENKUlT_T0_E_clISt17integral_constantIbLb1EES1B_EEDaS16_S17_EUlS16_E_NS1_11comp_targetILNS1_3genE4ELNS1_11target_archE910ELNS1_3gpuE8ELNS1_3repE0EEENS1_30default_config_static_selectorELNS0_4arch9wavefront6targetE0EEEvT1_
; %bb.0:
	.section	.rodata,"a",@progbits
	.p2align	6, 0x0
	.amdhsa_kernel _ZN7rocprim17ROCPRIM_400000_NS6detail17trampoline_kernelINS0_14default_configENS1_25partition_config_selectorILNS1_17partition_subalgoE6EiNS0_10empty_typeEbEEZZNS1_14partition_implILS5_6ELb0ES3_mN6thrust23THRUST_200600_302600_NS6detail15normal_iteratorINSA_10device_ptrIiEEEEPS6_SG_NS0_5tupleIJNSA_16discard_iteratorINSA_11use_defaultEEES6_EEENSH_IJSG_SG_EEES6_PlJNSB_9not_fun_tINSB_14equal_to_valueIiEEEEEEE10hipError_tPvRmT3_T4_T5_T6_T7_T9_mT8_P12ihipStream_tbDpT10_ENKUlT_T0_E_clISt17integral_constantIbLb1EES1B_EEDaS16_S17_EUlS16_E_NS1_11comp_targetILNS1_3genE4ELNS1_11target_archE910ELNS1_3gpuE8ELNS1_3repE0EEENS1_30default_config_static_selectorELNS0_4arch9wavefront6targetE0EEEvT1_
		.amdhsa_group_segment_fixed_size 0
		.amdhsa_private_segment_fixed_size 0
		.amdhsa_kernarg_size 136
		.amdhsa_user_sgpr_count 2
		.amdhsa_user_sgpr_dispatch_ptr 0
		.amdhsa_user_sgpr_queue_ptr 0
		.amdhsa_user_sgpr_kernarg_segment_ptr 1
		.amdhsa_user_sgpr_dispatch_id 0
		.amdhsa_user_sgpr_private_segment_size 0
		.amdhsa_wavefront_size32 1
		.amdhsa_uses_dynamic_stack 0
		.amdhsa_enable_private_segment 0
		.amdhsa_system_sgpr_workgroup_id_x 1
		.amdhsa_system_sgpr_workgroup_id_y 0
		.amdhsa_system_sgpr_workgroup_id_z 0
		.amdhsa_system_sgpr_workgroup_info 0
		.amdhsa_system_vgpr_workitem_id 0
		.amdhsa_next_free_vgpr 1
		.amdhsa_next_free_sgpr 1
		.amdhsa_reserve_vcc 0
		.amdhsa_float_round_mode_32 0
		.amdhsa_float_round_mode_16_64 0
		.amdhsa_float_denorm_mode_32 3
		.amdhsa_float_denorm_mode_16_64 3
		.amdhsa_fp16_overflow 0
		.amdhsa_workgroup_processor_mode 1
		.amdhsa_memory_ordered 1
		.amdhsa_forward_progress 1
		.amdhsa_inst_pref_size 0
		.amdhsa_round_robin_scheduling 0
		.amdhsa_exception_fp_ieee_invalid_op 0
		.amdhsa_exception_fp_denorm_src 0
		.amdhsa_exception_fp_ieee_div_zero 0
		.amdhsa_exception_fp_ieee_overflow 0
		.amdhsa_exception_fp_ieee_underflow 0
		.amdhsa_exception_fp_ieee_inexact 0
		.amdhsa_exception_int_div_zero 0
	.end_amdhsa_kernel
	.section	.text._ZN7rocprim17ROCPRIM_400000_NS6detail17trampoline_kernelINS0_14default_configENS1_25partition_config_selectorILNS1_17partition_subalgoE6EiNS0_10empty_typeEbEEZZNS1_14partition_implILS5_6ELb0ES3_mN6thrust23THRUST_200600_302600_NS6detail15normal_iteratorINSA_10device_ptrIiEEEEPS6_SG_NS0_5tupleIJNSA_16discard_iteratorINSA_11use_defaultEEES6_EEENSH_IJSG_SG_EEES6_PlJNSB_9not_fun_tINSB_14equal_to_valueIiEEEEEEE10hipError_tPvRmT3_T4_T5_T6_T7_T9_mT8_P12ihipStream_tbDpT10_ENKUlT_T0_E_clISt17integral_constantIbLb1EES1B_EEDaS16_S17_EUlS16_E_NS1_11comp_targetILNS1_3genE4ELNS1_11target_archE910ELNS1_3gpuE8ELNS1_3repE0EEENS1_30default_config_static_selectorELNS0_4arch9wavefront6targetE0EEEvT1_,"axG",@progbits,_ZN7rocprim17ROCPRIM_400000_NS6detail17trampoline_kernelINS0_14default_configENS1_25partition_config_selectorILNS1_17partition_subalgoE6EiNS0_10empty_typeEbEEZZNS1_14partition_implILS5_6ELb0ES3_mN6thrust23THRUST_200600_302600_NS6detail15normal_iteratorINSA_10device_ptrIiEEEEPS6_SG_NS0_5tupleIJNSA_16discard_iteratorINSA_11use_defaultEEES6_EEENSH_IJSG_SG_EEES6_PlJNSB_9not_fun_tINSB_14equal_to_valueIiEEEEEEE10hipError_tPvRmT3_T4_T5_T6_T7_T9_mT8_P12ihipStream_tbDpT10_ENKUlT_T0_E_clISt17integral_constantIbLb1EES1B_EEDaS16_S17_EUlS16_E_NS1_11comp_targetILNS1_3genE4ELNS1_11target_archE910ELNS1_3gpuE8ELNS1_3repE0EEENS1_30default_config_static_selectorELNS0_4arch9wavefront6targetE0EEEvT1_,comdat
.Lfunc_end1767:
	.size	_ZN7rocprim17ROCPRIM_400000_NS6detail17trampoline_kernelINS0_14default_configENS1_25partition_config_selectorILNS1_17partition_subalgoE6EiNS0_10empty_typeEbEEZZNS1_14partition_implILS5_6ELb0ES3_mN6thrust23THRUST_200600_302600_NS6detail15normal_iteratorINSA_10device_ptrIiEEEEPS6_SG_NS0_5tupleIJNSA_16discard_iteratorINSA_11use_defaultEEES6_EEENSH_IJSG_SG_EEES6_PlJNSB_9not_fun_tINSB_14equal_to_valueIiEEEEEEE10hipError_tPvRmT3_T4_T5_T6_T7_T9_mT8_P12ihipStream_tbDpT10_ENKUlT_T0_E_clISt17integral_constantIbLb1EES1B_EEDaS16_S17_EUlS16_E_NS1_11comp_targetILNS1_3genE4ELNS1_11target_archE910ELNS1_3gpuE8ELNS1_3repE0EEENS1_30default_config_static_selectorELNS0_4arch9wavefront6targetE0EEEvT1_, .Lfunc_end1767-_ZN7rocprim17ROCPRIM_400000_NS6detail17trampoline_kernelINS0_14default_configENS1_25partition_config_selectorILNS1_17partition_subalgoE6EiNS0_10empty_typeEbEEZZNS1_14partition_implILS5_6ELb0ES3_mN6thrust23THRUST_200600_302600_NS6detail15normal_iteratorINSA_10device_ptrIiEEEEPS6_SG_NS0_5tupleIJNSA_16discard_iteratorINSA_11use_defaultEEES6_EEENSH_IJSG_SG_EEES6_PlJNSB_9not_fun_tINSB_14equal_to_valueIiEEEEEEE10hipError_tPvRmT3_T4_T5_T6_T7_T9_mT8_P12ihipStream_tbDpT10_ENKUlT_T0_E_clISt17integral_constantIbLb1EES1B_EEDaS16_S17_EUlS16_E_NS1_11comp_targetILNS1_3genE4ELNS1_11target_archE910ELNS1_3gpuE8ELNS1_3repE0EEENS1_30default_config_static_selectorELNS0_4arch9wavefront6targetE0EEEvT1_
                                        ; -- End function
	.set _ZN7rocprim17ROCPRIM_400000_NS6detail17trampoline_kernelINS0_14default_configENS1_25partition_config_selectorILNS1_17partition_subalgoE6EiNS0_10empty_typeEbEEZZNS1_14partition_implILS5_6ELb0ES3_mN6thrust23THRUST_200600_302600_NS6detail15normal_iteratorINSA_10device_ptrIiEEEEPS6_SG_NS0_5tupleIJNSA_16discard_iteratorINSA_11use_defaultEEES6_EEENSH_IJSG_SG_EEES6_PlJNSB_9not_fun_tINSB_14equal_to_valueIiEEEEEEE10hipError_tPvRmT3_T4_T5_T6_T7_T9_mT8_P12ihipStream_tbDpT10_ENKUlT_T0_E_clISt17integral_constantIbLb1EES1B_EEDaS16_S17_EUlS16_E_NS1_11comp_targetILNS1_3genE4ELNS1_11target_archE910ELNS1_3gpuE8ELNS1_3repE0EEENS1_30default_config_static_selectorELNS0_4arch9wavefront6targetE0EEEvT1_.num_vgpr, 0
	.set _ZN7rocprim17ROCPRIM_400000_NS6detail17trampoline_kernelINS0_14default_configENS1_25partition_config_selectorILNS1_17partition_subalgoE6EiNS0_10empty_typeEbEEZZNS1_14partition_implILS5_6ELb0ES3_mN6thrust23THRUST_200600_302600_NS6detail15normal_iteratorINSA_10device_ptrIiEEEEPS6_SG_NS0_5tupleIJNSA_16discard_iteratorINSA_11use_defaultEEES6_EEENSH_IJSG_SG_EEES6_PlJNSB_9not_fun_tINSB_14equal_to_valueIiEEEEEEE10hipError_tPvRmT3_T4_T5_T6_T7_T9_mT8_P12ihipStream_tbDpT10_ENKUlT_T0_E_clISt17integral_constantIbLb1EES1B_EEDaS16_S17_EUlS16_E_NS1_11comp_targetILNS1_3genE4ELNS1_11target_archE910ELNS1_3gpuE8ELNS1_3repE0EEENS1_30default_config_static_selectorELNS0_4arch9wavefront6targetE0EEEvT1_.num_agpr, 0
	.set _ZN7rocprim17ROCPRIM_400000_NS6detail17trampoline_kernelINS0_14default_configENS1_25partition_config_selectorILNS1_17partition_subalgoE6EiNS0_10empty_typeEbEEZZNS1_14partition_implILS5_6ELb0ES3_mN6thrust23THRUST_200600_302600_NS6detail15normal_iteratorINSA_10device_ptrIiEEEEPS6_SG_NS0_5tupleIJNSA_16discard_iteratorINSA_11use_defaultEEES6_EEENSH_IJSG_SG_EEES6_PlJNSB_9not_fun_tINSB_14equal_to_valueIiEEEEEEE10hipError_tPvRmT3_T4_T5_T6_T7_T9_mT8_P12ihipStream_tbDpT10_ENKUlT_T0_E_clISt17integral_constantIbLb1EES1B_EEDaS16_S17_EUlS16_E_NS1_11comp_targetILNS1_3genE4ELNS1_11target_archE910ELNS1_3gpuE8ELNS1_3repE0EEENS1_30default_config_static_selectorELNS0_4arch9wavefront6targetE0EEEvT1_.numbered_sgpr, 0
	.set _ZN7rocprim17ROCPRIM_400000_NS6detail17trampoline_kernelINS0_14default_configENS1_25partition_config_selectorILNS1_17partition_subalgoE6EiNS0_10empty_typeEbEEZZNS1_14partition_implILS5_6ELb0ES3_mN6thrust23THRUST_200600_302600_NS6detail15normal_iteratorINSA_10device_ptrIiEEEEPS6_SG_NS0_5tupleIJNSA_16discard_iteratorINSA_11use_defaultEEES6_EEENSH_IJSG_SG_EEES6_PlJNSB_9not_fun_tINSB_14equal_to_valueIiEEEEEEE10hipError_tPvRmT3_T4_T5_T6_T7_T9_mT8_P12ihipStream_tbDpT10_ENKUlT_T0_E_clISt17integral_constantIbLb1EES1B_EEDaS16_S17_EUlS16_E_NS1_11comp_targetILNS1_3genE4ELNS1_11target_archE910ELNS1_3gpuE8ELNS1_3repE0EEENS1_30default_config_static_selectorELNS0_4arch9wavefront6targetE0EEEvT1_.num_named_barrier, 0
	.set _ZN7rocprim17ROCPRIM_400000_NS6detail17trampoline_kernelINS0_14default_configENS1_25partition_config_selectorILNS1_17partition_subalgoE6EiNS0_10empty_typeEbEEZZNS1_14partition_implILS5_6ELb0ES3_mN6thrust23THRUST_200600_302600_NS6detail15normal_iteratorINSA_10device_ptrIiEEEEPS6_SG_NS0_5tupleIJNSA_16discard_iteratorINSA_11use_defaultEEES6_EEENSH_IJSG_SG_EEES6_PlJNSB_9not_fun_tINSB_14equal_to_valueIiEEEEEEE10hipError_tPvRmT3_T4_T5_T6_T7_T9_mT8_P12ihipStream_tbDpT10_ENKUlT_T0_E_clISt17integral_constantIbLb1EES1B_EEDaS16_S17_EUlS16_E_NS1_11comp_targetILNS1_3genE4ELNS1_11target_archE910ELNS1_3gpuE8ELNS1_3repE0EEENS1_30default_config_static_selectorELNS0_4arch9wavefront6targetE0EEEvT1_.private_seg_size, 0
	.set _ZN7rocprim17ROCPRIM_400000_NS6detail17trampoline_kernelINS0_14default_configENS1_25partition_config_selectorILNS1_17partition_subalgoE6EiNS0_10empty_typeEbEEZZNS1_14partition_implILS5_6ELb0ES3_mN6thrust23THRUST_200600_302600_NS6detail15normal_iteratorINSA_10device_ptrIiEEEEPS6_SG_NS0_5tupleIJNSA_16discard_iteratorINSA_11use_defaultEEES6_EEENSH_IJSG_SG_EEES6_PlJNSB_9not_fun_tINSB_14equal_to_valueIiEEEEEEE10hipError_tPvRmT3_T4_T5_T6_T7_T9_mT8_P12ihipStream_tbDpT10_ENKUlT_T0_E_clISt17integral_constantIbLb1EES1B_EEDaS16_S17_EUlS16_E_NS1_11comp_targetILNS1_3genE4ELNS1_11target_archE910ELNS1_3gpuE8ELNS1_3repE0EEENS1_30default_config_static_selectorELNS0_4arch9wavefront6targetE0EEEvT1_.uses_vcc, 0
	.set _ZN7rocprim17ROCPRIM_400000_NS6detail17trampoline_kernelINS0_14default_configENS1_25partition_config_selectorILNS1_17partition_subalgoE6EiNS0_10empty_typeEbEEZZNS1_14partition_implILS5_6ELb0ES3_mN6thrust23THRUST_200600_302600_NS6detail15normal_iteratorINSA_10device_ptrIiEEEEPS6_SG_NS0_5tupleIJNSA_16discard_iteratorINSA_11use_defaultEEES6_EEENSH_IJSG_SG_EEES6_PlJNSB_9not_fun_tINSB_14equal_to_valueIiEEEEEEE10hipError_tPvRmT3_T4_T5_T6_T7_T9_mT8_P12ihipStream_tbDpT10_ENKUlT_T0_E_clISt17integral_constantIbLb1EES1B_EEDaS16_S17_EUlS16_E_NS1_11comp_targetILNS1_3genE4ELNS1_11target_archE910ELNS1_3gpuE8ELNS1_3repE0EEENS1_30default_config_static_selectorELNS0_4arch9wavefront6targetE0EEEvT1_.uses_flat_scratch, 0
	.set _ZN7rocprim17ROCPRIM_400000_NS6detail17trampoline_kernelINS0_14default_configENS1_25partition_config_selectorILNS1_17partition_subalgoE6EiNS0_10empty_typeEbEEZZNS1_14partition_implILS5_6ELb0ES3_mN6thrust23THRUST_200600_302600_NS6detail15normal_iteratorINSA_10device_ptrIiEEEEPS6_SG_NS0_5tupleIJNSA_16discard_iteratorINSA_11use_defaultEEES6_EEENSH_IJSG_SG_EEES6_PlJNSB_9not_fun_tINSB_14equal_to_valueIiEEEEEEE10hipError_tPvRmT3_T4_T5_T6_T7_T9_mT8_P12ihipStream_tbDpT10_ENKUlT_T0_E_clISt17integral_constantIbLb1EES1B_EEDaS16_S17_EUlS16_E_NS1_11comp_targetILNS1_3genE4ELNS1_11target_archE910ELNS1_3gpuE8ELNS1_3repE0EEENS1_30default_config_static_selectorELNS0_4arch9wavefront6targetE0EEEvT1_.has_dyn_sized_stack, 0
	.set _ZN7rocprim17ROCPRIM_400000_NS6detail17trampoline_kernelINS0_14default_configENS1_25partition_config_selectorILNS1_17partition_subalgoE6EiNS0_10empty_typeEbEEZZNS1_14partition_implILS5_6ELb0ES3_mN6thrust23THRUST_200600_302600_NS6detail15normal_iteratorINSA_10device_ptrIiEEEEPS6_SG_NS0_5tupleIJNSA_16discard_iteratorINSA_11use_defaultEEES6_EEENSH_IJSG_SG_EEES6_PlJNSB_9not_fun_tINSB_14equal_to_valueIiEEEEEEE10hipError_tPvRmT3_T4_T5_T6_T7_T9_mT8_P12ihipStream_tbDpT10_ENKUlT_T0_E_clISt17integral_constantIbLb1EES1B_EEDaS16_S17_EUlS16_E_NS1_11comp_targetILNS1_3genE4ELNS1_11target_archE910ELNS1_3gpuE8ELNS1_3repE0EEENS1_30default_config_static_selectorELNS0_4arch9wavefront6targetE0EEEvT1_.has_recursion, 0
	.set _ZN7rocprim17ROCPRIM_400000_NS6detail17trampoline_kernelINS0_14default_configENS1_25partition_config_selectorILNS1_17partition_subalgoE6EiNS0_10empty_typeEbEEZZNS1_14partition_implILS5_6ELb0ES3_mN6thrust23THRUST_200600_302600_NS6detail15normal_iteratorINSA_10device_ptrIiEEEEPS6_SG_NS0_5tupleIJNSA_16discard_iteratorINSA_11use_defaultEEES6_EEENSH_IJSG_SG_EEES6_PlJNSB_9not_fun_tINSB_14equal_to_valueIiEEEEEEE10hipError_tPvRmT3_T4_T5_T6_T7_T9_mT8_P12ihipStream_tbDpT10_ENKUlT_T0_E_clISt17integral_constantIbLb1EES1B_EEDaS16_S17_EUlS16_E_NS1_11comp_targetILNS1_3genE4ELNS1_11target_archE910ELNS1_3gpuE8ELNS1_3repE0EEENS1_30default_config_static_selectorELNS0_4arch9wavefront6targetE0EEEvT1_.has_indirect_call, 0
	.section	.AMDGPU.csdata,"",@progbits
; Kernel info:
; codeLenInByte = 0
; TotalNumSgprs: 0
; NumVgprs: 0
; ScratchSize: 0
; MemoryBound: 0
; FloatMode: 240
; IeeeMode: 1
; LDSByteSize: 0 bytes/workgroup (compile time only)
; SGPRBlocks: 0
; VGPRBlocks: 0
; NumSGPRsForWavesPerEU: 1
; NumVGPRsForWavesPerEU: 1
; Occupancy: 16
; WaveLimiterHint : 0
; COMPUTE_PGM_RSRC2:SCRATCH_EN: 0
; COMPUTE_PGM_RSRC2:USER_SGPR: 2
; COMPUTE_PGM_RSRC2:TRAP_HANDLER: 0
; COMPUTE_PGM_RSRC2:TGID_X_EN: 1
; COMPUTE_PGM_RSRC2:TGID_Y_EN: 0
; COMPUTE_PGM_RSRC2:TGID_Z_EN: 0
; COMPUTE_PGM_RSRC2:TIDIG_COMP_CNT: 0
	.section	.text._ZN7rocprim17ROCPRIM_400000_NS6detail17trampoline_kernelINS0_14default_configENS1_25partition_config_selectorILNS1_17partition_subalgoE6EiNS0_10empty_typeEbEEZZNS1_14partition_implILS5_6ELb0ES3_mN6thrust23THRUST_200600_302600_NS6detail15normal_iteratorINSA_10device_ptrIiEEEEPS6_SG_NS0_5tupleIJNSA_16discard_iteratorINSA_11use_defaultEEES6_EEENSH_IJSG_SG_EEES6_PlJNSB_9not_fun_tINSB_14equal_to_valueIiEEEEEEE10hipError_tPvRmT3_T4_T5_T6_T7_T9_mT8_P12ihipStream_tbDpT10_ENKUlT_T0_E_clISt17integral_constantIbLb1EES1B_EEDaS16_S17_EUlS16_E_NS1_11comp_targetILNS1_3genE3ELNS1_11target_archE908ELNS1_3gpuE7ELNS1_3repE0EEENS1_30default_config_static_selectorELNS0_4arch9wavefront6targetE0EEEvT1_,"axG",@progbits,_ZN7rocprim17ROCPRIM_400000_NS6detail17trampoline_kernelINS0_14default_configENS1_25partition_config_selectorILNS1_17partition_subalgoE6EiNS0_10empty_typeEbEEZZNS1_14partition_implILS5_6ELb0ES3_mN6thrust23THRUST_200600_302600_NS6detail15normal_iteratorINSA_10device_ptrIiEEEEPS6_SG_NS0_5tupleIJNSA_16discard_iteratorINSA_11use_defaultEEES6_EEENSH_IJSG_SG_EEES6_PlJNSB_9not_fun_tINSB_14equal_to_valueIiEEEEEEE10hipError_tPvRmT3_T4_T5_T6_T7_T9_mT8_P12ihipStream_tbDpT10_ENKUlT_T0_E_clISt17integral_constantIbLb1EES1B_EEDaS16_S17_EUlS16_E_NS1_11comp_targetILNS1_3genE3ELNS1_11target_archE908ELNS1_3gpuE7ELNS1_3repE0EEENS1_30default_config_static_selectorELNS0_4arch9wavefront6targetE0EEEvT1_,comdat
	.protected	_ZN7rocprim17ROCPRIM_400000_NS6detail17trampoline_kernelINS0_14default_configENS1_25partition_config_selectorILNS1_17partition_subalgoE6EiNS0_10empty_typeEbEEZZNS1_14partition_implILS5_6ELb0ES3_mN6thrust23THRUST_200600_302600_NS6detail15normal_iteratorINSA_10device_ptrIiEEEEPS6_SG_NS0_5tupleIJNSA_16discard_iteratorINSA_11use_defaultEEES6_EEENSH_IJSG_SG_EEES6_PlJNSB_9not_fun_tINSB_14equal_to_valueIiEEEEEEE10hipError_tPvRmT3_T4_T5_T6_T7_T9_mT8_P12ihipStream_tbDpT10_ENKUlT_T0_E_clISt17integral_constantIbLb1EES1B_EEDaS16_S17_EUlS16_E_NS1_11comp_targetILNS1_3genE3ELNS1_11target_archE908ELNS1_3gpuE7ELNS1_3repE0EEENS1_30default_config_static_selectorELNS0_4arch9wavefront6targetE0EEEvT1_ ; -- Begin function _ZN7rocprim17ROCPRIM_400000_NS6detail17trampoline_kernelINS0_14default_configENS1_25partition_config_selectorILNS1_17partition_subalgoE6EiNS0_10empty_typeEbEEZZNS1_14partition_implILS5_6ELb0ES3_mN6thrust23THRUST_200600_302600_NS6detail15normal_iteratorINSA_10device_ptrIiEEEEPS6_SG_NS0_5tupleIJNSA_16discard_iteratorINSA_11use_defaultEEES6_EEENSH_IJSG_SG_EEES6_PlJNSB_9not_fun_tINSB_14equal_to_valueIiEEEEEEE10hipError_tPvRmT3_T4_T5_T6_T7_T9_mT8_P12ihipStream_tbDpT10_ENKUlT_T0_E_clISt17integral_constantIbLb1EES1B_EEDaS16_S17_EUlS16_E_NS1_11comp_targetILNS1_3genE3ELNS1_11target_archE908ELNS1_3gpuE7ELNS1_3repE0EEENS1_30default_config_static_selectorELNS0_4arch9wavefront6targetE0EEEvT1_
	.globl	_ZN7rocprim17ROCPRIM_400000_NS6detail17trampoline_kernelINS0_14default_configENS1_25partition_config_selectorILNS1_17partition_subalgoE6EiNS0_10empty_typeEbEEZZNS1_14partition_implILS5_6ELb0ES3_mN6thrust23THRUST_200600_302600_NS6detail15normal_iteratorINSA_10device_ptrIiEEEEPS6_SG_NS0_5tupleIJNSA_16discard_iteratorINSA_11use_defaultEEES6_EEENSH_IJSG_SG_EEES6_PlJNSB_9not_fun_tINSB_14equal_to_valueIiEEEEEEE10hipError_tPvRmT3_T4_T5_T6_T7_T9_mT8_P12ihipStream_tbDpT10_ENKUlT_T0_E_clISt17integral_constantIbLb1EES1B_EEDaS16_S17_EUlS16_E_NS1_11comp_targetILNS1_3genE3ELNS1_11target_archE908ELNS1_3gpuE7ELNS1_3repE0EEENS1_30default_config_static_selectorELNS0_4arch9wavefront6targetE0EEEvT1_
	.p2align	8
	.type	_ZN7rocprim17ROCPRIM_400000_NS6detail17trampoline_kernelINS0_14default_configENS1_25partition_config_selectorILNS1_17partition_subalgoE6EiNS0_10empty_typeEbEEZZNS1_14partition_implILS5_6ELb0ES3_mN6thrust23THRUST_200600_302600_NS6detail15normal_iteratorINSA_10device_ptrIiEEEEPS6_SG_NS0_5tupleIJNSA_16discard_iteratorINSA_11use_defaultEEES6_EEENSH_IJSG_SG_EEES6_PlJNSB_9not_fun_tINSB_14equal_to_valueIiEEEEEEE10hipError_tPvRmT3_T4_T5_T6_T7_T9_mT8_P12ihipStream_tbDpT10_ENKUlT_T0_E_clISt17integral_constantIbLb1EES1B_EEDaS16_S17_EUlS16_E_NS1_11comp_targetILNS1_3genE3ELNS1_11target_archE908ELNS1_3gpuE7ELNS1_3repE0EEENS1_30default_config_static_selectorELNS0_4arch9wavefront6targetE0EEEvT1_,@function
_ZN7rocprim17ROCPRIM_400000_NS6detail17trampoline_kernelINS0_14default_configENS1_25partition_config_selectorILNS1_17partition_subalgoE6EiNS0_10empty_typeEbEEZZNS1_14partition_implILS5_6ELb0ES3_mN6thrust23THRUST_200600_302600_NS6detail15normal_iteratorINSA_10device_ptrIiEEEEPS6_SG_NS0_5tupleIJNSA_16discard_iteratorINSA_11use_defaultEEES6_EEENSH_IJSG_SG_EEES6_PlJNSB_9not_fun_tINSB_14equal_to_valueIiEEEEEEE10hipError_tPvRmT3_T4_T5_T6_T7_T9_mT8_P12ihipStream_tbDpT10_ENKUlT_T0_E_clISt17integral_constantIbLb1EES1B_EEDaS16_S17_EUlS16_E_NS1_11comp_targetILNS1_3genE3ELNS1_11target_archE908ELNS1_3gpuE7ELNS1_3repE0EEENS1_30default_config_static_selectorELNS0_4arch9wavefront6targetE0EEEvT1_: ; @_ZN7rocprim17ROCPRIM_400000_NS6detail17trampoline_kernelINS0_14default_configENS1_25partition_config_selectorILNS1_17partition_subalgoE6EiNS0_10empty_typeEbEEZZNS1_14partition_implILS5_6ELb0ES3_mN6thrust23THRUST_200600_302600_NS6detail15normal_iteratorINSA_10device_ptrIiEEEEPS6_SG_NS0_5tupleIJNSA_16discard_iteratorINSA_11use_defaultEEES6_EEENSH_IJSG_SG_EEES6_PlJNSB_9not_fun_tINSB_14equal_to_valueIiEEEEEEE10hipError_tPvRmT3_T4_T5_T6_T7_T9_mT8_P12ihipStream_tbDpT10_ENKUlT_T0_E_clISt17integral_constantIbLb1EES1B_EEDaS16_S17_EUlS16_E_NS1_11comp_targetILNS1_3genE3ELNS1_11target_archE908ELNS1_3gpuE7ELNS1_3repE0EEENS1_30default_config_static_selectorELNS0_4arch9wavefront6targetE0EEEvT1_
; %bb.0:
	.section	.rodata,"a",@progbits
	.p2align	6, 0x0
	.amdhsa_kernel _ZN7rocprim17ROCPRIM_400000_NS6detail17trampoline_kernelINS0_14default_configENS1_25partition_config_selectorILNS1_17partition_subalgoE6EiNS0_10empty_typeEbEEZZNS1_14partition_implILS5_6ELb0ES3_mN6thrust23THRUST_200600_302600_NS6detail15normal_iteratorINSA_10device_ptrIiEEEEPS6_SG_NS0_5tupleIJNSA_16discard_iteratorINSA_11use_defaultEEES6_EEENSH_IJSG_SG_EEES6_PlJNSB_9not_fun_tINSB_14equal_to_valueIiEEEEEEE10hipError_tPvRmT3_T4_T5_T6_T7_T9_mT8_P12ihipStream_tbDpT10_ENKUlT_T0_E_clISt17integral_constantIbLb1EES1B_EEDaS16_S17_EUlS16_E_NS1_11comp_targetILNS1_3genE3ELNS1_11target_archE908ELNS1_3gpuE7ELNS1_3repE0EEENS1_30default_config_static_selectorELNS0_4arch9wavefront6targetE0EEEvT1_
		.amdhsa_group_segment_fixed_size 0
		.amdhsa_private_segment_fixed_size 0
		.amdhsa_kernarg_size 136
		.amdhsa_user_sgpr_count 2
		.amdhsa_user_sgpr_dispatch_ptr 0
		.amdhsa_user_sgpr_queue_ptr 0
		.amdhsa_user_sgpr_kernarg_segment_ptr 1
		.amdhsa_user_sgpr_dispatch_id 0
		.amdhsa_user_sgpr_private_segment_size 0
		.amdhsa_wavefront_size32 1
		.amdhsa_uses_dynamic_stack 0
		.amdhsa_enable_private_segment 0
		.amdhsa_system_sgpr_workgroup_id_x 1
		.amdhsa_system_sgpr_workgroup_id_y 0
		.amdhsa_system_sgpr_workgroup_id_z 0
		.amdhsa_system_sgpr_workgroup_info 0
		.amdhsa_system_vgpr_workitem_id 0
		.amdhsa_next_free_vgpr 1
		.amdhsa_next_free_sgpr 1
		.amdhsa_reserve_vcc 0
		.amdhsa_float_round_mode_32 0
		.amdhsa_float_round_mode_16_64 0
		.amdhsa_float_denorm_mode_32 3
		.amdhsa_float_denorm_mode_16_64 3
		.amdhsa_fp16_overflow 0
		.amdhsa_workgroup_processor_mode 1
		.amdhsa_memory_ordered 1
		.amdhsa_forward_progress 1
		.amdhsa_inst_pref_size 0
		.amdhsa_round_robin_scheduling 0
		.amdhsa_exception_fp_ieee_invalid_op 0
		.amdhsa_exception_fp_denorm_src 0
		.amdhsa_exception_fp_ieee_div_zero 0
		.amdhsa_exception_fp_ieee_overflow 0
		.amdhsa_exception_fp_ieee_underflow 0
		.amdhsa_exception_fp_ieee_inexact 0
		.amdhsa_exception_int_div_zero 0
	.end_amdhsa_kernel
	.section	.text._ZN7rocprim17ROCPRIM_400000_NS6detail17trampoline_kernelINS0_14default_configENS1_25partition_config_selectorILNS1_17partition_subalgoE6EiNS0_10empty_typeEbEEZZNS1_14partition_implILS5_6ELb0ES3_mN6thrust23THRUST_200600_302600_NS6detail15normal_iteratorINSA_10device_ptrIiEEEEPS6_SG_NS0_5tupleIJNSA_16discard_iteratorINSA_11use_defaultEEES6_EEENSH_IJSG_SG_EEES6_PlJNSB_9not_fun_tINSB_14equal_to_valueIiEEEEEEE10hipError_tPvRmT3_T4_T5_T6_T7_T9_mT8_P12ihipStream_tbDpT10_ENKUlT_T0_E_clISt17integral_constantIbLb1EES1B_EEDaS16_S17_EUlS16_E_NS1_11comp_targetILNS1_3genE3ELNS1_11target_archE908ELNS1_3gpuE7ELNS1_3repE0EEENS1_30default_config_static_selectorELNS0_4arch9wavefront6targetE0EEEvT1_,"axG",@progbits,_ZN7rocprim17ROCPRIM_400000_NS6detail17trampoline_kernelINS0_14default_configENS1_25partition_config_selectorILNS1_17partition_subalgoE6EiNS0_10empty_typeEbEEZZNS1_14partition_implILS5_6ELb0ES3_mN6thrust23THRUST_200600_302600_NS6detail15normal_iteratorINSA_10device_ptrIiEEEEPS6_SG_NS0_5tupleIJNSA_16discard_iteratorINSA_11use_defaultEEES6_EEENSH_IJSG_SG_EEES6_PlJNSB_9not_fun_tINSB_14equal_to_valueIiEEEEEEE10hipError_tPvRmT3_T4_T5_T6_T7_T9_mT8_P12ihipStream_tbDpT10_ENKUlT_T0_E_clISt17integral_constantIbLb1EES1B_EEDaS16_S17_EUlS16_E_NS1_11comp_targetILNS1_3genE3ELNS1_11target_archE908ELNS1_3gpuE7ELNS1_3repE0EEENS1_30default_config_static_selectorELNS0_4arch9wavefront6targetE0EEEvT1_,comdat
.Lfunc_end1768:
	.size	_ZN7rocprim17ROCPRIM_400000_NS6detail17trampoline_kernelINS0_14default_configENS1_25partition_config_selectorILNS1_17partition_subalgoE6EiNS0_10empty_typeEbEEZZNS1_14partition_implILS5_6ELb0ES3_mN6thrust23THRUST_200600_302600_NS6detail15normal_iteratorINSA_10device_ptrIiEEEEPS6_SG_NS0_5tupleIJNSA_16discard_iteratorINSA_11use_defaultEEES6_EEENSH_IJSG_SG_EEES6_PlJNSB_9not_fun_tINSB_14equal_to_valueIiEEEEEEE10hipError_tPvRmT3_T4_T5_T6_T7_T9_mT8_P12ihipStream_tbDpT10_ENKUlT_T0_E_clISt17integral_constantIbLb1EES1B_EEDaS16_S17_EUlS16_E_NS1_11comp_targetILNS1_3genE3ELNS1_11target_archE908ELNS1_3gpuE7ELNS1_3repE0EEENS1_30default_config_static_selectorELNS0_4arch9wavefront6targetE0EEEvT1_, .Lfunc_end1768-_ZN7rocprim17ROCPRIM_400000_NS6detail17trampoline_kernelINS0_14default_configENS1_25partition_config_selectorILNS1_17partition_subalgoE6EiNS0_10empty_typeEbEEZZNS1_14partition_implILS5_6ELb0ES3_mN6thrust23THRUST_200600_302600_NS6detail15normal_iteratorINSA_10device_ptrIiEEEEPS6_SG_NS0_5tupleIJNSA_16discard_iteratorINSA_11use_defaultEEES6_EEENSH_IJSG_SG_EEES6_PlJNSB_9not_fun_tINSB_14equal_to_valueIiEEEEEEE10hipError_tPvRmT3_T4_T5_T6_T7_T9_mT8_P12ihipStream_tbDpT10_ENKUlT_T0_E_clISt17integral_constantIbLb1EES1B_EEDaS16_S17_EUlS16_E_NS1_11comp_targetILNS1_3genE3ELNS1_11target_archE908ELNS1_3gpuE7ELNS1_3repE0EEENS1_30default_config_static_selectorELNS0_4arch9wavefront6targetE0EEEvT1_
                                        ; -- End function
	.set _ZN7rocprim17ROCPRIM_400000_NS6detail17trampoline_kernelINS0_14default_configENS1_25partition_config_selectorILNS1_17partition_subalgoE6EiNS0_10empty_typeEbEEZZNS1_14partition_implILS5_6ELb0ES3_mN6thrust23THRUST_200600_302600_NS6detail15normal_iteratorINSA_10device_ptrIiEEEEPS6_SG_NS0_5tupleIJNSA_16discard_iteratorINSA_11use_defaultEEES6_EEENSH_IJSG_SG_EEES6_PlJNSB_9not_fun_tINSB_14equal_to_valueIiEEEEEEE10hipError_tPvRmT3_T4_T5_T6_T7_T9_mT8_P12ihipStream_tbDpT10_ENKUlT_T0_E_clISt17integral_constantIbLb1EES1B_EEDaS16_S17_EUlS16_E_NS1_11comp_targetILNS1_3genE3ELNS1_11target_archE908ELNS1_3gpuE7ELNS1_3repE0EEENS1_30default_config_static_selectorELNS0_4arch9wavefront6targetE0EEEvT1_.num_vgpr, 0
	.set _ZN7rocprim17ROCPRIM_400000_NS6detail17trampoline_kernelINS0_14default_configENS1_25partition_config_selectorILNS1_17partition_subalgoE6EiNS0_10empty_typeEbEEZZNS1_14partition_implILS5_6ELb0ES3_mN6thrust23THRUST_200600_302600_NS6detail15normal_iteratorINSA_10device_ptrIiEEEEPS6_SG_NS0_5tupleIJNSA_16discard_iteratorINSA_11use_defaultEEES6_EEENSH_IJSG_SG_EEES6_PlJNSB_9not_fun_tINSB_14equal_to_valueIiEEEEEEE10hipError_tPvRmT3_T4_T5_T6_T7_T9_mT8_P12ihipStream_tbDpT10_ENKUlT_T0_E_clISt17integral_constantIbLb1EES1B_EEDaS16_S17_EUlS16_E_NS1_11comp_targetILNS1_3genE3ELNS1_11target_archE908ELNS1_3gpuE7ELNS1_3repE0EEENS1_30default_config_static_selectorELNS0_4arch9wavefront6targetE0EEEvT1_.num_agpr, 0
	.set _ZN7rocprim17ROCPRIM_400000_NS6detail17trampoline_kernelINS0_14default_configENS1_25partition_config_selectorILNS1_17partition_subalgoE6EiNS0_10empty_typeEbEEZZNS1_14partition_implILS5_6ELb0ES3_mN6thrust23THRUST_200600_302600_NS6detail15normal_iteratorINSA_10device_ptrIiEEEEPS6_SG_NS0_5tupleIJNSA_16discard_iteratorINSA_11use_defaultEEES6_EEENSH_IJSG_SG_EEES6_PlJNSB_9not_fun_tINSB_14equal_to_valueIiEEEEEEE10hipError_tPvRmT3_T4_T5_T6_T7_T9_mT8_P12ihipStream_tbDpT10_ENKUlT_T0_E_clISt17integral_constantIbLb1EES1B_EEDaS16_S17_EUlS16_E_NS1_11comp_targetILNS1_3genE3ELNS1_11target_archE908ELNS1_3gpuE7ELNS1_3repE0EEENS1_30default_config_static_selectorELNS0_4arch9wavefront6targetE0EEEvT1_.numbered_sgpr, 0
	.set _ZN7rocprim17ROCPRIM_400000_NS6detail17trampoline_kernelINS0_14default_configENS1_25partition_config_selectorILNS1_17partition_subalgoE6EiNS0_10empty_typeEbEEZZNS1_14partition_implILS5_6ELb0ES3_mN6thrust23THRUST_200600_302600_NS6detail15normal_iteratorINSA_10device_ptrIiEEEEPS6_SG_NS0_5tupleIJNSA_16discard_iteratorINSA_11use_defaultEEES6_EEENSH_IJSG_SG_EEES6_PlJNSB_9not_fun_tINSB_14equal_to_valueIiEEEEEEE10hipError_tPvRmT3_T4_T5_T6_T7_T9_mT8_P12ihipStream_tbDpT10_ENKUlT_T0_E_clISt17integral_constantIbLb1EES1B_EEDaS16_S17_EUlS16_E_NS1_11comp_targetILNS1_3genE3ELNS1_11target_archE908ELNS1_3gpuE7ELNS1_3repE0EEENS1_30default_config_static_selectorELNS0_4arch9wavefront6targetE0EEEvT1_.num_named_barrier, 0
	.set _ZN7rocprim17ROCPRIM_400000_NS6detail17trampoline_kernelINS0_14default_configENS1_25partition_config_selectorILNS1_17partition_subalgoE6EiNS0_10empty_typeEbEEZZNS1_14partition_implILS5_6ELb0ES3_mN6thrust23THRUST_200600_302600_NS6detail15normal_iteratorINSA_10device_ptrIiEEEEPS6_SG_NS0_5tupleIJNSA_16discard_iteratorINSA_11use_defaultEEES6_EEENSH_IJSG_SG_EEES6_PlJNSB_9not_fun_tINSB_14equal_to_valueIiEEEEEEE10hipError_tPvRmT3_T4_T5_T6_T7_T9_mT8_P12ihipStream_tbDpT10_ENKUlT_T0_E_clISt17integral_constantIbLb1EES1B_EEDaS16_S17_EUlS16_E_NS1_11comp_targetILNS1_3genE3ELNS1_11target_archE908ELNS1_3gpuE7ELNS1_3repE0EEENS1_30default_config_static_selectorELNS0_4arch9wavefront6targetE0EEEvT1_.private_seg_size, 0
	.set _ZN7rocprim17ROCPRIM_400000_NS6detail17trampoline_kernelINS0_14default_configENS1_25partition_config_selectorILNS1_17partition_subalgoE6EiNS0_10empty_typeEbEEZZNS1_14partition_implILS5_6ELb0ES3_mN6thrust23THRUST_200600_302600_NS6detail15normal_iteratorINSA_10device_ptrIiEEEEPS6_SG_NS0_5tupleIJNSA_16discard_iteratorINSA_11use_defaultEEES6_EEENSH_IJSG_SG_EEES6_PlJNSB_9not_fun_tINSB_14equal_to_valueIiEEEEEEE10hipError_tPvRmT3_T4_T5_T6_T7_T9_mT8_P12ihipStream_tbDpT10_ENKUlT_T0_E_clISt17integral_constantIbLb1EES1B_EEDaS16_S17_EUlS16_E_NS1_11comp_targetILNS1_3genE3ELNS1_11target_archE908ELNS1_3gpuE7ELNS1_3repE0EEENS1_30default_config_static_selectorELNS0_4arch9wavefront6targetE0EEEvT1_.uses_vcc, 0
	.set _ZN7rocprim17ROCPRIM_400000_NS6detail17trampoline_kernelINS0_14default_configENS1_25partition_config_selectorILNS1_17partition_subalgoE6EiNS0_10empty_typeEbEEZZNS1_14partition_implILS5_6ELb0ES3_mN6thrust23THRUST_200600_302600_NS6detail15normal_iteratorINSA_10device_ptrIiEEEEPS6_SG_NS0_5tupleIJNSA_16discard_iteratorINSA_11use_defaultEEES6_EEENSH_IJSG_SG_EEES6_PlJNSB_9not_fun_tINSB_14equal_to_valueIiEEEEEEE10hipError_tPvRmT3_T4_T5_T6_T7_T9_mT8_P12ihipStream_tbDpT10_ENKUlT_T0_E_clISt17integral_constantIbLb1EES1B_EEDaS16_S17_EUlS16_E_NS1_11comp_targetILNS1_3genE3ELNS1_11target_archE908ELNS1_3gpuE7ELNS1_3repE0EEENS1_30default_config_static_selectorELNS0_4arch9wavefront6targetE0EEEvT1_.uses_flat_scratch, 0
	.set _ZN7rocprim17ROCPRIM_400000_NS6detail17trampoline_kernelINS0_14default_configENS1_25partition_config_selectorILNS1_17partition_subalgoE6EiNS0_10empty_typeEbEEZZNS1_14partition_implILS5_6ELb0ES3_mN6thrust23THRUST_200600_302600_NS6detail15normal_iteratorINSA_10device_ptrIiEEEEPS6_SG_NS0_5tupleIJNSA_16discard_iteratorINSA_11use_defaultEEES6_EEENSH_IJSG_SG_EEES6_PlJNSB_9not_fun_tINSB_14equal_to_valueIiEEEEEEE10hipError_tPvRmT3_T4_T5_T6_T7_T9_mT8_P12ihipStream_tbDpT10_ENKUlT_T0_E_clISt17integral_constantIbLb1EES1B_EEDaS16_S17_EUlS16_E_NS1_11comp_targetILNS1_3genE3ELNS1_11target_archE908ELNS1_3gpuE7ELNS1_3repE0EEENS1_30default_config_static_selectorELNS0_4arch9wavefront6targetE0EEEvT1_.has_dyn_sized_stack, 0
	.set _ZN7rocprim17ROCPRIM_400000_NS6detail17trampoline_kernelINS0_14default_configENS1_25partition_config_selectorILNS1_17partition_subalgoE6EiNS0_10empty_typeEbEEZZNS1_14partition_implILS5_6ELb0ES3_mN6thrust23THRUST_200600_302600_NS6detail15normal_iteratorINSA_10device_ptrIiEEEEPS6_SG_NS0_5tupleIJNSA_16discard_iteratorINSA_11use_defaultEEES6_EEENSH_IJSG_SG_EEES6_PlJNSB_9not_fun_tINSB_14equal_to_valueIiEEEEEEE10hipError_tPvRmT3_T4_T5_T6_T7_T9_mT8_P12ihipStream_tbDpT10_ENKUlT_T0_E_clISt17integral_constantIbLb1EES1B_EEDaS16_S17_EUlS16_E_NS1_11comp_targetILNS1_3genE3ELNS1_11target_archE908ELNS1_3gpuE7ELNS1_3repE0EEENS1_30default_config_static_selectorELNS0_4arch9wavefront6targetE0EEEvT1_.has_recursion, 0
	.set _ZN7rocprim17ROCPRIM_400000_NS6detail17trampoline_kernelINS0_14default_configENS1_25partition_config_selectorILNS1_17partition_subalgoE6EiNS0_10empty_typeEbEEZZNS1_14partition_implILS5_6ELb0ES3_mN6thrust23THRUST_200600_302600_NS6detail15normal_iteratorINSA_10device_ptrIiEEEEPS6_SG_NS0_5tupleIJNSA_16discard_iteratorINSA_11use_defaultEEES6_EEENSH_IJSG_SG_EEES6_PlJNSB_9not_fun_tINSB_14equal_to_valueIiEEEEEEE10hipError_tPvRmT3_T4_T5_T6_T7_T9_mT8_P12ihipStream_tbDpT10_ENKUlT_T0_E_clISt17integral_constantIbLb1EES1B_EEDaS16_S17_EUlS16_E_NS1_11comp_targetILNS1_3genE3ELNS1_11target_archE908ELNS1_3gpuE7ELNS1_3repE0EEENS1_30default_config_static_selectorELNS0_4arch9wavefront6targetE0EEEvT1_.has_indirect_call, 0
	.section	.AMDGPU.csdata,"",@progbits
; Kernel info:
; codeLenInByte = 0
; TotalNumSgprs: 0
; NumVgprs: 0
; ScratchSize: 0
; MemoryBound: 0
; FloatMode: 240
; IeeeMode: 1
; LDSByteSize: 0 bytes/workgroup (compile time only)
; SGPRBlocks: 0
; VGPRBlocks: 0
; NumSGPRsForWavesPerEU: 1
; NumVGPRsForWavesPerEU: 1
; Occupancy: 16
; WaveLimiterHint : 0
; COMPUTE_PGM_RSRC2:SCRATCH_EN: 0
; COMPUTE_PGM_RSRC2:USER_SGPR: 2
; COMPUTE_PGM_RSRC2:TRAP_HANDLER: 0
; COMPUTE_PGM_RSRC2:TGID_X_EN: 1
; COMPUTE_PGM_RSRC2:TGID_Y_EN: 0
; COMPUTE_PGM_RSRC2:TGID_Z_EN: 0
; COMPUTE_PGM_RSRC2:TIDIG_COMP_CNT: 0
	.section	.text._ZN7rocprim17ROCPRIM_400000_NS6detail17trampoline_kernelINS0_14default_configENS1_25partition_config_selectorILNS1_17partition_subalgoE6EiNS0_10empty_typeEbEEZZNS1_14partition_implILS5_6ELb0ES3_mN6thrust23THRUST_200600_302600_NS6detail15normal_iteratorINSA_10device_ptrIiEEEEPS6_SG_NS0_5tupleIJNSA_16discard_iteratorINSA_11use_defaultEEES6_EEENSH_IJSG_SG_EEES6_PlJNSB_9not_fun_tINSB_14equal_to_valueIiEEEEEEE10hipError_tPvRmT3_T4_T5_T6_T7_T9_mT8_P12ihipStream_tbDpT10_ENKUlT_T0_E_clISt17integral_constantIbLb1EES1B_EEDaS16_S17_EUlS16_E_NS1_11comp_targetILNS1_3genE2ELNS1_11target_archE906ELNS1_3gpuE6ELNS1_3repE0EEENS1_30default_config_static_selectorELNS0_4arch9wavefront6targetE0EEEvT1_,"axG",@progbits,_ZN7rocprim17ROCPRIM_400000_NS6detail17trampoline_kernelINS0_14default_configENS1_25partition_config_selectorILNS1_17partition_subalgoE6EiNS0_10empty_typeEbEEZZNS1_14partition_implILS5_6ELb0ES3_mN6thrust23THRUST_200600_302600_NS6detail15normal_iteratorINSA_10device_ptrIiEEEEPS6_SG_NS0_5tupleIJNSA_16discard_iteratorINSA_11use_defaultEEES6_EEENSH_IJSG_SG_EEES6_PlJNSB_9not_fun_tINSB_14equal_to_valueIiEEEEEEE10hipError_tPvRmT3_T4_T5_T6_T7_T9_mT8_P12ihipStream_tbDpT10_ENKUlT_T0_E_clISt17integral_constantIbLb1EES1B_EEDaS16_S17_EUlS16_E_NS1_11comp_targetILNS1_3genE2ELNS1_11target_archE906ELNS1_3gpuE6ELNS1_3repE0EEENS1_30default_config_static_selectorELNS0_4arch9wavefront6targetE0EEEvT1_,comdat
	.protected	_ZN7rocprim17ROCPRIM_400000_NS6detail17trampoline_kernelINS0_14default_configENS1_25partition_config_selectorILNS1_17partition_subalgoE6EiNS0_10empty_typeEbEEZZNS1_14partition_implILS5_6ELb0ES3_mN6thrust23THRUST_200600_302600_NS6detail15normal_iteratorINSA_10device_ptrIiEEEEPS6_SG_NS0_5tupleIJNSA_16discard_iteratorINSA_11use_defaultEEES6_EEENSH_IJSG_SG_EEES6_PlJNSB_9not_fun_tINSB_14equal_to_valueIiEEEEEEE10hipError_tPvRmT3_T4_T5_T6_T7_T9_mT8_P12ihipStream_tbDpT10_ENKUlT_T0_E_clISt17integral_constantIbLb1EES1B_EEDaS16_S17_EUlS16_E_NS1_11comp_targetILNS1_3genE2ELNS1_11target_archE906ELNS1_3gpuE6ELNS1_3repE0EEENS1_30default_config_static_selectorELNS0_4arch9wavefront6targetE0EEEvT1_ ; -- Begin function _ZN7rocprim17ROCPRIM_400000_NS6detail17trampoline_kernelINS0_14default_configENS1_25partition_config_selectorILNS1_17partition_subalgoE6EiNS0_10empty_typeEbEEZZNS1_14partition_implILS5_6ELb0ES3_mN6thrust23THRUST_200600_302600_NS6detail15normal_iteratorINSA_10device_ptrIiEEEEPS6_SG_NS0_5tupleIJNSA_16discard_iteratorINSA_11use_defaultEEES6_EEENSH_IJSG_SG_EEES6_PlJNSB_9not_fun_tINSB_14equal_to_valueIiEEEEEEE10hipError_tPvRmT3_T4_T5_T6_T7_T9_mT8_P12ihipStream_tbDpT10_ENKUlT_T0_E_clISt17integral_constantIbLb1EES1B_EEDaS16_S17_EUlS16_E_NS1_11comp_targetILNS1_3genE2ELNS1_11target_archE906ELNS1_3gpuE6ELNS1_3repE0EEENS1_30default_config_static_selectorELNS0_4arch9wavefront6targetE0EEEvT1_
	.globl	_ZN7rocprim17ROCPRIM_400000_NS6detail17trampoline_kernelINS0_14default_configENS1_25partition_config_selectorILNS1_17partition_subalgoE6EiNS0_10empty_typeEbEEZZNS1_14partition_implILS5_6ELb0ES3_mN6thrust23THRUST_200600_302600_NS6detail15normal_iteratorINSA_10device_ptrIiEEEEPS6_SG_NS0_5tupleIJNSA_16discard_iteratorINSA_11use_defaultEEES6_EEENSH_IJSG_SG_EEES6_PlJNSB_9not_fun_tINSB_14equal_to_valueIiEEEEEEE10hipError_tPvRmT3_T4_T5_T6_T7_T9_mT8_P12ihipStream_tbDpT10_ENKUlT_T0_E_clISt17integral_constantIbLb1EES1B_EEDaS16_S17_EUlS16_E_NS1_11comp_targetILNS1_3genE2ELNS1_11target_archE906ELNS1_3gpuE6ELNS1_3repE0EEENS1_30default_config_static_selectorELNS0_4arch9wavefront6targetE0EEEvT1_
	.p2align	8
	.type	_ZN7rocprim17ROCPRIM_400000_NS6detail17trampoline_kernelINS0_14default_configENS1_25partition_config_selectorILNS1_17partition_subalgoE6EiNS0_10empty_typeEbEEZZNS1_14partition_implILS5_6ELb0ES3_mN6thrust23THRUST_200600_302600_NS6detail15normal_iteratorINSA_10device_ptrIiEEEEPS6_SG_NS0_5tupleIJNSA_16discard_iteratorINSA_11use_defaultEEES6_EEENSH_IJSG_SG_EEES6_PlJNSB_9not_fun_tINSB_14equal_to_valueIiEEEEEEE10hipError_tPvRmT3_T4_T5_T6_T7_T9_mT8_P12ihipStream_tbDpT10_ENKUlT_T0_E_clISt17integral_constantIbLb1EES1B_EEDaS16_S17_EUlS16_E_NS1_11comp_targetILNS1_3genE2ELNS1_11target_archE906ELNS1_3gpuE6ELNS1_3repE0EEENS1_30default_config_static_selectorELNS0_4arch9wavefront6targetE0EEEvT1_,@function
_ZN7rocprim17ROCPRIM_400000_NS6detail17trampoline_kernelINS0_14default_configENS1_25partition_config_selectorILNS1_17partition_subalgoE6EiNS0_10empty_typeEbEEZZNS1_14partition_implILS5_6ELb0ES3_mN6thrust23THRUST_200600_302600_NS6detail15normal_iteratorINSA_10device_ptrIiEEEEPS6_SG_NS0_5tupleIJNSA_16discard_iteratorINSA_11use_defaultEEES6_EEENSH_IJSG_SG_EEES6_PlJNSB_9not_fun_tINSB_14equal_to_valueIiEEEEEEE10hipError_tPvRmT3_T4_T5_T6_T7_T9_mT8_P12ihipStream_tbDpT10_ENKUlT_T0_E_clISt17integral_constantIbLb1EES1B_EEDaS16_S17_EUlS16_E_NS1_11comp_targetILNS1_3genE2ELNS1_11target_archE906ELNS1_3gpuE6ELNS1_3repE0EEENS1_30default_config_static_selectorELNS0_4arch9wavefront6targetE0EEEvT1_: ; @_ZN7rocprim17ROCPRIM_400000_NS6detail17trampoline_kernelINS0_14default_configENS1_25partition_config_selectorILNS1_17partition_subalgoE6EiNS0_10empty_typeEbEEZZNS1_14partition_implILS5_6ELb0ES3_mN6thrust23THRUST_200600_302600_NS6detail15normal_iteratorINSA_10device_ptrIiEEEEPS6_SG_NS0_5tupleIJNSA_16discard_iteratorINSA_11use_defaultEEES6_EEENSH_IJSG_SG_EEES6_PlJNSB_9not_fun_tINSB_14equal_to_valueIiEEEEEEE10hipError_tPvRmT3_T4_T5_T6_T7_T9_mT8_P12ihipStream_tbDpT10_ENKUlT_T0_E_clISt17integral_constantIbLb1EES1B_EEDaS16_S17_EUlS16_E_NS1_11comp_targetILNS1_3genE2ELNS1_11target_archE906ELNS1_3gpuE6ELNS1_3repE0EEENS1_30default_config_static_selectorELNS0_4arch9wavefront6targetE0EEEvT1_
; %bb.0:
	.section	.rodata,"a",@progbits
	.p2align	6, 0x0
	.amdhsa_kernel _ZN7rocprim17ROCPRIM_400000_NS6detail17trampoline_kernelINS0_14default_configENS1_25partition_config_selectorILNS1_17partition_subalgoE6EiNS0_10empty_typeEbEEZZNS1_14partition_implILS5_6ELb0ES3_mN6thrust23THRUST_200600_302600_NS6detail15normal_iteratorINSA_10device_ptrIiEEEEPS6_SG_NS0_5tupleIJNSA_16discard_iteratorINSA_11use_defaultEEES6_EEENSH_IJSG_SG_EEES6_PlJNSB_9not_fun_tINSB_14equal_to_valueIiEEEEEEE10hipError_tPvRmT3_T4_T5_T6_T7_T9_mT8_P12ihipStream_tbDpT10_ENKUlT_T0_E_clISt17integral_constantIbLb1EES1B_EEDaS16_S17_EUlS16_E_NS1_11comp_targetILNS1_3genE2ELNS1_11target_archE906ELNS1_3gpuE6ELNS1_3repE0EEENS1_30default_config_static_selectorELNS0_4arch9wavefront6targetE0EEEvT1_
		.amdhsa_group_segment_fixed_size 0
		.amdhsa_private_segment_fixed_size 0
		.amdhsa_kernarg_size 136
		.amdhsa_user_sgpr_count 2
		.amdhsa_user_sgpr_dispatch_ptr 0
		.amdhsa_user_sgpr_queue_ptr 0
		.amdhsa_user_sgpr_kernarg_segment_ptr 1
		.amdhsa_user_sgpr_dispatch_id 0
		.amdhsa_user_sgpr_private_segment_size 0
		.amdhsa_wavefront_size32 1
		.amdhsa_uses_dynamic_stack 0
		.amdhsa_enable_private_segment 0
		.amdhsa_system_sgpr_workgroup_id_x 1
		.amdhsa_system_sgpr_workgroup_id_y 0
		.amdhsa_system_sgpr_workgroup_id_z 0
		.amdhsa_system_sgpr_workgroup_info 0
		.amdhsa_system_vgpr_workitem_id 0
		.amdhsa_next_free_vgpr 1
		.amdhsa_next_free_sgpr 1
		.amdhsa_reserve_vcc 0
		.amdhsa_float_round_mode_32 0
		.amdhsa_float_round_mode_16_64 0
		.amdhsa_float_denorm_mode_32 3
		.amdhsa_float_denorm_mode_16_64 3
		.amdhsa_fp16_overflow 0
		.amdhsa_workgroup_processor_mode 1
		.amdhsa_memory_ordered 1
		.amdhsa_forward_progress 1
		.amdhsa_inst_pref_size 0
		.amdhsa_round_robin_scheduling 0
		.amdhsa_exception_fp_ieee_invalid_op 0
		.amdhsa_exception_fp_denorm_src 0
		.amdhsa_exception_fp_ieee_div_zero 0
		.amdhsa_exception_fp_ieee_overflow 0
		.amdhsa_exception_fp_ieee_underflow 0
		.amdhsa_exception_fp_ieee_inexact 0
		.amdhsa_exception_int_div_zero 0
	.end_amdhsa_kernel
	.section	.text._ZN7rocprim17ROCPRIM_400000_NS6detail17trampoline_kernelINS0_14default_configENS1_25partition_config_selectorILNS1_17partition_subalgoE6EiNS0_10empty_typeEbEEZZNS1_14partition_implILS5_6ELb0ES3_mN6thrust23THRUST_200600_302600_NS6detail15normal_iteratorINSA_10device_ptrIiEEEEPS6_SG_NS0_5tupleIJNSA_16discard_iteratorINSA_11use_defaultEEES6_EEENSH_IJSG_SG_EEES6_PlJNSB_9not_fun_tINSB_14equal_to_valueIiEEEEEEE10hipError_tPvRmT3_T4_T5_T6_T7_T9_mT8_P12ihipStream_tbDpT10_ENKUlT_T0_E_clISt17integral_constantIbLb1EES1B_EEDaS16_S17_EUlS16_E_NS1_11comp_targetILNS1_3genE2ELNS1_11target_archE906ELNS1_3gpuE6ELNS1_3repE0EEENS1_30default_config_static_selectorELNS0_4arch9wavefront6targetE0EEEvT1_,"axG",@progbits,_ZN7rocprim17ROCPRIM_400000_NS6detail17trampoline_kernelINS0_14default_configENS1_25partition_config_selectorILNS1_17partition_subalgoE6EiNS0_10empty_typeEbEEZZNS1_14partition_implILS5_6ELb0ES3_mN6thrust23THRUST_200600_302600_NS6detail15normal_iteratorINSA_10device_ptrIiEEEEPS6_SG_NS0_5tupleIJNSA_16discard_iteratorINSA_11use_defaultEEES6_EEENSH_IJSG_SG_EEES6_PlJNSB_9not_fun_tINSB_14equal_to_valueIiEEEEEEE10hipError_tPvRmT3_T4_T5_T6_T7_T9_mT8_P12ihipStream_tbDpT10_ENKUlT_T0_E_clISt17integral_constantIbLb1EES1B_EEDaS16_S17_EUlS16_E_NS1_11comp_targetILNS1_3genE2ELNS1_11target_archE906ELNS1_3gpuE6ELNS1_3repE0EEENS1_30default_config_static_selectorELNS0_4arch9wavefront6targetE0EEEvT1_,comdat
.Lfunc_end1769:
	.size	_ZN7rocprim17ROCPRIM_400000_NS6detail17trampoline_kernelINS0_14default_configENS1_25partition_config_selectorILNS1_17partition_subalgoE6EiNS0_10empty_typeEbEEZZNS1_14partition_implILS5_6ELb0ES3_mN6thrust23THRUST_200600_302600_NS6detail15normal_iteratorINSA_10device_ptrIiEEEEPS6_SG_NS0_5tupleIJNSA_16discard_iteratorINSA_11use_defaultEEES6_EEENSH_IJSG_SG_EEES6_PlJNSB_9not_fun_tINSB_14equal_to_valueIiEEEEEEE10hipError_tPvRmT3_T4_T5_T6_T7_T9_mT8_P12ihipStream_tbDpT10_ENKUlT_T0_E_clISt17integral_constantIbLb1EES1B_EEDaS16_S17_EUlS16_E_NS1_11comp_targetILNS1_3genE2ELNS1_11target_archE906ELNS1_3gpuE6ELNS1_3repE0EEENS1_30default_config_static_selectorELNS0_4arch9wavefront6targetE0EEEvT1_, .Lfunc_end1769-_ZN7rocprim17ROCPRIM_400000_NS6detail17trampoline_kernelINS0_14default_configENS1_25partition_config_selectorILNS1_17partition_subalgoE6EiNS0_10empty_typeEbEEZZNS1_14partition_implILS5_6ELb0ES3_mN6thrust23THRUST_200600_302600_NS6detail15normal_iteratorINSA_10device_ptrIiEEEEPS6_SG_NS0_5tupleIJNSA_16discard_iteratorINSA_11use_defaultEEES6_EEENSH_IJSG_SG_EEES6_PlJNSB_9not_fun_tINSB_14equal_to_valueIiEEEEEEE10hipError_tPvRmT3_T4_T5_T6_T7_T9_mT8_P12ihipStream_tbDpT10_ENKUlT_T0_E_clISt17integral_constantIbLb1EES1B_EEDaS16_S17_EUlS16_E_NS1_11comp_targetILNS1_3genE2ELNS1_11target_archE906ELNS1_3gpuE6ELNS1_3repE0EEENS1_30default_config_static_selectorELNS0_4arch9wavefront6targetE0EEEvT1_
                                        ; -- End function
	.set _ZN7rocprim17ROCPRIM_400000_NS6detail17trampoline_kernelINS0_14default_configENS1_25partition_config_selectorILNS1_17partition_subalgoE6EiNS0_10empty_typeEbEEZZNS1_14partition_implILS5_6ELb0ES3_mN6thrust23THRUST_200600_302600_NS6detail15normal_iteratorINSA_10device_ptrIiEEEEPS6_SG_NS0_5tupleIJNSA_16discard_iteratorINSA_11use_defaultEEES6_EEENSH_IJSG_SG_EEES6_PlJNSB_9not_fun_tINSB_14equal_to_valueIiEEEEEEE10hipError_tPvRmT3_T4_T5_T6_T7_T9_mT8_P12ihipStream_tbDpT10_ENKUlT_T0_E_clISt17integral_constantIbLb1EES1B_EEDaS16_S17_EUlS16_E_NS1_11comp_targetILNS1_3genE2ELNS1_11target_archE906ELNS1_3gpuE6ELNS1_3repE0EEENS1_30default_config_static_selectorELNS0_4arch9wavefront6targetE0EEEvT1_.num_vgpr, 0
	.set _ZN7rocprim17ROCPRIM_400000_NS6detail17trampoline_kernelINS0_14default_configENS1_25partition_config_selectorILNS1_17partition_subalgoE6EiNS0_10empty_typeEbEEZZNS1_14partition_implILS5_6ELb0ES3_mN6thrust23THRUST_200600_302600_NS6detail15normal_iteratorINSA_10device_ptrIiEEEEPS6_SG_NS0_5tupleIJNSA_16discard_iteratorINSA_11use_defaultEEES6_EEENSH_IJSG_SG_EEES6_PlJNSB_9not_fun_tINSB_14equal_to_valueIiEEEEEEE10hipError_tPvRmT3_T4_T5_T6_T7_T9_mT8_P12ihipStream_tbDpT10_ENKUlT_T0_E_clISt17integral_constantIbLb1EES1B_EEDaS16_S17_EUlS16_E_NS1_11comp_targetILNS1_3genE2ELNS1_11target_archE906ELNS1_3gpuE6ELNS1_3repE0EEENS1_30default_config_static_selectorELNS0_4arch9wavefront6targetE0EEEvT1_.num_agpr, 0
	.set _ZN7rocprim17ROCPRIM_400000_NS6detail17trampoline_kernelINS0_14default_configENS1_25partition_config_selectorILNS1_17partition_subalgoE6EiNS0_10empty_typeEbEEZZNS1_14partition_implILS5_6ELb0ES3_mN6thrust23THRUST_200600_302600_NS6detail15normal_iteratorINSA_10device_ptrIiEEEEPS6_SG_NS0_5tupleIJNSA_16discard_iteratorINSA_11use_defaultEEES6_EEENSH_IJSG_SG_EEES6_PlJNSB_9not_fun_tINSB_14equal_to_valueIiEEEEEEE10hipError_tPvRmT3_T4_T5_T6_T7_T9_mT8_P12ihipStream_tbDpT10_ENKUlT_T0_E_clISt17integral_constantIbLb1EES1B_EEDaS16_S17_EUlS16_E_NS1_11comp_targetILNS1_3genE2ELNS1_11target_archE906ELNS1_3gpuE6ELNS1_3repE0EEENS1_30default_config_static_selectorELNS0_4arch9wavefront6targetE0EEEvT1_.numbered_sgpr, 0
	.set _ZN7rocprim17ROCPRIM_400000_NS6detail17trampoline_kernelINS0_14default_configENS1_25partition_config_selectorILNS1_17partition_subalgoE6EiNS0_10empty_typeEbEEZZNS1_14partition_implILS5_6ELb0ES3_mN6thrust23THRUST_200600_302600_NS6detail15normal_iteratorINSA_10device_ptrIiEEEEPS6_SG_NS0_5tupleIJNSA_16discard_iteratorINSA_11use_defaultEEES6_EEENSH_IJSG_SG_EEES6_PlJNSB_9not_fun_tINSB_14equal_to_valueIiEEEEEEE10hipError_tPvRmT3_T4_T5_T6_T7_T9_mT8_P12ihipStream_tbDpT10_ENKUlT_T0_E_clISt17integral_constantIbLb1EES1B_EEDaS16_S17_EUlS16_E_NS1_11comp_targetILNS1_3genE2ELNS1_11target_archE906ELNS1_3gpuE6ELNS1_3repE0EEENS1_30default_config_static_selectorELNS0_4arch9wavefront6targetE0EEEvT1_.num_named_barrier, 0
	.set _ZN7rocprim17ROCPRIM_400000_NS6detail17trampoline_kernelINS0_14default_configENS1_25partition_config_selectorILNS1_17partition_subalgoE6EiNS0_10empty_typeEbEEZZNS1_14partition_implILS5_6ELb0ES3_mN6thrust23THRUST_200600_302600_NS6detail15normal_iteratorINSA_10device_ptrIiEEEEPS6_SG_NS0_5tupleIJNSA_16discard_iteratorINSA_11use_defaultEEES6_EEENSH_IJSG_SG_EEES6_PlJNSB_9not_fun_tINSB_14equal_to_valueIiEEEEEEE10hipError_tPvRmT3_T4_T5_T6_T7_T9_mT8_P12ihipStream_tbDpT10_ENKUlT_T0_E_clISt17integral_constantIbLb1EES1B_EEDaS16_S17_EUlS16_E_NS1_11comp_targetILNS1_3genE2ELNS1_11target_archE906ELNS1_3gpuE6ELNS1_3repE0EEENS1_30default_config_static_selectorELNS0_4arch9wavefront6targetE0EEEvT1_.private_seg_size, 0
	.set _ZN7rocprim17ROCPRIM_400000_NS6detail17trampoline_kernelINS0_14default_configENS1_25partition_config_selectorILNS1_17partition_subalgoE6EiNS0_10empty_typeEbEEZZNS1_14partition_implILS5_6ELb0ES3_mN6thrust23THRUST_200600_302600_NS6detail15normal_iteratorINSA_10device_ptrIiEEEEPS6_SG_NS0_5tupleIJNSA_16discard_iteratorINSA_11use_defaultEEES6_EEENSH_IJSG_SG_EEES6_PlJNSB_9not_fun_tINSB_14equal_to_valueIiEEEEEEE10hipError_tPvRmT3_T4_T5_T6_T7_T9_mT8_P12ihipStream_tbDpT10_ENKUlT_T0_E_clISt17integral_constantIbLb1EES1B_EEDaS16_S17_EUlS16_E_NS1_11comp_targetILNS1_3genE2ELNS1_11target_archE906ELNS1_3gpuE6ELNS1_3repE0EEENS1_30default_config_static_selectorELNS0_4arch9wavefront6targetE0EEEvT1_.uses_vcc, 0
	.set _ZN7rocprim17ROCPRIM_400000_NS6detail17trampoline_kernelINS0_14default_configENS1_25partition_config_selectorILNS1_17partition_subalgoE6EiNS0_10empty_typeEbEEZZNS1_14partition_implILS5_6ELb0ES3_mN6thrust23THRUST_200600_302600_NS6detail15normal_iteratorINSA_10device_ptrIiEEEEPS6_SG_NS0_5tupleIJNSA_16discard_iteratorINSA_11use_defaultEEES6_EEENSH_IJSG_SG_EEES6_PlJNSB_9not_fun_tINSB_14equal_to_valueIiEEEEEEE10hipError_tPvRmT3_T4_T5_T6_T7_T9_mT8_P12ihipStream_tbDpT10_ENKUlT_T0_E_clISt17integral_constantIbLb1EES1B_EEDaS16_S17_EUlS16_E_NS1_11comp_targetILNS1_3genE2ELNS1_11target_archE906ELNS1_3gpuE6ELNS1_3repE0EEENS1_30default_config_static_selectorELNS0_4arch9wavefront6targetE0EEEvT1_.uses_flat_scratch, 0
	.set _ZN7rocprim17ROCPRIM_400000_NS6detail17trampoline_kernelINS0_14default_configENS1_25partition_config_selectorILNS1_17partition_subalgoE6EiNS0_10empty_typeEbEEZZNS1_14partition_implILS5_6ELb0ES3_mN6thrust23THRUST_200600_302600_NS6detail15normal_iteratorINSA_10device_ptrIiEEEEPS6_SG_NS0_5tupleIJNSA_16discard_iteratorINSA_11use_defaultEEES6_EEENSH_IJSG_SG_EEES6_PlJNSB_9not_fun_tINSB_14equal_to_valueIiEEEEEEE10hipError_tPvRmT3_T4_T5_T6_T7_T9_mT8_P12ihipStream_tbDpT10_ENKUlT_T0_E_clISt17integral_constantIbLb1EES1B_EEDaS16_S17_EUlS16_E_NS1_11comp_targetILNS1_3genE2ELNS1_11target_archE906ELNS1_3gpuE6ELNS1_3repE0EEENS1_30default_config_static_selectorELNS0_4arch9wavefront6targetE0EEEvT1_.has_dyn_sized_stack, 0
	.set _ZN7rocprim17ROCPRIM_400000_NS6detail17trampoline_kernelINS0_14default_configENS1_25partition_config_selectorILNS1_17partition_subalgoE6EiNS0_10empty_typeEbEEZZNS1_14partition_implILS5_6ELb0ES3_mN6thrust23THRUST_200600_302600_NS6detail15normal_iteratorINSA_10device_ptrIiEEEEPS6_SG_NS0_5tupleIJNSA_16discard_iteratorINSA_11use_defaultEEES6_EEENSH_IJSG_SG_EEES6_PlJNSB_9not_fun_tINSB_14equal_to_valueIiEEEEEEE10hipError_tPvRmT3_T4_T5_T6_T7_T9_mT8_P12ihipStream_tbDpT10_ENKUlT_T0_E_clISt17integral_constantIbLb1EES1B_EEDaS16_S17_EUlS16_E_NS1_11comp_targetILNS1_3genE2ELNS1_11target_archE906ELNS1_3gpuE6ELNS1_3repE0EEENS1_30default_config_static_selectorELNS0_4arch9wavefront6targetE0EEEvT1_.has_recursion, 0
	.set _ZN7rocprim17ROCPRIM_400000_NS6detail17trampoline_kernelINS0_14default_configENS1_25partition_config_selectorILNS1_17partition_subalgoE6EiNS0_10empty_typeEbEEZZNS1_14partition_implILS5_6ELb0ES3_mN6thrust23THRUST_200600_302600_NS6detail15normal_iteratorINSA_10device_ptrIiEEEEPS6_SG_NS0_5tupleIJNSA_16discard_iteratorINSA_11use_defaultEEES6_EEENSH_IJSG_SG_EEES6_PlJNSB_9not_fun_tINSB_14equal_to_valueIiEEEEEEE10hipError_tPvRmT3_T4_T5_T6_T7_T9_mT8_P12ihipStream_tbDpT10_ENKUlT_T0_E_clISt17integral_constantIbLb1EES1B_EEDaS16_S17_EUlS16_E_NS1_11comp_targetILNS1_3genE2ELNS1_11target_archE906ELNS1_3gpuE6ELNS1_3repE0EEENS1_30default_config_static_selectorELNS0_4arch9wavefront6targetE0EEEvT1_.has_indirect_call, 0
	.section	.AMDGPU.csdata,"",@progbits
; Kernel info:
; codeLenInByte = 0
; TotalNumSgprs: 0
; NumVgprs: 0
; ScratchSize: 0
; MemoryBound: 0
; FloatMode: 240
; IeeeMode: 1
; LDSByteSize: 0 bytes/workgroup (compile time only)
; SGPRBlocks: 0
; VGPRBlocks: 0
; NumSGPRsForWavesPerEU: 1
; NumVGPRsForWavesPerEU: 1
; Occupancy: 16
; WaveLimiterHint : 0
; COMPUTE_PGM_RSRC2:SCRATCH_EN: 0
; COMPUTE_PGM_RSRC2:USER_SGPR: 2
; COMPUTE_PGM_RSRC2:TRAP_HANDLER: 0
; COMPUTE_PGM_RSRC2:TGID_X_EN: 1
; COMPUTE_PGM_RSRC2:TGID_Y_EN: 0
; COMPUTE_PGM_RSRC2:TGID_Z_EN: 0
; COMPUTE_PGM_RSRC2:TIDIG_COMP_CNT: 0
	.section	.text._ZN7rocprim17ROCPRIM_400000_NS6detail17trampoline_kernelINS0_14default_configENS1_25partition_config_selectorILNS1_17partition_subalgoE6EiNS0_10empty_typeEbEEZZNS1_14partition_implILS5_6ELb0ES3_mN6thrust23THRUST_200600_302600_NS6detail15normal_iteratorINSA_10device_ptrIiEEEEPS6_SG_NS0_5tupleIJNSA_16discard_iteratorINSA_11use_defaultEEES6_EEENSH_IJSG_SG_EEES6_PlJNSB_9not_fun_tINSB_14equal_to_valueIiEEEEEEE10hipError_tPvRmT3_T4_T5_T6_T7_T9_mT8_P12ihipStream_tbDpT10_ENKUlT_T0_E_clISt17integral_constantIbLb1EES1B_EEDaS16_S17_EUlS16_E_NS1_11comp_targetILNS1_3genE10ELNS1_11target_archE1200ELNS1_3gpuE4ELNS1_3repE0EEENS1_30default_config_static_selectorELNS0_4arch9wavefront6targetE0EEEvT1_,"axG",@progbits,_ZN7rocprim17ROCPRIM_400000_NS6detail17trampoline_kernelINS0_14default_configENS1_25partition_config_selectorILNS1_17partition_subalgoE6EiNS0_10empty_typeEbEEZZNS1_14partition_implILS5_6ELb0ES3_mN6thrust23THRUST_200600_302600_NS6detail15normal_iteratorINSA_10device_ptrIiEEEEPS6_SG_NS0_5tupleIJNSA_16discard_iteratorINSA_11use_defaultEEES6_EEENSH_IJSG_SG_EEES6_PlJNSB_9not_fun_tINSB_14equal_to_valueIiEEEEEEE10hipError_tPvRmT3_T4_T5_T6_T7_T9_mT8_P12ihipStream_tbDpT10_ENKUlT_T0_E_clISt17integral_constantIbLb1EES1B_EEDaS16_S17_EUlS16_E_NS1_11comp_targetILNS1_3genE10ELNS1_11target_archE1200ELNS1_3gpuE4ELNS1_3repE0EEENS1_30default_config_static_selectorELNS0_4arch9wavefront6targetE0EEEvT1_,comdat
	.protected	_ZN7rocprim17ROCPRIM_400000_NS6detail17trampoline_kernelINS0_14default_configENS1_25partition_config_selectorILNS1_17partition_subalgoE6EiNS0_10empty_typeEbEEZZNS1_14partition_implILS5_6ELb0ES3_mN6thrust23THRUST_200600_302600_NS6detail15normal_iteratorINSA_10device_ptrIiEEEEPS6_SG_NS0_5tupleIJNSA_16discard_iteratorINSA_11use_defaultEEES6_EEENSH_IJSG_SG_EEES6_PlJNSB_9not_fun_tINSB_14equal_to_valueIiEEEEEEE10hipError_tPvRmT3_T4_T5_T6_T7_T9_mT8_P12ihipStream_tbDpT10_ENKUlT_T0_E_clISt17integral_constantIbLb1EES1B_EEDaS16_S17_EUlS16_E_NS1_11comp_targetILNS1_3genE10ELNS1_11target_archE1200ELNS1_3gpuE4ELNS1_3repE0EEENS1_30default_config_static_selectorELNS0_4arch9wavefront6targetE0EEEvT1_ ; -- Begin function _ZN7rocprim17ROCPRIM_400000_NS6detail17trampoline_kernelINS0_14default_configENS1_25partition_config_selectorILNS1_17partition_subalgoE6EiNS0_10empty_typeEbEEZZNS1_14partition_implILS5_6ELb0ES3_mN6thrust23THRUST_200600_302600_NS6detail15normal_iteratorINSA_10device_ptrIiEEEEPS6_SG_NS0_5tupleIJNSA_16discard_iteratorINSA_11use_defaultEEES6_EEENSH_IJSG_SG_EEES6_PlJNSB_9not_fun_tINSB_14equal_to_valueIiEEEEEEE10hipError_tPvRmT3_T4_T5_T6_T7_T9_mT8_P12ihipStream_tbDpT10_ENKUlT_T0_E_clISt17integral_constantIbLb1EES1B_EEDaS16_S17_EUlS16_E_NS1_11comp_targetILNS1_3genE10ELNS1_11target_archE1200ELNS1_3gpuE4ELNS1_3repE0EEENS1_30default_config_static_selectorELNS0_4arch9wavefront6targetE0EEEvT1_
	.globl	_ZN7rocprim17ROCPRIM_400000_NS6detail17trampoline_kernelINS0_14default_configENS1_25partition_config_selectorILNS1_17partition_subalgoE6EiNS0_10empty_typeEbEEZZNS1_14partition_implILS5_6ELb0ES3_mN6thrust23THRUST_200600_302600_NS6detail15normal_iteratorINSA_10device_ptrIiEEEEPS6_SG_NS0_5tupleIJNSA_16discard_iteratorINSA_11use_defaultEEES6_EEENSH_IJSG_SG_EEES6_PlJNSB_9not_fun_tINSB_14equal_to_valueIiEEEEEEE10hipError_tPvRmT3_T4_T5_T6_T7_T9_mT8_P12ihipStream_tbDpT10_ENKUlT_T0_E_clISt17integral_constantIbLb1EES1B_EEDaS16_S17_EUlS16_E_NS1_11comp_targetILNS1_3genE10ELNS1_11target_archE1200ELNS1_3gpuE4ELNS1_3repE0EEENS1_30default_config_static_selectorELNS0_4arch9wavefront6targetE0EEEvT1_
	.p2align	8
	.type	_ZN7rocprim17ROCPRIM_400000_NS6detail17trampoline_kernelINS0_14default_configENS1_25partition_config_selectorILNS1_17partition_subalgoE6EiNS0_10empty_typeEbEEZZNS1_14partition_implILS5_6ELb0ES3_mN6thrust23THRUST_200600_302600_NS6detail15normal_iteratorINSA_10device_ptrIiEEEEPS6_SG_NS0_5tupleIJNSA_16discard_iteratorINSA_11use_defaultEEES6_EEENSH_IJSG_SG_EEES6_PlJNSB_9not_fun_tINSB_14equal_to_valueIiEEEEEEE10hipError_tPvRmT3_T4_T5_T6_T7_T9_mT8_P12ihipStream_tbDpT10_ENKUlT_T0_E_clISt17integral_constantIbLb1EES1B_EEDaS16_S17_EUlS16_E_NS1_11comp_targetILNS1_3genE10ELNS1_11target_archE1200ELNS1_3gpuE4ELNS1_3repE0EEENS1_30default_config_static_selectorELNS0_4arch9wavefront6targetE0EEEvT1_,@function
_ZN7rocprim17ROCPRIM_400000_NS6detail17trampoline_kernelINS0_14default_configENS1_25partition_config_selectorILNS1_17partition_subalgoE6EiNS0_10empty_typeEbEEZZNS1_14partition_implILS5_6ELb0ES3_mN6thrust23THRUST_200600_302600_NS6detail15normal_iteratorINSA_10device_ptrIiEEEEPS6_SG_NS0_5tupleIJNSA_16discard_iteratorINSA_11use_defaultEEES6_EEENSH_IJSG_SG_EEES6_PlJNSB_9not_fun_tINSB_14equal_to_valueIiEEEEEEE10hipError_tPvRmT3_T4_T5_T6_T7_T9_mT8_P12ihipStream_tbDpT10_ENKUlT_T0_E_clISt17integral_constantIbLb1EES1B_EEDaS16_S17_EUlS16_E_NS1_11comp_targetILNS1_3genE10ELNS1_11target_archE1200ELNS1_3gpuE4ELNS1_3repE0EEENS1_30default_config_static_selectorELNS0_4arch9wavefront6targetE0EEEvT1_: ; @_ZN7rocprim17ROCPRIM_400000_NS6detail17trampoline_kernelINS0_14default_configENS1_25partition_config_selectorILNS1_17partition_subalgoE6EiNS0_10empty_typeEbEEZZNS1_14partition_implILS5_6ELb0ES3_mN6thrust23THRUST_200600_302600_NS6detail15normal_iteratorINSA_10device_ptrIiEEEEPS6_SG_NS0_5tupleIJNSA_16discard_iteratorINSA_11use_defaultEEES6_EEENSH_IJSG_SG_EEES6_PlJNSB_9not_fun_tINSB_14equal_to_valueIiEEEEEEE10hipError_tPvRmT3_T4_T5_T6_T7_T9_mT8_P12ihipStream_tbDpT10_ENKUlT_T0_E_clISt17integral_constantIbLb1EES1B_EEDaS16_S17_EUlS16_E_NS1_11comp_targetILNS1_3genE10ELNS1_11target_archE1200ELNS1_3gpuE4ELNS1_3repE0EEENS1_30default_config_static_selectorELNS0_4arch9wavefront6targetE0EEEvT1_
; %bb.0:
	s_endpgm
	.section	.rodata,"a",@progbits
	.p2align	6, 0x0
	.amdhsa_kernel _ZN7rocprim17ROCPRIM_400000_NS6detail17trampoline_kernelINS0_14default_configENS1_25partition_config_selectorILNS1_17partition_subalgoE6EiNS0_10empty_typeEbEEZZNS1_14partition_implILS5_6ELb0ES3_mN6thrust23THRUST_200600_302600_NS6detail15normal_iteratorINSA_10device_ptrIiEEEEPS6_SG_NS0_5tupleIJNSA_16discard_iteratorINSA_11use_defaultEEES6_EEENSH_IJSG_SG_EEES6_PlJNSB_9not_fun_tINSB_14equal_to_valueIiEEEEEEE10hipError_tPvRmT3_T4_T5_T6_T7_T9_mT8_P12ihipStream_tbDpT10_ENKUlT_T0_E_clISt17integral_constantIbLb1EES1B_EEDaS16_S17_EUlS16_E_NS1_11comp_targetILNS1_3genE10ELNS1_11target_archE1200ELNS1_3gpuE4ELNS1_3repE0EEENS1_30default_config_static_selectorELNS0_4arch9wavefront6targetE0EEEvT1_
		.amdhsa_group_segment_fixed_size 0
		.amdhsa_private_segment_fixed_size 0
		.amdhsa_kernarg_size 136
		.amdhsa_user_sgpr_count 2
		.amdhsa_user_sgpr_dispatch_ptr 0
		.amdhsa_user_sgpr_queue_ptr 0
		.amdhsa_user_sgpr_kernarg_segment_ptr 1
		.amdhsa_user_sgpr_dispatch_id 0
		.amdhsa_user_sgpr_private_segment_size 0
		.amdhsa_wavefront_size32 1
		.amdhsa_uses_dynamic_stack 0
		.amdhsa_enable_private_segment 0
		.amdhsa_system_sgpr_workgroup_id_x 1
		.amdhsa_system_sgpr_workgroup_id_y 0
		.amdhsa_system_sgpr_workgroup_id_z 0
		.amdhsa_system_sgpr_workgroup_info 0
		.amdhsa_system_vgpr_workitem_id 0
		.amdhsa_next_free_vgpr 1
		.amdhsa_next_free_sgpr 1
		.amdhsa_reserve_vcc 0
		.amdhsa_float_round_mode_32 0
		.amdhsa_float_round_mode_16_64 0
		.amdhsa_float_denorm_mode_32 3
		.amdhsa_float_denorm_mode_16_64 3
		.amdhsa_fp16_overflow 0
		.amdhsa_workgroup_processor_mode 1
		.amdhsa_memory_ordered 1
		.amdhsa_forward_progress 1
		.amdhsa_inst_pref_size 1
		.amdhsa_round_robin_scheduling 0
		.amdhsa_exception_fp_ieee_invalid_op 0
		.amdhsa_exception_fp_denorm_src 0
		.amdhsa_exception_fp_ieee_div_zero 0
		.amdhsa_exception_fp_ieee_overflow 0
		.amdhsa_exception_fp_ieee_underflow 0
		.amdhsa_exception_fp_ieee_inexact 0
		.amdhsa_exception_int_div_zero 0
	.end_amdhsa_kernel
	.section	.text._ZN7rocprim17ROCPRIM_400000_NS6detail17trampoline_kernelINS0_14default_configENS1_25partition_config_selectorILNS1_17partition_subalgoE6EiNS0_10empty_typeEbEEZZNS1_14partition_implILS5_6ELb0ES3_mN6thrust23THRUST_200600_302600_NS6detail15normal_iteratorINSA_10device_ptrIiEEEEPS6_SG_NS0_5tupleIJNSA_16discard_iteratorINSA_11use_defaultEEES6_EEENSH_IJSG_SG_EEES6_PlJNSB_9not_fun_tINSB_14equal_to_valueIiEEEEEEE10hipError_tPvRmT3_T4_T5_T6_T7_T9_mT8_P12ihipStream_tbDpT10_ENKUlT_T0_E_clISt17integral_constantIbLb1EES1B_EEDaS16_S17_EUlS16_E_NS1_11comp_targetILNS1_3genE10ELNS1_11target_archE1200ELNS1_3gpuE4ELNS1_3repE0EEENS1_30default_config_static_selectorELNS0_4arch9wavefront6targetE0EEEvT1_,"axG",@progbits,_ZN7rocprim17ROCPRIM_400000_NS6detail17trampoline_kernelINS0_14default_configENS1_25partition_config_selectorILNS1_17partition_subalgoE6EiNS0_10empty_typeEbEEZZNS1_14partition_implILS5_6ELb0ES3_mN6thrust23THRUST_200600_302600_NS6detail15normal_iteratorINSA_10device_ptrIiEEEEPS6_SG_NS0_5tupleIJNSA_16discard_iteratorINSA_11use_defaultEEES6_EEENSH_IJSG_SG_EEES6_PlJNSB_9not_fun_tINSB_14equal_to_valueIiEEEEEEE10hipError_tPvRmT3_T4_T5_T6_T7_T9_mT8_P12ihipStream_tbDpT10_ENKUlT_T0_E_clISt17integral_constantIbLb1EES1B_EEDaS16_S17_EUlS16_E_NS1_11comp_targetILNS1_3genE10ELNS1_11target_archE1200ELNS1_3gpuE4ELNS1_3repE0EEENS1_30default_config_static_selectorELNS0_4arch9wavefront6targetE0EEEvT1_,comdat
.Lfunc_end1770:
	.size	_ZN7rocprim17ROCPRIM_400000_NS6detail17trampoline_kernelINS0_14default_configENS1_25partition_config_selectorILNS1_17partition_subalgoE6EiNS0_10empty_typeEbEEZZNS1_14partition_implILS5_6ELb0ES3_mN6thrust23THRUST_200600_302600_NS6detail15normal_iteratorINSA_10device_ptrIiEEEEPS6_SG_NS0_5tupleIJNSA_16discard_iteratorINSA_11use_defaultEEES6_EEENSH_IJSG_SG_EEES6_PlJNSB_9not_fun_tINSB_14equal_to_valueIiEEEEEEE10hipError_tPvRmT3_T4_T5_T6_T7_T9_mT8_P12ihipStream_tbDpT10_ENKUlT_T0_E_clISt17integral_constantIbLb1EES1B_EEDaS16_S17_EUlS16_E_NS1_11comp_targetILNS1_3genE10ELNS1_11target_archE1200ELNS1_3gpuE4ELNS1_3repE0EEENS1_30default_config_static_selectorELNS0_4arch9wavefront6targetE0EEEvT1_, .Lfunc_end1770-_ZN7rocprim17ROCPRIM_400000_NS6detail17trampoline_kernelINS0_14default_configENS1_25partition_config_selectorILNS1_17partition_subalgoE6EiNS0_10empty_typeEbEEZZNS1_14partition_implILS5_6ELb0ES3_mN6thrust23THRUST_200600_302600_NS6detail15normal_iteratorINSA_10device_ptrIiEEEEPS6_SG_NS0_5tupleIJNSA_16discard_iteratorINSA_11use_defaultEEES6_EEENSH_IJSG_SG_EEES6_PlJNSB_9not_fun_tINSB_14equal_to_valueIiEEEEEEE10hipError_tPvRmT3_T4_T5_T6_T7_T9_mT8_P12ihipStream_tbDpT10_ENKUlT_T0_E_clISt17integral_constantIbLb1EES1B_EEDaS16_S17_EUlS16_E_NS1_11comp_targetILNS1_3genE10ELNS1_11target_archE1200ELNS1_3gpuE4ELNS1_3repE0EEENS1_30default_config_static_selectorELNS0_4arch9wavefront6targetE0EEEvT1_
                                        ; -- End function
	.set _ZN7rocprim17ROCPRIM_400000_NS6detail17trampoline_kernelINS0_14default_configENS1_25partition_config_selectorILNS1_17partition_subalgoE6EiNS0_10empty_typeEbEEZZNS1_14partition_implILS5_6ELb0ES3_mN6thrust23THRUST_200600_302600_NS6detail15normal_iteratorINSA_10device_ptrIiEEEEPS6_SG_NS0_5tupleIJNSA_16discard_iteratorINSA_11use_defaultEEES6_EEENSH_IJSG_SG_EEES6_PlJNSB_9not_fun_tINSB_14equal_to_valueIiEEEEEEE10hipError_tPvRmT3_T4_T5_T6_T7_T9_mT8_P12ihipStream_tbDpT10_ENKUlT_T0_E_clISt17integral_constantIbLb1EES1B_EEDaS16_S17_EUlS16_E_NS1_11comp_targetILNS1_3genE10ELNS1_11target_archE1200ELNS1_3gpuE4ELNS1_3repE0EEENS1_30default_config_static_selectorELNS0_4arch9wavefront6targetE0EEEvT1_.num_vgpr, 0
	.set _ZN7rocprim17ROCPRIM_400000_NS6detail17trampoline_kernelINS0_14default_configENS1_25partition_config_selectorILNS1_17partition_subalgoE6EiNS0_10empty_typeEbEEZZNS1_14partition_implILS5_6ELb0ES3_mN6thrust23THRUST_200600_302600_NS6detail15normal_iteratorINSA_10device_ptrIiEEEEPS6_SG_NS0_5tupleIJNSA_16discard_iteratorINSA_11use_defaultEEES6_EEENSH_IJSG_SG_EEES6_PlJNSB_9not_fun_tINSB_14equal_to_valueIiEEEEEEE10hipError_tPvRmT3_T4_T5_T6_T7_T9_mT8_P12ihipStream_tbDpT10_ENKUlT_T0_E_clISt17integral_constantIbLb1EES1B_EEDaS16_S17_EUlS16_E_NS1_11comp_targetILNS1_3genE10ELNS1_11target_archE1200ELNS1_3gpuE4ELNS1_3repE0EEENS1_30default_config_static_selectorELNS0_4arch9wavefront6targetE0EEEvT1_.num_agpr, 0
	.set _ZN7rocprim17ROCPRIM_400000_NS6detail17trampoline_kernelINS0_14default_configENS1_25partition_config_selectorILNS1_17partition_subalgoE6EiNS0_10empty_typeEbEEZZNS1_14partition_implILS5_6ELb0ES3_mN6thrust23THRUST_200600_302600_NS6detail15normal_iteratorINSA_10device_ptrIiEEEEPS6_SG_NS0_5tupleIJNSA_16discard_iteratorINSA_11use_defaultEEES6_EEENSH_IJSG_SG_EEES6_PlJNSB_9not_fun_tINSB_14equal_to_valueIiEEEEEEE10hipError_tPvRmT3_T4_T5_T6_T7_T9_mT8_P12ihipStream_tbDpT10_ENKUlT_T0_E_clISt17integral_constantIbLb1EES1B_EEDaS16_S17_EUlS16_E_NS1_11comp_targetILNS1_3genE10ELNS1_11target_archE1200ELNS1_3gpuE4ELNS1_3repE0EEENS1_30default_config_static_selectorELNS0_4arch9wavefront6targetE0EEEvT1_.numbered_sgpr, 0
	.set _ZN7rocprim17ROCPRIM_400000_NS6detail17trampoline_kernelINS0_14default_configENS1_25partition_config_selectorILNS1_17partition_subalgoE6EiNS0_10empty_typeEbEEZZNS1_14partition_implILS5_6ELb0ES3_mN6thrust23THRUST_200600_302600_NS6detail15normal_iteratorINSA_10device_ptrIiEEEEPS6_SG_NS0_5tupleIJNSA_16discard_iteratorINSA_11use_defaultEEES6_EEENSH_IJSG_SG_EEES6_PlJNSB_9not_fun_tINSB_14equal_to_valueIiEEEEEEE10hipError_tPvRmT3_T4_T5_T6_T7_T9_mT8_P12ihipStream_tbDpT10_ENKUlT_T0_E_clISt17integral_constantIbLb1EES1B_EEDaS16_S17_EUlS16_E_NS1_11comp_targetILNS1_3genE10ELNS1_11target_archE1200ELNS1_3gpuE4ELNS1_3repE0EEENS1_30default_config_static_selectorELNS0_4arch9wavefront6targetE0EEEvT1_.num_named_barrier, 0
	.set _ZN7rocprim17ROCPRIM_400000_NS6detail17trampoline_kernelINS0_14default_configENS1_25partition_config_selectorILNS1_17partition_subalgoE6EiNS0_10empty_typeEbEEZZNS1_14partition_implILS5_6ELb0ES3_mN6thrust23THRUST_200600_302600_NS6detail15normal_iteratorINSA_10device_ptrIiEEEEPS6_SG_NS0_5tupleIJNSA_16discard_iteratorINSA_11use_defaultEEES6_EEENSH_IJSG_SG_EEES6_PlJNSB_9not_fun_tINSB_14equal_to_valueIiEEEEEEE10hipError_tPvRmT3_T4_T5_T6_T7_T9_mT8_P12ihipStream_tbDpT10_ENKUlT_T0_E_clISt17integral_constantIbLb1EES1B_EEDaS16_S17_EUlS16_E_NS1_11comp_targetILNS1_3genE10ELNS1_11target_archE1200ELNS1_3gpuE4ELNS1_3repE0EEENS1_30default_config_static_selectorELNS0_4arch9wavefront6targetE0EEEvT1_.private_seg_size, 0
	.set _ZN7rocprim17ROCPRIM_400000_NS6detail17trampoline_kernelINS0_14default_configENS1_25partition_config_selectorILNS1_17partition_subalgoE6EiNS0_10empty_typeEbEEZZNS1_14partition_implILS5_6ELb0ES3_mN6thrust23THRUST_200600_302600_NS6detail15normal_iteratorINSA_10device_ptrIiEEEEPS6_SG_NS0_5tupleIJNSA_16discard_iteratorINSA_11use_defaultEEES6_EEENSH_IJSG_SG_EEES6_PlJNSB_9not_fun_tINSB_14equal_to_valueIiEEEEEEE10hipError_tPvRmT3_T4_T5_T6_T7_T9_mT8_P12ihipStream_tbDpT10_ENKUlT_T0_E_clISt17integral_constantIbLb1EES1B_EEDaS16_S17_EUlS16_E_NS1_11comp_targetILNS1_3genE10ELNS1_11target_archE1200ELNS1_3gpuE4ELNS1_3repE0EEENS1_30default_config_static_selectorELNS0_4arch9wavefront6targetE0EEEvT1_.uses_vcc, 0
	.set _ZN7rocprim17ROCPRIM_400000_NS6detail17trampoline_kernelINS0_14default_configENS1_25partition_config_selectorILNS1_17partition_subalgoE6EiNS0_10empty_typeEbEEZZNS1_14partition_implILS5_6ELb0ES3_mN6thrust23THRUST_200600_302600_NS6detail15normal_iteratorINSA_10device_ptrIiEEEEPS6_SG_NS0_5tupleIJNSA_16discard_iteratorINSA_11use_defaultEEES6_EEENSH_IJSG_SG_EEES6_PlJNSB_9not_fun_tINSB_14equal_to_valueIiEEEEEEE10hipError_tPvRmT3_T4_T5_T6_T7_T9_mT8_P12ihipStream_tbDpT10_ENKUlT_T0_E_clISt17integral_constantIbLb1EES1B_EEDaS16_S17_EUlS16_E_NS1_11comp_targetILNS1_3genE10ELNS1_11target_archE1200ELNS1_3gpuE4ELNS1_3repE0EEENS1_30default_config_static_selectorELNS0_4arch9wavefront6targetE0EEEvT1_.uses_flat_scratch, 0
	.set _ZN7rocprim17ROCPRIM_400000_NS6detail17trampoline_kernelINS0_14default_configENS1_25partition_config_selectorILNS1_17partition_subalgoE6EiNS0_10empty_typeEbEEZZNS1_14partition_implILS5_6ELb0ES3_mN6thrust23THRUST_200600_302600_NS6detail15normal_iteratorINSA_10device_ptrIiEEEEPS6_SG_NS0_5tupleIJNSA_16discard_iteratorINSA_11use_defaultEEES6_EEENSH_IJSG_SG_EEES6_PlJNSB_9not_fun_tINSB_14equal_to_valueIiEEEEEEE10hipError_tPvRmT3_T4_T5_T6_T7_T9_mT8_P12ihipStream_tbDpT10_ENKUlT_T0_E_clISt17integral_constantIbLb1EES1B_EEDaS16_S17_EUlS16_E_NS1_11comp_targetILNS1_3genE10ELNS1_11target_archE1200ELNS1_3gpuE4ELNS1_3repE0EEENS1_30default_config_static_selectorELNS0_4arch9wavefront6targetE0EEEvT1_.has_dyn_sized_stack, 0
	.set _ZN7rocprim17ROCPRIM_400000_NS6detail17trampoline_kernelINS0_14default_configENS1_25partition_config_selectorILNS1_17partition_subalgoE6EiNS0_10empty_typeEbEEZZNS1_14partition_implILS5_6ELb0ES3_mN6thrust23THRUST_200600_302600_NS6detail15normal_iteratorINSA_10device_ptrIiEEEEPS6_SG_NS0_5tupleIJNSA_16discard_iteratorINSA_11use_defaultEEES6_EEENSH_IJSG_SG_EEES6_PlJNSB_9not_fun_tINSB_14equal_to_valueIiEEEEEEE10hipError_tPvRmT3_T4_T5_T6_T7_T9_mT8_P12ihipStream_tbDpT10_ENKUlT_T0_E_clISt17integral_constantIbLb1EES1B_EEDaS16_S17_EUlS16_E_NS1_11comp_targetILNS1_3genE10ELNS1_11target_archE1200ELNS1_3gpuE4ELNS1_3repE0EEENS1_30default_config_static_selectorELNS0_4arch9wavefront6targetE0EEEvT1_.has_recursion, 0
	.set _ZN7rocprim17ROCPRIM_400000_NS6detail17trampoline_kernelINS0_14default_configENS1_25partition_config_selectorILNS1_17partition_subalgoE6EiNS0_10empty_typeEbEEZZNS1_14partition_implILS5_6ELb0ES3_mN6thrust23THRUST_200600_302600_NS6detail15normal_iteratorINSA_10device_ptrIiEEEEPS6_SG_NS0_5tupleIJNSA_16discard_iteratorINSA_11use_defaultEEES6_EEENSH_IJSG_SG_EEES6_PlJNSB_9not_fun_tINSB_14equal_to_valueIiEEEEEEE10hipError_tPvRmT3_T4_T5_T6_T7_T9_mT8_P12ihipStream_tbDpT10_ENKUlT_T0_E_clISt17integral_constantIbLb1EES1B_EEDaS16_S17_EUlS16_E_NS1_11comp_targetILNS1_3genE10ELNS1_11target_archE1200ELNS1_3gpuE4ELNS1_3repE0EEENS1_30default_config_static_selectorELNS0_4arch9wavefront6targetE0EEEvT1_.has_indirect_call, 0
	.section	.AMDGPU.csdata,"",@progbits
; Kernel info:
; codeLenInByte = 4
; TotalNumSgprs: 0
; NumVgprs: 0
; ScratchSize: 0
; MemoryBound: 0
; FloatMode: 240
; IeeeMode: 1
; LDSByteSize: 0 bytes/workgroup (compile time only)
; SGPRBlocks: 0
; VGPRBlocks: 0
; NumSGPRsForWavesPerEU: 1
; NumVGPRsForWavesPerEU: 1
; Occupancy: 16
; WaveLimiterHint : 0
; COMPUTE_PGM_RSRC2:SCRATCH_EN: 0
; COMPUTE_PGM_RSRC2:USER_SGPR: 2
; COMPUTE_PGM_RSRC2:TRAP_HANDLER: 0
; COMPUTE_PGM_RSRC2:TGID_X_EN: 1
; COMPUTE_PGM_RSRC2:TGID_Y_EN: 0
; COMPUTE_PGM_RSRC2:TGID_Z_EN: 0
; COMPUTE_PGM_RSRC2:TIDIG_COMP_CNT: 0
	.section	.text._ZN7rocprim17ROCPRIM_400000_NS6detail17trampoline_kernelINS0_14default_configENS1_25partition_config_selectorILNS1_17partition_subalgoE6EiNS0_10empty_typeEbEEZZNS1_14partition_implILS5_6ELb0ES3_mN6thrust23THRUST_200600_302600_NS6detail15normal_iteratorINSA_10device_ptrIiEEEEPS6_SG_NS0_5tupleIJNSA_16discard_iteratorINSA_11use_defaultEEES6_EEENSH_IJSG_SG_EEES6_PlJNSB_9not_fun_tINSB_14equal_to_valueIiEEEEEEE10hipError_tPvRmT3_T4_T5_T6_T7_T9_mT8_P12ihipStream_tbDpT10_ENKUlT_T0_E_clISt17integral_constantIbLb1EES1B_EEDaS16_S17_EUlS16_E_NS1_11comp_targetILNS1_3genE9ELNS1_11target_archE1100ELNS1_3gpuE3ELNS1_3repE0EEENS1_30default_config_static_selectorELNS0_4arch9wavefront6targetE0EEEvT1_,"axG",@progbits,_ZN7rocprim17ROCPRIM_400000_NS6detail17trampoline_kernelINS0_14default_configENS1_25partition_config_selectorILNS1_17partition_subalgoE6EiNS0_10empty_typeEbEEZZNS1_14partition_implILS5_6ELb0ES3_mN6thrust23THRUST_200600_302600_NS6detail15normal_iteratorINSA_10device_ptrIiEEEEPS6_SG_NS0_5tupleIJNSA_16discard_iteratorINSA_11use_defaultEEES6_EEENSH_IJSG_SG_EEES6_PlJNSB_9not_fun_tINSB_14equal_to_valueIiEEEEEEE10hipError_tPvRmT3_T4_T5_T6_T7_T9_mT8_P12ihipStream_tbDpT10_ENKUlT_T0_E_clISt17integral_constantIbLb1EES1B_EEDaS16_S17_EUlS16_E_NS1_11comp_targetILNS1_3genE9ELNS1_11target_archE1100ELNS1_3gpuE3ELNS1_3repE0EEENS1_30default_config_static_selectorELNS0_4arch9wavefront6targetE0EEEvT1_,comdat
	.protected	_ZN7rocprim17ROCPRIM_400000_NS6detail17trampoline_kernelINS0_14default_configENS1_25partition_config_selectorILNS1_17partition_subalgoE6EiNS0_10empty_typeEbEEZZNS1_14partition_implILS5_6ELb0ES3_mN6thrust23THRUST_200600_302600_NS6detail15normal_iteratorINSA_10device_ptrIiEEEEPS6_SG_NS0_5tupleIJNSA_16discard_iteratorINSA_11use_defaultEEES6_EEENSH_IJSG_SG_EEES6_PlJNSB_9not_fun_tINSB_14equal_to_valueIiEEEEEEE10hipError_tPvRmT3_T4_T5_T6_T7_T9_mT8_P12ihipStream_tbDpT10_ENKUlT_T0_E_clISt17integral_constantIbLb1EES1B_EEDaS16_S17_EUlS16_E_NS1_11comp_targetILNS1_3genE9ELNS1_11target_archE1100ELNS1_3gpuE3ELNS1_3repE0EEENS1_30default_config_static_selectorELNS0_4arch9wavefront6targetE0EEEvT1_ ; -- Begin function _ZN7rocprim17ROCPRIM_400000_NS6detail17trampoline_kernelINS0_14default_configENS1_25partition_config_selectorILNS1_17partition_subalgoE6EiNS0_10empty_typeEbEEZZNS1_14partition_implILS5_6ELb0ES3_mN6thrust23THRUST_200600_302600_NS6detail15normal_iteratorINSA_10device_ptrIiEEEEPS6_SG_NS0_5tupleIJNSA_16discard_iteratorINSA_11use_defaultEEES6_EEENSH_IJSG_SG_EEES6_PlJNSB_9not_fun_tINSB_14equal_to_valueIiEEEEEEE10hipError_tPvRmT3_T4_T5_T6_T7_T9_mT8_P12ihipStream_tbDpT10_ENKUlT_T0_E_clISt17integral_constantIbLb1EES1B_EEDaS16_S17_EUlS16_E_NS1_11comp_targetILNS1_3genE9ELNS1_11target_archE1100ELNS1_3gpuE3ELNS1_3repE0EEENS1_30default_config_static_selectorELNS0_4arch9wavefront6targetE0EEEvT1_
	.globl	_ZN7rocprim17ROCPRIM_400000_NS6detail17trampoline_kernelINS0_14default_configENS1_25partition_config_selectorILNS1_17partition_subalgoE6EiNS0_10empty_typeEbEEZZNS1_14partition_implILS5_6ELb0ES3_mN6thrust23THRUST_200600_302600_NS6detail15normal_iteratorINSA_10device_ptrIiEEEEPS6_SG_NS0_5tupleIJNSA_16discard_iteratorINSA_11use_defaultEEES6_EEENSH_IJSG_SG_EEES6_PlJNSB_9not_fun_tINSB_14equal_to_valueIiEEEEEEE10hipError_tPvRmT3_T4_T5_T6_T7_T9_mT8_P12ihipStream_tbDpT10_ENKUlT_T0_E_clISt17integral_constantIbLb1EES1B_EEDaS16_S17_EUlS16_E_NS1_11comp_targetILNS1_3genE9ELNS1_11target_archE1100ELNS1_3gpuE3ELNS1_3repE0EEENS1_30default_config_static_selectorELNS0_4arch9wavefront6targetE0EEEvT1_
	.p2align	8
	.type	_ZN7rocprim17ROCPRIM_400000_NS6detail17trampoline_kernelINS0_14default_configENS1_25partition_config_selectorILNS1_17partition_subalgoE6EiNS0_10empty_typeEbEEZZNS1_14partition_implILS5_6ELb0ES3_mN6thrust23THRUST_200600_302600_NS6detail15normal_iteratorINSA_10device_ptrIiEEEEPS6_SG_NS0_5tupleIJNSA_16discard_iteratorINSA_11use_defaultEEES6_EEENSH_IJSG_SG_EEES6_PlJNSB_9not_fun_tINSB_14equal_to_valueIiEEEEEEE10hipError_tPvRmT3_T4_T5_T6_T7_T9_mT8_P12ihipStream_tbDpT10_ENKUlT_T0_E_clISt17integral_constantIbLb1EES1B_EEDaS16_S17_EUlS16_E_NS1_11comp_targetILNS1_3genE9ELNS1_11target_archE1100ELNS1_3gpuE3ELNS1_3repE0EEENS1_30default_config_static_selectorELNS0_4arch9wavefront6targetE0EEEvT1_,@function
_ZN7rocprim17ROCPRIM_400000_NS6detail17trampoline_kernelINS0_14default_configENS1_25partition_config_selectorILNS1_17partition_subalgoE6EiNS0_10empty_typeEbEEZZNS1_14partition_implILS5_6ELb0ES3_mN6thrust23THRUST_200600_302600_NS6detail15normal_iteratorINSA_10device_ptrIiEEEEPS6_SG_NS0_5tupleIJNSA_16discard_iteratorINSA_11use_defaultEEES6_EEENSH_IJSG_SG_EEES6_PlJNSB_9not_fun_tINSB_14equal_to_valueIiEEEEEEE10hipError_tPvRmT3_T4_T5_T6_T7_T9_mT8_P12ihipStream_tbDpT10_ENKUlT_T0_E_clISt17integral_constantIbLb1EES1B_EEDaS16_S17_EUlS16_E_NS1_11comp_targetILNS1_3genE9ELNS1_11target_archE1100ELNS1_3gpuE3ELNS1_3repE0EEENS1_30default_config_static_selectorELNS0_4arch9wavefront6targetE0EEEvT1_: ; @_ZN7rocprim17ROCPRIM_400000_NS6detail17trampoline_kernelINS0_14default_configENS1_25partition_config_selectorILNS1_17partition_subalgoE6EiNS0_10empty_typeEbEEZZNS1_14partition_implILS5_6ELb0ES3_mN6thrust23THRUST_200600_302600_NS6detail15normal_iteratorINSA_10device_ptrIiEEEEPS6_SG_NS0_5tupleIJNSA_16discard_iteratorINSA_11use_defaultEEES6_EEENSH_IJSG_SG_EEES6_PlJNSB_9not_fun_tINSB_14equal_to_valueIiEEEEEEE10hipError_tPvRmT3_T4_T5_T6_T7_T9_mT8_P12ihipStream_tbDpT10_ENKUlT_T0_E_clISt17integral_constantIbLb1EES1B_EEDaS16_S17_EUlS16_E_NS1_11comp_targetILNS1_3genE9ELNS1_11target_archE1100ELNS1_3gpuE3ELNS1_3repE0EEENS1_30default_config_static_selectorELNS0_4arch9wavefront6targetE0EEEvT1_
; %bb.0:
	.section	.rodata,"a",@progbits
	.p2align	6, 0x0
	.amdhsa_kernel _ZN7rocprim17ROCPRIM_400000_NS6detail17trampoline_kernelINS0_14default_configENS1_25partition_config_selectorILNS1_17partition_subalgoE6EiNS0_10empty_typeEbEEZZNS1_14partition_implILS5_6ELb0ES3_mN6thrust23THRUST_200600_302600_NS6detail15normal_iteratorINSA_10device_ptrIiEEEEPS6_SG_NS0_5tupleIJNSA_16discard_iteratorINSA_11use_defaultEEES6_EEENSH_IJSG_SG_EEES6_PlJNSB_9not_fun_tINSB_14equal_to_valueIiEEEEEEE10hipError_tPvRmT3_T4_T5_T6_T7_T9_mT8_P12ihipStream_tbDpT10_ENKUlT_T0_E_clISt17integral_constantIbLb1EES1B_EEDaS16_S17_EUlS16_E_NS1_11comp_targetILNS1_3genE9ELNS1_11target_archE1100ELNS1_3gpuE3ELNS1_3repE0EEENS1_30default_config_static_selectorELNS0_4arch9wavefront6targetE0EEEvT1_
		.amdhsa_group_segment_fixed_size 0
		.amdhsa_private_segment_fixed_size 0
		.amdhsa_kernarg_size 136
		.amdhsa_user_sgpr_count 2
		.amdhsa_user_sgpr_dispatch_ptr 0
		.amdhsa_user_sgpr_queue_ptr 0
		.amdhsa_user_sgpr_kernarg_segment_ptr 1
		.amdhsa_user_sgpr_dispatch_id 0
		.amdhsa_user_sgpr_private_segment_size 0
		.amdhsa_wavefront_size32 1
		.amdhsa_uses_dynamic_stack 0
		.amdhsa_enable_private_segment 0
		.amdhsa_system_sgpr_workgroup_id_x 1
		.amdhsa_system_sgpr_workgroup_id_y 0
		.amdhsa_system_sgpr_workgroup_id_z 0
		.amdhsa_system_sgpr_workgroup_info 0
		.amdhsa_system_vgpr_workitem_id 0
		.amdhsa_next_free_vgpr 1
		.amdhsa_next_free_sgpr 1
		.amdhsa_reserve_vcc 0
		.amdhsa_float_round_mode_32 0
		.amdhsa_float_round_mode_16_64 0
		.amdhsa_float_denorm_mode_32 3
		.amdhsa_float_denorm_mode_16_64 3
		.amdhsa_fp16_overflow 0
		.amdhsa_workgroup_processor_mode 1
		.amdhsa_memory_ordered 1
		.amdhsa_forward_progress 1
		.amdhsa_inst_pref_size 0
		.amdhsa_round_robin_scheduling 0
		.amdhsa_exception_fp_ieee_invalid_op 0
		.amdhsa_exception_fp_denorm_src 0
		.amdhsa_exception_fp_ieee_div_zero 0
		.amdhsa_exception_fp_ieee_overflow 0
		.amdhsa_exception_fp_ieee_underflow 0
		.amdhsa_exception_fp_ieee_inexact 0
		.amdhsa_exception_int_div_zero 0
	.end_amdhsa_kernel
	.section	.text._ZN7rocprim17ROCPRIM_400000_NS6detail17trampoline_kernelINS0_14default_configENS1_25partition_config_selectorILNS1_17partition_subalgoE6EiNS0_10empty_typeEbEEZZNS1_14partition_implILS5_6ELb0ES3_mN6thrust23THRUST_200600_302600_NS6detail15normal_iteratorINSA_10device_ptrIiEEEEPS6_SG_NS0_5tupleIJNSA_16discard_iteratorINSA_11use_defaultEEES6_EEENSH_IJSG_SG_EEES6_PlJNSB_9not_fun_tINSB_14equal_to_valueIiEEEEEEE10hipError_tPvRmT3_T4_T5_T6_T7_T9_mT8_P12ihipStream_tbDpT10_ENKUlT_T0_E_clISt17integral_constantIbLb1EES1B_EEDaS16_S17_EUlS16_E_NS1_11comp_targetILNS1_3genE9ELNS1_11target_archE1100ELNS1_3gpuE3ELNS1_3repE0EEENS1_30default_config_static_selectorELNS0_4arch9wavefront6targetE0EEEvT1_,"axG",@progbits,_ZN7rocprim17ROCPRIM_400000_NS6detail17trampoline_kernelINS0_14default_configENS1_25partition_config_selectorILNS1_17partition_subalgoE6EiNS0_10empty_typeEbEEZZNS1_14partition_implILS5_6ELb0ES3_mN6thrust23THRUST_200600_302600_NS6detail15normal_iteratorINSA_10device_ptrIiEEEEPS6_SG_NS0_5tupleIJNSA_16discard_iteratorINSA_11use_defaultEEES6_EEENSH_IJSG_SG_EEES6_PlJNSB_9not_fun_tINSB_14equal_to_valueIiEEEEEEE10hipError_tPvRmT3_T4_T5_T6_T7_T9_mT8_P12ihipStream_tbDpT10_ENKUlT_T0_E_clISt17integral_constantIbLb1EES1B_EEDaS16_S17_EUlS16_E_NS1_11comp_targetILNS1_3genE9ELNS1_11target_archE1100ELNS1_3gpuE3ELNS1_3repE0EEENS1_30default_config_static_selectorELNS0_4arch9wavefront6targetE0EEEvT1_,comdat
.Lfunc_end1771:
	.size	_ZN7rocprim17ROCPRIM_400000_NS6detail17trampoline_kernelINS0_14default_configENS1_25partition_config_selectorILNS1_17partition_subalgoE6EiNS0_10empty_typeEbEEZZNS1_14partition_implILS5_6ELb0ES3_mN6thrust23THRUST_200600_302600_NS6detail15normal_iteratorINSA_10device_ptrIiEEEEPS6_SG_NS0_5tupleIJNSA_16discard_iteratorINSA_11use_defaultEEES6_EEENSH_IJSG_SG_EEES6_PlJNSB_9not_fun_tINSB_14equal_to_valueIiEEEEEEE10hipError_tPvRmT3_T4_T5_T6_T7_T9_mT8_P12ihipStream_tbDpT10_ENKUlT_T0_E_clISt17integral_constantIbLb1EES1B_EEDaS16_S17_EUlS16_E_NS1_11comp_targetILNS1_3genE9ELNS1_11target_archE1100ELNS1_3gpuE3ELNS1_3repE0EEENS1_30default_config_static_selectorELNS0_4arch9wavefront6targetE0EEEvT1_, .Lfunc_end1771-_ZN7rocprim17ROCPRIM_400000_NS6detail17trampoline_kernelINS0_14default_configENS1_25partition_config_selectorILNS1_17partition_subalgoE6EiNS0_10empty_typeEbEEZZNS1_14partition_implILS5_6ELb0ES3_mN6thrust23THRUST_200600_302600_NS6detail15normal_iteratorINSA_10device_ptrIiEEEEPS6_SG_NS0_5tupleIJNSA_16discard_iteratorINSA_11use_defaultEEES6_EEENSH_IJSG_SG_EEES6_PlJNSB_9not_fun_tINSB_14equal_to_valueIiEEEEEEE10hipError_tPvRmT3_T4_T5_T6_T7_T9_mT8_P12ihipStream_tbDpT10_ENKUlT_T0_E_clISt17integral_constantIbLb1EES1B_EEDaS16_S17_EUlS16_E_NS1_11comp_targetILNS1_3genE9ELNS1_11target_archE1100ELNS1_3gpuE3ELNS1_3repE0EEENS1_30default_config_static_selectorELNS0_4arch9wavefront6targetE0EEEvT1_
                                        ; -- End function
	.set _ZN7rocprim17ROCPRIM_400000_NS6detail17trampoline_kernelINS0_14default_configENS1_25partition_config_selectorILNS1_17partition_subalgoE6EiNS0_10empty_typeEbEEZZNS1_14partition_implILS5_6ELb0ES3_mN6thrust23THRUST_200600_302600_NS6detail15normal_iteratorINSA_10device_ptrIiEEEEPS6_SG_NS0_5tupleIJNSA_16discard_iteratorINSA_11use_defaultEEES6_EEENSH_IJSG_SG_EEES6_PlJNSB_9not_fun_tINSB_14equal_to_valueIiEEEEEEE10hipError_tPvRmT3_T4_T5_T6_T7_T9_mT8_P12ihipStream_tbDpT10_ENKUlT_T0_E_clISt17integral_constantIbLb1EES1B_EEDaS16_S17_EUlS16_E_NS1_11comp_targetILNS1_3genE9ELNS1_11target_archE1100ELNS1_3gpuE3ELNS1_3repE0EEENS1_30default_config_static_selectorELNS0_4arch9wavefront6targetE0EEEvT1_.num_vgpr, 0
	.set _ZN7rocprim17ROCPRIM_400000_NS6detail17trampoline_kernelINS0_14default_configENS1_25partition_config_selectorILNS1_17partition_subalgoE6EiNS0_10empty_typeEbEEZZNS1_14partition_implILS5_6ELb0ES3_mN6thrust23THRUST_200600_302600_NS6detail15normal_iteratorINSA_10device_ptrIiEEEEPS6_SG_NS0_5tupleIJNSA_16discard_iteratorINSA_11use_defaultEEES6_EEENSH_IJSG_SG_EEES6_PlJNSB_9not_fun_tINSB_14equal_to_valueIiEEEEEEE10hipError_tPvRmT3_T4_T5_T6_T7_T9_mT8_P12ihipStream_tbDpT10_ENKUlT_T0_E_clISt17integral_constantIbLb1EES1B_EEDaS16_S17_EUlS16_E_NS1_11comp_targetILNS1_3genE9ELNS1_11target_archE1100ELNS1_3gpuE3ELNS1_3repE0EEENS1_30default_config_static_selectorELNS0_4arch9wavefront6targetE0EEEvT1_.num_agpr, 0
	.set _ZN7rocprim17ROCPRIM_400000_NS6detail17trampoline_kernelINS0_14default_configENS1_25partition_config_selectorILNS1_17partition_subalgoE6EiNS0_10empty_typeEbEEZZNS1_14partition_implILS5_6ELb0ES3_mN6thrust23THRUST_200600_302600_NS6detail15normal_iteratorINSA_10device_ptrIiEEEEPS6_SG_NS0_5tupleIJNSA_16discard_iteratorINSA_11use_defaultEEES6_EEENSH_IJSG_SG_EEES6_PlJNSB_9not_fun_tINSB_14equal_to_valueIiEEEEEEE10hipError_tPvRmT3_T4_T5_T6_T7_T9_mT8_P12ihipStream_tbDpT10_ENKUlT_T0_E_clISt17integral_constantIbLb1EES1B_EEDaS16_S17_EUlS16_E_NS1_11comp_targetILNS1_3genE9ELNS1_11target_archE1100ELNS1_3gpuE3ELNS1_3repE0EEENS1_30default_config_static_selectorELNS0_4arch9wavefront6targetE0EEEvT1_.numbered_sgpr, 0
	.set _ZN7rocprim17ROCPRIM_400000_NS6detail17trampoline_kernelINS0_14default_configENS1_25partition_config_selectorILNS1_17partition_subalgoE6EiNS0_10empty_typeEbEEZZNS1_14partition_implILS5_6ELb0ES3_mN6thrust23THRUST_200600_302600_NS6detail15normal_iteratorINSA_10device_ptrIiEEEEPS6_SG_NS0_5tupleIJNSA_16discard_iteratorINSA_11use_defaultEEES6_EEENSH_IJSG_SG_EEES6_PlJNSB_9not_fun_tINSB_14equal_to_valueIiEEEEEEE10hipError_tPvRmT3_T4_T5_T6_T7_T9_mT8_P12ihipStream_tbDpT10_ENKUlT_T0_E_clISt17integral_constantIbLb1EES1B_EEDaS16_S17_EUlS16_E_NS1_11comp_targetILNS1_3genE9ELNS1_11target_archE1100ELNS1_3gpuE3ELNS1_3repE0EEENS1_30default_config_static_selectorELNS0_4arch9wavefront6targetE0EEEvT1_.num_named_barrier, 0
	.set _ZN7rocprim17ROCPRIM_400000_NS6detail17trampoline_kernelINS0_14default_configENS1_25partition_config_selectorILNS1_17partition_subalgoE6EiNS0_10empty_typeEbEEZZNS1_14partition_implILS5_6ELb0ES3_mN6thrust23THRUST_200600_302600_NS6detail15normal_iteratorINSA_10device_ptrIiEEEEPS6_SG_NS0_5tupleIJNSA_16discard_iteratorINSA_11use_defaultEEES6_EEENSH_IJSG_SG_EEES6_PlJNSB_9not_fun_tINSB_14equal_to_valueIiEEEEEEE10hipError_tPvRmT3_T4_T5_T6_T7_T9_mT8_P12ihipStream_tbDpT10_ENKUlT_T0_E_clISt17integral_constantIbLb1EES1B_EEDaS16_S17_EUlS16_E_NS1_11comp_targetILNS1_3genE9ELNS1_11target_archE1100ELNS1_3gpuE3ELNS1_3repE0EEENS1_30default_config_static_selectorELNS0_4arch9wavefront6targetE0EEEvT1_.private_seg_size, 0
	.set _ZN7rocprim17ROCPRIM_400000_NS6detail17trampoline_kernelINS0_14default_configENS1_25partition_config_selectorILNS1_17partition_subalgoE6EiNS0_10empty_typeEbEEZZNS1_14partition_implILS5_6ELb0ES3_mN6thrust23THRUST_200600_302600_NS6detail15normal_iteratorINSA_10device_ptrIiEEEEPS6_SG_NS0_5tupleIJNSA_16discard_iteratorINSA_11use_defaultEEES6_EEENSH_IJSG_SG_EEES6_PlJNSB_9not_fun_tINSB_14equal_to_valueIiEEEEEEE10hipError_tPvRmT3_T4_T5_T6_T7_T9_mT8_P12ihipStream_tbDpT10_ENKUlT_T0_E_clISt17integral_constantIbLb1EES1B_EEDaS16_S17_EUlS16_E_NS1_11comp_targetILNS1_3genE9ELNS1_11target_archE1100ELNS1_3gpuE3ELNS1_3repE0EEENS1_30default_config_static_selectorELNS0_4arch9wavefront6targetE0EEEvT1_.uses_vcc, 0
	.set _ZN7rocprim17ROCPRIM_400000_NS6detail17trampoline_kernelINS0_14default_configENS1_25partition_config_selectorILNS1_17partition_subalgoE6EiNS0_10empty_typeEbEEZZNS1_14partition_implILS5_6ELb0ES3_mN6thrust23THRUST_200600_302600_NS6detail15normal_iteratorINSA_10device_ptrIiEEEEPS6_SG_NS0_5tupleIJNSA_16discard_iteratorINSA_11use_defaultEEES6_EEENSH_IJSG_SG_EEES6_PlJNSB_9not_fun_tINSB_14equal_to_valueIiEEEEEEE10hipError_tPvRmT3_T4_T5_T6_T7_T9_mT8_P12ihipStream_tbDpT10_ENKUlT_T0_E_clISt17integral_constantIbLb1EES1B_EEDaS16_S17_EUlS16_E_NS1_11comp_targetILNS1_3genE9ELNS1_11target_archE1100ELNS1_3gpuE3ELNS1_3repE0EEENS1_30default_config_static_selectorELNS0_4arch9wavefront6targetE0EEEvT1_.uses_flat_scratch, 0
	.set _ZN7rocprim17ROCPRIM_400000_NS6detail17trampoline_kernelINS0_14default_configENS1_25partition_config_selectorILNS1_17partition_subalgoE6EiNS0_10empty_typeEbEEZZNS1_14partition_implILS5_6ELb0ES3_mN6thrust23THRUST_200600_302600_NS6detail15normal_iteratorINSA_10device_ptrIiEEEEPS6_SG_NS0_5tupleIJNSA_16discard_iteratorINSA_11use_defaultEEES6_EEENSH_IJSG_SG_EEES6_PlJNSB_9not_fun_tINSB_14equal_to_valueIiEEEEEEE10hipError_tPvRmT3_T4_T5_T6_T7_T9_mT8_P12ihipStream_tbDpT10_ENKUlT_T0_E_clISt17integral_constantIbLb1EES1B_EEDaS16_S17_EUlS16_E_NS1_11comp_targetILNS1_3genE9ELNS1_11target_archE1100ELNS1_3gpuE3ELNS1_3repE0EEENS1_30default_config_static_selectorELNS0_4arch9wavefront6targetE0EEEvT1_.has_dyn_sized_stack, 0
	.set _ZN7rocprim17ROCPRIM_400000_NS6detail17trampoline_kernelINS0_14default_configENS1_25partition_config_selectorILNS1_17partition_subalgoE6EiNS0_10empty_typeEbEEZZNS1_14partition_implILS5_6ELb0ES3_mN6thrust23THRUST_200600_302600_NS6detail15normal_iteratorINSA_10device_ptrIiEEEEPS6_SG_NS0_5tupleIJNSA_16discard_iteratorINSA_11use_defaultEEES6_EEENSH_IJSG_SG_EEES6_PlJNSB_9not_fun_tINSB_14equal_to_valueIiEEEEEEE10hipError_tPvRmT3_T4_T5_T6_T7_T9_mT8_P12ihipStream_tbDpT10_ENKUlT_T0_E_clISt17integral_constantIbLb1EES1B_EEDaS16_S17_EUlS16_E_NS1_11comp_targetILNS1_3genE9ELNS1_11target_archE1100ELNS1_3gpuE3ELNS1_3repE0EEENS1_30default_config_static_selectorELNS0_4arch9wavefront6targetE0EEEvT1_.has_recursion, 0
	.set _ZN7rocprim17ROCPRIM_400000_NS6detail17trampoline_kernelINS0_14default_configENS1_25partition_config_selectorILNS1_17partition_subalgoE6EiNS0_10empty_typeEbEEZZNS1_14partition_implILS5_6ELb0ES3_mN6thrust23THRUST_200600_302600_NS6detail15normal_iteratorINSA_10device_ptrIiEEEEPS6_SG_NS0_5tupleIJNSA_16discard_iteratorINSA_11use_defaultEEES6_EEENSH_IJSG_SG_EEES6_PlJNSB_9not_fun_tINSB_14equal_to_valueIiEEEEEEE10hipError_tPvRmT3_T4_T5_T6_T7_T9_mT8_P12ihipStream_tbDpT10_ENKUlT_T0_E_clISt17integral_constantIbLb1EES1B_EEDaS16_S17_EUlS16_E_NS1_11comp_targetILNS1_3genE9ELNS1_11target_archE1100ELNS1_3gpuE3ELNS1_3repE0EEENS1_30default_config_static_selectorELNS0_4arch9wavefront6targetE0EEEvT1_.has_indirect_call, 0
	.section	.AMDGPU.csdata,"",@progbits
; Kernel info:
; codeLenInByte = 0
; TotalNumSgprs: 0
; NumVgprs: 0
; ScratchSize: 0
; MemoryBound: 0
; FloatMode: 240
; IeeeMode: 1
; LDSByteSize: 0 bytes/workgroup (compile time only)
; SGPRBlocks: 0
; VGPRBlocks: 0
; NumSGPRsForWavesPerEU: 1
; NumVGPRsForWavesPerEU: 1
; Occupancy: 16
; WaveLimiterHint : 0
; COMPUTE_PGM_RSRC2:SCRATCH_EN: 0
; COMPUTE_PGM_RSRC2:USER_SGPR: 2
; COMPUTE_PGM_RSRC2:TRAP_HANDLER: 0
; COMPUTE_PGM_RSRC2:TGID_X_EN: 1
; COMPUTE_PGM_RSRC2:TGID_Y_EN: 0
; COMPUTE_PGM_RSRC2:TGID_Z_EN: 0
; COMPUTE_PGM_RSRC2:TIDIG_COMP_CNT: 0
	.section	.text._ZN7rocprim17ROCPRIM_400000_NS6detail17trampoline_kernelINS0_14default_configENS1_25partition_config_selectorILNS1_17partition_subalgoE6EiNS0_10empty_typeEbEEZZNS1_14partition_implILS5_6ELb0ES3_mN6thrust23THRUST_200600_302600_NS6detail15normal_iteratorINSA_10device_ptrIiEEEEPS6_SG_NS0_5tupleIJNSA_16discard_iteratorINSA_11use_defaultEEES6_EEENSH_IJSG_SG_EEES6_PlJNSB_9not_fun_tINSB_14equal_to_valueIiEEEEEEE10hipError_tPvRmT3_T4_T5_T6_T7_T9_mT8_P12ihipStream_tbDpT10_ENKUlT_T0_E_clISt17integral_constantIbLb1EES1B_EEDaS16_S17_EUlS16_E_NS1_11comp_targetILNS1_3genE8ELNS1_11target_archE1030ELNS1_3gpuE2ELNS1_3repE0EEENS1_30default_config_static_selectorELNS0_4arch9wavefront6targetE0EEEvT1_,"axG",@progbits,_ZN7rocprim17ROCPRIM_400000_NS6detail17trampoline_kernelINS0_14default_configENS1_25partition_config_selectorILNS1_17partition_subalgoE6EiNS0_10empty_typeEbEEZZNS1_14partition_implILS5_6ELb0ES3_mN6thrust23THRUST_200600_302600_NS6detail15normal_iteratorINSA_10device_ptrIiEEEEPS6_SG_NS0_5tupleIJNSA_16discard_iteratorINSA_11use_defaultEEES6_EEENSH_IJSG_SG_EEES6_PlJNSB_9not_fun_tINSB_14equal_to_valueIiEEEEEEE10hipError_tPvRmT3_T4_T5_T6_T7_T9_mT8_P12ihipStream_tbDpT10_ENKUlT_T0_E_clISt17integral_constantIbLb1EES1B_EEDaS16_S17_EUlS16_E_NS1_11comp_targetILNS1_3genE8ELNS1_11target_archE1030ELNS1_3gpuE2ELNS1_3repE0EEENS1_30default_config_static_selectorELNS0_4arch9wavefront6targetE0EEEvT1_,comdat
	.protected	_ZN7rocprim17ROCPRIM_400000_NS6detail17trampoline_kernelINS0_14default_configENS1_25partition_config_selectorILNS1_17partition_subalgoE6EiNS0_10empty_typeEbEEZZNS1_14partition_implILS5_6ELb0ES3_mN6thrust23THRUST_200600_302600_NS6detail15normal_iteratorINSA_10device_ptrIiEEEEPS6_SG_NS0_5tupleIJNSA_16discard_iteratorINSA_11use_defaultEEES6_EEENSH_IJSG_SG_EEES6_PlJNSB_9not_fun_tINSB_14equal_to_valueIiEEEEEEE10hipError_tPvRmT3_T4_T5_T6_T7_T9_mT8_P12ihipStream_tbDpT10_ENKUlT_T0_E_clISt17integral_constantIbLb1EES1B_EEDaS16_S17_EUlS16_E_NS1_11comp_targetILNS1_3genE8ELNS1_11target_archE1030ELNS1_3gpuE2ELNS1_3repE0EEENS1_30default_config_static_selectorELNS0_4arch9wavefront6targetE0EEEvT1_ ; -- Begin function _ZN7rocprim17ROCPRIM_400000_NS6detail17trampoline_kernelINS0_14default_configENS1_25partition_config_selectorILNS1_17partition_subalgoE6EiNS0_10empty_typeEbEEZZNS1_14partition_implILS5_6ELb0ES3_mN6thrust23THRUST_200600_302600_NS6detail15normal_iteratorINSA_10device_ptrIiEEEEPS6_SG_NS0_5tupleIJNSA_16discard_iteratorINSA_11use_defaultEEES6_EEENSH_IJSG_SG_EEES6_PlJNSB_9not_fun_tINSB_14equal_to_valueIiEEEEEEE10hipError_tPvRmT3_T4_T5_T6_T7_T9_mT8_P12ihipStream_tbDpT10_ENKUlT_T0_E_clISt17integral_constantIbLb1EES1B_EEDaS16_S17_EUlS16_E_NS1_11comp_targetILNS1_3genE8ELNS1_11target_archE1030ELNS1_3gpuE2ELNS1_3repE0EEENS1_30default_config_static_selectorELNS0_4arch9wavefront6targetE0EEEvT1_
	.globl	_ZN7rocprim17ROCPRIM_400000_NS6detail17trampoline_kernelINS0_14default_configENS1_25partition_config_selectorILNS1_17partition_subalgoE6EiNS0_10empty_typeEbEEZZNS1_14partition_implILS5_6ELb0ES3_mN6thrust23THRUST_200600_302600_NS6detail15normal_iteratorINSA_10device_ptrIiEEEEPS6_SG_NS0_5tupleIJNSA_16discard_iteratorINSA_11use_defaultEEES6_EEENSH_IJSG_SG_EEES6_PlJNSB_9not_fun_tINSB_14equal_to_valueIiEEEEEEE10hipError_tPvRmT3_T4_T5_T6_T7_T9_mT8_P12ihipStream_tbDpT10_ENKUlT_T0_E_clISt17integral_constantIbLb1EES1B_EEDaS16_S17_EUlS16_E_NS1_11comp_targetILNS1_3genE8ELNS1_11target_archE1030ELNS1_3gpuE2ELNS1_3repE0EEENS1_30default_config_static_selectorELNS0_4arch9wavefront6targetE0EEEvT1_
	.p2align	8
	.type	_ZN7rocprim17ROCPRIM_400000_NS6detail17trampoline_kernelINS0_14default_configENS1_25partition_config_selectorILNS1_17partition_subalgoE6EiNS0_10empty_typeEbEEZZNS1_14partition_implILS5_6ELb0ES3_mN6thrust23THRUST_200600_302600_NS6detail15normal_iteratorINSA_10device_ptrIiEEEEPS6_SG_NS0_5tupleIJNSA_16discard_iteratorINSA_11use_defaultEEES6_EEENSH_IJSG_SG_EEES6_PlJNSB_9not_fun_tINSB_14equal_to_valueIiEEEEEEE10hipError_tPvRmT3_T4_T5_T6_T7_T9_mT8_P12ihipStream_tbDpT10_ENKUlT_T0_E_clISt17integral_constantIbLb1EES1B_EEDaS16_S17_EUlS16_E_NS1_11comp_targetILNS1_3genE8ELNS1_11target_archE1030ELNS1_3gpuE2ELNS1_3repE0EEENS1_30default_config_static_selectorELNS0_4arch9wavefront6targetE0EEEvT1_,@function
_ZN7rocprim17ROCPRIM_400000_NS6detail17trampoline_kernelINS0_14default_configENS1_25partition_config_selectorILNS1_17partition_subalgoE6EiNS0_10empty_typeEbEEZZNS1_14partition_implILS5_6ELb0ES3_mN6thrust23THRUST_200600_302600_NS6detail15normal_iteratorINSA_10device_ptrIiEEEEPS6_SG_NS0_5tupleIJNSA_16discard_iteratorINSA_11use_defaultEEES6_EEENSH_IJSG_SG_EEES6_PlJNSB_9not_fun_tINSB_14equal_to_valueIiEEEEEEE10hipError_tPvRmT3_T4_T5_T6_T7_T9_mT8_P12ihipStream_tbDpT10_ENKUlT_T0_E_clISt17integral_constantIbLb1EES1B_EEDaS16_S17_EUlS16_E_NS1_11comp_targetILNS1_3genE8ELNS1_11target_archE1030ELNS1_3gpuE2ELNS1_3repE0EEENS1_30default_config_static_selectorELNS0_4arch9wavefront6targetE0EEEvT1_: ; @_ZN7rocprim17ROCPRIM_400000_NS6detail17trampoline_kernelINS0_14default_configENS1_25partition_config_selectorILNS1_17partition_subalgoE6EiNS0_10empty_typeEbEEZZNS1_14partition_implILS5_6ELb0ES3_mN6thrust23THRUST_200600_302600_NS6detail15normal_iteratorINSA_10device_ptrIiEEEEPS6_SG_NS0_5tupleIJNSA_16discard_iteratorINSA_11use_defaultEEES6_EEENSH_IJSG_SG_EEES6_PlJNSB_9not_fun_tINSB_14equal_to_valueIiEEEEEEE10hipError_tPvRmT3_T4_T5_T6_T7_T9_mT8_P12ihipStream_tbDpT10_ENKUlT_T0_E_clISt17integral_constantIbLb1EES1B_EEDaS16_S17_EUlS16_E_NS1_11comp_targetILNS1_3genE8ELNS1_11target_archE1030ELNS1_3gpuE2ELNS1_3repE0EEENS1_30default_config_static_selectorELNS0_4arch9wavefront6targetE0EEEvT1_
; %bb.0:
	.section	.rodata,"a",@progbits
	.p2align	6, 0x0
	.amdhsa_kernel _ZN7rocprim17ROCPRIM_400000_NS6detail17trampoline_kernelINS0_14default_configENS1_25partition_config_selectorILNS1_17partition_subalgoE6EiNS0_10empty_typeEbEEZZNS1_14partition_implILS5_6ELb0ES3_mN6thrust23THRUST_200600_302600_NS6detail15normal_iteratorINSA_10device_ptrIiEEEEPS6_SG_NS0_5tupleIJNSA_16discard_iteratorINSA_11use_defaultEEES6_EEENSH_IJSG_SG_EEES6_PlJNSB_9not_fun_tINSB_14equal_to_valueIiEEEEEEE10hipError_tPvRmT3_T4_T5_T6_T7_T9_mT8_P12ihipStream_tbDpT10_ENKUlT_T0_E_clISt17integral_constantIbLb1EES1B_EEDaS16_S17_EUlS16_E_NS1_11comp_targetILNS1_3genE8ELNS1_11target_archE1030ELNS1_3gpuE2ELNS1_3repE0EEENS1_30default_config_static_selectorELNS0_4arch9wavefront6targetE0EEEvT1_
		.amdhsa_group_segment_fixed_size 0
		.amdhsa_private_segment_fixed_size 0
		.amdhsa_kernarg_size 136
		.amdhsa_user_sgpr_count 2
		.amdhsa_user_sgpr_dispatch_ptr 0
		.amdhsa_user_sgpr_queue_ptr 0
		.amdhsa_user_sgpr_kernarg_segment_ptr 1
		.amdhsa_user_sgpr_dispatch_id 0
		.amdhsa_user_sgpr_private_segment_size 0
		.amdhsa_wavefront_size32 1
		.amdhsa_uses_dynamic_stack 0
		.amdhsa_enable_private_segment 0
		.amdhsa_system_sgpr_workgroup_id_x 1
		.amdhsa_system_sgpr_workgroup_id_y 0
		.amdhsa_system_sgpr_workgroup_id_z 0
		.amdhsa_system_sgpr_workgroup_info 0
		.amdhsa_system_vgpr_workitem_id 0
		.amdhsa_next_free_vgpr 1
		.amdhsa_next_free_sgpr 1
		.amdhsa_reserve_vcc 0
		.amdhsa_float_round_mode_32 0
		.amdhsa_float_round_mode_16_64 0
		.amdhsa_float_denorm_mode_32 3
		.amdhsa_float_denorm_mode_16_64 3
		.amdhsa_fp16_overflow 0
		.amdhsa_workgroup_processor_mode 1
		.amdhsa_memory_ordered 1
		.amdhsa_forward_progress 1
		.amdhsa_inst_pref_size 0
		.amdhsa_round_robin_scheduling 0
		.amdhsa_exception_fp_ieee_invalid_op 0
		.amdhsa_exception_fp_denorm_src 0
		.amdhsa_exception_fp_ieee_div_zero 0
		.amdhsa_exception_fp_ieee_overflow 0
		.amdhsa_exception_fp_ieee_underflow 0
		.amdhsa_exception_fp_ieee_inexact 0
		.amdhsa_exception_int_div_zero 0
	.end_amdhsa_kernel
	.section	.text._ZN7rocprim17ROCPRIM_400000_NS6detail17trampoline_kernelINS0_14default_configENS1_25partition_config_selectorILNS1_17partition_subalgoE6EiNS0_10empty_typeEbEEZZNS1_14partition_implILS5_6ELb0ES3_mN6thrust23THRUST_200600_302600_NS6detail15normal_iteratorINSA_10device_ptrIiEEEEPS6_SG_NS0_5tupleIJNSA_16discard_iteratorINSA_11use_defaultEEES6_EEENSH_IJSG_SG_EEES6_PlJNSB_9not_fun_tINSB_14equal_to_valueIiEEEEEEE10hipError_tPvRmT3_T4_T5_T6_T7_T9_mT8_P12ihipStream_tbDpT10_ENKUlT_T0_E_clISt17integral_constantIbLb1EES1B_EEDaS16_S17_EUlS16_E_NS1_11comp_targetILNS1_3genE8ELNS1_11target_archE1030ELNS1_3gpuE2ELNS1_3repE0EEENS1_30default_config_static_selectorELNS0_4arch9wavefront6targetE0EEEvT1_,"axG",@progbits,_ZN7rocprim17ROCPRIM_400000_NS6detail17trampoline_kernelINS0_14default_configENS1_25partition_config_selectorILNS1_17partition_subalgoE6EiNS0_10empty_typeEbEEZZNS1_14partition_implILS5_6ELb0ES3_mN6thrust23THRUST_200600_302600_NS6detail15normal_iteratorINSA_10device_ptrIiEEEEPS6_SG_NS0_5tupleIJNSA_16discard_iteratorINSA_11use_defaultEEES6_EEENSH_IJSG_SG_EEES6_PlJNSB_9not_fun_tINSB_14equal_to_valueIiEEEEEEE10hipError_tPvRmT3_T4_T5_T6_T7_T9_mT8_P12ihipStream_tbDpT10_ENKUlT_T0_E_clISt17integral_constantIbLb1EES1B_EEDaS16_S17_EUlS16_E_NS1_11comp_targetILNS1_3genE8ELNS1_11target_archE1030ELNS1_3gpuE2ELNS1_3repE0EEENS1_30default_config_static_selectorELNS0_4arch9wavefront6targetE0EEEvT1_,comdat
.Lfunc_end1772:
	.size	_ZN7rocprim17ROCPRIM_400000_NS6detail17trampoline_kernelINS0_14default_configENS1_25partition_config_selectorILNS1_17partition_subalgoE6EiNS0_10empty_typeEbEEZZNS1_14partition_implILS5_6ELb0ES3_mN6thrust23THRUST_200600_302600_NS6detail15normal_iteratorINSA_10device_ptrIiEEEEPS6_SG_NS0_5tupleIJNSA_16discard_iteratorINSA_11use_defaultEEES6_EEENSH_IJSG_SG_EEES6_PlJNSB_9not_fun_tINSB_14equal_to_valueIiEEEEEEE10hipError_tPvRmT3_T4_T5_T6_T7_T9_mT8_P12ihipStream_tbDpT10_ENKUlT_T0_E_clISt17integral_constantIbLb1EES1B_EEDaS16_S17_EUlS16_E_NS1_11comp_targetILNS1_3genE8ELNS1_11target_archE1030ELNS1_3gpuE2ELNS1_3repE0EEENS1_30default_config_static_selectorELNS0_4arch9wavefront6targetE0EEEvT1_, .Lfunc_end1772-_ZN7rocprim17ROCPRIM_400000_NS6detail17trampoline_kernelINS0_14default_configENS1_25partition_config_selectorILNS1_17partition_subalgoE6EiNS0_10empty_typeEbEEZZNS1_14partition_implILS5_6ELb0ES3_mN6thrust23THRUST_200600_302600_NS6detail15normal_iteratorINSA_10device_ptrIiEEEEPS6_SG_NS0_5tupleIJNSA_16discard_iteratorINSA_11use_defaultEEES6_EEENSH_IJSG_SG_EEES6_PlJNSB_9not_fun_tINSB_14equal_to_valueIiEEEEEEE10hipError_tPvRmT3_T4_T5_T6_T7_T9_mT8_P12ihipStream_tbDpT10_ENKUlT_T0_E_clISt17integral_constantIbLb1EES1B_EEDaS16_S17_EUlS16_E_NS1_11comp_targetILNS1_3genE8ELNS1_11target_archE1030ELNS1_3gpuE2ELNS1_3repE0EEENS1_30default_config_static_selectorELNS0_4arch9wavefront6targetE0EEEvT1_
                                        ; -- End function
	.set _ZN7rocprim17ROCPRIM_400000_NS6detail17trampoline_kernelINS0_14default_configENS1_25partition_config_selectorILNS1_17partition_subalgoE6EiNS0_10empty_typeEbEEZZNS1_14partition_implILS5_6ELb0ES3_mN6thrust23THRUST_200600_302600_NS6detail15normal_iteratorINSA_10device_ptrIiEEEEPS6_SG_NS0_5tupleIJNSA_16discard_iteratorINSA_11use_defaultEEES6_EEENSH_IJSG_SG_EEES6_PlJNSB_9not_fun_tINSB_14equal_to_valueIiEEEEEEE10hipError_tPvRmT3_T4_T5_T6_T7_T9_mT8_P12ihipStream_tbDpT10_ENKUlT_T0_E_clISt17integral_constantIbLb1EES1B_EEDaS16_S17_EUlS16_E_NS1_11comp_targetILNS1_3genE8ELNS1_11target_archE1030ELNS1_3gpuE2ELNS1_3repE0EEENS1_30default_config_static_selectorELNS0_4arch9wavefront6targetE0EEEvT1_.num_vgpr, 0
	.set _ZN7rocprim17ROCPRIM_400000_NS6detail17trampoline_kernelINS0_14default_configENS1_25partition_config_selectorILNS1_17partition_subalgoE6EiNS0_10empty_typeEbEEZZNS1_14partition_implILS5_6ELb0ES3_mN6thrust23THRUST_200600_302600_NS6detail15normal_iteratorINSA_10device_ptrIiEEEEPS6_SG_NS0_5tupleIJNSA_16discard_iteratorINSA_11use_defaultEEES6_EEENSH_IJSG_SG_EEES6_PlJNSB_9not_fun_tINSB_14equal_to_valueIiEEEEEEE10hipError_tPvRmT3_T4_T5_T6_T7_T9_mT8_P12ihipStream_tbDpT10_ENKUlT_T0_E_clISt17integral_constantIbLb1EES1B_EEDaS16_S17_EUlS16_E_NS1_11comp_targetILNS1_3genE8ELNS1_11target_archE1030ELNS1_3gpuE2ELNS1_3repE0EEENS1_30default_config_static_selectorELNS0_4arch9wavefront6targetE0EEEvT1_.num_agpr, 0
	.set _ZN7rocprim17ROCPRIM_400000_NS6detail17trampoline_kernelINS0_14default_configENS1_25partition_config_selectorILNS1_17partition_subalgoE6EiNS0_10empty_typeEbEEZZNS1_14partition_implILS5_6ELb0ES3_mN6thrust23THRUST_200600_302600_NS6detail15normal_iteratorINSA_10device_ptrIiEEEEPS6_SG_NS0_5tupleIJNSA_16discard_iteratorINSA_11use_defaultEEES6_EEENSH_IJSG_SG_EEES6_PlJNSB_9not_fun_tINSB_14equal_to_valueIiEEEEEEE10hipError_tPvRmT3_T4_T5_T6_T7_T9_mT8_P12ihipStream_tbDpT10_ENKUlT_T0_E_clISt17integral_constantIbLb1EES1B_EEDaS16_S17_EUlS16_E_NS1_11comp_targetILNS1_3genE8ELNS1_11target_archE1030ELNS1_3gpuE2ELNS1_3repE0EEENS1_30default_config_static_selectorELNS0_4arch9wavefront6targetE0EEEvT1_.numbered_sgpr, 0
	.set _ZN7rocprim17ROCPRIM_400000_NS6detail17trampoline_kernelINS0_14default_configENS1_25partition_config_selectorILNS1_17partition_subalgoE6EiNS0_10empty_typeEbEEZZNS1_14partition_implILS5_6ELb0ES3_mN6thrust23THRUST_200600_302600_NS6detail15normal_iteratorINSA_10device_ptrIiEEEEPS6_SG_NS0_5tupleIJNSA_16discard_iteratorINSA_11use_defaultEEES6_EEENSH_IJSG_SG_EEES6_PlJNSB_9not_fun_tINSB_14equal_to_valueIiEEEEEEE10hipError_tPvRmT3_T4_T5_T6_T7_T9_mT8_P12ihipStream_tbDpT10_ENKUlT_T0_E_clISt17integral_constantIbLb1EES1B_EEDaS16_S17_EUlS16_E_NS1_11comp_targetILNS1_3genE8ELNS1_11target_archE1030ELNS1_3gpuE2ELNS1_3repE0EEENS1_30default_config_static_selectorELNS0_4arch9wavefront6targetE0EEEvT1_.num_named_barrier, 0
	.set _ZN7rocprim17ROCPRIM_400000_NS6detail17trampoline_kernelINS0_14default_configENS1_25partition_config_selectorILNS1_17partition_subalgoE6EiNS0_10empty_typeEbEEZZNS1_14partition_implILS5_6ELb0ES3_mN6thrust23THRUST_200600_302600_NS6detail15normal_iteratorINSA_10device_ptrIiEEEEPS6_SG_NS0_5tupleIJNSA_16discard_iteratorINSA_11use_defaultEEES6_EEENSH_IJSG_SG_EEES6_PlJNSB_9not_fun_tINSB_14equal_to_valueIiEEEEEEE10hipError_tPvRmT3_T4_T5_T6_T7_T9_mT8_P12ihipStream_tbDpT10_ENKUlT_T0_E_clISt17integral_constantIbLb1EES1B_EEDaS16_S17_EUlS16_E_NS1_11comp_targetILNS1_3genE8ELNS1_11target_archE1030ELNS1_3gpuE2ELNS1_3repE0EEENS1_30default_config_static_selectorELNS0_4arch9wavefront6targetE0EEEvT1_.private_seg_size, 0
	.set _ZN7rocprim17ROCPRIM_400000_NS6detail17trampoline_kernelINS0_14default_configENS1_25partition_config_selectorILNS1_17partition_subalgoE6EiNS0_10empty_typeEbEEZZNS1_14partition_implILS5_6ELb0ES3_mN6thrust23THRUST_200600_302600_NS6detail15normal_iteratorINSA_10device_ptrIiEEEEPS6_SG_NS0_5tupleIJNSA_16discard_iteratorINSA_11use_defaultEEES6_EEENSH_IJSG_SG_EEES6_PlJNSB_9not_fun_tINSB_14equal_to_valueIiEEEEEEE10hipError_tPvRmT3_T4_T5_T6_T7_T9_mT8_P12ihipStream_tbDpT10_ENKUlT_T0_E_clISt17integral_constantIbLb1EES1B_EEDaS16_S17_EUlS16_E_NS1_11comp_targetILNS1_3genE8ELNS1_11target_archE1030ELNS1_3gpuE2ELNS1_3repE0EEENS1_30default_config_static_selectorELNS0_4arch9wavefront6targetE0EEEvT1_.uses_vcc, 0
	.set _ZN7rocprim17ROCPRIM_400000_NS6detail17trampoline_kernelINS0_14default_configENS1_25partition_config_selectorILNS1_17partition_subalgoE6EiNS0_10empty_typeEbEEZZNS1_14partition_implILS5_6ELb0ES3_mN6thrust23THRUST_200600_302600_NS6detail15normal_iteratorINSA_10device_ptrIiEEEEPS6_SG_NS0_5tupleIJNSA_16discard_iteratorINSA_11use_defaultEEES6_EEENSH_IJSG_SG_EEES6_PlJNSB_9not_fun_tINSB_14equal_to_valueIiEEEEEEE10hipError_tPvRmT3_T4_T5_T6_T7_T9_mT8_P12ihipStream_tbDpT10_ENKUlT_T0_E_clISt17integral_constantIbLb1EES1B_EEDaS16_S17_EUlS16_E_NS1_11comp_targetILNS1_3genE8ELNS1_11target_archE1030ELNS1_3gpuE2ELNS1_3repE0EEENS1_30default_config_static_selectorELNS0_4arch9wavefront6targetE0EEEvT1_.uses_flat_scratch, 0
	.set _ZN7rocprim17ROCPRIM_400000_NS6detail17trampoline_kernelINS0_14default_configENS1_25partition_config_selectorILNS1_17partition_subalgoE6EiNS0_10empty_typeEbEEZZNS1_14partition_implILS5_6ELb0ES3_mN6thrust23THRUST_200600_302600_NS6detail15normal_iteratorINSA_10device_ptrIiEEEEPS6_SG_NS0_5tupleIJNSA_16discard_iteratorINSA_11use_defaultEEES6_EEENSH_IJSG_SG_EEES6_PlJNSB_9not_fun_tINSB_14equal_to_valueIiEEEEEEE10hipError_tPvRmT3_T4_T5_T6_T7_T9_mT8_P12ihipStream_tbDpT10_ENKUlT_T0_E_clISt17integral_constantIbLb1EES1B_EEDaS16_S17_EUlS16_E_NS1_11comp_targetILNS1_3genE8ELNS1_11target_archE1030ELNS1_3gpuE2ELNS1_3repE0EEENS1_30default_config_static_selectorELNS0_4arch9wavefront6targetE0EEEvT1_.has_dyn_sized_stack, 0
	.set _ZN7rocprim17ROCPRIM_400000_NS6detail17trampoline_kernelINS0_14default_configENS1_25partition_config_selectorILNS1_17partition_subalgoE6EiNS0_10empty_typeEbEEZZNS1_14partition_implILS5_6ELb0ES3_mN6thrust23THRUST_200600_302600_NS6detail15normal_iteratorINSA_10device_ptrIiEEEEPS6_SG_NS0_5tupleIJNSA_16discard_iteratorINSA_11use_defaultEEES6_EEENSH_IJSG_SG_EEES6_PlJNSB_9not_fun_tINSB_14equal_to_valueIiEEEEEEE10hipError_tPvRmT3_T4_T5_T6_T7_T9_mT8_P12ihipStream_tbDpT10_ENKUlT_T0_E_clISt17integral_constantIbLb1EES1B_EEDaS16_S17_EUlS16_E_NS1_11comp_targetILNS1_3genE8ELNS1_11target_archE1030ELNS1_3gpuE2ELNS1_3repE0EEENS1_30default_config_static_selectorELNS0_4arch9wavefront6targetE0EEEvT1_.has_recursion, 0
	.set _ZN7rocprim17ROCPRIM_400000_NS6detail17trampoline_kernelINS0_14default_configENS1_25partition_config_selectorILNS1_17partition_subalgoE6EiNS0_10empty_typeEbEEZZNS1_14partition_implILS5_6ELb0ES3_mN6thrust23THRUST_200600_302600_NS6detail15normal_iteratorINSA_10device_ptrIiEEEEPS6_SG_NS0_5tupleIJNSA_16discard_iteratorINSA_11use_defaultEEES6_EEENSH_IJSG_SG_EEES6_PlJNSB_9not_fun_tINSB_14equal_to_valueIiEEEEEEE10hipError_tPvRmT3_T4_T5_T6_T7_T9_mT8_P12ihipStream_tbDpT10_ENKUlT_T0_E_clISt17integral_constantIbLb1EES1B_EEDaS16_S17_EUlS16_E_NS1_11comp_targetILNS1_3genE8ELNS1_11target_archE1030ELNS1_3gpuE2ELNS1_3repE0EEENS1_30default_config_static_selectorELNS0_4arch9wavefront6targetE0EEEvT1_.has_indirect_call, 0
	.section	.AMDGPU.csdata,"",@progbits
; Kernel info:
; codeLenInByte = 0
; TotalNumSgprs: 0
; NumVgprs: 0
; ScratchSize: 0
; MemoryBound: 0
; FloatMode: 240
; IeeeMode: 1
; LDSByteSize: 0 bytes/workgroup (compile time only)
; SGPRBlocks: 0
; VGPRBlocks: 0
; NumSGPRsForWavesPerEU: 1
; NumVGPRsForWavesPerEU: 1
; Occupancy: 16
; WaveLimiterHint : 0
; COMPUTE_PGM_RSRC2:SCRATCH_EN: 0
; COMPUTE_PGM_RSRC2:USER_SGPR: 2
; COMPUTE_PGM_RSRC2:TRAP_HANDLER: 0
; COMPUTE_PGM_RSRC2:TGID_X_EN: 1
; COMPUTE_PGM_RSRC2:TGID_Y_EN: 0
; COMPUTE_PGM_RSRC2:TGID_Z_EN: 0
; COMPUTE_PGM_RSRC2:TIDIG_COMP_CNT: 0
	.section	.text._ZN7rocprim17ROCPRIM_400000_NS6detail17trampoline_kernelINS0_14default_configENS1_25partition_config_selectorILNS1_17partition_subalgoE6EiNS0_10empty_typeEbEEZZNS1_14partition_implILS5_6ELb0ES3_mN6thrust23THRUST_200600_302600_NS6detail15normal_iteratorINSA_10device_ptrIiEEEEPS6_SG_NS0_5tupleIJNSA_16discard_iteratorINSA_11use_defaultEEES6_EEENSH_IJSG_SG_EEES6_PlJNSB_9not_fun_tINSB_14equal_to_valueIiEEEEEEE10hipError_tPvRmT3_T4_T5_T6_T7_T9_mT8_P12ihipStream_tbDpT10_ENKUlT_T0_E_clISt17integral_constantIbLb1EES1A_IbLb0EEEEDaS16_S17_EUlS16_E_NS1_11comp_targetILNS1_3genE0ELNS1_11target_archE4294967295ELNS1_3gpuE0ELNS1_3repE0EEENS1_30default_config_static_selectorELNS0_4arch9wavefront6targetE0EEEvT1_,"axG",@progbits,_ZN7rocprim17ROCPRIM_400000_NS6detail17trampoline_kernelINS0_14default_configENS1_25partition_config_selectorILNS1_17partition_subalgoE6EiNS0_10empty_typeEbEEZZNS1_14partition_implILS5_6ELb0ES3_mN6thrust23THRUST_200600_302600_NS6detail15normal_iteratorINSA_10device_ptrIiEEEEPS6_SG_NS0_5tupleIJNSA_16discard_iteratorINSA_11use_defaultEEES6_EEENSH_IJSG_SG_EEES6_PlJNSB_9not_fun_tINSB_14equal_to_valueIiEEEEEEE10hipError_tPvRmT3_T4_T5_T6_T7_T9_mT8_P12ihipStream_tbDpT10_ENKUlT_T0_E_clISt17integral_constantIbLb1EES1A_IbLb0EEEEDaS16_S17_EUlS16_E_NS1_11comp_targetILNS1_3genE0ELNS1_11target_archE4294967295ELNS1_3gpuE0ELNS1_3repE0EEENS1_30default_config_static_selectorELNS0_4arch9wavefront6targetE0EEEvT1_,comdat
	.protected	_ZN7rocprim17ROCPRIM_400000_NS6detail17trampoline_kernelINS0_14default_configENS1_25partition_config_selectorILNS1_17partition_subalgoE6EiNS0_10empty_typeEbEEZZNS1_14partition_implILS5_6ELb0ES3_mN6thrust23THRUST_200600_302600_NS6detail15normal_iteratorINSA_10device_ptrIiEEEEPS6_SG_NS0_5tupleIJNSA_16discard_iteratorINSA_11use_defaultEEES6_EEENSH_IJSG_SG_EEES6_PlJNSB_9not_fun_tINSB_14equal_to_valueIiEEEEEEE10hipError_tPvRmT3_T4_T5_T6_T7_T9_mT8_P12ihipStream_tbDpT10_ENKUlT_T0_E_clISt17integral_constantIbLb1EES1A_IbLb0EEEEDaS16_S17_EUlS16_E_NS1_11comp_targetILNS1_3genE0ELNS1_11target_archE4294967295ELNS1_3gpuE0ELNS1_3repE0EEENS1_30default_config_static_selectorELNS0_4arch9wavefront6targetE0EEEvT1_ ; -- Begin function _ZN7rocprim17ROCPRIM_400000_NS6detail17trampoline_kernelINS0_14default_configENS1_25partition_config_selectorILNS1_17partition_subalgoE6EiNS0_10empty_typeEbEEZZNS1_14partition_implILS5_6ELb0ES3_mN6thrust23THRUST_200600_302600_NS6detail15normal_iteratorINSA_10device_ptrIiEEEEPS6_SG_NS0_5tupleIJNSA_16discard_iteratorINSA_11use_defaultEEES6_EEENSH_IJSG_SG_EEES6_PlJNSB_9not_fun_tINSB_14equal_to_valueIiEEEEEEE10hipError_tPvRmT3_T4_T5_T6_T7_T9_mT8_P12ihipStream_tbDpT10_ENKUlT_T0_E_clISt17integral_constantIbLb1EES1A_IbLb0EEEEDaS16_S17_EUlS16_E_NS1_11comp_targetILNS1_3genE0ELNS1_11target_archE4294967295ELNS1_3gpuE0ELNS1_3repE0EEENS1_30default_config_static_selectorELNS0_4arch9wavefront6targetE0EEEvT1_
	.globl	_ZN7rocprim17ROCPRIM_400000_NS6detail17trampoline_kernelINS0_14default_configENS1_25partition_config_selectorILNS1_17partition_subalgoE6EiNS0_10empty_typeEbEEZZNS1_14partition_implILS5_6ELb0ES3_mN6thrust23THRUST_200600_302600_NS6detail15normal_iteratorINSA_10device_ptrIiEEEEPS6_SG_NS0_5tupleIJNSA_16discard_iteratorINSA_11use_defaultEEES6_EEENSH_IJSG_SG_EEES6_PlJNSB_9not_fun_tINSB_14equal_to_valueIiEEEEEEE10hipError_tPvRmT3_T4_T5_T6_T7_T9_mT8_P12ihipStream_tbDpT10_ENKUlT_T0_E_clISt17integral_constantIbLb1EES1A_IbLb0EEEEDaS16_S17_EUlS16_E_NS1_11comp_targetILNS1_3genE0ELNS1_11target_archE4294967295ELNS1_3gpuE0ELNS1_3repE0EEENS1_30default_config_static_selectorELNS0_4arch9wavefront6targetE0EEEvT1_
	.p2align	8
	.type	_ZN7rocprim17ROCPRIM_400000_NS6detail17trampoline_kernelINS0_14default_configENS1_25partition_config_selectorILNS1_17partition_subalgoE6EiNS0_10empty_typeEbEEZZNS1_14partition_implILS5_6ELb0ES3_mN6thrust23THRUST_200600_302600_NS6detail15normal_iteratorINSA_10device_ptrIiEEEEPS6_SG_NS0_5tupleIJNSA_16discard_iteratorINSA_11use_defaultEEES6_EEENSH_IJSG_SG_EEES6_PlJNSB_9not_fun_tINSB_14equal_to_valueIiEEEEEEE10hipError_tPvRmT3_T4_T5_T6_T7_T9_mT8_P12ihipStream_tbDpT10_ENKUlT_T0_E_clISt17integral_constantIbLb1EES1A_IbLb0EEEEDaS16_S17_EUlS16_E_NS1_11comp_targetILNS1_3genE0ELNS1_11target_archE4294967295ELNS1_3gpuE0ELNS1_3repE0EEENS1_30default_config_static_selectorELNS0_4arch9wavefront6targetE0EEEvT1_,@function
_ZN7rocprim17ROCPRIM_400000_NS6detail17trampoline_kernelINS0_14default_configENS1_25partition_config_selectorILNS1_17partition_subalgoE6EiNS0_10empty_typeEbEEZZNS1_14partition_implILS5_6ELb0ES3_mN6thrust23THRUST_200600_302600_NS6detail15normal_iteratorINSA_10device_ptrIiEEEEPS6_SG_NS0_5tupleIJNSA_16discard_iteratorINSA_11use_defaultEEES6_EEENSH_IJSG_SG_EEES6_PlJNSB_9not_fun_tINSB_14equal_to_valueIiEEEEEEE10hipError_tPvRmT3_T4_T5_T6_T7_T9_mT8_P12ihipStream_tbDpT10_ENKUlT_T0_E_clISt17integral_constantIbLb1EES1A_IbLb0EEEEDaS16_S17_EUlS16_E_NS1_11comp_targetILNS1_3genE0ELNS1_11target_archE4294967295ELNS1_3gpuE0ELNS1_3repE0EEENS1_30default_config_static_selectorELNS0_4arch9wavefront6targetE0EEEvT1_: ; @_ZN7rocprim17ROCPRIM_400000_NS6detail17trampoline_kernelINS0_14default_configENS1_25partition_config_selectorILNS1_17partition_subalgoE6EiNS0_10empty_typeEbEEZZNS1_14partition_implILS5_6ELb0ES3_mN6thrust23THRUST_200600_302600_NS6detail15normal_iteratorINSA_10device_ptrIiEEEEPS6_SG_NS0_5tupleIJNSA_16discard_iteratorINSA_11use_defaultEEES6_EEENSH_IJSG_SG_EEES6_PlJNSB_9not_fun_tINSB_14equal_to_valueIiEEEEEEE10hipError_tPvRmT3_T4_T5_T6_T7_T9_mT8_P12ihipStream_tbDpT10_ENKUlT_T0_E_clISt17integral_constantIbLb1EES1A_IbLb0EEEEDaS16_S17_EUlS16_E_NS1_11comp_targetILNS1_3genE0ELNS1_11target_archE4294967295ELNS1_3gpuE0ELNS1_3repE0EEENS1_30default_config_static_selectorELNS0_4arch9wavefront6targetE0EEEvT1_
; %bb.0:
	.section	.rodata,"a",@progbits
	.p2align	6, 0x0
	.amdhsa_kernel _ZN7rocprim17ROCPRIM_400000_NS6detail17trampoline_kernelINS0_14default_configENS1_25partition_config_selectorILNS1_17partition_subalgoE6EiNS0_10empty_typeEbEEZZNS1_14partition_implILS5_6ELb0ES3_mN6thrust23THRUST_200600_302600_NS6detail15normal_iteratorINSA_10device_ptrIiEEEEPS6_SG_NS0_5tupleIJNSA_16discard_iteratorINSA_11use_defaultEEES6_EEENSH_IJSG_SG_EEES6_PlJNSB_9not_fun_tINSB_14equal_to_valueIiEEEEEEE10hipError_tPvRmT3_T4_T5_T6_T7_T9_mT8_P12ihipStream_tbDpT10_ENKUlT_T0_E_clISt17integral_constantIbLb1EES1A_IbLb0EEEEDaS16_S17_EUlS16_E_NS1_11comp_targetILNS1_3genE0ELNS1_11target_archE4294967295ELNS1_3gpuE0ELNS1_3repE0EEENS1_30default_config_static_selectorELNS0_4arch9wavefront6targetE0EEEvT1_
		.amdhsa_group_segment_fixed_size 0
		.amdhsa_private_segment_fixed_size 0
		.amdhsa_kernarg_size 128
		.amdhsa_user_sgpr_count 2
		.amdhsa_user_sgpr_dispatch_ptr 0
		.amdhsa_user_sgpr_queue_ptr 0
		.amdhsa_user_sgpr_kernarg_segment_ptr 1
		.amdhsa_user_sgpr_dispatch_id 0
		.amdhsa_user_sgpr_private_segment_size 0
		.amdhsa_wavefront_size32 1
		.amdhsa_uses_dynamic_stack 0
		.amdhsa_enable_private_segment 0
		.amdhsa_system_sgpr_workgroup_id_x 1
		.amdhsa_system_sgpr_workgroup_id_y 0
		.amdhsa_system_sgpr_workgroup_id_z 0
		.amdhsa_system_sgpr_workgroup_info 0
		.amdhsa_system_vgpr_workitem_id 0
		.amdhsa_next_free_vgpr 1
		.amdhsa_next_free_sgpr 1
		.amdhsa_reserve_vcc 0
		.amdhsa_float_round_mode_32 0
		.amdhsa_float_round_mode_16_64 0
		.amdhsa_float_denorm_mode_32 3
		.amdhsa_float_denorm_mode_16_64 3
		.amdhsa_fp16_overflow 0
		.amdhsa_workgroup_processor_mode 1
		.amdhsa_memory_ordered 1
		.amdhsa_forward_progress 1
		.amdhsa_inst_pref_size 0
		.amdhsa_round_robin_scheduling 0
		.amdhsa_exception_fp_ieee_invalid_op 0
		.amdhsa_exception_fp_denorm_src 0
		.amdhsa_exception_fp_ieee_div_zero 0
		.amdhsa_exception_fp_ieee_overflow 0
		.amdhsa_exception_fp_ieee_underflow 0
		.amdhsa_exception_fp_ieee_inexact 0
		.amdhsa_exception_int_div_zero 0
	.end_amdhsa_kernel
	.section	.text._ZN7rocprim17ROCPRIM_400000_NS6detail17trampoline_kernelINS0_14default_configENS1_25partition_config_selectorILNS1_17partition_subalgoE6EiNS0_10empty_typeEbEEZZNS1_14partition_implILS5_6ELb0ES3_mN6thrust23THRUST_200600_302600_NS6detail15normal_iteratorINSA_10device_ptrIiEEEEPS6_SG_NS0_5tupleIJNSA_16discard_iteratorINSA_11use_defaultEEES6_EEENSH_IJSG_SG_EEES6_PlJNSB_9not_fun_tINSB_14equal_to_valueIiEEEEEEE10hipError_tPvRmT3_T4_T5_T6_T7_T9_mT8_P12ihipStream_tbDpT10_ENKUlT_T0_E_clISt17integral_constantIbLb1EES1A_IbLb0EEEEDaS16_S17_EUlS16_E_NS1_11comp_targetILNS1_3genE0ELNS1_11target_archE4294967295ELNS1_3gpuE0ELNS1_3repE0EEENS1_30default_config_static_selectorELNS0_4arch9wavefront6targetE0EEEvT1_,"axG",@progbits,_ZN7rocprim17ROCPRIM_400000_NS6detail17trampoline_kernelINS0_14default_configENS1_25partition_config_selectorILNS1_17partition_subalgoE6EiNS0_10empty_typeEbEEZZNS1_14partition_implILS5_6ELb0ES3_mN6thrust23THRUST_200600_302600_NS6detail15normal_iteratorINSA_10device_ptrIiEEEEPS6_SG_NS0_5tupleIJNSA_16discard_iteratorINSA_11use_defaultEEES6_EEENSH_IJSG_SG_EEES6_PlJNSB_9not_fun_tINSB_14equal_to_valueIiEEEEEEE10hipError_tPvRmT3_T4_T5_T6_T7_T9_mT8_P12ihipStream_tbDpT10_ENKUlT_T0_E_clISt17integral_constantIbLb1EES1A_IbLb0EEEEDaS16_S17_EUlS16_E_NS1_11comp_targetILNS1_3genE0ELNS1_11target_archE4294967295ELNS1_3gpuE0ELNS1_3repE0EEENS1_30default_config_static_selectorELNS0_4arch9wavefront6targetE0EEEvT1_,comdat
.Lfunc_end1773:
	.size	_ZN7rocprim17ROCPRIM_400000_NS6detail17trampoline_kernelINS0_14default_configENS1_25partition_config_selectorILNS1_17partition_subalgoE6EiNS0_10empty_typeEbEEZZNS1_14partition_implILS5_6ELb0ES3_mN6thrust23THRUST_200600_302600_NS6detail15normal_iteratorINSA_10device_ptrIiEEEEPS6_SG_NS0_5tupleIJNSA_16discard_iteratorINSA_11use_defaultEEES6_EEENSH_IJSG_SG_EEES6_PlJNSB_9not_fun_tINSB_14equal_to_valueIiEEEEEEE10hipError_tPvRmT3_T4_T5_T6_T7_T9_mT8_P12ihipStream_tbDpT10_ENKUlT_T0_E_clISt17integral_constantIbLb1EES1A_IbLb0EEEEDaS16_S17_EUlS16_E_NS1_11comp_targetILNS1_3genE0ELNS1_11target_archE4294967295ELNS1_3gpuE0ELNS1_3repE0EEENS1_30default_config_static_selectorELNS0_4arch9wavefront6targetE0EEEvT1_, .Lfunc_end1773-_ZN7rocprim17ROCPRIM_400000_NS6detail17trampoline_kernelINS0_14default_configENS1_25partition_config_selectorILNS1_17partition_subalgoE6EiNS0_10empty_typeEbEEZZNS1_14partition_implILS5_6ELb0ES3_mN6thrust23THRUST_200600_302600_NS6detail15normal_iteratorINSA_10device_ptrIiEEEEPS6_SG_NS0_5tupleIJNSA_16discard_iteratorINSA_11use_defaultEEES6_EEENSH_IJSG_SG_EEES6_PlJNSB_9not_fun_tINSB_14equal_to_valueIiEEEEEEE10hipError_tPvRmT3_T4_T5_T6_T7_T9_mT8_P12ihipStream_tbDpT10_ENKUlT_T0_E_clISt17integral_constantIbLb1EES1A_IbLb0EEEEDaS16_S17_EUlS16_E_NS1_11comp_targetILNS1_3genE0ELNS1_11target_archE4294967295ELNS1_3gpuE0ELNS1_3repE0EEENS1_30default_config_static_selectorELNS0_4arch9wavefront6targetE0EEEvT1_
                                        ; -- End function
	.set _ZN7rocprim17ROCPRIM_400000_NS6detail17trampoline_kernelINS0_14default_configENS1_25partition_config_selectorILNS1_17partition_subalgoE6EiNS0_10empty_typeEbEEZZNS1_14partition_implILS5_6ELb0ES3_mN6thrust23THRUST_200600_302600_NS6detail15normal_iteratorINSA_10device_ptrIiEEEEPS6_SG_NS0_5tupleIJNSA_16discard_iteratorINSA_11use_defaultEEES6_EEENSH_IJSG_SG_EEES6_PlJNSB_9not_fun_tINSB_14equal_to_valueIiEEEEEEE10hipError_tPvRmT3_T4_T5_T6_T7_T9_mT8_P12ihipStream_tbDpT10_ENKUlT_T0_E_clISt17integral_constantIbLb1EES1A_IbLb0EEEEDaS16_S17_EUlS16_E_NS1_11comp_targetILNS1_3genE0ELNS1_11target_archE4294967295ELNS1_3gpuE0ELNS1_3repE0EEENS1_30default_config_static_selectorELNS0_4arch9wavefront6targetE0EEEvT1_.num_vgpr, 0
	.set _ZN7rocprim17ROCPRIM_400000_NS6detail17trampoline_kernelINS0_14default_configENS1_25partition_config_selectorILNS1_17partition_subalgoE6EiNS0_10empty_typeEbEEZZNS1_14partition_implILS5_6ELb0ES3_mN6thrust23THRUST_200600_302600_NS6detail15normal_iteratorINSA_10device_ptrIiEEEEPS6_SG_NS0_5tupleIJNSA_16discard_iteratorINSA_11use_defaultEEES6_EEENSH_IJSG_SG_EEES6_PlJNSB_9not_fun_tINSB_14equal_to_valueIiEEEEEEE10hipError_tPvRmT3_T4_T5_T6_T7_T9_mT8_P12ihipStream_tbDpT10_ENKUlT_T0_E_clISt17integral_constantIbLb1EES1A_IbLb0EEEEDaS16_S17_EUlS16_E_NS1_11comp_targetILNS1_3genE0ELNS1_11target_archE4294967295ELNS1_3gpuE0ELNS1_3repE0EEENS1_30default_config_static_selectorELNS0_4arch9wavefront6targetE0EEEvT1_.num_agpr, 0
	.set _ZN7rocprim17ROCPRIM_400000_NS6detail17trampoline_kernelINS0_14default_configENS1_25partition_config_selectorILNS1_17partition_subalgoE6EiNS0_10empty_typeEbEEZZNS1_14partition_implILS5_6ELb0ES3_mN6thrust23THRUST_200600_302600_NS6detail15normal_iteratorINSA_10device_ptrIiEEEEPS6_SG_NS0_5tupleIJNSA_16discard_iteratorINSA_11use_defaultEEES6_EEENSH_IJSG_SG_EEES6_PlJNSB_9not_fun_tINSB_14equal_to_valueIiEEEEEEE10hipError_tPvRmT3_T4_T5_T6_T7_T9_mT8_P12ihipStream_tbDpT10_ENKUlT_T0_E_clISt17integral_constantIbLb1EES1A_IbLb0EEEEDaS16_S17_EUlS16_E_NS1_11comp_targetILNS1_3genE0ELNS1_11target_archE4294967295ELNS1_3gpuE0ELNS1_3repE0EEENS1_30default_config_static_selectorELNS0_4arch9wavefront6targetE0EEEvT1_.numbered_sgpr, 0
	.set _ZN7rocprim17ROCPRIM_400000_NS6detail17trampoline_kernelINS0_14default_configENS1_25partition_config_selectorILNS1_17partition_subalgoE6EiNS0_10empty_typeEbEEZZNS1_14partition_implILS5_6ELb0ES3_mN6thrust23THRUST_200600_302600_NS6detail15normal_iteratorINSA_10device_ptrIiEEEEPS6_SG_NS0_5tupleIJNSA_16discard_iteratorINSA_11use_defaultEEES6_EEENSH_IJSG_SG_EEES6_PlJNSB_9not_fun_tINSB_14equal_to_valueIiEEEEEEE10hipError_tPvRmT3_T4_T5_T6_T7_T9_mT8_P12ihipStream_tbDpT10_ENKUlT_T0_E_clISt17integral_constantIbLb1EES1A_IbLb0EEEEDaS16_S17_EUlS16_E_NS1_11comp_targetILNS1_3genE0ELNS1_11target_archE4294967295ELNS1_3gpuE0ELNS1_3repE0EEENS1_30default_config_static_selectorELNS0_4arch9wavefront6targetE0EEEvT1_.num_named_barrier, 0
	.set _ZN7rocprim17ROCPRIM_400000_NS6detail17trampoline_kernelINS0_14default_configENS1_25partition_config_selectorILNS1_17partition_subalgoE6EiNS0_10empty_typeEbEEZZNS1_14partition_implILS5_6ELb0ES3_mN6thrust23THRUST_200600_302600_NS6detail15normal_iteratorINSA_10device_ptrIiEEEEPS6_SG_NS0_5tupleIJNSA_16discard_iteratorINSA_11use_defaultEEES6_EEENSH_IJSG_SG_EEES6_PlJNSB_9not_fun_tINSB_14equal_to_valueIiEEEEEEE10hipError_tPvRmT3_T4_T5_T6_T7_T9_mT8_P12ihipStream_tbDpT10_ENKUlT_T0_E_clISt17integral_constantIbLb1EES1A_IbLb0EEEEDaS16_S17_EUlS16_E_NS1_11comp_targetILNS1_3genE0ELNS1_11target_archE4294967295ELNS1_3gpuE0ELNS1_3repE0EEENS1_30default_config_static_selectorELNS0_4arch9wavefront6targetE0EEEvT1_.private_seg_size, 0
	.set _ZN7rocprim17ROCPRIM_400000_NS6detail17trampoline_kernelINS0_14default_configENS1_25partition_config_selectorILNS1_17partition_subalgoE6EiNS0_10empty_typeEbEEZZNS1_14partition_implILS5_6ELb0ES3_mN6thrust23THRUST_200600_302600_NS6detail15normal_iteratorINSA_10device_ptrIiEEEEPS6_SG_NS0_5tupleIJNSA_16discard_iteratorINSA_11use_defaultEEES6_EEENSH_IJSG_SG_EEES6_PlJNSB_9not_fun_tINSB_14equal_to_valueIiEEEEEEE10hipError_tPvRmT3_T4_T5_T6_T7_T9_mT8_P12ihipStream_tbDpT10_ENKUlT_T0_E_clISt17integral_constantIbLb1EES1A_IbLb0EEEEDaS16_S17_EUlS16_E_NS1_11comp_targetILNS1_3genE0ELNS1_11target_archE4294967295ELNS1_3gpuE0ELNS1_3repE0EEENS1_30default_config_static_selectorELNS0_4arch9wavefront6targetE0EEEvT1_.uses_vcc, 0
	.set _ZN7rocprim17ROCPRIM_400000_NS6detail17trampoline_kernelINS0_14default_configENS1_25partition_config_selectorILNS1_17partition_subalgoE6EiNS0_10empty_typeEbEEZZNS1_14partition_implILS5_6ELb0ES3_mN6thrust23THRUST_200600_302600_NS6detail15normal_iteratorINSA_10device_ptrIiEEEEPS6_SG_NS0_5tupleIJNSA_16discard_iteratorINSA_11use_defaultEEES6_EEENSH_IJSG_SG_EEES6_PlJNSB_9not_fun_tINSB_14equal_to_valueIiEEEEEEE10hipError_tPvRmT3_T4_T5_T6_T7_T9_mT8_P12ihipStream_tbDpT10_ENKUlT_T0_E_clISt17integral_constantIbLb1EES1A_IbLb0EEEEDaS16_S17_EUlS16_E_NS1_11comp_targetILNS1_3genE0ELNS1_11target_archE4294967295ELNS1_3gpuE0ELNS1_3repE0EEENS1_30default_config_static_selectorELNS0_4arch9wavefront6targetE0EEEvT1_.uses_flat_scratch, 0
	.set _ZN7rocprim17ROCPRIM_400000_NS6detail17trampoline_kernelINS0_14default_configENS1_25partition_config_selectorILNS1_17partition_subalgoE6EiNS0_10empty_typeEbEEZZNS1_14partition_implILS5_6ELb0ES3_mN6thrust23THRUST_200600_302600_NS6detail15normal_iteratorINSA_10device_ptrIiEEEEPS6_SG_NS0_5tupleIJNSA_16discard_iteratorINSA_11use_defaultEEES6_EEENSH_IJSG_SG_EEES6_PlJNSB_9not_fun_tINSB_14equal_to_valueIiEEEEEEE10hipError_tPvRmT3_T4_T5_T6_T7_T9_mT8_P12ihipStream_tbDpT10_ENKUlT_T0_E_clISt17integral_constantIbLb1EES1A_IbLb0EEEEDaS16_S17_EUlS16_E_NS1_11comp_targetILNS1_3genE0ELNS1_11target_archE4294967295ELNS1_3gpuE0ELNS1_3repE0EEENS1_30default_config_static_selectorELNS0_4arch9wavefront6targetE0EEEvT1_.has_dyn_sized_stack, 0
	.set _ZN7rocprim17ROCPRIM_400000_NS6detail17trampoline_kernelINS0_14default_configENS1_25partition_config_selectorILNS1_17partition_subalgoE6EiNS0_10empty_typeEbEEZZNS1_14partition_implILS5_6ELb0ES3_mN6thrust23THRUST_200600_302600_NS6detail15normal_iteratorINSA_10device_ptrIiEEEEPS6_SG_NS0_5tupleIJNSA_16discard_iteratorINSA_11use_defaultEEES6_EEENSH_IJSG_SG_EEES6_PlJNSB_9not_fun_tINSB_14equal_to_valueIiEEEEEEE10hipError_tPvRmT3_T4_T5_T6_T7_T9_mT8_P12ihipStream_tbDpT10_ENKUlT_T0_E_clISt17integral_constantIbLb1EES1A_IbLb0EEEEDaS16_S17_EUlS16_E_NS1_11comp_targetILNS1_3genE0ELNS1_11target_archE4294967295ELNS1_3gpuE0ELNS1_3repE0EEENS1_30default_config_static_selectorELNS0_4arch9wavefront6targetE0EEEvT1_.has_recursion, 0
	.set _ZN7rocprim17ROCPRIM_400000_NS6detail17trampoline_kernelINS0_14default_configENS1_25partition_config_selectorILNS1_17partition_subalgoE6EiNS0_10empty_typeEbEEZZNS1_14partition_implILS5_6ELb0ES3_mN6thrust23THRUST_200600_302600_NS6detail15normal_iteratorINSA_10device_ptrIiEEEEPS6_SG_NS0_5tupleIJNSA_16discard_iteratorINSA_11use_defaultEEES6_EEENSH_IJSG_SG_EEES6_PlJNSB_9not_fun_tINSB_14equal_to_valueIiEEEEEEE10hipError_tPvRmT3_T4_T5_T6_T7_T9_mT8_P12ihipStream_tbDpT10_ENKUlT_T0_E_clISt17integral_constantIbLb1EES1A_IbLb0EEEEDaS16_S17_EUlS16_E_NS1_11comp_targetILNS1_3genE0ELNS1_11target_archE4294967295ELNS1_3gpuE0ELNS1_3repE0EEENS1_30default_config_static_selectorELNS0_4arch9wavefront6targetE0EEEvT1_.has_indirect_call, 0
	.section	.AMDGPU.csdata,"",@progbits
; Kernel info:
; codeLenInByte = 0
; TotalNumSgprs: 0
; NumVgprs: 0
; ScratchSize: 0
; MemoryBound: 0
; FloatMode: 240
; IeeeMode: 1
; LDSByteSize: 0 bytes/workgroup (compile time only)
; SGPRBlocks: 0
; VGPRBlocks: 0
; NumSGPRsForWavesPerEU: 1
; NumVGPRsForWavesPerEU: 1
; Occupancy: 16
; WaveLimiterHint : 0
; COMPUTE_PGM_RSRC2:SCRATCH_EN: 0
; COMPUTE_PGM_RSRC2:USER_SGPR: 2
; COMPUTE_PGM_RSRC2:TRAP_HANDLER: 0
; COMPUTE_PGM_RSRC2:TGID_X_EN: 1
; COMPUTE_PGM_RSRC2:TGID_Y_EN: 0
; COMPUTE_PGM_RSRC2:TGID_Z_EN: 0
; COMPUTE_PGM_RSRC2:TIDIG_COMP_CNT: 0
	.section	.text._ZN7rocprim17ROCPRIM_400000_NS6detail17trampoline_kernelINS0_14default_configENS1_25partition_config_selectorILNS1_17partition_subalgoE6EiNS0_10empty_typeEbEEZZNS1_14partition_implILS5_6ELb0ES3_mN6thrust23THRUST_200600_302600_NS6detail15normal_iteratorINSA_10device_ptrIiEEEEPS6_SG_NS0_5tupleIJNSA_16discard_iteratorINSA_11use_defaultEEES6_EEENSH_IJSG_SG_EEES6_PlJNSB_9not_fun_tINSB_14equal_to_valueIiEEEEEEE10hipError_tPvRmT3_T4_T5_T6_T7_T9_mT8_P12ihipStream_tbDpT10_ENKUlT_T0_E_clISt17integral_constantIbLb1EES1A_IbLb0EEEEDaS16_S17_EUlS16_E_NS1_11comp_targetILNS1_3genE5ELNS1_11target_archE942ELNS1_3gpuE9ELNS1_3repE0EEENS1_30default_config_static_selectorELNS0_4arch9wavefront6targetE0EEEvT1_,"axG",@progbits,_ZN7rocprim17ROCPRIM_400000_NS6detail17trampoline_kernelINS0_14default_configENS1_25partition_config_selectorILNS1_17partition_subalgoE6EiNS0_10empty_typeEbEEZZNS1_14partition_implILS5_6ELb0ES3_mN6thrust23THRUST_200600_302600_NS6detail15normal_iteratorINSA_10device_ptrIiEEEEPS6_SG_NS0_5tupleIJNSA_16discard_iteratorINSA_11use_defaultEEES6_EEENSH_IJSG_SG_EEES6_PlJNSB_9not_fun_tINSB_14equal_to_valueIiEEEEEEE10hipError_tPvRmT3_T4_T5_T6_T7_T9_mT8_P12ihipStream_tbDpT10_ENKUlT_T0_E_clISt17integral_constantIbLb1EES1A_IbLb0EEEEDaS16_S17_EUlS16_E_NS1_11comp_targetILNS1_3genE5ELNS1_11target_archE942ELNS1_3gpuE9ELNS1_3repE0EEENS1_30default_config_static_selectorELNS0_4arch9wavefront6targetE0EEEvT1_,comdat
	.protected	_ZN7rocprim17ROCPRIM_400000_NS6detail17trampoline_kernelINS0_14default_configENS1_25partition_config_selectorILNS1_17partition_subalgoE6EiNS0_10empty_typeEbEEZZNS1_14partition_implILS5_6ELb0ES3_mN6thrust23THRUST_200600_302600_NS6detail15normal_iteratorINSA_10device_ptrIiEEEEPS6_SG_NS0_5tupleIJNSA_16discard_iteratorINSA_11use_defaultEEES6_EEENSH_IJSG_SG_EEES6_PlJNSB_9not_fun_tINSB_14equal_to_valueIiEEEEEEE10hipError_tPvRmT3_T4_T5_T6_T7_T9_mT8_P12ihipStream_tbDpT10_ENKUlT_T0_E_clISt17integral_constantIbLb1EES1A_IbLb0EEEEDaS16_S17_EUlS16_E_NS1_11comp_targetILNS1_3genE5ELNS1_11target_archE942ELNS1_3gpuE9ELNS1_3repE0EEENS1_30default_config_static_selectorELNS0_4arch9wavefront6targetE0EEEvT1_ ; -- Begin function _ZN7rocprim17ROCPRIM_400000_NS6detail17trampoline_kernelINS0_14default_configENS1_25partition_config_selectorILNS1_17partition_subalgoE6EiNS0_10empty_typeEbEEZZNS1_14partition_implILS5_6ELb0ES3_mN6thrust23THRUST_200600_302600_NS6detail15normal_iteratorINSA_10device_ptrIiEEEEPS6_SG_NS0_5tupleIJNSA_16discard_iteratorINSA_11use_defaultEEES6_EEENSH_IJSG_SG_EEES6_PlJNSB_9not_fun_tINSB_14equal_to_valueIiEEEEEEE10hipError_tPvRmT3_T4_T5_T6_T7_T9_mT8_P12ihipStream_tbDpT10_ENKUlT_T0_E_clISt17integral_constantIbLb1EES1A_IbLb0EEEEDaS16_S17_EUlS16_E_NS1_11comp_targetILNS1_3genE5ELNS1_11target_archE942ELNS1_3gpuE9ELNS1_3repE0EEENS1_30default_config_static_selectorELNS0_4arch9wavefront6targetE0EEEvT1_
	.globl	_ZN7rocprim17ROCPRIM_400000_NS6detail17trampoline_kernelINS0_14default_configENS1_25partition_config_selectorILNS1_17partition_subalgoE6EiNS0_10empty_typeEbEEZZNS1_14partition_implILS5_6ELb0ES3_mN6thrust23THRUST_200600_302600_NS6detail15normal_iteratorINSA_10device_ptrIiEEEEPS6_SG_NS0_5tupleIJNSA_16discard_iteratorINSA_11use_defaultEEES6_EEENSH_IJSG_SG_EEES6_PlJNSB_9not_fun_tINSB_14equal_to_valueIiEEEEEEE10hipError_tPvRmT3_T4_T5_T6_T7_T9_mT8_P12ihipStream_tbDpT10_ENKUlT_T0_E_clISt17integral_constantIbLb1EES1A_IbLb0EEEEDaS16_S17_EUlS16_E_NS1_11comp_targetILNS1_3genE5ELNS1_11target_archE942ELNS1_3gpuE9ELNS1_3repE0EEENS1_30default_config_static_selectorELNS0_4arch9wavefront6targetE0EEEvT1_
	.p2align	8
	.type	_ZN7rocprim17ROCPRIM_400000_NS6detail17trampoline_kernelINS0_14default_configENS1_25partition_config_selectorILNS1_17partition_subalgoE6EiNS0_10empty_typeEbEEZZNS1_14partition_implILS5_6ELb0ES3_mN6thrust23THRUST_200600_302600_NS6detail15normal_iteratorINSA_10device_ptrIiEEEEPS6_SG_NS0_5tupleIJNSA_16discard_iteratorINSA_11use_defaultEEES6_EEENSH_IJSG_SG_EEES6_PlJNSB_9not_fun_tINSB_14equal_to_valueIiEEEEEEE10hipError_tPvRmT3_T4_T5_T6_T7_T9_mT8_P12ihipStream_tbDpT10_ENKUlT_T0_E_clISt17integral_constantIbLb1EES1A_IbLb0EEEEDaS16_S17_EUlS16_E_NS1_11comp_targetILNS1_3genE5ELNS1_11target_archE942ELNS1_3gpuE9ELNS1_3repE0EEENS1_30default_config_static_selectorELNS0_4arch9wavefront6targetE0EEEvT1_,@function
_ZN7rocprim17ROCPRIM_400000_NS6detail17trampoline_kernelINS0_14default_configENS1_25partition_config_selectorILNS1_17partition_subalgoE6EiNS0_10empty_typeEbEEZZNS1_14partition_implILS5_6ELb0ES3_mN6thrust23THRUST_200600_302600_NS6detail15normal_iteratorINSA_10device_ptrIiEEEEPS6_SG_NS0_5tupleIJNSA_16discard_iteratorINSA_11use_defaultEEES6_EEENSH_IJSG_SG_EEES6_PlJNSB_9not_fun_tINSB_14equal_to_valueIiEEEEEEE10hipError_tPvRmT3_T4_T5_T6_T7_T9_mT8_P12ihipStream_tbDpT10_ENKUlT_T0_E_clISt17integral_constantIbLb1EES1A_IbLb0EEEEDaS16_S17_EUlS16_E_NS1_11comp_targetILNS1_3genE5ELNS1_11target_archE942ELNS1_3gpuE9ELNS1_3repE0EEENS1_30default_config_static_selectorELNS0_4arch9wavefront6targetE0EEEvT1_: ; @_ZN7rocprim17ROCPRIM_400000_NS6detail17trampoline_kernelINS0_14default_configENS1_25partition_config_selectorILNS1_17partition_subalgoE6EiNS0_10empty_typeEbEEZZNS1_14partition_implILS5_6ELb0ES3_mN6thrust23THRUST_200600_302600_NS6detail15normal_iteratorINSA_10device_ptrIiEEEEPS6_SG_NS0_5tupleIJNSA_16discard_iteratorINSA_11use_defaultEEES6_EEENSH_IJSG_SG_EEES6_PlJNSB_9not_fun_tINSB_14equal_to_valueIiEEEEEEE10hipError_tPvRmT3_T4_T5_T6_T7_T9_mT8_P12ihipStream_tbDpT10_ENKUlT_T0_E_clISt17integral_constantIbLb1EES1A_IbLb0EEEEDaS16_S17_EUlS16_E_NS1_11comp_targetILNS1_3genE5ELNS1_11target_archE942ELNS1_3gpuE9ELNS1_3repE0EEENS1_30default_config_static_selectorELNS0_4arch9wavefront6targetE0EEEvT1_
; %bb.0:
	.section	.rodata,"a",@progbits
	.p2align	6, 0x0
	.amdhsa_kernel _ZN7rocprim17ROCPRIM_400000_NS6detail17trampoline_kernelINS0_14default_configENS1_25partition_config_selectorILNS1_17partition_subalgoE6EiNS0_10empty_typeEbEEZZNS1_14partition_implILS5_6ELb0ES3_mN6thrust23THRUST_200600_302600_NS6detail15normal_iteratorINSA_10device_ptrIiEEEEPS6_SG_NS0_5tupleIJNSA_16discard_iteratorINSA_11use_defaultEEES6_EEENSH_IJSG_SG_EEES6_PlJNSB_9not_fun_tINSB_14equal_to_valueIiEEEEEEE10hipError_tPvRmT3_T4_T5_T6_T7_T9_mT8_P12ihipStream_tbDpT10_ENKUlT_T0_E_clISt17integral_constantIbLb1EES1A_IbLb0EEEEDaS16_S17_EUlS16_E_NS1_11comp_targetILNS1_3genE5ELNS1_11target_archE942ELNS1_3gpuE9ELNS1_3repE0EEENS1_30default_config_static_selectorELNS0_4arch9wavefront6targetE0EEEvT1_
		.amdhsa_group_segment_fixed_size 0
		.amdhsa_private_segment_fixed_size 0
		.amdhsa_kernarg_size 128
		.amdhsa_user_sgpr_count 2
		.amdhsa_user_sgpr_dispatch_ptr 0
		.amdhsa_user_sgpr_queue_ptr 0
		.amdhsa_user_sgpr_kernarg_segment_ptr 1
		.amdhsa_user_sgpr_dispatch_id 0
		.amdhsa_user_sgpr_private_segment_size 0
		.amdhsa_wavefront_size32 1
		.amdhsa_uses_dynamic_stack 0
		.amdhsa_enable_private_segment 0
		.amdhsa_system_sgpr_workgroup_id_x 1
		.amdhsa_system_sgpr_workgroup_id_y 0
		.amdhsa_system_sgpr_workgroup_id_z 0
		.amdhsa_system_sgpr_workgroup_info 0
		.amdhsa_system_vgpr_workitem_id 0
		.amdhsa_next_free_vgpr 1
		.amdhsa_next_free_sgpr 1
		.amdhsa_reserve_vcc 0
		.amdhsa_float_round_mode_32 0
		.amdhsa_float_round_mode_16_64 0
		.amdhsa_float_denorm_mode_32 3
		.amdhsa_float_denorm_mode_16_64 3
		.amdhsa_fp16_overflow 0
		.amdhsa_workgroup_processor_mode 1
		.amdhsa_memory_ordered 1
		.amdhsa_forward_progress 1
		.amdhsa_inst_pref_size 0
		.amdhsa_round_robin_scheduling 0
		.amdhsa_exception_fp_ieee_invalid_op 0
		.amdhsa_exception_fp_denorm_src 0
		.amdhsa_exception_fp_ieee_div_zero 0
		.amdhsa_exception_fp_ieee_overflow 0
		.amdhsa_exception_fp_ieee_underflow 0
		.amdhsa_exception_fp_ieee_inexact 0
		.amdhsa_exception_int_div_zero 0
	.end_amdhsa_kernel
	.section	.text._ZN7rocprim17ROCPRIM_400000_NS6detail17trampoline_kernelINS0_14default_configENS1_25partition_config_selectorILNS1_17partition_subalgoE6EiNS0_10empty_typeEbEEZZNS1_14partition_implILS5_6ELb0ES3_mN6thrust23THRUST_200600_302600_NS6detail15normal_iteratorINSA_10device_ptrIiEEEEPS6_SG_NS0_5tupleIJNSA_16discard_iteratorINSA_11use_defaultEEES6_EEENSH_IJSG_SG_EEES6_PlJNSB_9not_fun_tINSB_14equal_to_valueIiEEEEEEE10hipError_tPvRmT3_T4_T5_T6_T7_T9_mT8_P12ihipStream_tbDpT10_ENKUlT_T0_E_clISt17integral_constantIbLb1EES1A_IbLb0EEEEDaS16_S17_EUlS16_E_NS1_11comp_targetILNS1_3genE5ELNS1_11target_archE942ELNS1_3gpuE9ELNS1_3repE0EEENS1_30default_config_static_selectorELNS0_4arch9wavefront6targetE0EEEvT1_,"axG",@progbits,_ZN7rocprim17ROCPRIM_400000_NS6detail17trampoline_kernelINS0_14default_configENS1_25partition_config_selectorILNS1_17partition_subalgoE6EiNS0_10empty_typeEbEEZZNS1_14partition_implILS5_6ELb0ES3_mN6thrust23THRUST_200600_302600_NS6detail15normal_iteratorINSA_10device_ptrIiEEEEPS6_SG_NS0_5tupleIJNSA_16discard_iteratorINSA_11use_defaultEEES6_EEENSH_IJSG_SG_EEES6_PlJNSB_9not_fun_tINSB_14equal_to_valueIiEEEEEEE10hipError_tPvRmT3_T4_T5_T6_T7_T9_mT8_P12ihipStream_tbDpT10_ENKUlT_T0_E_clISt17integral_constantIbLb1EES1A_IbLb0EEEEDaS16_S17_EUlS16_E_NS1_11comp_targetILNS1_3genE5ELNS1_11target_archE942ELNS1_3gpuE9ELNS1_3repE0EEENS1_30default_config_static_selectorELNS0_4arch9wavefront6targetE0EEEvT1_,comdat
.Lfunc_end1774:
	.size	_ZN7rocprim17ROCPRIM_400000_NS6detail17trampoline_kernelINS0_14default_configENS1_25partition_config_selectorILNS1_17partition_subalgoE6EiNS0_10empty_typeEbEEZZNS1_14partition_implILS5_6ELb0ES3_mN6thrust23THRUST_200600_302600_NS6detail15normal_iteratorINSA_10device_ptrIiEEEEPS6_SG_NS0_5tupleIJNSA_16discard_iteratorINSA_11use_defaultEEES6_EEENSH_IJSG_SG_EEES6_PlJNSB_9not_fun_tINSB_14equal_to_valueIiEEEEEEE10hipError_tPvRmT3_T4_T5_T6_T7_T9_mT8_P12ihipStream_tbDpT10_ENKUlT_T0_E_clISt17integral_constantIbLb1EES1A_IbLb0EEEEDaS16_S17_EUlS16_E_NS1_11comp_targetILNS1_3genE5ELNS1_11target_archE942ELNS1_3gpuE9ELNS1_3repE0EEENS1_30default_config_static_selectorELNS0_4arch9wavefront6targetE0EEEvT1_, .Lfunc_end1774-_ZN7rocprim17ROCPRIM_400000_NS6detail17trampoline_kernelINS0_14default_configENS1_25partition_config_selectorILNS1_17partition_subalgoE6EiNS0_10empty_typeEbEEZZNS1_14partition_implILS5_6ELb0ES3_mN6thrust23THRUST_200600_302600_NS6detail15normal_iteratorINSA_10device_ptrIiEEEEPS6_SG_NS0_5tupleIJNSA_16discard_iteratorINSA_11use_defaultEEES6_EEENSH_IJSG_SG_EEES6_PlJNSB_9not_fun_tINSB_14equal_to_valueIiEEEEEEE10hipError_tPvRmT3_T4_T5_T6_T7_T9_mT8_P12ihipStream_tbDpT10_ENKUlT_T0_E_clISt17integral_constantIbLb1EES1A_IbLb0EEEEDaS16_S17_EUlS16_E_NS1_11comp_targetILNS1_3genE5ELNS1_11target_archE942ELNS1_3gpuE9ELNS1_3repE0EEENS1_30default_config_static_selectorELNS0_4arch9wavefront6targetE0EEEvT1_
                                        ; -- End function
	.set _ZN7rocprim17ROCPRIM_400000_NS6detail17trampoline_kernelINS0_14default_configENS1_25partition_config_selectorILNS1_17partition_subalgoE6EiNS0_10empty_typeEbEEZZNS1_14partition_implILS5_6ELb0ES3_mN6thrust23THRUST_200600_302600_NS6detail15normal_iteratorINSA_10device_ptrIiEEEEPS6_SG_NS0_5tupleIJNSA_16discard_iteratorINSA_11use_defaultEEES6_EEENSH_IJSG_SG_EEES6_PlJNSB_9not_fun_tINSB_14equal_to_valueIiEEEEEEE10hipError_tPvRmT3_T4_T5_T6_T7_T9_mT8_P12ihipStream_tbDpT10_ENKUlT_T0_E_clISt17integral_constantIbLb1EES1A_IbLb0EEEEDaS16_S17_EUlS16_E_NS1_11comp_targetILNS1_3genE5ELNS1_11target_archE942ELNS1_3gpuE9ELNS1_3repE0EEENS1_30default_config_static_selectorELNS0_4arch9wavefront6targetE0EEEvT1_.num_vgpr, 0
	.set _ZN7rocprim17ROCPRIM_400000_NS6detail17trampoline_kernelINS0_14default_configENS1_25partition_config_selectorILNS1_17partition_subalgoE6EiNS0_10empty_typeEbEEZZNS1_14partition_implILS5_6ELb0ES3_mN6thrust23THRUST_200600_302600_NS6detail15normal_iteratorINSA_10device_ptrIiEEEEPS6_SG_NS0_5tupleIJNSA_16discard_iteratorINSA_11use_defaultEEES6_EEENSH_IJSG_SG_EEES6_PlJNSB_9not_fun_tINSB_14equal_to_valueIiEEEEEEE10hipError_tPvRmT3_T4_T5_T6_T7_T9_mT8_P12ihipStream_tbDpT10_ENKUlT_T0_E_clISt17integral_constantIbLb1EES1A_IbLb0EEEEDaS16_S17_EUlS16_E_NS1_11comp_targetILNS1_3genE5ELNS1_11target_archE942ELNS1_3gpuE9ELNS1_3repE0EEENS1_30default_config_static_selectorELNS0_4arch9wavefront6targetE0EEEvT1_.num_agpr, 0
	.set _ZN7rocprim17ROCPRIM_400000_NS6detail17trampoline_kernelINS0_14default_configENS1_25partition_config_selectorILNS1_17partition_subalgoE6EiNS0_10empty_typeEbEEZZNS1_14partition_implILS5_6ELb0ES3_mN6thrust23THRUST_200600_302600_NS6detail15normal_iteratorINSA_10device_ptrIiEEEEPS6_SG_NS0_5tupleIJNSA_16discard_iteratorINSA_11use_defaultEEES6_EEENSH_IJSG_SG_EEES6_PlJNSB_9not_fun_tINSB_14equal_to_valueIiEEEEEEE10hipError_tPvRmT3_T4_T5_T6_T7_T9_mT8_P12ihipStream_tbDpT10_ENKUlT_T0_E_clISt17integral_constantIbLb1EES1A_IbLb0EEEEDaS16_S17_EUlS16_E_NS1_11comp_targetILNS1_3genE5ELNS1_11target_archE942ELNS1_3gpuE9ELNS1_3repE0EEENS1_30default_config_static_selectorELNS0_4arch9wavefront6targetE0EEEvT1_.numbered_sgpr, 0
	.set _ZN7rocprim17ROCPRIM_400000_NS6detail17trampoline_kernelINS0_14default_configENS1_25partition_config_selectorILNS1_17partition_subalgoE6EiNS0_10empty_typeEbEEZZNS1_14partition_implILS5_6ELb0ES3_mN6thrust23THRUST_200600_302600_NS6detail15normal_iteratorINSA_10device_ptrIiEEEEPS6_SG_NS0_5tupleIJNSA_16discard_iteratorINSA_11use_defaultEEES6_EEENSH_IJSG_SG_EEES6_PlJNSB_9not_fun_tINSB_14equal_to_valueIiEEEEEEE10hipError_tPvRmT3_T4_T5_T6_T7_T9_mT8_P12ihipStream_tbDpT10_ENKUlT_T0_E_clISt17integral_constantIbLb1EES1A_IbLb0EEEEDaS16_S17_EUlS16_E_NS1_11comp_targetILNS1_3genE5ELNS1_11target_archE942ELNS1_3gpuE9ELNS1_3repE0EEENS1_30default_config_static_selectorELNS0_4arch9wavefront6targetE0EEEvT1_.num_named_barrier, 0
	.set _ZN7rocprim17ROCPRIM_400000_NS6detail17trampoline_kernelINS0_14default_configENS1_25partition_config_selectorILNS1_17partition_subalgoE6EiNS0_10empty_typeEbEEZZNS1_14partition_implILS5_6ELb0ES3_mN6thrust23THRUST_200600_302600_NS6detail15normal_iteratorINSA_10device_ptrIiEEEEPS6_SG_NS0_5tupleIJNSA_16discard_iteratorINSA_11use_defaultEEES6_EEENSH_IJSG_SG_EEES6_PlJNSB_9not_fun_tINSB_14equal_to_valueIiEEEEEEE10hipError_tPvRmT3_T4_T5_T6_T7_T9_mT8_P12ihipStream_tbDpT10_ENKUlT_T0_E_clISt17integral_constantIbLb1EES1A_IbLb0EEEEDaS16_S17_EUlS16_E_NS1_11comp_targetILNS1_3genE5ELNS1_11target_archE942ELNS1_3gpuE9ELNS1_3repE0EEENS1_30default_config_static_selectorELNS0_4arch9wavefront6targetE0EEEvT1_.private_seg_size, 0
	.set _ZN7rocprim17ROCPRIM_400000_NS6detail17trampoline_kernelINS0_14default_configENS1_25partition_config_selectorILNS1_17partition_subalgoE6EiNS0_10empty_typeEbEEZZNS1_14partition_implILS5_6ELb0ES3_mN6thrust23THRUST_200600_302600_NS6detail15normal_iteratorINSA_10device_ptrIiEEEEPS6_SG_NS0_5tupleIJNSA_16discard_iteratorINSA_11use_defaultEEES6_EEENSH_IJSG_SG_EEES6_PlJNSB_9not_fun_tINSB_14equal_to_valueIiEEEEEEE10hipError_tPvRmT3_T4_T5_T6_T7_T9_mT8_P12ihipStream_tbDpT10_ENKUlT_T0_E_clISt17integral_constantIbLb1EES1A_IbLb0EEEEDaS16_S17_EUlS16_E_NS1_11comp_targetILNS1_3genE5ELNS1_11target_archE942ELNS1_3gpuE9ELNS1_3repE0EEENS1_30default_config_static_selectorELNS0_4arch9wavefront6targetE0EEEvT1_.uses_vcc, 0
	.set _ZN7rocprim17ROCPRIM_400000_NS6detail17trampoline_kernelINS0_14default_configENS1_25partition_config_selectorILNS1_17partition_subalgoE6EiNS0_10empty_typeEbEEZZNS1_14partition_implILS5_6ELb0ES3_mN6thrust23THRUST_200600_302600_NS6detail15normal_iteratorINSA_10device_ptrIiEEEEPS6_SG_NS0_5tupleIJNSA_16discard_iteratorINSA_11use_defaultEEES6_EEENSH_IJSG_SG_EEES6_PlJNSB_9not_fun_tINSB_14equal_to_valueIiEEEEEEE10hipError_tPvRmT3_T4_T5_T6_T7_T9_mT8_P12ihipStream_tbDpT10_ENKUlT_T0_E_clISt17integral_constantIbLb1EES1A_IbLb0EEEEDaS16_S17_EUlS16_E_NS1_11comp_targetILNS1_3genE5ELNS1_11target_archE942ELNS1_3gpuE9ELNS1_3repE0EEENS1_30default_config_static_selectorELNS0_4arch9wavefront6targetE0EEEvT1_.uses_flat_scratch, 0
	.set _ZN7rocprim17ROCPRIM_400000_NS6detail17trampoline_kernelINS0_14default_configENS1_25partition_config_selectorILNS1_17partition_subalgoE6EiNS0_10empty_typeEbEEZZNS1_14partition_implILS5_6ELb0ES3_mN6thrust23THRUST_200600_302600_NS6detail15normal_iteratorINSA_10device_ptrIiEEEEPS6_SG_NS0_5tupleIJNSA_16discard_iteratorINSA_11use_defaultEEES6_EEENSH_IJSG_SG_EEES6_PlJNSB_9not_fun_tINSB_14equal_to_valueIiEEEEEEE10hipError_tPvRmT3_T4_T5_T6_T7_T9_mT8_P12ihipStream_tbDpT10_ENKUlT_T0_E_clISt17integral_constantIbLb1EES1A_IbLb0EEEEDaS16_S17_EUlS16_E_NS1_11comp_targetILNS1_3genE5ELNS1_11target_archE942ELNS1_3gpuE9ELNS1_3repE0EEENS1_30default_config_static_selectorELNS0_4arch9wavefront6targetE0EEEvT1_.has_dyn_sized_stack, 0
	.set _ZN7rocprim17ROCPRIM_400000_NS6detail17trampoline_kernelINS0_14default_configENS1_25partition_config_selectorILNS1_17partition_subalgoE6EiNS0_10empty_typeEbEEZZNS1_14partition_implILS5_6ELb0ES3_mN6thrust23THRUST_200600_302600_NS6detail15normal_iteratorINSA_10device_ptrIiEEEEPS6_SG_NS0_5tupleIJNSA_16discard_iteratorINSA_11use_defaultEEES6_EEENSH_IJSG_SG_EEES6_PlJNSB_9not_fun_tINSB_14equal_to_valueIiEEEEEEE10hipError_tPvRmT3_T4_T5_T6_T7_T9_mT8_P12ihipStream_tbDpT10_ENKUlT_T0_E_clISt17integral_constantIbLb1EES1A_IbLb0EEEEDaS16_S17_EUlS16_E_NS1_11comp_targetILNS1_3genE5ELNS1_11target_archE942ELNS1_3gpuE9ELNS1_3repE0EEENS1_30default_config_static_selectorELNS0_4arch9wavefront6targetE0EEEvT1_.has_recursion, 0
	.set _ZN7rocprim17ROCPRIM_400000_NS6detail17trampoline_kernelINS0_14default_configENS1_25partition_config_selectorILNS1_17partition_subalgoE6EiNS0_10empty_typeEbEEZZNS1_14partition_implILS5_6ELb0ES3_mN6thrust23THRUST_200600_302600_NS6detail15normal_iteratorINSA_10device_ptrIiEEEEPS6_SG_NS0_5tupleIJNSA_16discard_iteratorINSA_11use_defaultEEES6_EEENSH_IJSG_SG_EEES6_PlJNSB_9not_fun_tINSB_14equal_to_valueIiEEEEEEE10hipError_tPvRmT3_T4_T5_T6_T7_T9_mT8_P12ihipStream_tbDpT10_ENKUlT_T0_E_clISt17integral_constantIbLb1EES1A_IbLb0EEEEDaS16_S17_EUlS16_E_NS1_11comp_targetILNS1_3genE5ELNS1_11target_archE942ELNS1_3gpuE9ELNS1_3repE0EEENS1_30default_config_static_selectorELNS0_4arch9wavefront6targetE0EEEvT1_.has_indirect_call, 0
	.section	.AMDGPU.csdata,"",@progbits
; Kernel info:
; codeLenInByte = 0
; TotalNumSgprs: 0
; NumVgprs: 0
; ScratchSize: 0
; MemoryBound: 0
; FloatMode: 240
; IeeeMode: 1
; LDSByteSize: 0 bytes/workgroup (compile time only)
; SGPRBlocks: 0
; VGPRBlocks: 0
; NumSGPRsForWavesPerEU: 1
; NumVGPRsForWavesPerEU: 1
; Occupancy: 16
; WaveLimiterHint : 0
; COMPUTE_PGM_RSRC2:SCRATCH_EN: 0
; COMPUTE_PGM_RSRC2:USER_SGPR: 2
; COMPUTE_PGM_RSRC2:TRAP_HANDLER: 0
; COMPUTE_PGM_RSRC2:TGID_X_EN: 1
; COMPUTE_PGM_RSRC2:TGID_Y_EN: 0
; COMPUTE_PGM_RSRC2:TGID_Z_EN: 0
; COMPUTE_PGM_RSRC2:TIDIG_COMP_CNT: 0
	.section	.text._ZN7rocprim17ROCPRIM_400000_NS6detail17trampoline_kernelINS0_14default_configENS1_25partition_config_selectorILNS1_17partition_subalgoE6EiNS0_10empty_typeEbEEZZNS1_14partition_implILS5_6ELb0ES3_mN6thrust23THRUST_200600_302600_NS6detail15normal_iteratorINSA_10device_ptrIiEEEEPS6_SG_NS0_5tupleIJNSA_16discard_iteratorINSA_11use_defaultEEES6_EEENSH_IJSG_SG_EEES6_PlJNSB_9not_fun_tINSB_14equal_to_valueIiEEEEEEE10hipError_tPvRmT3_T4_T5_T6_T7_T9_mT8_P12ihipStream_tbDpT10_ENKUlT_T0_E_clISt17integral_constantIbLb1EES1A_IbLb0EEEEDaS16_S17_EUlS16_E_NS1_11comp_targetILNS1_3genE4ELNS1_11target_archE910ELNS1_3gpuE8ELNS1_3repE0EEENS1_30default_config_static_selectorELNS0_4arch9wavefront6targetE0EEEvT1_,"axG",@progbits,_ZN7rocprim17ROCPRIM_400000_NS6detail17trampoline_kernelINS0_14default_configENS1_25partition_config_selectorILNS1_17partition_subalgoE6EiNS0_10empty_typeEbEEZZNS1_14partition_implILS5_6ELb0ES3_mN6thrust23THRUST_200600_302600_NS6detail15normal_iteratorINSA_10device_ptrIiEEEEPS6_SG_NS0_5tupleIJNSA_16discard_iteratorINSA_11use_defaultEEES6_EEENSH_IJSG_SG_EEES6_PlJNSB_9not_fun_tINSB_14equal_to_valueIiEEEEEEE10hipError_tPvRmT3_T4_T5_T6_T7_T9_mT8_P12ihipStream_tbDpT10_ENKUlT_T0_E_clISt17integral_constantIbLb1EES1A_IbLb0EEEEDaS16_S17_EUlS16_E_NS1_11comp_targetILNS1_3genE4ELNS1_11target_archE910ELNS1_3gpuE8ELNS1_3repE0EEENS1_30default_config_static_selectorELNS0_4arch9wavefront6targetE0EEEvT1_,comdat
	.protected	_ZN7rocprim17ROCPRIM_400000_NS6detail17trampoline_kernelINS0_14default_configENS1_25partition_config_selectorILNS1_17partition_subalgoE6EiNS0_10empty_typeEbEEZZNS1_14partition_implILS5_6ELb0ES3_mN6thrust23THRUST_200600_302600_NS6detail15normal_iteratorINSA_10device_ptrIiEEEEPS6_SG_NS0_5tupleIJNSA_16discard_iteratorINSA_11use_defaultEEES6_EEENSH_IJSG_SG_EEES6_PlJNSB_9not_fun_tINSB_14equal_to_valueIiEEEEEEE10hipError_tPvRmT3_T4_T5_T6_T7_T9_mT8_P12ihipStream_tbDpT10_ENKUlT_T0_E_clISt17integral_constantIbLb1EES1A_IbLb0EEEEDaS16_S17_EUlS16_E_NS1_11comp_targetILNS1_3genE4ELNS1_11target_archE910ELNS1_3gpuE8ELNS1_3repE0EEENS1_30default_config_static_selectorELNS0_4arch9wavefront6targetE0EEEvT1_ ; -- Begin function _ZN7rocprim17ROCPRIM_400000_NS6detail17trampoline_kernelINS0_14default_configENS1_25partition_config_selectorILNS1_17partition_subalgoE6EiNS0_10empty_typeEbEEZZNS1_14partition_implILS5_6ELb0ES3_mN6thrust23THRUST_200600_302600_NS6detail15normal_iteratorINSA_10device_ptrIiEEEEPS6_SG_NS0_5tupleIJNSA_16discard_iteratorINSA_11use_defaultEEES6_EEENSH_IJSG_SG_EEES6_PlJNSB_9not_fun_tINSB_14equal_to_valueIiEEEEEEE10hipError_tPvRmT3_T4_T5_T6_T7_T9_mT8_P12ihipStream_tbDpT10_ENKUlT_T0_E_clISt17integral_constantIbLb1EES1A_IbLb0EEEEDaS16_S17_EUlS16_E_NS1_11comp_targetILNS1_3genE4ELNS1_11target_archE910ELNS1_3gpuE8ELNS1_3repE0EEENS1_30default_config_static_selectorELNS0_4arch9wavefront6targetE0EEEvT1_
	.globl	_ZN7rocprim17ROCPRIM_400000_NS6detail17trampoline_kernelINS0_14default_configENS1_25partition_config_selectorILNS1_17partition_subalgoE6EiNS0_10empty_typeEbEEZZNS1_14partition_implILS5_6ELb0ES3_mN6thrust23THRUST_200600_302600_NS6detail15normal_iteratorINSA_10device_ptrIiEEEEPS6_SG_NS0_5tupleIJNSA_16discard_iteratorINSA_11use_defaultEEES6_EEENSH_IJSG_SG_EEES6_PlJNSB_9not_fun_tINSB_14equal_to_valueIiEEEEEEE10hipError_tPvRmT3_T4_T5_T6_T7_T9_mT8_P12ihipStream_tbDpT10_ENKUlT_T0_E_clISt17integral_constantIbLb1EES1A_IbLb0EEEEDaS16_S17_EUlS16_E_NS1_11comp_targetILNS1_3genE4ELNS1_11target_archE910ELNS1_3gpuE8ELNS1_3repE0EEENS1_30default_config_static_selectorELNS0_4arch9wavefront6targetE0EEEvT1_
	.p2align	8
	.type	_ZN7rocprim17ROCPRIM_400000_NS6detail17trampoline_kernelINS0_14default_configENS1_25partition_config_selectorILNS1_17partition_subalgoE6EiNS0_10empty_typeEbEEZZNS1_14partition_implILS5_6ELb0ES3_mN6thrust23THRUST_200600_302600_NS6detail15normal_iteratorINSA_10device_ptrIiEEEEPS6_SG_NS0_5tupleIJNSA_16discard_iteratorINSA_11use_defaultEEES6_EEENSH_IJSG_SG_EEES6_PlJNSB_9not_fun_tINSB_14equal_to_valueIiEEEEEEE10hipError_tPvRmT3_T4_T5_T6_T7_T9_mT8_P12ihipStream_tbDpT10_ENKUlT_T0_E_clISt17integral_constantIbLb1EES1A_IbLb0EEEEDaS16_S17_EUlS16_E_NS1_11comp_targetILNS1_3genE4ELNS1_11target_archE910ELNS1_3gpuE8ELNS1_3repE0EEENS1_30default_config_static_selectorELNS0_4arch9wavefront6targetE0EEEvT1_,@function
_ZN7rocprim17ROCPRIM_400000_NS6detail17trampoline_kernelINS0_14default_configENS1_25partition_config_selectorILNS1_17partition_subalgoE6EiNS0_10empty_typeEbEEZZNS1_14partition_implILS5_6ELb0ES3_mN6thrust23THRUST_200600_302600_NS6detail15normal_iteratorINSA_10device_ptrIiEEEEPS6_SG_NS0_5tupleIJNSA_16discard_iteratorINSA_11use_defaultEEES6_EEENSH_IJSG_SG_EEES6_PlJNSB_9not_fun_tINSB_14equal_to_valueIiEEEEEEE10hipError_tPvRmT3_T4_T5_T6_T7_T9_mT8_P12ihipStream_tbDpT10_ENKUlT_T0_E_clISt17integral_constantIbLb1EES1A_IbLb0EEEEDaS16_S17_EUlS16_E_NS1_11comp_targetILNS1_3genE4ELNS1_11target_archE910ELNS1_3gpuE8ELNS1_3repE0EEENS1_30default_config_static_selectorELNS0_4arch9wavefront6targetE0EEEvT1_: ; @_ZN7rocprim17ROCPRIM_400000_NS6detail17trampoline_kernelINS0_14default_configENS1_25partition_config_selectorILNS1_17partition_subalgoE6EiNS0_10empty_typeEbEEZZNS1_14partition_implILS5_6ELb0ES3_mN6thrust23THRUST_200600_302600_NS6detail15normal_iteratorINSA_10device_ptrIiEEEEPS6_SG_NS0_5tupleIJNSA_16discard_iteratorINSA_11use_defaultEEES6_EEENSH_IJSG_SG_EEES6_PlJNSB_9not_fun_tINSB_14equal_to_valueIiEEEEEEE10hipError_tPvRmT3_T4_T5_T6_T7_T9_mT8_P12ihipStream_tbDpT10_ENKUlT_T0_E_clISt17integral_constantIbLb1EES1A_IbLb0EEEEDaS16_S17_EUlS16_E_NS1_11comp_targetILNS1_3genE4ELNS1_11target_archE910ELNS1_3gpuE8ELNS1_3repE0EEENS1_30default_config_static_selectorELNS0_4arch9wavefront6targetE0EEEvT1_
; %bb.0:
	.section	.rodata,"a",@progbits
	.p2align	6, 0x0
	.amdhsa_kernel _ZN7rocprim17ROCPRIM_400000_NS6detail17trampoline_kernelINS0_14default_configENS1_25partition_config_selectorILNS1_17partition_subalgoE6EiNS0_10empty_typeEbEEZZNS1_14partition_implILS5_6ELb0ES3_mN6thrust23THRUST_200600_302600_NS6detail15normal_iteratorINSA_10device_ptrIiEEEEPS6_SG_NS0_5tupleIJNSA_16discard_iteratorINSA_11use_defaultEEES6_EEENSH_IJSG_SG_EEES6_PlJNSB_9not_fun_tINSB_14equal_to_valueIiEEEEEEE10hipError_tPvRmT3_T4_T5_T6_T7_T9_mT8_P12ihipStream_tbDpT10_ENKUlT_T0_E_clISt17integral_constantIbLb1EES1A_IbLb0EEEEDaS16_S17_EUlS16_E_NS1_11comp_targetILNS1_3genE4ELNS1_11target_archE910ELNS1_3gpuE8ELNS1_3repE0EEENS1_30default_config_static_selectorELNS0_4arch9wavefront6targetE0EEEvT1_
		.amdhsa_group_segment_fixed_size 0
		.amdhsa_private_segment_fixed_size 0
		.amdhsa_kernarg_size 128
		.amdhsa_user_sgpr_count 2
		.amdhsa_user_sgpr_dispatch_ptr 0
		.amdhsa_user_sgpr_queue_ptr 0
		.amdhsa_user_sgpr_kernarg_segment_ptr 1
		.amdhsa_user_sgpr_dispatch_id 0
		.amdhsa_user_sgpr_private_segment_size 0
		.amdhsa_wavefront_size32 1
		.amdhsa_uses_dynamic_stack 0
		.amdhsa_enable_private_segment 0
		.amdhsa_system_sgpr_workgroup_id_x 1
		.amdhsa_system_sgpr_workgroup_id_y 0
		.amdhsa_system_sgpr_workgroup_id_z 0
		.amdhsa_system_sgpr_workgroup_info 0
		.amdhsa_system_vgpr_workitem_id 0
		.amdhsa_next_free_vgpr 1
		.amdhsa_next_free_sgpr 1
		.amdhsa_reserve_vcc 0
		.amdhsa_float_round_mode_32 0
		.amdhsa_float_round_mode_16_64 0
		.amdhsa_float_denorm_mode_32 3
		.amdhsa_float_denorm_mode_16_64 3
		.amdhsa_fp16_overflow 0
		.amdhsa_workgroup_processor_mode 1
		.amdhsa_memory_ordered 1
		.amdhsa_forward_progress 1
		.amdhsa_inst_pref_size 0
		.amdhsa_round_robin_scheduling 0
		.amdhsa_exception_fp_ieee_invalid_op 0
		.amdhsa_exception_fp_denorm_src 0
		.amdhsa_exception_fp_ieee_div_zero 0
		.amdhsa_exception_fp_ieee_overflow 0
		.amdhsa_exception_fp_ieee_underflow 0
		.amdhsa_exception_fp_ieee_inexact 0
		.amdhsa_exception_int_div_zero 0
	.end_amdhsa_kernel
	.section	.text._ZN7rocprim17ROCPRIM_400000_NS6detail17trampoline_kernelINS0_14default_configENS1_25partition_config_selectorILNS1_17partition_subalgoE6EiNS0_10empty_typeEbEEZZNS1_14partition_implILS5_6ELb0ES3_mN6thrust23THRUST_200600_302600_NS6detail15normal_iteratorINSA_10device_ptrIiEEEEPS6_SG_NS0_5tupleIJNSA_16discard_iteratorINSA_11use_defaultEEES6_EEENSH_IJSG_SG_EEES6_PlJNSB_9not_fun_tINSB_14equal_to_valueIiEEEEEEE10hipError_tPvRmT3_T4_T5_T6_T7_T9_mT8_P12ihipStream_tbDpT10_ENKUlT_T0_E_clISt17integral_constantIbLb1EES1A_IbLb0EEEEDaS16_S17_EUlS16_E_NS1_11comp_targetILNS1_3genE4ELNS1_11target_archE910ELNS1_3gpuE8ELNS1_3repE0EEENS1_30default_config_static_selectorELNS0_4arch9wavefront6targetE0EEEvT1_,"axG",@progbits,_ZN7rocprim17ROCPRIM_400000_NS6detail17trampoline_kernelINS0_14default_configENS1_25partition_config_selectorILNS1_17partition_subalgoE6EiNS0_10empty_typeEbEEZZNS1_14partition_implILS5_6ELb0ES3_mN6thrust23THRUST_200600_302600_NS6detail15normal_iteratorINSA_10device_ptrIiEEEEPS6_SG_NS0_5tupleIJNSA_16discard_iteratorINSA_11use_defaultEEES6_EEENSH_IJSG_SG_EEES6_PlJNSB_9not_fun_tINSB_14equal_to_valueIiEEEEEEE10hipError_tPvRmT3_T4_T5_T6_T7_T9_mT8_P12ihipStream_tbDpT10_ENKUlT_T0_E_clISt17integral_constantIbLb1EES1A_IbLb0EEEEDaS16_S17_EUlS16_E_NS1_11comp_targetILNS1_3genE4ELNS1_11target_archE910ELNS1_3gpuE8ELNS1_3repE0EEENS1_30default_config_static_selectorELNS0_4arch9wavefront6targetE0EEEvT1_,comdat
.Lfunc_end1775:
	.size	_ZN7rocprim17ROCPRIM_400000_NS6detail17trampoline_kernelINS0_14default_configENS1_25partition_config_selectorILNS1_17partition_subalgoE6EiNS0_10empty_typeEbEEZZNS1_14partition_implILS5_6ELb0ES3_mN6thrust23THRUST_200600_302600_NS6detail15normal_iteratorINSA_10device_ptrIiEEEEPS6_SG_NS0_5tupleIJNSA_16discard_iteratorINSA_11use_defaultEEES6_EEENSH_IJSG_SG_EEES6_PlJNSB_9not_fun_tINSB_14equal_to_valueIiEEEEEEE10hipError_tPvRmT3_T4_T5_T6_T7_T9_mT8_P12ihipStream_tbDpT10_ENKUlT_T0_E_clISt17integral_constantIbLb1EES1A_IbLb0EEEEDaS16_S17_EUlS16_E_NS1_11comp_targetILNS1_3genE4ELNS1_11target_archE910ELNS1_3gpuE8ELNS1_3repE0EEENS1_30default_config_static_selectorELNS0_4arch9wavefront6targetE0EEEvT1_, .Lfunc_end1775-_ZN7rocprim17ROCPRIM_400000_NS6detail17trampoline_kernelINS0_14default_configENS1_25partition_config_selectorILNS1_17partition_subalgoE6EiNS0_10empty_typeEbEEZZNS1_14partition_implILS5_6ELb0ES3_mN6thrust23THRUST_200600_302600_NS6detail15normal_iteratorINSA_10device_ptrIiEEEEPS6_SG_NS0_5tupleIJNSA_16discard_iteratorINSA_11use_defaultEEES6_EEENSH_IJSG_SG_EEES6_PlJNSB_9not_fun_tINSB_14equal_to_valueIiEEEEEEE10hipError_tPvRmT3_T4_T5_T6_T7_T9_mT8_P12ihipStream_tbDpT10_ENKUlT_T0_E_clISt17integral_constantIbLb1EES1A_IbLb0EEEEDaS16_S17_EUlS16_E_NS1_11comp_targetILNS1_3genE4ELNS1_11target_archE910ELNS1_3gpuE8ELNS1_3repE0EEENS1_30default_config_static_selectorELNS0_4arch9wavefront6targetE0EEEvT1_
                                        ; -- End function
	.set _ZN7rocprim17ROCPRIM_400000_NS6detail17trampoline_kernelINS0_14default_configENS1_25partition_config_selectorILNS1_17partition_subalgoE6EiNS0_10empty_typeEbEEZZNS1_14partition_implILS5_6ELb0ES3_mN6thrust23THRUST_200600_302600_NS6detail15normal_iteratorINSA_10device_ptrIiEEEEPS6_SG_NS0_5tupleIJNSA_16discard_iteratorINSA_11use_defaultEEES6_EEENSH_IJSG_SG_EEES6_PlJNSB_9not_fun_tINSB_14equal_to_valueIiEEEEEEE10hipError_tPvRmT3_T4_T5_T6_T7_T9_mT8_P12ihipStream_tbDpT10_ENKUlT_T0_E_clISt17integral_constantIbLb1EES1A_IbLb0EEEEDaS16_S17_EUlS16_E_NS1_11comp_targetILNS1_3genE4ELNS1_11target_archE910ELNS1_3gpuE8ELNS1_3repE0EEENS1_30default_config_static_selectorELNS0_4arch9wavefront6targetE0EEEvT1_.num_vgpr, 0
	.set _ZN7rocprim17ROCPRIM_400000_NS6detail17trampoline_kernelINS0_14default_configENS1_25partition_config_selectorILNS1_17partition_subalgoE6EiNS0_10empty_typeEbEEZZNS1_14partition_implILS5_6ELb0ES3_mN6thrust23THRUST_200600_302600_NS6detail15normal_iteratorINSA_10device_ptrIiEEEEPS6_SG_NS0_5tupleIJNSA_16discard_iteratorINSA_11use_defaultEEES6_EEENSH_IJSG_SG_EEES6_PlJNSB_9not_fun_tINSB_14equal_to_valueIiEEEEEEE10hipError_tPvRmT3_T4_T5_T6_T7_T9_mT8_P12ihipStream_tbDpT10_ENKUlT_T0_E_clISt17integral_constantIbLb1EES1A_IbLb0EEEEDaS16_S17_EUlS16_E_NS1_11comp_targetILNS1_3genE4ELNS1_11target_archE910ELNS1_3gpuE8ELNS1_3repE0EEENS1_30default_config_static_selectorELNS0_4arch9wavefront6targetE0EEEvT1_.num_agpr, 0
	.set _ZN7rocprim17ROCPRIM_400000_NS6detail17trampoline_kernelINS0_14default_configENS1_25partition_config_selectorILNS1_17partition_subalgoE6EiNS0_10empty_typeEbEEZZNS1_14partition_implILS5_6ELb0ES3_mN6thrust23THRUST_200600_302600_NS6detail15normal_iteratorINSA_10device_ptrIiEEEEPS6_SG_NS0_5tupleIJNSA_16discard_iteratorINSA_11use_defaultEEES6_EEENSH_IJSG_SG_EEES6_PlJNSB_9not_fun_tINSB_14equal_to_valueIiEEEEEEE10hipError_tPvRmT3_T4_T5_T6_T7_T9_mT8_P12ihipStream_tbDpT10_ENKUlT_T0_E_clISt17integral_constantIbLb1EES1A_IbLb0EEEEDaS16_S17_EUlS16_E_NS1_11comp_targetILNS1_3genE4ELNS1_11target_archE910ELNS1_3gpuE8ELNS1_3repE0EEENS1_30default_config_static_selectorELNS0_4arch9wavefront6targetE0EEEvT1_.numbered_sgpr, 0
	.set _ZN7rocprim17ROCPRIM_400000_NS6detail17trampoline_kernelINS0_14default_configENS1_25partition_config_selectorILNS1_17partition_subalgoE6EiNS0_10empty_typeEbEEZZNS1_14partition_implILS5_6ELb0ES3_mN6thrust23THRUST_200600_302600_NS6detail15normal_iteratorINSA_10device_ptrIiEEEEPS6_SG_NS0_5tupleIJNSA_16discard_iteratorINSA_11use_defaultEEES6_EEENSH_IJSG_SG_EEES6_PlJNSB_9not_fun_tINSB_14equal_to_valueIiEEEEEEE10hipError_tPvRmT3_T4_T5_T6_T7_T9_mT8_P12ihipStream_tbDpT10_ENKUlT_T0_E_clISt17integral_constantIbLb1EES1A_IbLb0EEEEDaS16_S17_EUlS16_E_NS1_11comp_targetILNS1_3genE4ELNS1_11target_archE910ELNS1_3gpuE8ELNS1_3repE0EEENS1_30default_config_static_selectorELNS0_4arch9wavefront6targetE0EEEvT1_.num_named_barrier, 0
	.set _ZN7rocprim17ROCPRIM_400000_NS6detail17trampoline_kernelINS0_14default_configENS1_25partition_config_selectorILNS1_17partition_subalgoE6EiNS0_10empty_typeEbEEZZNS1_14partition_implILS5_6ELb0ES3_mN6thrust23THRUST_200600_302600_NS6detail15normal_iteratorINSA_10device_ptrIiEEEEPS6_SG_NS0_5tupleIJNSA_16discard_iteratorINSA_11use_defaultEEES6_EEENSH_IJSG_SG_EEES6_PlJNSB_9not_fun_tINSB_14equal_to_valueIiEEEEEEE10hipError_tPvRmT3_T4_T5_T6_T7_T9_mT8_P12ihipStream_tbDpT10_ENKUlT_T0_E_clISt17integral_constantIbLb1EES1A_IbLb0EEEEDaS16_S17_EUlS16_E_NS1_11comp_targetILNS1_3genE4ELNS1_11target_archE910ELNS1_3gpuE8ELNS1_3repE0EEENS1_30default_config_static_selectorELNS0_4arch9wavefront6targetE0EEEvT1_.private_seg_size, 0
	.set _ZN7rocprim17ROCPRIM_400000_NS6detail17trampoline_kernelINS0_14default_configENS1_25partition_config_selectorILNS1_17partition_subalgoE6EiNS0_10empty_typeEbEEZZNS1_14partition_implILS5_6ELb0ES3_mN6thrust23THRUST_200600_302600_NS6detail15normal_iteratorINSA_10device_ptrIiEEEEPS6_SG_NS0_5tupleIJNSA_16discard_iteratorINSA_11use_defaultEEES6_EEENSH_IJSG_SG_EEES6_PlJNSB_9not_fun_tINSB_14equal_to_valueIiEEEEEEE10hipError_tPvRmT3_T4_T5_T6_T7_T9_mT8_P12ihipStream_tbDpT10_ENKUlT_T0_E_clISt17integral_constantIbLb1EES1A_IbLb0EEEEDaS16_S17_EUlS16_E_NS1_11comp_targetILNS1_3genE4ELNS1_11target_archE910ELNS1_3gpuE8ELNS1_3repE0EEENS1_30default_config_static_selectorELNS0_4arch9wavefront6targetE0EEEvT1_.uses_vcc, 0
	.set _ZN7rocprim17ROCPRIM_400000_NS6detail17trampoline_kernelINS0_14default_configENS1_25partition_config_selectorILNS1_17partition_subalgoE6EiNS0_10empty_typeEbEEZZNS1_14partition_implILS5_6ELb0ES3_mN6thrust23THRUST_200600_302600_NS6detail15normal_iteratorINSA_10device_ptrIiEEEEPS6_SG_NS0_5tupleIJNSA_16discard_iteratorINSA_11use_defaultEEES6_EEENSH_IJSG_SG_EEES6_PlJNSB_9not_fun_tINSB_14equal_to_valueIiEEEEEEE10hipError_tPvRmT3_T4_T5_T6_T7_T9_mT8_P12ihipStream_tbDpT10_ENKUlT_T0_E_clISt17integral_constantIbLb1EES1A_IbLb0EEEEDaS16_S17_EUlS16_E_NS1_11comp_targetILNS1_3genE4ELNS1_11target_archE910ELNS1_3gpuE8ELNS1_3repE0EEENS1_30default_config_static_selectorELNS0_4arch9wavefront6targetE0EEEvT1_.uses_flat_scratch, 0
	.set _ZN7rocprim17ROCPRIM_400000_NS6detail17trampoline_kernelINS0_14default_configENS1_25partition_config_selectorILNS1_17partition_subalgoE6EiNS0_10empty_typeEbEEZZNS1_14partition_implILS5_6ELb0ES3_mN6thrust23THRUST_200600_302600_NS6detail15normal_iteratorINSA_10device_ptrIiEEEEPS6_SG_NS0_5tupleIJNSA_16discard_iteratorINSA_11use_defaultEEES6_EEENSH_IJSG_SG_EEES6_PlJNSB_9not_fun_tINSB_14equal_to_valueIiEEEEEEE10hipError_tPvRmT3_T4_T5_T6_T7_T9_mT8_P12ihipStream_tbDpT10_ENKUlT_T0_E_clISt17integral_constantIbLb1EES1A_IbLb0EEEEDaS16_S17_EUlS16_E_NS1_11comp_targetILNS1_3genE4ELNS1_11target_archE910ELNS1_3gpuE8ELNS1_3repE0EEENS1_30default_config_static_selectorELNS0_4arch9wavefront6targetE0EEEvT1_.has_dyn_sized_stack, 0
	.set _ZN7rocprim17ROCPRIM_400000_NS6detail17trampoline_kernelINS0_14default_configENS1_25partition_config_selectorILNS1_17partition_subalgoE6EiNS0_10empty_typeEbEEZZNS1_14partition_implILS5_6ELb0ES3_mN6thrust23THRUST_200600_302600_NS6detail15normal_iteratorINSA_10device_ptrIiEEEEPS6_SG_NS0_5tupleIJNSA_16discard_iteratorINSA_11use_defaultEEES6_EEENSH_IJSG_SG_EEES6_PlJNSB_9not_fun_tINSB_14equal_to_valueIiEEEEEEE10hipError_tPvRmT3_T4_T5_T6_T7_T9_mT8_P12ihipStream_tbDpT10_ENKUlT_T0_E_clISt17integral_constantIbLb1EES1A_IbLb0EEEEDaS16_S17_EUlS16_E_NS1_11comp_targetILNS1_3genE4ELNS1_11target_archE910ELNS1_3gpuE8ELNS1_3repE0EEENS1_30default_config_static_selectorELNS0_4arch9wavefront6targetE0EEEvT1_.has_recursion, 0
	.set _ZN7rocprim17ROCPRIM_400000_NS6detail17trampoline_kernelINS0_14default_configENS1_25partition_config_selectorILNS1_17partition_subalgoE6EiNS0_10empty_typeEbEEZZNS1_14partition_implILS5_6ELb0ES3_mN6thrust23THRUST_200600_302600_NS6detail15normal_iteratorINSA_10device_ptrIiEEEEPS6_SG_NS0_5tupleIJNSA_16discard_iteratorINSA_11use_defaultEEES6_EEENSH_IJSG_SG_EEES6_PlJNSB_9not_fun_tINSB_14equal_to_valueIiEEEEEEE10hipError_tPvRmT3_T4_T5_T6_T7_T9_mT8_P12ihipStream_tbDpT10_ENKUlT_T0_E_clISt17integral_constantIbLb1EES1A_IbLb0EEEEDaS16_S17_EUlS16_E_NS1_11comp_targetILNS1_3genE4ELNS1_11target_archE910ELNS1_3gpuE8ELNS1_3repE0EEENS1_30default_config_static_selectorELNS0_4arch9wavefront6targetE0EEEvT1_.has_indirect_call, 0
	.section	.AMDGPU.csdata,"",@progbits
; Kernel info:
; codeLenInByte = 0
; TotalNumSgprs: 0
; NumVgprs: 0
; ScratchSize: 0
; MemoryBound: 0
; FloatMode: 240
; IeeeMode: 1
; LDSByteSize: 0 bytes/workgroup (compile time only)
; SGPRBlocks: 0
; VGPRBlocks: 0
; NumSGPRsForWavesPerEU: 1
; NumVGPRsForWavesPerEU: 1
; Occupancy: 16
; WaveLimiterHint : 0
; COMPUTE_PGM_RSRC2:SCRATCH_EN: 0
; COMPUTE_PGM_RSRC2:USER_SGPR: 2
; COMPUTE_PGM_RSRC2:TRAP_HANDLER: 0
; COMPUTE_PGM_RSRC2:TGID_X_EN: 1
; COMPUTE_PGM_RSRC2:TGID_Y_EN: 0
; COMPUTE_PGM_RSRC2:TGID_Z_EN: 0
; COMPUTE_PGM_RSRC2:TIDIG_COMP_CNT: 0
	.section	.text._ZN7rocprim17ROCPRIM_400000_NS6detail17trampoline_kernelINS0_14default_configENS1_25partition_config_selectorILNS1_17partition_subalgoE6EiNS0_10empty_typeEbEEZZNS1_14partition_implILS5_6ELb0ES3_mN6thrust23THRUST_200600_302600_NS6detail15normal_iteratorINSA_10device_ptrIiEEEEPS6_SG_NS0_5tupleIJNSA_16discard_iteratorINSA_11use_defaultEEES6_EEENSH_IJSG_SG_EEES6_PlJNSB_9not_fun_tINSB_14equal_to_valueIiEEEEEEE10hipError_tPvRmT3_T4_T5_T6_T7_T9_mT8_P12ihipStream_tbDpT10_ENKUlT_T0_E_clISt17integral_constantIbLb1EES1A_IbLb0EEEEDaS16_S17_EUlS16_E_NS1_11comp_targetILNS1_3genE3ELNS1_11target_archE908ELNS1_3gpuE7ELNS1_3repE0EEENS1_30default_config_static_selectorELNS0_4arch9wavefront6targetE0EEEvT1_,"axG",@progbits,_ZN7rocprim17ROCPRIM_400000_NS6detail17trampoline_kernelINS0_14default_configENS1_25partition_config_selectorILNS1_17partition_subalgoE6EiNS0_10empty_typeEbEEZZNS1_14partition_implILS5_6ELb0ES3_mN6thrust23THRUST_200600_302600_NS6detail15normal_iteratorINSA_10device_ptrIiEEEEPS6_SG_NS0_5tupleIJNSA_16discard_iteratorINSA_11use_defaultEEES6_EEENSH_IJSG_SG_EEES6_PlJNSB_9not_fun_tINSB_14equal_to_valueIiEEEEEEE10hipError_tPvRmT3_T4_T5_T6_T7_T9_mT8_P12ihipStream_tbDpT10_ENKUlT_T0_E_clISt17integral_constantIbLb1EES1A_IbLb0EEEEDaS16_S17_EUlS16_E_NS1_11comp_targetILNS1_3genE3ELNS1_11target_archE908ELNS1_3gpuE7ELNS1_3repE0EEENS1_30default_config_static_selectorELNS0_4arch9wavefront6targetE0EEEvT1_,comdat
	.protected	_ZN7rocprim17ROCPRIM_400000_NS6detail17trampoline_kernelINS0_14default_configENS1_25partition_config_selectorILNS1_17partition_subalgoE6EiNS0_10empty_typeEbEEZZNS1_14partition_implILS5_6ELb0ES3_mN6thrust23THRUST_200600_302600_NS6detail15normal_iteratorINSA_10device_ptrIiEEEEPS6_SG_NS0_5tupleIJNSA_16discard_iteratorINSA_11use_defaultEEES6_EEENSH_IJSG_SG_EEES6_PlJNSB_9not_fun_tINSB_14equal_to_valueIiEEEEEEE10hipError_tPvRmT3_T4_T5_T6_T7_T9_mT8_P12ihipStream_tbDpT10_ENKUlT_T0_E_clISt17integral_constantIbLb1EES1A_IbLb0EEEEDaS16_S17_EUlS16_E_NS1_11comp_targetILNS1_3genE3ELNS1_11target_archE908ELNS1_3gpuE7ELNS1_3repE0EEENS1_30default_config_static_selectorELNS0_4arch9wavefront6targetE0EEEvT1_ ; -- Begin function _ZN7rocprim17ROCPRIM_400000_NS6detail17trampoline_kernelINS0_14default_configENS1_25partition_config_selectorILNS1_17partition_subalgoE6EiNS0_10empty_typeEbEEZZNS1_14partition_implILS5_6ELb0ES3_mN6thrust23THRUST_200600_302600_NS6detail15normal_iteratorINSA_10device_ptrIiEEEEPS6_SG_NS0_5tupleIJNSA_16discard_iteratorINSA_11use_defaultEEES6_EEENSH_IJSG_SG_EEES6_PlJNSB_9not_fun_tINSB_14equal_to_valueIiEEEEEEE10hipError_tPvRmT3_T4_T5_T6_T7_T9_mT8_P12ihipStream_tbDpT10_ENKUlT_T0_E_clISt17integral_constantIbLb1EES1A_IbLb0EEEEDaS16_S17_EUlS16_E_NS1_11comp_targetILNS1_3genE3ELNS1_11target_archE908ELNS1_3gpuE7ELNS1_3repE0EEENS1_30default_config_static_selectorELNS0_4arch9wavefront6targetE0EEEvT1_
	.globl	_ZN7rocprim17ROCPRIM_400000_NS6detail17trampoline_kernelINS0_14default_configENS1_25partition_config_selectorILNS1_17partition_subalgoE6EiNS0_10empty_typeEbEEZZNS1_14partition_implILS5_6ELb0ES3_mN6thrust23THRUST_200600_302600_NS6detail15normal_iteratorINSA_10device_ptrIiEEEEPS6_SG_NS0_5tupleIJNSA_16discard_iteratorINSA_11use_defaultEEES6_EEENSH_IJSG_SG_EEES6_PlJNSB_9not_fun_tINSB_14equal_to_valueIiEEEEEEE10hipError_tPvRmT3_T4_T5_T6_T7_T9_mT8_P12ihipStream_tbDpT10_ENKUlT_T0_E_clISt17integral_constantIbLb1EES1A_IbLb0EEEEDaS16_S17_EUlS16_E_NS1_11comp_targetILNS1_3genE3ELNS1_11target_archE908ELNS1_3gpuE7ELNS1_3repE0EEENS1_30default_config_static_selectorELNS0_4arch9wavefront6targetE0EEEvT1_
	.p2align	8
	.type	_ZN7rocprim17ROCPRIM_400000_NS6detail17trampoline_kernelINS0_14default_configENS1_25partition_config_selectorILNS1_17partition_subalgoE6EiNS0_10empty_typeEbEEZZNS1_14partition_implILS5_6ELb0ES3_mN6thrust23THRUST_200600_302600_NS6detail15normal_iteratorINSA_10device_ptrIiEEEEPS6_SG_NS0_5tupleIJNSA_16discard_iteratorINSA_11use_defaultEEES6_EEENSH_IJSG_SG_EEES6_PlJNSB_9not_fun_tINSB_14equal_to_valueIiEEEEEEE10hipError_tPvRmT3_T4_T5_T6_T7_T9_mT8_P12ihipStream_tbDpT10_ENKUlT_T0_E_clISt17integral_constantIbLb1EES1A_IbLb0EEEEDaS16_S17_EUlS16_E_NS1_11comp_targetILNS1_3genE3ELNS1_11target_archE908ELNS1_3gpuE7ELNS1_3repE0EEENS1_30default_config_static_selectorELNS0_4arch9wavefront6targetE0EEEvT1_,@function
_ZN7rocprim17ROCPRIM_400000_NS6detail17trampoline_kernelINS0_14default_configENS1_25partition_config_selectorILNS1_17partition_subalgoE6EiNS0_10empty_typeEbEEZZNS1_14partition_implILS5_6ELb0ES3_mN6thrust23THRUST_200600_302600_NS6detail15normal_iteratorINSA_10device_ptrIiEEEEPS6_SG_NS0_5tupleIJNSA_16discard_iteratorINSA_11use_defaultEEES6_EEENSH_IJSG_SG_EEES6_PlJNSB_9not_fun_tINSB_14equal_to_valueIiEEEEEEE10hipError_tPvRmT3_T4_T5_T6_T7_T9_mT8_P12ihipStream_tbDpT10_ENKUlT_T0_E_clISt17integral_constantIbLb1EES1A_IbLb0EEEEDaS16_S17_EUlS16_E_NS1_11comp_targetILNS1_3genE3ELNS1_11target_archE908ELNS1_3gpuE7ELNS1_3repE0EEENS1_30default_config_static_selectorELNS0_4arch9wavefront6targetE0EEEvT1_: ; @_ZN7rocprim17ROCPRIM_400000_NS6detail17trampoline_kernelINS0_14default_configENS1_25partition_config_selectorILNS1_17partition_subalgoE6EiNS0_10empty_typeEbEEZZNS1_14partition_implILS5_6ELb0ES3_mN6thrust23THRUST_200600_302600_NS6detail15normal_iteratorINSA_10device_ptrIiEEEEPS6_SG_NS0_5tupleIJNSA_16discard_iteratorINSA_11use_defaultEEES6_EEENSH_IJSG_SG_EEES6_PlJNSB_9not_fun_tINSB_14equal_to_valueIiEEEEEEE10hipError_tPvRmT3_T4_T5_T6_T7_T9_mT8_P12ihipStream_tbDpT10_ENKUlT_T0_E_clISt17integral_constantIbLb1EES1A_IbLb0EEEEDaS16_S17_EUlS16_E_NS1_11comp_targetILNS1_3genE3ELNS1_11target_archE908ELNS1_3gpuE7ELNS1_3repE0EEENS1_30default_config_static_selectorELNS0_4arch9wavefront6targetE0EEEvT1_
; %bb.0:
	.section	.rodata,"a",@progbits
	.p2align	6, 0x0
	.amdhsa_kernel _ZN7rocprim17ROCPRIM_400000_NS6detail17trampoline_kernelINS0_14default_configENS1_25partition_config_selectorILNS1_17partition_subalgoE6EiNS0_10empty_typeEbEEZZNS1_14partition_implILS5_6ELb0ES3_mN6thrust23THRUST_200600_302600_NS6detail15normal_iteratorINSA_10device_ptrIiEEEEPS6_SG_NS0_5tupleIJNSA_16discard_iteratorINSA_11use_defaultEEES6_EEENSH_IJSG_SG_EEES6_PlJNSB_9not_fun_tINSB_14equal_to_valueIiEEEEEEE10hipError_tPvRmT3_T4_T5_T6_T7_T9_mT8_P12ihipStream_tbDpT10_ENKUlT_T0_E_clISt17integral_constantIbLb1EES1A_IbLb0EEEEDaS16_S17_EUlS16_E_NS1_11comp_targetILNS1_3genE3ELNS1_11target_archE908ELNS1_3gpuE7ELNS1_3repE0EEENS1_30default_config_static_selectorELNS0_4arch9wavefront6targetE0EEEvT1_
		.amdhsa_group_segment_fixed_size 0
		.amdhsa_private_segment_fixed_size 0
		.amdhsa_kernarg_size 128
		.amdhsa_user_sgpr_count 2
		.amdhsa_user_sgpr_dispatch_ptr 0
		.amdhsa_user_sgpr_queue_ptr 0
		.amdhsa_user_sgpr_kernarg_segment_ptr 1
		.amdhsa_user_sgpr_dispatch_id 0
		.amdhsa_user_sgpr_private_segment_size 0
		.amdhsa_wavefront_size32 1
		.amdhsa_uses_dynamic_stack 0
		.amdhsa_enable_private_segment 0
		.amdhsa_system_sgpr_workgroup_id_x 1
		.amdhsa_system_sgpr_workgroup_id_y 0
		.amdhsa_system_sgpr_workgroup_id_z 0
		.amdhsa_system_sgpr_workgroup_info 0
		.amdhsa_system_vgpr_workitem_id 0
		.amdhsa_next_free_vgpr 1
		.amdhsa_next_free_sgpr 1
		.amdhsa_reserve_vcc 0
		.amdhsa_float_round_mode_32 0
		.amdhsa_float_round_mode_16_64 0
		.amdhsa_float_denorm_mode_32 3
		.amdhsa_float_denorm_mode_16_64 3
		.amdhsa_fp16_overflow 0
		.amdhsa_workgroup_processor_mode 1
		.amdhsa_memory_ordered 1
		.amdhsa_forward_progress 1
		.amdhsa_inst_pref_size 0
		.amdhsa_round_robin_scheduling 0
		.amdhsa_exception_fp_ieee_invalid_op 0
		.amdhsa_exception_fp_denorm_src 0
		.amdhsa_exception_fp_ieee_div_zero 0
		.amdhsa_exception_fp_ieee_overflow 0
		.amdhsa_exception_fp_ieee_underflow 0
		.amdhsa_exception_fp_ieee_inexact 0
		.amdhsa_exception_int_div_zero 0
	.end_amdhsa_kernel
	.section	.text._ZN7rocprim17ROCPRIM_400000_NS6detail17trampoline_kernelINS0_14default_configENS1_25partition_config_selectorILNS1_17partition_subalgoE6EiNS0_10empty_typeEbEEZZNS1_14partition_implILS5_6ELb0ES3_mN6thrust23THRUST_200600_302600_NS6detail15normal_iteratorINSA_10device_ptrIiEEEEPS6_SG_NS0_5tupleIJNSA_16discard_iteratorINSA_11use_defaultEEES6_EEENSH_IJSG_SG_EEES6_PlJNSB_9not_fun_tINSB_14equal_to_valueIiEEEEEEE10hipError_tPvRmT3_T4_T5_T6_T7_T9_mT8_P12ihipStream_tbDpT10_ENKUlT_T0_E_clISt17integral_constantIbLb1EES1A_IbLb0EEEEDaS16_S17_EUlS16_E_NS1_11comp_targetILNS1_3genE3ELNS1_11target_archE908ELNS1_3gpuE7ELNS1_3repE0EEENS1_30default_config_static_selectorELNS0_4arch9wavefront6targetE0EEEvT1_,"axG",@progbits,_ZN7rocprim17ROCPRIM_400000_NS6detail17trampoline_kernelINS0_14default_configENS1_25partition_config_selectorILNS1_17partition_subalgoE6EiNS0_10empty_typeEbEEZZNS1_14partition_implILS5_6ELb0ES3_mN6thrust23THRUST_200600_302600_NS6detail15normal_iteratorINSA_10device_ptrIiEEEEPS6_SG_NS0_5tupleIJNSA_16discard_iteratorINSA_11use_defaultEEES6_EEENSH_IJSG_SG_EEES6_PlJNSB_9not_fun_tINSB_14equal_to_valueIiEEEEEEE10hipError_tPvRmT3_T4_T5_T6_T7_T9_mT8_P12ihipStream_tbDpT10_ENKUlT_T0_E_clISt17integral_constantIbLb1EES1A_IbLb0EEEEDaS16_S17_EUlS16_E_NS1_11comp_targetILNS1_3genE3ELNS1_11target_archE908ELNS1_3gpuE7ELNS1_3repE0EEENS1_30default_config_static_selectorELNS0_4arch9wavefront6targetE0EEEvT1_,comdat
.Lfunc_end1776:
	.size	_ZN7rocprim17ROCPRIM_400000_NS6detail17trampoline_kernelINS0_14default_configENS1_25partition_config_selectorILNS1_17partition_subalgoE6EiNS0_10empty_typeEbEEZZNS1_14partition_implILS5_6ELb0ES3_mN6thrust23THRUST_200600_302600_NS6detail15normal_iteratorINSA_10device_ptrIiEEEEPS6_SG_NS0_5tupleIJNSA_16discard_iteratorINSA_11use_defaultEEES6_EEENSH_IJSG_SG_EEES6_PlJNSB_9not_fun_tINSB_14equal_to_valueIiEEEEEEE10hipError_tPvRmT3_T4_T5_T6_T7_T9_mT8_P12ihipStream_tbDpT10_ENKUlT_T0_E_clISt17integral_constantIbLb1EES1A_IbLb0EEEEDaS16_S17_EUlS16_E_NS1_11comp_targetILNS1_3genE3ELNS1_11target_archE908ELNS1_3gpuE7ELNS1_3repE0EEENS1_30default_config_static_selectorELNS0_4arch9wavefront6targetE0EEEvT1_, .Lfunc_end1776-_ZN7rocprim17ROCPRIM_400000_NS6detail17trampoline_kernelINS0_14default_configENS1_25partition_config_selectorILNS1_17partition_subalgoE6EiNS0_10empty_typeEbEEZZNS1_14partition_implILS5_6ELb0ES3_mN6thrust23THRUST_200600_302600_NS6detail15normal_iteratorINSA_10device_ptrIiEEEEPS6_SG_NS0_5tupleIJNSA_16discard_iteratorINSA_11use_defaultEEES6_EEENSH_IJSG_SG_EEES6_PlJNSB_9not_fun_tINSB_14equal_to_valueIiEEEEEEE10hipError_tPvRmT3_T4_T5_T6_T7_T9_mT8_P12ihipStream_tbDpT10_ENKUlT_T0_E_clISt17integral_constantIbLb1EES1A_IbLb0EEEEDaS16_S17_EUlS16_E_NS1_11comp_targetILNS1_3genE3ELNS1_11target_archE908ELNS1_3gpuE7ELNS1_3repE0EEENS1_30default_config_static_selectorELNS0_4arch9wavefront6targetE0EEEvT1_
                                        ; -- End function
	.set _ZN7rocprim17ROCPRIM_400000_NS6detail17trampoline_kernelINS0_14default_configENS1_25partition_config_selectorILNS1_17partition_subalgoE6EiNS0_10empty_typeEbEEZZNS1_14partition_implILS5_6ELb0ES3_mN6thrust23THRUST_200600_302600_NS6detail15normal_iteratorINSA_10device_ptrIiEEEEPS6_SG_NS0_5tupleIJNSA_16discard_iteratorINSA_11use_defaultEEES6_EEENSH_IJSG_SG_EEES6_PlJNSB_9not_fun_tINSB_14equal_to_valueIiEEEEEEE10hipError_tPvRmT3_T4_T5_T6_T7_T9_mT8_P12ihipStream_tbDpT10_ENKUlT_T0_E_clISt17integral_constantIbLb1EES1A_IbLb0EEEEDaS16_S17_EUlS16_E_NS1_11comp_targetILNS1_3genE3ELNS1_11target_archE908ELNS1_3gpuE7ELNS1_3repE0EEENS1_30default_config_static_selectorELNS0_4arch9wavefront6targetE0EEEvT1_.num_vgpr, 0
	.set _ZN7rocprim17ROCPRIM_400000_NS6detail17trampoline_kernelINS0_14default_configENS1_25partition_config_selectorILNS1_17partition_subalgoE6EiNS0_10empty_typeEbEEZZNS1_14partition_implILS5_6ELb0ES3_mN6thrust23THRUST_200600_302600_NS6detail15normal_iteratorINSA_10device_ptrIiEEEEPS6_SG_NS0_5tupleIJNSA_16discard_iteratorINSA_11use_defaultEEES6_EEENSH_IJSG_SG_EEES6_PlJNSB_9not_fun_tINSB_14equal_to_valueIiEEEEEEE10hipError_tPvRmT3_T4_T5_T6_T7_T9_mT8_P12ihipStream_tbDpT10_ENKUlT_T0_E_clISt17integral_constantIbLb1EES1A_IbLb0EEEEDaS16_S17_EUlS16_E_NS1_11comp_targetILNS1_3genE3ELNS1_11target_archE908ELNS1_3gpuE7ELNS1_3repE0EEENS1_30default_config_static_selectorELNS0_4arch9wavefront6targetE0EEEvT1_.num_agpr, 0
	.set _ZN7rocprim17ROCPRIM_400000_NS6detail17trampoline_kernelINS0_14default_configENS1_25partition_config_selectorILNS1_17partition_subalgoE6EiNS0_10empty_typeEbEEZZNS1_14partition_implILS5_6ELb0ES3_mN6thrust23THRUST_200600_302600_NS6detail15normal_iteratorINSA_10device_ptrIiEEEEPS6_SG_NS0_5tupleIJNSA_16discard_iteratorINSA_11use_defaultEEES6_EEENSH_IJSG_SG_EEES6_PlJNSB_9not_fun_tINSB_14equal_to_valueIiEEEEEEE10hipError_tPvRmT3_T4_T5_T6_T7_T9_mT8_P12ihipStream_tbDpT10_ENKUlT_T0_E_clISt17integral_constantIbLb1EES1A_IbLb0EEEEDaS16_S17_EUlS16_E_NS1_11comp_targetILNS1_3genE3ELNS1_11target_archE908ELNS1_3gpuE7ELNS1_3repE0EEENS1_30default_config_static_selectorELNS0_4arch9wavefront6targetE0EEEvT1_.numbered_sgpr, 0
	.set _ZN7rocprim17ROCPRIM_400000_NS6detail17trampoline_kernelINS0_14default_configENS1_25partition_config_selectorILNS1_17partition_subalgoE6EiNS0_10empty_typeEbEEZZNS1_14partition_implILS5_6ELb0ES3_mN6thrust23THRUST_200600_302600_NS6detail15normal_iteratorINSA_10device_ptrIiEEEEPS6_SG_NS0_5tupleIJNSA_16discard_iteratorINSA_11use_defaultEEES6_EEENSH_IJSG_SG_EEES6_PlJNSB_9not_fun_tINSB_14equal_to_valueIiEEEEEEE10hipError_tPvRmT3_T4_T5_T6_T7_T9_mT8_P12ihipStream_tbDpT10_ENKUlT_T0_E_clISt17integral_constantIbLb1EES1A_IbLb0EEEEDaS16_S17_EUlS16_E_NS1_11comp_targetILNS1_3genE3ELNS1_11target_archE908ELNS1_3gpuE7ELNS1_3repE0EEENS1_30default_config_static_selectorELNS0_4arch9wavefront6targetE0EEEvT1_.num_named_barrier, 0
	.set _ZN7rocprim17ROCPRIM_400000_NS6detail17trampoline_kernelINS0_14default_configENS1_25partition_config_selectorILNS1_17partition_subalgoE6EiNS0_10empty_typeEbEEZZNS1_14partition_implILS5_6ELb0ES3_mN6thrust23THRUST_200600_302600_NS6detail15normal_iteratorINSA_10device_ptrIiEEEEPS6_SG_NS0_5tupleIJNSA_16discard_iteratorINSA_11use_defaultEEES6_EEENSH_IJSG_SG_EEES6_PlJNSB_9not_fun_tINSB_14equal_to_valueIiEEEEEEE10hipError_tPvRmT3_T4_T5_T6_T7_T9_mT8_P12ihipStream_tbDpT10_ENKUlT_T0_E_clISt17integral_constantIbLb1EES1A_IbLb0EEEEDaS16_S17_EUlS16_E_NS1_11comp_targetILNS1_3genE3ELNS1_11target_archE908ELNS1_3gpuE7ELNS1_3repE0EEENS1_30default_config_static_selectorELNS0_4arch9wavefront6targetE0EEEvT1_.private_seg_size, 0
	.set _ZN7rocprim17ROCPRIM_400000_NS6detail17trampoline_kernelINS0_14default_configENS1_25partition_config_selectorILNS1_17partition_subalgoE6EiNS0_10empty_typeEbEEZZNS1_14partition_implILS5_6ELb0ES3_mN6thrust23THRUST_200600_302600_NS6detail15normal_iteratorINSA_10device_ptrIiEEEEPS6_SG_NS0_5tupleIJNSA_16discard_iteratorINSA_11use_defaultEEES6_EEENSH_IJSG_SG_EEES6_PlJNSB_9not_fun_tINSB_14equal_to_valueIiEEEEEEE10hipError_tPvRmT3_T4_T5_T6_T7_T9_mT8_P12ihipStream_tbDpT10_ENKUlT_T0_E_clISt17integral_constantIbLb1EES1A_IbLb0EEEEDaS16_S17_EUlS16_E_NS1_11comp_targetILNS1_3genE3ELNS1_11target_archE908ELNS1_3gpuE7ELNS1_3repE0EEENS1_30default_config_static_selectorELNS0_4arch9wavefront6targetE0EEEvT1_.uses_vcc, 0
	.set _ZN7rocprim17ROCPRIM_400000_NS6detail17trampoline_kernelINS0_14default_configENS1_25partition_config_selectorILNS1_17partition_subalgoE6EiNS0_10empty_typeEbEEZZNS1_14partition_implILS5_6ELb0ES3_mN6thrust23THRUST_200600_302600_NS6detail15normal_iteratorINSA_10device_ptrIiEEEEPS6_SG_NS0_5tupleIJNSA_16discard_iteratorINSA_11use_defaultEEES6_EEENSH_IJSG_SG_EEES6_PlJNSB_9not_fun_tINSB_14equal_to_valueIiEEEEEEE10hipError_tPvRmT3_T4_T5_T6_T7_T9_mT8_P12ihipStream_tbDpT10_ENKUlT_T0_E_clISt17integral_constantIbLb1EES1A_IbLb0EEEEDaS16_S17_EUlS16_E_NS1_11comp_targetILNS1_3genE3ELNS1_11target_archE908ELNS1_3gpuE7ELNS1_3repE0EEENS1_30default_config_static_selectorELNS0_4arch9wavefront6targetE0EEEvT1_.uses_flat_scratch, 0
	.set _ZN7rocprim17ROCPRIM_400000_NS6detail17trampoline_kernelINS0_14default_configENS1_25partition_config_selectorILNS1_17partition_subalgoE6EiNS0_10empty_typeEbEEZZNS1_14partition_implILS5_6ELb0ES3_mN6thrust23THRUST_200600_302600_NS6detail15normal_iteratorINSA_10device_ptrIiEEEEPS6_SG_NS0_5tupleIJNSA_16discard_iteratorINSA_11use_defaultEEES6_EEENSH_IJSG_SG_EEES6_PlJNSB_9not_fun_tINSB_14equal_to_valueIiEEEEEEE10hipError_tPvRmT3_T4_T5_T6_T7_T9_mT8_P12ihipStream_tbDpT10_ENKUlT_T0_E_clISt17integral_constantIbLb1EES1A_IbLb0EEEEDaS16_S17_EUlS16_E_NS1_11comp_targetILNS1_3genE3ELNS1_11target_archE908ELNS1_3gpuE7ELNS1_3repE0EEENS1_30default_config_static_selectorELNS0_4arch9wavefront6targetE0EEEvT1_.has_dyn_sized_stack, 0
	.set _ZN7rocprim17ROCPRIM_400000_NS6detail17trampoline_kernelINS0_14default_configENS1_25partition_config_selectorILNS1_17partition_subalgoE6EiNS0_10empty_typeEbEEZZNS1_14partition_implILS5_6ELb0ES3_mN6thrust23THRUST_200600_302600_NS6detail15normal_iteratorINSA_10device_ptrIiEEEEPS6_SG_NS0_5tupleIJNSA_16discard_iteratorINSA_11use_defaultEEES6_EEENSH_IJSG_SG_EEES6_PlJNSB_9not_fun_tINSB_14equal_to_valueIiEEEEEEE10hipError_tPvRmT3_T4_T5_T6_T7_T9_mT8_P12ihipStream_tbDpT10_ENKUlT_T0_E_clISt17integral_constantIbLb1EES1A_IbLb0EEEEDaS16_S17_EUlS16_E_NS1_11comp_targetILNS1_3genE3ELNS1_11target_archE908ELNS1_3gpuE7ELNS1_3repE0EEENS1_30default_config_static_selectorELNS0_4arch9wavefront6targetE0EEEvT1_.has_recursion, 0
	.set _ZN7rocprim17ROCPRIM_400000_NS6detail17trampoline_kernelINS0_14default_configENS1_25partition_config_selectorILNS1_17partition_subalgoE6EiNS0_10empty_typeEbEEZZNS1_14partition_implILS5_6ELb0ES3_mN6thrust23THRUST_200600_302600_NS6detail15normal_iteratorINSA_10device_ptrIiEEEEPS6_SG_NS0_5tupleIJNSA_16discard_iteratorINSA_11use_defaultEEES6_EEENSH_IJSG_SG_EEES6_PlJNSB_9not_fun_tINSB_14equal_to_valueIiEEEEEEE10hipError_tPvRmT3_T4_T5_T6_T7_T9_mT8_P12ihipStream_tbDpT10_ENKUlT_T0_E_clISt17integral_constantIbLb1EES1A_IbLb0EEEEDaS16_S17_EUlS16_E_NS1_11comp_targetILNS1_3genE3ELNS1_11target_archE908ELNS1_3gpuE7ELNS1_3repE0EEENS1_30default_config_static_selectorELNS0_4arch9wavefront6targetE0EEEvT1_.has_indirect_call, 0
	.section	.AMDGPU.csdata,"",@progbits
; Kernel info:
; codeLenInByte = 0
; TotalNumSgprs: 0
; NumVgprs: 0
; ScratchSize: 0
; MemoryBound: 0
; FloatMode: 240
; IeeeMode: 1
; LDSByteSize: 0 bytes/workgroup (compile time only)
; SGPRBlocks: 0
; VGPRBlocks: 0
; NumSGPRsForWavesPerEU: 1
; NumVGPRsForWavesPerEU: 1
; Occupancy: 16
; WaveLimiterHint : 0
; COMPUTE_PGM_RSRC2:SCRATCH_EN: 0
; COMPUTE_PGM_RSRC2:USER_SGPR: 2
; COMPUTE_PGM_RSRC2:TRAP_HANDLER: 0
; COMPUTE_PGM_RSRC2:TGID_X_EN: 1
; COMPUTE_PGM_RSRC2:TGID_Y_EN: 0
; COMPUTE_PGM_RSRC2:TGID_Z_EN: 0
; COMPUTE_PGM_RSRC2:TIDIG_COMP_CNT: 0
	.section	.text._ZN7rocprim17ROCPRIM_400000_NS6detail17trampoline_kernelINS0_14default_configENS1_25partition_config_selectorILNS1_17partition_subalgoE6EiNS0_10empty_typeEbEEZZNS1_14partition_implILS5_6ELb0ES3_mN6thrust23THRUST_200600_302600_NS6detail15normal_iteratorINSA_10device_ptrIiEEEEPS6_SG_NS0_5tupleIJNSA_16discard_iteratorINSA_11use_defaultEEES6_EEENSH_IJSG_SG_EEES6_PlJNSB_9not_fun_tINSB_14equal_to_valueIiEEEEEEE10hipError_tPvRmT3_T4_T5_T6_T7_T9_mT8_P12ihipStream_tbDpT10_ENKUlT_T0_E_clISt17integral_constantIbLb1EES1A_IbLb0EEEEDaS16_S17_EUlS16_E_NS1_11comp_targetILNS1_3genE2ELNS1_11target_archE906ELNS1_3gpuE6ELNS1_3repE0EEENS1_30default_config_static_selectorELNS0_4arch9wavefront6targetE0EEEvT1_,"axG",@progbits,_ZN7rocprim17ROCPRIM_400000_NS6detail17trampoline_kernelINS0_14default_configENS1_25partition_config_selectorILNS1_17partition_subalgoE6EiNS0_10empty_typeEbEEZZNS1_14partition_implILS5_6ELb0ES3_mN6thrust23THRUST_200600_302600_NS6detail15normal_iteratorINSA_10device_ptrIiEEEEPS6_SG_NS0_5tupleIJNSA_16discard_iteratorINSA_11use_defaultEEES6_EEENSH_IJSG_SG_EEES6_PlJNSB_9not_fun_tINSB_14equal_to_valueIiEEEEEEE10hipError_tPvRmT3_T4_T5_T6_T7_T9_mT8_P12ihipStream_tbDpT10_ENKUlT_T0_E_clISt17integral_constantIbLb1EES1A_IbLb0EEEEDaS16_S17_EUlS16_E_NS1_11comp_targetILNS1_3genE2ELNS1_11target_archE906ELNS1_3gpuE6ELNS1_3repE0EEENS1_30default_config_static_selectorELNS0_4arch9wavefront6targetE0EEEvT1_,comdat
	.protected	_ZN7rocprim17ROCPRIM_400000_NS6detail17trampoline_kernelINS0_14default_configENS1_25partition_config_selectorILNS1_17partition_subalgoE6EiNS0_10empty_typeEbEEZZNS1_14partition_implILS5_6ELb0ES3_mN6thrust23THRUST_200600_302600_NS6detail15normal_iteratorINSA_10device_ptrIiEEEEPS6_SG_NS0_5tupleIJNSA_16discard_iteratorINSA_11use_defaultEEES6_EEENSH_IJSG_SG_EEES6_PlJNSB_9not_fun_tINSB_14equal_to_valueIiEEEEEEE10hipError_tPvRmT3_T4_T5_T6_T7_T9_mT8_P12ihipStream_tbDpT10_ENKUlT_T0_E_clISt17integral_constantIbLb1EES1A_IbLb0EEEEDaS16_S17_EUlS16_E_NS1_11comp_targetILNS1_3genE2ELNS1_11target_archE906ELNS1_3gpuE6ELNS1_3repE0EEENS1_30default_config_static_selectorELNS0_4arch9wavefront6targetE0EEEvT1_ ; -- Begin function _ZN7rocprim17ROCPRIM_400000_NS6detail17trampoline_kernelINS0_14default_configENS1_25partition_config_selectorILNS1_17partition_subalgoE6EiNS0_10empty_typeEbEEZZNS1_14partition_implILS5_6ELb0ES3_mN6thrust23THRUST_200600_302600_NS6detail15normal_iteratorINSA_10device_ptrIiEEEEPS6_SG_NS0_5tupleIJNSA_16discard_iteratorINSA_11use_defaultEEES6_EEENSH_IJSG_SG_EEES6_PlJNSB_9not_fun_tINSB_14equal_to_valueIiEEEEEEE10hipError_tPvRmT3_T4_T5_T6_T7_T9_mT8_P12ihipStream_tbDpT10_ENKUlT_T0_E_clISt17integral_constantIbLb1EES1A_IbLb0EEEEDaS16_S17_EUlS16_E_NS1_11comp_targetILNS1_3genE2ELNS1_11target_archE906ELNS1_3gpuE6ELNS1_3repE0EEENS1_30default_config_static_selectorELNS0_4arch9wavefront6targetE0EEEvT1_
	.globl	_ZN7rocprim17ROCPRIM_400000_NS6detail17trampoline_kernelINS0_14default_configENS1_25partition_config_selectorILNS1_17partition_subalgoE6EiNS0_10empty_typeEbEEZZNS1_14partition_implILS5_6ELb0ES3_mN6thrust23THRUST_200600_302600_NS6detail15normal_iteratorINSA_10device_ptrIiEEEEPS6_SG_NS0_5tupleIJNSA_16discard_iteratorINSA_11use_defaultEEES6_EEENSH_IJSG_SG_EEES6_PlJNSB_9not_fun_tINSB_14equal_to_valueIiEEEEEEE10hipError_tPvRmT3_T4_T5_T6_T7_T9_mT8_P12ihipStream_tbDpT10_ENKUlT_T0_E_clISt17integral_constantIbLb1EES1A_IbLb0EEEEDaS16_S17_EUlS16_E_NS1_11comp_targetILNS1_3genE2ELNS1_11target_archE906ELNS1_3gpuE6ELNS1_3repE0EEENS1_30default_config_static_selectorELNS0_4arch9wavefront6targetE0EEEvT1_
	.p2align	8
	.type	_ZN7rocprim17ROCPRIM_400000_NS6detail17trampoline_kernelINS0_14default_configENS1_25partition_config_selectorILNS1_17partition_subalgoE6EiNS0_10empty_typeEbEEZZNS1_14partition_implILS5_6ELb0ES3_mN6thrust23THRUST_200600_302600_NS6detail15normal_iteratorINSA_10device_ptrIiEEEEPS6_SG_NS0_5tupleIJNSA_16discard_iteratorINSA_11use_defaultEEES6_EEENSH_IJSG_SG_EEES6_PlJNSB_9not_fun_tINSB_14equal_to_valueIiEEEEEEE10hipError_tPvRmT3_T4_T5_T6_T7_T9_mT8_P12ihipStream_tbDpT10_ENKUlT_T0_E_clISt17integral_constantIbLb1EES1A_IbLb0EEEEDaS16_S17_EUlS16_E_NS1_11comp_targetILNS1_3genE2ELNS1_11target_archE906ELNS1_3gpuE6ELNS1_3repE0EEENS1_30default_config_static_selectorELNS0_4arch9wavefront6targetE0EEEvT1_,@function
_ZN7rocprim17ROCPRIM_400000_NS6detail17trampoline_kernelINS0_14default_configENS1_25partition_config_selectorILNS1_17partition_subalgoE6EiNS0_10empty_typeEbEEZZNS1_14partition_implILS5_6ELb0ES3_mN6thrust23THRUST_200600_302600_NS6detail15normal_iteratorINSA_10device_ptrIiEEEEPS6_SG_NS0_5tupleIJNSA_16discard_iteratorINSA_11use_defaultEEES6_EEENSH_IJSG_SG_EEES6_PlJNSB_9not_fun_tINSB_14equal_to_valueIiEEEEEEE10hipError_tPvRmT3_T4_T5_T6_T7_T9_mT8_P12ihipStream_tbDpT10_ENKUlT_T0_E_clISt17integral_constantIbLb1EES1A_IbLb0EEEEDaS16_S17_EUlS16_E_NS1_11comp_targetILNS1_3genE2ELNS1_11target_archE906ELNS1_3gpuE6ELNS1_3repE0EEENS1_30default_config_static_selectorELNS0_4arch9wavefront6targetE0EEEvT1_: ; @_ZN7rocprim17ROCPRIM_400000_NS6detail17trampoline_kernelINS0_14default_configENS1_25partition_config_selectorILNS1_17partition_subalgoE6EiNS0_10empty_typeEbEEZZNS1_14partition_implILS5_6ELb0ES3_mN6thrust23THRUST_200600_302600_NS6detail15normal_iteratorINSA_10device_ptrIiEEEEPS6_SG_NS0_5tupleIJNSA_16discard_iteratorINSA_11use_defaultEEES6_EEENSH_IJSG_SG_EEES6_PlJNSB_9not_fun_tINSB_14equal_to_valueIiEEEEEEE10hipError_tPvRmT3_T4_T5_T6_T7_T9_mT8_P12ihipStream_tbDpT10_ENKUlT_T0_E_clISt17integral_constantIbLb1EES1A_IbLb0EEEEDaS16_S17_EUlS16_E_NS1_11comp_targetILNS1_3genE2ELNS1_11target_archE906ELNS1_3gpuE6ELNS1_3repE0EEENS1_30default_config_static_selectorELNS0_4arch9wavefront6targetE0EEEvT1_
; %bb.0:
	.section	.rodata,"a",@progbits
	.p2align	6, 0x0
	.amdhsa_kernel _ZN7rocprim17ROCPRIM_400000_NS6detail17trampoline_kernelINS0_14default_configENS1_25partition_config_selectorILNS1_17partition_subalgoE6EiNS0_10empty_typeEbEEZZNS1_14partition_implILS5_6ELb0ES3_mN6thrust23THRUST_200600_302600_NS6detail15normal_iteratorINSA_10device_ptrIiEEEEPS6_SG_NS0_5tupleIJNSA_16discard_iteratorINSA_11use_defaultEEES6_EEENSH_IJSG_SG_EEES6_PlJNSB_9not_fun_tINSB_14equal_to_valueIiEEEEEEE10hipError_tPvRmT3_T4_T5_T6_T7_T9_mT8_P12ihipStream_tbDpT10_ENKUlT_T0_E_clISt17integral_constantIbLb1EES1A_IbLb0EEEEDaS16_S17_EUlS16_E_NS1_11comp_targetILNS1_3genE2ELNS1_11target_archE906ELNS1_3gpuE6ELNS1_3repE0EEENS1_30default_config_static_selectorELNS0_4arch9wavefront6targetE0EEEvT1_
		.amdhsa_group_segment_fixed_size 0
		.amdhsa_private_segment_fixed_size 0
		.amdhsa_kernarg_size 128
		.amdhsa_user_sgpr_count 2
		.amdhsa_user_sgpr_dispatch_ptr 0
		.amdhsa_user_sgpr_queue_ptr 0
		.amdhsa_user_sgpr_kernarg_segment_ptr 1
		.amdhsa_user_sgpr_dispatch_id 0
		.amdhsa_user_sgpr_private_segment_size 0
		.amdhsa_wavefront_size32 1
		.amdhsa_uses_dynamic_stack 0
		.amdhsa_enable_private_segment 0
		.amdhsa_system_sgpr_workgroup_id_x 1
		.amdhsa_system_sgpr_workgroup_id_y 0
		.amdhsa_system_sgpr_workgroup_id_z 0
		.amdhsa_system_sgpr_workgroup_info 0
		.amdhsa_system_vgpr_workitem_id 0
		.amdhsa_next_free_vgpr 1
		.amdhsa_next_free_sgpr 1
		.amdhsa_reserve_vcc 0
		.amdhsa_float_round_mode_32 0
		.amdhsa_float_round_mode_16_64 0
		.amdhsa_float_denorm_mode_32 3
		.amdhsa_float_denorm_mode_16_64 3
		.amdhsa_fp16_overflow 0
		.amdhsa_workgroup_processor_mode 1
		.amdhsa_memory_ordered 1
		.amdhsa_forward_progress 1
		.amdhsa_inst_pref_size 0
		.amdhsa_round_robin_scheduling 0
		.amdhsa_exception_fp_ieee_invalid_op 0
		.amdhsa_exception_fp_denorm_src 0
		.amdhsa_exception_fp_ieee_div_zero 0
		.amdhsa_exception_fp_ieee_overflow 0
		.amdhsa_exception_fp_ieee_underflow 0
		.amdhsa_exception_fp_ieee_inexact 0
		.amdhsa_exception_int_div_zero 0
	.end_amdhsa_kernel
	.section	.text._ZN7rocprim17ROCPRIM_400000_NS6detail17trampoline_kernelINS0_14default_configENS1_25partition_config_selectorILNS1_17partition_subalgoE6EiNS0_10empty_typeEbEEZZNS1_14partition_implILS5_6ELb0ES3_mN6thrust23THRUST_200600_302600_NS6detail15normal_iteratorINSA_10device_ptrIiEEEEPS6_SG_NS0_5tupleIJNSA_16discard_iteratorINSA_11use_defaultEEES6_EEENSH_IJSG_SG_EEES6_PlJNSB_9not_fun_tINSB_14equal_to_valueIiEEEEEEE10hipError_tPvRmT3_T4_T5_T6_T7_T9_mT8_P12ihipStream_tbDpT10_ENKUlT_T0_E_clISt17integral_constantIbLb1EES1A_IbLb0EEEEDaS16_S17_EUlS16_E_NS1_11comp_targetILNS1_3genE2ELNS1_11target_archE906ELNS1_3gpuE6ELNS1_3repE0EEENS1_30default_config_static_selectorELNS0_4arch9wavefront6targetE0EEEvT1_,"axG",@progbits,_ZN7rocprim17ROCPRIM_400000_NS6detail17trampoline_kernelINS0_14default_configENS1_25partition_config_selectorILNS1_17partition_subalgoE6EiNS0_10empty_typeEbEEZZNS1_14partition_implILS5_6ELb0ES3_mN6thrust23THRUST_200600_302600_NS6detail15normal_iteratorINSA_10device_ptrIiEEEEPS6_SG_NS0_5tupleIJNSA_16discard_iteratorINSA_11use_defaultEEES6_EEENSH_IJSG_SG_EEES6_PlJNSB_9not_fun_tINSB_14equal_to_valueIiEEEEEEE10hipError_tPvRmT3_T4_T5_T6_T7_T9_mT8_P12ihipStream_tbDpT10_ENKUlT_T0_E_clISt17integral_constantIbLb1EES1A_IbLb0EEEEDaS16_S17_EUlS16_E_NS1_11comp_targetILNS1_3genE2ELNS1_11target_archE906ELNS1_3gpuE6ELNS1_3repE0EEENS1_30default_config_static_selectorELNS0_4arch9wavefront6targetE0EEEvT1_,comdat
.Lfunc_end1777:
	.size	_ZN7rocprim17ROCPRIM_400000_NS6detail17trampoline_kernelINS0_14default_configENS1_25partition_config_selectorILNS1_17partition_subalgoE6EiNS0_10empty_typeEbEEZZNS1_14partition_implILS5_6ELb0ES3_mN6thrust23THRUST_200600_302600_NS6detail15normal_iteratorINSA_10device_ptrIiEEEEPS6_SG_NS0_5tupleIJNSA_16discard_iteratorINSA_11use_defaultEEES6_EEENSH_IJSG_SG_EEES6_PlJNSB_9not_fun_tINSB_14equal_to_valueIiEEEEEEE10hipError_tPvRmT3_T4_T5_T6_T7_T9_mT8_P12ihipStream_tbDpT10_ENKUlT_T0_E_clISt17integral_constantIbLb1EES1A_IbLb0EEEEDaS16_S17_EUlS16_E_NS1_11comp_targetILNS1_3genE2ELNS1_11target_archE906ELNS1_3gpuE6ELNS1_3repE0EEENS1_30default_config_static_selectorELNS0_4arch9wavefront6targetE0EEEvT1_, .Lfunc_end1777-_ZN7rocprim17ROCPRIM_400000_NS6detail17trampoline_kernelINS0_14default_configENS1_25partition_config_selectorILNS1_17partition_subalgoE6EiNS0_10empty_typeEbEEZZNS1_14partition_implILS5_6ELb0ES3_mN6thrust23THRUST_200600_302600_NS6detail15normal_iteratorINSA_10device_ptrIiEEEEPS6_SG_NS0_5tupleIJNSA_16discard_iteratorINSA_11use_defaultEEES6_EEENSH_IJSG_SG_EEES6_PlJNSB_9not_fun_tINSB_14equal_to_valueIiEEEEEEE10hipError_tPvRmT3_T4_T5_T6_T7_T9_mT8_P12ihipStream_tbDpT10_ENKUlT_T0_E_clISt17integral_constantIbLb1EES1A_IbLb0EEEEDaS16_S17_EUlS16_E_NS1_11comp_targetILNS1_3genE2ELNS1_11target_archE906ELNS1_3gpuE6ELNS1_3repE0EEENS1_30default_config_static_selectorELNS0_4arch9wavefront6targetE0EEEvT1_
                                        ; -- End function
	.set _ZN7rocprim17ROCPRIM_400000_NS6detail17trampoline_kernelINS0_14default_configENS1_25partition_config_selectorILNS1_17partition_subalgoE6EiNS0_10empty_typeEbEEZZNS1_14partition_implILS5_6ELb0ES3_mN6thrust23THRUST_200600_302600_NS6detail15normal_iteratorINSA_10device_ptrIiEEEEPS6_SG_NS0_5tupleIJNSA_16discard_iteratorINSA_11use_defaultEEES6_EEENSH_IJSG_SG_EEES6_PlJNSB_9not_fun_tINSB_14equal_to_valueIiEEEEEEE10hipError_tPvRmT3_T4_T5_T6_T7_T9_mT8_P12ihipStream_tbDpT10_ENKUlT_T0_E_clISt17integral_constantIbLb1EES1A_IbLb0EEEEDaS16_S17_EUlS16_E_NS1_11comp_targetILNS1_3genE2ELNS1_11target_archE906ELNS1_3gpuE6ELNS1_3repE0EEENS1_30default_config_static_selectorELNS0_4arch9wavefront6targetE0EEEvT1_.num_vgpr, 0
	.set _ZN7rocprim17ROCPRIM_400000_NS6detail17trampoline_kernelINS0_14default_configENS1_25partition_config_selectorILNS1_17partition_subalgoE6EiNS0_10empty_typeEbEEZZNS1_14partition_implILS5_6ELb0ES3_mN6thrust23THRUST_200600_302600_NS6detail15normal_iteratorINSA_10device_ptrIiEEEEPS6_SG_NS0_5tupleIJNSA_16discard_iteratorINSA_11use_defaultEEES6_EEENSH_IJSG_SG_EEES6_PlJNSB_9not_fun_tINSB_14equal_to_valueIiEEEEEEE10hipError_tPvRmT3_T4_T5_T6_T7_T9_mT8_P12ihipStream_tbDpT10_ENKUlT_T0_E_clISt17integral_constantIbLb1EES1A_IbLb0EEEEDaS16_S17_EUlS16_E_NS1_11comp_targetILNS1_3genE2ELNS1_11target_archE906ELNS1_3gpuE6ELNS1_3repE0EEENS1_30default_config_static_selectorELNS0_4arch9wavefront6targetE0EEEvT1_.num_agpr, 0
	.set _ZN7rocprim17ROCPRIM_400000_NS6detail17trampoline_kernelINS0_14default_configENS1_25partition_config_selectorILNS1_17partition_subalgoE6EiNS0_10empty_typeEbEEZZNS1_14partition_implILS5_6ELb0ES3_mN6thrust23THRUST_200600_302600_NS6detail15normal_iteratorINSA_10device_ptrIiEEEEPS6_SG_NS0_5tupleIJNSA_16discard_iteratorINSA_11use_defaultEEES6_EEENSH_IJSG_SG_EEES6_PlJNSB_9not_fun_tINSB_14equal_to_valueIiEEEEEEE10hipError_tPvRmT3_T4_T5_T6_T7_T9_mT8_P12ihipStream_tbDpT10_ENKUlT_T0_E_clISt17integral_constantIbLb1EES1A_IbLb0EEEEDaS16_S17_EUlS16_E_NS1_11comp_targetILNS1_3genE2ELNS1_11target_archE906ELNS1_3gpuE6ELNS1_3repE0EEENS1_30default_config_static_selectorELNS0_4arch9wavefront6targetE0EEEvT1_.numbered_sgpr, 0
	.set _ZN7rocprim17ROCPRIM_400000_NS6detail17trampoline_kernelINS0_14default_configENS1_25partition_config_selectorILNS1_17partition_subalgoE6EiNS0_10empty_typeEbEEZZNS1_14partition_implILS5_6ELb0ES3_mN6thrust23THRUST_200600_302600_NS6detail15normal_iteratorINSA_10device_ptrIiEEEEPS6_SG_NS0_5tupleIJNSA_16discard_iteratorINSA_11use_defaultEEES6_EEENSH_IJSG_SG_EEES6_PlJNSB_9not_fun_tINSB_14equal_to_valueIiEEEEEEE10hipError_tPvRmT3_T4_T5_T6_T7_T9_mT8_P12ihipStream_tbDpT10_ENKUlT_T0_E_clISt17integral_constantIbLb1EES1A_IbLb0EEEEDaS16_S17_EUlS16_E_NS1_11comp_targetILNS1_3genE2ELNS1_11target_archE906ELNS1_3gpuE6ELNS1_3repE0EEENS1_30default_config_static_selectorELNS0_4arch9wavefront6targetE0EEEvT1_.num_named_barrier, 0
	.set _ZN7rocprim17ROCPRIM_400000_NS6detail17trampoline_kernelINS0_14default_configENS1_25partition_config_selectorILNS1_17partition_subalgoE6EiNS0_10empty_typeEbEEZZNS1_14partition_implILS5_6ELb0ES3_mN6thrust23THRUST_200600_302600_NS6detail15normal_iteratorINSA_10device_ptrIiEEEEPS6_SG_NS0_5tupleIJNSA_16discard_iteratorINSA_11use_defaultEEES6_EEENSH_IJSG_SG_EEES6_PlJNSB_9not_fun_tINSB_14equal_to_valueIiEEEEEEE10hipError_tPvRmT3_T4_T5_T6_T7_T9_mT8_P12ihipStream_tbDpT10_ENKUlT_T0_E_clISt17integral_constantIbLb1EES1A_IbLb0EEEEDaS16_S17_EUlS16_E_NS1_11comp_targetILNS1_3genE2ELNS1_11target_archE906ELNS1_3gpuE6ELNS1_3repE0EEENS1_30default_config_static_selectorELNS0_4arch9wavefront6targetE0EEEvT1_.private_seg_size, 0
	.set _ZN7rocprim17ROCPRIM_400000_NS6detail17trampoline_kernelINS0_14default_configENS1_25partition_config_selectorILNS1_17partition_subalgoE6EiNS0_10empty_typeEbEEZZNS1_14partition_implILS5_6ELb0ES3_mN6thrust23THRUST_200600_302600_NS6detail15normal_iteratorINSA_10device_ptrIiEEEEPS6_SG_NS0_5tupleIJNSA_16discard_iteratorINSA_11use_defaultEEES6_EEENSH_IJSG_SG_EEES6_PlJNSB_9not_fun_tINSB_14equal_to_valueIiEEEEEEE10hipError_tPvRmT3_T4_T5_T6_T7_T9_mT8_P12ihipStream_tbDpT10_ENKUlT_T0_E_clISt17integral_constantIbLb1EES1A_IbLb0EEEEDaS16_S17_EUlS16_E_NS1_11comp_targetILNS1_3genE2ELNS1_11target_archE906ELNS1_3gpuE6ELNS1_3repE0EEENS1_30default_config_static_selectorELNS0_4arch9wavefront6targetE0EEEvT1_.uses_vcc, 0
	.set _ZN7rocprim17ROCPRIM_400000_NS6detail17trampoline_kernelINS0_14default_configENS1_25partition_config_selectorILNS1_17partition_subalgoE6EiNS0_10empty_typeEbEEZZNS1_14partition_implILS5_6ELb0ES3_mN6thrust23THRUST_200600_302600_NS6detail15normal_iteratorINSA_10device_ptrIiEEEEPS6_SG_NS0_5tupleIJNSA_16discard_iteratorINSA_11use_defaultEEES6_EEENSH_IJSG_SG_EEES6_PlJNSB_9not_fun_tINSB_14equal_to_valueIiEEEEEEE10hipError_tPvRmT3_T4_T5_T6_T7_T9_mT8_P12ihipStream_tbDpT10_ENKUlT_T0_E_clISt17integral_constantIbLb1EES1A_IbLb0EEEEDaS16_S17_EUlS16_E_NS1_11comp_targetILNS1_3genE2ELNS1_11target_archE906ELNS1_3gpuE6ELNS1_3repE0EEENS1_30default_config_static_selectorELNS0_4arch9wavefront6targetE0EEEvT1_.uses_flat_scratch, 0
	.set _ZN7rocprim17ROCPRIM_400000_NS6detail17trampoline_kernelINS0_14default_configENS1_25partition_config_selectorILNS1_17partition_subalgoE6EiNS0_10empty_typeEbEEZZNS1_14partition_implILS5_6ELb0ES3_mN6thrust23THRUST_200600_302600_NS6detail15normal_iteratorINSA_10device_ptrIiEEEEPS6_SG_NS0_5tupleIJNSA_16discard_iteratorINSA_11use_defaultEEES6_EEENSH_IJSG_SG_EEES6_PlJNSB_9not_fun_tINSB_14equal_to_valueIiEEEEEEE10hipError_tPvRmT3_T4_T5_T6_T7_T9_mT8_P12ihipStream_tbDpT10_ENKUlT_T0_E_clISt17integral_constantIbLb1EES1A_IbLb0EEEEDaS16_S17_EUlS16_E_NS1_11comp_targetILNS1_3genE2ELNS1_11target_archE906ELNS1_3gpuE6ELNS1_3repE0EEENS1_30default_config_static_selectorELNS0_4arch9wavefront6targetE0EEEvT1_.has_dyn_sized_stack, 0
	.set _ZN7rocprim17ROCPRIM_400000_NS6detail17trampoline_kernelINS0_14default_configENS1_25partition_config_selectorILNS1_17partition_subalgoE6EiNS0_10empty_typeEbEEZZNS1_14partition_implILS5_6ELb0ES3_mN6thrust23THRUST_200600_302600_NS6detail15normal_iteratorINSA_10device_ptrIiEEEEPS6_SG_NS0_5tupleIJNSA_16discard_iteratorINSA_11use_defaultEEES6_EEENSH_IJSG_SG_EEES6_PlJNSB_9not_fun_tINSB_14equal_to_valueIiEEEEEEE10hipError_tPvRmT3_T4_T5_T6_T7_T9_mT8_P12ihipStream_tbDpT10_ENKUlT_T0_E_clISt17integral_constantIbLb1EES1A_IbLb0EEEEDaS16_S17_EUlS16_E_NS1_11comp_targetILNS1_3genE2ELNS1_11target_archE906ELNS1_3gpuE6ELNS1_3repE0EEENS1_30default_config_static_selectorELNS0_4arch9wavefront6targetE0EEEvT1_.has_recursion, 0
	.set _ZN7rocprim17ROCPRIM_400000_NS6detail17trampoline_kernelINS0_14default_configENS1_25partition_config_selectorILNS1_17partition_subalgoE6EiNS0_10empty_typeEbEEZZNS1_14partition_implILS5_6ELb0ES3_mN6thrust23THRUST_200600_302600_NS6detail15normal_iteratorINSA_10device_ptrIiEEEEPS6_SG_NS0_5tupleIJNSA_16discard_iteratorINSA_11use_defaultEEES6_EEENSH_IJSG_SG_EEES6_PlJNSB_9not_fun_tINSB_14equal_to_valueIiEEEEEEE10hipError_tPvRmT3_T4_T5_T6_T7_T9_mT8_P12ihipStream_tbDpT10_ENKUlT_T0_E_clISt17integral_constantIbLb1EES1A_IbLb0EEEEDaS16_S17_EUlS16_E_NS1_11comp_targetILNS1_3genE2ELNS1_11target_archE906ELNS1_3gpuE6ELNS1_3repE0EEENS1_30default_config_static_selectorELNS0_4arch9wavefront6targetE0EEEvT1_.has_indirect_call, 0
	.section	.AMDGPU.csdata,"",@progbits
; Kernel info:
; codeLenInByte = 0
; TotalNumSgprs: 0
; NumVgprs: 0
; ScratchSize: 0
; MemoryBound: 0
; FloatMode: 240
; IeeeMode: 1
; LDSByteSize: 0 bytes/workgroup (compile time only)
; SGPRBlocks: 0
; VGPRBlocks: 0
; NumSGPRsForWavesPerEU: 1
; NumVGPRsForWavesPerEU: 1
; Occupancy: 16
; WaveLimiterHint : 0
; COMPUTE_PGM_RSRC2:SCRATCH_EN: 0
; COMPUTE_PGM_RSRC2:USER_SGPR: 2
; COMPUTE_PGM_RSRC2:TRAP_HANDLER: 0
; COMPUTE_PGM_RSRC2:TGID_X_EN: 1
; COMPUTE_PGM_RSRC2:TGID_Y_EN: 0
; COMPUTE_PGM_RSRC2:TGID_Z_EN: 0
; COMPUTE_PGM_RSRC2:TIDIG_COMP_CNT: 0
	.section	.text._ZN7rocprim17ROCPRIM_400000_NS6detail17trampoline_kernelINS0_14default_configENS1_25partition_config_selectorILNS1_17partition_subalgoE6EiNS0_10empty_typeEbEEZZNS1_14partition_implILS5_6ELb0ES3_mN6thrust23THRUST_200600_302600_NS6detail15normal_iteratorINSA_10device_ptrIiEEEEPS6_SG_NS0_5tupleIJNSA_16discard_iteratorINSA_11use_defaultEEES6_EEENSH_IJSG_SG_EEES6_PlJNSB_9not_fun_tINSB_14equal_to_valueIiEEEEEEE10hipError_tPvRmT3_T4_T5_T6_T7_T9_mT8_P12ihipStream_tbDpT10_ENKUlT_T0_E_clISt17integral_constantIbLb1EES1A_IbLb0EEEEDaS16_S17_EUlS16_E_NS1_11comp_targetILNS1_3genE10ELNS1_11target_archE1200ELNS1_3gpuE4ELNS1_3repE0EEENS1_30default_config_static_selectorELNS0_4arch9wavefront6targetE0EEEvT1_,"axG",@progbits,_ZN7rocprim17ROCPRIM_400000_NS6detail17trampoline_kernelINS0_14default_configENS1_25partition_config_selectorILNS1_17partition_subalgoE6EiNS0_10empty_typeEbEEZZNS1_14partition_implILS5_6ELb0ES3_mN6thrust23THRUST_200600_302600_NS6detail15normal_iteratorINSA_10device_ptrIiEEEEPS6_SG_NS0_5tupleIJNSA_16discard_iteratorINSA_11use_defaultEEES6_EEENSH_IJSG_SG_EEES6_PlJNSB_9not_fun_tINSB_14equal_to_valueIiEEEEEEE10hipError_tPvRmT3_T4_T5_T6_T7_T9_mT8_P12ihipStream_tbDpT10_ENKUlT_T0_E_clISt17integral_constantIbLb1EES1A_IbLb0EEEEDaS16_S17_EUlS16_E_NS1_11comp_targetILNS1_3genE10ELNS1_11target_archE1200ELNS1_3gpuE4ELNS1_3repE0EEENS1_30default_config_static_selectorELNS0_4arch9wavefront6targetE0EEEvT1_,comdat
	.protected	_ZN7rocprim17ROCPRIM_400000_NS6detail17trampoline_kernelINS0_14default_configENS1_25partition_config_selectorILNS1_17partition_subalgoE6EiNS0_10empty_typeEbEEZZNS1_14partition_implILS5_6ELb0ES3_mN6thrust23THRUST_200600_302600_NS6detail15normal_iteratorINSA_10device_ptrIiEEEEPS6_SG_NS0_5tupleIJNSA_16discard_iteratorINSA_11use_defaultEEES6_EEENSH_IJSG_SG_EEES6_PlJNSB_9not_fun_tINSB_14equal_to_valueIiEEEEEEE10hipError_tPvRmT3_T4_T5_T6_T7_T9_mT8_P12ihipStream_tbDpT10_ENKUlT_T0_E_clISt17integral_constantIbLb1EES1A_IbLb0EEEEDaS16_S17_EUlS16_E_NS1_11comp_targetILNS1_3genE10ELNS1_11target_archE1200ELNS1_3gpuE4ELNS1_3repE0EEENS1_30default_config_static_selectorELNS0_4arch9wavefront6targetE0EEEvT1_ ; -- Begin function _ZN7rocprim17ROCPRIM_400000_NS6detail17trampoline_kernelINS0_14default_configENS1_25partition_config_selectorILNS1_17partition_subalgoE6EiNS0_10empty_typeEbEEZZNS1_14partition_implILS5_6ELb0ES3_mN6thrust23THRUST_200600_302600_NS6detail15normal_iteratorINSA_10device_ptrIiEEEEPS6_SG_NS0_5tupleIJNSA_16discard_iteratorINSA_11use_defaultEEES6_EEENSH_IJSG_SG_EEES6_PlJNSB_9not_fun_tINSB_14equal_to_valueIiEEEEEEE10hipError_tPvRmT3_T4_T5_T6_T7_T9_mT8_P12ihipStream_tbDpT10_ENKUlT_T0_E_clISt17integral_constantIbLb1EES1A_IbLb0EEEEDaS16_S17_EUlS16_E_NS1_11comp_targetILNS1_3genE10ELNS1_11target_archE1200ELNS1_3gpuE4ELNS1_3repE0EEENS1_30default_config_static_selectorELNS0_4arch9wavefront6targetE0EEEvT1_
	.globl	_ZN7rocprim17ROCPRIM_400000_NS6detail17trampoline_kernelINS0_14default_configENS1_25partition_config_selectorILNS1_17partition_subalgoE6EiNS0_10empty_typeEbEEZZNS1_14partition_implILS5_6ELb0ES3_mN6thrust23THRUST_200600_302600_NS6detail15normal_iteratorINSA_10device_ptrIiEEEEPS6_SG_NS0_5tupleIJNSA_16discard_iteratorINSA_11use_defaultEEES6_EEENSH_IJSG_SG_EEES6_PlJNSB_9not_fun_tINSB_14equal_to_valueIiEEEEEEE10hipError_tPvRmT3_T4_T5_T6_T7_T9_mT8_P12ihipStream_tbDpT10_ENKUlT_T0_E_clISt17integral_constantIbLb1EES1A_IbLb0EEEEDaS16_S17_EUlS16_E_NS1_11comp_targetILNS1_3genE10ELNS1_11target_archE1200ELNS1_3gpuE4ELNS1_3repE0EEENS1_30default_config_static_selectorELNS0_4arch9wavefront6targetE0EEEvT1_
	.p2align	8
	.type	_ZN7rocprim17ROCPRIM_400000_NS6detail17trampoline_kernelINS0_14default_configENS1_25partition_config_selectorILNS1_17partition_subalgoE6EiNS0_10empty_typeEbEEZZNS1_14partition_implILS5_6ELb0ES3_mN6thrust23THRUST_200600_302600_NS6detail15normal_iteratorINSA_10device_ptrIiEEEEPS6_SG_NS0_5tupleIJNSA_16discard_iteratorINSA_11use_defaultEEES6_EEENSH_IJSG_SG_EEES6_PlJNSB_9not_fun_tINSB_14equal_to_valueIiEEEEEEE10hipError_tPvRmT3_T4_T5_T6_T7_T9_mT8_P12ihipStream_tbDpT10_ENKUlT_T0_E_clISt17integral_constantIbLb1EES1A_IbLb0EEEEDaS16_S17_EUlS16_E_NS1_11comp_targetILNS1_3genE10ELNS1_11target_archE1200ELNS1_3gpuE4ELNS1_3repE0EEENS1_30default_config_static_selectorELNS0_4arch9wavefront6targetE0EEEvT1_,@function
_ZN7rocprim17ROCPRIM_400000_NS6detail17trampoline_kernelINS0_14default_configENS1_25partition_config_selectorILNS1_17partition_subalgoE6EiNS0_10empty_typeEbEEZZNS1_14partition_implILS5_6ELb0ES3_mN6thrust23THRUST_200600_302600_NS6detail15normal_iteratorINSA_10device_ptrIiEEEEPS6_SG_NS0_5tupleIJNSA_16discard_iteratorINSA_11use_defaultEEES6_EEENSH_IJSG_SG_EEES6_PlJNSB_9not_fun_tINSB_14equal_to_valueIiEEEEEEE10hipError_tPvRmT3_T4_T5_T6_T7_T9_mT8_P12ihipStream_tbDpT10_ENKUlT_T0_E_clISt17integral_constantIbLb1EES1A_IbLb0EEEEDaS16_S17_EUlS16_E_NS1_11comp_targetILNS1_3genE10ELNS1_11target_archE1200ELNS1_3gpuE4ELNS1_3repE0EEENS1_30default_config_static_selectorELNS0_4arch9wavefront6targetE0EEEvT1_: ; @_ZN7rocprim17ROCPRIM_400000_NS6detail17trampoline_kernelINS0_14default_configENS1_25partition_config_selectorILNS1_17partition_subalgoE6EiNS0_10empty_typeEbEEZZNS1_14partition_implILS5_6ELb0ES3_mN6thrust23THRUST_200600_302600_NS6detail15normal_iteratorINSA_10device_ptrIiEEEEPS6_SG_NS0_5tupleIJNSA_16discard_iteratorINSA_11use_defaultEEES6_EEENSH_IJSG_SG_EEES6_PlJNSB_9not_fun_tINSB_14equal_to_valueIiEEEEEEE10hipError_tPvRmT3_T4_T5_T6_T7_T9_mT8_P12ihipStream_tbDpT10_ENKUlT_T0_E_clISt17integral_constantIbLb1EES1A_IbLb0EEEEDaS16_S17_EUlS16_E_NS1_11comp_targetILNS1_3genE10ELNS1_11target_archE1200ELNS1_3gpuE4ELNS1_3repE0EEENS1_30default_config_static_selectorELNS0_4arch9wavefront6targetE0EEEvT1_
; %bb.0:
	s_endpgm
	.section	.rodata,"a",@progbits
	.p2align	6, 0x0
	.amdhsa_kernel _ZN7rocprim17ROCPRIM_400000_NS6detail17trampoline_kernelINS0_14default_configENS1_25partition_config_selectorILNS1_17partition_subalgoE6EiNS0_10empty_typeEbEEZZNS1_14partition_implILS5_6ELb0ES3_mN6thrust23THRUST_200600_302600_NS6detail15normal_iteratorINSA_10device_ptrIiEEEEPS6_SG_NS0_5tupleIJNSA_16discard_iteratorINSA_11use_defaultEEES6_EEENSH_IJSG_SG_EEES6_PlJNSB_9not_fun_tINSB_14equal_to_valueIiEEEEEEE10hipError_tPvRmT3_T4_T5_T6_T7_T9_mT8_P12ihipStream_tbDpT10_ENKUlT_T0_E_clISt17integral_constantIbLb1EES1A_IbLb0EEEEDaS16_S17_EUlS16_E_NS1_11comp_targetILNS1_3genE10ELNS1_11target_archE1200ELNS1_3gpuE4ELNS1_3repE0EEENS1_30default_config_static_selectorELNS0_4arch9wavefront6targetE0EEEvT1_
		.amdhsa_group_segment_fixed_size 0
		.amdhsa_private_segment_fixed_size 0
		.amdhsa_kernarg_size 128
		.amdhsa_user_sgpr_count 2
		.amdhsa_user_sgpr_dispatch_ptr 0
		.amdhsa_user_sgpr_queue_ptr 0
		.amdhsa_user_sgpr_kernarg_segment_ptr 1
		.amdhsa_user_sgpr_dispatch_id 0
		.amdhsa_user_sgpr_private_segment_size 0
		.amdhsa_wavefront_size32 1
		.amdhsa_uses_dynamic_stack 0
		.amdhsa_enable_private_segment 0
		.amdhsa_system_sgpr_workgroup_id_x 1
		.amdhsa_system_sgpr_workgroup_id_y 0
		.amdhsa_system_sgpr_workgroup_id_z 0
		.amdhsa_system_sgpr_workgroup_info 0
		.amdhsa_system_vgpr_workitem_id 0
		.amdhsa_next_free_vgpr 1
		.amdhsa_next_free_sgpr 1
		.amdhsa_reserve_vcc 0
		.amdhsa_float_round_mode_32 0
		.amdhsa_float_round_mode_16_64 0
		.amdhsa_float_denorm_mode_32 3
		.amdhsa_float_denorm_mode_16_64 3
		.amdhsa_fp16_overflow 0
		.amdhsa_workgroup_processor_mode 1
		.amdhsa_memory_ordered 1
		.amdhsa_forward_progress 1
		.amdhsa_inst_pref_size 1
		.amdhsa_round_robin_scheduling 0
		.amdhsa_exception_fp_ieee_invalid_op 0
		.amdhsa_exception_fp_denorm_src 0
		.amdhsa_exception_fp_ieee_div_zero 0
		.amdhsa_exception_fp_ieee_overflow 0
		.amdhsa_exception_fp_ieee_underflow 0
		.amdhsa_exception_fp_ieee_inexact 0
		.amdhsa_exception_int_div_zero 0
	.end_amdhsa_kernel
	.section	.text._ZN7rocprim17ROCPRIM_400000_NS6detail17trampoline_kernelINS0_14default_configENS1_25partition_config_selectorILNS1_17partition_subalgoE6EiNS0_10empty_typeEbEEZZNS1_14partition_implILS5_6ELb0ES3_mN6thrust23THRUST_200600_302600_NS6detail15normal_iteratorINSA_10device_ptrIiEEEEPS6_SG_NS0_5tupleIJNSA_16discard_iteratorINSA_11use_defaultEEES6_EEENSH_IJSG_SG_EEES6_PlJNSB_9not_fun_tINSB_14equal_to_valueIiEEEEEEE10hipError_tPvRmT3_T4_T5_T6_T7_T9_mT8_P12ihipStream_tbDpT10_ENKUlT_T0_E_clISt17integral_constantIbLb1EES1A_IbLb0EEEEDaS16_S17_EUlS16_E_NS1_11comp_targetILNS1_3genE10ELNS1_11target_archE1200ELNS1_3gpuE4ELNS1_3repE0EEENS1_30default_config_static_selectorELNS0_4arch9wavefront6targetE0EEEvT1_,"axG",@progbits,_ZN7rocprim17ROCPRIM_400000_NS6detail17trampoline_kernelINS0_14default_configENS1_25partition_config_selectorILNS1_17partition_subalgoE6EiNS0_10empty_typeEbEEZZNS1_14partition_implILS5_6ELb0ES3_mN6thrust23THRUST_200600_302600_NS6detail15normal_iteratorINSA_10device_ptrIiEEEEPS6_SG_NS0_5tupleIJNSA_16discard_iteratorINSA_11use_defaultEEES6_EEENSH_IJSG_SG_EEES6_PlJNSB_9not_fun_tINSB_14equal_to_valueIiEEEEEEE10hipError_tPvRmT3_T4_T5_T6_T7_T9_mT8_P12ihipStream_tbDpT10_ENKUlT_T0_E_clISt17integral_constantIbLb1EES1A_IbLb0EEEEDaS16_S17_EUlS16_E_NS1_11comp_targetILNS1_3genE10ELNS1_11target_archE1200ELNS1_3gpuE4ELNS1_3repE0EEENS1_30default_config_static_selectorELNS0_4arch9wavefront6targetE0EEEvT1_,comdat
.Lfunc_end1778:
	.size	_ZN7rocprim17ROCPRIM_400000_NS6detail17trampoline_kernelINS0_14default_configENS1_25partition_config_selectorILNS1_17partition_subalgoE6EiNS0_10empty_typeEbEEZZNS1_14partition_implILS5_6ELb0ES3_mN6thrust23THRUST_200600_302600_NS6detail15normal_iteratorINSA_10device_ptrIiEEEEPS6_SG_NS0_5tupleIJNSA_16discard_iteratorINSA_11use_defaultEEES6_EEENSH_IJSG_SG_EEES6_PlJNSB_9not_fun_tINSB_14equal_to_valueIiEEEEEEE10hipError_tPvRmT3_T4_T5_T6_T7_T9_mT8_P12ihipStream_tbDpT10_ENKUlT_T0_E_clISt17integral_constantIbLb1EES1A_IbLb0EEEEDaS16_S17_EUlS16_E_NS1_11comp_targetILNS1_3genE10ELNS1_11target_archE1200ELNS1_3gpuE4ELNS1_3repE0EEENS1_30default_config_static_selectorELNS0_4arch9wavefront6targetE0EEEvT1_, .Lfunc_end1778-_ZN7rocprim17ROCPRIM_400000_NS6detail17trampoline_kernelINS0_14default_configENS1_25partition_config_selectorILNS1_17partition_subalgoE6EiNS0_10empty_typeEbEEZZNS1_14partition_implILS5_6ELb0ES3_mN6thrust23THRUST_200600_302600_NS6detail15normal_iteratorINSA_10device_ptrIiEEEEPS6_SG_NS0_5tupleIJNSA_16discard_iteratorINSA_11use_defaultEEES6_EEENSH_IJSG_SG_EEES6_PlJNSB_9not_fun_tINSB_14equal_to_valueIiEEEEEEE10hipError_tPvRmT3_T4_T5_T6_T7_T9_mT8_P12ihipStream_tbDpT10_ENKUlT_T0_E_clISt17integral_constantIbLb1EES1A_IbLb0EEEEDaS16_S17_EUlS16_E_NS1_11comp_targetILNS1_3genE10ELNS1_11target_archE1200ELNS1_3gpuE4ELNS1_3repE0EEENS1_30default_config_static_selectorELNS0_4arch9wavefront6targetE0EEEvT1_
                                        ; -- End function
	.set _ZN7rocprim17ROCPRIM_400000_NS6detail17trampoline_kernelINS0_14default_configENS1_25partition_config_selectorILNS1_17partition_subalgoE6EiNS0_10empty_typeEbEEZZNS1_14partition_implILS5_6ELb0ES3_mN6thrust23THRUST_200600_302600_NS6detail15normal_iteratorINSA_10device_ptrIiEEEEPS6_SG_NS0_5tupleIJNSA_16discard_iteratorINSA_11use_defaultEEES6_EEENSH_IJSG_SG_EEES6_PlJNSB_9not_fun_tINSB_14equal_to_valueIiEEEEEEE10hipError_tPvRmT3_T4_T5_T6_T7_T9_mT8_P12ihipStream_tbDpT10_ENKUlT_T0_E_clISt17integral_constantIbLb1EES1A_IbLb0EEEEDaS16_S17_EUlS16_E_NS1_11comp_targetILNS1_3genE10ELNS1_11target_archE1200ELNS1_3gpuE4ELNS1_3repE0EEENS1_30default_config_static_selectorELNS0_4arch9wavefront6targetE0EEEvT1_.num_vgpr, 0
	.set _ZN7rocprim17ROCPRIM_400000_NS6detail17trampoline_kernelINS0_14default_configENS1_25partition_config_selectorILNS1_17partition_subalgoE6EiNS0_10empty_typeEbEEZZNS1_14partition_implILS5_6ELb0ES3_mN6thrust23THRUST_200600_302600_NS6detail15normal_iteratorINSA_10device_ptrIiEEEEPS6_SG_NS0_5tupleIJNSA_16discard_iteratorINSA_11use_defaultEEES6_EEENSH_IJSG_SG_EEES6_PlJNSB_9not_fun_tINSB_14equal_to_valueIiEEEEEEE10hipError_tPvRmT3_T4_T5_T6_T7_T9_mT8_P12ihipStream_tbDpT10_ENKUlT_T0_E_clISt17integral_constantIbLb1EES1A_IbLb0EEEEDaS16_S17_EUlS16_E_NS1_11comp_targetILNS1_3genE10ELNS1_11target_archE1200ELNS1_3gpuE4ELNS1_3repE0EEENS1_30default_config_static_selectorELNS0_4arch9wavefront6targetE0EEEvT1_.num_agpr, 0
	.set _ZN7rocprim17ROCPRIM_400000_NS6detail17trampoline_kernelINS0_14default_configENS1_25partition_config_selectorILNS1_17partition_subalgoE6EiNS0_10empty_typeEbEEZZNS1_14partition_implILS5_6ELb0ES3_mN6thrust23THRUST_200600_302600_NS6detail15normal_iteratorINSA_10device_ptrIiEEEEPS6_SG_NS0_5tupleIJNSA_16discard_iteratorINSA_11use_defaultEEES6_EEENSH_IJSG_SG_EEES6_PlJNSB_9not_fun_tINSB_14equal_to_valueIiEEEEEEE10hipError_tPvRmT3_T4_T5_T6_T7_T9_mT8_P12ihipStream_tbDpT10_ENKUlT_T0_E_clISt17integral_constantIbLb1EES1A_IbLb0EEEEDaS16_S17_EUlS16_E_NS1_11comp_targetILNS1_3genE10ELNS1_11target_archE1200ELNS1_3gpuE4ELNS1_3repE0EEENS1_30default_config_static_selectorELNS0_4arch9wavefront6targetE0EEEvT1_.numbered_sgpr, 0
	.set _ZN7rocprim17ROCPRIM_400000_NS6detail17trampoline_kernelINS0_14default_configENS1_25partition_config_selectorILNS1_17partition_subalgoE6EiNS0_10empty_typeEbEEZZNS1_14partition_implILS5_6ELb0ES3_mN6thrust23THRUST_200600_302600_NS6detail15normal_iteratorINSA_10device_ptrIiEEEEPS6_SG_NS0_5tupleIJNSA_16discard_iteratorINSA_11use_defaultEEES6_EEENSH_IJSG_SG_EEES6_PlJNSB_9not_fun_tINSB_14equal_to_valueIiEEEEEEE10hipError_tPvRmT3_T4_T5_T6_T7_T9_mT8_P12ihipStream_tbDpT10_ENKUlT_T0_E_clISt17integral_constantIbLb1EES1A_IbLb0EEEEDaS16_S17_EUlS16_E_NS1_11comp_targetILNS1_3genE10ELNS1_11target_archE1200ELNS1_3gpuE4ELNS1_3repE0EEENS1_30default_config_static_selectorELNS0_4arch9wavefront6targetE0EEEvT1_.num_named_barrier, 0
	.set _ZN7rocprim17ROCPRIM_400000_NS6detail17trampoline_kernelINS0_14default_configENS1_25partition_config_selectorILNS1_17partition_subalgoE6EiNS0_10empty_typeEbEEZZNS1_14partition_implILS5_6ELb0ES3_mN6thrust23THRUST_200600_302600_NS6detail15normal_iteratorINSA_10device_ptrIiEEEEPS6_SG_NS0_5tupleIJNSA_16discard_iteratorINSA_11use_defaultEEES6_EEENSH_IJSG_SG_EEES6_PlJNSB_9not_fun_tINSB_14equal_to_valueIiEEEEEEE10hipError_tPvRmT3_T4_T5_T6_T7_T9_mT8_P12ihipStream_tbDpT10_ENKUlT_T0_E_clISt17integral_constantIbLb1EES1A_IbLb0EEEEDaS16_S17_EUlS16_E_NS1_11comp_targetILNS1_3genE10ELNS1_11target_archE1200ELNS1_3gpuE4ELNS1_3repE0EEENS1_30default_config_static_selectorELNS0_4arch9wavefront6targetE0EEEvT1_.private_seg_size, 0
	.set _ZN7rocprim17ROCPRIM_400000_NS6detail17trampoline_kernelINS0_14default_configENS1_25partition_config_selectorILNS1_17partition_subalgoE6EiNS0_10empty_typeEbEEZZNS1_14partition_implILS5_6ELb0ES3_mN6thrust23THRUST_200600_302600_NS6detail15normal_iteratorINSA_10device_ptrIiEEEEPS6_SG_NS0_5tupleIJNSA_16discard_iteratorINSA_11use_defaultEEES6_EEENSH_IJSG_SG_EEES6_PlJNSB_9not_fun_tINSB_14equal_to_valueIiEEEEEEE10hipError_tPvRmT3_T4_T5_T6_T7_T9_mT8_P12ihipStream_tbDpT10_ENKUlT_T0_E_clISt17integral_constantIbLb1EES1A_IbLb0EEEEDaS16_S17_EUlS16_E_NS1_11comp_targetILNS1_3genE10ELNS1_11target_archE1200ELNS1_3gpuE4ELNS1_3repE0EEENS1_30default_config_static_selectorELNS0_4arch9wavefront6targetE0EEEvT1_.uses_vcc, 0
	.set _ZN7rocprim17ROCPRIM_400000_NS6detail17trampoline_kernelINS0_14default_configENS1_25partition_config_selectorILNS1_17partition_subalgoE6EiNS0_10empty_typeEbEEZZNS1_14partition_implILS5_6ELb0ES3_mN6thrust23THRUST_200600_302600_NS6detail15normal_iteratorINSA_10device_ptrIiEEEEPS6_SG_NS0_5tupleIJNSA_16discard_iteratorINSA_11use_defaultEEES6_EEENSH_IJSG_SG_EEES6_PlJNSB_9not_fun_tINSB_14equal_to_valueIiEEEEEEE10hipError_tPvRmT3_T4_T5_T6_T7_T9_mT8_P12ihipStream_tbDpT10_ENKUlT_T0_E_clISt17integral_constantIbLb1EES1A_IbLb0EEEEDaS16_S17_EUlS16_E_NS1_11comp_targetILNS1_3genE10ELNS1_11target_archE1200ELNS1_3gpuE4ELNS1_3repE0EEENS1_30default_config_static_selectorELNS0_4arch9wavefront6targetE0EEEvT1_.uses_flat_scratch, 0
	.set _ZN7rocprim17ROCPRIM_400000_NS6detail17trampoline_kernelINS0_14default_configENS1_25partition_config_selectorILNS1_17partition_subalgoE6EiNS0_10empty_typeEbEEZZNS1_14partition_implILS5_6ELb0ES3_mN6thrust23THRUST_200600_302600_NS6detail15normal_iteratorINSA_10device_ptrIiEEEEPS6_SG_NS0_5tupleIJNSA_16discard_iteratorINSA_11use_defaultEEES6_EEENSH_IJSG_SG_EEES6_PlJNSB_9not_fun_tINSB_14equal_to_valueIiEEEEEEE10hipError_tPvRmT3_T4_T5_T6_T7_T9_mT8_P12ihipStream_tbDpT10_ENKUlT_T0_E_clISt17integral_constantIbLb1EES1A_IbLb0EEEEDaS16_S17_EUlS16_E_NS1_11comp_targetILNS1_3genE10ELNS1_11target_archE1200ELNS1_3gpuE4ELNS1_3repE0EEENS1_30default_config_static_selectorELNS0_4arch9wavefront6targetE0EEEvT1_.has_dyn_sized_stack, 0
	.set _ZN7rocprim17ROCPRIM_400000_NS6detail17trampoline_kernelINS0_14default_configENS1_25partition_config_selectorILNS1_17partition_subalgoE6EiNS0_10empty_typeEbEEZZNS1_14partition_implILS5_6ELb0ES3_mN6thrust23THRUST_200600_302600_NS6detail15normal_iteratorINSA_10device_ptrIiEEEEPS6_SG_NS0_5tupleIJNSA_16discard_iteratorINSA_11use_defaultEEES6_EEENSH_IJSG_SG_EEES6_PlJNSB_9not_fun_tINSB_14equal_to_valueIiEEEEEEE10hipError_tPvRmT3_T4_T5_T6_T7_T9_mT8_P12ihipStream_tbDpT10_ENKUlT_T0_E_clISt17integral_constantIbLb1EES1A_IbLb0EEEEDaS16_S17_EUlS16_E_NS1_11comp_targetILNS1_3genE10ELNS1_11target_archE1200ELNS1_3gpuE4ELNS1_3repE0EEENS1_30default_config_static_selectorELNS0_4arch9wavefront6targetE0EEEvT1_.has_recursion, 0
	.set _ZN7rocprim17ROCPRIM_400000_NS6detail17trampoline_kernelINS0_14default_configENS1_25partition_config_selectorILNS1_17partition_subalgoE6EiNS0_10empty_typeEbEEZZNS1_14partition_implILS5_6ELb0ES3_mN6thrust23THRUST_200600_302600_NS6detail15normal_iteratorINSA_10device_ptrIiEEEEPS6_SG_NS0_5tupleIJNSA_16discard_iteratorINSA_11use_defaultEEES6_EEENSH_IJSG_SG_EEES6_PlJNSB_9not_fun_tINSB_14equal_to_valueIiEEEEEEE10hipError_tPvRmT3_T4_T5_T6_T7_T9_mT8_P12ihipStream_tbDpT10_ENKUlT_T0_E_clISt17integral_constantIbLb1EES1A_IbLb0EEEEDaS16_S17_EUlS16_E_NS1_11comp_targetILNS1_3genE10ELNS1_11target_archE1200ELNS1_3gpuE4ELNS1_3repE0EEENS1_30default_config_static_selectorELNS0_4arch9wavefront6targetE0EEEvT1_.has_indirect_call, 0
	.section	.AMDGPU.csdata,"",@progbits
; Kernel info:
; codeLenInByte = 4
; TotalNumSgprs: 0
; NumVgprs: 0
; ScratchSize: 0
; MemoryBound: 0
; FloatMode: 240
; IeeeMode: 1
; LDSByteSize: 0 bytes/workgroup (compile time only)
; SGPRBlocks: 0
; VGPRBlocks: 0
; NumSGPRsForWavesPerEU: 1
; NumVGPRsForWavesPerEU: 1
; Occupancy: 16
; WaveLimiterHint : 0
; COMPUTE_PGM_RSRC2:SCRATCH_EN: 0
; COMPUTE_PGM_RSRC2:USER_SGPR: 2
; COMPUTE_PGM_RSRC2:TRAP_HANDLER: 0
; COMPUTE_PGM_RSRC2:TGID_X_EN: 1
; COMPUTE_PGM_RSRC2:TGID_Y_EN: 0
; COMPUTE_PGM_RSRC2:TGID_Z_EN: 0
; COMPUTE_PGM_RSRC2:TIDIG_COMP_CNT: 0
	.section	.text._ZN7rocprim17ROCPRIM_400000_NS6detail17trampoline_kernelINS0_14default_configENS1_25partition_config_selectorILNS1_17partition_subalgoE6EiNS0_10empty_typeEbEEZZNS1_14partition_implILS5_6ELb0ES3_mN6thrust23THRUST_200600_302600_NS6detail15normal_iteratorINSA_10device_ptrIiEEEEPS6_SG_NS0_5tupleIJNSA_16discard_iteratorINSA_11use_defaultEEES6_EEENSH_IJSG_SG_EEES6_PlJNSB_9not_fun_tINSB_14equal_to_valueIiEEEEEEE10hipError_tPvRmT3_T4_T5_T6_T7_T9_mT8_P12ihipStream_tbDpT10_ENKUlT_T0_E_clISt17integral_constantIbLb1EES1A_IbLb0EEEEDaS16_S17_EUlS16_E_NS1_11comp_targetILNS1_3genE9ELNS1_11target_archE1100ELNS1_3gpuE3ELNS1_3repE0EEENS1_30default_config_static_selectorELNS0_4arch9wavefront6targetE0EEEvT1_,"axG",@progbits,_ZN7rocprim17ROCPRIM_400000_NS6detail17trampoline_kernelINS0_14default_configENS1_25partition_config_selectorILNS1_17partition_subalgoE6EiNS0_10empty_typeEbEEZZNS1_14partition_implILS5_6ELb0ES3_mN6thrust23THRUST_200600_302600_NS6detail15normal_iteratorINSA_10device_ptrIiEEEEPS6_SG_NS0_5tupleIJNSA_16discard_iteratorINSA_11use_defaultEEES6_EEENSH_IJSG_SG_EEES6_PlJNSB_9not_fun_tINSB_14equal_to_valueIiEEEEEEE10hipError_tPvRmT3_T4_T5_T6_T7_T9_mT8_P12ihipStream_tbDpT10_ENKUlT_T0_E_clISt17integral_constantIbLb1EES1A_IbLb0EEEEDaS16_S17_EUlS16_E_NS1_11comp_targetILNS1_3genE9ELNS1_11target_archE1100ELNS1_3gpuE3ELNS1_3repE0EEENS1_30default_config_static_selectorELNS0_4arch9wavefront6targetE0EEEvT1_,comdat
	.protected	_ZN7rocprim17ROCPRIM_400000_NS6detail17trampoline_kernelINS0_14default_configENS1_25partition_config_selectorILNS1_17partition_subalgoE6EiNS0_10empty_typeEbEEZZNS1_14partition_implILS5_6ELb0ES3_mN6thrust23THRUST_200600_302600_NS6detail15normal_iteratorINSA_10device_ptrIiEEEEPS6_SG_NS0_5tupleIJNSA_16discard_iteratorINSA_11use_defaultEEES6_EEENSH_IJSG_SG_EEES6_PlJNSB_9not_fun_tINSB_14equal_to_valueIiEEEEEEE10hipError_tPvRmT3_T4_T5_T6_T7_T9_mT8_P12ihipStream_tbDpT10_ENKUlT_T0_E_clISt17integral_constantIbLb1EES1A_IbLb0EEEEDaS16_S17_EUlS16_E_NS1_11comp_targetILNS1_3genE9ELNS1_11target_archE1100ELNS1_3gpuE3ELNS1_3repE0EEENS1_30default_config_static_selectorELNS0_4arch9wavefront6targetE0EEEvT1_ ; -- Begin function _ZN7rocprim17ROCPRIM_400000_NS6detail17trampoline_kernelINS0_14default_configENS1_25partition_config_selectorILNS1_17partition_subalgoE6EiNS0_10empty_typeEbEEZZNS1_14partition_implILS5_6ELb0ES3_mN6thrust23THRUST_200600_302600_NS6detail15normal_iteratorINSA_10device_ptrIiEEEEPS6_SG_NS0_5tupleIJNSA_16discard_iteratorINSA_11use_defaultEEES6_EEENSH_IJSG_SG_EEES6_PlJNSB_9not_fun_tINSB_14equal_to_valueIiEEEEEEE10hipError_tPvRmT3_T4_T5_T6_T7_T9_mT8_P12ihipStream_tbDpT10_ENKUlT_T0_E_clISt17integral_constantIbLb1EES1A_IbLb0EEEEDaS16_S17_EUlS16_E_NS1_11comp_targetILNS1_3genE9ELNS1_11target_archE1100ELNS1_3gpuE3ELNS1_3repE0EEENS1_30default_config_static_selectorELNS0_4arch9wavefront6targetE0EEEvT1_
	.globl	_ZN7rocprim17ROCPRIM_400000_NS6detail17trampoline_kernelINS0_14default_configENS1_25partition_config_selectorILNS1_17partition_subalgoE6EiNS0_10empty_typeEbEEZZNS1_14partition_implILS5_6ELb0ES3_mN6thrust23THRUST_200600_302600_NS6detail15normal_iteratorINSA_10device_ptrIiEEEEPS6_SG_NS0_5tupleIJNSA_16discard_iteratorINSA_11use_defaultEEES6_EEENSH_IJSG_SG_EEES6_PlJNSB_9not_fun_tINSB_14equal_to_valueIiEEEEEEE10hipError_tPvRmT3_T4_T5_T6_T7_T9_mT8_P12ihipStream_tbDpT10_ENKUlT_T0_E_clISt17integral_constantIbLb1EES1A_IbLb0EEEEDaS16_S17_EUlS16_E_NS1_11comp_targetILNS1_3genE9ELNS1_11target_archE1100ELNS1_3gpuE3ELNS1_3repE0EEENS1_30default_config_static_selectorELNS0_4arch9wavefront6targetE0EEEvT1_
	.p2align	8
	.type	_ZN7rocprim17ROCPRIM_400000_NS6detail17trampoline_kernelINS0_14default_configENS1_25partition_config_selectorILNS1_17partition_subalgoE6EiNS0_10empty_typeEbEEZZNS1_14partition_implILS5_6ELb0ES3_mN6thrust23THRUST_200600_302600_NS6detail15normal_iteratorINSA_10device_ptrIiEEEEPS6_SG_NS0_5tupleIJNSA_16discard_iteratorINSA_11use_defaultEEES6_EEENSH_IJSG_SG_EEES6_PlJNSB_9not_fun_tINSB_14equal_to_valueIiEEEEEEE10hipError_tPvRmT3_T4_T5_T6_T7_T9_mT8_P12ihipStream_tbDpT10_ENKUlT_T0_E_clISt17integral_constantIbLb1EES1A_IbLb0EEEEDaS16_S17_EUlS16_E_NS1_11comp_targetILNS1_3genE9ELNS1_11target_archE1100ELNS1_3gpuE3ELNS1_3repE0EEENS1_30default_config_static_selectorELNS0_4arch9wavefront6targetE0EEEvT1_,@function
_ZN7rocprim17ROCPRIM_400000_NS6detail17trampoline_kernelINS0_14default_configENS1_25partition_config_selectorILNS1_17partition_subalgoE6EiNS0_10empty_typeEbEEZZNS1_14partition_implILS5_6ELb0ES3_mN6thrust23THRUST_200600_302600_NS6detail15normal_iteratorINSA_10device_ptrIiEEEEPS6_SG_NS0_5tupleIJNSA_16discard_iteratorINSA_11use_defaultEEES6_EEENSH_IJSG_SG_EEES6_PlJNSB_9not_fun_tINSB_14equal_to_valueIiEEEEEEE10hipError_tPvRmT3_T4_T5_T6_T7_T9_mT8_P12ihipStream_tbDpT10_ENKUlT_T0_E_clISt17integral_constantIbLb1EES1A_IbLb0EEEEDaS16_S17_EUlS16_E_NS1_11comp_targetILNS1_3genE9ELNS1_11target_archE1100ELNS1_3gpuE3ELNS1_3repE0EEENS1_30default_config_static_selectorELNS0_4arch9wavefront6targetE0EEEvT1_: ; @_ZN7rocprim17ROCPRIM_400000_NS6detail17trampoline_kernelINS0_14default_configENS1_25partition_config_selectorILNS1_17partition_subalgoE6EiNS0_10empty_typeEbEEZZNS1_14partition_implILS5_6ELb0ES3_mN6thrust23THRUST_200600_302600_NS6detail15normal_iteratorINSA_10device_ptrIiEEEEPS6_SG_NS0_5tupleIJNSA_16discard_iteratorINSA_11use_defaultEEES6_EEENSH_IJSG_SG_EEES6_PlJNSB_9not_fun_tINSB_14equal_to_valueIiEEEEEEE10hipError_tPvRmT3_T4_T5_T6_T7_T9_mT8_P12ihipStream_tbDpT10_ENKUlT_T0_E_clISt17integral_constantIbLb1EES1A_IbLb0EEEEDaS16_S17_EUlS16_E_NS1_11comp_targetILNS1_3genE9ELNS1_11target_archE1100ELNS1_3gpuE3ELNS1_3repE0EEENS1_30default_config_static_selectorELNS0_4arch9wavefront6targetE0EEEvT1_
; %bb.0:
	.section	.rodata,"a",@progbits
	.p2align	6, 0x0
	.amdhsa_kernel _ZN7rocprim17ROCPRIM_400000_NS6detail17trampoline_kernelINS0_14default_configENS1_25partition_config_selectorILNS1_17partition_subalgoE6EiNS0_10empty_typeEbEEZZNS1_14partition_implILS5_6ELb0ES3_mN6thrust23THRUST_200600_302600_NS6detail15normal_iteratorINSA_10device_ptrIiEEEEPS6_SG_NS0_5tupleIJNSA_16discard_iteratorINSA_11use_defaultEEES6_EEENSH_IJSG_SG_EEES6_PlJNSB_9not_fun_tINSB_14equal_to_valueIiEEEEEEE10hipError_tPvRmT3_T4_T5_T6_T7_T9_mT8_P12ihipStream_tbDpT10_ENKUlT_T0_E_clISt17integral_constantIbLb1EES1A_IbLb0EEEEDaS16_S17_EUlS16_E_NS1_11comp_targetILNS1_3genE9ELNS1_11target_archE1100ELNS1_3gpuE3ELNS1_3repE0EEENS1_30default_config_static_selectorELNS0_4arch9wavefront6targetE0EEEvT1_
		.amdhsa_group_segment_fixed_size 0
		.amdhsa_private_segment_fixed_size 0
		.amdhsa_kernarg_size 128
		.amdhsa_user_sgpr_count 2
		.amdhsa_user_sgpr_dispatch_ptr 0
		.amdhsa_user_sgpr_queue_ptr 0
		.amdhsa_user_sgpr_kernarg_segment_ptr 1
		.amdhsa_user_sgpr_dispatch_id 0
		.amdhsa_user_sgpr_private_segment_size 0
		.amdhsa_wavefront_size32 1
		.amdhsa_uses_dynamic_stack 0
		.amdhsa_enable_private_segment 0
		.amdhsa_system_sgpr_workgroup_id_x 1
		.amdhsa_system_sgpr_workgroup_id_y 0
		.amdhsa_system_sgpr_workgroup_id_z 0
		.amdhsa_system_sgpr_workgroup_info 0
		.amdhsa_system_vgpr_workitem_id 0
		.amdhsa_next_free_vgpr 1
		.amdhsa_next_free_sgpr 1
		.amdhsa_reserve_vcc 0
		.amdhsa_float_round_mode_32 0
		.amdhsa_float_round_mode_16_64 0
		.amdhsa_float_denorm_mode_32 3
		.amdhsa_float_denorm_mode_16_64 3
		.amdhsa_fp16_overflow 0
		.amdhsa_workgroup_processor_mode 1
		.amdhsa_memory_ordered 1
		.amdhsa_forward_progress 1
		.amdhsa_inst_pref_size 0
		.amdhsa_round_robin_scheduling 0
		.amdhsa_exception_fp_ieee_invalid_op 0
		.amdhsa_exception_fp_denorm_src 0
		.amdhsa_exception_fp_ieee_div_zero 0
		.amdhsa_exception_fp_ieee_overflow 0
		.amdhsa_exception_fp_ieee_underflow 0
		.amdhsa_exception_fp_ieee_inexact 0
		.amdhsa_exception_int_div_zero 0
	.end_amdhsa_kernel
	.section	.text._ZN7rocprim17ROCPRIM_400000_NS6detail17trampoline_kernelINS0_14default_configENS1_25partition_config_selectorILNS1_17partition_subalgoE6EiNS0_10empty_typeEbEEZZNS1_14partition_implILS5_6ELb0ES3_mN6thrust23THRUST_200600_302600_NS6detail15normal_iteratorINSA_10device_ptrIiEEEEPS6_SG_NS0_5tupleIJNSA_16discard_iteratorINSA_11use_defaultEEES6_EEENSH_IJSG_SG_EEES6_PlJNSB_9not_fun_tINSB_14equal_to_valueIiEEEEEEE10hipError_tPvRmT3_T4_T5_T6_T7_T9_mT8_P12ihipStream_tbDpT10_ENKUlT_T0_E_clISt17integral_constantIbLb1EES1A_IbLb0EEEEDaS16_S17_EUlS16_E_NS1_11comp_targetILNS1_3genE9ELNS1_11target_archE1100ELNS1_3gpuE3ELNS1_3repE0EEENS1_30default_config_static_selectorELNS0_4arch9wavefront6targetE0EEEvT1_,"axG",@progbits,_ZN7rocprim17ROCPRIM_400000_NS6detail17trampoline_kernelINS0_14default_configENS1_25partition_config_selectorILNS1_17partition_subalgoE6EiNS0_10empty_typeEbEEZZNS1_14partition_implILS5_6ELb0ES3_mN6thrust23THRUST_200600_302600_NS6detail15normal_iteratorINSA_10device_ptrIiEEEEPS6_SG_NS0_5tupleIJNSA_16discard_iteratorINSA_11use_defaultEEES6_EEENSH_IJSG_SG_EEES6_PlJNSB_9not_fun_tINSB_14equal_to_valueIiEEEEEEE10hipError_tPvRmT3_T4_T5_T6_T7_T9_mT8_P12ihipStream_tbDpT10_ENKUlT_T0_E_clISt17integral_constantIbLb1EES1A_IbLb0EEEEDaS16_S17_EUlS16_E_NS1_11comp_targetILNS1_3genE9ELNS1_11target_archE1100ELNS1_3gpuE3ELNS1_3repE0EEENS1_30default_config_static_selectorELNS0_4arch9wavefront6targetE0EEEvT1_,comdat
.Lfunc_end1779:
	.size	_ZN7rocprim17ROCPRIM_400000_NS6detail17trampoline_kernelINS0_14default_configENS1_25partition_config_selectorILNS1_17partition_subalgoE6EiNS0_10empty_typeEbEEZZNS1_14partition_implILS5_6ELb0ES3_mN6thrust23THRUST_200600_302600_NS6detail15normal_iteratorINSA_10device_ptrIiEEEEPS6_SG_NS0_5tupleIJNSA_16discard_iteratorINSA_11use_defaultEEES6_EEENSH_IJSG_SG_EEES6_PlJNSB_9not_fun_tINSB_14equal_to_valueIiEEEEEEE10hipError_tPvRmT3_T4_T5_T6_T7_T9_mT8_P12ihipStream_tbDpT10_ENKUlT_T0_E_clISt17integral_constantIbLb1EES1A_IbLb0EEEEDaS16_S17_EUlS16_E_NS1_11comp_targetILNS1_3genE9ELNS1_11target_archE1100ELNS1_3gpuE3ELNS1_3repE0EEENS1_30default_config_static_selectorELNS0_4arch9wavefront6targetE0EEEvT1_, .Lfunc_end1779-_ZN7rocprim17ROCPRIM_400000_NS6detail17trampoline_kernelINS0_14default_configENS1_25partition_config_selectorILNS1_17partition_subalgoE6EiNS0_10empty_typeEbEEZZNS1_14partition_implILS5_6ELb0ES3_mN6thrust23THRUST_200600_302600_NS6detail15normal_iteratorINSA_10device_ptrIiEEEEPS6_SG_NS0_5tupleIJNSA_16discard_iteratorINSA_11use_defaultEEES6_EEENSH_IJSG_SG_EEES6_PlJNSB_9not_fun_tINSB_14equal_to_valueIiEEEEEEE10hipError_tPvRmT3_T4_T5_T6_T7_T9_mT8_P12ihipStream_tbDpT10_ENKUlT_T0_E_clISt17integral_constantIbLb1EES1A_IbLb0EEEEDaS16_S17_EUlS16_E_NS1_11comp_targetILNS1_3genE9ELNS1_11target_archE1100ELNS1_3gpuE3ELNS1_3repE0EEENS1_30default_config_static_selectorELNS0_4arch9wavefront6targetE0EEEvT1_
                                        ; -- End function
	.set _ZN7rocprim17ROCPRIM_400000_NS6detail17trampoline_kernelINS0_14default_configENS1_25partition_config_selectorILNS1_17partition_subalgoE6EiNS0_10empty_typeEbEEZZNS1_14partition_implILS5_6ELb0ES3_mN6thrust23THRUST_200600_302600_NS6detail15normal_iteratorINSA_10device_ptrIiEEEEPS6_SG_NS0_5tupleIJNSA_16discard_iteratorINSA_11use_defaultEEES6_EEENSH_IJSG_SG_EEES6_PlJNSB_9not_fun_tINSB_14equal_to_valueIiEEEEEEE10hipError_tPvRmT3_T4_T5_T6_T7_T9_mT8_P12ihipStream_tbDpT10_ENKUlT_T0_E_clISt17integral_constantIbLb1EES1A_IbLb0EEEEDaS16_S17_EUlS16_E_NS1_11comp_targetILNS1_3genE9ELNS1_11target_archE1100ELNS1_3gpuE3ELNS1_3repE0EEENS1_30default_config_static_selectorELNS0_4arch9wavefront6targetE0EEEvT1_.num_vgpr, 0
	.set _ZN7rocprim17ROCPRIM_400000_NS6detail17trampoline_kernelINS0_14default_configENS1_25partition_config_selectorILNS1_17partition_subalgoE6EiNS0_10empty_typeEbEEZZNS1_14partition_implILS5_6ELb0ES3_mN6thrust23THRUST_200600_302600_NS6detail15normal_iteratorINSA_10device_ptrIiEEEEPS6_SG_NS0_5tupleIJNSA_16discard_iteratorINSA_11use_defaultEEES6_EEENSH_IJSG_SG_EEES6_PlJNSB_9not_fun_tINSB_14equal_to_valueIiEEEEEEE10hipError_tPvRmT3_T4_T5_T6_T7_T9_mT8_P12ihipStream_tbDpT10_ENKUlT_T0_E_clISt17integral_constantIbLb1EES1A_IbLb0EEEEDaS16_S17_EUlS16_E_NS1_11comp_targetILNS1_3genE9ELNS1_11target_archE1100ELNS1_3gpuE3ELNS1_3repE0EEENS1_30default_config_static_selectorELNS0_4arch9wavefront6targetE0EEEvT1_.num_agpr, 0
	.set _ZN7rocprim17ROCPRIM_400000_NS6detail17trampoline_kernelINS0_14default_configENS1_25partition_config_selectorILNS1_17partition_subalgoE6EiNS0_10empty_typeEbEEZZNS1_14partition_implILS5_6ELb0ES3_mN6thrust23THRUST_200600_302600_NS6detail15normal_iteratorINSA_10device_ptrIiEEEEPS6_SG_NS0_5tupleIJNSA_16discard_iteratorINSA_11use_defaultEEES6_EEENSH_IJSG_SG_EEES6_PlJNSB_9not_fun_tINSB_14equal_to_valueIiEEEEEEE10hipError_tPvRmT3_T4_T5_T6_T7_T9_mT8_P12ihipStream_tbDpT10_ENKUlT_T0_E_clISt17integral_constantIbLb1EES1A_IbLb0EEEEDaS16_S17_EUlS16_E_NS1_11comp_targetILNS1_3genE9ELNS1_11target_archE1100ELNS1_3gpuE3ELNS1_3repE0EEENS1_30default_config_static_selectorELNS0_4arch9wavefront6targetE0EEEvT1_.numbered_sgpr, 0
	.set _ZN7rocprim17ROCPRIM_400000_NS6detail17trampoline_kernelINS0_14default_configENS1_25partition_config_selectorILNS1_17partition_subalgoE6EiNS0_10empty_typeEbEEZZNS1_14partition_implILS5_6ELb0ES3_mN6thrust23THRUST_200600_302600_NS6detail15normal_iteratorINSA_10device_ptrIiEEEEPS6_SG_NS0_5tupleIJNSA_16discard_iteratorINSA_11use_defaultEEES6_EEENSH_IJSG_SG_EEES6_PlJNSB_9not_fun_tINSB_14equal_to_valueIiEEEEEEE10hipError_tPvRmT3_T4_T5_T6_T7_T9_mT8_P12ihipStream_tbDpT10_ENKUlT_T0_E_clISt17integral_constantIbLb1EES1A_IbLb0EEEEDaS16_S17_EUlS16_E_NS1_11comp_targetILNS1_3genE9ELNS1_11target_archE1100ELNS1_3gpuE3ELNS1_3repE0EEENS1_30default_config_static_selectorELNS0_4arch9wavefront6targetE0EEEvT1_.num_named_barrier, 0
	.set _ZN7rocprim17ROCPRIM_400000_NS6detail17trampoline_kernelINS0_14default_configENS1_25partition_config_selectorILNS1_17partition_subalgoE6EiNS0_10empty_typeEbEEZZNS1_14partition_implILS5_6ELb0ES3_mN6thrust23THRUST_200600_302600_NS6detail15normal_iteratorINSA_10device_ptrIiEEEEPS6_SG_NS0_5tupleIJNSA_16discard_iteratorINSA_11use_defaultEEES6_EEENSH_IJSG_SG_EEES6_PlJNSB_9not_fun_tINSB_14equal_to_valueIiEEEEEEE10hipError_tPvRmT3_T4_T5_T6_T7_T9_mT8_P12ihipStream_tbDpT10_ENKUlT_T0_E_clISt17integral_constantIbLb1EES1A_IbLb0EEEEDaS16_S17_EUlS16_E_NS1_11comp_targetILNS1_3genE9ELNS1_11target_archE1100ELNS1_3gpuE3ELNS1_3repE0EEENS1_30default_config_static_selectorELNS0_4arch9wavefront6targetE0EEEvT1_.private_seg_size, 0
	.set _ZN7rocprim17ROCPRIM_400000_NS6detail17trampoline_kernelINS0_14default_configENS1_25partition_config_selectorILNS1_17partition_subalgoE6EiNS0_10empty_typeEbEEZZNS1_14partition_implILS5_6ELb0ES3_mN6thrust23THRUST_200600_302600_NS6detail15normal_iteratorINSA_10device_ptrIiEEEEPS6_SG_NS0_5tupleIJNSA_16discard_iteratorINSA_11use_defaultEEES6_EEENSH_IJSG_SG_EEES6_PlJNSB_9not_fun_tINSB_14equal_to_valueIiEEEEEEE10hipError_tPvRmT3_T4_T5_T6_T7_T9_mT8_P12ihipStream_tbDpT10_ENKUlT_T0_E_clISt17integral_constantIbLb1EES1A_IbLb0EEEEDaS16_S17_EUlS16_E_NS1_11comp_targetILNS1_3genE9ELNS1_11target_archE1100ELNS1_3gpuE3ELNS1_3repE0EEENS1_30default_config_static_selectorELNS0_4arch9wavefront6targetE0EEEvT1_.uses_vcc, 0
	.set _ZN7rocprim17ROCPRIM_400000_NS6detail17trampoline_kernelINS0_14default_configENS1_25partition_config_selectorILNS1_17partition_subalgoE6EiNS0_10empty_typeEbEEZZNS1_14partition_implILS5_6ELb0ES3_mN6thrust23THRUST_200600_302600_NS6detail15normal_iteratorINSA_10device_ptrIiEEEEPS6_SG_NS0_5tupleIJNSA_16discard_iteratorINSA_11use_defaultEEES6_EEENSH_IJSG_SG_EEES6_PlJNSB_9not_fun_tINSB_14equal_to_valueIiEEEEEEE10hipError_tPvRmT3_T4_T5_T6_T7_T9_mT8_P12ihipStream_tbDpT10_ENKUlT_T0_E_clISt17integral_constantIbLb1EES1A_IbLb0EEEEDaS16_S17_EUlS16_E_NS1_11comp_targetILNS1_3genE9ELNS1_11target_archE1100ELNS1_3gpuE3ELNS1_3repE0EEENS1_30default_config_static_selectorELNS0_4arch9wavefront6targetE0EEEvT1_.uses_flat_scratch, 0
	.set _ZN7rocprim17ROCPRIM_400000_NS6detail17trampoline_kernelINS0_14default_configENS1_25partition_config_selectorILNS1_17partition_subalgoE6EiNS0_10empty_typeEbEEZZNS1_14partition_implILS5_6ELb0ES3_mN6thrust23THRUST_200600_302600_NS6detail15normal_iteratorINSA_10device_ptrIiEEEEPS6_SG_NS0_5tupleIJNSA_16discard_iteratorINSA_11use_defaultEEES6_EEENSH_IJSG_SG_EEES6_PlJNSB_9not_fun_tINSB_14equal_to_valueIiEEEEEEE10hipError_tPvRmT3_T4_T5_T6_T7_T9_mT8_P12ihipStream_tbDpT10_ENKUlT_T0_E_clISt17integral_constantIbLb1EES1A_IbLb0EEEEDaS16_S17_EUlS16_E_NS1_11comp_targetILNS1_3genE9ELNS1_11target_archE1100ELNS1_3gpuE3ELNS1_3repE0EEENS1_30default_config_static_selectorELNS0_4arch9wavefront6targetE0EEEvT1_.has_dyn_sized_stack, 0
	.set _ZN7rocprim17ROCPRIM_400000_NS6detail17trampoline_kernelINS0_14default_configENS1_25partition_config_selectorILNS1_17partition_subalgoE6EiNS0_10empty_typeEbEEZZNS1_14partition_implILS5_6ELb0ES3_mN6thrust23THRUST_200600_302600_NS6detail15normal_iteratorINSA_10device_ptrIiEEEEPS6_SG_NS0_5tupleIJNSA_16discard_iteratorINSA_11use_defaultEEES6_EEENSH_IJSG_SG_EEES6_PlJNSB_9not_fun_tINSB_14equal_to_valueIiEEEEEEE10hipError_tPvRmT3_T4_T5_T6_T7_T9_mT8_P12ihipStream_tbDpT10_ENKUlT_T0_E_clISt17integral_constantIbLb1EES1A_IbLb0EEEEDaS16_S17_EUlS16_E_NS1_11comp_targetILNS1_3genE9ELNS1_11target_archE1100ELNS1_3gpuE3ELNS1_3repE0EEENS1_30default_config_static_selectorELNS0_4arch9wavefront6targetE0EEEvT1_.has_recursion, 0
	.set _ZN7rocprim17ROCPRIM_400000_NS6detail17trampoline_kernelINS0_14default_configENS1_25partition_config_selectorILNS1_17partition_subalgoE6EiNS0_10empty_typeEbEEZZNS1_14partition_implILS5_6ELb0ES3_mN6thrust23THRUST_200600_302600_NS6detail15normal_iteratorINSA_10device_ptrIiEEEEPS6_SG_NS0_5tupleIJNSA_16discard_iteratorINSA_11use_defaultEEES6_EEENSH_IJSG_SG_EEES6_PlJNSB_9not_fun_tINSB_14equal_to_valueIiEEEEEEE10hipError_tPvRmT3_T4_T5_T6_T7_T9_mT8_P12ihipStream_tbDpT10_ENKUlT_T0_E_clISt17integral_constantIbLb1EES1A_IbLb0EEEEDaS16_S17_EUlS16_E_NS1_11comp_targetILNS1_3genE9ELNS1_11target_archE1100ELNS1_3gpuE3ELNS1_3repE0EEENS1_30default_config_static_selectorELNS0_4arch9wavefront6targetE0EEEvT1_.has_indirect_call, 0
	.section	.AMDGPU.csdata,"",@progbits
; Kernel info:
; codeLenInByte = 0
; TotalNumSgprs: 0
; NumVgprs: 0
; ScratchSize: 0
; MemoryBound: 0
; FloatMode: 240
; IeeeMode: 1
; LDSByteSize: 0 bytes/workgroup (compile time only)
; SGPRBlocks: 0
; VGPRBlocks: 0
; NumSGPRsForWavesPerEU: 1
; NumVGPRsForWavesPerEU: 1
; Occupancy: 16
; WaveLimiterHint : 0
; COMPUTE_PGM_RSRC2:SCRATCH_EN: 0
; COMPUTE_PGM_RSRC2:USER_SGPR: 2
; COMPUTE_PGM_RSRC2:TRAP_HANDLER: 0
; COMPUTE_PGM_RSRC2:TGID_X_EN: 1
; COMPUTE_PGM_RSRC2:TGID_Y_EN: 0
; COMPUTE_PGM_RSRC2:TGID_Z_EN: 0
; COMPUTE_PGM_RSRC2:TIDIG_COMP_CNT: 0
	.section	.text._ZN7rocprim17ROCPRIM_400000_NS6detail17trampoline_kernelINS0_14default_configENS1_25partition_config_selectorILNS1_17partition_subalgoE6EiNS0_10empty_typeEbEEZZNS1_14partition_implILS5_6ELb0ES3_mN6thrust23THRUST_200600_302600_NS6detail15normal_iteratorINSA_10device_ptrIiEEEEPS6_SG_NS0_5tupleIJNSA_16discard_iteratorINSA_11use_defaultEEES6_EEENSH_IJSG_SG_EEES6_PlJNSB_9not_fun_tINSB_14equal_to_valueIiEEEEEEE10hipError_tPvRmT3_T4_T5_T6_T7_T9_mT8_P12ihipStream_tbDpT10_ENKUlT_T0_E_clISt17integral_constantIbLb1EES1A_IbLb0EEEEDaS16_S17_EUlS16_E_NS1_11comp_targetILNS1_3genE8ELNS1_11target_archE1030ELNS1_3gpuE2ELNS1_3repE0EEENS1_30default_config_static_selectorELNS0_4arch9wavefront6targetE0EEEvT1_,"axG",@progbits,_ZN7rocprim17ROCPRIM_400000_NS6detail17trampoline_kernelINS0_14default_configENS1_25partition_config_selectorILNS1_17partition_subalgoE6EiNS0_10empty_typeEbEEZZNS1_14partition_implILS5_6ELb0ES3_mN6thrust23THRUST_200600_302600_NS6detail15normal_iteratorINSA_10device_ptrIiEEEEPS6_SG_NS0_5tupleIJNSA_16discard_iteratorINSA_11use_defaultEEES6_EEENSH_IJSG_SG_EEES6_PlJNSB_9not_fun_tINSB_14equal_to_valueIiEEEEEEE10hipError_tPvRmT3_T4_T5_T6_T7_T9_mT8_P12ihipStream_tbDpT10_ENKUlT_T0_E_clISt17integral_constantIbLb1EES1A_IbLb0EEEEDaS16_S17_EUlS16_E_NS1_11comp_targetILNS1_3genE8ELNS1_11target_archE1030ELNS1_3gpuE2ELNS1_3repE0EEENS1_30default_config_static_selectorELNS0_4arch9wavefront6targetE0EEEvT1_,comdat
	.protected	_ZN7rocprim17ROCPRIM_400000_NS6detail17trampoline_kernelINS0_14default_configENS1_25partition_config_selectorILNS1_17partition_subalgoE6EiNS0_10empty_typeEbEEZZNS1_14partition_implILS5_6ELb0ES3_mN6thrust23THRUST_200600_302600_NS6detail15normal_iteratorINSA_10device_ptrIiEEEEPS6_SG_NS0_5tupleIJNSA_16discard_iteratorINSA_11use_defaultEEES6_EEENSH_IJSG_SG_EEES6_PlJNSB_9not_fun_tINSB_14equal_to_valueIiEEEEEEE10hipError_tPvRmT3_T4_T5_T6_T7_T9_mT8_P12ihipStream_tbDpT10_ENKUlT_T0_E_clISt17integral_constantIbLb1EES1A_IbLb0EEEEDaS16_S17_EUlS16_E_NS1_11comp_targetILNS1_3genE8ELNS1_11target_archE1030ELNS1_3gpuE2ELNS1_3repE0EEENS1_30default_config_static_selectorELNS0_4arch9wavefront6targetE0EEEvT1_ ; -- Begin function _ZN7rocprim17ROCPRIM_400000_NS6detail17trampoline_kernelINS0_14default_configENS1_25partition_config_selectorILNS1_17partition_subalgoE6EiNS0_10empty_typeEbEEZZNS1_14partition_implILS5_6ELb0ES3_mN6thrust23THRUST_200600_302600_NS6detail15normal_iteratorINSA_10device_ptrIiEEEEPS6_SG_NS0_5tupleIJNSA_16discard_iteratorINSA_11use_defaultEEES6_EEENSH_IJSG_SG_EEES6_PlJNSB_9not_fun_tINSB_14equal_to_valueIiEEEEEEE10hipError_tPvRmT3_T4_T5_T6_T7_T9_mT8_P12ihipStream_tbDpT10_ENKUlT_T0_E_clISt17integral_constantIbLb1EES1A_IbLb0EEEEDaS16_S17_EUlS16_E_NS1_11comp_targetILNS1_3genE8ELNS1_11target_archE1030ELNS1_3gpuE2ELNS1_3repE0EEENS1_30default_config_static_selectorELNS0_4arch9wavefront6targetE0EEEvT1_
	.globl	_ZN7rocprim17ROCPRIM_400000_NS6detail17trampoline_kernelINS0_14default_configENS1_25partition_config_selectorILNS1_17partition_subalgoE6EiNS0_10empty_typeEbEEZZNS1_14partition_implILS5_6ELb0ES3_mN6thrust23THRUST_200600_302600_NS6detail15normal_iteratorINSA_10device_ptrIiEEEEPS6_SG_NS0_5tupleIJNSA_16discard_iteratorINSA_11use_defaultEEES6_EEENSH_IJSG_SG_EEES6_PlJNSB_9not_fun_tINSB_14equal_to_valueIiEEEEEEE10hipError_tPvRmT3_T4_T5_T6_T7_T9_mT8_P12ihipStream_tbDpT10_ENKUlT_T0_E_clISt17integral_constantIbLb1EES1A_IbLb0EEEEDaS16_S17_EUlS16_E_NS1_11comp_targetILNS1_3genE8ELNS1_11target_archE1030ELNS1_3gpuE2ELNS1_3repE0EEENS1_30default_config_static_selectorELNS0_4arch9wavefront6targetE0EEEvT1_
	.p2align	8
	.type	_ZN7rocprim17ROCPRIM_400000_NS6detail17trampoline_kernelINS0_14default_configENS1_25partition_config_selectorILNS1_17partition_subalgoE6EiNS0_10empty_typeEbEEZZNS1_14partition_implILS5_6ELb0ES3_mN6thrust23THRUST_200600_302600_NS6detail15normal_iteratorINSA_10device_ptrIiEEEEPS6_SG_NS0_5tupleIJNSA_16discard_iteratorINSA_11use_defaultEEES6_EEENSH_IJSG_SG_EEES6_PlJNSB_9not_fun_tINSB_14equal_to_valueIiEEEEEEE10hipError_tPvRmT3_T4_T5_T6_T7_T9_mT8_P12ihipStream_tbDpT10_ENKUlT_T0_E_clISt17integral_constantIbLb1EES1A_IbLb0EEEEDaS16_S17_EUlS16_E_NS1_11comp_targetILNS1_3genE8ELNS1_11target_archE1030ELNS1_3gpuE2ELNS1_3repE0EEENS1_30default_config_static_selectorELNS0_4arch9wavefront6targetE0EEEvT1_,@function
_ZN7rocprim17ROCPRIM_400000_NS6detail17trampoline_kernelINS0_14default_configENS1_25partition_config_selectorILNS1_17partition_subalgoE6EiNS0_10empty_typeEbEEZZNS1_14partition_implILS5_6ELb0ES3_mN6thrust23THRUST_200600_302600_NS6detail15normal_iteratorINSA_10device_ptrIiEEEEPS6_SG_NS0_5tupleIJNSA_16discard_iteratorINSA_11use_defaultEEES6_EEENSH_IJSG_SG_EEES6_PlJNSB_9not_fun_tINSB_14equal_to_valueIiEEEEEEE10hipError_tPvRmT3_T4_T5_T6_T7_T9_mT8_P12ihipStream_tbDpT10_ENKUlT_T0_E_clISt17integral_constantIbLb1EES1A_IbLb0EEEEDaS16_S17_EUlS16_E_NS1_11comp_targetILNS1_3genE8ELNS1_11target_archE1030ELNS1_3gpuE2ELNS1_3repE0EEENS1_30default_config_static_selectorELNS0_4arch9wavefront6targetE0EEEvT1_: ; @_ZN7rocprim17ROCPRIM_400000_NS6detail17trampoline_kernelINS0_14default_configENS1_25partition_config_selectorILNS1_17partition_subalgoE6EiNS0_10empty_typeEbEEZZNS1_14partition_implILS5_6ELb0ES3_mN6thrust23THRUST_200600_302600_NS6detail15normal_iteratorINSA_10device_ptrIiEEEEPS6_SG_NS0_5tupleIJNSA_16discard_iteratorINSA_11use_defaultEEES6_EEENSH_IJSG_SG_EEES6_PlJNSB_9not_fun_tINSB_14equal_to_valueIiEEEEEEE10hipError_tPvRmT3_T4_T5_T6_T7_T9_mT8_P12ihipStream_tbDpT10_ENKUlT_T0_E_clISt17integral_constantIbLb1EES1A_IbLb0EEEEDaS16_S17_EUlS16_E_NS1_11comp_targetILNS1_3genE8ELNS1_11target_archE1030ELNS1_3gpuE2ELNS1_3repE0EEENS1_30default_config_static_selectorELNS0_4arch9wavefront6targetE0EEEvT1_
; %bb.0:
	.section	.rodata,"a",@progbits
	.p2align	6, 0x0
	.amdhsa_kernel _ZN7rocprim17ROCPRIM_400000_NS6detail17trampoline_kernelINS0_14default_configENS1_25partition_config_selectorILNS1_17partition_subalgoE6EiNS0_10empty_typeEbEEZZNS1_14partition_implILS5_6ELb0ES3_mN6thrust23THRUST_200600_302600_NS6detail15normal_iteratorINSA_10device_ptrIiEEEEPS6_SG_NS0_5tupleIJNSA_16discard_iteratorINSA_11use_defaultEEES6_EEENSH_IJSG_SG_EEES6_PlJNSB_9not_fun_tINSB_14equal_to_valueIiEEEEEEE10hipError_tPvRmT3_T4_T5_T6_T7_T9_mT8_P12ihipStream_tbDpT10_ENKUlT_T0_E_clISt17integral_constantIbLb1EES1A_IbLb0EEEEDaS16_S17_EUlS16_E_NS1_11comp_targetILNS1_3genE8ELNS1_11target_archE1030ELNS1_3gpuE2ELNS1_3repE0EEENS1_30default_config_static_selectorELNS0_4arch9wavefront6targetE0EEEvT1_
		.amdhsa_group_segment_fixed_size 0
		.amdhsa_private_segment_fixed_size 0
		.amdhsa_kernarg_size 128
		.amdhsa_user_sgpr_count 2
		.amdhsa_user_sgpr_dispatch_ptr 0
		.amdhsa_user_sgpr_queue_ptr 0
		.amdhsa_user_sgpr_kernarg_segment_ptr 1
		.amdhsa_user_sgpr_dispatch_id 0
		.amdhsa_user_sgpr_private_segment_size 0
		.amdhsa_wavefront_size32 1
		.amdhsa_uses_dynamic_stack 0
		.amdhsa_enable_private_segment 0
		.amdhsa_system_sgpr_workgroup_id_x 1
		.amdhsa_system_sgpr_workgroup_id_y 0
		.amdhsa_system_sgpr_workgroup_id_z 0
		.amdhsa_system_sgpr_workgroup_info 0
		.amdhsa_system_vgpr_workitem_id 0
		.amdhsa_next_free_vgpr 1
		.amdhsa_next_free_sgpr 1
		.amdhsa_reserve_vcc 0
		.amdhsa_float_round_mode_32 0
		.amdhsa_float_round_mode_16_64 0
		.amdhsa_float_denorm_mode_32 3
		.amdhsa_float_denorm_mode_16_64 3
		.amdhsa_fp16_overflow 0
		.amdhsa_workgroup_processor_mode 1
		.amdhsa_memory_ordered 1
		.amdhsa_forward_progress 1
		.amdhsa_inst_pref_size 0
		.amdhsa_round_robin_scheduling 0
		.amdhsa_exception_fp_ieee_invalid_op 0
		.amdhsa_exception_fp_denorm_src 0
		.amdhsa_exception_fp_ieee_div_zero 0
		.amdhsa_exception_fp_ieee_overflow 0
		.amdhsa_exception_fp_ieee_underflow 0
		.amdhsa_exception_fp_ieee_inexact 0
		.amdhsa_exception_int_div_zero 0
	.end_amdhsa_kernel
	.section	.text._ZN7rocprim17ROCPRIM_400000_NS6detail17trampoline_kernelINS0_14default_configENS1_25partition_config_selectorILNS1_17partition_subalgoE6EiNS0_10empty_typeEbEEZZNS1_14partition_implILS5_6ELb0ES3_mN6thrust23THRUST_200600_302600_NS6detail15normal_iteratorINSA_10device_ptrIiEEEEPS6_SG_NS0_5tupleIJNSA_16discard_iteratorINSA_11use_defaultEEES6_EEENSH_IJSG_SG_EEES6_PlJNSB_9not_fun_tINSB_14equal_to_valueIiEEEEEEE10hipError_tPvRmT3_T4_T5_T6_T7_T9_mT8_P12ihipStream_tbDpT10_ENKUlT_T0_E_clISt17integral_constantIbLb1EES1A_IbLb0EEEEDaS16_S17_EUlS16_E_NS1_11comp_targetILNS1_3genE8ELNS1_11target_archE1030ELNS1_3gpuE2ELNS1_3repE0EEENS1_30default_config_static_selectorELNS0_4arch9wavefront6targetE0EEEvT1_,"axG",@progbits,_ZN7rocprim17ROCPRIM_400000_NS6detail17trampoline_kernelINS0_14default_configENS1_25partition_config_selectorILNS1_17partition_subalgoE6EiNS0_10empty_typeEbEEZZNS1_14partition_implILS5_6ELb0ES3_mN6thrust23THRUST_200600_302600_NS6detail15normal_iteratorINSA_10device_ptrIiEEEEPS6_SG_NS0_5tupleIJNSA_16discard_iteratorINSA_11use_defaultEEES6_EEENSH_IJSG_SG_EEES6_PlJNSB_9not_fun_tINSB_14equal_to_valueIiEEEEEEE10hipError_tPvRmT3_T4_T5_T6_T7_T9_mT8_P12ihipStream_tbDpT10_ENKUlT_T0_E_clISt17integral_constantIbLb1EES1A_IbLb0EEEEDaS16_S17_EUlS16_E_NS1_11comp_targetILNS1_3genE8ELNS1_11target_archE1030ELNS1_3gpuE2ELNS1_3repE0EEENS1_30default_config_static_selectorELNS0_4arch9wavefront6targetE0EEEvT1_,comdat
.Lfunc_end1780:
	.size	_ZN7rocprim17ROCPRIM_400000_NS6detail17trampoline_kernelINS0_14default_configENS1_25partition_config_selectorILNS1_17partition_subalgoE6EiNS0_10empty_typeEbEEZZNS1_14partition_implILS5_6ELb0ES3_mN6thrust23THRUST_200600_302600_NS6detail15normal_iteratorINSA_10device_ptrIiEEEEPS6_SG_NS0_5tupleIJNSA_16discard_iteratorINSA_11use_defaultEEES6_EEENSH_IJSG_SG_EEES6_PlJNSB_9not_fun_tINSB_14equal_to_valueIiEEEEEEE10hipError_tPvRmT3_T4_T5_T6_T7_T9_mT8_P12ihipStream_tbDpT10_ENKUlT_T0_E_clISt17integral_constantIbLb1EES1A_IbLb0EEEEDaS16_S17_EUlS16_E_NS1_11comp_targetILNS1_3genE8ELNS1_11target_archE1030ELNS1_3gpuE2ELNS1_3repE0EEENS1_30default_config_static_selectorELNS0_4arch9wavefront6targetE0EEEvT1_, .Lfunc_end1780-_ZN7rocprim17ROCPRIM_400000_NS6detail17trampoline_kernelINS0_14default_configENS1_25partition_config_selectorILNS1_17partition_subalgoE6EiNS0_10empty_typeEbEEZZNS1_14partition_implILS5_6ELb0ES3_mN6thrust23THRUST_200600_302600_NS6detail15normal_iteratorINSA_10device_ptrIiEEEEPS6_SG_NS0_5tupleIJNSA_16discard_iteratorINSA_11use_defaultEEES6_EEENSH_IJSG_SG_EEES6_PlJNSB_9not_fun_tINSB_14equal_to_valueIiEEEEEEE10hipError_tPvRmT3_T4_T5_T6_T7_T9_mT8_P12ihipStream_tbDpT10_ENKUlT_T0_E_clISt17integral_constantIbLb1EES1A_IbLb0EEEEDaS16_S17_EUlS16_E_NS1_11comp_targetILNS1_3genE8ELNS1_11target_archE1030ELNS1_3gpuE2ELNS1_3repE0EEENS1_30default_config_static_selectorELNS0_4arch9wavefront6targetE0EEEvT1_
                                        ; -- End function
	.set _ZN7rocprim17ROCPRIM_400000_NS6detail17trampoline_kernelINS0_14default_configENS1_25partition_config_selectorILNS1_17partition_subalgoE6EiNS0_10empty_typeEbEEZZNS1_14partition_implILS5_6ELb0ES3_mN6thrust23THRUST_200600_302600_NS6detail15normal_iteratorINSA_10device_ptrIiEEEEPS6_SG_NS0_5tupleIJNSA_16discard_iteratorINSA_11use_defaultEEES6_EEENSH_IJSG_SG_EEES6_PlJNSB_9not_fun_tINSB_14equal_to_valueIiEEEEEEE10hipError_tPvRmT3_T4_T5_T6_T7_T9_mT8_P12ihipStream_tbDpT10_ENKUlT_T0_E_clISt17integral_constantIbLb1EES1A_IbLb0EEEEDaS16_S17_EUlS16_E_NS1_11comp_targetILNS1_3genE8ELNS1_11target_archE1030ELNS1_3gpuE2ELNS1_3repE0EEENS1_30default_config_static_selectorELNS0_4arch9wavefront6targetE0EEEvT1_.num_vgpr, 0
	.set _ZN7rocprim17ROCPRIM_400000_NS6detail17trampoline_kernelINS0_14default_configENS1_25partition_config_selectorILNS1_17partition_subalgoE6EiNS0_10empty_typeEbEEZZNS1_14partition_implILS5_6ELb0ES3_mN6thrust23THRUST_200600_302600_NS6detail15normal_iteratorINSA_10device_ptrIiEEEEPS6_SG_NS0_5tupleIJNSA_16discard_iteratorINSA_11use_defaultEEES6_EEENSH_IJSG_SG_EEES6_PlJNSB_9not_fun_tINSB_14equal_to_valueIiEEEEEEE10hipError_tPvRmT3_T4_T5_T6_T7_T9_mT8_P12ihipStream_tbDpT10_ENKUlT_T0_E_clISt17integral_constantIbLb1EES1A_IbLb0EEEEDaS16_S17_EUlS16_E_NS1_11comp_targetILNS1_3genE8ELNS1_11target_archE1030ELNS1_3gpuE2ELNS1_3repE0EEENS1_30default_config_static_selectorELNS0_4arch9wavefront6targetE0EEEvT1_.num_agpr, 0
	.set _ZN7rocprim17ROCPRIM_400000_NS6detail17trampoline_kernelINS0_14default_configENS1_25partition_config_selectorILNS1_17partition_subalgoE6EiNS0_10empty_typeEbEEZZNS1_14partition_implILS5_6ELb0ES3_mN6thrust23THRUST_200600_302600_NS6detail15normal_iteratorINSA_10device_ptrIiEEEEPS6_SG_NS0_5tupleIJNSA_16discard_iteratorINSA_11use_defaultEEES6_EEENSH_IJSG_SG_EEES6_PlJNSB_9not_fun_tINSB_14equal_to_valueIiEEEEEEE10hipError_tPvRmT3_T4_T5_T6_T7_T9_mT8_P12ihipStream_tbDpT10_ENKUlT_T0_E_clISt17integral_constantIbLb1EES1A_IbLb0EEEEDaS16_S17_EUlS16_E_NS1_11comp_targetILNS1_3genE8ELNS1_11target_archE1030ELNS1_3gpuE2ELNS1_3repE0EEENS1_30default_config_static_selectorELNS0_4arch9wavefront6targetE0EEEvT1_.numbered_sgpr, 0
	.set _ZN7rocprim17ROCPRIM_400000_NS6detail17trampoline_kernelINS0_14default_configENS1_25partition_config_selectorILNS1_17partition_subalgoE6EiNS0_10empty_typeEbEEZZNS1_14partition_implILS5_6ELb0ES3_mN6thrust23THRUST_200600_302600_NS6detail15normal_iteratorINSA_10device_ptrIiEEEEPS6_SG_NS0_5tupleIJNSA_16discard_iteratorINSA_11use_defaultEEES6_EEENSH_IJSG_SG_EEES6_PlJNSB_9not_fun_tINSB_14equal_to_valueIiEEEEEEE10hipError_tPvRmT3_T4_T5_T6_T7_T9_mT8_P12ihipStream_tbDpT10_ENKUlT_T0_E_clISt17integral_constantIbLb1EES1A_IbLb0EEEEDaS16_S17_EUlS16_E_NS1_11comp_targetILNS1_3genE8ELNS1_11target_archE1030ELNS1_3gpuE2ELNS1_3repE0EEENS1_30default_config_static_selectorELNS0_4arch9wavefront6targetE0EEEvT1_.num_named_barrier, 0
	.set _ZN7rocprim17ROCPRIM_400000_NS6detail17trampoline_kernelINS0_14default_configENS1_25partition_config_selectorILNS1_17partition_subalgoE6EiNS0_10empty_typeEbEEZZNS1_14partition_implILS5_6ELb0ES3_mN6thrust23THRUST_200600_302600_NS6detail15normal_iteratorINSA_10device_ptrIiEEEEPS6_SG_NS0_5tupleIJNSA_16discard_iteratorINSA_11use_defaultEEES6_EEENSH_IJSG_SG_EEES6_PlJNSB_9not_fun_tINSB_14equal_to_valueIiEEEEEEE10hipError_tPvRmT3_T4_T5_T6_T7_T9_mT8_P12ihipStream_tbDpT10_ENKUlT_T0_E_clISt17integral_constantIbLb1EES1A_IbLb0EEEEDaS16_S17_EUlS16_E_NS1_11comp_targetILNS1_3genE8ELNS1_11target_archE1030ELNS1_3gpuE2ELNS1_3repE0EEENS1_30default_config_static_selectorELNS0_4arch9wavefront6targetE0EEEvT1_.private_seg_size, 0
	.set _ZN7rocprim17ROCPRIM_400000_NS6detail17trampoline_kernelINS0_14default_configENS1_25partition_config_selectorILNS1_17partition_subalgoE6EiNS0_10empty_typeEbEEZZNS1_14partition_implILS5_6ELb0ES3_mN6thrust23THRUST_200600_302600_NS6detail15normal_iteratorINSA_10device_ptrIiEEEEPS6_SG_NS0_5tupleIJNSA_16discard_iteratorINSA_11use_defaultEEES6_EEENSH_IJSG_SG_EEES6_PlJNSB_9not_fun_tINSB_14equal_to_valueIiEEEEEEE10hipError_tPvRmT3_T4_T5_T6_T7_T9_mT8_P12ihipStream_tbDpT10_ENKUlT_T0_E_clISt17integral_constantIbLb1EES1A_IbLb0EEEEDaS16_S17_EUlS16_E_NS1_11comp_targetILNS1_3genE8ELNS1_11target_archE1030ELNS1_3gpuE2ELNS1_3repE0EEENS1_30default_config_static_selectorELNS0_4arch9wavefront6targetE0EEEvT1_.uses_vcc, 0
	.set _ZN7rocprim17ROCPRIM_400000_NS6detail17trampoline_kernelINS0_14default_configENS1_25partition_config_selectorILNS1_17partition_subalgoE6EiNS0_10empty_typeEbEEZZNS1_14partition_implILS5_6ELb0ES3_mN6thrust23THRUST_200600_302600_NS6detail15normal_iteratorINSA_10device_ptrIiEEEEPS6_SG_NS0_5tupleIJNSA_16discard_iteratorINSA_11use_defaultEEES6_EEENSH_IJSG_SG_EEES6_PlJNSB_9not_fun_tINSB_14equal_to_valueIiEEEEEEE10hipError_tPvRmT3_T4_T5_T6_T7_T9_mT8_P12ihipStream_tbDpT10_ENKUlT_T0_E_clISt17integral_constantIbLb1EES1A_IbLb0EEEEDaS16_S17_EUlS16_E_NS1_11comp_targetILNS1_3genE8ELNS1_11target_archE1030ELNS1_3gpuE2ELNS1_3repE0EEENS1_30default_config_static_selectorELNS0_4arch9wavefront6targetE0EEEvT1_.uses_flat_scratch, 0
	.set _ZN7rocprim17ROCPRIM_400000_NS6detail17trampoline_kernelINS0_14default_configENS1_25partition_config_selectorILNS1_17partition_subalgoE6EiNS0_10empty_typeEbEEZZNS1_14partition_implILS5_6ELb0ES3_mN6thrust23THRUST_200600_302600_NS6detail15normal_iteratorINSA_10device_ptrIiEEEEPS6_SG_NS0_5tupleIJNSA_16discard_iteratorINSA_11use_defaultEEES6_EEENSH_IJSG_SG_EEES6_PlJNSB_9not_fun_tINSB_14equal_to_valueIiEEEEEEE10hipError_tPvRmT3_T4_T5_T6_T7_T9_mT8_P12ihipStream_tbDpT10_ENKUlT_T0_E_clISt17integral_constantIbLb1EES1A_IbLb0EEEEDaS16_S17_EUlS16_E_NS1_11comp_targetILNS1_3genE8ELNS1_11target_archE1030ELNS1_3gpuE2ELNS1_3repE0EEENS1_30default_config_static_selectorELNS0_4arch9wavefront6targetE0EEEvT1_.has_dyn_sized_stack, 0
	.set _ZN7rocprim17ROCPRIM_400000_NS6detail17trampoline_kernelINS0_14default_configENS1_25partition_config_selectorILNS1_17partition_subalgoE6EiNS0_10empty_typeEbEEZZNS1_14partition_implILS5_6ELb0ES3_mN6thrust23THRUST_200600_302600_NS6detail15normal_iteratorINSA_10device_ptrIiEEEEPS6_SG_NS0_5tupleIJNSA_16discard_iteratorINSA_11use_defaultEEES6_EEENSH_IJSG_SG_EEES6_PlJNSB_9not_fun_tINSB_14equal_to_valueIiEEEEEEE10hipError_tPvRmT3_T4_T5_T6_T7_T9_mT8_P12ihipStream_tbDpT10_ENKUlT_T0_E_clISt17integral_constantIbLb1EES1A_IbLb0EEEEDaS16_S17_EUlS16_E_NS1_11comp_targetILNS1_3genE8ELNS1_11target_archE1030ELNS1_3gpuE2ELNS1_3repE0EEENS1_30default_config_static_selectorELNS0_4arch9wavefront6targetE0EEEvT1_.has_recursion, 0
	.set _ZN7rocprim17ROCPRIM_400000_NS6detail17trampoline_kernelINS0_14default_configENS1_25partition_config_selectorILNS1_17partition_subalgoE6EiNS0_10empty_typeEbEEZZNS1_14partition_implILS5_6ELb0ES3_mN6thrust23THRUST_200600_302600_NS6detail15normal_iteratorINSA_10device_ptrIiEEEEPS6_SG_NS0_5tupleIJNSA_16discard_iteratorINSA_11use_defaultEEES6_EEENSH_IJSG_SG_EEES6_PlJNSB_9not_fun_tINSB_14equal_to_valueIiEEEEEEE10hipError_tPvRmT3_T4_T5_T6_T7_T9_mT8_P12ihipStream_tbDpT10_ENKUlT_T0_E_clISt17integral_constantIbLb1EES1A_IbLb0EEEEDaS16_S17_EUlS16_E_NS1_11comp_targetILNS1_3genE8ELNS1_11target_archE1030ELNS1_3gpuE2ELNS1_3repE0EEENS1_30default_config_static_selectorELNS0_4arch9wavefront6targetE0EEEvT1_.has_indirect_call, 0
	.section	.AMDGPU.csdata,"",@progbits
; Kernel info:
; codeLenInByte = 0
; TotalNumSgprs: 0
; NumVgprs: 0
; ScratchSize: 0
; MemoryBound: 0
; FloatMode: 240
; IeeeMode: 1
; LDSByteSize: 0 bytes/workgroup (compile time only)
; SGPRBlocks: 0
; VGPRBlocks: 0
; NumSGPRsForWavesPerEU: 1
; NumVGPRsForWavesPerEU: 1
; Occupancy: 16
; WaveLimiterHint : 0
; COMPUTE_PGM_RSRC2:SCRATCH_EN: 0
; COMPUTE_PGM_RSRC2:USER_SGPR: 2
; COMPUTE_PGM_RSRC2:TRAP_HANDLER: 0
; COMPUTE_PGM_RSRC2:TGID_X_EN: 1
; COMPUTE_PGM_RSRC2:TGID_Y_EN: 0
; COMPUTE_PGM_RSRC2:TGID_Z_EN: 0
; COMPUTE_PGM_RSRC2:TIDIG_COMP_CNT: 0
	.section	.text._ZN7rocprim17ROCPRIM_400000_NS6detail17trampoline_kernelINS0_14default_configENS1_25partition_config_selectorILNS1_17partition_subalgoE6EiNS0_10empty_typeEbEEZZNS1_14partition_implILS5_6ELb0ES3_mN6thrust23THRUST_200600_302600_NS6detail15normal_iteratorINSA_10device_ptrIiEEEEPS6_SG_NS0_5tupleIJNSA_16discard_iteratorINSA_11use_defaultEEES6_EEENSH_IJSG_SG_EEES6_PlJNSB_9not_fun_tINSB_14equal_to_valueIiEEEEEEE10hipError_tPvRmT3_T4_T5_T6_T7_T9_mT8_P12ihipStream_tbDpT10_ENKUlT_T0_E_clISt17integral_constantIbLb0EES1A_IbLb1EEEEDaS16_S17_EUlS16_E_NS1_11comp_targetILNS1_3genE0ELNS1_11target_archE4294967295ELNS1_3gpuE0ELNS1_3repE0EEENS1_30default_config_static_selectorELNS0_4arch9wavefront6targetE0EEEvT1_,"axG",@progbits,_ZN7rocprim17ROCPRIM_400000_NS6detail17trampoline_kernelINS0_14default_configENS1_25partition_config_selectorILNS1_17partition_subalgoE6EiNS0_10empty_typeEbEEZZNS1_14partition_implILS5_6ELb0ES3_mN6thrust23THRUST_200600_302600_NS6detail15normal_iteratorINSA_10device_ptrIiEEEEPS6_SG_NS0_5tupleIJNSA_16discard_iteratorINSA_11use_defaultEEES6_EEENSH_IJSG_SG_EEES6_PlJNSB_9not_fun_tINSB_14equal_to_valueIiEEEEEEE10hipError_tPvRmT3_T4_T5_T6_T7_T9_mT8_P12ihipStream_tbDpT10_ENKUlT_T0_E_clISt17integral_constantIbLb0EES1A_IbLb1EEEEDaS16_S17_EUlS16_E_NS1_11comp_targetILNS1_3genE0ELNS1_11target_archE4294967295ELNS1_3gpuE0ELNS1_3repE0EEENS1_30default_config_static_selectorELNS0_4arch9wavefront6targetE0EEEvT1_,comdat
	.protected	_ZN7rocprim17ROCPRIM_400000_NS6detail17trampoline_kernelINS0_14default_configENS1_25partition_config_selectorILNS1_17partition_subalgoE6EiNS0_10empty_typeEbEEZZNS1_14partition_implILS5_6ELb0ES3_mN6thrust23THRUST_200600_302600_NS6detail15normal_iteratorINSA_10device_ptrIiEEEEPS6_SG_NS0_5tupleIJNSA_16discard_iteratorINSA_11use_defaultEEES6_EEENSH_IJSG_SG_EEES6_PlJNSB_9not_fun_tINSB_14equal_to_valueIiEEEEEEE10hipError_tPvRmT3_T4_T5_T6_T7_T9_mT8_P12ihipStream_tbDpT10_ENKUlT_T0_E_clISt17integral_constantIbLb0EES1A_IbLb1EEEEDaS16_S17_EUlS16_E_NS1_11comp_targetILNS1_3genE0ELNS1_11target_archE4294967295ELNS1_3gpuE0ELNS1_3repE0EEENS1_30default_config_static_selectorELNS0_4arch9wavefront6targetE0EEEvT1_ ; -- Begin function _ZN7rocprim17ROCPRIM_400000_NS6detail17trampoline_kernelINS0_14default_configENS1_25partition_config_selectorILNS1_17partition_subalgoE6EiNS0_10empty_typeEbEEZZNS1_14partition_implILS5_6ELb0ES3_mN6thrust23THRUST_200600_302600_NS6detail15normal_iteratorINSA_10device_ptrIiEEEEPS6_SG_NS0_5tupleIJNSA_16discard_iteratorINSA_11use_defaultEEES6_EEENSH_IJSG_SG_EEES6_PlJNSB_9not_fun_tINSB_14equal_to_valueIiEEEEEEE10hipError_tPvRmT3_T4_T5_T6_T7_T9_mT8_P12ihipStream_tbDpT10_ENKUlT_T0_E_clISt17integral_constantIbLb0EES1A_IbLb1EEEEDaS16_S17_EUlS16_E_NS1_11comp_targetILNS1_3genE0ELNS1_11target_archE4294967295ELNS1_3gpuE0ELNS1_3repE0EEENS1_30default_config_static_selectorELNS0_4arch9wavefront6targetE0EEEvT1_
	.globl	_ZN7rocprim17ROCPRIM_400000_NS6detail17trampoline_kernelINS0_14default_configENS1_25partition_config_selectorILNS1_17partition_subalgoE6EiNS0_10empty_typeEbEEZZNS1_14partition_implILS5_6ELb0ES3_mN6thrust23THRUST_200600_302600_NS6detail15normal_iteratorINSA_10device_ptrIiEEEEPS6_SG_NS0_5tupleIJNSA_16discard_iteratorINSA_11use_defaultEEES6_EEENSH_IJSG_SG_EEES6_PlJNSB_9not_fun_tINSB_14equal_to_valueIiEEEEEEE10hipError_tPvRmT3_T4_T5_T6_T7_T9_mT8_P12ihipStream_tbDpT10_ENKUlT_T0_E_clISt17integral_constantIbLb0EES1A_IbLb1EEEEDaS16_S17_EUlS16_E_NS1_11comp_targetILNS1_3genE0ELNS1_11target_archE4294967295ELNS1_3gpuE0ELNS1_3repE0EEENS1_30default_config_static_selectorELNS0_4arch9wavefront6targetE0EEEvT1_
	.p2align	8
	.type	_ZN7rocprim17ROCPRIM_400000_NS6detail17trampoline_kernelINS0_14default_configENS1_25partition_config_selectorILNS1_17partition_subalgoE6EiNS0_10empty_typeEbEEZZNS1_14partition_implILS5_6ELb0ES3_mN6thrust23THRUST_200600_302600_NS6detail15normal_iteratorINSA_10device_ptrIiEEEEPS6_SG_NS0_5tupleIJNSA_16discard_iteratorINSA_11use_defaultEEES6_EEENSH_IJSG_SG_EEES6_PlJNSB_9not_fun_tINSB_14equal_to_valueIiEEEEEEE10hipError_tPvRmT3_T4_T5_T6_T7_T9_mT8_P12ihipStream_tbDpT10_ENKUlT_T0_E_clISt17integral_constantIbLb0EES1A_IbLb1EEEEDaS16_S17_EUlS16_E_NS1_11comp_targetILNS1_3genE0ELNS1_11target_archE4294967295ELNS1_3gpuE0ELNS1_3repE0EEENS1_30default_config_static_selectorELNS0_4arch9wavefront6targetE0EEEvT1_,@function
_ZN7rocprim17ROCPRIM_400000_NS6detail17trampoline_kernelINS0_14default_configENS1_25partition_config_selectorILNS1_17partition_subalgoE6EiNS0_10empty_typeEbEEZZNS1_14partition_implILS5_6ELb0ES3_mN6thrust23THRUST_200600_302600_NS6detail15normal_iteratorINSA_10device_ptrIiEEEEPS6_SG_NS0_5tupleIJNSA_16discard_iteratorINSA_11use_defaultEEES6_EEENSH_IJSG_SG_EEES6_PlJNSB_9not_fun_tINSB_14equal_to_valueIiEEEEEEE10hipError_tPvRmT3_T4_T5_T6_T7_T9_mT8_P12ihipStream_tbDpT10_ENKUlT_T0_E_clISt17integral_constantIbLb0EES1A_IbLb1EEEEDaS16_S17_EUlS16_E_NS1_11comp_targetILNS1_3genE0ELNS1_11target_archE4294967295ELNS1_3gpuE0ELNS1_3repE0EEENS1_30default_config_static_selectorELNS0_4arch9wavefront6targetE0EEEvT1_: ; @_ZN7rocprim17ROCPRIM_400000_NS6detail17trampoline_kernelINS0_14default_configENS1_25partition_config_selectorILNS1_17partition_subalgoE6EiNS0_10empty_typeEbEEZZNS1_14partition_implILS5_6ELb0ES3_mN6thrust23THRUST_200600_302600_NS6detail15normal_iteratorINSA_10device_ptrIiEEEEPS6_SG_NS0_5tupleIJNSA_16discard_iteratorINSA_11use_defaultEEES6_EEENSH_IJSG_SG_EEES6_PlJNSB_9not_fun_tINSB_14equal_to_valueIiEEEEEEE10hipError_tPvRmT3_T4_T5_T6_T7_T9_mT8_P12ihipStream_tbDpT10_ENKUlT_T0_E_clISt17integral_constantIbLb0EES1A_IbLb1EEEEDaS16_S17_EUlS16_E_NS1_11comp_targetILNS1_3genE0ELNS1_11target_archE4294967295ELNS1_3gpuE0ELNS1_3repE0EEENS1_30default_config_static_selectorELNS0_4arch9wavefront6targetE0EEEvT1_
; %bb.0:
	.section	.rodata,"a",@progbits
	.p2align	6, 0x0
	.amdhsa_kernel _ZN7rocprim17ROCPRIM_400000_NS6detail17trampoline_kernelINS0_14default_configENS1_25partition_config_selectorILNS1_17partition_subalgoE6EiNS0_10empty_typeEbEEZZNS1_14partition_implILS5_6ELb0ES3_mN6thrust23THRUST_200600_302600_NS6detail15normal_iteratorINSA_10device_ptrIiEEEEPS6_SG_NS0_5tupleIJNSA_16discard_iteratorINSA_11use_defaultEEES6_EEENSH_IJSG_SG_EEES6_PlJNSB_9not_fun_tINSB_14equal_to_valueIiEEEEEEE10hipError_tPvRmT3_T4_T5_T6_T7_T9_mT8_P12ihipStream_tbDpT10_ENKUlT_T0_E_clISt17integral_constantIbLb0EES1A_IbLb1EEEEDaS16_S17_EUlS16_E_NS1_11comp_targetILNS1_3genE0ELNS1_11target_archE4294967295ELNS1_3gpuE0ELNS1_3repE0EEENS1_30default_config_static_selectorELNS0_4arch9wavefront6targetE0EEEvT1_
		.amdhsa_group_segment_fixed_size 0
		.amdhsa_private_segment_fixed_size 0
		.amdhsa_kernarg_size 136
		.amdhsa_user_sgpr_count 2
		.amdhsa_user_sgpr_dispatch_ptr 0
		.amdhsa_user_sgpr_queue_ptr 0
		.amdhsa_user_sgpr_kernarg_segment_ptr 1
		.amdhsa_user_sgpr_dispatch_id 0
		.amdhsa_user_sgpr_private_segment_size 0
		.amdhsa_wavefront_size32 1
		.amdhsa_uses_dynamic_stack 0
		.amdhsa_enable_private_segment 0
		.amdhsa_system_sgpr_workgroup_id_x 1
		.amdhsa_system_sgpr_workgroup_id_y 0
		.amdhsa_system_sgpr_workgroup_id_z 0
		.amdhsa_system_sgpr_workgroup_info 0
		.amdhsa_system_vgpr_workitem_id 0
		.amdhsa_next_free_vgpr 1
		.amdhsa_next_free_sgpr 1
		.amdhsa_reserve_vcc 0
		.amdhsa_float_round_mode_32 0
		.amdhsa_float_round_mode_16_64 0
		.amdhsa_float_denorm_mode_32 3
		.amdhsa_float_denorm_mode_16_64 3
		.amdhsa_fp16_overflow 0
		.amdhsa_workgroup_processor_mode 1
		.amdhsa_memory_ordered 1
		.amdhsa_forward_progress 1
		.amdhsa_inst_pref_size 0
		.amdhsa_round_robin_scheduling 0
		.amdhsa_exception_fp_ieee_invalid_op 0
		.amdhsa_exception_fp_denorm_src 0
		.amdhsa_exception_fp_ieee_div_zero 0
		.amdhsa_exception_fp_ieee_overflow 0
		.amdhsa_exception_fp_ieee_underflow 0
		.amdhsa_exception_fp_ieee_inexact 0
		.amdhsa_exception_int_div_zero 0
	.end_amdhsa_kernel
	.section	.text._ZN7rocprim17ROCPRIM_400000_NS6detail17trampoline_kernelINS0_14default_configENS1_25partition_config_selectorILNS1_17partition_subalgoE6EiNS0_10empty_typeEbEEZZNS1_14partition_implILS5_6ELb0ES3_mN6thrust23THRUST_200600_302600_NS6detail15normal_iteratorINSA_10device_ptrIiEEEEPS6_SG_NS0_5tupleIJNSA_16discard_iteratorINSA_11use_defaultEEES6_EEENSH_IJSG_SG_EEES6_PlJNSB_9not_fun_tINSB_14equal_to_valueIiEEEEEEE10hipError_tPvRmT3_T4_T5_T6_T7_T9_mT8_P12ihipStream_tbDpT10_ENKUlT_T0_E_clISt17integral_constantIbLb0EES1A_IbLb1EEEEDaS16_S17_EUlS16_E_NS1_11comp_targetILNS1_3genE0ELNS1_11target_archE4294967295ELNS1_3gpuE0ELNS1_3repE0EEENS1_30default_config_static_selectorELNS0_4arch9wavefront6targetE0EEEvT1_,"axG",@progbits,_ZN7rocprim17ROCPRIM_400000_NS6detail17trampoline_kernelINS0_14default_configENS1_25partition_config_selectorILNS1_17partition_subalgoE6EiNS0_10empty_typeEbEEZZNS1_14partition_implILS5_6ELb0ES3_mN6thrust23THRUST_200600_302600_NS6detail15normal_iteratorINSA_10device_ptrIiEEEEPS6_SG_NS0_5tupleIJNSA_16discard_iteratorINSA_11use_defaultEEES6_EEENSH_IJSG_SG_EEES6_PlJNSB_9not_fun_tINSB_14equal_to_valueIiEEEEEEE10hipError_tPvRmT3_T4_T5_T6_T7_T9_mT8_P12ihipStream_tbDpT10_ENKUlT_T0_E_clISt17integral_constantIbLb0EES1A_IbLb1EEEEDaS16_S17_EUlS16_E_NS1_11comp_targetILNS1_3genE0ELNS1_11target_archE4294967295ELNS1_3gpuE0ELNS1_3repE0EEENS1_30default_config_static_selectorELNS0_4arch9wavefront6targetE0EEEvT1_,comdat
.Lfunc_end1781:
	.size	_ZN7rocprim17ROCPRIM_400000_NS6detail17trampoline_kernelINS0_14default_configENS1_25partition_config_selectorILNS1_17partition_subalgoE6EiNS0_10empty_typeEbEEZZNS1_14partition_implILS5_6ELb0ES3_mN6thrust23THRUST_200600_302600_NS6detail15normal_iteratorINSA_10device_ptrIiEEEEPS6_SG_NS0_5tupleIJNSA_16discard_iteratorINSA_11use_defaultEEES6_EEENSH_IJSG_SG_EEES6_PlJNSB_9not_fun_tINSB_14equal_to_valueIiEEEEEEE10hipError_tPvRmT3_T4_T5_T6_T7_T9_mT8_P12ihipStream_tbDpT10_ENKUlT_T0_E_clISt17integral_constantIbLb0EES1A_IbLb1EEEEDaS16_S17_EUlS16_E_NS1_11comp_targetILNS1_3genE0ELNS1_11target_archE4294967295ELNS1_3gpuE0ELNS1_3repE0EEENS1_30default_config_static_selectorELNS0_4arch9wavefront6targetE0EEEvT1_, .Lfunc_end1781-_ZN7rocprim17ROCPRIM_400000_NS6detail17trampoline_kernelINS0_14default_configENS1_25partition_config_selectorILNS1_17partition_subalgoE6EiNS0_10empty_typeEbEEZZNS1_14partition_implILS5_6ELb0ES3_mN6thrust23THRUST_200600_302600_NS6detail15normal_iteratorINSA_10device_ptrIiEEEEPS6_SG_NS0_5tupleIJNSA_16discard_iteratorINSA_11use_defaultEEES6_EEENSH_IJSG_SG_EEES6_PlJNSB_9not_fun_tINSB_14equal_to_valueIiEEEEEEE10hipError_tPvRmT3_T4_T5_T6_T7_T9_mT8_P12ihipStream_tbDpT10_ENKUlT_T0_E_clISt17integral_constantIbLb0EES1A_IbLb1EEEEDaS16_S17_EUlS16_E_NS1_11comp_targetILNS1_3genE0ELNS1_11target_archE4294967295ELNS1_3gpuE0ELNS1_3repE0EEENS1_30default_config_static_selectorELNS0_4arch9wavefront6targetE0EEEvT1_
                                        ; -- End function
	.set _ZN7rocprim17ROCPRIM_400000_NS6detail17trampoline_kernelINS0_14default_configENS1_25partition_config_selectorILNS1_17partition_subalgoE6EiNS0_10empty_typeEbEEZZNS1_14partition_implILS5_6ELb0ES3_mN6thrust23THRUST_200600_302600_NS6detail15normal_iteratorINSA_10device_ptrIiEEEEPS6_SG_NS0_5tupleIJNSA_16discard_iteratorINSA_11use_defaultEEES6_EEENSH_IJSG_SG_EEES6_PlJNSB_9not_fun_tINSB_14equal_to_valueIiEEEEEEE10hipError_tPvRmT3_T4_T5_T6_T7_T9_mT8_P12ihipStream_tbDpT10_ENKUlT_T0_E_clISt17integral_constantIbLb0EES1A_IbLb1EEEEDaS16_S17_EUlS16_E_NS1_11comp_targetILNS1_3genE0ELNS1_11target_archE4294967295ELNS1_3gpuE0ELNS1_3repE0EEENS1_30default_config_static_selectorELNS0_4arch9wavefront6targetE0EEEvT1_.num_vgpr, 0
	.set _ZN7rocprim17ROCPRIM_400000_NS6detail17trampoline_kernelINS0_14default_configENS1_25partition_config_selectorILNS1_17partition_subalgoE6EiNS0_10empty_typeEbEEZZNS1_14partition_implILS5_6ELb0ES3_mN6thrust23THRUST_200600_302600_NS6detail15normal_iteratorINSA_10device_ptrIiEEEEPS6_SG_NS0_5tupleIJNSA_16discard_iteratorINSA_11use_defaultEEES6_EEENSH_IJSG_SG_EEES6_PlJNSB_9not_fun_tINSB_14equal_to_valueIiEEEEEEE10hipError_tPvRmT3_T4_T5_T6_T7_T9_mT8_P12ihipStream_tbDpT10_ENKUlT_T0_E_clISt17integral_constantIbLb0EES1A_IbLb1EEEEDaS16_S17_EUlS16_E_NS1_11comp_targetILNS1_3genE0ELNS1_11target_archE4294967295ELNS1_3gpuE0ELNS1_3repE0EEENS1_30default_config_static_selectorELNS0_4arch9wavefront6targetE0EEEvT1_.num_agpr, 0
	.set _ZN7rocprim17ROCPRIM_400000_NS6detail17trampoline_kernelINS0_14default_configENS1_25partition_config_selectorILNS1_17partition_subalgoE6EiNS0_10empty_typeEbEEZZNS1_14partition_implILS5_6ELb0ES3_mN6thrust23THRUST_200600_302600_NS6detail15normal_iteratorINSA_10device_ptrIiEEEEPS6_SG_NS0_5tupleIJNSA_16discard_iteratorINSA_11use_defaultEEES6_EEENSH_IJSG_SG_EEES6_PlJNSB_9not_fun_tINSB_14equal_to_valueIiEEEEEEE10hipError_tPvRmT3_T4_T5_T6_T7_T9_mT8_P12ihipStream_tbDpT10_ENKUlT_T0_E_clISt17integral_constantIbLb0EES1A_IbLb1EEEEDaS16_S17_EUlS16_E_NS1_11comp_targetILNS1_3genE0ELNS1_11target_archE4294967295ELNS1_3gpuE0ELNS1_3repE0EEENS1_30default_config_static_selectorELNS0_4arch9wavefront6targetE0EEEvT1_.numbered_sgpr, 0
	.set _ZN7rocprim17ROCPRIM_400000_NS6detail17trampoline_kernelINS0_14default_configENS1_25partition_config_selectorILNS1_17partition_subalgoE6EiNS0_10empty_typeEbEEZZNS1_14partition_implILS5_6ELb0ES3_mN6thrust23THRUST_200600_302600_NS6detail15normal_iteratorINSA_10device_ptrIiEEEEPS6_SG_NS0_5tupleIJNSA_16discard_iteratorINSA_11use_defaultEEES6_EEENSH_IJSG_SG_EEES6_PlJNSB_9not_fun_tINSB_14equal_to_valueIiEEEEEEE10hipError_tPvRmT3_T4_T5_T6_T7_T9_mT8_P12ihipStream_tbDpT10_ENKUlT_T0_E_clISt17integral_constantIbLb0EES1A_IbLb1EEEEDaS16_S17_EUlS16_E_NS1_11comp_targetILNS1_3genE0ELNS1_11target_archE4294967295ELNS1_3gpuE0ELNS1_3repE0EEENS1_30default_config_static_selectorELNS0_4arch9wavefront6targetE0EEEvT1_.num_named_barrier, 0
	.set _ZN7rocprim17ROCPRIM_400000_NS6detail17trampoline_kernelINS0_14default_configENS1_25partition_config_selectorILNS1_17partition_subalgoE6EiNS0_10empty_typeEbEEZZNS1_14partition_implILS5_6ELb0ES3_mN6thrust23THRUST_200600_302600_NS6detail15normal_iteratorINSA_10device_ptrIiEEEEPS6_SG_NS0_5tupleIJNSA_16discard_iteratorINSA_11use_defaultEEES6_EEENSH_IJSG_SG_EEES6_PlJNSB_9not_fun_tINSB_14equal_to_valueIiEEEEEEE10hipError_tPvRmT3_T4_T5_T6_T7_T9_mT8_P12ihipStream_tbDpT10_ENKUlT_T0_E_clISt17integral_constantIbLb0EES1A_IbLb1EEEEDaS16_S17_EUlS16_E_NS1_11comp_targetILNS1_3genE0ELNS1_11target_archE4294967295ELNS1_3gpuE0ELNS1_3repE0EEENS1_30default_config_static_selectorELNS0_4arch9wavefront6targetE0EEEvT1_.private_seg_size, 0
	.set _ZN7rocprim17ROCPRIM_400000_NS6detail17trampoline_kernelINS0_14default_configENS1_25partition_config_selectorILNS1_17partition_subalgoE6EiNS0_10empty_typeEbEEZZNS1_14partition_implILS5_6ELb0ES3_mN6thrust23THRUST_200600_302600_NS6detail15normal_iteratorINSA_10device_ptrIiEEEEPS6_SG_NS0_5tupleIJNSA_16discard_iteratorINSA_11use_defaultEEES6_EEENSH_IJSG_SG_EEES6_PlJNSB_9not_fun_tINSB_14equal_to_valueIiEEEEEEE10hipError_tPvRmT3_T4_T5_T6_T7_T9_mT8_P12ihipStream_tbDpT10_ENKUlT_T0_E_clISt17integral_constantIbLb0EES1A_IbLb1EEEEDaS16_S17_EUlS16_E_NS1_11comp_targetILNS1_3genE0ELNS1_11target_archE4294967295ELNS1_3gpuE0ELNS1_3repE0EEENS1_30default_config_static_selectorELNS0_4arch9wavefront6targetE0EEEvT1_.uses_vcc, 0
	.set _ZN7rocprim17ROCPRIM_400000_NS6detail17trampoline_kernelINS0_14default_configENS1_25partition_config_selectorILNS1_17partition_subalgoE6EiNS0_10empty_typeEbEEZZNS1_14partition_implILS5_6ELb0ES3_mN6thrust23THRUST_200600_302600_NS6detail15normal_iteratorINSA_10device_ptrIiEEEEPS6_SG_NS0_5tupleIJNSA_16discard_iteratorINSA_11use_defaultEEES6_EEENSH_IJSG_SG_EEES6_PlJNSB_9not_fun_tINSB_14equal_to_valueIiEEEEEEE10hipError_tPvRmT3_T4_T5_T6_T7_T9_mT8_P12ihipStream_tbDpT10_ENKUlT_T0_E_clISt17integral_constantIbLb0EES1A_IbLb1EEEEDaS16_S17_EUlS16_E_NS1_11comp_targetILNS1_3genE0ELNS1_11target_archE4294967295ELNS1_3gpuE0ELNS1_3repE0EEENS1_30default_config_static_selectorELNS0_4arch9wavefront6targetE0EEEvT1_.uses_flat_scratch, 0
	.set _ZN7rocprim17ROCPRIM_400000_NS6detail17trampoline_kernelINS0_14default_configENS1_25partition_config_selectorILNS1_17partition_subalgoE6EiNS0_10empty_typeEbEEZZNS1_14partition_implILS5_6ELb0ES3_mN6thrust23THRUST_200600_302600_NS6detail15normal_iteratorINSA_10device_ptrIiEEEEPS6_SG_NS0_5tupleIJNSA_16discard_iteratorINSA_11use_defaultEEES6_EEENSH_IJSG_SG_EEES6_PlJNSB_9not_fun_tINSB_14equal_to_valueIiEEEEEEE10hipError_tPvRmT3_T4_T5_T6_T7_T9_mT8_P12ihipStream_tbDpT10_ENKUlT_T0_E_clISt17integral_constantIbLb0EES1A_IbLb1EEEEDaS16_S17_EUlS16_E_NS1_11comp_targetILNS1_3genE0ELNS1_11target_archE4294967295ELNS1_3gpuE0ELNS1_3repE0EEENS1_30default_config_static_selectorELNS0_4arch9wavefront6targetE0EEEvT1_.has_dyn_sized_stack, 0
	.set _ZN7rocprim17ROCPRIM_400000_NS6detail17trampoline_kernelINS0_14default_configENS1_25partition_config_selectorILNS1_17partition_subalgoE6EiNS0_10empty_typeEbEEZZNS1_14partition_implILS5_6ELb0ES3_mN6thrust23THRUST_200600_302600_NS6detail15normal_iteratorINSA_10device_ptrIiEEEEPS6_SG_NS0_5tupleIJNSA_16discard_iteratorINSA_11use_defaultEEES6_EEENSH_IJSG_SG_EEES6_PlJNSB_9not_fun_tINSB_14equal_to_valueIiEEEEEEE10hipError_tPvRmT3_T4_T5_T6_T7_T9_mT8_P12ihipStream_tbDpT10_ENKUlT_T0_E_clISt17integral_constantIbLb0EES1A_IbLb1EEEEDaS16_S17_EUlS16_E_NS1_11comp_targetILNS1_3genE0ELNS1_11target_archE4294967295ELNS1_3gpuE0ELNS1_3repE0EEENS1_30default_config_static_selectorELNS0_4arch9wavefront6targetE0EEEvT1_.has_recursion, 0
	.set _ZN7rocprim17ROCPRIM_400000_NS6detail17trampoline_kernelINS0_14default_configENS1_25partition_config_selectorILNS1_17partition_subalgoE6EiNS0_10empty_typeEbEEZZNS1_14partition_implILS5_6ELb0ES3_mN6thrust23THRUST_200600_302600_NS6detail15normal_iteratorINSA_10device_ptrIiEEEEPS6_SG_NS0_5tupleIJNSA_16discard_iteratorINSA_11use_defaultEEES6_EEENSH_IJSG_SG_EEES6_PlJNSB_9not_fun_tINSB_14equal_to_valueIiEEEEEEE10hipError_tPvRmT3_T4_T5_T6_T7_T9_mT8_P12ihipStream_tbDpT10_ENKUlT_T0_E_clISt17integral_constantIbLb0EES1A_IbLb1EEEEDaS16_S17_EUlS16_E_NS1_11comp_targetILNS1_3genE0ELNS1_11target_archE4294967295ELNS1_3gpuE0ELNS1_3repE0EEENS1_30default_config_static_selectorELNS0_4arch9wavefront6targetE0EEEvT1_.has_indirect_call, 0
	.section	.AMDGPU.csdata,"",@progbits
; Kernel info:
; codeLenInByte = 0
; TotalNumSgprs: 0
; NumVgprs: 0
; ScratchSize: 0
; MemoryBound: 0
; FloatMode: 240
; IeeeMode: 1
; LDSByteSize: 0 bytes/workgroup (compile time only)
; SGPRBlocks: 0
; VGPRBlocks: 0
; NumSGPRsForWavesPerEU: 1
; NumVGPRsForWavesPerEU: 1
; Occupancy: 16
; WaveLimiterHint : 0
; COMPUTE_PGM_RSRC2:SCRATCH_EN: 0
; COMPUTE_PGM_RSRC2:USER_SGPR: 2
; COMPUTE_PGM_RSRC2:TRAP_HANDLER: 0
; COMPUTE_PGM_RSRC2:TGID_X_EN: 1
; COMPUTE_PGM_RSRC2:TGID_Y_EN: 0
; COMPUTE_PGM_RSRC2:TGID_Z_EN: 0
; COMPUTE_PGM_RSRC2:TIDIG_COMP_CNT: 0
	.section	.text._ZN7rocprim17ROCPRIM_400000_NS6detail17trampoline_kernelINS0_14default_configENS1_25partition_config_selectorILNS1_17partition_subalgoE6EiNS0_10empty_typeEbEEZZNS1_14partition_implILS5_6ELb0ES3_mN6thrust23THRUST_200600_302600_NS6detail15normal_iteratorINSA_10device_ptrIiEEEEPS6_SG_NS0_5tupleIJNSA_16discard_iteratorINSA_11use_defaultEEES6_EEENSH_IJSG_SG_EEES6_PlJNSB_9not_fun_tINSB_14equal_to_valueIiEEEEEEE10hipError_tPvRmT3_T4_T5_T6_T7_T9_mT8_P12ihipStream_tbDpT10_ENKUlT_T0_E_clISt17integral_constantIbLb0EES1A_IbLb1EEEEDaS16_S17_EUlS16_E_NS1_11comp_targetILNS1_3genE5ELNS1_11target_archE942ELNS1_3gpuE9ELNS1_3repE0EEENS1_30default_config_static_selectorELNS0_4arch9wavefront6targetE0EEEvT1_,"axG",@progbits,_ZN7rocprim17ROCPRIM_400000_NS6detail17trampoline_kernelINS0_14default_configENS1_25partition_config_selectorILNS1_17partition_subalgoE6EiNS0_10empty_typeEbEEZZNS1_14partition_implILS5_6ELb0ES3_mN6thrust23THRUST_200600_302600_NS6detail15normal_iteratorINSA_10device_ptrIiEEEEPS6_SG_NS0_5tupleIJNSA_16discard_iteratorINSA_11use_defaultEEES6_EEENSH_IJSG_SG_EEES6_PlJNSB_9not_fun_tINSB_14equal_to_valueIiEEEEEEE10hipError_tPvRmT3_T4_T5_T6_T7_T9_mT8_P12ihipStream_tbDpT10_ENKUlT_T0_E_clISt17integral_constantIbLb0EES1A_IbLb1EEEEDaS16_S17_EUlS16_E_NS1_11comp_targetILNS1_3genE5ELNS1_11target_archE942ELNS1_3gpuE9ELNS1_3repE0EEENS1_30default_config_static_selectorELNS0_4arch9wavefront6targetE0EEEvT1_,comdat
	.protected	_ZN7rocprim17ROCPRIM_400000_NS6detail17trampoline_kernelINS0_14default_configENS1_25partition_config_selectorILNS1_17partition_subalgoE6EiNS0_10empty_typeEbEEZZNS1_14partition_implILS5_6ELb0ES3_mN6thrust23THRUST_200600_302600_NS6detail15normal_iteratorINSA_10device_ptrIiEEEEPS6_SG_NS0_5tupleIJNSA_16discard_iteratorINSA_11use_defaultEEES6_EEENSH_IJSG_SG_EEES6_PlJNSB_9not_fun_tINSB_14equal_to_valueIiEEEEEEE10hipError_tPvRmT3_T4_T5_T6_T7_T9_mT8_P12ihipStream_tbDpT10_ENKUlT_T0_E_clISt17integral_constantIbLb0EES1A_IbLb1EEEEDaS16_S17_EUlS16_E_NS1_11comp_targetILNS1_3genE5ELNS1_11target_archE942ELNS1_3gpuE9ELNS1_3repE0EEENS1_30default_config_static_selectorELNS0_4arch9wavefront6targetE0EEEvT1_ ; -- Begin function _ZN7rocprim17ROCPRIM_400000_NS6detail17trampoline_kernelINS0_14default_configENS1_25partition_config_selectorILNS1_17partition_subalgoE6EiNS0_10empty_typeEbEEZZNS1_14partition_implILS5_6ELb0ES3_mN6thrust23THRUST_200600_302600_NS6detail15normal_iteratorINSA_10device_ptrIiEEEEPS6_SG_NS0_5tupleIJNSA_16discard_iteratorINSA_11use_defaultEEES6_EEENSH_IJSG_SG_EEES6_PlJNSB_9not_fun_tINSB_14equal_to_valueIiEEEEEEE10hipError_tPvRmT3_T4_T5_T6_T7_T9_mT8_P12ihipStream_tbDpT10_ENKUlT_T0_E_clISt17integral_constantIbLb0EES1A_IbLb1EEEEDaS16_S17_EUlS16_E_NS1_11comp_targetILNS1_3genE5ELNS1_11target_archE942ELNS1_3gpuE9ELNS1_3repE0EEENS1_30default_config_static_selectorELNS0_4arch9wavefront6targetE0EEEvT1_
	.globl	_ZN7rocprim17ROCPRIM_400000_NS6detail17trampoline_kernelINS0_14default_configENS1_25partition_config_selectorILNS1_17partition_subalgoE6EiNS0_10empty_typeEbEEZZNS1_14partition_implILS5_6ELb0ES3_mN6thrust23THRUST_200600_302600_NS6detail15normal_iteratorINSA_10device_ptrIiEEEEPS6_SG_NS0_5tupleIJNSA_16discard_iteratorINSA_11use_defaultEEES6_EEENSH_IJSG_SG_EEES6_PlJNSB_9not_fun_tINSB_14equal_to_valueIiEEEEEEE10hipError_tPvRmT3_T4_T5_T6_T7_T9_mT8_P12ihipStream_tbDpT10_ENKUlT_T0_E_clISt17integral_constantIbLb0EES1A_IbLb1EEEEDaS16_S17_EUlS16_E_NS1_11comp_targetILNS1_3genE5ELNS1_11target_archE942ELNS1_3gpuE9ELNS1_3repE0EEENS1_30default_config_static_selectorELNS0_4arch9wavefront6targetE0EEEvT1_
	.p2align	8
	.type	_ZN7rocprim17ROCPRIM_400000_NS6detail17trampoline_kernelINS0_14default_configENS1_25partition_config_selectorILNS1_17partition_subalgoE6EiNS0_10empty_typeEbEEZZNS1_14partition_implILS5_6ELb0ES3_mN6thrust23THRUST_200600_302600_NS6detail15normal_iteratorINSA_10device_ptrIiEEEEPS6_SG_NS0_5tupleIJNSA_16discard_iteratorINSA_11use_defaultEEES6_EEENSH_IJSG_SG_EEES6_PlJNSB_9not_fun_tINSB_14equal_to_valueIiEEEEEEE10hipError_tPvRmT3_T4_T5_T6_T7_T9_mT8_P12ihipStream_tbDpT10_ENKUlT_T0_E_clISt17integral_constantIbLb0EES1A_IbLb1EEEEDaS16_S17_EUlS16_E_NS1_11comp_targetILNS1_3genE5ELNS1_11target_archE942ELNS1_3gpuE9ELNS1_3repE0EEENS1_30default_config_static_selectorELNS0_4arch9wavefront6targetE0EEEvT1_,@function
_ZN7rocprim17ROCPRIM_400000_NS6detail17trampoline_kernelINS0_14default_configENS1_25partition_config_selectorILNS1_17partition_subalgoE6EiNS0_10empty_typeEbEEZZNS1_14partition_implILS5_6ELb0ES3_mN6thrust23THRUST_200600_302600_NS6detail15normal_iteratorINSA_10device_ptrIiEEEEPS6_SG_NS0_5tupleIJNSA_16discard_iteratorINSA_11use_defaultEEES6_EEENSH_IJSG_SG_EEES6_PlJNSB_9not_fun_tINSB_14equal_to_valueIiEEEEEEE10hipError_tPvRmT3_T4_T5_T6_T7_T9_mT8_P12ihipStream_tbDpT10_ENKUlT_T0_E_clISt17integral_constantIbLb0EES1A_IbLb1EEEEDaS16_S17_EUlS16_E_NS1_11comp_targetILNS1_3genE5ELNS1_11target_archE942ELNS1_3gpuE9ELNS1_3repE0EEENS1_30default_config_static_selectorELNS0_4arch9wavefront6targetE0EEEvT1_: ; @_ZN7rocprim17ROCPRIM_400000_NS6detail17trampoline_kernelINS0_14default_configENS1_25partition_config_selectorILNS1_17partition_subalgoE6EiNS0_10empty_typeEbEEZZNS1_14partition_implILS5_6ELb0ES3_mN6thrust23THRUST_200600_302600_NS6detail15normal_iteratorINSA_10device_ptrIiEEEEPS6_SG_NS0_5tupleIJNSA_16discard_iteratorINSA_11use_defaultEEES6_EEENSH_IJSG_SG_EEES6_PlJNSB_9not_fun_tINSB_14equal_to_valueIiEEEEEEE10hipError_tPvRmT3_T4_T5_T6_T7_T9_mT8_P12ihipStream_tbDpT10_ENKUlT_T0_E_clISt17integral_constantIbLb0EES1A_IbLb1EEEEDaS16_S17_EUlS16_E_NS1_11comp_targetILNS1_3genE5ELNS1_11target_archE942ELNS1_3gpuE9ELNS1_3repE0EEENS1_30default_config_static_selectorELNS0_4arch9wavefront6targetE0EEEvT1_
; %bb.0:
	.section	.rodata,"a",@progbits
	.p2align	6, 0x0
	.amdhsa_kernel _ZN7rocprim17ROCPRIM_400000_NS6detail17trampoline_kernelINS0_14default_configENS1_25partition_config_selectorILNS1_17partition_subalgoE6EiNS0_10empty_typeEbEEZZNS1_14partition_implILS5_6ELb0ES3_mN6thrust23THRUST_200600_302600_NS6detail15normal_iteratorINSA_10device_ptrIiEEEEPS6_SG_NS0_5tupleIJNSA_16discard_iteratorINSA_11use_defaultEEES6_EEENSH_IJSG_SG_EEES6_PlJNSB_9not_fun_tINSB_14equal_to_valueIiEEEEEEE10hipError_tPvRmT3_T4_T5_T6_T7_T9_mT8_P12ihipStream_tbDpT10_ENKUlT_T0_E_clISt17integral_constantIbLb0EES1A_IbLb1EEEEDaS16_S17_EUlS16_E_NS1_11comp_targetILNS1_3genE5ELNS1_11target_archE942ELNS1_3gpuE9ELNS1_3repE0EEENS1_30default_config_static_selectorELNS0_4arch9wavefront6targetE0EEEvT1_
		.amdhsa_group_segment_fixed_size 0
		.amdhsa_private_segment_fixed_size 0
		.amdhsa_kernarg_size 136
		.amdhsa_user_sgpr_count 2
		.amdhsa_user_sgpr_dispatch_ptr 0
		.amdhsa_user_sgpr_queue_ptr 0
		.amdhsa_user_sgpr_kernarg_segment_ptr 1
		.amdhsa_user_sgpr_dispatch_id 0
		.amdhsa_user_sgpr_private_segment_size 0
		.amdhsa_wavefront_size32 1
		.amdhsa_uses_dynamic_stack 0
		.amdhsa_enable_private_segment 0
		.amdhsa_system_sgpr_workgroup_id_x 1
		.amdhsa_system_sgpr_workgroup_id_y 0
		.amdhsa_system_sgpr_workgroup_id_z 0
		.amdhsa_system_sgpr_workgroup_info 0
		.amdhsa_system_vgpr_workitem_id 0
		.amdhsa_next_free_vgpr 1
		.amdhsa_next_free_sgpr 1
		.amdhsa_reserve_vcc 0
		.amdhsa_float_round_mode_32 0
		.amdhsa_float_round_mode_16_64 0
		.amdhsa_float_denorm_mode_32 3
		.amdhsa_float_denorm_mode_16_64 3
		.amdhsa_fp16_overflow 0
		.amdhsa_workgroup_processor_mode 1
		.amdhsa_memory_ordered 1
		.amdhsa_forward_progress 1
		.amdhsa_inst_pref_size 0
		.amdhsa_round_robin_scheduling 0
		.amdhsa_exception_fp_ieee_invalid_op 0
		.amdhsa_exception_fp_denorm_src 0
		.amdhsa_exception_fp_ieee_div_zero 0
		.amdhsa_exception_fp_ieee_overflow 0
		.amdhsa_exception_fp_ieee_underflow 0
		.amdhsa_exception_fp_ieee_inexact 0
		.amdhsa_exception_int_div_zero 0
	.end_amdhsa_kernel
	.section	.text._ZN7rocprim17ROCPRIM_400000_NS6detail17trampoline_kernelINS0_14default_configENS1_25partition_config_selectorILNS1_17partition_subalgoE6EiNS0_10empty_typeEbEEZZNS1_14partition_implILS5_6ELb0ES3_mN6thrust23THRUST_200600_302600_NS6detail15normal_iteratorINSA_10device_ptrIiEEEEPS6_SG_NS0_5tupleIJNSA_16discard_iteratorINSA_11use_defaultEEES6_EEENSH_IJSG_SG_EEES6_PlJNSB_9not_fun_tINSB_14equal_to_valueIiEEEEEEE10hipError_tPvRmT3_T4_T5_T6_T7_T9_mT8_P12ihipStream_tbDpT10_ENKUlT_T0_E_clISt17integral_constantIbLb0EES1A_IbLb1EEEEDaS16_S17_EUlS16_E_NS1_11comp_targetILNS1_3genE5ELNS1_11target_archE942ELNS1_3gpuE9ELNS1_3repE0EEENS1_30default_config_static_selectorELNS0_4arch9wavefront6targetE0EEEvT1_,"axG",@progbits,_ZN7rocprim17ROCPRIM_400000_NS6detail17trampoline_kernelINS0_14default_configENS1_25partition_config_selectorILNS1_17partition_subalgoE6EiNS0_10empty_typeEbEEZZNS1_14partition_implILS5_6ELb0ES3_mN6thrust23THRUST_200600_302600_NS6detail15normal_iteratorINSA_10device_ptrIiEEEEPS6_SG_NS0_5tupleIJNSA_16discard_iteratorINSA_11use_defaultEEES6_EEENSH_IJSG_SG_EEES6_PlJNSB_9not_fun_tINSB_14equal_to_valueIiEEEEEEE10hipError_tPvRmT3_T4_T5_T6_T7_T9_mT8_P12ihipStream_tbDpT10_ENKUlT_T0_E_clISt17integral_constantIbLb0EES1A_IbLb1EEEEDaS16_S17_EUlS16_E_NS1_11comp_targetILNS1_3genE5ELNS1_11target_archE942ELNS1_3gpuE9ELNS1_3repE0EEENS1_30default_config_static_selectorELNS0_4arch9wavefront6targetE0EEEvT1_,comdat
.Lfunc_end1782:
	.size	_ZN7rocprim17ROCPRIM_400000_NS6detail17trampoline_kernelINS0_14default_configENS1_25partition_config_selectorILNS1_17partition_subalgoE6EiNS0_10empty_typeEbEEZZNS1_14partition_implILS5_6ELb0ES3_mN6thrust23THRUST_200600_302600_NS6detail15normal_iteratorINSA_10device_ptrIiEEEEPS6_SG_NS0_5tupleIJNSA_16discard_iteratorINSA_11use_defaultEEES6_EEENSH_IJSG_SG_EEES6_PlJNSB_9not_fun_tINSB_14equal_to_valueIiEEEEEEE10hipError_tPvRmT3_T4_T5_T6_T7_T9_mT8_P12ihipStream_tbDpT10_ENKUlT_T0_E_clISt17integral_constantIbLb0EES1A_IbLb1EEEEDaS16_S17_EUlS16_E_NS1_11comp_targetILNS1_3genE5ELNS1_11target_archE942ELNS1_3gpuE9ELNS1_3repE0EEENS1_30default_config_static_selectorELNS0_4arch9wavefront6targetE0EEEvT1_, .Lfunc_end1782-_ZN7rocprim17ROCPRIM_400000_NS6detail17trampoline_kernelINS0_14default_configENS1_25partition_config_selectorILNS1_17partition_subalgoE6EiNS0_10empty_typeEbEEZZNS1_14partition_implILS5_6ELb0ES3_mN6thrust23THRUST_200600_302600_NS6detail15normal_iteratorINSA_10device_ptrIiEEEEPS6_SG_NS0_5tupleIJNSA_16discard_iteratorINSA_11use_defaultEEES6_EEENSH_IJSG_SG_EEES6_PlJNSB_9not_fun_tINSB_14equal_to_valueIiEEEEEEE10hipError_tPvRmT3_T4_T5_T6_T7_T9_mT8_P12ihipStream_tbDpT10_ENKUlT_T0_E_clISt17integral_constantIbLb0EES1A_IbLb1EEEEDaS16_S17_EUlS16_E_NS1_11comp_targetILNS1_3genE5ELNS1_11target_archE942ELNS1_3gpuE9ELNS1_3repE0EEENS1_30default_config_static_selectorELNS0_4arch9wavefront6targetE0EEEvT1_
                                        ; -- End function
	.set _ZN7rocprim17ROCPRIM_400000_NS6detail17trampoline_kernelINS0_14default_configENS1_25partition_config_selectorILNS1_17partition_subalgoE6EiNS0_10empty_typeEbEEZZNS1_14partition_implILS5_6ELb0ES3_mN6thrust23THRUST_200600_302600_NS6detail15normal_iteratorINSA_10device_ptrIiEEEEPS6_SG_NS0_5tupleIJNSA_16discard_iteratorINSA_11use_defaultEEES6_EEENSH_IJSG_SG_EEES6_PlJNSB_9not_fun_tINSB_14equal_to_valueIiEEEEEEE10hipError_tPvRmT3_T4_T5_T6_T7_T9_mT8_P12ihipStream_tbDpT10_ENKUlT_T0_E_clISt17integral_constantIbLb0EES1A_IbLb1EEEEDaS16_S17_EUlS16_E_NS1_11comp_targetILNS1_3genE5ELNS1_11target_archE942ELNS1_3gpuE9ELNS1_3repE0EEENS1_30default_config_static_selectorELNS0_4arch9wavefront6targetE0EEEvT1_.num_vgpr, 0
	.set _ZN7rocprim17ROCPRIM_400000_NS6detail17trampoline_kernelINS0_14default_configENS1_25partition_config_selectorILNS1_17partition_subalgoE6EiNS0_10empty_typeEbEEZZNS1_14partition_implILS5_6ELb0ES3_mN6thrust23THRUST_200600_302600_NS6detail15normal_iteratorINSA_10device_ptrIiEEEEPS6_SG_NS0_5tupleIJNSA_16discard_iteratorINSA_11use_defaultEEES6_EEENSH_IJSG_SG_EEES6_PlJNSB_9not_fun_tINSB_14equal_to_valueIiEEEEEEE10hipError_tPvRmT3_T4_T5_T6_T7_T9_mT8_P12ihipStream_tbDpT10_ENKUlT_T0_E_clISt17integral_constantIbLb0EES1A_IbLb1EEEEDaS16_S17_EUlS16_E_NS1_11comp_targetILNS1_3genE5ELNS1_11target_archE942ELNS1_3gpuE9ELNS1_3repE0EEENS1_30default_config_static_selectorELNS0_4arch9wavefront6targetE0EEEvT1_.num_agpr, 0
	.set _ZN7rocprim17ROCPRIM_400000_NS6detail17trampoline_kernelINS0_14default_configENS1_25partition_config_selectorILNS1_17partition_subalgoE6EiNS0_10empty_typeEbEEZZNS1_14partition_implILS5_6ELb0ES3_mN6thrust23THRUST_200600_302600_NS6detail15normal_iteratorINSA_10device_ptrIiEEEEPS6_SG_NS0_5tupleIJNSA_16discard_iteratorINSA_11use_defaultEEES6_EEENSH_IJSG_SG_EEES6_PlJNSB_9not_fun_tINSB_14equal_to_valueIiEEEEEEE10hipError_tPvRmT3_T4_T5_T6_T7_T9_mT8_P12ihipStream_tbDpT10_ENKUlT_T0_E_clISt17integral_constantIbLb0EES1A_IbLb1EEEEDaS16_S17_EUlS16_E_NS1_11comp_targetILNS1_3genE5ELNS1_11target_archE942ELNS1_3gpuE9ELNS1_3repE0EEENS1_30default_config_static_selectorELNS0_4arch9wavefront6targetE0EEEvT1_.numbered_sgpr, 0
	.set _ZN7rocprim17ROCPRIM_400000_NS6detail17trampoline_kernelINS0_14default_configENS1_25partition_config_selectorILNS1_17partition_subalgoE6EiNS0_10empty_typeEbEEZZNS1_14partition_implILS5_6ELb0ES3_mN6thrust23THRUST_200600_302600_NS6detail15normal_iteratorINSA_10device_ptrIiEEEEPS6_SG_NS0_5tupleIJNSA_16discard_iteratorINSA_11use_defaultEEES6_EEENSH_IJSG_SG_EEES6_PlJNSB_9not_fun_tINSB_14equal_to_valueIiEEEEEEE10hipError_tPvRmT3_T4_T5_T6_T7_T9_mT8_P12ihipStream_tbDpT10_ENKUlT_T0_E_clISt17integral_constantIbLb0EES1A_IbLb1EEEEDaS16_S17_EUlS16_E_NS1_11comp_targetILNS1_3genE5ELNS1_11target_archE942ELNS1_3gpuE9ELNS1_3repE0EEENS1_30default_config_static_selectorELNS0_4arch9wavefront6targetE0EEEvT1_.num_named_barrier, 0
	.set _ZN7rocprim17ROCPRIM_400000_NS6detail17trampoline_kernelINS0_14default_configENS1_25partition_config_selectorILNS1_17partition_subalgoE6EiNS0_10empty_typeEbEEZZNS1_14partition_implILS5_6ELb0ES3_mN6thrust23THRUST_200600_302600_NS6detail15normal_iteratorINSA_10device_ptrIiEEEEPS6_SG_NS0_5tupleIJNSA_16discard_iteratorINSA_11use_defaultEEES6_EEENSH_IJSG_SG_EEES6_PlJNSB_9not_fun_tINSB_14equal_to_valueIiEEEEEEE10hipError_tPvRmT3_T4_T5_T6_T7_T9_mT8_P12ihipStream_tbDpT10_ENKUlT_T0_E_clISt17integral_constantIbLb0EES1A_IbLb1EEEEDaS16_S17_EUlS16_E_NS1_11comp_targetILNS1_3genE5ELNS1_11target_archE942ELNS1_3gpuE9ELNS1_3repE0EEENS1_30default_config_static_selectorELNS0_4arch9wavefront6targetE0EEEvT1_.private_seg_size, 0
	.set _ZN7rocprim17ROCPRIM_400000_NS6detail17trampoline_kernelINS0_14default_configENS1_25partition_config_selectorILNS1_17partition_subalgoE6EiNS0_10empty_typeEbEEZZNS1_14partition_implILS5_6ELb0ES3_mN6thrust23THRUST_200600_302600_NS6detail15normal_iteratorINSA_10device_ptrIiEEEEPS6_SG_NS0_5tupleIJNSA_16discard_iteratorINSA_11use_defaultEEES6_EEENSH_IJSG_SG_EEES6_PlJNSB_9not_fun_tINSB_14equal_to_valueIiEEEEEEE10hipError_tPvRmT3_T4_T5_T6_T7_T9_mT8_P12ihipStream_tbDpT10_ENKUlT_T0_E_clISt17integral_constantIbLb0EES1A_IbLb1EEEEDaS16_S17_EUlS16_E_NS1_11comp_targetILNS1_3genE5ELNS1_11target_archE942ELNS1_3gpuE9ELNS1_3repE0EEENS1_30default_config_static_selectorELNS0_4arch9wavefront6targetE0EEEvT1_.uses_vcc, 0
	.set _ZN7rocprim17ROCPRIM_400000_NS6detail17trampoline_kernelINS0_14default_configENS1_25partition_config_selectorILNS1_17partition_subalgoE6EiNS0_10empty_typeEbEEZZNS1_14partition_implILS5_6ELb0ES3_mN6thrust23THRUST_200600_302600_NS6detail15normal_iteratorINSA_10device_ptrIiEEEEPS6_SG_NS0_5tupleIJNSA_16discard_iteratorINSA_11use_defaultEEES6_EEENSH_IJSG_SG_EEES6_PlJNSB_9not_fun_tINSB_14equal_to_valueIiEEEEEEE10hipError_tPvRmT3_T4_T5_T6_T7_T9_mT8_P12ihipStream_tbDpT10_ENKUlT_T0_E_clISt17integral_constantIbLb0EES1A_IbLb1EEEEDaS16_S17_EUlS16_E_NS1_11comp_targetILNS1_3genE5ELNS1_11target_archE942ELNS1_3gpuE9ELNS1_3repE0EEENS1_30default_config_static_selectorELNS0_4arch9wavefront6targetE0EEEvT1_.uses_flat_scratch, 0
	.set _ZN7rocprim17ROCPRIM_400000_NS6detail17trampoline_kernelINS0_14default_configENS1_25partition_config_selectorILNS1_17partition_subalgoE6EiNS0_10empty_typeEbEEZZNS1_14partition_implILS5_6ELb0ES3_mN6thrust23THRUST_200600_302600_NS6detail15normal_iteratorINSA_10device_ptrIiEEEEPS6_SG_NS0_5tupleIJNSA_16discard_iteratorINSA_11use_defaultEEES6_EEENSH_IJSG_SG_EEES6_PlJNSB_9not_fun_tINSB_14equal_to_valueIiEEEEEEE10hipError_tPvRmT3_T4_T5_T6_T7_T9_mT8_P12ihipStream_tbDpT10_ENKUlT_T0_E_clISt17integral_constantIbLb0EES1A_IbLb1EEEEDaS16_S17_EUlS16_E_NS1_11comp_targetILNS1_3genE5ELNS1_11target_archE942ELNS1_3gpuE9ELNS1_3repE0EEENS1_30default_config_static_selectorELNS0_4arch9wavefront6targetE0EEEvT1_.has_dyn_sized_stack, 0
	.set _ZN7rocprim17ROCPRIM_400000_NS6detail17trampoline_kernelINS0_14default_configENS1_25partition_config_selectorILNS1_17partition_subalgoE6EiNS0_10empty_typeEbEEZZNS1_14partition_implILS5_6ELb0ES3_mN6thrust23THRUST_200600_302600_NS6detail15normal_iteratorINSA_10device_ptrIiEEEEPS6_SG_NS0_5tupleIJNSA_16discard_iteratorINSA_11use_defaultEEES6_EEENSH_IJSG_SG_EEES6_PlJNSB_9not_fun_tINSB_14equal_to_valueIiEEEEEEE10hipError_tPvRmT3_T4_T5_T6_T7_T9_mT8_P12ihipStream_tbDpT10_ENKUlT_T0_E_clISt17integral_constantIbLb0EES1A_IbLb1EEEEDaS16_S17_EUlS16_E_NS1_11comp_targetILNS1_3genE5ELNS1_11target_archE942ELNS1_3gpuE9ELNS1_3repE0EEENS1_30default_config_static_selectorELNS0_4arch9wavefront6targetE0EEEvT1_.has_recursion, 0
	.set _ZN7rocprim17ROCPRIM_400000_NS6detail17trampoline_kernelINS0_14default_configENS1_25partition_config_selectorILNS1_17partition_subalgoE6EiNS0_10empty_typeEbEEZZNS1_14partition_implILS5_6ELb0ES3_mN6thrust23THRUST_200600_302600_NS6detail15normal_iteratorINSA_10device_ptrIiEEEEPS6_SG_NS0_5tupleIJNSA_16discard_iteratorINSA_11use_defaultEEES6_EEENSH_IJSG_SG_EEES6_PlJNSB_9not_fun_tINSB_14equal_to_valueIiEEEEEEE10hipError_tPvRmT3_T4_T5_T6_T7_T9_mT8_P12ihipStream_tbDpT10_ENKUlT_T0_E_clISt17integral_constantIbLb0EES1A_IbLb1EEEEDaS16_S17_EUlS16_E_NS1_11comp_targetILNS1_3genE5ELNS1_11target_archE942ELNS1_3gpuE9ELNS1_3repE0EEENS1_30default_config_static_selectorELNS0_4arch9wavefront6targetE0EEEvT1_.has_indirect_call, 0
	.section	.AMDGPU.csdata,"",@progbits
; Kernel info:
; codeLenInByte = 0
; TotalNumSgprs: 0
; NumVgprs: 0
; ScratchSize: 0
; MemoryBound: 0
; FloatMode: 240
; IeeeMode: 1
; LDSByteSize: 0 bytes/workgroup (compile time only)
; SGPRBlocks: 0
; VGPRBlocks: 0
; NumSGPRsForWavesPerEU: 1
; NumVGPRsForWavesPerEU: 1
; Occupancy: 16
; WaveLimiterHint : 0
; COMPUTE_PGM_RSRC2:SCRATCH_EN: 0
; COMPUTE_PGM_RSRC2:USER_SGPR: 2
; COMPUTE_PGM_RSRC2:TRAP_HANDLER: 0
; COMPUTE_PGM_RSRC2:TGID_X_EN: 1
; COMPUTE_PGM_RSRC2:TGID_Y_EN: 0
; COMPUTE_PGM_RSRC2:TGID_Z_EN: 0
; COMPUTE_PGM_RSRC2:TIDIG_COMP_CNT: 0
	.section	.text._ZN7rocprim17ROCPRIM_400000_NS6detail17trampoline_kernelINS0_14default_configENS1_25partition_config_selectorILNS1_17partition_subalgoE6EiNS0_10empty_typeEbEEZZNS1_14partition_implILS5_6ELb0ES3_mN6thrust23THRUST_200600_302600_NS6detail15normal_iteratorINSA_10device_ptrIiEEEEPS6_SG_NS0_5tupleIJNSA_16discard_iteratorINSA_11use_defaultEEES6_EEENSH_IJSG_SG_EEES6_PlJNSB_9not_fun_tINSB_14equal_to_valueIiEEEEEEE10hipError_tPvRmT3_T4_T5_T6_T7_T9_mT8_P12ihipStream_tbDpT10_ENKUlT_T0_E_clISt17integral_constantIbLb0EES1A_IbLb1EEEEDaS16_S17_EUlS16_E_NS1_11comp_targetILNS1_3genE4ELNS1_11target_archE910ELNS1_3gpuE8ELNS1_3repE0EEENS1_30default_config_static_selectorELNS0_4arch9wavefront6targetE0EEEvT1_,"axG",@progbits,_ZN7rocprim17ROCPRIM_400000_NS6detail17trampoline_kernelINS0_14default_configENS1_25partition_config_selectorILNS1_17partition_subalgoE6EiNS0_10empty_typeEbEEZZNS1_14partition_implILS5_6ELb0ES3_mN6thrust23THRUST_200600_302600_NS6detail15normal_iteratorINSA_10device_ptrIiEEEEPS6_SG_NS0_5tupleIJNSA_16discard_iteratorINSA_11use_defaultEEES6_EEENSH_IJSG_SG_EEES6_PlJNSB_9not_fun_tINSB_14equal_to_valueIiEEEEEEE10hipError_tPvRmT3_T4_T5_T6_T7_T9_mT8_P12ihipStream_tbDpT10_ENKUlT_T0_E_clISt17integral_constantIbLb0EES1A_IbLb1EEEEDaS16_S17_EUlS16_E_NS1_11comp_targetILNS1_3genE4ELNS1_11target_archE910ELNS1_3gpuE8ELNS1_3repE0EEENS1_30default_config_static_selectorELNS0_4arch9wavefront6targetE0EEEvT1_,comdat
	.protected	_ZN7rocprim17ROCPRIM_400000_NS6detail17trampoline_kernelINS0_14default_configENS1_25partition_config_selectorILNS1_17partition_subalgoE6EiNS0_10empty_typeEbEEZZNS1_14partition_implILS5_6ELb0ES3_mN6thrust23THRUST_200600_302600_NS6detail15normal_iteratorINSA_10device_ptrIiEEEEPS6_SG_NS0_5tupleIJNSA_16discard_iteratorINSA_11use_defaultEEES6_EEENSH_IJSG_SG_EEES6_PlJNSB_9not_fun_tINSB_14equal_to_valueIiEEEEEEE10hipError_tPvRmT3_T4_T5_T6_T7_T9_mT8_P12ihipStream_tbDpT10_ENKUlT_T0_E_clISt17integral_constantIbLb0EES1A_IbLb1EEEEDaS16_S17_EUlS16_E_NS1_11comp_targetILNS1_3genE4ELNS1_11target_archE910ELNS1_3gpuE8ELNS1_3repE0EEENS1_30default_config_static_selectorELNS0_4arch9wavefront6targetE0EEEvT1_ ; -- Begin function _ZN7rocprim17ROCPRIM_400000_NS6detail17trampoline_kernelINS0_14default_configENS1_25partition_config_selectorILNS1_17partition_subalgoE6EiNS0_10empty_typeEbEEZZNS1_14partition_implILS5_6ELb0ES3_mN6thrust23THRUST_200600_302600_NS6detail15normal_iteratorINSA_10device_ptrIiEEEEPS6_SG_NS0_5tupleIJNSA_16discard_iteratorINSA_11use_defaultEEES6_EEENSH_IJSG_SG_EEES6_PlJNSB_9not_fun_tINSB_14equal_to_valueIiEEEEEEE10hipError_tPvRmT3_T4_T5_T6_T7_T9_mT8_P12ihipStream_tbDpT10_ENKUlT_T0_E_clISt17integral_constantIbLb0EES1A_IbLb1EEEEDaS16_S17_EUlS16_E_NS1_11comp_targetILNS1_3genE4ELNS1_11target_archE910ELNS1_3gpuE8ELNS1_3repE0EEENS1_30default_config_static_selectorELNS0_4arch9wavefront6targetE0EEEvT1_
	.globl	_ZN7rocprim17ROCPRIM_400000_NS6detail17trampoline_kernelINS0_14default_configENS1_25partition_config_selectorILNS1_17partition_subalgoE6EiNS0_10empty_typeEbEEZZNS1_14partition_implILS5_6ELb0ES3_mN6thrust23THRUST_200600_302600_NS6detail15normal_iteratorINSA_10device_ptrIiEEEEPS6_SG_NS0_5tupleIJNSA_16discard_iteratorINSA_11use_defaultEEES6_EEENSH_IJSG_SG_EEES6_PlJNSB_9not_fun_tINSB_14equal_to_valueIiEEEEEEE10hipError_tPvRmT3_T4_T5_T6_T7_T9_mT8_P12ihipStream_tbDpT10_ENKUlT_T0_E_clISt17integral_constantIbLb0EES1A_IbLb1EEEEDaS16_S17_EUlS16_E_NS1_11comp_targetILNS1_3genE4ELNS1_11target_archE910ELNS1_3gpuE8ELNS1_3repE0EEENS1_30default_config_static_selectorELNS0_4arch9wavefront6targetE0EEEvT1_
	.p2align	8
	.type	_ZN7rocprim17ROCPRIM_400000_NS6detail17trampoline_kernelINS0_14default_configENS1_25partition_config_selectorILNS1_17partition_subalgoE6EiNS0_10empty_typeEbEEZZNS1_14partition_implILS5_6ELb0ES3_mN6thrust23THRUST_200600_302600_NS6detail15normal_iteratorINSA_10device_ptrIiEEEEPS6_SG_NS0_5tupleIJNSA_16discard_iteratorINSA_11use_defaultEEES6_EEENSH_IJSG_SG_EEES6_PlJNSB_9not_fun_tINSB_14equal_to_valueIiEEEEEEE10hipError_tPvRmT3_T4_T5_T6_T7_T9_mT8_P12ihipStream_tbDpT10_ENKUlT_T0_E_clISt17integral_constantIbLb0EES1A_IbLb1EEEEDaS16_S17_EUlS16_E_NS1_11comp_targetILNS1_3genE4ELNS1_11target_archE910ELNS1_3gpuE8ELNS1_3repE0EEENS1_30default_config_static_selectorELNS0_4arch9wavefront6targetE0EEEvT1_,@function
_ZN7rocprim17ROCPRIM_400000_NS6detail17trampoline_kernelINS0_14default_configENS1_25partition_config_selectorILNS1_17partition_subalgoE6EiNS0_10empty_typeEbEEZZNS1_14partition_implILS5_6ELb0ES3_mN6thrust23THRUST_200600_302600_NS6detail15normal_iteratorINSA_10device_ptrIiEEEEPS6_SG_NS0_5tupleIJNSA_16discard_iteratorINSA_11use_defaultEEES6_EEENSH_IJSG_SG_EEES6_PlJNSB_9not_fun_tINSB_14equal_to_valueIiEEEEEEE10hipError_tPvRmT3_T4_T5_T6_T7_T9_mT8_P12ihipStream_tbDpT10_ENKUlT_T0_E_clISt17integral_constantIbLb0EES1A_IbLb1EEEEDaS16_S17_EUlS16_E_NS1_11comp_targetILNS1_3genE4ELNS1_11target_archE910ELNS1_3gpuE8ELNS1_3repE0EEENS1_30default_config_static_selectorELNS0_4arch9wavefront6targetE0EEEvT1_: ; @_ZN7rocprim17ROCPRIM_400000_NS6detail17trampoline_kernelINS0_14default_configENS1_25partition_config_selectorILNS1_17partition_subalgoE6EiNS0_10empty_typeEbEEZZNS1_14partition_implILS5_6ELb0ES3_mN6thrust23THRUST_200600_302600_NS6detail15normal_iteratorINSA_10device_ptrIiEEEEPS6_SG_NS0_5tupleIJNSA_16discard_iteratorINSA_11use_defaultEEES6_EEENSH_IJSG_SG_EEES6_PlJNSB_9not_fun_tINSB_14equal_to_valueIiEEEEEEE10hipError_tPvRmT3_T4_T5_T6_T7_T9_mT8_P12ihipStream_tbDpT10_ENKUlT_T0_E_clISt17integral_constantIbLb0EES1A_IbLb1EEEEDaS16_S17_EUlS16_E_NS1_11comp_targetILNS1_3genE4ELNS1_11target_archE910ELNS1_3gpuE8ELNS1_3repE0EEENS1_30default_config_static_selectorELNS0_4arch9wavefront6targetE0EEEvT1_
; %bb.0:
	.section	.rodata,"a",@progbits
	.p2align	6, 0x0
	.amdhsa_kernel _ZN7rocprim17ROCPRIM_400000_NS6detail17trampoline_kernelINS0_14default_configENS1_25partition_config_selectorILNS1_17partition_subalgoE6EiNS0_10empty_typeEbEEZZNS1_14partition_implILS5_6ELb0ES3_mN6thrust23THRUST_200600_302600_NS6detail15normal_iteratorINSA_10device_ptrIiEEEEPS6_SG_NS0_5tupleIJNSA_16discard_iteratorINSA_11use_defaultEEES6_EEENSH_IJSG_SG_EEES6_PlJNSB_9not_fun_tINSB_14equal_to_valueIiEEEEEEE10hipError_tPvRmT3_T4_T5_T6_T7_T9_mT8_P12ihipStream_tbDpT10_ENKUlT_T0_E_clISt17integral_constantIbLb0EES1A_IbLb1EEEEDaS16_S17_EUlS16_E_NS1_11comp_targetILNS1_3genE4ELNS1_11target_archE910ELNS1_3gpuE8ELNS1_3repE0EEENS1_30default_config_static_selectorELNS0_4arch9wavefront6targetE0EEEvT1_
		.amdhsa_group_segment_fixed_size 0
		.amdhsa_private_segment_fixed_size 0
		.amdhsa_kernarg_size 136
		.amdhsa_user_sgpr_count 2
		.amdhsa_user_sgpr_dispatch_ptr 0
		.amdhsa_user_sgpr_queue_ptr 0
		.amdhsa_user_sgpr_kernarg_segment_ptr 1
		.amdhsa_user_sgpr_dispatch_id 0
		.amdhsa_user_sgpr_private_segment_size 0
		.amdhsa_wavefront_size32 1
		.amdhsa_uses_dynamic_stack 0
		.amdhsa_enable_private_segment 0
		.amdhsa_system_sgpr_workgroup_id_x 1
		.amdhsa_system_sgpr_workgroup_id_y 0
		.amdhsa_system_sgpr_workgroup_id_z 0
		.amdhsa_system_sgpr_workgroup_info 0
		.amdhsa_system_vgpr_workitem_id 0
		.amdhsa_next_free_vgpr 1
		.amdhsa_next_free_sgpr 1
		.amdhsa_reserve_vcc 0
		.amdhsa_float_round_mode_32 0
		.amdhsa_float_round_mode_16_64 0
		.amdhsa_float_denorm_mode_32 3
		.amdhsa_float_denorm_mode_16_64 3
		.amdhsa_fp16_overflow 0
		.amdhsa_workgroup_processor_mode 1
		.amdhsa_memory_ordered 1
		.amdhsa_forward_progress 1
		.amdhsa_inst_pref_size 0
		.amdhsa_round_robin_scheduling 0
		.amdhsa_exception_fp_ieee_invalid_op 0
		.amdhsa_exception_fp_denorm_src 0
		.amdhsa_exception_fp_ieee_div_zero 0
		.amdhsa_exception_fp_ieee_overflow 0
		.amdhsa_exception_fp_ieee_underflow 0
		.amdhsa_exception_fp_ieee_inexact 0
		.amdhsa_exception_int_div_zero 0
	.end_amdhsa_kernel
	.section	.text._ZN7rocprim17ROCPRIM_400000_NS6detail17trampoline_kernelINS0_14default_configENS1_25partition_config_selectorILNS1_17partition_subalgoE6EiNS0_10empty_typeEbEEZZNS1_14partition_implILS5_6ELb0ES3_mN6thrust23THRUST_200600_302600_NS6detail15normal_iteratorINSA_10device_ptrIiEEEEPS6_SG_NS0_5tupleIJNSA_16discard_iteratorINSA_11use_defaultEEES6_EEENSH_IJSG_SG_EEES6_PlJNSB_9not_fun_tINSB_14equal_to_valueIiEEEEEEE10hipError_tPvRmT3_T4_T5_T6_T7_T9_mT8_P12ihipStream_tbDpT10_ENKUlT_T0_E_clISt17integral_constantIbLb0EES1A_IbLb1EEEEDaS16_S17_EUlS16_E_NS1_11comp_targetILNS1_3genE4ELNS1_11target_archE910ELNS1_3gpuE8ELNS1_3repE0EEENS1_30default_config_static_selectorELNS0_4arch9wavefront6targetE0EEEvT1_,"axG",@progbits,_ZN7rocprim17ROCPRIM_400000_NS6detail17trampoline_kernelINS0_14default_configENS1_25partition_config_selectorILNS1_17partition_subalgoE6EiNS0_10empty_typeEbEEZZNS1_14partition_implILS5_6ELb0ES3_mN6thrust23THRUST_200600_302600_NS6detail15normal_iteratorINSA_10device_ptrIiEEEEPS6_SG_NS0_5tupleIJNSA_16discard_iteratorINSA_11use_defaultEEES6_EEENSH_IJSG_SG_EEES6_PlJNSB_9not_fun_tINSB_14equal_to_valueIiEEEEEEE10hipError_tPvRmT3_T4_T5_T6_T7_T9_mT8_P12ihipStream_tbDpT10_ENKUlT_T0_E_clISt17integral_constantIbLb0EES1A_IbLb1EEEEDaS16_S17_EUlS16_E_NS1_11comp_targetILNS1_3genE4ELNS1_11target_archE910ELNS1_3gpuE8ELNS1_3repE0EEENS1_30default_config_static_selectorELNS0_4arch9wavefront6targetE0EEEvT1_,comdat
.Lfunc_end1783:
	.size	_ZN7rocprim17ROCPRIM_400000_NS6detail17trampoline_kernelINS0_14default_configENS1_25partition_config_selectorILNS1_17partition_subalgoE6EiNS0_10empty_typeEbEEZZNS1_14partition_implILS5_6ELb0ES3_mN6thrust23THRUST_200600_302600_NS6detail15normal_iteratorINSA_10device_ptrIiEEEEPS6_SG_NS0_5tupleIJNSA_16discard_iteratorINSA_11use_defaultEEES6_EEENSH_IJSG_SG_EEES6_PlJNSB_9not_fun_tINSB_14equal_to_valueIiEEEEEEE10hipError_tPvRmT3_T4_T5_T6_T7_T9_mT8_P12ihipStream_tbDpT10_ENKUlT_T0_E_clISt17integral_constantIbLb0EES1A_IbLb1EEEEDaS16_S17_EUlS16_E_NS1_11comp_targetILNS1_3genE4ELNS1_11target_archE910ELNS1_3gpuE8ELNS1_3repE0EEENS1_30default_config_static_selectorELNS0_4arch9wavefront6targetE0EEEvT1_, .Lfunc_end1783-_ZN7rocprim17ROCPRIM_400000_NS6detail17trampoline_kernelINS0_14default_configENS1_25partition_config_selectorILNS1_17partition_subalgoE6EiNS0_10empty_typeEbEEZZNS1_14partition_implILS5_6ELb0ES3_mN6thrust23THRUST_200600_302600_NS6detail15normal_iteratorINSA_10device_ptrIiEEEEPS6_SG_NS0_5tupleIJNSA_16discard_iteratorINSA_11use_defaultEEES6_EEENSH_IJSG_SG_EEES6_PlJNSB_9not_fun_tINSB_14equal_to_valueIiEEEEEEE10hipError_tPvRmT3_T4_T5_T6_T7_T9_mT8_P12ihipStream_tbDpT10_ENKUlT_T0_E_clISt17integral_constantIbLb0EES1A_IbLb1EEEEDaS16_S17_EUlS16_E_NS1_11comp_targetILNS1_3genE4ELNS1_11target_archE910ELNS1_3gpuE8ELNS1_3repE0EEENS1_30default_config_static_selectorELNS0_4arch9wavefront6targetE0EEEvT1_
                                        ; -- End function
	.set _ZN7rocprim17ROCPRIM_400000_NS6detail17trampoline_kernelINS0_14default_configENS1_25partition_config_selectorILNS1_17partition_subalgoE6EiNS0_10empty_typeEbEEZZNS1_14partition_implILS5_6ELb0ES3_mN6thrust23THRUST_200600_302600_NS6detail15normal_iteratorINSA_10device_ptrIiEEEEPS6_SG_NS0_5tupleIJNSA_16discard_iteratorINSA_11use_defaultEEES6_EEENSH_IJSG_SG_EEES6_PlJNSB_9not_fun_tINSB_14equal_to_valueIiEEEEEEE10hipError_tPvRmT3_T4_T5_T6_T7_T9_mT8_P12ihipStream_tbDpT10_ENKUlT_T0_E_clISt17integral_constantIbLb0EES1A_IbLb1EEEEDaS16_S17_EUlS16_E_NS1_11comp_targetILNS1_3genE4ELNS1_11target_archE910ELNS1_3gpuE8ELNS1_3repE0EEENS1_30default_config_static_selectorELNS0_4arch9wavefront6targetE0EEEvT1_.num_vgpr, 0
	.set _ZN7rocprim17ROCPRIM_400000_NS6detail17trampoline_kernelINS0_14default_configENS1_25partition_config_selectorILNS1_17partition_subalgoE6EiNS0_10empty_typeEbEEZZNS1_14partition_implILS5_6ELb0ES3_mN6thrust23THRUST_200600_302600_NS6detail15normal_iteratorINSA_10device_ptrIiEEEEPS6_SG_NS0_5tupleIJNSA_16discard_iteratorINSA_11use_defaultEEES6_EEENSH_IJSG_SG_EEES6_PlJNSB_9not_fun_tINSB_14equal_to_valueIiEEEEEEE10hipError_tPvRmT3_T4_T5_T6_T7_T9_mT8_P12ihipStream_tbDpT10_ENKUlT_T0_E_clISt17integral_constantIbLb0EES1A_IbLb1EEEEDaS16_S17_EUlS16_E_NS1_11comp_targetILNS1_3genE4ELNS1_11target_archE910ELNS1_3gpuE8ELNS1_3repE0EEENS1_30default_config_static_selectorELNS0_4arch9wavefront6targetE0EEEvT1_.num_agpr, 0
	.set _ZN7rocprim17ROCPRIM_400000_NS6detail17trampoline_kernelINS0_14default_configENS1_25partition_config_selectorILNS1_17partition_subalgoE6EiNS0_10empty_typeEbEEZZNS1_14partition_implILS5_6ELb0ES3_mN6thrust23THRUST_200600_302600_NS6detail15normal_iteratorINSA_10device_ptrIiEEEEPS6_SG_NS0_5tupleIJNSA_16discard_iteratorINSA_11use_defaultEEES6_EEENSH_IJSG_SG_EEES6_PlJNSB_9not_fun_tINSB_14equal_to_valueIiEEEEEEE10hipError_tPvRmT3_T4_T5_T6_T7_T9_mT8_P12ihipStream_tbDpT10_ENKUlT_T0_E_clISt17integral_constantIbLb0EES1A_IbLb1EEEEDaS16_S17_EUlS16_E_NS1_11comp_targetILNS1_3genE4ELNS1_11target_archE910ELNS1_3gpuE8ELNS1_3repE0EEENS1_30default_config_static_selectorELNS0_4arch9wavefront6targetE0EEEvT1_.numbered_sgpr, 0
	.set _ZN7rocprim17ROCPRIM_400000_NS6detail17trampoline_kernelINS0_14default_configENS1_25partition_config_selectorILNS1_17partition_subalgoE6EiNS0_10empty_typeEbEEZZNS1_14partition_implILS5_6ELb0ES3_mN6thrust23THRUST_200600_302600_NS6detail15normal_iteratorINSA_10device_ptrIiEEEEPS6_SG_NS0_5tupleIJNSA_16discard_iteratorINSA_11use_defaultEEES6_EEENSH_IJSG_SG_EEES6_PlJNSB_9not_fun_tINSB_14equal_to_valueIiEEEEEEE10hipError_tPvRmT3_T4_T5_T6_T7_T9_mT8_P12ihipStream_tbDpT10_ENKUlT_T0_E_clISt17integral_constantIbLb0EES1A_IbLb1EEEEDaS16_S17_EUlS16_E_NS1_11comp_targetILNS1_3genE4ELNS1_11target_archE910ELNS1_3gpuE8ELNS1_3repE0EEENS1_30default_config_static_selectorELNS0_4arch9wavefront6targetE0EEEvT1_.num_named_barrier, 0
	.set _ZN7rocprim17ROCPRIM_400000_NS6detail17trampoline_kernelINS0_14default_configENS1_25partition_config_selectorILNS1_17partition_subalgoE6EiNS0_10empty_typeEbEEZZNS1_14partition_implILS5_6ELb0ES3_mN6thrust23THRUST_200600_302600_NS6detail15normal_iteratorINSA_10device_ptrIiEEEEPS6_SG_NS0_5tupleIJNSA_16discard_iteratorINSA_11use_defaultEEES6_EEENSH_IJSG_SG_EEES6_PlJNSB_9not_fun_tINSB_14equal_to_valueIiEEEEEEE10hipError_tPvRmT3_T4_T5_T6_T7_T9_mT8_P12ihipStream_tbDpT10_ENKUlT_T0_E_clISt17integral_constantIbLb0EES1A_IbLb1EEEEDaS16_S17_EUlS16_E_NS1_11comp_targetILNS1_3genE4ELNS1_11target_archE910ELNS1_3gpuE8ELNS1_3repE0EEENS1_30default_config_static_selectorELNS0_4arch9wavefront6targetE0EEEvT1_.private_seg_size, 0
	.set _ZN7rocprim17ROCPRIM_400000_NS6detail17trampoline_kernelINS0_14default_configENS1_25partition_config_selectorILNS1_17partition_subalgoE6EiNS0_10empty_typeEbEEZZNS1_14partition_implILS5_6ELb0ES3_mN6thrust23THRUST_200600_302600_NS6detail15normal_iteratorINSA_10device_ptrIiEEEEPS6_SG_NS0_5tupleIJNSA_16discard_iteratorINSA_11use_defaultEEES6_EEENSH_IJSG_SG_EEES6_PlJNSB_9not_fun_tINSB_14equal_to_valueIiEEEEEEE10hipError_tPvRmT3_T4_T5_T6_T7_T9_mT8_P12ihipStream_tbDpT10_ENKUlT_T0_E_clISt17integral_constantIbLb0EES1A_IbLb1EEEEDaS16_S17_EUlS16_E_NS1_11comp_targetILNS1_3genE4ELNS1_11target_archE910ELNS1_3gpuE8ELNS1_3repE0EEENS1_30default_config_static_selectorELNS0_4arch9wavefront6targetE0EEEvT1_.uses_vcc, 0
	.set _ZN7rocprim17ROCPRIM_400000_NS6detail17trampoline_kernelINS0_14default_configENS1_25partition_config_selectorILNS1_17partition_subalgoE6EiNS0_10empty_typeEbEEZZNS1_14partition_implILS5_6ELb0ES3_mN6thrust23THRUST_200600_302600_NS6detail15normal_iteratorINSA_10device_ptrIiEEEEPS6_SG_NS0_5tupleIJNSA_16discard_iteratorINSA_11use_defaultEEES6_EEENSH_IJSG_SG_EEES6_PlJNSB_9not_fun_tINSB_14equal_to_valueIiEEEEEEE10hipError_tPvRmT3_T4_T5_T6_T7_T9_mT8_P12ihipStream_tbDpT10_ENKUlT_T0_E_clISt17integral_constantIbLb0EES1A_IbLb1EEEEDaS16_S17_EUlS16_E_NS1_11comp_targetILNS1_3genE4ELNS1_11target_archE910ELNS1_3gpuE8ELNS1_3repE0EEENS1_30default_config_static_selectorELNS0_4arch9wavefront6targetE0EEEvT1_.uses_flat_scratch, 0
	.set _ZN7rocprim17ROCPRIM_400000_NS6detail17trampoline_kernelINS0_14default_configENS1_25partition_config_selectorILNS1_17partition_subalgoE6EiNS0_10empty_typeEbEEZZNS1_14partition_implILS5_6ELb0ES3_mN6thrust23THRUST_200600_302600_NS6detail15normal_iteratorINSA_10device_ptrIiEEEEPS6_SG_NS0_5tupleIJNSA_16discard_iteratorINSA_11use_defaultEEES6_EEENSH_IJSG_SG_EEES6_PlJNSB_9not_fun_tINSB_14equal_to_valueIiEEEEEEE10hipError_tPvRmT3_T4_T5_T6_T7_T9_mT8_P12ihipStream_tbDpT10_ENKUlT_T0_E_clISt17integral_constantIbLb0EES1A_IbLb1EEEEDaS16_S17_EUlS16_E_NS1_11comp_targetILNS1_3genE4ELNS1_11target_archE910ELNS1_3gpuE8ELNS1_3repE0EEENS1_30default_config_static_selectorELNS0_4arch9wavefront6targetE0EEEvT1_.has_dyn_sized_stack, 0
	.set _ZN7rocprim17ROCPRIM_400000_NS6detail17trampoline_kernelINS0_14default_configENS1_25partition_config_selectorILNS1_17partition_subalgoE6EiNS0_10empty_typeEbEEZZNS1_14partition_implILS5_6ELb0ES3_mN6thrust23THRUST_200600_302600_NS6detail15normal_iteratorINSA_10device_ptrIiEEEEPS6_SG_NS0_5tupleIJNSA_16discard_iteratorINSA_11use_defaultEEES6_EEENSH_IJSG_SG_EEES6_PlJNSB_9not_fun_tINSB_14equal_to_valueIiEEEEEEE10hipError_tPvRmT3_T4_T5_T6_T7_T9_mT8_P12ihipStream_tbDpT10_ENKUlT_T0_E_clISt17integral_constantIbLb0EES1A_IbLb1EEEEDaS16_S17_EUlS16_E_NS1_11comp_targetILNS1_3genE4ELNS1_11target_archE910ELNS1_3gpuE8ELNS1_3repE0EEENS1_30default_config_static_selectorELNS0_4arch9wavefront6targetE0EEEvT1_.has_recursion, 0
	.set _ZN7rocprim17ROCPRIM_400000_NS6detail17trampoline_kernelINS0_14default_configENS1_25partition_config_selectorILNS1_17partition_subalgoE6EiNS0_10empty_typeEbEEZZNS1_14partition_implILS5_6ELb0ES3_mN6thrust23THRUST_200600_302600_NS6detail15normal_iteratorINSA_10device_ptrIiEEEEPS6_SG_NS0_5tupleIJNSA_16discard_iteratorINSA_11use_defaultEEES6_EEENSH_IJSG_SG_EEES6_PlJNSB_9not_fun_tINSB_14equal_to_valueIiEEEEEEE10hipError_tPvRmT3_T4_T5_T6_T7_T9_mT8_P12ihipStream_tbDpT10_ENKUlT_T0_E_clISt17integral_constantIbLb0EES1A_IbLb1EEEEDaS16_S17_EUlS16_E_NS1_11comp_targetILNS1_3genE4ELNS1_11target_archE910ELNS1_3gpuE8ELNS1_3repE0EEENS1_30default_config_static_selectorELNS0_4arch9wavefront6targetE0EEEvT1_.has_indirect_call, 0
	.section	.AMDGPU.csdata,"",@progbits
; Kernel info:
; codeLenInByte = 0
; TotalNumSgprs: 0
; NumVgprs: 0
; ScratchSize: 0
; MemoryBound: 0
; FloatMode: 240
; IeeeMode: 1
; LDSByteSize: 0 bytes/workgroup (compile time only)
; SGPRBlocks: 0
; VGPRBlocks: 0
; NumSGPRsForWavesPerEU: 1
; NumVGPRsForWavesPerEU: 1
; Occupancy: 16
; WaveLimiterHint : 0
; COMPUTE_PGM_RSRC2:SCRATCH_EN: 0
; COMPUTE_PGM_RSRC2:USER_SGPR: 2
; COMPUTE_PGM_RSRC2:TRAP_HANDLER: 0
; COMPUTE_PGM_RSRC2:TGID_X_EN: 1
; COMPUTE_PGM_RSRC2:TGID_Y_EN: 0
; COMPUTE_PGM_RSRC2:TGID_Z_EN: 0
; COMPUTE_PGM_RSRC2:TIDIG_COMP_CNT: 0
	.section	.text._ZN7rocprim17ROCPRIM_400000_NS6detail17trampoline_kernelINS0_14default_configENS1_25partition_config_selectorILNS1_17partition_subalgoE6EiNS0_10empty_typeEbEEZZNS1_14partition_implILS5_6ELb0ES3_mN6thrust23THRUST_200600_302600_NS6detail15normal_iteratorINSA_10device_ptrIiEEEEPS6_SG_NS0_5tupleIJNSA_16discard_iteratorINSA_11use_defaultEEES6_EEENSH_IJSG_SG_EEES6_PlJNSB_9not_fun_tINSB_14equal_to_valueIiEEEEEEE10hipError_tPvRmT3_T4_T5_T6_T7_T9_mT8_P12ihipStream_tbDpT10_ENKUlT_T0_E_clISt17integral_constantIbLb0EES1A_IbLb1EEEEDaS16_S17_EUlS16_E_NS1_11comp_targetILNS1_3genE3ELNS1_11target_archE908ELNS1_3gpuE7ELNS1_3repE0EEENS1_30default_config_static_selectorELNS0_4arch9wavefront6targetE0EEEvT1_,"axG",@progbits,_ZN7rocprim17ROCPRIM_400000_NS6detail17trampoline_kernelINS0_14default_configENS1_25partition_config_selectorILNS1_17partition_subalgoE6EiNS0_10empty_typeEbEEZZNS1_14partition_implILS5_6ELb0ES3_mN6thrust23THRUST_200600_302600_NS6detail15normal_iteratorINSA_10device_ptrIiEEEEPS6_SG_NS0_5tupleIJNSA_16discard_iteratorINSA_11use_defaultEEES6_EEENSH_IJSG_SG_EEES6_PlJNSB_9not_fun_tINSB_14equal_to_valueIiEEEEEEE10hipError_tPvRmT3_T4_T5_T6_T7_T9_mT8_P12ihipStream_tbDpT10_ENKUlT_T0_E_clISt17integral_constantIbLb0EES1A_IbLb1EEEEDaS16_S17_EUlS16_E_NS1_11comp_targetILNS1_3genE3ELNS1_11target_archE908ELNS1_3gpuE7ELNS1_3repE0EEENS1_30default_config_static_selectorELNS0_4arch9wavefront6targetE0EEEvT1_,comdat
	.protected	_ZN7rocprim17ROCPRIM_400000_NS6detail17trampoline_kernelINS0_14default_configENS1_25partition_config_selectorILNS1_17partition_subalgoE6EiNS0_10empty_typeEbEEZZNS1_14partition_implILS5_6ELb0ES3_mN6thrust23THRUST_200600_302600_NS6detail15normal_iteratorINSA_10device_ptrIiEEEEPS6_SG_NS0_5tupleIJNSA_16discard_iteratorINSA_11use_defaultEEES6_EEENSH_IJSG_SG_EEES6_PlJNSB_9not_fun_tINSB_14equal_to_valueIiEEEEEEE10hipError_tPvRmT3_T4_T5_T6_T7_T9_mT8_P12ihipStream_tbDpT10_ENKUlT_T0_E_clISt17integral_constantIbLb0EES1A_IbLb1EEEEDaS16_S17_EUlS16_E_NS1_11comp_targetILNS1_3genE3ELNS1_11target_archE908ELNS1_3gpuE7ELNS1_3repE0EEENS1_30default_config_static_selectorELNS0_4arch9wavefront6targetE0EEEvT1_ ; -- Begin function _ZN7rocprim17ROCPRIM_400000_NS6detail17trampoline_kernelINS0_14default_configENS1_25partition_config_selectorILNS1_17partition_subalgoE6EiNS0_10empty_typeEbEEZZNS1_14partition_implILS5_6ELb0ES3_mN6thrust23THRUST_200600_302600_NS6detail15normal_iteratorINSA_10device_ptrIiEEEEPS6_SG_NS0_5tupleIJNSA_16discard_iteratorINSA_11use_defaultEEES6_EEENSH_IJSG_SG_EEES6_PlJNSB_9not_fun_tINSB_14equal_to_valueIiEEEEEEE10hipError_tPvRmT3_T4_T5_T6_T7_T9_mT8_P12ihipStream_tbDpT10_ENKUlT_T0_E_clISt17integral_constantIbLb0EES1A_IbLb1EEEEDaS16_S17_EUlS16_E_NS1_11comp_targetILNS1_3genE3ELNS1_11target_archE908ELNS1_3gpuE7ELNS1_3repE0EEENS1_30default_config_static_selectorELNS0_4arch9wavefront6targetE0EEEvT1_
	.globl	_ZN7rocprim17ROCPRIM_400000_NS6detail17trampoline_kernelINS0_14default_configENS1_25partition_config_selectorILNS1_17partition_subalgoE6EiNS0_10empty_typeEbEEZZNS1_14partition_implILS5_6ELb0ES3_mN6thrust23THRUST_200600_302600_NS6detail15normal_iteratorINSA_10device_ptrIiEEEEPS6_SG_NS0_5tupleIJNSA_16discard_iteratorINSA_11use_defaultEEES6_EEENSH_IJSG_SG_EEES6_PlJNSB_9not_fun_tINSB_14equal_to_valueIiEEEEEEE10hipError_tPvRmT3_T4_T5_T6_T7_T9_mT8_P12ihipStream_tbDpT10_ENKUlT_T0_E_clISt17integral_constantIbLb0EES1A_IbLb1EEEEDaS16_S17_EUlS16_E_NS1_11comp_targetILNS1_3genE3ELNS1_11target_archE908ELNS1_3gpuE7ELNS1_3repE0EEENS1_30default_config_static_selectorELNS0_4arch9wavefront6targetE0EEEvT1_
	.p2align	8
	.type	_ZN7rocprim17ROCPRIM_400000_NS6detail17trampoline_kernelINS0_14default_configENS1_25partition_config_selectorILNS1_17partition_subalgoE6EiNS0_10empty_typeEbEEZZNS1_14partition_implILS5_6ELb0ES3_mN6thrust23THRUST_200600_302600_NS6detail15normal_iteratorINSA_10device_ptrIiEEEEPS6_SG_NS0_5tupleIJNSA_16discard_iteratorINSA_11use_defaultEEES6_EEENSH_IJSG_SG_EEES6_PlJNSB_9not_fun_tINSB_14equal_to_valueIiEEEEEEE10hipError_tPvRmT3_T4_T5_T6_T7_T9_mT8_P12ihipStream_tbDpT10_ENKUlT_T0_E_clISt17integral_constantIbLb0EES1A_IbLb1EEEEDaS16_S17_EUlS16_E_NS1_11comp_targetILNS1_3genE3ELNS1_11target_archE908ELNS1_3gpuE7ELNS1_3repE0EEENS1_30default_config_static_selectorELNS0_4arch9wavefront6targetE0EEEvT1_,@function
_ZN7rocprim17ROCPRIM_400000_NS6detail17trampoline_kernelINS0_14default_configENS1_25partition_config_selectorILNS1_17partition_subalgoE6EiNS0_10empty_typeEbEEZZNS1_14partition_implILS5_6ELb0ES3_mN6thrust23THRUST_200600_302600_NS6detail15normal_iteratorINSA_10device_ptrIiEEEEPS6_SG_NS0_5tupleIJNSA_16discard_iteratorINSA_11use_defaultEEES6_EEENSH_IJSG_SG_EEES6_PlJNSB_9not_fun_tINSB_14equal_to_valueIiEEEEEEE10hipError_tPvRmT3_T4_T5_T6_T7_T9_mT8_P12ihipStream_tbDpT10_ENKUlT_T0_E_clISt17integral_constantIbLb0EES1A_IbLb1EEEEDaS16_S17_EUlS16_E_NS1_11comp_targetILNS1_3genE3ELNS1_11target_archE908ELNS1_3gpuE7ELNS1_3repE0EEENS1_30default_config_static_selectorELNS0_4arch9wavefront6targetE0EEEvT1_: ; @_ZN7rocprim17ROCPRIM_400000_NS6detail17trampoline_kernelINS0_14default_configENS1_25partition_config_selectorILNS1_17partition_subalgoE6EiNS0_10empty_typeEbEEZZNS1_14partition_implILS5_6ELb0ES3_mN6thrust23THRUST_200600_302600_NS6detail15normal_iteratorINSA_10device_ptrIiEEEEPS6_SG_NS0_5tupleIJNSA_16discard_iteratorINSA_11use_defaultEEES6_EEENSH_IJSG_SG_EEES6_PlJNSB_9not_fun_tINSB_14equal_to_valueIiEEEEEEE10hipError_tPvRmT3_T4_T5_T6_T7_T9_mT8_P12ihipStream_tbDpT10_ENKUlT_T0_E_clISt17integral_constantIbLb0EES1A_IbLb1EEEEDaS16_S17_EUlS16_E_NS1_11comp_targetILNS1_3genE3ELNS1_11target_archE908ELNS1_3gpuE7ELNS1_3repE0EEENS1_30default_config_static_selectorELNS0_4arch9wavefront6targetE0EEEvT1_
; %bb.0:
	.section	.rodata,"a",@progbits
	.p2align	6, 0x0
	.amdhsa_kernel _ZN7rocprim17ROCPRIM_400000_NS6detail17trampoline_kernelINS0_14default_configENS1_25partition_config_selectorILNS1_17partition_subalgoE6EiNS0_10empty_typeEbEEZZNS1_14partition_implILS5_6ELb0ES3_mN6thrust23THRUST_200600_302600_NS6detail15normal_iteratorINSA_10device_ptrIiEEEEPS6_SG_NS0_5tupleIJNSA_16discard_iteratorINSA_11use_defaultEEES6_EEENSH_IJSG_SG_EEES6_PlJNSB_9not_fun_tINSB_14equal_to_valueIiEEEEEEE10hipError_tPvRmT3_T4_T5_T6_T7_T9_mT8_P12ihipStream_tbDpT10_ENKUlT_T0_E_clISt17integral_constantIbLb0EES1A_IbLb1EEEEDaS16_S17_EUlS16_E_NS1_11comp_targetILNS1_3genE3ELNS1_11target_archE908ELNS1_3gpuE7ELNS1_3repE0EEENS1_30default_config_static_selectorELNS0_4arch9wavefront6targetE0EEEvT1_
		.amdhsa_group_segment_fixed_size 0
		.amdhsa_private_segment_fixed_size 0
		.amdhsa_kernarg_size 136
		.amdhsa_user_sgpr_count 2
		.amdhsa_user_sgpr_dispatch_ptr 0
		.amdhsa_user_sgpr_queue_ptr 0
		.amdhsa_user_sgpr_kernarg_segment_ptr 1
		.amdhsa_user_sgpr_dispatch_id 0
		.amdhsa_user_sgpr_private_segment_size 0
		.amdhsa_wavefront_size32 1
		.amdhsa_uses_dynamic_stack 0
		.amdhsa_enable_private_segment 0
		.amdhsa_system_sgpr_workgroup_id_x 1
		.amdhsa_system_sgpr_workgroup_id_y 0
		.amdhsa_system_sgpr_workgroup_id_z 0
		.amdhsa_system_sgpr_workgroup_info 0
		.amdhsa_system_vgpr_workitem_id 0
		.amdhsa_next_free_vgpr 1
		.amdhsa_next_free_sgpr 1
		.amdhsa_reserve_vcc 0
		.amdhsa_float_round_mode_32 0
		.amdhsa_float_round_mode_16_64 0
		.amdhsa_float_denorm_mode_32 3
		.amdhsa_float_denorm_mode_16_64 3
		.amdhsa_fp16_overflow 0
		.amdhsa_workgroup_processor_mode 1
		.amdhsa_memory_ordered 1
		.amdhsa_forward_progress 1
		.amdhsa_inst_pref_size 0
		.amdhsa_round_robin_scheduling 0
		.amdhsa_exception_fp_ieee_invalid_op 0
		.amdhsa_exception_fp_denorm_src 0
		.amdhsa_exception_fp_ieee_div_zero 0
		.amdhsa_exception_fp_ieee_overflow 0
		.amdhsa_exception_fp_ieee_underflow 0
		.amdhsa_exception_fp_ieee_inexact 0
		.amdhsa_exception_int_div_zero 0
	.end_amdhsa_kernel
	.section	.text._ZN7rocprim17ROCPRIM_400000_NS6detail17trampoline_kernelINS0_14default_configENS1_25partition_config_selectorILNS1_17partition_subalgoE6EiNS0_10empty_typeEbEEZZNS1_14partition_implILS5_6ELb0ES3_mN6thrust23THRUST_200600_302600_NS6detail15normal_iteratorINSA_10device_ptrIiEEEEPS6_SG_NS0_5tupleIJNSA_16discard_iteratorINSA_11use_defaultEEES6_EEENSH_IJSG_SG_EEES6_PlJNSB_9not_fun_tINSB_14equal_to_valueIiEEEEEEE10hipError_tPvRmT3_T4_T5_T6_T7_T9_mT8_P12ihipStream_tbDpT10_ENKUlT_T0_E_clISt17integral_constantIbLb0EES1A_IbLb1EEEEDaS16_S17_EUlS16_E_NS1_11comp_targetILNS1_3genE3ELNS1_11target_archE908ELNS1_3gpuE7ELNS1_3repE0EEENS1_30default_config_static_selectorELNS0_4arch9wavefront6targetE0EEEvT1_,"axG",@progbits,_ZN7rocprim17ROCPRIM_400000_NS6detail17trampoline_kernelINS0_14default_configENS1_25partition_config_selectorILNS1_17partition_subalgoE6EiNS0_10empty_typeEbEEZZNS1_14partition_implILS5_6ELb0ES3_mN6thrust23THRUST_200600_302600_NS6detail15normal_iteratorINSA_10device_ptrIiEEEEPS6_SG_NS0_5tupleIJNSA_16discard_iteratorINSA_11use_defaultEEES6_EEENSH_IJSG_SG_EEES6_PlJNSB_9not_fun_tINSB_14equal_to_valueIiEEEEEEE10hipError_tPvRmT3_T4_T5_T6_T7_T9_mT8_P12ihipStream_tbDpT10_ENKUlT_T0_E_clISt17integral_constantIbLb0EES1A_IbLb1EEEEDaS16_S17_EUlS16_E_NS1_11comp_targetILNS1_3genE3ELNS1_11target_archE908ELNS1_3gpuE7ELNS1_3repE0EEENS1_30default_config_static_selectorELNS0_4arch9wavefront6targetE0EEEvT1_,comdat
.Lfunc_end1784:
	.size	_ZN7rocprim17ROCPRIM_400000_NS6detail17trampoline_kernelINS0_14default_configENS1_25partition_config_selectorILNS1_17partition_subalgoE6EiNS0_10empty_typeEbEEZZNS1_14partition_implILS5_6ELb0ES3_mN6thrust23THRUST_200600_302600_NS6detail15normal_iteratorINSA_10device_ptrIiEEEEPS6_SG_NS0_5tupleIJNSA_16discard_iteratorINSA_11use_defaultEEES6_EEENSH_IJSG_SG_EEES6_PlJNSB_9not_fun_tINSB_14equal_to_valueIiEEEEEEE10hipError_tPvRmT3_T4_T5_T6_T7_T9_mT8_P12ihipStream_tbDpT10_ENKUlT_T0_E_clISt17integral_constantIbLb0EES1A_IbLb1EEEEDaS16_S17_EUlS16_E_NS1_11comp_targetILNS1_3genE3ELNS1_11target_archE908ELNS1_3gpuE7ELNS1_3repE0EEENS1_30default_config_static_selectorELNS0_4arch9wavefront6targetE0EEEvT1_, .Lfunc_end1784-_ZN7rocprim17ROCPRIM_400000_NS6detail17trampoline_kernelINS0_14default_configENS1_25partition_config_selectorILNS1_17partition_subalgoE6EiNS0_10empty_typeEbEEZZNS1_14partition_implILS5_6ELb0ES3_mN6thrust23THRUST_200600_302600_NS6detail15normal_iteratorINSA_10device_ptrIiEEEEPS6_SG_NS0_5tupleIJNSA_16discard_iteratorINSA_11use_defaultEEES6_EEENSH_IJSG_SG_EEES6_PlJNSB_9not_fun_tINSB_14equal_to_valueIiEEEEEEE10hipError_tPvRmT3_T4_T5_T6_T7_T9_mT8_P12ihipStream_tbDpT10_ENKUlT_T0_E_clISt17integral_constantIbLb0EES1A_IbLb1EEEEDaS16_S17_EUlS16_E_NS1_11comp_targetILNS1_3genE3ELNS1_11target_archE908ELNS1_3gpuE7ELNS1_3repE0EEENS1_30default_config_static_selectorELNS0_4arch9wavefront6targetE0EEEvT1_
                                        ; -- End function
	.set _ZN7rocprim17ROCPRIM_400000_NS6detail17trampoline_kernelINS0_14default_configENS1_25partition_config_selectorILNS1_17partition_subalgoE6EiNS0_10empty_typeEbEEZZNS1_14partition_implILS5_6ELb0ES3_mN6thrust23THRUST_200600_302600_NS6detail15normal_iteratorINSA_10device_ptrIiEEEEPS6_SG_NS0_5tupleIJNSA_16discard_iteratorINSA_11use_defaultEEES6_EEENSH_IJSG_SG_EEES6_PlJNSB_9not_fun_tINSB_14equal_to_valueIiEEEEEEE10hipError_tPvRmT3_T4_T5_T6_T7_T9_mT8_P12ihipStream_tbDpT10_ENKUlT_T0_E_clISt17integral_constantIbLb0EES1A_IbLb1EEEEDaS16_S17_EUlS16_E_NS1_11comp_targetILNS1_3genE3ELNS1_11target_archE908ELNS1_3gpuE7ELNS1_3repE0EEENS1_30default_config_static_selectorELNS0_4arch9wavefront6targetE0EEEvT1_.num_vgpr, 0
	.set _ZN7rocprim17ROCPRIM_400000_NS6detail17trampoline_kernelINS0_14default_configENS1_25partition_config_selectorILNS1_17partition_subalgoE6EiNS0_10empty_typeEbEEZZNS1_14partition_implILS5_6ELb0ES3_mN6thrust23THRUST_200600_302600_NS6detail15normal_iteratorINSA_10device_ptrIiEEEEPS6_SG_NS0_5tupleIJNSA_16discard_iteratorINSA_11use_defaultEEES6_EEENSH_IJSG_SG_EEES6_PlJNSB_9not_fun_tINSB_14equal_to_valueIiEEEEEEE10hipError_tPvRmT3_T4_T5_T6_T7_T9_mT8_P12ihipStream_tbDpT10_ENKUlT_T0_E_clISt17integral_constantIbLb0EES1A_IbLb1EEEEDaS16_S17_EUlS16_E_NS1_11comp_targetILNS1_3genE3ELNS1_11target_archE908ELNS1_3gpuE7ELNS1_3repE0EEENS1_30default_config_static_selectorELNS0_4arch9wavefront6targetE0EEEvT1_.num_agpr, 0
	.set _ZN7rocprim17ROCPRIM_400000_NS6detail17trampoline_kernelINS0_14default_configENS1_25partition_config_selectorILNS1_17partition_subalgoE6EiNS0_10empty_typeEbEEZZNS1_14partition_implILS5_6ELb0ES3_mN6thrust23THRUST_200600_302600_NS6detail15normal_iteratorINSA_10device_ptrIiEEEEPS6_SG_NS0_5tupleIJNSA_16discard_iteratorINSA_11use_defaultEEES6_EEENSH_IJSG_SG_EEES6_PlJNSB_9not_fun_tINSB_14equal_to_valueIiEEEEEEE10hipError_tPvRmT3_T4_T5_T6_T7_T9_mT8_P12ihipStream_tbDpT10_ENKUlT_T0_E_clISt17integral_constantIbLb0EES1A_IbLb1EEEEDaS16_S17_EUlS16_E_NS1_11comp_targetILNS1_3genE3ELNS1_11target_archE908ELNS1_3gpuE7ELNS1_3repE0EEENS1_30default_config_static_selectorELNS0_4arch9wavefront6targetE0EEEvT1_.numbered_sgpr, 0
	.set _ZN7rocprim17ROCPRIM_400000_NS6detail17trampoline_kernelINS0_14default_configENS1_25partition_config_selectorILNS1_17partition_subalgoE6EiNS0_10empty_typeEbEEZZNS1_14partition_implILS5_6ELb0ES3_mN6thrust23THRUST_200600_302600_NS6detail15normal_iteratorINSA_10device_ptrIiEEEEPS6_SG_NS0_5tupleIJNSA_16discard_iteratorINSA_11use_defaultEEES6_EEENSH_IJSG_SG_EEES6_PlJNSB_9not_fun_tINSB_14equal_to_valueIiEEEEEEE10hipError_tPvRmT3_T4_T5_T6_T7_T9_mT8_P12ihipStream_tbDpT10_ENKUlT_T0_E_clISt17integral_constantIbLb0EES1A_IbLb1EEEEDaS16_S17_EUlS16_E_NS1_11comp_targetILNS1_3genE3ELNS1_11target_archE908ELNS1_3gpuE7ELNS1_3repE0EEENS1_30default_config_static_selectorELNS0_4arch9wavefront6targetE0EEEvT1_.num_named_barrier, 0
	.set _ZN7rocprim17ROCPRIM_400000_NS6detail17trampoline_kernelINS0_14default_configENS1_25partition_config_selectorILNS1_17partition_subalgoE6EiNS0_10empty_typeEbEEZZNS1_14partition_implILS5_6ELb0ES3_mN6thrust23THRUST_200600_302600_NS6detail15normal_iteratorINSA_10device_ptrIiEEEEPS6_SG_NS0_5tupleIJNSA_16discard_iteratorINSA_11use_defaultEEES6_EEENSH_IJSG_SG_EEES6_PlJNSB_9not_fun_tINSB_14equal_to_valueIiEEEEEEE10hipError_tPvRmT3_T4_T5_T6_T7_T9_mT8_P12ihipStream_tbDpT10_ENKUlT_T0_E_clISt17integral_constantIbLb0EES1A_IbLb1EEEEDaS16_S17_EUlS16_E_NS1_11comp_targetILNS1_3genE3ELNS1_11target_archE908ELNS1_3gpuE7ELNS1_3repE0EEENS1_30default_config_static_selectorELNS0_4arch9wavefront6targetE0EEEvT1_.private_seg_size, 0
	.set _ZN7rocprim17ROCPRIM_400000_NS6detail17trampoline_kernelINS0_14default_configENS1_25partition_config_selectorILNS1_17partition_subalgoE6EiNS0_10empty_typeEbEEZZNS1_14partition_implILS5_6ELb0ES3_mN6thrust23THRUST_200600_302600_NS6detail15normal_iteratorINSA_10device_ptrIiEEEEPS6_SG_NS0_5tupleIJNSA_16discard_iteratorINSA_11use_defaultEEES6_EEENSH_IJSG_SG_EEES6_PlJNSB_9not_fun_tINSB_14equal_to_valueIiEEEEEEE10hipError_tPvRmT3_T4_T5_T6_T7_T9_mT8_P12ihipStream_tbDpT10_ENKUlT_T0_E_clISt17integral_constantIbLb0EES1A_IbLb1EEEEDaS16_S17_EUlS16_E_NS1_11comp_targetILNS1_3genE3ELNS1_11target_archE908ELNS1_3gpuE7ELNS1_3repE0EEENS1_30default_config_static_selectorELNS0_4arch9wavefront6targetE0EEEvT1_.uses_vcc, 0
	.set _ZN7rocprim17ROCPRIM_400000_NS6detail17trampoline_kernelINS0_14default_configENS1_25partition_config_selectorILNS1_17partition_subalgoE6EiNS0_10empty_typeEbEEZZNS1_14partition_implILS5_6ELb0ES3_mN6thrust23THRUST_200600_302600_NS6detail15normal_iteratorINSA_10device_ptrIiEEEEPS6_SG_NS0_5tupleIJNSA_16discard_iteratorINSA_11use_defaultEEES6_EEENSH_IJSG_SG_EEES6_PlJNSB_9not_fun_tINSB_14equal_to_valueIiEEEEEEE10hipError_tPvRmT3_T4_T5_T6_T7_T9_mT8_P12ihipStream_tbDpT10_ENKUlT_T0_E_clISt17integral_constantIbLb0EES1A_IbLb1EEEEDaS16_S17_EUlS16_E_NS1_11comp_targetILNS1_3genE3ELNS1_11target_archE908ELNS1_3gpuE7ELNS1_3repE0EEENS1_30default_config_static_selectorELNS0_4arch9wavefront6targetE0EEEvT1_.uses_flat_scratch, 0
	.set _ZN7rocprim17ROCPRIM_400000_NS6detail17trampoline_kernelINS0_14default_configENS1_25partition_config_selectorILNS1_17partition_subalgoE6EiNS0_10empty_typeEbEEZZNS1_14partition_implILS5_6ELb0ES3_mN6thrust23THRUST_200600_302600_NS6detail15normal_iteratorINSA_10device_ptrIiEEEEPS6_SG_NS0_5tupleIJNSA_16discard_iteratorINSA_11use_defaultEEES6_EEENSH_IJSG_SG_EEES6_PlJNSB_9not_fun_tINSB_14equal_to_valueIiEEEEEEE10hipError_tPvRmT3_T4_T5_T6_T7_T9_mT8_P12ihipStream_tbDpT10_ENKUlT_T0_E_clISt17integral_constantIbLb0EES1A_IbLb1EEEEDaS16_S17_EUlS16_E_NS1_11comp_targetILNS1_3genE3ELNS1_11target_archE908ELNS1_3gpuE7ELNS1_3repE0EEENS1_30default_config_static_selectorELNS0_4arch9wavefront6targetE0EEEvT1_.has_dyn_sized_stack, 0
	.set _ZN7rocprim17ROCPRIM_400000_NS6detail17trampoline_kernelINS0_14default_configENS1_25partition_config_selectorILNS1_17partition_subalgoE6EiNS0_10empty_typeEbEEZZNS1_14partition_implILS5_6ELb0ES3_mN6thrust23THRUST_200600_302600_NS6detail15normal_iteratorINSA_10device_ptrIiEEEEPS6_SG_NS0_5tupleIJNSA_16discard_iteratorINSA_11use_defaultEEES6_EEENSH_IJSG_SG_EEES6_PlJNSB_9not_fun_tINSB_14equal_to_valueIiEEEEEEE10hipError_tPvRmT3_T4_T5_T6_T7_T9_mT8_P12ihipStream_tbDpT10_ENKUlT_T0_E_clISt17integral_constantIbLb0EES1A_IbLb1EEEEDaS16_S17_EUlS16_E_NS1_11comp_targetILNS1_3genE3ELNS1_11target_archE908ELNS1_3gpuE7ELNS1_3repE0EEENS1_30default_config_static_selectorELNS0_4arch9wavefront6targetE0EEEvT1_.has_recursion, 0
	.set _ZN7rocprim17ROCPRIM_400000_NS6detail17trampoline_kernelINS0_14default_configENS1_25partition_config_selectorILNS1_17partition_subalgoE6EiNS0_10empty_typeEbEEZZNS1_14partition_implILS5_6ELb0ES3_mN6thrust23THRUST_200600_302600_NS6detail15normal_iteratorINSA_10device_ptrIiEEEEPS6_SG_NS0_5tupleIJNSA_16discard_iteratorINSA_11use_defaultEEES6_EEENSH_IJSG_SG_EEES6_PlJNSB_9not_fun_tINSB_14equal_to_valueIiEEEEEEE10hipError_tPvRmT3_T4_T5_T6_T7_T9_mT8_P12ihipStream_tbDpT10_ENKUlT_T0_E_clISt17integral_constantIbLb0EES1A_IbLb1EEEEDaS16_S17_EUlS16_E_NS1_11comp_targetILNS1_3genE3ELNS1_11target_archE908ELNS1_3gpuE7ELNS1_3repE0EEENS1_30default_config_static_selectorELNS0_4arch9wavefront6targetE0EEEvT1_.has_indirect_call, 0
	.section	.AMDGPU.csdata,"",@progbits
; Kernel info:
; codeLenInByte = 0
; TotalNumSgprs: 0
; NumVgprs: 0
; ScratchSize: 0
; MemoryBound: 0
; FloatMode: 240
; IeeeMode: 1
; LDSByteSize: 0 bytes/workgroup (compile time only)
; SGPRBlocks: 0
; VGPRBlocks: 0
; NumSGPRsForWavesPerEU: 1
; NumVGPRsForWavesPerEU: 1
; Occupancy: 16
; WaveLimiterHint : 0
; COMPUTE_PGM_RSRC2:SCRATCH_EN: 0
; COMPUTE_PGM_RSRC2:USER_SGPR: 2
; COMPUTE_PGM_RSRC2:TRAP_HANDLER: 0
; COMPUTE_PGM_RSRC2:TGID_X_EN: 1
; COMPUTE_PGM_RSRC2:TGID_Y_EN: 0
; COMPUTE_PGM_RSRC2:TGID_Z_EN: 0
; COMPUTE_PGM_RSRC2:TIDIG_COMP_CNT: 0
	.section	.text._ZN7rocprim17ROCPRIM_400000_NS6detail17trampoline_kernelINS0_14default_configENS1_25partition_config_selectorILNS1_17partition_subalgoE6EiNS0_10empty_typeEbEEZZNS1_14partition_implILS5_6ELb0ES3_mN6thrust23THRUST_200600_302600_NS6detail15normal_iteratorINSA_10device_ptrIiEEEEPS6_SG_NS0_5tupleIJNSA_16discard_iteratorINSA_11use_defaultEEES6_EEENSH_IJSG_SG_EEES6_PlJNSB_9not_fun_tINSB_14equal_to_valueIiEEEEEEE10hipError_tPvRmT3_T4_T5_T6_T7_T9_mT8_P12ihipStream_tbDpT10_ENKUlT_T0_E_clISt17integral_constantIbLb0EES1A_IbLb1EEEEDaS16_S17_EUlS16_E_NS1_11comp_targetILNS1_3genE2ELNS1_11target_archE906ELNS1_3gpuE6ELNS1_3repE0EEENS1_30default_config_static_selectorELNS0_4arch9wavefront6targetE0EEEvT1_,"axG",@progbits,_ZN7rocprim17ROCPRIM_400000_NS6detail17trampoline_kernelINS0_14default_configENS1_25partition_config_selectorILNS1_17partition_subalgoE6EiNS0_10empty_typeEbEEZZNS1_14partition_implILS5_6ELb0ES3_mN6thrust23THRUST_200600_302600_NS6detail15normal_iteratorINSA_10device_ptrIiEEEEPS6_SG_NS0_5tupleIJNSA_16discard_iteratorINSA_11use_defaultEEES6_EEENSH_IJSG_SG_EEES6_PlJNSB_9not_fun_tINSB_14equal_to_valueIiEEEEEEE10hipError_tPvRmT3_T4_T5_T6_T7_T9_mT8_P12ihipStream_tbDpT10_ENKUlT_T0_E_clISt17integral_constantIbLb0EES1A_IbLb1EEEEDaS16_S17_EUlS16_E_NS1_11comp_targetILNS1_3genE2ELNS1_11target_archE906ELNS1_3gpuE6ELNS1_3repE0EEENS1_30default_config_static_selectorELNS0_4arch9wavefront6targetE0EEEvT1_,comdat
	.protected	_ZN7rocprim17ROCPRIM_400000_NS6detail17trampoline_kernelINS0_14default_configENS1_25partition_config_selectorILNS1_17partition_subalgoE6EiNS0_10empty_typeEbEEZZNS1_14partition_implILS5_6ELb0ES3_mN6thrust23THRUST_200600_302600_NS6detail15normal_iteratorINSA_10device_ptrIiEEEEPS6_SG_NS0_5tupleIJNSA_16discard_iteratorINSA_11use_defaultEEES6_EEENSH_IJSG_SG_EEES6_PlJNSB_9not_fun_tINSB_14equal_to_valueIiEEEEEEE10hipError_tPvRmT3_T4_T5_T6_T7_T9_mT8_P12ihipStream_tbDpT10_ENKUlT_T0_E_clISt17integral_constantIbLb0EES1A_IbLb1EEEEDaS16_S17_EUlS16_E_NS1_11comp_targetILNS1_3genE2ELNS1_11target_archE906ELNS1_3gpuE6ELNS1_3repE0EEENS1_30default_config_static_selectorELNS0_4arch9wavefront6targetE0EEEvT1_ ; -- Begin function _ZN7rocprim17ROCPRIM_400000_NS6detail17trampoline_kernelINS0_14default_configENS1_25partition_config_selectorILNS1_17partition_subalgoE6EiNS0_10empty_typeEbEEZZNS1_14partition_implILS5_6ELb0ES3_mN6thrust23THRUST_200600_302600_NS6detail15normal_iteratorINSA_10device_ptrIiEEEEPS6_SG_NS0_5tupleIJNSA_16discard_iteratorINSA_11use_defaultEEES6_EEENSH_IJSG_SG_EEES6_PlJNSB_9not_fun_tINSB_14equal_to_valueIiEEEEEEE10hipError_tPvRmT3_T4_T5_T6_T7_T9_mT8_P12ihipStream_tbDpT10_ENKUlT_T0_E_clISt17integral_constantIbLb0EES1A_IbLb1EEEEDaS16_S17_EUlS16_E_NS1_11comp_targetILNS1_3genE2ELNS1_11target_archE906ELNS1_3gpuE6ELNS1_3repE0EEENS1_30default_config_static_selectorELNS0_4arch9wavefront6targetE0EEEvT1_
	.globl	_ZN7rocprim17ROCPRIM_400000_NS6detail17trampoline_kernelINS0_14default_configENS1_25partition_config_selectorILNS1_17partition_subalgoE6EiNS0_10empty_typeEbEEZZNS1_14partition_implILS5_6ELb0ES3_mN6thrust23THRUST_200600_302600_NS6detail15normal_iteratorINSA_10device_ptrIiEEEEPS6_SG_NS0_5tupleIJNSA_16discard_iteratorINSA_11use_defaultEEES6_EEENSH_IJSG_SG_EEES6_PlJNSB_9not_fun_tINSB_14equal_to_valueIiEEEEEEE10hipError_tPvRmT3_T4_T5_T6_T7_T9_mT8_P12ihipStream_tbDpT10_ENKUlT_T0_E_clISt17integral_constantIbLb0EES1A_IbLb1EEEEDaS16_S17_EUlS16_E_NS1_11comp_targetILNS1_3genE2ELNS1_11target_archE906ELNS1_3gpuE6ELNS1_3repE0EEENS1_30default_config_static_selectorELNS0_4arch9wavefront6targetE0EEEvT1_
	.p2align	8
	.type	_ZN7rocprim17ROCPRIM_400000_NS6detail17trampoline_kernelINS0_14default_configENS1_25partition_config_selectorILNS1_17partition_subalgoE6EiNS0_10empty_typeEbEEZZNS1_14partition_implILS5_6ELb0ES3_mN6thrust23THRUST_200600_302600_NS6detail15normal_iteratorINSA_10device_ptrIiEEEEPS6_SG_NS0_5tupleIJNSA_16discard_iteratorINSA_11use_defaultEEES6_EEENSH_IJSG_SG_EEES6_PlJNSB_9not_fun_tINSB_14equal_to_valueIiEEEEEEE10hipError_tPvRmT3_T4_T5_T6_T7_T9_mT8_P12ihipStream_tbDpT10_ENKUlT_T0_E_clISt17integral_constantIbLb0EES1A_IbLb1EEEEDaS16_S17_EUlS16_E_NS1_11comp_targetILNS1_3genE2ELNS1_11target_archE906ELNS1_3gpuE6ELNS1_3repE0EEENS1_30default_config_static_selectorELNS0_4arch9wavefront6targetE0EEEvT1_,@function
_ZN7rocprim17ROCPRIM_400000_NS6detail17trampoline_kernelINS0_14default_configENS1_25partition_config_selectorILNS1_17partition_subalgoE6EiNS0_10empty_typeEbEEZZNS1_14partition_implILS5_6ELb0ES3_mN6thrust23THRUST_200600_302600_NS6detail15normal_iteratorINSA_10device_ptrIiEEEEPS6_SG_NS0_5tupleIJNSA_16discard_iteratorINSA_11use_defaultEEES6_EEENSH_IJSG_SG_EEES6_PlJNSB_9not_fun_tINSB_14equal_to_valueIiEEEEEEE10hipError_tPvRmT3_T4_T5_T6_T7_T9_mT8_P12ihipStream_tbDpT10_ENKUlT_T0_E_clISt17integral_constantIbLb0EES1A_IbLb1EEEEDaS16_S17_EUlS16_E_NS1_11comp_targetILNS1_3genE2ELNS1_11target_archE906ELNS1_3gpuE6ELNS1_3repE0EEENS1_30default_config_static_selectorELNS0_4arch9wavefront6targetE0EEEvT1_: ; @_ZN7rocprim17ROCPRIM_400000_NS6detail17trampoline_kernelINS0_14default_configENS1_25partition_config_selectorILNS1_17partition_subalgoE6EiNS0_10empty_typeEbEEZZNS1_14partition_implILS5_6ELb0ES3_mN6thrust23THRUST_200600_302600_NS6detail15normal_iteratorINSA_10device_ptrIiEEEEPS6_SG_NS0_5tupleIJNSA_16discard_iteratorINSA_11use_defaultEEES6_EEENSH_IJSG_SG_EEES6_PlJNSB_9not_fun_tINSB_14equal_to_valueIiEEEEEEE10hipError_tPvRmT3_T4_T5_T6_T7_T9_mT8_P12ihipStream_tbDpT10_ENKUlT_T0_E_clISt17integral_constantIbLb0EES1A_IbLb1EEEEDaS16_S17_EUlS16_E_NS1_11comp_targetILNS1_3genE2ELNS1_11target_archE906ELNS1_3gpuE6ELNS1_3repE0EEENS1_30default_config_static_selectorELNS0_4arch9wavefront6targetE0EEEvT1_
; %bb.0:
	.section	.rodata,"a",@progbits
	.p2align	6, 0x0
	.amdhsa_kernel _ZN7rocprim17ROCPRIM_400000_NS6detail17trampoline_kernelINS0_14default_configENS1_25partition_config_selectorILNS1_17partition_subalgoE6EiNS0_10empty_typeEbEEZZNS1_14partition_implILS5_6ELb0ES3_mN6thrust23THRUST_200600_302600_NS6detail15normal_iteratorINSA_10device_ptrIiEEEEPS6_SG_NS0_5tupleIJNSA_16discard_iteratorINSA_11use_defaultEEES6_EEENSH_IJSG_SG_EEES6_PlJNSB_9not_fun_tINSB_14equal_to_valueIiEEEEEEE10hipError_tPvRmT3_T4_T5_T6_T7_T9_mT8_P12ihipStream_tbDpT10_ENKUlT_T0_E_clISt17integral_constantIbLb0EES1A_IbLb1EEEEDaS16_S17_EUlS16_E_NS1_11comp_targetILNS1_3genE2ELNS1_11target_archE906ELNS1_3gpuE6ELNS1_3repE0EEENS1_30default_config_static_selectorELNS0_4arch9wavefront6targetE0EEEvT1_
		.amdhsa_group_segment_fixed_size 0
		.amdhsa_private_segment_fixed_size 0
		.amdhsa_kernarg_size 136
		.amdhsa_user_sgpr_count 2
		.amdhsa_user_sgpr_dispatch_ptr 0
		.amdhsa_user_sgpr_queue_ptr 0
		.amdhsa_user_sgpr_kernarg_segment_ptr 1
		.amdhsa_user_sgpr_dispatch_id 0
		.amdhsa_user_sgpr_private_segment_size 0
		.amdhsa_wavefront_size32 1
		.amdhsa_uses_dynamic_stack 0
		.amdhsa_enable_private_segment 0
		.amdhsa_system_sgpr_workgroup_id_x 1
		.amdhsa_system_sgpr_workgroup_id_y 0
		.amdhsa_system_sgpr_workgroup_id_z 0
		.amdhsa_system_sgpr_workgroup_info 0
		.amdhsa_system_vgpr_workitem_id 0
		.amdhsa_next_free_vgpr 1
		.amdhsa_next_free_sgpr 1
		.amdhsa_reserve_vcc 0
		.amdhsa_float_round_mode_32 0
		.amdhsa_float_round_mode_16_64 0
		.amdhsa_float_denorm_mode_32 3
		.amdhsa_float_denorm_mode_16_64 3
		.amdhsa_fp16_overflow 0
		.amdhsa_workgroup_processor_mode 1
		.amdhsa_memory_ordered 1
		.amdhsa_forward_progress 1
		.amdhsa_inst_pref_size 0
		.amdhsa_round_robin_scheduling 0
		.amdhsa_exception_fp_ieee_invalid_op 0
		.amdhsa_exception_fp_denorm_src 0
		.amdhsa_exception_fp_ieee_div_zero 0
		.amdhsa_exception_fp_ieee_overflow 0
		.amdhsa_exception_fp_ieee_underflow 0
		.amdhsa_exception_fp_ieee_inexact 0
		.amdhsa_exception_int_div_zero 0
	.end_amdhsa_kernel
	.section	.text._ZN7rocprim17ROCPRIM_400000_NS6detail17trampoline_kernelINS0_14default_configENS1_25partition_config_selectorILNS1_17partition_subalgoE6EiNS0_10empty_typeEbEEZZNS1_14partition_implILS5_6ELb0ES3_mN6thrust23THRUST_200600_302600_NS6detail15normal_iteratorINSA_10device_ptrIiEEEEPS6_SG_NS0_5tupleIJNSA_16discard_iteratorINSA_11use_defaultEEES6_EEENSH_IJSG_SG_EEES6_PlJNSB_9not_fun_tINSB_14equal_to_valueIiEEEEEEE10hipError_tPvRmT3_T4_T5_T6_T7_T9_mT8_P12ihipStream_tbDpT10_ENKUlT_T0_E_clISt17integral_constantIbLb0EES1A_IbLb1EEEEDaS16_S17_EUlS16_E_NS1_11comp_targetILNS1_3genE2ELNS1_11target_archE906ELNS1_3gpuE6ELNS1_3repE0EEENS1_30default_config_static_selectorELNS0_4arch9wavefront6targetE0EEEvT1_,"axG",@progbits,_ZN7rocprim17ROCPRIM_400000_NS6detail17trampoline_kernelINS0_14default_configENS1_25partition_config_selectorILNS1_17partition_subalgoE6EiNS0_10empty_typeEbEEZZNS1_14partition_implILS5_6ELb0ES3_mN6thrust23THRUST_200600_302600_NS6detail15normal_iteratorINSA_10device_ptrIiEEEEPS6_SG_NS0_5tupleIJNSA_16discard_iteratorINSA_11use_defaultEEES6_EEENSH_IJSG_SG_EEES6_PlJNSB_9not_fun_tINSB_14equal_to_valueIiEEEEEEE10hipError_tPvRmT3_T4_T5_T6_T7_T9_mT8_P12ihipStream_tbDpT10_ENKUlT_T0_E_clISt17integral_constantIbLb0EES1A_IbLb1EEEEDaS16_S17_EUlS16_E_NS1_11comp_targetILNS1_3genE2ELNS1_11target_archE906ELNS1_3gpuE6ELNS1_3repE0EEENS1_30default_config_static_selectorELNS0_4arch9wavefront6targetE0EEEvT1_,comdat
.Lfunc_end1785:
	.size	_ZN7rocprim17ROCPRIM_400000_NS6detail17trampoline_kernelINS0_14default_configENS1_25partition_config_selectorILNS1_17partition_subalgoE6EiNS0_10empty_typeEbEEZZNS1_14partition_implILS5_6ELb0ES3_mN6thrust23THRUST_200600_302600_NS6detail15normal_iteratorINSA_10device_ptrIiEEEEPS6_SG_NS0_5tupleIJNSA_16discard_iteratorINSA_11use_defaultEEES6_EEENSH_IJSG_SG_EEES6_PlJNSB_9not_fun_tINSB_14equal_to_valueIiEEEEEEE10hipError_tPvRmT3_T4_T5_T6_T7_T9_mT8_P12ihipStream_tbDpT10_ENKUlT_T0_E_clISt17integral_constantIbLb0EES1A_IbLb1EEEEDaS16_S17_EUlS16_E_NS1_11comp_targetILNS1_3genE2ELNS1_11target_archE906ELNS1_3gpuE6ELNS1_3repE0EEENS1_30default_config_static_selectorELNS0_4arch9wavefront6targetE0EEEvT1_, .Lfunc_end1785-_ZN7rocprim17ROCPRIM_400000_NS6detail17trampoline_kernelINS0_14default_configENS1_25partition_config_selectorILNS1_17partition_subalgoE6EiNS0_10empty_typeEbEEZZNS1_14partition_implILS5_6ELb0ES3_mN6thrust23THRUST_200600_302600_NS6detail15normal_iteratorINSA_10device_ptrIiEEEEPS6_SG_NS0_5tupleIJNSA_16discard_iteratorINSA_11use_defaultEEES6_EEENSH_IJSG_SG_EEES6_PlJNSB_9not_fun_tINSB_14equal_to_valueIiEEEEEEE10hipError_tPvRmT3_T4_T5_T6_T7_T9_mT8_P12ihipStream_tbDpT10_ENKUlT_T0_E_clISt17integral_constantIbLb0EES1A_IbLb1EEEEDaS16_S17_EUlS16_E_NS1_11comp_targetILNS1_3genE2ELNS1_11target_archE906ELNS1_3gpuE6ELNS1_3repE0EEENS1_30default_config_static_selectorELNS0_4arch9wavefront6targetE0EEEvT1_
                                        ; -- End function
	.set _ZN7rocprim17ROCPRIM_400000_NS6detail17trampoline_kernelINS0_14default_configENS1_25partition_config_selectorILNS1_17partition_subalgoE6EiNS0_10empty_typeEbEEZZNS1_14partition_implILS5_6ELb0ES3_mN6thrust23THRUST_200600_302600_NS6detail15normal_iteratorINSA_10device_ptrIiEEEEPS6_SG_NS0_5tupleIJNSA_16discard_iteratorINSA_11use_defaultEEES6_EEENSH_IJSG_SG_EEES6_PlJNSB_9not_fun_tINSB_14equal_to_valueIiEEEEEEE10hipError_tPvRmT3_T4_T5_T6_T7_T9_mT8_P12ihipStream_tbDpT10_ENKUlT_T0_E_clISt17integral_constantIbLb0EES1A_IbLb1EEEEDaS16_S17_EUlS16_E_NS1_11comp_targetILNS1_3genE2ELNS1_11target_archE906ELNS1_3gpuE6ELNS1_3repE0EEENS1_30default_config_static_selectorELNS0_4arch9wavefront6targetE0EEEvT1_.num_vgpr, 0
	.set _ZN7rocprim17ROCPRIM_400000_NS6detail17trampoline_kernelINS0_14default_configENS1_25partition_config_selectorILNS1_17partition_subalgoE6EiNS0_10empty_typeEbEEZZNS1_14partition_implILS5_6ELb0ES3_mN6thrust23THRUST_200600_302600_NS6detail15normal_iteratorINSA_10device_ptrIiEEEEPS6_SG_NS0_5tupleIJNSA_16discard_iteratorINSA_11use_defaultEEES6_EEENSH_IJSG_SG_EEES6_PlJNSB_9not_fun_tINSB_14equal_to_valueIiEEEEEEE10hipError_tPvRmT3_T4_T5_T6_T7_T9_mT8_P12ihipStream_tbDpT10_ENKUlT_T0_E_clISt17integral_constantIbLb0EES1A_IbLb1EEEEDaS16_S17_EUlS16_E_NS1_11comp_targetILNS1_3genE2ELNS1_11target_archE906ELNS1_3gpuE6ELNS1_3repE0EEENS1_30default_config_static_selectorELNS0_4arch9wavefront6targetE0EEEvT1_.num_agpr, 0
	.set _ZN7rocprim17ROCPRIM_400000_NS6detail17trampoline_kernelINS0_14default_configENS1_25partition_config_selectorILNS1_17partition_subalgoE6EiNS0_10empty_typeEbEEZZNS1_14partition_implILS5_6ELb0ES3_mN6thrust23THRUST_200600_302600_NS6detail15normal_iteratorINSA_10device_ptrIiEEEEPS6_SG_NS0_5tupleIJNSA_16discard_iteratorINSA_11use_defaultEEES6_EEENSH_IJSG_SG_EEES6_PlJNSB_9not_fun_tINSB_14equal_to_valueIiEEEEEEE10hipError_tPvRmT3_T4_T5_T6_T7_T9_mT8_P12ihipStream_tbDpT10_ENKUlT_T0_E_clISt17integral_constantIbLb0EES1A_IbLb1EEEEDaS16_S17_EUlS16_E_NS1_11comp_targetILNS1_3genE2ELNS1_11target_archE906ELNS1_3gpuE6ELNS1_3repE0EEENS1_30default_config_static_selectorELNS0_4arch9wavefront6targetE0EEEvT1_.numbered_sgpr, 0
	.set _ZN7rocprim17ROCPRIM_400000_NS6detail17trampoline_kernelINS0_14default_configENS1_25partition_config_selectorILNS1_17partition_subalgoE6EiNS0_10empty_typeEbEEZZNS1_14partition_implILS5_6ELb0ES3_mN6thrust23THRUST_200600_302600_NS6detail15normal_iteratorINSA_10device_ptrIiEEEEPS6_SG_NS0_5tupleIJNSA_16discard_iteratorINSA_11use_defaultEEES6_EEENSH_IJSG_SG_EEES6_PlJNSB_9not_fun_tINSB_14equal_to_valueIiEEEEEEE10hipError_tPvRmT3_T4_T5_T6_T7_T9_mT8_P12ihipStream_tbDpT10_ENKUlT_T0_E_clISt17integral_constantIbLb0EES1A_IbLb1EEEEDaS16_S17_EUlS16_E_NS1_11comp_targetILNS1_3genE2ELNS1_11target_archE906ELNS1_3gpuE6ELNS1_3repE0EEENS1_30default_config_static_selectorELNS0_4arch9wavefront6targetE0EEEvT1_.num_named_barrier, 0
	.set _ZN7rocprim17ROCPRIM_400000_NS6detail17trampoline_kernelINS0_14default_configENS1_25partition_config_selectorILNS1_17partition_subalgoE6EiNS0_10empty_typeEbEEZZNS1_14partition_implILS5_6ELb0ES3_mN6thrust23THRUST_200600_302600_NS6detail15normal_iteratorINSA_10device_ptrIiEEEEPS6_SG_NS0_5tupleIJNSA_16discard_iteratorINSA_11use_defaultEEES6_EEENSH_IJSG_SG_EEES6_PlJNSB_9not_fun_tINSB_14equal_to_valueIiEEEEEEE10hipError_tPvRmT3_T4_T5_T6_T7_T9_mT8_P12ihipStream_tbDpT10_ENKUlT_T0_E_clISt17integral_constantIbLb0EES1A_IbLb1EEEEDaS16_S17_EUlS16_E_NS1_11comp_targetILNS1_3genE2ELNS1_11target_archE906ELNS1_3gpuE6ELNS1_3repE0EEENS1_30default_config_static_selectorELNS0_4arch9wavefront6targetE0EEEvT1_.private_seg_size, 0
	.set _ZN7rocprim17ROCPRIM_400000_NS6detail17trampoline_kernelINS0_14default_configENS1_25partition_config_selectorILNS1_17partition_subalgoE6EiNS0_10empty_typeEbEEZZNS1_14partition_implILS5_6ELb0ES3_mN6thrust23THRUST_200600_302600_NS6detail15normal_iteratorINSA_10device_ptrIiEEEEPS6_SG_NS0_5tupleIJNSA_16discard_iteratorINSA_11use_defaultEEES6_EEENSH_IJSG_SG_EEES6_PlJNSB_9not_fun_tINSB_14equal_to_valueIiEEEEEEE10hipError_tPvRmT3_T4_T5_T6_T7_T9_mT8_P12ihipStream_tbDpT10_ENKUlT_T0_E_clISt17integral_constantIbLb0EES1A_IbLb1EEEEDaS16_S17_EUlS16_E_NS1_11comp_targetILNS1_3genE2ELNS1_11target_archE906ELNS1_3gpuE6ELNS1_3repE0EEENS1_30default_config_static_selectorELNS0_4arch9wavefront6targetE0EEEvT1_.uses_vcc, 0
	.set _ZN7rocprim17ROCPRIM_400000_NS6detail17trampoline_kernelINS0_14default_configENS1_25partition_config_selectorILNS1_17partition_subalgoE6EiNS0_10empty_typeEbEEZZNS1_14partition_implILS5_6ELb0ES3_mN6thrust23THRUST_200600_302600_NS6detail15normal_iteratorINSA_10device_ptrIiEEEEPS6_SG_NS0_5tupleIJNSA_16discard_iteratorINSA_11use_defaultEEES6_EEENSH_IJSG_SG_EEES6_PlJNSB_9not_fun_tINSB_14equal_to_valueIiEEEEEEE10hipError_tPvRmT3_T4_T5_T6_T7_T9_mT8_P12ihipStream_tbDpT10_ENKUlT_T0_E_clISt17integral_constantIbLb0EES1A_IbLb1EEEEDaS16_S17_EUlS16_E_NS1_11comp_targetILNS1_3genE2ELNS1_11target_archE906ELNS1_3gpuE6ELNS1_3repE0EEENS1_30default_config_static_selectorELNS0_4arch9wavefront6targetE0EEEvT1_.uses_flat_scratch, 0
	.set _ZN7rocprim17ROCPRIM_400000_NS6detail17trampoline_kernelINS0_14default_configENS1_25partition_config_selectorILNS1_17partition_subalgoE6EiNS0_10empty_typeEbEEZZNS1_14partition_implILS5_6ELb0ES3_mN6thrust23THRUST_200600_302600_NS6detail15normal_iteratorINSA_10device_ptrIiEEEEPS6_SG_NS0_5tupleIJNSA_16discard_iteratorINSA_11use_defaultEEES6_EEENSH_IJSG_SG_EEES6_PlJNSB_9not_fun_tINSB_14equal_to_valueIiEEEEEEE10hipError_tPvRmT3_T4_T5_T6_T7_T9_mT8_P12ihipStream_tbDpT10_ENKUlT_T0_E_clISt17integral_constantIbLb0EES1A_IbLb1EEEEDaS16_S17_EUlS16_E_NS1_11comp_targetILNS1_3genE2ELNS1_11target_archE906ELNS1_3gpuE6ELNS1_3repE0EEENS1_30default_config_static_selectorELNS0_4arch9wavefront6targetE0EEEvT1_.has_dyn_sized_stack, 0
	.set _ZN7rocprim17ROCPRIM_400000_NS6detail17trampoline_kernelINS0_14default_configENS1_25partition_config_selectorILNS1_17partition_subalgoE6EiNS0_10empty_typeEbEEZZNS1_14partition_implILS5_6ELb0ES3_mN6thrust23THRUST_200600_302600_NS6detail15normal_iteratorINSA_10device_ptrIiEEEEPS6_SG_NS0_5tupleIJNSA_16discard_iteratorINSA_11use_defaultEEES6_EEENSH_IJSG_SG_EEES6_PlJNSB_9not_fun_tINSB_14equal_to_valueIiEEEEEEE10hipError_tPvRmT3_T4_T5_T6_T7_T9_mT8_P12ihipStream_tbDpT10_ENKUlT_T0_E_clISt17integral_constantIbLb0EES1A_IbLb1EEEEDaS16_S17_EUlS16_E_NS1_11comp_targetILNS1_3genE2ELNS1_11target_archE906ELNS1_3gpuE6ELNS1_3repE0EEENS1_30default_config_static_selectorELNS0_4arch9wavefront6targetE0EEEvT1_.has_recursion, 0
	.set _ZN7rocprim17ROCPRIM_400000_NS6detail17trampoline_kernelINS0_14default_configENS1_25partition_config_selectorILNS1_17partition_subalgoE6EiNS0_10empty_typeEbEEZZNS1_14partition_implILS5_6ELb0ES3_mN6thrust23THRUST_200600_302600_NS6detail15normal_iteratorINSA_10device_ptrIiEEEEPS6_SG_NS0_5tupleIJNSA_16discard_iteratorINSA_11use_defaultEEES6_EEENSH_IJSG_SG_EEES6_PlJNSB_9not_fun_tINSB_14equal_to_valueIiEEEEEEE10hipError_tPvRmT3_T4_T5_T6_T7_T9_mT8_P12ihipStream_tbDpT10_ENKUlT_T0_E_clISt17integral_constantIbLb0EES1A_IbLb1EEEEDaS16_S17_EUlS16_E_NS1_11comp_targetILNS1_3genE2ELNS1_11target_archE906ELNS1_3gpuE6ELNS1_3repE0EEENS1_30default_config_static_selectorELNS0_4arch9wavefront6targetE0EEEvT1_.has_indirect_call, 0
	.section	.AMDGPU.csdata,"",@progbits
; Kernel info:
; codeLenInByte = 0
; TotalNumSgprs: 0
; NumVgprs: 0
; ScratchSize: 0
; MemoryBound: 0
; FloatMode: 240
; IeeeMode: 1
; LDSByteSize: 0 bytes/workgroup (compile time only)
; SGPRBlocks: 0
; VGPRBlocks: 0
; NumSGPRsForWavesPerEU: 1
; NumVGPRsForWavesPerEU: 1
; Occupancy: 16
; WaveLimiterHint : 0
; COMPUTE_PGM_RSRC2:SCRATCH_EN: 0
; COMPUTE_PGM_RSRC2:USER_SGPR: 2
; COMPUTE_PGM_RSRC2:TRAP_HANDLER: 0
; COMPUTE_PGM_RSRC2:TGID_X_EN: 1
; COMPUTE_PGM_RSRC2:TGID_Y_EN: 0
; COMPUTE_PGM_RSRC2:TGID_Z_EN: 0
; COMPUTE_PGM_RSRC2:TIDIG_COMP_CNT: 0
	.section	.text._ZN7rocprim17ROCPRIM_400000_NS6detail17trampoline_kernelINS0_14default_configENS1_25partition_config_selectorILNS1_17partition_subalgoE6EiNS0_10empty_typeEbEEZZNS1_14partition_implILS5_6ELb0ES3_mN6thrust23THRUST_200600_302600_NS6detail15normal_iteratorINSA_10device_ptrIiEEEEPS6_SG_NS0_5tupleIJNSA_16discard_iteratorINSA_11use_defaultEEES6_EEENSH_IJSG_SG_EEES6_PlJNSB_9not_fun_tINSB_14equal_to_valueIiEEEEEEE10hipError_tPvRmT3_T4_T5_T6_T7_T9_mT8_P12ihipStream_tbDpT10_ENKUlT_T0_E_clISt17integral_constantIbLb0EES1A_IbLb1EEEEDaS16_S17_EUlS16_E_NS1_11comp_targetILNS1_3genE10ELNS1_11target_archE1200ELNS1_3gpuE4ELNS1_3repE0EEENS1_30default_config_static_selectorELNS0_4arch9wavefront6targetE0EEEvT1_,"axG",@progbits,_ZN7rocprim17ROCPRIM_400000_NS6detail17trampoline_kernelINS0_14default_configENS1_25partition_config_selectorILNS1_17partition_subalgoE6EiNS0_10empty_typeEbEEZZNS1_14partition_implILS5_6ELb0ES3_mN6thrust23THRUST_200600_302600_NS6detail15normal_iteratorINSA_10device_ptrIiEEEEPS6_SG_NS0_5tupleIJNSA_16discard_iteratorINSA_11use_defaultEEES6_EEENSH_IJSG_SG_EEES6_PlJNSB_9not_fun_tINSB_14equal_to_valueIiEEEEEEE10hipError_tPvRmT3_T4_T5_T6_T7_T9_mT8_P12ihipStream_tbDpT10_ENKUlT_T0_E_clISt17integral_constantIbLb0EES1A_IbLb1EEEEDaS16_S17_EUlS16_E_NS1_11comp_targetILNS1_3genE10ELNS1_11target_archE1200ELNS1_3gpuE4ELNS1_3repE0EEENS1_30default_config_static_selectorELNS0_4arch9wavefront6targetE0EEEvT1_,comdat
	.protected	_ZN7rocprim17ROCPRIM_400000_NS6detail17trampoline_kernelINS0_14default_configENS1_25partition_config_selectorILNS1_17partition_subalgoE6EiNS0_10empty_typeEbEEZZNS1_14partition_implILS5_6ELb0ES3_mN6thrust23THRUST_200600_302600_NS6detail15normal_iteratorINSA_10device_ptrIiEEEEPS6_SG_NS0_5tupleIJNSA_16discard_iteratorINSA_11use_defaultEEES6_EEENSH_IJSG_SG_EEES6_PlJNSB_9not_fun_tINSB_14equal_to_valueIiEEEEEEE10hipError_tPvRmT3_T4_T5_T6_T7_T9_mT8_P12ihipStream_tbDpT10_ENKUlT_T0_E_clISt17integral_constantIbLb0EES1A_IbLb1EEEEDaS16_S17_EUlS16_E_NS1_11comp_targetILNS1_3genE10ELNS1_11target_archE1200ELNS1_3gpuE4ELNS1_3repE0EEENS1_30default_config_static_selectorELNS0_4arch9wavefront6targetE0EEEvT1_ ; -- Begin function _ZN7rocprim17ROCPRIM_400000_NS6detail17trampoline_kernelINS0_14default_configENS1_25partition_config_selectorILNS1_17partition_subalgoE6EiNS0_10empty_typeEbEEZZNS1_14partition_implILS5_6ELb0ES3_mN6thrust23THRUST_200600_302600_NS6detail15normal_iteratorINSA_10device_ptrIiEEEEPS6_SG_NS0_5tupleIJNSA_16discard_iteratorINSA_11use_defaultEEES6_EEENSH_IJSG_SG_EEES6_PlJNSB_9not_fun_tINSB_14equal_to_valueIiEEEEEEE10hipError_tPvRmT3_T4_T5_T6_T7_T9_mT8_P12ihipStream_tbDpT10_ENKUlT_T0_E_clISt17integral_constantIbLb0EES1A_IbLb1EEEEDaS16_S17_EUlS16_E_NS1_11comp_targetILNS1_3genE10ELNS1_11target_archE1200ELNS1_3gpuE4ELNS1_3repE0EEENS1_30default_config_static_selectorELNS0_4arch9wavefront6targetE0EEEvT1_
	.globl	_ZN7rocprim17ROCPRIM_400000_NS6detail17trampoline_kernelINS0_14default_configENS1_25partition_config_selectorILNS1_17partition_subalgoE6EiNS0_10empty_typeEbEEZZNS1_14partition_implILS5_6ELb0ES3_mN6thrust23THRUST_200600_302600_NS6detail15normal_iteratorINSA_10device_ptrIiEEEEPS6_SG_NS0_5tupleIJNSA_16discard_iteratorINSA_11use_defaultEEES6_EEENSH_IJSG_SG_EEES6_PlJNSB_9not_fun_tINSB_14equal_to_valueIiEEEEEEE10hipError_tPvRmT3_T4_T5_T6_T7_T9_mT8_P12ihipStream_tbDpT10_ENKUlT_T0_E_clISt17integral_constantIbLb0EES1A_IbLb1EEEEDaS16_S17_EUlS16_E_NS1_11comp_targetILNS1_3genE10ELNS1_11target_archE1200ELNS1_3gpuE4ELNS1_3repE0EEENS1_30default_config_static_selectorELNS0_4arch9wavefront6targetE0EEEvT1_
	.p2align	8
	.type	_ZN7rocprim17ROCPRIM_400000_NS6detail17trampoline_kernelINS0_14default_configENS1_25partition_config_selectorILNS1_17partition_subalgoE6EiNS0_10empty_typeEbEEZZNS1_14partition_implILS5_6ELb0ES3_mN6thrust23THRUST_200600_302600_NS6detail15normal_iteratorINSA_10device_ptrIiEEEEPS6_SG_NS0_5tupleIJNSA_16discard_iteratorINSA_11use_defaultEEES6_EEENSH_IJSG_SG_EEES6_PlJNSB_9not_fun_tINSB_14equal_to_valueIiEEEEEEE10hipError_tPvRmT3_T4_T5_T6_T7_T9_mT8_P12ihipStream_tbDpT10_ENKUlT_T0_E_clISt17integral_constantIbLb0EES1A_IbLb1EEEEDaS16_S17_EUlS16_E_NS1_11comp_targetILNS1_3genE10ELNS1_11target_archE1200ELNS1_3gpuE4ELNS1_3repE0EEENS1_30default_config_static_selectorELNS0_4arch9wavefront6targetE0EEEvT1_,@function
_ZN7rocprim17ROCPRIM_400000_NS6detail17trampoline_kernelINS0_14default_configENS1_25partition_config_selectorILNS1_17partition_subalgoE6EiNS0_10empty_typeEbEEZZNS1_14partition_implILS5_6ELb0ES3_mN6thrust23THRUST_200600_302600_NS6detail15normal_iteratorINSA_10device_ptrIiEEEEPS6_SG_NS0_5tupleIJNSA_16discard_iteratorINSA_11use_defaultEEES6_EEENSH_IJSG_SG_EEES6_PlJNSB_9not_fun_tINSB_14equal_to_valueIiEEEEEEE10hipError_tPvRmT3_T4_T5_T6_T7_T9_mT8_P12ihipStream_tbDpT10_ENKUlT_T0_E_clISt17integral_constantIbLb0EES1A_IbLb1EEEEDaS16_S17_EUlS16_E_NS1_11comp_targetILNS1_3genE10ELNS1_11target_archE1200ELNS1_3gpuE4ELNS1_3repE0EEENS1_30default_config_static_selectorELNS0_4arch9wavefront6targetE0EEEvT1_: ; @_ZN7rocprim17ROCPRIM_400000_NS6detail17trampoline_kernelINS0_14default_configENS1_25partition_config_selectorILNS1_17partition_subalgoE6EiNS0_10empty_typeEbEEZZNS1_14partition_implILS5_6ELb0ES3_mN6thrust23THRUST_200600_302600_NS6detail15normal_iteratorINSA_10device_ptrIiEEEEPS6_SG_NS0_5tupleIJNSA_16discard_iteratorINSA_11use_defaultEEES6_EEENSH_IJSG_SG_EEES6_PlJNSB_9not_fun_tINSB_14equal_to_valueIiEEEEEEE10hipError_tPvRmT3_T4_T5_T6_T7_T9_mT8_P12ihipStream_tbDpT10_ENKUlT_T0_E_clISt17integral_constantIbLb0EES1A_IbLb1EEEEDaS16_S17_EUlS16_E_NS1_11comp_targetILNS1_3genE10ELNS1_11target_archE1200ELNS1_3gpuE4ELNS1_3repE0EEENS1_30default_config_static_selectorELNS0_4arch9wavefront6targetE0EEEvT1_
; %bb.0:
	s_clause 0x2
	s_load_b64 s[14:15], s[0:1], 0x58
	s_load_b128 s[8:11], s[0:1], 0x48
	s_load_b64 s[12:13], s[0:1], 0x68
	v_cmp_eq_u32_e64 s2, 0, v0
	s_and_saveexec_b32 s3, s2
	s_cbranch_execz .LBB1786_4
; %bb.1:
	s_mov_b32 s5, exec_lo
	s_mov_b32 s4, exec_lo
	v_mbcnt_lo_u32_b32 v1, s5, 0
                                        ; implicit-def: $vgpr2
	s_delay_alu instid0(VALU_DEP_1)
	v_cmpx_eq_u32_e32 0, v1
	s_cbranch_execz .LBB1786_3
; %bb.2:
	s_load_b64 s[6:7], s[0:1], 0x78
	s_bcnt1_i32_b32 s5, s5
	s_wait_alu 0xfffe
	v_dual_mov_b32 v2, 0 :: v_dual_mov_b32 v3, s5
	s_wait_kmcnt 0x0
	global_atomic_add_u32 v2, v2, v3, s[6:7] th:TH_ATOMIC_RETURN scope:SCOPE_DEV
.LBB1786_3:
	s_or_b32 exec_lo, exec_lo, s4
	s_wait_loadcnt 0x0
	v_readfirstlane_b32 s4, v2
	s_wait_alu 0xf1ff
	s_delay_alu instid0(VALU_DEP_1)
	v_dual_mov_b32 v2, 0 :: v_dual_add_nc_u32 v1, s4, v1
	ds_store_b32 v2, v1
.LBB1786_4:
	s_or_b32 exec_lo, exec_lo, s3
	v_mov_b32_e32 v2, 0
	s_clause 0x2
	s_load_b128 s[4:7], s[0:1], 0x8
	s_load_b32 s3, s[0:1], 0x70
	s_load_b32 s16, s[0:1], 0x80
	s_wait_dscnt 0x0
	s_barrier_signal -1
	s_barrier_wait -1
	global_inv scope:SCOPE_SE
	ds_load_b32 v3, v2
	s_wait_loadcnt_dscnt 0x0
	s_barrier_signal -1
	s_barrier_wait -1
	global_inv scope:SCOPE_SE
	s_wait_kmcnt 0x0
	global_load_b64 v[9:10], v2, s[10:11]
	s_mov_b32 s1, 0
	v_lshlrev_b32_e32 v8, 2, v0
	s_lshl_b64 s[18:19], s[6:7], 2
	s_mul_i32 s0, s3, 0xa80
	s_add_co_i32 s10, s3, -1
	s_add_co_i32 s3, s0, s6
	s_add_nc_u64 s[6:7], s[6:7], s[0:1]
	s_sub_co_i32 s0, s14, s3
	v_cmp_gt_u64_e64 s1, s[14:15], s[6:7]
	v_mul_lo_u32 v1, 0xa80, v3
	v_readfirstlane_b32 s11, v3
	v_cmp_ne_u32_e32 vcc_lo, s10, v3
	s_add_nc_u64 s[4:5], s[4:5], s[18:19]
	s_cmp_eq_u32 s11, s10
	v_lshlrev_b64_e32 v[1:2], 2, v[1:2]
	s_cselect_b32 s7, -1, 0
	s_or_b32 s15, s1, vcc_lo
	s_mov_b32 s1, -1
	s_wait_alu 0xfffe
	s_delay_alu instid0(VALU_DEP_1) | instskip(NEXT) | instid1(VALU_DEP_1)
	v_add_co_u32 v11, vcc_lo, s4, v1
	v_add_co_ci_u32_e64 v12, null, s5, v2, vcc_lo
	s_and_b32 vcc_lo, exec_lo, s15
	s_wait_alu 0xfffe
	s_cbranch_vccz .LBB1786_6
; %bb.5:
	v_add_co_u32 v1, vcc_lo, v11, v8
	s_wait_alu 0xfffd
	v_add_co_ci_u32_e64 v2, null, 0, v12, vcc_lo
	s_mov_b32 s1, 0
	s_clause 0x6
	flat_load_b32 v3, v[1:2]
	flat_load_b32 v4, v[1:2] offset:1536
	flat_load_b32 v5, v[1:2] offset:3072
	;; [unrolled: 1-line block ×6, first 2 shown]
	s_wait_loadcnt_dscnt 0x505
	ds_store_2addr_stride64_b32 v8, v3, v4 offset1:6
	s_wait_loadcnt_dscnt 0x304
	ds_store_2addr_stride64_b32 v8, v5, v6 offset0:12 offset1:18
	s_wait_loadcnt_dscnt 0x103
	ds_store_2addr_stride64_b32 v8, v7, v13 offset0:24 offset1:30
	s_wait_loadcnt_dscnt 0x3
	ds_store_b32 v8, v1 offset:9216
	s_wait_dscnt 0x0
	s_barrier_signal -1
	s_barrier_wait -1
.LBB1786_6:
	s_and_not1_b32 vcc_lo, exec_lo, s1
	s_add_co_i32 s14, s0, 0xa80
	s_wait_alu 0xfffe
	s_cbranch_vccnz .LBB1786_22
; %bb.7:
	v_mov_b32_e32 v1, 0
	s_mov_b32 s0, exec_lo
	s_delay_alu instid0(VALU_DEP_1)
	v_dual_mov_b32 v2, v1 :: v_dual_mov_b32 v3, v1
	v_dual_mov_b32 v4, v1 :: v_dual_mov_b32 v5, v1
	;; [unrolled: 1-line block ×3, first 2 shown]
	v_cmpx_gt_u32_e64 s14, v0
	s_cbranch_execz .LBB1786_9
; %bb.8:
	v_add_co_u32 v2, vcc_lo, v11, v8
	s_wait_alu 0xfffd
	v_add_co_ci_u32_e64 v3, null, 0, v12, vcc_lo
	v_dual_mov_b32 v14, v1 :: v_dual_mov_b32 v15, v1
	v_dual_mov_b32 v16, v1 :: v_dual_mov_b32 v17, v1
	flat_load_b32 v13, v[2:3]
	v_dual_mov_b32 v18, v1 :: v_dual_mov_b32 v19, v1
	s_wait_loadcnt_dscnt 0x0
	v_dual_mov_b32 v1, v13 :: v_dual_mov_b32 v2, v14
	v_dual_mov_b32 v3, v15 :: v_dual_mov_b32 v4, v16
	s_delay_alu instid0(VALU_DEP_3)
	v_dual_mov_b32 v5, v17 :: v_dual_mov_b32 v6, v18
	v_mov_b32_e32 v7, v19
.LBB1786_9:
	s_or_b32 exec_lo, exec_lo, s0
	v_add_nc_u32_e32 v13, 0x180, v0
	s_mov_b32 s0, exec_lo
	s_delay_alu instid0(VALU_DEP_1)
	v_cmpx_gt_u32_e64 s14, v13
	s_cbranch_execz .LBB1786_11
; %bb.10:
	v_add_co_u32 v13, vcc_lo, v11, v8
	s_wait_alu 0xfffd
	v_add_co_ci_u32_e64 v14, null, 0, v12, vcc_lo
	flat_load_b32 v2, v[13:14] offset:1536
.LBB1786_11:
	s_or_b32 exec_lo, exec_lo, s0
	v_add_nc_u32_e32 v13, 0x300, v0
	s_mov_b32 s0, exec_lo
	s_delay_alu instid0(VALU_DEP_1)
	v_cmpx_gt_u32_e64 s14, v13
	s_cbranch_execz .LBB1786_13
; %bb.12:
	v_add_co_u32 v13, vcc_lo, v11, v8
	s_wait_alu 0xfffd
	v_add_co_ci_u32_e64 v14, null, 0, v12, vcc_lo
	flat_load_b32 v3, v[13:14] offset:3072
.LBB1786_13:
	;; [unrolled: 12-line block ×3, first 2 shown]
	s_or_b32 exec_lo, exec_lo, s0
	v_or_b32_e32 v13, 0x600, v0
	s_mov_b32 s0, exec_lo
	s_delay_alu instid0(VALU_DEP_1)
	v_cmpx_gt_u32_e64 s14, v13
	s_cbranch_execz .LBB1786_17
; %bb.16:
	v_add_co_u32 v13, vcc_lo, v11, v8
	s_wait_alu 0xfffd
	v_add_co_ci_u32_e64 v14, null, 0, v12, vcc_lo
	flat_load_b32 v5, v[13:14] offset:6144
.LBB1786_17:
	s_or_b32 exec_lo, exec_lo, s0
	v_add_nc_u32_e32 v13, 0x780, v0
	s_mov_b32 s0, exec_lo
	s_delay_alu instid0(VALU_DEP_1)
	v_cmpx_gt_u32_e64 s14, v13
	s_cbranch_execz .LBB1786_19
; %bb.18:
	v_add_co_u32 v13, vcc_lo, v11, v8
	s_wait_alu 0xfffd
	v_add_co_ci_u32_e64 v14, null, 0, v12, vcc_lo
	flat_load_b32 v6, v[13:14] offset:7680
.LBB1786_19:
	s_or_b32 exec_lo, exec_lo, s0
	v_add_nc_u32_e32 v13, 0x900, v0
	s_mov_b32 s0, exec_lo
	s_delay_alu instid0(VALU_DEP_1)
	v_cmpx_gt_u32_e64 s14, v13
	s_cbranch_execz .LBB1786_21
; %bb.20:
	v_add_co_u32 v11, vcc_lo, v11, v8
	s_wait_alu 0xfffd
	v_add_co_ci_u32_e64 v12, null, 0, v12, vcc_lo
	flat_load_b32 v7, v[11:12] offset:9216
.LBB1786_21:
	s_or_b32 exec_lo, exec_lo, s0
	s_wait_loadcnt_dscnt 0x0
	ds_store_2addr_stride64_b32 v8, v1, v2 offset1:6
	ds_store_2addr_stride64_b32 v8, v3, v4 offset0:12 offset1:18
	ds_store_2addr_stride64_b32 v8, v5, v6 offset0:24 offset1:30
	ds_store_b32 v8, v7 offset:9216
	s_wait_dscnt 0x0
	s_barrier_signal -1
	s_barrier_wait -1
.LBB1786_22:
	v_mul_u32_u24_e32 v1, 7, v0
	s_wait_loadcnt 0x0
	global_inv scope:SCOPE_SE
	s_and_not1_b32 vcc_lo, exec_lo, s15
	v_lshlrev_b32_e32 v29, 2, v1
	ds_load_2addr_b32 v[11:12], v29 offset0:4 offset1:5
	ds_load_b32 v25, v29 offset:24
	ds_load_2addr_b32 v[15:16], v29 offset1:1
	ds_load_2addr_b32 v[13:14], v29 offset0:2 offset1:3
	s_wait_loadcnt_dscnt 0x0
	s_barrier_signal -1
	s_barrier_wait -1
	global_inv scope:SCOPE_SE
	v_cmp_ne_u32_e64 s0, s16, v11
	v_cmp_ne_u32_e64 s10, s16, v25
	;; [unrolled: 1-line block ×7, first 2 shown]
	s_wait_alu 0xfffe
	s_cbranch_vccnz .LBB1786_24
; %bb.23:
	s_wait_alu 0xf1ff
	v_cndmask_b32_e64 v2, 0, 1, s5
	v_cndmask_b32_e64 v3, 0, 1, s6
	;; [unrolled: 1-line block ×5, first 2 shown]
	v_lshlrev_b16 v2, 8, v2
	v_lshlrev_b16 v3, 8, v3
	v_cndmask_b32_e64 v26, 0, 1, s1
	s_delay_alu instid0(VALU_DEP_3) | instskip(NEXT) | instid1(VALU_DEP_3)
	v_or_b32_e32 v2, v4, v2
	v_or_b32_e32 v3, v5, v3
	s_delay_alu instid0(VALU_DEP_2) | instskip(NEXT) | instid1(VALU_DEP_2)
	v_and_b32_e32 v2, 0xffff, v2
	v_lshlrev_b32_e32 v3, 16, v3
	s_delay_alu instid0(VALU_DEP_1)
	v_or_b32_e32 v28, v2, v3
	s_cbranch_execz .LBB1786_25
	s_branch .LBB1786_26
.LBB1786_24:
                                        ; implicit-def: $sgpr10
                                        ; implicit-def: $vgpr26
                                        ; implicit-def: $vgpr27
                                        ; implicit-def: $vgpr28
.LBB1786_25:
	v_add_nc_u32_e32 v2, 1, v1
	v_cmp_ne_u32_e32 vcc_lo, s16, v16
	v_add_nc_u32_e32 v3, 3, v1
	v_cmp_ne_u32_e64 s0, s16, v15
	v_cmp_ne_u32_e64 s3, s16, v14
	v_cmp_gt_u32_e64 s1, s14, v2
	v_add_nc_u32_e32 v2, 2, v1
	v_cmp_gt_u32_e64 s5, s14, v3
	v_cmp_ne_u32_e64 s4, s16, v13
	v_add_nc_u32_e32 v5, 5, v1
	s_and_b32 s1, s1, vcc_lo
	v_cmp_gt_u32_e32 vcc_lo, s14, v1
	s_wait_alu 0xfffe
	v_cndmask_b32_e64 v3, 0, 1, s1
	v_cmp_gt_u32_e64 s1, s14, v2
	s_and_b32 s3, s5, s3
	s_and_b32 s0, vcc_lo, s0
	v_lshlrev_b16 v3, 8, v3
	s_wait_alu 0xfffe
	v_cndmask_b32_e64 v4, 0, 1, s0
	v_cndmask_b32_e64 v2, 0, 1, s3
	s_and_b32 s0, s1, s4
	v_cmp_ne_u32_e32 vcc_lo, s16, v12
	s_wait_alu 0xfffe
	v_cndmask_b32_e64 v6, 0, 1, s0
	v_cmp_gt_u32_e64 s0, s14, v5
	v_or_b32_e32 v3, v4, v3
	v_add_nc_u32_e32 v4, 4, v1
	v_lshlrev_b16 v2, 8, v2
	v_cmp_ne_u32_e64 s1, s16, v11
	s_and_b32 s0, s0, vcc_lo
	v_add_nc_u32_e32 v1, 6, v1
	v_cmp_gt_u32_e32 vcc_lo, s14, v4
	v_or_b32_e32 v2, v6, v2
	s_wait_alu 0xfffe
	v_cndmask_b32_e64 v26, 0, 1, s0
	v_and_b32_e32 v3, 0xffff, v3
	s_and_b32 s0, vcc_lo, s1
	v_cmp_gt_u32_e32 vcc_lo, s14, v1
	s_wait_alu 0xfffe
	v_cndmask_b32_e64 v5, 0, 1, s0
	v_cmp_ne_u32_e64 s0, s16, v25
	v_lshlrev_b32_e32 v2, 16, v2
	v_lshlrev_b16 v4, 8, v26
	s_and_not1_b32 s1, s10, exec_lo
	s_and_b32 s0, vcc_lo, s0
	s_delay_alu instid0(VALU_DEP_2) | instskip(NEXT) | instid1(VALU_DEP_2)
	v_or_b32_e32 v28, v3, v2
	v_or_b32_e32 v27, v5, v4
	s_wait_alu 0xfffe
	s_and_b32 s0, s0, exec_lo
	s_wait_alu 0xfffe
	s_or_b32 s10, s1, s0
.LBB1786_26:
	s_delay_alu instid0(VALU_DEP_1)
	v_dual_mov_b32 v2, 0 :: v_dual_and_b32 v33, 0xff, v28
	v_bfe_u32 v32, v28, 8, 8
	s_wait_alu 0xfffe
	v_cndmask_b32_e64 v1, 0, 1, s10
	v_bfe_u32 v35, v28, 16, 8
	v_lshrrev_b32_e32 v30, 24, v28
	v_and_b32_e32 v34, 0xff, v27
	v_mbcnt_lo_u32_b32 v36, -1, 0
	v_add3_u32 v1, v33, v1, v32
	v_and_b32_e32 v31, 0xff, v26
	s_cmp_lg_u32 s11, 0
	s_mov_b32 s1, -1
	v_and_b32_e32 v37, 15, v36
	v_add_co_u32 v1, s0, v1, v35
	s_wait_alu 0xf1ff
	v_add_co_ci_u32_e64 v3, null, 0, 0, s0
	s_delay_alu instid0(VALU_DEP_3) | instskip(NEXT) | instid1(VALU_DEP_3)
	v_cmp_ne_u32_e64 s0, 0, v37
	v_add_co_u32 v1, vcc_lo, v1, v30
	s_wait_alu 0xfffd
	s_delay_alu instid0(VALU_DEP_3) | instskip(NEXT) | instid1(VALU_DEP_2)
	v_add_co_ci_u32_e64 v3, null, 0, v3, vcc_lo
	v_add_co_u32 v1, vcc_lo, v1, v34
	s_wait_alu 0xfffd
	s_delay_alu instid0(VALU_DEP_2) | instskip(NEXT) | instid1(VALU_DEP_2)
	v_add_co_ci_u32_e64 v3, null, 0, v3, vcc_lo
	v_add_co_u32 v17, vcc_lo, v1, v31
	s_wait_alu 0xfffd
	s_delay_alu instid0(VALU_DEP_2)
	v_add_co_ci_u32_e64 v18, null, 0, v3, vcc_lo
	s_cbranch_scc0 .LBB1786_85
; %bb.27:
	v_mov_b32_e32 v3, v17
	v_mov_b32_dpp v1, v17 row_shr:1 row_mask:0xf bank_mask:0xf
	v_mov_b32_dpp v6, v2 row_shr:1 row_mask:0xf bank_mask:0xf
	v_dual_mov_b32 v5, v17 :: v_dual_mov_b32 v4, v18
	s_and_saveexec_b32 s1, s0
; %bb.28:
	s_delay_alu instid0(VALU_DEP_3) | instskip(SKIP_2) | instid1(VALU_DEP_2)
	v_add_co_u32 v5, vcc_lo, v17, v1
	s_wait_alu 0xfffd
	v_add_co_ci_u32_e64 v2, null, 0, v18, vcc_lo
	v_add_co_u32 v1, vcc_lo, 0, v5
	s_wait_alu 0xfffd
	s_delay_alu instid0(VALU_DEP_2) | instskip(NEXT) | instid1(VALU_DEP_1)
	v_add_co_ci_u32_e64 v2, null, v6, v2, vcc_lo
	v_dual_mov_b32 v4, v2 :: v_dual_mov_b32 v3, v1
; %bb.29:
	s_wait_alu 0xfffe
	s_or_b32 exec_lo, exec_lo, s1
	v_mov_b32_dpp v1, v5 row_shr:2 row_mask:0xf bank_mask:0xf
	v_mov_b32_dpp v6, v2 row_shr:2 row_mask:0xf bank_mask:0xf
	v_cmp_lt_u32_e32 vcc_lo, 1, v37
	s_and_saveexec_b32 s3, vcc_lo
; %bb.30:
	s_delay_alu instid0(VALU_DEP_3) | instskip(SKIP_2) | instid1(VALU_DEP_2)
	v_add_co_u32 v5, s1, v3, v1
	s_wait_alu 0xf1ff
	v_add_co_ci_u32_e64 v2, null, 0, v4, s1
	v_add_co_u32 v1, s1, 0, v5
	s_wait_alu 0xf1ff
	s_delay_alu instid0(VALU_DEP_2) | instskip(NEXT) | instid1(VALU_DEP_1)
	v_add_co_ci_u32_e64 v2, null, v6, v2, s1
	v_dual_mov_b32 v4, v2 :: v_dual_mov_b32 v3, v1
; %bb.31:
	s_wait_alu 0xfffe
	s_or_b32 exec_lo, exec_lo, s3
	v_mov_b32_dpp v1, v5 row_shr:4 row_mask:0xf bank_mask:0xf
	v_mov_b32_dpp v6, v2 row_shr:4 row_mask:0xf bank_mask:0xf
	v_cmp_lt_u32_e64 s1, 3, v37
	s_and_saveexec_b32 s4, s1
; %bb.32:
	v_add_co_u32 v5, s3, v3, v1
	s_wait_alu 0xf1ff
	v_add_co_ci_u32_e64 v2, null, 0, v4, s3
	s_delay_alu instid0(VALU_DEP_2) | instskip(SKIP_1) | instid1(VALU_DEP_2)
	v_add_co_u32 v1, s3, 0, v5
	s_wait_alu 0xf1ff
	v_add_co_ci_u32_e64 v2, null, v6, v2, s3
	s_delay_alu instid0(VALU_DEP_1)
	v_dual_mov_b32 v4, v2 :: v_dual_mov_b32 v3, v1
; %bb.33:
	s_wait_alu 0xfffe
	s_or_b32 exec_lo, exec_lo, s4
	v_mov_b32_dpp v6, v5 row_shr:8 row_mask:0xf bank_mask:0xf
	v_mov_b32_dpp v1, v2 row_shr:8 row_mask:0xf bank_mask:0xf
	v_cmp_lt_u32_e64 s3, 7, v37
	s_and_saveexec_b32 s5, s3
; %bb.34:
	v_add_co_u32 v5, s4, v3, v6
	s_wait_alu 0xf1ff
	v_add_co_ci_u32_e64 v2, null, 0, v4, s4
	s_delay_alu instid0(VALU_DEP_2) | instskip(SKIP_1) | instid1(VALU_DEP_2)
	v_add_co_u32 v3, s4, 0, v5
	s_wait_alu 0xf1ff
	v_add_co_ci_u32_e64 v4, null, v1, v2, s4
	s_delay_alu instid0(VALU_DEP_1)
	v_mov_b32_e32 v2, v4
; %bb.35:
	s_wait_alu 0xfffe
	s_or_b32 exec_lo, exec_lo, s5
	ds_swizzle_b32 v6, v5 offset:swizzle(BROADCAST,32,15)
	ds_swizzle_b32 v1, v2 offset:swizzle(BROADCAST,32,15)
	v_and_b32_e32 v2, 16, v36
	s_mov_b32 s5, exec_lo
	s_delay_alu instid0(VALU_DEP_1)
	v_cmpx_ne_u32_e32 0, v2
	s_cbranch_execz .LBB1786_37
; %bb.36:
	s_wait_dscnt 0x1
	v_add_co_u32 v5, s4, v3, v6
	s_wait_alu 0xf1ff
	v_add_co_ci_u32_e64 v2, null, 0, v4, s4
	s_delay_alu instid0(VALU_DEP_2) | instskip(SKIP_2) | instid1(VALU_DEP_2)
	v_add_co_u32 v3, s4, 0, v5
	s_wait_dscnt 0x0
	s_wait_alu 0xf1ff
	v_add_co_ci_u32_e64 v4, null, v1, v2, s4
.LBB1786_37:
	s_wait_alu 0xfffe
	s_or_b32 exec_lo, exec_lo, s5
	s_wait_dscnt 0x0
	v_and_b32_e32 v1, 0x1e0, v0
	v_lshrrev_b32_e32 v6, 5, v0
	s_mov_b32 s5, exec_lo
	s_delay_alu instid0(VALU_DEP_2) | instskip(NEXT) | instid1(VALU_DEP_1)
	v_min_u32_e32 v1, 0x160, v1
	v_or_b32_e32 v1, 31, v1
	s_delay_alu instid0(VALU_DEP_1)
	v_cmpx_eq_u32_e64 v0, v1
; %bb.38:
	v_lshlrev_b32_e32 v1, 3, v6
	ds_store_b64 v1, v[3:4]
; %bb.39:
	s_wait_alu 0xfffe
	s_or_b32 exec_lo, exec_lo, s5
	s_delay_alu instid0(SALU_CYCLE_1)
	s_mov_b32 s5, exec_lo
	s_wait_loadcnt_dscnt 0x0
	s_barrier_signal -1
	s_barrier_wait -1
	global_inv scope:SCOPE_SE
	v_cmpx_gt_u32_e32 12, v0
	s_cbranch_execz .LBB1786_49
; %bb.40:
	v_lshlrev_b32_e32 v3, 3, v0
	ds_load_b64 v[1:2], v3
	s_wait_dscnt 0x0
	v_mov_b32_dpp v8, v1 row_shr:1 row_mask:0xf bank_mask:0xf
	v_mov_b32_dpp v7, v2 row_shr:1 row_mask:0xf bank_mask:0xf
	v_mov_b32_e32 v4, v1
	s_and_saveexec_b32 s6, s0
; %bb.41:
	s_delay_alu instid0(VALU_DEP_3) | instskip(SKIP_2) | instid1(VALU_DEP_2)
	v_add_co_u32 v4, s4, v1, v8
	s_wait_alu 0xf1ff
	v_add_co_ci_u32_e64 v2, null, 0, v2, s4
	v_add_co_u32 v1, s4, 0, v4
	s_wait_alu 0xf1ff
	s_delay_alu instid0(VALU_DEP_2)
	v_add_co_ci_u32_e64 v2, null, v7, v2, s4
; %bb.42:
	s_wait_alu 0xfffe
	s_or_b32 exec_lo, exec_lo, s6
	v_mov_b32_dpp v8, v4 row_shr:2 row_mask:0xf bank_mask:0xf
	s_delay_alu instid0(VALU_DEP_2)
	v_mov_b32_dpp v7, v2 row_shr:2 row_mask:0xf bank_mask:0xf
	s_and_saveexec_b32 s4, vcc_lo
; %bb.43:
	s_delay_alu instid0(VALU_DEP_2) | instskip(SKIP_2) | instid1(VALU_DEP_2)
	v_add_co_u32 v4, vcc_lo, v1, v8
	s_wait_alu 0xfffd
	v_add_co_ci_u32_e64 v2, null, 0, v2, vcc_lo
	v_add_co_u32 v1, vcc_lo, 0, v4
	s_wait_alu 0xfffd
	s_delay_alu instid0(VALU_DEP_2)
	v_add_co_ci_u32_e64 v2, null, v7, v2, vcc_lo
; %bb.44:
	s_wait_alu 0xfffe
	s_or_b32 exec_lo, exec_lo, s4
	v_mov_b32_dpp v8, v4 row_shr:4 row_mask:0xf bank_mask:0xf
	s_delay_alu instid0(VALU_DEP_2)
	v_mov_b32_dpp v7, v2 row_shr:4 row_mask:0xf bank_mask:0xf
	s_and_saveexec_b32 s4, s1
; %bb.45:
	s_delay_alu instid0(VALU_DEP_2) | instskip(SKIP_2) | instid1(VALU_DEP_2)
	v_add_co_u32 v4, vcc_lo, v1, v8
	s_wait_alu 0xfffd
	v_add_co_ci_u32_e64 v2, null, 0, v2, vcc_lo
	v_add_co_u32 v1, vcc_lo, 0, v4
	s_wait_alu 0xfffd
	s_delay_alu instid0(VALU_DEP_2)
	v_add_co_ci_u32_e64 v2, null, v7, v2, vcc_lo
; %bb.46:
	s_wait_alu 0xfffe
	s_or_b32 exec_lo, exec_lo, s4
	v_mov_b32_dpp v7, v4 row_shr:8 row_mask:0xf bank_mask:0xf
	s_delay_alu instid0(VALU_DEP_2)
	v_mov_b32_dpp v4, v2 row_shr:8 row_mask:0xf bank_mask:0xf
	s_and_saveexec_b32 s1, s3
; %bb.47:
	s_delay_alu instid0(VALU_DEP_2) | instskip(SKIP_2) | instid1(VALU_DEP_2)
	v_add_co_u32 v1, vcc_lo, v1, v7
	s_wait_alu 0xfffd
	v_add_co_ci_u32_e64 v2, null, 0, v2, vcc_lo
	v_add_co_u32 v1, vcc_lo, v1, 0
	s_wait_alu 0xfffd
	s_delay_alu instid0(VALU_DEP_2)
	v_add_co_ci_u32_e64 v2, null, v2, v4, vcc_lo
; %bb.48:
	s_wait_alu 0xfffe
	s_or_b32 exec_lo, exec_lo, s1
	ds_store_b64 v3, v[1:2]
.LBB1786_49:
	s_wait_alu 0xfffe
	s_or_b32 exec_lo, exec_lo, s5
	s_delay_alu instid0(SALU_CYCLE_1)
	s_mov_b32 s3, exec_lo
	v_cmp_gt_u32_e32 vcc_lo, 32, v0
	s_wait_loadcnt_dscnt 0x0
	s_barrier_signal -1
	s_barrier_wait -1
	global_inv scope:SCOPE_SE
                                        ; implicit-def: $vgpr19_vgpr20
	v_cmpx_lt_u32_e32 31, v0
	s_cbranch_execz .LBB1786_51
; %bb.50:
	v_lshl_add_u32 v1, v6, 3, -8
	ds_load_b64 v[19:20], v1
	s_wait_dscnt 0x0
	v_add_nc_u32_e32 v5, v5, v19
.LBB1786_51:
	s_wait_alu 0xfffe
	s_or_b32 exec_lo, exec_lo, s3
	v_sub_co_u32 v1, s1, v36, 1
	s_delay_alu instid0(VALU_DEP_1) | instskip(SKIP_1) | instid1(VALU_DEP_1)
	v_cmp_gt_i32_e64 s3, 0, v1
	s_wait_alu 0xf1ff
	v_cndmask_b32_e64 v1, v1, v36, s3
	s_delay_alu instid0(VALU_DEP_1)
	v_lshlrev_b32_e32 v1, 2, v1
	ds_bpermute_b32 v38, v1, v5
	s_and_saveexec_b32 s3, vcc_lo
	s_cbranch_execz .LBB1786_90
; %bb.52:
	v_mov_b32_e32 v4, 0
	ds_load_b64 v[1:2], v4 offset:88
	s_and_saveexec_b32 s4, s1
	s_cbranch_execz .LBB1786_54
; %bb.53:
	s_add_co_i32 s14, s11, 32
	s_mov_b32 s15, 0
	s_wait_alu 0xfffe
	s_lshl_b64 s[14:15], s[14:15], 4
	s_wait_alu 0xfffe
	s_add_nc_u64 s[14:15], s[12:13], s[14:15]
	v_mov_b32_e32 v3, 1
	s_wait_alu 0xfffe
	v_dual_mov_b32 v5, s14 :: v_dual_mov_b32 v6, s15
	s_wait_dscnt 0x0
	;;#ASMSTART
	global_store_b128 v[5:6], v[1:4] off scope:SCOPE_DEV	
s_wait_storecnt 0x0
	;;#ASMEND
.LBB1786_54:
	s_wait_alu 0xfffe
	s_or_b32 exec_lo, exec_lo, s4
	v_xad_u32 v21, v36, -1, s11
	s_mov_b32 s5, 0
	s_mov_b32 s4, exec_lo
	s_delay_alu instid0(VALU_DEP_1) | instskip(NEXT) | instid1(VALU_DEP_1)
	v_add_nc_u32_e32 v3, 32, v21
	v_lshlrev_b64_e32 v[3:4], 4, v[3:4]
	s_delay_alu instid0(VALU_DEP_1) | instskip(SKIP_1) | instid1(VALU_DEP_2)
	v_add_co_u32 v3, vcc_lo, s12, v3
	s_wait_alu 0xfffd
	v_add_co_ci_u32_e64 v4, null, s13, v4, vcc_lo
	;;#ASMSTART
	global_load_b128 v[5:8], v[3:4] off scope:SCOPE_DEV	
s_wait_loadcnt 0x0
	;;#ASMEND
	v_and_b32_e32 v8, 0xff, v7
	s_delay_alu instid0(VALU_DEP_1)
	v_cmpx_eq_u16_e32 0, v8
	s_cbranch_execz .LBB1786_57
.LBB1786_55:                            ; =>This Inner Loop Header: Depth=1
	;;#ASMSTART
	global_load_b128 v[5:8], v[3:4] off scope:SCOPE_DEV	
s_wait_loadcnt 0x0
	;;#ASMEND
	v_and_b32_e32 v8, 0xff, v7
	s_delay_alu instid0(VALU_DEP_1)
	v_cmp_ne_u16_e32 vcc_lo, 0, v8
	s_wait_alu 0xfffe
	s_or_b32 s5, vcc_lo, s5
	s_wait_alu 0xfffe
	s_and_not1_b32 exec_lo, exec_lo, s5
	s_cbranch_execnz .LBB1786_55
; %bb.56:
	s_or_b32 exec_lo, exec_lo, s5
.LBB1786_57:
	s_wait_alu 0xfffe
	s_or_b32 exec_lo, exec_lo, s4
	v_cmp_ne_u32_e32 vcc_lo, 31, v36
	v_and_b32_e32 v4, 0xff, v7
	v_lshlrev_b32_e64 v40, v36, -1
	s_mov_b32 s4, exec_lo
	s_wait_alu 0xfffd
	v_add_co_ci_u32_e64 v3, null, 0, v36, vcc_lo
	v_cmp_eq_u16_e32 vcc_lo, 2, v4
	s_delay_alu instid0(VALU_DEP_2)
	v_dual_mov_b32 v4, v5 :: v_dual_lshlrev_b32 v39, 2, v3
	s_wait_alu 0xfffd
	v_and_or_b32 v3, vcc_lo, v40, 0x80000000
	ds_bpermute_b32 v22, v39, v5
	ds_bpermute_b32 v8, v39, v6
	v_ctz_i32_b32_e32 v3, v3
	s_delay_alu instid0(VALU_DEP_1)
	v_cmpx_lt_u32_e64 v36, v3
	s_cbranch_execz .LBB1786_59
; %bb.58:
	s_wait_dscnt 0x1
	v_add_co_u32 v4, vcc_lo, v5, v22
	s_wait_alu 0xfffd
	v_add_co_ci_u32_e64 v6, null, 0, v6, vcc_lo
	s_delay_alu instid0(VALU_DEP_2) | instskip(SKIP_2) | instid1(VALU_DEP_2)
	v_add_co_u32 v5, vcc_lo, 0, v4
	s_wait_dscnt 0x0
	s_wait_alu 0xfffd
	v_add_co_ci_u32_e64 v6, null, v8, v6, vcc_lo
.LBB1786_59:
	s_wait_alu 0xfffe
	s_or_b32 exec_lo, exec_lo, s4
	v_cmp_gt_u32_e32 vcc_lo, 30, v36
	v_add_nc_u32_e32 v42, 2, v36
	s_mov_b32 s4, exec_lo
	s_wait_dscnt 0x0
	s_wait_alu 0xfffd
	v_cndmask_b32_e64 v8, 0, 2, vcc_lo
	s_delay_alu instid0(VALU_DEP_1)
	v_add_lshl_u32 v41, v8, v36, 2
	ds_bpermute_b32 v22, v41, v4
	ds_bpermute_b32 v8, v41, v6
	v_cmpx_le_u32_e64 v42, v3
	s_cbranch_execz .LBB1786_61
; %bb.60:
	s_wait_dscnt 0x1
	v_add_co_u32 v4, vcc_lo, v5, v22
	s_wait_alu 0xfffd
	v_add_co_ci_u32_e64 v6, null, 0, v6, vcc_lo
	s_delay_alu instid0(VALU_DEP_2) | instskip(SKIP_2) | instid1(VALU_DEP_2)
	v_add_co_u32 v5, vcc_lo, 0, v4
	s_wait_dscnt 0x0
	s_wait_alu 0xfffd
	v_add_co_ci_u32_e64 v6, null, v8, v6, vcc_lo
.LBB1786_61:
	s_wait_alu 0xfffe
	s_or_b32 exec_lo, exec_lo, s4
	v_cmp_gt_u32_e32 vcc_lo, 28, v36
	v_add_nc_u32_e32 v44, 4, v36
	s_mov_b32 s4, exec_lo
	s_wait_dscnt 0x0
	s_wait_alu 0xfffd
	v_cndmask_b32_e64 v8, 0, 4, vcc_lo
	s_delay_alu instid0(VALU_DEP_1)
	v_add_lshl_u32 v43, v8, v36, 2
	ds_bpermute_b32 v22, v43, v4
	ds_bpermute_b32 v8, v43, v6
	v_cmpx_le_u32_e64 v44, v3
	;; [unrolled: 25-line block ×3, first 2 shown]
	s_cbranch_execz .LBB1786_65
; %bb.64:
	s_wait_dscnt 0x1
	v_add_co_u32 v4, vcc_lo, v5, v22
	s_wait_alu 0xfffd
	v_add_co_ci_u32_e64 v6, null, 0, v6, vcc_lo
	s_delay_alu instid0(VALU_DEP_2) | instskip(SKIP_2) | instid1(VALU_DEP_2)
	v_add_co_u32 v5, vcc_lo, 0, v4
	s_wait_dscnt 0x0
	s_wait_alu 0xfffd
	v_add_co_ci_u32_e64 v6, null, v8, v6, vcc_lo
.LBB1786_65:
	s_wait_alu 0xfffe
	s_or_b32 exec_lo, exec_lo, s4
	v_lshl_or_b32 v47, v36, 2, 64
	v_add_nc_u32_e32 v48, 16, v36
	s_mov_b32 s4, exec_lo
	s_wait_dscnt 0x0
	ds_bpermute_b32 v8, v47, v4
	ds_bpermute_b32 v4, v47, v6
	v_cmpx_le_u32_e64 v48, v3
	s_cbranch_execz .LBB1786_67
; %bb.66:
	s_wait_dscnt 0x1
	v_add_co_u32 v3, vcc_lo, v5, v8
	s_wait_alu 0xfffd
	v_add_co_ci_u32_e64 v6, null, 0, v6, vcc_lo
	s_delay_alu instid0(VALU_DEP_2) | instskip(SKIP_2) | instid1(VALU_DEP_2)
	v_add_co_u32 v5, vcc_lo, v3, 0
	s_wait_dscnt 0x0
	s_wait_alu 0xfffd
	v_add_co_ci_u32_e64 v6, null, v6, v4, vcc_lo
.LBB1786_67:
	s_wait_alu 0xfffe
	s_or_b32 exec_lo, exec_lo, s4
	v_mov_b32_e32 v22, 0
	s_branch .LBB1786_70
.LBB1786_68:                            ;   in Loop: Header=BB1786_70 Depth=1
	s_wait_alu 0xfffe
	s_or_b32 exec_lo, exec_lo, s4
	v_add_co_u32 v5, vcc_lo, v5, v3
	v_subrev_nc_u32_e32 v21, 32, v21
	s_wait_alu 0xfffd
	v_add_co_ci_u32_e64 v6, null, v6, v4, vcc_lo
	s_mov_b32 s4, 0
.LBB1786_69:                            ;   in Loop: Header=BB1786_70 Depth=1
	s_wait_alu 0xfffe
	s_and_b32 vcc_lo, exec_lo, s4
	s_wait_alu 0xfffe
	s_cbranch_vccnz .LBB1786_86
.LBB1786_70:                            ; =>This Loop Header: Depth=1
                                        ;     Child Loop BB1786_73 Depth 2
	v_and_b32_e32 v3, 0xff, v7
	s_mov_b32 s4, -1
	s_delay_alu instid0(VALU_DEP_1)
	v_cmp_ne_u16_e32 vcc_lo, 2, v3
	s_wait_dscnt 0x0
	v_dual_mov_b32 v3, v5 :: v_dual_mov_b32 v4, v6
                                        ; implicit-def: $vgpr5_vgpr6
	s_cmp_lg_u32 vcc_lo, exec_lo
	s_cbranch_scc1 .LBB1786_69
; %bb.71:                               ;   in Loop: Header=BB1786_70 Depth=1
	v_lshlrev_b64_e32 v[5:6], 4, v[21:22]
	s_mov_b32 s4, exec_lo
	s_delay_alu instid0(VALU_DEP_1) | instskip(SKIP_1) | instid1(VALU_DEP_2)
	v_add_co_u32 v23, vcc_lo, s12, v5
	s_wait_alu 0xfffd
	v_add_co_ci_u32_e64 v24, null, s13, v6, vcc_lo
	;;#ASMSTART
	global_load_b128 v[5:8], v[23:24] off scope:SCOPE_DEV	
s_wait_loadcnt 0x0
	;;#ASMEND
	v_and_b32_e32 v8, 0xff, v7
	s_delay_alu instid0(VALU_DEP_1)
	v_cmpx_eq_u16_e32 0, v8
	s_cbranch_execz .LBB1786_75
; %bb.72:                               ;   in Loop: Header=BB1786_70 Depth=1
	s_mov_b32 s5, 0
.LBB1786_73:                            ;   Parent Loop BB1786_70 Depth=1
                                        ; =>  This Inner Loop Header: Depth=2
	;;#ASMSTART
	global_load_b128 v[5:8], v[23:24] off scope:SCOPE_DEV	
s_wait_loadcnt 0x0
	;;#ASMEND
	v_and_b32_e32 v8, 0xff, v7
	s_delay_alu instid0(VALU_DEP_1)
	v_cmp_ne_u16_e32 vcc_lo, 0, v8
	s_wait_alu 0xfffe
	s_or_b32 s5, vcc_lo, s5
	s_wait_alu 0xfffe
	s_and_not1_b32 exec_lo, exec_lo, s5
	s_cbranch_execnz .LBB1786_73
; %bb.74:                               ;   in Loop: Header=BB1786_70 Depth=1
	s_or_b32 exec_lo, exec_lo, s5
.LBB1786_75:                            ;   in Loop: Header=BB1786_70 Depth=1
	s_wait_alu 0xfffe
	s_or_b32 exec_lo, exec_lo, s4
	v_dual_mov_b32 v23, v5 :: v_dual_and_b32 v8, 0xff, v7
	ds_bpermute_b32 v49, v39, v5
	ds_bpermute_b32 v24, v39, v6
	s_mov_b32 s4, exec_lo
	v_cmp_eq_u16_e32 vcc_lo, 2, v8
	s_wait_alu 0xfffd
	v_and_or_b32 v8, vcc_lo, v40, 0x80000000
	s_delay_alu instid0(VALU_DEP_1) | instskip(NEXT) | instid1(VALU_DEP_1)
	v_ctz_i32_b32_e32 v8, v8
	v_cmpx_lt_u32_e64 v36, v8
	s_cbranch_execz .LBB1786_77
; %bb.76:                               ;   in Loop: Header=BB1786_70 Depth=1
	s_wait_dscnt 0x1
	v_add_co_u32 v23, vcc_lo, v5, v49
	s_wait_alu 0xfffd
	v_add_co_ci_u32_e64 v6, null, 0, v6, vcc_lo
	s_delay_alu instid0(VALU_DEP_2) | instskip(SKIP_2) | instid1(VALU_DEP_2)
	v_add_co_u32 v5, vcc_lo, 0, v23
	s_wait_dscnt 0x0
	s_wait_alu 0xfffd
	v_add_co_ci_u32_e64 v6, null, v24, v6, vcc_lo
.LBB1786_77:                            ;   in Loop: Header=BB1786_70 Depth=1
	s_wait_alu 0xfffe
	s_or_b32 exec_lo, exec_lo, s4
	s_wait_dscnt 0x1
	ds_bpermute_b32 v49, v41, v23
	s_wait_dscnt 0x1
	ds_bpermute_b32 v24, v41, v6
	s_mov_b32 s4, exec_lo
	v_cmpx_le_u32_e64 v42, v8
	s_cbranch_execz .LBB1786_79
; %bb.78:                               ;   in Loop: Header=BB1786_70 Depth=1
	s_wait_dscnt 0x1
	v_add_co_u32 v23, vcc_lo, v5, v49
	s_wait_alu 0xfffd
	v_add_co_ci_u32_e64 v6, null, 0, v6, vcc_lo
	s_delay_alu instid0(VALU_DEP_2) | instskip(SKIP_2) | instid1(VALU_DEP_2)
	v_add_co_u32 v5, vcc_lo, 0, v23
	s_wait_dscnt 0x0
	s_wait_alu 0xfffd
	v_add_co_ci_u32_e64 v6, null, v24, v6, vcc_lo
.LBB1786_79:                            ;   in Loop: Header=BB1786_70 Depth=1
	s_wait_alu 0xfffe
	s_or_b32 exec_lo, exec_lo, s4
	s_wait_dscnt 0x1
	ds_bpermute_b32 v49, v43, v23
	s_wait_dscnt 0x1
	ds_bpermute_b32 v24, v43, v6
	s_mov_b32 s4, exec_lo
	v_cmpx_le_u32_e64 v44, v8
	;; [unrolled: 20-line block ×3, first 2 shown]
	s_cbranch_execz .LBB1786_83
; %bb.82:                               ;   in Loop: Header=BB1786_70 Depth=1
	s_wait_dscnt 0x1
	v_add_co_u32 v23, vcc_lo, v5, v49
	s_wait_alu 0xfffd
	v_add_co_ci_u32_e64 v6, null, 0, v6, vcc_lo
	s_delay_alu instid0(VALU_DEP_2) | instskip(SKIP_2) | instid1(VALU_DEP_2)
	v_add_co_u32 v5, vcc_lo, 0, v23
	s_wait_dscnt 0x0
	s_wait_alu 0xfffd
	v_add_co_ci_u32_e64 v6, null, v24, v6, vcc_lo
.LBB1786_83:                            ;   in Loop: Header=BB1786_70 Depth=1
	s_wait_alu 0xfffe
	s_or_b32 exec_lo, exec_lo, s4
	s_wait_dscnt 0x0
	ds_bpermute_b32 v24, v47, v23
	ds_bpermute_b32 v23, v47, v6
	s_mov_b32 s4, exec_lo
	v_cmpx_le_u32_e64 v48, v8
	s_cbranch_execz .LBB1786_68
; %bb.84:                               ;   in Loop: Header=BB1786_70 Depth=1
	s_wait_dscnt 0x1
	v_add_co_u32 v5, vcc_lo, v5, v24
	s_wait_alu 0xfffd
	v_add_co_ci_u32_e64 v6, null, 0, v6, vcc_lo
	s_delay_alu instid0(VALU_DEP_2) | instskip(SKIP_2) | instid1(VALU_DEP_2)
	v_add_co_u32 v5, vcc_lo, v5, 0
	s_wait_dscnt 0x0
	s_wait_alu 0xfffd
	v_add_co_ci_u32_e64 v6, null, v6, v23, vcc_lo
	s_branch .LBB1786_68
.LBB1786_85:
                                        ; implicit-def: $vgpr19_vgpr20
                                        ; implicit-def: $vgpr7_vgpr8
                                        ; implicit-def: $vgpr5_vgpr6
                                        ; implicit-def: $vgpr3_vgpr4
                                        ; implicit-def: $vgpr20_vgpr21
                                        ; implicit-def: $vgpr21_vgpr22
                                        ; implicit-def: $vgpr22_vgpr23
                                        ; implicit-def: $vgpr23_vgpr24
	s_wait_alu 0xfffe
	s_and_b32 vcc_lo, exec_lo, s1
	s_wait_alu 0xfffe
	s_cbranch_vccnz .LBB1786_91
	s_branch .LBB1786_118
.LBB1786_86:
	s_and_saveexec_b32 s4, s1
	s_cbranch_execz .LBB1786_88
; %bb.87:
	s_add_co_i32 s14, s11, 32
	s_mov_b32 s15, 0
	v_add_co_u32 v5, vcc_lo, v3, v1
	s_wait_alu 0xfffe
	s_lshl_b64 s[14:15], s[14:15], 4
	v_dual_mov_b32 v7, 2 :: v_dual_mov_b32 v8, 0
	s_wait_alu 0xfffe
	s_add_nc_u64 s[14:15], s[12:13], s[14:15]
	s_wait_alu 0xfffd
	v_add_co_ci_u32_e64 v6, null, v4, v2, vcc_lo
	s_wait_alu 0xfffe
	v_dual_mov_b32 v22, s15 :: v_dual_mov_b32 v21, s14
	;;#ASMSTART
	global_store_b128 v[21:22], v[5:8] off scope:SCOPE_DEV	
s_wait_storecnt 0x0
	;;#ASMEND
	ds_store_b128 v8, v[1:4] offset:10752
.LBB1786_88:
	s_wait_alu 0xfffe
	s_or_b32 exec_lo, exec_lo, s4
	s_delay_alu instid0(SALU_CYCLE_1)
	s_and_b32 exec_lo, exec_lo, s2
; %bb.89:
	v_mov_b32_e32 v1, 0
	ds_store_b64 v1, v[3:4] offset:88
.LBB1786_90:
	s_wait_alu 0xfffe
	s_or_b32 exec_lo, exec_lo, s3
	v_mov_b32_e32 v3, 0
	s_wait_loadcnt_dscnt 0x0
	s_barrier_signal -1
	s_barrier_wait -1
	global_inv scope:SCOPE_SE
	ds_load_b64 v[1:2], v3 offset:88
	v_cndmask_b32_e64 v4, v38, v19, s1
	v_cndmask_b32_e64 v5, 0, v20, s1
	s_wait_loadcnt_dscnt 0x0
	s_barrier_signal -1
	s_barrier_wait -1
	v_cndmask_b32_e64 v4, v4, 0, s2
	v_cndmask_b32_e64 v5, v5, 0, s2
	global_inv scope:SCOPE_SE
	v_add_co_u32 v23, vcc_lo, v1, v4
	s_wait_alu 0xfffd
	v_add_co_ci_u32_e64 v1, null, v2, v5, vcc_lo
	s_delay_alu instid0(VALU_DEP_2) | instskip(SKIP_1) | instid1(VALU_DEP_2)
	v_add_co_u32 v22, vcc_lo, v23, v33
	s_wait_alu 0xfffd
	v_add_co_ci_u32_e64 v1, null, 0, v1, vcc_lo
	s_delay_alu instid0(VALU_DEP_2) | instskip(SKIP_1) | instid1(VALU_DEP_2)
	v_add_co_u32 v21, vcc_lo, v22, v32
	s_wait_alu 0xfffd
	v_add_co_ci_u32_e64 v5, null, 0, v1, vcc_lo
	ds_load_b128 v[1:4], v3 offset:10752
	v_add_co_u32 v20, vcc_lo, v21, v35
	s_wait_alu 0xfffd
	v_add_co_ci_u32_e64 v5, null, 0, v5, vcc_lo
	s_delay_alu instid0(VALU_DEP_2) | instskip(SKIP_1) | instid1(VALU_DEP_2)
	v_add_co_u32 v19, vcc_lo, v20, v30
	s_wait_alu 0xfffd
	v_add_co_ci_u32_e64 v6, null, 0, v5, vcc_lo
	s_delay_alu instid0(VALU_DEP_2) | instskip(SKIP_1) | instid1(VALU_DEP_2)
	;; [unrolled: 4-line block ×3, first 2 shown]
	v_add_co_u32 v7, vcc_lo, v5, v31
	s_wait_alu 0xfffd
	v_add_co_ci_u32_e64 v6, null, 0, v6, vcc_lo
	s_branch .LBB1786_118
.LBB1786_91:
	s_wait_dscnt 0x0
	v_dual_mov_b32 v2, 0 :: v_dual_mov_b32 v3, v17
	v_mov_b32_dpp v4, v17 row_shr:1 row_mask:0xf bank_mask:0xf
	s_delay_alu instid0(VALU_DEP_2)
	v_mov_b32_dpp v1, v2 row_shr:1 row_mask:0xf bank_mask:0xf
	s_and_saveexec_b32 s1, s0
; %bb.92:
	s_delay_alu instid0(VALU_DEP_2) | instskip(SKIP_2) | instid1(VALU_DEP_2)
	v_add_co_u32 v3, vcc_lo, v17, v4
	s_wait_alu 0xfffd
	v_add_co_ci_u32_e64 v2, null, 0, v18, vcc_lo
	v_add_co_u32 v17, vcc_lo, 0, v3
	s_wait_alu 0xfffd
	s_delay_alu instid0(VALU_DEP_2) | instskip(NEXT) | instid1(VALU_DEP_1)
	v_add_co_ci_u32_e64 v18, null, v1, v2, vcc_lo
	v_mov_b32_e32 v2, v18
; %bb.93:
	s_wait_alu 0xfffe
	s_or_b32 exec_lo, exec_lo, s1
	v_mov_b32_dpp v1, v3 row_shr:2 row_mask:0xf bank_mask:0xf
	s_delay_alu instid0(VALU_DEP_2)
	v_mov_b32_dpp v4, v2 row_shr:2 row_mask:0xf bank_mask:0xf
	v_cmp_lt_u32_e32 vcc_lo, 1, v37
	s_and_saveexec_b32 s3, vcc_lo
; %bb.94:
	s_delay_alu instid0(VALU_DEP_3) | instskip(SKIP_2) | instid1(VALU_DEP_2)
	v_add_co_u32 v3, s1, v17, v1
	s_wait_alu 0xf1ff
	v_add_co_ci_u32_e64 v2, null, 0, v18, s1
	v_add_co_u32 v1, s1, 0, v3
	s_wait_alu 0xf1ff
	s_delay_alu instid0(VALU_DEP_2) | instskip(NEXT) | instid1(VALU_DEP_1)
	v_add_co_ci_u32_e64 v2, null, v4, v2, s1
	v_dual_mov_b32 v18, v2 :: v_dual_mov_b32 v17, v1
; %bb.95:
	s_wait_alu 0xfffe
	s_or_b32 exec_lo, exec_lo, s3
	v_mov_b32_dpp v1, v3 row_shr:4 row_mask:0xf bank_mask:0xf
	v_mov_b32_dpp v4, v2 row_shr:4 row_mask:0xf bank_mask:0xf
	v_cmp_lt_u32_e64 s1, 3, v37
	s_and_saveexec_b32 s4, s1
; %bb.96:
	v_add_co_u32 v3, s3, v17, v1
	s_wait_alu 0xf1ff
	v_add_co_ci_u32_e64 v2, null, 0, v18, s3
	s_delay_alu instid0(VALU_DEP_2) | instskip(SKIP_1) | instid1(VALU_DEP_2)
	v_add_co_u32 v1, s3, 0, v3
	s_wait_alu 0xf1ff
	v_add_co_ci_u32_e64 v2, null, v4, v2, s3
	s_delay_alu instid0(VALU_DEP_1)
	v_dual_mov_b32 v18, v2 :: v_dual_mov_b32 v17, v1
; %bb.97:
	s_wait_alu 0xfffe
	s_or_b32 exec_lo, exec_lo, s4
	v_mov_b32_dpp v4, v3 row_shr:8 row_mask:0xf bank_mask:0xf
	v_mov_b32_dpp v1, v2 row_shr:8 row_mask:0xf bank_mask:0xf
	v_cmp_lt_u32_e64 s3, 7, v37
	s_and_saveexec_b32 s5, s3
; %bb.98:
	v_add_co_u32 v3, s4, v17, v4
	s_wait_alu 0xf1ff
	v_add_co_ci_u32_e64 v2, null, 0, v18, s4
	s_delay_alu instid0(VALU_DEP_2) | instskip(SKIP_1) | instid1(VALU_DEP_2)
	v_add_co_u32 v17, s4, 0, v3
	s_wait_alu 0xf1ff
	v_add_co_ci_u32_e64 v18, null, v1, v2, s4
	s_delay_alu instid0(VALU_DEP_1)
	v_mov_b32_e32 v2, v18
; %bb.99:
	s_wait_alu 0xfffe
	s_or_b32 exec_lo, exec_lo, s5
	ds_swizzle_b32 v3, v3 offset:swizzle(BROADCAST,32,15)
	ds_swizzle_b32 v1, v2 offset:swizzle(BROADCAST,32,15)
	v_and_b32_e32 v2, 16, v36
	s_mov_b32 s5, exec_lo
	s_delay_alu instid0(VALU_DEP_1)
	v_cmpx_ne_u32_e32 0, v2
	s_cbranch_execz .LBB1786_101
; %bb.100:
	s_wait_dscnt 0x1
	v_add_co_u32 v2, s4, v17, v3
	s_wait_alu 0xf1ff
	v_add_co_ci_u32_e64 v3, null, 0, v18, s4
	s_delay_alu instid0(VALU_DEP_2) | instskip(SKIP_2) | instid1(VALU_DEP_2)
	v_add_co_u32 v17, s4, v2, 0
	s_wait_dscnt 0x0
	s_wait_alu 0xf1ff
	v_add_co_ci_u32_e64 v18, null, v3, v1, s4
.LBB1786_101:
	s_wait_alu 0xfffe
	s_or_b32 exec_lo, exec_lo, s5
	s_wait_dscnt 0x0
	v_and_b32_e32 v1, 0x1e0, v0
	v_lshrrev_b32_e32 v3, 5, v0
	s_mov_b32 s5, exec_lo
	s_delay_alu instid0(VALU_DEP_2) | instskip(NEXT) | instid1(VALU_DEP_1)
	v_min_u32_e32 v1, 0x160, v1
	v_or_b32_e32 v1, 31, v1
	s_delay_alu instid0(VALU_DEP_1)
	v_cmpx_eq_u32_e64 v0, v1
; %bb.102:
	v_lshlrev_b32_e32 v1, 3, v3
	ds_store_b64 v1, v[17:18]
; %bb.103:
	s_wait_alu 0xfffe
	s_or_b32 exec_lo, exec_lo, s5
	s_delay_alu instid0(SALU_CYCLE_1)
	s_mov_b32 s5, exec_lo
	s_wait_loadcnt_dscnt 0x0
	s_barrier_signal -1
	s_barrier_wait -1
	global_inv scope:SCOPE_SE
	v_cmpx_gt_u32_e32 12, v0
	s_cbranch_execz .LBB1786_113
; %bb.104:
	v_mad_i32_i24 v1, 0xffffffec, v0, v29
	ds_load_b64 v[1:2], v1
	s_wait_dscnt 0x0
	v_mov_b32_dpp v6, v1 row_shr:1 row_mask:0xf bank_mask:0xf
	v_mov_b32_dpp v5, v2 row_shr:1 row_mask:0xf bank_mask:0xf
	v_mov_b32_e32 v4, v1
	s_and_saveexec_b32 s4, s0
; %bb.105:
	s_delay_alu instid0(VALU_DEP_3) | instskip(SKIP_2) | instid1(VALU_DEP_2)
	v_add_co_u32 v4, s0, v1, v6
	s_wait_alu 0xf1ff
	v_add_co_ci_u32_e64 v2, null, 0, v2, s0
	v_add_co_u32 v1, s0, 0, v4
	s_wait_alu 0xf1ff
	s_delay_alu instid0(VALU_DEP_2)
	v_add_co_ci_u32_e64 v2, null, v5, v2, s0
; %bb.106:
	s_wait_alu 0xfffe
	s_or_b32 exec_lo, exec_lo, s4
	v_mov_b32_dpp v6, v4 row_shr:2 row_mask:0xf bank_mask:0xf
	s_delay_alu instid0(VALU_DEP_2)
	v_mov_b32_dpp v5, v2 row_shr:2 row_mask:0xf bank_mask:0xf
	s_and_saveexec_b32 s0, vcc_lo
; %bb.107:
	s_delay_alu instid0(VALU_DEP_2) | instskip(SKIP_2) | instid1(VALU_DEP_2)
	v_add_co_u32 v4, vcc_lo, v1, v6
	s_wait_alu 0xfffd
	v_add_co_ci_u32_e64 v2, null, 0, v2, vcc_lo
	v_add_co_u32 v1, vcc_lo, 0, v4
	s_wait_alu 0xfffd
	s_delay_alu instid0(VALU_DEP_2)
	v_add_co_ci_u32_e64 v2, null, v5, v2, vcc_lo
; %bb.108:
	s_wait_alu 0xfffe
	s_or_b32 exec_lo, exec_lo, s0
	v_mov_b32_dpp v6, v4 row_shr:4 row_mask:0xf bank_mask:0xf
	s_delay_alu instid0(VALU_DEP_2)
	v_mov_b32_dpp v5, v2 row_shr:4 row_mask:0xf bank_mask:0xf
	s_and_saveexec_b32 s0, s1
; %bb.109:
	s_delay_alu instid0(VALU_DEP_2) | instskip(SKIP_2) | instid1(VALU_DEP_2)
	v_add_co_u32 v4, vcc_lo, v1, v6
	s_wait_alu 0xfffd
	v_add_co_ci_u32_e64 v2, null, 0, v2, vcc_lo
	v_add_co_u32 v1, vcc_lo, 0, v4
	s_wait_alu 0xfffd
	s_delay_alu instid0(VALU_DEP_2)
	v_add_co_ci_u32_e64 v2, null, v5, v2, vcc_lo
; %bb.110:
	s_wait_alu 0xfffe
	s_or_b32 exec_lo, exec_lo, s0
	v_mul_i32_i24_e32 v5, 0xffffffec, v0
	v_mov_b32_dpp v6, v4 row_shr:8 row_mask:0xf bank_mask:0xf
	v_mov_b32_dpp v4, v2 row_shr:8 row_mask:0xf bank_mask:0xf
	s_and_saveexec_b32 s0, s3
; %bb.111:
	s_delay_alu instid0(VALU_DEP_2) | instskip(SKIP_2) | instid1(VALU_DEP_2)
	v_add_co_u32 v1, vcc_lo, v1, v6
	s_wait_alu 0xfffd
	v_add_co_ci_u32_e64 v2, null, 0, v2, vcc_lo
	v_add_co_u32 v1, vcc_lo, v1, 0
	s_wait_alu 0xfffd
	s_delay_alu instid0(VALU_DEP_2)
	v_add_co_ci_u32_e64 v2, null, v2, v4, vcc_lo
; %bb.112:
	s_wait_alu 0xfffe
	s_or_b32 exec_lo, exec_lo, s0
	v_add_nc_u32_e32 v4, v29, v5
	ds_store_b64 v4, v[1:2]
.LBB1786_113:
	s_wait_alu 0xfffe
	s_or_b32 exec_lo, exec_lo, s5
	v_mov_b32_e32 v5, 0
	v_mov_b32_e32 v6, 0
	s_mov_b32 s0, exec_lo
	s_wait_loadcnt_dscnt 0x0
	s_barrier_signal -1
	s_barrier_wait -1
	global_inv scope:SCOPE_SE
	v_cmpx_lt_u32_e32 31, v0
; %bb.114:
	v_lshl_add_u32 v0, v3, 3, -8
	ds_load_b64 v[5:6], v0
; %bb.115:
	s_wait_alu 0xfffe
	s_or_b32 exec_lo, exec_lo, s0
	v_sub_co_u32 v0, vcc_lo, v36, 1
	s_wait_dscnt 0x0
	v_dual_mov_b32 v4, 0 :: v_dual_add_nc_u32 v1, v5, v17
	s_delay_alu instid0(VALU_DEP_2) | instskip(SKIP_1) | instid1(VALU_DEP_1)
	v_cmp_gt_i32_e64 s0, 0, v0
	s_wait_alu 0xf1ff
	v_cndmask_b32_e64 v0, v0, v36, s0
	s_delay_alu instid0(VALU_DEP_1)
	v_lshlrev_b32_e32 v0, 2, v0
	ds_bpermute_b32 v0, v0, v1
	ds_load_b64 v[1:2], v4 offset:88
	s_and_saveexec_b32 s0, s2
	s_cbranch_execz .LBB1786_117
; %bb.116:
	s_add_nc_u64 s[4:5], s[12:13], 0x200
	s_wait_alu 0xfffe
	v_dual_mov_b32 v3, 2 :: v_dual_mov_b32 v8, s5
	v_mov_b32_e32 v7, s4
	s_wait_dscnt 0x0
	;;#ASMSTART
	global_store_b128 v[7:8], v[1:4] off scope:SCOPE_DEV	
s_wait_storecnt 0x0
	;;#ASMEND
.LBB1786_117:
	s_wait_alu 0xfffe
	s_or_b32 exec_lo, exec_lo, s0
	s_wait_dscnt 0x1
	s_wait_alu 0xfffd
	v_dual_cndmask_b32 v0, v0, v5 :: v_dual_cndmask_b32 v3, 0, v6
	s_wait_loadcnt_dscnt 0x0
	s_barrier_signal -1
	s_barrier_wait -1
	s_delay_alu instid0(VALU_DEP_1)
	v_cndmask_b32_e64 v23, v0, 0, s2
	v_cndmask_b32_e64 v0, v3, 0, s2
	v_mov_b32_e32 v3, 0
	v_mov_b32_e32 v4, 0
	global_inv scope:SCOPE_SE
	v_add_co_u32 v22, vcc_lo, v23, v33
	s_wait_alu 0xfffd
	v_add_co_ci_u32_e64 v0, null, 0, v0, vcc_lo
	s_delay_alu instid0(VALU_DEP_2) | instskip(SKIP_1) | instid1(VALU_DEP_2)
	v_add_co_u32 v21, vcc_lo, v22, v32
	s_wait_alu 0xfffd
	v_add_co_ci_u32_e64 v0, null, 0, v0, vcc_lo
	s_delay_alu instid0(VALU_DEP_2) | instskip(SKIP_1) | instid1(VALU_DEP_2)
	;; [unrolled: 4-line block ×5, first 2 shown]
	v_add_co_u32 v7, vcc_lo, v5, v31
	s_wait_alu 0xfffd
	v_add_co_ci_u32_e64 v0, null, 0, v0, vcc_lo
.LBB1786_118:
	s_wait_dscnt 0x0
	v_cmp_gt_u64_e32 vcc_lo, 0x181, v[1:2]
	v_lshrrev_b32_e32 v6, 8, v28
	v_lshrrev_b32_e32 v0, 16, v28
	s_cbranch_vccz .LBB1786_121
; %bb.119:
	s_and_b32 s0, s2, s7
	s_wait_alu 0xfffe
	s_and_saveexec_b32 s1, s0
	s_cbranch_execnz .LBB1786_136
.LBB1786_120:
	s_endpgm
.LBB1786_121:
	v_and_b32_e32 v8, 1, v28
	s_mov_b32 s0, exec_lo
	s_delay_alu instid0(VALU_DEP_1)
	v_cmpx_eq_u32_e32 1, v8
; %bb.122:
	v_sub_nc_u32_e32 v8, v23, v3
	s_delay_alu instid0(VALU_DEP_1)
	v_lshlrev_b32_e32 v8, 2, v8
	ds_store_b32 v8, v15
; %bb.123:
	s_wait_alu 0xfffe
	s_or_b32 exec_lo, exec_lo, s0
	v_and_b32_e32 v6, 1, v6
	s_mov_b32 s0, exec_lo
	s_delay_alu instid0(VALU_DEP_1)
	v_cmpx_eq_u32_e32 1, v6
; %bb.124:
	v_sub_nc_u32_e32 v6, v22, v3
	s_delay_alu instid0(VALU_DEP_1)
	v_lshlrev_b32_e32 v6, 2, v6
	ds_store_b32 v6, v16
; %bb.125:
	s_wait_alu 0xfffe
	s_or_b32 exec_lo, exec_lo, s0
	;; [unrolled: 12-line block ×6, first 2 shown]
	s_and_saveexec_b32 s0, s10
; %bb.134:
	v_sub_nc_u32_e32 v0, v7, v3
	s_delay_alu instid0(VALU_DEP_1)
	v_lshlrev_b32_e32 v0, 2, v0
	ds_store_b32 v0, v25
; %bb.135:
	s_wait_alu 0xfffe
	s_or_b32 exec_lo, exec_lo, s0
	s_wait_loadcnt_dscnt 0x0
	s_barrier_signal -1
	s_barrier_wait -1
	global_inv scope:SCOPE_SE
	s_and_b32 s0, s2, s7
	s_wait_alu 0xfffe
	s_and_saveexec_b32 s1, s0
	s_cbranch_execz .LBB1786_120
.LBB1786_136:
	v_add_co_u32 v0, vcc_lo, v1, v9
	s_wait_alu 0xfffd
	v_add_co_ci_u32_e64 v1, null, v2, v10, vcc_lo
	v_mov_b32_e32 v2, 0
	s_delay_alu instid0(VALU_DEP_3) | instskip(SKIP_1) | instid1(VALU_DEP_3)
	v_add_co_u32 v0, vcc_lo, v0, v3
	s_wait_alu 0xfffd
	v_add_co_ci_u32_e64 v1, null, v1, v4, vcc_lo
	global_store_b64 v2, v[0:1], s[8:9]
	s_endpgm
	.section	.rodata,"a",@progbits
	.p2align	6, 0x0
	.amdhsa_kernel _ZN7rocprim17ROCPRIM_400000_NS6detail17trampoline_kernelINS0_14default_configENS1_25partition_config_selectorILNS1_17partition_subalgoE6EiNS0_10empty_typeEbEEZZNS1_14partition_implILS5_6ELb0ES3_mN6thrust23THRUST_200600_302600_NS6detail15normal_iteratorINSA_10device_ptrIiEEEEPS6_SG_NS0_5tupleIJNSA_16discard_iteratorINSA_11use_defaultEEES6_EEENSH_IJSG_SG_EEES6_PlJNSB_9not_fun_tINSB_14equal_to_valueIiEEEEEEE10hipError_tPvRmT3_T4_T5_T6_T7_T9_mT8_P12ihipStream_tbDpT10_ENKUlT_T0_E_clISt17integral_constantIbLb0EES1A_IbLb1EEEEDaS16_S17_EUlS16_E_NS1_11comp_targetILNS1_3genE10ELNS1_11target_archE1200ELNS1_3gpuE4ELNS1_3repE0EEENS1_30default_config_static_selectorELNS0_4arch9wavefront6targetE0EEEvT1_
		.amdhsa_group_segment_fixed_size 10768
		.amdhsa_private_segment_fixed_size 0
		.amdhsa_kernarg_size 136
		.amdhsa_user_sgpr_count 2
		.amdhsa_user_sgpr_dispatch_ptr 0
		.amdhsa_user_sgpr_queue_ptr 0
		.amdhsa_user_sgpr_kernarg_segment_ptr 1
		.amdhsa_user_sgpr_dispatch_id 0
		.amdhsa_user_sgpr_private_segment_size 0
		.amdhsa_wavefront_size32 1
		.amdhsa_uses_dynamic_stack 0
		.amdhsa_enable_private_segment 0
		.amdhsa_system_sgpr_workgroup_id_x 1
		.amdhsa_system_sgpr_workgroup_id_y 0
		.amdhsa_system_sgpr_workgroup_id_z 0
		.amdhsa_system_sgpr_workgroup_info 0
		.amdhsa_system_vgpr_workitem_id 0
		.amdhsa_next_free_vgpr 50
		.amdhsa_next_free_sgpr 20
		.amdhsa_reserve_vcc 1
		.amdhsa_float_round_mode_32 0
		.amdhsa_float_round_mode_16_64 0
		.amdhsa_float_denorm_mode_32 3
		.amdhsa_float_denorm_mode_16_64 3
		.amdhsa_fp16_overflow 0
		.amdhsa_workgroup_processor_mode 1
		.amdhsa_memory_ordered 1
		.amdhsa_forward_progress 1
		.amdhsa_inst_pref_size 53
		.amdhsa_round_robin_scheduling 0
		.amdhsa_exception_fp_ieee_invalid_op 0
		.amdhsa_exception_fp_denorm_src 0
		.amdhsa_exception_fp_ieee_div_zero 0
		.amdhsa_exception_fp_ieee_overflow 0
		.amdhsa_exception_fp_ieee_underflow 0
		.amdhsa_exception_fp_ieee_inexact 0
		.amdhsa_exception_int_div_zero 0
	.end_amdhsa_kernel
	.section	.text._ZN7rocprim17ROCPRIM_400000_NS6detail17trampoline_kernelINS0_14default_configENS1_25partition_config_selectorILNS1_17partition_subalgoE6EiNS0_10empty_typeEbEEZZNS1_14partition_implILS5_6ELb0ES3_mN6thrust23THRUST_200600_302600_NS6detail15normal_iteratorINSA_10device_ptrIiEEEEPS6_SG_NS0_5tupleIJNSA_16discard_iteratorINSA_11use_defaultEEES6_EEENSH_IJSG_SG_EEES6_PlJNSB_9not_fun_tINSB_14equal_to_valueIiEEEEEEE10hipError_tPvRmT3_T4_T5_T6_T7_T9_mT8_P12ihipStream_tbDpT10_ENKUlT_T0_E_clISt17integral_constantIbLb0EES1A_IbLb1EEEEDaS16_S17_EUlS16_E_NS1_11comp_targetILNS1_3genE10ELNS1_11target_archE1200ELNS1_3gpuE4ELNS1_3repE0EEENS1_30default_config_static_selectorELNS0_4arch9wavefront6targetE0EEEvT1_,"axG",@progbits,_ZN7rocprim17ROCPRIM_400000_NS6detail17trampoline_kernelINS0_14default_configENS1_25partition_config_selectorILNS1_17partition_subalgoE6EiNS0_10empty_typeEbEEZZNS1_14partition_implILS5_6ELb0ES3_mN6thrust23THRUST_200600_302600_NS6detail15normal_iteratorINSA_10device_ptrIiEEEEPS6_SG_NS0_5tupleIJNSA_16discard_iteratorINSA_11use_defaultEEES6_EEENSH_IJSG_SG_EEES6_PlJNSB_9not_fun_tINSB_14equal_to_valueIiEEEEEEE10hipError_tPvRmT3_T4_T5_T6_T7_T9_mT8_P12ihipStream_tbDpT10_ENKUlT_T0_E_clISt17integral_constantIbLb0EES1A_IbLb1EEEEDaS16_S17_EUlS16_E_NS1_11comp_targetILNS1_3genE10ELNS1_11target_archE1200ELNS1_3gpuE4ELNS1_3repE0EEENS1_30default_config_static_selectorELNS0_4arch9wavefront6targetE0EEEvT1_,comdat
.Lfunc_end1786:
	.size	_ZN7rocprim17ROCPRIM_400000_NS6detail17trampoline_kernelINS0_14default_configENS1_25partition_config_selectorILNS1_17partition_subalgoE6EiNS0_10empty_typeEbEEZZNS1_14partition_implILS5_6ELb0ES3_mN6thrust23THRUST_200600_302600_NS6detail15normal_iteratorINSA_10device_ptrIiEEEEPS6_SG_NS0_5tupleIJNSA_16discard_iteratorINSA_11use_defaultEEES6_EEENSH_IJSG_SG_EEES6_PlJNSB_9not_fun_tINSB_14equal_to_valueIiEEEEEEE10hipError_tPvRmT3_T4_T5_T6_T7_T9_mT8_P12ihipStream_tbDpT10_ENKUlT_T0_E_clISt17integral_constantIbLb0EES1A_IbLb1EEEEDaS16_S17_EUlS16_E_NS1_11comp_targetILNS1_3genE10ELNS1_11target_archE1200ELNS1_3gpuE4ELNS1_3repE0EEENS1_30default_config_static_selectorELNS0_4arch9wavefront6targetE0EEEvT1_, .Lfunc_end1786-_ZN7rocprim17ROCPRIM_400000_NS6detail17trampoline_kernelINS0_14default_configENS1_25partition_config_selectorILNS1_17partition_subalgoE6EiNS0_10empty_typeEbEEZZNS1_14partition_implILS5_6ELb0ES3_mN6thrust23THRUST_200600_302600_NS6detail15normal_iteratorINSA_10device_ptrIiEEEEPS6_SG_NS0_5tupleIJNSA_16discard_iteratorINSA_11use_defaultEEES6_EEENSH_IJSG_SG_EEES6_PlJNSB_9not_fun_tINSB_14equal_to_valueIiEEEEEEE10hipError_tPvRmT3_T4_T5_T6_T7_T9_mT8_P12ihipStream_tbDpT10_ENKUlT_T0_E_clISt17integral_constantIbLb0EES1A_IbLb1EEEEDaS16_S17_EUlS16_E_NS1_11comp_targetILNS1_3genE10ELNS1_11target_archE1200ELNS1_3gpuE4ELNS1_3repE0EEENS1_30default_config_static_selectorELNS0_4arch9wavefront6targetE0EEEvT1_
                                        ; -- End function
	.set _ZN7rocprim17ROCPRIM_400000_NS6detail17trampoline_kernelINS0_14default_configENS1_25partition_config_selectorILNS1_17partition_subalgoE6EiNS0_10empty_typeEbEEZZNS1_14partition_implILS5_6ELb0ES3_mN6thrust23THRUST_200600_302600_NS6detail15normal_iteratorINSA_10device_ptrIiEEEEPS6_SG_NS0_5tupleIJNSA_16discard_iteratorINSA_11use_defaultEEES6_EEENSH_IJSG_SG_EEES6_PlJNSB_9not_fun_tINSB_14equal_to_valueIiEEEEEEE10hipError_tPvRmT3_T4_T5_T6_T7_T9_mT8_P12ihipStream_tbDpT10_ENKUlT_T0_E_clISt17integral_constantIbLb0EES1A_IbLb1EEEEDaS16_S17_EUlS16_E_NS1_11comp_targetILNS1_3genE10ELNS1_11target_archE1200ELNS1_3gpuE4ELNS1_3repE0EEENS1_30default_config_static_selectorELNS0_4arch9wavefront6targetE0EEEvT1_.num_vgpr, 50
	.set _ZN7rocprim17ROCPRIM_400000_NS6detail17trampoline_kernelINS0_14default_configENS1_25partition_config_selectorILNS1_17partition_subalgoE6EiNS0_10empty_typeEbEEZZNS1_14partition_implILS5_6ELb0ES3_mN6thrust23THRUST_200600_302600_NS6detail15normal_iteratorINSA_10device_ptrIiEEEEPS6_SG_NS0_5tupleIJNSA_16discard_iteratorINSA_11use_defaultEEES6_EEENSH_IJSG_SG_EEES6_PlJNSB_9not_fun_tINSB_14equal_to_valueIiEEEEEEE10hipError_tPvRmT3_T4_T5_T6_T7_T9_mT8_P12ihipStream_tbDpT10_ENKUlT_T0_E_clISt17integral_constantIbLb0EES1A_IbLb1EEEEDaS16_S17_EUlS16_E_NS1_11comp_targetILNS1_3genE10ELNS1_11target_archE1200ELNS1_3gpuE4ELNS1_3repE0EEENS1_30default_config_static_selectorELNS0_4arch9wavefront6targetE0EEEvT1_.num_agpr, 0
	.set _ZN7rocprim17ROCPRIM_400000_NS6detail17trampoline_kernelINS0_14default_configENS1_25partition_config_selectorILNS1_17partition_subalgoE6EiNS0_10empty_typeEbEEZZNS1_14partition_implILS5_6ELb0ES3_mN6thrust23THRUST_200600_302600_NS6detail15normal_iteratorINSA_10device_ptrIiEEEEPS6_SG_NS0_5tupleIJNSA_16discard_iteratorINSA_11use_defaultEEES6_EEENSH_IJSG_SG_EEES6_PlJNSB_9not_fun_tINSB_14equal_to_valueIiEEEEEEE10hipError_tPvRmT3_T4_T5_T6_T7_T9_mT8_P12ihipStream_tbDpT10_ENKUlT_T0_E_clISt17integral_constantIbLb0EES1A_IbLb1EEEEDaS16_S17_EUlS16_E_NS1_11comp_targetILNS1_3genE10ELNS1_11target_archE1200ELNS1_3gpuE4ELNS1_3repE0EEENS1_30default_config_static_selectorELNS0_4arch9wavefront6targetE0EEEvT1_.numbered_sgpr, 20
	.set _ZN7rocprim17ROCPRIM_400000_NS6detail17trampoline_kernelINS0_14default_configENS1_25partition_config_selectorILNS1_17partition_subalgoE6EiNS0_10empty_typeEbEEZZNS1_14partition_implILS5_6ELb0ES3_mN6thrust23THRUST_200600_302600_NS6detail15normal_iteratorINSA_10device_ptrIiEEEEPS6_SG_NS0_5tupleIJNSA_16discard_iteratorINSA_11use_defaultEEES6_EEENSH_IJSG_SG_EEES6_PlJNSB_9not_fun_tINSB_14equal_to_valueIiEEEEEEE10hipError_tPvRmT3_T4_T5_T6_T7_T9_mT8_P12ihipStream_tbDpT10_ENKUlT_T0_E_clISt17integral_constantIbLb0EES1A_IbLb1EEEEDaS16_S17_EUlS16_E_NS1_11comp_targetILNS1_3genE10ELNS1_11target_archE1200ELNS1_3gpuE4ELNS1_3repE0EEENS1_30default_config_static_selectorELNS0_4arch9wavefront6targetE0EEEvT1_.num_named_barrier, 0
	.set _ZN7rocprim17ROCPRIM_400000_NS6detail17trampoline_kernelINS0_14default_configENS1_25partition_config_selectorILNS1_17partition_subalgoE6EiNS0_10empty_typeEbEEZZNS1_14partition_implILS5_6ELb0ES3_mN6thrust23THRUST_200600_302600_NS6detail15normal_iteratorINSA_10device_ptrIiEEEEPS6_SG_NS0_5tupleIJNSA_16discard_iteratorINSA_11use_defaultEEES6_EEENSH_IJSG_SG_EEES6_PlJNSB_9not_fun_tINSB_14equal_to_valueIiEEEEEEE10hipError_tPvRmT3_T4_T5_T6_T7_T9_mT8_P12ihipStream_tbDpT10_ENKUlT_T0_E_clISt17integral_constantIbLb0EES1A_IbLb1EEEEDaS16_S17_EUlS16_E_NS1_11comp_targetILNS1_3genE10ELNS1_11target_archE1200ELNS1_3gpuE4ELNS1_3repE0EEENS1_30default_config_static_selectorELNS0_4arch9wavefront6targetE0EEEvT1_.private_seg_size, 0
	.set _ZN7rocprim17ROCPRIM_400000_NS6detail17trampoline_kernelINS0_14default_configENS1_25partition_config_selectorILNS1_17partition_subalgoE6EiNS0_10empty_typeEbEEZZNS1_14partition_implILS5_6ELb0ES3_mN6thrust23THRUST_200600_302600_NS6detail15normal_iteratorINSA_10device_ptrIiEEEEPS6_SG_NS0_5tupleIJNSA_16discard_iteratorINSA_11use_defaultEEES6_EEENSH_IJSG_SG_EEES6_PlJNSB_9not_fun_tINSB_14equal_to_valueIiEEEEEEE10hipError_tPvRmT3_T4_T5_T6_T7_T9_mT8_P12ihipStream_tbDpT10_ENKUlT_T0_E_clISt17integral_constantIbLb0EES1A_IbLb1EEEEDaS16_S17_EUlS16_E_NS1_11comp_targetILNS1_3genE10ELNS1_11target_archE1200ELNS1_3gpuE4ELNS1_3repE0EEENS1_30default_config_static_selectorELNS0_4arch9wavefront6targetE0EEEvT1_.uses_vcc, 1
	.set _ZN7rocprim17ROCPRIM_400000_NS6detail17trampoline_kernelINS0_14default_configENS1_25partition_config_selectorILNS1_17partition_subalgoE6EiNS0_10empty_typeEbEEZZNS1_14partition_implILS5_6ELb0ES3_mN6thrust23THRUST_200600_302600_NS6detail15normal_iteratorINSA_10device_ptrIiEEEEPS6_SG_NS0_5tupleIJNSA_16discard_iteratorINSA_11use_defaultEEES6_EEENSH_IJSG_SG_EEES6_PlJNSB_9not_fun_tINSB_14equal_to_valueIiEEEEEEE10hipError_tPvRmT3_T4_T5_T6_T7_T9_mT8_P12ihipStream_tbDpT10_ENKUlT_T0_E_clISt17integral_constantIbLb0EES1A_IbLb1EEEEDaS16_S17_EUlS16_E_NS1_11comp_targetILNS1_3genE10ELNS1_11target_archE1200ELNS1_3gpuE4ELNS1_3repE0EEENS1_30default_config_static_selectorELNS0_4arch9wavefront6targetE0EEEvT1_.uses_flat_scratch, 1
	.set _ZN7rocprim17ROCPRIM_400000_NS6detail17trampoline_kernelINS0_14default_configENS1_25partition_config_selectorILNS1_17partition_subalgoE6EiNS0_10empty_typeEbEEZZNS1_14partition_implILS5_6ELb0ES3_mN6thrust23THRUST_200600_302600_NS6detail15normal_iteratorINSA_10device_ptrIiEEEEPS6_SG_NS0_5tupleIJNSA_16discard_iteratorINSA_11use_defaultEEES6_EEENSH_IJSG_SG_EEES6_PlJNSB_9not_fun_tINSB_14equal_to_valueIiEEEEEEE10hipError_tPvRmT3_T4_T5_T6_T7_T9_mT8_P12ihipStream_tbDpT10_ENKUlT_T0_E_clISt17integral_constantIbLb0EES1A_IbLb1EEEEDaS16_S17_EUlS16_E_NS1_11comp_targetILNS1_3genE10ELNS1_11target_archE1200ELNS1_3gpuE4ELNS1_3repE0EEENS1_30default_config_static_selectorELNS0_4arch9wavefront6targetE0EEEvT1_.has_dyn_sized_stack, 0
	.set _ZN7rocprim17ROCPRIM_400000_NS6detail17trampoline_kernelINS0_14default_configENS1_25partition_config_selectorILNS1_17partition_subalgoE6EiNS0_10empty_typeEbEEZZNS1_14partition_implILS5_6ELb0ES3_mN6thrust23THRUST_200600_302600_NS6detail15normal_iteratorINSA_10device_ptrIiEEEEPS6_SG_NS0_5tupleIJNSA_16discard_iteratorINSA_11use_defaultEEES6_EEENSH_IJSG_SG_EEES6_PlJNSB_9not_fun_tINSB_14equal_to_valueIiEEEEEEE10hipError_tPvRmT3_T4_T5_T6_T7_T9_mT8_P12ihipStream_tbDpT10_ENKUlT_T0_E_clISt17integral_constantIbLb0EES1A_IbLb1EEEEDaS16_S17_EUlS16_E_NS1_11comp_targetILNS1_3genE10ELNS1_11target_archE1200ELNS1_3gpuE4ELNS1_3repE0EEENS1_30default_config_static_selectorELNS0_4arch9wavefront6targetE0EEEvT1_.has_recursion, 0
	.set _ZN7rocprim17ROCPRIM_400000_NS6detail17trampoline_kernelINS0_14default_configENS1_25partition_config_selectorILNS1_17partition_subalgoE6EiNS0_10empty_typeEbEEZZNS1_14partition_implILS5_6ELb0ES3_mN6thrust23THRUST_200600_302600_NS6detail15normal_iteratorINSA_10device_ptrIiEEEEPS6_SG_NS0_5tupleIJNSA_16discard_iteratorINSA_11use_defaultEEES6_EEENSH_IJSG_SG_EEES6_PlJNSB_9not_fun_tINSB_14equal_to_valueIiEEEEEEE10hipError_tPvRmT3_T4_T5_T6_T7_T9_mT8_P12ihipStream_tbDpT10_ENKUlT_T0_E_clISt17integral_constantIbLb0EES1A_IbLb1EEEEDaS16_S17_EUlS16_E_NS1_11comp_targetILNS1_3genE10ELNS1_11target_archE1200ELNS1_3gpuE4ELNS1_3repE0EEENS1_30default_config_static_selectorELNS0_4arch9wavefront6targetE0EEEvT1_.has_indirect_call, 0
	.section	.AMDGPU.csdata,"",@progbits
; Kernel info:
; codeLenInByte = 6692
; TotalNumSgprs: 22
; NumVgprs: 50
; ScratchSize: 0
; MemoryBound: 0
; FloatMode: 240
; IeeeMode: 1
; LDSByteSize: 10768 bytes/workgroup (compile time only)
; SGPRBlocks: 0
; VGPRBlocks: 6
; NumSGPRsForWavesPerEU: 22
; NumVGPRsForWavesPerEU: 50
; Occupancy: 15
; WaveLimiterHint : 1
; COMPUTE_PGM_RSRC2:SCRATCH_EN: 0
; COMPUTE_PGM_RSRC2:USER_SGPR: 2
; COMPUTE_PGM_RSRC2:TRAP_HANDLER: 0
; COMPUTE_PGM_RSRC2:TGID_X_EN: 1
; COMPUTE_PGM_RSRC2:TGID_Y_EN: 0
; COMPUTE_PGM_RSRC2:TGID_Z_EN: 0
; COMPUTE_PGM_RSRC2:TIDIG_COMP_CNT: 0
	.section	.text._ZN7rocprim17ROCPRIM_400000_NS6detail17trampoline_kernelINS0_14default_configENS1_25partition_config_selectorILNS1_17partition_subalgoE6EiNS0_10empty_typeEbEEZZNS1_14partition_implILS5_6ELb0ES3_mN6thrust23THRUST_200600_302600_NS6detail15normal_iteratorINSA_10device_ptrIiEEEEPS6_SG_NS0_5tupleIJNSA_16discard_iteratorINSA_11use_defaultEEES6_EEENSH_IJSG_SG_EEES6_PlJNSB_9not_fun_tINSB_14equal_to_valueIiEEEEEEE10hipError_tPvRmT3_T4_T5_T6_T7_T9_mT8_P12ihipStream_tbDpT10_ENKUlT_T0_E_clISt17integral_constantIbLb0EES1A_IbLb1EEEEDaS16_S17_EUlS16_E_NS1_11comp_targetILNS1_3genE9ELNS1_11target_archE1100ELNS1_3gpuE3ELNS1_3repE0EEENS1_30default_config_static_selectorELNS0_4arch9wavefront6targetE0EEEvT1_,"axG",@progbits,_ZN7rocprim17ROCPRIM_400000_NS6detail17trampoline_kernelINS0_14default_configENS1_25partition_config_selectorILNS1_17partition_subalgoE6EiNS0_10empty_typeEbEEZZNS1_14partition_implILS5_6ELb0ES3_mN6thrust23THRUST_200600_302600_NS6detail15normal_iteratorINSA_10device_ptrIiEEEEPS6_SG_NS0_5tupleIJNSA_16discard_iteratorINSA_11use_defaultEEES6_EEENSH_IJSG_SG_EEES6_PlJNSB_9not_fun_tINSB_14equal_to_valueIiEEEEEEE10hipError_tPvRmT3_T4_T5_T6_T7_T9_mT8_P12ihipStream_tbDpT10_ENKUlT_T0_E_clISt17integral_constantIbLb0EES1A_IbLb1EEEEDaS16_S17_EUlS16_E_NS1_11comp_targetILNS1_3genE9ELNS1_11target_archE1100ELNS1_3gpuE3ELNS1_3repE0EEENS1_30default_config_static_selectorELNS0_4arch9wavefront6targetE0EEEvT1_,comdat
	.protected	_ZN7rocprim17ROCPRIM_400000_NS6detail17trampoline_kernelINS0_14default_configENS1_25partition_config_selectorILNS1_17partition_subalgoE6EiNS0_10empty_typeEbEEZZNS1_14partition_implILS5_6ELb0ES3_mN6thrust23THRUST_200600_302600_NS6detail15normal_iteratorINSA_10device_ptrIiEEEEPS6_SG_NS0_5tupleIJNSA_16discard_iteratorINSA_11use_defaultEEES6_EEENSH_IJSG_SG_EEES6_PlJNSB_9not_fun_tINSB_14equal_to_valueIiEEEEEEE10hipError_tPvRmT3_T4_T5_T6_T7_T9_mT8_P12ihipStream_tbDpT10_ENKUlT_T0_E_clISt17integral_constantIbLb0EES1A_IbLb1EEEEDaS16_S17_EUlS16_E_NS1_11comp_targetILNS1_3genE9ELNS1_11target_archE1100ELNS1_3gpuE3ELNS1_3repE0EEENS1_30default_config_static_selectorELNS0_4arch9wavefront6targetE0EEEvT1_ ; -- Begin function _ZN7rocprim17ROCPRIM_400000_NS6detail17trampoline_kernelINS0_14default_configENS1_25partition_config_selectorILNS1_17partition_subalgoE6EiNS0_10empty_typeEbEEZZNS1_14partition_implILS5_6ELb0ES3_mN6thrust23THRUST_200600_302600_NS6detail15normal_iteratorINSA_10device_ptrIiEEEEPS6_SG_NS0_5tupleIJNSA_16discard_iteratorINSA_11use_defaultEEES6_EEENSH_IJSG_SG_EEES6_PlJNSB_9not_fun_tINSB_14equal_to_valueIiEEEEEEE10hipError_tPvRmT3_T4_T5_T6_T7_T9_mT8_P12ihipStream_tbDpT10_ENKUlT_T0_E_clISt17integral_constantIbLb0EES1A_IbLb1EEEEDaS16_S17_EUlS16_E_NS1_11comp_targetILNS1_3genE9ELNS1_11target_archE1100ELNS1_3gpuE3ELNS1_3repE0EEENS1_30default_config_static_selectorELNS0_4arch9wavefront6targetE0EEEvT1_
	.globl	_ZN7rocprim17ROCPRIM_400000_NS6detail17trampoline_kernelINS0_14default_configENS1_25partition_config_selectorILNS1_17partition_subalgoE6EiNS0_10empty_typeEbEEZZNS1_14partition_implILS5_6ELb0ES3_mN6thrust23THRUST_200600_302600_NS6detail15normal_iteratorINSA_10device_ptrIiEEEEPS6_SG_NS0_5tupleIJNSA_16discard_iteratorINSA_11use_defaultEEES6_EEENSH_IJSG_SG_EEES6_PlJNSB_9not_fun_tINSB_14equal_to_valueIiEEEEEEE10hipError_tPvRmT3_T4_T5_T6_T7_T9_mT8_P12ihipStream_tbDpT10_ENKUlT_T0_E_clISt17integral_constantIbLb0EES1A_IbLb1EEEEDaS16_S17_EUlS16_E_NS1_11comp_targetILNS1_3genE9ELNS1_11target_archE1100ELNS1_3gpuE3ELNS1_3repE0EEENS1_30default_config_static_selectorELNS0_4arch9wavefront6targetE0EEEvT1_
	.p2align	8
	.type	_ZN7rocprim17ROCPRIM_400000_NS6detail17trampoline_kernelINS0_14default_configENS1_25partition_config_selectorILNS1_17partition_subalgoE6EiNS0_10empty_typeEbEEZZNS1_14partition_implILS5_6ELb0ES3_mN6thrust23THRUST_200600_302600_NS6detail15normal_iteratorINSA_10device_ptrIiEEEEPS6_SG_NS0_5tupleIJNSA_16discard_iteratorINSA_11use_defaultEEES6_EEENSH_IJSG_SG_EEES6_PlJNSB_9not_fun_tINSB_14equal_to_valueIiEEEEEEE10hipError_tPvRmT3_T4_T5_T6_T7_T9_mT8_P12ihipStream_tbDpT10_ENKUlT_T0_E_clISt17integral_constantIbLb0EES1A_IbLb1EEEEDaS16_S17_EUlS16_E_NS1_11comp_targetILNS1_3genE9ELNS1_11target_archE1100ELNS1_3gpuE3ELNS1_3repE0EEENS1_30default_config_static_selectorELNS0_4arch9wavefront6targetE0EEEvT1_,@function
_ZN7rocprim17ROCPRIM_400000_NS6detail17trampoline_kernelINS0_14default_configENS1_25partition_config_selectorILNS1_17partition_subalgoE6EiNS0_10empty_typeEbEEZZNS1_14partition_implILS5_6ELb0ES3_mN6thrust23THRUST_200600_302600_NS6detail15normal_iteratorINSA_10device_ptrIiEEEEPS6_SG_NS0_5tupleIJNSA_16discard_iteratorINSA_11use_defaultEEES6_EEENSH_IJSG_SG_EEES6_PlJNSB_9not_fun_tINSB_14equal_to_valueIiEEEEEEE10hipError_tPvRmT3_T4_T5_T6_T7_T9_mT8_P12ihipStream_tbDpT10_ENKUlT_T0_E_clISt17integral_constantIbLb0EES1A_IbLb1EEEEDaS16_S17_EUlS16_E_NS1_11comp_targetILNS1_3genE9ELNS1_11target_archE1100ELNS1_3gpuE3ELNS1_3repE0EEENS1_30default_config_static_selectorELNS0_4arch9wavefront6targetE0EEEvT1_: ; @_ZN7rocprim17ROCPRIM_400000_NS6detail17trampoline_kernelINS0_14default_configENS1_25partition_config_selectorILNS1_17partition_subalgoE6EiNS0_10empty_typeEbEEZZNS1_14partition_implILS5_6ELb0ES3_mN6thrust23THRUST_200600_302600_NS6detail15normal_iteratorINSA_10device_ptrIiEEEEPS6_SG_NS0_5tupleIJNSA_16discard_iteratorINSA_11use_defaultEEES6_EEENSH_IJSG_SG_EEES6_PlJNSB_9not_fun_tINSB_14equal_to_valueIiEEEEEEE10hipError_tPvRmT3_T4_T5_T6_T7_T9_mT8_P12ihipStream_tbDpT10_ENKUlT_T0_E_clISt17integral_constantIbLb0EES1A_IbLb1EEEEDaS16_S17_EUlS16_E_NS1_11comp_targetILNS1_3genE9ELNS1_11target_archE1100ELNS1_3gpuE3ELNS1_3repE0EEENS1_30default_config_static_selectorELNS0_4arch9wavefront6targetE0EEEvT1_
; %bb.0:
	.section	.rodata,"a",@progbits
	.p2align	6, 0x0
	.amdhsa_kernel _ZN7rocprim17ROCPRIM_400000_NS6detail17trampoline_kernelINS0_14default_configENS1_25partition_config_selectorILNS1_17partition_subalgoE6EiNS0_10empty_typeEbEEZZNS1_14partition_implILS5_6ELb0ES3_mN6thrust23THRUST_200600_302600_NS6detail15normal_iteratorINSA_10device_ptrIiEEEEPS6_SG_NS0_5tupleIJNSA_16discard_iteratorINSA_11use_defaultEEES6_EEENSH_IJSG_SG_EEES6_PlJNSB_9not_fun_tINSB_14equal_to_valueIiEEEEEEE10hipError_tPvRmT3_T4_T5_T6_T7_T9_mT8_P12ihipStream_tbDpT10_ENKUlT_T0_E_clISt17integral_constantIbLb0EES1A_IbLb1EEEEDaS16_S17_EUlS16_E_NS1_11comp_targetILNS1_3genE9ELNS1_11target_archE1100ELNS1_3gpuE3ELNS1_3repE0EEENS1_30default_config_static_selectorELNS0_4arch9wavefront6targetE0EEEvT1_
		.amdhsa_group_segment_fixed_size 0
		.amdhsa_private_segment_fixed_size 0
		.amdhsa_kernarg_size 136
		.amdhsa_user_sgpr_count 2
		.amdhsa_user_sgpr_dispatch_ptr 0
		.amdhsa_user_sgpr_queue_ptr 0
		.amdhsa_user_sgpr_kernarg_segment_ptr 1
		.amdhsa_user_sgpr_dispatch_id 0
		.amdhsa_user_sgpr_private_segment_size 0
		.amdhsa_wavefront_size32 1
		.amdhsa_uses_dynamic_stack 0
		.amdhsa_enable_private_segment 0
		.amdhsa_system_sgpr_workgroup_id_x 1
		.amdhsa_system_sgpr_workgroup_id_y 0
		.amdhsa_system_sgpr_workgroup_id_z 0
		.amdhsa_system_sgpr_workgroup_info 0
		.amdhsa_system_vgpr_workitem_id 0
		.amdhsa_next_free_vgpr 1
		.amdhsa_next_free_sgpr 1
		.amdhsa_reserve_vcc 0
		.amdhsa_float_round_mode_32 0
		.amdhsa_float_round_mode_16_64 0
		.amdhsa_float_denorm_mode_32 3
		.amdhsa_float_denorm_mode_16_64 3
		.amdhsa_fp16_overflow 0
		.amdhsa_workgroup_processor_mode 1
		.amdhsa_memory_ordered 1
		.amdhsa_forward_progress 1
		.amdhsa_inst_pref_size 0
		.amdhsa_round_robin_scheduling 0
		.amdhsa_exception_fp_ieee_invalid_op 0
		.amdhsa_exception_fp_denorm_src 0
		.amdhsa_exception_fp_ieee_div_zero 0
		.amdhsa_exception_fp_ieee_overflow 0
		.amdhsa_exception_fp_ieee_underflow 0
		.amdhsa_exception_fp_ieee_inexact 0
		.amdhsa_exception_int_div_zero 0
	.end_amdhsa_kernel
	.section	.text._ZN7rocprim17ROCPRIM_400000_NS6detail17trampoline_kernelINS0_14default_configENS1_25partition_config_selectorILNS1_17partition_subalgoE6EiNS0_10empty_typeEbEEZZNS1_14partition_implILS5_6ELb0ES3_mN6thrust23THRUST_200600_302600_NS6detail15normal_iteratorINSA_10device_ptrIiEEEEPS6_SG_NS0_5tupleIJNSA_16discard_iteratorINSA_11use_defaultEEES6_EEENSH_IJSG_SG_EEES6_PlJNSB_9not_fun_tINSB_14equal_to_valueIiEEEEEEE10hipError_tPvRmT3_T4_T5_T6_T7_T9_mT8_P12ihipStream_tbDpT10_ENKUlT_T0_E_clISt17integral_constantIbLb0EES1A_IbLb1EEEEDaS16_S17_EUlS16_E_NS1_11comp_targetILNS1_3genE9ELNS1_11target_archE1100ELNS1_3gpuE3ELNS1_3repE0EEENS1_30default_config_static_selectorELNS0_4arch9wavefront6targetE0EEEvT1_,"axG",@progbits,_ZN7rocprim17ROCPRIM_400000_NS6detail17trampoline_kernelINS0_14default_configENS1_25partition_config_selectorILNS1_17partition_subalgoE6EiNS0_10empty_typeEbEEZZNS1_14partition_implILS5_6ELb0ES3_mN6thrust23THRUST_200600_302600_NS6detail15normal_iteratorINSA_10device_ptrIiEEEEPS6_SG_NS0_5tupleIJNSA_16discard_iteratorINSA_11use_defaultEEES6_EEENSH_IJSG_SG_EEES6_PlJNSB_9not_fun_tINSB_14equal_to_valueIiEEEEEEE10hipError_tPvRmT3_T4_T5_T6_T7_T9_mT8_P12ihipStream_tbDpT10_ENKUlT_T0_E_clISt17integral_constantIbLb0EES1A_IbLb1EEEEDaS16_S17_EUlS16_E_NS1_11comp_targetILNS1_3genE9ELNS1_11target_archE1100ELNS1_3gpuE3ELNS1_3repE0EEENS1_30default_config_static_selectorELNS0_4arch9wavefront6targetE0EEEvT1_,comdat
.Lfunc_end1787:
	.size	_ZN7rocprim17ROCPRIM_400000_NS6detail17trampoline_kernelINS0_14default_configENS1_25partition_config_selectorILNS1_17partition_subalgoE6EiNS0_10empty_typeEbEEZZNS1_14partition_implILS5_6ELb0ES3_mN6thrust23THRUST_200600_302600_NS6detail15normal_iteratorINSA_10device_ptrIiEEEEPS6_SG_NS0_5tupleIJNSA_16discard_iteratorINSA_11use_defaultEEES6_EEENSH_IJSG_SG_EEES6_PlJNSB_9not_fun_tINSB_14equal_to_valueIiEEEEEEE10hipError_tPvRmT3_T4_T5_T6_T7_T9_mT8_P12ihipStream_tbDpT10_ENKUlT_T0_E_clISt17integral_constantIbLb0EES1A_IbLb1EEEEDaS16_S17_EUlS16_E_NS1_11comp_targetILNS1_3genE9ELNS1_11target_archE1100ELNS1_3gpuE3ELNS1_3repE0EEENS1_30default_config_static_selectorELNS0_4arch9wavefront6targetE0EEEvT1_, .Lfunc_end1787-_ZN7rocprim17ROCPRIM_400000_NS6detail17trampoline_kernelINS0_14default_configENS1_25partition_config_selectorILNS1_17partition_subalgoE6EiNS0_10empty_typeEbEEZZNS1_14partition_implILS5_6ELb0ES3_mN6thrust23THRUST_200600_302600_NS6detail15normal_iteratorINSA_10device_ptrIiEEEEPS6_SG_NS0_5tupleIJNSA_16discard_iteratorINSA_11use_defaultEEES6_EEENSH_IJSG_SG_EEES6_PlJNSB_9not_fun_tINSB_14equal_to_valueIiEEEEEEE10hipError_tPvRmT3_T4_T5_T6_T7_T9_mT8_P12ihipStream_tbDpT10_ENKUlT_T0_E_clISt17integral_constantIbLb0EES1A_IbLb1EEEEDaS16_S17_EUlS16_E_NS1_11comp_targetILNS1_3genE9ELNS1_11target_archE1100ELNS1_3gpuE3ELNS1_3repE0EEENS1_30default_config_static_selectorELNS0_4arch9wavefront6targetE0EEEvT1_
                                        ; -- End function
	.set _ZN7rocprim17ROCPRIM_400000_NS6detail17trampoline_kernelINS0_14default_configENS1_25partition_config_selectorILNS1_17partition_subalgoE6EiNS0_10empty_typeEbEEZZNS1_14partition_implILS5_6ELb0ES3_mN6thrust23THRUST_200600_302600_NS6detail15normal_iteratorINSA_10device_ptrIiEEEEPS6_SG_NS0_5tupleIJNSA_16discard_iteratorINSA_11use_defaultEEES6_EEENSH_IJSG_SG_EEES6_PlJNSB_9not_fun_tINSB_14equal_to_valueIiEEEEEEE10hipError_tPvRmT3_T4_T5_T6_T7_T9_mT8_P12ihipStream_tbDpT10_ENKUlT_T0_E_clISt17integral_constantIbLb0EES1A_IbLb1EEEEDaS16_S17_EUlS16_E_NS1_11comp_targetILNS1_3genE9ELNS1_11target_archE1100ELNS1_3gpuE3ELNS1_3repE0EEENS1_30default_config_static_selectorELNS0_4arch9wavefront6targetE0EEEvT1_.num_vgpr, 0
	.set _ZN7rocprim17ROCPRIM_400000_NS6detail17trampoline_kernelINS0_14default_configENS1_25partition_config_selectorILNS1_17partition_subalgoE6EiNS0_10empty_typeEbEEZZNS1_14partition_implILS5_6ELb0ES3_mN6thrust23THRUST_200600_302600_NS6detail15normal_iteratorINSA_10device_ptrIiEEEEPS6_SG_NS0_5tupleIJNSA_16discard_iteratorINSA_11use_defaultEEES6_EEENSH_IJSG_SG_EEES6_PlJNSB_9not_fun_tINSB_14equal_to_valueIiEEEEEEE10hipError_tPvRmT3_T4_T5_T6_T7_T9_mT8_P12ihipStream_tbDpT10_ENKUlT_T0_E_clISt17integral_constantIbLb0EES1A_IbLb1EEEEDaS16_S17_EUlS16_E_NS1_11comp_targetILNS1_3genE9ELNS1_11target_archE1100ELNS1_3gpuE3ELNS1_3repE0EEENS1_30default_config_static_selectorELNS0_4arch9wavefront6targetE0EEEvT1_.num_agpr, 0
	.set _ZN7rocprim17ROCPRIM_400000_NS6detail17trampoline_kernelINS0_14default_configENS1_25partition_config_selectorILNS1_17partition_subalgoE6EiNS0_10empty_typeEbEEZZNS1_14partition_implILS5_6ELb0ES3_mN6thrust23THRUST_200600_302600_NS6detail15normal_iteratorINSA_10device_ptrIiEEEEPS6_SG_NS0_5tupleIJNSA_16discard_iteratorINSA_11use_defaultEEES6_EEENSH_IJSG_SG_EEES6_PlJNSB_9not_fun_tINSB_14equal_to_valueIiEEEEEEE10hipError_tPvRmT3_T4_T5_T6_T7_T9_mT8_P12ihipStream_tbDpT10_ENKUlT_T0_E_clISt17integral_constantIbLb0EES1A_IbLb1EEEEDaS16_S17_EUlS16_E_NS1_11comp_targetILNS1_3genE9ELNS1_11target_archE1100ELNS1_3gpuE3ELNS1_3repE0EEENS1_30default_config_static_selectorELNS0_4arch9wavefront6targetE0EEEvT1_.numbered_sgpr, 0
	.set _ZN7rocprim17ROCPRIM_400000_NS6detail17trampoline_kernelINS0_14default_configENS1_25partition_config_selectorILNS1_17partition_subalgoE6EiNS0_10empty_typeEbEEZZNS1_14partition_implILS5_6ELb0ES3_mN6thrust23THRUST_200600_302600_NS6detail15normal_iteratorINSA_10device_ptrIiEEEEPS6_SG_NS0_5tupleIJNSA_16discard_iteratorINSA_11use_defaultEEES6_EEENSH_IJSG_SG_EEES6_PlJNSB_9not_fun_tINSB_14equal_to_valueIiEEEEEEE10hipError_tPvRmT3_T4_T5_T6_T7_T9_mT8_P12ihipStream_tbDpT10_ENKUlT_T0_E_clISt17integral_constantIbLb0EES1A_IbLb1EEEEDaS16_S17_EUlS16_E_NS1_11comp_targetILNS1_3genE9ELNS1_11target_archE1100ELNS1_3gpuE3ELNS1_3repE0EEENS1_30default_config_static_selectorELNS0_4arch9wavefront6targetE0EEEvT1_.num_named_barrier, 0
	.set _ZN7rocprim17ROCPRIM_400000_NS6detail17trampoline_kernelINS0_14default_configENS1_25partition_config_selectorILNS1_17partition_subalgoE6EiNS0_10empty_typeEbEEZZNS1_14partition_implILS5_6ELb0ES3_mN6thrust23THRUST_200600_302600_NS6detail15normal_iteratorINSA_10device_ptrIiEEEEPS6_SG_NS0_5tupleIJNSA_16discard_iteratorINSA_11use_defaultEEES6_EEENSH_IJSG_SG_EEES6_PlJNSB_9not_fun_tINSB_14equal_to_valueIiEEEEEEE10hipError_tPvRmT3_T4_T5_T6_T7_T9_mT8_P12ihipStream_tbDpT10_ENKUlT_T0_E_clISt17integral_constantIbLb0EES1A_IbLb1EEEEDaS16_S17_EUlS16_E_NS1_11comp_targetILNS1_3genE9ELNS1_11target_archE1100ELNS1_3gpuE3ELNS1_3repE0EEENS1_30default_config_static_selectorELNS0_4arch9wavefront6targetE0EEEvT1_.private_seg_size, 0
	.set _ZN7rocprim17ROCPRIM_400000_NS6detail17trampoline_kernelINS0_14default_configENS1_25partition_config_selectorILNS1_17partition_subalgoE6EiNS0_10empty_typeEbEEZZNS1_14partition_implILS5_6ELb0ES3_mN6thrust23THRUST_200600_302600_NS6detail15normal_iteratorINSA_10device_ptrIiEEEEPS6_SG_NS0_5tupleIJNSA_16discard_iteratorINSA_11use_defaultEEES6_EEENSH_IJSG_SG_EEES6_PlJNSB_9not_fun_tINSB_14equal_to_valueIiEEEEEEE10hipError_tPvRmT3_T4_T5_T6_T7_T9_mT8_P12ihipStream_tbDpT10_ENKUlT_T0_E_clISt17integral_constantIbLb0EES1A_IbLb1EEEEDaS16_S17_EUlS16_E_NS1_11comp_targetILNS1_3genE9ELNS1_11target_archE1100ELNS1_3gpuE3ELNS1_3repE0EEENS1_30default_config_static_selectorELNS0_4arch9wavefront6targetE0EEEvT1_.uses_vcc, 0
	.set _ZN7rocprim17ROCPRIM_400000_NS6detail17trampoline_kernelINS0_14default_configENS1_25partition_config_selectorILNS1_17partition_subalgoE6EiNS0_10empty_typeEbEEZZNS1_14partition_implILS5_6ELb0ES3_mN6thrust23THRUST_200600_302600_NS6detail15normal_iteratorINSA_10device_ptrIiEEEEPS6_SG_NS0_5tupleIJNSA_16discard_iteratorINSA_11use_defaultEEES6_EEENSH_IJSG_SG_EEES6_PlJNSB_9not_fun_tINSB_14equal_to_valueIiEEEEEEE10hipError_tPvRmT3_T4_T5_T6_T7_T9_mT8_P12ihipStream_tbDpT10_ENKUlT_T0_E_clISt17integral_constantIbLb0EES1A_IbLb1EEEEDaS16_S17_EUlS16_E_NS1_11comp_targetILNS1_3genE9ELNS1_11target_archE1100ELNS1_3gpuE3ELNS1_3repE0EEENS1_30default_config_static_selectorELNS0_4arch9wavefront6targetE0EEEvT1_.uses_flat_scratch, 0
	.set _ZN7rocprim17ROCPRIM_400000_NS6detail17trampoline_kernelINS0_14default_configENS1_25partition_config_selectorILNS1_17partition_subalgoE6EiNS0_10empty_typeEbEEZZNS1_14partition_implILS5_6ELb0ES3_mN6thrust23THRUST_200600_302600_NS6detail15normal_iteratorINSA_10device_ptrIiEEEEPS6_SG_NS0_5tupleIJNSA_16discard_iteratorINSA_11use_defaultEEES6_EEENSH_IJSG_SG_EEES6_PlJNSB_9not_fun_tINSB_14equal_to_valueIiEEEEEEE10hipError_tPvRmT3_T4_T5_T6_T7_T9_mT8_P12ihipStream_tbDpT10_ENKUlT_T0_E_clISt17integral_constantIbLb0EES1A_IbLb1EEEEDaS16_S17_EUlS16_E_NS1_11comp_targetILNS1_3genE9ELNS1_11target_archE1100ELNS1_3gpuE3ELNS1_3repE0EEENS1_30default_config_static_selectorELNS0_4arch9wavefront6targetE0EEEvT1_.has_dyn_sized_stack, 0
	.set _ZN7rocprim17ROCPRIM_400000_NS6detail17trampoline_kernelINS0_14default_configENS1_25partition_config_selectorILNS1_17partition_subalgoE6EiNS0_10empty_typeEbEEZZNS1_14partition_implILS5_6ELb0ES3_mN6thrust23THRUST_200600_302600_NS6detail15normal_iteratorINSA_10device_ptrIiEEEEPS6_SG_NS0_5tupleIJNSA_16discard_iteratorINSA_11use_defaultEEES6_EEENSH_IJSG_SG_EEES6_PlJNSB_9not_fun_tINSB_14equal_to_valueIiEEEEEEE10hipError_tPvRmT3_T4_T5_T6_T7_T9_mT8_P12ihipStream_tbDpT10_ENKUlT_T0_E_clISt17integral_constantIbLb0EES1A_IbLb1EEEEDaS16_S17_EUlS16_E_NS1_11comp_targetILNS1_3genE9ELNS1_11target_archE1100ELNS1_3gpuE3ELNS1_3repE0EEENS1_30default_config_static_selectorELNS0_4arch9wavefront6targetE0EEEvT1_.has_recursion, 0
	.set _ZN7rocprim17ROCPRIM_400000_NS6detail17trampoline_kernelINS0_14default_configENS1_25partition_config_selectorILNS1_17partition_subalgoE6EiNS0_10empty_typeEbEEZZNS1_14partition_implILS5_6ELb0ES3_mN6thrust23THRUST_200600_302600_NS6detail15normal_iteratorINSA_10device_ptrIiEEEEPS6_SG_NS0_5tupleIJNSA_16discard_iteratorINSA_11use_defaultEEES6_EEENSH_IJSG_SG_EEES6_PlJNSB_9not_fun_tINSB_14equal_to_valueIiEEEEEEE10hipError_tPvRmT3_T4_T5_T6_T7_T9_mT8_P12ihipStream_tbDpT10_ENKUlT_T0_E_clISt17integral_constantIbLb0EES1A_IbLb1EEEEDaS16_S17_EUlS16_E_NS1_11comp_targetILNS1_3genE9ELNS1_11target_archE1100ELNS1_3gpuE3ELNS1_3repE0EEENS1_30default_config_static_selectorELNS0_4arch9wavefront6targetE0EEEvT1_.has_indirect_call, 0
	.section	.AMDGPU.csdata,"",@progbits
; Kernel info:
; codeLenInByte = 0
; TotalNumSgprs: 0
; NumVgprs: 0
; ScratchSize: 0
; MemoryBound: 0
; FloatMode: 240
; IeeeMode: 1
; LDSByteSize: 0 bytes/workgroup (compile time only)
; SGPRBlocks: 0
; VGPRBlocks: 0
; NumSGPRsForWavesPerEU: 1
; NumVGPRsForWavesPerEU: 1
; Occupancy: 16
; WaveLimiterHint : 0
; COMPUTE_PGM_RSRC2:SCRATCH_EN: 0
; COMPUTE_PGM_RSRC2:USER_SGPR: 2
; COMPUTE_PGM_RSRC2:TRAP_HANDLER: 0
; COMPUTE_PGM_RSRC2:TGID_X_EN: 1
; COMPUTE_PGM_RSRC2:TGID_Y_EN: 0
; COMPUTE_PGM_RSRC2:TGID_Z_EN: 0
; COMPUTE_PGM_RSRC2:TIDIG_COMP_CNT: 0
	.section	.text._ZN7rocprim17ROCPRIM_400000_NS6detail17trampoline_kernelINS0_14default_configENS1_25partition_config_selectorILNS1_17partition_subalgoE6EiNS0_10empty_typeEbEEZZNS1_14partition_implILS5_6ELb0ES3_mN6thrust23THRUST_200600_302600_NS6detail15normal_iteratorINSA_10device_ptrIiEEEEPS6_SG_NS0_5tupleIJNSA_16discard_iteratorINSA_11use_defaultEEES6_EEENSH_IJSG_SG_EEES6_PlJNSB_9not_fun_tINSB_14equal_to_valueIiEEEEEEE10hipError_tPvRmT3_T4_T5_T6_T7_T9_mT8_P12ihipStream_tbDpT10_ENKUlT_T0_E_clISt17integral_constantIbLb0EES1A_IbLb1EEEEDaS16_S17_EUlS16_E_NS1_11comp_targetILNS1_3genE8ELNS1_11target_archE1030ELNS1_3gpuE2ELNS1_3repE0EEENS1_30default_config_static_selectorELNS0_4arch9wavefront6targetE0EEEvT1_,"axG",@progbits,_ZN7rocprim17ROCPRIM_400000_NS6detail17trampoline_kernelINS0_14default_configENS1_25partition_config_selectorILNS1_17partition_subalgoE6EiNS0_10empty_typeEbEEZZNS1_14partition_implILS5_6ELb0ES3_mN6thrust23THRUST_200600_302600_NS6detail15normal_iteratorINSA_10device_ptrIiEEEEPS6_SG_NS0_5tupleIJNSA_16discard_iteratorINSA_11use_defaultEEES6_EEENSH_IJSG_SG_EEES6_PlJNSB_9not_fun_tINSB_14equal_to_valueIiEEEEEEE10hipError_tPvRmT3_T4_T5_T6_T7_T9_mT8_P12ihipStream_tbDpT10_ENKUlT_T0_E_clISt17integral_constantIbLb0EES1A_IbLb1EEEEDaS16_S17_EUlS16_E_NS1_11comp_targetILNS1_3genE8ELNS1_11target_archE1030ELNS1_3gpuE2ELNS1_3repE0EEENS1_30default_config_static_selectorELNS0_4arch9wavefront6targetE0EEEvT1_,comdat
	.protected	_ZN7rocprim17ROCPRIM_400000_NS6detail17trampoline_kernelINS0_14default_configENS1_25partition_config_selectorILNS1_17partition_subalgoE6EiNS0_10empty_typeEbEEZZNS1_14partition_implILS5_6ELb0ES3_mN6thrust23THRUST_200600_302600_NS6detail15normal_iteratorINSA_10device_ptrIiEEEEPS6_SG_NS0_5tupleIJNSA_16discard_iteratorINSA_11use_defaultEEES6_EEENSH_IJSG_SG_EEES6_PlJNSB_9not_fun_tINSB_14equal_to_valueIiEEEEEEE10hipError_tPvRmT3_T4_T5_T6_T7_T9_mT8_P12ihipStream_tbDpT10_ENKUlT_T0_E_clISt17integral_constantIbLb0EES1A_IbLb1EEEEDaS16_S17_EUlS16_E_NS1_11comp_targetILNS1_3genE8ELNS1_11target_archE1030ELNS1_3gpuE2ELNS1_3repE0EEENS1_30default_config_static_selectorELNS0_4arch9wavefront6targetE0EEEvT1_ ; -- Begin function _ZN7rocprim17ROCPRIM_400000_NS6detail17trampoline_kernelINS0_14default_configENS1_25partition_config_selectorILNS1_17partition_subalgoE6EiNS0_10empty_typeEbEEZZNS1_14partition_implILS5_6ELb0ES3_mN6thrust23THRUST_200600_302600_NS6detail15normal_iteratorINSA_10device_ptrIiEEEEPS6_SG_NS0_5tupleIJNSA_16discard_iteratorINSA_11use_defaultEEES6_EEENSH_IJSG_SG_EEES6_PlJNSB_9not_fun_tINSB_14equal_to_valueIiEEEEEEE10hipError_tPvRmT3_T4_T5_T6_T7_T9_mT8_P12ihipStream_tbDpT10_ENKUlT_T0_E_clISt17integral_constantIbLb0EES1A_IbLb1EEEEDaS16_S17_EUlS16_E_NS1_11comp_targetILNS1_3genE8ELNS1_11target_archE1030ELNS1_3gpuE2ELNS1_3repE0EEENS1_30default_config_static_selectorELNS0_4arch9wavefront6targetE0EEEvT1_
	.globl	_ZN7rocprim17ROCPRIM_400000_NS6detail17trampoline_kernelINS0_14default_configENS1_25partition_config_selectorILNS1_17partition_subalgoE6EiNS0_10empty_typeEbEEZZNS1_14partition_implILS5_6ELb0ES3_mN6thrust23THRUST_200600_302600_NS6detail15normal_iteratorINSA_10device_ptrIiEEEEPS6_SG_NS0_5tupleIJNSA_16discard_iteratorINSA_11use_defaultEEES6_EEENSH_IJSG_SG_EEES6_PlJNSB_9not_fun_tINSB_14equal_to_valueIiEEEEEEE10hipError_tPvRmT3_T4_T5_T6_T7_T9_mT8_P12ihipStream_tbDpT10_ENKUlT_T0_E_clISt17integral_constantIbLb0EES1A_IbLb1EEEEDaS16_S17_EUlS16_E_NS1_11comp_targetILNS1_3genE8ELNS1_11target_archE1030ELNS1_3gpuE2ELNS1_3repE0EEENS1_30default_config_static_selectorELNS0_4arch9wavefront6targetE0EEEvT1_
	.p2align	8
	.type	_ZN7rocprim17ROCPRIM_400000_NS6detail17trampoline_kernelINS0_14default_configENS1_25partition_config_selectorILNS1_17partition_subalgoE6EiNS0_10empty_typeEbEEZZNS1_14partition_implILS5_6ELb0ES3_mN6thrust23THRUST_200600_302600_NS6detail15normal_iteratorINSA_10device_ptrIiEEEEPS6_SG_NS0_5tupleIJNSA_16discard_iteratorINSA_11use_defaultEEES6_EEENSH_IJSG_SG_EEES6_PlJNSB_9not_fun_tINSB_14equal_to_valueIiEEEEEEE10hipError_tPvRmT3_T4_T5_T6_T7_T9_mT8_P12ihipStream_tbDpT10_ENKUlT_T0_E_clISt17integral_constantIbLb0EES1A_IbLb1EEEEDaS16_S17_EUlS16_E_NS1_11comp_targetILNS1_3genE8ELNS1_11target_archE1030ELNS1_3gpuE2ELNS1_3repE0EEENS1_30default_config_static_selectorELNS0_4arch9wavefront6targetE0EEEvT1_,@function
_ZN7rocprim17ROCPRIM_400000_NS6detail17trampoline_kernelINS0_14default_configENS1_25partition_config_selectorILNS1_17partition_subalgoE6EiNS0_10empty_typeEbEEZZNS1_14partition_implILS5_6ELb0ES3_mN6thrust23THRUST_200600_302600_NS6detail15normal_iteratorINSA_10device_ptrIiEEEEPS6_SG_NS0_5tupleIJNSA_16discard_iteratorINSA_11use_defaultEEES6_EEENSH_IJSG_SG_EEES6_PlJNSB_9not_fun_tINSB_14equal_to_valueIiEEEEEEE10hipError_tPvRmT3_T4_T5_T6_T7_T9_mT8_P12ihipStream_tbDpT10_ENKUlT_T0_E_clISt17integral_constantIbLb0EES1A_IbLb1EEEEDaS16_S17_EUlS16_E_NS1_11comp_targetILNS1_3genE8ELNS1_11target_archE1030ELNS1_3gpuE2ELNS1_3repE0EEENS1_30default_config_static_selectorELNS0_4arch9wavefront6targetE0EEEvT1_: ; @_ZN7rocprim17ROCPRIM_400000_NS6detail17trampoline_kernelINS0_14default_configENS1_25partition_config_selectorILNS1_17partition_subalgoE6EiNS0_10empty_typeEbEEZZNS1_14partition_implILS5_6ELb0ES3_mN6thrust23THRUST_200600_302600_NS6detail15normal_iteratorINSA_10device_ptrIiEEEEPS6_SG_NS0_5tupleIJNSA_16discard_iteratorINSA_11use_defaultEEES6_EEENSH_IJSG_SG_EEES6_PlJNSB_9not_fun_tINSB_14equal_to_valueIiEEEEEEE10hipError_tPvRmT3_T4_T5_T6_T7_T9_mT8_P12ihipStream_tbDpT10_ENKUlT_T0_E_clISt17integral_constantIbLb0EES1A_IbLb1EEEEDaS16_S17_EUlS16_E_NS1_11comp_targetILNS1_3genE8ELNS1_11target_archE1030ELNS1_3gpuE2ELNS1_3repE0EEENS1_30default_config_static_selectorELNS0_4arch9wavefront6targetE0EEEvT1_
; %bb.0:
	.section	.rodata,"a",@progbits
	.p2align	6, 0x0
	.amdhsa_kernel _ZN7rocprim17ROCPRIM_400000_NS6detail17trampoline_kernelINS0_14default_configENS1_25partition_config_selectorILNS1_17partition_subalgoE6EiNS0_10empty_typeEbEEZZNS1_14partition_implILS5_6ELb0ES3_mN6thrust23THRUST_200600_302600_NS6detail15normal_iteratorINSA_10device_ptrIiEEEEPS6_SG_NS0_5tupleIJNSA_16discard_iteratorINSA_11use_defaultEEES6_EEENSH_IJSG_SG_EEES6_PlJNSB_9not_fun_tINSB_14equal_to_valueIiEEEEEEE10hipError_tPvRmT3_T4_T5_T6_T7_T9_mT8_P12ihipStream_tbDpT10_ENKUlT_T0_E_clISt17integral_constantIbLb0EES1A_IbLb1EEEEDaS16_S17_EUlS16_E_NS1_11comp_targetILNS1_3genE8ELNS1_11target_archE1030ELNS1_3gpuE2ELNS1_3repE0EEENS1_30default_config_static_selectorELNS0_4arch9wavefront6targetE0EEEvT1_
		.amdhsa_group_segment_fixed_size 0
		.amdhsa_private_segment_fixed_size 0
		.amdhsa_kernarg_size 136
		.amdhsa_user_sgpr_count 2
		.amdhsa_user_sgpr_dispatch_ptr 0
		.amdhsa_user_sgpr_queue_ptr 0
		.amdhsa_user_sgpr_kernarg_segment_ptr 1
		.amdhsa_user_sgpr_dispatch_id 0
		.amdhsa_user_sgpr_private_segment_size 0
		.amdhsa_wavefront_size32 1
		.amdhsa_uses_dynamic_stack 0
		.amdhsa_enable_private_segment 0
		.amdhsa_system_sgpr_workgroup_id_x 1
		.amdhsa_system_sgpr_workgroup_id_y 0
		.amdhsa_system_sgpr_workgroup_id_z 0
		.amdhsa_system_sgpr_workgroup_info 0
		.amdhsa_system_vgpr_workitem_id 0
		.amdhsa_next_free_vgpr 1
		.amdhsa_next_free_sgpr 1
		.amdhsa_reserve_vcc 0
		.amdhsa_float_round_mode_32 0
		.amdhsa_float_round_mode_16_64 0
		.amdhsa_float_denorm_mode_32 3
		.amdhsa_float_denorm_mode_16_64 3
		.amdhsa_fp16_overflow 0
		.amdhsa_workgroup_processor_mode 1
		.amdhsa_memory_ordered 1
		.amdhsa_forward_progress 1
		.amdhsa_inst_pref_size 0
		.amdhsa_round_robin_scheduling 0
		.amdhsa_exception_fp_ieee_invalid_op 0
		.amdhsa_exception_fp_denorm_src 0
		.amdhsa_exception_fp_ieee_div_zero 0
		.amdhsa_exception_fp_ieee_overflow 0
		.amdhsa_exception_fp_ieee_underflow 0
		.amdhsa_exception_fp_ieee_inexact 0
		.amdhsa_exception_int_div_zero 0
	.end_amdhsa_kernel
	.section	.text._ZN7rocprim17ROCPRIM_400000_NS6detail17trampoline_kernelINS0_14default_configENS1_25partition_config_selectorILNS1_17partition_subalgoE6EiNS0_10empty_typeEbEEZZNS1_14partition_implILS5_6ELb0ES3_mN6thrust23THRUST_200600_302600_NS6detail15normal_iteratorINSA_10device_ptrIiEEEEPS6_SG_NS0_5tupleIJNSA_16discard_iteratorINSA_11use_defaultEEES6_EEENSH_IJSG_SG_EEES6_PlJNSB_9not_fun_tINSB_14equal_to_valueIiEEEEEEE10hipError_tPvRmT3_T4_T5_T6_T7_T9_mT8_P12ihipStream_tbDpT10_ENKUlT_T0_E_clISt17integral_constantIbLb0EES1A_IbLb1EEEEDaS16_S17_EUlS16_E_NS1_11comp_targetILNS1_3genE8ELNS1_11target_archE1030ELNS1_3gpuE2ELNS1_3repE0EEENS1_30default_config_static_selectorELNS0_4arch9wavefront6targetE0EEEvT1_,"axG",@progbits,_ZN7rocprim17ROCPRIM_400000_NS6detail17trampoline_kernelINS0_14default_configENS1_25partition_config_selectorILNS1_17partition_subalgoE6EiNS0_10empty_typeEbEEZZNS1_14partition_implILS5_6ELb0ES3_mN6thrust23THRUST_200600_302600_NS6detail15normal_iteratorINSA_10device_ptrIiEEEEPS6_SG_NS0_5tupleIJNSA_16discard_iteratorINSA_11use_defaultEEES6_EEENSH_IJSG_SG_EEES6_PlJNSB_9not_fun_tINSB_14equal_to_valueIiEEEEEEE10hipError_tPvRmT3_T4_T5_T6_T7_T9_mT8_P12ihipStream_tbDpT10_ENKUlT_T0_E_clISt17integral_constantIbLb0EES1A_IbLb1EEEEDaS16_S17_EUlS16_E_NS1_11comp_targetILNS1_3genE8ELNS1_11target_archE1030ELNS1_3gpuE2ELNS1_3repE0EEENS1_30default_config_static_selectorELNS0_4arch9wavefront6targetE0EEEvT1_,comdat
.Lfunc_end1788:
	.size	_ZN7rocprim17ROCPRIM_400000_NS6detail17trampoline_kernelINS0_14default_configENS1_25partition_config_selectorILNS1_17partition_subalgoE6EiNS0_10empty_typeEbEEZZNS1_14partition_implILS5_6ELb0ES3_mN6thrust23THRUST_200600_302600_NS6detail15normal_iteratorINSA_10device_ptrIiEEEEPS6_SG_NS0_5tupleIJNSA_16discard_iteratorINSA_11use_defaultEEES6_EEENSH_IJSG_SG_EEES6_PlJNSB_9not_fun_tINSB_14equal_to_valueIiEEEEEEE10hipError_tPvRmT3_T4_T5_T6_T7_T9_mT8_P12ihipStream_tbDpT10_ENKUlT_T0_E_clISt17integral_constantIbLb0EES1A_IbLb1EEEEDaS16_S17_EUlS16_E_NS1_11comp_targetILNS1_3genE8ELNS1_11target_archE1030ELNS1_3gpuE2ELNS1_3repE0EEENS1_30default_config_static_selectorELNS0_4arch9wavefront6targetE0EEEvT1_, .Lfunc_end1788-_ZN7rocprim17ROCPRIM_400000_NS6detail17trampoline_kernelINS0_14default_configENS1_25partition_config_selectorILNS1_17partition_subalgoE6EiNS0_10empty_typeEbEEZZNS1_14partition_implILS5_6ELb0ES3_mN6thrust23THRUST_200600_302600_NS6detail15normal_iteratorINSA_10device_ptrIiEEEEPS6_SG_NS0_5tupleIJNSA_16discard_iteratorINSA_11use_defaultEEES6_EEENSH_IJSG_SG_EEES6_PlJNSB_9not_fun_tINSB_14equal_to_valueIiEEEEEEE10hipError_tPvRmT3_T4_T5_T6_T7_T9_mT8_P12ihipStream_tbDpT10_ENKUlT_T0_E_clISt17integral_constantIbLb0EES1A_IbLb1EEEEDaS16_S17_EUlS16_E_NS1_11comp_targetILNS1_3genE8ELNS1_11target_archE1030ELNS1_3gpuE2ELNS1_3repE0EEENS1_30default_config_static_selectorELNS0_4arch9wavefront6targetE0EEEvT1_
                                        ; -- End function
	.set _ZN7rocprim17ROCPRIM_400000_NS6detail17trampoline_kernelINS0_14default_configENS1_25partition_config_selectorILNS1_17partition_subalgoE6EiNS0_10empty_typeEbEEZZNS1_14partition_implILS5_6ELb0ES3_mN6thrust23THRUST_200600_302600_NS6detail15normal_iteratorINSA_10device_ptrIiEEEEPS6_SG_NS0_5tupleIJNSA_16discard_iteratorINSA_11use_defaultEEES6_EEENSH_IJSG_SG_EEES6_PlJNSB_9not_fun_tINSB_14equal_to_valueIiEEEEEEE10hipError_tPvRmT3_T4_T5_T6_T7_T9_mT8_P12ihipStream_tbDpT10_ENKUlT_T0_E_clISt17integral_constantIbLb0EES1A_IbLb1EEEEDaS16_S17_EUlS16_E_NS1_11comp_targetILNS1_3genE8ELNS1_11target_archE1030ELNS1_3gpuE2ELNS1_3repE0EEENS1_30default_config_static_selectorELNS0_4arch9wavefront6targetE0EEEvT1_.num_vgpr, 0
	.set _ZN7rocprim17ROCPRIM_400000_NS6detail17trampoline_kernelINS0_14default_configENS1_25partition_config_selectorILNS1_17partition_subalgoE6EiNS0_10empty_typeEbEEZZNS1_14partition_implILS5_6ELb0ES3_mN6thrust23THRUST_200600_302600_NS6detail15normal_iteratorINSA_10device_ptrIiEEEEPS6_SG_NS0_5tupleIJNSA_16discard_iteratorINSA_11use_defaultEEES6_EEENSH_IJSG_SG_EEES6_PlJNSB_9not_fun_tINSB_14equal_to_valueIiEEEEEEE10hipError_tPvRmT3_T4_T5_T6_T7_T9_mT8_P12ihipStream_tbDpT10_ENKUlT_T0_E_clISt17integral_constantIbLb0EES1A_IbLb1EEEEDaS16_S17_EUlS16_E_NS1_11comp_targetILNS1_3genE8ELNS1_11target_archE1030ELNS1_3gpuE2ELNS1_3repE0EEENS1_30default_config_static_selectorELNS0_4arch9wavefront6targetE0EEEvT1_.num_agpr, 0
	.set _ZN7rocprim17ROCPRIM_400000_NS6detail17trampoline_kernelINS0_14default_configENS1_25partition_config_selectorILNS1_17partition_subalgoE6EiNS0_10empty_typeEbEEZZNS1_14partition_implILS5_6ELb0ES3_mN6thrust23THRUST_200600_302600_NS6detail15normal_iteratorINSA_10device_ptrIiEEEEPS6_SG_NS0_5tupleIJNSA_16discard_iteratorINSA_11use_defaultEEES6_EEENSH_IJSG_SG_EEES6_PlJNSB_9not_fun_tINSB_14equal_to_valueIiEEEEEEE10hipError_tPvRmT3_T4_T5_T6_T7_T9_mT8_P12ihipStream_tbDpT10_ENKUlT_T0_E_clISt17integral_constantIbLb0EES1A_IbLb1EEEEDaS16_S17_EUlS16_E_NS1_11comp_targetILNS1_3genE8ELNS1_11target_archE1030ELNS1_3gpuE2ELNS1_3repE0EEENS1_30default_config_static_selectorELNS0_4arch9wavefront6targetE0EEEvT1_.numbered_sgpr, 0
	.set _ZN7rocprim17ROCPRIM_400000_NS6detail17trampoline_kernelINS0_14default_configENS1_25partition_config_selectorILNS1_17partition_subalgoE6EiNS0_10empty_typeEbEEZZNS1_14partition_implILS5_6ELb0ES3_mN6thrust23THRUST_200600_302600_NS6detail15normal_iteratorINSA_10device_ptrIiEEEEPS6_SG_NS0_5tupleIJNSA_16discard_iteratorINSA_11use_defaultEEES6_EEENSH_IJSG_SG_EEES6_PlJNSB_9not_fun_tINSB_14equal_to_valueIiEEEEEEE10hipError_tPvRmT3_T4_T5_T6_T7_T9_mT8_P12ihipStream_tbDpT10_ENKUlT_T0_E_clISt17integral_constantIbLb0EES1A_IbLb1EEEEDaS16_S17_EUlS16_E_NS1_11comp_targetILNS1_3genE8ELNS1_11target_archE1030ELNS1_3gpuE2ELNS1_3repE0EEENS1_30default_config_static_selectorELNS0_4arch9wavefront6targetE0EEEvT1_.num_named_barrier, 0
	.set _ZN7rocprim17ROCPRIM_400000_NS6detail17trampoline_kernelINS0_14default_configENS1_25partition_config_selectorILNS1_17partition_subalgoE6EiNS0_10empty_typeEbEEZZNS1_14partition_implILS5_6ELb0ES3_mN6thrust23THRUST_200600_302600_NS6detail15normal_iteratorINSA_10device_ptrIiEEEEPS6_SG_NS0_5tupleIJNSA_16discard_iteratorINSA_11use_defaultEEES6_EEENSH_IJSG_SG_EEES6_PlJNSB_9not_fun_tINSB_14equal_to_valueIiEEEEEEE10hipError_tPvRmT3_T4_T5_T6_T7_T9_mT8_P12ihipStream_tbDpT10_ENKUlT_T0_E_clISt17integral_constantIbLb0EES1A_IbLb1EEEEDaS16_S17_EUlS16_E_NS1_11comp_targetILNS1_3genE8ELNS1_11target_archE1030ELNS1_3gpuE2ELNS1_3repE0EEENS1_30default_config_static_selectorELNS0_4arch9wavefront6targetE0EEEvT1_.private_seg_size, 0
	.set _ZN7rocprim17ROCPRIM_400000_NS6detail17trampoline_kernelINS0_14default_configENS1_25partition_config_selectorILNS1_17partition_subalgoE6EiNS0_10empty_typeEbEEZZNS1_14partition_implILS5_6ELb0ES3_mN6thrust23THRUST_200600_302600_NS6detail15normal_iteratorINSA_10device_ptrIiEEEEPS6_SG_NS0_5tupleIJNSA_16discard_iteratorINSA_11use_defaultEEES6_EEENSH_IJSG_SG_EEES6_PlJNSB_9not_fun_tINSB_14equal_to_valueIiEEEEEEE10hipError_tPvRmT3_T4_T5_T6_T7_T9_mT8_P12ihipStream_tbDpT10_ENKUlT_T0_E_clISt17integral_constantIbLb0EES1A_IbLb1EEEEDaS16_S17_EUlS16_E_NS1_11comp_targetILNS1_3genE8ELNS1_11target_archE1030ELNS1_3gpuE2ELNS1_3repE0EEENS1_30default_config_static_selectorELNS0_4arch9wavefront6targetE0EEEvT1_.uses_vcc, 0
	.set _ZN7rocprim17ROCPRIM_400000_NS6detail17trampoline_kernelINS0_14default_configENS1_25partition_config_selectorILNS1_17partition_subalgoE6EiNS0_10empty_typeEbEEZZNS1_14partition_implILS5_6ELb0ES3_mN6thrust23THRUST_200600_302600_NS6detail15normal_iteratorINSA_10device_ptrIiEEEEPS6_SG_NS0_5tupleIJNSA_16discard_iteratorINSA_11use_defaultEEES6_EEENSH_IJSG_SG_EEES6_PlJNSB_9not_fun_tINSB_14equal_to_valueIiEEEEEEE10hipError_tPvRmT3_T4_T5_T6_T7_T9_mT8_P12ihipStream_tbDpT10_ENKUlT_T0_E_clISt17integral_constantIbLb0EES1A_IbLb1EEEEDaS16_S17_EUlS16_E_NS1_11comp_targetILNS1_3genE8ELNS1_11target_archE1030ELNS1_3gpuE2ELNS1_3repE0EEENS1_30default_config_static_selectorELNS0_4arch9wavefront6targetE0EEEvT1_.uses_flat_scratch, 0
	.set _ZN7rocprim17ROCPRIM_400000_NS6detail17trampoline_kernelINS0_14default_configENS1_25partition_config_selectorILNS1_17partition_subalgoE6EiNS0_10empty_typeEbEEZZNS1_14partition_implILS5_6ELb0ES3_mN6thrust23THRUST_200600_302600_NS6detail15normal_iteratorINSA_10device_ptrIiEEEEPS6_SG_NS0_5tupleIJNSA_16discard_iteratorINSA_11use_defaultEEES6_EEENSH_IJSG_SG_EEES6_PlJNSB_9not_fun_tINSB_14equal_to_valueIiEEEEEEE10hipError_tPvRmT3_T4_T5_T6_T7_T9_mT8_P12ihipStream_tbDpT10_ENKUlT_T0_E_clISt17integral_constantIbLb0EES1A_IbLb1EEEEDaS16_S17_EUlS16_E_NS1_11comp_targetILNS1_3genE8ELNS1_11target_archE1030ELNS1_3gpuE2ELNS1_3repE0EEENS1_30default_config_static_selectorELNS0_4arch9wavefront6targetE0EEEvT1_.has_dyn_sized_stack, 0
	.set _ZN7rocprim17ROCPRIM_400000_NS6detail17trampoline_kernelINS0_14default_configENS1_25partition_config_selectorILNS1_17partition_subalgoE6EiNS0_10empty_typeEbEEZZNS1_14partition_implILS5_6ELb0ES3_mN6thrust23THRUST_200600_302600_NS6detail15normal_iteratorINSA_10device_ptrIiEEEEPS6_SG_NS0_5tupleIJNSA_16discard_iteratorINSA_11use_defaultEEES6_EEENSH_IJSG_SG_EEES6_PlJNSB_9not_fun_tINSB_14equal_to_valueIiEEEEEEE10hipError_tPvRmT3_T4_T5_T6_T7_T9_mT8_P12ihipStream_tbDpT10_ENKUlT_T0_E_clISt17integral_constantIbLb0EES1A_IbLb1EEEEDaS16_S17_EUlS16_E_NS1_11comp_targetILNS1_3genE8ELNS1_11target_archE1030ELNS1_3gpuE2ELNS1_3repE0EEENS1_30default_config_static_selectorELNS0_4arch9wavefront6targetE0EEEvT1_.has_recursion, 0
	.set _ZN7rocprim17ROCPRIM_400000_NS6detail17trampoline_kernelINS0_14default_configENS1_25partition_config_selectorILNS1_17partition_subalgoE6EiNS0_10empty_typeEbEEZZNS1_14partition_implILS5_6ELb0ES3_mN6thrust23THRUST_200600_302600_NS6detail15normal_iteratorINSA_10device_ptrIiEEEEPS6_SG_NS0_5tupleIJNSA_16discard_iteratorINSA_11use_defaultEEES6_EEENSH_IJSG_SG_EEES6_PlJNSB_9not_fun_tINSB_14equal_to_valueIiEEEEEEE10hipError_tPvRmT3_T4_T5_T6_T7_T9_mT8_P12ihipStream_tbDpT10_ENKUlT_T0_E_clISt17integral_constantIbLb0EES1A_IbLb1EEEEDaS16_S17_EUlS16_E_NS1_11comp_targetILNS1_3genE8ELNS1_11target_archE1030ELNS1_3gpuE2ELNS1_3repE0EEENS1_30default_config_static_selectorELNS0_4arch9wavefront6targetE0EEEvT1_.has_indirect_call, 0
	.section	.AMDGPU.csdata,"",@progbits
; Kernel info:
; codeLenInByte = 0
; TotalNumSgprs: 0
; NumVgprs: 0
; ScratchSize: 0
; MemoryBound: 0
; FloatMode: 240
; IeeeMode: 1
; LDSByteSize: 0 bytes/workgroup (compile time only)
; SGPRBlocks: 0
; VGPRBlocks: 0
; NumSGPRsForWavesPerEU: 1
; NumVGPRsForWavesPerEU: 1
; Occupancy: 16
; WaveLimiterHint : 0
; COMPUTE_PGM_RSRC2:SCRATCH_EN: 0
; COMPUTE_PGM_RSRC2:USER_SGPR: 2
; COMPUTE_PGM_RSRC2:TRAP_HANDLER: 0
; COMPUTE_PGM_RSRC2:TGID_X_EN: 1
; COMPUTE_PGM_RSRC2:TGID_Y_EN: 0
; COMPUTE_PGM_RSRC2:TGID_Z_EN: 0
; COMPUTE_PGM_RSRC2:TIDIG_COMP_CNT: 0
	.section	.text._ZN7rocprim17ROCPRIM_400000_NS6detail17trampoline_kernelINS0_14default_configENS1_25partition_config_selectorILNS1_17partition_subalgoE6EsNS0_10empty_typeEbEEZZNS1_14partition_implILS5_6ELb0ES3_mN6thrust23THRUST_200600_302600_NS6detail15normal_iteratorINSA_10device_ptrIsEEEEPS6_SG_NS0_5tupleIJNSA_16discard_iteratorINSA_11use_defaultEEES6_EEENSH_IJSG_SG_EEES6_PlJNSB_9not_fun_tINSB_14equal_to_valueIsEEEEEEE10hipError_tPvRmT3_T4_T5_T6_T7_T9_mT8_P12ihipStream_tbDpT10_ENKUlT_T0_E_clISt17integral_constantIbLb0EES1B_EEDaS16_S17_EUlS16_E_NS1_11comp_targetILNS1_3genE0ELNS1_11target_archE4294967295ELNS1_3gpuE0ELNS1_3repE0EEENS1_30default_config_static_selectorELNS0_4arch9wavefront6targetE0EEEvT1_,"axG",@progbits,_ZN7rocprim17ROCPRIM_400000_NS6detail17trampoline_kernelINS0_14default_configENS1_25partition_config_selectorILNS1_17partition_subalgoE6EsNS0_10empty_typeEbEEZZNS1_14partition_implILS5_6ELb0ES3_mN6thrust23THRUST_200600_302600_NS6detail15normal_iteratorINSA_10device_ptrIsEEEEPS6_SG_NS0_5tupleIJNSA_16discard_iteratorINSA_11use_defaultEEES6_EEENSH_IJSG_SG_EEES6_PlJNSB_9not_fun_tINSB_14equal_to_valueIsEEEEEEE10hipError_tPvRmT3_T4_T5_T6_T7_T9_mT8_P12ihipStream_tbDpT10_ENKUlT_T0_E_clISt17integral_constantIbLb0EES1B_EEDaS16_S17_EUlS16_E_NS1_11comp_targetILNS1_3genE0ELNS1_11target_archE4294967295ELNS1_3gpuE0ELNS1_3repE0EEENS1_30default_config_static_selectorELNS0_4arch9wavefront6targetE0EEEvT1_,comdat
	.protected	_ZN7rocprim17ROCPRIM_400000_NS6detail17trampoline_kernelINS0_14default_configENS1_25partition_config_selectorILNS1_17partition_subalgoE6EsNS0_10empty_typeEbEEZZNS1_14partition_implILS5_6ELb0ES3_mN6thrust23THRUST_200600_302600_NS6detail15normal_iteratorINSA_10device_ptrIsEEEEPS6_SG_NS0_5tupleIJNSA_16discard_iteratorINSA_11use_defaultEEES6_EEENSH_IJSG_SG_EEES6_PlJNSB_9not_fun_tINSB_14equal_to_valueIsEEEEEEE10hipError_tPvRmT3_T4_T5_T6_T7_T9_mT8_P12ihipStream_tbDpT10_ENKUlT_T0_E_clISt17integral_constantIbLb0EES1B_EEDaS16_S17_EUlS16_E_NS1_11comp_targetILNS1_3genE0ELNS1_11target_archE4294967295ELNS1_3gpuE0ELNS1_3repE0EEENS1_30default_config_static_selectorELNS0_4arch9wavefront6targetE0EEEvT1_ ; -- Begin function _ZN7rocprim17ROCPRIM_400000_NS6detail17trampoline_kernelINS0_14default_configENS1_25partition_config_selectorILNS1_17partition_subalgoE6EsNS0_10empty_typeEbEEZZNS1_14partition_implILS5_6ELb0ES3_mN6thrust23THRUST_200600_302600_NS6detail15normal_iteratorINSA_10device_ptrIsEEEEPS6_SG_NS0_5tupleIJNSA_16discard_iteratorINSA_11use_defaultEEES6_EEENSH_IJSG_SG_EEES6_PlJNSB_9not_fun_tINSB_14equal_to_valueIsEEEEEEE10hipError_tPvRmT3_T4_T5_T6_T7_T9_mT8_P12ihipStream_tbDpT10_ENKUlT_T0_E_clISt17integral_constantIbLb0EES1B_EEDaS16_S17_EUlS16_E_NS1_11comp_targetILNS1_3genE0ELNS1_11target_archE4294967295ELNS1_3gpuE0ELNS1_3repE0EEENS1_30default_config_static_selectorELNS0_4arch9wavefront6targetE0EEEvT1_
	.globl	_ZN7rocprim17ROCPRIM_400000_NS6detail17trampoline_kernelINS0_14default_configENS1_25partition_config_selectorILNS1_17partition_subalgoE6EsNS0_10empty_typeEbEEZZNS1_14partition_implILS5_6ELb0ES3_mN6thrust23THRUST_200600_302600_NS6detail15normal_iteratorINSA_10device_ptrIsEEEEPS6_SG_NS0_5tupleIJNSA_16discard_iteratorINSA_11use_defaultEEES6_EEENSH_IJSG_SG_EEES6_PlJNSB_9not_fun_tINSB_14equal_to_valueIsEEEEEEE10hipError_tPvRmT3_T4_T5_T6_T7_T9_mT8_P12ihipStream_tbDpT10_ENKUlT_T0_E_clISt17integral_constantIbLb0EES1B_EEDaS16_S17_EUlS16_E_NS1_11comp_targetILNS1_3genE0ELNS1_11target_archE4294967295ELNS1_3gpuE0ELNS1_3repE0EEENS1_30default_config_static_selectorELNS0_4arch9wavefront6targetE0EEEvT1_
	.p2align	8
	.type	_ZN7rocprim17ROCPRIM_400000_NS6detail17trampoline_kernelINS0_14default_configENS1_25partition_config_selectorILNS1_17partition_subalgoE6EsNS0_10empty_typeEbEEZZNS1_14partition_implILS5_6ELb0ES3_mN6thrust23THRUST_200600_302600_NS6detail15normal_iteratorINSA_10device_ptrIsEEEEPS6_SG_NS0_5tupleIJNSA_16discard_iteratorINSA_11use_defaultEEES6_EEENSH_IJSG_SG_EEES6_PlJNSB_9not_fun_tINSB_14equal_to_valueIsEEEEEEE10hipError_tPvRmT3_T4_T5_T6_T7_T9_mT8_P12ihipStream_tbDpT10_ENKUlT_T0_E_clISt17integral_constantIbLb0EES1B_EEDaS16_S17_EUlS16_E_NS1_11comp_targetILNS1_3genE0ELNS1_11target_archE4294967295ELNS1_3gpuE0ELNS1_3repE0EEENS1_30default_config_static_selectorELNS0_4arch9wavefront6targetE0EEEvT1_,@function
_ZN7rocprim17ROCPRIM_400000_NS6detail17trampoline_kernelINS0_14default_configENS1_25partition_config_selectorILNS1_17partition_subalgoE6EsNS0_10empty_typeEbEEZZNS1_14partition_implILS5_6ELb0ES3_mN6thrust23THRUST_200600_302600_NS6detail15normal_iteratorINSA_10device_ptrIsEEEEPS6_SG_NS0_5tupleIJNSA_16discard_iteratorINSA_11use_defaultEEES6_EEENSH_IJSG_SG_EEES6_PlJNSB_9not_fun_tINSB_14equal_to_valueIsEEEEEEE10hipError_tPvRmT3_T4_T5_T6_T7_T9_mT8_P12ihipStream_tbDpT10_ENKUlT_T0_E_clISt17integral_constantIbLb0EES1B_EEDaS16_S17_EUlS16_E_NS1_11comp_targetILNS1_3genE0ELNS1_11target_archE4294967295ELNS1_3gpuE0ELNS1_3repE0EEENS1_30default_config_static_selectorELNS0_4arch9wavefront6targetE0EEEvT1_: ; @_ZN7rocprim17ROCPRIM_400000_NS6detail17trampoline_kernelINS0_14default_configENS1_25partition_config_selectorILNS1_17partition_subalgoE6EsNS0_10empty_typeEbEEZZNS1_14partition_implILS5_6ELb0ES3_mN6thrust23THRUST_200600_302600_NS6detail15normal_iteratorINSA_10device_ptrIsEEEEPS6_SG_NS0_5tupleIJNSA_16discard_iteratorINSA_11use_defaultEEES6_EEENSH_IJSG_SG_EEES6_PlJNSB_9not_fun_tINSB_14equal_to_valueIsEEEEEEE10hipError_tPvRmT3_T4_T5_T6_T7_T9_mT8_P12ihipStream_tbDpT10_ENKUlT_T0_E_clISt17integral_constantIbLb0EES1B_EEDaS16_S17_EUlS16_E_NS1_11comp_targetILNS1_3genE0ELNS1_11target_archE4294967295ELNS1_3gpuE0ELNS1_3repE0EEENS1_30default_config_static_selectorELNS0_4arch9wavefront6targetE0EEEvT1_
; %bb.0:
	.section	.rodata,"a",@progbits
	.p2align	6, 0x0
	.amdhsa_kernel _ZN7rocprim17ROCPRIM_400000_NS6detail17trampoline_kernelINS0_14default_configENS1_25partition_config_selectorILNS1_17partition_subalgoE6EsNS0_10empty_typeEbEEZZNS1_14partition_implILS5_6ELb0ES3_mN6thrust23THRUST_200600_302600_NS6detail15normal_iteratorINSA_10device_ptrIsEEEEPS6_SG_NS0_5tupleIJNSA_16discard_iteratorINSA_11use_defaultEEES6_EEENSH_IJSG_SG_EEES6_PlJNSB_9not_fun_tINSB_14equal_to_valueIsEEEEEEE10hipError_tPvRmT3_T4_T5_T6_T7_T9_mT8_P12ihipStream_tbDpT10_ENKUlT_T0_E_clISt17integral_constantIbLb0EES1B_EEDaS16_S17_EUlS16_E_NS1_11comp_targetILNS1_3genE0ELNS1_11target_archE4294967295ELNS1_3gpuE0ELNS1_3repE0EEENS1_30default_config_static_selectorELNS0_4arch9wavefront6targetE0EEEvT1_
		.amdhsa_group_segment_fixed_size 0
		.amdhsa_private_segment_fixed_size 0
		.amdhsa_kernarg_size 120
		.amdhsa_user_sgpr_count 2
		.amdhsa_user_sgpr_dispatch_ptr 0
		.amdhsa_user_sgpr_queue_ptr 0
		.amdhsa_user_sgpr_kernarg_segment_ptr 1
		.amdhsa_user_sgpr_dispatch_id 0
		.amdhsa_user_sgpr_private_segment_size 0
		.amdhsa_wavefront_size32 1
		.amdhsa_uses_dynamic_stack 0
		.amdhsa_enable_private_segment 0
		.amdhsa_system_sgpr_workgroup_id_x 1
		.amdhsa_system_sgpr_workgroup_id_y 0
		.amdhsa_system_sgpr_workgroup_id_z 0
		.amdhsa_system_sgpr_workgroup_info 0
		.amdhsa_system_vgpr_workitem_id 0
		.amdhsa_next_free_vgpr 1
		.amdhsa_next_free_sgpr 1
		.amdhsa_reserve_vcc 0
		.amdhsa_float_round_mode_32 0
		.amdhsa_float_round_mode_16_64 0
		.amdhsa_float_denorm_mode_32 3
		.amdhsa_float_denorm_mode_16_64 3
		.amdhsa_fp16_overflow 0
		.amdhsa_workgroup_processor_mode 1
		.amdhsa_memory_ordered 1
		.amdhsa_forward_progress 1
		.amdhsa_inst_pref_size 0
		.amdhsa_round_robin_scheduling 0
		.amdhsa_exception_fp_ieee_invalid_op 0
		.amdhsa_exception_fp_denorm_src 0
		.amdhsa_exception_fp_ieee_div_zero 0
		.amdhsa_exception_fp_ieee_overflow 0
		.amdhsa_exception_fp_ieee_underflow 0
		.amdhsa_exception_fp_ieee_inexact 0
		.amdhsa_exception_int_div_zero 0
	.end_amdhsa_kernel
	.section	.text._ZN7rocprim17ROCPRIM_400000_NS6detail17trampoline_kernelINS0_14default_configENS1_25partition_config_selectorILNS1_17partition_subalgoE6EsNS0_10empty_typeEbEEZZNS1_14partition_implILS5_6ELb0ES3_mN6thrust23THRUST_200600_302600_NS6detail15normal_iteratorINSA_10device_ptrIsEEEEPS6_SG_NS0_5tupleIJNSA_16discard_iteratorINSA_11use_defaultEEES6_EEENSH_IJSG_SG_EEES6_PlJNSB_9not_fun_tINSB_14equal_to_valueIsEEEEEEE10hipError_tPvRmT3_T4_T5_T6_T7_T9_mT8_P12ihipStream_tbDpT10_ENKUlT_T0_E_clISt17integral_constantIbLb0EES1B_EEDaS16_S17_EUlS16_E_NS1_11comp_targetILNS1_3genE0ELNS1_11target_archE4294967295ELNS1_3gpuE0ELNS1_3repE0EEENS1_30default_config_static_selectorELNS0_4arch9wavefront6targetE0EEEvT1_,"axG",@progbits,_ZN7rocprim17ROCPRIM_400000_NS6detail17trampoline_kernelINS0_14default_configENS1_25partition_config_selectorILNS1_17partition_subalgoE6EsNS0_10empty_typeEbEEZZNS1_14partition_implILS5_6ELb0ES3_mN6thrust23THRUST_200600_302600_NS6detail15normal_iteratorINSA_10device_ptrIsEEEEPS6_SG_NS0_5tupleIJNSA_16discard_iteratorINSA_11use_defaultEEES6_EEENSH_IJSG_SG_EEES6_PlJNSB_9not_fun_tINSB_14equal_to_valueIsEEEEEEE10hipError_tPvRmT3_T4_T5_T6_T7_T9_mT8_P12ihipStream_tbDpT10_ENKUlT_T0_E_clISt17integral_constantIbLb0EES1B_EEDaS16_S17_EUlS16_E_NS1_11comp_targetILNS1_3genE0ELNS1_11target_archE4294967295ELNS1_3gpuE0ELNS1_3repE0EEENS1_30default_config_static_selectorELNS0_4arch9wavefront6targetE0EEEvT1_,comdat
.Lfunc_end1789:
	.size	_ZN7rocprim17ROCPRIM_400000_NS6detail17trampoline_kernelINS0_14default_configENS1_25partition_config_selectorILNS1_17partition_subalgoE6EsNS0_10empty_typeEbEEZZNS1_14partition_implILS5_6ELb0ES3_mN6thrust23THRUST_200600_302600_NS6detail15normal_iteratorINSA_10device_ptrIsEEEEPS6_SG_NS0_5tupleIJNSA_16discard_iteratorINSA_11use_defaultEEES6_EEENSH_IJSG_SG_EEES6_PlJNSB_9not_fun_tINSB_14equal_to_valueIsEEEEEEE10hipError_tPvRmT3_T4_T5_T6_T7_T9_mT8_P12ihipStream_tbDpT10_ENKUlT_T0_E_clISt17integral_constantIbLb0EES1B_EEDaS16_S17_EUlS16_E_NS1_11comp_targetILNS1_3genE0ELNS1_11target_archE4294967295ELNS1_3gpuE0ELNS1_3repE0EEENS1_30default_config_static_selectorELNS0_4arch9wavefront6targetE0EEEvT1_, .Lfunc_end1789-_ZN7rocprim17ROCPRIM_400000_NS6detail17trampoline_kernelINS0_14default_configENS1_25partition_config_selectorILNS1_17partition_subalgoE6EsNS0_10empty_typeEbEEZZNS1_14partition_implILS5_6ELb0ES3_mN6thrust23THRUST_200600_302600_NS6detail15normal_iteratorINSA_10device_ptrIsEEEEPS6_SG_NS0_5tupleIJNSA_16discard_iteratorINSA_11use_defaultEEES6_EEENSH_IJSG_SG_EEES6_PlJNSB_9not_fun_tINSB_14equal_to_valueIsEEEEEEE10hipError_tPvRmT3_T4_T5_T6_T7_T9_mT8_P12ihipStream_tbDpT10_ENKUlT_T0_E_clISt17integral_constantIbLb0EES1B_EEDaS16_S17_EUlS16_E_NS1_11comp_targetILNS1_3genE0ELNS1_11target_archE4294967295ELNS1_3gpuE0ELNS1_3repE0EEENS1_30default_config_static_selectorELNS0_4arch9wavefront6targetE0EEEvT1_
                                        ; -- End function
	.set _ZN7rocprim17ROCPRIM_400000_NS6detail17trampoline_kernelINS0_14default_configENS1_25partition_config_selectorILNS1_17partition_subalgoE6EsNS0_10empty_typeEbEEZZNS1_14partition_implILS5_6ELb0ES3_mN6thrust23THRUST_200600_302600_NS6detail15normal_iteratorINSA_10device_ptrIsEEEEPS6_SG_NS0_5tupleIJNSA_16discard_iteratorINSA_11use_defaultEEES6_EEENSH_IJSG_SG_EEES6_PlJNSB_9not_fun_tINSB_14equal_to_valueIsEEEEEEE10hipError_tPvRmT3_T4_T5_T6_T7_T9_mT8_P12ihipStream_tbDpT10_ENKUlT_T0_E_clISt17integral_constantIbLb0EES1B_EEDaS16_S17_EUlS16_E_NS1_11comp_targetILNS1_3genE0ELNS1_11target_archE4294967295ELNS1_3gpuE0ELNS1_3repE0EEENS1_30default_config_static_selectorELNS0_4arch9wavefront6targetE0EEEvT1_.num_vgpr, 0
	.set _ZN7rocprim17ROCPRIM_400000_NS6detail17trampoline_kernelINS0_14default_configENS1_25partition_config_selectorILNS1_17partition_subalgoE6EsNS0_10empty_typeEbEEZZNS1_14partition_implILS5_6ELb0ES3_mN6thrust23THRUST_200600_302600_NS6detail15normal_iteratorINSA_10device_ptrIsEEEEPS6_SG_NS0_5tupleIJNSA_16discard_iteratorINSA_11use_defaultEEES6_EEENSH_IJSG_SG_EEES6_PlJNSB_9not_fun_tINSB_14equal_to_valueIsEEEEEEE10hipError_tPvRmT3_T4_T5_T6_T7_T9_mT8_P12ihipStream_tbDpT10_ENKUlT_T0_E_clISt17integral_constantIbLb0EES1B_EEDaS16_S17_EUlS16_E_NS1_11comp_targetILNS1_3genE0ELNS1_11target_archE4294967295ELNS1_3gpuE0ELNS1_3repE0EEENS1_30default_config_static_selectorELNS0_4arch9wavefront6targetE0EEEvT1_.num_agpr, 0
	.set _ZN7rocprim17ROCPRIM_400000_NS6detail17trampoline_kernelINS0_14default_configENS1_25partition_config_selectorILNS1_17partition_subalgoE6EsNS0_10empty_typeEbEEZZNS1_14partition_implILS5_6ELb0ES3_mN6thrust23THRUST_200600_302600_NS6detail15normal_iteratorINSA_10device_ptrIsEEEEPS6_SG_NS0_5tupleIJNSA_16discard_iteratorINSA_11use_defaultEEES6_EEENSH_IJSG_SG_EEES6_PlJNSB_9not_fun_tINSB_14equal_to_valueIsEEEEEEE10hipError_tPvRmT3_T4_T5_T6_T7_T9_mT8_P12ihipStream_tbDpT10_ENKUlT_T0_E_clISt17integral_constantIbLb0EES1B_EEDaS16_S17_EUlS16_E_NS1_11comp_targetILNS1_3genE0ELNS1_11target_archE4294967295ELNS1_3gpuE0ELNS1_3repE0EEENS1_30default_config_static_selectorELNS0_4arch9wavefront6targetE0EEEvT1_.numbered_sgpr, 0
	.set _ZN7rocprim17ROCPRIM_400000_NS6detail17trampoline_kernelINS0_14default_configENS1_25partition_config_selectorILNS1_17partition_subalgoE6EsNS0_10empty_typeEbEEZZNS1_14partition_implILS5_6ELb0ES3_mN6thrust23THRUST_200600_302600_NS6detail15normal_iteratorINSA_10device_ptrIsEEEEPS6_SG_NS0_5tupleIJNSA_16discard_iteratorINSA_11use_defaultEEES6_EEENSH_IJSG_SG_EEES6_PlJNSB_9not_fun_tINSB_14equal_to_valueIsEEEEEEE10hipError_tPvRmT3_T4_T5_T6_T7_T9_mT8_P12ihipStream_tbDpT10_ENKUlT_T0_E_clISt17integral_constantIbLb0EES1B_EEDaS16_S17_EUlS16_E_NS1_11comp_targetILNS1_3genE0ELNS1_11target_archE4294967295ELNS1_3gpuE0ELNS1_3repE0EEENS1_30default_config_static_selectorELNS0_4arch9wavefront6targetE0EEEvT1_.num_named_barrier, 0
	.set _ZN7rocprim17ROCPRIM_400000_NS6detail17trampoline_kernelINS0_14default_configENS1_25partition_config_selectorILNS1_17partition_subalgoE6EsNS0_10empty_typeEbEEZZNS1_14partition_implILS5_6ELb0ES3_mN6thrust23THRUST_200600_302600_NS6detail15normal_iteratorINSA_10device_ptrIsEEEEPS6_SG_NS0_5tupleIJNSA_16discard_iteratorINSA_11use_defaultEEES6_EEENSH_IJSG_SG_EEES6_PlJNSB_9not_fun_tINSB_14equal_to_valueIsEEEEEEE10hipError_tPvRmT3_T4_T5_T6_T7_T9_mT8_P12ihipStream_tbDpT10_ENKUlT_T0_E_clISt17integral_constantIbLb0EES1B_EEDaS16_S17_EUlS16_E_NS1_11comp_targetILNS1_3genE0ELNS1_11target_archE4294967295ELNS1_3gpuE0ELNS1_3repE0EEENS1_30default_config_static_selectorELNS0_4arch9wavefront6targetE0EEEvT1_.private_seg_size, 0
	.set _ZN7rocprim17ROCPRIM_400000_NS6detail17trampoline_kernelINS0_14default_configENS1_25partition_config_selectorILNS1_17partition_subalgoE6EsNS0_10empty_typeEbEEZZNS1_14partition_implILS5_6ELb0ES3_mN6thrust23THRUST_200600_302600_NS6detail15normal_iteratorINSA_10device_ptrIsEEEEPS6_SG_NS0_5tupleIJNSA_16discard_iteratorINSA_11use_defaultEEES6_EEENSH_IJSG_SG_EEES6_PlJNSB_9not_fun_tINSB_14equal_to_valueIsEEEEEEE10hipError_tPvRmT3_T4_T5_T6_T7_T9_mT8_P12ihipStream_tbDpT10_ENKUlT_T0_E_clISt17integral_constantIbLb0EES1B_EEDaS16_S17_EUlS16_E_NS1_11comp_targetILNS1_3genE0ELNS1_11target_archE4294967295ELNS1_3gpuE0ELNS1_3repE0EEENS1_30default_config_static_selectorELNS0_4arch9wavefront6targetE0EEEvT1_.uses_vcc, 0
	.set _ZN7rocprim17ROCPRIM_400000_NS6detail17trampoline_kernelINS0_14default_configENS1_25partition_config_selectorILNS1_17partition_subalgoE6EsNS0_10empty_typeEbEEZZNS1_14partition_implILS5_6ELb0ES3_mN6thrust23THRUST_200600_302600_NS6detail15normal_iteratorINSA_10device_ptrIsEEEEPS6_SG_NS0_5tupleIJNSA_16discard_iteratorINSA_11use_defaultEEES6_EEENSH_IJSG_SG_EEES6_PlJNSB_9not_fun_tINSB_14equal_to_valueIsEEEEEEE10hipError_tPvRmT3_T4_T5_T6_T7_T9_mT8_P12ihipStream_tbDpT10_ENKUlT_T0_E_clISt17integral_constantIbLb0EES1B_EEDaS16_S17_EUlS16_E_NS1_11comp_targetILNS1_3genE0ELNS1_11target_archE4294967295ELNS1_3gpuE0ELNS1_3repE0EEENS1_30default_config_static_selectorELNS0_4arch9wavefront6targetE0EEEvT1_.uses_flat_scratch, 0
	.set _ZN7rocprim17ROCPRIM_400000_NS6detail17trampoline_kernelINS0_14default_configENS1_25partition_config_selectorILNS1_17partition_subalgoE6EsNS0_10empty_typeEbEEZZNS1_14partition_implILS5_6ELb0ES3_mN6thrust23THRUST_200600_302600_NS6detail15normal_iteratorINSA_10device_ptrIsEEEEPS6_SG_NS0_5tupleIJNSA_16discard_iteratorINSA_11use_defaultEEES6_EEENSH_IJSG_SG_EEES6_PlJNSB_9not_fun_tINSB_14equal_to_valueIsEEEEEEE10hipError_tPvRmT3_T4_T5_T6_T7_T9_mT8_P12ihipStream_tbDpT10_ENKUlT_T0_E_clISt17integral_constantIbLb0EES1B_EEDaS16_S17_EUlS16_E_NS1_11comp_targetILNS1_3genE0ELNS1_11target_archE4294967295ELNS1_3gpuE0ELNS1_3repE0EEENS1_30default_config_static_selectorELNS0_4arch9wavefront6targetE0EEEvT1_.has_dyn_sized_stack, 0
	.set _ZN7rocprim17ROCPRIM_400000_NS6detail17trampoline_kernelINS0_14default_configENS1_25partition_config_selectorILNS1_17partition_subalgoE6EsNS0_10empty_typeEbEEZZNS1_14partition_implILS5_6ELb0ES3_mN6thrust23THRUST_200600_302600_NS6detail15normal_iteratorINSA_10device_ptrIsEEEEPS6_SG_NS0_5tupleIJNSA_16discard_iteratorINSA_11use_defaultEEES6_EEENSH_IJSG_SG_EEES6_PlJNSB_9not_fun_tINSB_14equal_to_valueIsEEEEEEE10hipError_tPvRmT3_T4_T5_T6_T7_T9_mT8_P12ihipStream_tbDpT10_ENKUlT_T0_E_clISt17integral_constantIbLb0EES1B_EEDaS16_S17_EUlS16_E_NS1_11comp_targetILNS1_3genE0ELNS1_11target_archE4294967295ELNS1_3gpuE0ELNS1_3repE0EEENS1_30default_config_static_selectorELNS0_4arch9wavefront6targetE0EEEvT1_.has_recursion, 0
	.set _ZN7rocprim17ROCPRIM_400000_NS6detail17trampoline_kernelINS0_14default_configENS1_25partition_config_selectorILNS1_17partition_subalgoE6EsNS0_10empty_typeEbEEZZNS1_14partition_implILS5_6ELb0ES3_mN6thrust23THRUST_200600_302600_NS6detail15normal_iteratorINSA_10device_ptrIsEEEEPS6_SG_NS0_5tupleIJNSA_16discard_iteratorINSA_11use_defaultEEES6_EEENSH_IJSG_SG_EEES6_PlJNSB_9not_fun_tINSB_14equal_to_valueIsEEEEEEE10hipError_tPvRmT3_T4_T5_T6_T7_T9_mT8_P12ihipStream_tbDpT10_ENKUlT_T0_E_clISt17integral_constantIbLb0EES1B_EEDaS16_S17_EUlS16_E_NS1_11comp_targetILNS1_3genE0ELNS1_11target_archE4294967295ELNS1_3gpuE0ELNS1_3repE0EEENS1_30default_config_static_selectorELNS0_4arch9wavefront6targetE0EEEvT1_.has_indirect_call, 0
	.section	.AMDGPU.csdata,"",@progbits
; Kernel info:
; codeLenInByte = 0
; TotalNumSgprs: 0
; NumVgprs: 0
; ScratchSize: 0
; MemoryBound: 0
; FloatMode: 240
; IeeeMode: 1
; LDSByteSize: 0 bytes/workgroup (compile time only)
; SGPRBlocks: 0
; VGPRBlocks: 0
; NumSGPRsForWavesPerEU: 1
; NumVGPRsForWavesPerEU: 1
; Occupancy: 16
; WaveLimiterHint : 0
; COMPUTE_PGM_RSRC2:SCRATCH_EN: 0
; COMPUTE_PGM_RSRC2:USER_SGPR: 2
; COMPUTE_PGM_RSRC2:TRAP_HANDLER: 0
; COMPUTE_PGM_RSRC2:TGID_X_EN: 1
; COMPUTE_PGM_RSRC2:TGID_Y_EN: 0
; COMPUTE_PGM_RSRC2:TGID_Z_EN: 0
; COMPUTE_PGM_RSRC2:TIDIG_COMP_CNT: 0
	.section	.text._ZN7rocprim17ROCPRIM_400000_NS6detail17trampoline_kernelINS0_14default_configENS1_25partition_config_selectorILNS1_17partition_subalgoE6EsNS0_10empty_typeEbEEZZNS1_14partition_implILS5_6ELb0ES3_mN6thrust23THRUST_200600_302600_NS6detail15normal_iteratorINSA_10device_ptrIsEEEEPS6_SG_NS0_5tupleIJNSA_16discard_iteratorINSA_11use_defaultEEES6_EEENSH_IJSG_SG_EEES6_PlJNSB_9not_fun_tINSB_14equal_to_valueIsEEEEEEE10hipError_tPvRmT3_T4_T5_T6_T7_T9_mT8_P12ihipStream_tbDpT10_ENKUlT_T0_E_clISt17integral_constantIbLb0EES1B_EEDaS16_S17_EUlS16_E_NS1_11comp_targetILNS1_3genE5ELNS1_11target_archE942ELNS1_3gpuE9ELNS1_3repE0EEENS1_30default_config_static_selectorELNS0_4arch9wavefront6targetE0EEEvT1_,"axG",@progbits,_ZN7rocprim17ROCPRIM_400000_NS6detail17trampoline_kernelINS0_14default_configENS1_25partition_config_selectorILNS1_17partition_subalgoE6EsNS0_10empty_typeEbEEZZNS1_14partition_implILS5_6ELb0ES3_mN6thrust23THRUST_200600_302600_NS6detail15normal_iteratorINSA_10device_ptrIsEEEEPS6_SG_NS0_5tupleIJNSA_16discard_iteratorINSA_11use_defaultEEES6_EEENSH_IJSG_SG_EEES6_PlJNSB_9not_fun_tINSB_14equal_to_valueIsEEEEEEE10hipError_tPvRmT3_T4_T5_T6_T7_T9_mT8_P12ihipStream_tbDpT10_ENKUlT_T0_E_clISt17integral_constantIbLb0EES1B_EEDaS16_S17_EUlS16_E_NS1_11comp_targetILNS1_3genE5ELNS1_11target_archE942ELNS1_3gpuE9ELNS1_3repE0EEENS1_30default_config_static_selectorELNS0_4arch9wavefront6targetE0EEEvT1_,comdat
	.protected	_ZN7rocprim17ROCPRIM_400000_NS6detail17trampoline_kernelINS0_14default_configENS1_25partition_config_selectorILNS1_17partition_subalgoE6EsNS0_10empty_typeEbEEZZNS1_14partition_implILS5_6ELb0ES3_mN6thrust23THRUST_200600_302600_NS6detail15normal_iteratorINSA_10device_ptrIsEEEEPS6_SG_NS0_5tupleIJNSA_16discard_iteratorINSA_11use_defaultEEES6_EEENSH_IJSG_SG_EEES6_PlJNSB_9not_fun_tINSB_14equal_to_valueIsEEEEEEE10hipError_tPvRmT3_T4_T5_T6_T7_T9_mT8_P12ihipStream_tbDpT10_ENKUlT_T0_E_clISt17integral_constantIbLb0EES1B_EEDaS16_S17_EUlS16_E_NS1_11comp_targetILNS1_3genE5ELNS1_11target_archE942ELNS1_3gpuE9ELNS1_3repE0EEENS1_30default_config_static_selectorELNS0_4arch9wavefront6targetE0EEEvT1_ ; -- Begin function _ZN7rocprim17ROCPRIM_400000_NS6detail17trampoline_kernelINS0_14default_configENS1_25partition_config_selectorILNS1_17partition_subalgoE6EsNS0_10empty_typeEbEEZZNS1_14partition_implILS5_6ELb0ES3_mN6thrust23THRUST_200600_302600_NS6detail15normal_iteratorINSA_10device_ptrIsEEEEPS6_SG_NS0_5tupleIJNSA_16discard_iteratorINSA_11use_defaultEEES6_EEENSH_IJSG_SG_EEES6_PlJNSB_9not_fun_tINSB_14equal_to_valueIsEEEEEEE10hipError_tPvRmT3_T4_T5_T6_T7_T9_mT8_P12ihipStream_tbDpT10_ENKUlT_T0_E_clISt17integral_constantIbLb0EES1B_EEDaS16_S17_EUlS16_E_NS1_11comp_targetILNS1_3genE5ELNS1_11target_archE942ELNS1_3gpuE9ELNS1_3repE0EEENS1_30default_config_static_selectorELNS0_4arch9wavefront6targetE0EEEvT1_
	.globl	_ZN7rocprim17ROCPRIM_400000_NS6detail17trampoline_kernelINS0_14default_configENS1_25partition_config_selectorILNS1_17partition_subalgoE6EsNS0_10empty_typeEbEEZZNS1_14partition_implILS5_6ELb0ES3_mN6thrust23THRUST_200600_302600_NS6detail15normal_iteratorINSA_10device_ptrIsEEEEPS6_SG_NS0_5tupleIJNSA_16discard_iteratorINSA_11use_defaultEEES6_EEENSH_IJSG_SG_EEES6_PlJNSB_9not_fun_tINSB_14equal_to_valueIsEEEEEEE10hipError_tPvRmT3_T4_T5_T6_T7_T9_mT8_P12ihipStream_tbDpT10_ENKUlT_T0_E_clISt17integral_constantIbLb0EES1B_EEDaS16_S17_EUlS16_E_NS1_11comp_targetILNS1_3genE5ELNS1_11target_archE942ELNS1_3gpuE9ELNS1_3repE0EEENS1_30default_config_static_selectorELNS0_4arch9wavefront6targetE0EEEvT1_
	.p2align	8
	.type	_ZN7rocprim17ROCPRIM_400000_NS6detail17trampoline_kernelINS0_14default_configENS1_25partition_config_selectorILNS1_17partition_subalgoE6EsNS0_10empty_typeEbEEZZNS1_14partition_implILS5_6ELb0ES3_mN6thrust23THRUST_200600_302600_NS6detail15normal_iteratorINSA_10device_ptrIsEEEEPS6_SG_NS0_5tupleIJNSA_16discard_iteratorINSA_11use_defaultEEES6_EEENSH_IJSG_SG_EEES6_PlJNSB_9not_fun_tINSB_14equal_to_valueIsEEEEEEE10hipError_tPvRmT3_T4_T5_T6_T7_T9_mT8_P12ihipStream_tbDpT10_ENKUlT_T0_E_clISt17integral_constantIbLb0EES1B_EEDaS16_S17_EUlS16_E_NS1_11comp_targetILNS1_3genE5ELNS1_11target_archE942ELNS1_3gpuE9ELNS1_3repE0EEENS1_30default_config_static_selectorELNS0_4arch9wavefront6targetE0EEEvT1_,@function
_ZN7rocprim17ROCPRIM_400000_NS6detail17trampoline_kernelINS0_14default_configENS1_25partition_config_selectorILNS1_17partition_subalgoE6EsNS0_10empty_typeEbEEZZNS1_14partition_implILS5_6ELb0ES3_mN6thrust23THRUST_200600_302600_NS6detail15normal_iteratorINSA_10device_ptrIsEEEEPS6_SG_NS0_5tupleIJNSA_16discard_iteratorINSA_11use_defaultEEES6_EEENSH_IJSG_SG_EEES6_PlJNSB_9not_fun_tINSB_14equal_to_valueIsEEEEEEE10hipError_tPvRmT3_T4_T5_T6_T7_T9_mT8_P12ihipStream_tbDpT10_ENKUlT_T0_E_clISt17integral_constantIbLb0EES1B_EEDaS16_S17_EUlS16_E_NS1_11comp_targetILNS1_3genE5ELNS1_11target_archE942ELNS1_3gpuE9ELNS1_3repE0EEENS1_30default_config_static_selectorELNS0_4arch9wavefront6targetE0EEEvT1_: ; @_ZN7rocprim17ROCPRIM_400000_NS6detail17trampoline_kernelINS0_14default_configENS1_25partition_config_selectorILNS1_17partition_subalgoE6EsNS0_10empty_typeEbEEZZNS1_14partition_implILS5_6ELb0ES3_mN6thrust23THRUST_200600_302600_NS6detail15normal_iteratorINSA_10device_ptrIsEEEEPS6_SG_NS0_5tupleIJNSA_16discard_iteratorINSA_11use_defaultEEES6_EEENSH_IJSG_SG_EEES6_PlJNSB_9not_fun_tINSB_14equal_to_valueIsEEEEEEE10hipError_tPvRmT3_T4_T5_T6_T7_T9_mT8_P12ihipStream_tbDpT10_ENKUlT_T0_E_clISt17integral_constantIbLb0EES1B_EEDaS16_S17_EUlS16_E_NS1_11comp_targetILNS1_3genE5ELNS1_11target_archE942ELNS1_3gpuE9ELNS1_3repE0EEENS1_30default_config_static_selectorELNS0_4arch9wavefront6targetE0EEEvT1_
; %bb.0:
	.section	.rodata,"a",@progbits
	.p2align	6, 0x0
	.amdhsa_kernel _ZN7rocprim17ROCPRIM_400000_NS6detail17trampoline_kernelINS0_14default_configENS1_25partition_config_selectorILNS1_17partition_subalgoE6EsNS0_10empty_typeEbEEZZNS1_14partition_implILS5_6ELb0ES3_mN6thrust23THRUST_200600_302600_NS6detail15normal_iteratorINSA_10device_ptrIsEEEEPS6_SG_NS0_5tupleIJNSA_16discard_iteratorINSA_11use_defaultEEES6_EEENSH_IJSG_SG_EEES6_PlJNSB_9not_fun_tINSB_14equal_to_valueIsEEEEEEE10hipError_tPvRmT3_T4_T5_T6_T7_T9_mT8_P12ihipStream_tbDpT10_ENKUlT_T0_E_clISt17integral_constantIbLb0EES1B_EEDaS16_S17_EUlS16_E_NS1_11comp_targetILNS1_3genE5ELNS1_11target_archE942ELNS1_3gpuE9ELNS1_3repE0EEENS1_30default_config_static_selectorELNS0_4arch9wavefront6targetE0EEEvT1_
		.amdhsa_group_segment_fixed_size 0
		.amdhsa_private_segment_fixed_size 0
		.amdhsa_kernarg_size 120
		.amdhsa_user_sgpr_count 2
		.amdhsa_user_sgpr_dispatch_ptr 0
		.amdhsa_user_sgpr_queue_ptr 0
		.amdhsa_user_sgpr_kernarg_segment_ptr 1
		.amdhsa_user_sgpr_dispatch_id 0
		.amdhsa_user_sgpr_private_segment_size 0
		.amdhsa_wavefront_size32 1
		.amdhsa_uses_dynamic_stack 0
		.amdhsa_enable_private_segment 0
		.amdhsa_system_sgpr_workgroup_id_x 1
		.amdhsa_system_sgpr_workgroup_id_y 0
		.amdhsa_system_sgpr_workgroup_id_z 0
		.amdhsa_system_sgpr_workgroup_info 0
		.amdhsa_system_vgpr_workitem_id 0
		.amdhsa_next_free_vgpr 1
		.amdhsa_next_free_sgpr 1
		.amdhsa_reserve_vcc 0
		.amdhsa_float_round_mode_32 0
		.amdhsa_float_round_mode_16_64 0
		.amdhsa_float_denorm_mode_32 3
		.amdhsa_float_denorm_mode_16_64 3
		.amdhsa_fp16_overflow 0
		.amdhsa_workgroup_processor_mode 1
		.amdhsa_memory_ordered 1
		.amdhsa_forward_progress 1
		.amdhsa_inst_pref_size 0
		.amdhsa_round_robin_scheduling 0
		.amdhsa_exception_fp_ieee_invalid_op 0
		.amdhsa_exception_fp_denorm_src 0
		.amdhsa_exception_fp_ieee_div_zero 0
		.amdhsa_exception_fp_ieee_overflow 0
		.amdhsa_exception_fp_ieee_underflow 0
		.amdhsa_exception_fp_ieee_inexact 0
		.amdhsa_exception_int_div_zero 0
	.end_amdhsa_kernel
	.section	.text._ZN7rocprim17ROCPRIM_400000_NS6detail17trampoline_kernelINS0_14default_configENS1_25partition_config_selectorILNS1_17partition_subalgoE6EsNS0_10empty_typeEbEEZZNS1_14partition_implILS5_6ELb0ES3_mN6thrust23THRUST_200600_302600_NS6detail15normal_iteratorINSA_10device_ptrIsEEEEPS6_SG_NS0_5tupleIJNSA_16discard_iteratorINSA_11use_defaultEEES6_EEENSH_IJSG_SG_EEES6_PlJNSB_9not_fun_tINSB_14equal_to_valueIsEEEEEEE10hipError_tPvRmT3_T4_T5_T6_T7_T9_mT8_P12ihipStream_tbDpT10_ENKUlT_T0_E_clISt17integral_constantIbLb0EES1B_EEDaS16_S17_EUlS16_E_NS1_11comp_targetILNS1_3genE5ELNS1_11target_archE942ELNS1_3gpuE9ELNS1_3repE0EEENS1_30default_config_static_selectorELNS0_4arch9wavefront6targetE0EEEvT1_,"axG",@progbits,_ZN7rocprim17ROCPRIM_400000_NS6detail17trampoline_kernelINS0_14default_configENS1_25partition_config_selectorILNS1_17partition_subalgoE6EsNS0_10empty_typeEbEEZZNS1_14partition_implILS5_6ELb0ES3_mN6thrust23THRUST_200600_302600_NS6detail15normal_iteratorINSA_10device_ptrIsEEEEPS6_SG_NS0_5tupleIJNSA_16discard_iteratorINSA_11use_defaultEEES6_EEENSH_IJSG_SG_EEES6_PlJNSB_9not_fun_tINSB_14equal_to_valueIsEEEEEEE10hipError_tPvRmT3_T4_T5_T6_T7_T9_mT8_P12ihipStream_tbDpT10_ENKUlT_T0_E_clISt17integral_constantIbLb0EES1B_EEDaS16_S17_EUlS16_E_NS1_11comp_targetILNS1_3genE5ELNS1_11target_archE942ELNS1_3gpuE9ELNS1_3repE0EEENS1_30default_config_static_selectorELNS0_4arch9wavefront6targetE0EEEvT1_,comdat
.Lfunc_end1790:
	.size	_ZN7rocprim17ROCPRIM_400000_NS6detail17trampoline_kernelINS0_14default_configENS1_25partition_config_selectorILNS1_17partition_subalgoE6EsNS0_10empty_typeEbEEZZNS1_14partition_implILS5_6ELb0ES3_mN6thrust23THRUST_200600_302600_NS6detail15normal_iteratorINSA_10device_ptrIsEEEEPS6_SG_NS0_5tupleIJNSA_16discard_iteratorINSA_11use_defaultEEES6_EEENSH_IJSG_SG_EEES6_PlJNSB_9not_fun_tINSB_14equal_to_valueIsEEEEEEE10hipError_tPvRmT3_T4_T5_T6_T7_T9_mT8_P12ihipStream_tbDpT10_ENKUlT_T0_E_clISt17integral_constantIbLb0EES1B_EEDaS16_S17_EUlS16_E_NS1_11comp_targetILNS1_3genE5ELNS1_11target_archE942ELNS1_3gpuE9ELNS1_3repE0EEENS1_30default_config_static_selectorELNS0_4arch9wavefront6targetE0EEEvT1_, .Lfunc_end1790-_ZN7rocprim17ROCPRIM_400000_NS6detail17trampoline_kernelINS0_14default_configENS1_25partition_config_selectorILNS1_17partition_subalgoE6EsNS0_10empty_typeEbEEZZNS1_14partition_implILS5_6ELb0ES3_mN6thrust23THRUST_200600_302600_NS6detail15normal_iteratorINSA_10device_ptrIsEEEEPS6_SG_NS0_5tupleIJNSA_16discard_iteratorINSA_11use_defaultEEES6_EEENSH_IJSG_SG_EEES6_PlJNSB_9not_fun_tINSB_14equal_to_valueIsEEEEEEE10hipError_tPvRmT3_T4_T5_T6_T7_T9_mT8_P12ihipStream_tbDpT10_ENKUlT_T0_E_clISt17integral_constantIbLb0EES1B_EEDaS16_S17_EUlS16_E_NS1_11comp_targetILNS1_3genE5ELNS1_11target_archE942ELNS1_3gpuE9ELNS1_3repE0EEENS1_30default_config_static_selectorELNS0_4arch9wavefront6targetE0EEEvT1_
                                        ; -- End function
	.set _ZN7rocprim17ROCPRIM_400000_NS6detail17trampoline_kernelINS0_14default_configENS1_25partition_config_selectorILNS1_17partition_subalgoE6EsNS0_10empty_typeEbEEZZNS1_14partition_implILS5_6ELb0ES3_mN6thrust23THRUST_200600_302600_NS6detail15normal_iteratorINSA_10device_ptrIsEEEEPS6_SG_NS0_5tupleIJNSA_16discard_iteratorINSA_11use_defaultEEES6_EEENSH_IJSG_SG_EEES6_PlJNSB_9not_fun_tINSB_14equal_to_valueIsEEEEEEE10hipError_tPvRmT3_T4_T5_T6_T7_T9_mT8_P12ihipStream_tbDpT10_ENKUlT_T0_E_clISt17integral_constantIbLb0EES1B_EEDaS16_S17_EUlS16_E_NS1_11comp_targetILNS1_3genE5ELNS1_11target_archE942ELNS1_3gpuE9ELNS1_3repE0EEENS1_30default_config_static_selectorELNS0_4arch9wavefront6targetE0EEEvT1_.num_vgpr, 0
	.set _ZN7rocprim17ROCPRIM_400000_NS6detail17trampoline_kernelINS0_14default_configENS1_25partition_config_selectorILNS1_17partition_subalgoE6EsNS0_10empty_typeEbEEZZNS1_14partition_implILS5_6ELb0ES3_mN6thrust23THRUST_200600_302600_NS6detail15normal_iteratorINSA_10device_ptrIsEEEEPS6_SG_NS0_5tupleIJNSA_16discard_iteratorINSA_11use_defaultEEES6_EEENSH_IJSG_SG_EEES6_PlJNSB_9not_fun_tINSB_14equal_to_valueIsEEEEEEE10hipError_tPvRmT3_T4_T5_T6_T7_T9_mT8_P12ihipStream_tbDpT10_ENKUlT_T0_E_clISt17integral_constantIbLb0EES1B_EEDaS16_S17_EUlS16_E_NS1_11comp_targetILNS1_3genE5ELNS1_11target_archE942ELNS1_3gpuE9ELNS1_3repE0EEENS1_30default_config_static_selectorELNS0_4arch9wavefront6targetE0EEEvT1_.num_agpr, 0
	.set _ZN7rocprim17ROCPRIM_400000_NS6detail17trampoline_kernelINS0_14default_configENS1_25partition_config_selectorILNS1_17partition_subalgoE6EsNS0_10empty_typeEbEEZZNS1_14partition_implILS5_6ELb0ES3_mN6thrust23THRUST_200600_302600_NS6detail15normal_iteratorINSA_10device_ptrIsEEEEPS6_SG_NS0_5tupleIJNSA_16discard_iteratorINSA_11use_defaultEEES6_EEENSH_IJSG_SG_EEES6_PlJNSB_9not_fun_tINSB_14equal_to_valueIsEEEEEEE10hipError_tPvRmT3_T4_T5_T6_T7_T9_mT8_P12ihipStream_tbDpT10_ENKUlT_T0_E_clISt17integral_constantIbLb0EES1B_EEDaS16_S17_EUlS16_E_NS1_11comp_targetILNS1_3genE5ELNS1_11target_archE942ELNS1_3gpuE9ELNS1_3repE0EEENS1_30default_config_static_selectorELNS0_4arch9wavefront6targetE0EEEvT1_.numbered_sgpr, 0
	.set _ZN7rocprim17ROCPRIM_400000_NS6detail17trampoline_kernelINS0_14default_configENS1_25partition_config_selectorILNS1_17partition_subalgoE6EsNS0_10empty_typeEbEEZZNS1_14partition_implILS5_6ELb0ES3_mN6thrust23THRUST_200600_302600_NS6detail15normal_iteratorINSA_10device_ptrIsEEEEPS6_SG_NS0_5tupleIJNSA_16discard_iteratorINSA_11use_defaultEEES6_EEENSH_IJSG_SG_EEES6_PlJNSB_9not_fun_tINSB_14equal_to_valueIsEEEEEEE10hipError_tPvRmT3_T4_T5_T6_T7_T9_mT8_P12ihipStream_tbDpT10_ENKUlT_T0_E_clISt17integral_constantIbLb0EES1B_EEDaS16_S17_EUlS16_E_NS1_11comp_targetILNS1_3genE5ELNS1_11target_archE942ELNS1_3gpuE9ELNS1_3repE0EEENS1_30default_config_static_selectorELNS0_4arch9wavefront6targetE0EEEvT1_.num_named_barrier, 0
	.set _ZN7rocprim17ROCPRIM_400000_NS6detail17trampoline_kernelINS0_14default_configENS1_25partition_config_selectorILNS1_17partition_subalgoE6EsNS0_10empty_typeEbEEZZNS1_14partition_implILS5_6ELb0ES3_mN6thrust23THRUST_200600_302600_NS6detail15normal_iteratorINSA_10device_ptrIsEEEEPS6_SG_NS0_5tupleIJNSA_16discard_iteratorINSA_11use_defaultEEES6_EEENSH_IJSG_SG_EEES6_PlJNSB_9not_fun_tINSB_14equal_to_valueIsEEEEEEE10hipError_tPvRmT3_T4_T5_T6_T7_T9_mT8_P12ihipStream_tbDpT10_ENKUlT_T0_E_clISt17integral_constantIbLb0EES1B_EEDaS16_S17_EUlS16_E_NS1_11comp_targetILNS1_3genE5ELNS1_11target_archE942ELNS1_3gpuE9ELNS1_3repE0EEENS1_30default_config_static_selectorELNS0_4arch9wavefront6targetE0EEEvT1_.private_seg_size, 0
	.set _ZN7rocprim17ROCPRIM_400000_NS6detail17trampoline_kernelINS0_14default_configENS1_25partition_config_selectorILNS1_17partition_subalgoE6EsNS0_10empty_typeEbEEZZNS1_14partition_implILS5_6ELb0ES3_mN6thrust23THRUST_200600_302600_NS6detail15normal_iteratorINSA_10device_ptrIsEEEEPS6_SG_NS0_5tupleIJNSA_16discard_iteratorINSA_11use_defaultEEES6_EEENSH_IJSG_SG_EEES6_PlJNSB_9not_fun_tINSB_14equal_to_valueIsEEEEEEE10hipError_tPvRmT3_T4_T5_T6_T7_T9_mT8_P12ihipStream_tbDpT10_ENKUlT_T0_E_clISt17integral_constantIbLb0EES1B_EEDaS16_S17_EUlS16_E_NS1_11comp_targetILNS1_3genE5ELNS1_11target_archE942ELNS1_3gpuE9ELNS1_3repE0EEENS1_30default_config_static_selectorELNS0_4arch9wavefront6targetE0EEEvT1_.uses_vcc, 0
	.set _ZN7rocprim17ROCPRIM_400000_NS6detail17trampoline_kernelINS0_14default_configENS1_25partition_config_selectorILNS1_17partition_subalgoE6EsNS0_10empty_typeEbEEZZNS1_14partition_implILS5_6ELb0ES3_mN6thrust23THRUST_200600_302600_NS6detail15normal_iteratorINSA_10device_ptrIsEEEEPS6_SG_NS0_5tupleIJNSA_16discard_iteratorINSA_11use_defaultEEES6_EEENSH_IJSG_SG_EEES6_PlJNSB_9not_fun_tINSB_14equal_to_valueIsEEEEEEE10hipError_tPvRmT3_T4_T5_T6_T7_T9_mT8_P12ihipStream_tbDpT10_ENKUlT_T0_E_clISt17integral_constantIbLb0EES1B_EEDaS16_S17_EUlS16_E_NS1_11comp_targetILNS1_3genE5ELNS1_11target_archE942ELNS1_3gpuE9ELNS1_3repE0EEENS1_30default_config_static_selectorELNS0_4arch9wavefront6targetE0EEEvT1_.uses_flat_scratch, 0
	.set _ZN7rocprim17ROCPRIM_400000_NS6detail17trampoline_kernelINS0_14default_configENS1_25partition_config_selectorILNS1_17partition_subalgoE6EsNS0_10empty_typeEbEEZZNS1_14partition_implILS5_6ELb0ES3_mN6thrust23THRUST_200600_302600_NS6detail15normal_iteratorINSA_10device_ptrIsEEEEPS6_SG_NS0_5tupleIJNSA_16discard_iteratorINSA_11use_defaultEEES6_EEENSH_IJSG_SG_EEES6_PlJNSB_9not_fun_tINSB_14equal_to_valueIsEEEEEEE10hipError_tPvRmT3_T4_T5_T6_T7_T9_mT8_P12ihipStream_tbDpT10_ENKUlT_T0_E_clISt17integral_constantIbLb0EES1B_EEDaS16_S17_EUlS16_E_NS1_11comp_targetILNS1_3genE5ELNS1_11target_archE942ELNS1_3gpuE9ELNS1_3repE0EEENS1_30default_config_static_selectorELNS0_4arch9wavefront6targetE0EEEvT1_.has_dyn_sized_stack, 0
	.set _ZN7rocprim17ROCPRIM_400000_NS6detail17trampoline_kernelINS0_14default_configENS1_25partition_config_selectorILNS1_17partition_subalgoE6EsNS0_10empty_typeEbEEZZNS1_14partition_implILS5_6ELb0ES3_mN6thrust23THRUST_200600_302600_NS6detail15normal_iteratorINSA_10device_ptrIsEEEEPS6_SG_NS0_5tupleIJNSA_16discard_iteratorINSA_11use_defaultEEES6_EEENSH_IJSG_SG_EEES6_PlJNSB_9not_fun_tINSB_14equal_to_valueIsEEEEEEE10hipError_tPvRmT3_T4_T5_T6_T7_T9_mT8_P12ihipStream_tbDpT10_ENKUlT_T0_E_clISt17integral_constantIbLb0EES1B_EEDaS16_S17_EUlS16_E_NS1_11comp_targetILNS1_3genE5ELNS1_11target_archE942ELNS1_3gpuE9ELNS1_3repE0EEENS1_30default_config_static_selectorELNS0_4arch9wavefront6targetE0EEEvT1_.has_recursion, 0
	.set _ZN7rocprim17ROCPRIM_400000_NS6detail17trampoline_kernelINS0_14default_configENS1_25partition_config_selectorILNS1_17partition_subalgoE6EsNS0_10empty_typeEbEEZZNS1_14partition_implILS5_6ELb0ES3_mN6thrust23THRUST_200600_302600_NS6detail15normal_iteratorINSA_10device_ptrIsEEEEPS6_SG_NS0_5tupleIJNSA_16discard_iteratorINSA_11use_defaultEEES6_EEENSH_IJSG_SG_EEES6_PlJNSB_9not_fun_tINSB_14equal_to_valueIsEEEEEEE10hipError_tPvRmT3_T4_T5_T6_T7_T9_mT8_P12ihipStream_tbDpT10_ENKUlT_T0_E_clISt17integral_constantIbLb0EES1B_EEDaS16_S17_EUlS16_E_NS1_11comp_targetILNS1_3genE5ELNS1_11target_archE942ELNS1_3gpuE9ELNS1_3repE0EEENS1_30default_config_static_selectorELNS0_4arch9wavefront6targetE0EEEvT1_.has_indirect_call, 0
	.section	.AMDGPU.csdata,"",@progbits
; Kernel info:
; codeLenInByte = 0
; TotalNumSgprs: 0
; NumVgprs: 0
; ScratchSize: 0
; MemoryBound: 0
; FloatMode: 240
; IeeeMode: 1
; LDSByteSize: 0 bytes/workgroup (compile time only)
; SGPRBlocks: 0
; VGPRBlocks: 0
; NumSGPRsForWavesPerEU: 1
; NumVGPRsForWavesPerEU: 1
; Occupancy: 16
; WaveLimiterHint : 0
; COMPUTE_PGM_RSRC2:SCRATCH_EN: 0
; COMPUTE_PGM_RSRC2:USER_SGPR: 2
; COMPUTE_PGM_RSRC2:TRAP_HANDLER: 0
; COMPUTE_PGM_RSRC2:TGID_X_EN: 1
; COMPUTE_PGM_RSRC2:TGID_Y_EN: 0
; COMPUTE_PGM_RSRC2:TGID_Z_EN: 0
; COMPUTE_PGM_RSRC2:TIDIG_COMP_CNT: 0
	.section	.text._ZN7rocprim17ROCPRIM_400000_NS6detail17trampoline_kernelINS0_14default_configENS1_25partition_config_selectorILNS1_17partition_subalgoE6EsNS0_10empty_typeEbEEZZNS1_14partition_implILS5_6ELb0ES3_mN6thrust23THRUST_200600_302600_NS6detail15normal_iteratorINSA_10device_ptrIsEEEEPS6_SG_NS0_5tupleIJNSA_16discard_iteratorINSA_11use_defaultEEES6_EEENSH_IJSG_SG_EEES6_PlJNSB_9not_fun_tINSB_14equal_to_valueIsEEEEEEE10hipError_tPvRmT3_T4_T5_T6_T7_T9_mT8_P12ihipStream_tbDpT10_ENKUlT_T0_E_clISt17integral_constantIbLb0EES1B_EEDaS16_S17_EUlS16_E_NS1_11comp_targetILNS1_3genE4ELNS1_11target_archE910ELNS1_3gpuE8ELNS1_3repE0EEENS1_30default_config_static_selectorELNS0_4arch9wavefront6targetE0EEEvT1_,"axG",@progbits,_ZN7rocprim17ROCPRIM_400000_NS6detail17trampoline_kernelINS0_14default_configENS1_25partition_config_selectorILNS1_17partition_subalgoE6EsNS0_10empty_typeEbEEZZNS1_14partition_implILS5_6ELb0ES3_mN6thrust23THRUST_200600_302600_NS6detail15normal_iteratorINSA_10device_ptrIsEEEEPS6_SG_NS0_5tupleIJNSA_16discard_iteratorINSA_11use_defaultEEES6_EEENSH_IJSG_SG_EEES6_PlJNSB_9not_fun_tINSB_14equal_to_valueIsEEEEEEE10hipError_tPvRmT3_T4_T5_T6_T7_T9_mT8_P12ihipStream_tbDpT10_ENKUlT_T0_E_clISt17integral_constantIbLb0EES1B_EEDaS16_S17_EUlS16_E_NS1_11comp_targetILNS1_3genE4ELNS1_11target_archE910ELNS1_3gpuE8ELNS1_3repE0EEENS1_30default_config_static_selectorELNS0_4arch9wavefront6targetE0EEEvT1_,comdat
	.protected	_ZN7rocprim17ROCPRIM_400000_NS6detail17trampoline_kernelINS0_14default_configENS1_25partition_config_selectorILNS1_17partition_subalgoE6EsNS0_10empty_typeEbEEZZNS1_14partition_implILS5_6ELb0ES3_mN6thrust23THRUST_200600_302600_NS6detail15normal_iteratorINSA_10device_ptrIsEEEEPS6_SG_NS0_5tupleIJNSA_16discard_iteratorINSA_11use_defaultEEES6_EEENSH_IJSG_SG_EEES6_PlJNSB_9not_fun_tINSB_14equal_to_valueIsEEEEEEE10hipError_tPvRmT3_T4_T5_T6_T7_T9_mT8_P12ihipStream_tbDpT10_ENKUlT_T0_E_clISt17integral_constantIbLb0EES1B_EEDaS16_S17_EUlS16_E_NS1_11comp_targetILNS1_3genE4ELNS1_11target_archE910ELNS1_3gpuE8ELNS1_3repE0EEENS1_30default_config_static_selectorELNS0_4arch9wavefront6targetE0EEEvT1_ ; -- Begin function _ZN7rocprim17ROCPRIM_400000_NS6detail17trampoline_kernelINS0_14default_configENS1_25partition_config_selectorILNS1_17partition_subalgoE6EsNS0_10empty_typeEbEEZZNS1_14partition_implILS5_6ELb0ES3_mN6thrust23THRUST_200600_302600_NS6detail15normal_iteratorINSA_10device_ptrIsEEEEPS6_SG_NS0_5tupleIJNSA_16discard_iteratorINSA_11use_defaultEEES6_EEENSH_IJSG_SG_EEES6_PlJNSB_9not_fun_tINSB_14equal_to_valueIsEEEEEEE10hipError_tPvRmT3_T4_T5_T6_T7_T9_mT8_P12ihipStream_tbDpT10_ENKUlT_T0_E_clISt17integral_constantIbLb0EES1B_EEDaS16_S17_EUlS16_E_NS1_11comp_targetILNS1_3genE4ELNS1_11target_archE910ELNS1_3gpuE8ELNS1_3repE0EEENS1_30default_config_static_selectorELNS0_4arch9wavefront6targetE0EEEvT1_
	.globl	_ZN7rocprim17ROCPRIM_400000_NS6detail17trampoline_kernelINS0_14default_configENS1_25partition_config_selectorILNS1_17partition_subalgoE6EsNS0_10empty_typeEbEEZZNS1_14partition_implILS5_6ELb0ES3_mN6thrust23THRUST_200600_302600_NS6detail15normal_iteratorINSA_10device_ptrIsEEEEPS6_SG_NS0_5tupleIJNSA_16discard_iteratorINSA_11use_defaultEEES6_EEENSH_IJSG_SG_EEES6_PlJNSB_9not_fun_tINSB_14equal_to_valueIsEEEEEEE10hipError_tPvRmT3_T4_T5_T6_T7_T9_mT8_P12ihipStream_tbDpT10_ENKUlT_T0_E_clISt17integral_constantIbLb0EES1B_EEDaS16_S17_EUlS16_E_NS1_11comp_targetILNS1_3genE4ELNS1_11target_archE910ELNS1_3gpuE8ELNS1_3repE0EEENS1_30default_config_static_selectorELNS0_4arch9wavefront6targetE0EEEvT1_
	.p2align	8
	.type	_ZN7rocprim17ROCPRIM_400000_NS6detail17trampoline_kernelINS0_14default_configENS1_25partition_config_selectorILNS1_17partition_subalgoE6EsNS0_10empty_typeEbEEZZNS1_14partition_implILS5_6ELb0ES3_mN6thrust23THRUST_200600_302600_NS6detail15normal_iteratorINSA_10device_ptrIsEEEEPS6_SG_NS0_5tupleIJNSA_16discard_iteratorINSA_11use_defaultEEES6_EEENSH_IJSG_SG_EEES6_PlJNSB_9not_fun_tINSB_14equal_to_valueIsEEEEEEE10hipError_tPvRmT3_T4_T5_T6_T7_T9_mT8_P12ihipStream_tbDpT10_ENKUlT_T0_E_clISt17integral_constantIbLb0EES1B_EEDaS16_S17_EUlS16_E_NS1_11comp_targetILNS1_3genE4ELNS1_11target_archE910ELNS1_3gpuE8ELNS1_3repE0EEENS1_30default_config_static_selectorELNS0_4arch9wavefront6targetE0EEEvT1_,@function
_ZN7rocprim17ROCPRIM_400000_NS6detail17trampoline_kernelINS0_14default_configENS1_25partition_config_selectorILNS1_17partition_subalgoE6EsNS0_10empty_typeEbEEZZNS1_14partition_implILS5_6ELb0ES3_mN6thrust23THRUST_200600_302600_NS6detail15normal_iteratorINSA_10device_ptrIsEEEEPS6_SG_NS0_5tupleIJNSA_16discard_iteratorINSA_11use_defaultEEES6_EEENSH_IJSG_SG_EEES6_PlJNSB_9not_fun_tINSB_14equal_to_valueIsEEEEEEE10hipError_tPvRmT3_T4_T5_T6_T7_T9_mT8_P12ihipStream_tbDpT10_ENKUlT_T0_E_clISt17integral_constantIbLb0EES1B_EEDaS16_S17_EUlS16_E_NS1_11comp_targetILNS1_3genE4ELNS1_11target_archE910ELNS1_3gpuE8ELNS1_3repE0EEENS1_30default_config_static_selectorELNS0_4arch9wavefront6targetE0EEEvT1_: ; @_ZN7rocprim17ROCPRIM_400000_NS6detail17trampoline_kernelINS0_14default_configENS1_25partition_config_selectorILNS1_17partition_subalgoE6EsNS0_10empty_typeEbEEZZNS1_14partition_implILS5_6ELb0ES3_mN6thrust23THRUST_200600_302600_NS6detail15normal_iteratorINSA_10device_ptrIsEEEEPS6_SG_NS0_5tupleIJNSA_16discard_iteratorINSA_11use_defaultEEES6_EEENSH_IJSG_SG_EEES6_PlJNSB_9not_fun_tINSB_14equal_to_valueIsEEEEEEE10hipError_tPvRmT3_T4_T5_T6_T7_T9_mT8_P12ihipStream_tbDpT10_ENKUlT_T0_E_clISt17integral_constantIbLb0EES1B_EEDaS16_S17_EUlS16_E_NS1_11comp_targetILNS1_3genE4ELNS1_11target_archE910ELNS1_3gpuE8ELNS1_3repE0EEENS1_30default_config_static_selectorELNS0_4arch9wavefront6targetE0EEEvT1_
; %bb.0:
	.section	.rodata,"a",@progbits
	.p2align	6, 0x0
	.amdhsa_kernel _ZN7rocprim17ROCPRIM_400000_NS6detail17trampoline_kernelINS0_14default_configENS1_25partition_config_selectorILNS1_17partition_subalgoE6EsNS0_10empty_typeEbEEZZNS1_14partition_implILS5_6ELb0ES3_mN6thrust23THRUST_200600_302600_NS6detail15normal_iteratorINSA_10device_ptrIsEEEEPS6_SG_NS0_5tupleIJNSA_16discard_iteratorINSA_11use_defaultEEES6_EEENSH_IJSG_SG_EEES6_PlJNSB_9not_fun_tINSB_14equal_to_valueIsEEEEEEE10hipError_tPvRmT3_T4_T5_T6_T7_T9_mT8_P12ihipStream_tbDpT10_ENKUlT_T0_E_clISt17integral_constantIbLb0EES1B_EEDaS16_S17_EUlS16_E_NS1_11comp_targetILNS1_3genE4ELNS1_11target_archE910ELNS1_3gpuE8ELNS1_3repE0EEENS1_30default_config_static_selectorELNS0_4arch9wavefront6targetE0EEEvT1_
		.amdhsa_group_segment_fixed_size 0
		.amdhsa_private_segment_fixed_size 0
		.amdhsa_kernarg_size 120
		.amdhsa_user_sgpr_count 2
		.amdhsa_user_sgpr_dispatch_ptr 0
		.amdhsa_user_sgpr_queue_ptr 0
		.amdhsa_user_sgpr_kernarg_segment_ptr 1
		.amdhsa_user_sgpr_dispatch_id 0
		.amdhsa_user_sgpr_private_segment_size 0
		.amdhsa_wavefront_size32 1
		.amdhsa_uses_dynamic_stack 0
		.amdhsa_enable_private_segment 0
		.amdhsa_system_sgpr_workgroup_id_x 1
		.amdhsa_system_sgpr_workgroup_id_y 0
		.amdhsa_system_sgpr_workgroup_id_z 0
		.amdhsa_system_sgpr_workgroup_info 0
		.amdhsa_system_vgpr_workitem_id 0
		.amdhsa_next_free_vgpr 1
		.amdhsa_next_free_sgpr 1
		.amdhsa_reserve_vcc 0
		.amdhsa_float_round_mode_32 0
		.amdhsa_float_round_mode_16_64 0
		.amdhsa_float_denorm_mode_32 3
		.amdhsa_float_denorm_mode_16_64 3
		.amdhsa_fp16_overflow 0
		.amdhsa_workgroup_processor_mode 1
		.amdhsa_memory_ordered 1
		.amdhsa_forward_progress 1
		.amdhsa_inst_pref_size 0
		.amdhsa_round_robin_scheduling 0
		.amdhsa_exception_fp_ieee_invalid_op 0
		.amdhsa_exception_fp_denorm_src 0
		.amdhsa_exception_fp_ieee_div_zero 0
		.amdhsa_exception_fp_ieee_overflow 0
		.amdhsa_exception_fp_ieee_underflow 0
		.amdhsa_exception_fp_ieee_inexact 0
		.amdhsa_exception_int_div_zero 0
	.end_amdhsa_kernel
	.section	.text._ZN7rocprim17ROCPRIM_400000_NS6detail17trampoline_kernelINS0_14default_configENS1_25partition_config_selectorILNS1_17partition_subalgoE6EsNS0_10empty_typeEbEEZZNS1_14partition_implILS5_6ELb0ES3_mN6thrust23THRUST_200600_302600_NS6detail15normal_iteratorINSA_10device_ptrIsEEEEPS6_SG_NS0_5tupleIJNSA_16discard_iteratorINSA_11use_defaultEEES6_EEENSH_IJSG_SG_EEES6_PlJNSB_9not_fun_tINSB_14equal_to_valueIsEEEEEEE10hipError_tPvRmT3_T4_T5_T6_T7_T9_mT8_P12ihipStream_tbDpT10_ENKUlT_T0_E_clISt17integral_constantIbLb0EES1B_EEDaS16_S17_EUlS16_E_NS1_11comp_targetILNS1_3genE4ELNS1_11target_archE910ELNS1_3gpuE8ELNS1_3repE0EEENS1_30default_config_static_selectorELNS0_4arch9wavefront6targetE0EEEvT1_,"axG",@progbits,_ZN7rocprim17ROCPRIM_400000_NS6detail17trampoline_kernelINS0_14default_configENS1_25partition_config_selectorILNS1_17partition_subalgoE6EsNS0_10empty_typeEbEEZZNS1_14partition_implILS5_6ELb0ES3_mN6thrust23THRUST_200600_302600_NS6detail15normal_iteratorINSA_10device_ptrIsEEEEPS6_SG_NS0_5tupleIJNSA_16discard_iteratorINSA_11use_defaultEEES6_EEENSH_IJSG_SG_EEES6_PlJNSB_9not_fun_tINSB_14equal_to_valueIsEEEEEEE10hipError_tPvRmT3_T4_T5_T6_T7_T9_mT8_P12ihipStream_tbDpT10_ENKUlT_T0_E_clISt17integral_constantIbLb0EES1B_EEDaS16_S17_EUlS16_E_NS1_11comp_targetILNS1_3genE4ELNS1_11target_archE910ELNS1_3gpuE8ELNS1_3repE0EEENS1_30default_config_static_selectorELNS0_4arch9wavefront6targetE0EEEvT1_,comdat
.Lfunc_end1791:
	.size	_ZN7rocprim17ROCPRIM_400000_NS6detail17trampoline_kernelINS0_14default_configENS1_25partition_config_selectorILNS1_17partition_subalgoE6EsNS0_10empty_typeEbEEZZNS1_14partition_implILS5_6ELb0ES3_mN6thrust23THRUST_200600_302600_NS6detail15normal_iteratorINSA_10device_ptrIsEEEEPS6_SG_NS0_5tupleIJNSA_16discard_iteratorINSA_11use_defaultEEES6_EEENSH_IJSG_SG_EEES6_PlJNSB_9not_fun_tINSB_14equal_to_valueIsEEEEEEE10hipError_tPvRmT3_T4_T5_T6_T7_T9_mT8_P12ihipStream_tbDpT10_ENKUlT_T0_E_clISt17integral_constantIbLb0EES1B_EEDaS16_S17_EUlS16_E_NS1_11comp_targetILNS1_3genE4ELNS1_11target_archE910ELNS1_3gpuE8ELNS1_3repE0EEENS1_30default_config_static_selectorELNS0_4arch9wavefront6targetE0EEEvT1_, .Lfunc_end1791-_ZN7rocprim17ROCPRIM_400000_NS6detail17trampoline_kernelINS0_14default_configENS1_25partition_config_selectorILNS1_17partition_subalgoE6EsNS0_10empty_typeEbEEZZNS1_14partition_implILS5_6ELb0ES3_mN6thrust23THRUST_200600_302600_NS6detail15normal_iteratorINSA_10device_ptrIsEEEEPS6_SG_NS0_5tupleIJNSA_16discard_iteratorINSA_11use_defaultEEES6_EEENSH_IJSG_SG_EEES6_PlJNSB_9not_fun_tINSB_14equal_to_valueIsEEEEEEE10hipError_tPvRmT3_T4_T5_T6_T7_T9_mT8_P12ihipStream_tbDpT10_ENKUlT_T0_E_clISt17integral_constantIbLb0EES1B_EEDaS16_S17_EUlS16_E_NS1_11comp_targetILNS1_3genE4ELNS1_11target_archE910ELNS1_3gpuE8ELNS1_3repE0EEENS1_30default_config_static_selectorELNS0_4arch9wavefront6targetE0EEEvT1_
                                        ; -- End function
	.set _ZN7rocprim17ROCPRIM_400000_NS6detail17trampoline_kernelINS0_14default_configENS1_25partition_config_selectorILNS1_17partition_subalgoE6EsNS0_10empty_typeEbEEZZNS1_14partition_implILS5_6ELb0ES3_mN6thrust23THRUST_200600_302600_NS6detail15normal_iteratorINSA_10device_ptrIsEEEEPS6_SG_NS0_5tupleIJNSA_16discard_iteratorINSA_11use_defaultEEES6_EEENSH_IJSG_SG_EEES6_PlJNSB_9not_fun_tINSB_14equal_to_valueIsEEEEEEE10hipError_tPvRmT3_T4_T5_T6_T7_T9_mT8_P12ihipStream_tbDpT10_ENKUlT_T0_E_clISt17integral_constantIbLb0EES1B_EEDaS16_S17_EUlS16_E_NS1_11comp_targetILNS1_3genE4ELNS1_11target_archE910ELNS1_3gpuE8ELNS1_3repE0EEENS1_30default_config_static_selectorELNS0_4arch9wavefront6targetE0EEEvT1_.num_vgpr, 0
	.set _ZN7rocprim17ROCPRIM_400000_NS6detail17trampoline_kernelINS0_14default_configENS1_25partition_config_selectorILNS1_17partition_subalgoE6EsNS0_10empty_typeEbEEZZNS1_14partition_implILS5_6ELb0ES3_mN6thrust23THRUST_200600_302600_NS6detail15normal_iteratorINSA_10device_ptrIsEEEEPS6_SG_NS0_5tupleIJNSA_16discard_iteratorINSA_11use_defaultEEES6_EEENSH_IJSG_SG_EEES6_PlJNSB_9not_fun_tINSB_14equal_to_valueIsEEEEEEE10hipError_tPvRmT3_T4_T5_T6_T7_T9_mT8_P12ihipStream_tbDpT10_ENKUlT_T0_E_clISt17integral_constantIbLb0EES1B_EEDaS16_S17_EUlS16_E_NS1_11comp_targetILNS1_3genE4ELNS1_11target_archE910ELNS1_3gpuE8ELNS1_3repE0EEENS1_30default_config_static_selectorELNS0_4arch9wavefront6targetE0EEEvT1_.num_agpr, 0
	.set _ZN7rocprim17ROCPRIM_400000_NS6detail17trampoline_kernelINS0_14default_configENS1_25partition_config_selectorILNS1_17partition_subalgoE6EsNS0_10empty_typeEbEEZZNS1_14partition_implILS5_6ELb0ES3_mN6thrust23THRUST_200600_302600_NS6detail15normal_iteratorINSA_10device_ptrIsEEEEPS6_SG_NS0_5tupleIJNSA_16discard_iteratorINSA_11use_defaultEEES6_EEENSH_IJSG_SG_EEES6_PlJNSB_9not_fun_tINSB_14equal_to_valueIsEEEEEEE10hipError_tPvRmT3_T4_T5_T6_T7_T9_mT8_P12ihipStream_tbDpT10_ENKUlT_T0_E_clISt17integral_constantIbLb0EES1B_EEDaS16_S17_EUlS16_E_NS1_11comp_targetILNS1_3genE4ELNS1_11target_archE910ELNS1_3gpuE8ELNS1_3repE0EEENS1_30default_config_static_selectorELNS0_4arch9wavefront6targetE0EEEvT1_.numbered_sgpr, 0
	.set _ZN7rocprim17ROCPRIM_400000_NS6detail17trampoline_kernelINS0_14default_configENS1_25partition_config_selectorILNS1_17partition_subalgoE6EsNS0_10empty_typeEbEEZZNS1_14partition_implILS5_6ELb0ES3_mN6thrust23THRUST_200600_302600_NS6detail15normal_iteratorINSA_10device_ptrIsEEEEPS6_SG_NS0_5tupleIJNSA_16discard_iteratorINSA_11use_defaultEEES6_EEENSH_IJSG_SG_EEES6_PlJNSB_9not_fun_tINSB_14equal_to_valueIsEEEEEEE10hipError_tPvRmT3_T4_T5_T6_T7_T9_mT8_P12ihipStream_tbDpT10_ENKUlT_T0_E_clISt17integral_constantIbLb0EES1B_EEDaS16_S17_EUlS16_E_NS1_11comp_targetILNS1_3genE4ELNS1_11target_archE910ELNS1_3gpuE8ELNS1_3repE0EEENS1_30default_config_static_selectorELNS0_4arch9wavefront6targetE0EEEvT1_.num_named_barrier, 0
	.set _ZN7rocprim17ROCPRIM_400000_NS6detail17trampoline_kernelINS0_14default_configENS1_25partition_config_selectorILNS1_17partition_subalgoE6EsNS0_10empty_typeEbEEZZNS1_14partition_implILS5_6ELb0ES3_mN6thrust23THRUST_200600_302600_NS6detail15normal_iteratorINSA_10device_ptrIsEEEEPS6_SG_NS0_5tupleIJNSA_16discard_iteratorINSA_11use_defaultEEES6_EEENSH_IJSG_SG_EEES6_PlJNSB_9not_fun_tINSB_14equal_to_valueIsEEEEEEE10hipError_tPvRmT3_T4_T5_T6_T7_T9_mT8_P12ihipStream_tbDpT10_ENKUlT_T0_E_clISt17integral_constantIbLb0EES1B_EEDaS16_S17_EUlS16_E_NS1_11comp_targetILNS1_3genE4ELNS1_11target_archE910ELNS1_3gpuE8ELNS1_3repE0EEENS1_30default_config_static_selectorELNS0_4arch9wavefront6targetE0EEEvT1_.private_seg_size, 0
	.set _ZN7rocprim17ROCPRIM_400000_NS6detail17trampoline_kernelINS0_14default_configENS1_25partition_config_selectorILNS1_17partition_subalgoE6EsNS0_10empty_typeEbEEZZNS1_14partition_implILS5_6ELb0ES3_mN6thrust23THRUST_200600_302600_NS6detail15normal_iteratorINSA_10device_ptrIsEEEEPS6_SG_NS0_5tupleIJNSA_16discard_iteratorINSA_11use_defaultEEES6_EEENSH_IJSG_SG_EEES6_PlJNSB_9not_fun_tINSB_14equal_to_valueIsEEEEEEE10hipError_tPvRmT3_T4_T5_T6_T7_T9_mT8_P12ihipStream_tbDpT10_ENKUlT_T0_E_clISt17integral_constantIbLb0EES1B_EEDaS16_S17_EUlS16_E_NS1_11comp_targetILNS1_3genE4ELNS1_11target_archE910ELNS1_3gpuE8ELNS1_3repE0EEENS1_30default_config_static_selectorELNS0_4arch9wavefront6targetE0EEEvT1_.uses_vcc, 0
	.set _ZN7rocprim17ROCPRIM_400000_NS6detail17trampoline_kernelINS0_14default_configENS1_25partition_config_selectorILNS1_17partition_subalgoE6EsNS0_10empty_typeEbEEZZNS1_14partition_implILS5_6ELb0ES3_mN6thrust23THRUST_200600_302600_NS6detail15normal_iteratorINSA_10device_ptrIsEEEEPS6_SG_NS0_5tupleIJNSA_16discard_iteratorINSA_11use_defaultEEES6_EEENSH_IJSG_SG_EEES6_PlJNSB_9not_fun_tINSB_14equal_to_valueIsEEEEEEE10hipError_tPvRmT3_T4_T5_T6_T7_T9_mT8_P12ihipStream_tbDpT10_ENKUlT_T0_E_clISt17integral_constantIbLb0EES1B_EEDaS16_S17_EUlS16_E_NS1_11comp_targetILNS1_3genE4ELNS1_11target_archE910ELNS1_3gpuE8ELNS1_3repE0EEENS1_30default_config_static_selectorELNS0_4arch9wavefront6targetE0EEEvT1_.uses_flat_scratch, 0
	.set _ZN7rocprim17ROCPRIM_400000_NS6detail17trampoline_kernelINS0_14default_configENS1_25partition_config_selectorILNS1_17partition_subalgoE6EsNS0_10empty_typeEbEEZZNS1_14partition_implILS5_6ELb0ES3_mN6thrust23THRUST_200600_302600_NS6detail15normal_iteratorINSA_10device_ptrIsEEEEPS6_SG_NS0_5tupleIJNSA_16discard_iteratorINSA_11use_defaultEEES6_EEENSH_IJSG_SG_EEES6_PlJNSB_9not_fun_tINSB_14equal_to_valueIsEEEEEEE10hipError_tPvRmT3_T4_T5_T6_T7_T9_mT8_P12ihipStream_tbDpT10_ENKUlT_T0_E_clISt17integral_constantIbLb0EES1B_EEDaS16_S17_EUlS16_E_NS1_11comp_targetILNS1_3genE4ELNS1_11target_archE910ELNS1_3gpuE8ELNS1_3repE0EEENS1_30default_config_static_selectorELNS0_4arch9wavefront6targetE0EEEvT1_.has_dyn_sized_stack, 0
	.set _ZN7rocprim17ROCPRIM_400000_NS6detail17trampoline_kernelINS0_14default_configENS1_25partition_config_selectorILNS1_17partition_subalgoE6EsNS0_10empty_typeEbEEZZNS1_14partition_implILS5_6ELb0ES3_mN6thrust23THRUST_200600_302600_NS6detail15normal_iteratorINSA_10device_ptrIsEEEEPS6_SG_NS0_5tupleIJNSA_16discard_iteratorINSA_11use_defaultEEES6_EEENSH_IJSG_SG_EEES6_PlJNSB_9not_fun_tINSB_14equal_to_valueIsEEEEEEE10hipError_tPvRmT3_T4_T5_T6_T7_T9_mT8_P12ihipStream_tbDpT10_ENKUlT_T0_E_clISt17integral_constantIbLb0EES1B_EEDaS16_S17_EUlS16_E_NS1_11comp_targetILNS1_3genE4ELNS1_11target_archE910ELNS1_3gpuE8ELNS1_3repE0EEENS1_30default_config_static_selectorELNS0_4arch9wavefront6targetE0EEEvT1_.has_recursion, 0
	.set _ZN7rocprim17ROCPRIM_400000_NS6detail17trampoline_kernelINS0_14default_configENS1_25partition_config_selectorILNS1_17partition_subalgoE6EsNS0_10empty_typeEbEEZZNS1_14partition_implILS5_6ELb0ES3_mN6thrust23THRUST_200600_302600_NS6detail15normal_iteratorINSA_10device_ptrIsEEEEPS6_SG_NS0_5tupleIJNSA_16discard_iteratorINSA_11use_defaultEEES6_EEENSH_IJSG_SG_EEES6_PlJNSB_9not_fun_tINSB_14equal_to_valueIsEEEEEEE10hipError_tPvRmT3_T4_T5_T6_T7_T9_mT8_P12ihipStream_tbDpT10_ENKUlT_T0_E_clISt17integral_constantIbLb0EES1B_EEDaS16_S17_EUlS16_E_NS1_11comp_targetILNS1_3genE4ELNS1_11target_archE910ELNS1_3gpuE8ELNS1_3repE0EEENS1_30default_config_static_selectorELNS0_4arch9wavefront6targetE0EEEvT1_.has_indirect_call, 0
	.section	.AMDGPU.csdata,"",@progbits
; Kernel info:
; codeLenInByte = 0
; TotalNumSgprs: 0
; NumVgprs: 0
; ScratchSize: 0
; MemoryBound: 0
; FloatMode: 240
; IeeeMode: 1
; LDSByteSize: 0 bytes/workgroup (compile time only)
; SGPRBlocks: 0
; VGPRBlocks: 0
; NumSGPRsForWavesPerEU: 1
; NumVGPRsForWavesPerEU: 1
; Occupancy: 16
; WaveLimiterHint : 0
; COMPUTE_PGM_RSRC2:SCRATCH_EN: 0
; COMPUTE_PGM_RSRC2:USER_SGPR: 2
; COMPUTE_PGM_RSRC2:TRAP_HANDLER: 0
; COMPUTE_PGM_RSRC2:TGID_X_EN: 1
; COMPUTE_PGM_RSRC2:TGID_Y_EN: 0
; COMPUTE_PGM_RSRC2:TGID_Z_EN: 0
; COMPUTE_PGM_RSRC2:TIDIG_COMP_CNT: 0
	.section	.text._ZN7rocprim17ROCPRIM_400000_NS6detail17trampoline_kernelINS0_14default_configENS1_25partition_config_selectorILNS1_17partition_subalgoE6EsNS0_10empty_typeEbEEZZNS1_14partition_implILS5_6ELb0ES3_mN6thrust23THRUST_200600_302600_NS6detail15normal_iteratorINSA_10device_ptrIsEEEEPS6_SG_NS0_5tupleIJNSA_16discard_iteratorINSA_11use_defaultEEES6_EEENSH_IJSG_SG_EEES6_PlJNSB_9not_fun_tINSB_14equal_to_valueIsEEEEEEE10hipError_tPvRmT3_T4_T5_T6_T7_T9_mT8_P12ihipStream_tbDpT10_ENKUlT_T0_E_clISt17integral_constantIbLb0EES1B_EEDaS16_S17_EUlS16_E_NS1_11comp_targetILNS1_3genE3ELNS1_11target_archE908ELNS1_3gpuE7ELNS1_3repE0EEENS1_30default_config_static_selectorELNS0_4arch9wavefront6targetE0EEEvT1_,"axG",@progbits,_ZN7rocprim17ROCPRIM_400000_NS6detail17trampoline_kernelINS0_14default_configENS1_25partition_config_selectorILNS1_17partition_subalgoE6EsNS0_10empty_typeEbEEZZNS1_14partition_implILS5_6ELb0ES3_mN6thrust23THRUST_200600_302600_NS6detail15normal_iteratorINSA_10device_ptrIsEEEEPS6_SG_NS0_5tupleIJNSA_16discard_iteratorINSA_11use_defaultEEES6_EEENSH_IJSG_SG_EEES6_PlJNSB_9not_fun_tINSB_14equal_to_valueIsEEEEEEE10hipError_tPvRmT3_T4_T5_T6_T7_T9_mT8_P12ihipStream_tbDpT10_ENKUlT_T0_E_clISt17integral_constantIbLb0EES1B_EEDaS16_S17_EUlS16_E_NS1_11comp_targetILNS1_3genE3ELNS1_11target_archE908ELNS1_3gpuE7ELNS1_3repE0EEENS1_30default_config_static_selectorELNS0_4arch9wavefront6targetE0EEEvT1_,comdat
	.protected	_ZN7rocprim17ROCPRIM_400000_NS6detail17trampoline_kernelINS0_14default_configENS1_25partition_config_selectorILNS1_17partition_subalgoE6EsNS0_10empty_typeEbEEZZNS1_14partition_implILS5_6ELb0ES3_mN6thrust23THRUST_200600_302600_NS6detail15normal_iteratorINSA_10device_ptrIsEEEEPS6_SG_NS0_5tupleIJNSA_16discard_iteratorINSA_11use_defaultEEES6_EEENSH_IJSG_SG_EEES6_PlJNSB_9not_fun_tINSB_14equal_to_valueIsEEEEEEE10hipError_tPvRmT3_T4_T5_T6_T7_T9_mT8_P12ihipStream_tbDpT10_ENKUlT_T0_E_clISt17integral_constantIbLb0EES1B_EEDaS16_S17_EUlS16_E_NS1_11comp_targetILNS1_3genE3ELNS1_11target_archE908ELNS1_3gpuE7ELNS1_3repE0EEENS1_30default_config_static_selectorELNS0_4arch9wavefront6targetE0EEEvT1_ ; -- Begin function _ZN7rocprim17ROCPRIM_400000_NS6detail17trampoline_kernelINS0_14default_configENS1_25partition_config_selectorILNS1_17partition_subalgoE6EsNS0_10empty_typeEbEEZZNS1_14partition_implILS5_6ELb0ES3_mN6thrust23THRUST_200600_302600_NS6detail15normal_iteratorINSA_10device_ptrIsEEEEPS6_SG_NS0_5tupleIJNSA_16discard_iteratorINSA_11use_defaultEEES6_EEENSH_IJSG_SG_EEES6_PlJNSB_9not_fun_tINSB_14equal_to_valueIsEEEEEEE10hipError_tPvRmT3_T4_T5_T6_T7_T9_mT8_P12ihipStream_tbDpT10_ENKUlT_T0_E_clISt17integral_constantIbLb0EES1B_EEDaS16_S17_EUlS16_E_NS1_11comp_targetILNS1_3genE3ELNS1_11target_archE908ELNS1_3gpuE7ELNS1_3repE0EEENS1_30default_config_static_selectorELNS0_4arch9wavefront6targetE0EEEvT1_
	.globl	_ZN7rocprim17ROCPRIM_400000_NS6detail17trampoline_kernelINS0_14default_configENS1_25partition_config_selectorILNS1_17partition_subalgoE6EsNS0_10empty_typeEbEEZZNS1_14partition_implILS5_6ELb0ES3_mN6thrust23THRUST_200600_302600_NS6detail15normal_iteratorINSA_10device_ptrIsEEEEPS6_SG_NS0_5tupleIJNSA_16discard_iteratorINSA_11use_defaultEEES6_EEENSH_IJSG_SG_EEES6_PlJNSB_9not_fun_tINSB_14equal_to_valueIsEEEEEEE10hipError_tPvRmT3_T4_T5_T6_T7_T9_mT8_P12ihipStream_tbDpT10_ENKUlT_T0_E_clISt17integral_constantIbLb0EES1B_EEDaS16_S17_EUlS16_E_NS1_11comp_targetILNS1_3genE3ELNS1_11target_archE908ELNS1_3gpuE7ELNS1_3repE0EEENS1_30default_config_static_selectorELNS0_4arch9wavefront6targetE0EEEvT1_
	.p2align	8
	.type	_ZN7rocprim17ROCPRIM_400000_NS6detail17trampoline_kernelINS0_14default_configENS1_25partition_config_selectorILNS1_17partition_subalgoE6EsNS0_10empty_typeEbEEZZNS1_14partition_implILS5_6ELb0ES3_mN6thrust23THRUST_200600_302600_NS6detail15normal_iteratorINSA_10device_ptrIsEEEEPS6_SG_NS0_5tupleIJNSA_16discard_iteratorINSA_11use_defaultEEES6_EEENSH_IJSG_SG_EEES6_PlJNSB_9not_fun_tINSB_14equal_to_valueIsEEEEEEE10hipError_tPvRmT3_T4_T5_T6_T7_T9_mT8_P12ihipStream_tbDpT10_ENKUlT_T0_E_clISt17integral_constantIbLb0EES1B_EEDaS16_S17_EUlS16_E_NS1_11comp_targetILNS1_3genE3ELNS1_11target_archE908ELNS1_3gpuE7ELNS1_3repE0EEENS1_30default_config_static_selectorELNS0_4arch9wavefront6targetE0EEEvT1_,@function
_ZN7rocprim17ROCPRIM_400000_NS6detail17trampoline_kernelINS0_14default_configENS1_25partition_config_selectorILNS1_17partition_subalgoE6EsNS0_10empty_typeEbEEZZNS1_14partition_implILS5_6ELb0ES3_mN6thrust23THRUST_200600_302600_NS6detail15normal_iteratorINSA_10device_ptrIsEEEEPS6_SG_NS0_5tupleIJNSA_16discard_iteratorINSA_11use_defaultEEES6_EEENSH_IJSG_SG_EEES6_PlJNSB_9not_fun_tINSB_14equal_to_valueIsEEEEEEE10hipError_tPvRmT3_T4_T5_T6_T7_T9_mT8_P12ihipStream_tbDpT10_ENKUlT_T0_E_clISt17integral_constantIbLb0EES1B_EEDaS16_S17_EUlS16_E_NS1_11comp_targetILNS1_3genE3ELNS1_11target_archE908ELNS1_3gpuE7ELNS1_3repE0EEENS1_30default_config_static_selectorELNS0_4arch9wavefront6targetE0EEEvT1_: ; @_ZN7rocprim17ROCPRIM_400000_NS6detail17trampoline_kernelINS0_14default_configENS1_25partition_config_selectorILNS1_17partition_subalgoE6EsNS0_10empty_typeEbEEZZNS1_14partition_implILS5_6ELb0ES3_mN6thrust23THRUST_200600_302600_NS6detail15normal_iteratorINSA_10device_ptrIsEEEEPS6_SG_NS0_5tupleIJNSA_16discard_iteratorINSA_11use_defaultEEES6_EEENSH_IJSG_SG_EEES6_PlJNSB_9not_fun_tINSB_14equal_to_valueIsEEEEEEE10hipError_tPvRmT3_T4_T5_T6_T7_T9_mT8_P12ihipStream_tbDpT10_ENKUlT_T0_E_clISt17integral_constantIbLb0EES1B_EEDaS16_S17_EUlS16_E_NS1_11comp_targetILNS1_3genE3ELNS1_11target_archE908ELNS1_3gpuE7ELNS1_3repE0EEENS1_30default_config_static_selectorELNS0_4arch9wavefront6targetE0EEEvT1_
; %bb.0:
	.section	.rodata,"a",@progbits
	.p2align	6, 0x0
	.amdhsa_kernel _ZN7rocprim17ROCPRIM_400000_NS6detail17trampoline_kernelINS0_14default_configENS1_25partition_config_selectorILNS1_17partition_subalgoE6EsNS0_10empty_typeEbEEZZNS1_14partition_implILS5_6ELb0ES3_mN6thrust23THRUST_200600_302600_NS6detail15normal_iteratorINSA_10device_ptrIsEEEEPS6_SG_NS0_5tupleIJNSA_16discard_iteratorINSA_11use_defaultEEES6_EEENSH_IJSG_SG_EEES6_PlJNSB_9not_fun_tINSB_14equal_to_valueIsEEEEEEE10hipError_tPvRmT3_T4_T5_T6_T7_T9_mT8_P12ihipStream_tbDpT10_ENKUlT_T0_E_clISt17integral_constantIbLb0EES1B_EEDaS16_S17_EUlS16_E_NS1_11comp_targetILNS1_3genE3ELNS1_11target_archE908ELNS1_3gpuE7ELNS1_3repE0EEENS1_30default_config_static_selectorELNS0_4arch9wavefront6targetE0EEEvT1_
		.amdhsa_group_segment_fixed_size 0
		.amdhsa_private_segment_fixed_size 0
		.amdhsa_kernarg_size 120
		.amdhsa_user_sgpr_count 2
		.amdhsa_user_sgpr_dispatch_ptr 0
		.amdhsa_user_sgpr_queue_ptr 0
		.amdhsa_user_sgpr_kernarg_segment_ptr 1
		.amdhsa_user_sgpr_dispatch_id 0
		.amdhsa_user_sgpr_private_segment_size 0
		.amdhsa_wavefront_size32 1
		.amdhsa_uses_dynamic_stack 0
		.amdhsa_enable_private_segment 0
		.amdhsa_system_sgpr_workgroup_id_x 1
		.amdhsa_system_sgpr_workgroup_id_y 0
		.amdhsa_system_sgpr_workgroup_id_z 0
		.amdhsa_system_sgpr_workgroup_info 0
		.amdhsa_system_vgpr_workitem_id 0
		.amdhsa_next_free_vgpr 1
		.amdhsa_next_free_sgpr 1
		.amdhsa_reserve_vcc 0
		.amdhsa_float_round_mode_32 0
		.amdhsa_float_round_mode_16_64 0
		.amdhsa_float_denorm_mode_32 3
		.amdhsa_float_denorm_mode_16_64 3
		.amdhsa_fp16_overflow 0
		.amdhsa_workgroup_processor_mode 1
		.amdhsa_memory_ordered 1
		.amdhsa_forward_progress 1
		.amdhsa_inst_pref_size 0
		.amdhsa_round_robin_scheduling 0
		.amdhsa_exception_fp_ieee_invalid_op 0
		.amdhsa_exception_fp_denorm_src 0
		.amdhsa_exception_fp_ieee_div_zero 0
		.amdhsa_exception_fp_ieee_overflow 0
		.amdhsa_exception_fp_ieee_underflow 0
		.amdhsa_exception_fp_ieee_inexact 0
		.amdhsa_exception_int_div_zero 0
	.end_amdhsa_kernel
	.section	.text._ZN7rocprim17ROCPRIM_400000_NS6detail17trampoline_kernelINS0_14default_configENS1_25partition_config_selectorILNS1_17partition_subalgoE6EsNS0_10empty_typeEbEEZZNS1_14partition_implILS5_6ELb0ES3_mN6thrust23THRUST_200600_302600_NS6detail15normal_iteratorINSA_10device_ptrIsEEEEPS6_SG_NS0_5tupleIJNSA_16discard_iteratorINSA_11use_defaultEEES6_EEENSH_IJSG_SG_EEES6_PlJNSB_9not_fun_tINSB_14equal_to_valueIsEEEEEEE10hipError_tPvRmT3_T4_T5_T6_T7_T9_mT8_P12ihipStream_tbDpT10_ENKUlT_T0_E_clISt17integral_constantIbLb0EES1B_EEDaS16_S17_EUlS16_E_NS1_11comp_targetILNS1_3genE3ELNS1_11target_archE908ELNS1_3gpuE7ELNS1_3repE0EEENS1_30default_config_static_selectorELNS0_4arch9wavefront6targetE0EEEvT1_,"axG",@progbits,_ZN7rocprim17ROCPRIM_400000_NS6detail17trampoline_kernelINS0_14default_configENS1_25partition_config_selectorILNS1_17partition_subalgoE6EsNS0_10empty_typeEbEEZZNS1_14partition_implILS5_6ELb0ES3_mN6thrust23THRUST_200600_302600_NS6detail15normal_iteratorINSA_10device_ptrIsEEEEPS6_SG_NS0_5tupleIJNSA_16discard_iteratorINSA_11use_defaultEEES6_EEENSH_IJSG_SG_EEES6_PlJNSB_9not_fun_tINSB_14equal_to_valueIsEEEEEEE10hipError_tPvRmT3_T4_T5_T6_T7_T9_mT8_P12ihipStream_tbDpT10_ENKUlT_T0_E_clISt17integral_constantIbLb0EES1B_EEDaS16_S17_EUlS16_E_NS1_11comp_targetILNS1_3genE3ELNS1_11target_archE908ELNS1_3gpuE7ELNS1_3repE0EEENS1_30default_config_static_selectorELNS0_4arch9wavefront6targetE0EEEvT1_,comdat
.Lfunc_end1792:
	.size	_ZN7rocprim17ROCPRIM_400000_NS6detail17trampoline_kernelINS0_14default_configENS1_25partition_config_selectorILNS1_17partition_subalgoE6EsNS0_10empty_typeEbEEZZNS1_14partition_implILS5_6ELb0ES3_mN6thrust23THRUST_200600_302600_NS6detail15normal_iteratorINSA_10device_ptrIsEEEEPS6_SG_NS0_5tupleIJNSA_16discard_iteratorINSA_11use_defaultEEES6_EEENSH_IJSG_SG_EEES6_PlJNSB_9not_fun_tINSB_14equal_to_valueIsEEEEEEE10hipError_tPvRmT3_T4_T5_T6_T7_T9_mT8_P12ihipStream_tbDpT10_ENKUlT_T0_E_clISt17integral_constantIbLb0EES1B_EEDaS16_S17_EUlS16_E_NS1_11comp_targetILNS1_3genE3ELNS1_11target_archE908ELNS1_3gpuE7ELNS1_3repE0EEENS1_30default_config_static_selectorELNS0_4arch9wavefront6targetE0EEEvT1_, .Lfunc_end1792-_ZN7rocprim17ROCPRIM_400000_NS6detail17trampoline_kernelINS0_14default_configENS1_25partition_config_selectorILNS1_17partition_subalgoE6EsNS0_10empty_typeEbEEZZNS1_14partition_implILS5_6ELb0ES3_mN6thrust23THRUST_200600_302600_NS6detail15normal_iteratorINSA_10device_ptrIsEEEEPS6_SG_NS0_5tupleIJNSA_16discard_iteratorINSA_11use_defaultEEES6_EEENSH_IJSG_SG_EEES6_PlJNSB_9not_fun_tINSB_14equal_to_valueIsEEEEEEE10hipError_tPvRmT3_T4_T5_T6_T7_T9_mT8_P12ihipStream_tbDpT10_ENKUlT_T0_E_clISt17integral_constantIbLb0EES1B_EEDaS16_S17_EUlS16_E_NS1_11comp_targetILNS1_3genE3ELNS1_11target_archE908ELNS1_3gpuE7ELNS1_3repE0EEENS1_30default_config_static_selectorELNS0_4arch9wavefront6targetE0EEEvT1_
                                        ; -- End function
	.set _ZN7rocprim17ROCPRIM_400000_NS6detail17trampoline_kernelINS0_14default_configENS1_25partition_config_selectorILNS1_17partition_subalgoE6EsNS0_10empty_typeEbEEZZNS1_14partition_implILS5_6ELb0ES3_mN6thrust23THRUST_200600_302600_NS6detail15normal_iteratorINSA_10device_ptrIsEEEEPS6_SG_NS0_5tupleIJNSA_16discard_iteratorINSA_11use_defaultEEES6_EEENSH_IJSG_SG_EEES6_PlJNSB_9not_fun_tINSB_14equal_to_valueIsEEEEEEE10hipError_tPvRmT3_T4_T5_T6_T7_T9_mT8_P12ihipStream_tbDpT10_ENKUlT_T0_E_clISt17integral_constantIbLb0EES1B_EEDaS16_S17_EUlS16_E_NS1_11comp_targetILNS1_3genE3ELNS1_11target_archE908ELNS1_3gpuE7ELNS1_3repE0EEENS1_30default_config_static_selectorELNS0_4arch9wavefront6targetE0EEEvT1_.num_vgpr, 0
	.set _ZN7rocprim17ROCPRIM_400000_NS6detail17trampoline_kernelINS0_14default_configENS1_25partition_config_selectorILNS1_17partition_subalgoE6EsNS0_10empty_typeEbEEZZNS1_14partition_implILS5_6ELb0ES3_mN6thrust23THRUST_200600_302600_NS6detail15normal_iteratorINSA_10device_ptrIsEEEEPS6_SG_NS0_5tupleIJNSA_16discard_iteratorINSA_11use_defaultEEES6_EEENSH_IJSG_SG_EEES6_PlJNSB_9not_fun_tINSB_14equal_to_valueIsEEEEEEE10hipError_tPvRmT3_T4_T5_T6_T7_T9_mT8_P12ihipStream_tbDpT10_ENKUlT_T0_E_clISt17integral_constantIbLb0EES1B_EEDaS16_S17_EUlS16_E_NS1_11comp_targetILNS1_3genE3ELNS1_11target_archE908ELNS1_3gpuE7ELNS1_3repE0EEENS1_30default_config_static_selectorELNS0_4arch9wavefront6targetE0EEEvT1_.num_agpr, 0
	.set _ZN7rocprim17ROCPRIM_400000_NS6detail17trampoline_kernelINS0_14default_configENS1_25partition_config_selectorILNS1_17partition_subalgoE6EsNS0_10empty_typeEbEEZZNS1_14partition_implILS5_6ELb0ES3_mN6thrust23THRUST_200600_302600_NS6detail15normal_iteratorINSA_10device_ptrIsEEEEPS6_SG_NS0_5tupleIJNSA_16discard_iteratorINSA_11use_defaultEEES6_EEENSH_IJSG_SG_EEES6_PlJNSB_9not_fun_tINSB_14equal_to_valueIsEEEEEEE10hipError_tPvRmT3_T4_T5_T6_T7_T9_mT8_P12ihipStream_tbDpT10_ENKUlT_T0_E_clISt17integral_constantIbLb0EES1B_EEDaS16_S17_EUlS16_E_NS1_11comp_targetILNS1_3genE3ELNS1_11target_archE908ELNS1_3gpuE7ELNS1_3repE0EEENS1_30default_config_static_selectorELNS0_4arch9wavefront6targetE0EEEvT1_.numbered_sgpr, 0
	.set _ZN7rocprim17ROCPRIM_400000_NS6detail17trampoline_kernelINS0_14default_configENS1_25partition_config_selectorILNS1_17partition_subalgoE6EsNS0_10empty_typeEbEEZZNS1_14partition_implILS5_6ELb0ES3_mN6thrust23THRUST_200600_302600_NS6detail15normal_iteratorINSA_10device_ptrIsEEEEPS6_SG_NS0_5tupleIJNSA_16discard_iteratorINSA_11use_defaultEEES6_EEENSH_IJSG_SG_EEES6_PlJNSB_9not_fun_tINSB_14equal_to_valueIsEEEEEEE10hipError_tPvRmT3_T4_T5_T6_T7_T9_mT8_P12ihipStream_tbDpT10_ENKUlT_T0_E_clISt17integral_constantIbLb0EES1B_EEDaS16_S17_EUlS16_E_NS1_11comp_targetILNS1_3genE3ELNS1_11target_archE908ELNS1_3gpuE7ELNS1_3repE0EEENS1_30default_config_static_selectorELNS0_4arch9wavefront6targetE0EEEvT1_.num_named_barrier, 0
	.set _ZN7rocprim17ROCPRIM_400000_NS6detail17trampoline_kernelINS0_14default_configENS1_25partition_config_selectorILNS1_17partition_subalgoE6EsNS0_10empty_typeEbEEZZNS1_14partition_implILS5_6ELb0ES3_mN6thrust23THRUST_200600_302600_NS6detail15normal_iteratorINSA_10device_ptrIsEEEEPS6_SG_NS0_5tupleIJNSA_16discard_iteratorINSA_11use_defaultEEES6_EEENSH_IJSG_SG_EEES6_PlJNSB_9not_fun_tINSB_14equal_to_valueIsEEEEEEE10hipError_tPvRmT3_T4_T5_T6_T7_T9_mT8_P12ihipStream_tbDpT10_ENKUlT_T0_E_clISt17integral_constantIbLb0EES1B_EEDaS16_S17_EUlS16_E_NS1_11comp_targetILNS1_3genE3ELNS1_11target_archE908ELNS1_3gpuE7ELNS1_3repE0EEENS1_30default_config_static_selectorELNS0_4arch9wavefront6targetE0EEEvT1_.private_seg_size, 0
	.set _ZN7rocprim17ROCPRIM_400000_NS6detail17trampoline_kernelINS0_14default_configENS1_25partition_config_selectorILNS1_17partition_subalgoE6EsNS0_10empty_typeEbEEZZNS1_14partition_implILS5_6ELb0ES3_mN6thrust23THRUST_200600_302600_NS6detail15normal_iteratorINSA_10device_ptrIsEEEEPS6_SG_NS0_5tupleIJNSA_16discard_iteratorINSA_11use_defaultEEES6_EEENSH_IJSG_SG_EEES6_PlJNSB_9not_fun_tINSB_14equal_to_valueIsEEEEEEE10hipError_tPvRmT3_T4_T5_T6_T7_T9_mT8_P12ihipStream_tbDpT10_ENKUlT_T0_E_clISt17integral_constantIbLb0EES1B_EEDaS16_S17_EUlS16_E_NS1_11comp_targetILNS1_3genE3ELNS1_11target_archE908ELNS1_3gpuE7ELNS1_3repE0EEENS1_30default_config_static_selectorELNS0_4arch9wavefront6targetE0EEEvT1_.uses_vcc, 0
	.set _ZN7rocprim17ROCPRIM_400000_NS6detail17trampoline_kernelINS0_14default_configENS1_25partition_config_selectorILNS1_17partition_subalgoE6EsNS0_10empty_typeEbEEZZNS1_14partition_implILS5_6ELb0ES3_mN6thrust23THRUST_200600_302600_NS6detail15normal_iteratorINSA_10device_ptrIsEEEEPS6_SG_NS0_5tupleIJNSA_16discard_iteratorINSA_11use_defaultEEES6_EEENSH_IJSG_SG_EEES6_PlJNSB_9not_fun_tINSB_14equal_to_valueIsEEEEEEE10hipError_tPvRmT3_T4_T5_T6_T7_T9_mT8_P12ihipStream_tbDpT10_ENKUlT_T0_E_clISt17integral_constantIbLb0EES1B_EEDaS16_S17_EUlS16_E_NS1_11comp_targetILNS1_3genE3ELNS1_11target_archE908ELNS1_3gpuE7ELNS1_3repE0EEENS1_30default_config_static_selectorELNS0_4arch9wavefront6targetE0EEEvT1_.uses_flat_scratch, 0
	.set _ZN7rocprim17ROCPRIM_400000_NS6detail17trampoline_kernelINS0_14default_configENS1_25partition_config_selectorILNS1_17partition_subalgoE6EsNS0_10empty_typeEbEEZZNS1_14partition_implILS5_6ELb0ES3_mN6thrust23THRUST_200600_302600_NS6detail15normal_iteratorINSA_10device_ptrIsEEEEPS6_SG_NS0_5tupleIJNSA_16discard_iteratorINSA_11use_defaultEEES6_EEENSH_IJSG_SG_EEES6_PlJNSB_9not_fun_tINSB_14equal_to_valueIsEEEEEEE10hipError_tPvRmT3_T4_T5_T6_T7_T9_mT8_P12ihipStream_tbDpT10_ENKUlT_T0_E_clISt17integral_constantIbLb0EES1B_EEDaS16_S17_EUlS16_E_NS1_11comp_targetILNS1_3genE3ELNS1_11target_archE908ELNS1_3gpuE7ELNS1_3repE0EEENS1_30default_config_static_selectorELNS0_4arch9wavefront6targetE0EEEvT1_.has_dyn_sized_stack, 0
	.set _ZN7rocprim17ROCPRIM_400000_NS6detail17trampoline_kernelINS0_14default_configENS1_25partition_config_selectorILNS1_17partition_subalgoE6EsNS0_10empty_typeEbEEZZNS1_14partition_implILS5_6ELb0ES3_mN6thrust23THRUST_200600_302600_NS6detail15normal_iteratorINSA_10device_ptrIsEEEEPS6_SG_NS0_5tupleIJNSA_16discard_iteratorINSA_11use_defaultEEES6_EEENSH_IJSG_SG_EEES6_PlJNSB_9not_fun_tINSB_14equal_to_valueIsEEEEEEE10hipError_tPvRmT3_T4_T5_T6_T7_T9_mT8_P12ihipStream_tbDpT10_ENKUlT_T0_E_clISt17integral_constantIbLb0EES1B_EEDaS16_S17_EUlS16_E_NS1_11comp_targetILNS1_3genE3ELNS1_11target_archE908ELNS1_3gpuE7ELNS1_3repE0EEENS1_30default_config_static_selectorELNS0_4arch9wavefront6targetE0EEEvT1_.has_recursion, 0
	.set _ZN7rocprim17ROCPRIM_400000_NS6detail17trampoline_kernelINS0_14default_configENS1_25partition_config_selectorILNS1_17partition_subalgoE6EsNS0_10empty_typeEbEEZZNS1_14partition_implILS5_6ELb0ES3_mN6thrust23THRUST_200600_302600_NS6detail15normal_iteratorINSA_10device_ptrIsEEEEPS6_SG_NS0_5tupleIJNSA_16discard_iteratorINSA_11use_defaultEEES6_EEENSH_IJSG_SG_EEES6_PlJNSB_9not_fun_tINSB_14equal_to_valueIsEEEEEEE10hipError_tPvRmT3_T4_T5_T6_T7_T9_mT8_P12ihipStream_tbDpT10_ENKUlT_T0_E_clISt17integral_constantIbLb0EES1B_EEDaS16_S17_EUlS16_E_NS1_11comp_targetILNS1_3genE3ELNS1_11target_archE908ELNS1_3gpuE7ELNS1_3repE0EEENS1_30default_config_static_selectorELNS0_4arch9wavefront6targetE0EEEvT1_.has_indirect_call, 0
	.section	.AMDGPU.csdata,"",@progbits
; Kernel info:
; codeLenInByte = 0
; TotalNumSgprs: 0
; NumVgprs: 0
; ScratchSize: 0
; MemoryBound: 0
; FloatMode: 240
; IeeeMode: 1
; LDSByteSize: 0 bytes/workgroup (compile time only)
; SGPRBlocks: 0
; VGPRBlocks: 0
; NumSGPRsForWavesPerEU: 1
; NumVGPRsForWavesPerEU: 1
; Occupancy: 16
; WaveLimiterHint : 0
; COMPUTE_PGM_RSRC2:SCRATCH_EN: 0
; COMPUTE_PGM_RSRC2:USER_SGPR: 2
; COMPUTE_PGM_RSRC2:TRAP_HANDLER: 0
; COMPUTE_PGM_RSRC2:TGID_X_EN: 1
; COMPUTE_PGM_RSRC2:TGID_Y_EN: 0
; COMPUTE_PGM_RSRC2:TGID_Z_EN: 0
; COMPUTE_PGM_RSRC2:TIDIG_COMP_CNT: 0
	.section	.text._ZN7rocprim17ROCPRIM_400000_NS6detail17trampoline_kernelINS0_14default_configENS1_25partition_config_selectorILNS1_17partition_subalgoE6EsNS0_10empty_typeEbEEZZNS1_14partition_implILS5_6ELb0ES3_mN6thrust23THRUST_200600_302600_NS6detail15normal_iteratorINSA_10device_ptrIsEEEEPS6_SG_NS0_5tupleIJNSA_16discard_iteratorINSA_11use_defaultEEES6_EEENSH_IJSG_SG_EEES6_PlJNSB_9not_fun_tINSB_14equal_to_valueIsEEEEEEE10hipError_tPvRmT3_T4_T5_T6_T7_T9_mT8_P12ihipStream_tbDpT10_ENKUlT_T0_E_clISt17integral_constantIbLb0EES1B_EEDaS16_S17_EUlS16_E_NS1_11comp_targetILNS1_3genE2ELNS1_11target_archE906ELNS1_3gpuE6ELNS1_3repE0EEENS1_30default_config_static_selectorELNS0_4arch9wavefront6targetE0EEEvT1_,"axG",@progbits,_ZN7rocprim17ROCPRIM_400000_NS6detail17trampoline_kernelINS0_14default_configENS1_25partition_config_selectorILNS1_17partition_subalgoE6EsNS0_10empty_typeEbEEZZNS1_14partition_implILS5_6ELb0ES3_mN6thrust23THRUST_200600_302600_NS6detail15normal_iteratorINSA_10device_ptrIsEEEEPS6_SG_NS0_5tupleIJNSA_16discard_iteratorINSA_11use_defaultEEES6_EEENSH_IJSG_SG_EEES6_PlJNSB_9not_fun_tINSB_14equal_to_valueIsEEEEEEE10hipError_tPvRmT3_T4_T5_T6_T7_T9_mT8_P12ihipStream_tbDpT10_ENKUlT_T0_E_clISt17integral_constantIbLb0EES1B_EEDaS16_S17_EUlS16_E_NS1_11comp_targetILNS1_3genE2ELNS1_11target_archE906ELNS1_3gpuE6ELNS1_3repE0EEENS1_30default_config_static_selectorELNS0_4arch9wavefront6targetE0EEEvT1_,comdat
	.protected	_ZN7rocprim17ROCPRIM_400000_NS6detail17trampoline_kernelINS0_14default_configENS1_25partition_config_selectorILNS1_17partition_subalgoE6EsNS0_10empty_typeEbEEZZNS1_14partition_implILS5_6ELb0ES3_mN6thrust23THRUST_200600_302600_NS6detail15normal_iteratorINSA_10device_ptrIsEEEEPS6_SG_NS0_5tupleIJNSA_16discard_iteratorINSA_11use_defaultEEES6_EEENSH_IJSG_SG_EEES6_PlJNSB_9not_fun_tINSB_14equal_to_valueIsEEEEEEE10hipError_tPvRmT3_T4_T5_T6_T7_T9_mT8_P12ihipStream_tbDpT10_ENKUlT_T0_E_clISt17integral_constantIbLb0EES1B_EEDaS16_S17_EUlS16_E_NS1_11comp_targetILNS1_3genE2ELNS1_11target_archE906ELNS1_3gpuE6ELNS1_3repE0EEENS1_30default_config_static_selectorELNS0_4arch9wavefront6targetE0EEEvT1_ ; -- Begin function _ZN7rocprim17ROCPRIM_400000_NS6detail17trampoline_kernelINS0_14default_configENS1_25partition_config_selectorILNS1_17partition_subalgoE6EsNS0_10empty_typeEbEEZZNS1_14partition_implILS5_6ELb0ES3_mN6thrust23THRUST_200600_302600_NS6detail15normal_iteratorINSA_10device_ptrIsEEEEPS6_SG_NS0_5tupleIJNSA_16discard_iteratorINSA_11use_defaultEEES6_EEENSH_IJSG_SG_EEES6_PlJNSB_9not_fun_tINSB_14equal_to_valueIsEEEEEEE10hipError_tPvRmT3_T4_T5_T6_T7_T9_mT8_P12ihipStream_tbDpT10_ENKUlT_T0_E_clISt17integral_constantIbLb0EES1B_EEDaS16_S17_EUlS16_E_NS1_11comp_targetILNS1_3genE2ELNS1_11target_archE906ELNS1_3gpuE6ELNS1_3repE0EEENS1_30default_config_static_selectorELNS0_4arch9wavefront6targetE0EEEvT1_
	.globl	_ZN7rocprim17ROCPRIM_400000_NS6detail17trampoline_kernelINS0_14default_configENS1_25partition_config_selectorILNS1_17partition_subalgoE6EsNS0_10empty_typeEbEEZZNS1_14partition_implILS5_6ELb0ES3_mN6thrust23THRUST_200600_302600_NS6detail15normal_iteratorINSA_10device_ptrIsEEEEPS6_SG_NS0_5tupleIJNSA_16discard_iteratorINSA_11use_defaultEEES6_EEENSH_IJSG_SG_EEES6_PlJNSB_9not_fun_tINSB_14equal_to_valueIsEEEEEEE10hipError_tPvRmT3_T4_T5_T6_T7_T9_mT8_P12ihipStream_tbDpT10_ENKUlT_T0_E_clISt17integral_constantIbLb0EES1B_EEDaS16_S17_EUlS16_E_NS1_11comp_targetILNS1_3genE2ELNS1_11target_archE906ELNS1_3gpuE6ELNS1_3repE0EEENS1_30default_config_static_selectorELNS0_4arch9wavefront6targetE0EEEvT1_
	.p2align	8
	.type	_ZN7rocprim17ROCPRIM_400000_NS6detail17trampoline_kernelINS0_14default_configENS1_25partition_config_selectorILNS1_17partition_subalgoE6EsNS0_10empty_typeEbEEZZNS1_14partition_implILS5_6ELb0ES3_mN6thrust23THRUST_200600_302600_NS6detail15normal_iteratorINSA_10device_ptrIsEEEEPS6_SG_NS0_5tupleIJNSA_16discard_iteratorINSA_11use_defaultEEES6_EEENSH_IJSG_SG_EEES6_PlJNSB_9not_fun_tINSB_14equal_to_valueIsEEEEEEE10hipError_tPvRmT3_T4_T5_T6_T7_T9_mT8_P12ihipStream_tbDpT10_ENKUlT_T0_E_clISt17integral_constantIbLb0EES1B_EEDaS16_S17_EUlS16_E_NS1_11comp_targetILNS1_3genE2ELNS1_11target_archE906ELNS1_3gpuE6ELNS1_3repE0EEENS1_30default_config_static_selectorELNS0_4arch9wavefront6targetE0EEEvT1_,@function
_ZN7rocprim17ROCPRIM_400000_NS6detail17trampoline_kernelINS0_14default_configENS1_25partition_config_selectorILNS1_17partition_subalgoE6EsNS0_10empty_typeEbEEZZNS1_14partition_implILS5_6ELb0ES3_mN6thrust23THRUST_200600_302600_NS6detail15normal_iteratorINSA_10device_ptrIsEEEEPS6_SG_NS0_5tupleIJNSA_16discard_iteratorINSA_11use_defaultEEES6_EEENSH_IJSG_SG_EEES6_PlJNSB_9not_fun_tINSB_14equal_to_valueIsEEEEEEE10hipError_tPvRmT3_T4_T5_T6_T7_T9_mT8_P12ihipStream_tbDpT10_ENKUlT_T0_E_clISt17integral_constantIbLb0EES1B_EEDaS16_S17_EUlS16_E_NS1_11comp_targetILNS1_3genE2ELNS1_11target_archE906ELNS1_3gpuE6ELNS1_3repE0EEENS1_30default_config_static_selectorELNS0_4arch9wavefront6targetE0EEEvT1_: ; @_ZN7rocprim17ROCPRIM_400000_NS6detail17trampoline_kernelINS0_14default_configENS1_25partition_config_selectorILNS1_17partition_subalgoE6EsNS0_10empty_typeEbEEZZNS1_14partition_implILS5_6ELb0ES3_mN6thrust23THRUST_200600_302600_NS6detail15normal_iteratorINSA_10device_ptrIsEEEEPS6_SG_NS0_5tupleIJNSA_16discard_iteratorINSA_11use_defaultEEES6_EEENSH_IJSG_SG_EEES6_PlJNSB_9not_fun_tINSB_14equal_to_valueIsEEEEEEE10hipError_tPvRmT3_T4_T5_T6_T7_T9_mT8_P12ihipStream_tbDpT10_ENKUlT_T0_E_clISt17integral_constantIbLb0EES1B_EEDaS16_S17_EUlS16_E_NS1_11comp_targetILNS1_3genE2ELNS1_11target_archE906ELNS1_3gpuE6ELNS1_3repE0EEENS1_30default_config_static_selectorELNS0_4arch9wavefront6targetE0EEEvT1_
; %bb.0:
	.section	.rodata,"a",@progbits
	.p2align	6, 0x0
	.amdhsa_kernel _ZN7rocprim17ROCPRIM_400000_NS6detail17trampoline_kernelINS0_14default_configENS1_25partition_config_selectorILNS1_17partition_subalgoE6EsNS0_10empty_typeEbEEZZNS1_14partition_implILS5_6ELb0ES3_mN6thrust23THRUST_200600_302600_NS6detail15normal_iteratorINSA_10device_ptrIsEEEEPS6_SG_NS0_5tupleIJNSA_16discard_iteratorINSA_11use_defaultEEES6_EEENSH_IJSG_SG_EEES6_PlJNSB_9not_fun_tINSB_14equal_to_valueIsEEEEEEE10hipError_tPvRmT3_T4_T5_T6_T7_T9_mT8_P12ihipStream_tbDpT10_ENKUlT_T0_E_clISt17integral_constantIbLb0EES1B_EEDaS16_S17_EUlS16_E_NS1_11comp_targetILNS1_3genE2ELNS1_11target_archE906ELNS1_3gpuE6ELNS1_3repE0EEENS1_30default_config_static_selectorELNS0_4arch9wavefront6targetE0EEEvT1_
		.amdhsa_group_segment_fixed_size 0
		.amdhsa_private_segment_fixed_size 0
		.amdhsa_kernarg_size 120
		.amdhsa_user_sgpr_count 2
		.amdhsa_user_sgpr_dispatch_ptr 0
		.amdhsa_user_sgpr_queue_ptr 0
		.amdhsa_user_sgpr_kernarg_segment_ptr 1
		.amdhsa_user_sgpr_dispatch_id 0
		.amdhsa_user_sgpr_private_segment_size 0
		.amdhsa_wavefront_size32 1
		.amdhsa_uses_dynamic_stack 0
		.amdhsa_enable_private_segment 0
		.amdhsa_system_sgpr_workgroup_id_x 1
		.amdhsa_system_sgpr_workgroup_id_y 0
		.amdhsa_system_sgpr_workgroup_id_z 0
		.amdhsa_system_sgpr_workgroup_info 0
		.amdhsa_system_vgpr_workitem_id 0
		.amdhsa_next_free_vgpr 1
		.amdhsa_next_free_sgpr 1
		.amdhsa_reserve_vcc 0
		.amdhsa_float_round_mode_32 0
		.amdhsa_float_round_mode_16_64 0
		.amdhsa_float_denorm_mode_32 3
		.amdhsa_float_denorm_mode_16_64 3
		.amdhsa_fp16_overflow 0
		.amdhsa_workgroup_processor_mode 1
		.amdhsa_memory_ordered 1
		.amdhsa_forward_progress 1
		.amdhsa_inst_pref_size 0
		.amdhsa_round_robin_scheduling 0
		.amdhsa_exception_fp_ieee_invalid_op 0
		.amdhsa_exception_fp_denorm_src 0
		.amdhsa_exception_fp_ieee_div_zero 0
		.amdhsa_exception_fp_ieee_overflow 0
		.amdhsa_exception_fp_ieee_underflow 0
		.amdhsa_exception_fp_ieee_inexact 0
		.amdhsa_exception_int_div_zero 0
	.end_amdhsa_kernel
	.section	.text._ZN7rocprim17ROCPRIM_400000_NS6detail17trampoline_kernelINS0_14default_configENS1_25partition_config_selectorILNS1_17partition_subalgoE6EsNS0_10empty_typeEbEEZZNS1_14partition_implILS5_6ELb0ES3_mN6thrust23THRUST_200600_302600_NS6detail15normal_iteratorINSA_10device_ptrIsEEEEPS6_SG_NS0_5tupleIJNSA_16discard_iteratorINSA_11use_defaultEEES6_EEENSH_IJSG_SG_EEES6_PlJNSB_9not_fun_tINSB_14equal_to_valueIsEEEEEEE10hipError_tPvRmT3_T4_T5_T6_T7_T9_mT8_P12ihipStream_tbDpT10_ENKUlT_T0_E_clISt17integral_constantIbLb0EES1B_EEDaS16_S17_EUlS16_E_NS1_11comp_targetILNS1_3genE2ELNS1_11target_archE906ELNS1_3gpuE6ELNS1_3repE0EEENS1_30default_config_static_selectorELNS0_4arch9wavefront6targetE0EEEvT1_,"axG",@progbits,_ZN7rocprim17ROCPRIM_400000_NS6detail17trampoline_kernelINS0_14default_configENS1_25partition_config_selectorILNS1_17partition_subalgoE6EsNS0_10empty_typeEbEEZZNS1_14partition_implILS5_6ELb0ES3_mN6thrust23THRUST_200600_302600_NS6detail15normal_iteratorINSA_10device_ptrIsEEEEPS6_SG_NS0_5tupleIJNSA_16discard_iteratorINSA_11use_defaultEEES6_EEENSH_IJSG_SG_EEES6_PlJNSB_9not_fun_tINSB_14equal_to_valueIsEEEEEEE10hipError_tPvRmT3_T4_T5_T6_T7_T9_mT8_P12ihipStream_tbDpT10_ENKUlT_T0_E_clISt17integral_constantIbLb0EES1B_EEDaS16_S17_EUlS16_E_NS1_11comp_targetILNS1_3genE2ELNS1_11target_archE906ELNS1_3gpuE6ELNS1_3repE0EEENS1_30default_config_static_selectorELNS0_4arch9wavefront6targetE0EEEvT1_,comdat
.Lfunc_end1793:
	.size	_ZN7rocprim17ROCPRIM_400000_NS6detail17trampoline_kernelINS0_14default_configENS1_25partition_config_selectorILNS1_17partition_subalgoE6EsNS0_10empty_typeEbEEZZNS1_14partition_implILS5_6ELb0ES3_mN6thrust23THRUST_200600_302600_NS6detail15normal_iteratorINSA_10device_ptrIsEEEEPS6_SG_NS0_5tupleIJNSA_16discard_iteratorINSA_11use_defaultEEES6_EEENSH_IJSG_SG_EEES6_PlJNSB_9not_fun_tINSB_14equal_to_valueIsEEEEEEE10hipError_tPvRmT3_T4_T5_T6_T7_T9_mT8_P12ihipStream_tbDpT10_ENKUlT_T0_E_clISt17integral_constantIbLb0EES1B_EEDaS16_S17_EUlS16_E_NS1_11comp_targetILNS1_3genE2ELNS1_11target_archE906ELNS1_3gpuE6ELNS1_3repE0EEENS1_30default_config_static_selectorELNS0_4arch9wavefront6targetE0EEEvT1_, .Lfunc_end1793-_ZN7rocprim17ROCPRIM_400000_NS6detail17trampoline_kernelINS0_14default_configENS1_25partition_config_selectorILNS1_17partition_subalgoE6EsNS0_10empty_typeEbEEZZNS1_14partition_implILS5_6ELb0ES3_mN6thrust23THRUST_200600_302600_NS6detail15normal_iteratorINSA_10device_ptrIsEEEEPS6_SG_NS0_5tupleIJNSA_16discard_iteratorINSA_11use_defaultEEES6_EEENSH_IJSG_SG_EEES6_PlJNSB_9not_fun_tINSB_14equal_to_valueIsEEEEEEE10hipError_tPvRmT3_T4_T5_T6_T7_T9_mT8_P12ihipStream_tbDpT10_ENKUlT_T0_E_clISt17integral_constantIbLb0EES1B_EEDaS16_S17_EUlS16_E_NS1_11comp_targetILNS1_3genE2ELNS1_11target_archE906ELNS1_3gpuE6ELNS1_3repE0EEENS1_30default_config_static_selectorELNS0_4arch9wavefront6targetE0EEEvT1_
                                        ; -- End function
	.set _ZN7rocprim17ROCPRIM_400000_NS6detail17trampoline_kernelINS0_14default_configENS1_25partition_config_selectorILNS1_17partition_subalgoE6EsNS0_10empty_typeEbEEZZNS1_14partition_implILS5_6ELb0ES3_mN6thrust23THRUST_200600_302600_NS6detail15normal_iteratorINSA_10device_ptrIsEEEEPS6_SG_NS0_5tupleIJNSA_16discard_iteratorINSA_11use_defaultEEES6_EEENSH_IJSG_SG_EEES6_PlJNSB_9not_fun_tINSB_14equal_to_valueIsEEEEEEE10hipError_tPvRmT3_T4_T5_T6_T7_T9_mT8_P12ihipStream_tbDpT10_ENKUlT_T0_E_clISt17integral_constantIbLb0EES1B_EEDaS16_S17_EUlS16_E_NS1_11comp_targetILNS1_3genE2ELNS1_11target_archE906ELNS1_3gpuE6ELNS1_3repE0EEENS1_30default_config_static_selectorELNS0_4arch9wavefront6targetE0EEEvT1_.num_vgpr, 0
	.set _ZN7rocprim17ROCPRIM_400000_NS6detail17trampoline_kernelINS0_14default_configENS1_25partition_config_selectorILNS1_17partition_subalgoE6EsNS0_10empty_typeEbEEZZNS1_14partition_implILS5_6ELb0ES3_mN6thrust23THRUST_200600_302600_NS6detail15normal_iteratorINSA_10device_ptrIsEEEEPS6_SG_NS0_5tupleIJNSA_16discard_iteratorINSA_11use_defaultEEES6_EEENSH_IJSG_SG_EEES6_PlJNSB_9not_fun_tINSB_14equal_to_valueIsEEEEEEE10hipError_tPvRmT3_T4_T5_T6_T7_T9_mT8_P12ihipStream_tbDpT10_ENKUlT_T0_E_clISt17integral_constantIbLb0EES1B_EEDaS16_S17_EUlS16_E_NS1_11comp_targetILNS1_3genE2ELNS1_11target_archE906ELNS1_3gpuE6ELNS1_3repE0EEENS1_30default_config_static_selectorELNS0_4arch9wavefront6targetE0EEEvT1_.num_agpr, 0
	.set _ZN7rocprim17ROCPRIM_400000_NS6detail17trampoline_kernelINS0_14default_configENS1_25partition_config_selectorILNS1_17partition_subalgoE6EsNS0_10empty_typeEbEEZZNS1_14partition_implILS5_6ELb0ES3_mN6thrust23THRUST_200600_302600_NS6detail15normal_iteratorINSA_10device_ptrIsEEEEPS6_SG_NS0_5tupleIJNSA_16discard_iteratorINSA_11use_defaultEEES6_EEENSH_IJSG_SG_EEES6_PlJNSB_9not_fun_tINSB_14equal_to_valueIsEEEEEEE10hipError_tPvRmT3_T4_T5_T6_T7_T9_mT8_P12ihipStream_tbDpT10_ENKUlT_T0_E_clISt17integral_constantIbLb0EES1B_EEDaS16_S17_EUlS16_E_NS1_11comp_targetILNS1_3genE2ELNS1_11target_archE906ELNS1_3gpuE6ELNS1_3repE0EEENS1_30default_config_static_selectorELNS0_4arch9wavefront6targetE0EEEvT1_.numbered_sgpr, 0
	.set _ZN7rocprim17ROCPRIM_400000_NS6detail17trampoline_kernelINS0_14default_configENS1_25partition_config_selectorILNS1_17partition_subalgoE6EsNS0_10empty_typeEbEEZZNS1_14partition_implILS5_6ELb0ES3_mN6thrust23THRUST_200600_302600_NS6detail15normal_iteratorINSA_10device_ptrIsEEEEPS6_SG_NS0_5tupleIJNSA_16discard_iteratorINSA_11use_defaultEEES6_EEENSH_IJSG_SG_EEES6_PlJNSB_9not_fun_tINSB_14equal_to_valueIsEEEEEEE10hipError_tPvRmT3_T4_T5_T6_T7_T9_mT8_P12ihipStream_tbDpT10_ENKUlT_T0_E_clISt17integral_constantIbLb0EES1B_EEDaS16_S17_EUlS16_E_NS1_11comp_targetILNS1_3genE2ELNS1_11target_archE906ELNS1_3gpuE6ELNS1_3repE0EEENS1_30default_config_static_selectorELNS0_4arch9wavefront6targetE0EEEvT1_.num_named_barrier, 0
	.set _ZN7rocprim17ROCPRIM_400000_NS6detail17trampoline_kernelINS0_14default_configENS1_25partition_config_selectorILNS1_17partition_subalgoE6EsNS0_10empty_typeEbEEZZNS1_14partition_implILS5_6ELb0ES3_mN6thrust23THRUST_200600_302600_NS6detail15normal_iteratorINSA_10device_ptrIsEEEEPS6_SG_NS0_5tupleIJNSA_16discard_iteratorINSA_11use_defaultEEES6_EEENSH_IJSG_SG_EEES6_PlJNSB_9not_fun_tINSB_14equal_to_valueIsEEEEEEE10hipError_tPvRmT3_T4_T5_T6_T7_T9_mT8_P12ihipStream_tbDpT10_ENKUlT_T0_E_clISt17integral_constantIbLb0EES1B_EEDaS16_S17_EUlS16_E_NS1_11comp_targetILNS1_3genE2ELNS1_11target_archE906ELNS1_3gpuE6ELNS1_3repE0EEENS1_30default_config_static_selectorELNS0_4arch9wavefront6targetE0EEEvT1_.private_seg_size, 0
	.set _ZN7rocprim17ROCPRIM_400000_NS6detail17trampoline_kernelINS0_14default_configENS1_25partition_config_selectorILNS1_17partition_subalgoE6EsNS0_10empty_typeEbEEZZNS1_14partition_implILS5_6ELb0ES3_mN6thrust23THRUST_200600_302600_NS6detail15normal_iteratorINSA_10device_ptrIsEEEEPS6_SG_NS0_5tupleIJNSA_16discard_iteratorINSA_11use_defaultEEES6_EEENSH_IJSG_SG_EEES6_PlJNSB_9not_fun_tINSB_14equal_to_valueIsEEEEEEE10hipError_tPvRmT3_T4_T5_T6_T7_T9_mT8_P12ihipStream_tbDpT10_ENKUlT_T0_E_clISt17integral_constantIbLb0EES1B_EEDaS16_S17_EUlS16_E_NS1_11comp_targetILNS1_3genE2ELNS1_11target_archE906ELNS1_3gpuE6ELNS1_3repE0EEENS1_30default_config_static_selectorELNS0_4arch9wavefront6targetE0EEEvT1_.uses_vcc, 0
	.set _ZN7rocprim17ROCPRIM_400000_NS6detail17trampoline_kernelINS0_14default_configENS1_25partition_config_selectorILNS1_17partition_subalgoE6EsNS0_10empty_typeEbEEZZNS1_14partition_implILS5_6ELb0ES3_mN6thrust23THRUST_200600_302600_NS6detail15normal_iteratorINSA_10device_ptrIsEEEEPS6_SG_NS0_5tupleIJNSA_16discard_iteratorINSA_11use_defaultEEES6_EEENSH_IJSG_SG_EEES6_PlJNSB_9not_fun_tINSB_14equal_to_valueIsEEEEEEE10hipError_tPvRmT3_T4_T5_T6_T7_T9_mT8_P12ihipStream_tbDpT10_ENKUlT_T0_E_clISt17integral_constantIbLb0EES1B_EEDaS16_S17_EUlS16_E_NS1_11comp_targetILNS1_3genE2ELNS1_11target_archE906ELNS1_3gpuE6ELNS1_3repE0EEENS1_30default_config_static_selectorELNS0_4arch9wavefront6targetE0EEEvT1_.uses_flat_scratch, 0
	.set _ZN7rocprim17ROCPRIM_400000_NS6detail17trampoline_kernelINS0_14default_configENS1_25partition_config_selectorILNS1_17partition_subalgoE6EsNS0_10empty_typeEbEEZZNS1_14partition_implILS5_6ELb0ES3_mN6thrust23THRUST_200600_302600_NS6detail15normal_iteratorINSA_10device_ptrIsEEEEPS6_SG_NS0_5tupleIJNSA_16discard_iteratorINSA_11use_defaultEEES6_EEENSH_IJSG_SG_EEES6_PlJNSB_9not_fun_tINSB_14equal_to_valueIsEEEEEEE10hipError_tPvRmT3_T4_T5_T6_T7_T9_mT8_P12ihipStream_tbDpT10_ENKUlT_T0_E_clISt17integral_constantIbLb0EES1B_EEDaS16_S17_EUlS16_E_NS1_11comp_targetILNS1_3genE2ELNS1_11target_archE906ELNS1_3gpuE6ELNS1_3repE0EEENS1_30default_config_static_selectorELNS0_4arch9wavefront6targetE0EEEvT1_.has_dyn_sized_stack, 0
	.set _ZN7rocprim17ROCPRIM_400000_NS6detail17trampoline_kernelINS0_14default_configENS1_25partition_config_selectorILNS1_17partition_subalgoE6EsNS0_10empty_typeEbEEZZNS1_14partition_implILS5_6ELb0ES3_mN6thrust23THRUST_200600_302600_NS6detail15normal_iteratorINSA_10device_ptrIsEEEEPS6_SG_NS0_5tupleIJNSA_16discard_iteratorINSA_11use_defaultEEES6_EEENSH_IJSG_SG_EEES6_PlJNSB_9not_fun_tINSB_14equal_to_valueIsEEEEEEE10hipError_tPvRmT3_T4_T5_T6_T7_T9_mT8_P12ihipStream_tbDpT10_ENKUlT_T0_E_clISt17integral_constantIbLb0EES1B_EEDaS16_S17_EUlS16_E_NS1_11comp_targetILNS1_3genE2ELNS1_11target_archE906ELNS1_3gpuE6ELNS1_3repE0EEENS1_30default_config_static_selectorELNS0_4arch9wavefront6targetE0EEEvT1_.has_recursion, 0
	.set _ZN7rocprim17ROCPRIM_400000_NS6detail17trampoline_kernelINS0_14default_configENS1_25partition_config_selectorILNS1_17partition_subalgoE6EsNS0_10empty_typeEbEEZZNS1_14partition_implILS5_6ELb0ES3_mN6thrust23THRUST_200600_302600_NS6detail15normal_iteratorINSA_10device_ptrIsEEEEPS6_SG_NS0_5tupleIJNSA_16discard_iteratorINSA_11use_defaultEEES6_EEENSH_IJSG_SG_EEES6_PlJNSB_9not_fun_tINSB_14equal_to_valueIsEEEEEEE10hipError_tPvRmT3_T4_T5_T6_T7_T9_mT8_P12ihipStream_tbDpT10_ENKUlT_T0_E_clISt17integral_constantIbLb0EES1B_EEDaS16_S17_EUlS16_E_NS1_11comp_targetILNS1_3genE2ELNS1_11target_archE906ELNS1_3gpuE6ELNS1_3repE0EEENS1_30default_config_static_selectorELNS0_4arch9wavefront6targetE0EEEvT1_.has_indirect_call, 0
	.section	.AMDGPU.csdata,"",@progbits
; Kernel info:
; codeLenInByte = 0
; TotalNumSgprs: 0
; NumVgprs: 0
; ScratchSize: 0
; MemoryBound: 0
; FloatMode: 240
; IeeeMode: 1
; LDSByteSize: 0 bytes/workgroup (compile time only)
; SGPRBlocks: 0
; VGPRBlocks: 0
; NumSGPRsForWavesPerEU: 1
; NumVGPRsForWavesPerEU: 1
; Occupancy: 16
; WaveLimiterHint : 0
; COMPUTE_PGM_RSRC2:SCRATCH_EN: 0
; COMPUTE_PGM_RSRC2:USER_SGPR: 2
; COMPUTE_PGM_RSRC2:TRAP_HANDLER: 0
; COMPUTE_PGM_RSRC2:TGID_X_EN: 1
; COMPUTE_PGM_RSRC2:TGID_Y_EN: 0
; COMPUTE_PGM_RSRC2:TGID_Z_EN: 0
; COMPUTE_PGM_RSRC2:TIDIG_COMP_CNT: 0
	.section	.text._ZN7rocprim17ROCPRIM_400000_NS6detail17trampoline_kernelINS0_14default_configENS1_25partition_config_selectorILNS1_17partition_subalgoE6EsNS0_10empty_typeEbEEZZNS1_14partition_implILS5_6ELb0ES3_mN6thrust23THRUST_200600_302600_NS6detail15normal_iteratorINSA_10device_ptrIsEEEEPS6_SG_NS0_5tupleIJNSA_16discard_iteratorINSA_11use_defaultEEES6_EEENSH_IJSG_SG_EEES6_PlJNSB_9not_fun_tINSB_14equal_to_valueIsEEEEEEE10hipError_tPvRmT3_T4_T5_T6_T7_T9_mT8_P12ihipStream_tbDpT10_ENKUlT_T0_E_clISt17integral_constantIbLb0EES1B_EEDaS16_S17_EUlS16_E_NS1_11comp_targetILNS1_3genE10ELNS1_11target_archE1200ELNS1_3gpuE4ELNS1_3repE0EEENS1_30default_config_static_selectorELNS0_4arch9wavefront6targetE0EEEvT1_,"axG",@progbits,_ZN7rocprim17ROCPRIM_400000_NS6detail17trampoline_kernelINS0_14default_configENS1_25partition_config_selectorILNS1_17partition_subalgoE6EsNS0_10empty_typeEbEEZZNS1_14partition_implILS5_6ELb0ES3_mN6thrust23THRUST_200600_302600_NS6detail15normal_iteratorINSA_10device_ptrIsEEEEPS6_SG_NS0_5tupleIJNSA_16discard_iteratorINSA_11use_defaultEEES6_EEENSH_IJSG_SG_EEES6_PlJNSB_9not_fun_tINSB_14equal_to_valueIsEEEEEEE10hipError_tPvRmT3_T4_T5_T6_T7_T9_mT8_P12ihipStream_tbDpT10_ENKUlT_T0_E_clISt17integral_constantIbLb0EES1B_EEDaS16_S17_EUlS16_E_NS1_11comp_targetILNS1_3genE10ELNS1_11target_archE1200ELNS1_3gpuE4ELNS1_3repE0EEENS1_30default_config_static_selectorELNS0_4arch9wavefront6targetE0EEEvT1_,comdat
	.protected	_ZN7rocprim17ROCPRIM_400000_NS6detail17trampoline_kernelINS0_14default_configENS1_25partition_config_selectorILNS1_17partition_subalgoE6EsNS0_10empty_typeEbEEZZNS1_14partition_implILS5_6ELb0ES3_mN6thrust23THRUST_200600_302600_NS6detail15normal_iteratorINSA_10device_ptrIsEEEEPS6_SG_NS0_5tupleIJNSA_16discard_iteratorINSA_11use_defaultEEES6_EEENSH_IJSG_SG_EEES6_PlJNSB_9not_fun_tINSB_14equal_to_valueIsEEEEEEE10hipError_tPvRmT3_T4_T5_T6_T7_T9_mT8_P12ihipStream_tbDpT10_ENKUlT_T0_E_clISt17integral_constantIbLb0EES1B_EEDaS16_S17_EUlS16_E_NS1_11comp_targetILNS1_3genE10ELNS1_11target_archE1200ELNS1_3gpuE4ELNS1_3repE0EEENS1_30default_config_static_selectorELNS0_4arch9wavefront6targetE0EEEvT1_ ; -- Begin function _ZN7rocprim17ROCPRIM_400000_NS6detail17trampoline_kernelINS0_14default_configENS1_25partition_config_selectorILNS1_17partition_subalgoE6EsNS0_10empty_typeEbEEZZNS1_14partition_implILS5_6ELb0ES3_mN6thrust23THRUST_200600_302600_NS6detail15normal_iteratorINSA_10device_ptrIsEEEEPS6_SG_NS0_5tupleIJNSA_16discard_iteratorINSA_11use_defaultEEES6_EEENSH_IJSG_SG_EEES6_PlJNSB_9not_fun_tINSB_14equal_to_valueIsEEEEEEE10hipError_tPvRmT3_T4_T5_T6_T7_T9_mT8_P12ihipStream_tbDpT10_ENKUlT_T0_E_clISt17integral_constantIbLb0EES1B_EEDaS16_S17_EUlS16_E_NS1_11comp_targetILNS1_3genE10ELNS1_11target_archE1200ELNS1_3gpuE4ELNS1_3repE0EEENS1_30default_config_static_selectorELNS0_4arch9wavefront6targetE0EEEvT1_
	.globl	_ZN7rocprim17ROCPRIM_400000_NS6detail17trampoline_kernelINS0_14default_configENS1_25partition_config_selectorILNS1_17partition_subalgoE6EsNS0_10empty_typeEbEEZZNS1_14partition_implILS5_6ELb0ES3_mN6thrust23THRUST_200600_302600_NS6detail15normal_iteratorINSA_10device_ptrIsEEEEPS6_SG_NS0_5tupleIJNSA_16discard_iteratorINSA_11use_defaultEEES6_EEENSH_IJSG_SG_EEES6_PlJNSB_9not_fun_tINSB_14equal_to_valueIsEEEEEEE10hipError_tPvRmT3_T4_T5_T6_T7_T9_mT8_P12ihipStream_tbDpT10_ENKUlT_T0_E_clISt17integral_constantIbLb0EES1B_EEDaS16_S17_EUlS16_E_NS1_11comp_targetILNS1_3genE10ELNS1_11target_archE1200ELNS1_3gpuE4ELNS1_3repE0EEENS1_30default_config_static_selectorELNS0_4arch9wavefront6targetE0EEEvT1_
	.p2align	8
	.type	_ZN7rocprim17ROCPRIM_400000_NS6detail17trampoline_kernelINS0_14default_configENS1_25partition_config_selectorILNS1_17partition_subalgoE6EsNS0_10empty_typeEbEEZZNS1_14partition_implILS5_6ELb0ES3_mN6thrust23THRUST_200600_302600_NS6detail15normal_iteratorINSA_10device_ptrIsEEEEPS6_SG_NS0_5tupleIJNSA_16discard_iteratorINSA_11use_defaultEEES6_EEENSH_IJSG_SG_EEES6_PlJNSB_9not_fun_tINSB_14equal_to_valueIsEEEEEEE10hipError_tPvRmT3_T4_T5_T6_T7_T9_mT8_P12ihipStream_tbDpT10_ENKUlT_T0_E_clISt17integral_constantIbLb0EES1B_EEDaS16_S17_EUlS16_E_NS1_11comp_targetILNS1_3genE10ELNS1_11target_archE1200ELNS1_3gpuE4ELNS1_3repE0EEENS1_30default_config_static_selectorELNS0_4arch9wavefront6targetE0EEEvT1_,@function
_ZN7rocprim17ROCPRIM_400000_NS6detail17trampoline_kernelINS0_14default_configENS1_25partition_config_selectorILNS1_17partition_subalgoE6EsNS0_10empty_typeEbEEZZNS1_14partition_implILS5_6ELb0ES3_mN6thrust23THRUST_200600_302600_NS6detail15normal_iteratorINSA_10device_ptrIsEEEEPS6_SG_NS0_5tupleIJNSA_16discard_iteratorINSA_11use_defaultEEES6_EEENSH_IJSG_SG_EEES6_PlJNSB_9not_fun_tINSB_14equal_to_valueIsEEEEEEE10hipError_tPvRmT3_T4_T5_T6_T7_T9_mT8_P12ihipStream_tbDpT10_ENKUlT_T0_E_clISt17integral_constantIbLb0EES1B_EEDaS16_S17_EUlS16_E_NS1_11comp_targetILNS1_3genE10ELNS1_11target_archE1200ELNS1_3gpuE4ELNS1_3repE0EEENS1_30default_config_static_selectorELNS0_4arch9wavefront6targetE0EEEvT1_: ; @_ZN7rocprim17ROCPRIM_400000_NS6detail17trampoline_kernelINS0_14default_configENS1_25partition_config_selectorILNS1_17partition_subalgoE6EsNS0_10empty_typeEbEEZZNS1_14partition_implILS5_6ELb0ES3_mN6thrust23THRUST_200600_302600_NS6detail15normal_iteratorINSA_10device_ptrIsEEEEPS6_SG_NS0_5tupleIJNSA_16discard_iteratorINSA_11use_defaultEEES6_EEENSH_IJSG_SG_EEES6_PlJNSB_9not_fun_tINSB_14equal_to_valueIsEEEEEEE10hipError_tPvRmT3_T4_T5_T6_T7_T9_mT8_P12ihipStream_tbDpT10_ENKUlT_T0_E_clISt17integral_constantIbLb0EES1B_EEDaS16_S17_EUlS16_E_NS1_11comp_targetILNS1_3genE10ELNS1_11target_archE1200ELNS1_3gpuE4ELNS1_3repE0EEENS1_30default_config_static_selectorELNS0_4arch9wavefront6targetE0EEEvT1_
; %bb.0:
	v_dual_mov_b32 v1, 0 :: v_dual_lshlrev_b32 v18, 1, v0
	s_clause 0x3
	s_load_b128 s[4:7], s[0:1], 0x8
	s_load_b128 s[20:23], s[0:1], 0x48
	s_load_b32 s10, s[0:1], 0x70
	s_load_b64 s[2:3], s[0:1], 0x58
	s_mul_i32 s12, ttmp9, 0x1b00
	global_load_u16 v17, v1, s[0:1] offset:118
	s_wait_kmcnt 0x0
	s_lshl_b64 s[8:9], s[6:7], 1
	s_load_b64 s[22:23], s[22:23], 0x0
	s_add_nc_u64 s[8:9], s[4:5], s[8:9]
	s_mul_i32 s4, s10, 0x1b00
	s_mov_b32 s5, 0
	s_add_co_i32 s11, s4, s6
	s_add_co_i32 s10, s10, -1
	s_add_nc_u64 s[6:7], s[6:7], s[4:5]
	s_sub_co_i32 s26, s2, s11
	s_cmp_eq_u32 ttmp9, s10
	v_cmp_gt_u64_e64 s2, s[2:3], s[6:7]
	s_cselect_b32 s24, -1, 0
	s_cmp_lg_u32 ttmp9, s10
	s_mov_b32 s13, s5
	s_cselect_b32 s3, -1, 0
	s_mov_b32 s4, -1
	s_wait_alu 0xfffe
	s_or_b32 s11, s3, s2
	s_lshl_b64 s[2:3], s[12:13], 1
	s_and_b32 vcc_lo, exec_lo, s11
	s_wait_alu 0xfffe
	s_add_nc_u64 s[2:3], s[8:9], s[2:3]
	s_cbranch_vccz .LBB1794_2
; %bb.1:
	s_wait_alu 0xfffe
	v_add_co_u32 v1, s4, s2, v18
	s_delay_alu instid0(VALU_DEP_1)
	v_add_co_ci_u32_e64 v2, null, s3, 0, s4
	s_mov_b32 s4, 0
	s_clause 0x11
	flat_load_u16 v3, v[1:2]
	flat_load_u16 v4, v[1:2] offset:768
	flat_load_u16 v5, v[1:2] offset:1536
	;; [unrolled: 1-line block ×17, first 2 shown]
	s_wait_loadcnt_dscnt 0x1111
	ds_store_b16 v18, v3
	s_wait_loadcnt_dscnt 0x1011
	ds_store_b16 v18, v4 offset:768
	s_wait_loadcnt_dscnt 0xf11
	ds_store_b16 v18, v5 offset:1536
	;; [unrolled: 2-line block ×17, first 2 shown]
	s_wait_dscnt 0x0
	s_barrier_signal -1
	s_barrier_wait -1
.LBB1794_2:
	s_wait_alu 0xfffe
	s_and_not1_b32 vcc_lo, exec_lo, s4
	s_addk_co_i32 s26, 0x1b00
	s_cbranch_vccnz .LBB1794_40
; %bb.3:
	v_mov_b32_e32 v1, 0
	s_mov_b32 s4, exec_lo
	s_delay_alu instid0(VALU_DEP_1)
	v_dual_mov_b32 v2, v1 :: v_dual_mov_b32 v3, v1
	v_dual_mov_b32 v4, v1 :: v_dual_mov_b32 v5, v1
	;; [unrolled: 1-line block ×4, first 2 shown]
	v_cmpx_gt_u32_e64 s26, v0
	s_cbranch_execz .LBB1794_5
; %bb.4:
	v_add_co_u32 v3, s5, s2, v18
	s_wait_alu 0xf1ff
	v_add_co_ci_u32_e64 v4, null, s3, 0, s5
	v_mov_b32_e32 v2, v1
	v_dual_mov_b32 v6, v1 :: v_dual_mov_b32 v7, v1
	v_dual_mov_b32 v5, v1 :: v_dual_mov_b32 v8, v1
	v_mov_b32_e32 v9, v1
	flat_load_d16_b16 v2, v[3:4]
	v_dual_mov_b32 v3, v1 :: v_dual_mov_b32 v4, v1
	v_mov_b32_e32 v10, v1
	s_wait_loadcnt_dscnt 0x0
	v_mov_b32_e32 v1, v2
	s_delay_alu instid0(VALU_DEP_3)
	v_mov_b32_e32 v2, v3
	v_mov_b32_e32 v3, v4
	;; [unrolled: 1-line block ×15, first 2 shown]
.LBB1794_5:
	s_wait_alu 0xfffe
	s_or_b32 exec_lo, exec_lo, s4
	v_add_nc_u32_e32 v10, 0x180, v0
	s_mov_b32 s4, exec_lo
	s_delay_alu instid0(VALU_DEP_1)
	v_cmpx_gt_u32_e64 s26, v10
	s_cbranch_execz .LBB1794_7
; %bb.6:
	v_add_co_u32 v10, s5, s2, v18
	s_wait_alu 0xf1ff
	v_add_co_ci_u32_e64 v11, null, s3, 0, s5
	flat_load_d16_hi_b16 v1, v[10:11] offset:768
.LBB1794_7:
	s_wait_alu 0xfffe
	s_or_b32 exec_lo, exec_lo, s4
	v_add_nc_u32_e32 v10, 0x300, v0
	s_mov_b32 s4, exec_lo
	s_delay_alu instid0(VALU_DEP_1)
	v_cmpx_gt_u32_e64 s26, v10
	s_cbranch_execz .LBB1794_9
; %bb.8:
	v_add_co_u32 v10, s5, s2, v18
	s_wait_alu 0xf1ff
	v_add_co_ci_u32_e64 v11, null, s3, 0, s5
	flat_load_d16_b16 v2, v[10:11] offset:1536
.LBB1794_9:
	s_wait_alu 0xfffe
	s_or_b32 exec_lo, exec_lo, s4
	v_add_nc_u32_e32 v10, 0x480, v0
	s_mov_b32 s4, exec_lo
	s_delay_alu instid0(VALU_DEP_1)
	v_cmpx_gt_u32_e64 s26, v10
	s_cbranch_execz .LBB1794_11
; %bb.10:
	v_add_co_u32 v10, s5, s2, v18
	s_wait_alu 0xf1ff
	v_add_co_ci_u32_e64 v11, null, s3, 0, s5
	s_wait_loadcnt_dscnt 0x0
	flat_load_d16_hi_b16 v2, v[10:11] offset:2304
.LBB1794_11:
	s_wait_alu 0xfffe
	s_or_b32 exec_lo, exec_lo, s4
	v_or_b32_e32 v10, 0x600, v0
	s_mov_b32 s4, exec_lo
	s_delay_alu instid0(VALU_DEP_1)
	v_cmpx_gt_u32_e64 s26, v10
	s_cbranch_execz .LBB1794_13
; %bb.12:
	v_add_co_u32 v10, s5, s2, v18
	s_wait_alu 0xf1ff
	v_add_co_ci_u32_e64 v11, null, s3, 0, s5
	flat_load_d16_b16 v3, v[10:11] offset:3072
.LBB1794_13:
	s_wait_alu 0xfffe
	s_or_b32 exec_lo, exec_lo, s4
	v_add_nc_u32_e32 v10, 0x780, v0
	s_mov_b32 s4, exec_lo
	s_delay_alu instid0(VALU_DEP_1)
	v_cmpx_gt_u32_e64 s26, v10
	s_cbranch_execz .LBB1794_15
; %bb.14:
	v_add_co_u32 v10, s5, s2, v18
	s_wait_alu 0xf1ff
	v_add_co_ci_u32_e64 v11, null, s3, 0, s5
	s_wait_loadcnt_dscnt 0x0
	flat_load_d16_hi_b16 v3, v[10:11] offset:3840
.LBB1794_15:
	s_wait_alu 0xfffe
	s_or_b32 exec_lo, exec_lo, s4
	v_add_nc_u32_e32 v10, 0x900, v0
	s_mov_b32 s4, exec_lo
	s_delay_alu instid0(VALU_DEP_1)
	v_cmpx_gt_u32_e64 s26, v10
	s_cbranch_execz .LBB1794_17
; %bb.16:
	v_add_co_u32 v10, s5, s2, v18
	s_wait_alu 0xf1ff
	v_add_co_ci_u32_e64 v11, null, s3, 0, s5
	flat_load_d16_b16 v4, v[10:11] offset:4608
.LBB1794_17:
	s_wait_alu 0xfffe
	s_or_b32 exec_lo, exec_lo, s4
	v_add_nc_u32_e32 v10, 0xa80, v0
	s_mov_b32 s4, exec_lo
	s_delay_alu instid0(VALU_DEP_1)
	v_cmpx_gt_u32_e64 s26, v10
	s_cbranch_execz .LBB1794_19
; %bb.18:
	v_add_co_u32 v10, s5, s2, v18
	s_wait_alu 0xf1ff
	v_add_co_ci_u32_e64 v11, null, s3, 0, s5
	s_wait_loadcnt_dscnt 0x0
	flat_load_d16_hi_b16 v4, v[10:11] offset:5376
.LBB1794_19:
	s_wait_alu 0xfffe
	s_or_b32 exec_lo, exec_lo, s4
	v_or_b32_e32 v10, 0xc00, v0
	s_mov_b32 s4, exec_lo
	s_delay_alu instid0(VALU_DEP_1)
	v_cmpx_gt_u32_e64 s26, v10
	s_cbranch_execz .LBB1794_21
; %bb.20:
	v_add_co_u32 v10, s5, s2, v18
	s_wait_alu 0xf1ff
	v_add_co_ci_u32_e64 v11, null, s3, 0, s5
	flat_load_d16_b16 v5, v[10:11] offset:6144
.LBB1794_21:
	s_wait_alu 0xfffe
	s_or_b32 exec_lo, exec_lo, s4
	v_add_nc_u32_e32 v10, 0xd80, v0
	s_mov_b32 s4, exec_lo
	s_delay_alu instid0(VALU_DEP_1)
	v_cmpx_gt_u32_e64 s26, v10
	s_cbranch_execz .LBB1794_23
; %bb.22:
	v_add_co_u32 v10, s5, s2, v18
	s_wait_alu 0xf1ff
	v_add_co_ci_u32_e64 v11, null, s3, 0, s5
	s_wait_loadcnt_dscnt 0x0
	flat_load_d16_hi_b16 v5, v[10:11] offset:6912
.LBB1794_23:
	;; [unrolled: 54-line block ×4, first 2 shown]
	s_wait_alu 0xfffe
	s_or_b32 exec_lo, exec_lo, s4
	s_wait_loadcnt_dscnt 0x0
	ds_store_b16 v18, v1
	ds_store_b16_d16_hi v18, v1 offset:768
	ds_store_b16 v18, v2 offset:1536
	ds_store_b16_d16_hi v18, v2 offset:2304
	ds_store_b16 v18, v3 offset:3072
	;; [unrolled: 2-line block ×8, first 2 shown]
	ds_store_b16_d16_hi v18, v9 offset:13056
	s_wait_dscnt 0x0
	s_barrier_signal -1
	s_barrier_wait -1
.LBB1794_40:
	v_mul_u32_u24_e32 v5, 18, v0
	s_wait_loadcnt 0x0
	global_inv scope:SCOPE_SE
	s_and_not1_b32 vcc_lo, exec_lo, s11
	v_lshlrev_b32_e32 v6, 1, v5
	ds_load_u16 v25, v6 offset:4
	ds_load_u16 v24, v6 offset:34
	ds_load_b32 v26, v6
	ds_load_b128 v[1:4], v6 offset:6
	ds_load_b96 v[13:15], v6 offset:22
	s_wait_loadcnt_dscnt 0x0
	s_barrier_signal -1
	s_barrier_wait -1
	global_inv scope:SCOPE_SE
	v_cmp_ne_u16_e64 s2, v25, v17
	v_cmp_ne_u16_e64 s25, v24, v17
	;; [unrolled: 1-line block ×3, first 2 shown]
	v_lshrrev_b32_e32 v16, 16, v26
	v_cmp_ne_u16_e64 s8, v1, v17
	v_lshrrev_b32_e32 v12, 16, v1
	v_cmp_ne_u16_e64 s10, v2, v17
	;; [unrolled: 2-line block ×7, first 2 shown]
	v_lshrrev_b32_e32 v6, 16, v15
	s_cbranch_vccnz .LBB1794_42
; %bb.41:
	v_cmp_ne_u16_e32 vcc_lo, v16, v17
	v_cndmask_b32_e64 v20, 0, 1, s8
	v_cndmask_b32_e64 v19, 0, 1, s10
	s_wait_alu 0xf1ff
	v_cndmask_b32_e64 v29, 0, 1, s3
	v_cndmask_b32_e64 v30, 0, 1, s2
	v_cndmask_b32_e64 v18, 0, 1, vcc_lo
	v_lshlrev_b16 v20, 8, v20
	v_cmp_ne_u16_e32 vcc_lo, v12, v17
	v_lshlrev_b16 v19, 8, v19
	v_cndmask_b32_e64 v22, 0, 1, s7
	v_lshlrev_b16 v18, 8, v18
	v_lshrrev_b32_e32 v20, 8, v20
	s_wait_alu 0xfffd
	v_cndmask_b32_e64 v31, 0, 1, vcc_lo
	v_cmp_ne_u16_e32 vcc_lo, v11, v17
	v_lshrrev_b32_e32 v19, 8, v19
	v_lshrrev_b32_e32 v18, 8, v18
	v_lshlrev_b16 v20, 8, v20
	v_cndmask_b32_e64 v23, 0, 1, s6
	v_cndmask_b32_e64 v27, 0, 1, s4
	v_lshlrev_b16 v19, 8, v19
	v_lshlrev_b16 v18, 8, v18
	v_or_b32_e32 v20, v30, v20
	v_lshlrev_b16 v22, 8, v22
	v_lshlrev_b16 v23, 8, v23
	;; [unrolled: 1-line block ×3, first 2 shown]
	v_or_b32_e32 v18, v29, v18
	s_wait_alu 0xfffd
	v_cndmask_b32_e64 v29, 0, 1, vcc_lo
	v_cmp_ne_u16_e32 vcc_lo, v10, v17
	v_or_b32_e32 v19, v31, v19
	v_cndmask_b32_e64 v21, 0, 1, s9
	v_cndmask_b32_e64 v28, 0, 1, s5
	v_lshrrev_b32_e32 v27, 8, v27
	s_wait_alu 0xfffd
	v_cndmask_b32_e64 v30, 0, 1, vcc_lo
	v_cmp_ne_u16_e32 vcc_lo, v9, v17
	v_lshrrev_b32_e32 v22, 8, v22
	v_lshrrev_b32_e32 v23, 8, v23
	v_lshlrev_b16 v21, 8, v21
	v_lshlrev_b16 v28, 8, v28
	s_wait_alu 0xfffd
	v_cndmask_b32_e64 v31, 0, 1, vcc_lo
	v_cmp_ne_u16_e32 vcc_lo, v8, v17
	v_lshlrev_b16 v22, 8, v22
	v_lshlrev_b16 v23, 8, v23
	v_lshlrev_b16 v27, 8, v27
	v_or_b32_e32 v21, v29, v21
	s_wait_alu 0xfffd
	v_cndmask_b32_e64 v32, 0, 1, vcc_lo
	v_cmp_ne_u16_e32 vcc_lo, v7, v17
	v_or_b32_e32 v22, v30, v22
	v_or_b32_e32 v23, v31, v23
	v_and_b32_e32 v18, 0xffff, v18
	v_or_b32_e32 v27, v32, v27
	s_wait_alu 0xfffd
	v_cndmask_b32_e64 v33, 0, 1, vcc_lo
	v_lshlrev_b32_e32 v20, 16, v20
	v_and_b32_e32 v19, 0xffff, v19
	v_lshlrev_b32_e32 v21, 16, v21
	v_and_b32_e32 v22, 0xffff, v22
	v_or_b32_e32 v28, v33, v28
	v_lshlrev_b32_e32 v23, 16, v23
	v_and_b32_e32 v29, 0xffff, v27
	v_cmp_ne_u16_e32 vcc_lo, v6, v17
	v_or_b32_e32 v42, v18, v20
	v_lshlrev_b32_e32 v28, 16, v28
	v_or_b32_e32 v36, v19, v21
	v_or_b32_e32 v30, v22, v23
	s_wait_alu 0xfffd
	v_cndmask_b32_e64 v27, 0, 1, vcc_lo
	v_or_b32_e32 v28, v29, v28
	s_cbranch_execz .LBB1794_43
	s_branch .LBB1794_44
.LBB1794_42:
                                        ; implicit-def: $sgpr25
                                        ; implicit-def: $vgpr27
                                        ; implicit-def: $vgpr28
                                        ; implicit-def: $vgpr30
                                        ; implicit-def: $vgpr36
                                        ; implicit-def: $vgpr42
.LBB1794_43:
	v_or_b32_e32 v18, 1, v5
	v_cmp_ne_u16_e32 vcc_lo, v16, v17
	v_add_nc_u32_e32 v19, 3, v5
	v_add_nc_u32_e32 v16, 2, v5
	v_cmp_ne_u16_e64 s9, v2, v17
	v_cmp_gt_u32_e64 s4, s26, v18
	v_add_nc_u32_e32 v18, 4, v5
	v_cmp_gt_u32_e64 s7, s26, v19
	v_cmp_gt_u32_e64 s6, s26, v16
	v_add_nc_u32_e32 v16, 7, v5
	s_and_b32 s4, s4, vcc_lo
	v_cmp_ne_u16_e32 vcc_lo, v1, v17
	v_cmp_gt_u32_e64 s8, s26, v18
	v_add_nc_u32_e32 v18, 5, v5
	s_wait_alu 0xfffe
	v_cndmask_b32_e64 v20, 0, 1, s4
	v_cmp_ne_u16_e64 s4, v12, v17
	s_and_b32 s7, s7, vcc_lo
	v_cmp_ne_u16_e32 vcc_lo, v3, v17
	s_wait_alu 0xfffe
	v_cndmask_b32_e64 v19, 0, 1, s7
	v_cmp_gt_u32_e64 s7, s26, v16
	v_cmp_gt_u32_e64 s10, s26, v18
	v_lshlrev_b16 v12, 8, v20
	v_add_nc_u32_e32 v18, 6, v5
	v_lshlrev_b16 v16, 8, v19
	s_and_b32 s7, s7, vcc_lo
	v_cmp_ne_u16_e32 vcc_lo, v11, v17
	s_wait_alu 0xfffe
	v_cndmask_b32_e64 v19, 0, 1, s7
	s_and_b32 s7, s10, s9
	v_add_nc_u32_e32 v11, 8, v5
	s_wait_alu 0xfffe
	v_cndmask_b32_e64 v20, 0, 1, s7
	v_cmp_gt_u32_e64 s7, s26, v18
	v_lshlrev_b16 v18, 8, v19
	v_cmp_ne_u16_e64 s9, v10, v17
	v_cmp_gt_u32_e64 s10, s26, v11
	v_lshlrev_b16 v19, 8, v20
	v_add_nc_u32_e32 v10, 9, v5
	v_lshrrev_b32_e32 v11, 8, v18
	v_cmp_ne_u16_e64 s11, v4, v17
	v_cmp_ne_u16_e64 s14, v13, v17
	v_lshrrev_b32_e32 v18, 8, v19
	v_add_nc_u32_e32 v19, 11, v5
	v_cmp_gt_u32_e64 s12, s26, v10
	v_add_nc_u32_e32 v10, 10, v5
	v_cmp_ne_u16_e64 s13, v9, v17
	v_cmp_ne_u16_e64 s17, v15, v17
	v_cmp_gt_u32_e64 s15, s26, v19
	s_and_b32 s11, s12, s11
	v_cmp_ne_u16_e64 s2, v26, v17
	s_wait_alu 0xfffe
	v_cndmask_b32_e64 v9, 0, 1, s11
	v_cmp_gt_u32_e64 s11, s26, v10
	s_and_b32 s12, s15, s14
	v_add_nc_u32_e32 v10, 12, v5
	v_cndmask_b32_e64 v19, 0, 1, s12
	v_cmp_ne_u16_e64 s12, v8, v17
	v_add_nc_u32_e32 v8, 13, v5
	v_cmp_ne_u16_e64 s15, v14, v17
	v_cmp_gt_u32_e64 s14, s26, v10
	v_lshlrev_b16 v10, 8, v19
	v_add_nc_u32_e32 v19, 15, v5
	v_cmp_gt_u32_e64 s16, s26, v8
	v_cmp_gt_u32_e64 s3, s26, v5
	v_cmp_ne_u16_e64 s5, v25, v17
	v_cmp_ne_u16_e64 s19, v7, v17
	v_cmp_gt_u32_e64 s18, s26, v19
	s_and_b32 s15, s16, s15
	v_add_nc_u32_e32 v7, 16, v5
	v_cndmask_b32_e64 v8, 0, 1, s15
	s_and_b32 s2, s3, s2
	s_and_b32 s15, s18, s17
	v_add_nc_u32_e32 v20, 14, v5
	s_wait_alu 0xfffe
	v_cndmask_b32_e64 v19, 0, 1, s15
	v_cmp_ne_u16_e64 s15, v6, v17
	v_lshlrev_b16 v6, 8, v8
	v_lshrrev_b32_e32 v8, 8, v12
	v_lshrrev_b32_e32 v12, 8, v16
	v_cndmask_b32_e64 v16, 0, 1, s2
	s_and_b32 s2, s6, s5
	v_cmp_gt_u32_e64 s16, s26, v7
	v_lshlrev_b16 v7, 8, v19
	s_wait_alu 0xfffe
	v_cndmask_b32_e64 v19, 0, 1, s2
	s_and_b32 s2, s8, s4
	v_cmp_gt_u32_e64 s17, s26, v20
	v_lshlrev_b16 v8, 8, v8
	v_lshlrev_b16 v12, 8, v12
	;; [unrolled: 1-line block ×3, first 2 shown]
	s_wait_alu 0xfffe
	v_cndmask_b32_e64 v20, 0, 1, s2
	v_add_nc_u32_e32 v5, 17, v5
	v_or_b32_e32 v8, v16, v8
	v_or_b32_e32 v12, v19, v12
	v_lshlrev_b16 v9, 8, v9
	v_or_b32_e32 v16, v20, v18
	s_and_b32 s4, s7, vcc_lo
	v_cmp_gt_u32_e64 s2, s26, v5
	v_and_b32_e32 v5, 0xffff, v8
	v_lshlrev_b32_e32 v8, 16, v12
	v_and_b32_e32 v12, 0xffff, v16
	s_wait_alu 0xfffe
	v_cndmask_b32_e64 v16, 0, 1, s4
	s_and_b32 s4, s10, s9
	v_cmp_ne_u16_e64 s3, v24, v17
	s_wait_alu 0xfffe
	v_cndmask_b32_e64 v17, 0, 1, s4
	s_and_b32 s4, s11, s13
	v_lshrrev_b32_e32 v7, 8, v7
	v_lshrrev_b32_e32 v6, 8, v6
	;; [unrolled: 1-line block ×4, first 2 shown]
	s_wait_alu 0xfffe
	v_cndmask_b32_e64 v18, 0, 1, s4
	s_and_b32 s4, s14, s12
	v_lshlrev_b16 v11, 8, v11
	s_wait_alu 0xfffe
	v_cndmask_b32_e64 v19, 0, 1, s4
	s_and_b32 s4, s17, s19
	v_lshlrev_b16 v9, 8, v9
	v_lshlrev_b16 v10, 8, v10
	;; [unrolled: 1-line block ×4, first 2 shown]
	s_wait_alu 0xfffe
	v_cndmask_b32_e64 v20, 0, 1, s4
	v_or_b32_e32 v11, v16, v11
	v_or_b32_e32 v9, v17, v9
	;; [unrolled: 1-line block ×5, first 2 shown]
	v_lshlrev_b32_e32 v11, 16, v11
	v_and_b32_e32 v9, 0xffff, v9
	v_lshlrev_b32_e32 v10, 16, v10
	v_and_b32_e32 v6, 0xffff, v6
	v_lshlrev_b32_e32 v7, 16, v7
	s_and_b32 s15, s16, s15
	s_and_b32 s2, s2, s3
	s_wait_alu 0xfffe
	v_cndmask_b32_e64 v27, 0, 1, s15
	v_or_b32_e32 v42, v5, v8
	v_or_b32_e32 v36, v12, v11
	;; [unrolled: 1-line block ×4, first 2 shown]
	s_and_not1_b32 s3, s25, exec_lo
	s_and_b32 s2, s2, exec_lo
	s_wait_alu 0xfffe
	s_or_b32 s25, s3, s2
.LBB1794_44:
	v_dual_mov_b32 v6, 0 :: v_dual_and_b32 v47, 0xff, v42
	v_bfe_u32 v45, v42, 8, 8
	v_cndmask_b32_e64 v5, 0, 1, s25
	v_bfe_u32 v48, v42, 16, 8
	s_load_b64 s[4:5], s[0:1], 0x68
	v_lshrrev_b32_e32 v46, 24, v42
	v_and_b32_e32 v44, 0xff, v36
	v_add3_u32 v5, v47, v5, v45
	v_bfe_u32 v43, v36, 8, 8
	v_bfe_u32 v41, v36, 16, 8
	v_lshrrev_b32_e32 v40, 24, v36
	v_and_b32_e32 v39, 0xff, v30
	v_add_co_u32 v5, s0, v5, v48
	s_delay_alu instid0(VALU_DEP_1) | instskip(SKIP_1) | instid1(VALU_DEP_3)
	v_add_co_ci_u32_e64 v7, null, 0, 0, s0
	v_bfe_u32 v38, v30, 8, 8
	v_add_co_u32 v5, vcc_lo, v5, v46
	s_wait_alu 0xfffd
	s_delay_alu instid0(VALU_DEP_3) | instskip(SKIP_1) | instid1(VALU_DEP_3)
	v_add_co_ci_u32_e64 v7, null, 0, v7, vcc_lo
	v_bfe_u32 v37, v30, 16, 8
	v_add_co_u32 v5, vcc_lo, v5, v44
	s_wait_alu 0xfffd
	s_delay_alu instid0(VALU_DEP_3) | instskip(SKIP_1) | instid1(VALU_DEP_3)
	v_add_co_ci_u32_e64 v7, null, 0, v7, vcc_lo
	v_lshrrev_b32_e32 v35, 24, v30
	v_add_co_u32 v5, vcc_lo, v5, v43
	s_wait_alu 0xfffd
	s_delay_alu instid0(VALU_DEP_3) | instskip(SKIP_1) | instid1(VALU_DEP_3)
	v_add_co_ci_u32_e64 v7, null, 0, v7, vcc_lo
	v_and_b32_e32 v34, 0xff, v28
	v_add_co_u32 v5, vcc_lo, v5, v41
	s_wait_alu 0xfffd
	s_delay_alu instid0(VALU_DEP_3) | instskip(SKIP_1) | instid1(VALU_DEP_3)
	v_add_co_ci_u32_e64 v7, null, 0, v7, vcc_lo
	v_bfe_u32 v33, v28, 8, 8
	v_add_co_u32 v5, vcc_lo, v5, v40
	s_wait_alu 0xfffd
	s_delay_alu instid0(VALU_DEP_3) | instskip(SKIP_1) | instid1(VALU_DEP_3)
	v_add_co_ci_u32_e64 v7, null, 0, v7, vcc_lo
	v_bfe_u32 v32, v28, 16, 8
	v_add_co_u32 v5, vcc_lo, v5, v39
	s_wait_alu 0xfffd
	s_delay_alu instid0(VALU_DEP_3) | instskip(SKIP_1) | instid1(VALU_DEP_3)
	v_add_co_ci_u32_e64 v7, null, 0, v7, vcc_lo
	v_lshrrev_b32_e32 v31, 24, v28
	v_add_co_u32 v5, vcc_lo, v5, v38
	s_wait_alu 0xfffd
	s_delay_alu instid0(VALU_DEP_3) | instskip(SKIP_1) | instid1(VALU_DEP_3)
	v_add_co_ci_u32_e64 v7, null, 0, v7, vcc_lo
	v_mbcnt_lo_u32_b32 v49, -1, 0
	v_add_co_u32 v5, vcc_lo, v5, v37
	s_wait_alu 0xfffd
	s_delay_alu instid0(VALU_DEP_3) | instskip(SKIP_1) | instid1(VALU_DEP_3)
	v_add_co_ci_u32_e64 v7, null, 0, v7, vcc_lo
	v_and_b32_e32 v29, 0xff, v27
	v_add_co_u32 v5, vcc_lo, v5, v35
	s_wait_alu 0xfffd
	s_delay_alu instid0(VALU_DEP_3) | instskip(SKIP_1) | instid1(VALU_DEP_3)
	v_add_co_ci_u32_e64 v7, null, 0, v7, vcc_lo
	v_and_b32_e32 v50, 15, v49
	v_add_co_u32 v5, vcc_lo, v5, v34
	s_wait_alu 0xfffd
	s_delay_alu instid0(VALU_DEP_3) | instskip(NEXT) | instid1(VALU_DEP_3)
	v_add_co_ci_u32_e64 v7, null, 0, v7, vcc_lo
	v_cmp_ne_u32_e64 s0, 0, v50
	s_delay_alu instid0(VALU_DEP_3) | instskip(SKIP_1) | instid1(VALU_DEP_3)
	v_add_co_u32 v5, vcc_lo, v5, v33
	s_wait_alu 0xfffd
	v_add_co_ci_u32_e64 v7, null, 0, v7, vcc_lo
	s_cmp_lg_u32 ttmp9, 0
	v_add_co_u32 v5, vcc_lo, v5, v32
	s_wait_alu 0xfffd
	v_add_co_ci_u32_e64 v7, null, 0, v7, vcc_lo
	s_mov_b32 s1, -1
	v_add_co_u32 v5, vcc_lo, v5, v31
	s_wait_alu 0xfffd
	v_add_co_ci_u32_e64 v7, null, 0, v7, vcc_lo
	s_delay_alu instid0(VALU_DEP_2) | instskip(SKIP_1) | instid1(VALU_DEP_2)
	v_add_co_u32 v16, vcc_lo, v5, v29
	s_wait_alu 0xfffd
	v_add_co_ci_u32_e64 v17, null, 0, v7, vcc_lo
	s_cbranch_scc0 .LBB1794_103
; %bb.45:
	v_mov_b32_e32 v7, v16
	v_mov_b32_dpp v5, v16 row_shr:1 row_mask:0xf bank_mask:0xf
	v_mov_b32_dpp v10, v6 row_shr:1 row_mask:0xf bank_mask:0xf
	v_dual_mov_b32 v9, v16 :: v_dual_mov_b32 v8, v17
	s_and_saveexec_b32 s1, s0
; %bb.46:
	s_delay_alu instid0(VALU_DEP_3) | instskip(SKIP_2) | instid1(VALU_DEP_2)
	v_add_co_u32 v9, vcc_lo, v16, v5
	s_wait_alu 0xfffd
	v_add_co_ci_u32_e64 v6, null, 0, v17, vcc_lo
	v_add_co_u32 v5, vcc_lo, 0, v9
	s_wait_alu 0xfffd
	s_delay_alu instid0(VALU_DEP_2) | instskip(NEXT) | instid1(VALU_DEP_1)
	v_add_co_ci_u32_e64 v6, null, v10, v6, vcc_lo
	v_dual_mov_b32 v8, v6 :: v_dual_mov_b32 v7, v5
; %bb.47:
	s_wait_alu 0xfffe
	s_or_b32 exec_lo, exec_lo, s1
	v_mov_b32_dpp v5, v9 row_shr:2 row_mask:0xf bank_mask:0xf
	v_mov_b32_dpp v10, v6 row_shr:2 row_mask:0xf bank_mask:0xf
	v_cmp_lt_u32_e32 vcc_lo, 1, v50
	s_and_saveexec_b32 s2, vcc_lo
; %bb.48:
	s_delay_alu instid0(VALU_DEP_3) | instskip(SKIP_2) | instid1(VALU_DEP_2)
	v_add_co_u32 v9, s1, v7, v5
	s_wait_alu 0xf1ff
	v_add_co_ci_u32_e64 v6, null, 0, v8, s1
	v_add_co_u32 v5, s1, 0, v9
	s_wait_alu 0xf1ff
	s_delay_alu instid0(VALU_DEP_2) | instskip(NEXT) | instid1(VALU_DEP_1)
	v_add_co_ci_u32_e64 v6, null, v10, v6, s1
	v_dual_mov_b32 v8, v6 :: v_dual_mov_b32 v7, v5
; %bb.49:
	s_wait_alu 0xfffe
	s_or_b32 exec_lo, exec_lo, s2
	v_mov_b32_dpp v5, v9 row_shr:4 row_mask:0xf bank_mask:0xf
	v_mov_b32_dpp v10, v6 row_shr:4 row_mask:0xf bank_mask:0xf
	v_cmp_lt_u32_e64 s1, 3, v50
	s_and_saveexec_b32 s3, s1
; %bb.50:
	v_add_co_u32 v9, s2, v7, v5
	s_wait_alu 0xf1ff
	v_add_co_ci_u32_e64 v6, null, 0, v8, s2
	s_delay_alu instid0(VALU_DEP_2) | instskip(SKIP_1) | instid1(VALU_DEP_2)
	v_add_co_u32 v5, s2, 0, v9
	s_wait_alu 0xf1ff
	v_add_co_ci_u32_e64 v6, null, v10, v6, s2
	s_delay_alu instid0(VALU_DEP_1)
	v_dual_mov_b32 v8, v6 :: v_dual_mov_b32 v7, v5
; %bb.51:
	s_wait_alu 0xfffe
	s_or_b32 exec_lo, exec_lo, s3
	v_mov_b32_dpp v10, v9 row_shr:8 row_mask:0xf bank_mask:0xf
	v_mov_b32_dpp v5, v6 row_shr:8 row_mask:0xf bank_mask:0xf
	v_cmp_lt_u32_e64 s2, 7, v50
	s_and_saveexec_b32 s6, s2
; %bb.52:
	v_add_co_u32 v9, s3, v7, v10
	s_wait_alu 0xf1ff
	v_add_co_ci_u32_e64 v6, null, 0, v8, s3
	s_delay_alu instid0(VALU_DEP_2) | instskip(SKIP_1) | instid1(VALU_DEP_2)
	v_add_co_u32 v7, s3, 0, v9
	s_wait_alu 0xf1ff
	v_add_co_ci_u32_e64 v8, null, v5, v6, s3
	s_delay_alu instid0(VALU_DEP_1)
	v_mov_b32_e32 v6, v8
; %bb.53:
	s_wait_alu 0xfffe
	s_or_b32 exec_lo, exec_lo, s6
	ds_swizzle_b32 v10, v9 offset:swizzle(BROADCAST,32,15)
	ds_swizzle_b32 v5, v6 offset:swizzle(BROADCAST,32,15)
	v_and_b32_e32 v6, 16, v49
	s_mov_b32 s6, exec_lo
	s_delay_alu instid0(VALU_DEP_1)
	v_cmpx_ne_u32_e32 0, v6
	s_cbranch_execz .LBB1794_55
; %bb.54:
	s_wait_dscnt 0x1
	v_add_co_u32 v9, s3, v7, v10
	s_wait_alu 0xf1ff
	v_add_co_ci_u32_e64 v6, null, 0, v8, s3
	s_delay_alu instid0(VALU_DEP_2) | instskip(SKIP_2) | instid1(VALU_DEP_2)
	v_add_co_u32 v7, s3, 0, v9
	s_wait_dscnt 0x0
	s_wait_alu 0xf1ff
	v_add_co_ci_u32_e64 v8, null, v5, v6, s3
.LBB1794_55:
	s_wait_alu 0xfffe
	s_or_b32 exec_lo, exec_lo, s6
	s_wait_dscnt 0x0
	v_and_b32_e32 v5, 0x1e0, v0
	v_lshrrev_b32_e32 v10, 5, v0
	s_mov_b32 s6, exec_lo
	s_delay_alu instid0(VALU_DEP_2) | instskip(NEXT) | instid1(VALU_DEP_1)
	v_min_u32_e32 v5, 0x160, v5
	v_or_b32_e32 v5, 31, v5
	s_delay_alu instid0(VALU_DEP_1)
	v_cmpx_eq_u32_e64 v0, v5
; %bb.56:
	v_lshlrev_b32_e32 v5, 3, v10
	ds_store_b64 v5, v[7:8]
; %bb.57:
	s_wait_alu 0xfffe
	s_or_b32 exec_lo, exec_lo, s6
	s_delay_alu instid0(SALU_CYCLE_1)
	s_mov_b32 s6, exec_lo
	s_wait_loadcnt_dscnt 0x0
	s_barrier_signal -1
	s_barrier_wait -1
	global_inv scope:SCOPE_SE
	v_cmpx_gt_u32_e32 12, v0
	s_cbranch_execz .LBB1794_67
; %bb.58:
	v_lshlrev_b32_e32 v7, 3, v0
	ds_load_b64 v[5:6], v7
	s_wait_dscnt 0x0
	v_mov_b32_dpp v12, v5 row_shr:1 row_mask:0xf bank_mask:0xf
	v_mov_b32_dpp v11, v6 row_shr:1 row_mask:0xf bank_mask:0xf
	v_mov_b32_e32 v8, v5
	s_and_saveexec_b32 s7, s0
; %bb.59:
	s_delay_alu instid0(VALU_DEP_3) | instskip(SKIP_2) | instid1(VALU_DEP_2)
	v_add_co_u32 v8, s3, v5, v12
	s_wait_alu 0xf1ff
	v_add_co_ci_u32_e64 v6, null, 0, v6, s3
	v_add_co_u32 v5, s3, 0, v8
	s_wait_alu 0xf1ff
	s_delay_alu instid0(VALU_DEP_2)
	v_add_co_ci_u32_e64 v6, null, v11, v6, s3
; %bb.60:
	s_wait_alu 0xfffe
	s_or_b32 exec_lo, exec_lo, s7
	v_mov_b32_dpp v12, v8 row_shr:2 row_mask:0xf bank_mask:0xf
	s_delay_alu instid0(VALU_DEP_2)
	v_mov_b32_dpp v11, v6 row_shr:2 row_mask:0xf bank_mask:0xf
	s_and_saveexec_b32 s3, vcc_lo
; %bb.61:
	s_delay_alu instid0(VALU_DEP_2) | instskip(SKIP_2) | instid1(VALU_DEP_2)
	v_add_co_u32 v8, vcc_lo, v5, v12
	s_wait_alu 0xfffd
	v_add_co_ci_u32_e64 v6, null, 0, v6, vcc_lo
	v_add_co_u32 v5, vcc_lo, 0, v8
	s_wait_alu 0xfffd
	s_delay_alu instid0(VALU_DEP_2)
	v_add_co_ci_u32_e64 v6, null, v11, v6, vcc_lo
; %bb.62:
	s_wait_alu 0xfffe
	s_or_b32 exec_lo, exec_lo, s3
	v_mov_b32_dpp v12, v8 row_shr:4 row_mask:0xf bank_mask:0xf
	s_delay_alu instid0(VALU_DEP_2)
	v_mov_b32_dpp v11, v6 row_shr:4 row_mask:0xf bank_mask:0xf
	s_and_saveexec_b32 s3, s1
; %bb.63:
	s_delay_alu instid0(VALU_DEP_2) | instskip(SKIP_2) | instid1(VALU_DEP_2)
	v_add_co_u32 v8, vcc_lo, v5, v12
	s_wait_alu 0xfffd
	v_add_co_ci_u32_e64 v6, null, 0, v6, vcc_lo
	v_add_co_u32 v5, vcc_lo, 0, v8
	s_wait_alu 0xfffd
	s_delay_alu instid0(VALU_DEP_2)
	v_add_co_ci_u32_e64 v6, null, v11, v6, vcc_lo
; %bb.64:
	s_wait_alu 0xfffe
	s_or_b32 exec_lo, exec_lo, s3
	v_mov_b32_dpp v11, v8 row_shr:8 row_mask:0xf bank_mask:0xf
	s_delay_alu instid0(VALU_DEP_2)
	v_mov_b32_dpp v8, v6 row_shr:8 row_mask:0xf bank_mask:0xf
	s_and_saveexec_b32 s1, s2
; %bb.65:
	s_delay_alu instid0(VALU_DEP_2) | instskip(SKIP_2) | instid1(VALU_DEP_2)
	v_add_co_u32 v5, vcc_lo, v5, v11
	s_wait_alu 0xfffd
	v_add_co_ci_u32_e64 v6, null, 0, v6, vcc_lo
	v_add_co_u32 v5, vcc_lo, v5, 0
	s_wait_alu 0xfffd
	s_delay_alu instid0(VALU_DEP_2)
	v_add_co_ci_u32_e64 v6, null, v6, v8, vcc_lo
; %bb.66:
	s_wait_alu 0xfffe
	s_or_b32 exec_lo, exec_lo, s1
	ds_store_b64 v7, v[5:6]
.LBB1794_67:
	s_wait_alu 0xfffe
	s_or_b32 exec_lo, exec_lo, s6
	s_delay_alu instid0(SALU_CYCLE_1)
	s_mov_b32 s2, exec_lo
	v_cmp_gt_u32_e32 vcc_lo, 32, v0
	s_wait_loadcnt_dscnt 0x0
	s_barrier_signal -1
	s_barrier_wait -1
	global_inv scope:SCOPE_SE
                                        ; implicit-def: $vgpr18_vgpr19
	v_cmpx_lt_u32_e32 31, v0
	s_cbranch_execz .LBB1794_69
; %bb.68:
	v_lshl_add_u32 v5, v10, 3, -8
	ds_load_b64 v[18:19], v5
	s_wait_dscnt 0x0
	v_add_nc_u32_e32 v9, v9, v18
.LBB1794_69:
	s_wait_alu 0xfffe
	s_or_b32 exec_lo, exec_lo, s2
	v_sub_co_u32 v5, s1, v49, 1
	s_delay_alu instid0(VALU_DEP_1) | instskip(SKIP_1) | instid1(VALU_DEP_1)
	v_cmp_gt_i32_e64 s2, 0, v5
	s_wait_alu 0xf1ff
	v_cndmask_b32_e64 v5, v5, v49, s2
	s_delay_alu instid0(VALU_DEP_1)
	v_lshlrev_b32_e32 v5, 2, v5
	ds_bpermute_b32 v51, v5, v9
	s_and_saveexec_b32 s2, vcc_lo
	s_cbranch_execz .LBB1794_108
; %bb.70:
	v_mov_b32_e32 v8, 0
	ds_load_b64 v[5:6], v8 offset:88
	s_and_saveexec_b32 s3, s1
	s_cbranch_execz .LBB1794_72
; %bb.71:
	s_add_co_i32 s6, ttmp9, 32
	s_mov_b32 s7, 0
	s_wait_alu 0xfffe
	s_lshl_b64 s[6:7], s[6:7], 4
	s_wait_kmcnt 0x0
	s_wait_alu 0xfffe
	s_add_nc_u64 s[6:7], s[4:5], s[6:7]
	s_wait_alu 0xfffe
	v_dual_mov_b32 v7, 1 :: v_dual_mov_b32 v10, s7
	v_mov_b32_e32 v9, s6
	s_wait_dscnt 0x0
	;;#ASMSTART
	global_store_b128 v[9:10], v[5:8] off scope:SCOPE_DEV	
s_wait_storecnt 0x0
	;;#ASMEND
.LBB1794_72:
	s_wait_alu 0xfffe
	s_or_b32 exec_lo, exec_lo, s3
	v_xad_u32 v20, v49, -1, ttmp9
	s_mov_b32 s6, 0
	s_mov_b32 s3, exec_lo
	s_delay_alu instid0(VALU_DEP_1) | instskip(NEXT) | instid1(VALU_DEP_1)
	v_add_nc_u32_e32 v7, 32, v20
	v_lshlrev_b64_e32 v[7:8], 4, v[7:8]
	s_wait_kmcnt 0x0
	s_delay_alu instid0(VALU_DEP_1) | instskip(SKIP_1) | instid1(VALU_DEP_2)
	v_add_co_u32 v7, vcc_lo, s4, v7
	s_wait_alu 0xfffd
	v_add_co_ci_u32_e64 v8, null, s5, v8, vcc_lo
	;;#ASMSTART
	global_load_b128 v[9:12], v[7:8] off scope:SCOPE_DEV	
s_wait_loadcnt 0x0
	;;#ASMEND
	v_and_b32_e32 v12, 0xff, v11
	s_delay_alu instid0(VALU_DEP_1)
	v_cmpx_eq_u16_e32 0, v12
	s_cbranch_execz .LBB1794_75
.LBB1794_73:                            ; =>This Inner Loop Header: Depth=1
	;;#ASMSTART
	global_load_b128 v[9:12], v[7:8] off scope:SCOPE_DEV	
s_wait_loadcnt 0x0
	;;#ASMEND
	v_and_b32_e32 v12, 0xff, v11
	s_delay_alu instid0(VALU_DEP_1)
	v_cmp_ne_u16_e32 vcc_lo, 0, v12
	s_wait_alu 0xfffe
	s_or_b32 s6, vcc_lo, s6
	s_wait_alu 0xfffe
	s_and_not1_b32 exec_lo, exec_lo, s6
	s_cbranch_execnz .LBB1794_73
; %bb.74:
	s_or_b32 exec_lo, exec_lo, s6
.LBB1794_75:
	s_wait_alu 0xfffe
	s_or_b32 exec_lo, exec_lo, s3
	v_cmp_ne_u32_e32 vcc_lo, 31, v49
	v_and_b32_e32 v8, 0xff, v11
	v_lshlrev_b32_e64 v53, v49, -1
	s_mov_b32 s3, exec_lo
	s_wait_alu 0xfffd
	v_add_co_ci_u32_e64 v7, null, 0, v49, vcc_lo
	v_cmp_eq_u16_e32 vcc_lo, 2, v8
	v_mov_b32_e32 v8, v9
	s_delay_alu instid0(VALU_DEP_3)
	v_lshlrev_b32_e32 v52, 2, v7
	s_wait_alu 0xfffd
	v_and_or_b32 v7, vcc_lo, v53, 0x80000000
	ds_bpermute_b32 v21, v52, v9
	ds_bpermute_b32 v12, v52, v10
	v_ctz_i32_b32_e32 v7, v7
	s_delay_alu instid0(VALU_DEP_1)
	v_cmpx_lt_u32_e64 v49, v7
	s_cbranch_execz .LBB1794_77
; %bb.76:
	s_wait_dscnt 0x1
	v_add_co_u32 v8, vcc_lo, v9, v21
	s_wait_alu 0xfffd
	v_add_co_ci_u32_e64 v10, null, 0, v10, vcc_lo
	s_delay_alu instid0(VALU_DEP_2) | instskip(SKIP_2) | instid1(VALU_DEP_2)
	v_add_co_u32 v9, vcc_lo, 0, v8
	s_wait_dscnt 0x0
	s_wait_alu 0xfffd
	v_add_co_ci_u32_e64 v10, null, v12, v10, vcc_lo
.LBB1794_77:
	s_wait_alu 0xfffe
	s_or_b32 exec_lo, exec_lo, s3
	v_cmp_gt_u32_e32 vcc_lo, 30, v49
	v_add_nc_u32_e32 v55, 2, v49
	s_mov_b32 s3, exec_lo
	s_wait_dscnt 0x0
	s_wait_alu 0xfffd
	v_cndmask_b32_e64 v12, 0, 2, vcc_lo
	s_delay_alu instid0(VALU_DEP_1)
	v_add_lshl_u32 v54, v12, v49, 2
	ds_bpermute_b32 v21, v54, v8
	ds_bpermute_b32 v12, v54, v10
	v_cmpx_le_u32_e64 v55, v7
	s_cbranch_execz .LBB1794_79
; %bb.78:
	s_wait_dscnt 0x1
	v_add_co_u32 v8, vcc_lo, v9, v21
	s_wait_alu 0xfffd
	v_add_co_ci_u32_e64 v10, null, 0, v10, vcc_lo
	s_delay_alu instid0(VALU_DEP_2) | instskip(SKIP_2) | instid1(VALU_DEP_2)
	v_add_co_u32 v9, vcc_lo, 0, v8
	s_wait_dscnt 0x0
	s_wait_alu 0xfffd
	v_add_co_ci_u32_e64 v10, null, v12, v10, vcc_lo
.LBB1794_79:
	s_wait_alu 0xfffe
	s_or_b32 exec_lo, exec_lo, s3
	v_cmp_gt_u32_e32 vcc_lo, 28, v49
	v_add_nc_u32_e32 v57, 4, v49
	s_mov_b32 s3, exec_lo
	s_wait_dscnt 0x0
	s_wait_alu 0xfffd
	v_cndmask_b32_e64 v12, 0, 4, vcc_lo
	s_delay_alu instid0(VALU_DEP_1)
	v_add_lshl_u32 v56, v12, v49, 2
	ds_bpermute_b32 v21, v56, v8
	ds_bpermute_b32 v12, v56, v10
	v_cmpx_le_u32_e64 v57, v7
	;; [unrolled: 25-line block ×3, first 2 shown]
	s_cbranch_execz .LBB1794_83
; %bb.82:
	s_wait_dscnt 0x1
	v_add_co_u32 v8, vcc_lo, v9, v21
	s_wait_alu 0xfffd
	v_add_co_ci_u32_e64 v10, null, 0, v10, vcc_lo
	s_delay_alu instid0(VALU_DEP_2) | instskip(SKIP_2) | instid1(VALU_DEP_2)
	v_add_co_u32 v9, vcc_lo, 0, v8
	s_wait_dscnt 0x0
	s_wait_alu 0xfffd
	v_add_co_ci_u32_e64 v10, null, v12, v10, vcc_lo
.LBB1794_83:
	s_wait_alu 0xfffe
	s_or_b32 exec_lo, exec_lo, s3
	v_lshl_or_b32 v60, v49, 2, 64
	v_add_nc_u32_e32 v61, 16, v49
	s_mov_b32 s3, exec_lo
	s_wait_dscnt 0x0
	ds_bpermute_b32 v12, v60, v8
	ds_bpermute_b32 v8, v60, v10
	v_cmpx_le_u32_e64 v61, v7
	s_cbranch_execz .LBB1794_85
; %bb.84:
	s_wait_dscnt 0x1
	v_add_co_u32 v7, vcc_lo, v9, v12
	s_wait_alu 0xfffd
	v_add_co_ci_u32_e64 v10, null, 0, v10, vcc_lo
	s_delay_alu instid0(VALU_DEP_2) | instskip(SKIP_2) | instid1(VALU_DEP_2)
	v_add_co_u32 v9, vcc_lo, v7, 0
	s_wait_dscnt 0x0
	s_wait_alu 0xfffd
	v_add_co_ci_u32_e64 v10, null, v10, v8, vcc_lo
.LBB1794_85:
	s_wait_alu 0xfffe
	s_or_b32 exec_lo, exec_lo, s3
	v_mov_b32_e32 v21, 0
	s_branch .LBB1794_88
.LBB1794_86:                            ;   in Loop: Header=BB1794_88 Depth=1
	s_wait_alu 0xfffe
	s_or_b32 exec_lo, exec_lo, s3
	v_add_co_u32 v9, vcc_lo, v9, v7
	v_subrev_nc_u32_e32 v20, 32, v20
	s_wait_alu 0xfffd
	v_add_co_ci_u32_e64 v10, null, v10, v8, vcc_lo
	s_mov_b32 s3, 0
.LBB1794_87:                            ;   in Loop: Header=BB1794_88 Depth=1
	s_wait_alu 0xfffe
	s_and_b32 vcc_lo, exec_lo, s3
	s_wait_alu 0xfffe
	s_cbranch_vccnz .LBB1794_104
.LBB1794_88:                            ; =>This Loop Header: Depth=1
                                        ;     Child Loop BB1794_91 Depth 2
	v_and_b32_e32 v7, 0xff, v11
	s_mov_b32 s3, -1
	s_delay_alu instid0(VALU_DEP_1)
	v_cmp_ne_u16_e32 vcc_lo, 2, v7
	s_wait_dscnt 0x0
	v_dual_mov_b32 v7, v9 :: v_dual_mov_b32 v8, v10
                                        ; implicit-def: $vgpr9_vgpr10
	s_cmp_lg_u32 vcc_lo, exec_lo
	s_cbranch_scc1 .LBB1794_87
; %bb.89:                               ;   in Loop: Header=BB1794_88 Depth=1
	v_lshlrev_b64_e32 v[9:10], 4, v[20:21]
	s_mov_b32 s3, exec_lo
	s_delay_alu instid0(VALU_DEP_1) | instskip(SKIP_1) | instid1(VALU_DEP_2)
	v_add_co_u32 v22, vcc_lo, s4, v9
	s_wait_alu 0xfffd
	v_add_co_ci_u32_e64 v23, null, s5, v10, vcc_lo
	;;#ASMSTART
	global_load_b128 v[9:12], v[22:23] off scope:SCOPE_DEV	
s_wait_loadcnt 0x0
	;;#ASMEND
	v_and_b32_e32 v12, 0xff, v11
	s_delay_alu instid0(VALU_DEP_1)
	v_cmpx_eq_u16_e32 0, v12
	s_cbranch_execz .LBB1794_93
; %bb.90:                               ;   in Loop: Header=BB1794_88 Depth=1
	s_mov_b32 s6, 0
.LBB1794_91:                            ;   Parent Loop BB1794_88 Depth=1
                                        ; =>  This Inner Loop Header: Depth=2
	;;#ASMSTART
	global_load_b128 v[9:12], v[22:23] off scope:SCOPE_DEV	
s_wait_loadcnt 0x0
	;;#ASMEND
	v_and_b32_e32 v12, 0xff, v11
	s_delay_alu instid0(VALU_DEP_1)
	v_cmp_ne_u16_e32 vcc_lo, 0, v12
	s_wait_alu 0xfffe
	s_or_b32 s6, vcc_lo, s6
	s_wait_alu 0xfffe
	s_and_not1_b32 exec_lo, exec_lo, s6
	s_cbranch_execnz .LBB1794_91
; %bb.92:                               ;   in Loop: Header=BB1794_88 Depth=1
	s_or_b32 exec_lo, exec_lo, s6
.LBB1794_93:                            ;   in Loop: Header=BB1794_88 Depth=1
	s_wait_alu 0xfffe
	s_or_b32 exec_lo, exec_lo, s3
	v_and_b32_e32 v12, 0xff, v11
	ds_bpermute_b32 v62, v52, v9
	ds_bpermute_b32 v23, v52, v10
	v_mov_b32_e32 v22, v9
	s_mov_b32 s3, exec_lo
	v_cmp_eq_u16_e32 vcc_lo, 2, v12
	s_wait_alu 0xfffd
	v_and_or_b32 v12, vcc_lo, v53, 0x80000000
	s_delay_alu instid0(VALU_DEP_1) | instskip(NEXT) | instid1(VALU_DEP_1)
	v_ctz_i32_b32_e32 v12, v12
	v_cmpx_lt_u32_e64 v49, v12
	s_cbranch_execz .LBB1794_95
; %bb.94:                               ;   in Loop: Header=BB1794_88 Depth=1
	s_wait_dscnt 0x1
	v_add_co_u32 v22, vcc_lo, v9, v62
	s_wait_alu 0xfffd
	v_add_co_ci_u32_e64 v10, null, 0, v10, vcc_lo
	s_delay_alu instid0(VALU_DEP_2) | instskip(SKIP_2) | instid1(VALU_DEP_2)
	v_add_co_u32 v9, vcc_lo, 0, v22
	s_wait_dscnt 0x0
	s_wait_alu 0xfffd
	v_add_co_ci_u32_e64 v10, null, v23, v10, vcc_lo
.LBB1794_95:                            ;   in Loop: Header=BB1794_88 Depth=1
	s_wait_alu 0xfffe
	s_or_b32 exec_lo, exec_lo, s3
	s_wait_dscnt 0x1
	ds_bpermute_b32 v62, v54, v22
	s_wait_dscnt 0x1
	ds_bpermute_b32 v23, v54, v10
	s_mov_b32 s3, exec_lo
	v_cmpx_le_u32_e64 v55, v12
	s_cbranch_execz .LBB1794_97
; %bb.96:                               ;   in Loop: Header=BB1794_88 Depth=1
	s_wait_dscnt 0x1
	v_add_co_u32 v22, vcc_lo, v9, v62
	s_wait_alu 0xfffd
	v_add_co_ci_u32_e64 v10, null, 0, v10, vcc_lo
	s_delay_alu instid0(VALU_DEP_2) | instskip(SKIP_2) | instid1(VALU_DEP_2)
	v_add_co_u32 v9, vcc_lo, 0, v22
	s_wait_dscnt 0x0
	s_wait_alu 0xfffd
	v_add_co_ci_u32_e64 v10, null, v23, v10, vcc_lo
.LBB1794_97:                            ;   in Loop: Header=BB1794_88 Depth=1
	s_wait_alu 0xfffe
	s_or_b32 exec_lo, exec_lo, s3
	s_wait_dscnt 0x1
	ds_bpermute_b32 v62, v56, v22
	s_wait_dscnt 0x1
	ds_bpermute_b32 v23, v56, v10
	s_mov_b32 s3, exec_lo
	v_cmpx_le_u32_e64 v57, v12
	s_cbranch_execz .LBB1794_99
; %bb.98:                               ;   in Loop: Header=BB1794_88 Depth=1
	s_wait_dscnt 0x1
	v_add_co_u32 v22, vcc_lo, v9, v62
	s_wait_alu 0xfffd
	v_add_co_ci_u32_e64 v10, null, 0, v10, vcc_lo
	s_delay_alu instid0(VALU_DEP_2) | instskip(SKIP_2) | instid1(VALU_DEP_2)
	v_add_co_u32 v9, vcc_lo, 0, v22
	s_wait_dscnt 0x0
	s_wait_alu 0xfffd
	v_add_co_ci_u32_e64 v10, null, v23, v10, vcc_lo
.LBB1794_99:                            ;   in Loop: Header=BB1794_88 Depth=1
	s_wait_alu 0xfffe
	s_or_b32 exec_lo, exec_lo, s3
	s_wait_dscnt 0x1
	ds_bpermute_b32 v62, v58, v22
	s_wait_dscnt 0x1
	ds_bpermute_b32 v23, v58, v10
	s_mov_b32 s3, exec_lo
	v_cmpx_le_u32_e64 v59, v12
	s_cbranch_execz .LBB1794_101
; %bb.100:                              ;   in Loop: Header=BB1794_88 Depth=1
	s_wait_dscnt 0x1
	v_add_co_u32 v22, vcc_lo, v9, v62
	s_wait_alu 0xfffd
	v_add_co_ci_u32_e64 v10, null, 0, v10, vcc_lo
	s_delay_alu instid0(VALU_DEP_2) | instskip(SKIP_2) | instid1(VALU_DEP_2)
	v_add_co_u32 v9, vcc_lo, 0, v22
	s_wait_dscnt 0x0
	s_wait_alu 0xfffd
	v_add_co_ci_u32_e64 v10, null, v23, v10, vcc_lo
.LBB1794_101:                           ;   in Loop: Header=BB1794_88 Depth=1
	s_wait_alu 0xfffe
	s_or_b32 exec_lo, exec_lo, s3
	s_wait_dscnt 0x0
	ds_bpermute_b32 v23, v60, v22
	ds_bpermute_b32 v22, v60, v10
	s_mov_b32 s3, exec_lo
	v_cmpx_le_u32_e64 v61, v12
	s_cbranch_execz .LBB1794_86
; %bb.102:                              ;   in Loop: Header=BB1794_88 Depth=1
	s_wait_dscnt 0x1
	v_add_co_u32 v9, vcc_lo, v9, v23
	s_wait_alu 0xfffd
	v_add_co_ci_u32_e64 v10, null, 0, v10, vcc_lo
	s_delay_alu instid0(VALU_DEP_2) | instskip(SKIP_2) | instid1(VALU_DEP_2)
	v_add_co_u32 v9, vcc_lo, v9, 0
	s_wait_dscnt 0x0
	s_wait_alu 0xfffd
	v_add_co_ci_u32_e64 v10, null, v10, v22, vcc_lo
	s_branch .LBB1794_86
.LBB1794_103:
                                        ; implicit-def: $vgpr7_vgpr8
                                        ; implicit-def: $vgpr9_vgpr10
	s_wait_alu 0xfffe
	s_and_b32 vcc_lo, exec_lo, s1
	s_wait_alu 0xfffe
	s_cbranch_vccnz .LBB1794_109
	s_branch .LBB1794_136
.LBB1794_104:
	s_and_saveexec_b32 s3, s1
	s_cbranch_execz .LBB1794_106
; %bb.105:
	s_add_co_i32 s6, ttmp9, 32
	s_mov_b32 s7, 0
	v_add_co_u32 v9, vcc_lo, v7, v5
	s_wait_alu 0xfffe
	s_lshl_b64 s[6:7], s[6:7], 4
	v_dual_mov_b32 v11, 2 :: v_dual_mov_b32 v12, 0
	s_wait_alu 0xfffe
	s_add_nc_u64 s[6:7], s[4:5], s[6:7]
	s_wait_alu 0xfffd
	v_add_co_ci_u32_e64 v10, null, v8, v6, vcc_lo
	s_wait_alu 0xfffe
	v_dual_mov_b32 v21, s7 :: v_dual_mov_b32 v20, s6
	;;#ASMSTART
	global_store_b128 v[20:21], v[9:12] off scope:SCOPE_DEV	
s_wait_storecnt 0x0
	;;#ASMEND
	ds_store_b128 v12, v[5:8] offset:13824
.LBB1794_106:
	s_wait_alu 0xfffe
	s_or_b32 exec_lo, exec_lo, s3
	v_cmp_eq_u32_e32 vcc_lo, 0, v0
	s_and_b32 exec_lo, exec_lo, vcc_lo
; %bb.107:
	v_mov_b32_e32 v5, 0
	ds_store_b64 v5, v[7:8] offset:88
.LBB1794_108:
	s_wait_alu 0xfffe
	s_or_b32 exec_lo, exec_lo, s2
	v_cndmask_b32_e64 v12, 0, v19, s1
	v_cmp_ne_u32_e32 vcc_lo, 0, v0
	v_mov_b32_e32 v5, 0
	s_wait_loadcnt_dscnt 0x0
	s_barrier_signal -1
	s_barrier_wait -1
	global_inv scope:SCOPE_SE
	s_wait_alu 0xfffd
	v_cndmask_b32_e32 v12, 0, v12, vcc_lo
	ds_load_b64 v[9:10], v5 offset:88
	s_wait_loadcnt_dscnt 0x0
	s_barrier_signal -1
	s_barrier_wait -1
	global_inv scope:SCOPE_SE
	ds_load_b128 v[5:8], v5 offset:13824
	v_cndmask_b32_e64 v11, v51, v18, s1
	s_delay_alu instid0(VALU_DEP_1) | instskip(NEXT) | instid1(VALU_DEP_1)
	v_cndmask_b32_e32 v11, 0, v11, vcc_lo
	v_add_co_u32 v9, vcc_lo, v9, v11
	s_wait_alu 0xfffd
	v_add_co_ci_u32_e64 v10, null, v10, v12, vcc_lo
	s_branch .LBB1794_136
.LBB1794_109:
	s_wait_dscnt 0x0
	v_dual_mov_b32 v6, 0 :: v_dual_mov_b32 v7, v16
	v_mov_b32_dpp v8, v16 row_shr:1 row_mask:0xf bank_mask:0xf
	s_delay_alu instid0(VALU_DEP_2)
	v_mov_b32_dpp v5, v6 row_shr:1 row_mask:0xf bank_mask:0xf
	s_and_saveexec_b32 s1, s0
; %bb.110:
	s_delay_alu instid0(VALU_DEP_2) | instskip(SKIP_2) | instid1(VALU_DEP_2)
	v_add_co_u32 v7, vcc_lo, v16, v8
	s_wait_alu 0xfffd
	v_add_co_ci_u32_e64 v6, null, 0, v17, vcc_lo
	v_add_co_u32 v16, vcc_lo, 0, v7
	s_wait_alu 0xfffd
	s_delay_alu instid0(VALU_DEP_2) | instskip(NEXT) | instid1(VALU_DEP_1)
	v_add_co_ci_u32_e64 v17, null, v5, v6, vcc_lo
	v_mov_b32_e32 v6, v17
; %bb.111:
	s_wait_alu 0xfffe
	s_or_b32 exec_lo, exec_lo, s1
	v_mov_b32_dpp v5, v7 row_shr:2 row_mask:0xf bank_mask:0xf
	s_delay_alu instid0(VALU_DEP_2)
	v_mov_b32_dpp v8, v6 row_shr:2 row_mask:0xf bank_mask:0xf
	v_cmp_lt_u32_e32 vcc_lo, 1, v50
	s_and_saveexec_b32 s2, vcc_lo
; %bb.112:
	s_delay_alu instid0(VALU_DEP_3) | instskip(SKIP_2) | instid1(VALU_DEP_2)
	v_add_co_u32 v7, s1, v16, v5
	s_wait_alu 0xf1ff
	v_add_co_ci_u32_e64 v6, null, 0, v17, s1
	v_add_co_u32 v5, s1, 0, v7
	s_wait_alu 0xf1ff
	s_delay_alu instid0(VALU_DEP_2) | instskip(NEXT) | instid1(VALU_DEP_1)
	v_add_co_ci_u32_e64 v6, null, v8, v6, s1
	v_dual_mov_b32 v17, v6 :: v_dual_mov_b32 v16, v5
; %bb.113:
	s_wait_alu 0xfffe
	s_or_b32 exec_lo, exec_lo, s2
	v_mov_b32_dpp v5, v7 row_shr:4 row_mask:0xf bank_mask:0xf
	v_mov_b32_dpp v8, v6 row_shr:4 row_mask:0xf bank_mask:0xf
	v_cmp_lt_u32_e64 s1, 3, v50
	s_and_saveexec_b32 s3, s1
; %bb.114:
	v_add_co_u32 v7, s2, v16, v5
	s_wait_alu 0xf1ff
	v_add_co_ci_u32_e64 v6, null, 0, v17, s2
	s_delay_alu instid0(VALU_DEP_2) | instskip(SKIP_1) | instid1(VALU_DEP_2)
	v_add_co_u32 v5, s2, 0, v7
	s_wait_alu 0xf1ff
	v_add_co_ci_u32_e64 v6, null, v8, v6, s2
	s_delay_alu instid0(VALU_DEP_1)
	v_dual_mov_b32 v17, v6 :: v_dual_mov_b32 v16, v5
; %bb.115:
	s_wait_alu 0xfffe
	s_or_b32 exec_lo, exec_lo, s3
	v_mov_b32_dpp v8, v7 row_shr:8 row_mask:0xf bank_mask:0xf
	v_mov_b32_dpp v5, v6 row_shr:8 row_mask:0xf bank_mask:0xf
	v_cmp_lt_u32_e64 s2, 7, v50
	s_and_saveexec_b32 s6, s2
; %bb.116:
	v_add_co_u32 v7, s3, v16, v8
	s_wait_alu 0xf1ff
	v_add_co_ci_u32_e64 v6, null, 0, v17, s3
	s_delay_alu instid0(VALU_DEP_2) | instskip(SKIP_1) | instid1(VALU_DEP_2)
	v_add_co_u32 v16, s3, 0, v7
	s_wait_alu 0xf1ff
	v_add_co_ci_u32_e64 v17, null, v5, v6, s3
	s_delay_alu instid0(VALU_DEP_1)
	v_mov_b32_e32 v6, v17
; %bb.117:
	s_wait_alu 0xfffe
	s_or_b32 exec_lo, exec_lo, s6
	ds_swizzle_b32 v7, v7 offset:swizzle(BROADCAST,32,15)
	ds_swizzle_b32 v5, v6 offset:swizzle(BROADCAST,32,15)
	v_and_b32_e32 v6, 16, v49
	s_mov_b32 s6, exec_lo
	s_delay_alu instid0(VALU_DEP_1)
	v_cmpx_ne_u32_e32 0, v6
	s_cbranch_execz .LBB1794_119
; %bb.118:
	s_wait_dscnt 0x1
	v_add_co_u32 v6, s3, v16, v7
	s_wait_alu 0xf1ff
	v_add_co_ci_u32_e64 v7, null, 0, v17, s3
	s_delay_alu instid0(VALU_DEP_2) | instskip(SKIP_2) | instid1(VALU_DEP_2)
	v_add_co_u32 v16, s3, v6, 0
	s_wait_dscnt 0x0
	s_wait_alu 0xf1ff
	v_add_co_ci_u32_e64 v17, null, v7, v5, s3
.LBB1794_119:
	s_wait_alu 0xfffe
	s_or_b32 exec_lo, exec_lo, s6
	s_wait_dscnt 0x0
	v_and_b32_e32 v5, 0x1e0, v0
	v_lshrrev_b32_e32 v7, 5, v0
	s_mov_b32 s6, exec_lo
	s_delay_alu instid0(VALU_DEP_2) | instskip(NEXT) | instid1(VALU_DEP_1)
	v_min_u32_e32 v5, 0x160, v5
	v_or_b32_e32 v5, 31, v5
	s_delay_alu instid0(VALU_DEP_1)
	v_cmpx_eq_u32_e64 v0, v5
; %bb.120:
	v_lshlrev_b32_e32 v5, 3, v7
	ds_store_b64 v5, v[16:17]
; %bb.121:
	s_wait_alu 0xfffe
	s_or_b32 exec_lo, exec_lo, s6
	s_delay_alu instid0(SALU_CYCLE_1)
	s_mov_b32 s6, exec_lo
	s_wait_loadcnt_dscnt 0x0
	s_barrier_signal -1
	s_barrier_wait -1
	global_inv scope:SCOPE_SE
	v_cmpx_gt_u32_e32 12, v0
	s_cbranch_execz .LBB1794_131
; %bb.122:
	v_lshlrev_b32_e32 v8, 3, v0
	ds_load_b64 v[5:6], v8
	s_wait_dscnt 0x0
	v_mov_b32_dpp v11, v5 row_shr:1 row_mask:0xf bank_mask:0xf
	v_mov_b32_dpp v10, v6 row_shr:1 row_mask:0xf bank_mask:0xf
	v_mov_b32_e32 v9, v5
	s_and_saveexec_b32 s3, s0
; %bb.123:
	s_delay_alu instid0(VALU_DEP_3) | instskip(SKIP_2) | instid1(VALU_DEP_2)
	v_add_co_u32 v9, s0, v5, v11
	s_wait_alu 0xf1ff
	v_add_co_ci_u32_e64 v6, null, 0, v6, s0
	v_add_co_u32 v5, s0, 0, v9
	s_wait_alu 0xf1ff
	s_delay_alu instid0(VALU_DEP_2)
	v_add_co_ci_u32_e64 v6, null, v10, v6, s0
; %bb.124:
	s_wait_alu 0xfffe
	s_or_b32 exec_lo, exec_lo, s3
	v_mov_b32_dpp v11, v9 row_shr:2 row_mask:0xf bank_mask:0xf
	s_delay_alu instid0(VALU_DEP_2)
	v_mov_b32_dpp v10, v6 row_shr:2 row_mask:0xf bank_mask:0xf
	s_and_saveexec_b32 s0, vcc_lo
; %bb.125:
	s_delay_alu instid0(VALU_DEP_2) | instskip(SKIP_2) | instid1(VALU_DEP_2)
	v_add_co_u32 v9, vcc_lo, v5, v11
	s_wait_alu 0xfffd
	v_add_co_ci_u32_e64 v6, null, 0, v6, vcc_lo
	v_add_co_u32 v5, vcc_lo, 0, v9
	s_wait_alu 0xfffd
	s_delay_alu instid0(VALU_DEP_2)
	v_add_co_ci_u32_e64 v6, null, v10, v6, vcc_lo
; %bb.126:
	s_wait_alu 0xfffe
	s_or_b32 exec_lo, exec_lo, s0
	v_mov_b32_dpp v11, v9 row_shr:4 row_mask:0xf bank_mask:0xf
	s_delay_alu instid0(VALU_DEP_2)
	v_mov_b32_dpp v10, v6 row_shr:4 row_mask:0xf bank_mask:0xf
	s_and_saveexec_b32 s0, s1
; %bb.127:
	s_delay_alu instid0(VALU_DEP_2) | instskip(SKIP_2) | instid1(VALU_DEP_2)
	v_add_co_u32 v9, vcc_lo, v5, v11
	s_wait_alu 0xfffd
	v_add_co_ci_u32_e64 v6, null, 0, v6, vcc_lo
	v_add_co_u32 v5, vcc_lo, 0, v9
	s_wait_alu 0xfffd
	s_delay_alu instid0(VALU_DEP_2)
	v_add_co_ci_u32_e64 v6, null, v10, v6, vcc_lo
; %bb.128:
	s_wait_alu 0xfffe
	s_or_b32 exec_lo, exec_lo, s0
	v_mov_b32_dpp v10, v9 row_shr:8 row_mask:0xf bank_mask:0xf
	s_delay_alu instid0(VALU_DEP_2)
	v_mov_b32_dpp v9, v6 row_shr:8 row_mask:0xf bank_mask:0xf
	s_and_saveexec_b32 s0, s2
; %bb.129:
	s_delay_alu instid0(VALU_DEP_2) | instskip(SKIP_2) | instid1(VALU_DEP_2)
	v_add_co_u32 v5, vcc_lo, v5, v10
	s_wait_alu 0xfffd
	v_add_co_ci_u32_e64 v6, null, 0, v6, vcc_lo
	v_add_co_u32 v5, vcc_lo, v5, 0
	s_wait_alu 0xfffd
	s_delay_alu instid0(VALU_DEP_2)
	v_add_co_ci_u32_e64 v6, null, v6, v9, vcc_lo
; %bb.130:
	s_wait_alu 0xfffe
	s_or_b32 exec_lo, exec_lo, s0
	ds_store_b64 v8, v[5:6]
.LBB1794_131:
	s_wait_alu 0xfffe
	s_or_b32 exec_lo, exec_lo, s6
	s_delay_alu instid0(SALU_CYCLE_1)
	s_mov_b32 s0, exec_lo
	v_mov_b32_e32 v9, 0
	v_mov_b32_e32 v10, 0
	s_wait_loadcnt_dscnt 0x0
	s_barrier_signal -1
	s_barrier_wait -1
	global_inv scope:SCOPE_SE
	v_cmpx_lt_u32_e32 31, v0
; %bb.132:
	v_lshl_add_u32 v5, v7, 3, -8
	ds_load_b64 v[9:10], v5
; %bb.133:
	s_wait_alu 0xfffe
	s_or_b32 exec_lo, exec_lo, s0
	v_sub_co_u32 v5, vcc_lo, v49, 1
	s_wait_dscnt 0x0
	v_add_nc_u32_e32 v6, v9, v16
	v_mov_b32_e32 v8, 0
	s_delay_alu instid0(VALU_DEP_3) | instskip(SKIP_1) | instid1(VALU_DEP_1)
	v_cmp_gt_i32_e64 s0, 0, v5
	s_wait_alu 0xf1ff
	v_cndmask_b32_e64 v5, v5, v49, s0
	v_cmp_eq_u32_e64 s0, 0, v0
	s_delay_alu instid0(VALU_DEP_2)
	v_lshlrev_b32_e32 v5, 2, v5
	ds_bpermute_b32 v10, v5, v6
	ds_load_b64 v[5:6], v8 offset:88
	s_and_saveexec_b32 s1, s0
	s_cbranch_execz .LBB1794_135
; %bb.134:
	s_wait_kmcnt 0x0
	s_add_nc_u64 s[2:3], s[4:5], 0x200
	s_wait_alu 0xfffe
	v_dual_mov_b32 v7, 2 :: v_dual_mov_b32 v12, s3
	v_mov_b32_e32 v11, s2
	s_wait_dscnt 0x0
	;;#ASMSTART
	global_store_b128 v[11:12], v[5:8] off scope:SCOPE_DEV	
s_wait_storecnt 0x0
	;;#ASMEND
.LBB1794_135:
	s_wait_alu 0xfffe
	s_or_b32 exec_lo, exec_lo, s1
	s_wait_dscnt 0x1
	s_wait_alu 0xfffd
	v_cndmask_b32_e32 v9, v10, v9, vcc_lo
	v_mov_b32_e32 v7, 0
	v_mov_b32_e32 v8, 0
	s_wait_loadcnt_dscnt 0x0
	s_barrier_signal -1
	v_cndmask_b32_e64 v9, v9, 0, s0
	s_barrier_wait -1
	global_inv scope:SCOPE_SE
.LBB1794_136:
	s_wait_dscnt 0x0
	v_cmp_gt_u64_e32 vcc_lo, 0x181, v[5:6]
	v_lshrrev_b32_e32 v17, 16, v36
	v_lshrrev_b32_e32 v18, 8, v36
	;; [unrolled: 1-line block ×8, first 2 shown]
	s_cbranch_vccz .LBB1794_139
; %bb.137:
	v_cmp_eq_u32_e32 vcc_lo, 0, v0
	s_and_b32 s0, vcc_lo, s24
	s_wait_alu 0xfffe
	s_and_saveexec_b32 s1, s0
	s_cbranch_execnz .LBB1794_176
.LBB1794_138:
	s_endpgm
.LBB1794_139:
	v_and_b32_e32 v21, 1, v42
	s_mov_b32 s0, exec_lo
	s_delay_alu instid0(VALU_DEP_1)
	v_cmpx_eq_u32_e32 1, v21
; %bb.140:
	v_sub_nc_u32_e32 v21, v9, v7
	s_delay_alu instid0(VALU_DEP_1)
	v_lshlrev_b32_e32 v21, 1, v21
	ds_store_b16 v21, v26
; %bb.141:
	s_wait_alu 0xfffe
	s_or_b32 exec_lo, exec_lo, s0
	v_and_b32_e32 v20, 1, v20
	v_add_co_u32 v9, null, v9, v47
	s_mov_b32 s0, exec_lo
	v_cmpx_eq_u32_e32 1, v20
; %bb.142:
	v_sub_nc_u32_e32 v20, v9, v7
	s_delay_alu instid0(VALU_DEP_1)
	v_lshlrev_b32_e32 v20, 1, v20
	ds_store_b16_d16_hi v20, v26
; %bb.143:
	s_wait_alu 0xfffe
	s_or_b32 exec_lo, exec_lo, s0
	v_and_b32_e32 v19, 1, v19
	v_add_co_u32 v9, null, v9, v45
	s_mov_b32 s0, exec_lo
	v_cmpx_eq_u32_e32 1, v19
; %bb.144:
	v_sub_nc_u32_e32 v19, v9, v7
	s_delay_alu instid0(VALU_DEP_1)
	v_lshlrev_b32_e32 v19, 1, v19
	ds_store_b16 v19, v25
; %bb.145:
	s_wait_alu 0xfffe
	s_or_b32 exec_lo, exec_lo, s0
	v_and_b32_e32 v19, 1, v46
	v_add_co_u32 v9, null, v9, v48
	s_mov_b32 s0, exec_lo
	v_cmpx_eq_u32_e32 1, v19
; %bb.146:
	v_sub_nc_u32_e32 v19, v9, v7
	s_delay_alu instid0(VALU_DEP_1)
	v_lshlrev_b32_e32 v19, 1, v19
	ds_store_b16 v19, v1
; %bb.147:
	s_wait_alu 0xfffe
	s_or_b32 exec_lo, exec_lo, s0
	v_and_b32_e32 v19, 1, v36
	v_add_co_u32 v9, null, v9, v46
	s_mov_b32 s0, exec_lo
	v_cmpx_eq_u32_e32 1, v19
; %bb.148:
	v_sub_nc_u32_e32 v19, v9, v7
	s_delay_alu instid0(VALU_DEP_1)
	v_lshlrev_b32_e32 v19, 1, v19
	ds_store_b16_d16_hi v19, v1
; %bb.149:
	s_wait_alu 0xfffe
	s_or_b32 exec_lo, exec_lo, s0
	v_and_b32_e32 v18, 1, v18
	v_add_co_u32 v1, null, v9, v44
	s_mov_b32 s0, exec_lo
	v_cmpx_eq_u32_e32 1, v18
; %bb.150:
	v_sub_nc_u32_e32 v9, v1, v7
	s_delay_alu instid0(VALU_DEP_1)
	v_lshlrev_b32_e32 v9, 1, v9
	ds_store_b16 v9, v2
; %bb.151:
	s_wait_alu 0xfffe
	s_or_b32 exec_lo, exec_lo, s0
	v_and_b32_e32 v9, 1, v17
	v_add_co_u32 v1, null, v1, v43
	s_mov_b32 s0, exec_lo
	v_cmpx_eq_u32_e32 1, v9
; %bb.152:
	v_sub_nc_u32_e32 v9, v1, v7
	s_delay_alu instid0(VALU_DEP_1)
	v_lshlrev_b32_e32 v9, 1, v9
	ds_store_b16_d16_hi v9, v2
	;; [unrolled: 24-line block ×7, first 2 shown]
; %bb.173:
	s_wait_alu 0xfffe
	s_or_b32 exec_lo, exec_lo, s0
	s_and_saveexec_b32 s0, s25
; %bb.174:
	v_sub_nc_u32_e32 v2, v29, v7
	s_delay_alu instid0(VALU_DEP_1)
	v_add_lshl_u32 v1, v2, v1, 1
	ds_store_b16 v1, v24
; %bb.175:
	s_wait_alu 0xfffe
	s_or_b32 exec_lo, exec_lo, s0
	s_wait_loadcnt_dscnt 0x0
	s_barrier_signal -1
	s_barrier_wait -1
	global_inv scope:SCOPE_SE
	v_cmp_eq_u32_e32 vcc_lo, 0, v0
	s_and_b32 s0, vcc_lo, s24
	s_wait_alu 0xfffe
	s_and_saveexec_b32 s1, s0
	s_cbranch_execz .LBB1794_138
.LBB1794_176:
	s_wait_kmcnt 0x0
	v_add_co_u32 v0, vcc_lo, v5, s22
	s_wait_alu 0xfffd
	v_add_co_ci_u32_e64 v1, null, s23, v6, vcc_lo
	v_mov_b32_e32 v2, 0
	s_delay_alu instid0(VALU_DEP_3) | instskip(SKIP_1) | instid1(VALU_DEP_3)
	v_add_co_u32 v0, vcc_lo, v0, v7
	s_wait_alu 0xfffd
	v_add_co_ci_u32_e64 v1, null, v1, v8, vcc_lo
	global_store_b64 v2, v[0:1], s[20:21]
	s_endpgm
	.section	.rodata,"a",@progbits
	.p2align	6, 0x0
	.amdhsa_kernel _ZN7rocprim17ROCPRIM_400000_NS6detail17trampoline_kernelINS0_14default_configENS1_25partition_config_selectorILNS1_17partition_subalgoE6EsNS0_10empty_typeEbEEZZNS1_14partition_implILS5_6ELb0ES3_mN6thrust23THRUST_200600_302600_NS6detail15normal_iteratorINSA_10device_ptrIsEEEEPS6_SG_NS0_5tupleIJNSA_16discard_iteratorINSA_11use_defaultEEES6_EEENSH_IJSG_SG_EEES6_PlJNSB_9not_fun_tINSB_14equal_to_valueIsEEEEEEE10hipError_tPvRmT3_T4_T5_T6_T7_T9_mT8_P12ihipStream_tbDpT10_ENKUlT_T0_E_clISt17integral_constantIbLb0EES1B_EEDaS16_S17_EUlS16_E_NS1_11comp_targetILNS1_3genE10ELNS1_11target_archE1200ELNS1_3gpuE4ELNS1_3repE0EEENS1_30default_config_static_selectorELNS0_4arch9wavefront6targetE0EEEvT1_
		.amdhsa_group_segment_fixed_size 13840
		.amdhsa_private_segment_fixed_size 0
		.amdhsa_kernarg_size 120
		.amdhsa_user_sgpr_count 2
		.amdhsa_user_sgpr_dispatch_ptr 0
		.amdhsa_user_sgpr_queue_ptr 0
		.amdhsa_user_sgpr_kernarg_segment_ptr 1
		.amdhsa_user_sgpr_dispatch_id 0
		.amdhsa_user_sgpr_private_segment_size 0
		.amdhsa_wavefront_size32 1
		.amdhsa_uses_dynamic_stack 0
		.amdhsa_enable_private_segment 0
		.amdhsa_system_sgpr_workgroup_id_x 1
		.amdhsa_system_sgpr_workgroup_id_y 0
		.amdhsa_system_sgpr_workgroup_id_z 0
		.amdhsa_system_sgpr_workgroup_info 0
		.amdhsa_system_vgpr_workitem_id 0
		.amdhsa_next_free_vgpr 63
		.amdhsa_next_free_sgpr 27
		.amdhsa_reserve_vcc 1
		.amdhsa_float_round_mode_32 0
		.amdhsa_float_round_mode_16_64 0
		.amdhsa_float_denorm_mode_32 3
		.amdhsa_float_denorm_mode_16_64 3
		.amdhsa_fp16_overflow 0
		.amdhsa_workgroup_processor_mode 1
		.amdhsa_memory_ordered 1
		.amdhsa_forward_progress 1
		.amdhsa_inst_pref_size 74
		.amdhsa_round_robin_scheduling 0
		.amdhsa_exception_fp_ieee_invalid_op 0
		.amdhsa_exception_fp_denorm_src 0
		.amdhsa_exception_fp_ieee_div_zero 0
		.amdhsa_exception_fp_ieee_overflow 0
		.amdhsa_exception_fp_ieee_underflow 0
		.amdhsa_exception_fp_ieee_inexact 0
		.amdhsa_exception_int_div_zero 0
	.end_amdhsa_kernel
	.section	.text._ZN7rocprim17ROCPRIM_400000_NS6detail17trampoline_kernelINS0_14default_configENS1_25partition_config_selectorILNS1_17partition_subalgoE6EsNS0_10empty_typeEbEEZZNS1_14partition_implILS5_6ELb0ES3_mN6thrust23THRUST_200600_302600_NS6detail15normal_iteratorINSA_10device_ptrIsEEEEPS6_SG_NS0_5tupleIJNSA_16discard_iteratorINSA_11use_defaultEEES6_EEENSH_IJSG_SG_EEES6_PlJNSB_9not_fun_tINSB_14equal_to_valueIsEEEEEEE10hipError_tPvRmT3_T4_T5_T6_T7_T9_mT8_P12ihipStream_tbDpT10_ENKUlT_T0_E_clISt17integral_constantIbLb0EES1B_EEDaS16_S17_EUlS16_E_NS1_11comp_targetILNS1_3genE10ELNS1_11target_archE1200ELNS1_3gpuE4ELNS1_3repE0EEENS1_30default_config_static_selectorELNS0_4arch9wavefront6targetE0EEEvT1_,"axG",@progbits,_ZN7rocprim17ROCPRIM_400000_NS6detail17trampoline_kernelINS0_14default_configENS1_25partition_config_selectorILNS1_17partition_subalgoE6EsNS0_10empty_typeEbEEZZNS1_14partition_implILS5_6ELb0ES3_mN6thrust23THRUST_200600_302600_NS6detail15normal_iteratorINSA_10device_ptrIsEEEEPS6_SG_NS0_5tupleIJNSA_16discard_iteratorINSA_11use_defaultEEES6_EEENSH_IJSG_SG_EEES6_PlJNSB_9not_fun_tINSB_14equal_to_valueIsEEEEEEE10hipError_tPvRmT3_T4_T5_T6_T7_T9_mT8_P12ihipStream_tbDpT10_ENKUlT_T0_E_clISt17integral_constantIbLb0EES1B_EEDaS16_S17_EUlS16_E_NS1_11comp_targetILNS1_3genE10ELNS1_11target_archE1200ELNS1_3gpuE4ELNS1_3repE0EEENS1_30default_config_static_selectorELNS0_4arch9wavefront6targetE0EEEvT1_,comdat
.Lfunc_end1794:
	.size	_ZN7rocprim17ROCPRIM_400000_NS6detail17trampoline_kernelINS0_14default_configENS1_25partition_config_selectorILNS1_17partition_subalgoE6EsNS0_10empty_typeEbEEZZNS1_14partition_implILS5_6ELb0ES3_mN6thrust23THRUST_200600_302600_NS6detail15normal_iteratorINSA_10device_ptrIsEEEEPS6_SG_NS0_5tupleIJNSA_16discard_iteratorINSA_11use_defaultEEES6_EEENSH_IJSG_SG_EEES6_PlJNSB_9not_fun_tINSB_14equal_to_valueIsEEEEEEE10hipError_tPvRmT3_T4_T5_T6_T7_T9_mT8_P12ihipStream_tbDpT10_ENKUlT_T0_E_clISt17integral_constantIbLb0EES1B_EEDaS16_S17_EUlS16_E_NS1_11comp_targetILNS1_3genE10ELNS1_11target_archE1200ELNS1_3gpuE4ELNS1_3repE0EEENS1_30default_config_static_selectorELNS0_4arch9wavefront6targetE0EEEvT1_, .Lfunc_end1794-_ZN7rocprim17ROCPRIM_400000_NS6detail17trampoline_kernelINS0_14default_configENS1_25partition_config_selectorILNS1_17partition_subalgoE6EsNS0_10empty_typeEbEEZZNS1_14partition_implILS5_6ELb0ES3_mN6thrust23THRUST_200600_302600_NS6detail15normal_iteratorINSA_10device_ptrIsEEEEPS6_SG_NS0_5tupleIJNSA_16discard_iteratorINSA_11use_defaultEEES6_EEENSH_IJSG_SG_EEES6_PlJNSB_9not_fun_tINSB_14equal_to_valueIsEEEEEEE10hipError_tPvRmT3_T4_T5_T6_T7_T9_mT8_P12ihipStream_tbDpT10_ENKUlT_T0_E_clISt17integral_constantIbLb0EES1B_EEDaS16_S17_EUlS16_E_NS1_11comp_targetILNS1_3genE10ELNS1_11target_archE1200ELNS1_3gpuE4ELNS1_3repE0EEENS1_30default_config_static_selectorELNS0_4arch9wavefront6targetE0EEEvT1_
                                        ; -- End function
	.set _ZN7rocprim17ROCPRIM_400000_NS6detail17trampoline_kernelINS0_14default_configENS1_25partition_config_selectorILNS1_17partition_subalgoE6EsNS0_10empty_typeEbEEZZNS1_14partition_implILS5_6ELb0ES3_mN6thrust23THRUST_200600_302600_NS6detail15normal_iteratorINSA_10device_ptrIsEEEEPS6_SG_NS0_5tupleIJNSA_16discard_iteratorINSA_11use_defaultEEES6_EEENSH_IJSG_SG_EEES6_PlJNSB_9not_fun_tINSB_14equal_to_valueIsEEEEEEE10hipError_tPvRmT3_T4_T5_T6_T7_T9_mT8_P12ihipStream_tbDpT10_ENKUlT_T0_E_clISt17integral_constantIbLb0EES1B_EEDaS16_S17_EUlS16_E_NS1_11comp_targetILNS1_3genE10ELNS1_11target_archE1200ELNS1_3gpuE4ELNS1_3repE0EEENS1_30default_config_static_selectorELNS0_4arch9wavefront6targetE0EEEvT1_.num_vgpr, 63
	.set _ZN7rocprim17ROCPRIM_400000_NS6detail17trampoline_kernelINS0_14default_configENS1_25partition_config_selectorILNS1_17partition_subalgoE6EsNS0_10empty_typeEbEEZZNS1_14partition_implILS5_6ELb0ES3_mN6thrust23THRUST_200600_302600_NS6detail15normal_iteratorINSA_10device_ptrIsEEEEPS6_SG_NS0_5tupleIJNSA_16discard_iteratorINSA_11use_defaultEEES6_EEENSH_IJSG_SG_EEES6_PlJNSB_9not_fun_tINSB_14equal_to_valueIsEEEEEEE10hipError_tPvRmT3_T4_T5_T6_T7_T9_mT8_P12ihipStream_tbDpT10_ENKUlT_T0_E_clISt17integral_constantIbLb0EES1B_EEDaS16_S17_EUlS16_E_NS1_11comp_targetILNS1_3genE10ELNS1_11target_archE1200ELNS1_3gpuE4ELNS1_3repE0EEENS1_30default_config_static_selectorELNS0_4arch9wavefront6targetE0EEEvT1_.num_agpr, 0
	.set _ZN7rocprim17ROCPRIM_400000_NS6detail17trampoline_kernelINS0_14default_configENS1_25partition_config_selectorILNS1_17partition_subalgoE6EsNS0_10empty_typeEbEEZZNS1_14partition_implILS5_6ELb0ES3_mN6thrust23THRUST_200600_302600_NS6detail15normal_iteratorINSA_10device_ptrIsEEEEPS6_SG_NS0_5tupleIJNSA_16discard_iteratorINSA_11use_defaultEEES6_EEENSH_IJSG_SG_EEES6_PlJNSB_9not_fun_tINSB_14equal_to_valueIsEEEEEEE10hipError_tPvRmT3_T4_T5_T6_T7_T9_mT8_P12ihipStream_tbDpT10_ENKUlT_T0_E_clISt17integral_constantIbLb0EES1B_EEDaS16_S17_EUlS16_E_NS1_11comp_targetILNS1_3genE10ELNS1_11target_archE1200ELNS1_3gpuE4ELNS1_3repE0EEENS1_30default_config_static_selectorELNS0_4arch9wavefront6targetE0EEEvT1_.numbered_sgpr, 27
	.set _ZN7rocprim17ROCPRIM_400000_NS6detail17trampoline_kernelINS0_14default_configENS1_25partition_config_selectorILNS1_17partition_subalgoE6EsNS0_10empty_typeEbEEZZNS1_14partition_implILS5_6ELb0ES3_mN6thrust23THRUST_200600_302600_NS6detail15normal_iteratorINSA_10device_ptrIsEEEEPS6_SG_NS0_5tupleIJNSA_16discard_iteratorINSA_11use_defaultEEES6_EEENSH_IJSG_SG_EEES6_PlJNSB_9not_fun_tINSB_14equal_to_valueIsEEEEEEE10hipError_tPvRmT3_T4_T5_T6_T7_T9_mT8_P12ihipStream_tbDpT10_ENKUlT_T0_E_clISt17integral_constantIbLb0EES1B_EEDaS16_S17_EUlS16_E_NS1_11comp_targetILNS1_3genE10ELNS1_11target_archE1200ELNS1_3gpuE4ELNS1_3repE0EEENS1_30default_config_static_selectorELNS0_4arch9wavefront6targetE0EEEvT1_.num_named_barrier, 0
	.set _ZN7rocprim17ROCPRIM_400000_NS6detail17trampoline_kernelINS0_14default_configENS1_25partition_config_selectorILNS1_17partition_subalgoE6EsNS0_10empty_typeEbEEZZNS1_14partition_implILS5_6ELb0ES3_mN6thrust23THRUST_200600_302600_NS6detail15normal_iteratorINSA_10device_ptrIsEEEEPS6_SG_NS0_5tupleIJNSA_16discard_iteratorINSA_11use_defaultEEES6_EEENSH_IJSG_SG_EEES6_PlJNSB_9not_fun_tINSB_14equal_to_valueIsEEEEEEE10hipError_tPvRmT3_T4_T5_T6_T7_T9_mT8_P12ihipStream_tbDpT10_ENKUlT_T0_E_clISt17integral_constantIbLb0EES1B_EEDaS16_S17_EUlS16_E_NS1_11comp_targetILNS1_3genE10ELNS1_11target_archE1200ELNS1_3gpuE4ELNS1_3repE0EEENS1_30default_config_static_selectorELNS0_4arch9wavefront6targetE0EEEvT1_.private_seg_size, 0
	.set _ZN7rocprim17ROCPRIM_400000_NS6detail17trampoline_kernelINS0_14default_configENS1_25partition_config_selectorILNS1_17partition_subalgoE6EsNS0_10empty_typeEbEEZZNS1_14partition_implILS5_6ELb0ES3_mN6thrust23THRUST_200600_302600_NS6detail15normal_iteratorINSA_10device_ptrIsEEEEPS6_SG_NS0_5tupleIJNSA_16discard_iteratorINSA_11use_defaultEEES6_EEENSH_IJSG_SG_EEES6_PlJNSB_9not_fun_tINSB_14equal_to_valueIsEEEEEEE10hipError_tPvRmT3_T4_T5_T6_T7_T9_mT8_P12ihipStream_tbDpT10_ENKUlT_T0_E_clISt17integral_constantIbLb0EES1B_EEDaS16_S17_EUlS16_E_NS1_11comp_targetILNS1_3genE10ELNS1_11target_archE1200ELNS1_3gpuE4ELNS1_3repE0EEENS1_30default_config_static_selectorELNS0_4arch9wavefront6targetE0EEEvT1_.uses_vcc, 1
	.set _ZN7rocprim17ROCPRIM_400000_NS6detail17trampoline_kernelINS0_14default_configENS1_25partition_config_selectorILNS1_17partition_subalgoE6EsNS0_10empty_typeEbEEZZNS1_14partition_implILS5_6ELb0ES3_mN6thrust23THRUST_200600_302600_NS6detail15normal_iteratorINSA_10device_ptrIsEEEEPS6_SG_NS0_5tupleIJNSA_16discard_iteratorINSA_11use_defaultEEES6_EEENSH_IJSG_SG_EEES6_PlJNSB_9not_fun_tINSB_14equal_to_valueIsEEEEEEE10hipError_tPvRmT3_T4_T5_T6_T7_T9_mT8_P12ihipStream_tbDpT10_ENKUlT_T0_E_clISt17integral_constantIbLb0EES1B_EEDaS16_S17_EUlS16_E_NS1_11comp_targetILNS1_3genE10ELNS1_11target_archE1200ELNS1_3gpuE4ELNS1_3repE0EEENS1_30default_config_static_selectorELNS0_4arch9wavefront6targetE0EEEvT1_.uses_flat_scratch, 1
	.set _ZN7rocprim17ROCPRIM_400000_NS6detail17trampoline_kernelINS0_14default_configENS1_25partition_config_selectorILNS1_17partition_subalgoE6EsNS0_10empty_typeEbEEZZNS1_14partition_implILS5_6ELb0ES3_mN6thrust23THRUST_200600_302600_NS6detail15normal_iteratorINSA_10device_ptrIsEEEEPS6_SG_NS0_5tupleIJNSA_16discard_iteratorINSA_11use_defaultEEES6_EEENSH_IJSG_SG_EEES6_PlJNSB_9not_fun_tINSB_14equal_to_valueIsEEEEEEE10hipError_tPvRmT3_T4_T5_T6_T7_T9_mT8_P12ihipStream_tbDpT10_ENKUlT_T0_E_clISt17integral_constantIbLb0EES1B_EEDaS16_S17_EUlS16_E_NS1_11comp_targetILNS1_3genE10ELNS1_11target_archE1200ELNS1_3gpuE4ELNS1_3repE0EEENS1_30default_config_static_selectorELNS0_4arch9wavefront6targetE0EEEvT1_.has_dyn_sized_stack, 0
	.set _ZN7rocprim17ROCPRIM_400000_NS6detail17trampoline_kernelINS0_14default_configENS1_25partition_config_selectorILNS1_17partition_subalgoE6EsNS0_10empty_typeEbEEZZNS1_14partition_implILS5_6ELb0ES3_mN6thrust23THRUST_200600_302600_NS6detail15normal_iteratorINSA_10device_ptrIsEEEEPS6_SG_NS0_5tupleIJNSA_16discard_iteratorINSA_11use_defaultEEES6_EEENSH_IJSG_SG_EEES6_PlJNSB_9not_fun_tINSB_14equal_to_valueIsEEEEEEE10hipError_tPvRmT3_T4_T5_T6_T7_T9_mT8_P12ihipStream_tbDpT10_ENKUlT_T0_E_clISt17integral_constantIbLb0EES1B_EEDaS16_S17_EUlS16_E_NS1_11comp_targetILNS1_3genE10ELNS1_11target_archE1200ELNS1_3gpuE4ELNS1_3repE0EEENS1_30default_config_static_selectorELNS0_4arch9wavefront6targetE0EEEvT1_.has_recursion, 0
	.set _ZN7rocprim17ROCPRIM_400000_NS6detail17trampoline_kernelINS0_14default_configENS1_25partition_config_selectorILNS1_17partition_subalgoE6EsNS0_10empty_typeEbEEZZNS1_14partition_implILS5_6ELb0ES3_mN6thrust23THRUST_200600_302600_NS6detail15normal_iteratorINSA_10device_ptrIsEEEEPS6_SG_NS0_5tupleIJNSA_16discard_iteratorINSA_11use_defaultEEES6_EEENSH_IJSG_SG_EEES6_PlJNSB_9not_fun_tINSB_14equal_to_valueIsEEEEEEE10hipError_tPvRmT3_T4_T5_T6_T7_T9_mT8_P12ihipStream_tbDpT10_ENKUlT_T0_E_clISt17integral_constantIbLb0EES1B_EEDaS16_S17_EUlS16_E_NS1_11comp_targetILNS1_3genE10ELNS1_11target_archE1200ELNS1_3gpuE4ELNS1_3repE0EEENS1_30default_config_static_selectorELNS0_4arch9wavefront6targetE0EEEvT1_.has_indirect_call, 0
	.section	.AMDGPU.csdata,"",@progbits
; Kernel info:
; codeLenInByte = 9368
; TotalNumSgprs: 29
; NumVgprs: 63
; ScratchSize: 0
; MemoryBound: 0
; FloatMode: 240
; IeeeMode: 1
; LDSByteSize: 13840 bytes/workgroup (compile time only)
; SGPRBlocks: 0
; VGPRBlocks: 7
; NumSGPRsForWavesPerEU: 29
; NumVGPRsForWavesPerEU: 63
; Occupancy: 15
; WaveLimiterHint : 1
; COMPUTE_PGM_RSRC2:SCRATCH_EN: 0
; COMPUTE_PGM_RSRC2:USER_SGPR: 2
; COMPUTE_PGM_RSRC2:TRAP_HANDLER: 0
; COMPUTE_PGM_RSRC2:TGID_X_EN: 1
; COMPUTE_PGM_RSRC2:TGID_Y_EN: 0
; COMPUTE_PGM_RSRC2:TGID_Z_EN: 0
; COMPUTE_PGM_RSRC2:TIDIG_COMP_CNT: 0
	.section	.text._ZN7rocprim17ROCPRIM_400000_NS6detail17trampoline_kernelINS0_14default_configENS1_25partition_config_selectorILNS1_17partition_subalgoE6EsNS0_10empty_typeEbEEZZNS1_14partition_implILS5_6ELb0ES3_mN6thrust23THRUST_200600_302600_NS6detail15normal_iteratorINSA_10device_ptrIsEEEEPS6_SG_NS0_5tupleIJNSA_16discard_iteratorINSA_11use_defaultEEES6_EEENSH_IJSG_SG_EEES6_PlJNSB_9not_fun_tINSB_14equal_to_valueIsEEEEEEE10hipError_tPvRmT3_T4_T5_T6_T7_T9_mT8_P12ihipStream_tbDpT10_ENKUlT_T0_E_clISt17integral_constantIbLb0EES1B_EEDaS16_S17_EUlS16_E_NS1_11comp_targetILNS1_3genE9ELNS1_11target_archE1100ELNS1_3gpuE3ELNS1_3repE0EEENS1_30default_config_static_selectorELNS0_4arch9wavefront6targetE0EEEvT1_,"axG",@progbits,_ZN7rocprim17ROCPRIM_400000_NS6detail17trampoline_kernelINS0_14default_configENS1_25partition_config_selectorILNS1_17partition_subalgoE6EsNS0_10empty_typeEbEEZZNS1_14partition_implILS5_6ELb0ES3_mN6thrust23THRUST_200600_302600_NS6detail15normal_iteratorINSA_10device_ptrIsEEEEPS6_SG_NS0_5tupleIJNSA_16discard_iteratorINSA_11use_defaultEEES6_EEENSH_IJSG_SG_EEES6_PlJNSB_9not_fun_tINSB_14equal_to_valueIsEEEEEEE10hipError_tPvRmT3_T4_T5_T6_T7_T9_mT8_P12ihipStream_tbDpT10_ENKUlT_T0_E_clISt17integral_constantIbLb0EES1B_EEDaS16_S17_EUlS16_E_NS1_11comp_targetILNS1_3genE9ELNS1_11target_archE1100ELNS1_3gpuE3ELNS1_3repE0EEENS1_30default_config_static_selectorELNS0_4arch9wavefront6targetE0EEEvT1_,comdat
	.protected	_ZN7rocprim17ROCPRIM_400000_NS6detail17trampoline_kernelINS0_14default_configENS1_25partition_config_selectorILNS1_17partition_subalgoE6EsNS0_10empty_typeEbEEZZNS1_14partition_implILS5_6ELb0ES3_mN6thrust23THRUST_200600_302600_NS6detail15normal_iteratorINSA_10device_ptrIsEEEEPS6_SG_NS0_5tupleIJNSA_16discard_iteratorINSA_11use_defaultEEES6_EEENSH_IJSG_SG_EEES6_PlJNSB_9not_fun_tINSB_14equal_to_valueIsEEEEEEE10hipError_tPvRmT3_T4_T5_T6_T7_T9_mT8_P12ihipStream_tbDpT10_ENKUlT_T0_E_clISt17integral_constantIbLb0EES1B_EEDaS16_S17_EUlS16_E_NS1_11comp_targetILNS1_3genE9ELNS1_11target_archE1100ELNS1_3gpuE3ELNS1_3repE0EEENS1_30default_config_static_selectorELNS0_4arch9wavefront6targetE0EEEvT1_ ; -- Begin function _ZN7rocprim17ROCPRIM_400000_NS6detail17trampoline_kernelINS0_14default_configENS1_25partition_config_selectorILNS1_17partition_subalgoE6EsNS0_10empty_typeEbEEZZNS1_14partition_implILS5_6ELb0ES3_mN6thrust23THRUST_200600_302600_NS6detail15normal_iteratorINSA_10device_ptrIsEEEEPS6_SG_NS0_5tupleIJNSA_16discard_iteratorINSA_11use_defaultEEES6_EEENSH_IJSG_SG_EEES6_PlJNSB_9not_fun_tINSB_14equal_to_valueIsEEEEEEE10hipError_tPvRmT3_T4_T5_T6_T7_T9_mT8_P12ihipStream_tbDpT10_ENKUlT_T0_E_clISt17integral_constantIbLb0EES1B_EEDaS16_S17_EUlS16_E_NS1_11comp_targetILNS1_3genE9ELNS1_11target_archE1100ELNS1_3gpuE3ELNS1_3repE0EEENS1_30default_config_static_selectorELNS0_4arch9wavefront6targetE0EEEvT1_
	.globl	_ZN7rocprim17ROCPRIM_400000_NS6detail17trampoline_kernelINS0_14default_configENS1_25partition_config_selectorILNS1_17partition_subalgoE6EsNS0_10empty_typeEbEEZZNS1_14partition_implILS5_6ELb0ES3_mN6thrust23THRUST_200600_302600_NS6detail15normal_iteratorINSA_10device_ptrIsEEEEPS6_SG_NS0_5tupleIJNSA_16discard_iteratorINSA_11use_defaultEEES6_EEENSH_IJSG_SG_EEES6_PlJNSB_9not_fun_tINSB_14equal_to_valueIsEEEEEEE10hipError_tPvRmT3_T4_T5_T6_T7_T9_mT8_P12ihipStream_tbDpT10_ENKUlT_T0_E_clISt17integral_constantIbLb0EES1B_EEDaS16_S17_EUlS16_E_NS1_11comp_targetILNS1_3genE9ELNS1_11target_archE1100ELNS1_3gpuE3ELNS1_3repE0EEENS1_30default_config_static_selectorELNS0_4arch9wavefront6targetE0EEEvT1_
	.p2align	8
	.type	_ZN7rocprim17ROCPRIM_400000_NS6detail17trampoline_kernelINS0_14default_configENS1_25partition_config_selectorILNS1_17partition_subalgoE6EsNS0_10empty_typeEbEEZZNS1_14partition_implILS5_6ELb0ES3_mN6thrust23THRUST_200600_302600_NS6detail15normal_iteratorINSA_10device_ptrIsEEEEPS6_SG_NS0_5tupleIJNSA_16discard_iteratorINSA_11use_defaultEEES6_EEENSH_IJSG_SG_EEES6_PlJNSB_9not_fun_tINSB_14equal_to_valueIsEEEEEEE10hipError_tPvRmT3_T4_T5_T6_T7_T9_mT8_P12ihipStream_tbDpT10_ENKUlT_T0_E_clISt17integral_constantIbLb0EES1B_EEDaS16_S17_EUlS16_E_NS1_11comp_targetILNS1_3genE9ELNS1_11target_archE1100ELNS1_3gpuE3ELNS1_3repE0EEENS1_30default_config_static_selectorELNS0_4arch9wavefront6targetE0EEEvT1_,@function
_ZN7rocprim17ROCPRIM_400000_NS6detail17trampoline_kernelINS0_14default_configENS1_25partition_config_selectorILNS1_17partition_subalgoE6EsNS0_10empty_typeEbEEZZNS1_14partition_implILS5_6ELb0ES3_mN6thrust23THRUST_200600_302600_NS6detail15normal_iteratorINSA_10device_ptrIsEEEEPS6_SG_NS0_5tupleIJNSA_16discard_iteratorINSA_11use_defaultEEES6_EEENSH_IJSG_SG_EEES6_PlJNSB_9not_fun_tINSB_14equal_to_valueIsEEEEEEE10hipError_tPvRmT3_T4_T5_T6_T7_T9_mT8_P12ihipStream_tbDpT10_ENKUlT_T0_E_clISt17integral_constantIbLb0EES1B_EEDaS16_S17_EUlS16_E_NS1_11comp_targetILNS1_3genE9ELNS1_11target_archE1100ELNS1_3gpuE3ELNS1_3repE0EEENS1_30default_config_static_selectorELNS0_4arch9wavefront6targetE0EEEvT1_: ; @_ZN7rocprim17ROCPRIM_400000_NS6detail17trampoline_kernelINS0_14default_configENS1_25partition_config_selectorILNS1_17partition_subalgoE6EsNS0_10empty_typeEbEEZZNS1_14partition_implILS5_6ELb0ES3_mN6thrust23THRUST_200600_302600_NS6detail15normal_iteratorINSA_10device_ptrIsEEEEPS6_SG_NS0_5tupleIJNSA_16discard_iteratorINSA_11use_defaultEEES6_EEENSH_IJSG_SG_EEES6_PlJNSB_9not_fun_tINSB_14equal_to_valueIsEEEEEEE10hipError_tPvRmT3_T4_T5_T6_T7_T9_mT8_P12ihipStream_tbDpT10_ENKUlT_T0_E_clISt17integral_constantIbLb0EES1B_EEDaS16_S17_EUlS16_E_NS1_11comp_targetILNS1_3genE9ELNS1_11target_archE1100ELNS1_3gpuE3ELNS1_3repE0EEENS1_30default_config_static_selectorELNS0_4arch9wavefront6targetE0EEEvT1_
; %bb.0:
	.section	.rodata,"a",@progbits
	.p2align	6, 0x0
	.amdhsa_kernel _ZN7rocprim17ROCPRIM_400000_NS6detail17trampoline_kernelINS0_14default_configENS1_25partition_config_selectorILNS1_17partition_subalgoE6EsNS0_10empty_typeEbEEZZNS1_14partition_implILS5_6ELb0ES3_mN6thrust23THRUST_200600_302600_NS6detail15normal_iteratorINSA_10device_ptrIsEEEEPS6_SG_NS0_5tupleIJNSA_16discard_iteratorINSA_11use_defaultEEES6_EEENSH_IJSG_SG_EEES6_PlJNSB_9not_fun_tINSB_14equal_to_valueIsEEEEEEE10hipError_tPvRmT3_T4_T5_T6_T7_T9_mT8_P12ihipStream_tbDpT10_ENKUlT_T0_E_clISt17integral_constantIbLb0EES1B_EEDaS16_S17_EUlS16_E_NS1_11comp_targetILNS1_3genE9ELNS1_11target_archE1100ELNS1_3gpuE3ELNS1_3repE0EEENS1_30default_config_static_selectorELNS0_4arch9wavefront6targetE0EEEvT1_
		.amdhsa_group_segment_fixed_size 0
		.amdhsa_private_segment_fixed_size 0
		.amdhsa_kernarg_size 120
		.amdhsa_user_sgpr_count 2
		.amdhsa_user_sgpr_dispatch_ptr 0
		.amdhsa_user_sgpr_queue_ptr 0
		.amdhsa_user_sgpr_kernarg_segment_ptr 1
		.amdhsa_user_sgpr_dispatch_id 0
		.amdhsa_user_sgpr_private_segment_size 0
		.amdhsa_wavefront_size32 1
		.amdhsa_uses_dynamic_stack 0
		.amdhsa_enable_private_segment 0
		.amdhsa_system_sgpr_workgroup_id_x 1
		.amdhsa_system_sgpr_workgroup_id_y 0
		.amdhsa_system_sgpr_workgroup_id_z 0
		.amdhsa_system_sgpr_workgroup_info 0
		.amdhsa_system_vgpr_workitem_id 0
		.amdhsa_next_free_vgpr 1
		.amdhsa_next_free_sgpr 1
		.amdhsa_reserve_vcc 0
		.amdhsa_float_round_mode_32 0
		.amdhsa_float_round_mode_16_64 0
		.amdhsa_float_denorm_mode_32 3
		.amdhsa_float_denorm_mode_16_64 3
		.amdhsa_fp16_overflow 0
		.amdhsa_workgroup_processor_mode 1
		.amdhsa_memory_ordered 1
		.amdhsa_forward_progress 1
		.amdhsa_inst_pref_size 0
		.amdhsa_round_robin_scheduling 0
		.amdhsa_exception_fp_ieee_invalid_op 0
		.amdhsa_exception_fp_denorm_src 0
		.amdhsa_exception_fp_ieee_div_zero 0
		.amdhsa_exception_fp_ieee_overflow 0
		.amdhsa_exception_fp_ieee_underflow 0
		.amdhsa_exception_fp_ieee_inexact 0
		.amdhsa_exception_int_div_zero 0
	.end_amdhsa_kernel
	.section	.text._ZN7rocprim17ROCPRIM_400000_NS6detail17trampoline_kernelINS0_14default_configENS1_25partition_config_selectorILNS1_17partition_subalgoE6EsNS0_10empty_typeEbEEZZNS1_14partition_implILS5_6ELb0ES3_mN6thrust23THRUST_200600_302600_NS6detail15normal_iteratorINSA_10device_ptrIsEEEEPS6_SG_NS0_5tupleIJNSA_16discard_iteratorINSA_11use_defaultEEES6_EEENSH_IJSG_SG_EEES6_PlJNSB_9not_fun_tINSB_14equal_to_valueIsEEEEEEE10hipError_tPvRmT3_T4_T5_T6_T7_T9_mT8_P12ihipStream_tbDpT10_ENKUlT_T0_E_clISt17integral_constantIbLb0EES1B_EEDaS16_S17_EUlS16_E_NS1_11comp_targetILNS1_3genE9ELNS1_11target_archE1100ELNS1_3gpuE3ELNS1_3repE0EEENS1_30default_config_static_selectorELNS0_4arch9wavefront6targetE0EEEvT1_,"axG",@progbits,_ZN7rocprim17ROCPRIM_400000_NS6detail17trampoline_kernelINS0_14default_configENS1_25partition_config_selectorILNS1_17partition_subalgoE6EsNS0_10empty_typeEbEEZZNS1_14partition_implILS5_6ELb0ES3_mN6thrust23THRUST_200600_302600_NS6detail15normal_iteratorINSA_10device_ptrIsEEEEPS6_SG_NS0_5tupleIJNSA_16discard_iteratorINSA_11use_defaultEEES6_EEENSH_IJSG_SG_EEES6_PlJNSB_9not_fun_tINSB_14equal_to_valueIsEEEEEEE10hipError_tPvRmT3_T4_T5_T6_T7_T9_mT8_P12ihipStream_tbDpT10_ENKUlT_T0_E_clISt17integral_constantIbLb0EES1B_EEDaS16_S17_EUlS16_E_NS1_11comp_targetILNS1_3genE9ELNS1_11target_archE1100ELNS1_3gpuE3ELNS1_3repE0EEENS1_30default_config_static_selectorELNS0_4arch9wavefront6targetE0EEEvT1_,comdat
.Lfunc_end1795:
	.size	_ZN7rocprim17ROCPRIM_400000_NS6detail17trampoline_kernelINS0_14default_configENS1_25partition_config_selectorILNS1_17partition_subalgoE6EsNS0_10empty_typeEbEEZZNS1_14partition_implILS5_6ELb0ES3_mN6thrust23THRUST_200600_302600_NS6detail15normal_iteratorINSA_10device_ptrIsEEEEPS6_SG_NS0_5tupleIJNSA_16discard_iteratorINSA_11use_defaultEEES6_EEENSH_IJSG_SG_EEES6_PlJNSB_9not_fun_tINSB_14equal_to_valueIsEEEEEEE10hipError_tPvRmT3_T4_T5_T6_T7_T9_mT8_P12ihipStream_tbDpT10_ENKUlT_T0_E_clISt17integral_constantIbLb0EES1B_EEDaS16_S17_EUlS16_E_NS1_11comp_targetILNS1_3genE9ELNS1_11target_archE1100ELNS1_3gpuE3ELNS1_3repE0EEENS1_30default_config_static_selectorELNS0_4arch9wavefront6targetE0EEEvT1_, .Lfunc_end1795-_ZN7rocprim17ROCPRIM_400000_NS6detail17trampoline_kernelINS0_14default_configENS1_25partition_config_selectorILNS1_17partition_subalgoE6EsNS0_10empty_typeEbEEZZNS1_14partition_implILS5_6ELb0ES3_mN6thrust23THRUST_200600_302600_NS6detail15normal_iteratorINSA_10device_ptrIsEEEEPS6_SG_NS0_5tupleIJNSA_16discard_iteratorINSA_11use_defaultEEES6_EEENSH_IJSG_SG_EEES6_PlJNSB_9not_fun_tINSB_14equal_to_valueIsEEEEEEE10hipError_tPvRmT3_T4_T5_T6_T7_T9_mT8_P12ihipStream_tbDpT10_ENKUlT_T0_E_clISt17integral_constantIbLb0EES1B_EEDaS16_S17_EUlS16_E_NS1_11comp_targetILNS1_3genE9ELNS1_11target_archE1100ELNS1_3gpuE3ELNS1_3repE0EEENS1_30default_config_static_selectorELNS0_4arch9wavefront6targetE0EEEvT1_
                                        ; -- End function
	.set _ZN7rocprim17ROCPRIM_400000_NS6detail17trampoline_kernelINS0_14default_configENS1_25partition_config_selectorILNS1_17partition_subalgoE6EsNS0_10empty_typeEbEEZZNS1_14partition_implILS5_6ELb0ES3_mN6thrust23THRUST_200600_302600_NS6detail15normal_iteratorINSA_10device_ptrIsEEEEPS6_SG_NS0_5tupleIJNSA_16discard_iteratorINSA_11use_defaultEEES6_EEENSH_IJSG_SG_EEES6_PlJNSB_9not_fun_tINSB_14equal_to_valueIsEEEEEEE10hipError_tPvRmT3_T4_T5_T6_T7_T9_mT8_P12ihipStream_tbDpT10_ENKUlT_T0_E_clISt17integral_constantIbLb0EES1B_EEDaS16_S17_EUlS16_E_NS1_11comp_targetILNS1_3genE9ELNS1_11target_archE1100ELNS1_3gpuE3ELNS1_3repE0EEENS1_30default_config_static_selectorELNS0_4arch9wavefront6targetE0EEEvT1_.num_vgpr, 0
	.set _ZN7rocprim17ROCPRIM_400000_NS6detail17trampoline_kernelINS0_14default_configENS1_25partition_config_selectorILNS1_17partition_subalgoE6EsNS0_10empty_typeEbEEZZNS1_14partition_implILS5_6ELb0ES3_mN6thrust23THRUST_200600_302600_NS6detail15normal_iteratorINSA_10device_ptrIsEEEEPS6_SG_NS0_5tupleIJNSA_16discard_iteratorINSA_11use_defaultEEES6_EEENSH_IJSG_SG_EEES6_PlJNSB_9not_fun_tINSB_14equal_to_valueIsEEEEEEE10hipError_tPvRmT3_T4_T5_T6_T7_T9_mT8_P12ihipStream_tbDpT10_ENKUlT_T0_E_clISt17integral_constantIbLb0EES1B_EEDaS16_S17_EUlS16_E_NS1_11comp_targetILNS1_3genE9ELNS1_11target_archE1100ELNS1_3gpuE3ELNS1_3repE0EEENS1_30default_config_static_selectorELNS0_4arch9wavefront6targetE0EEEvT1_.num_agpr, 0
	.set _ZN7rocprim17ROCPRIM_400000_NS6detail17trampoline_kernelINS0_14default_configENS1_25partition_config_selectorILNS1_17partition_subalgoE6EsNS0_10empty_typeEbEEZZNS1_14partition_implILS5_6ELb0ES3_mN6thrust23THRUST_200600_302600_NS6detail15normal_iteratorINSA_10device_ptrIsEEEEPS6_SG_NS0_5tupleIJNSA_16discard_iteratorINSA_11use_defaultEEES6_EEENSH_IJSG_SG_EEES6_PlJNSB_9not_fun_tINSB_14equal_to_valueIsEEEEEEE10hipError_tPvRmT3_T4_T5_T6_T7_T9_mT8_P12ihipStream_tbDpT10_ENKUlT_T0_E_clISt17integral_constantIbLb0EES1B_EEDaS16_S17_EUlS16_E_NS1_11comp_targetILNS1_3genE9ELNS1_11target_archE1100ELNS1_3gpuE3ELNS1_3repE0EEENS1_30default_config_static_selectorELNS0_4arch9wavefront6targetE0EEEvT1_.numbered_sgpr, 0
	.set _ZN7rocprim17ROCPRIM_400000_NS6detail17trampoline_kernelINS0_14default_configENS1_25partition_config_selectorILNS1_17partition_subalgoE6EsNS0_10empty_typeEbEEZZNS1_14partition_implILS5_6ELb0ES3_mN6thrust23THRUST_200600_302600_NS6detail15normal_iteratorINSA_10device_ptrIsEEEEPS6_SG_NS0_5tupleIJNSA_16discard_iteratorINSA_11use_defaultEEES6_EEENSH_IJSG_SG_EEES6_PlJNSB_9not_fun_tINSB_14equal_to_valueIsEEEEEEE10hipError_tPvRmT3_T4_T5_T6_T7_T9_mT8_P12ihipStream_tbDpT10_ENKUlT_T0_E_clISt17integral_constantIbLb0EES1B_EEDaS16_S17_EUlS16_E_NS1_11comp_targetILNS1_3genE9ELNS1_11target_archE1100ELNS1_3gpuE3ELNS1_3repE0EEENS1_30default_config_static_selectorELNS0_4arch9wavefront6targetE0EEEvT1_.num_named_barrier, 0
	.set _ZN7rocprim17ROCPRIM_400000_NS6detail17trampoline_kernelINS0_14default_configENS1_25partition_config_selectorILNS1_17partition_subalgoE6EsNS0_10empty_typeEbEEZZNS1_14partition_implILS5_6ELb0ES3_mN6thrust23THRUST_200600_302600_NS6detail15normal_iteratorINSA_10device_ptrIsEEEEPS6_SG_NS0_5tupleIJNSA_16discard_iteratorINSA_11use_defaultEEES6_EEENSH_IJSG_SG_EEES6_PlJNSB_9not_fun_tINSB_14equal_to_valueIsEEEEEEE10hipError_tPvRmT3_T4_T5_T6_T7_T9_mT8_P12ihipStream_tbDpT10_ENKUlT_T0_E_clISt17integral_constantIbLb0EES1B_EEDaS16_S17_EUlS16_E_NS1_11comp_targetILNS1_3genE9ELNS1_11target_archE1100ELNS1_3gpuE3ELNS1_3repE0EEENS1_30default_config_static_selectorELNS0_4arch9wavefront6targetE0EEEvT1_.private_seg_size, 0
	.set _ZN7rocprim17ROCPRIM_400000_NS6detail17trampoline_kernelINS0_14default_configENS1_25partition_config_selectorILNS1_17partition_subalgoE6EsNS0_10empty_typeEbEEZZNS1_14partition_implILS5_6ELb0ES3_mN6thrust23THRUST_200600_302600_NS6detail15normal_iteratorINSA_10device_ptrIsEEEEPS6_SG_NS0_5tupleIJNSA_16discard_iteratorINSA_11use_defaultEEES6_EEENSH_IJSG_SG_EEES6_PlJNSB_9not_fun_tINSB_14equal_to_valueIsEEEEEEE10hipError_tPvRmT3_T4_T5_T6_T7_T9_mT8_P12ihipStream_tbDpT10_ENKUlT_T0_E_clISt17integral_constantIbLb0EES1B_EEDaS16_S17_EUlS16_E_NS1_11comp_targetILNS1_3genE9ELNS1_11target_archE1100ELNS1_3gpuE3ELNS1_3repE0EEENS1_30default_config_static_selectorELNS0_4arch9wavefront6targetE0EEEvT1_.uses_vcc, 0
	.set _ZN7rocprim17ROCPRIM_400000_NS6detail17trampoline_kernelINS0_14default_configENS1_25partition_config_selectorILNS1_17partition_subalgoE6EsNS0_10empty_typeEbEEZZNS1_14partition_implILS5_6ELb0ES3_mN6thrust23THRUST_200600_302600_NS6detail15normal_iteratorINSA_10device_ptrIsEEEEPS6_SG_NS0_5tupleIJNSA_16discard_iteratorINSA_11use_defaultEEES6_EEENSH_IJSG_SG_EEES6_PlJNSB_9not_fun_tINSB_14equal_to_valueIsEEEEEEE10hipError_tPvRmT3_T4_T5_T6_T7_T9_mT8_P12ihipStream_tbDpT10_ENKUlT_T0_E_clISt17integral_constantIbLb0EES1B_EEDaS16_S17_EUlS16_E_NS1_11comp_targetILNS1_3genE9ELNS1_11target_archE1100ELNS1_3gpuE3ELNS1_3repE0EEENS1_30default_config_static_selectorELNS0_4arch9wavefront6targetE0EEEvT1_.uses_flat_scratch, 0
	.set _ZN7rocprim17ROCPRIM_400000_NS6detail17trampoline_kernelINS0_14default_configENS1_25partition_config_selectorILNS1_17partition_subalgoE6EsNS0_10empty_typeEbEEZZNS1_14partition_implILS5_6ELb0ES3_mN6thrust23THRUST_200600_302600_NS6detail15normal_iteratorINSA_10device_ptrIsEEEEPS6_SG_NS0_5tupleIJNSA_16discard_iteratorINSA_11use_defaultEEES6_EEENSH_IJSG_SG_EEES6_PlJNSB_9not_fun_tINSB_14equal_to_valueIsEEEEEEE10hipError_tPvRmT3_T4_T5_T6_T7_T9_mT8_P12ihipStream_tbDpT10_ENKUlT_T0_E_clISt17integral_constantIbLb0EES1B_EEDaS16_S17_EUlS16_E_NS1_11comp_targetILNS1_3genE9ELNS1_11target_archE1100ELNS1_3gpuE3ELNS1_3repE0EEENS1_30default_config_static_selectorELNS0_4arch9wavefront6targetE0EEEvT1_.has_dyn_sized_stack, 0
	.set _ZN7rocprim17ROCPRIM_400000_NS6detail17trampoline_kernelINS0_14default_configENS1_25partition_config_selectorILNS1_17partition_subalgoE6EsNS0_10empty_typeEbEEZZNS1_14partition_implILS5_6ELb0ES3_mN6thrust23THRUST_200600_302600_NS6detail15normal_iteratorINSA_10device_ptrIsEEEEPS6_SG_NS0_5tupleIJNSA_16discard_iteratorINSA_11use_defaultEEES6_EEENSH_IJSG_SG_EEES6_PlJNSB_9not_fun_tINSB_14equal_to_valueIsEEEEEEE10hipError_tPvRmT3_T4_T5_T6_T7_T9_mT8_P12ihipStream_tbDpT10_ENKUlT_T0_E_clISt17integral_constantIbLb0EES1B_EEDaS16_S17_EUlS16_E_NS1_11comp_targetILNS1_3genE9ELNS1_11target_archE1100ELNS1_3gpuE3ELNS1_3repE0EEENS1_30default_config_static_selectorELNS0_4arch9wavefront6targetE0EEEvT1_.has_recursion, 0
	.set _ZN7rocprim17ROCPRIM_400000_NS6detail17trampoline_kernelINS0_14default_configENS1_25partition_config_selectorILNS1_17partition_subalgoE6EsNS0_10empty_typeEbEEZZNS1_14partition_implILS5_6ELb0ES3_mN6thrust23THRUST_200600_302600_NS6detail15normal_iteratorINSA_10device_ptrIsEEEEPS6_SG_NS0_5tupleIJNSA_16discard_iteratorINSA_11use_defaultEEES6_EEENSH_IJSG_SG_EEES6_PlJNSB_9not_fun_tINSB_14equal_to_valueIsEEEEEEE10hipError_tPvRmT3_T4_T5_T6_T7_T9_mT8_P12ihipStream_tbDpT10_ENKUlT_T0_E_clISt17integral_constantIbLb0EES1B_EEDaS16_S17_EUlS16_E_NS1_11comp_targetILNS1_3genE9ELNS1_11target_archE1100ELNS1_3gpuE3ELNS1_3repE0EEENS1_30default_config_static_selectorELNS0_4arch9wavefront6targetE0EEEvT1_.has_indirect_call, 0
	.section	.AMDGPU.csdata,"",@progbits
; Kernel info:
; codeLenInByte = 0
; TotalNumSgprs: 0
; NumVgprs: 0
; ScratchSize: 0
; MemoryBound: 0
; FloatMode: 240
; IeeeMode: 1
; LDSByteSize: 0 bytes/workgroup (compile time only)
; SGPRBlocks: 0
; VGPRBlocks: 0
; NumSGPRsForWavesPerEU: 1
; NumVGPRsForWavesPerEU: 1
; Occupancy: 16
; WaveLimiterHint : 0
; COMPUTE_PGM_RSRC2:SCRATCH_EN: 0
; COMPUTE_PGM_RSRC2:USER_SGPR: 2
; COMPUTE_PGM_RSRC2:TRAP_HANDLER: 0
; COMPUTE_PGM_RSRC2:TGID_X_EN: 1
; COMPUTE_PGM_RSRC2:TGID_Y_EN: 0
; COMPUTE_PGM_RSRC2:TGID_Z_EN: 0
; COMPUTE_PGM_RSRC2:TIDIG_COMP_CNT: 0
	.section	.text._ZN7rocprim17ROCPRIM_400000_NS6detail17trampoline_kernelINS0_14default_configENS1_25partition_config_selectorILNS1_17partition_subalgoE6EsNS0_10empty_typeEbEEZZNS1_14partition_implILS5_6ELb0ES3_mN6thrust23THRUST_200600_302600_NS6detail15normal_iteratorINSA_10device_ptrIsEEEEPS6_SG_NS0_5tupleIJNSA_16discard_iteratorINSA_11use_defaultEEES6_EEENSH_IJSG_SG_EEES6_PlJNSB_9not_fun_tINSB_14equal_to_valueIsEEEEEEE10hipError_tPvRmT3_T4_T5_T6_T7_T9_mT8_P12ihipStream_tbDpT10_ENKUlT_T0_E_clISt17integral_constantIbLb0EES1B_EEDaS16_S17_EUlS16_E_NS1_11comp_targetILNS1_3genE8ELNS1_11target_archE1030ELNS1_3gpuE2ELNS1_3repE0EEENS1_30default_config_static_selectorELNS0_4arch9wavefront6targetE0EEEvT1_,"axG",@progbits,_ZN7rocprim17ROCPRIM_400000_NS6detail17trampoline_kernelINS0_14default_configENS1_25partition_config_selectorILNS1_17partition_subalgoE6EsNS0_10empty_typeEbEEZZNS1_14partition_implILS5_6ELb0ES3_mN6thrust23THRUST_200600_302600_NS6detail15normal_iteratorINSA_10device_ptrIsEEEEPS6_SG_NS0_5tupleIJNSA_16discard_iteratorINSA_11use_defaultEEES6_EEENSH_IJSG_SG_EEES6_PlJNSB_9not_fun_tINSB_14equal_to_valueIsEEEEEEE10hipError_tPvRmT3_T4_T5_T6_T7_T9_mT8_P12ihipStream_tbDpT10_ENKUlT_T0_E_clISt17integral_constantIbLb0EES1B_EEDaS16_S17_EUlS16_E_NS1_11comp_targetILNS1_3genE8ELNS1_11target_archE1030ELNS1_3gpuE2ELNS1_3repE0EEENS1_30default_config_static_selectorELNS0_4arch9wavefront6targetE0EEEvT1_,comdat
	.protected	_ZN7rocprim17ROCPRIM_400000_NS6detail17trampoline_kernelINS0_14default_configENS1_25partition_config_selectorILNS1_17partition_subalgoE6EsNS0_10empty_typeEbEEZZNS1_14partition_implILS5_6ELb0ES3_mN6thrust23THRUST_200600_302600_NS6detail15normal_iteratorINSA_10device_ptrIsEEEEPS6_SG_NS0_5tupleIJNSA_16discard_iteratorINSA_11use_defaultEEES6_EEENSH_IJSG_SG_EEES6_PlJNSB_9not_fun_tINSB_14equal_to_valueIsEEEEEEE10hipError_tPvRmT3_T4_T5_T6_T7_T9_mT8_P12ihipStream_tbDpT10_ENKUlT_T0_E_clISt17integral_constantIbLb0EES1B_EEDaS16_S17_EUlS16_E_NS1_11comp_targetILNS1_3genE8ELNS1_11target_archE1030ELNS1_3gpuE2ELNS1_3repE0EEENS1_30default_config_static_selectorELNS0_4arch9wavefront6targetE0EEEvT1_ ; -- Begin function _ZN7rocprim17ROCPRIM_400000_NS6detail17trampoline_kernelINS0_14default_configENS1_25partition_config_selectorILNS1_17partition_subalgoE6EsNS0_10empty_typeEbEEZZNS1_14partition_implILS5_6ELb0ES3_mN6thrust23THRUST_200600_302600_NS6detail15normal_iteratorINSA_10device_ptrIsEEEEPS6_SG_NS0_5tupleIJNSA_16discard_iteratorINSA_11use_defaultEEES6_EEENSH_IJSG_SG_EEES6_PlJNSB_9not_fun_tINSB_14equal_to_valueIsEEEEEEE10hipError_tPvRmT3_T4_T5_T6_T7_T9_mT8_P12ihipStream_tbDpT10_ENKUlT_T0_E_clISt17integral_constantIbLb0EES1B_EEDaS16_S17_EUlS16_E_NS1_11comp_targetILNS1_3genE8ELNS1_11target_archE1030ELNS1_3gpuE2ELNS1_3repE0EEENS1_30default_config_static_selectorELNS0_4arch9wavefront6targetE0EEEvT1_
	.globl	_ZN7rocprim17ROCPRIM_400000_NS6detail17trampoline_kernelINS0_14default_configENS1_25partition_config_selectorILNS1_17partition_subalgoE6EsNS0_10empty_typeEbEEZZNS1_14partition_implILS5_6ELb0ES3_mN6thrust23THRUST_200600_302600_NS6detail15normal_iteratorINSA_10device_ptrIsEEEEPS6_SG_NS0_5tupleIJNSA_16discard_iteratorINSA_11use_defaultEEES6_EEENSH_IJSG_SG_EEES6_PlJNSB_9not_fun_tINSB_14equal_to_valueIsEEEEEEE10hipError_tPvRmT3_T4_T5_T6_T7_T9_mT8_P12ihipStream_tbDpT10_ENKUlT_T0_E_clISt17integral_constantIbLb0EES1B_EEDaS16_S17_EUlS16_E_NS1_11comp_targetILNS1_3genE8ELNS1_11target_archE1030ELNS1_3gpuE2ELNS1_3repE0EEENS1_30default_config_static_selectorELNS0_4arch9wavefront6targetE0EEEvT1_
	.p2align	8
	.type	_ZN7rocprim17ROCPRIM_400000_NS6detail17trampoline_kernelINS0_14default_configENS1_25partition_config_selectorILNS1_17partition_subalgoE6EsNS0_10empty_typeEbEEZZNS1_14partition_implILS5_6ELb0ES3_mN6thrust23THRUST_200600_302600_NS6detail15normal_iteratorINSA_10device_ptrIsEEEEPS6_SG_NS0_5tupleIJNSA_16discard_iteratorINSA_11use_defaultEEES6_EEENSH_IJSG_SG_EEES6_PlJNSB_9not_fun_tINSB_14equal_to_valueIsEEEEEEE10hipError_tPvRmT3_T4_T5_T6_T7_T9_mT8_P12ihipStream_tbDpT10_ENKUlT_T0_E_clISt17integral_constantIbLb0EES1B_EEDaS16_S17_EUlS16_E_NS1_11comp_targetILNS1_3genE8ELNS1_11target_archE1030ELNS1_3gpuE2ELNS1_3repE0EEENS1_30default_config_static_selectorELNS0_4arch9wavefront6targetE0EEEvT1_,@function
_ZN7rocprim17ROCPRIM_400000_NS6detail17trampoline_kernelINS0_14default_configENS1_25partition_config_selectorILNS1_17partition_subalgoE6EsNS0_10empty_typeEbEEZZNS1_14partition_implILS5_6ELb0ES3_mN6thrust23THRUST_200600_302600_NS6detail15normal_iteratorINSA_10device_ptrIsEEEEPS6_SG_NS0_5tupleIJNSA_16discard_iteratorINSA_11use_defaultEEES6_EEENSH_IJSG_SG_EEES6_PlJNSB_9not_fun_tINSB_14equal_to_valueIsEEEEEEE10hipError_tPvRmT3_T4_T5_T6_T7_T9_mT8_P12ihipStream_tbDpT10_ENKUlT_T0_E_clISt17integral_constantIbLb0EES1B_EEDaS16_S17_EUlS16_E_NS1_11comp_targetILNS1_3genE8ELNS1_11target_archE1030ELNS1_3gpuE2ELNS1_3repE0EEENS1_30default_config_static_selectorELNS0_4arch9wavefront6targetE0EEEvT1_: ; @_ZN7rocprim17ROCPRIM_400000_NS6detail17trampoline_kernelINS0_14default_configENS1_25partition_config_selectorILNS1_17partition_subalgoE6EsNS0_10empty_typeEbEEZZNS1_14partition_implILS5_6ELb0ES3_mN6thrust23THRUST_200600_302600_NS6detail15normal_iteratorINSA_10device_ptrIsEEEEPS6_SG_NS0_5tupleIJNSA_16discard_iteratorINSA_11use_defaultEEES6_EEENSH_IJSG_SG_EEES6_PlJNSB_9not_fun_tINSB_14equal_to_valueIsEEEEEEE10hipError_tPvRmT3_T4_T5_T6_T7_T9_mT8_P12ihipStream_tbDpT10_ENKUlT_T0_E_clISt17integral_constantIbLb0EES1B_EEDaS16_S17_EUlS16_E_NS1_11comp_targetILNS1_3genE8ELNS1_11target_archE1030ELNS1_3gpuE2ELNS1_3repE0EEENS1_30default_config_static_selectorELNS0_4arch9wavefront6targetE0EEEvT1_
; %bb.0:
	.section	.rodata,"a",@progbits
	.p2align	6, 0x0
	.amdhsa_kernel _ZN7rocprim17ROCPRIM_400000_NS6detail17trampoline_kernelINS0_14default_configENS1_25partition_config_selectorILNS1_17partition_subalgoE6EsNS0_10empty_typeEbEEZZNS1_14partition_implILS5_6ELb0ES3_mN6thrust23THRUST_200600_302600_NS6detail15normal_iteratorINSA_10device_ptrIsEEEEPS6_SG_NS0_5tupleIJNSA_16discard_iteratorINSA_11use_defaultEEES6_EEENSH_IJSG_SG_EEES6_PlJNSB_9not_fun_tINSB_14equal_to_valueIsEEEEEEE10hipError_tPvRmT3_T4_T5_T6_T7_T9_mT8_P12ihipStream_tbDpT10_ENKUlT_T0_E_clISt17integral_constantIbLb0EES1B_EEDaS16_S17_EUlS16_E_NS1_11comp_targetILNS1_3genE8ELNS1_11target_archE1030ELNS1_3gpuE2ELNS1_3repE0EEENS1_30default_config_static_selectorELNS0_4arch9wavefront6targetE0EEEvT1_
		.amdhsa_group_segment_fixed_size 0
		.amdhsa_private_segment_fixed_size 0
		.amdhsa_kernarg_size 120
		.amdhsa_user_sgpr_count 2
		.amdhsa_user_sgpr_dispatch_ptr 0
		.amdhsa_user_sgpr_queue_ptr 0
		.amdhsa_user_sgpr_kernarg_segment_ptr 1
		.amdhsa_user_sgpr_dispatch_id 0
		.amdhsa_user_sgpr_private_segment_size 0
		.amdhsa_wavefront_size32 1
		.amdhsa_uses_dynamic_stack 0
		.amdhsa_enable_private_segment 0
		.amdhsa_system_sgpr_workgroup_id_x 1
		.amdhsa_system_sgpr_workgroup_id_y 0
		.amdhsa_system_sgpr_workgroup_id_z 0
		.amdhsa_system_sgpr_workgroup_info 0
		.amdhsa_system_vgpr_workitem_id 0
		.amdhsa_next_free_vgpr 1
		.amdhsa_next_free_sgpr 1
		.amdhsa_reserve_vcc 0
		.amdhsa_float_round_mode_32 0
		.amdhsa_float_round_mode_16_64 0
		.amdhsa_float_denorm_mode_32 3
		.amdhsa_float_denorm_mode_16_64 3
		.amdhsa_fp16_overflow 0
		.amdhsa_workgroup_processor_mode 1
		.amdhsa_memory_ordered 1
		.amdhsa_forward_progress 1
		.amdhsa_inst_pref_size 0
		.amdhsa_round_robin_scheduling 0
		.amdhsa_exception_fp_ieee_invalid_op 0
		.amdhsa_exception_fp_denorm_src 0
		.amdhsa_exception_fp_ieee_div_zero 0
		.amdhsa_exception_fp_ieee_overflow 0
		.amdhsa_exception_fp_ieee_underflow 0
		.amdhsa_exception_fp_ieee_inexact 0
		.amdhsa_exception_int_div_zero 0
	.end_amdhsa_kernel
	.section	.text._ZN7rocprim17ROCPRIM_400000_NS6detail17trampoline_kernelINS0_14default_configENS1_25partition_config_selectorILNS1_17partition_subalgoE6EsNS0_10empty_typeEbEEZZNS1_14partition_implILS5_6ELb0ES3_mN6thrust23THRUST_200600_302600_NS6detail15normal_iteratorINSA_10device_ptrIsEEEEPS6_SG_NS0_5tupleIJNSA_16discard_iteratorINSA_11use_defaultEEES6_EEENSH_IJSG_SG_EEES6_PlJNSB_9not_fun_tINSB_14equal_to_valueIsEEEEEEE10hipError_tPvRmT3_T4_T5_T6_T7_T9_mT8_P12ihipStream_tbDpT10_ENKUlT_T0_E_clISt17integral_constantIbLb0EES1B_EEDaS16_S17_EUlS16_E_NS1_11comp_targetILNS1_3genE8ELNS1_11target_archE1030ELNS1_3gpuE2ELNS1_3repE0EEENS1_30default_config_static_selectorELNS0_4arch9wavefront6targetE0EEEvT1_,"axG",@progbits,_ZN7rocprim17ROCPRIM_400000_NS6detail17trampoline_kernelINS0_14default_configENS1_25partition_config_selectorILNS1_17partition_subalgoE6EsNS0_10empty_typeEbEEZZNS1_14partition_implILS5_6ELb0ES3_mN6thrust23THRUST_200600_302600_NS6detail15normal_iteratorINSA_10device_ptrIsEEEEPS6_SG_NS0_5tupleIJNSA_16discard_iteratorINSA_11use_defaultEEES6_EEENSH_IJSG_SG_EEES6_PlJNSB_9not_fun_tINSB_14equal_to_valueIsEEEEEEE10hipError_tPvRmT3_T4_T5_T6_T7_T9_mT8_P12ihipStream_tbDpT10_ENKUlT_T0_E_clISt17integral_constantIbLb0EES1B_EEDaS16_S17_EUlS16_E_NS1_11comp_targetILNS1_3genE8ELNS1_11target_archE1030ELNS1_3gpuE2ELNS1_3repE0EEENS1_30default_config_static_selectorELNS0_4arch9wavefront6targetE0EEEvT1_,comdat
.Lfunc_end1796:
	.size	_ZN7rocprim17ROCPRIM_400000_NS6detail17trampoline_kernelINS0_14default_configENS1_25partition_config_selectorILNS1_17partition_subalgoE6EsNS0_10empty_typeEbEEZZNS1_14partition_implILS5_6ELb0ES3_mN6thrust23THRUST_200600_302600_NS6detail15normal_iteratorINSA_10device_ptrIsEEEEPS6_SG_NS0_5tupleIJNSA_16discard_iteratorINSA_11use_defaultEEES6_EEENSH_IJSG_SG_EEES6_PlJNSB_9not_fun_tINSB_14equal_to_valueIsEEEEEEE10hipError_tPvRmT3_T4_T5_T6_T7_T9_mT8_P12ihipStream_tbDpT10_ENKUlT_T0_E_clISt17integral_constantIbLb0EES1B_EEDaS16_S17_EUlS16_E_NS1_11comp_targetILNS1_3genE8ELNS1_11target_archE1030ELNS1_3gpuE2ELNS1_3repE0EEENS1_30default_config_static_selectorELNS0_4arch9wavefront6targetE0EEEvT1_, .Lfunc_end1796-_ZN7rocprim17ROCPRIM_400000_NS6detail17trampoline_kernelINS0_14default_configENS1_25partition_config_selectorILNS1_17partition_subalgoE6EsNS0_10empty_typeEbEEZZNS1_14partition_implILS5_6ELb0ES3_mN6thrust23THRUST_200600_302600_NS6detail15normal_iteratorINSA_10device_ptrIsEEEEPS6_SG_NS0_5tupleIJNSA_16discard_iteratorINSA_11use_defaultEEES6_EEENSH_IJSG_SG_EEES6_PlJNSB_9not_fun_tINSB_14equal_to_valueIsEEEEEEE10hipError_tPvRmT3_T4_T5_T6_T7_T9_mT8_P12ihipStream_tbDpT10_ENKUlT_T0_E_clISt17integral_constantIbLb0EES1B_EEDaS16_S17_EUlS16_E_NS1_11comp_targetILNS1_3genE8ELNS1_11target_archE1030ELNS1_3gpuE2ELNS1_3repE0EEENS1_30default_config_static_selectorELNS0_4arch9wavefront6targetE0EEEvT1_
                                        ; -- End function
	.set _ZN7rocprim17ROCPRIM_400000_NS6detail17trampoline_kernelINS0_14default_configENS1_25partition_config_selectorILNS1_17partition_subalgoE6EsNS0_10empty_typeEbEEZZNS1_14partition_implILS5_6ELb0ES3_mN6thrust23THRUST_200600_302600_NS6detail15normal_iteratorINSA_10device_ptrIsEEEEPS6_SG_NS0_5tupleIJNSA_16discard_iteratorINSA_11use_defaultEEES6_EEENSH_IJSG_SG_EEES6_PlJNSB_9not_fun_tINSB_14equal_to_valueIsEEEEEEE10hipError_tPvRmT3_T4_T5_T6_T7_T9_mT8_P12ihipStream_tbDpT10_ENKUlT_T0_E_clISt17integral_constantIbLb0EES1B_EEDaS16_S17_EUlS16_E_NS1_11comp_targetILNS1_3genE8ELNS1_11target_archE1030ELNS1_3gpuE2ELNS1_3repE0EEENS1_30default_config_static_selectorELNS0_4arch9wavefront6targetE0EEEvT1_.num_vgpr, 0
	.set _ZN7rocprim17ROCPRIM_400000_NS6detail17trampoline_kernelINS0_14default_configENS1_25partition_config_selectorILNS1_17partition_subalgoE6EsNS0_10empty_typeEbEEZZNS1_14partition_implILS5_6ELb0ES3_mN6thrust23THRUST_200600_302600_NS6detail15normal_iteratorINSA_10device_ptrIsEEEEPS6_SG_NS0_5tupleIJNSA_16discard_iteratorINSA_11use_defaultEEES6_EEENSH_IJSG_SG_EEES6_PlJNSB_9not_fun_tINSB_14equal_to_valueIsEEEEEEE10hipError_tPvRmT3_T4_T5_T6_T7_T9_mT8_P12ihipStream_tbDpT10_ENKUlT_T0_E_clISt17integral_constantIbLb0EES1B_EEDaS16_S17_EUlS16_E_NS1_11comp_targetILNS1_3genE8ELNS1_11target_archE1030ELNS1_3gpuE2ELNS1_3repE0EEENS1_30default_config_static_selectorELNS0_4arch9wavefront6targetE0EEEvT1_.num_agpr, 0
	.set _ZN7rocprim17ROCPRIM_400000_NS6detail17trampoline_kernelINS0_14default_configENS1_25partition_config_selectorILNS1_17partition_subalgoE6EsNS0_10empty_typeEbEEZZNS1_14partition_implILS5_6ELb0ES3_mN6thrust23THRUST_200600_302600_NS6detail15normal_iteratorINSA_10device_ptrIsEEEEPS6_SG_NS0_5tupleIJNSA_16discard_iteratorINSA_11use_defaultEEES6_EEENSH_IJSG_SG_EEES6_PlJNSB_9not_fun_tINSB_14equal_to_valueIsEEEEEEE10hipError_tPvRmT3_T4_T5_T6_T7_T9_mT8_P12ihipStream_tbDpT10_ENKUlT_T0_E_clISt17integral_constantIbLb0EES1B_EEDaS16_S17_EUlS16_E_NS1_11comp_targetILNS1_3genE8ELNS1_11target_archE1030ELNS1_3gpuE2ELNS1_3repE0EEENS1_30default_config_static_selectorELNS0_4arch9wavefront6targetE0EEEvT1_.numbered_sgpr, 0
	.set _ZN7rocprim17ROCPRIM_400000_NS6detail17trampoline_kernelINS0_14default_configENS1_25partition_config_selectorILNS1_17partition_subalgoE6EsNS0_10empty_typeEbEEZZNS1_14partition_implILS5_6ELb0ES3_mN6thrust23THRUST_200600_302600_NS6detail15normal_iteratorINSA_10device_ptrIsEEEEPS6_SG_NS0_5tupleIJNSA_16discard_iteratorINSA_11use_defaultEEES6_EEENSH_IJSG_SG_EEES6_PlJNSB_9not_fun_tINSB_14equal_to_valueIsEEEEEEE10hipError_tPvRmT3_T4_T5_T6_T7_T9_mT8_P12ihipStream_tbDpT10_ENKUlT_T0_E_clISt17integral_constantIbLb0EES1B_EEDaS16_S17_EUlS16_E_NS1_11comp_targetILNS1_3genE8ELNS1_11target_archE1030ELNS1_3gpuE2ELNS1_3repE0EEENS1_30default_config_static_selectorELNS0_4arch9wavefront6targetE0EEEvT1_.num_named_barrier, 0
	.set _ZN7rocprim17ROCPRIM_400000_NS6detail17trampoline_kernelINS0_14default_configENS1_25partition_config_selectorILNS1_17partition_subalgoE6EsNS0_10empty_typeEbEEZZNS1_14partition_implILS5_6ELb0ES3_mN6thrust23THRUST_200600_302600_NS6detail15normal_iteratorINSA_10device_ptrIsEEEEPS6_SG_NS0_5tupleIJNSA_16discard_iteratorINSA_11use_defaultEEES6_EEENSH_IJSG_SG_EEES6_PlJNSB_9not_fun_tINSB_14equal_to_valueIsEEEEEEE10hipError_tPvRmT3_T4_T5_T6_T7_T9_mT8_P12ihipStream_tbDpT10_ENKUlT_T0_E_clISt17integral_constantIbLb0EES1B_EEDaS16_S17_EUlS16_E_NS1_11comp_targetILNS1_3genE8ELNS1_11target_archE1030ELNS1_3gpuE2ELNS1_3repE0EEENS1_30default_config_static_selectorELNS0_4arch9wavefront6targetE0EEEvT1_.private_seg_size, 0
	.set _ZN7rocprim17ROCPRIM_400000_NS6detail17trampoline_kernelINS0_14default_configENS1_25partition_config_selectorILNS1_17partition_subalgoE6EsNS0_10empty_typeEbEEZZNS1_14partition_implILS5_6ELb0ES3_mN6thrust23THRUST_200600_302600_NS6detail15normal_iteratorINSA_10device_ptrIsEEEEPS6_SG_NS0_5tupleIJNSA_16discard_iteratorINSA_11use_defaultEEES6_EEENSH_IJSG_SG_EEES6_PlJNSB_9not_fun_tINSB_14equal_to_valueIsEEEEEEE10hipError_tPvRmT3_T4_T5_T6_T7_T9_mT8_P12ihipStream_tbDpT10_ENKUlT_T0_E_clISt17integral_constantIbLb0EES1B_EEDaS16_S17_EUlS16_E_NS1_11comp_targetILNS1_3genE8ELNS1_11target_archE1030ELNS1_3gpuE2ELNS1_3repE0EEENS1_30default_config_static_selectorELNS0_4arch9wavefront6targetE0EEEvT1_.uses_vcc, 0
	.set _ZN7rocprim17ROCPRIM_400000_NS6detail17trampoline_kernelINS0_14default_configENS1_25partition_config_selectorILNS1_17partition_subalgoE6EsNS0_10empty_typeEbEEZZNS1_14partition_implILS5_6ELb0ES3_mN6thrust23THRUST_200600_302600_NS6detail15normal_iteratorINSA_10device_ptrIsEEEEPS6_SG_NS0_5tupleIJNSA_16discard_iteratorINSA_11use_defaultEEES6_EEENSH_IJSG_SG_EEES6_PlJNSB_9not_fun_tINSB_14equal_to_valueIsEEEEEEE10hipError_tPvRmT3_T4_T5_T6_T7_T9_mT8_P12ihipStream_tbDpT10_ENKUlT_T0_E_clISt17integral_constantIbLb0EES1B_EEDaS16_S17_EUlS16_E_NS1_11comp_targetILNS1_3genE8ELNS1_11target_archE1030ELNS1_3gpuE2ELNS1_3repE0EEENS1_30default_config_static_selectorELNS0_4arch9wavefront6targetE0EEEvT1_.uses_flat_scratch, 0
	.set _ZN7rocprim17ROCPRIM_400000_NS6detail17trampoline_kernelINS0_14default_configENS1_25partition_config_selectorILNS1_17partition_subalgoE6EsNS0_10empty_typeEbEEZZNS1_14partition_implILS5_6ELb0ES3_mN6thrust23THRUST_200600_302600_NS6detail15normal_iteratorINSA_10device_ptrIsEEEEPS6_SG_NS0_5tupleIJNSA_16discard_iteratorINSA_11use_defaultEEES6_EEENSH_IJSG_SG_EEES6_PlJNSB_9not_fun_tINSB_14equal_to_valueIsEEEEEEE10hipError_tPvRmT3_T4_T5_T6_T7_T9_mT8_P12ihipStream_tbDpT10_ENKUlT_T0_E_clISt17integral_constantIbLb0EES1B_EEDaS16_S17_EUlS16_E_NS1_11comp_targetILNS1_3genE8ELNS1_11target_archE1030ELNS1_3gpuE2ELNS1_3repE0EEENS1_30default_config_static_selectorELNS0_4arch9wavefront6targetE0EEEvT1_.has_dyn_sized_stack, 0
	.set _ZN7rocprim17ROCPRIM_400000_NS6detail17trampoline_kernelINS0_14default_configENS1_25partition_config_selectorILNS1_17partition_subalgoE6EsNS0_10empty_typeEbEEZZNS1_14partition_implILS5_6ELb0ES3_mN6thrust23THRUST_200600_302600_NS6detail15normal_iteratorINSA_10device_ptrIsEEEEPS6_SG_NS0_5tupleIJNSA_16discard_iteratorINSA_11use_defaultEEES6_EEENSH_IJSG_SG_EEES6_PlJNSB_9not_fun_tINSB_14equal_to_valueIsEEEEEEE10hipError_tPvRmT3_T4_T5_T6_T7_T9_mT8_P12ihipStream_tbDpT10_ENKUlT_T0_E_clISt17integral_constantIbLb0EES1B_EEDaS16_S17_EUlS16_E_NS1_11comp_targetILNS1_3genE8ELNS1_11target_archE1030ELNS1_3gpuE2ELNS1_3repE0EEENS1_30default_config_static_selectorELNS0_4arch9wavefront6targetE0EEEvT1_.has_recursion, 0
	.set _ZN7rocprim17ROCPRIM_400000_NS6detail17trampoline_kernelINS0_14default_configENS1_25partition_config_selectorILNS1_17partition_subalgoE6EsNS0_10empty_typeEbEEZZNS1_14partition_implILS5_6ELb0ES3_mN6thrust23THRUST_200600_302600_NS6detail15normal_iteratorINSA_10device_ptrIsEEEEPS6_SG_NS0_5tupleIJNSA_16discard_iteratorINSA_11use_defaultEEES6_EEENSH_IJSG_SG_EEES6_PlJNSB_9not_fun_tINSB_14equal_to_valueIsEEEEEEE10hipError_tPvRmT3_T4_T5_T6_T7_T9_mT8_P12ihipStream_tbDpT10_ENKUlT_T0_E_clISt17integral_constantIbLb0EES1B_EEDaS16_S17_EUlS16_E_NS1_11comp_targetILNS1_3genE8ELNS1_11target_archE1030ELNS1_3gpuE2ELNS1_3repE0EEENS1_30default_config_static_selectorELNS0_4arch9wavefront6targetE0EEEvT1_.has_indirect_call, 0
	.section	.AMDGPU.csdata,"",@progbits
; Kernel info:
; codeLenInByte = 0
; TotalNumSgprs: 0
; NumVgprs: 0
; ScratchSize: 0
; MemoryBound: 0
; FloatMode: 240
; IeeeMode: 1
; LDSByteSize: 0 bytes/workgroup (compile time only)
; SGPRBlocks: 0
; VGPRBlocks: 0
; NumSGPRsForWavesPerEU: 1
; NumVGPRsForWavesPerEU: 1
; Occupancy: 16
; WaveLimiterHint : 0
; COMPUTE_PGM_RSRC2:SCRATCH_EN: 0
; COMPUTE_PGM_RSRC2:USER_SGPR: 2
; COMPUTE_PGM_RSRC2:TRAP_HANDLER: 0
; COMPUTE_PGM_RSRC2:TGID_X_EN: 1
; COMPUTE_PGM_RSRC2:TGID_Y_EN: 0
; COMPUTE_PGM_RSRC2:TGID_Z_EN: 0
; COMPUTE_PGM_RSRC2:TIDIG_COMP_CNT: 0
	.section	.text._ZN7rocprim17ROCPRIM_400000_NS6detail17trampoline_kernelINS0_14default_configENS1_25partition_config_selectorILNS1_17partition_subalgoE6EsNS0_10empty_typeEbEEZZNS1_14partition_implILS5_6ELb0ES3_mN6thrust23THRUST_200600_302600_NS6detail15normal_iteratorINSA_10device_ptrIsEEEEPS6_SG_NS0_5tupleIJNSA_16discard_iteratorINSA_11use_defaultEEES6_EEENSH_IJSG_SG_EEES6_PlJNSB_9not_fun_tINSB_14equal_to_valueIsEEEEEEE10hipError_tPvRmT3_T4_T5_T6_T7_T9_mT8_P12ihipStream_tbDpT10_ENKUlT_T0_E_clISt17integral_constantIbLb1EES1B_EEDaS16_S17_EUlS16_E_NS1_11comp_targetILNS1_3genE0ELNS1_11target_archE4294967295ELNS1_3gpuE0ELNS1_3repE0EEENS1_30default_config_static_selectorELNS0_4arch9wavefront6targetE0EEEvT1_,"axG",@progbits,_ZN7rocprim17ROCPRIM_400000_NS6detail17trampoline_kernelINS0_14default_configENS1_25partition_config_selectorILNS1_17partition_subalgoE6EsNS0_10empty_typeEbEEZZNS1_14partition_implILS5_6ELb0ES3_mN6thrust23THRUST_200600_302600_NS6detail15normal_iteratorINSA_10device_ptrIsEEEEPS6_SG_NS0_5tupleIJNSA_16discard_iteratorINSA_11use_defaultEEES6_EEENSH_IJSG_SG_EEES6_PlJNSB_9not_fun_tINSB_14equal_to_valueIsEEEEEEE10hipError_tPvRmT3_T4_T5_T6_T7_T9_mT8_P12ihipStream_tbDpT10_ENKUlT_T0_E_clISt17integral_constantIbLb1EES1B_EEDaS16_S17_EUlS16_E_NS1_11comp_targetILNS1_3genE0ELNS1_11target_archE4294967295ELNS1_3gpuE0ELNS1_3repE0EEENS1_30default_config_static_selectorELNS0_4arch9wavefront6targetE0EEEvT1_,comdat
	.protected	_ZN7rocprim17ROCPRIM_400000_NS6detail17trampoline_kernelINS0_14default_configENS1_25partition_config_selectorILNS1_17partition_subalgoE6EsNS0_10empty_typeEbEEZZNS1_14partition_implILS5_6ELb0ES3_mN6thrust23THRUST_200600_302600_NS6detail15normal_iteratorINSA_10device_ptrIsEEEEPS6_SG_NS0_5tupleIJNSA_16discard_iteratorINSA_11use_defaultEEES6_EEENSH_IJSG_SG_EEES6_PlJNSB_9not_fun_tINSB_14equal_to_valueIsEEEEEEE10hipError_tPvRmT3_T4_T5_T6_T7_T9_mT8_P12ihipStream_tbDpT10_ENKUlT_T0_E_clISt17integral_constantIbLb1EES1B_EEDaS16_S17_EUlS16_E_NS1_11comp_targetILNS1_3genE0ELNS1_11target_archE4294967295ELNS1_3gpuE0ELNS1_3repE0EEENS1_30default_config_static_selectorELNS0_4arch9wavefront6targetE0EEEvT1_ ; -- Begin function _ZN7rocprim17ROCPRIM_400000_NS6detail17trampoline_kernelINS0_14default_configENS1_25partition_config_selectorILNS1_17partition_subalgoE6EsNS0_10empty_typeEbEEZZNS1_14partition_implILS5_6ELb0ES3_mN6thrust23THRUST_200600_302600_NS6detail15normal_iteratorINSA_10device_ptrIsEEEEPS6_SG_NS0_5tupleIJNSA_16discard_iteratorINSA_11use_defaultEEES6_EEENSH_IJSG_SG_EEES6_PlJNSB_9not_fun_tINSB_14equal_to_valueIsEEEEEEE10hipError_tPvRmT3_T4_T5_T6_T7_T9_mT8_P12ihipStream_tbDpT10_ENKUlT_T0_E_clISt17integral_constantIbLb1EES1B_EEDaS16_S17_EUlS16_E_NS1_11comp_targetILNS1_3genE0ELNS1_11target_archE4294967295ELNS1_3gpuE0ELNS1_3repE0EEENS1_30default_config_static_selectorELNS0_4arch9wavefront6targetE0EEEvT1_
	.globl	_ZN7rocprim17ROCPRIM_400000_NS6detail17trampoline_kernelINS0_14default_configENS1_25partition_config_selectorILNS1_17partition_subalgoE6EsNS0_10empty_typeEbEEZZNS1_14partition_implILS5_6ELb0ES3_mN6thrust23THRUST_200600_302600_NS6detail15normal_iteratorINSA_10device_ptrIsEEEEPS6_SG_NS0_5tupleIJNSA_16discard_iteratorINSA_11use_defaultEEES6_EEENSH_IJSG_SG_EEES6_PlJNSB_9not_fun_tINSB_14equal_to_valueIsEEEEEEE10hipError_tPvRmT3_T4_T5_T6_T7_T9_mT8_P12ihipStream_tbDpT10_ENKUlT_T0_E_clISt17integral_constantIbLb1EES1B_EEDaS16_S17_EUlS16_E_NS1_11comp_targetILNS1_3genE0ELNS1_11target_archE4294967295ELNS1_3gpuE0ELNS1_3repE0EEENS1_30default_config_static_selectorELNS0_4arch9wavefront6targetE0EEEvT1_
	.p2align	8
	.type	_ZN7rocprim17ROCPRIM_400000_NS6detail17trampoline_kernelINS0_14default_configENS1_25partition_config_selectorILNS1_17partition_subalgoE6EsNS0_10empty_typeEbEEZZNS1_14partition_implILS5_6ELb0ES3_mN6thrust23THRUST_200600_302600_NS6detail15normal_iteratorINSA_10device_ptrIsEEEEPS6_SG_NS0_5tupleIJNSA_16discard_iteratorINSA_11use_defaultEEES6_EEENSH_IJSG_SG_EEES6_PlJNSB_9not_fun_tINSB_14equal_to_valueIsEEEEEEE10hipError_tPvRmT3_T4_T5_T6_T7_T9_mT8_P12ihipStream_tbDpT10_ENKUlT_T0_E_clISt17integral_constantIbLb1EES1B_EEDaS16_S17_EUlS16_E_NS1_11comp_targetILNS1_3genE0ELNS1_11target_archE4294967295ELNS1_3gpuE0ELNS1_3repE0EEENS1_30default_config_static_selectorELNS0_4arch9wavefront6targetE0EEEvT1_,@function
_ZN7rocprim17ROCPRIM_400000_NS6detail17trampoline_kernelINS0_14default_configENS1_25partition_config_selectorILNS1_17partition_subalgoE6EsNS0_10empty_typeEbEEZZNS1_14partition_implILS5_6ELb0ES3_mN6thrust23THRUST_200600_302600_NS6detail15normal_iteratorINSA_10device_ptrIsEEEEPS6_SG_NS0_5tupleIJNSA_16discard_iteratorINSA_11use_defaultEEES6_EEENSH_IJSG_SG_EEES6_PlJNSB_9not_fun_tINSB_14equal_to_valueIsEEEEEEE10hipError_tPvRmT3_T4_T5_T6_T7_T9_mT8_P12ihipStream_tbDpT10_ENKUlT_T0_E_clISt17integral_constantIbLb1EES1B_EEDaS16_S17_EUlS16_E_NS1_11comp_targetILNS1_3genE0ELNS1_11target_archE4294967295ELNS1_3gpuE0ELNS1_3repE0EEENS1_30default_config_static_selectorELNS0_4arch9wavefront6targetE0EEEvT1_: ; @_ZN7rocprim17ROCPRIM_400000_NS6detail17trampoline_kernelINS0_14default_configENS1_25partition_config_selectorILNS1_17partition_subalgoE6EsNS0_10empty_typeEbEEZZNS1_14partition_implILS5_6ELb0ES3_mN6thrust23THRUST_200600_302600_NS6detail15normal_iteratorINSA_10device_ptrIsEEEEPS6_SG_NS0_5tupleIJNSA_16discard_iteratorINSA_11use_defaultEEES6_EEENSH_IJSG_SG_EEES6_PlJNSB_9not_fun_tINSB_14equal_to_valueIsEEEEEEE10hipError_tPvRmT3_T4_T5_T6_T7_T9_mT8_P12ihipStream_tbDpT10_ENKUlT_T0_E_clISt17integral_constantIbLb1EES1B_EEDaS16_S17_EUlS16_E_NS1_11comp_targetILNS1_3genE0ELNS1_11target_archE4294967295ELNS1_3gpuE0ELNS1_3repE0EEENS1_30default_config_static_selectorELNS0_4arch9wavefront6targetE0EEEvT1_
; %bb.0:
	.section	.rodata,"a",@progbits
	.p2align	6, 0x0
	.amdhsa_kernel _ZN7rocprim17ROCPRIM_400000_NS6detail17trampoline_kernelINS0_14default_configENS1_25partition_config_selectorILNS1_17partition_subalgoE6EsNS0_10empty_typeEbEEZZNS1_14partition_implILS5_6ELb0ES3_mN6thrust23THRUST_200600_302600_NS6detail15normal_iteratorINSA_10device_ptrIsEEEEPS6_SG_NS0_5tupleIJNSA_16discard_iteratorINSA_11use_defaultEEES6_EEENSH_IJSG_SG_EEES6_PlJNSB_9not_fun_tINSB_14equal_to_valueIsEEEEEEE10hipError_tPvRmT3_T4_T5_T6_T7_T9_mT8_P12ihipStream_tbDpT10_ENKUlT_T0_E_clISt17integral_constantIbLb1EES1B_EEDaS16_S17_EUlS16_E_NS1_11comp_targetILNS1_3genE0ELNS1_11target_archE4294967295ELNS1_3gpuE0ELNS1_3repE0EEENS1_30default_config_static_selectorELNS0_4arch9wavefront6targetE0EEEvT1_
		.amdhsa_group_segment_fixed_size 0
		.amdhsa_private_segment_fixed_size 0
		.amdhsa_kernarg_size 136
		.amdhsa_user_sgpr_count 2
		.amdhsa_user_sgpr_dispatch_ptr 0
		.amdhsa_user_sgpr_queue_ptr 0
		.amdhsa_user_sgpr_kernarg_segment_ptr 1
		.amdhsa_user_sgpr_dispatch_id 0
		.amdhsa_user_sgpr_private_segment_size 0
		.amdhsa_wavefront_size32 1
		.amdhsa_uses_dynamic_stack 0
		.amdhsa_enable_private_segment 0
		.amdhsa_system_sgpr_workgroup_id_x 1
		.amdhsa_system_sgpr_workgroup_id_y 0
		.amdhsa_system_sgpr_workgroup_id_z 0
		.amdhsa_system_sgpr_workgroup_info 0
		.amdhsa_system_vgpr_workitem_id 0
		.amdhsa_next_free_vgpr 1
		.amdhsa_next_free_sgpr 1
		.amdhsa_reserve_vcc 0
		.amdhsa_float_round_mode_32 0
		.amdhsa_float_round_mode_16_64 0
		.amdhsa_float_denorm_mode_32 3
		.amdhsa_float_denorm_mode_16_64 3
		.amdhsa_fp16_overflow 0
		.amdhsa_workgroup_processor_mode 1
		.amdhsa_memory_ordered 1
		.amdhsa_forward_progress 1
		.amdhsa_inst_pref_size 0
		.amdhsa_round_robin_scheduling 0
		.amdhsa_exception_fp_ieee_invalid_op 0
		.amdhsa_exception_fp_denorm_src 0
		.amdhsa_exception_fp_ieee_div_zero 0
		.amdhsa_exception_fp_ieee_overflow 0
		.amdhsa_exception_fp_ieee_underflow 0
		.amdhsa_exception_fp_ieee_inexact 0
		.amdhsa_exception_int_div_zero 0
	.end_amdhsa_kernel
	.section	.text._ZN7rocprim17ROCPRIM_400000_NS6detail17trampoline_kernelINS0_14default_configENS1_25partition_config_selectorILNS1_17partition_subalgoE6EsNS0_10empty_typeEbEEZZNS1_14partition_implILS5_6ELb0ES3_mN6thrust23THRUST_200600_302600_NS6detail15normal_iteratorINSA_10device_ptrIsEEEEPS6_SG_NS0_5tupleIJNSA_16discard_iteratorINSA_11use_defaultEEES6_EEENSH_IJSG_SG_EEES6_PlJNSB_9not_fun_tINSB_14equal_to_valueIsEEEEEEE10hipError_tPvRmT3_T4_T5_T6_T7_T9_mT8_P12ihipStream_tbDpT10_ENKUlT_T0_E_clISt17integral_constantIbLb1EES1B_EEDaS16_S17_EUlS16_E_NS1_11comp_targetILNS1_3genE0ELNS1_11target_archE4294967295ELNS1_3gpuE0ELNS1_3repE0EEENS1_30default_config_static_selectorELNS0_4arch9wavefront6targetE0EEEvT1_,"axG",@progbits,_ZN7rocprim17ROCPRIM_400000_NS6detail17trampoline_kernelINS0_14default_configENS1_25partition_config_selectorILNS1_17partition_subalgoE6EsNS0_10empty_typeEbEEZZNS1_14partition_implILS5_6ELb0ES3_mN6thrust23THRUST_200600_302600_NS6detail15normal_iteratorINSA_10device_ptrIsEEEEPS6_SG_NS0_5tupleIJNSA_16discard_iteratorINSA_11use_defaultEEES6_EEENSH_IJSG_SG_EEES6_PlJNSB_9not_fun_tINSB_14equal_to_valueIsEEEEEEE10hipError_tPvRmT3_T4_T5_T6_T7_T9_mT8_P12ihipStream_tbDpT10_ENKUlT_T0_E_clISt17integral_constantIbLb1EES1B_EEDaS16_S17_EUlS16_E_NS1_11comp_targetILNS1_3genE0ELNS1_11target_archE4294967295ELNS1_3gpuE0ELNS1_3repE0EEENS1_30default_config_static_selectorELNS0_4arch9wavefront6targetE0EEEvT1_,comdat
.Lfunc_end1797:
	.size	_ZN7rocprim17ROCPRIM_400000_NS6detail17trampoline_kernelINS0_14default_configENS1_25partition_config_selectorILNS1_17partition_subalgoE6EsNS0_10empty_typeEbEEZZNS1_14partition_implILS5_6ELb0ES3_mN6thrust23THRUST_200600_302600_NS6detail15normal_iteratorINSA_10device_ptrIsEEEEPS6_SG_NS0_5tupleIJNSA_16discard_iteratorINSA_11use_defaultEEES6_EEENSH_IJSG_SG_EEES6_PlJNSB_9not_fun_tINSB_14equal_to_valueIsEEEEEEE10hipError_tPvRmT3_T4_T5_T6_T7_T9_mT8_P12ihipStream_tbDpT10_ENKUlT_T0_E_clISt17integral_constantIbLb1EES1B_EEDaS16_S17_EUlS16_E_NS1_11comp_targetILNS1_3genE0ELNS1_11target_archE4294967295ELNS1_3gpuE0ELNS1_3repE0EEENS1_30default_config_static_selectorELNS0_4arch9wavefront6targetE0EEEvT1_, .Lfunc_end1797-_ZN7rocprim17ROCPRIM_400000_NS6detail17trampoline_kernelINS0_14default_configENS1_25partition_config_selectorILNS1_17partition_subalgoE6EsNS0_10empty_typeEbEEZZNS1_14partition_implILS5_6ELb0ES3_mN6thrust23THRUST_200600_302600_NS6detail15normal_iteratorINSA_10device_ptrIsEEEEPS6_SG_NS0_5tupleIJNSA_16discard_iteratorINSA_11use_defaultEEES6_EEENSH_IJSG_SG_EEES6_PlJNSB_9not_fun_tINSB_14equal_to_valueIsEEEEEEE10hipError_tPvRmT3_T4_T5_T6_T7_T9_mT8_P12ihipStream_tbDpT10_ENKUlT_T0_E_clISt17integral_constantIbLb1EES1B_EEDaS16_S17_EUlS16_E_NS1_11comp_targetILNS1_3genE0ELNS1_11target_archE4294967295ELNS1_3gpuE0ELNS1_3repE0EEENS1_30default_config_static_selectorELNS0_4arch9wavefront6targetE0EEEvT1_
                                        ; -- End function
	.set _ZN7rocprim17ROCPRIM_400000_NS6detail17trampoline_kernelINS0_14default_configENS1_25partition_config_selectorILNS1_17partition_subalgoE6EsNS0_10empty_typeEbEEZZNS1_14partition_implILS5_6ELb0ES3_mN6thrust23THRUST_200600_302600_NS6detail15normal_iteratorINSA_10device_ptrIsEEEEPS6_SG_NS0_5tupleIJNSA_16discard_iteratorINSA_11use_defaultEEES6_EEENSH_IJSG_SG_EEES6_PlJNSB_9not_fun_tINSB_14equal_to_valueIsEEEEEEE10hipError_tPvRmT3_T4_T5_T6_T7_T9_mT8_P12ihipStream_tbDpT10_ENKUlT_T0_E_clISt17integral_constantIbLb1EES1B_EEDaS16_S17_EUlS16_E_NS1_11comp_targetILNS1_3genE0ELNS1_11target_archE4294967295ELNS1_3gpuE0ELNS1_3repE0EEENS1_30default_config_static_selectorELNS0_4arch9wavefront6targetE0EEEvT1_.num_vgpr, 0
	.set _ZN7rocprim17ROCPRIM_400000_NS6detail17trampoline_kernelINS0_14default_configENS1_25partition_config_selectorILNS1_17partition_subalgoE6EsNS0_10empty_typeEbEEZZNS1_14partition_implILS5_6ELb0ES3_mN6thrust23THRUST_200600_302600_NS6detail15normal_iteratorINSA_10device_ptrIsEEEEPS6_SG_NS0_5tupleIJNSA_16discard_iteratorINSA_11use_defaultEEES6_EEENSH_IJSG_SG_EEES6_PlJNSB_9not_fun_tINSB_14equal_to_valueIsEEEEEEE10hipError_tPvRmT3_T4_T5_T6_T7_T9_mT8_P12ihipStream_tbDpT10_ENKUlT_T0_E_clISt17integral_constantIbLb1EES1B_EEDaS16_S17_EUlS16_E_NS1_11comp_targetILNS1_3genE0ELNS1_11target_archE4294967295ELNS1_3gpuE0ELNS1_3repE0EEENS1_30default_config_static_selectorELNS0_4arch9wavefront6targetE0EEEvT1_.num_agpr, 0
	.set _ZN7rocprim17ROCPRIM_400000_NS6detail17trampoline_kernelINS0_14default_configENS1_25partition_config_selectorILNS1_17partition_subalgoE6EsNS0_10empty_typeEbEEZZNS1_14partition_implILS5_6ELb0ES3_mN6thrust23THRUST_200600_302600_NS6detail15normal_iteratorINSA_10device_ptrIsEEEEPS6_SG_NS0_5tupleIJNSA_16discard_iteratorINSA_11use_defaultEEES6_EEENSH_IJSG_SG_EEES6_PlJNSB_9not_fun_tINSB_14equal_to_valueIsEEEEEEE10hipError_tPvRmT3_T4_T5_T6_T7_T9_mT8_P12ihipStream_tbDpT10_ENKUlT_T0_E_clISt17integral_constantIbLb1EES1B_EEDaS16_S17_EUlS16_E_NS1_11comp_targetILNS1_3genE0ELNS1_11target_archE4294967295ELNS1_3gpuE0ELNS1_3repE0EEENS1_30default_config_static_selectorELNS0_4arch9wavefront6targetE0EEEvT1_.numbered_sgpr, 0
	.set _ZN7rocprim17ROCPRIM_400000_NS6detail17trampoline_kernelINS0_14default_configENS1_25partition_config_selectorILNS1_17partition_subalgoE6EsNS0_10empty_typeEbEEZZNS1_14partition_implILS5_6ELb0ES3_mN6thrust23THRUST_200600_302600_NS6detail15normal_iteratorINSA_10device_ptrIsEEEEPS6_SG_NS0_5tupleIJNSA_16discard_iteratorINSA_11use_defaultEEES6_EEENSH_IJSG_SG_EEES6_PlJNSB_9not_fun_tINSB_14equal_to_valueIsEEEEEEE10hipError_tPvRmT3_T4_T5_T6_T7_T9_mT8_P12ihipStream_tbDpT10_ENKUlT_T0_E_clISt17integral_constantIbLb1EES1B_EEDaS16_S17_EUlS16_E_NS1_11comp_targetILNS1_3genE0ELNS1_11target_archE4294967295ELNS1_3gpuE0ELNS1_3repE0EEENS1_30default_config_static_selectorELNS0_4arch9wavefront6targetE0EEEvT1_.num_named_barrier, 0
	.set _ZN7rocprim17ROCPRIM_400000_NS6detail17trampoline_kernelINS0_14default_configENS1_25partition_config_selectorILNS1_17partition_subalgoE6EsNS0_10empty_typeEbEEZZNS1_14partition_implILS5_6ELb0ES3_mN6thrust23THRUST_200600_302600_NS6detail15normal_iteratorINSA_10device_ptrIsEEEEPS6_SG_NS0_5tupleIJNSA_16discard_iteratorINSA_11use_defaultEEES6_EEENSH_IJSG_SG_EEES6_PlJNSB_9not_fun_tINSB_14equal_to_valueIsEEEEEEE10hipError_tPvRmT3_T4_T5_T6_T7_T9_mT8_P12ihipStream_tbDpT10_ENKUlT_T0_E_clISt17integral_constantIbLb1EES1B_EEDaS16_S17_EUlS16_E_NS1_11comp_targetILNS1_3genE0ELNS1_11target_archE4294967295ELNS1_3gpuE0ELNS1_3repE0EEENS1_30default_config_static_selectorELNS0_4arch9wavefront6targetE0EEEvT1_.private_seg_size, 0
	.set _ZN7rocprim17ROCPRIM_400000_NS6detail17trampoline_kernelINS0_14default_configENS1_25partition_config_selectorILNS1_17partition_subalgoE6EsNS0_10empty_typeEbEEZZNS1_14partition_implILS5_6ELb0ES3_mN6thrust23THRUST_200600_302600_NS6detail15normal_iteratorINSA_10device_ptrIsEEEEPS6_SG_NS0_5tupleIJNSA_16discard_iteratorINSA_11use_defaultEEES6_EEENSH_IJSG_SG_EEES6_PlJNSB_9not_fun_tINSB_14equal_to_valueIsEEEEEEE10hipError_tPvRmT3_T4_T5_T6_T7_T9_mT8_P12ihipStream_tbDpT10_ENKUlT_T0_E_clISt17integral_constantIbLb1EES1B_EEDaS16_S17_EUlS16_E_NS1_11comp_targetILNS1_3genE0ELNS1_11target_archE4294967295ELNS1_3gpuE0ELNS1_3repE0EEENS1_30default_config_static_selectorELNS0_4arch9wavefront6targetE0EEEvT1_.uses_vcc, 0
	.set _ZN7rocprim17ROCPRIM_400000_NS6detail17trampoline_kernelINS0_14default_configENS1_25partition_config_selectorILNS1_17partition_subalgoE6EsNS0_10empty_typeEbEEZZNS1_14partition_implILS5_6ELb0ES3_mN6thrust23THRUST_200600_302600_NS6detail15normal_iteratorINSA_10device_ptrIsEEEEPS6_SG_NS0_5tupleIJNSA_16discard_iteratorINSA_11use_defaultEEES6_EEENSH_IJSG_SG_EEES6_PlJNSB_9not_fun_tINSB_14equal_to_valueIsEEEEEEE10hipError_tPvRmT3_T4_T5_T6_T7_T9_mT8_P12ihipStream_tbDpT10_ENKUlT_T0_E_clISt17integral_constantIbLb1EES1B_EEDaS16_S17_EUlS16_E_NS1_11comp_targetILNS1_3genE0ELNS1_11target_archE4294967295ELNS1_3gpuE0ELNS1_3repE0EEENS1_30default_config_static_selectorELNS0_4arch9wavefront6targetE0EEEvT1_.uses_flat_scratch, 0
	.set _ZN7rocprim17ROCPRIM_400000_NS6detail17trampoline_kernelINS0_14default_configENS1_25partition_config_selectorILNS1_17partition_subalgoE6EsNS0_10empty_typeEbEEZZNS1_14partition_implILS5_6ELb0ES3_mN6thrust23THRUST_200600_302600_NS6detail15normal_iteratorINSA_10device_ptrIsEEEEPS6_SG_NS0_5tupleIJNSA_16discard_iteratorINSA_11use_defaultEEES6_EEENSH_IJSG_SG_EEES6_PlJNSB_9not_fun_tINSB_14equal_to_valueIsEEEEEEE10hipError_tPvRmT3_T4_T5_T6_T7_T9_mT8_P12ihipStream_tbDpT10_ENKUlT_T0_E_clISt17integral_constantIbLb1EES1B_EEDaS16_S17_EUlS16_E_NS1_11comp_targetILNS1_3genE0ELNS1_11target_archE4294967295ELNS1_3gpuE0ELNS1_3repE0EEENS1_30default_config_static_selectorELNS0_4arch9wavefront6targetE0EEEvT1_.has_dyn_sized_stack, 0
	.set _ZN7rocprim17ROCPRIM_400000_NS6detail17trampoline_kernelINS0_14default_configENS1_25partition_config_selectorILNS1_17partition_subalgoE6EsNS0_10empty_typeEbEEZZNS1_14partition_implILS5_6ELb0ES3_mN6thrust23THRUST_200600_302600_NS6detail15normal_iteratorINSA_10device_ptrIsEEEEPS6_SG_NS0_5tupleIJNSA_16discard_iteratorINSA_11use_defaultEEES6_EEENSH_IJSG_SG_EEES6_PlJNSB_9not_fun_tINSB_14equal_to_valueIsEEEEEEE10hipError_tPvRmT3_T4_T5_T6_T7_T9_mT8_P12ihipStream_tbDpT10_ENKUlT_T0_E_clISt17integral_constantIbLb1EES1B_EEDaS16_S17_EUlS16_E_NS1_11comp_targetILNS1_3genE0ELNS1_11target_archE4294967295ELNS1_3gpuE0ELNS1_3repE0EEENS1_30default_config_static_selectorELNS0_4arch9wavefront6targetE0EEEvT1_.has_recursion, 0
	.set _ZN7rocprim17ROCPRIM_400000_NS6detail17trampoline_kernelINS0_14default_configENS1_25partition_config_selectorILNS1_17partition_subalgoE6EsNS0_10empty_typeEbEEZZNS1_14partition_implILS5_6ELb0ES3_mN6thrust23THRUST_200600_302600_NS6detail15normal_iteratorINSA_10device_ptrIsEEEEPS6_SG_NS0_5tupleIJNSA_16discard_iteratorINSA_11use_defaultEEES6_EEENSH_IJSG_SG_EEES6_PlJNSB_9not_fun_tINSB_14equal_to_valueIsEEEEEEE10hipError_tPvRmT3_T4_T5_T6_T7_T9_mT8_P12ihipStream_tbDpT10_ENKUlT_T0_E_clISt17integral_constantIbLb1EES1B_EEDaS16_S17_EUlS16_E_NS1_11comp_targetILNS1_3genE0ELNS1_11target_archE4294967295ELNS1_3gpuE0ELNS1_3repE0EEENS1_30default_config_static_selectorELNS0_4arch9wavefront6targetE0EEEvT1_.has_indirect_call, 0
	.section	.AMDGPU.csdata,"",@progbits
; Kernel info:
; codeLenInByte = 0
; TotalNumSgprs: 0
; NumVgprs: 0
; ScratchSize: 0
; MemoryBound: 0
; FloatMode: 240
; IeeeMode: 1
; LDSByteSize: 0 bytes/workgroup (compile time only)
; SGPRBlocks: 0
; VGPRBlocks: 0
; NumSGPRsForWavesPerEU: 1
; NumVGPRsForWavesPerEU: 1
; Occupancy: 16
; WaveLimiterHint : 0
; COMPUTE_PGM_RSRC2:SCRATCH_EN: 0
; COMPUTE_PGM_RSRC2:USER_SGPR: 2
; COMPUTE_PGM_RSRC2:TRAP_HANDLER: 0
; COMPUTE_PGM_RSRC2:TGID_X_EN: 1
; COMPUTE_PGM_RSRC2:TGID_Y_EN: 0
; COMPUTE_PGM_RSRC2:TGID_Z_EN: 0
; COMPUTE_PGM_RSRC2:TIDIG_COMP_CNT: 0
	.section	.text._ZN7rocprim17ROCPRIM_400000_NS6detail17trampoline_kernelINS0_14default_configENS1_25partition_config_selectorILNS1_17partition_subalgoE6EsNS0_10empty_typeEbEEZZNS1_14partition_implILS5_6ELb0ES3_mN6thrust23THRUST_200600_302600_NS6detail15normal_iteratorINSA_10device_ptrIsEEEEPS6_SG_NS0_5tupleIJNSA_16discard_iteratorINSA_11use_defaultEEES6_EEENSH_IJSG_SG_EEES6_PlJNSB_9not_fun_tINSB_14equal_to_valueIsEEEEEEE10hipError_tPvRmT3_T4_T5_T6_T7_T9_mT8_P12ihipStream_tbDpT10_ENKUlT_T0_E_clISt17integral_constantIbLb1EES1B_EEDaS16_S17_EUlS16_E_NS1_11comp_targetILNS1_3genE5ELNS1_11target_archE942ELNS1_3gpuE9ELNS1_3repE0EEENS1_30default_config_static_selectorELNS0_4arch9wavefront6targetE0EEEvT1_,"axG",@progbits,_ZN7rocprim17ROCPRIM_400000_NS6detail17trampoline_kernelINS0_14default_configENS1_25partition_config_selectorILNS1_17partition_subalgoE6EsNS0_10empty_typeEbEEZZNS1_14partition_implILS5_6ELb0ES3_mN6thrust23THRUST_200600_302600_NS6detail15normal_iteratorINSA_10device_ptrIsEEEEPS6_SG_NS0_5tupleIJNSA_16discard_iteratorINSA_11use_defaultEEES6_EEENSH_IJSG_SG_EEES6_PlJNSB_9not_fun_tINSB_14equal_to_valueIsEEEEEEE10hipError_tPvRmT3_T4_T5_T6_T7_T9_mT8_P12ihipStream_tbDpT10_ENKUlT_T0_E_clISt17integral_constantIbLb1EES1B_EEDaS16_S17_EUlS16_E_NS1_11comp_targetILNS1_3genE5ELNS1_11target_archE942ELNS1_3gpuE9ELNS1_3repE0EEENS1_30default_config_static_selectorELNS0_4arch9wavefront6targetE0EEEvT1_,comdat
	.protected	_ZN7rocprim17ROCPRIM_400000_NS6detail17trampoline_kernelINS0_14default_configENS1_25partition_config_selectorILNS1_17partition_subalgoE6EsNS0_10empty_typeEbEEZZNS1_14partition_implILS5_6ELb0ES3_mN6thrust23THRUST_200600_302600_NS6detail15normal_iteratorINSA_10device_ptrIsEEEEPS6_SG_NS0_5tupleIJNSA_16discard_iteratorINSA_11use_defaultEEES6_EEENSH_IJSG_SG_EEES6_PlJNSB_9not_fun_tINSB_14equal_to_valueIsEEEEEEE10hipError_tPvRmT3_T4_T5_T6_T7_T9_mT8_P12ihipStream_tbDpT10_ENKUlT_T0_E_clISt17integral_constantIbLb1EES1B_EEDaS16_S17_EUlS16_E_NS1_11comp_targetILNS1_3genE5ELNS1_11target_archE942ELNS1_3gpuE9ELNS1_3repE0EEENS1_30default_config_static_selectorELNS0_4arch9wavefront6targetE0EEEvT1_ ; -- Begin function _ZN7rocprim17ROCPRIM_400000_NS6detail17trampoline_kernelINS0_14default_configENS1_25partition_config_selectorILNS1_17partition_subalgoE6EsNS0_10empty_typeEbEEZZNS1_14partition_implILS5_6ELb0ES3_mN6thrust23THRUST_200600_302600_NS6detail15normal_iteratorINSA_10device_ptrIsEEEEPS6_SG_NS0_5tupleIJNSA_16discard_iteratorINSA_11use_defaultEEES6_EEENSH_IJSG_SG_EEES6_PlJNSB_9not_fun_tINSB_14equal_to_valueIsEEEEEEE10hipError_tPvRmT3_T4_T5_T6_T7_T9_mT8_P12ihipStream_tbDpT10_ENKUlT_T0_E_clISt17integral_constantIbLb1EES1B_EEDaS16_S17_EUlS16_E_NS1_11comp_targetILNS1_3genE5ELNS1_11target_archE942ELNS1_3gpuE9ELNS1_3repE0EEENS1_30default_config_static_selectorELNS0_4arch9wavefront6targetE0EEEvT1_
	.globl	_ZN7rocprim17ROCPRIM_400000_NS6detail17trampoline_kernelINS0_14default_configENS1_25partition_config_selectorILNS1_17partition_subalgoE6EsNS0_10empty_typeEbEEZZNS1_14partition_implILS5_6ELb0ES3_mN6thrust23THRUST_200600_302600_NS6detail15normal_iteratorINSA_10device_ptrIsEEEEPS6_SG_NS0_5tupleIJNSA_16discard_iteratorINSA_11use_defaultEEES6_EEENSH_IJSG_SG_EEES6_PlJNSB_9not_fun_tINSB_14equal_to_valueIsEEEEEEE10hipError_tPvRmT3_T4_T5_T6_T7_T9_mT8_P12ihipStream_tbDpT10_ENKUlT_T0_E_clISt17integral_constantIbLb1EES1B_EEDaS16_S17_EUlS16_E_NS1_11comp_targetILNS1_3genE5ELNS1_11target_archE942ELNS1_3gpuE9ELNS1_3repE0EEENS1_30default_config_static_selectorELNS0_4arch9wavefront6targetE0EEEvT1_
	.p2align	8
	.type	_ZN7rocprim17ROCPRIM_400000_NS6detail17trampoline_kernelINS0_14default_configENS1_25partition_config_selectorILNS1_17partition_subalgoE6EsNS0_10empty_typeEbEEZZNS1_14partition_implILS5_6ELb0ES3_mN6thrust23THRUST_200600_302600_NS6detail15normal_iteratorINSA_10device_ptrIsEEEEPS6_SG_NS0_5tupleIJNSA_16discard_iteratorINSA_11use_defaultEEES6_EEENSH_IJSG_SG_EEES6_PlJNSB_9not_fun_tINSB_14equal_to_valueIsEEEEEEE10hipError_tPvRmT3_T4_T5_T6_T7_T9_mT8_P12ihipStream_tbDpT10_ENKUlT_T0_E_clISt17integral_constantIbLb1EES1B_EEDaS16_S17_EUlS16_E_NS1_11comp_targetILNS1_3genE5ELNS1_11target_archE942ELNS1_3gpuE9ELNS1_3repE0EEENS1_30default_config_static_selectorELNS0_4arch9wavefront6targetE0EEEvT1_,@function
_ZN7rocprim17ROCPRIM_400000_NS6detail17trampoline_kernelINS0_14default_configENS1_25partition_config_selectorILNS1_17partition_subalgoE6EsNS0_10empty_typeEbEEZZNS1_14partition_implILS5_6ELb0ES3_mN6thrust23THRUST_200600_302600_NS6detail15normal_iteratorINSA_10device_ptrIsEEEEPS6_SG_NS0_5tupleIJNSA_16discard_iteratorINSA_11use_defaultEEES6_EEENSH_IJSG_SG_EEES6_PlJNSB_9not_fun_tINSB_14equal_to_valueIsEEEEEEE10hipError_tPvRmT3_T4_T5_T6_T7_T9_mT8_P12ihipStream_tbDpT10_ENKUlT_T0_E_clISt17integral_constantIbLb1EES1B_EEDaS16_S17_EUlS16_E_NS1_11comp_targetILNS1_3genE5ELNS1_11target_archE942ELNS1_3gpuE9ELNS1_3repE0EEENS1_30default_config_static_selectorELNS0_4arch9wavefront6targetE0EEEvT1_: ; @_ZN7rocprim17ROCPRIM_400000_NS6detail17trampoline_kernelINS0_14default_configENS1_25partition_config_selectorILNS1_17partition_subalgoE6EsNS0_10empty_typeEbEEZZNS1_14partition_implILS5_6ELb0ES3_mN6thrust23THRUST_200600_302600_NS6detail15normal_iteratorINSA_10device_ptrIsEEEEPS6_SG_NS0_5tupleIJNSA_16discard_iteratorINSA_11use_defaultEEES6_EEENSH_IJSG_SG_EEES6_PlJNSB_9not_fun_tINSB_14equal_to_valueIsEEEEEEE10hipError_tPvRmT3_T4_T5_T6_T7_T9_mT8_P12ihipStream_tbDpT10_ENKUlT_T0_E_clISt17integral_constantIbLb1EES1B_EEDaS16_S17_EUlS16_E_NS1_11comp_targetILNS1_3genE5ELNS1_11target_archE942ELNS1_3gpuE9ELNS1_3repE0EEENS1_30default_config_static_selectorELNS0_4arch9wavefront6targetE0EEEvT1_
; %bb.0:
	.section	.rodata,"a",@progbits
	.p2align	6, 0x0
	.amdhsa_kernel _ZN7rocprim17ROCPRIM_400000_NS6detail17trampoline_kernelINS0_14default_configENS1_25partition_config_selectorILNS1_17partition_subalgoE6EsNS0_10empty_typeEbEEZZNS1_14partition_implILS5_6ELb0ES3_mN6thrust23THRUST_200600_302600_NS6detail15normal_iteratorINSA_10device_ptrIsEEEEPS6_SG_NS0_5tupleIJNSA_16discard_iteratorINSA_11use_defaultEEES6_EEENSH_IJSG_SG_EEES6_PlJNSB_9not_fun_tINSB_14equal_to_valueIsEEEEEEE10hipError_tPvRmT3_T4_T5_T6_T7_T9_mT8_P12ihipStream_tbDpT10_ENKUlT_T0_E_clISt17integral_constantIbLb1EES1B_EEDaS16_S17_EUlS16_E_NS1_11comp_targetILNS1_3genE5ELNS1_11target_archE942ELNS1_3gpuE9ELNS1_3repE0EEENS1_30default_config_static_selectorELNS0_4arch9wavefront6targetE0EEEvT1_
		.amdhsa_group_segment_fixed_size 0
		.amdhsa_private_segment_fixed_size 0
		.amdhsa_kernarg_size 136
		.amdhsa_user_sgpr_count 2
		.amdhsa_user_sgpr_dispatch_ptr 0
		.amdhsa_user_sgpr_queue_ptr 0
		.amdhsa_user_sgpr_kernarg_segment_ptr 1
		.amdhsa_user_sgpr_dispatch_id 0
		.amdhsa_user_sgpr_private_segment_size 0
		.amdhsa_wavefront_size32 1
		.amdhsa_uses_dynamic_stack 0
		.amdhsa_enable_private_segment 0
		.amdhsa_system_sgpr_workgroup_id_x 1
		.amdhsa_system_sgpr_workgroup_id_y 0
		.amdhsa_system_sgpr_workgroup_id_z 0
		.amdhsa_system_sgpr_workgroup_info 0
		.amdhsa_system_vgpr_workitem_id 0
		.amdhsa_next_free_vgpr 1
		.amdhsa_next_free_sgpr 1
		.amdhsa_reserve_vcc 0
		.amdhsa_float_round_mode_32 0
		.amdhsa_float_round_mode_16_64 0
		.amdhsa_float_denorm_mode_32 3
		.amdhsa_float_denorm_mode_16_64 3
		.amdhsa_fp16_overflow 0
		.amdhsa_workgroup_processor_mode 1
		.amdhsa_memory_ordered 1
		.amdhsa_forward_progress 1
		.amdhsa_inst_pref_size 0
		.amdhsa_round_robin_scheduling 0
		.amdhsa_exception_fp_ieee_invalid_op 0
		.amdhsa_exception_fp_denorm_src 0
		.amdhsa_exception_fp_ieee_div_zero 0
		.amdhsa_exception_fp_ieee_overflow 0
		.amdhsa_exception_fp_ieee_underflow 0
		.amdhsa_exception_fp_ieee_inexact 0
		.amdhsa_exception_int_div_zero 0
	.end_amdhsa_kernel
	.section	.text._ZN7rocprim17ROCPRIM_400000_NS6detail17trampoline_kernelINS0_14default_configENS1_25partition_config_selectorILNS1_17partition_subalgoE6EsNS0_10empty_typeEbEEZZNS1_14partition_implILS5_6ELb0ES3_mN6thrust23THRUST_200600_302600_NS6detail15normal_iteratorINSA_10device_ptrIsEEEEPS6_SG_NS0_5tupleIJNSA_16discard_iteratorINSA_11use_defaultEEES6_EEENSH_IJSG_SG_EEES6_PlJNSB_9not_fun_tINSB_14equal_to_valueIsEEEEEEE10hipError_tPvRmT3_T4_T5_T6_T7_T9_mT8_P12ihipStream_tbDpT10_ENKUlT_T0_E_clISt17integral_constantIbLb1EES1B_EEDaS16_S17_EUlS16_E_NS1_11comp_targetILNS1_3genE5ELNS1_11target_archE942ELNS1_3gpuE9ELNS1_3repE0EEENS1_30default_config_static_selectorELNS0_4arch9wavefront6targetE0EEEvT1_,"axG",@progbits,_ZN7rocprim17ROCPRIM_400000_NS6detail17trampoline_kernelINS0_14default_configENS1_25partition_config_selectorILNS1_17partition_subalgoE6EsNS0_10empty_typeEbEEZZNS1_14partition_implILS5_6ELb0ES3_mN6thrust23THRUST_200600_302600_NS6detail15normal_iteratorINSA_10device_ptrIsEEEEPS6_SG_NS0_5tupleIJNSA_16discard_iteratorINSA_11use_defaultEEES6_EEENSH_IJSG_SG_EEES6_PlJNSB_9not_fun_tINSB_14equal_to_valueIsEEEEEEE10hipError_tPvRmT3_T4_T5_T6_T7_T9_mT8_P12ihipStream_tbDpT10_ENKUlT_T0_E_clISt17integral_constantIbLb1EES1B_EEDaS16_S17_EUlS16_E_NS1_11comp_targetILNS1_3genE5ELNS1_11target_archE942ELNS1_3gpuE9ELNS1_3repE0EEENS1_30default_config_static_selectorELNS0_4arch9wavefront6targetE0EEEvT1_,comdat
.Lfunc_end1798:
	.size	_ZN7rocprim17ROCPRIM_400000_NS6detail17trampoline_kernelINS0_14default_configENS1_25partition_config_selectorILNS1_17partition_subalgoE6EsNS0_10empty_typeEbEEZZNS1_14partition_implILS5_6ELb0ES3_mN6thrust23THRUST_200600_302600_NS6detail15normal_iteratorINSA_10device_ptrIsEEEEPS6_SG_NS0_5tupleIJNSA_16discard_iteratorINSA_11use_defaultEEES6_EEENSH_IJSG_SG_EEES6_PlJNSB_9not_fun_tINSB_14equal_to_valueIsEEEEEEE10hipError_tPvRmT3_T4_T5_T6_T7_T9_mT8_P12ihipStream_tbDpT10_ENKUlT_T0_E_clISt17integral_constantIbLb1EES1B_EEDaS16_S17_EUlS16_E_NS1_11comp_targetILNS1_3genE5ELNS1_11target_archE942ELNS1_3gpuE9ELNS1_3repE0EEENS1_30default_config_static_selectorELNS0_4arch9wavefront6targetE0EEEvT1_, .Lfunc_end1798-_ZN7rocprim17ROCPRIM_400000_NS6detail17trampoline_kernelINS0_14default_configENS1_25partition_config_selectorILNS1_17partition_subalgoE6EsNS0_10empty_typeEbEEZZNS1_14partition_implILS5_6ELb0ES3_mN6thrust23THRUST_200600_302600_NS6detail15normal_iteratorINSA_10device_ptrIsEEEEPS6_SG_NS0_5tupleIJNSA_16discard_iteratorINSA_11use_defaultEEES6_EEENSH_IJSG_SG_EEES6_PlJNSB_9not_fun_tINSB_14equal_to_valueIsEEEEEEE10hipError_tPvRmT3_T4_T5_T6_T7_T9_mT8_P12ihipStream_tbDpT10_ENKUlT_T0_E_clISt17integral_constantIbLb1EES1B_EEDaS16_S17_EUlS16_E_NS1_11comp_targetILNS1_3genE5ELNS1_11target_archE942ELNS1_3gpuE9ELNS1_3repE0EEENS1_30default_config_static_selectorELNS0_4arch9wavefront6targetE0EEEvT1_
                                        ; -- End function
	.set _ZN7rocprim17ROCPRIM_400000_NS6detail17trampoline_kernelINS0_14default_configENS1_25partition_config_selectorILNS1_17partition_subalgoE6EsNS0_10empty_typeEbEEZZNS1_14partition_implILS5_6ELb0ES3_mN6thrust23THRUST_200600_302600_NS6detail15normal_iteratorINSA_10device_ptrIsEEEEPS6_SG_NS0_5tupleIJNSA_16discard_iteratorINSA_11use_defaultEEES6_EEENSH_IJSG_SG_EEES6_PlJNSB_9not_fun_tINSB_14equal_to_valueIsEEEEEEE10hipError_tPvRmT3_T4_T5_T6_T7_T9_mT8_P12ihipStream_tbDpT10_ENKUlT_T0_E_clISt17integral_constantIbLb1EES1B_EEDaS16_S17_EUlS16_E_NS1_11comp_targetILNS1_3genE5ELNS1_11target_archE942ELNS1_3gpuE9ELNS1_3repE0EEENS1_30default_config_static_selectorELNS0_4arch9wavefront6targetE0EEEvT1_.num_vgpr, 0
	.set _ZN7rocprim17ROCPRIM_400000_NS6detail17trampoline_kernelINS0_14default_configENS1_25partition_config_selectorILNS1_17partition_subalgoE6EsNS0_10empty_typeEbEEZZNS1_14partition_implILS5_6ELb0ES3_mN6thrust23THRUST_200600_302600_NS6detail15normal_iteratorINSA_10device_ptrIsEEEEPS6_SG_NS0_5tupleIJNSA_16discard_iteratorINSA_11use_defaultEEES6_EEENSH_IJSG_SG_EEES6_PlJNSB_9not_fun_tINSB_14equal_to_valueIsEEEEEEE10hipError_tPvRmT3_T4_T5_T6_T7_T9_mT8_P12ihipStream_tbDpT10_ENKUlT_T0_E_clISt17integral_constantIbLb1EES1B_EEDaS16_S17_EUlS16_E_NS1_11comp_targetILNS1_3genE5ELNS1_11target_archE942ELNS1_3gpuE9ELNS1_3repE0EEENS1_30default_config_static_selectorELNS0_4arch9wavefront6targetE0EEEvT1_.num_agpr, 0
	.set _ZN7rocprim17ROCPRIM_400000_NS6detail17trampoline_kernelINS0_14default_configENS1_25partition_config_selectorILNS1_17partition_subalgoE6EsNS0_10empty_typeEbEEZZNS1_14partition_implILS5_6ELb0ES3_mN6thrust23THRUST_200600_302600_NS6detail15normal_iteratorINSA_10device_ptrIsEEEEPS6_SG_NS0_5tupleIJNSA_16discard_iteratorINSA_11use_defaultEEES6_EEENSH_IJSG_SG_EEES6_PlJNSB_9not_fun_tINSB_14equal_to_valueIsEEEEEEE10hipError_tPvRmT3_T4_T5_T6_T7_T9_mT8_P12ihipStream_tbDpT10_ENKUlT_T0_E_clISt17integral_constantIbLb1EES1B_EEDaS16_S17_EUlS16_E_NS1_11comp_targetILNS1_3genE5ELNS1_11target_archE942ELNS1_3gpuE9ELNS1_3repE0EEENS1_30default_config_static_selectorELNS0_4arch9wavefront6targetE0EEEvT1_.numbered_sgpr, 0
	.set _ZN7rocprim17ROCPRIM_400000_NS6detail17trampoline_kernelINS0_14default_configENS1_25partition_config_selectorILNS1_17partition_subalgoE6EsNS0_10empty_typeEbEEZZNS1_14partition_implILS5_6ELb0ES3_mN6thrust23THRUST_200600_302600_NS6detail15normal_iteratorINSA_10device_ptrIsEEEEPS6_SG_NS0_5tupleIJNSA_16discard_iteratorINSA_11use_defaultEEES6_EEENSH_IJSG_SG_EEES6_PlJNSB_9not_fun_tINSB_14equal_to_valueIsEEEEEEE10hipError_tPvRmT3_T4_T5_T6_T7_T9_mT8_P12ihipStream_tbDpT10_ENKUlT_T0_E_clISt17integral_constantIbLb1EES1B_EEDaS16_S17_EUlS16_E_NS1_11comp_targetILNS1_3genE5ELNS1_11target_archE942ELNS1_3gpuE9ELNS1_3repE0EEENS1_30default_config_static_selectorELNS0_4arch9wavefront6targetE0EEEvT1_.num_named_barrier, 0
	.set _ZN7rocprim17ROCPRIM_400000_NS6detail17trampoline_kernelINS0_14default_configENS1_25partition_config_selectorILNS1_17partition_subalgoE6EsNS0_10empty_typeEbEEZZNS1_14partition_implILS5_6ELb0ES3_mN6thrust23THRUST_200600_302600_NS6detail15normal_iteratorINSA_10device_ptrIsEEEEPS6_SG_NS0_5tupleIJNSA_16discard_iteratorINSA_11use_defaultEEES6_EEENSH_IJSG_SG_EEES6_PlJNSB_9not_fun_tINSB_14equal_to_valueIsEEEEEEE10hipError_tPvRmT3_T4_T5_T6_T7_T9_mT8_P12ihipStream_tbDpT10_ENKUlT_T0_E_clISt17integral_constantIbLb1EES1B_EEDaS16_S17_EUlS16_E_NS1_11comp_targetILNS1_3genE5ELNS1_11target_archE942ELNS1_3gpuE9ELNS1_3repE0EEENS1_30default_config_static_selectorELNS0_4arch9wavefront6targetE0EEEvT1_.private_seg_size, 0
	.set _ZN7rocprim17ROCPRIM_400000_NS6detail17trampoline_kernelINS0_14default_configENS1_25partition_config_selectorILNS1_17partition_subalgoE6EsNS0_10empty_typeEbEEZZNS1_14partition_implILS5_6ELb0ES3_mN6thrust23THRUST_200600_302600_NS6detail15normal_iteratorINSA_10device_ptrIsEEEEPS6_SG_NS0_5tupleIJNSA_16discard_iteratorINSA_11use_defaultEEES6_EEENSH_IJSG_SG_EEES6_PlJNSB_9not_fun_tINSB_14equal_to_valueIsEEEEEEE10hipError_tPvRmT3_T4_T5_T6_T7_T9_mT8_P12ihipStream_tbDpT10_ENKUlT_T0_E_clISt17integral_constantIbLb1EES1B_EEDaS16_S17_EUlS16_E_NS1_11comp_targetILNS1_3genE5ELNS1_11target_archE942ELNS1_3gpuE9ELNS1_3repE0EEENS1_30default_config_static_selectorELNS0_4arch9wavefront6targetE0EEEvT1_.uses_vcc, 0
	.set _ZN7rocprim17ROCPRIM_400000_NS6detail17trampoline_kernelINS0_14default_configENS1_25partition_config_selectorILNS1_17partition_subalgoE6EsNS0_10empty_typeEbEEZZNS1_14partition_implILS5_6ELb0ES3_mN6thrust23THRUST_200600_302600_NS6detail15normal_iteratorINSA_10device_ptrIsEEEEPS6_SG_NS0_5tupleIJNSA_16discard_iteratorINSA_11use_defaultEEES6_EEENSH_IJSG_SG_EEES6_PlJNSB_9not_fun_tINSB_14equal_to_valueIsEEEEEEE10hipError_tPvRmT3_T4_T5_T6_T7_T9_mT8_P12ihipStream_tbDpT10_ENKUlT_T0_E_clISt17integral_constantIbLb1EES1B_EEDaS16_S17_EUlS16_E_NS1_11comp_targetILNS1_3genE5ELNS1_11target_archE942ELNS1_3gpuE9ELNS1_3repE0EEENS1_30default_config_static_selectorELNS0_4arch9wavefront6targetE0EEEvT1_.uses_flat_scratch, 0
	.set _ZN7rocprim17ROCPRIM_400000_NS6detail17trampoline_kernelINS0_14default_configENS1_25partition_config_selectorILNS1_17partition_subalgoE6EsNS0_10empty_typeEbEEZZNS1_14partition_implILS5_6ELb0ES3_mN6thrust23THRUST_200600_302600_NS6detail15normal_iteratorINSA_10device_ptrIsEEEEPS6_SG_NS0_5tupleIJNSA_16discard_iteratorINSA_11use_defaultEEES6_EEENSH_IJSG_SG_EEES6_PlJNSB_9not_fun_tINSB_14equal_to_valueIsEEEEEEE10hipError_tPvRmT3_T4_T5_T6_T7_T9_mT8_P12ihipStream_tbDpT10_ENKUlT_T0_E_clISt17integral_constantIbLb1EES1B_EEDaS16_S17_EUlS16_E_NS1_11comp_targetILNS1_3genE5ELNS1_11target_archE942ELNS1_3gpuE9ELNS1_3repE0EEENS1_30default_config_static_selectorELNS0_4arch9wavefront6targetE0EEEvT1_.has_dyn_sized_stack, 0
	.set _ZN7rocprim17ROCPRIM_400000_NS6detail17trampoline_kernelINS0_14default_configENS1_25partition_config_selectorILNS1_17partition_subalgoE6EsNS0_10empty_typeEbEEZZNS1_14partition_implILS5_6ELb0ES3_mN6thrust23THRUST_200600_302600_NS6detail15normal_iteratorINSA_10device_ptrIsEEEEPS6_SG_NS0_5tupleIJNSA_16discard_iteratorINSA_11use_defaultEEES6_EEENSH_IJSG_SG_EEES6_PlJNSB_9not_fun_tINSB_14equal_to_valueIsEEEEEEE10hipError_tPvRmT3_T4_T5_T6_T7_T9_mT8_P12ihipStream_tbDpT10_ENKUlT_T0_E_clISt17integral_constantIbLb1EES1B_EEDaS16_S17_EUlS16_E_NS1_11comp_targetILNS1_3genE5ELNS1_11target_archE942ELNS1_3gpuE9ELNS1_3repE0EEENS1_30default_config_static_selectorELNS0_4arch9wavefront6targetE0EEEvT1_.has_recursion, 0
	.set _ZN7rocprim17ROCPRIM_400000_NS6detail17trampoline_kernelINS0_14default_configENS1_25partition_config_selectorILNS1_17partition_subalgoE6EsNS0_10empty_typeEbEEZZNS1_14partition_implILS5_6ELb0ES3_mN6thrust23THRUST_200600_302600_NS6detail15normal_iteratorINSA_10device_ptrIsEEEEPS6_SG_NS0_5tupleIJNSA_16discard_iteratorINSA_11use_defaultEEES6_EEENSH_IJSG_SG_EEES6_PlJNSB_9not_fun_tINSB_14equal_to_valueIsEEEEEEE10hipError_tPvRmT3_T4_T5_T6_T7_T9_mT8_P12ihipStream_tbDpT10_ENKUlT_T0_E_clISt17integral_constantIbLb1EES1B_EEDaS16_S17_EUlS16_E_NS1_11comp_targetILNS1_3genE5ELNS1_11target_archE942ELNS1_3gpuE9ELNS1_3repE0EEENS1_30default_config_static_selectorELNS0_4arch9wavefront6targetE0EEEvT1_.has_indirect_call, 0
	.section	.AMDGPU.csdata,"",@progbits
; Kernel info:
; codeLenInByte = 0
; TotalNumSgprs: 0
; NumVgprs: 0
; ScratchSize: 0
; MemoryBound: 0
; FloatMode: 240
; IeeeMode: 1
; LDSByteSize: 0 bytes/workgroup (compile time only)
; SGPRBlocks: 0
; VGPRBlocks: 0
; NumSGPRsForWavesPerEU: 1
; NumVGPRsForWavesPerEU: 1
; Occupancy: 16
; WaveLimiterHint : 0
; COMPUTE_PGM_RSRC2:SCRATCH_EN: 0
; COMPUTE_PGM_RSRC2:USER_SGPR: 2
; COMPUTE_PGM_RSRC2:TRAP_HANDLER: 0
; COMPUTE_PGM_RSRC2:TGID_X_EN: 1
; COMPUTE_PGM_RSRC2:TGID_Y_EN: 0
; COMPUTE_PGM_RSRC2:TGID_Z_EN: 0
; COMPUTE_PGM_RSRC2:TIDIG_COMP_CNT: 0
	.section	.text._ZN7rocprim17ROCPRIM_400000_NS6detail17trampoline_kernelINS0_14default_configENS1_25partition_config_selectorILNS1_17partition_subalgoE6EsNS0_10empty_typeEbEEZZNS1_14partition_implILS5_6ELb0ES3_mN6thrust23THRUST_200600_302600_NS6detail15normal_iteratorINSA_10device_ptrIsEEEEPS6_SG_NS0_5tupleIJNSA_16discard_iteratorINSA_11use_defaultEEES6_EEENSH_IJSG_SG_EEES6_PlJNSB_9not_fun_tINSB_14equal_to_valueIsEEEEEEE10hipError_tPvRmT3_T4_T5_T6_T7_T9_mT8_P12ihipStream_tbDpT10_ENKUlT_T0_E_clISt17integral_constantIbLb1EES1B_EEDaS16_S17_EUlS16_E_NS1_11comp_targetILNS1_3genE4ELNS1_11target_archE910ELNS1_3gpuE8ELNS1_3repE0EEENS1_30default_config_static_selectorELNS0_4arch9wavefront6targetE0EEEvT1_,"axG",@progbits,_ZN7rocprim17ROCPRIM_400000_NS6detail17trampoline_kernelINS0_14default_configENS1_25partition_config_selectorILNS1_17partition_subalgoE6EsNS0_10empty_typeEbEEZZNS1_14partition_implILS5_6ELb0ES3_mN6thrust23THRUST_200600_302600_NS6detail15normal_iteratorINSA_10device_ptrIsEEEEPS6_SG_NS0_5tupleIJNSA_16discard_iteratorINSA_11use_defaultEEES6_EEENSH_IJSG_SG_EEES6_PlJNSB_9not_fun_tINSB_14equal_to_valueIsEEEEEEE10hipError_tPvRmT3_T4_T5_T6_T7_T9_mT8_P12ihipStream_tbDpT10_ENKUlT_T0_E_clISt17integral_constantIbLb1EES1B_EEDaS16_S17_EUlS16_E_NS1_11comp_targetILNS1_3genE4ELNS1_11target_archE910ELNS1_3gpuE8ELNS1_3repE0EEENS1_30default_config_static_selectorELNS0_4arch9wavefront6targetE0EEEvT1_,comdat
	.protected	_ZN7rocprim17ROCPRIM_400000_NS6detail17trampoline_kernelINS0_14default_configENS1_25partition_config_selectorILNS1_17partition_subalgoE6EsNS0_10empty_typeEbEEZZNS1_14partition_implILS5_6ELb0ES3_mN6thrust23THRUST_200600_302600_NS6detail15normal_iteratorINSA_10device_ptrIsEEEEPS6_SG_NS0_5tupleIJNSA_16discard_iteratorINSA_11use_defaultEEES6_EEENSH_IJSG_SG_EEES6_PlJNSB_9not_fun_tINSB_14equal_to_valueIsEEEEEEE10hipError_tPvRmT3_T4_T5_T6_T7_T9_mT8_P12ihipStream_tbDpT10_ENKUlT_T0_E_clISt17integral_constantIbLb1EES1B_EEDaS16_S17_EUlS16_E_NS1_11comp_targetILNS1_3genE4ELNS1_11target_archE910ELNS1_3gpuE8ELNS1_3repE0EEENS1_30default_config_static_selectorELNS0_4arch9wavefront6targetE0EEEvT1_ ; -- Begin function _ZN7rocprim17ROCPRIM_400000_NS6detail17trampoline_kernelINS0_14default_configENS1_25partition_config_selectorILNS1_17partition_subalgoE6EsNS0_10empty_typeEbEEZZNS1_14partition_implILS5_6ELb0ES3_mN6thrust23THRUST_200600_302600_NS6detail15normal_iteratorINSA_10device_ptrIsEEEEPS6_SG_NS0_5tupleIJNSA_16discard_iteratorINSA_11use_defaultEEES6_EEENSH_IJSG_SG_EEES6_PlJNSB_9not_fun_tINSB_14equal_to_valueIsEEEEEEE10hipError_tPvRmT3_T4_T5_T6_T7_T9_mT8_P12ihipStream_tbDpT10_ENKUlT_T0_E_clISt17integral_constantIbLb1EES1B_EEDaS16_S17_EUlS16_E_NS1_11comp_targetILNS1_3genE4ELNS1_11target_archE910ELNS1_3gpuE8ELNS1_3repE0EEENS1_30default_config_static_selectorELNS0_4arch9wavefront6targetE0EEEvT1_
	.globl	_ZN7rocprim17ROCPRIM_400000_NS6detail17trampoline_kernelINS0_14default_configENS1_25partition_config_selectorILNS1_17partition_subalgoE6EsNS0_10empty_typeEbEEZZNS1_14partition_implILS5_6ELb0ES3_mN6thrust23THRUST_200600_302600_NS6detail15normal_iteratorINSA_10device_ptrIsEEEEPS6_SG_NS0_5tupleIJNSA_16discard_iteratorINSA_11use_defaultEEES6_EEENSH_IJSG_SG_EEES6_PlJNSB_9not_fun_tINSB_14equal_to_valueIsEEEEEEE10hipError_tPvRmT3_T4_T5_T6_T7_T9_mT8_P12ihipStream_tbDpT10_ENKUlT_T0_E_clISt17integral_constantIbLb1EES1B_EEDaS16_S17_EUlS16_E_NS1_11comp_targetILNS1_3genE4ELNS1_11target_archE910ELNS1_3gpuE8ELNS1_3repE0EEENS1_30default_config_static_selectorELNS0_4arch9wavefront6targetE0EEEvT1_
	.p2align	8
	.type	_ZN7rocprim17ROCPRIM_400000_NS6detail17trampoline_kernelINS0_14default_configENS1_25partition_config_selectorILNS1_17partition_subalgoE6EsNS0_10empty_typeEbEEZZNS1_14partition_implILS5_6ELb0ES3_mN6thrust23THRUST_200600_302600_NS6detail15normal_iteratorINSA_10device_ptrIsEEEEPS6_SG_NS0_5tupleIJNSA_16discard_iteratorINSA_11use_defaultEEES6_EEENSH_IJSG_SG_EEES6_PlJNSB_9not_fun_tINSB_14equal_to_valueIsEEEEEEE10hipError_tPvRmT3_T4_T5_T6_T7_T9_mT8_P12ihipStream_tbDpT10_ENKUlT_T0_E_clISt17integral_constantIbLb1EES1B_EEDaS16_S17_EUlS16_E_NS1_11comp_targetILNS1_3genE4ELNS1_11target_archE910ELNS1_3gpuE8ELNS1_3repE0EEENS1_30default_config_static_selectorELNS0_4arch9wavefront6targetE0EEEvT1_,@function
_ZN7rocprim17ROCPRIM_400000_NS6detail17trampoline_kernelINS0_14default_configENS1_25partition_config_selectorILNS1_17partition_subalgoE6EsNS0_10empty_typeEbEEZZNS1_14partition_implILS5_6ELb0ES3_mN6thrust23THRUST_200600_302600_NS6detail15normal_iteratorINSA_10device_ptrIsEEEEPS6_SG_NS0_5tupleIJNSA_16discard_iteratorINSA_11use_defaultEEES6_EEENSH_IJSG_SG_EEES6_PlJNSB_9not_fun_tINSB_14equal_to_valueIsEEEEEEE10hipError_tPvRmT3_T4_T5_T6_T7_T9_mT8_P12ihipStream_tbDpT10_ENKUlT_T0_E_clISt17integral_constantIbLb1EES1B_EEDaS16_S17_EUlS16_E_NS1_11comp_targetILNS1_3genE4ELNS1_11target_archE910ELNS1_3gpuE8ELNS1_3repE0EEENS1_30default_config_static_selectorELNS0_4arch9wavefront6targetE0EEEvT1_: ; @_ZN7rocprim17ROCPRIM_400000_NS6detail17trampoline_kernelINS0_14default_configENS1_25partition_config_selectorILNS1_17partition_subalgoE6EsNS0_10empty_typeEbEEZZNS1_14partition_implILS5_6ELb0ES3_mN6thrust23THRUST_200600_302600_NS6detail15normal_iteratorINSA_10device_ptrIsEEEEPS6_SG_NS0_5tupleIJNSA_16discard_iteratorINSA_11use_defaultEEES6_EEENSH_IJSG_SG_EEES6_PlJNSB_9not_fun_tINSB_14equal_to_valueIsEEEEEEE10hipError_tPvRmT3_T4_T5_T6_T7_T9_mT8_P12ihipStream_tbDpT10_ENKUlT_T0_E_clISt17integral_constantIbLb1EES1B_EEDaS16_S17_EUlS16_E_NS1_11comp_targetILNS1_3genE4ELNS1_11target_archE910ELNS1_3gpuE8ELNS1_3repE0EEENS1_30default_config_static_selectorELNS0_4arch9wavefront6targetE0EEEvT1_
; %bb.0:
	.section	.rodata,"a",@progbits
	.p2align	6, 0x0
	.amdhsa_kernel _ZN7rocprim17ROCPRIM_400000_NS6detail17trampoline_kernelINS0_14default_configENS1_25partition_config_selectorILNS1_17partition_subalgoE6EsNS0_10empty_typeEbEEZZNS1_14partition_implILS5_6ELb0ES3_mN6thrust23THRUST_200600_302600_NS6detail15normal_iteratorINSA_10device_ptrIsEEEEPS6_SG_NS0_5tupleIJNSA_16discard_iteratorINSA_11use_defaultEEES6_EEENSH_IJSG_SG_EEES6_PlJNSB_9not_fun_tINSB_14equal_to_valueIsEEEEEEE10hipError_tPvRmT3_T4_T5_T6_T7_T9_mT8_P12ihipStream_tbDpT10_ENKUlT_T0_E_clISt17integral_constantIbLb1EES1B_EEDaS16_S17_EUlS16_E_NS1_11comp_targetILNS1_3genE4ELNS1_11target_archE910ELNS1_3gpuE8ELNS1_3repE0EEENS1_30default_config_static_selectorELNS0_4arch9wavefront6targetE0EEEvT1_
		.amdhsa_group_segment_fixed_size 0
		.amdhsa_private_segment_fixed_size 0
		.amdhsa_kernarg_size 136
		.amdhsa_user_sgpr_count 2
		.amdhsa_user_sgpr_dispatch_ptr 0
		.amdhsa_user_sgpr_queue_ptr 0
		.amdhsa_user_sgpr_kernarg_segment_ptr 1
		.amdhsa_user_sgpr_dispatch_id 0
		.amdhsa_user_sgpr_private_segment_size 0
		.amdhsa_wavefront_size32 1
		.amdhsa_uses_dynamic_stack 0
		.amdhsa_enable_private_segment 0
		.amdhsa_system_sgpr_workgroup_id_x 1
		.amdhsa_system_sgpr_workgroup_id_y 0
		.amdhsa_system_sgpr_workgroup_id_z 0
		.amdhsa_system_sgpr_workgroup_info 0
		.amdhsa_system_vgpr_workitem_id 0
		.amdhsa_next_free_vgpr 1
		.amdhsa_next_free_sgpr 1
		.amdhsa_reserve_vcc 0
		.amdhsa_float_round_mode_32 0
		.amdhsa_float_round_mode_16_64 0
		.amdhsa_float_denorm_mode_32 3
		.amdhsa_float_denorm_mode_16_64 3
		.amdhsa_fp16_overflow 0
		.amdhsa_workgroup_processor_mode 1
		.amdhsa_memory_ordered 1
		.amdhsa_forward_progress 1
		.amdhsa_inst_pref_size 0
		.amdhsa_round_robin_scheduling 0
		.amdhsa_exception_fp_ieee_invalid_op 0
		.amdhsa_exception_fp_denorm_src 0
		.amdhsa_exception_fp_ieee_div_zero 0
		.amdhsa_exception_fp_ieee_overflow 0
		.amdhsa_exception_fp_ieee_underflow 0
		.amdhsa_exception_fp_ieee_inexact 0
		.amdhsa_exception_int_div_zero 0
	.end_amdhsa_kernel
	.section	.text._ZN7rocprim17ROCPRIM_400000_NS6detail17trampoline_kernelINS0_14default_configENS1_25partition_config_selectorILNS1_17partition_subalgoE6EsNS0_10empty_typeEbEEZZNS1_14partition_implILS5_6ELb0ES3_mN6thrust23THRUST_200600_302600_NS6detail15normal_iteratorINSA_10device_ptrIsEEEEPS6_SG_NS0_5tupleIJNSA_16discard_iteratorINSA_11use_defaultEEES6_EEENSH_IJSG_SG_EEES6_PlJNSB_9not_fun_tINSB_14equal_to_valueIsEEEEEEE10hipError_tPvRmT3_T4_T5_T6_T7_T9_mT8_P12ihipStream_tbDpT10_ENKUlT_T0_E_clISt17integral_constantIbLb1EES1B_EEDaS16_S17_EUlS16_E_NS1_11comp_targetILNS1_3genE4ELNS1_11target_archE910ELNS1_3gpuE8ELNS1_3repE0EEENS1_30default_config_static_selectorELNS0_4arch9wavefront6targetE0EEEvT1_,"axG",@progbits,_ZN7rocprim17ROCPRIM_400000_NS6detail17trampoline_kernelINS0_14default_configENS1_25partition_config_selectorILNS1_17partition_subalgoE6EsNS0_10empty_typeEbEEZZNS1_14partition_implILS5_6ELb0ES3_mN6thrust23THRUST_200600_302600_NS6detail15normal_iteratorINSA_10device_ptrIsEEEEPS6_SG_NS0_5tupleIJNSA_16discard_iteratorINSA_11use_defaultEEES6_EEENSH_IJSG_SG_EEES6_PlJNSB_9not_fun_tINSB_14equal_to_valueIsEEEEEEE10hipError_tPvRmT3_T4_T5_T6_T7_T9_mT8_P12ihipStream_tbDpT10_ENKUlT_T0_E_clISt17integral_constantIbLb1EES1B_EEDaS16_S17_EUlS16_E_NS1_11comp_targetILNS1_3genE4ELNS1_11target_archE910ELNS1_3gpuE8ELNS1_3repE0EEENS1_30default_config_static_selectorELNS0_4arch9wavefront6targetE0EEEvT1_,comdat
.Lfunc_end1799:
	.size	_ZN7rocprim17ROCPRIM_400000_NS6detail17trampoline_kernelINS0_14default_configENS1_25partition_config_selectorILNS1_17partition_subalgoE6EsNS0_10empty_typeEbEEZZNS1_14partition_implILS5_6ELb0ES3_mN6thrust23THRUST_200600_302600_NS6detail15normal_iteratorINSA_10device_ptrIsEEEEPS6_SG_NS0_5tupleIJNSA_16discard_iteratorINSA_11use_defaultEEES6_EEENSH_IJSG_SG_EEES6_PlJNSB_9not_fun_tINSB_14equal_to_valueIsEEEEEEE10hipError_tPvRmT3_T4_T5_T6_T7_T9_mT8_P12ihipStream_tbDpT10_ENKUlT_T0_E_clISt17integral_constantIbLb1EES1B_EEDaS16_S17_EUlS16_E_NS1_11comp_targetILNS1_3genE4ELNS1_11target_archE910ELNS1_3gpuE8ELNS1_3repE0EEENS1_30default_config_static_selectorELNS0_4arch9wavefront6targetE0EEEvT1_, .Lfunc_end1799-_ZN7rocprim17ROCPRIM_400000_NS6detail17trampoline_kernelINS0_14default_configENS1_25partition_config_selectorILNS1_17partition_subalgoE6EsNS0_10empty_typeEbEEZZNS1_14partition_implILS5_6ELb0ES3_mN6thrust23THRUST_200600_302600_NS6detail15normal_iteratorINSA_10device_ptrIsEEEEPS6_SG_NS0_5tupleIJNSA_16discard_iteratorINSA_11use_defaultEEES6_EEENSH_IJSG_SG_EEES6_PlJNSB_9not_fun_tINSB_14equal_to_valueIsEEEEEEE10hipError_tPvRmT3_T4_T5_T6_T7_T9_mT8_P12ihipStream_tbDpT10_ENKUlT_T0_E_clISt17integral_constantIbLb1EES1B_EEDaS16_S17_EUlS16_E_NS1_11comp_targetILNS1_3genE4ELNS1_11target_archE910ELNS1_3gpuE8ELNS1_3repE0EEENS1_30default_config_static_selectorELNS0_4arch9wavefront6targetE0EEEvT1_
                                        ; -- End function
	.set _ZN7rocprim17ROCPRIM_400000_NS6detail17trampoline_kernelINS0_14default_configENS1_25partition_config_selectorILNS1_17partition_subalgoE6EsNS0_10empty_typeEbEEZZNS1_14partition_implILS5_6ELb0ES3_mN6thrust23THRUST_200600_302600_NS6detail15normal_iteratorINSA_10device_ptrIsEEEEPS6_SG_NS0_5tupleIJNSA_16discard_iteratorINSA_11use_defaultEEES6_EEENSH_IJSG_SG_EEES6_PlJNSB_9not_fun_tINSB_14equal_to_valueIsEEEEEEE10hipError_tPvRmT3_T4_T5_T6_T7_T9_mT8_P12ihipStream_tbDpT10_ENKUlT_T0_E_clISt17integral_constantIbLb1EES1B_EEDaS16_S17_EUlS16_E_NS1_11comp_targetILNS1_3genE4ELNS1_11target_archE910ELNS1_3gpuE8ELNS1_3repE0EEENS1_30default_config_static_selectorELNS0_4arch9wavefront6targetE0EEEvT1_.num_vgpr, 0
	.set _ZN7rocprim17ROCPRIM_400000_NS6detail17trampoline_kernelINS0_14default_configENS1_25partition_config_selectorILNS1_17partition_subalgoE6EsNS0_10empty_typeEbEEZZNS1_14partition_implILS5_6ELb0ES3_mN6thrust23THRUST_200600_302600_NS6detail15normal_iteratorINSA_10device_ptrIsEEEEPS6_SG_NS0_5tupleIJNSA_16discard_iteratorINSA_11use_defaultEEES6_EEENSH_IJSG_SG_EEES6_PlJNSB_9not_fun_tINSB_14equal_to_valueIsEEEEEEE10hipError_tPvRmT3_T4_T5_T6_T7_T9_mT8_P12ihipStream_tbDpT10_ENKUlT_T0_E_clISt17integral_constantIbLb1EES1B_EEDaS16_S17_EUlS16_E_NS1_11comp_targetILNS1_3genE4ELNS1_11target_archE910ELNS1_3gpuE8ELNS1_3repE0EEENS1_30default_config_static_selectorELNS0_4arch9wavefront6targetE0EEEvT1_.num_agpr, 0
	.set _ZN7rocprim17ROCPRIM_400000_NS6detail17trampoline_kernelINS0_14default_configENS1_25partition_config_selectorILNS1_17partition_subalgoE6EsNS0_10empty_typeEbEEZZNS1_14partition_implILS5_6ELb0ES3_mN6thrust23THRUST_200600_302600_NS6detail15normal_iteratorINSA_10device_ptrIsEEEEPS6_SG_NS0_5tupleIJNSA_16discard_iteratorINSA_11use_defaultEEES6_EEENSH_IJSG_SG_EEES6_PlJNSB_9not_fun_tINSB_14equal_to_valueIsEEEEEEE10hipError_tPvRmT3_T4_T5_T6_T7_T9_mT8_P12ihipStream_tbDpT10_ENKUlT_T0_E_clISt17integral_constantIbLb1EES1B_EEDaS16_S17_EUlS16_E_NS1_11comp_targetILNS1_3genE4ELNS1_11target_archE910ELNS1_3gpuE8ELNS1_3repE0EEENS1_30default_config_static_selectorELNS0_4arch9wavefront6targetE0EEEvT1_.numbered_sgpr, 0
	.set _ZN7rocprim17ROCPRIM_400000_NS6detail17trampoline_kernelINS0_14default_configENS1_25partition_config_selectorILNS1_17partition_subalgoE6EsNS0_10empty_typeEbEEZZNS1_14partition_implILS5_6ELb0ES3_mN6thrust23THRUST_200600_302600_NS6detail15normal_iteratorINSA_10device_ptrIsEEEEPS6_SG_NS0_5tupleIJNSA_16discard_iteratorINSA_11use_defaultEEES6_EEENSH_IJSG_SG_EEES6_PlJNSB_9not_fun_tINSB_14equal_to_valueIsEEEEEEE10hipError_tPvRmT3_T4_T5_T6_T7_T9_mT8_P12ihipStream_tbDpT10_ENKUlT_T0_E_clISt17integral_constantIbLb1EES1B_EEDaS16_S17_EUlS16_E_NS1_11comp_targetILNS1_3genE4ELNS1_11target_archE910ELNS1_3gpuE8ELNS1_3repE0EEENS1_30default_config_static_selectorELNS0_4arch9wavefront6targetE0EEEvT1_.num_named_barrier, 0
	.set _ZN7rocprim17ROCPRIM_400000_NS6detail17trampoline_kernelINS0_14default_configENS1_25partition_config_selectorILNS1_17partition_subalgoE6EsNS0_10empty_typeEbEEZZNS1_14partition_implILS5_6ELb0ES3_mN6thrust23THRUST_200600_302600_NS6detail15normal_iteratorINSA_10device_ptrIsEEEEPS6_SG_NS0_5tupleIJNSA_16discard_iteratorINSA_11use_defaultEEES6_EEENSH_IJSG_SG_EEES6_PlJNSB_9not_fun_tINSB_14equal_to_valueIsEEEEEEE10hipError_tPvRmT3_T4_T5_T6_T7_T9_mT8_P12ihipStream_tbDpT10_ENKUlT_T0_E_clISt17integral_constantIbLb1EES1B_EEDaS16_S17_EUlS16_E_NS1_11comp_targetILNS1_3genE4ELNS1_11target_archE910ELNS1_3gpuE8ELNS1_3repE0EEENS1_30default_config_static_selectorELNS0_4arch9wavefront6targetE0EEEvT1_.private_seg_size, 0
	.set _ZN7rocprim17ROCPRIM_400000_NS6detail17trampoline_kernelINS0_14default_configENS1_25partition_config_selectorILNS1_17partition_subalgoE6EsNS0_10empty_typeEbEEZZNS1_14partition_implILS5_6ELb0ES3_mN6thrust23THRUST_200600_302600_NS6detail15normal_iteratorINSA_10device_ptrIsEEEEPS6_SG_NS0_5tupleIJNSA_16discard_iteratorINSA_11use_defaultEEES6_EEENSH_IJSG_SG_EEES6_PlJNSB_9not_fun_tINSB_14equal_to_valueIsEEEEEEE10hipError_tPvRmT3_T4_T5_T6_T7_T9_mT8_P12ihipStream_tbDpT10_ENKUlT_T0_E_clISt17integral_constantIbLb1EES1B_EEDaS16_S17_EUlS16_E_NS1_11comp_targetILNS1_3genE4ELNS1_11target_archE910ELNS1_3gpuE8ELNS1_3repE0EEENS1_30default_config_static_selectorELNS0_4arch9wavefront6targetE0EEEvT1_.uses_vcc, 0
	.set _ZN7rocprim17ROCPRIM_400000_NS6detail17trampoline_kernelINS0_14default_configENS1_25partition_config_selectorILNS1_17partition_subalgoE6EsNS0_10empty_typeEbEEZZNS1_14partition_implILS5_6ELb0ES3_mN6thrust23THRUST_200600_302600_NS6detail15normal_iteratorINSA_10device_ptrIsEEEEPS6_SG_NS0_5tupleIJNSA_16discard_iteratorINSA_11use_defaultEEES6_EEENSH_IJSG_SG_EEES6_PlJNSB_9not_fun_tINSB_14equal_to_valueIsEEEEEEE10hipError_tPvRmT3_T4_T5_T6_T7_T9_mT8_P12ihipStream_tbDpT10_ENKUlT_T0_E_clISt17integral_constantIbLb1EES1B_EEDaS16_S17_EUlS16_E_NS1_11comp_targetILNS1_3genE4ELNS1_11target_archE910ELNS1_3gpuE8ELNS1_3repE0EEENS1_30default_config_static_selectorELNS0_4arch9wavefront6targetE0EEEvT1_.uses_flat_scratch, 0
	.set _ZN7rocprim17ROCPRIM_400000_NS6detail17trampoline_kernelINS0_14default_configENS1_25partition_config_selectorILNS1_17partition_subalgoE6EsNS0_10empty_typeEbEEZZNS1_14partition_implILS5_6ELb0ES3_mN6thrust23THRUST_200600_302600_NS6detail15normal_iteratorINSA_10device_ptrIsEEEEPS6_SG_NS0_5tupleIJNSA_16discard_iteratorINSA_11use_defaultEEES6_EEENSH_IJSG_SG_EEES6_PlJNSB_9not_fun_tINSB_14equal_to_valueIsEEEEEEE10hipError_tPvRmT3_T4_T5_T6_T7_T9_mT8_P12ihipStream_tbDpT10_ENKUlT_T0_E_clISt17integral_constantIbLb1EES1B_EEDaS16_S17_EUlS16_E_NS1_11comp_targetILNS1_3genE4ELNS1_11target_archE910ELNS1_3gpuE8ELNS1_3repE0EEENS1_30default_config_static_selectorELNS0_4arch9wavefront6targetE0EEEvT1_.has_dyn_sized_stack, 0
	.set _ZN7rocprim17ROCPRIM_400000_NS6detail17trampoline_kernelINS0_14default_configENS1_25partition_config_selectorILNS1_17partition_subalgoE6EsNS0_10empty_typeEbEEZZNS1_14partition_implILS5_6ELb0ES3_mN6thrust23THRUST_200600_302600_NS6detail15normal_iteratorINSA_10device_ptrIsEEEEPS6_SG_NS0_5tupleIJNSA_16discard_iteratorINSA_11use_defaultEEES6_EEENSH_IJSG_SG_EEES6_PlJNSB_9not_fun_tINSB_14equal_to_valueIsEEEEEEE10hipError_tPvRmT3_T4_T5_T6_T7_T9_mT8_P12ihipStream_tbDpT10_ENKUlT_T0_E_clISt17integral_constantIbLb1EES1B_EEDaS16_S17_EUlS16_E_NS1_11comp_targetILNS1_3genE4ELNS1_11target_archE910ELNS1_3gpuE8ELNS1_3repE0EEENS1_30default_config_static_selectorELNS0_4arch9wavefront6targetE0EEEvT1_.has_recursion, 0
	.set _ZN7rocprim17ROCPRIM_400000_NS6detail17trampoline_kernelINS0_14default_configENS1_25partition_config_selectorILNS1_17partition_subalgoE6EsNS0_10empty_typeEbEEZZNS1_14partition_implILS5_6ELb0ES3_mN6thrust23THRUST_200600_302600_NS6detail15normal_iteratorINSA_10device_ptrIsEEEEPS6_SG_NS0_5tupleIJNSA_16discard_iteratorINSA_11use_defaultEEES6_EEENSH_IJSG_SG_EEES6_PlJNSB_9not_fun_tINSB_14equal_to_valueIsEEEEEEE10hipError_tPvRmT3_T4_T5_T6_T7_T9_mT8_P12ihipStream_tbDpT10_ENKUlT_T0_E_clISt17integral_constantIbLb1EES1B_EEDaS16_S17_EUlS16_E_NS1_11comp_targetILNS1_3genE4ELNS1_11target_archE910ELNS1_3gpuE8ELNS1_3repE0EEENS1_30default_config_static_selectorELNS0_4arch9wavefront6targetE0EEEvT1_.has_indirect_call, 0
	.section	.AMDGPU.csdata,"",@progbits
; Kernel info:
; codeLenInByte = 0
; TotalNumSgprs: 0
; NumVgprs: 0
; ScratchSize: 0
; MemoryBound: 0
; FloatMode: 240
; IeeeMode: 1
; LDSByteSize: 0 bytes/workgroup (compile time only)
; SGPRBlocks: 0
; VGPRBlocks: 0
; NumSGPRsForWavesPerEU: 1
; NumVGPRsForWavesPerEU: 1
; Occupancy: 16
; WaveLimiterHint : 0
; COMPUTE_PGM_RSRC2:SCRATCH_EN: 0
; COMPUTE_PGM_RSRC2:USER_SGPR: 2
; COMPUTE_PGM_RSRC2:TRAP_HANDLER: 0
; COMPUTE_PGM_RSRC2:TGID_X_EN: 1
; COMPUTE_PGM_RSRC2:TGID_Y_EN: 0
; COMPUTE_PGM_RSRC2:TGID_Z_EN: 0
; COMPUTE_PGM_RSRC2:TIDIG_COMP_CNT: 0
	.section	.text._ZN7rocprim17ROCPRIM_400000_NS6detail17trampoline_kernelINS0_14default_configENS1_25partition_config_selectorILNS1_17partition_subalgoE6EsNS0_10empty_typeEbEEZZNS1_14partition_implILS5_6ELb0ES3_mN6thrust23THRUST_200600_302600_NS6detail15normal_iteratorINSA_10device_ptrIsEEEEPS6_SG_NS0_5tupleIJNSA_16discard_iteratorINSA_11use_defaultEEES6_EEENSH_IJSG_SG_EEES6_PlJNSB_9not_fun_tINSB_14equal_to_valueIsEEEEEEE10hipError_tPvRmT3_T4_T5_T6_T7_T9_mT8_P12ihipStream_tbDpT10_ENKUlT_T0_E_clISt17integral_constantIbLb1EES1B_EEDaS16_S17_EUlS16_E_NS1_11comp_targetILNS1_3genE3ELNS1_11target_archE908ELNS1_3gpuE7ELNS1_3repE0EEENS1_30default_config_static_selectorELNS0_4arch9wavefront6targetE0EEEvT1_,"axG",@progbits,_ZN7rocprim17ROCPRIM_400000_NS6detail17trampoline_kernelINS0_14default_configENS1_25partition_config_selectorILNS1_17partition_subalgoE6EsNS0_10empty_typeEbEEZZNS1_14partition_implILS5_6ELb0ES3_mN6thrust23THRUST_200600_302600_NS6detail15normal_iteratorINSA_10device_ptrIsEEEEPS6_SG_NS0_5tupleIJNSA_16discard_iteratorINSA_11use_defaultEEES6_EEENSH_IJSG_SG_EEES6_PlJNSB_9not_fun_tINSB_14equal_to_valueIsEEEEEEE10hipError_tPvRmT3_T4_T5_T6_T7_T9_mT8_P12ihipStream_tbDpT10_ENKUlT_T0_E_clISt17integral_constantIbLb1EES1B_EEDaS16_S17_EUlS16_E_NS1_11comp_targetILNS1_3genE3ELNS1_11target_archE908ELNS1_3gpuE7ELNS1_3repE0EEENS1_30default_config_static_selectorELNS0_4arch9wavefront6targetE0EEEvT1_,comdat
	.protected	_ZN7rocprim17ROCPRIM_400000_NS6detail17trampoline_kernelINS0_14default_configENS1_25partition_config_selectorILNS1_17partition_subalgoE6EsNS0_10empty_typeEbEEZZNS1_14partition_implILS5_6ELb0ES3_mN6thrust23THRUST_200600_302600_NS6detail15normal_iteratorINSA_10device_ptrIsEEEEPS6_SG_NS0_5tupleIJNSA_16discard_iteratorINSA_11use_defaultEEES6_EEENSH_IJSG_SG_EEES6_PlJNSB_9not_fun_tINSB_14equal_to_valueIsEEEEEEE10hipError_tPvRmT3_T4_T5_T6_T7_T9_mT8_P12ihipStream_tbDpT10_ENKUlT_T0_E_clISt17integral_constantIbLb1EES1B_EEDaS16_S17_EUlS16_E_NS1_11comp_targetILNS1_3genE3ELNS1_11target_archE908ELNS1_3gpuE7ELNS1_3repE0EEENS1_30default_config_static_selectorELNS0_4arch9wavefront6targetE0EEEvT1_ ; -- Begin function _ZN7rocprim17ROCPRIM_400000_NS6detail17trampoline_kernelINS0_14default_configENS1_25partition_config_selectorILNS1_17partition_subalgoE6EsNS0_10empty_typeEbEEZZNS1_14partition_implILS5_6ELb0ES3_mN6thrust23THRUST_200600_302600_NS6detail15normal_iteratorINSA_10device_ptrIsEEEEPS6_SG_NS0_5tupleIJNSA_16discard_iteratorINSA_11use_defaultEEES6_EEENSH_IJSG_SG_EEES6_PlJNSB_9not_fun_tINSB_14equal_to_valueIsEEEEEEE10hipError_tPvRmT3_T4_T5_T6_T7_T9_mT8_P12ihipStream_tbDpT10_ENKUlT_T0_E_clISt17integral_constantIbLb1EES1B_EEDaS16_S17_EUlS16_E_NS1_11comp_targetILNS1_3genE3ELNS1_11target_archE908ELNS1_3gpuE7ELNS1_3repE0EEENS1_30default_config_static_selectorELNS0_4arch9wavefront6targetE0EEEvT1_
	.globl	_ZN7rocprim17ROCPRIM_400000_NS6detail17trampoline_kernelINS0_14default_configENS1_25partition_config_selectorILNS1_17partition_subalgoE6EsNS0_10empty_typeEbEEZZNS1_14partition_implILS5_6ELb0ES3_mN6thrust23THRUST_200600_302600_NS6detail15normal_iteratorINSA_10device_ptrIsEEEEPS6_SG_NS0_5tupleIJNSA_16discard_iteratorINSA_11use_defaultEEES6_EEENSH_IJSG_SG_EEES6_PlJNSB_9not_fun_tINSB_14equal_to_valueIsEEEEEEE10hipError_tPvRmT3_T4_T5_T6_T7_T9_mT8_P12ihipStream_tbDpT10_ENKUlT_T0_E_clISt17integral_constantIbLb1EES1B_EEDaS16_S17_EUlS16_E_NS1_11comp_targetILNS1_3genE3ELNS1_11target_archE908ELNS1_3gpuE7ELNS1_3repE0EEENS1_30default_config_static_selectorELNS0_4arch9wavefront6targetE0EEEvT1_
	.p2align	8
	.type	_ZN7rocprim17ROCPRIM_400000_NS6detail17trampoline_kernelINS0_14default_configENS1_25partition_config_selectorILNS1_17partition_subalgoE6EsNS0_10empty_typeEbEEZZNS1_14partition_implILS5_6ELb0ES3_mN6thrust23THRUST_200600_302600_NS6detail15normal_iteratorINSA_10device_ptrIsEEEEPS6_SG_NS0_5tupleIJNSA_16discard_iteratorINSA_11use_defaultEEES6_EEENSH_IJSG_SG_EEES6_PlJNSB_9not_fun_tINSB_14equal_to_valueIsEEEEEEE10hipError_tPvRmT3_T4_T5_T6_T7_T9_mT8_P12ihipStream_tbDpT10_ENKUlT_T0_E_clISt17integral_constantIbLb1EES1B_EEDaS16_S17_EUlS16_E_NS1_11comp_targetILNS1_3genE3ELNS1_11target_archE908ELNS1_3gpuE7ELNS1_3repE0EEENS1_30default_config_static_selectorELNS0_4arch9wavefront6targetE0EEEvT1_,@function
_ZN7rocprim17ROCPRIM_400000_NS6detail17trampoline_kernelINS0_14default_configENS1_25partition_config_selectorILNS1_17partition_subalgoE6EsNS0_10empty_typeEbEEZZNS1_14partition_implILS5_6ELb0ES3_mN6thrust23THRUST_200600_302600_NS6detail15normal_iteratorINSA_10device_ptrIsEEEEPS6_SG_NS0_5tupleIJNSA_16discard_iteratorINSA_11use_defaultEEES6_EEENSH_IJSG_SG_EEES6_PlJNSB_9not_fun_tINSB_14equal_to_valueIsEEEEEEE10hipError_tPvRmT3_T4_T5_T6_T7_T9_mT8_P12ihipStream_tbDpT10_ENKUlT_T0_E_clISt17integral_constantIbLb1EES1B_EEDaS16_S17_EUlS16_E_NS1_11comp_targetILNS1_3genE3ELNS1_11target_archE908ELNS1_3gpuE7ELNS1_3repE0EEENS1_30default_config_static_selectorELNS0_4arch9wavefront6targetE0EEEvT1_: ; @_ZN7rocprim17ROCPRIM_400000_NS6detail17trampoline_kernelINS0_14default_configENS1_25partition_config_selectorILNS1_17partition_subalgoE6EsNS0_10empty_typeEbEEZZNS1_14partition_implILS5_6ELb0ES3_mN6thrust23THRUST_200600_302600_NS6detail15normal_iteratorINSA_10device_ptrIsEEEEPS6_SG_NS0_5tupleIJNSA_16discard_iteratorINSA_11use_defaultEEES6_EEENSH_IJSG_SG_EEES6_PlJNSB_9not_fun_tINSB_14equal_to_valueIsEEEEEEE10hipError_tPvRmT3_T4_T5_T6_T7_T9_mT8_P12ihipStream_tbDpT10_ENKUlT_T0_E_clISt17integral_constantIbLb1EES1B_EEDaS16_S17_EUlS16_E_NS1_11comp_targetILNS1_3genE3ELNS1_11target_archE908ELNS1_3gpuE7ELNS1_3repE0EEENS1_30default_config_static_selectorELNS0_4arch9wavefront6targetE0EEEvT1_
; %bb.0:
	.section	.rodata,"a",@progbits
	.p2align	6, 0x0
	.amdhsa_kernel _ZN7rocprim17ROCPRIM_400000_NS6detail17trampoline_kernelINS0_14default_configENS1_25partition_config_selectorILNS1_17partition_subalgoE6EsNS0_10empty_typeEbEEZZNS1_14partition_implILS5_6ELb0ES3_mN6thrust23THRUST_200600_302600_NS6detail15normal_iteratorINSA_10device_ptrIsEEEEPS6_SG_NS0_5tupleIJNSA_16discard_iteratorINSA_11use_defaultEEES6_EEENSH_IJSG_SG_EEES6_PlJNSB_9not_fun_tINSB_14equal_to_valueIsEEEEEEE10hipError_tPvRmT3_T4_T5_T6_T7_T9_mT8_P12ihipStream_tbDpT10_ENKUlT_T0_E_clISt17integral_constantIbLb1EES1B_EEDaS16_S17_EUlS16_E_NS1_11comp_targetILNS1_3genE3ELNS1_11target_archE908ELNS1_3gpuE7ELNS1_3repE0EEENS1_30default_config_static_selectorELNS0_4arch9wavefront6targetE0EEEvT1_
		.amdhsa_group_segment_fixed_size 0
		.amdhsa_private_segment_fixed_size 0
		.amdhsa_kernarg_size 136
		.amdhsa_user_sgpr_count 2
		.amdhsa_user_sgpr_dispatch_ptr 0
		.amdhsa_user_sgpr_queue_ptr 0
		.amdhsa_user_sgpr_kernarg_segment_ptr 1
		.amdhsa_user_sgpr_dispatch_id 0
		.amdhsa_user_sgpr_private_segment_size 0
		.amdhsa_wavefront_size32 1
		.amdhsa_uses_dynamic_stack 0
		.amdhsa_enable_private_segment 0
		.amdhsa_system_sgpr_workgroup_id_x 1
		.amdhsa_system_sgpr_workgroup_id_y 0
		.amdhsa_system_sgpr_workgroup_id_z 0
		.amdhsa_system_sgpr_workgroup_info 0
		.amdhsa_system_vgpr_workitem_id 0
		.amdhsa_next_free_vgpr 1
		.amdhsa_next_free_sgpr 1
		.amdhsa_reserve_vcc 0
		.amdhsa_float_round_mode_32 0
		.amdhsa_float_round_mode_16_64 0
		.amdhsa_float_denorm_mode_32 3
		.amdhsa_float_denorm_mode_16_64 3
		.amdhsa_fp16_overflow 0
		.amdhsa_workgroup_processor_mode 1
		.amdhsa_memory_ordered 1
		.amdhsa_forward_progress 1
		.amdhsa_inst_pref_size 0
		.amdhsa_round_robin_scheduling 0
		.amdhsa_exception_fp_ieee_invalid_op 0
		.amdhsa_exception_fp_denorm_src 0
		.amdhsa_exception_fp_ieee_div_zero 0
		.amdhsa_exception_fp_ieee_overflow 0
		.amdhsa_exception_fp_ieee_underflow 0
		.amdhsa_exception_fp_ieee_inexact 0
		.amdhsa_exception_int_div_zero 0
	.end_amdhsa_kernel
	.section	.text._ZN7rocprim17ROCPRIM_400000_NS6detail17trampoline_kernelINS0_14default_configENS1_25partition_config_selectorILNS1_17partition_subalgoE6EsNS0_10empty_typeEbEEZZNS1_14partition_implILS5_6ELb0ES3_mN6thrust23THRUST_200600_302600_NS6detail15normal_iteratorINSA_10device_ptrIsEEEEPS6_SG_NS0_5tupleIJNSA_16discard_iteratorINSA_11use_defaultEEES6_EEENSH_IJSG_SG_EEES6_PlJNSB_9not_fun_tINSB_14equal_to_valueIsEEEEEEE10hipError_tPvRmT3_T4_T5_T6_T7_T9_mT8_P12ihipStream_tbDpT10_ENKUlT_T0_E_clISt17integral_constantIbLb1EES1B_EEDaS16_S17_EUlS16_E_NS1_11comp_targetILNS1_3genE3ELNS1_11target_archE908ELNS1_3gpuE7ELNS1_3repE0EEENS1_30default_config_static_selectorELNS0_4arch9wavefront6targetE0EEEvT1_,"axG",@progbits,_ZN7rocprim17ROCPRIM_400000_NS6detail17trampoline_kernelINS0_14default_configENS1_25partition_config_selectorILNS1_17partition_subalgoE6EsNS0_10empty_typeEbEEZZNS1_14partition_implILS5_6ELb0ES3_mN6thrust23THRUST_200600_302600_NS6detail15normal_iteratorINSA_10device_ptrIsEEEEPS6_SG_NS0_5tupleIJNSA_16discard_iteratorINSA_11use_defaultEEES6_EEENSH_IJSG_SG_EEES6_PlJNSB_9not_fun_tINSB_14equal_to_valueIsEEEEEEE10hipError_tPvRmT3_T4_T5_T6_T7_T9_mT8_P12ihipStream_tbDpT10_ENKUlT_T0_E_clISt17integral_constantIbLb1EES1B_EEDaS16_S17_EUlS16_E_NS1_11comp_targetILNS1_3genE3ELNS1_11target_archE908ELNS1_3gpuE7ELNS1_3repE0EEENS1_30default_config_static_selectorELNS0_4arch9wavefront6targetE0EEEvT1_,comdat
.Lfunc_end1800:
	.size	_ZN7rocprim17ROCPRIM_400000_NS6detail17trampoline_kernelINS0_14default_configENS1_25partition_config_selectorILNS1_17partition_subalgoE6EsNS0_10empty_typeEbEEZZNS1_14partition_implILS5_6ELb0ES3_mN6thrust23THRUST_200600_302600_NS6detail15normal_iteratorINSA_10device_ptrIsEEEEPS6_SG_NS0_5tupleIJNSA_16discard_iteratorINSA_11use_defaultEEES6_EEENSH_IJSG_SG_EEES6_PlJNSB_9not_fun_tINSB_14equal_to_valueIsEEEEEEE10hipError_tPvRmT3_T4_T5_T6_T7_T9_mT8_P12ihipStream_tbDpT10_ENKUlT_T0_E_clISt17integral_constantIbLb1EES1B_EEDaS16_S17_EUlS16_E_NS1_11comp_targetILNS1_3genE3ELNS1_11target_archE908ELNS1_3gpuE7ELNS1_3repE0EEENS1_30default_config_static_selectorELNS0_4arch9wavefront6targetE0EEEvT1_, .Lfunc_end1800-_ZN7rocprim17ROCPRIM_400000_NS6detail17trampoline_kernelINS0_14default_configENS1_25partition_config_selectorILNS1_17partition_subalgoE6EsNS0_10empty_typeEbEEZZNS1_14partition_implILS5_6ELb0ES3_mN6thrust23THRUST_200600_302600_NS6detail15normal_iteratorINSA_10device_ptrIsEEEEPS6_SG_NS0_5tupleIJNSA_16discard_iteratorINSA_11use_defaultEEES6_EEENSH_IJSG_SG_EEES6_PlJNSB_9not_fun_tINSB_14equal_to_valueIsEEEEEEE10hipError_tPvRmT3_T4_T5_T6_T7_T9_mT8_P12ihipStream_tbDpT10_ENKUlT_T0_E_clISt17integral_constantIbLb1EES1B_EEDaS16_S17_EUlS16_E_NS1_11comp_targetILNS1_3genE3ELNS1_11target_archE908ELNS1_3gpuE7ELNS1_3repE0EEENS1_30default_config_static_selectorELNS0_4arch9wavefront6targetE0EEEvT1_
                                        ; -- End function
	.set _ZN7rocprim17ROCPRIM_400000_NS6detail17trampoline_kernelINS0_14default_configENS1_25partition_config_selectorILNS1_17partition_subalgoE6EsNS0_10empty_typeEbEEZZNS1_14partition_implILS5_6ELb0ES3_mN6thrust23THRUST_200600_302600_NS6detail15normal_iteratorINSA_10device_ptrIsEEEEPS6_SG_NS0_5tupleIJNSA_16discard_iteratorINSA_11use_defaultEEES6_EEENSH_IJSG_SG_EEES6_PlJNSB_9not_fun_tINSB_14equal_to_valueIsEEEEEEE10hipError_tPvRmT3_T4_T5_T6_T7_T9_mT8_P12ihipStream_tbDpT10_ENKUlT_T0_E_clISt17integral_constantIbLb1EES1B_EEDaS16_S17_EUlS16_E_NS1_11comp_targetILNS1_3genE3ELNS1_11target_archE908ELNS1_3gpuE7ELNS1_3repE0EEENS1_30default_config_static_selectorELNS0_4arch9wavefront6targetE0EEEvT1_.num_vgpr, 0
	.set _ZN7rocprim17ROCPRIM_400000_NS6detail17trampoline_kernelINS0_14default_configENS1_25partition_config_selectorILNS1_17partition_subalgoE6EsNS0_10empty_typeEbEEZZNS1_14partition_implILS5_6ELb0ES3_mN6thrust23THRUST_200600_302600_NS6detail15normal_iteratorINSA_10device_ptrIsEEEEPS6_SG_NS0_5tupleIJNSA_16discard_iteratorINSA_11use_defaultEEES6_EEENSH_IJSG_SG_EEES6_PlJNSB_9not_fun_tINSB_14equal_to_valueIsEEEEEEE10hipError_tPvRmT3_T4_T5_T6_T7_T9_mT8_P12ihipStream_tbDpT10_ENKUlT_T0_E_clISt17integral_constantIbLb1EES1B_EEDaS16_S17_EUlS16_E_NS1_11comp_targetILNS1_3genE3ELNS1_11target_archE908ELNS1_3gpuE7ELNS1_3repE0EEENS1_30default_config_static_selectorELNS0_4arch9wavefront6targetE0EEEvT1_.num_agpr, 0
	.set _ZN7rocprim17ROCPRIM_400000_NS6detail17trampoline_kernelINS0_14default_configENS1_25partition_config_selectorILNS1_17partition_subalgoE6EsNS0_10empty_typeEbEEZZNS1_14partition_implILS5_6ELb0ES3_mN6thrust23THRUST_200600_302600_NS6detail15normal_iteratorINSA_10device_ptrIsEEEEPS6_SG_NS0_5tupleIJNSA_16discard_iteratorINSA_11use_defaultEEES6_EEENSH_IJSG_SG_EEES6_PlJNSB_9not_fun_tINSB_14equal_to_valueIsEEEEEEE10hipError_tPvRmT3_T4_T5_T6_T7_T9_mT8_P12ihipStream_tbDpT10_ENKUlT_T0_E_clISt17integral_constantIbLb1EES1B_EEDaS16_S17_EUlS16_E_NS1_11comp_targetILNS1_3genE3ELNS1_11target_archE908ELNS1_3gpuE7ELNS1_3repE0EEENS1_30default_config_static_selectorELNS0_4arch9wavefront6targetE0EEEvT1_.numbered_sgpr, 0
	.set _ZN7rocprim17ROCPRIM_400000_NS6detail17trampoline_kernelINS0_14default_configENS1_25partition_config_selectorILNS1_17partition_subalgoE6EsNS0_10empty_typeEbEEZZNS1_14partition_implILS5_6ELb0ES3_mN6thrust23THRUST_200600_302600_NS6detail15normal_iteratorINSA_10device_ptrIsEEEEPS6_SG_NS0_5tupleIJNSA_16discard_iteratorINSA_11use_defaultEEES6_EEENSH_IJSG_SG_EEES6_PlJNSB_9not_fun_tINSB_14equal_to_valueIsEEEEEEE10hipError_tPvRmT3_T4_T5_T6_T7_T9_mT8_P12ihipStream_tbDpT10_ENKUlT_T0_E_clISt17integral_constantIbLb1EES1B_EEDaS16_S17_EUlS16_E_NS1_11comp_targetILNS1_3genE3ELNS1_11target_archE908ELNS1_3gpuE7ELNS1_3repE0EEENS1_30default_config_static_selectorELNS0_4arch9wavefront6targetE0EEEvT1_.num_named_barrier, 0
	.set _ZN7rocprim17ROCPRIM_400000_NS6detail17trampoline_kernelINS0_14default_configENS1_25partition_config_selectorILNS1_17partition_subalgoE6EsNS0_10empty_typeEbEEZZNS1_14partition_implILS5_6ELb0ES3_mN6thrust23THRUST_200600_302600_NS6detail15normal_iteratorINSA_10device_ptrIsEEEEPS6_SG_NS0_5tupleIJNSA_16discard_iteratorINSA_11use_defaultEEES6_EEENSH_IJSG_SG_EEES6_PlJNSB_9not_fun_tINSB_14equal_to_valueIsEEEEEEE10hipError_tPvRmT3_T4_T5_T6_T7_T9_mT8_P12ihipStream_tbDpT10_ENKUlT_T0_E_clISt17integral_constantIbLb1EES1B_EEDaS16_S17_EUlS16_E_NS1_11comp_targetILNS1_3genE3ELNS1_11target_archE908ELNS1_3gpuE7ELNS1_3repE0EEENS1_30default_config_static_selectorELNS0_4arch9wavefront6targetE0EEEvT1_.private_seg_size, 0
	.set _ZN7rocprim17ROCPRIM_400000_NS6detail17trampoline_kernelINS0_14default_configENS1_25partition_config_selectorILNS1_17partition_subalgoE6EsNS0_10empty_typeEbEEZZNS1_14partition_implILS5_6ELb0ES3_mN6thrust23THRUST_200600_302600_NS6detail15normal_iteratorINSA_10device_ptrIsEEEEPS6_SG_NS0_5tupleIJNSA_16discard_iteratorINSA_11use_defaultEEES6_EEENSH_IJSG_SG_EEES6_PlJNSB_9not_fun_tINSB_14equal_to_valueIsEEEEEEE10hipError_tPvRmT3_T4_T5_T6_T7_T9_mT8_P12ihipStream_tbDpT10_ENKUlT_T0_E_clISt17integral_constantIbLb1EES1B_EEDaS16_S17_EUlS16_E_NS1_11comp_targetILNS1_3genE3ELNS1_11target_archE908ELNS1_3gpuE7ELNS1_3repE0EEENS1_30default_config_static_selectorELNS0_4arch9wavefront6targetE0EEEvT1_.uses_vcc, 0
	.set _ZN7rocprim17ROCPRIM_400000_NS6detail17trampoline_kernelINS0_14default_configENS1_25partition_config_selectorILNS1_17partition_subalgoE6EsNS0_10empty_typeEbEEZZNS1_14partition_implILS5_6ELb0ES3_mN6thrust23THRUST_200600_302600_NS6detail15normal_iteratorINSA_10device_ptrIsEEEEPS6_SG_NS0_5tupleIJNSA_16discard_iteratorINSA_11use_defaultEEES6_EEENSH_IJSG_SG_EEES6_PlJNSB_9not_fun_tINSB_14equal_to_valueIsEEEEEEE10hipError_tPvRmT3_T4_T5_T6_T7_T9_mT8_P12ihipStream_tbDpT10_ENKUlT_T0_E_clISt17integral_constantIbLb1EES1B_EEDaS16_S17_EUlS16_E_NS1_11comp_targetILNS1_3genE3ELNS1_11target_archE908ELNS1_3gpuE7ELNS1_3repE0EEENS1_30default_config_static_selectorELNS0_4arch9wavefront6targetE0EEEvT1_.uses_flat_scratch, 0
	.set _ZN7rocprim17ROCPRIM_400000_NS6detail17trampoline_kernelINS0_14default_configENS1_25partition_config_selectorILNS1_17partition_subalgoE6EsNS0_10empty_typeEbEEZZNS1_14partition_implILS5_6ELb0ES3_mN6thrust23THRUST_200600_302600_NS6detail15normal_iteratorINSA_10device_ptrIsEEEEPS6_SG_NS0_5tupleIJNSA_16discard_iteratorINSA_11use_defaultEEES6_EEENSH_IJSG_SG_EEES6_PlJNSB_9not_fun_tINSB_14equal_to_valueIsEEEEEEE10hipError_tPvRmT3_T4_T5_T6_T7_T9_mT8_P12ihipStream_tbDpT10_ENKUlT_T0_E_clISt17integral_constantIbLb1EES1B_EEDaS16_S17_EUlS16_E_NS1_11comp_targetILNS1_3genE3ELNS1_11target_archE908ELNS1_3gpuE7ELNS1_3repE0EEENS1_30default_config_static_selectorELNS0_4arch9wavefront6targetE0EEEvT1_.has_dyn_sized_stack, 0
	.set _ZN7rocprim17ROCPRIM_400000_NS6detail17trampoline_kernelINS0_14default_configENS1_25partition_config_selectorILNS1_17partition_subalgoE6EsNS0_10empty_typeEbEEZZNS1_14partition_implILS5_6ELb0ES3_mN6thrust23THRUST_200600_302600_NS6detail15normal_iteratorINSA_10device_ptrIsEEEEPS6_SG_NS0_5tupleIJNSA_16discard_iteratorINSA_11use_defaultEEES6_EEENSH_IJSG_SG_EEES6_PlJNSB_9not_fun_tINSB_14equal_to_valueIsEEEEEEE10hipError_tPvRmT3_T4_T5_T6_T7_T9_mT8_P12ihipStream_tbDpT10_ENKUlT_T0_E_clISt17integral_constantIbLb1EES1B_EEDaS16_S17_EUlS16_E_NS1_11comp_targetILNS1_3genE3ELNS1_11target_archE908ELNS1_3gpuE7ELNS1_3repE0EEENS1_30default_config_static_selectorELNS0_4arch9wavefront6targetE0EEEvT1_.has_recursion, 0
	.set _ZN7rocprim17ROCPRIM_400000_NS6detail17trampoline_kernelINS0_14default_configENS1_25partition_config_selectorILNS1_17partition_subalgoE6EsNS0_10empty_typeEbEEZZNS1_14partition_implILS5_6ELb0ES3_mN6thrust23THRUST_200600_302600_NS6detail15normal_iteratorINSA_10device_ptrIsEEEEPS6_SG_NS0_5tupleIJNSA_16discard_iteratorINSA_11use_defaultEEES6_EEENSH_IJSG_SG_EEES6_PlJNSB_9not_fun_tINSB_14equal_to_valueIsEEEEEEE10hipError_tPvRmT3_T4_T5_T6_T7_T9_mT8_P12ihipStream_tbDpT10_ENKUlT_T0_E_clISt17integral_constantIbLb1EES1B_EEDaS16_S17_EUlS16_E_NS1_11comp_targetILNS1_3genE3ELNS1_11target_archE908ELNS1_3gpuE7ELNS1_3repE0EEENS1_30default_config_static_selectorELNS0_4arch9wavefront6targetE0EEEvT1_.has_indirect_call, 0
	.section	.AMDGPU.csdata,"",@progbits
; Kernel info:
; codeLenInByte = 0
; TotalNumSgprs: 0
; NumVgprs: 0
; ScratchSize: 0
; MemoryBound: 0
; FloatMode: 240
; IeeeMode: 1
; LDSByteSize: 0 bytes/workgroup (compile time only)
; SGPRBlocks: 0
; VGPRBlocks: 0
; NumSGPRsForWavesPerEU: 1
; NumVGPRsForWavesPerEU: 1
; Occupancy: 16
; WaveLimiterHint : 0
; COMPUTE_PGM_RSRC2:SCRATCH_EN: 0
; COMPUTE_PGM_RSRC2:USER_SGPR: 2
; COMPUTE_PGM_RSRC2:TRAP_HANDLER: 0
; COMPUTE_PGM_RSRC2:TGID_X_EN: 1
; COMPUTE_PGM_RSRC2:TGID_Y_EN: 0
; COMPUTE_PGM_RSRC2:TGID_Z_EN: 0
; COMPUTE_PGM_RSRC2:TIDIG_COMP_CNT: 0
	.section	.text._ZN7rocprim17ROCPRIM_400000_NS6detail17trampoline_kernelINS0_14default_configENS1_25partition_config_selectorILNS1_17partition_subalgoE6EsNS0_10empty_typeEbEEZZNS1_14partition_implILS5_6ELb0ES3_mN6thrust23THRUST_200600_302600_NS6detail15normal_iteratorINSA_10device_ptrIsEEEEPS6_SG_NS0_5tupleIJNSA_16discard_iteratorINSA_11use_defaultEEES6_EEENSH_IJSG_SG_EEES6_PlJNSB_9not_fun_tINSB_14equal_to_valueIsEEEEEEE10hipError_tPvRmT3_T4_T5_T6_T7_T9_mT8_P12ihipStream_tbDpT10_ENKUlT_T0_E_clISt17integral_constantIbLb1EES1B_EEDaS16_S17_EUlS16_E_NS1_11comp_targetILNS1_3genE2ELNS1_11target_archE906ELNS1_3gpuE6ELNS1_3repE0EEENS1_30default_config_static_selectorELNS0_4arch9wavefront6targetE0EEEvT1_,"axG",@progbits,_ZN7rocprim17ROCPRIM_400000_NS6detail17trampoline_kernelINS0_14default_configENS1_25partition_config_selectorILNS1_17partition_subalgoE6EsNS0_10empty_typeEbEEZZNS1_14partition_implILS5_6ELb0ES3_mN6thrust23THRUST_200600_302600_NS6detail15normal_iteratorINSA_10device_ptrIsEEEEPS6_SG_NS0_5tupleIJNSA_16discard_iteratorINSA_11use_defaultEEES6_EEENSH_IJSG_SG_EEES6_PlJNSB_9not_fun_tINSB_14equal_to_valueIsEEEEEEE10hipError_tPvRmT3_T4_T5_T6_T7_T9_mT8_P12ihipStream_tbDpT10_ENKUlT_T0_E_clISt17integral_constantIbLb1EES1B_EEDaS16_S17_EUlS16_E_NS1_11comp_targetILNS1_3genE2ELNS1_11target_archE906ELNS1_3gpuE6ELNS1_3repE0EEENS1_30default_config_static_selectorELNS0_4arch9wavefront6targetE0EEEvT1_,comdat
	.protected	_ZN7rocprim17ROCPRIM_400000_NS6detail17trampoline_kernelINS0_14default_configENS1_25partition_config_selectorILNS1_17partition_subalgoE6EsNS0_10empty_typeEbEEZZNS1_14partition_implILS5_6ELb0ES3_mN6thrust23THRUST_200600_302600_NS6detail15normal_iteratorINSA_10device_ptrIsEEEEPS6_SG_NS0_5tupleIJNSA_16discard_iteratorINSA_11use_defaultEEES6_EEENSH_IJSG_SG_EEES6_PlJNSB_9not_fun_tINSB_14equal_to_valueIsEEEEEEE10hipError_tPvRmT3_T4_T5_T6_T7_T9_mT8_P12ihipStream_tbDpT10_ENKUlT_T0_E_clISt17integral_constantIbLb1EES1B_EEDaS16_S17_EUlS16_E_NS1_11comp_targetILNS1_3genE2ELNS1_11target_archE906ELNS1_3gpuE6ELNS1_3repE0EEENS1_30default_config_static_selectorELNS0_4arch9wavefront6targetE0EEEvT1_ ; -- Begin function _ZN7rocprim17ROCPRIM_400000_NS6detail17trampoline_kernelINS0_14default_configENS1_25partition_config_selectorILNS1_17partition_subalgoE6EsNS0_10empty_typeEbEEZZNS1_14partition_implILS5_6ELb0ES3_mN6thrust23THRUST_200600_302600_NS6detail15normal_iteratorINSA_10device_ptrIsEEEEPS6_SG_NS0_5tupleIJNSA_16discard_iteratorINSA_11use_defaultEEES6_EEENSH_IJSG_SG_EEES6_PlJNSB_9not_fun_tINSB_14equal_to_valueIsEEEEEEE10hipError_tPvRmT3_T4_T5_T6_T7_T9_mT8_P12ihipStream_tbDpT10_ENKUlT_T0_E_clISt17integral_constantIbLb1EES1B_EEDaS16_S17_EUlS16_E_NS1_11comp_targetILNS1_3genE2ELNS1_11target_archE906ELNS1_3gpuE6ELNS1_3repE0EEENS1_30default_config_static_selectorELNS0_4arch9wavefront6targetE0EEEvT1_
	.globl	_ZN7rocprim17ROCPRIM_400000_NS6detail17trampoline_kernelINS0_14default_configENS1_25partition_config_selectorILNS1_17partition_subalgoE6EsNS0_10empty_typeEbEEZZNS1_14partition_implILS5_6ELb0ES3_mN6thrust23THRUST_200600_302600_NS6detail15normal_iteratorINSA_10device_ptrIsEEEEPS6_SG_NS0_5tupleIJNSA_16discard_iteratorINSA_11use_defaultEEES6_EEENSH_IJSG_SG_EEES6_PlJNSB_9not_fun_tINSB_14equal_to_valueIsEEEEEEE10hipError_tPvRmT3_T4_T5_T6_T7_T9_mT8_P12ihipStream_tbDpT10_ENKUlT_T0_E_clISt17integral_constantIbLb1EES1B_EEDaS16_S17_EUlS16_E_NS1_11comp_targetILNS1_3genE2ELNS1_11target_archE906ELNS1_3gpuE6ELNS1_3repE0EEENS1_30default_config_static_selectorELNS0_4arch9wavefront6targetE0EEEvT1_
	.p2align	8
	.type	_ZN7rocprim17ROCPRIM_400000_NS6detail17trampoline_kernelINS0_14default_configENS1_25partition_config_selectorILNS1_17partition_subalgoE6EsNS0_10empty_typeEbEEZZNS1_14partition_implILS5_6ELb0ES3_mN6thrust23THRUST_200600_302600_NS6detail15normal_iteratorINSA_10device_ptrIsEEEEPS6_SG_NS0_5tupleIJNSA_16discard_iteratorINSA_11use_defaultEEES6_EEENSH_IJSG_SG_EEES6_PlJNSB_9not_fun_tINSB_14equal_to_valueIsEEEEEEE10hipError_tPvRmT3_T4_T5_T6_T7_T9_mT8_P12ihipStream_tbDpT10_ENKUlT_T0_E_clISt17integral_constantIbLb1EES1B_EEDaS16_S17_EUlS16_E_NS1_11comp_targetILNS1_3genE2ELNS1_11target_archE906ELNS1_3gpuE6ELNS1_3repE0EEENS1_30default_config_static_selectorELNS0_4arch9wavefront6targetE0EEEvT1_,@function
_ZN7rocprim17ROCPRIM_400000_NS6detail17trampoline_kernelINS0_14default_configENS1_25partition_config_selectorILNS1_17partition_subalgoE6EsNS0_10empty_typeEbEEZZNS1_14partition_implILS5_6ELb0ES3_mN6thrust23THRUST_200600_302600_NS6detail15normal_iteratorINSA_10device_ptrIsEEEEPS6_SG_NS0_5tupleIJNSA_16discard_iteratorINSA_11use_defaultEEES6_EEENSH_IJSG_SG_EEES6_PlJNSB_9not_fun_tINSB_14equal_to_valueIsEEEEEEE10hipError_tPvRmT3_T4_T5_T6_T7_T9_mT8_P12ihipStream_tbDpT10_ENKUlT_T0_E_clISt17integral_constantIbLb1EES1B_EEDaS16_S17_EUlS16_E_NS1_11comp_targetILNS1_3genE2ELNS1_11target_archE906ELNS1_3gpuE6ELNS1_3repE0EEENS1_30default_config_static_selectorELNS0_4arch9wavefront6targetE0EEEvT1_: ; @_ZN7rocprim17ROCPRIM_400000_NS6detail17trampoline_kernelINS0_14default_configENS1_25partition_config_selectorILNS1_17partition_subalgoE6EsNS0_10empty_typeEbEEZZNS1_14partition_implILS5_6ELb0ES3_mN6thrust23THRUST_200600_302600_NS6detail15normal_iteratorINSA_10device_ptrIsEEEEPS6_SG_NS0_5tupleIJNSA_16discard_iteratorINSA_11use_defaultEEES6_EEENSH_IJSG_SG_EEES6_PlJNSB_9not_fun_tINSB_14equal_to_valueIsEEEEEEE10hipError_tPvRmT3_T4_T5_T6_T7_T9_mT8_P12ihipStream_tbDpT10_ENKUlT_T0_E_clISt17integral_constantIbLb1EES1B_EEDaS16_S17_EUlS16_E_NS1_11comp_targetILNS1_3genE2ELNS1_11target_archE906ELNS1_3gpuE6ELNS1_3repE0EEENS1_30default_config_static_selectorELNS0_4arch9wavefront6targetE0EEEvT1_
; %bb.0:
	.section	.rodata,"a",@progbits
	.p2align	6, 0x0
	.amdhsa_kernel _ZN7rocprim17ROCPRIM_400000_NS6detail17trampoline_kernelINS0_14default_configENS1_25partition_config_selectorILNS1_17partition_subalgoE6EsNS0_10empty_typeEbEEZZNS1_14partition_implILS5_6ELb0ES3_mN6thrust23THRUST_200600_302600_NS6detail15normal_iteratorINSA_10device_ptrIsEEEEPS6_SG_NS0_5tupleIJNSA_16discard_iteratorINSA_11use_defaultEEES6_EEENSH_IJSG_SG_EEES6_PlJNSB_9not_fun_tINSB_14equal_to_valueIsEEEEEEE10hipError_tPvRmT3_T4_T5_T6_T7_T9_mT8_P12ihipStream_tbDpT10_ENKUlT_T0_E_clISt17integral_constantIbLb1EES1B_EEDaS16_S17_EUlS16_E_NS1_11comp_targetILNS1_3genE2ELNS1_11target_archE906ELNS1_3gpuE6ELNS1_3repE0EEENS1_30default_config_static_selectorELNS0_4arch9wavefront6targetE0EEEvT1_
		.amdhsa_group_segment_fixed_size 0
		.amdhsa_private_segment_fixed_size 0
		.amdhsa_kernarg_size 136
		.amdhsa_user_sgpr_count 2
		.amdhsa_user_sgpr_dispatch_ptr 0
		.amdhsa_user_sgpr_queue_ptr 0
		.amdhsa_user_sgpr_kernarg_segment_ptr 1
		.amdhsa_user_sgpr_dispatch_id 0
		.amdhsa_user_sgpr_private_segment_size 0
		.amdhsa_wavefront_size32 1
		.amdhsa_uses_dynamic_stack 0
		.amdhsa_enable_private_segment 0
		.amdhsa_system_sgpr_workgroup_id_x 1
		.amdhsa_system_sgpr_workgroup_id_y 0
		.amdhsa_system_sgpr_workgroup_id_z 0
		.amdhsa_system_sgpr_workgroup_info 0
		.amdhsa_system_vgpr_workitem_id 0
		.amdhsa_next_free_vgpr 1
		.amdhsa_next_free_sgpr 1
		.amdhsa_reserve_vcc 0
		.amdhsa_float_round_mode_32 0
		.amdhsa_float_round_mode_16_64 0
		.amdhsa_float_denorm_mode_32 3
		.amdhsa_float_denorm_mode_16_64 3
		.amdhsa_fp16_overflow 0
		.amdhsa_workgroup_processor_mode 1
		.amdhsa_memory_ordered 1
		.amdhsa_forward_progress 1
		.amdhsa_inst_pref_size 0
		.amdhsa_round_robin_scheduling 0
		.amdhsa_exception_fp_ieee_invalid_op 0
		.amdhsa_exception_fp_denorm_src 0
		.amdhsa_exception_fp_ieee_div_zero 0
		.amdhsa_exception_fp_ieee_overflow 0
		.amdhsa_exception_fp_ieee_underflow 0
		.amdhsa_exception_fp_ieee_inexact 0
		.amdhsa_exception_int_div_zero 0
	.end_amdhsa_kernel
	.section	.text._ZN7rocprim17ROCPRIM_400000_NS6detail17trampoline_kernelINS0_14default_configENS1_25partition_config_selectorILNS1_17partition_subalgoE6EsNS0_10empty_typeEbEEZZNS1_14partition_implILS5_6ELb0ES3_mN6thrust23THRUST_200600_302600_NS6detail15normal_iteratorINSA_10device_ptrIsEEEEPS6_SG_NS0_5tupleIJNSA_16discard_iteratorINSA_11use_defaultEEES6_EEENSH_IJSG_SG_EEES6_PlJNSB_9not_fun_tINSB_14equal_to_valueIsEEEEEEE10hipError_tPvRmT3_T4_T5_T6_T7_T9_mT8_P12ihipStream_tbDpT10_ENKUlT_T0_E_clISt17integral_constantIbLb1EES1B_EEDaS16_S17_EUlS16_E_NS1_11comp_targetILNS1_3genE2ELNS1_11target_archE906ELNS1_3gpuE6ELNS1_3repE0EEENS1_30default_config_static_selectorELNS0_4arch9wavefront6targetE0EEEvT1_,"axG",@progbits,_ZN7rocprim17ROCPRIM_400000_NS6detail17trampoline_kernelINS0_14default_configENS1_25partition_config_selectorILNS1_17partition_subalgoE6EsNS0_10empty_typeEbEEZZNS1_14partition_implILS5_6ELb0ES3_mN6thrust23THRUST_200600_302600_NS6detail15normal_iteratorINSA_10device_ptrIsEEEEPS6_SG_NS0_5tupleIJNSA_16discard_iteratorINSA_11use_defaultEEES6_EEENSH_IJSG_SG_EEES6_PlJNSB_9not_fun_tINSB_14equal_to_valueIsEEEEEEE10hipError_tPvRmT3_T4_T5_T6_T7_T9_mT8_P12ihipStream_tbDpT10_ENKUlT_T0_E_clISt17integral_constantIbLb1EES1B_EEDaS16_S17_EUlS16_E_NS1_11comp_targetILNS1_3genE2ELNS1_11target_archE906ELNS1_3gpuE6ELNS1_3repE0EEENS1_30default_config_static_selectorELNS0_4arch9wavefront6targetE0EEEvT1_,comdat
.Lfunc_end1801:
	.size	_ZN7rocprim17ROCPRIM_400000_NS6detail17trampoline_kernelINS0_14default_configENS1_25partition_config_selectorILNS1_17partition_subalgoE6EsNS0_10empty_typeEbEEZZNS1_14partition_implILS5_6ELb0ES3_mN6thrust23THRUST_200600_302600_NS6detail15normal_iteratorINSA_10device_ptrIsEEEEPS6_SG_NS0_5tupleIJNSA_16discard_iteratorINSA_11use_defaultEEES6_EEENSH_IJSG_SG_EEES6_PlJNSB_9not_fun_tINSB_14equal_to_valueIsEEEEEEE10hipError_tPvRmT3_T4_T5_T6_T7_T9_mT8_P12ihipStream_tbDpT10_ENKUlT_T0_E_clISt17integral_constantIbLb1EES1B_EEDaS16_S17_EUlS16_E_NS1_11comp_targetILNS1_3genE2ELNS1_11target_archE906ELNS1_3gpuE6ELNS1_3repE0EEENS1_30default_config_static_selectorELNS0_4arch9wavefront6targetE0EEEvT1_, .Lfunc_end1801-_ZN7rocprim17ROCPRIM_400000_NS6detail17trampoline_kernelINS0_14default_configENS1_25partition_config_selectorILNS1_17partition_subalgoE6EsNS0_10empty_typeEbEEZZNS1_14partition_implILS5_6ELb0ES3_mN6thrust23THRUST_200600_302600_NS6detail15normal_iteratorINSA_10device_ptrIsEEEEPS6_SG_NS0_5tupleIJNSA_16discard_iteratorINSA_11use_defaultEEES6_EEENSH_IJSG_SG_EEES6_PlJNSB_9not_fun_tINSB_14equal_to_valueIsEEEEEEE10hipError_tPvRmT3_T4_T5_T6_T7_T9_mT8_P12ihipStream_tbDpT10_ENKUlT_T0_E_clISt17integral_constantIbLb1EES1B_EEDaS16_S17_EUlS16_E_NS1_11comp_targetILNS1_3genE2ELNS1_11target_archE906ELNS1_3gpuE6ELNS1_3repE0EEENS1_30default_config_static_selectorELNS0_4arch9wavefront6targetE0EEEvT1_
                                        ; -- End function
	.set _ZN7rocprim17ROCPRIM_400000_NS6detail17trampoline_kernelINS0_14default_configENS1_25partition_config_selectorILNS1_17partition_subalgoE6EsNS0_10empty_typeEbEEZZNS1_14partition_implILS5_6ELb0ES3_mN6thrust23THRUST_200600_302600_NS6detail15normal_iteratorINSA_10device_ptrIsEEEEPS6_SG_NS0_5tupleIJNSA_16discard_iteratorINSA_11use_defaultEEES6_EEENSH_IJSG_SG_EEES6_PlJNSB_9not_fun_tINSB_14equal_to_valueIsEEEEEEE10hipError_tPvRmT3_T4_T5_T6_T7_T9_mT8_P12ihipStream_tbDpT10_ENKUlT_T0_E_clISt17integral_constantIbLb1EES1B_EEDaS16_S17_EUlS16_E_NS1_11comp_targetILNS1_3genE2ELNS1_11target_archE906ELNS1_3gpuE6ELNS1_3repE0EEENS1_30default_config_static_selectorELNS0_4arch9wavefront6targetE0EEEvT1_.num_vgpr, 0
	.set _ZN7rocprim17ROCPRIM_400000_NS6detail17trampoline_kernelINS0_14default_configENS1_25partition_config_selectorILNS1_17partition_subalgoE6EsNS0_10empty_typeEbEEZZNS1_14partition_implILS5_6ELb0ES3_mN6thrust23THRUST_200600_302600_NS6detail15normal_iteratorINSA_10device_ptrIsEEEEPS6_SG_NS0_5tupleIJNSA_16discard_iteratorINSA_11use_defaultEEES6_EEENSH_IJSG_SG_EEES6_PlJNSB_9not_fun_tINSB_14equal_to_valueIsEEEEEEE10hipError_tPvRmT3_T4_T5_T6_T7_T9_mT8_P12ihipStream_tbDpT10_ENKUlT_T0_E_clISt17integral_constantIbLb1EES1B_EEDaS16_S17_EUlS16_E_NS1_11comp_targetILNS1_3genE2ELNS1_11target_archE906ELNS1_3gpuE6ELNS1_3repE0EEENS1_30default_config_static_selectorELNS0_4arch9wavefront6targetE0EEEvT1_.num_agpr, 0
	.set _ZN7rocprim17ROCPRIM_400000_NS6detail17trampoline_kernelINS0_14default_configENS1_25partition_config_selectorILNS1_17partition_subalgoE6EsNS0_10empty_typeEbEEZZNS1_14partition_implILS5_6ELb0ES3_mN6thrust23THRUST_200600_302600_NS6detail15normal_iteratorINSA_10device_ptrIsEEEEPS6_SG_NS0_5tupleIJNSA_16discard_iteratorINSA_11use_defaultEEES6_EEENSH_IJSG_SG_EEES6_PlJNSB_9not_fun_tINSB_14equal_to_valueIsEEEEEEE10hipError_tPvRmT3_T4_T5_T6_T7_T9_mT8_P12ihipStream_tbDpT10_ENKUlT_T0_E_clISt17integral_constantIbLb1EES1B_EEDaS16_S17_EUlS16_E_NS1_11comp_targetILNS1_3genE2ELNS1_11target_archE906ELNS1_3gpuE6ELNS1_3repE0EEENS1_30default_config_static_selectorELNS0_4arch9wavefront6targetE0EEEvT1_.numbered_sgpr, 0
	.set _ZN7rocprim17ROCPRIM_400000_NS6detail17trampoline_kernelINS0_14default_configENS1_25partition_config_selectorILNS1_17partition_subalgoE6EsNS0_10empty_typeEbEEZZNS1_14partition_implILS5_6ELb0ES3_mN6thrust23THRUST_200600_302600_NS6detail15normal_iteratorINSA_10device_ptrIsEEEEPS6_SG_NS0_5tupleIJNSA_16discard_iteratorINSA_11use_defaultEEES6_EEENSH_IJSG_SG_EEES6_PlJNSB_9not_fun_tINSB_14equal_to_valueIsEEEEEEE10hipError_tPvRmT3_T4_T5_T6_T7_T9_mT8_P12ihipStream_tbDpT10_ENKUlT_T0_E_clISt17integral_constantIbLb1EES1B_EEDaS16_S17_EUlS16_E_NS1_11comp_targetILNS1_3genE2ELNS1_11target_archE906ELNS1_3gpuE6ELNS1_3repE0EEENS1_30default_config_static_selectorELNS0_4arch9wavefront6targetE0EEEvT1_.num_named_barrier, 0
	.set _ZN7rocprim17ROCPRIM_400000_NS6detail17trampoline_kernelINS0_14default_configENS1_25partition_config_selectorILNS1_17partition_subalgoE6EsNS0_10empty_typeEbEEZZNS1_14partition_implILS5_6ELb0ES3_mN6thrust23THRUST_200600_302600_NS6detail15normal_iteratorINSA_10device_ptrIsEEEEPS6_SG_NS0_5tupleIJNSA_16discard_iteratorINSA_11use_defaultEEES6_EEENSH_IJSG_SG_EEES6_PlJNSB_9not_fun_tINSB_14equal_to_valueIsEEEEEEE10hipError_tPvRmT3_T4_T5_T6_T7_T9_mT8_P12ihipStream_tbDpT10_ENKUlT_T0_E_clISt17integral_constantIbLb1EES1B_EEDaS16_S17_EUlS16_E_NS1_11comp_targetILNS1_3genE2ELNS1_11target_archE906ELNS1_3gpuE6ELNS1_3repE0EEENS1_30default_config_static_selectorELNS0_4arch9wavefront6targetE0EEEvT1_.private_seg_size, 0
	.set _ZN7rocprim17ROCPRIM_400000_NS6detail17trampoline_kernelINS0_14default_configENS1_25partition_config_selectorILNS1_17partition_subalgoE6EsNS0_10empty_typeEbEEZZNS1_14partition_implILS5_6ELb0ES3_mN6thrust23THRUST_200600_302600_NS6detail15normal_iteratorINSA_10device_ptrIsEEEEPS6_SG_NS0_5tupleIJNSA_16discard_iteratorINSA_11use_defaultEEES6_EEENSH_IJSG_SG_EEES6_PlJNSB_9not_fun_tINSB_14equal_to_valueIsEEEEEEE10hipError_tPvRmT3_T4_T5_T6_T7_T9_mT8_P12ihipStream_tbDpT10_ENKUlT_T0_E_clISt17integral_constantIbLb1EES1B_EEDaS16_S17_EUlS16_E_NS1_11comp_targetILNS1_3genE2ELNS1_11target_archE906ELNS1_3gpuE6ELNS1_3repE0EEENS1_30default_config_static_selectorELNS0_4arch9wavefront6targetE0EEEvT1_.uses_vcc, 0
	.set _ZN7rocprim17ROCPRIM_400000_NS6detail17trampoline_kernelINS0_14default_configENS1_25partition_config_selectorILNS1_17partition_subalgoE6EsNS0_10empty_typeEbEEZZNS1_14partition_implILS5_6ELb0ES3_mN6thrust23THRUST_200600_302600_NS6detail15normal_iteratorINSA_10device_ptrIsEEEEPS6_SG_NS0_5tupleIJNSA_16discard_iteratorINSA_11use_defaultEEES6_EEENSH_IJSG_SG_EEES6_PlJNSB_9not_fun_tINSB_14equal_to_valueIsEEEEEEE10hipError_tPvRmT3_T4_T5_T6_T7_T9_mT8_P12ihipStream_tbDpT10_ENKUlT_T0_E_clISt17integral_constantIbLb1EES1B_EEDaS16_S17_EUlS16_E_NS1_11comp_targetILNS1_3genE2ELNS1_11target_archE906ELNS1_3gpuE6ELNS1_3repE0EEENS1_30default_config_static_selectorELNS0_4arch9wavefront6targetE0EEEvT1_.uses_flat_scratch, 0
	.set _ZN7rocprim17ROCPRIM_400000_NS6detail17trampoline_kernelINS0_14default_configENS1_25partition_config_selectorILNS1_17partition_subalgoE6EsNS0_10empty_typeEbEEZZNS1_14partition_implILS5_6ELb0ES3_mN6thrust23THRUST_200600_302600_NS6detail15normal_iteratorINSA_10device_ptrIsEEEEPS6_SG_NS0_5tupleIJNSA_16discard_iteratorINSA_11use_defaultEEES6_EEENSH_IJSG_SG_EEES6_PlJNSB_9not_fun_tINSB_14equal_to_valueIsEEEEEEE10hipError_tPvRmT3_T4_T5_T6_T7_T9_mT8_P12ihipStream_tbDpT10_ENKUlT_T0_E_clISt17integral_constantIbLb1EES1B_EEDaS16_S17_EUlS16_E_NS1_11comp_targetILNS1_3genE2ELNS1_11target_archE906ELNS1_3gpuE6ELNS1_3repE0EEENS1_30default_config_static_selectorELNS0_4arch9wavefront6targetE0EEEvT1_.has_dyn_sized_stack, 0
	.set _ZN7rocprim17ROCPRIM_400000_NS6detail17trampoline_kernelINS0_14default_configENS1_25partition_config_selectorILNS1_17partition_subalgoE6EsNS0_10empty_typeEbEEZZNS1_14partition_implILS5_6ELb0ES3_mN6thrust23THRUST_200600_302600_NS6detail15normal_iteratorINSA_10device_ptrIsEEEEPS6_SG_NS0_5tupleIJNSA_16discard_iteratorINSA_11use_defaultEEES6_EEENSH_IJSG_SG_EEES6_PlJNSB_9not_fun_tINSB_14equal_to_valueIsEEEEEEE10hipError_tPvRmT3_T4_T5_T6_T7_T9_mT8_P12ihipStream_tbDpT10_ENKUlT_T0_E_clISt17integral_constantIbLb1EES1B_EEDaS16_S17_EUlS16_E_NS1_11comp_targetILNS1_3genE2ELNS1_11target_archE906ELNS1_3gpuE6ELNS1_3repE0EEENS1_30default_config_static_selectorELNS0_4arch9wavefront6targetE0EEEvT1_.has_recursion, 0
	.set _ZN7rocprim17ROCPRIM_400000_NS6detail17trampoline_kernelINS0_14default_configENS1_25partition_config_selectorILNS1_17partition_subalgoE6EsNS0_10empty_typeEbEEZZNS1_14partition_implILS5_6ELb0ES3_mN6thrust23THRUST_200600_302600_NS6detail15normal_iteratorINSA_10device_ptrIsEEEEPS6_SG_NS0_5tupleIJNSA_16discard_iteratorINSA_11use_defaultEEES6_EEENSH_IJSG_SG_EEES6_PlJNSB_9not_fun_tINSB_14equal_to_valueIsEEEEEEE10hipError_tPvRmT3_T4_T5_T6_T7_T9_mT8_P12ihipStream_tbDpT10_ENKUlT_T0_E_clISt17integral_constantIbLb1EES1B_EEDaS16_S17_EUlS16_E_NS1_11comp_targetILNS1_3genE2ELNS1_11target_archE906ELNS1_3gpuE6ELNS1_3repE0EEENS1_30default_config_static_selectorELNS0_4arch9wavefront6targetE0EEEvT1_.has_indirect_call, 0
	.section	.AMDGPU.csdata,"",@progbits
; Kernel info:
; codeLenInByte = 0
; TotalNumSgprs: 0
; NumVgprs: 0
; ScratchSize: 0
; MemoryBound: 0
; FloatMode: 240
; IeeeMode: 1
; LDSByteSize: 0 bytes/workgroup (compile time only)
; SGPRBlocks: 0
; VGPRBlocks: 0
; NumSGPRsForWavesPerEU: 1
; NumVGPRsForWavesPerEU: 1
; Occupancy: 16
; WaveLimiterHint : 0
; COMPUTE_PGM_RSRC2:SCRATCH_EN: 0
; COMPUTE_PGM_RSRC2:USER_SGPR: 2
; COMPUTE_PGM_RSRC2:TRAP_HANDLER: 0
; COMPUTE_PGM_RSRC2:TGID_X_EN: 1
; COMPUTE_PGM_RSRC2:TGID_Y_EN: 0
; COMPUTE_PGM_RSRC2:TGID_Z_EN: 0
; COMPUTE_PGM_RSRC2:TIDIG_COMP_CNT: 0
	.section	.text._ZN7rocprim17ROCPRIM_400000_NS6detail17trampoline_kernelINS0_14default_configENS1_25partition_config_selectorILNS1_17partition_subalgoE6EsNS0_10empty_typeEbEEZZNS1_14partition_implILS5_6ELb0ES3_mN6thrust23THRUST_200600_302600_NS6detail15normal_iteratorINSA_10device_ptrIsEEEEPS6_SG_NS0_5tupleIJNSA_16discard_iteratorINSA_11use_defaultEEES6_EEENSH_IJSG_SG_EEES6_PlJNSB_9not_fun_tINSB_14equal_to_valueIsEEEEEEE10hipError_tPvRmT3_T4_T5_T6_T7_T9_mT8_P12ihipStream_tbDpT10_ENKUlT_T0_E_clISt17integral_constantIbLb1EES1B_EEDaS16_S17_EUlS16_E_NS1_11comp_targetILNS1_3genE10ELNS1_11target_archE1200ELNS1_3gpuE4ELNS1_3repE0EEENS1_30default_config_static_selectorELNS0_4arch9wavefront6targetE0EEEvT1_,"axG",@progbits,_ZN7rocprim17ROCPRIM_400000_NS6detail17trampoline_kernelINS0_14default_configENS1_25partition_config_selectorILNS1_17partition_subalgoE6EsNS0_10empty_typeEbEEZZNS1_14partition_implILS5_6ELb0ES3_mN6thrust23THRUST_200600_302600_NS6detail15normal_iteratorINSA_10device_ptrIsEEEEPS6_SG_NS0_5tupleIJNSA_16discard_iteratorINSA_11use_defaultEEES6_EEENSH_IJSG_SG_EEES6_PlJNSB_9not_fun_tINSB_14equal_to_valueIsEEEEEEE10hipError_tPvRmT3_T4_T5_T6_T7_T9_mT8_P12ihipStream_tbDpT10_ENKUlT_T0_E_clISt17integral_constantIbLb1EES1B_EEDaS16_S17_EUlS16_E_NS1_11comp_targetILNS1_3genE10ELNS1_11target_archE1200ELNS1_3gpuE4ELNS1_3repE0EEENS1_30default_config_static_selectorELNS0_4arch9wavefront6targetE0EEEvT1_,comdat
	.protected	_ZN7rocprim17ROCPRIM_400000_NS6detail17trampoline_kernelINS0_14default_configENS1_25partition_config_selectorILNS1_17partition_subalgoE6EsNS0_10empty_typeEbEEZZNS1_14partition_implILS5_6ELb0ES3_mN6thrust23THRUST_200600_302600_NS6detail15normal_iteratorINSA_10device_ptrIsEEEEPS6_SG_NS0_5tupleIJNSA_16discard_iteratorINSA_11use_defaultEEES6_EEENSH_IJSG_SG_EEES6_PlJNSB_9not_fun_tINSB_14equal_to_valueIsEEEEEEE10hipError_tPvRmT3_T4_T5_T6_T7_T9_mT8_P12ihipStream_tbDpT10_ENKUlT_T0_E_clISt17integral_constantIbLb1EES1B_EEDaS16_S17_EUlS16_E_NS1_11comp_targetILNS1_3genE10ELNS1_11target_archE1200ELNS1_3gpuE4ELNS1_3repE0EEENS1_30default_config_static_selectorELNS0_4arch9wavefront6targetE0EEEvT1_ ; -- Begin function _ZN7rocprim17ROCPRIM_400000_NS6detail17trampoline_kernelINS0_14default_configENS1_25partition_config_selectorILNS1_17partition_subalgoE6EsNS0_10empty_typeEbEEZZNS1_14partition_implILS5_6ELb0ES3_mN6thrust23THRUST_200600_302600_NS6detail15normal_iteratorINSA_10device_ptrIsEEEEPS6_SG_NS0_5tupleIJNSA_16discard_iteratorINSA_11use_defaultEEES6_EEENSH_IJSG_SG_EEES6_PlJNSB_9not_fun_tINSB_14equal_to_valueIsEEEEEEE10hipError_tPvRmT3_T4_T5_T6_T7_T9_mT8_P12ihipStream_tbDpT10_ENKUlT_T0_E_clISt17integral_constantIbLb1EES1B_EEDaS16_S17_EUlS16_E_NS1_11comp_targetILNS1_3genE10ELNS1_11target_archE1200ELNS1_3gpuE4ELNS1_3repE0EEENS1_30default_config_static_selectorELNS0_4arch9wavefront6targetE0EEEvT1_
	.globl	_ZN7rocprim17ROCPRIM_400000_NS6detail17trampoline_kernelINS0_14default_configENS1_25partition_config_selectorILNS1_17partition_subalgoE6EsNS0_10empty_typeEbEEZZNS1_14partition_implILS5_6ELb0ES3_mN6thrust23THRUST_200600_302600_NS6detail15normal_iteratorINSA_10device_ptrIsEEEEPS6_SG_NS0_5tupleIJNSA_16discard_iteratorINSA_11use_defaultEEES6_EEENSH_IJSG_SG_EEES6_PlJNSB_9not_fun_tINSB_14equal_to_valueIsEEEEEEE10hipError_tPvRmT3_T4_T5_T6_T7_T9_mT8_P12ihipStream_tbDpT10_ENKUlT_T0_E_clISt17integral_constantIbLb1EES1B_EEDaS16_S17_EUlS16_E_NS1_11comp_targetILNS1_3genE10ELNS1_11target_archE1200ELNS1_3gpuE4ELNS1_3repE0EEENS1_30default_config_static_selectorELNS0_4arch9wavefront6targetE0EEEvT1_
	.p2align	8
	.type	_ZN7rocprim17ROCPRIM_400000_NS6detail17trampoline_kernelINS0_14default_configENS1_25partition_config_selectorILNS1_17partition_subalgoE6EsNS0_10empty_typeEbEEZZNS1_14partition_implILS5_6ELb0ES3_mN6thrust23THRUST_200600_302600_NS6detail15normal_iteratorINSA_10device_ptrIsEEEEPS6_SG_NS0_5tupleIJNSA_16discard_iteratorINSA_11use_defaultEEES6_EEENSH_IJSG_SG_EEES6_PlJNSB_9not_fun_tINSB_14equal_to_valueIsEEEEEEE10hipError_tPvRmT3_T4_T5_T6_T7_T9_mT8_P12ihipStream_tbDpT10_ENKUlT_T0_E_clISt17integral_constantIbLb1EES1B_EEDaS16_S17_EUlS16_E_NS1_11comp_targetILNS1_3genE10ELNS1_11target_archE1200ELNS1_3gpuE4ELNS1_3repE0EEENS1_30default_config_static_selectorELNS0_4arch9wavefront6targetE0EEEvT1_,@function
_ZN7rocprim17ROCPRIM_400000_NS6detail17trampoline_kernelINS0_14default_configENS1_25partition_config_selectorILNS1_17partition_subalgoE6EsNS0_10empty_typeEbEEZZNS1_14partition_implILS5_6ELb0ES3_mN6thrust23THRUST_200600_302600_NS6detail15normal_iteratorINSA_10device_ptrIsEEEEPS6_SG_NS0_5tupleIJNSA_16discard_iteratorINSA_11use_defaultEEES6_EEENSH_IJSG_SG_EEES6_PlJNSB_9not_fun_tINSB_14equal_to_valueIsEEEEEEE10hipError_tPvRmT3_T4_T5_T6_T7_T9_mT8_P12ihipStream_tbDpT10_ENKUlT_T0_E_clISt17integral_constantIbLb1EES1B_EEDaS16_S17_EUlS16_E_NS1_11comp_targetILNS1_3genE10ELNS1_11target_archE1200ELNS1_3gpuE4ELNS1_3repE0EEENS1_30default_config_static_selectorELNS0_4arch9wavefront6targetE0EEEvT1_: ; @_ZN7rocprim17ROCPRIM_400000_NS6detail17trampoline_kernelINS0_14default_configENS1_25partition_config_selectorILNS1_17partition_subalgoE6EsNS0_10empty_typeEbEEZZNS1_14partition_implILS5_6ELb0ES3_mN6thrust23THRUST_200600_302600_NS6detail15normal_iteratorINSA_10device_ptrIsEEEEPS6_SG_NS0_5tupleIJNSA_16discard_iteratorINSA_11use_defaultEEES6_EEENSH_IJSG_SG_EEES6_PlJNSB_9not_fun_tINSB_14equal_to_valueIsEEEEEEE10hipError_tPvRmT3_T4_T5_T6_T7_T9_mT8_P12ihipStream_tbDpT10_ENKUlT_T0_E_clISt17integral_constantIbLb1EES1B_EEDaS16_S17_EUlS16_E_NS1_11comp_targetILNS1_3genE10ELNS1_11target_archE1200ELNS1_3gpuE4ELNS1_3repE0EEENS1_30default_config_static_selectorELNS0_4arch9wavefront6targetE0EEEvT1_
; %bb.0:
	s_endpgm
	.section	.rodata,"a",@progbits
	.p2align	6, 0x0
	.amdhsa_kernel _ZN7rocprim17ROCPRIM_400000_NS6detail17trampoline_kernelINS0_14default_configENS1_25partition_config_selectorILNS1_17partition_subalgoE6EsNS0_10empty_typeEbEEZZNS1_14partition_implILS5_6ELb0ES3_mN6thrust23THRUST_200600_302600_NS6detail15normal_iteratorINSA_10device_ptrIsEEEEPS6_SG_NS0_5tupleIJNSA_16discard_iteratorINSA_11use_defaultEEES6_EEENSH_IJSG_SG_EEES6_PlJNSB_9not_fun_tINSB_14equal_to_valueIsEEEEEEE10hipError_tPvRmT3_T4_T5_T6_T7_T9_mT8_P12ihipStream_tbDpT10_ENKUlT_T0_E_clISt17integral_constantIbLb1EES1B_EEDaS16_S17_EUlS16_E_NS1_11comp_targetILNS1_3genE10ELNS1_11target_archE1200ELNS1_3gpuE4ELNS1_3repE0EEENS1_30default_config_static_selectorELNS0_4arch9wavefront6targetE0EEEvT1_
		.amdhsa_group_segment_fixed_size 0
		.amdhsa_private_segment_fixed_size 0
		.amdhsa_kernarg_size 136
		.amdhsa_user_sgpr_count 2
		.amdhsa_user_sgpr_dispatch_ptr 0
		.amdhsa_user_sgpr_queue_ptr 0
		.amdhsa_user_sgpr_kernarg_segment_ptr 1
		.amdhsa_user_sgpr_dispatch_id 0
		.amdhsa_user_sgpr_private_segment_size 0
		.amdhsa_wavefront_size32 1
		.amdhsa_uses_dynamic_stack 0
		.amdhsa_enable_private_segment 0
		.amdhsa_system_sgpr_workgroup_id_x 1
		.amdhsa_system_sgpr_workgroup_id_y 0
		.amdhsa_system_sgpr_workgroup_id_z 0
		.amdhsa_system_sgpr_workgroup_info 0
		.amdhsa_system_vgpr_workitem_id 0
		.amdhsa_next_free_vgpr 1
		.amdhsa_next_free_sgpr 1
		.amdhsa_reserve_vcc 0
		.amdhsa_float_round_mode_32 0
		.amdhsa_float_round_mode_16_64 0
		.amdhsa_float_denorm_mode_32 3
		.amdhsa_float_denorm_mode_16_64 3
		.amdhsa_fp16_overflow 0
		.amdhsa_workgroup_processor_mode 1
		.amdhsa_memory_ordered 1
		.amdhsa_forward_progress 1
		.amdhsa_inst_pref_size 1
		.amdhsa_round_robin_scheduling 0
		.amdhsa_exception_fp_ieee_invalid_op 0
		.amdhsa_exception_fp_denorm_src 0
		.amdhsa_exception_fp_ieee_div_zero 0
		.amdhsa_exception_fp_ieee_overflow 0
		.amdhsa_exception_fp_ieee_underflow 0
		.amdhsa_exception_fp_ieee_inexact 0
		.amdhsa_exception_int_div_zero 0
	.end_amdhsa_kernel
	.section	.text._ZN7rocprim17ROCPRIM_400000_NS6detail17trampoline_kernelINS0_14default_configENS1_25partition_config_selectorILNS1_17partition_subalgoE6EsNS0_10empty_typeEbEEZZNS1_14partition_implILS5_6ELb0ES3_mN6thrust23THRUST_200600_302600_NS6detail15normal_iteratorINSA_10device_ptrIsEEEEPS6_SG_NS0_5tupleIJNSA_16discard_iteratorINSA_11use_defaultEEES6_EEENSH_IJSG_SG_EEES6_PlJNSB_9not_fun_tINSB_14equal_to_valueIsEEEEEEE10hipError_tPvRmT3_T4_T5_T6_T7_T9_mT8_P12ihipStream_tbDpT10_ENKUlT_T0_E_clISt17integral_constantIbLb1EES1B_EEDaS16_S17_EUlS16_E_NS1_11comp_targetILNS1_3genE10ELNS1_11target_archE1200ELNS1_3gpuE4ELNS1_3repE0EEENS1_30default_config_static_selectorELNS0_4arch9wavefront6targetE0EEEvT1_,"axG",@progbits,_ZN7rocprim17ROCPRIM_400000_NS6detail17trampoline_kernelINS0_14default_configENS1_25partition_config_selectorILNS1_17partition_subalgoE6EsNS0_10empty_typeEbEEZZNS1_14partition_implILS5_6ELb0ES3_mN6thrust23THRUST_200600_302600_NS6detail15normal_iteratorINSA_10device_ptrIsEEEEPS6_SG_NS0_5tupleIJNSA_16discard_iteratorINSA_11use_defaultEEES6_EEENSH_IJSG_SG_EEES6_PlJNSB_9not_fun_tINSB_14equal_to_valueIsEEEEEEE10hipError_tPvRmT3_T4_T5_T6_T7_T9_mT8_P12ihipStream_tbDpT10_ENKUlT_T0_E_clISt17integral_constantIbLb1EES1B_EEDaS16_S17_EUlS16_E_NS1_11comp_targetILNS1_3genE10ELNS1_11target_archE1200ELNS1_3gpuE4ELNS1_3repE0EEENS1_30default_config_static_selectorELNS0_4arch9wavefront6targetE0EEEvT1_,comdat
.Lfunc_end1802:
	.size	_ZN7rocprim17ROCPRIM_400000_NS6detail17trampoline_kernelINS0_14default_configENS1_25partition_config_selectorILNS1_17partition_subalgoE6EsNS0_10empty_typeEbEEZZNS1_14partition_implILS5_6ELb0ES3_mN6thrust23THRUST_200600_302600_NS6detail15normal_iteratorINSA_10device_ptrIsEEEEPS6_SG_NS0_5tupleIJNSA_16discard_iteratorINSA_11use_defaultEEES6_EEENSH_IJSG_SG_EEES6_PlJNSB_9not_fun_tINSB_14equal_to_valueIsEEEEEEE10hipError_tPvRmT3_T4_T5_T6_T7_T9_mT8_P12ihipStream_tbDpT10_ENKUlT_T0_E_clISt17integral_constantIbLb1EES1B_EEDaS16_S17_EUlS16_E_NS1_11comp_targetILNS1_3genE10ELNS1_11target_archE1200ELNS1_3gpuE4ELNS1_3repE0EEENS1_30default_config_static_selectorELNS0_4arch9wavefront6targetE0EEEvT1_, .Lfunc_end1802-_ZN7rocprim17ROCPRIM_400000_NS6detail17trampoline_kernelINS0_14default_configENS1_25partition_config_selectorILNS1_17partition_subalgoE6EsNS0_10empty_typeEbEEZZNS1_14partition_implILS5_6ELb0ES3_mN6thrust23THRUST_200600_302600_NS6detail15normal_iteratorINSA_10device_ptrIsEEEEPS6_SG_NS0_5tupleIJNSA_16discard_iteratorINSA_11use_defaultEEES6_EEENSH_IJSG_SG_EEES6_PlJNSB_9not_fun_tINSB_14equal_to_valueIsEEEEEEE10hipError_tPvRmT3_T4_T5_T6_T7_T9_mT8_P12ihipStream_tbDpT10_ENKUlT_T0_E_clISt17integral_constantIbLb1EES1B_EEDaS16_S17_EUlS16_E_NS1_11comp_targetILNS1_3genE10ELNS1_11target_archE1200ELNS1_3gpuE4ELNS1_3repE0EEENS1_30default_config_static_selectorELNS0_4arch9wavefront6targetE0EEEvT1_
                                        ; -- End function
	.set _ZN7rocprim17ROCPRIM_400000_NS6detail17trampoline_kernelINS0_14default_configENS1_25partition_config_selectorILNS1_17partition_subalgoE6EsNS0_10empty_typeEbEEZZNS1_14partition_implILS5_6ELb0ES3_mN6thrust23THRUST_200600_302600_NS6detail15normal_iteratorINSA_10device_ptrIsEEEEPS6_SG_NS0_5tupleIJNSA_16discard_iteratorINSA_11use_defaultEEES6_EEENSH_IJSG_SG_EEES6_PlJNSB_9not_fun_tINSB_14equal_to_valueIsEEEEEEE10hipError_tPvRmT3_T4_T5_T6_T7_T9_mT8_P12ihipStream_tbDpT10_ENKUlT_T0_E_clISt17integral_constantIbLb1EES1B_EEDaS16_S17_EUlS16_E_NS1_11comp_targetILNS1_3genE10ELNS1_11target_archE1200ELNS1_3gpuE4ELNS1_3repE0EEENS1_30default_config_static_selectorELNS0_4arch9wavefront6targetE0EEEvT1_.num_vgpr, 0
	.set _ZN7rocprim17ROCPRIM_400000_NS6detail17trampoline_kernelINS0_14default_configENS1_25partition_config_selectorILNS1_17partition_subalgoE6EsNS0_10empty_typeEbEEZZNS1_14partition_implILS5_6ELb0ES3_mN6thrust23THRUST_200600_302600_NS6detail15normal_iteratorINSA_10device_ptrIsEEEEPS6_SG_NS0_5tupleIJNSA_16discard_iteratorINSA_11use_defaultEEES6_EEENSH_IJSG_SG_EEES6_PlJNSB_9not_fun_tINSB_14equal_to_valueIsEEEEEEE10hipError_tPvRmT3_T4_T5_T6_T7_T9_mT8_P12ihipStream_tbDpT10_ENKUlT_T0_E_clISt17integral_constantIbLb1EES1B_EEDaS16_S17_EUlS16_E_NS1_11comp_targetILNS1_3genE10ELNS1_11target_archE1200ELNS1_3gpuE4ELNS1_3repE0EEENS1_30default_config_static_selectorELNS0_4arch9wavefront6targetE0EEEvT1_.num_agpr, 0
	.set _ZN7rocprim17ROCPRIM_400000_NS6detail17trampoline_kernelINS0_14default_configENS1_25partition_config_selectorILNS1_17partition_subalgoE6EsNS0_10empty_typeEbEEZZNS1_14partition_implILS5_6ELb0ES3_mN6thrust23THRUST_200600_302600_NS6detail15normal_iteratorINSA_10device_ptrIsEEEEPS6_SG_NS0_5tupleIJNSA_16discard_iteratorINSA_11use_defaultEEES6_EEENSH_IJSG_SG_EEES6_PlJNSB_9not_fun_tINSB_14equal_to_valueIsEEEEEEE10hipError_tPvRmT3_T4_T5_T6_T7_T9_mT8_P12ihipStream_tbDpT10_ENKUlT_T0_E_clISt17integral_constantIbLb1EES1B_EEDaS16_S17_EUlS16_E_NS1_11comp_targetILNS1_3genE10ELNS1_11target_archE1200ELNS1_3gpuE4ELNS1_3repE0EEENS1_30default_config_static_selectorELNS0_4arch9wavefront6targetE0EEEvT1_.numbered_sgpr, 0
	.set _ZN7rocprim17ROCPRIM_400000_NS6detail17trampoline_kernelINS0_14default_configENS1_25partition_config_selectorILNS1_17partition_subalgoE6EsNS0_10empty_typeEbEEZZNS1_14partition_implILS5_6ELb0ES3_mN6thrust23THRUST_200600_302600_NS6detail15normal_iteratorINSA_10device_ptrIsEEEEPS6_SG_NS0_5tupleIJNSA_16discard_iteratorINSA_11use_defaultEEES6_EEENSH_IJSG_SG_EEES6_PlJNSB_9not_fun_tINSB_14equal_to_valueIsEEEEEEE10hipError_tPvRmT3_T4_T5_T6_T7_T9_mT8_P12ihipStream_tbDpT10_ENKUlT_T0_E_clISt17integral_constantIbLb1EES1B_EEDaS16_S17_EUlS16_E_NS1_11comp_targetILNS1_3genE10ELNS1_11target_archE1200ELNS1_3gpuE4ELNS1_3repE0EEENS1_30default_config_static_selectorELNS0_4arch9wavefront6targetE0EEEvT1_.num_named_barrier, 0
	.set _ZN7rocprim17ROCPRIM_400000_NS6detail17trampoline_kernelINS0_14default_configENS1_25partition_config_selectorILNS1_17partition_subalgoE6EsNS0_10empty_typeEbEEZZNS1_14partition_implILS5_6ELb0ES3_mN6thrust23THRUST_200600_302600_NS6detail15normal_iteratorINSA_10device_ptrIsEEEEPS6_SG_NS0_5tupleIJNSA_16discard_iteratorINSA_11use_defaultEEES6_EEENSH_IJSG_SG_EEES6_PlJNSB_9not_fun_tINSB_14equal_to_valueIsEEEEEEE10hipError_tPvRmT3_T4_T5_T6_T7_T9_mT8_P12ihipStream_tbDpT10_ENKUlT_T0_E_clISt17integral_constantIbLb1EES1B_EEDaS16_S17_EUlS16_E_NS1_11comp_targetILNS1_3genE10ELNS1_11target_archE1200ELNS1_3gpuE4ELNS1_3repE0EEENS1_30default_config_static_selectorELNS0_4arch9wavefront6targetE0EEEvT1_.private_seg_size, 0
	.set _ZN7rocprim17ROCPRIM_400000_NS6detail17trampoline_kernelINS0_14default_configENS1_25partition_config_selectorILNS1_17partition_subalgoE6EsNS0_10empty_typeEbEEZZNS1_14partition_implILS5_6ELb0ES3_mN6thrust23THRUST_200600_302600_NS6detail15normal_iteratorINSA_10device_ptrIsEEEEPS6_SG_NS0_5tupleIJNSA_16discard_iteratorINSA_11use_defaultEEES6_EEENSH_IJSG_SG_EEES6_PlJNSB_9not_fun_tINSB_14equal_to_valueIsEEEEEEE10hipError_tPvRmT3_T4_T5_T6_T7_T9_mT8_P12ihipStream_tbDpT10_ENKUlT_T0_E_clISt17integral_constantIbLb1EES1B_EEDaS16_S17_EUlS16_E_NS1_11comp_targetILNS1_3genE10ELNS1_11target_archE1200ELNS1_3gpuE4ELNS1_3repE0EEENS1_30default_config_static_selectorELNS0_4arch9wavefront6targetE0EEEvT1_.uses_vcc, 0
	.set _ZN7rocprim17ROCPRIM_400000_NS6detail17trampoline_kernelINS0_14default_configENS1_25partition_config_selectorILNS1_17partition_subalgoE6EsNS0_10empty_typeEbEEZZNS1_14partition_implILS5_6ELb0ES3_mN6thrust23THRUST_200600_302600_NS6detail15normal_iteratorINSA_10device_ptrIsEEEEPS6_SG_NS0_5tupleIJNSA_16discard_iteratorINSA_11use_defaultEEES6_EEENSH_IJSG_SG_EEES6_PlJNSB_9not_fun_tINSB_14equal_to_valueIsEEEEEEE10hipError_tPvRmT3_T4_T5_T6_T7_T9_mT8_P12ihipStream_tbDpT10_ENKUlT_T0_E_clISt17integral_constantIbLb1EES1B_EEDaS16_S17_EUlS16_E_NS1_11comp_targetILNS1_3genE10ELNS1_11target_archE1200ELNS1_3gpuE4ELNS1_3repE0EEENS1_30default_config_static_selectorELNS0_4arch9wavefront6targetE0EEEvT1_.uses_flat_scratch, 0
	.set _ZN7rocprim17ROCPRIM_400000_NS6detail17trampoline_kernelINS0_14default_configENS1_25partition_config_selectorILNS1_17partition_subalgoE6EsNS0_10empty_typeEbEEZZNS1_14partition_implILS5_6ELb0ES3_mN6thrust23THRUST_200600_302600_NS6detail15normal_iteratorINSA_10device_ptrIsEEEEPS6_SG_NS0_5tupleIJNSA_16discard_iteratorINSA_11use_defaultEEES6_EEENSH_IJSG_SG_EEES6_PlJNSB_9not_fun_tINSB_14equal_to_valueIsEEEEEEE10hipError_tPvRmT3_T4_T5_T6_T7_T9_mT8_P12ihipStream_tbDpT10_ENKUlT_T0_E_clISt17integral_constantIbLb1EES1B_EEDaS16_S17_EUlS16_E_NS1_11comp_targetILNS1_3genE10ELNS1_11target_archE1200ELNS1_3gpuE4ELNS1_3repE0EEENS1_30default_config_static_selectorELNS0_4arch9wavefront6targetE0EEEvT1_.has_dyn_sized_stack, 0
	.set _ZN7rocprim17ROCPRIM_400000_NS6detail17trampoline_kernelINS0_14default_configENS1_25partition_config_selectorILNS1_17partition_subalgoE6EsNS0_10empty_typeEbEEZZNS1_14partition_implILS5_6ELb0ES3_mN6thrust23THRUST_200600_302600_NS6detail15normal_iteratorINSA_10device_ptrIsEEEEPS6_SG_NS0_5tupleIJNSA_16discard_iteratorINSA_11use_defaultEEES6_EEENSH_IJSG_SG_EEES6_PlJNSB_9not_fun_tINSB_14equal_to_valueIsEEEEEEE10hipError_tPvRmT3_T4_T5_T6_T7_T9_mT8_P12ihipStream_tbDpT10_ENKUlT_T0_E_clISt17integral_constantIbLb1EES1B_EEDaS16_S17_EUlS16_E_NS1_11comp_targetILNS1_3genE10ELNS1_11target_archE1200ELNS1_3gpuE4ELNS1_3repE0EEENS1_30default_config_static_selectorELNS0_4arch9wavefront6targetE0EEEvT1_.has_recursion, 0
	.set _ZN7rocprim17ROCPRIM_400000_NS6detail17trampoline_kernelINS0_14default_configENS1_25partition_config_selectorILNS1_17partition_subalgoE6EsNS0_10empty_typeEbEEZZNS1_14partition_implILS5_6ELb0ES3_mN6thrust23THRUST_200600_302600_NS6detail15normal_iteratorINSA_10device_ptrIsEEEEPS6_SG_NS0_5tupleIJNSA_16discard_iteratorINSA_11use_defaultEEES6_EEENSH_IJSG_SG_EEES6_PlJNSB_9not_fun_tINSB_14equal_to_valueIsEEEEEEE10hipError_tPvRmT3_T4_T5_T6_T7_T9_mT8_P12ihipStream_tbDpT10_ENKUlT_T0_E_clISt17integral_constantIbLb1EES1B_EEDaS16_S17_EUlS16_E_NS1_11comp_targetILNS1_3genE10ELNS1_11target_archE1200ELNS1_3gpuE4ELNS1_3repE0EEENS1_30default_config_static_selectorELNS0_4arch9wavefront6targetE0EEEvT1_.has_indirect_call, 0
	.section	.AMDGPU.csdata,"",@progbits
; Kernel info:
; codeLenInByte = 4
; TotalNumSgprs: 0
; NumVgprs: 0
; ScratchSize: 0
; MemoryBound: 0
; FloatMode: 240
; IeeeMode: 1
; LDSByteSize: 0 bytes/workgroup (compile time only)
; SGPRBlocks: 0
; VGPRBlocks: 0
; NumSGPRsForWavesPerEU: 1
; NumVGPRsForWavesPerEU: 1
; Occupancy: 16
; WaveLimiterHint : 0
; COMPUTE_PGM_RSRC2:SCRATCH_EN: 0
; COMPUTE_PGM_RSRC2:USER_SGPR: 2
; COMPUTE_PGM_RSRC2:TRAP_HANDLER: 0
; COMPUTE_PGM_RSRC2:TGID_X_EN: 1
; COMPUTE_PGM_RSRC2:TGID_Y_EN: 0
; COMPUTE_PGM_RSRC2:TGID_Z_EN: 0
; COMPUTE_PGM_RSRC2:TIDIG_COMP_CNT: 0
	.section	.text._ZN7rocprim17ROCPRIM_400000_NS6detail17trampoline_kernelINS0_14default_configENS1_25partition_config_selectorILNS1_17partition_subalgoE6EsNS0_10empty_typeEbEEZZNS1_14partition_implILS5_6ELb0ES3_mN6thrust23THRUST_200600_302600_NS6detail15normal_iteratorINSA_10device_ptrIsEEEEPS6_SG_NS0_5tupleIJNSA_16discard_iteratorINSA_11use_defaultEEES6_EEENSH_IJSG_SG_EEES6_PlJNSB_9not_fun_tINSB_14equal_to_valueIsEEEEEEE10hipError_tPvRmT3_T4_T5_T6_T7_T9_mT8_P12ihipStream_tbDpT10_ENKUlT_T0_E_clISt17integral_constantIbLb1EES1B_EEDaS16_S17_EUlS16_E_NS1_11comp_targetILNS1_3genE9ELNS1_11target_archE1100ELNS1_3gpuE3ELNS1_3repE0EEENS1_30default_config_static_selectorELNS0_4arch9wavefront6targetE0EEEvT1_,"axG",@progbits,_ZN7rocprim17ROCPRIM_400000_NS6detail17trampoline_kernelINS0_14default_configENS1_25partition_config_selectorILNS1_17partition_subalgoE6EsNS0_10empty_typeEbEEZZNS1_14partition_implILS5_6ELb0ES3_mN6thrust23THRUST_200600_302600_NS6detail15normal_iteratorINSA_10device_ptrIsEEEEPS6_SG_NS0_5tupleIJNSA_16discard_iteratorINSA_11use_defaultEEES6_EEENSH_IJSG_SG_EEES6_PlJNSB_9not_fun_tINSB_14equal_to_valueIsEEEEEEE10hipError_tPvRmT3_T4_T5_T6_T7_T9_mT8_P12ihipStream_tbDpT10_ENKUlT_T0_E_clISt17integral_constantIbLb1EES1B_EEDaS16_S17_EUlS16_E_NS1_11comp_targetILNS1_3genE9ELNS1_11target_archE1100ELNS1_3gpuE3ELNS1_3repE0EEENS1_30default_config_static_selectorELNS0_4arch9wavefront6targetE0EEEvT1_,comdat
	.protected	_ZN7rocprim17ROCPRIM_400000_NS6detail17trampoline_kernelINS0_14default_configENS1_25partition_config_selectorILNS1_17partition_subalgoE6EsNS0_10empty_typeEbEEZZNS1_14partition_implILS5_6ELb0ES3_mN6thrust23THRUST_200600_302600_NS6detail15normal_iteratorINSA_10device_ptrIsEEEEPS6_SG_NS0_5tupleIJNSA_16discard_iteratorINSA_11use_defaultEEES6_EEENSH_IJSG_SG_EEES6_PlJNSB_9not_fun_tINSB_14equal_to_valueIsEEEEEEE10hipError_tPvRmT3_T4_T5_T6_T7_T9_mT8_P12ihipStream_tbDpT10_ENKUlT_T0_E_clISt17integral_constantIbLb1EES1B_EEDaS16_S17_EUlS16_E_NS1_11comp_targetILNS1_3genE9ELNS1_11target_archE1100ELNS1_3gpuE3ELNS1_3repE0EEENS1_30default_config_static_selectorELNS0_4arch9wavefront6targetE0EEEvT1_ ; -- Begin function _ZN7rocprim17ROCPRIM_400000_NS6detail17trampoline_kernelINS0_14default_configENS1_25partition_config_selectorILNS1_17partition_subalgoE6EsNS0_10empty_typeEbEEZZNS1_14partition_implILS5_6ELb0ES3_mN6thrust23THRUST_200600_302600_NS6detail15normal_iteratorINSA_10device_ptrIsEEEEPS6_SG_NS0_5tupleIJNSA_16discard_iteratorINSA_11use_defaultEEES6_EEENSH_IJSG_SG_EEES6_PlJNSB_9not_fun_tINSB_14equal_to_valueIsEEEEEEE10hipError_tPvRmT3_T4_T5_T6_T7_T9_mT8_P12ihipStream_tbDpT10_ENKUlT_T0_E_clISt17integral_constantIbLb1EES1B_EEDaS16_S17_EUlS16_E_NS1_11comp_targetILNS1_3genE9ELNS1_11target_archE1100ELNS1_3gpuE3ELNS1_3repE0EEENS1_30default_config_static_selectorELNS0_4arch9wavefront6targetE0EEEvT1_
	.globl	_ZN7rocprim17ROCPRIM_400000_NS6detail17trampoline_kernelINS0_14default_configENS1_25partition_config_selectorILNS1_17partition_subalgoE6EsNS0_10empty_typeEbEEZZNS1_14partition_implILS5_6ELb0ES3_mN6thrust23THRUST_200600_302600_NS6detail15normal_iteratorINSA_10device_ptrIsEEEEPS6_SG_NS0_5tupleIJNSA_16discard_iteratorINSA_11use_defaultEEES6_EEENSH_IJSG_SG_EEES6_PlJNSB_9not_fun_tINSB_14equal_to_valueIsEEEEEEE10hipError_tPvRmT3_T4_T5_T6_T7_T9_mT8_P12ihipStream_tbDpT10_ENKUlT_T0_E_clISt17integral_constantIbLb1EES1B_EEDaS16_S17_EUlS16_E_NS1_11comp_targetILNS1_3genE9ELNS1_11target_archE1100ELNS1_3gpuE3ELNS1_3repE0EEENS1_30default_config_static_selectorELNS0_4arch9wavefront6targetE0EEEvT1_
	.p2align	8
	.type	_ZN7rocprim17ROCPRIM_400000_NS6detail17trampoline_kernelINS0_14default_configENS1_25partition_config_selectorILNS1_17partition_subalgoE6EsNS0_10empty_typeEbEEZZNS1_14partition_implILS5_6ELb0ES3_mN6thrust23THRUST_200600_302600_NS6detail15normal_iteratorINSA_10device_ptrIsEEEEPS6_SG_NS0_5tupleIJNSA_16discard_iteratorINSA_11use_defaultEEES6_EEENSH_IJSG_SG_EEES6_PlJNSB_9not_fun_tINSB_14equal_to_valueIsEEEEEEE10hipError_tPvRmT3_T4_T5_T6_T7_T9_mT8_P12ihipStream_tbDpT10_ENKUlT_T0_E_clISt17integral_constantIbLb1EES1B_EEDaS16_S17_EUlS16_E_NS1_11comp_targetILNS1_3genE9ELNS1_11target_archE1100ELNS1_3gpuE3ELNS1_3repE0EEENS1_30default_config_static_selectorELNS0_4arch9wavefront6targetE0EEEvT1_,@function
_ZN7rocprim17ROCPRIM_400000_NS6detail17trampoline_kernelINS0_14default_configENS1_25partition_config_selectorILNS1_17partition_subalgoE6EsNS0_10empty_typeEbEEZZNS1_14partition_implILS5_6ELb0ES3_mN6thrust23THRUST_200600_302600_NS6detail15normal_iteratorINSA_10device_ptrIsEEEEPS6_SG_NS0_5tupleIJNSA_16discard_iteratorINSA_11use_defaultEEES6_EEENSH_IJSG_SG_EEES6_PlJNSB_9not_fun_tINSB_14equal_to_valueIsEEEEEEE10hipError_tPvRmT3_T4_T5_T6_T7_T9_mT8_P12ihipStream_tbDpT10_ENKUlT_T0_E_clISt17integral_constantIbLb1EES1B_EEDaS16_S17_EUlS16_E_NS1_11comp_targetILNS1_3genE9ELNS1_11target_archE1100ELNS1_3gpuE3ELNS1_3repE0EEENS1_30default_config_static_selectorELNS0_4arch9wavefront6targetE0EEEvT1_: ; @_ZN7rocprim17ROCPRIM_400000_NS6detail17trampoline_kernelINS0_14default_configENS1_25partition_config_selectorILNS1_17partition_subalgoE6EsNS0_10empty_typeEbEEZZNS1_14partition_implILS5_6ELb0ES3_mN6thrust23THRUST_200600_302600_NS6detail15normal_iteratorINSA_10device_ptrIsEEEEPS6_SG_NS0_5tupleIJNSA_16discard_iteratorINSA_11use_defaultEEES6_EEENSH_IJSG_SG_EEES6_PlJNSB_9not_fun_tINSB_14equal_to_valueIsEEEEEEE10hipError_tPvRmT3_T4_T5_T6_T7_T9_mT8_P12ihipStream_tbDpT10_ENKUlT_T0_E_clISt17integral_constantIbLb1EES1B_EEDaS16_S17_EUlS16_E_NS1_11comp_targetILNS1_3genE9ELNS1_11target_archE1100ELNS1_3gpuE3ELNS1_3repE0EEENS1_30default_config_static_selectorELNS0_4arch9wavefront6targetE0EEEvT1_
; %bb.0:
	.section	.rodata,"a",@progbits
	.p2align	6, 0x0
	.amdhsa_kernel _ZN7rocprim17ROCPRIM_400000_NS6detail17trampoline_kernelINS0_14default_configENS1_25partition_config_selectorILNS1_17partition_subalgoE6EsNS0_10empty_typeEbEEZZNS1_14partition_implILS5_6ELb0ES3_mN6thrust23THRUST_200600_302600_NS6detail15normal_iteratorINSA_10device_ptrIsEEEEPS6_SG_NS0_5tupleIJNSA_16discard_iteratorINSA_11use_defaultEEES6_EEENSH_IJSG_SG_EEES6_PlJNSB_9not_fun_tINSB_14equal_to_valueIsEEEEEEE10hipError_tPvRmT3_T4_T5_T6_T7_T9_mT8_P12ihipStream_tbDpT10_ENKUlT_T0_E_clISt17integral_constantIbLb1EES1B_EEDaS16_S17_EUlS16_E_NS1_11comp_targetILNS1_3genE9ELNS1_11target_archE1100ELNS1_3gpuE3ELNS1_3repE0EEENS1_30default_config_static_selectorELNS0_4arch9wavefront6targetE0EEEvT1_
		.amdhsa_group_segment_fixed_size 0
		.amdhsa_private_segment_fixed_size 0
		.amdhsa_kernarg_size 136
		.amdhsa_user_sgpr_count 2
		.amdhsa_user_sgpr_dispatch_ptr 0
		.amdhsa_user_sgpr_queue_ptr 0
		.amdhsa_user_sgpr_kernarg_segment_ptr 1
		.amdhsa_user_sgpr_dispatch_id 0
		.amdhsa_user_sgpr_private_segment_size 0
		.amdhsa_wavefront_size32 1
		.amdhsa_uses_dynamic_stack 0
		.amdhsa_enable_private_segment 0
		.amdhsa_system_sgpr_workgroup_id_x 1
		.amdhsa_system_sgpr_workgroup_id_y 0
		.amdhsa_system_sgpr_workgroup_id_z 0
		.amdhsa_system_sgpr_workgroup_info 0
		.amdhsa_system_vgpr_workitem_id 0
		.amdhsa_next_free_vgpr 1
		.amdhsa_next_free_sgpr 1
		.amdhsa_reserve_vcc 0
		.amdhsa_float_round_mode_32 0
		.amdhsa_float_round_mode_16_64 0
		.amdhsa_float_denorm_mode_32 3
		.amdhsa_float_denorm_mode_16_64 3
		.amdhsa_fp16_overflow 0
		.amdhsa_workgroup_processor_mode 1
		.amdhsa_memory_ordered 1
		.amdhsa_forward_progress 1
		.amdhsa_inst_pref_size 0
		.amdhsa_round_robin_scheduling 0
		.amdhsa_exception_fp_ieee_invalid_op 0
		.amdhsa_exception_fp_denorm_src 0
		.amdhsa_exception_fp_ieee_div_zero 0
		.amdhsa_exception_fp_ieee_overflow 0
		.amdhsa_exception_fp_ieee_underflow 0
		.amdhsa_exception_fp_ieee_inexact 0
		.amdhsa_exception_int_div_zero 0
	.end_amdhsa_kernel
	.section	.text._ZN7rocprim17ROCPRIM_400000_NS6detail17trampoline_kernelINS0_14default_configENS1_25partition_config_selectorILNS1_17partition_subalgoE6EsNS0_10empty_typeEbEEZZNS1_14partition_implILS5_6ELb0ES3_mN6thrust23THRUST_200600_302600_NS6detail15normal_iteratorINSA_10device_ptrIsEEEEPS6_SG_NS0_5tupleIJNSA_16discard_iteratorINSA_11use_defaultEEES6_EEENSH_IJSG_SG_EEES6_PlJNSB_9not_fun_tINSB_14equal_to_valueIsEEEEEEE10hipError_tPvRmT3_T4_T5_T6_T7_T9_mT8_P12ihipStream_tbDpT10_ENKUlT_T0_E_clISt17integral_constantIbLb1EES1B_EEDaS16_S17_EUlS16_E_NS1_11comp_targetILNS1_3genE9ELNS1_11target_archE1100ELNS1_3gpuE3ELNS1_3repE0EEENS1_30default_config_static_selectorELNS0_4arch9wavefront6targetE0EEEvT1_,"axG",@progbits,_ZN7rocprim17ROCPRIM_400000_NS6detail17trampoline_kernelINS0_14default_configENS1_25partition_config_selectorILNS1_17partition_subalgoE6EsNS0_10empty_typeEbEEZZNS1_14partition_implILS5_6ELb0ES3_mN6thrust23THRUST_200600_302600_NS6detail15normal_iteratorINSA_10device_ptrIsEEEEPS6_SG_NS0_5tupleIJNSA_16discard_iteratorINSA_11use_defaultEEES6_EEENSH_IJSG_SG_EEES6_PlJNSB_9not_fun_tINSB_14equal_to_valueIsEEEEEEE10hipError_tPvRmT3_T4_T5_T6_T7_T9_mT8_P12ihipStream_tbDpT10_ENKUlT_T0_E_clISt17integral_constantIbLb1EES1B_EEDaS16_S17_EUlS16_E_NS1_11comp_targetILNS1_3genE9ELNS1_11target_archE1100ELNS1_3gpuE3ELNS1_3repE0EEENS1_30default_config_static_selectorELNS0_4arch9wavefront6targetE0EEEvT1_,comdat
.Lfunc_end1803:
	.size	_ZN7rocprim17ROCPRIM_400000_NS6detail17trampoline_kernelINS0_14default_configENS1_25partition_config_selectorILNS1_17partition_subalgoE6EsNS0_10empty_typeEbEEZZNS1_14partition_implILS5_6ELb0ES3_mN6thrust23THRUST_200600_302600_NS6detail15normal_iteratorINSA_10device_ptrIsEEEEPS6_SG_NS0_5tupleIJNSA_16discard_iteratorINSA_11use_defaultEEES6_EEENSH_IJSG_SG_EEES6_PlJNSB_9not_fun_tINSB_14equal_to_valueIsEEEEEEE10hipError_tPvRmT3_T4_T5_T6_T7_T9_mT8_P12ihipStream_tbDpT10_ENKUlT_T0_E_clISt17integral_constantIbLb1EES1B_EEDaS16_S17_EUlS16_E_NS1_11comp_targetILNS1_3genE9ELNS1_11target_archE1100ELNS1_3gpuE3ELNS1_3repE0EEENS1_30default_config_static_selectorELNS0_4arch9wavefront6targetE0EEEvT1_, .Lfunc_end1803-_ZN7rocprim17ROCPRIM_400000_NS6detail17trampoline_kernelINS0_14default_configENS1_25partition_config_selectorILNS1_17partition_subalgoE6EsNS0_10empty_typeEbEEZZNS1_14partition_implILS5_6ELb0ES3_mN6thrust23THRUST_200600_302600_NS6detail15normal_iteratorINSA_10device_ptrIsEEEEPS6_SG_NS0_5tupleIJNSA_16discard_iteratorINSA_11use_defaultEEES6_EEENSH_IJSG_SG_EEES6_PlJNSB_9not_fun_tINSB_14equal_to_valueIsEEEEEEE10hipError_tPvRmT3_T4_T5_T6_T7_T9_mT8_P12ihipStream_tbDpT10_ENKUlT_T0_E_clISt17integral_constantIbLb1EES1B_EEDaS16_S17_EUlS16_E_NS1_11comp_targetILNS1_3genE9ELNS1_11target_archE1100ELNS1_3gpuE3ELNS1_3repE0EEENS1_30default_config_static_selectorELNS0_4arch9wavefront6targetE0EEEvT1_
                                        ; -- End function
	.set _ZN7rocprim17ROCPRIM_400000_NS6detail17trampoline_kernelINS0_14default_configENS1_25partition_config_selectorILNS1_17partition_subalgoE6EsNS0_10empty_typeEbEEZZNS1_14partition_implILS5_6ELb0ES3_mN6thrust23THRUST_200600_302600_NS6detail15normal_iteratorINSA_10device_ptrIsEEEEPS6_SG_NS0_5tupleIJNSA_16discard_iteratorINSA_11use_defaultEEES6_EEENSH_IJSG_SG_EEES6_PlJNSB_9not_fun_tINSB_14equal_to_valueIsEEEEEEE10hipError_tPvRmT3_T4_T5_T6_T7_T9_mT8_P12ihipStream_tbDpT10_ENKUlT_T0_E_clISt17integral_constantIbLb1EES1B_EEDaS16_S17_EUlS16_E_NS1_11comp_targetILNS1_3genE9ELNS1_11target_archE1100ELNS1_3gpuE3ELNS1_3repE0EEENS1_30default_config_static_selectorELNS0_4arch9wavefront6targetE0EEEvT1_.num_vgpr, 0
	.set _ZN7rocprim17ROCPRIM_400000_NS6detail17trampoline_kernelINS0_14default_configENS1_25partition_config_selectorILNS1_17partition_subalgoE6EsNS0_10empty_typeEbEEZZNS1_14partition_implILS5_6ELb0ES3_mN6thrust23THRUST_200600_302600_NS6detail15normal_iteratorINSA_10device_ptrIsEEEEPS6_SG_NS0_5tupleIJNSA_16discard_iteratorINSA_11use_defaultEEES6_EEENSH_IJSG_SG_EEES6_PlJNSB_9not_fun_tINSB_14equal_to_valueIsEEEEEEE10hipError_tPvRmT3_T4_T5_T6_T7_T9_mT8_P12ihipStream_tbDpT10_ENKUlT_T0_E_clISt17integral_constantIbLb1EES1B_EEDaS16_S17_EUlS16_E_NS1_11comp_targetILNS1_3genE9ELNS1_11target_archE1100ELNS1_3gpuE3ELNS1_3repE0EEENS1_30default_config_static_selectorELNS0_4arch9wavefront6targetE0EEEvT1_.num_agpr, 0
	.set _ZN7rocprim17ROCPRIM_400000_NS6detail17trampoline_kernelINS0_14default_configENS1_25partition_config_selectorILNS1_17partition_subalgoE6EsNS0_10empty_typeEbEEZZNS1_14partition_implILS5_6ELb0ES3_mN6thrust23THRUST_200600_302600_NS6detail15normal_iteratorINSA_10device_ptrIsEEEEPS6_SG_NS0_5tupleIJNSA_16discard_iteratorINSA_11use_defaultEEES6_EEENSH_IJSG_SG_EEES6_PlJNSB_9not_fun_tINSB_14equal_to_valueIsEEEEEEE10hipError_tPvRmT3_T4_T5_T6_T7_T9_mT8_P12ihipStream_tbDpT10_ENKUlT_T0_E_clISt17integral_constantIbLb1EES1B_EEDaS16_S17_EUlS16_E_NS1_11comp_targetILNS1_3genE9ELNS1_11target_archE1100ELNS1_3gpuE3ELNS1_3repE0EEENS1_30default_config_static_selectorELNS0_4arch9wavefront6targetE0EEEvT1_.numbered_sgpr, 0
	.set _ZN7rocprim17ROCPRIM_400000_NS6detail17trampoline_kernelINS0_14default_configENS1_25partition_config_selectorILNS1_17partition_subalgoE6EsNS0_10empty_typeEbEEZZNS1_14partition_implILS5_6ELb0ES3_mN6thrust23THRUST_200600_302600_NS6detail15normal_iteratorINSA_10device_ptrIsEEEEPS6_SG_NS0_5tupleIJNSA_16discard_iteratorINSA_11use_defaultEEES6_EEENSH_IJSG_SG_EEES6_PlJNSB_9not_fun_tINSB_14equal_to_valueIsEEEEEEE10hipError_tPvRmT3_T4_T5_T6_T7_T9_mT8_P12ihipStream_tbDpT10_ENKUlT_T0_E_clISt17integral_constantIbLb1EES1B_EEDaS16_S17_EUlS16_E_NS1_11comp_targetILNS1_3genE9ELNS1_11target_archE1100ELNS1_3gpuE3ELNS1_3repE0EEENS1_30default_config_static_selectorELNS0_4arch9wavefront6targetE0EEEvT1_.num_named_barrier, 0
	.set _ZN7rocprim17ROCPRIM_400000_NS6detail17trampoline_kernelINS0_14default_configENS1_25partition_config_selectorILNS1_17partition_subalgoE6EsNS0_10empty_typeEbEEZZNS1_14partition_implILS5_6ELb0ES3_mN6thrust23THRUST_200600_302600_NS6detail15normal_iteratorINSA_10device_ptrIsEEEEPS6_SG_NS0_5tupleIJNSA_16discard_iteratorINSA_11use_defaultEEES6_EEENSH_IJSG_SG_EEES6_PlJNSB_9not_fun_tINSB_14equal_to_valueIsEEEEEEE10hipError_tPvRmT3_T4_T5_T6_T7_T9_mT8_P12ihipStream_tbDpT10_ENKUlT_T0_E_clISt17integral_constantIbLb1EES1B_EEDaS16_S17_EUlS16_E_NS1_11comp_targetILNS1_3genE9ELNS1_11target_archE1100ELNS1_3gpuE3ELNS1_3repE0EEENS1_30default_config_static_selectorELNS0_4arch9wavefront6targetE0EEEvT1_.private_seg_size, 0
	.set _ZN7rocprim17ROCPRIM_400000_NS6detail17trampoline_kernelINS0_14default_configENS1_25partition_config_selectorILNS1_17partition_subalgoE6EsNS0_10empty_typeEbEEZZNS1_14partition_implILS5_6ELb0ES3_mN6thrust23THRUST_200600_302600_NS6detail15normal_iteratorINSA_10device_ptrIsEEEEPS6_SG_NS0_5tupleIJNSA_16discard_iteratorINSA_11use_defaultEEES6_EEENSH_IJSG_SG_EEES6_PlJNSB_9not_fun_tINSB_14equal_to_valueIsEEEEEEE10hipError_tPvRmT3_T4_T5_T6_T7_T9_mT8_P12ihipStream_tbDpT10_ENKUlT_T0_E_clISt17integral_constantIbLb1EES1B_EEDaS16_S17_EUlS16_E_NS1_11comp_targetILNS1_3genE9ELNS1_11target_archE1100ELNS1_3gpuE3ELNS1_3repE0EEENS1_30default_config_static_selectorELNS0_4arch9wavefront6targetE0EEEvT1_.uses_vcc, 0
	.set _ZN7rocprim17ROCPRIM_400000_NS6detail17trampoline_kernelINS0_14default_configENS1_25partition_config_selectorILNS1_17partition_subalgoE6EsNS0_10empty_typeEbEEZZNS1_14partition_implILS5_6ELb0ES3_mN6thrust23THRUST_200600_302600_NS6detail15normal_iteratorINSA_10device_ptrIsEEEEPS6_SG_NS0_5tupleIJNSA_16discard_iteratorINSA_11use_defaultEEES6_EEENSH_IJSG_SG_EEES6_PlJNSB_9not_fun_tINSB_14equal_to_valueIsEEEEEEE10hipError_tPvRmT3_T4_T5_T6_T7_T9_mT8_P12ihipStream_tbDpT10_ENKUlT_T0_E_clISt17integral_constantIbLb1EES1B_EEDaS16_S17_EUlS16_E_NS1_11comp_targetILNS1_3genE9ELNS1_11target_archE1100ELNS1_3gpuE3ELNS1_3repE0EEENS1_30default_config_static_selectorELNS0_4arch9wavefront6targetE0EEEvT1_.uses_flat_scratch, 0
	.set _ZN7rocprim17ROCPRIM_400000_NS6detail17trampoline_kernelINS0_14default_configENS1_25partition_config_selectorILNS1_17partition_subalgoE6EsNS0_10empty_typeEbEEZZNS1_14partition_implILS5_6ELb0ES3_mN6thrust23THRUST_200600_302600_NS6detail15normal_iteratorINSA_10device_ptrIsEEEEPS6_SG_NS0_5tupleIJNSA_16discard_iteratorINSA_11use_defaultEEES6_EEENSH_IJSG_SG_EEES6_PlJNSB_9not_fun_tINSB_14equal_to_valueIsEEEEEEE10hipError_tPvRmT3_T4_T5_T6_T7_T9_mT8_P12ihipStream_tbDpT10_ENKUlT_T0_E_clISt17integral_constantIbLb1EES1B_EEDaS16_S17_EUlS16_E_NS1_11comp_targetILNS1_3genE9ELNS1_11target_archE1100ELNS1_3gpuE3ELNS1_3repE0EEENS1_30default_config_static_selectorELNS0_4arch9wavefront6targetE0EEEvT1_.has_dyn_sized_stack, 0
	.set _ZN7rocprim17ROCPRIM_400000_NS6detail17trampoline_kernelINS0_14default_configENS1_25partition_config_selectorILNS1_17partition_subalgoE6EsNS0_10empty_typeEbEEZZNS1_14partition_implILS5_6ELb0ES3_mN6thrust23THRUST_200600_302600_NS6detail15normal_iteratorINSA_10device_ptrIsEEEEPS6_SG_NS0_5tupleIJNSA_16discard_iteratorINSA_11use_defaultEEES6_EEENSH_IJSG_SG_EEES6_PlJNSB_9not_fun_tINSB_14equal_to_valueIsEEEEEEE10hipError_tPvRmT3_T4_T5_T6_T7_T9_mT8_P12ihipStream_tbDpT10_ENKUlT_T0_E_clISt17integral_constantIbLb1EES1B_EEDaS16_S17_EUlS16_E_NS1_11comp_targetILNS1_3genE9ELNS1_11target_archE1100ELNS1_3gpuE3ELNS1_3repE0EEENS1_30default_config_static_selectorELNS0_4arch9wavefront6targetE0EEEvT1_.has_recursion, 0
	.set _ZN7rocprim17ROCPRIM_400000_NS6detail17trampoline_kernelINS0_14default_configENS1_25partition_config_selectorILNS1_17partition_subalgoE6EsNS0_10empty_typeEbEEZZNS1_14partition_implILS5_6ELb0ES3_mN6thrust23THRUST_200600_302600_NS6detail15normal_iteratorINSA_10device_ptrIsEEEEPS6_SG_NS0_5tupleIJNSA_16discard_iteratorINSA_11use_defaultEEES6_EEENSH_IJSG_SG_EEES6_PlJNSB_9not_fun_tINSB_14equal_to_valueIsEEEEEEE10hipError_tPvRmT3_T4_T5_T6_T7_T9_mT8_P12ihipStream_tbDpT10_ENKUlT_T0_E_clISt17integral_constantIbLb1EES1B_EEDaS16_S17_EUlS16_E_NS1_11comp_targetILNS1_3genE9ELNS1_11target_archE1100ELNS1_3gpuE3ELNS1_3repE0EEENS1_30default_config_static_selectorELNS0_4arch9wavefront6targetE0EEEvT1_.has_indirect_call, 0
	.section	.AMDGPU.csdata,"",@progbits
; Kernel info:
; codeLenInByte = 0
; TotalNumSgprs: 0
; NumVgprs: 0
; ScratchSize: 0
; MemoryBound: 0
; FloatMode: 240
; IeeeMode: 1
; LDSByteSize: 0 bytes/workgroup (compile time only)
; SGPRBlocks: 0
; VGPRBlocks: 0
; NumSGPRsForWavesPerEU: 1
; NumVGPRsForWavesPerEU: 1
; Occupancy: 16
; WaveLimiterHint : 0
; COMPUTE_PGM_RSRC2:SCRATCH_EN: 0
; COMPUTE_PGM_RSRC2:USER_SGPR: 2
; COMPUTE_PGM_RSRC2:TRAP_HANDLER: 0
; COMPUTE_PGM_RSRC2:TGID_X_EN: 1
; COMPUTE_PGM_RSRC2:TGID_Y_EN: 0
; COMPUTE_PGM_RSRC2:TGID_Z_EN: 0
; COMPUTE_PGM_RSRC2:TIDIG_COMP_CNT: 0
	.section	.text._ZN7rocprim17ROCPRIM_400000_NS6detail17trampoline_kernelINS0_14default_configENS1_25partition_config_selectorILNS1_17partition_subalgoE6EsNS0_10empty_typeEbEEZZNS1_14partition_implILS5_6ELb0ES3_mN6thrust23THRUST_200600_302600_NS6detail15normal_iteratorINSA_10device_ptrIsEEEEPS6_SG_NS0_5tupleIJNSA_16discard_iteratorINSA_11use_defaultEEES6_EEENSH_IJSG_SG_EEES6_PlJNSB_9not_fun_tINSB_14equal_to_valueIsEEEEEEE10hipError_tPvRmT3_T4_T5_T6_T7_T9_mT8_P12ihipStream_tbDpT10_ENKUlT_T0_E_clISt17integral_constantIbLb1EES1B_EEDaS16_S17_EUlS16_E_NS1_11comp_targetILNS1_3genE8ELNS1_11target_archE1030ELNS1_3gpuE2ELNS1_3repE0EEENS1_30default_config_static_selectorELNS0_4arch9wavefront6targetE0EEEvT1_,"axG",@progbits,_ZN7rocprim17ROCPRIM_400000_NS6detail17trampoline_kernelINS0_14default_configENS1_25partition_config_selectorILNS1_17partition_subalgoE6EsNS0_10empty_typeEbEEZZNS1_14partition_implILS5_6ELb0ES3_mN6thrust23THRUST_200600_302600_NS6detail15normal_iteratorINSA_10device_ptrIsEEEEPS6_SG_NS0_5tupleIJNSA_16discard_iteratorINSA_11use_defaultEEES6_EEENSH_IJSG_SG_EEES6_PlJNSB_9not_fun_tINSB_14equal_to_valueIsEEEEEEE10hipError_tPvRmT3_T4_T5_T6_T7_T9_mT8_P12ihipStream_tbDpT10_ENKUlT_T0_E_clISt17integral_constantIbLb1EES1B_EEDaS16_S17_EUlS16_E_NS1_11comp_targetILNS1_3genE8ELNS1_11target_archE1030ELNS1_3gpuE2ELNS1_3repE0EEENS1_30default_config_static_selectorELNS0_4arch9wavefront6targetE0EEEvT1_,comdat
	.protected	_ZN7rocprim17ROCPRIM_400000_NS6detail17trampoline_kernelINS0_14default_configENS1_25partition_config_selectorILNS1_17partition_subalgoE6EsNS0_10empty_typeEbEEZZNS1_14partition_implILS5_6ELb0ES3_mN6thrust23THRUST_200600_302600_NS6detail15normal_iteratorINSA_10device_ptrIsEEEEPS6_SG_NS0_5tupleIJNSA_16discard_iteratorINSA_11use_defaultEEES6_EEENSH_IJSG_SG_EEES6_PlJNSB_9not_fun_tINSB_14equal_to_valueIsEEEEEEE10hipError_tPvRmT3_T4_T5_T6_T7_T9_mT8_P12ihipStream_tbDpT10_ENKUlT_T0_E_clISt17integral_constantIbLb1EES1B_EEDaS16_S17_EUlS16_E_NS1_11comp_targetILNS1_3genE8ELNS1_11target_archE1030ELNS1_3gpuE2ELNS1_3repE0EEENS1_30default_config_static_selectorELNS0_4arch9wavefront6targetE0EEEvT1_ ; -- Begin function _ZN7rocprim17ROCPRIM_400000_NS6detail17trampoline_kernelINS0_14default_configENS1_25partition_config_selectorILNS1_17partition_subalgoE6EsNS0_10empty_typeEbEEZZNS1_14partition_implILS5_6ELb0ES3_mN6thrust23THRUST_200600_302600_NS6detail15normal_iteratorINSA_10device_ptrIsEEEEPS6_SG_NS0_5tupleIJNSA_16discard_iteratorINSA_11use_defaultEEES6_EEENSH_IJSG_SG_EEES6_PlJNSB_9not_fun_tINSB_14equal_to_valueIsEEEEEEE10hipError_tPvRmT3_T4_T5_T6_T7_T9_mT8_P12ihipStream_tbDpT10_ENKUlT_T0_E_clISt17integral_constantIbLb1EES1B_EEDaS16_S17_EUlS16_E_NS1_11comp_targetILNS1_3genE8ELNS1_11target_archE1030ELNS1_3gpuE2ELNS1_3repE0EEENS1_30default_config_static_selectorELNS0_4arch9wavefront6targetE0EEEvT1_
	.globl	_ZN7rocprim17ROCPRIM_400000_NS6detail17trampoline_kernelINS0_14default_configENS1_25partition_config_selectorILNS1_17partition_subalgoE6EsNS0_10empty_typeEbEEZZNS1_14partition_implILS5_6ELb0ES3_mN6thrust23THRUST_200600_302600_NS6detail15normal_iteratorINSA_10device_ptrIsEEEEPS6_SG_NS0_5tupleIJNSA_16discard_iteratorINSA_11use_defaultEEES6_EEENSH_IJSG_SG_EEES6_PlJNSB_9not_fun_tINSB_14equal_to_valueIsEEEEEEE10hipError_tPvRmT3_T4_T5_T6_T7_T9_mT8_P12ihipStream_tbDpT10_ENKUlT_T0_E_clISt17integral_constantIbLb1EES1B_EEDaS16_S17_EUlS16_E_NS1_11comp_targetILNS1_3genE8ELNS1_11target_archE1030ELNS1_3gpuE2ELNS1_3repE0EEENS1_30default_config_static_selectorELNS0_4arch9wavefront6targetE0EEEvT1_
	.p2align	8
	.type	_ZN7rocprim17ROCPRIM_400000_NS6detail17trampoline_kernelINS0_14default_configENS1_25partition_config_selectorILNS1_17partition_subalgoE6EsNS0_10empty_typeEbEEZZNS1_14partition_implILS5_6ELb0ES3_mN6thrust23THRUST_200600_302600_NS6detail15normal_iteratorINSA_10device_ptrIsEEEEPS6_SG_NS0_5tupleIJNSA_16discard_iteratorINSA_11use_defaultEEES6_EEENSH_IJSG_SG_EEES6_PlJNSB_9not_fun_tINSB_14equal_to_valueIsEEEEEEE10hipError_tPvRmT3_T4_T5_T6_T7_T9_mT8_P12ihipStream_tbDpT10_ENKUlT_T0_E_clISt17integral_constantIbLb1EES1B_EEDaS16_S17_EUlS16_E_NS1_11comp_targetILNS1_3genE8ELNS1_11target_archE1030ELNS1_3gpuE2ELNS1_3repE0EEENS1_30default_config_static_selectorELNS0_4arch9wavefront6targetE0EEEvT1_,@function
_ZN7rocprim17ROCPRIM_400000_NS6detail17trampoline_kernelINS0_14default_configENS1_25partition_config_selectorILNS1_17partition_subalgoE6EsNS0_10empty_typeEbEEZZNS1_14partition_implILS5_6ELb0ES3_mN6thrust23THRUST_200600_302600_NS6detail15normal_iteratorINSA_10device_ptrIsEEEEPS6_SG_NS0_5tupleIJNSA_16discard_iteratorINSA_11use_defaultEEES6_EEENSH_IJSG_SG_EEES6_PlJNSB_9not_fun_tINSB_14equal_to_valueIsEEEEEEE10hipError_tPvRmT3_T4_T5_T6_T7_T9_mT8_P12ihipStream_tbDpT10_ENKUlT_T0_E_clISt17integral_constantIbLb1EES1B_EEDaS16_S17_EUlS16_E_NS1_11comp_targetILNS1_3genE8ELNS1_11target_archE1030ELNS1_3gpuE2ELNS1_3repE0EEENS1_30default_config_static_selectorELNS0_4arch9wavefront6targetE0EEEvT1_: ; @_ZN7rocprim17ROCPRIM_400000_NS6detail17trampoline_kernelINS0_14default_configENS1_25partition_config_selectorILNS1_17partition_subalgoE6EsNS0_10empty_typeEbEEZZNS1_14partition_implILS5_6ELb0ES3_mN6thrust23THRUST_200600_302600_NS6detail15normal_iteratorINSA_10device_ptrIsEEEEPS6_SG_NS0_5tupleIJNSA_16discard_iteratorINSA_11use_defaultEEES6_EEENSH_IJSG_SG_EEES6_PlJNSB_9not_fun_tINSB_14equal_to_valueIsEEEEEEE10hipError_tPvRmT3_T4_T5_T6_T7_T9_mT8_P12ihipStream_tbDpT10_ENKUlT_T0_E_clISt17integral_constantIbLb1EES1B_EEDaS16_S17_EUlS16_E_NS1_11comp_targetILNS1_3genE8ELNS1_11target_archE1030ELNS1_3gpuE2ELNS1_3repE0EEENS1_30default_config_static_selectorELNS0_4arch9wavefront6targetE0EEEvT1_
; %bb.0:
	.section	.rodata,"a",@progbits
	.p2align	6, 0x0
	.amdhsa_kernel _ZN7rocprim17ROCPRIM_400000_NS6detail17trampoline_kernelINS0_14default_configENS1_25partition_config_selectorILNS1_17partition_subalgoE6EsNS0_10empty_typeEbEEZZNS1_14partition_implILS5_6ELb0ES3_mN6thrust23THRUST_200600_302600_NS6detail15normal_iteratorINSA_10device_ptrIsEEEEPS6_SG_NS0_5tupleIJNSA_16discard_iteratorINSA_11use_defaultEEES6_EEENSH_IJSG_SG_EEES6_PlJNSB_9not_fun_tINSB_14equal_to_valueIsEEEEEEE10hipError_tPvRmT3_T4_T5_T6_T7_T9_mT8_P12ihipStream_tbDpT10_ENKUlT_T0_E_clISt17integral_constantIbLb1EES1B_EEDaS16_S17_EUlS16_E_NS1_11comp_targetILNS1_3genE8ELNS1_11target_archE1030ELNS1_3gpuE2ELNS1_3repE0EEENS1_30default_config_static_selectorELNS0_4arch9wavefront6targetE0EEEvT1_
		.amdhsa_group_segment_fixed_size 0
		.amdhsa_private_segment_fixed_size 0
		.amdhsa_kernarg_size 136
		.amdhsa_user_sgpr_count 2
		.amdhsa_user_sgpr_dispatch_ptr 0
		.amdhsa_user_sgpr_queue_ptr 0
		.amdhsa_user_sgpr_kernarg_segment_ptr 1
		.amdhsa_user_sgpr_dispatch_id 0
		.amdhsa_user_sgpr_private_segment_size 0
		.amdhsa_wavefront_size32 1
		.amdhsa_uses_dynamic_stack 0
		.amdhsa_enable_private_segment 0
		.amdhsa_system_sgpr_workgroup_id_x 1
		.amdhsa_system_sgpr_workgroup_id_y 0
		.amdhsa_system_sgpr_workgroup_id_z 0
		.amdhsa_system_sgpr_workgroup_info 0
		.amdhsa_system_vgpr_workitem_id 0
		.amdhsa_next_free_vgpr 1
		.amdhsa_next_free_sgpr 1
		.amdhsa_reserve_vcc 0
		.amdhsa_float_round_mode_32 0
		.amdhsa_float_round_mode_16_64 0
		.amdhsa_float_denorm_mode_32 3
		.amdhsa_float_denorm_mode_16_64 3
		.amdhsa_fp16_overflow 0
		.amdhsa_workgroup_processor_mode 1
		.amdhsa_memory_ordered 1
		.amdhsa_forward_progress 1
		.amdhsa_inst_pref_size 0
		.amdhsa_round_robin_scheduling 0
		.amdhsa_exception_fp_ieee_invalid_op 0
		.amdhsa_exception_fp_denorm_src 0
		.amdhsa_exception_fp_ieee_div_zero 0
		.amdhsa_exception_fp_ieee_overflow 0
		.amdhsa_exception_fp_ieee_underflow 0
		.amdhsa_exception_fp_ieee_inexact 0
		.amdhsa_exception_int_div_zero 0
	.end_amdhsa_kernel
	.section	.text._ZN7rocprim17ROCPRIM_400000_NS6detail17trampoline_kernelINS0_14default_configENS1_25partition_config_selectorILNS1_17partition_subalgoE6EsNS0_10empty_typeEbEEZZNS1_14partition_implILS5_6ELb0ES3_mN6thrust23THRUST_200600_302600_NS6detail15normal_iteratorINSA_10device_ptrIsEEEEPS6_SG_NS0_5tupleIJNSA_16discard_iteratorINSA_11use_defaultEEES6_EEENSH_IJSG_SG_EEES6_PlJNSB_9not_fun_tINSB_14equal_to_valueIsEEEEEEE10hipError_tPvRmT3_T4_T5_T6_T7_T9_mT8_P12ihipStream_tbDpT10_ENKUlT_T0_E_clISt17integral_constantIbLb1EES1B_EEDaS16_S17_EUlS16_E_NS1_11comp_targetILNS1_3genE8ELNS1_11target_archE1030ELNS1_3gpuE2ELNS1_3repE0EEENS1_30default_config_static_selectorELNS0_4arch9wavefront6targetE0EEEvT1_,"axG",@progbits,_ZN7rocprim17ROCPRIM_400000_NS6detail17trampoline_kernelINS0_14default_configENS1_25partition_config_selectorILNS1_17partition_subalgoE6EsNS0_10empty_typeEbEEZZNS1_14partition_implILS5_6ELb0ES3_mN6thrust23THRUST_200600_302600_NS6detail15normal_iteratorINSA_10device_ptrIsEEEEPS6_SG_NS0_5tupleIJNSA_16discard_iteratorINSA_11use_defaultEEES6_EEENSH_IJSG_SG_EEES6_PlJNSB_9not_fun_tINSB_14equal_to_valueIsEEEEEEE10hipError_tPvRmT3_T4_T5_T6_T7_T9_mT8_P12ihipStream_tbDpT10_ENKUlT_T0_E_clISt17integral_constantIbLb1EES1B_EEDaS16_S17_EUlS16_E_NS1_11comp_targetILNS1_3genE8ELNS1_11target_archE1030ELNS1_3gpuE2ELNS1_3repE0EEENS1_30default_config_static_selectorELNS0_4arch9wavefront6targetE0EEEvT1_,comdat
.Lfunc_end1804:
	.size	_ZN7rocprim17ROCPRIM_400000_NS6detail17trampoline_kernelINS0_14default_configENS1_25partition_config_selectorILNS1_17partition_subalgoE6EsNS0_10empty_typeEbEEZZNS1_14partition_implILS5_6ELb0ES3_mN6thrust23THRUST_200600_302600_NS6detail15normal_iteratorINSA_10device_ptrIsEEEEPS6_SG_NS0_5tupleIJNSA_16discard_iteratorINSA_11use_defaultEEES6_EEENSH_IJSG_SG_EEES6_PlJNSB_9not_fun_tINSB_14equal_to_valueIsEEEEEEE10hipError_tPvRmT3_T4_T5_T6_T7_T9_mT8_P12ihipStream_tbDpT10_ENKUlT_T0_E_clISt17integral_constantIbLb1EES1B_EEDaS16_S17_EUlS16_E_NS1_11comp_targetILNS1_3genE8ELNS1_11target_archE1030ELNS1_3gpuE2ELNS1_3repE0EEENS1_30default_config_static_selectorELNS0_4arch9wavefront6targetE0EEEvT1_, .Lfunc_end1804-_ZN7rocprim17ROCPRIM_400000_NS6detail17trampoline_kernelINS0_14default_configENS1_25partition_config_selectorILNS1_17partition_subalgoE6EsNS0_10empty_typeEbEEZZNS1_14partition_implILS5_6ELb0ES3_mN6thrust23THRUST_200600_302600_NS6detail15normal_iteratorINSA_10device_ptrIsEEEEPS6_SG_NS0_5tupleIJNSA_16discard_iteratorINSA_11use_defaultEEES6_EEENSH_IJSG_SG_EEES6_PlJNSB_9not_fun_tINSB_14equal_to_valueIsEEEEEEE10hipError_tPvRmT3_T4_T5_T6_T7_T9_mT8_P12ihipStream_tbDpT10_ENKUlT_T0_E_clISt17integral_constantIbLb1EES1B_EEDaS16_S17_EUlS16_E_NS1_11comp_targetILNS1_3genE8ELNS1_11target_archE1030ELNS1_3gpuE2ELNS1_3repE0EEENS1_30default_config_static_selectorELNS0_4arch9wavefront6targetE0EEEvT1_
                                        ; -- End function
	.set _ZN7rocprim17ROCPRIM_400000_NS6detail17trampoline_kernelINS0_14default_configENS1_25partition_config_selectorILNS1_17partition_subalgoE6EsNS0_10empty_typeEbEEZZNS1_14partition_implILS5_6ELb0ES3_mN6thrust23THRUST_200600_302600_NS6detail15normal_iteratorINSA_10device_ptrIsEEEEPS6_SG_NS0_5tupleIJNSA_16discard_iteratorINSA_11use_defaultEEES6_EEENSH_IJSG_SG_EEES6_PlJNSB_9not_fun_tINSB_14equal_to_valueIsEEEEEEE10hipError_tPvRmT3_T4_T5_T6_T7_T9_mT8_P12ihipStream_tbDpT10_ENKUlT_T0_E_clISt17integral_constantIbLb1EES1B_EEDaS16_S17_EUlS16_E_NS1_11comp_targetILNS1_3genE8ELNS1_11target_archE1030ELNS1_3gpuE2ELNS1_3repE0EEENS1_30default_config_static_selectorELNS0_4arch9wavefront6targetE0EEEvT1_.num_vgpr, 0
	.set _ZN7rocprim17ROCPRIM_400000_NS6detail17trampoline_kernelINS0_14default_configENS1_25partition_config_selectorILNS1_17partition_subalgoE6EsNS0_10empty_typeEbEEZZNS1_14partition_implILS5_6ELb0ES3_mN6thrust23THRUST_200600_302600_NS6detail15normal_iteratorINSA_10device_ptrIsEEEEPS6_SG_NS0_5tupleIJNSA_16discard_iteratorINSA_11use_defaultEEES6_EEENSH_IJSG_SG_EEES6_PlJNSB_9not_fun_tINSB_14equal_to_valueIsEEEEEEE10hipError_tPvRmT3_T4_T5_T6_T7_T9_mT8_P12ihipStream_tbDpT10_ENKUlT_T0_E_clISt17integral_constantIbLb1EES1B_EEDaS16_S17_EUlS16_E_NS1_11comp_targetILNS1_3genE8ELNS1_11target_archE1030ELNS1_3gpuE2ELNS1_3repE0EEENS1_30default_config_static_selectorELNS0_4arch9wavefront6targetE0EEEvT1_.num_agpr, 0
	.set _ZN7rocprim17ROCPRIM_400000_NS6detail17trampoline_kernelINS0_14default_configENS1_25partition_config_selectorILNS1_17partition_subalgoE6EsNS0_10empty_typeEbEEZZNS1_14partition_implILS5_6ELb0ES3_mN6thrust23THRUST_200600_302600_NS6detail15normal_iteratorINSA_10device_ptrIsEEEEPS6_SG_NS0_5tupleIJNSA_16discard_iteratorINSA_11use_defaultEEES6_EEENSH_IJSG_SG_EEES6_PlJNSB_9not_fun_tINSB_14equal_to_valueIsEEEEEEE10hipError_tPvRmT3_T4_T5_T6_T7_T9_mT8_P12ihipStream_tbDpT10_ENKUlT_T0_E_clISt17integral_constantIbLb1EES1B_EEDaS16_S17_EUlS16_E_NS1_11comp_targetILNS1_3genE8ELNS1_11target_archE1030ELNS1_3gpuE2ELNS1_3repE0EEENS1_30default_config_static_selectorELNS0_4arch9wavefront6targetE0EEEvT1_.numbered_sgpr, 0
	.set _ZN7rocprim17ROCPRIM_400000_NS6detail17trampoline_kernelINS0_14default_configENS1_25partition_config_selectorILNS1_17partition_subalgoE6EsNS0_10empty_typeEbEEZZNS1_14partition_implILS5_6ELb0ES3_mN6thrust23THRUST_200600_302600_NS6detail15normal_iteratorINSA_10device_ptrIsEEEEPS6_SG_NS0_5tupleIJNSA_16discard_iteratorINSA_11use_defaultEEES6_EEENSH_IJSG_SG_EEES6_PlJNSB_9not_fun_tINSB_14equal_to_valueIsEEEEEEE10hipError_tPvRmT3_T4_T5_T6_T7_T9_mT8_P12ihipStream_tbDpT10_ENKUlT_T0_E_clISt17integral_constantIbLb1EES1B_EEDaS16_S17_EUlS16_E_NS1_11comp_targetILNS1_3genE8ELNS1_11target_archE1030ELNS1_3gpuE2ELNS1_3repE0EEENS1_30default_config_static_selectorELNS0_4arch9wavefront6targetE0EEEvT1_.num_named_barrier, 0
	.set _ZN7rocprim17ROCPRIM_400000_NS6detail17trampoline_kernelINS0_14default_configENS1_25partition_config_selectorILNS1_17partition_subalgoE6EsNS0_10empty_typeEbEEZZNS1_14partition_implILS5_6ELb0ES3_mN6thrust23THRUST_200600_302600_NS6detail15normal_iteratorINSA_10device_ptrIsEEEEPS6_SG_NS0_5tupleIJNSA_16discard_iteratorINSA_11use_defaultEEES6_EEENSH_IJSG_SG_EEES6_PlJNSB_9not_fun_tINSB_14equal_to_valueIsEEEEEEE10hipError_tPvRmT3_T4_T5_T6_T7_T9_mT8_P12ihipStream_tbDpT10_ENKUlT_T0_E_clISt17integral_constantIbLb1EES1B_EEDaS16_S17_EUlS16_E_NS1_11comp_targetILNS1_3genE8ELNS1_11target_archE1030ELNS1_3gpuE2ELNS1_3repE0EEENS1_30default_config_static_selectorELNS0_4arch9wavefront6targetE0EEEvT1_.private_seg_size, 0
	.set _ZN7rocprim17ROCPRIM_400000_NS6detail17trampoline_kernelINS0_14default_configENS1_25partition_config_selectorILNS1_17partition_subalgoE6EsNS0_10empty_typeEbEEZZNS1_14partition_implILS5_6ELb0ES3_mN6thrust23THRUST_200600_302600_NS6detail15normal_iteratorINSA_10device_ptrIsEEEEPS6_SG_NS0_5tupleIJNSA_16discard_iteratorINSA_11use_defaultEEES6_EEENSH_IJSG_SG_EEES6_PlJNSB_9not_fun_tINSB_14equal_to_valueIsEEEEEEE10hipError_tPvRmT3_T4_T5_T6_T7_T9_mT8_P12ihipStream_tbDpT10_ENKUlT_T0_E_clISt17integral_constantIbLb1EES1B_EEDaS16_S17_EUlS16_E_NS1_11comp_targetILNS1_3genE8ELNS1_11target_archE1030ELNS1_3gpuE2ELNS1_3repE0EEENS1_30default_config_static_selectorELNS0_4arch9wavefront6targetE0EEEvT1_.uses_vcc, 0
	.set _ZN7rocprim17ROCPRIM_400000_NS6detail17trampoline_kernelINS0_14default_configENS1_25partition_config_selectorILNS1_17partition_subalgoE6EsNS0_10empty_typeEbEEZZNS1_14partition_implILS5_6ELb0ES3_mN6thrust23THRUST_200600_302600_NS6detail15normal_iteratorINSA_10device_ptrIsEEEEPS6_SG_NS0_5tupleIJNSA_16discard_iteratorINSA_11use_defaultEEES6_EEENSH_IJSG_SG_EEES6_PlJNSB_9not_fun_tINSB_14equal_to_valueIsEEEEEEE10hipError_tPvRmT3_T4_T5_T6_T7_T9_mT8_P12ihipStream_tbDpT10_ENKUlT_T0_E_clISt17integral_constantIbLb1EES1B_EEDaS16_S17_EUlS16_E_NS1_11comp_targetILNS1_3genE8ELNS1_11target_archE1030ELNS1_3gpuE2ELNS1_3repE0EEENS1_30default_config_static_selectorELNS0_4arch9wavefront6targetE0EEEvT1_.uses_flat_scratch, 0
	.set _ZN7rocprim17ROCPRIM_400000_NS6detail17trampoline_kernelINS0_14default_configENS1_25partition_config_selectorILNS1_17partition_subalgoE6EsNS0_10empty_typeEbEEZZNS1_14partition_implILS5_6ELb0ES3_mN6thrust23THRUST_200600_302600_NS6detail15normal_iteratorINSA_10device_ptrIsEEEEPS6_SG_NS0_5tupleIJNSA_16discard_iteratorINSA_11use_defaultEEES6_EEENSH_IJSG_SG_EEES6_PlJNSB_9not_fun_tINSB_14equal_to_valueIsEEEEEEE10hipError_tPvRmT3_T4_T5_T6_T7_T9_mT8_P12ihipStream_tbDpT10_ENKUlT_T0_E_clISt17integral_constantIbLb1EES1B_EEDaS16_S17_EUlS16_E_NS1_11comp_targetILNS1_3genE8ELNS1_11target_archE1030ELNS1_3gpuE2ELNS1_3repE0EEENS1_30default_config_static_selectorELNS0_4arch9wavefront6targetE0EEEvT1_.has_dyn_sized_stack, 0
	.set _ZN7rocprim17ROCPRIM_400000_NS6detail17trampoline_kernelINS0_14default_configENS1_25partition_config_selectorILNS1_17partition_subalgoE6EsNS0_10empty_typeEbEEZZNS1_14partition_implILS5_6ELb0ES3_mN6thrust23THRUST_200600_302600_NS6detail15normal_iteratorINSA_10device_ptrIsEEEEPS6_SG_NS0_5tupleIJNSA_16discard_iteratorINSA_11use_defaultEEES6_EEENSH_IJSG_SG_EEES6_PlJNSB_9not_fun_tINSB_14equal_to_valueIsEEEEEEE10hipError_tPvRmT3_T4_T5_T6_T7_T9_mT8_P12ihipStream_tbDpT10_ENKUlT_T0_E_clISt17integral_constantIbLb1EES1B_EEDaS16_S17_EUlS16_E_NS1_11comp_targetILNS1_3genE8ELNS1_11target_archE1030ELNS1_3gpuE2ELNS1_3repE0EEENS1_30default_config_static_selectorELNS0_4arch9wavefront6targetE0EEEvT1_.has_recursion, 0
	.set _ZN7rocprim17ROCPRIM_400000_NS6detail17trampoline_kernelINS0_14default_configENS1_25partition_config_selectorILNS1_17partition_subalgoE6EsNS0_10empty_typeEbEEZZNS1_14partition_implILS5_6ELb0ES3_mN6thrust23THRUST_200600_302600_NS6detail15normal_iteratorINSA_10device_ptrIsEEEEPS6_SG_NS0_5tupleIJNSA_16discard_iteratorINSA_11use_defaultEEES6_EEENSH_IJSG_SG_EEES6_PlJNSB_9not_fun_tINSB_14equal_to_valueIsEEEEEEE10hipError_tPvRmT3_T4_T5_T6_T7_T9_mT8_P12ihipStream_tbDpT10_ENKUlT_T0_E_clISt17integral_constantIbLb1EES1B_EEDaS16_S17_EUlS16_E_NS1_11comp_targetILNS1_3genE8ELNS1_11target_archE1030ELNS1_3gpuE2ELNS1_3repE0EEENS1_30default_config_static_selectorELNS0_4arch9wavefront6targetE0EEEvT1_.has_indirect_call, 0
	.section	.AMDGPU.csdata,"",@progbits
; Kernel info:
; codeLenInByte = 0
; TotalNumSgprs: 0
; NumVgprs: 0
; ScratchSize: 0
; MemoryBound: 0
; FloatMode: 240
; IeeeMode: 1
; LDSByteSize: 0 bytes/workgroup (compile time only)
; SGPRBlocks: 0
; VGPRBlocks: 0
; NumSGPRsForWavesPerEU: 1
; NumVGPRsForWavesPerEU: 1
; Occupancy: 16
; WaveLimiterHint : 0
; COMPUTE_PGM_RSRC2:SCRATCH_EN: 0
; COMPUTE_PGM_RSRC2:USER_SGPR: 2
; COMPUTE_PGM_RSRC2:TRAP_HANDLER: 0
; COMPUTE_PGM_RSRC2:TGID_X_EN: 1
; COMPUTE_PGM_RSRC2:TGID_Y_EN: 0
; COMPUTE_PGM_RSRC2:TGID_Z_EN: 0
; COMPUTE_PGM_RSRC2:TIDIG_COMP_CNT: 0
	.section	.text._ZN7rocprim17ROCPRIM_400000_NS6detail17trampoline_kernelINS0_14default_configENS1_25partition_config_selectorILNS1_17partition_subalgoE6EsNS0_10empty_typeEbEEZZNS1_14partition_implILS5_6ELb0ES3_mN6thrust23THRUST_200600_302600_NS6detail15normal_iteratorINSA_10device_ptrIsEEEEPS6_SG_NS0_5tupleIJNSA_16discard_iteratorINSA_11use_defaultEEES6_EEENSH_IJSG_SG_EEES6_PlJNSB_9not_fun_tINSB_14equal_to_valueIsEEEEEEE10hipError_tPvRmT3_T4_T5_T6_T7_T9_mT8_P12ihipStream_tbDpT10_ENKUlT_T0_E_clISt17integral_constantIbLb1EES1A_IbLb0EEEEDaS16_S17_EUlS16_E_NS1_11comp_targetILNS1_3genE0ELNS1_11target_archE4294967295ELNS1_3gpuE0ELNS1_3repE0EEENS1_30default_config_static_selectorELNS0_4arch9wavefront6targetE0EEEvT1_,"axG",@progbits,_ZN7rocprim17ROCPRIM_400000_NS6detail17trampoline_kernelINS0_14default_configENS1_25partition_config_selectorILNS1_17partition_subalgoE6EsNS0_10empty_typeEbEEZZNS1_14partition_implILS5_6ELb0ES3_mN6thrust23THRUST_200600_302600_NS6detail15normal_iteratorINSA_10device_ptrIsEEEEPS6_SG_NS0_5tupleIJNSA_16discard_iteratorINSA_11use_defaultEEES6_EEENSH_IJSG_SG_EEES6_PlJNSB_9not_fun_tINSB_14equal_to_valueIsEEEEEEE10hipError_tPvRmT3_T4_T5_T6_T7_T9_mT8_P12ihipStream_tbDpT10_ENKUlT_T0_E_clISt17integral_constantIbLb1EES1A_IbLb0EEEEDaS16_S17_EUlS16_E_NS1_11comp_targetILNS1_3genE0ELNS1_11target_archE4294967295ELNS1_3gpuE0ELNS1_3repE0EEENS1_30default_config_static_selectorELNS0_4arch9wavefront6targetE0EEEvT1_,comdat
	.protected	_ZN7rocprim17ROCPRIM_400000_NS6detail17trampoline_kernelINS0_14default_configENS1_25partition_config_selectorILNS1_17partition_subalgoE6EsNS0_10empty_typeEbEEZZNS1_14partition_implILS5_6ELb0ES3_mN6thrust23THRUST_200600_302600_NS6detail15normal_iteratorINSA_10device_ptrIsEEEEPS6_SG_NS0_5tupleIJNSA_16discard_iteratorINSA_11use_defaultEEES6_EEENSH_IJSG_SG_EEES6_PlJNSB_9not_fun_tINSB_14equal_to_valueIsEEEEEEE10hipError_tPvRmT3_T4_T5_T6_T7_T9_mT8_P12ihipStream_tbDpT10_ENKUlT_T0_E_clISt17integral_constantIbLb1EES1A_IbLb0EEEEDaS16_S17_EUlS16_E_NS1_11comp_targetILNS1_3genE0ELNS1_11target_archE4294967295ELNS1_3gpuE0ELNS1_3repE0EEENS1_30default_config_static_selectorELNS0_4arch9wavefront6targetE0EEEvT1_ ; -- Begin function _ZN7rocprim17ROCPRIM_400000_NS6detail17trampoline_kernelINS0_14default_configENS1_25partition_config_selectorILNS1_17partition_subalgoE6EsNS0_10empty_typeEbEEZZNS1_14partition_implILS5_6ELb0ES3_mN6thrust23THRUST_200600_302600_NS6detail15normal_iteratorINSA_10device_ptrIsEEEEPS6_SG_NS0_5tupleIJNSA_16discard_iteratorINSA_11use_defaultEEES6_EEENSH_IJSG_SG_EEES6_PlJNSB_9not_fun_tINSB_14equal_to_valueIsEEEEEEE10hipError_tPvRmT3_T4_T5_T6_T7_T9_mT8_P12ihipStream_tbDpT10_ENKUlT_T0_E_clISt17integral_constantIbLb1EES1A_IbLb0EEEEDaS16_S17_EUlS16_E_NS1_11comp_targetILNS1_3genE0ELNS1_11target_archE4294967295ELNS1_3gpuE0ELNS1_3repE0EEENS1_30default_config_static_selectorELNS0_4arch9wavefront6targetE0EEEvT1_
	.globl	_ZN7rocprim17ROCPRIM_400000_NS6detail17trampoline_kernelINS0_14default_configENS1_25partition_config_selectorILNS1_17partition_subalgoE6EsNS0_10empty_typeEbEEZZNS1_14partition_implILS5_6ELb0ES3_mN6thrust23THRUST_200600_302600_NS6detail15normal_iteratorINSA_10device_ptrIsEEEEPS6_SG_NS0_5tupleIJNSA_16discard_iteratorINSA_11use_defaultEEES6_EEENSH_IJSG_SG_EEES6_PlJNSB_9not_fun_tINSB_14equal_to_valueIsEEEEEEE10hipError_tPvRmT3_T4_T5_T6_T7_T9_mT8_P12ihipStream_tbDpT10_ENKUlT_T0_E_clISt17integral_constantIbLb1EES1A_IbLb0EEEEDaS16_S17_EUlS16_E_NS1_11comp_targetILNS1_3genE0ELNS1_11target_archE4294967295ELNS1_3gpuE0ELNS1_3repE0EEENS1_30default_config_static_selectorELNS0_4arch9wavefront6targetE0EEEvT1_
	.p2align	8
	.type	_ZN7rocprim17ROCPRIM_400000_NS6detail17trampoline_kernelINS0_14default_configENS1_25partition_config_selectorILNS1_17partition_subalgoE6EsNS0_10empty_typeEbEEZZNS1_14partition_implILS5_6ELb0ES3_mN6thrust23THRUST_200600_302600_NS6detail15normal_iteratorINSA_10device_ptrIsEEEEPS6_SG_NS0_5tupleIJNSA_16discard_iteratorINSA_11use_defaultEEES6_EEENSH_IJSG_SG_EEES6_PlJNSB_9not_fun_tINSB_14equal_to_valueIsEEEEEEE10hipError_tPvRmT3_T4_T5_T6_T7_T9_mT8_P12ihipStream_tbDpT10_ENKUlT_T0_E_clISt17integral_constantIbLb1EES1A_IbLb0EEEEDaS16_S17_EUlS16_E_NS1_11comp_targetILNS1_3genE0ELNS1_11target_archE4294967295ELNS1_3gpuE0ELNS1_3repE0EEENS1_30default_config_static_selectorELNS0_4arch9wavefront6targetE0EEEvT1_,@function
_ZN7rocprim17ROCPRIM_400000_NS6detail17trampoline_kernelINS0_14default_configENS1_25partition_config_selectorILNS1_17partition_subalgoE6EsNS0_10empty_typeEbEEZZNS1_14partition_implILS5_6ELb0ES3_mN6thrust23THRUST_200600_302600_NS6detail15normal_iteratorINSA_10device_ptrIsEEEEPS6_SG_NS0_5tupleIJNSA_16discard_iteratorINSA_11use_defaultEEES6_EEENSH_IJSG_SG_EEES6_PlJNSB_9not_fun_tINSB_14equal_to_valueIsEEEEEEE10hipError_tPvRmT3_T4_T5_T6_T7_T9_mT8_P12ihipStream_tbDpT10_ENKUlT_T0_E_clISt17integral_constantIbLb1EES1A_IbLb0EEEEDaS16_S17_EUlS16_E_NS1_11comp_targetILNS1_3genE0ELNS1_11target_archE4294967295ELNS1_3gpuE0ELNS1_3repE0EEENS1_30default_config_static_selectorELNS0_4arch9wavefront6targetE0EEEvT1_: ; @_ZN7rocprim17ROCPRIM_400000_NS6detail17trampoline_kernelINS0_14default_configENS1_25partition_config_selectorILNS1_17partition_subalgoE6EsNS0_10empty_typeEbEEZZNS1_14partition_implILS5_6ELb0ES3_mN6thrust23THRUST_200600_302600_NS6detail15normal_iteratorINSA_10device_ptrIsEEEEPS6_SG_NS0_5tupleIJNSA_16discard_iteratorINSA_11use_defaultEEES6_EEENSH_IJSG_SG_EEES6_PlJNSB_9not_fun_tINSB_14equal_to_valueIsEEEEEEE10hipError_tPvRmT3_T4_T5_T6_T7_T9_mT8_P12ihipStream_tbDpT10_ENKUlT_T0_E_clISt17integral_constantIbLb1EES1A_IbLb0EEEEDaS16_S17_EUlS16_E_NS1_11comp_targetILNS1_3genE0ELNS1_11target_archE4294967295ELNS1_3gpuE0ELNS1_3repE0EEENS1_30default_config_static_selectorELNS0_4arch9wavefront6targetE0EEEvT1_
; %bb.0:
	.section	.rodata,"a",@progbits
	.p2align	6, 0x0
	.amdhsa_kernel _ZN7rocprim17ROCPRIM_400000_NS6detail17trampoline_kernelINS0_14default_configENS1_25partition_config_selectorILNS1_17partition_subalgoE6EsNS0_10empty_typeEbEEZZNS1_14partition_implILS5_6ELb0ES3_mN6thrust23THRUST_200600_302600_NS6detail15normal_iteratorINSA_10device_ptrIsEEEEPS6_SG_NS0_5tupleIJNSA_16discard_iteratorINSA_11use_defaultEEES6_EEENSH_IJSG_SG_EEES6_PlJNSB_9not_fun_tINSB_14equal_to_valueIsEEEEEEE10hipError_tPvRmT3_T4_T5_T6_T7_T9_mT8_P12ihipStream_tbDpT10_ENKUlT_T0_E_clISt17integral_constantIbLb1EES1A_IbLb0EEEEDaS16_S17_EUlS16_E_NS1_11comp_targetILNS1_3genE0ELNS1_11target_archE4294967295ELNS1_3gpuE0ELNS1_3repE0EEENS1_30default_config_static_selectorELNS0_4arch9wavefront6targetE0EEEvT1_
		.amdhsa_group_segment_fixed_size 0
		.amdhsa_private_segment_fixed_size 0
		.amdhsa_kernarg_size 120
		.amdhsa_user_sgpr_count 2
		.amdhsa_user_sgpr_dispatch_ptr 0
		.amdhsa_user_sgpr_queue_ptr 0
		.amdhsa_user_sgpr_kernarg_segment_ptr 1
		.amdhsa_user_sgpr_dispatch_id 0
		.amdhsa_user_sgpr_private_segment_size 0
		.amdhsa_wavefront_size32 1
		.amdhsa_uses_dynamic_stack 0
		.amdhsa_enable_private_segment 0
		.amdhsa_system_sgpr_workgroup_id_x 1
		.amdhsa_system_sgpr_workgroup_id_y 0
		.amdhsa_system_sgpr_workgroup_id_z 0
		.amdhsa_system_sgpr_workgroup_info 0
		.amdhsa_system_vgpr_workitem_id 0
		.amdhsa_next_free_vgpr 1
		.amdhsa_next_free_sgpr 1
		.amdhsa_reserve_vcc 0
		.amdhsa_float_round_mode_32 0
		.amdhsa_float_round_mode_16_64 0
		.amdhsa_float_denorm_mode_32 3
		.amdhsa_float_denorm_mode_16_64 3
		.amdhsa_fp16_overflow 0
		.amdhsa_workgroup_processor_mode 1
		.amdhsa_memory_ordered 1
		.amdhsa_forward_progress 1
		.amdhsa_inst_pref_size 0
		.amdhsa_round_robin_scheduling 0
		.amdhsa_exception_fp_ieee_invalid_op 0
		.amdhsa_exception_fp_denorm_src 0
		.amdhsa_exception_fp_ieee_div_zero 0
		.amdhsa_exception_fp_ieee_overflow 0
		.amdhsa_exception_fp_ieee_underflow 0
		.amdhsa_exception_fp_ieee_inexact 0
		.amdhsa_exception_int_div_zero 0
	.end_amdhsa_kernel
	.section	.text._ZN7rocprim17ROCPRIM_400000_NS6detail17trampoline_kernelINS0_14default_configENS1_25partition_config_selectorILNS1_17partition_subalgoE6EsNS0_10empty_typeEbEEZZNS1_14partition_implILS5_6ELb0ES3_mN6thrust23THRUST_200600_302600_NS6detail15normal_iteratorINSA_10device_ptrIsEEEEPS6_SG_NS0_5tupleIJNSA_16discard_iteratorINSA_11use_defaultEEES6_EEENSH_IJSG_SG_EEES6_PlJNSB_9not_fun_tINSB_14equal_to_valueIsEEEEEEE10hipError_tPvRmT3_T4_T5_T6_T7_T9_mT8_P12ihipStream_tbDpT10_ENKUlT_T0_E_clISt17integral_constantIbLb1EES1A_IbLb0EEEEDaS16_S17_EUlS16_E_NS1_11comp_targetILNS1_3genE0ELNS1_11target_archE4294967295ELNS1_3gpuE0ELNS1_3repE0EEENS1_30default_config_static_selectorELNS0_4arch9wavefront6targetE0EEEvT1_,"axG",@progbits,_ZN7rocprim17ROCPRIM_400000_NS6detail17trampoline_kernelINS0_14default_configENS1_25partition_config_selectorILNS1_17partition_subalgoE6EsNS0_10empty_typeEbEEZZNS1_14partition_implILS5_6ELb0ES3_mN6thrust23THRUST_200600_302600_NS6detail15normal_iteratorINSA_10device_ptrIsEEEEPS6_SG_NS0_5tupleIJNSA_16discard_iteratorINSA_11use_defaultEEES6_EEENSH_IJSG_SG_EEES6_PlJNSB_9not_fun_tINSB_14equal_to_valueIsEEEEEEE10hipError_tPvRmT3_T4_T5_T6_T7_T9_mT8_P12ihipStream_tbDpT10_ENKUlT_T0_E_clISt17integral_constantIbLb1EES1A_IbLb0EEEEDaS16_S17_EUlS16_E_NS1_11comp_targetILNS1_3genE0ELNS1_11target_archE4294967295ELNS1_3gpuE0ELNS1_3repE0EEENS1_30default_config_static_selectorELNS0_4arch9wavefront6targetE0EEEvT1_,comdat
.Lfunc_end1805:
	.size	_ZN7rocprim17ROCPRIM_400000_NS6detail17trampoline_kernelINS0_14default_configENS1_25partition_config_selectorILNS1_17partition_subalgoE6EsNS0_10empty_typeEbEEZZNS1_14partition_implILS5_6ELb0ES3_mN6thrust23THRUST_200600_302600_NS6detail15normal_iteratorINSA_10device_ptrIsEEEEPS6_SG_NS0_5tupleIJNSA_16discard_iteratorINSA_11use_defaultEEES6_EEENSH_IJSG_SG_EEES6_PlJNSB_9not_fun_tINSB_14equal_to_valueIsEEEEEEE10hipError_tPvRmT3_T4_T5_T6_T7_T9_mT8_P12ihipStream_tbDpT10_ENKUlT_T0_E_clISt17integral_constantIbLb1EES1A_IbLb0EEEEDaS16_S17_EUlS16_E_NS1_11comp_targetILNS1_3genE0ELNS1_11target_archE4294967295ELNS1_3gpuE0ELNS1_3repE0EEENS1_30default_config_static_selectorELNS0_4arch9wavefront6targetE0EEEvT1_, .Lfunc_end1805-_ZN7rocprim17ROCPRIM_400000_NS6detail17trampoline_kernelINS0_14default_configENS1_25partition_config_selectorILNS1_17partition_subalgoE6EsNS0_10empty_typeEbEEZZNS1_14partition_implILS5_6ELb0ES3_mN6thrust23THRUST_200600_302600_NS6detail15normal_iteratorINSA_10device_ptrIsEEEEPS6_SG_NS0_5tupleIJNSA_16discard_iteratorINSA_11use_defaultEEES6_EEENSH_IJSG_SG_EEES6_PlJNSB_9not_fun_tINSB_14equal_to_valueIsEEEEEEE10hipError_tPvRmT3_T4_T5_T6_T7_T9_mT8_P12ihipStream_tbDpT10_ENKUlT_T0_E_clISt17integral_constantIbLb1EES1A_IbLb0EEEEDaS16_S17_EUlS16_E_NS1_11comp_targetILNS1_3genE0ELNS1_11target_archE4294967295ELNS1_3gpuE0ELNS1_3repE0EEENS1_30default_config_static_selectorELNS0_4arch9wavefront6targetE0EEEvT1_
                                        ; -- End function
	.set _ZN7rocprim17ROCPRIM_400000_NS6detail17trampoline_kernelINS0_14default_configENS1_25partition_config_selectorILNS1_17partition_subalgoE6EsNS0_10empty_typeEbEEZZNS1_14partition_implILS5_6ELb0ES3_mN6thrust23THRUST_200600_302600_NS6detail15normal_iteratorINSA_10device_ptrIsEEEEPS6_SG_NS0_5tupleIJNSA_16discard_iteratorINSA_11use_defaultEEES6_EEENSH_IJSG_SG_EEES6_PlJNSB_9not_fun_tINSB_14equal_to_valueIsEEEEEEE10hipError_tPvRmT3_T4_T5_T6_T7_T9_mT8_P12ihipStream_tbDpT10_ENKUlT_T0_E_clISt17integral_constantIbLb1EES1A_IbLb0EEEEDaS16_S17_EUlS16_E_NS1_11comp_targetILNS1_3genE0ELNS1_11target_archE4294967295ELNS1_3gpuE0ELNS1_3repE0EEENS1_30default_config_static_selectorELNS0_4arch9wavefront6targetE0EEEvT1_.num_vgpr, 0
	.set _ZN7rocprim17ROCPRIM_400000_NS6detail17trampoline_kernelINS0_14default_configENS1_25partition_config_selectorILNS1_17partition_subalgoE6EsNS0_10empty_typeEbEEZZNS1_14partition_implILS5_6ELb0ES3_mN6thrust23THRUST_200600_302600_NS6detail15normal_iteratorINSA_10device_ptrIsEEEEPS6_SG_NS0_5tupleIJNSA_16discard_iteratorINSA_11use_defaultEEES6_EEENSH_IJSG_SG_EEES6_PlJNSB_9not_fun_tINSB_14equal_to_valueIsEEEEEEE10hipError_tPvRmT3_T4_T5_T6_T7_T9_mT8_P12ihipStream_tbDpT10_ENKUlT_T0_E_clISt17integral_constantIbLb1EES1A_IbLb0EEEEDaS16_S17_EUlS16_E_NS1_11comp_targetILNS1_3genE0ELNS1_11target_archE4294967295ELNS1_3gpuE0ELNS1_3repE0EEENS1_30default_config_static_selectorELNS0_4arch9wavefront6targetE0EEEvT1_.num_agpr, 0
	.set _ZN7rocprim17ROCPRIM_400000_NS6detail17trampoline_kernelINS0_14default_configENS1_25partition_config_selectorILNS1_17partition_subalgoE6EsNS0_10empty_typeEbEEZZNS1_14partition_implILS5_6ELb0ES3_mN6thrust23THRUST_200600_302600_NS6detail15normal_iteratorINSA_10device_ptrIsEEEEPS6_SG_NS0_5tupleIJNSA_16discard_iteratorINSA_11use_defaultEEES6_EEENSH_IJSG_SG_EEES6_PlJNSB_9not_fun_tINSB_14equal_to_valueIsEEEEEEE10hipError_tPvRmT3_T4_T5_T6_T7_T9_mT8_P12ihipStream_tbDpT10_ENKUlT_T0_E_clISt17integral_constantIbLb1EES1A_IbLb0EEEEDaS16_S17_EUlS16_E_NS1_11comp_targetILNS1_3genE0ELNS1_11target_archE4294967295ELNS1_3gpuE0ELNS1_3repE0EEENS1_30default_config_static_selectorELNS0_4arch9wavefront6targetE0EEEvT1_.numbered_sgpr, 0
	.set _ZN7rocprim17ROCPRIM_400000_NS6detail17trampoline_kernelINS0_14default_configENS1_25partition_config_selectorILNS1_17partition_subalgoE6EsNS0_10empty_typeEbEEZZNS1_14partition_implILS5_6ELb0ES3_mN6thrust23THRUST_200600_302600_NS6detail15normal_iteratorINSA_10device_ptrIsEEEEPS6_SG_NS0_5tupleIJNSA_16discard_iteratorINSA_11use_defaultEEES6_EEENSH_IJSG_SG_EEES6_PlJNSB_9not_fun_tINSB_14equal_to_valueIsEEEEEEE10hipError_tPvRmT3_T4_T5_T6_T7_T9_mT8_P12ihipStream_tbDpT10_ENKUlT_T0_E_clISt17integral_constantIbLb1EES1A_IbLb0EEEEDaS16_S17_EUlS16_E_NS1_11comp_targetILNS1_3genE0ELNS1_11target_archE4294967295ELNS1_3gpuE0ELNS1_3repE0EEENS1_30default_config_static_selectorELNS0_4arch9wavefront6targetE0EEEvT1_.num_named_barrier, 0
	.set _ZN7rocprim17ROCPRIM_400000_NS6detail17trampoline_kernelINS0_14default_configENS1_25partition_config_selectorILNS1_17partition_subalgoE6EsNS0_10empty_typeEbEEZZNS1_14partition_implILS5_6ELb0ES3_mN6thrust23THRUST_200600_302600_NS6detail15normal_iteratorINSA_10device_ptrIsEEEEPS6_SG_NS0_5tupleIJNSA_16discard_iteratorINSA_11use_defaultEEES6_EEENSH_IJSG_SG_EEES6_PlJNSB_9not_fun_tINSB_14equal_to_valueIsEEEEEEE10hipError_tPvRmT3_T4_T5_T6_T7_T9_mT8_P12ihipStream_tbDpT10_ENKUlT_T0_E_clISt17integral_constantIbLb1EES1A_IbLb0EEEEDaS16_S17_EUlS16_E_NS1_11comp_targetILNS1_3genE0ELNS1_11target_archE4294967295ELNS1_3gpuE0ELNS1_3repE0EEENS1_30default_config_static_selectorELNS0_4arch9wavefront6targetE0EEEvT1_.private_seg_size, 0
	.set _ZN7rocprim17ROCPRIM_400000_NS6detail17trampoline_kernelINS0_14default_configENS1_25partition_config_selectorILNS1_17partition_subalgoE6EsNS0_10empty_typeEbEEZZNS1_14partition_implILS5_6ELb0ES3_mN6thrust23THRUST_200600_302600_NS6detail15normal_iteratorINSA_10device_ptrIsEEEEPS6_SG_NS0_5tupleIJNSA_16discard_iteratorINSA_11use_defaultEEES6_EEENSH_IJSG_SG_EEES6_PlJNSB_9not_fun_tINSB_14equal_to_valueIsEEEEEEE10hipError_tPvRmT3_T4_T5_T6_T7_T9_mT8_P12ihipStream_tbDpT10_ENKUlT_T0_E_clISt17integral_constantIbLb1EES1A_IbLb0EEEEDaS16_S17_EUlS16_E_NS1_11comp_targetILNS1_3genE0ELNS1_11target_archE4294967295ELNS1_3gpuE0ELNS1_3repE0EEENS1_30default_config_static_selectorELNS0_4arch9wavefront6targetE0EEEvT1_.uses_vcc, 0
	.set _ZN7rocprim17ROCPRIM_400000_NS6detail17trampoline_kernelINS0_14default_configENS1_25partition_config_selectorILNS1_17partition_subalgoE6EsNS0_10empty_typeEbEEZZNS1_14partition_implILS5_6ELb0ES3_mN6thrust23THRUST_200600_302600_NS6detail15normal_iteratorINSA_10device_ptrIsEEEEPS6_SG_NS0_5tupleIJNSA_16discard_iteratorINSA_11use_defaultEEES6_EEENSH_IJSG_SG_EEES6_PlJNSB_9not_fun_tINSB_14equal_to_valueIsEEEEEEE10hipError_tPvRmT3_T4_T5_T6_T7_T9_mT8_P12ihipStream_tbDpT10_ENKUlT_T0_E_clISt17integral_constantIbLb1EES1A_IbLb0EEEEDaS16_S17_EUlS16_E_NS1_11comp_targetILNS1_3genE0ELNS1_11target_archE4294967295ELNS1_3gpuE0ELNS1_3repE0EEENS1_30default_config_static_selectorELNS0_4arch9wavefront6targetE0EEEvT1_.uses_flat_scratch, 0
	.set _ZN7rocprim17ROCPRIM_400000_NS6detail17trampoline_kernelINS0_14default_configENS1_25partition_config_selectorILNS1_17partition_subalgoE6EsNS0_10empty_typeEbEEZZNS1_14partition_implILS5_6ELb0ES3_mN6thrust23THRUST_200600_302600_NS6detail15normal_iteratorINSA_10device_ptrIsEEEEPS6_SG_NS0_5tupleIJNSA_16discard_iteratorINSA_11use_defaultEEES6_EEENSH_IJSG_SG_EEES6_PlJNSB_9not_fun_tINSB_14equal_to_valueIsEEEEEEE10hipError_tPvRmT3_T4_T5_T6_T7_T9_mT8_P12ihipStream_tbDpT10_ENKUlT_T0_E_clISt17integral_constantIbLb1EES1A_IbLb0EEEEDaS16_S17_EUlS16_E_NS1_11comp_targetILNS1_3genE0ELNS1_11target_archE4294967295ELNS1_3gpuE0ELNS1_3repE0EEENS1_30default_config_static_selectorELNS0_4arch9wavefront6targetE0EEEvT1_.has_dyn_sized_stack, 0
	.set _ZN7rocprim17ROCPRIM_400000_NS6detail17trampoline_kernelINS0_14default_configENS1_25partition_config_selectorILNS1_17partition_subalgoE6EsNS0_10empty_typeEbEEZZNS1_14partition_implILS5_6ELb0ES3_mN6thrust23THRUST_200600_302600_NS6detail15normal_iteratorINSA_10device_ptrIsEEEEPS6_SG_NS0_5tupleIJNSA_16discard_iteratorINSA_11use_defaultEEES6_EEENSH_IJSG_SG_EEES6_PlJNSB_9not_fun_tINSB_14equal_to_valueIsEEEEEEE10hipError_tPvRmT3_T4_T5_T6_T7_T9_mT8_P12ihipStream_tbDpT10_ENKUlT_T0_E_clISt17integral_constantIbLb1EES1A_IbLb0EEEEDaS16_S17_EUlS16_E_NS1_11comp_targetILNS1_3genE0ELNS1_11target_archE4294967295ELNS1_3gpuE0ELNS1_3repE0EEENS1_30default_config_static_selectorELNS0_4arch9wavefront6targetE0EEEvT1_.has_recursion, 0
	.set _ZN7rocprim17ROCPRIM_400000_NS6detail17trampoline_kernelINS0_14default_configENS1_25partition_config_selectorILNS1_17partition_subalgoE6EsNS0_10empty_typeEbEEZZNS1_14partition_implILS5_6ELb0ES3_mN6thrust23THRUST_200600_302600_NS6detail15normal_iteratorINSA_10device_ptrIsEEEEPS6_SG_NS0_5tupleIJNSA_16discard_iteratorINSA_11use_defaultEEES6_EEENSH_IJSG_SG_EEES6_PlJNSB_9not_fun_tINSB_14equal_to_valueIsEEEEEEE10hipError_tPvRmT3_T4_T5_T6_T7_T9_mT8_P12ihipStream_tbDpT10_ENKUlT_T0_E_clISt17integral_constantIbLb1EES1A_IbLb0EEEEDaS16_S17_EUlS16_E_NS1_11comp_targetILNS1_3genE0ELNS1_11target_archE4294967295ELNS1_3gpuE0ELNS1_3repE0EEENS1_30default_config_static_selectorELNS0_4arch9wavefront6targetE0EEEvT1_.has_indirect_call, 0
	.section	.AMDGPU.csdata,"",@progbits
; Kernel info:
; codeLenInByte = 0
; TotalNumSgprs: 0
; NumVgprs: 0
; ScratchSize: 0
; MemoryBound: 0
; FloatMode: 240
; IeeeMode: 1
; LDSByteSize: 0 bytes/workgroup (compile time only)
; SGPRBlocks: 0
; VGPRBlocks: 0
; NumSGPRsForWavesPerEU: 1
; NumVGPRsForWavesPerEU: 1
; Occupancy: 16
; WaveLimiterHint : 0
; COMPUTE_PGM_RSRC2:SCRATCH_EN: 0
; COMPUTE_PGM_RSRC2:USER_SGPR: 2
; COMPUTE_PGM_RSRC2:TRAP_HANDLER: 0
; COMPUTE_PGM_RSRC2:TGID_X_EN: 1
; COMPUTE_PGM_RSRC2:TGID_Y_EN: 0
; COMPUTE_PGM_RSRC2:TGID_Z_EN: 0
; COMPUTE_PGM_RSRC2:TIDIG_COMP_CNT: 0
	.section	.text._ZN7rocprim17ROCPRIM_400000_NS6detail17trampoline_kernelINS0_14default_configENS1_25partition_config_selectorILNS1_17partition_subalgoE6EsNS0_10empty_typeEbEEZZNS1_14partition_implILS5_6ELb0ES3_mN6thrust23THRUST_200600_302600_NS6detail15normal_iteratorINSA_10device_ptrIsEEEEPS6_SG_NS0_5tupleIJNSA_16discard_iteratorINSA_11use_defaultEEES6_EEENSH_IJSG_SG_EEES6_PlJNSB_9not_fun_tINSB_14equal_to_valueIsEEEEEEE10hipError_tPvRmT3_T4_T5_T6_T7_T9_mT8_P12ihipStream_tbDpT10_ENKUlT_T0_E_clISt17integral_constantIbLb1EES1A_IbLb0EEEEDaS16_S17_EUlS16_E_NS1_11comp_targetILNS1_3genE5ELNS1_11target_archE942ELNS1_3gpuE9ELNS1_3repE0EEENS1_30default_config_static_selectorELNS0_4arch9wavefront6targetE0EEEvT1_,"axG",@progbits,_ZN7rocprim17ROCPRIM_400000_NS6detail17trampoline_kernelINS0_14default_configENS1_25partition_config_selectorILNS1_17partition_subalgoE6EsNS0_10empty_typeEbEEZZNS1_14partition_implILS5_6ELb0ES3_mN6thrust23THRUST_200600_302600_NS6detail15normal_iteratorINSA_10device_ptrIsEEEEPS6_SG_NS0_5tupleIJNSA_16discard_iteratorINSA_11use_defaultEEES6_EEENSH_IJSG_SG_EEES6_PlJNSB_9not_fun_tINSB_14equal_to_valueIsEEEEEEE10hipError_tPvRmT3_T4_T5_T6_T7_T9_mT8_P12ihipStream_tbDpT10_ENKUlT_T0_E_clISt17integral_constantIbLb1EES1A_IbLb0EEEEDaS16_S17_EUlS16_E_NS1_11comp_targetILNS1_3genE5ELNS1_11target_archE942ELNS1_3gpuE9ELNS1_3repE0EEENS1_30default_config_static_selectorELNS0_4arch9wavefront6targetE0EEEvT1_,comdat
	.protected	_ZN7rocprim17ROCPRIM_400000_NS6detail17trampoline_kernelINS0_14default_configENS1_25partition_config_selectorILNS1_17partition_subalgoE6EsNS0_10empty_typeEbEEZZNS1_14partition_implILS5_6ELb0ES3_mN6thrust23THRUST_200600_302600_NS6detail15normal_iteratorINSA_10device_ptrIsEEEEPS6_SG_NS0_5tupleIJNSA_16discard_iteratorINSA_11use_defaultEEES6_EEENSH_IJSG_SG_EEES6_PlJNSB_9not_fun_tINSB_14equal_to_valueIsEEEEEEE10hipError_tPvRmT3_T4_T5_T6_T7_T9_mT8_P12ihipStream_tbDpT10_ENKUlT_T0_E_clISt17integral_constantIbLb1EES1A_IbLb0EEEEDaS16_S17_EUlS16_E_NS1_11comp_targetILNS1_3genE5ELNS1_11target_archE942ELNS1_3gpuE9ELNS1_3repE0EEENS1_30default_config_static_selectorELNS0_4arch9wavefront6targetE0EEEvT1_ ; -- Begin function _ZN7rocprim17ROCPRIM_400000_NS6detail17trampoline_kernelINS0_14default_configENS1_25partition_config_selectorILNS1_17partition_subalgoE6EsNS0_10empty_typeEbEEZZNS1_14partition_implILS5_6ELb0ES3_mN6thrust23THRUST_200600_302600_NS6detail15normal_iteratorINSA_10device_ptrIsEEEEPS6_SG_NS0_5tupleIJNSA_16discard_iteratorINSA_11use_defaultEEES6_EEENSH_IJSG_SG_EEES6_PlJNSB_9not_fun_tINSB_14equal_to_valueIsEEEEEEE10hipError_tPvRmT3_T4_T5_T6_T7_T9_mT8_P12ihipStream_tbDpT10_ENKUlT_T0_E_clISt17integral_constantIbLb1EES1A_IbLb0EEEEDaS16_S17_EUlS16_E_NS1_11comp_targetILNS1_3genE5ELNS1_11target_archE942ELNS1_3gpuE9ELNS1_3repE0EEENS1_30default_config_static_selectorELNS0_4arch9wavefront6targetE0EEEvT1_
	.globl	_ZN7rocprim17ROCPRIM_400000_NS6detail17trampoline_kernelINS0_14default_configENS1_25partition_config_selectorILNS1_17partition_subalgoE6EsNS0_10empty_typeEbEEZZNS1_14partition_implILS5_6ELb0ES3_mN6thrust23THRUST_200600_302600_NS6detail15normal_iteratorINSA_10device_ptrIsEEEEPS6_SG_NS0_5tupleIJNSA_16discard_iteratorINSA_11use_defaultEEES6_EEENSH_IJSG_SG_EEES6_PlJNSB_9not_fun_tINSB_14equal_to_valueIsEEEEEEE10hipError_tPvRmT3_T4_T5_T6_T7_T9_mT8_P12ihipStream_tbDpT10_ENKUlT_T0_E_clISt17integral_constantIbLb1EES1A_IbLb0EEEEDaS16_S17_EUlS16_E_NS1_11comp_targetILNS1_3genE5ELNS1_11target_archE942ELNS1_3gpuE9ELNS1_3repE0EEENS1_30default_config_static_selectorELNS0_4arch9wavefront6targetE0EEEvT1_
	.p2align	8
	.type	_ZN7rocprim17ROCPRIM_400000_NS6detail17trampoline_kernelINS0_14default_configENS1_25partition_config_selectorILNS1_17partition_subalgoE6EsNS0_10empty_typeEbEEZZNS1_14partition_implILS5_6ELb0ES3_mN6thrust23THRUST_200600_302600_NS6detail15normal_iteratorINSA_10device_ptrIsEEEEPS6_SG_NS0_5tupleIJNSA_16discard_iteratorINSA_11use_defaultEEES6_EEENSH_IJSG_SG_EEES6_PlJNSB_9not_fun_tINSB_14equal_to_valueIsEEEEEEE10hipError_tPvRmT3_T4_T5_T6_T7_T9_mT8_P12ihipStream_tbDpT10_ENKUlT_T0_E_clISt17integral_constantIbLb1EES1A_IbLb0EEEEDaS16_S17_EUlS16_E_NS1_11comp_targetILNS1_3genE5ELNS1_11target_archE942ELNS1_3gpuE9ELNS1_3repE0EEENS1_30default_config_static_selectorELNS0_4arch9wavefront6targetE0EEEvT1_,@function
_ZN7rocprim17ROCPRIM_400000_NS6detail17trampoline_kernelINS0_14default_configENS1_25partition_config_selectorILNS1_17partition_subalgoE6EsNS0_10empty_typeEbEEZZNS1_14partition_implILS5_6ELb0ES3_mN6thrust23THRUST_200600_302600_NS6detail15normal_iteratorINSA_10device_ptrIsEEEEPS6_SG_NS0_5tupleIJNSA_16discard_iteratorINSA_11use_defaultEEES6_EEENSH_IJSG_SG_EEES6_PlJNSB_9not_fun_tINSB_14equal_to_valueIsEEEEEEE10hipError_tPvRmT3_T4_T5_T6_T7_T9_mT8_P12ihipStream_tbDpT10_ENKUlT_T0_E_clISt17integral_constantIbLb1EES1A_IbLb0EEEEDaS16_S17_EUlS16_E_NS1_11comp_targetILNS1_3genE5ELNS1_11target_archE942ELNS1_3gpuE9ELNS1_3repE0EEENS1_30default_config_static_selectorELNS0_4arch9wavefront6targetE0EEEvT1_: ; @_ZN7rocprim17ROCPRIM_400000_NS6detail17trampoline_kernelINS0_14default_configENS1_25partition_config_selectorILNS1_17partition_subalgoE6EsNS0_10empty_typeEbEEZZNS1_14partition_implILS5_6ELb0ES3_mN6thrust23THRUST_200600_302600_NS6detail15normal_iteratorINSA_10device_ptrIsEEEEPS6_SG_NS0_5tupleIJNSA_16discard_iteratorINSA_11use_defaultEEES6_EEENSH_IJSG_SG_EEES6_PlJNSB_9not_fun_tINSB_14equal_to_valueIsEEEEEEE10hipError_tPvRmT3_T4_T5_T6_T7_T9_mT8_P12ihipStream_tbDpT10_ENKUlT_T0_E_clISt17integral_constantIbLb1EES1A_IbLb0EEEEDaS16_S17_EUlS16_E_NS1_11comp_targetILNS1_3genE5ELNS1_11target_archE942ELNS1_3gpuE9ELNS1_3repE0EEENS1_30default_config_static_selectorELNS0_4arch9wavefront6targetE0EEEvT1_
; %bb.0:
	.section	.rodata,"a",@progbits
	.p2align	6, 0x0
	.amdhsa_kernel _ZN7rocprim17ROCPRIM_400000_NS6detail17trampoline_kernelINS0_14default_configENS1_25partition_config_selectorILNS1_17partition_subalgoE6EsNS0_10empty_typeEbEEZZNS1_14partition_implILS5_6ELb0ES3_mN6thrust23THRUST_200600_302600_NS6detail15normal_iteratorINSA_10device_ptrIsEEEEPS6_SG_NS0_5tupleIJNSA_16discard_iteratorINSA_11use_defaultEEES6_EEENSH_IJSG_SG_EEES6_PlJNSB_9not_fun_tINSB_14equal_to_valueIsEEEEEEE10hipError_tPvRmT3_T4_T5_T6_T7_T9_mT8_P12ihipStream_tbDpT10_ENKUlT_T0_E_clISt17integral_constantIbLb1EES1A_IbLb0EEEEDaS16_S17_EUlS16_E_NS1_11comp_targetILNS1_3genE5ELNS1_11target_archE942ELNS1_3gpuE9ELNS1_3repE0EEENS1_30default_config_static_selectorELNS0_4arch9wavefront6targetE0EEEvT1_
		.amdhsa_group_segment_fixed_size 0
		.amdhsa_private_segment_fixed_size 0
		.amdhsa_kernarg_size 120
		.amdhsa_user_sgpr_count 2
		.amdhsa_user_sgpr_dispatch_ptr 0
		.amdhsa_user_sgpr_queue_ptr 0
		.amdhsa_user_sgpr_kernarg_segment_ptr 1
		.amdhsa_user_sgpr_dispatch_id 0
		.amdhsa_user_sgpr_private_segment_size 0
		.amdhsa_wavefront_size32 1
		.amdhsa_uses_dynamic_stack 0
		.amdhsa_enable_private_segment 0
		.amdhsa_system_sgpr_workgroup_id_x 1
		.amdhsa_system_sgpr_workgroup_id_y 0
		.amdhsa_system_sgpr_workgroup_id_z 0
		.amdhsa_system_sgpr_workgroup_info 0
		.amdhsa_system_vgpr_workitem_id 0
		.amdhsa_next_free_vgpr 1
		.amdhsa_next_free_sgpr 1
		.amdhsa_reserve_vcc 0
		.amdhsa_float_round_mode_32 0
		.amdhsa_float_round_mode_16_64 0
		.amdhsa_float_denorm_mode_32 3
		.amdhsa_float_denorm_mode_16_64 3
		.amdhsa_fp16_overflow 0
		.amdhsa_workgroup_processor_mode 1
		.amdhsa_memory_ordered 1
		.amdhsa_forward_progress 1
		.amdhsa_inst_pref_size 0
		.amdhsa_round_robin_scheduling 0
		.amdhsa_exception_fp_ieee_invalid_op 0
		.amdhsa_exception_fp_denorm_src 0
		.amdhsa_exception_fp_ieee_div_zero 0
		.amdhsa_exception_fp_ieee_overflow 0
		.amdhsa_exception_fp_ieee_underflow 0
		.amdhsa_exception_fp_ieee_inexact 0
		.amdhsa_exception_int_div_zero 0
	.end_amdhsa_kernel
	.section	.text._ZN7rocprim17ROCPRIM_400000_NS6detail17trampoline_kernelINS0_14default_configENS1_25partition_config_selectorILNS1_17partition_subalgoE6EsNS0_10empty_typeEbEEZZNS1_14partition_implILS5_6ELb0ES3_mN6thrust23THRUST_200600_302600_NS6detail15normal_iteratorINSA_10device_ptrIsEEEEPS6_SG_NS0_5tupleIJNSA_16discard_iteratorINSA_11use_defaultEEES6_EEENSH_IJSG_SG_EEES6_PlJNSB_9not_fun_tINSB_14equal_to_valueIsEEEEEEE10hipError_tPvRmT3_T4_T5_T6_T7_T9_mT8_P12ihipStream_tbDpT10_ENKUlT_T0_E_clISt17integral_constantIbLb1EES1A_IbLb0EEEEDaS16_S17_EUlS16_E_NS1_11comp_targetILNS1_3genE5ELNS1_11target_archE942ELNS1_3gpuE9ELNS1_3repE0EEENS1_30default_config_static_selectorELNS0_4arch9wavefront6targetE0EEEvT1_,"axG",@progbits,_ZN7rocprim17ROCPRIM_400000_NS6detail17trampoline_kernelINS0_14default_configENS1_25partition_config_selectorILNS1_17partition_subalgoE6EsNS0_10empty_typeEbEEZZNS1_14partition_implILS5_6ELb0ES3_mN6thrust23THRUST_200600_302600_NS6detail15normal_iteratorINSA_10device_ptrIsEEEEPS6_SG_NS0_5tupleIJNSA_16discard_iteratorINSA_11use_defaultEEES6_EEENSH_IJSG_SG_EEES6_PlJNSB_9not_fun_tINSB_14equal_to_valueIsEEEEEEE10hipError_tPvRmT3_T4_T5_T6_T7_T9_mT8_P12ihipStream_tbDpT10_ENKUlT_T0_E_clISt17integral_constantIbLb1EES1A_IbLb0EEEEDaS16_S17_EUlS16_E_NS1_11comp_targetILNS1_3genE5ELNS1_11target_archE942ELNS1_3gpuE9ELNS1_3repE0EEENS1_30default_config_static_selectorELNS0_4arch9wavefront6targetE0EEEvT1_,comdat
.Lfunc_end1806:
	.size	_ZN7rocprim17ROCPRIM_400000_NS6detail17trampoline_kernelINS0_14default_configENS1_25partition_config_selectorILNS1_17partition_subalgoE6EsNS0_10empty_typeEbEEZZNS1_14partition_implILS5_6ELb0ES3_mN6thrust23THRUST_200600_302600_NS6detail15normal_iteratorINSA_10device_ptrIsEEEEPS6_SG_NS0_5tupleIJNSA_16discard_iteratorINSA_11use_defaultEEES6_EEENSH_IJSG_SG_EEES6_PlJNSB_9not_fun_tINSB_14equal_to_valueIsEEEEEEE10hipError_tPvRmT3_T4_T5_T6_T7_T9_mT8_P12ihipStream_tbDpT10_ENKUlT_T0_E_clISt17integral_constantIbLb1EES1A_IbLb0EEEEDaS16_S17_EUlS16_E_NS1_11comp_targetILNS1_3genE5ELNS1_11target_archE942ELNS1_3gpuE9ELNS1_3repE0EEENS1_30default_config_static_selectorELNS0_4arch9wavefront6targetE0EEEvT1_, .Lfunc_end1806-_ZN7rocprim17ROCPRIM_400000_NS6detail17trampoline_kernelINS0_14default_configENS1_25partition_config_selectorILNS1_17partition_subalgoE6EsNS0_10empty_typeEbEEZZNS1_14partition_implILS5_6ELb0ES3_mN6thrust23THRUST_200600_302600_NS6detail15normal_iteratorINSA_10device_ptrIsEEEEPS6_SG_NS0_5tupleIJNSA_16discard_iteratorINSA_11use_defaultEEES6_EEENSH_IJSG_SG_EEES6_PlJNSB_9not_fun_tINSB_14equal_to_valueIsEEEEEEE10hipError_tPvRmT3_T4_T5_T6_T7_T9_mT8_P12ihipStream_tbDpT10_ENKUlT_T0_E_clISt17integral_constantIbLb1EES1A_IbLb0EEEEDaS16_S17_EUlS16_E_NS1_11comp_targetILNS1_3genE5ELNS1_11target_archE942ELNS1_3gpuE9ELNS1_3repE0EEENS1_30default_config_static_selectorELNS0_4arch9wavefront6targetE0EEEvT1_
                                        ; -- End function
	.set _ZN7rocprim17ROCPRIM_400000_NS6detail17trampoline_kernelINS0_14default_configENS1_25partition_config_selectorILNS1_17partition_subalgoE6EsNS0_10empty_typeEbEEZZNS1_14partition_implILS5_6ELb0ES3_mN6thrust23THRUST_200600_302600_NS6detail15normal_iteratorINSA_10device_ptrIsEEEEPS6_SG_NS0_5tupleIJNSA_16discard_iteratorINSA_11use_defaultEEES6_EEENSH_IJSG_SG_EEES6_PlJNSB_9not_fun_tINSB_14equal_to_valueIsEEEEEEE10hipError_tPvRmT3_T4_T5_T6_T7_T9_mT8_P12ihipStream_tbDpT10_ENKUlT_T0_E_clISt17integral_constantIbLb1EES1A_IbLb0EEEEDaS16_S17_EUlS16_E_NS1_11comp_targetILNS1_3genE5ELNS1_11target_archE942ELNS1_3gpuE9ELNS1_3repE0EEENS1_30default_config_static_selectorELNS0_4arch9wavefront6targetE0EEEvT1_.num_vgpr, 0
	.set _ZN7rocprim17ROCPRIM_400000_NS6detail17trampoline_kernelINS0_14default_configENS1_25partition_config_selectorILNS1_17partition_subalgoE6EsNS0_10empty_typeEbEEZZNS1_14partition_implILS5_6ELb0ES3_mN6thrust23THRUST_200600_302600_NS6detail15normal_iteratorINSA_10device_ptrIsEEEEPS6_SG_NS0_5tupleIJNSA_16discard_iteratorINSA_11use_defaultEEES6_EEENSH_IJSG_SG_EEES6_PlJNSB_9not_fun_tINSB_14equal_to_valueIsEEEEEEE10hipError_tPvRmT3_T4_T5_T6_T7_T9_mT8_P12ihipStream_tbDpT10_ENKUlT_T0_E_clISt17integral_constantIbLb1EES1A_IbLb0EEEEDaS16_S17_EUlS16_E_NS1_11comp_targetILNS1_3genE5ELNS1_11target_archE942ELNS1_3gpuE9ELNS1_3repE0EEENS1_30default_config_static_selectorELNS0_4arch9wavefront6targetE0EEEvT1_.num_agpr, 0
	.set _ZN7rocprim17ROCPRIM_400000_NS6detail17trampoline_kernelINS0_14default_configENS1_25partition_config_selectorILNS1_17partition_subalgoE6EsNS0_10empty_typeEbEEZZNS1_14partition_implILS5_6ELb0ES3_mN6thrust23THRUST_200600_302600_NS6detail15normal_iteratorINSA_10device_ptrIsEEEEPS6_SG_NS0_5tupleIJNSA_16discard_iteratorINSA_11use_defaultEEES6_EEENSH_IJSG_SG_EEES6_PlJNSB_9not_fun_tINSB_14equal_to_valueIsEEEEEEE10hipError_tPvRmT3_T4_T5_T6_T7_T9_mT8_P12ihipStream_tbDpT10_ENKUlT_T0_E_clISt17integral_constantIbLb1EES1A_IbLb0EEEEDaS16_S17_EUlS16_E_NS1_11comp_targetILNS1_3genE5ELNS1_11target_archE942ELNS1_3gpuE9ELNS1_3repE0EEENS1_30default_config_static_selectorELNS0_4arch9wavefront6targetE0EEEvT1_.numbered_sgpr, 0
	.set _ZN7rocprim17ROCPRIM_400000_NS6detail17trampoline_kernelINS0_14default_configENS1_25partition_config_selectorILNS1_17partition_subalgoE6EsNS0_10empty_typeEbEEZZNS1_14partition_implILS5_6ELb0ES3_mN6thrust23THRUST_200600_302600_NS6detail15normal_iteratorINSA_10device_ptrIsEEEEPS6_SG_NS0_5tupleIJNSA_16discard_iteratorINSA_11use_defaultEEES6_EEENSH_IJSG_SG_EEES6_PlJNSB_9not_fun_tINSB_14equal_to_valueIsEEEEEEE10hipError_tPvRmT3_T4_T5_T6_T7_T9_mT8_P12ihipStream_tbDpT10_ENKUlT_T0_E_clISt17integral_constantIbLb1EES1A_IbLb0EEEEDaS16_S17_EUlS16_E_NS1_11comp_targetILNS1_3genE5ELNS1_11target_archE942ELNS1_3gpuE9ELNS1_3repE0EEENS1_30default_config_static_selectorELNS0_4arch9wavefront6targetE0EEEvT1_.num_named_barrier, 0
	.set _ZN7rocprim17ROCPRIM_400000_NS6detail17trampoline_kernelINS0_14default_configENS1_25partition_config_selectorILNS1_17partition_subalgoE6EsNS0_10empty_typeEbEEZZNS1_14partition_implILS5_6ELb0ES3_mN6thrust23THRUST_200600_302600_NS6detail15normal_iteratorINSA_10device_ptrIsEEEEPS6_SG_NS0_5tupleIJNSA_16discard_iteratorINSA_11use_defaultEEES6_EEENSH_IJSG_SG_EEES6_PlJNSB_9not_fun_tINSB_14equal_to_valueIsEEEEEEE10hipError_tPvRmT3_T4_T5_T6_T7_T9_mT8_P12ihipStream_tbDpT10_ENKUlT_T0_E_clISt17integral_constantIbLb1EES1A_IbLb0EEEEDaS16_S17_EUlS16_E_NS1_11comp_targetILNS1_3genE5ELNS1_11target_archE942ELNS1_3gpuE9ELNS1_3repE0EEENS1_30default_config_static_selectorELNS0_4arch9wavefront6targetE0EEEvT1_.private_seg_size, 0
	.set _ZN7rocprim17ROCPRIM_400000_NS6detail17trampoline_kernelINS0_14default_configENS1_25partition_config_selectorILNS1_17partition_subalgoE6EsNS0_10empty_typeEbEEZZNS1_14partition_implILS5_6ELb0ES3_mN6thrust23THRUST_200600_302600_NS6detail15normal_iteratorINSA_10device_ptrIsEEEEPS6_SG_NS0_5tupleIJNSA_16discard_iteratorINSA_11use_defaultEEES6_EEENSH_IJSG_SG_EEES6_PlJNSB_9not_fun_tINSB_14equal_to_valueIsEEEEEEE10hipError_tPvRmT3_T4_T5_T6_T7_T9_mT8_P12ihipStream_tbDpT10_ENKUlT_T0_E_clISt17integral_constantIbLb1EES1A_IbLb0EEEEDaS16_S17_EUlS16_E_NS1_11comp_targetILNS1_3genE5ELNS1_11target_archE942ELNS1_3gpuE9ELNS1_3repE0EEENS1_30default_config_static_selectorELNS0_4arch9wavefront6targetE0EEEvT1_.uses_vcc, 0
	.set _ZN7rocprim17ROCPRIM_400000_NS6detail17trampoline_kernelINS0_14default_configENS1_25partition_config_selectorILNS1_17partition_subalgoE6EsNS0_10empty_typeEbEEZZNS1_14partition_implILS5_6ELb0ES3_mN6thrust23THRUST_200600_302600_NS6detail15normal_iteratorINSA_10device_ptrIsEEEEPS6_SG_NS0_5tupleIJNSA_16discard_iteratorINSA_11use_defaultEEES6_EEENSH_IJSG_SG_EEES6_PlJNSB_9not_fun_tINSB_14equal_to_valueIsEEEEEEE10hipError_tPvRmT3_T4_T5_T6_T7_T9_mT8_P12ihipStream_tbDpT10_ENKUlT_T0_E_clISt17integral_constantIbLb1EES1A_IbLb0EEEEDaS16_S17_EUlS16_E_NS1_11comp_targetILNS1_3genE5ELNS1_11target_archE942ELNS1_3gpuE9ELNS1_3repE0EEENS1_30default_config_static_selectorELNS0_4arch9wavefront6targetE0EEEvT1_.uses_flat_scratch, 0
	.set _ZN7rocprim17ROCPRIM_400000_NS6detail17trampoline_kernelINS0_14default_configENS1_25partition_config_selectorILNS1_17partition_subalgoE6EsNS0_10empty_typeEbEEZZNS1_14partition_implILS5_6ELb0ES3_mN6thrust23THRUST_200600_302600_NS6detail15normal_iteratorINSA_10device_ptrIsEEEEPS6_SG_NS0_5tupleIJNSA_16discard_iteratorINSA_11use_defaultEEES6_EEENSH_IJSG_SG_EEES6_PlJNSB_9not_fun_tINSB_14equal_to_valueIsEEEEEEE10hipError_tPvRmT3_T4_T5_T6_T7_T9_mT8_P12ihipStream_tbDpT10_ENKUlT_T0_E_clISt17integral_constantIbLb1EES1A_IbLb0EEEEDaS16_S17_EUlS16_E_NS1_11comp_targetILNS1_3genE5ELNS1_11target_archE942ELNS1_3gpuE9ELNS1_3repE0EEENS1_30default_config_static_selectorELNS0_4arch9wavefront6targetE0EEEvT1_.has_dyn_sized_stack, 0
	.set _ZN7rocprim17ROCPRIM_400000_NS6detail17trampoline_kernelINS0_14default_configENS1_25partition_config_selectorILNS1_17partition_subalgoE6EsNS0_10empty_typeEbEEZZNS1_14partition_implILS5_6ELb0ES3_mN6thrust23THRUST_200600_302600_NS6detail15normal_iteratorINSA_10device_ptrIsEEEEPS6_SG_NS0_5tupleIJNSA_16discard_iteratorINSA_11use_defaultEEES6_EEENSH_IJSG_SG_EEES6_PlJNSB_9not_fun_tINSB_14equal_to_valueIsEEEEEEE10hipError_tPvRmT3_T4_T5_T6_T7_T9_mT8_P12ihipStream_tbDpT10_ENKUlT_T0_E_clISt17integral_constantIbLb1EES1A_IbLb0EEEEDaS16_S17_EUlS16_E_NS1_11comp_targetILNS1_3genE5ELNS1_11target_archE942ELNS1_3gpuE9ELNS1_3repE0EEENS1_30default_config_static_selectorELNS0_4arch9wavefront6targetE0EEEvT1_.has_recursion, 0
	.set _ZN7rocprim17ROCPRIM_400000_NS6detail17trampoline_kernelINS0_14default_configENS1_25partition_config_selectorILNS1_17partition_subalgoE6EsNS0_10empty_typeEbEEZZNS1_14partition_implILS5_6ELb0ES3_mN6thrust23THRUST_200600_302600_NS6detail15normal_iteratorINSA_10device_ptrIsEEEEPS6_SG_NS0_5tupleIJNSA_16discard_iteratorINSA_11use_defaultEEES6_EEENSH_IJSG_SG_EEES6_PlJNSB_9not_fun_tINSB_14equal_to_valueIsEEEEEEE10hipError_tPvRmT3_T4_T5_T6_T7_T9_mT8_P12ihipStream_tbDpT10_ENKUlT_T0_E_clISt17integral_constantIbLb1EES1A_IbLb0EEEEDaS16_S17_EUlS16_E_NS1_11comp_targetILNS1_3genE5ELNS1_11target_archE942ELNS1_3gpuE9ELNS1_3repE0EEENS1_30default_config_static_selectorELNS0_4arch9wavefront6targetE0EEEvT1_.has_indirect_call, 0
	.section	.AMDGPU.csdata,"",@progbits
; Kernel info:
; codeLenInByte = 0
; TotalNumSgprs: 0
; NumVgprs: 0
; ScratchSize: 0
; MemoryBound: 0
; FloatMode: 240
; IeeeMode: 1
; LDSByteSize: 0 bytes/workgroup (compile time only)
; SGPRBlocks: 0
; VGPRBlocks: 0
; NumSGPRsForWavesPerEU: 1
; NumVGPRsForWavesPerEU: 1
; Occupancy: 16
; WaveLimiterHint : 0
; COMPUTE_PGM_RSRC2:SCRATCH_EN: 0
; COMPUTE_PGM_RSRC2:USER_SGPR: 2
; COMPUTE_PGM_RSRC2:TRAP_HANDLER: 0
; COMPUTE_PGM_RSRC2:TGID_X_EN: 1
; COMPUTE_PGM_RSRC2:TGID_Y_EN: 0
; COMPUTE_PGM_RSRC2:TGID_Z_EN: 0
; COMPUTE_PGM_RSRC2:TIDIG_COMP_CNT: 0
	.section	.text._ZN7rocprim17ROCPRIM_400000_NS6detail17trampoline_kernelINS0_14default_configENS1_25partition_config_selectorILNS1_17partition_subalgoE6EsNS0_10empty_typeEbEEZZNS1_14partition_implILS5_6ELb0ES3_mN6thrust23THRUST_200600_302600_NS6detail15normal_iteratorINSA_10device_ptrIsEEEEPS6_SG_NS0_5tupleIJNSA_16discard_iteratorINSA_11use_defaultEEES6_EEENSH_IJSG_SG_EEES6_PlJNSB_9not_fun_tINSB_14equal_to_valueIsEEEEEEE10hipError_tPvRmT3_T4_T5_T6_T7_T9_mT8_P12ihipStream_tbDpT10_ENKUlT_T0_E_clISt17integral_constantIbLb1EES1A_IbLb0EEEEDaS16_S17_EUlS16_E_NS1_11comp_targetILNS1_3genE4ELNS1_11target_archE910ELNS1_3gpuE8ELNS1_3repE0EEENS1_30default_config_static_selectorELNS0_4arch9wavefront6targetE0EEEvT1_,"axG",@progbits,_ZN7rocprim17ROCPRIM_400000_NS6detail17trampoline_kernelINS0_14default_configENS1_25partition_config_selectorILNS1_17partition_subalgoE6EsNS0_10empty_typeEbEEZZNS1_14partition_implILS5_6ELb0ES3_mN6thrust23THRUST_200600_302600_NS6detail15normal_iteratorINSA_10device_ptrIsEEEEPS6_SG_NS0_5tupleIJNSA_16discard_iteratorINSA_11use_defaultEEES6_EEENSH_IJSG_SG_EEES6_PlJNSB_9not_fun_tINSB_14equal_to_valueIsEEEEEEE10hipError_tPvRmT3_T4_T5_T6_T7_T9_mT8_P12ihipStream_tbDpT10_ENKUlT_T0_E_clISt17integral_constantIbLb1EES1A_IbLb0EEEEDaS16_S17_EUlS16_E_NS1_11comp_targetILNS1_3genE4ELNS1_11target_archE910ELNS1_3gpuE8ELNS1_3repE0EEENS1_30default_config_static_selectorELNS0_4arch9wavefront6targetE0EEEvT1_,comdat
	.protected	_ZN7rocprim17ROCPRIM_400000_NS6detail17trampoline_kernelINS0_14default_configENS1_25partition_config_selectorILNS1_17partition_subalgoE6EsNS0_10empty_typeEbEEZZNS1_14partition_implILS5_6ELb0ES3_mN6thrust23THRUST_200600_302600_NS6detail15normal_iteratorINSA_10device_ptrIsEEEEPS6_SG_NS0_5tupleIJNSA_16discard_iteratorINSA_11use_defaultEEES6_EEENSH_IJSG_SG_EEES6_PlJNSB_9not_fun_tINSB_14equal_to_valueIsEEEEEEE10hipError_tPvRmT3_T4_T5_T6_T7_T9_mT8_P12ihipStream_tbDpT10_ENKUlT_T0_E_clISt17integral_constantIbLb1EES1A_IbLb0EEEEDaS16_S17_EUlS16_E_NS1_11comp_targetILNS1_3genE4ELNS1_11target_archE910ELNS1_3gpuE8ELNS1_3repE0EEENS1_30default_config_static_selectorELNS0_4arch9wavefront6targetE0EEEvT1_ ; -- Begin function _ZN7rocprim17ROCPRIM_400000_NS6detail17trampoline_kernelINS0_14default_configENS1_25partition_config_selectorILNS1_17partition_subalgoE6EsNS0_10empty_typeEbEEZZNS1_14partition_implILS5_6ELb0ES3_mN6thrust23THRUST_200600_302600_NS6detail15normal_iteratorINSA_10device_ptrIsEEEEPS6_SG_NS0_5tupleIJNSA_16discard_iteratorINSA_11use_defaultEEES6_EEENSH_IJSG_SG_EEES6_PlJNSB_9not_fun_tINSB_14equal_to_valueIsEEEEEEE10hipError_tPvRmT3_T4_T5_T6_T7_T9_mT8_P12ihipStream_tbDpT10_ENKUlT_T0_E_clISt17integral_constantIbLb1EES1A_IbLb0EEEEDaS16_S17_EUlS16_E_NS1_11comp_targetILNS1_3genE4ELNS1_11target_archE910ELNS1_3gpuE8ELNS1_3repE0EEENS1_30default_config_static_selectorELNS0_4arch9wavefront6targetE0EEEvT1_
	.globl	_ZN7rocprim17ROCPRIM_400000_NS6detail17trampoline_kernelINS0_14default_configENS1_25partition_config_selectorILNS1_17partition_subalgoE6EsNS0_10empty_typeEbEEZZNS1_14partition_implILS5_6ELb0ES3_mN6thrust23THRUST_200600_302600_NS6detail15normal_iteratorINSA_10device_ptrIsEEEEPS6_SG_NS0_5tupleIJNSA_16discard_iteratorINSA_11use_defaultEEES6_EEENSH_IJSG_SG_EEES6_PlJNSB_9not_fun_tINSB_14equal_to_valueIsEEEEEEE10hipError_tPvRmT3_T4_T5_T6_T7_T9_mT8_P12ihipStream_tbDpT10_ENKUlT_T0_E_clISt17integral_constantIbLb1EES1A_IbLb0EEEEDaS16_S17_EUlS16_E_NS1_11comp_targetILNS1_3genE4ELNS1_11target_archE910ELNS1_3gpuE8ELNS1_3repE0EEENS1_30default_config_static_selectorELNS0_4arch9wavefront6targetE0EEEvT1_
	.p2align	8
	.type	_ZN7rocprim17ROCPRIM_400000_NS6detail17trampoline_kernelINS0_14default_configENS1_25partition_config_selectorILNS1_17partition_subalgoE6EsNS0_10empty_typeEbEEZZNS1_14partition_implILS5_6ELb0ES3_mN6thrust23THRUST_200600_302600_NS6detail15normal_iteratorINSA_10device_ptrIsEEEEPS6_SG_NS0_5tupleIJNSA_16discard_iteratorINSA_11use_defaultEEES6_EEENSH_IJSG_SG_EEES6_PlJNSB_9not_fun_tINSB_14equal_to_valueIsEEEEEEE10hipError_tPvRmT3_T4_T5_T6_T7_T9_mT8_P12ihipStream_tbDpT10_ENKUlT_T0_E_clISt17integral_constantIbLb1EES1A_IbLb0EEEEDaS16_S17_EUlS16_E_NS1_11comp_targetILNS1_3genE4ELNS1_11target_archE910ELNS1_3gpuE8ELNS1_3repE0EEENS1_30default_config_static_selectorELNS0_4arch9wavefront6targetE0EEEvT1_,@function
_ZN7rocprim17ROCPRIM_400000_NS6detail17trampoline_kernelINS0_14default_configENS1_25partition_config_selectorILNS1_17partition_subalgoE6EsNS0_10empty_typeEbEEZZNS1_14partition_implILS5_6ELb0ES3_mN6thrust23THRUST_200600_302600_NS6detail15normal_iteratorINSA_10device_ptrIsEEEEPS6_SG_NS0_5tupleIJNSA_16discard_iteratorINSA_11use_defaultEEES6_EEENSH_IJSG_SG_EEES6_PlJNSB_9not_fun_tINSB_14equal_to_valueIsEEEEEEE10hipError_tPvRmT3_T4_T5_T6_T7_T9_mT8_P12ihipStream_tbDpT10_ENKUlT_T0_E_clISt17integral_constantIbLb1EES1A_IbLb0EEEEDaS16_S17_EUlS16_E_NS1_11comp_targetILNS1_3genE4ELNS1_11target_archE910ELNS1_3gpuE8ELNS1_3repE0EEENS1_30default_config_static_selectorELNS0_4arch9wavefront6targetE0EEEvT1_: ; @_ZN7rocprim17ROCPRIM_400000_NS6detail17trampoline_kernelINS0_14default_configENS1_25partition_config_selectorILNS1_17partition_subalgoE6EsNS0_10empty_typeEbEEZZNS1_14partition_implILS5_6ELb0ES3_mN6thrust23THRUST_200600_302600_NS6detail15normal_iteratorINSA_10device_ptrIsEEEEPS6_SG_NS0_5tupleIJNSA_16discard_iteratorINSA_11use_defaultEEES6_EEENSH_IJSG_SG_EEES6_PlJNSB_9not_fun_tINSB_14equal_to_valueIsEEEEEEE10hipError_tPvRmT3_T4_T5_T6_T7_T9_mT8_P12ihipStream_tbDpT10_ENKUlT_T0_E_clISt17integral_constantIbLb1EES1A_IbLb0EEEEDaS16_S17_EUlS16_E_NS1_11comp_targetILNS1_3genE4ELNS1_11target_archE910ELNS1_3gpuE8ELNS1_3repE0EEENS1_30default_config_static_selectorELNS0_4arch9wavefront6targetE0EEEvT1_
; %bb.0:
	.section	.rodata,"a",@progbits
	.p2align	6, 0x0
	.amdhsa_kernel _ZN7rocprim17ROCPRIM_400000_NS6detail17trampoline_kernelINS0_14default_configENS1_25partition_config_selectorILNS1_17partition_subalgoE6EsNS0_10empty_typeEbEEZZNS1_14partition_implILS5_6ELb0ES3_mN6thrust23THRUST_200600_302600_NS6detail15normal_iteratorINSA_10device_ptrIsEEEEPS6_SG_NS0_5tupleIJNSA_16discard_iteratorINSA_11use_defaultEEES6_EEENSH_IJSG_SG_EEES6_PlJNSB_9not_fun_tINSB_14equal_to_valueIsEEEEEEE10hipError_tPvRmT3_T4_T5_T6_T7_T9_mT8_P12ihipStream_tbDpT10_ENKUlT_T0_E_clISt17integral_constantIbLb1EES1A_IbLb0EEEEDaS16_S17_EUlS16_E_NS1_11comp_targetILNS1_3genE4ELNS1_11target_archE910ELNS1_3gpuE8ELNS1_3repE0EEENS1_30default_config_static_selectorELNS0_4arch9wavefront6targetE0EEEvT1_
		.amdhsa_group_segment_fixed_size 0
		.amdhsa_private_segment_fixed_size 0
		.amdhsa_kernarg_size 120
		.amdhsa_user_sgpr_count 2
		.amdhsa_user_sgpr_dispatch_ptr 0
		.amdhsa_user_sgpr_queue_ptr 0
		.amdhsa_user_sgpr_kernarg_segment_ptr 1
		.amdhsa_user_sgpr_dispatch_id 0
		.amdhsa_user_sgpr_private_segment_size 0
		.amdhsa_wavefront_size32 1
		.amdhsa_uses_dynamic_stack 0
		.amdhsa_enable_private_segment 0
		.amdhsa_system_sgpr_workgroup_id_x 1
		.amdhsa_system_sgpr_workgroup_id_y 0
		.amdhsa_system_sgpr_workgroup_id_z 0
		.amdhsa_system_sgpr_workgroup_info 0
		.amdhsa_system_vgpr_workitem_id 0
		.amdhsa_next_free_vgpr 1
		.amdhsa_next_free_sgpr 1
		.amdhsa_reserve_vcc 0
		.amdhsa_float_round_mode_32 0
		.amdhsa_float_round_mode_16_64 0
		.amdhsa_float_denorm_mode_32 3
		.amdhsa_float_denorm_mode_16_64 3
		.amdhsa_fp16_overflow 0
		.amdhsa_workgroup_processor_mode 1
		.amdhsa_memory_ordered 1
		.amdhsa_forward_progress 1
		.amdhsa_inst_pref_size 0
		.amdhsa_round_robin_scheduling 0
		.amdhsa_exception_fp_ieee_invalid_op 0
		.amdhsa_exception_fp_denorm_src 0
		.amdhsa_exception_fp_ieee_div_zero 0
		.amdhsa_exception_fp_ieee_overflow 0
		.amdhsa_exception_fp_ieee_underflow 0
		.amdhsa_exception_fp_ieee_inexact 0
		.amdhsa_exception_int_div_zero 0
	.end_amdhsa_kernel
	.section	.text._ZN7rocprim17ROCPRIM_400000_NS6detail17trampoline_kernelINS0_14default_configENS1_25partition_config_selectorILNS1_17partition_subalgoE6EsNS0_10empty_typeEbEEZZNS1_14partition_implILS5_6ELb0ES3_mN6thrust23THRUST_200600_302600_NS6detail15normal_iteratorINSA_10device_ptrIsEEEEPS6_SG_NS0_5tupleIJNSA_16discard_iteratorINSA_11use_defaultEEES6_EEENSH_IJSG_SG_EEES6_PlJNSB_9not_fun_tINSB_14equal_to_valueIsEEEEEEE10hipError_tPvRmT3_T4_T5_T6_T7_T9_mT8_P12ihipStream_tbDpT10_ENKUlT_T0_E_clISt17integral_constantIbLb1EES1A_IbLb0EEEEDaS16_S17_EUlS16_E_NS1_11comp_targetILNS1_3genE4ELNS1_11target_archE910ELNS1_3gpuE8ELNS1_3repE0EEENS1_30default_config_static_selectorELNS0_4arch9wavefront6targetE0EEEvT1_,"axG",@progbits,_ZN7rocprim17ROCPRIM_400000_NS6detail17trampoline_kernelINS0_14default_configENS1_25partition_config_selectorILNS1_17partition_subalgoE6EsNS0_10empty_typeEbEEZZNS1_14partition_implILS5_6ELb0ES3_mN6thrust23THRUST_200600_302600_NS6detail15normal_iteratorINSA_10device_ptrIsEEEEPS6_SG_NS0_5tupleIJNSA_16discard_iteratorINSA_11use_defaultEEES6_EEENSH_IJSG_SG_EEES6_PlJNSB_9not_fun_tINSB_14equal_to_valueIsEEEEEEE10hipError_tPvRmT3_T4_T5_T6_T7_T9_mT8_P12ihipStream_tbDpT10_ENKUlT_T0_E_clISt17integral_constantIbLb1EES1A_IbLb0EEEEDaS16_S17_EUlS16_E_NS1_11comp_targetILNS1_3genE4ELNS1_11target_archE910ELNS1_3gpuE8ELNS1_3repE0EEENS1_30default_config_static_selectorELNS0_4arch9wavefront6targetE0EEEvT1_,comdat
.Lfunc_end1807:
	.size	_ZN7rocprim17ROCPRIM_400000_NS6detail17trampoline_kernelINS0_14default_configENS1_25partition_config_selectorILNS1_17partition_subalgoE6EsNS0_10empty_typeEbEEZZNS1_14partition_implILS5_6ELb0ES3_mN6thrust23THRUST_200600_302600_NS6detail15normal_iteratorINSA_10device_ptrIsEEEEPS6_SG_NS0_5tupleIJNSA_16discard_iteratorINSA_11use_defaultEEES6_EEENSH_IJSG_SG_EEES6_PlJNSB_9not_fun_tINSB_14equal_to_valueIsEEEEEEE10hipError_tPvRmT3_T4_T5_T6_T7_T9_mT8_P12ihipStream_tbDpT10_ENKUlT_T0_E_clISt17integral_constantIbLb1EES1A_IbLb0EEEEDaS16_S17_EUlS16_E_NS1_11comp_targetILNS1_3genE4ELNS1_11target_archE910ELNS1_3gpuE8ELNS1_3repE0EEENS1_30default_config_static_selectorELNS0_4arch9wavefront6targetE0EEEvT1_, .Lfunc_end1807-_ZN7rocprim17ROCPRIM_400000_NS6detail17trampoline_kernelINS0_14default_configENS1_25partition_config_selectorILNS1_17partition_subalgoE6EsNS0_10empty_typeEbEEZZNS1_14partition_implILS5_6ELb0ES3_mN6thrust23THRUST_200600_302600_NS6detail15normal_iteratorINSA_10device_ptrIsEEEEPS6_SG_NS0_5tupleIJNSA_16discard_iteratorINSA_11use_defaultEEES6_EEENSH_IJSG_SG_EEES6_PlJNSB_9not_fun_tINSB_14equal_to_valueIsEEEEEEE10hipError_tPvRmT3_T4_T5_T6_T7_T9_mT8_P12ihipStream_tbDpT10_ENKUlT_T0_E_clISt17integral_constantIbLb1EES1A_IbLb0EEEEDaS16_S17_EUlS16_E_NS1_11comp_targetILNS1_3genE4ELNS1_11target_archE910ELNS1_3gpuE8ELNS1_3repE0EEENS1_30default_config_static_selectorELNS0_4arch9wavefront6targetE0EEEvT1_
                                        ; -- End function
	.set _ZN7rocprim17ROCPRIM_400000_NS6detail17trampoline_kernelINS0_14default_configENS1_25partition_config_selectorILNS1_17partition_subalgoE6EsNS0_10empty_typeEbEEZZNS1_14partition_implILS5_6ELb0ES3_mN6thrust23THRUST_200600_302600_NS6detail15normal_iteratorINSA_10device_ptrIsEEEEPS6_SG_NS0_5tupleIJNSA_16discard_iteratorINSA_11use_defaultEEES6_EEENSH_IJSG_SG_EEES6_PlJNSB_9not_fun_tINSB_14equal_to_valueIsEEEEEEE10hipError_tPvRmT3_T4_T5_T6_T7_T9_mT8_P12ihipStream_tbDpT10_ENKUlT_T0_E_clISt17integral_constantIbLb1EES1A_IbLb0EEEEDaS16_S17_EUlS16_E_NS1_11comp_targetILNS1_3genE4ELNS1_11target_archE910ELNS1_3gpuE8ELNS1_3repE0EEENS1_30default_config_static_selectorELNS0_4arch9wavefront6targetE0EEEvT1_.num_vgpr, 0
	.set _ZN7rocprim17ROCPRIM_400000_NS6detail17trampoline_kernelINS0_14default_configENS1_25partition_config_selectorILNS1_17partition_subalgoE6EsNS0_10empty_typeEbEEZZNS1_14partition_implILS5_6ELb0ES3_mN6thrust23THRUST_200600_302600_NS6detail15normal_iteratorINSA_10device_ptrIsEEEEPS6_SG_NS0_5tupleIJNSA_16discard_iteratorINSA_11use_defaultEEES6_EEENSH_IJSG_SG_EEES6_PlJNSB_9not_fun_tINSB_14equal_to_valueIsEEEEEEE10hipError_tPvRmT3_T4_T5_T6_T7_T9_mT8_P12ihipStream_tbDpT10_ENKUlT_T0_E_clISt17integral_constantIbLb1EES1A_IbLb0EEEEDaS16_S17_EUlS16_E_NS1_11comp_targetILNS1_3genE4ELNS1_11target_archE910ELNS1_3gpuE8ELNS1_3repE0EEENS1_30default_config_static_selectorELNS0_4arch9wavefront6targetE0EEEvT1_.num_agpr, 0
	.set _ZN7rocprim17ROCPRIM_400000_NS6detail17trampoline_kernelINS0_14default_configENS1_25partition_config_selectorILNS1_17partition_subalgoE6EsNS0_10empty_typeEbEEZZNS1_14partition_implILS5_6ELb0ES3_mN6thrust23THRUST_200600_302600_NS6detail15normal_iteratorINSA_10device_ptrIsEEEEPS6_SG_NS0_5tupleIJNSA_16discard_iteratorINSA_11use_defaultEEES6_EEENSH_IJSG_SG_EEES6_PlJNSB_9not_fun_tINSB_14equal_to_valueIsEEEEEEE10hipError_tPvRmT3_T4_T5_T6_T7_T9_mT8_P12ihipStream_tbDpT10_ENKUlT_T0_E_clISt17integral_constantIbLb1EES1A_IbLb0EEEEDaS16_S17_EUlS16_E_NS1_11comp_targetILNS1_3genE4ELNS1_11target_archE910ELNS1_3gpuE8ELNS1_3repE0EEENS1_30default_config_static_selectorELNS0_4arch9wavefront6targetE0EEEvT1_.numbered_sgpr, 0
	.set _ZN7rocprim17ROCPRIM_400000_NS6detail17trampoline_kernelINS0_14default_configENS1_25partition_config_selectorILNS1_17partition_subalgoE6EsNS0_10empty_typeEbEEZZNS1_14partition_implILS5_6ELb0ES3_mN6thrust23THRUST_200600_302600_NS6detail15normal_iteratorINSA_10device_ptrIsEEEEPS6_SG_NS0_5tupleIJNSA_16discard_iteratorINSA_11use_defaultEEES6_EEENSH_IJSG_SG_EEES6_PlJNSB_9not_fun_tINSB_14equal_to_valueIsEEEEEEE10hipError_tPvRmT3_T4_T5_T6_T7_T9_mT8_P12ihipStream_tbDpT10_ENKUlT_T0_E_clISt17integral_constantIbLb1EES1A_IbLb0EEEEDaS16_S17_EUlS16_E_NS1_11comp_targetILNS1_3genE4ELNS1_11target_archE910ELNS1_3gpuE8ELNS1_3repE0EEENS1_30default_config_static_selectorELNS0_4arch9wavefront6targetE0EEEvT1_.num_named_barrier, 0
	.set _ZN7rocprim17ROCPRIM_400000_NS6detail17trampoline_kernelINS0_14default_configENS1_25partition_config_selectorILNS1_17partition_subalgoE6EsNS0_10empty_typeEbEEZZNS1_14partition_implILS5_6ELb0ES3_mN6thrust23THRUST_200600_302600_NS6detail15normal_iteratorINSA_10device_ptrIsEEEEPS6_SG_NS0_5tupleIJNSA_16discard_iteratorINSA_11use_defaultEEES6_EEENSH_IJSG_SG_EEES6_PlJNSB_9not_fun_tINSB_14equal_to_valueIsEEEEEEE10hipError_tPvRmT3_T4_T5_T6_T7_T9_mT8_P12ihipStream_tbDpT10_ENKUlT_T0_E_clISt17integral_constantIbLb1EES1A_IbLb0EEEEDaS16_S17_EUlS16_E_NS1_11comp_targetILNS1_3genE4ELNS1_11target_archE910ELNS1_3gpuE8ELNS1_3repE0EEENS1_30default_config_static_selectorELNS0_4arch9wavefront6targetE0EEEvT1_.private_seg_size, 0
	.set _ZN7rocprim17ROCPRIM_400000_NS6detail17trampoline_kernelINS0_14default_configENS1_25partition_config_selectorILNS1_17partition_subalgoE6EsNS0_10empty_typeEbEEZZNS1_14partition_implILS5_6ELb0ES3_mN6thrust23THRUST_200600_302600_NS6detail15normal_iteratorINSA_10device_ptrIsEEEEPS6_SG_NS0_5tupleIJNSA_16discard_iteratorINSA_11use_defaultEEES6_EEENSH_IJSG_SG_EEES6_PlJNSB_9not_fun_tINSB_14equal_to_valueIsEEEEEEE10hipError_tPvRmT3_T4_T5_T6_T7_T9_mT8_P12ihipStream_tbDpT10_ENKUlT_T0_E_clISt17integral_constantIbLb1EES1A_IbLb0EEEEDaS16_S17_EUlS16_E_NS1_11comp_targetILNS1_3genE4ELNS1_11target_archE910ELNS1_3gpuE8ELNS1_3repE0EEENS1_30default_config_static_selectorELNS0_4arch9wavefront6targetE0EEEvT1_.uses_vcc, 0
	.set _ZN7rocprim17ROCPRIM_400000_NS6detail17trampoline_kernelINS0_14default_configENS1_25partition_config_selectorILNS1_17partition_subalgoE6EsNS0_10empty_typeEbEEZZNS1_14partition_implILS5_6ELb0ES3_mN6thrust23THRUST_200600_302600_NS6detail15normal_iteratorINSA_10device_ptrIsEEEEPS6_SG_NS0_5tupleIJNSA_16discard_iteratorINSA_11use_defaultEEES6_EEENSH_IJSG_SG_EEES6_PlJNSB_9not_fun_tINSB_14equal_to_valueIsEEEEEEE10hipError_tPvRmT3_T4_T5_T6_T7_T9_mT8_P12ihipStream_tbDpT10_ENKUlT_T0_E_clISt17integral_constantIbLb1EES1A_IbLb0EEEEDaS16_S17_EUlS16_E_NS1_11comp_targetILNS1_3genE4ELNS1_11target_archE910ELNS1_3gpuE8ELNS1_3repE0EEENS1_30default_config_static_selectorELNS0_4arch9wavefront6targetE0EEEvT1_.uses_flat_scratch, 0
	.set _ZN7rocprim17ROCPRIM_400000_NS6detail17trampoline_kernelINS0_14default_configENS1_25partition_config_selectorILNS1_17partition_subalgoE6EsNS0_10empty_typeEbEEZZNS1_14partition_implILS5_6ELb0ES3_mN6thrust23THRUST_200600_302600_NS6detail15normal_iteratorINSA_10device_ptrIsEEEEPS6_SG_NS0_5tupleIJNSA_16discard_iteratorINSA_11use_defaultEEES6_EEENSH_IJSG_SG_EEES6_PlJNSB_9not_fun_tINSB_14equal_to_valueIsEEEEEEE10hipError_tPvRmT3_T4_T5_T6_T7_T9_mT8_P12ihipStream_tbDpT10_ENKUlT_T0_E_clISt17integral_constantIbLb1EES1A_IbLb0EEEEDaS16_S17_EUlS16_E_NS1_11comp_targetILNS1_3genE4ELNS1_11target_archE910ELNS1_3gpuE8ELNS1_3repE0EEENS1_30default_config_static_selectorELNS0_4arch9wavefront6targetE0EEEvT1_.has_dyn_sized_stack, 0
	.set _ZN7rocprim17ROCPRIM_400000_NS6detail17trampoline_kernelINS0_14default_configENS1_25partition_config_selectorILNS1_17partition_subalgoE6EsNS0_10empty_typeEbEEZZNS1_14partition_implILS5_6ELb0ES3_mN6thrust23THRUST_200600_302600_NS6detail15normal_iteratorINSA_10device_ptrIsEEEEPS6_SG_NS0_5tupleIJNSA_16discard_iteratorINSA_11use_defaultEEES6_EEENSH_IJSG_SG_EEES6_PlJNSB_9not_fun_tINSB_14equal_to_valueIsEEEEEEE10hipError_tPvRmT3_T4_T5_T6_T7_T9_mT8_P12ihipStream_tbDpT10_ENKUlT_T0_E_clISt17integral_constantIbLb1EES1A_IbLb0EEEEDaS16_S17_EUlS16_E_NS1_11comp_targetILNS1_3genE4ELNS1_11target_archE910ELNS1_3gpuE8ELNS1_3repE0EEENS1_30default_config_static_selectorELNS0_4arch9wavefront6targetE0EEEvT1_.has_recursion, 0
	.set _ZN7rocprim17ROCPRIM_400000_NS6detail17trampoline_kernelINS0_14default_configENS1_25partition_config_selectorILNS1_17partition_subalgoE6EsNS0_10empty_typeEbEEZZNS1_14partition_implILS5_6ELb0ES3_mN6thrust23THRUST_200600_302600_NS6detail15normal_iteratorINSA_10device_ptrIsEEEEPS6_SG_NS0_5tupleIJNSA_16discard_iteratorINSA_11use_defaultEEES6_EEENSH_IJSG_SG_EEES6_PlJNSB_9not_fun_tINSB_14equal_to_valueIsEEEEEEE10hipError_tPvRmT3_T4_T5_T6_T7_T9_mT8_P12ihipStream_tbDpT10_ENKUlT_T0_E_clISt17integral_constantIbLb1EES1A_IbLb0EEEEDaS16_S17_EUlS16_E_NS1_11comp_targetILNS1_3genE4ELNS1_11target_archE910ELNS1_3gpuE8ELNS1_3repE0EEENS1_30default_config_static_selectorELNS0_4arch9wavefront6targetE0EEEvT1_.has_indirect_call, 0
	.section	.AMDGPU.csdata,"",@progbits
; Kernel info:
; codeLenInByte = 0
; TotalNumSgprs: 0
; NumVgprs: 0
; ScratchSize: 0
; MemoryBound: 0
; FloatMode: 240
; IeeeMode: 1
; LDSByteSize: 0 bytes/workgroup (compile time only)
; SGPRBlocks: 0
; VGPRBlocks: 0
; NumSGPRsForWavesPerEU: 1
; NumVGPRsForWavesPerEU: 1
; Occupancy: 16
; WaveLimiterHint : 0
; COMPUTE_PGM_RSRC2:SCRATCH_EN: 0
; COMPUTE_PGM_RSRC2:USER_SGPR: 2
; COMPUTE_PGM_RSRC2:TRAP_HANDLER: 0
; COMPUTE_PGM_RSRC2:TGID_X_EN: 1
; COMPUTE_PGM_RSRC2:TGID_Y_EN: 0
; COMPUTE_PGM_RSRC2:TGID_Z_EN: 0
; COMPUTE_PGM_RSRC2:TIDIG_COMP_CNT: 0
	.section	.text._ZN7rocprim17ROCPRIM_400000_NS6detail17trampoline_kernelINS0_14default_configENS1_25partition_config_selectorILNS1_17partition_subalgoE6EsNS0_10empty_typeEbEEZZNS1_14partition_implILS5_6ELb0ES3_mN6thrust23THRUST_200600_302600_NS6detail15normal_iteratorINSA_10device_ptrIsEEEEPS6_SG_NS0_5tupleIJNSA_16discard_iteratorINSA_11use_defaultEEES6_EEENSH_IJSG_SG_EEES6_PlJNSB_9not_fun_tINSB_14equal_to_valueIsEEEEEEE10hipError_tPvRmT3_T4_T5_T6_T7_T9_mT8_P12ihipStream_tbDpT10_ENKUlT_T0_E_clISt17integral_constantIbLb1EES1A_IbLb0EEEEDaS16_S17_EUlS16_E_NS1_11comp_targetILNS1_3genE3ELNS1_11target_archE908ELNS1_3gpuE7ELNS1_3repE0EEENS1_30default_config_static_selectorELNS0_4arch9wavefront6targetE0EEEvT1_,"axG",@progbits,_ZN7rocprim17ROCPRIM_400000_NS6detail17trampoline_kernelINS0_14default_configENS1_25partition_config_selectorILNS1_17partition_subalgoE6EsNS0_10empty_typeEbEEZZNS1_14partition_implILS5_6ELb0ES3_mN6thrust23THRUST_200600_302600_NS6detail15normal_iteratorINSA_10device_ptrIsEEEEPS6_SG_NS0_5tupleIJNSA_16discard_iteratorINSA_11use_defaultEEES6_EEENSH_IJSG_SG_EEES6_PlJNSB_9not_fun_tINSB_14equal_to_valueIsEEEEEEE10hipError_tPvRmT3_T4_T5_T6_T7_T9_mT8_P12ihipStream_tbDpT10_ENKUlT_T0_E_clISt17integral_constantIbLb1EES1A_IbLb0EEEEDaS16_S17_EUlS16_E_NS1_11comp_targetILNS1_3genE3ELNS1_11target_archE908ELNS1_3gpuE7ELNS1_3repE0EEENS1_30default_config_static_selectorELNS0_4arch9wavefront6targetE0EEEvT1_,comdat
	.protected	_ZN7rocprim17ROCPRIM_400000_NS6detail17trampoline_kernelINS0_14default_configENS1_25partition_config_selectorILNS1_17partition_subalgoE6EsNS0_10empty_typeEbEEZZNS1_14partition_implILS5_6ELb0ES3_mN6thrust23THRUST_200600_302600_NS6detail15normal_iteratorINSA_10device_ptrIsEEEEPS6_SG_NS0_5tupleIJNSA_16discard_iteratorINSA_11use_defaultEEES6_EEENSH_IJSG_SG_EEES6_PlJNSB_9not_fun_tINSB_14equal_to_valueIsEEEEEEE10hipError_tPvRmT3_T4_T5_T6_T7_T9_mT8_P12ihipStream_tbDpT10_ENKUlT_T0_E_clISt17integral_constantIbLb1EES1A_IbLb0EEEEDaS16_S17_EUlS16_E_NS1_11comp_targetILNS1_3genE3ELNS1_11target_archE908ELNS1_3gpuE7ELNS1_3repE0EEENS1_30default_config_static_selectorELNS0_4arch9wavefront6targetE0EEEvT1_ ; -- Begin function _ZN7rocprim17ROCPRIM_400000_NS6detail17trampoline_kernelINS0_14default_configENS1_25partition_config_selectorILNS1_17partition_subalgoE6EsNS0_10empty_typeEbEEZZNS1_14partition_implILS5_6ELb0ES3_mN6thrust23THRUST_200600_302600_NS6detail15normal_iteratorINSA_10device_ptrIsEEEEPS6_SG_NS0_5tupleIJNSA_16discard_iteratorINSA_11use_defaultEEES6_EEENSH_IJSG_SG_EEES6_PlJNSB_9not_fun_tINSB_14equal_to_valueIsEEEEEEE10hipError_tPvRmT3_T4_T5_T6_T7_T9_mT8_P12ihipStream_tbDpT10_ENKUlT_T0_E_clISt17integral_constantIbLb1EES1A_IbLb0EEEEDaS16_S17_EUlS16_E_NS1_11comp_targetILNS1_3genE3ELNS1_11target_archE908ELNS1_3gpuE7ELNS1_3repE0EEENS1_30default_config_static_selectorELNS0_4arch9wavefront6targetE0EEEvT1_
	.globl	_ZN7rocprim17ROCPRIM_400000_NS6detail17trampoline_kernelINS0_14default_configENS1_25partition_config_selectorILNS1_17partition_subalgoE6EsNS0_10empty_typeEbEEZZNS1_14partition_implILS5_6ELb0ES3_mN6thrust23THRUST_200600_302600_NS6detail15normal_iteratorINSA_10device_ptrIsEEEEPS6_SG_NS0_5tupleIJNSA_16discard_iteratorINSA_11use_defaultEEES6_EEENSH_IJSG_SG_EEES6_PlJNSB_9not_fun_tINSB_14equal_to_valueIsEEEEEEE10hipError_tPvRmT3_T4_T5_T6_T7_T9_mT8_P12ihipStream_tbDpT10_ENKUlT_T0_E_clISt17integral_constantIbLb1EES1A_IbLb0EEEEDaS16_S17_EUlS16_E_NS1_11comp_targetILNS1_3genE3ELNS1_11target_archE908ELNS1_3gpuE7ELNS1_3repE0EEENS1_30default_config_static_selectorELNS0_4arch9wavefront6targetE0EEEvT1_
	.p2align	8
	.type	_ZN7rocprim17ROCPRIM_400000_NS6detail17trampoline_kernelINS0_14default_configENS1_25partition_config_selectorILNS1_17partition_subalgoE6EsNS0_10empty_typeEbEEZZNS1_14partition_implILS5_6ELb0ES3_mN6thrust23THRUST_200600_302600_NS6detail15normal_iteratorINSA_10device_ptrIsEEEEPS6_SG_NS0_5tupleIJNSA_16discard_iteratorINSA_11use_defaultEEES6_EEENSH_IJSG_SG_EEES6_PlJNSB_9not_fun_tINSB_14equal_to_valueIsEEEEEEE10hipError_tPvRmT3_T4_T5_T6_T7_T9_mT8_P12ihipStream_tbDpT10_ENKUlT_T0_E_clISt17integral_constantIbLb1EES1A_IbLb0EEEEDaS16_S17_EUlS16_E_NS1_11comp_targetILNS1_3genE3ELNS1_11target_archE908ELNS1_3gpuE7ELNS1_3repE0EEENS1_30default_config_static_selectorELNS0_4arch9wavefront6targetE0EEEvT1_,@function
_ZN7rocprim17ROCPRIM_400000_NS6detail17trampoline_kernelINS0_14default_configENS1_25partition_config_selectorILNS1_17partition_subalgoE6EsNS0_10empty_typeEbEEZZNS1_14partition_implILS5_6ELb0ES3_mN6thrust23THRUST_200600_302600_NS6detail15normal_iteratorINSA_10device_ptrIsEEEEPS6_SG_NS0_5tupleIJNSA_16discard_iteratorINSA_11use_defaultEEES6_EEENSH_IJSG_SG_EEES6_PlJNSB_9not_fun_tINSB_14equal_to_valueIsEEEEEEE10hipError_tPvRmT3_T4_T5_T6_T7_T9_mT8_P12ihipStream_tbDpT10_ENKUlT_T0_E_clISt17integral_constantIbLb1EES1A_IbLb0EEEEDaS16_S17_EUlS16_E_NS1_11comp_targetILNS1_3genE3ELNS1_11target_archE908ELNS1_3gpuE7ELNS1_3repE0EEENS1_30default_config_static_selectorELNS0_4arch9wavefront6targetE0EEEvT1_: ; @_ZN7rocprim17ROCPRIM_400000_NS6detail17trampoline_kernelINS0_14default_configENS1_25partition_config_selectorILNS1_17partition_subalgoE6EsNS0_10empty_typeEbEEZZNS1_14partition_implILS5_6ELb0ES3_mN6thrust23THRUST_200600_302600_NS6detail15normal_iteratorINSA_10device_ptrIsEEEEPS6_SG_NS0_5tupleIJNSA_16discard_iteratorINSA_11use_defaultEEES6_EEENSH_IJSG_SG_EEES6_PlJNSB_9not_fun_tINSB_14equal_to_valueIsEEEEEEE10hipError_tPvRmT3_T4_T5_T6_T7_T9_mT8_P12ihipStream_tbDpT10_ENKUlT_T0_E_clISt17integral_constantIbLb1EES1A_IbLb0EEEEDaS16_S17_EUlS16_E_NS1_11comp_targetILNS1_3genE3ELNS1_11target_archE908ELNS1_3gpuE7ELNS1_3repE0EEENS1_30default_config_static_selectorELNS0_4arch9wavefront6targetE0EEEvT1_
; %bb.0:
	.section	.rodata,"a",@progbits
	.p2align	6, 0x0
	.amdhsa_kernel _ZN7rocprim17ROCPRIM_400000_NS6detail17trampoline_kernelINS0_14default_configENS1_25partition_config_selectorILNS1_17partition_subalgoE6EsNS0_10empty_typeEbEEZZNS1_14partition_implILS5_6ELb0ES3_mN6thrust23THRUST_200600_302600_NS6detail15normal_iteratorINSA_10device_ptrIsEEEEPS6_SG_NS0_5tupleIJNSA_16discard_iteratorINSA_11use_defaultEEES6_EEENSH_IJSG_SG_EEES6_PlJNSB_9not_fun_tINSB_14equal_to_valueIsEEEEEEE10hipError_tPvRmT3_T4_T5_T6_T7_T9_mT8_P12ihipStream_tbDpT10_ENKUlT_T0_E_clISt17integral_constantIbLb1EES1A_IbLb0EEEEDaS16_S17_EUlS16_E_NS1_11comp_targetILNS1_3genE3ELNS1_11target_archE908ELNS1_3gpuE7ELNS1_3repE0EEENS1_30default_config_static_selectorELNS0_4arch9wavefront6targetE0EEEvT1_
		.amdhsa_group_segment_fixed_size 0
		.amdhsa_private_segment_fixed_size 0
		.amdhsa_kernarg_size 120
		.amdhsa_user_sgpr_count 2
		.amdhsa_user_sgpr_dispatch_ptr 0
		.amdhsa_user_sgpr_queue_ptr 0
		.amdhsa_user_sgpr_kernarg_segment_ptr 1
		.amdhsa_user_sgpr_dispatch_id 0
		.amdhsa_user_sgpr_private_segment_size 0
		.amdhsa_wavefront_size32 1
		.amdhsa_uses_dynamic_stack 0
		.amdhsa_enable_private_segment 0
		.amdhsa_system_sgpr_workgroup_id_x 1
		.amdhsa_system_sgpr_workgroup_id_y 0
		.amdhsa_system_sgpr_workgroup_id_z 0
		.amdhsa_system_sgpr_workgroup_info 0
		.amdhsa_system_vgpr_workitem_id 0
		.amdhsa_next_free_vgpr 1
		.amdhsa_next_free_sgpr 1
		.amdhsa_reserve_vcc 0
		.amdhsa_float_round_mode_32 0
		.amdhsa_float_round_mode_16_64 0
		.amdhsa_float_denorm_mode_32 3
		.amdhsa_float_denorm_mode_16_64 3
		.amdhsa_fp16_overflow 0
		.amdhsa_workgroup_processor_mode 1
		.amdhsa_memory_ordered 1
		.amdhsa_forward_progress 1
		.amdhsa_inst_pref_size 0
		.amdhsa_round_robin_scheduling 0
		.amdhsa_exception_fp_ieee_invalid_op 0
		.amdhsa_exception_fp_denorm_src 0
		.amdhsa_exception_fp_ieee_div_zero 0
		.amdhsa_exception_fp_ieee_overflow 0
		.amdhsa_exception_fp_ieee_underflow 0
		.amdhsa_exception_fp_ieee_inexact 0
		.amdhsa_exception_int_div_zero 0
	.end_amdhsa_kernel
	.section	.text._ZN7rocprim17ROCPRIM_400000_NS6detail17trampoline_kernelINS0_14default_configENS1_25partition_config_selectorILNS1_17partition_subalgoE6EsNS0_10empty_typeEbEEZZNS1_14partition_implILS5_6ELb0ES3_mN6thrust23THRUST_200600_302600_NS6detail15normal_iteratorINSA_10device_ptrIsEEEEPS6_SG_NS0_5tupleIJNSA_16discard_iteratorINSA_11use_defaultEEES6_EEENSH_IJSG_SG_EEES6_PlJNSB_9not_fun_tINSB_14equal_to_valueIsEEEEEEE10hipError_tPvRmT3_T4_T5_T6_T7_T9_mT8_P12ihipStream_tbDpT10_ENKUlT_T0_E_clISt17integral_constantIbLb1EES1A_IbLb0EEEEDaS16_S17_EUlS16_E_NS1_11comp_targetILNS1_3genE3ELNS1_11target_archE908ELNS1_3gpuE7ELNS1_3repE0EEENS1_30default_config_static_selectorELNS0_4arch9wavefront6targetE0EEEvT1_,"axG",@progbits,_ZN7rocprim17ROCPRIM_400000_NS6detail17trampoline_kernelINS0_14default_configENS1_25partition_config_selectorILNS1_17partition_subalgoE6EsNS0_10empty_typeEbEEZZNS1_14partition_implILS5_6ELb0ES3_mN6thrust23THRUST_200600_302600_NS6detail15normal_iteratorINSA_10device_ptrIsEEEEPS6_SG_NS0_5tupleIJNSA_16discard_iteratorINSA_11use_defaultEEES6_EEENSH_IJSG_SG_EEES6_PlJNSB_9not_fun_tINSB_14equal_to_valueIsEEEEEEE10hipError_tPvRmT3_T4_T5_T6_T7_T9_mT8_P12ihipStream_tbDpT10_ENKUlT_T0_E_clISt17integral_constantIbLb1EES1A_IbLb0EEEEDaS16_S17_EUlS16_E_NS1_11comp_targetILNS1_3genE3ELNS1_11target_archE908ELNS1_3gpuE7ELNS1_3repE0EEENS1_30default_config_static_selectorELNS0_4arch9wavefront6targetE0EEEvT1_,comdat
.Lfunc_end1808:
	.size	_ZN7rocprim17ROCPRIM_400000_NS6detail17trampoline_kernelINS0_14default_configENS1_25partition_config_selectorILNS1_17partition_subalgoE6EsNS0_10empty_typeEbEEZZNS1_14partition_implILS5_6ELb0ES3_mN6thrust23THRUST_200600_302600_NS6detail15normal_iteratorINSA_10device_ptrIsEEEEPS6_SG_NS0_5tupleIJNSA_16discard_iteratorINSA_11use_defaultEEES6_EEENSH_IJSG_SG_EEES6_PlJNSB_9not_fun_tINSB_14equal_to_valueIsEEEEEEE10hipError_tPvRmT3_T4_T5_T6_T7_T9_mT8_P12ihipStream_tbDpT10_ENKUlT_T0_E_clISt17integral_constantIbLb1EES1A_IbLb0EEEEDaS16_S17_EUlS16_E_NS1_11comp_targetILNS1_3genE3ELNS1_11target_archE908ELNS1_3gpuE7ELNS1_3repE0EEENS1_30default_config_static_selectorELNS0_4arch9wavefront6targetE0EEEvT1_, .Lfunc_end1808-_ZN7rocprim17ROCPRIM_400000_NS6detail17trampoline_kernelINS0_14default_configENS1_25partition_config_selectorILNS1_17partition_subalgoE6EsNS0_10empty_typeEbEEZZNS1_14partition_implILS5_6ELb0ES3_mN6thrust23THRUST_200600_302600_NS6detail15normal_iteratorINSA_10device_ptrIsEEEEPS6_SG_NS0_5tupleIJNSA_16discard_iteratorINSA_11use_defaultEEES6_EEENSH_IJSG_SG_EEES6_PlJNSB_9not_fun_tINSB_14equal_to_valueIsEEEEEEE10hipError_tPvRmT3_T4_T5_T6_T7_T9_mT8_P12ihipStream_tbDpT10_ENKUlT_T0_E_clISt17integral_constantIbLb1EES1A_IbLb0EEEEDaS16_S17_EUlS16_E_NS1_11comp_targetILNS1_3genE3ELNS1_11target_archE908ELNS1_3gpuE7ELNS1_3repE0EEENS1_30default_config_static_selectorELNS0_4arch9wavefront6targetE0EEEvT1_
                                        ; -- End function
	.set _ZN7rocprim17ROCPRIM_400000_NS6detail17trampoline_kernelINS0_14default_configENS1_25partition_config_selectorILNS1_17partition_subalgoE6EsNS0_10empty_typeEbEEZZNS1_14partition_implILS5_6ELb0ES3_mN6thrust23THRUST_200600_302600_NS6detail15normal_iteratorINSA_10device_ptrIsEEEEPS6_SG_NS0_5tupleIJNSA_16discard_iteratorINSA_11use_defaultEEES6_EEENSH_IJSG_SG_EEES6_PlJNSB_9not_fun_tINSB_14equal_to_valueIsEEEEEEE10hipError_tPvRmT3_T4_T5_T6_T7_T9_mT8_P12ihipStream_tbDpT10_ENKUlT_T0_E_clISt17integral_constantIbLb1EES1A_IbLb0EEEEDaS16_S17_EUlS16_E_NS1_11comp_targetILNS1_3genE3ELNS1_11target_archE908ELNS1_3gpuE7ELNS1_3repE0EEENS1_30default_config_static_selectorELNS0_4arch9wavefront6targetE0EEEvT1_.num_vgpr, 0
	.set _ZN7rocprim17ROCPRIM_400000_NS6detail17trampoline_kernelINS0_14default_configENS1_25partition_config_selectorILNS1_17partition_subalgoE6EsNS0_10empty_typeEbEEZZNS1_14partition_implILS5_6ELb0ES3_mN6thrust23THRUST_200600_302600_NS6detail15normal_iteratorINSA_10device_ptrIsEEEEPS6_SG_NS0_5tupleIJNSA_16discard_iteratorINSA_11use_defaultEEES6_EEENSH_IJSG_SG_EEES6_PlJNSB_9not_fun_tINSB_14equal_to_valueIsEEEEEEE10hipError_tPvRmT3_T4_T5_T6_T7_T9_mT8_P12ihipStream_tbDpT10_ENKUlT_T0_E_clISt17integral_constantIbLb1EES1A_IbLb0EEEEDaS16_S17_EUlS16_E_NS1_11comp_targetILNS1_3genE3ELNS1_11target_archE908ELNS1_3gpuE7ELNS1_3repE0EEENS1_30default_config_static_selectorELNS0_4arch9wavefront6targetE0EEEvT1_.num_agpr, 0
	.set _ZN7rocprim17ROCPRIM_400000_NS6detail17trampoline_kernelINS0_14default_configENS1_25partition_config_selectorILNS1_17partition_subalgoE6EsNS0_10empty_typeEbEEZZNS1_14partition_implILS5_6ELb0ES3_mN6thrust23THRUST_200600_302600_NS6detail15normal_iteratorINSA_10device_ptrIsEEEEPS6_SG_NS0_5tupleIJNSA_16discard_iteratorINSA_11use_defaultEEES6_EEENSH_IJSG_SG_EEES6_PlJNSB_9not_fun_tINSB_14equal_to_valueIsEEEEEEE10hipError_tPvRmT3_T4_T5_T6_T7_T9_mT8_P12ihipStream_tbDpT10_ENKUlT_T0_E_clISt17integral_constantIbLb1EES1A_IbLb0EEEEDaS16_S17_EUlS16_E_NS1_11comp_targetILNS1_3genE3ELNS1_11target_archE908ELNS1_3gpuE7ELNS1_3repE0EEENS1_30default_config_static_selectorELNS0_4arch9wavefront6targetE0EEEvT1_.numbered_sgpr, 0
	.set _ZN7rocprim17ROCPRIM_400000_NS6detail17trampoline_kernelINS0_14default_configENS1_25partition_config_selectorILNS1_17partition_subalgoE6EsNS0_10empty_typeEbEEZZNS1_14partition_implILS5_6ELb0ES3_mN6thrust23THRUST_200600_302600_NS6detail15normal_iteratorINSA_10device_ptrIsEEEEPS6_SG_NS0_5tupleIJNSA_16discard_iteratorINSA_11use_defaultEEES6_EEENSH_IJSG_SG_EEES6_PlJNSB_9not_fun_tINSB_14equal_to_valueIsEEEEEEE10hipError_tPvRmT3_T4_T5_T6_T7_T9_mT8_P12ihipStream_tbDpT10_ENKUlT_T0_E_clISt17integral_constantIbLb1EES1A_IbLb0EEEEDaS16_S17_EUlS16_E_NS1_11comp_targetILNS1_3genE3ELNS1_11target_archE908ELNS1_3gpuE7ELNS1_3repE0EEENS1_30default_config_static_selectorELNS0_4arch9wavefront6targetE0EEEvT1_.num_named_barrier, 0
	.set _ZN7rocprim17ROCPRIM_400000_NS6detail17trampoline_kernelINS0_14default_configENS1_25partition_config_selectorILNS1_17partition_subalgoE6EsNS0_10empty_typeEbEEZZNS1_14partition_implILS5_6ELb0ES3_mN6thrust23THRUST_200600_302600_NS6detail15normal_iteratorINSA_10device_ptrIsEEEEPS6_SG_NS0_5tupleIJNSA_16discard_iteratorINSA_11use_defaultEEES6_EEENSH_IJSG_SG_EEES6_PlJNSB_9not_fun_tINSB_14equal_to_valueIsEEEEEEE10hipError_tPvRmT3_T4_T5_T6_T7_T9_mT8_P12ihipStream_tbDpT10_ENKUlT_T0_E_clISt17integral_constantIbLb1EES1A_IbLb0EEEEDaS16_S17_EUlS16_E_NS1_11comp_targetILNS1_3genE3ELNS1_11target_archE908ELNS1_3gpuE7ELNS1_3repE0EEENS1_30default_config_static_selectorELNS0_4arch9wavefront6targetE0EEEvT1_.private_seg_size, 0
	.set _ZN7rocprim17ROCPRIM_400000_NS6detail17trampoline_kernelINS0_14default_configENS1_25partition_config_selectorILNS1_17partition_subalgoE6EsNS0_10empty_typeEbEEZZNS1_14partition_implILS5_6ELb0ES3_mN6thrust23THRUST_200600_302600_NS6detail15normal_iteratorINSA_10device_ptrIsEEEEPS6_SG_NS0_5tupleIJNSA_16discard_iteratorINSA_11use_defaultEEES6_EEENSH_IJSG_SG_EEES6_PlJNSB_9not_fun_tINSB_14equal_to_valueIsEEEEEEE10hipError_tPvRmT3_T4_T5_T6_T7_T9_mT8_P12ihipStream_tbDpT10_ENKUlT_T0_E_clISt17integral_constantIbLb1EES1A_IbLb0EEEEDaS16_S17_EUlS16_E_NS1_11comp_targetILNS1_3genE3ELNS1_11target_archE908ELNS1_3gpuE7ELNS1_3repE0EEENS1_30default_config_static_selectorELNS0_4arch9wavefront6targetE0EEEvT1_.uses_vcc, 0
	.set _ZN7rocprim17ROCPRIM_400000_NS6detail17trampoline_kernelINS0_14default_configENS1_25partition_config_selectorILNS1_17partition_subalgoE6EsNS0_10empty_typeEbEEZZNS1_14partition_implILS5_6ELb0ES3_mN6thrust23THRUST_200600_302600_NS6detail15normal_iteratorINSA_10device_ptrIsEEEEPS6_SG_NS0_5tupleIJNSA_16discard_iteratorINSA_11use_defaultEEES6_EEENSH_IJSG_SG_EEES6_PlJNSB_9not_fun_tINSB_14equal_to_valueIsEEEEEEE10hipError_tPvRmT3_T4_T5_T6_T7_T9_mT8_P12ihipStream_tbDpT10_ENKUlT_T0_E_clISt17integral_constantIbLb1EES1A_IbLb0EEEEDaS16_S17_EUlS16_E_NS1_11comp_targetILNS1_3genE3ELNS1_11target_archE908ELNS1_3gpuE7ELNS1_3repE0EEENS1_30default_config_static_selectorELNS0_4arch9wavefront6targetE0EEEvT1_.uses_flat_scratch, 0
	.set _ZN7rocprim17ROCPRIM_400000_NS6detail17trampoline_kernelINS0_14default_configENS1_25partition_config_selectorILNS1_17partition_subalgoE6EsNS0_10empty_typeEbEEZZNS1_14partition_implILS5_6ELb0ES3_mN6thrust23THRUST_200600_302600_NS6detail15normal_iteratorINSA_10device_ptrIsEEEEPS6_SG_NS0_5tupleIJNSA_16discard_iteratorINSA_11use_defaultEEES6_EEENSH_IJSG_SG_EEES6_PlJNSB_9not_fun_tINSB_14equal_to_valueIsEEEEEEE10hipError_tPvRmT3_T4_T5_T6_T7_T9_mT8_P12ihipStream_tbDpT10_ENKUlT_T0_E_clISt17integral_constantIbLb1EES1A_IbLb0EEEEDaS16_S17_EUlS16_E_NS1_11comp_targetILNS1_3genE3ELNS1_11target_archE908ELNS1_3gpuE7ELNS1_3repE0EEENS1_30default_config_static_selectorELNS0_4arch9wavefront6targetE0EEEvT1_.has_dyn_sized_stack, 0
	.set _ZN7rocprim17ROCPRIM_400000_NS6detail17trampoline_kernelINS0_14default_configENS1_25partition_config_selectorILNS1_17partition_subalgoE6EsNS0_10empty_typeEbEEZZNS1_14partition_implILS5_6ELb0ES3_mN6thrust23THRUST_200600_302600_NS6detail15normal_iteratorINSA_10device_ptrIsEEEEPS6_SG_NS0_5tupleIJNSA_16discard_iteratorINSA_11use_defaultEEES6_EEENSH_IJSG_SG_EEES6_PlJNSB_9not_fun_tINSB_14equal_to_valueIsEEEEEEE10hipError_tPvRmT3_T4_T5_T6_T7_T9_mT8_P12ihipStream_tbDpT10_ENKUlT_T0_E_clISt17integral_constantIbLb1EES1A_IbLb0EEEEDaS16_S17_EUlS16_E_NS1_11comp_targetILNS1_3genE3ELNS1_11target_archE908ELNS1_3gpuE7ELNS1_3repE0EEENS1_30default_config_static_selectorELNS0_4arch9wavefront6targetE0EEEvT1_.has_recursion, 0
	.set _ZN7rocprim17ROCPRIM_400000_NS6detail17trampoline_kernelINS0_14default_configENS1_25partition_config_selectorILNS1_17partition_subalgoE6EsNS0_10empty_typeEbEEZZNS1_14partition_implILS5_6ELb0ES3_mN6thrust23THRUST_200600_302600_NS6detail15normal_iteratorINSA_10device_ptrIsEEEEPS6_SG_NS0_5tupleIJNSA_16discard_iteratorINSA_11use_defaultEEES6_EEENSH_IJSG_SG_EEES6_PlJNSB_9not_fun_tINSB_14equal_to_valueIsEEEEEEE10hipError_tPvRmT3_T4_T5_T6_T7_T9_mT8_P12ihipStream_tbDpT10_ENKUlT_T0_E_clISt17integral_constantIbLb1EES1A_IbLb0EEEEDaS16_S17_EUlS16_E_NS1_11comp_targetILNS1_3genE3ELNS1_11target_archE908ELNS1_3gpuE7ELNS1_3repE0EEENS1_30default_config_static_selectorELNS0_4arch9wavefront6targetE0EEEvT1_.has_indirect_call, 0
	.section	.AMDGPU.csdata,"",@progbits
; Kernel info:
; codeLenInByte = 0
; TotalNumSgprs: 0
; NumVgprs: 0
; ScratchSize: 0
; MemoryBound: 0
; FloatMode: 240
; IeeeMode: 1
; LDSByteSize: 0 bytes/workgroup (compile time only)
; SGPRBlocks: 0
; VGPRBlocks: 0
; NumSGPRsForWavesPerEU: 1
; NumVGPRsForWavesPerEU: 1
; Occupancy: 16
; WaveLimiterHint : 0
; COMPUTE_PGM_RSRC2:SCRATCH_EN: 0
; COMPUTE_PGM_RSRC2:USER_SGPR: 2
; COMPUTE_PGM_RSRC2:TRAP_HANDLER: 0
; COMPUTE_PGM_RSRC2:TGID_X_EN: 1
; COMPUTE_PGM_RSRC2:TGID_Y_EN: 0
; COMPUTE_PGM_RSRC2:TGID_Z_EN: 0
; COMPUTE_PGM_RSRC2:TIDIG_COMP_CNT: 0
	.section	.text._ZN7rocprim17ROCPRIM_400000_NS6detail17trampoline_kernelINS0_14default_configENS1_25partition_config_selectorILNS1_17partition_subalgoE6EsNS0_10empty_typeEbEEZZNS1_14partition_implILS5_6ELb0ES3_mN6thrust23THRUST_200600_302600_NS6detail15normal_iteratorINSA_10device_ptrIsEEEEPS6_SG_NS0_5tupleIJNSA_16discard_iteratorINSA_11use_defaultEEES6_EEENSH_IJSG_SG_EEES6_PlJNSB_9not_fun_tINSB_14equal_to_valueIsEEEEEEE10hipError_tPvRmT3_T4_T5_T6_T7_T9_mT8_P12ihipStream_tbDpT10_ENKUlT_T0_E_clISt17integral_constantIbLb1EES1A_IbLb0EEEEDaS16_S17_EUlS16_E_NS1_11comp_targetILNS1_3genE2ELNS1_11target_archE906ELNS1_3gpuE6ELNS1_3repE0EEENS1_30default_config_static_selectorELNS0_4arch9wavefront6targetE0EEEvT1_,"axG",@progbits,_ZN7rocprim17ROCPRIM_400000_NS6detail17trampoline_kernelINS0_14default_configENS1_25partition_config_selectorILNS1_17partition_subalgoE6EsNS0_10empty_typeEbEEZZNS1_14partition_implILS5_6ELb0ES3_mN6thrust23THRUST_200600_302600_NS6detail15normal_iteratorINSA_10device_ptrIsEEEEPS6_SG_NS0_5tupleIJNSA_16discard_iteratorINSA_11use_defaultEEES6_EEENSH_IJSG_SG_EEES6_PlJNSB_9not_fun_tINSB_14equal_to_valueIsEEEEEEE10hipError_tPvRmT3_T4_T5_T6_T7_T9_mT8_P12ihipStream_tbDpT10_ENKUlT_T0_E_clISt17integral_constantIbLb1EES1A_IbLb0EEEEDaS16_S17_EUlS16_E_NS1_11comp_targetILNS1_3genE2ELNS1_11target_archE906ELNS1_3gpuE6ELNS1_3repE0EEENS1_30default_config_static_selectorELNS0_4arch9wavefront6targetE0EEEvT1_,comdat
	.protected	_ZN7rocprim17ROCPRIM_400000_NS6detail17trampoline_kernelINS0_14default_configENS1_25partition_config_selectorILNS1_17partition_subalgoE6EsNS0_10empty_typeEbEEZZNS1_14partition_implILS5_6ELb0ES3_mN6thrust23THRUST_200600_302600_NS6detail15normal_iteratorINSA_10device_ptrIsEEEEPS6_SG_NS0_5tupleIJNSA_16discard_iteratorINSA_11use_defaultEEES6_EEENSH_IJSG_SG_EEES6_PlJNSB_9not_fun_tINSB_14equal_to_valueIsEEEEEEE10hipError_tPvRmT3_T4_T5_T6_T7_T9_mT8_P12ihipStream_tbDpT10_ENKUlT_T0_E_clISt17integral_constantIbLb1EES1A_IbLb0EEEEDaS16_S17_EUlS16_E_NS1_11comp_targetILNS1_3genE2ELNS1_11target_archE906ELNS1_3gpuE6ELNS1_3repE0EEENS1_30default_config_static_selectorELNS0_4arch9wavefront6targetE0EEEvT1_ ; -- Begin function _ZN7rocprim17ROCPRIM_400000_NS6detail17trampoline_kernelINS0_14default_configENS1_25partition_config_selectorILNS1_17partition_subalgoE6EsNS0_10empty_typeEbEEZZNS1_14partition_implILS5_6ELb0ES3_mN6thrust23THRUST_200600_302600_NS6detail15normal_iteratorINSA_10device_ptrIsEEEEPS6_SG_NS0_5tupleIJNSA_16discard_iteratorINSA_11use_defaultEEES6_EEENSH_IJSG_SG_EEES6_PlJNSB_9not_fun_tINSB_14equal_to_valueIsEEEEEEE10hipError_tPvRmT3_T4_T5_T6_T7_T9_mT8_P12ihipStream_tbDpT10_ENKUlT_T0_E_clISt17integral_constantIbLb1EES1A_IbLb0EEEEDaS16_S17_EUlS16_E_NS1_11comp_targetILNS1_3genE2ELNS1_11target_archE906ELNS1_3gpuE6ELNS1_3repE0EEENS1_30default_config_static_selectorELNS0_4arch9wavefront6targetE0EEEvT1_
	.globl	_ZN7rocprim17ROCPRIM_400000_NS6detail17trampoline_kernelINS0_14default_configENS1_25partition_config_selectorILNS1_17partition_subalgoE6EsNS0_10empty_typeEbEEZZNS1_14partition_implILS5_6ELb0ES3_mN6thrust23THRUST_200600_302600_NS6detail15normal_iteratorINSA_10device_ptrIsEEEEPS6_SG_NS0_5tupleIJNSA_16discard_iteratorINSA_11use_defaultEEES6_EEENSH_IJSG_SG_EEES6_PlJNSB_9not_fun_tINSB_14equal_to_valueIsEEEEEEE10hipError_tPvRmT3_T4_T5_T6_T7_T9_mT8_P12ihipStream_tbDpT10_ENKUlT_T0_E_clISt17integral_constantIbLb1EES1A_IbLb0EEEEDaS16_S17_EUlS16_E_NS1_11comp_targetILNS1_3genE2ELNS1_11target_archE906ELNS1_3gpuE6ELNS1_3repE0EEENS1_30default_config_static_selectorELNS0_4arch9wavefront6targetE0EEEvT1_
	.p2align	8
	.type	_ZN7rocprim17ROCPRIM_400000_NS6detail17trampoline_kernelINS0_14default_configENS1_25partition_config_selectorILNS1_17partition_subalgoE6EsNS0_10empty_typeEbEEZZNS1_14partition_implILS5_6ELb0ES3_mN6thrust23THRUST_200600_302600_NS6detail15normal_iteratorINSA_10device_ptrIsEEEEPS6_SG_NS0_5tupleIJNSA_16discard_iteratorINSA_11use_defaultEEES6_EEENSH_IJSG_SG_EEES6_PlJNSB_9not_fun_tINSB_14equal_to_valueIsEEEEEEE10hipError_tPvRmT3_T4_T5_T6_T7_T9_mT8_P12ihipStream_tbDpT10_ENKUlT_T0_E_clISt17integral_constantIbLb1EES1A_IbLb0EEEEDaS16_S17_EUlS16_E_NS1_11comp_targetILNS1_3genE2ELNS1_11target_archE906ELNS1_3gpuE6ELNS1_3repE0EEENS1_30default_config_static_selectorELNS0_4arch9wavefront6targetE0EEEvT1_,@function
_ZN7rocprim17ROCPRIM_400000_NS6detail17trampoline_kernelINS0_14default_configENS1_25partition_config_selectorILNS1_17partition_subalgoE6EsNS0_10empty_typeEbEEZZNS1_14partition_implILS5_6ELb0ES3_mN6thrust23THRUST_200600_302600_NS6detail15normal_iteratorINSA_10device_ptrIsEEEEPS6_SG_NS0_5tupleIJNSA_16discard_iteratorINSA_11use_defaultEEES6_EEENSH_IJSG_SG_EEES6_PlJNSB_9not_fun_tINSB_14equal_to_valueIsEEEEEEE10hipError_tPvRmT3_T4_T5_T6_T7_T9_mT8_P12ihipStream_tbDpT10_ENKUlT_T0_E_clISt17integral_constantIbLb1EES1A_IbLb0EEEEDaS16_S17_EUlS16_E_NS1_11comp_targetILNS1_3genE2ELNS1_11target_archE906ELNS1_3gpuE6ELNS1_3repE0EEENS1_30default_config_static_selectorELNS0_4arch9wavefront6targetE0EEEvT1_: ; @_ZN7rocprim17ROCPRIM_400000_NS6detail17trampoline_kernelINS0_14default_configENS1_25partition_config_selectorILNS1_17partition_subalgoE6EsNS0_10empty_typeEbEEZZNS1_14partition_implILS5_6ELb0ES3_mN6thrust23THRUST_200600_302600_NS6detail15normal_iteratorINSA_10device_ptrIsEEEEPS6_SG_NS0_5tupleIJNSA_16discard_iteratorINSA_11use_defaultEEES6_EEENSH_IJSG_SG_EEES6_PlJNSB_9not_fun_tINSB_14equal_to_valueIsEEEEEEE10hipError_tPvRmT3_T4_T5_T6_T7_T9_mT8_P12ihipStream_tbDpT10_ENKUlT_T0_E_clISt17integral_constantIbLb1EES1A_IbLb0EEEEDaS16_S17_EUlS16_E_NS1_11comp_targetILNS1_3genE2ELNS1_11target_archE906ELNS1_3gpuE6ELNS1_3repE0EEENS1_30default_config_static_selectorELNS0_4arch9wavefront6targetE0EEEvT1_
; %bb.0:
	.section	.rodata,"a",@progbits
	.p2align	6, 0x0
	.amdhsa_kernel _ZN7rocprim17ROCPRIM_400000_NS6detail17trampoline_kernelINS0_14default_configENS1_25partition_config_selectorILNS1_17partition_subalgoE6EsNS0_10empty_typeEbEEZZNS1_14partition_implILS5_6ELb0ES3_mN6thrust23THRUST_200600_302600_NS6detail15normal_iteratorINSA_10device_ptrIsEEEEPS6_SG_NS0_5tupleIJNSA_16discard_iteratorINSA_11use_defaultEEES6_EEENSH_IJSG_SG_EEES6_PlJNSB_9not_fun_tINSB_14equal_to_valueIsEEEEEEE10hipError_tPvRmT3_T4_T5_T6_T7_T9_mT8_P12ihipStream_tbDpT10_ENKUlT_T0_E_clISt17integral_constantIbLb1EES1A_IbLb0EEEEDaS16_S17_EUlS16_E_NS1_11comp_targetILNS1_3genE2ELNS1_11target_archE906ELNS1_3gpuE6ELNS1_3repE0EEENS1_30default_config_static_selectorELNS0_4arch9wavefront6targetE0EEEvT1_
		.amdhsa_group_segment_fixed_size 0
		.amdhsa_private_segment_fixed_size 0
		.amdhsa_kernarg_size 120
		.amdhsa_user_sgpr_count 2
		.amdhsa_user_sgpr_dispatch_ptr 0
		.amdhsa_user_sgpr_queue_ptr 0
		.amdhsa_user_sgpr_kernarg_segment_ptr 1
		.amdhsa_user_sgpr_dispatch_id 0
		.amdhsa_user_sgpr_private_segment_size 0
		.amdhsa_wavefront_size32 1
		.amdhsa_uses_dynamic_stack 0
		.amdhsa_enable_private_segment 0
		.amdhsa_system_sgpr_workgroup_id_x 1
		.amdhsa_system_sgpr_workgroup_id_y 0
		.amdhsa_system_sgpr_workgroup_id_z 0
		.amdhsa_system_sgpr_workgroup_info 0
		.amdhsa_system_vgpr_workitem_id 0
		.amdhsa_next_free_vgpr 1
		.amdhsa_next_free_sgpr 1
		.amdhsa_reserve_vcc 0
		.amdhsa_float_round_mode_32 0
		.amdhsa_float_round_mode_16_64 0
		.amdhsa_float_denorm_mode_32 3
		.amdhsa_float_denorm_mode_16_64 3
		.amdhsa_fp16_overflow 0
		.amdhsa_workgroup_processor_mode 1
		.amdhsa_memory_ordered 1
		.amdhsa_forward_progress 1
		.amdhsa_inst_pref_size 0
		.amdhsa_round_robin_scheduling 0
		.amdhsa_exception_fp_ieee_invalid_op 0
		.amdhsa_exception_fp_denorm_src 0
		.amdhsa_exception_fp_ieee_div_zero 0
		.amdhsa_exception_fp_ieee_overflow 0
		.amdhsa_exception_fp_ieee_underflow 0
		.amdhsa_exception_fp_ieee_inexact 0
		.amdhsa_exception_int_div_zero 0
	.end_amdhsa_kernel
	.section	.text._ZN7rocprim17ROCPRIM_400000_NS6detail17trampoline_kernelINS0_14default_configENS1_25partition_config_selectorILNS1_17partition_subalgoE6EsNS0_10empty_typeEbEEZZNS1_14partition_implILS5_6ELb0ES3_mN6thrust23THRUST_200600_302600_NS6detail15normal_iteratorINSA_10device_ptrIsEEEEPS6_SG_NS0_5tupleIJNSA_16discard_iteratorINSA_11use_defaultEEES6_EEENSH_IJSG_SG_EEES6_PlJNSB_9not_fun_tINSB_14equal_to_valueIsEEEEEEE10hipError_tPvRmT3_T4_T5_T6_T7_T9_mT8_P12ihipStream_tbDpT10_ENKUlT_T0_E_clISt17integral_constantIbLb1EES1A_IbLb0EEEEDaS16_S17_EUlS16_E_NS1_11comp_targetILNS1_3genE2ELNS1_11target_archE906ELNS1_3gpuE6ELNS1_3repE0EEENS1_30default_config_static_selectorELNS0_4arch9wavefront6targetE0EEEvT1_,"axG",@progbits,_ZN7rocprim17ROCPRIM_400000_NS6detail17trampoline_kernelINS0_14default_configENS1_25partition_config_selectorILNS1_17partition_subalgoE6EsNS0_10empty_typeEbEEZZNS1_14partition_implILS5_6ELb0ES3_mN6thrust23THRUST_200600_302600_NS6detail15normal_iteratorINSA_10device_ptrIsEEEEPS6_SG_NS0_5tupleIJNSA_16discard_iteratorINSA_11use_defaultEEES6_EEENSH_IJSG_SG_EEES6_PlJNSB_9not_fun_tINSB_14equal_to_valueIsEEEEEEE10hipError_tPvRmT3_T4_T5_T6_T7_T9_mT8_P12ihipStream_tbDpT10_ENKUlT_T0_E_clISt17integral_constantIbLb1EES1A_IbLb0EEEEDaS16_S17_EUlS16_E_NS1_11comp_targetILNS1_3genE2ELNS1_11target_archE906ELNS1_3gpuE6ELNS1_3repE0EEENS1_30default_config_static_selectorELNS0_4arch9wavefront6targetE0EEEvT1_,comdat
.Lfunc_end1809:
	.size	_ZN7rocprim17ROCPRIM_400000_NS6detail17trampoline_kernelINS0_14default_configENS1_25partition_config_selectorILNS1_17partition_subalgoE6EsNS0_10empty_typeEbEEZZNS1_14partition_implILS5_6ELb0ES3_mN6thrust23THRUST_200600_302600_NS6detail15normal_iteratorINSA_10device_ptrIsEEEEPS6_SG_NS0_5tupleIJNSA_16discard_iteratorINSA_11use_defaultEEES6_EEENSH_IJSG_SG_EEES6_PlJNSB_9not_fun_tINSB_14equal_to_valueIsEEEEEEE10hipError_tPvRmT3_T4_T5_T6_T7_T9_mT8_P12ihipStream_tbDpT10_ENKUlT_T0_E_clISt17integral_constantIbLb1EES1A_IbLb0EEEEDaS16_S17_EUlS16_E_NS1_11comp_targetILNS1_3genE2ELNS1_11target_archE906ELNS1_3gpuE6ELNS1_3repE0EEENS1_30default_config_static_selectorELNS0_4arch9wavefront6targetE0EEEvT1_, .Lfunc_end1809-_ZN7rocprim17ROCPRIM_400000_NS6detail17trampoline_kernelINS0_14default_configENS1_25partition_config_selectorILNS1_17partition_subalgoE6EsNS0_10empty_typeEbEEZZNS1_14partition_implILS5_6ELb0ES3_mN6thrust23THRUST_200600_302600_NS6detail15normal_iteratorINSA_10device_ptrIsEEEEPS6_SG_NS0_5tupleIJNSA_16discard_iteratorINSA_11use_defaultEEES6_EEENSH_IJSG_SG_EEES6_PlJNSB_9not_fun_tINSB_14equal_to_valueIsEEEEEEE10hipError_tPvRmT3_T4_T5_T6_T7_T9_mT8_P12ihipStream_tbDpT10_ENKUlT_T0_E_clISt17integral_constantIbLb1EES1A_IbLb0EEEEDaS16_S17_EUlS16_E_NS1_11comp_targetILNS1_3genE2ELNS1_11target_archE906ELNS1_3gpuE6ELNS1_3repE0EEENS1_30default_config_static_selectorELNS0_4arch9wavefront6targetE0EEEvT1_
                                        ; -- End function
	.set _ZN7rocprim17ROCPRIM_400000_NS6detail17trampoline_kernelINS0_14default_configENS1_25partition_config_selectorILNS1_17partition_subalgoE6EsNS0_10empty_typeEbEEZZNS1_14partition_implILS5_6ELb0ES3_mN6thrust23THRUST_200600_302600_NS6detail15normal_iteratorINSA_10device_ptrIsEEEEPS6_SG_NS0_5tupleIJNSA_16discard_iteratorINSA_11use_defaultEEES6_EEENSH_IJSG_SG_EEES6_PlJNSB_9not_fun_tINSB_14equal_to_valueIsEEEEEEE10hipError_tPvRmT3_T4_T5_T6_T7_T9_mT8_P12ihipStream_tbDpT10_ENKUlT_T0_E_clISt17integral_constantIbLb1EES1A_IbLb0EEEEDaS16_S17_EUlS16_E_NS1_11comp_targetILNS1_3genE2ELNS1_11target_archE906ELNS1_3gpuE6ELNS1_3repE0EEENS1_30default_config_static_selectorELNS0_4arch9wavefront6targetE0EEEvT1_.num_vgpr, 0
	.set _ZN7rocprim17ROCPRIM_400000_NS6detail17trampoline_kernelINS0_14default_configENS1_25partition_config_selectorILNS1_17partition_subalgoE6EsNS0_10empty_typeEbEEZZNS1_14partition_implILS5_6ELb0ES3_mN6thrust23THRUST_200600_302600_NS6detail15normal_iteratorINSA_10device_ptrIsEEEEPS6_SG_NS0_5tupleIJNSA_16discard_iteratorINSA_11use_defaultEEES6_EEENSH_IJSG_SG_EEES6_PlJNSB_9not_fun_tINSB_14equal_to_valueIsEEEEEEE10hipError_tPvRmT3_T4_T5_T6_T7_T9_mT8_P12ihipStream_tbDpT10_ENKUlT_T0_E_clISt17integral_constantIbLb1EES1A_IbLb0EEEEDaS16_S17_EUlS16_E_NS1_11comp_targetILNS1_3genE2ELNS1_11target_archE906ELNS1_3gpuE6ELNS1_3repE0EEENS1_30default_config_static_selectorELNS0_4arch9wavefront6targetE0EEEvT1_.num_agpr, 0
	.set _ZN7rocprim17ROCPRIM_400000_NS6detail17trampoline_kernelINS0_14default_configENS1_25partition_config_selectorILNS1_17partition_subalgoE6EsNS0_10empty_typeEbEEZZNS1_14partition_implILS5_6ELb0ES3_mN6thrust23THRUST_200600_302600_NS6detail15normal_iteratorINSA_10device_ptrIsEEEEPS6_SG_NS0_5tupleIJNSA_16discard_iteratorINSA_11use_defaultEEES6_EEENSH_IJSG_SG_EEES6_PlJNSB_9not_fun_tINSB_14equal_to_valueIsEEEEEEE10hipError_tPvRmT3_T4_T5_T6_T7_T9_mT8_P12ihipStream_tbDpT10_ENKUlT_T0_E_clISt17integral_constantIbLb1EES1A_IbLb0EEEEDaS16_S17_EUlS16_E_NS1_11comp_targetILNS1_3genE2ELNS1_11target_archE906ELNS1_3gpuE6ELNS1_3repE0EEENS1_30default_config_static_selectorELNS0_4arch9wavefront6targetE0EEEvT1_.numbered_sgpr, 0
	.set _ZN7rocprim17ROCPRIM_400000_NS6detail17trampoline_kernelINS0_14default_configENS1_25partition_config_selectorILNS1_17partition_subalgoE6EsNS0_10empty_typeEbEEZZNS1_14partition_implILS5_6ELb0ES3_mN6thrust23THRUST_200600_302600_NS6detail15normal_iteratorINSA_10device_ptrIsEEEEPS6_SG_NS0_5tupleIJNSA_16discard_iteratorINSA_11use_defaultEEES6_EEENSH_IJSG_SG_EEES6_PlJNSB_9not_fun_tINSB_14equal_to_valueIsEEEEEEE10hipError_tPvRmT3_T4_T5_T6_T7_T9_mT8_P12ihipStream_tbDpT10_ENKUlT_T0_E_clISt17integral_constantIbLb1EES1A_IbLb0EEEEDaS16_S17_EUlS16_E_NS1_11comp_targetILNS1_3genE2ELNS1_11target_archE906ELNS1_3gpuE6ELNS1_3repE0EEENS1_30default_config_static_selectorELNS0_4arch9wavefront6targetE0EEEvT1_.num_named_barrier, 0
	.set _ZN7rocprim17ROCPRIM_400000_NS6detail17trampoline_kernelINS0_14default_configENS1_25partition_config_selectorILNS1_17partition_subalgoE6EsNS0_10empty_typeEbEEZZNS1_14partition_implILS5_6ELb0ES3_mN6thrust23THRUST_200600_302600_NS6detail15normal_iteratorINSA_10device_ptrIsEEEEPS6_SG_NS0_5tupleIJNSA_16discard_iteratorINSA_11use_defaultEEES6_EEENSH_IJSG_SG_EEES6_PlJNSB_9not_fun_tINSB_14equal_to_valueIsEEEEEEE10hipError_tPvRmT3_T4_T5_T6_T7_T9_mT8_P12ihipStream_tbDpT10_ENKUlT_T0_E_clISt17integral_constantIbLb1EES1A_IbLb0EEEEDaS16_S17_EUlS16_E_NS1_11comp_targetILNS1_3genE2ELNS1_11target_archE906ELNS1_3gpuE6ELNS1_3repE0EEENS1_30default_config_static_selectorELNS0_4arch9wavefront6targetE0EEEvT1_.private_seg_size, 0
	.set _ZN7rocprim17ROCPRIM_400000_NS6detail17trampoline_kernelINS0_14default_configENS1_25partition_config_selectorILNS1_17partition_subalgoE6EsNS0_10empty_typeEbEEZZNS1_14partition_implILS5_6ELb0ES3_mN6thrust23THRUST_200600_302600_NS6detail15normal_iteratorINSA_10device_ptrIsEEEEPS6_SG_NS0_5tupleIJNSA_16discard_iteratorINSA_11use_defaultEEES6_EEENSH_IJSG_SG_EEES6_PlJNSB_9not_fun_tINSB_14equal_to_valueIsEEEEEEE10hipError_tPvRmT3_T4_T5_T6_T7_T9_mT8_P12ihipStream_tbDpT10_ENKUlT_T0_E_clISt17integral_constantIbLb1EES1A_IbLb0EEEEDaS16_S17_EUlS16_E_NS1_11comp_targetILNS1_3genE2ELNS1_11target_archE906ELNS1_3gpuE6ELNS1_3repE0EEENS1_30default_config_static_selectorELNS0_4arch9wavefront6targetE0EEEvT1_.uses_vcc, 0
	.set _ZN7rocprim17ROCPRIM_400000_NS6detail17trampoline_kernelINS0_14default_configENS1_25partition_config_selectorILNS1_17partition_subalgoE6EsNS0_10empty_typeEbEEZZNS1_14partition_implILS5_6ELb0ES3_mN6thrust23THRUST_200600_302600_NS6detail15normal_iteratorINSA_10device_ptrIsEEEEPS6_SG_NS0_5tupleIJNSA_16discard_iteratorINSA_11use_defaultEEES6_EEENSH_IJSG_SG_EEES6_PlJNSB_9not_fun_tINSB_14equal_to_valueIsEEEEEEE10hipError_tPvRmT3_T4_T5_T6_T7_T9_mT8_P12ihipStream_tbDpT10_ENKUlT_T0_E_clISt17integral_constantIbLb1EES1A_IbLb0EEEEDaS16_S17_EUlS16_E_NS1_11comp_targetILNS1_3genE2ELNS1_11target_archE906ELNS1_3gpuE6ELNS1_3repE0EEENS1_30default_config_static_selectorELNS0_4arch9wavefront6targetE0EEEvT1_.uses_flat_scratch, 0
	.set _ZN7rocprim17ROCPRIM_400000_NS6detail17trampoline_kernelINS0_14default_configENS1_25partition_config_selectorILNS1_17partition_subalgoE6EsNS0_10empty_typeEbEEZZNS1_14partition_implILS5_6ELb0ES3_mN6thrust23THRUST_200600_302600_NS6detail15normal_iteratorINSA_10device_ptrIsEEEEPS6_SG_NS0_5tupleIJNSA_16discard_iteratorINSA_11use_defaultEEES6_EEENSH_IJSG_SG_EEES6_PlJNSB_9not_fun_tINSB_14equal_to_valueIsEEEEEEE10hipError_tPvRmT3_T4_T5_T6_T7_T9_mT8_P12ihipStream_tbDpT10_ENKUlT_T0_E_clISt17integral_constantIbLb1EES1A_IbLb0EEEEDaS16_S17_EUlS16_E_NS1_11comp_targetILNS1_3genE2ELNS1_11target_archE906ELNS1_3gpuE6ELNS1_3repE0EEENS1_30default_config_static_selectorELNS0_4arch9wavefront6targetE0EEEvT1_.has_dyn_sized_stack, 0
	.set _ZN7rocprim17ROCPRIM_400000_NS6detail17trampoline_kernelINS0_14default_configENS1_25partition_config_selectorILNS1_17partition_subalgoE6EsNS0_10empty_typeEbEEZZNS1_14partition_implILS5_6ELb0ES3_mN6thrust23THRUST_200600_302600_NS6detail15normal_iteratorINSA_10device_ptrIsEEEEPS6_SG_NS0_5tupleIJNSA_16discard_iteratorINSA_11use_defaultEEES6_EEENSH_IJSG_SG_EEES6_PlJNSB_9not_fun_tINSB_14equal_to_valueIsEEEEEEE10hipError_tPvRmT3_T4_T5_T6_T7_T9_mT8_P12ihipStream_tbDpT10_ENKUlT_T0_E_clISt17integral_constantIbLb1EES1A_IbLb0EEEEDaS16_S17_EUlS16_E_NS1_11comp_targetILNS1_3genE2ELNS1_11target_archE906ELNS1_3gpuE6ELNS1_3repE0EEENS1_30default_config_static_selectorELNS0_4arch9wavefront6targetE0EEEvT1_.has_recursion, 0
	.set _ZN7rocprim17ROCPRIM_400000_NS6detail17trampoline_kernelINS0_14default_configENS1_25partition_config_selectorILNS1_17partition_subalgoE6EsNS0_10empty_typeEbEEZZNS1_14partition_implILS5_6ELb0ES3_mN6thrust23THRUST_200600_302600_NS6detail15normal_iteratorINSA_10device_ptrIsEEEEPS6_SG_NS0_5tupleIJNSA_16discard_iteratorINSA_11use_defaultEEES6_EEENSH_IJSG_SG_EEES6_PlJNSB_9not_fun_tINSB_14equal_to_valueIsEEEEEEE10hipError_tPvRmT3_T4_T5_T6_T7_T9_mT8_P12ihipStream_tbDpT10_ENKUlT_T0_E_clISt17integral_constantIbLb1EES1A_IbLb0EEEEDaS16_S17_EUlS16_E_NS1_11comp_targetILNS1_3genE2ELNS1_11target_archE906ELNS1_3gpuE6ELNS1_3repE0EEENS1_30default_config_static_selectorELNS0_4arch9wavefront6targetE0EEEvT1_.has_indirect_call, 0
	.section	.AMDGPU.csdata,"",@progbits
; Kernel info:
; codeLenInByte = 0
; TotalNumSgprs: 0
; NumVgprs: 0
; ScratchSize: 0
; MemoryBound: 0
; FloatMode: 240
; IeeeMode: 1
; LDSByteSize: 0 bytes/workgroup (compile time only)
; SGPRBlocks: 0
; VGPRBlocks: 0
; NumSGPRsForWavesPerEU: 1
; NumVGPRsForWavesPerEU: 1
; Occupancy: 16
; WaveLimiterHint : 0
; COMPUTE_PGM_RSRC2:SCRATCH_EN: 0
; COMPUTE_PGM_RSRC2:USER_SGPR: 2
; COMPUTE_PGM_RSRC2:TRAP_HANDLER: 0
; COMPUTE_PGM_RSRC2:TGID_X_EN: 1
; COMPUTE_PGM_RSRC2:TGID_Y_EN: 0
; COMPUTE_PGM_RSRC2:TGID_Z_EN: 0
; COMPUTE_PGM_RSRC2:TIDIG_COMP_CNT: 0
	.section	.text._ZN7rocprim17ROCPRIM_400000_NS6detail17trampoline_kernelINS0_14default_configENS1_25partition_config_selectorILNS1_17partition_subalgoE6EsNS0_10empty_typeEbEEZZNS1_14partition_implILS5_6ELb0ES3_mN6thrust23THRUST_200600_302600_NS6detail15normal_iteratorINSA_10device_ptrIsEEEEPS6_SG_NS0_5tupleIJNSA_16discard_iteratorINSA_11use_defaultEEES6_EEENSH_IJSG_SG_EEES6_PlJNSB_9not_fun_tINSB_14equal_to_valueIsEEEEEEE10hipError_tPvRmT3_T4_T5_T6_T7_T9_mT8_P12ihipStream_tbDpT10_ENKUlT_T0_E_clISt17integral_constantIbLb1EES1A_IbLb0EEEEDaS16_S17_EUlS16_E_NS1_11comp_targetILNS1_3genE10ELNS1_11target_archE1200ELNS1_3gpuE4ELNS1_3repE0EEENS1_30default_config_static_selectorELNS0_4arch9wavefront6targetE0EEEvT1_,"axG",@progbits,_ZN7rocprim17ROCPRIM_400000_NS6detail17trampoline_kernelINS0_14default_configENS1_25partition_config_selectorILNS1_17partition_subalgoE6EsNS0_10empty_typeEbEEZZNS1_14partition_implILS5_6ELb0ES3_mN6thrust23THRUST_200600_302600_NS6detail15normal_iteratorINSA_10device_ptrIsEEEEPS6_SG_NS0_5tupleIJNSA_16discard_iteratorINSA_11use_defaultEEES6_EEENSH_IJSG_SG_EEES6_PlJNSB_9not_fun_tINSB_14equal_to_valueIsEEEEEEE10hipError_tPvRmT3_T4_T5_T6_T7_T9_mT8_P12ihipStream_tbDpT10_ENKUlT_T0_E_clISt17integral_constantIbLb1EES1A_IbLb0EEEEDaS16_S17_EUlS16_E_NS1_11comp_targetILNS1_3genE10ELNS1_11target_archE1200ELNS1_3gpuE4ELNS1_3repE0EEENS1_30default_config_static_selectorELNS0_4arch9wavefront6targetE0EEEvT1_,comdat
	.protected	_ZN7rocprim17ROCPRIM_400000_NS6detail17trampoline_kernelINS0_14default_configENS1_25partition_config_selectorILNS1_17partition_subalgoE6EsNS0_10empty_typeEbEEZZNS1_14partition_implILS5_6ELb0ES3_mN6thrust23THRUST_200600_302600_NS6detail15normal_iteratorINSA_10device_ptrIsEEEEPS6_SG_NS0_5tupleIJNSA_16discard_iteratorINSA_11use_defaultEEES6_EEENSH_IJSG_SG_EEES6_PlJNSB_9not_fun_tINSB_14equal_to_valueIsEEEEEEE10hipError_tPvRmT3_T4_T5_T6_T7_T9_mT8_P12ihipStream_tbDpT10_ENKUlT_T0_E_clISt17integral_constantIbLb1EES1A_IbLb0EEEEDaS16_S17_EUlS16_E_NS1_11comp_targetILNS1_3genE10ELNS1_11target_archE1200ELNS1_3gpuE4ELNS1_3repE0EEENS1_30default_config_static_selectorELNS0_4arch9wavefront6targetE0EEEvT1_ ; -- Begin function _ZN7rocprim17ROCPRIM_400000_NS6detail17trampoline_kernelINS0_14default_configENS1_25partition_config_selectorILNS1_17partition_subalgoE6EsNS0_10empty_typeEbEEZZNS1_14partition_implILS5_6ELb0ES3_mN6thrust23THRUST_200600_302600_NS6detail15normal_iteratorINSA_10device_ptrIsEEEEPS6_SG_NS0_5tupleIJNSA_16discard_iteratorINSA_11use_defaultEEES6_EEENSH_IJSG_SG_EEES6_PlJNSB_9not_fun_tINSB_14equal_to_valueIsEEEEEEE10hipError_tPvRmT3_T4_T5_T6_T7_T9_mT8_P12ihipStream_tbDpT10_ENKUlT_T0_E_clISt17integral_constantIbLb1EES1A_IbLb0EEEEDaS16_S17_EUlS16_E_NS1_11comp_targetILNS1_3genE10ELNS1_11target_archE1200ELNS1_3gpuE4ELNS1_3repE0EEENS1_30default_config_static_selectorELNS0_4arch9wavefront6targetE0EEEvT1_
	.globl	_ZN7rocprim17ROCPRIM_400000_NS6detail17trampoline_kernelINS0_14default_configENS1_25partition_config_selectorILNS1_17partition_subalgoE6EsNS0_10empty_typeEbEEZZNS1_14partition_implILS5_6ELb0ES3_mN6thrust23THRUST_200600_302600_NS6detail15normal_iteratorINSA_10device_ptrIsEEEEPS6_SG_NS0_5tupleIJNSA_16discard_iteratorINSA_11use_defaultEEES6_EEENSH_IJSG_SG_EEES6_PlJNSB_9not_fun_tINSB_14equal_to_valueIsEEEEEEE10hipError_tPvRmT3_T4_T5_T6_T7_T9_mT8_P12ihipStream_tbDpT10_ENKUlT_T0_E_clISt17integral_constantIbLb1EES1A_IbLb0EEEEDaS16_S17_EUlS16_E_NS1_11comp_targetILNS1_3genE10ELNS1_11target_archE1200ELNS1_3gpuE4ELNS1_3repE0EEENS1_30default_config_static_selectorELNS0_4arch9wavefront6targetE0EEEvT1_
	.p2align	8
	.type	_ZN7rocprim17ROCPRIM_400000_NS6detail17trampoline_kernelINS0_14default_configENS1_25partition_config_selectorILNS1_17partition_subalgoE6EsNS0_10empty_typeEbEEZZNS1_14partition_implILS5_6ELb0ES3_mN6thrust23THRUST_200600_302600_NS6detail15normal_iteratorINSA_10device_ptrIsEEEEPS6_SG_NS0_5tupleIJNSA_16discard_iteratorINSA_11use_defaultEEES6_EEENSH_IJSG_SG_EEES6_PlJNSB_9not_fun_tINSB_14equal_to_valueIsEEEEEEE10hipError_tPvRmT3_T4_T5_T6_T7_T9_mT8_P12ihipStream_tbDpT10_ENKUlT_T0_E_clISt17integral_constantIbLb1EES1A_IbLb0EEEEDaS16_S17_EUlS16_E_NS1_11comp_targetILNS1_3genE10ELNS1_11target_archE1200ELNS1_3gpuE4ELNS1_3repE0EEENS1_30default_config_static_selectorELNS0_4arch9wavefront6targetE0EEEvT1_,@function
_ZN7rocprim17ROCPRIM_400000_NS6detail17trampoline_kernelINS0_14default_configENS1_25partition_config_selectorILNS1_17partition_subalgoE6EsNS0_10empty_typeEbEEZZNS1_14partition_implILS5_6ELb0ES3_mN6thrust23THRUST_200600_302600_NS6detail15normal_iteratorINSA_10device_ptrIsEEEEPS6_SG_NS0_5tupleIJNSA_16discard_iteratorINSA_11use_defaultEEES6_EEENSH_IJSG_SG_EEES6_PlJNSB_9not_fun_tINSB_14equal_to_valueIsEEEEEEE10hipError_tPvRmT3_T4_T5_T6_T7_T9_mT8_P12ihipStream_tbDpT10_ENKUlT_T0_E_clISt17integral_constantIbLb1EES1A_IbLb0EEEEDaS16_S17_EUlS16_E_NS1_11comp_targetILNS1_3genE10ELNS1_11target_archE1200ELNS1_3gpuE4ELNS1_3repE0EEENS1_30default_config_static_selectorELNS0_4arch9wavefront6targetE0EEEvT1_: ; @_ZN7rocprim17ROCPRIM_400000_NS6detail17trampoline_kernelINS0_14default_configENS1_25partition_config_selectorILNS1_17partition_subalgoE6EsNS0_10empty_typeEbEEZZNS1_14partition_implILS5_6ELb0ES3_mN6thrust23THRUST_200600_302600_NS6detail15normal_iteratorINSA_10device_ptrIsEEEEPS6_SG_NS0_5tupleIJNSA_16discard_iteratorINSA_11use_defaultEEES6_EEENSH_IJSG_SG_EEES6_PlJNSB_9not_fun_tINSB_14equal_to_valueIsEEEEEEE10hipError_tPvRmT3_T4_T5_T6_T7_T9_mT8_P12ihipStream_tbDpT10_ENKUlT_T0_E_clISt17integral_constantIbLb1EES1A_IbLb0EEEEDaS16_S17_EUlS16_E_NS1_11comp_targetILNS1_3genE10ELNS1_11target_archE1200ELNS1_3gpuE4ELNS1_3repE0EEENS1_30default_config_static_selectorELNS0_4arch9wavefront6targetE0EEEvT1_
; %bb.0:
	s_endpgm
	.section	.rodata,"a",@progbits
	.p2align	6, 0x0
	.amdhsa_kernel _ZN7rocprim17ROCPRIM_400000_NS6detail17trampoline_kernelINS0_14default_configENS1_25partition_config_selectorILNS1_17partition_subalgoE6EsNS0_10empty_typeEbEEZZNS1_14partition_implILS5_6ELb0ES3_mN6thrust23THRUST_200600_302600_NS6detail15normal_iteratorINSA_10device_ptrIsEEEEPS6_SG_NS0_5tupleIJNSA_16discard_iteratorINSA_11use_defaultEEES6_EEENSH_IJSG_SG_EEES6_PlJNSB_9not_fun_tINSB_14equal_to_valueIsEEEEEEE10hipError_tPvRmT3_T4_T5_T6_T7_T9_mT8_P12ihipStream_tbDpT10_ENKUlT_T0_E_clISt17integral_constantIbLb1EES1A_IbLb0EEEEDaS16_S17_EUlS16_E_NS1_11comp_targetILNS1_3genE10ELNS1_11target_archE1200ELNS1_3gpuE4ELNS1_3repE0EEENS1_30default_config_static_selectorELNS0_4arch9wavefront6targetE0EEEvT1_
		.amdhsa_group_segment_fixed_size 0
		.amdhsa_private_segment_fixed_size 0
		.amdhsa_kernarg_size 120
		.amdhsa_user_sgpr_count 2
		.amdhsa_user_sgpr_dispatch_ptr 0
		.amdhsa_user_sgpr_queue_ptr 0
		.amdhsa_user_sgpr_kernarg_segment_ptr 1
		.amdhsa_user_sgpr_dispatch_id 0
		.amdhsa_user_sgpr_private_segment_size 0
		.amdhsa_wavefront_size32 1
		.amdhsa_uses_dynamic_stack 0
		.amdhsa_enable_private_segment 0
		.amdhsa_system_sgpr_workgroup_id_x 1
		.amdhsa_system_sgpr_workgroup_id_y 0
		.amdhsa_system_sgpr_workgroup_id_z 0
		.amdhsa_system_sgpr_workgroup_info 0
		.amdhsa_system_vgpr_workitem_id 0
		.amdhsa_next_free_vgpr 1
		.amdhsa_next_free_sgpr 1
		.amdhsa_reserve_vcc 0
		.amdhsa_float_round_mode_32 0
		.amdhsa_float_round_mode_16_64 0
		.amdhsa_float_denorm_mode_32 3
		.amdhsa_float_denorm_mode_16_64 3
		.amdhsa_fp16_overflow 0
		.amdhsa_workgroup_processor_mode 1
		.amdhsa_memory_ordered 1
		.amdhsa_forward_progress 1
		.amdhsa_inst_pref_size 1
		.amdhsa_round_robin_scheduling 0
		.amdhsa_exception_fp_ieee_invalid_op 0
		.amdhsa_exception_fp_denorm_src 0
		.amdhsa_exception_fp_ieee_div_zero 0
		.amdhsa_exception_fp_ieee_overflow 0
		.amdhsa_exception_fp_ieee_underflow 0
		.amdhsa_exception_fp_ieee_inexact 0
		.amdhsa_exception_int_div_zero 0
	.end_amdhsa_kernel
	.section	.text._ZN7rocprim17ROCPRIM_400000_NS6detail17trampoline_kernelINS0_14default_configENS1_25partition_config_selectorILNS1_17partition_subalgoE6EsNS0_10empty_typeEbEEZZNS1_14partition_implILS5_6ELb0ES3_mN6thrust23THRUST_200600_302600_NS6detail15normal_iteratorINSA_10device_ptrIsEEEEPS6_SG_NS0_5tupleIJNSA_16discard_iteratorINSA_11use_defaultEEES6_EEENSH_IJSG_SG_EEES6_PlJNSB_9not_fun_tINSB_14equal_to_valueIsEEEEEEE10hipError_tPvRmT3_T4_T5_T6_T7_T9_mT8_P12ihipStream_tbDpT10_ENKUlT_T0_E_clISt17integral_constantIbLb1EES1A_IbLb0EEEEDaS16_S17_EUlS16_E_NS1_11comp_targetILNS1_3genE10ELNS1_11target_archE1200ELNS1_3gpuE4ELNS1_3repE0EEENS1_30default_config_static_selectorELNS0_4arch9wavefront6targetE0EEEvT1_,"axG",@progbits,_ZN7rocprim17ROCPRIM_400000_NS6detail17trampoline_kernelINS0_14default_configENS1_25partition_config_selectorILNS1_17partition_subalgoE6EsNS0_10empty_typeEbEEZZNS1_14partition_implILS5_6ELb0ES3_mN6thrust23THRUST_200600_302600_NS6detail15normal_iteratorINSA_10device_ptrIsEEEEPS6_SG_NS0_5tupleIJNSA_16discard_iteratorINSA_11use_defaultEEES6_EEENSH_IJSG_SG_EEES6_PlJNSB_9not_fun_tINSB_14equal_to_valueIsEEEEEEE10hipError_tPvRmT3_T4_T5_T6_T7_T9_mT8_P12ihipStream_tbDpT10_ENKUlT_T0_E_clISt17integral_constantIbLb1EES1A_IbLb0EEEEDaS16_S17_EUlS16_E_NS1_11comp_targetILNS1_3genE10ELNS1_11target_archE1200ELNS1_3gpuE4ELNS1_3repE0EEENS1_30default_config_static_selectorELNS0_4arch9wavefront6targetE0EEEvT1_,comdat
.Lfunc_end1810:
	.size	_ZN7rocprim17ROCPRIM_400000_NS6detail17trampoline_kernelINS0_14default_configENS1_25partition_config_selectorILNS1_17partition_subalgoE6EsNS0_10empty_typeEbEEZZNS1_14partition_implILS5_6ELb0ES3_mN6thrust23THRUST_200600_302600_NS6detail15normal_iteratorINSA_10device_ptrIsEEEEPS6_SG_NS0_5tupleIJNSA_16discard_iteratorINSA_11use_defaultEEES6_EEENSH_IJSG_SG_EEES6_PlJNSB_9not_fun_tINSB_14equal_to_valueIsEEEEEEE10hipError_tPvRmT3_T4_T5_T6_T7_T9_mT8_P12ihipStream_tbDpT10_ENKUlT_T0_E_clISt17integral_constantIbLb1EES1A_IbLb0EEEEDaS16_S17_EUlS16_E_NS1_11comp_targetILNS1_3genE10ELNS1_11target_archE1200ELNS1_3gpuE4ELNS1_3repE0EEENS1_30default_config_static_selectorELNS0_4arch9wavefront6targetE0EEEvT1_, .Lfunc_end1810-_ZN7rocprim17ROCPRIM_400000_NS6detail17trampoline_kernelINS0_14default_configENS1_25partition_config_selectorILNS1_17partition_subalgoE6EsNS0_10empty_typeEbEEZZNS1_14partition_implILS5_6ELb0ES3_mN6thrust23THRUST_200600_302600_NS6detail15normal_iteratorINSA_10device_ptrIsEEEEPS6_SG_NS0_5tupleIJNSA_16discard_iteratorINSA_11use_defaultEEES6_EEENSH_IJSG_SG_EEES6_PlJNSB_9not_fun_tINSB_14equal_to_valueIsEEEEEEE10hipError_tPvRmT3_T4_T5_T6_T7_T9_mT8_P12ihipStream_tbDpT10_ENKUlT_T0_E_clISt17integral_constantIbLb1EES1A_IbLb0EEEEDaS16_S17_EUlS16_E_NS1_11comp_targetILNS1_3genE10ELNS1_11target_archE1200ELNS1_3gpuE4ELNS1_3repE0EEENS1_30default_config_static_selectorELNS0_4arch9wavefront6targetE0EEEvT1_
                                        ; -- End function
	.set _ZN7rocprim17ROCPRIM_400000_NS6detail17trampoline_kernelINS0_14default_configENS1_25partition_config_selectorILNS1_17partition_subalgoE6EsNS0_10empty_typeEbEEZZNS1_14partition_implILS5_6ELb0ES3_mN6thrust23THRUST_200600_302600_NS6detail15normal_iteratorINSA_10device_ptrIsEEEEPS6_SG_NS0_5tupleIJNSA_16discard_iteratorINSA_11use_defaultEEES6_EEENSH_IJSG_SG_EEES6_PlJNSB_9not_fun_tINSB_14equal_to_valueIsEEEEEEE10hipError_tPvRmT3_T4_T5_T6_T7_T9_mT8_P12ihipStream_tbDpT10_ENKUlT_T0_E_clISt17integral_constantIbLb1EES1A_IbLb0EEEEDaS16_S17_EUlS16_E_NS1_11comp_targetILNS1_3genE10ELNS1_11target_archE1200ELNS1_3gpuE4ELNS1_3repE0EEENS1_30default_config_static_selectorELNS0_4arch9wavefront6targetE0EEEvT1_.num_vgpr, 0
	.set _ZN7rocprim17ROCPRIM_400000_NS6detail17trampoline_kernelINS0_14default_configENS1_25partition_config_selectorILNS1_17partition_subalgoE6EsNS0_10empty_typeEbEEZZNS1_14partition_implILS5_6ELb0ES3_mN6thrust23THRUST_200600_302600_NS6detail15normal_iteratorINSA_10device_ptrIsEEEEPS6_SG_NS0_5tupleIJNSA_16discard_iteratorINSA_11use_defaultEEES6_EEENSH_IJSG_SG_EEES6_PlJNSB_9not_fun_tINSB_14equal_to_valueIsEEEEEEE10hipError_tPvRmT3_T4_T5_T6_T7_T9_mT8_P12ihipStream_tbDpT10_ENKUlT_T0_E_clISt17integral_constantIbLb1EES1A_IbLb0EEEEDaS16_S17_EUlS16_E_NS1_11comp_targetILNS1_3genE10ELNS1_11target_archE1200ELNS1_3gpuE4ELNS1_3repE0EEENS1_30default_config_static_selectorELNS0_4arch9wavefront6targetE0EEEvT1_.num_agpr, 0
	.set _ZN7rocprim17ROCPRIM_400000_NS6detail17trampoline_kernelINS0_14default_configENS1_25partition_config_selectorILNS1_17partition_subalgoE6EsNS0_10empty_typeEbEEZZNS1_14partition_implILS5_6ELb0ES3_mN6thrust23THRUST_200600_302600_NS6detail15normal_iteratorINSA_10device_ptrIsEEEEPS6_SG_NS0_5tupleIJNSA_16discard_iteratorINSA_11use_defaultEEES6_EEENSH_IJSG_SG_EEES6_PlJNSB_9not_fun_tINSB_14equal_to_valueIsEEEEEEE10hipError_tPvRmT3_T4_T5_T6_T7_T9_mT8_P12ihipStream_tbDpT10_ENKUlT_T0_E_clISt17integral_constantIbLb1EES1A_IbLb0EEEEDaS16_S17_EUlS16_E_NS1_11comp_targetILNS1_3genE10ELNS1_11target_archE1200ELNS1_3gpuE4ELNS1_3repE0EEENS1_30default_config_static_selectorELNS0_4arch9wavefront6targetE0EEEvT1_.numbered_sgpr, 0
	.set _ZN7rocprim17ROCPRIM_400000_NS6detail17trampoline_kernelINS0_14default_configENS1_25partition_config_selectorILNS1_17partition_subalgoE6EsNS0_10empty_typeEbEEZZNS1_14partition_implILS5_6ELb0ES3_mN6thrust23THRUST_200600_302600_NS6detail15normal_iteratorINSA_10device_ptrIsEEEEPS6_SG_NS0_5tupleIJNSA_16discard_iteratorINSA_11use_defaultEEES6_EEENSH_IJSG_SG_EEES6_PlJNSB_9not_fun_tINSB_14equal_to_valueIsEEEEEEE10hipError_tPvRmT3_T4_T5_T6_T7_T9_mT8_P12ihipStream_tbDpT10_ENKUlT_T0_E_clISt17integral_constantIbLb1EES1A_IbLb0EEEEDaS16_S17_EUlS16_E_NS1_11comp_targetILNS1_3genE10ELNS1_11target_archE1200ELNS1_3gpuE4ELNS1_3repE0EEENS1_30default_config_static_selectorELNS0_4arch9wavefront6targetE0EEEvT1_.num_named_barrier, 0
	.set _ZN7rocprim17ROCPRIM_400000_NS6detail17trampoline_kernelINS0_14default_configENS1_25partition_config_selectorILNS1_17partition_subalgoE6EsNS0_10empty_typeEbEEZZNS1_14partition_implILS5_6ELb0ES3_mN6thrust23THRUST_200600_302600_NS6detail15normal_iteratorINSA_10device_ptrIsEEEEPS6_SG_NS0_5tupleIJNSA_16discard_iteratorINSA_11use_defaultEEES6_EEENSH_IJSG_SG_EEES6_PlJNSB_9not_fun_tINSB_14equal_to_valueIsEEEEEEE10hipError_tPvRmT3_T4_T5_T6_T7_T9_mT8_P12ihipStream_tbDpT10_ENKUlT_T0_E_clISt17integral_constantIbLb1EES1A_IbLb0EEEEDaS16_S17_EUlS16_E_NS1_11comp_targetILNS1_3genE10ELNS1_11target_archE1200ELNS1_3gpuE4ELNS1_3repE0EEENS1_30default_config_static_selectorELNS0_4arch9wavefront6targetE0EEEvT1_.private_seg_size, 0
	.set _ZN7rocprim17ROCPRIM_400000_NS6detail17trampoline_kernelINS0_14default_configENS1_25partition_config_selectorILNS1_17partition_subalgoE6EsNS0_10empty_typeEbEEZZNS1_14partition_implILS5_6ELb0ES3_mN6thrust23THRUST_200600_302600_NS6detail15normal_iteratorINSA_10device_ptrIsEEEEPS6_SG_NS0_5tupleIJNSA_16discard_iteratorINSA_11use_defaultEEES6_EEENSH_IJSG_SG_EEES6_PlJNSB_9not_fun_tINSB_14equal_to_valueIsEEEEEEE10hipError_tPvRmT3_T4_T5_T6_T7_T9_mT8_P12ihipStream_tbDpT10_ENKUlT_T0_E_clISt17integral_constantIbLb1EES1A_IbLb0EEEEDaS16_S17_EUlS16_E_NS1_11comp_targetILNS1_3genE10ELNS1_11target_archE1200ELNS1_3gpuE4ELNS1_3repE0EEENS1_30default_config_static_selectorELNS0_4arch9wavefront6targetE0EEEvT1_.uses_vcc, 0
	.set _ZN7rocprim17ROCPRIM_400000_NS6detail17trampoline_kernelINS0_14default_configENS1_25partition_config_selectorILNS1_17partition_subalgoE6EsNS0_10empty_typeEbEEZZNS1_14partition_implILS5_6ELb0ES3_mN6thrust23THRUST_200600_302600_NS6detail15normal_iteratorINSA_10device_ptrIsEEEEPS6_SG_NS0_5tupleIJNSA_16discard_iteratorINSA_11use_defaultEEES6_EEENSH_IJSG_SG_EEES6_PlJNSB_9not_fun_tINSB_14equal_to_valueIsEEEEEEE10hipError_tPvRmT3_T4_T5_T6_T7_T9_mT8_P12ihipStream_tbDpT10_ENKUlT_T0_E_clISt17integral_constantIbLb1EES1A_IbLb0EEEEDaS16_S17_EUlS16_E_NS1_11comp_targetILNS1_3genE10ELNS1_11target_archE1200ELNS1_3gpuE4ELNS1_3repE0EEENS1_30default_config_static_selectorELNS0_4arch9wavefront6targetE0EEEvT1_.uses_flat_scratch, 0
	.set _ZN7rocprim17ROCPRIM_400000_NS6detail17trampoline_kernelINS0_14default_configENS1_25partition_config_selectorILNS1_17partition_subalgoE6EsNS0_10empty_typeEbEEZZNS1_14partition_implILS5_6ELb0ES3_mN6thrust23THRUST_200600_302600_NS6detail15normal_iteratorINSA_10device_ptrIsEEEEPS6_SG_NS0_5tupleIJNSA_16discard_iteratorINSA_11use_defaultEEES6_EEENSH_IJSG_SG_EEES6_PlJNSB_9not_fun_tINSB_14equal_to_valueIsEEEEEEE10hipError_tPvRmT3_T4_T5_T6_T7_T9_mT8_P12ihipStream_tbDpT10_ENKUlT_T0_E_clISt17integral_constantIbLb1EES1A_IbLb0EEEEDaS16_S17_EUlS16_E_NS1_11comp_targetILNS1_3genE10ELNS1_11target_archE1200ELNS1_3gpuE4ELNS1_3repE0EEENS1_30default_config_static_selectorELNS0_4arch9wavefront6targetE0EEEvT1_.has_dyn_sized_stack, 0
	.set _ZN7rocprim17ROCPRIM_400000_NS6detail17trampoline_kernelINS0_14default_configENS1_25partition_config_selectorILNS1_17partition_subalgoE6EsNS0_10empty_typeEbEEZZNS1_14partition_implILS5_6ELb0ES3_mN6thrust23THRUST_200600_302600_NS6detail15normal_iteratorINSA_10device_ptrIsEEEEPS6_SG_NS0_5tupleIJNSA_16discard_iteratorINSA_11use_defaultEEES6_EEENSH_IJSG_SG_EEES6_PlJNSB_9not_fun_tINSB_14equal_to_valueIsEEEEEEE10hipError_tPvRmT3_T4_T5_T6_T7_T9_mT8_P12ihipStream_tbDpT10_ENKUlT_T0_E_clISt17integral_constantIbLb1EES1A_IbLb0EEEEDaS16_S17_EUlS16_E_NS1_11comp_targetILNS1_3genE10ELNS1_11target_archE1200ELNS1_3gpuE4ELNS1_3repE0EEENS1_30default_config_static_selectorELNS0_4arch9wavefront6targetE0EEEvT1_.has_recursion, 0
	.set _ZN7rocprim17ROCPRIM_400000_NS6detail17trampoline_kernelINS0_14default_configENS1_25partition_config_selectorILNS1_17partition_subalgoE6EsNS0_10empty_typeEbEEZZNS1_14partition_implILS5_6ELb0ES3_mN6thrust23THRUST_200600_302600_NS6detail15normal_iteratorINSA_10device_ptrIsEEEEPS6_SG_NS0_5tupleIJNSA_16discard_iteratorINSA_11use_defaultEEES6_EEENSH_IJSG_SG_EEES6_PlJNSB_9not_fun_tINSB_14equal_to_valueIsEEEEEEE10hipError_tPvRmT3_T4_T5_T6_T7_T9_mT8_P12ihipStream_tbDpT10_ENKUlT_T0_E_clISt17integral_constantIbLb1EES1A_IbLb0EEEEDaS16_S17_EUlS16_E_NS1_11comp_targetILNS1_3genE10ELNS1_11target_archE1200ELNS1_3gpuE4ELNS1_3repE0EEENS1_30default_config_static_selectorELNS0_4arch9wavefront6targetE0EEEvT1_.has_indirect_call, 0
	.section	.AMDGPU.csdata,"",@progbits
; Kernel info:
; codeLenInByte = 4
; TotalNumSgprs: 0
; NumVgprs: 0
; ScratchSize: 0
; MemoryBound: 0
; FloatMode: 240
; IeeeMode: 1
; LDSByteSize: 0 bytes/workgroup (compile time only)
; SGPRBlocks: 0
; VGPRBlocks: 0
; NumSGPRsForWavesPerEU: 1
; NumVGPRsForWavesPerEU: 1
; Occupancy: 16
; WaveLimiterHint : 0
; COMPUTE_PGM_RSRC2:SCRATCH_EN: 0
; COMPUTE_PGM_RSRC2:USER_SGPR: 2
; COMPUTE_PGM_RSRC2:TRAP_HANDLER: 0
; COMPUTE_PGM_RSRC2:TGID_X_EN: 1
; COMPUTE_PGM_RSRC2:TGID_Y_EN: 0
; COMPUTE_PGM_RSRC2:TGID_Z_EN: 0
; COMPUTE_PGM_RSRC2:TIDIG_COMP_CNT: 0
	.section	.text._ZN7rocprim17ROCPRIM_400000_NS6detail17trampoline_kernelINS0_14default_configENS1_25partition_config_selectorILNS1_17partition_subalgoE6EsNS0_10empty_typeEbEEZZNS1_14partition_implILS5_6ELb0ES3_mN6thrust23THRUST_200600_302600_NS6detail15normal_iteratorINSA_10device_ptrIsEEEEPS6_SG_NS0_5tupleIJNSA_16discard_iteratorINSA_11use_defaultEEES6_EEENSH_IJSG_SG_EEES6_PlJNSB_9not_fun_tINSB_14equal_to_valueIsEEEEEEE10hipError_tPvRmT3_T4_T5_T6_T7_T9_mT8_P12ihipStream_tbDpT10_ENKUlT_T0_E_clISt17integral_constantIbLb1EES1A_IbLb0EEEEDaS16_S17_EUlS16_E_NS1_11comp_targetILNS1_3genE9ELNS1_11target_archE1100ELNS1_3gpuE3ELNS1_3repE0EEENS1_30default_config_static_selectorELNS0_4arch9wavefront6targetE0EEEvT1_,"axG",@progbits,_ZN7rocprim17ROCPRIM_400000_NS6detail17trampoline_kernelINS0_14default_configENS1_25partition_config_selectorILNS1_17partition_subalgoE6EsNS0_10empty_typeEbEEZZNS1_14partition_implILS5_6ELb0ES3_mN6thrust23THRUST_200600_302600_NS6detail15normal_iteratorINSA_10device_ptrIsEEEEPS6_SG_NS0_5tupleIJNSA_16discard_iteratorINSA_11use_defaultEEES6_EEENSH_IJSG_SG_EEES6_PlJNSB_9not_fun_tINSB_14equal_to_valueIsEEEEEEE10hipError_tPvRmT3_T4_T5_T6_T7_T9_mT8_P12ihipStream_tbDpT10_ENKUlT_T0_E_clISt17integral_constantIbLb1EES1A_IbLb0EEEEDaS16_S17_EUlS16_E_NS1_11comp_targetILNS1_3genE9ELNS1_11target_archE1100ELNS1_3gpuE3ELNS1_3repE0EEENS1_30default_config_static_selectorELNS0_4arch9wavefront6targetE0EEEvT1_,comdat
	.protected	_ZN7rocprim17ROCPRIM_400000_NS6detail17trampoline_kernelINS0_14default_configENS1_25partition_config_selectorILNS1_17partition_subalgoE6EsNS0_10empty_typeEbEEZZNS1_14partition_implILS5_6ELb0ES3_mN6thrust23THRUST_200600_302600_NS6detail15normal_iteratorINSA_10device_ptrIsEEEEPS6_SG_NS0_5tupleIJNSA_16discard_iteratorINSA_11use_defaultEEES6_EEENSH_IJSG_SG_EEES6_PlJNSB_9not_fun_tINSB_14equal_to_valueIsEEEEEEE10hipError_tPvRmT3_T4_T5_T6_T7_T9_mT8_P12ihipStream_tbDpT10_ENKUlT_T0_E_clISt17integral_constantIbLb1EES1A_IbLb0EEEEDaS16_S17_EUlS16_E_NS1_11comp_targetILNS1_3genE9ELNS1_11target_archE1100ELNS1_3gpuE3ELNS1_3repE0EEENS1_30default_config_static_selectorELNS0_4arch9wavefront6targetE0EEEvT1_ ; -- Begin function _ZN7rocprim17ROCPRIM_400000_NS6detail17trampoline_kernelINS0_14default_configENS1_25partition_config_selectorILNS1_17partition_subalgoE6EsNS0_10empty_typeEbEEZZNS1_14partition_implILS5_6ELb0ES3_mN6thrust23THRUST_200600_302600_NS6detail15normal_iteratorINSA_10device_ptrIsEEEEPS6_SG_NS0_5tupleIJNSA_16discard_iteratorINSA_11use_defaultEEES6_EEENSH_IJSG_SG_EEES6_PlJNSB_9not_fun_tINSB_14equal_to_valueIsEEEEEEE10hipError_tPvRmT3_T4_T5_T6_T7_T9_mT8_P12ihipStream_tbDpT10_ENKUlT_T0_E_clISt17integral_constantIbLb1EES1A_IbLb0EEEEDaS16_S17_EUlS16_E_NS1_11comp_targetILNS1_3genE9ELNS1_11target_archE1100ELNS1_3gpuE3ELNS1_3repE0EEENS1_30default_config_static_selectorELNS0_4arch9wavefront6targetE0EEEvT1_
	.globl	_ZN7rocprim17ROCPRIM_400000_NS6detail17trampoline_kernelINS0_14default_configENS1_25partition_config_selectorILNS1_17partition_subalgoE6EsNS0_10empty_typeEbEEZZNS1_14partition_implILS5_6ELb0ES3_mN6thrust23THRUST_200600_302600_NS6detail15normal_iteratorINSA_10device_ptrIsEEEEPS6_SG_NS0_5tupleIJNSA_16discard_iteratorINSA_11use_defaultEEES6_EEENSH_IJSG_SG_EEES6_PlJNSB_9not_fun_tINSB_14equal_to_valueIsEEEEEEE10hipError_tPvRmT3_T4_T5_T6_T7_T9_mT8_P12ihipStream_tbDpT10_ENKUlT_T0_E_clISt17integral_constantIbLb1EES1A_IbLb0EEEEDaS16_S17_EUlS16_E_NS1_11comp_targetILNS1_3genE9ELNS1_11target_archE1100ELNS1_3gpuE3ELNS1_3repE0EEENS1_30default_config_static_selectorELNS0_4arch9wavefront6targetE0EEEvT1_
	.p2align	8
	.type	_ZN7rocprim17ROCPRIM_400000_NS6detail17trampoline_kernelINS0_14default_configENS1_25partition_config_selectorILNS1_17partition_subalgoE6EsNS0_10empty_typeEbEEZZNS1_14partition_implILS5_6ELb0ES3_mN6thrust23THRUST_200600_302600_NS6detail15normal_iteratorINSA_10device_ptrIsEEEEPS6_SG_NS0_5tupleIJNSA_16discard_iteratorINSA_11use_defaultEEES6_EEENSH_IJSG_SG_EEES6_PlJNSB_9not_fun_tINSB_14equal_to_valueIsEEEEEEE10hipError_tPvRmT3_T4_T5_T6_T7_T9_mT8_P12ihipStream_tbDpT10_ENKUlT_T0_E_clISt17integral_constantIbLb1EES1A_IbLb0EEEEDaS16_S17_EUlS16_E_NS1_11comp_targetILNS1_3genE9ELNS1_11target_archE1100ELNS1_3gpuE3ELNS1_3repE0EEENS1_30default_config_static_selectorELNS0_4arch9wavefront6targetE0EEEvT1_,@function
_ZN7rocprim17ROCPRIM_400000_NS6detail17trampoline_kernelINS0_14default_configENS1_25partition_config_selectorILNS1_17partition_subalgoE6EsNS0_10empty_typeEbEEZZNS1_14partition_implILS5_6ELb0ES3_mN6thrust23THRUST_200600_302600_NS6detail15normal_iteratorINSA_10device_ptrIsEEEEPS6_SG_NS0_5tupleIJNSA_16discard_iteratorINSA_11use_defaultEEES6_EEENSH_IJSG_SG_EEES6_PlJNSB_9not_fun_tINSB_14equal_to_valueIsEEEEEEE10hipError_tPvRmT3_T4_T5_T6_T7_T9_mT8_P12ihipStream_tbDpT10_ENKUlT_T0_E_clISt17integral_constantIbLb1EES1A_IbLb0EEEEDaS16_S17_EUlS16_E_NS1_11comp_targetILNS1_3genE9ELNS1_11target_archE1100ELNS1_3gpuE3ELNS1_3repE0EEENS1_30default_config_static_selectorELNS0_4arch9wavefront6targetE0EEEvT1_: ; @_ZN7rocprim17ROCPRIM_400000_NS6detail17trampoline_kernelINS0_14default_configENS1_25partition_config_selectorILNS1_17partition_subalgoE6EsNS0_10empty_typeEbEEZZNS1_14partition_implILS5_6ELb0ES3_mN6thrust23THRUST_200600_302600_NS6detail15normal_iteratorINSA_10device_ptrIsEEEEPS6_SG_NS0_5tupleIJNSA_16discard_iteratorINSA_11use_defaultEEES6_EEENSH_IJSG_SG_EEES6_PlJNSB_9not_fun_tINSB_14equal_to_valueIsEEEEEEE10hipError_tPvRmT3_T4_T5_T6_T7_T9_mT8_P12ihipStream_tbDpT10_ENKUlT_T0_E_clISt17integral_constantIbLb1EES1A_IbLb0EEEEDaS16_S17_EUlS16_E_NS1_11comp_targetILNS1_3genE9ELNS1_11target_archE1100ELNS1_3gpuE3ELNS1_3repE0EEENS1_30default_config_static_selectorELNS0_4arch9wavefront6targetE0EEEvT1_
; %bb.0:
	.section	.rodata,"a",@progbits
	.p2align	6, 0x0
	.amdhsa_kernel _ZN7rocprim17ROCPRIM_400000_NS6detail17trampoline_kernelINS0_14default_configENS1_25partition_config_selectorILNS1_17partition_subalgoE6EsNS0_10empty_typeEbEEZZNS1_14partition_implILS5_6ELb0ES3_mN6thrust23THRUST_200600_302600_NS6detail15normal_iteratorINSA_10device_ptrIsEEEEPS6_SG_NS0_5tupleIJNSA_16discard_iteratorINSA_11use_defaultEEES6_EEENSH_IJSG_SG_EEES6_PlJNSB_9not_fun_tINSB_14equal_to_valueIsEEEEEEE10hipError_tPvRmT3_T4_T5_T6_T7_T9_mT8_P12ihipStream_tbDpT10_ENKUlT_T0_E_clISt17integral_constantIbLb1EES1A_IbLb0EEEEDaS16_S17_EUlS16_E_NS1_11comp_targetILNS1_3genE9ELNS1_11target_archE1100ELNS1_3gpuE3ELNS1_3repE0EEENS1_30default_config_static_selectorELNS0_4arch9wavefront6targetE0EEEvT1_
		.amdhsa_group_segment_fixed_size 0
		.amdhsa_private_segment_fixed_size 0
		.amdhsa_kernarg_size 120
		.amdhsa_user_sgpr_count 2
		.amdhsa_user_sgpr_dispatch_ptr 0
		.amdhsa_user_sgpr_queue_ptr 0
		.amdhsa_user_sgpr_kernarg_segment_ptr 1
		.amdhsa_user_sgpr_dispatch_id 0
		.amdhsa_user_sgpr_private_segment_size 0
		.amdhsa_wavefront_size32 1
		.amdhsa_uses_dynamic_stack 0
		.amdhsa_enable_private_segment 0
		.amdhsa_system_sgpr_workgroup_id_x 1
		.amdhsa_system_sgpr_workgroup_id_y 0
		.amdhsa_system_sgpr_workgroup_id_z 0
		.amdhsa_system_sgpr_workgroup_info 0
		.amdhsa_system_vgpr_workitem_id 0
		.amdhsa_next_free_vgpr 1
		.amdhsa_next_free_sgpr 1
		.amdhsa_reserve_vcc 0
		.amdhsa_float_round_mode_32 0
		.amdhsa_float_round_mode_16_64 0
		.amdhsa_float_denorm_mode_32 3
		.amdhsa_float_denorm_mode_16_64 3
		.amdhsa_fp16_overflow 0
		.amdhsa_workgroup_processor_mode 1
		.amdhsa_memory_ordered 1
		.amdhsa_forward_progress 1
		.amdhsa_inst_pref_size 0
		.amdhsa_round_robin_scheduling 0
		.amdhsa_exception_fp_ieee_invalid_op 0
		.amdhsa_exception_fp_denorm_src 0
		.amdhsa_exception_fp_ieee_div_zero 0
		.amdhsa_exception_fp_ieee_overflow 0
		.amdhsa_exception_fp_ieee_underflow 0
		.amdhsa_exception_fp_ieee_inexact 0
		.amdhsa_exception_int_div_zero 0
	.end_amdhsa_kernel
	.section	.text._ZN7rocprim17ROCPRIM_400000_NS6detail17trampoline_kernelINS0_14default_configENS1_25partition_config_selectorILNS1_17partition_subalgoE6EsNS0_10empty_typeEbEEZZNS1_14partition_implILS5_6ELb0ES3_mN6thrust23THRUST_200600_302600_NS6detail15normal_iteratorINSA_10device_ptrIsEEEEPS6_SG_NS0_5tupleIJNSA_16discard_iteratorINSA_11use_defaultEEES6_EEENSH_IJSG_SG_EEES6_PlJNSB_9not_fun_tINSB_14equal_to_valueIsEEEEEEE10hipError_tPvRmT3_T4_T5_T6_T7_T9_mT8_P12ihipStream_tbDpT10_ENKUlT_T0_E_clISt17integral_constantIbLb1EES1A_IbLb0EEEEDaS16_S17_EUlS16_E_NS1_11comp_targetILNS1_3genE9ELNS1_11target_archE1100ELNS1_3gpuE3ELNS1_3repE0EEENS1_30default_config_static_selectorELNS0_4arch9wavefront6targetE0EEEvT1_,"axG",@progbits,_ZN7rocprim17ROCPRIM_400000_NS6detail17trampoline_kernelINS0_14default_configENS1_25partition_config_selectorILNS1_17partition_subalgoE6EsNS0_10empty_typeEbEEZZNS1_14partition_implILS5_6ELb0ES3_mN6thrust23THRUST_200600_302600_NS6detail15normal_iteratorINSA_10device_ptrIsEEEEPS6_SG_NS0_5tupleIJNSA_16discard_iteratorINSA_11use_defaultEEES6_EEENSH_IJSG_SG_EEES6_PlJNSB_9not_fun_tINSB_14equal_to_valueIsEEEEEEE10hipError_tPvRmT3_T4_T5_T6_T7_T9_mT8_P12ihipStream_tbDpT10_ENKUlT_T0_E_clISt17integral_constantIbLb1EES1A_IbLb0EEEEDaS16_S17_EUlS16_E_NS1_11comp_targetILNS1_3genE9ELNS1_11target_archE1100ELNS1_3gpuE3ELNS1_3repE0EEENS1_30default_config_static_selectorELNS0_4arch9wavefront6targetE0EEEvT1_,comdat
.Lfunc_end1811:
	.size	_ZN7rocprim17ROCPRIM_400000_NS6detail17trampoline_kernelINS0_14default_configENS1_25partition_config_selectorILNS1_17partition_subalgoE6EsNS0_10empty_typeEbEEZZNS1_14partition_implILS5_6ELb0ES3_mN6thrust23THRUST_200600_302600_NS6detail15normal_iteratorINSA_10device_ptrIsEEEEPS6_SG_NS0_5tupleIJNSA_16discard_iteratorINSA_11use_defaultEEES6_EEENSH_IJSG_SG_EEES6_PlJNSB_9not_fun_tINSB_14equal_to_valueIsEEEEEEE10hipError_tPvRmT3_T4_T5_T6_T7_T9_mT8_P12ihipStream_tbDpT10_ENKUlT_T0_E_clISt17integral_constantIbLb1EES1A_IbLb0EEEEDaS16_S17_EUlS16_E_NS1_11comp_targetILNS1_3genE9ELNS1_11target_archE1100ELNS1_3gpuE3ELNS1_3repE0EEENS1_30default_config_static_selectorELNS0_4arch9wavefront6targetE0EEEvT1_, .Lfunc_end1811-_ZN7rocprim17ROCPRIM_400000_NS6detail17trampoline_kernelINS0_14default_configENS1_25partition_config_selectorILNS1_17partition_subalgoE6EsNS0_10empty_typeEbEEZZNS1_14partition_implILS5_6ELb0ES3_mN6thrust23THRUST_200600_302600_NS6detail15normal_iteratorINSA_10device_ptrIsEEEEPS6_SG_NS0_5tupleIJNSA_16discard_iteratorINSA_11use_defaultEEES6_EEENSH_IJSG_SG_EEES6_PlJNSB_9not_fun_tINSB_14equal_to_valueIsEEEEEEE10hipError_tPvRmT3_T4_T5_T6_T7_T9_mT8_P12ihipStream_tbDpT10_ENKUlT_T0_E_clISt17integral_constantIbLb1EES1A_IbLb0EEEEDaS16_S17_EUlS16_E_NS1_11comp_targetILNS1_3genE9ELNS1_11target_archE1100ELNS1_3gpuE3ELNS1_3repE0EEENS1_30default_config_static_selectorELNS0_4arch9wavefront6targetE0EEEvT1_
                                        ; -- End function
	.set _ZN7rocprim17ROCPRIM_400000_NS6detail17trampoline_kernelINS0_14default_configENS1_25partition_config_selectorILNS1_17partition_subalgoE6EsNS0_10empty_typeEbEEZZNS1_14partition_implILS5_6ELb0ES3_mN6thrust23THRUST_200600_302600_NS6detail15normal_iteratorINSA_10device_ptrIsEEEEPS6_SG_NS0_5tupleIJNSA_16discard_iteratorINSA_11use_defaultEEES6_EEENSH_IJSG_SG_EEES6_PlJNSB_9not_fun_tINSB_14equal_to_valueIsEEEEEEE10hipError_tPvRmT3_T4_T5_T6_T7_T9_mT8_P12ihipStream_tbDpT10_ENKUlT_T0_E_clISt17integral_constantIbLb1EES1A_IbLb0EEEEDaS16_S17_EUlS16_E_NS1_11comp_targetILNS1_3genE9ELNS1_11target_archE1100ELNS1_3gpuE3ELNS1_3repE0EEENS1_30default_config_static_selectorELNS0_4arch9wavefront6targetE0EEEvT1_.num_vgpr, 0
	.set _ZN7rocprim17ROCPRIM_400000_NS6detail17trampoline_kernelINS0_14default_configENS1_25partition_config_selectorILNS1_17partition_subalgoE6EsNS0_10empty_typeEbEEZZNS1_14partition_implILS5_6ELb0ES3_mN6thrust23THRUST_200600_302600_NS6detail15normal_iteratorINSA_10device_ptrIsEEEEPS6_SG_NS0_5tupleIJNSA_16discard_iteratorINSA_11use_defaultEEES6_EEENSH_IJSG_SG_EEES6_PlJNSB_9not_fun_tINSB_14equal_to_valueIsEEEEEEE10hipError_tPvRmT3_T4_T5_T6_T7_T9_mT8_P12ihipStream_tbDpT10_ENKUlT_T0_E_clISt17integral_constantIbLb1EES1A_IbLb0EEEEDaS16_S17_EUlS16_E_NS1_11comp_targetILNS1_3genE9ELNS1_11target_archE1100ELNS1_3gpuE3ELNS1_3repE0EEENS1_30default_config_static_selectorELNS0_4arch9wavefront6targetE0EEEvT1_.num_agpr, 0
	.set _ZN7rocprim17ROCPRIM_400000_NS6detail17trampoline_kernelINS0_14default_configENS1_25partition_config_selectorILNS1_17partition_subalgoE6EsNS0_10empty_typeEbEEZZNS1_14partition_implILS5_6ELb0ES3_mN6thrust23THRUST_200600_302600_NS6detail15normal_iteratorINSA_10device_ptrIsEEEEPS6_SG_NS0_5tupleIJNSA_16discard_iteratorINSA_11use_defaultEEES6_EEENSH_IJSG_SG_EEES6_PlJNSB_9not_fun_tINSB_14equal_to_valueIsEEEEEEE10hipError_tPvRmT3_T4_T5_T6_T7_T9_mT8_P12ihipStream_tbDpT10_ENKUlT_T0_E_clISt17integral_constantIbLb1EES1A_IbLb0EEEEDaS16_S17_EUlS16_E_NS1_11comp_targetILNS1_3genE9ELNS1_11target_archE1100ELNS1_3gpuE3ELNS1_3repE0EEENS1_30default_config_static_selectorELNS0_4arch9wavefront6targetE0EEEvT1_.numbered_sgpr, 0
	.set _ZN7rocprim17ROCPRIM_400000_NS6detail17trampoline_kernelINS0_14default_configENS1_25partition_config_selectorILNS1_17partition_subalgoE6EsNS0_10empty_typeEbEEZZNS1_14partition_implILS5_6ELb0ES3_mN6thrust23THRUST_200600_302600_NS6detail15normal_iteratorINSA_10device_ptrIsEEEEPS6_SG_NS0_5tupleIJNSA_16discard_iteratorINSA_11use_defaultEEES6_EEENSH_IJSG_SG_EEES6_PlJNSB_9not_fun_tINSB_14equal_to_valueIsEEEEEEE10hipError_tPvRmT3_T4_T5_T6_T7_T9_mT8_P12ihipStream_tbDpT10_ENKUlT_T0_E_clISt17integral_constantIbLb1EES1A_IbLb0EEEEDaS16_S17_EUlS16_E_NS1_11comp_targetILNS1_3genE9ELNS1_11target_archE1100ELNS1_3gpuE3ELNS1_3repE0EEENS1_30default_config_static_selectorELNS0_4arch9wavefront6targetE0EEEvT1_.num_named_barrier, 0
	.set _ZN7rocprim17ROCPRIM_400000_NS6detail17trampoline_kernelINS0_14default_configENS1_25partition_config_selectorILNS1_17partition_subalgoE6EsNS0_10empty_typeEbEEZZNS1_14partition_implILS5_6ELb0ES3_mN6thrust23THRUST_200600_302600_NS6detail15normal_iteratorINSA_10device_ptrIsEEEEPS6_SG_NS0_5tupleIJNSA_16discard_iteratorINSA_11use_defaultEEES6_EEENSH_IJSG_SG_EEES6_PlJNSB_9not_fun_tINSB_14equal_to_valueIsEEEEEEE10hipError_tPvRmT3_T4_T5_T6_T7_T9_mT8_P12ihipStream_tbDpT10_ENKUlT_T0_E_clISt17integral_constantIbLb1EES1A_IbLb0EEEEDaS16_S17_EUlS16_E_NS1_11comp_targetILNS1_3genE9ELNS1_11target_archE1100ELNS1_3gpuE3ELNS1_3repE0EEENS1_30default_config_static_selectorELNS0_4arch9wavefront6targetE0EEEvT1_.private_seg_size, 0
	.set _ZN7rocprim17ROCPRIM_400000_NS6detail17trampoline_kernelINS0_14default_configENS1_25partition_config_selectorILNS1_17partition_subalgoE6EsNS0_10empty_typeEbEEZZNS1_14partition_implILS5_6ELb0ES3_mN6thrust23THRUST_200600_302600_NS6detail15normal_iteratorINSA_10device_ptrIsEEEEPS6_SG_NS0_5tupleIJNSA_16discard_iteratorINSA_11use_defaultEEES6_EEENSH_IJSG_SG_EEES6_PlJNSB_9not_fun_tINSB_14equal_to_valueIsEEEEEEE10hipError_tPvRmT3_T4_T5_T6_T7_T9_mT8_P12ihipStream_tbDpT10_ENKUlT_T0_E_clISt17integral_constantIbLb1EES1A_IbLb0EEEEDaS16_S17_EUlS16_E_NS1_11comp_targetILNS1_3genE9ELNS1_11target_archE1100ELNS1_3gpuE3ELNS1_3repE0EEENS1_30default_config_static_selectorELNS0_4arch9wavefront6targetE0EEEvT1_.uses_vcc, 0
	.set _ZN7rocprim17ROCPRIM_400000_NS6detail17trampoline_kernelINS0_14default_configENS1_25partition_config_selectorILNS1_17partition_subalgoE6EsNS0_10empty_typeEbEEZZNS1_14partition_implILS5_6ELb0ES3_mN6thrust23THRUST_200600_302600_NS6detail15normal_iteratorINSA_10device_ptrIsEEEEPS6_SG_NS0_5tupleIJNSA_16discard_iteratorINSA_11use_defaultEEES6_EEENSH_IJSG_SG_EEES6_PlJNSB_9not_fun_tINSB_14equal_to_valueIsEEEEEEE10hipError_tPvRmT3_T4_T5_T6_T7_T9_mT8_P12ihipStream_tbDpT10_ENKUlT_T0_E_clISt17integral_constantIbLb1EES1A_IbLb0EEEEDaS16_S17_EUlS16_E_NS1_11comp_targetILNS1_3genE9ELNS1_11target_archE1100ELNS1_3gpuE3ELNS1_3repE0EEENS1_30default_config_static_selectorELNS0_4arch9wavefront6targetE0EEEvT1_.uses_flat_scratch, 0
	.set _ZN7rocprim17ROCPRIM_400000_NS6detail17trampoline_kernelINS0_14default_configENS1_25partition_config_selectorILNS1_17partition_subalgoE6EsNS0_10empty_typeEbEEZZNS1_14partition_implILS5_6ELb0ES3_mN6thrust23THRUST_200600_302600_NS6detail15normal_iteratorINSA_10device_ptrIsEEEEPS6_SG_NS0_5tupleIJNSA_16discard_iteratorINSA_11use_defaultEEES6_EEENSH_IJSG_SG_EEES6_PlJNSB_9not_fun_tINSB_14equal_to_valueIsEEEEEEE10hipError_tPvRmT3_T4_T5_T6_T7_T9_mT8_P12ihipStream_tbDpT10_ENKUlT_T0_E_clISt17integral_constantIbLb1EES1A_IbLb0EEEEDaS16_S17_EUlS16_E_NS1_11comp_targetILNS1_3genE9ELNS1_11target_archE1100ELNS1_3gpuE3ELNS1_3repE0EEENS1_30default_config_static_selectorELNS0_4arch9wavefront6targetE0EEEvT1_.has_dyn_sized_stack, 0
	.set _ZN7rocprim17ROCPRIM_400000_NS6detail17trampoline_kernelINS0_14default_configENS1_25partition_config_selectorILNS1_17partition_subalgoE6EsNS0_10empty_typeEbEEZZNS1_14partition_implILS5_6ELb0ES3_mN6thrust23THRUST_200600_302600_NS6detail15normal_iteratorINSA_10device_ptrIsEEEEPS6_SG_NS0_5tupleIJNSA_16discard_iteratorINSA_11use_defaultEEES6_EEENSH_IJSG_SG_EEES6_PlJNSB_9not_fun_tINSB_14equal_to_valueIsEEEEEEE10hipError_tPvRmT3_T4_T5_T6_T7_T9_mT8_P12ihipStream_tbDpT10_ENKUlT_T0_E_clISt17integral_constantIbLb1EES1A_IbLb0EEEEDaS16_S17_EUlS16_E_NS1_11comp_targetILNS1_3genE9ELNS1_11target_archE1100ELNS1_3gpuE3ELNS1_3repE0EEENS1_30default_config_static_selectorELNS0_4arch9wavefront6targetE0EEEvT1_.has_recursion, 0
	.set _ZN7rocprim17ROCPRIM_400000_NS6detail17trampoline_kernelINS0_14default_configENS1_25partition_config_selectorILNS1_17partition_subalgoE6EsNS0_10empty_typeEbEEZZNS1_14partition_implILS5_6ELb0ES3_mN6thrust23THRUST_200600_302600_NS6detail15normal_iteratorINSA_10device_ptrIsEEEEPS6_SG_NS0_5tupleIJNSA_16discard_iteratorINSA_11use_defaultEEES6_EEENSH_IJSG_SG_EEES6_PlJNSB_9not_fun_tINSB_14equal_to_valueIsEEEEEEE10hipError_tPvRmT3_T4_T5_T6_T7_T9_mT8_P12ihipStream_tbDpT10_ENKUlT_T0_E_clISt17integral_constantIbLb1EES1A_IbLb0EEEEDaS16_S17_EUlS16_E_NS1_11comp_targetILNS1_3genE9ELNS1_11target_archE1100ELNS1_3gpuE3ELNS1_3repE0EEENS1_30default_config_static_selectorELNS0_4arch9wavefront6targetE0EEEvT1_.has_indirect_call, 0
	.section	.AMDGPU.csdata,"",@progbits
; Kernel info:
; codeLenInByte = 0
; TotalNumSgprs: 0
; NumVgprs: 0
; ScratchSize: 0
; MemoryBound: 0
; FloatMode: 240
; IeeeMode: 1
; LDSByteSize: 0 bytes/workgroup (compile time only)
; SGPRBlocks: 0
; VGPRBlocks: 0
; NumSGPRsForWavesPerEU: 1
; NumVGPRsForWavesPerEU: 1
; Occupancy: 16
; WaveLimiterHint : 0
; COMPUTE_PGM_RSRC2:SCRATCH_EN: 0
; COMPUTE_PGM_RSRC2:USER_SGPR: 2
; COMPUTE_PGM_RSRC2:TRAP_HANDLER: 0
; COMPUTE_PGM_RSRC2:TGID_X_EN: 1
; COMPUTE_PGM_RSRC2:TGID_Y_EN: 0
; COMPUTE_PGM_RSRC2:TGID_Z_EN: 0
; COMPUTE_PGM_RSRC2:TIDIG_COMP_CNT: 0
	.section	.text._ZN7rocprim17ROCPRIM_400000_NS6detail17trampoline_kernelINS0_14default_configENS1_25partition_config_selectorILNS1_17partition_subalgoE6EsNS0_10empty_typeEbEEZZNS1_14partition_implILS5_6ELb0ES3_mN6thrust23THRUST_200600_302600_NS6detail15normal_iteratorINSA_10device_ptrIsEEEEPS6_SG_NS0_5tupleIJNSA_16discard_iteratorINSA_11use_defaultEEES6_EEENSH_IJSG_SG_EEES6_PlJNSB_9not_fun_tINSB_14equal_to_valueIsEEEEEEE10hipError_tPvRmT3_T4_T5_T6_T7_T9_mT8_P12ihipStream_tbDpT10_ENKUlT_T0_E_clISt17integral_constantIbLb1EES1A_IbLb0EEEEDaS16_S17_EUlS16_E_NS1_11comp_targetILNS1_3genE8ELNS1_11target_archE1030ELNS1_3gpuE2ELNS1_3repE0EEENS1_30default_config_static_selectorELNS0_4arch9wavefront6targetE0EEEvT1_,"axG",@progbits,_ZN7rocprim17ROCPRIM_400000_NS6detail17trampoline_kernelINS0_14default_configENS1_25partition_config_selectorILNS1_17partition_subalgoE6EsNS0_10empty_typeEbEEZZNS1_14partition_implILS5_6ELb0ES3_mN6thrust23THRUST_200600_302600_NS6detail15normal_iteratorINSA_10device_ptrIsEEEEPS6_SG_NS0_5tupleIJNSA_16discard_iteratorINSA_11use_defaultEEES6_EEENSH_IJSG_SG_EEES6_PlJNSB_9not_fun_tINSB_14equal_to_valueIsEEEEEEE10hipError_tPvRmT3_T4_T5_T6_T7_T9_mT8_P12ihipStream_tbDpT10_ENKUlT_T0_E_clISt17integral_constantIbLb1EES1A_IbLb0EEEEDaS16_S17_EUlS16_E_NS1_11comp_targetILNS1_3genE8ELNS1_11target_archE1030ELNS1_3gpuE2ELNS1_3repE0EEENS1_30default_config_static_selectorELNS0_4arch9wavefront6targetE0EEEvT1_,comdat
	.protected	_ZN7rocprim17ROCPRIM_400000_NS6detail17trampoline_kernelINS0_14default_configENS1_25partition_config_selectorILNS1_17partition_subalgoE6EsNS0_10empty_typeEbEEZZNS1_14partition_implILS5_6ELb0ES3_mN6thrust23THRUST_200600_302600_NS6detail15normal_iteratorINSA_10device_ptrIsEEEEPS6_SG_NS0_5tupleIJNSA_16discard_iteratorINSA_11use_defaultEEES6_EEENSH_IJSG_SG_EEES6_PlJNSB_9not_fun_tINSB_14equal_to_valueIsEEEEEEE10hipError_tPvRmT3_T4_T5_T6_T7_T9_mT8_P12ihipStream_tbDpT10_ENKUlT_T0_E_clISt17integral_constantIbLb1EES1A_IbLb0EEEEDaS16_S17_EUlS16_E_NS1_11comp_targetILNS1_3genE8ELNS1_11target_archE1030ELNS1_3gpuE2ELNS1_3repE0EEENS1_30default_config_static_selectorELNS0_4arch9wavefront6targetE0EEEvT1_ ; -- Begin function _ZN7rocprim17ROCPRIM_400000_NS6detail17trampoline_kernelINS0_14default_configENS1_25partition_config_selectorILNS1_17partition_subalgoE6EsNS0_10empty_typeEbEEZZNS1_14partition_implILS5_6ELb0ES3_mN6thrust23THRUST_200600_302600_NS6detail15normal_iteratorINSA_10device_ptrIsEEEEPS6_SG_NS0_5tupleIJNSA_16discard_iteratorINSA_11use_defaultEEES6_EEENSH_IJSG_SG_EEES6_PlJNSB_9not_fun_tINSB_14equal_to_valueIsEEEEEEE10hipError_tPvRmT3_T4_T5_T6_T7_T9_mT8_P12ihipStream_tbDpT10_ENKUlT_T0_E_clISt17integral_constantIbLb1EES1A_IbLb0EEEEDaS16_S17_EUlS16_E_NS1_11comp_targetILNS1_3genE8ELNS1_11target_archE1030ELNS1_3gpuE2ELNS1_3repE0EEENS1_30default_config_static_selectorELNS0_4arch9wavefront6targetE0EEEvT1_
	.globl	_ZN7rocprim17ROCPRIM_400000_NS6detail17trampoline_kernelINS0_14default_configENS1_25partition_config_selectorILNS1_17partition_subalgoE6EsNS0_10empty_typeEbEEZZNS1_14partition_implILS5_6ELb0ES3_mN6thrust23THRUST_200600_302600_NS6detail15normal_iteratorINSA_10device_ptrIsEEEEPS6_SG_NS0_5tupleIJNSA_16discard_iteratorINSA_11use_defaultEEES6_EEENSH_IJSG_SG_EEES6_PlJNSB_9not_fun_tINSB_14equal_to_valueIsEEEEEEE10hipError_tPvRmT3_T4_T5_T6_T7_T9_mT8_P12ihipStream_tbDpT10_ENKUlT_T0_E_clISt17integral_constantIbLb1EES1A_IbLb0EEEEDaS16_S17_EUlS16_E_NS1_11comp_targetILNS1_3genE8ELNS1_11target_archE1030ELNS1_3gpuE2ELNS1_3repE0EEENS1_30default_config_static_selectorELNS0_4arch9wavefront6targetE0EEEvT1_
	.p2align	8
	.type	_ZN7rocprim17ROCPRIM_400000_NS6detail17trampoline_kernelINS0_14default_configENS1_25partition_config_selectorILNS1_17partition_subalgoE6EsNS0_10empty_typeEbEEZZNS1_14partition_implILS5_6ELb0ES3_mN6thrust23THRUST_200600_302600_NS6detail15normal_iteratorINSA_10device_ptrIsEEEEPS6_SG_NS0_5tupleIJNSA_16discard_iteratorINSA_11use_defaultEEES6_EEENSH_IJSG_SG_EEES6_PlJNSB_9not_fun_tINSB_14equal_to_valueIsEEEEEEE10hipError_tPvRmT3_T4_T5_T6_T7_T9_mT8_P12ihipStream_tbDpT10_ENKUlT_T0_E_clISt17integral_constantIbLb1EES1A_IbLb0EEEEDaS16_S17_EUlS16_E_NS1_11comp_targetILNS1_3genE8ELNS1_11target_archE1030ELNS1_3gpuE2ELNS1_3repE0EEENS1_30default_config_static_selectorELNS0_4arch9wavefront6targetE0EEEvT1_,@function
_ZN7rocprim17ROCPRIM_400000_NS6detail17trampoline_kernelINS0_14default_configENS1_25partition_config_selectorILNS1_17partition_subalgoE6EsNS0_10empty_typeEbEEZZNS1_14partition_implILS5_6ELb0ES3_mN6thrust23THRUST_200600_302600_NS6detail15normal_iteratorINSA_10device_ptrIsEEEEPS6_SG_NS0_5tupleIJNSA_16discard_iteratorINSA_11use_defaultEEES6_EEENSH_IJSG_SG_EEES6_PlJNSB_9not_fun_tINSB_14equal_to_valueIsEEEEEEE10hipError_tPvRmT3_T4_T5_T6_T7_T9_mT8_P12ihipStream_tbDpT10_ENKUlT_T0_E_clISt17integral_constantIbLb1EES1A_IbLb0EEEEDaS16_S17_EUlS16_E_NS1_11comp_targetILNS1_3genE8ELNS1_11target_archE1030ELNS1_3gpuE2ELNS1_3repE0EEENS1_30default_config_static_selectorELNS0_4arch9wavefront6targetE0EEEvT1_: ; @_ZN7rocprim17ROCPRIM_400000_NS6detail17trampoline_kernelINS0_14default_configENS1_25partition_config_selectorILNS1_17partition_subalgoE6EsNS0_10empty_typeEbEEZZNS1_14partition_implILS5_6ELb0ES3_mN6thrust23THRUST_200600_302600_NS6detail15normal_iteratorINSA_10device_ptrIsEEEEPS6_SG_NS0_5tupleIJNSA_16discard_iteratorINSA_11use_defaultEEES6_EEENSH_IJSG_SG_EEES6_PlJNSB_9not_fun_tINSB_14equal_to_valueIsEEEEEEE10hipError_tPvRmT3_T4_T5_T6_T7_T9_mT8_P12ihipStream_tbDpT10_ENKUlT_T0_E_clISt17integral_constantIbLb1EES1A_IbLb0EEEEDaS16_S17_EUlS16_E_NS1_11comp_targetILNS1_3genE8ELNS1_11target_archE1030ELNS1_3gpuE2ELNS1_3repE0EEENS1_30default_config_static_selectorELNS0_4arch9wavefront6targetE0EEEvT1_
; %bb.0:
	.section	.rodata,"a",@progbits
	.p2align	6, 0x0
	.amdhsa_kernel _ZN7rocprim17ROCPRIM_400000_NS6detail17trampoline_kernelINS0_14default_configENS1_25partition_config_selectorILNS1_17partition_subalgoE6EsNS0_10empty_typeEbEEZZNS1_14partition_implILS5_6ELb0ES3_mN6thrust23THRUST_200600_302600_NS6detail15normal_iteratorINSA_10device_ptrIsEEEEPS6_SG_NS0_5tupleIJNSA_16discard_iteratorINSA_11use_defaultEEES6_EEENSH_IJSG_SG_EEES6_PlJNSB_9not_fun_tINSB_14equal_to_valueIsEEEEEEE10hipError_tPvRmT3_T4_T5_T6_T7_T9_mT8_P12ihipStream_tbDpT10_ENKUlT_T0_E_clISt17integral_constantIbLb1EES1A_IbLb0EEEEDaS16_S17_EUlS16_E_NS1_11comp_targetILNS1_3genE8ELNS1_11target_archE1030ELNS1_3gpuE2ELNS1_3repE0EEENS1_30default_config_static_selectorELNS0_4arch9wavefront6targetE0EEEvT1_
		.amdhsa_group_segment_fixed_size 0
		.amdhsa_private_segment_fixed_size 0
		.amdhsa_kernarg_size 120
		.amdhsa_user_sgpr_count 2
		.amdhsa_user_sgpr_dispatch_ptr 0
		.amdhsa_user_sgpr_queue_ptr 0
		.amdhsa_user_sgpr_kernarg_segment_ptr 1
		.amdhsa_user_sgpr_dispatch_id 0
		.amdhsa_user_sgpr_private_segment_size 0
		.amdhsa_wavefront_size32 1
		.amdhsa_uses_dynamic_stack 0
		.amdhsa_enable_private_segment 0
		.amdhsa_system_sgpr_workgroup_id_x 1
		.amdhsa_system_sgpr_workgroup_id_y 0
		.amdhsa_system_sgpr_workgroup_id_z 0
		.amdhsa_system_sgpr_workgroup_info 0
		.amdhsa_system_vgpr_workitem_id 0
		.amdhsa_next_free_vgpr 1
		.amdhsa_next_free_sgpr 1
		.amdhsa_reserve_vcc 0
		.amdhsa_float_round_mode_32 0
		.amdhsa_float_round_mode_16_64 0
		.amdhsa_float_denorm_mode_32 3
		.amdhsa_float_denorm_mode_16_64 3
		.amdhsa_fp16_overflow 0
		.amdhsa_workgroup_processor_mode 1
		.amdhsa_memory_ordered 1
		.amdhsa_forward_progress 1
		.amdhsa_inst_pref_size 0
		.amdhsa_round_robin_scheduling 0
		.amdhsa_exception_fp_ieee_invalid_op 0
		.amdhsa_exception_fp_denorm_src 0
		.amdhsa_exception_fp_ieee_div_zero 0
		.amdhsa_exception_fp_ieee_overflow 0
		.amdhsa_exception_fp_ieee_underflow 0
		.amdhsa_exception_fp_ieee_inexact 0
		.amdhsa_exception_int_div_zero 0
	.end_amdhsa_kernel
	.section	.text._ZN7rocprim17ROCPRIM_400000_NS6detail17trampoline_kernelINS0_14default_configENS1_25partition_config_selectorILNS1_17partition_subalgoE6EsNS0_10empty_typeEbEEZZNS1_14partition_implILS5_6ELb0ES3_mN6thrust23THRUST_200600_302600_NS6detail15normal_iteratorINSA_10device_ptrIsEEEEPS6_SG_NS0_5tupleIJNSA_16discard_iteratorINSA_11use_defaultEEES6_EEENSH_IJSG_SG_EEES6_PlJNSB_9not_fun_tINSB_14equal_to_valueIsEEEEEEE10hipError_tPvRmT3_T4_T5_T6_T7_T9_mT8_P12ihipStream_tbDpT10_ENKUlT_T0_E_clISt17integral_constantIbLb1EES1A_IbLb0EEEEDaS16_S17_EUlS16_E_NS1_11comp_targetILNS1_3genE8ELNS1_11target_archE1030ELNS1_3gpuE2ELNS1_3repE0EEENS1_30default_config_static_selectorELNS0_4arch9wavefront6targetE0EEEvT1_,"axG",@progbits,_ZN7rocprim17ROCPRIM_400000_NS6detail17trampoline_kernelINS0_14default_configENS1_25partition_config_selectorILNS1_17partition_subalgoE6EsNS0_10empty_typeEbEEZZNS1_14partition_implILS5_6ELb0ES3_mN6thrust23THRUST_200600_302600_NS6detail15normal_iteratorINSA_10device_ptrIsEEEEPS6_SG_NS0_5tupleIJNSA_16discard_iteratorINSA_11use_defaultEEES6_EEENSH_IJSG_SG_EEES6_PlJNSB_9not_fun_tINSB_14equal_to_valueIsEEEEEEE10hipError_tPvRmT3_T4_T5_T6_T7_T9_mT8_P12ihipStream_tbDpT10_ENKUlT_T0_E_clISt17integral_constantIbLb1EES1A_IbLb0EEEEDaS16_S17_EUlS16_E_NS1_11comp_targetILNS1_3genE8ELNS1_11target_archE1030ELNS1_3gpuE2ELNS1_3repE0EEENS1_30default_config_static_selectorELNS0_4arch9wavefront6targetE0EEEvT1_,comdat
.Lfunc_end1812:
	.size	_ZN7rocprim17ROCPRIM_400000_NS6detail17trampoline_kernelINS0_14default_configENS1_25partition_config_selectorILNS1_17partition_subalgoE6EsNS0_10empty_typeEbEEZZNS1_14partition_implILS5_6ELb0ES3_mN6thrust23THRUST_200600_302600_NS6detail15normal_iteratorINSA_10device_ptrIsEEEEPS6_SG_NS0_5tupleIJNSA_16discard_iteratorINSA_11use_defaultEEES6_EEENSH_IJSG_SG_EEES6_PlJNSB_9not_fun_tINSB_14equal_to_valueIsEEEEEEE10hipError_tPvRmT3_T4_T5_T6_T7_T9_mT8_P12ihipStream_tbDpT10_ENKUlT_T0_E_clISt17integral_constantIbLb1EES1A_IbLb0EEEEDaS16_S17_EUlS16_E_NS1_11comp_targetILNS1_3genE8ELNS1_11target_archE1030ELNS1_3gpuE2ELNS1_3repE0EEENS1_30default_config_static_selectorELNS0_4arch9wavefront6targetE0EEEvT1_, .Lfunc_end1812-_ZN7rocprim17ROCPRIM_400000_NS6detail17trampoline_kernelINS0_14default_configENS1_25partition_config_selectorILNS1_17partition_subalgoE6EsNS0_10empty_typeEbEEZZNS1_14partition_implILS5_6ELb0ES3_mN6thrust23THRUST_200600_302600_NS6detail15normal_iteratorINSA_10device_ptrIsEEEEPS6_SG_NS0_5tupleIJNSA_16discard_iteratorINSA_11use_defaultEEES6_EEENSH_IJSG_SG_EEES6_PlJNSB_9not_fun_tINSB_14equal_to_valueIsEEEEEEE10hipError_tPvRmT3_T4_T5_T6_T7_T9_mT8_P12ihipStream_tbDpT10_ENKUlT_T0_E_clISt17integral_constantIbLb1EES1A_IbLb0EEEEDaS16_S17_EUlS16_E_NS1_11comp_targetILNS1_3genE8ELNS1_11target_archE1030ELNS1_3gpuE2ELNS1_3repE0EEENS1_30default_config_static_selectorELNS0_4arch9wavefront6targetE0EEEvT1_
                                        ; -- End function
	.set _ZN7rocprim17ROCPRIM_400000_NS6detail17trampoline_kernelINS0_14default_configENS1_25partition_config_selectorILNS1_17partition_subalgoE6EsNS0_10empty_typeEbEEZZNS1_14partition_implILS5_6ELb0ES3_mN6thrust23THRUST_200600_302600_NS6detail15normal_iteratorINSA_10device_ptrIsEEEEPS6_SG_NS0_5tupleIJNSA_16discard_iteratorINSA_11use_defaultEEES6_EEENSH_IJSG_SG_EEES6_PlJNSB_9not_fun_tINSB_14equal_to_valueIsEEEEEEE10hipError_tPvRmT3_T4_T5_T6_T7_T9_mT8_P12ihipStream_tbDpT10_ENKUlT_T0_E_clISt17integral_constantIbLb1EES1A_IbLb0EEEEDaS16_S17_EUlS16_E_NS1_11comp_targetILNS1_3genE8ELNS1_11target_archE1030ELNS1_3gpuE2ELNS1_3repE0EEENS1_30default_config_static_selectorELNS0_4arch9wavefront6targetE0EEEvT1_.num_vgpr, 0
	.set _ZN7rocprim17ROCPRIM_400000_NS6detail17trampoline_kernelINS0_14default_configENS1_25partition_config_selectorILNS1_17partition_subalgoE6EsNS0_10empty_typeEbEEZZNS1_14partition_implILS5_6ELb0ES3_mN6thrust23THRUST_200600_302600_NS6detail15normal_iteratorINSA_10device_ptrIsEEEEPS6_SG_NS0_5tupleIJNSA_16discard_iteratorINSA_11use_defaultEEES6_EEENSH_IJSG_SG_EEES6_PlJNSB_9not_fun_tINSB_14equal_to_valueIsEEEEEEE10hipError_tPvRmT3_T4_T5_T6_T7_T9_mT8_P12ihipStream_tbDpT10_ENKUlT_T0_E_clISt17integral_constantIbLb1EES1A_IbLb0EEEEDaS16_S17_EUlS16_E_NS1_11comp_targetILNS1_3genE8ELNS1_11target_archE1030ELNS1_3gpuE2ELNS1_3repE0EEENS1_30default_config_static_selectorELNS0_4arch9wavefront6targetE0EEEvT1_.num_agpr, 0
	.set _ZN7rocprim17ROCPRIM_400000_NS6detail17trampoline_kernelINS0_14default_configENS1_25partition_config_selectorILNS1_17partition_subalgoE6EsNS0_10empty_typeEbEEZZNS1_14partition_implILS5_6ELb0ES3_mN6thrust23THRUST_200600_302600_NS6detail15normal_iteratorINSA_10device_ptrIsEEEEPS6_SG_NS0_5tupleIJNSA_16discard_iteratorINSA_11use_defaultEEES6_EEENSH_IJSG_SG_EEES6_PlJNSB_9not_fun_tINSB_14equal_to_valueIsEEEEEEE10hipError_tPvRmT3_T4_T5_T6_T7_T9_mT8_P12ihipStream_tbDpT10_ENKUlT_T0_E_clISt17integral_constantIbLb1EES1A_IbLb0EEEEDaS16_S17_EUlS16_E_NS1_11comp_targetILNS1_3genE8ELNS1_11target_archE1030ELNS1_3gpuE2ELNS1_3repE0EEENS1_30default_config_static_selectorELNS0_4arch9wavefront6targetE0EEEvT1_.numbered_sgpr, 0
	.set _ZN7rocprim17ROCPRIM_400000_NS6detail17trampoline_kernelINS0_14default_configENS1_25partition_config_selectorILNS1_17partition_subalgoE6EsNS0_10empty_typeEbEEZZNS1_14partition_implILS5_6ELb0ES3_mN6thrust23THRUST_200600_302600_NS6detail15normal_iteratorINSA_10device_ptrIsEEEEPS6_SG_NS0_5tupleIJNSA_16discard_iteratorINSA_11use_defaultEEES6_EEENSH_IJSG_SG_EEES6_PlJNSB_9not_fun_tINSB_14equal_to_valueIsEEEEEEE10hipError_tPvRmT3_T4_T5_T6_T7_T9_mT8_P12ihipStream_tbDpT10_ENKUlT_T0_E_clISt17integral_constantIbLb1EES1A_IbLb0EEEEDaS16_S17_EUlS16_E_NS1_11comp_targetILNS1_3genE8ELNS1_11target_archE1030ELNS1_3gpuE2ELNS1_3repE0EEENS1_30default_config_static_selectorELNS0_4arch9wavefront6targetE0EEEvT1_.num_named_barrier, 0
	.set _ZN7rocprim17ROCPRIM_400000_NS6detail17trampoline_kernelINS0_14default_configENS1_25partition_config_selectorILNS1_17partition_subalgoE6EsNS0_10empty_typeEbEEZZNS1_14partition_implILS5_6ELb0ES3_mN6thrust23THRUST_200600_302600_NS6detail15normal_iteratorINSA_10device_ptrIsEEEEPS6_SG_NS0_5tupleIJNSA_16discard_iteratorINSA_11use_defaultEEES6_EEENSH_IJSG_SG_EEES6_PlJNSB_9not_fun_tINSB_14equal_to_valueIsEEEEEEE10hipError_tPvRmT3_T4_T5_T6_T7_T9_mT8_P12ihipStream_tbDpT10_ENKUlT_T0_E_clISt17integral_constantIbLb1EES1A_IbLb0EEEEDaS16_S17_EUlS16_E_NS1_11comp_targetILNS1_3genE8ELNS1_11target_archE1030ELNS1_3gpuE2ELNS1_3repE0EEENS1_30default_config_static_selectorELNS0_4arch9wavefront6targetE0EEEvT1_.private_seg_size, 0
	.set _ZN7rocprim17ROCPRIM_400000_NS6detail17trampoline_kernelINS0_14default_configENS1_25partition_config_selectorILNS1_17partition_subalgoE6EsNS0_10empty_typeEbEEZZNS1_14partition_implILS5_6ELb0ES3_mN6thrust23THRUST_200600_302600_NS6detail15normal_iteratorINSA_10device_ptrIsEEEEPS6_SG_NS0_5tupleIJNSA_16discard_iteratorINSA_11use_defaultEEES6_EEENSH_IJSG_SG_EEES6_PlJNSB_9not_fun_tINSB_14equal_to_valueIsEEEEEEE10hipError_tPvRmT3_T4_T5_T6_T7_T9_mT8_P12ihipStream_tbDpT10_ENKUlT_T0_E_clISt17integral_constantIbLb1EES1A_IbLb0EEEEDaS16_S17_EUlS16_E_NS1_11comp_targetILNS1_3genE8ELNS1_11target_archE1030ELNS1_3gpuE2ELNS1_3repE0EEENS1_30default_config_static_selectorELNS0_4arch9wavefront6targetE0EEEvT1_.uses_vcc, 0
	.set _ZN7rocprim17ROCPRIM_400000_NS6detail17trampoline_kernelINS0_14default_configENS1_25partition_config_selectorILNS1_17partition_subalgoE6EsNS0_10empty_typeEbEEZZNS1_14partition_implILS5_6ELb0ES3_mN6thrust23THRUST_200600_302600_NS6detail15normal_iteratorINSA_10device_ptrIsEEEEPS6_SG_NS0_5tupleIJNSA_16discard_iteratorINSA_11use_defaultEEES6_EEENSH_IJSG_SG_EEES6_PlJNSB_9not_fun_tINSB_14equal_to_valueIsEEEEEEE10hipError_tPvRmT3_T4_T5_T6_T7_T9_mT8_P12ihipStream_tbDpT10_ENKUlT_T0_E_clISt17integral_constantIbLb1EES1A_IbLb0EEEEDaS16_S17_EUlS16_E_NS1_11comp_targetILNS1_3genE8ELNS1_11target_archE1030ELNS1_3gpuE2ELNS1_3repE0EEENS1_30default_config_static_selectorELNS0_4arch9wavefront6targetE0EEEvT1_.uses_flat_scratch, 0
	.set _ZN7rocprim17ROCPRIM_400000_NS6detail17trampoline_kernelINS0_14default_configENS1_25partition_config_selectorILNS1_17partition_subalgoE6EsNS0_10empty_typeEbEEZZNS1_14partition_implILS5_6ELb0ES3_mN6thrust23THRUST_200600_302600_NS6detail15normal_iteratorINSA_10device_ptrIsEEEEPS6_SG_NS0_5tupleIJNSA_16discard_iteratorINSA_11use_defaultEEES6_EEENSH_IJSG_SG_EEES6_PlJNSB_9not_fun_tINSB_14equal_to_valueIsEEEEEEE10hipError_tPvRmT3_T4_T5_T6_T7_T9_mT8_P12ihipStream_tbDpT10_ENKUlT_T0_E_clISt17integral_constantIbLb1EES1A_IbLb0EEEEDaS16_S17_EUlS16_E_NS1_11comp_targetILNS1_3genE8ELNS1_11target_archE1030ELNS1_3gpuE2ELNS1_3repE0EEENS1_30default_config_static_selectorELNS0_4arch9wavefront6targetE0EEEvT1_.has_dyn_sized_stack, 0
	.set _ZN7rocprim17ROCPRIM_400000_NS6detail17trampoline_kernelINS0_14default_configENS1_25partition_config_selectorILNS1_17partition_subalgoE6EsNS0_10empty_typeEbEEZZNS1_14partition_implILS5_6ELb0ES3_mN6thrust23THRUST_200600_302600_NS6detail15normal_iteratorINSA_10device_ptrIsEEEEPS6_SG_NS0_5tupleIJNSA_16discard_iteratorINSA_11use_defaultEEES6_EEENSH_IJSG_SG_EEES6_PlJNSB_9not_fun_tINSB_14equal_to_valueIsEEEEEEE10hipError_tPvRmT3_T4_T5_T6_T7_T9_mT8_P12ihipStream_tbDpT10_ENKUlT_T0_E_clISt17integral_constantIbLb1EES1A_IbLb0EEEEDaS16_S17_EUlS16_E_NS1_11comp_targetILNS1_3genE8ELNS1_11target_archE1030ELNS1_3gpuE2ELNS1_3repE0EEENS1_30default_config_static_selectorELNS0_4arch9wavefront6targetE0EEEvT1_.has_recursion, 0
	.set _ZN7rocprim17ROCPRIM_400000_NS6detail17trampoline_kernelINS0_14default_configENS1_25partition_config_selectorILNS1_17partition_subalgoE6EsNS0_10empty_typeEbEEZZNS1_14partition_implILS5_6ELb0ES3_mN6thrust23THRUST_200600_302600_NS6detail15normal_iteratorINSA_10device_ptrIsEEEEPS6_SG_NS0_5tupleIJNSA_16discard_iteratorINSA_11use_defaultEEES6_EEENSH_IJSG_SG_EEES6_PlJNSB_9not_fun_tINSB_14equal_to_valueIsEEEEEEE10hipError_tPvRmT3_T4_T5_T6_T7_T9_mT8_P12ihipStream_tbDpT10_ENKUlT_T0_E_clISt17integral_constantIbLb1EES1A_IbLb0EEEEDaS16_S17_EUlS16_E_NS1_11comp_targetILNS1_3genE8ELNS1_11target_archE1030ELNS1_3gpuE2ELNS1_3repE0EEENS1_30default_config_static_selectorELNS0_4arch9wavefront6targetE0EEEvT1_.has_indirect_call, 0
	.section	.AMDGPU.csdata,"",@progbits
; Kernel info:
; codeLenInByte = 0
; TotalNumSgprs: 0
; NumVgprs: 0
; ScratchSize: 0
; MemoryBound: 0
; FloatMode: 240
; IeeeMode: 1
; LDSByteSize: 0 bytes/workgroup (compile time only)
; SGPRBlocks: 0
; VGPRBlocks: 0
; NumSGPRsForWavesPerEU: 1
; NumVGPRsForWavesPerEU: 1
; Occupancy: 16
; WaveLimiterHint : 0
; COMPUTE_PGM_RSRC2:SCRATCH_EN: 0
; COMPUTE_PGM_RSRC2:USER_SGPR: 2
; COMPUTE_PGM_RSRC2:TRAP_HANDLER: 0
; COMPUTE_PGM_RSRC2:TGID_X_EN: 1
; COMPUTE_PGM_RSRC2:TGID_Y_EN: 0
; COMPUTE_PGM_RSRC2:TGID_Z_EN: 0
; COMPUTE_PGM_RSRC2:TIDIG_COMP_CNT: 0
	.section	.text._ZN7rocprim17ROCPRIM_400000_NS6detail17trampoline_kernelINS0_14default_configENS1_25partition_config_selectorILNS1_17partition_subalgoE6EsNS0_10empty_typeEbEEZZNS1_14partition_implILS5_6ELb0ES3_mN6thrust23THRUST_200600_302600_NS6detail15normal_iteratorINSA_10device_ptrIsEEEEPS6_SG_NS0_5tupleIJNSA_16discard_iteratorINSA_11use_defaultEEES6_EEENSH_IJSG_SG_EEES6_PlJNSB_9not_fun_tINSB_14equal_to_valueIsEEEEEEE10hipError_tPvRmT3_T4_T5_T6_T7_T9_mT8_P12ihipStream_tbDpT10_ENKUlT_T0_E_clISt17integral_constantIbLb0EES1A_IbLb1EEEEDaS16_S17_EUlS16_E_NS1_11comp_targetILNS1_3genE0ELNS1_11target_archE4294967295ELNS1_3gpuE0ELNS1_3repE0EEENS1_30default_config_static_selectorELNS0_4arch9wavefront6targetE0EEEvT1_,"axG",@progbits,_ZN7rocprim17ROCPRIM_400000_NS6detail17trampoline_kernelINS0_14default_configENS1_25partition_config_selectorILNS1_17partition_subalgoE6EsNS0_10empty_typeEbEEZZNS1_14partition_implILS5_6ELb0ES3_mN6thrust23THRUST_200600_302600_NS6detail15normal_iteratorINSA_10device_ptrIsEEEEPS6_SG_NS0_5tupleIJNSA_16discard_iteratorINSA_11use_defaultEEES6_EEENSH_IJSG_SG_EEES6_PlJNSB_9not_fun_tINSB_14equal_to_valueIsEEEEEEE10hipError_tPvRmT3_T4_T5_T6_T7_T9_mT8_P12ihipStream_tbDpT10_ENKUlT_T0_E_clISt17integral_constantIbLb0EES1A_IbLb1EEEEDaS16_S17_EUlS16_E_NS1_11comp_targetILNS1_3genE0ELNS1_11target_archE4294967295ELNS1_3gpuE0ELNS1_3repE0EEENS1_30default_config_static_selectorELNS0_4arch9wavefront6targetE0EEEvT1_,comdat
	.protected	_ZN7rocprim17ROCPRIM_400000_NS6detail17trampoline_kernelINS0_14default_configENS1_25partition_config_selectorILNS1_17partition_subalgoE6EsNS0_10empty_typeEbEEZZNS1_14partition_implILS5_6ELb0ES3_mN6thrust23THRUST_200600_302600_NS6detail15normal_iteratorINSA_10device_ptrIsEEEEPS6_SG_NS0_5tupleIJNSA_16discard_iteratorINSA_11use_defaultEEES6_EEENSH_IJSG_SG_EEES6_PlJNSB_9not_fun_tINSB_14equal_to_valueIsEEEEEEE10hipError_tPvRmT3_T4_T5_T6_T7_T9_mT8_P12ihipStream_tbDpT10_ENKUlT_T0_E_clISt17integral_constantIbLb0EES1A_IbLb1EEEEDaS16_S17_EUlS16_E_NS1_11comp_targetILNS1_3genE0ELNS1_11target_archE4294967295ELNS1_3gpuE0ELNS1_3repE0EEENS1_30default_config_static_selectorELNS0_4arch9wavefront6targetE0EEEvT1_ ; -- Begin function _ZN7rocprim17ROCPRIM_400000_NS6detail17trampoline_kernelINS0_14default_configENS1_25partition_config_selectorILNS1_17partition_subalgoE6EsNS0_10empty_typeEbEEZZNS1_14partition_implILS5_6ELb0ES3_mN6thrust23THRUST_200600_302600_NS6detail15normal_iteratorINSA_10device_ptrIsEEEEPS6_SG_NS0_5tupleIJNSA_16discard_iteratorINSA_11use_defaultEEES6_EEENSH_IJSG_SG_EEES6_PlJNSB_9not_fun_tINSB_14equal_to_valueIsEEEEEEE10hipError_tPvRmT3_T4_T5_T6_T7_T9_mT8_P12ihipStream_tbDpT10_ENKUlT_T0_E_clISt17integral_constantIbLb0EES1A_IbLb1EEEEDaS16_S17_EUlS16_E_NS1_11comp_targetILNS1_3genE0ELNS1_11target_archE4294967295ELNS1_3gpuE0ELNS1_3repE0EEENS1_30default_config_static_selectorELNS0_4arch9wavefront6targetE0EEEvT1_
	.globl	_ZN7rocprim17ROCPRIM_400000_NS6detail17trampoline_kernelINS0_14default_configENS1_25partition_config_selectorILNS1_17partition_subalgoE6EsNS0_10empty_typeEbEEZZNS1_14partition_implILS5_6ELb0ES3_mN6thrust23THRUST_200600_302600_NS6detail15normal_iteratorINSA_10device_ptrIsEEEEPS6_SG_NS0_5tupleIJNSA_16discard_iteratorINSA_11use_defaultEEES6_EEENSH_IJSG_SG_EEES6_PlJNSB_9not_fun_tINSB_14equal_to_valueIsEEEEEEE10hipError_tPvRmT3_T4_T5_T6_T7_T9_mT8_P12ihipStream_tbDpT10_ENKUlT_T0_E_clISt17integral_constantIbLb0EES1A_IbLb1EEEEDaS16_S17_EUlS16_E_NS1_11comp_targetILNS1_3genE0ELNS1_11target_archE4294967295ELNS1_3gpuE0ELNS1_3repE0EEENS1_30default_config_static_selectorELNS0_4arch9wavefront6targetE0EEEvT1_
	.p2align	8
	.type	_ZN7rocprim17ROCPRIM_400000_NS6detail17trampoline_kernelINS0_14default_configENS1_25partition_config_selectorILNS1_17partition_subalgoE6EsNS0_10empty_typeEbEEZZNS1_14partition_implILS5_6ELb0ES3_mN6thrust23THRUST_200600_302600_NS6detail15normal_iteratorINSA_10device_ptrIsEEEEPS6_SG_NS0_5tupleIJNSA_16discard_iteratorINSA_11use_defaultEEES6_EEENSH_IJSG_SG_EEES6_PlJNSB_9not_fun_tINSB_14equal_to_valueIsEEEEEEE10hipError_tPvRmT3_T4_T5_T6_T7_T9_mT8_P12ihipStream_tbDpT10_ENKUlT_T0_E_clISt17integral_constantIbLb0EES1A_IbLb1EEEEDaS16_S17_EUlS16_E_NS1_11comp_targetILNS1_3genE0ELNS1_11target_archE4294967295ELNS1_3gpuE0ELNS1_3repE0EEENS1_30default_config_static_selectorELNS0_4arch9wavefront6targetE0EEEvT1_,@function
_ZN7rocprim17ROCPRIM_400000_NS6detail17trampoline_kernelINS0_14default_configENS1_25partition_config_selectorILNS1_17partition_subalgoE6EsNS0_10empty_typeEbEEZZNS1_14partition_implILS5_6ELb0ES3_mN6thrust23THRUST_200600_302600_NS6detail15normal_iteratorINSA_10device_ptrIsEEEEPS6_SG_NS0_5tupleIJNSA_16discard_iteratorINSA_11use_defaultEEES6_EEENSH_IJSG_SG_EEES6_PlJNSB_9not_fun_tINSB_14equal_to_valueIsEEEEEEE10hipError_tPvRmT3_T4_T5_T6_T7_T9_mT8_P12ihipStream_tbDpT10_ENKUlT_T0_E_clISt17integral_constantIbLb0EES1A_IbLb1EEEEDaS16_S17_EUlS16_E_NS1_11comp_targetILNS1_3genE0ELNS1_11target_archE4294967295ELNS1_3gpuE0ELNS1_3repE0EEENS1_30default_config_static_selectorELNS0_4arch9wavefront6targetE0EEEvT1_: ; @_ZN7rocprim17ROCPRIM_400000_NS6detail17trampoline_kernelINS0_14default_configENS1_25partition_config_selectorILNS1_17partition_subalgoE6EsNS0_10empty_typeEbEEZZNS1_14partition_implILS5_6ELb0ES3_mN6thrust23THRUST_200600_302600_NS6detail15normal_iteratorINSA_10device_ptrIsEEEEPS6_SG_NS0_5tupleIJNSA_16discard_iteratorINSA_11use_defaultEEES6_EEENSH_IJSG_SG_EEES6_PlJNSB_9not_fun_tINSB_14equal_to_valueIsEEEEEEE10hipError_tPvRmT3_T4_T5_T6_T7_T9_mT8_P12ihipStream_tbDpT10_ENKUlT_T0_E_clISt17integral_constantIbLb0EES1A_IbLb1EEEEDaS16_S17_EUlS16_E_NS1_11comp_targetILNS1_3genE0ELNS1_11target_archE4294967295ELNS1_3gpuE0ELNS1_3repE0EEENS1_30default_config_static_selectorELNS0_4arch9wavefront6targetE0EEEvT1_
; %bb.0:
	.section	.rodata,"a",@progbits
	.p2align	6, 0x0
	.amdhsa_kernel _ZN7rocprim17ROCPRIM_400000_NS6detail17trampoline_kernelINS0_14default_configENS1_25partition_config_selectorILNS1_17partition_subalgoE6EsNS0_10empty_typeEbEEZZNS1_14partition_implILS5_6ELb0ES3_mN6thrust23THRUST_200600_302600_NS6detail15normal_iteratorINSA_10device_ptrIsEEEEPS6_SG_NS0_5tupleIJNSA_16discard_iteratorINSA_11use_defaultEEES6_EEENSH_IJSG_SG_EEES6_PlJNSB_9not_fun_tINSB_14equal_to_valueIsEEEEEEE10hipError_tPvRmT3_T4_T5_T6_T7_T9_mT8_P12ihipStream_tbDpT10_ENKUlT_T0_E_clISt17integral_constantIbLb0EES1A_IbLb1EEEEDaS16_S17_EUlS16_E_NS1_11comp_targetILNS1_3genE0ELNS1_11target_archE4294967295ELNS1_3gpuE0ELNS1_3repE0EEENS1_30default_config_static_selectorELNS0_4arch9wavefront6targetE0EEEvT1_
		.amdhsa_group_segment_fixed_size 0
		.amdhsa_private_segment_fixed_size 0
		.amdhsa_kernarg_size 136
		.amdhsa_user_sgpr_count 2
		.amdhsa_user_sgpr_dispatch_ptr 0
		.amdhsa_user_sgpr_queue_ptr 0
		.amdhsa_user_sgpr_kernarg_segment_ptr 1
		.amdhsa_user_sgpr_dispatch_id 0
		.amdhsa_user_sgpr_private_segment_size 0
		.amdhsa_wavefront_size32 1
		.amdhsa_uses_dynamic_stack 0
		.amdhsa_enable_private_segment 0
		.amdhsa_system_sgpr_workgroup_id_x 1
		.amdhsa_system_sgpr_workgroup_id_y 0
		.amdhsa_system_sgpr_workgroup_id_z 0
		.amdhsa_system_sgpr_workgroup_info 0
		.amdhsa_system_vgpr_workitem_id 0
		.amdhsa_next_free_vgpr 1
		.amdhsa_next_free_sgpr 1
		.amdhsa_reserve_vcc 0
		.amdhsa_float_round_mode_32 0
		.amdhsa_float_round_mode_16_64 0
		.amdhsa_float_denorm_mode_32 3
		.amdhsa_float_denorm_mode_16_64 3
		.amdhsa_fp16_overflow 0
		.amdhsa_workgroup_processor_mode 1
		.amdhsa_memory_ordered 1
		.amdhsa_forward_progress 1
		.amdhsa_inst_pref_size 0
		.amdhsa_round_robin_scheduling 0
		.amdhsa_exception_fp_ieee_invalid_op 0
		.amdhsa_exception_fp_denorm_src 0
		.amdhsa_exception_fp_ieee_div_zero 0
		.amdhsa_exception_fp_ieee_overflow 0
		.amdhsa_exception_fp_ieee_underflow 0
		.amdhsa_exception_fp_ieee_inexact 0
		.amdhsa_exception_int_div_zero 0
	.end_amdhsa_kernel
	.section	.text._ZN7rocprim17ROCPRIM_400000_NS6detail17trampoline_kernelINS0_14default_configENS1_25partition_config_selectorILNS1_17partition_subalgoE6EsNS0_10empty_typeEbEEZZNS1_14partition_implILS5_6ELb0ES3_mN6thrust23THRUST_200600_302600_NS6detail15normal_iteratorINSA_10device_ptrIsEEEEPS6_SG_NS0_5tupleIJNSA_16discard_iteratorINSA_11use_defaultEEES6_EEENSH_IJSG_SG_EEES6_PlJNSB_9not_fun_tINSB_14equal_to_valueIsEEEEEEE10hipError_tPvRmT3_T4_T5_T6_T7_T9_mT8_P12ihipStream_tbDpT10_ENKUlT_T0_E_clISt17integral_constantIbLb0EES1A_IbLb1EEEEDaS16_S17_EUlS16_E_NS1_11comp_targetILNS1_3genE0ELNS1_11target_archE4294967295ELNS1_3gpuE0ELNS1_3repE0EEENS1_30default_config_static_selectorELNS0_4arch9wavefront6targetE0EEEvT1_,"axG",@progbits,_ZN7rocprim17ROCPRIM_400000_NS6detail17trampoline_kernelINS0_14default_configENS1_25partition_config_selectorILNS1_17partition_subalgoE6EsNS0_10empty_typeEbEEZZNS1_14partition_implILS5_6ELb0ES3_mN6thrust23THRUST_200600_302600_NS6detail15normal_iteratorINSA_10device_ptrIsEEEEPS6_SG_NS0_5tupleIJNSA_16discard_iteratorINSA_11use_defaultEEES6_EEENSH_IJSG_SG_EEES6_PlJNSB_9not_fun_tINSB_14equal_to_valueIsEEEEEEE10hipError_tPvRmT3_T4_T5_T6_T7_T9_mT8_P12ihipStream_tbDpT10_ENKUlT_T0_E_clISt17integral_constantIbLb0EES1A_IbLb1EEEEDaS16_S17_EUlS16_E_NS1_11comp_targetILNS1_3genE0ELNS1_11target_archE4294967295ELNS1_3gpuE0ELNS1_3repE0EEENS1_30default_config_static_selectorELNS0_4arch9wavefront6targetE0EEEvT1_,comdat
.Lfunc_end1813:
	.size	_ZN7rocprim17ROCPRIM_400000_NS6detail17trampoline_kernelINS0_14default_configENS1_25partition_config_selectorILNS1_17partition_subalgoE6EsNS0_10empty_typeEbEEZZNS1_14partition_implILS5_6ELb0ES3_mN6thrust23THRUST_200600_302600_NS6detail15normal_iteratorINSA_10device_ptrIsEEEEPS6_SG_NS0_5tupleIJNSA_16discard_iteratorINSA_11use_defaultEEES6_EEENSH_IJSG_SG_EEES6_PlJNSB_9not_fun_tINSB_14equal_to_valueIsEEEEEEE10hipError_tPvRmT3_T4_T5_T6_T7_T9_mT8_P12ihipStream_tbDpT10_ENKUlT_T0_E_clISt17integral_constantIbLb0EES1A_IbLb1EEEEDaS16_S17_EUlS16_E_NS1_11comp_targetILNS1_3genE0ELNS1_11target_archE4294967295ELNS1_3gpuE0ELNS1_3repE0EEENS1_30default_config_static_selectorELNS0_4arch9wavefront6targetE0EEEvT1_, .Lfunc_end1813-_ZN7rocprim17ROCPRIM_400000_NS6detail17trampoline_kernelINS0_14default_configENS1_25partition_config_selectorILNS1_17partition_subalgoE6EsNS0_10empty_typeEbEEZZNS1_14partition_implILS5_6ELb0ES3_mN6thrust23THRUST_200600_302600_NS6detail15normal_iteratorINSA_10device_ptrIsEEEEPS6_SG_NS0_5tupleIJNSA_16discard_iteratorINSA_11use_defaultEEES6_EEENSH_IJSG_SG_EEES6_PlJNSB_9not_fun_tINSB_14equal_to_valueIsEEEEEEE10hipError_tPvRmT3_T4_T5_T6_T7_T9_mT8_P12ihipStream_tbDpT10_ENKUlT_T0_E_clISt17integral_constantIbLb0EES1A_IbLb1EEEEDaS16_S17_EUlS16_E_NS1_11comp_targetILNS1_3genE0ELNS1_11target_archE4294967295ELNS1_3gpuE0ELNS1_3repE0EEENS1_30default_config_static_selectorELNS0_4arch9wavefront6targetE0EEEvT1_
                                        ; -- End function
	.set _ZN7rocprim17ROCPRIM_400000_NS6detail17trampoline_kernelINS0_14default_configENS1_25partition_config_selectorILNS1_17partition_subalgoE6EsNS0_10empty_typeEbEEZZNS1_14partition_implILS5_6ELb0ES3_mN6thrust23THRUST_200600_302600_NS6detail15normal_iteratorINSA_10device_ptrIsEEEEPS6_SG_NS0_5tupleIJNSA_16discard_iteratorINSA_11use_defaultEEES6_EEENSH_IJSG_SG_EEES6_PlJNSB_9not_fun_tINSB_14equal_to_valueIsEEEEEEE10hipError_tPvRmT3_T4_T5_T6_T7_T9_mT8_P12ihipStream_tbDpT10_ENKUlT_T0_E_clISt17integral_constantIbLb0EES1A_IbLb1EEEEDaS16_S17_EUlS16_E_NS1_11comp_targetILNS1_3genE0ELNS1_11target_archE4294967295ELNS1_3gpuE0ELNS1_3repE0EEENS1_30default_config_static_selectorELNS0_4arch9wavefront6targetE0EEEvT1_.num_vgpr, 0
	.set _ZN7rocprim17ROCPRIM_400000_NS6detail17trampoline_kernelINS0_14default_configENS1_25partition_config_selectorILNS1_17partition_subalgoE6EsNS0_10empty_typeEbEEZZNS1_14partition_implILS5_6ELb0ES3_mN6thrust23THRUST_200600_302600_NS6detail15normal_iteratorINSA_10device_ptrIsEEEEPS6_SG_NS0_5tupleIJNSA_16discard_iteratorINSA_11use_defaultEEES6_EEENSH_IJSG_SG_EEES6_PlJNSB_9not_fun_tINSB_14equal_to_valueIsEEEEEEE10hipError_tPvRmT3_T4_T5_T6_T7_T9_mT8_P12ihipStream_tbDpT10_ENKUlT_T0_E_clISt17integral_constantIbLb0EES1A_IbLb1EEEEDaS16_S17_EUlS16_E_NS1_11comp_targetILNS1_3genE0ELNS1_11target_archE4294967295ELNS1_3gpuE0ELNS1_3repE0EEENS1_30default_config_static_selectorELNS0_4arch9wavefront6targetE0EEEvT1_.num_agpr, 0
	.set _ZN7rocprim17ROCPRIM_400000_NS6detail17trampoline_kernelINS0_14default_configENS1_25partition_config_selectorILNS1_17partition_subalgoE6EsNS0_10empty_typeEbEEZZNS1_14partition_implILS5_6ELb0ES3_mN6thrust23THRUST_200600_302600_NS6detail15normal_iteratorINSA_10device_ptrIsEEEEPS6_SG_NS0_5tupleIJNSA_16discard_iteratorINSA_11use_defaultEEES6_EEENSH_IJSG_SG_EEES6_PlJNSB_9not_fun_tINSB_14equal_to_valueIsEEEEEEE10hipError_tPvRmT3_T4_T5_T6_T7_T9_mT8_P12ihipStream_tbDpT10_ENKUlT_T0_E_clISt17integral_constantIbLb0EES1A_IbLb1EEEEDaS16_S17_EUlS16_E_NS1_11comp_targetILNS1_3genE0ELNS1_11target_archE4294967295ELNS1_3gpuE0ELNS1_3repE0EEENS1_30default_config_static_selectorELNS0_4arch9wavefront6targetE0EEEvT1_.numbered_sgpr, 0
	.set _ZN7rocprim17ROCPRIM_400000_NS6detail17trampoline_kernelINS0_14default_configENS1_25partition_config_selectorILNS1_17partition_subalgoE6EsNS0_10empty_typeEbEEZZNS1_14partition_implILS5_6ELb0ES3_mN6thrust23THRUST_200600_302600_NS6detail15normal_iteratorINSA_10device_ptrIsEEEEPS6_SG_NS0_5tupleIJNSA_16discard_iteratorINSA_11use_defaultEEES6_EEENSH_IJSG_SG_EEES6_PlJNSB_9not_fun_tINSB_14equal_to_valueIsEEEEEEE10hipError_tPvRmT3_T4_T5_T6_T7_T9_mT8_P12ihipStream_tbDpT10_ENKUlT_T0_E_clISt17integral_constantIbLb0EES1A_IbLb1EEEEDaS16_S17_EUlS16_E_NS1_11comp_targetILNS1_3genE0ELNS1_11target_archE4294967295ELNS1_3gpuE0ELNS1_3repE0EEENS1_30default_config_static_selectorELNS0_4arch9wavefront6targetE0EEEvT1_.num_named_barrier, 0
	.set _ZN7rocprim17ROCPRIM_400000_NS6detail17trampoline_kernelINS0_14default_configENS1_25partition_config_selectorILNS1_17partition_subalgoE6EsNS0_10empty_typeEbEEZZNS1_14partition_implILS5_6ELb0ES3_mN6thrust23THRUST_200600_302600_NS6detail15normal_iteratorINSA_10device_ptrIsEEEEPS6_SG_NS0_5tupleIJNSA_16discard_iteratorINSA_11use_defaultEEES6_EEENSH_IJSG_SG_EEES6_PlJNSB_9not_fun_tINSB_14equal_to_valueIsEEEEEEE10hipError_tPvRmT3_T4_T5_T6_T7_T9_mT8_P12ihipStream_tbDpT10_ENKUlT_T0_E_clISt17integral_constantIbLb0EES1A_IbLb1EEEEDaS16_S17_EUlS16_E_NS1_11comp_targetILNS1_3genE0ELNS1_11target_archE4294967295ELNS1_3gpuE0ELNS1_3repE0EEENS1_30default_config_static_selectorELNS0_4arch9wavefront6targetE0EEEvT1_.private_seg_size, 0
	.set _ZN7rocprim17ROCPRIM_400000_NS6detail17trampoline_kernelINS0_14default_configENS1_25partition_config_selectorILNS1_17partition_subalgoE6EsNS0_10empty_typeEbEEZZNS1_14partition_implILS5_6ELb0ES3_mN6thrust23THRUST_200600_302600_NS6detail15normal_iteratorINSA_10device_ptrIsEEEEPS6_SG_NS0_5tupleIJNSA_16discard_iteratorINSA_11use_defaultEEES6_EEENSH_IJSG_SG_EEES6_PlJNSB_9not_fun_tINSB_14equal_to_valueIsEEEEEEE10hipError_tPvRmT3_T4_T5_T6_T7_T9_mT8_P12ihipStream_tbDpT10_ENKUlT_T0_E_clISt17integral_constantIbLb0EES1A_IbLb1EEEEDaS16_S17_EUlS16_E_NS1_11comp_targetILNS1_3genE0ELNS1_11target_archE4294967295ELNS1_3gpuE0ELNS1_3repE0EEENS1_30default_config_static_selectorELNS0_4arch9wavefront6targetE0EEEvT1_.uses_vcc, 0
	.set _ZN7rocprim17ROCPRIM_400000_NS6detail17trampoline_kernelINS0_14default_configENS1_25partition_config_selectorILNS1_17partition_subalgoE6EsNS0_10empty_typeEbEEZZNS1_14partition_implILS5_6ELb0ES3_mN6thrust23THRUST_200600_302600_NS6detail15normal_iteratorINSA_10device_ptrIsEEEEPS6_SG_NS0_5tupleIJNSA_16discard_iteratorINSA_11use_defaultEEES6_EEENSH_IJSG_SG_EEES6_PlJNSB_9not_fun_tINSB_14equal_to_valueIsEEEEEEE10hipError_tPvRmT3_T4_T5_T6_T7_T9_mT8_P12ihipStream_tbDpT10_ENKUlT_T0_E_clISt17integral_constantIbLb0EES1A_IbLb1EEEEDaS16_S17_EUlS16_E_NS1_11comp_targetILNS1_3genE0ELNS1_11target_archE4294967295ELNS1_3gpuE0ELNS1_3repE0EEENS1_30default_config_static_selectorELNS0_4arch9wavefront6targetE0EEEvT1_.uses_flat_scratch, 0
	.set _ZN7rocprim17ROCPRIM_400000_NS6detail17trampoline_kernelINS0_14default_configENS1_25partition_config_selectorILNS1_17partition_subalgoE6EsNS0_10empty_typeEbEEZZNS1_14partition_implILS5_6ELb0ES3_mN6thrust23THRUST_200600_302600_NS6detail15normal_iteratorINSA_10device_ptrIsEEEEPS6_SG_NS0_5tupleIJNSA_16discard_iteratorINSA_11use_defaultEEES6_EEENSH_IJSG_SG_EEES6_PlJNSB_9not_fun_tINSB_14equal_to_valueIsEEEEEEE10hipError_tPvRmT3_T4_T5_T6_T7_T9_mT8_P12ihipStream_tbDpT10_ENKUlT_T0_E_clISt17integral_constantIbLb0EES1A_IbLb1EEEEDaS16_S17_EUlS16_E_NS1_11comp_targetILNS1_3genE0ELNS1_11target_archE4294967295ELNS1_3gpuE0ELNS1_3repE0EEENS1_30default_config_static_selectorELNS0_4arch9wavefront6targetE0EEEvT1_.has_dyn_sized_stack, 0
	.set _ZN7rocprim17ROCPRIM_400000_NS6detail17trampoline_kernelINS0_14default_configENS1_25partition_config_selectorILNS1_17partition_subalgoE6EsNS0_10empty_typeEbEEZZNS1_14partition_implILS5_6ELb0ES3_mN6thrust23THRUST_200600_302600_NS6detail15normal_iteratorINSA_10device_ptrIsEEEEPS6_SG_NS0_5tupleIJNSA_16discard_iteratorINSA_11use_defaultEEES6_EEENSH_IJSG_SG_EEES6_PlJNSB_9not_fun_tINSB_14equal_to_valueIsEEEEEEE10hipError_tPvRmT3_T4_T5_T6_T7_T9_mT8_P12ihipStream_tbDpT10_ENKUlT_T0_E_clISt17integral_constantIbLb0EES1A_IbLb1EEEEDaS16_S17_EUlS16_E_NS1_11comp_targetILNS1_3genE0ELNS1_11target_archE4294967295ELNS1_3gpuE0ELNS1_3repE0EEENS1_30default_config_static_selectorELNS0_4arch9wavefront6targetE0EEEvT1_.has_recursion, 0
	.set _ZN7rocprim17ROCPRIM_400000_NS6detail17trampoline_kernelINS0_14default_configENS1_25partition_config_selectorILNS1_17partition_subalgoE6EsNS0_10empty_typeEbEEZZNS1_14partition_implILS5_6ELb0ES3_mN6thrust23THRUST_200600_302600_NS6detail15normal_iteratorINSA_10device_ptrIsEEEEPS6_SG_NS0_5tupleIJNSA_16discard_iteratorINSA_11use_defaultEEES6_EEENSH_IJSG_SG_EEES6_PlJNSB_9not_fun_tINSB_14equal_to_valueIsEEEEEEE10hipError_tPvRmT3_T4_T5_T6_T7_T9_mT8_P12ihipStream_tbDpT10_ENKUlT_T0_E_clISt17integral_constantIbLb0EES1A_IbLb1EEEEDaS16_S17_EUlS16_E_NS1_11comp_targetILNS1_3genE0ELNS1_11target_archE4294967295ELNS1_3gpuE0ELNS1_3repE0EEENS1_30default_config_static_selectorELNS0_4arch9wavefront6targetE0EEEvT1_.has_indirect_call, 0
	.section	.AMDGPU.csdata,"",@progbits
; Kernel info:
; codeLenInByte = 0
; TotalNumSgprs: 0
; NumVgprs: 0
; ScratchSize: 0
; MemoryBound: 0
; FloatMode: 240
; IeeeMode: 1
; LDSByteSize: 0 bytes/workgroup (compile time only)
; SGPRBlocks: 0
; VGPRBlocks: 0
; NumSGPRsForWavesPerEU: 1
; NumVGPRsForWavesPerEU: 1
; Occupancy: 16
; WaveLimiterHint : 0
; COMPUTE_PGM_RSRC2:SCRATCH_EN: 0
; COMPUTE_PGM_RSRC2:USER_SGPR: 2
; COMPUTE_PGM_RSRC2:TRAP_HANDLER: 0
; COMPUTE_PGM_RSRC2:TGID_X_EN: 1
; COMPUTE_PGM_RSRC2:TGID_Y_EN: 0
; COMPUTE_PGM_RSRC2:TGID_Z_EN: 0
; COMPUTE_PGM_RSRC2:TIDIG_COMP_CNT: 0
	.section	.text._ZN7rocprim17ROCPRIM_400000_NS6detail17trampoline_kernelINS0_14default_configENS1_25partition_config_selectorILNS1_17partition_subalgoE6EsNS0_10empty_typeEbEEZZNS1_14partition_implILS5_6ELb0ES3_mN6thrust23THRUST_200600_302600_NS6detail15normal_iteratorINSA_10device_ptrIsEEEEPS6_SG_NS0_5tupleIJNSA_16discard_iteratorINSA_11use_defaultEEES6_EEENSH_IJSG_SG_EEES6_PlJNSB_9not_fun_tINSB_14equal_to_valueIsEEEEEEE10hipError_tPvRmT3_T4_T5_T6_T7_T9_mT8_P12ihipStream_tbDpT10_ENKUlT_T0_E_clISt17integral_constantIbLb0EES1A_IbLb1EEEEDaS16_S17_EUlS16_E_NS1_11comp_targetILNS1_3genE5ELNS1_11target_archE942ELNS1_3gpuE9ELNS1_3repE0EEENS1_30default_config_static_selectorELNS0_4arch9wavefront6targetE0EEEvT1_,"axG",@progbits,_ZN7rocprim17ROCPRIM_400000_NS6detail17trampoline_kernelINS0_14default_configENS1_25partition_config_selectorILNS1_17partition_subalgoE6EsNS0_10empty_typeEbEEZZNS1_14partition_implILS5_6ELb0ES3_mN6thrust23THRUST_200600_302600_NS6detail15normal_iteratorINSA_10device_ptrIsEEEEPS6_SG_NS0_5tupleIJNSA_16discard_iteratorINSA_11use_defaultEEES6_EEENSH_IJSG_SG_EEES6_PlJNSB_9not_fun_tINSB_14equal_to_valueIsEEEEEEE10hipError_tPvRmT3_T4_T5_T6_T7_T9_mT8_P12ihipStream_tbDpT10_ENKUlT_T0_E_clISt17integral_constantIbLb0EES1A_IbLb1EEEEDaS16_S17_EUlS16_E_NS1_11comp_targetILNS1_3genE5ELNS1_11target_archE942ELNS1_3gpuE9ELNS1_3repE0EEENS1_30default_config_static_selectorELNS0_4arch9wavefront6targetE0EEEvT1_,comdat
	.protected	_ZN7rocprim17ROCPRIM_400000_NS6detail17trampoline_kernelINS0_14default_configENS1_25partition_config_selectorILNS1_17partition_subalgoE6EsNS0_10empty_typeEbEEZZNS1_14partition_implILS5_6ELb0ES3_mN6thrust23THRUST_200600_302600_NS6detail15normal_iteratorINSA_10device_ptrIsEEEEPS6_SG_NS0_5tupleIJNSA_16discard_iteratorINSA_11use_defaultEEES6_EEENSH_IJSG_SG_EEES6_PlJNSB_9not_fun_tINSB_14equal_to_valueIsEEEEEEE10hipError_tPvRmT3_T4_T5_T6_T7_T9_mT8_P12ihipStream_tbDpT10_ENKUlT_T0_E_clISt17integral_constantIbLb0EES1A_IbLb1EEEEDaS16_S17_EUlS16_E_NS1_11comp_targetILNS1_3genE5ELNS1_11target_archE942ELNS1_3gpuE9ELNS1_3repE0EEENS1_30default_config_static_selectorELNS0_4arch9wavefront6targetE0EEEvT1_ ; -- Begin function _ZN7rocprim17ROCPRIM_400000_NS6detail17trampoline_kernelINS0_14default_configENS1_25partition_config_selectorILNS1_17partition_subalgoE6EsNS0_10empty_typeEbEEZZNS1_14partition_implILS5_6ELb0ES3_mN6thrust23THRUST_200600_302600_NS6detail15normal_iteratorINSA_10device_ptrIsEEEEPS6_SG_NS0_5tupleIJNSA_16discard_iteratorINSA_11use_defaultEEES6_EEENSH_IJSG_SG_EEES6_PlJNSB_9not_fun_tINSB_14equal_to_valueIsEEEEEEE10hipError_tPvRmT3_T4_T5_T6_T7_T9_mT8_P12ihipStream_tbDpT10_ENKUlT_T0_E_clISt17integral_constantIbLb0EES1A_IbLb1EEEEDaS16_S17_EUlS16_E_NS1_11comp_targetILNS1_3genE5ELNS1_11target_archE942ELNS1_3gpuE9ELNS1_3repE0EEENS1_30default_config_static_selectorELNS0_4arch9wavefront6targetE0EEEvT1_
	.globl	_ZN7rocprim17ROCPRIM_400000_NS6detail17trampoline_kernelINS0_14default_configENS1_25partition_config_selectorILNS1_17partition_subalgoE6EsNS0_10empty_typeEbEEZZNS1_14partition_implILS5_6ELb0ES3_mN6thrust23THRUST_200600_302600_NS6detail15normal_iteratorINSA_10device_ptrIsEEEEPS6_SG_NS0_5tupleIJNSA_16discard_iteratorINSA_11use_defaultEEES6_EEENSH_IJSG_SG_EEES6_PlJNSB_9not_fun_tINSB_14equal_to_valueIsEEEEEEE10hipError_tPvRmT3_T4_T5_T6_T7_T9_mT8_P12ihipStream_tbDpT10_ENKUlT_T0_E_clISt17integral_constantIbLb0EES1A_IbLb1EEEEDaS16_S17_EUlS16_E_NS1_11comp_targetILNS1_3genE5ELNS1_11target_archE942ELNS1_3gpuE9ELNS1_3repE0EEENS1_30default_config_static_selectorELNS0_4arch9wavefront6targetE0EEEvT1_
	.p2align	8
	.type	_ZN7rocprim17ROCPRIM_400000_NS6detail17trampoline_kernelINS0_14default_configENS1_25partition_config_selectorILNS1_17partition_subalgoE6EsNS0_10empty_typeEbEEZZNS1_14partition_implILS5_6ELb0ES3_mN6thrust23THRUST_200600_302600_NS6detail15normal_iteratorINSA_10device_ptrIsEEEEPS6_SG_NS0_5tupleIJNSA_16discard_iteratorINSA_11use_defaultEEES6_EEENSH_IJSG_SG_EEES6_PlJNSB_9not_fun_tINSB_14equal_to_valueIsEEEEEEE10hipError_tPvRmT3_T4_T5_T6_T7_T9_mT8_P12ihipStream_tbDpT10_ENKUlT_T0_E_clISt17integral_constantIbLb0EES1A_IbLb1EEEEDaS16_S17_EUlS16_E_NS1_11comp_targetILNS1_3genE5ELNS1_11target_archE942ELNS1_3gpuE9ELNS1_3repE0EEENS1_30default_config_static_selectorELNS0_4arch9wavefront6targetE0EEEvT1_,@function
_ZN7rocprim17ROCPRIM_400000_NS6detail17trampoline_kernelINS0_14default_configENS1_25partition_config_selectorILNS1_17partition_subalgoE6EsNS0_10empty_typeEbEEZZNS1_14partition_implILS5_6ELb0ES3_mN6thrust23THRUST_200600_302600_NS6detail15normal_iteratorINSA_10device_ptrIsEEEEPS6_SG_NS0_5tupleIJNSA_16discard_iteratorINSA_11use_defaultEEES6_EEENSH_IJSG_SG_EEES6_PlJNSB_9not_fun_tINSB_14equal_to_valueIsEEEEEEE10hipError_tPvRmT3_T4_T5_T6_T7_T9_mT8_P12ihipStream_tbDpT10_ENKUlT_T0_E_clISt17integral_constantIbLb0EES1A_IbLb1EEEEDaS16_S17_EUlS16_E_NS1_11comp_targetILNS1_3genE5ELNS1_11target_archE942ELNS1_3gpuE9ELNS1_3repE0EEENS1_30default_config_static_selectorELNS0_4arch9wavefront6targetE0EEEvT1_: ; @_ZN7rocprim17ROCPRIM_400000_NS6detail17trampoline_kernelINS0_14default_configENS1_25partition_config_selectorILNS1_17partition_subalgoE6EsNS0_10empty_typeEbEEZZNS1_14partition_implILS5_6ELb0ES3_mN6thrust23THRUST_200600_302600_NS6detail15normal_iteratorINSA_10device_ptrIsEEEEPS6_SG_NS0_5tupleIJNSA_16discard_iteratorINSA_11use_defaultEEES6_EEENSH_IJSG_SG_EEES6_PlJNSB_9not_fun_tINSB_14equal_to_valueIsEEEEEEE10hipError_tPvRmT3_T4_T5_T6_T7_T9_mT8_P12ihipStream_tbDpT10_ENKUlT_T0_E_clISt17integral_constantIbLb0EES1A_IbLb1EEEEDaS16_S17_EUlS16_E_NS1_11comp_targetILNS1_3genE5ELNS1_11target_archE942ELNS1_3gpuE9ELNS1_3repE0EEENS1_30default_config_static_selectorELNS0_4arch9wavefront6targetE0EEEvT1_
; %bb.0:
	.section	.rodata,"a",@progbits
	.p2align	6, 0x0
	.amdhsa_kernel _ZN7rocprim17ROCPRIM_400000_NS6detail17trampoline_kernelINS0_14default_configENS1_25partition_config_selectorILNS1_17partition_subalgoE6EsNS0_10empty_typeEbEEZZNS1_14partition_implILS5_6ELb0ES3_mN6thrust23THRUST_200600_302600_NS6detail15normal_iteratorINSA_10device_ptrIsEEEEPS6_SG_NS0_5tupleIJNSA_16discard_iteratorINSA_11use_defaultEEES6_EEENSH_IJSG_SG_EEES6_PlJNSB_9not_fun_tINSB_14equal_to_valueIsEEEEEEE10hipError_tPvRmT3_T4_T5_T6_T7_T9_mT8_P12ihipStream_tbDpT10_ENKUlT_T0_E_clISt17integral_constantIbLb0EES1A_IbLb1EEEEDaS16_S17_EUlS16_E_NS1_11comp_targetILNS1_3genE5ELNS1_11target_archE942ELNS1_3gpuE9ELNS1_3repE0EEENS1_30default_config_static_selectorELNS0_4arch9wavefront6targetE0EEEvT1_
		.amdhsa_group_segment_fixed_size 0
		.amdhsa_private_segment_fixed_size 0
		.amdhsa_kernarg_size 136
		.amdhsa_user_sgpr_count 2
		.amdhsa_user_sgpr_dispatch_ptr 0
		.amdhsa_user_sgpr_queue_ptr 0
		.amdhsa_user_sgpr_kernarg_segment_ptr 1
		.amdhsa_user_sgpr_dispatch_id 0
		.amdhsa_user_sgpr_private_segment_size 0
		.amdhsa_wavefront_size32 1
		.amdhsa_uses_dynamic_stack 0
		.amdhsa_enable_private_segment 0
		.amdhsa_system_sgpr_workgroup_id_x 1
		.amdhsa_system_sgpr_workgroup_id_y 0
		.amdhsa_system_sgpr_workgroup_id_z 0
		.amdhsa_system_sgpr_workgroup_info 0
		.amdhsa_system_vgpr_workitem_id 0
		.amdhsa_next_free_vgpr 1
		.amdhsa_next_free_sgpr 1
		.amdhsa_reserve_vcc 0
		.amdhsa_float_round_mode_32 0
		.amdhsa_float_round_mode_16_64 0
		.amdhsa_float_denorm_mode_32 3
		.amdhsa_float_denorm_mode_16_64 3
		.amdhsa_fp16_overflow 0
		.amdhsa_workgroup_processor_mode 1
		.amdhsa_memory_ordered 1
		.amdhsa_forward_progress 1
		.amdhsa_inst_pref_size 0
		.amdhsa_round_robin_scheduling 0
		.amdhsa_exception_fp_ieee_invalid_op 0
		.amdhsa_exception_fp_denorm_src 0
		.amdhsa_exception_fp_ieee_div_zero 0
		.amdhsa_exception_fp_ieee_overflow 0
		.amdhsa_exception_fp_ieee_underflow 0
		.amdhsa_exception_fp_ieee_inexact 0
		.amdhsa_exception_int_div_zero 0
	.end_amdhsa_kernel
	.section	.text._ZN7rocprim17ROCPRIM_400000_NS6detail17trampoline_kernelINS0_14default_configENS1_25partition_config_selectorILNS1_17partition_subalgoE6EsNS0_10empty_typeEbEEZZNS1_14partition_implILS5_6ELb0ES3_mN6thrust23THRUST_200600_302600_NS6detail15normal_iteratorINSA_10device_ptrIsEEEEPS6_SG_NS0_5tupleIJNSA_16discard_iteratorINSA_11use_defaultEEES6_EEENSH_IJSG_SG_EEES6_PlJNSB_9not_fun_tINSB_14equal_to_valueIsEEEEEEE10hipError_tPvRmT3_T4_T5_T6_T7_T9_mT8_P12ihipStream_tbDpT10_ENKUlT_T0_E_clISt17integral_constantIbLb0EES1A_IbLb1EEEEDaS16_S17_EUlS16_E_NS1_11comp_targetILNS1_3genE5ELNS1_11target_archE942ELNS1_3gpuE9ELNS1_3repE0EEENS1_30default_config_static_selectorELNS0_4arch9wavefront6targetE0EEEvT1_,"axG",@progbits,_ZN7rocprim17ROCPRIM_400000_NS6detail17trampoline_kernelINS0_14default_configENS1_25partition_config_selectorILNS1_17partition_subalgoE6EsNS0_10empty_typeEbEEZZNS1_14partition_implILS5_6ELb0ES3_mN6thrust23THRUST_200600_302600_NS6detail15normal_iteratorINSA_10device_ptrIsEEEEPS6_SG_NS0_5tupleIJNSA_16discard_iteratorINSA_11use_defaultEEES6_EEENSH_IJSG_SG_EEES6_PlJNSB_9not_fun_tINSB_14equal_to_valueIsEEEEEEE10hipError_tPvRmT3_T4_T5_T6_T7_T9_mT8_P12ihipStream_tbDpT10_ENKUlT_T0_E_clISt17integral_constantIbLb0EES1A_IbLb1EEEEDaS16_S17_EUlS16_E_NS1_11comp_targetILNS1_3genE5ELNS1_11target_archE942ELNS1_3gpuE9ELNS1_3repE0EEENS1_30default_config_static_selectorELNS0_4arch9wavefront6targetE0EEEvT1_,comdat
.Lfunc_end1814:
	.size	_ZN7rocprim17ROCPRIM_400000_NS6detail17trampoline_kernelINS0_14default_configENS1_25partition_config_selectorILNS1_17partition_subalgoE6EsNS0_10empty_typeEbEEZZNS1_14partition_implILS5_6ELb0ES3_mN6thrust23THRUST_200600_302600_NS6detail15normal_iteratorINSA_10device_ptrIsEEEEPS6_SG_NS0_5tupleIJNSA_16discard_iteratorINSA_11use_defaultEEES6_EEENSH_IJSG_SG_EEES6_PlJNSB_9not_fun_tINSB_14equal_to_valueIsEEEEEEE10hipError_tPvRmT3_T4_T5_T6_T7_T9_mT8_P12ihipStream_tbDpT10_ENKUlT_T0_E_clISt17integral_constantIbLb0EES1A_IbLb1EEEEDaS16_S17_EUlS16_E_NS1_11comp_targetILNS1_3genE5ELNS1_11target_archE942ELNS1_3gpuE9ELNS1_3repE0EEENS1_30default_config_static_selectorELNS0_4arch9wavefront6targetE0EEEvT1_, .Lfunc_end1814-_ZN7rocprim17ROCPRIM_400000_NS6detail17trampoline_kernelINS0_14default_configENS1_25partition_config_selectorILNS1_17partition_subalgoE6EsNS0_10empty_typeEbEEZZNS1_14partition_implILS5_6ELb0ES3_mN6thrust23THRUST_200600_302600_NS6detail15normal_iteratorINSA_10device_ptrIsEEEEPS6_SG_NS0_5tupleIJNSA_16discard_iteratorINSA_11use_defaultEEES6_EEENSH_IJSG_SG_EEES6_PlJNSB_9not_fun_tINSB_14equal_to_valueIsEEEEEEE10hipError_tPvRmT3_T4_T5_T6_T7_T9_mT8_P12ihipStream_tbDpT10_ENKUlT_T0_E_clISt17integral_constantIbLb0EES1A_IbLb1EEEEDaS16_S17_EUlS16_E_NS1_11comp_targetILNS1_3genE5ELNS1_11target_archE942ELNS1_3gpuE9ELNS1_3repE0EEENS1_30default_config_static_selectorELNS0_4arch9wavefront6targetE0EEEvT1_
                                        ; -- End function
	.set _ZN7rocprim17ROCPRIM_400000_NS6detail17trampoline_kernelINS0_14default_configENS1_25partition_config_selectorILNS1_17partition_subalgoE6EsNS0_10empty_typeEbEEZZNS1_14partition_implILS5_6ELb0ES3_mN6thrust23THRUST_200600_302600_NS6detail15normal_iteratorINSA_10device_ptrIsEEEEPS6_SG_NS0_5tupleIJNSA_16discard_iteratorINSA_11use_defaultEEES6_EEENSH_IJSG_SG_EEES6_PlJNSB_9not_fun_tINSB_14equal_to_valueIsEEEEEEE10hipError_tPvRmT3_T4_T5_T6_T7_T9_mT8_P12ihipStream_tbDpT10_ENKUlT_T0_E_clISt17integral_constantIbLb0EES1A_IbLb1EEEEDaS16_S17_EUlS16_E_NS1_11comp_targetILNS1_3genE5ELNS1_11target_archE942ELNS1_3gpuE9ELNS1_3repE0EEENS1_30default_config_static_selectorELNS0_4arch9wavefront6targetE0EEEvT1_.num_vgpr, 0
	.set _ZN7rocprim17ROCPRIM_400000_NS6detail17trampoline_kernelINS0_14default_configENS1_25partition_config_selectorILNS1_17partition_subalgoE6EsNS0_10empty_typeEbEEZZNS1_14partition_implILS5_6ELb0ES3_mN6thrust23THRUST_200600_302600_NS6detail15normal_iteratorINSA_10device_ptrIsEEEEPS6_SG_NS0_5tupleIJNSA_16discard_iteratorINSA_11use_defaultEEES6_EEENSH_IJSG_SG_EEES6_PlJNSB_9not_fun_tINSB_14equal_to_valueIsEEEEEEE10hipError_tPvRmT3_T4_T5_T6_T7_T9_mT8_P12ihipStream_tbDpT10_ENKUlT_T0_E_clISt17integral_constantIbLb0EES1A_IbLb1EEEEDaS16_S17_EUlS16_E_NS1_11comp_targetILNS1_3genE5ELNS1_11target_archE942ELNS1_3gpuE9ELNS1_3repE0EEENS1_30default_config_static_selectorELNS0_4arch9wavefront6targetE0EEEvT1_.num_agpr, 0
	.set _ZN7rocprim17ROCPRIM_400000_NS6detail17trampoline_kernelINS0_14default_configENS1_25partition_config_selectorILNS1_17partition_subalgoE6EsNS0_10empty_typeEbEEZZNS1_14partition_implILS5_6ELb0ES3_mN6thrust23THRUST_200600_302600_NS6detail15normal_iteratorINSA_10device_ptrIsEEEEPS6_SG_NS0_5tupleIJNSA_16discard_iteratorINSA_11use_defaultEEES6_EEENSH_IJSG_SG_EEES6_PlJNSB_9not_fun_tINSB_14equal_to_valueIsEEEEEEE10hipError_tPvRmT3_T4_T5_T6_T7_T9_mT8_P12ihipStream_tbDpT10_ENKUlT_T0_E_clISt17integral_constantIbLb0EES1A_IbLb1EEEEDaS16_S17_EUlS16_E_NS1_11comp_targetILNS1_3genE5ELNS1_11target_archE942ELNS1_3gpuE9ELNS1_3repE0EEENS1_30default_config_static_selectorELNS0_4arch9wavefront6targetE0EEEvT1_.numbered_sgpr, 0
	.set _ZN7rocprim17ROCPRIM_400000_NS6detail17trampoline_kernelINS0_14default_configENS1_25partition_config_selectorILNS1_17partition_subalgoE6EsNS0_10empty_typeEbEEZZNS1_14partition_implILS5_6ELb0ES3_mN6thrust23THRUST_200600_302600_NS6detail15normal_iteratorINSA_10device_ptrIsEEEEPS6_SG_NS0_5tupleIJNSA_16discard_iteratorINSA_11use_defaultEEES6_EEENSH_IJSG_SG_EEES6_PlJNSB_9not_fun_tINSB_14equal_to_valueIsEEEEEEE10hipError_tPvRmT3_T4_T5_T6_T7_T9_mT8_P12ihipStream_tbDpT10_ENKUlT_T0_E_clISt17integral_constantIbLb0EES1A_IbLb1EEEEDaS16_S17_EUlS16_E_NS1_11comp_targetILNS1_3genE5ELNS1_11target_archE942ELNS1_3gpuE9ELNS1_3repE0EEENS1_30default_config_static_selectorELNS0_4arch9wavefront6targetE0EEEvT1_.num_named_barrier, 0
	.set _ZN7rocprim17ROCPRIM_400000_NS6detail17trampoline_kernelINS0_14default_configENS1_25partition_config_selectorILNS1_17partition_subalgoE6EsNS0_10empty_typeEbEEZZNS1_14partition_implILS5_6ELb0ES3_mN6thrust23THRUST_200600_302600_NS6detail15normal_iteratorINSA_10device_ptrIsEEEEPS6_SG_NS0_5tupleIJNSA_16discard_iteratorINSA_11use_defaultEEES6_EEENSH_IJSG_SG_EEES6_PlJNSB_9not_fun_tINSB_14equal_to_valueIsEEEEEEE10hipError_tPvRmT3_T4_T5_T6_T7_T9_mT8_P12ihipStream_tbDpT10_ENKUlT_T0_E_clISt17integral_constantIbLb0EES1A_IbLb1EEEEDaS16_S17_EUlS16_E_NS1_11comp_targetILNS1_3genE5ELNS1_11target_archE942ELNS1_3gpuE9ELNS1_3repE0EEENS1_30default_config_static_selectorELNS0_4arch9wavefront6targetE0EEEvT1_.private_seg_size, 0
	.set _ZN7rocprim17ROCPRIM_400000_NS6detail17trampoline_kernelINS0_14default_configENS1_25partition_config_selectorILNS1_17partition_subalgoE6EsNS0_10empty_typeEbEEZZNS1_14partition_implILS5_6ELb0ES3_mN6thrust23THRUST_200600_302600_NS6detail15normal_iteratorINSA_10device_ptrIsEEEEPS6_SG_NS0_5tupleIJNSA_16discard_iteratorINSA_11use_defaultEEES6_EEENSH_IJSG_SG_EEES6_PlJNSB_9not_fun_tINSB_14equal_to_valueIsEEEEEEE10hipError_tPvRmT3_T4_T5_T6_T7_T9_mT8_P12ihipStream_tbDpT10_ENKUlT_T0_E_clISt17integral_constantIbLb0EES1A_IbLb1EEEEDaS16_S17_EUlS16_E_NS1_11comp_targetILNS1_3genE5ELNS1_11target_archE942ELNS1_3gpuE9ELNS1_3repE0EEENS1_30default_config_static_selectorELNS0_4arch9wavefront6targetE0EEEvT1_.uses_vcc, 0
	.set _ZN7rocprim17ROCPRIM_400000_NS6detail17trampoline_kernelINS0_14default_configENS1_25partition_config_selectorILNS1_17partition_subalgoE6EsNS0_10empty_typeEbEEZZNS1_14partition_implILS5_6ELb0ES3_mN6thrust23THRUST_200600_302600_NS6detail15normal_iteratorINSA_10device_ptrIsEEEEPS6_SG_NS0_5tupleIJNSA_16discard_iteratorINSA_11use_defaultEEES6_EEENSH_IJSG_SG_EEES6_PlJNSB_9not_fun_tINSB_14equal_to_valueIsEEEEEEE10hipError_tPvRmT3_T4_T5_T6_T7_T9_mT8_P12ihipStream_tbDpT10_ENKUlT_T0_E_clISt17integral_constantIbLb0EES1A_IbLb1EEEEDaS16_S17_EUlS16_E_NS1_11comp_targetILNS1_3genE5ELNS1_11target_archE942ELNS1_3gpuE9ELNS1_3repE0EEENS1_30default_config_static_selectorELNS0_4arch9wavefront6targetE0EEEvT1_.uses_flat_scratch, 0
	.set _ZN7rocprim17ROCPRIM_400000_NS6detail17trampoline_kernelINS0_14default_configENS1_25partition_config_selectorILNS1_17partition_subalgoE6EsNS0_10empty_typeEbEEZZNS1_14partition_implILS5_6ELb0ES3_mN6thrust23THRUST_200600_302600_NS6detail15normal_iteratorINSA_10device_ptrIsEEEEPS6_SG_NS0_5tupleIJNSA_16discard_iteratorINSA_11use_defaultEEES6_EEENSH_IJSG_SG_EEES6_PlJNSB_9not_fun_tINSB_14equal_to_valueIsEEEEEEE10hipError_tPvRmT3_T4_T5_T6_T7_T9_mT8_P12ihipStream_tbDpT10_ENKUlT_T0_E_clISt17integral_constantIbLb0EES1A_IbLb1EEEEDaS16_S17_EUlS16_E_NS1_11comp_targetILNS1_3genE5ELNS1_11target_archE942ELNS1_3gpuE9ELNS1_3repE0EEENS1_30default_config_static_selectorELNS0_4arch9wavefront6targetE0EEEvT1_.has_dyn_sized_stack, 0
	.set _ZN7rocprim17ROCPRIM_400000_NS6detail17trampoline_kernelINS0_14default_configENS1_25partition_config_selectorILNS1_17partition_subalgoE6EsNS0_10empty_typeEbEEZZNS1_14partition_implILS5_6ELb0ES3_mN6thrust23THRUST_200600_302600_NS6detail15normal_iteratorINSA_10device_ptrIsEEEEPS6_SG_NS0_5tupleIJNSA_16discard_iteratorINSA_11use_defaultEEES6_EEENSH_IJSG_SG_EEES6_PlJNSB_9not_fun_tINSB_14equal_to_valueIsEEEEEEE10hipError_tPvRmT3_T4_T5_T6_T7_T9_mT8_P12ihipStream_tbDpT10_ENKUlT_T0_E_clISt17integral_constantIbLb0EES1A_IbLb1EEEEDaS16_S17_EUlS16_E_NS1_11comp_targetILNS1_3genE5ELNS1_11target_archE942ELNS1_3gpuE9ELNS1_3repE0EEENS1_30default_config_static_selectorELNS0_4arch9wavefront6targetE0EEEvT1_.has_recursion, 0
	.set _ZN7rocprim17ROCPRIM_400000_NS6detail17trampoline_kernelINS0_14default_configENS1_25partition_config_selectorILNS1_17partition_subalgoE6EsNS0_10empty_typeEbEEZZNS1_14partition_implILS5_6ELb0ES3_mN6thrust23THRUST_200600_302600_NS6detail15normal_iteratorINSA_10device_ptrIsEEEEPS6_SG_NS0_5tupleIJNSA_16discard_iteratorINSA_11use_defaultEEES6_EEENSH_IJSG_SG_EEES6_PlJNSB_9not_fun_tINSB_14equal_to_valueIsEEEEEEE10hipError_tPvRmT3_T4_T5_T6_T7_T9_mT8_P12ihipStream_tbDpT10_ENKUlT_T0_E_clISt17integral_constantIbLb0EES1A_IbLb1EEEEDaS16_S17_EUlS16_E_NS1_11comp_targetILNS1_3genE5ELNS1_11target_archE942ELNS1_3gpuE9ELNS1_3repE0EEENS1_30default_config_static_selectorELNS0_4arch9wavefront6targetE0EEEvT1_.has_indirect_call, 0
	.section	.AMDGPU.csdata,"",@progbits
; Kernel info:
; codeLenInByte = 0
; TotalNumSgprs: 0
; NumVgprs: 0
; ScratchSize: 0
; MemoryBound: 0
; FloatMode: 240
; IeeeMode: 1
; LDSByteSize: 0 bytes/workgroup (compile time only)
; SGPRBlocks: 0
; VGPRBlocks: 0
; NumSGPRsForWavesPerEU: 1
; NumVGPRsForWavesPerEU: 1
; Occupancy: 16
; WaveLimiterHint : 0
; COMPUTE_PGM_RSRC2:SCRATCH_EN: 0
; COMPUTE_PGM_RSRC2:USER_SGPR: 2
; COMPUTE_PGM_RSRC2:TRAP_HANDLER: 0
; COMPUTE_PGM_RSRC2:TGID_X_EN: 1
; COMPUTE_PGM_RSRC2:TGID_Y_EN: 0
; COMPUTE_PGM_RSRC2:TGID_Z_EN: 0
; COMPUTE_PGM_RSRC2:TIDIG_COMP_CNT: 0
	.section	.text._ZN7rocprim17ROCPRIM_400000_NS6detail17trampoline_kernelINS0_14default_configENS1_25partition_config_selectorILNS1_17partition_subalgoE6EsNS0_10empty_typeEbEEZZNS1_14partition_implILS5_6ELb0ES3_mN6thrust23THRUST_200600_302600_NS6detail15normal_iteratorINSA_10device_ptrIsEEEEPS6_SG_NS0_5tupleIJNSA_16discard_iteratorINSA_11use_defaultEEES6_EEENSH_IJSG_SG_EEES6_PlJNSB_9not_fun_tINSB_14equal_to_valueIsEEEEEEE10hipError_tPvRmT3_T4_T5_T6_T7_T9_mT8_P12ihipStream_tbDpT10_ENKUlT_T0_E_clISt17integral_constantIbLb0EES1A_IbLb1EEEEDaS16_S17_EUlS16_E_NS1_11comp_targetILNS1_3genE4ELNS1_11target_archE910ELNS1_3gpuE8ELNS1_3repE0EEENS1_30default_config_static_selectorELNS0_4arch9wavefront6targetE0EEEvT1_,"axG",@progbits,_ZN7rocprim17ROCPRIM_400000_NS6detail17trampoline_kernelINS0_14default_configENS1_25partition_config_selectorILNS1_17partition_subalgoE6EsNS0_10empty_typeEbEEZZNS1_14partition_implILS5_6ELb0ES3_mN6thrust23THRUST_200600_302600_NS6detail15normal_iteratorINSA_10device_ptrIsEEEEPS6_SG_NS0_5tupleIJNSA_16discard_iteratorINSA_11use_defaultEEES6_EEENSH_IJSG_SG_EEES6_PlJNSB_9not_fun_tINSB_14equal_to_valueIsEEEEEEE10hipError_tPvRmT3_T4_T5_T6_T7_T9_mT8_P12ihipStream_tbDpT10_ENKUlT_T0_E_clISt17integral_constantIbLb0EES1A_IbLb1EEEEDaS16_S17_EUlS16_E_NS1_11comp_targetILNS1_3genE4ELNS1_11target_archE910ELNS1_3gpuE8ELNS1_3repE0EEENS1_30default_config_static_selectorELNS0_4arch9wavefront6targetE0EEEvT1_,comdat
	.protected	_ZN7rocprim17ROCPRIM_400000_NS6detail17trampoline_kernelINS0_14default_configENS1_25partition_config_selectorILNS1_17partition_subalgoE6EsNS0_10empty_typeEbEEZZNS1_14partition_implILS5_6ELb0ES3_mN6thrust23THRUST_200600_302600_NS6detail15normal_iteratorINSA_10device_ptrIsEEEEPS6_SG_NS0_5tupleIJNSA_16discard_iteratorINSA_11use_defaultEEES6_EEENSH_IJSG_SG_EEES6_PlJNSB_9not_fun_tINSB_14equal_to_valueIsEEEEEEE10hipError_tPvRmT3_T4_T5_T6_T7_T9_mT8_P12ihipStream_tbDpT10_ENKUlT_T0_E_clISt17integral_constantIbLb0EES1A_IbLb1EEEEDaS16_S17_EUlS16_E_NS1_11comp_targetILNS1_3genE4ELNS1_11target_archE910ELNS1_3gpuE8ELNS1_3repE0EEENS1_30default_config_static_selectorELNS0_4arch9wavefront6targetE0EEEvT1_ ; -- Begin function _ZN7rocprim17ROCPRIM_400000_NS6detail17trampoline_kernelINS0_14default_configENS1_25partition_config_selectorILNS1_17partition_subalgoE6EsNS0_10empty_typeEbEEZZNS1_14partition_implILS5_6ELb0ES3_mN6thrust23THRUST_200600_302600_NS6detail15normal_iteratorINSA_10device_ptrIsEEEEPS6_SG_NS0_5tupleIJNSA_16discard_iteratorINSA_11use_defaultEEES6_EEENSH_IJSG_SG_EEES6_PlJNSB_9not_fun_tINSB_14equal_to_valueIsEEEEEEE10hipError_tPvRmT3_T4_T5_T6_T7_T9_mT8_P12ihipStream_tbDpT10_ENKUlT_T0_E_clISt17integral_constantIbLb0EES1A_IbLb1EEEEDaS16_S17_EUlS16_E_NS1_11comp_targetILNS1_3genE4ELNS1_11target_archE910ELNS1_3gpuE8ELNS1_3repE0EEENS1_30default_config_static_selectorELNS0_4arch9wavefront6targetE0EEEvT1_
	.globl	_ZN7rocprim17ROCPRIM_400000_NS6detail17trampoline_kernelINS0_14default_configENS1_25partition_config_selectorILNS1_17partition_subalgoE6EsNS0_10empty_typeEbEEZZNS1_14partition_implILS5_6ELb0ES3_mN6thrust23THRUST_200600_302600_NS6detail15normal_iteratorINSA_10device_ptrIsEEEEPS6_SG_NS0_5tupleIJNSA_16discard_iteratorINSA_11use_defaultEEES6_EEENSH_IJSG_SG_EEES6_PlJNSB_9not_fun_tINSB_14equal_to_valueIsEEEEEEE10hipError_tPvRmT3_T4_T5_T6_T7_T9_mT8_P12ihipStream_tbDpT10_ENKUlT_T0_E_clISt17integral_constantIbLb0EES1A_IbLb1EEEEDaS16_S17_EUlS16_E_NS1_11comp_targetILNS1_3genE4ELNS1_11target_archE910ELNS1_3gpuE8ELNS1_3repE0EEENS1_30default_config_static_selectorELNS0_4arch9wavefront6targetE0EEEvT1_
	.p2align	8
	.type	_ZN7rocprim17ROCPRIM_400000_NS6detail17trampoline_kernelINS0_14default_configENS1_25partition_config_selectorILNS1_17partition_subalgoE6EsNS0_10empty_typeEbEEZZNS1_14partition_implILS5_6ELb0ES3_mN6thrust23THRUST_200600_302600_NS6detail15normal_iteratorINSA_10device_ptrIsEEEEPS6_SG_NS0_5tupleIJNSA_16discard_iteratorINSA_11use_defaultEEES6_EEENSH_IJSG_SG_EEES6_PlJNSB_9not_fun_tINSB_14equal_to_valueIsEEEEEEE10hipError_tPvRmT3_T4_T5_T6_T7_T9_mT8_P12ihipStream_tbDpT10_ENKUlT_T0_E_clISt17integral_constantIbLb0EES1A_IbLb1EEEEDaS16_S17_EUlS16_E_NS1_11comp_targetILNS1_3genE4ELNS1_11target_archE910ELNS1_3gpuE8ELNS1_3repE0EEENS1_30default_config_static_selectorELNS0_4arch9wavefront6targetE0EEEvT1_,@function
_ZN7rocprim17ROCPRIM_400000_NS6detail17trampoline_kernelINS0_14default_configENS1_25partition_config_selectorILNS1_17partition_subalgoE6EsNS0_10empty_typeEbEEZZNS1_14partition_implILS5_6ELb0ES3_mN6thrust23THRUST_200600_302600_NS6detail15normal_iteratorINSA_10device_ptrIsEEEEPS6_SG_NS0_5tupleIJNSA_16discard_iteratorINSA_11use_defaultEEES6_EEENSH_IJSG_SG_EEES6_PlJNSB_9not_fun_tINSB_14equal_to_valueIsEEEEEEE10hipError_tPvRmT3_T4_T5_T6_T7_T9_mT8_P12ihipStream_tbDpT10_ENKUlT_T0_E_clISt17integral_constantIbLb0EES1A_IbLb1EEEEDaS16_S17_EUlS16_E_NS1_11comp_targetILNS1_3genE4ELNS1_11target_archE910ELNS1_3gpuE8ELNS1_3repE0EEENS1_30default_config_static_selectorELNS0_4arch9wavefront6targetE0EEEvT1_: ; @_ZN7rocprim17ROCPRIM_400000_NS6detail17trampoline_kernelINS0_14default_configENS1_25partition_config_selectorILNS1_17partition_subalgoE6EsNS0_10empty_typeEbEEZZNS1_14partition_implILS5_6ELb0ES3_mN6thrust23THRUST_200600_302600_NS6detail15normal_iteratorINSA_10device_ptrIsEEEEPS6_SG_NS0_5tupleIJNSA_16discard_iteratorINSA_11use_defaultEEES6_EEENSH_IJSG_SG_EEES6_PlJNSB_9not_fun_tINSB_14equal_to_valueIsEEEEEEE10hipError_tPvRmT3_T4_T5_T6_T7_T9_mT8_P12ihipStream_tbDpT10_ENKUlT_T0_E_clISt17integral_constantIbLb0EES1A_IbLb1EEEEDaS16_S17_EUlS16_E_NS1_11comp_targetILNS1_3genE4ELNS1_11target_archE910ELNS1_3gpuE8ELNS1_3repE0EEENS1_30default_config_static_selectorELNS0_4arch9wavefront6targetE0EEEvT1_
; %bb.0:
	.section	.rodata,"a",@progbits
	.p2align	6, 0x0
	.amdhsa_kernel _ZN7rocprim17ROCPRIM_400000_NS6detail17trampoline_kernelINS0_14default_configENS1_25partition_config_selectorILNS1_17partition_subalgoE6EsNS0_10empty_typeEbEEZZNS1_14partition_implILS5_6ELb0ES3_mN6thrust23THRUST_200600_302600_NS6detail15normal_iteratorINSA_10device_ptrIsEEEEPS6_SG_NS0_5tupleIJNSA_16discard_iteratorINSA_11use_defaultEEES6_EEENSH_IJSG_SG_EEES6_PlJNSB_9not_fun_tINSB_14equal_to_valueIsEEEEEEE10hipError_tPvRmT3_T4_T5_T6_T7_T9_mT8_P12ihipStream_tbDpT10_ENKUlT_T0_E_clISt17integral_constantIbLb0EES1A_IbLb1EEEEDaS16_S17_EUlS16_E_NS1_11comp_targetILNS1_3genE4ELNS1_11target_archE910ELNS1_3gpuE8ELNS1_3repE0EEENS1_30default_config_static_selectorELNS0_4arch9wavefront6targetE0EEEvT1_
		.amdhsa_group_segment_fixed_size 0
		.amdhsa_private_segment_fixed_size 0
		.amdhsa_kernarg_size 136
		.amdhsa_user_sgpr_count 2
		.amdhsa_user_sgpr_dispatch_ptr 0
		.amdhsa_user_sgpr_queue_ptr 0
		.amdhsa_user_sgpr_kernarg_segment_ptr 1
		.amdhsa_user_sgpr_dispatch_id 0
		.amdhsa_user_sgpr_private_segment_size 0
		.amdhsa_wavefront_size32 1
		.amdhsa_uses_dynamic_stack 0
		.amdhsa_enable_private_segment 0
		.amdhsa_system_sgpr_workgroup_id_x 1
		.amdhsa_system_sgpr_workgroup_id_y 0
		.amdhsa_system_sgpr_workgroup_id_z 0
		.amdhsa_system_sgpr_workgroup_info 0
		.amdhsa_system_vgpr_workitem_id 0
		.amdhsa_next_free_vgpr 1
		.amdhsa_next_free_sgpr 1
		.amdhsa_reserve_vcc 0
		.amdhsa_float_round_mode_32 0
		.amdhsa_float_round_mode_16_64 0
		.amdhsa_float_denorm_mode_32 3
		.amdhsa_float_denorm_mode_16_64 3
		.amdhsa_fp16_overflow 0
		.amdhsa_workgroup_processor_mode 1
		.amdhsa_memory_ordered 1
		.amdhsa_forward_progress 1
		.amdhsa_inst_pref_size 0
		.amdhsa_round_robin_scheduling 0
		.amdhsa_exception_fp_ieee_invalid_op 0
		.amdhsa_exception_fp_denorm_src 0
		.amdhsa_exception_fp_ieee_div_zero 0
		.amdhsa_exception_fp_ieee_overflow 0
		.amdhsa_exception_fp_ieee_underflow 0
		.amdhsa_exception_fp_ieee_inexact 0
		.amdhsa_exception_int_div_zero 0
	.end_amdhsa_kernel
	.section	.text._ZN7rocprim17ROCPRIM_400000_NS6detail17trampoline_kernelINS0_14default_configENS1_25partition_config_selectorILNS1_17partition_subalgoE6EsNS0_10empty_typeEbEEZZNS1_14partition_implILS5_6ELb0ES3_mN6thrust23THRUST_200600_302600_NS6detail15normal_iteratorINSA_10device_ptrIsEEEEPS6_SG_NS0_5tupleIJNSA_16discard_iteratorINSA_11use_defaultEEES6_EEENSH_IJSG_SG_EEES6_PlJNSB_9not_fun_tINSB_14equal_to_valueIsEEEEEEE10hipError_tPvRmT3_T4_T5_T6_T7_T9_mT8_P12ihipStream_tbDpT10_ENKUlT_T0_E_clISt17integral_constantIbLb0EES1A_IbLb1EEEEDaS16_S17_EUlS16_E_NS1_11comp_targetILNS1_3genE4ELNS1_11target_archE910ELNS1_3gpuE8ELNS1_3repE0EEENS1_30default_config_static_selectorELNS0_4arch9wavefront6targetE0EEEvT1_,"axG",@progbits,_ZN7rocprim17ROCPRIM_400000_NS6detail17trampoline_kernelINS0_14default_configENS1_25partition_config_selectorILNS1_17partition_subalgoE6EsNS0_10empty_typeEbEEZZNS1_14partition_implILS5_6ELb0ES3_mN6thrust23THRUST_200600_302600_NS6detail15normal_iteratorINSA_10device_ptrIsEEEEPS6_SG_NS0_5tupleIJNSA_16discard_iteratorINSA_11use_defaultEEES6_EEENSH_IJSG_SG_EEES6_PlJNSB_9not_fun_tINSB_14equal_to_valueIsEEEEEEE10hipError_tPvRmT3_T4_T5_T6_T7_T9_mT8_P12ihipStream_tbDpT10_ENKUlT_T0_E_clISt17integral_constantIbLb0EES1A_IbLb1EEEEDaS16_S17_EUlS16_E_NS1_11comp_targetILNS1_3genE4ELNS1_11target_archE910ELNS1_3gpuE8ELNS1_3repE0EEENS1_30default_config_static_selectorELNS0_4arch9wavefront6targetE0EEEvT1_,comdat
.Lfunc_end1815:
	.size	_ZN7rocprim17ROCPRIM_400000_NS6detail17trampoline_kernelINS0_14default_configENS1_25partition_config_selectorILNS1_17partition_subalgoE6EsNS0_10empty_typeEbEEZZNS1_14partition_implILS5_6ELb0ES3_mN6thrust23THRUST_200600_302600_NS6detail15normal_iteratorINSA_10device_ptrIsEEEEPS6_SG_NS0_5tupleIJNSA_16discard_iteratorINSA_11use_defaultEEES6_EEENSH_IJSG_SG_EEES6_PlJNSB_9not_fun_tINSB_14equal_to_valueIsEEEEEEE10hipError_tPvRmT3_T4_T5_T6_T7_T9_mT8_P12ihipStream_tbDpT10_ENKUlT_T0_E_clISt17integral_constantIbLb0EES1A_IbLb1EEEEDaS16_S17_EUlS16_E_NS1_11comp_targetILNS1_3genE4ELNS1_11target_archE910ELNS1_3gpuE8ELNS1_3repE0EEENS1_30default_config_static_selectorELNS0_4arch9wavefront6targetE0EEEvT1_, .Lfunc_end1815-_ZN7rocprim17ROCPRIM_400000_NS6detail17trampoline_kernelINS0_14default_configENS1_25partition_config_selectorILNS1_17partition_subalgoE6EsNS0_10empty_typeEbEEZZNS1_14partition_implILS5_6ELb0ES3_mN6thrust23THRUST_200600_302600_NS6detail15normal_iteratorINSA_10device_ptrIsEEEEPS6_SG_NS0_5tupleIJNSA_16discard_iteratorINSA_11use_defaultEEES6_EEENSH_IJSG_SG_EEES6_PlJNSB_9not_fun_tINSB_14equal_to_valueIsEEEEEEE10hipError_tPvRmT3_T4_T5_T6_T7_T9_mT8_P12ihipStream_tbDpT10_ENKUlT_T0_E_clISt17integral_constantIbLb0EES1A_IbLb1EEEEDaS16_S17_EUlS16_E_NS1_11comp_targetILNS1_3genE4ELNS1_11target_archE910ELNS1_3gpuE8ELNS1_3repE0EEENS1_30default_config_static_selectorELNS0_4arch9wavefront6targetE0EEEvT1_
                                        ; -- End function
	.set _ZN7rocprim17ROCPRIM_400000_NS6detail17trampoline_kernelINS0_14default_configENS1_25partition_config_selectorILNS1_17partition_subalgoE6EsNS0_10empty_typeEbEEZZNS1_14partition_implILS5_6ELb0ES3_mN6thrust23THRUST_200600_302600_NS6detail15normal_iteratorINSA_10device_ptrIsEEEEPS6_SG_NS0_5tupleIJNSA_16discard_iteratorINSA_11use_defaultEEES6_EEENSH_IJSG_SG_EEES6_PlJNSB_9not_fun_tINSB_14equal_to_valueIsEEEEEEE10hipError_tPvRmT3_T4_T5_T6_T7_T9_mT8_P12ihipStream_tbDpT10_ENKUlT_T0_E_clISt17integral_constantIbLb0EES1A_IbLb1EEEEDaS16_S17_EUlS16_E_NS1_11comp_targetILNS1_3genE4ELNS1_11target_archE910ELNS1_3gpuE8ELNS1_3repE0EEENS1_30default_config_static_selectorELNS0_4arch9wavefront6targetE0EEEvT1_.num_vgpr, 0
	.set _ZN7rocprim17ROCPRIM_400000_NS6detail17trampoline_kernelINS0_14default_configENS1_25partition_config_selectorILNS1_17partition_subalgoE6EsNS0_10empty_typeEbEEZZNS1_14partition_implILS5_6ELb0ES3_mN6thrust23THRUST_200600_302600_NS6detail15normal_iteratorINSA_10device_ptrIsEEEEPS6_SG_NS0_5tupleIJNSA_16discard_iteratorINSA_11use_defaultEEES6_EEENSH_IJSG_SG_EEES6_PlJNSB_9not_fun_tINSB_14equal_to_valueIsEEEEEEE10hipError_tPvRmT3_T4_T5_T6_T7_T9_mT8_P12ihipStream_tbDpT10_ENKUlT_T0_E_clISt17integral_constantIbLb0EES1A_IbLb1EEEEDaS16_S17_EUlS16_E_NS1_11comp_targetILNS1_3genE4ELNS1_11target_archE910ELNS1_3gpuE8ELNS1_3repE0EEENS1_30default_config_static_selectorELNS0_4arch9wavefront6targetE0EEEvT1_.num_agpr, 0
	.set _ZN7rocprim17ROCPRIM_400000_NS6detail17trampoline_kernelINS0_14default_configENS1_25partition_config_selectorILNS1_17partition_subalgoE6EsNS0_10empty_typeEbEEZZNS1_14partition_implILS5_6ELb0ES3_mN6thrust23THRUST_200600_302600_NS6detail15normal_iteratorINSA_10device_ptrIsEEEEPS6_SG_NS0_5tupleIJNSA_16discard_iteratorINSA_11use_defaultEEES6_EEENSH_IJSG_SG_EEES6_PlJNSB_9not_fun_tINSB_14equal_to_valueIsEEEEEEE10hipError_tPvRmT3_T4_T5_T6_T7_T9_mT8_P12ihipStream_tbDpT10_ENKUlT_T0_E_clISt17integral_constantIbLb0EES1A_IbLb1EEEEDaS16_S17_EUlS16_E_NS1_11comp_targetILNS1_3genE4ELNS1_11target_archE910ELNS1_3gpuE8ELNS1_3repE0EEENS1_30default_config_static_selectorELNS0_4arch9wavefront6targetE0EEEvT1_.numbered_sgpr, 0
	.set _ZN7rocprim17ROCPRIM_400000_NS6detail17trampoline_kernelINS0_14default_configENS1_25partition_config_selectorILNS1_17partition_subalgoE6EsNS0_10empty_typeEbEEZZNS1_14partition_implILS5_6ELb0ES3_mN6thrust23THRUST_200600_302600_NS6detail15normal_iteratorINSA_10device_ptrIsEEEEPS6_SG_NS0_5tupleIJNSA_16discard_iteratorINSA_11use_defaultEEES6_EEENSH_IJSG_SG_EEES6_PlJNSB_9not_fun_tINSB_14equal_to_valueIsEEEEEEE10hipError_tPvRmT3_T4_T5_T6_T7_T9_mT8_P12ihipStream_tbDpT10_ENKUlT_T0_E_clISt17integral_constantIbLb0EES1A_IbLb1EEEEDaS16_S17_EUlS16_E_NS1_11comp_targetILNS1_3genE4ELNS1_11target_archE910ELNS1_3gpuE8ELNS1_3repE0EEENS1_30default_config_static_selectorELNS0_4arch9wavefront6targetE0EEEvT1_.num_named_barrier, 0
	.set _ZN7rocprim17ROCPRIM_400000_NS6detail17trampoline_kernelINS0_14default_configENS1_25partition_config_selectorILNS1_17partition_subalgoE6EsNS0_10empty_typeEbEEZZNS1_14partition_implILS5_6ELb0ES3_mN6thrust23THRUST_200600_302600_NS6detail15normal_iteratorINSA_10device_ptrIsEEEEPS6_SG_NS0_5tupleIJNSA_16discard_iteratorINSA_11use_defaultEEES6_EEENSH_IJSG_SG_EEES6_PlJNSB_9not_fun_tINSB_14equal_to_valueIsEEEEEEE10hipError_tPvRmT3_T4_T5_T6_T7_T9_mT8_P12ihipStream_tbDpT10_ENKUlT_T0_E_clISt17integral_constantIbLb0EES1A_IbLb1EEEEDaS16_S17_EUlS16_E_NS1_11comp_targetILNS1_3genE4ELNS1_11target_archE910ELNS1_3gpuE8ELNS1_3repE0EEENS1_30default_config_static_selectorELNS0_4arch9wavefront6targetE0EEEvT1_.private_seg_size, 0
	.set _ZN7rocprim17ROCPRIM_400000_NS6detail17trampoline_kernelINS0_14default_configENS1_25partition_config_selectorILNS1_17partition_subalgoE6EsNS0_10empty_typeEbEEZZNS1_14partition_implILS5_6ELb0ES3_mN6thrust23THRUST_200600_302600_NS6detail15normal_iteratorINSA_10device_ptrIsEEEEPS6_SG_NS0_5tupleIJNSA_16discard_iteratorINSA_11use_defaultEEES6_EEENSH_IJSG_SG_EEES6_PlJNSB_9not_fun_tINSB_14equal_to_valueIsEEEEEEE10hipError_tPvRmT3_T4_T5_T6_T7_T9_mT8_P12ihipStream_tbDpT10_ENKUlT_T0_E_clISt17integral_constantIbLb0EES1A_IbLb1EEEEDaS16_S17_EUlS16_E_NS1_11comp_targetILNS1_3genE4ELNS1_11target_archE910ELNS1_3gpuE8ELNS1_3repE0EEENS1_30default_config_static_selectorELNS0_4arch9wavefront6targetE0EEEvT1_.uses_vcc, 0
	.set _ZN7rocprim17ROCPRIM_400000_NS6detail17trampoline_kernelINS0_14default_configENS1_25partition_config_selectorILNS1_17partition_subalgoE6EsNS0_10empty_typeEbEEZZNS1_14partition_implILS5_6ELb0ES3_mN6thrust23THRUST_200600_302600_NS6detail15normal_iteratorINSA_10device_ptrIsEEEEPS6_SG_NS0_5tupleIJNSA_16discard_iteratorINSA_11use_defaultEEES6_EEENSH_IJSG_SG_EEES6_PlJNSB_9not_fun_tINSB_14equal_to_valueIsEEEEEEE10hipError_tPvRmT3_T4_T5_T6_T7_T9_mT8_P12ihipStream_tbDpT10_ENKUlT_T0_E_clISt17integral_constantIbLb0EES1A_IbLb1EEEEDaS16_S17_EUlS16_E_NS1_11comp_targetILNS1_3genE4ELNS1_11target_archE910ELNS1_3gpuE8ELNS1_3repE0EEENS1_30default_config_static_selectorELNS0_4arch9wavefront6targetE0EEEvT1_.uses_flat_scratch, 0
	.set _ZN7rocprim17ROCPRIM_400000_NS6detail17trampoline_kernelINS0_14default_configENS1_25partition_config_selectorILNS1_17partition_subalgoE6EsNS0_10empty_typeEbEEZZNS1_14partition_implILS5_6ELb0ES3_mN6thrust23THRUST_200600_302600_NS6detail15normal_iteratorINSA_10device_ptrIsEEEEPS6_SG_NS0_5tupleIJNSA_16discard_iteratorINSA_11use_defaultEEES6_EEENSH_IJSG_SG_EEES6_PlJNSB_9not_fun_tINSB_14equal_to_valueIsEEEEEEE10hipError_tPvRmT3_T4_T5_T6_T7_T9_mT8_P12ihipStream_tbDpT10_ENKUlT_T0_E_clISt17integral_constantIbLb0EES1A_IbLb1EEEEDaS16_S17_EUlS16_E_NS1_11comp_targetILNS1_3genE4ELNS1_11target_archE910ELNS1_3gpuE8ELNS1_3repE0EEENS1_30default_config_static_selectorELNS0_4arch9wavefront6targetE0EEEvT1_.has_dyn_sized_stack, 0
	.set _ZN7rocprim17ROCPRIM_400000_NS6detail17trampoline_kernelINS0_14default_configENS1_25partition_config_selectorILNS1_17partition_subalgoE6EsNS0_10empty_typeEbEEZZNS1_14partition_implILS5_6ELb0ES3_mN6thrust23THRUST_200600_302600_NS6detail15normal_iteratorINSA_10device_ptrIsEEEEPS6_SG_NS0_5tupleIJNSA_16discard_iteratorINSA_11use_defaultEEES6_EEENSH_IJSG_SG_EEES6_PlJNSB_9not_fun_tINSB_14equal_to_valueIsEEEEEEE10hipError_tPvRmT3_T4_T5_T6_T7_T9_mT8_P12ihipStream_tbDpT10_ENKUlT_T0_E_clISt17integral_constantIbLb0EES1A_IbLb1EEEEDaS16_S17_EUlS16_E_NS1_11comp_targetILNS1_3genE4ELNS1_11target_archE910ELNS1_3gpuE8ELNS1_3repE0EEENS1_30default_config_static_selectorELNS0_4arch9wavefront6targetE0EEEvT1_.has_recursion, 0
	.set _ZN7rocprim17ROCPRIM_400000_NS6detail17trampoline_kernelINS0_14default_configENS1_25partition_config_selectorILNS1_17partition_subalgoE6EsNS0_10empty_typeEbEEZZNS1_14partition_implILS5_6ELb0ES3_mN6thrust23THRUST_200600_302600_NS6detail15normal_iteratorINSA_10device_ptrIsEEEEPS6_SG_NS0_5tupleIJNSA_16discard_iteratorINSA_11use_defaultEEES6_EEENSH_IJSG_SG_EEES6_PlJNSB_9not_fun_tINSB_14equal_to_valueIsEEEEEEE10hipError_tPvRmT3_T4_T5_T6_T7_T9_mT8_P12ihipStream_tbDpT10_ENKUlT_T0_E_clISt17integral_constantIbLb0EES1A_IbLb1EEEEDaS16_S17_EUlS16_E_NS1_11comp_targetILNS1_3genE4ELNS1_11target_archE910ELNS1_3gpuE8ELNS1_3repE0EEENS1_30default_config_static_selectorELNS0_4arch9wavefront6targetE0EEEvT1_.has_indirect_call, 0
	.section	.AMDGPU.csdata,"",@progbits
; Kernel info:
; codeLenInByte = 0
; TotalNumSgprs: 0
; NumVgprs: 0
; ScratchSize: 0
; MemoryBound: 0
; FloatMode: 240
; IeeeMode: 1
; LDSByteSize: 0 bytes/workgroup (compile time only)
; SGPRBlocks: 0
; VGPRBlocks: 0
; NumSGPRsForWavesPerEU: 1
; NumVGPRsForWavesPerEU: 1
; Occupancy: 16
; WaveLimiterHint : 0
; COMPUTE_PGM_RSRC2:SCRATCH_EN: 0
; COMPUTE_PGM_RSRC2:USER_SGPR: 2
; COMPUTE_PGM_RSRC2:TRAP_HANDLER: 0
; COMPUTE_PGM_RSRC2:TGID_X_EN: 1
; COMPUTE_PGM_RSRC2:TGID_Y_EN: 0
; COMPUTE_PGM_RSRC2:TGID_Z_EN: 0
; COMPUTE_PGM_RSRC2:TIDIG_COMP_CNT: 0
	.section	.text._ZN7rocprim17ROCPRIM_400000_NS6detail17trampoline_kernelINS0_14default_configENS1_25partition_config_selectorILNS1_17partition_subalgoE6EsNS0_10empty_typeEbEEZZNS1_14partition_implILS5_6ELb0ES3_mN6thrust23THRUST_200600_302600_NS6detail15normal_iteratorINSA_10device_ptrIsEEEEPS6_SG_NS0_5tupleIJNSA_16discard_iteratorINSA_11use_defaultEEES6_EEENSH_IJSG_SG_EEES6_PlJNSB_9not_fun_tINSB_14equal_to_valueIsEEEEEEE10hipError_tPvRmT3_T4_T5_T6_T7_T9_mT8_P12ihipStream_tbDpT10_ENKUlT_T0_E_clISt17integral_constantIbLb0EES1A_IbLb1EEEEDaS16_S17_EUlS16_E_NS1_11comp_targetILNS1_3genE3ELNS1_11target_archE908ELNS1_3gpuE7ELNS1_3repE0EEENS1_30default_config_static_selectorELNS0_4arch9wavefront6targetE0EEEvT1_,"axG",@progbits,_ZN7rocprim17ROCPRIM_400000_NS6detail17trampoline_kernelINS0_14default_configENS1_25partition_config_selectorILNS1_17partition_subalgoE6EsNS0_10empty_typeEbEEZZNS1_14partition_implILS5_6ELb0ES3_mN6thrust23THRUST_200600_302600_NS6detail15normal_iteratorINSA_10device_ptrIsEEEEPS6_SG_NS0_5tupleIJNSA_16discard_iteratorINSA_11use_defaultEEES6_EEENSH_IJSG_SG_EEES6_PlJNSB_9not_fun_tINSB_14equal_to_valueIsEEEEEEE10hipError_tPvRmT3_T4_T5_T6_T7_T9_mT8_P12ihipStream_tbDpT10_ENKUlT_T0_E_clISt17integral_constantIbLb0EES1A_IbLb1EEEEDaS16_S17_EUlS16_E_NS1_11comp_targetILNS1_3genE3ELNS1_11target_archE908ELNS1_3gpuE7ELNS1_3repE0EEENS1_30default_config_static_selectorELNS0_4arch9wavefront6targetE0EEEvT1_,comdat
	.protected	_ZN7rocprim17ROCPRIM_400000_NS6detail17trampoline_kernelINS0_14default_configENS1_25partition_config_selectorILNS1_17partition_subalgoE6EsNS0_10empty_typeEbEEZZNS1_14partition_implILS5_6ELb0ES3_mN6thrust23THRUST_200600_302600_NS6detail15normal_iteratorINSA_10device_ptrIsEEEEPS6_SG_NS0_5tupleIJNSA_16discard_iteratorINSA_11use_defaultEEES6_EEENSH_IJSG_SG_EEES6_PlJNSB_9not_fun_tINSB_14equal_to_valueIsEEEEEEE10hipError_tPvRmT3_T4_T5_T6_T7_T9_mT8_P12ihipStream_tbDpT10_ENKUlT_T0_E_clISt17integral_constantIbLb0EES1A_IbLb1EEEEDaS16_S17_EUlS16_E_NS1_11comp_targetILNS1_3genE3ELNS1_11target_archE908ELNS1_3gpuE7ELNS1_3repE0EEENS1_30default_config_static_selectorELNS0_4arch9wavefront6targetE0EEEvT1_ ; -- Begin function _ZN7rocprim17ROCPRIM_400000_NS6detail17trampoline_kernelINS0_14default_configENS1_25partition_config_selectorILNS1_17partition_subalgoE6EsNS0_10empty_typeEbEEZZNS1_14partition_implILS5_6ELb0ES3_mN6thrust23THRUST_200600_302600_NS6detail15normal_iteratorINSA_10device_ptrIsEEEEPS6_SG_NS0_5tupleIJNSA_16discard_iteratorINSA_11use_defaultEEES6_EEENSH_IJSG_SG_EEES6_PlJNSB_9not_fun_tINSB_14equal_to_valueIsEEEEEEE10hipError_tPvRmT3_T4_T5_T6_T7_T9_mT8_P12ihipStream_tbDpT10_ENKUlT_T0_E_clISt17integral_constantIbLb0EES1A_IbLb1EEEEDaS16_S17_EUlS16_E_NS1_11comp_targetILNS1_3genE3ELNS1_11target_archE908ELNS1_3gpuE7ELNS1_3repE0EEENS1_30default_config_static_selectorELNS0_4arch9wavefront6targetE0EEEvT1_
	.globl	_ZN7rocprim17ROCPRIM_400000_NS6detail17trampoline_kernelINS0_14default_configENS1_25partition_config_selectorILNS1_17partition_subalgoE6EsNS0_10empty_typeEbEEZZNS1_14partition_implILS5_6ELb0ES3_mN6thrust23THRUST_200600_302600_NS6detail15normal_iteratorINSA_10device_ptrIsEEEEPS6_SG_NS0_5tupleIJNSA_16discard_iteratorINSA_11use_defaultEEES6_EEENSH_IJSG_SG_EEES6_PlJNSB_9not_fun_tINSB_14equal_to_valueIsEEEEEEE10hipError_tPvRmT3_T4_T5_T6_T7_T9_mT8_P12ihipStream_tbDpT10_ENKUlT_T0_E_clISt17integral_constantIbLb0EES1A_IbLb1EEEEDaS16_S17_EUlS16_E_NS1_11comp_targetILNS1_3genE3ELNS1_11target_archE908ELNS1_3gpuE7ELNS1_3repE0EEENS1_30default_config_static_selectorELNS0_4arch9wavefront6targetE0EEEvT1_
	.p2align	8
	.type	_ZN7rocprim17ROCPRIM_400000_NS6detail17trampoline_kernelINS0_14default_configENS1_25partition_config_selectorILNS1_17partition_subalgoE6EsNS0_10empty_typeEbEEZZNS1_14partition_implILS5_6ELb0ES3_mN6thrust23THRUST_200600_302600_NS6detail15normal_iteratorINSA_10device_ptrIsEEEEPS6_SG_NS0_5tupleIJNSA_16discard_iteratorINSA_11use_defaultEEES6_EEENSH_IJSG_SG_EEES6_PlJNSB_9not_fun_tINSB_14equal_to_valueIsEEEEEEE10hipError_tPvRmT3_T4_T5_T6_T7_T9_mT8_P12ihipStream_tbDpT10_ENKUlT_T0_E_clISt17integral_constantIbLb0EES1A_IbLb1EEEEDaS16_S17_EUlS16_E_NS1_11comp_targetILNS1_3genE3ELNS1_11target_archE908ELNS1_3gpuE7ELNS1_3repE0EEENS1_30default_config_static_selectorELNS0_4arch9wavefront6targetE0EEEvT1_,@function
_ZN7rocprim17ROCPRIM_400000_NS6detail17trampoline_kernelINS0_14default_configENS1_25partition_config_selectorILNS1_17partition_subalgoE6EsNS0_10empty_typeEbEEZZNS1_14partition_implILS5_6ELb0ES3_mN6thrust23THRUST_200600_302600_NS6detail15normal_iteratorINSA_10device_ptrIsEEEEPS6_SG_NS0_5tupleIJNSA_16discard_iteratorINSA_11use_defaultEEES6_EEENSH_IJSG_SG_EEES6_PlJNSB_9not_fun_tINSB_14equal_to_valueIsEEEEEEE10hipError_tPvRmT3_T4_T5_T6_T7_T9_mT8_P12ihipStream_tbDpT10_ENKUlT_T0_E_clISt17integral_constantIbLb0EES1A_IbLb1EEEEDaS16_S17_EUlS16_E_NS1_11comp_targetILNS1_3genE3ELNS1_11target_archE908ELNS1_3gpuE7ELNS1_3repE0EEENS1_30default_config_static_selectorELNS0_4arch9wavefront6targetE0EEEvT1_: ; @_ZN7rocprim17ROCPRIM_400000_NS6detail17trampoline_kernelINS0_14default_configENS1_25partition_config_selectorILNS1_17partition_subalgoE6EsNS0_10empty_typeEbEEZZNS1_14partition_implILS5_6ELb0ES3_mN6thrust23THRUST_200600_302600_NS6detail15normal_iteratorINSA_10device_ptrIsEEEEPS6_SG_NS0_5tupleIJNSA_16discard_iteratorINSA_11use_defaultEEES6_EEENSH_IJSG_SG_EEES6_PlJNSB_9not_fun_tINSB_14equal_to_valueIsEEEEEEE10hipError_tPvRmT3_T4_T5_T6_T7_T9_mT8_P12ihipStream_tbDpT10_ENKUlT_T0_E_clISt17integral_constantIbLb0EES1A_IbLb1EEEEDaS16_S17_EUlS16_E_NS1_11comp_targetILNS1_3genE3ELNS1_11target_archE908ELNS1_3gpuE7ELNS1_3repE0EEENS1_30default_config_static_selectorELNS0_4arch9wavefront6targetE0EEEvT1_
; %bb.0:
	.section	.rodata,"a",@progbits
	.p2align	6, 0x0
	.amdhsa_kernel _ZN7rocprim17ROCPRIM_400000_NS6detail17trampoline_kernelINS0_14default_configENS1_25partition_config_selectorILNS1_17partition_subalgoE6EsNS0_10empty_typeEbEEZZNS1_14partition_implILS5_6ELb0ES3_mN6thrust23THRUST_200600_302600_NS6detail15normal_iteratorINSA_10device_ptrIsEEEEPS6_SG_NS0_5tupleIJNSA_16discard_iteratorINSA_11use_defaultEEES6_EEENSH_IJSG_SG_EEES6_PlJNSB_9not_fun_tINSB_14equal_to_valueIsEEEEEEE10hipError_tPvRmT3_T4_T5_T6_T7_T9_mT8_P12ihipStream_tbDpT10_ENKUlT_T0_E_clISt17integral_constantIbLb0EES1A_IbLb1EEEEDaS16_S17_EUlS16_E_NS1_11comp_targetILNS1_3genE3ELNS1_11target_archE908ELNS1_3gpuE7ELNS1_3repE0EEENS1_30default_config_static_selectorELNS0_4arch9wavefront6targetE0EEEvT1_
		.amdhsa_group_segment_fixed_size 0
		.amdhsa_private_segment_fixed_size 0
		.amdhsa_kernarg_size 136
		.amdhsa_user_sgpr_count 2
		.amdhsa_user_sgpr_dispatch_ptr 0
		.amdhsa_user_sgpr_queue_ptr 0
		.amdhsa_user_sgpr_kernarg_segment_ptr 1
		.amdhsa_user_sgpr_dispatch_id 0
		.amdhsa_user_sgpr_private_segment_size 0
		.amdhsa_wavefront_size32 1
		.amdhsa_uses_dynamic_stack 0
		.amdhsa_enable_private_segment 0
		.amdhsa_system_sgpr_workgroup_id_x 1
		.amdhsa_system_sgpr_workgroup_id_y 0
		.amdhsa_system_sgpr_workgroup_id_z 0
		.amdhsa_system_sgpr_workgroup_info 0
		.amdhsa_system_vgpr_workitem_id 0
		.amdhsa_next_free_vgpr 1
		.amdhsa_next_free_sgpr 1
		.amdhsa_reserve_vcc 0
		.amdhsa_float_round_mode_32 0
		.amdhsa_float_round_mode_16_64 0
		.amdhsa_float_denorm_mode_32 3
		.amdhsa_float_denorm_mode_16_64 3
		.amdhsa_fp16_overflow 0
		.amdhsa_workgroup_processor_mode 1
		.amdhsa_memory_ordered 1
		.amdhsa_forward_progress 1
		.amdhsa_inst_pref_size 0
		.amdhsa_round_robin_scheduling 0
		.amdhsa_exception_fp_ieee_invalid_op 0
		.amdhsa_exception_fp_denorm_src 0
		.amdhsa_exception_fp_ieee_div_zero 0
		.amdhsa_exception_fp_ieee_overflow 0
		.amdhsa_exception_fp_ieee_underflow 0
		.amdhsa_exception_fp_ieee_inexact 0
		.amdhsa_exception_int_div_zero 0
	.end_amdhsa_kernel
	.section	.text._ZN7rocprim17ROCPRIM_400000_NS6detail17trampoline_kernelINS0_14default_configENS1_25partition_config_selectorILNS1_17partition_subalgoE6EsNS0_10empty_typeEbEEZZNS1_14partition_implILS5_6ELb0ES3_mN6thrust23THRUST_200600_302600_NS6detail15normal_iteratorINSA_10device_ptrIsEEEEPS6_SG_NS0_5tupleIJNSA_16discard_iteratorINSA_11use_defaultEEES6_EEENSH_IJSG_SG_EEES6_PlJNSB_9not_fun_tINSB_14equal_to_valueIsEEEEEEE10hipError_tPvRmT3_T4_T5_T6_T7_T9_mT8_P12ihipStream_tbDpT10_ENKUlT_T0_E_clISt17integral_constantIbLb0EES1A_IbLb1EEEEDaS16_S17_EUlS16_E_NS1_11comp_targetILNS1_3genE3ELNS1_11target_archE908ELNS1_3gpuE7ELNS1_3repE0EEENS1_30default_config_static_selectorELNS0_4arch9wavefront6targetE0EEEvT1_,"axG",@progbits,_ZN7rocprim17ROCPRIM_400000_NS6detail17trampoline_kernelINS0_14default_configENS1_25partition_config_selectorILNS1_17partition_subalgoE6EsNS0_10empty_typeEbEEZZNS1_14partition_implILS5_6ELb0ES3_mN6thrust23THRUST_200600_302600_NS6detail15normal_iteratorINSA_10device_ptrIsEEEEPS6_SG_NS0_5tupleIJNSA_16discard_iteratorINSA_11use_defaultEEES6_EEENSH_IJSG_SG_EEES6_PlJNSB_9not_fun_tINSB_14equal_to_valueIsEEEEEEE10hipError_tPvRmT3_T4_T5_T6_T7_T9_mT8_P12ihipStream_tbDpT10_ENKUlT_T0_E_clISt17integral_constantIbLb0EES1A_IbLb1EEEEDaS16_S17_EUlS16_E_NS1_11comp_targetILNS1_3genE3ELNS1_11target_archE908ELNS1_3gpuE7ELNS1_3repE0EEENS1_30default_config_static_selectorELNS0_4arch9wavefront6targetE0EEEvT1_,comdat
.Lfunc_end1816:
	.size	_ZN7rocprim17ROCPRIM_400000_NS6detail17trampoline_kernelINS0_14default_configENS1_25partition_config_selectorILNS1_17partition_subalgoE6EsNS0_10empty_typeEbEEZZNS1_14partition_implILS5_6ELb0ES3_mN6thrust23THRUST_200600_302600_NS6detail15normal_iteratorINSA_10device_ptrIsEEEEPS6_SG_NS0_5tupleIJNSA_16discard_iteratorINSA_11use_defaultEEES6_EEENSH_IJSG_SG_EEES6_PlJNSB_9not_fun_tINSB_14equal_to_valueIsEEEEEEE10hipError_tPvRmT3_T4_T5_T6_T7_T9_mT8_P12ihipStream_tbDpT10_ENKUlT_T0_E_clISt17integral_constantIbLb0EES1A_IbLb1EEEEDaS16_S17_EUlS16_E_NS1_11comp_targetILNS1_3genE3ELNS1_11target_archE908ELNS1_3gpuE7ELNS1_3repE0EEENS1_30default_config_static_selectorELNS0_4arch9wavefront6targetE0EEEvT1_, .Lfunc_end1816-_ZN7rocprim17ROCPRIM_400000_NS6detail17trampoline_kernelINS0_14default_configENS1_25partition_config_selectorILNS1_17partition_subalgoE6EsNS0_10empty_typeEbEEZZNS1_14partition_implILS5_6ELb0ES3_mN6thrust23THRUST_200600_302600_NS6detail15normal_iteratorINSA_10device_ptrIsEEEEPS6_SG_NS0_5tupleIJNSA_16discard_iteratorINSA_11use_defaultEEES6_EEENSH_IJSG_SG_EEES6_PlJNSB_9not_fun_tINSB_14equal_to_valueIsEEEEEEE10hipError_tPvRmT3_T4_T5_T6_T7_T9_mT8_P12ihipStream_tbDpT10_ENKUlT_T0_E_clISt17integral_constantIbLb0EES1A_IbLb1EEEEDaS16_S17_EUlS16_E_NS1_11comp_targetILNS1_3genE3ELNS1_11target_archE908ELNS1_3gpuE7ELNS1_3repE0EEENS1_30default_config_static_selectorELNS0_4arch9wavefront6targetE0EEEvT1_
                                        ; -- End function
	.set _ZN7rocprim17ROCPRIM_400000_NS6detail17trampoline_kernelINS0_14default_configENS1_25partition_config_selectorILNS1_17partition_subalgoE6EsNS0_10empty_typeEbEEZZNS1_14partition_implILS5_6ELb0ES3_mN6thrust23THRUST_200600_302600_NS6detail15normal_iteratorINSA_10device_ptrIsEEEEPS6_SG_NS0_5tupleIJNSA_16discard_iteratorINSA_11use_defaultEEES6_EEENSH_IJSG_SG_EEES6_PlJNSB_9not_fun_tINSB_14equal_to_valueIsEEEEEEE10hipError_tPvRmT3_T4_T5_T6_T7_T9_mT8_P12ihipStream_tbDpT10_ENKUlT_T0_E_clISt17integral_constantIbLb0EES1A_IbLb1EEEEDaS16_S17_EUlS16_E_NS1_11comp_targetILNS1_3genE3ELNS1_11target_archE908ELNS1_3gpuE7ELNS1_3repE0EEENS1_30default_config_static_selectorELNS0_4arch9wavefront6targetE0EEEvT1_.num_vgpr, 0
	.set _ZN7rocprim17ROCPRIM_400000_NS6detail17trampoline_kernelINS0_14default_configENS1_25partition_config_selectorILNS1_17partition_subalgoE6EsNS0_10empty_typeEbEEZZNS1_14partition_implILS5_6ELb0ES3_mN6thrust23THRUST_200600_302600_NS6detail15normal_iteratorINSA_10device_ptrIsEEEEPS6_SG_NS0_5tupleIJNSA_16discard_iteratorINSA_11use_defaultEEES6_EEENSH_IJSG_SG_EEES6_PlJNSB_9not_fun_tINSB_14equal_to_valueIsEEEEEEE10hipError_tPvRmT3_T4_T5_T6_T7_T9_mT8_P12ihipStream_tbDpT10_ENKUlT_T0_E_clISt17integral_constantIbLb0EES1A_IbLb1EEEEDaS16_S17_EUlS16_E_NS1_11comp_targetILNS1_3genE3ELNS1_11target_archE908ELNS1_3gpuE7ELNS1_3repE0EEENS1_30default_config_static_selectorELNS0_4arch9wavefront6targetE0EEEvT1_.num_agpr, 0
	.set _ZN7rocprim17ROCPRIM_400000_NS6detail17trampoline_kernelINS0_14default_configENS1_25partition_config_selectorILNS1_17partition_subalgoE6EsNS0_10empty_typeEbEEZZNS1_14partition_implILS5_6ELb0ES3_mN6thrust23THRUST_200600_302600_NS6detail15normal_iteratorINSA_10device_ptrIsEEEEPS6_SG_NS0_5tupleIJNSA_16discard_iteratorINSA_11use_defaultEEES6_EEENSH_IJSG_SG_EEES6_PlJNSB_9not_fun_tINSB_14equal_to_valueIsEEEEEEE10hipError_tPvRmT3_T4_T5_T6_T7_T9_mT8_P12ihipStream_tbDpT10_ENKUlT_T0_E_clISt17integral_constantIbLb0EES1A_IbLb1EEEEDaS16_S17_EUlS16_E_NS1_11comp_targetILNS1_3genE3ELNS1_11target_archE908ELNS1_3gpuE7ELNS1_3repE0EEENS1_30default_config_static_selectorELNS0_4arch9wavefront6targetE0EEEvT1_.numbered_sgpr, 0
	.set _ZN7rocprim17ROCPRIM_400000_NS6detail17trampoline_kernelINS0_14default_configENS1_25partition_config_selectorILNS1_17partition_subalgoE6EsNS0_10empty_typeEbEEZZNS1_14partition_implILS5_6ELb0ES3_mN6thrust23THRUST_200600_302600_NS6detail15normal_iteratorINSA_10device_ptrIsEEEEPS6_SG_NS0_5tupleIJNSA_16discard_iteratorINSA_11use_defaultEEES6_EEENSH_IJSG_SG_EEES6_PlJNSB_9not_fun_tINSB_14equal_to_valueIsEEEEEEE10hipError_tPvRmT3_T4_T5_T6_T7_T9_mT8_P12ihipStream_tbDpT10_ENKUlT_T0_E_clISt17integral_constantIbLb0EES1A_IbLb1EEEEDaS16_S17_EUlS16_E_NS1_11comp_targetILNS1_3genE3ELNS1_11target_archE908ELNS1_3gpuE7ELNS1_3repE0EEENS1_30default_config_static_selectorELNS0_4arch9wavefront6targetE0EEEvT1_.num_named_barrier, 0
	.set _ZN7rocprim17ROCPRIM_400000_NS6detail17trampoline_kernelINS0_14default_configENS1_25partition_config_selectorILNS1_17partition_subalgoE6EsNS0_10empty_typeEbEEZZNS1_14partition_implILS5_6ELb0ES3_mN6thrust23THRUST_200600_302600_NS6detail15normal_iteratorINSA_10device_ptrIsEEEEPS6_SG_NS0_5tupleIJNSA_16discard_iteratorINSA_11use_defaultEEES6_EEENSH_IJSG_SG_EEES6_PlJNSB_9not_fun_tINSB_14equal_to_valueIsEEEEEEE10hipError_tPvRmT3_T4_T5_T6_T7_T9_mT8_P12ihipStream_tbDpT10_ENKUlT_T0_E_clISt17integral_constantIbLb0EES1A_IbLb1EEEEDaS16_S17_EUlS16_E_NS1_11comp_targetILNS1_3genE3ELNS1_11target_archE908ELNS1_3gpuE7ELNS1_3repE0EEENS1_30default_config_static_selectorELNS0_4arch9wavefront6targetE0EEEvT1_.private_seg_size, 0
	.set _ZN7rocprim17ROCPRIM_400000_NS6detail17trampoline_kernelINS0_14default_configENS1_25partition_config_selectorILNS1_17partition_subalgoE6EsNS0_10empty_typeEbEEZZNS1_14partition_implILS5_6ELb0ES3_mN6thrust23THRUST_200600_302600_NS6detail15normal_iteratorINSA_10device_ptrIsEEEEPS6_SG_NS0_5tupleIJNSA_16discard_iteratorINSA_11use_defaultEEES6_EEENSH_IJSG_SG_EEES6_PlJNSB_9not_fun_tINSB_14equal_to_valueIsEEEEEEE10hipError_tPvRmT3_T4_T5_T6_T7_T9_mT8_P12ihipStream_tbDpT10_ENKUlT_T0_E_clISt17integral_constantIbLb0EES1A_IbLb1EEEEDaS16_S17_EUlS16_E_NS1_11comp_targetILNS1_3genE3ELNS1_11target_archE908ELNS1_3gpuE7ELNS1_3repE0EEENS1_30default_config_static_selectorELNS0_4arch9wavefront6targetE0EEEvT1_.uses_vcc, 0
	.set _ZN7rocprim17ROCPRIM_400000_NS6detail17trampoline_kernelINS0_14default_configENS1_25partition_config_selectorILNS1_17partition_subalgoE6EsNS0_10empty_typeEbEEZZNS1_14partition_implILS5_6ELb0ES3_mN6thrust23THRUST_200600_302600_NS6detail15normal_iteratorINSA_10device_ptrIsEEEEPS6_SG_NS0_5tupleIJNSA_16discard_iteratorINSA_11use_defaultEEES6_EEENSH_IJSG_SG_EEES6_PlJNSB_9not_fun_tINSB_14equal_to_valueIsEEEEEEE10hipError_tPvRmT3_T4_T5_T6_T7_T9_mT8_P12ihipStream_tbDpT10_ENKUlT_T0_E_clISt17integral_constantIbLb0EES1A_IbLb1EEEEDaS16_S17_EUlS16_E_NS1_11comp_targetILNS1_3genE3ELNS1_11target_archE908ELNS1_3gpuE7ELNS1_3repE0EEENS1_30default_config_static_selectorELNS0_4arch9wavefront6targetE0EEEvT1_.uses_flat_scratch, 0
	.set _ZN7rocprim17ROCPRIM_400000_NS6detail17trampoline_kernelINS0_14default_configENS1_25partition_config_selectorILNS1_17partition_subalgoE6EsNS0_10empty_typeEbEEZZNS1_14partition_implILS5_6ELb0ES3_mN6thrust23THRUST_200600_302600_NS6detail15normal_iteratorINSA_10device_ptrIsEEEEPS6_SG_NS0_5tupleIJNSA_16discard_iteratorINSA_11use_defaultEEES6_EEENSH_IJSG_SG_EEES6_PlJNSB_9not_fun_tINSB_14equal_to_valueIsEEEEEEE10hipError_tPvRmT3_T4_T5_T6_T7_T9_mT8_P12ihipStream_tbDpT10_ENKUlT_T0_E_clISt17integral_constantIbLb0EES1A_IbLb1EEEEDaS16_S17_EUlS16_E_NS1_11comp_targetILNS1_3genE3ELNS1_11target_archE908ELNS1_3gpuE7ELNS1_3repE0EEENS1_30default_config_static_selectorELNS0_4arch9wavefront6targetE0EEEvT1_.has_dyn_sized_stack, 0
	.set _ZN7rocprim17ROCPRIM_400000_NS6detail17trampoline_kernelINS0_14default_configENS1_25partition_config_selectorILNS1_17partition_subalgoE6EsNS0_10empty_typeEbEEZZNS1_14partition_implILS5_6ELb0ES3_mN6thrust23THRUST_200600_302600_NS6detail15normal_iteratorINSA_10device_ptrIsEEEEPS6_SG_NS0_5tupleIJNSA_16discard_iteratorINSA_11use_defaultEEES6_EEENSH_IJSG_SG_EEES6_PlJNSB_9not_fun_tINSB_14equal_to_valueIsEEEEEEE10hipError_tPvRmT3_T4_T5_T6_T7_T9_mT8_P12ihipStream_tbDpT10_ENKUlT_T0_E_clISt17integral_constantIbLb0EES1A_IbLb1EEEEDaS16_S17_EUlS16_E_NS1_11comp_targetILNS1_3genE3ELNS1_11target_archE908ELNS1_3gpuE7ELNS1_3repE0EEENS1_30default_config_static_selectorELNS0_4arch9wavefront6targetE0EEEvT1_.has_recursion, 0
	.set _ZN7rocprim17ROCPRIM_400000_NS6detail17trampoline_kernelINS0_14default_configENS1_25partition_config_selectorILNS1_17partition_subalgoE6EsNS0_10empty_typeEbEEZZNS1_14partition_implILS5_6ELb0ES3_mN6thrust23THRUST_200600_302600_NS6detail15normal_iteratorINSA_10device_ptrIsEEEEPS6_SG_NS0_5tupleIJNSA_16discard_iteratorINSA_11use_defaultEEES6_EEENSH_IJSG_SG_EEES6_PlJNSB_9not_fun_tINSB_14equal_to_valueIsEEEEEEE10hipError_tPvRmT3_T4_T5_T6_T7_T9_mT8_P12ihipStream_tbDpT10_ENKUlT_T0_E_clISt17integral_constantIbLb0EES1A_IbLb1EEEEDaS16_S17_EUlS16_E_NS1_11comp_targetILNS1_3genE3ELNS1_11target_archE908ELNS1_3gpuE7ELNS1_3repE0EEENS1_30default_config_static_selectorELNS0_4arch9wavefront6targetE0EEEvT1_.has_indirect_call, 0
	.section	.AMDGPU.csdata,"",@progbits
; Kernel info:
; codeLenInByte = 0
; TotalNumSgprs: 0
; NumVgprs: 0
; ScratchSize: 0
; MemoryBound: 0
; FloatMode: 240
; IeeeMode: 1
; LDSByteSize: 0 bytes/workgroup (compile time only)
; SGPRBlocks: 0
; VGPRBlocks: 0
; NumSGPRsForWavesPerEU: 1
; NumVGPRsForWavesPerEU: 1
; Occupancy: 16
; WaveLimiterHint : 0
; COMPUTE_PGM_RSRC2:SCRATCH_EN: 0
; COMPUTE_PGM_RSRC2:USER_SGPR: 2
; COMPUTE_PGM_RSRC2:TRAP_HANDLER: 0
; COMPUTE_PGM_RSRC2:TGID_X_EN: 1
; COMPUTE_PGM_RSRC2:TGID_Y_EN: 0
; COMPUTE_PGM_RSRC2:TGID_Z_EN: 0
; COMPUTE_PGM_RSRC2:TIDIG_COMP_CNT: 0
	.section	.text._ZN7rocprim17ROCPRIM_400000_NS6detail17trampoline_kernelINS0_14default_configENS1_25partition_config_selectorILNS1_17partition_subalgoE6EsNS0_10empty_typeEbEEZZNS1_14partition_implILS5_6ELb0ES3_mN6thrust23THRUST_200600_302600_NS6detail15normal_iteratorINSA_10device_ptrIsEEEEPS6_SG_NS0_5tupleIJNSA_16discard_iteratorINSA_11use_defaultEEES6_EEENSH_IJSG_SG_EEES6_PlJNSB_9not_fun_tINSB_14equal_to_valueIsEEEEEEE10hipError_tPvRmT3_T4_T5_T6_T7_T9_mT8_P12ihipStream_tbDpT10_ENKUlT_T0_E_clISt17integral_constantIbLb0EES1A_IbLb1EEEEDaS16_S17_EUlS16_E_NS1_11comp_targetILNS1_3genE2ELNS1_11target_archE906ELNS1_3gpuE6ELNS1_3repE0EEENS1_30default_config_static_selectorELNS0_4arch9wavefront6targetE0EEEvT1_,"axG",@progbits,_ZN7rocprim17ROCPRIM_400000_NS6detail17trampoline_kernelINS0_14default_configENS1_25partition_config_selectorILNS1_17partition_subalgoE6EsNS0_10empty_typeEbEEZZNS1_14partition_implILS5_6ELb0ES3_mN6thrust23THRUST_200600_302600_NS6detail15normal_iteratorINSA_10device_ptrIsEEEEPS6_SG_NS0_5tupleIJNSA_16discard_iteratorINSA_11use_defaultEEES6_EEENSH_IJSG_SG_EEES6_PlJNSB_9not_fun_tINSB_14equal_to_valueIsEEEEEEE10hipError_tPvRmT3_T4_T5_T6_T7_T9_mT8_P12ihipStream_tbDpT10_ENKUlT_T0_E_clISt17integral_constantIbLb0EES1A_IbLb1EEEEDaS16_S17_EUlS16_E_NS1_11comp_targetILNS1_3genE2ELNS1_11target_archE906ELNS1_3gpuE6ELNS1_3repE0EEENS1_30default_config_static_selectorELNS0_4arch9wavefront6targetE0EEEvT1_,comdat
	.protected	_ZN7rocprim17ROCPRIM_400000_NS6detail17trampoline_kernelINS0_14default_configENS1_25partition_config_selectorILNS1_17partition_subalgoE6EsNS0_10empty_typeEbEEZZNS1_14partition_implILS5_6ELb0ES3_mN6thrust23THRUST_200600_302600_NS6detail15normal_iteratorINSA_10device_ptrIsEEEEPS6_SG_NS0_5tupleIJNSA_16discard_iteratorINSA_11use_defaultEEES6_EEENSH_IJSG_SG_EEES6_PlJNSB_9not_fun_tINSB_14equal_to_valueIsEEEEEEE10hipError_tPvRmT3_T4_T5_T6_T7_T9_mT8_P12ihipStream_tbDpT10_ENKUlT_T0_E_clISt17integral_constantIbLb0EES1A_IbLb1EEEEDaS16_S17_EUlS16_E_NS1_11comp_targetILNS1_3genE2ELNS1_11target_archE906ELNS1_3gpuE6ELNS1_3repE0EEENS1_30default_config_static_selectorELNS0_4arch9wavefront6targetE0EEEvT1_ ; -- Begin function _ZN7rocprim17ROCPRIM_400000_NS6detail17trampoline_kernelINS0_14default_configENS1_25partition_config_selectorILNS1_17partition_subalgoE6EsNS0_10empty_typeEbEEZZNS1_14partition_implILS5_6ELb0ES3_mN6thrust23THRUST_200600_302600_NS6detail15normal_iteratorINSA_10device_ptrIsEEEEPS6_SG_NS0_5tupleIJNSA_16discard_iteratorINSA_11use_defaultEEES6_EEENSH_IJSG_SG_EEES6_PlJNSB_9not_fun_tINSB_14equal_to_valueIsEEEEEEE10hipError_tPvRmT3_T4_T5_T6_T7_T9_mT8_P12ihipStream_tbDpT10_ENKUlT_T0_E_clISt17integral_constantIbLb0EES1A_IbLb1EEEEDaS16_S17_EUlS16_E_NS1_11comp_targetILNS1_3genE2ELNS1_11target_archE906ELNS1_3gpuE6ELNS1_3repE0EEENS1_30default_config_static_selectorELNS0_4arch9wavefront6targetE0EEEvT1_
	.globl	_ZN7rocprim17ROCPRIM_400000_NS6detail17trampoline_kernelINS0_14default_configENS1_25partition_config_selectorILNS1_17partition_subalgoE6EsNS0_10empty_typeEbEEZZNS1_14partition_implILS5_6ELb0ES3_mN6thrust23THRUST_200600_302600_NS6detail15normal_iteratorINSA_10device_ptrIsEEEEPS6_SG_NS0_5tupleIJNSA_16discard_iteratorINSA_11use_defaultEEES6_EEENSH_IJSG_SG_EEES6_PlJNSB_9not_fun_tINSB_14equal_to_valueIsEEEEEEE10hipError_tPvRmT3_T4_T5_T6_T7_T9_mT8_P12ihipStream_tbDpT10_ENKUlT_T0_E_clISt17integral_constantIbLb0EES1A_IbLb1EEEEDaS16_S17_EUlS16_E_NS1_11comp_targetILNS1_3genE2ELNS1_11target_archE906ELNS1_3gpuE6ELNS1_3repE0EEENS1_30default_config_static_selectorELNS0_4arch9wavefront6targetE0EEEvT1_
	.p2align	8
	.type	_ZN7rocprim17ROCPRIM_400000_NS6detail17trampoline_kernelINS0_14default_configENS1_25partition_config_selectorILNS1_17partition_subalgoE6EsNS0_10empty_typeEbEEZZNS1_14partition_implILS5_6ELb0ES3_mN6thrust23THRUST_200600_302600_NS6detail15normal_iteratorINSA_10device_ptrIsEEEEPS6_SG_NS0_5tupleIJNSA_16discard_iteratorINSA_11use_defaultEEES6_EEENSH_IJSG_SG_EEES6_PlJNSB_9not_fun_tINSB_14equal_to_valueIsEEEEEEE10hipError_tPvRmT3_T4_T5_T6_T7_T9_mT8_P12ihipStream_tbDpT10_ENKUlT_T0_E_clISt17integral_constantIbLb0EES1A_IbLb1EEEEDaS16_S17_EUlS16_E_NS1_11comp_targetILNS1_3genE2ELNS1_11target_archE906ELNS1_3gpuE6ELNS1_3repE0EEENS1_30default_config_static_selectorELNS0_4arch9wavefront6targetE0EEEvT1_,@function
_ZN7rocprim17ROCPRIM_400000_NS6detail17trampoline_kernelINS0_14default_configENS1_25partition_config_selectorILNS1_17partition_subalgoE6EsNS0_10empty_typeEbEEZZNS1_14partition_implILS5_6ELb0ES3_mN6thrust23THRUST_200600_302600_NS6detail15normal_iteratorINSA_10device_ptrIsEEEEPS6_SG_NS0_5tupleIJNSA_16discard_iteratorINSA_11use_defaultEEES6_EEENSH_IJSG_SG_EEES6_PlJNSB_9not_fun_tINSB_14equal_to_valueIsEEEEEEE10hipError_tPvRmT3_T4_T5_T6_T7_T9_mT8_P12ihipStream_tbDpT10_ENKUlT_T0_E_clISt17integral_constantIbLb0EES1A_IbLb1EEEEDaS16_S17_EUlS16_E_NS1_11comp_targetILNS1_3genE2ELNS1_11target_archE906ELNS1_3gpuE6ELNS1_3repE0EEENS1_30default_config_static_selectorELNS0_4arch9wavefront6targetE0EEEvT1_: ; @_ZN7rocprim17ROCPRIM_400000_NS6detail17trampoline_kernelINS0_14default_configENS1_25partition_config_selectorILNS1_17partition_subalgoE6EsNS0_10empty_typeEbEEZZNS1_14partition_implILS5_6ELb0ES3_mN6thrust23THRUST_200600_302600_NS6detail15normal_iteratorINSA_10device_ptrIsEEEEPS6_SG_NS0_5tupleIJNSA_16discard_iteratorINSA_11use_defaultEEES6_EEENSH_IJSG_SG_EEES6_PlJNSB_9not_fun_tINSB_14equal_to_valueIsEEEEEEE10hipError_tPvRmT3_T4_T5_T6_T7_T9_mT8_P12ihipStream_tbDpT10_ENKUlT_T0_E_clISt17integral_constantIbLb0EES1A_IbLb1EEEEDaS16_S17_EUlS16_E_NS1_11comp_targetILNS1_3genE2ELNS1_11target_archE906ELNS1_3gpuE6ELNS1_3repE0EEENS1_30default_config_static_selectorELNS0_4arch9wavefront6targetE0EEEvT1_
; %bb.0:
	.section	.rodata,"a",@progbits
	.p2align	6, 0x0
	.amdhsa_kernel _ZN7rocprim17ROCPRIM_400000_NS6detail17trampoline_kernelINS0_14default_configENS1_25partition_config_selectorILNS1_17partition_subalgoE6EsNS0_10empty_typeEbEEZZNS1_14partition_implILS5_6ELb0ES3_mN6thrust23THRUST_200600_302600_NS6detail15normal_iteratorINSA_10device_ptrIsEEEEPS6_SG_NS0_5tupleIJNSA_16discard_iteratorINSA_11use_defaultEEES6_EEENSH_IJSG_SG_EEES6_PlJNSB_9not_fun_tINSB_14equal_to_valueIsEEEEEEE10hipError_tPvRmT3_T4_T5_T6_T7_T9_mT8_P12ihipStream_tbDpT10_ENKUlT_T0_E_clISt17integral_constantIbLb0EES1A_IbLb1EEEEDaS16_S17_EUlS16_E_NS1_11comp_targetILNS1_3genE2ELNS1_11target_archE906ELNS1_3gpuE6ELNS1_3repE0EEENS1_30default_config_static_selectorELNS0_4arch9wavefront6targetE0EEEvT1_
		.amdhsa_group_segment_fixed_size 0
		.amdhsa_private_segment_fixed_size 0
		.amdhsa_kernarg_size 136
		.amdhsa_user_sgpr_count 2
		.amdhsa_user_sgpr_dispatch_ptr 0
		.amdhsa_user_sgpr_queue_ptr 0
		.amdhsa_user_sgpr_kernarg_segment_ptr 1
		.amdhsa_user_sgpr_dispatch_id 0
		.amdhsa_user_sgpr_private_segment_size 0
		.amdhsa_wavefront_size32 1
		.amdhsa_uses_dynamic_stack 0
		.amdhsa_enable_private_segment 0
		.amdhsa_system_sgpr_workgroup_id_x 1
		.amdhsa_system_sgpr_workgroup_id_y 0
		.amdhsa_system_sgpr_workgroup_id_z 0
		.amdhsa_system_sgpr_workgroup_info 0
		.amdhsa_system_vgpr_workitem_id 0
		.amdhsa_next_free_vgpr 1
		.amdhsa_next_free_sgpr 1
		.amdhsa_reserve_vcc 0
		.amdhsa_float_round_mode_32 0
		.amdhsa_float_round_mode_16_64 0
		.amdhsa_float_denorm_mode_32 3
		.amdhsa_float_denorm_mode_16_64 3
		.amdhsa_fp16_overflow 0
		.amdhsa_workgroup_processor_mode 1
		.amdhsa_memory_ordered 1
		.amdhsa_forward_progress 1
		.amdhsa_inst_pref_size 0
		.amdhsa_round_robin_scheduling 0
		.amdhsa_exception_fp_ieee_invalid_op 0
		.amdhsa_exception_fp_denorm_src 0
		.amdhsa_exception_fp_ieee_div_zero 0
		.amdhsa_exception_fp_ieee_overflow 0
		.amdhsa_exception_fp_ieee_underflow 0
		.amdhsa_exception_fp_ieee_inexact 0
		.amdhsa_exception_int_div_zero 0
	.end_amdhsa_kernel
	.section	.text._ZN7rocprim17ROCPRIM_400000_NS6detail17trampoline_kernelINS0_14default_configENS1_25partition_config_selectorILNS1_17partition_subalgoE6EsNS0_10empty_typeEbEEZZNS1_14partition_implILS5_6ELb0ES3_mN6thrust23THRUST_200600_302600_NS6detail15normal_iteratorINSA_10device_ptrIsEEEEPS6_SG_NS0_5tupleIJNSA_16discard_iteratorINSA_11use_defaultEEES6_EEENSH_IJSG_SG_EEES6_PlJNSB_9not_fun_tINSB_14equal_to_valueIsEEEEEEE10hipError_tPvRmT3_T4_T5_T6_T7_T9_mT8_P12ihipStream_tbDpT10_ENKUlT_T0_E_clISt17integral_constantIbLb0EES1A_IbLb1EEEEDaS16_S17_EUlS16_E_NS1_11comp_targetILNS1_3genE2ELNS1_11target_archE906ELNS1_3gpuE6ELNS1_3repE0EEENS1_30default_config_static_selectorELNS0_4arch9wavefront6targetE0EEEvT1_,"axG",@progbits,_ZN7rocprim17ROCPRIM_400000_NS6detail17trampoline_kernelINS0_14default_configENS1_25partition_config_selectorILNS1_17partition_subalgoE6EsNS0_10empty_typeEbEEZZNS1_14partition_implILS5_6ELb0ES3_mN6thrust23THRUST_200600_302600_NS6detail15normal_iteratorINSA_10device_ptrIsEEEEPS6_SG_NS0_5tupleIJNSA_16discard_iteratorINSA_11use_defaultEEES6_EEENSH_IJSG_SG_EEES6_PlJNSB_9not_fun_tINSB_14equal_to_valueIsEEEEEEE10hipError_tPvRmT3_T4_T5_T6_T7_T9_mT8_P12ihipStream_tbDpT10_ENKUlT_T0_E_clISt17integral_constantIbLb0EES1A_IbLb1EEEEDaS16_S17_EUlS16_E_NS1_11comp_targetILNS1_3genE2ELNS1_11target_archE906ELNS1_3gpuE6ELNS1_3repE0EEENS1_30default_config_static_selectorELNS0_4arch9wavefront6targetE0EEEvT1_,comdat
.Lfunc_end1817:
	.size	_ZN7rocprim17ROCPRIM_400000_NS6detail17trampoline_kernelINS0_14default_configENS1_25partition_config_selectorILNS1_17partition_subalgoE6EsNS0_10empty_typeEbEEZZNS1_14partition_implILS5_6ELb0ES3_mN6thrust23THRUST_200600_302600_NS6detail15normal_iteratorINSA_10device_ptrIsEEEEPS6_SG_NS0_5tupleIJNSA_16discard_iteratorINSA_11use_defaultEEES6_EEENSH_IJSG_SG_EEES6_PlJNSB_9not_fun_tINSB_14equal_to_valueIsEEEEEEE10hipError_tPvRmT3_T4_T5_T6_T7_T9_mT8_P12ihipStream_tbDpT10_ENKUlT_T0_E_clISt17integral_constantIbLb0EES1A_IbLb1EEEEDaS16_S17_EUlS16_E_NS1_11comp_targetILNS1_3genE2ELNS1_11target_archE906ELNS1_3gpuE6ELNS1_3repE0EEENS1_30default_config_static_selectorELNS0_4arch9wavefront6targetE0EEEvT1_, .Lfunc_end1817-_ZN7rocprim17ROCPRIM_400000_NS6detail17trampoline_kernelINS0_14default_configENS1_25partition_config_selectorILNS1_17partition_subalgoE6EsNS0_10empty_typeEbEEZZNS1_14partition_implILS5_6ELb0ES3_mN6thrust23THRUST_200600_302600_NS6detail15normal_iteratorINSA_10device_ptrIsEEEEPS6_SG_NS0_5tupleIJNSA_16discard_iteratorINSA_11use_defaultEEES6_EEENSH_IJSG_SG_EEES6_PlJNSB_9not_fun_tINSB_14equal_to_valueIsEEEEEEE10hipError_tPvRmT3_T4_T5_T6_T7_T9_mT8_P12ihipStream_tbDpT10_ENKUlT_T0_E_clISt17integral_constantIbLb0EES1A_IbLb1EEEEDaS16_S17_EUlS16_E_NS1_11comp_targetILNS1_3genE2ELNS1_11target_archE906ELNS1_3gpuE6ELNS1_3repE0EEENS1_30default_config_static_selectorELNS0_4arch9wavefront6targetE0EEEvT1_
                                        ; -- End function
	.set _ZN7rocprim17ROCPRIM_400000_NS6detail17trampoline_kernelINS0_14default_configENS1_25partition_config_selectorILNS1_17partition_subalgoE6EsNS0_10empty_typeEbEEZZNS1_14partition_implILS5_6ELb0ES3_mN6thrust23THRUST_200600_302600_NS6detail15normal_iteratorINSA_10device_ptrIsEEEEPS6_SG_NS0_5tupleIJNSA_16discard_iteratorINSA_11use_defaultEEES6_EEENSH_IJSG_SG_EEES6_PlJNSB_9not_fun_tINSB_14equal_to_valueIsEEEEEEE10hipError_tPvRmT3_T4_T5_T6_T7_T9_mT8_P12ihipStream_tbDpT10_ENKUlT_T0_E_clISt17integral_constantIbLb0EES1A_IbLb1EEEEDaS16_S17_EUlS16_E_NS1_11comp_targetILNS1_3genE2ELNS1_11target_archE906ELNS1_3gpuE6ELNS1_3repE0EEENS1_30default_config_static_selectorELNS0_4arch9wavefront6targetE0EEEvT1_.num_vgpr, 0
	.set _ZN7rocprim17ROCPRIM_400000_NS6detail17trampoline_kernelINS0_14default_configENS1_25partition_config_selectorILNS1_17partition_subalgoE6EsNS0_10empty_typeEbEEZZNS1_14partition_implILS5_6ELb0ES3_mN6thrust23THRUST_200600_302600_NS6detail15normal_iteratorINSA_10device_ptrIsEEEEPS6_SG_NS0_5tupleIJNSA_16discard_iteratorINSA_11use_defaultEEES6_EEENSH_IJSG_SG_EEES6_PlJNSB_9not_fun_tINSB_14equal_to_valueIsEEEEEEE10hipError_tPvRmT3_T4_T5_T6_T7_T9_mT8_P12ihipStream_tbDpT10_ENKUlT_T0_E_clISt17integral_constantIbLb0EES1A_IbLb1EEEEDaS16_S17_EUlS16_E_NS1_11comp_targetILNS1_3genE2ELNS1_11target_archE906ELNS1_3gpuE6ELNS1_3repE0EEENS1_30default_config_static_selectorELNS0_4arch9wavefront6targetE0EEEvT1_.num_agpr, 0
	.set _ZN7rocprim17ROCPRIM_400000_NS6detail17trampoline_kernelINS0_14default_configENS1_25partition_config_selectorILNS1_17partition_subalgoE6EsNS0_10empty_typeEbEEZZNS1_14partition_implILS5_6ELb0ES3_mN6thrust23THRUST_200600_302600_NS6detail15normal_iteratorINSA_10device_ptrIsEEEEPS6_SG_NS0_5tupleIJNSA_16discard_iteratorINSA_11use_defaultEEES6_EEENSH_IJSG_SG_EEES6_PlJNSB_9not_fun_tINSB_14equal_to_valueIsEEEEEEE10hipError_tPvRmT3_T4_T5_T6_T7_T9_mT8_P12ihipStream_tbDpT10_ENKUlT_T0_E_clISt17integral_constantIbLb0EES1A_IbLb1EEEEDaS16_S17_EUlS16_E_NS1_11comp_targetILNS1_3genE2ELNS1_11target_archE906ELNS1_3gpuE6ELNS1_3repE0EEENS1_30default_config_static_selectorELNS0_4arch9wavefront6targetE0EEEvT1_.numbered_sgpr, 0
	.set _ZN7rocprim17ROCPRIM_400000_NS6detail17trampoline_kernelINS0_14default_configENS1_25partition_config_selectorILNS1_17partition_subalgoE6EsNS0_10empty_typeEbEEZZNS1_14partition_implILS5_6ELb0ES3_mN6thrust23THRUST_200600_302600_NS6detail15normal_iteratorINSA_10device_ptrIsEEEEPS6_SG_NS0_5tupleIJNSA_16discard_iteratorINSA_11use_defaultEEES6_EEENSH_IJSG_SG_EEES6_PlJNSB_9not_fun_tINSB_14equal_to_valueIsEEEEEEE10hipError_tPvRmT3_T4_T5_T6_T7_T9_mT8_P12ihipStream_tbDpT10_ENKUlT_T0_E_clISt17integral_constantIbLb0EES1A_IbLb1EEEEDaS16_S17_EUlS16_E_NS1_11comp_targetILNS1_3genE2ELNS1_11target_archE906ELNS1_3gpuE6ELNS1_3repE0EEENS1_30default_config_static_selectorELNS0_4arch9wavefront6targetE0EEEvT1_.num_named_barrier, 0
	.set _ZN7rocprim17ROCPRIM_400000_NS6detail17trampoline_kernelINS0_14default_configENS1_25partition_config_selectorILNS1_17partition_subalgoE6EsNS0_10empty_typeEbEEZZNS1_14partition_implILS5_6ELb0ES3_mN6thrust23THRUST_200600_302600_NS6detail15normal_iteratorINSA_10device_ptrIsEEEEPS6_SG_NS0_5tupleIJNSA_16discard_iteratorINSA_11use_defaultEEES6_EEENSH_IJSG_SG_EEES6_PlJNSB_9not_fun_tINSB_14equal_to_valueIsEEEEEEE10hipError_tPvRmT3_T4_T5_T6_T7_T9_mT8_P12ihipStream_tbDpT10_ENKUlT_T0_E_clISt17integral_constantIbLb0EES1A_IbLb1EEEEDaS16_S17_EUlS16_E_NS1_11comp_targetILNS1_3genE2ELNS1_11target_archE906ELNS1_3gpuE6ELNS1_3repE0EEENS1_30default_config_static_selectorELNS0_4arch9wavefront6targetE0EEEvT1_.private_seg_size, 0
	.set _ZN7rocprim17ROCPRIM_400000_NS6detail17trampoline_kernelINS0_14default_configENS1_25partition_config_selectorILNS1_17partition_subalgoE6EsNS0_10empty_typeEbEEZZNS1_14partition_implILS5_6ELb0ES3_mN6thrust23THRUST_200600_302600_NS6detail15normal_iteratorINSA_10device_ptrIsEEEEPS6_SG_NS0_5tupleIJNSA_16discard_iteratorINSA_11use_defaultEEES6_EEENSH_IJSG_SG_EEES6_PlJNSB_9not_fun_tINSB_14equal_to_valueIsEEEEEEE10hipError_tPvRmT3_T4_T5_T6_T7_T9_mT8_P12ihipStream_tbDpT10_ENKUlT_T0_E_clISt17integral_constantIbLb0EES1A_IbLb1EEEEDaS16_S17_EUlS16_E_NS1_11comp_targetILNS1_3genE2ELNS1_11target_archE906ELNS1_3gpuE6ELNS1_3repE0EEENS1_30default_config_static_selectorELNS0_4arch9wavefront6targetE0EEEvT1_.uses_vcc, 0
	.set _ZN7rocprim17ROCPRIM_400000_NS6detail17trampoline_kernelINS0_14default_configENS1_25partition_config_selectorILNS1_17partition_subalgoE6EsNS0_10empty_typeEbEEZZNS1_14partition_implILS5_6ELb0ES3_mN6thrust23THRUST_200600_302600_NS6detail15normal_iteratorINSA_10device_ptrIsEEEEPS6_SG_NS0_5tupleIJNSA_16discard_iteratorINSA_11use_defaultEEES6_EEENSH_IJSG_SG_EEES6_PlJNSB_9not_fun_tINSB_14equal_to_valueIsEEEEEEE10hipError_tPvRmT3_T4_T5_T6_T7_T9_mT8_P12ihipStream_tbDpT10_ENKUlT_T0_E_clISt17integral_constantIbLb0EES1A_IbLb1EEEEDaS16_S17_EUlS16_E_NS1_11comp_targetILNS1_3genE2ELNS1_11target_archE906ELNS1_3gpuE6ELNS1_3repE0EEENS1_30default_config_static_selectorELNS0_4arch9wavefront6targetE0EEEvT1_.uses_flat_scratch, 0
	.set _ZN7rocprim17ROCPRIM_400000_NS6detail17trampoline_kernelINS0_14default_configENS1_25partition_config_selectorILNS1_17partition_subalgoE6EsNS0_10empty_typeEbEEZZNS1_14partition_implILS5_6ELb0ES3_mN6thrust23THRUST_200600_302600_NS6detail15normal_iteratorINSA_10device_ptrIsEEEEPS6_SG_NS0_5tupleIJNSA_16discard_iteratorINSA_11use_defaultEEES6_EEENSH_IJSG_SG_EEES6_PlJNSB_9not_fun_tINSB_14equal_to_valueIsEEEEEEE10hipError_tPvRmT3_T4_T5_T6_T7_T9_mT8_P12ihipStream_tbDpT10_ENKUlT_T0_E_clISt17integral_constantIbLb0EES1A_IbLb1EEEEDaS16_S17_EUlS16_E_NS1_11comp_targetILNS1_3genE2ELNS1_11target_archE906ELNS1_3gpuE6ELNS1_3repE0EEENS1_30default_config_static_selectorELNS0_4arch9wavefront6targetE0EEEvT1_.has_dyn_sized_stack, 0
	.set _ZN7rocprim17ROCPRIM_400000_NS6detail17trampoline_kernelINS0_14default_configENS1_25partition_config_selectorILNS1_17partition_subalgoE6EsNS0_10empty_typeEbEEZZNS1_14partition_implILS5_6ELb0ES3_mN6thrust23THRUST_200600_302600_NS6detail15normal_iteratorINSA_10device_ptrIsEEEEPS6_SG_NS0_5tupleIJNSA_16discard_iteratorINSA_11use_defaultEEES6_EEENSH_IJSG_SG_EEES6_PlJNSB_9not_fun_tINSB_14equal_to_valueIsEEEEEEE10hipError_tPvRmT3_T4_T5_T6_T7_T9_mT8_P12ihipStream_tbDpT10_ENKUlT_T0_E_clISt17integral_constantIbLb0EES1A_IbLb1EEEEDaS16_S17_EUlS16_E_NS1_11comp_targetILNS1_3genE2ELNS1_11target_archE906ELNS1_3gpuE6ELNS1_3repE0EEENS1_30default_config_static_selectorELNS0_4arch9wavefront6targetE0EEEvT1_.has_recursion, 0
	.set _ZN7rocprim17ROCPRIM_400000_NS6detail17trampoline_kernelINS0_14default_configENS1_25partition_config_selectorILNS1_17partition_subalgoE6EsNS0_10empty_typeEbEEZZNS1_14partition_implILS5_6ELb0ES3_mN6thrust23THRUST_200600_302600_NS6detail15normal_iteratorINSA_10device_ptrIsEEEEPS6_SG_NS0_5tupleIJNSA_16discard_iteratorINSA_11use_defaultEEES6_EEENSH_IJSG_SG_EEES6_PlJNSB_9not_fun_tINSB_14equal_to_valueIsEEEEEEE10hipError_tPvRmT3_T4_T5_T6_T7_T9_mT8_P12ihipStream_tbDpT10_ENKUlT_T0_E_clISt17integral_constantIbLb0EES1A_IbLb1EEEEDaS16_S17_EUlS16_E_NS1_11comp_targetILNS1_3genE2ELNS1_11target_archE906ELNS1_3gpuE6ELNS1_3repE0EEENS1_30default_config_static_selectorELNS0_4arch9wavefront6targetE0EEEvT1_.has_indirect_call, 0
	.section	.AMDGPU.csdata,"",@progbits
; Kernel info:
; codeLenInByte = 0
; TotalNumSgprs: 0
; NumVgprs: 0
; ScratchSize: 0
; MemoryBound: 0
; FloatMode: 240
; IeeeMode: 1
; LDSByteSize: 0 bytes/workgroup (compile time only)
; SGPRBlocks: 0
; VGPRBlocks: 0
; NumSGPRsForWavesPerEU: 1
; NumVGPRsForWavesPerEU: 1
; Occupancy: 16
; WaveLimiterHint : 0
; COMPUTE_PGM_RSRC2:SCRATCH_EN: 0
; COMPUTE_PGM_RSRC2:USER_SGPR: 2
; COMPUTE_PGM_RSRC2:TRAP_HANDLER: 0
; COMPUTE_PGM_RSRC2:TGID_X_EN: 1
; COMPUTE_PGM_RSRC2:TGID_Y_EN: 0
; COMPUTE_PGM_RSRC2:TGID_Z_EN: 0
; COMPUTE_PGM_RSRC2:TIDIG_COMP_CNT: 0
	.section	.text._ZN7rocprim17ROCPRIM_400000_NS6detail17trampoline_kernelINS0_14default_configENS1_25partition_config_selectorILNS1_17partition_subalgoE6EsNS0_10empty_typeEbEEZZNS1_14partition_implILS5_6ELb0ES3_mN6thrust23THRUST_200600_302600_NS6detail15normal_iteratorINSA_10device_ptrIsEEEEPS6_SG_NS0_5tupleIJNSA_16discard_iteratorINSA_11use_defaultEEES6_EEENSH_IJSG_SG_EEES6_PlJNSB_9not_fun_tINSB_14equal_to_valueIsEEEEEEE10hipError_tPvRmT3_T4_T5_T6_T7_T9_mT8_P12ihipStream_tbDpT10_ENKUlT_T0_E_clISt17integral_constantIbLb0EES1A_IbLb1EEEEDaS16_S17_EUlS16_E_NS1_11comp_targetILNS1_3genE10ELNS1_11target_archE1200ELNS1_3gpuE4ELNS1_3repE0EEENS1_30default_config_static_selectorELNS0_4arch9wavefront6targetE0EEEvT1_,"axG",@progbits,_ZN7rocprim17ROCPRIM_400000_NS6detail17trampoline_kernelINS0_14default_configENS1_25partition_config_selectorILNS1_17partition_subalgoE6EsNS0_10empty_typeEbEEZZNS1_14partition_implILS5_6ELb0ES3_mN6thrust23THRUST_200600_302600_NS6detail15normal_iteratorINSA_10device_ptrIsEEEEPS6_SG_NS0_5tupleIJNSA_16discard_iteratorINSA_11use_defaultEEES6_EEENSH_IJSG_SG_EEES6_PlJNSB_9not_fun_tINSB_14equal_to_valueIsEEEEEEE10hipError_tPvRmT3_T4_T5_T6_T7_T9_mT8_P12ihipStream_tbDpT10_ENKUlT_T0_E_clISt17integral_constantIbLb0EES1A_IbLb1EEEEDaS16_S17_EUlS16_E_NS1_11comp_targetILNS1_3genE10ELNS1_11target_archE1200ELNS1_3gpuE4ELNS1_3repE0EEENS1_30default_config_static_selectorELNS0_4arch9wavefront6targetE0EEEvT1_,comdat
	.protected	_ZN7rocprim17ROCPRIM_400000_NS6detail17trampoline_kernelINS0_14default_configENS1_25partition_config_selectorILNS1_17partition_subalgoE6EsNS0_10empty_typeEbEEZZNS1_14partition_implILS5_6ELb0ES3_mN6thrust23THRUST_200600_302600_NS6detail15normal_iteratorINSA_10device_ptrIsEEEEPS6_SG_NS0_5tupleIJNSA_16discard_iteratorINSA_11use_defaultEEES6_EEENSH_IJSG_SG_EEES6_PlJNSB_9not_fun_tINSB_14equal_to_valueIsEEEEEEE10hipError_tPvRmT3_T4_T5_T6_T7_T9_mT8_P12ihipStream_tbDpT10_ENKUlT_T0_E_clISt17integral_constantIbLb0EES1A_IbLb1EEEEDaS16_S17_EUlS16_E_NS1_11comp_targetILNS1_3genE10ELNS1_11target_archE1200ELNS1_3gpuE4ELNS1_3repE0EEENS1_30default_config_static_selectorELNS0_4arch9wavefront6targetE0EEEvT1_ ; -- Begin function _ZN7rocprim17ROCPRIM_400000_NS6detail17trampoline_kernelINS0_14default_configENS1_25partition_config_selectorILNS1_17partition_subalgoE6EsNS0_10empty_typeEbEEZZNS1_14partition_implILS5_6ELb0ES3_mN6thrust23THRUST_200600_302600_NS6detail15normal_iteratorINSA_10device_ptrIsEEEEPS6_SG_NS0_5tupleIJNSA_16discard_iteratorINSA_11use_defaultEEES6_EEENSH_IJSG_SG_EEES6_PlJNSB_9not_fun_tINSB_14equal_to_valueIsEEEEEEE10hipError_tPvRmT3_T4_T5_T6_T7_T9_mT8_P12ihipStream_tbDpT10_ENKUlT_T0_E_clISt17integral_constantIbLb0EES1A_IbLb1EEEEDaS16_S17_EUlS16_E_NS1_11comp_targetILNS1_3genE10ELNS1_11target_archE1200ELNS1_3gpuE4ELNS1_3repE0EEENS1_30default_config_static_selectorELNS0_4arch9wavefront6targetE0EEEvT1_
	.globl	_ZN7rocprim17ROCPRIM_400000_NS6detail17trampoline_kernelINS0_14default_configENS1_25partition_config_selectorILNS1_17partition_subalgoE6EsNS0_10empty_typeEbEEZZNS1_14partition_implILS5_6ELb0ES3_mN6thrust23THRUST_200600_302600_NS6detail15normal_iteratorINSA_10device_ptrIsEEEEPS6_SG_NS0_5tupleIJNSA_16discard_iteratorINSA_11use_defaultEEES6_EEENSH_IJSG_SG_EEES6_PlJNSB_9not_fun_tINSB_14equal_to_valueIsEEEEEEE10hipError_tPvRmT3_T4_T5_T6_T7_T9_mT8_P12ihipStream_tbDpT10_ENKUlT_T0_E_clISt17integral_constantIbLb0EES1A_IbLb1EEEEDaS16_S17_EUlS16_E_NS1_11comp_targetILNS1_3genE10ELNS1_11target_archE1200ELNS1_3gpuE4ELNS1_3repE0EEENS1_30default_config_static_selectorELNS0_4arch9wavefront6targetE0EEEvT1_
	.p2align	8
	.type	_ZN7rocprim17ROCPRIM_400000_NS6detail17trampoline_kernelINS0_14default_configENS1_25partition_config_selectorILNS1_17partition_subalgoE6EsNS0_10empty_typeEbEEZZNS1_14partition_implILS5_6ELb0ES3_mN6thrust23THRUST_200600_302600_NS6detail15normal_iteratorINSA_10device_ptrIsEEEEPS6_SG_NS0_5tupleIJNSA_16discard_iteratorINSA_11use_defaultEEES6_EEENSH_IJSG_SG_EEES6_PlJNSB_9not_fun_tINSB_14equal_to_valueIsEEEEEEE10hipError_tPvRmT3_T4_T5_T6_T7_T9_mT8_P12ihipStream_tbDpT10_ENKUlT_T0_E_clISt17integral_constantIbLb0EES1A_IbLb1EEEEDaS16_S17_EUlS16_E_NS1_11comp_targetILNS1_3genE10ELNS1_11target_archE1200ELNS1_3gpuE4ELNS1_3repE0EEENS1_30default_config_static_selectorELNS0_4arch9wavefront6targetE0EEEvT1_,@function
_ZN7rocprim17ROCPRIM_400000_NS6detail17trampoline_kernelINS0_14default_configENS1_25partition_config_selectorILNS1_17partition_subalgoE6EsNS0_10empty_typeEbEEZZNS1_14partition_implILS5_6ELb0ES3_mN6thrust23THRUST_200600_302600_NS6detail15normal_iteratorINSA_10device_ptrIsEEEEPS6_SG_NS0_5tupleIJNSA_16discard_iteratorINSA_11use_defaultEEES6_EEENSH_IJSG_SG_EEES6_PlJNSB_9not_fun_tINSB_14equal_to_valueIsEEEEEEE10hipError_tPvRmT3_T4_T5_T6_T7_T9_mT8_P12ihipStream_tbDpT10_ENKUlT_T0_E_clISt17integral_constantIbLb0EES1A_IbLb1EEEEDaS16_S17_EUlS16_E_NS1_11comp_targetILNS1_3genE10ELNS1_11target_archE1200ELNS1_3gpuE4ELNS1_3repE0EEENS1_30default_config_static_selectorELNS0_4arch9wavefront6targetE0EEEvT1_: ; @_ZN7rocprim17ROCPRIM_400000_NS6detail17trampoline_kernelINS0_14default_configENS1_25partition_config_selectorILNS1_17partition_subalgoE6EsNS0_10empty_typeEbEEZZNS1_14partition_implILS5_6ELb0ES3_mN6thrust23THRUST_200600_302600_NS6detail15normal_iteratorINSA_10device_ptrIsEEEEPS6_SG_NS0_5tupleIJNSA_16discard_iteratorINSA_11use_defaultEEES6_EEENSH_IJSG_SG_EEES6_PlJNSB_9not_fun_tINSB_14equal_to_valueIsEEEEEEE10hipError_tPvRmT3_T4_T5_T6_T7_T9_mT8_P12ihipStream_tbDpT10_ENKUlT_T0_E_clISt17integral_constantIbLb0EES1A_IbLb1EEEEDaS16_S17_EUlS16_E_NS1_11comp_targetILNS1_3genE10ELNS1_11target_archE1200ELNS1_3gpuE4ELNS1_3repE0EEENS1_30default_config_static_selectorELNS0_4arch9wavefront6targetE0EEEvT1_
; %bb.0:
	s_clause 0x2
	s_load_b64 s[8:9], s[0:1], 0x58
	s_load_b128 s[20:23], s[0:1], 0x48
	s_load_b64 s[24:25], s[0:1], 0x68
	v_cmp_eq_u32_e64 s2, 0, v0
	s_and_saveexec_b32 s3, s2
	s_cbranch_execz .LBB1818_4
; %bb.1:
	s_mov_b32 s5, exec_lo
	s_mov_b32 s4, exec_lo
	v_mbcnt_lo_u32_b32 v1, s5, 0
                                        ; implicit-def: $vgpr2
	s_delay_alu instid0(VALU_DEP_1)
	v_cmpx_eq_u32_e32 0, v1
	s_cbranch_execz .LBB1818_3
; %bb.2:
	s_load_b64 s[6:7], s[0:1], 0x78
	s_bcnt1_i32_b32 s5, s5
	s_wait_alu 0xfffe
	v_dual_mov_b32 v2, 0 :: v_dual_mov_b32 v3, s5
	s_wait_kmcnt 0x0
	global_atomic_add_u32 v2, v2, v3, s[6:7] th:TH_ATOMIC_RETURN scope:SCOPE_DEV
.LBB1818_3:
	s_or_b32 exec_lo, exec_lo, s4
	s_wait_loadcnt 0x0
	v_readfirstlane_b32 s4, v2
	s_wait_alu 0xf1ff
	s_delay_alu instid0(VALU_DEP_1)
	v_dual_mov_b32 v2, 0 :: v_dual_add_nc_u32 v1, s4, v1
	ds_store_b32 v2, v1
.LBB1818_4:
	s_or_b32 exec_lo, exec_lo, s3
	v_dual_mov_b32 v2, 0 :: v_dual_lshlrev_b32 v19, 1, v0
	s_clause 0x2
	s_load_b128 s[4:7], s[0:1], 0x8
	s_load_b32 s3, s[0:1], 0x70
	s_load_b32 s26, s[0:1], 0x80
	s_wait_dscnt 0x0
	s_barrier_signal -1
	s_barrier_wait -1
	global_inv scope:SCOPE_SE
	ds_load_b32 v3, v2
	s_wait_loadcnt_dscnt 0x0
	s_barrier_signal -1
	s_barrier_wait -1
	global_inv scope:SCOPE_SE
	s_wait_kmcnt 0x0
	global_load_b64 v[17:18], v2, s[22:23]
	s_mov_b32 s11, 0
	s_lshl_b64 s[0:1], s[6:7], 1
	s_mul_i32 s10, s3, 0x1b00
	s_add_co_i32 s12, s3, -1
	s_add_co_i32 s3, s10, s6
	s_add_nc_u64 s[6:7], s[6:7], s[10:11]
	s_sub_co_i32 s27, s8, s3
	v_cmp_gt_u64_e64 s3, s[8:9], s[6:7]
	v_mul_lo_u32 v1, 0x1b00, v3
	v_readfirstlane_b32 s23, v3
	v_cmp_ne_u32_e32 vcc_lo, s12, v3
	s_add_nc_u64 s[0:1], s[4:5], s[0:1]
	s_cmp_eq_u32 s23, s12
	v_lshlrev_b64_e32 v[1:2], 1, v[1:2]
	s_cselect_b32 s19, -1, 0
	s_or_b32 s10, s3, vcc_lo
	s_delay_alu instid0(VALU_DEP_1) | instskip(NEXT) | instid1(VALU_DEP_1)
	v_add_co_u32 v20, vcc_lo, s0, v1
	v_add_co_ci_u32_e64 v21, null, s1, v2, vcc_lo
	s_and_b32 vcc_lo, exec_lo, s10
	s_mov_b32 s0, -1
	s_wait_alu 0xfffe
	s_cbranch_vccz .LBB1818_6
; %bb.5:
	v_add_co_u32 v1, vcc_lo, v20, v19
	s_wait_alu 0xfffd
	v_add_co_ci_u32_e64 v2, null, 0, v21, vcc_lo
	s_mov_b32 s0, 0
	s_clause 0x11
	flat_load_u16 v3, v[1:2]
	flat_load_u16 v4, v[1:2] offset:768
	flat_load_u16 v5, v[1:2] offset:1536
	;; [unrolled: 1-line block ×17, first 2 shown]
	s_wait_loadcnt_dscnt 0x1111
	ds_store_b16 v19, v3
	s_wait_loadcnt_dscnt 0x1011
	ds_store_b16 v19, v4 offset:768
	s_wait_loadcnt_dscnt 0xf11
	ds_store_b16 v19, v5 offset:1536
	;; [unrolled: 2-line block ×17, first 2 shown]
	s_wait_dscnt 0x0
	s_barrier_signal -1
	s_barrier_wait -1
.LBB1818_6:
	s_wait_alu 0xfffe
	s_and_not1_b32 vcc_lo, exec_lo, s0
	s_addk_co_i32 s27, 0x1b00
	s_wait_alu 0xfffe
	s_cbranch_vccnz .LBB1818_44
; %bb.7:
	v_mov_b32_e32 v1, 0
	s_mov_b32 s0, exec_lo
	s_delay_alu instid0(VALU_DEP_1)
	v_dual_mov_b32 v2, v1 :: v_dual_mov_b32 v3, v1
	v_dual_mov_b32 v4, v1 :: v_dual_mov_b32 v5, v1
	;; [unrolled: 1-line block ×4, first 2 shown]
	v_cmpx_gt_u32_e64 s27, v0
	s_cbranch_execz .LBB1818_9
; %bb.8:
	v_add_co_u32 v3, vcc_lo, v20, v19
	s_wait_alu 0xfffd
	v_add_co_ci_u32_e64 v4, null, 0, v21, vcc_lo
	v_mov_b32_e32 v2, v1
	v_dual_mov_b32 v6, v1 :: v_dual_mov_b32 v7, v1
	v_dual_mov_b32 v5, v1 :: v_dual_mov_b32 v8, v1
	v_mov_b32_e32 v9, v1
	flat_load_d16_b16 v2, v[3:4]
	v_dual_mov_b32 v3, v1 :: v_dual_mov_b32 v4, v1
	v_mov_b32_e32 v10, v1
	s_wait_loadcnt_dscnt 0x0
	v_mov_b32_e32 v1, v2
	s_delay_alu instid0(VALU_DEP_3)
	v_mov_b32_e32 v2, v3
	v_mov_b32_e32 v3, v4
	;; [unrolled: 1-line block ×15, first 2 shown]
.LBB1818_9:
	s_wait_alu 0xfffe
	s_or_b32 exec_lo, exec_lo, s0
	v_add_nc_u32_e32 v10, 0x180, v0
	s_mov_b32 s0, exec_lo
	s_delay_alu instid0(VALU_DEP_1)
	v_cmpx_gt_u32_e64 s27, v10
	s_cbranch_execz .LBB1818_11
; %bb.10:
	v_add_co_u32 v10, vcc_lo, v20, v19
	s_wait_alu 0xfffd
	v_add_co_ci_u32_e64 v11, null, 0, v21, vcc_lo
	flat_load_d16_hi_b16 v1, v[10:11] offset:768
.LBB1818_11:
	s_wait_alu 0xfffe
	s_or_b32 exec_lo, exec_lo, s0
	v_add_nc_u32_e32 v10, 0x300, v0
	s_mov_b32 s0, exec_lo
	s_delay_alu instid0(VALU_DEP_1)
	v_cmpx_gt_u32_e64 s27, v10
	s_cbranch_execz .LBB1818_13
; %bb.12:
	v_add_co_u32 v10, vcc_lo, v20, v19
	s_wait_alu 0xfffd
	v_add_co_ci_u32_e64 v11, null, 0, v21, vcc_lo
	flat_load_d16_b16 v2, v[10:11] offset:1536
.LBB1818_13:
	s_wait_alu 0xfffe
	s_or_b32 exec_lo, exec_lo, s0
	v_add_nc_u32_e32 v10, 0x480, v0
	s_mov_b32 s0, exec_lo
	s_delay_alu instid0(VALU_DEP_1)
	v_cmpx_gt_u32_e64 s27, v10
	s_cbranch_execz .LBB1818_15
; %bb.14:
	v_add_co_u32 v10, vcc_lo, v20, v19
	s_wait_alu 0xfffd
	v_add_co_ci_u32_e64 v11, null, 0, v21, vcc_lo
	s_wait_loadcnt_dscnt 0x0
	flat_load_d16_hi_b16 v2, v[10:11] offset:2304
.LBB1818_15:
	s_wait_alu 0xfffe
	s_or_b32 exec_lo, exec_lo, s0
	v_or_b32_e32 v10, 0x600, v0
	s_mov_b32 s0, exec_lo
	s_delay_alu instid0(VALU_DEP_1)
	v_cmpx_gt_u32_e64 s27, v10
	s_cbranch_execz .LBB1818_17
; %bb.16:
	v_add_co_u32 v10, vcc_lo, v20, v19
	s_wait_alu 0xfffd
	v_add_co_ci_u32_e64 v11, null, 0, v21, vcc_lo
	flat_load_d16_b16 v3, v[10:11] offset:3072
.LBB1818_17:
	s_wait_alu 0xfffe
	s_or_b32 exec_lo, exec_lo, s0
	v_add_nc_u32_e32 v10, 0x780, v0
	s_mov_b32 s0, exec_lo
	s_delay_alu instid0(VALU_DEP_1)
	v_cmpx_gt_u32_e64 s27, v10
	s_cbranch_execz .LBB1818_19
; %bb.18:
	v_add_co_u32 v10, vcc_lo, v20, v19
	s_wait_alu 0xfffd
	v_add_co_ci_u32_e64 v11, null, 0, v21, vcc_lo
	s_wait_loadcnt_dscnt 0x0
	flat_load_d16_hi_b16 v3, v[10:11] offset:3840
.LBB1818_19:
	s_wait_alu 0xfffe
	s_or_b32 exec_lo, exec_lo, s0
	v_add_nc_u32_e32 v10, 0x900, v0
	s_mov_b32 s0, exec_lo
	s_delay_alu instid0(VALU_DEP_1)
	v_cmpx_gt_u32_e64 s27, v10
	s_cbranch_execz .LBB1818_21
; %bb.20:
	v_add_co_u32 v10, vcc_lo, v20, v19
	s_wait_alu 0xfffd
	v_add_co_ci_u32_e64 v11, null, 0, v21, vcc_lo
	flat_load_d16_b16 v4, v[10:11] offset:4608
.LBB1818_21:
	s_wait_alu 0xfffe
	s_or_b32 exec_lo, exec_lo, s0
	v_add_nc_u32_e32 v10, 0xa80, v0
	s_mov_b32 s0, exec_lo
	s_delay_alu instid0(VALU_DEP_1)
	v_cmpx_gt_u32_e64 s27, v10
	s_cbranch_execz .LBB1818_23
; %bb.22:
	v_add_co_u32 v10, vcc_lo, v20, v19
	s_wait_alu 0xfffd
	v_add_co_ci_u32_e64 v11, null, 0, v21, vcc_lo
	s_wait_loadcnt_dscnt 0x0
	flat_load_d16_hi_b16 v4, v[10:11] offset:5376
.LBB1818_23:
	s_wait_alu 0xfffe
	s_or_b32 exec_lo, exec_lo, s0
	v_or_b32_e32 v10, 0xc00, v0
	s_mov_b32 s0, exec_lo
	s_delay_alu instid0(VALU_DEP_1)
	v_cmpx_gt_u32_e64 s27, v10
	s_cbranch_execz .LBB1818_25
; %bb.24:
	v_add_co_u32 v10, vcc_lo, v20, v19
	s_wait_alu 0xfffd
	v_add_co_ci_u32_e64 v11, null, 0, v21, vcc_lo
	flat_load_d16_b16 v5, v[10:11] offset:6144
.LBB1818_25:
	s_wait_alu 0xfffe
	s_or_b32 exec_lo, exec_lo, s0
	v_add_nc_u32_e32 v10, 0xd80, v0
	s_mov_b32 s0, exec_lo
	s_delay_alu instid0(VALU_DEP_1)
	v_cmpx_gt_u32_e64 s27, v10
	s_cbranch_execz .LBB1818_27
; %bb.26:
	v_add_co_u32 v10, vcc_lo, v20, v19
	s_wait_alu 0xfffd
	v_add_co_ci_u32_e64 v11, null, 0, v21, vcc_lo
	s_wait_loadcnt_dscnt 0x0
	flat_load_d16_hi_b16 v5, v[10:11] offset:6912
.LBB1818_27:
	;; [unrolled: 54-line block ×4, first 2 shown]
	s_wait_alu 0xfffe
	s_or_b32 exec_lo, exec_lo, s0
	s_wait_loadcnt_dscnt 0x0
	ds_store_b16 v19, v1
	ds_store_b16_d16_hi v19, v1 offset:768
	ds_store_b16 v19, v2 offset:1536
	ds_store_b16_d16_hi v19, v2 offset:2304
	ds_store_b16 v19, v3 offset:3072
	;; [unrolled: 2-line block ×8, first 2 shown]
	ds_store_b16_d16_hi v19, v9 offset:13056
	s_wait_dscnt 0x0
	s_barrier_signal -1
	s_barrier_wait -1
.LBB1818_44:
	v_mul_u32_u24_e32 v5, 18, v0
	s_wait_loadcnt 0x0
	global_inv scope:SCOPE_SE
	s_and_not1_b32 vcc_lo, exec_lo, s10
	v_lshlrev_b32_e32 v6, 1, v5
	ds_load_u16 v27, v6 offset:4
	ds_load_u16 v16, v6 offset:34
	ds_load_b32 v28, v6
	ds_load_b128 v[1:4], v6 offset:6
	ds_load_b96 v[13:15], v6 offset:22
	s_wait_loadcnt_dscnt 0x0
	s_barrier_signal -1
	s_barrier_wait -1
	global_inv scope:SCOPE_SE
	v_cmp_ne_u16_e64 s0, s26, v27
	v_cmp_ne_u16_e64 s22, s26, v16
	;; [unrolled: 1-line block ×3, first 2 shown]
	v_lshrrev_b32_e32 v19, 16, v28
	v_cmp_ne_u16_e64 s7, s26, v1
	v_lshrrev_b32_e32 v12, 16, v1
	v_cmp_ne_u16_e64 s9, s26, v2
	;; [unrolled: 2-line block ×7, first 2 shown]
	v_lshrrev_b32_e32 v6, 16, v15
	s_wait_alu 0xfffe
	s_cbranch_vccnz .LBB1818_46
; %bb.45:
	v_cmp_ne_u16_e32 vcc_lo, s26, v19
	s_wait_alu 0xf1ff
	v_cndmask_b32_e64 v22, 0, 1, s7
	v_cndmask_b32_e64 v21, 0, 1, s9
	;; [unrolled: 1-line block ×4, first 2 shown]
	s_wait_alu 0xfffd
	v_cndmask_b32_e64 v20, 0, 1, vcc_lo
	v_lshlrev_b16 v22, 8, v22
	v_cmp_ne_u16_e32 vcc_lo, s26, v12
	v_lshlrev_b16 v21, 8, v21
	v_cndmask_b32_e64 v24, 0, 1, s6
	v_lshlrev_b16 v20, 8, v20
	v_lshrrev_b32_e32 v22, 8, v22
	s_wait_alu 0xfffd
	v_cndmask_b32_e64 v32, 0, 1, vcc_lo
	v_cmp_ne_u16_e32 vcc_lo, s26, v11
	v_lshrrev_b32_e32 v21, 8, v21
	v_lshrrev_b32_e32 v20, 8, v20
	v_lshlrev_b16 v22, 8, v22
	v_cndmask_b32_e64 v25, 0, 1, s5
	v_cndmask_b32_e64 v26, 0, 1, s3
	v_lshlrev_b16 v21, 8, v21
	v_lshlrev_b16 v20, 8, v20
	v_or_b32_e32 v22, v31, v22
	v_lshlrev_b16 v24, 8, v24
	v_lshlrev_b16 v25, 8, v25
	;; [unrolled: 1-line block ×3, first 2 shown]
	v_or_b32_e32 v20, v30, v20
	s_wait_alu 0xfffd
	v_cndmask_b32_e64 v30, 0, 1, vcc_lo
	v_cmp_ne_u16_e32 vcc_lo, s26, v10
	v_or_b32_e32 v21, v32, v21
	v_cndmask_b32_e64 v23, 0, 1, s8
	v_cndmask_b32_e64 v29, 0, 1, s4
	v_lshrrev_b32_e32 v26, 8, v26
	s_wait_alu 0xfffd
	v_cndmask_b32_e64 v31, 0, 1, vcc_lo
	v_cmp_ne_u16_e32 vcc_lo, s26, v9
	v_lshrrev_b32_e32 v24, 8, v24
	v_lshrrev_b32_e32 v25, 8, v25
	v_lshlrev_b16 v23, 8, v23
	v_lshlrev_b16 v29, 8, v29
	s_wait_alu 0xfffd
	v_cndmask_b32_e64 v32, 0, 1, vcc_lo
	v_cmp_ne_u16_e32 vcc_lo, s26, v8
	v_lshlrev_b16 v24, 8, v24
	v_lshlrev_b16 v25, 8, v25
	;; [unrolled: 1-line block ×3, first 2 shown]
	v_or_b32_e32 v23, v30, v23
	s_wait_alu 0xfffd
	v_cndmask_b32_e64 v33, 0, 1, vcc_lo
	v_cmp_ne_u16_e32 vcc_lo, s26, v7
	v_or_b32_e32 v24, v31, v24
	v_or_b32_e32 v25, v32, v25
	v_and_b32_e32 v20, 0xffff, v20
	v_or_b32_e32 v26, v33, v26
	s_wait_alu 0xfffd
	v_cndmask_b32_e64 v34, 0, 1, vcc_lo
	v_lshlrev_b32_e32 v22, 16, v22
	v_and_b32_e32 v21, 0xffff, v21
	v_lshlrev_b32_e32 v23, 16, v23
	v_and_b32_e32 v24, 0xffff, v24
	v_or_b32_e32 v29, v34, v29
	v_lshlrev_b32_e32 v25, 16, v25
	v_and_b32_e32 v26, 0xffff, v26
	v_cmp_ne_u16_e32 vcc_lo, s26, v6
	v_or_b32_e32 v44, v20, v22
	v_lshlrev_b32_e32 v30, 16, v29
	v_or_b32_e32 v38, v21, v23
	v_or_b32_e32 v32, v24, v25
	s_wait_alu 0xfffd
	v_cndmask_b32_e64 v29, 0, 1, vcc_lo
	v_or_b32_e32 v30, v26, v30
	s_cbranch_execz .LBB1818_47
	s_branch .LBB1818_48
.LBB1818_46:
                                        ; implicit-def: $sgpr22
                                        ; implicit-def: $vgpr29
                                        ; implicit-def: $vgpr30
                                        ; implicit-def: $vgpr32
                                        ; implicit-def: $vgpr38
                                        ; implicit-def: $vgpr44
.LBB1818_47:
	v_or_b32_e32 v20, 1, v5
	v_cmp_ne_u16_e32 vcc_lo, s26, v19
	v_add_nc_u32_e32 v21, 3, v5
	v_add_nc_u32_e32 v19, 2, v5
	v_cmp_ne_u16_e64 s8, s26, v2
	v_cmp_gt_u32_e64 s3, s27, v20
	v_add_nc_u32_e32 v20, 4, v5
	v_cmp_gt_u32_e64 s6, s27, v21
	v_cmp_gt_u32_e64 s5, s27, v19
	v_add_nc_u32_e32 v19, 7, v5
	s_and_b32 s3, s3, vcc_lo
	v_cmp_ne_u16_e32 vcc_lo, s26, v1
	v_cmp_gt_u32_e64 s7, s27, v20
	v_add_nc_u32_e32 v20, 5, v5
	s_wait_alu 0xfffe
	v_cndmask_b32_e64 v22, 0, 1, s3
	v_cmp_ne_u16_e64 s3, s26, v12
	s_and_b32 s6, s6, vcc_lo
	v_cmp_ne_u16_e32 vcc_lo, s26, v3
	s_wait_alu 0xfffe
	v_cndmask_b32_e64 v21, 0, 1, s6
	v_cmp_gt_u32_e64 s6, s27, v19
	v_cmp_gt_u32_e64 s9, s27, v20
	v_lshlrev_b16 v12, 8, v22
	v_add_nc_u32_e32 v20, 6, v5
	v_lshlrev_b16 v19, 8, v21
	s_and_b32 s6, s6, vcc_lo
	v_cmp_ne_u16_e32 vcc_lo, s26, v11
	s_wait_alu 0xfffe
	v_cndmask_b32_e64 v21, 0, 1, s6
	s_and_b32 s6, s9, s8
	v_add_nc_u32_e32 v11, 8, v5
	s_wait_alu 0xfffe
	v_cndmask_b32_e64 v22, 0, 1, s6
	v_cmp_gt_u32_e64 s6, s27, v20
	v_lshlrev_b16 v20, 8, v21
	v_cmp_ne_u16_e64 s8, s26, v10
	v_cmp_gt_u32_e64 s9, s27, v11
	v_lshlrev_b16 v21, 8, v22
	v_add_nc_u32_e32 v10, 9, v5
	v_lshrrev_b32_e32 v11, 8, v20
	v_cmp_ne_u16_e64 s10, s26, v4
	v_cmp_ne_u16_e64 s13, s26, v13
	v_lshrrev_b32_e32 v20, 8, v21
	v_add_nc_u32_e32 v21, 11, v5
	v_cmp_gt_u32_e64 s11, s27, v10
	v_add_nc_u32_e32 v10, 10, v5
	v_cmp_ne_u16_e64 s12, s26, v9
	v_cmp_ne_u16_e64 s16, s26, v15
	v_cmp_gt_u32_e64 s14, s27, v21
	s_and_b32 s10, s11, s10
	v_cmp_ne_u16_e64 s0, s26, v28
	v_cndmask_b32_e64 v9, 0, 1, s10
	v_cmp_gt_u32_e64 s10, s27, v10
	s_and_b32 s11, s14, s13
	v_add_nc_u32_e32 v10, 12, v5
	s_wait_alu 0xfffe
	v_cndmask_b32_e64 v21, 0, 1, s11
	v_cmp_ne_u16_e64 s11, s26, v8
	v_add_nc_u32_e32 v8, 13, v5
	v_cmp_ne_u16_e64 s14, s26, v14
	v_cmp_gt_u32_e64 s13, s27, v10
	v_lshlrev_b16 v10, 8, v21
	v_add_nc_u32_e32 v21, 15, v5
	v_cmp_gt_u32_e64 s15, s27, v8
	v_cmp_gt_u32_e64 s1, s27, v5
	v_cmp_ne_u16_e64 s4, s26, v27
	v_cmp_ne_u16_e64 s18, s26, v7
	v_cmp_gt_u32_e64 s17, s27, v21
	s_and_b32 s14, s15, s14
	v_add_nc_u32_e32 v7, 16, v5
	v_cndmask_b32_e64 v8, 0, 1, s14
	s_and_b32 s0, s1, s0
	s_and_b32 s14, s17, s16
	v_add_nc_u32_e32 v22, 14, v5
	s_wait_alu 0xfffe
	v_cndmask_b32_e64 v21, 0, 1, s14
	v_cmp_ne_u16_e64 s14, s26, v6
	v_lshlrev_b16 v6, 8, v8
	v_lshrrev_b32_e32 v8, 8, v12
	v_lshrrev_b32_e32 v12, 8, v19
	v_cndmask_b32_e64 v19, 0, 1, s0
	s_and_b32 s0, s5, s4
	v_cmp_gt_u32_e64 s15, s27, v7
	v_lshlrev_b16 v7, 8, v21
	s_wait_alu 0xfffe
	v_cndmask_b32_e64 v21, 0, 1, s0
	s_and_b32 s0, s7, s3
	v_cmp_gt_u32_e64 s16, s27, v22
	v_lshlrev_b16 v8, 8, v8
	v_lshlrev_b16 v12, 8, v12
	;; [unrolled: 1-line block ×3, first 2 shown]
	s_wait_alu 0xfffe
	v_cndmask_b32_e64 v22, 0, 1, s0
	v_add_nc_u32_e32 v5, 17, v5
	v_or_b32_e32 v8, v19, v8
	v_or_b32_e32 v12, v21, v12
	v_lshlrev_b16 v9, 8, v9
	v_or_b32_e32 v19, v22, v20
	s_and_b32 s3, s6, vcc_lo
	v_cmp_gt_u32_e64 s0, s27, v5
	v_and_b32_e32 v5, 0xffff, v8
	v_lshlrev_b32_e32 v8, 16, v12
	v_and_b32_e32 v12, 0xffff, v19
	s_wait_alu 0xfffe
	v_cndmask_b32_e64 v19, 0, 1, s3
	s_and_b32 s3, s9, s8
	v_lshrrev_b32_e32 v7, 8, v7
	s_wait_alu 0xfffe
	v_cndmask_b32_e64 v20, 0, 1, s3
	s_and_b32 s3, s10, s12
	v_lshrrev_b32_e32 v6, 8, v6
	v_lshrrev_b32_e32 v9, 8, v9
	;; [unrolled: 1-line block ×3, first 2 shown]
	s_wait_alu 0xfffe
	v_cndmask_b32_e64 v21, 0, 1, s3
	s_and_b32 s3, s13, s11
	v_lshlrev_b16 v11, 8, v11
	s_wait_alu 0xfffe
	v_cndmask_b32_e64 v22, 0, 1, s3
	s_and_b32 s3, s16, s18
	v_lshlrev_b16 v9, 8, v9
	v_lshlrev_b16 v10, 8, v10
	;; [unrolled: 1-line block ×4, first 2 shown]
	s_wait_alu 0xfffe
	v_cndmask_b32_e64 v23, 0, 1, s3
	v_or_b32_e32 v11, v19, v11
	v_or_b32_e32 v9, v20, v9
	v_or_b32_e32 v10, v21, v10
	v_or_b32_e32 v6, v22, v6
	v_or_b32_e32 v7, v23, v7
	v_cmp_ne_u16_e64 s1, s26, v16
	v_lshlrev_b32_e32 v11, 16, v11
	v_and_b32_e32 v9, 0xffff, v9
	v_lshlrev_b32_e32 v10, 16, v10
	v_and_b32_e32 v6, 0xffff, v6
	v_lshlrev_b32_e32 v7, 16, v7
	s_and_b32 s14, s15, s14
	s_and_b32 s0, s0, s1
	s_wait_alu 0xfffe
	v_cndmask_b32_e64 v29, 0, 1, s14
	v_or_b32_e32 v44, v5, v8
	v_or_b32_e32 v38, v12, v11
	;; [unrolled: 1-line block ×4, first 2 shown]
	s_and_not1_b32 s1, s22, exec_lo
	s_and_b32 s0, s0, exec_lo
	s_wait_alu 0xfffe
	s_or_b32 s22, s1, s0
.LBB1818_48:
	v_dual_mov_b32 v6, 0 :: v_dual_and_b32 v49, 0xff, v44
	v_bfe_u32 v47, v44, 8, 8
	v_cndmask_b32_e64 v5, 0, 1, s22
	v_bfe_u32 v50, v44, 16, 8
	v_lshrrev_b32_e32 v48, 24, v44
	v_and_b32_e32 v46, 0xff, v38
	v_bfe_u32 v45, v38, 8, 8
	v_add3_u32 v5, v49, v5, v47
	v_bfe_u32 v43, v38, 16, 8
	v_lshrrev_b32_e32 v42, 24, v38
	v_and_b32_e32 v41, 0xff, v32
	v_bfe_u32 v40, v32, 8, 8
	v_add_co_u32 v5, s0, v5, v50
	s_wait_alu 0xf1ff
	v_add_co_ci_u32_e64 v7, null, 0, 0, s0
	v_bfe_u32 v39, v32, 16, 8
	s_delay_alu instid0(VALU_DEP_3) | instskip(SKIP_1) | instid1(VALU_DEP_3)
	v_add_co_u32 v5, vcc_lo, v5, v48
	s_wait_alu 0xfffd
	v_add_co_ci_u32_e64 v7, null, 0, v7, vcc_lo
	v_lshrrev_b32_e32 v37, 24, v32
	s_delay_alu instid0(VALU_DEP_3) | instskip(SKIP_1) | instid1(VALU_DEP_3)
	v_add_co_u32 v5, vcc_lo, v5, v46
	s_wait_alu 0xfffd
	v_add_co_ci_u32_e64 v7, null, 0, v7, vcc_lo
	v_and_b32_e32 v36, 0xff, v30
	s_delay_alu instid0(VALU_DEP_3) | instskip(SKIP_1) | instid1(VALU_DEP_3)
	v_add_co_u32 v5, vcc_lo, v5, v45
	s_wait_alu 0xfffd
	v_add_co_ci_u32_e64 v7, null, 0, v7, vcc_lo
	v_bfe_u32 v35, v30, 8, 8
	s_delay_alu instid0(VALU_DEP_3) | instskip(SKIP_1) | instid1(VALU_DEP_3)
	v_add_co_u32 v5, vcc_lo, v5, v43
	s_wait_alu 0xfffd
	v_add_co_ci_u32_e64 v7, null, 0, v7, vcc_lo
	v_bfe_u32 v34, v30, 16, 8
	s_delay_alu instid0(VALU_DEP_3) | instskip(SKIP_1) | instid1(VALU_DEP_3)
	v_add_co_u32 v5, vcc_lo, v5, v42
	s_wait_alu 0xfffd
	v_add_co_ci_u32_e64 v7, null, 0, v7, vcc_lo
	v_lshrrev_b32_e32 v33, 24, v30
	s_delay_alu instid0(VALU_DEP_3) | instskip(SKIP_1) | instid1(VALU_DEP_3)
	v_add_co_u32 v5, vcc_lo, v5, v41
	s_wait_alu 0xfffd
	v_add_co_ci_u32_e64 v7, null, 0, v7, vcc_lo
	v_mbcnt_lo_u32_b32 v51, -1, 0
	s_delay_alu instid0(VALU_DEP_3) | instskip(SKIP_1) | instid1(VALU_DEP_3)
	v_add_co_u32 v5, vcc_lo, v5, v40
	s_wait_alu 0xfffd
	v_add_co_ci_u32_e64 v7, null, 0, v7, vcc_lo
	v_and_b32_e32 v31, 0xff, v29
	s_delay_alu instid0(VALU_DEP_3) | instskip(SKIP_1) | instid1(VALU_DEP_3)
	v_add_co_u32 v5, vcc_lo, v5, v39
	s_wait_alu 0xfffd
	v_add_co_ci_u32_e64 v7, null, 0, v7, vcc_lo
	v_and_b32_e32 v52, 15, v51
	s_delay_alu instid0(VALU_DEP_3) | instskip(SKIP_1) | instid1(VALU_DEP_3)
	v_add_co_u32 v5, vcc_lo, v5, v37
	s_wait_alu 0xfffd
	v_add_co_ci_u32_e64 v7, null, 0, v7, vcc_lo
	s_delay_alu instid0(VALU_DEP_3) | instskip(NEXT) | instid1(VALU_DEP_3)
	v_cmp_ne_u32_e64 s0, 0, v52
	v_add_co_u32 v5, vcc_lo, v5, v36
	s_wait_alu 0xfffd
	s_delay_alu instid0(VALU_DEP_3)
	v_add_co_ci_u32_e64 v7, null, 0, v7, vcc_lo
	s_cmp_lg_u32 s23, 0
	v_add_co_u32 v5, vcc_lo, v5, v35
	s_wait_alu 0xfffd
	v_add_co_ci_u32_e64 v7, null, 0, v7, vcc_lo
	s_mov_b32 s1, -1
	v_add_co_u32 v5, vcc_lo, v5, v34
	s_wait_alu 0xfffd
	v_add_co_ci_u32_e64 v7, null, 0, v7, vcc_lo
	s_delay_alu instid0(VALU_DEP_2) | instskip(SKIP_1) | instid1(VALU_DEP_2)
	v_add_co_u32 v5, vcc_lo, v5, v33
	s_wait_alu 0xfffd
	v_add_co_ci_u32_e64 v7, null, 0, v7, vcc_lo
	s_delay_alu instid0(VALU_DEP_2) | instskip(SKIP_1) | instid1(VALU_DEP_2)
	v_add_co_u32 v19, vcc_lo, v5, v31
	s_wait_alu 0xfffd
	v_add_co_ci_u32_e64 v20, null, 0, v7, vcc_lo
	s_cbranch_scc0 .LBB1818_107
; %bb.49:
	v_mov_b32_e32 v7, v19
	v_mov_b32_dpp v5, v19 row_shr:1 row_mask:0xf bank_mask:0xf
	v_mov_b32_dpp v10, v6 row_shr:1 row_mask:0xf bank_mask:0xf
	v_dual_mov_b32 v9, v19 :: v_dual_mov_b32 v8, v20
	s_and_saveexec_b32 s1, s0
; %bb.50:
	s_delay_alu instid0(VALU_DEP_3) | instskip(SKIP_2) | instid1(VALU_DEP_2)
	v_add_co_u32 v9, vcc_lo, v19, v5
	s_wait_alu 0xfffd
	v_add_co_ci_u32_e64 v6, null, 0, v20, vcc_lo
	v_add_co_u32 v5, vcc_lo, 0, v9
	s_wait_alu 0xfffd
	s_delay_alu instid0(VALU_DEP_2) | instskip(NEXT) | instid1(VALU_DEP_1)
	v_add_co_ci_u32_e64 v6, null, v10, v6, vcc_lo
	v_dual_mov_b32 v8, v6 :: v_dual_mov_b32 v7, v5
; %bb.51:
	s_wait_alu 0xfffe
	s_or_b32 exec_lo, exec_lo, s1
	v_mov_b32_dpp v5, v9 row_shr:2 row_mask:0xf bank_mask:0xf
	v_mov_b32_dpp v10, v6 row_shr:2 row_mask:0xf bank_mask:0xf
	v_cmp_lt_u32_e32 vcc_lo, 1, v52
	s_and_saveexec_b32 s3, vcc_lo
; %bb.52:
	s_delay_alu instid0(VALU_DEP_3) | instskip(SKIP_2) | instid1(VALU_DEP_2)
	v_add_co_u32 v9, s1, v7, v5
	s_wait_alu 0xf1ff
	v_add_co_ci_u32_e64 v6, null, 0, v8, s1
	v_add_co_u32 v5, s1, 0, v9
	s_wait_alu 0xf1ff
	s_delay_alu instid0(VALU_DEP_2) | instskip(NEXT) | instid1(VALU_DEP_1)
	v_add_co_ci_u32_e64 v6, null, v10, v6, s1
	v_dual_mov_b32 v8, v6 :: v_dual_mov_b32 v7, v5
; %bb.53:
	s_wait_alu 0xfffe
	s_or_b32 exec_lo, exec_lo, s3
	v_mov_b32_dpp v5, v9 row_shr:4 row_mask:0xf bank_mask:0xf
	v_mov_b32_dpp v10, v6 row_shr:4 row_mask:0xf bank_mask:0xf
	v_cmp_lt_u32_e64 s1, 3, v52
	s_and_saveexec_b32 s4, s1
; %bb.54:
	v_add_co_u32 v9, s3, v7, v5
	s_wait_alu 0xf1ff
	v_add_co_ci_u32_e64 v6, null, 0, v8, s3
	s_delay_alu instid0(VALU_DEP_2) | instskip(SKIP_1) | instid1(VALU_DEP_2)
	v_add_co_u32 v5, s3, 0, v9
	s_wait_alu 0xf1ff
	v_add_co_ci_u32_e64 v6, null, v10, v6, s3
	s_delay_alu instid0(VALU_DEP_1)
	v_dual_mov_b32 v8, v6 :: v_dual_mov_b32 v7, v5
; %bb.55:
	s_wait_alu 0xfffe
	s_or_b32 exec_lo, exec_lo, s4
	v_mov_b32_dpp v10, v9 row_shr:8 row_mask:0xf bank_mask:0xf
	v_mov_b32_dpp v5, v6 row_shr:8 row_mask:0xf bank_mask:0xf
	v_cmp_lt_u32_e64 s3, 7, v52
	s_and_saveexec_b32 s5, s3
; %bb.56:
	v_add_co_u32 v9, s4, v7, v10
	s_wait_alu 0xf1ff
	v_add_co_ci_u32_e64 v6, null, 0, v8, s4
	s_delay_alu instid0(VALU_DEP_2) | instskip(SKIP_1) | instid1(VALU_DEP_2)
	v_add_co_u32 v7, s4, 0, v9
	s_wait_alu 0xf1ff
	v_add_co_ci_u32_e64 v8, null, v5, v6, s4
	s_delay_alu instid0(VALU_DEP_1)
	v_mov_b32_e32 v6, v8
; %bb.57:
	s_wait_alu 0xfffe
	s_or_b32 exec_lo, exec_lo, s5
	ds_swizzle_b32 v10, v9 offset:swizzle(BROADCAST,32,15)
	ds_swizzle_b32 v5, v6 offset:swizzle(BROADCAST,32,15)
	v_and_b32_e32 v6, 16, v51
	s_mov_b32 s5, exec_lo
	s_delay_alu instid0(VALU_DEP_1)
	v_cmpx_ne_u32_e32 0, v6
	s_cbranch_execz .LBB1818_59
; %bb.58:
	s_wait_dscnt 0x1
	v_add_co_u32 v9, s4, v7, v10
	s_wait_alu 0xf1ff
	v_add_co_ci_u32_e64 v6, null, 0, v8, s4
	s_delay_alu instid0(VALU_DEP_2) | instskip(SKIP_2) | instid1(VALU_DEP_2)
	v_add_co_u32 v7, s4, 0, v9
	s_wait_dscnt 0x0
	s_wait_alu 0xf1ff
	v_add_co_ci_u32_e64 v8, null, v5, v6, s4
.LBB1818_59:
	s_wait_alu 0xfffe
	s_or_b32 exec_lo, exec_lo, s5
	s_wait_dscnt 0x0
	v_and_b32_e32 v5, 0x1e0, v0
	v_lshrrev_b32_e32 v10, 5, v0
	s_mov_b32 s5, exec_lo
	s_delay_alu instid0(VALU_DEP_2) | instskip(NEXT) | instid1(VALU_DEP_1)
	v_min_u32_e32 v5, 0x160, v5
	v_or_b32_e32 v5, 31, v5
	s_delay_alu instid0(VALU_DEP_1)
	v_cmpx_eq_u32_e64 v0, v5
; %bb.60:
	v_lshlrev_b32_e32 v5, 3, v10
	ds_store_b64 v5, v[7:8]
; %bb.61:
	s_wait_alu 0xfffe
	s_or_b32 exec_lo, exec_lo, s5
	s_delay_alu instid0(SALU_CYCLE_1)
	s_mov_b32 s5, exec_lo
	s_wait_loadcnt_dscnt 0x0
	s_barrier_signal -1
	s_barrier_wait -1
	global_inv scope:SCOPE_SE
	v_cmpx_gt_u32_e32 12, v0
	s_cbranch_execz .LBB1818_71
; %bb.62:
	v_lshlrev_b32_e32 v7, 3, v0
	ds_load_b64 v[5:6], v7
	s_wait_dscnt 0x0
	v_mov_b32_dpp v12, v5 row_shr:1 row_mask:0xf bank_mask:0xf
	v_mov_b32_dpp v11, v6 row_shr:1 row_mask:0xf bank_mask:0xf
	v_mov_b32_e32 v8, v5
	s_and_saveexec_b32 s6, s0
; %bb.63:
	s_delay_alu instid0(VALU_DEP_3) | instskip(SKIP_2) | instid1(VALU_DEP_2)
	v_add_co_u32 v8, s4, v5, v12
	s_wait_alu 0xf1ff
	v_add_co_ci_u32_e64 v6, null, 0, v6, s4
	v_add_co_u32 v5, s4, 0, v8
	s_wait_alu 0xf1ff
	s_delay_alu instid0(VALU_DEP_2)
	v_add_co_ci_u32_e64 v6, null, v11, v6, s4
; %bb.64:
	s_wait_alu 0xfffe
	s_or_b32 exec_lo, exec_lo, s6
	v_mov_b32_dpp v12, v8 row_shr:2 row_mask:0xf bank_mask:0xf
	s_delay_alu instid0(VALU_DEP_2)
	v_mov_b32_dpp v11, v6 row_shr:2 row_mask:0xf bank_mask:0xf
	s_and_saveexec_b32 s4, vcc_lo
; %bb.65:
	s_delay_alu instid0(VALU_DEP_2) | instskip(SKIP_2) | instid1(VALU_DEP_2)
	v_add_co_u32 v8, vcc_lo, v5, v12
	s_wait_alu 0xfffd
	v_add_co_ci_u32_e64 v6, null, 0, v6, vcc_lo
	v_add_co_u32 v5, vcc_lo, 0, v8
	s_wait_alu 0xfffd
	s_delay_alu instid0(VALU_DEP_2)
	v_add_co_ci_u32_e64 v6, null, v11, v6, vcc_lo
; %bb.66:
	s_wait_alu 0xfffe
	s_or_b32 exec_lo, exec_lo, s4
	v_mov_b32_dpp v12, v8 row_shr:4 row_mask:0xf bank_mask:0xf
	s_delay_alu instid0(VALU_DEP_2)
	v_mov_b32_dpp v11, v6 row_shr:4 row_mask:0xf bank_mask:0xf
	s_and_saveexec_b32 s4, s1
; %bb.67:
	s_delay_alu instid0(VALU_DEP_2) | instskip(SKIP_2) | instid1(VALU_DEP_2)
	v_add_co_u32 v8, vcc_lo, v5, v12
	s_wait_alu 0xfffd
	v_add_co_ci_u32_e64 v6, null, 0, v6, vcc_lo
	v_add_co_u32 v5, vcc_lo, 0, v8
	s_wait_alu 0xfffd
	s_delay_alu instid0(VALU_DEP_2)
	v_add_co_ci_u32_e64 v6, null, v11, v6, vcc_lo
; %bb.68:
	s_wait_alu 0xfffe
	s_or_b32 exec_lo, exec_lo, s4
	v_mov_b32_dpp v11, v8 row_shr:8 row_mask:0xf bank_mask:0xf
	s_delay_alu instid0(VALU_DEP_2)
	v_mov_b32_dpp v8, v6 row_shr:8 row_mask:0xf bank_mask:0xf
	s_and_saveexec_b32 s1, s3
; %bb.69:
	s_delay_alu instid0(VALU_DEP_2) | instskip(SKIP_2) | instid1(VALU_DEP_2)
	v_add_co_u32 v5, vcc_lo, v5, v11
	s_wait_alu 0xfffd
	v_add_co_ci_u32_e64 v6, null, 0, v6, vcc_lo
	v_add_co_u32 v5, vcc_lo, v5, 0
	s_wait_alu 0xfffd
	s_delay_alu instid0(VALU_DEP_2)
	v_add_co_ci_u32_e64 v6, null, v6, v8, vcc_lo
; %bb.70:
	s_wait_alu 0xfffe
	s_or_b32 exec_lo, exec_lo, s1
	ds_store_b64 v7, v[5:6]
.LBB1818_71:
	s_wait_alu 0xfffe
	s_or_b32 exec_lo, exec_lo, s5
	s_delay_alu instid0(SALU_CYCLE_1)
	s_mov_b32 s3, exec_lo
	v_cmp_gt_u32_e32 vcc_lo, 32, v0
	s_wait_loadcnt_dscnt 0x0
	s_barrier_signal -1
	s_barrier_wait -1
	global_inv scope:SCOPE_SE
                                        ; implicit-def: $vgpr21_vgpr22
	v_cmpx_lt_u32_e32 31, v0
	s_cbranch_execz .LBB1818_73
; %bb.72:
	v_lshl_add_u32 v5, v10, 3, -8
	ds_load_b64 v[21:22], v5
	s_wait_dscnt 0x0
	v_add_nc_u32_e32 v9, v9, v21
.LBB1818_73:
	s_wait_alu 0xfffe
	s_or_b32 exec_lo, exec_lo, s3
	v_sub_co_u32 v5, s1, v51, 1
	s_delay_alu instid0(VALU_DEP_1) | instskip(SKIP_1) | instid1(VALU_DEP_1)
	v_cmp_gt_i32_e64 s3, 0, v5
	s_wait_alu 0xf1ff
	v_cndmask_b32_e64 v5, v5, v51, s3
	s_delay_alu instid0(VALU_DEP_1)
	v_lshlrev_b32_e32 v5, 2, v5
	ds_bpermute_b32 v53, v5, v9
	s_and_saveexec_b32 s3, vcc_lo
	s_cbranch_execz .LBB1818_112
; %bb.74:
	v_mov_b32_e32 v8, 0
	ds_load_b64 v[5:6], v8 offset:88
	s_and_saveexec_b32 s4, s1
	s_cbranch_execz .LBB1818_76
; %bb.75:
	s_add_co_i32 s6, s23, 32
	s_mov_b32 s7, 0
	s_wait_alu 0xfffe
	s_lshl_b64 s[6:7], s[6:7], 4
	s_wait_alu 0xfffe
	s_add_nc_u64 s[6:7], s[24:25], s[6:7]
	s_wait_alu 0xfffe
	v_dual_mov_b32 v7, 1 :: v_dual_mov_b32 v10, s7
	v_mov_b32_e32 v9, s6
	s_wait_dscnt 0x0
	;;#ASMSTART
	global_store_b128 v[9:10], v[5:8] off scope:SCOPE_DEV	
s_wait_storecnt 0x0
	;;#ASMEND
.LBB1818_76:
	s_wait_alu 0xfffe
	s_or_b32 exec_lo, exec_lo, s4
	v_xad_u32 v23, v51, -1, s23
	s_mov_b32 s5, 0
	s_mov_b32 s4, exec_lo
	s_delay_alu instid0(VALU_DEP_1) | instskip(NEXT) | instid1(VALU_DEP_1)
	v_add_nc_u32_e32 v7, 32, v23
	v_lshlrev_b64_e32 v[7:8], 4, v[7:8]
	s_delay_alu instid0(VALU_DEP_1) | instskip(SKIP_1) | instid1(VALU_DEP_2)
	v_add_co_u32 v7, vcc_lo, s24, v7
	s_wait_alu 0xfffd
	v_add_co_ci_u32_e64 v8, null, s25, v8, vcc_lo
	;;#ASMSTART
	global_load_b128 v[9:12], v[7:8] off scope:SCOPE_DEV	
s_wait_loadcnt 0x0
	;;#ASMEND
	v_and_b32_e32 v12, 0xff, v11
	s_delay_alu instid0(VALU_DEP_1)
	v_cmpx_eq_u16_e32 0, v12
	s_cbranch_execz .LBB1818_79
.LBB1818_77:                            ; =>This Inner Loop Header: Depth=1
	;;#ASMSTART
	global_load_b128 v[9:12], v[7:8] off scope:SCOPE_DEV	
s_wait_loadcnt 0x0
	;;#ASMEND
	v_and_b32_e32 v12, 0xff, v11
	s_delay_alu instid0(VALU_DEP_1)
	v_cmp_ne_u16_e32 vcc_lo, 0, v12
	s_wait_alu 0xfffe
	s_or_b32 s5, vcc_lo, s5
	s_wait_alu 0xfffe
	s_and_not1_b32 exec_lo, exec_lo, s5
	s_cbranch_execnz .LBB1818_77
; %bb.78:
	s_or_b32 exec_lo, exec_lo, s5
.LBB1818_79:
	s_wait_alu 0xfffe
	s_or_b32 exec_lo, exec_lo, s4
	v_cmp_ne_u32_e32 vcc_lo, 31, v51
	v_and_b32_e32 v8, 0xff, v11
	v_lshlrev_b32_e64 v55, v51, -1
	s_mov_b32 s4, exec_lo
	s_wait_alu 0xfffd
	v_add_co_ci_u32_e64 v7, null, 0, v51, vcc_lo
	v_cmp_eq_u16_e32 vcc_lo, 2, v8
	v_mov_b32_e32 v8, v9
	s_delay_alu instid0(VALU_DEP_3)
	v_lshlrev_b32_e32 v54, 2, v7
	s_wait_alu 0xfffd
	v_and_or_b32 v7, vcc_lo, v55, 0x80000000
	ds_bpermute_b32 v24, v54, v9
	ds_bpermute_b32 v12, v54, v10
	v_ctz_i32_b32_e32 v7, v7
	s_delay_alu instid0(VALU_DEP_1)
	v_cmpx_lt_u32_e64 v51, v7
	s_cbranch_execz .LBB1818_81
; %bb.80:
	s_wait_dscnt 0x1
	v_add_co_u32 v8, vcc_lo, v9, v24
	s_wait_alu 0xfffd
	v_add_co_ci_u32_e64 v10, null, 0, v10, vcc_lo
	s_delay_alu instid0(VALU_DEP_2) | instskip(SKIP_2) | instid1(VALU_DEP_2)
	v_add_co_u32 v9, vcc_lo, 0, v8
	s_wait_dscnt 0x0
	s_wait_alu 0xfffd
	v_add_co_ci_u32_e64 v10, null, v12, v10, vcc_lo
.LBB1818_81:
	s_wait_alu 0xfffe
	s_or_b32 exec_lo, exec_lo, s4
	v_cmp_gt_u32_e32 vcc_lo, 30, v51
	v_add_nc_u32_e32 v57, 2, v51
	s_mov_b32 s4, exec_lo
	s_wait_dscnt 0x0
	s_wait_alu 0xfffd
	v_cndmask_b32_e64 v12, 0, 2, vcc_lo
	s_delay_alu instid0(VALU_DEP_1)
	v_add_lshl_u32 v56, v12, v51, 2
	ds_bpermute_b32 v24, v56, v8
	ds_bpermute_b32 v12, v56, v10
	v_cmpx_le_u32_e64 v57, v7
	s_cbranch_execz .LBB1818_83
; %bb.82:
	s_wait_dscnt 0x1
	v_add_co_u32 v8, vcc_lo, v9, v24
	s_wait_alu 0xfffd
	v_add_co_ci_u32_e64 v10, null, 0, v10, vcc_lo
	s_delay_alu instid0(VALU_DEP_2) | instskip(SKIP_2) | instid1(VALU_DEP_2)
	v_add_co_u32 v9, vcc_lo, 0, v8
	s_wait_dscnt 0x0
	s_wait_alu 0xfffd
	v_add_co_ci_u32_e64 v10, null, v12, v10, vcc_lo
.LBB1818_83:
	s_wait_alu 0xfffe
	s_or_b32 exec_lo, exec_lo, s4
	v_cmp_gt_u32_e32 vcc_lo, 28, v51
	v_add_nc_u32_e32 v59, 4, v51
	s_mov_b32 s4, exec_lo
	s_wait_dscnt 0x0
	s_wait_alu 0xfffd
	v_cndmask_b32_e64 v12, 0, 4, vcc_lo
	s_delay_alu instid0(VALU_DEP_1)
	v_add_lshl_u32 v58, v12, v51, 2
	ds_bpermute_b32 v24, v58, v8
	ds_bpermute_b32 v12, v58, v10
	v_cmpx_le_u32_e64 v59, v7
	;; [unrolled: 25-line block ×3, first 2 shown]
	s_cbranch_execz .LBB1818_87
; %bb.86:
	s_wait_dscnt 0x1
	v_add_co_u32 v8, vcc_lo, v9, v24
	s_wait_alu 0xfffd
	v_add_co_ci_u32_e64 v10, null, 0, v10, vcc_lo
	s_delay_alu instid0(VALU_DEP_2) | instskip(SKIP_2) | instid1(VALU_DEP_2)
	v_add_co_u32 v9, vcc_lo, 0, v8
	s_wait_dscnt 0x0
	s_wait_alu 0xfffd
	v_add_co_ci_u32_e64 v10, null, v12, v10, vcc_lo
.LBB1818_87:
	s_wait_alu 0xfffe
	s_or_b32 exec_lo, exec_lo, s4
	v_lshl_or_b32 v62, v51, 2, 64
	v_add_nc_u32_e32 v63, 16, v51
	s_mov_b32 s4, exec_lo
	s_wait_dscnt 0x0
	ds_bpermute_b32 v12, v62, v8
	ds_bpermute_b32 v8, v62, v10
	v_cmpx_le_u32_e64 v63, v7
	s_cbranch_execz .LBB1818_89
; %bb.88:
	s_wait_dscnt 0x1
	v_add_co_u32 v7, vcc_lo, v9, v12
	s_wait_alu 0xfffd
	v_add_co_ci_u32_e64 v10, null, 0, v10, vcc_lo
	s_delay_alu instid0(VALU_DEP_2) | instskip(SKIP_2) | instid1(VALU_DEP_2)
	v_add_co_u32 v9, vcc_lo, v7, 0
	s_wait_dscnt 0x0
	s_wait_alu 0xfffd
	v_add_co_ci_u32_e64 v10, null, v10, v8, vcc_lo
.LBB1818_89:
	s_wait_alu 0xfffe
	s_or_b32 exec_lo, exec_lo, s4
	v_mov_b32_e32 v24, 0
	s_branch .LBB1818_92
.LBB1818_90:                            ;   in Loop: Header=BB1818_92 Depth=1
	s_wait_alu 0xfffe
	s_or_b32 exec_lo, exec_lo, s4
	v_add_co_u32 v9, vcc_lo, v9, v7
	v_subrev_nc_u32_e32 v23, 32, v23
	s_wait_alu 0xfffd
	v_add_co_ci_u32_e64 v10, null, v10, v8, vcc_lo
	s_mov_b32 s4, 0
.LBB1818_91:                            ;   in Loop: Header=BB1818_92 Depth=1
	s_wait_alu 0xfffe
	s_and_b32 vcc_lo, exec_lo, s4
	s_wait_alu 0xfffe
	s_cbranch_vccnz .LBB1818_108
.LBB1818_92:                            ; =>This Loop Header: Depth=1
                                        ;     Child Loop BB1818_95 Depth 2
	v_and_b32_e32 v7, 0xff, v11
	s_mov_b32 s4, -1
	s_delay_alu instid0(VALU_DEP_1)
	v_cmp_ne_u16_e32 vcc_lo, 2, v7
	s_wait_dscnt 0x0
	v_dual_mov_b32 v7, v9 :: v_dual_mov_b32 v8, v10
                                        ; implicit-def: $vgpr9_vgpr10
	s_cmp_lg_u32 vcc_lo, exec_lo
	s_cbranch_scc1 .LBB1818_91
; %bb.93:                               ;   in Loop: Header=BB1818_92 Depth=1
	v_lshlrev_b64_e32 v[9:10], 4, v[23:24]
	s_mov_b32 s4, exec_lo
	s_delay_alu instid0(VALU_DEP_1) | instskip(SKIP_1) | instid1(VALU_DEP_2)
	v_add_co_u32 v25, vcc_lo, s24, v9
	s_wait_alu 0xfffd
	v_add_co_ci_u32_e64 v26, null, s25, v10, vcc_lo
	;;#ASMSTART
	global_load_b128 v[9:12], v[25:26] off scope:SCOPE_DEV	
s_wait_loadcnt 0x0
	;;#ASMEND
	v_and_b32_e32 v12, 0xff, v11
	s_delay_alu instid0(VALU_DEP_1)
	v_cmpx_eq_u16_e32 0, v12
	s_cbranch_execz .LBB1818_97
; %bb.94:                               ;   in Loop: Header=BB1818_92 Depth=1
	s_mov_b32 s5, 0
.LBB1818_95:                            ;   Parent Loop BB1818_92 Depth=1
                                        ; =>  This Inner Loop Header: Depth=2
	;;#ASMSTART
	global_load_b128 v[9:12], v[25:26] off scope:SCOPE_DEV	
s_wait_loadcnt 0x0
	;;#ASMEND
	v_and_b32_e32 v12, 0xff, v11
	s_delay_alu instid0(VALU_DEP_1)
	v_cmp_ne_u16_e32 vcc_lo, 0, v12
	s_wait_alu 0xfffe
	s_or_b32 s5, vcc_lo, s5
	s_wait_alu 0xfffe
	s_and_not1_b32 exec_lo, exec_lo, s5
	s_cbranch_execnz .LBB1818_95
; %bb.96:                               ;   in Loop: Header=BB1818_92 Depth=1
	s_or_b32 exec_lo, exec_lo, s5
.LBB1818_97:                            ;   in Loop: Header=BB1818_92 Depth=1
	s_wait_alu 0xfffe
	s_or_b32 exec_lo, exec_lo, s4
	v_dual_mov_b32 v25, v9 :: v_dual_and_b32 v12, 0xff, v11
	ds_bpermute_b32 v64, v54, v9
	ds_bpermute_b32 v26, v54, v10
	s_mov_b32 s4, exec_lo
	v_cmp_eq_u16_e32 vcc_lo, 2, v12
	s_wait_alu 0xfffd
	v_and_or_b32 v12, vcc_lo, v55, 0x80000000
	s_delay_alu instid0(VALU_DEP_1) | instskip(NEXT) | instid1(VALU_DEP_1)
	v_ctz_i32_b32_e32 v12, v12
	v_cmpx_lt_u32_e64 v51, v12
	s_cbranch_execz .LBB1818_99
; %bb.98:                               ;   in Loop: Header=BB1818_92 Depth=1
	s_wait_dscnt 0x1
	v_add_co_u32 v25, vcc_lo, v9, v64
	s_wait_alu 0xfffd
	v_add_co_ci_u32_e64 v10, null, 0, v10, vcc_lo
	s_delay_alu instid0(VALU_DEP_2) | instskip(SKIP_2) | instid1(VALU_DEP_2)
	v_add_co_u32 v9, vcc_lo, 0, v25
	s_wait_dscnt 0x0
	s_wait_alu 0xfffd
	v_add_co_ci_u32_e64 v10, null, v26, v10, vcc_lo
.LBB1818_99:                            ;   in Loop: Header=BB1818_92 Depth=1
	s_wait_alu 0xfffe
	s_or_b32 exec_lo, exec_lo, s4
	s_wait_dscnt 0x1
	ds_bpermute_b32 v64, v56, v25
	s_wait_dscnt 0x1
	ds_bpermute_b32 v26, v56, v10
	s_mov_b32 s4, exec_lo
	v_cmpx_le_u32_e64 v57, v12
	s_cbranch_execz .LBB1818_101
; %bb.100:                              ;   in Loop: Header=BB1818_92 Depth=1
	s_wait_dscnt 0x1
	v_add_co_u32 v25, vcc_lo, v9, v64
	s_wait_alu 0xfffd
	v_add_co_ci_u32_e64 v10, null, 0, v10, vcc_lo
	s_delay_alu instid0(VALU_DEP_2) | instskip(SKIP_2) | instid1(VALU_DEP_2)
	v_add_co_u32 v9, vcc_lo, 0, v25
	s_wait_dscnt 0x0
	s_wait_alu 0xfffd
	v_add_co_ci_u32_e64 v10, null, v26, v10, vcc_lo
.LBB1818_101:                           ;   in Loop: Header=BB1818_92 Depth=1
	s_wait_alu 0xfffe
	s_or_b32 exec_lo, exec_lo, s4
	s_wait_dscnt 0x1
	ds_bpermute_b32 v64, v58, v25
	s_wait_dscnt 0x1
	ds_bpermute_b32 v26, v58, v10
	s_mov_b32 s4, exec_lo
	v_cmpx_le_u32_e64 v59, v12
	s_cbranch_execz .LBB1818_103
; %bb.102:                              ;   in Loop: Header=BB1818_92 Depth=1
	s_wait_dscnt 0x1
	v_add_co_u32 v25, vcc_lo, v9, v64
	s_wait_alu 0xfffd
	v_add_co_ci_u32_e64 v10, null, 0, v10, vcc_lo
	s_delay_alu instid0(VALU_DEP_2) | instskip(SKIP_2) | instid1(VALU_DEP_2)
	v_add_co_u32 v9, vcc_lo, 0, v25
	s_wait_dscnt 0x0
	s_wait_alu 0xfffd
	v_add_co_ci_u32_e64 v10, null, v26, v10, vcc_lo
.LBB1818_103:                           ;   in Loop: Header=BB1818_92 Depth=1
	;; [unrolled: 20-line block ×3, first 2 shown]
	s_wait_alu 0xfffe
	s_or_b32 exec_lo, exec_lo, s4
	s_wait_dscnt 0x0
	ds_bpermute_b32 v26, v62, v25
	ds_bpermute_b32 v25, v62, v10
	s_mov_b32 s4, exec_lo
	v_cmpx_le_u32_e64 v63, v12
	s_cbranch_execz .LBB1818_90
; %bb.106:                              ;   in Loop: Header=BB1818_92 Depth=1
	s_wait_dscnt 0x1
	v_add_co_u32 v9, vcc_lo, v9, v26
	s_wait_alu 0xfffd
	v_add_co_ci_u32_e64 v10, null, 0, v10, vcc_lo
	s_delay_alu instid0(VALU_DEP_2) | instskip(SKIP_2) | instid1(VALU_DEP_2)
	v_add_co_u32 v9, vcc_lo, v9, 0
	s_wait_dscnt 0x0
	s_wait_alu 0xfffd
	v_add_co_ci_u32_e64 v10, null, v10, v25, vcc_lo
	s_branch .LBB1818_90
.LBB1818_107:
                                        ; implicit-def: $vgpr7_vgpr8
                                        ; implicit-def: $vgpr9_vgpr10
	s_wait_alu 0xfffe
	s_and_b32 vcc_lo, exec_lo, s1
	s_wait_alu 0xfffe
	s_cbranch_vccnz .LBB1818_113
	s_branch .LBB1818_140
.LBB1818_108:
	s_and_saveexec_b32 s4, s1
	s_cbranch_execz .LBB1818_110
; %bb.109:
	s_add_co_i32 s6, s23, 32
	s_mov_b32 s7, 0
	v_add_co_u32 v9, vcc_lo, v7, v5
	s_wait_alu 0xfffe
	s_lshl_b64 s[6:7], s[6:7], 4
	v_dual_mov_b32 v11, 2 :: v_dual_mov_b32 v12, 0
	s_wait_alu 0xfffe
	s_add_nc_u64 s[6:7], s[24:25], s[6:7]
	s_wait_alu 0xfffd
	v_add_co_ci_u32_e64 v10, null, v8, v6, vcc_lo
	s_wait_alu 0xfffe
	v_dual_mov_b32 v24, s7 :: v_dual_mov_b32 v23, s6
	;;#ASMSTART
	global_store_b128 v[23:24], v[9:12] off scope:SCOPE_DEV	
s_wait_storecnt 0x0
	;;#ASMEND
	ds_store_b128 v12, v[5:8] offset:13824
.LBB1818_110:
	s_wait_alu 0xfffe
	s_or_b32 exec_lo, exec_lo, s4
	s_delay_alu instid0(SALU_CYCLE_1)
	s_and_b32 exec_lo, exec_lo, s2
; %bb.111:
	v_mov_b32_e32 v5, 0
	ds_store_b64 v5, v[7:8] offset:88
.LBB1818_112:
	s_wait_alu 0xfffe
	s_or_b32 exec_lo, exec_lo, s3
	v_mov_b32_e32 v5, 0
	s_wait_loadcnt_dscnt 0x0
	s_barrier_signal -1
	s_barrier_wait -1
	global_inv scope:SCOPE_SE
	ds_load_b64 v[9:10], v5 offset:88
	s_wait_loadcnt_dscnt 0x0
	s_barrier_signal -1
	s_barrier_wait -1
	global_inv scope:SCOPE_SE
	ds_load_b128 v[5:8], v5 offset:13824
	v_cndmask_b32_e64 v11, v53, v21, s1
	v_cndmask_b32_e64 v12, 0, v22, s1
	s_delay_alu instid0(VALU_DEP_2) | instskip(NEXT) | instid1(VALU_DEP_2)
	v_cndmask_b32_e64 v11, v11, 0, s2
	v_cndmask_b32_e64 v12, v12, 0, s2
	s_delay_alu instid0(VALU_DEP_2) | instskip(SKIP_1) | instid1(VALU_DEP_2)
	v_add_co_u32 v9, vcc_lo, v9, v11
	s_wait_alu 0xfffd
	v_add_co_ci_u32_e64 v10, null, v10, v12, vcc_lo
	s_branch .LBB1818_140
.LBB1818_113:
	s_wait_dscnt 0x0
	v_dual_mov_b32 v6, 0 :: v_dual_mov_b32 v7, v19
	v_mov_b32_dpp v8, v19 row_shr:1 row_mask:0xf bank_mask:0xf
	s_delay_alu instid0(VALU_DEP_2)
	v_mov_b32_dpp v5, v6 row_shr:1 row_mask:0xf bank_mask:0xf
	s_and_saveexec_b32 s1, s0
; %bb.114:
	s_delay_alu instid0(VALU_DEP_2) | instskip(SKIP_2) | instid1(VALU_DEP_2)
	v_add_co_u32 v7, vcc_lo, v19, v8
	s_wait_alu 0xfffd
	v_add_co_ci_u32_e64 v6, null, 0, v20, vcc_lo
	v_add_co_u32 v19, vcc_lo, 0, v7
	s_wait_alu 0xfffd
	s_delay_alu instid0(VALU_DEP_2) | instskip(NEXT) | instid1(VALU_DEP_1)
	v_add_co_ci_u32_e64 v20, null, v5, v6, vcc_lo
	v_mov_b32_e32 v6, v20
; %bb.115:
	s_wait_alu 0xfffe
	s_or_b32 exec_lo, exec_lo, s1
	v_mov_b32_dpp v5, v7 row_shr:2 row_mask:0xf bank_mask:0xf
	s_delay_alu instid0(VALU_DEP_2)
	v_mov_b32_dpp v8, v6 row_shr:2 row_mask:0xf bank_mask:0xf
	v_cmp_lt_u32_e32 vcc_lo, 1, v52
	s_and_saveexec_b32 s3, vcc_lo
; %bb.116:
	s_delay_alu instid0(VALU_DEP_3) | instskip(SKIP_2) | instid1(VALU_DEP_2)
	v_add_co_u32 v7, s1, v19, v5
	s_wait_alu 0xf1ff
	v_add_co_ci_u32_e64 v6, null, 0, v20, s1
	v_add_co_u32 v5, s1, 0, v7
	s_wait_alu 0xf1ff
	s_delay_alu instid0(VALU_DEP_2) | instskip(NEXT) | instid1(VALU_DEP_1)
	v_add_co_ci_u32_e64 v6, null, v8, v6, s1
	v_dual_mov_b32 v20, v6 :: v_dual_mov_b32 v19, v5
; %bb.117:
	s_wait_alu 0xfffe
	s_or_b32 exec_lo, exec_lo, s3
	v_mov_b32_dpp v5, v7 row_shr:4 row_mask:0xf bank_mask:0xf
	v_mov_b32_dpp v8, v6 row_shr:4 row_mask:0xf bank_mask:0xf
	v_cmp_lt_u32_e64 s1, 3, v52
	s_and_saveexec_b32 s4, s1
; %bb.118:
	v_add_co_u32 v7, s3, v19, v5
	s_wait_alu 0xf1ff
	v_add_co_ci_u32_e64 v6, null, 0, v20, s3
	s_delay_alu instid0(VALU_DEP_2) | instskip(SKIP_1) | instid1(VALU_DEP_2)
	v_add_co_u32 v5, s3, 0, v7
	s_wait_alu 0xf1ff
	v_add_co_ci_u32_e64 v6, null, v8, v6, s3
	s_delay_alu instid0(VALU_DEP_1)
	v_dual_mov_b32 v20, v6 :: v_dual_mov_b32 v19, v5
; %bb.119:
	s_wait_alu 0xfffe
	s_or_b32 exec_lo, exec_lo, s4
	v_mov_b32_dpp v8, v7 row_shr:8 row_mask:0xf bank_mask:0xf
	v_mov_b32_dpp v5, v6 row_shr:8 row_mask:0xf bank_mask:0xf
	v_cmp_lt_u32_e64 s3, 7, v52
	s_and_saveexec_b32 s5, s3
; %bb.120:
	v_add_co_u32 v7, s4, v19, v8
	s_wait_alu 0xf1ff
	v_add_co_ci_u32_e64 v6, null, 0, v20, s4
	s_delay_alu instid0(VALU_DEP_2) | instskip(SKIP_1) | instid1(VALU_DEP_2)
	v_add_co_u32 v19, s4, 0, v7
	s_wait_alu 0xf1ff
	v_add_co_ci_u32_e64 v20, null, v5, v6, s4
	s_delay_alu instid0(VALU_DEP_1)
	v_mov_b32_e32 v6, v20
; %bb.121:
	s_wait_alu 0xfffe
	s_or_b32 exec_lo, exec_lo, s5
	ds_swizzle_b32 v7, v7 offset:swizzle(BROADCAST,32,15)
	ds_swizzle_b32 v5, v6 offset:swizzle(BROADCAST,32,15)
	v_and_b32_e32 v6, 16, v51
	s_mov_b32 s5, exec_lo
	s_delay_alu instid0(VALU_DEP_1)
	v_cmpx_ne_u32_e32 0, v6
	s_cbranch_execz .LBB1818_123
; %bb.122:
	s_wait_dscnt 0x1
	v_add_co_u32 v6, s4, v19, v7
	s_wait_alu 0xf1ff
	v_add_co_ci_u32_e64 v7, null, 0, v20, s4
	s_delay_alu instid0(VALU_DEP_2) | instskip(SKIP_2) | instid1(VALU_DEP_2)
	v_add_co_u32 v19, s4, v6, 0
	s_wait_dscnt 0x0
	s_wait_alu 0xf1ff
	v_add_co_ci_u32_e64 v20, null, v7, v5, s4
.LBB1818_123:
	s_wait_alu 0xfffe
	s_or_b32 exec_lo, exec_lo, s5
	s_wait_dscnt 0x0
	v_and_b32_e32 v5, 0x1e0, v0
	v_lshrrev_b32_e32 v7, 5, v0
	s_mov_b32 s5, exec_lo
	s_delay_alu instid0(VALU_DEP_2) | instskip(NEXT) | instid1(VALU_DEP_1)
	v_min_u32_e32 v5, 0x160, v5
	v_or_b32_e32 v5, 31, v5
	s_delay_alu instid0(VALU_DEP_1)
	v_cmpx_eq_u32_e64 v0, v5
; %bb.124:
	v_lshlrev_b32_e32 v5, 3, v7
	ds_store_b64 v5, v[19:20]
; %bb.125:
	s_wait_alu 0xfffe
	s_or_b32 exec_lo, exec_lo, s5
	s_delay_alu instid0(SALU_CYCLE_1)
	s_mov_b32 s5, exec_lo
	s_wait_loadcnt_dscnt 0x0
	s_barrier_signal -1
	s_barrier_wait -1
	global_inv scope:SCOPE_SE
	v_cmpx_gt_u32_e32 12, v0
	s_cbranch_execz .LBB1818_135
; %bb.126:
	v_lshlrev_b32_e32 v8, 3, v0
	ds_load_b64 v[5:6], v8
	s_wait_dscnt 0x0
	v_mov_b32_dpp v11, v5 row_shr:1 row_mask:0xf bank_mask:0xf
	v_mov_b32_dpp v10, v6 row_shr:1 row_mask:0xf bank_mask:0xf
	v_mov_b32_e32 v9, v5
	s_and_saveexec_b32 s4, s0
; %bb.127:
	s_delay_alu instid0(VALU_DEP_3) | instskip(SKIP_2) | instid1(VALU_DEP_2)
	v_add_co_u32 v9, s0, v5, v11
	s_wait_alu 0xf1ff
	v_add_co_ci_u32_e64 v6, null, 0, v6, s0
	v_add_co_u32 v5, s0, 0, v9
	s_wait_alu 0xf1ff
	s_delay_alu instid0(VALU_DEP_2)
	v_add_co_ci_u32_e64 v6, null, v10, v6, s0
; %bb.128:
	s_wait_alu 0xfffe
	s_or_b32 exec_lo, exec_lo, s4
	v_mov_b32_dpp v11, v9 row_shr:2 row_mask:0xf bank_mask:0xf
	s_delay_alu instid0(VALU_DEP_2)
	v_mov_b32_dpp v10, v6 row_shr:2 row_mask:0xf bank_mask:0xf
	s_and_saveexec_b32 s0, vcc_lo
; %bb.129:
	s_delay_alu instid0(VALU_DEP_2) | instskip(SKIP_2) | instid1(VALU_DEP_2)
	v_add_co_u32 v9, vcc_lo, v5, v11
	s_wait_alu 0xfffd
	v_add_co_ci_u32_e64 v6, null, 0, v6, vcc_lo
	v_add_co_u32 v5, vcc_lo, 0, v9
	s_wait_alu 0xfffd
	s_delay_alu instid0(VALU_DEP_2)
	v_add_co_ci_u32_e64 v6, null, v10, v6, vcc_lo
; %bb.130:
	s_wait_alu 0xfffe
	s_or_b32 exec_lo, exec_lo, s0
	v_mov_b32_dpp v11, v9 row_shr:4 row_mask:0xf bank_mask:0xf
	s_delay_alu instid0(VALU_DEP_2)
	v_mov_b32_dpp v10, v6 row_shr:4 row_mask:0xf bank_mask:0xf
	s_and_saveexec_b32 s0, s1
; %bb.131:
	s_delay_alu instid0(VALU_DEP_2) | instskip(SKIP_2) | instid1(VALU_DEP_2)
	v_add_co_u32 v9, vcc_lo, v5, v11
	s_wait_alu 0xfffd
	v_add_co_ci_u32_e64 v6, null, 0, v6, vcc_lo
	v_add_co_u32 v5, vcc_lo, 0, v9
	s_wait_alu 0xfffd
	s_delay_alu instid0(VALU_DEP_2)
	v_add_co_ci_u32_e64 v6, null, v10, v6, vcc_lo
; %bb.132:
	s_wait_alu 0xfffe
	s_or_b32 exec_lo, exec_lo, s0
	v_mov_b32_dpp v10, v9 row_shr:8 row_mask:0xf bank_mask:0xf
	s_delay_alu instid0(VALU_DEP_2)
	v_mov_b32_dpp v9, v6 row_shr:8 row_mask:0xf bank_mask:0xf
	s_and_saveexec_b32 s0, s3
; %bb.133:
	s_delay_alu instid0(VALU_DEP_2) | instskip(SKIP_2) | instid1(VALU_DEP_2)
	v_add_co_u32 v5, vcc_lo, v5, v10
	s_wait_alu 0xfffd
	v_add_co_ci_u32_e64 v6, null, 0, v6, vcc_lo
	v_add_co_u32 v5, vcc_lo, v5, 0
	s_wait_alu 0xfffd
	s_delay_alu instid0(VALU_DEP_2)
	v_add_co_ci_u32_e64 v6, null, v6, v9, vcc_lo
; %bb.134:
	s_wait_alu 0xfffe
	s_or_b32 exec_lo, exec_lo, s0
	ds_store_b64 v8, v[5:6]
.LBB1818_135:
	s_wait_alu 0xfffe
	s_or_b32 exec_lo, exec_lo, s5
	s_delay_alu instid0(SALU_CYCLE_1)
	s_mov_b32 s0, exec_lo
	v_mov_b32_e32 v9, 0
	v_mov_b32_e32 v10, 0
	s_wait_loadcnt_dscnt 0x0
	s_barrier_signal -1
	s_barrier_wait -1
	global_inv scope:SCOPE_SE
	v_cmpx_lt_u32_e32 31, v0
; %bb.136:
	v_lshl_add_u32 v0, v7, 3, -8
	ds_load_b64 v[9:10], v0
; %bb.137:
	s_wait_alu 0xfffe
	s_or_b32 exec_lo, exec_lo, s0
	v_sub_co_u32 v0, vcc_lo, v51, 1
	s_wait_dscnt 0x0
	v_dual_mov_b32 v8, 0 :: v_dual_add_nc_u32 v5, v9, v19
	s_delay_alu instid0(VALU_DEP_2) | instskip(SKIP_1) | instid1(VALU_DEP_1)
	v_cmp_gt_i32_e64 s0, 0, v0
	s_wait_alu 0xf1ff
	v_cndmask_b32_e64 v0, v0, v51, s0
	s_delay_alu instid0(VALU_DEP_1)
	v_lshlrev_b32_e32 v0, 2, v0
	ds_bpermute_b32 v0, v0, v5
	ds_load_b64 v[5:6], v8 offset:88
	s_and_saveexec_b32 s0, s2
	s_cbranch_execz .LBB1818_139
; %bb.138:
	s_add_nc_u64 s[4:5], s[24:25], 0x200
	v_mov_b32_e32 v7, 2
	s_wait_alu 0xfffe
	v_dual_mov_b32 v11, s5 :: v_dual_mov_b32 v10, s4
	s_wait_dscnt 0x0
	;;#ASMSTART
	global_store_b128 v[10:11], v[5:8] off scope:SCOPE_DEV	
s_wait_storecnt 0x0
	;;#ASMEND
.LBB1818_139:
	s_wait_alu 0xfffe
	s_or_b32 exec_lo, exec_lo, s0
	s_wait_dscnt 0x1
	s_wait_alu 0xfffd
	v_dual_cndmask_b32 v0, v0, v9 :: v_dual_mov_b32 v7, 0
	v_mov_b32_e32 v8, 0
	s_wait_loadcnt_dscnt 0x0
	s_barrier_signal -1
	s_delay_alu instid0(VALU_DEP_2)
	v_cndmask_b32_e64 v9, v0, 0, s2
	s_barrier_wait -1
	global_inv scope:SCOPE_SE
.LBB1818_140:
	s_wait_dscnt 0x0
	v_cmp_gt_u64_e32 vcc_lo, 0x181, v[5:6]
	v_lshrrev_b32_e32 v19, 16, v38
	v_lshrrev_b32_e32 v20, 8, v38
	;; [unrolled: 1-line block ×8, first 2 shown]
	s_cbranch_vccz .LBB1818_143
; %bb.141:
	s_and_b32 s0, s2, s19
	s_wait_alu 0xfffe
	s_and_saveexec_b32 s1, s0
	s_cbranch_execnz .LBB1818_180
.LBB1818_142:
	s_endpgm
.LBB1818_143:
	v_and_b32_e32 v23, 1, v44
	s_mov_b32 s0, exec_lo
	s_delay_alu instid0(VALU_DEP_1)
	v_cmpx_eq_u32_e32 1, v23
; %bb.144:
	v_sub_nc_u32_e32 v23, v9, v7
	s_delay_alu instid0(VALU_DEP_1)
	v_lshlrev_b32_e32 v23, 1, v23
	ds_store_b16 v23, v28
; %bb.145:
	s_wait_alu 0xfffe
	s_or_b32 exec_lo, exec_lo, s0
	v_and_b32_e32 v22, 1, v22
	v_add_co_u32 v9, null, v9, v49
	s_mov_b32 s0, exec_lo
	v_cmpx_eq_u32_e32 1, v22
; %bb.146:
	v_sub_nc_u32_e32 v22, v9, v7
	s_delay_alu instid0(VALU_DEP_1)
	v_lshlrev_b32_e32 v22, 1, v22
	ds_store_b16_d16_hi v22, v28
; %bb.147:
	s_wait_alu 0xfffe
	s_or_b32 exec_lo, exec_lo, s0
	v_and_b32_e32 v21, 1, v21
	v_add_co_u32 v9, null, v9, v47
	s_mov_b32 s0, exec_lo
	v_cmpx_eq_u32_e32 1, v21
; %bb.148:
	v_sub_nc_u32_e32 v21, v9, v7
	s_delay_alu instid0(VALU_DEP_1)
	v_lshlrev_b32_e32 v21, 1, v21
	ds_store_b16 v21, v27
; %bb.149:
	s_wait_alu 0xfffe
	s_or_b32 exec_lo, exec_lo, s0
	v_and_b32_e32 v21, 1, v48
	v_add_co_u32 v9, null, v9, v50
	s_mov_b32 s0, exec_lo
	v_cmpx_eq_u32_e32 1, v21
; %bb.150:
	v_sub_nc_u32_e32 v21, v9, v7
	s_delay_alu instid0(VALU_DEP_1)
	v_lshlrev_b32_e32 v21, 1, v21
	ds_store_b16 v21, v1
; %bb.151:
	s_wait_alu 0xfffe
	s_or_b32 exec_lo, exec_lo, s0
	v_and_b32_e32 v21, 1, v38
	v_add_co_u32 v9, null, v9, v48
	s_mov_b32 s0, exec_lo
	v_cmpx_eq_u32_e32 1, v21
; %bb.152:
	v_sub_nc_u32_e32 v21, v9, v7
	s_delay_alu instid0(VALU_DEP_1)
	v_lshlrev_b32_e32 v21, 1, v21
	ds_store_b16_d16_hi v21, v1
; %bb.153:
	s_wait_alu 0xfffe
	s_or_b32 exec_lo, exec_lo, s0
	v_and_b32_e32 v20, 1, v20
	v_add_co_u32 v1, null, v9, v46
	s_mov_b32 s0, exec_lo
	v_cmpx_eq_u32_e32 1, v20
; %bb.154:
	v_sub_nc_u32_e32 v9, v1, v7
	s_delay_alu instid0(VALU_DEP_1)
	v_lshlrev_b32_e32 v9, 1, v9
	ds_store_b16 v9, v2
; %bb.155:
	s_wait_alu 0xfffe
	s_or_b32 exec_lo, exec_lo, s0
	v_and_b32_e32 v9, 1, v19
	v_add_co_u32 v1, null, v1, v45
	s_mov_b32 s0, exec_lo
	v_cmpx_eq_u32_e32 1, v9
; %bb.156:
	v_sub_nc_u32_e32 v9, v1, v7
	s_delay_alu instid0(VALU_DEP_1)
	v_lshlrev_b32_e32 v9, 1, v9
	ds_store_b16_d16_hi v9, v2
	;; [unrolled: 24-line block ×7, first 2 shown]
; %bb.177:
	s_wait_alu 0xfffe
	s_or_b32 exec_lo, exec_lo, s0
	s_and_saveexec_b32 s0, s22
; %bb.178:
	v_sub_nc_u32_e32 v1, v31, v7
	s_delay_alu instid0(VALU_DEP_1)
	v_add_lshl_u32 v0, v1, v0, 1
	ds_store_b16 v0, v16
; %bb.179:
	s_wait_alu 0xfffe
	s_or_b32 exec_lo, exec_lo, s0
	s_wait_loadcnt_dscnt 0x0
	s_barrier_signal -1
	s_barrier_wait -1
	global_inv scope:SCOPE_SE
	s_and_b32 s0, s2, s19
	s_wait_alu 0xfffe
	s_and_saveexec_b32 s1, s0
	s_cbranch_execz .LBB1818_142
.LBB1818_180:
	v_add_co_u32 v0, vcc_lo, v5, v17
	s_wait_alu 0xfffd
	v_add_co_ci_u32_e64 v1, null, v6, v18, vcc_lo
	v_mov_b32_e32 v2, 0
	s_delay_alu instid0(VALU_DEP_3) | instskip(SKIP_1) | instid1(VALU_DEP_3)
	v_add_co_u32 v0, vcc_lo, v0, v7
	s_wait_alu 0xfffd
	v_add_co_ci_u32_e64 v1, null, v1, v8, vcc_lo
	global_store_b64 v2, v[0:1], s[20:21]
	s_endpgm
	.section	.rodata,"a",@progbits
	.p2align	6, 0x0
	.amdhsa_kernel _ZN7rocprim17ROCPRIM_400000_NS6detail17trampoline_kernelINS0_14default_configENS1_25partition_config_selectorILNS1_17partition_subalgoE6EsNS0_10empty_typeEbEEZZNS1_14partition_implILS5_6ELb0ES3_mN6thrust23THRUST_200600_302600_NS6detail15normal_iteratorINSA_10device_ptrIsEEEEPS6_SG_NS0_5tupleIJNSA_16discard_iteratorINSA_11use_defaultEEES6_EEENSH_IJSG_SG_EEES6_PlJNSB_9not_fun_tINSB_14equal_to_valueIsEEEEEEE10hipError_tPvRmT3_T4_T5_T6_T7_T9_mT8_P12ihipStream_tbDpT10_ENKUlT_T0_E_clISt17integral_constantIbLb0EES1A_IbLb1EEEEDaS16_S17_EUlS16_E_NS1_11comp_targetILNS1_3genE10ELNS1_11target_archE1200ELNS1_3gpuE4ELNS1_3repE0EEENS1_30default_config_static_selectorELNS0_4arch9wavefront6targetE0EEEvT1_
		.amdhsa_group_segment_fixed_size 13840
		.amdhsa_private_segment_fixed_size 0
		.amdhsa_kernarg_size 136
		.amdhsa_user_sgpr_count 2
		.amdhsa_user_sgpr_dispatch_ptr 0
		.amdhsa_user_sgpr_queue_ptr 0
		.amdhsa_user_sgpr_kernarg_segment_ptr 1
		.amdhsa_user_sgpr_dispatch_id 0
		.amdhsa_user_sgpr_private_segment_size 0
		.amdhsa_wavefront_size32 1
		.amdhsa_uses_dynamic_stack 0
		.amdhsa_enable_private_segment 0
		.amdhsa_system_sgpr_workgroup_id_x 1
		.amdhsa_system_sgpr_workgroup_id_y 0
		.amdhsa_system_sgpr_workgroup_id_z 0
		.amdhsa_system_sgpr_workgroup_info 0
		.amdhsa_system_vgpr_workitem_id 0
		.amdhsa_next_free_vgpr 65
		.amdhsa_next_free_sgpr 28
		.amdhsa_reserve_vcc 1
		.amdhsa_float_round_mode_32 0
		.amdhsa_float_round_mode_16_64 0
		.amdhsa_float_denorm_mode_32 3
		.amdhsa_float_denorm_mode_16_64 3
		.amdhsa_fp16_overflow 0
		.amdhsa_workgroup_processor_mode 1
		.amdhsa_memory_ordered 1
		.amdhsa_forward_progress 1
		.amdhsa_inst_pref_size 75
		.amdhsa_round_robin_scheduling 0
		.amdhsa_exception_fp_ieee_invalid_op 0
		.amdhsa_exception_fp_denorm_src 0
		.amdhsa_exception_fp_ieee_div_zero 0
		.amdhsa_exception_fp_ieee_overflow 0
		.amdhsa_exception_fp_ieee_underflow 0
		.amdhsa_exception_fp_ieee_inexact 0
		.amdhsa_exception_int_div_zero 0
	.end_amdhsa_kernel
	.section	.text._ZN7rocprim17ROCPRIM_400000_NS6detail17trampoline_kernelINS0_14default_configENS1_25partition_config_selectorILNS1_17partition_subalgoE6EsNS0_10empty_typeEbEEZZNS1_14partition_implILS5_6ELb0ES3_mN6thrust23THRUST_200600_302600_NS6detail15normal_iteratorINSA_10device_ptrIsEEEEPS6_SG_NS0_5tupleIJNSA_16discard_iteratorINSA_11use_defaultEEES6_EEENSH_IJSG_SG_EEES6_PlJNSB_9not_fun_tINSB_14equal_to_valueIsEEEEEEE10hipError_tPvRmT3_T4_T5_T6_T7_T9_mT8_P12ihipStream_tbDpT10_ENKUlT_T0_E_clISt17integral_constantIbLb0EES1A_IbLb1EEEEDaS16_S17_EUlS16_E_NS1_11comp_targetILNS1_3genE10ELNS1_11target_archE1200ELNS1_3gpuE4ELNS1_3repE0EEENS1_30default_config_static_selectorELNS0_4arch9wavefront6targetE0EEEvT1_,"axG",@progbits,_ZN7rocprim17ROCPRIM_400000_NS6detail17trampoline_kernelINS0_14default_configENS1_25partition_config_selectorILNS1_17partition_subalgoE6EsNS0_10empty_typeEbEEZZNS1_14partition_implILS5_6ELb0ES3_mN6thrust23THRUST_200600_302600_NS6detail15normal_iteratorINSA_10device_ptrIsEEEEPS6_SG_NS0_5tupleIJNSA_16discard_iteratorINSA_11use_defaultEEES6_EEENSH_IJSG_SG_EEES6_PlJNSB_9not_fun_tINSB_14equal_to_valueIsEEEEEEE10hipError_tPvRmT3_T4_T5_T6_T7_T9_mT8_P12ihipStream_tbDpT10_ENKUlT_T0_E_clISt17integral_constantIbLb0EES1A_IbLb1EEEEDaS16_S17_EUlS16_E_NS1_11comp_targetILNS1_3genE10ELNS1_11target_archE1200ELNS1_3gpuE4ELNS1_3repE0EEENS1_30default_config_static_selectorELNS0_4arch9wavefront6targetE0EEEvT1_,comdat
.Lfunc_end1818:
	.size	_ZN7rocprim17ROCPRIM_400000_NS6detail17trampoline_kernelINS0_14default_configENS1_25partition_config_selectorILNS1_17partition_subalgoE6EsNS0_10empty_typeEbEEZZNS1_14partition_implILS5_6ELb0ES3_mN6thrust23THRUST_200600_302600_NS6detail15normal_iteratorINSA_10device_ptrIsEEEEPS6_SG_NS0_5tupleIJNSA_16discard_iteratorINSA_11use_defaultEEES6_EEENSH_IJSG_SG_EEES6_PlJNSB_9not_fun_tINSB_14equal_to_valueIsEEEEEEE10hipError_tPvRmT3_T4_T5_T6_T7_T9_mT8_P12ihipStream_tbDpT10_ENKUlT_T0_E_clISt17integral_constantIbLb0EES1A_IbLb1EEEEDaS16_S17_EUlS16_E_NS1_11comp_targetILNS1_3genE10ELNS1_11target_archE1200ELNS1_3gpuE4ELNS1_3repE0EEENS1_30default_config_static_selectorELNS0_4arch9wavefront6targetE0EEEvT1_, .Lfunc_end1818-_ZN7rocprim17ROCPRIM_400000_NS6detail17trampoline_kernelINS0_14default_configENS1_25partition_config_selectorILNS1_17partition_subalgoE6EsNS0_10empty_typeEbEEZZNS1_14partition_implILS5_6ELb0ES3_mN6thrust23THRUST_200600_302600_NS6detail15normal_iteratorINSA_10device_ptrIsEEEEPS6_SG_NS0_5tupleIJNSA_16discard_iteratorINSA_11use_defaultEEES6_EEENSH_IJSG_SG_EEES6_PlJNSB_9not_fun_tINSB_14equal_to_valueIsEEEEEEE10hipError_tPvRmT3_T4_T5_T6_T7_T9_mT8_P12ihipStream_tbDpT10_ENKUlT_T0_E_clISt17integral_constantIbLb0EES1A_IbLb1EEEEDaS16_S17_EUlS16_E_NS1_11comp_targetILNS1_3genE10ELNS1_11target_archE1200ELNS1_3gpuE4ELNS1_3repE0EEENS1_30default_config_static_selectorELNS0_4arch9wavefront6targetE0EEEvT1_
                                        ; -- End function
	.set _ZN7rocprim17ROCPRIM_400000_NS6detail17trampoline_kernelINS0_14default_configENS1_25partition_config_selectorILNS1_17partition_subalgoE6EsNS0_10empty_typeEbEEZZNS1_14partition_implILS5_6ELb0ES3_mN6thrust23THRUST_200600_302600_NS6detail15normal_iteratorINSA_10device_ptrIsEEEEPS6_SG_NS0_5tupleIJNSA_16discard_iteratorINSA_11use_defaultEEES6_EEENSH_IJSG_SG_EEES6_PlJNSB_9not_fun_tINSB_14equal_to_valueIsEEEEEEE10hipError_tPvRmT3_T4_T5_T6_T7_T9_mT8_P12ihipStream_tbDpT10_ENKUlT_T0_E_clISt17integral_constantIbLb0EES1A_IbLb1EEEEDaS16_S17_EUlS16_E_NS1_11comp_targetILNS1_3genE10ELNS1_11target_archE1200ELNS1_3gpuE4ELNS1_3repE0EEENS1_30default_config_static_selectorELNS0_4arch9wavefront6targetE0EEEvT1_.num_vgpr, 65
	.set _ZN7rocprim17ROCPRIM_400000_NS6detail17trampoline_kernelINS0_14default_configENS1_25partition_config_selectorILNS1_17partition_subalgoE6EsNS0_10empty_typeEbEEZZNS1_14partition_implILS5_6ELb0ES3_mN6thrust23THRUST_200600_302600_NS6detail15normal_iteratorINSA_10device_ptrIsEEEEPS6_SG_NS0_5tupleIJNSA_16discard_iteratorINSA_11use_defaultEEES6_EEENSH_IJSG_SG_EEES6_PlJNSB_9not_fun_tINSB_14equal_to_valueIsEEEEEEE10hipError_tPvRmT3_T4_T5_T6_T7_T9_mT8_P12ihipStream_tbDpT10_ENKUlT_T0_E_clISt17integral_constantIbLb0EES1A_IbLb1EEEEDaS16_S17_EUlS16_E_NS1_11comp_targetILNS1_3genE10ELNS1_11target_archE1200ELNS1_3gpuE4ELNS1_3repE0EEENS1_30default_config_static_selectorELNS0_4arch9wavefront6targetE0EEEvT1_.num_agpr, 0
	.set _ZN7rocprim17ROCPRIM_400000_NS6detail17trampoline_kernelINS0_14default_configENS1_25partition_config_selectorILNS1_17partition_subalgoE6EsNS0_10empty_typeEbEEZZNS1_14partition_implILS5_6ELb0ES3_mN6thrust23THRUST_200600_302600_NS6detail15normal_iteratorINSA_10device_ptrIsEEEEPS6_SG_NS0_5tupleIJNSA_16discard_iteratorINSA_11use_defaultEEES6_EEENSH_IJSG_SG_EEES6_PlJNSB_9not_fun_tINSB_14equal_to_valueIsEEEEEEE10hipError_tPvRmT3_T4_T5_T6_T7_T9_mT8_P12ihipStream_tbDpT10_ENKUlT_T0_E_clISt17integral_constantIbLb0EES1A_IbLb1EEEEDaS16_S17_EUlS16_E_NS1_11comp_targetILNS1_3genE10ELNS1_11target_archE1200ELNS1_3gpuE4ELNS1_3repE0EEENS1_30default_config_static_selectorELNS0_4arch9wavefront6targetE0EEEvT1_.numbered_sgpr, 28
	.set _ZN7rocprim17ROCPRIM_400000_NS6detail17trampoline_kernelINS0_14default_configENS1_25partition_config_selectorILNS1_17partition_subalgoE6EsNS0_10empty_typeEbEEZZNS1_14partition_implILS5_6ELb0ES3_mN6thrust23THRUST_200600_302600_NS6detail15normal_iteratorINSA_10device_ptrIsEEEEPS6_SG_NS0_5tupleIJNSA_16discard_iteratorINSA_11use_defaultEEES6_EEENSH_IJSG_SG_EEES6_PlJNSB_9not_fun_tINSB_14equal_to_valueIsEEEEEEE10hipError_tPvRmT3_T4_T5_T6_T7_T9_mT8_P12ihipStream_tbDpT10_ENKUlT_T0_E_clISt17integral_constantIbLb0EES1A_IbLb1EEEEDaS16_S17_EUlS16_E_NS1_11comp_targetILNS1_3genE10ELNS1_11target_archE1200ELNS1_3gpuE4ELNS1_3repE0EEENS1_30default_config_static_selectorELNS0_4arch9wavefront6targetE0EEEvT1_.num_named_barrier, 0
	.set _ZN7rocprim17ROCPRIM_400000_NS6detail17trampoline_kernelINS0_14default_configENS1_25partition_config_selectorILNS1_17partition_subalgoE6EsNS0_10empty_typeEbEEZZNS1_14partition_implILS5_6ELb0ES3_mN6thrust23THRUST_200600_302600_NS6detail15normal_iteratorINSA_10device_ptrIsEEEEPS6_SG_NS0_5tupleIJNSA_16discard_iteratorINSA_11use_defaultEEES6_EEENSH_IJSG_SG_EEES6_PlJNSB_9not_fun_tINSB_14equal_to_valueIsEEEEEEE10hipError_tPvRmT3_T4_T5_T6_T7_T9_mT8_P12ihipStream_tbDpT10_ENKUlT_T0_E_clISt17integral_constantIbLb0EES1A_IbLb1EEEEDaS16_S17_EUlS16_E_NS1_11comp_targetILNS1_3genE10ELNS1_11target_archE1200ELNS1_3gpuE4ELNS1_3repE0EEENS1_30default_config_static_selectorELNS0_4arch9wavefront6targetE0EEEvT1_.private_seg_size, 0
	.set _ZN7rocprim17ROCPRIM_400000_NS6detail17trampoline_kernelINS0_14default_configENS1_25partition_config_selectorILNS1_17partition_subalgoE6EsNS0_10empty_typeEbEEZZNS1_14partition_implILS5_6ELb0ES3_mN6thrust23THRUST_200600_302600_NS6detail15normal_iteratorINSA_10device_ptrIsEEEEPS6_SG_NS0_5tupleIJNSA_16discard_iteratorINSA_11use_defaultEEES6_EEENSH_IJSG_SG_EEES6_PlJNSB_9not_fun_tINSB_14equal_to_valueIsEEEEEEE10hipError_tPvRmT3_T4_T5_T6_T7_T9_mT8_P12ihipStream_tbDpT10_ENKUlT_T0_E_clISt17integral_constantIbLb0EES1A_IbLb1EEEEDaS16_S17_EUlS16_E_NS1_11comp_targetILNS1_3genE10ELNS1_11target_archE1200ELNS1_3gpuE4ELNS1_3repE0EEENS1_30default_config_static_selectorELNS0_4arch9wavefront6targetE0EEEvT1_.uses_vcc, 1
	.set _ZN7rocprim17ROCPRIM_400000_NS6detail17trampoline_kernelINS0_14default_configENS1_25partition_config_selectorILNS1_17partition_subalgoE6EsNS0_10empty_typeEbEEZZNS1_14partition_implILS5_6ELb0ES3_mN6thrust23THRUST_200600_302600_NS6detail15normal_iteratorINSA_10device_ptrIsEEEEPS6_SG_NS0_5tupleIJNSA_16discard_iteratorINSA_11use_defaultEEES6_EEENSH_IJSG_SG_EEES6_PlJNSB_9not_fun_tINSB_14equal_to_valueIsEEEEEEE10hipError_tPvRmT3_T4_T5_T6_T7_T9_mT8_P12ihipStream_tbDpT10_ENKUlT_T0_E_clISt17integral_constantIbLb0EES1A_IbLb1EEEEDaS16_S17_EUlS16_E_NS1_11comp_targetILNS1_3genE10ELNS1_11target_archE1200ELNS1_3gpuE4ELNS1_3repE0EEENS1_30default_config_static_selectorELNS0_4arch9wavefront6targetE0EEEvT1_.uses_flat_scratch, 1
	.set _ZN7rocprim17ROCPRIM_400000_NS6detail17trampoline_kernelINS0_14default_configENS1_25partition_config_selectorILNS1_17partition_subalgoE6EsNS0_10empty_typeEbEEZZNS1_14partition_implILS5_6ELb0ES3_mN6thrust23THRUST_200600_302600_NS6detail15normal_iteratorINSA_10device_ptrIsEEEEPS6_SG_NS0_5tupleIJNSA_16discard_iteratorINSA_11use_defaultEEES6_EEENSH_IJSG_SG_EEES6_PlJNSB_9not_fun_tINSB_14equal_to_valueIsEEEEEEE10hipError_tPvRmT3_T4_T5_T6_T7_T9_mT8_P12ihipStream_tbDpT10_ENKUlT_T0_E_clISt17integral_constantIbLb0EES1A_IbLb1EEEEDaS16_S17_EUlS16_E_NS1_11comp_targetILNS1_3genE10ELNS1_11target_archE1200ELNS1_3gpuE4ELNS1_3repE0EEENS1_30default_config_static_selectorELNS0_4arch9wavefront6targetE0EEEvT1_.has_dyn_sized_stack, 0
	.set _ZN7rocprim17ROCPRIM_400000_NS6detail17trampoline_kernelINS0_14default_configENS1_25partition_config_selectorILNS1_17partition_subalgoE6EsNS0_10empty_typeEbEEZZNS1_14partition_implILS5_6ELb0ES3_mN6thrust23THRUST_200600_302600_NS6detail15normal_iteratorINSA_10device_ptrIsEEEEPS6_SG_NS0_5tupleIJNSA_16discard_iteratorINSA_11use_defaultEEES6_EEENSH_IJSG_SG_EEES6_PlJNSB_9not_fun_tINSB_14equal_to_valueIsEEEEEEE10hipError_tPvRmT3_T4_T5_T6_T7_T9_mT8_P12ihipStream_tbDpT10_ENKUlT_T0_E_clISt17integral_constantIbLb0EES1A_IbLb1EEEEDaS16_S17_EUlS16_E_NS1_11comp_targetILNS1_3genE10ELNS1_11target_archE1200ELNS1_3gpuE4ELNS1_3repE0EEENS1_30default_config_static_selectorELNS0_4arch9wavefront6targetE0EEEvT1_.has_recursion, 0
	.set _ZN7rocprim17ROCPRIM_400000_NS6detail17trampoline_kernelINS0_14default_configENS1_25partition_config_selectorILNS1_17partition_subalgoE6EsNS0_10empty_typeEbEEZZNS1_14partition_implILS5_6ELb0ES3_mN6thrust23THRUST_200600_302600_NS6detail15normal_iteratorINSA_10device_ptrIsEEEEPS6_SG_NS0_5tupleIJNSA_16discard_iteratorINSA_11use_defaultEEES6_EEENSH_IJSG_SG_EEES6_PlJNSB_9not_fun_tINSB_14equal_to_valueIsEEEEEEE10hipError_tPvRmT3_T4_T5_T6_T7_T9_mT8_P12ihipStream_tbDpT10_ENKUlT_T0_E_clISt17integral_constantIbLb0EES1A_IbLb1EEEEDaS16_S17_EUlS16_E_NS1_11comp_targetILNS1_3genE10ELNS1_11target_archE1200ELNS1_3gpuE4ELNS1_3repE0EEENS1_30default_config_static_selectorELNS0_4arch9wavefront6targetE0EEEvT1_.has_indirect_call, 0
	.section	.AMDGPU.csdata,"",@progbits
; Kernel info:
; codeLenInByte = 9552
; TotalNumSgprs: 30
; NumVgprs: 65
; ScratchSize: 0
; MemoryBound: 0
; FloatMode: 240
; IeeeMode: 1
; LDSByteSize: 13840 bytes/workgroup (compile time only)
; SGPRBlocks: 0
; VGPRBlocks: 8
; NumSGPRsForWavesPerEU: 30
; NumVGPRsForWavesPerEU: 65
; Occupancy: 15
; WaveLimiterHint : 1
; COMPUTE_PGM_RSRC2:SCRATCH_EN: 0
; COMPUTE_PGM_RSRC2:USER_SGPR: 2
; COMPUTE_PGM_RSRC2:TRAP_HANDLER: 0
; COMPUTE_PGM_RSRC2:TGID_X_EN: 1
; COMPUTE_PGM_RSRC2:TGID_Y_EN: 0
; COMPUTE_PGM_RSRC2:TGID_Z_EN: 0
; COMPUTE_PGM_RSRC2:TIDIG_COMP_CNT: 0
	.section	.text._ZN7rocprim17ROCPRIM_400000_NS6detail17trampoline_kernelINS0_14default_configENS1_25partition_config_selectorILNS1_17partition_subalgoE6EsNS0_10empty_typeEbEEZZNS1_14partition_implILS5_6ELb0ES3_mN6thrust23THRUST_200600_302600_NS6detail15normal_iteratorINSA_10device_ptrIsEEEEPS6_SG_NS0_5tupleIJNSA_16discard_iteratorINSA_11use_defaultEEES6_EEENSH_IJSG_SG_EEES6_PlJNSB_9not_fun_tINSB_14equal_to_valueIsEEEEEEE10hipError_tPvRmT3_T4_T5_T6_T7_T9_mT8_P12ihipStream_tbDpT10_ENKUlT_T0_E_clISt17integral_constantIbLb0EES1A_IbLb1EEEEDaS16_S17_EUlS16_E_NS1_11comp_targetILNS1_3genE9ELNS1_11target_archE1100ELNS1_3gpuE3ELNS1_3repE0EEENS1_30default_config_static_selectorELNS0_4arch9wavefront6targetE0EEEvT1_,"axG",@progbits,_ZN7rocprim17ROCPRIM_400000_NS6detail17trampoline_kernelINS0_14default_configENS1_25partition_config_selectorILNS1_17partition_subalgoE6EsNS0_10empty_typeEbEEZZNS1_14partition_implILS5_6ELb0ES3_mN6thrust23THRUST_200600_302600_NS6detail15normal_iteratorINSA_10device_ptrIsEEEEPS6_SG_NS0_5tupleIJNSA_16discard_iteratorINSA_11use_defaultEEES6_EEENSH_IJSG_SG_EEES6_PlJNSB_9not_fun_tINSB_14equal_to_valueIsEEEEEEE10hipError_tPvRmT3_T4_T5_T6_T7_T9_mT8_P12ihipStream_tbDpT10_ENKUlT_T0_E_clISt17integral_constantIbLb0EES1A_IbLb1EEEEDaS16_S17_EUlS16_E_NS1_11comp_targetILNS1_3genE9ELNS1_11target_archE1100ELNS1_3gpuE3ELNS1_3repE0EEENS1_30default_config_static_selectorELNS0_4arch9wavefront6targetE0EEEvT1_,comdat
	.protected	_ZN7rocprim17ROCPRIM_400000_NS6detail17trampoline_kernelINS0_14default_configENS1_25partition_config_selectorILNS1_17partition_subalgoE6EsNS0_10empty_typeEbEEZZNS1_14partition_implILS5_6ELb0ES3_mN6thrust23THRUST_200600_302600_NS6detail15normal_iteratorINSA_10device_ptrIsEEEEPS6_SG_NS0_5tupleIJNSA_16discard_iteratorINSA_11use_defaultEEES6_EEENSH_IJSG_SG_EEES6_PlJNSB_9not_fun_tINSB_14equal_to_valueIsEEEEEEE10hipError_tPvRmT3_T4_T5_T6_T7_T9_mT8_P12ihipStream_tbDpT10_ENKUlT_T0_E_clISt17integral_constantIbLb0EES1A_IbLb1EEEEDaS16_S17_EUlS16_E_NS1_11comp_targetILNS1_3genE9ELNS1_11target_archE1100ELNS1_3gpuE3ELNS1_3repE0EEENS1_30default_config_static_selectorELNS0_4arch9wavefront6targetE0EEEvT1_ ; -- Begin function _ZN7rocprim17ROCPRIM_400000_NS6detail17trampoline_kernelINS0_14default_configENS1_25partition_config_selectorILNS1_17partition_subalgoE6EsNS0_10empty_typeEbEEZZNS1_14partition_implILS5_6ELb0ES3_mN6thrust23THRUST_200600_302600_NS6detail15normal_iteratorINSA_10device_ptrIsEEEEPS6_SG_NS0_5tupleIJNSA_16discard_iteratorINSA_11use_defaultEEES6_EEENSH_IJSG_SG_EEES6_PlJNSB_9not_fun_tINSB_14equal_to_valueIsEEEEEEE10hipError_tPvRmT3_T4_T5_T6_T7_T9_mT8_P12ihipStream_tbDpT10_ENKUlT_T0_E_clISt17integral_constantIbLb0EES1A_IbLb1EEEEDaS16_S17_EUlS16_E_NS1_11comp_targetILNS1_3genE9ELNS1_11target_archE1100ELNS1_3gpuE3ELNS1_3repE0EEENS1_30default_config_static_selectorELNS0_4arch9wavefront6targetE0EEEvT1_
	.globl	_ZN7rocprim17ROCPRIM_400000_NS6detail17trampoline_kernelINS0_14default_configENS1_25partition_config_selectorILNS1_17partition_subalgoE6EsNS0_10empty_typeEbEEZZNS1_14partition_implILS5_6ELb0ES3_mN6thrust23THRUST_200600_302600_NS6detail15normal_iteratorINSA_10device_ptrIsEEEEPS6_SG_NS0_5tupleIJNSA_16discard_iteratorINSA_11use_defaultEEES6_EEENSH_IJSG_SG_EEES6_PlJNSB_9not_fun_tINSB_14equal_to_valueIsEEEEEEE10hipError_tPvRmT3_T4_T5_T6_T7_T9_mT8_P12ihipStream_tbDpT10_ENKUlT_T0_E_clISt17integral_constantIbLb0EES1A_IbLb1EEEEDaS16_S17_EUlS16_E_NS1_11comp_targetILNS1_3genE9ELNS1_11target_archE1100ELNS1_3gpuE3ELNS1_3repE0EEENS1_30default_config_static_selectorELNS0_4arch9wavefront6targetE0EEEvT1_
	.p2align	8
	.type	_ZN7rocprim17ROCPRIM_400000_NS6detail17trampoline_kernelINS0_14default_configENS1_25partition_config_selectorILNS1_17partition_subalgoE6EsNS0_10empty_typeEbEEZZNS1_14partition_implILS5_6ELb0ES3_mN6thrust23THRUST_200600_302600_NS6detail15normal_iteratorINSA_10device_ptrIsEEEEPS6_SG_NS0_5tupleIJNSA_16discard_iteratorINSA_11use_defaultEEES6_EEENSH_IJSG_SG_EEES6_PlJNSB_9not_fun_tINSB_14equal_to_valueIsEEEEEEE10hipError_tPvRmT3_T4_T5_T6_T7_T9_mT8_P12ihipStream_tbDpT10_ENKUlT_T0_E_clISt17integral_constantIbLb0EES1A_IbLb1EEEEDaS16_S17_EUlS16_E_NS1_11comp_targetILNS1_3genE9ELNS1_11target_archE1100ELNS1_3gpuE3ELNS1_3repE0EEENS1_30default_config_static_selectorELNS0_4arch9wavefront6targetE0EEEvT1_,@function
_ZN7rocprim17ROCPRIM_400000_NS6detail17trampoline_kernelINS0_14default_configENS1_25partition_config_selectorILNS1_17partition_subalgoE6EsNS0_10empty_typeEbEEZZNS1_14partition_implILS5_6ELb0ES3_mN6thrust23THRUST_200600_302600_NS6detail15normal_iteratorINSA_10device_ptrIsEEEEPS6_SG_NS0_5tupleIJNSA_16discard_iteratorINSA_11use_defaultEEES6_EEENSH_IJSG_SG_EEES6_PlJNSB_9not_fun_tINSB_14equal_to_valueIsEEEEEEE10hipError_tPvRmT3_T4_T5_T6_T7_T9_mT8_P12ihipStream_tbDpT10_ENKUlT_T0_E_clISt17integral_constantIbLb0EES1A_IbLb1EEEEDaS16_S17_EUlS16_E_NS1_11comp_targetILNS1_3genE9ELNS1_11target_archE1100ELNS1_3gpuE3ELNS1_3repE0EEENS1_30default_config_static_selectorELNS0_4arch9wavefront6targetE0EEEvT1_: ; @_ZN7rocprim17ROCPRIM_400000_NS6detail17trampoline_kernelINS0_14default_configENS1_25partition_config_selectorILNS1_17partition_subalgoE6EsNS0_10empty_typeEbEEZZNS1_14partition_implILS5_6ELb0ES3_mN6thrust23THRUST_200600_302600_NS6detail15normal_iteratorINSA_10device_ptrIsEEEEPS6_SG_NS0_5tupleIJNSA_16discard_iteratorINSA_11use_defaultEEES6_EEENSH_IJSG_SG_EEES6_PlJNSB_9not_fun_tINSB_14equal_to_valueIsEEEEEEE10hipError_tPvRmT3_T4_T5_T6_T7_T9_mT8_P12ihipStream_tbDpT10_ENKUlT_T0_E_clISt17integral_constantIbLb0EES1A_IbLb1EEEEDaS16_S17_EUlS16_E_NS1_11comp_targetILNS1_3genE9ELNS1_11target_archE1100ELNS1_3gpuE3ELNS1_3repE0EEENS1_30default_config_static_selectorELNS0_4arch9wavefront6targetE0EEEvT1_
; %bb.0:
	.section	.rodata,"a",@progbits
	.p2align	6, 0x0
	.amdhsa_kernel _ZN7rocprim17ROCPRIM_400000_NS6detail17trampoline_kernelINS0_14default_configENS1_25partition_config_selectorILNS1_17partition_subalgoE6EsNS0_10empty_typeEbEEZZNS1_14partition_implILS5_6ELb0ES3_mN6thrust23THRUST_200600_302600_NS6detail15normal_iteratorINSA_10device_ptrIsEEEEPS6_SG_NS0_5tupleIJNSA_16discard_iteratorINSA_11use_defaultEEES6_EEENSH_IJSG_SG_EEES6_PlJNSB_9not_fun_tINSB_14equal_to_valueIsEEEEEEE10hipError_tPvRmT3_T4_T5_T6_T7_T9_mT8_P12ihipStream_tbDpT10_ENKUlT_T0_E_clISt17integral_constantIbLb0EES1A_IbLb1EEEEDaS16_S17_EUlS16_E_NS1_11comp_targetILNS1_3genE9ELNS1_11target_archE1100ELNS1_3gpuE3ELNS1_3repE0EEENS1_30default_config_static_selectorELNS0_4arch9wavefront6targetE0EEEvT1_
		.amdhsa_group_segment_fixed_size 0
		.amdhsa_private_segment_fixed_size 0
		.amdhsa_kernarg_size 136
		.amdhsa_user_sgpr_count 2
		.amdhsa_user_sgpr_dispatch_ptr 0
		.amdhsa_user_sgpr_queue_ptr 0
		.amdhsa_user_sgpr_kernarg_segment_ptr 1
		.amdhsa_user_sgpr_dispatch_id 0
		.amdhsa_user_sgpr_private_segment_size 0
		.amdhsa_wavefront_size32 1
		.amdhsa_uses_dynamic_stack 0
		.amdhsa_enable_private_segment 0
		.amdhsa_system_sgpr_workgroup_id_x 1
		.amdhsa_system_sgpr_workgroup_id_y 0
		.amdhsa_system_sgpr_workgroup_id_z 0
		.amdhsa_system_sgpr_workgroup_info 0
		.amdhsa_system_vgpr_workitem_id 0
		.amdhsa_next_free_vgpr 1
		.amdhsa_next_free_sgpr 1
		.amdhsa_reserve_vcc 0
		.amdhsa_float_round_mode_32 0
		.amdhsa_float_round_mode_16_64 0
		.amdhsa_float_denorm_mode_32 3
		.amdhsa_float_denorm_mode_16_64 3
		.amdhsa_fp16_overflow 0
		.amdhsa_workgroup_processor_mode 1
		.amdhsa_memory_ordered 1
		.amdhsa_forward_progress 1
		.amdhsa_inst_pref_size 0
		.amdhsa_round_robin_scheduling 0
		.amdhsa_exception_fp_ieee_invalid_op 0
		.amdhsa_exception_fp_denorm_src 0
		.amdhsa_exception_fp_ieee_div_zero 0
		.amdhsa_exception_fp_ieee_overflow 0
		.amdhsa_exception_fp_ieee_underflow 0
		.amdhsa_exception_fp_ieee_inexact 0
		.amdhsa_exception_int_div_zero 0
	.end_amdhsa_kernel
	.section	.text._ZN7rocprim17ROCPRIM_400000_NS6detail17trampoline_kernelINS0_14default_configENS1_25partition_config_selectorILNS1_17partition_subalgoE6EsNS0_10empty_typeEbEEZZNS1_14partition_implILS5_6ELb0ES3_mN6thrust23THRUST_200600_302600_NS6detail15normal_iteratorINSA_10device_ptrIsEEEEPS6_SG_NS0_5tupleIJNSA_16discard_iteratorINSA_11use_defaultEEES6_EEENSH_IJSG_SG_EEES6_PlJNSB_9not_fun_tINSB_14equal_to_valueIsEEEEEEE10hipError_tPvRmT3_T4_T5_T6_T7_T9_mT8_P12ihipStream_tbDpT10_ENKUlT_T0_E_clISt17integral_constantIbLb0EES1A_IbLb1EEEEDaS16_S17_EUlS16_E_NS1_11comp_targetILNS1_3genE9ELNS1_11target_archE1100ELNS1_3gpuE3ELNS1_3repE0EEENS1_30default_config_static_selectorELNS0_4arch9wavefront6targetE0EEEvT1_,"axG",@progbits,_ZN7rocprim17ROCPRIM_400000_NS6detail17trampoline_kernelINS0_14default_configENS1_25partition_config_selectorILNS1_17partition_subalgoE6EsNS0_10empty_typeEbEEZZNS1_14partition_implILS5_6ELb0ES3_mN6thrust23THRUST_200600_302600_NS6detail15normal_iteratorINSA_10device_ptrIsEEEEPS6_SG_NS0_5tupleIJNSA_16discard_iteratorINSA_11use_defaultEEES6_EEENSH_IJSG_SG_EEES6_PlJNSB_9not_fun_tINSB_14equal_to_valueIsEEEEEEE10hipError_tPvRmT3_T4_T5_T6_T7_T9_mT8_P12ihipStream_tbDpT10_ENKUlT_T0_E_clISt17integral_constantIbLb0EES1A_IbLb1EEEEDaS16_S17_EUlS16_E_NS1_11comp_targetILNS1_3genE9ELNS1_11target_archE1100ELNS1_3gpuE3ELNS1_3repE0EEENS1_30default_config_static_selectorELNS0_4arch9wavefront6targetE0EEEvT1_,comdat
.Lfunc_end1819:
	.size	_ZN7rocprim17ROCPRIM_400000_NS6detail17trampoline_kernelINS0_14default_configENS1_25partition_config_selectorILNS1_17partition_subalgoE6EsNS0_10empty_typeEbEEZZNS1_14partition_implILS5_6ELb0ES3_mN6thrust23THRUST_200600_302600_NS6detail15normal_iteratorINSA_10device_ptrIsEEEEPS6_SG_NS0_5tupleIJNSA_16discard_iteratorINSA_11use_defaultEEES6_EEENSH_IJSG_SG_EEES6_PlJNSB_9not_fun_tINSB_14equal_to_valueIsEEEEEEE10hipError_tPvRmT3_T4_T5_T6_T7_T9_mT8_P12ihipStream_tbDpT10_ENKUlT_T0_E_clISt17integral_constantIbLb0EES1A_IbLb1EEEEDaS16_S17_EUlS16_E_NS1_11comp_targetILNS1_3genE9ELNS1_11target_archE1100ELNS1_3gpuE3ELNS1_3repE0EEENS1_30default_config_static_selectorELNS0_4arch9wavefront6targetE0EEEvT1_, .Lfunc_end1819-_ZN7rocprim17ROCPRIM_400000_NS6detail17trampoline_kernelINS0_14default_configENS1_25partition_config_selectorILNS1_17partition_subalgoE6EsNS0_10empty_typeEbEEZZNS1_14partition_implILS5_6ELb0ES3_mN6thrust23THRUST_200600_302600_NS6detail15normal_iteratorINSA_10device_ptrIsEEEEPS6_SG_NS0_5tupleIJNSA_16discard_iteratorINSA_11use_defaultEEES6_EEENSH_IJSG_SG_EEES6_PlJNSB_9not_fun_tINSB_14equal_to_valueIsEEEEEEE10hipError_tPvRmT3_T4_T5_T6_T7_T9_mT8_P12ihipStream_tbDpT10_ENKUlT_T0_E_clISt17integral_constantIbLb0EES1A_IbLb1EEEEDaS16_S17_EUlS16_E_NS1_11comp_targetILNS1_3genE9ELNS1_11target_archE1100ELNS1_3gpuE3ELNS1_3repE0EEENS1_30default_config_static_selectorELNS0_4arch9wavefront6targetE0EEEvT1_
                                        ; -- End function
	.set _ZN7rocprim17ROCPRIM_400000_NS6detail17trampoline_kernelINS0_14default_configENS1_25partition_config_selectorILNS1_17partition_subalgoE6EsNS0_10empty_typeEbEEZZNS1_14partition_implILS5_6ELb0ES3_mN6thrust23THRUST_200600_302600_NS6detail15normal_iteratorINSA_10device_ptrIsEEEEPS6_SG_NS0_5tupleIJNSA_16discard_iteratorINSA_11use_defaultEEES6_EEENSH_IJSG_SG_EEES6_PlJNSB_9not_fun_tINSB_14equal_to_valueIsEEEEEEE10hipError_tPvRmT3_T4_T5_T6_T7_T9_mT8_P12ihipStream_tbDpT10_ENKUlT_T0_E_clISt17integral_constantIbLb0EES1A_IbLb1EEEEDaS16_S17_EUlS16_E_NS1_11comp_targetILNS1_3genE9ELNS1_11target_archE1100ELNS1_3gpuE3ELNS1_3repE0EEENS1_30default_config_static_selectorELNS0_4arch9wavefront6targetE0EEEvT1_.num_vgpr, 0
	.set _ZN7rocprim17ROCPRIM_400000_NS6detail17trampoline_kernelINS0_14default_configENS1_25partition_config_selectorILNS1_17partition_subalgoE6EsNS0_10empty_typeEbEEZZNS1_14partition_implILS5_6ELb0ES3_mN6thrust23THRUST_200600_302600_NS6detail15normal_iteratorINSA_10device_ptrIsEEEEPS6_SG_NS0_5tupleIJNSA_16discard_iteratorINSA_11use_defaultEEES6_EEENSH_IJSG_SG_EEES6_PlJNSB_9not_fun_tINSB_14equal_to_valueIsEEEEEEE10hipError_tPvRmT3_T4_T5_T6_T7_T9_mT8_P12ihipStream_tbDpT10_ENKUlT_T0_E_clISt17integral_constantIbLb0EES1A_IbLb1EEEEDaS16_S17_EUlS16_E_NS1_11comp_targetILNS1_3genE9ELNS1_11target_archE1100ELNS1_3gpuE3ELNS1_3repE0EEENS1_30default_config_static_selectorELNS0_4arch9wavefront6targetE0EEEvT1_.num_agpr, 0
	.set _ZN7rocprim17ROCPRIM_400000_NS6detail17trampoline_kernelINS0_14default_configENS1_25partition_config_selectorILNS1_17partition_subalgoE6EsNS0_10empty_typeEbEEZZNS1_14partition_implILS5_6ELb0ES3_mN6thrust23THRUST_200600_302600_NS6detail15normal_iteratorINSA_10device_ptrIsEEEEPS6_SG_NS0_5tupleIJNSA_16discard_iteratorINSA_11use_defaultEEES6_EEENSH_IJSG_SG_EEES6_PlJNSB_9not_fun_tINSB_14equal_to_valueIsEEEEEEE10hipError_tPvRmT3_T4_T5_T6_T7_T9_mT8_P12ihipStream_tbDpT10_ENKUlT_T0_E_clISt17integral_constantIbLb0EES1A_IbLb1EEEEDaS16_S17_EUlS16_E_NS1_11comp_targetILNS1_3genE9ELNS1_11target_archE1100ELNS1_3gpuE3ELNS1_3repE0EEENS1_30default_config_static_selectorELNS0_4arch9wavefront6targetE0EEEvT1_.numbered_sgpr, 0
	.set _ZN7rocprim17ROCPRIM_400000_NS6detail17trampoline_kernelINS0_14default_configENS1_25partition_config_selectorILNS1_17partition_subalgoE6EsNS0_10empty_typeEbEEZZNS1_14partition_implILS5_6ELb0ES3_mN6thrust23THRUST_200600_302600_NS6detail15normal_iteratorINSA_10device_ptrIsEEEEPS6_SG_NS0_5tupleIJNSA_16discard_iteratorINSA_11use_defaultEEES6_EEENSH_IJSG_SG_EEES6_PlJNSB_9not_fun_tINSB_14equal_to_valueIsEEEEEEE10hipError_tPvRmT3_T4_T5_T6_T7_T9_mT8_P12ihipStream_tbDpT10_ENKUlT_T0_E_clISt17integral_constantIbLb0EES1A_IbLb1EEEEDaS16_S17_EUlS16_E_NS1_11comp_targetILNS1_3genE9ELNS1_11target_archE1100ELNS1_3gpuE3ELNS1_3repE0EEENS1_30default_config_static_selectorELNS0_4arch9wavefront6targetE0EEEvT1_.num_named_barrier, 0
	.set _ZN7rocprim17ROCPRIM_400000_NS6detail17trampoline_kernelINS0_14default_configENS1_25partition_config_selectorILNS1_17partition_subalgoE6EsNS0_10empty_typeEbEEZZNS1_14partition_implILS5_6ELb0ES3_mN6thrust23THRUST_200600_302600_NS6detail15normal_iteratorINSA_10device_ptrIsEEEEPS6_SG_NS0_5tupleIJNSA_16discard_iteratorINSA_11use_defaultEEES6_EEENSH_IJSG_SG_EEES6_PlJNSB_9not_fun_tINSB_14equal_to_valueIsEEEEEEE10hipError_tPvRmT3_T4_T5_T6_T7_T9_mT8_P12ihipStream_tbDpT10_ENKUlT_T0_E_clISt17integral_constantIbLb0EES1A_IbLb1EEEEDaS16_S17_EUlS16_E_NS1_11comp_targetILNS1_3genE9ELNS1_11target_archE1100ELNS1_3gpuE3ELNS1_3repE0EEENS1_30default_config_static_selectorELNS0_4arch9wavefront6targetE0EEEvT1_.private_seg_size, 0
	.set _ZN7rocprim17ROCPRIM_400000_NS6detail17trampoline_kernelINS0_14default_configENS1_25partition_config_selectorILNS1_17partition_subalgoE6EsNS0_10empty_typeEbEEZZNS1_14partition_implILS5_6ELb0ES3_mN6thrust23THRUST_200600_302600_NS6detail15normal_iteratorINSA_10device_ptrIsEEEEPS6_SG_NS0_5tupleIJNSA_16discard_iteratorINSA_11use_defaultEEES6_EEENSH_IJSG_SG_EEES6_PlJNSB_9not_fun_tINSB_14equal_to_valueIsEEEEEEE10hipError_tPvRmT3_T4_T5_T6_T7_T9_mT8_P12ihipStream_tbDpT10_ENKUlT_T0_E_clISt17integral_constantIbLb0EES1A_IbLb1EEEEDaS16_S17_EUlS16_E_NS1_11comp_targetILNS1_3genE9ELNS1_11target_archE1100ELNS1_3gpuE3ELNS1_3repE0EEENS1_30default_config_static_selectorELNS0_4arch9wavefront6targetE0EEEvT1_.uses_vcc, 0
	.set _ZN7rocprim17ROCPRIM_400000_NS6detail17trampoline_kernelINS0_14default_configENS1_25partition_config_selectorILNS1_17partition_subalgoE6EsNS0_10empty_typeEbEEZZNS1_14partition_implILS5_6ELb0ES3_mN6thrust23THRUST_200600_302600_NS6detail15normal_iteratorINSA_10device_ptrIsEEEEPS6_SG_NS0_5tupleIJNSA_16discard_iteratorINSA_11use_defaultEEES6_EEENSH_IJSG_SG_EEES6_PlJNSB_9not_fun_tINSB_14equal_to_valueIsEEEEEEE10hipError_tPvRmT3_T4_T5_T6_T7_T9_mT8_P12ihipStream_tbDpT10_ENKUlT_T0_E_clISt17integral_constantIbLb0EES1A_IbLb1EEEEDaS16_S17_EUlS16_E_NS1_11comp_targetILNS1_3genE9ELNS1_11target_archE1100ELNS1_3gpuE3ELNS1_3repE0EEENS1_30default_config_static_selectorELNS0_4arch9wavefront6targetE0EEEvT1_.uses_flat_scratch, 0
	.set _ZN7rocprim17ROCPRIM_400000_NS6detail17trampoline_kernelINS0_14default_configENS1_25partition_config_selectorILNS1_17partition_subalgoE6EsNS0_10empty_typeEbEEZZNS1_14partition_implILS5_6ELb0ES3_mN6thrust23THRUST_200600_302600_NS6detail15normal_iteratorINSA_10device_ptrIsEEEEPS6_SG_NS0_5tupleIJNSA_16discard_iteratorINSA_11use_defaultEEES6_EEENSH_IJSG_SG_EEES6_PlJNSB_9not_fun_tINSB_14equal_to_valueIsEEEEEEE10hipError_tPvRmT3_T4_T5_T6_T7_T9_mT8_P12ihipStream_tbDpT10_ENKUlT_T0_E_clISt17integral_constantIbLb0EES1A_IbLb1EEEEDaS16_S17_EUlS16_E_NS1_11comp_targetILNS1_3genE9ELNS1_11target_archE1100ELNS1_3gpuE3ELNS1_3repE0EEENS1_30default_config_static_selectorELNS0_4arch9wavefront6targetE0EEEvT1_.has_dyn_sized_stack, 0
	.set _ZN7rocprim17ROCPRIM_400000_NS6detail17trampoline_kernelINS0_14default_configENS1_25partition_config_selectorILNS1_17partition_subalgoE6EsNS0_10empty_typeEbEEZZNS1_14partition_implILS5_6ELb0ES3_mN6thrust23THRUST_200600_302600_NS6detail15normal_iteratorINSA_10device_ptrIsEEEEPS6_SG_NS0_5tupleIJNSA_16discard_iteratorINSA_11use_defaultEEES6_EEENSH_IJSG_SG_EEES6_PlJNSB_9not_fun_tINSB_14equal_to_valueIsEEEEEEE10hipError_tPvRmT3_T4_T5_T6_T7_T9_mT8_P12ihipStream_tbDpT10_ENKUlT_T0_E_clISt17integral_constantIbLb0EES1A_IbLb1EEEEDaS16_S17_EUlS16_E_NS1_11comp_targetILNS1_3genE9ELNS1_11target_archE1100ELNS1_3gpuE3ELNS1_3repE0EEENS1_30default_config_static_selectorELNS0_4arch9wavefront6targetE0EEEvT1_.has_recursion, 0
	.set _ZN7rocprim17ROCPRIM_400000_NS6detail17trampoline_kernelINS0_14default_configENS1_25partition_config_selectorILNS1_17partition_subalgoE6EsNS0_10empty_typeEbEEZZNS1_14partition_implILS5_6ELb0ES3_mN6thrust23THRUST_200600_302600_NS6detail15normal_iteratorINSA_10device_ptrIsEEEEPS6_SG_NS0_5tupleIJNSA_16discard_iteratorINSA_11use_defaultEEES6_EEENSH_IJSG_SG_EEES6_PlJNSB_9not_fun_tINSB_14equal_to_valueIsEEEEEEE10hipError_tPvRmT3_T4_T5_T6_T7_T9_mT8_P12ihipStream_tbDpT10_ENKUlT_T0_E_clISt17integral_constantIbLb0EES1A_IbLb1EEEEDaS16_S17_EUlS16_E_NS1_11comp_targetILNS1_3genE9ELNS1_11target_archE1100ELNS1_3gpuE3ELNS1_3repE0EEENS1_30default_config_static_selectorELNS0_4arch9wavefront6targetE0EEEvT1_.has_indirect_call, 0
	.section	.AMDGPU.csdata,"",@progbits
; Kernel info:
; codeLenInByte = 0
; TotalNumSgprs: 0
; NumVgprs: 0
; ScratchSize: 0
; MemoryBound: 0
; FloatMode: 240
; IeeeMode: 1
; LDSByteSize: 0 bytes/workgroup (compile time only)
; SGPRBlocks: 0
; VGPRBlocks: 0
; NumSGPRsForWavesPerEU: 1
; NumVGPRsForWavesPerEU: 1
; Occupancy: 16
; WaveLimiterHint : 0
; COMPUTE_PGM_RSRC2:SCRATCH_EN: 0
; COMPUTE_PGM_RSRC2:USER_SGPR: 2
; COMPUTE_PGM_RSRC2:TRAP_HANDLER: 0
; COMPUTE_PGM_RSRC2:TGID_X_EN: 1
; COMPUTE_PGM_RSRC2:TGID_Y_EN: 0
; COMPUTE_PGM_RSRC2:TGID_Z_EN: 0
; COMPUTE_PGM_RSRC2:TIDIG_COMP_CNT: 0
	.section	.text._ZN7rocprim17ROCPRIM_400000_NS6detail17trampoline_kernelINS0_14default_configENS1_25partition_config_selectorILNS1_17partition_subalgoE6EsNS0_10empty_typeEbEEZZNS1_14partition_implILS5_6ELb0ES3_mN6thrust23THRUST_200600_302600_NS6detail15normal_iteratorINSA_10device_ptrIsEEEEPS6_SG_NS0_5tupleIJNSA_16discard_iteratorINSA_11use_defaultEEES6_EEENSH_IJSG_SG_EEES6_PlJNSB_9not_fun_tINSB_14equal_to_valueIsEEEEEEE10hipError_tPvRmT3_T4_T5_T6_T7_T9_mT8_P12ihipStream_tbDpT10_ENKUlT_T0_E_clISt17integral_constantIbLb0EES1A_IbLb1EEEEDaS16_S17_EUlS16_E_NS1_11comp_targetILNS1_3genE8ELNS1_11target_archE1030ELNS1_3gpuE2ELNS1_3repE0EEENS1_30default_config_static_selectorELNS0_4arch9wavefront6targetE0EEEvT1_,"axG",@progbits,_ZN7rocprim17ROCPRIM_400000_NS6detail17trampoline_kernelINS0_14default_configENS1_25partition_config_selectorILNS1_17partition_subalgoE6EsNS0_10empty_typeEbEEZZNS1_14partition_implILS5_6ELb0ES3_mN6thrust23THRUST_200600_302600_NS6detail15normal_iteratorINSA_10device_ptrIsEEEEPS6_SG_NS0_5tupleIJNSA_16discard_iteratorINSA_11use_defaultEEES6_EEENSH_IJSG_SG_EEES6_PlJNSB_9not_fun_tINSB_14equal_to_valueIsEEEEEEE10hipError_tPvRmT3_T4_T5_T6_T7_T9_mT8_P12ihipStream_tbDpT10_ENKUlT_T0_E_clISt17integral_constantIbLb0EES1A_IbLb1EEEEDaS16_S17_EUlS16_E_NS1_11comp_targetILNS1_3genE8ELNS1_11target_archE1030ELNS1_3gpuE2ELNS1_3repE0EEENS1_30default_config_static_selectorELNS0_4arch9wavefront6targetE0EEEvT1_,comdat
	.protected	_ZN7rocprim17ROCPRIM_400000_NS6detail17trampoline_kernelINS0_14default_configENS1_25partition_config_selectorILNS1_17partition_subalgoE6EsNS0_10empty_typeEbEEZZNS1_14partition_implILS5_6ELb0ES3_mN6thrust23THRUST_200600_302600_NS6detail15normal_iteratorINSA_10device_ptrIsEEEEPS6_SG_NS0_5tupleIJNSA_16discard_iteratorINSA_11use_defaultEEES6_EEENSH_IJSG_SG_EEES6_PlJNSB_9not_fun_tINSB_14equal_to_valueIsEEEEEEE10hipError_tPvRmT3_T4_T5_T6_T7_T9_mT8_P12ihipStream_tbDpT10_ENKUlT_T0_E_clISt17integral_constantIbLb0EES1A_IbLb1EEEEDaS16_S17_EUlS16_E_NS1_11comp_targetILNS1_3genE8ELNS1_11target_archE1030ELNS1_3gpuE2ELNS1_3repE0EEENS1_30default_config_static_selectorELNS0_4arch9wavefront6targetE0EEEvT1_ ; -- Begin function _ZN7rocprim17ROCPRIM_400000_NS6detail17trampoline_kernelINS0_14default_configENS1_25partition_config_selectorILNS1_17partition_subalgoE6EsNS0_10empty_typeEbEEZZNS1_14partition_implILS5_6ELb0ES3_mN6thrust23THRUST_200600_302600_NS6detail15normal_iteratorINSA_10device_ptrIsEEEEPS6_SG_NS0_5tupleIJNSA_16discard_iteratorINSA_11use_defaultEEES6_EEENSH_IJSG_SG_EEES6_PlJNSB_9not_fun_tINSB_14equal_to_valueIsEEEEEEE10hipError_tPvRmT3_T4_T5_T6_T7_T9_mT8_P12ihipStream_tbDpT10_ENKUlT_T0_E_clISt17integral_constantIbLb0EES1A_IbLb1EEEEDaS16_S17_EUlS16_E_NS1_11comp_targetILNS1_3genE8ELNS1_11target_archE1030ELNS1_3gpuE2ELNS1_3repE0EEENS1_30default_config_static_selectorELNS0_4arch9wavefront6targetE0EEEvT1_
	.globl	_ZN7rocprim17ROCPRIM_400000_NS6detail17trampoline_kernelINS0_14default_configENS1_25partition_config_selectorILNS1_17partition_subalgoE6EsNS0_10empty_typeEbEEZZNS1_14partition_implILS5_6ELb0ES3_mN6thrust23THRUST_200600_302600_NS6detail15normal_iteratorINSA_10device_ptrIsEEEEPS6_SG_NS0_5tupleIJNSA_16discard_iteratorINSA_11use_defaultEEES6_EEENSH_IJSG_SG_EEES6_PlJNSB_9not_fun_tINSB_14equal_to_valueIsEEEEEEE10hipError_tPvRmT3_T4_T5_T6_T7_T9_mT8_P12ihipStream_tbDpT10_ENKUlT_T0_E_clISt17integral_constantIbLb0EES1A_IbLb1EEEEDaS16_S17_EUlS16_E_NS1_11comp_targetILNS1_3genE8ELNS1_11target_archE1030ELNS1_3gpuE2ELNS1_3repE0EEENS1_30default_config_static_selectorELNS0_4arch9wavefront6targetE0EEEvT1_
	.p2align	8
	.type	_ZN7rocprim17ROCPRIM_400000_NS6detail17trampoline_kernelINS0_14default_configENS1_25partition_config_selectorILNS1_17partition_subalgoE6EsNS0_10empty_typeEbEEZZNS1_14partition_implILS5_6ELb0ES3_mN6thrust23THRUST_200600_302600_NS6detail15normal_iteratorINSA_10device_ptrIsEEEEPS6_SG_NS0_5tupleIJNSA_16discard_iteratorINSA_11use_defaultEEES6_EEENSH_IJSG_SG_EEES6_PlJNSB_9not_fun_tINSB_14equal_to_valueIsEEEEEEE10hipError_tPvRmT3_T4_T5_T6_T7_T9_mT8_P12ihipStream_tbDpT10_ENKUlT_T0_E_clISt17integral_constantIbLb0EES1A_IbLb1EEEEDaS16_S17_EUlS16_E_NS1_11comp_targetILNS1_3genE8ELNS1_11target_archE1030ELNS1_3gpuE2ELNS1_3repE0EEENS1_30default_config_static_selectorELNS0_4arch9wavefront6targetE0EEEvT1_,@function
_ZN7rocprim17ROCPRIM_400000_NS6detail17trampoline_kernelINS0_14default_configENS1_25partition_config_selectorILNS1_17partition_subalgoE6EsNS0_10empty_typeEbEEZZNS1_14partition_implILS5_6ELb0ES3_mN6thrust23THRUST_200600_302600_NS6detail15normal_iteratorINSA_10device_ptrIsEEEEPS6_SG_NS0_5tupleIJNSA_16discard_iteratorINSA_11use_defaultEEES6_EEENSH_IJSG_SG_EEES6_PlJNSB_9not_fun_tINSB_14equal_to_valueIsEEEEEEE10hipError_tPvRmT3_T4_T5_T6_T7_T9_mT8_P12ihipStream_tbDpT10_ENKUlT_T0_E_clISt17integral_constantIbLb0EES1A_IbLb1EEEEDaS16_S17_EUlS16_E_NS1_11comp_targetILNS1_3genE8ELNS1_11target_archE1030ELNS1_3gpuE2ELNS1_3repE0EEENS1_30default_config_static_selectorELNS0_4arch9wavefront6targetE0EEEvT1_: ; @_ZN7rocprim17ROCPRIM_400000_NS6detail17trampoline_kernelINS0_14default_configENS1_25partition_config_selectorILNS1_17partition_subalgoE6EsNS0_10empty_typeEbEEZZNS1_14partition_implILS5_6ELb0ES3_mN6thrust23THRUST_200600_302600_NS6detail15normal_iteratorINSA_10device_ptrIsEEEEPS6_SG_NS0_5tupleIJNSA_16discard_iteratorINSA_11use_defaultEEES6_EEENSH_IJSG_SG_EEES6_PlJNSB_9not_fun_tINSB_14equal_to_valueIsEEEEEEE10hipError_tPvRmT3_T4_T5_T6_T7_T9_mT8_P12ihipStream_tbDpT10_ENKUlT_T0_E_clISt17integral_constantIbLb0EES1A_IbLb1EEEEDaS16_S17_EUlS16_E_NS1_11comp_targetILNS1_3genE8ELNS1_11target_archE1030ELNS1_3gpuE2ELNS1_3repE0EEENS1_30default_config_static_selectorELNS0_4arch9wavefront6targetE0EEEvT1_
; %bb.0:
	.section	.rodata,"a",@progbits
	.p2align	6, 0x0
	.amdhsa_kernel _ZN7rocprim17ROCPRIM_400000_NS6detail17trampoline_kernelINS0_14default_configENS1_25partition_config_selectorILNS1_17partition_subalgoE6EsNS0_10empty_typeEbEEZZNS1_14partition_implILS5_6ELb0ES3_mN6thrust23THRUST_200600_302600_NS6detail15normal_iteratorINSA_10device_ptrIsEEEEPS6_SG_NS0_5tupleIJNSA_16discard_iteratorINSA_11use_defaultEEES6_EEENSH_IJSG_SG_EEES6_PlJNSB_9not_fun_tINSB_14equal_to_valueIsEEEEEEE10hipError_tPvRmT3_T4_T5_T6_T7_T9_mT8_P12ihipStream_tbDpT10_ENKUlT_T0_E_clISt17integral_constantIbLb0EES1A_IbLb1EEEEDaS16_S17_EUlS16_E_NS1_11comp_targetILNS1_3genE8ELNS1_11target_archE1030ELNS1_3gpuE2ELNS1_3repE0EEENS1_30default_config_static_selectorELNS0_4arch9wavefront6targetE0EEEvT1_
		.amdhsa_group_segment_fixed_size 0
		.amdhsa_private_segment_fixed_size 0
		.amdhsa_kernarg_size 136
		.amdhsa_user_sgpr_count 2
		.amdhsa_user_sgpr_dispatch_ptr 0
		.amdhsa_user_sgpr_queue_ptr 0
		.amdhsa_user_sgpr_kernarg_segment_ptr 1
		.amdhsa_user_sgpr_dispatch_id 0
		.amdhsa_user_sgpr_private_segment_size 0
		.amdhsa_wavefront_size32 1
		.amdhsa_uses_dynamic_stack 0
		.amdhsa_enable_private_segment 0
		.amdhsa_system_sgpr_workgroup_id_x 1
		.amdhsa_system_sgpr_workgroup_id_y 0
		.amdhsa_system_sgpr_workgroup_id_z 0
		.amdhsa_system_sgpr_workgroup_info 0
		.amdhsa_system_vgpr_workitem_id 0
		.amdhsa_next_free_vgpr 1
		.amdhsa_next_free_sgpr 1
		.amdhsa_reserve_vcc 0
		.amdhsa_float_round_mode_32 0
		.amdhsa_float_round_mode_16_64 0
		.amdhsa_float_denorm_mode_32 3
		.amdhsa_float_denorm_mode_16_64 3
		.amdhsa_fp16_overflow 0
		.amdhsa_workgroup_processor_mode 1
		.amdhsa_memory_ordered 1
		.amdhsa_forward_progress 1
		.amdhsa_inst_pref_size 0
		.amdhsa_round_robin_scheduling 0
		.amdhsa_exception_fp_ieee_invalid_op 0
		.amdhsa_exception_fp_denorm_src 0
		.amdhsa_exception_fp_ieee_div_zero 0
		.amdhsa_exception_fp_ieee_overflow 0
		.amdhsa_exception_fp_ieee_underflow 0
		.amdhsa_exception_fp_ieee_inexact 0
		.amdhsa_exception_int_div_zero 0
	.end_amdhsa_kernel
	.section	.text._ZN7rocprim17ROCPRIM_400000_NS6detail17trampoline_kernelINS0_14default_configENS1_25partition_config_selectorILNS1_17partition_subalgoE6EsNS0_10empty_typeEbEEZZNS1_14partition_implILS5_6ELb0ES3_mN6thrust23THRUST_200600_302600_NS6detail15normal_iteratorINSA_10device_ptrIsEEEEPS6_SG_NS0_5tupleIJNSA_16discard_iteratorINSA_11use_defaultEEES6_EEENSH_IJSG_SG_EEES6_PlJNSB_9not_fun_tINSB_14equal_to_valueIsEEEEEEE10hipError_tPvRmT3_T4_T5_T6_T7_T9_mT8_P12ihipStream_tbDpT10_ENKUlT_T0_E_clISt17integral_constantIbLb0EES1A_IbLb1EEEEDaS16_S17_EUlS16_E_NS1_11comp_targetILNS1_3genE8ELNS1_11target_archE1030ELNS1_3gpuE2ELNS1_3repE0EEENS1_30default_config_static_selectorELNS0_4arch9wavefront6targetE0EEEvT1_,"axG",@progbits,_ZN7rocprim17ROCPRIM_400000_NS6detail17trampoline_kernelINS0_14default_configENS1_25partition_config_selectorILNS1_17partition_subalgoE6EsNS0_10empty_typeEbEEZZNS1_14partition_implILS5_6ELb0ES3_mN6thrust23THRUST_200600_302600_NS6detail15normal_iteratorINSA_10device_ptrIsEEEEPS6_SG_NS0_5tupleIJNSA_16discard_iteratorINSA_11use_defaultEEES6_EEENSH_IJSG_SG_EEES6_PlJNSB_9not_fun_tINSB_14equal_to_valueIsEEEEEEE10hipError_tPvRmT3_T4_T5_T6_T7_T9_mT8_P12ihipStream_tbDpT10_ENKUlT_T0_E_clISt17integral_constantIbLb0EES1A_IbLb1EEEEDaS16_S17_EUlS16_E_NS1_11comp_targetILNS1_3genE8ELNS1_11target_archE1030ELNS1_3gpuE2ELNS1_3repE0EEENS1_30default_config_static_selectorELNS0_4arch9wavefront6targetE0EEEvT1_,comdat
.Lfunc_end1820:
	.size	_ZN7rocprim17ROCPRIM_400000_NS6detail17trampoline_kernelINS0_14default_configENS1_25partition_config_selectorILNS1_17partition_subalgoE6EsNS0_10empty_typeEbEEZZNS1_14partition_implILS5_6ELb0ES3_mN6thrust23THRUST_200600_302600_NS6detail15normal_iteratorINSA_10device_ptrIsEEEEPS6_SG_NS0_5tupleIJNSA_16discard_iteratorINSA_11use_defaultEEES6_EEENSH_IJSG_SG_EEES6_PlJNSB_9not_fun_tINSB_14equal_to_valueIsEEEEEEE10hipError_tPvRmT3_T4_T5_T6_T7_T9_mT8_P12ihipStream_tbDpT10_ENKUlT_T0_E_clISt17integral_constantIbLb0EES1A_IbLb1EEEEDaS16_S17_EUlS16_E_NS1_11comp_targetILNS1_3genE8ELNS1_11target_archE1030ELNS1_3gpuE2ELNS1_3repE0EEENS1_30default_config_static_selectorELNS0_4arch9wavefront6targetE0EEEvT1_, .Lfunc_end1820-_ZN7rocprim17ROCPRIM_400000_NS6detail17trampoline_kernelINS0_14default_configENS1_25partition_config_selectorILNS1_17partition_subalgoE6EsNS0_10empty_typeEbEEZZNS1_14partition_implILS5_6ELb0ES3_mN6thrust23THRUST_200600_302600_NS6detail15normal_iteratorINSA_10device_ptrIsEEEEPS6_SG_NS0_5tupleIJNSA_16discard_iteratorINSA_11use_defaultEEES6_EEENSH_IJSG_SG_EEES6_PlJNSB_9not_fun_tINSB_14equal_to_valueIsEEEEEEE10hipError_tPvRmT3_T4_T5_T6_T7_T9_mT8_P12ihipStream_tbDpT10_ENKUlT_T0_E_clISt17integral_constantIbLb0EES1A_IbLb1EEEEDaS16_S17_EUlS16_E_NS1_11comp_targetILNS1_3genE8ELNS1_11target_archE1030ELNS1_3gpuE2ELNS1_3repE0EEENS1_30default_config_static_selectorELNS0_4arch9wavefront6targetE0EEEvT1_
                                        ; -- End function
	.set _ZN7rocprim17ROCPRIM_400000_NS6detail17trampoline_kernelINS0_14default_configENS1_25partition_config_selectorILNS1_17partition_subalgoE6EsNS0_10empty_typeEbEEZZNS1_14partition_implILS5_6ELb0ES3_mN6thrust23THRUST_200600_302600_NS6detail15normal_iteratorINSA_10device_ptrIsEEEEPS6_SG_NS0_5tupleIJNSA_16discard_iteratorINSA_11use_defaultEEES6_EEENSH_IJSG_SG_EEES6_PlJNSB_9not_fun_tINSB_14equal_to_valueIsEEEEEEE10hipError_tPvRmT3_T4_T5_T6_T7_T9_mT8_P12ihipStream_tbDpT10_ENKUlT_T0_E_clISt17integral_constantIbLb0EES1A_IbLb1EEEEDaS16_S17_EUlS16_E_NS1_11comp_targetILNS1_3genE8ELNS1_11target_archE1030ELNS1_3gpuE2ELNS1_3repE0EEENS1_30default_config_static_selectorELNS0_4arch9wavefront6targetE0EEEvT1_.num_vgpr, 0
	.set _ZN7rocprim17ROCPRIM_400000_NS6detail17trampoline_kernelINS0_14default_configENS1_25partition_config_selectorILNS1_17partition_subalgoE6EsNS0_10empty_typeEbEEZZNS1_14partition_implILS5_6ELb0ES3_mN6thrust23THRUST_200600_302600_NS6detail15normal_iteratorINSA_10device_ptrIsEEEEPS6_SG_NS0_5tupleIJNSA_16discard_iteratorINSA_11use_defaultEEES6_EEENSH_IJSG_SG_EEES6_PlJNSB_9not_fun_tINSB_14equal_to_valueIsEEEEEEE10hipError_tPvRmT3_T4_T5_T6_T7_T9_mT8_P12ihipStream_tbDpT10_ENKUlT_T0_E_clISt17integral_constantIbLb0EES1A_IbLb1EEEEDaS16_S17_EUlS16_E_NS1_11comp_targetILNS1_3genE8ELNS1_11target_archE1030ELNS1_3gpuE2ELNS1_3repE0EEENS1_30default_config_static_selectorELNS0_4arch9wavefront6targetE0EEEvT1_.num_agpr, 0
	.set _ZN7rocprim17ROCPRIM_400000_NS6detail17trampoline_kernelINS0_14default_configENS1_25partition_config_selectorILNS1_17partition_subalgoE6EsNS0_10empty_typeEbEEZZNS1_14partition_implILS5_6ELb0ES3_mN6thrust23THRUST_200600_302600_NS6detail15normal_iteratorINSA_10device_ptrIsEEEEPS6_SG_NS0_5tupleIJNSA_16discard_iteratorINSA_11use_defaultEEES6_EEENSH_IJSG_SG_EEES6_PlJNSB_9not_fun_tINSB_14equal_to_valueIsEEEEEEE10hipError_tPvRmT3_T4_T5_T6_T7_T9_mT8_P12ihipStream_tbDpT10_ENKUlT_T0_E_clISt17integral_constantIbLb0EES1A_IbLb1EEEEDaS16_S17_EUlS16_E_NS1_11comp_targetILNS1_3genE8ELNS1_11target_archE1030ELNS1_3gpuE2ELNS1_3repE0EEENS1_30default_config_static_selectorELNS0_4arch9wavefront6targetE0EEEvT1_.numbered_sgpr, 0
	.set _ZN7rocprim17ROCPRIM_400000_NS6detail17trampoline_kernelINS0_14default_configENS1_25partition_config_selectorILNS1_17partition_subalgoE6EsNS0_10empty_typeEbEEZZNS1_14partition_implILS5_6ELb0ES3_mN6thrust23THRUST_200600_302600_NS6detail15normal_iteratorINSA_10device_ptrIsEEEEPS6_SG_NS0_5tupleIJNSA_16discard_iteratorINSA_11use_defaultEEES6_EEENSH_IJSG_SG_EEES6_PlJNSB_9not_fun_tINSB_14equal_to_valueIsEEEEEEE10hipError_tPvRmT3_T4_T5_T6_T7_T9_mT8_P12ihipStream_tbDpT10_ENKUlT_T0_E_clISt17integral_constantIbLb0EES1A_IbLb1EEEEDaS16_S17_EUlS16_E_NS1_11comp_targetILNS1_3genE8ELNS1_11target_archE1030ELNS1_3gpuE2ELNS1_3repE0EEENS1_30default_config_static_selectorELNS0_4arch9wavefront6targetE0EEEvT1_.num_named_barrier, 0
	.set _ZN7rocprim17ROCPRIM_400000_NS6detail17trampoline_kernelINS0_14default_configENS1_25partition_config_selectorILNS1_17partition_subalgoE6EsNS0_10empty_typeEbEEZZNS1_14partition_implILS5_6ELb0ES3_mN6thrust23THRUST_200600_302600_NS6detail15normal_iteratorINSA_10device_ptrIsEEEEPS6_SG_NS0_5tupleIJNSA_16discard_iteratorINSA_11use_defaultEEES6_EEENSH_IJSG_SG_EEES6_PlJNSB_9not_fun_tINSB_14equal_to_valueIsEEEEEEE10hipError_tPvRmT3_T4_T5_T6_T7_T9_mT8_P12ihipStream_tbDpT10_ENKUlT_T0_E_clISt17integral_constantIbLb0EES1A_IbLb1EEEEDaS16_S17_EUlS16_E_NS1_11comp_targetILNS1_3genE8ELNS1_11target_archE1030ELNS1_3gpuE2ELNS1_3repE0EEENS1_30default_config_static_selectorELNS0_4arch9wavefront6targetE0EEEvT1_.private_seg_size, 0
	.set _ZN7rocprim17ROCPRIM_400000_NS6detail17trampoline_kernelINS0_14default_configENS1_25partition_config_selectorILNS1_17partition_subalgoE6EsNS0_10empty_typeEbEEZZNS1_14partition_implILS5_6ELb0ES3_mN6thrust23THRUST_200600_302600_NS6detail15normal_iteratorINSA_10device_ptrIsEEEEPS6_SG_NS0_5tupleIJNSA_16discard_iteratorINSA_11use_defaultEEES6_EEENSH_IJSG_SG_EEES6_PlJNSB_9not_fun_tINSB_14equal_to_valueIsEEEEEEE10hipError_tPvRmT3_T4_T5_T6_T7_T9_mT8_P12ihipStream_tbDpT10_ENKUlT_T0_E_clISt17integral_constantIbLb0EES1A_IbLb1EEEEDaS16_S17_EUlS16_E_NS1_11comp_targetILNS1_3genE8ELNS1_11target_archE1030ELNS1_3gpuE2ELNS1_3repE0EEENS1_30default_config_static_selectorELNS0_4arch9wavefront6targetE0EEEvT1_.uses_vcc, 0
	.set _ZN7rocprim17ROCPRIM_400000_NS6detail17trampoline_kernelINS0_14default_configENS1_25partition_config_selectorILNS1_17partition_subalgoE6EsNS0_10empty_typeEbEEZZNS1_14partition_implILS5_6ELb0ES3_mN6thrust23THRUST_200600_302600_NS6detail15normal_iteratorINSA_10device_ptrIsEEEEPS6_SG_NS0_5tupleIJNSA_16discard_iteratorINSA_11use_defaultEEES6_EEENSH_IJSG_SG_EEES6_PlJNSB_9not_fun_tINSB_14equal_to_valueIsEEEEEEE10hipError_tPvRmT3_T4_T5_T6_T7_T9_mT8_P12ihipStream_tbDpT10_ENKUlT_T0_E_clISt17integral_constantIbLb0EES1A_IbLb1EEEEDaS16_S17_EUlS16_E_NS1_11comp_targetILNS1_3genE8ELNS1_11target_archE1030ELNS1_3gpuE2ELNS1_3repE0EEENS1_30default_config_static_selectorELNS0_4arch9wavefront6targetE0EEEvT1_.uses_flat_scratch, 0
	.set _ZN7rocprim17ROCPRIM_400000_NS6detail17trampoline_kernelINS0_14default_configENS1_25partition_config_selectorILNS1_17partition_subalgoE6EsNS0_10empty_typeEbEEZZNS1_14partition_implILS5_6ELb0ES3_mN6thrust23THRUST_200600_302600_NS6detail15normal_iteratorINSA_10device_ptrIsEEEEPS6_SG_NS0_5tupleIJNSA_16discard_iteratorINSA_11use_defaultEEES6_EEENSH_IJSG_SG_EEES6_PlJNSB_9not_fun_tINSB_14equal_to_valueIsEEEEEEE10hipError_tPvRmT3_T4_T5_T6_T7_T9_mT8_P12ihipStream_tbDpT10_ENKUlT_T0_E_clISt17integral_constantIbLb0EES1A_IbLb1EEEEDaS16_S17_EUlS16_E_NS1_11comp_targetILNS1_3genE8ELNS1_11target_archE1030ELNS1_3gpuE2ELNS1_3repE0EEENS1_30default_config_static_selectorELNS0_4arch9wavefront6targetE0EEEvT1_.has_dyn_sized_stack, 0
	.set _ZN7rocprim17ROCPRIM_400000_NS6detail17trampoline_kernelINS0_14default_configENS1_25partition_config_selectorILNS1_17partition_subalgoE6EsNS0_10empty_typeEbEEZZNS1_14partition_implILS5_6ELb0ES3_mN6thrust23THRUST_200600_302600_NS6detail15normal_iteratorINSA_10device_ptrIsEEEEPS6_SG_NS0_5tupleIJNSA_16discard_iteratorINSA_11use_defaultEEES6_EEENSH_IJSG_SG_EEES6_PlJNSB_9not_fun_tINSB_14equal_to_valueIsEEEEEEE10hipError_tPvRmT3_T4_T5_T6_T7_T9_mT8_P12ihipStream_tbDpT10_ENKUlT_T0_E_clISt17integral_constantIbLb0EES1A_IbLb1EEEEDaS16_S17_EUlS16_E_NS1_11comp_targetILNS1_3genE8ELNS1_11target_archE1030ELNS1_3gpuE2ELNS1_3repE0EEENS1_30default_config_static_selectorELNS0_4arch9wavefront6targetE0EEEvT1_.has_recursion, 0
	.set _ZN7rocprim17ROCPRIM_400000_NS6detail17trampoline_kernelINS0_14default_configENS1_25partition_config_selectorILNS1_17partition_subalgoE6EsNS0_10empty_typeEbEEZZNS1_14partition_implILS5_6ELb0ES3_mN6thrust23THRUST_200600_302600_NS6detail15normal_iteratorINSA_10device_ptrIsEEEEPS6_SG_NS0_5tupleIJNSA_16discard_iteratorINSA_11use_defaultEEES6_EEENSH_IJSG_SG_EEES6_PlJNSB_9not_fun_tINSB_14equal_to_valueIsEEEEEEE10hipError_tPvRmT3_T4_T5_T6_T7_T9_mT8_P12ihipStream_tbDpT10_ENKUlT_T0_E_clISt17integral_constantIbLb0EES1A_IbLb1EEEEDaS16_S17_EUlS16_E_NS1_11comp_targetILNS1_3genE8ELNS1_11target_archE1030ELNS1_3gpuE2ELNS1_3repE0EEENS1_30default_config_static_selectorELNS0_4arch9wavefront6targetE0EEEvT1_.has_indirect_call, 0
	.section	.AMDGPU.csdata,"",@progbits
; Kernel info:
; codeLenInByte = 0
; TotalNumSgprs: 0
; NumVgprs: 0
; ScratchSize: 0
; MemoryBound: 0
; FloatMode: 240
; IeeeMode: 1
; LDSByteSize: 0 bytes/workgroup (compile time only)
; SGPRBlocks: 0
; VGPRBlocks: 0
; NumSGPRsForWavesPerEU: 1
; NumVGPRsForWavesPerEU: 1
; Occupancy: 16
; WaveLimiterHint : 0
; COMPUTE_PGM_RSRC2:SCRATCH_EN: 0
; COMPUTE_PGM_RSRC2:USER_SGPR: 2
; COMPUTE_PGM_RSRC2:TRAP_HANDLER: 0
; COMPUTE_PGM_RSRC2:TGID_X_EN: 1
; COMPUTE_PGM_RSRC2:TGID_Y_EN: 0
; COMPUTE_PGM_RSRC2:TGID_Z_EN: 0
; COMPUTE_PGM_RSRC2:TIDIG_COMP_CNT: 0
	.section	.text._ZN7rocprim17ROCPRIM_400000_NS6detail17trampoline_kernelINS0_14default_configENS1_25partition_config_selectorILNS1_17partition_subalgoE6EN6thrust23THRUST_200600_302600_NS5tupleIddNS7_9null_typeES9_S9_S9_S9_S9_S9_S9_EENS0_10empty_typeEbEEZZNS1_14partition_implILS5_6ELb0ES3_mNS7_12zip_iteratorINS8_INS7_6detail15normal_iteratorINS7_10device_ptrIdEEEESJ_S9_S9_S9_S9_S9_S9_S9_S9_EEEEPSB_SM_NS0_5tupleIJNSE_INS8_ISJ_NS7_16discard_iteratorINS7_11use_defaultEEES9_S9_S9_S9_S9_S9_S9_S9_EEEESB_EEENSN_IJSM_SM_EEESB_PlJNSF_9not_fun_tINSF_14equal_to_valueISA_EEEEEEE10hipError_tPvRmT3_T4_T5_T6_T7_T9_mT8_P12ihipStream_tbDpT10_ENKUlT_T0_E_clISt17integral_constantIbLb0EES1J_EEDaS1E_S1F_EUlS1E_E_NS1_11comp_targetILNS1_3genE0ELNS1_11target_archE4294967295ELNS1_3gpuE0ELNS1_3repE0EEENS1_30default_config_static_selectorELNS0_4arch9wavefront6targetE0EEEvT1_,"axG",@progbits,_ZN7rocprim17ROCPRIM_400000_NS6detail17trampoline_kernelINS0_14default_configENS1_25partition_config_selectorILNS1_17partition_subalgoE6EN6thrust23THRUST_200600_302600_NS5tupleIddNS7_9null_typeES9_S9_S9_S9_S9_S9_S9_EENS0_10empty_typeEbEEZZNS1_14partition_implILS5_6ELb0ES3_mNS7_12zip_iteratorINS8_INS7_6detail15normal_iteratorINS7_10device_ptrIdEEEESJ_S9_S9_S9_S9_S9_S9_S9_S9_EEEEPSB_SM_NS0_5tupleIJNSE_INS8_ISJ_NS7_16discard_iteratorINS7_11use_defaultEEES9_S9_S9_S9_S9_S9_S9_S9_EEEESB_EEENSN_IJSM_SM_EEESB_PlJNSF_9not_fun_tINSF_14equal_to_valueISA_EEEEEEE10hipError_tPvRmT3_T4_T5_T6_T7_T9_mT8_P12ihipStream_tbDpT10_ENKUlT_T0_E_clISt17integral_constantIbLb0EES1J_EEDaS1E_S1F_EUlS1E_E_NS1_11comp_targetILNS1_3genE0ELNS1_11target_archE4294967295ELNS1_3gpuE0ELNS1_3repE0EEENS1_30default_config_static_selectorELNS0_4arch9wavefront6targetE0EEEvT1_,comdat
	.protected	_ZN7rocprim17ROCPRIM_400000_NS6detail17trampoline_kernelINS0_14default_configENS1_25partition_config_selectorILNS1_17partition_subalgoE6EN6thrust23THRUST_200600_302600_NS5tupleIddNS7_9null_typeES9_S9_S9_S9_S9_S9_S9_EENS0_10empty_typeEbEEZZNS1_14partition_implILS5_6ELb0ES3_mNS7_12zip_iteratorINS8_INS7_6detail15normal_iteratorINS7_10device_ptrIdEEEESJ_S9_S9_S9_S9_S9_S9_S9_S9_EEEEPSB_SM_NS0_5tupleIJNSE_INS8_ISJ_NS7_16discard_iteratorINS7_11use_defaultEEES9_S9_S9_S9_S9_S9_S9_S9_EEEESB_EEENSN_IJSM_SM_EEESB_PlJNSF_9not_fun_tINSF_14equal_to_valueISA_EEEEEEE10hipError_tPvRmT3_T4_T5_T6_T7_T9_mT8_P12ihipStream_tbDpT10_ENKUlT_T0_E_clISt17integral_constantIbLb0EES1J_EEDaS1E_S1F_EUlS1E_E_NS1_11comp_targetILNS1_3genE0ELNS1_11target_archE4294967295ELNS1_3gpuE0ELNS1_3repE0EEENS1_30default_config_static_selectorELNS0_4arch9wavefront6targetE0EEEvT1_ ; -- Begin function _ZN7rocprim17ROCPRIM_400000_NS6detail17trampoline_kernelINS0_14default_configENS1_25partition_config_selectorILNS1_17partition_subalgoE6EN6thrust23THRUST_200600_302600_NS5tupleIddNS7_9null_typeES9_S9_S9_S9_S9_S9_S9_EENS0_10empty_typeEbEEZZNS1_14partition_implILS5_6ELb0ES3_mNS7_12zip_iteratorINS8_INS7_6detail15normal_iteratorINS7_10device_ptrIdEEEESJ_S9_S9_S9_S9_S9_S9_S9_S9_EEEEPSB_SM_NS0_5tupleIJNSE_INS8_ISJ_NS7_16discard_iteratorINS7_11use_defaultEEES9_S9_S9_S9_S9_S9_S9_S9_EEEESB_EEENSN_IJSM_SM_EEESB_PlJNSF_9not_fun_tINSF_14equal_to_valueISA_EEEEEEE10hipError_tPvRmT3_T4_T5_T6_T7_T9_mT8_P12ihipStream_tbDpT10_ENKUlT_T0_E_clISt17integral_constantIbLb0EES1J_EEDaS1E_S1F_EUlS1E_E_NS1_11comp_targetILNS1_3genE0ELNS1_11target_archE4294967295ELNS1_3gpuE0ELNS1_3repE0EEENS1_30default_config_static_selectorELNS0_4arch9wavefront6targetE0EEEvT1_
	.globl	_ZN7rocprim17ROCPRIM_400000_NS6detail17trampoline_kernelINS0_14default_configENS1_25partition_config_selectorILNS1_17partition_subalgoE6EN6thrust23THRUST_200600_302600_NS5tupleIddNS7_9null_typeES9_S9_S9_S9_S9_S9_S9_EENS0_10empty_typeEbEEZZNS1_14partition_implILS5_6ELb0ES3_mNS7_12zip_iteratorINS8_INS7_6detail15normal_iteratorINS7_10device_ptrIdEEEESJ_S9_S9_S9_S9_S9_S9_S9_S9_EEEEPSB_SM_NS0_5tupleIJNSE_INS8_ISJ_NS7_16discard_iteratorINS7_11use_defaultEEES9_S9_S9_S9_S9_S9_S9_S9_EEEESB_EEENSN_IJSM_SM_EEESB_PlJNSF_9not_fun_tINSF_14equal_to_valueISA_EEEEEEE10hipError_tPvRmT3_T4_T5_T6_T7_T9_mT8_P12ihipStream_tbDpT10_ENKUlT_T0_E_clISt17integral_constantIbLb0EES1J_EEDaS1E_S1F_EUlS1E_E_NS1_11comp_targetILNS1_3genE0ELNS1_11target_archE4294967295ELNS1_3gpuE0ELNS1_3repE0EEENS1_30default_config_static_selectorELNS0_4arch9wavefront6targetE0EEEvT1_
	.p2align	8
	.type	_ZN7rocprim17ROCPRIM_400000_NS6detail17trampoline_kernelINS0_14default_configENS1_25partition_config_selectorILNS1_17partition_subalgoE6EN6thrust23THRUST_200600_302600_NS5tupleIddNS7_9null_typeES9_S9_S9_S9_S9_S9_S9_EENS0_10empty_typeEbEEZZNS1_14partition_implILS5_6ELb0ES3_mNS7_12zip_iteratorINS8_INS7_6detail15normal_iteratorINS7_10device_ptrIdEEEESJ_S9_S9_S9_S9_S9_S9_S9_S9_EEEEPSB_SM_NS0_5tupleIJNSE_INS8_ISJ_NS7_16discard_iteratorINS7_11use_defaultEEES9_S9_S9_S9_S9_S9_S9_S9_EEEESB_EEENSN_IJSM_SM_EEESB_PlJNSF_9not_fun_tINSF_14equal_to_valueISA_EEEEEEE10hipError_tPvRmT3_T4_T5_T6_T7_T9_mT8_P12ihipStream_tbDpT10_ENKUlT_T0_E_clISt17integral_constantIbLb0EES1J_EEDaS1E_S1F_EUlS1E_E_NS1_11comp_targetILNS1_3genE0ELNS1_11target_archE4294967295ELNS1_3gpuE0ELNS1_3repE0EEENS1_30default_config_static_selectorELNS0_4arch9wavefront6targetE0EEEvT1_,@function
_ZN7rocprim17ROCPRIM_400000_NS6detail17trampoline_kernelINS0_14default_configENS1_25partition_config_selectorILNS1_17partition_subalgoE6EN6thrust23THRUST_200600_302600_NS5tupleIddNS7_9null_typeES9_S9_S9_S9_S9_S9_S9_EENS0_10empty_typeEbEEZZNS1_14partition_implILS5_6ELb0ES3_mNS7_12zip_iteratorINS8_INS7_6detail15normal_iteratorINS7_10device_ptrIdEEEESJ_S9_S9_S9_S9_S9_S9_S9_S9_EEEEPSB_SM_NS0_5tupleIJNSE_INS8_ISJ_NS7_16discard_iteratorINS7_11use_defaultEEES9_S9_S9_S9_S9_S9_S9_S9_EEEESB_EEENSN_IJSM_SM_EEESB_PlJNSF_9not_fun_tINSF_14equal_to_valueISA_EEEEEEE10hipError_tPvRmT3_T4_T5_T6_T7_T9_mT8_P12ihipStream_tbDpT10_ENKUlT_T0_E_clISt17integral_constantIbLb0EES1J_EEDaS1E_S1F_EUlS1E_E_NS1_11comp_targetILNS1_3genE0ELNS1_11target_archE4294967295ELNS1_3gpuE0ELNS1_3repE0EEENS1_30default_config_static_selectorELNS0_4arch9wavefront6targetE0EEEvT1_: ; @_ZN7rocprim17ROCPRIM_400000_NS6detail17trampoline_kernelINS0_14default_configENS1_25partition_config_selectorILNS1_17partition_subalgoE6EN6thrust23THRUST_200600_302600_NS5tupleIddNS7_9null_typeES9_S9_S9_S9_S9_S9_S9_EENS0_10empty_typeEbEEZZNS1_14partition_implILS5_6ELb0ES3_mNS7_12zip_iteratorINS8_INS7_6detail15normal_iteratorINS7_10device_ptrIdEEEESJ_S9_S9_S9_S9_S9_S9_S9_S9_EEEEPSB_SM_NS0_5tupleIJNSE_INS8_ISJ_NS7_16discard_iteratorINS7_11use_defaultEEES9_S9_S9_S9_S9_S9_S9_S9_EEEESB_EEENSN_IJSM_SM_EEESB_PlJNSF_9not_fun_tINSF_14equal_to_valueISA_EEEEEEE10hipError_tPvRmT3_T4_T5_T6_T7_T9_mT8_P12ihipStream_tbDpT10_ENKUlT_T0_E_clISt17integral_constantIbLb0EES1J_EEDaS1E_S1F_EUlS1E_E_NS1_11comp_targetILNS1_3genE0ELNS1_11target_archE4294967295ELNS1_3gpuE0ELNS1_3repE0EEENS1_30default_config_static_selectorELNS0_4arch9wavefront6targetE0EEEvT1_
; %bb.0:
	.section	.rodata,"a",@progbits
	.p2align	6, 0x0
	.amdhsa_kernel _ZN7rocprim17ROCPRIM_400000_NS6detail17trampoline_kernelINS0_14default_configENS1_25partition_config_selectorILNS1_17partition_subalgoE6EN6thrust23THRUST_200600_302600_NS5tupleIddNS7_9null_typeES9_S9_S9_S9_S9_S9_S9_EENS0_10empty_typeEbEEZZNS1_14partition_implILS5_6ELb0ES3_mNS7_12zip_iteratorINS8_INS7_6detail15normal_iteratorINS7_10device_ptrIdEEEESJ_S9_S9_S9_S9_S9_S9_S9_S9_EEEEPSB_SM_NS0_5tupleIJNSE_INS8_ISJ_NS7_16discard_iteratorINS7_11use_defaultEEES9_S9_S9_S9_S9_S9_S9_S9_EEEESB_EEENSN_IJSM_SM_EEESB_PlJNSF_9not_fun_tINSF_14equal_to_valueISA_EEEEEEE10hipError_tPvRmT3_T4_T5_T6_T7_T9_mT8_P12ihipStream_tbDpT10_ENKUlT_T0_E_clISt17integral_constantIbLb0EES1J_EEDaS1E_S1F_EUlS1E_E_NS1_11comp_targetILNS1_3genE0ELNS1_11target_archE4294967295ELNS1_3gpuE0ELNS1_3repE0EEENS1_30default_config_static_selectorELNS0_4arch9wavefront6targetE0EEEvT1_
		.amdhsa_group_segment_fixed_size 0
		.amdhsa_private_segment_fixed_size 0
		.amdhsa_kernarg_size 152
		.amdhsa_user_sgpr_count 2
		.amdhsa_user_sgpr_dispatch_ptr 0
		.amdhsa_user_sgpr_queue_ptr 0
		.amdhsa_user_sgpr_kernarg_segment_ptr 1
		.amdhsa_user_sgpr_dispatch_id 0
		.amdhsa_user_sgpr_private_segment_size 0
		.amdhsa_wavefront_size32 1
		.amdhsa_uses_dynamic_stack 0
		.amdhsa_enable_private_segment 0
		.amdhsa_system_sgpr_workgroup_id_x 1
		.amdhsa_system_sgpr_workgroup_id_y 0
		.amdhsa_system_sgpr_workgroup_id_z 0
		.amdhsa_system_sgpr_workgroup_info 0
		.amdhsa_system_vgpr_workitem_id 0
		.amdhsa_next_free_vgpr 1
		.amdhsa_next_free_sgpr 1
		.amdhsa_reserve_vcc 0
		.amdhsa_float_round_mode_32 0
		.amdhsa_float_round_mode_16_64 0
		.amdhsa_float_denorm_mode_32 3
		.amdhsa_float_denorm_mode_16_64 3
		.amdhsa_fp16_overflow 0
		.amdhsa_workgroup_processor_mode 1
		.amdhsa_memory_ordered 1
		.amdhsa_forward_progress 1
		.amdhsa_inst_pref_size 0
		.amdhsa_round_robin_scheduling 0
		.amdhsa_exception_fp_ieee_invalid_op 0
		.amdhsa_exception_fp_denorm_src 0
		.amdhsa_exception_fp_ieee_div_zero 0
		.amdhsa_exception_fp_ieee_overflow 0
		.amdhsa_exception_fp_ieee_underflow 0
		.amdhsa_exception_fp_ieee_inexact 0
		.amdhsa_exception_int_div_zero 0
	.end_amdhsa_kernel
	.section	.text._ZN7rocprim17ROCPRIM_400000_NS6detail17trampoline_kernelINS0_14default_configENS1_25partition_config_selectorILNS1_17partition_subalgoE6EN6thrust23THRUST_200600_302600_NS5tupleIddNS7_9null_typeES9_S9_S9_S9_S9_S9_S9_EENS0_10empty_typeEbEEZZNS1_14partition_implILS5_6ELb0ES3_mNS7_12zip_iteratorINS8_INS7_6detail15normal_iteratorINS7_10device_ptrIdEEEESJ_S9_S9_S9_S9_S9_S9_S9_S9_EEEEPSB_SM_NS0_5tupleIJNSE_INS8_ISJ_NS7_16discard_iteratorINS7_11use_defaultEEES9_S9_S9_S9_S9_S9_S9_S9_EEEESB_EEENSN_IJSM_SM_EEESB_PlJNSF_9not_fun_tINSF_14equal_to_valueISA_EEEEEEE10hipError_tPvRmT3_T4_T5_T6_T7_T9_mT8_P12ihipStream_tbDpT10_ENKUlT_T0_E_clISt17integral_constantIbLb0EES1J_EEDaS1E_S1F_EUlS1E_E_NS1_11comp_targetILNS1_3genE0ELNS1_11target_archE4294967295ELNS1_3gpuE0ELNS1_3repE0EEENS1_30default_config_static_selectorELNS0_4arch9wavefront6targetE0EEEvT1_,"axG",@progbits,_ZN7rocprim17ROCPRIM_400000_NS6detail17trampoline_kernelINS0_14default_configENS1_25partition_config_selectorILNS1_17partition_subalgoE6EN6thrust23THRUST_200600_302600_NS5tupleIddNS7_9null_typeES9_S9_S9_S9_S9_S9_S9_EENS0_10empty_typeEbEEZZNS1_14partition_implILS5_6ELb0ES3_mNS7_12zip_iteratorINS8_INS7_6detail15normal_iteratorINS7_10device_ptrIdEEEESJ_S9_S9_S9_S9_S9_S9_S9_S9_EEEEPSB_SM_NS0_5tupleIJNSE_INS8_ISJ_NS7_16discard_iteratorINS7_11use_defaultEEES9_S9_S9_S9_S9_S9_S9_S9_EEEESB_EEENSN_IJSM_SM_EEESB_PlJNSF_9not_fun_tINSF_14equal_to_valueISA_EEEEEEE10hipError_tPvRmT3_T4_T5_T6_T7_T9_mT8_P12ihipStream_tbDpT10_ENKUlT_T0_E_clISt17integral_constantIbLb0EES1J_EEDaS1E_S1F_EUlS1E_E_NS1_11comp_targetILNS1_3genE0ELNS1_11target_archE4294967295ELNS1_3gpuE0ELNS1_3repE0EEENS1_30default_config_static_selectorELNS0_4arch9wavefront6targetE0EEEvT1_,comdat
.Lfunc_end1821:
	.size	_ZN7rocprim17ROCPRIM_400000_NS6detail17trampoline_kernelINS0_14default_configENS1_25partition_config_selectorILNS1_17partition_subalgoE6EN6thrust23THRUST_200600_302600_NS5tupleIddNS7_9null_typeES9_S9_S9_S9_S9_S9_S9_EENS0_10empty_typeEbEEZZNS1_14partition_implILS5_6ELb0ES3_mNS7_12zip_iteratorINS8_INS7_6detail15normal_iteratorINS7_10device_ptrIdEEEESJ_S9_S9_S9_S9_S9_S9_S9_S9_EEEEPSB_SM_NS0_5tupleIJNSE_INS8_ISJ_NS7_16discard_iteratorINS7_11use_defaultEEES9_S9_S9_S9_S9_S9_S9_S9_EEEESB_EEENSN_IJSM_SM_EEESB_PlJNSF_9not_fun_tINSF_14equal_to_valueISA_EEEEEEE10hipError_tPvRmT3_T4_T5_T6_T7_T9_mT8_P12ihipStream_tbDpT10_ENKUlT_T0_E_clISt17integral_constantIbLb0EES1J_EEDaS1E_S1F_EUlS1E_E_NS1_11comp_targetILNS1_3genE0ELNS1_11target_archE4294967295ELNS1_3gpuE0ELNS1_3repE0EEENS1_30default_config_static_selectorELNS0_4arch9wavefront6targetE0EEEvT1_, .Lfunc_end1821-_ZN7rocprim17ROCPRIM_400000_NS6detail17trampoline_kernelINS0_14default_configENS1_25partition_config_selectorILNS1_17partition_subalgoE6EN6thrust23THRUST_200600_302600_NS5tupleIddNS7_9null_typeES9_S9_S9_S9_S9_S9_S9_EENS0_10empty_typeEbEEZZNS1_14partition_implILS5_6ELb0ES3_mNS7_12zip_iteratorINS8_INS7_6detail15normal_iteratorINS7_10device_ptrIdEEEESJ_S9_S9_S9_S9_S9_S9_S9_S9_EEEEPSB_SM_NS0_5tupleIJNSE_INS8_ISJ_NS7_16discard_iteratorINS7_11use_defaultEEES9_S9_S9_S9_S9_S9_S9_S9_EEEESB_EEENSN_IJSM_SM_EEESB_PlJNSF_9not_fun_tINSF_14equal_to_valueISA_EEEEEEE10hipError_tPvRmT3_T4_T5_T6_T7_T9_mT8_P12ihipStream_tbDpT10_ENKUlT_T0_E_clISt17integral_constantIbLb0EES1J_EEDaS1E_S1F_EUlS1E_E_NS1_11comp_targetILNS1_3genE0ELNS1_11target_archE4294967295ELNS1_3gpuE0ELNS1_3repE0EEENS1_30default_config_static_selectorELNS0_4arch9wavefront6targetE0EEEvT1_
                                        ; -- End function
	.set _ZN7rocprim17ROCPRIM_400000_NS6detail17trampoline_kernelINS0_14default_configENS1_25partition_config_selectorILNS1_17partition_subalgoE6EN6thrust23THRUST_200600_302600_NS5tupleIddNS7_9null_typeES9_S9_S9_S9_S9_S9_S9_EENS0_10empty_typeEbEEZZNS1_14partition_implILS5_6ELb0ES3_mNS7_12zip_iteratorINS8_INS7_6detail15normal_iteratorINS7_10device_ptrIdEEEESJ_S9_S9_S9_S9_S9_S9_S9_S9_EEEEPSB_SM_NS0_5tupleIJNSE_INS8_ISJ_NS7_16discard_iteratorINS7_11use_defaultEEES9_S9_S9_S9_S9_S9_S9_S9_EEEESB_EEENSN_IJSM_SM_EEESB_PlJNSF_9not_fun_tINSF_14equal_to_valueISA_EEEEEEE10hipError_tPvRmT3_T4_T5_T6_T7_T9_mT8_P12ihipStream_tbDpT10_ENKUlT_T0_E_clISt17integral_constantIbLb0EES1J_EEDaS1E_S1F_EUlS1E_E_NS1_11comp_targetILNS1_3genE0ELNS1_11target_archE4294967295ELNS1_3gpuE0ELNS1_3repE0EEENS1_30default_config_static_selectorELNS0_4arch9wavefront6targetE0EEEvT1_.num_vgpr, 0
	.set _ZN7rocprim17ROCPRIM_400000_NS6detail17trampoline_kernelINS0_14default_configENS1_25partition_config_selectorILNS1_17partition_subalgoE6EN6thrust23THRUST_200600_302600_NS5tupleIddNS7_9null_typeES9_S9_S9_S9_S9_S9_S9_EENS0_10empty_typeEbEEZZNS1_14partition_implILS5_6ELb0ES3_mNS7_12zip_iteratorINS8_INS7_6detail15normal_iteratorINS7_10device_ptrIdEEEESJ_S9_S9_S9_S9_S9_S9_S9_S9_EEEEPSB_SM_NS0_5tupleIJNSE_INS8_ISJ_NS7_16discard_iteratorINS7_11use_defaultEEES9_S9_S9_S9_S9_S9_S9_S9_EEEESB_EEENSN_IJSM_SM_EEESB_PlJNSF_9not_fun_tINSF_14equal_to_valueISA_EEEEEEE10hipError_tPvRmT3_T4_T5_T6_T7_T9_mT8_P12ihipStream_tbDpT10_ENKUlT_T0_E_clISt17integral_constantIbLb0EES1J_EEDaS1E_S1F_EUlS1E_E_NS1_11comp_targetILNS1_3genE0ELNS1_11target_archE4294967295ELNS1_3gpuE0ELNS1_3repE0EEENS1_30default_config_static_selectorELNS0_4arch9wavefront6targetE0EEEvT1_.num_agpr, 0
	.set _ZN7rocprim17ROCPRIM_400000_NS6detail17trampoline_kernelINS0_14default_configENS1_25partition_config_selectorILNS1_17partition_subalgoE6EN6thrust23THRUST_200600_302600_NS5tupleIddNS7_9null_typeES9_S9_S9_S9_S9_S9_S9_EENS0_10empty_typeEbEEZZNS1_14partition_implILS5_6ELb0ES3_mNS7_12zip_iteratorINS8_INS7_6detail15normal_iteratorINS7_10device_ptrIdEEEESJ_S9_S9_S9_S9_S9_S9_S9_S9_EEEEPSB_SM_NS0_5tupleIJNSE_INS8_ISJ_NS7_16discard_iteratorINS7_11use_defaultEEES9_S9_S9_S9_S9_S9_S9_S9_EEEESB_EEENSN_IJSM_SM_EEESB_PlJNSF_9not_fun_tINSF_14equal_to_valueISA_EEEEEEE10hipError_tPvRmT3_T4_T5_T6_T7_T9_mT8_P12ihipStream_tbDpT10_ENKUlT_T0_E_clISt17integral_constantIbLb0EES1J_EEDaS1E_S1F_EUlS1E_E_NS1_11comp_targetILNS1_3genE0ELNS1_11target_archE4294967295ELNS1_3gpuE0ELNS1_3repE0EEENS1_30default_config_static_selectorELNS0_4arch9wavefront6targetE0EEEvT1_.numbered_sgpr, 0
	.set _ZN7rocprim17ROCPRIM_400000_NS6detail17trampoline_kernelINS0_14default_configENS1_25partition_config_selectorILNS1_17partition_subalgoE6EN6thrust23THRUST_200600_302600_NS5tupleIddNS7_9null_typeES9_S9_S9_S9_S9_S9_S9_EENS0_10empty_typeEbEEZZNS1_14partition_implILS5_6ELb0ES3_mNS7_12zip_iteratorINS8_INS7_6detail15normal_iteratorINS7_10device_ptrIdEEEESJ_S9_S9_S9_S9_S9_S9_S9_S9_EEEEPSB_SM_NS0_5tupleIJNSE_INS8_ISJ_NS7_16discard_iteratorINS7_11use_defaultEEES9_S9_S9_S9_S9_S9_S9_S9_EEEESB_EEENSN_IJSM_SM_EEESB_PlJNSF_9not_fun_tINSF_14equal_to_valueISA_EEEEEEE10hipError_tPvRmT3_T4_T5_T6_T7_T9_mT8_P12ihipStream_tbDpT10_ENKUlT_T0_E_clISt17integral_constantIbLb0EES1J_EEDaS1E_S1F_EUlS1E_E_NS1_11comp_targetILNS1_3genE0ELNS1_11target_archE4294967295ELNS1_3gpuE0ELNS1_3repE0EEENS1_30default_config_static_selectorELNS0_4arch9wavefront6targetE0EEEvT1_.num_named_barrier, 0
	.set _ZN7rocprim17ROCPRIM_400000_NS6detail17trampoline_kernelINS0_14default_configENS1_25partition_config_selectorILNS1_17partition_subalgoE6EN6thrust23THRUST_200600_302600_NS5tupleIddNS7_9null_typeES9_S9_S9_S9_S9_S9_S9_EENS0_10empty_typeEbEEZZNS1_14partition_implILS5_6ELb0ES3_mNS7_12zip_iteratorINS8_INS7_6detail15normal_iteratorINS7_10device_ptrIdEEEESJ_S9_S9_S9_S9_S9_S9_S9_S9_EEEEPSB_SM_NS0_5tupleIJNSE_INS8_ISJ_NS7_16discard_iteratorINS7_11use_defaultEEES9_S9_S9_S9_S9_S9_S9_S9_EEEESB_EEENSN_IJSM_SM_EEESB_PlJNSF_9not_fun_tINSF_14equal_to_valueISA_EEEEEEE10hipError_tPvRmT3_T4_T5_T6_T7_T9_mT8_P12ihipStream_tbDpT10_ENKUlT_T0_E_clISt17integral_constantIbLb0EES1J_EEDaS1E_S1F_EUlS1E_E_NS1_11comp_targetILNS1_3genE0ELNS1_11target_archE4294967295ELNS1_3gpuE0ELNS1_3repE0EEENS1_30default_config_static_selectorELNS0_4arch9wavefront6targetE0EEEvT1_.private_seg_size, 0
	.set _ZN7rocprim17ROCPRIM_400000_NS6detail17trampoline_kernelINS0_14default_configENS1_25partition_config_selectorILNS1_17partition_subalgoE6EN6thrust23THRUST_200600_302600_NS5tupleIddNS7_9null_typeES9_S9_S9_S9_S9_S9_S9_EENS0_10empty_typeEbEEZZNS1_14partition_implILS5_6ELb0ES3_mNS7_12zip_iteratorINS8_INS7_6detail15normal_iteratorINS7_10device_ptrIdEEEESJ_S9_S9_S9_S9_S9_S9_S9_S9_EEEEPSB_SM_NS0_5tupleIJNSE_INS8_ISJ_NS7_16discard_iteratorINS7_11use_defaultEEES9_S9_S9_S9_S9_S9_S9_S9_EEEESB_EEENSN_IJSM_SM_EEESB_PlJNSF_9not_fun_tINSF_14equal_to_valueISA_EEEEEEE10hipError_tPvRmT3_T4_T5_T6_T7_T9_mT8_P12ihipStream_tbDpT10_ENKUlT_T0_E_clISt17integral_constantIbLb0EES1J_EEDaS1E_S1F_EUlS1E_E_NS1_11comp_targetILNS1_3genE0ELNS1_11target_archE4294967295ELNS1_3gpuE0ELNS1_3repE0EEENS1_30default_config_static_selectorELNS0_4arch9wavefront6targetE0EEEvT1_.uses_vcc, 0
	.set _ZN7rocprim17ROCPRIM_400000_NS6detail17trampoline_kernelINS0_14default_configENS1_25partition_config_selectorILNS1_17partition_subalgoE6EN6thrust23THRUST_200600_302600_NS5tupleIddNS7_9null_typeES9_S9_S9_S9_S9_S9_S9_EENS0_10empty_typeEbEEZZNS1_14partition_implILS5_6ELb0ES3_mNS7_12zip_iteratorINS8_INS7_6detail15normal_iteratorINS7_10device_ptrIdEEEESJ_S9_S9_S9_S9_S9_S9_S9_S9_EEEEPSB_SM_NS0_5tupleIJNSE_INS8_ISJ_NS7_16discard_iteratorINS7_11use_defaultEEES9_S9_S9_S9_S9_S9_S9_S9_EEEESB_EEENSN_IJSM_SM_EEESB_PlJNSF_9not_fun_tINSF_14equal_to_valueISA_EEEEEEE10hipError_tPvRmT3_T4_T5_T6_T7_T9_mT8_P12ihipStream_tbDpT10_ENKUlT_T0_E_clISt17integral_constantIbLb0EES1J_EEDaS1E_S1F_EUlS1E_E_NS1_11comp_targetILNS1_3genE0ELNS1_11target_archE4294967295ELNS1_3gpuE0ELNS1_3repE0EEENS1_30default_config_static_selectorELNS0_4arch9wavefront6targetE0EEEvT1_.uses_flat_scratch, 0
	.set _ZN7rocprim17ROCPRIM_400000_NS6detail17trampoline_kernelINS0_14default_configENS1_25partition_config_selectorILNS1_17partition_subalgoE6EN6thrust23THRUST_200600_302600_NS5tupleIddNS7_9null_typeES9_S9_S9_S9_S9_S9_S9_EENS0_10empty_typeEbEEZZNS1_14partition_implILS5_6ELb0ES3_mNS7_12zip_iteratorINS8_INS7_6detail15normal_iteratorINS7_10device_ptrIdEEEESJ_S9_S9_S9_S9_S9_S9_S9_S9_EEEEPSB_SM_NS0_5tupleIJNSE_INS8_ISJ_NS7_16discard_iteratorINS7_11use_defaultEEES9_S9_S9_S9_S9_S9_S9_S9_EEEESB_EEENSN_IJSM_SM_EEESB_PlJNSF_9not_fun_tINSF_14equal_to_valueISA_EEEEEEE10hipError_tPvRmT3_T4_T5_T6_T7_T9_mT8_P12ihipStream_tbDpT10_ENKUlT_T0_E_clISt17integral_constantIbLb0EES1J_EEDaS1E_S1F_EUlS1E_E_NS1_11comp_targetILNS1_3genE0ELNS1_11target_archE4294967295ELNS1_3gpuE0ELNS1_3repE0EEENS1_30default_config_static_selectorELNS0_4arch9wavefront6targetE0EEEvT1_.has_dyn_sized_stack, 0
	.set _ZN7rocprim17ROCPRIM_400000_NS6detail17trampoline_kernelINS0_14default_configENS1_25partition_config_selectorILNS1_17partition_subalgoE6EN6thrust23THRUST_200600_302600_NS5tupleIddNS7_9null_typeES9_S9_S9_S9_S9_S9_S9_EENS0_10empty_typeEbEEZZNS1_14partition_implILS5_6ELb0ES3_mNS7_12zip_iteratorINS8_INS7_6detail15normal_iteratorINS7_10device_ptrIdEEEESJ_S9_S9_S9_S9_S9_S9_S9_S9_EEEEPSB_SM_NS0_5tupleIJNSE_INS8_ISJ_NS7_16discard_iteratorINS7_11use_defaultEEES9_S9_S9_S9_S9_S9_S9_S9_EEEESB_EEENSN_IJSM_SM_EEESB_PlJNSF_9not_fun_tINSF_14equal_to_valueISA_EEEEEEE10hipError_tPvRmT3_T4_T5_T6_T7_T9_mT8_P12ihipStream_tbDpT10_ENKUlT_T0_E_clISt17integral_constantIbLb0EES1J_EEDaS1E_S1F_EUlS1E_E_NS1_11comp_targetILNS1_3genE0ELNS1_11target_archE4294967295ELNS1_3gpuE0ELNS1_3repE0EEENS1_30default_config_static_selectorELNS0_4arch9wavefront6targetE0EEEvT1_.has_recursion, 0
	.set _ZN7rocprim17ROCPRIM_400000_NS6detail17trampoline_kernelINS0_14default_configENS1_25partition_config_selectorILNS1_17partition_subalgoE6EN6thrust23THRUST_200600_302600_NS5tupleIddNS7_9null_typeES9_S9_S9_S9_S9_S9_S9_EENS0_10empty_typeEbEEZZNS1_14partition_implILS5_6ELb0ES3_mNS7_12zip_iteratorINS8_INS7_6detail15normal_iteratorINS7_10device_ptrIdEEEESJ_S9_S9_S9_S9_S9_S9_S9_S9_EEEEPSB_SM_NS0_5tupleIJNSE_INS8_ISJ_NS7_16discard_iteratorINS7_11use_defaultEEES9_S9_S9_S9_S9_S9_S9_S9_EEEESB_EEENSN_IJSM_SM_EEESB_PlJNSF_9not_fun_tINSF_14equal_to_valueISA_EEEEEEE10hipError_tPvRmT3_T4_T5_T6_T7_T9_mT8_P12ihipStream_tbDpT10_ENKUlT_T0_E_clISt17integral_constantIbLb0EES1J_EEDaS1E_S1F_EUlS1E_E_NS1_11comp_targetILNS1_3genE0ELNS1_11target_archE4294967295ELNS1_3gpuE0ELNS1_3repE0EEENS1_30default_config_static_selectorELNS0_4arch9wavefront6targetE0EEEvT1_.has_indirect_call, 0
	.section	.AMDGPU.csdata,"",@progbits
; Kernel info:
; codeLenInByte = 0
; TotalNumSgprs: 0
; NumVgprs: 0
; ScratchSize: 0
; MemoryBound: 0
; FloatMode: 240
; IeeeMode: 1
; LDSByteSize: 0 bytes/workgroup (compile time only)
; SGPRBlocks: 0
; VGPRBlocks: 0
; NumSGPRsForWavesPerEU: 1
; NumVGPRsForWavesPerEU: 1
; Occupancy: 16
; WaveLimiterHint : 0
; COMPUTE_PGM_RSRC2:SCRATCH_EN: 0
; COMPUTE_PGM_RSRC2:USER_SGPR: 2
; COMPUTE_PGM_RSRC2:TRAP_HANDLER: 0
; COMPUTE_PGM_RSRC2:TGID_X_EN: 1
; COMPUTE_PGM_RSRC2:TGID_Y_EN: 0
; COMPUTE_PGM_RSRC2:TGID_Z_EN: 0
; COMPUTE_PGM_RSRC2:TIDIG_COMP_CNT: 0
	.section	.text._ZN7rocprim17ROCPRIM_400000_NS6detail17trampoline_kernelINS0_14default_configENS1_25partition_config_selectorILNS1_17partition_subalgoE6EN6thrust23THRUST_200600_302600_NS5tupleIddNS7_9null_typeES9_S9_S9_S9_S9_S9_S9_EENS0_10empty_typeEbEEZZNS1_14partition_implILS5_6ELb0ES3_mNS7_12zip_iteratorINS8_INS7_6detail15normal_iteratorINS7_10device_ptrIdEEEESJ_S9_S9_S9_S9_S9_S9_S9_S9_EEEEPSB_SM_NS0_5tupleIJNSE_INS8_ISJ_NS7_16discard_iteratorINS7_11use_defaultEEES9_S9_S9_S9_S9_S9_S9_S9_EEEESB_EEENSN_IJSM_SM_EEESB_PlJNSF_9not_fun_tINSF_14equal_to_valueISA_EEEEEEE10hipError_tPvRmT3_T4_T5_T6_T7_T9_mT8_P12ihipStream_tbDpT10_ENKUlT_T0_E_clISt17integral_constantIbLb0EES1J_EEDaS1E_S1F_EUlS1E_E_NS1_11comp_targetILNS1_3genE5ELNS1_11target_archE942ELNS1_3gpuE9ELNS1_3repE0EEENS1_30default_config_static_selectorELNS0_4arch9wavefront6targetE0EEEvT1_,"axG",@progbits,_ZN7rocprim17ROCPRIM_400000_NS6detail17trampoline_kernelINS0_14default_configENS1_25partition_config_selectorILNS1_17partition_subalgoE6EN6thrust23THRUST_200600_302600_NS5tupleIddNS7_9null_typeES9_S9_S9_S9_S9_S9_S9_EENS0_10empty_typeEbEEZZNS1_14partition_implILS5_6ELb0ES3_mNS7_12zip_iteratorINS8_INS7_6detail15normal_iteratorINS7_10device_ptrIdEEEESJ_S9_S9_S9_S9_S9_S9_S9_S9_EEEEPSB_SM_NS0_5tupleIJNSE_INS8_ISJ_NS7_16discard_iteratorINS7_11use_defaultEEES9_S9_S9_S9_S9_S9_S9_S9_EEEESB_EEENSN_IJSM_SM_EEESB_PlJNSF_9not_fun_tINSF_14equal_to_valueISA_EEEEEEE10hipError_tPvRmT3_T4_T5_T6_T7_T9_mT8_P12ihipStream_tbDpT10_ENKUlT_T0_E_clISt17integral_constantIbLb0EES1J_EEDaS1E_S1F_EUlS1E_E_NS1_11comp_targetILNS1_3genE5ELNS1_11target_archE942ELNS1_3gpuE9ELNS1_3repE0EEENS1_30default_config_static_selectorELNS0_4arch9wavefront6targetE0EEEvT1_,comdat
	.protected	_ZN7rocprim17ROCPRIM_400000_NS6detail17trampoline_kernelINS0_14default_configENS1_25partition_config_selectorILNS1_17partition_subalgoE6EN6thrust23THRUST_200600_302600_NS5tupleIddNS7_9null_typeES9_S9_S9_S9_S9_S9_S9_EENS0_10empty_typeEbEEZZNS1_14partition_implILS5_6ELb0ES3_mNS7_12zip_iteratorINS8_INS7_6detail15normal_iteratorINS7_10device_ptrIdEEEESJ_S9_S9_S9_S9_S9_S9_S9_S9_EEEEPSB_SM_NS0_5tupleIJNSE_INS8_ISJ_NS7_16discard_iteratorINS7_11use_defaultEEES9_S9_S9_S9_S9_S9_S9_S9_EEEESB_EEENSN_IJSM_SM_EEESB_PlJNSF_9not_fun_tINSF_14equal_to_valueISA_EEEEEEE10hipError_tPvRmT3_T4_T5_T6_T7_T9_mT8_P12ihipStream_tbDpT10_ENKUlT_T0_E_clISt17integral_constantIbLb0EES1J_EEDaS1E_S1F_EUlS1E_E_NS1_11comp_targetILNS1_3genE5ELNS1_11target_archE942ELNS1_3gpuE9ELNS1_3repE0EEENS1_30default_config_static_selectorELNS0_4arch9wavefront6targetE0EEEvT1_ ; -- Begin function _ZN7rocprim17ROCPRIM_400000_NS6detail17trampoline_kernelINS0_14default_configENS1_25partition_config_selectorILNS1_17partition_subalgoE6EN6thrust23THRUST_200600_302600_NS5tupleIddNS7_9null_typeES9_S9_S9_S9_S9_S9_S9_EENS0_10empty_typeEbEEZZNS1_14partition_implILS5_6ELb0ES3_mNS7_12zip_iteratorINS8_INS7_6detail15normal_iteratorINS7_10device_ptrIdEEEESJ_S9_S9_S9_S9_S9_S9_S9_S9_EEEEPSB_SM_NS0_5tupleIJNSE_INS8_ISJ_NS7_16discard_iteratorINS7_11use_defaultEEES9_S9_S9_S9_S9_S9_S9_S9_EEEESB_EEENSN_IJSM_SM_EEESB_PlJNSF_9not_fun_tINSF_14equal_to_valueISA_EEEEEEE10hipError_tPvRmT3_T4_T5_T6_T7_T9_mT8_P12ihipStream_tbDpT10_ENKUlT_T0_E_clISt17integral_constantIbLb0EES1J_EEDaS1E_S1F_EUlS1E_E_NS1_11comp_targetILNS1_3genE5ELNS1_11target_archE942ELNS1_3gpuE9ELNS1_3repE0EEENS1_30default_config_static_selectorELNS0_4arch9wavefront6targetE0EEEvT1_
	.globl	_ZN7rocprim17ROCPRIM_400000_NS6detail17trampoline_kernelINS0_14default_configENS1_25partition_config_selectorILNS1_17partition_subalgoE6EN6thrust23THRUST_200600_302600_NS5tupleIddNS7_9null_typeES9_S9_S9_S9_S9_S9_S9_EENS0_10empty_typeEbEEZZNS1_14partition_implILS5_6ELb0ES3_mNS7_12zip_iteratorINS8_INS7_6detail15normal_iteratorINS7_10device_ptrIdEEEESJ_S9_S9_S9_S9_S9_S9_S9_S9_EEEEPSB_SM_NS0_5tupleIJNSE_INS8_ISJ_NS7_16discard_iteratorINS7_11use_defaultEEES9_S9_S9_S9_S9_S9_S9_S9_EEEESB_EEENSN_IJSM_SM_EEESB_PlJNSF_9not_fun_tINSF_14equal_to_valueISA_EEEEEEE10hipError_tPvRmT3_T4_T5_T6_T7_T9_mT8_P12ihipStream_tbDpT10_ENKUlT_T0_E_clISt17integral_constantIbLb0EES1J_EEDaS1E_S1F_EUlS1E_E_NS1_11comp_targetILNS1_3genE5ELNS1_11target_archE942ELNS1_3gpuE9ELNS1_3repE0EEENS1_30default_config_static_selectorELNS0_4arch9wavefront6targetE0EEEvT1_
	.p2align	8
	.type	_ZN7rocprim17ROCPRIM_400000_NS6detail17trampoline_kernelINS0_14default_configENS1_25partition_config_selectorILNS1_17partition_subalgoE6EN6thrust23THRUST_200600_302600_NS5tupleIddNS7_9null_typeES9_S9_S9_S9_S9_S9_S9_EENS0_10empty_typeEbEEZZNS1_14partition_implILS5_6ELb0ES3_mNS7_12zip_iteratorINS8_INS7_6detail15normal_iteratorINS7_10device_ptrIdEEEESJ_S9_S9_S9_S9_S9_S9_S9_S9_EEEEPSB_SM_NS0_5tupleIJNSE_INS8_ISJ_NS7_16discard_iteratorINS7_11use_defaultEEES9_S9_S9_S9_S9_S9_S9_S9_EEEESB_EEENSN_IJSM_SM_EEESB_PlJNSF_9not_fun_tINSF_14equal_to_valueISA_EEEEEEE10hipError_tPvRmT3_T4_T5_T6_T7_T9_mT8_P12ihipStream_tbDpT10_ENKUlT_T0_E_clISt17integral_constantIbLb0EES1J_EEDaS1E_S1F_EUlS1E_E_NS1_11comp_targetILNS1_3genE5ELNS1_11target_archE942ELNS1_3gpuE9ELNS1_3repE0EEENS1_30default_config_static_selectorELNS0_4arch9wavefront6targetE0EEEvT1_,@function
_ZN7rocprim17ROCPRIM_400000_NS6detail17trampoline_kernelINS0_14default_configENS1_25partition_config_selectorILNS1_17partition_subalgoE6EN6thrust23THRUST_200600_302600_NS5tupleIddNS7_9null_typeES9_S9_S9_S9_S9_S9_S9_EENS0_10empty_typeEbEEZZNS1_14partition_implILS5_6ELb0ES3_mNS7_12zip_iteratorINS8_INS7_6detail15normal_iteratorINS7_10device_ptrIdEEEESJ_S9_S9_S9_S9_S9_S9_S9_S9_EEEEPSB_SM_NS0_5tupleIJNSE_INS8_ISJ_NS7_16discard_iteratorINS7_11use_defaultEEES9_S9_S9_S9_S9_S9_S9_S9_EEEESB_EEENSN_IJSM_SM_EEESB_PlJNSF_9not_fun_tINSF_14equal_to_valueISA_EEEEEEE10hipError_tPvRmT3_T4_T5_T6_T7_T9_mT8_P12ihipStream_tbDpT10_ENKUlT_T0_E_clISt17integral_constantIbLb0EES1J_EEDaS1E_S1F_EUlS1E_E_NS1_11comp_targetILNS1_3genE5ELNS1_11target_archE942ELNS1_3gpuE9ELNS1_3repE0EEENS1_30default_config_static_selectorELNS0_4arch9wavefront6targetE0EEEvT1_: ; @_ZN7rocprim17ROCPRIM_400000_NS6detail17trampoline_kernelINS0_14default_configENS1_25partition_config_selectorILNS1_17partition_subalgoE6EN6thrust23THRUST_200600_302600_NS5tupleIddNS7_9null_typeES9_S9_S9_S9_S9_S9_S9_EENS0_10empty_typeEbEEZZNS1_14partition_implILS5_6ELb0ES3_mNS7_12zip_iteratorINS8_INS7_6detail15normal_iteratorINS7_10device_ptrIdEEEESJ_S9_S9_S9_S9_S9_S9_S9_S9_EEEEPSB_SM_NS0_5tupleIJNSE_INS8_ISJ_NS7_16discard_iteratorINS7_11use_defaultEEES9_S9_S9_S9_S9_S9_S9_S9_EEEESB_EEENSN_IJSM_SM_EEESB_PlJNSF_9not_fun_tINSF_14equal_to_valueISA_EEEEEEE10hipError_tPvRmT3_T4_T5_T6_T7_T9_mT8_P12ihipStream_tbDpT10_ENKUlT_T0_E_clISt17integral_constantIbLb0EES1J_EEDaS1E_S1F_EUlS1E_E_NS1_11comp_targetILNS1_3genE5ELNS1_11target_archE942ELNS1_3gpuE9ELNS1_3repE0EEENS1_30default_config_static_selectorELNS0_4arch9wavefront6targetE0EEEvT1_
; %bb.0:
	.section	.rodata,"a",@progbits
	.p2align	6, 0x0
	.amdhsa_kernel _ZN7rocprim17ROCPRIM_400000_NS6detail17trampoline_kernelINS0_14default_configENS1_25partition_config_selectorILNS1_17partition_subalgoE6EN6thrust23THRUST_200600_302600_NS5tupleIddNS7_9null_typeES9_S9_S9_S9_S9_S9_S9_EENS0_10empty_typeEbEEZZNS1_14partition_implILS5_6ELb0ES3_mNS7_12zip_iteratorINS8_INS7_6detail15normal_iteratorINS7_10device_ptrIdEEEESJ_S9_S9_S9_S9_S9_S9_S9_S9_EEEEPSB_SM_NS0_5tupleIJNSE_INS8_ISJ_NS7_16discard_iteratorINS7_11use_defaultEEES9_S9_S9_S9_S9_S9_S9_S9_EEEESB_EEENSN_IJSM_SM_EEESB_PlJNSF_9not_fun_tINSF_14equal_to_valueISA_EEEEEEE10hipError_tPvRmT3_T4_T5_T6_T7_T9_mT8_P12ihipStream_tbDpT10_ENKUlT_T0_E_clISt17integral_constantIbLb0EES1J_EEDaS1E_S1F_EUlS1E_E_NS1_11comp_targetILNS1_3genE5ELNS1_11target_archE942ELNS1_3gpuE9ELNS1_3repE0EEENS1_30default_config_static_selectorELNS0_4arch9wavefront6targetE0EEEvT1_
		.amdhsa_group_segment_fixed_size 0
		.amdhsa_private_segment_fixed_size 0
		.amdhsa_kernarg_size 152
		.amdhsa_user_sgpr_count 2
		.amdhsa_user_sgpr_dispatch_ptr 0
		.amdhsa_user_sgpr_queue_ptr 0
		.amdhsa_user_sgpr_kernarg_segment_ptr 1
		.amdhsa_user_sgpr_dispatch_id 0
		.amdhsa_user_sgpr_private_segment_size 0
		.amdhsa_wavefront_size32 1
		.amdhsa_uses_dynamic_stack 0
		.amdhsa_enable_private_segment 0
		.amdhsa_system_sgpr_workgroup_id_x 1
		.amdhsa_system_sgpr_workgroup_id_y 0
		.amdhsa_system_sgpr_workgroup_id_z 0
		.amdhsa_system_sgpr_workgroup_info 0
		.amdhsa_system_vgpr_workitem_id 0
		.amdhsa_next_free_vgpr 1
		.amdhsa_next_free_sgpr 1
		.amdhsa_reserve_vcc 0
		.amdhsa_float_round_mode_32 0
		.amdhsa_float_round_mode_16_64 0
		.amdhsa_float_denorm_mode_32 3
		.amdhsa_float_denorm_mode_16_64 3
		.amdhsa_fp16_overflow 0
		.amdhsa_workgroup_processor_mode 1
		.amdhsa_memory_ordered 1
		.amdhsa_forward_progress 1
		.amdhsa_inst_pref_size 0
		.amdhsa_round_robin_scheduling 0
		.amdhsa_exception_fp_ieee_invalid_op 0
		.amdhsa_exception_fp_denorm_src 0
		.amdhsa_exception_fp_ieee_div_zero 0
		.amdhsa_exception_fp_ieee_overflow 0
		.amdhsa_exception_fp_ieee_underflow 0
		.amdhsa_exception_fp_ieee_inexact 0
		.amdhsa_exception_int_div_zero 0
	.end_amdhsa_kernel
	.section	.text._ZN7rocprim17ROCPRIM_400000_NS6detail17trampoline_kernelINS0_14default_configENS1_25partition_config_selectorILNS1_17partition_subalgoE6EN6thrust23THRUST_200600_302600_NS5tupleIddNS7_9null_typeES9_S9_S9_S9_S9_S9_S9_EENS0_10empty_typeEbEEZZNS1_14partition_implILS5_6ELb0ES3_mNS7_12zip_iteratorINS8_INS7_6detail15normal_iteratorINS7_10device_ptrIdEEEESJ_S9_S9_S9_S9_S9_S9_S9_S9_EEEEPSB_SM_NS0_5tupleIJNSE_INS8_ISJ_NS7_16discard_iteratorINS7_11use_defaultEEES9_S9_S9_S9_S9_S9_S9_S9_EEEESB_EEENSN_IJSM_SM_EEESB_PlJNSF_9not_fun_tINSF_14equal_to_valueISA_EEEEEEE10hipError_tPvRmT3_T4_T5_T6_T7_T9_mT8_P12ihipStream_tbDpT10_ENKUlT_T0_E_clISt17integral_constantIbLb0EES1J_EEDaS1E_S1F_EUlS1E_E_NS1_11comp_targetILNS1_3genE5ELNS1_11target_archE942ELNS1_3gpuE9ELNS1_3repE0EEENS1_30default_config_static_selectorELNS0_4arch9wavefront6targetE0EEEvT1_,"axG",@progbits,_ZN7rocprim17ROCPRIM_400000_NS6detail17trampoline_kernelINS0_14default_configENS1_25partition_config_selectorILNS1_17partition_subalgoE6EN6thrust23THRUST_200600_302600_NS5tupleIddNS7_9null_typeES9_S9_S9_S9_S9_S9_S9_EENS0_10empty_typeEbEEZZNS1_14partition_implILS5_6ELb0ES3_mNS7_12zip_iteratorINS8_INS7_6detail15normal_iteratorINS7_10device_ptrIdEEEESJ_S9_S9_S9_S9_S9_S9_S9_S9_EEEEPSB_SM_NS0_5tupleIJNSE_INS8_ISJ_NS7_16discard_iteratorINS7_11use_defaultEEES9_S9_S9_S9_S9_S9_S9_S9_EEEESB_EEENSN_IJSM_SM_EEESB_PlJNSF_9not_fun_tINSF_14equal_to_valueISA_EEEEEEE10hipError_tPvRmT3_T4_T5_T6_T7_T9_mT8_P12ihipStream_tbDpT10_ENKUlT_T0_E_clISt17integral_constantIbLb0EES1J_EEDaS1E_S1F_EUlS1E_E_NS1_11comp_targetILNS1_3genE5ELNS1_11target_archE942ELNS1_3gpuE9ELNS1_3repE0EEENS1_30default_config_static_selectorELNS0_4arch9wavefront6targetE0EEEvT1_,comdat
.Lfunc_end1822:
	.size	_ZN7rocprim17ROCPRIM_400000_NS6detail17trampoline_kernelINS0_14default_configENS1_25partition_config_selectorILNS1_17partition_subalgoE6EN6thrust23THRUST_200600_302600_NS5tupleIddNS7_9null_typeES9_S9_S9_S9_S9_S9_S9_EENS0_10empty_typeEbEEZZNS1_14partition_implILS5_6ELb0ES3_mNS7_12zip_iteratorINS8_INS7_6detail15normal_iteratorINS7_10device_ptrIdEEEESJ_S9_S9_S9_S9_S9_S9_S9_S9_EEEEPSB_SM_NS0_5tupleIJNSE_INS8_ISJ_NS7_16discard_iteratorINS7_11use_defaultEEES9_S9_S9_S9_S9_S9_S9_S9_EEEESB_EEENSN_IJSM_SM_EEESB_PlJNSF_9not_fun_tINSF_14equal_to_valueISA_EEEEEEE10hipError_tPvRmT3_T4_T5_T6_T7_T9_mT8_P12ihipStream_tbDpT10_ENKUlT_T0_E_clISt17integral_constantIbLb0EES1J_EEDaS1E_S1F_EUlS1E_E_NS1_11comp_targetILNS1_3genE5ELNS1_11target_archE942ELNS1_3gpuE9ELNS1_3repE0EEENS1_30default_config_static_selectorELNS0_4arch9wavefront6targetE0EEEvT1_, .Lfunc_end1822-_ZN7rocprim17ROCPRIM_400000_NS6detail17trampoline_kernelINS0_14default_configENS1_25partition_config_selectorILNS1_17partition_subalgoE6EN6thrust23THRUST_200600_302600_NS5tupleIddNS7_9null_typeES9_S9_S9_S9_S9_S9_S9_EENS0_10empty_typeEbEEZZNS1_14partition_implILS5_6ELb0ES3_mNS7_12zip_iteratorINS8_INS7_6detail15normal_iteratorINS7_10device_ptrIdEEEESJ_S9_S9_S9_S9_S9_S9_S9_S9_EEEEPSB_SM_NS0_5tupleIJNSE_INS8_ISJ_NS7_16discard_iteratorINS7_11use_defaultEEES9_S9_S9_S9_S9_S9_S9_S9_EEEESB_EEENSN_IJSM_SM_EEESB_PlJNSF_9not_fun_tINSF_14equal_to_valueISA_EEEEEEE10hipError_tPvRmT3_T4_T5_T6_T7_T9_mT8_P12ihipStream_tbDpT10_ENKUlT_T0_E_clISt17integral_constantIbLb0EES1J_EEDaS1E_S1F_EUlS1E_E_NS1_11comp_targetILNS1_3genE5ELNS1_11target_archE942ELNS1_3gpuE9ELNS1_3repE0EEENS1_30default_config_static_selectorELNS0_4arch9wavefront6targetE0EEEvT1_
                                        ; -- End function
	.set _ZN7rocprim17ROCPRIM_400000_NS6detail17trampoline_kernelINS0_14default_configENS1_25partition_config_selectorILNS1_17partition_subalgoE6EN6thrust23THRUST_200600_302600_NS5tupleIddNS7_9null_typeES9_S9_S9_S9_S9_S9_S9_EENS0_10empty_typeEbEEZZNS1_14partition_implILS5_6ELb0ES3_mNS7_12zip_iteratorINS8_INS7_6detail15normal_iteratorINS7_10device_ptrIdEEEESJ_S9_S9_S9_S9_S9_S9_S9_S9_EEEEPSB_SM_NS0_5tupleIJNSE_INS8_ISJ_NS7_16discard_iteratorINS7_11use_defaultEEES9_S9_S9_S9_S9_S9_S9_S9_EEEESB_EEENSN_IJSM_SM_EEESB_PlJNSF_9not_fun_tINSF_14equal_to_valueISA_EEEEEEE10hipError_tPvRmT3_T4_T5_T6_T7_T9_mT8_P12ihipStream_tbDpT10_ENKUlT_T0_E_clISt17integral_constantIbLb0EES1J_EEDaS1E_S1F_EUlS1E_E_NS1_11comp_targetILNS1_3genE5ELNS1_11target_archE942ELNS1_3gpuE9ELNS1_3repE0EEENS1_30default_config_static_selectorELNS0_4arch9wavefront6targetE0EEEvT1_.num_vgpr, 0
	.set _ZN7rocprim17ROCPRIM_400000_NS6detail17trampoline_kernelINS0_14default_configENS1_25partition_config_selectorILNS1_17partition_subalgoE6EN6thrust23THRUST_200600_302600_NS5tupleIddNS7_9null_typeES9_S9_S9_S9_S9_S9_S9_EENS0_10empty_typeEbEEZZNS1_14partition_implILS5_6ELb0ES3_mNS7_12zip_iteratorINS8_INS7_6detail15normal_iteratorINS7_10device_ptrIdEEEESJ_S9_S9_S9_S9_S9_S9_S9_S9_EEEEPSB_SM_NS0_5tupleIJNSE_INS8_ISJ_NS7_16discard_iteratorINS7_11use_defaultEEES9_S9_S9_S9_S9_S9_S9_S9_EEEESB_EEENSN_IJSM_SM_EEESB_PlJNSF_9not_fun_tINSF_14equal_to_valueISA_EEEEEEE10hipError_tPvRmT3_T4_T5_T6_T7_T9_mT8_P12ihipStream_tbDpT10_ENKUlT_T0_E_clISt17integral_constantIbLb0EES1J_EEDaS1E_S1F_EUlS1E_E_NS1_11comp_targetILNS1_3genE5ELNS1_11target_archE942ELNS1_3gpuE9ELNS1_3repE0EEENS1_30default_config_static_selectorELNS0_4arch9wavefront6targetE0EEEvT1_.num_agpr, 0
	.set _ZN7rocprim17ROCPRIM_400000_NS6detail17trampoline_kernelINS0_14default_configENS1_25partition_config_selectorILNS1_17partition_subalgoE6EN6thrust23THRUST_200600_302600_NS5tupleIddNS7_9null_typeES9_S9_S9_S9_S9_S9_S9_EENS0_10empty_typeEbEEZZNS1_14partition_implILS5_6ELb0ES3_mNS7_12zip_iteratorINS8_INS7_6detail15normal_iteratorINS7_10device_ptrIdEEEESJ_S9_S9_S9_S9_S9_S9_S9_S9_EEEEPSB_SM_NS0_5tupleIJNSE_INS8_ISJ_NS7_16discard_iteratorINS7_11use_defaultEEES9_S9_S9_S9_S9_S9_S9_S9_EEEESB_EEENSN_IJSM_SM_EEESB_PlJNSF_9not_fun_tINSF_14equal_to_valueISA_EEEEEEE10hipError_tPvRmT3_T4_T5_T6_T7_T9_mT8_P12ihipStream_tbDpT10_ENKUlT_T0_E_clISt17integral_constantIbLb0EES1J_EEDaS1E_S1F_EUlS1E_E_NS1_11comp_targetILNS1_3genE5ELNS1_11target_archE942ELNS1_3gpuE9ELNS1_3repE0EEENS1_30default_config_static_selectorELNS0_4arch9wavefront6targetE0EEEvT1_.numbered_sgpr, 0
	.set _ZN7rocprim17ROCPRIM_400000_NS6detail17trampoline_kernelINS0_14default_configENS1_25partition_config_selectorILNS1_17partition_subalgoE6EN6thrust23THRUST_200600_302600_NS5tupleIddNS7_9null_typeES9_S9_S9_S9_S9_S9_S9_EENS0_10empty_typeEbEEZZNS1_14partition_implILS5_6ELb0ES3_mNS7_12zip_iteratorINS8_INS7_6detail15normal_iteratorINS7_10device_ptrIdEEEESJ_S9_S9_S9_S9_S9_S9_S9_S9_EEEEPSB_SM_NS0_5tupleIJNSE_INS8_ISJ_NS7_16discard_iteratorINS7_11use_defaultEEES9_S9_S9_S9_S9_S9_S9_S9_EEEESB_EEENSN_IJSM_SM_EEESB_PlJNSF_9not_fun_tINSF_14equal_to_valueISA_EEEEEEE10hipError_tPvRmT3_T4_T5_T6_T7_T9_mT8_P12ihipStream_tbDpT10_ENKUlT_T0_E_clISt17integral_constantIbLb0EES1J_EEDaS1E_S1F_EUlS1E_E_NS1_11comp_targetILNS1_3genE5ELNS1_11target_archE942ELNS1_3gpuE9ELNS1_3repE0EEENS1_30default_config_static_selectorELNS0_4arch9wavefront6targetE0EEEvT1_.num_named_barrier, 0
	.set _ZN7rocprim17ROCPRIM_400000_NS6detail17trampoline_kernelINS0_14default_configENS1_25partition_config_selectorILNS1_17partition_subalgoE6EN6thrust23THRUST_200600_302600_NS5tupleIddNS7_9null_typeES9_S9_S9_S9_S9_S9_S9_EENS0_10empty_typeEbEEZZNS1_14partition_implILS5_6ELb0ES3_mNS7_12zip_iteratorINS8_INS7_6detail15normal_iteratorINS7_10device_ptrIdEEEESJ_S9_S9_S9_S9_S9_S9_S9_S9_EEEEPSB_SM_NS0_5tupleIJNSE_INS8_ISJ_NS7_16discard_iteratorINS7_11use_defaultEEES9_S9_S9_S9_S9_S9_S9_S9_EEEESB_EEENSN_IJSM_SM_EEESB_PlJNSF_9not_fun_tINSF_14equal_to_valueISA_EEEEEEE10hipError_tPvRmT3_T4_T5_T6_T7_T9_mT8_P12ihipStream_tbDpT10_ENKUlT_T0_E_clISt17integral_constantIbLb0EES1J_EEDaS1E_S1F_EUlS1E_E_NS1_11comp_targetILNS1_3genE5ELNS1_11target_archE942ELNS1_3gpuE9ELNS1_3repE0EEENS1_30default_config_static_selectorELNS0_4arch9wavefront6targetE0EEEvT1_.private_seg_size, 0
	.set _ZN7rocprim17ROCPRIM_400000_NS6detail17trampoline_kernelINS0_14default_configENS1_25partition_config_selectorILNS1_17partition_subalgoE6EN6thrust23THRUST_200600_302600_NS5tupleIddNS7_9null_typeES9_S9_S9_S9_S9_S9_S9_EENS0_10empty_typeEbEEZZNS1_14partition_implILS5_6ELb0ES3_mNS7_12zip_iteratorINS8_INS7_6detail15normal_iteratorINS7_10device_ptrIdEEEESJ_S9_S9_S9_S9_S9_S9_S9_S9_EEEEPSB_SM_NS0_5tupleIJNSE_INS8_ISJ_NS7_16discard_iteratorINS7_11use_defaultEEES9_S9_S9_S9_S9_S9_S9_S9_EEEESB_EEENSN_IJSM_SM_EEESB_PlJNSF_9not_fun_tINSF_14equal_to_valueISA_EEEEEEE10hipError_tPvRmT3_T4_T5_T6_T7_T9_mT8_P12ihipStream_tbDpT10_ENKUlT_T0_E_clISt17integral_constantIbLb0EES1J_EEDaS1E_S1F_EUlS1E_E_NS1_11comp_targetILNS1_3genE5ELNS1_11target_archE942ELNS1_3gpuE9ELNS1_3repE0EEENS1_30default_config_static_selectorELNS0_4arch9wavefront6targetE0EEEvT1_.uses_vcc, 0
	.set _ZN7rocprim17ROCPRIM_400000_NS6detail17trampoline_kernelINS0_14default_configENS1_25partition_config_selectorILNS1_17partition_subalgoE6EN6thrust23THRUST_200600_302600_NS5tupleIddNS7_9null_typeES9_S9_S9_S9_S9_S9_S9_EENS0_10empty_typeEbEEZZNS1_14partition_implILS5_6ELb0ES3_mNS7_12zip_iteratorINS8_INS7_6detail15normal_iteratorINS7_10device_ptrIdEEEESJ_S9_S9_S9_S9_S9_S9_S9_S9_EEEEPSB_SM_NS0_5tupleIJNSE_INS8_ISJ_NS7_16discard_iteratorINS7_11use_defaultEEES9_S9_S9_S9_S9_S9_S9_S9_EEEESB_EEENSN_IJSM_SM_EEESB_PlJNSF_9not_fun_tINSF_14equal_to_valueISA_EEEEEEE10hipError_tPvRmT3_T4_T5_T6_T7_T9_mT8_P12ihipStream_tbDpT10_ENKUlT_T0_E_clISt17integral_constantIbLb0EES1J_EEDaS1E_S1F_EUlS1E_E_NS1_11comp_targetILNS1_3genE5ELNS1_11target_archE942ELNS1_3gpuE9ELNS1_3repE0EEENS1_30default_config_static_selectorELNS0_4arch9wavefront6targetE0EEEvT1_.uses_flat_scratch, 0
	.set _ZN7rocprim17ROCPRIM_400000_NS6detail17trampoline_kernelINS0_14default_configENS1_25partition_config_selectorILNS1_17partition_subalgoE6EN6thrust23THRUST_200600_302600_NS5tupleIddNS7_9null_typeES9_S9_S9_S9_S9_S9_S9_EENS0_10empty_typeEbEEZZNS1_14partition_implILS5_6ELb0ES3_mNS7_12zip_iteratorINS8_INS7_6detail15normal_iteratorINS7_10device_ptrIdEEEESJ_S9_S9_S9_S9_S9_S9_S9_S9_EEEEPSB_SM_NS0_5tupleIJNSE_INS8_ISJ_NS7_16discard_iteratorINS7_11use_defaultEEES9_S9_S9_S9_S9_S9_S9_S9_EEEESB_EEENSN_IJSM_SM_EEESB_PlJNSF_9not_fun_tINSF_14equal_to_valueISA_EEEEEEE10hipError_tPvRmT3_T4_T5_T6_T7_T9_mT8_P12ihipStream_tbDpT10_ENKUlT_T0_E_clISt17integral_constantIbLb0EES1J_EEDaS1E_S1F_EUlS1E_E_NS1_11comp_targetILNS1_3genE5ELNS1_11target_archE942ELNS1_3gpuE9ELNS1_3repE0EEENS1_30default_config_static_selectorELNS0_4arch9wavefront6targetE0EEEvT1_.has_dyn_sized_stack, 0
	.set _ZN7rocprim17ROCPRIM_400000_NS6detail17trampoline_kernelINS0_14default_configENS1_25partition_config_selectorILNS1_17partition_subalgoE6EN6thrust23THRUST_200600_302600_NS5tupleIddNS7_9null_typeES9_S9_S9_S9_S9_S9_S9_EENS0_10empty_typeEbEEZZNS1_14partition_implILS5_6ELb0ES3_mNS7_12zip_iteratorINS8_INS7_6detail15normal_iteratorINS7_10device_ptrIdEEEESJ_S9_S9_S9_S9_S9_S9_S9_S9_EEEEPSB_SM_NS0_5tupleIJNSE_INS8_ISJ_NS7_16discard_iteratorINS7_11use_defaultEEES9_S9_S9_S9_S9_S9_S9_S9_EEEESB_EEENSN_IJSM_SM_EEESB_PlJNSF_9not_fun_tINSF_14equal_to_valueISA_EEEEEEE10hipError_tPvRmT3_T4_T5_T6_T7_T9_mT8_P12ihipStream_tbDpT10_ENKUlT_T0_E_clISt17integral_constantIbLb0EES1J_EEDaS1E_S1F_EUlS1E_E_NS1_11comp_targetILNS1_3genE5ELNS1_11target_archE942ELNS1_3gpuE9ELNS1_3repE0EEENS1_30default_config_static_selectorELNS0_4arch9wavefront6targetE0EEEvT1_.has_recursion, 0
	.set _ZN7rocprim17ROCPRIM_400000_NS6detail17trampoline_kernelINS0_14default_configENS1_25partition_config_selectorILNS1_17partition_subalgoE6EN6thrust23THRUST_200600_302600_NS5tupleIddNS7_9null_typeES9_S9_S9_S9_S9_S9_S9_EENS0_10empty_typeEbEEZZNS1_14partition_implILS5_6ELb0ES3_mNS7_12zip_iteratorINS8_INS7_6detail15normal_iteratorINS7_10device_ptrIdEEEESJ_S9_S9_S9_S9_S9_S9_S9_S9_EEEEPSB_SM_NS0_5tupleIJNSE_INS8_ISJ_NS7_16discard_iteratorINS7_11use_defaultEEES9_S9_S9_S9_S9_S9_S9_S9_EEEESB_EEENSN_IJSM_SM_EEESB_PlJNSF_9not_fun_tINSF_14equal_to_valueISA_EEEEEEE10hipError_tPvRmT3_T4_T5_T6_T7_T9_mT8_P12ihipStream_tbDpT10_ENKUlT_T0_E_clISt17integral_constantIbLb0EES1J_EEDaS1E_S1F_EUlS1E_E_NS1_11comp_targetILNS1_3genE5ELNS1_11target_archE942ELNS1_3gpuE9ELNS1_3repE0EEENS1_30default_config_static_selectorELNS0_4arch9wavefront6targetE0EEEvT1_.has_indirect_call, 0
	.section	.AMDGPU.csdata,"",@progbits
; Kernel info:
; codeLenInByte = 0
; TotalNumSgprs: 0
; NumVgprs: 0
; ScratchSize: 0
; MemoryBound: 0
; FloatMode: 240
; IeeeMode: 1
; LDSByteSize: 0 bytes/workgroup (compile time only)
; SGPRBlocks: 0
; VGPRBlocks: 0
; NumSGPRsForWavesPerEU: 1
; NumVGPRsForWavesPerEU: 1
; Occupancy: 16
; WaveLimiterHint : 0
; COMPUTE_PGM_RSRC2:SCRATCH_EN: 0
; COMPUTE_PGM_RSRC2:USER_SGPR: 2
; COMPUTE_PGM_RSRC2:TRAP_HANDLER: 0
; COMPUTE_PGM_RSRC2:TGID_X_EN: 1
; COMPUTE_PGM_RSRC2:TGID_Y_EN: 0
; COMPUTE_PGM_RSRC2:TGID_Z_EN: 0
; COMPUTE_PGM_RSRC2:TIDIG_COMP_CNT: 0
	.section	.text._ZN7rocprim17ROCPRIM_400000_NS6detail17trampoline_kernelINS0_14default_configENS1_25partition_config_selectorILNS1_17partition_subalgoE6EN6thrust23THRUST_200600_302600_NS5tupleIddNS7_9null_typeES9_S9_S9_S9_S9_S9_S9_EENS0_10empty_typeEbEEZZNS1_14partition_implILS5_6ELb0ES3_mNS7_12zip_iteratorINS8_INS7_6detail15normal_iteratorINS7_10device_ptrIdEEEESJ_S9_S9_S9_S9_S9_S9_S9_S9_EEEEPSB_SM_NS0_5tupleIJNSE_INS8_ISJ_NS7_16discard_iteratorINS7_11use_defaultEEES9_S9_S9_S9_S9_S9_S9_S9_EEEESB_EEENSN_IJSM_SM_EEESB_PlJNSF_9not_fun_tINSF_14equal_to_valueISA_EEEEEEE10hipError_tPvRmT3_T4_T5_T6_T7_T9_mT8_P12ihipStream_tbDpT10_ENKUlT_T0_E_clISt17integral_constantIbLb0EES1J_EEDaS1E_S1F_EUlS1E_E_NS1_11comp_targetILNS1_3genE4ELNS1_11target_archE910ELNS1_3gpuE8ELNS1_3repE0EEENS1_30default_config_static_selectorELNS0_4arch9wavefront6targetE0EEEvT1_,"axG",@progbits,_ZN7rocprim17ROCPRIM_400000_NS6detail17trampoline_kernelINS0_14default_configENS1_25partition_config_selectorILNS1_17partition_subalgoE6EN6thrust23THRUST_200600_302600_NS5tupleIddNS7_9null_typeES9_S9_S9_S9_S9_S9_S9_EENS0_10empty_typeEbEEZZNS1_14partition_implILS5_6ELb0ES3_mNS7_12zip_iteratorINS8_INS7_6detail15normal_iteratorINS7_10device_ptrIdEEEESJ_S9_S9_S9_S9_S9_S9_S9_S9_EEEEPSB_SM_NS0_5tupleIJNSE_INS8_ISJ_NS7_16discard_iteratorINS7_11use_defaultEEES9_S9_S9_S9_S9_S9_S9_S9_EEEESB_EEENSN_IJSM_SM_EEESB_PlJNSF_9not_fun_tINSF_14equal_to_valueISA_EEEEEEE10hipError_tPvRmT3_T4_T5_T6_T7_T9_mT8_P12ihipStream_tbDpT10_ENKUlT_T0_E_clISt17integral_constantIbLb0EES1J_EEDaS1E_S1F_EUlS1E_E_NS1_11comp_targetILNS1_3genE4ELNS1_11target_archE910ELNS1_3gpuE8ELNS1_3repE0EEENS1_30default_config_static_selectorELNS0_4arch9wavefront6targetE0EEEvT1_,comdat
	.protected	_ZN7rocprim17ROCPRIM_400000_NS6detail17trampoline_kernelINS0_14default_configENS1_25partition_config_selectorILNS1_17partition_subalgoE6EN6thrust23THRUST_200600_302600_NS5tupleIddNS7_9null_typeES9_S9_S9_S9_S9_S9_S9_EENS0_10empty_typeEbEEZZNS1_14partition_implILS5_6ELb0ES3_mNS7_12zip_iteratorINS8_INS7_6detail15normal_iteratorINS7_10device_ptrIdEEEESJ_S9_S9_S9_S9_S9_S9_S9_S9_EEEEPSB_SM_NS0_5tupleIJNSE_INS8_ISJ_NS7_16discard_iteratorINS7_11use_defaultEEES9_S9_S9_S9_S9_S9_S9_S9_EEEESB_EEENSN_IJSM_SM_EEESB_PlJNSF_9not_fun_tINSF_14equal_to_valueISA_EEEEEEE10hipError_tPvRmT3_T4_T5_T6_T7_T9_mT8_P12ihipStream_tbDpT10_ENKUlT_T0_E_clISt17integral_constantIbLb0EES1J_EEDaS1E_S1F_EUlS1E_E_NS1_11comp_targetILNS1_3genE4ELNS1_11target_archE910ELNS1_3gpuE8ELNS1_3repE0EEENS1_30default_config_static_selectorELNS0_4arch9wavefront6targetE0EEEvT1_ ; -- Begin function _ZN7rocprim17ROCPRIM_400000_NS6detail17trampoline_kernelINS0_14default_configENS1_25partition_config_selectorILNS1_17partition_subalgoE6EN6thrust23THRUST_200600_302600_NS5tupleIddNS7_9null_typeES9_S9_S9_S9_S9_S9_S9_EENS0_10empty_typeEbEEZZNS1_14partition_implILS5_6ELb0ES3_mNS7_12zip_iteratorINS8_INS7_6detail15normal_iteratorINS7_10device_ptrIdEEEESJ_S9_S9_S9_S9_S9_S9_S9_S9_EEEEPSB_SM_NS0_5tupleIJNSE_INS8_ISJ_NS7_16discard_iteratorINS7_11use_defaultEEES9_S9_S9_S9_S9_S9_S9_S9_EEEESB_EEENSN_IJSM_SM_EEESB_PlJNSF_9not_fun_tINSF_14equal_to_valueISA_EEEEEEE10hipError_tPvRmT3_T4_T5_T6_T7_T9_mT8_P12ihipStream_tbDpT10_ENKUlT_T0_E_clISt17integral_constantIbLb0EES1J_EEDaS1E_S1F_EUlS1E_E_NS1_11comp_targetILNS1_3genE4ELNS1_11target_archE910ELNS1_3gpuE8ELNS1_3repE0EEENS1_30default_config_static_selectorELNS0_4arch9wavefront6targetE0EEEvT1_
	.globl	_ZN7rocprim17ROCPRIM_400000_NS6detail17trampoline_kernelINS0_14default_configENS1_25partition_config_selectorILNS1_17partition_subalgoE6EN6thrust23THRUST_200600_302600_NS5tupleIddNS7_9null_typeES9_S9_S9_S9_S9_S9_S9_EENS0_10empty_typeEbEEZZNS1_14partition_implILS5_6ELb0ES3_mNS7_12zip_iteratorINS8_INS7_6detail15normal_iteratorINS7_10device_ptrIdEEEESJ_S9_S9_S9_S9_S9_S9_S9_S9_EEEEPSB_SM_NS0_5tupleIJNSE_INS8_ISJ_NS7_16discard_iteratorINS7_11use_defaultEEES9_S9_S9_S9_S9_S9_S9_S9_EEEESB_EEENSN_IJSM_SM_EEESB_PlJNSF_9not_fun_tINSF_14equal_to_valueISA_EEEEEEE10hipError_tPvRmT3_T4_T5_T6_T7_T9_mT8_P12ihipStream_tbDpT10_ENKUlT_T0_E_clISt17integral_constantIbLb0EES1J_EEDaS1E_S1F_EUlS1E_E_NS1_11comp_targetILNS1_3genE4ELNS1_11target_archE910ELNS1_3gpuE8ELNS1_3repE0EEENS1_30default_config_static_selectorELNS0_4arch9wavefront6targetE0EEEvT1_
	.p2align	8
	.type	_ZN7rocprim17ROCPRIM_400000_NS6detail17trampoline_kernelINS0_14default_configENS1_25partition_config_selectorILNS1_17partition_subalgoE6EN6thrust23THRUST_200600_302600_NS5tupleIddNS7_9null_typeES9_S9_S9_S9_S9_S9_S9_EENS0_10empty_typeEbEEZZNS1_14partition_implILS5_6ELb0ES3_mNS7_12zip_iteratorINS8_INS7_6detail15normal_iteratorINS7_10device_ptrIdEEEESJ_S9_S9_S9_S9_S9_S9_S9_S9_EEEEPSB_SM_NS0_5tupleIJNSE_INS8_ISJ_NS7_16discard_iteratorINS7_11use_defaultEEES9_S9_S9_S9_S9_S9_S9_S9_EEEESB_EEENSN_IJSM_SM_EEESB_PlJNSF_9not_fun_tINSF_14equal_to_valueISA_EEEEEEE10hipError_tPvRmT3_T4_T5_T6_T7_T9_mT8_P12ihipStream_tbDpT10_ENKUlT_T0_E_clISt17integral_constantIbLb0EES1J_EEDaS1E_S1F_EUlS1E_E_NS1_11comp_targetILNS1_3genE4ELNS1_11target_archE910ELNS1_3gpuE8ELNS1_3repE0EEENS1_30default_config_static_selectorELNS0_4arch9wavefront6targetE0EEEvT1_,@function
_ZN7rocprim17ROCPRIM_400000_NS6detail17trampoline_kernelINS0_14default_configENS1_25partition_config_selectorILNS1_17partition_subalgoE6EN6thrust23THRUST_200600_302600_NS5tupleIddNS7_9null_typeES9_S9_S9_S9_S9_S9_S9_EENS0_10empty_typeEbEEZZNS1_14partition_implILS5_6ELb0ES3_mNS7_12zip_iteratorINS8_INS7_6detail15normal_iteratorINS7_10device_ptrIdEEEESJ_S9_S9_S9_S9_S9_S9_S9_S9_EEEEPSB_SM_NS0_5tupleIJNSE_INS8_ISJ_NS7_16discard_iteratorINS7_11use_defaultEEES9_S9_S9_S9_S9_S9_S9_S9_EEEESB_EEENSN_IJSM_SM_EEESB_PlJNSF_9not_fun_tINSF_14equal_to_valueISA_EEEEEEE10hipError_tPvRmT3_T4_T5_T6_T7_T9_mT8_P12ihipStream_tbDpT10_ENKUlT_T0_E_clISt17integral_constantIbLb0EES1J_EEDaS1E_S1F_EUlS1E_E_NS1_11comp_targetILNS1_3genE4ELNS1_11target_archE910ELNS1_3gpuE8ELNS1_3repE0EEENS1_30default_config_static_selectorELNS0_4arch9wavefront6targetE0EEEvT1_: ; @_ZN7rocprim17ROCPRIM_400000_NS6detail17trampoline_kernelINS0_14default_configENS1_25partition_config_selectorILNS1_17partition_subalgoE6EN6thrust23THRUST_200600_302600_NS5tupleIddNS7_9null_typeES9_S9_S9_S9_S9_S9_S9_EENS0_10empty_typeEbEEZZNS1_14partition_implILS5_6ELb0ES3_mNS7_12zip_iteratorINS8_INS7_6detail15normal_iteratorINS7_10device_ptrIdEEEESJ_S9_S9_S9_S9_S9_S9_S9_S9_EEEEPSB_SM_NS0_5tupleIJNSE_INS8_ISJ_NS7_16discard_iteratorINS7_11use_defaultEEES9_S9_S9_S9_S9_S9_S9_S9_EEEESB_EEENSN_IJSM_SM_EEESB_PlJNSF_9not_fun_tINSF_14equal_to_valueISA_EEEEEEE10hipError_tPvRmT3_T4_T5_T6_T7_T9_mT8_P12ihipStream_tbDpT10_ENKUlT_T0_E_clISt17integral_constantIbLb0EES1J_EEDaS1E_S1F_EUlS1E_E_NS1_11comp_targetILNS1_3genE4ELNS1_11target_archE910ELNS1_3gpuE8ELNS1_3repE0EEENS1_30default_config_static_selectorELNS0_4arch9wavefront6targetE0EEEvT1_
; %bb.0:
	.section	.rodata,"a",@progbits
	.p2align	6, 0x0
	.amdhsa_kernel _ZN7rocprim17ROCPRIM_400000_NS6detail17trampoline_kernelINS0_14default_configENS1_25partition_config_selectorILNS1_17partition_subalgoE6EN6thrust23THRUST_200600_302600_NS5tupleIddNS7_9null_typeES9_S9_S9_S9_S9_S9_S9_EENS0_10empty_typeEbEEZZNS1_14partition_implILS5_6ELb0ES3_mNS7_12zip_iteratorINS8_INS7_6detail15normal_iteratorINS7_10device_ptrIdEEEESJ_S9_S9_S9_S9_S9_S9_S9_S9_EEEEPSB_SM_NS0_5tupleIJNSE_INS8_ISJ_NS7_16discard_iteratorINS7_11use_defaultEEES9_S9_S9_S9_S9_S9_S9_S9_EEEESB_EEENSN_IJSM_SM_EEESB_PlJNSF_9not_fun_tINSF_14equal_to_valueISA_EEEEEEE10hipError_tPvRmT3_T4_T5_T6_T7_T9_mT8_P12ihipStream_tbDpT10_ENKUlT_T0_E_clISt17integral_constantIbLb0EES1J_EEDaS1E_S1F_EUlS1E_E_NS1_11comp_targetILNS1_3genE4ELNS1_11target_archE910ELNS1_3gpuE8ELNS1_3repE0EEENS1_30default_config_static_selectorELNS0_4arch9wavefront6targetE0EEEvT1_
		.amdhsa_group_segment_fixed_size 0
		.amdhsa_private_segment_fixed_size 0
		.amdhsa_kernarg_size 152
		.amdhsa_user_sgpr_count 2
		.amdhsa_user_sgpr_dispatch_ptr 0
		.amdhsa_user_sgpr_queue_ptr 0
		.amdhsa_user_sgpr_kernarg_segment_ptr 1
		.amdhsa_user_sgpr_dispatch_id 0
		.amdhsa_user_sgpr_private_segment_size 0
		.amdhsa_wavefront_size32 1
		.amdhsa_uses_dynamic_stack 0
		.amdhsa_enable_private_segment 0
		.amdhsa_system_sgpr_workgroup_id_x 1
		.amdhsa_system_sgpr_workgroup_id_y 0
		.amdhsa_system_sgpr_workgroup_id_z 0
		.amdhsa_system_sgpr_workgroup_info 0
		.amdhsa_system_vgpr_workitem_id 0
		.amdhsa_next_free_vgpr 1
		.amdhsa_next_free_sgpr 1
		.amdhsa_reserve_vcc 0
		.amdhsa_float_round_mode_32 0
		.amdhsa_float_round_mode_16_64 0
		.amdhsa_float_denorm_mode_32 3
		.amdhsa_float_denorm_mode_16_64 3
		.amdhsa_fp16_overflow 0
		.amdhsa_workgroup_processor_mode 1
		.amdhsa_memory_ordered 1
		.amdhsa_forward_progress 1
		.amdhsa_inst_pref_size 0
		.amdhsa_round_robin_scheduling 0
		.amdhsa_exception_fp_ieee_invalid_op 0
		.amdhsa_exception_fp_denorm_src 0
		.amdhsa_exception_fp_ieee_div_zero 0
		.amdhsa_exception_fp_ieee_overflow 0
		.amdhsa_exception_fp_ieee_underflow 0
		.amdhsa_exception_fp_ieee_inexact 0
		.amdhsa_exception_int_div_zero 0
	.end_amdhsa_kernel
	.section	.text._ZN7rocprim17ROCPRIM_400000_NS6detail17trampoline_kernelINS0_14default_configENS1_25partition_config_selectorILNS1_17partition_subalgoE6EN6thrust23THRUST_200600_302600_NS5tupleIddNS7_9null_typeES9_S9_S9_S9_S9_S9_S9_EENS0_10empty_typeEbEEZZNS1_14partition_implILS5_6ELb0ES3_mNS7_12zip_iteratorINS8_INS7_6detail15normal_iteratorINS7_10device_ptrIdEEEESJ_S9_S9_S9_S9_S9_S9_S9_S9_EEEEPSB_SM_NS0_5tupleIJNSE_INS8_ISJ_NS7_16discard_iteratorINS7_11use_defaultEEES9_S9_S9_S9_S9_S9_S9_S9_EEEESB_EEENSN_IJSM_SM_EEESB_PlJNSF_9not_fun_tINSF_14equal_to_valueISA_EEEEEEE10hipError_tPvRmT3_T4_T5_T6_T7_T9_mT8_P12ihipStream_tbDpT10_ENKUlT_T0_E_clISt17integral_constantIbLb0EES1J_EEDaS1E_S1F_EUlS1E_E_NS1_11comp_targetILNS1_3genE4ELNS1_11target_archE910ELNS1_3gpuE8ELNS1_3repE0EEENS1_30default_config_static_selectorELNS0_4arch9wavefront6targetE0EEEvT1_,"axG",@progbits,_ZN7rocprim17ROCPRIM_400000_NS6detail17trampoline_kernelINS0_14default_configENS1_25partition_config_selectorILNS1_17partition_subalgoE6EN6thrust23THRUST_200600_302600_NS5tupleIddNS7_9null_typeES9_S9_S9_S9_S9_S9_S9_EENS0_10empty_typeEbEEZZNS1_14partition_implILS5_6ELb0ES3_mNS7_12zip_iteratorINS8_INS7_6detail15normal_iteratorINS7_10device_ptrIdEEEESJ_S9_S9_S9_S9_S9_S9_S9_S9_EEEEPSB_SM_NS0_5tupleIJNSE_INS8_ISJ_NS7_16discard_iteratorINS7_11use_defaultEEES9_S9_S9_S9_S9_S9_S9_S9_EEEESB_EEENSN_IJSM_SM_EEESB_PlJNSF_9not_fun_tINSF_14equal_to_valueISA_EEEEEEE10hipError_tPvRmT3_T4_T5_T6_T7_T9_mT8_P12ihipStream_tbDpT10_ENKUlT_T0_E_clISt17integral_constantIbLb0EES1J_EEDaS1E_S1F_EUlS1E_E_NS1_11comp_targetILNS1_3genE4ELNS1_11target_archE910ELNS1_3gpuE8ELNS1_3repE0EEENS1_30default_config_static_selectorELNS0_4arch9wavefront6targetE0EEEvT1_,comdat
.Lfunc_end1823:
	.size	_ZN7rocprim17ROCPRIM_400000_NS6detail17trampoline_kernelINS0_14default_configENS1_25partition_config_selectorILNS1_17partition_subalgoE6EN6thrust23THRUST_200600_302600_NS5tupleIddNS7_9null_typeES9_S9_S9_S9_S9_S9_S9_EENS0_10empty_typeEbEEZZNS1_14partition_implILS5_6ELb0ES3_mNS7_12zip_iteratorINS8_INS7_6detail15normal_iteratorINS7_10device_ptrIdEEEESJ_S9_S9_S9_S9_S9_S9_S9_S9_EEEEPSB_SM_NS0_5tupleIJNSE_INS8_ISJ_NS7_16discard_iteratorINS7_11use_defaultEEES9_S9_S9_S9_S9_S9_S9_S9_EEEESB_EEENSN_IJSM_SM_EEESB_PlJNSF_9not_fun_tINSF_14equal_to_valueISA_EEEEEEE10hipError_tPvRmT3_T4_T5_T6_T7_T9_mT8_P12ihipStream_tbDpT10_ENKUlT_T0_E_clISt17integral_constantIbLb0EES1J_EEDaS1E_S1F_EUlS1E_E_NS1_11comp_targetILNS1_3genE4ELNS1_11target_archE910ELNS1_3gpuE8ELNS1_3repE0EEENS1_30default_config_static_selectorELNS0_4arch9wavefront6targetE0EEEvT1_, .Lfunc_end1823-_ZN7rocprim17ROCPRIM_400000_NS6detail17trampoline_kernelINS0_14default_configENS1_25partition_config_selectorILNS1_17partition_subalgoE6EN6thrust23THRUST_200600_302600_NS5tupleIddNS7_9null_typeES9_S9_S9_S9_S9_S9_S9_EENS0_10empty_typeEbEEZZNS1_14partition_implILS5_6ELb0ES3_mNS7_12zip_iteratorINS8_INS7_6detail15normal_iteratorINS7_10device_ptrIdEEEESJ_S9_S9_S9_S9_S9_S9_S9_S9_EEEEPSB_SM_NS0_5tupleIJNSE_INS8_ISJ_NS7_16discard_iteratorINS7_11use_defaultEEES9_S9_S9_S9_S9_S9_S9_S9_EEEESB_EEENSN_IJSM_SM_EEESB_PlJNSF_9not_fun_tINSF_14equal_to_valueISA_EEEEEEE10hipError_tPvRmT3_T4_T5_T6_T7_T9_mT8_P12ihipStream_tbDpT10_ENKUlT_T0_E_clISt17integral_constantIbLb0EES1J_EEDaS1E_S1F_EUlS1E_E_NS1_11comp_targetILNS1_3genE4ELNS1_11target_archE910ELNS1_3gpuE8ELNS1_3repE0EEENS1_30default_config_static_selectorELNS0_4arch9wavefront6targetE0EEEvT1_
                                        ; -- End function
	.set _ZN7rocprim17ROCPRIM_400000_NS6detail17trampoline_kernelINS0_14default_configENS1_25partition_config_selectorILNS1_17partition_subalgoE6EN6thrust23THRUST_200600_302600_NS5tupleIddNS7_9null_typeES9_S9_S9_S9_S9_S9_S9_EENS0_10empty_typeEbEEZZNS1_14partition_implILS5_6ELb0ES3_mNS7_12zip_iteratorINS8_INS7_6detail15normal_iteratorINS7_10device_ptrIdEEEESJ_S9_S9_S9_S9_S9_S9_S9_S9_EEEEPSB_SM_NS0_5tupleIJNSE_INS8_ISJ_NS7_16discard_iteratorINS7_11use_defaultEEES9_S9_S9_S9_S9_S9_S9_S9_EEEESB_EEENSN_IJSM_SM_EEESB_PlJNSF_9not_fun_tINSF_14equal_to_valueISA_EEEEEEE10hipError_tPvRmT3_T4_T5_T6_T7_T9_mT8_P12ihipStream_tbDpT10_ENKUlT_T0_E_clISt17integral_constantIbLb0EES1J_EEDaS1E_S1F_EUlS1E_E_NS1_11comp_targetILNS1_3genE4ELNS1_11target_archE910ELNS1_3gpuE8ELNS1_3repE0EEENS1_30default_config_static_selectorELNS0_4arch9wavefront6targetE0EEEvT1_.num_vgpr, 0
	.set _ZN7rocprim17ROCPRIM_400000_NS6detail17trampoline_kernelINS0_14default_configENS1_25partition_config_selectorILNS1_17partition_subalgoE6EN6thrust23THRUST_200600_302600_NS5tupleIddNS7_9null_typeES9_S9_S9_S9_S9_S9_S9_EENS0_10empty_typeEbEEZZNS1_14partition_implILS5_6ELb0ES3_mNS7_12zip_iteratorINS8_INS7_6detail15normal_iteratorINS7_10device_ptrIdEEEESJ_S9_S9_S9_S9_S9_S9_S9_S9_EEEEPSB_SM_NS0_5tupleIJNSE_INS8_ISJ_NS7_16discard_iteratorINS7_11use_defaultEEES9_S9_S9_S9_S9_S9_S9_S9_EEEESB_EEENSN_IJSM_SM_EEESB_PlJNSF_9not_fun_tINSF_14equal_to_valueISA_EEEEEEE10hipError_tPvRmT3_T4_T5_T6_T7_T9_mT8_P12ihipStream_tbDpT10_ENKUlT_T0_E_clISt17integral_constantIbLb0EES1J_EEDaS1E_S1F_EUlS1E_E_NS1_11comp_targetILNS1_3genE4ELNS1_11target_archE910ELNS1_3gpuE8ELNS1_3repE0EEENS1_30default_config_static_selectorELNS0_4arch9wavefront6targetE0EEEvT1_.num_agpr, 0
	.set _ZN7rocprim17ROCPRIM_400000_NS6detail17trampoline_kernelINS0_14default_configENS1_25partition_config_selectorILNS1_17partition_subalgoE6EN6thrust23THRUST_200600_302600_NS5tupleIddNS7_9null_typeES9_S9_S9_S9_S9_S9_S9_EENS0_10empty_typeEbEEZZNS1_14partition_implILS5_6ELb0ES3_mNS7_12zip_iteratorINS8_INS7_6detail15normal_iteratorINS7_10device_ptrIdEEEESJ_S9_S9_S9_S9_S9_S9_S9_S9_EEEEPSB_SM_NS0_5tupleIJNSE_INS8_ISJ_NS7_16discard_iteratorINS7_11use_defaultEEES9_S9_S9_S9_S9_S9_S9_S9_EEEESB_EEENSN_IJSM_SM_EEESB_PlJNSF_9not_fun_tINSF_14equal_to_valueISA_EEEEEEE10hipError_tPvRmT3_T4_T5_T6_T7_T9_mT8_P12ihipStream_tbDpT10_ENKUlT_T0_E_clISt17integral_constantIbLb0EES1J_EEDaS1E_S1F_EUlS1E_E_NS1_11comp_targetILNS1_3genE4ELNS1_11target_archE910ELNS1_3gpuE8ELNS1_3repE0EEENS1_30default_config_static_selectorELNS0_4arch9wavefront6targetE0EEEvT1_.numbered_sgpr, 0
	.set _ZN7rocprim17ROCPRIM_400000_NS6detail17trampoline_kernelINS0_14default_configENS1_25partition_config_selectorILNS1_17partition_subalgoE6EN6thrust23THRUST_200600_302600_NS5tupleIddNS7_9null_typeES9_S9_S9_S9_S9_S9_S9_EENS0_10empty_typeEbEEZZNS1_14partition_implILS5_6ELb0ES3_mNS7_12zip_iteratorINS8_INS7_6detail15normal_iteratorINS7_10device_ptrIdEEEESJ_S9_S9_S9_S9_S9_S9_S9_S9_EEEEPSB_SM_NS0_5tupleIJNSE_INS8_ISJ_NS7_16discard_iteratorINS7_11use_defaultEEES9_S9_S9_S9_S9_S9_S9_S9_EEEESB_EEENSN_IJSM_SM_EEESB_PlJNSF_9not_fun_tINSF_14equal_to_valueISA_EEEEEEE10hipError_tPvRmT3_T4_T5_T6_T7_T9_mT8_P12ihipStream_tbDpT10_ENKUlT_T0_E_clISt17integral_constantIbLb0EES1J_EEDaS1E_S1F_EUlS1E_E_NS1_11comp_targetILNS1_3genE4ELNS1_11target_archE910ELNS1_3gpuE8ELNS1_3repE0EEENS1_30default_config_static_selectorELNS0_4arch9wavefront6targetE0EEEvT1_.num_named_barrier, 0
	.set _ZN7rocprim17ROCPRIM_400000_NS6detail17trampoline_kernelINS0_14default_configENS1_25partition_config_selectorILNS1_17partition_subalgoE6EN6thrust23THRUST_200600_302600_NS5tupleIddNS7_9null_typeES9_S9_S9_S9_S9_S9_S9_EENS0_10empty_typeEbEEZZNS1_14partition_implILS5_6ELb0ES3_mNS7_12zip_iteratorINS8_INS7_6detail15normal_iteratorINS7_10device_ptrIdEEEESJ_S9_S9_S9_S9_S9_S9_S9_S9_EEEEPSB_SM_NS0_5tupleIJNSE_INS8_ISJ_NS7_16discard_iteratorINS7_11use_defaultEEES9_S9_S9_S9_S9_S9_S9_S9_EEEESB_EEENSN_IJSM_SM_EEESB_PlJNSF_9not_fun_tINSF_14equal_to_valueISA_EEEEEEE10hipError_tPvRmT3_T4_T5_T6_T7_T9_mT8_P12ihipStream_tbDpT10_ENKUlT_T0_E_clISt17integral_constantIbLb0EES1J_EEDaS1E_S1F_EUlS1E_E_NS1_11comp_targetILNS1_3genE4ELNS1_11target_archE910ELNS1_3gpuE8ELNS1_3repE0EEENS1_30default_config_static_selectorELNS0_4arch9wavefront6targetE0EEEvT1_.private_seg_size, 0
	.set _ZN7rocprim17ROCPRIM_400000_NS6detail17trampoline_kernelINS0_14default_configENS1_25partition_config_selectorILNS1_17partition_subalgoE6EN6thrust23THRUST_200600_302600_NS5tupleIddNS7_9null_typeES9_S9_S9_S9_S9_S9_S9_EENS0_10empty_typeEbEEZZNS1_14partition_implILS5_6ELb0ES3_mNS7_12zip_iteratorINS8_INS7_6detail15normal_iteratorINS7_10device_ptrIdEEEESJ_S9_S9_S9_S9_S9_S9_S9_S9_EEEEPSB_SM_NS0_5tupleIJNSE_INS8_ISJ_NS7_16discard_iteratorINS7_11use_defaultEEES9_S9_S9_S9_S9_S9_S9_S9_EEEESB_EEENSN_IJSM_SM_EEESB_PlJNSF_9not_fun_tINSF_14equal_to_valueISA_EEEEEEE10hipError_tPvRmT3_T4_T5_T6_T7_T9_mT8_P12ihipStream_tbDpT10_ENKUlT_T0_E_clISt17integral_constantIbLb0EES1J_EEDaS1E_S1F_EUlS1E_E_NS1_11comp_targetILNS1_3genE4ELNS1_11target_archE910ELNS1_3gpuE8ELNS1_3repE0EEENS1_30default_config_static_selectorELNS0_4arch9wavefront6targetE0EEEvT1_.uses_vcc, 0
	.set _ZN7rocprim17ROCPRIM_400000_NS6detail17trampoline_kernelINS0_14default_configENS1_25partition_config_selectorILNS1_17partition_subalgoE6EN6thrust23THRUST_200600_302600_NS5tupleIddNS7_9null_typeES9_S9_S9_S9_S9_S9_S9_EENS0_10empty_typeEbEEZZNS1_14partition_implILS5_6ELb0ES3_mNS7_12zip_iteratorINS8_INS7_6detail15normal_iteratorINS7_10device_ptrIdEEEESJ_S9_S9_S9_S9_S9_S9_S9_S9_EEEEPSB_SM_NS0_5tupleIJNSE_INS8_ISJ_NS7_16discard_iteratorINS7_11use_defaultEEES9_S9_S9_S9_S9_S9_S9_S9_EEEESB_EEENSN_IJSM_SM_EEESB_PlJNSF_9not_fun_tINSF_14equal_to_valueISA_EEEEEEE10hipError_tPvRmT3_T4_T5_T6_T7_T9_mT8_P12ihipStream_tbDpT10_ENKUlT_T0_E_clISt17integral_constantIbLb0EES1J_EEDaS1E_S1F_EUlS1E_E_NS1_11comp_targetILNS1_3genE4ELNS1_11target_archE910ELNS1_3gpuE8ELNS1_3repE0EEENS1_30default_config_static_selectorELNS0_4arch9wavefront6targetE0EEEvT1_.uses_flat_scratch, 0
	.set _ZN7rocprim17ROCPRIM_400000_NS6detail17trampoline_kernelINS0_14default_configENS1_25partition_config_selectorILNS1_17partition_subalgoE6EN6thrust23THRUST_200600_302600_NS5tupleIddNS7_9null_typeES9_S9_S9_S9_S9_S9_S9_EENS0_10empty_typeEbEEZZNS1_14partition_implILS5_6ELb0ES3_mNS7_12zip_iteratorINS8_INS7_6detail15normal_iteratorINS7_10device_ptrIdEEEESJ_S9_S9_S9_S9_S9_S9_S9_S9_EEEEPSB_SM_NS0_5tupleIJNSE_INS8_ISJ_NS7_16discard_iteratorINS7_11use_defaultEEES9_S9_S9_S9_S9_S9_S9_S9_EEEESB_EEENSN_IJSM_SM_EEESB_PlJNSF_9not_fun_tINSF_14equal_to_valueISA_EEEEEEE10hipError_tPvRmT3_T4_T5_T6_T7_T9_mT8_P12ihipStream_tbDpT10_ENKUlT_T0_E_clISt17integral_constantIbLb0EES1J_EEDaS1E_S1F_EUlS1E_E_NS1_11comp_targetILNS1_3genE4ELNS1_11target_archE910ELNS1_3gpuE8ELNS1_3repE0EEENS1_30default_config_static_selectorELNS0_4arch9wavefront6targetE0EEEvT1_.has_dyn_sized_stack, 0
	.set _ZN7rocprim17ROCPRIM_400000_NS6detail17trampoline_kernelINS0_14default_configENS1_25partition_config_selectorILNS1_17partition_subalgoE6EN6thrust23THRUST_200600_302600_NS5tupleIddNS7_9null_typeES9_S9_S9_S9_S9_S9_S9_EENS0_10empty_typeEbEEZZNS1_14partition_implILS5_6ELb0ES3_mNS7_12zip_iteratorINS8_INS7_6detail15normal_iteratorINS7_10device_ptrIdEEEESJ_S9_S9_S9_S9_S9_S9_S9_S9_EEEEPSB_SM_NS0_5tupleIJNSE_INS8_ISJ_NS7_16discard_iteratorINS7_11use_defaultEEES9_S9_S9_S9_S9_S9_S9_S9_EEEESB_EEENSN_IJSM_SM_EEESB_PlJNSF_9not_fun_tINSF_14equal_to_valueISA_EEEEEEE10hipError_tPvRmT3_T4_T5_T6_T7_T9_mT8_P12ihipStream_tbDpT10_ENKUlT_T0_E_clISt17integral_constantIbLb0EES1J_EEDaS1E_S1F_EUlS1E_E_NS1_11comp_targetILNS1_3genE4ELNS1_11target_archE910ELNS1_3gpuE8ELNS1_3repE0EEENS1_30default_config_static_selectorELNS0_4arch9wavefront6targetE0EEEvT1_.has_recursion, 0
	.set _ZN7rocprim17ROCPRIM_400000_NS6detail17trampoline_kernelINS0_14default_configENS1_25partition_config_selectorILNS1_17partition_subalgoE6EN6thrust23THRUST_200600_302600_NS5tupleIddNS7_9null_typeES9_S9_S9_S9_S9_S9_S9_EENS0_10empty_typeEbEEZZNS1_14partition_implILS5_6ELb0ES3_mNS7_12zip_iteratorINS8_INS7_6detail15normal_iteratorINS7_10device_ptrIdEEEESJ_S9_S9_S9_S9_S9_S9_S9_S9_EEEEPSB_SM_NS0_5tupleIJNSE_INS8_ISJ_NS7_16discard_iteratorINS7_11use_defaultEEES9_S9_S9_S9_S9_S9_S9_S9_EEEESB_EEENSN_IJSM_SM_EEESB_PlJNSF_9not_fun_tINSF_14equal_to_valueISA_EEEEEEE10hipError_tPvRmT3_T4_T5_T6_T7_T9_mT8_P12ihipStream_tbDpT10_ENKUlT_T0_E_clISt17integral_constantIbLb0EES1J_EEDaS1E_S1F_EUlS1E_E_NS1_11comp_targetILNS1_3genE4ELNS1_11target_archE910ELNS1_3gpuE8ELNS1_3repE0EEENS1_30default_config_static_selectorELNS0_4arch9wavefront6targetE0EEEvT1_.has_indirect_call, 0
	.section	.AMDGPU.csdata,"",@progbits
; Kernel info:
; codeLenInByte = 0
; TotalNumSgprs: 0
; NumVgprs: 0
; ScratchSize: 0
; MemoryBound: 0
; FloatMode: 240
; IeeeMode: 1
; LDSByteSize: 0 bytes/workgroup (compile time only)
; SGPRBlocks: 0
; VGPRBlocks: 0
; NumSGPRsForWavesPerEU: 1
; NumVGPRsForWavesPerEU: 1
; Occupancy: 16
; WaveLimiterHint : 0
; COMPUTE_PGM_RSRC2:SCRATCH_EN: 0
; COMPUTE_PGM_RSRC2:USER_SGPR: 2
; COMPUTE_PGM_RSRC2:TRAP_HANDLER: 0
; COMPUTE_PGM_RSRC2:TGID_X_EN: 1
; COMPUTE_PGM_RSRC2:TGID_Y_EN: 0
; COMPUTE_PGM_RSRC2:TGID_Z_EN: 0
; COMPUTE_PGM_RSRC2:TIDIG_COMP_CNT: 0
	.section	.text._ZN7rocprim17ROCPRIM_400000_NS6detail17trampoline_kernelINS0_14default_configENS1_25partition_config_selectorILNS1_17partition_subalgoE6EN6thrust23THRUST_200600_302600_NS5tupleIddNS7_9null_typeES9_S9_S9_S9_S9_S9_S9_EENS0_10empty_typeEbEEZZNS1_14partition_implILS5_6ELb0ES3_mNS7_12zip_iteratorINS8_INS7_6detail15normal_iteratorINS7_10device_ptrIdEEEESJ_S9_S9_S9_S9_S9_S9_S9_S9_EEEEPSB_SM_NS0_5tupleIJNSE_INS8_ISJ_NS7_16discard_iteratorINS7_11use_defaultEEES9_S9_S9_S9_S9_S9_S9_S9_EEEESB_EEENSN_IJSM_SM_EEESB_PlJNSF_9not_fun_tINSF_14equal_to_valueISA_EEEEEEE10hipError_tPvRmT3_T4_T5_T6_T7_T9_mT8_P12ihipStream_tbDpT10_ENKUlT_T0_E_clISt17integral_constantIbLb0EES1J_EEDaS1E_S1F_EUlS1E_E_NS1_11comp_targetILNS1_3genE3ELNS1_11target_archE908ELNS1_3gpuE7ELNS1_3repE0EEENS1_30default_config_static_selectorELNS0_4arch9wavefront6targetE0EEEvT1_,"axG",@progbits,_ZN7rocprim17ROCPRIM_400000_NS6detail17trampoline_kernelINS0_14default_configENS1_25partition_config_selectorILNS1_17partition_subalgoE6EN6thrust23THRUST_200600_302600_NS5tupleIddNS7_9null_typeES9_S9_S9_S9_S9_S9_S9_EENS0_10empty_typeEbEEZZNS1_14partition_implILS5_6ELb0ES3_mNS7_12zip_iteratorINS8_INS7_6detail15normal_iteratorINS7_10device_ptrIdEEEESJ_S9_S9_S9_S9_S9_S9_S9_S9_EEEEPSB_SM_NS0_5tupleIJNSE_INS8_ISJ_NS7_16discard_iteratorINS7_11use_defaultEEES9_S9_S9_S9_S9_S9_S9_S9_EEEESB_EEENSN_IJSM_SM_EEESB_PlJNSF_9not_fun_tINSF_14equal_to_valueISA_EEEEEEE10hipError_tPvRmT3_T4_T5_T6_T7_T9_mT8_P12ihipStream_tbDpT10_ENKUlT_T0_E_clISt17integral_constantIbLb0EES1J_EEDaS1E_S1F_EUlS1E_E_NS1_11comp_targetILNS1_3genE3ELNS1_11target_archE908ELNS1_3gpuE7ELNS1_3repE0EEENS1_30default_config_static_selectorELNS0_4arch9wavefront6targetE0EEEvT1_,comdat
	.protected	_ZN7rocprim17ROCPRIM_400000_NS6detail17trampoline_kernelINS0_14default_configENS1_25partition_config_selectorILNS1_17partition_subalgoE6EN6thrust23THRUST_200600_302600_NS5tupleIddNS7_9null_typeES9_S9_S9_S9_S9_S9_S9_EENS0_10empty_typeEbEEZZNS1_14partition_implILS5_6ELb0ES3_mNS7_12zip_iteratorINS8_INS7_6detail15normal_iteratorINS7_10device_ptrIdEEEESJ_S9_S9_S9_S9_S9_S9_S9_S9_EEEEPSB_SM_NS0_5tupleIJNSE_INS8_ISJ_NS7_16discard_iteratorINS7_11use_defaultEEES9_S9_S9_S9_S9_S9_S9_S9_EEEESB_EEENSN_IJSM_SM_EEESB_PlJNSF_9not_fun_tINSF_14equal_to_valueISA_EEEEEEE10hipError_tPvRmT3_T4_T5_T6_T7_T9_mT8_P12ihipStream_tbDpT10_ENKUlT_T0_E_clISt17integral_constantIbLb0EES1J_EEDaS1E_S1F_EUlS1E_E_NS1_11comp_targetILNS1_3genE3ELNS1_11target_archE908ELNS1_3gpuE7ELNS1_3repE0EEENS1_30default_config_static_selectorELNS0_4arch9wavefront6targetE0EEEvT1_ ; -- Begin function _ZN7rocprim17ROCPRIM_400000_NS6detail17trampoline_kernelINS0_14default_configENS1_25partition_config_selectorILNS1_17partition_subalgoE6EN6thrust23THRUST_200600_302600_NS5tupleIddNS7_9null_typeES9_S9_S9_S9_S9_S9_S9_EENS0_10empty_typeEbEEZZNS1_14partition_implILS5_6ELb0ES3_mNS7_12zip_iteratorINS8_INS7_6detail15normal_iteratorINS7_10device_ptrIdEEEESJ_S9_S9_S9_S9_S9_S9_S9_S9_EEEEPSB_SM_NS0_5tupleIJNSE_INS8_ISJ_NS7_16discard_iteratorINS7_11use_defaultEEES9_S9_S9_S9_S9_S9_S9_S9_EEEESB_EEENSN_IJSM_SM_EEESB_PlJNSF_9not_fun_tINSF_14equal_to_valueISA_EEEEEEE10hipError_tPvRmT3_T4_T5_T6_T7_T9_mT8_P12ihipStream_tbDpT10_ENKUlT_T0_E_clISt17integral_constantIbLb0EES1J_EEDaS1E_S1F_EUlS1E_E_NS1_11comp_targetILNS1_3genE3ELNS1_11target_archE908ELNS1_3gpuE7ELNS1_3repE0EEENS1_30default_config_static_selectorELNS0_4arch9wavefront6targetE0EEEvT1_
	.globl	_ZN7rocprim17ROCPRIM_400000_NS6detail17trampoline_kernelINS0_14default_configENS1_25partition_config_selectorILNS1_17partition_subalgoE6EN6thrust23THRUST_200600_302600_NS5tupleIddNS7_9null_typeES9_S9_S9_S9_S9_S9_S9_EENS0_10empty_typeEbEEZZNS1_14partition_implILS5_6ELb0ES3_mNS7_12zip_iteratorINS8_INS7_6detail15normal_iteratorINS7_10device_ptrIdEEEESJ_S9_S9_S9_S9_S9_S9_S9_S9_EEEEPSB_SM_NS0_5tupleIJNSE_INS8_ISJ_NS7_16discard_iteratorINS7_11use_defaultEEES9_S9_S9_S9_S9_S9_S9_S9_EEEESB_EEENSN_IJSM_SM_EEESB_PlJNSF_9not_fun_tINSF_14equal_to_valueISA_EEEEEEE10hipError_tPvRmT3_T4_T5_T6_T7_T9_mT8_P12ihipStream_tbDpT10_ENKUlT_T0_E_clISt17integral_constantIbLb0EES1J_EEDaS1E_S1F_EUlS1E_E_NS1_11comp_targetILNS1_3genE3ELNS1_11target_archE908ELNS1_3gpuE7ELNS1_3repE0EEENS1_30default_config_static_selectorELNS0_4arch9wavefront6targetE0EEEvT1_
	.p2align	8
	.type	_ZN7rocprim17ROCPRIM_400000_NS6detail17trampoline_kernelINS0_14default_configENS1_25partition_config_selectorILNS1_17partition_subalgoE6EN6thrust23THRUST_200600_302600_NS5tupleIddNS7_9null_typeES9_S9_S9_S9_S9_S9_S9_EENS0_10empty_typeEbEEZZNS1_14partition_implILS5_6ELb0ES3_mNS7_12zip_iteratorINS8_INS7_6detail15normal_iteratorINS7_10device_ptrIdEEEESJ_S9_S9_S9_S9_S9_S9_S9_S9_EEEEPSB_SM_NS0_5tupleIJNSE_INS8_ISJ_NS7_16discard_iteratorINS7_11use_defaultEEES9_S9_S9_S9_S9_S9_S9_S9_EEEESB_EEENSN_IJSM_SM_EEESB_PlJNSF_9not_fun_tINSF_14equal_to_valueISA_EEEEEEE10hipError_tPvRmT3_T4_T5_T6_T7_T9_mT8_P12ihipStream_tbDpT10_ENKUlT_T0_E_clISt17integral_constantIbLb0EES1J_EEDaS1E_S1F_EUlS1E_E_NS1_11comp_targetILNS1_3genE3ELNS1_11target_archE908ELNS1_3gpuE7ELNS1_3repE0EEENS1_30default_config_static_selectorELNS0_4arch9wavefront6targetE0EEEvT1_,@function
_ZN7rocprim17ROCPRIM_400000_NS6detail17trampoline_kernelINS0_14default_configENS1_25partition_config_selectorILNS1_17partition_subalgoE6EN6thrust23THRUST_200600_302600_NS5tupleIddNS7_9null_typeES9_S9_S9_S9_S9_S9_S9_EENS0_10empty_typeEbEEZZNS1_14partition_implILS5_6ELb0ES3_mNS7_12zip_iteratorINS8_INS7_6detail15normal_iteratorINS7_10device_ptrIdEEEESJ_S9_S9_S9_S9_S9_S9_S9_S9_EEEEPSB_SM_NS0_5tupleIJNSE_INS8_ISJ_NS7_16discard_iteratorINS7_11use_defaultEEES9_S9_S9_S9_S9_S9_S9_S9_EEEESB_EEENSN_IJSM_SM_EEESB_PlJNSF_9not_fun_tINSF_14equal_to_valueISA_EEEEEEE10hipError_tPvRmT3_T4_T5_T6_T7_T9_mT8_P12ihipStream_tbDpT10_ENKUlT_T0_E_clISt17integral_constantIbLb0EES1J_EEDaS1E_S1F_EUlS1E_E_NS1_11comp_targetILNS1_3genE3ELNS1_11target_archE908ELNS1_3gpuE7ELNS1_3repE0EEENS1_30default_config_static_selectorELNS0_4arch9wavefront6targetE0EEEvT1_: ; @_ZN7rocprim17ROCPRIM_400000_NS6detail17trampoline_kernelINS0_14default_configENS1_25partition_config_selectorILNS1_17partition_subalgoE6EN6thrust23THRUST_200600_302600_NS5tupleIddNS7_9null_typeES9_S9_S9_S9_S9_S9_S9_EENS0_10empty_typeEbEEZZNS1_14partition_implILS5_6ELb0ES3_mNS7_12zip_iteratorINS8_INS7_6detail15normal_iteratorINS7_10device_ptrIdEEEESJ_S9_S9_S9_S9_S9_S9_S9_S9_EEEEPSB_SM_NS0_5tupleIJNSE_INS8_ISJ_NS7_16discard_iteratorINS7_11use_defaultEEES9_S9_S9_S9_S9_S9_S9_S9_EEEESB_EEENSN_IJSM_SM_EEESB_PlJNSF_9not_fun_tINSF_14equal_to_valueISA_EEEEEEE10hipError_tPvRmT3_T4_T5_T6_T7_T9_mT8_P12ihipStream_tbDpT10_ENKUlT_T0_E_clISt17integral_constantIbLb0EES1J_EEDaS1E_S1F_EUlS1E_E_NS1_11comp_targetILNS1_3genE3ELNS1_11target_archE908ELNS1_3gpuE7ELNS1_3repE0EEENS1_30default_config_static_selectorELNS0_4arch9wavefront6targetE0EEEvT1_
; %bb.0:
	.section	.rodata,"a",@progbits
	.p2align	6, 0x0
	.amdhsa_kernel _ZN7rocprim17ROCPRIM_400000_NS6detail17trampoline_kernelINS0_14default_configENS1_25partition_config_selectorILNS1_17partition_subalgoE6EN6thrust23THRUST_200600_302600_NS5tupleIddNS7_9null_typeES9_S9_S9_S9_S9_S9_S9_EENS0_10empty_typeEbEEZZNS1_14partition_implILS5_6ELb0ES3_mNS7_12zip_iteratorINS8_INS7_6detail15normal_iteratorINS7_10device_ptrIdEEEESJ_S9_S9_S9_S9_S9_S9_S9_S9_EEEEPSB_SM_NS0_5tupleIJNSE_INS8_ISJ_NS7_16discard_iteratorINS7_11use_defaultEEES9_S9_S9_S9_S9_S9_S9_S9_EEEESB_EEENSN_IJSM_SM_EEESB_PlJNSF_9not_fun_tINSF_14equal_to_valueISA_EEEEEEE10hipError_tPvRmT3_T4_T5_T6_T7_T9_mT8_P12ihipStream_tbDpT10_ENKUlT_T0_E_clISt17integral_constantIbLb0EES1J_EEDaS1E_S1F_EUlS1E_E_NS1_11comp_targetILNS1_3genE3ELNS1_11target_archE908ELNS1_3gpuE7ELNS1_3repE0EEENS1_30default_config_static_selectorELNS0_4arch9wavefront6targetE0EEEvT1_
		.amdhsa_group_segment_fixed_size 0
		.amdhsa_private_segment_fixed_size 0
		.amdhsa_kernarg_size 152
		.amdhsa_user_sgpr_count 2
		.amdhsa_user_sgpr_dispatch_ptr 0
		.amdhsa_user_sgpr_queue_ptr 0
		.amdhsa_user_sgpr_kernarg_segment_ptr 1
		.amdhsa_user_sgpr_dispatch_id 0
		.amdhsa_user_sgpr_private_segment_size 0
		.amdhsa_wavefront_size32 1
		.amdhsa_uses_dynamic_stack 0
		.amdhsa_enable_private_segment 0
		.amdhsa_system_sgpr_workgroup_id_x 1
		.amdhsa_system_sgpr_workgroup_id_y 0
		.amdhsa_system_sgpr_workgroup_id_z 0
		.amdhsa_system_sgpr_workgroup_info 0
		.amdhsa_system_vgpr_workitem_id 0
		.amdhsa_next_free_vgpr 1
		.amdhsa_next_free_sgpr 1
		.amdhsa_reserve_vcc 0
		.amdhsa_float_round_mode_32 0
		.amdhsa_float_round_mode_16_64 0
		.amdhsa_float_denorm_mode_32 3
		.amdhsa_float_denorm_mode_16_64 3
		.amdhsa_fp16_overflow 0
		.amdhsa_workgroup_processor_mode 1
		.amdhsa_memory_ordered 1
		.amdhsa_forward_progress 1
		.amdhsa_inst_pref_size 0
		.amdhsa_round_robin_scheduling 0
		.amdhsa_exception_fp_ieee_invalid_op 0
		.amdhsa_exception_fp_denorm_src 0
		.amdhsa_exception_fp_ieee_div_zero 0
		.amdhsa_exception_fp_ieee_overflow 0
		.amdhsa_exception_fp_ieee_underflow 0
		.amdhsa_exception_fp_ieee_inexact 0
		.amdhsa_exception_int_div_zero 0
	.end_amdhsa_kernel
	.section	.text._ZN7rocprim17ROCPRIM_400000_NS6detail17trampoline_kernelINS0_14default_configENS1_25partition_config_selectorILNS1_17partition_subalgoE6EN6thrust23THRUST_200600_302600_NS5tupleIddNS7_9null_typeES9_S9_S9_S9_S9_S9_S9_EENS0_10empty_typeEbEEZZNS1_14partition_implILS5_6ELb0ES3_mNS7_12zip_iteratorINS8_INS7_6detail15normal_iteratorINS7_10device_ptrIdEEEESJ_S9_S9_S9_S9_S9_S9_S9_S9_EEEEPSB_SM_NS0_5tupleIJNSE_INS8_ISJ_NS7_16discard_iteratorINS7_11use_defaultEEES9_S9_S9_S9_S9_S9_S9_S9_EEEESB_EEENSN_IJSM_SM_EEESB_PlJNSF_9not_fun_tINSF_14equal_to_valueISA_EEEEEEE10hipError_tPvRmT3_T4_T5_T6_T7_T9_mT8_P12ihipStream_tbDpT10_ENKUlT_T0_E_clISt17integral_constantIbLb0EES1J_EEDaS1E_S1F_EUlS1E_E_NS1_11comp_targetILNS1_3genE3ELNS1_11target_archE908ELNS1_3gpuE7ELNS1_3repE0EEENS1_30default_config_static_selectorELNS0_4arch9wavefront6targetE0EEEvT1_,"axG",@progbits,_ZN7rocprim17ROCPRIM_400000_NS6detail17trampoline_kernelINS0_14default_configENS1_25partition_config_selectorILNS1_17partition_subalgoE6EN6thrust23THRUST_200600_302600_NS5tupleIddNS7_9null_typeES9_S9_S9_S9_S9_S9_S9_EENS0_10empty_typeEbEEZZNS1_14partition_implILS5_6ELb0ES3_mNS7_12zip_iteratorINS8_INS7_6detail15normal_iteratorINS7_10device_ptrIdEEEESJ_S9_S9_S9_S9_S9_S9_S9_S9_EEEEPSB_SM_NS0_5tupleIJNSE_INS8_ISJ_NS7_16discard_iteratorINS7_11use_defaultEEES9_S9_S9_S9_S9_S9_S9_S9_EEEESB_EEENSN_IJSM_SM_EEESB_PlJNSF_9not_fun_tINSF_14equal_to_valueISA_EEEEEEE10hipError_tPvRmT3_T4_T5_T6_T7_T9_mT8_P12ihipStream_tbDpT10_ENKUlT_T0_E_clISt17integral_constantIbLb0EES1J_EEDaS1E_S1F_EUlS1E_E_NS1_11comp_targetILNS1_3genE3ELNS1_11target_archE908ELNS1_3gpuE7ELNS1_3repE0EEENS1_30default_config_static_selectorELNS0_4arch9wavefront6targetE0EEEvT1_,comdat
.Lfunc_end1824:
	.size	_ZN7rocprim17ROCPRIM_400000_NS6detail17trampoline_kernelINS0_14default_configENS1_25partition_config_selectorILNS1_17partition_subalgoE6EN6thrust23THRUST_200600_302600_NS5tupleIddNS7_9null_typeES9_S9_S9_S9_S9_S9_S9_EENS0_10empty_typeEbEEZZNS1_14partition_implILS5_6ELb0ES3_mNS7_12zip_iteratorINS8_INS7_6detail15normal_iteratorINS7_10device_ptrIdEEEESJ_S9_S9_S9_S9_S9_S9_S9_S9_EEEEPSB_SM_NS0_5tupleIJNSE_INS8_ISJ_NS7_16discard_iteratorINS7_11use_defaultEEES9_S9_S9_S9_S9_S9_S9_S9_EEEESB_EEENSN_IJSM_SM_EEESB_PlJNSF_9not_fun_tINSF_14equal_to_valueISA_EEEEEEE10hipError_tPvRmT3_T4_T5_T6_T7_T9_mT8_P12ihipStream_tbDpT10_ENKUlT_T0_E_clISt17integral_constantIbLb0EES1J_EEDaS1E_S1F_EUlS1E_E_NS1_11comp_targetILNS1_3genE3ELNS1_11target_archE908ELNS1_3gpuE7ELNS1_3repE0EEENS1_30default_config_static_selectorELNS0_4arch9wavefront6targetE0EEEvT1_, .Lfunc_end1824-_ZN7rocprim17ROCPRIM_400000_NS6detail17trampoline_kernelINS0_14default_configENS1_25partition_config_selectorILNS1_17partition_subalgoE6EN6thrust23THRUST_200600_302600_NS5tupleIddNS7_9null_typeES9_S9_S9_S9_S9_S9_S9_EENS0_10empty_typeEbEEZZNS1_14partition_implILS5_6ELb0ES3_mNS7_12zip_iteratorINS8_INS7_6detail15normal_iteratorINS7_10device_ptrIdEEEESJ_S9_S9_S9_S9_S9_S9_S9_S9_EEEEPSB_SM_NS0_5tupleIJNSE_INS8_ISJ_NS7_16discard_iteratorINS7_11use_defaultEEES9_S9_S9_S9_S9_S9_S9_S9_EEEESB_EEENSN_IJSM_SM_EEESB_PlJNSF_9not_fun_tINSF_14equal_to_valueISA_EEEEEEE10hipError_tPvRmT3_T4_T5_T6_T7_T9_mT8_P12ihipStream_tbDpT10_ENKUlT_T0_E_clISt17integral_constantIbLb0EES1J_EEDaS1E_S1F_EUlS1E_E_NS1_11comp_targetILNS1_3genE3ELNS1_11target_archE908ELNS1_3gpuE7ELNS1_3repE0EEENS1_30default_config_static_selectorELNS0_4arch9wavefront6targetE0EEEvT1_
                                        ; -- End function
	.set _ZN7rocprim17ROCPRIM_400000_NS6detail17trampoline_kernelINS0_14default_configENS1_25partition_config_selectorILNS1_17partition_subalgoE6EN6thrust23THRUST_200600_302600_NS5tupleIddNS7_9null_typeES9_S9_S9_S9_S9_S9_S9_EENS0_10empty_typeEbEEZZNS1_14partition_implILS5_6ELb0ES3_mNS7_12zip_iteratorINS8_INS7_6detail15normal_iteratorINS7_10device_ptrIdEEEESJ_S9_S9_S9_S9_S9_S9_S9_S9_EEEEPSB_SM_NS0_5tupleIJNSE_INS8_ISJ_NS7_16discard_iteratorINS7_11use_defaultEEES9_S9_S9_S9_S9_S9_S9_S9_EEEESB_EEENSN_IJSM_SM_EEESB_PlJNSF_9not_fun_tINSF_14equal_to_valueISA_EEEEEEE10hipError_tPvRmT3_T4_T5_T6_T7_T9_mT8_P12ihipStream_tbDpT10_ENKUlT_T0_E_clISt17integral_constantIbLb0EES1J_EEDaS1E_S1F_EUlS1E_E_NS1_11comp_targetILNS1_3genE3ELNS1_11target_archE908ELNS1_3gpuE7ELNS1_3repE0EEENS1_30default_config_static_selectorELNS0_4arch9wavefront6targetE0EEEvT1_.num_vgpr, 0
	.set _ZN7rocprim17ROCPRIM_400000_NS6detail17trampoline_kernelINS0_14default_configENS1_25partition_config_selectorILNS1_17partition_subalgoE6EN6thrust23THRUST_200600_302600_NS5tupleIddNS7_9null_typeES9_S9_S9_S9_S9_S9_S9_EENS0_10empty_typeEbEEZZNS1_14partition_implILS5_6ELb0ES3_mNS7_12zip_iteratorINS8_INS7_6detail15normal_iteratorINS7_10device_ptrIdEEEESJ_S9_S9_S9_S9_S9_S9_S9_S9_EEEEPSB_SM_NS0_5tupleIJNSE_INS8_ISJ_NS7_16discard_iteratorINS7_11use_defaultEEES9_S9_S9_S9_S9_S9_S9_S9_EEEESB_EEENSN_IJSM_SM_EEESB_PlJNSF_9not_fun_tINSF_14equal_to_valueISA_EEEEEEE10hipError_tPvRmT3_T4_T5_T6_T7_T9_mT8_P12ihipStream_tbDpT10_ENKUlT_T0_E_clISt17integral_constantIbLb0EES1J_EEDaS1E_S1F_EUlS1E_E_NS1_11comp_targetILNS1_3genE3ELNS1_11target_archE908ELNS1_3gpuE7ELNS1_3repE0EEENS1_30default_config_static_selectorELNS0_4arch9wavefront6targetE0EEEvT1_.num_agpr, 0
	.set _ZN7rocprim17ROCPRIM_400000_NS6detail17trampoline_kernelINS0_14default_configENS1_25partition_config_selectorILNS1_17partition_subalgoE6EN6thrust23THRUST_200600_302600_NS5tupleIddNS7_9null_typeES9_S9_S9_S9_S9_S9_S9_EENS0_10empty_typeEbEEZZNS1_14partition_implILS5_6ELb0ES3_mNS7_12zip_iteratorINS8_INS7_6detail15normal_iteratorINS7_10device_ptrIdEEEESJ_S9_S9_S9_S9_S9_S9_S9_S9_EEEEPSB_SM_NS0_5tupleIJNSE_INS8_ISJ_NS7_16discard_iteratorINS7_11use_defaultEEES9_S9_S9_S9_S9_S9_S9_S9_EEEESB_EEENSN_IJSM_SM_EEESB_PlJNSF_9not_fun_tINSF_14equal_to_valueISA_EEEEEEE10hipError_tPvRmT3_T4_T5_T6_T7_T9_mT8_P12ihipStream_tbDpT10_ENKUlT_T0_E_clISt17integral_constantIbLb0EES1J_EEDaS1E_S1F_EUlS1E_E_NS1_11comp_targetILNS1_3genE3ELNS1_11target_archE908ELNS1_3gpuE7ELNS1_3repE0EEENS1_30default_config_static_selectorELNS0_4arch9wavefront6targetE0EEEvT1_.numbered_sgpr, 0
	.set _ZN7rocprim17ROCPRIM_400000_NS6detail17trampoline_kernelINS0_14default_configENS1_25partition_config_selectorILNS1_17partition_subalgoE6EN6thrust23THRUST_200600_302600_NS5tupleIddNS7_9null_typeES9_S9_S9_S9_S9_S9_S9_EENS0_10empty_typeEbEEZZNS1_14partition_implILS5_6ELb0ES3_mNS7_12zip_iteratorINS8_INS7_6detail15normal_iteratorINS7_10device_ptrIdEEEESJ_S9_S9_S9_S9_S9_S9_S9_S9_EEEEPSB_SM_NS0_5tupleIJNSE_INS8_ISJ_NS7_16discard_iteratorINS7_11use_defaultEEES9_S9_S9_S9_S9_S9_S9_S9_EEEESB_EEENSN_IJSM_SM_EEESB_PlJNSF_9not_fun_tINSF_14equal_to_valueISA_EEEEEEE10hipError_tPvRmT3_T4_T5_T6_T7_T9_mT8_P12ihipStream_tbDpT10_ENKUlT_T0_E_clISt17integral_constantIbLb0EES1J_EEDaS1E_S1F_EUlS1E_E_NS1_11comp_targetILNS1_3genE3ELNS1_11target_archE908ELNS1_3gpuE7ELNS1_3repE0EEENS1_30default_config_static_selectorELNS0_4arch9wavefront6targetE0EEEvT1_.num_named_barrier, 0
	.set _ZN7rocprim17ROCPRIM_400000_NS6detail17trampoline_kernelINS0_14default_configENS1_25partition_config_selectorILNS1_17partition_subalgoE6EN6thrust23THRUST_200600_302600_NS5tupleIddNS7_9null_typeES9_S9_S9_S9_S9_S9_S9_EENS0_10empty_typeEbEEZZNS1_14partition_implILS5_6ELb0ES3_mNS7_12zip_iteratorINS8_INS7_6detail15normal_iteratorINS7_10device_ptrIdEEEESJ_S9_S9_S9_S9_S9_S9_S9_S9_EEEEPSB_SM_NS0_5tupleIJNSE_INS8_ISJ_NS7_16discard_iteratorINS7_11use_defaultEEES9_S9_S9_S9_S9_S9_S9_S9_EEEESB_EEENSN_IJSM_SM_EEESB_PlJNSF_9not_fun_tINSF_14equal_to_valueISA_EEEEEEE10hipError_tPvRmT3_T4_T5_T6_T7_T9_mT8_P12ihipStream_tbDpT10_ENKUlT_T0_E_clISt17integral_constantIbLb0EES1J_EEDaS1E_S1F_EUlS1E_E_NS1_11comp_targetILNS1_3genE3ELNS1_11target_archE908ELNS1_3gpuE7ELNS1_3repE0EEENS1_30default_config_static_selectorELNS0_4arch9wavefront6targetE0EEEvT1_.private_seg_size, 0
	.set _ZN7rocprim17ROCPRIM_400000_NS6detail17trampoline_kernelINS0_14default_configENS1_25partition_config_selectorILNS1_17partition_subalgoE6EN6thrust23THRUST_200600_302600_NS5tupleIddNS7_9null_typeES9_S9_S9_S9_S9_S9_S9_EENS0_10empty_typeEbEEZZNS1_14partition_implILS5_6ELb0ES3_mNS7_12zip_iteratorINS8_INS7_6detail15normal_iteratorINS7_10device_ptrIdEEEESJ_S9_S9_S9_S9_S9_S9_S9_S9_EEEEPSB_SM_NS0_5tupleIJNSE_INS8_ISJ_NS7_16discard_iteratorINS7_11use_defaultEEES9_S9_S9_S9_S9_S9_S9_S9_EEEESB_EEENSN_IJSM_SM_EEESB_PlJNSF_9not_fun_tINSF_14equal_to_valueISA_EEEEEEE10hipError_tPvRmT3_T4_T5_T6_T7_T9_mT8_P12ihipStream_tbDpT10_ENKUlT_T0_E_clISt17integral_constantIbLb0EES1J_EEDaS1E_S1F_EUlS1E_E_NS1_11comp_targetILNS1_3genE3ELNS1_11target_archE908ELNS1_3gpuE7ELNS1_3repE0EEENS1_30default_config_static_selectorELNS0_4arch9wavefront6targetE0EEEvT1_.uses_vcc, 0
	.set _ZN7rocprim17ROCPRIM_400000_NS6detail17trampoline_kernelINS0_14default_configENS1_25partition_config_selectorILNS1_17partition_subalgoE6EN6thrust23THRUST_200600_302600_NS5tupleIddNS7_9null_typeES9_S9_S9_S9_S9_S9_S9_EENS0_10empty_typeEbEEZZNS1_14partition_implILS5_6ELb0ES3_mNS7_12zip_iteratorINS8_INS7_6detail15normal_iteratorINS7_10device_ptrIdEEEESJ_S9_S9_S9_S9_S9_S9_S9_S9_EEEEPSB_SM_NS0_5tupleIJNSE_INS8_ISJ_NS7_16discard_iteratorINS7_11use_defaultEEES9_S9_S9_S9_S9_S9_S9_S9_EEEESB_EEENSN_IJSM_SM_EEESB_PlJNSF_9not_fun_tINSF_14equal_to_valueISA_EEEEEEE10hipError_tPvRmT3_T4_T5_T6_T7_T9_mT8_P12ihipStream_tbDpT10_ENKUlT_T0_E_clISt17integral_constantIbLb0EES1J_EEDaS1E_S1F_EUlS1E_E_NS1_11comp_targetILNS1_3genE3ELNS1_11target_archE908ELNS1_3gpuE7ELNS1_3repE0EEENS1_30default_config_static_selectorELNS0_4arch9wavefront6targetE0EEEvT1_.uses_flat_scratch, 0
	.set _ZN7rocprim17ROCPRIM_400000_NS6detail17trampoline_kernelINS0_14default_configENS1_25partition_config_selectorILNS1_17partition_subalgoE6EN6thrust23THRUST_200600_302600_NS5tupleIddNS7_9null_typeES9_S9_S9_S9_S9_S9_S9_EENS0_10empty_typeEbEEZZNS1_14partition_implILS5_6ELb0ES3_mNS7_12zip_iteratorINS8_INS7_6detail15normal_iteratorINS7_10device_ptrIdEEEESJ_S9_S9_S9_S9_S9_S9_S9_S9_EEEEPSB_SM_NS0_5tupleIJNSE_INS8_ISJ_NS7_16discard_iteratorINS7_11use_defaultEEES9_S9_S9_S9_S9_S9_S9_S9_EEEESB_EEENSN_IJSM_SM_EEESB_PlJNSF_9not_fun_tINSF_14equal_to_valueISA_EEEEEEE10hipError_tPvRmT3_T4_T5_T6_T7_T9_mT8_P12ihipStream_tbDpT10_ENKUlT_T0_E_clISt17integral_constantIbLb0EES1J_EEDaS1E_S1F_EUlS1E_E_NS1_11comp_targetILNS1_3genE3ELNS1_11target_archE908ELNS1_3gpuE7ELNS1_3repE0EEENS1_30default_config_static_selectorELNS0_4arch9wavefront6targetE0EEEvT1_.has_dyn_sized_stack, 0
	.set _ZN7rocprim17ROCPRIM_400000_NS6detail17trampoline_kernelINS0_14default_configENS1_25partition_config_selectorILNS1_17partition_subalgoE6EN6thrust23THRUST_200600_302600_NS5tupleIddNS7_9null_typeES9_S9_S9_S9_S9_S9_S9_EENS0_10empty_typeEbEEZZNS1_14partition_implILS5_6ELb0ES3_mNS7_12zip_iteratorINS8_INS7_6detail15normal_iteratorINS7_10device_ptrIdEEEESJ_S9_S9_S9_S9_S9_S9_S9_S9_EEEEPSB_SM_NS0_5tupleIJNSE_INS8_ISJ_NS7_16discard_iteratorINS7_11use_defaultEEES9_S9_S9_S9_S9_S9_S9_S9_EEEESB_EEENSN_IJSM_SM_EEESB_PlJNSF_9not_fun_tINSF_14equal_to_valueISA_EEEEEEE10hipError_tPvRmT3_T4_T5_T6_T7_T9_mT8_P12ihipStream_tbDpT10_ENKUlT_T0_E_clISt17integral_constantIbLb0EES1J_EEDaS1E_S1F_EUlS1E_E_NS1_11comp_targetILNS1_3genE3ELNS1_11target_archE908ELNS1_3gpuE7ELNS1_3repE0EEENS1_30default_config_static_selectorELNS0_4arch9wavefront6targetE0EEEvT1_.has_recursion, 0
	.set _ZN7rocprim17ROCPRIM_400000_NS6detail17trampoline_kernelINS0_14default_configENS1_25partition_config_selectorILNS1_17partition_subalgoE6EN6thrust23THRUST_200600_302600_NS5tupleIddNS7_9null_typeES9_S9_S9_S9_S9_S9_S9_EENS0_10empty_typeEbEEZZNS1_14partition_implILS5_6ELb0ES3_mNS7_12zip_iteratorINS8_INS7_6detail15normal_iteratorINS7_10device_ptrIdEEEESJ_S9_S9_S9_S9_S9_S9_S9_S9_EEEEPSB_SM_NS0_5tupleIJNSE_INS8_ISJ_NS7_16discard_iteratorINS7_11use_defaultEEES9_S9_S9_S9_S9_S9_S9_S9_EEEESB_EEENSN_IJSM_SM_EEESB_PlJNSF_9not_fun_tINSF_14equal_to_valueISA_EEEEEEE10hipError_tPvRmT3_T4_T5_T6_T7_T9_mT8_P12ihipStream_tbDpT10_ENKUlT_T0_E_clISt17integral_constantIbLb0EES1J_EEDaS1E_S1F_EUlS1E_E_NS1_11comp_targetILNS1_3genE3ELNS1_11target_archE908ELNS1_3gpuE7ELNS1_3repE0EEENS1_30default_config_static_selectorELNS0_4arch9wavefront6targetE0EEEvT1_.has_indirect_call, 0
	.section	.AMDGPU.csdata,"",@progbits
; Kernel info:
; codeLenInByte = 0
; TotalNumSgprs: 0
; NumVgprs: 0
; ScratchSize: 0
; MemoryBound: 0
; FloatMode: 240
; IeeeMode: 1
; LDSByteSize: 0 bytes/workgroup (compile time only)
; SGPRBlocks: 0
; VGPRBlocks: 0
; NumSGPRsForWavesPerEU: 1
; NumVGPRsForWavesPerEU: 1
; Occupancy: 16
; WaveLimiterHint : 0
; COMPUTE_PGM_RSRC2:SCRATCH_EN: 0
; COMPUTE_PGM_RSRC2:USER_SGPR: 2
; COMPUTE_PGM_RSRC2:TRAP_HANDLER: 0
; COMPUTE_PGM_RSRC2:TGID_X_EN: 1
; COMPUTE_PGM_RSRC2:TGID_Y_EN: 0
; COMPUTE_PGM_RSRC2:TGID_Z_EN: 0
; COMPUTE_PGM_RSRC2:TIDIG_COMP_CNT: 0
	.section	.text._ZN7rocprim17ROCPRIM_400000_NS6detail17trampoline_kernelINS0_14default_configENS1_25partition_config_selectorILNS1_17partition_subalgoE6EN6thrust23THRUST_200600_302600_NS5tupleIddNS7_9null_typeES9_S9_S9_S9_S9_S9_S9_EENS0_10empty_typeEbEEZZNS1_14partition_implILS5_6ELb0ES3_mNS7_12zip_iteratorINS8_INS7_6detail15normal_iteratorINS7_10device_ptrIdEEEESJ_S9_S9_S9_S9_S9_S9_S9_S9_EEEEPSB_SM_NS0_5tupleIJNSE_INS8_ISJ_NS7_16discard_iteratorINS7_11use_defaultEEES9_S9_S9_S9_S9_S9_S9_S9_EEEESB_EEENSN_IJSM_SM_EEESB_PlJNSF_9not_fun_tINSF_14equal_to_valueISA_EEEEEEE10hipError_tPvRmT3_T4_T5_T6_T7_T9_mT8_P12ihipStream_tbDpT10_ENKUlT_T0_E_clISt17integral_constantIbLb0EES1J_EEDaS1E_S1F_EUlS1E_E_NS1_11comp_targetILNS1_3genE2ELNS1_11target_archE906ELNS1_3gpuE6ELNS1_3repE0EEENS1_30default_config_static_selectorELNS0_4arch9wavefront6targetE0EEEvT1_,"axG",@progbits,_ZN7rocprim17ROCPRIM_400000_NS6detail17trampoline_kernelINS0_14default_configENS1_25partition_config_selectorILNS1_17partition_subalgoE6EN6thrust23THRUST_200600_302600_NS5tupleIddNS7_9null_typeES9_S9_S9_S9_S9_S9_S9_EENS0_10empty_typeEbEEZZNS1_14partition_implILS5_6ELb0ES3_mNS7_12zip_iteratorINS8_INS7_6detail15normal_iteratorINS7_10device_ptrIdEEEESJ_S9_S9_S9_S9_S9_S9_S9_S9_EEEEPSB_SM_NS0_5tupleIJNSE_INS8_ISJ_NS7_16discard_iteratorINS7_11use_defaultEEES9_S9_S9_S9_S9_S9_S9_S9_EEEESB_EEENSN_IJSM_SM_EEESB_PlJNSF_9not_fun_tINSF_14equal_to_valueISA_EEEEEEE10hipError_tPvRmT3_T4_T5_T6_T7_T9_mT8_P12ihipStream_tbDpT10_ENKUlT_T0_E_clISt17integral_constantIbLb0EES1J_EEDaS1E_S1F_EUlS1E_E_NS1_11comp_targetILNS1_3genE2ELNS1_11target_archE906ELNS1_3gpuE6ELNS1_3repE0EEENS1_30default_config_static_selectorELNS0_4arch9wavefront6targetE0EEEvT1_,comdat
	.protected	_ZN7rocprim17ROCPRIM_400000_NS6detail17trampoline_kernelINS0_14default_configENS1_25partition_config_selectorILNS1_17partition_subalgoE6EN6thrust23THRUST_200600_302600_NS5tupleIddNS7_9null_typeES9_S9_S9_S9_S9_S9_S9_EENS0_10empty_typeEbEEZZNS1_14partition_implILS5_6ELb0ES3_mNS7_12zip_iteratorINS8_INS7_6detail15normal_iteratorINS7_10device_ptrIdEEEESJ_S9_S9_S9_S9_S9_S9_S9_S9_EEEEPSB_SM_NS0_5tupleIJNSE_INS8_ISJ_NS7_16discard_iteratorINS7_11use_defaultEEES9_S9_S9_S9_S9_S9_S9_S9_EEEESB_EEENSN_IJSM_SM_EEESB_PlJNSF_9not_fun_tINSF_14equal_to_valueISA_EEEEEEE10hipError_tPvRmT3_T4_T5_T6_T7_T9_mT8_P12ihipStream_tbDpT10_ENKUlT_T0_E_clISt17integral_constantIbLb0EES1J_EEDaS1E_S1F_EUlS1E_E_NS1_11comp_targetILNS1_3genE2ELNS1_11target_archE906ELNS1_3gpuE6ELNS1_3repE0EEENS1_30default_config_static_selectorELNS0_4arch9wavefront6targetE0EEEvT1_ ; -- Begin function _ZN7rocprim17ROCPRIM_400000_NS6detail17trampoline_kernelINS0_14default_configENS1_25partition_config_selectorILNS1_17partition_subalgoE6EN6thrust23THRUST_200600_302600_NS5tupleIddNS7_9null_typeES9_S9_S9_S9_S9_S9_S9_EENS0_10empty_typeEbEEZZNS1_14partition_implILS5_6ELb0ES3_mNS7_12zip_iteratorINS8_INS7_6detail15normal_iteratorINS7_10device_ptrIdEEEESJ_S9_S9_S9_S9_S9_S9_S9_S9_EEEEPSB_SM_NS0_5tupleIJNSE_INS8_ISJ_NS7_16discard_iteratorINS7_11use_defaultEEES9_S9_S9_S9_S9_S9_S9_S9_EEEESB_EEENSN_IJSM_SM_EEESB_PlJNSF_9not_fun_tINSF_14equal_to_valueISA_EEEEEEE10hipError_tPvRmT3_T4_T5_T6_T7_T9_mT8_P12ihipStream_tbDpT10_ENKUlT_T0_E_clISt17integral_constantIbLb0EES1J_EEDaS1E_S1F_EUlS1E_E_NS1_11comp_targetILNS1_3genE2ELNS1_11target_archE906ELNS1_3gpuE6ELNS1_3repE0EEENS1_30default_config_static_selectorELNS0_4arch9wavefront6targetE0EEEvT1_
	.globl	_ZN7rocprim17ROCPRIM_400000_NS6detail17trampoline_kernelINS0_14default_configENS1_25partition_config_selectorILNS1_17partition_subalgoE6EN6thrust23THRUST_200600_302600_NS5tupleIddNS7_9null_typeES9_S9_S9_S9_S9_S9_S9_EENS0_10empty_typeEbEEZZNS1_14partition_implILS5_6ELb0ES3_mNS7_12zip_iteratorINS8_INS7_6detail15normal_iteratorINS7_10device_ptrIdEEEESJ_S9_S9_S9_S9_S9_S9_S9_S9_EEEEPSB_SM_NS0_5tupleIJNSE_INS8_ISJ_NS7_16discard_iteratorINS7_11use_defaultEEES9_S9_S9_S9_S9_S9_S9_S9_EEEESB_EEENSN_IJSM_SM_EEESB_PlJNSF_9not_fun_tINSF_14equal_to_valueISA_EEEEEEE10hipError_tPvRmT3_T4_T5_T6_T7_T9_mT8_P12ihipStream_tbDpT10_ENKUlT_T0_E_clISt17integral_constantIbLb0EES1J_EEDaS1E_S1F_EUlS1E_E_NS1_11comp_targetILNS1_3genE2ELNS1_11target_archE906ELNS1_3gpuE6ELNS1_3repE0EEENS1_30default_config_static_selectorELNS0_4arch9wavefront6targetE0EEEvT1_
	.p2align	8
	.type	_ZN7rocprim17ROCPRIM_400000_NS6detail17trampoline_kernelINS0_14default_configENS1_25partition_config_selectorILNS1_17partition_subalgoE6EN6thrust23THRUST_200600_302600_NS5tupleIddNS7_9null_typeES9_S9_S9_S9_S9_S9_S9_EENS0_10empty_typeEbEEZZNS1_14partition_implILS5_6ELb0ES3_mNS7_12zip_iteratorINS8_INS7_6detail15normal_iteratorINS7_10device_ptrIdEEEESJ_S9_S9_S9_S9_S9_S9_S9_S9_EEEEPSB_SM_NS0_5tupleIJNSE_INS8_ISJ_NS7_16discard_iteratorINS7_11use_defaultEEES9_S9_S9_S9_S9_S9_S9_S9_EEEESB_EEENSN_IJSM_SM_EEESB_PlJNSF_9not_fun_tINSF_14equal_to_valueISA_EEEEEEE10hipError_tPvRmT3_T4_T5_T6_T7_T9_mT8_P12ihipStream_tbDpT10_ENKUlT_T0_E_clISt17integral_constantIbLb0EES1J_EEDaS1E_S1F_EUlS1E_E_NS1_11comp_targetILNS1_3genE2ELNS1_11target_archE906ELNS1_3gpuE6ELNS1_3repE0EEENS1_30default_config_static_selectorELNS0_4arch9wavefront6targetE0EEEvT1_,@function
_ZN7rocprim17ROCPRIM_400000_NS6detail17trampoline_kernelINS0_14default_configENS1_25partition_config_selectorILNS1_17partition_subalgoE6EN6thrust23THRUST_200600_302600_NS5tupleIddNS7_9null_typeES9_S9_S9_S9_S9_S9_S9_EENS0_10empty_typeEbEEZZNS1_14partition_implILS5_6ELb0ES3_mNS7_12zip_iteratorINS8_INS7_6detail15normal_iteratorINS7_10device_ptrIdEEEESJ_S9_S9_S9_S9_S9_S9_S9_S9_EEEEPSB_SM_NS0_5tupleIJNSE_INS8_ISJ_NS7_16discard_iteratorINS7_11use_defaultEEES9_S9_S9_S9_S9_S9_S9_S9_EEEESB_EEENSN_IJSM_SM_EEESB_PlJNSF_9not_fun_tINSF_14equal_to_valueISA_EEEEEEE10hipError_tPvRmT3_T4_T5_T6_T7_T9_mT8_P12ihipStream_tbDpT10_ENKUlT_T0_E_clISt17integral_constantIbLb0EES1J_EEDaS1E_S1F_EUlS1E_E_NS1_11comp_targetILNS1_3genE2ELNS1_11target_archE906ELNS1_3gpuE6ELNS1_3repE0EEENS1_30default_config_static_selectorELNS0_4arch9wavefront6targetE0EEEvT1_: ; @_ZN7rocprim17ROCPRIM_400000_NS6detail17trampoline_kernelINS0_14default_configENS1_25partition_config_selectorILNS1_17partition_subalgoE6EN6thrust23THRUST_200600_302600_NS5tupleIddNS7_9null_typeES9_S9_S9_S9_S9_S9_S9_EENS0_10empty_typeEbEEZZNS1_14partition_implILS5_6ELb0ES3_mNS7_12zip_iteratorINS8_INS7_6detail15normal_iteratorINS7_10device_ptrIdEEEESJ_S9_S9_S9_S9_S9_S9_S9_S9_EEEEPSB_SM_NS0_5tupleIJNSE_INS8_ISJ_NS7_16discard_iteratorINS7_11use_defaultEEES9_S9_S9_S9_S9_S9_S9_S9_EEEESB_EEENSN_IJSM_SM_EEESB_PlJNSF_9not_fun_tINSF_14equal_to_valueISA_EEEEEEE10hipError_tPvRmT3_T4_T5_T6_T7_T9_mT8_P12ihipStream_tbDpT10_ENKUlT_T0_E_clISt17integral_constantIbLb0EES1J_EEDaS1E_S1F_EUlS1E_E_NS1_11comp_targetILNS1_3genE2ELNS1_11target_archE906ELNS1_3gpuE6ELNS1_3repE0EEENS1_30default_config_static_selectorELNS0_4arch9wavefront6targetE0EEEvT1_
; %bb.0:
	.section	.rodata,"a",@progbits
	.p2align	6, 0x0
	.amdhsa_kernel _ZN7rocprim17ROCPRIM_400000_NS6detail17trampoline_kernelINS0_14default_configENS1_25partition_config_selectorILNS1_17partition_subalgoE6EN6thrust23THRUST_200600_302600_NS5tupleIddNS7_9null_typeES9_S9_S9_S9_S9_S9_S9_EENS0_10empty_typeEbEEZZNS1_14partition_implILS5_6ELb0ES3_mNS7_12zip_iteratorINS8_INS7_6detail15normal_iteratorINS7_10device_ptrIdEEEESJ_S9_S9_S9_S9_S9_S9_S9_S9_EEEEPSB_SM_NS0_5tupleIJNSE_INS8_ISJ_NS7_16discard_iteratorINS7_11use_defaultEEES9_S9_S9_S9_S9_S9_S9_S9_EEEESB_EEENSN_IJSM_SM_EEESB_PlJNSF_9not_fun_tINSF_14equal_to_valueISA_EEEEEEE10hipError_tPvRmT3_T4_T5_T6_T7_T9_mT8_P12ihipStream_tbDpT10_ENKUlT_T0_E_clISt17integral_constantIbLb0EES1J_EEDaS1E_S1F_EUlS1E_E_NS1_11comp_targetILNS1_3genE2ELNS1_11target_archE906ELNS1_3gpuE6ELNS1_3repE0EEENS1_30default_config_static_selectorELNS0_4arch9wavefront6targetE0EEEvT1_
		.amdhsa_group_segment_fixed_size 0
		.amdhsa_private_segment_fixed_size 0
		.amdhsa_kernarg_size 152
		.amdhsa_user_sgpr_count 2
		.amdhsa_user_sgpr_dispatch_ptr 0
		.amdhsa_user_sgpr_queue_ptr 0
		.amdhsa_user_sgpr_kernarg_segment_ptr 1
		.amdhsa_user_sgpr_dispatch_id 0
		.amdhsa_user_sgpr_private_segment_size 0
		.amdhsa_wavefront_size32 1
		.amdhsa_uses_dynamic_stack 0
		.amdhsa_enable_private_segment 0
		.amdhsa_system_sgpr_workgroup_id_x 1
		.amdhsa_system_sgpr_workgroup_id_y 0
		.amdhsa_system_sgpr_workgroup_id_z 0
		.amdhsa_system_sgpr_workgroup_info 0
		.amdhsa_system_vgpr_workitem_id 0
		.amdhsa_next_free_vgpr 1
		.amdhsa_next_free_sgpr 1
		.amdhsa_reserve_vcc 0
		.amdhsa_float_round_mode_32 0
		.amdhsa_float_round_mode_16_64 0
		.amdhsa_float_denorm_mode_32 3
		.amdhsa_float_denorm_mode_16_64 3
		.amdhsa_fp16_overflow 0
		.amdhsa_workgroup_processor_mode 1
		.amdhsa_memory_ordered 1
		.amdhsa_forward_progress 1
		.amdhsa_inst_pref_size 0
		.amdhsa_round_robin_scheduling 0
		.amdhsa_exception_fp_ieee_invalid_op 0
		.amdhsa_exception_fp_denorm_src 0
		.amdhsa_exception_fp_ieee_div_zero 0
		.amdhsa_exception_fp_ieee_overflow 0
		.amdhsa_exception_fp_ieee_underflow 0
		.amdhsa_exception_fp_ieee_inexact 0
		.amdhsa_exception_int_div_zero 0
	.end_amdhsa_kernel
	.section	.text._ZN7rocprim17ROCPRIM_400000_NS6detail17trampoline_kernelINS0_14default_configENS1_25partition_config_selectorILNS1_17partition_subalgoE6EN6thrust23THRUST_200600_302600_NS5tupleIddNS7_9null_typeES9_S9_S9_S9_S9_S9_S9_EENS0_10empty_typeEbEEZZNS1_14partition_implILS5_6ELb0ES3_mNS7_12zip_iteratorINS8_INS7_6detail15normal_iteratorINS7_10device_ptrIdEEEESJ_S9_S9_S9_S9_S9_S9_S9_S9_EEEEPSB_SM_NS0_5tupleIJNSE_INS8_ISJ_NS7_16discard_iteratorINS7_11use_defaultEEES9_S9_S9_S9_S9_S9_S9_S9_EEEESB_EEENSN_IJSM_SM_EEESB_PlJNSF_9not_fun_tINSF_14equal_to_valueISA_EEEEEEE10hipError_tPvRmT3_T4_T5_T6_T7_T9_mT8_P12ihipStream_tbDpT10_ENKUlT_T0_E_clISt17integral_constantIbLb0EES1J_EEDaS1E_S1F_EUlS1E_E_NS1_11comp_targetILNS1_3genE2ELNS1_11target_archE906ELNS1_3gpuE6ELNS1_3repE0EEENS1_30default_config_static_selectorELNS0_4arch9wavefront6targetE0EEEvT1_,"axG",@progbits,_ZN7rocprim17ROCPRIM_400000_NS6detail17trampoline_kernelINS0_14default_configENS1_25partition_config_selectorILNS1_17partition_subalgoE6EN6thrust23THRUST_200600_302600_NS5tupleIddNS7_9null_typeES9_S9_S9_S9_S9_S9_S9_EENS0_10empty_typeEbEEZZNS1_14partition_implILS5_6ELb0ES3_mNS7_12zip_iteratorINS8_INS7_6detail15normal_iteratorINS7_10device_ptrIdEEEESJ_S9_S9_S9_S9_S9_S9_S9_S9_EEEEPSB_SM_NS0_5tupleIJNSE_INS8_ISJ_NS7_16discard_iteratorINS7_11use_defaultEEES9_S9_S9_S9_S9_S9_S9_S9_EEEESB_EEENSN_IJSM_SM_EEESB_PlJNSF_9not_fun_tINSF_14equal_to_valueISA_EEEEEEE10hipError_tPvRmT3_T4_T5_T6_T7_T9_mT8_P12ihipStream_tbDpT10_ENKUlT_T0_E_clISt17integral_constantIbLb0EES1J_EEDaS1E_S1F_EUlS1E_E_NS1_11comp_targetILNS1_3genE2ELNS1_11target_archE906ELNS1_3gpuE6ELNS1_3repE0EEENS1_30default_config_static_selectorELNS0_4arch9wavefront6targetE0EEEvT1_,comdat
.Lfunc_end1825:
	.size	_ZN7rocprim17ROCPRIM_400000_NS6detail17trampoline_kernelINS0_14default_configENS1_25partition_config_selectorILNS1_17partition_subalgoE6EN6thrust23THRUST_200600_302600_NS5tupleIddNS7_9null_typeES9_S9_S9_S9_S9_S9_S9_EENS0_10empty_typeEbEEZZNS1_14partition_implILS5_6ELb0ES3_mNS7_12zip_iteratorINS8_INS7_6detail15normal_iteratorINS7_10device_ptrIdEEEESJ_S9_S9_S9_S9_S9_S9_S9_S9_EEEEPSB_SM_NS0_5tupleIJNSE_INS8_ISJ_NS7_16discard_iteratorINS7_11use_defaultEEES9_S9_S9_S9_S9_S9_S9_S9_EEEESB_EEENSN_IJSM_SM_EEESB_PlJNSF_9not_fun_tINSF_14equal_to_valueISA_EEEEEEE10hipError_tPvRmT3_T4_T5_T6_T7_T9_mT8_P12ihipStream_tbDpT10_ENKUlT_T0_E_clISt17integral_constantIbLb0EES1J_EEDaS1E_S1F_EUlS1E_E_NS1_11comp_targetILNS1_3genE2ELNS1_11target_archE906ELNS1_3gpuE6ELNS1_3repE0EEENS1_30default_config_static_selectorELNS0_4arch9wavefront6targetE0EEEvT1_, .Lfunc_end1825-_ZN7rocprim17ROCPRIM_400000_NS6detail17trampoline_kernelINS0_14default_configENS1_25partition_config_selectorILNS1_17partition_subalgoE6EN6thrust23THRUST_200600_302600_NS5tupleIddNS7_9null_typeES9_S9_S9_S9_S9_S9_S9_EENS0_10empty_typeEbEEZZNS1_14partition_implILS5_6ELb0ES3_mNS7_12zip_iteratorINS8_INS7_6detail15normal_iteratorINS7_10device_ptrIdEEEESJ_S9_S9_S9_S9_S9_S9_S9_S9_EEEEPSB_SM_NS0_5tupleIJNSE_INS8_ISJ_NS7_16discard_iteratorINS7_11use_defaultEEES9_S9_S9_S9_S9_S9_S9_S9_EEEESB_EEENSN_IJSM_SM_EEESB_PlJNSF_9not_fun_tINSF_14equal_to_valueISA_EEEEEEE10hipError_tPvRmT3_T4_T5_T6_T7_T9_mT8_P12ihipStream_tbDpT10_ENKUlT_T0_E_clISt17integral_constantIbLb0EES1J_EEDaS1E_S1F_EUlS1E_E_NS1_11comp_targetILNS1_3genE2ELNS1_11target_archE906ELNS1_3gpuE6ELNS1_3repE0EEENS1_30default_config_static_selectorELNS0_4arch9wavefront6targetE0EEEvT1_
                                        ; -- End function
	.set _ZN7rocprim17ROCPRIM_400000_NS6detail17trampoline_kernelINS0_14default_configENS1_25partition_config_selectorILNS1_17partition_subalgoE6EN6thrust23THRUST_200600_302600_NS5tupleIddNS7_9null_typeES9_S9_S9_S9_S9_S9_S9_EENS0_10empty_typeEbEEZZNS1_14partition_implILS5_6ELb0ES3_mNS7_12zip_iteratorINS8_INS7_6detail15normal_iteratorINS7_10device_ptrIdEEEESJ_S9_S9_S9_S9_S9_S9_S9_S9_EEEEPSB_SM_NS0_5tupleIJNSE_INS8_ISJ_NS7_16discard_iteratorINS7_11use_defaultEEES9_S9_S9_S9_S9_S9_S9_S9_EEEESB_EEENSN_IJSM_SM_EEESB_PlJNSF_9not_fun_tINSF_14equal_to_valueISA_EEEEEEE10hipError_tPvRmT3_T4_T5_T6_T7_T9_mT8_P12ihipStream_tbDpT10_ENKUlT_T0_E_clISt17integral_constantIbLb0EES1J_EEDaS1E_S1F_EUlS1E_E_NS1_11comp_targetILNS1_3genE2ELNS1_11target_archE906ELNS1_3gpuE6ELNS1_3repE0EEENS1_30default_config_static_selectorELNS0_4arch9wavefront6targetE0EEEvT1_.num_vgpr, 0
	.set _ZN7rocprim17ROCPRIM_400000_NS6detail17trampoline_kernelINS0_14default_configENS1_25partition_config_selectorILNS1_17partition_subalgoE6EN6thrust23THRUST_200600_302600_NS5tupleIddNS7_9null_typeES9_S9_S9_S9_S9_S9_S9_EENS0_10empty_typeEbEEZZNS1_14partition_implILS5_6ELb0ES3_mNS7_12zip_iteratorINS8_INS7_6detail15normal_iteratorINS7_10device_ptrIdEEEESJ_S9_S9_S9_S9_S9_S9_S9_S9_EEEEPSB_SM_NS0_5tupleIJNSE_INS8_ISJ_NS7_16discard_iteratorINS7_11use_defaultEEES9_S9_S9_S9_S9_S9_S9_S9_EEEESB_EEENSN_IJSM_SM_EEESB_PlJNSF_9not_fun_tINSF_14equal_to_valueISA_EEEEEEE10hipError_tPvRmT3_T4_T5_T6_T7_T9_mT8_P12ihipStream_tbDpT10_ENKUlT_T0_E_clISt17integral_constantIbLb0EES1J_EEDaS1E_S1F_EUlS1E_E_NS1_11comp_targetILNS1_3genE2ELNS1_11target_archE906ELNS1_3gpuE6ELNS1_3repE0EEENS1_30default_config_static_selectorELNS0_4arch9wavefront6targetE0EEEvT1_.num_agpr, 0
	.set _ZN7rocprim17ROCPRIM_400000_NS6detail17trampoline_kernelINS0_14default_configENS1_25partition_config_selectorILNS1_17partition_subalgoE6EN6thrust23THRUST_200600_302600_NS5tupleIddNS7_9null_typeES9_S9_S9_S9_S9_S9_S9_EENS0_10empty_typeEbEEZZNS1_14partition_implILS5_6ELb0ES3_mNS7_12zip_iteratorINS8_INS7_6detail15normal_iteratorINS7_10device_ptrIdEEEESJ_S9_S9_S9_S9_S9_S9_S9_S9_EEEEPSB_SM_NS0_5tupleIJNSE_INS8_ISJ_NS7_16discard_iteratorINS7_11use_defaultEEES9_S9_S9_S9_S9_S9_S9_S9_EEEESB_EEENSN_IJSM_SM_EEESB_PlJNSF_9not_fun_tINSF_14equal_to_valueISA_EEEEEEE10hipError_tPvRmT3_T4_T5_T6_T7_T9_mT8_P12ihipStream_tbDpT10_ENKUlT_T0_E_clISt17integral_constantIbLb0EES1J_EEDaS1E_S1F_EUlS1E_E_NS1_11comp_targetILNS1_3genE2ELNS1_11target_archE906ELNS1_3gpuE6ELNS1_3repE0EEENS1_30default_config_static_selectorELNS0_4arch9wavefront6targetE0EEEvT1_.numbered_sgpr, 0
	.set _ZN7rocprim17ROCPRIM_400000_NS6detail17trampoline_kernelINS0_14default_configENS1_25partition_config_selectorILNS1_17partition_subalgoE6EN6thrust23THRUST_200600_302600_NS5tupleIddNS7_9null_typeES9_S9_S9_S9_S9_S9_S9_EENS0_10empty_typeEbEEZZNS1_14partition_implILS5_6ELb0ES3_mNS7_12zip_iteratorINS8_INS7_6detail15normal_iteratorINS7_10device_ptrIdEEEESJ_S9_S9_S9_S9_S9_S9_S9_S9_EEEEPSB_SM_NS0_5tupleIJNSE_INS8_ISJ_NS7_16discard_iteratorINS7_11use_defaultEEES9_S9_S9_S9_S9_S9_S9_S9_EEEESB_EEENSN_IJSM_SM_EEESB_PlJNSF_9not_fun_tINSF_14equal_to_valueISA_EEEEEEE10hipError_tPvRmT3_T4_T5_T6_T7_T9_mT8_P12ihipStream_tbDpT10_ENKUlT_T0_E_clISt17integral_constantIbLb0EES1J_EEDaS1E_S1F_EUlS1E_E_NS1_11comp_targetILNS1_3genE2ELNS1_11target_archE906ELNS1_3gpuE6ELNS1_3repE0EEENS1_30default_config_static_selectorELNS0_4arch9wavefront6targetE0EEEvT1_.num_named_barrier, 0
	.set _ZN7rocprim17ROCPRIM_400000_NS6detail17trampoline_kernelINS0_14default_configENS1_25partition_config_selectorILNS1_17partition_subalgoE6EN6thrust23THRUST_200600_302600_NS5tupleIddNS7_9null_typeES9_S9_S9_S9_S9_S9_S9_EENS0_10empty_typeEbEEZZNS1_14partition_implILS5_6ELb0ES3_mNS7_12zip_iteratorINS8_INS7_6detail15normal_iteratorINS7_10device_ptrIdEEEESJ_S9_S9_S9_S9_S9_S9_S9_S9_EEEEPSB_SM_NS0_5tupleIJNSE_INS8_ISJ_NS7_16discard_iteratorINS7_11use_defaultEEES9_S9_S9_S9_S9_S9_S9_S9_EEEESB_EEENSN_IJSM_SM_EEESB_PlJNSF_9not_fun_tINSF_14equal_to_valueISA_EEEEEEE10hipError_tPvRmT3_T4_T5_T6_T7_T9_mT8_P12ihipStream_tbDpT10_ENKUlT_T0_E_clISt17integral_constantIbLb0EES1J_EEDaS1E_S1F_EUlS1E_E_NS1_11comp_targetILNS1_3genE2ELNS1_11target_archE906ELNS1_3gpuE6ELNS1_3repE0EEENS1_30default_config_static_selectorELNS0_4arch9wavefront6targetE0EEEvT1_.private_seg_size, 0
	.set _ZN7rocprim17ROCPRIM_400000_NS6detail17trampoline_kernelINS0_14default_configENS1_25partition_config_selectorILNS1_17partition_subalgoE6EN6thrust23THRUST_200600_302600_NS5tupleIddNS7_9null_typeES9_S9_S9_S9_S9_S9_S9_EENS0_10empty_typeEbEEZZNS1_14partition_implILS5_6ELb0ES3_mNS7_12zip_iteratorINS8_INS7_6detail15normal_iteratorINS7_10device_ptrIdEEEESJ_S9_S9_S9_S9_S9_S9_S9_S9_EEEEPSB_SM_NS0_5tupleIJNSE_INS8_ISJ_NS7_16discard_iteratorINS7_11use_defaultEEES9_S9_S9_S9_S9_S9_S9_S9_EEEESB_EEENSN_IJSM_SM_EEESB_PlJNSF_9not_fun_tINSF_14equal_to_valueISA_EEEEEEE10hipError_tPvRmT3_T4_T5_T6_T7_T9_mT8_P12ihipStream_tbDpT10_ENKUlT_T0_E_clISt17integral_constantIbLb0EES1J_EEDaS1E_S1F_EUlS1E_E_NS1_11comp_targetILNS1_3genE2ELNS1_11target_archE906ELNS1_3gpuE6ELNS1_3repE0EEENS1_30default_config_static_selectorELNS0_4arch9wavefront6targetE0EEEvT1_.uses_vcc, 0
	.set _ZN7rocprim17ROCPRIM_400000_NS6detail17trampoline_kernelINS0_14default_configENS1_25partition_config_selectorILNS1_17partition_subalgoE6EN6thrust23THRUST_200600_302600_NS5tupleIddNS7_9null_typeES9_S9_S9_S9_S9_S9_S9_EENS0_10empty_typeEbEEZZNS1_14partition_implILS5_6ELb0ES3_mNS7_12zip_iteratorINS8_INS7_6detail15normal_iteratorINS7_10device_ptrIdEEEESJ_S9_S9_S9_S9_S9_S9_S9_S9_EEEEPSB_SM_NS0_5tupleIJNSE_INS8_ISJ_NS7_16discard_iteratorINS7_11use_defaultEEES9_S9_S9_S9_S9_S9_S9_S9_EEEESB_EEENSN_IJSM_SM_EEESB_PlJNSF_9not_fun_tINSF_14equal_to_valueISA_EEEEEEE10hipError_tPvRmT3_T4_T5_T6_T7_T9_mT8_P12ihipStream_tbDpT10_ENKUlT_T0_E_clISt17integral_constantIbLb0EES1J_EEDaS1E_S1F_EUlS1E_E_NS1_11comp_targetILNS1_3genE2ELNS1_11target_archE906ELNS1_3gpuE6ELNS1_3repE0EEENS1_30default_config_static_selectorELNS0_4arch9wavefront6targetE0EEEvT1_.uses_flat_scratch, 0
	.set _ZN7rocprim17ROCPRIM_400000_NS6detail17trampoline_kernelINS0_14default_configENS1_25partition_config_selectorILNS1_17partition_subalgoE6EN6thrust23THRUST_200600_302600_NS5tupleIddNS7_9null_typeES9_S9_S9_S9_S9_S9_S9_EENS0_10empty_typeEbEEZZNS1_14partition_implILS5_6ELb0ES3_mNS7_12zip_iteratorINS8_INS7_6detail15normal_iteratorINS7_10device_ptrIdEEEESJ_S9_S9_S9_S9_S9_S9_S9_S9_EEEEPSB_SM_NS0_5tupleIJNSE_INS8_ISJ_NS7_16discard_iteratorINS7_11use_defaultEEES9_S9_S9_S9_S9_S9_S9_S9_EEEESB_EEENSN_IJSM_SM_EEESB_PlJNSF_9not_fun_tINSF_14equal_to_valueISA_EEEEEEE10hipError_tPvRmT3_T4_T5_T6_T7_T9_mT8_P12ihipStream_tbDpT10_ENKUlT_T0_E_clISt17integral_constantIbLb0EES1J_EEDaS1E_S1F_EUlS1E_E_NS1_11comp_targetILNS1_3genE2ELNS1_11target_archE906ELNS1_3gpuE6ELNS1_3repE0EEENS1_30default_config_static_selectorELNS0_4arch9wavefront6targetE0EEEvT1_.has_dyn_sized_stack, 0
	.set _ZN7rocprim17ROCPRIM_400000_NS6detail17trampoline_kernelINS0_14default_configENS1_25partition_config_selectorILNS1_17partition_subalgoE6EN6thrust23THRUST_200600_302600_NS5tupleIddNS7_9null_typeES9_S9_S9_S9_S9_S9_S9_EENS0_10empty_typeEbEEZZNS1_14partition_implILS5_6ELb0ES3_mNS7_12zip_iteratorINS8_INS7_6detail15normal_iteratorINS7_10device_ptrIdEEEESJ_S9_S9_S9_S9_S9_S9_S9_S9_EEEEPSB_SM_NS0_5tupleIJNSE_INS8_ISJ_NS7_16discard_iteratorINS7_11use_defaultEEES9_S9_S9_S9_S9_S9_S9_S9_EEEESB_EEENSN_IJSM_SM_EEESB_PlJNSF_9not_fun_tINSF_14equal_to_valueISA_EEEEEEE10hipError_tPvRmT3_T4_T5_T6_T7_T9_mT8_P12ihipStream_tbDpT10_ENKUlT_T0_E_clISt17integral_constantIbLb0EES1J_EEDaS1E_S1F_EUlS1E_E_NS1_11comp_targetILNS1_3genE2ELNS1_11target_archE906ELNS1_3gpuE6ELNS1_3repE0EEENS1_30default_config_static_selectorELNS0_4arch9wavefront6targetE0EEEvT1_.has_recursion, 0
	.set _ZN7rocprim17ROCPRIM_400000_NS6detail17trampoline_kernelINS0_14default_configENS1_25partition_config_selectorILNS1_17partition_subalgoE6EN6thrust23THRUST_200600_302600_NS5tupleIddNS7_9null_typeES9_S9_S9_S9_S9_S9_S9_EENS0_10empty_typeEbEEZZNS1_14partition_implILS5_6ELb0ES3_mNS7_12zip_iteratorINS8_INS7_6detail15normal_iteratorINS7_10device_ptrIdEEEESJ_S9_S9_S9_S9_S9_S9_S9_S9_EEEEPSB_SM_NS0_5tupleIJNSE_INS8_ISJ_NS7_16discard_iteratorINS7_11use_defaultEEES9_S9_S9_S9_S9_S9_S9_S9_EEEESB_EEENSN_IJSM_SM_EEESB_PlJNSF_9not_fun_tINSF_14equal_to_valueISA_EEEEEEE10hipError_tPvRmT3_T4_T5_T6_T7_T9_mT8_P12ihipStream_tbDpT10_ENKUlT_T0_E_clISt17integral_constantIbLb0EES1J_EEDaS1E_S1F_EUlS1E_E_NS1_11comp_targetILNS1_3genE2ELNS1_11target_archE906ELNS1_3gpuE6ELNS1_3repE0EEENS1_30default_config_static_selectorELNS0_4arch9wavefront6targetE0EEEvT1_.has_indirect_call, 0
	.section	.AMDGPU.csdata,"",@progbits
; Kernel info:
; codeLenInByte = 0
; TotalNumSgprs: 0
; NumVgprs: 0
; ScratchSize: 0
; MemoryBound: 0
; FloatMode: 240
; IeeeMode: 1
; LDSByteSize: 0 bytes/workgroup (compile time only)
; SGPRBlocks: 0
; VGPRBlocks: 0
; NumSGPRsForWavesPerEU: 1
; NumVGPRsForWavesPerEU: 1
; Occupancy: 16
; WaveLimiterHint : 0
; COMPUTE_PGM_RSRC2:SCRATCH_EN: 0
; COMPUTE_PGM_RSRC2:USER_SGPR: 2
; COMPUTE_PGM_RSRC2:TRAP_HANDLER: 0
; COMPUTE_PGM_RSRC2:TGID_X_EN: 1
; COMPUTE_PGM_RSRC2:TGID_Y_EN: 0
; COMPUTE_PGM_RSRC2:TGID_Z_EN: 0
; COMPUTE_PGM_RSRC2:TIDIG_COMP_CNT: 0
	.section	.text._ZN7rocprim17ROCPRIM_400000_NS6detail17trampoline_kernelINS0_14default_configENS1_25partition_config_selectorILNS1_17partition_subalgoE6EN6thrust23THRUST_200600_302600_NS5tupleIddNS7_9null_typeES9_S9_S9_S9_S9_S9_S9_EENS0_10empty_typeEbEEZZNS1_14partition_implILS5_6ELb0ES3_mNS7_12zip_iteratorINS8_INS7_6detail15normal_iteratorINS7_10device_ptrIdEEEESJ_S9_S9_S9_S9_S9_S9_S9_S9_EEEEPSB_SM_NS0_5tupleIJNSE_INS8_ISJ_NS7_16discard_iteratorINS7_11use_defaultEEES9_S9_S9_S9_S9_S9_S9_S9_EEEESB_EEENSN_IJSM_SM_EEESB_PlJNSF_9not_fun_tINSF_14equal_to_valueISA_EEEEEEE10hipError_tPvRmT3_T4_T5_T6_T7_T9_mT8_P12ihipStream_tbDpT10_ENKUlT_T0_E_clISt17integral_constantIbLb0EES1J_EEDaS1E_S1F_EUlS1E_E_NS1_11comp_targetILNS1_3genE10ELNS1_11target_archE1200ELNS1_3gpuE4ELNS1_3repE0EEENS1_30default_config_static_selectorELNS0_4arch9wavefront6targetE0EEEvT1_,"axG",@progbits,_ZN7rocprim17ROCPRIM_400000_NS6detail17trampoline_kernelINS0_14default_configENS1_25partition_config_selectorILNS1_17partition_subalgoE6EN6thrust23THRUST_200600_302600_NS5tupleIddNS7_9null_typeES9_S9_S9_S9_S9_S9_S9_EENS0_10empty_typeEbEEZZNS1_14partition_implILS5_6ELb0ES3_mNS7_12zip_iteratorINS8_INS7_6detail15normal_iteratorINS7_10device_ptrIdEEEESJ_S9_S9_S9_S9_S9_S9_S9_S9_EEEEPSB_SM_NS0_5tupleIJNSE_INS8_ISJ_NS7_16discard_iteratorINS7_11use_defaultEEES9_S9_S9_S9_S9_S9_S9_S9_EEEESB_EEENSN_IJSM_SM_EEESB_PlJNSF_9not_fun_tINSF_14equal_to_valueISA_EEEEEEE10hipError_tPvRmT3_T4_T5_T6_T7_T9_mT8_P12ihipStream_tbDpT10_ENKUlT_T0_E_clISt17integral_constantIbLb0EES1J_EEDaS1E_S1F_EUlS1E_E_NS1_11comp_targetILNS1_3genE10ELNS1_11target_archE1200ELNS1_3gpuE4ELNS1_3repE0EEENS1_30default_config_static_selectorELNS0_4arch9wavefront6targetE0EEEvT1_,comdat
	.protected	_ZN7rocprim17ROCPRIM_400000_NS6detail17trampoline_kernelINS0_14default_configENS1_25partition_config_selectorILNS1_17partition_subalgoE6EN6thrust23THRUST_200600_302600_NS5tupleIddNS7_9null_typeES9_S9_S9_S9_S9_S9_S9_EENS0_10empty_typeEbEEZZNS1_14partition_implILS5_6ELb0ES3_mNS7_12zip_iteratorINS8_INS7_6detail15normal_iteratorINS7_10device_ptrIdEEEESJ_S9_S9_S9_S9_S9_S9_S9_S9_EEEEPSB_SM_NS0_5tupleIJNSE_INS8_ISJ_NS7_16discard_iteratorINS7_11use_defaultEEES9_S9_S9_S9_S9_S9_S9_S9_EEEESB_EEENSN_IJSM_SM_EEESB_PlJNSF_9not_fun_tINSF_14equal_to_valueISA_EEEEEEE10hipError_tPvRmT3_T4_T5_T6_T7_T9_mT8_P12ihipStream_tbDpT10_ENKUlT_T0_E_clISt17integral_constantIbLb0EES1J_EEDaS1E_S1F_EUlS1E_E_NS1_11comp_targetILNS1_3genE10ELNS1_11target_archE1200ELNS1_3gpuE4ELNS1_3repE0EEENS1_30default_config_static_selectorELNS0_4arch9wavefront6targetE0EEEvT1_ ; -- Begin function _ZN7rocprim17ROCPRIM_400000_NS6detail17trampoline_kernelINS0_14default_configENS1_25partition_config_selectorILNS1_17partition_subalgoE6EN6thrust23THRUST_200600_302600_NS5tupleIddNS7_9null_typeES9_S9_S9_S9_S9_S9_S9_EENS0_10empty_typeEbEEZZNS1_14partition_implILS5_6ELb0ES3_mNS7_12zip_iteratorINS8_INS7_6detail15normal_iteratorINS7_10device_ptrIdEEEESJ_S9_S9_S9_S9_S9_S9_S9_S9_EEEEPSB_SM_NS0_5tupleIJNSE_INS8_ISJ_NS7_16discard_iteratorINS7_11use_defaultEEES9_S9_S9_S9_S9_S9_S9_S9_EEEESB_EEENSN_IJSM_SM_EEESB_PlJNSF_9not_fun_tINSF_14equal_to_valueISA_EEEEEEE10hipError_tPvRmT3_T4_T5_T6_T7_T9_mT8_P12ihipStream_tbDpT10_ENKUlT_T0_E_clISt17integral_constantIbLb0EES1J_EEDaS1E_S1F_EUlS1E_E_NS1_11comp_targetILNS1_3genE10ELNS1_11target_archE1200ELNS1_3gpuE4ELNS1_3repE0EEENS1_30default_config_static_selectorELNS0_4arch9wavefront6targetE0EEEvT1_
	.globl	_ZN7rocprim17ROCPRIM_400000_NS6detail17trampoline_kernelINS0_14default_configENS1_25partition_config_selectorILNS1_17partition_subalgoE6EN6thrust23THRUST_200600_302600_NS5tupleIddNS7_9null_typeES9_S9_S9_S9_S9_S9_S9_EENS0_10empty_typeEbEEZZNS1_14partition_implILS5_6ELb0ES3_mNS7_12zip_iteratorINS8_INS7_6detail15normal_iteratorINS7_10device_ptrIdEEEESJ_S9_S9_S9_S9_S9_S9_S9_S9_EEEEPSB_SM_NS0_5tupleIJNSE_INS8_ISJ_NS7_16discard_iteratorINS7_11use_defaultEEES9_S9_S9_S9_S9_S9_S9_S9_EEEESB_EEENSN_IJSM_SM_EEESB_PlJNSF_9not_fun_tINSF_14equal_to_valueISA_EEEEEEE10hipError_tPvRmT3_T4_T5_T6_T7_T9_mT8_P12ihipStream_tbDpT10_ENKUlT_T0_E_clISt17integral_constantIbLb0EES1J_EEDaS1E_S1F_EUlS1E_E_NS1_11comp_targetILNS1_3genE10ELNS1_11target_archE1200ELNS1_3gpuE4ELNS1_3repE0EEENS1_30default_config_static_selectorELNS0_4arch9wavefront6targetE0EEEvT1_
	.p2align	8
	.type	_ZN7rocprim17ROCPRIM_400000_NS6detail17trampoline_kernelINS0_14default_configENS1_25partition_config_selectorILNS1_17partition_subalgoE6EN6thrust23THRUST_200600_302600_NS5tupleIddNS7_9null_typeES9_S9_S9_S9_S9_S9_S9_EENS0_10empty_typeEbEEZZNS1_14partition_implILS5_6ELb0ES3_mNS7_12zip_iteratorINS8_INS7_6detail15normal_iteratorINS7_10device_ptrIdEEEESJ_S9_S9_S9_S9_S9_S9_S9_S9_EEEEPSB_SM_NS0_5tupleIJNSE_INS8_ISJ_NS7_16discard_iteratorINS7_11use_defaultEEES9_S9_S9_S9_S9_S9_S9_S9_EEEESB_EEENSN_IJSM_SM_EEESB_PlJNSF_9not_fun_tINSF_14equal_to_valueISA_EEEEEEE10hipError_tPvRmT3_T4_T5_T6_T7_T9_mT8_P12ihipStream_tbDpT10_ENKUlT_T0_E_clISt17integral_constantIbLb0EES1J_EEDaS1E_S1F_EUlS1E_E_NS1_11comp_targetILNS1_3genE10ELNS1_11target_archE1200ELNS1_3gpuE4ELNS1_3repE0EEENS1_30default_config_static_selectorELNS0_4arch9wavefront6targetE0EEEvT1_,@function
_ZN7rocprim17ROCPRIM_400000_NS6detail17trampoline_kernelINS0_14default_configENS1_25partition_config_selectorILNS1_17partition_subalgoE6EN6thrust23THRUST_200600_302600_NS5tupleIddNS7_9null_typeES9_S9_S9_S9_S9_S9_S9_EENS0_10empty_typeEbEEZZNS1_14partition_implILS5_6ELb0ES3_mNS7_12zip_iteratorINS8_INS7_6detail15normal_iteratorINS7_10device_ptrIdEEEESJ_S9_S9_S9_S9_S9_S9_S9_S9_EEEEPSB_SM_NS0_5tupleIJNSE_INS8_ISJ_NS7_16discard_iteratorINS7_11use_defaultEEES9_S9_S9_S9_S9_S9_S9_S9_EEEESB_EEENSN_IJSM_SM_EEESB_PlJNSF_9not_fun_tINSF_14equal_to_valueISA_EEEEEEE10hipError_tPvRmT3_T4_T5_T6_T7_T9_mT8_P12ihipStream_tbDpT10_ENKUlT_T0_E_clISt17integral_constantIbLb0EES1J_EEDaS1E_S1F_EUlS1E_E_NS1_11comp_targetILNS1_3genE10ELNS1_11target_archE1200ELNS1_3gpuE4ELNS1_3repE0EEENS1_30default_config_static_selectorELNS0_4arch9wavefront6targetE0EEEvT1_: ; @_ZN7rocprim17ROCPRIM_400000_NS6detail17trampoline_kernelINS0_14default_configENS1_25partition_config_selectorILNS1_17partition_subalgoE6EN6thrust23THRUST_200600_302600_NS5tupleIddNS7_9null_typeES9_S9_S9_S9_S9_S9_S9_EENS0_10empty_typeEbEEZZNS1_14partition_implILS5_6ELb0ES3_mNS7_12zip_iteratorINS8_INS7_6detail15normal_iteratorINS7_10device_ptrIdEEEESJ_S9_S9_S9_S9_S9_S9_S9_S9_EEEEPSB_SM_NS0_5tupleIJNSE_INS8_ISJ_NS7_16discard_iteratorINS7_11use_defaultEEES9_S9_S9_S9_S9_S9_S9_S9_EEEESB_EEENSN_IJSM_SM_EEESB_PlJNSF_9not_fun_tINSF_14equal_to_valueISA_EEEEEEE10hipError_tPvRmT3_T4_T5_T6_T7_T9_mT8_P12ihipStream_tbDpT10_ENKUlT_T0_E_clISt17integral_constantIbLb0EES1J_EEDaS1E_S1F_EUlS1E_E_NS1_11comp_targetILNS1_3genE10ELNS1_11target_archE1200ELNS1_3gpuE4ELNS1_3repE0EEENS1_30default_config_static_selectorELNS0_4arch9wavefront6targetE0EEEvT1_
; %bb.0:
	s_clause 0x4
	s_load_b64 s[2:3], s[0:1], 0x18
	s_load_b128 s[8:11], s[0:1], 0x58
	s_load_b32 s14, s[0:1], 0x80
	s_load_b128 s[4:7], s[0:1], 0x8
	s_load_b64 s[12:13], s[0:1], 0x68
	s_mov_b32 s15, 0
	v_lshlrev_b32_e32 v13, 4, v0
	s_wait_kmcnt 0x0
	s_lshl_b64 s[16:17], s[2:3], 3
	s_load_b64 s[10:11], s[10:11], 0x0
	s_add_co_i32 s18, s14, -1
	s_mulk_i32 s14, 0x300
	s_add_nc_u64 s[20:21], s[6:7], s[16:17]
	s_add_nc_u64 s[6:7], s[2:3], s[14:15]
	s_add_co_i32 s2, s14, s2
	v_cmp_le_u64_e64 s3, s[12:13], s[6:7]
	s_sub_co_i32 s19, s12, s2
	s_cmp_eq_u32 ttmp9, s18
	s_add_nc_u64 s[4:5], s[4:5], s[16:17]
	s_cselect_b32 s16, -1, 0
	s_mul_i32 s14, ttmp9, 0x300
	s_and_b32 s2, s16, s3
	s_lshl_b64 s[12:13], s[14:15], 3
	s_xor_b32 s17, s2, -1
	s_mov_b32 s6, -1
	s_wait_alu 0xfffe
	s_add_nc_u64 s[2:3], s[4:5], s[12:13]
	s_and_b32 vcc_lo, exec_lo, s17
	s_add_nc_u64 s[4:5], s[20:21], s[12:13]
	s_cbranch_vccz .LBB1826_2
; %bb.1:
	v_lshlrev_b32_e32 v11, 3, v0
	s_mov_b32 s6, 0
	s_clause 0x5
	global_load_b64 v[1:2], v11, s[2:3]
	global_load_b64 v[3:4], v11, s[4:5]
	global_load_b64 v[5:6], v11, s[2:3] offset:2048
	global_load_b64 v[9:10], v11, s[2:3] offset:4096
	;; [unrolled: 1-line block ×4, first 2 shown]
	s_wait_loadcnt 0x4
	ds_store_b128 v13, v[1:4]
	s_wait_loadcnt 0x1
	ds_store_b128 v13, v[5:8] offset:4096
	s_wait_loadcnt 0x0
	ds_store_b128 v13, v[9:12] offset:8192
	s_wait_dscnt 0x0
	s_barrier_signal -1
	s_barrier_wait -1
.LBB1826_2:
	s_load_b128 s[12:15], s[0:1], 0x88
	s_and_not1_b32 vcc_lo, exec_lo, s6
	s_addk_co_i32 s19, 0x300
	s_cbranch_vccnz .LBB1826_10
; %bb.3:
	v_mov_b32_e32 v3, 0
	v_dual_mov_b32 v4, 0 :: v_dual_mov_b32 v7, 0
	v_dual_mov_b32 v5, 0 :: v_dual_mov_b32 v8, 0
	v_mov_b32_e32 v6, 0
	s_mov_b32 s6, exec_lo
	v_cmpx_gt_u32_e64 s19, v0
	s_cbranch_execz .LBB1826_5
; %bb.4:
	v_lshlrev_b32_e32 v1, 3, v0
	s_clause 0x1
	global_load_b64 v[5:6], v1, s[2:3]
	global_load_b64 v[7:8], v1, s[4:5]
.LBB1826_5:
	s_wait_alu 0xfffe
	s_or_b32 exec_lo, exec_lo, s6
	v_mov_b32_e32 v1, 0
	v_or_b32_e32 v9, 0x100, v0
	v_mov_b32_e32 v2, 0
	s_mov_b32 s6, exec_lo
	s_delay_alu instid0(VALU_DEP_2)
	v_cmpx_gt_u32_e64 s19, v9
	s_cbranch_execz .LBB1826_7
; %bb.6:
	v_lshlrev_b32_e32 v3, 3, v0
	s_clause 0x1
	global_load_b64 v[1:2], v3, s[2:3] offset:2048
	global_load_b64 v[3:4], v3, s[4:5] offset:2048
.LBB1826_7:
	s_wait_alu 0xfffe
	s_or_b32 exec_lo, exec_lo, s6
	v_mov_b32_e32 v11, 0
	v_dual_mov_b32 v12, 0 :: v_dual_mov_b32 v9, 0
	v_or_b32_e32 v14, 0x200, v0
	v_mov_b32_e32 v10, 0
	s_mov_b32 s6, exec_lo
	s_delay_alu instid0(VALU_DEP_2)
	v_cmpx_gt_u32_e64 s19, v14
	s_cbranch_execz .LBB1826_9
; %bb.8:
	v_lshlrev_b32_e32 v11, 3, v0
	s_clause 0x1
	global_load_b64 v[9:10], v11, s[2:3] offset:4096
	global_load_b64 v[11:12], v11, s[4:5] offset:4096
.LBB1826_9:
	s_wait_alu 0xfffe
	s_or_b32 exec_lo, exec_lo, s6
	s_wait_loadcnt 0x0
	ds_store_b128 v13, v[5:8]
	ds_store_b128 v13, v[1:4] offset:4096
	ds_store_b128 v13, v[9:12] offset:8192
	s_wait_dscnt 0x0
	s_barrier_signal -1
	s_barrier_wait -1
.LBB1826_10:
	v_mul_u32_u24_e32 v13, 3, v0
	global_inv scope:SCOPE_SE
	s_and_not1_b32 vcc_lo, exec_lo, s17
	v_lshlrev_b32_e32 v31, 4, v13
	ds_load_b128 v[1:4], v31 offset:32
	ds_load_b128 v[9:12], v31
	ds_load_b128 v[5:8], v31 offset:16
	s_wait_loadcnt_dscnt 0x0
	s_barrier_signal -1
	s_barrier_wait -1
	global_inv scope:SCOPE_SE
	s_wait_kmcnt 0x0
	v_cmp_neq_f64_e64 s2, s[12:13], v[1:2]
	v_cmp_neq_f64_e64 s3, s[14:15], v[3:4]
	s_cbranch_vccnz .LBB1826_12
; %bb.11:
	v_cmp_neq_f64_e32 vcc_lo, s[12:13], v[5:6]
	v_cmp_neq_f64_e64 s4, s[14:15], v[7:8]
	v_cmp_neq_f64_e64 s5, s[12:13], v[9:10]
	;; [unrolled: 1-line block ×3, first 2 shown]
	s_or_b32 s18, s2, s3
	s_or_b32 s4, vcc_lo, s4
	s_delay_alu instid0(SALU_CYCLE_1)
	v_cndmask_b32_e64 v29, 0, 1, s4
	s_or_b32 s4, s5, s6
	s_wait_alu 0xfffe
	v_cndmask_b32_e64 v30, 0, 1, s4
	s_cbranch_execz .LBB1826_13
	s_branch .LBB1826_14
.LBB1826_12:
                                        ; implicit-def: $sgpr18
                                        ; implicit-def: $vgpr30
                                        ; implicit-def: $vgpr29
.LBB1826_13:
	v_cmp_neq_f64_e32 vcc_lo, s[12:13], v[5:6]
	v_cmp_neq_f64_e64 s2, s[14:15], v[7:8]
	v_cmp_neq_f64_e64 s3, s[12:13], v[9:10]
	;; [unrolled: 1-line block ×5, first 2 shown]
	v_add_nc_u32_e32 v14, 1, v13
	s_delay_alu instid0(VALU_DEP_1)
	v_cmp_gt_u32_e64 s7, s19, v14
	v_add_nc_u32_e32 v14, 2, v13
	s_or_b32 s2, vcc_lo, s2
	v_cmp_gt_u32_e32 vcc_lo, s19, v13
	s_and_b32 s2, s7, s2
	s_or_b32 s3, s3, s4
	v_cndmask_b32_e64 v29, 0, 1, s2
	v_cmp_gt_u32_e64 s2, s19, v14
	s_and_b32 s3, vcc_lo, s3
	s_wait_alu 0xfffe
	v_cndmask_b32_e64 v13, 0, 1, s3
	v_lshlrev_b16 v14, 8, v29
	s_or_b32 s3, s5, s6
	s_wait_alu 0xfffe
	s_and_b32 s2, s2, s3
	s_and_not1_b32 s3, s18, exec_lo
	v_or_b32_e32 v30, v13, v14
	s_wait_alu 0xfffe
	s_and_b32 s2, s2, exec_lo
	s_wait_alu 0xfffe
	s_or_b32 s18, s3, s2
.LBB1826_14:
	s_load_b64 s[6:7], s[0:1], 0x78
	v_mbcnt_lo_u32_b32 v34, -1, 0
	v_dual_mov_b32 v22, 0 :: v_dual_and_b32 v33, 0xff, v30
	v_and_b32_e32 v32, 0xff, v29
	v_cndmask_b32_e64 v13, 0, 1, s18
	s_delay_alu instid0(VALU_DEP_4) | instskip(SKIP_2) | instid1(VALU_DEP_2)
	v_and_b32_e32 v35, 15, v34
	s_cmp_lg_u32 ttmp9, 0
	s_mov_b32 s3, -1
	v_add3_u32 v21, v33, v13, v32
	s_delay_alu instid0(VALU_DEP_2)
	v_cmp_ne_u32_e64 s2, 0, v35
	s_cbranch_scc0 .LBB1826_71
; %bb.15:
	v_mov_b32_dpp v13, v21 row_shr:1 row_mask:0xf bank_mask:0xf
	v_mov_b32_dpp v18, v22 row_shr:1 row_mask:0xf bank_mask:0xf
	v_dual_mov_b32 v17, v21 :: v_dual_mov_b32 v14, v22
	v_dual_mov_b32 v15, v21 :: v_dual_mov_b32 v16, v22
	s_and_saveexec_b32 s3, s2
; %bb.16:
	v_add_co_u32 v17, s4, v21, v13
	s_wait_alu 0xf1ff
	v_add_co_ci_u32_e64 v14, null, 0, 0, s4
	s_delay_alu instid0(VALU_DEP_2) | instskip(NEXT) | instid1(VALU_DEP_1)
	v_add_co_u32 v13, vcc_lo, 0, v17
	v_add_co_ci_u32_e64 v14, null, v18, v14, vcc_lo
	s_delay_alu instid0(VALU_DEP_1)
	v_dual_mov_b32 v16, v14 :: v_dual_mov_b32 v15, v13
; %bb.17:
	s_wait_alu 0xfffe
	s_or_b32 exec_lo, exec_lo, s3
	v_mov_b32_dpp v13, v17 row_shr:2 row_mask:0xf bank_mask:0xf
	v_mov_b32_dpp v18, v14 row_shr:2 row_mask:0xf bank_mask:0xf
	s_mov_b32 s3, exec_lo
	v_cmpx_lt_u32_e32 1, v35
; %bb.18:
	s_delay_alu instid0(VALU_DEP_3) | instskip(SKIP_2) | instid1(VALU_DEP_2)
	v_add_co_u32 v17, vcc_lo, v15, v13
	s_wait_alu 0xfffd
	v_add_co_ci_u32_e64 v14, null, 0, v16, vcc_lo
	v_add_co_u32 v13, vcc_lo, 0, v17
	s_wait_alu 0xfffd
	s_delay_alu instid0(VALU_DEP_2) | instskip(NEXT) | instid1(VALU_DEP_1)
	v_add_co_ci_u32_e64 v14, null, v18, v14, vcc_lo
	v_dual_mov_b32 v16, v14 :: v_dual_mov_b32 v15, v13
; %bb.19:
	s_wait_alu 0xfffe
	s_or_b32 exec_lo, exec_lo, s3
	v_mov_b32_dpp v13, v17 row_shr:4 row_mask:0xf bank_mask:0xf
	v_mov_b32_dpp v18, v14 row_shr:4 row_mask:0xf bank_mask:0xf
	s_mov_b32 s3, exec_lo
	v_cmpx_lt_u32_e32 3, v35
; %bb.20:
	s_delay_alu instid0(VALU_DEP_3) | instskip(SKIP_2) | instid1(VALU_DEP_2)
	v_add_co_u32 v17, vcc_lo, v15, v13
	s_wait_alu 0xfffd
	v_add_co_ci_u32_e64 v14, null, 0, v16, vcc_lo
	v_add_co_u32 v13, vcc_lo, 0, v17
	s_wait_alu 0xfffd
	s_delay_alu instid0(VALU_DEP_2) | instskip(NEXT) | instid1(VALU_DEP_1)
	v_add_co_ci_u32_e64 v14, null, v18, v14, vcc_lo
	v_dual_mov_b32 v16, v14 :: v_dual_mov_b32 v15, v13
; %bb.21:
	s_wait_alu 0xfffe
	s_or_b32 exec_lo, exec_lo, s3
	v_mov_b32_dpp v18, v17 row_shr:8 row_mask:0xf bank_mask:0xf
	v_mov_b32_dpp v13, v14 row_shr:8 row_mask:0xf bank_mask:0xf
	s_mov_b32 s3, exec_lo
	v_cmpx_lt_u32_e32 7, v35
; %bb.22:
	s_delay_alu instid0(VALU_DEP_3) | instskip(SKIP_2) | instid1(VALU_DEP_2)
	v_add_co_u32 v17, vcc_lo, v15, v18
	s_wait_alu 0xfffd
	v_add_co_ci_u32_e64 v14, null, 0, v16, vcc_lo
	v_add_co_u32 v15, vcc_lo, 0, v17
	s_wait_alu 0xfffd
	s_delay_alu instid0(VALU_DEP_2) | instskip(NEXT) | instid1(VALU_DEP_1)
	v_add_co_ci_u32_e64 v16, null, v13, v14, vcc_lo
	v_mov_b32_e32 v14, v16
; %bb.23:
	s_wait_alu 0xfffe
	s_or_b32 exec_lo, exec_lo, s3
	ds_swizzle_b32 v13, v17 offset:swizzle(BROADCAST,32,15)
	ds_swizzle_b32 v18, v14 offset:swizzle(BROADCAST,32,15)
	v_and_b32_e32 v19, 16, v34
	s_mov_b32 s3, exec_lo
	s_delay_alu instid0(VALU_DEP_1)
	v_cmpx_ne_u32_e32 0, v19
	s_cbranch_execz .LBB1826_25
; %bb.24:
	s_wait_dscnt 0x1
	v_add_co_u32 v17, vcc_lo, v15, v13
	s_wait_alu 0xfffd
	v_add_co_ci_u32_e64 v14, null, 0, v16, vcc_lo
	s_delay_alu instid0(VALU_DEP_2) | instskip(SKIP_2) | instid1(VALU_DEP_2)
	v_add_co_u32 v13, vcc_lo, 0, v17
	s_wait_dscnt 0x0
	s_wait_alu 0xfffd
	v_add_co_ci_u32_e64 v14, null, v18, v14, vcc_lo
	s_delay_alu instid0(VALU_DEP_1)
	v_dual_mov_b32 v16, v14 :: v_dual_mov_b32 v15, v13
.LBB1826_25:
	s_wait_alu 0xfffe
	s_or_b32 exec_lo, exec_lo, s3
	s_wait_dscnt 0x0
	v_or_b32_e32 v18, 31, v0
	v_lshrrev_b32_e32 v13, 5, v0
	s_mov_b32 s3, exec_lo
	s_delay_alu instid0(VALU_DEP_2)
	v_cmpx_eq_u32_e64 v0, v18
; %bb.26:
	s_delay_alu instid0(VALU_DEP_2)
	v_lshlrev_b32_e32 v18, 3, v13
	ds_store_b64 v18, v[15:16]
; %bb.27:
	s_wait_alu 0xfffe
	s_or_b32 exec_lo, exec_lo, s3
	s_delay_alu instid0(SALU_CYCLE_1)
	s_mov_b32 s3, exec_lo
	s_wait_loadcnt_dscnt 0x0
	s_barrier_signal -1
	s_barrier_wait -1
	global_inv scope:SCOPE_SE
	v_cmpx_gt_u32_e32 8, v0
	s_cbranch_execz .LBB1826_35
; %bb.28:
	v_lshlrev_b32_e32 v18, 3, v0
	s_mov_b32 s4, exec_lo
	ds_load_b64 v[15:16], v18
	s_wait_dscnt 0x0
	v_dual_mov_b32 v20, v15 :: v_dual_and_b32 v19, 7, v34
	v_mov_b32_dpp v24, v15 row_shr:1 row_mask:0xf bank_mask:0xf
	v_mov_b32_dpp v23, v16 row_shr:1 row_mask:0xf bank_mask:0xf
	s_delay_alu instid0(VALU_DEP_3)
	v_cmpx_ne_u32_e32 0, v19
; %bb.29:
	s_delay_alu instid0(VALU_DEP_3) | instskip(SKIP_2) | instid1(VALU_DEP_2)
	v_add_co_u32 v20, vcc_lo, v15, v24
	s_wait_alu 0xfffd
	v_add_co_ci_u32_e64 v16, null, 0, v16, vcc_lo
	v_add_co_u32 v15, vcc_lo, 0, v20
	s_wait_alu 0xfffd
	s_delay_alu instid0(VALU_DEP_2)
	v_add_co_ci_u32_e64 v16, null, v23, v16, vcc_lo
; %bb.30:
	s_wait_alu 0xfffe
	s_or_b32 exec_lo, exec_lo, s4
	v_mov_b32_dpp v24, v20 row_shr:2 row_mask:0xf bank_mask:0xf
	s_delay_alu instid0(VALU_DEP_2)
	v_mov_b32_dpp v23, v16 row_shr:2 row_mask:0xf bank_mask:0xf
	s_mov_b32 s4, exec_lo
	v_cmpx_lt_u32_e32 1, v19
; %bb.31:
	s_delay_alu instid0(VALU_DEP_3) | instskip(SKIP_2) | instid1(VALU_DEP_2)
	v_add_co_u32 v20, vcc_lo, v15, v24
	s_wait_alu 0xfffd
	v_add_co_ci_u32_e64 v16, null, 0, v16, vcc_lo
	v_add_co_u32 v15, vcc_lo, 0, v20
	s_wait_alu 0xfffd
	s_delay_alu instid0(VALU_DEP_2)
	v_add_co_ci_u32_e64 v16, null, v23, v16, vcc_lo
; %bb.32:
	s_wait_alu 0xfffe
	s_or_b32 exec_lo, exec_lo, s4
	v_mov_b32_dpp v23, v20 row_shr:4 row_mask:0xf bank_mask:0xf
	s_delay_alu instid0(VALU_DEP_2)
	v_mov_b32_dpp v20, v16 row_shr:4 row_mask:0xf bank_mask:0xf
	s_mov_b32 s4, exec_lo
	v_cmpx_lt_u32_e32 3, v19
; %bb.33:
	s_delay_alu instid0(VALU_DEP_3) | instskip(SKIP_2) | instid1(VALU_DEP_2)
	v_add_co_u32 v15, vcc_lo, v15, v23
	s_wait_alu 0xfffd
	v_add_co_ci_u32_e64 v16, null, 0, v16, vcc_lo
	v_add_co_u32 v15, vcc_lo, v15, 0
	s_wait_alu 0xfffd
	s_delay_alu instid0(VALU_DEP_2)
	v_add_co_ci_u32_e64 v16, null, v16, v20, vcc_lo
; %bb.34:
	s_wait_alu 0xfffe
	s_or_b32 exec_lo, exec_lo, s4
	ds_store_b64 v18, v[15:16]
.LBB1826_35:
	s_wait_alu 0xfffe
	s_or_b32 exec_lo, exec_lo, s3
	s_delay_alu instid0(SALU_CYCLE_1)
	s_mov_b32 s4, exec_lo
	v_cmp_gt_u32_e32 vcc_lo, 32, v0
	s_wait_loadcnt_dscnt 0x0
	s_barrier_signal -1
	s_barrier_wait -1
	global_inv scope:SCOPE_SE
                                        ; implicit-def: $vgpr23_vgpr24
	v_cmpx_lt_u32_e32 31, v0
	s_cbranch_execz .LBB1826_37
; %bb.36:
	v_lshl_add_u32 v13, v13, 3, -8
	ds_load_b64 v[23:24], v13
	s_wait_dscnt 0x0
	v_add_co_u32 v17, s3, v17, v23
	s_wait_alu 0xf1ff
	v_add_co_ci_u32_e64 v14, null, v14, v24, s3
.LBB1826_37:
	s_wait_alu 0xfffe
	s_or_b32 exec_lo, exec_lo, s4
	v_sub_co_u32 v13, s3, v34, 1
	s_delay_alu instid0(VALU_DEP_1) | instskip(SKIP_1) | instid1(VALU_DEP_1)
	v_cmp_gt_i32_e64 s4, 0, v13
	s_wait_alu 0xf1ff
	v_cndmask_b32_e64 v13, v13, v34, s4
	s_delay_alu instid0(VALU_DEP_1)
	v_lshlrev_b32_e32 v13, 2, v13
	ds_bpermute_b32 v36, v13, v17
	ds_bpermute_b32 v37, v13, v14
	s_and_saveexec_b32 s4, vcc_lo
	s_cbranch_execz .LBB1826_76
; %bb.38:
	v_mov_b32_e32 v16, 0
	ds_load_b64 v[13:14], v16 offset:56
	s_and_saveexec_b32 s5, s3
	s_cbranch_execz .LBB1826_40
; %bb.39:
	s_add_co_i32 s12, ttmp9, 32
	s_mov_b32 s13, 0
	s_wait_alu 0xfffe
	s_lshl_b64 s[12:13], s[12:13], 4
	s_wait_kmcnt 0x0
	s_wait_alu 0xfffe
	s_add_nc_u64 s[12:13], s[6:7], s[12:13]
	s_wait_alu 0xfffe
	v_dual_mov_b32 v15, 1 :: v_dual_mov_b32 v18, s13
	v_mov_b32_e32 v17, s12
	s_wait_dscnt 0x0
	;;#ASMSTART
	global_store_b128 v[17:18], v[13:16] off scope:SCOPE_DEV	
s_wait_storecnt 0x0
	;;#ASMEND
.LBB1826_40:
	s_wait_alu 0xfffe
	s_or_b32 exec_lo, exec_lo, s5
	v_xad_u32 v25, v34, -1, ttmp9
	s_mov_b32 s12, 0
	s_mov_b32 s5, exec_lo
	s_delay_alu instid0(VALU_DEP_1) | instskip(NEXT) | instid1(VALU_DEP_1)
	v_add_nc_u32_e32 v15, 32, v25
	v_lshlrev_b64_e32 v[15:16], 4, v[15:16]
	s_wait_kmcnt 0x0
	s_delay_alu instid0(VALU_DEP_1) | instskip(SKIP_1) | instid1(VALU_DEP_2)
	v_add_co_u32 v15, vcc_lo, s6, v15
	s_wait_alu 0xfffd
	v_add_co_ci_u32_e64 v16, null, s7, v16, vcc_lo
	;;#ASMSTART
	global_load_b128 v[17:20], v[15:16] off scope:SCOPE_DEV	
s_wait_loadcnt 0x0
	;;#ASMEND
	v_and_b32_e32 v20, 0xff, v19
	s_delay_alu instid0(VALU_DEP_1)
	v_cmpx_eq_u16_e32 0, v20
	s_cbranch_execz .LBB1826_43
.LBB1826_41:                            ; =>This Inner Loop Header: Depth=1
	;;#ASMSTART
	global_load_b128 v[17:20], v[15:16] off scope:SCOPE_DEV	
s_wait_loadcnt 0x0
	;;#ASMEND
	v_and_b32_e32 v20, 0xff, v19
	s_delay_alu instid0(VALU_DEP_1)
	v_cmp_ne_u16_e32 vcc_lo, 0, v20
	s_wait_alu 0xfffe
	s_or_b32 s12, vcc_lo, s12
	s_wait_alu 0xfffe
	s_and_not1_b32 exec_lo, exec_lo, s12
	s_cbranch_execnz .LBB1826_41
; %bb.42:
	s_or_b32 exec_lo, exec_lo, s12
.LBB1826_43:
	s_wait_alu 0xfffe
	s_or_b32 exec_lo, exec_lo, s5
	v_cmp_ne_u32_e32 vcc_lo, 31, v34
	v_and_b32_e32 v16, 0xff, v19
	v_lshlrev_b32_e64 v39, v34, -1
	s_mov_b32 s5, exec_lo
	s_wait_alu 0xfffd
	v_add_co_ci_u32_e64 v15, null, 0, v34, vcc_lo
	v_cmp_eq_u16_e32 vcc_lo, 2, v16
	v_mov_b32_e32 v16, v17
	s_delay_alu instid0(VALU_DEP_3)
	v_lshlrev_b32_e32 v38, 2, v15
	s_wait_alu 0xfffd
	v_and_or_b32 v15, vcc_lo, v39, 0x80000000
	ds_bpermute_b32 v26, v38, v17
	ds_bpermute_b32 v20, v38, v18
	v_ctz_i32_b32_e32 v15, v15
	s_delay_alu instid0(VALU_DEP_1)
	v_cmpx_lt_u32_e64 v34, v15
	s_cbranch_execz .LBB1826_45
; %bb.44:
	s_wait_dscnt 0x1
	v_add_co_u32 v16, vcc_lo, v17, v26
	s_wait_alu 0xfffd
	v_add_co_ci_u32_e64 v18, null, 0, v18, vcc_lo
	s_delay_alu instid0(VALU_DEP_2) | instskip(SKIP_2) | instid1(VALU_DEP_2)
	v_add_co_u32 v17, vcc_lo, 0, v16
	s_wait_dscnt 0x0
	s_wait_alu 0xfffd
	v_add_co_ci_u32_e64 v18, null, v20, v18, vcc_lo
.LBB1826_45:
	s_wait_alu 0xfffe
	s_or_b32 exec_lo, exec_lo, s5
	v_cmp_gt_u32_e32 vcc_lo, 30, v34
	v_add_nc_u32_e32 v41, 2, v34
	s_mov_b32 s5, exec_lo
	s_wait_dscnt 0x0
	s_wait_alu 0xfffd
	v_cndmask_b32_e64 v20, 0, 2, vcc_lo
	s_delay_alu instid0(VALU_DEP_1)
	v_add_lshl_u32 v40, v20, v34, 2
	ds_bpermute_b32 v26, v40, v16
	ds_bpermute_b32 v20, v40, v18
	v_cmpx_le_u32_e64 v41, v15
	s_cbranch_execz .LBB1826_47
; %bb.46:
	s_wait_dscnt 0x1
	v_add_co_u32 v16, vcc_lo, v17, v26
	s_wait_alu 0xfffd
	v_add_co_ci_u32_e64 v18, null, 0, v18, vcc_lo
	s_delay_alu instid0(VALU_DEP_2) | instskip(SKIP_2) | instid1(VALU_DEP_2)
	v_add_co_u32 v17, vcc_lo, 0, v16
	s_wait_dscnt 0x0
	s_wait_alu 0xfffd
	v_add_co_ci_u32_e64 v18, null, v20, v18, vcc_lo
.LBB1826_47:
	s_wait_alu 0xfffe
	s_or_b32 exec_lo, exec_lo, s5
	v_cmp_gt_u32_e32 vcc_lo, 28, v34
	v_add_nc_u32_e32 v43, 4, v34
	s_mov_b32 s5, exec_lo
	s_wait_dscnt 0x0
	s_wait_alu 0xfffd
	v_cndmask_b32_e64 v20, 0, 4, vcc_lo
	s_delay_alu instid0(VALU_DEP_1)
	v_add_lshl_u32 v42, v20, v34, 2
	ds_bpermute_b32 v26, v42, v16
	ds_bpermute_b32 v20, v42, v18
	v_cmpx_le_u32_e64 v43, v15
	;; [unrolled: 25-line block ×3, first 2 shown]
	s_cbranch_execz .LBB1826_51
; %bb.50:
	s_wait_dscnt 0x1
	v_add_co_u32 v16, vcc_lo, v17, v26
	s_wait_alu 0xfffd
	v_add_co_ci_u32_e64 v18, null, 0, v18, vcc_lo
	s_delay_alu instid0(VALU_DEP_2) | instskip(SKIP_2) | instid1(VALU_DEP_2)
	v_add_co_u32 v17, vcc_lo, 0, v16
	s_wait_dscnt 0x0
	s_wait_alu 0xfffd
	v_add_co_ci_u32_e64 v18, null, v20, v18, vcc_lo
.LBB1826_51:
	s_wait_alu 0xfffe
	s_or_b32 exec_lo, exec_lo, s5
	v_lshl_or_b32 v46, v34, 2, 64
	v_add_nc_u32_e32 v47, 16, v34
	s_mov_b32 s5, exec_lo
	s_wait_dscnt 0x0
	ds_bpermute_b32 v20, v46, v16
	ds_bpermute_b32 v16, v46, v18
	v_cmpx_le_u32_e64 v47, v15
	s_cbranch_execz .LBB1826_53
; %bb.52:
	s_wait_dscnt 0x1
	v_add_co_u32 v15, vcc_lo, v17, v20
	s_wait_alu 0xfffd
	v_add_co_ci_u32_e64 v18, null, 0, v18, vcc_lo
	s_delay_alu instid0(VALU_DEP_2) | instskip(SKIP_2) | instid1(VALU_DEP_2)
	v_add_co_u32 v17, vcc_lo, v15, 0
	s_wait_dscnt 0x0
	s_wait_alu 0xfffd
	v_add_co_ci_u32_e64 v18, null, v18, v16, vcc_lo
.LBB1826_53:
	s_wait_alu 0xfffe
	s_or_b32 exec_lo, exec_lo, s5
	v_mov_b32_e32 v26, 0
	s_branch .LBB1826_56
.LBB1826_54:                            ;   in Loop: Header=BB1826_56 Depth=1
	s_wait_alu 0xfffe
	s_or_b32 exec_lo, exec_lo, s5
	v_add_co_u32 v17, vcc_lo, v17, v15
	v_subrev_nc_u32_e32 v25, 32, v25
	s_wait_alu 0xfffd
	v_add_co_ci_u32_e64 v18, null, v18, v16, vcc_lo
	s_mov_b32 s5, 0
.LBB1826_55:                            ;   in Loop: Header=BB1826_56 Depth=1
	s_wait_alu 0xfffe
	s_and_b32 vcc_lo, exec_lo, s5
	s_wait_alu 0xfffe
	s_cbranch_vccnz .LBB1826_72
.LBB1826_56:                            ; =>This Loop Header: Depth=1
                                        ;     Child Loop BB1826_59 Depth 2
	v_and_b32_e32 v15, 0xff, v19
	s_mov_b32 s5, -1
	s_delay_alu instid0(VALU_DEP_1)
	v_cmp_ne_u16_e32 vcc_lo, 2, v15
	s_wait_dscnt 0x0
	v_dual_mov_b32 v15, v17 :: v_dual_mov_b32 v16, v18
                                        ; implicit-def: $vgpr17_vgpr18
	s_cmp_lg_u32 vcc_lo, exec_lo
	s_cbranch_scc1 .LBB1826_55
; %bb.57:                               ;   in Loop: Header=BB1826_56 Depth=1
	v_lshlrev_b64_e32 v[17:18], 4, v[25:26]
	s_mov_b32 s5, exec_lo
	s_delay_alu instid0(VALU_DEP_1) | instskip(SKIP_1) | instid1(VALU_DEP_2)
	v_add_co_u32 v27, vcc_lo, s6, v17
	s_wait_alu 0xfffd
	v_add_co_ci_u32_e64 v28, null, s7, v18, vcc_lo
	;;#ASMSTART
	global_load_b128 v[17:20], v[27:28] off scope:SCOPE_DEV	
s_wait_loadcnt 0x0
	;;#ASMEND
	v_and_b32_e32 v20, 0xff, v19
	s_delay_alu instid0(VALU_DEP_1)
	v_cmpx_eq_u16_e32 0, v20
	s_cbranch_execz .LBB1826_61
; %bb.58:                               ;   in Loop: Header=BB1826_56 Depth=1
	s_mov_b32 s12, 0
.LBB1826_59:                            ;   Parent Loop BB1826_56 Depth=1
                                        ; =>  This Inner Loop Header: Depth=2
	;;#ASMSTART
	global_load_b128 v[17:20], v[27:28] off scope:SCOPE_DEV	
s_wait_loadcnt 0x0
	;;#ASMEND
	v_and_b32_e32 v20, 0xff, v19
	s_delay_alu instid0(VALU_DEP_1)
	v_cmp_ne_u16_e32 vcc_lo, 0, v20
	s_wait_alu 0xfffe
	s_or_b32 s12, vcc_lo, s12
	s_wait_alu 0xfffe
	s_and_not1_b32 exec_lo, exec_lo, s12
	s_cbranch_execnz .LBB1826_59
; %bb.60:                               ;   in Loop: Header=BB1826_56 Depth=1
	s_or_b32 exec_lo, exec_lo, s12
.LBB1826_61:                            ;   in Loop: Header=BB1826_56 Depth=1
	s_wait_alu 0xfffe
	s_or_b32 exec_lo, exec_lo, s5
	v_dual_mov_b32 v27, v17 :: v_dual_and_b32 v20, 0xff, v19
	ds_bpermute_b32 v48, v38, v17
	ds_bpermute_b32 v28, v38, v18
	s_mov_b32 s5, exec_lo
	v_cmp_eq_u16_e32 vcc_lo, 2, v20
	s_wait_alu 0xfffd
	v_and_or_b32 v20, vcc_lo, v39, 0x80000000
	s_delay_alu instid0(VALU_DEP_1) | instskip(NEXT) | instid1(VALU_DEP_1)
	v_ctz_i32_b32_e32 v20, v20
	v_cmpx_lt_u32_e64 v34, v20
	s_cbranch_execz .LBB1826_63
; %bb.62:                               ;   in Loop: Header=BB1826_56 Depth=1
	s_wait_dscnt 0x1
	v_add_co_u32 v27, vcc_lo, v17, v48
	s_wait_alu 0xfffd
	v_add_co_ci_u32_e64 v18, null, 0, v18, vcc_lo
	s_delay_alu instid0(VALU_DEP_2) | instskip(SKIP_2) | instid1(VALU_DEP_2)
	v_add_co_u32 v17, vcc_lo, 0, v27
	s_wait_dscnt 0x0
	s_wait_alu 0xfffd
	v_add_co_ci_u32_e64 v18, null, v28, v18, vcc_lo
.LBB1826_63:                            ;   in Loop: Header=BB1826_56 Depth=1
	s_wait_alu 0xfffe
	s_or_b32 exec_lo, exec_lo, s5
	s_wait_dscnt 0x1
	ds_bpermute_b32 v48, v40, v27
	s_wait_dscnt 0x1
	ds_bpermute_b32 v28, v40, v18
	s_mov_b32 s5, exec_lo
	v_cmpx_le_u32_e64 v41, v20
	s_cbranch_execz .LBB1826_65
; %bb.64:                               ;   in Loop: Header=BB1826_56 Depth=1
	s_wait_dscnt 0x1
	v_add_co_u32 v27, vcc_lo, v17, v48
	s_wait_alu 0xfffd
	v_add_co_ci_u32_e64 v18, null, 0, v18, vcc_lo
	s_delay_alu instid0(VALU_DEP_2) | instskip(SKIP_2) | instid1(VALU_DEP_2)
	v_add_co_u32 v17, vcc_lo, 0, v27
	s_wait_dscnt 0x0
	s_wait_alu 0xfffd
	v_add_co_ci_u32_e64 v18, null, v28, v18, vcc_lo
.LBB1826_65:                            ;   in Loop: Header=BB1826_56 Depth=1
	s_wait_alu 0xfffe
	s_or_b32 exec_lo, exec_lo, s5
	s_wait_dscnt 0x1
	ds_bpermute_b32 v48, v42, v27
	s_wait_dscnt 0x1
	ds_bpermute_b32 v28, v42, v18
	s_mov_b32 s5, exec_lo
	v_cmpx_le_u32_e64 v43, v20
	;; [unrolled: 20-line block ×3, first 2 shown]
	s_cbranch_execz .LBB1826_69
; %bb.68:                               ;   in Loop: Header=BB1826_56 Depth=1
	s_wait_dscnt 0x1
	v_add_co_u32 v27, vcc_lo, v17, v48
	s_wait_alu 0xfffd
	v_add_co_ci_u32_e64 v18, null, 0, v18, vcc_lo
	s_delay_alu instid0(VALU_DEP_2) | instskip(SKIP_2) | instid1(VALU_DEP_2)
	v_add_co_u32 v17, vcc_lo, 0, v27
	s_wait_dscnt 0x0
	s_wait_alu 0xfffd
	v_add_co_ci_u32_e64 v18, null, v28, v18, vcc_lo
.LBB1826_69:                            ;   in Loop: Header=BB1826_56 Depth=1
	s_wait_alu 0xfffe
	s_or_b32 exec_lo, exec_lo, s5
	s_wait_dscnt 0x0
	ds_bpermute_b32 v28, v46, v27
	ds_bpermute_b32 v27, v46, v18
	s_mov_b32 s5, exec_lo
	v_cmpx_le_u32_e64 v47, v20
	s_cbranch_execz .LBB1826_54
; %bb.70:                               ;   in Loop: Header=BB1826_56 Depth=1
	s_wait_dscnt 0x1
	v_add_co_u32 v17, vcc_lo, v17, v28
	s_wait_alu 0xfffd
	v_add_co_ci_u32_e64 v18, null, 0, v18, vcc_lo
	s_delay_alu instid0(VALU_DEP_2) | instskip(SKIP_2) | instid1(VALU_DEP_2)
	v_add_co_u32 v17, vcc_lo, v17, 0
	s_wait_dscnt 0x0
	s_wait_alu 0xfffd
	v_add_co_ci_u32_e64 v18, null, v18, v27, vcc_lo
	s_branch .LBB1826_54
.LBB1826_71:
                                        ; implicit-def: $vgpr17_vgpr18
                                        ; implicit-def: $vgpr19_vgpr20
                                        ; implicit-def: $vgpr23_vgpr24
                                        ; implicit-def: $vgpr15_vgpr16
	s_load_b64 s[4:5], s[0:1], 0x30
	s_and_b32 vcc_lo, exec_lo, s3
	s_cbranch_vccnz .LBB1826_77
	s_branch .LBB1826_102
.LBB1826_72:
	s_and_saveexec_b32 s5, s3
	s_cbranch_execz .LBB1826_74
; %bb.73:
	s_add_co_i32 s12, ttmp9, 32
	s_mov_b32 s13, 0
	v_add_co_u32 v17, vcc_lo, v15, v13
	s_wait_alu 0xfffe
	s_lshl_b64 s[12:13], s[12:13], 4
	v_dual_mov_b32 v19, 2 :: v_dual_mov_b32 v20, 0
	s_wait_alu 0xfffe
	s_add_nc_u64 s[12:13], s[6:7], s[12:13]
	s_wait_alu 0xfffd
	v_add_co_ci_u32_e64 v18, null, v16, v14, vcc_lo
	s_wait_alu 0xfffe
	v_dual_mov_b32 v26, s13 :: v_dual_mov_b32 v25, s12
	;;#ASMSTART
	global_store_b128 v[25:26], v[17:20] off scope:SCOPE_DEV	
s_wait_storecnt 0x0
	;;#ASMEND
	ds_store_b128 v20, v[13:16] offset:12288
.LBB1826_74:
	s_wait_alu 0xfffe
	s_or_b32 exec_lo, exec_lo, s5
	v_cmp_eq_u32_e32 vcc_lo, 0, v0
	s_and_b32 exec_lo, exec_lo, vcc_lo
; %bb.75:
	v_mov_b32_e32 v13, 0
	ds_store_b64 v13, v[15:16] offset:56
.LBB1826_76:
	s_wait_alu 0xfffe
	s_or_b32 exec_lo, exec_lo, s4
	s_wait_dscnt 0x1
	v_cndmask_b32_e64 v14, v36, v23, s3
	v_cmp_ne_u32_e32 vcc_lo, 0, v0
	v_mov_b32_e32 v13, 0
	s_wait_loadcnt_dscnt 0x0
	s_barrier_signal -1
	s_barrier_wait -1
	global_inv scope:SCOPE_SE
	s_wait_alu 0xfffd
	v_cndmask_b32_e32 v20, 0, v14, vcc_lo
	ds_load_b64 v[17:18], v13 offset:56
	v_cndmask_b32_e64 v15, v37, v24, s3
	s_wait_loadcnt_dscnt 0x0
	s_barrier_signal -1
	s_barrier_wait -1
	global_inv scope:SCOPE_SE
	v_cndmask_b32_e32 v19, 0, v15, vcc_lo
	ds_load_b128 v[13:16], v13 offset:12288
	v_add_co_u32 v23, vcc_lo, v17, v20
	s_wait_alu 0xfffd
	v_add_co_ci_u32_e64 v24, null, v18, v19, vcc_lo
	s_delay_alu instid0(VALU_DEP_2) | instskip(SKIP_1) | instid1(VALU_DEP_2)
	v_add_co_u32 v19, vcc_lo, v23, v33
	s_wait_alu 0xfffd
	v_add_co_ci_u32_e64 v20, null, 0, v24, vcc_lo
	s_delay_alu instid0(VALU_DEP_2) | instskip(SKIP_1) | instid1(VALU_DEP_2)
	v_add_co_u32 v17, vcc_lo, v19, v32
	s_wait_alu 0xfffd
	v_add_co_ci_u32_e64 v18, null, 0, v20, vcc_lo
	s_load_b64 s[4:5], s[0:1], 0x30
	s_branch .LBB1826_102
.LBB1826_77:
	s_wait_dscnt 0x0
	v_dual_mov_b32 v14, 0 :: v_dual_mov_b32 v15, v21
	v_mov_b32_dpp v16, v21 row_shr:1 row_mask:0xf bank_mask:0xf
	s_delay_alu instid0(VALU_DEP_2)
	v_mov_b32_dpp v13, v14 row_shr:1 row_mask:0xf bank_mask:0xf
	s_and_saveexec_b32 s0, s2
; %bb.78:
	s_delay_alu instid0(VALU_DEP_2) | instskip(NEXT) | instid1(VALU_DEP_1)
	v_add_co_u32 v15, s1, v21, v16
	v_add_co_ci_u32_e64 v14, null, 0, 0, s1
	s_delay_alu instid0(VALU_DEP_2) | instskip(NEXT) | instid1(VALU_DEP_1)
	v_add_co_u32 v21, vcc_lo, 0, v15
	v_add_co_ci_u32_e64 v22, null, v13, v14, vcc_lo
	s_delay_alu instid0(VALU_DEP_1)
	v_mov_b32_e32 v14, v22
; %bb.79:
	s_or_b32 exec_lo, exec_lo, s0
	v_mov_b32_dpp v13, v15 row_shr:2 row_mask:0xf bank_mask:0xf
	s_delay_alu instid0(VALU_DEP_2)
	v_mov_b32_dpp v16, v14 row_shr:2 row_mask:0xf bank_mask:0xf
	s_mov_b32 s0, exec_lo
	v_cmpx_lt_u32_e32 1, v35
; %bb.80:
	s_delay_alu instid0(VALU_DEP_3) | instskip(SKIP_2) | instid1(VALU_DEP_2)
	v_add_co_u32 v15, vcc_lo, v21, v13
	s_wait_alu 0xfffd
	v_add_co_ci_u32_e64 v14, null, 0, v22, vcc_lo
	v_add_co_u32 v13, vcc_lo, 0, v15
	s_wait_alu 0xfffd
	s_delay_alu instid0(VALU_DEP_2) | instskip(NEXT) | instid1(VALU_DEP_1)
	v_add_co_ci_u32_e64 v14, null, v16, v14, vcc_lo
	v_dual_mov_b32 v22, v14 :: v_dual_mov_b32 v21, v13
; %bb.81:
	s_wait_alu 0xfffe
	s_or_b32 exec_lo, exec_lo, s0
	v_mov_b32_dpp v13, v15 row_shr:4 row_mask:0xf bank_mask:0xf
	v_mov_b32_dpp v16, v14 row_shr:4 row_mask:0xf bank_mask:0xf
	s_mov_b32 s0, exec_lo
	v_cmpx_lt_u32_e32 3, v35
; %bb.82:
	s_delay_alu instid0(VALU_DEP_3) | instskip(SKIP_2) | instid1(VALU_DEP_2)
	v_add_co_u32 v15, vcc_lo, v21, v13
	s_wait_alu 0xfffd
	v_add_co_ci_u32_e64 v14, null, 0, v22, vcc_lo
	v_add_co_u32 v13, vcc_lo, 0, v15
	s_wait_alu 0xfffd
	s_delay_alu instid0(VALU_DEP_2) | instskip(NEXT) | instid1(VALU_DEP_1)
	v_add_co_ci_u32_e64 v14, null, v16, v14, vcc_lo
	v_dual_mov_b32 v22, v14 :: v_dual_mov_b32 v21, v13
; %bb.83:
	s_wait_alu 0xfffe
	s_or_b32 exec_lo, exec_lo, s0
	v_mov_b32_dpp v16, v15 row_shr:8 row_mask:0xf bank_mask:0xf
	v_mov_b32_dpp v13, v14 row_shr:8 row_mask:0xf bank_mask:0xf
	s_mov_b32 s0, exec_lo
	v_cmpx_lt_u32_e32 7, v35
; %bb.84:
	s_delay_alu instid0(VALU_DEP_3) | instskip(SKIP_2) | instid1(VALU_DEP_2)
	v_add_co_u32 v15, vcc_lo, v21, v16
	s_wait_alu 0xfffd
	v_add_co_ci_u32_e64 v14, null, 0, v22, vcc_lo
	v_add_co_u32 v21, vcc_lo, 0, v15
	s_wait_alu 0xfffd
	s_delay_alu instid0(VALU_DEP_2) | instskip(NEXT) | instid1(VALU_DEP_1)
	v_add_co_ci_u32_e64 v22, null, v13, v14, vcc_lo
	v_mov_b32_e32 v14, v22
; %bb.85:
	s_wait_alu 0xfffe
	s_or_b32 exec_lo, exec_lo, s0
	ds_swizzle_b32 v15, v15 offset:swizzle(BROADCAST,32,15)
	ds_swizzle_b32 v13, v14 offset:swizzle(BROADCAST,32,15)
	v_and_b32_e32 v14, 16, v34
	s_mov_b32 s0, exec_lo
	s_delay_alu instid0(VALU_DEP_1)
	v_cmpx_ne_u32_e32 0, v14
	s_cbranch_execz .LBB1826_87
; %bb.86:
	s_wait_dscnt 0x1
	v_add_co_u32 v14, vcc_lo, v21, v15
	s_wait_alu 0xfffd
	v_add_co_ci_u32_e64 v15, null, 0, v22, vcc_lo
	s_delay_alu instid0(VALU_DEP_2) | instskip(SKIP_2) | instid1(VALU_DEP_2)
	v_add_co_u32 v21, vcc_lo, v14, 0
	s_wait_dscnt 0x0
	s_wait_alu 0xfffd
	v_add_co_ci_u32_e64 v22, null, v15, v13, vcc_lo
.LBB1826_87:
	s_wait_alu 0xfffe
	s_or_b32 exec_lo, exec_lo, s0
	s_wait_dscnt 0x0
	v_or_b32_e32 v13, 31, v0
	v_lshrrev_b32_e32 v15, 5, v0
	s_mov_b32 s0, exec_lo
	s_delay_alu instid0(VALU_DEP_2)
	v_cmpx_eq_u32_e64 v0, v13
; %bb.88:
	s_delay_alu instid0(VALU_DEP_2)
	v_lshlrev_b32_e32 v13, 3, v15
	ds_store_b64 v13, v[21:22]
; %bb.89:
	s_wait_alu 0xfffe
	s_or_b32 exec_lo, exec_lo, s0
	s_delay_alu instid0(SALU_CYCLE_1)
	s_mov_b32 s0, exec_lo
	s_wait_loadcnt_dscnt 0x0
	s_barrier_signal -1
	s_barrier_wait -1
	global_inv scope:SCOPE_SE
	v_cmpx_gt_u32_e32 8, v0
	s_cbranch_execz .LBB1826_97
; %bb.90:
	v_mad_i32_i24 v13, 0xffffffd8, v0, v31
	s_mov_b32 s1, exec_lo
	ds_load_b64 v[13:14], v13
	s_wait_dscnt 0x0
	v_dual_mov_b32 v17, v13 :: v_dual_and_b32 v16, 7, v34
	v_mov_b32_dpp v19, v13 row_shr:1 row_mask:0xf bank_mask:0xf
	v_mov_b32_dpp v18, v14 row_shr:1 row_mask:0xf bank_mask:0xf
	s_delay_alu instid0(VALU_DEP_3)
	v_cmpx_ne_u32_e32 0, v16
; %bb.91:
	s_delay_alu instid0(VALU_DEP_3) | instskip(SKIP_2) | instid1(VALU_DEP_2)
	v_add_co_u32 v17, vcc_lo, v13, v19
	s_wait_alu 0xfffd
	v_add_co_ci_u32_e64 v14, null, 0, v14, vcc_lo
	v_add_co_u32 v13, vcc_lo, 0, v17
	s_wait_alu 0xfffd
	s_delay_alu instid0(VALU_DEP_2)
	v_add_co_ci_u32_e64 v14, null, v18, v14, vcc_lo
; %bb.92:
	s_wait_alu 0xfffe
	s_or_b32 exec_lo, exec_lo, s1
	v_mov_b32_dpp v19, v17 row_shr:2 row_mask:0xf bank_mask:0xf
	s_delay_alu instid0(VALU_DEP_2)
	v_mov_b32_dpp v18, v14 row_shr:2 row_mask:0xf bank_mask:0xf
	s_mov_b32 s1, exec_lo
	v_cmpx_lt_u32_e32 1, v16
; %bb.93:
	s_delay_alu instid0(VALU_DEP_3) | instskip(SKIP_2) | instid1(VALU_DEP_2)
	v_add_co_u32 v17, vcc_lo, v13, v19
	s_wait_alu 0xfffd
	v_add_co_ci_u32_e64 v14, null, 0, v14, vcc_lo
	v_add_co_u32 v13, vcc_lo, 0, v17
	s_wait_alu 0xfffd
	s_delay_alu instid0(VALU_DEP_2)
	v_add_co_ci_u32_e64 v14, null, v18, v14, vcc_lo
; %bb.94:
	s_wait_alu 0xfffe
	s_or_b32 exec_lo, exec_lo, s1
	v_mul_i32_i24_e32 v18, 0xffffffd8, v0
	v_mov_b32_dpp v19, v17 row_shr:4 row_mask:0xf bank_mask:0xf
	v_mov_b32_dpp v17, v14 row_shr:4 row_mask:0xf bank_mask:0xf
	s_mov_b32 s1, exec_lo
	v_cmpx_lt_u32_e32 3, v16
; %bb.95:
	s_delay_alu instid0(VALU_DEP_3) | instskip(SKIP_2) | instid1(VALU_DEP_2)
	v_add_co_u32 v13, vcc_lo, v13, v19
	s_wait_alu 0xfffd
	v_add_co_ci_u32_e64 v14, null, 0, v14, vcc_lo
	v_add_co_u32 v13, vcc_lo, v13, 0
	s_wait_alu 0xfffd
	s_delay_alu instid0(VALU_DEP_2)
	v_add_co_ci_u32_e64 v14, null, v14, v17, vcc_lo
; %bb.96:
	s_wait_alu 0xfffe
	s_or_b32 exec_lo, exec_lo, s1
	v_add_nc_u32_e32 v16, v31, v18
	ds_store_b64 v16, v[13:14]
.LBB1826_97:
	s_wait_alu 0xfffe
	s_or_b32 exec_lo, exec_lo, s0
	v_mov_b32_e32 v17, 0
	v_mov_b32_e32 v18, 0
	s_mov_b32 s0, exec_lo
	s_wait_loadcnt_dscnt 0x0
	s_barrier_signal -1
	s_barrier_wait -1
	global_inv scope:SCOPE_SE
	v_cmpx_lt_u32_e32 31, v0
; %bb.98:
	v_lshl_add_u32 v13, v15, 3, -8
	ds_load_b64 v[17:18], v13
; %bb.99:
	s_wait_alu 0xfffe
	s_or_b32 exec_lo, exec_lo, s0
	v_sub_co_u32 v13, vcc_lo, v34, 1
	v_mov_b32_e32 v16, 0
	s_delay_alu instid0(VALU_DEP_2) | instskip(SKIP_1) | instid1(VALU_DEP_1)
	v_cmp_gt_i32_e64 s0, 0, v13
	s_wait_alu 0xf1ff
	v_cndmask_b32_e64 v13, v13, v34, s0
	s_wait_dscnt 0x0
	v_add_co_u32 v14, s0, v17, v21
	s_wait_alu 0xf1ff
	v_add_co_ci_u32_e64 v15, null, v18, v22, s0
	v_lshlrev_b32_e32 v13, 2, v13
	v_cmp_eq_u32_e64 s0, 0, v0
	ds_bpermute_b32 v19, v13, v14
	ds_bpermute_b32 v20, v13, v15
	ds_load_b64 v[13:14], v16 offset:56
	s_and_saveexec_b32 s1, s0
	s_cbranch_execz .LBB1826_101
; %bb.100:
	s_wait_kmcnt 0x0
	s_add_nc_u64 s[2:3], s[6:7], 0x200
	s_wait_alu 0xfffe
	v_dual_mov_b32 v15, 2 :: v_dual_mov_b32 v22, s3
	v_mov_b32_e32 v21, s2
	s_wait_dscnt 0x0
	;;#ASMSTART
	global_store_b128 v[21:22], v[13:16] off scope:SCOPE_DEV	
s_wait_storecnt 0x0
	;;#ASMEND
.LBB1826_101:
	s_wait_alu 0xfffe
	s_or_b32 exec_lo, exec_lo, s1
	s_wait_dscnt 0x1
	s_wait_alu 0xfffd
	v_dual_cndmask_b32 v15, v19, v17 :: v_dual_cndmask_b32 v16, v20, v18
	s_wait_loadcnt_dscnt 0x0
	s_barrier_signal -1
	s_barrier_wait -1
	s_delay_alu instid0(VALU_DEP_1)
	v_cndmask_b32_e64 v23, v15, 0, s0
	v_cndmask_b32_e64 v24, v16, 0, s0
	v_mov_b32_e32 v15, 0
	v_mov_b32_e32 v16, 0
	global_inv scope:SCOPE_SE
	v_add_co_u32 v19, vcc_lo, v23, v33
	s_wait_alu 0xfffd
	v_add_co_ci_u32_e64 v20, null, 0, v24, vcc_lo
	s_delay_alu instid0(VALU_DEP_2) | instskip(SKIP_1) | instid1(VALU_DEP_2)
	v_add_co_u32 v17, vcc_lo, v19, v32
	s_wait_alu 0xfffd
	v_add_co_ci_u32_e64 v18, null, 0, v20, vcc_lo
.LBB1826_102:
	v_and_b32_e32 v25, 1, v30
	s_wait_dscnt 0x0
	v_cmp_gt_u64_e32 vcc_lo, 0x101, v[13:14]
	s_mov_b32 s1, -1
	s_delay_alu instid0(VALU_DEP_2)
	v_cmp_eq_u32_e64 s0, 1, v25
	s_cbranch_vccnz .LBB1826_106
; %bb.103:
	s_wait_alu 0xfffe
	s_and_b32 vcc_lo, exec_lo, s1
	s_wait_alu 0xfffe
	s_cbranch_vccnz .LBB1826_113
.LBB1826_104:
	v_cmp_eq_u32_e32 vcc_lo, 0, v0
	s_and_b32 s0, vcc_lo, s16
	s_wait_alu 0xfffe
	s_and_saveexec_b32 s1, s0
	s_cbranch_execnz .LBB1826_122
.LBB1826_105:
	s_endpgm
.LBB1826_106:
	v_add_co_u32 v21, vcc_lo, v15, v13
	s_wait_alu 0xfffd
	v_add_co_ci_u32_e64 v22, null, v16, v14, vcc_lo
	s_lshl_b64 s[2:3], s[10:11], 3
	s_wait_kmcnt 0x0
	s_wait_alu 0xfffe
	s_add_nc_u64 s[2:3], s[4:5], s[2:3]
	v_cmp_lt_u64_e32 vcc_lo, v[23:24], v[21:22]
	s_or_b32 s1, s17, vcc_lo
	s_wait_alu 0xfffe
	s_and_b32 s1, s1, s0
	s_wait_alu 0xfffe
	s_and_saveexec_b32 s0, s1
	s_cbranch_execz .LBB1826_108
; %bb.107:
	v_lshlrev_b64_e32 v[26:27], 3, v[23:24]
	s_delay_alu instid0(VALU_DEP_1) | instskip(SKIP_1) | instid1(VALU_DEP_2)
	v_add_co_u32 v26, vcc_lo, s2, v26
	s_wait_alu 0xfffd
	v_add_co_ci_u32_e64 v27, null, s3, v27, vcc_lo
	global_store_b64 v[26:27], v[9:10], off
.LBB1826_108:
	s_wait_alu 0xfffe
	s_or_b32 exec_lo, exec_lo, s0
	v_and_b32_e32 v24, 1, v29
	v_cmp_lt_u64_e32 vcc_lo, v[19:20], v[21:22]
	s_delay_alu instid0(VALU_DEP_2)
	v_cmp_eq_u32_e64 s0, 1, v24
	s_or_b32 s1, s17, vcc_lo
	s_wait_alu 0xfffe
	s_and_b32 s1, s1, s0
	s_wait_alu 0xfffe
	s_and_saveexec_b32 s0, s1
	s_cbranch_execz .LBB1826_110
; %bb.109:
	v_lshlrev_b64_e32 v[26:27], 3, v[19:20]
	s_delay_alu instid0(VALU_DEP_1) | instskip(SKIP_1) | instid1(VALU_DEP_2)
	v_add_co_u32 v26, vcc_lo, s2, v26
	s_wait_alu 0xfffd
	v_add_co_ci_u32_e64 v27, null, s3, v27, vcc_lo
	global_store_b64 v[26:27], v[5:6], off
.LBB1826_110:
	s_wait_alu 0xfffe
	s_or_b32 exec_lo, exec_lo, s0
	v_cmp_lt_u64_e32 vcc_lo, v[17:18], v[21:22]
	s_or_b32 s0, s17, vcc_lo
	s_wait_alu 0xfffe
	s_and_b32 s1, s0, s18
	s_wait_alu 0xfffe
	s_and_saveexec_b32 s0, s1
	s_cbranch_execz .LBB1826_112
; %bb.111:
	v_lshlrev_b64_e32 v[20:21], 3, v[17:18]
	s_delay_alu instid0(VALU_DEP_1) | instskip(SKIP_1) | instid1(VALU_DEP_2)
	v_add_co_u32 v20, vcc_lo, s2, v20
	s_wait_alu 0xfffd
	v_add_co_ci_u32_e64 v21, null, s3, v21, vcc_lo
	global_store_b64 v[20:21], v[1:2], off
.LBB1826_112:
	s_wait_alu 0xfffe
	s_or_b32 exec_lo, exec_lo, s0
	s_branch .LBB1826_104
.LBB1826_113:
	s_mov_b32 s0, exec_lo
	v_cmpx_eq_u32_e32 1, v25
; %bb.114:
	v_sub_nc_u32_e32 v18, v23, v15
	s_delay_alu instid0(VALU_DEP_1)
	v_lshlrev_b32_e32 v18, 4, v18
	ds_store_b128 v18, v[9:12]
; %bb.115:
	s_wait_alu 0xfffe
	s_or_b32 exec_lo, exec_lo, s0
	v_and_b32_e32 v9, 1, v29
	s_mov_b32 s0, exec_lo
	s_delay_alu instid0(VALU_DEP_1)
	v_cmpx_eq_u32_e32 1, v9
; %bb.116:
	v_sub_nc_u32_e32 v9, v19, v15
	s_delay_alu instid0(VALU_DEP_1)
	v_lshlrev_b32_e32 v9, 4, v9
	ds_store_b128 v9, v[5:8]
; %bb.117:
	s_wait_alu 0xfffe
	s_or_b32 exec_lo, exec_lo, s0
	s_and_saveexec_b32 s0, s18
; %bb.118:
	v_sub_nc_u32_e32 v5, v17, v15
	s_delay_alu instid0(VALU_DEP_1)
	v_lshlrev_b32_e32 v5, 4, v5
	ds_store_b128 v5, v[1:4]
; %bb.119:
	s_wait_alu 0xfffe
	s_or_b32 exec_lo, exec_lo, s0
	v_lshlrev_b64_e32 v[1:2], 3, v[15:16]
	v_mov_b32_e32 v3, 0
	s_lshl_b64 s[0:1], s[10:11], 3
	s_wait_storecnt 0x0
	s_wait_loadcnt_dscnt 0x0
	s_barrier_signal -1
	s_barrier_wait -1
	s_wait_kmcnt 0x0
	v_add_co_u32 v4, vcc_lo, s4, v1
	v_mov_b32_e32 v1, v3
	s_wait_alu 0xfffd
	v_add_co_ci_u32_e64 v2, null, s5, v2, vcc_lo
	s_wait_alu 0xfffe
	v_add_co_u32 v6, vcc_lo, v4, s0
	v_mov_b32_e32 v5, v1
	s_wait_alu 0xfffd
	v_add_co_ci_u32_e64 v7, null, s1, v2, vcc_lo
	v_or_b32_e32 v2, 0x100, v0
	v_mov_b32_e32 v4, v0
	s_mov_b32 s1, 0
	global_inv scope:SCOPE_SE
.LBB1826_120:                           ; =>This Inner Loop Header: Depth=1
	v_lshlrev_b32_e32 v1, 4, v4
	v_lshlrev_b64_e32 v[10:11], 3, v[4:5]
	v_dual_mov_b32 v5, v3 :: v_dual_mov_b32 v4, v2
	v_cmp_le_u64_e32 vcc_lo, v[13:14], v[2:3]
	ds_load_b64 v[8:9], v1
	v_add_nc_u32_e32 v2, 0x100, v2
	v_add_co_u32 v10, s0, v6, v10
	s_wait_alu 0xf1ff
	v_add_co_ci_u32_e64 v11, null, v7, v11, s0
	s_wait_alu 0xfffe
	s_or_b32 s1, vcc_lo, s1
	s_wait_dscnt 0x0
	global_store_b64 v[10:11], v[8:9], off
	s_wait_alu 0xfffe
	s_and_not1_b32 exec_lo, exec_lo, s1
	s_cbranch_execnz .LBB1826_120
; %bb.121:
	s_or_b32 exec_lo, exec_lo, s1
	v_cmp_eq_u32_e32 vcc_lo, 0, v0
	s_and_b32 s0, vcc_lo, s16
	s_wait_alu 0xfffe
	s_and_saveexec_b32 s1, s0
	s_cbranch_execz .LBB1826_105
.LBB1826_122:
	v_add_co_u32 v0, vcc_lo, v15, v13
	s_wait_alu 0xfffd
	v_add_co_ci_u32_e64 v1, null, v16, v14, vcc_lo
	v_mov_b32_e32 v2, 0
	s_delay_alu instid0(VALU_DEP_3) | instskip(SKIP_1) | instid1(VALU_DEP_3)
	v_add_co_u32 v0, vcc_lo, v0, s10
	s_wait_alu 0xfffd
	v_add_co_ci_u32_e64 v1, null, s11, v1, vcc_lo
	global_store_b64 v2, v[0:1], s[8:9]
	s_endpgm
	.section	.rodata,"a",@progbits
	.p2align	6, 0x0
	.amdhsa_kernel _ZN7rocprim17ROCPRIM_400000_NS6detail17trampoline_kernelINS0_14default_configENS1_25partition_config_selectorILNS1_17partition_subalgoE6EN6thrust23THRUST_200600_302600_NS5tupleIddNS7_9null_typeES9_S9_S9_S9_S9_S9_S9_EENS0_10empty_typeEbEEZZNS1_14partition_implILS5_6ELb0ES3_mNS7_12zip_iteratorINS8_INS7_6detail15normal_iteratorINS7_10device_ptrIdEEEESJ_S9_S9_S9_S9_S9_S9_S9_S9_EEEEPSB_SM_NS0_5tupleIJNSE_INS8_ISJ_NS7_16discard_iteratorINS7_11use_defaultEEES9_S9_S9_S9_S9_S9_S9_S9_EEEESB_EEENSN_IJSM_SM_EEESB_PlJNSF_9not_fun_tINSF_14equal_to_valueISA_EEEEEEE10hipError_tPvRmT3_T4_T5_T6_T7_T9_mT8_P12ihipStream_tbDpT10_ENKUlT_T0_E_clISt17integral_constantIbLb0EES1J_EEDaS1E_S1F_EUlS1E_E_NS1_11comp_targetILNS1_3genE10ELNS1_11target_archE1200ELNS1_3gpuE4ELNS1_3repE0EEENS1_30default_config_static_selectorELNS0_4arch9wavefront6targetE0EEEvT1_
		.amdhsa_group_segment_fixed_size 12304
		.amdhsa_private_segment_fixed_size 0
		.amdhsa_kernarg_size 152
		.amdhsa_user_sgpr_count 2
		.amdhsa_user_sgpr_dispatch_ptr 0
		.amdhsa_user_sgpr_queue_ptr 0
		.amdhsa_user_sgpr_kernarg_segment_ptr 1
		.amdhsa_user_sgpr_dispatch_id 0
		.amdhsa_user_sgpr_private_segment_size 0
		.amdhsa_wavefront_size32 1
		.amdhsa_uses_dynamic_stack 0
		.amdhsa_enable_private_segment 0
		.amdhsa_system_sgpr_workgroup_id_x 1
		.amdhsa_system_sgpr_workgroup_id_y 0
		.amdhsa_system_sgpr_workgroup_id_z 0
		.amdhsa_system_sgpr_workgroup_info 0
		.amdhsa_system_vgpr_workitem_id 0
		.amdhsa_next_free_vgpr 49
		.amdhsa_next_free_sgpr 22
		.amdhsa_reserve_vcc 1
		.amdhsa_float_round_mode_32 0
		.amdhsa_float_round_mode_16_64 0
		.amdhsa_float_denorm_mode_32 3
		.amdhsa_float_denorm_mode_16_64 3
		.amdhsa_fp16_overflow 0
		.amdhsa_workgroup_processor_mode 1
		.amdhsa_memory_ordered 1
		.amdhsa_forward_progress 1
		.amdhsa_inst_pref_size 46
		.amdhsa_round_robin_scheduling 0
		.amdhsa_exception_fp_ieee_invalid_op 0
		.amdhsa_exception_fp_denorm_src 0
		.amdhsa_exception_fp_ieee_div_zero 0
		.amdhsa_exception_fp_ieee_overflow 0
		.amdhsa_exception_fp_ieee_underflow 0
		.amdhsa_exception_fp_ieee_inexact 0
		.amdhsa_exception_int_div_zero 0
	.end_amdhsa_kernel
	.section	.text._ZN7rocprim17ROCPRIM_400000_NS6detail17trampoline_kernelINS0_14default_configENS1_25partition_config_selectorILNS1_17partition_subalgoE6EN6thrust23THRUST_200600_302600_NS5tupleIddNS7_9null_typeES9_S9_S9_S9_S9_S9_S9_EENS0_10empty_typeEbEEZZNS1_14partition_implILS5_6ELb0ES3_mNS7_12zip_iteratorINS8_INS7_6detail15normal_iteratorINS7_10device_ptrIdEEEESJ_S9_S9_S9_S9_S9_S9_S9_S9_EEEEPSB_SM_NS0_5tupleIJNSE_INS8_ISJ_NS7_16discard_iteratorINS7_11use_defaultEEES9_S9_S9_S9_S9_S9_S9_S9_EEEESB_EEENSN_IJSM_SM_EEESB_PlJNSF_9not_fun_tINSF_14equal_to_valueISA_EEEEEEE10hipError_tPvRmT3_T4_T5_T6_T7_T9_mT8_P12ihipStream_tbDpT10_ENKUlT_T0_E_clISt17integral_constantIbLb0EES1J_EEDaS1E_S1F_EUlS1E_E_NS1_11comp_targetILNS1_3genE10ELNS1_11target_archE1200ELNS1_3gpuE4ELNS1_3repE0EEENS1_30default_config_static_selectorELNS0_4arch9wavefront6targetE0EEEvT1_,"axG",@progbits,_ZN7rocprim17ROCPRIM_400000_NS6detail17trampoline_kernelINS0_14default_configENS1_25partition_config_selectorILNS1_17partition_subalgoE6EN6thrust23THRUST_200600_302600_NS5tupleIddNS7_9null_typeES9_S9_S9_S9_S9_S9_S9_EENS0_10empty_typeEbEEZZNS1_14partition_implILS5_6ELb0ES3_mNS7_12zip_iteratorINS8_INS7_6detail15normal_iteratorINS7_10device_ptrIdEEEESJ_S9_S9_S9_S9_S9_S9_S9_S9_EEEEPSB_SM_NS0_5tupleIJNSE_INS8_ISJ_NS7_16discard_iteratorINS7_11use_defaultEEES9_S9_S9_S9_S9_S9_S9_S9_EEEESB_EEENSN_IJSM_SM_EEESB_PlJNSF_9not_fun_tINSF_14equal_to_valueISA_EEEEEEE10hipError_tPvRmT3_T4_T5_T6_T7_T9_mT8_P12ihipStream_tbDpT10_ENKUlT_T0_E_clISt17integral_constantIbLb0EES1J_EEDaS1E_S1F_EUlS1E_E_NS1_11comp_targetILNS1_3genE10ELNS1_11target_archE1200ELNS1_3gpuE4ELNS1_3repE0EEENS1_30default_config_static_selectorELNS0_4arch9wavefront6targetE0EEEvT1_,comdat
.Lfunc_end1826:
	.size	_ZN7rocprim17ROCPRIM_400000_NS6detail17trampoline_kernelINS0_14default_configENS1_25partition_config_selectorILNS1_17partition_subalgoE6EN6thrust23THRUST_200600_302600_NS5tupleIddNS7_9null_typeES9_S9_S9_S9_S9_S9_S9_EENS0_10empty_typeEbEEZZNS1_14partition_implILS5_6ELb0ES3_mNS7_12zip_iteratorINS8_INS7_6detail15normal_iteratorINS7_10device_ptrIdEEEESJ_S9_S9_S9_S9_S9_S9_S9_S9_EEEEPSB_SM_NS0_5tupleIJNSE_INS8_ISJ_NS7_16discard_iteratorINS7_11use_defaultEEES9_S9_S9_S9_S9_S9_S9_S9_EEEESB_EEENSN_IJSM_SM_EEESB_PlJNSF_9not_fun_tINSF_14equal_to_valueISA_EEEEEEE10hipError_tPvRmT3_T4_T5_T6_T7_T9_mT8_P12ihipStream_tbDpT10_ENKUlT_T0_E_clISt17integral_constantIbLb0EES1J_EEDaS1E_S1F_EUlS1E_E_NS1_11comp_targetILNS1_3genE10ELNS1_11target_archE1200ELNS1_3gpuE4ELNS1_3repE0EEENS1_30default_config_static_selectorELNS0_4arch9wavefront6targetE0EEEvT1_, .Lfunc_end1826-_ZN7rocprim17ROCPRIM_400000_NS6detail17trampoline_kernelINS0_14default_configENS1_25partition_config_selectorILNS1_17partition_subalgoE6EN6thrust23THRUST_200600_302600_NS5tupleIddNS7_9null_typeES9_S9_S9_S9_S9_S9_S9_EENS0_10empty_typeEbEEZZNS1_14partition_implILS5_6ELb0ES3_mNS7_12zip_iteratorINS8_INS7_6detail15normal_iteratorINS7_10device_ptrIdEEEESJ_S9_S9_S9_S9_S9_S9_S9_S9_EEEEPSB_SM_NS0_5tupleIJNSE_INS8_ISJ_NS7_16discard_iteratorINS7_11use_defaultEEES9_S9_S9_S9_S9_S9_S9_S9_EEEESB_EEENSN_IJSM_SM_EEESB_PlJNSF_9not_fun_tINSF_14equal_to_valueISA_EEEEEEE10hipError_tPvRmT3_T4_T5_T6_T7_T9_mT8_P12ihipStream_tbDpT10_ENKUlT_T0_E_clISt17integral_constantIbLb0EES1J_EEDaS1E_S1F_EUlS1E_E_NS1_11comp_targetILNS1_3genE10ELNS1_11target_archE1200ELNS1_3gpuE4ELNS1_3repE0EEENS1_30default_config_static_selectorELNS0_4arch9wavefront6targetE0EEEvT1_
                                        ; -- End function
	.set _ZN7rocprim17ROCPRIM_400000_NS6detail17trampoline_kernelINS0_14default_configENS1_25partition_config_selectorILNS1_17partition_subalgoE6EN6thrust23THRUST_200600_302600_NS5tupleIddNS7_9null_typeES9_S9_S9_S9_S9_S9_S9_EENS0_10empty_typeEbEEZZNS1_14partition_implILS5_6ELb0ES3_mNS7_12zip_iteratorINS8_INS7_6detail15normal_iteratorINS7_10device_ptrIdEEEESJ_S9_S9_S9_S9_S9_S9_S9_S9_EEEEPSB_SM_NS0_5tupleIJNSE_INS8_ISJ_NS7_16discard_iteratorINS7_11use_defaultEEES9_S9_S9_S9_S9_S9_S9_S9_EEEESB_EEENSN_IJSM_SM_EEESB_PlJNSF_9not_fun_tINSF_14equal_to_valueISA_EEEEEEE10hipError_tPvRmT3_T4_T5_T6_T7_T9_mT8_P12ihipStream_tbDpT10_ENKUlT_T0_E_clISt17integral_constantIbLb0EES1J_EEDaS1E_S1F_EUlS1E_E_NS1_11comp_targetILNS1_3genE10ELNS1_11target_archE1200ELNS1_3gpuE4ELNS1_3repE0EEENS1_30default_config_static_selectorELNS0_4arch9wavefront6targetE0EEEvT1_.num_vgpr, 49
	.set _ZN7rocprim17ROCPRIM_400000_NS6detail17trampoline_kernelINS0_14default_configENS1_25partition_config_selectorILNS1_17partition_subalgoE6EN6thrust23THRUST_200600_302600_NS5tupleIddNS7_9null_typeES9_S9_S9_S9_S9_S9_S9_EENS0_10empty_typeEbEEZZNS1_14partition_implILS5_6ELb0ES3_mNS7_12zip_iteratorINS8_INS7_6detail15normal_iteratorINS7_10device_ptrIdEEEESJ_S9_S9_S9_S9_S9_S9_S9_S9_EEEEPSB_SM_NS0_5tupleIJNSE_INS8_ISJ_NS7_16discard_iteratorINS7_11use_defaultEEES9_S9_S9_S9_S9_S9_S9_S9_EEEESB_EEENSN_IJSM_SM_EEESB_PlJNSF_9not_fun_tINSF_14equal_to_valueISA_EEEEEEE10hipError_tPvRmT3_T4_T5_T6_T7_T9_mT8_P12ihipStream_tbDpT10_ENKUlT_T0_E_clISt17integral_constantIbLb0EES1J_EEDaS1E_S1F_EUlS1E_E_NS1_11comp_targetILNS1_3genE10ELNS1_11target_archE1200ELNS1_3gpuE4ELNS1_3repE0EEENS1_30default_config_static_selectorELNS0_4arch9wavefront6targetE0EEEvT1_.num_agpr, 0
	.set _ZN7rocprim17ROCPRIM_400000_NS6detail17trampoline_kernelINS0_14default_configENS1_25partition_config_selectorILNS1_17partition_subalgoE6EN6thrust23THRUST_200600_302600_NS5tupleIddNS7_9null_typeES9_S9_S9_S9_S9_S9_S9_EENS0_10empty_typeEbEEZZNS1_14partition_implILS5_6ELb0ES3_mNS7_12zip_iteratorINS8_INS7_6detail15normal_iteratorINS7_10device_ptrIdEEEESJ_S9_S9_S9_S9_S9_S9_S9_S9_EEEEPSB_SM_NS0_5tupleIJNSE_INS8_ISJ_NS7_16discard_iteratorINS7_11use_defaultEEES9_S9_S9_S9_S9_S9_S9_S9_EEEESB_EEENSN_IJSM_SM_EEESB_PlJNSF_9not_fun_tINSF_14equal_to_valueISA_EEEEEEE10hipError_tPvRmT3_T4_T5_T6_T7_T9_mT8_P12ihipStream_tbDpT10_ENKUlT_T0_E_clISt17integral_constantIbLb0EES1J_EEDaS1E_S1F_EUlS1E_E_NS1_11comp_targetILNS1_3genE10ELNS1_11target_archE1200ELNS1_3gpuE4ELNS1_3repE0EEENS1_30default_config_static_selectorELNS0_4arch9wavefront6targetE0EEEvT1_.numbered_sgpr, 22
	.set _ZN7rocprim17ROCPRIM_400000_NS6detail17trampoline_kernelINS0_14default_configENS1_25partition_config_selectorILNS1_17partition_subalgoE6EN6thrust23THRUST_200600_302600_NS5tupleIddNS7_9null_typeES9_S9_S9_S9_S9_S9_S9_EENS0_10empty_typeEbEEZZNS1_14partition_implILS5_6ELb0ES3_mNS7_12zip_iteratorINS8_INS7_6detail15normal_iteratorINS7_10device_ptrIdEEEESJ_S9_S9_S9_S9_S9_S9_S9_S9_EEEEPSB_SM_NS0_5tupleIJNSE_INS8_ISJ_NS7_16discard_iteratorINS7_11use_defaultEEES9_S9_S9_S9_S9_S9_S9_S9_EEEESB_EEENSN_IJSM_SM_EEESB_PlJNSF_9not_fun_tINSF_14equal_to_valueISA_EEEEEEE10hipError_tPvRmT3_T4_T5_T6_T7_T9_mT8_P12ihipStream_tbDpT10_ENKUlT_T0_E_clISt17integral_constantIbLb0EES1J_EEDaS1E_S1F_EUlS1E_E_NS1_11comp_targetILNS1_3genE10ELNS1_11target_archE1200ELNS1_3gpuE4ELNS1_3repE0EEENS1_30default_config_static_selectorELNS0_4arch9wavefront6targetE0EEEvT1_.num_named_barrier, 0
	.set _ZN7rocprim17ROCPRIM_400000_NS6detail17trampoline_kernelINS0_14default_configENS1_25partition_config_selectorILNS1_17partition_subalgoE6EN6thrust23THRUST_200600_302600_NS5tupleIddNS7_9null_typeES9_S9_S9_S9_S9_S9_S9_EENS0_10empty_typeEbEEZZNS1_14partition_implILS5_6ELb0ES3_mNS7_12zip_iteratorINS8_INS7_6detail15normal_iteratorINS7_10device_ptrIdEEEESJ_S9_S9_S9_S9_S9_S9_S9_S9_EEEEPSB_SM_NS0_5tupleIJNSE_INS8_ISJ_NS7_16discard_iteratorINS7_11use_defaultEEES9_S9_S9_S9_S9_S9_S9_S9_EEEESB_EEENSN_IJSM_SM_EEESB_PlJNSF_9not_fun_tINSF_14equal_to_valueISA_EEEEEEE10hipError_tPvRmT3_T4_T5_T6_T7_T9_mT8_P12ihipStream_tbDpT10_ENKUlT_T0_E_clISt17integral_constantIbLb0EES1J_EEDaS1E_S1F_EUlS1E_E_NS1_11comp_targetILNS1_3genE10ELNS1_11target_archE1200ELNS1_3gpuE4ELNS1_3repE0EEENS1_30default_config_static_selectorELNS0_4arch9wavefront6targetE0EEEvT1_.private_seg_size, 0
	.set _ZN7rocprim17ROCPRIM_400000_NS6detail17trampoline_kernelINS0_14default_configENS1_25partition_config_selectorILNS1_17partition_subalgoE6EN6thrust23THRUST_200600_302600_NS5tupleIddNS7_9null_typeES9_S9_S9_S9_S9_S9_S9_EENS0_10empty_typeEbEEZZNS1_14partition_implILS5_6ELb0ES3_mNS7_12zip_iteratorINS8_INS7_6detail15normal_iteratorINS7_10device_ptrIdEEEESJ_S9_S9_S9_S9_S9_S9_S9_S9_EEEEPSB_SM_NS0_5tupleIJNSE_INS8_ISJ_NS7_16discard_iteratorINS7_11use_defaultEEES9_S9_S9_S9_S9_S9_S9_S9_EEEESB_EEENSN_IJSM_SM_EEESB_PlJNSF_9not_fun_tINSF_14equal_to_valueISA_EEEEEEE10hipError_tPvRmT3_T4_T5_T6_T7_T9_mT8_P12ihipStream_tbDpT10_ENKUlT_T0_E_clISt17integral_constantIbLb0EES1J_EEDaS1E_S1F_EUlS1E_E_NS1_11comp_targetILNS1_3genE10ELNS1_11target_archE1200ELNS1_3gpuE4ELNS1_3repE0EEENS1_30default_config_static_selectorELNS0_4arch9wavefront6targetE0EEEvT1_.uses_vcc, 1
	.set _ZN7rocprim17ROCPRIM_400000_NS6detail17trampoline_kernelINS0_14default_configENS1_25partition_config_selectorILNS1_17partition_subalgoE6EN6thrust23THRUST_200600_302600_NS5tupleIddNS7_9null_typeES9_S9_S9_S9_S9_S9_S9_EENS0_10empty_typeEbEEZZNS1_14partition_implILS5_6ELb0ES3_mNS7_12zip_iteratorINS8_INS7_6detail15normal_iteratorINS7_10device_ptrIdEEEESJ_S9_S9_S9_S9_S9_S9_S9_S9_EEEEPSB_SM_NS0_5tupleIJNSE_INS8_ISJ_NS7_16discard_iteratorINS7_11use_defaultEEES9_S9_S9_S9_S9_S9_S9_S9_EEEESB_EEENSN_IJSM_SM_EEESB_PlJNSF_9not_fun_tINSF_14equal_to_valueISA_EEEEEEE10hipError_tPvRmT3_T4_T5_T6_T7_T9_mT8_P12ihipStream_tbDpT10_ENKUlT_T0_E_clISt17integral_constantIbLb0EES1J_EEDaS1E_S1F_EUlS1E_E_NS1_11comp_targetILNS1_3genE10ELNS1_11target_archE1200ELNS1_3gpuE4ELNS1_3repE0EEENS1_30default_config_static_selectorELNS0_4arch9wavefront6targetE0EEEvT1_.uses_flat_scratch, 0
	.set _ZN7rocprim17ROCPRIM_400000_NS6detail17trampoline_kernelINS0_14default_configENS1_25partition_config_selectorILNS1_17partition_subalgoE6EN6thrust23THRUST_200600_302600_NS5tupleIddNS7_9null_typeES9_S9_S9_S9_S9_S9_S9_EENS0_10empty_typeEbEEZZNS1_14partition_implILS5_6ELb0ES3_mNS7_12zip_iteratorINS8_INS7_6detail15normal_iteratorINS7_10device_ptrIdEEEESJ_S9_S9_S9_S9_S9_S9_S9_S9_EEEEPSB_SM_NS0_5tupleIJNSE_INS8_ISJ_NS7_16discard_iteratorINS7_11use_defaultEEES9_S9_S9_S9_S9_S9_S9_S9_EEEESB_EEENSN_IJSM_SM_EEESB_PlJNSF_9not_fun_tINSF_14equal_to_valueISA_EEEEEEE10hipError_tPvRmT3_T4_T5_T6_T7_T9_mT8_P12ihipStream_tbDpT10_ENKUlT_T0_E_clISt17integral_constantIbLb0EES1J_EEDaS1E_S1F_EUlS1E_E_NS1_11comp_targetILNS1_3genE10ELNS1_11target_archE1200ELNS1_3gpuE4ELNS1_3repE0EEENS1_30default_config_static_selectorELNS0_4arch9wavefront6targetE0EEEvT1_.has_dyn_sized_stack, 0
	.set _ZN7rocprim17ROCPRIM_400000_NS6detail17trampoline_kernelINS0_14default_configENS1_25partition_config_selectorILNS1_17partition_subalgoE6EN6thrust23THRUST_200600_302600_NS5tupleIddNS7_9null_typeES9_S9_S9_S9_S9_S9_S9_EENS0_10empty_typeEbEEZZNS1_14partition_implILS5_6ELb0ES3_mNS7_12zip_iteratorINS8_INS7_6detail15normal_iteratorINS7_10device_ptrIdEEEESJ_S9_S9_S9_S9_S9_S9_S9_S9_EEEEPSB_SM_NS0_5tupleIJNSE_INS8_ISJ_NS7_16discard_iteratorINS7_11use_defaultEEES9_S9_S9_S9_S9_S9_S9_S9_EEEESB_EEENSN_IJSM_SM_EEESB_PlJNSF_9not_fun_tINSF_14equal_to_valueISA_EEEEEEE10hipError_tPvRmT3_T4_T5_T6_T7_T9_mT8_P12ihipStream_tbDpT10_ENKUlT_T0_E_clISt17integral_constantIbLb0EES1J_EEDaS1E_S1F_EUlS1E_E_NS1_11comp_targetILNS1_3genE10ELNS1_11target_archE1200ELNS1_3gpuE4ELNS1_3repE0EEENS1_30default_config_static_selectorELNS0_4arch9wavefront6targetE0EEEvT1_.has_recursion, 0
	.set _ZN7rocprim17ROCPRIM_400000_NS6detail17trampoline_kernelINS0_14default_configENS1_25partition_config_selectorILNS1_17partition_subalgoE6EN6thrust23THRUST_200600_302600_NS5tupleIddNS7_9null_typeES9_S9_S9_S9_S9_S9_S9_EENS0_10empty_typeEbEEZZNS1_14partition_implILS5_6ELb0ES3_mNS7_12zip_iteratorINS8_INS7_6detail15normal_iteratorINS7_10device_ptrIdEEEESJ_S9_S9_S9_S9_S9_S9_S9_S9_EEEEPSB_SM_NS0_5tupleIJNSE_INS8_ISJ_NS7_16discard_iteratorINS7_11use_defaultEEES9_S9_S9_S9_S9_S9_S9_S9_EEEESB_EEENSN_IJSM_SM_EEESB_PlJNSF_9not_fun_tINSF_14equal_to_valueISA_EEEEEEE10hipError_tPvRmT3_T4_T5_T6_T7_T9_mT8_P12ihipStream_tbDpT10_ENKUlT_T0_E_clISt17integral_constantIbLb0EES1J_EEDaS1E_S1F_EUlS1E_E_NS1_11comp_targetILNS1_3genE10ELNS1_11target_archE1200ELNS1_3gpuE4ELNS1_3repE0EEENS1_30default_config_static_selectorELNS0_4arch9wavefront6targetE0EEEvT1_.has_indirect_call, 0
	.section	.AMDGPU.csdata,"",@progbits
; Kernel info:
; codeLenInByte = 5836
; TotalNumSgprs: 24
; NumVgprs: 49
; ScratchSize: 0
; MemoryBound: 0
; FloatMode: 240
; IeeeMode: 1
; LDSByteSize: 12304 bytes/workgroup (compile time only)
; SGPRBlocks: 0
; VGPRBlocks: 6
; NumSGPRsForWavesPerEU: 24
; NumVGPRsForWavesPerEU: 49
; Occupancy: 16
; WaveLimiterHint : 1
; COMPUTE_PGM_RSRC2:SCRATCH_EN: 0
; COMPUTE_PGM_RSRC2:USER_SGPR: 2
; COMPUTE_PGM_RSRC2:TRAP_HANDLER: 0
; COMPUTE_PGM_RSRC2:TGID_X_EN: 1
; COMPUTE_PGM_RSRC2:TGID_Y_EN: 0
; COMPUTE_PGM_RSRC2:TGID_Z_EN: 0
; COMPUTE_PGM_RSRC2:TIDIG_COMP_CNT: 0
	.section	.text._ZN7rocprim17ROCPRIM_400000_NS6detail17trampoline_kernelINS0_14default_configENS1_25partition_config_selectorILNS1_17partition_subalgoE6EN6thrust23THRUST_200600_302600_NS5tupleIddNS7_9null_typeES9_S9_S9_S9_S9_S9_S9_EENS0_10empty_typeEbEEZZNS1_14partition_implILS5_6ELb0ES3_mNS7_12zip_iteratorINS8_INS7_6detail15normal_iteratorINS7_10device_ptrIdEEEESJ_S9_S9_S9_S9_S9_S9_S9_S9_EEEEPSB_SM_NS0_5tupleIJNSE_INS8_ISJ_NS7_16discard_iteratorINS7_11use_defaultEEES9_S9_S9_S9_S9_S9_S9_S9_EEEESB_EEENSN_IJSM_SM_EEESB_PlJNSF_9not_fun_tINSF_14equal_to_valueISA_EEEEEEE10hipError_tPvRmT3_T4_T5_T6_T7_T9_mT8_P12ihipStream_tbDpT10_ENKUlT_T0_E_clISt17integral_constantIbLb0EES1J_EEDaS1E_S1F_EUlS1E_E_NS1_11comp_targetILNS1_3genE9ELNS1_11target_archE1100ELNS1_3gpuE3ELNS1_3repE0EEENS1_30default_config_static_selectorELNS0_4arch9wavefront6targetE0EEEvT1_,"axG",@progbits,_ZN7rocprim17ROCPRIM_400000_NS6detail17trampoline_kernelINS0_14default_configENS1_25partition_config_selectorILNS1_17partition_subalgoE6EN6thrust23THRUST_200600_302600_NS5tupleIddNS7_9null_typeES9_S9_S9_S9_S9_S9_S9_EENS0_10empty_typeEbEEZZNS1_14partition_implILS5_6ELb0ES3_mNS7_12zip_iteratorINS8_INS7_6detail15normal_iteratorINS7_10device_ptrIdEEEESJ_S9_S9_S9_S9_S9_S9_S9_S9_EEEEPSB_SM_NS0_5tupleIJNSE_INS8_ISJ_NS7_16discard_iteratorINS7_11use_defaultEEES9_S9_S9_S9_S9_S9_S9_S9_EEEESB_EEENSN_IJSM_SM_EEESB_PlJNSF_9not_fun_tINSF_14equal_to_valueISA_EEEEEEE10hipError_tPvRmT3_T4_T5_T6_T7_T9_mT8_P12ihipStream_tbDpT10_ENKUlT_T0_E_clISt17integral_constantIbLb0EES1J_EEDaS1E_S1F_EUlS1E_E_NS1_11comp_targetILNS1_3genE9ELNS1_11target_archE1100ELNS1_3gpuE3ELNS1_3repE0EEENS1_30default_config_static_selectorELNS0_4arch9wavefront6targetE0EEEvT1_,comdat
	.protected	_ZN7rocprim17ROCPRIM_400000_NS6detail17trampoline_kernelINS0_14default_configENS1_25partition_config_selectorILNS1_17partition_subalgoE6EN6thrust23THRUST_200600_302600_NS5tupleIddNS7_9null_typeES9_S9_S9_S9_S9_S9_S9_EENS0_10empty_typeEbEEZZNS1_14partition_implILS5_6ELb0ES3_mNS7_12zip_iteratorINS8_INS7_6detail15normal_iteratorINS7_10device_ptrIdEEEESJ_S9_S9_S9_S9_S9_S9_S9_S9_EEEEPSB_SM_NS0_5tupleIJNSE_INS8_ISJ_NS7_16discard_iteratorINS7_11use_defaultEEES9_S9_S9_S9_S9_S9_S9_S9_EEEESB_EEENSN_IJSM_SM_EEESB_PlJNSF_9not_fun_tINSF_14equal_to_valueISA_EEEEEEE10hipError_tPvRmT3_T4_T5_T6_T7_T9_mT8_P12ihipStream_tbDpT10_ENKUlT_T0_E_clISt17integral_constantIbLb0EES1J_EEDaS1E_S1F_EUlS1E_E_NS1_11comp_targetILNS1_3genE9ELNS1_11target_archE1100ELNS1_3gpuE3ELNS1_3repE0EEENS1_30default_config_static_selectorELNS0_4arch9wavefront6targetE0EEEvT1_ ; -- Begin function _ZN7rocprim17ROCPRIM_400000_NS6detail17trampoline_kernelINS0_14default_configENS1_25partition_config_selectorILNS1_17partition_subalgoE6EN6thrust23THRUST_200600_302600_NS5tupleIddNS7_9null_typeES9_S9_S9_S9_S9_S9_S9_EENS0_10empty_typeEbEEZZNS1_14partition_implILS5_6ELb0ES3_mNS7_12zip_iteratorINS8_INS7_6detail15normal_iteratorINS7_10device_ptrIdEEEESJ_S9_S9_S9_S9_S9_S9_S9_S9_EEEEPSB_SM_NS0_5tupleIJNSE_INS8_ISJ_NS7_16discard_iteratorINS7_11use_defaultEEES9_S9_S9_S9_S9_S9_S9_S9_EEEESB_EEENSN_IJSM_SM_EEESB_PlJNSF_9not_fun_tINSF_14equal_to_valueISA_EEEEEEE10hipError_tPvRmT3_T4_T5_T6_T7_T9_mT8_P12ihipStream_tbDpT10_ENKUlT_T0_E_clISt17integral_constantIbLb0EES1J_EEDaS1E_S1F_EUlS1E_E_NS1_11comp_targetILNS1_3genE9ELNS1_11target_archE1100ELNS1_3gpuE3ELNS1_3repE0EEENS1_30default_config_static_selectorELNS0_4arch9wavefront6targetE0EEEvT1_
	.globl	_ZN7rocprim17ROCPRIM_400000_NS6detail17trampoline_kernelINS0_14default_configENS1_25partition_config_selectorILNS1_17partition_subalgoE6EN6thrust23THRUST_200600_302600_NS5tupleIddNS7_9null_typeES9_S9_S9_S9_S9_S9_S9_EENS0_10empty_typeEbEEZZNS1_14partition_implILS5_6ELb0ES3_mNS7_12zip_iteratorINS8_INS7_6detail15normal_iteratorINS7_10device_ptrIdEEEESJ_S9_S9_S9_S9_S9_S9_S9_S9_EEEEPSB_SM_NS0_5tupleIJNSE_INS8_ISJ_NS7_16discard_iteratorINS7_11use_defaultEEES9_S9_S9_S9_S9_S9_S9_S9_EEEESB_EEENSN_IJSM_SM_EEESB_PlJNSF_9not_fun_tINSF_14equal_to_valueISA_EEEEEEE10hipError_tPvRmT3_T4_T5_T6_T7_T9_mT8_P12ihipStream_tbDpT10_ENKUlT_T0_E_clISt17integral_constantIbLb0EES1J_EEDaS1E_S1F_EUlS1E_E_NS1_11comp_targetILNS1_3genE9ELNS1_11target_archE1100ELNS1_3gpuE3ELNS1_3repE0EEENS1_30default_config_static_selectorELNS0_4arch9wavefront6targetE0EEEvT1_
	.p2align	8
	.type	_ZN7rocprim17ROCPRIM_400000_NS6detail17trampoline_kernelINS0_14default_configENS1_25partition_config_selectorILNS1_17partition_subalgoE6EN6thrust23THRUST_200600_302600_NS5tupleIddNS7_9null_typeES9_S9_S9_S9_S9_S9_S9_EENS0_10empty_typeEbEEZZNS1_14partition_implILS5_6ELb0ES3_mNS7_12zip_iteratorINS8_INS7_6detail15normal_iteratorINS7_10device_ptrIdEEEESJ_S9_S9_S9_S9_S9_S9_S9_S9_EEEEPSB_SM_NS0_5tupleIJNSE_INS8_ISJ_NS7_16discard_iteratorINS7_11use_defaultEEES9_S9_S9_S9_S9_S9_S9_S9_EEEESB_EEENSN_IJSM_SM_EEESB_PlJNSF_9not_fun_tINSF_14equal_to_valueISA_EEEEEEE10hipError_tPvRmT3_T4_T5_T6_T7_T9_mT8_P12ihipStream_tbDpT10_ENKUlT_T0_E_clISt17integral_constantIbLb0EES1J_EEDaS1E_S1F_EUlS1E_E_NS1_11comp_targetILNS1_3genE9ELNS1_11target_archE1100ELNS1_3gpuE3ELNS1_3repE0EEENS1_30default_config_static_selectorELNS0_4arch9wavefront6targetE0EEEvT1_,@function
_ZN7rocprim17ROCPRIM_400000_NS6detail17trampoline_kernelINS0_14default_configENS1_25partition_config_selectorILNS1_17partition_subalgoE6EN6thrust23THRUST_200600_302600_NS5tupleIddNS7_9null_typeES9_S9_S9_S9_S9_S9_S9_EENS0_10empty_typeEbEEZZNS1_14partition_implILS5_6ELb0ES3_mNS7_12zip_iteratorINS8_INS7_6detail15normal_iteratorINS7_10device_ptrIdEEEESJ_S9_S9_S9_S9_S9_S9_S9_S9_EEEEPSB_SM_NS0_5tupleIJNSE_INS8_ISJ_NS7_16discard_iteratorINS7_11use_defaultEEES9_S9_S9_S9_S9_S9_S9_S9_EEEESB_EEENSN_IJSM_SM_EEESB_PlJNSF_9not_fun_tINSF_14equal_to_valueISA_EEEEEEE10hipError_tPvRmT3_T4_T5_T6_T7_T9_mT8_P12ihipStream_tbDpT10_ENKUlT_T0_E_clISt17integral_constantIbLb0EES1J_EEDaS1E_S1F_EUlS1E_E_NS1_11comp_targetILNS1_3genE9ELNS1_11target_archE1100ELNS1_3gpuE3ELNS1_3repE0EEENS1_30default_config_static_selectorELNS0_4arch9wavefront6targetE0EEEvT1_: ; @_ZN7rocprim17ROCPRIM_400000_NS6detail17trampoline_kernelINS0_14default_configENS1_25partition_config_selectorILNS1_17partition_subalgoE6EN6thrust23THRUST_200600_302600_NS5tupleIddNS7_9null_typeES9_S9_S9_S9_S9_S9_S9_EENS0_10empty_typeEbEEZZNS1_14partition_implILS5_6ELb0ES3_mNS7_12zip_iteratorINS8_INS7_6detail15normal_iteratorINS7_10device_ptrIdEEEESJ_S9_S9_S9_S9_S9_S9_S9_S9_EEEEPSB_SM_NS0_5tupleIJNSE_INS8_ISJ_NS7_16discard_iteratorINS7_11use_defaultEEES9_S9_S9_S9_S9_S9_S9_S9_EEEESB_EEENSN_IJSM_SM_EEESB_PlJNSF_9not_fun_tINSF_14equal_to_valueISA_EEEEEEE10hipError_tPvRmT3_T4_T5_T6_T7_T9_mT8_P12ihipStream_tbDpT10_ENKUlT_T0_E_clISt17integral_constantIbLb0EES1J_EEDaS1E_S1F_EUlS1E_E_NS1_11comp_targetILNS1_3genE9ELNS1_11target_archE1100ELNS1_3gpuE3ELNS1_3repE0EEENS1_30default_config_static_selectorELNS0_4arch9wavefront6targetE0EEEvT1_
; %bb.0:
	.section	.rodata,"a",@progbits
	.p2align	6, 0x0
	.amdhsa_kernel _ZN7rocprim17ROCPRIM_400000_NS6detail17trampoline_kernelINS0_14default_configENS1_25partition_config_selectorILNS1_17partition_subalgoE6EN6thrust23THRUST_200600_302600_NS5tupleIddNS7_9null_typeES9_S9_S9_S9_S9_S9_S9_EENS0_10empty_typeEbEEZZNS1_14partition_implILS5_6ELb0ES3_mNS7_12zip_iteratorINS8_INS7_6detail15normal_iteratorINS7_10device_ptrIdEEEESJ_S9_S9_S9_S9_S9_S9_S9_S9_EEEEPSB_SM_NS0_5tupleIJNSE_INS8_ISJ_NS7_16discard_iteratorINS7_11use_defaultEEES9_S9_S9_S9_S9_S9_S9_S9_EEEESB_EEENSN_IJSM_SM_EEESB_PlJNSF_9not_fun_tINSF_14equal_to_valueISA_EEEEEEE10hipError_tPvRmT3_T4_T5_T6_T7_T9_mT8_P12ihipStream_tbDpT10_ENKUlT_T0_E_clISt17integral_constantIbLb0EES1J_EEDaS1E_S1F_EUlS1E_E_NS1_11comp_targetILNS1_3genE9ELNS1_11target_archE1100ELNS1_3gpuE3ELNS1_3repE0EEENS1_30default_config_static_selectorELNS0_4arch9wavefront6targetE0EEEvT1_
		.amdhsa_group_segment_fixed_size 0
		.amdhsa_private_segment_fixed_size 0
		.amdhsa_kernarg_size 152
		.amdhsa_user_sgpr_count 2
		.amdhsa_user_sgpr_dispatch_ptr 0
		.amdhsa_user_sgpr_queue_ptr 0
		.amdhsa_user_sgpr_kernarg_segment_ptr 1
		.amdhsa_user_sgpr_dispatch_id 0
		.amdhsa_user_sgpr_private_segment_size 0
		.amdhsa_wavefront_size32 1
		.amdhsa_uses_dynamic_stack 0
		.amdhsa_enable_private_segment 0
		.amdhsa_system_sgpr_workgroup_id_x 1
		.amdhsa_system_sgpr_workgroup_id_y 0
		.amdhsa_system_sgpr_workgroup_id_z 0
		.amdhsa_system_sgpr_workgroup_info 0
		.amdhsa_system_vgpr_workitem_id 0
		.amdhsa_next_free_vgpr 1
		.amdhsa_next_free_sgpr 1
		.amdhsa_reserve_vcc 0
		.amdhsa_float_round_mode_32 0
		.amdhsa_float_round_mode_16_64 0
		.amdhsa_float_denorm_mode_32 3
		.amdhsa_float_denorm_mode_16_64 3
		.amdhsa_fp16_overflow 0
		.amdhsa_workgroup_processor_mode 1
		.amdhsa_memory_ordered 1
		.amdhsa_forward_progress 1
		.amdhsa_inst_pref_size 0
		.amdhsa_round_robin_scheduling 0
		.amdhsa_exception_fp_ieee_invalid_op 0
		.amdhsa_exception_fp_denorm_src 0
		.amdhsa_exception_fp_ieee_div_zero 0
		.amdhsa_exception_fp_ieee_overflow 0
		.amdhsa_exception_fp_ieee_underflow 0
		.amdhsa_exception_fp_ieee_inexact 0
		.amdhsa_exception_int_div_zero 0
	.end_amdhsa_kernel
	.section	.text._ZN7rocprim17ROCPRIM_400000_NS6detail17trampoline_kernelINS0_14default_configENS1_25partition_config_selectorILNS1_17partition_subalgoE6EN6thrust23THRUST_200600_302600_NS5tupleIddNS7_9null_typeES9_S9_S9_S9_S9_S9_S9_EENS0_10empty_typeEbEEZZNS1_14partition_implILS5_6ELb0ES3_mNS7_12zip_iteratorINS8_INS7_6detail15normal_iteratorINS7_10device_ptrIdEEEESJ_S9_S9_S9_S9_S9_S9_S9_S9_EEEEPSB_SM_NS0_5tupleIJNSE_INS8_ISJ_NS7_16discard_iteratorINS7_11use_defaultEEES9_S9_S9_S9_S9_S9_S9_S9_EEEESB_EEENSN_IJSM_SM_EEESB_PlJNSF_9not_fun_tINSF_14equal_to_valueISA_EEEEEEE10hipError_tPvRmT3_T4_T5_T6_T7_T9_mT8_P12ihipStream_tbDpT10_ENKUlT_T0_E_clISt17integral_constantIbLb0EES1J_EEDaS1E_S1F_EUlS1E_E_NS1_11comp_targetILNS1_3genE9ELNS1_11target_archE1100ELNS1_3gpuE3ELNS1_3repE0EEENS1_30default_config_static_selectorELNS0_4arch9wavefront6targetE0EEEvT1_,"axG",@progbits,_ZN7rocprim17ROCPRIM_400000_NS6detail17trampoline_kernelINS0_14default_configENS1_25partition_config_selectorILNS1_17partition_subalgoE6EN6thrust23THRUST_200600_302600_NS5tupleIddNS7_9null_typeES9_S9_S9_S9_S9_S9_S9_EENS0_10empty_typeEbEEZZNS1_14partition_implILS5_6ELb0ES3_mNS7_12zip_iteratorINS8_INS7_6detail15normal_iteratorINS7_10device_ptrIdEEEESJ_S9_S9_S9_S9_S9_S9_S9_S9_EEEEPSB_SM_NS0_5tupleIJNSE_INS8_ISJ_NS7_16discard_iteratorINS7_11use_defaultEEES9_S9_S9_S9_S9_S9_S9_S9_EEEESB_EEENSN_IJSM_SM_EEESB_PlJNSF_9not_fun_tINSF_14equal_to_valueISA_EEEEEEE10hipError_tPvRmT3_T4_T5_T6_T7_T9_mT8_P12ihipStream_tbDpT10_ENKUlT_T0_E_clISt17integral_constantIbLb0EES1J_EEDaS1E_S1F_EUlS1E_E_NS1_11comp_targetILNS1_3genE9ELNS1_11target_archE1100ELNS1_3gpuE3ELNS1_3repE0EEENS1_30default_config_static_selectorELNS0_4arch9wavefront6targetE0EEEvT1_,comdat
.Lfunc_end1827:
	.size	_ZN7rocprim17ROCPRIM_400000_NS6detail17trampoline_kernelINS0_14default_configENS1_25partition_config_selectorILNS1_17partition_subalgoE6EN6thrust23THRUST_200600_302600_NS5tupleIddNS7_9null_typeES9_S9_S9_S9_S9_S9_S9_EENS0_10empty_typeEbEEZZNS1_14partition_implILS5_6ELb0ES3_mNS7_12zip_iteratorINS8_INS7_6detail15normal_iteratorINS7_10device_ptrIdEEEESJ_S9_S9_S9_S9_S9_S9_S9_S9_EEEEPSB_SM_NS0_5tupleIJNSE_INS8_ISJ_NS7_16discard_iteratorINS7_11use_defaultEEES9_S9_S9_S9_S9_S9_S9_S9_EEEESB_EEENSN_IJSM_SM_EEESB_PlJNSF_9not_fun_tINSF_14equal_to_valueISA_EEEEEEE10hipError_tPvRmT3_T4_T5_T6_T7_T9_mT8_P12ihipStream_tbDpT10_ENKUlT_T0_E_clISt17integral_constantIbLb0EES1J_EEDaS1E_S1F_EUlS1E_E_NS1_11comp_targetILNS1_3genE9ELNS1_11target_archE1100ELNS1_3gpuE3ELNS1_3repE0EEENS1_30default_config_static_selectorELNS0_4arch9wavefront6targetE0EEEvT1_, .Lfunc_end1827-_ZN7rocprim17ROCPRIM_400000_NS6detail17trampoline_kernelINS0_14default_configENS1_25partition_config_selectorILNS1_17partition_subalgoE6EN6thrust23THRUST_200600_302600_NS5tupleIddNS7_9null_typeES9_S9_S9_S9_S9_S9_S9_EENS0_10empty_typeEbEEZZNS1_14partition_implILS5_6ELb0ES3_mNS7_12zip_iteratorINS8_INS7_6detail15normal_iteratorINS7_10device_ptrIdEEEESJ_S9_S9_S9_S9_S9_S9_S9_S9_EEEEPSB_SM_NS0_5tupleIJNSE_INS8_ISJ_NS7_16discard_iteratorINS7_11use_defaultEEES9_S9_S9_S9_S9_S9_S9_S9_EEEESB_EEENSN_IJSM_SM_EEESB_PlJNSF_9not_fun_tINSF_14equal_to_valueISA_EEEEEEE10hipError_tPvRmT3_T4_T5_T6_T7_T9_mT8_P12ihipStream_tbDpT10_ENKUlT_T0_E_clISt17integral_constantIbLb0EES1J_EEDaS1E_S1F_EUlS1E_E_NS1_11comp_targetILNS1_3genE9ELNS1_11target_archE1100ELNS1_3gpuE3ELNS1_3repE0EEENS1_30default_config_static_selectorELNS0_4arch9wavefront6targetE0EEEvT1_
                                        ; -- End function
	.set _ZN7rocprim17ROCPRIM_400000_NS6detail17trampoline_kernelINS0_14default_configENS1_25partition_config_selectorILNS1_17partition_subalgoE6EN6thrust23THRUST_200600_302600_NS5tupleIddNS7_9null_typeES9_S9_S9_S9_S9_S9_S9_EENS0_10empty_typeEbEEZZNS1_14partition_implILS5_6ELb0ES3_mNS7_12zip_iteratorINS8_INS7_6detail15normal_iteratorINS7_10device_ptrIdEEEESJ_S9_S9_S9_S9_S9_S9_S9_S9_EEEEPSB_SM_NS0_5tupleIJNSE_INS8_ISJ_NS7_16discard_iteratorINS7_11use_defaultEEES9_S9_S9_S9_S9_S9_S9_S9_EEEESB_EEENSN_IJSM_SM_EEESB_PlJNSF_9not_fun_tINSF_14equal_to_valueISA_EEEEEEE10hipError_tPvRmT3_T4_T5_T6_T7_T9_mT8_P12ihipStream_tbDpT10_ENKUlT_T0_E_clISt17integral_constantIbLb0EES1J_EEDaS1E_S1F_EUlS1E_E_NS1_11comp_targetILNS1_3genE9ELNS1_11target_archE1100ELNS1_3gpuE3ELNS1_3repE0EEENS1_30default_config_static_selectorELNS0_4arch9wavefront6targetE0EEEvT1_.num_vgpr, 0
	.set _ZN7rocprim17ROCPRIM_400000_NS6detail17trampoline_kernelINS0_14default_configENS1_25partition_config_selectorILNS1_17partition_subalgoE6EN6thrust23THRUST_200600_302600_NS5tupleIddNS7_9null_typeES9_S9_S9_S9_S9_S9_S9_EENS0_10empty_typeEbEEZZNS1_14partition_implILS5_6ELb0ES3_mNS7_12zip_iteratorINS8_INS7_6detail15normal_iteratorINS7_10device_ptrIdEEEESJ_S9_S9_S9_S9_S9_S9_S9_S9_EEEEPSB_SM_NS0_5tupleIJNSE_INS8_ISJ_NS7_16discard_iteratorINS7_11use_defaultEEES9_S9_S9_S9_S9_S9_S9_S9_EEEESB_EEENSN_IJSM_SM_EEESB_PlJNSF_9not_fun_tINSF_14equal_to_valueISA_EEEEEEE10hipError_tPvRmT3_T4_T5_T6_T7_T9_mT8_P12ihipStream_tbDpT10_ENKUlT_T0_E_clISt17integral_constantIbLb0EES1J_EEDaS1E_S1F_EUlS1E_E_NS1_11comp_targetILNS1_3genE9ELNS1_11target_archE1100ELNS1_3gpuE3ELNS1_3repE0EEENS1_30default_config_static_selectorELNS0_4arch9wavefront6targetE0EEEvT1_.num_agpr, 0
	.set _ZN7rocprim17ROCPRIM_400000_NS6detail17trampoline_kernelINS0_14default_configENS1_25partition_config_selectorILNS1_17partition_subalgoE6EN6thrust23THRUST_200600_302600_NS5tupleIddNS7_9null_typeES9_S9_S9_S9_S9_S9_S9_EENS0_10empty_typeEbEEZZNS1_14partition_implILS5_6ELb0ES3_mNS7_12zip_iteratorINS8_INS7_6detail15normal_iteratorINS7_10device_ptrIdEEEESJ_S9_S9_S9_S9_S9_S9_S9_S9_EEEEPSB_SM_NS0_5tupleIJNSE_INS8_ISJ_NS7_16discard_iteratorINS7_11use_defaultEEES9_S9_S9_S9_S9_S9_S9_S9_EEEESB_EEENSN_IJSM_SM_EEESB_PlJNSF_9not_fun_tINSF_14equal_to_valueISA_EEEEEEE10hipError_tPvRmT3_T4_T5_T6_T7_T9_mT8_P12ihipStream_tbDpT10_ENKUlT_T0_E_clISt17integral_constantIbLb0EES1J_EEDaS1E_S1F_EUlS1E_E_NS1_11comp_targetILNS1_3genE9ELNS1_11target_archE1100ELNS1_3gpuE3ELNS1_3repE0EEENS1_30default_config_static_selectorELNS0_4arch9wavefront6targetE0EEEvT1_.numbered_sgpr, 0
	.set _ZN7rocprim17ROCPRIM_400000_NS6detail17trampoline_kernelINS0_14default_configENS1_25partition_config_selectorILNS1_17partition_subalgoE6EN6thrust23THRUST_200600_302600_NS5tupleIddNS7_9null_typeES9_S9_S9_S9_S9_S9_S9_EENS0_10empty_typeEbEEZZNS1_14partition_implILS5_6ELb0ES3_mNS7_12zip_iteratorINS8_INS7_6detail15normal_iteratorINS7_10device_ptrIdEEEESJ_S9_S9_S9_S9_S9_S9_S9_S9_EEEEPSB_SM_NS0_5tupleIJNSE_INS8_ISJ_NS7_16discard_iteratorINS7_11use_defaultEEES9_S9_S9_S9_S9_S9_S9_S9_EEEESB_EEENSN_IJSM_SM_EEESB_PlJNSF_9not_fun_tINSF_14equal_to_valueISA_EEEEEEE10hipError_tPvRmT3_T4_T5_T6_T7_T9_mT8_P12ihipStream_tbDpT10_ENKUlT_T0_E_clISt17integral_constantIbLb0EES1J_EEDaS1E_S1F_EUlS1E_E_NS1_11comp_targetILNS1_3genE9ELNS1_11target_archE1100ELNS1_3gpuE3ELNS1_3repE0EEENS1_30default_config_static_selectorELNS0_4arch9wavefront6targetE0EEEvT1_.num_named_barrier, 0
	.set _ZN7rocprim17ROCPRIM_400000_NS6detail17trampoline_kernelINS0_14default_configENS1_25partition_config_selectorILNS1_17partition_subalgoE6EN6thrust23THRUST_200600_302600_NS5tupleIddNS7_9null_typeES9_S9_S9_S9_S9_S9_S9_EENS0_10empty_typeEbEEZZNS1_14partition_implILS5_6ELb0ES3_mNS7_12zip_iteratorINS8_INS7_6detail15normal_iteratorINS7_10device_ptrIdEEEESJ_S9_S9_S9_S9_S9_S9_S9_S9_EEEEPSB_SM_NS0_5tupleIJNSE_INS8_ISJ_NS7_16discard_iteratorINS7_11use_defaultEEES9_S9_S9_S9_S9_S9_S9_S9_EEEESB_EEENSN_IJSM_SM_EEESB_PlJNSF_9not_fun_tINSF_14equal_to_valueISA_EEEEEEE10hipError_tPvRmT3_T4_T5_T6_T7_T9_mT8_P12ihipStream_tbDpT10_ENKUlT_T0_E_clISt17integral_constantIbLb0EES1J_EEDaS1E_S1F_EUlS1E_E_NS1_11comp_targetILNS1_3genE9ELNS1_11target_archE1100ELNS1_3gpuE3ELNS1_3repE0EEENS1_30default_config_static_selectorELNS0_4arch9wavefront6targetE0EEEvT1_.private_seg_size, 0
	.set _ZN7rocprim17ROCPRIM_400000_NS6detail17trampoline_kernelINS0_14default_configENS1_25partition_config_selectorILNS1_17partition_subalgoE6EN6thrust23THRUST_200600_302600_NS5tupleIddNS7_9null_typeES9_S9_S9_S9_S9_S9_S9_EENS0_10empty_typeEbEEZZNS1_14partition_implILS5_6ELb0ES3_mNS7_12zip_iteratorINS8_INS7_6detail15normal_iteratorINS7_10device_ptrIdEEEESJ_S9_S9_S9_S9_S9_S9_S9_S9_EEEEPSB_SM_NS0_5tupleIJNSE_INS8_ISJ_NS7_16discard_iteratorINS7_11use_defaultEEES9_S9_S9_S9_S9_S9_S9_S9_EEEESB_EEENSN_IJSM_SM_EEESB_PlJNSF_9not_fun_tINSF_14equal_to_valueISA_EEEEEEE10hipError_tPvRmT3_T4_T5_T6_T7_T9_mT8_P12ihipStream_tbDpT10_ENKUlT_T0_E_clISt17integral_constantIbLb0EES1J_EEDaS1E_S1F_EUlS1E_E_NS1_11comp_targetILNS1_3genE9ELNS1_11target_archE1100ELNS1_3gpuE3ELNS1_3repE0EEENS1_30default_config_static_selectorELNS0_4arch9wavefront6targetE0EEEvT1_.uses_vcc, 0
	.set _ZN7rocprim17ROCPRIM_400000_NS6detail17trampoline_kernelINS0_14default_configENS1_25partition_config_selectorILNS1_17partition_subalgoE6EN6thrust23THRUST_200600_302600_NS5tupleIddNS7_9null_typeES9_S9_S9_S9_S9_S9_S9_EENS0_10empty_typeEbEEZZNS1_14partition_implILS5_6ELb0ES3_mNS7_12zip_iteratorINS8_INS7_6detail15normal_iteratorINS7_10device_ptrIdEEEESJ_S9_S9_S9_S9_S9_S9_S9_S9_EEEEPSB_SM_NS0_5tupleIJNSE_INS8_ISJ_NS7_16discard_iteratorINS7_11use_defaultEEES9_S9_S9_S9_S9_S9_S9_S9_EEEESB_EEENSN_IJSM_SM_EEESB_PlJNSF_9not_fun_tINSF_14equal_to_valueISA_EEEEEEE10hipError_tPvRmT3_T4_T5_T6_T7_T9_mT8_P12ihipStream_tbDpT10_ENKUlT_T0_E_clISt17integral_constantIbLb0EES1J_EEDaS1E_S1F_EUlS1E_E_NS1_11comp_targetILNS1_3genE9ELNS1_11target_archE1100ELNS1_3gpuE3ELNS1_3repE0EEENS1_30default_config_static_selectorELNS0_4arch9wavefront6targetE0EEEvT1_.uses_flat_scratch, 0
	.set _ZN7rocprim17ROCPRIM_400000_NS6detail17trampoline_kernelINS0_14default_configENS1_25partition_config_selectorILNS1_17partition_subalgoE6EN6thrust23THRUST_200600_302600_NS5tupleIddNS7_9null_typeES9_S9_S9_S9_S9_S9_S9_EENS0_10empty_typeEbEEZZNS1_14partition_implILS5_6ELb0ES3_mNS7_12zip_iteratorINS8_INS7_6detail15normal_iteratorINS7_10device_ptrIdEEEESJ_S9_S9_S9_S9_S9_S9_S9_S9_EEEEPSB_SM_NS0_5tupleIJNSE_INS8_ISJ_NS7_16discard_iteratorINS7_11use_defaultEEES9_S9_S9_S9_S9_S9_S9_S9_EEEESB_EEENSN_IJSM_SM_EEESB_PlJNSF_9not_fun_tINSF_14equal_to_valueISA_EEEEEEE10hipError_tPvRmT3_T4_T5_T6_T7_T9_mT8_P12ihipStream_tbDpT10_ENKUlT_T0_E_clISt17integral_constantIbLb0EES1J_EEDaS1E_S1F_EUlS1E_E_NS1_11comp_targetILNS1_3genE9ELNS1_11target_archE1100ELNS1_3gpuE3ELNS1_3repE0EEENS1_30default_config_static_selectorELNS0_4arch9wavefront6targetE0EEEvT1_.has_dyn_sized_stack, 0
	.set _ZN7rocprim17ROCPRIM_400000_NS6detail17trampoline_kernelINS0_14default_configENS1_25partition_config_selectorILNS1_17partition_subalgoE6EN6thrust23THRUST_200600_302600_NS5tupleIddNS7_9null_typeES9_S9_S9_S9_S9_S9_S9_EENS0_10empty_typeEbEEZZNS1_14partition_implILS5_6ELb0ES3_mNS7_12zip_iteratorINS8_INS7_6detail15normal_iteratorINS7_10device_ptrIdEEEESJ_S9_S9_S9_S9_S9_S9_S9_S9_EEEEPSB_SM_NS0_5tupleIJNSE_INS8_ISJ_NS7_16discard_iteratorINS7_11use_defaultEEES9_S9_S9_S9_S9_S9_S9_S9_EEEESB_EEENSN_IJSM_SM_EEESB_PlJNSF_9not_fun_tINSF_14equal_to_valueISA_EEEEEEE10hipError_tPvRmT3_T4_T5_T6_T7_T9_mT8_P12ihipStream_tbDpT10_ENKUlT_T0_E_clISt17integral_constantIbLb0EES1J_EEDaS1E_S1F_EUlS1E_E_NS1_11comp_targetILNS1_3genE9ELNS1_11target_archE1100ELNS1_3gpuE3ELNS1_3repE0EEENS1_30default_config_static_selectorELNS0_4arch9wavefront6targetE0EEEvT1_.has_recursion, 0
	.set _ZN7rocprim17ROCPRIM_400000_NS6detail17trampoline_kernelINS0_14default_configENS1_25partition_config_selectorILNS1_17partition_subalgoE6EN6thrust23THRUST_200600_302600_NS5tupleIddNS7_9null_typeES9_S9_S9_S9_S9_S9_S9_EENS0_10empty_typeEbEEZZNS1_14partition_implILS5_6ELb0ES3_mNS7_12zip_iteratorINS8_INS7_6detail15normal_iteratorINS7_10device_ptrIdEEEESJ_S9_S9_S9_S9_S9_S9_S9_S9_EEEEPSB_SM_NS0_5tupleIJNSE_INS8_ISJ_NS7_16discard_iteratorINS7_11use_defaultEEES9_S9_S9_S9_S9_S9_S9_S9_EEEESB_EEENSN_IJSM_SM_EEESB_PlJNSF_9not_fun_tINSF_14equal_to_valueISA_EEEEEEE10hipError_tPvRmT3_T4_T5_T6_T7_T9_mT8_P12ihipStream_tbDpT10_ENKUlT_T0_E_clISt17integral_constantIbLb0EES1J_EEDaS1E_S1F_EUlS1E_E_NS1_11comp_targetILNS1_3genE9ELNS1_11target_archE1100ELNS1_3gpuE3ELNS1_3repE0EEENS1_30default_config_static_selectorELNS0_4arch9wavefront6targetE0EEEvT1_.has_indirect_call, 0
	.section	.AMDGPU.csdata,"",@progbits
; Kernel info:
; codeLenInByte = 0
; TotalNumSgprs: 0
; NumVgprs: 0
; ScratchSize: 0
; MemoryBound: 0
; FloatMode: 240
; IeeeMode: 1
; LDSByteSize: 0 bytes/workgroup (compile time only)
; SGPRBlocks: 0
; VGPRBlocks: 0
; NumSGPRsForWavesPerEU: 1
; NumVGPRsForWavesPerEU: 1
; Occupancy: 16
; WaveLimiterHint : 0
; COMPUTE_PGM_RSRC2:SCRATCH_EN: 0
; COMPUTE_PGM_RSRC2:USER_SGPR: 2
; COMPUTE_PGM_RSRC2:TRAP_HANDLER: 0
; COMPUTE_PGM_RSRC2:TGID_X_EN: 1
; COMPUTE_PGM_RSRC2:TGID_Y_EN: 0
; COMPUTE_PGM_RSRC2:TGID_Z_EN: 0
; COMPUTE_PGM_RSRC2:TIDIG_COMP_CNT: 0
	.section	.text._ZN7rocprim17ROCPRIM_400000_NS6detail17trampoline_kernelINS0_14default_configENS1_25partition_config_selectorILNS1_17partition_subalgoE6EN6thrust23THRUST_200600_302600_NS5tupleIddNS7_9null_typeES9_S9_S9_S9_S9_S9_S9_EENS0_10empty_typeEbEEZZNS1_14partition_implILS5_6ELb0ES3_mNS7_12zip_iteratorINS8_INS7_6detail15normal_iteratorINS7_10device_ptrIdEEEESJ_S9_S9_S9_S9_S9_S9_S9_S9_EEEEPSB_SM_NS0_5tupleIJNSE_INS8_ISJ_NS7_16discard_iteratorINS7_11use_defaultEEES9_S9_S9_S9_S9_S9_S9_S9_EEEESB_EEENSN_IJSM_SM_EEESB_PlJNSF_9not_fun_tINSF_14equal_to_valueISA_EEEEEEE10hipError_tPvRmT3_T4_T5_T6_T7_T9_mT8_P12ihipStream_tbDpT10_ENKUlT_T0_E_clISt17integral_constantIbLb0EES1J_EEDaS1E_S1F_EUlS1E_E_NS1_11comp_targetILNS1_3genE8ELNS1_11target_archE1030ELNS1_3gpuE2ELNS1_3repE0EEENS1_30default_config_static_selectorELNS0_4arch9wavefront6targetE0EEEvT1_,"axG",@progbits,_ZN7rocprim17ROCPRIM_400000_NS6detail17trampoline_kernelINS0_14default_configENS1_25partition_config_selectorILNS1_17partition_subalgoE6EN6thrust23THRUST_200600_302600_NS5tupleIddNS7_9null_typeES9_S9_S9_S9_S9_S9_S9_EENS0_10empty_typeEbEEZZNS1_14partition_implILS5_6ELb0ES3_mNS7_12zip_iteratorINS8_INS7_6detail15normal_iteratorINS7_10device_ptrIdEEEESJ_S9_S9_S9_S9_S9_S9_S9_S9_EEEEPSB_SM_NS0_5tupleIJNSE_INS8_ISJ_NS7_16discard_iteratorINS7_11use_defaultEEES9_S9_S9_S9_S9_S9_S9_S9_EEEESB_EEENSN_IJSM_SM_EEESB_PlJNSF_9not_fun_tINSF_14equal_to_valueISA_EEEEEEE10hipError_tPvRmT3_T4_T5_T6_T7_T9_mT8_P12ihipStream_tbDpT10_ENKUlT_T0_E_clISt17integral_constantIbLb0EES1J_EEDaS1E_S1F_EUlS1E_E_NS1_11comp_targetILNS1_3genE8ELNS1_11target_archE1030ELNS1_3gpuE2ELNS1_3repE0EEENS1_30default_config_static_selectorELNS0_4arch9wavefront6targetE0EEEvT1_,comdat
	.protected	_ZN7rocprim17ROCPRIM_400000_NS6detail17trampoline_kernelINS0_14default_configENS1_25partition_config_selectorILNS1_17partition_subalgoE6EN6thrust23THRUST_200600_302600_NS5tupleIddNS7_9null_typeES9_S9_S9_S9_S9_S9_S9_EENS0_10empty_typeEbEEZZNS1_14partition_implILS5_6ELb0ES3_mNS7_12zip_iteratorINS8_INS7_6detail15normal_iteratorINS7_10device_ptrIdEEEESJ_S9_S9_S9_S9_S9_S9_S9_S9_EEEEPSB_SM_NS0_5tupleIJNSE_INS8_ISJ_NS7_16discard_iteratorINS7_11use_defaultEEES9_S9_S9_S9_S9_S9_S9_S9_EEEESB_EEENSN_IJSM_SM_EEESB_PlJNSF_9not_fun_tINSF_14equal_to_valueISA_EEEEEEE10hipError_tPvRmT3_T4_T5_T6_T7_T9_mT8_P12ihipStream_tbDpT10_ENKUlT_T0_E_clISt17integral_constantIbLb0EES1J_EEDaS1E_S1F_EUlS1E_E_NS1_11comp_targetILNS1_3genE8ELNS1_11target_archE1030ELNS1_3gpuE2ELNS1_3repE0EEENS1_30default_config_static_selectorELNS0_4arch9wavefront6targetE0EEEvT1_ ; -- Begin function _ZN7rocprim17ROCPRIM_400000_NS6detail17trampoline_kernelINS0_14default_configENS1_25partition_config_selectorILNS1_17partition_subalgoE6EN6thrust23THRUST_200600_302600_NS5tupleIddNS7_9null_typeES9_S9_S9_S9_S9_S9_S9_EENS0_10empty_typeEbEEZZNS1_14partition_implILS5_6ELb0ES3_mNS7_12zip_iteratorINS8_INS7_6detail15normal_iteratorINS7_10device_ptrIdEEEESJ_S9_S9_S9_S9_S9_S9_S9_S9_EEEEPSB_SM_NS0_5tupleIJNSE_INS8_ISJ_NS7_16discard_iteratorINS7_11use_defaultEEES9_S9_S9_S9_S9_S9_S9_S9_EEEESB_EEENSN_IJSM_SM_EEESB_PlJNSF_9not_fun_tINSF_14equal_to_valueISA_EEEEEEE10hipError_tPvRmT3_T4_T5_T6_T7_T9_mT8_P12ihipStream_tbDpT10_ENKUlT_T0_E_clISt17integral_constantIbLb0EES1J_EEDaS1E_S1F_EUlS1E_E_NS1_11comp_targetILNS1_3genE8ELNS1_11target_archE1030ELNS1_3gpuE2ELNS1_3repE0EEENS1_30default_config_static_selectorELNS0_4arch9wavefront6targetE0EEEvT1_
	.globl	_ZN7rocprim17ROCPRIM_400000_NS6detail17trampoline_kernelINS0_14default_configENS1_25partition_config_selectorILNS1_17partition_subalgoE6EN6thrust23THRUST_200600_302600_NS5tupleIddNS7_9null_typeES9_S9_S9_S9_S9_S9_S9_EENS0_10empty_typeEbEEZZNS1_14partition_implILS5_6ELb0ES3_mNS7_12zip_iteratorINS8_INS7_6detail15normal_iteratorINS7_10device_ptrIdEEEESJ_S9_S9_S9_S9_S9_S9_S9_S9_EEEEPSB_SM_NS0_5tupleIJNSE_INS8_ISJ_NS7_16discard_iteratorINS7_11use_defaultEEES9_S9_S9_S9_S9_S9_S9_S9_EEEESB_EEENSN_IJSM_SM_EEESB_PlJNSF_9not_fun_tINSF_14equal_to_valueISA_EEEEEEE10hipError_tPvRmT3_T4_T5_T6_T7_T9_mT8_P12ihipStream_tbDpT10_ENKUlT_T0_E_clISt17integral_constantIbLb0EES1J_EEDaS1E_S1F_EUlS1E_E_NS1_11comp_targetILNS1_3genE8ELNS1_11target_archE1030ELNS1_3gpuE2ELNS1_3repE0EEENS1_30default_config_static_selectorELNS0_4arch9wavefront6targetE0EEEvT1_
	.p2align	8
	.type	_ZN7rocprim17ROCPRIM_400000_NS6detail17trampoline_kernelINS0_14default_configENS1_25partition_config_selectorILNS1_17partition_subalgoE6EN6thrust23THRUST_200600_302600_NS5tupleIddNS7_9null_typeES9_S9_S9_S9_S9_S9_S9_EENS0_10empty_typeEbEEZZNS1_14partition_implILS5_6ELb0ES3_mNS7_12zip_iteratorINS8_INS7_6detail15normal_iteratorINS7_10device_ptrIdEEEESJ_S9_S9_S9_S9_S9_S9_S9_S9_EEEEPSB_SM_NS0_5tupleIJNSE_INS8_ISJ_NS7_16discard_iteratorINS7_11use_defaultEEES9_S9_S9_S9_S9_S9_S9_S9_EEEESB_EEENSN_IJSM_SM_EEESB_PlJNSF_9not_fun_tINSF_14equal_to_valueISA_EEEEEEE10hipError_tPvRmT3_T4_T5_T6_T7_T9_mT8_P12ihipStream_tbDpT10_ENKUlT_T0_E_clISt17integral_constantIbLb0EES1J_EEDaS1E_S1F_EUlS1E_E_NS1_11comp_targetILNS1_3genE8ELNS1_11target_archE1030ELNS1_3gpuE2ELNS1_3repE0EEENS1_30default_config_static_selectorELNS0_4arch9wavefront6targetE0EEEvT1_,@function
_ZN7rocprim17ROCPRIM_400000_NS6detail17trampoline_kernelINS0_14default_configENS1_25partition_config_selectorILNS1_17partition_subalgoE6EN6thrust23THRUST_200600_302600_NS5tupleIddNS7_9null_typeES9_S9_S9_S9_S9_S9_S9_EENS0_10empty_typeEbEEZZNS1_14partition_implILS5_6ELb0ES3_mNS7_12zip_iteratorINS8_INS7_6detail15normal_iteratorINS7_10device_ptrIdEEEESJ_S9_S9_S9_S9_S9_S9_S9_S9_EEEEPSB_SM_NS0_5tupleIJNSE_INS8_ISJ_NS7_16discard_iteratorINS7_11use_defaultEEES9_S9_S9_S9_S9_S9_S9_S9_EEEESB_EEENSN_IJSM_SM_EEESB_PlJNSF_9not_fun_tINSF_14equal_to_valueISA_EEEEEEE10hipError_tPvRmT3_T4_T5_T6_T7_T9_mT8_P12ihipStream_tbDpT10_ENKUlT_T0_E_clISt17integral_constantIbLb0EES1J_EEDaS1E_S1F_EUlS1E_E_NS1_11comp_targetILNS1_3genE8ELNS1_11target_archE1030ELNS1_3gpuE2ELNS1_3repE0EEENS1_30default_config_static_selectorELNS0_4arch9wavefront6targetE0EEEvT1_: ; @_ZN7rocprim17ROCPRIM_400000_NS6detail17trampoline_kernelINS0_14default_configENS1_25partition_config_selectorILNS1_17partition_subalgoE6EN6thrust23THRUST_200600_302600_NS5tupleIddNS7_9null_typeES9_S9_S9_S9_S9_S9_S9_EENS0_10empty_typeEbEEZZNS1_14partition_implILS5_6ELb0ES3_mNS7_12zip_iteratorINS8_INS7_6detail15normal_iteratorINS7_10device_ptrIdEEEESJ_S9_S9_S9_S9_S9_S9_S9_S9_EEEEPSB_SM_NS0_5tupleIJNSE_INS8_ISJ_NS7_16discard_iteratorINS7_11use_defaultEEES9_S9_S9_S9_S9_S9_S9_S9_EEEESB_EEENSN_IJSM_SM_EEESB_PlJNSF_9not_fun_tINSF_14equal_to_valueISA_EEEEEEE10hipError_tPvRmT3_T4_T5_T6_T7_T9_mT8_P12ihipStream_tbDpT10_ENKUlT_T0_E_clISt17integral_constantIbLb0EES1J_EEDaS1E_S1F_EUlS1E_E_NS1_11comp_targetILNS1_3genE8ELNS1_11target_archE1030ELNS1_3gpuE2ELNS1_3repE0EEENS1_30default_config_static_selectorELNS0_4arch9wavefront6targetE0EEEvT1_
; %bb.0:
	.section	.rodata,"a",@progbits
	.p2align	6, 0x0
	.amdhsa_kernel _ZN7rocprim17ROCPRIM_400000_NS6detail17trampoline_kernelINS0_14default_configENS1_25partition_config_selectorILNS1_17partition_subalgoE6EN6thrust23THRUST_200600_302600_NS5tupleIddNS7_9null_typeES9_S9_S9_S9_S9_S9_S9_EENS0_10empty_typeEbEEZZNS1_14partition_implILS5_6ELb0ES3_mNS7_12zip_iteratorINS8_INS7_6detail15normal_iteratorINS7_10device_ptrIdEEEESJ_S9_S9_S9_S9_S9_S9_S9_S9_EEEEPSB_SM_NS0_5tupleIJNSE_INS8_ISJ_NS7_16discard_iteratorINS7_11use_defaultEEES9_S9_S9_S9_S9_S9_S9_S9_EEEESB_EEENSN_IJSM_SM_EEESB_PlJNSF_9not_fun_tINSF_14equal_to_valueISA_EEEEEEE10hipError_tPvRmT3_T4_T5_T6_T7_T9_mT8_P12ihipStream_tbDpT10_ENKUlT_T0_E_clISt17integral_constantIbLb0EES1J_EEDaS1E_S1F_EUlS1E_E_NS1_11comp_targetILNS1_3genE8ELNS1_11target_archE1030ELNS1_3gpuE2ELNS1_3repE0EEENS1_30default_config_static_selectorELNS0_4arch9wavefront6targetE0EEEvT1_
		.amdhsa_group_segment_fixed_size 0
		.amdhsa_private_segment_fixed_size 0
		.amdhsa_kernarg_size 152
		.amdhsa_user_sgpr_count 2
		.amdhsa_user_sgpr_dispatch_ptr 0
		.amdhsa_user_sgpr_queue_ptr 0
		.amdhsa_user_sgpr_kernarg_segment_ptr 1
		.amdhsa_user_sgpr_dispatch_id 0
		.amdhsa_user_sgpr_private_segment_size 0
		.amdhsa_wavefront_size32 1
		.amdhsa_uses_dynamic_stack 0
		.amdhsa_enable_private_segment 0
		.amdhsa_system_sgpr_workgroup_id_x 1
		.amdhsa_system_sgpr_workgroup_id_y 0
		.amdhsa_system_sgpr_workgroup_id_z 0
		.amdhsa_system_sgpr_workgroup_info 0
		.amdhsa_system_vgpr_workitem_id 0
		.amdhsa_next_free_vgpr 1
		.amdhsa_next_free_sgpr 1
		.amdhsa_reserve_vcc 0
		.amdhsa_float_round_mode_32 0
		.amdhsa_float_round_mode_16_64 0
		.amdhsa_float_denorm_mode_32 3
		.amdhsa_float_denorm_mode_16_64 3
		.amdhsa_fp16_overflow 0
		.amdhsa_workgroup_processor_mode 1
		.amdhsa_memory_ordered 1
		.amdhsa_forward_progress 1
		.amdhsa_inst_pref_size 0
		.amdhsa_round_robin_scheduling 0
		.amdhsa_exception_fp_ieee_invalid_op 0
		.amdhsa_exception_fp_denorm_src 0
		.amdhsa_exception_fp_ieee_div_zero 0
		.amdhsa_exception_fp_ieee_overflow 0
		.amdhsa_exception_fp_ieee_underflow 0
		.amdhsa_exception_fp_ieee_inexact 0
		.amdhsa_exception_int_div_zero 0
	.end_amdhsa_kernel
	.section	.text._ZN7rocprim17ROCPRIM_400000_NS6detail17trampoline_kernelINS0_14default_configENS1_25partition_config_selectorILNS1_17partition_subalgoE6EN6thrust23THRUST_200600_302600_NS5tupleIddNS7_9null_typeES9_S9_S9_S9_S9_S9_S9_EENS0_10empty_typeEbEEZZNS1_14partition_implILS5_6ELb0ES3_mNS7_12zip_iteratorINS8_INS7_6detail15normal_iteratorINS7_10device_ptrIdEEEESJ_S9_S9_S9_S9_S9_S9_S9_S9_EEEEPSB_SM_NS0_5tupleIJNSE_INS8_ISJ_NS7_16discard_iteratorINS7_11use_defaultEEES9_S9_S9_S9_S9_S9_S9_S9_EEEESB_EEENSN_IJSM_SM_EEESB_PlJNSF_9not_fun_tINSF_14equal_to_valueISA_EEEEEEE10hipError_tPvRmT3_T4_T5_T6_T7_T9_mT8_P12ihipStream_tbDpT10_ENKUlT_T0_E_clISt17integral_constantIbLb0EES1J_EEDaS1E_S1F_EUlS1E_E_NS1_11comp_targetILNS1_3genE8ELNS1_11target_archE1030ELNS1_3gpuE2ELNS1_3repE0EEENS1_30default_config_static_selectorELNS0_4arch9wavefront6targetE0EEEvT1_,"axG",@progbits,_ZN7rocprim17ROCPRIM_400000_NS6detail17trampoline_kernelINS0_14default_configENS1_25partition_config_selectorILNS1_17partition_subalgoE6EN6thrust23THRUST_200600_302600_NS5tupleIddNS7_9null_typeES9_S9_S9_S9_S9_S9_S9_EENS0_10empty_typeEbEEZZNS1_14partition_implILS5_6ELb0ES3_mNS7_12zip_iteratorINS8_INS7_6detail15normal_iteratorINS7_10device_ptrIdEEEESJ_S9_S9_S9_S9_S9_S9_S9_S9_EEEEPSB_SM_NS0_5tupleIJNSE_INS8_ISJ_NS7_16discard_iteratorINS7_11use_defaultEEES9_S9_S9_S9_S9_S9_S9_S9_EEEESB_EEENSN_IJSM_SM_EEESB_PlJNSF_9not_fun_tINSF_14equal_to_valueISA_EEEEEEE10hipError_tPvRmT3_T4_T5_T6_T7_T9_mT8_P12ihipStream_tbDpT10_ENKUlT_T0_E_clISt17integral_constantIbLb0EES1J_EEDaS1E_S1F_EUlS1E_E_NS1_11comp_targetILNS1_3genE8ELNS1_11target_archE1030ELNS1_3gpuE2ELNS1_3repE0EEENS1_30default_config_static_selectorELNS0_4arch9wavefront6targetE0EEEvT1_,comdat
.Lfunc_end1828:
	.size	_ZN7rocprim17ROCPRIM_400000_NS6detail17trampoline_kernelINS0_14default_configENS1_25partition_config_selectorILNS1_17partition_subalgoE6EN6thrust23THRUST_200600_302600_NS5tupleIddNS7_9null_typeES9_S9_S9_S9_S9_S9_S9_EENS0_10empty_typeEbEEZZNS1_14partition_implILS5_6ELb0ES3_mNS7_12zip_iteratorINS8_INS7_6detail15normal_iteratorINS7_10device_ptrIdEEEESJ_S9_S9_S9_S9_S9_S9_S9_S9_EEEEPSB_SM_NS0_5tupleIJNSE_INS8_ISJ_NS7_16discard_iteratorINS7_11use_defaultEEES9_S9_S9_S9_S9_S9_S9_S9_EEEESB_EEENSN_IJSM_SM_EEESB_PlJNSF_9not_fun_tINSF_14equal_to_valueISA_EEEEEEE10hipError_tPvRmT3_T4_T5_T6_T7_T9_mT8_P12ihipStream_tbDpT10_ENKUlT_T0_E_clISt17integral_constantIbLb0EES1J_EEDaS1E_S1F_EUlS1E_E_NS1_11comp_targetILNS1_3genE8ELNS1_11target_archE1030ELNS1_3gpuE2ELNS1_3repE0EEENS1_30default_config_static_selectorELNS0_4arch9wavefront6targetE0EEEvT1_, .Lfunc_end1828-_ZN7rocprim17ROCPRIM_400000_NS6detail17trampoline_kernelINS0_14default_configENS1_25partition_config_selectorILNS1_17partition_subalgoE6EN6thrust23THRUST_200600_302600_NS5tupleIddNS7_9null_typeES9_S9_S9_S9_S9_S9_S9_EENS0_10empty_typeEbEEZZNS1_14partition_implILS5_6ELb0ES3_mNS7_12zip_iteratorINS8_INS7_6detail15normal_iteratorINS7_10device_ptrIdEEEESJ_S9_S9_S9_S9_S9_S9_S9_S9_EEEEPSB_SM_NS0_5tupleIJNSE_INS8_ISJ_NS7_16discard_iteratorINS7_11use_defaultEEES9_S9_S9_S9_S9_S9_S9_S9_EEEESB_EEENSN_IJSM_SM_EEESB_PlJNSF_9not_fun_tINSF_14equal_to_valueISA_EEEEEEE10hipError_tPvRmT3_T4_T5_T6_T7_T9_mT8_P12ihipStream_tbDpT10_ENKUlT_T0_E_clISt17integral_constantIbLb0EES1J_EEDaS1E_S1F_EUlS1E_E_NS1_11comp_targetILNS1_3genE8ELNS1_11target_archE1030ELNS1_3gpuE2ELNS1_3repE0EEENS1_30default_config_static_selectorELNS0_4arch9wavefront6targetE0EEEvT1_
                                        ; -- End function
	.set _ZN7rocprim17ROCPRIM_400000_NS6detail17trampoline_kernelINS0_14default_configENS1_25partition_config_selectorILNS1_17partition_subalgoE6EN6thrust23THRUST_200600_302600_NS5tupleIddNS7_9null_typeES9_S9_S9_S9_S9_S9_S9_EENS0_10empty_typeEbEEZZNS1_14partition_implILS5_6ELb0ES3_mNS7_12zip_iteratorINS8_INS7_6detail15normal_iteratorINS7_10device_ptrIdEEEESJ_S9_S9_S9_S9_S9_S9_S9_S9_EEEEPSB_SM_NS0_5tupleIJNSE_INS8_ISJ_NS7_16discard_iteratorINS7_11use_defaultEEES9_S9_S9_S9_S9_S9_S9_S9_EEEESB_EEENSN_IJSM_SM_EEESB_PlJNSF_9not_fun_tINSF_14equal_to_valueISA_EEEEEEE10hipError_tPvRmT3_T4_T5_T6_T7_T9_mT8_P12ihipStream_tbDpT10_ENKUlT_T0_E_clISt17integral_constantIbLb0EES1J_EEDaS1E_S1F_EUlS1E_E_NS1_11comp_targetILNS1_3genE8ELNS1_11target_archE1030ELNS1_3gpuE2ELNS1_3repE0EEENS1_30default_config_static_selectorELNS0_4arch9wavefront6targetE0EEEvT1_.num_vgpr, 0
	.set _ZN7rocprim17ROCPRIM_400000_NS6detail17trampoline_kernelINS0_14default_configENS1_25partition_config_selectorILNS1_17partition_subalgoE6EN6thrust23THRUST_200600_302600_NS5tupleIddNS7_9null_typeES9_S9_S9_S9_S9_S9_S9_EENS0_10empty_typeEbEEZZNS1_14partition_implILS5_6ELb0ES3_mNS7_12zip_iteratorINS8_INS7_6detail15normal_iteratorINS7_10device_ptrIdEEEESJ_S9_S9_S9_S9_S9_S9_S9_S9_EEEEPSB_SM_NS0_5tupleIJNSE_INS8_ISJ_NS7_16discard_iteratorINS7_11use_defaultEEES9_S9_S9_S9_S9_S9_S9_S9_EEEESB_EEENSN_IJSM_SM_EEESB_PlJNSF_9not_fun_tINSF_14equal_to_valueISA_EEEEEEE10hipError_tPvRmT3_T4_T5_T6_T7_T9_mT8_P12ihipStream_tbDpT10_ENKUlT_T0_E_clISt17integral_constantIbLb0EES1J_EEDaS1E_S1F_EUlS1E_E_NS1_11comp_targetILNS1_3genE8ELNS1_11target_archE1030ELNS1_3gpuE2ELNS1_3repE0EEENS1_30default_config_static_selectorELNS0_4arch9wavefront6targetE0EEEvT1_.num_agpr, 0
	.set _ZN7rocprim17ROCPRIM_400000_NS6detail17trampoline_kernelINS0_14default_configENS1_25partition_config_selectorILNS1_17partition_subalgoE6EN6thrust23THRUST_200600_302600_NS5tupleIddNS7_9null_typeES9_S9_S9_S9_S9_S9_S9_EENS0_10empty_typeEbEEZZNS1_14partition_implILS5_6ELb0ES3_mNS7_12zip_iteratorINS8_INS7_6detail15normal_iteratorINS7_10device_ptrIdEEEESJ_S9_S9_S9_S9_S9_S9_S9_S9_EEEEPSB_SM_NS0_5tupleIJNSE_INS8_ISJ_NS7_16discard_iteratorINS7_11use_defaultEEES9_S9_S9_S9_S9_S9_S9_S9_EEEESB_EEENSN_IJSM_SM_EEESB_PlJNSF_9not_fun_tINSF_14equal_to_valueISA_EEEEEEE10hipError_tPvRmT3_T4_T5_T6_T7_T9_mT8_P12ihipStream_tbDpT10_ENKUlT_T0_E_clISt17integral_constantIbLb0EES1J_EEDaS1E_S1F_EUlS1E_E_NS1_11comp_targetILNS1_3genE8ELNS1_11target_archE1030ELNS1_3gpuE2ELNS1_3repE0EEENS1_30default_config_static_selectorELNS0_4arch9wavefront6targetE0EEEvT1_.numbered_sgpr, 0
	.set _ZN7rocprim17ROCPRIM_400000_NS6detail17trampoline_kernelINS0_14default_configENS1_25partition_config_selectorILNS1_17partition_subalgoE6EN6thrust23THRUST_200600_302600_NS5tupleIddNS7_9null_typeES9_S9_S9_S9_S9_S9_S9_EENS0_10empty_typeEbEEZZNS1_14partition_implILS5_6ELb0ES3_mNS7_12zip_iteratorINS8_INS7_6detail15normal_iteratorINS7_10device_ptrIdEEEESJ_S9_S9_S9_S9_S9_S9_S9_S9_EEEEPSB_SM_NS0_5tupleIJNSE_INS8_ISJ_NS7_16discard_iteratorINS7_11use_defaultEEES9_S9_S9_S9_S9_S9_S9_S9_EEEESB_EEENSN_IJSM_SM_EEESB_PlJNSF_9not_fun_tINSF_14equal_to_valueISA_EEEEEEE10hipError_tPvRmT3_T4_T5_T6_T7_T9_mT8_P12ihipStream_tbDpT10_ENKUlT_T0_E_clISt17integral_constantIbLb0EES1J_EEDaS1E_S1F_EUlS1E_E_NS1_11comp_targetILNS1_3genE8ELNS1_11target_archE1030ELNS1_3gpuE2ELNS1_3repE0EEENS1_30default_config_static_selectorELNS0_4arch9wavefront6targetE0EEEvT1_.num_named_barrier, 0
	.set _ZN7rocprim17ROCPRIM_400000_NS6detail17trampoline_kernelINS0_14default_configENS1_25partition_config_selectorILNS1_17partition_subalgoE6EN6thrust23THRUST_200600_302600_NS5tupleIddNS7_9null_typeES9_S9_S9_S9_S9_S9_S9_EENS0_10empty_typeEbEEZZNS1_14partition_implILS5_6ELb0ES3_mNS7_12zip_iteratorINS8_INS7_6detail15normal_iteratorINS7_10device_ptrIdEEEESJ_S9_S9_S9_S9_S9_S9_S9_S9_EEEEPSB_SM_NS0_5tupleIJNSE_INS8_ISJ_NS7_16discard_iteratorINS7_11use_defaultEEES9_S9_S9_S9_S9_S9_S9_S9_EEEESB_EEENSN_IJSM_SM_EEESB_PlJNSF_9not_fun_tINSF_14equal_to_valueISA_EEEEEEE10hipError_tPvRmT3_T4_T5_T6_T7_T9_mT8_P12ihipStream_tbDpT10_ENKUlT_T0_E_clISt17integral_constantIbLb0EES1J_EEDaS1E_S1F_EUlS1E_E_NS1_11comp_targetILNS1_3genE8ELNS1_11target_archE1030ELNS1_3gpuE2ELNS1_3repE0EEENS1_30default_config_static_selectorELNS0_4arch9wavefront6targetE0EEEvT1_.private_seg_size, 0
	.set _ZN7rocprim17ROCPRIM_400000_NS6detail17trampoline_kernelINS0_14default_configENS1_25partition_config_selectorILNS1_17partition_subalgoE6EN6thrust23THRUST_200600_302600_NS5tupleIddNS7_9null_typeES9_S9_S9_S9_S9_S9_S9_EENS0_10empty_typeEbEEZZNS1_14partition_implILS5_6ELb0ES3_mNS7_12zip_iteratorINS8_INS7_6detail15normal_iteratorINS7_10device_ptrIdEEEESJ_S9_S9_S9_S9_S9_S9_S9_S9_EEEEPSB_SM_NS0_5tupleIJNSE_INS8_ISJ_NS7_16discard_iteratorINS7_11use_defaultEEES9_S9_S9_S9_S9_S9_S9_S9_EEEESB_EEENSN_IJSM_SM_EEESB_PlJNSF_9not_fun_tINSF_14equal_to_valueISA_EEEEEEE10hipError_tPvRmT3_T4_T5_T6_T7_T9_mT8_P12ihipStream_tbDpT10_ENKUlT_T0_E_clISt17integral_constantIbLb0EES1J_EEDaS1E_S1F_EUlS1E_E_NS1_11comp_targetILNS1_3genE8ELNS1_11target_archE1030ELNS1_3gpuE2ELNS1_3repE0EEENS1_30default_config_static_selectorELNS0_4arch9wavefront6targetE0EEEvT1_.uses_vcc, 0
	.set _ZN7rocprim17ROCPRIM_400000_NS6detail17trampoline_kernelINS0_14default_configENS1_25partition_config_selectorILNS1_17partition_subalgoE6EN6thrust23THRUST_200600_302600_NS5tupleIddNS7_9null_typeES9_S9_S9_S9_S9_S9_S9_EENS0_10empty_typeEbEEZZNS1_14partition_implILS5_6ELb0ES3_mNS7_12zip_iteratorINS8_INS7_6detail15normal_iteratorINS7_10device_ptrIdEEEESJ_S9_S9_S9_S9_S9_S9_S9_S9_EEEEPSB_SM_NS0_5tupleIJNSE_INS8_ISJ_NS7_16discard_iteratorINS7_11use_defaultEEES9_S9_S9_S9_S9_S9_S9_S9_EEEESB_EEENSN_IJSM_SM_EEESB_PlJNSF_9not_fun_tINSF_14equal_to_valueISA_EEEEEEE10hipError_tPvRmT3_T4_T5_T6_T7_T9_mT8_P12ihipStream_tbDpT10_ENKUlT_T0_E_clISt17integral_constantIbLb0EES1J_EEDaS1E_S1F_EUlS1E_E_NS1_11comp_targetILNS1_3genE8ELNS1_11target_archE1030ELNS1_3gpuE2ELNS1_3repE0EEENS1_30default_config_static_selectorELNS0_4arch9wavefront6targetE0EEEvT1_.uses_flat_scratch, 0
	.set _ZN7rocprim17ROCPRIM_400000_NS6detail17trampoline_kernelINS0_14default_configENS1_25partition_config_selectorILNS1_17partition_subalgoE6EN6thrust23THRUST_200600_302600_NS5tupleIddNS7_9null_typeES9_S9_S9_S9_S9_S9_S9_EENS0_10empty_typeEbEEZZNS1_14partition_implILS5_6ELb0ES3_mNS7_12zip_iteratorINS8_INS7_6detail15normal_iteratorINS7_10device_ptrIdEEEESJ_S9_S9_S9_S9_S9_S9_S9_S9_EEEEPSB_SM_NS0_5tupleIJNSE_INS8_ISJ_NS7_16discard_iteratorINS7_11use_defaultEEES9_S9_S9_S9_S9_S9_S9_S9_EEEESB_EEENSN_IJSM_SM_EEESB_PlJNSF_9not_fun_tINSF_14equal_to_valueISA_EEEEEEE10hipError_tPvRmT3_T4_T5_T6_T7_T9_mT8_P12ihipStream_tbDpT10_ENKUlT_T0_E_clISt17integral_constantIbLb0EES1J_EEDaS1E_S1F_EUlS1E_E_NS1_11comp_targetILNS1_3genE8ELNS1_11target_archE1030ELNS1_3gpuE2ELNS1_3repE0EEENS1_30default_config_static_selectorELNS0_4arch9wavefront6targetE0EEEvT1_.has_dyn_sized_stack, 0
	.set _ZN7rocprim17ROCPRIM_400000_NS6detail17trampoline_kernelINS0_14default_configENS1_25partition_config_selectorILNS1_17partition_subalgoE6EN6thrust23THRUST_200600_302600_NS5tupleIddNS7_9null_typeES9_S9_S9_S9_S9_S9_S9_EENS0_10empty_typeEbEEZZNS1_14partition_implILS5_6ELb0ES3_mNS7_12zip_iteratorINS8_INS7_6detail15normal_iteratorINS7_10device_ptrIdEEEESJ_S9_S9_S9_S9_S9_S9_S9_S9_EEEEPSB_SM_NS0_5tupleIJNSE_INS8_ISJ_NS7_16discard_iteratorINS7_11use_defaultEEES9_S9_S9_S9_S9_S9_S9_S9_EEEESB_EEENSN_IJSM_SM_EEESB_PlJNSF_9not_fun_tINSF_14equal_to_valueISA_EEEEEEE10hipError_tPvRmT3_T4_T5_T6_T7_T9_mT8_P12ihipStream_tbDpT10_ENKUlT_T0_E_clISt17integral_constantIbLb0EES1J_EEDaS1E_S1F_EUlS1E_E_NS1_11comp_targetILNS1_3genE8ELNS1_11target_archE1030ELNS1_3gpuE2ELNS1_3repE0EEENS1_30default_config_static_selectorELNS0_4arch9wavefront6targetE0EEEvT1_.has_recursion, 0
	.set _ZN7rocprim17ROCPRIM_400000_NS6detail17trampoline_kernelINS0_14default_configENS1_25partition_config_selectorILNS1_17partition_subalgoE6EN6thrust23THRUST_200600_302600_NS5tupleIddNS7_9null_typeES9_S9_S9_S9_S9_S9_S9_EENS0_10empty_typeEbEEZZNS1_14partition_implILS5_6ELb0ES3_mNS7_12zip_iteratorINS8_INS7_6detail15normal_iteratorINS7_10device_ptrIdEEEESJ_S9_S9_S9_S9_S9_S9_S9_S9_EEEEPSB_SM_NS0_5tupleIJNSE_INS8_ISJ_NS7_16discard_iteratorINS7_11use_defaultEEES9_S9_S9_S9_S9_S9_S9_S9_EEEESB_EEENSN_IJSM_SM_EEESB_PlJNSF_9not_fun_tINSF_14equal_to_valueISA_EEEEEEE10hipError_tPvRmT3_T4_T5_T6_T7_T9_mT8_P12ihipStream_tbDpT10_ENKUlT_T0_E_clISt17integral_constantIbLb0EES1J_EEDaS1E_S1F_EUlS1E_E_NS1_11comp_targetILNS1_3genE8ELNS1_11target_archE1030ELNS1_3gpuE2ELNS1_3repE0EEENS1_30default_config_static_selectorELNS0_4arch9wavefront6targetE0EEEvT1_.has_indirect_call, 0
	.section	.AMDGPU.csdata,"",@progbits
; Kernel info:
; codeLenInByte = 0
; TotalNumSgprs: 0
; NumVgprs: 0
; ScratchSize: 0
; MemoryBound: 0
; FloatMode: 240
; IeeeMode: 1
; LDSByteSize: 0 bytes/workgroup (compile time only)
; SGPRBlocks: 0
; VGPRBlocks: 0
; NumSGPRsForWavesPerEU: 1
; NumVGPRsForWavesPerEU: 1
; Occupancy: 16
; WaveLimiterHint : 0
; COMPUTE_PGM_RSRC2:SCRATCH_EN: 0
; COMPUTE_PGM_RSRC2:USER_SGPR: 2
; COMPUTE_PGM_RSRC2:TRAP_HANDLER: 0
; COMPUTE_PGM_RSRC2:TGID_X_EN: 1
; COMPUTE_PGM_RSRC2:TGID_Y_EN: 0
; COMPUTE_PGM_RSRC2:TGID_Z_EN: 0
; COMPUTE_PGM_RSRC2:TIDIG_COMP_CNT: 0
	.section	.text._ZN7rocprim17ROCPRIM_400000_NS6detail17trampoline_kernelINS0_14default_configENS1_25partition_config_selectorILNS1_17partition_subalgoE6EN6thrust23THRUST_200600_302600_NS5tupleIddNS7_9null_typeES9_S9_S9_S9_S9_S9_S9_EENS0_10empty_typeEbEEZZNS1_14partition_implILS5_6ELb0ES3_mNS7_12zip_iteratorINS8_INS7_6detail15normal_iteratorINS7_10device_ptrIdEEEESJ_S9_S9_S9_S9_S9_S9_S9_S9_EEEEPSB_SM_NS0_5tupleIJNSE_INS8_ISJ_NS7_16discard_iteratorINS7_11use_defaultEEES9_S9_S9_S9_S9_S9_S9_S9_EEEESB_EEENSN_IJSM_SM_EEESB_PlJNSF_9not_fun_tINSF_14equal_to_valueISA_EEEEEEE10hipError_tPvRmT3_T4_T5_T6_T7_T9_mT8_P12ihipStream_tbDpT10_ENKUlT_T0_E_clISt17integral_constantIbLb1EES1J_EEDaS1E_S1F_EUlS1E_E_NS1_11comp_targetILNS1_3genE0ELNS1_11target_archE4294967295ELNS1_3gpuE0ELNS1_3repE0EEENS1_30default_config_static_selectorELNS0_4arch9wavefront6targetE0EEEvT1_,"axG",@progbits,_ZN7rocprim17ROCPRIM_400000_NS6detail17trampoline_kernelINS0_14default_configENS1_25partition_config_selectorILNS1_17partition_subalgoE6EN6thrust23THRUST_200600_302600_NS5tupleIddNS7_9null_typeES9_S9_S9_S9_S9_S9_S9_EENS0_10empty_typeEbEEZZNS1_14partition_implILS5_6ELb0ES3_mNS7_12zip_iteratorINS8_INS7_6detail15normal_iteratorINS7_10device_ptrIdEEEESJ_S9_S9_S9_S9_S9_S9_S9_S9_EEEEPSB_SM_NS0_5tupleIJNSE_INS8_ISJ_NS7_16discard_iteratorINS7_11use_defaultEEES9_S9_S9_S9_S9_S9_S9_S9_EEEESB_EEENSN_IJSM_SM_EEESB_PlJNSF_9not_fun_tINSF_14equal_to_valueISA_EEEEEEE10hipError_tPvRmT3_T4_T5_T6_T7_T9_mT8_P12ihipStream_tbDpT10_ENKUlT_T0_E_clISt17integral_constantIbLb1EES1J_EEDaS1E_S1F_EUlS1E_E_NS1_11comp_targetILNS1_3genE0ELNS1_11target_archE4294967295ELNS1_3gpuE0ELNS1_3repE0EEENS1_30default_config_static_selectorELNS0_4arch9wavefront6targetE0EEEvT1_,comdat
	.protected	_ZN7rocprim17ROCPRIM_400000_NS6detail17trampoline_kernelINS0_14default_configENS1_25partition_config_selectorILNS1_17partition_subalgoE6EN6thrust23THRUST_200600_302600_NS5tupleIddNS7_9null_typeES9_S9_S9_S9_S9_S9_S9_EENS0_10empty_typeEbEEZZNS1_14partition_implILS5_6ELb0ES3_mNS7_12zip_iteratorINS8_INS7_6detail15normal_iteratorINS7_10device_ptrIdEEEESJ_S9_S9_S9_S9_S9_S9_S9_S9_EEEEPSB_SM_NS0_5tupleIJNSE_INS8_ISJ_NS7_16discard_iteratorINS7_11use_defaultEEES9_S9_S9_S9_S9_S9_S9_S9_EEEESB_EEENSN_IJSM_SM_EEESB_PlJNSF_9not_fun_tINSF_14equal_to_valueISA_EEEEEEE10hipError_tPvRmT3_T4_T5_T6_T7_T9_mT8_P12ihipStream_tbDpT10_ENKUlT_T0_E_clISt17integral_constantIbLb1EES1J_EEDaS1E_S1F_EUlS1E_E_NS1_11comp_targetILNS1_3genE0ELNS1_11target_archE4294967295ELNS1_3gpuE0ELNS1_3repE0EEENS1_30default_config_static_selectorELNS0_4arch9wavefront6targetE0EEEvT1_ ; -- Begin function _ZN7rocprim17ROCPRIM_400000_NS6detail17trampoline_kernelINS0_14default_configENS1_25partition_config_selectorILNS1_17partition_subalgoE6EN6thrust23THRUST_200600_302600_NS5tupleIddNS7_9null_typeES9_S9_S9_S9_S9_S9_S9_EENS0_10empty_typeEbEEZZNS1_14partition_implILS5_6ELb0ES3_mNS7_12zip_iteratorINS8_INS7_6detail15normal_iteratorINS7_10device_ptrIdEEEESJ_S9_S9_S9_S9_S9_S9_S9_S9_EEEEPSB_SM_NS0_5tupleIJNSE_INS8_ISJ_NS7_16discard_iteratorINS7_11use_defaultEEES9_S9_S9_S9_S9_S9_S9_S9_EEEESB_EEENSN_IJSM_SM_EEESB_PlJNSF_9not_fun_tINSF_14equal_to_valueISA_EEEEEEE10hipError_tPvRmT3_T4_T5_T6_T7_T9_mT8_P12ihipStream_tbDpT10_ENKUlT_T0_E_clISt17integral_constantIbLb1EES1J_EEDaS1E_S1F_EUlS1E_E_NS1_11comp_targetILNS1_3genE0ELNS1_11target_archE4294967295ELNS1_3gpuE0ELNS1_3repE0EEENS1_30default_config_static_selectorELNS0_4arch9wavefront6targetE0EEEvT1_
	.globl	_ZN7rocprim17ROCPRIM_400000_NS6detail17trampoline_kernelINS0_14default_configENS1_25partition_config_selectorILNS1_17partition_subalgoE6EN6thrust23THRUST_200600_302600_NS5tupleIddNS7_9null_typeES9_S9_S9_S9_S9_S9_S9_EENS0_10empty_typeEbEEZZNS1_14partition_implILS5_6ELb0ES3_mNS7_12zip_iteratorINS8_INS7_6detail15normal_iteratorINS7_10device_ptrIdEEEESJ_S9_S9_S9_S9_S9_S9_S9_S9_EEEEPSB_SM_NS0_5tupleIJNSE_INS8_ISJ_NS7_16discard_iteratorINS7_11use_defaultEEES9_S9_S9_S9_S9_S9_S9_S9_EEEESB_EEENSN_IJSM_SM_EEESB_PlJNSF_9not_fun_tINSF_14equal_to_valueISA_EEEEEEE10hipError_tPvRmT3_T4_T5_T6_T7_T9_mT8_P12ihipStream_tbDpT10_ENKUlT_T0_E_clISt17integral_constantIbLb1EES1J_EEDaS1E_S1F_EUlS1E_E_NS1_11comp_targetILNS1_3genE0ELNS1_11target_archE4294967295ELNS1_3gpuE0ELNS1_3repE0EEENS1_30default_config_static_selectorELNS0_4arch9wavefront6targetE0EEEvT1_
	.p2align	8
	.type	_ZN7rocprim17ROCPRIM_400000_NS6detail17trampoline_kernelINS0_14default_configENS1_25partition_config_selectorILNS1_17partition_subalgoE6EN6thrust23THRUST_200600_302600_NS5tupleIddNS7_9null_typeES9_S9_S9_S9_S9_S9_S9_EENS0_10empty_typeEbEEZZNS1_14partition_implILS5_6ELb0ES3_mNS7_12zip_iteratorINS8_INS7_6detail15normal_iteratorINS7_10device_ptrIdEEEESJ_S9_S9_S9_S9_S9_S9_S9_S9_EEEEPSB_SM_NS0_5tupleIJNSE_INS8_ISJ_NS7_16discard_iteratorINS7_11use_defaultEEES9_S9_S9_S9_S9_S9_S9_S9_EEEESB_EEENSN_IJSM_SM_EEESB_PlJNSF_9not_fun_tINSF_14equal_to_valueISA_EEEEEEE10hipError_tPvRmT3_T4_T5_T6_T7_T9_mT8_P12ihipStream_tbDpT10_ENKUlT_T0_E_clISt17integral_constantIbLb1EES1J_EEDaS1E_S1F_EUlS1E_E_NS1_11comp_targetILNS1_3genE0ELNS1_11target_archE4294967295ELNS1_3gpuE0ELNS1_3repE0EEENS1_30default_config_static_selectorELNS0_4arch9wavefront6targetE0EEEvT1_,@function
_ZN7rocprim17ROCPRIM_400000_NS6detail17trampoline_kernelINS0_14default_configENS1_25partition_config_selectorILNS1_17partition_subalgoE6EN6thrust23THRUST_200600_302600_NS5tupleIddNS7_9null_typeES9_S9_S9_S9_S9_S9_S9_EENS0_10empty_typeEbEEZZNS1_14partition_implILS5_6ELb0ES3_mNS7_12zip_iteratorINS8_INS7_6detail15normal_iteratorINS7_10device_ptrIdEEEESJ_S9_S9_S9_S9_S9_S9_S9_S9_EEEEPSB_SM_NS0_5tupleIJNSE_INS8_ISJ_NS7_16discard_iteratorINS7_11use_defaultEEES9_S9_S9_S9_S9_S9_S9_S9_EEEESB_EEENSN_IJSM_SM_EEESB_PlJNSF_9not_fun_tINSF_14equal_to_valueISA_EEEEEEE10hipError_tPvRmT3_T4_T5_T6_T7_T9_mT8_P12ihipStream_tbDpT10_ENKUlT_T0_E_clISt17integral_constantIbLb1EES1J_EEDaS1E_S1F_EUlS1E_E_NS1_11comp_targetILNS1_3genE0ELNS1_11target_archE4294967295ELNS1_3gpuE0ELNS1_3repE0EEENS1_30default_config_static_selectorELNS0_4arch9wavefront6targetE0EEEvT1_: ; @_ZN7rocprim17ROCPRIM_400000_NS6detail17trampoline_kernelINS0_14default_configENS1_25partition_config_selectorILNS1_17partition_subalgoE6EN6thrust23THRUST_200600_302600_NS5tupleIddNS7_9null_typeES9_S9_S9_S9_S9_S9_S9_EENS0_10empty_typeEbEEZZNS1_14partition_implILS5_6ELb0ES3_mNS7_12zip_iteratorINS8_INS7_6detail15normal_iteratorINS7_10device_ptrIdEEEESJ_S9_S9_S9_S9_S9_S9_S9_S9_EEEEPSB_SM_NS0_5tupleIJNSE_INS8_ISJ_NS7_16discard_iteratorINS7_11use_defaultEEES9_S9_S9_S9_S9_S9_S9_S9_EEEESB_EEENSN_IJSM_SM_EEESB_PlJNSF_9not_fun_tINSF_14equal_to_valueISA_EEEEEEE10hipError_tPvRmT3_T4_T5_T6_T7_T9_mT8_P12ihipStream_tbDpT10_ENKUlT_T0_E_clISt17integral_constantIbLb1EES1J_EEDaS1E_S1F_EUlS1E_E_NS1_11comp_targetILNS1_3genE0ELNS1_11target_archE4294967295ELNS1_3gpuE0ELNS1_3repE0EEENS1_30default_config_static_selectorELNS0_4arch9wavefront6targetE0EEEvT1_
; %bb.0:
	.section	.rodata,"a",@progbits
	.p2align	6, 0x0
	.amdhsa_kernel _ZN7rocprim17ROCPRIM_400000_NS6detail17trampoline_kernelINS0_14default_configENS1_25partition_config_selectorILNS1_17partition_subalgoE6EN6thrust23THRUST_200600_302600_NS5tupleIddNS7_9null_typeES9_S9_S9_S9_S9_S9_S9_EENS0_10empty_typeEbEEZZNS1_14partition_implILS5_6ELb0ES3_mNS7_12zip_iteratorINS8_INS7_6detail15normal_iteratorINS7_10device_ptrIdEEEESJ_S9_S9_S9_S9_S9_S9_S9_S9_EEEEPSB_SM_NS0_5tupleIJNSE_INS8_ISJ_NS7_16discard_iteratorINS7_11use_defaultEEES9_S9_S9_S9_S9_S9_S9_S9_EEEESB_EEENSN_IJSM_SM_EEESB_PlJNSF_9not_fun_tINSF_14equal_to_valueISA_EEEEEEE10hipError_tPvRmT3_T4_T5_T6_T7_T9_mT8_P12ihipStream_tbDpT10_ENKUlT_T0_E_clISt17integral_constantIbLb1EES1J_EEDaS1E_S1F_EUlS1E_E_NS1_11comp_targetILNS1_3genE0ELNS1_11target_archE4294967295ELNS1_3gpuE0ELNS1_3repE0EEENS1_30default_config_static_selectorELNS0_4arch9wavefront6targetE0EEEvT1_
		.amdhsa_group_segment_fixed_size 0
		.amdhsa_private_segment_fixed_size 0
		.amdhsa_kernarg_size 160
		.amdhsa_user_sgpr_count 2
		.amdhsa_user_sgpr_dispatch_ptr 0
		.amdhsa_user_sgpr_queue_ptr 0
		.amdhsa_user_sgpr_kernarg_segment_ptr 1
		.amdhsa_user_sgpr_dispatch_id 0
		.amdhsa_user_sgpr_private_segment_size 0
		.amdhsa_wavefront_size32 1
		.amdhsa_uses_dynamic_stack 0
		.amdhsa_enable_private_segment 0
		.amdhsa_system_sgpr_workgroup_id_x 1
		.amdhsa_system_sgpr_workgroup_id_y 0
		.amdhsa_system_sgpr_workgroup_id_z 0
		.amdhsa_system_sgpr_workgroup_info 0
		.amdhsa_system_vgpr_workitem_id 0
		.amdhsa_next_free_vgpr 1
		.amdhsa_next_free_sgpr 1
		.amdhsa_reserve_vcc 0
		.amdhsa_float_round_mode_32 0
		.amdhsa_float_round_mode_16_64 0
		.amdhsa_float_denorm_mode_32 3
		.amdhsa_float_denorm_mode_16_64 3
		.amdhsa_fp16_overflow 0
		.amdhsa_workgroup_processor_mode 1
		.amdhsa_memory_ordered 1
		.amdhsa_forward_progress 1
		.amdhsa_inst_pref_size 0
		.amdhsa_round_robin_scheduling 0
		.amdhsa_exception_fp_ieee_invalid_op 0
		.amdhsa_exception_fp_denorm_src 0
		.amdhsa_exception_fp_ieee_div_zero 0
		.amdhsa_exception_fp_ieee_overflow 0
		.amdhsa_exception_fp_ieee_underflow 0
		.amdhsa_exception_fp_ieee_inexact 0
		.amdhsa_exception_int_div_zero 0
	.end_amdhsa_kernel
	.section	.text._ZN7rocprim17ROCPRIM_400000_NS6detail17trampoline_kernelINS0_14default_configENS1_25partition_config_selectorILNS1_17partition_subalgoE6EN6thrust23THRUST_200600_302600_NS5tupleIddNS7_9null_typeES9_S9_S9_S9_S9_S9_S9_EENS0_10empty_typeEbEEZZNS1_14partition_implILS5_6ELb0ES3_mNS7_12zip_iteratorINS8_INS7_6detail15normal_iteratorINS7_10device_ptrIdEEEESJ_S9_S9_S9_S9_S9_S9_S9_S9_EEEEPSB_SM_NS0_5tupleIJNSE_INS8_ISJ_NS7_16discard_iteratorINS7_11use_defaultEEES9_S9_S9_S9_S9_S9_S9_S9_EEEESB_EEENSN_IJSM_SM_EEESB_PlJNSF_9not_fun_tINSF_14equal_to_valueISA_EEEEEEE10hipError_tPvRmT3_T4_T5_T6_T7_T9_mT8_P12ihipStream_tbDpT10_ENKUlT_T0_E_clISt17integral_constantIbLb1EES1J_EEDaS1E_S1F_EUlS1E_E_NS1_11comp_targetILNS1_3genE0ELNS1_11target_archE4294967295ELNS1_3gpuE0ELNS1_3repE0EEENS1_30default_config_static_selectorELNS0_4arch9wavefront6targetE0EEEvT1_,"axG",@progbits,_ZN7rocprim17ROCPRIM_400000_NS6detail17trampoline_kernelINS0_14default_configENS1_25partition_config_selectorILNS1_17partition_subalgoE6EN6thrust23THRUST_200600_302600_NS5tupleIddNS7_9null_typeES9_S9_S9_S9_S9_S9_S9_EENS0_10empty_typeEbEEZZNS1_14partition_implILS5_6ELb0ES3_mNS7_12zip_iteratorINS8_INS7_6detail15normal_iteratorINS7_10device_ptrIdEEEESJ_S9_S9_S9_S9_S9_S9_S9_S9_EEEEPSB_SM_NS0_5tupleIJNSE_INS8_ISJ_NS7_16discard_iteratorINS7_11use_defaultEEES9_S9_S9_S9_S9_S9_S9_S9_EEEESB_EEENSN_IJSM_SM_EEESB_PlJNSF_9not_fun_tINSF_14equal_to_valueISA_EEEEEEE10hipError_tPvRmT3_T4_T5_T6_T7_T9_mT8_P12ihipStream_tbDpT10_ENKUlT_T0_E_clISt17integral_constantIbLb1EES1J_EEDaS1E_S1F_EUlS1E_E_NS1_11comp_targetILNS1_3genE0ELNS1_11target_archE4294967295ELNS1_3gpuE0ELNS1_3repE0EEENS1_30default_config_static_selectorELNS0_4arch9wavefront6targetE0EEEvT1_,comdat
.Lfunc_end1829:
	.size	_ZN7rocprim17ROCPRIM_400000_NS6detail17trampoline_kernelINS0_14default_configENS1_25partition_config_selectorILNS1_17partition_subalgoE6EN6thrust23THRUST_200600_302600_NS5tupleIddNS7_9null_typeES9_S9_S9_S9_S9_S9_S9_EENS0_10empty_typeEbEEZZNS1_14partition_implILS5_6ELb0ES3_mNS7_12zip_iteratorINS8_INS7_6detail15normal_iteratorINS7_10device_ptrIdEEEESJ_S9_S9_S9_S9_S9_S9_S9_S9_EEEEPSB_SM_NS0_5tupleIJNSE_INS8_ISJ_NS7_16discard_iteratorINS7_11use_defaultEEES9_S9_S9_S9_S9_S9_S9_S9_EEEESB_EEENSN_IJSM_SM_EEESB_PlJNSF_9not_fun_tINSF_14equal_to_valueISA_EEEEEEE10hipError_tPvRmT3_T4_T5_T6_T7_T9_mT8_P12ihipStream_tbDpT10_ENKUlT_T0_E_clISt17integral_constantIbLb1EES1J_EEDaS1E_S1F_EUlS1E_E_NS1_11comp_targetILNS1_3genE0ELNS1_11target_archE4294967295ELNS1_3gpuE0ELNS1_3repE0EEENS1_30default_config_static_selectorELNS0_4arch9wavefront6targetE0EEEvT1_, .Lfunc_end1829-_ZN7rocprim17ROCPRIM_400000_NS6detail17trampoline_kernelINS0_14default_configENS1_25partition_config_selectorILNS1_17partition_subalgoE6EN6thrust23THRUST_200600_302600_NS5tupleIddNS7_9null_typeES9_S9_S9_S9_S9_S9_S9_EENS0_10empty_typeEbEEZZNS1_14partition_implILS5_6ELb0ES3_mNS7_12zip_iteratorINS8_INS7_6detail15normal_iteratorINS7_10device_ptrIdEEEESJ_S9_S9_S9_S9_S9_S9_S9_S9_EEEEPSB_SM_NS0_5tupleIJNSE_INS8_ISJ_NS7_16discard_iteratorINS7_11use_defaultEEES9_S9_S9_S9_S9_S9_S9_S9_EEEESB_EEENSN_IJSM_SM_EEESB_PlJNSF_9not_fun_tINSF_14equal_to_valueISA_EEEEEEE10hipError_tPvRmT3_T4_T5_T6_T7_T9_mT8_P12ihipStream_tbDpT10_ENKUlT_T0_E_clISt17integral_constantIbLb1EES1J_EEDaS1E_S1F_EUlS1E_E_NS1_11comp_targetILNS1_3genE0ELNS1_11target_archE4294967295ELNS1_3gpuE0ELNS1_3repE0EEENS1_30default_config_static_selectorELNS0_4arch9wavefront6targetE0EEEvT1_
                                        ; -- End function
	.set _ZN7rocprim17ROCPRIM_400000_NS6detail17trampoline_kernelINS0_14default_configENS1_25partition_config_selectorILNS1_17partition_subalgoE6EN6thrust23THRUST_200600_302600_NS5tupleIddNS7_9null_typeES9_S9_S9_S9_S9_S9_S9_EENS0_10empty_typeEbEEZZNS1_14partition_implILS5_6ELb0ES3_mNS7_12zip_iteratorINS8_INS7_6detail15normal_iteratorINS7_10device_ptrIdEEEESJ_S9_S9_S9_S9_S9_S9_S9_S9_EEEEPSB_SM_NS0_5tupleIJNSE_INS8_ISJ_NS7_16discard_iteratorINS7_11use_defaultEEES9_S9_S9_S9_S9_S9_S9_S9_EEEESB_EEENSN_IJSM_SM_EEESB_PlJNSF_9not_fun_tINSF_14equal_to_valueISA_EEEEEEE10hipError_tPvRmT3_T4_T5_T6_T7_T9_mT8_P12ihipStream_tbDpT10_ENKUlT_T0_E_clISt17integral_constantIbLb1EES1J_EEDaS1E_S1F_EUlS1E_E_NS1_11comp_targetILNS1_3genE0ELNS1_11target_archE4294967295ELNS1_3gpuE0ELNS1_3repE0EEENS1_30default_config_static_selectorELNS0_4arch9wavefront6targetE0EEEvT1_.num_vgpr, 0
	.set _ZN7rocprim17ROCPRIM_400000_NS6detail17trampoline_kernelINS0_14default_configENS1_25partition_config_selectorILNS1_17partition_subalgoE6EN6thrust23THRUST_200600_302600_NS5tupleIddNS7_9null_typeES9_S9_S9_S9_S9_S9_S9_EENS0_10empty_typeEbEEZZNS1_14partition_implILS5_6ELb0ES3_mNS7_12zip_iteratorINS8_INS7_6detail15normal_iteratorINS7_10device_ptrIdEEEESJ_S9_S9_S9_S9_S9_S9_S9_S9_EEEEPSB_SM_NS0_5tupleIJNSE_INS8_ISJ_NS7_16discard_iteratorINS7_11use_defaultEEES9_S9_S9_S9_S9_S9_S9_S9_EEEESB_EEENSN_IJSM_SM_EEESB_PlJNSF_9not_fun_tINSF_14equal_to_valueISA_EEEEEEE10hipError_tPvRmT3_T4_T5_T6_T7_T9_mT8_P12ihipStream_tbDpT10_ENKUlT_T0_E_clISt17integral_constantIbLb1EES1J_EEDaS1E_S1F_EUlS1E_E_NS1_11comp_targetILNS1_3genE0ELNS1_11target_archE4294967295ELNS1_3gpuE0ELNS1_3repE0EEENS1_30default_config_static_selectorELNS0_4arch9wavefront6targetE0EEEvT1_.num_agpr, 0
	.set _ZN7rocprim17ROCPRIM_400000_NS6detail17trampoline_kernelINS0_14default_configENS1_25partition_config_selectorILNS1_17partition_subalgoE6EN6thrust23THRUST_200600_302600_NS5tupleIddNS7_9null_typeES9_S9_S9_S9_S9_S9_S9_EENS0_10empty_typeEbEEZZNS1_14partition_implILS5_6ELb0ES3_mNS7_12zip_iteratorINS8_INS7_6detail15normal_iteratorINS7_10device_ptrIdEEEESJ_S9_S9_S9_S9_S9_S9_S9_S9_EEEEPSB_SM_NS0_5tupleIJNSE_INS8_ISJ_NS7_16discard_iteratorINS7_11use_defaultEEES9_S9_S9_S9_S9_S9_S9_S9_EEEESB_EEENSN_IJSM_SM_EEESB_PlJNSF_9not_fun_tINSF_14equal_to_valueISA_EEEEEEE10hipError_tPvRmT3_T4_T5_T6_T7_T9_mT8_P12ihipStream_tbDpT10_ENKUlT_T0_E_clISt17integral_constantIbLb1EES1J_EEDaS1E_S1F_EUlS1E_E_NS1_11comp_targetILNS1_3genE0ELNS1_11target_archE4294967295ELNS1_3gpuE0ELNS1_3repE0EEENS1_30default_config_static_selectorELNS0_4arch9wavefront6targetE0EEEvT1_.numbered_sgpr, 0
	.set _ZN7rocprim17ROCPRIM_400000_NS6detail17trampoline_kernelINS0_14default_configENS1_25partition_config_selectorILNS1_17partition_subalgoE6EN6thrust23THRUST_200600_302600_NS5tupleIddNS7_9null_typeES9_S9_S9_S9_S9_S9_S9_EENS0_10empty_typeEbEEZZNS1_14partition_implILS5_6ELb0ES3_mNS7_12zip_iteratorINS8_INS7_6detail15normal_iteratorINS7_10device_ptrIdEEEESJ_S9_S9_S9_S9_S9_S9_S9_S9_EEEEPSB_SM_NS0_5tupleIJNSE_INS8_ISJ_NS7_16discard_iteratorINS7_11use_defaultEEES9_S9_S9_S9_S9_S9_S9_S9_EEEESB_EEENSN_IJSM_SM_EEESB_PlJNSF_9not_fun_tINSF_14equal_to_valueISA_EEEEEEE10hipError_tPvRmT3_T4_T5_T6_T7_T9_mT8_P12ihipStream_tbDpT10_ENKUlT_T0_E_clISt17integral_constantIbLb1EES1J_EEDaS1E_S1F_EUlS1E_E_NS1_11comp_targetILNS1_3genE0ELNS1_11target_archE4294967295ELNS1_3gpuE0ELNS1_3repE0EEENS1_30default_config_static_selectorELNS0_4arch9wavefront6targetE0EEEvT1_.num_named_barrier, 0
	.set _ZN7rocprim17ROCPRIM_400000_NS6detail17trampoline_kernelINS0_14default_configENS1_25partition_config_selectorILNS1_17partition_subalgoE6EN6thrust23THRUST_200600_302600_NS5tupleIddNS7_9null_typeES9_S9_S9_S9_S9_S9_S9_EENS0_10empty_typeEbEEZZNS1_14partition_implILS5_6ELb0ES3_mNS7_12zip_iteratorINS8_INS7_6detail15normal_iteratorINS7_10device_ptrIdEEEESJ_S9_S9_S9_S9_S9_S9_S9_S9_EEEEPSB_SM_NS0_5tupleIJNSE_INS8_ISJ_NS7_16discard_iteratorINS7_11use_defaultEEES9_S9_S9_S9_S9_S9_S9_S9_EEEESB_EEENSN_IJSM_SM_EEESB_PlJNSF_9not_fun_tINSF_14equal_to_valueISA_EEEEEEE10hipError_tPvRmT3_T4_T5_T6_T7_T9_mT8_P12ihipStream_tbDpT10_ENKUlT_T0_E_clISt17integral_constantIbLb1EES1J_EEDaS1E_S1F_EUlS1E_E_NS1_11comp_targetILNS1_3genE0ELNS1_11target_archE4294967295ELNS1_3gpuE0ELNS1_3repE0EEENS1_30default_config_static_selectorELNS0_4arch9wavefront6targetE0EEEvT1_.private_seg_size, 0
	.set _ZN7rocprim17ROCPRIM_400000_NS6detail17trampoline_kernelINS0_14default_configENS1_25partition_config_selectorILNS1_17partition_subalgoE6EN6thrust23THRUST_200600_302600_NS5tupleIddNS7_9null_typeES9_S9_S9_S9_S9_S9_S9_EENS0_10empty_typeEbEEZZNS1_14partition_implILS5_6ELb0ES3_mNS7_12zip_iteratorINS8_INS7_6detail15normal_iteratorINS7_10device_ptrIdEEEESJ_S9_S9_S9_S9_S9_S9_S9_S9_EEEEPSB_SM_NS0_5tupleIJNSE_INS8_ISJ_NS7_16discard_iteratorINS7_11use_defaultEEES9_S9_S9_S9_S9_S9_S9_S9_EEEESB_EEENSN_IJSM_SM_EEESB_PlJNSF_9not_fun_tINSF_14equal_to_valueISA_EEEEEEE10hipError_tPvRmT3_T4_T5_T6_T7_T9_mT8_P12ihipStream_tbDpT10_ENKUlT_T0_E_clISt17integral_constantIbLb1EES1J_EEDaS1E_S1F_EUlS1E_E_NS1_11comp_targetILNS1_3genE0ELNS1_11target_archE4294967295ELNS1_3gpuE0ELNS1_3repE0EEENS1_30default_config_static_selectorELNS0_4arch9wavefront6targetE0EEEvT1_.uses_vcc, 0
	.set _ZN7rocprim17ROCPRIM_400000_NS6detail17trampoline_kernelINS0_14default_configENS1_25partition_config_selectorILNS1_17partition_subalgoE6EN6thrust23THRUST_200600_302600_NS5tupleIddNS7_9null_typeES9_S9_S9_S9_S9_S9_S9_EENS0_10empty_typeEbEEZZNS1_14partition_implILS5_6ELb0ES3_mNS7_12zip_iteratorINS8_INS7_6detail15normal_iteratorINS7_10device_ptrIdEEEESJ_S9_S9_S9_S9_S9_S9_S9_S9_EEEEPSB_SM_NS0_5tupleIJNSE_INS8_ISJ_NS7_16discard_iteratorINS7_11use_defaultEEES9_S9_S9_S9_S9_S9_S9_S9_EEEESB_EEENSN_IJSM_SM_EEESB_PlJNSF_9not_fun_tINSF_14equal_to_valueISA_EEEEEEE10hipError_tPvRmT3_T4_T5_T6_T7_T9_mT8_P12ihipStream_tbDpT10_ENKUlT_T0_E_clISt17integral_constantIbLb1EES1J_EEDaS1E_S1F_EUlS1E_E_NS1_11comp_targetILNS1_3genE0ELNS1_11target_archE4294967295ELNS1_3gpuE0ELNS1_3repE0EEENS1_30default_config_static_selectorELNS0_4arch9wavefront6targetE0EEEvT1_.uses_flat_scratch, 0
	.set _ZN7rocprim17ROCPRIM_400000_NS6detail17trampoline_kernelINS0_14default_configENS1_25partition_config_selectorILNS1_17partition_subalgoE6EN6thrust23THRUST_200600_302600_NS5tupleIddNS7_9null_typeES9_S9_S9_S9_S9_S9_S9_EENS0_10empty_typeEbEEZZNS1_14partition_implILS5_6ELb0ES3_mNS7_12zip_iteratorINS8_INS7_6detail15normal_iteratorINS7_10device_ptrIdEEEESJ_S9_S9_S9_S9_S9_S9_S9_S9_EEEEPSB_SM_NS0_5tupleIJNSE_INS8_ISJ_NS7_16discard_iteratorINS7_11use_defaultEEES9_S9_S9_S9_S9_S9_S9_S9_EEEESB_EEENSN_IJSM_SM_EEESB_PlJNSF_9not_fun_tINSF_14equal_to_valueISA_EEEEEEE10hipError_tPvRmT3_T4_T5_T6_T7_T9_mT8_P12ihipStream_tbDpT10_ENKUlT_T0_E_clISt17integral_constantIbLb1EES1J_EEDaS1E_S1F_EUlS1E_E_NS1_11comp_targetILNS1_3genE0ELNS1_11target_archE4294967295ELNS1_3gpuE0ELNS1_3repE0EEENS1_30default_config_static_selectorELNS0_4arch9wavefront6targetE0EEEvT1_.has_dyn_sized_stack, 0
	.set _ZN7rocprim17ROCPRIM_400000_NS6detail17trampoline_kernelINS0_14default_configENS1_25partition_config_selectorILNS1_17partition_subalgoE6EN6thrust23THRUST_200600_302600_NS5tupleIddNS7_9null_typeES9_S9_S9_S9_S9_S9_S9_EENS0_10empty_typeEbEEZZNS1_14partition_implILS5_6ELb0ES3_mNS7_12zip_iteratorINS8_INS7_6detail15normal_iteratorINS7_10device_ptrIdEEEESJ_S9_S9_S9_S9_S9_S9_S9_S9_EEEEPSB_SM_NS0_5tupleIJNSE_INS8_ISJ_NS7_16discard_iteratorINS7_11use_defaultEEES9_S9_S9_S9_S9_S9_S9_S9_EEEESB_EEENSN_IJSM_SM_EEESB_PlJNSF_9not_fun_tINSF_14equal_to_valueISA_EEEEEEE10hipError_tPvRmT3_T4_T5_T6_T7_T9_mT8_P12ihipStream_tbDpT10_ENKUlT_T0_E_clISt17integral_constantIbLb1EES1J_EEDaS1E_S1F_EUlS1E_E_NS1_11comp_targetILNS1_3genE0ELNS1_11target_archE4294967295ELNS1_3gpuE0ELNS1_3repE0EEENS1_30default_config_static_selectorELNS0_4arch9wavefront6targetE0EEEvT1_.has_recursion, 0
	.set _ZN7rocprim17ROCPRIM_400000_NS6detail17trampoline_kernelINS0_14default_configENS1_25partition_config_selectorILNS1_17partition_subalgoE6EN6thrust23THRUST_200600_302600_NS5tupleIddNS7_9null_typeES9_S9_S9_S9_S9_S9_S9_EENS0_10empty_typeEbEEZZNS1_14partition_implILS5_6ELb0ES3_mNS7_12zip_iteratorINS8_INS7_6detail15normal_iteratorINS7_10device_ptrIdEEEESJ_S9_S9_S9_S9_S9_S9_S9_S9_EEEEPSB_SM_NS0_5tupleIJNSE_INS8_ISJ_NS7_16discard_iteratorINS7_11use_defaultEEES9_S9_S9_S9_S9_S9_S9_S9_EEEESB_EEENSN_IJSM_SM_EEESB_PlJNSF_9not_fun_tINSF_14equal_to_valueISA_EEEEEEE10hipError_tPvRmT3_T4_T5_T6_T7_T9_mT8_P12ihipStream_tbDpT10_ENKUlT_T0_E_clISt17integral_constantIbLb1EES1J_EEDaS1E_S1F_EUlS1E_E_NS1_11comp_targetILNS1_3genE0ELNS1_11target_archE4294967295ELNS1_3gpuE0ELNS1_3repE0EEENS1_30default_config_static_selectorELNS0_4arch9wavefront6targetE0EEEvT1_.has_indirect_call, 0
	.section	.AMDGPU.csdata,"",@progbits
; Kernel info:
; codeLenInByte = 0
; TotalNumSgprs: 0
; NumVgprs: 0
; ScratchSize: 0
; MemoryBound: 0
; FloatMode: 240
; IeeeMode: 1
; LDSByteSize: 0 bytes/workgroup (compile time only)
; SGPRBlocks: 0
; VGPRBlocks: 0
; NumSGPRsForWavesPerEU: 1
; NumVGPRsForWavesPerEU: 1
; Occupancy: 16
; WaveLimiterHint : 0
; COMPUTE_PGM_RSRC2:SCRATCH_EN: 0
; COMPUTE_PGM_RSRC2:USER_SGPR: 2
; COMPUTE_PGM_RSRC2:TRAP_HANDLER: 0
; COMPUTE_PGM_RSRC2:TGID_X_EN: 1
; COMPUTE_PGM_RSRC2:TGID_Y_EN: 0
; COMPUTE_PGM_RSRC2:TGID_Z_EN: 0
; COMPUTE_PGM_RSRC2:TIDIG_COMP_CNT: 0
	.section	.text._ZN7rocprim17ROCPRIM_400000_NS6detail17trampoline_kernelINS0_14default_configENS1_25partition_config_selectorILNS1_17partition_subalgoE6EN6thrust23THRUST_200600_302600_NS5tupleIddNS7_9null_typeES9_S9_S9_S9_S9_S9_S9_EENS0_10empty_typeEbEEZZNS1_14partition_implILS5_6ELb0ES3_mNS7_12zip_iteratorINS8_INS7_6detail15normal_iteratorINS7_10device_ptrIdEEEESJ_S9_S9_S9_S9_S9_S9_S9_S9_EEEEPSB_SM_NS0_5tupleIJNSE_INS8_ISJ_NS7_16discard_iteratorINS7_11use_defaultEEES9_S9_S9_S9_S9_S9_S9_S9_EEEESB_EEENSN_IJSM_SM_EEESB_PlJNSF_9not_fun_tINSF_14equal_to_valueISA_EEEEEEE10hipError_tPvRmT3_T4_T5_T6_T7_T9_mT8_P12ihipStream_tbDpT10_ENKUlT_T0_E_clISt17integral_constantIbLb1EES1J_EEDaS1E_S1F_EUlS1E_E_NS1_11comp_targetILNS1_3genE5ELNS1_11target_archE942ELNS1_3gpuE9ELNS1_3repE0EEENS1_30default_config_static_selectorELNS0_4arch9wavefront6targetE0EEEvT1_,"axG",@progbits,_ZN7rocprim17ROCPRIM_400000_NS6detail17trampoline_kernelINS0_14default_configENS1_25partition_config_selectorILNS1_17partition_subalgoE6EN6thrust23THRUST_200600_302600_NS5tupleIddNS7_9null_typeES9_S9_S9_S9_S9_S9_S9_EENS0_10empty_typeEbEEZZNS1_14partition_implILS5_6ELb0ES3_mNS7_12zip_iteratorINS8_INS7_6detail15normal_iteratorINS7_10device_ptrIdEEEESJ_S9_S9_S9_S9_S9_S9_S9_S9_EEEEPSB_SM_NS0_5tupleIJNSE_INS8_ISJ_NS7_16discard_iteratorINS7_11use_defaultEEES9_S9_S9_S9_S9_S9_S9_S9_EEEESB_EEENSN_IJSM_SM_EEESB_PlJNSF_9not_fun_tINSF_14equal_to_valueISA_EEEEEEE10hipError_tPvRmT3_T4_T5_T6_T7_T9_mT8_P12ihipStream_tbDpT10_ENKUlT_T0_E_clISt17integral_constantIbLb1EES1J_EEDaS1E_S1F_EUlS1E_E_NS1_11comp_targetILNS1_3genE5ELNS1_11target_archE942ELNS1_3gpuE9ELNS1_3repE0EEENS1_30default_config_static_selectorELNS0_4arch9wavefront6targetE0EEEvT1_,comdat
	.protected	_ZN7rocprim17ROCPRIM_400000_NS6detail17trampoline_kernelINS0_14default_configENS1_25partition_config_selectorILNS1_17partition_subalgoE6EN6thrust23THRUST_200600_302600_NS5tupleIddNS7_9null_typeES9_S9_S9_S9_S9_S9_S9_EENS0_10empty_typeEbEEZZNS1_14partition_implILS5_6ELb0ES3_mNS7_12zip_iteratorINS8_INS7_6detail15normal_iteratorINS7_10device_ptrIdEEEESJ_S9_S9_S9_S9_S9_S9_S9_S9_EEEEPSB_SM_NS0_5tupleIJNSE_INS8_ISJ_NS7_16discard_iteratorINS7_11use_defaultEEES9_S9_S9_S9_S9_S9_S9_S9_EEEESB_EEENSN_IJSM_SM_EEESB_PlJNSF_9not_fun_tINSF_14equal_to_valueISA_EEEEEEE10hipError_tPvRmT3_T4_T5_T6_T7_T9_mT8_P12ihipStream_tbDpT10_ENKUlT_T0_E_clISt17integral_constantIbLb1EES1J_EEDaS1E_S1F_EUlS1E_E_NS1_11comp_targetILNS1_3genE5ELNS1_11target_archE942ELNS1_3gpuE9ELNS1_3repE0EEENS1_30default_config_static_selectorELNS0_4arch9wavefront6targetE0EEEvT1_ ; -- Begin function _ZN7rocprim17ROCPRIM_400000_NS6detail17trampoline_kernelINS0_14default_configENS1_25partition_config_selectorILNS1_17partition_subalgoE6EN6thrust23THRUST_200600_302600_NS5tupleIddNS7_9null_typeES9_S9_S9_S9_S9_S9_S9_EENS0_10empty_typeEbEEZZNS1_14partition_implILS5_6ELb0ES3_mNS7_12zip_iteratorINS8_INS7_6detail15normal_iteratorINS7_10device_ptrIdEEEESJ_S9_S9_S9_S9_S9_S9_S9_S9_EEEEPSB_SM_NS0_5tupleIJNSE_INS8_ISJ_NS7_16discard_iteratorINS7_11use_defaultEEES9_S9_S9_S9_S9_S9_S9_S9_EEEESB_EEENSN_IJSM_SM_EEESB_PlJNSF_9not_fun_tINSF_14equal_to_valueISA_EEEEEEE10hipError_tPvRmT3_T4_T5_T6_T7_T9_mT8_P12ihipStream_tbDpT10_ENKUlT_T0_E_clISt17integral_constantIbLb1EES1J_EEDaS1E_S1F_EUlS1E_E_NS1_11comp_targetILNS1_3genE5ELNS1_11target_archE942ELNS1_3gpuE9ELNS1_3repE0EEENS1_30default_config_static_selectorELNS0_4arch9wavefront6targetE0EEEvT1_
	.globl	_ZN7rocprim17ROCPRIM_400000_NS6detail17trampoline_kernelINS0_14default_configENS1_25partition_config_selectorILNS1_17partition_subalgoE6EN6thrust23THRUST_200600_302600_NS5tupleIddNS7_9null_typeES9_S9_S9_S9_S9_S9_S9_EENS0_10empty_typeEbEEZZNS1_14partition_implILS5_6ELb0ES3_mNS7_12zip_iteratorINS8_INS7_6detail15normal_iteratorINS7_10device_ptrIdEEEESJ_S9_S9_S9_S9_S9_S9_S9_S9_EEEEPSB_SM_NS0_5tupleIJNSE_INS8_ISJ_NS7_16discard_iteratorINS7_11use_defaultEEES9_S9_S9_S9_S9_S9_S9_S9_EEEESB_EEENSN_IJSM_SM_EEESB_PlJNSF_9not_fun_tINSF_14equal_to_valueISA_EEEEEEE10hipError_tPvRmT3_T4_T5_T6_T7_T9_mT8_P12ihipStream_tbDpT10_ENKUlT_T0_E_clISt17integral_constantIbLb1EES1J_EEDaS1E_S1F_EUlS1E_E_NS1_11comp_targetILNS1_3genE5ELNS1_11target_archE942ELNS1_3gpuE9ELNS1_3repE0EEENS1_30default_config_static_selectorELNS0_4arch9wavefront6targetE0EEEvT1_
	.p2align	8
	.type	_ZN7rocprim17ROCPRIM_400000_NS6detail17trampoline_kernelINS0_14default_configENS1_25partition_config_selectorILNS1_17partition_subalgoE6EN6thrust23THRUST_200600_302600_NS5tupleIddNS7_9null_typeES9_S9_S9_S9_S9_S9_S9_EENS0_10empty_typeEbEEZZNS1_14partition_implILS5_6ELb0ES3_mNS7_12zip_iteratorINS8_INS7_6detail15normal_iteratorINS7_10device_ptrIdEEEESJ_S9_S9_S9_S9_S9_S9_S9_S9_EEEEPSB_SM_NS0_5tupleIJNSE_INS8_ISJ_NS7_16discard_iteratorINS7_11use_defaultEEES9_S9_S9_S9_S9_S9_S9_S9_EEEESB_EEENSN_IJSM_SM_EEESB_PlJNSF_9not_fun_tINSF_14equal_to_valueISA_EEEEEEE10hipError_tPvRmT3_T4_T5_T6_T7_T9_mT8_P12ihipStream_tbDpT10_ENKUlT_T0_E_clISt17integral_constantIbLb1EES1J_EEDaS1E_S1F_EUlS1E_E_NS1_11comp_targetILNS1_3genE5ELNS1_11target_archE942ELNS1_3gpuE9ELNS1_3repE0EEENS1_30default_config_static_selectorELNS0_4arch9wavefront6targetE0EEEvT1_,@function
_ZN7rocprim17ROCPRIM_400000_NS6detail17trampoline_kernelINS0_14default_configENS1_25partition_config_selectorILNS1_17partition_subalgoE6EN6thrust23THRUST_200600_302600_NS5tupleIddNS7_9null_typeES9_S9_S9_S9_S9_S9_S9_EENS0_10empty_typeEbEEZZNS1_14partition_implILS5_6ELb0ES3_mNS7_12zip_iteratorINS8_INS7_6detail15normal_iteratorINS7_10device_ptrIdEEEESJ_S9_S9_S9_S9_S9_S9_S9_S9_EEEEPSB_SM_NS0_5tupleIJNSE_INS8_ISJ_NS7_16discard_iteratorINS7_11use_defaultEEES9_S9_S9_S9_S9_S9_S9_S9_EEEESB_EEENSN_IJSM_SM_EEESB_PlJNSF_9not_fun_tINSF_14equal_to_valueISA_EEEEEEE10hipError_tPvRmT3_T4_T5_T6_T7_T9_mT8_P12ihipStream_tbDpT10_ENKUlT_T0_E_clISt17integral_constantIbLb1EES1J_EEDaS1E_S1F_EUlS1E_E_NS1_11comp_targetILNS1_3genE5ELNS1_11target_archE942ELNS1_3gpuE9ELNS1_3repE0EEENS1_30default_config_static_selectorELNS0_4arch9wavefront6targetE0EEEvT1_: ; @_ZN7rocprim17ROCPRIM_400000_NS6detail17trampoline_kernelINS0_14default_configENS1_25partition_config_selectorILNS1_17partition_subalgoE6EN6thrust23THRUST_200600_302600_NS5tupleIddNS7_9null_typeES9_S9_S9_S9_S9_S9_S9_EENS0_10empty_typeEbEEZZNS1_14partition_implILS5_6ELb0ES3_mNS7_12zip_iteratorINS8_INS7_6detail15normal_iteratorINS7_10device_ptrIdEEEESJ_S9_S9_S9_S9_S9_S9_S9_S9_EEEEPSB_SM_NS0_5tupleIJNSE_INS8_ISJ_NS7_16discard_iteratorINS7_11use_defaultEEES9_S9_S9_S9_S9_S9_S9_S9_EEEESB_EEENSN_IJSM_SM_EEESB_PlJNSF_9not_fun_tINSF_14equal_to_valueISA_EEEEEEE10hipError_tPvRmT3_T4_T5_T6_T7_T9_mT8_P12ihipStream_tbDpT10_ENKUlT_T0_E_clISt17integral_constantIbLb1EES1J_EEDaS1E_S1F_EUlS1E_E_NS1_11comp_targetILNS1_3genE5ELNS1_11target_archE942ELNS1_3gpuE9ELNS1_3repE0EEENS1_30default_config_static_selectorELNS0_4arch9wavefront6targetE0EEEvT1_
; %bb.0:
	.section	.rodata,"a",@progbits
	.p2align	6, 0x0
	.amdhsa_kernel _ZN7rocprim17ROCPRIM_400000_NS6detail17trampoline_kernelINS0_14default_configENS1_25partition_config_selectorILNS1_17partition_subalgoE6EN6thrust23THRUST_200600_302600_NS5tupleIddNS7_9null_typeES9_S9_S9_S9_S9_S9_S9_EENS0_10empty_typeEbEEZZNS1_14partition_implILS5_6ELb0ES3_mNS7_12zip_iteratorINS8_INS7_6detail15normal_iteratorINS7_10device_ptrIdEEEESJ_S9_S9_S9_S9_S9_S9_S9_S9_EEEEPSB_SM_NS0_5tupleIJNSE_INS8_ISJ_NS7_16discard_iteratorINS7_11use_defaultEEES9_S9_S9_S9_S9_S9_S9_S9_EEEESB_EEENSN_IJSM_SM_EEESB_PlJNSF_9not_fun_tINSF_14equal_to_valueISA_EEEEEEE10hipError_tPvRmT3_T4_T5_T6_T7_T9_mT8_P12ihipStream_tbDpT10_ENKUlT_T0_E_clISt17integral_constantIbLb1EES1J_EEDaS1E_S1F_EUlS1E_E_NS1_11comp_targetILNS1_3genE5ELNS1_11target_archE942ELNS1_3gpuE9ELNS1_3repE0EEENS1_30default_config_static_selectorELNS0_4arch9wavefront6targetE0EEEvT1_
		.amdhsa_group_segment_fixed_size 0
		.amdhsa_private_segment_fixed_size 0
		.amdhsa_kernarg_size 160
		.amdhsa_user_sgpr_count 2
		.amdhsa_user_sgpr_dispatch_ptr 0
		.amdhsa_user_sgpr_queue_ptr 0
		.amdhsa_user_sgpr_kernarg_segment_ptr 1
		.amdhsa_user_sgpr_dispatch_id 0
		.amdhsa_user_sgpr_private_segment_size 0
		.amdhsa_wavefront_size32 1
		.amdhsa_uses_dynamic_stack 0
		.amdhsa_enable_private_segment 0
		.amdhsa_system_sgpr_workgroup_id_x 1
		.amdhsa_system_sgpr_workgroup_id_y 0
		.amdhsa_system_sgpr_workgroup_id_z 0
		.amdhsa_system_sgpr_workgroup_info 0
		.amdhsa_system_vgpr_workitem_id 0
		.amdhsa_next_free_vgpr 1
		.amdhsa_next_free_sgpr 1
		.amdhsa_reserve_vcc 0
		.amdhsa_float_round_mode_32 0
		.amdhsa_float_round_mode_16_64 0
		.amdhsa_float_denorm_mode_32 3
		.amdhsa_float_denorm_mode_16_64 3
		.amdhsa_fp16_overflow 0
		.amdhsa_workgroup_processor_mode 1
		.amdhsa_memory_ordered 1
		.amdhsa_forward_progress 1
		.amdhsa_inst_pref_size 0
		.amdhsa_round_robin_scheduling 0
		.amdhsa_exception_fp_ieee_invalid_op 0
		.amdhsa_exception_fp_denorm_src 0
		.amdhsa_exception_fp_ieee_div_zero 0
		.amdhsa_exception_fp_ieee_overflow 0
		.amdhsa_exception_fp_ieee_underflow 0
		.amdhsa_exception_fp_ieee_inexact 0
		.amdhsa_exception_int_div_zero 0
	.end_amdhsa_kernel
	.section	.text._ZN7rocprim17ROCPRIM_400000_NS6detail17trampoline_kernelINS0_14default_configENS1_25partition_config_selectorILNS1_17partition_subalgoE6EN6thrust23THRUST_200600_302600_NS5tupleIddNS7_9null_typeES9_S9_S9_S9_S9_S9_S9_EENS0_10empty_typeEbEEZZNS1_14partition_implILS5_6ELb0ES3_mNS7_12zip_iteratorINS8_INS7_6detail15normal_iteratorINS7_10device_ptrIdEEEESJ_S9_S9_S9_S9_S9_S9_S9_S9_EEEEPSB_SM_NS0_5tupleIJNSE_INS8_ISJ_NS7_16discard_iteratorINS7_11use_defaultEEES9_S9_S9_S9_S9_S9_S9_S9_EEEESB_EEENSN_IJSM_SM_EEESB_PlJNSF_9not_fun_tINSF_14equal_to_valueISA_EEEEEEE10hipError_tPvRmT3_T4_T5_T6_T7_T9_mT8_P12ihipStream_tbDpT10_ENKUlT_T0_E_clISt17integral_constantIbLb1EES1J_EEDaS1E_S1F_EUlS1E_E_NS1_11comp_targetILNS1_3genE5ELNS1_11target_archE942ELNS1_3gpuE9ELNS1_3repE0EEENS1_30default_config_static_selectorELNS0_4arch9wavefront6targetE0EEEvT1_,"axG",@progbits,_ZN7rocprim17ROCPRIM_400000_NS6detail17trampoline_kernelINS0_14default_configENS1_25partition_config_selectorILNS1_17partition_subalgoE6EN6thrust23THRUST_200600_302600_NS5tupleIddNS7_9null_typeES9_S9_S9_S9_S9_S9_S9_EENS0_10empty_typeEbEEZZNS1_14partition_implILS5_6ELb0ES3_mNS7_12zip_iteratorINS8_INS7_6detail15normal_iteratorINS7_10device_ptrIdEEEESJ_S9_S9_S9_S9_S9_S9_S9_S9_EEEEPSB_SM_NS0_5tupleIJNSE_INS8_ISJ_NS7_16discard_iteratorINS7_11use_defaultEEES9_S9_S9_S9_S9_S9_S9_S9_EEEESB_EEENSN_IJSM_SM_EEESB_PlJNSF_9not_fun_tINSF_14equal_to_valueISA_EEEEEEE10hipError_tPvRmT3_T4_T5_T6_T7_T9_mT8_P12ihipStream_tbDpT10_ENKUlT_T0_E_clISt17integral_constantIbLb1EES1J_EEDaS1E_S1F_EUlS1E_E_NS1_11comp_targetILNS1_3genE5ELNS1_11target_archE942ELNS1_3gpuE9ELNS1_3repE0EEENS1_30default_config_static_selectorELNS0_4arch9wavefront6targetE0EEEvT1_,comdat
.Lfunc_end1830:
	.size	_ZN7rocprim17ROCPRIM_400000_NS6detail17trampoline_kernelINS0_14default_configENS1_25partition_config_selectorILNS1_17partition_subalgoE6EN6thrust23THRUST_200600_302600_NS5tupleIddNS7_9null_typeES9_S9_S9_S9_S9_S9_S9_EENS0_10empty_typeEbEEZZNS1_14partition_implILS5_6ELb0ES3_mNS7_12zip_iteratorINS8_INS7_6detail15normal_iteratorINS7_10device_ptrIdEEEESJ_S9_S9_S9_S9_S9_S9_S9_S9_EEEEPSB_SM_NS0_5tupleIJNSE_INS8_ISJ_NS7_16discard_iteratorINS7_11use_defaultEEES9_S9_S9_S9_S9_S9_S9_S9_EEEESB_EEENSN_IJSM_SM_EEESB_PlJNSF_9not_fun_tINSF_14equal_to_valueISA_EEEEEEE10hipError_tPvRmT3_T4_T5_T6_T7_T9_mT8_P12ihipStream_tbDpT10_ENKUlT_T0_E_clISt17integral_constantIbLb1EES1J_EEDaS1E_S1F_EUlS1E_E_NS1_11comp_targetILNS1_3genE5ELNS1_11target_archE942ELNS1_3gpuE9ELNS1_3repE0EEENS1_30default_config_static_selectorELNS0_4arch9wavefront6targetE0EEEvT1_, .Lfunc_end1830-_ZN7rocprim17ROCPRIM_400000_NS6detail17trampoline_kernelINS0_14default_configENS1_25partition_config_selectorILNS1_17partition_subalgoE6EN6thrust23THRUST_200600_302600_NS5tupleIddNS7_9null_typeES9_S9_S9_S9_S9_S9_S9_EENS0_10empty_typeEbEEZZNS1_14partition_implILS5_6ELb0ES3_mNS7_12zip_iteratorINS8_INS7_6detail15normal_iteratorINS7_10device_ptrIdEEEESJ_S9_S9_S9_S9_S9_S9_S9_S9_EEEEPSB_SM_NS0_5tupleIJNSE_INS8_ISJ_NS7_16discard_iteratorINS7_11use_defaultEEES9_S9_S9_S9_S9_S9_S9_S9_EEEESB_EEENSN_IJSM_SM_EEESB_PlJNSF_9not_fun_tINSF_14equal_to_valueISA_EEEEEEE10hipError_tPvRmT3_T4_T5_T6_T7_T9_mT8_P12ihipStream_tbDpT10_ENKUlT_T0_E_clISt17integral_constantIbLb1EES1J_EEDaS1E_S1F_EUlS1E_E_NS1_11comp_targetILNS1_3genE5ELNS1_11target_archE942ELNS1_3gpuE9ELNS1_3repE0EEENS1_30default_config_static_selectorELNS0_4arch9wavefront6targetE0EEEvT1_
                                        ; -- End function
	.set _ZN7rocprim17ROCPRIM_400000_NS6detail17trampoline_kernelINS0_14default_configENS1_25partition_config_selectorILNS1_17partition_subalgoE6EN6thrust23THRUST_200600_302600_NS5tupleIddNS7_9null_typeES9_S9_S9_S9_S9_S9_S9_EENS0_10empty_typeEbEEZZNS1_14partition_implILS5_6ELb0ES3_mNS7_12zip_iteratorINS8_INS7_6detail15normal_iteratorINS7_10device_ptrIdEEEESJ_S9_S9_S9_S9_S9_S9_S9_S9_EEEEPSB_SM_NS0_5tupleIJNSE_INS8_ISJ_NS7_16discard_iteratorINS7_11use_defaultEEES9_S9_S9_S9_S9_S9_S9_S9_EEEESB_EEENSN_IJSM_SM_EEESB_PlJNSF_9not_fun_tINSF_14equal_to_valueISA_EEEEEEE10hipError_tPvRmT3_T4_T5_T6_T7_T9_mT8_P12ihipStream_tbDpT10_ENKUlT_T0_E_clISt17integral_constantIbLb1EES1J_EEDaS1E_S1F_EUlS1E_E_NS1_11comp_targetILNS1_3genE5ELNS1_11target_archE942ELNS1_3gpuE9ELNS1_3repE0EEENS1_30default_config_static_selectorELNS0_4arch9wavefront6targetE0EEEvT1_.num_vgpr, 0
	.set _ZN7rocprim17ROCPRIM_400000_NS6detail17trampoline_kernelINS0_14default_configENS1_25partition_config_selectorILNS1_17partition_subalgoE6EN6thrust23THRUST_200600_302600_NS5tupleIddNS7_9null_typeES9_S9_S9_S9_S9_S9_S9_EENS0_10empty_typeEbEEZZNS1_14partition_implILS5_6ELb0ES3_mNS7_12zip_iteratorINS8_INS7_6detail15normal_iteratorINS7_10device_ptrIdEEEESJ_S9_S9_S9_S9_S9_S9_S9_S9_EEEEPSB_SM_NS0_5tupleIJNSE_INS8_ISJ_NS7_16discard_iteratorINS7_11use_defaultEEES9_S9_S9_S9_S9_S9_S9_S9_EEEESB_EEENSN_IJSM_SM_EEESB_PlJNSF_9not_fun_tINSF_14equal_to_valueISA_EEEEEEE10hipError_tPvRmT3_T4_T5_T6_T7_T9_mT8_P12ihipStream_tbDpT10_ENKUlT_T0_E_clISt17integral_constantIbLb1EES1J_EEDaS1E_S1F_EUlS1E_E_NS1_11comp_targetILNS1_3genE5ELNS1_11target_archE942ELNS1_3gpuE9ELNS1_3repE0EEENS1_30default_config_static_selectorELNS0_4arch9wavefront6targetE0EEEvT1_.num_agpr, 0
	.set _ZN7rocprim17ROCPRIM_400000_NS6detail17trampoline_kernelINS0_14default_configENS1_25partition_config_selectorILNS1_17partition_subalgoE6EN6thrust23THRUST_200600_302600_NS5tupleIddNS7_9null_typeES9_S9_S9_S9_S9_S9_S9_EENS0_10empty_typeEbEEZZNS1_14partition_implILS5_6ELb0ES3_mNS7_12zip_iteratorINS8_INS7_6detail15normal_iteratorINS7_10device_ptrIdEEEESJ_S9_S9_S9_S9_S9_S9_S9_S9_EEEEPSB_SM_NS0_5tupleIJNSE_INS8_ISJ_NS7_16discard_iteratorINS7_11use_defaultEEES9_S9_S9_S9_S9_S9_S9_S9_EEEESB_EEENSN_IJSM_SM_EEESB_PlJNSF_9not_fun_tINSF_14equal_to_valueISA_EEEEEEE10hipError_tPvRmT3_T4_T5_T6_T7_T9_mT8_P12ihipStream_tbDpT10_ENKUlT_T0_E_clISt17integral_constantIbLb1EES1J_EEDaS1E_S1F_EUlS1E_E_NS1_11comp_targetILNS1_3genE5ELNS1_11target_archE942ELNS1_3gpuE9ELNS1_3repE0EEENS1_30default_config_static_selectorELNS0_4arch9wavefront6targetE0EEEvT1_.numbered_sgpr, 0
	.set _ZN7rocprim17ROCPRIM_400000_NS6detail17trampoline_kernelINS0_14default_configENS1_25partition_config_selectorILNS1_17partition_subalgoE6EN6thrust23THRUST_200600_302600_NS5tupleIddNS7_9null_typeES9_S9_S9_S9_S9_S9_S9_EENS0_10empty_typeEbEEZZNS1_14partition_implILS5_6ELb0ES3_mNS7_12zip_iteratorINS8_INS7_6detail15normal_iteratorINS7_10device_ptrIdEEEESJ_S9_S9_S9_S9_S9_S9_S9_S9_EEEEPSB_SM_NS0_5tupleIJNSE_INS8_ISJ_NS7_16discard_iteratorINS7_11use_defaultEEES9_S9_S9_S9_S9_S9_S9_S9_EEEESB_EEENSN_IJSM_SM_EEESB_PlJNSF_9not_fun_tINSF_14equal_to_valueISA_EEEEEEE10hipError_tPvRmT3_T4_T5_T6_T7_T9_mT8_P12ihipStream_tbDpT10_ENKUlT_T0_E_clISt17integral_constantIbLb1EES1J_EEDaS1E_S1F_EUlS1E_E_NS1_11comp_targetILNS1_3genE5ELNS1_11target_archE942ELNS1_3gpuE9ELNS1_3repE0EEENS1_30default_config_static_selectorELNS0_4arch9wavefront6targetE0EEEvT1_.num_named_barrier, 0
	.set _ZN7rocprim17ROCPRIM_400000_NS6detail17trampoline_kernelINS0_14default_configENS1_25partition_config_selectorILNS1_17partition_subalgoE6EN6thrust23THRUST_200600_302600_NS5tupleIddNS7_9null_typeES9_S9_S9_S9_S9_S9_S9_EENS0_10empty_typeEbEEZZNS1_14partition_implILS5_6ELb0ES3_mNS7_12zip_iteratorINS8_INS7_6detail15normal_iteratorINS7_10device_ptrIdEEEESJ_S9_S9_S9_S9_S9_S9_S9_S9_EEEEPSB_SM_NS0_5tupleIJNSE_INS8_ISJ_NS7_16discard_iteratorINS7_11use_defaultEEES9_S9_S9_S9_S9_S9_S9_S9_EEEESB_EEENSN_IJSM_SM_EEESB_PlJNSF_9not_fun_tINSF_14equal_to_valueISA_EEEEEEE10hipError_tPvRmT3_T4_T5_T6_T7_T9_mT8_P12ihipStream_tbDpT10_ENKUlT_T0_E_clISt17integral_constantIbLb1EES1J_EEDaS1E_S1F_EUlS1E_E_NS1_11comp_targetILNS1_3genE5ELNS1_11target_archE942ELNS1_3gpuE9ELNS1_3repE0EEENS1_30default_config_static_selectorELNS0_4arch9wavefront6targetE0EEEvT1_.private_seg_size, 0
	.set _ZN7rocprim17ROCPRIM_400000_NS6detail17trampoline_kernelINS0_14default_configENS1_25partition_config_selectorILNS1_17partition_subalgoE6EN6thrust23THRUST_200600_302600_NS5tupleIddNS7_9null_typeES9_S9_S9_S9_S9_S9_S9_EENS0_10empty_typeEbEEZZNS1_14partition_implILS5_6ELb0ES3_mNS7_12zip_iteratorINS8_INS7_6detail15normal_iteratorINS7_10device_ptrIdEEEESJ_S9_S9_S9_S9_S9_S9_S9_S9_EEEEPSB_SM_NS0_5tupleIJNSE_INS8_ISJ_NS7_16discard_iteratorINS7_11use_defaultEEES9_S9_S9_S9_S9_S9_S9_S9_EEEESB_EEENSN_IJSM_SM_EEESB_PlJNSF_9not_fun_tINSF_14equal_to_valueISA_EEEEEEE10hipError_tPvRmT3_T4_T5_T6_T7_T9_mT8_P12ihipStream_tbDpT10_ENKUlT_T0_E_clISt17integral_constantIbLb1EES1J_EEDaS1E_S1F_EUlS1E_E_NS1_11comp_targetILNS1_3genE5ELNS1_11target_archE942ELNS1_3gpuE9ELNS1_3repE0EEENS1_30default_config_static_selectorELNS0_4arch9wavefront6targetE0EEEvT1_.uses_vcc, 0
	.set _ZN7rocprim17ROCPRIM_400000_NS6detail17trampoline_kernelINS0_14default_configENS1_25partition_config_selectorILNS1_17partition_subalgoE6EN6thrust23THRUST_200600_302600_NS5tupleIddNS7_9null_typeES9_S9_S9_S9_S9_S9_S9_EENS0_10empty_typeEbEEZZNS1_14partition_implILS5_6ELb0ES3_mNS7_12zip_iteratorINS8_INS7_6detail15normal_iteratorINS7_10device_ptrIdEEEESJ_S9_S9_S9_S9_S9_S9_S9_S9_EEEEPSB_SM_NS0_5tupleIJNSE_INS8_ISJ_NS7_16discard_iteratorINS7_11use_defaultEEES9_S9_S9_S9_S9_S9_S9_S9_EEEESB_EEENSN_IJSM_SM_EEESB_PlJNSF_9not_fun_tINSF_14equal_to_valueISA_EEEEEEE10hipError_tPvRmT3_T4_T5_T6_T7_T9_mT8_P12ihipStream_tbDpT10_ENKUlT_T0_E_clISt17integral_constantIbLb1EES1J_EEDaS1E_S1F_EUlS1E_E_NS1_11comp_targetILNS1_3genE5ELNS1_11target_archE942ELNS1_3gpuE9ELNS1_3repE0EEENS1_30default_config_static_selectorELNS0_4arch9wavefront6targetE0EEEvT1_.uses_flat_scratch, 0
	.set _ZN7rocprim17ROCPRIM_400000_NS6detail17trampoline_kernelINS0_14default_configENS1_25partition_config_selectorILNS1_17partition_subalgoE6EN6thrust23THRUST_200600_302600_NS5tupleIddNS7_9null_typeES9_S9_S9_S9_S9_S9_S9_EENS0_10empty_typeEbEEZZNS1_14partition_implILS5_6ELb0ES3_mNS7_12zip_iteratorINS8_INS7_6detail15normal_iteratorINS7_10device_ptrIdEEEESJ_S9_S9_S9_S9_S9_S9_S9_S9_EEEEPSB_SM_NS0_5tupleIJNSE_INS8_ISJ_NS7_16discard_iteratorINS7_11use_defaultEEES9_S9_S9_S9_S9_S9_S9_S9_EEEESB_EEENSN_IJSM_SM_EEESB_PlJNSF_9not_fun_tINSF_14equal_to_valueISA_EEEEEEE10hipError_tPvRmT3_T4_T5_T6_T7_T9_mT8_P12ihipStream_tbDpT10_ENKUlT_T0_E_clISt17integral_constantIbLb1EES1J_EEDaS1E_S1F_EUlS1E_E_NS1_11comp_targetILNS1_3genE5ELNS1_11target_archE942ELNS1_3gpuE9ELNS1_3repE0EEENS1_30default_config_static_selectorELNS0_4arch9wavefront6targetE0EEEvT1_.has_dyn_sized_stack, 0
	.set _ZN7rocprim17ROCPRIM_400000_NS6detail17trampoline_kernelINS0_14default_configENS1_25partition_config_selectorILNS1_17partition_subalgoE6EN6thrust23THRUST_200600_302600_NS5tupleIddNS7_9null_typeES9_S9_S9_S9_S9_S9_S9_EENS0_10empty_typeEbEEZZNS1_14partition_implILS5_6ELb0ES3_mNS7_12zip_iteratorINS8_INS7_6detail15normal_iteratorINS7_10device_ptrIdEEEESJ_S9_S9_S9_S9_S9_S9_S9_S9_EEEEPSB_SM_NS0_5tupleIJNSE_INS8_ISJ_NS7_16discard_iteratorINS7_11use_defaultEEES9_S9_S9_S9_S9_S9_S9_S9_EEEESB_EEENSN_IJSM_SM_EEESB_PlJNSF_9not_fun_tINSF_14equal_to_valueISA_EEEEEEE10hipError_tPvRmT3_T4_T5_T6_T7_T9_mT8_P12ihipStream_tbDpT10_ENKUlT_T0_E_clISt17integral_constantIbLb1EES1J_EEDaS1E_S1F_EUlS1E_E_NS1_11comp_targetILNS1_3genE5ELNS1_11target_archE942ELNS1_3gpuE9ELNS1_3repE0EEENS1_30default_config_static_selectorELNS0_4arch9wavefront6targetE0EEEvT1_.has_recursion, 0
	.set _ZN7rocprim17ROCPRIM_400000_NS6detail17trampoline_kernelINS0_14default_configENS1_25partition_config_selectorILNS1_17partition_subalgoE6EN6thrust23THRUST_200600_302600_NS5tupleIddNS7_9null_typeES9_S9_S9_S9_S9_S9_S9_EENS0_10empty_typeEbEEZZNS1_14partition_implILS5_6ELb0ES3_mNS7_12zip_iteratorINS8_INS7_6detail15normal_iteratorINS7_10device_ptrIdEEEESJ_S9_S9_S9_S9_S9_S9_S9_S9_EEEEPSB_SM_NS0_5tupleIJNSE_INS8_ISJ_NS7_16discard_iteratorINS7_11use_defaultEEES9_S9_S9_S9_S9_S9_S9_S9_EEEESB_EEENSN_IJSM_SM_EEESB_PlJNSF_9not_fun_tINSF_14equal_to_valueISA_EEEEEEE10hipError_tPvRmT3_T4_T5_T6_T7_T9_mT8_P12ihipStream_tbDpT10_ENKUlT_T0_E_clISt17integral_constantIbLb1EES1J_EEDaS1E_S1F_EUlS1E_E_NS1_11comp_targetILNS1_3genE5ELNS1_11target_archE942ELNS1_3gpuE9ELNS1_3repE0EEENS1_30default_config_static_selectorELNS0_4arch9wavefront6targetE0EEEvT1_.has_indirect_call, 0
	.section	.AMDGPU.csdata,"",@progbits
; Kernel info:
; codeLenInByte = 0
; TotalNumSgprs: 0
; NumVgprs: 0
; ScratchSize: 0
; MemoryBound: 0
; FloatMode: 240
; IeeeMode: 1
; LDSByteSize: 0 bytes/workgroup (compile time only)
; SGPRBlocks: 0
; VGPRBlocks: 0
; NumSGPRsForWavesPerEU: 1
; NumVGPRsForWavesPerEU: 1
; Occupancy: 16
; WaveLimiterHint : 0
; COMPUTE_PGM_RSRC2:SCRATCH_EN: 0
; COMPUTE_PGM_RSRC2:USER_SGPR: 2
; COMPUTE_PGM_RSRC2:TRAP_HANDLER: 0
; COMPUTE_PGM_RSRC2:TGID_X_EN: 1
; COMPUTE_PGM_RSRC2:TGID_Y_EN: 0
; COMPUTE_PGM_RSRC2:TGID_Z_EN: 0
; COMPUTE_PGM_RSRC2:TIDIG_COMP_CNT: 0
	.section	.text._ZN7rocprim17ROCPRIM_400000_NS6detail17trampoline_kernelINS0_14default_configENS1_25partition_config_selectorILNS1_17partition_subalgoE6EN6thrust23THRUST_200600_302600_NS5tupleIddNS7_9null_typeES9_S9_S9_S9_S9_S9_S9_EENS0_10empty_typeEbEEZZNS1_14partition_implILS5_6ELb0ES3_mNS7_12zip_iteratorINS8_INS7_6detail15normal_iteratorINS7_10device_ptrIdEEEESJ_S9_S9_S9_S9_S9_S9_S9_S9_EEEEPSB_SM_NS0_5tupleIJNSE_INS8_ISJ_NS7_16discard_iteratorINS7_11use_defaultEEES9_S9_S9_S9_S9_S9_S9_S9_EEEESB_EEENSN_IJSM_SM_EEESB_PlJNSF_9not_fun_tINSF_14equal_to_valueISA_EEEEEEE10hipError_tPvRmT3_T4_T5_T6_T7_T9_mT8_P12ihipStream_tbDpT10_ENKUlT_T0_E_clISt17integral_constantIbLb1EES1J_EEDaS1E_S1F_EUlS1E_E_NS1_11comp_targetILNS1_3genE4ELNS1_11target_archE910ELNS1_3gpuE8ELNS1_3repE0EEENS1_30default_config_static_selectorELNS0_4arch9wavefront6targetE0EEEvT1_,"axG",@progbits,_ZN7rocprim17ROCPRIM_400000_NS6detail17trampoline_kernelINS0_14default_configENS1_25partition_config_selectorILNS1_17partition_subalgoE6EN6thrust23THRUST_200600_302600_NS5tupleIddNS7_9null_typeES9_S9_S9_S9_S9_S9_S9_EENS0_10empty_typeEbEEZZNS1_14partition_implILS5_6ELb0ES3_mNS7_12zip_iteratorINS8_INS7_6detail15normal_iteratorINS7_10device_ptrIdEEEESJ_S9_S9_S9_S9_S9_S9_S9_S9_EEEEPSB_SM_NS0_5tupleIJNSE_INS8_ISJ_NS7_16discard_iteratorINS7_11use_defaultEEES9_S9_S9_S9_S9_S9_S9_S9_EEEESB_EEENSN_IJSM_SM_EEESB_PlJNSF_9not_fun_tINSF_14equal_to_valueISA_EEEEEEE10hipError_tPvRmT3_T4_T5_T6_T7_T9_mT8_P12ihipStream_tbDpT10_ENKUlT_T0_E_clISt17integral_constantIbLb1EES1J_EEDaS1E_S1F_EUlS1E_E_NS1_11comp_targetILNS1_3genE4ELNS1_11target_archE910ELNS1_3gpuE8ELNS1_3repE0EEENS1_30default_config_static_selectorELNS0_4arch9wavefront6targetE0EEEvT1_,comdat
	.protected	_ZN7rocprim17ROCPRIM_400000_NS6detail17trampoline_kernelINS0_14default_configENS1_25partition_config_selectorILNS1_17partition_subalgoE6EN6thrust23THRUST_200600_302600_NS5tupleIddNS7_9null_typeES9_S9_S9_S9_S9_S9_S9_EENS0_10empty_typeEbEEZZNS1_14partition_implILS5_6ELb0ES3_mNS7_12zip_iteratorINS8_INS7_6detail15normal_iteratorINS7_10device_ptrIdEEEESJ_S9_S9_S9_S9_S9_S9_S9_S9_EEEEPSB_SM_NS0_5tupleIJNSE_INS8_ISJ_NS7_16discard_iteratorINS7_11use_defaultEEES9_S9_S9_S9_S9_S9_S9_S9_EEEESB_EEENSN_IJSM_SM_EEESB_PlJNSF_9not_fun_tINSF_14equal_to_valueISA_EEEEEEE10hipError_tPvRmT3_T4_T5_T6_T7_T9_mT8_P12ihipStream_tbDpT10_ENKUlT_T0_E_clISt17integral_constantIbLb1EES1J_EEDaS1E_S1F_EUlS1E_E_NS1_11comp_targetILNS1_3genE4ELNS1_11target_archE910ELNS1_3gpuE8ELNS1_3repE0EEENS1_30default_config_static_selectorELNS0_4arch9wavefront6targetE0EEEvT1_ ; -- Begin function _ZN7rocprim17ROCPRIM_400000_NS6detail17trampoline_kernelINS0_14default_configENS1_25partition_config_selectorILNS1_17partition_subalgoE6EN6thrust23THRUST_200600_302600_NS5tupleIddNS7_9null_typeES9_S9_S9_S9_S9_S9_S9_EENS0_10empty_typeEbEEZZNS1_14partition_implILS5_6ELb0ES3_mNS7_12zip_iteratorINS8_INS7_6detail15normal_iteratorINS7_10device_ptrIdEEEESJ_S9_S9_S9_S9_S9_S9_S9_S9_EEEEPSB_SM_NS0_5tupleIJNSE_INS8_ISJ_NS7_16discard_iteratorINS7_11use_defaultEEES9_S9_S9_S9_S9_S9_S9_S9_EEEESB_EEENSN_IJSM_SM_EEESB_PlJNSF_9not_fun_tINSF_14equal_to_valueISA_EEEEEEE10hipError_tPvRmT3_T4_T5_T6_T7_T9_mT8_P12ihipStream_tbDpT10_ENKUlT_T0_E_clISt17integral_constantIbLb1EES1J_EEDaS1E_S1F_EUlS1E_E_NS1_11comp_targetILNS1_3genE4ELNS1_11target_archE910ELNS1_3gpuE8ELNS1_3repE0EEENS1_30default_config_static_selectorELNS0_4arch9wavefront6targetE0EEEvT1_
	.globl	_ZN7rocprim17ROCPRIM_400000_NS6detail17trampoline_kernelINS0_14default_configENS1_25partition_config_selectorILNS1_17partition_subalgoE6EN6thrust23THRUST_200600_302600_NS5tupleIddNS7_9null_typeES9_S9_S9_S9_S9_S9_S9_EENS0_10empty_typeEbEEZZNS1_14partition_implILS5_6ELb0ES3_mNS7_12zip_iteratorINS8_INS7_6detail15normal_iteratorINS7_10device_ptrIdEEEESJ_S9_S9_S9_S9_S9_S9_S9_S9_EEEEPSB_SM_NS0_5tupleIJNSE_INS8_ISJ_NS7_16discard_iteratorINS7_11use_defaultEEES9_S9_S9_S9_S9_S9_S9_S9_EEEESB_EEENSN_IJSM_SM_EEESB_PlJNSF_9not_fun_tINSF_14equal_to_valueISA_EEEEEEE10hipError_tPvRmT3_T4_T5_T6_T7_T9_mT8_P12ihipStream_tbDpT10_ENKUlT_T0_E_clISt17integral_constantIbLb1EES1J_EEDaS1E_S1F_EUlS1E_E_NS1_11comp_targetILNS1_3genE4ELNS1_11target_archE910ELNS1_3gpuE8ELNS1_3repE0EEENS1_30default_config_static_selectorELNS0_4arch9wavefront6targetE0EEEvT1_
	.p2align	8
	.type	_ZN7rocprim17ROCPRIM_400000_NS6detail17trampoline_kernelINS0_14default_configENS1_25partition_config_selectorILNS1_17partition_subalgoE6EN6thrust23THRUST_200600_302600_NS5tupleIddNS7_9null_typeES9_S9_S9_S9_S9_S9_S9_EENS0_10empty_typeEbEEZZNS1_14partition_implILS5_6ELb0ES3_mNS7_12zip_iteratorINS8_INS7_6detail15normal_iteratorINS7_10device_ptrIdEEEESJ_S9_S9_S9_S9_S9_S9_S9_S9_EEEEPSB_SM_NS0_5tupleIJNSE_INS8_ISJ_NS7_16discard_iteratorINS7_11use_defaultEEES9_S9_S9_S9_S9_S9_S9_S9_EEEESB_EEENSN_IJSM_SM_EEESB_PlJNSF_9not_fun_tINSF_14equal_to_valueISA_EEEEEEE10hipError_tPvRmT3_T4_T5_T6_T7_T9_mT8_P12ihipStream_tbDpT10_ENKUlT_T0_E_clISt17integral_constantIbLb1EES1J_EEDaS1E_S1F_EUlS1E_E_NS1_11comp_targetILNS1_3genE4ELNS1_11target_archE910ELNS1_3gpuE8ELNS1_3repE0EEENS1_30default_config_static_selectorELNS0_4arch9wavefront6targetE0EEEvT1_,@function
_ZN7rocprim17ROCPRIM_400000_NS6detail17trampoline_kernelINS0_14default_configENS1_25partition_config_selectorILNS1_17partition_subalgoE6EN6thrust23THRUST_200600_302600_NS5tupleIddNS7_9null_typeES9_S9_S9_S9_S9_S9_S9_EENS0_10empty_typeEbEEZZNS1_14partition_implILS5_6ELb0ES3_mNS7_12zip_iteratorINS8_INS7_6detail15normal_iteratorINS7_10device_ptrIdEEEESJ_S9_S9_S9_S9_S9_S9_S9_S9_EEEEPSB_SM_NS0_5tupleIJNSE_INS8_ISJ_NS7_16discard_iteratorINS7_11use_defaultEEES9_S9_S9_S9_S9_S9_S9_S9_EEEESB_EEENSN_IJSM_SM_EEESB_PlJNSF_9not_fun_tINSF_14equal_to_valueISA_EEEEEEE10hipError_tPvRmT3_T4_T5_T6_T7_T9_mT8_P12ihipStream_tbDpT10_ENKUlT_T0_E_clISt17integral_constantIbLb1EES1J_EEDaS1E_S1F_EUlS1E_E_NS1_11comp_targetILNS1_3genE4ELNS1_11target_archE910ELNS1_3gpuE8ELNS1_3repE0EEENS1_30default_config_static_selectorELNS0_4arch9wavefront6targetE0EEEvT1_: ; @_ZN7rocprim17ROCPRIM_400000_NS6detail17trampoline_kernelINS0_14default_configENS1_25partition_config_selectorILNS1_17partition_subalgoE6EN6thrust23THRUST_200600_302600_NS5tupleIddNS7_9null_typeES9_S9_S9_S9_S9_S9_S9_EENS0_10empty_typeEbEEZZNS1_14partition_implILS5_6ELb0ES3_mNS7_12zip_iteratorINS8_INS7_6detail15normal_iteratorINS7_10device_ptrIdEEEESJ_S9_S9_S9_S9_S9_S9_S9_S9_EEEEPSB_SM_NS0_5tupleIJNSE_INS8_ISJ_NS7_16discard_iteratorINS7_11use_defaultEEES9_S9_S9_S9_S9_S9_S9_S9_EEEESB_EEENSN_IJSM_SM_EEESB_PlJNSF_9not_fun_tINSF_14equal_to_valueISA_EEEEEEE10hipError_tPvRmT3_T4_T5_T6_T7_T9_mT8_P12ihipStream_tbDpT10_ENKUlT_T0_E_clISt17integral_constantIbLb1EES1J_EEDaS1E_S1F_EUlS1E_E_NS1_11comp_targetILNS1_3genE4ELNS1_11target_archE910ELNS1_3gpuE8ELNS1_3repE0EEENS1_30default_config_static_selectorELNS0_4arch9wavefront6targetE0EEEvT1_
; %bb.0:
	.section	.rodata,"a",@progbits
	.p2align	6, 0x0
	.amdhsa_kernel _ZN7rocprim17ROCPRIM_400000_NS6detail17trampoline_kernelINS0_14default_configENS1_25partition_config_selectorILNS1_17partition_subalgoE6EN6thrust23THRUST_200600_302600_NS5tupleIddNS7_9null_typeES9_S9_S9_S9_S9_S9_S9_EENS0_10empty_typeEbEEZZNS1_14partition_implILS5_6ELb0ES3_mNS7_12zip_iteratorINS8_INS7_6detail15normal_iteratorINS7_10device_ptrIdEEEESJ_S9_S9_S9_S9_S9_S9_S9_S9_EEEEPSB_SM_NS0_5tupleIJNSE_INS8_ISJ_NS7_16discard_iteratorINS7_11use_defaultEEES9_S9_S9_S9_S9_S9_S9_S9_EEEESB_EEENSN_IJSM_SM_EEESB_PlJNSF_9not_fun_tINSF_14equal_to_valueISA_EEEEEEE10hipError_tPvRmT3_T4_T5_T6_T7_T9_mT8_P12ihipStream_tbDpT10_ENKUlT_T0_E_clISt17integral_constantIbLb1EES1J_EEDaS1E_S1F_EUlS1E_E_NS1_11comp_targetILNS1_3genE4ELNS1_11target_archE910ELNS1_3gpuE8ELNS1_3repE0EEENS1_30default_config_static_selectorELNS0_4arch9wavefront6targetE0EEEvT1_
		.amdhsa_group_segment_fixed_size 0
		.amdhsa_private_segment_fixed_size 0
		.amdhsa_kernarg_size 160
		.amdhsa_user_sgpr_count 2
		.amdhsa_user_sgpr_dispatch_ptr 0
		.amdhsa_user_sgpr_queue_ptr 0
		.amdhsa_user_sgpr_kernarg_segment_ptr 1
		.amdhsa_user_sgpr_dispatch_id 0
		.amdhsa_user_sgpr_private_segment_size 0
		.amdhsa_wavefront_size32 1
		.amdhsa_uses_dynamic_stack 0
		.amdhsa_enable_private_segment 0
		.amdhsa_system_sgpr_workgroup_id_x 1
		.amdhsa_system_sgpr_workgroup_id_y 0
		.amdhsa_system_sgpr_workgroup_id_z 0
		.amdhsa_system_sgpr_workgroup_info 0
		.amdhsa_system_vgpr_workitem_id 0
		.amdhsa_next_free_vgpr 1
		.amdhsa_next_free_sgpr 1
		.amdhsa_reserve_vcc 0
		.amdhsa_float_round_mode_32 0
		.amdhsa_float_round_mode_16_64 0
		.amdhsa_float_denorm_mode_32 3
		.amdhsa_float_denorm_mode_16_64 3
		.amdhsa_fp16_overflow 0
		.amdhsa_workgroup_processor_mode 1
		.amdhsa_memory_ordered 1
		.amdhsa_forward_progress 1
		.amdhsa_inst_pref_size 0
		.amdhsa_round_robin_scheduling 0
		.amdhsa_exception_fp_ieee_invalid_op 0
		.amdhsa_exception_fp_denorm_src 0
		.amdhsa_exception_fp_ieee_div_zero 0
		.amdhsa_exception_fp_ieee_overflow 0
		.amdhsa_exception_fp_ieee_underflow 0
		.amdhsa_exception_fp_ieee_inexact 0
		.amdhsa_exception_int_div_zero 0
	.end_amdhsa_kernel
	.section	.text._ZN7rocprim17ROCPRIM_400000_NS6detail17trampoline_kernelINS0_14default_configENS1_25partition_config_selectorILNS1_17partition_subalgoE6EN6thrust23THRUST_200600_302600_NS5tupleIddNS7_9null_typeES9_S9_S9_S9_S9_S9_S9_EENS0_10empty_typeEbEEZZNS1_14partition_implILS5_6ELb0ES3_mNS7_12zip_iteratorINS8_INS7_6detail15normal_iteratorINS7_10device_ptrIdEEEESJ_S9_S9_S9_S9_S9_S9_S9_S9_EEEEPSB_SM_NS0_5tupleIJNSE_INS8_ISJ_NS7_16discard_iteratorINS7_11use_defaultEEES9_S9_S9_S9_S9_S9_S9_S9_EEEESB_EEENSN_IJSM_SM_EEESB_PlJNSF_9not_fun_tINSF_14equal_to_valueISA_EEEEEEE10hipError_tPvRmT3_T4_T5_T6_T7_T9_mT8_P12ihipStream_tbDpT10_ENKUlT_T0_E_clISt17integral_constantIbLb1EES1J_EEDaS1E_S1F_EUlS1E_E_NS1_11comp_targetILNS1_3genE4ELNS1_11target_archE910ELNS1_3gpuE8ELNS1_3repE0EEENS1_30default_config_static_selectorELNS0_4arch9wavefront6targetE0EEEvT1_,"axG",@progbits,_ZN7rocprim17ROCPRIM_400000_NS6detail17trampoline_kernelINS0_14default_configENS1_25partition_config_selectorILNS1_17partition_subalgoE6EN6thrust23THRUST_200600_302600_NS5tupleIddNS7_9null_typeES9_S9_S9_S9_S9_S9_S9_EENS0_10empty_typeEbEEZZNS1_14partition_implILS5_6ELb0ES3_mNS7_12zip_iteratorINS8_INS7_6detail15normal_iteratorINS7_10device_ptrIdEEEESJ_S9_S9_S9_S9_S9_S9_S9_S9_EEEEPSB_SM_NS0_5tupleIJNSE_INS8_ISJ_NS7_16discard_iteratorINS7_11use_defaultEEES9_S9_S9_S9_S9_S9_S9_S9_EEEESB_EEENSN_IJSM_SM_EEESB_PlJNSF_9not_fun_tINSF_14equal_to_valueISA_EEEEEEE10hipError_tPvRmT3_T4_T5_T6_T7_T9_mT8_P12ihipStream_tbDpT10_ENKUlT_T0_E_clISt17integral_constantIbLb1EES1J_EEDaS1E_S1F_EUlS1E_E_NS1_11comp_targetILNS1_3genE4ELNS1_11target_archE910ELNS1_3gpuE8ELNS1_3repE0EEENS1_30default_config_static_selectorELNS0_4arch9wavefront6targetE0EEEvT1_,comdat
.Lfunc_end1831:
	.size	_ZN7rocprim17ROCPRIM_400000_NS6detail17trampoline_kernelINS0_14default_configENS1_25partition_config_selectorILNS1_17partition_subalgoE6EN6thrust23THRUST_200600_302600_NS5tupleIddNS7_9null_typeES9_S9_S9_S9_S9_S9_S9_EENS0_10empty_typeEbEEZZNS1_14partition_implILS5_6ELb0ES3_mNS7_12zip_iteratorINS8_INS7_6detail15normal_iteratorINS7_10device_ptrIdEEEESJ_S9_S9_S9_S9_S9_S9_S9_S9_EEEEPSB_SM_NS0_5tupleIJNSE_INS8_ISJ_NS7_16discard_iteratorINS7_11use_defaultEEES9_S9_S9_S9_S9_S9_S9_S9_EEEESB_EEENSN_IJSM_SM_EEESB_PlJNSF_9not_fun_tINSF_14equal_to_valueISA_EEEEEEE10hipError_tPvRmT3_T4_T5_T6_T7_T9_mT8_P12ihipStream_tbDpT10_ENKUlT_T0_E_clISt17integral_constantIbLb1EES1J_EEDaS1E_S1F_EUlS1E_E_NS1_11comp_targetILNS1_3genE4ELNS1_11target_archE910ELNS1_3gpuE8ELNS1_3repE0EEENS1_30default_config_static_selectorELNS0_4arch9wavefront6targetE0EEEvT1_, .Lfunc_end1831-_ZN7rocprim17ROCPRIM_400000_NS6detail17trampoline_kernelINS0_14default_configENS1_25partition_config_selectorILNS1_17partition_subalgoE6EN6thrust23THRUST_200600_302600_NS5tupleIddNS7_9null_typeES9_S9_S9_S9_S9_S9_S9_EENS0_10empty_typeEbEEZZNS1_14partition_implILS5_6ELb0ES3_mNS7_12zip_iteratorINS8_INS7_6detail15normal_iteratorINS7_10device_ptrIdEEEESJ_S9_S9_S9_S9_S9_S9_S9_S9_EEEEPSB_SM_NS0_5tupleIJNSE_INS8_ISJ_NS7_16discard_iteratorINS7_11use_defaultEEES9_S9_S9_S9_S9_S9_S9_S9_EEEESB_EEENSN_IJSM_SM_EEESB_PlJNSF_9not_fun_tINSF_14equal_to_valueISA_EEEEEEE10hipError_tPvRmT3_T4_T5_T6_T7_T9_mT8_P12ihipStream_tbDpT10_ENKUlT_T0_E_clISt17integral_constantIbLb1EES1J_EEDaS1E_S1F_EUlS1E_E_NS1_11comp_targetILNS1_3genE4ELNS1_11target_archE910ELNS1_3gpuE8ELNS1_3repE0EEENS1_30default_config_static_selectorELNS0_4arch9wavefront6targetE0EEEvT1_
                                        ; -- End function
	.set _ZN7rocprim17ROCPRIM_400000_NS6detail17trampoline_kernelINS0_14default_configENS1_25partition_config_selectorILNS1_17partition_subalgoE6EN6thrust23THRUST_200600_302600_NS5tupleIddNS7_9null_typeES9_S9_S9_S9_S9_S9_S9_EENS0_10empty_typeEbEEZZNS1_14partition_implILS5_6ELb0ES3_mNS7_12zip_iteratorINS8_INS7_6detail15normal_iteratorINS7_10device_ptrIdEEEESJ_S9_S9_S9_S9_S9_S9_S9_S9_EEEEPSB_SM_NS0_5tupleIJNSE_INS8_ISJ_NS7_16discard_iteratorINS7_11use_defaultEEES9_S9_S9_S9_S9_S9_S9_S9_EEEESB_EEENSN_IJSM_SM_EEESB_PlJNSF_9not_fun_tINSF_14equal_to_valueISA_EEEEEEE10hipError_tPvRmT3_T4_T5_T6_T7_T9_mT8_P12ihipStream_tbDpT10_ENKUlT_T0_E_clISt17integral_constantIbLb1EES1J_EEDaS1E_S1F_EUlS1E_E_NS1_11comp_targetILNS1_3genE4ELNS1_11target_archE910ELNS1_3gpuE8ELNS1_3repE0EEENS1_30default_config_static_selectorELNS0_4arch9wavefront6targetE0EEEvT1_.num_vgpr, 0
	.set _ZN7rocprim17ROCPRIM_400000_NS6detail17trampoline_kernelINS0_14default_configENS1_25partition_config_selectorILNS1_17partition_subalgoE6EN6thrust23THRUST_200600_302600_NS5tupleIddNS7_9null_typeES9_S9_S9_S9_S9_S9_S9_EENS0_10empty_typeEbEEZZNS1_14partition_implILS5_6ELb0ES3_mNS7_12zip_iteratorINS8_INS7_6detail15normal_iteratorINS7_10device_ptrIdEEEESJ_S9_S9_S9_S9_S9_S9_S9_S9_EEEEPSB_SM_NS0_5tupleIJNSE_INS8_ISJ_NS7_16discard_iteratorINS7_11use_defaultEEES9_S9_S9_S9_S9_S9_S9_S9_EEEESB_EEENSN_IJSM_SM_EEESB_PlJNSF_9not_fun_tINSF_14equal_to_valueISA_EEEEEEE10hipError_tPvRmT3_T4_T5_T6_T7_T9_mT8_P12ihipStream_tbDpT10_ENKUlT_T0_E_clISt17integral_constantIbLb1EES1J_EEDaS1E_S1F_EUlS1E_E_NS1_11comp_targetILNS1_3genE4ELNS1_11target_archE910ELNS1_3gpuE8ELNS1_3repE0EEENS1_30default_config_static_selectorELNS0_4arch9wavefront6targetE0EEEvT1_.num_agpr, 0
	.set _ZN7rocprim17ROCPRIM_400000_NS6detail17trampoline_kernelINS0_14default_configENS1_25partition_config_selectorILNS1_17partition_subalgoE6EN6thrust23THRUST_200600_302600_NS5tupleIddNS7_9null_typeES9_S9_S9_S9_S9_S9_S9_EENS0_10empty_typeEbEEZZNS1_14partition_implILS5_6ELb0ES3_mNS7_12zip_iteratorINS8_INS7_6detail15normal_iteratorINS7_10device_ptrIdEEEESJ_S9_S9_S9_S9_S9_S9_S9_S9_EEEEPSB_SM_NS0_5tupleIJNSE_INS8_ISJ_NS7_16discard_iteratorINS7_11use_defaultEEES9_S9_S9_S9_S9_S9_S9_S9_EEEESB_EEENSN_IJSM_SM_EEESB_PlJNSF_9not_fun_tINSF_14equal_to_valueISA_EEEEEEE10hipError_tPvRmT3_T4_T5_T6_T7_T9_mT8_P12ihipStream_tbDpT10_ENKUlT_T0_E_clISt17integral_constantIbLb1EES1J_EEDaS1E_S1F_EUlS1E_E_NS1_11comp_targetILNS1_3genE4ELNS1_11target_archE910ELNS1_3gpuE8ELNS1_3repE0EEENS1_30default_config_static_selectorELNS0_4arch9wavefront6targetE0EEEvT1_.numbered_sgpr, 0
	.set _ZN7rocprim17ROCPRIM_400000_NS6detail17trampoline_kernelINS0_14default_configENS1_25partition_config_selectorILNS1_17partition_subalgoE6EN6thrust23THRUST_200600_302600_NS5tupleIddNS7_9null_typeES9_S9_S9_S9_S9_S9_S9_EENS0_10empty_typeEbEEZZNS1_14partition_implILS5_6ELb0ES3_mNS7_12zip_iteratorINS8_INS7_6detail15normal_iteratorINS7_10device_ptrIdEEEESJ_S9_S9_S9_S9_S9_S9_S9_S9_EEEEPSB_SM_NS0_5tupleIJNSE_INS8_ISJ_NS7_16discard_iteratorINS7_11use_defaultEEES9_S9_S9_S9_S9_S9_S9_S9_EEEESB_EEENSN_IJSM_SM_EEESB_PlJNSF_9not_fun_tINSF_14equal_to_valueISA_EEEEEEE10hipError_tPvRmT3_T4_T5_T6_T7_T9_mT8_P12ihipStream_tbDpT10_ENKUlT_T0_E_clISt17integral_constantIbLb1EES1J_EEDaS1E_S1F_EUlS1E_E_NS1_11comp_targetILNS1_3genE4ELNS1_11target_archE910ELNS1_3gpuE8ELNS1_3repE0EEENS1_30default_config_static_selectorELNS0_4arch9wavefront6targetE0EEEvT1_.num_named_barrier, 0
	.set _ZN7rocprim17ROCPRIM_400000_NS6detail17trampoline_kernelINS0_14default_configENS1_25partition_config_selectorILNS1_17partition_subalgoE6EN6thrust23THRUST_200600_302600_NS5tupleIddNS7_9null_typeES9_S9_S9_S9_S9_S9_S9_EENS0_10empty_typeEbEEZZNS1_14partition_implILS5_6ELb0ES3_mNS7_12zip_iteratorINS8_INS7_6detail15normal_iteratorINS7_10device_ptrIdEEEESJ_S9_S9_S9_S9_S9_S9_S9_S9_EEEEPSB_SM_NS0_5tupleIJNSE_INS8_ISJ_NS7_16discard_iteratorINS7_11use_defaultEEES9_S9_S9_S9_S9_S9_S9_S9_EEEESB_EEENSN_IJSM_SM_EEESB_PlJNSF_9not_fun_tINSF_14equal_to_valueISA_EEEEEEE10hipError_tPvRmT3_T4_T5_T6_T7_T9_mT8_P12ihipStream_tbDpT10_ENKUlT_T0_E_clISt17integral_constantIbLb1EES1J_EEDaS1E_S1F_EUlS1E_E_NS1_11comp_targetILNS1_3genE4ELNS1_11target_archE910ELNS1_3gpuE8ELNS1_3repE0EEENS1_30default_config_static_selectorELNS0_4arch9wavefront6targetE0EEEvT1_.private_seg_size, 0
	.set _ZN7rocprim17ROCPRIM_400000_NS6detail17trampoline_kernelINS0_14default_configENS1_25partition_config_selectorILNS1_17partition_subalgoE6EN6thrust23THRUST_200600_302600_NS5tupleIddNS7_9null_typeES9_S9_S9_S9_S9_S9_S9_EENS0_10empty_typeEbEEZZNS1_14partition_implILS5_6ELb0ES3_mNS7_12zip_iteratorINS8_INS7_6detail15normal_iteratorINS7_10device_ptrIdEEEESJ_S9_S9_S9_S9_S9_S9_S9_S9_EEEEPSB_SM_NS0_5tupleIJNSE_INS8_ISJ_NS7_16discard_iteratorINS7_11use_defaultEEES9_S9_S9_S9_S9_S9_S9_S9_EEEESB_EEENSN_IJSM_SM_EEESB_PlJNSF_9not_fun_tINSF_14equal_to_valueISA_EEEEEEE10hipError_tPvRmT3_T4_T5_T6_T7_T9_mT8_P12ihipStream_tbDpT10_ENKUlT_T0_E_clISt17integral_constantIbLb1EES1J_EEDaS1E_S1F_EUlS1E_E_NS1_11comp_targetILNS1_3genE4ELNS1_11target_archE910ELNS1_3gpuE8ELNS1_3repE0EEENS1_30default_config_static_selectorELNS0_4arch9wavefront6targetE0EEEvT1_.uses_vcc, 0
	.set _ZN7rocprim17ROCPRIM_400000_NS6detail17trampoline_kernelINS0_14default_configENS1_25partition_config_selectorILNS1_17partition_subalgoE6EN6thrust23THRUST_200600_302600_NS5tupleIddNS7_9null_typeES9_S9_S9_S9_S9_S9_S9_EENS0_10empty_typeEbEEZZNS1_14partition_implILS5_6ELb0ES3_mNS7_12zip_iteratorINS8_INS7_6detail15normal_iteratorINS7_10device_ptrIdEEEESJ_S9_S9_S9_S9_S9_S9_S9_S9_EEEEPSB_SM_NS0_5tupleIJNSE_INS8_ISJ_NS7_16discard_iteratorINS7_11use_defaultEEES9_S9_S9_S9_S9_S9_S9_S9_EEEESB_EEENSN_IJSM_SM_EEESB_PlJNSF_9not_fun_tINSF_14equal_to_valueISA_EEEEEEE10hipError_tPvRmT3_T4_T5_T6_T7_T9_mT8_P12ihipStream_tbDpT10_ENKUlT_T0_E_clISt17integral_constantIbLb1EES1J_EEDaS1E_S1F_EUlS1E_E_NS1_11comp_targetILNS1_3genE4ELNS1_11target_archE910ELNS1_3gpuE8ELNS1_3repE0EEENS1_30default_config_static_selectorELNS0_4arch9wavefront6targetE0EEEvT1_.uses_flat_scratch, 0
	.set _ZN7rocprim17ROCPRIM_400000_NS6detail17trampoline_kernelINS0_14default_configENS1_25partition_config_selectorILNS1_17partition_subalgoE6EN6thrust23THRUST_200600_302600_NS5tupleIddNS7_9null_typeES9_S9_S9_S9_S9_S9_S9_EENS0_10empty_typeEbEEZZNS1_14partition_implILS5_6ELb0ES3_mNS7_12zip_iteratorINS8_INS7_6detail15normal_iteratorINS7_10device_ptrIdEEEESJ_S9_S9_S9_S9_S9_S9_S9_S9_EEEEPSB_SM_NS0_5tupleIJNSE_INS8_ISJ_NS7_16discard_iteratorINS7_11use_defaultEEES9_S9_S9_S9_S9_S9_S9_S9_EEEESB_EEENSN_IJSM_SM_EEESB_PlJNSF_9not_fun_tINSF_14equal_to_valueISA_EEEEEEE10hipError_tPvRmT3_T4_T5_T6_T7_T9_mT8_P12ihipStream_tbDpT10_ENKUlT_T0_E_clISt17integral_constantIbLb1EES1J_EEDaS1E_S1F_EUlS1E_E_NS1_11comp_targetILNS1_3genE4ELNS1_11target_archE910ELNS1_3gpuE8ELNS1_3repE0EEENS1_30default_config_static_selectorELNS0_4arch9wavefront6targetE0EEEvT1_.has_dyn_sized_stack, 0
	.set _ZN7rocprim17ROCPRIM_400000_NS6detail17trampoline_kernelINS0_14default_configENS1_25partition_config_selectorILNS1_17partition_subalgoE6EN6thrust23THRUST_200600_302600_NS5tupleIddNS7_9null_typeES9_S9_S9_S9_S9_S9_S9_EENS0_10empty_typeEbEEZZNS1_14partition_implILS5_6ELb0ES3_mNS7_12zip_iteratorINS8_INS7_6detail15normal_iteratorINS7_10device_ptrIdEEEESJ_S9_S9_S9_S9_S9_S9_S9_S9_EEEEPSB_SM_NS0_5tupleIJNSE_INS8_ISJ_NS7_16discard_iteratorINS7_11use_defaultEEES9_S9_S9_S9_S9_S9_S9_S9_EEEESB_EEENSN_IJSM_SM_EEESB_PlJNSF_9not_fun_tINSF_14equal_to_valueISA_EEEEEEE10hipError_tPvRmT3_T4_T5_T6_T7_T9_mT8_P12ihipStream_tbDpT10_ENKUlT_T0_E_clISt17integral_constantIbLb1EES1J_EEDaS1E_S1F_EUlS1E_E_NS1_11comp_targetILNS1_3genE4ELNS1_11target_archE910ELNS1_3gpuE8ELNS1_3repE0EEENS1_30default_config_static_selectorELNS0_4arch9wavefront6targetE0EEEvT1_.has_recursion, 0
	.set _ZN7rocprim17ROCPRIM_400000_NS6detail17trampoline_kernelINS0_14default_configENS1_25partition_config_selectorILNS1_17partition_subalgoE6EN6thrust23THRUST_200600_302600_NS5tupleIddNS7_9null_typeES9_S9_S9_S9_S9_S9_S9_EENS0_10empty_typeEbEEZZNS1_14partition_implILS5_6ELb0ES3_mNS7_12zip_iteratorINS8_INS7_6detail15normal_iteratorINS7_10device_ptrIdEEEESJ_S9_S9_S9_S9_S9_S9_S9_S9_EEEEPSB_SM_NS0_5tupleIJNSE_INS8_ISJ_NS7_16discard_iteratorINS7_11use_defaultEEES9_S9_S9_S9_S9_S9_S9_S9_EEEESB_EEENSN_IJSM_SM_EEESB_PlJNSF_9not_fun_tINSF_14equal_to_valueISA_EEEEEEE10hipError_tPvRmT3_T4_T5_T6_T7_T9_mT8_P12ihipStream_tbDpT10_ENKUlT_T0_E_clISt17integral_constantIbLb1EES1J_EEDaS1E_S1F_EUlS1E_E_NS1_11comp_targetILNS1_3genE4ELNS1_11target_archE910ELNS1_3gpuE8ELNS1_3repE0EEENS1_30default_config_static_selectorELNS0_4arch9wavefront6targetE0EEEvT1_.has_indirect_call, 0
	.section	.AMDGPU.csdata,"",@progbits
; Kernel info:
; codeLenInByte = 0
; TotalNumSgprs: 0
; NumVgprs: 0
; ScratchSize: 0
; MemoryBound: 0
; FloatMode: 240
; IeeeMode: 1
; LDSByteSize: 0 bytes/workgroup (compile time only)
; SGPRBlocks: 0
; VGPRBlocks: 0
; NumSGPRsForWavesPerEU: 1
; NumVGPRsForWavesPerEU: 1
; Occupancy: 16
; WaveLimiterHint : 0
; COMPUTE_PGM_RSRC2:SCRATCH_EN: 0
; COMPUTE_PGM_RSRC2:USER_SGPR: 2
; COMPUTE_PGM_RSRC2:TRAP_HANDLER: 0
; COMPUTE_PGM_RSRC2:TGID_X_EN: 1
; COMPUTE_PGM_RSRC2:TGID_Y_EN: 0
; COMPUTE_PGM_RSRC2:TGID_Z_EN: 0
; COMPUTE_PGM_RSRC2:TIDIG_COMP_CNT: 0
	.section	.text._ZN7rocprim17ROCPRIM_400000_NS6detail17trampoline_kernelINS0_14default_configENS1_25partition_config_selectorILNS1_17partition_subalgoE6EN6thrust23THRUST_200600_302600_NS5tupleIddNS7_9null_typeES9_S9_S9_S9_S9_S9_S9_EENS0_10empty_typeEbEEZZNS1_14partition_implILS5_6ELb0ES3_mNS7_12zip_iteratorINS8_INS7_6detail15normal_iteratorINS7_10device_ptrIdEEEESJ_S9_S9_S9_S9_S9_S9_S9_S9_EEEEPSB_SM_NS0_5tupleIJNSE_INS8_ISJ_NS7_16discard_iteratorINS7_11use_defaultEEES9_S9_S9_S9_S9_S9_S9_S9_EEEESB_EEENSN_IJSM_SM_EEESB_PlJNSF_9not_fun_tINSF_14equal_to_valueISA_EEEEEEE10hipError_tPvRmT3_T4_T5_T6_T7_T9_mT8_P12ihipStream_tbDpT10_ENKUlT_T0_E_clISt17integral_constantIbLb1EES1J_EEDaS1E_S1F_EUlS1E_E_NS1_11comp_targetILNS1_3genE3ELNS1_11target_archE908ELNS1_3gpuE7ELNS1_3repE0EEENS1_30default_config_static_selectorELNS0_4arch9wavefront6targetE0EEEvT1_,"axG",@progbits,_ZN7rocprim17ROCPRIM_400000_NS6detail17trampoline_kernelINS0_14default_configENS1_25partition_config_selectorILNS1_17partition_subalgoE6EN6thrust23THRUST_200600_302600_NS5tupleIddNS7_9null_typeES9_S9_S9_S9_S9_S9_S9_EENS0_10empty_typeEbEEZZNS1_14partition_implILS5_6ELb0ES3_mNS7_12zip_iteratorINS8_INS7_6detail15normal_iteratorINS7_10device_ptrIdEEEESJ_S9_S9_S9_S9_S9_S9_S9_S9_EEEEPSB_SM_NS0_5tupleIJNSE_INS8_ISJ_NS7_16discard_iteratorINS7_11use_defaultEEES9_S9_S9_S9_S9_S9_S9_S9_EEEESB_EEENSN_IJSM_SM_EEESB_PlJNSF_9not_fun_tINSF_14equal_to_valueISA_EEEEEEE10hipError_tPvRmT3_T4_T5_T6_T7_T9_mT8_P12ihipStream_tbDpT10_ENKUlT_T0_E_clISt17integral_constantIbLb1EES1J_EEDaS1E_S1F_EUlS1E_E_NS1_11comp_targetILNS1_3genE3ELNS1_11target_archE908ELNS1_3gpuE7ELNS1_3repE0EEENS1_30default_config_static_selectorELNS0_4arch9wavefront6targetE0EEEvT1_,comdat
	.protected	_ZN7rocprim17ROCPRIM_400000_NS6detail17trampoline_kernelINS0_14default_configENS1_25partition_config_selectorILNS1_17partition_subalgoE6EN6thrust23THRUST_200600_302600_NS5tupleIddNS7_9null_typeES9_S9_S9_S9_S9_S9_S9_EENS0_10empty_typeEbEEZZNS1_14partition_implILS5_6ELb0ES3_mNS7_12zip_iteratorINS8_INS7_6detail15normal_iteratorINS7_10device_ptrIdEEEESJ_S9_S9_S9_S9_S9_S9_S9_S9_EEEEPSB_SM_NS0_5tupleIJNSE_INS8_ISJ_NS7_16discard_iteratorINS7_11use_defaultEEES9_S9_S9_S9_S9_S9_S9_S9_EEEESB_EEENSN_IJSM_SM_EEESB_PlJNSF_9not_fun_tINSF_14equal_to_valueISA_EEEEEEE10hipError_tPvRmT3_T4_T5_T6_T7_T9_mT8_P12ihipStream_tbDpT10_ENKUlT_T0_E_clISt17integral_constantIbLb1EES1J_EEDaS1E_S1F_EUlS1E_E_NS1_11comp_targetILNS1_3genE3ELNS1_11target_archE908ELNS1_3gpuE7ELNS1_3repE0EEENS1_30default_config_static_selectorELNS0_4arch9wavefront6targetE0EEEvT1_ ; -- Begin function _ZN7rocprim17ROCPRIM_400000_NS6detail17trampoline_kernelINS0_14default_configENS1_25partition_config_selectorILNS1_17partition_subalgoE6EN6thrust23THRUST_200600_302600_NS5tupleIddNS7_9null_typeES9_S9_S9_S9_S9_S9_S9_EENS0_10empty_typeEbEEZZNS1_14partition_implILS5_6ELb0ES3_mNS7_12zip_iteratorINS8_INS7_6detail15normal_iteratorINS7_10device_ptrIdEEEESJ_S9_S9_S9_S9_S9_S9_S9_S9_EEEEPSB_SM_NS0_5tupleIJNSE_INS8_ISJ_NS7_16discard_iteratorINS7_11use_defaultEEES9_S9_S9_S9_S9_S9_S9_S9_EEEESB_EEENSN_IJSM_SM_EEESB_PlJNSF_9not_fun_tINSF_14equal_to_valueISA_EEEEEEE10hipError_tPvRmT3_T4_T5_T6_T7_T9_mT8_P12ihipStream_tbDpT10_ENKUlT_T0_E_clISt17integral_constantIbLb1EES1J_EEDaS1E_S1F_EUlS1E_E_NS1_11comp_targetILNS1_3genE3ELNS1_11target_archE908ELNS1_3gpuE7ELNS1_3repE0EEENS1_30default_config_static_selectorELNS0_4arch9wavefront6targetE0EEEvT1_
	.globl	_ZN7rocprim17ROCPRIM_400000_NS6detail17trampoline_kernelINS0_14default_configENS1_25partition_config_selectorILNS1_17partition_subalgoE6EN6thrust23THRUST_200600_302600_NS5tupleIddNS7_9null_typeES9_S9_S9_S9_S9_S9_S9_EENS0_10empty_typeEbEEZZNS1_14partition_implILS5_6ELb0ES3_mNS7_12zip_iteratorINS8_INS7_6detail15normal_iteratorINS7_10device_ptrIdEEEESJ_S9_S9_S9_S9_S9_S9_S9_S9_EEEEPSB_SM_NS0_5tupleIJNSE_INS8_ISJ_NS7_16discard_iteratorINS7_11use_defaultEEES9_S9_S9_S9_S9_S9_S9_S9_EEEESB_EEENSN_IJSM_SM_EEESB_PlJNSF_9not_fun_tINSF_14equal_to_valueISA_EEEEEEE10hipError_tPvRmT3_T4_T5_T6_T7_T9_mT8_P12ihipStream_tbDpT10_ENKUlT_T0_E_clISt17integral_constantIbLb1EES1J_EEDaS1E_S1F_EUlS1E_E_NS1_11comp_targetILNS1_3genE3ELNS1_11target_archE908ELNS1_3gpuE7ELNS1_3repE0EEENS1_30default_config_static_selectorELNS0_4arch9wavefront6targetE0EEEvT1_
	.p2align	8
	.type	_ZN7rocprim17ROCPRIM_400000_NS6detail17trampoline_kernelINS0_14default_configENS1_25partition_config_selectorILNS1_17partition_subalgoE6EN6thrust23THRUST_200600_302600_NS5tupleIddNS7_9null_typeES9_S9_S9_S9_S9_S9_S9_EENS0_10empty_typeEbEEZZNS1_14partition_implILS5_6ELb0ES3_mNS7_12zip_iteratorINS8_INS7_6detail15normal_iteratorINS7_10device_ptrIdEEEESJ_S9_S9_S9_S9_S9_S9_S9_S9_EEEEPSB_SM_NS0_5tupleIJNSE_INS8_ISJ_NS7_16discard_iteratorINS7_11use_defaultEEES9_S9_S9_S9_S9_S9_S9_S9_EEEESB_EEENSN_IJSM_SM_EEESB_PlJNSF_9not_fun_tINSF_14equal_to_valueISA_EEEEEEE10hipError_tPvRmT3_T4_T5_T6_T7_T9_mT8_P12ihipStream_tbDpT10_ENKUlT_T0_E_clISt17integral_constantIbLb1EES1J_EEDaS1E_S1F_EUlS1E_E_NS1_11comp_targetILNS1_3genE3ELNS1_11target_archE908ELNS1_3gpuE7ELNS1_3repE0EEENS1_30default_config_static_selectorELNS0_4arch9wavefront6targetE0EEEvT1_,@function
_ZN7rocprim17ROCPRIM_400000_NS6detail17trampoline_kernelINS0_14default_configENS1_25partition_config_selectorILNS1_17partition_subalgoE6EN6thrust23THRUST_200600_302600_NS5tupleIddNS7_9null_typeES9_S9_S9_S9_S9_S9_S9_EENS0_10empty_typeEbEEZZNS1_14partition_implILS5_6ELb0ES3_mNS7_12zip_iteratorINS8_INS7_6detail15normal_iteratorINS7_10device_ptrIdEEEESJ_S9_S9_S9_S9_S9_S9_S9_S9_EEEEPSB_SM_NS0_5tupleIJNSE_INS8_ISJ_NS7_16discard_iteratorINS7_11use_defaultEEES9_S9_S9_S9_S9_S9_S9_S9_EEEESB_EEENSN_IJSM_SM_EEESB_PlJNSF_9not_fun_tINSF_14equal_to_valueISA_EEEEEEE10hipError_tPvRmT3_T4_T5_T6_T7_T9_mT8_P12ihipStream_tbDpT10_ENKUlT_T0_E_clISt17integral_constantIbLb1EES1J_EEDaS1E_S1F_EUlS1E_E_NS1_11comp_targetILNS1_3genE3ELNS1_11target_archE908ELNS1_3gpuE7ELNS1_3repE0EEENS1_30default_config_static_selectorELNS0_4arch9wavefront6targetE0EEEvT1_: ; @_ZN7rocprim17ROCPRIM_400000_NS6detail17trampoline_kernelINS0_14default_configENS1_25partition_config_selectorILNS1_17partition_subalgoE6EN6thrust23THRUST_200600_302600_NS5tupleIddNS7_9null_typeES9_S9_S9_S9_S9_S9_S9_EENS0_10empty_typeEbEEZZNS1_14partition_implILS5_6ELb0ES3_mNS7_12zip_iteratorINS8_INS7_6detail15normal_iteratorINS7_10device_ptrIdEEEESJ_S9_S9_S9_S9_S9_S9_S9_S9_EEEEPSB_SM_NS0_5tupleIJNSE_INS8_ISJ_NS7_16discard_iteratorINS7_11use_defaultEEES9_S9_S9_S9_S9_S9_S9_S9_EEEESB_EEENSN_IJSM_SM_EEESB_PlJNSF_9not_fun_tINSF_14equal_to_valueISA_EEEEEEE10hipError_tPvRmT3_T4_T5_T6_T7_T9_mT8_P12ihipStream_tbDpT10_ENKUlT_T0_E_clISt17integral_constantIbLb1EES1J_EEDaS1E_S1F_EUlS1E_E_NS1_11comp_targetILNS1_3genE3ELNS1_11target_archE908ELNS1_3gpuE7ELNS1_3repE0EEENS1_30default_config_static_selectorELNS0_4arch9wavefront6targetE0EEEvT1_
; %bb.0:
	.section	.rodata,"a",@progbits
	.p2align	6, 0x0
	.amdhsa_kernel _ZN7rocprim17ROCPRIM_400000_NS6detail17trampoline_kernelINS0_14default_configENS1_25partition_config_selectorILNS1_17partition_subalgoE6EN6thrust23THRUST_200600_302600_NS5tupleIddNS7_9null_typeES9_S9_S9_S9_S9_S9_S9_EENS0_10empty_typeEbEEZZNS1_14partition_implILS5_6ELb0ES3_mNS7_12zip_iteratorINS8_INS7_6detail15normal_iteratorINS7_10device_ptrIdEEEESJ_S9_S9_S9_S9_S9_S9_S9_S9_EEEEPSB_SM_NS0_5tupleIJNSE_INS8_ISJ_NS7_16discard_iteratorINS7_11use_defaultEEES9_S9_S9_S9_S9_S9_S9_S9_EEEESB_EEENSN_IJSM_SM_EEESB_PlJNSF_9not_fun_tINSF_14equal_to_valueISA_EEEEEEE10hipError_tPvRmT3_T4_T5_T6_T7_T9_mT8_P12ihipStream_tbDpT10_ENKUlT_T0_E_clISt17integral_constantIbLb1EES1J_EEDaS1E_S1F_EUlS1E_E_NS1_11comp_targetILNS1_3genE3ELNS1_11target_archE908ELNS1_3gpuE7ELNS1_3repE0EEENS1_30default_config_static_selectorELNS0_4arch9wavefront6targetE0EEEvT1_
		.amdhsa_group_segment_fixed_size 0
		.amdhsa_private_segment_fixed_size 0
		.amdhsa_kernarg_size 160
		.amdhsa_user_sgpr_count 2
		.amdhsa_user_sgpr_dispatch_ptr 0
		.amdhsa_user_sgpr_queue_ptr 0
		.amdhsa_user_sgpr_kernarg_segment_ptr 1
		.amdhsa_user_sgpr_dispatch_id 0
		.amdhsa_user_sgpr_private_segment_size 0
		.amdhsa_wavefront_size32 1
		.amdhsa_uses_dynamic_stack 0
		.amdhsa_enable_private_segment 0
		.amdhsa_system_sgpr_workgroup_id_x 1
		.amdhsa_system_sgpr_workgroup_id_y 0
		.amdhsa_system_sgpr_workgroup_id_z 0
		.amdhsa_system_sgpr_workgroup_info 0
		.amdhsa_system_vgpr_workitem_id 0
		.amdhsa_next_free_vgpr 1
		.amdhsa_next_free_sgpr 1
		.amdhsa_reserve_vcc 0
		.amdhsa_float_round_mode_32 0
		.amdhsa_float_round_mode_16_64 0
		.amdhsa_float_denorm_mode_32 3
		.amdhsa_float_denorm_mode_16_64 3
		.amdhsa_fp16_overflow 0
		.amdhsa_workgroup_processor_mode 1
		.amdhsa_memory_ordered 1
		.amdhsa_forward_progress 1
		.amdhsa_inst_pref_size 0
		.amdhsa_round_robin_scheduling 0
		.amdhsa_exception_fp_ieee_invalid_op 0
		.amdhsa_exception_fp_denorm_src 0
		.amdhsa_exception_fp_ieee_div_zero 0
		.amdhsa_exception_fp_ieee_overflow 0
		.amdhsa_exception_fp_ieee_underflow 0
		.amdhsa_exception_fp_ieee_inexact 0
		.amdhsa_exception_int_div_zero 0
	.end_amdhsa_kernel
	.section	.text._ZN7rocprim17ROCPRIM_400000_NS6detail17trampoline_kernelINS0_14default_configENS1_25partition_config_selectorILNS1_17partition_subalgoE6EN6thrust23THRUST_200600_302600_NS5tupleIddNS7_9null_typeES9_S9_S9_S9_S9_S9_S9_EENS0_10empty_typeEbEEZZNS1_14partition_implILS5_6ELb0ES3_mNS7_12zip_iteratorINS8_INS7_6detail15normal_iteratorINS7_10device_ptrIdEEEESJ_S9_S9_S9_S9_S9_S9_S9_S9_EEEEPSB_SM_NS0_5tupleIJNSE_INS8_ISJ_NS7_16discard_iteratorINS7_11use_defaultEEES9_S9_S9_S9_S9_S9_S9_S9_EEEESB_EEENSN_IJSM_SM_EEESB_PlJNSF_9not_fun_tINSF_14equal_to_valueISA_EEEEEEE10hipError_tPvRmT3_T4_T5_T6_T7_T9_mT8_P12ihipStream_tbDpT10_ENKUlT_T0_E_clISt17integral_constantIbLb1EES1J_EEDaS1E_S1F_EUlS1E_E_NS1_11comp_targetILNS1_3genE3ELNS1_11target_archE908ELNS1_3gpuE7ELNS1_3repE0EEENS1_30default_config_static_selectorELNS0_4arch9wavefront6targetE0EEEvT1_,"axG",@progbits,_ZN7rocprim17ROCPRIM_400000_NS6detail17trampoline_kernelINS0_14default_configENS1_25partition_config_selectorILNS1_17partition_subalgoE6EN6thrust23THRUST_200600_302600_NS5tupleIddNS7_9null_typeES9_S9_S9_S9_S9_S9_S9_EENS0_10empty_typeEbEEZZNS1_14partition_implILS5_6ELb0ES3_mNS7_12zip_iteratorINS8_INS7_6detail15normal_iteratorINS7_10device_ptrIdEEEESJ_S9_S9_S9_S9_S9_S9_S9_S9_EEEEPSB_SM_NS0_5tupleIJNSE_INS8_ISJ_NS7_16discard_iteratorINS7_11use_defaultEEES9_S9_S9_S9_S9_S9_S9_S9_EEEESB_EEENSN_IJSM_SM_EEESB_PlJNSF_9not_fun_tINSF_14equal_to_valueISA_EEEEEEE10hipError_tPvRmT3_T4_T5_T6_T7_T9_mT8_P12ihipStream_tbDpT10_ENKUlT_T0_E_clISt17integral_constantIbLb1EES1J_EEDaS1E_S1F_EUlS1E_E_NS1_11comp_targetILNS1_3genE3ELNS1_11target_archE908ELNS1_3gpuE7ELNS1_3repE0EEENS1_30default_config_static_selectorELNS0_4arch9wavefront6targetE0EEEvT1_,comdat
.Lfunc_end1832:
	.size	_ZN7rocprim17ROCPRIM_400000_NS6detail17trampoline_kernelINS0_14default_configENS1_25partition_config_selectorILNS1_17partition_subalgoE6EN6thrust23THRUST_200600_302600_NS5tupleIddNS7_9null_typeES9_S9_S9_S9_S9_S9_S9_EENS0_10empty_typeEbEEZZNS1_14partition_implILS5_6ELb0ES3_mNS7_12zip_iteratorINS8_INS7_6detail15normal_iteratorINS7_10device_ptrIdEEEESJ_S9_S9_S9_S9_S9_S9_S9_S9_EEEEPSB_SM_NS0_5tupleIJNSE_INS8_ISJ_NS7_16discard_iteratorINS7_11use_defaultEEES9_S9_S9_S9_S9_S9_S9_S9_EEEESB_EEENSN_IJSM_SM_EEESB_PlJNSF_9not_fun_tINSF_14equal_to_valueISA_EEEEEEE10hipError_tPvRmT3_T4_T5_T6_T7_T9_mT8_P12ihipStream_tbDpT10_ENKUlT_T0_E_clISt17integral_constantIbLb1EES1J_EEDaS1E_S1F_EUlS1E_E_NS1_11comp_targetILNS1_3genE3ELNS1_11target_archE908ELNS1_3gpuE7ELNS1_3repE0EEENS1_30default_config_static_selectorELNS0_4arch9wavefront6targetE0EEEvT1_, .Lfunc_end1832-_ZN7rocprim17ROCPRIM_400000_NS6detail17trampoline_kernelINS0_14default_configENS1_25partition_config_selectorILNS1_17partition_subalgoE6EN6thrust23THRUST_200600_302600_NS5tupleIddNS7_9null_typeES9_S9_S9_S9_S9_S9_S9_EENS0_10empty_typeEbEEZZNS1_14partition_implILS5_6ELb0ES3_mNS7_12zip_iteratorINS8_INS7_6detail15normal_iteratorINS7_10device_ptrIdEEEESJ_S9_S9_S9_S9_S9_S9_S9_S9_EEEEPSB_SM_NS0_5tupleIJNSE_INS8_ISJ_NS7_16discard_iteratorINS7_11use_defaultEEES9_S9_S9_S9_S9_S9_S9_S9_EEEESB_EEENSN_IJSM_SM_EEESB_PlJNSF_9not_fun_tINSF_14equal_to_valueISA_EEEEEEE10hipError_tPvRmT3_T4_T5_T6_T7_T9_mT8_P12ihipStream_tbDpT10_ENKUlT_T0_E_clISt17integral_constantIbLb1EES1J_EEDaS1E_S1F_EUlS1E_E_NS1_11comp_targetILNS1_3genE3ELNS1_11target_archE908ELNS1_3gpuE7ELNS1_3repE0EEENS1_30default_config_static_selectorELNS0_4arch9wavefront6targetE0EEEvT1_
                                        ; -- End function
	.set _ZN7rocprim17ROCPRIM_400000_NS6detail17trampoline_kernelINS0_14default_configENS1_25partition_config_selectorILNS1_17partition_subalgoE6EN6thrust23THRUST_200600_302600_NS5tupleIddNS7_9null_typeES9_S9_S9_S9_S9_S9_S9_EENS0_10empty_typeEbEEZZNS1_14partition_implILS5_6ELb0ES3_mNS7_12zip_iteratorINS8_INS7_6detail15normal_iteratorINS7_10device_ptrIdEEEESJ_S9_S9_S9_S9_S9_S9_S9_S9_EEEEPSB_SM_NS0_5tupleIJNSE_INS8_ISJ_NS7_16discard_iteratorINS7_11use_defaultEEES9_S9_S9_S9_S9_S9_S9_S9_EEEESB_EEENSN_IJSM_SM_EEESB_PlJNSF_9not_fun_tINSF_14equal_to_valueISA_EEEEEEE10hipError_tPvRmT3_T4_T5_T6_T7_T9_mT8_P12ihipStream_tbDpT10_ENKUlT_T0_E_clISt17integral_constantIbLb1EES1J_EEDaS1E_S1F_EUlS1E_E_NS1_11comp_targetILNS1_3genE3ELNS1_11target_archE908ELNS1_3gpuE7ELNS1_3repE0EEENS1_30default_config_static_selectorELNS0_4arch9wavefront6targetE0EEEvT1_.num_vgpr, 0
	.set _ZN7rocprim17ROCPRIM_400000_NS6detail17trampoline_kernelINS0_14default_configENS1_25partition_config_selectorILNS1_17partition_subalgoE6EN6thrust23THRUST_200600_302600_NS5tupleIddNS7_9null_typeES9_S9_S9_S9_S9_S9_S9_EENS0_10empty_typeEbEEZZNS1_14partition_implILS5_6ELb0ES3_mNS7_12zip_iteratorINS8_INS7_6detail15normal_iteratorINS7_10device_ptrIdEEEESJ_S9_S9_S9_S9_S9_S9_S9_S9_EEEEPSB_SM_NS0_5tupleIJNSE_INS8_ISJ_NS7_16discard_iteratorINS7_11use_defaultEEES9_S9_S9_S9_S9_S9_S9_S9_EEEESB_EEENSN_IJSM_SM_EEESB_PlJNSF_9not_fun_tINSF_14equal_to_valueISA_EEEEEEE10hipError_tPvRmT3_T4_T5_T6_T7_T9_mT8_P12ihipStream_tbDpT10_ENKUlT_T0_E_clISt17integral_constantIbLb1EES1J_EEDaS1E_S1F_EUlS1E_E_NS1_11comp_targetILNS1_3genE3ELNS1_11target_archE908ELNS1_3gpuE7ELNS1_3repE0EEENS1_30default_config_static_selectorELNS0_4arch9wavefront6targetE0EEEvT1_.num_agpr, 0
	.set _ZN7rocprim17ROCPRIM_400000_NS6detail17trampoline_kernelINS0_14default_configENS1_25partition_config_selectorILNS1_17partition_subalgoE6EN6thrust23THRUST_200600_302600_NS5tupleIddNS7_9null_typeES9_S9_S9_S9_S9_S9_S9_EENS0_10empty_typeEbEEZZNS1_14partition_implILS5_6ELb0ES3_mNS7_12zip_iteratorINS8_INS7_6detail15normal_iteratorINS7_10device_ptrIdEEEESJ_S9_S9_S9_S9_S9_S9_S9_S9_EEEEPSB_SM_NS0_5tupleIJNSE_INS8_ISJ_NS7_16discard_iteratorINS7_11use_defaultEEES9_S9_S9_S9_S9_S9_S9_S9_EEEESB_EEENSN_IJSM_SM_EEESB_PlJNSF_9not_fun_tINSF_14equal_to_valueISA_EEEEEEE10hipError_tPvRmT3_T4_T5_T6_T7_T9_mT8_P12ihipStream_tbDpT10_ENKUlT_T0_E_clISt17integral_constantIbLb1EES1J_EEDaS1E_S1F_EUlS1E_E_NS1_11comp_targetILNS1_3genE3ELNS1_11target_archE908ELNS1_3gpuE7ELNS1_3repE0EEENS1_30default_config_static_selectorELNS0_4arch9wavefront6targetE0EEEvT1_.numbered_sgpr, 0
	.set _ZN7rocprim17ROCPRIM_400000_NS6detail17trampoline_kernelINS0_14default_configENS1_25partition_config_selectorILNS1_17partition_subalgoE6EN6thrust23THRUST_200600_302600_NS5tupleIddNS7_9null_typeES9_S9_S9_S9_S9_S9_S9_EENS0_10empty_typeEbEEZZNS1_14partition_implILS5_6ELb0ES3_mNS7_12zip_iteratorINS8_INS7_6detail15normal_iteratorINS7_10device_ptrIdEEEESJ_S9_S9_S9_S9_S9_S9_S9_S9_EEEEPSB_SM_NS0_5tupleIJNSE_INS8_ISJ_NS7_16discard_iteratorINS7_11use_defaultEEES9_S9_S9_S9_S9_S9_S9_S9_EEEESB_EEENSN_IJSM_SM_EEESB_PlJNSF_9not_fun_tINSF_14equal_to_valueISA_EEEEEEE10hipError_tPvRmT3_T4_T5_T6_T7_T9_mT8_P12ihipStream_tbDpT10_ENKUlT_T0_E_clISt17integral_constantIbLb1EES1J_EEDaS1E_S1F_EUlS1E_E_NS1_11comp_targetILNS1_3genE3ELNS1_11target_archE908ELNS1_3gpuE7ELNS1_3repE0EEENS1_30default_config_static_selectorELNS0_4arch9wavefront6targetE0EEEvT1_.num_named_barrier, 0
	.set _ZN7rocprim17ROCPRIM_400000_NS6detail17trampoline_kernelINS0_14default_configENS1_25partition_config_selectorILNS1_17partition_subalgoE6EN6thrust23THRUST_200600_302600_NS5tupleIddNS7_9null_typeES9_S9_S9_S9_S9_S9_S9_EENS0_10empty_typeEbEEZZNS1_14partition_implILS5_6ELb0ES3_mNS7_12zip_iteratorINS8_INS7_6detail15normal_iteratorINS7_10device_ptrIdEEEESJ_S9_S9_S9_S9_S9_S9_S9_S9_EEEEPSB_SM_NS0_5tupleIJNSE_INS8_ISJ_NS7_16discard_iteratorINS7_11use_defaultEEES9_S9_S9_S9_S9_S9_S9_S9_EEEESB_EEENSN_IJSM_SM_EEESB_PlJNSF_9not_fun_tINSF_14equal_to_valueISA_EEEEEEE10hipError_tPvRmT3_T4_T5_T6_T7_T9_mT8_P12ihipStream_tbDpT10_ENKUlT_T0_E_clISt17integral_constantIbLb1EES1J_EEDaS1E_S1F_EUlS1E_E_NS1_11comp_targetILNS1_3genE3ELNS1_11target_archE908ELNS1_3gpuE7ELNS1_3repE0EEENS1_30default_config_static_selectorELNS0_4arch9wavefront6targetE0EEEvT1_.private_seg_size, 0
	.set _ZN7rocprim17ROCPRIM_400000_NS6detail17trampoline_kernelINS0_14default_configENS1_25partition_config_selectorILNS1_17partition_subalgoE6EN6thrust23THRUST_200600_302600_NS5tupleIddNS7_9null_typeES9_S9_S9_S9_S9_S9_S9_EENS0_10empty_typeEbEEZZNS1_14partition_implILS5_6ELb0ES3_mNS7_12zip_iteratorINS8_INS7_6detail15normal_iteratorINS7_10device_ptrIdEEEESJ_S9_S9_S9_S9_S9_S9_S9_S9_EEEEPSB_SM_NS0_5tupleIJNSE_INS8_ISJ_NS7_16discard_iteratorINS7_11use_defaultEEES9_S9_S9_S9_S9_S9_S9_S9_EEEESB_EEENSN_IJSM_SM_EEESB_PlJNSF_9not_fun_tINSF_14equal_to_valueISA_EEEEEEE10hipError_tPvRmT3_T4_T5_T6_T7_T9_mT8_P12ihipStream_tbDpT10_ENKUlT_T0_E_clISt17integral_constantIbLb1EES1J_EEDaS1E_S1F_EUlS1E_E_NS1_11comp_targetILNS1_3genE3ELNS1_11target_archE908ELNS1_3gpuE7ELNS1_3repE0EEENS1_30default_config_static_selectorELNS0_4arch9wavefront6targetE0EEEvT1_.uses_vcc, 0
	.set _ZN7rocprim17ROCPRIM_400000_NS6detail17trampoline_kernelINS0_14default_configENS1_25partition_config_selectorILNS1_17partition_subalgoE6EN6thrust23THRUST_200600_302600_NS5tupleIddNS7_9null_typeES9_S9_S9_S9_S9_S9_S9_EENS0_10empty_typeEbEEZZNS1_14partition_implILS5_6ELb0ES3_mNS7_12zip_iteratorINS8_INS7_6detail15normal_iteratorINS7_10device_ptrIdEEEESJ_S9_S9_S9_S9_S9_S9_S9_S9_EEEEPSB_SM_NS0_5tupleIJNSE_INS8_ISJ_NS7_16discard_iteratorINS7_11use_defaultEEES9_S9_S9_S9_S9_S9_S9_S9_EEEESB_EEENSN_IJSM_SM_EEESB_PlJNSF_9not_fun_tINSF_14equal_to_valueISA_EEEEEEE10hipError_tPvRmT3_T4_T5_T6_T7_T9_mT8_P12ihipStream_tbDpT10_ENKUlT_T0_E_clISt17integral_constantIbLb1EES1J_EEDaS1E_S1F_EUlS1E_E_NS1_11comp_targetILNS1_3genE3ELNS1_11target_archE908ELNS1_3gpuE7ELNS1_3repE0EEENS1_30default_config_static_selectorELNS0_4arch9wavefront6targetE0EEEvT1_.uses_flat_scratch, 0
	.set _ZN7rocprim17ROCPRIM_400000_NS6detail17trampoline_kernelINS0_14default_configENS1_25partition_config_selectorILNS1_17partition_subalgoE6EN6thrust23THRUST_200600_302600_NS5tupleIddNS7_9null_typeES9_S9_S9_S9_S9_S9_S9_EENS0_10empty_typeEbEEZZNS1_14partition_implILS5_6ELb0ES3_mNS7_12zip_iteratorINS8_INS7_6detail15normal_iteratorINS7_10device_ptrIdEEEESJ_S9_S9_S9_S9_S9_S9_S9_S9_EEEEPSB_SM_NS0_5tupleIJNSE_INS8_ISJ_NS7_16discard_iteratorINS7_11use_defaultEEES9_S9_S9_S9_S9_S9_S9_S9_EEEESB_EEENSN_IJSM_SM_EEESB_PlJNSF_9not_fun_tINSF_14equal_to_valueISA_EEEEEEE10hipError_tPvRmT3_T4_T5_T6_T7_T9_mT8_P12ihipStream_tbDpT10_ENKUlT_T0_E_clISt17integral_constantIbLb1EES1J_EEDaS1E_S1F_EUlS1E_E_NS1_11comp_targetILNS1_3genE3ELNS1_11target_archE908ELNS1_3gpuE7ELNS1_3repE0EEENS1_30default_config_static_selectorELNS0_4arch9wavefront6targetE0EEEvT1_.has_dyn_sized_stack, 0
	.set _ZN7rocprim17ROCPRIM_400000_NS6detail17trampoline_kernelINS0_14default_configENS1_25partition_config_selectorILNS1_17partition_subalgoE6EN6thrust23THRUST_200600_302600_NS5tupleIddNS7_9null_typeES9_S9_S9_S9_S9_S9_S9_EENS0_10empty_typeEbEEZZNS1_14partition_implILS5_6ELb0ES3_mNS7_12zip_iteratorINS8_INS7_6detail15normal_iteratorINS7_10device_ptrIdEEEESJ_S9_S9_S9_S9_S9_S9_S9_S9_EEEEPSB_SM_NS0_5tupleIJNSE_INS8_ISJ_NS7_16discard_iteratorINS7_11use_defaultEEES9_S9_S9_S9_S9_S9_S9_S9_EEEESB_EEENSN_IJSM_SM_EEESB_PlJNSF_9not_fun_tINSF_14equal_to_valueISA_EEEEEEE10hipError_tPvRmT3_T4_T5_T6_T7_T9_mT8_P12ihipStream_tbDpT10_ENKUlT_T0_E_clISt17integral_constantIbLb1EES1J_EEDaS1E_S1F_EUlS1E_E_NS1_11comp_targetILNS1_3genE3ELNS1_11target_archE908ELNS1_3gpuE7ELNS1_3repE0EEENS1_30default_config_static_selectorELNS0_4arch9wavefront6targetE0EEEvT1_.has_recursion, 0
	.set _ZN7rocprim17ROCPRIM_400000_NS6detail17trampoline_kernelINS0_14default_configENS1_25partition_config_selectorILNS1_17partition_subalgoE6EN6thrust23THRUST_200600_302600_NS5tupleIddNS7_9null_typeES9_S9_S9_S9_S9_S9_S9_EENS0_10empty_typeEbEEZZNS1_14partition_implILS5_6ELb0ES3_mNS7_12zip_iteratorINS8_INS7_6detail15normal_iteratorINS7_10device_ptrIdEEEESJ_S9_S9_S9_S9_S9_S9_S9_S9_EEEEPSB_SM_NS0_5tupleIJNSE_INS8_ISJ_NS7_16discard_iteratorINS7_11use_defaultEEES9_S9_S9_S9_S9_S9_S9_S9_EEEESB_EEENSN_IJSM_SM_EEESB_PlJNSF_9not_fun_tINSF_14equal_to_valueISA_EEEEEEE10hipError_tPvRmT3_T4_T5_T6_T7_T9_mT8_P12ihipStream_tbDpT10_ENKUlT_T0_E_clISt17integral_constantIbLb1EES1J_EEDaS1E_S1F_EUlS1E_E_NS1_11comp_targetILNS1_3genE3ELNS1_11target_archE908ELNS1_3gpuE7ELNS1_3repE0EEENS1_30default_config_static_selectorELNS0_4arch9wavefront6targetE0EEEvT1_.has_indirect_call, 0
	.section	.AMDGPU.csdata,"",@progbits
; Kernel info:
; codeLenInByte = 0
; TotalNumSgprs: 0
; NumVgprs: 0
; ScratchSize: 0
; MemoryBound: 0
; FloatMode: 240
; IeeeMode: 1
; LDSByteSize: 0 bytes/workgroup (compile time only)
; SGPRBlocks: 0
; VGPRBlocks: 0
; NumSGPRsForWavesPerEU: 1
; NumVGPRsForWavesPerEU: 1
; Occupancy: 16
; WaveLimiterHint : 0
; COMPUTE_PGM_RSRC2:SCRATCH_EN: 0
; COMPUTE_PGM_RSRC2:USER_SGPR: 2
; COMPUTE_PGM_RSRC2:TRAP_HANDLER: 0
; COMPUTE_PGM_RSRC2:TGID_X_EN: 1
; COMPUTE_PGM_RSRC2:TGID_Y_EN: 0
; COMPUTE_PGM_RSRC2:TGID_Z_EN: 0
; COMPUTE_PGM_RSRC2:TIDIG_COMP_CNT: 0
	.section	.text._ZN7rocprim17ROCPRIM_400000_NS6detail17trampoline_kernelINS0_14default_configENS1_25partition_config_selectorILNS1_17partition_subalgoE6EN6thrust23THRUST_200600_302600_NS5tupleIddNS7_9null_typeES9_S9_S9_S9_S9_S9_S9_EENS0_10empty_typeEbEEZZNS1_14partition_implILS5_6ELb0ES3_mNS7_12zip_iteratorINS8_INS7_6detail15normal_iteratorINS7_10device_ptrIdEEEESJ_S9_S9_S9_S9_S9_S9_S9_S9_EEEEPSB_SM_NS0_5tupleIJNSE_INS8_ISJ_NS7_16discard_iteratorINS7_11use_defaultEEES9_S9_S9_S9_S9_S9_S9_S9_EEEESB_EEENSN_IJSM_SM_EEESB_PlJNSF_9not_fun_tINSF_14equal_to_valueISA_EEEEEEE10hipError_tPvRmT3_T4_T5_T6_T7_T9_mT8_P12ihipStream_tbDpT10_ENKUlT_T0_E_clISt17integral_constantIbLb1EES1J_EEDaS1E_S1F_EUlS1E_E_NS1_11comp_targetILNS1_3genE2ELNS1_11target_archE906ELNS1_3gpuE6ELNS1_3repE0EEENS1_30default_config_static_selectorELNS0_4arch9wavefront6targetE0EEEvT1_,"axG",@progbits,_ZN7rocprim17ROCPRIM_400000_NS6detail17trampoline_kernelINS0_14default_configENS1_25partition_config_selectorILNS1_17partition_subalgoE6EN6thrust23THRUST_200600_302600_NS5tupleIddNS7_9null_typeES9_S9_S9_S9_S9_S9_S9_EENS0_10empty_typeEbEEZZNS1_14partition_implILS5_6ELb0ES3_mNS7_12zip_iteratorINS8_INS7_6detail15normal_iteratorINS7_10device_ptrIdEEEESJ_S9_S9_S9_S9_S9_S9_S9_S9_EEEEPSB_SM_NS0_5tupleIJNSE_INS8_ISJ_NS7_16discard_iteratorINS7_11use_defaultEEES9_S9_S9_S9_S9_S9_S9_S9_EEEESB_EEENSN_IJSM_SM_EEESB_PlJNSF_9not_fun_tINSF_14equal_to_valueISA_EEEEEEE10hipError_tPvRmT3_T4_T5_T6_T7_T9_mT8_P12ihipStream_tbDpT10_ENKUlT_T0_E_clISt17integral_constantIbLb1EES1J_EEDaS1E_S1F_EUlS1E_E_NS1_11comp_targetILNS1_3genE2ELNS1_11target_archE906ELNS1_3gpuE6ELNS1_3repE0EEENS1_30default_config_static_selectorELNS0_4arch9wavefront6targetE0EEEvT1_,comdat
	.protected	_ZN7rocprim17ROCPRIM_400000_NS6detail17trampoline_kernelINS0_14default_configENS1_25partition_config_selectorILNS1_17partition_subalgoE6EN6thrust23THRUST_200600_302600_NS5tupleIddNS7_9null_typeES9_S9_S9_S9_S9_S9_S9_EENS0_10empty_typeEbEEZZNS1_14partition_implILS5_6ELb0ES3_mNS7_12zip_iteratorINS8_INS7_6detail15normal_iteratorINS7_10device_ptrIdEEEESJ_S9_S9_S9_S9_S9_S9_S9_S9_EEEEPSB_SM_NS0_5tupleIJNSE_INS8_ISJ_NS7_16discard_iteratorINS7_11use_defaultEEES9_S9_S9_S9_S9_S9_S9_S9_EEEESB_EEENSN_IJSM_SM_EEESB_PlJNSF_9not_fun_tINSF_14equal_to_valueISA_EEEEEEE10hipError_tPvRmT3_T4_T5_T6_T7_T9_mT8_P12ihipStream_tbDpT10_ENKUlT_T0_E_clISt17integral_constantIbLb1EES1J_EEDaS1E_S1F_EUlS1E_E_NS1_11comp_targetILNS1_3genE2ELNS1_11target_archE906ELNS1_3gpuE6ELNS1_3repE0EEENS1_30default_config_static_selectorELNS0_4arch9wavefront6targetE0EEEvT1_ ; -- Begin function _ZN7rocprim17ROCPRIM_400000_NS6detail17trampoline_kernelINS0_14default_configENS1_25partition_config_selectorILNS1_17partition_subalgoE6EN6thrust23THRUST_200600_302600_NS5tupleIddNS7_9null_typeES9_S9_S9_S9_S9_S9_S9_EENS0_10empty_typeEbEEZZNS1_14partition_implILS5_6ELb0ES3_mNS7_12zip_iteratorINS8_INS7_6detail15normal_iteratorINS7_10device_ptrIdEEEESJ_S9_S9_S9_S9_S9_S9_S9_S9_EEEEPSB_SM_NS0_5tupleIJNSE_INS8_ISJ_NS7_16discard_iteratorINS7_11use_defaultEEES9_S9_S9_S9_S9_S9_S9_S9_EEEESB_EEENSN_IJSM_SM_EEESB_PlJNSF_9not_fun_tINSF_14equal_to_valueISA_EEEEEEE10hipError_tPvRmT3_T4_T5_T6_T7_T9_mT8_P12ihipStream_tbDpT10_ENKUlT_T0_E_clISt17integral_constantIbLb1EES1J_EEDaS1E_S1F_EUlS1E_E_NS1_11comp_targetILNS1_3genE2ELNS1_11target_archE906ELNS1_3gpuE6ELNS1_3repE0EEENS1_30default_config_static_selectorELNS0_4arch9wavefront6targetE0EEEvT1_
	.globl	_ZN7rocprim17ROCPRIM_400000_NS6detail17trampoline_kernelINS0_14default_configENS1_25partition_config_selectorILNS1_17partition_subalgoE6EN6thrust23THRUST_200600_302600_NS5tupleIddNS7_9null_typeES9_S9_S9_S9_S9_S9_S9_EENS0_10empty_typeEbEEZZNS1_14partition_implILS5_6ELb0ES3_mNS7_12zip_iteratorINS8_INS7_6detail15normal_iteratorINS7_10device_ptrIdEEEESJ_S9_S9_S9_S9_S9_S9_S9_S9_EEEEPSB_SM_NS0_5tupleIJNSE_INS8_ISJ_NS7_16discard_iteratorINS7_11use_defaultEEES9_S9_S9_S9_S9_S9_S9_S9_EEEESB_EEENSN_IJSM_SM_EEESB_PlJNSF_9not_fun_tINSF_14equal_to_valueISA_EEEEEEE10hipError_tPvRmT3_T4_T5_T6_T7_T9_mT8_P12ihipStream_tbDpT10_ENKUlT_T0_E_clISt17integral_constantIbLb1EES1J_EEDaS1E_S1F_EUlS1E_E_NS1_11comp_targetILNS1_3genE2ELNS1_11target_archE906ELNS1_3gpuE6ELNS1_3repE0EEENS1_30default_config_static_selectorELNS0_4arch9wavefront6targetE0EEEvT1_
	.p2align	8
	.type	_ZN7rocprim17ROCPRIM_400000_NS6detail17trampoline_kernelINS0_14default_configENS1_25partition_config_selectorILNS1_17partition_subalgoE6EN6thrust23THRUST_200600_302600_NS5tupleIddNS7_9null_typeES9_S9_S9_S9_S9_S9_S9_EENS0_10empty_typeEbEEZZNS1_14partition_implILS5_6ELb0ES3_mNS7_12zip_iteratorINS8_INS7_6detail15normal_iteratorINS7_10device_ptrIdEEEESJ_S9_S9_S9_S9_S9_S9_S9_S9_EEEEPSB_SM_NS0_5tupleIJNSE_INS8_ISJ_NS7_16discard_iteratorINS7_11use_defaultEEES9_S9_S9_S9_S9_S9_S9_S9_EEEESB_EEENSN_IJSM_SM_EEESB_PlJNSF_9not_fun_tINSF_14equal_to_valueISA_EEEEEEE10hipError_tPvRmT3_T4_T5_T6_T7_T9_mT8_P12ihipStream_tbDpT10_ENKUlT_T0_E_clISt17integral_constantIbLb1EES1J_EEDaS1E_S1F_EUlS1E_E_NS1_11comp_targetILNS1_3genE2ELNS1_11target_archE906ELNS1_3gpuE6ELNS1_3repE0EEENS1_30default_config_static_selectorELNS0_4arch9wavefront6targetE0EEEvT1_,@function
_ZN7rocprim17ROCPRIM_400000_NS6detail17trampoline_kernelINS0_14default_configENS1_25partition_config_selectorILNS1_17partition_subalgoE6EN6thrust23THRUST_200600_302600_NS5tupleIddNS7_9null_typeES9_S9_S9_S9_S9_S9_S9_EENS0_10empty_typeEbEEZZNS1_14partition_implILS5_6ELb0ES3_mNS7_12zip_iteratorINS8_INS7_6detail15normal_iteratorINS7_10device_ptrIdEEEESJ_S9_S9_S9_S9_S9_S9_S9_S9_EEEEPSB_SM_NS0_5tupleIJNSE_INS8_ISJ_NS7_16discard_iteratorINS7_11use_defaultEEES9_S9_S9_S9_S9_S9_S9_S9_EEEESB_EEENSN_IJSM_SM_EEESB_PlJNSF_9not_fun_tINSF_14equal_to_valueISA_EEEEEEE10hipError_tPvRmT3_T4_T5_T6_T7_T9_mT8_P12ihipStream_tbDpT10_ENKUlT_T0_E_clISt17integral_constantIbLb1EES1J_EEDaS1E_S1F_EUlS1E_E_NS1_11comp_targetILNS1_3genE2ELNS1_11target_archE906ELNS1_3gpuE6ELNS1_3repE0EEENS1_30default_config_static_selectorELNS0_4arch9wavefront6targetE0EEEvT1_: ; @_ZN7rocprim17ROCPRIM_400000_NS6detail17trampoline_kernelINS0_14default_configENS1_25partition_config_selectorILNS1_17partition_subalgoE6EN6thrust23THRUST_200600_302600_NS5tupleIddNS7_9null_typeES9_S9_S9_S9_S9_S9_S9_EENS0_10empty_typeEbEEZZNS1_14partition_implILS5_6ELb0ES3_mNS7_12zip_iteratorINS8_INS7_6detail15normal_iteratorINS7_10device_ptrIdEEEESJ_S9_S9_S9_S9_S9_S9_S9_S9_EEEEPSB_SM_NS0_5tupleIJNSE_INS8_ISJ_NS7_16discard_iteratorINS7_11use_defaultEEES9_S9_S9_S9_S9_S9_S9_S9_EEEESB_EEENSN_IJSM_SM_EEESB_PlJNSF_9not_fun_tINSF_14equal_to_valueISA_EEEEEEE10hipError_tPvRmT3_T4_T5_T6_T7_T9_mT8_P12ihipStream_tbDpT10_ENKUlT_T0_E_clISt17integral_constantIbLb1EES1J_EEDaS1E_S1F_EUlS1E_E_NS1_11comp_targetILNS1_3genE2ELNS1_11target_archE906ELNS1_3gpuE6ELNS1_3repE0EEENS1_30default_config_static_selectorELNS0_4arch9wavefront6targetE0EEEvT1_
; %bb.0:
	.section	.rodata,"a",@progbits
	.p2align	6, 0x0
	.amdhsa_kernel _ZN7rocprim17ROCPRIM_400000_NS6detail17trampoline_kernelINS0_14default_configENS1_25partition_config_selectorILNS1_17partition_subalgoE6EN6thrust23THRUST_200600_302600_NS5tupleIddNS7_9null_typeES9_S9_S9_S9_S9_S9_S9_EENS0_10empty_typeEbEEZZNS1_14partition_implILS5_6ELb0ES3_mNS7_12zip_iteratorINS8_INS7_6detail15normal_iteratorINS7_10device_ptrIdEEEESJ_S9_S9_S9_S9_S9_S9_S9_S9_EEEEPSB_SM_NS0_5tupleIJNSE_INS8_ISJ_NS7_16discard_iteratorINS7_11use_defaultEEES9_S9_S9_S9_S9_S9_S9_S9_EEEESB_EEENSN_IJSM_SM_EEESB_PlJNSF_9not_fun_tINSF_14equal_to_valueISA_EEEEEEE10hipError_tPvRmT3_T4_T5_T6_T7_T9_mT8_P12ihipStream_tbDpT10_ENKUlT_T0_E_clISt17integral_constantIbLb1EES1J_EEDaS1E_S1F_EUlS1E_E_NS1_11comp_targetILNS1_3genE2ELNS1_11target_archE906ELNS1_3gpuE6ELNS1_3repE0EEENS1_30default_config_static_selectorELNS0_4arch9wavefront6targetE0EEEvT1_
		.amdhsa_group_segment_fixed_size 0
		.amdhsa_private_segment_fixed_size 0
		.amdhsa_kernarg_size 160
		.amdhsa_user_sgpr_count 2
		.amdhsa_user_sgpr_dispatch_ptr 0
		.amdhsa_user_sgpr_queue_ptr 0
		.amdhsa_user_sgpr_kernarg_segment_ptr 1
		.amdhsa_user_sgpr_dispatch_id 0
		.amdhsa_user_sgpr_private_segment_size 0
		.amdhsa_wavefront_size32 1
		.amdhsa_uses_dynamic_stack 0
		.amdhsa_enable_private_segment 0
		.amdhsa_system_sgpr_workgroup_id_x 1
		.amdhsa_system_sgpr_workgroup_id_y 0
		.amdhsa_system_sgpr_workgroup_id_z 0
		.amdhsa_system_sgpr_workgroup_info 0
		.amdhsa_system_vgpr_workitem_id 0
		.amdhsa_next_free_vgpr 1
		.amdhsa_next_free_sgpr 1
		.amdhsa_reserve_vcc 0
		.amdhsa_float_round_mode_32 0
		.amdhsa_float_round_mode_16_64 0
		.amdhsa_float_denorm_mode_32 3
		.amdhsa_float_denorm_mode_16_64 3
		.amdhsa_fp16_overflow 0
		.amdhsa_workgroup_processor_mode 1
		.amdhsa_memory_ordered 1
		.amdhsa_forward_progress 1
		.amdhsa_inst_pref_size 0
		.amdhsa_round_robin_scheduling 0
		.amdhsa_exception_fp_ieee_invalid_op 0
		.amdhsa_exception_fp_denorm_src 0
		.amdhsa_exception_fp_ieee_div_zero 0
		.amdhsa_exception_fp_ieee_overflow 0
		.amdhsa_exception_fp_ieee_underflow 0
		.amdhsa_exception_fp_ieee_inexact 0
		.amdhsa_exception_int_div_zero 0
	.end_amdhsa_kernel
	.section	.text._ZN7rocprim17ROCPRIM_400000_NS6detail17trampoline_kernelINS0_14default_configENS1_25partition_config_selectorILNS1_17partition_subalgoE6EN6thrust23THRUST_200600_302600_NS5tupleIddNS7_9null_typeES9_S9_S9_S9_S9_S9_S9_EENS0_10empty_typeEbEEZZNS1_14partition_implILS5_6ELb0ES3_mNS7_12zip_iteratorINS8_INS7_6detail15normal_iteratorINS7_10device_ptrIdEEEESJ_S9_S9_S9_S9_S9_S9_S9_S9_EEEEPSB_SM_NS0_5tupleIJNSE_INS8_ISJ_NS7_16discard_iteratorINS7_11use_defaultEEES9_S9_S9_S9_S9_S9_S9_S9_EEEESB_EEENSN_IJSM_SM_EEESB_PlJNSF_9not_fun_tINSF_14equal_to_valueISA_EEEEEEE10hipError_tPvRmT3_T4_T5_T6_T7_T9_mT8_P12ihipStream_tbDpT10_ENKUlT_T0_E_clISt17integral_constantIbLb1EES1J_EEDaS1E_S1F_EUlS1E_E_NS1_11comp_targetILNS1_3genE2ELNS1_11target_archE906ELNS1_3gpuE6ELNS1_3repE0EEENS1_30default_config_static_selectorELNS0_4arch9wavefront6targetE0EEEvT1_,"axG",@progbits,_ZN7rocprim17ROCPRIM_400000_NS6detail17trampoline_kernelINS0_14default_configENS1_25partition_config_selectorILNS1_17partition_subalgoE6EN6thrust23THRUST_200600_302600_NS5tupleIddNS7_9null_typeES9_S9_S9_S9_S9_S9_S9_EENS0_10empty_typeEbEEZZNS1_14partition_implILS5_6ELb0ES3_mNS7_12zip_iteratorINS8_INS7_6detail15normal_iteratorINS7_10device_ptrIdEEEESJ_S9_S9_S9_S9_S9_S9_S9_S9_EEEEPSB_SM_NS0_5tupleIJNSE_INS8_ISJ_NS7_16discard_iteratorINS7_11use_defaultEEES9_S9_S9_S9_S9_S9_S9_S9_EEEESB_EEENSN_IJSM_SM_EEESB_PlJNSF_9not_fun_tINSF_14equal_to_valueISA_EEEEEEE10hipError_tPvRmT3_T4_T5_T6_T7_T9_mT8_P12ihipStream_tbDpT10_ENKUlT_T0_E_clISt17integral_constantIbLb1EES1J_EEDaS1E_S1F_EUlS1E_E_NS1_11comp_targetILNS1_3genE2ELNS1_11target_archE906ELNS1_3gpuE6ELNS1_3repE0EEENS1_30default_config_static_selectorELNS0_4arch9wavefront6targetE0EEEvT1_,comdat
.Lfunc_end1833:
	.size	_ZN7rocprim17ROCPRIM_400000_NS6detail17trampoline_kernelINS0_14default_configENS1_25partition_config_selectorILNS1_17partition_subalgoE6EN6thrust23THRUST_200600_302600_NS5tupleIddNS7_9null_typeES9_S9_S9_S9_S9_S9_S9_EENS0_10empty_typeEbEEZZNS1_14partition_implILS5_6ELb0ES3_mNS7_12zip_iteratorINS8_INS7_6detail15normal_iteratorINS7_10device_ptrIdEEEESJ_S9_S9_S9_S9_S9_S9_S9_S9_EEEEPSB_SM_NS0_5tupleIJNSE_INS8_ISJ_NS7_16discard_iteratorINS7_11use_defaultEEES9_S9_S9_S9_S9_S9_S9_S9_EEEESB_EEENSN_IJSM_SM_EEESB_PlJNSF_9not_fun_tINSF_14equal_to_valueISA_EEEEEEE10hipError_tPvRmT3_T4_T5_T6_T7_T9_mT8_P12ihipStream_tbDpT10_ENKUlT_T0_E_clISt17integral_constantIbLb1EES1J_EEDaS1E_S1F_EUlS1E_E_NS1_11comp_targetILNS1_3genE2ELNS1_11target_archE906ELNS1_3gpuE6ELNS1_3repE0EEENS1_30default_config_static_selectorELNS0_4arch9wavefront6targetE0EEEvT1_, .Lfunc_end1833-_ZN7rocprim17ROCPRIM_400000_NS6detail17trampoline_kernelINS0_14default_configENS1_25partition_config_selectorILNS1_17partition_subalgoE6EN6thrust23THRUST_200600_302600_NS5tupleIddNS7_9null_typeES9_S9_S9_S9_S9_S9_S9_EENS0_10empty_typeEbEEZZNS1_14partition_implILS5_6ELb0ES3_mNS7_12zip_iteratorINS8_INS7_6detail15normal_iteratorINS7_10device_ptrIdEEEESJ_S9_S9_S9_S9_S9_S9_S9_S9_EEEEPSB_SM_NS0_5tupleIJNSE_INS8_ISJ_NS7_16discard_iteratorINS7_11use_defaultEEES9_S9_S9_S9_S9_S9_S9_S9_EEEESB_EEENSN_IJSM_SM_EEESB_PlJNSF_9not_fun_tINSF_14equal_to_valueISA_EEEEEEE10hipError_tPvRmT3_T4_T5_T6_T7_T9_mT8_P12ihipStream_tbDpT10_ENKUlT_T0_E_clISt17integral_constantIbLb1EES1J_EEDaS1E_S1F_EUlS1E_E_NS1_11comp_targetILNS1_3genE2ELNS1_11target_archE906ELNS1_3gpuE6ELNS1_3repE0EEENS1_30default_config_static_selectorELNS0_4arch9wavefront6targetE0EEEvT1_
                                        ; -- End function
	.set _ZN7rocprim17ROCPRIM_400000_NS6detail17trampoline_kernelINS0_14default_configENS1_25partition_config_selectorILNS1_17partition_subalgoE6EN6thrust23THRUST_200600_302600_NS5tupleIddNS7_9null_typeES9_S9_S9_S9_S9_S9_S9_EENS0_10empty_typeEbEEZZNS1_14partition_implILS5_6ELb0ES3_mNS7_12zip_iteratorINS8_INS7_6detail15normal_iteratorINS7_10device_ptrIdEEEESJ_S9_S9_S9_S9_S9_S9_S9_S9_EEEEPSB_SM_NS0_5tupleIJNSE_INS8_ISJ_NS7_16discard_iteratorINS7_11use_defaultEEES9_S9_S9_S9_S9_S9_S9_S9_EEEESB_EEENSN_IJSM_SM_EEESB_PlJNSF_9not_fun_tINSF_14equal_to_valueISA_EEEEEEE10hipError_tPvRmT3_T4_T5_T6_T7_T9_mT8_P12ihipStream_tbDpT10_ENKUlT_T0_E_clISt17integral_constantIbLb1EES1J_EEDaS1E_S1F_EUlS1E_E_NS1_11comp_targetILNS1_3genE2ELNS1_11target_archE906ELNS1_3gpuE6ELNS1_3repE0EEENS1_30default_config_static_selectorELNS0_4arch9wavefront6targetE0EEEvT1_.num_vgpr, 0
	.set _ZN7rocprim17ROCPRIM_400000_NS6detail17trampoline_kernelINS0_14default_configENS1_25partition_config_selectorILNS1_17partition_subalgoE6EN6thrust23THRUST_200600_302600_NS5tupleIddNS7_9null_typeES9_S9_S9_S9_S9_S9_S9_EENS0_10empty_typeEbEEZZNS1_14partition_implILS5_6ELb0ES3_mNS7_12zip_iteratorINS8_INS7_6detail15normal_iteratorINS7_10device_ptrIdEEEESJ_S9_S9_S9_S9_S9_S9_S9_S9_EEEEPSB_SM_NS0_5tupleIJNSE_INS8_ISJ_NS7_16discard_iteratorINS7_11use_defaultEEES9_S9_S9_S9_S9_S9_S9_S9_EEEESB_EEENSN_IJSM_SM_EEESB_PlJNSF_9not_fun_tINSF_14equal_to_valueISA_EEEEEEE10hipError_tPvRmT3_T4_T5_T6_T7_T9_mT8_P12ihipStream_tbDpT10_ENKUlT_T0_E_clISt17integral_constantIbLb1EES1J_EEDaS1E_S1F_EUlS1E_E_NS1_11comp_targetILNS1_3genE2ELNS1_11target_archE906ELNS1_3gpuE6ELNS1_3repE0EEENS1_30default_config_static_selectorELNS0_4arch9wavefront6targetE0EEEvT1_.num_agpr, 0
	.set _ZN7rocprim17ROCPRIM_400000_NS6detail17trampoline_kernelINS0_14default_configENS1_25partition_config_selectorILNS1_17partition_subalgoE6EN6thrust23THRUST_200600_302600_NS5tupleIddNS7_9null_typeES9_S9_S9_S9_S9_S9_S9_EENS0_10empty_typeEbEEZZNS1_14partition_implILS5_6ELb0ES3_mNS7_12zip_iteratorINS8_INS7_6detail15normal_iteratorINS7_10device_ptrIdEEEESJ_S9_S9_S9_S9_S9_S9_S9_S9_EEEEPSB_SM_NS0_5tupleIJNSE_INS8_ISJ_NS7_16discard_iteratorINS7_11use_defaultEEES9_S9_S9_S9_S9_S9_S9_S9_EEEESB_EEENSN_IJSM_SM_EEESB_PlJNSF_9not_fun_tINSF_14equal_to_valueISA_EEEEEEE10hipError_tPvRmT3_T4_T5_T6_T7_T9_mT8_P12ihipStream_tbDpT10_ENKUlT_T0_E_clISt17integral_constantIbLb1EES1J_EEDaS1E_S1F_EUlS1E_E_NS1_11comp_targetILNS1_3genE2ELNS1_11target_archE906ELNS1_3gpuE6ELNS1_3repE0EEENS1_30default_config_static_selectorELNS0_4arch9wavefront6targetE0EEEvT1_.numbered_sgpr, 0
	.set _ZN7rocprim17ROCPRIM_400000_NS6detail17trampoline_kernelINS0_14default_configENS1_25partition_config_selectorILNS1_17partition_subalgoE6EN6thrust23THRUST_200600_302600_NS5tupleIddNS7_9null_typeES9_S9_S9_S9_S9_S9_S9_EENS0_10empty_typeEbEEZZNS1_14partition_implILS5_6ELb0ES3_mNS7_12zip_iteratorINS8_INS7_6detail15normal_iteratorINS7_10device_ptrIdEEEESJ_S9_S9_S9_S9_S9_S9_S9_S9_EEEEPSB_SM_NS0_5tupleIJNSE_INS8_ISJ_NS7_16discard_iteratorINS7_11use_defaultEEES9_S9_S9_S9_S9_S9_S9_S9_EEEESB_EEENSN_IJSM_SM_EEESB_PlJNSF_9not_fun_tINSF_14equal_to_valueISA_EEEEEEE10hipError_tPvRmT3_T4_T5_T6_T7_T9_mT8_P12ihipStream_tbDpT10_ENKUlT_T0_E_clISt17integral_constantIbLb1EES1J_EEDaS1E_S1F_EUlS1E_E_NS1_11comp_targetILNS1_3genE2ELNS1_11target_archE906ELNS1_3gpuE6ELNS1_3repE0EEENS1_30default_config_static_selectorELNS0_4arch9wavefront6targetE0EEEvT1_.num_named_barrier, 0
	.set _ZN7rocprim17ROCPRIM_400000_NS6detail17trampoline_kernelINS0_14default_configENS1_25partition_config_selectorILNS1_17partition_subalgoE6EN6thrust23THRUST_200600_302600_NS5tupleIddNS7_9null_typeES9_S9_S9_S9_S9_S9_S9_EENS0_10empty_typeEbEEZZNS1_14partition_implILS5_6ELb0ES3_mNS7_12zip_iteratorINS8_INS7_6detail15normal_iteratorINS7_10device_ptrIdEEEESJ_S9_S9_S9_S9_S9_S9_S9_S9_EEEEPSB_SM_NS0_5tupleIJNSE_INS8_ISJ_NS7_16discard_iteratorINS7_11use_defaultEEES9_S9_S9_S9_S9_S9_S9_S9_EEEESB_EEENSN_IJSM_SM_EEESB_PlJNSF_9not_fun_tINSF_14equal_to_valueISA_EEEEEEE10hipError_tPvRmT3_T4_T5_T6_T7_T9_mT8_P12ihipStream_tbDpT10_ENKUlT_T0_E_clISt17integral_constantIbLb1EES1J_EEDaS1E_S1F_EUlS1E_E_NS1_11comp_targetILNS1_3genE2ELNS1_11target_archE906ELNS1_3gpuE6ELNS1_3repE0EEENS1_30default_config_static_selectorELNS0_4arch9wavefront6targetE0EEEvT1_.private_seg_size, 0
	.set _ZN7rocprim17ROCPRIM_400000_NS6detail17trampoline_kernelINS0_14default_configENS1_25partition_config_selectorILNS1_17partition_subalgoE6EN6thrust23THRUST_200600_302600_NS5tupleIddNS7_9null_typeES9_S9_S9_S9_S9_S9_S9_EENS0_10empty_typeEbEEZZNS1_14partition_implILS5_6ELb0ES3_mNS7_12zip_iteratorINS8_INS7_6detail15normal_iteratorINS7_10device_ptrIdEEEESJ_S9_S9_S9_S9_S9_S9_S9_S9_EEEEPSB_SM_NS0_5tupleIJNSE_INS8_ISJ_NS7_16discard_iteratorINS7_11use_defaultEEES9_S9_S9_S9_S9_S9_S9_S9_EEEESB_EEENSN_IJSM_SM_EEESB_PlJNSF_9not_fun_tINSF_14equal_to_valueISA_EEEEEEE10hipError_tPvRmT3_T4_T5_T6_T7_T9_mT8_P12ihipStream_tbDpT10_ENKUlT_T0_E_clISt17integral_constantIbLb1EES1J_EEDaS1E_S1F_EUlS1E_E_NS1_11comp_targetILNS1_3genE2ELNS1_11target_archE906ELNS1_3gpuE6ELNS1_3repE0EEENS1_30default_config_static_selectorELNS0_4arch9wavefront6targetE0EEEvT1_.uses_vcc, 0
	.set _ZN7rocprim17ROCPRIM_400000_NS6detail17trampoline_kernelINS0_14default_configENS1_25partition_config_selectorILNS1_17partition_subalgoE6EN6thrust23THRUST_200600_302600_NS5tupleIddNS7_9null_typeES9_S9_S9_S9_S9_S9_S9_EENS0_10empty_typeEbEEZZNS1_14partition_implILS5_6ELb0ES3_mNS7_12zip_iteratorINS8_INS7_6detail15normal_iteratorINS7_10device_ptrIdEEEESJ_S9_S9_S9_S9_S9_S9_S9_S9_EEEEPSB_SM_NS0_5tupleIJNSE_INS8_ISJ_NS7_16discard_iteratorINS7_11use_defaultEEES9_S9_S9_S9_S9_S9_S9_S9_EEEESB_EEENSN_IJSM_SM_EEESB_PlJNSF_9not_fun_tINSF_14equal_to_valueISA_EEEEEEE10hipError_tPvRmT3_T4_T5_T6_T7_T9_mT8_P12ihipStream_tbDpT10_ENKUlT_T0_E_clISt17integral_constantIbLb1EES1J_EEDaS1E_S1F_EUlS1E_E_NS1_11comp_targetILNS1_3genE2ELNS1_11target_archE906ELNS1_3gpuE6ELNS1_3repE0EEENS1_30default_config_static_selectorELNS0_4arch9wavefront6targetE0EEEvT1_.uses_flat_scratch, 0
	.set _ZN7rocprim17ROCPRIM_400000_NS6detail17trampoline_kernelINS0_14default_configENS1_25partition_config_selectorILNS1_17partition_subalgoE6EN6thrust23THRUST_200600_302600_NS5tupleIddNS7_9null_typeES9_S9_S9_S9_S9_S9_S9_EENS0_10empty_typeEbEEZZNS1_14partition_implILS5_6ELb0ES3_mNS7_12zip_iteratorINS8_INS7_6detail15normal_iteratorINS7_10device_ptrIdEEEESJ_S9_S9_S9_S9_S9_S9_S9_S9_EEEEPSB_SM_NS0_5tupleIJNSE_INS8_ISJ_NS7_16discard_iteratorINS7_11use_defaultEEES9_S9_S9_S9_S9_S9_S9_S9_EEEESB_EEENSN_IJSM_SM_EEESB_PlJNSF_9not_fun_tINSF_14equal_to_valueISA_EEEEEEE10hipError_tPvRmT3_T4_T5_T6_T7_T9_mT8_P12ihipStream_tbDpT10_ENKUlT_T0_E_clISt17integral_constantIbLb1EES1J_EEDaS1E_S1F_EUlS1E_E_NS1_11comp_targetILNS1_3genE2ELNS1_11target_archE906ELNS1_3gpuE6ELNS1_3repE0EEENS1_30default_config_static_selectorELNS0_4arch9wavefront6targetE0EEEvT1_.has_dyn_sized_stack, 0
	.set _ZN7rocprim17ROCPRIM_400000_NS6detail17trampoline_kernelINS0_14default_configENS1_25partition_config_selectorILNS1_17partition_subalgoE6EN6thrust23THRUST_200600_302600_NS5tupleIddNS7_9null_typeES9_S9_S9_S9_S9_S9_S9_EENS0_10empty_typeEbEEZZNS1_14partition_implILS5_6ELb0ES3_mNS7_12zip_iteratorINS8_INS7_6detail15normal_iteratorINS7_10device_ptrIdEEEESJ_S9_S9_S9_S9_S9_S9_S9_S9_EEEEPSB_SM_NS0_5tupleIJNSE_INS8_ISJ_NS7_16discard_iteratorINS7_11use_defaultEEES9_S9_S9_S9_S9_S9_S9_S9_EEEESB_EEENSN_IJSM_SM_EEESB_PlJNSF_9not_fun_tINSF_14equal_to_valueISA_EEEEEEE10hipError_tPvRmT3_T4_T5_T6_T7_T9_mT8_P12ihipStream_tbDpT10_ENKUlT_T0_E_clISt17integral_constantIbLb1EES1J_EEDaS1E_S1F_EUlS1E_E_NS1_11comp_targetILNS1_3genE2ELNS1_11target_archE906ELNS1_3gpuE6ELNS1_3repE0EEENS1_30default_config_static_selectorELNS0_4arch9wavefront6targetE0EEEvT1_.has_recursion, 0
	.set _ZN7rocprim17ROCPRIM_400000_NS6detail17trampoline_kernelINS0_14default_configENS1_25partition_config_selectorILNS1_17partition_subalgoE6EN6thrust23THRUST_200600_302600_NS5tupleIddNS7_9null_typeES9_S9_S9_S9_S9_S9_S9_EENS0_10empty_typeEbEEZZNS1_14partition_implILS5_6ELb0ES3_mNS7_12zip_iteratorINS8_INS7_6detail15normal_iteratorINS7_10device_ptrIdEEEESJ_S9_S9_S9_S9_S9_S9_S9_S9_EEEEPSB_SM_NS0_5tupleIJNSE_INS8_ISJ_NS7_16discard_iteratorINS7_11use_defaultEEES9_S9_S9_S9_S9_S9_S9_S9_EEEESB_EEENSN_IJSM_SM_EEESB_PlJNSF_9not_fun_tINSF_14equal_to_valueISA_EEEEEEE10hipError_tPvRmT3_T4_T5_T6_T7_T9_mT8_P12ihipStream_tbDpT10_ENKUlT_T0_E_clISt17integral_constantIbLb1EES1J_EEDaS1E_S1F_EUlS1E_E_NS1_11comp_targetILNS1_3genE2ELNS1_11target_archE906ELNS1_3gpuE6ELNS1_3repE0EEENS1_30default_config_static_selectorELNS0_4arch9wavefront6targetE0EEEvT1_.has_indirect_call, 0
	.section	.AMDGPU.csdata,"",@progbits
; Kernel info:
; codeLenInByte = 0
; TotalNumSgprs: 0
; NumVgprs: 0
; ScratchSize: 0
; MemoryBound: 0
; FloatMode: 240
; IeeeMode: 1
; LDSByteSize: 0 bytes/workgroup (compile time only)
; SGPRBlocks: 0
; VGPRBlocks: 0
; NumSGPRsForWavesPerEU: 1
; NumVGPRsForWavesPerEU: 1
; Occupancy: 16
; WaveLimiterHint : 0
; COMPUTE_PGM_RSRC2:SCRATCH_EN: 0
; COMPUTE_PGM_RSRC2:USER_SGPR: 2
; COMPUTE_PGM_RSRC2:TRAP_HANDLER: 0
; COMPUTE_PGM_RSRC2:TGID_X_EN: 1
; COMPUTE_PGM_RSRC2:TGID_Y_EN: 0
; COMPUTE_PGM_RSRC2:TGID_Z_EN: 0
; COMPUTE_PGM_RSRC2:TIDIG_COMP_CNT: 0
	.section	.text._ZN7rocprim17ROCPRIM_400000_NS6detail17trampoline_kernelINS0_14default_configENS1_25partition_config_selectorILNS1_17partition_subalgoE6EN6thrust23THRUST_200600_302600_NS5tupleIddNS7_9null_typeES9_S9_S9_S9_S9_S9_S9_EENS0_10empty_typeEbEEZZNS1_14partition_implILS5_6ELb0ES3_mNS7_12zip_iteratorINS8_INS7_6detail15normal_iteratorINS7_10device_ptrIdEEEESJ_S9_S9_S9_S9_S9_S9_S9_S9_EEEEPSB_SM_NS0_5tupleIJNSE_INS8_ISJ_NS7_16discard_iteratorINS7_11use_defaultEEES9_S9_S9_S9_S9_S9_S9_S9_EEEESB_EEENSN_IJSM_SM_EEESB_PlJNSF_9not_fun_tINSF_14equal_to_valueISA_EEEEEEE10hipError_tPvRmT3_T4_T5_T6_T7_T9_mT8_P12ihipStream_tbDpT10_ENKUlT_T0_E_clISt17integral_constantIbLb1EES1J_EEDaS1E_S1F_EUlS1E_E_NS1_11comp_targetILNS1_3genE10ELNS1_11target_archE1200ELNS1_3gpuE4ELNS1_3repE0EEENS1_30default_config_static_selectorELNS0_4arch9wavefront6targetE0EEEvT1_,"axG",@progbits,_ZN7rocprim17ROCPRIM_400000_NS6detail17trampoline_kernelINS0_14default_configENS1_25partition_config_selectorILNS1_17partition_subalgoE6EN6thrust23THRUST_200600_302600_NS5tupleIddNS7_9null_typeES9_S9_S9_S9_S9_S9_S9_EENS0_10empty_typeEbEEZZNS1_14partition_implILS5_6ELb0ES3_mNS7_12zip_iteratorINS8_INS7_6detail15normal_iteratorINS7_10device_ptrIdEEEESJ_S9_S9_S9_S9_S9_S9_S9_S9_EEEEPSB_SM_NS0_5tupleIJNSE_INS8_ISJ_NS7_16discard_iteratorINS7_11use_defaultEEES9_S9_S9_S9_S9_S9_S9_S9_EEEESB_EEENSN_IJSM_SM_EEESB_PlJNSF_9not_fun_tINSF_14equal_to_valueISA_EEEEEEE10hipError_tPvRmT3_T4_T5_T6_T7_T9_mT8_P12ihipStream_tbDpT10_ENKUlT_T0_E_clISt17integral_constantIbLb1EES1J_EEDaS1E_S1F_EUlS1E_E_NS1_11comp_targetILNS1_3genE10ELNS1_11target_archE1200ELNS1_3gpuE4ELNS1_3repE0EEENS1_30default_config_static_selectorELNS0_4arch9wavefront6targetE0EEEvT1_,comdat
	.protected	_ZN7rocprim17ROCPRIM_400000_NS6detail17trampoline_kernelINS0_14default_configENS1_25partition_config_selectorILNS1_17partition_subalgoE6EN6thrust23THRUST_200600_302600_NS5tupleIddNS7_9null_typeES9_S9_S9_S9_S9_S9_S9_EENS0_10empty_typeEbEEZZNS1_14partition_implILS5_6ELb0ES3_mNS7_12zip_iteratorINS8_INS7_6detail15normal_iteratorINS7_10device_ptrIdEEEESJ_S9_S9_S9_S9_S9_S9_S9_S9_EEEEPSB_SM_NS0_5tupleIJNSE_INS8_ISJ_NS7_16discard_iteratorINS7_11use_defaultEEES9_S9_S9_S9_S9_S9_S9_S9_EEEESB_EEENSN_IJSM_SM_EEESB_PlJNSF_9not_fun_tINSF_14equal_to_valueISA_EEEEEEE10hipError_tPvRmT3_T4_T5_T6_T7_T9_mT8_P12ihipStream_tbDpT10_ENKUlT_T0_E_clISt17integral_constantIbLb1EES1J_EEDaS1E_S1F_EUlS1E_E_NS1_11comp_targetILNS1_3genE10ELNS1_11target_archE1200ELNS1_3gpuE4ELNS1_3repE0EEENS1_30default_config_static_selectorELNS0_4arch9wavefront6targetE0EEEvT1_ ; -- Begin function _ZN7rocprim17ROCPRIM_400000_NS6detail17trampoline_kernelINS0_14default_configENS1_25partition_config_selectorILNS1_17partition_subalgoE6EN6thrust23THRUST_200600_302600_NS5tupleIddNS7_9null_typeES9_S9_S9_S9_S9_S9_S9_EENS0_10empty_typeEbEEZZNS1_14partition_implILS5_6ELb0ES3_mNS7_12zip_iteratorINS8_INS7_6detail15normal_iteratorINS7_10device_ptrIdEEEESJ_S9_S9_S9_S9_S9_S9_S9_S9_EEEEPSB_SM_NS0_5tupleIJNSE_INS8_ISJ_NS7_16discard_iteratorINS7_11use_defaultEEES9_S9_S9_S9_S9_S9_S9_S9_EEEESB_EEENSN_IJSM_SM_EEESB_PlJNSF_9not_fun_tINSF_14equal_to_valueISA_EEEEEEE10hipError_tPvRmT3_T4_T5_T6_T7_T9_mT8_P12ihipStream_tbDpT10_ENKUlT_T0_E_clISt17integral_constantIbLb1EES1J_EEDaS1E_S1F_EUlS1E_E_NS1_11comp_targetILNS1_3genE10ELNS1_11target_archE1200ELNS1_3gpuE4ELNS1_3repE0EEENS1_30default_config_static_selectorELNS0_4arch9wavefront6targetE0EEEvT1_
	.globl	_ZN7rocprim17ROCPRIM_400000_NS6detail17trampoline_kernelINS0_14default_configENS1_25partition_config_selectorILNS1_17partition_subalgoE6EN6thrust23THRUST_200600_302600_NS5tupleIddNS7_9null_typeES9_S9_S9_S9_S9_S9_S9_EENS0_10empty_typeEbEEZZNS1_14partition_implILS5_6ELb0ES3_mNS7_12zip_iteratorINS8_INS7_6detail15normal_iteratorINS7_10device_ptrIdEEEESJ_S9_S9_S9_S9_S9_S9_S9_S9_EEEEPSB_SM_NS0_5tupleIJNSE_INS8_ISJ_NS7_16discard_iteratorINS7_11use_defaultEEES9_S9_S9_S9_S9_S9_S9_S9_EEEESB_EEENSN_IJSM_SM_EEESB_PlJNSF_9not_fun_tINSF_14equal_to_valueISA_EEEEEEE10hipError_tPvRmT3_T4_T5_T6_T7_T9_mT8_P12ihipStream_tbDpT10_ENKUlT_T0_E_clISt17integral_constantIbLb1EES1J_EEDaS1E_S1F_EUlS1E_E_NS1_11comp_targetILNS1_3genE10ELNS1_11target_archE1200ELNS1_3gpuE4ELNS1_3repE0EEENS1_30default_config_static_selectorELNS0_4arch9wavefront6targetE0EEEvT1_
	.p2align	8
	.type	_ZN7rocprim17ROCPRIM_400000_NS6detail17trampoline_kernelINS0_14default_configENS1_25partition_config_selectorILNS1_17partition_subalgoE6EN6thrust23THRUST_200600_302600_NS5tupleIddNS7_9null_typeES9_S9_S9_S9_S9_S9_S9_EENS0_10empty_typeEbEEZZNS1_14partition_implILS5_6ELb0ES3_mNS7_12zip_iteratorINS8_INS7_6detail15normal_iteratorINS7_10device_ptrIdEEEESJ_S9_S9_S9_S9_S9_S9_S9_S9_EEEEPSB_SM_NS0_5tupleIJNSE_INS8_ISJ_NS7_16discard_iteratorINS7_11use_defaultEEES9_S9_S9_S9_S9_S9_S9_S9_EEEESB_EEENSN_IJSM_SM_EEESB_PlJNSF_9not_fun_tINSF_14equal_to_valueISA_EEEEEEE10hipError_tPvRmT3_T4_T5_T6_T7_T9_mT8_P12ihipStream_tbDpT10_ENKUlT_T0_E_clISt17integral_constantIbLb1EES1J_EEDaS1E_S1F_EUlS1E_E_NS1_11comp_targetILNS1_3genE10ELNS1_11target_archE1200ELNS1_3gpuE4ELNS1_3repE0EEENS1_30default_config_static_selectorELNS0_4arch9wavefront6targetE0EEEvT1_,@function
_ZN7rocprim17ROCPRIM_400000_NS6detail17trampoline_kernelINS0_14default_configENS1_25partition_config_selectorILNS1_17partition_subalgoE6EN6thrust23THRUST_200600_302600_NS5tupleIddNS7_9null_typeES9_S9_S9_S9_S9_S9_S9_EENS0_10empty_typeEbEEZZNS1_14partition_implILS5_6ELb0ES3_mNS7_12zip_iteratorINS8_INS7_6detail15normal_iteratorINS7_10device_ptrIdEEEESJ_S9_S9_S9_S9_S9_S9_S9_S9_EEEEPSB_SM_NS0_5tupleIJNSE_INS8_ISJ_NS7_16discard_iteratorINS7_11use_defaultEEES9_S9_S9_S9_S9_S9_S9_S9_EEEESB_EEENSN_IJSM_SM_EEESB_PlJNSF_9not_fun_tINSF_14equal_to_valueISA_EEEEEEE10hipError_tPvRmT3_T4_T5_T6_T7_T9_mT8_P12ihipStream_tbDpT10_ENKUlT_T0_E_clISt17integral_constantIbLb1EES1J_EEDaS1E_S1F_EUlS1E_E_NS1_11comp_targetILNS1_3genE10ELNS1_11target_archE1200ELNS1_3gpuE4ELNS1_3repE0EEENS1_30default_config_static_selectorELNS0_4arch9wavefront6targetE0EEEvT1_: ; @_ZN7rocprim17ROCPRIM_400000_NS6detail17trampoline_kernelINS0_14default_configENS1_25partition_config_selectorILNS1_17partition_subalgoE6EN6thrust23THRUST_200600_302600_NS5tupleIddNS7_9null_typeES9_S9_S9_S9_S9_S9_S9_EENS0_10empty_typeEbEEZZNS1_14partition_implILS5_6ELb0ES3_mNS7_12zip_iteratorINS8_INS7_6detail15normal_iteratorINS7_10device_ptrIdEEEESJ_S9_S9_S9_S9_S9_S9_S9_S9_EEEEPSB_SM_NS0_5tupleIJNSE_INS8_ISJ_NS7_16discard_iteratorINS7_11use_defaultEEES9_S9_S9_S9_S9_S9_S9_S9_EEEESB_EEENSN_IJSM_SM_EEESB_PlJNSF_9not_fun_tINSF_14equal_to_valueISA_EEEEEEE10hipError_tPvRmT3_T4_T5_T6_T7_T9_mT8_P12ihipStream_tbDpT10_ENKUlT_T0_E_clISt17integral_constantIbLb1EES1J_EEDaS1E_S1F_EUlS1E_E_NS1_11comp_targetILNS1_3genE10ELNS1_11target_archE1200ELNS1_3gpuE4ELNS1_3repE0EEENS1_30default_config_static_selectorELNS0_4arch9wavefront6targetE0EEEvT1_
; %bb.0:
	s_endpgm
	.section	.rodata,"a",@progbits
	.p2align	6, 0x0
	.amdhsa_kernel _ZN7rocprim17ROCPRIM_400000_NS6detail17trampoline_kernelINS0_14default_configENS1_25partition_config_selectorILNS1_17partition_subalgoE6EN6thrust23THRUST_200600_302600_NS5tupleIddNS7_9null_typeES9_S9_S9_S9_S9_S9_S9_EENS0_10empty_typeEbEEZZNS1_14partition_implILS5_6ELb0ES3_mNS7_12zip_iteratorINS8_INS7_6detail15normal_iteratorINS7_10device_ptrIdEEEESJ_S9_S9_S9_S9_S9_S9_S9_S9_EEEEPSB_SM_NS0_5tupleIJNSE_INS8_ISJ_NS7_16discard_iteratorINS7_11use_defaultEEES9_S9_S9_S9_S9_S9_S9_S9_EEEESB_EEENSN_IJSM_SM_EEESB_PlJNSF_9not_fun_tINSF_14equal_to_valueISA_EEEEEEE10hipError_tPvRmT3_T4_T5_T6_T7_T9_mT8_P12ihipStream_tbDpT10_ENKUlT_T0_E_clISt17integral_constantIbLb1EES1J_EEDaS1E_S1F_EUlS1E_E_NS1_11comp_targetILNS1_3genE10ELNS1_11target_archE1200ELNS1_3gpuE4ELNS1_3repE0EEENS1_30default_config_static_selectorELNS0_4arch9wavefront6targetE0EEEvT1_
		.amdhsa_group_segment_fixed_size 0
		.amdhsa_private_segment_fixed_size 0
		.amdhsa_kernarg_size 160
		.amdhsa_user_sgpr_count 2
		.amdhsa_user_sgpr_dispatch_ptr 0
		.amdhsa_user_sgpr_queue_ptr 0
		.amdhsa_user_sgpr_kernarg_segment_ptr 1
		.amdhsa_user_sgpr_dispatch_id 0
		.amdhsa_user_sgpr_private_segment_size 0
		.amdhsa_wavefront_size32 1
		.amdhsa_uses_dynamic_stack 0
		.amdhsa_enable_private_segment 0
		.amdhsa_system_sgpr_workgroup_id_x 1
		.amdhsa_system_sgpr_workgroup_id_y 0
		.amdhsa_system_sgpr_workgroup_id_z 0
		.amdhsa_system_sgpr_workgroup_info 0
		.amdhsa_system_vgpr_workitem_id 0
		.amdhsa_next_free_vgpr 1
		.amdhsa_next_free_sgpr 1
		.amdhsa_reserve_vcc 0
		.amdhsa_float_round_mode_32 0
		.amdhsa_float_round_mode_16_64 0
		.amdhsa_float_denorm_mode_32 3
		.amdhsa_float_denorm_mode_16_64 3
		.amdhsa_fp16_overflow 0
		.amdhsa_workgroup_processor_mode 1
		.amdhsa_memory_ordered 1
		.amdhsa_forward_progress 1
		.amdhsa_inst_pref_size 1
		.amdhsa_round_robin_scheduling 0
		.amdhsa_exception_fp_ieee_invalid_op 0
		.amdhsa_exception_fp_denorm_src 0
		.amdhsa_exception_fp_ieee_div_zero 0
		.amdhsa_exception_fp_ieee_overflow 0
		.amdhsa_exception_fp_ieee_underflow 0
		.amdhsa_exception_fp_ieee_inexact 0
		.amdhsa_exception_int_div_zero 0
	.end_amdhsa_kernel
	.section	.text._ZN7rocprim17ROCPRIM_400000_NS6detail17trampoline_kernelINS0_14default_configENS1_25partition_config_selectorILNS1_17partition_subalgoE6EN6thrust23THRUST_200600_302600_NS5tupleIddNS7_9null_typeES9_S9_S9_S9_S9_S9_S9_EENS0_10empty_typeEbEEZZNS1_14partition_implILS5_6ELb0ES3_mNS7_12zip_iteratorINS8_INS7_6detail15normal_iteratorINS7_10device_ptrIdEEEESJ_S9_S9_S9_S9_S9_S9_S9_S9_EEEEPSB_SM_NS0_5tupleIJNSE_INS8_ISJ_NS7_16discard_iteratorINS7_11use_defaultEEES9_S9_S9_S9_S9_S9_S9_S9_EEEESB_EEENSN_IJSM_SM_EEESB_PlJNSF_9not_fun_tINSF_14equal_to_valueISA_EEEEEEE10hipError_tPvRmT3_T4_T5_T6_T7_T9_mT8_P12ihipStream_tbDpT10_ENKUlT_T0_E_clISt17integral_constantIbLb1EES1J_EEDaS1E_S1F_EUlS1E_E_NS1_11comp_targetILNS1_3genE10ELNS1_11target_archE1200ELNS1_3gpuE4ELNS1_3repE0EEENS1_30default_config_static_selectorELNS0_4arch9wavefront6targetE0EEEvT1_,"axG",@progbits,_ZN7rocprim17ROCPRIM_400000_NS6detail17trampoline_kernelINS0_14default_configENS1_25partition_config_selectorILNS1_17partition_subalgoE6EN6thrust23THRUST_200600_302600_NS5tupleIddNS7_9null_typeES9_S9_S9_S9_S9_S9_S9_EENS0_10empty_typeEbEEZZNS1_14partition_implILS5_6ELb0ES3_mNS7_12zip_iteratorINS8_INS7_6detail15normal_iteratorINS7_10device_ptrIdEEEESJ_S9_S9_S9_S9_S9_S9_S9_S9_EEEEPSB_SM_NS0_5tupleIJNSE_INS8_ISJ_NS7_16discard_iteratorINS7_11use_defaultEEES9_S9_S9_S9_S9_S9_S9_S9_EEEESB_EEENSN_IJSM_SM_EEESB_PlJNSF_9not_fun_tINSF_14equal_to_valueISA_EEEEEEE10hipError_tPvRmT3_T4_T5_T6_T7_T9_mT8_P12ihipStream_tbDpT10_ENKUlT_T0_E_clISt17integral_constantIbLb1EES1J_EEDaS1E_S1F_EUlS1E_E_NS1_11comp_targetILNS1_3genE10ELNS1_11target_archE1200ELNS1_3gpuE4ELNS1_3repE0EEENS1_30default_config_static_selectorELNS0_4arch9wavefront6targetE0EEEvT1_,comdat
.Lfunc_end1834:
	.size	_ZN7rocprim17ROCPRIM_400000_NS6detail17trampoline_kernelINS0_14default_configENS1_25partition_config_selectorILNS1_17partition_subalgoE6EN6thrust23THRUST_200600_302600_NS5tupleIddNS7_9null_typeES9_S9_S9_S9_S9_S9_S9_EENS0_10empty_typeEbEEZZNS1_14partition_implILS5_6ELb0ES3_mNS7_12zip_iteratorINS8_INS7_6detail15normal_iteratorINS7_10device_ptrIdEEEESJ_S9_S9_S9_S9_S9_S9_S9_S9_EEEEPSB_SM_NS0_5tupleIJNSE_INS8_ISJ_NS7_16discard_iteratorINS7_11use_defaultEEES9_S9_S9_S9_S9_S9_S9_S9_EEEESB_EEENSN_IJSM_SM_EEESB_PlJNSF_9not_fun_tINSF_14equal_to_valueISA_EEEEEEE10hipError_tPvRmT3_T4_T5_T6_T7_T9_mT8_P12ihipStream_tbDpT10_ENKUlT_T0_E_clISt17integral_constantIbLb1EES1J_EEDaS1E_S1F_EUlS1E_E_NS1_11comp_targetILNS1_3genE10ELNS1_11target_archE1200ELNS1_3gpuE4ELNS1_3repE0EEENS1_30default_config_static_selectorELNS0_4arch9wavefront6targetE0EEEvT1_, .Lfunc_end1834-_ZN7rocprim17ROCPRIM_400000_NS6detail17trampoline_kernelINS0_14default_configENS1_25partition_config_selectorILNS1_17partition_subalgoE6EN6thrust23THRUST_200600_302600_NS5tupleIddNS7_9null_typeES9_S9_S9_S9_S9_S9_S9_EENS0_10empty_typeEbEEZZNS1_14partition_implILS5_6ELb0ES3_mNS7_12zip_iteratorINS8_INS7_6detail15normal_iteratorINS7_10device_ptrIdEEEESJ_S9_S9_S9_S9_S9_S9_S9_S9_EEEEPSB_SM_NS0_5tupleIJNSE_INS8_ISJ_NS7_16discard_iteratorINS7_11use_defaultEEES9_S9_S9_S9_S9_S9_S9_S9_EEEESB_EEENSN_IJSM_SM_EEESB_PlJNSF_9not_fun_tINSF_14equal_to_valueISA_EEEEEEE10hipError_tPvRmT3_T4_T5_T6_T7_T9_mT8_P12ihipStream_tbDpT10_ENKUlT_T0_E_clISt17integral_constantIbLb1EES1J_EEDaS1E_S1F_EUlS1E_E_NS1_11comp_targetILNS1_3genE10ELNS1_11target_archE1200ELNS1_3gpuE4ELNS1_3repE0EEENS1_30default_config_static_selectorELNS0_4arch9wavefront6targetE0EEEvT1_
                                        ; -- End function
	.set _ZN7rocprim17ROCPRIM_400000_NS6detail17trampoline_kernelINS0_14default_configENS1_25partition_config_selectorILNS1_17partition_subalgoE6EN6thrust23THRUST_200600_302600_NS5tupleIddNS7_9null_typeES9_S9_S9_S9_S9_S9_S9_EENS0_10empty_typeEbEEZZNS1_14partition_implILS5_6ELb0ES3_mNS7_12zip_iteratorINS8_INS7_6detail15normal_iteratorINS7_10device_ptrIdEEEESJ_S9_S9_S9_S9_S9_S9_S9_S9_EEEEPSB_SM_NS0_5tupleIJNSE_INS8_ISJ_NS7_16discard_iteratorINS7_11use_defaultEEES9_S9_S9_S9_S9_S9_S9_S9_EEEESB_EEENSN_IJSM_SM_EEESB_PlJNSF_9not_fun_tINSF_14equal_to_valueISA_EEEEEEE10hipError_tPvRmT3_T4_T5_T6_T7_T9_mT8_P12ihipStream_tbDpT10_ENKUlT_T0_E_clISt17integral_constantIbLb1EES1J_EEDaS1E_S1F_EUlS1E_E_NS1_11comp_targetILNS1_3genE10ELNS1_11target_archE1200ELNS1_3gpuE4ELNS1_3repE0EEENS1_30default_config_static_selectorELNS0_4arch9wavefront6targetE0EEEvT1_.num_vgpr, 0
	.set _ZN7rocprim17ROCPRIM_400000_NS6detail17trampoline_kernelINS0_14default_configENS1_25partition_config_selectorILNS1_17partition_subalgoE6EN6thrust23THRUST_200600_302600_NS5tupleIddNS7_9null_typeES9_S9_S9_S9_S9_S9_S9_EENS0_10empty_typeEbEEZZNS1_14partition_implILS5_6ELb0ES3_mNS7_12zip_iteratorINS8_INS7_6detail15normal_iteratorINS7_10device_ptrIdEEEESJ_S9_S9_S9_S9_S9_S9_S9_S9_EEEEPSB_SM_NS0_5tupleIJNSE_INS8_ISJ_NS7_16discard_iteratorINS7_11use_defaultEEES9_S9_S9_S9_S9_S9_S9_S9_EEEESB_EEENSN_IJSM_SM_EEESB_PlJNSF_9not_fun_tINSF_14equal_to_valueISA_EEEEEEE10hipError_tPvRmT3_T4_T5_T6_T7_T9_mT8_P12ihipStream_tbDpT10_ENKUlT_T0_E_clISt17integral_constantIbLb1EES1J_EEDaS1E_S1F_EUlS1E_E_NS1_11comp_targetILNS1_3genE10ELNS1_11target_archE1200ELNS1_3gpuE4ELNS1_3repE0EEENS1_30default_config_static_selectorELNS0_4arch9wavefront6targetE0EEEvT1_.num_agpr, 0
	.set _ZN7rocprim17ROCPRIM_400000_NS6detail17trampoline_kernelINS0_14default_configENS1_25partition_config_selectorILNS1_17partition_subalgoE6EN6thrust23THRUST_200600_302600_NS5tupleIddNS7_9null_typeES9_S9_S9_S9_S9_S9_S9_EENS0_10empty_typeEbEEZZNS1_14partition_implILS5_6ELb0ES3_mNS7_12zip_iteratorINS8_INS7_6detail15normal_iteratorINS7_10device_ptrIdEEEESJ_S9_S9_S9_S9_S9_S9_S9_S9_EEEEPSB_SM_NS0_5tupleIJNSE_INS8_ISJ_NS7_16discard_iteratorINS7_11use_defaultEEES9_S9_S9_S9_S9_S9_S9_S9_EEEESB_EEENSN_IJSM_SM_EEESB_PlJNSF_9not_fun_tINSF_14equal_to_valueISA_EEEEEEE10hipError_tPvRmT3_T4_T5_T6_T7_T9_mT8_P12ihipStream_tbDpT10_ENKUlT_T0_E_clISt17integral_constantIbLb1EES1J_EEDaS1E_S1F_EUlS1E_E_NS1_11comp_targetILNS1_3genE10ELNS1_11target_archE1200ELNS1_3gpuE4ELNS1_3repE0EEENS1_30default_config_static_selectorELNS0_4arch9wavefront6targetE0EEEvT1_.numbered_sgpr, 0
	.set _ZN7rocprim17ROCPRIM_400000_NS6detail17trampoline_kernelINS0_14default_configENS1_25partition_config_selectorILNS1_17partition_subalgoE6EN6thrust23THRUST_200600_302600_NS5tupleIddNS7_9null_typeES9_S9_S9_S9_S9_S9_S9_EENS0_10empty_typeEbEEZZNS1_14partition_implILS5_6ELb0ES3_mNS7_12zip_iteratorINS8_INS7_6detail15normal_iteratorINS7_10device_ptrIdEEEESJ_S9_S9_S9_S9_S9_S9_S9_S9_EEEEPSB_SM_NS0_5tupleIJNSE_INS8_ISJ_NS7_16discard_iteratorINS7_11use_defaultEEES9_S9_S9_S9_S9_S9_S9_S9_EEEESB_EEENSN_IJSM_SM_EEESB_PlJNSF_9not_fun_tINSF_14equal_to_valueISA_EEEEEEE10hipError_tPvRmT3_T4_T5_T6_T7_T9_mT8_P12ihipStream_tbDpT10_ENKUlT_T0_E_clISt17integral_constantIbLb1EES1J_EEDaS1E_S1F_EUlS1E_E_NS1_11comp_targetILNS1_3genE10ELNS1_11target_archE1200ELNS1_3gpuE4ELNS1_3repE0EEENS1_30default_config_static_selectorELNS0_4arch9wavefront6targetE0EEEvT1_.num_named_barrier, 0
	.set _ZN7rocprim17ROCPRIM_400000_NS6detail17trampoline_kernelINS0_14default_configENS1_25partition_config_selectorILNS1_17partition_subalgoE6EN6thrust23THRUST_200600_302600_NS5tupleIddNS7_9null_typeES9_S9_S9_S9_S9_S9_S9_EENS0_10empty_typeEbEEZZNS1_14partition_implILS5_6ELb0ES3_mNS7_12zip_iteratorINS8_INS7_6detail15normal_iteratorINS7_10device_ptrIdEEEESJ_S9_S9_S9_S9_S9_S9_S9_S9_EEEEPSB_SM_NS0_5tupleIJNSE_INS8_ISJ_NS7_16discard_iteratorINS7_11use_defaultEEES9_S9_S9_S9_S9_S9_S9_S9_EEEESB_EEENSN_IJSM_SM_EEESB_PlJNSF_9not_fun_tINSF_14equal_to_valueISA_EEEEEEE10hipError_tPvRmT3_T4_T5_T6_T7_T9_mT8_P12ihipStream_tbDpT10_ENKUlT_T0_E_clISt17integral_constantIbLb1EES1J_EEDaS1E_S1F_EUlS1E_E_NS1_11comp_targetILNS1_3genE10ELNS1_11target_archE1200ELNS1_3gpuE4ELNS1_3repE0EEENS1_30default_config_static_selectorELNS0_4arch9wavefront6targetE0EEEvT1_.private_seg_size, 0
	.set _ZN7rocprim17ROCPRIM_400000_NS6detail17trampoline_kernelINS0_14default_configENS1_25partition_config_selectorILNS1_17partition_subalgoE6EN6thrust23THRUST_200600_302600_NS5tupleIddNS7_9null_typeES9_S9_S9_S9_S9_S9_S9_EENS0_10empty_typeEbEEZZNS1_14partition_implILS5_6ELb0ES3_mNS7_12zip_iteratorINS8_INS7_6detail15normal_iteratorINS7_10device_ptrIdEEEESJ_S9_S9_S9_S9_S9_S9_S9_S9_EEEEPSB_SM_NS0_5tupleIJNSE_INS8_ISJ_NS7_16discard_iteratorINS7_11use_defaultEEES9_S9_S9_S9_S9_S9_S9_S9_EEEESB_EEENSN_IJSM_SM_EEESB_PlJNSF_9not_fun_tINSF_14equal_to_valueISA_EEEEEEE10hipError_tPvRmT3_T4_T5_T6_T7_T9_mT8_P12ihipStream_tbDpT10_ENKUlT_T0_E_clISt17integral_constantIbLb1EES1J_EEDaS1E_S1F_EUlS1E_E_NS1_11comp_targetILNS1_3genE10ELNS1_11target_archE1200ELNS1_3gpuE4ELNS1_3repE0EEENS1_30default_config_static_selectorELNS0_4arch9wavefront6targetE0EEEvT1_.uses_vcc, 0
	.set _ZN7rocprim17ROCPRIM_400000_NS6detail17trampoline_kernelINS0_14default_configENS1_25partition_config_selectorILNS1_17partition_subalgoE6EN6thrust23THRUST_200600_302600_NS5tupleIddNS7_9null_typeES9_S9_S9_S9_S9_S9_S9_EENS0_10empty_typeEbEEZZNS1_14partition_implILS5_6ELb0ES3_mNS7_12zip_iteratorINS8_INS7_6detail15normal_iteratorINS7_10device_ptrIdEEEESJ_S9_S9_S9_S9_S9_S9_S9_S9_EEEEPSB_SM_NS0_5tupleIJNSE_INS8_ISJ_NS7_16discard_iteratorINS7_11use_defaultEEES9_S9_S9_S9_S9_S9_S9_S9_EEEESB_EEENSN_IJSM_SM_EEESB_PlJNSF_9not_fun_tINSF_14equal_to_valueISA_EEEEEEE10hipError_tPvRmT3_T4_T5_T6_T7_T9_mT8_P12ihipStream_tbDpT10_ENKUlT_T0_E_clISt17integral_constantIbLb1EES1J_EEDaS1E_S1F_EUlS1E_E_NS1_11comp_targetILNS1_3genE10ELNS1_11target_archE1200ELNS1_3gpuE4ELNS1_3repE0EEENS1_30default_config_static_selectorELNS0_4arch9wavefront6targetE0EEEvT1_.uses_flat_scratch, 0
	.set _ZN7rocprim17ROCPRIM_400000_NS6detail17trampoline_kernelINS0_14default_configENS1_25partition_config_selectorILNS1_17partition_subalgoE6EN6thrust23THRUST_200600_302600_NS5tupleIddNS7_9null_typeES9_S9_S9_S9_S9_S9_S9_EENS0_10empty_typeEbEEZZNS1_14partition_implILS5_6ELb0ES3_mNS7_12zip_iteratorINS8_INS7_6detail15normal_iteratorINS7_10device_ptrIdEEEESJ_S9_S9_S9_S9_S9_S9_S9_S9_EEEEPSB_SM_NS0_5tupleIJNSE_INS8_ISJ_NS7_16discard_iteratorINS7_11use_defaultEEES9_S9_S9_S9_S9_S9_S9_S9_EEEESB_EEENSN_IJSM_SM_EEESB_PlJNSF_9not_fun_tINSF_14equal_to_valueISA_EEEEEEE10hipError_tPvRmT3_T4_T5_T6_T7_T9_mT8_P12ihipStream_tbDpT10_ENKUlT_T0_E_clISt17integral_constantIbLb1EES1J_EEDaS1E_S1F_EUlS1E_E_NS1_11comp_targetILNS1_3genE10ELNS1_11target_archE1200ELNS1_3gpuE4ELNS1_3repE0EEENS1_30default_config_static_selectorELNS0_4arch9wavefront6targetE0EEEvT1_.has_dyn_sized_stack, 0
	.set _ZN7rocprim17ROCPRIM_400000_NS6detail17trampoline_kernelINS0_14default_configENS1_25partition_config_selectorILNS1_17partition_subalgoE6EN6thrust23THRUST_200600_302600_NS5tupleIddNS7_9null_typeES9_S9_S9_S9_S9_S9_S9_EENS0_10empty_typeEbEEZZNS1_14partition_implILS5_6ELb0ES3_mNS7_12zip_iteratorINS8_INS7_6detail15normal_iteratorINS7_10device_ptrIdEEEESJ_S9_S9_S9_S9_S9_S9_S9_S9_EEEEPSB_SM_NS0_5tupleIJNSE_INS8_ISJ_NS7_16discard_iteratorINS7_11use_defaultEEES9_S9_S9_S9_S9_S9_S9_S9_EEEESB_EEENSN_IJSM_SM_EEESB_PlJNSF_9not_fun_tINSF_14equal_to_valueISA_EEEEEEE10hipError_tPvRmT3_T4_T5_T6_T7_T9_mT8_P12ihipStream_tbDpT10_ENKUlT_T0_E_clISt17integral_constantIbLb1EES1J_EEDaS1E_S1F_EUlS1E_E_NS1_11comp_targetILNS1_3genE10ELNS1_11target_archE1200ELNS1_3gpuE4ELNS1_3repE0EEENS1_30default_config_static_selectorELNS0_4arch9wavefront6targetE0EEEvT1_.has_recursion, 0
	.set _ZN7rocprim17ROCPRIM_400000_NS6detail17trampoline_kernelINS0_14default_configENS1_25partition_config_selectorILNS1_17partition_subalgoE6EN6thrust23THRUST_200600_302600_NS5tupleIddNS7_9null_typeES9_S9_S9_S9_S9_S9_S9_EENS0_10empty_typeEbEEZZNS1_14partition_implILS5_6ELb0ES3_mNS7_12zip_iteratorINS8_INS7_6detail15normal_iteratorINS7_10device_ptrIdEEEESJ_S9_S9_S9_S9_S9_S9_S9_S9_EEEEPSB_SM_NS0_5tupleIJNSE_INS8_ISJ_NS7_16discard_iteratorINS7_11use_defaultEEES9_S9_S9_S9_S9_S9_S9_S9_EEEESB_EEENSN_IJSM_SM_EEESB_PlJNSF_9not_fun_tINSF_14equal_to_valueISA_EEEEEEE10hipError_tPvRmT3_T4_T5_T6_T7_T9_mT8_P12ihipStream_tbDpT10_ENKUlT_T0_E_clISt17integral_constantIbLb1EES1J_EEDaS1E_S1F_EUlS1E_E_NS1_11comp_targetILNS1_3genE10ELNS1_11target_archE1200ELNS1_3gpuE4ELNS1_3repE0EEENS1_30default_config_static_selectorELNS0_4arch9wavefront6targetE0EEEvT1_.has_indirect_call, 0
	.section	.AMDGPU.csdata,"",@progbits
; Kernel info:
; codeLenInByte = 4
; TotalNumSgprs: 0
; NumVgprs: 0
; ScratchSize: 0
; MemoryBound: 0
; FloatMode: 240
; IeeeMode: 1
; LDSByteSize: 0 bytes/workgroup (compile time only)
; SGPRBlocks: 0
; VGPRBlocks: 0
; NumSGPRsForWavesPerEU: 1
; NumVGPRsForWavesPerEU: 1
; Occupancy: 16
; WaveLimiterHint : 0
; COMPUTE_PGM_RSRC2:SCRATCH_EN: 0
; COMPUTE_PGM_RSRC2:USER_SGPR: 2
; COMPUTE_PGM_RSRC2:TRAP_HANDLER: 0
; COMPUTE_PGM_RSRC2:TGID_X_EN: 1
; COMPUTE_PGM_RSRC2:TGID_Y_EN: 0
; COMPUTE_PGM_RSRC2:TGID_Z_EN: 0
; COMPUTE_PGM_RSRC2:TIDIG_COMP_CNT: 0
	.section	.text._ZN7rocprim17ROCPRIM_400000_NS6detail17trampoline_kernelINS0_14default_configENS1_25partition_config_selectorILNS1_17partition_subalgoE6EN6thrust23THRUST_200600_302600_NS5tupleIddNS7_9null_typeES9_S9_S9_S9_S9_S9_S9_EENS0_10empty_typeEbEEZZNS1_14partition_implILS5_6ELb0ES3_mNS7_12zip_iteratorINS8_INS7_6detail15normal_iteratorINS7_10device_ptrIdEEEESJ_S9_S9_S9_S9_S9_S9_S9_S9_EEEEPSB_SM_NS0_5tupleIJNSE_INS8_ISJ_NS7_16discard_iteratorINS7_11use_defaultEEES9_S9_S9_S9_S9_S9_S9_S9_EEEESB_EEENSN_IJSM_SM_EEESB_PlJNSF_9not_fun_tINSF_14equal_to_valueISA_EEEEEEE10hipError_tPvRmT3_T4_T5_T6_T7_T9_mT8_P12ihipStream_tbDpT10_ENKUlT_T0_E_clISt17integral_constantIbLb1EES1J_EEDaS1E_S1F_EUlS1E_E_NS1_11comp_targetILNS1_3genE9ELNS1_11target_archE1100ELNS1_3gpuE3ELNS1_3repE0EEENS1_30default_config_static_selectorELNS0_4arch9wavefront6targetE0EEEvT1_,"axG",@progbits,_ZN7rocprim17ROCPRIM_400000_NS6detail17trampoline_kernelINS0_14default_configENS1_25partition_config_selectorILNS1_17partition_subalgoE6EN6thrust23THRUST_200600_302600_NS5tupleIddNS7_9null_typeES9_S9_S9_S9_S9_S9_S9_EENS0_10empty_typeEbEEZZNS1_14partition_implILS5_6ELb0ES3_mNS7_12zip_iteratorINS8_INS7_6detail15normal_iteratorINS7_10device_ptrIdEEEESJ_S9_S9_S9_S9_S9_S9_S9_S9_EEEEPSB_SM_NS0_5tupleIJNSE_INS8_ISJ_NS7_16discard_iteratorINS7_11use_defaultEEES9_S9_S9_S9_S9_S9_S9_S9_EEEESB_EEENSN_IJSM_SM_EEESB_PlJNSF_9not_fun_tINSF_14equal_to_valueISA_EEEEEEE10hipError_tPvRmT3_T4_T5_T6_T7_T9_mT8_P12ihipStream_tbDpT10_ENKUlT_T0_E_clISt17integral_constantIbLb1EES1J_EEDaS1E_S1F_EUlS1E_E_NS1_11comp_targetILNS1_3genE9ELNS1_11target_archE1100ELNS1_3gpuE3ELNS1_3repE0EEENS1_30default_config_static_selectorELNS0_4arch9wavefront6targetE0EEEvT1_,comdat
	.protected	_ZN7rocprim17ROCPRIM_400000_NS6detail17trampoline_kernelINS0_14default_configENS1_25partition_config_selectorILNS1_17partition_subalgoE6EN6thrust23THRUST_200600_302600_NS5tupleIddNS7_9null_typeES9_S9_S9_S9_S9_S9_S9_EENS0_10empty_typeEbEEZZNS1_14partition_implILS5_6ELb0ES3_mNS7_12zip_iteratorINS8_INS7_6detail15normal_iteratorINS7_10device_ptrIdEEEESJ_S9_S9_S9_S9_S9_S9_S9_S9_EEEEPSB_SM_NS0_5tupleIJNSE_INS8_ISJ_NS7_16discard_iteratorINS7_11use_defaultEEES9_S9_S9_S9_S9_S9_S9_S9_EEEESB_EEENSN_IJSM_SM_EEESB_PlJNSF_9not_fun_tINSF_14equal_to_valueISA_EEEEEEE10hipError_tPvRmT3_T4_T5_T6_T7_T9_mT8_P12ihipStream_tbDpT10_ENKUlT_T0_E_clISt17integral_constantIbLb1EES1J_EEDaS1E_S1F_EUlS1E_E_NS1_11comp_targetILNS1_3genE9ELNS1_11target_archE1100ELNS1_3gpuE3ELNS1_3repE0EEENS1_30default_config_static_selectorELNS0_4arch9wavefront6targetE0EEEvT1_ ; -- Begin function _ZN7rocprim17ROCPRIM_400000_NS6detail17trampoline_kernelINS0_14default_configENS1_25partition_config_selectorILNS1_17partition_subalgoE6EN6thrust23THRUST_200600_302600_NS5tupleIddNS7_9null_typeES9_S9_S9_S9_S9_S9_S9_EENS0_10empty_typeEbEEZZNS1_14partition_implILS5_6ELb0ES3_mNS7_12zip_iteratorINS8_INS7_6detail15normal_iteratorINS7_10device_ptrIdEEEESJ_S9_S9_S9_S9_S9_S9_S9_S9_EEEEPSB_SM_NS0_5tupleIJNSE_INS8_ISJ_NS7_16discard_iteratorINS7_11use_defaultEEES9_S9_S9_S9_S9_S9_S9_S9_EEEESB_EEENSN_IJSM_SM_EEESB_PlJNSF_9not_fun_tINSF_14equal_to_valueISA_EEEEEEE10hipError_tPvRmT3_T4_T5_T6_T7_T9_mT8_P12ihipStream_tbDpT10_ENKUlT_T0_E_clISt17integral_constantIbLb1EES1J_EEDaS1E_S1F_EUlS1E_E_NS1_11comp_targetILNS1_3genE9ELNS1_11target_archE1100ELNS1_3gpuE3ELNS1_3repE0EEENS1_30default_config_static_selectorELNS0_4arch9wavefront6targetE0EEEvT1_
	.globl	_ZN7rocprim17ROCPRIM_400000_NS6detail17trampoline_kernelINS0_14default_configENS1_25partition_config_selectorILNS1_17partition_subalgoE6EN6thrust23THRUST_200600_302600_NS5tupleIddNS7_9null_typeES9_S9_S9_S9_S9_S9_S9_EENS0_10empty_typeEbEEZZNS1_14partition_implILS5_6ELb0ES3_mNS7_12zip_iteratorINS8_INS7_6detail15normal_iteratorINS7_10device_ptrIdEEEESJ_S9_S9_S9_S9_S9_S9_S9_S9_EEEEPSB_SM_NS0_5tupleIJNSE_INS8_ISJ_NS7_16discard_iteratorINS7_11use_defaultEEES9_S9_S9_S9_S9_S9_S9_S9_EEEESB_EEENSN_IJSM_SM_EEESB_PlJNSF_9not_fun_tINSF_14equal_to_valueISA_EEEEEEE10hipError_tPvRmT3_T4_T5_T6_T7_T9_mT8_P12ihipStream_tbDpT10_ENKUlT_T0_E_clISt17integral_constantIbLb1EES1J_EEDaS1E_S1F_EUlS1E_E_NS1_11comp_targetILNS1_3genE9ELNS1_11target_archE1100ELNS1_3gpuE3ELNS1_3repE0EEENS1_30default_config_static_selectorELNS0_4arch9wavefront6targetE0EEEvT1_
	.p2align	8
	.type	_ZN7rocprim17ROCPRIM_400000_NS6detail17trampoline_kernelINS0_14default_configENS1_25partition_config_selectorILNS1_17partition_subalgoE6EN6thrust23THRUST_200600_302600_NS5tupleIddNS7_9null_typeES9_S9_S9_S9_S9_S9_S9_EENS0_10empty_typeEbEEZZNS1_14partition_implILS5_6ELb0ES3_mNS7_12zip_iteratorINS8_INS7_6detail15normal_iteratorINS7_10device_ptrIdEEEESJ_S9_S9_S9_S9_S9_S9_S9_S9_EEEEPSB_SM_NS0_5tupleIJNSE_INS8_ISJ_NS7_16discard_iteratorINS7_11use_defaultEEES9_S9_S9_S9_S9_S9_S9_S9_EEEESB_EEENSN_IJSM_SM_EEESB_PlJNSF_9not_fun_tINSF_14equal_to_valueISA_EEEEEEE10hipError_tPvRmT3_T4_T5_T6_T7_T9_mT8_P12ihipStream_tbDpT10_ENKUlT_T0_E_clISt17integral_constantIbLb1EES1J_EEDaS1E_S1F_EUlS1E_E_NS1_11comp_targetILNS1_3genE9ELNS1_11target_archE1100ELNS1_3gpuE3ELNS1_3repE0EEENS1_30default_config_static_selectorELNS0_4arch9wavefront6targetE0EEEvT1_,@function
_ZN7rocprim17ROCPRIM_400000_NS6detail17trampoline_kernelINS0_14default_configENS1_25partition_config_selectorILNS1_17partition_subalgoE6EN6thrust23THRUST_200600_302600_NS5tupleIddNS7_9null_typeES9_S9_S9_S9_S9_S9_S9_EENS0_10empty_typeEbEEZZNS1_14partition_implILS5_6ELb0ES3_mNS7_12zip_iteratorINS8_INS7_6detail15normal_iteratorINS7_10device_ptrIdEEEESJ_S9_S9_S9_S9_S9_S9_S9_S9_EEEEPSB_SM_NS0_5tupleIJNSE_INS8_ISJ_NS7_16discard_iteratorINS7_11use_defaultEEES9_S9_S9_S9_S9_S9_S9_S9_EEEESB_EEENSN_IJSM_SM_EEESB_PlJNSF_9not_fun_tINSF_14equal_to_valueISA_EEEEEEE10hipError_tPvRmT3_T4_T5_T6_T7_T9_mT8_P12ihipStream_tbDpT10_ENKUlT_T0_E_clISt17integral_constantIbLb1EES1J_EEDaS1E_S1F_EUlS1E_E_NS1_11comp_targetILNS1_3genE9ELNS1_11target_archE1100ELNS1_3gpuE3ELNS1_3repE0EEENS1_30default_config_static_selectorELNS0_4arch9wavefront6targetE0EEEvT1_: ; @_ZN7rocprim17ROCPRIM_400000_NS6detail17trampoline_kernelINS0_14default_configENS1_25partition_config_selectorILNS1_17partition_subalgoE6EN6thrust23THRUST_200600_302600_NS5tupleIddNS7_9null_typeES9_S9_S9_S9_S9_S9_S9_EENS0_10empty_typeEbEEZZNS1_14partition_implILS5_6ELb0ES3_mNS7_12zip_iteratorINS8_INS7_6detail15normal_iteratorINS7_10device_ptrIdEEEESJ_S9_S9_S9_S9_S9_S9_S9_S9_EEEEPSB_SM_NS0_5tupleIJNSE_INS8_ISJ_NS7_16discard_iteratorINS7_11use_defaultEEES9_S9_S9_S9_S9_S9_S9_S9_EEEESB_EEENSN_IJSM_SM_EEESB_PlJNSF_9not_fun_tINSF_14equal_to_valueISA_EEEEEEE10hipError_tPvRmT3_T4_T5_T6_T7_T9_mT8_P12ihipStream_tbDpT10_ENKUlT_T0_E_clISt17integral_constantIbLb1EES1J_EEDaS1E_S1F_EUlS1E_E_NS1_11comp_targetILNS1_3genE9ELNS1_11target_archE1100ELNS1_3gpuE3ELNS1_3repE0EEENS1_30default_config_static_selectorELNS0_4arch9wavefront6targetE0EEEvT1_
; %bb.0:
	.section	.rodata,"a",@progbits
	.p2align	6, 0x0
	.amdhsa_kernel _ZN7rocprim17ROCPRIM_400000_NS6detail17trampoline_kernelINS0_14default_configENS1_25partition_config_selectorILNS1_17partition_subalgoE6EN6thrust23THRUST_200600_302600_NS5tupleIddNS7_9null_typeES9_S9_S9_S9_S9_S9_S9_EENS0_10empty_typeEbEEZZNS1_14partition_implILS5_6ELb0ES3_mNS7_12zip_iteratorINS8_INS7_6detail15normal_iteratorINS7_10device_ptrIdEEEESJ_S9_S9_S9_S9_S9_S9_S9_S9_EEEEPSB_SM_NS0_5tupleIJNSE_INS8_ISJ_NS7_16discard_iteratorINS7_11use_defaultEEES9_S9_S9_S9_S9_S9_S9_S9_EEEESB_EEENSN_IJSM_SM_EEESB_PlJNSF_9not_fun_tINSF_14equal_to_valueISA_EEEEEEE10hipError_tPvRmT3_T4_T5_T6_T7_T9_mT8_P12ihipStream_tbDpT10_ENKUlT_T0_E_clISt17integral_constantIbLb1EES1J_EEDaS1E_S1F_EUlS1E_E_NS1_11comp_targetILNS1_3genE9ELNS1_11target_archE1100ELNS1_3gpuE3ELNS1_3repE0EEENS1_30default_config_static_selectorELNS0_4arch9wavefront6targetE0EEEvT1_
		.amdhsa_group_segment_fixed_size 0
		.amdhsa_private_segment_fixed_size 0
		.amdhsa_kernarg_size 160
		.amdhsa_user_sgpr_count 2
		.amdhsa_user_sgpr_dispatch_ptr 0
		.amdhsa_user_sgpr_queue_ptr 0
		.amdhsa_user_sgpr_kernarg_segment_ptr 1
		.amdhsa_user_sgpr_dispatch_id 0
		.amdhsa_user_sgpr_private_segment_size 0
		.amdhsa_wavefront_size32 1
		.amdhsa_uses_dynamic_stack 0
		.amdhsa_enable_private_segment 0
		.amdhsa_system_sgpr_workgroup_id_x 1
		.amdhsa_system_sgpr_workgroup_id_y 0
		.amdhsa_system_sgpr_workgroup_id_z 0
		.amdhsa_system_sgpr_workgroup_info 0
		.amdhsa_system_vgpr_workitem_id 0
		.amdhsa_next_free_vgpr 1
		.amdhsa_next_free_sgpr 1
		.amdhsa_reserve_vcc 0
		.amdhsa_float_round_mode_32 0
		.amdhsa_float_round_mode_16_64 0
		.amdhsa_float_denorm_mode_32 3
		.amdhsa_float_denorm_mode_16_64 3
		.amdhsa_fp16_overflow 0
		.amdhsa_workgroup_processor_mode 1
		.amdhsa_memory_ordered 1
		.amdhsa_forward_progress 1
		.amdhsa_inst_pref_size 0
		.amdhsa_round_robin_scheduling 0
		.amdhsa_exception_fp_ieee_invalid_op 0
		.amdhsa_exception_fp_denorm_src 0
		.amdhsa_exception_fp_ieee_div_zero 0
		.amdhsa_exception_fp_ieee_overflow 0
		.amdhsa_exception_fp_ieee_underflow 0
		.amdhsa_exception_fp_ieee_inexact 0
		.amdhsa_exception_int_div_zero 0
	.end_amdhsa_kernel
	.section	.text._ZN7rocprim17ROCPRIM_400000_NS6detail17trampoline_kernelINS0_14default_configENS1_25partition_config_selectorILNS1_17partition_subalgoE6EN6thrust23THRUST_200600_302600_NS5tupleIddNS7_9null_typeES9_S9_S9_S9_S9_S9_S9_EENS0_10empty_typeEbEEZZNS1_14partition_implILS5_6ELb0ES3_mNS7_12zip_iteratorINS8_INS7_6detail15normal_iteratorINS7_10device_ptrIdEEEESJ_S9_S9_S9_S9_S9_S9_S9_S9_EEEEPSB_SM_NS0_5tupleIJNSE_INS8_ISJ_NS7_16discard_iteratorINS7_11use_defaultEEES9_S9_S9_S9_S9_S9_S9_S9_EEEESB_EEENSN_IJSM_SM_EEESB_PlJNSF_9not_fun_tINSF_14equal_to_valueISA_EEEEEEE10hipError_tPvRmT3_T4_T5_T6_T7_T9_mT8_P12ihipStream_tbDpT10_ENKUlT_T0_E_clISt17integral_constantIbLb1EES1J_EEDaS1E_S1F_EUlS1E_E_NS1_11comp_targetILNS1_3genE9ELNS1_11target_archE1100ELNS1_3gpuE3ELNS1_3repE0EEENS1_30default_config_static_selectorELNS0_4arch9wavefront6targetE0EEEvT1_,"axG",@progbits,_ZN7rocprim17ROCPRIM_400000_NS6detail17trampoline_kernelINS0_14default_configENS1_25partition_config_selectorILNS1_17partition_subalgoE6EN6thrust23THRUST_200600_302600_NS5tupleIddNS7_9null_typeES9_S9_S9_S9_S9_S9_S9_EENS0_10empty_typeEbEEZZNS1_14partition_implILS5_6ELb0ES3_mNS7_12zip_iteratorINS8_INS7_6detail15normal_iteratorINS7_10device_ptrIdEEEESJ_S9_S9_S9_S9_S9_S9_S9_S9_EEEEPSB_SM_NS0_5tupleIJNSE_INS8_ISJ_NS7_16discard_iteratorINS7_11use_defaultEEES9_S9_S9_S9_S9_S9_S9_S9_EEEESB_EEENSN_IJSM_SM_EEESB_PlJNSF_9not_fun_tINSF_14equal_to_valueISA_EEEEEEE10hipError_tPvRmT3_T4_T5_T6_T7_T9_mT8_P12ihipStream_tbDpT10_ENKUlT_T0_E_clISt17integral_constantIbLb1EES1J_EEDaS1E_S1F_EUlS1E_E_NS1_11comp_targetILNS1_3genE9ELNS1_11target_archE1100ELNS1_3gpuE3ELNS1_3repE0EEENS1_30default_config_static_selectorELNS0_4arch9wavefront6targetE0EEEvT1_,comdat
.Lfunc_end1835:
	.size	_ZN7rocprim17ROCPRIM_400000_NS6detail17trampoline_kernelINS0_14default_configENS1_25partition_config_selectorILNS1_17partition_subalgoE6EN6thrust23THRUST_200600_302600_NS5tupleIddNS7_9null_typeES9_S9_S9_S9_S9_S9_S9_EENS0_10empty_typeEbEEZZNS1_14partition_implILS5_6ELb0ES3_mNS7_12zip_iteratorINS8_INS7_6detail15normal_iteratorINS7_10device_ptrIdEEEESJ_S9_S9_S9_S9_S9_S9_S9_S9_EEEEPSB_SM_NS0_5tupleIJNSE_INS8_ISJ_NS7_16discard_iteratorINS7_11use_defaultEEES9_S9_S9_S9_S9_S9_S9_S9_EEEESB_EEENSN_IJSM_SM_EEESB_PlJNSF_9not_fun_tINSF_14equal_to_valueISA_EEEEEEE10hipError_tPvRmT3_T4_T5_T6_T7_T9_mT8_P12ihipStream_tbDpT10_ENKUlT_T0_E_clISt17integral_constantIbLb1EES1J_EEDaS1E_S1F_EUlS1E_E_NS1_11comp_targetILNS1_3genE9ELNS1_11target_archE1100ELNS1_3gpuE3ELNS1_3repE0EEENS1_30default_config_static_selectorELNS0_4arch9wavefront6targetE0EEEvT1_, .Lfunc_end1835-_ZN7rocprim17ROCPRIM_400000_NS6detail17trampoline_kernelINS0_14default_configENS1_25partition_config_selectorILNS1_17partition_subalgoE6EN6thrust23THRUST_200600_302600_NS5tupleIddNS7_9null_typeES9_S9_S9_S9_S9_S9_S9_EENS0_10empty_typeEbEEZZNS1_14partition_implILS5_6ELb0ES3_mNS7_12zip_iteratorINS8_INS7_6detail15normal_iteratorINS7_10device_ptrIdEEEESJ_S9_S9_S9_S9_S9_S9_S9_S9_EEEEPSB_SM_NS0_5tupleIJNSE_INS8_ISJ_NS7_16discard_iteratorINS7_11use_defaultEEES9_S9_S9_S9_S9_S9_S9_S9_EEEESB_EEENSN_IJSM_SM_EEESB_PlJNSF_9not_fun_tINSF_14equal_to_valueISA_EEEEEEE10hipError_tPvRmT3_T4_T5_T6_T7_T9_mT8_P12ihipStream_tbDpT10_ENKUlT_T0_E_clISt17integral_constantIbLb1EES1J_EEDaS1E_S1F_EUlS1E_E_NS1_11comp_targetILNS1_3genE9ELNS1_11target_archE1100ELNS1_3gpuE3ELNS1_3repE0EEENS1_30default_config_static_selectorELNS0_4arch9wavefront6targetE0EEEvT1_
                                        ; -- End function
	.set _ZN7rocprim17ROCPRIM_400000_NS6detail17trampoline_kernelINS0_14default_configENS1_25partition_config_selectorILNS1_17partition_subalgoE6EN6thrust23THRUST_200600_302600_NS5tupleIddNS7_9null_typeES9_S9_S9_S9_S9_S9_S9_EENS0_10empty_typeEbEEZZNS1_14partition_implILS5_6ELb0ES3_mNS7_12zip_iteratorINS8_INS7_6detail15normal_iteratorINS7_10device_ptrIdEEEESJ_S9_S9_S9_S9_S9_S9_S9_S9_EEEEPSB_SM_NS0_5tupleIJNSE_INS8_ISJ_NS7_16discard_iteratorINS7_11use_defaultEEES9_S9_S9_S9_S9_S9_S9_S9_EEEESB_EEENSN_IJSM_SM_EEESB_PlJNSF_9not_fun_tINSF_14equal_to_valueISA_EEEEEEE10hipError_tPvRmT3_T4_T5_T6_T7_T9_mT8_P12ihipStream_tbDpT10_ENKUlT_T0_E_clISt17integral_constantIbLb1EES1J_EEDaS1E_S1F_EUlS1E_E_NS1_11comp_targetILNS1_3genE9ELNS1_11target_archE1100ELNS1_3gpuE3ELNS1_3repE0EEENS1_30default_config_static_selectorELNS0_4arch9wavefront6targetE0EEEvT1_.num_vgpr, 0
	.set _ZN7rocprim17ROCPRIM_400000_NS6detail17trampoline_kernelINS0_14default_configENS1_25partition_config_selectorILNS1_17partition_subalgoE6EN6thrust23THRUST_200600_302600_NS5tupleIddNS7_9null_typeES9_S9_S9_S9_S9_S9_S9_EENS0_10empty_typeEbEEZZNS1_14partition_implILS5_6ELb0ES3_mNS7_12zip_iteratorINS8_INS7_6detail15normal_iteratorINS7_10device_ptrIdEEEESJ_S9_S9_S9_S9_S9_S9_S9_S9_EEEEPSB_SM_NS0_5tupleIJNSE_INS8_ISJ_NS7_16discard_iteratorINS7_11use_defaultEEES9_S9_S9_S9_S9_S9_S9_S9_EEEESB_EEENSN_IJSM_SM_EEESB_PlJNSF_9not_fun_tINSF_14equal_to_valueISA_EEEEEEE10hipError_tPvRmT3_T4_T5_T6_T7_T9_mT8_P12ihipStream_tbDpT10_ENKUlT_T0_E_clISt17integral_constantIbLb1EES1J_EEDaS1E_S1F_EUlS1E_E_NS1_11comp_targetILNS1_3genE9ELNS1_11target_archE1100ELNS1_3gpuE3ELNS1_3repE0EEENS1_30default_config_static_selectorELNS0_4arch9wavefront6targetE0EEEvT1_.num_agpr, 0
	.set _ZN7rocprim17ROCPRIM_400000_NS6detail17trampoline_kernelINS0_14default_configENS1_25partition_config_selectorILNS1_17partition_subalgoE6EN6thrust23THRUST_200600_302600_NS5tupleIddNS7_9null_typeES9_S9_S9_S9_S9_S9_S9_EENS0_10empty_typeEbEEZZNS1_14partition_implILS5_6ELb0ES3_mNS7_12zip_iteratorINS8_INS7_6detail15normal_iteratorINS7_10device_ptrIdEEEESJ_S9_S9_S9_S9_S9_S9_S9_S9_EEEEPSB_SM_NS0_5tupleIJNSE_INS8_ISJ_NS7_16discard_iteratorINS7_11use_defaultEEES9_S9_S9_S9_S9_S9_S9_S9_EEEESB_EEENSN_IJSM_SM_EEESB_PlJNSF_9not_fun_tINSF_14equal_to_valueISA_EEEEEEE10hipError_tPvRmT3_T4_T5_T6_T7_T9_mT8_P12ihipStream_tbDpT10_ENKUlT_T0_E_clISt17integral_constantIbLb1EES1J_EEDaS1E_S1F_EUlS1E_E_NS1_11comp_targetILNS1_3genE9ELNS1_11target_archE1100ELNS1_3gpuE3ELNS1_3repE0EEENS1_30default_config_static_selectorELNS0_4arch9wavefront6targetE0EEEvT1_.numbered_sgpr, 0
	.set _ZN7rocprim17ROCPRIM_400000_NS6detail17trampoline_kernelINS0_14default_configENS1_25partition_config_selectorILNS1_17partition_subalgoE6EN6thrust23THRUST_200600_302600_NS5tupleIddNS7_9null_typeES9_S9_S9_S9_S9_S9_S9_EENS0_10empty_typeEbEEZZNS1_14partition_implILS5_6ELb0ES3_mNS7_12zip_iteratorINS8_INS7_6detail15normal_iteratorINS7_10device_ptrIdEEEESJ_S9_S9_S9_S9_S9_S9_S9_S9_EEEEPSB_SM_NS0_5tupleIJNSE_INS8_ISJ_NS7_16discard_iteratorINS7_11use_defaultEEES9_S9_S9_S9_S9_S9_S9_S9_EEEESB_EEENSN_IJSM_SM_EEESB_PlJNSF_9not_fun_tINSF_14equal_to_valueISA_EEEEEEE10hipError_tPvRmT3_T4_T5_T6_T7_T9_mT8_P12ihipStream_tbDpT10_ENKUlT_T0_E_clISt17integral_constantIbLb1EES1J_EEDaS1E_S1F_EUlS1E_E_NS1_11comp_targetILNS1_3genE9ELNS1_11target_archE1100ELNS1_3gpuE3ELNS1_3repE0EEENS1_30default_config_static_selectorELNS0_4arch9wavefront6targetE0EEEvT1_.num_named_barrier, 0
	.set _ZN7rocprim17ROCPRIM_400000_NS6detail17trampoline_kernelINS0_14default_configENS1_25partition_config_selectorILNS1_17partition_subalgoE6EN6thrust23THRUST_200600_302600_NS5tupleIddNS7_9null_typeES9_S9_S9_S9_S9_S9_S9_EENS0_10empty_typeEbEEZZNS1_14partition_implILS5_6ELb0ES3_mNS7_12zip_iteratorINS8_INS7_6detail15normal_iteratorINS7_10device_ptrIdEEEESJ_S9_S9_S9_S9_S9_S9_S9_S9_EEEEPSB_SM_NS0_5tupleIJNSE_INS8_ISJ_NS7_16discard_iteratorINS7_11use_defaultEEES9_S9_S9_S9_S9_S9_S9_S9_EEEESB_EEENSN_IJSM_SM_EEESB_PlJNSF_9not_fun_tINSF_14equal_to_valueISA_EEEEEEE10hipError_tPvRmT3_T4_T5_T6_T7_T9_mT8_P12ihipStream_tbDpT10_ENKUlT_T0_E_clISt17integral_constantIbLb1EES1J_EEDaS1E_S1F_EUlS1E_E_NS1_11comp_targetILNS1_3genE9ELNS1_11target_archE1100ELNS1_3gpuE3ELNS1_3repE0EEENS1_30default_config_static_selectorELNS0_4arch9wavefront6targetE0EEEvT1_.private_seg_size, 0
	.set _ZN7rocprim17ROCPRIM_400000_NS6detail17trampoline_kernelINS0_14default_configENS1_25partition_config_selectorILNS1_17partition_subalgoE6EN6thrust23THRUST_200600_302600_NS5tupleIddNS7_9null_typeES9_S9_S9_S9_S9_S9_S9_EENS0_10empty_typeEbEEZZNS1_14partition_implILS5_6ELb0ES3_mNS7_12zip_iteratorINS8_INS7_6detail15normal_iteratorINS7_10device_ptrIdEEEESJ_S9_S9_S9_S9_S9_S9_S9_S9_EEEEPSB_SM_NS0_5tupleIJNSE_INS8_ISJ_NS7_16discard_iteratorINS7_11use_defaultEEES9_S9_S9_S9_S9_S9_S9_S9_EEEESB_EEENSN_IJSM_SM_EEESB_PlJNSF_9not_fun_tINSF_14equal_to_valueISA_EEEEEEE10hipError_tPvRmT3_T4_T5_T6_T7_T9_mT8_P12ihipStream_tbDpT10_ENKUlT_T0_E_clISt17integral_constantIbLb1EES1J_EEDaS1E_S1F_EUlS1E_E_NS1_11comp_targetILNS1_3genE9ELNS1_11target_archE1100ELNS1_3gpuE3ELNS1_3repE0EEENS1_30default_config_static_selectorELNS0_4arch9wavefront6targetE0EEEvT1_.uses_vcc, 0
	.set _ZN7rocprim17ROCPRIM_400000_NS6detail17trampoline_kernelINS0_14default_configENS1_25partition_config_selectorILNS1_17partition_subalgoE6EN6thrust23THRUST_200600_302600_NS5tupleIddNS7_9null_typeES9_S9_S9_S9_S9_S9_S9_EENS0_10empty_typeEbEEZZNS1_14partition_implILS5_6ELb0ES3_mNS7_12zip_iteratorINS8_INS7_6detail15normal_iteratorINS7_10device_ptrIdEEEESJ_S9_S9_S9_S9_S9_S9_S9_S9_EEEEPSB_SM_NS0_5tupleIJNSE_INS8_ISJ_NS7_16discard_iteratorINS7_11use_defaultEEES9_S9_S9_S9_S9_S9_S9_S9_EEEESB_EEENSN_IJSM_SM_EEESB_PlJNSF_9not_fun_tINSF_14equal_to_valueISA_EEEEEEE10hipError_tPvRmT3_T4_T5_T6_T7_T9_mT8_P12ihipStream_tbDpT10_ENKUlT_T0_E_clISt17integral_constantIbLb1EES1J_EEDaS1E_S1F_EUlS1E_E_NS1_11comp_targetILNS1_3genE9ELNS1_11target_archE1100ELNS1_3gpuE3ELNS1_3repE0EEENS1_30default_config_static_selectorELNS0_4arch9wavefront6targetE0EEEvT1_.uses_flat_scratch, 0
	.set _ZN7rocprim17ROCPRIM_400000_NS6detail17trampoline_kernelINS0_14default_configENS1_25partition_config_selectorILNS1_17partition_subalgoE6EN6thrust23THRUST_200600_302600_NS5tupleIddNS7_9null_typeES9_S9_S9_S9_S9_S9_S9_EENS0_10empty_typeEbEEZZNS1_14partition_implILS5_6ELb0ES3_mNS7_12zip_iteratorINS8_INS7_6detail15normal_iteratorINS7_10device_ptrIdEEEESJ_S9_S9_S9_S9_S9_S9_S9_S9_EEEEPSB_SM_NS0_5tupleIJNSE_INS8_ISJ_NS7_16discard_iteratorINS7_11use_defaultEEES9_S9_S9_S9_S9_S9_S9_S9_EEEESB_EEENSN_IJSM_SM_EEESB_PlJNSF_9not_fun_tINSF_14equal_to_valueISA_EEEEEEE10hipError_tPvRmT3_T4_T5_T6_T7_T9_mT8_P12ihipStream_tbDpT10_ENKUlT_T0_E_clISt17integral_constantIbLb1EES1J_EEDaS1E_S1F_EUlS1E_E_NS1_11comp_targetILNS1_3genE9ELNS1_11target_archE1100ELNS1_3gpuE3ELNS1_3repE0EEENS1_30default_config_static_selectorELNS0_4arch9wavefront6targetE0EEEvT1_.has_dyn_sized_stack, 0
	.set _ZN7rocprim17ROCPRIM_400000_NS6detail17trampoline_kernelINS0_14default_configENS1_25partition_config_selectorILNS1_17partition_subalgoE6EN6thrust23THRUST_200600_302600_NS5tupleIddNS7_9null_typeES9_S9_S9_S9_S9_S9_S9_EENS0_10empty_typeEbEEZZNS1_14partition_implILS5_6ELb0ES3_mNS7_12zip_iteratorINS8_INS7_6detail15normal_iteratorINS7_10device_ptrIdEEEESJ_S9_S9_S9_S9_S9_S9_S9_S9_EEEEPSB_SM_NS0_5tupleIJNSE_INS8_ISJ_NS7_16discard_iteratorINS7_11use_defaultEEES9_S9_S9_S9_S9_S9_S9_S9_EEEESB_EEENSN_IJSM_SM_EEESB_PlJNSF_9not_fun_tINSF_14equal_to_valueISA_EEEEEEE10hipError_tPvRmT3_T4_T5_T6_T7_T9_mT8_P12ihipStream_tbDpT10_ENKUlT_T0_E_clISt17integral_constantIbLb1EES1J_EEDaS1E_S1F_EUlS1E_E_NS1_11comp_targetILNS1_3genE9ELNS1_11target_archE1100ELNS1_3gpuE3ELNS1_3repE0EEENS1_30default_config_static_selectorELNS0_4arch9wavefront6targetE0EEEvT1_.has_recursion, 0
	.set _ZN7rocprim17ROCPRIM_400000_NS6detail17trampoline_kernelINS0_14default_configENS1_25partition_config_selectorILNS1_17partition_subalgoE6EN6thrust23THRUST_200600_302600_NS5tupleIddNS7_9null_typeES9_S9_S9_S9_S9_S9_S9_EENS0_10empty_typeEbEEZZNS1_14partition_implILS5_6ELb0ES3_mNS7_12zip_iteratorINS8_INS7_6detail15normal_iteratorINS7_10device_ptrIdEEEESJ_S9_S9_S9_S9_S9_S9_S9_S9_EEEEPSB_SM_NS0_5tupleIJNSE_INS8_ISJ_NS7_16discard_iteratorINS7_11use_defaultEEES9_S9_S9_S9_S9_S9_S9_S9_EEEESB_EEENSN_IJSM_SM_EEESB_PlJNSF_9not_fun_tINSF_14equal_to_valueISA_EEEEEEE10hipError_tPvRmT3_T4_T5_T6_T7_T9_mT8_P12ihipStream_tbDpT10_ENKUlT_T0_E_clISt17integral_constantIbLb1EES1J_EEDaS1E_S1F_EUlS1E_E_NS1_11comp_targetILNS1_3genE9ELNS1_11target_archE1100ELNS1_3gpuE3ELNS1_3repE0EEENS1_30default_config_static_selectorELNS0_4arch9wavefront6targetE0EEEvT1_.has_indirect_call, 0
	.section	.AMDGPU.csdata,"",@progbits
; Kernel info:
; codeLenInByte = 0
; TotalNumSgprs: 0
; NumVgprs: 0
; ScratchSize: 0
; MemoryBound: 0
; FloatMode: 240
; IeeeMode: 1
; LDSByteSize: 0 bytes/workgroup (compile time only)
; SGPRBlocks: 0
; VGPRBlocks: 0
; NumSGPRsForWavesPerEU: 1
; NumVGPRsForWavesPerEU: 1
; Occupancy: 16
; WaveLimiterHint : 0
; COMPUTE_PGM_RSRC2:SCRATCH_EN: 0
; COMPUTE_PGM_RSRC2:USER_SGPR: 2
; COMPUTE_PGM_RSRC2:TRAP_HANDLER: 0
; COMPUTE_PGM_RSRC2:TGID_X_EN: 1
; COMPUTE_PGM_RSRC2:TGID_Y_EN: 0
; COMPUTE_PGM_RSRC2:TGID_Z_EN: 0
; COMPUTE_PGM_RSRC2:TIDIG_COMP_CNT: 0
	.section	.text._ZN7rocprim17ROCPRIM_400000_NS6detail17trampoline_kernelINS0_14default_configENS1_25partition_config_selectorILNS1_17partition_subalgoE6EN6thrust23THRUST_200600_302600_NS5tupleIddNS7_9null_typeES9_S9_S9_S9_S9_S9_S9_EENS0_10empty_typeEbEEZZNS1_14partition_implILS5_6ELb0ES3_mNS7_12zip_iteratorINS8_INS7_6detail15normal_iteratorINS7_10device_ptrIdEEEESJ_S9_S9_S9_S9_S9_S9_S9_S9_EEEEPSB_SM_NS0_5tupleIJNSE_INS8_ISJ_NS7_16discard_iteratorINS7_11use_defaultEEES9_S9_S9_S9_S9_S9_S9_S9_EEEESB_EEENSN_IJSM_SM_EEESB_PlJNSF_9not_fun_tINSF_14equal_to_valueISA_EEEEEEE10hipError_tPvRmT3_T4_T5_T6_T7_T9_mT8_P12ihipStream_tbDpT10_ENKUlT_T0_E_clISt17integral_constantIbLb1EES1J_EEDaS1E_S1F_EUlS1E_E_NS1_11comp_targetILNS1_3genE8ELNS1_11target_archE1030ELNS1_3gpuE2ELNS1_3repE0EEENS1_30default_config_static_selectorELNS0_4arch9wavefront6targetE0EEEvT1_,"axG",@progbits,_ZN7rocprim17ROCPRIM_400000_NS6detail17trampoline_kernelINS0_14default_configENS1_25partition_config_selectorILNS1_17partition_subalgoE6EN6thrust23THRUST_200600_302600_NS5tupleIddNS7_9null_typeES9_S9_S9_S9_S9_S9_S9_EENS0_10empty_typeEbEEZZNS1_14partition_implILS5_6ELb0ES3_mNS7_12zip_iteratorINS8_INS7_6detail15normal_iteratorINS7_10device_ptrIdEEEESJ_S9_S9_S9_S9_S9_S9_S9_S9_EEEEPSB_SM_NS0_5tupleIJNSE_INS8_ISJ_NS7_16discard_iteratorINS7_11use_defaultEEES9_S9_S9_S9_S9_S9_S9_S9_EEEESB_EEENSN_IJSM_SM_EEESB_PlJNSF_9not_fun_tINSF_14equal_to_valueISA_EEEEEEE10hipError_tPvRmT3_T4_T5_T6_T7_T9_mT8_P12ihipStream_tbDpT10_ENKUlT_T0_E_clISt17integral_constantIbLb1EES1J_EEDaS1E_S1F_EUlS1E_E_NS1_11comp_targetILNS1_3genE8ELNS1_11target_archE1030ELNS1_3gpuE2ELNS1_3repE0EEENS1_30default_config_static_selectorELNS0_4arch9wavefront6targetE0EEEvT1_,comdat
	.protected	_ZN7rocprim17ROCPRIM_400000_NS6detail17trampoline_kernelINS0_14default_configENS1_25partition_config_selectorILNS1_17partition_subalgoE6EN6thrust23THRUST_200600_302600_NS5tupleIddNS7_9null_typeES9_S9_S9_S9_S9_S9_S9_EENS0_10empty_typeEbEEZZNS1_14partition_implILS5_6ELb0ES3_mNS7_12zip_iteratorINS8_INS7_6detail15normal_iteratorINS7_10device_ptrIdEEEESJ_S9_S9_S9_S9_S9_S9_S9_S9_EEEEPSB_SM_NS0_5tupleIJNSE_INS8_ISJ_NS7_16discard_iteratorINS7_11use_defaultEEES9_S9_S9_S9_S9_S9_S9_S9_EEEESB_EEENSN_IJSM_SM_EEESB_PlJNSF_9not_fun_tINSF_14equal_to_valueISA_EEEEEEE10hipError_tPvRmT3_T4_T5_T6_T7_T9_mT8_P12ihipStream_tbDpT10_ENKUlT_T0_E_clISt17integral_constantIbLb1EES1J_EEDaS1E_S1F_EUlS1E_E_NS1_11comp_targetILNS1_3genE8ELNS1_11target_archE1030ELNS1_3gpuE2ELNS1_3repE0EEENS1_30default_config_static_selectorELNS0_4arch9wavefront6targetE0EEEvT1_ ; -- Begin function _ZN7rocprim17ROCPRIM_400000_NS6detail17trampoline_kernelINS0_14default_configENS1_25partition_config_selectorILNS1_17partition_subalgoE6EN6thrust23THRUST_200600_302600_NS5tupleIddNS7_9null_typeES9_S9_S9_S9_S9_S9_S9_EENS0_10empty_typeEbEEZZNS1_14partition_implILS5_6ELb0ES3_mNS7_12zip_iteratorINS8_INS7_6detail15normal_iteratorINS7_10device_ptrIdEEEESJ_S9_S9_S9_S9_S9_S9_S9_S9_EEEEPSB_SM_NS0_5tupleIJNSE_INS8_ISJ_NS7_16discard_iteratorINS7_11use_defaultEEES9_S9_S9_S9_S9_S9_S9_S9_EEEESB_EEENSN_IJSM_SM_EEESB_PlJNSF_9not_fun_tINSF_14equal_to_valueISA_EEEEEEE10hipError_tPvRmT3_T4_T5_T6_T7_T9_mT8_P12ihipStream_tbDpT10_ENKUlT_T0_E_clISt17integral_constantIbLb1EES1J_EEDaS1E_S1F_EUlS1E_E_NS1_11comp_targetILNS1_3genE8ELNS1_11target_archE1030ELNS1_3gpuE2ELNS1_3repE0EEENS1_30default_config_static_selectorELNS0_4arch9wavefront6targetE0EEEvT1_
	.globl	_ZN7rocprim17ROCPRIM_400000_NS6detail17trampoline_kernelINS0_14default_configENS1_25partition_config_selectorILNS1_17partition_subalgoE6EN6thrust23THRUST_200600_302600_NS5tupleIddNS7_9null_typeES9_S9_S9_S9_S9_S9_S9_EENS0_10empty_typeEbEEZZNS1_14partition_implILS5_6ELb0ES3_mNS7_12zip_iteratorINS8_INS7_6detail15normal_iteratorINS7_10device_ptrIdEEEESJ_S9_S9_S9_S9_S9_S9_S9_S9_EEEEPSB_SM_NS0_5tupleIJNSE_INS8_ISJ_NS7_16discard_iteratorINS7_11use_defaultEEES9_S9_S9_S9_S9_S9_S9_S9_EEEESB_EEENSN_IJSM_SM_EEESB_PlJNSF_9not_fun_tINSF_14equal_to_valueISA_EEEEEEE10hipError_tPvRmT3_T4_T5_T6_T7_T9_mT8_P12ihipStream_tbDpT10_ENKUlT_T0_E_clISt17integral_constantIbLb1EES1J_EEDaS1E_S1F_EUlS1E_E_NS1_11comp_targetILNS1_3genE8ELNS1_11target_archE1030ELNS1_3gpuE2ELNS1_3repE0EEENS1_30default_config_static_selectorELNS0_4arch9wavefront6targetE0EEEvT1_
	.p2align	8
	.type	_ZN7rocprim17ROCPRIM_400000_NS6detail17trampoline_kernelINS0_14default_configENS1_25partition_config_selectorILNS1_17partition_subalgoE6EN6thrust23THRUST_200600_302600_NS5tupleIddNS7_9null_typeES9_S9_S9_S9_S9_S9_S9_EENS0_10empty_typeEbEEZZNS1_14partition_implILS5_6ELb0ES3_mNS7_12zip_iteratorINS8_INS7_6detail15normal_iteratorINS7_10device_ptrIdEEEESJ_S9_S9_S9_S9_S9_S9_S9_S9_EEEEPSB_SM_NS0_5tupleIJNSE_INS8_ISJ_NS7_16discard_iteratorINS7_11use_defaultEEES9_S9_S9_S9_S9_S9_S9_S9_EEEESB_EEENSN_IJSM_SM_EEESB_PlJNSF_9not_fun_tINSF_14equal_to_valueISA_EEEEEEE10hipError_tPvRmT3_T4_T5_T6_T7_T9_mT8_P12ihipStream_tbDpT10_ENKUlT_T0_E_clISt17integral_constantIbLb1EES1J_EEDaS1E_S1F_EUlS1E_E_NS1_11comp_targetILNS1_3genE8ELNS1_11target_archE1030ELNS1_3gpuE2ELNS1_3repE0EEENS1_30default_config_static_selectorELNS0_4arch9wavefront6targetE0EEEvT1_,@function
_ZN7rocprim17ROCPRIM_400000_NS6detail17trampoline_kernelINS0_14default_configENS1_25partition_config_selectorILNS1_17partition_subalgoE6EN6thrust23THRUST_200600_302600_NS5tupleIddNS7_9null_typeES9_S9_S9_S9_S9_S9_S9_EENS0_10empty_typeEbEEZZNS1_14partition_implILS5_6ELb0ES3_mNS7_12zip_iteratorINS8_INS7_6detail15normal_iteratorINS7_10device_ptrIdEEEESJ_S9_S9_S9_S9_S9_S9_S9_S9_EEEEPSB_SM_NS0_5tupleIJNSE_INS8_ISJ_NS7_16discard_iteratorINS7_11use_defaultEEES9_S9_S9_S9_S9_S9_S9_S9_EEEESB_EEENSN_IJSM_SM_EEESB_PlJNSF_9not_fun_tINSF_14equal_to_valueISA_EEEEEEE10hipError_tPvRmT3_T4_T5_T6_T7_T9_mT8_P12ihipStream_tbDpT10_ENKUlT_T0_E_clISt17integral_constantIbLb1EES1J_EEDaS1E_S1F_EUlS1E_E_NS1_11comp_targetILNS1_3genE8ELNS1_11target_archE1030ELNS1_3gpuE2ELNS1_3repE0EEENS1_30default_config_static_selectorELNS0_4arch9wavefront6targetE0EEEvT1_: ; @_ZN7rocprim17ROCPRIM_400000_NS6detail17trampoline_kernelINS0_14default_configENS1_25partition_config_selectorILNS1_17partition_subalgoE6EN6thrust23THRUST_200600_302600_NS5tupleIddNS7_9null_typeES9_S9_S9_S9_S9_S9_S9_EENS0_10empty_typeEbEEZZNS1_14partition_implILS5_6ELb0ES3_mNS7_12zip_iteratorINS8_INS7_6detail15normal_iteratorINS7_10device_ptrIdEEEESJ_S9_S9_S9_S9_S9_S9_S9_S9_EEEEPSB_SM_NS0_5tupleIJNSE_INS8_ISJ_NS7_16discard_iteratorINS7_11use_defaultEEES9_S9_S9_S9_S9_S9_S9_S9_EEEESB_EEENSN_IJSM_SM_EEESB_PlJNSF_9not_fun_tINSF_14equal_to_valueISA_EEEEEEE10hipError_tPvRmT3_T4_T5_T6_T7_T9_mT8_P12ihipStream_tbDpT10_ENKUlT_T0_E_clISt17integral_constantIbLb1EES1J_EEDaS1E_S1F_EUlS1E_E_NS1_11comp_targetILNS1_3genE8ELNS1_11target_archE1030ELNS1_3gpuE2ELNS1_3repE0EEENS1_30default_config_static_selectorELNS0_4arch9wavefront6targetE0EEEvT1_
; %bb.0:
	.section	.rodata,"a",@progbits
	.p2align	6, 0x0
	.amdhsa_kernel _ZN7rocprim17ROCPRIM_400000_NS6detail17trampoline_kernelINS0_14default_configENS1_25partition_config_selectorILNS1_17partition_subalgoE6EN6thrust23THRUST_200600_302600_NS5tupleIddNS7_9null_typeES9_S9_S9_S9_S9_S9_S9_EENS0_10empty_typeEbEEZZNS1_14partition_implILS5_6ELb0ES3_mNS7_12zip_iteratorINS8_INS7_6detail15normal_iteratorINS7_10device_ptrIdEEEESJ_S9_S9_S9_S9_S9_S9_S9_S9_EEEEPSB_SM_NS0_5tupleIJNSE_INS8_ISJ_NS7_16discard_iteratorINS7_11use_defaultEEES9_S9_S9_S9_S9_S9_S9_S9_EEEESB_EEENSN_IJSM_SM_EEESB_PlJNSF_9not_fun_tINSF_14equal_to_valueISA_EEEEEEE10hipError_tPvRmT3_T4_T5_T6_T7_T9_mT8_P12ihipStream_tbDpT10_ENKUlT_T0_E_clISt17integral_constantIbLb1EES1J_EEDaS1E_S1F_EUlS1E_E_NS1_11comp_targetILNS1_3genE8ELNS1_11target_archE1030ELNS1_3gpuE2ELNS1_3repE0EEENS1_30default_config_static_selectorELNS0_4arch9wavefront6targetE0EEEvT1_
		.amdhsa_group_segment_fixed_size 0
		.amdhsa_private_segment_fixed_size 0
		.amdhsa_kernarg_size 160
		.amdhsa_user_sgpr_count 2
		.amdhsa_user_sgpr_dispatch_ptr 0
		.amdhsa_user_sgpr_queue_ptr 0
		.amdhsa_user_sgpr_kernarg_segment_ptr 1
		.amdhsa_user_sgpr_dispatch_id 0
		.amdhsa_user_sgpr_private_segment_size 0
		.amdhsa_wavefront_size32 1
		.amdhsa_uses_dynamic_stack 0
		.amdhsa_enable_private_segment 0
		.amdhsa_system_sgpr_workgroup_id_x 1
		.amdhsa_system_sgpr_workgroup_id_y 0
		.amdhsa_system_sgpr_workgroup_id_z 0
		.amdhsa_system_sgpr_workgroup_info 0
		.amdhsa_system_vgpr_workitem_id 0
		.amdhsa_next_free_vgpr 1
		.amdhsa_next_free_sgpr 1
		.amdhsa_reserve_vcc 0
		.amdhsa_float_round_mode_32 0
		.amdhsa_float_round_mode_16_64 0
		.amdhsa_float_denorm_mode_32 3
		.amdhsa_float_denorm_mode_16_64 3
		.amdhsa_fp16_overflow 0
		.amdhsa_workgroup_processor_mode 1
		.amdhsa_memory_ordered 1
		.amdhsa_forward_progress 1
		.amdhsa_inst_pref_size 0
		.amdhsa_round_robin_scheduling 0
		.amdhsa_exception_fp_ieee_invalid_op 0
		.amdhsa_exception_fp_denorm_src 0
		.amdhsa_exception_fp_ieee_div_zero 0
		.amdhsa_exception_fp_ieee_overflow 0
		.amdhsa_exception_fp_ieee_underflow 0
		.amdhsa_exception_fp_ieee_inexact 0
		.amdhsa_exception_int_div_zero 0
	.end_amdhsa_kernel
	.section	.text._ZN7rocprim17ROCPRIM_400000_NS6detail17trampoline_kernelINS0_14default_configENS1_25partition_config_selectorILNS1_17partition_subalgoE6EN6thrust23THRUST_200600_302600_NS5tupleIddNS7_9null_typeES9_S9_S9_S9_S9_S9_S9_EENS0_10empty_typeEbEEZZNS1_14partition_implILS5_6ELb0ES3_mNS7_12zip_iteratorINS8_INS7_6detail15normal_iteratorINS7_10device_ptrIdEEEESJ_S9_S9_S9_S9_S9_S9_S9_S9_EEEEPSB_SM_NS0_5tupleIJNSE_INS8_ISJ_NS7_16discard_iteratorINS7_11use_defaultEEES9_S9_S9_S9_S9_S9_S9_S9_EEEESB_EEENSN_IJSM_SM_EEESB_PlJNSF_9not_fun_tINSF_14equal_to_valueISA_EEEEEEE10hipError_tPvRmT3_T4_T5_T6_T7_T9_mT8_P12ihipStream_tbDpT10_ENKUlT_T0_E_clISt17integral_constantIbLb1EES1J_EEDaS1E_S1F_EUlS1E_E_NS1_11comp_targetILNS1_3genE8ELNS1_11target_archE1030ELNS1_3gpuE2ELNS1_3repE0EEENS1_30default_config_static_selectorELNS0_4arch9wavefront6targetE0EEEvT1_,"axG",@progbits,_ZN7rocprim17ROCPRIM_400000_NS6detail17trampoline_kernelINS0_14default_configENS1_25partition_config_selectorILNS1_17partition_subalgoE6EN6thrust23THRUST_200600_302600_NS5tupleIddNS7_9null_typeES9_S9_S9_S9_S9_S9_S9_EENS0_10empty_typeEbEEZZNS1_14partition_implILS5_6ELb0ES3_mNS7_12zip_iteratorINS8_INS7_6detail15normal_iteratorINS7_10device_ptrIdEEEESJ_S9_S9_S9_S9_S9_S9_S9_S9_EEEEPSB_SM_NS0_5tupleIJNSE_INS8_ISJ_NS7_16discard_iteratorINS7_11use_defaultEEES9_S9_S9_S9_S9_S9_S9_S9_EEEESB_EEENSN_IJSM_SM_EEESB_PlJNSF_9not_fun_tINSF_14equal_to_valueISA_EEEEEEE10hipError_tPvRmT3_T4_T5_T6_T7_T9_mT8_P12ihipStream_tbDpT10_ENKUlT_T0_E_clISt17integral_constantIbLb1EES1J_EEDaS1E_S1F_EUlS1E_E_NS1_11comp_targetILNS1_3genE8ELNS1_11target_archE1030ELNS1_3gpuE2ELNS1_3repE0EEENS1_30default_config_static_selectorELNS0_4arch9wavefront6targetE0EEEvT1_,comdat
.Lfunc_end1836:
	.size	_ZN7rocprim17ROCPRIM_400000_NS6detail17trampoline_kernelINS0_14default_configENS1_25partition_config_selectorILNS1_17partition_subalgoE6EN6thrust23THRUST_200600_302600_NS5tupleIddNS7_9null_typeES9_S9_S9_S9_S9_S9_S9_EENS0_10empty_typeEbEEZZNS1_14partition_implILS5_6ELb0ES3_mNS7_12zip_iteratorINS8_INS7_6detail15normal_iteratorINS7_10device_ptrIdEEEESJ_S9_S9_S9_S9_S9_S9_S9_S9_EEEEPSB_SM_NS0_5tupleIJNSE_INS8_ISJ_NS7_16discard_iteratorINS7_11use_defaultEEES9_S9_S9_S9_S9_S9_S9_S9_EEEESB_EEENSN_IJSM_SM_EEESB_PlJNSF_9not_fun_tINSF_14equal_to_valueISA_EEEEEEE10hipError_tPvRmT3_T4_T5_T6_T7_T9_mT8_P12ihipStream_tbDpT10_ENKUlT_T0_E_clISt17integral_constantIbLb1EES1J_EEDaS1E_S1F_EUlS1E_E_NS1_11comp_targetILNS1_3genE8ELNS1_11target_archE1030ELNS1_3gpuE2ELNS1_3repE0EEENS1_30default_config_static_selectorELNS0_4arch9wavefront6targetE0EEEvT1_, .Lfunc_end1836-_ZN7rocprim17ROCPRIM_400000_NS6detail17trampoline_kernelINS0_14default_configENS1_25partition_config_selectorILNS1_17partition_subalgoE6EN6thrust23THRUST_200600_302600_NS5tupleIddNS7_9null_typeES9_S9_S9_S9_S9_S9_S9_EENS0_10empty_typeEbEEZZNS1_14partition_implILS5_6ELb0ES3_mNS7_12zip_iteratorINS8_INS7_6detail15normal_iteratorINS7_10device_ptrIdEEEESJ_S9_S9_S9_S9_S9_S9_S9_S9_EEEEPSB_SM_NS0_5tupleIJNSE_INS8_ISJ_NS7_16discard_iteratorINS7_11use_defaultEEES9_S9_S9_S9_S9_S9_S9_S9_EEEESB_EEENSN_IJSM_SM_EEESB_PlJNSF_9not_fun_tINSF_14equal_to_valueISA_EEEEEEE10hipError_tPvRmT3_T4_T5_T6_T7_T9_mT8_P12ihipStream_tbDpT10_ENKUlT_T0_E_clISt17integral_constantIbLb1EES1J_EEDaS1E_S1F_EUlS1E_E_NS1_11comp_targetILNS1_3genE8ELNS1_11target_archE1030ELNS1_3gpuE2ELNS1_3repE0EEENS1_30default_config_static_selectorELNS0_4arch9wavefront6targetE0EEEvT1_
                                        ; -- End function
	.set _ZN7rocprim17ROCPRIM_400000_NS6detail17trampoline_kernelINS0_14default_configENS1_25partition_config_selectorILNS1_17partition_subalgoE6EN6thrust23THRUST_200600_302600_NS5tupleIddNS7_9null_typeES9_S9_S9_S9_S9_S9_S9_EENS0_10empty_typeEbEEZZNS1_14partition_implILS5_6ELb0ES3_mNS7_12zip_iteratorINS8_INS7_6detail15normal_iteratorINS7_10device_ptrIdEEEESJ_S9_S9_S9_S9_S9_S9_S9_S9_EEEEPSB_SM_NS0_5tupleIJNSE_INS8_ISJ_NS7_16discard_iteratorINS7_11use_defaultEEES9_S9_S9_S9_S9_S9_S9_S9_EEEESB_EEENSN_IJSM_SM_EEESB_PlJNSF_9not_fun_tINSF_14equal_to_valueISA_EEEEEEE10hipError_tPvRmT3_T4_T5_T6_T7_T9_mT8_P12ihipStream_tbDpT10_ENKUlT_T0_E_clISt17integral_constantIbLb1EES1J_EEDaS1E_S1F_EUlS1E_E_NS1_11comp_targetILNS1_3genE8ELNS1_11target_archE1030ELNS1_3gpuE2ELNS1_3repE0EEENS1_30default_config_static_selectorELNS0_4arch9wavefront6targetE0EEEvT1_.num_vgpr, 0
	.set _ZN7rocprim17ROCPRIM_400000_NS6detail17trampoline_kernelINS0_14default_configENS1_25partition_config_selectorILNS1_17partition_subalgoE6EN6thrust23THRUST_200600_302600_NS5tupleIddNS7_9null_typeES9_S9_S9_S9_S9_S9_S9_EENS0_10empty_typeEbEEZZNS1_14partition_implILS5_6ELb0ES3_mNS7_12zip_iteratorINS8_INS7_6detail15normal_iteratorINS7_10device_ptrIdEEEESJ_S9_S9_S9_S9_S9_S9_S9_S9_EEEEPSB_SM_NS0_5tupleIJNSE_INS8_ISJ_NS7_16discard_iteratorINS7_11use_defaultEEES9_S9_S9_S9_S9_S9_S9_S9_EEEESB_EEENSN_IJSM_SM_EEESB_PlJNSF_9not_fun_tINSF_14equal_to_valueISA_EEEEEEE10hipError_tPvRmT3_T4_T5_T6_T7_T9_mT8_P12ihipStream_tbDpT10_ENKUlT_T0_E_clISt17integral_constantIbLb1EES1J_EEDaS1E_S1F_EUlS1E_E_NS1_11comp_targetILNS1_3genE8ELNS1_11target_archE1030ELNS1_3gpuE2ELNS1_3repE0EEENS1_30default_config_static_selectorELNS0_4arch9wavefront6targetE0EEEvT1_.num_agpr, 0
	.set _ZN7rocprim17ROCPRIM_400000_NS6detail17trampoline_kernelINS0_14default_configENS1_25partition_config_selectorILNS1_17partition_subalgoE6EN6thrust23THRUST_200600_302600_NS5tupleIddNS7_9null_typeES9_S9_S9_S9_S9_S9_S9_EENS0_10empty_typeEbEEZZNS1_14partition_implILS5_6ELb0ES3_mNS7_12zip_iteratorINS8_INS7_6detail15normal_iteratorINS7_10device_ptrIdEEEESJ_S9_S9_S9_S9_S9_S9_S9_S9_EEEEPSB_SM_NS0_5tupleIJNSE_INS8_ISJ_NS7_16discard_iteratorINS7_11use_defaultEEES9_S9_S9_S9_S9_S9_S9_S9_EEEESB_EEENSN_IJSM_SM_EEESB_PlJNSF_9not_fun_tINSF_14equal_to_valueISA_EEEEEEE10hipError_tPvRmT3_T4_T5_T6_T7_T9_mT8_P12ihipStream_tbDpT10_ENKUlT_T0_E_clISt17integral_constantIbLb1EES1J_EEDaS1E_S1F_EUlS1E_E_NS1_11comp_targetILNS1_3genE8ELNS1_11target_archE1030ELNS1_3gpuE2ELNS1_3repE0EEENS1_30default_config_static_selectorELNS0_4arch9wavefront6targetE0EEEvT1_.numbered_sgpr, 0
	.set _ZN7rocprim17ROCPRIM_400000_NS6detail17trampoline_kernelINS0_14default_configENS1_25partition_config_selectorILNS1_17partition_subalgoE6EN6thrust23THRUST_200600_302600_NS5tupleIddNS7_9null_typeES9_S9_S9_S9_S9_S9_S9_EENS0_10empty_typeEbEEZZNS1_14partition_implILS5_6ELb0ES3_mNS7_12zip_iteratorINS8_INS7_6detail15normal_iteratorINS7_10device_ptrIdEEEESJ_S9_S9_S9_S9_S9_S9_S9_S9_EEEEPSB_SM_NS0_5tupleIJNSE_INS8_ISJ_NS7_16discard_iteratorINS7_11use_defaultEEES9_S9_S9_S9_S9_S9_S9_S9_EEEESB_EEENSN_IJSM_SM_EEESB_PlJNSF_9not_fun_tINSF_14equal_to_valueISA_EEEEEEE10hipError_tPvRmT3_T4_T5_T6_T7_T9_mT8_P12ihipStream_tbDpT10_ENKUlT_T0_E_clISt17integral_constantIbLb1EES1J_EEDaS1E_S1F_EUlS1E_E_NS1_11comp_targetILNS1_3genE8ELNS1_11target_archE1030ELNS1_3gpuE2ELNS1_3repE0EEENS1_30default_config_static_selectorELNS0_4arch9wavefront6targetE0EEEvT1_.num_named_barrier, 0
	.set _ZN7rocprim17ROCPRIM_400000_NS6detail17trampoline_kernelINS0_14default_configENS1_25partition_config_selectorILNS1_17partition_subalgoE6EN6thrust23THRUST_200600_302600_NS5tupleIddNS7_9null_typeES9_S9_S9_S9_S9_S9_S9_EENS0_10empty_typeEbEEZZNS1_14partition_implILS5_6ELb0ES3_mNS7_12zip_iteratorINS8_INS7_6detail15normal_iteratorINS7_10device_ptrIdEEEESJ_S9_S9_S9_S9_S9_S9_S9_S9_EEEEPSB_SM_NS0_5tupleIJNSE_INS8_ISJ_NS7_16discard_iteratorINS7_11use_defaultEEES9_S9_S9_S9_S9_S9_S9_S9_EEEESB_EEENSN_IJSM_SM_EEESB_PlJNSF_9not_fun_tINSF_14equal_to_valueISA_EEEEEEE10hipError_tPvRmT3_T4_T5_T6_T7_T9_mT8_P12ihipStream_tbDpT10_ENKUlT_T0_E_clISt17integral_constantIbLb1EES1J_EEDaS1E_S1F_EUlS1E_E_NS1_11comp_targetILNS1_3genE8ELNS1_11target_archE1030ELNS1_3gpuE2ELNS1_3repE0EEENS1_30default_config_static_selectorELNS0_4arch9wavefront6targetE0EEEvT1_.private_seg_size, 0
	.set _ZN7rocprim17ROCPRIM_400000_NS6detail17trampoline_kernelINS0_14default_configENS1_25partition_config_selectorILNS1_17partition_subalgoE6EN6thrust23THRUST_200600_302600_NS5tupleIddNS7_9null_typeES9_S9_S9_S9_S9_S9_S9_EENS0_10empty_typeEbEEZZNS1_14partition_implILS5_6ELb0ES3_mNS7_12zip_iteratorINS8_INS7_6detail15normal_iteratorINS7_10device_ptrIdEEEESJ_S9_S9_S9_S9_S9_S9_S9_S9_EEEEPSB_SM_NS0_5tupleIJNSE_INS8_ISJ_NS7_16discard_iteratorINS7_11use_defaultEEES9_S9_S9_S9_S9_S9_S9_S9_EEEESB_EEENSN_IJSM_SM_EEESB_PlJNSF_9not_fun_tINSF_14equal_to_valueISA_EEEEEEE10hipError_tPvRmT3_T4_T5_T6_T7_T9_mT8_P12ihipStream_tbDpT10_ENKUlT_T0_E_clISt17integral_constantIbLb1EES1J_EEDaS1E_S1F_EUlS1E_E_NS1_11comp_targetILNS1_3genE8ELNS1_11target_archE1030ELNS1_3gpuE2ELNS1_3repE0EEENS1_30default_config_static_selectorELNS0_4arch9wavefront6targetE0EEEvT1_.uses_vcc, 0
	.set _ZN7rocprim17ROCPRIM_400000_NS6detail17trampoline_kernelINS0_14default_configENS1_25partition_config_selectorILNS1_17partition_subalgoE6EN6thrust23THRUST_200600_302600_NS5tupleIddNS7_9null_typeES9_S9_S9_S9_S9_S9_S9_EENS0_10empty_typeEbEEZZNS1_14partition_implILS5_6ELb0ES3_mNS7_12zip_iteratorINS8_INS7_6detail15normal_iteratorINS7_10device_ptrIdEEEESJ_S9_S9_S9_S9_S9_S9_S9_S9_EEEEPSB_SM_NS0_5tupleIJNSE_INS8_ISJ_NS7_16discard_iteratorINS7_11use_defaultEEES9_S9_S9_S9_S9_S9_S9_S9_EEEESB_EEENSN_IJSM_SM_EEESB_PlJNSF_9not_fun_tINSF_14equal_to_valueISA_EEEEEEE10hipError_tPvRmT3_T4_T5_T6_T7_T9_mT8_P12ihipStream_tbDpT10_ENKUlT_T0_E_clISt17integral_constantIbLb1EES1J_EEDaS1E_S1F_EUlS1E_E_NS1_11comp_targetILNS1_3genE8ELNS1_11target_archE1030ELNS1_3gpuE2ELNS1_3repE0EEENS1_30default_config_static_selectorELNS0_4arch9wavefront6targetE0EEEvT1_.uses_flat_scratch, 0
	.set _ZN7rocprim17ROCPRIM_400000_NS6detail17trampoline_kernelINS0_14default_configENS1_25partition_config_selectorILNS1_17partition_subalgoE6EN6thrust23THRUST_200600_302600_NS5tupleIddNS7_9null_typeES9_S9_S9_S9_S9_S9_S9_EENS0_10empty_typeEbEEZZNS1_14partition_implILS5_6ELb0ES3_mNS7_12zip_iteratorINS8_INS7_6detail15normal_iteratorINS7_10device_ptrIdEEEESJ_S9_S9_S9_S9_S9_S9_S9_S9_EEEEPSB_SM_NS0_5tupleIJNSE_INS8_ISJ_NS7_16discard_iteratorINS7_11use_defaultEEES9_S9_S9_S9_S9_S9_S9_S9_EEEESB_EEENSN_IJSM_SM_EEESB_PlJNSF_9not_fun_tINSF_14equal_to_valueISA_EEEEEEE10hipError_tPvRmT3_T4_T5_T6_T7_T9_mT8_P12ihipStream_tbDpT10_ENKUlT_T0_E_clISt17integral_constantIbLb1EES1J_EEDaS1E_S1F_EUlS1E_E_NS1_11comp_targetILNS1_3genE8ELNS1_11target_archE1030ELNS1_3gpuE2ELNS1_3repE0EEENS1_30default_config_static_selectorELNS0_4arch9wavefront6targetE0EEEvT1_.has_dyn_sized_stack, 0
	.set _ZN7rocprim17ROCPRIM_400000_NS6detail17trampoline_kernelINS0_14default_configENS1_25partition_config_selectorILNS1_17partition_subalgoE6EN6thrust23THRUST_200600_302600_NS5tupleIddNS7_9null_typeES9_S9_S9_S9_S9_S9_S9_EENS0_10empty_typeEbEEZZNS1_14partition_implILS5_6ELb0ES3_mNS7_12zip_iteratorINS8_INS7_6detail15normal_iteratorINS7_10device_ptrIdEEEESJ_S9_S9_S9_S9_S9_S9_S9_S9_EEEEPSB_SM_NS0_5tupleIJNSE_INS8_ISJ_NS7_16discard_iteratorINS7_11use_defaultEEES9_S9_S9_S9_S9_S9_S9_S9_EEEESB_EEENSN_IJSM_SM_EEESB_PlJNSF_9not_fun_tINSF_14equal_to_valueISA_EEEEEEE10hipError_tPvRmT3_T4_T5_T6_T7_T9_mT8_P12ihipStream_tbDpT10_ENKUlT_T0_E_clISt17integral_constantIbLb1EES1J_EEDaS1E_S1F_EUlS1E_E_NS1_11comp_targetILNS1_3genE8ELNS1_11target_archE1030ELNS1_3gpuE2ELNS1_3repE0EEENS1_30default_config_static_selectorELNS0_4arch9wavefront6targetE0EEEvT1_.has_recursion, 0
	.set _ZN7rocprim17ROCPRIM_400000_NS6detail17trampoline_kernelINS0_14default_configENS1_25partition_config_selectorILNS1_17partition_subalgoE6EN6thrust23THRUST_200600_302600_NS5tupleIddNS7_9null_typeES9_S9_S9_S9_S9_S9_S9_EENS0_10empty_typeEbEEZZNS1_14partition_implILS5_6ELb0ES3_mNS7_12zip_iteratorINS8_INS7_6detail15normal_iteratorINS7_10device_ptrIdEEEESJ_S9_S9_S9_S9_S9_S9_S9_S9_EEEEPSB_SM_NS0_5tupleIJNSE_INS8_ISJ_NS7_16discard_iteratorINS7_11use_defaultEEES9_S9_S9_S9_S9_S9_S9_S9_EEEESB_EEENSN_IJSM_SM_EEESB_PlJNSF_9not_fun_tINSF_14equal_to_valueISA_EEEEEEE10hipError_tPvRmT3_T4_T5_T6_T7_T9_mT8_P12ihipStream_tbDpT10_ENKUlT_T0_E_clISt17integral_constantIbLb1EES1J_EEDaS1E_S1F_EUlS1E_E_NS1_11comp_targetILNS1_3genE8ELNS1_11target_archE1030ELNS1_3gpuE2ELNS1_3repE0EEENS1_30default_config_static_selectorELNS0_4arch9wavefront6targetE0EEEvT1_.has_indirect_call, 0
	.section	.AMDGPU.csdata,"",@progbits
; Kernel info:
; codeLenInByte = 0
; TotalNumSgprs: 0
; NumVgprs: 0
; ScratchSize: 0
; MemoryBound: 0
; FloatMode: 240
; IeeeMode: 1
; LDSByteSize: 0 bytes/workgroup (compile time only)
; SGPRBlocks: 0
; VGPRBlocks: 0
; NumSGPRsForWavesPerEU: 1
; NumVGPRsForWavesPerEU: 1
; Occupancy: 16
; WaveLimiterHint : 0
; COMPUTE_PGM_RSRC2:SCRATCH_EN: 0
; COMPUTE_PGM_RSRC2:USER_SGPR: 2
; COMPUTE_PGM_RSRC2:TRAP_HANDLER: 0
; COMPUTE_PGM_RSRC2:TGID_X_EN: 1
; COMPUTE_PGM_RSRC2:TGID_Y_EN: 0
; COMPUTE_PGM_RSRC2:TGID_Z_EN: 0
; COMPUTE_PGM_RSRC2:TIDIG_COMP_CNT: 0
	.section	.text._ZN7rocprim17ROCPRIM_400000_NS6detail17trampoline_kernelINS0_14default_configENS1_25partition_config_selectorILNS1_17partition_subalgoE6EN6thrust23THRUST_200600_302600_NS5tupleIddNS7_9null_typeES9_S9_S9_S9_S9_S9_S9_EENS0_10empty_typeEbEEZZNS1_14partition_implILS5_6ELb0ES3_mNS7_12zip_iteratorINS8_INS7_6detail15normal_iteratorINS7_10device_ptrIdEEEESJ_S9_S9_S9_S9_S9_S9_S9_S9_EEEEPSB_SM_NS0_5tupleIJNSE_INS8_ISJ_NS7_16discard_iteratorINS7_11use_defaultEEES9_S9_S9_S9_S9_S9_S9_S9_EEEESB_EEENSN_IJSM_SM_EEESB_PlJNSF_9not_fun_tINSF_14equal_to_valueISA_EEEEEEE10hipError_tPvRmT3_T4_T5_T6_T7_T9_mT8_P12ihipStream_tbDpT10_ENKUlT_T0_E_clISt17integral_constantIbLb1EES1I_IbLb0EEEEDaS1E_S1F_EUlS1E_E_NS1_11comp_targetILNS1_3genE0ELNS1_11target_archE4294967295ELNS1_3gpuE0ELNS1_3repE0EEENS1_30default_config_static_selectorELNS0_4arch9wavefront6targetE0EEEvT1_,"axG",@progbits,_ZN7rocprim17ROCPRIM_400000_NS6detail17trampoline_kernelINS0_14default_configENS1_25partition_config_selectorILNS1_17partition_subalgoE6EN6thrust23THRUST_200600_302600_NS5tupleIddNS7_9null_typeES9_S9_S9_S9_S9_S9_S9_EENS0_10empty_typeEbEEZZNS1_14partition_implILS5_6ELb0ES3_mNS7_12zip_iteratorINS8_INS7_6detail15normal_iteratorINS7_10device_ptrIdEEEESJ_S9_S9_S9_S9_S9_S9_S9_S9_EEEEPSB_SM_NS0_5tupleIJNSE_INS8_ISJ_NS7_16discard_iteratorINS7_11use_defaultEEES9_S9_S9_S9_S9_S9_S9_S9_EEEESB_EEENSN_IJSM_SM_EEESB_PlJNSF_9not_fun_tINSF_14equal_to_valueISA_EEEEEEE10hipError_tPvRmT3_T4_T5_T6_T7_T9_mT8_P12ihipStream_tbDpT10_ENKUlT_T0_E_clISt17integral_constantIbLb1EES1I_IbLb0EEEEDaS1E_S1F_EUlS1E_E_NS1_11comp_targetILNS1_3genE0ELNS1_11target_archE4294967295ELNS1_3gpuE0ELNS1_3repE0EEENS1_30default_config_static_selectorELNS0_4arch9wavefront6targetE0EEEvT1_,comdat
	.protected	_ZN7rocprim17ROCPRIM_400000_NS6detail17trampoline_kernelINS0_14default_configENS1_25partition_config_selectorILNS1_17partition_subalgoE6EN6thrust23THRUST_200600_302600_NS5tupleIddNS7_9null_typeES9_S9_S9_S9_S9_S9_S9_EENS0_10empty_typeEbEEZZNS1_14partition_implILS5_6ELb0ES3_mNS7_12zip_iteratorINS8_INS7_6detail15normal_iteratorINS7_10device_ptrIdEEEESJ_S9_S9_S9_S9_S9_S9_S9_S9_EEEEPSB_SM_NS0_5tupleIJNSE_INS8_ISJ_NS7_16discard_iteratorINS7_11use_defaultEEES9_S9_S9_S9_S9_S9_S9_S9_EEEESB_EEENSN_IJSM_SM_EEESB_PlJNSF_9not_fun_tINSF_14equal_to_valueISA_EEEEEEE10hipError_tPvRmT3_T4_T5_T6_T7_T9_mT8_P12ihipStream_tbDpT10_ENKUlT_T0_E_clISt17integral_constantIbLb1EES1I_IbLb0EEEEDaS1E_S1F_EUlS1E_E_NS1_11comp_targetILNS1_3genE0ELNS1_11target_archE4294967295ELNS1_3gpuE0ELNS1_3repE0EEENS1_30default_config_static_selectorELNS0_4arch9wavefront6targetE0EEEvT1_ ; -- Begin function _ZN7rocprim17ROCPRIM_400000_NS6detail17trampoline_kernelINS0_14default_configENS1_25partition_config_selectorILNS1_17partition_subalgoE6EN6thrust23THRUST_200600_302600_NS5tupleIddNS7_9null_typeES9_S9_S9_S9_S9_S9_S9_EENS0_10empty_typeEbEEZZNS1_14partition_implILS5_6ELb0ES3_mNS7_12zip_iteratorINS8_INS7_6detail15normal_iteratorINS7_10device_ptrIdEEEESJ_S9_S9_S9_S9_S9_S9_S9_S9_EEEEPSB_SM_NS0_5tupleIJNSE_INS8_ISJ_NS7_16discard_iteratorINS7_11use_defaultEEES9_S9_S9_S9_S9_S9_S9_S9_EEEESB_EEENSN_IJSM_SM_EEESB_PlJNSF_9not_fun_tINSF_14equal_to_valueISA_EEEEEEE10hipError_tPvRmT3_T4_T5_T6_T7_T9_mT8_P12ihipStream_tbDpT10_ENKUlT_T0_E_clISt17integral_constantIbLb1EES1I_IbLb0EEEEDaS1E_S1F_EUlS1E_E_NS1_11comp_targetILNS1_3genE0ELNS1_11target_archE4294967295ELNS1_3gpuE0ELNS1_3repE0EEENS1_30default_config_static_selectorELNS0_4arch9wavefront6targetE0EEEvT1_
	.globl	_ZN7rocprim17ROCPRIM_400000_NS6detail17trampoline_kernelINS0_14default_configENS1_25partition_config_selectorILNS1_17partition_subalgoE6EN6thrust23THRUST_200600_302600_NS5tupleIddNS7_9null_typeES9_S9_S9_S9_S9_S9_S9_EENS0_10empty_typeEbEEZZNS1_14partition_implILS5_6ELb0ES3_mNS7_12zip_iteratorINS8_INS7_6detail15normal_iteratorINS7_10device_ptrIdEEEESJ_S9_S9_S9_S9_S9_S9_S9_S9_EEEEPSB_SM_NS0_5tupleIJNSE_INS8_ISJ_NS7_16discard_iteratorINS7_11use_defaultEEES9_S9_S9_S9_S9_S9_S9_S9_EEEESB_EEENSN_IJSM_SM_EEESB_PlJNSF_9not_fun_tINSF_14equal_to_valueISA_EEEEEEE10hipError_tPvRmT3_T4_T5_T6_T7_T9_mT8_P12ihipStream_tbDpT10_ENKUlT_T0_E_clISt17integral_constantIbLb1EES1I_IbLb0EEEEDaS1E_S1F_EUlS1E_E_NS1_11comp_targetILNS1_3genE0ELNS1_11target_archE4294967295ELNS1_3gpuE0ELNS1_3repE0EEENS1_30default_config_static_selectorELNS0_4arch9wavefront6targetE0EEEvT1_
	.p2align	8
	.type	_ZN7rocprim17ROCPRIM_400000_NS6detail17trampoline_kernelINS0_14default_configENS1_25partition_config_selectorILNS1_17partition_subalgoE6EN6thrust23THRUST_200600_302600_NS5tupleIddNS7_9null_typeES9_S9_S9_S9_S9_S9_S9_EENS0_10empty_typeEbEEZZNS1_14partition_implILS5_6ELb0ES3_mNS7_12zip_iteratorINS8_INS7_6detail15normal_iteratorINS7_10device_ptrIdEEEESJ_S9_S9_S9_S9_S9_S9_S9_S9_EEEEPSB_SM_NS0_5tupleIJNSE_INS8_ISJ_NS7_16discard_iteratorINS7_11use_defaultEEES9_S9_S9_S9_S9_S9_S9_S9_EEEESB_EEENSN_IJSM_SM_EEESB_PlJNSF_9not_fun_tINSF_14equal_to_valueISA_EEEEEEE10hipError_tPvRmT3_T4_T5_T6_T7_T9_mT8_P12ihipStream_tbDpT10_ENKUlT_T0_E_clISt17integral_constantIbLb1EES1I_IbLb0EEEEDaS1E_S1F_EUlS1E_E_NS1_11comp_targetILNS1_3genE0ELNS1_11target_archE4294967295ELNS1_3gpuE0ELNS1_3repE0EEENS1_30default_config_static_selectorELNS0_4arch9wavefront6targetE0EEEvT1_,@function
_ZN7rocprim17ROCPRIM_400000_NS6detail17trampoline_kernelINS0_14default_configENS1_25partition_config_selectorILNS1_17partition_subalgoE6EN6thrust23THRUST_200600_302600_NS5tupleIddNS7_9null_typeES9_S9_S9_S9_S9_S9_S9_EENS0_10empty_typeEbEEZZNS1_14partition_implILS5_6ELb0ES3_mNS7_12zip_iteratorINS8_INS7_6detail15normal_iteratorINS7_10device_ptrIdEEEESJ_S9_S9_S9_S9_S9_S9_S9_S9_EEEEPSB_SM_NS0_5tupleIJNSE_INS8_ISJ_NS7_16discard_iteratorINS7_11use_defaultEEES9_S9_S9_S9_S9_S9_S9_S9_EEEESB_EEENSN_IJSM_SM_EEESB_PlJNSF_9not_fun_tINSF_14equal_to_valueISA_EEEEEEE10hipError_tPvRmT3_T4_T5_T6_T7_T9_mT8_P12ihipStream_tbDpT10_ENKUlT_T0_E_clISt17integral_constantIbLb1EES1I_IbLb0EEEEDaS1E_S1F_EUlS1E_E_NS1_11comp_targetILNS1_3genE0ELNS1_11target_archE4294967295ELNS1_3gpuE0ELNS1_3repE0EEENS1_30default_config_static_selectorELNS0_4arch9wavefront6targetE0EEEvT1_: ; @_ZN7rocprim17ROCPRIM_400000_NS6detail17trampoline_kernelINS0_14default_configENS1_25partition_config_selectorILNS1_17partition_subalgoE6EN6thrust23THRUST_200600_302600_NS5tupleIddNS7_9null_typeES9_S9_S9_S9_S9_S9_S9_EENS0_10empty_typeEbEEZZNS1_14partition_implILS5_6ELb0ES3_mNS7_12zip_iteratorINS8_INS7_6detail15normal_iteratorINS7_10device_ptrIdEEEESJ_S9_S9_S9_S9_S9_S9_S9_S9_EEEEPSB_SM_NS0_5tupleIJNSE_INS8_ISJ_NS7_16discard_iteratorINS7_11use_defaultEEES9_S9_S9_S9_S9_S9_S9_S9_EEEESB_EEENSN_IJSM_SM_EEESB_PlJNSF_9not_fun_tINSF_14equal_to_valueISA_EEEEEEE10hipError_tPvRmT3_T4_T5_T6_T7_T9_mT8_P12ihipStream_tbDpT10_ENKUlT_T0_E_clISt17integral_constantIbLb1EES1I_IbLb0EEEEDaS1E_S1F_EUlS1E_E_NS1_11comp_targetILNS1_3genE0ELNS1_11target_archE4294967295ELNS1_3gpuE0ELNS1_3repE0EEENS1_30default_config_static_selectorELNS0_4arch9wavefront6targetE0EEEvT1_
; %bb.0:
	.section	.rodata,"a",@progbits
	.p2align	6, 0x0
	.amdhsa_kernel _ZN7rocprim17ROCPRIM_400000_NS6detail17trampoline_kernelINS0_14default_configENS1_25partition_config_selectorILNS1_17partition_subalgoE6EN6thrust23THRUST_200600_302600_NS5tupleIddNS7_9null_typeES9_S9_S9_S9_S9_S9_S9_EENS0_10empty_typeEbEEZZNS1_14partition_implILS5_6ELb0ES3_mNS7_12zip_iteratorINS8_INS7_6detail15normal_iteratorINS7_10device_ptrIdEEEESJ_S9_S9_S9_S9_S9_S9_S9_S9_EEEEPSB_SM_NS0_5tupleIJNSE_INS8_ISJ_NS7_16discard_iteratorINS7_11use_defaultEEES9_S9_S9_S9_S9_S9_S9_S9_EEEESB_EEENSN_IJSM_SM_EEESB_PlJNSF_9not_fun_tINSF_14equal_to_valueISA_EEEEEEE10hipError_tPvRmT3_T4_T5_T6_T7_T9_mT8_P12ihipStream_tbDpT10_ENKUlT_T0_E_clISt17integral_constantIbLb1EES1I_IbLb0EEEEDaS1E_S1F_EUlS1E_E_NS1_11comp_targetILNS1_3genE0ELNS1_11target_archE4294967295ELNS1_3gpuE0ELNS1_3repE0EEENS1_30default_config_static_selectorELNS0_4arch9wavefront6targetE0EEEvT1_
		.amdhsa_group_segment_fixed_size 0
		.amdhsa_private_segment_fixed_size 0
		.amdhsa_kernarg_size 152
		.amdhsa_user_sgpr_count 2
		.amdhsa_user_sgpr_dispatch_ptr 0
		.amdhsa_user_sgpr_queue_ptr 0
		.amdhsa_user_sgpr_kernarg_segment_ptr 1
		.amdhsa_user_sgpr_dispatch_id 0
		.amdhsa_user_sgpr_private_segment_size 0
		.amdhsa_wavefront_size32 1
		.amdhsa_uses_dynamic_stack 0
		.amdhsa_enable_private_segment 0
		.amdhsa_system_sgpr_workgroup_id_x 1
		.amdhsa_system_sgpr_workgroup_id_y 0
		.amdhsa_system_sgpr_workgroup_id_z 0
		.amdhsa_system_sgpr_workgroup_info 0
		.amdhsa_system_vgpr_workitem_id 0
		.amdhsa_next_free_vgpr 1
		.amdhsa_next_free_sgpr 1
		.amdhsa_reserve_vcc 0
		.amdhsa_float_round_mode_32 0
		.amdhsa_float_round_mode_16_64 0
		.amdhsa_float_denorm_mode_32 3
		.amdhsa_float_denorm_mode_16_64 3
		.amdhsa_fp16_overflow 0
		.amdhsa_workgroup_processor_mode 1
		.amdhsa_memory_ordered 1
		.amdhsa_forward_progress 1
		.amdhsa_inst_pref_size 0
		.amdhsa_round_robin_scheduling 0
		.amdhsa_exception_fp_ieee_invalid_op 0
		.amdhsa_exception_fp_denorm_src 0
		.amdhsa_exception_fp_ieee_div_zero 0
		.amdhsa_exception_fp_ieee_overflow 0
		.amdhsa_exception_fp_ieee_underflow 0
		.amdhsa_exception_fp_ieee_inexact 0
		.amdhsa_exception_int_div_zero 0
	.end_amdhsa_kernel
	.section	.text._ZN7rocprim17ROCPRIM_400000_NS6detail17trampoline_kernelINS0_14default_configENS1_25partition_config_selectorILNS1_17partition_subalgoE6EN6thrust23THRUST_200600_302600_NS5tupleIddNS7_9null_typeES9_S9_S9_S9_S9_S9_S9_EENS0_10empty_typeEbEEZZNS1_14partition_implILS5_6ELb0ES3_mNS7_12zip_iteratorINS8_INS7_6detail15normal_iteratorINS7_10device_ptrIdEEEESJ_S9_S9_S9_S9_S9_S9_S9_S9_EEEEPSB_SM_NS0_5tupleIJNSE_INS8_ISJ_NS7_16discard_iteratorINS7_11use_defaultEEES9_S9_S9_S9_S9_S9_S9_S9_EEEESB_EEENSN_IJSM_SM_EEESB_PlJNSF_9not_fun_tINSF_14equal_to_valueISA_EEEEEEE10hipError_tPvRmT3_T4_T5_T6_T7_T9_mT8_P12ihipStream_tbDpT10_ENKUlT_T0_E_clISt17integral_constantIbLb1EES1I_IbLb0EEEEDaS1E_S1F_EUlS1E_E_NS1_11comp_targetILNS1_3genE0ELNS1_11target_archE4294967295ELNS1_3gpuE0ELNS1_3repE0EEENS1_30default_config_static_selectorELNS0_4arch9wavefront6targetE0EEEvT1_,"axG",@progbits,_ZN7rocprim17ROCPRIM_400000_NS6detail17trampoline_kernelINS0_14default_configENS1_25partition_config_selectorILNS1_17partition_subalgoE6EN6thrust23THRUST_200600_302600_NS5tupleIddNS7_9null_typeES9_S9_S9_S9_S9_S9_S9_EENS0_10empty_typeEbEEZZNS1_14partition_implILS5_6ELb0ES3_mNS7_12zip_iteratorINS8_INS7_6detail15normal_iteratorINS7_10device_ptrIdEEEESJ_S9_S9_S9_S9_S9_S9_S9_S9_EEEEPSB_SM_NS0_5tupleIJNSE_INS8_ISJ_NS7_16discard_iteratorINS7_11use_defaultEEES9_S9_S9_S9_S9_S9_S9_S9_EEEESB_EEENSN_IJSM_SM_EEESB_PlJNSF_9not_fun_tINSF_14equal_to_valueISA_EEEEEEE10hipError_tPvRmT3_T4_T5_T6_T7_T9_mT8_P12ihipStream_tbDpT10_ENKUlT_T0_E_clISt17integral_constantIbLb1EES1I_IbLb0EEEEDaS1E_S1F_EUlS1E_E_NS1_11comp_targetILNS1_3genE0ELNS1_11target_archE4294967295ELNS1_3gpuE0ELNS1_3repE0EEENS1_30default_config_static_selectorELNS0_4arch9wavefront6targetE0EEEvT1_,comdat
.Lfunc_end1837:
	.size	_ZN7rocprim17ROCPRIM_400000_NS6detail17trampoline_kernelINS0_14default_configENS1_25partition_config_selectorILNS1_17partition_subalgoE6EN6thrust23THRUST_200600_302600_NS5tupleIddNS7_9null_typeES9_S9_S9_S9_S9_S9_S9_EENS0_10empty_typeEbEEZZNS1_14partition_implILS5_6ELb0ES3_mNS7_12zip_iteratorINS8_INS7_6detail15normal_iteratorINS7_10device_ptrIdEEEESJ_S9_S9_S9_S9_S9_S9_S9_S9_EEEEPSB_SM_NS0_5tupleIJNSE_INS8_ISJ_NS7_16discard_iteratorINS7_11use_defaultEEES9_S9_S9_S9_S9_S9_S9_S9_EEEESB_EEENSN_IJSM_SM_EEESB_PlJNSF_9not_fun_tINSF_14equal_to_valueISA_EEEEEEE10hipError_tPvRmT3_T4_T5_T6_T7_T9_mT8_P12ihipStream_tbDpT10_ENKUlT_T0_E_clISt17integral_constantIbLb1EES1I_IbLb0EEEEDaS1E_S1F_EUlS1E_E_NS1_11comp_targetILNS1_3genE0ELNS1_11target_archE4294967295ELNS1_3gpuE0ELNS1_3repE0EEENS1_30default_config_static_selectorELNS0_4arch9wavefront6targetE0EEEvT1_, .Lfunc_end1837-_ZN7rocprim17ROCPRIM_400000_NS6detail17trampoline_kernelINS0_14default_configENS1_25partition_config_selectorILNS1_17partition_subalgoE6EN6thrust23THRUST_200600_302600_NS5tupleIddNS7_9null_typeES9_S9_S9_S9_S9_S9_S9_EENS0_10empty_typeEbEEZZNS1_14partition_implILS5_6ELb0ES3_mNS7_12zip_iteratorINS8_INS7_6detail15normal_iteratorINS7_10device_ptrIdEEEESJ_S9_S9_S9_S9_S9_S9_S9_S9_EEEEPSB_SM_NS0_5tupleIJNSE_INS8_ISJ_NS7_16discard_iteratorINS7_11use_defaultEEES9_S9_S9_S9_S9_S9_S9_S9_EEEESB_EEENSN_IJSM_SM_EEESB_PlJNSF_9not_fun_tINSF_14equal_to_valueISA_EEEEEEE10hipError_tPvRmT3_T4_T5_T6_T7_T9_mT8_P12ihipStream_tbDpT10_ENKUlT_T0_E_clISt17integral_constantIbLb1EES1I_IbLb0EEEEDaS1E_S1F_EUlS1E_E_NS1_11comp_targetILNS1_3genE0ELNS1_11target_archE4294967295ELNS1_3gpuE0ELNS1_3repE0EEENS1_30default_config_static_selectorELNS0_4arch9wavefront6targetE0EEEvT1_
                                        ; -- End function
	.set _ZN7rocprim17ROCPRIM_400000_NS6detail17trampoline_kernelINS0_14default_configENS1_25partition_config_selectorILNS1_17partition_subalgoE6EN6thrust23THRUST_200600_302600_NS5tupleIddNS7_9null_typeES9_S9_S9_S9_S9_S9_S9_EENS0_10empty_typeEbEEZZNS1_14partition_implILS5_6ELb0ES3_mNS7_12zip_iteratorINS8_INS7_6detail15normal_iteratorINS7_10device_ptrIdEEEESJ_S9_S9_S9_S9_S9_S9_S9_S9_EEEEPSB_SM_NS0_5tupleIJNSE_INS8_ISJ_NS7_16discard_iteratorINS7_11use_defaultEEES9_S9_S9_S9_S9_S9_S9_S9_EEEESB_EEENSN_IJSM_SM_EEESB_PlJNSF_9not_fun_tINSF_14equal_to_valueISA_EEEEEEE10hipError_tPvRmT3_T4_T5_T6_T7_T9_mT8_P12ihipStream_tbDpT10_ENKUlT_T0_E_clISt17integral_constantIbLb1EES1I_IbLb0EEEEDaS1E_S1F_EUlS1E_E_NS1_11comp_targetILNS1_3genE0ELNS1_11target_archE4294967295ELNS1_3gpuE0ELNS1_3repE0EEENS1_30default_config_static_selectorELNS0_4arch9wavefront6targetE0EEEvT1_.num_vgpr, 0
	.set _ZN7rocprim17ROCPRIM_400000_NS6detail17trampoline_kernelINS0_14default_configENS1_25partition_config_selectorILNS1_17partition_subalgoE6EN6thrust23THRUST_200600_302600_NS5tupleIddNS7_9null_typeES9_S9_S9_S9_S9_S9_S9_EENS0_10empty_typeEbEEZZNS1_14partition_implILS5_6ELb0ES3_mNS7_12zip_iteratorINS8_INS7_6detail15normal_iteratorINS7_10device_ptrIdEEEESJ_S9_S9_S9_S9_S9_S9_S9_S9_EEEEPSB_SM_NS0_5tupleIJNSE_INS8_ISJ_NS7_16discard_iteratorINS7_11use_defaultEEES9_S9_S9_S9_S9_S9_S9_S9_EEEESB_EEENSN_IJSM_SM_EEESB_PlJNSF_9not_fun_tINSF_14equal_to_valueISA_EEEEEEE10hipError_tPvRmT3_T4_T5_T6_T7_T9_mT8_P12ihipStream_tbDpT10_ENKUlT_T0_E_clISt17integral_constantIbLb1EES1I_IbLb0EEEEDaS1E_S1F_EUlS1E_E_NS1_11comp_targetILNS1_3genE0ELNS1_11target_archE4294967295ELNS1_3gpuE0ELNS1_3repE0EEENS1_30default_config_static_selectorELNS0_4arch9wavefront6targetE0EEEvT1_.num_agpr, 0
	.set _ZN7rocprim17ROCPRIM_400000_NS6detail17trampoline_kernelINS0_14default_configENS1_25partition_config_selectorILNS1_17partition_subalgoE6EN6thrust23THRUST_200600_302600_NS5tupleIddNS7_9null_typeES9_S9_S9_S9_S9_S9_S9_EENS0_10empty_typeEbEEZZNS1_14partition_implILS5_6ELb0ES3_mNS7_12zip_iteratorINS8_INS7_6detail15normal_iteratorINS7_10device_ptrIdEEEESJ_S9_S9_S9_S9_S9_S9_S9_S9_EEEEPSB_SM_NS0_5tupleIJNSE_INS8_ISJ_NS7_16discard_iteratorINS7_11use_defaultEEES9_S9_S9_S9_S9_S9_S9_S9_EEEESB_EEENSN_IJSM_SM_EEESB_PlJNSF_9not_fun_tINSF_14equal_to_valueISA_EEEEEEE10hipError_tPvRmT3_T4_T5_T6_T7_T9_mT8_P12ihipStream_tbDpT10_ENKUlT_T0_E_clISt17integral_constantIbLb1EES1I_IbLb0EEEEDaS1E_S1F_EUlS1E_E_NS1_11comp_targetILNS1_3genE0ELNS1_11target_archE4294967295ELNS1_3gpuE0ELNS1_3repE0EEENS1_30default_config_static_selectorELNS0_4arch9wavefront6targetE0EEEvT1_.numbered_sgpr, 0
	.set _ZN7rocprim17ROCPRIM_400000_NS6detail17trampoline_kernelINS0_14default_configENS1_25partition_config_selectorILNS1_17partition_subalgoE6EN6thrust23THRUST_200600_302600_NS5tupleIddNS7_9null_typeES9_S9_S9_S9_S9_S9_S9_EENS0_10empty_typeEbEEZZNS1_14partition_implILS5_6ELb0ES3_mNS7_12zip_iteratorINS8_INS7_6detail15normal_iteratorINS7_10device_ptrIdEEEESJ_S9_S9_S9_S9_S9_S9_S9_S9_EEEEPSB_SM_NS0_5tupleIJNSE_INS8_ISJ_NS7_16discard_iteratorINS7_11use_defaultEEES9_S9_S9_S9_S9_S9_S9_S9_EEEESB_EEENSN_IJSM_SM_EEESB_PlJNSF_9not_fun_tINSF_14equal_to_valueISA_EEEEEEE10hipError_tPvRmT3_T4_T5_T6_T7_T9_mT8_P12ihipStream_tbDpT10_ENKUlT_T0_E_clISt17integral_constantIbLb1EES1I_IbLb0EEEEDaS1E_S1F_EUlS1E_E_NS1_11comp_targetILNS1_3genE0ELNS1_11target_archE4294967295ELNS1_3gpuE0ELNS1_3repE0EEENS1_30default_config_static_selectorELNS0_4arch9wavefront6targetE0EEEvT1_.num_named_barrier, 0
	.set _ZN7rocprim17ROCPRIM_400000_NS6detail17trampoline_kernelINS0_14default_configENS1_25partition_config_selectorILNS1_17partition_subalgoE6EN6thrust23THRUST_200600_302600_NS5tupleIddNS7_9null_typeES9_S9_S9_S9_S9_S9_S9_EENS0_10empty_typeEbEEZZNS1_14partition_implILS5_6ELb0ES3_mNS7_12zip_iteratorINS8_INS7_6detail15normal_iteratorINS7_10device_ptrIdEEEESJ_S9_S9_S9_S9_S9_S9_S9_S9_EEEEPSB_SM_NS0_5tupleIJNSE_INS8_ISJ_NS7_16discard_iteratorINS7_11use_defaultEEES9_S9_S9_S9_S9_S9_S9_S9_EEEESB_EEENSN_IJSM_SM_EEESB_PlJNSF_9not_fun_tINSF_14equal_to_valueISA_EEEEEEE10hipError_tPvRmT3_T4_T5_T6_T7_T9_mT8_P12ihipStream_tbDpT10_ENKUlT_T0_E_clISt17integral_constantIbLb1EES1I_IbLb0EEEEDaS1E_S1F_EUlS1E_E_NS1_11comp_targetILNS1_3genE0ELNS1_11target_archE4294967295ELNS1_3gpuE0ELNS1_3repE0EEENS1_30default_config_static_selectorELNS0_4arch9wavefront6targetE0EEEvT1_.private_seg_size, 0
	.set _ZN7rocprim17ROCPRIM_400000_NS6detail17trampoline_kernelINS0_14default_configENS1_25partition_config_selectorILNS1_17partition_subalgoE6EN6thrust23THRUST_200600_302600_NS5tupleIddNS7_9null_typeES9_S9_S9_S9_S9_S9_S9_EENS0_10empty_typeEbEEZZNS1_14partition_implILS5_6ELb0ES3_mNS7_12zip_iteratorINS8_INS7_6detail15normal_iteratorINS7_10device_ptrIdEEEESJ_S9_S9_S9_S9_S9_S9_S9_S9_EEEEPSB_SM_NS0_5tupleIJNSE_INS8_ISJ_NS7_16discard_iteratorINS7_11use_defaultEEES9_S9_S9_S9_S9_S9_S9_S9_EEEESB_EEENSN_IJSM_SM_EEESB_PlJNSF_9not_fun_tINSF_14equal_to_valueISA_EEEEEEE10hipError_tPvRmT3_T4_T5_T6_T7_T9_mT8_P12ihipStream_tbDpT10_ENKUlT_T0_E_clISt17integral_constantIbLb1EES1I_IbLb0EEEEDaS1E_S1F_EUlS1E_E_NS1_11comp_targetILNS1_3genE0ELNS1_11target_archE4294967295ELNS1_3gpuE0ELNS1_3repE0EEENS1_30default_config_static_selectorELNS0_4arch9wavefront6targetE0EEEvT1_.uses_vcc, 0
	.set _ZN7rocprim17ROCPRIM_400000_NS6detail17trampoline_kernelINS0_14default_configENS1_25partition_config_selectorILNS1_17partition_subalgoE6EN6thrust23THRUST_200600_302600_NS5tupleIddNS7_9null_typeES9_S9_S9_S9_S9_S9_S9_EENS0_10empty_typeEbEEZZNS1_14partition_implILS5_6ELb0ES3_mNS7_12zip_iteratorINS8_INS7_6detail15normal_iteratorINS7_10device_ptrIdEEEESJ_S9_S9_S9_S9_S9_S9_S9_S9_EEEEPSB_SM_NS0_5tupleIJNSE_INS8_ISJ_NS7_16discard_iteratorINS7_11use_defaultEEES9_S9_S9_S9_S9_S9_S9_S9_EEEESB_EEENSN_IJSM_SM_EEESB_PlJNSF_9not_fun_tINSF_14equal_to_valueISA_EEEEEEE10hipError_tPvRmT3_T4_T5_T6_T7_T9_mT8_P12ihipStream_tbDpT10_ENKUlT_T0_E_clISt17integral_constantIbLb1EES1I_IbLb0EEEEDaS1E_S1F_EUlS1E_E_NS1_11comp_targetILNS1_3genE0ELNS1_11target_archE4294967295ELNS1_3gpuE0ELNS1_3repE0EEENS1_30default_config_static_selectorELNS0_4arch9wavefront6targetE0EEEvT1_.uses_flat_scratch, 0
	.set _ZN7rocprim17ROCPRIM_400000_NS6detail17trampoline_kernelINS0_14default_configENS1_25partition_config_selectorILNS1_17partition_subalgoE6EN6thrust23THRUST_200600_302600_NS5tupleIddNS7_9null_typeES9_S9_S9_S9_S9_S9_S9_EENS0_10empty_typeEbEEZZNS1_14partition_implILS5_6ELb0ES3_mNS7_12zip_iteratorINS8_INS7_6detail15normal_iteratorINS7_10device_ptrIdEEEESJ_S9_S9_S9_S9_S9_S9_S9_S9_EEEEPSB_SM_NS0_5tupleIJNSE_INS8_ISJ_NS7_16discard_iteratorINS7_11use_defaultEEES9_S9_S9_S9_S9_S9_S9_S9_EEEESB_EEENSN_IJSM_SM_EEESB_PlJNSF_9not_fun_tINSF_14equal_to_valueISA_EEEEEEE10hipError_tPvRmT3_T4_T5_T6_T7_T9_mT8_P12ihipStream_tbDpT10_ENKUlT_T0_E_clISt17integral_constantIbLb1EES1I_IbLb0EEEEDaS1E_S1F_EUlS1E_E_NS1_11comp_targetILNS1_3genE0ELNS1_11target_archE4294967295ELNS1_3gpuE0ELNS1_3repE0EEENS1_30default_config_static_selectorELNS0_4arch9wavefront6targetE0EEEvT1_.has_dyn_sized_stack, 0
	.set _ZN7rocprim17ROCPRIM_400000_NS6detail17trampoline_kernelINS0_14default_configENS1_25partition_config_selectorILNS1_17partition_subalgoE6EN6thrust23THRUST_200600_302600_NS5tupleIddNS7_9null_typeES9_S9_S9_S9_S9_S9_S9_EENS0_10empty_typeEbEEZZNS1_14partition_implILS5_6ELb0ES3_mNS7_12zip_iteratorINS8_INS7_6detail15normal_iteratorINS7_10device_ptrIdEEEESJ_S9_S9_S9_S9_S9_S9_S9_S9_EEEEPSB_SM_NS0_5tupleIJNSE_INS8_ISJ_NS7_16discard_iteratorINS7_11use_defaultEEES9_S9_S9_S9_S9_S9_S9_S9_EEEESB_EEENSN_IJSM_SM_EEESB_PlJNSF_9not_fun_tINSF_14equal_to_valueISA_EEEEEEE10hipError_tPvRmT3_T4_T5_T6_T7_T9_mT8_P12ihipStream_tbDpT10_ENKUlT_T0_E_clISt17integral_constantIbLb1EES1I_IbLb0EEEEDaS1E_S1F_EUlS1E_E_NS1_11comp_targetILNS1_3genE0ELNS1_11target_archE4294967295ELNS1_3gpuE0ELNS1_3repE0EEENS1_30default_config_static_selectorELNS0_4arch9wavefront6targetE0EEEvT1_.has_recursion, 0
	.set _ZN7rocprim17ROCPRIM_400000_NS6detail17trampoline_kernelINS0_14default_configENS1_25partition_config_selectorILNS1_17partition_subalgoE6EN6thrust23THRUST_200600_302600_NS5tupleIddNS7_9null_typeES9_S9_S9_S9_S9_S9_S9_EENS0_10empty_typeEbEEZZNS1_14partition_implILS5_6ELb0ES3_mNS7_12zip_iteratorINS8_INS7_6detail15normal_iteratorINS7_10device_ptrIdEEEESJ_S9_S9_S9_S9_S9_S9_S9_S9_EEEEPSB_SM_NS0_5tupleIJNSE_INS8_ISJ_NS7_16discard_iteratorINS7_11use_defaultEEES9_S9_S9_S9_S9_S9_S9_S9_EEEESB_EEENSN_IJSM_SM_EEESB_PlJNSF_9not_fun_tINSF_14equal_to_valueISA_EEEEEEE10hipError_tPvRmT3_T4_T5_T6_T7_T9_mT8_P12ihipStream_tbDpT10_ENKUlT_T0_E_clISt17integral_constantIbLb1EES1I_IbLb0EEEEDaS1E_S1F_EUlS1E_E_NS1_11comp_targetILNS1_3genE0ELNS1_11target_archE4294967295ELNS1_3gpuE0ELNS1_3repE0EEENS1_30default_config_static_selectorELNS0_4arch9wavefront6targetE0EEEvT1_.has_indirect_call, 0
	.section	.AMDGPU.csdata,"",@progbits
; Kernel info:
; codeLenInByte = 0
; TotalNumSgprs: 0
; NumVgprs: 0
; ScratchSize: 0
; MemoryBound: 0
; FloatMode: 240
; IeeeMode: 1
; LDSByteSize: 0 bytes/workgroup (compile time only)
; SGPRBlocks: 0
; VGPRBlocks: 0
; NumSGPRsForWavesPerEU: 1
; NumVGPRsForWavesPerEU: 1
; Occupancy: 16
; WaveLimiterHint : 0
; COMPUTE_PGM_RSRC2:SCRATCH_EN: 0
; COMPUTE_PGM_RSRC2:USER_SGPR: 2
; COMPUTE_PGM_RSRC2:TRAP_HANDLER: 0
; COMPUTE_PGM_RSRC2:TGID_X_EN: 1
; COMPUTE_PGM_RSRC2:TGID_Y_EN: 0
; COMPUTE_PGM_RSRC2:TGID_Z_EN: 0
; COMPUTE_PGM_RSRC2:TIDIG_COMP_CNT: 0
	.section	.text._ZN7rocprim17ROCPRIM_400000_NS6detail17trampoline_kernelINS0_14default_configENS1_25partition_config_selectorILNS1_17partition_subalgoE6EN6thrust23THRUST_200600_302600_NS5tupleIddNS7_9null_typeES9_S9_S9_S9_S9_S9_S9_EENS0_10empty_typeEbEEZZNS1_14partition_implILS5_6ELb0ES3_mNS7_12zip_iteratorINS8_INS7_6detail15normal_iteratorINS7_10device_ptrIdEEEESJ_S9_S9_S9_S9_S9_S9_S9_S9_EEEEPSB_SM_NS0_5tupleIJNSE_INS8_ISJ_NS7_16discard_iteratorINS7_11use_defaultEEES9_S9_S9_S9_S9_S9_S9_S9_EEEESB_EEENSN_IJSM_SM_EEESB_PlJNSF_9not_fun_tINSF_14equal_to_valueISA_EEEEEEE10hipError_tPvRmT3_T4_T5_T6_T7_T9_mT8_P12ihipStream_tbDpT10_ENKUlT_T0_E_clISt17integral_constantIbLb1EES1I_IbLb0EEEEDaS1E_S1F_EUlS1E_E_NS1_11comp_targetILNS1_3genE5ELNS1_11target_archE942ELNS1_3gpuE9ELNS1_3repE0EEENS1_30default_config_static_selectorELNS0_4arch9wavefront6targetE0EEEvT1_,"axG",@progbits,_ZN7rocprim17ROCPRIM_400000_NS6detail17trampoline_kernelINS0_14default_configENS1_25partition_config_selectorILNS1_17partition_subalgoE6EN6thrust23THRUST_200600_302600_NS5tupleIddNS7_9null_typeES9_S9_S9_S9_S9_S9_S9_EENS0_10empty_typeEbEEZZNS1_14partition_implILS5_6ELb0ES3_mNS7_12zip_iteratorINS8_INS7_6detail15normal_iteratorINS7_10device_ptrIdEEEESJ_S9_S9_S9_S9_S9_S9_S9_S9_EEEEPSB_SM_NS0_5tupleIJNSE_INS8_ISJ_NS7_16discard_iteratorINS7_11use_defaultEEES9_S9_S9_S9_S9_S9_S9_S9_EEEESB_EEENSN_IJSM_SM_EEESB_PlJNSF_9not_fun_tINSF_14equal_to_valueISA_EEEEEEE10hipError_tPvRmT3_T4_T5_T6_T7_T9_mT8_P12ihipStream_tbDpT10_ENKUlT_T0_E_clISt17integral_constantIbLb1EES1I_IbLb0EEEEDaS1E_S1F_EUlS1E_E_NS1_11comp_targetILNS1_3genE5ELNS1_11target_archE942ELNS1_3gpuE9ELNS1_3repE0EEENS1_30default_config_static_selectorELNS0_4arch9wavefront6targetE0EEEvT1_,comdat
	.protected	_ZN7rocprim17ROCPRIM_400000_NS6detail17trampoline_kernelINS0_14default_configENS1_25partition_config_selectorILNS1_17partition_subalgoE6EN6thrust23THRUST_200600_302600_NS5tupleIddNS7_9null_typeES9_S9_S9_S9_S9_S9_S9_EENS0_10empty_typeEbEEZZNS1_14partition_implILS5_6ELb0ES3_mNS7_12zip_iteratorINS8_INS7_6detail15normal_iteratorINS7_10device_ptrIdEEEESJ_S9_S9_S9_S9_S9_S9_S9_S9_EEEEPSB_SM_NS0_5tupleIJNSE_INS8_ISJ_NS7_16discard_iteratorINS7_11use_defaultEEES9_S9_S9_S9_S9_S9_S9_S9_EEEESB_EEENSN_IJSM_SM_EEESB_PlJNSF_9not_fun_tINSF_14equal_to_valueISA_EEEEEEE10hipError_tPvRmT3_T4_T5_T6_T7_T9_mT8_P12ihipStream_tbDpT10_ENKUlT_T0_E_clISt17integral_constantIbLb1EES1I_IbLb0EEEEDaS1E_S1F_EUlS1E_E_NS1_11comp_targetILNS1_3genE5ELNS1_11target_archE942ELNS1_3gpuE9ELNS1_3repE0EEENS1_30default_config_static_selectorELNS0_4arch9wavefront6targetE0EEEvT1_ ; -- Begin function _ZN7rocprim17ROCPRIM_400000_NS6detail17trampoline_kernelINS0_14default_configENS1_25partition_config_selectorILNS1_17partition_subalgoE6EN6thrust23THRUST_200600_302600_NS5tupleIddNS7_9null_typeES9_S9_S9_S9_S9_S9_S9_EENS0_10empty_typeEbEEZZNS1_14partition_implILS5_6ELb0ES3_mNS7_12zip_iteratorINS8_INS7_6detail15normal_iteratorINS7_10device_ptrIdEEEESJ_S9_S9_S9_S9_S9_S9_S9_S9_EEEEPSB_SM_NS0_5tupleIJNSE_INS8_ISJ_NS7_16discard_iteratorINS7_11use_defaultEEES9_S9_S9_S9_S9_S9_S9_S9_EEEESB_EEENSN_IJSM_SM_EEESB_PlJNSF_9not_fun_tINSF_14equal_to_valueISA_EEEEEEE10hipError_tPvRmT3_T4_T5_T6_T7_T9_mT8_P12ihipStream_tbDpT10_ENKUlT_T0_E_clISt17integral_constantIbLb1EES1I_IbLb0EEEEDaS1E_S1F_EUlS1E_E_NS1_11comp_targetILNS1_3genE5ELNS1_11target_archE942ELNS1_3gpuE9ELNS1_3repE0EEENS1_30default_config_static_selectorELNS0_4arch9wavefront6targetE0EEEvT1_
	.globl	_ZN7rocprim17ROCPRIM_400000_NS6detail17trampoline_kernelINS0_14default_configENS1_25partition_config_selectorILNS1_17partition_subalgoE6EN6thrust23THRUST_200600_302600_NS5tupleIddNS7_9null_typeES9_S9_S9_S9_S9_S9_S9_EENS0_10empty_typeEbEEZZNS1_14partition_implILS5_6ELb0ES3_mNS7_12zip_iteratorINS8_INS7_6detail15normal_iteratorINS7_10device_ptrIdEEEESJ_S9_S9_S9_S9_S9_S9_S9_S9_EEEEPSB_SM_NS0_5tupleIJNSE_INS8_ISJ_NS7_16discard_iteratorINS7_11use_defaultEEES9_S9_S9_S9_S9_S9_S9_S9_EEEESB_EEENSN_IJSM_SM_EEESB_PlJNSF_9not_fun_tINSF_14equal_to_valueISA_EEEEEEE10hipError_tPvRmT3_T4_T5_T6_T7_T9_mT8_P12ihipStream_tbDpT10_ENKUlT_T0_E_clISt17integral_constantIbLb1EES1I_IbLb0EEEEDaS1E_S1F_EUlS1E_E_NS1_11comp_targetILNS1_3genE5ELNS1_11target_archE942ELNS1_3gpuE9ELNS1_3repE0EEENS1_30default_config_static_selectorELNS0_4arch9wavefront6targetE0EEEvT1_
	.p2align	8
	.type	_ZN7rocprim17ROCPRIM_400000_NS6detail17trampoline_kernelINS0_14default_configENS1_25partition_config_selectorILNS1_17partition_subalgoE6EN6thrust23THRUST_200600_302600_NS5tupleIddNS7_9null_typeES9_S9_S9_S9_S9_S9_S9_EENS0_10empty_typeEbEEZZNS1_14partition_implILS5_6ELb0ES3_mNS7_12zip_iteratorINS8_INS7_6detail15normal_iteratorINS7_10device_ptrIdEEEESJ_S9_S9_S9_S9_S9_S9_S9_S9_EEEEPSB_SM_NS0_5tupleIJNSE_INS8_ISJ_NS7_16discard_iteratorINS7_11use_defaultEEES9_S9_S9_S9_S9_S9_S9_S9_EEEESB_EEENSN_IJSM_SM_EEESB_PlJNSF_9not_fun_tINSF_14equal_to_valueISA_EEEEEEE10hipError_tPvRmT3_T4_T5_T6_T7_T9_mT8_P12ihipStream_tbDpT10_ENKUlT_T0_E_clISt17integral_constantIbLb1EES1I_IbLb0EEEEDaS1E_S1F_EUlS1E_E_NS1_11comp_targetILNS1_3genE5ELNS1_11target_archE942ELNS1_3gpuE9ELNS1_3repE0EEENS1_30default_config_static_selectorELNS0_4arch9wavefront6targetE0EEEvT1_,@function
_ZN7rocprim17ROCPRIM_400000_NS6detail17trampoline_kernelINS0_14default_configENS1_25partition_config_selectorILNS1_17partition_subalgoE6EN6thrust23THRUST_200600_302600_NS5tupleIddNS7_9null_typeES9_S9_S9_S9_S9_S9_S9_EENS0_10empty_typeEbEEZZNS1_14partition_implILS5_6ELb0ES3_mNS7_12zip_iteratorINS8_INS7_6detail15normal_iteratorINS7_10device_ptrIdEEEESJ_S9_S9_S9_S9_S9_S9_S9_S9_EEEEPSB_SM_NS0_5tupleIJNSE_INS8_ISJ_NS7_16discard_iteratorINS7_11use_defaultEEES9_S9_S9_S9_S9_S9_S9_S9_EEEESB_EEENSN_IJSM_SM_EEESB_PlJNSF_9not_fun_tINSF_14equal_to_valueISA_EEEEEEE10hipError_tPvRmT3_T4_T5_T6_T7_T9_mT8_P12ihipStream_tbDpT10_ENKUlT_T0_E_clISt17integral_constantIbLb1EES1I_IbLb0EEEEDaS1E_S1F_EUlS1E_E_NS1_11comp_targetILNS1_3genE5ELNS1_11target_archE942ELNS1_3gpuE9ELNS1_3repE0EEENS1_30default_config_static_selectorELNS0_4arch9wavefront6targetE0EEEvT1_: ; @_ZN7rocprim17ROCPRIM_400000_NS6detail17trampoline_kernelINS0_14default_configENS1_25partition_config_selectorILNS1_17partition_subalgoE6EN6thrust23THRUST_200600_302600_NS5tupleIddNS7_9null_typeES9_S9_S9_S9_S9_S9_S9_EENS0_10empty_typeEbEEZZNS1_14partition_implILS5_6ELb0ES3_mNS7_12zip_iteratorINS8_INS7_6detail15normal_iteratorINS7_10device_ptrIdEEEESJ_S9_S9_S9_S9_S9_S9_S9_S9_EEEEPSB_SM_NS0_5tupleIJNSE_INS8_ISJ_NS7_16discard_iteratorINS7_11use_defaultEEES9_S9_S9_S9_S9_S9_S9_S9_EEEESB_EEENSN_IJSM_SM_EEESB_PlJNSF_9not_fun_tINSF_14equal_to_valueISA_EEEEEEE10hipError_tPvRmT3_T4_T5_T6_T7_T9_mT8_P12ihipStream_tbDpT10_ENKUlT_T0_E_clISt17integral_constantIbLb1EES1I_IbLb0EEEEDaS1E_S1F_EUlS1E_E_NS1_11comp_targetILNS1_3genE5ELNS1_11target_archE942ELNS1_3gpuE9ELNS1_3repE0EEENS1_30default_config_static_selectorELNS0_4arch9wavefront6targetE0EEEvT1_
; %bb.0:
	.section	.rodata,"a",@progbits
	.p2align	6, 0x0
	.amdhsa_kernel _ZN7rocprim17ROCPRIM_400000_NS6detail17trampoline_kernelINS0_14default_configENS1_25partition_config_selectorILNS1_17partition_subalgoE6EN6thrust23THRUST_200600_302600_NS5tupleIddNS7_9null_typeES9_S9_S9_S9_S9_S9_S9_EENS0_10empty_typeEbEEZZNS1_14partition_implILS5_6ELb0ES3_mNS7_12zip_iteratorINS8_INS7_6detail15normal_iteratorINS7_10device_ptrIdEEEESJ_S9_S9_S9_S9_S9_S9_S9_S9_EEEEPSB_SM_NS0_5tupleIJNSE_INS8_ISJ_NS7_16discard_iteratorINS7_11use_defaultEEES9_S9_S9_S9_S9_S9_S9_S9_EEEESB_EEENSN_IJSM_SM_EEESB_PlJNSF_9not_fun_tINSF_14equal_to_valueISA_EEEEEEE10hipError_tPvRmT3_T4_T5_T6_T7_T9_mT8_P12ihipStream_tbDpT10_ENKUlT_T0_E_clISt17integral_constantIbLb1EES1I_IbLb0EEEEDaS1E_S1F_EUlS1E_E_NS1_11comp_targetILNS1_3genE5ELNS1_11target_archE942ELNS1_3gpuE9ELNS1_3repE0EEENS1_30default_config_static_selectorELNS0_4arch9wavefront6targetE0EEEvT1_
		.amdhsa_group_segment_fixed_size 0
		.amdhsa_private_segment_fixed_size 0
		.amdhsa_kernarg_size 152
		.amdhsa_user_sgpr_count 2
		.amdhsa_user_sgpr_dispatch_ptr 0
		.amdhsa_user_sgpr_queue_ptr 0
		.amdhsa_user_sgpr_kernarg_segment_ptr 1
		.amdhsa_user_sgpr_dispatch_id 0
		.amdhsa_user_sgpr_private_segment_size 0
		.amdhsa_wavefront_size32 1
		.amdhsa_uses_dynamic_stack 0
		.amdhsa_enable_private_segment 0
		.amdhsa_system_sgpr_workgroup_id_x 1
		.amdhsa_system_sgpr_workgroup_id_y 0
		.amdhsa_system_sgpr_workgroup_id_z 0
		.amdhsa_system_sgpr_workgroup_info 0
		.amdhsa_system_vgpr_workitem_id 0
		.amdhsa_next_free_vgpr 1
		.amdhsa_next_free_sgpr 1
		.amdhsa_reserve_vcc 0
		.amdhsa_float_round_mode_32 0
		.amdhsa_float_round_mode_16_64 0
		.amdhsa_float_denorm_mode_32 3
		.amdhsa_float_denorm_mode_16_64 3
		.amdhsa_fp16_overflow 0
		.amdhsa_workgroup_processor_mode 1
		.amdhsa_memory_ordered 1
		.amdhsa_forward_progress 1
		.amdhsa_inst_pref_size 0
		.amdhsa_round_robin_scheduling 0
		.amdhsa_exception_fp_ieee_invalid_op 0
		.amdhsa_exception_fp_denorm_src 0
		.amdhsa_exception_fp_ieee_div_zero 0
		.amdhsa_exception_fp_ieee_overflow 0
		.amdhsa_exception_fp_ieee_underflow 0
		.amdhsa_exception_fp_ieee_inexact 0
		.amdhsa_exception_int_div_zero 0
	.end_amdhsa_kernel
	.section	.text._ZN7rocprim17ROCPRIM_400000_NS6detail17trampoline_kernelINS0_14default_configENS1_25partition_config_selectorILNS1_17partition_subalgoE6EN6thrust23THRUST_200600_302600_NS5tupleIddNS7_9null_typeES9_S9_S9_S9_S9_S9_S9_EENS0_10empty_typeEbEEZZNS1_14partition_implILS5_6ELb0ES3_mNS7_12zip_iteratorINS8_INS7_6detail15normal_iteratorINS7_10device_ptrIdEEEESJ_S9_S9_S9_S9_S9_S9_S9_S9_EEEEPSB_SM_NS0_5tupleIJNSE_INS8_ISJ_NS7_16discard_iteratorINS7_11use_defaultEEES9_S9_S9_S9_S9_S9_S9_S9_EEEESB_EEENSN_IJSM_SM_EEESB_PlJNSF_9not_fun_tINSF_14equal_to_valueISA_EEEEEEE10hipError_tPvRmT3_T4_T5_T6_T7_T9_mT8_P12ihipStream_tbDpT10_ENKUlT_T0_E_clISt17integral_constantIbLb1EES1I_IbLb0EEEEDaS1E_S1F_EUlS1E_E_NS1_11comp_targetILNS1_3genE5ELNS1_11target_archE942ELNS1_3gpuE9ELNS1_3repE0EEENS1_30default_config_static_selectorELNS0_4arch9wavefront6targetE0EEEvT1_,"axG",@progbits,_ZN7rocprim17ROCPRIM_400000_NS6detail17trampoline_kernelINS0_14default_configENS1_25partition_config_selectorILNS1_17partition_subalgoE6EN6thrust23THRUST_200600_302600_NS5tupleIddNS7_9null_typeES9_S9_S9_S9_S9_S9_S9_EENS0_10empty_typeEbEEZZNS1_14partition_implILS5_6ELb0ES3_mNS7_12zip_iteratorINS8_INS7_6detail15normal_iteratorINS7_10device_ptrIdEEEESJ_S9_S9_S9_S9_S9_S9_S9_S9_EEEEPSB_SM_NS0_5tupleIJNSE_INS8_ISJ_NS7_16discard_iteratorINS7_11use_defaultEEES9_S9_S9_S9_S9_S9_S9_S9_EEEESB_EEENSN_IJSM_SM_EEESB_PlJNSF_9not_fun_tINSF_14equal_to_valueISA_EEEEEEE10hipError_tPvRmT3_T4_T5_T6_T7_T9_mT8_P12ihipStream_tbDpT10_ENKUlT_T0_E_clISt17integral_constantIbLb1EES1I_IbLb0EEEEDaS1E_S1F_EUlS1E_E_NS1_11comp_targetILNS1_3genE5ELNS1_11target_archE942ELNS1_3gpuE9ELNS1_3repE0EEENS1_30default_config_static_selectorELNS0_4arch9wavefront6targetE0EEEvT1_,comdat
.Lfunc_end1838:
	.size	_ZN7rocprim17ROCPRIM_400000_NS6detail17trampoline_kernelINS0_14default_configENS1_25partition_config_selectorILNS1_17partition_subalgoE6EN6thrust23THRUST_200600_302600_NS5tupleIddNS7_9null_typeES9_S9_S9_S9_S9_S9_S9_EENS0_10empty_typeEbEEZZNS1_14partition_implILS5_6ELb0ES3_mNS7_12zip_iteratorINS8_INS7_6detail15normal_iteratorINS7_10device_ptrIdEEEESJ_S9_S9_S9_S9_S9_S9_S9_S9_EEEEPSB_SM_NS0_5tupleIJNSE_INS8_ISJ_NS7_16discard_iteratorINS7_11use_defaultEEES9_S9_S9_S9_S9_S9_S9_S9_EEEESB_EEENSN_IJSM_SM_EEESB_PlJNSF_9not_fun_tINSF_14equal_to_valueISA_EEEEEEE10hipError_tPvRmT3_T4_T5_T6_T7_T9_mT8_P12ihipStream_tbDpT10_ENKUlT_T0_E_clISt17integral_constantIbLb1EES1I_IbLb0EEEEDaS1E_S1F_EUlS1E_E_NS1_11comp_targetILNS1_3genE5ELNS1_11target_archE942ELNS1_3gpuE9ELNS1_3repE0EEENS1_30default_config_static_selectorELNS0_4arch9wavefront6targetE0EEEvT1_, .Lfunc_end1838-_ZN7rocprim17ROCPRIM_400000_NS6detail17trampoline_kernelINS0_14default_configENS1_25partition_config_selectorILNS1_17partition_subalgoE6EN6thrust23THRUST_200600_302600_NS5tupleIddNS7_9null_typeES9_S9_S9_S9_S9_S9_S9_EENS0_10empty_typeEbEEZZNS1_14partition_implILS5_6ELb0ES3_mNS7_12zip_iteratorINS8_INS7_6detail15normal_iteratorINS7_10device_ptrIdEEEESJ_S9_S9_S9_S9_S9_S9_S9_S9_EEEEPSB_SM_NS0_5tupleIJNSE_INS8_ISJ_NS7_16discard_iteratorINS7_11use_defaultEEES9_S9_S9_S9_S9_S9_S9_S9_EEEESB_EEENSN_IJSM_SM_EEESB_PlJNSF_9not_fun_tINSF_14equal_to_valueISA_EEEEEEE10hipError_tPvRmT3_T4_T5_T6_T7_T9_mT8_P12ihipStream_tbDpT10_ENKUlT_T0_E_clISt17integral_constantIbLb1EES1I_IbLb0EEEEDaS1E_S1F_EUlS1E_E_NS1_11comp_targetILNS1_3genE5ELNS1_11target_archE942ELNS1_3gpuE9ELNS1_3repE0EEENS1_30default_config_static_selectorELNS0_4arch9wavefront6targetE0EEEvT1_
                                        ; -- End function
	.set _ZN7rocprim17ROCPRIM_400000_NS6detail17trampoline_kernelINS0_14default_configENS1_25partition_config_selectorILNS1_17partition_subalgoE6EN6thrust23THRUST_200600_302600_NS5tupleIddNS7_9null_typeES9_S9_S9_S9_S9_S9_S9_EENS0_10empty_typeEbEEZZNS1_14partition_implILS5_6ELb0ES3_mNS7_12zip_iteratorINS8_INS7_6detail15normal_iteratorINS7_10device_ptrIdEEEESJ_S9_S9_S9_S9_S9_S9_S9_S9_EEEEPSB_SM_NS0_5tupleIJNSE_INS8_ISJ_NS7_16discard_iteratorINS7_11use_defaultEEES9_S9_S9_S9_S9_S9_S9_S9_EEEESB_EEENSN_IJSM_SM_EEESB_PlJNSF_9not_fun_tINSF_14equal_to_valueISA_EEEEEEE10hipError_tPvRmT3_T4_T5_T6_T7_T9_mT8_P12ihipStream_tbDpT10_ENKUlT_T0_E_clISt17integral_constantIbLb1EES1I_IbLb0EEEEDaS1E_S1F_EUlS1E_E_NS1_11comp_targetILNS1_3genE5ELNS1_11target_archE942ELNS1_3gpuE9ELNS1_3repE0EEENS1_30default_config_static_selectorELNS0_4arch9wavefront6targetE0EEEvT1_.num_vgpr, 0
	.set _ZN7rocprim17ROCPRIM_400000_NS6detail17trampoline_kernelINS0_14default_configENS1_25partition_config_selectorILNS1_17partition_subalgoE6EN6thrust23THRUST_200600_302600_NS5tupleIddNS7_9null_typeES9_S9_S9_S9_S9_S9_S9_EENS0_10empty_typeEbEEZZNS1_14partition_implILS5_6ELb0ES3_mNS7_12zip_iteratorINS8_INS7_6detail15normal_iteratorINS7_10device_ptrIdEEEESJ_S9_S9_S9_S9_S9_S9_S9_S9_EEEEPSB_SM_NS0_5tupleIJNSE_INS8_ISJ_NS7_16discard_iteratorINS7_11use_defaultEEES9_S9_S9_S9_S9_S9_S9_S9_EEEESB_EEENSN_IJSM_SM_EEESB_PlJNSF_9not_fun_tINSF_14equal_to_valueISA_EEEEEEE10hipError_tPvRmT3_T4_T5_T6_T7_T9_mT8_P12ihipStream_tbDpT10_ENKUlT_T0_E_clISt17integral_constantIbLb1EES1I_IbLb0EEEEDaS1E_S1F_EUlS1E_E_NS1_11comp_targetILNS1_3genE5ELNS1_11target_archE942ELNS1_3gpuE9ELNS1_3repE0EEENS1_30default_config_static_selectorELNS0_4arch9wavefront6targetE0EEEvT1_.num_agpr, 0
	.set _ZN7rocprim17ROCPRIM_400000_NS6detail17trampoline_kernelINS0_14default_configENS1_25partition_config_selectorILNS1_17partition_subalgoE6EN6thrust23THRUST_200600_302600_NS5tupleIddNS7_9null_typeES9_S9_S9_S9_S9_S9_S9_EENS0_10empty_typeEbEEZZNS1_14partition_implILS5_6ELb0ES3_mNS7_12zip_iteratorINS8_INS7_6detail15normal_iteratorINS7_10device_ptrIdEEEESJ_S9_S9_S9_S9_S9_S9_S9_S9_EEEEPSB_SM_NS0_5tupleIJNSE_INS8_ISJ_NS7_16discard_iteratorINS7_11use_defaultEEES9_S9_S9_S9_S9_S9_S9_S9_EEEESB_EEENSN_IJSM_SM_EEESB_PlJNSF_9not_fun_tINSF_14equal_to_valueISA_EEEEEEE10hipError_tPvRmT3_T4_T5_T6_T7_T9_mT8_P12ihipStream_tbDpT10_ENKUlT_T0_E_clISt17integral_constantIbLb1EES1I_IbLb0EEEEDaS1E_S1F_EUlS1E_E_NS1_11comp_targetILNS1_3genE5ELNS1_11target_archE942ELNS1_3gpuE9ELNS1_3repE0EEENS1_30default_config_static_selectorELNS0_4arch9wavefront6targetE0EEEvT1_.numbered_sgpr, 0
	.set _ZN7rocprim17ROCPRIM_400000_NS6detail17trampoline_kernelINS0_14default_configENS1_25partition_config_selectorILNS1_17partition_subalgoE6EN6thrust23THRUST_200600_302600_NS5tupleIddNS7_9null_typeES9_S9_S9_S9_S9_S9_S9_EENS0_10empty_typeEbEEZZNS1_14partition_implILS5_6ELb0ES3_mNS7_12zip_iteratorINS8_INS7_6detail15normal_iteratorINS7_10device_ptrIdEEEESJ_S9_S9_S9_S9_S9_S9_S9_S9_EEEEPSB_SM_NS0_5tupleIJNSE_INS8_ISJ_NS7_16discard_iteratorINS7_11use_defaultEEES9_S9_S9_S9_S9_S9_S9_S9_EEEESB_EEENSN_IJSM_SM_EEESB_PlJNSF_9not_fun_tINSF_14equal_to_valueISA_EEEEEEE10hipError_tPvRmT3_T4_T5_T6_T7_T9_mT8_P12ihipStream_tbDpT10_ENKUlT_T0_E_clISt17integral_constantIbLb1EES1I_IbLb0EEEEDaS1E_S1F_EUlS1E_E_NS1_11comp_targetILNS1_3genE5ELNS1_11target_archE942ELNS1_3gpuE9ELNS1_3repE0EEENS1_30default_config_static_selectorELNS0_4arch9wavefront6targetE0EEEvT1_.num_named_barrier, 0
	.set _ZN7rocprim17ROCPRIM_400000_NS6detail17trampoline_kernelINS0_14default_configENS1_25partition_config_selectorILNS1_17partition_subalgoE6EN6thrust23THRUST_200600_302600_NS5tupleIddNS7_9null_typeES9_S9_S9_S9_S9_S9_S9_EENS0_10empty_typeEbEEZZNS1_14partition_implILS5_6ELb0ES3_mNS7_12zip_iteratorINS8_INS7_6detail15normal_iteratorINS7_10device_ptrIdEEEESJ_S9_S9_S9_S9_S9_S9_S9_S9_EEEEPSB_SM_NS0_5tupleIJNSE_INS8_ISJ_NS7_16discard_iteratorINS7_11use_defaultEEES9_S9_S9_S9_S9_S9_S9_S9_EEEESB_EEENSN_IJSM_SM_EEESB_PlJNSF_9not_fun_tINSF_14equal_to_valueISA_EEEEEEE10hipError_tPvRmT3_T4_T5_T6_T7_T9_mT8_P12ihipStream_tbDpT10_ENKUlT_T0_E_clISt17integral_constantIbLb1EES1I_IbLb0EEEEDaS1E_S1F_EUlS1E_E_NS1_11comp_targetILNS1_3genE5ELNS1_11target_archE942ELNS1_3gpuE9ELNS1_3repE0EEENS1_30default_config_static_selectorELNS0_4arch9wavefront6targetE0EEEvT1_.private_seg_size, 0
	.set _ZN7rocprim17ROCPRIM_400000_NS6detail17trampoline_kernelINS0_14default_configENS1_25partition_config_selectorILNS1_17partition_subalgoE6EN6thrust23THRUST_200600_302600_NS5tupleIddNS7_9null_typeES9_S9_S9_S9_S9_S9_S9_EENS0_10empty_typeEbEEZZNS1_14partition_implILS5_6ELb0ES3_mNS7_12zip_iteratorINS8_INS7_6detail15normal_iteratorINS7_10device_ptrIdEEEESJ_S9_S9_S9_S9_S9_S9_S9_S9_EEEEPSB_SM_NS0_5tupleIJNSE_INS8_ISJ_NS7_16discard_iteratorINS7_11use_defaultEEES9_S9_S9_S9_S9_S9_S9_S9_EEEESB_EEENSN_IJSM_SM_EEESB_PlJNSF_9not_fun_tINSF_14equal_to_valueISA_EEEEEEE10hipError_tPvRmT3_T4_T5_T6_T7_T9_mT8_P12ihipStream_tbDpT10_ENKUlT_T0_E_clISt17integral_constantIbLb1EES1I_IbLb0EEEEDaS1E_S1F_EUlS1E_E_NS1_11comp_targetILNS1_3genE5ELNS1_11target_archE942ELNS1_3gpuE9ELNS1_3repE0EEENS1_30default_config_static_selectorELNS0_4arch9wavefront6targetE0EEEvT1_.uses_vcc, 0
	.set _ZN7rocprim17ROCPRIM_400000_NS6detail17trampoline_kernelINS0_14default_configENS1_25partition_config_selectorILNS1_17partition_subalgoE6EN6thrust23THRUST_200600_302600_NS5tupleIddNS7_9null_typeES9_S9_S9_S9_S9_S9_S9_EENS0_10empty_typeEbEEZZNS1_14partition_implILS5_6ELb0ES3_mNS7_12zip_iteratorINS8_INS7_6detail15normal_iteratorINS7_10device_ptrIdEEEESJ_S9_S9_S9_S9_S9_S9_S9_S9_EEEEPSB_SM_NS0_5tupleIJNSE_INS8_ISJ_NS7_16discard_iteratorINS7_11use_defaultEEES9_S9_S9_S9_S9_S9_S9_S9_EEEESB_EEENSN_IJSM_SM_EEESB_PlJNSF_9not_fun_tINSF_14equal_to_valueISA_EEEEEEE10hipError_tPvRmT3_T4_T5_T6_T7_T9_mT8_P12ihipStream_tbDpT10_ENKUlT_T0_E_clISt17integral_constantIbLb1EES1I_IbLb0EEEEDaS1E_S1F_EUlS1E_E_NS1_11comp_targetILNS1_3genE5ELNS1_11target_archE942ELNS1_3gpuE9ELNS1_3repE0EEENS1_30default_config_static_selectorELNS0_4arch9wavefront6targetE0EEEvT1_.uses_flat_scratch, 0
	.set _ZN7rocprim17ROCPRIM_400000_NS6detail17trampoline_kernelINS0_14default_configENS1_25partition_config_selectorILNS1_17partition_subalgoE6EN6thrust23THRUST_200600_302600_NS5tupleIddNS7_9null_typeES9_S9_S9_S9_S9_S9_S9_EENS0_10empty_typeEbEEZZNS1_14partition_implILS5_6ELb0ES3_mNS7_12zip_iteratorINS8_INS7_6detail15normal_iteratorINS7_10device_ptrIdEEEESJ_S9_S9_S9_S9_S9_S9_S9_S9_EEEEPSB_SM_NS0_5tupleIJNSE_INS8_ISJ_NS7_16discard_iteratorINS7_11use_defaultEEES9_S9_S9_S9_S9_S9_S9_S9_EEEESB_EEENSN_IJSM_SM_EEESB_PlJNSF_9not_fun_tINSF_14equal_to_valueISA_EEEEEEE10hipError_tPvRmT3_T4_T5_T6_T7_T9_mT8_P12ihipStream_tbDpT10_ENKUlT_T0_E_clISt17integral_constantIbLb1EES1I_IbLb0EEEEDaS1E_S1F_EUlS1E_E_NS1_11comp_targetILNS1_3genE5ELNS1_11target_archE942ELNS1_3gpuE9ELNS1_3repE0EEENS1_30default_config_static_selectorELNS0_4arch9wavefront6targetE0EEEvT1_.has_dyn_sized_stack, 0
	.set _ZN7rocprim17ROCPRIM_400000_NS6detail17trampoline_kernelINS0_14default_configENS1_25partition_config_selectorILNS1_17partition_subalgoE6EN6thrust23THRUST_200600_302600_NS5tupleIddNS7_9null_typeES9_S9_S9_S9_S9_S9_S9_EENS0_10empty_typeEbEEZZNS1_14partition_implILS5_6ELb0ES3_mNS7_12zip_iteratorINS8_INS7_6detail15normal_iteratorINS7_10device_ptrIdEEEESJ_S9_S9_S9_S9_S9_S9_S9_S9_EEEEPSB_SM_NS0_5tupleIJNSE_INS8_ISJ_NS7_16discard_iteratorINS7_11use_defaultEEES9_S9_S9_S9_S9_S9_S9_S9_EEEESB_EEENSN_IJSM_SM_EEESB_PlJNSF_9not_fun_tINSF_14equal_to_valueISA_EEEEEEE10hipError_tPvRmT3_T4_T5_T6_T7_T9_mT8_P12ihipStream_tbDpT10_ENKUlT_T0_E_clISt17integral_constantIbLb1EES1I_IbLb0EEEEDaS1E_S1F_EUlS1E_E_NS1_11comp_targetILNS1_3genE5ELNS1_11target_archE942ELNS1_3gpuE9ELNS1_3repE0EEENS1_30default_config_static_selectorELNS0_4arch9wavefront6targetE0EEEvT1_.has_recursion, 0
	.set _ZN7rocprim17ROCPRIM_400000_NS6detail17trampoline_kernelINS0_14default_configENS1_25partition_config_selectorILNS1_17partition_subalgoE6EN6thrust23THRUST_200600_302600_NS5tupleIddNS7_9null_typeES9_S9_S9_S9_S9_S9_S9_EENS0_10empty_typeEbEEZZNS1_14partition_implILS5_6ELb0ES3_mNS7_12zip_iteratorINS8_INS7_6detail15normal_iteratorINS7_10device_ptrIdEEEESJ_S9_S9_S9_S9_S9_S9_S9_S9_EEEEPSB_SM_NS0_5tupleIJNSE_INS8_ISJ_NS7_16discard_iteratorINS7_11use_defaultEEES9_S9_S9_S9_S9_S9_S9_S9_EEEESB_EEENSN_IJSM_SM_EEESB_PlJNSF_9not_fun_tINSF_14equal_to_valueISA_EEEEEEE10hipError_tPvRmT3_T4_T5_T6_T7_T9_mT8_P12ihipStream_tbDpT10_ENKUlT_T0_E_clISt17integral_constantIbLb1EES1I_IbLb0EEEEDaS1E_S1F_EUlS1E_E_NS1_11comp_targetILNS1_3genE5ELNS1_11target_archE942ELNS1_3gpuE9ELNS1_3repE0EEENS1_30default_config_static_selectorELNS0_4arch9wavefront6targetE0EEEvT1_.has_indirect_call, 0
	.section	.AMDGPU.csdata,"",@progbits
; Kernel info:
; codeLenInByte = 0
; TotalNumSgprs: 0
; NumVgprs: 0
; ScratchSize: 0
; MemoryBound: 0
; FloatMode: 240
; IeeeMode: 1
; LDSByteSize: 0 bytes/workgroup (compile time only)
; SGPRBlocks: 0
; VGPRBlocks: 0
; NumSGPRsForWavesPerEU: 1
; NumVGPRsForWavesPerEU: 1
; Occupancy: 16
; WaveLimiterHint : 0
; COMPUTE_PGM_RSRC2:SCRATCH_EN: 0
; COMPUTE_PGM_RSRC2:USER_SGPR: 2
; COMPUTE_PGM_RSRC2:TRAP_HANDLER: 0
; COMPUTE_PGM_RSRC2:TGID_X_EN: 1
; COMPUTE_PGM_RSRC2:TGID_Y_EN: 0
; COMPUTE_PGM_RSRC2:TGID_Z_EN: 0
; COMPUTE_PGM_RSRC2:TIDIG_COMP_CNT: 0
	.section	.text._ZN7rocprim17ROCPRIM_400000_NS6detail17trampoline_kernelINS0_14default_configENS1_25partition_config_selectorILNS1_17partition_subalgoE6EN6thrust23THRUST_200600_302600_NS5tupleIddNS7_9null_typeES9_S9_S9_S9_S9_S9_S9_EENS0_10empty_typeEbEEZZNS1_14partition_implILS5_6ELb0ES3_mNS7_12zip_iteratorINS8_INS7_6detail15normal_iteratorINS7_10device_ptrIdEEEESJ_S9_S9_S9_S9_S9_S9_S9_S9_EEEEPSB_SM_NS0_5tupleIJNSE_INS8_ISJ_NS7_16discard_iteratorINS7_11use_defaultEEES9_S9_S9_S9_S9_S9_S9_S9_EEEESB_EEENSN_IJSM_SM_EEESB_PlJNSF_9not_fun_tINSF_14equal_to_valueISA_EEEEEEE10hipError_tPvRmT3_T4_T5_T6_T7_T9_mT8_P12ihipStream_tbDpT10_ENKUlT_T0_E_clISt17integral_constantIbLb1EES1I_IbLb0EEEEDaS1E_S1F_EUlS1E_E_NS1_11comp_targetILNS1_3genE4ELNS1_11target_archE910ELNS1_3gpuE8ELNS1_3repE0EEENS1_30default_config_static_selectorELNS0_4arch9wavefront6targetE0EEEvT1_,"axG",@progbits,_ZN7rocprim17ROCPRIM_400000_NS6detail17trampoline_kernelINS0_14default_configENS1_25partition_config_selectorILNS1_17partition_subalgoE6EN6thrust23THRUST_200600_302600_NS5tupleIddNS7_9null_typeES9_S9_S9_S9_S9_S9_S9_EENS0_10empty_typeEbEEZZNS1_14partition_implILS5_6ELb0ES3_mNS7_12zip_iteratorINS8_INS7_6detail15normal_iteratorINS7_10device_ptrIdEEEESJ_S9_S9_S9_S9_S9_S9_S9_S9_EEEEPSB_SM_NS0_5tupleIJNSE_INS8_ISJ_NS7_16discard_iteratorINS7_11use_defaultEEES9_S9_S9_S9_S9_S9_S9_S9_EEEESB_EEENSN_IJSM_SM_EEESB_PlJNSF_9not_fun_tINSF_14equal_to_valueISA_EEEEEEE10hipError_tPvRmT3_T4_T5_T6_T7_T9_mT8_P12ihipStream_tbDpT10_ENKUlT_T0_E_clISt17integral_constantIbLb1EES1I_IbLb0EEEEDaS1E_S1F_EUlS1E_E_NS1_11comp_targetILNS1_3genE4ELNS1_11target_archE910ELNS1_3gpuE8ELNS1_3repE0EEENS1_30default_config_static_selectorELNS0_4arch9wavefront6targetE0EEEvT1_,comdat
	.protected	_ZN7rocprim17ROCPRIM_400000_NS6detail17trampoline_kernelINS0_14default_configENS1_25partition_config_selectorILNS1_17partition_subalgoE6EN6thrust23THRUST_200600_302600_NS5tupleIddNS7_9null_typeES9_S9_S9_S9_S9_S9_S9_EENS0_10empty_typeEbEEZZNS1_14partition_implILS5_6ELb0ES3_mNS7_12zip_iteratorINS8_INS7_6detail15normal_iteratorINS7_10device_ptrIdEEEESJ_S9_S9_S9_S9_S9_S9_S9_S9_EEEEPSB_SM_NS0_5tupleIJNSE_INS8_ISJ_NS7_16discard_iteratorINS7_11use_defaultEEES9_S9_S9_S9_S9_S9_S9_S9_EEEESB_EEENSN_IJSM_SM_EEESB_PlJNSF_9not_fun_tINSF_14equal_to_valueISA_EEEEEEE10hipError_tPvRmT3_T4_T5_T6_T7_T9_mT8_P12ihipStream_tbDpT10_ENKUlT_T0_E_clISt17integral_constantIbLb1EES1I_IbLb0EEEEDaS1E_S1F_EUlS1E_E_NS1_11comp_targetILNS1_3genE4ELNS1_11target_archE910ELNS1_3gpuE8ELNS1_3repE0EEENS1_30default_config_static_selectorELNS0_4arch9wavefront6targetE0EEEvT1_ ; -- Begin function _ZN7rocprim17ROCPRIM_400000_NS6detail17trampoline_kernelINS0_14default_configENS1_25partition_config_selectorILNS1_17partition_subalgoE6EN6thrust23THRUST_200600_302600_NS5tupleIddNS7_9null_typeES9_S9_S9_S9_S9_S9_S9_EENS0_10empty_typeEbEEZZNS1_14partition_implILS5_6ELb0ES3_mNS7_12zip_iteratorINS8_INS7_6detail15normal_iteratorINS7_10device_ptrIdEEEESJ_S9_S9_S9_S9_S9_S9_S9_S9_EEEEPSB_SM_NS0_5tupleIJNSE_INS8_ISJ_NS7_16discard_iteratorINS7_11use_defaultEEES9_S9_S9_S9_S9_S9_S9_S9_EEEESB_EEENSN_IJSM_SM_EEESB_PlJNSF_9not_fun_tINSF_14equal_to_valueISA_EEEEEEE10hipError_tPvRmT3_T4_T5_T6_T7_T9_mT8_P12ihipStream_tbDpT10_ENKUlT_T0_E_clISt17integral_constantIbLb1EES1I_IbLb0EEEEDaS1E_S1F_EUlS1E_E_NS1_11comp_targetILNS1_3genE4ELNS1_11target_archE910ELNS1_3gpuE8ELNS1_3repE0EEENS1_30default_config_static_selectorELNS0_4arch9wavefront6targetE0EEEvT1_
	.globl	_ZN7rocprim17ROCPRIM_400000_NS6detail17trampoline_kernelINS0_14default_configENS1_25partition_config_selectorILNS1_17partition_subalgoE6EN6thrust23THRUST_200600_302600_NS5tupleIddNS7_9null_typeES9_S9_S9_S9_S9_S9_S9_EENS0_10empty_typeEbEEZZNS1_14partition_implILS5_6ELb0ES3_mNS7_12zip_iteratorINS8_INS7_6detail15normal_iteratorINS7_10device_ptrIdEEEESJ_S9_S9_S9_S9_S9_S9_S9_S9_EEEEPSB_SM_NS0_5tupleIJNSE_INS8_ISJ_NS7_16discard_iteratorINS7_11use_defaultEEES9_S9_S9_S9_S9_S9_S9_S9_EEEESB_EEENSN_IJSM_SM_EEESB_PlJNSF_9not_fun_tINSF_14equal_to_valueISA_EEEEEEE10hipError_tPvRmT3_T4_T5_T6_T7_T9_mT8_P12ihipStream_tbDpT10_ENKUlT_T0_E_clISt17integral_constantIbLb1EES1I_IbLb0EEEEDaS1E_S1F_EUlS1E_E_NS1_11comp_targetILNS1_3genE4ELNS1_11target_archE910ELNS1_3gpuE8ELNS1_3repE0EEENS1_30default_config_static_selectorELNS0_4arch9wavefront6targetE0EEEvT1_
	.p2align	8
	.type	_ZN7rocprim17ROCPRIM_400000_NS6detail17trampoline_kernelINS0_14default_configENS1_25partition_config_selectorILNS1_17partition_subalgoE6EN6thrust23THRUST_200600_302600_NS5tupleIddNS7_9null_typeES9_S9_S9_S9_S9_S9_S9_EENS0_10empty_typeEbEEZZNS1_14partition_implILS5_6ELb0ES3_mNS7_12zip_iteratorINS8_INS7_6detail15normal_iteratorINS7_10device_ptrIdEEEESJ_S9_S9_S9_S9_S9_S9_S9_S9_EEEEPSB_SM_NS0_5tupleIJNSE_INS8_ISJ_NS7_16discard_iteratorINS7_11use_defaultEEES9_S9_S9_S9_S9_S9_S9_S9_EEEESB_EEENSN_IJSM_SM_EEESB_PlJNSF_9not_fun_tINSF_14equal_to_valueISA_EEEEEEE10hipError_tPvRmT3_T4_T5_T6_T7_T9_mT8_P12ihipStream_tbDpT10_ENKUlT_T0_E_clISt17integral_constantIbLb1EES1I_IbLb0EEEEDaS1E_S1F_EUlS1E_E_NS1_11comp_targetILNS1_3genE4ELNS1_11target_archE910ELNS1_3gpuE8ELNS1_3repE0EEENS1_30default_config_static_selectorELNS0_4arch9wavefront6targetE0EEEvT1_,@function
_ZN7rocprim17ROCPRIM_400000_NS6detail17trampoline_kernelINS0_14default_configENS1_25partition_config_selectorILNS1_17partition_subalgoE6EN6thrust23THRUST_200600_302600_NS5tupleIddNS7_9null_typeES9_S9_S9_S9_S9_S9_S9_EENS0_10empty_typeEbEEZZNS1_14partition_implILS5_6ELb0ES3_mNS7_12zip_iteratorINS8_INS7_6detail15normal_iteratorINS7_10device_ptrIdEEEESJ_S9_S9_S9_S9_S9_S9_S9_S9_EEEEPSB_SM_NS0_5tupleIJNSE_INS8_ISJ_NS7_16discard_iteratorINS7_11use_defaultEEES9_S9_S9_S9_S9_S9_S9_S9_EEEESB_EEENSN_IJSM_SM_EEESB_PlJNSF_9not_fun_tINSF_14equal_to_valueISA_EEEEEEE10hipError_tPvRmT3_T4_T5_T6_T7_T9_mT8_P12ihipStream_tbDpT10_ENKUlT_T0_E_clISt17integral_constantIbLb1EES1I_IbLb0EEEEDaS1E_S1F_EUlS1E_E_NS1_11comp_targetILNS1_3genE4ELNS1_11target_archE910ELNS1_3gpuE8ELNS1_3repE0EEENS1_30default_config_static_selectorELNS0_4arch9wavefront6targetE0EEEvT1_: ; @_ZN7rocprim17ROCPRIM_400000_NS6detail17trampoline_kernelINS0_14default_configENS1_25partition_config_selectorILNS1_17partition_subalgoE6EN6thrust23THRUST_200600_302600_NS5tupleIddNS7_9null_typeES9_S9_S9_S9_S9_S9_S9_EENS0_10empty_typeEbEEZZNS1_14partition_implILS5_6ELb0ES3_mNS7_12zip_iteratorINS8_INS7_6detail15normal_iteratorINS7_10device_ptrIdEEEESJ_S9_S9_S9_S9_S9_S9_S9_S9_EEEEPSB_SM_NS0_5tupleIJNSE_INS8_ISJ_NS7_16discard_iteratorINS7_11use_defaultEEES9_S9_S9_S9_S9_S9_S9_S9_EEEESB_EEENSN_IJSM_SM_EEESB_PlJNSF_9not_fun_tINSF_14equal_to_valueISA_EEEEEEE10hipError_tPvRmT3_T4_T5_T6_T7_T9_mT8_P12ihipStream_tbDpT10_ENKUlT_T0_E_clISt17integral_constantIbLb1EES1I_IbLb0EEEEDaS1E_S1F_EUlS1E_E_NS1_11comp_targetILNS1_3genE4ELNS1_11target_archE910ELNS1_3gpuE8ELNS1_3repE0EEENS1_30default_config_static_selectorELNS0_4arch9wavefront6targetE0EEEvT1_
; %bb.0:
	.section	.rodata,"a",@progbits
	.p2align	6, 0x0
	.amdhsa_kernel _ZN7rocprim17ROCPRIM_400000_NS6detail17trampoline_kernelINS0_14default_configENS1_25partition_config_selectorILNS1_17partition_subalgoE6EN6thrust23THRUST_200600_302600_NS5tupleIddNS7_9null_typeES9_S9_S9_S9_S9_S9_S9_EENS0_10empty_typeEbEEZZNS1_14partition_implILS5_6ELb0ES3_mNS7_12zip_iteratorINS8_INS7_6detail15normal_iteratorINS7_10device_ptrIdEEEESJ_S9_S9_S9_S9_S9_S9_S9_S9_EEEEPSB_SM_NS0_5tupleIJNSE_INS8_ISJ_NS7_16discard_iteratorINS7_11use_defaultEEES9_S9_S9_S9_S9_S9_S9_S9_EEEESB_EEENSN_IJSM_SM_EEESB_PlJNSF_9not_fun_tINSF_14equal_to_valueISA_EEEEEEE10hipError_tPvRmT3_T4_T5_T6_T7_T9_mT8_P12ihipStream_tbDpT10_ENKUlT_T0_E_clISt17integral_constantIbLb1EES1I_IbLb0EEEEDaS1E_S1F_EUlS1E_E_NS1_11comp_targetILNS1_3genE4ELNS1_11target_archE910ELNS1_3gpuE8ELNS1_3repE0EEENS1_30default_config_static_selectorELNS0_4arch9wavefront6targetE0EEEvT1_
		.amdhsa_group_segment_fixed_size 0
		.amdhsa_private_segment_fixed_size 0
		.amdhsa_kernarg_size 152
		.amdhsa_user_sgpr_count 2
		.amdhsa_user_sgpr_dispatch_ptr 0
		.amdhsa_user_sgpr_queue_ptr 0
		.amdhsa_user_sgpr_kernarg_segment_ptr 1
		.amdhsa_user_sgpr_dispatch_id 0
		.amdhsa_user_sgpr_private_segment_size 0
		.amdhsa_wavefront_size32 1
		.amdhsa_uses_dynamic_stack 0
		.amdhsa_enable_private_segment 0
		.amdhsa_system_sgpr_workgroup_id_x 1
		.amdhsa_system_sgpr_workgroup_id_y 0
		.amdhsa_system_sgpr_workgroup_id_z 0
		.amdhsa_system_sgpr_workgroup_info 0
		.amdhsa_system_vgpr_workitem_id 0
		.amdhsa_next_free_vgpr 1
		.amdhsa_next_free_sgpr 1
		.amdhsa_reserve_vcc 0
		.amdhsa_float_round_mode_32 0
		.amdhsa_float_round_mode_16_64 0
		.amdhsa_float_denorm_mode_32 3
		.amdhsa_float_denorm_mode_16_64 3
		.amdhsa_fp16_overflow 0
		.amdhsa_workgroup_processor_mode 1
		.amdhsa_memory_ordered 1
		.amdhsa_forward_progress 1
		.amdhsa_inst_pref_size 0
		.amdhsa_round_robin_scheduling 0
		.amdhsa_exception_fp_ieee_invalid_op 0
		.amdhsa_exception_fp_denorm_src 0
		.amdhsa_exception_fp_ieee_div_zero 0
		.amdhsa_exception_fp_ieee_overflow 0
		.amdhsa_exception_fp_ieee_underflow 0
		.amdhsa_exception_fp_ieee_inexact 0
		.amdhsa_exception_int_div_zero 0
	.end_amdhsa_kernel
	.section	.text._ZN7rocprim17ROCPRIM_400000_NS6detail17trampoline_kernelINS0_14default_configENS1_25partition_config_selectorILNS1_17partition_subalgoE6EN6thrust23THRUST_200600_302600_NS5tupleIddNS7_9null_typeES9_S9_S9_S9_S9_S9_S9_EENS0_10empty_typeEbEEZZNS1_14partition_implILS5_6ELb0ES3_mNS7_12zip_iteratorINS8_INS7_6detail15normal_iteratorINS7_10device_ptrIdEEEESJ_S9_S9_S9_S9_S9_S9_S9_S9_EEEEPSB_SM_NS0_5tupleIJNSE_INS8_ISJ_NS7_16discard_iteratorINS7_11use_defaultEEES9_S9_S9_S9_S9_S9_S9_S9_EEEESB_EEENSN_IJSM_SM_EEESB_PlJNSF_9not_fun_tINSF_14equal_to_valueISA_EEEEEEE10hipError_tPvRmT3_T4_T5_T6_T7_T9_mT8_P12ihipStream_tbDpT10_ENKUlT_T0_E_clISt17integral_constantIbLb1EES1I_IbLb0EEEEDaS1E_S1F_EUlS1E_E_NS1_11comp_targetILNS1_3genE4ELNS1_11target_archE910ELNS1_3gpuE8ELNS1_3repE0EEENS1_30default_config_static_selectorELNS0_4arch9wavefront6targetE0EEEvT1_,"axG",@progbits,_ZN7rocprim17ROCPRIM_400000_NS6detail17trampoline_kernelINS0_14default_configENS1_25partition_config_selectorILNS1_17partition_subalgoE6EN6thrust23THRUST_200600_302600_NS5tupleIddNS7_9null_typeES9_S9_S9_S9_S9_S9_S9_EENS0_10empty_typeEbEEZZNS1_14partition_implILS5_6ELb0ES3_mNS7_12zip_iteratorINS8_INS7_6detail15normal_iteratorINS7_10device_ptrIdEEEESJ_S9_S9_S9_S9_S9_S9_S9_S9_EEEEPSB_SM_NS0_5tupleIJNSE_INS8_ISJ_NS7_16discard_iteratorINS7_11use_defaultEEES9_S9_S9_S9_S9_S9_S9_S9_EEEESB_EEENSN_IJSM_SM_EEESB_PlJNSF_9not_fun_tINSF_14equal_to_valueISA_EEEEEEE10hipError_tPvRmT3_T4_T5_T6_T7_T9_mT8_P12ihipStream_tbDpT10_ENKUlT_T0_E_clISt17integral_constantIbLb1EES1I_IbLb0EEEEDaS1E_S1F_EUlS1E_E_NS1_11comp_targetILNS1_3genE4ELNS1_11target_archE910ELNS1_3gpuE8ELNS1_3repE0EEENS1_30default_config_static_selectorELNS0_4arch9wavefront6targetE0EEEvT1_,comdat
.Lfunc_end1839:
	.size	_ZN7rocprim17ROCPRIM_400000_NS6detail17trampoline_kernelINS0_14default_configENS1_25partition_config_selectorILNS1_17partition_subalgoE6EN6thrust23THRUST_200600_302600_NS5tupleIddNS7_9null_typeES9_S9_S9_S9_S9_S9_S9_EENS0_10empty_typeEbEEZZNS1_14partition_implILS5_6ELb0ES3_mNS7_12zip_iteratorINS8_INS7_6detail15normal_iteratorINS7_10device_ptrIdEEEESJ_S9_S9_S9_S9_S9_S9_S9_S9_EEEEPSB_SM_NS0_5tupleIJNSE_INS8_ISJ_NS7_16discard_iteratorINS7_11use_defaultEEES9_S9_S9_S9_S9_S9_S9_S9_EEEESB_EEENSN_IJSM_SM_EEESB_PlJNSF_9not_fun_tINSF_14equal_to_valueISA_EEEEEEE10hipError_tPvRmT3_T4_T5_T6_T7_T9_mT8_P12ihipStream_tbDpT10_ENKUlT_T0_E_clISt17integral_constantIbLb1EES1I_IbLb0EEEEDaS1E_S1F_EUlS1E_E_NS1_11comp_targetILNS1_3genE4ELNS1_11target_archE910ELNS1_3gpuE8ELNS1_3repE0EEENS1_30default_config_static_selectorELNS0_4arch9wavefront6targetE0EEEvT1_, .Lfunc_end1839-_ZN7rocprim17ROCPRIM_400000_NS6detail17trampoline_kernelINS0_14default_configENS1_25partition_config_selectorILNS1_17partition_subalgoE6EN6thrust23THRUST_200600_302600_NS5tupleIddNS7_9null_typeES9_S9_S9_S9_S9_S9_S9_EENS0_10empty_typeEbEEZZNS1_14partition_implILS5_6ELb0ES3_mNS7_12zip_iteratorINS8_INS7_6detail15normal_iteratorINS7_10device_ptrIdEEEESJ_S9_S9_S9_S9_S9_S9_S9_S9_EEEEPSB_SM_NS0_5tupleIJNSE_INS8_ISJ_NS7_16discard_iteratorINS7_11use_defaultEEES9_S9_S9_S9_S9_S9_S9_S9_EEEESB_EEENSN_IJSM_SM_EEESB_PlJNSF_9not_fun_tINSF_14equal_to_valueISA_EEEEEEE10hipError_tPvRmT3_T4_T5_T6_T7_T9_mT8_P12ihipStream_tbDpT10_ENKUlT_T0_E_clISt17integral_constantIbLb1EES1I_IbLb0EEEEDaS1E_S1F_EUlS1E_E_NS1_11comp_targetILNS1_3genE4ELNS1_11target_archE910ELNS1_3gpuE8ELNS1_3repE0EEENS1_30default_config_static_selectorELNS0_4arch9wavefront6targetE0EEEvT1_
                                        ; -- End function
	.set _ZN7rocprim17ROCPRIM_400000_NS6detail17trampoline_kernelINS0_14default_configENS1_25partition_config_selectorILNS1_17partition_subalgoE6EN6thrust23THRUST_200600_302600_NS5tupleIddNS7_9null_typeES9_S9_S9_S9_S9_S9_S9_EENS0_10empty_typeEbEEZZNS1_14partition_implILS5_6ELb0ES3_mNS7_12zip_iteratorINS8_INS7_6detail15normal_iteratorINS7_10device_ptrIdEEEESJ_S9_S9_S9_S9_S9_S9_S9_S9_EEEEPSB_SM_NS0_5tupleIJNSE_INS8_ISJ_NS7_16discard_iteratorINS7_11use_defaultEEES9_S9_S9_S9_S9_S9_S9_S9_EEEESB_EEENSN_IJSM_SM_EEESB_PlJNSF_9not_fun_tINSF_14equal_to_valueISA_EEEEEEE10hipError_tPvRmT3_T4_T5_T6_T7_T9_mT8_P12ihipStream_tbDpT10_ENKUlT_T0_E_clISt17integral_constantIbLb1EES1I_IbLb0EEEEDaS1E_S1F_EUlS1E_E_NS1_11comp_targetILNS1_3genE4ELNS1_11target_archE910ELNS1_3gpuE8ELNS1_3repE0EEENS1_30default_config_static_selectorELNS0_4arch9wavefront6targetE0EEEvT1_.num_vgpr, 0
	.set _ZN7rocprim17ROCPRIM_400000_NS6detail17trampoline_kernelINS0_14default_configENS1_25partition_config_selectorILNS1_17partition_subalgoE6EN6thrust23THRUST_200600_302600_NS5tupleIddNS7_9null_typeES9_S9_S9_S9_S9_S9_S9_EENS0_10empty_typeEbEEZZNS1_14partition_implILS5_6ELb0ES3_mNS7_12zip_iteratorINS8_INS7_6detail15normal_iteratorINS7_10device_ptrIdEEEESJ_S9_S9_S9_S9_S9_S9_S9_S9_EEEEPSB_SM_NS0_5tupleIJNSE_INS8_ISJ_NS7_16discard_iteratorINS7_11use_defaultEEES9_S9_S9_S9_S9_S9_S9_S9_EEEESB_EEENSN_IJSM_SM_EEESB_PlJNSF_9not_fun_tINSF_14equal_to_valueISA_EEEEEEE10hipError_tPvRmT3_T4_T5_T6_T7_T9_mT8_P12ihipStream_tbDpT10_ENKUlT_T0_E_clISt17integral_constantIbLb1EES1I_IbLb0EEEEDaS1E_S1F_EUlS1E_E_NS1_11comp_targetILNS1_3genE4ELNS1_11target_archE910ELNS1_3gpuE8ELNS1_3repE0EEENS1_30default_config_static_selectorELNS0_4arch9wavefront6targetE0EEEvT1_.num_agpr, 0
	.set _ZN7rocprim17ROCPRIM_400000_NS6detail17trampoline_kernelINS0_14default_configENS1_25partition_config_selectorILNS1_17partition_subalgoE6EN6thrust23THRUST_200600_302600_NS5tupleIddNS7_9null_typeES9_S9_S9_S9_S9_S9_S9_EENS0_10empty_typeEbEEZZNS1_14partition_implILS5_6ELb0ES3_mNS7_12zip_iteratorINS8_INS7_6detail15normal_iteratorINS7_10device_ptrIdEEEESJ_S9_S9_S9_S9_S9_S9_S9_S9_EEEEPSB_SM_NS0_5tupleIJNSE_INS8_ISJ_NS7_16discard_iteratorINS7_11use_defaultEEES9_S9_S9_S9_S9_S9_S9_S9_EEEESB_EEENSN_IJSM_SM_EEESB_PlJNSF_9not_fun_tINSF_14equal_to_valueISA_EEEEEEE10hipError_tPvRmT3_T4_T5_T6_T7_T9_mT8_P12ihipStream_tbDpT10_ENKUlT_T0_E_clISt17integral_constantIbLb1EES1I_IbLb0EEEEDaS1E_S1F_EUlS1E_E_NS1_11comp_targetILNS1_3genE4ELNS1_11target_archE910ELNS1_3gpuE8ELNS1_3repE0EEENS1_30default_config_static_selectorELNS0_4arch9wavefront6targetE0EEEvT1_.numbered_sgpr, 0
	.set _ZN7rocprim17ROCPRIM_400000_NS6detail17trampoline_kernelINS0_14default_configENS1_25partition_config_selectorILNS1_17partition_subalgoE6EN6thrust23THRUST_200600_302600_NS5tupleIddNS7_9null_typeES9_S9_S9_S9_S9_S9_S9_EENS0_10empty_typeEbEEZZNS1_14partition_implILS5_6ELb0ES3_mNS7_12zip_iteratorINS8_INS7_6detail15normal_iteratorINS7_10device_ptrIdEEEESJ_S9_S9_S9_S9_S9_S9_S9_S9_EEEEPSB_SM_NS0_5tupleIJNSE_INS8_ISJ_NS7_16discard_iteratorINS7_11use_defaultEEES9_S9_S9_S9_S9_S9_S9_S9_EEEESB_EEENSN_IJSM_SM_EEESB_PlJNSF_9not_fun_tINSF_14equal_to_valueISA_EEEEEEE10hipError_tPvRmT3_T4_T5_T6_T7_T9_mT8_P12ihipStream_tbDpT10_ENKUlT_T0_E_clISt17integral_constantIbLb1EES1I_IbLb0EEEEDaS1E_S1F_EUlS1E_E_NS1_11comp_targetILNS1_3genE4ELNS1_11target_archE910ELNS1_3gpuE8ELNS1_3repE0EEENS1_30default_config_static_selectorELNS0_4arch9wavefront6targetE0EEEvT1_.num_named_barrier, 0
	.set _ZN7rocprim17ROCPRIM_400000_NS6detail17trampoline_kernelINS0_14default_configENS1_25partition_config_selectorILNS1_17partition_subalgoE6EN6thrust23THRUST_200600_302600_NS5tupleIddNS7_9null_typeES9_S9_S9_S9_S9_S9_S9_EENS0_10empty_typeEbEEZZNS1_14partition_implILS5_6ELb0ES3_mNS7_12zip_iteratorINS8_INS7_6detail15normal_iteratorINS7_10device_ptrIdEEEESJ_S9_S9_S9_S9_S9_S9_S9_S9_EEEEPSB_SM_NS0_5tupleIJNSE_INS8_ISJ_NS7_16discard_iteratorINS7_11use_defaultEEES9_S9_S9_S9_S9_S9_S9_S9_EEEESB_EEENSN_IJSM_SM_EEESB_PlJNSF_9not_fun_tINSF_14equal_to_valueISA_EEEEEEE10hipError_tPvRmT3_T4_T5_T6_T7_T9_mT8_P12ihipStream_tbDpT10_ENKUlT_T0_E_clISt17integral_constantIbLb1EES1I_IbLb0EEEEDaS1E_S1F_EUlS1E_E_NS1_11comp_targetILNS1_3genE4ELNS1_11target_archE910ELNS1_3gpuE8ELNS1_3repE0EEENS1_30default_config_static_selectorELNS0_4arch9wavefront6targetE0EEEvT1_.private_seg_size, 0
	.set _ZN7rocprim17ROCPRIM_400000_NS6detail17trampoline_kernelINS0_14default_configENS1_25partition_config_selectorILNS1_17partition_subalgoE6EN6thrust23THRUST_200600_302600_NS5tupleIddNS7_9null_typeES9_S9_S9_S9_S9_S9_S9_EENS0_10empty_typeEbEEZZNS1_14partition_implILS5_6ELb0ES3_mNS7_12zip_iteratorINS8_INS7_6detail15normal_iteratorINS7_10device_ptrIdEEEESJ_S9_S9_S9_S9_S9_S9_S9_S9_EEEEPSB_SM_NS0_5tupleIJNSE_INS8_ISJ_NS7_16discard_iteratorINS7_11use_defaultEEES9_S9_S9_S9_S9_S9_S9_S9_EEEESB_EEENSN_IJSM_SM_EEESB_PlJNSF_9not_fun_tINSF_14equal_to_valueISA_EEEEEEE10hipError_tPvRmT3_T4_T5_T6_T7_T9_mT8_P12ihipStream_tbDpT10_ENKUlT_T0_E_clISt17integral_constantIbLb1EES1I_IbLb0EEEEDaS1E_S1F_EUlS1E_E_NS1_11comp_targetILNS1_3genE4ELNS1_11target_archE910ELNS1_3gpuE8ELNS1_3repE0EEENS1_30default_config_static_selectorELNS0_4arch9wavefront6targetE0EEEvT1_.uses_vcc, 0
	.set _ZN7rocprim17ROCPRIM_400000_NS6detail17trampoline_kernelINS0_14default_configENS1_25partition_config_selectorILNS1_17partition_subalgoE6EN6thrust23THRUST_200600_302600_NS5tupleIddNS7_9null_typeES9_S9_S9_S9_S9_S9_S9_EENS0_10empty_typeEbEEZZNS1_14partition_implILS5_6ELb0ES3_mNS7_12zip_iteratorINS8_INS7_6detail15normal_iteratorINS7_10device_ptrIdEEEESJ_S9_S9_S9_S9_S9_S9_S9_S9_EEEEPSB_SM_NS0_5tupleIJNSE_INS8_ISJ_NS7_16discard_iteratorINS7_11use_defaultEEES9_S9_S9_S9_S9_S9_S9_S9_EEEESB_EEENSN_IJSM_SM_EEESB_PlJNSF_9not_fun_tINSF_14equal_to_valueISA_EEEEEEE10hipError_tPvRmT3_T4_T5_T6_T7_T9_mT8_P12ihipStream_tbDpT10_ENKUlT_T0_E_clISt17integral_constantIbLb1EES1I_IbLb0EEEEDaS1E_S1F_EUlS1E_E_NS1_11comp_targetILNS1_3genE4ELNS1_11target_archE910ELNS1_3gpuE8ELNS1_3repE0EEENS1_30default_config_static_selectorELNS0_4arch9wavefront6targetE0EEEvT1_.uses_flat_scratch, 0
	.set _ZN7rocprim17ROCPRIM_400000_NS6detail17trampoline_kernelINS0_14default_configENS1_25partition_config_selectorILNS1_17partition_subalgoE6EN6thrust23THRUST_200600_302600_NS5tupleIddNS7_9null_typeES9_S9_S9_S9_S9_S9_S9_EENS0_10empty_typeEbEEZZNS1_14partition_implILS5_6ELb0ES3_mNS7_12zip_iteratorINS8_INS7_6detail15normal_iteratorINS7_10device_ptrIdEEEESJ_S9_S9_S9_S9_S9_S9_S9_S9_EEEEPSB_SM_NS0_5tupleIJNSE_INS8_ISJ_NS7_16discard_iteratorINS7_11use_defaultEEES9_S9_S9_S9_S9_S9_S9_S9_EEEESB_EEENSN_IJSM_SM_EEESB_PlJNSF_9not_fun_tINSF_14equal_to_valueISA_EEEEEEE10hipError_tPvRmT3_T4_T5_T6_T7_T9_mT8_P12ihipStream_tbDpT10_ENKUlT_T0_E_clISt17integral_constantIbLb1EES1I_IbLb0EEEEDaS1E_S1F_EUlS1E_E_NS1_11comp_targetILNS1_3genE4ELNS1_11target_archE910ELNS1_3gpuE8ELNS1_3repE0EEENS1_30default_config_static_selectorELNS0_4arch9wavefront6targetE0EEEvT1_.has_dyn_sized_stack, 0
	.set _ZN7rocprim17ROCPRIM_400000_NS6detail17trampoline_kernelINS0_14default_configENS1_25partition_config_selectorILNS1_17partition_subalgoE6EN6thrust23THRUST_200600_302600_NS5tupleIddNS7_9null_typeES9_S9_S9_S9_S9_S9_S9_EENS0_10empty_typeEbEEZZNS1_14partition_implILS5_6ELb0ES3_mNS7_12zip_iteratorINS8_INS7_6detail15normal_iteratorINS7_10device_ptrIdEEEESJ_S9_S9_S9_S9_S9_S9_S9_S9_EEEEPSB_SM_NS0_5tupleIJNSE_INS8_ISJ_NS7_16discard_iteratorINS7_11use_defaultEEES9_S9_S9_S9_S9_S9_S9_S9_EEEESB_EEENSN_IJSM_SM_EEESB_PlJNSF_9not_fun_tINSF_14equal_to_valueISA_EEEEEEE10hipError_tPvRmT3_T4_T5_T6_T7_T9_mT8_P12ihipStream_tbDpT10_ENKUlT_T0_E_clISt17integral_constantIbLb1EES1I_IbLb0EEEEDaS1E_S1F_EUlS1E_E_NS1_11comp_targetILNS1_3genE4ELNS1_11target_archE910ELNS1_3gpuE8ELNS1_3repE0EEENS1_30default_config_static_selectorELNS0_4arch9wavefront6targetE0EEEvT1_.has_recursion, 0
	.set _ZN7rocprim17ROCPRIM_400000_NS6detail17trampoline_kernelINS0_14default_configENS1_25partition_config_selectorILNS1_17partition_subalgoE6EN6thrust23THRUST_200600_302600_NS5tupleIddNS7_9null_typeES9_S9_S9_S9_S9_S9_S9_EENS0_10empty_typeEbEEZZNS1_14partition_implILS5_6ELb0ES3_mNS7_12zip_iteratorINS8_INS7_6detail15normal_iteratorINS7_10device_ptrIdEEEESJ_S9_S9_S9_S9_S9_S9_S9_S9_EEEEPSB_SM_NS0_5tupleIJNSE_INS8_ISJ_NS7_16discard_iteratorINS7_11use_defaultEEES9_S9_S9_S9_S9_S9_S9_S9_EEEESB_EEENSN_IJSM_SM_EEESB_PlJNSF_9not_fun_tINSF_14equal_to_valueISA_EEEEEEE10hipError_tPvRmT3_T4_T5_T6_T7_T9_mT8_P12ihipStream_tbDpT10_ENKUlT_T0_E_clISt17integral_constantIbLb1EES1I_IbLb0EEEEDaS1E_S1F_EUlS1E_E_NS1_11comp_targetILNS1_3genE4ELNS1_11target_archE910ELNS1_3gpuE8ELNS1_3repE0EEENS1_30default_config_static_selectorELNS0_4arch9wavefront6targetE0EEEvT1_.has_indirect_call, 0
	.section	.AMDGPU.csdata,"",@progbits
; Kernel info:
; codeLenInByte = 0
; TotalNumSgprs: 0
; NumVgprs: 0
; ScratchSize: 0
; MemoryBound: 0
; FloatMode: 240
; IeeeMode: 1
; LDSByteSize: 0 bytes/workgroup (compile time only)
; SGPRBlocks: 0
; VGPRBlocks: 0
; NumSGPRsForWavesPerEU: 1
; NumVGPRsForWavesPerEU: 1
; Occupancy: 16
; WaveLimiterHint : 0
; COMPUTE_PGM_RSRC2:SCRATCH_EN: 0
; COMPUTE_PGM_RSRC2:USER_SGPR: 2
; COMPUTE_PGM_RSRC2:TRAP_HANDLER: 0
; COMPUTE_PGM_RSRC2:TGID_X_EN: 1
; COMPUTE_PGM_RSRC2:TGID_Y_EN: 0
; COMPUTE_PGM_RSRC2:TGID_Z_EN: 0
; COMPUTE_PGM_RSRC2:TIDIG_COMP_CNT: 0
	.section	.text._ZN7rocprim17ROCPRIM_400000_NS6detail17trampoline_kernelINS0_14default_configENS1_25partition_config_selectorILNS1_17partition_subalgoE6EN6thrust23THRUST_200600_302600_NS5tupleIddNS7_9null_typeES9_S9_S9_S9_S9_S9_S9_EENS0_10empty_typeEbEEZZNS1_14partition_implILS5_6ELb0ES3_mNS7_12zip_iteratorINS8_INS7_6detail15normal_iteratorINS7_10device_ptrIdEEEESJ_S9_S9_S9_S9_S9_S9_S9_S9_EEEEPSB_SM_NS0_5tupleIJNSE_INS8_ISJ_NS7_16discard_iteratorINS7_11use_defaultEEES9_S9_S9_S9_S9_S9_S9_S9_EEEESB_EEENSN_IJSM_SM_EEESB_PlJNSF_9not_fun_tINSF_14equal_to_valueISA_EEEEEEE10hipError_tPvRmT3_T4_T5_T6_T7_T9_mT8_P12ihipStream_tbDpT10_ENKUlT_T0_E_clISt17integral_constantIbLb1EES1I_IbLb0EEEEDaS1E_S1F_EUlS1E_E_NS1_11comp_targetILNS1_3genE3ELNS1_11target_archE908ELNS1_3gpuE7ELNS1_3repE0EEENS1_30default_config_static_selectorELNS0_4arch9wavefront6targetE0EEEvT1_,"axG",@progbits,_ZN7rocprim17ROCPRIM_400000_NS6detail17trampoline_kernelINS0_14default_configENS1_25partition_config_selectorILNS1_17partition_subalgoE6EN6thrust23THRUST_200600_302600_NS5tupleIddNS7_9null_typeES9_S9_S9_S9_S9_S9_S9_EENS0_10empty_typeEbEEZZNS1_14partition_implILS5_6ELb0ES3_mNS7_12zip_iteratorINS8_INS7_6detail15normal_iteratorINS7_10device_ptrIdEEEESJ_S9_S9_S9_S9_S9_S9_S9_S9_EEEEPSB_SM_NS0_5tupleIJNSE_INS8_ISJ_NS7_16discard_iteratorINS7_11use_defaultEEES9_S9_S9_S9_S9_S9_S9_S9_EEEESB_EEENSN_IJSM_SM_EEESB_PlJNSF_9not_fun_tINSF_14equal_to_valueISA_EEEEEEE10hipError_tPvRmT3_T4_T5_T6_T7_T9_mT8_P12ihipStream_tbDpT10_ENKUlT_T0_E_clISt17integral_constantIbLb1EES1I_IbLb0EEEEDaS1E_S1F_EUlS1E_E_NS1_11comp_targetILNS1_3genE3ELNS1_11target_archE908ELNS1_3gpuE7ELNS1_3repE0EEENS1_30default_config_static_selectorELNS0_4arch9wavefront6targetE0EEEvT1_,comdat
	.protected	_ZN7rocprim17ROCPRIM_400000_NS6detail17trampoline_kernelINS0_14default_configENS1_25partition_config_selectorILNS1_17partition_subalgoE6EN6thrust23THRUST_200600_302600_NS5tupleIddNS7_9null_typeES9_S9_S9_S9_S9_S9_S9_EENS0_10empty_typeEbEEZZNS1_14partition_implILS5_6ELb0ES3_mNS7_12zip_iteratorINS8_INS7_6detail15normal_iteratorINS7_10device_ptrIdEEEESJ_S9_S9_S9_S9_S9_S9_S9_S9_EEEEPSB_SM_NS0_5tupleIJNSE_INS8_ISJ_NS7_16discard_iteratorINS7_11use_defaultEEES9_S9_S9_S9_S9_S9_S9_S9_EEEESB_EEENSN_IJSM_SM_EEESB_PlJNSF_9not_fun_tINSF_14equal_to_valueISA_EEEEEEE10hipError_tPvRmT3_T4_T5_T6_T7_T9_mT8_P12ihipStream_tbDpT10_ENKUlT_T0_E_clISt17integral_constantIbLb1EES1I_IbLb0EEEEDaS1E_S1F_EUlS1E_E_NS1_11comp_targetILNS1_3genE3ELNS1_11target_archE908ELNS1_3gpuE7ELNS1_3repE0EEENS1_30default_config_static_selectorELNS0_4arch9wavefront6targetE0EEEvT1_ ; -- Begin function _ZN7rocprim17ROCPRIM_400000_NS6detail17trampoline_kernelINS0_14default_configENS1_25partition_config_selectorILNS1_17partition_subalgoE6EN6thrust23THRUST_200600_302600_NS5tupleIddNS7_9null_typeES9_S9_S9_S9_S9_S9_S9_EENS0_10empty_typeEbEEZZNS1_14partition_implILS5_6ELb0ES3_mNS7_12zip_iteratorINS8_INS7_6detail15normal_iteratorINS7_10device_ptrIdEEEESJ_S9_S9_S9_S9_S9_S9_S9_S9_EEEEPSB_SM_NS0_5tupleIJNSE_INS8_ISJ_NS7_16discard_iteratorINS7_11use_defaultEEES9_S9_S9_S9_S9_S9_S9_S9_EEEESB_EEENSN_IJSM_SM_EEESB_PlJNSF_9not_fun_tINSF_14equal_to_valueISA_EEEEEEE10hipError_tPvRmT3_T4_T5_T6_T7_T9_mT8_P12ihipStream_tbDpT10_ENKUlT_T0_E_clISt17integral_constantIbLb1EES1I_IbLb0EEEEDaS1E_S1F_EUlS1E_E_NS1_11comp_targetILNS1_3genE3ELNS1_11target_archE908ELNS1_3gpuE7ELNS1_3repE0EEENS1_30default_config_static_selectorELNS0_4arch9wavefront6targetE0EEEvT1_
	.globl	_ZN7rocprim17ROCPRIM_400000_NS6detail17trampoline_kernelINS0_14default_configENS1_25partition_config_selectorILNS1_17partition_subalgoE6EN6thrust23THRUST_200600_302600_NS5tupleIddNS7_9null_typeES9_S9_S9_S9_S9_S9_S9_EENS0_10empty_typeEbEEZZNS1_14partition_implILS5_6ELb0ES3_mNS7_12zip_iteratorINS8_INS7_6detail15normal_iteratorINS7_10device_ptrIdEEEESJ_S9_S9_S9_S9_S9_S9_S9_S9_EEEEPSB_SM_NS0_5tupleIJNSE_INS8_ISJ_NS7_16discard_iteratorINS7_11use_defaultEEES9_S9_S9_S9_S9_S9_S9_S9_EEEESB_EEENSN_IJSM_SM_EEESB_PlJNSF_9not_fun_tINSF_14equal_to_valueISA_EEEEEEE10hipError_tPvRmT3_T4_T5_T6_T7_T9_mT8_P12ihipStream_tbDpT10_ENKUlT_T0_E_clISt17integral_constantIbLb1EES1I_IbLb0EEEEDaS1E_S1F_EUlS1E_E_NS1_11comp_targetILNS1_3genE3ELNS1_11target_archE908ELNS1_3gpuE7ELNS1_3repE0EEENS1_30default_config_static_selectorELNS0_4arch9wavefront6targetE0EEEvT1_
	.p2align	8
	.type	_ZN7rocprim17ROCPRIM_400000_NS6detail17trampoline_kernelINS0_14default_configENS1_25partition_config_selectorILNS1_17partition_subalgoE6EN6thrust23THRUST_200600_302600_NS5tupleIddNS7_9null_typeES9_S9_S9_S9_S9_S9_S9_EENS0_10empty_typeEbEEZZNS1_14partition_implILS5_6ELb0ES3_mNS7_12zip_iteratorINS8_INS7_6detail15normal_iteratorINS7_10device_ptrIdEEEESJ_S9_S9_S9_S9_S9_S9_S9_S9_EEEEPSB_SM_NS0_5tupleIJNSE_INS8_ISJ_NS7_16discard_iteratorINS7_11use_defaultEEES9_S9_S9_S9_S9_S9_S9_S9_EEEESB_EEENSN_IJSM_SM_EEESB_PlJNSF_9not_fun_tINSF_14equal_to_valueISA_EEEEEEE10hipError_tPvRmT3_T4_T5_T6_T7_T9_mT8_P12ihipStream_tbDpT10_ENKUlT_T0_E_clISt17integral_constantIbLb1EES1I_IbLb0EEEEDaS1E_S1F_EUlS1E_E_NS1_11comp_targetILNS1_3genE3ELNS1_11target_archE908ELNS1_3gpuE7ELNS1_3repE0EEENS1_30default_config_static_selectorELNS0_4arch9wavefront6targetE0EEEvT1_,@function
_ZN7rocprim17ROCPRIM_400000_NS6detail17trampoline_kernelINS0_14default_configENS1_25partition_config_selectorILNS1_17partition_subalgoE6EN6thrust23THRUST_200600_302600_NS5tupleIddNS7_9null_typeES9_S9_S9_S9_S9_S9_S9_EENS0_10empty_typeEbEEZZNS1_14partition_implILS5_6ELb0ES3_mNS7_12zip_iteratorINS8_INS7_6detail15normal_iteratorINS7_10device_ptrIdEEEESJ_S9_S9_S9_S9_S9_S9_S9_S9_EEEEPSB_SM_NS0_5tupleIJNSE_INS8_ISJ_NS7_16discard_iteratorINS7_11use_defaultEEES9_S9_S9_S9_S9_S9_S9_S9_EEEESB_EEENSN_IJSM_SM_EEESB_PlJNSF_9not_fun_tINSF_14equal_to_valueISA_EEEEEEE10hipError_tPvRmT3_T4_T5_T6_T7_T9_mT8_P12ihipStream_tbDpT10_ENKUlT_T0_E_clISt17integral_constantIbLb1EES1I_IbLb0EEEEDaS1E_S1F_EUlS1E_E_NS1_11comp_targetILNS1_3genE3ELNS1_11target_archE908ELNS1_3gpuE7ELNS1_3repE0EEENS1_30default_config_static_selectorELNS0_4arch9wavefront6targetE0EEEvT1_: ; @_ZN7rocprim17ROCPRIM_400000_NS6detail17trampoline_kernelINS0_14default_configENS1_25partition_config_selectorILNS1_17partition_subalgoE6EN6thrust23THRUST_200600_302600_NS5tupleIddNS7_9null_typeES9_S9_S9_S9_S9_S9_S9_EENS0_10empty_typeEbEEZZNS1_14partition_implILS5_6ELb0ES3_mNS7_12zip_iteratorINS8_INS7_6detail15normal_iteratorINS7_10device_ptrIdEEEESJ_S9_S9_S9_S9_S9_S9_S9_S9_EEEEPSB_SM_NS0_5tupleIJNSE_INS8_ISJ_NS7_16discard_iteratorINS7_11use_defaultEEES9_S9_S9_S9_S9_S9_S9_S9_EEEESB_EEENSN_IJSM_SM_EEESB_PlJNSF_9not_fun_tINSF_14equal_to_valueISA_EEEEEEE10hipError_tPvRmT3_T4_T5_T6_T7_T9_mT8_P12ihipStream_tbDpT10_ENKUlT_T0_E_clISt17integral_constantIbLb1EES1I_IbLb0EEEEDaS1E_S1F_EUlS1E_E_NS1_11comp_targetILNS1_3genE3ELNS1_11target_archE908ELNS1_3gpuE7ELNS1_3repE0EEENS1_30default_config_static_selectorELNS0_4arch9wavefront6targetE0EEEvT1_
; %bb.0:
	.section	.rodata,"a",@progbits
	.p2align	6, 0x0
	.amdhsa_kernel _ZN7rocprim17ROCPRIM_400000_NS6detail17trampoline_kernelINS0_14default_configENS1_25partition_config_selectorILNS1_17partition_subalgoE6EN6thrust23THRUST_200600_302600_NS5tupleIddNS7_9null_typeES9_S9_S9_S9_S9_S9_S9_EENS0_10empty_typeEbEEZZNS1_14partition_implILS5_6ELb0ES3_mNS7_12zip_iteratorINS8_INS7_6detail15normal_iteratorINS7_10device_ptrIdEEEESJ_S9_S9_S9_S9_S9_S9_S9_S9_EEEEPSB_SM_NS0_5tupleIJNSE_INS8_ISJ_NS7_16discard_iteratorINS7_11use_defaultEEES9_S9_S9_S9_S9_S9_S9_S9_EEEESB_EEENSN_IJSM_SM_EEESB_PlJNSF_9not_fun_tINSF_14equal_to_valueISA_EEEEEEE10hipError_tPvRmT3_T4_T5_T6_T7_T9_mT8_P12ihipStream_tbDpT10_ENKUlT_T0_E_clISt17integral_constantIbLb1EES1I_IbLb0EEEEDaS1E_S1F_EUlS1E_E_NS1_11comp_targetILNS1_3genE3ELNS1_11target_archE908ELNS1_3gpuE7ELNS1_3repE0EEENS1_30default_config_static_selectorELNS0_4arch9wavefront6targetE0EEEvT1_
		.amdhsa_group_segment_fixed_size 0
		.amdhsa_private_segment_fixed_size 0
		.amdhsa_kernarg_size 152
		.amdhsa_user_sgpr_count 2
		.amdhsa_user_sgpr_dispatch_ptr 0
		.amdhsa_user_sgpr_queue_ptr 0
		.amdhsa_user_sgpr_kernarg_segment_ptr 1
		.amdhsa_user_sgpr_dispatch_id 0
		.amdhsa_user_sgpr_private_segment_size 0
		.amdhsa_wavefront_size32 1
		.amdhsa_uses_dynamic_stack 0
		.amdhsa_enable_private_segment 0
		.amdhsa_system_sgpr_workgroup_id_x 1
		.amdhsa_system_sgpr_workgroup_id_y 0
		.amdhsa_system_sgpr_workgroup_id_z 0
		.amdhsa_system_sgpr_workgroup_info 0
		.amdhsa_system_vgpr_workitem_id 0
		.amdhsa_next_free_vgpr 1
		.amdhsa_next_free_sgpr 1
		.amdhsa_reserve_vcc 0
		.amdhsa_float_round_mode_32 0
		.amdhsa_float_round_mode_16_64 0
		.amdhsa_float_denorm_mode_32 3
		.amdhsa_float_denorm_mode_16_64 3
		.amdhsa_fp16_overflow 0
		.amdhsa_workgroup_processor_mode 1
		.amdhsa_memory_ordered 1
		.amdhsa_forward_progress 1
		.amdhsa_inst_pref_size 0
		.amdhsa_round_robin_scheduling 0
		.amdhsa_exception_fp_ieee_invalid_op 0
		.amdhsa_exception_fp_denorm_src 0
		.amdhsa_exception_fp_ieee_div_zero 0
		.amdhsa_exception_fp_ieee_overflow 0
		.amdhsa_exception_fp_ieee_underflow 0
		.amdhsa_exception_fp_ieee_inexact 0
		.amdhsa_exception_int_div_zero 0
	.end_amdhsa_kernel
	.section	.text._ZN7rocprim17ROCPRIM_400000_NS6detail17trampoline_kernelINS0_14default_configENS1_25partition_config_selectorILNS1_17partition_subalgoE6EN6thrust23THRUST_200600_302600_NS5tupleIddNS7_9null_typeES9_S9_S9_S9_S9_S9_S9_EENS0_10empty_typeEbEEZZNS1_14partition_implILS5_6ELb0ES3_mNS7_12zip_iteratorINS8_INS7_6detail15normal_iteratorINS7_10device_ptrIdEEEESJ_S9_S9_S9_S9_S9_S9_S9_S9_EEEEPSB_SM_NS0_5tupleIJNSE_INS8_ISJ_NS7_16discard_iteratorINS7_11use_defaultEEES9_S9_S9_S9_S9_S9_S9_S9_EEEESB_EEENSN_IJSM_SM_EEESB_PlJNSF_9not_fun_tINSF_14equal_to_valueISA_EEEEEEE10hipError_tPvRmT3_T4_T5_T6_T7_T9_mT8_P12ihipStream_tbDpT10_ENKUlT_T0_E_clISt17integral_constantIbLb1EES1I_IbLb0EEEEDaS1E_S1F_EUlS1E_E_NS1_11comp_targetILNS1_3genE3ELNS1_11target_archE908ELNS1_3gpuE7ELNS1_3repE0EEENS1_30default_config_static_selectorELNS0_4arch9wavefront6targetE0EEEvT1_,"axG",@progbits,_ZN7rocprim17ROCPRIM_400000_NS6detail17trampoline_kernelINS0_14default_configENS1_25partition_config_selectorILNS1_17partition_subalgoE6EN6thrust23THRUST_200600_302600_NS5tupleIddNS7_9null_typeES9_S9_S9_S9_S9_S9_S9_EENS0_10empty_typeEbEEZZNS1_14partition_implILS5_6ELb0ES3_mNS7_12zip_iteratorINS8_INS7_6detail15normal_iteratorINS7_10device_ptrIdEEEESJ_S9_S9_S9_S9_S9_S9_S9_S9_EEEEPSB_SM_NS0_5tupleIJNSE_INS8_ISJ_NS7_16discard_iteratorINS7_11use_defaultEEES9_S9_S9_S9_S9_S9_S9_S9_EEEESB_EEENSN_IJSM_SM_EEESB_PlJNSF_9not_fun_tINSF_14equal_to_valueISA_EEEEEEE10hipError_tPvRmT3_T4_T5_T6_T7_T9_mT8_P12ihipStream_tbDpT10_ENKUlT_T0_E_clISt17integral_constantIbLb1EES1I_IbLb0EEEEDaS1E_S1F_EUlS1E_E_NS1_11comp_targetILNS1_3genE3ELNS1_11target_archE908ELNS1_3gpuE7ELNS1_3repE0EEENS1_30default_config_static_selectorELNS0_4arch9wavefront6targetE0EEEvT1_,comdat
.Lfunc_end1840:
	.size	_ZN7rocprim17ROCPRIM_400000_NS6detail17trampoline_kernelINS0_14default_configENS1_25partition_config_selectorILNS1_17partition_subalgoE6EN6thrust23THRUST_200600_302600_NS5tupleIddNS7_9null_typeES9_S9_S9_S9_S9_S9_S9_EENS0_10empty_typeEbEEZZNS1_14partition_implILS5_6ELb0ES3_mNS7_12zip_iteratorINS8_INS7_6detail15normal_iteratorINS7_10device_ptrIdEEEESJ_S9_S9_S9_S9_S9_S9_S9_S9_EEEEPSB_SM_NS0_5tupleIJNSE_INS8_ISJ_NS7_16discard_iteratorINS7_11use_defaultEEES9_S9_S9_S9_S9_S9_S9_S9_EEEESB_EEENSN_IJSM_SM_EEESB_PlJNSF_9not_fun_tINSF_14equal_to_valueISA_EEEEEEE10hipError_tPvRmT3_T4_T5_T6_T7_T9_mT8_P12ihipStream_tbDpT10_ENKUlT_T0_E_clISt17integral_constantIbLb1EES1I_IbLb0EEEEDaS1E_S1F_EUlS1E_E_NS1_11comp_targetILNS1_3genE3ELNS1_11target_archE908ELNS1_3gpuE7ELNS1_3repE0EEENS1_30default_config_static_selectorELNS0_4arch9wavefront6targetE0EEEvT1_, .Lfunc_end1840-_ZN7rocprim17ROCPRIM_400000_NS6detail17trampoline_kernelINS0_14default_configENS1_25partition_config_selectorILNS1_17partition_subalgoE6EN6thrust23THRUST_200600_302600_NS5tupleIddNS7_9null_typeES9_S9_S9_S9_S9_S9_S9_EENS0_10empty_typeEbEEZZNS1_14partition_implILS5_6ELb0ES3_mNS7_12zip_iteratorINS8_INS7_6detail15normal_iteratorINS7_10device_ptrIdEEEESJ_S9_S9_S9_S9_S9_S9_S9_S9_EEEEPSB_SM_NS0_5tupleIJNSE_INS8_ISJ_NS7_16discard_iteratorINS7_11use_defaultEEES9_S9_S9_S9_S9_S9_S9_S9_EEEESB_EEENSN_IJSM_SM_EEESB_PlJNSF_9not_fun_tINSF_14equal_to_valueISA_EEEEEEE10hipError_tPvRmT3_T4_T5_T6_T7_T9_mT8_P12ihipStream_tbDpT10_ENKUlT_T0_E_clISt17integral_constantIbLb1EES1I_IbLb0EEEEDaS1E_S1F_EUlS1E_E_NS1_11comp_targetILNS1_3genE3ELNS1_11target_archE908ELNS1_3gpuE7ELNS1_3repE0EEENS1_30default_config_static_selectorELNS0_4arch9wavefront6targetE0EEEvT1_
                                        ; -- End function
	.set _ZN7rocprim17ROCPRIM_400000_NS6detail17trampoline_kernelINS0_14default_configENS1_25partition_config_selectorILNS1_17partition_subalgoE6EN6thrust23THRUST_200600_302600_NS5tupleIddNS7_9null_typeES9_S9_S9_S9_S9_S9_S9_EENS0_10empty_typeEbEEZZNS1_14partition_implILS5_6ELb0ES3_mNS7_12zip_iteratorINS8_INS7_6detail15normal_iteratorINS7_10device_ptrIdEEEESJ_S9_S9_S9_S9_S9_S9_S9_S9_EEEEPSB_SM_NS0_5tupleIJNSE_INS8_ISJ_NS7_16discard_iteratorINS7_11use_defaultEEES9_S9_S9_S9_S9_S9_S9_S9_EEEESB_EEENSN_IJSM_SM_EEESB_PlJNSF_9not_fun_tINSF_14equal_to_valueISA_EEEEEEE10hipError_tPvRmT3_T4_T5_T6_T7_T9_mT8_P12ihipStream_tbDpT10_ENKUlT_T0_E_clISt17integral_constantIbLb1EES1I_IbLb0EEEEDaS1E_S1F_EUlS1E_E_NS1_11comp_targetILNS1_3genE3ELNS1_11target_archE908ELNS1_3gpuE7ELNS1_3repE0EEENS1_30default_config_static_selectorELNS0_4arch9wavefront6targetE0EEEvT1_.num_vgpr, 0
	.set _ZN7rocprim17ROCPRIM_400000_NS6detail17trampoline_kernelINS0_14default_configENS1_25partition_config_selectorILNS1_17partition_subalgoE6EN6thrust23THRUST_200600_302600_NS5tupleIddNS7_9null_typeES9_S9_S9_S9_S9_S9_S9_EENS0_10empty_typeEbEEZZNS1_14partition_implILS5_6ELb0ES3_mNS7_12zip_iteratorINS8_INS7_6detail15normal_iteratorINS7_10device_ptrIdEEEESJ_S9_S9_S9_S9_S9_S9_S9_S9_EEEEPSB_SM_NS0_5tupleIJNSE_INS8_ISJ_NS7_16discard_iteratorINS7_11use_defaultEEES9_S9_S9_S9_S9_S9_S9_S9_EEEESB_EEENSN_IJSM_SM_EEESB_PlJNSF_9not_fun_tINSF_14equal_to_valueISA_EEEEEEE10hipError_tPvRmT3_T4_T5_T6_T7_T9_mT8_P12ihipStream_tbDpT10_ENKUlT_T0_E_clISt17integral_constantIbLb1EES1I_IbLb0EEEEDaS1E_S1F_EUlS1E_E_NS1_11comp_targetILNS1_3genE3ELNS1_11target_archE908ELNS1_3gpuE7ELNS1_3repE0EEENS1_30default_config_static_selectorELNS0_4arch9wavefront6targetE0EEEvT1_.num_agpr, 0
	.set _ZN7rocprim17ROCPRIM_400000_NS6detail17trampoline_kernelINS0_14default_configENS1_25partition_config_selectorILNS1_17partition_subalgoE6EN6thrust23THRUST_200600_302600_NS5tupleIddNS7_9null_typeES9_S9_S9_S9_S9_S9_S9_EENS0_10empty_typeEbEEZZNS1_14partition_implILS5_6ELb0ES3_mNS7_12zip_iteratorINS8_INS7_6detail15normal_iteratorINS7_10device_ptrIdEEEESJ_S9_S9_S9_S9_S9_S9_S9_S9_EEEEPSB_SM_NS0_5tupleIJNSE_INS8_ISJ_NS7_16discard_iteratorINS7_11use_defaultEEES9_S9_S9_S9_S9_S9_S9_S9_EEEESB_EEENSN_IJSM_SM_EEESB_PlJNSF_9not_fun_tINSF_14equal_to_valueISA_EEEEEEE10hipError_tPvRmT3_T4_T5_T6_T7_T9_mT8_P12ihipStream_tbDpT10_ENKUlT_T0_E_clISt17integral_constantIbLb1EES1I_IbLb0EEEEDaS1E_S1F_EUlS1E_E_NS1_11comp_targetILNS1_3genE3ELNS1_11target_archE908ELNS1_3gpuE7ELNS1_3repE0EEENS1_30default_config_static_selectorELNS0_4arch9wavefront6targetE0EEEvT1_.numbered_sgpr, 0
	.set _ZN7rocprim17ROCPRIM_400000_NS6detail17trampoline_kernelINS0_14default_configENS1_25partition_config_selectorILNS1_17partition_subalgoE6EN6thrust23THRUST_200600_302600_NS5tupleIddNS7_9null_typeES9_S9_S9_S9_S9_S9_S9_EENS0_10empty_typeEbEEZZNS1_14partition_implILS5_6ELb0ES3_mNS7_12zip_iteratorINS8_INS7_6detail15normal_iteratorINS7_10device_ptrIdEEEESJ_S9_S9_S9_S9_S9_S9_S9_S9_EEEEPSB_SM_NS0_5tupleIJNSE_INS8_ISJ_NS7_16discard_iteratorINS7_11use_defaultEEES9_S9_S9_S9_S9_S9_S9_S9_EEEESB_EEENSN_IJSM_SM_EEESB_PlJNSF_9not_fun_tINSF_14equal_to_valueISA_EEEEEEE10hipError_tPvRmT3_T4_T5_T6_T7_T9_mT8_P12ihipStream_tbDpT10_ENKUlT_T0_E_clISt17integral_constantIbLb1EES1I_IbLb0EEEEDaS1E_S1F_EUlS1E_E_NS1_11comp_targetILNS1_3genE3ELNS1_11target_archE908ELNS1_3gpuE7ELNS1_3repE0EEENS1_30default_config_static_selectorELNS0_4arch9wavefront6targetE0EEEvT1_.num_named_barrier, 0
	.set _ZN7rocprim17ROCPRIM_400000_NS6detail17trampoline_kernelINS0_14default_configENS1_25partition_config_selectorILNS1_17partition_subalgoE6EN6thrust23THRUST_200600_302600_NS5tupleIddNS7_9null_typeES9_S9_S9_S9_S9_S9_S9_EENS0_10empty_typeEbEEZZNS1_14partition_implILS5_6ELb0ES3_mNS7_12zip_iteratorINS8_INS7_6detail15normal_iteratorINS7_10device_ptrIdEEEESJ_S9_S9_S9_S9_S9_S9_S9_S9_EEEEPSB_SM_NS0_5tupleIJNSE_INS8_ISJ_NS7_16discard_iteratorINS7_11use_defaultEEES9_S9_S9_S9_S9_S9_S9_S9_EEEESB_EEENSN_IJSM_SM_EEESB_PlJNSF_9not_fun_tINSF_14equal_to_valueISA_EEEEEEE10hipError_tPvRmT3_T4_T5_T6_T7_T9_mT8_P12ihipStream_tbDpT10_ENKUlT_T0_E_clISt17integral_constantIbLb1EES1I_IbLb0EEEEDaS1E_S1F_EUlS1E_E_NS1_11comp_targetILNS1_3genE3ELNS1_11target_archE908ELNS1_3gpuE7ELNS1_3repE0EEENS1_30default_config_static_selectorELNS0_4arch9wavefront6targetE0EEEvT1_.private_seg_size, 0
	.set _ZN7rocprim17ROCPRIM_400000_NS6detail17trampoline_kernelINS0_14default_configENS1_25partition_config_selectorILNS1_17partition_subalgoE6EN6thrust23THRUST_200600_302600_NS5tupleIddNS7_9null_typeES9_S9_S9_S9_S9_S9_S9_EENS0_10empty_typeEbEEZZNS1_14partition_implILS5_6ELb0ES3_mNS7_12zip_iteratorINS8_INS7_6detail15normal_iteratorINS7_10device_ptrIdEEEESJ_S9_S9_S9_S9_S9_S9_S9_S9_EEEEPSB_SM_NS0_5tupleIJNSE_INS8_ISJ_NS7_16discard_iteratorINS7_11use_defaultEEES9_S9_S9_S9_S9_S9_S9_S9_EEEESB_EEENSN_IJSM_SM_EEESB_PlJNSF_9not_fun_tINSF_14equal_to_valueISA_EEEEEEE10hipError_tPvRmT3_T4_T5_T6_T7_T9_mT8_P12ihipStream_tbDpT10_ENKUlT_T0_E_clISt17integral_constantIbLb1EES1I_IbLb0EEEEDaS1E_S1F_EUlS1E_E_NS1_11comp_targetILNS1_3genE3ELNS1_11target_archE908ELNS1_3gpuE7ELNS1_3repE0EEENS1_30default_config_static_selectorELNS0_4arch9wavefront6targetE0EEEvT1_.uses_vcc, 0
	.set _ZN7rocprim17ROCPRIM_400000_NS6detail17trampoline_kernelINS0_14default_configENS1_25partition_config_selectorILNS1_17partition_subalgoE6EN6thrust23THRUST_200600_302600_NS5tupleIddNS7_9null_typeES9_S9_S9_S9_S9_S9_S9_EENS0_10empty_typeEbEEZZNS1_14partition_implILS5_6ELb0ES3_mNS7_12zip_iteratorINS8_INS7_6detail15normal_iteratorINS7_10device_ptrIdEEEESJ_S9_S9_S9_S9_S9_S9_S9_S9_EEEEPSB_SM_NS0_5tupleIJNSE_INS8_ISJ_NS7_16discard_iteratorINS7_11use_defaultEEES9_S9_S9_S9_S9_S9_S9_S9_EEEESB_EEENSN_IJSM_SM_EEESB_PlJNSF_9not_fun_tINSF_14equal_to_valueISA_EEEEEEE10hipError_tPvRmT3_T4_T5_T6_T7_T9_mT8_P12ihipStream_tbDpT10_ENKUlT_T0_E_clISt17integral_constantIbLb1EES1I_IbLb0EEEEDaS1E_S1F_EUlS1E_E_NS1_11comp_targetILNS1_3genE3ELNS1_11target_archE908ELNS1_3gpuE7ELNS1_3repE0EEENS1_30default_config_static_selectorELNS0_4arch9wavefront6targetE0EEEvT1_.uses_flat_scratch, 0
	.set _ZN7rocprim17ROCPRIM_400000_NS6detail17trampoline_kernelINS0_14default_configENS1_25partition_config_selectorILNS1_17partition_subalgoE6EN6thrust23THRUST_200600_302600_NS5tupleIddNS7_9null_typeES9_S9_S9_S9_S9_S9_S9_EENS0_10empty_typeEbEEZZNS1_14partition_implILS5_6ELb0ES3_mNS7_12zip_iteratorINS8_INS7_6detail15normal_iteratorINS7_10device_ptrIdEEEESJ_S9_S9_S9_S9_S9_S9_S9_S9_EEEEPSB_SM_NS0_5tupleIJNSE_INS8_ISJ_NS7_16discard_iteratorINS7_11use_defaultEEES9_S9_S9_S9_S9_S9_S9_S9_EEEESB_EEENSN_IJSM_SM_EEESB_PlJNSF_9not_fun_tINSF_14equal_to_valueISA_EEEEEEE10hipError_tPvRmT3_T4_T5_T6_T7_T9_mT8_P12ihipStream_tbDpT10_ENKUlT_T0_E_clISt17integral_constantIbLb1EES1I_IbLb0EEEEDaS1E_S1F_EUlS1E_E_NS1_11comp_targetILNS1_3genE3ELNS1_11target_archE908ELNS1_3gpuE7ELNS1_3repE0EEENS1_30default_config_static_selectorELNS0_4arch9wavefront6targetE0EEEvT1_.has_dyn_sized_stack, 0
	.set _ZN7rocprim17ROCPRIM_400000_NS6detail17trampoline_kernelINS0_14default_configENS1_25partition_config_selectorILNS1_17partition_subalgoE6EN6thrust23THRUST_200600_302600_NS5tupleIddNS7_9null_typeES9_S9_S9_S9_S9_S9_S9_EENS0_10empty_typeEbEEZZNS1_14partition_implILS5_6ELb0ES3_mNS7_12zip_iteratorINS8_INS7_6detail15normal_iteratorINS7_10device_ptrIdEEEESJ_S9_S9_S9_S9_S9_S9_S9_S9_EEEEPSB_SM_NS0_5tupleIJNSE_INS8_ISJ_NS7_16discard_iteratorINS7_11use_defaultEEES9_S9_S9_S9_S9_S9_S9_S9_EEEESB_EEENSN_IJSM_SM_EEESB_PlJNSF_9not_fun_tINSF_14equal_to_valueISA_EEEEEEE10hipError_tPvRmT3_T4_T5_T6_T7_T9_mT8_P12ihipStream_tbDpT10_ENKUlT_T0_E_clISt17integral_constantIbLb1EES1I_IbLb0EEEEDaS1E_S1F_EUlS1E_E_NS1_11comp_targetILNS1_3genE3ELNS1_11target_archE908ELNS1_3gpuE7ELNS1_3repE0EEENS1_30default_config_static_selectorELNS0_4arch9wavefront6targetE0EEEvT1_.has_recursion, 0
	.set _ZN7rocprim17ROCPRIM_400000_NS6detail17trampoline_kernelINS0_14default_configENS1_25partition_config_selectorILNS1_17partition_subalgoE6EN6thrust23THRUST_200600_302600_NS5tupleIddNS7_9null_typeES9_S9_S9_S9_S9_S9_S9_EENS0_10empty_typeEbEEZZNS1_14partition_implILS5_6ELb0ES3_mNS7_12zip_iteratorINS8_INS7_6detail15normal_iteratorINS7_10device_ptrIdEEEESJ_S9_S9_S9_S9_S9_S9_S9_S9_EEEEPSB_SM_NS0_5tupleIJNSE_INS8_ISJ_NS7_16discard_iteratorINS7_11use_defaultEEES9_S9_S9_S9_S9_S9_S9_S9_EEEESB_EEENSN_IJSM_SM_EEESB_PlJNSF_9not_fun_tINSF_14equal_to_valueISA_EEEEEEE10hipError_tPvRmT3_T4_T5_T6_T7_T9_mT8_P12ihipStream_tbDpT10_ENKUlT_T0_E_clISt17integral_constantIbLb1EES1I_IbLb0EEEEDaS1E_S1F_EUlS1E_E_NS1_11comp_targetILNS1_3genE3ELNS1_11target_archE908ELNS1_3gpuE7ELNS1_3repE0EEENS1_30default_config_static_selectorELNS0_4arch9wavefront6targetE0EEEvT1_.has_indirect_call, 0
	.section	.AMDGPU.csdata,"",@progbits
; Kernel info:
; codeLenInByte = 0
; TotalNumSgprs: 0
; NumVgprs: 0
; ScratchSize: 0
; MemoryBound: 0
; FloatMode: 240
; IeeeMode: 1
; LDSByteSize: 0 bytes/workgroup (compile time only)
; SGPRBlocks: 0
; VGPRBlocks: 0
; NumSGPRsForWavesPerEU: 1
; NumVGPRsForWavesPerEU: 1
; Occupancy: 16
; WaveLimiterHint : 0
; COMPUTE_PGM_RSRC2:SCRATCH_EN: 0
; COMPUTE_PGM_RSRC2:USER_SGPR: 2
; COMPUTE_PGM_RSRC2:TRAP_HANDLER: 0
; COMPUTE_PGM_RSRC2:TGID_X_EN: 1
; COMPUTE_PGM_RSRC2:TGID_Y_EN: 0
; COMPUTE_PGM_RSRC2:TGID_Z_EN: 0
; COMPUTE_PGM_RSRC2:TIDIG_COMP_CNT: 0
	.section	.text._ZN7rocprim17ROCPRIM_400000_NS6detail17trampoline_kernelINS0_14default_configENS1_25partition_config_selectorILNS1_17partition_subalgoE6EN6thrust23THRUST_200600_302600_NS5tupleIddNS7_9null_typeES9_S9_S9_S9_S9_S9_S9_EENS0_10empty_typeEbEEZZNS1_14partition_implILS5_6ELb0ES3_mNS7_12zip_iteratorINS8_INS7_6detail15normal_iteratorINS7_10device_ptrIdEEEESJ_S9_S9_S9_S9_S9_S9_S9_S9_EEEEPSB_SM_NS0_5tupleIJNSE_INS8_ISJ_NS7_16discard_iteratorINS7_11use_defaultEEES9_S9_S9_S9_S9_S9_S9_S9_EEEESB_EEENSN_IJSM_SM_EEESB_PlJNSF_9not_fun_tINSF_14equal_to_valueISA_EEEEEEE10hipError_tPvRmT3_T4_T5_T6_T7_T9_mT8_P12ihipStream_tbDpT10_ENKUlT_T0_E_clISt17integral_constantIbLb1EES1I_IbLb0EEEEDaS1E_S1F_EUlS1E_E_NS1_11comp_targetILNS1_3genE2ELNS1_11target_archE906ELNS1_3gpuE6ELNS1_3repE0EEENS1_30default_config_static_selectorELNS0_4arch9wavefront6targetE0EEEvT1_,"axG",@progbits,_ZN7rocprim17ROCPRIM_400000_NS6detail17trampoline_kernelINS0_14default_configENS1_25partition_config_selectorILNS1_17partition_subalgoE6EN6thrust23THRUST_200600_302600_NS5tupleIddNS7_9null_typeES9_S9_S9_S9_S9_S9_S9_EENS0_10empty_typeEbEEZZNS1_14partition_implILS5_6ELb0ES3_mNS7_12zip_iteratorINS8_INS7_6detail15normal_iteratorINS7_10device_ptrIdEEEESJ_S9_S9_S9_S9_S9_S9_S9_S9_EEEEPSB_SM_NS0_5tupleIJNSE_INS8_ISJ_NS7_16discard_iteratorINS7_11use_defaultEEES9_S9_S9_S9_S9_S9_S9_S9_EEEESB_EEENSN_IJSM_SM_EEESB_PlJNSF_9not_fun_tINSF_14equal_to_valueISA_EEEEEEE10hipError_tPvRmT3_T4_T5_T6_T7_T9_mT8_P12ihipStream_tbDpT10_ENKUlT_T0_E_clISt17integral_constantIbLb1EES1I_IbLb0EEEEDaS1E_S1F_EUlS1E_E_NS1_11comp_targetILNS1_3genE2ELNS1_11target_archE906ELNS1_3gpuE6ELNS1_3repE0EEENS1_30default_config_static_selectorELNS0_4arch9wavefront6targetE0EEEvT1_,comdat
	.protected	_ZN7rocprim17ROCPRIM_400000_NS6detail17trampoline_kernelINS0_14default_configENS1_25partition_config_selectorILNS1_17partition_subalgoE6EN6thrust23THRUST_200600_302600_NS5tupleIddNS7_9null_typeES9_S9_S9_S9_S9_S9_S9_EENS0_10empty_typeEbEEZZNS1_14partition_implILS5_6ELb0ES3_mNS7_12zip_iteratorINS8_INS7_6detail15normal_iteratorINS7_10device_ptrIdEEEESJ_S9_S9_S9_S9_S9_S9_S9_S9_EEEEPSB_SM_NS0_5tupleIJNSE_INS8_ISJ_NS7_16discard_iteratorINS7_11use_defaultEEES9_S9_S9_S9_S9_S9_S9_S9_EEEESB_EEENSN_IJSM_SM_EEESB_PlJNSF_9not_fun_tINSF_14equal_to_valueISA_EEEEEEE10hipError_tPvRmT3_T4_T5_T6_T7_T9_mT8_P12ihipStream_tbDpT10_ENKUlT_T0_E_clISt17integral_constantIbLb1EES1I_IbLb0EEEEDaS1E_S1F_EUlS1E_E_NS1_11comp_targetILNS1_3genE2ELNS1_11target_archE906ELNS1_3gpuE6ELNS1_3repE0EEENS1_30default_config_static_selectorELNS0_4arch9wavefront6targetE0EEEvT1_ ; -- Begin function _ZN7rocprim17ROCPRIM_400000_NS6detail17trampoline_kernelINS0_14default_configENS1_25partition_config_selectorILNS1_17partition_subalgoE6EN6thrust23THRUST_200600_302600_NS5tupleIddNS7_9null_typeES9_S9_S9_S9_S9_S9_S9_EENS0_10empty_typeEbEEZZNS1_14partition_implILS5_6ELb0ES3_mNS7_12zip_iteratorINS8_INS7_6detail15normal_iteratorINS7_10device_ptrIdEEEESJ_S9_S9_S9_S9_S9_S9_S9_S9_EEEEPSB_SM_NS0_5tupleIJNSE_INS8_ISJ_NS7_16discard_iteratorINS7_11use_defaultEEES9_S9_S9_S9_S9_S9_S9_S9_EEEESB_EEENSN_IJSM_SM_EEESB_PlJNSF_9not_fun_tINSF_14equal_to_valueISA_EEEEEEE10hipError_tPvRmT3_T4_T5_T6_T7_T9_mT8_P12ihipStream_tbDpT10_ENKUlT_T0_E_clISt17integral_constantIbLb1EES1I_IbLb0EEEEDaS1E_S1F_EUlS1E_E_NS1_11comp_targetILNS1_3genE2ELNS1_11target_archE906ELNS1_3gpuE6ELNS1_3repE0EEENS1_30default_config_static_selectorELNS0_4arch9wavefront6targetE0EEEvT1_
	.globl	_ZN7rocprim17ROCPRIM_400000_NS6detail17trampoline_kernelINS0_14default_configENS1_25partition_config_selectorILNS1_17partition_subalgoE6EN6thrust23THRUST_200600_302600_NS5tupleIddNS7_9null_typeES9_S9_S9_S9_S9_S9_S9_EENS0_10empty_typeEbEEZZNS1_14partition_implILS5_6ELb0ES3_mNS7_12zip_iteratorINS8_INS7_6detail15normal_iteratorINS7_10device_ptrIdEEEESJ_S9_S9_S9_S9_S9_S9_S9_S9_EEEEPSB_SM_NS0_5tupleIJNSE_INS8_ISJ_NS7_16discard_iteratorINS7_11use_defaultEEES9_S9_S9_S9_S9_S9_S9_S9_EEEESB_EEENSN_IJSM_SM_EEESB_PlJNSF_9not_fun_tINSF_14equal_to_valueISA_EEEEEEE10hipError_tPvRmT3_T4_T5_T6_T7_T9_mT8_P12ihipStream_tbDpT10_ENKUlT_T0_E_clISt17integral_constantIbLb1EES1I_IbLb0EEEEDaS1E_S1F_EUlS1E_E_NS1_11comp_targetILNS1_3genE2ELNS1_11target_archE906ELNS1_3gpuE6ELNS1_3repE0EEENS1_30default_config_static_selectorELNS0_4arch9wavefront6targetE0EEEvT1_
	.p2align	8
	.type	_ZN7rocprim17ROCPRIM_400000_NS6detail17trampoline_kernelINS0_14default_configENS1_25partition_config_selectorILNS1_17partition_subalgoE6EN6thrust23THRUST_200600_302600_NS5tupleIddNS7_9null_typeES9_S9_S9_S9_S9_S9_S9_EENS0_10empty_typeEbEEZZNS1_14partition_implILS5_6ELb0ES3_mNS7_12zip_iteratorINS8_INS7_6detail15normal_iteratorINS7_10device_ptrIdEEEESJ_S9_S9_S9_S9_S9_S9_S9_S9_EEEEPSB_SM_NS0_5tupleIJNSE_INS8_ISJ_NS7_16discard_iteratorINS7_11use_defaultEEES9_S9_S9_S9_S9_S9_S9_S9_EEEESB_EEENSN_IJSM_SM_EEESB_PlJNSF_9not_fun_tINSF_14equal_to_valueISA_EEEEEEE10hipError_tPvRmT3_T4_T5_T6_T7_T9_mT8_P12ihipStream_tbDpT10_ENKUlT_T0_E_clISt17integral_constantIbLb1EES1I_IbLb0EEEEDaS1E_S1F_EUlS1E_E_NS1_11comp_targetILNS1_3genE2ELNS1_11target_archE906ELNS1_3gpuE6ELNS1_3repE0EEENS1_30default_config_static_selectorELNS0_4arch9wavefront6targetE0EEEvT1_,@function
_ZN7rocprim17ROCPRIM_400000_NS6detail17trampoline_kernelINS0_14default_configENS1_25partition_config_selectorILNS1_17partition_subalgoE6EN6thrust23THRUST_200600_302600_NS5tupleIddNS7_9null_typeES9_S9_S9_S9_S9_S9_S9_EENS0_10empty_typeEbEEZZNS1_14partition_implILS5_6ELb0ES3_mNS7_12zip_iteratorINS8_INS7_6detail15normal_iteratorINS7_10device_ptrIdEEEESJ_S9_S9_S9_S9_S9_S9_S9_S9_EEEEPSB_SM_NS0_5tupleIJNSE_INS8_ISJ_NS7_16discard_iteratorINS7_11use_defaultEEES9_S9_S9_S9_S9_S9_S9_S9_EEEESB_EEENSN_IJSM_SM_EEESB_PlJNSF_9not_fun_tINSF_14equal_to_valueISA_EEEEEEE10hipError_tPvRmT3_T4_T5_T6_T7_T9_mT8_P12ihipStream_tbDpT10_ENKUlT_T0_E_clISt17integral_constantIbLb1EES1I_IbLb0EEEEDaS1E_S1F_EUlS1E_E_NS1_11comp_targetILNS1_3genE2ELNS1_11target_archE906ELNS1_3gpuE6ELNS1_3repE0EEENS1_30default_config_static_selectorELNS0_4arch9wavefront6targetE0EEEvT1_: ; @_ZN7rocprim17ROCPRIM_400000_NS6detail17trampoline_kernelINS0_14default_configENS1_25partition_config_selectorILNS1_17partition_subalgoE6EN6thrust23THRUST_200600_302600_NS5tupleIddNS7_9null_typeES9_S9_S9_S9_S9_S9_S9_EENS0_10empty_typeEbEEZZNS1_14partition_implILS5_6ELb0ES3_mNS7_12zip_iteratorINS8_INS7_6detail15normal_iteratorINS7_10device_ptrIdEEEESJ_S9_S9_S9_S9_S9_S9_S9_S9_EEEEPSB_SM_NS0_5tupleIJNSE_INS8_ISJ_NS7_16discard_iteratorINS7_11use_defaultEEES9_S9_S9_S9_S9_S9_S9_S9_EEEESB_EEENSN_IJSM_SM_EEESB_PlJNSF_9not_fun_tINSF_14equal_to_valueISA_EEEEEEE10hipError_tPvRmT3_T4_T5_T6_T7_T9_mT8_P12ihipStream_tbDpT10_ENKUlT_T0_E_clISt17integral_constantIbLb1EES1I_IbLb0EEEEDaS1E_S1F_EUlS1E_E_NS1_11comp_targetILNS1_3genE2ELNS1_11target_archE906ELNS1_3gpuE6ELNS1_3repE0EEENS1_30default_config_static_selectorELNS0_4arch9wavefront6targetE0EEEvT1_
; %bb.0:
	.section	.rodata,"a",@progbits
	.p2align	6, 0x0
	.amdhsa_kernel _ZN7rocprim17ROCPRIM_400000_NS6detail17trampoline_kernelINS0_14default_configENS1_25partition_config_selectorILNS1_17partition_subalgoE6EN6thrust23THRUST_200600_302600_NS5tupleIddNS7_9null_typeES9_S9_S9_S9_S9_S9_S9_EENS0_10empty_typeEbEEZZNS1_14partition_implILS5_6ELb0ES3_mNS7_12zip_iteratorINS8_INS7_6detail15normal_iteratorINS7_10device_ptrIdEEEESJ_S9_S9_S9_S9_S9_S9_S9_S9_EEEEPSB_SM_NS0_5tupleIJNSE_INS8_ISJ_NS7_16discard_iteratorINS7_11use_defaultEEES9_S9_S9_S9_S9_S9_S9_S9_EEEESB_EEENSN_IJSM_SM_EEESB_PlJNSF_9not_fun_tINSF_14equal_to_valueISA_EEEEEEE10hipError_tPvRmT3_T4_T5_T6_T7_T9_mT8_P12ihipStream_tbDpT10_ENKUlT_T0_E_clISt17integral_constantIbLb1EES1I_IbLb0EEEEDaS1E_S1F_EUlS1E_E_NS1_11comp_targetILNS1_3genE2ELNS1_11target_archE906ELNS1_3gpuE6ELNS1_3repE0EEENS1_30default_config_static_selectorELNS0_4arch9wavefront6targetE0EEEvT1_
		.amdhsa_group_segment_fixed_size 0
		.amdhsa_private_segment_fixed_size 0
		.amdhsa_kernarg_size 152
		.amdhsa_user_sgpr_count 2
		.amdhsa_user_sgpr_dispatch_ptr 0
		.amdhsa_user_sgpr_queue_ptr 0
		.amdhsa_user_sgpr_kernarg_segment_ptr 1
		.amdhsa_user_sgpr_dispatch_id 0
		.amdhsa_user_sgpr_private_segment_size 0
		.amdhsa_wavefront_size32 1
		.amdhsa_uses_dynamic_stack 0
		.amdhsa_enable_private_segment 0
		.amdhsa_system_sgpr_workgroup_id_x 1
		.amdhsa_system_sgpr_workgroup_id_y 0
		.amdhsa_system_sgpr_workgroup_id_z 0
		.amdhsa_system_sgpr_workgroup_info 0
		.amdhsa_system_vgpr_workitem_id 0
		.amdhsa_next_free_vgpr 1
		.amdhsa_next_free_sgpr 1
		.amdhsa_reserve_vcc 0
		.amdhsa_float_round_mode_32 0
		.amdhsa_float_round_mode_16_64 0
		.amdhsa_float_denorm_mode_32 3
		.amdhsa_float_denorm_mode_16_64 3
		.amdhsa_fp16_overflow 0
		.amdhsa_workgroup_processor_mode 1
		.amdhsa_memory_ordered 1
		.amdhsa_forward_progress 1
		.amdhsa_inst_pref_size 0
		.amdhsa_round_robin_scheduling 0
		.amdhsa_exception_fp_ieee_invalid_op 0
		.amdhsa_exception_fp_denorm_src 0
		.amdhsa_exception_fp_ieee_div_zero 0
		.amdhsa_exception_fp_ieee_overflow 0
		.amdhsa_exception_fp_ieee_underflow 0
		.amdhsa_exception_fp_ieee_inexact 0
		.amdhsa_exception_int_div_zero 0
	.end_amdhsa_kernel
	.section	.text._ZN7rocprim17ROCPRIM_400000_NS6detail17trampoline_kernelINS0_14default_configENS1_25partition_config_selectorILNS1_17partition_subalgoE6EN6thrust23THRUST_200600_302600_NS5tupleIddNS7_9null_typeES9_S9_S9_S9_S9_S9_S9_EENS0_10empty_typeEbEEZZNS1_14partition_implILS5_6ELb0ES3_mNS7_12zip_iteratorINS8_INS7_6detail15normal_iteratorINS7_10device_ptrIdEEEESJ_S9_S9_S9_S9_S9_S9_S9_S9_EEEEPSB_SM_NS0_5tupleIJNSE_INS8_ISJ_NS7_16discard_iteratorINS7_11use_defaultEEES9_S9_S9_S9_S9_S9_S9_S9_EEEESB_EEENSN_IJSM_SM_EEESB_PlJNSF_9not_fun_tINSF_14equal_to_valueISA_EEEEEEE10hipError_tPvRmT3_T4_T5_T6_T7_T9_mT8_P12ihipStream_tbDpT10_ENKUlT_T0_E_clISt17integral_constantIbLb1EES1I_IbLb0EEEEDaS1E_S1F_EUlS1E_E_NS1_11comp_targetILNS1_3genE2ELNS1_11target_archE906ELNS1_3gpuE6ELNS1_3repE0EEENS1_30default_config_static_selectorELNS0_4arch9wavefront6targetE0EEEvT1_,"axG",@progbits,_ZN7rocprim17ROCPRIM_400000_NS6detail17trampoline_kernelINS0_14default_configENS1_25partition_config_selectorILNS1_17partition_subalgoE6EN6thrust23THRUST_200600_302600_NS5tupleIddNS7_9null_typeES9_S9_S9_S9_S9_S9_S9_EENS0_10empty_typeEbEEZZNS1_14partition_implILS5_6ELb0ES3_mNS7_12zip_iteratorINS8_INS7_6detail15normal_iteratorINS7_10device_ptrIdEEEESJ_S9_S9_S9_S9_S9_S9_S9_S9_EEEEPSB_SM_NS0_5tupleIJNSE_INS8_ISJ_NS7_16discard_iteratorINS7_11use_defaultEEES9_S9_S9_S9_S9_S9_S9_S9_EEEESB_EEENSN_IJSM_SM_EEESB_PlJNSF_9not_fun_tINSF_14equal_to_valueISA_EEEEEEE10hipError_tPvRmT3_T4_T5_T6_T7_T9_mT8_P12ihipStream_tbDpT10_ENKUlT_T0_E_clISt17integral_constantIbLb1EES1I_IbLb0EEEEDaS1E_S1F_EUlS1E_E_NS1_11comp_targetILNS1_3genE2ELNS1_11target_archE906ELNS1_3gpuE6ELNS1_3repE0EEENS1_30default_config_static_selectorELNS0_4arch9wavefront6targetE0EEEvT1_,comdat
.Lfunc_end1841:
	.size	_ZN7rocprim17ROCPRIM_400000_NS6detail17trampoline_kernelINS0_14default_configENS1_25partition_config_selectorILNS1_17partition_subalgoE6EN6thrust23THRUST_200600_302600_NS5tupleIddNS7_9null_typeES9_S9_S9_S9_S9_S9_S9_EENS0_10empty_typeEbEEZZNS1_14partition_implILS5_6ELb0ES3_mNS7_12zip_iteratorINS8_INS7_6detail15normal_iteratorINS7_10device_ptrIdEEEESJ_S9_S9_S9_S9_S9_S9_S9_S9_EEEEPSB_SM_NS0_5tupleIJNSE_INS8_ISJ_NS7_16discard_iteratorINS7_11use_defaultEEES9_S9_S9_S9_S9_S9_S9_S9_EEEESB_EEENSN_IJSM_SM_EEESB_PlJNSF_9not_fun_tINSF_14equal_to_valueISA_EEEEEEE10hipError_tPvRmT3_T4_T5_T6_T7_T9_mT8_P12ihipStream_tbDpT10_ENKUlT_T0_E_clISt17integral_constantIbLb1EES1I_IbLb0EEEEDaS1E_S1F_EUlS1E_E_NS1_11comp_targetILNS1_3genE2ELNS1_11target_archE906ELNS1_3gpuE6ELNS1_3repE0EEENS1_30default_config_static_selectorELNS0_4arch9wavefront6targetE0EEEvT1_, .Lfunc_end1841-_ZN7rocprim17ROCPRIM_400000_NS6detail17trampoline_kernelINS0_14default_configENS1_25partition_config_selectorILNS1_17partition_subalgoE6EN6thrust23THRUST_200600_302600_NS5tupleIddNS7_9null_typeES9_S9_S9_S9_S9_S9_S9_EENS0_10empty_typeEbEEZZNS1_14partition_implILS5_6ELb0ES3_mNS7_12zip_iteratorINS8_INS7_6detail15normal_iteratorINS7_10device_ptrIdEEEESJ_S9_S9_S9_S9_S9_S9_S9_S9_EEEEPSB_SM_NS0_5tupleIJNSE_INS8_ISJ_NS7_16discard_iteratorINS7_11use_defaultEEES9_S9_S9_S9_S9_S9_S9_S9_EEEESB_EEENSN_IJSM_SM_EEESB_PlJNSF_9not_fun_tINSF_14equal_to_valueISA_EEEEEEE10hipError_tPvRmT3_T4_T5_T6_T7_T9_mT8_P12ihipStream_tbDpT10_ENKUlT_T0_E_clISt17integral_constantIbLb1EES1I_IbLb0EEEEDaS1E_S1F_EUlS1E_E_NS1_11comp_targetILNS1_3genE2ELNS1_11target_archE906ELNS1_3gpuE6ELNS1_3repE0EEENS1_30default_config_static_selectorELNS0_4arch9wavefront6targetE0EEEvT1_
                                        ; -- End function
	.set _ZN7rocprim17ROCPRIM_400000_NS6detail17trampoline_kernelINS0_14default_configENS1_25partition_config_selectorILNS1_17partition_subalgoE6EN6thrust23THRUST_200600_302600_NS5tupleIddNS7_9null_typeES9_S9_S9_S9_S9_S9_S9_EENS0_10empty_typeEbEEZZNS1_14partition_implILS5_6ELb0ES3_mNS7_12zip_iteratorINS8_INS7_6detail15normal_iteratorINS7_10device_ptrIdEEEESJ_S9_S9_S9_S9_S9_S9_S9_S9_EEEEPSB_SM_NS0_5tupleIJNSE_INS8_ISJ_NS7_16discard_iteratorINS7_11use_defaultEEES9_S9_S9_S9_S9_S9_S9_S9_EEEESB_EEENSN_IJSM_SM_EEESB_PlJNSF_9not_fun_tINSF_14equal_to_valueISA_EEEEEEE10hipError_tPvRmT3_T4_T5_T6_T7_T9_mT8_P12ihipStream_tbDpT10_ENKUlT_T0_E_clISt17integral_constantIbLb1EES1I_IbLb0EEEEDaS1E_S1F_EUlS1E_E_NS1_11comp_targetILNS1_3genE2ELNS1_11target_archE906ELNS1_3gpuE6ELNS1_3repE0EEENS1_30default_config_static_selectorELNS0_4arch9wavefront6targetE0EEEvT1_.num_vgpr, 0
	.set _ZN7rocprim17ROCPRIM_400000_NS6detail17trampoline_kernelINS0_14default_configENS1_25partition_config_selectorILNS1_17partition_subalgoE6EN6thrust23THRUST_200600_302600_NS5tupleIddNS7_9null_typeES9_S9_S9_S9_S9_S9_S9_EENS0_10empty_typeEbEEZZNS1_14partition_implILS5_6ELb0ES3_mNS7_12zip_iteratorINS8_INS7_6detail15normal_iteratorINS7_10device_ptrIdEEEESJ_S9_S9_S9_S9_S9_S9_S9_S9_EEEEPSB_SM_NS0_5tupleIJNSE_INS8_ISJ_NS7_16discard_iteratorINS7_11use_defaultEEES9_S9_S9_S9_S9_S9_S9_S9_EEEESB_EEENSN_IJSM_SM_EEESB_PlJNSF_9not_fun_tINSF_14equal_to_valueISA_EEEEEEE10hipError_tPvRmT3_T4_T5_T6_T7_T9_mT8_P12ihipStream_tbDpT10_ENKUlT_T0_E_clISt17integral_constantIbLb1EES1I_IbLb0EEEEDaS1E_S1F_EUlS1E_E_NS1_11comp_targetILNS1_3genE2ELNS1_11target_archE906ELNS1_3gpuE6ELNS1_3repE0EEENS1_30default_config_static_selectorELNS0_4arch9wavefront6targetE0EEEvT1_.num_agpr, 0
	.set _ZN7rocprim17ROCPRIM_400000_NS6detail17trampoline_kernelINS0_14default_configENS1_25partition_config_selectorILNS1_17partition_subalgoE6EN6thrust23THRUST_200600_302600_NS5tupleIddNS7_9null_typeES9_S9_S9_S9_S9_S9_S9_EENS0_10empty_typeEbEEZZNS1_14partition_implILS5_6ELb0ES3_mNS7_12zip_iteratorINS8_INS7_6detail15normal_iteratorINS7_10device_ptrIdEEEESJ_S9_S9_S9_S9_S9_S9_S9_S9_EEEEPSB_SM_NS0_5tupleIJNSE_INS8_ISJ_NS7_16discard_iteratorINS7_11use_defaultEEES9_S9_S9_S9_S9_S9_S9_S9_EEEESB_EEENSN_IJSM_SM_EEESB_PlJNSF_9not_fun_tINSF_14equal_to_valueISA_EEEEEEE10hipError_tPvRmT3_T4_T5_T6_T7_T9_mT8_P12ihipStream_tbDpT10_ENKUlT_T0_E_clISt17integral_constantIbLb1EES1I_IbLb0EEEEDaS1E_S1F_EUlS1E_E_NS1_11comp_targetILNS1_3genE2ELNS1_11target_archE906ELNS1_3gpuE6ELNS1_3repE0EEENS1_30default_config_static_selectorELNS0_4arch9wavefront6targetE0EEEvT1_.numbered_sgpr, 0
	.set _ZN7rocprim17ROCPRIM_400000_NS6detail17trampoline_kernelINS0_14default_configENS1_25partition_config_selectorILNS1_17partition_subalgoE6EN6thrust23THRUST_200600_302600_NS5tupleIddNS7_9null_typeES9_S9_S9_S9_S9_S9_S9_EENS0_10empty_typeEbEEZZNS1_14partition_implILS5_6ELb0ES3_mNS7_12zip_iteratorINS8_INS7_6detail15normal_iteratorINS7_10device_ptrIdEEEESJ_S9_S9_S9_S9_S9_S9_S9_S9_EEEEPSB_SM_NS0_5tupleIJNSE_INS8_ISJ_NS7_16discard_iteratorINS7_11use_defaultEEES9_S9_S9_S9_S9_S9_S9_S9_EEEESB_EEENSN_IJSM_SM_EEESB_PlJNSF_9not_fun_tINSF_14equal_to_valueISA_EEEEEEE10hipError_tPvRmT3_T4_T5_T6_T7_T9_mT8_P12ihipStream_tbDpT10_ENKUlT_T0_E_clISt17integral_constantIbLb1EES1I_IbLb0EEEEDaS1E_S1F_EUlS1E_E_NS1_11comp_targetILNS1_3genE2ELNS1_11target_archE906ELNS1_3gpuE6ELNS1_3repE0EEENS1_30default_config_static_selectorELNS0_4arch9wavefront6targetE0EEEvT1_.num_named_barrier, 0
	.set _ZN7rocprim17ROCPRIM_400000_NS6detail17trampoline_kernelINS0_14default_configENS1_25partition_config_selectorILNS1_17partition_subalgoE6EN6thrust23THRUST_200600_302600_NS5tupleIddNS7_9null_typeES9_S9_S9_S9_S9_S9_S9_EENS0_10empty_typeEbEEZZNS1_14partition_implILS5_6ELb0ES3_mNS7_12zip_iteratorINS8_INS7_6detail15normal_iteratorINS7_10device_ptrIdEEEESJ_S9_S9_S9_S9_S9_S9_S9_S9_EEEEPSB_SM_NS0_5tupleIJNSE_INS8_ISJ_NS7_16discard_iteratorINS7_11use_defaultEEES9_S9_S9_S9_S9_S9_S9_S9_EEEESB_EEENSN_IJSM_SM_EEESB_PlJNSF_9not_fun_tINSF_14equal_to_valueISA_EEEEEEE10hipError_tPvRmT3_T4_T5_T6_T7_T9_mT8_P12ihipStream_tbDpT10_ENKUlT_T0_E_clISt17integral_constantIbLb1EES1I_IbLb0EEEEDaS1E_S1F_EUlS1E_E_NS1_11comp_targetILNS1_3genE2ELNS1_11target_archE906ELNS1_3gpuE6ELNS1_3repE0EEENS1_30default_config_static_selectorELNS0_4arch9wavefront6targetE0EEEvT1_.private_seg_size, 0
	.set _ZN7rocprim17ROCPRIM_400000_NS6detail17trampoline_kernelINS0_14default_configENS1_25partition_config_selectorILNS1_17partition_subalgoE6EN6thrust23THRUST_200600_302600_NS5tupleIddNS7_9null_typeES9_S9_S9_S9_S9_S9_S9_EENS0_10empty_typeEbEEZZNS1_14partition_implILS5_6ELb0ES3_mNS7_12zip_iteratorINS8_INS7_6detail15normal_iteratorINS7_10device_ptrIdEEEESJ_S9_S9_S9_S9_S9_S9_S9_S9_EEEEPSB_SM_NS0_5tupleIJNSE_INS8_ISJ_NS7_16discard_iteratorINS7_11use_defaultEEES9_S9_S9_S9_S9_S9_S9_S9_EEEESB_EEENSN_IJSM_SM_EEESB_PlJNSF_9not_fun_tINSF_14equal_to_valueISA_EEEEEEE10hipError_tPvRmT3_T4_T5_T6_T7_T9_mT8_P12ihipStream_tbDpT10_ENKUlT_T0_E_clISt17integral_constantIbLb1EES1I_IbLb0EEEEDaS1E_S1F_EUlS1E_E_NS1_11comp_targetILNS1_3genE2ELNS1_11target_archE906ELNS1_3gpuE6ELNS1_3repE0EEENS1_30default_config_static_selectorELNS0_4arch9wavefront6targetE0EEEvT1_.uses_vcc, 0
	.set _ZN7rocprim17ROCPRIM_400000_NS6detail17trampoline_kernelINS0_14default_configENS1_25partition_config_selectorILNS1_17partition_subalgoE6EN6thrust23THRUST_200600_302600_NS5tupleIddNS7_9null_typeES9_S9_S9_S9_S9_S9_S9_EENS0_10empty_typeEbEEZZNS1_14partition_implILS5_6ELb0ES3_mNS7_12zip_iteratorINS8_INS7_6detail15normal_iteratorINS7_10device_ptrIdEEEESJ_S9_S9_S9_S9_S9_S9_S9_S9_EEEEPSB_SM_NS0_5tupleIJNSE_INS8_ISJ_NS7_16discard_iteratorINS7_11use_defaultEEES9_S9_S9_S9_S9_S9_S9_S9_EEEESB_EEENSN_IJSM_SM_EEESB_PlJNSF_9not_fun_tINSF_14equal_to_valueISA_EEEEEEE10hipError_tPvRmT3_T4_T5_T6_T7_T9_mT8_P12ihipStream_tbDpT10_ENKUlT_T0_E_clISt17integral_constantIbLb1EES1I_IbLb0EEEEDaS1E_S1F_EUlS1E_E_NS1_11comp_targetILNS1_3genE2ELNS1_11target_archE906ELNS1_3gpuE6ELNS1_3repE0EEENS1_30default_config_static_selectorELNS0_4arch9wavefront6targetE0EEEvT1_.uses_flat_scratch, 0
	.set _ZN7rocprim17ROCPRIM_400000_NS6detail17trampoline_kernelINS0_14default_configENS1_25partition_config_selectorILNS1_17partition_subalgoE6EN6thrust23THRUST_200600_302600_NS5tupleIddNS7_9null_typeES9_S9_S9_S9_S9_S9_S9_EENS0_10empty_typeEbEEZZNS1_14partition_implILS5_6ELb0ES3_mNS7_12zip_iteratorINS8_INS7_6detail15normal_iteratorINS7_10device_ptrIdEEEESJ_S9_S9_S9_S9_S9_S9_S9_S9_EEEEPSB_SM_NS0_5tupleIJNSE_INS8_ISJ_NS7_16discard_iteratorINS7_11use_defaultEEES9_S9_S9_S9_S9_S9_S9_S9_EEEESB_EEENSN_IJSM_SM_EEESB_PlJNSF_9not_fun_tINSF_14equal_to_valueISA_EEEEEEE10hipError_tPvRmT3_T4_T5_T6_T7_T9_mT8_P12ihipStream_tbDpT10_ENKUlT_T0_E_clISt17integral_constantIbLb1EES1I_IbLb0EEEEDaS1E_S1F_EUlS1E_E_NS1_11comp_targetILNS1_3genE2ELNS1_11target_archE906ELNS1_3gpuE6ELNS1_3repE0EEENS1_30default_config_static_selectorELNS0_4arch9wavefront6targetE0EEEvT1_.has_dyn_sized_stack, 0
	.set _ZN7rocprim17ROCPRIM_400000_NS6detail17trampoline_kernelINS0_14default_configENS1_25partition_config_selectorILNS1_17partition_subalgoE6EN6thrust23THRUST_200600_302600_NS5tupleIddNS7_9null_typeES9_S9_S9_S9_S9_S9_S9_EENS0_10empty_typeEbEEZZNS1_14partition_implILS5_6ELb0ES3_mNS7_12zip_iteratorINS8_INS7_6detail15normal_iteratorINS7_10device_ptrIdEEEESJ_S9_S9_S9_S9_S9_S9_S9_S9_EEEEPSB_SM_NS0_5tupleIJNSE_INS8_ISJ_NS7_16discard_iteratorINS7_11use_defaultEEES9_S9_S9_S9_S9_S9_S9_S9_EEEESB_EEENSN_IJSM_SM_EEESB_PlJNSF_9not_fun_tINSF_14equal_to_valueISA_EEEEEEE10hipError_tPvRmT3_T4_T5_T6_T7_T9_mT8_P12ihipStream_tbDpT10_ENKUlT_T0_E_clISt17integral_constantIbLb1EES1I_IbLb0EEEEDaS1E_S1F_EUlS1E_E_NS1_11comp_targetILNS1_3genE2ELNS1_11target_archE906ELNS1_3gpuE6ELNS1_3repE0EEENS1_30default_config_static_selectorELNS0_4arch9wavefront6targetE0EEEvT1_.has_recursion, 0
	.set _ZN7rocprim17ROCPRIM_400000_NS6detail17trampoline_kernelINS0_14default_configENS1_25partition_config_selectorILNS1_17partition_subalgoE6EN6thrust23THRUST_200600_302600_NS5tupleIddNS7_9null_typeES9_S9_S9_S9_S9_S9_S9_EENS0_10empty_typeEbEEZZNS1_14partition_implILS5_6ELb0ES3_mNS7_12zip_iteratorINS8_INS7_6detail15normal_iteratorINS7_10device_ptrIdEEEESJ_S9_S9_S9_S9_S9_S9_S9_S9_EEEEPSB_SM_NS0_5tupleIJNSE_INS8_ISJ_NS7_16discard_iteratorINS7_11use_defaultEEES9_S9_S9_S9_S9_S9_S9_S9_EEEESB_EEENSN_IJSM_SM_EEESB_PlJNSF_9not_fun_tINSF_14equal_to_valueISA_EEEEEEE10hipError_tPvRmT3_T4_T5_T6_T7_T9_mT8_P12ihipStream_tbDpT10_ENKUlT_T0_E_clISt17integral_constantIbLb1EES1I_IbLb0EEEEDaS1E_S1F_EUlS1E_E_NS1_11comp_targetILNS1_3genE2ELNS1_11target_archE906ELNS1_3gpuE6ELNS1_3repE0EEENS1_30default_config_static_selectorELNS0_4arch9wavefront6targetE0EEEvT1_.has_indirect_call, 0
	.section	.AMDGPU.csdata,"",@progbits
; Kernel info:
; codeLenInByte = 0
; TotalNumSgprs: 0
; NumVgprs: 0
; ScratchSize: 0
; MemoryBound: 0
; FloatMode: 240
; IeeeMode: 1
; LDSByteSize: 0 bytes/workgroup (compile time only)
; SGPRBlocks: 0
; VGPRBlocks: 0
; NumSGPRsForWavesPerEU: 1
; NumVGPRsForWavesPerEU: 1
; Occupancy: 16
; WaveLimiterHint : 0
; COMPUTE_PGM_RSRC2:SCRATCH_EN: 0
; COMPUTE_PGM_RSRC2:USER_SGPR: 2
; COMPUTE_PGM_RSRC2:TRAP_HANDLER: 0
; COMPUTE_PGM_RSRC2:TGID_X_EN: 1
; COMPUTE_PGM_RSRC2:TGID_Y_EN: 0
; COMPUTE_PGM_RSRC2:TGID_Z_EN: 0
; COMPUTE_PGM_RSRC2:TIDIG_COMP_CNT: 0
	.section	.text._ZN7rocprim17ROCPRIM_400000_NS6detail17trampoline_kernelINS0_14default_configENS1_25partition_config_selectorILNS1_17partition_subalgoE6EN6thrust23THRUST_200600_302600_NS5tupleIddNS7_9null_typeES9_S9_S9_S9_S9_S9_S9_EENS0_10empty_typeEbEEZZNS1_14partition_implILS5_6ELb0ES3_mNS7_12zip_iteratorINS8_INS7_6detail15normal_iteratorINS7_10device_ptrIdEEEESJ_S9_S9_S9_S9_S9_S9_S9_S9_EEEEPSB_SM_NS0_5tupleIJNSE_INS8_ISJ_NS7_16discard_iteratorINS7_11use_defaultEEES9_S9_S9_S9_S9_S9_S9_S9_EEEESB_EEENSN_IJSM_SM_EEESB_PlJNSF_9not_fun_tINSF_14equal_to_valueISA_EEEEEEE10hipError_tPvRmT3_T4_T5_T6_T7_T9_mT8_P12ihipStream_tbDpT10_ENKUlT_T0_E_clISt17integral_constantIbLb1EES1I_IbLb0EEEEDaS1E_S1F_EUlS1E_E_NS1_11comp_targetILNS1_3genE10ELNS1_11target_archE1200ELNS1_3gpuE4ELNS1_3repE0EEENS1_30default_config_static_selectorELNS0_4arch9wavefront6targetE0EEEvT1_,"axG",@progbits,_ZN7rocprim17ROCPRIM_400000_NS6detail17trampoline_kernelINS0_14default_configENS1_25partition_config_selectorILNS1_17partition_subalgoE6EN6thrust23THRUST_200600_302600_NS5tupleIddNS7_9null_typeES9_S9_S9_S9_S9_S9_S9_EENS0_10empty_typeEbEEZZNS1_14partition_implILS5_6ELb0ES3_mNS7_12zip_iteratorINS8_INS7_6detail15normal_iteratorINS7_10device_ptrIdEEEESJ_S9_S9_S9_S9_S9_S9_S9_S9_EEEEPSB_SM_NS0_5tupleIJNSE_INS8_ISJ_NS7_16discard_iteratorINS7_11use_defaultEEES9_S9_S9_S9_S9_S9_S9_S9_EEEESB_EEENSN_IJSM_SM_EEESB_PlJNSF_9not_fun_tINSF_14equal_to_valueISA_EEEEEEE10hipError_tPvRmT3_T4_T5_T6_T7_T9_mT8_P12ihipStream_tbDpT10_ENKUlT_T0_E_clISt17integral_constantIbLb1EES1I_IbLb0EEEEDaS1E_S1F_EUlS1E_E_NS1_11comp_targetILNS1_3genE10ELNS1_11target_archE1200ELNS1_3gpuE4ELNS1_3repE0EEENS1_30default_config_static_selectorELNS0_4arch9wavefront6targetE0EEEvT1_,comdat
	.protected	_ZN7rocprim17ROCPRIM_400000_NS6detail17trampoline_kernelINS0_14default_configENS1_25partition_config_selectorILNS1_17partition_subalgoE6EN6thrust23THRUST_200600_302600_NS5tupleIddNS7_9null_typeES9_S9_S9_S9_S9_S9_S9_EENS0_10empty_typeEbEEZZNS1_14partition_implILS5_6ELb0ES3_mNS7_12zip_iteratorINS8_INS7_6detail15normal_iteratorINS7_10device_ptrIdEEEESJ_S9_S9_S9_S9_S9_S9_S9_S9_EEEEPSB_SM_NS0_5tupleIJNSE_INS8_ISJ_NS7_16discard_iteratorINS7_11use_defaultEEES9_S9_S9_S9_S9_S9_S9_S9_EEEESB_EEENSN_IJSM_SM_EEESB_PlJNSF_9not_fun_tINSF_14equal_to_valueISA_EEEEEEE10hipError_tPvRmT3_T4_T5_T6_T7_T9_mT8_P12ihipStream_tbDpT10_ENKUlT_T0_E_clISt17integral_constantIbLb1EES1I_IbLb0EEEEDaS1E_S1F_EUlS1E_E_NS1_11comp_targetILNS1_3genE10ELNS1_11target_archE1200ELNS1_3gpuE4ELNS1_3repE0EEENS1_30default_config_static_selectorELNS0_4arch9wavefront6targetE0EEEvT1_ ; -- Begin function _ZN7rocprim17ROCPRIM_400000_NS6detail17trampoline_kernelINS0_14default_configENS1_25partition_config_selectorILNS1_17partition_subalgoE6EN6thrust23THRUST_200600_302600_NS5tupleIddNS7_9null_typeES9_S9_S9_S9_S9_S9_S9_EENS0_10empty_typeEbEEZZNS1_14partition_implILS5_6ELb0ES3_mNS7_12zip_iteratorINS8_INS7_6detail15normal_iteratorINS7_10device_ptrIdEEEESJ_S9_S9_S9_S9_S9_S9_S9_S9_EEEEPSB_SM_NS0_5tupleIJNSE_INS8_ISJ_NS7_16discard_iteratorINS7_11use_defaultEEES9_S9_S9_S9_S9_S9_S9_S9_EEEESB_EEENSN_IJSM_SM_EEESB_PlJNSF_9not_fun_tINSF_14equal_to_valueISA_EEEEEEE10hipError_tPvRmT3_T4_T5_T6_T7_T9_mT8_P12ihipStream_tbDpT10_ENKUlT_T0_E_clISt17integral_constantIbLb1EES1I_IbLb0EEEEDaS1E_S1F_EUlS1E_E_NS1_11comp_targetILNS1_3genE10ELNS1_11target_archE1200ELNS1_3gpuE4ELNS1_3repE0EEENS1_30default_config_static_selectorELNS0_4arch9wavefront6targetE0EEEvT1_
	.globl	_ZN7rocprim17ROCPRIM_400000_NS6detail17trampoline_kernelINS0_14default_configENS1_25partition_config_selectorILNS1_17partition_subalgoE6EN6thrust23THRUST_200600_302600_NS5tupleIddNS7_9null_typeES9_S9_S9_S9_S9_S9_S9_EENS0_10empty_typeEbEEZZNS1_14partition_implILS5_6ELb0ES3_mNS7_12zip_iteratorINS8_INS7_6detail15normal_iteratorINS7_10device_ptrIdEEEESJ_S9_S9_S9_S9_S9_S9_S9_S9_EEEEPSB_SM_NS0_5tupleIJNSE_INS8_ISJ_NS7_16discard_iteratorINS7_11use_defaultEEES9_S9_S9_S9_S9_S9_S9_S9_EEEESB_EEENSN_IJSM_SM_EEESB_PlJNSF_9not_fun_tINSF_14equal_to_valueISA_EEEEEEE10hipError_tPvRmT3_T4_T5_T6_T7_T9_mT8_P12ihipStream_tbDpT10_ENKUlT_T0_E_clISt17integral_constantIbLb1EES1I_IbLb0EEEEDaS1E_S1F_EUlS1E_E_NS1_11comp_targetILNS1_3genE10ELNS1_11target_archE1200ELNS1_3gpuE4ELNS1_3repE0EEENS1_30default_config_static_selectorELNS0_4arch9wavefront6targetE0EEEvT1_
	.p2align	8
	.type	_ZN7rocprim17ROCPRIM_400000_NS6detail17trampoline_kernelINS0_14default_configENS1_25partition_config_selectorILNS1_17partition_subalgoE6EN6thrust23THRUST_200600_302600_NS5tupleIddNS7_9null_typeES9_S9_S9_S9_S9_S9_S9_EENS0_10empty_typeEbEEZZNS1_14partition_implILS5_6ELb0ES3_mNS7_12zip_iteratorINS8_INS7_6detail15normal_iteratorINS7_10device_ptrIdEEEESJ_S9_S9_S9_S9_S9_S9_S9_S9_EEEEPSB_SM_NS0_5tupleIJNSE_INS8_ISJ_NS7_16discard_iteratorINS7_11use_defaultEEES9_S9_S9_S9_S9_S9_S9_S9_EEEESB_EEENSN_IJSM_SM_EEESB_PlJNSF_9not_fun_tINSF_14equal_to_valueISA_EEEEEEE10hipError_tPvRmT3_T4_T5_T6_T7_T9_mT8_P12ihipStream_tbDpT10_ENKUlT_T0_E_clISt17integral_constantIbLb1EES1I_IbLb0EEEEDaS1E_S1F_EUlS1E_E_NS1_11comp_targetILNS1_3genE10ELNS1_11target_archE1200ELNS1_3gpuE4ELNS1_3repE0EEENS1_30default_config_static_selectorELNS0_4arch9wavefront6targetE0EEEvT1_,@function
_ZN7rocprim17ROCPRIM_400000_NS6detail17trampoline_kernelINS0_14default_configENS1_25partition_config_selectorILNS1_17partition_subalgoE6EN6thrust23THRUST_200600_302600_NS5tupleIddNS7_9null_typeES9_S9_S9_S9_S9_S9_S9_EENS0_10empty_typeEbEEZZNS1_14partition_implILS5_6ELb0ES3_mNS7_12zip_iteratorINS8_INS7_6detail15normal_iteratorINS7_10device_ptrIdEEEESJ_S9_S9_S9_S9_S9_S9_S9_S9_EEEEPSB_SM_NS0_5tupleIJNSE_INS8_ISJ_NS7_16discard_iteratorINS7_11use_defaultEEES9_S9_S9_S9_S9_S9_S9_S9_EEEESB_EEENSN_IJSM_SM_EEESB_PlJNSF_9not_fun_tINSF_14equal_to_valueISA_EEEEEEE10hipError_tPvRmT3_T4_T5_T6_T7_T9_mT8_P12ihipStream_tbDpT10_ENKUlT_T0_E_clISt17integral_constantIbLb1EES1I_IbLb0EEEEDaS1E_S1F_EUlS1E_E_NS1_11comp_targetILNS1_3genE10ELNS1_11target_archE1200ELNS1_3gpuE4ELNS1_3repE0EEENS1_30default_config_static_selectorELNS0_4arch9wavefront6targetE0EEEvT1_: ; @_ZN7rocprim17ROCPRIM_400000_NS6detail17trampoline_kernelINS0_14default_configENS1_25partition_config_selectorILNS1_17partition_subalgoE6EN6thrust23THRUST_200600_302600_NS5tupleIddNS7_9null_typeES9_S9_S9_S9_S9_S9_S9_EENS0_10empty_typeEbEEZZNS1_14partition_implILS5_6ELb0ES3_mNS7_12zip_iteratorINS8_INS7_6detail15normal_iteratorINS7_10device_ptrIdEEEESJ_S9_S9_S9_S9_S9_S9_S9_S9_EEEEPSB_SM_NS0_5tupleIJNSE_INS8_ISJ_NS7_16discard_iteratorINS7_11use_defaultEEES9_S9_S9_S9_S9_S9_S9_S9_EEEESB_EEENSN_IJSM_SM_EEESB_PlJNSF_9not_fun_tINSF_14equal_to_valueISA_EEEEEEE10hipError_tPvRmT3_T4_T5_T6_T7_T9_mT8_P12ihipStream_tbDpT10_ENKUlT_T0_E_clISt17integral_constantIbLb1EES1I_IbLb0EEEEDaS1E_S1F_EUlS1E_E_NS1_11comp_targetILNS1_3genE10ELNS1_11target_archE1200ELNS1_3gpuE4ELNS1_3repE0EEENS1_30default_config_static_selectorELNS0_4arch9wavefront6targetE0EEEvT1_
; %bb.0:
	s_endpgm
	.section	.rodata,"a",@progbits
	.p2align	6, 0x0
	.amdhsa_kernel _ZN7rocprim17ROCPRIM_400000_NS6detail17trampoline_kernelINS0_14default_configENS1_25partition_config_selectorILNS1_17partition_subalgoE6EN6thrust23THRUST_200600_302600_NS5tupleIddNS7_9null_typeES9_S9_S9_S9_S9_S9_S9_EENS0_10empty_typeEbEEZZNS1_14partition_implILS5_6ELb0ES3_mNS7_12zip_iteratorINS8_INS7_6detail15normal_iteratorINS7_10device_ptrIdEEEESJ_S9_S9_S9_S9_S9_S9_S9_S9_EEEEPSB_SM_NS0_5tupleIJNSE_INS8_ISJ_NS7_16discard_iteratorINS7_11use_defaultEEES9_S9_S9_S9_S9_S9_S9_S9_EEEESB_EEENSN_IJSM_SM_EEESB_PlJNSF_9not_fun_tINSF_14equal_to_valueISA_EEEEEEE10hipError_tPvRmT3_T4_T5_T6_T7_T9_mT8_P12ihipStream_tbDpT10_ENKUlT_T0_E_clISt17integral_constantIbLb1EES1I_IbLb0EEEEDaS1E_S1F_EUlS1E_E_NS1_11comp_targetILNS1_3genE10ELNS1_11target_archE1200ELNS1_3gpuE4ELNS1_3repE0EEENS1_30default_config_static_selectorELNS0_4arch9wavefront6targetE0EEEvT1_
		.amdhsa_group_segment_fixed_size 0
		.amdhsa_private_segment_fixed_size 0
		.amdhsa_kernarg_size 152
		.amdhsa_user_sgpr_count 2
		.amdhsa_user_sgpr_dispatch_ptr 0
		.amdhsa_user_sgpr_queue_ptr 0
		.amdhsa_user_sgpr_kernarg_segment_ptr 1
		.amdhsa_user_sgpr_dispatch_id 0
		.amdhsa_user_sgpr_private_segment_size 0
		.amdhsa_wavefront_size32 1
		.amdhsa_uses_dynamic_stack 0
		.amdhsa_enable_private_segment 0
		.amdhsa_system_sgpr_workgroup_id_x 1
		.amdhsa_system_sgpr_workgroup_id_y 0
		.amdhsa_system_sgpr_workgroup_id_z 0
		.amdhsa_system_sgpr_workgroup_info 0
		.amdhsa_system_vgpr_workitem_id 0
		.amdhsa_next_free_vgpr 1
		.amdhsa_next_free_sgpr 1
		.amdhsa_reserve_vcc 0
		.amdhsa_float_round_mode_32 0
		.amdhsa_float_round_mode_16_64 0
		.amdhsa_float_denorm_mode_32 3
		.amdhsa_float_denorm_mode_16_64 3
		.amdhsa_fp16_overflow 0
		.amdhsa_workgroup_processor_mode 1
		.amdhsa_memory_ordered 1
		.amdhsa_forward_progress 1
		.amdhsa_inst_pref_size 1
		.amdhsa_round_robin_scheduling 0
		.amdhsa_exception_fp_ieee_invalid_op 0
		.amdhsa_exception_fp_denorm_src 0
		.amdhsa_exception_fp_ieee_div_zero 0
		.amdhsa_exception_fp_ieee_overflow 0
		.amdhsa_exception_fp_ieee_underflow 0
		.amdhsa_exception_fp_ieee_inexact 0
		.amdhsa_exception_int_div_zero 0
	.end_amdhsa_kernel
	.section	.text._ZN7rocprim17ROCPRIM_400000_NS6detail17trampoline_kernelINS0_14default_configENS1_25partition_config_selectorILNS1_17partition_subalgoE6EN6thrust23THRUST_200600_302600_NS5tupleIddNS7_9null_typeES9_S9_S9_S9_S9_S9_S9_EENS0_10empty_typeEbEEZZNS1_14partition_implILS5_6ELb0ES3_mNS7_12zip_iteratorINS8_INS7_6detail15normal_iteratorINS7_10device_ptrIdEEEESJ_S9_S9_S9_S9_S9_S9_S9_S9_EEEEPSB_SM_NS0_5tupleIJNSE_INS8_ISJ_NS7_16discard_iteratorINS7_11use_defaultEEES9_S9_S9_S9_S9_S9_S9_S9_EEEESB_EEENSN_IJSM_SM_EEESB_PlJNSF_9not_fun_tINSF_14equal_to_valueISA_EEEEEEE10hipError_tPvRmT3_T4_T5_T6_T7_T9_mT8_P12ihipStream_tbDpT10_ENKUlT_T0_E_clISt17integral_constantIbLb1EES1I_IbLb0EEEEDaS1E_S1F_EUlS1E_E_NS1_11comp_targetILNS1_3genE10ELNS1_11target_archE1200ELNS1_3gpuE4ELNS1_3repE0EEENS1_30default_config_static_selectorELNS0_4arch9wavefront6targetE0EEEvT1_,"axG",@progbits,_ZN7rocprim17ROCPRIM_400000_NS6detail17trampoline_kernelINS0_14default_configENS1_25partition_config_selectorILNS1_17partition_subalgoE6EN6thrust23THRUST_200600_302600_NS5tupleIddNS7_9null_typeES9_S9_S9_S9_S9_S9_S9_EENS0_10empty_typeEbEEZZNS1_14partition_implILS5_6ELb0ES3_mNS7_12zip_iteratorINS8_INS7_6detail15normal_iteratorINS7_10device_ptrIdEEEESJ_S9_S9_S9_S9_S9_S9_S9_S9_EEEEPSB_SM_NS0_5tupleIJNSE_INS8_ISJ_NS7_16discard_iteratorINS7_11use_defaultEEES9_S9_S9_S9_S9_S9_S9_S9_EEEESB_EEENSN_IJSM_SM_EEESB_PlJNSF_9not_fun_tINSF_14equal_to_valueISA_EEEEEEE10hipError_tPvRmT3_T4_T5_T6_T7_T9_mT8_P12ihipStream_tbDpT10_ENKUlT_T0_E_clISt17integral_constantIbLb1EES1I_IbLb0EEEEDaS1E_S1F_EUlS1E_E_NS1_11comp_targetILNS1_3genE10ELNS1_11target_archE1200ELNS1_3gpuE4ELNS1_3repE0EEENS1_30default_config_static_selectorELNS0_4arch9wavefront6targetE0EEEvT1_,comdat
.Lfunc_end1842:
	.size	_ZN7rocprim17ROCPRIM_400000_NS6detail17trampoline_kernelINS0_14default_configENS1_25partition_config_selectorILNS1_17partition_subalgoE6EN6thrust23THRUST_200600_302600_NS5tupleIddNS7_9null_typeES9_S9_S9_S9_S9_S9_S9_EENS0_10empty_typeEbEEZZNS1_14partition_implILS5_6ELb0ES3_mNS7_12zip_iteratorINS8_INS7_6detail15normal_iteratorINS7_10device_ptrIdEEEESJ_S9_S9_S9_S9_S9_S9_S9_S9_EEEEPSB_SM_NS0_5tupleIJNSE_INS8_ISJ_NS7_16discard_iteratorINS7_11use_defaultEEES9_S9_S9_S9_S9_S9_S9_S9_EEEESB_EEENSN_IJSM_SM_EEESB_PlJNSF_9not_fun_tINSF_14equal_to_valueISA_EEEEEEE10hipError_tPvRmT3_T4_T5_T6_T7_T9_mT8_P12ihipStream_tbDpT10_ENKUlT_T0_E_clISt17integral_constantIbLb1EES1I_IbLb0EEEEDaS1E_S1F_EUlS1E_E_NS1_11comp_targetILNS1_3genE10ELNS1_11target_archE1200ELNS1_3gpuE4ELNS1_3repE0EEENS1_30default_config_static_selectorELNS0_4arch9wavefront6targetE0EEEvT1_, .Lfunc_end1842-_ZN7rocprim17ROCPRIM_400000_NS6detail17trampoline_kernelINS0_14default_configENS1_25partition_config_selectorILNS1_17partition_subalgoE6EN6thrust23THRUST_200600_302600_NS5tupleIddNS7_9null_typeES9_S9_S9_S9_S9_S9_S9_EENS0_10empty_typeEbEEZZNS1_14partition_implILS5_6ELb0ES3_mNS7_12zip_iteratorINS8_INS7_6detail15normal_iteratorINS7_10device_ptrIdEEEESJ_S9_S9_S9_S9_S9_S9_S9_S9_EEEEPSB_SM_NS0_5tupleIJNSE_INS8_ISJ_NS7_16discard_iteratorINS7_11use_defaultEEES9_S9_S9_S9_S9_S9_S9_S9_EEEESB_EEENSN_IJSM_SM_EEESB_PlJNSF_9not_fun_tINSF_14equal_to_valueISA_EEEEEEE10hipError_tPvRmT3_T4_T5_T6_T7_T9_mT8_P12ihipStream_tbDpT10_ENKUlT_T0_E_clISt17integral_constantIbLb1EES1I_IbLb0EEEEDaS1E_S1F_EUlS1E_E_NS1_11comp_targetILNS1_3genE10ELNS1_11target_archE1200ELNS1_3gpuE4ELNS1_3repE0EEENS1_30default_config_static_selectorELNS0_4arch9wavefront6targetE0EEEvT1_
                                        ; -- End function
	.set _ZN7rocprim17ROCPRIM_400000_NS6detail17trampoline_kernelINS0_14default_configENS1_25partition_config_selectorILNS1_17partition_subalgoE6EN6thrust23THRUST_200600_302600_NS5tupleIddNS7_9null_typeES9_S9_S9_S9_S9_S9_S9_EENS0_10empty_typeEbEEZZNS1_14partition_implILS5_6ELb0ES3_mNS7_12zip_iteratorINS8_INS7_6detail15normal_iteratorINS7_10device_ptrIdEEEESJ_S9_S9_S9_S9_S9_S9_S9_S9_EEEEPSB_SM_NS0_5tupleIJNSE_INS8_ISJ_NS7_16discard_iteratorINS7_11use_defaultEEES9_S9_S9_S9_S9_S9_S9_S9_EEEESB_EEENSN_IJSM_SM_EEESB_PlJNSF_9not_fun_tINSF_14equal_to_valueISA_EEEEEEE10hipError_tPvRmT3_T4_T5_T6_T7_T9_mT8_P12ihipStream_tbDpT10_ENKUlT_T0_E_clISt17integral_constantIbLb1EES1I_IbLb0EEEEDaS1E_S1F_EUlS1E_E_NS1_11comp_targetILNS1_3genE10ELNS1_11target_archE1200ELNS1_3gpuE4ELNS1_3repE0EEENS1_30default_config_static_selectorELNS0_4arch9wavefront6targetE0EEEvT1_.num_vgpr, 0
	.set _ZN7rocprim17ROCPRIM_400000_NS6detail17trampoline_kernelINS0_14default_configENS1_25partition_config_selectorILNS1_17partition_subalgoE6EN6thrust23THRUST_200600_302600_NS5tupleIddNS7_9null_typeES9_S9_S9_S9_S9_S9_S9_EENS0_10empty_typeEbEEZZNS1_14partition_implILS5_6ELb0ES3_mNS7_12zip_iteratorINS8_INS7_6detail15normal_iteratorINS7_10device_ptrIdEEEESJ_S9_S9_S9_S9_S9_S9_S9_S9_EEEEPSB_SM_NS0_5tupleIJNSE_INS8_ISJ_NS7_16discard_iteratorINS7_11use_defaultEEES9_S9_S9_S9_S9_S9_S9_S9_EEEESB_EEENSN_IJSM_SM_EEESB_PlJNSF_9not_fun_tINSF_14equal_to_valueISA_EEEEEEE10hipError_tPvRmT3_T4_T5_T6_T7_T9_mT8_P12ihipStream_tbDpT10_ENKUlT_T0_E_clISt17integral_constantIbLb1EES1I_IbLb0EEEEDaS1E_S1F_EUlS1E_E_NS1_11comp_targetILNS1_3genE10ELNS1_11target_archE1200ELNS1_3gpuE4ELNS1_3repE0EEENS1_30default_config_static_selectorELNS0_4arch9wavefront6targetE0EEEvT1_.num_agpr, 0
	.set _ZN7rocprim17ROCPRIM_400000_NS6detail17trampoline_kernelINS0_14default_configENS1_25partition_config_selectorILNS1_17partition_subalgoE6EN6thrust23THRUST_200600_302600_NS5tupleIddNS7_9null_typeES9_S9_S9_S9_S9_S9_S9_EENS0_10empty_typeEbEEZZNS1_14partition_implILS5_6ELb0ES3_mNS7_12zip_iteratorINS8_INS7_6detail15normal_iteratorINS7_10device_ptrIdEEEESJ_S9_S9_S9_S9_S9_S9_S9_S9_EEEEPSB_SM_NS0_5tupleIJNSE_INS8_ISJ_NS7_16discard_iteratorINS7_11use_defaultEEES9_S9_S9_S9_S9_S9_S9_S9_EEEESB_EEENSN_IJSM_SM_EEESB_PlJNSF_9not_fun_tINSF_14equal_to_valueISA_EEEEEEE10hipError_tPvRmT3_T4_T5_T6_T7_T9_mT8_P12ihipStream_tbDpT10_ENKUlT_T0_E_clISt17integral_constantIbLb1EES1I_IbLb0EEEEDaS1E_S1F_EUlS1E_E_NS1_11comp_targetILNS1_3genE10ELNS1_11target_archE1200ELNS1_3gpuE4ELNS1_3repE0EEENS1_30default_config_static_selectorELNS0_4arch9wavefront6targetE0EEEvT1_.numbered_sgpr, 0
	.set _ZN7rocprim17ROCPRIM_400000_NS6detail17trampoline_kernelINS0_14default_configENS1_25partition_config_selectorILNS1_17partition_subalgoE6EN6thrust23THRUST_200600_302600_NS5tupleIddNS7_9null_typeES9_S9_S9_S9_S9_S9_S9_EENS0_10empty_typeEbEEZZNS1_14partition_implILS5_6ELb0ES3_mNS7_12zip_iteratorINS8_INS7_6detail15normal_iteratorINS7_10device_ptrIdEEEESJ_S9_S9_S9_S9_S9_S9_S9_S9_EEEEPSB_SM_NS0_5tupleIJNSE_INS8_ISJ_NS7_16discard_iteratorINS7_11use_defaultEEES9_S9_S9_S9_S9_S9_S9_S9_EEEESB_EEENSN_IJSM_SM_EEESB_PlJNSF_9not_fun_tINSF_14equal_to_valueISA_EEEEEEE10hipError_tPvRmT3_T4_T5_T6_T7_T9_mT8_P12ihipStream_tbDpT10_ENKUlT_T0_E_clISt17integral_constantIbLb1EES1I_IbLb0EEEEDaS1E_S1F_EUlS1E_E_NS1_11comp_targetILNS1_3genE10ELNS1_11target_archE1200ELNS1_3gpuE4ELNS1_3repE0EEENS1_30default_config_static_selectorELNS0_4arch9wavefront6targetE0EEEvT1_.num_named_barrier, 0
	.set _ZN7rocprim17ROCPRIM_400000_NS6detail17trampoline_kernelINS0_14default_configENS1_25partition_config_selectorILNS1_17partition_subalgoE6EN6thrust23THRUST_200600_302600_NS5tupleIddNS7_9null_typeES9_S9_S9_S9_S9_S9_S9_EENS0_10empty_typeEbEEZZNS1_14partition_implILS5_6ELb0ES3_mNS7_12zip_iteratorINS8_INS7_6detail15normal_iteratorINS7_10device_ptrIdEEEESJ_S9_S9_S9_S9_S9_S9_S9_S9_EEEEPSB_SM_NS0_5tupleIJNSE_INS8_ISJ_NS7_16discard_iteratorINS7_11use_defaultEEES9_S9_S9_S9_S9_S9_S9_S9_EEEESB_EEENSN_IJSM_SM_EEESB_PlJNSF_9not_fun_tINSF_14equal_to_valueISA_EEEEEEE10hipError_tPvRmT3_T4_T5_T6_T7_T9_mT8_P12ihipStream_tbDpT10_ENKUlT_T0_E_clISt17integral_constantIbLb1EES1I_IbLb0EEEEDaS1E_S1F_EUlS1E_E_NS1_11comp_targetILNS1_3genE10ELNS1_11target_archE1200ELNS1_3gpuE4ELNS1_3repE0EEENS1_30default_config_static_selectorELNS0_4arch9wavefront6targetE0EEEvT1_.private_seg_size, 0
	.set _ZN7rocprim17ROCPRIM_400000_NS6detail17trampoline_kernelINS0_14default_configENS1_25partition_config_selectorILNS1_17partition_subalgoE6EN6thrust23THRUST_200600_302600_NS5tupleIddNS7_9null_typeES9_S9_S9_S9_S9_S9_S9_EENS0_10empty_typeEbEEZZNS1_14partition_implILS5_6ELb0ES3_mNS7_12zip_iteratorINS8_INS7_6detail15normal_iteratorINS7_10device_ptrIdEEEESJ_S9_S9_S9_S9_S9_S9_S9_S9_EEEEPSB_SM_NS0_5tupleIJNSE_INS8_ISJ_NS7_16discard_iteratorINS7_11use_defaultEEES9_S9_S9_S9_S9_S9_S9_S9_EEEESB_EEENSN_IJSM_SM_EEESB_PlJNSF_9not_fun_tINSF_14equal_to_valueISA_EEEEEEE10hipError_tPvRmT3_T4_T5_T6_T7_T9_mT8_P12ihipStream_tbDpT10_ENKUlT_T0_E_clISt17integral_constantIbLb1EES1I_IbLb0EEEEDaS1E_S1F_EUlS1E_E_NS1_11comp_targetILNS1_3genE10ELNS1_11target_archE1200ELNS1_3gpuE4ELNS1_3repE0EEENS1_30default_config_static_selectorELNS0_4arch9wavefront6targetE0EEEvT1_.uses_vcc, 0
	.set _ZN7rocprim17ROCPRIM_400000_NS6detail17trampoline_kernelINS0_14default_configENS1_25partition_config_selectorILNS1_17partition_subalgoE6EN6thrust23THRUST_200600_302600_NS5tupleIddNS7_9null_typeES9_S9_S9_S9_S9_S9_S9_EENS0_10empty_typeEbEEZZNS1_14partition_implILS5_6ELb0ES3_mNS7_12zip_iteratorINS8_INS7_6detail15normal_iteratorINS7_10device_ptrIdEEEESJ_S9_S9_S9_S9_S9_S9_S9_S9_EEEEPSB_SM_NS0_5tupleIJNSE_INS8_ISJ_NS7_16discard_iteratorINS7_11use_defaultEEES9_S9_S9_S9_S9_S9_S9_S9_EEEESB_EEENSN_IJSM_SM_EEESB_PlJNSF_9not_fun_tINSF_14equal_to_valueISA_EEEEEEE10hipError_tPvRmT3_T4_T5_T6_T7_T9_mT8_P12ihipStream_tbDpT10_ENKUlT_T0_E_clISt17integral_constantIbLb1EES1I_IbLb0EEEEDaS1E_S1F_EUlS1E_E_NS1_11comp_targetILNS1_3genE10ELNS1_11target_archE1200ELNS1_3gpuE4ELNS1_3repE0EEENS1_30default_config_static_selectorELNS0_4arch9wavefront6targetE0EEEvT1_.uses_flat_scratch, 0
	.set _ZN7rocprim17ROCPRIM_400000_NS6detail17trampoline_kernelINS0_14default_configENS1_25partition_config_selectorILNS1_17partition_subalgoE6EN6thrust23THRUST_200600_302600_NS5tupleIddNS7_9null_typeES9_S9_S9_S9_S9_S9_S9_EENS0_10empty_typeEbEEZZNS1_14partition_implILS5_6ELb0ES3_mNS7_12zip_iteratorINS8_INS7_6detail15normal_iteratorINS7_10device_ptrIdEEEESJ_S9_S9_S9_S9_S9_S9_S9_S9_EEEEPSB_SM_NS0_5tupleIJNSE_INS8_ISJ_NS7_16discard_iteratorINS7_11use_defaultEEES9_S9_S9_S9_S9_S9_S9_S9_EEEESB_EEENSN_IJSM_SM_EEESB_PlJNSF_9not_fun_tINSF_14equal_to_valueISA_EEEEEEE10hipError_tPvRmT3_T4_T5_T6_T7_T9_mT8_P12ihipStream_tbDpT10_ENKUlT_T0_E_clISt17integral_constantIbLb1EES1I_IbLb0EEEEDaS1E_S1F_EUlS1E_E_NS1_11comp_targetILNS1_3genE10ELNS1_11target_archE1200ELNS1_3gpuE4ELNS1_3repE0EEENS1_30default_config_static_selectorELNS0_4arch9wavefront6targetE0EEEvT1_.has_dyn_sized_stack, 0
	.set _ZN7rocprim17ROCPRIM_400000_NS6detail17trampoline_kernelINS0_14default_configENS1_25partition_config_selectorILNS1_17partition_subalgoE6EN6thrust23THRUST_200600_302600_NS5tupleIddNS7_9null_typeES9_S9_S9_S9_S9_S9_S9_EENS0_10empty_typeEbEEZZNS1_14partition_implILS5_6ELb0ES3_mNS7_12zip_iteratorINS8_INS7_6detail15normal_iteratorINS7_10device_ptrIdEEEESJ_S9_S9_S9_S9_S9_S9_S9_S9_EEEEPSB_SM_NS0_5tupleIJNSE_INS8_ISJ_NS7_16discard_iteratorINS7_11use_defaultEEES9_S9_S9_S9_S9_S9_S9_S9_EEEESB_EEENSN_IJSM_SM_EEESB_PlJNSF_9not_fun_tINSF_14equal_to_valueISA_EEEEEEE10hipError_tPvRmT3_T4_T5_T6_T7_T9_mT8_P12ihipStream_tbDpT10_ENKUlT_T0_E_clISt17integral_constantIbLb1EES1I_IbLb0EEEEDaS1E_S1F_EUlS1E_E_NS1_11comp_targetILNS1_3genE10ELNS1_11target_archE1200ELNS1_3gpuE4ELNS1_3repE0EEENS1_30default_config_static_selectorELNS0_4arch9wavefront6targetE0EEEvT1_.has_recursion, 0
	.set _ZN7rocprim17ROCPRIM_400000_NS6detail17trampoline_kernelINS0_14default_configENS1_25partition_config_selectorILNS1_17partition_subalgoE6EN6thrust23THRUST_200600_302600_NS5tupleIddNS7_9null_typeES9_S9_S9_S9_S9_S9_S9_EENS0_10empty_typeEbEEZZNS1_14partition_implILS5_6ELb0ES3_mNS7_12zip_iteratorINS8_INS7_6detail15normal_iteratorINS7_10device_ptrIdEEEESJ_S9_S9_S9_S9_S9_S9_S9_S9_EEEEPSB_SM_NS0_5tupleIJNSE_INS8_ISJ_NS7_16discard_iteratorINS7_11use_defaultEEES9_S9_S9_S9_S9_S9_S9_S9_EEEESB_EEENSN_IJSM_SM_EEESB_PlJNSF_9not_fun_tINSF_14equal_to_valueISA_EEEEEEE10hipError_tPvRmT3_T4_T5_T6_T7_T9_mT8_P12ihipStream_tbDpT10_ENKUlT_T0_E_clISt17integral_constantIbLb1EES1I_IbLb0EEEEDaS1E_S1F_EUlS1E_E_NS1_11comp_targetILNS1_3genE10ELNS1_11target_archE1200ELNS1_3gpuE4ELNS1_3repE0EEENS1_30default_config_static_selectorELNS0_4arch9wavefront6targetE0EEEvT1_.has_indirect_call, 0
	.section	.AMDGPU.csdata,"",@progbits
; Kernel info:
; codeLenInByte = 4
; TotalNumSgprs: 0
; NumVgprs: 0
; ScratchSize: 0
; MemoryBound: 0
; FloatMode: 240
; IeeeMode: 1
; LDSByteSize: 0 bytes/workgroup (compile time only)
; SGPRBlocks: 0
; VGPRBlocks: 0
; NumSGPRsForWavesPerEU: 1
; NumVGPRsForWavesPerEU: 1
; Occupancy: 16
; WaveLimiterHint : 0
; COMPUTE_PGM_RSRC2:SCRATCH_EN: 0
; COMPUTE_PGM_RSRC2:USER_SGPR: 2
; COMPUTE_PGM_RSRC2:TRAP_HANDLER: 0
; COMPUTE_PGM_RSRC2:TGID_X_EN: 1
; COMPUTE_PGM_RSRC2:TGID_Y_EN: 0
; COMPUTE_PGM_RSRC2:TGID_Z_EN: 0
; COMPUTE_PGM_RSRC2:TIDIG_COMP_CNT: 0
	.section	.text._ZN7rocprim17ROCPRIM_400000_NS6detail17trampoline_kernelINS0_14default_configENS1_25partition_config_selectorILNS1_17partition_subalgoE6EN6thrust23THRUST_200600_302600_NS5tupleIddNS7_9null_typeES9_S9_S9_S9_S9_S9_S9_EENS0_10empty_typeEbEEZZNS1_14partition_implILS5_6ELb0ES3_mNS7_12zip_iteratorINS8_INS7_6detail15normal_iteratorINS7_10device_ptrIdEEEESJ_S9_S9_S9_S9_S9_S9_S9_S9_EEEEPSB_SM_NS0_5tupleIJNSE_INS8_ISJ_NS7_16discard_iteratorINS7_11use_defaultEEES9_S9_S9_S9_S9_S9_S9_S9_EEEESB_EEENSN_IJSM_SM_EEESB_PlJNSF_9not_fun_tINSF_14equal_to_valueISA_EEEEEEE10hipError_tPvRmT3_T4_T5_T6_T7_T9_mT8_P12ihipStream_tbDpT10_ENKUlT_T0_E_clISt17integral_constantIbLb1EES1I_IbLb0EEEEDaS1E_S1F_EUlS1E_E_NS1_11comp_targetILNS1_3genE9ELNS1_11target_archE1100ELNS1_3gpuE3ELNS1_3repE0EEENS1_30default_config_static_selectorELNS0_4arch9wavefront6targetE0EEEvT1_,"axG",@progbits,_ZN7rocprim17ROCPRIM_400000_NS6detail17trampoline_kernelINS0_14default_configENS1_25partition_config_selectorILNS1_17partition_subalgoE6EN6thrust23THRUST_200600_302600_NS5tupleIddNS7_9null_typeES9_S9_S9_S9_S9_S9_S9_EENS0_10empty_typeEbEEZZNS1_14partition_implILS5_6ELb0ES3_mNS7_12zip_iteratorINS8_INS7_6detail15normal_iteratorINS7_10device_ptrIdEEEESJ_S9_S9_S9_S9_S9_S9_S9_S9_EEEEPSB_SM_NS0_5tupleIJNSE_INS8_ISJ_NS7_16discard_iteratorINS7_11use_defaultEEES9_S9_S9_S9_S9_S9_S9_S9_EEEESB_EEENSN_IJSM_SM_EEESB_PlJNSF_9not_fun_tINSF_14equal_to_valueISA_EEEEEEE10hipError_tPvRmT3_T4_T5_T6_T7_T9_mT8_P12ihipStream_tbDpT10_ENKUlT_T0_E_clISt17integral_constantIbLb1EES1I_IbLb0EEEEDaS1E_S1F_EUlS1E_E_NS1_11comp_targetILNS1_3genE9ELNS1_11target_archE1100ELNS1_3gpuE3ELNS1_3repE0EEENS1_30default_config_static_selectorELNS0_4arch9wavefront6targetE0EEEvT1_,comdat
	.protected	_ZN7rocprim17ROCPRIM_400000_NS6detail17trampoline_kernelINS0_14default_configENS1_25partition_config_selectorILNS1_17partition_subalgoE6EN6thrust23THRUST_200600_302600_NS5tupleIddNS7_9null_typeES9_S9_S9_S9_S9_S9_S9_EENS0_10empty_typeEbEEZZNS1_14partition_implILS5_6ELb0ES3_mNS7_12zip_iteratorINS8_INS7_6detail15normal_iteratorINS7_10device_ptrIdEEEESJ_S9_S9_S9_S9_S9_S9_S9_S9_EEEEPSB_SM_NS0_5tupleIJNSE_INS8_ISJ_NS7_16discard_iteratorINS7_11use_defaultEEES9_S9_S9_S9_S9_S9_S9_S9_EEEESB_EEENSN_IJSM_SM_EEESB_PlJNSF_9not_fun_tINSF_14equal_to_valueISA_EEEEEEE10hipError_tPvRmT3_T4_T5_T6_T7_T9_mT8_P12ihipStream_tbDpT10_ENKUlT_T0_E_clISt17integral_constantIbLb1EES1I_IbLb0EEEEDaS1E_S1F_EUlS1E_E_NS1_11comp_targetILNS1_3genE9ELNS1_11target_archE1100ELNS1_3gpuE3ELNS1_3repE0EEENS1_30default_config_static_selectorELNS0_4arch9wavefront6targetE0EEEvT1_ ; -- Begin function _ZN7rocprim17ROCPRIM_400000_NS6detail17trampoline_kernelINS0_14default_configENS1_25partition_config_selectorILNS1_17partition_subalgoE6EN6thrust23THRUST_200600_302600_NS5tupleIddNS7_9null_typeES9_S9_S9_S9_S9_S9_S9_EENS0_10empty_typeEbEEZZNS1_14partition_implILS5_6ELb0ES3_mNS7_12zip_iteratorINS8_INS7_6detail15normal_iteratorINS7_10device_ptrIdEEEESJ_S9_S9_S9_S9_S9_S9_S9_S9_EEEEPSB_SM_NS0_5tupleIJNSE_INS8_ISJ_NS7_16discard_iteratorINS7_11use_defaultEEES9_S9_S9_S9_S9_S9_S9_S9_EEEESB_EEENSN_IJSM_SM_EEESB_PlJNSF_9not_fun_tINSF_14equal_to_valueISA_EEEEEEE10hipError_tPvRmT3_T4_T5_T6_T7_T9_mT8_P12ihipStream_tbDpT10_ENKUlT_T0_E_clISt17integral_constantIbLb1EES1I_IbLb0EEEEDaS1E_S1F_EUlS1E_E_NS1_11comp_targetILNS1_3genE9ELNS1_11target_archE1100ELNS1_3gpuE3ELNS1_3repE0EEENS1_30default_config_static_selectorELNS0_4arch9wavefront6targetE0EEEvT1_
	.globl	_ZN7rocprim17ROCPRIM_400000_NS6detail17trampoline_kernelINS0_14default_configENS1_25partition_config_selectorILNS1_17partition_subalgoE6EN6thrust23THRUST_200600_302600_NS5tupleIddNS7_9null_typeES9_S9_S9_S9_S9_S9_S9_EENS0_10empty_typeEbEEZZNS1_14partition_implILS5_6ELb0ES3_mNS7_12zip_iteratorINS8_INS7_6detail15normal_iteratorINS7_10device_ptrIdEEEESJ_S9_S9_S9_S9_S9_S9_S9_S9_EEEEPSB_SM_NS0_5tupleIJNSE_INS8_ISJ_NS7_16discard_iteratorINS7_11use_defaultEEES9_S9_S9_S9_S9_S9_S9_S9_EEEESB_EEENSN_IJSM_SM_EEESB_PlJNSF_9not_fun_tINSF_14equal_to_valueISA_EEEEEEE10hipError_tPvRmT3_T4_T5_T6_T7_T9_mT8_P12ihipStream_tbDpT10_ENKUlT_T0_E_clISt17integral_constantIbLb1EES1I_IbLb0EEEEDaS1E_S1F_EUlS1E_E_NS1_11comp_targetILNS1_3genE9ELNS1_11target_archE1100ELNS1_3gpuE3ELNS1_3repE0EEENS1_30default_config_static_selectorELNS0_4arch9wavefront6targetE0EEEvT1_
	.p2align	8
	.type	_ZN7rocprim17ROCPRIM_400000_NS6detail17trampoline_kernelINS0_14default_configENS1_25partition_config_selectorILNS1_17partition_subalgoE6EN6thrust23THRUST_200600_302600_NS5tupleIddNS7_9null_typeES9_S9_S9_S9_S9_S9_S9_EENS0_10empty_typeEbEEZZNS1_14partition_implILS5_6ELb0ES3_mNS7_12zip_iteratorINS8_INS7_6detail15normal_iteratorINS7_10device_ptrIdEEEESJ_S9_S9_S9_S9_S9_S9_S9_S9_EEEEPSB_SM_NS0_5tupleIJNSE_INS8_ISJ_NS7_16discard_iteratorINS7_11use_defaultEEES9_S9_S9_S9_S9_S9_S9_S9_EEEESB_EEENSN_IJSM_SM_EEESB_PlJNSF_9not_fun_tINSF_14equal_to_valueISA_EEEEEEE10hipError_tPvRmT3_T4_T5_T6_T7_T9_mT8_P12ihipStream_tbDpT10_ENKUlT_T0_E_clISt17integral_constantIbLb1EES1I_IbLb0EEEEDaS1E_S1F_EUlS1E_E_NS1_11comp_targetILNS1_3genE9ELNS1_11target_archE1100ELNS1_3gpuE3ELNS1_3repE0EEENS1_30default_config_static_selectorELNS0_4arch9wavefront6targetE0EEEvT1_,@function
_ZN7rocprim17ROCPRIM_400000_NS6detail17trampoline_kernelINS0_14default_configENS1_25partition_config_selectorILNS1_17partition_subalgoE6EN6thrust23THRUST_200600_302600_NS5tupleIddNS7_9null_typeES9_S9_S9_S9_S9_S9_S9_EENS0_10empty_typeEbEEZZNS1_14partition_implILS5_6ELb0ES3_mNS7_12zip_iteratorINS8_INS7_6detail15normal_iteratorINS7_10device_ptrIdEEEESJ_S9_S9_S9_S9_S9_S9_S9_S9_EEEEPSB_SM_NS0_5tupleIJNSE_INS8_ISJ_NS7_16discard_iteratorINS7_11use_defaultEEES9_S9_S9_S9_S9_S9_S9_S9_EEEESB_EEENSN_IJSM_SM_EEESB_PlJNSF_9not_fun_tINSF_14equal_to_valueISA_EEEEEEE10hipError_tPvRmT3_T4_T5_T6_T7_T9_mT8_P12ihipStream_tbDpT10_ENKUlT_T0_E_clISt17integral_constantIbLb1EES1I_IbLb0EEEEDaS1E_S1F_EUlS1E_E_NS1_11comp_targetILNS1_3genE9ELNS1_11target_archE1100ELNS1_3gpuE3ELNS1_3repE0EEENS1_30default_config_static_selectorELNS0_4arch9wavefront6targetE0EEEvT1_: ; @_ZN7rocprim17ROCPRIM_400000_NS6detail17trampoline_kernelINS0_14default_configENS1_25partition_config_selectorILNS1_17partition_subalgoE6EN6thrust23THRUST_200600_302600_NS5tupleIddNS7_9null_typeES9_S9_S9_S9_S9_S9_S9_EENS0_10empty_typeEbEEZZNS1_14partition_implILS5_6ELb0ES3_mNS7_12zip_iteratorINS8_INS7_6detail15normal_iteratorINS7_10device_ptrIdEEEESJ_S9_S9_S9_S9_S9_S9_S9_S9_EEEEPSB_SM_NS0_5tupleIJNSE_INS8_ISJ_NS7_16discard_iteratorINS7_11use_defaultEEES9_S9_S9_S9_S9_S9_S9_S9_EEEESB_EEENSN_IJSM_SM_EEESB_PlJNSF_9not_fun_tINSF_14equal_to_valueISA_EEEEEEE10hipError_tPvRmT3_T4_T5_T6_T7_T9_mT8_P12ihipStream_tbDpT10_ENKUlT_T0_E_clISt17integral_constantIbLb1EES1I_IbLb0EEEEDaS1E_S1F_EUlS1E_E_NS1_11comp_targetILNS1_3genE9ELNS1_11target_archE1100ELNS1_3gpuE3ELNS1_3repE0EEENS1_30default_config_static_selectorELNS0_4arch9wavefront6targetE0EEEvT1_
; %bb.0:
	.section	.rodata,"a",@progbits
	.p2align	6, 0x0
	.amdhsa_kernel _ZN7rocprim17ROCPRIM_400000_NS6detail17trampoline_kernelINS0_14default_configENS1_25partition_config_selectorILNS1_17partition_subalgoE6EN6thrust23THRUST_200600_302600_NS5tupleIddNS7_9null_typeES9_S9_S9_S9_S9_S9_S9_EENS0_10empty_typeEbEEZZNS1_14partition_implILS5_6ELb0ES3_mNS7_12zip_iteratorINS8_INS7_6detail15normal_iteratorINS7_10device_ptrIdEEEESJ_S9_S9_S9_S9_S9_S9_S9_S9_EEEEPSB_SM_NS0_5tupleIJNSE_INS8_ISJ_NS7_16discard_iteratorINS7_11use_defaultEEES9_S9_S9_S9_S9_S9_S9_S9_EEEESB_EEENSN_IJSM_SM_EEESB_PlJNSF_9not_fun_tINSF_14equal_to_valueISA_EEEEEEE10hipError_tPvRmT3_T4_T5_T6_T7_T9_mT8_P12ihipStream_tbDpT10_ENKUlT_T0_E_clISt17integral_constantIbLb1EES1I_IbLb0EEEEDaS1E_S1F_EUlS1E_E_NS1_11comp_targetILNS1_3genE9ELNS1_11target_archE1100ELNS1_3gpuE3ELNS1_3repE0EEENS1_30default_config_static_selectorELNS0_4arch9wavefront6targetE0EEEvT1_
		.amdhsa_group_segment_fixed_size 0
		.amdhsa_private_segment_fixed_size 0
		.amdhsa_kernarg_size 152
		.amdhsa_user_sgpr_count 2
		.amdhsa_user_sgpr_dispatch_ptr 0
		.amdhsa_user_sgpr_queue_ptr 0
		.amdhsa_user_sgpr_kernarg_segment_ptr 1
		.amdhsa_user_sgpr_dispatch_id 0
		.amdhsa_user_sgpr_private_segment_size 0
		.amdhsa_wavefront_size32 1
		.amdhsa_uses_dynamic_stack 0
		.amdhsa_enable_private_segment 0
		.amdhsa_system_sgpr_workgroup_id_x 1
		.amdhsa_system_sgpr_workgroup_id_y 0
		.amdhsa_system_sgpr_workgroup_id_z 0
		.amdhsa_system_sgpr_workgroup_info 0
		.amdhsa_system_vgpr_workitem_id 0
		.amdhsa_next_free_vgpr 1
		.amdhsa_next_free_sgpr 1
		.amdhsa_reserve_vcc 0
		.amdhsa_float_round_mode_32 0
		.amdhsa_float_round_mode_16_64 0
		.amdhsa_float_denorm_mode_32 3
		.amdhsa_float_denorm_mode_16_64 3
		.amdhsa_fp16_overflow 0
		.amdhsa_workgroup_processor_mode 1
		.amdhsa_memory_ordered 1
		.amdhsa_forward_progress 1
		.amdhsa_inst_pref_size 0
		.amdhsa_round_robin_scheduling 0
		.amdhsa_exception_fp_ieee_invalid_op 0
		.amdhsa_exception_fp_denorm_src 0
		.amdhsa_exception_fp_ieee_div_zero 0
		.amdhsa_exception_fp_ieee_overflow 0
		.amdhsa_exception_fp_ieee_underflow 0
		.amdhsa_exception_fp_ieee_inexact 0
		.amdhsa_exception_int_div_zero 0
	.end_amdhsa_kernel
	.section	.text._ZN7rocprim17ROCPRIM_400000_NS6detail17trampoline_kernelINS0_14default_configENS1_25partition_config_selectorILNS1_17partition_subalgoE6EN6thrust23THRUST_200600_302600_NS5tupleIddNS7_9null_typeES9_S9_S9_S9_S9_S9_S9_EENS0_10empty_typeEbEEZZNS1_14partition_implILS5_6ELb0ES3_mNS7_12zip_iteratorINS8_INS7_6detail15normal_iteratorINS7_10device_ptrIdEEEESJ_S9_S9_S9_S9_S9_S9_S9_S9_EEEEPSB_SM_NS0_5tupleIJNSE_INS8_ISJ_NS7_16discard_iteratorINS7_11use_defaultEEES9_S9_S9_S9_S9_S9_S9_S9_EEEESB_EEENSN_IJSM_SM_EEESB_PlJNSF_9not_fun_tINSF_14equal_to_valueISA_EEEEEEE10hipError_tPvRmT3_T4_T5_T6_T7_T9_mT8_P12ihipStream_tbDpT10_ENKUlT_T0_E_clISt17integral_constantIbLb1EES1I_IbLb0EEEEDaS1E_S1F_EUlS1E_E_NS1_11comp_targetILNS1_3genE9ELNS1_11target_archE1100ELNS1_3gpuE3ELNS1_3repE0EEENS1_30default_config_static_selectorELNS0_4arch9wavefront6targetE0EEEvT1_,"axG",@progbits,_ZN7rocprim17ROCPRIM_400000_NS6detail17trampoline_kernelINS0_14default_configENS1_25partition_config_selectorILNS1_17partition_subalgoE6EN6thrust23THRUST_200600_302600_NS5tupleIddNS7_9null_typeES9_S9_S9_S9_S9_S9_S9_EENS0_10empty_typeEbEEZZNS1_14partition_implILS5_6ELb0ES3_mNS7_12zip_iteratorINS8_INS7_6detail15normal_iteratorINS7_10device_ptrIdEEEESJ_S9_S9_S9_S9_S9_S9_S9_S9_EEEEPSB_SM_NS0_5tupleIJNSE_INS8_ISJ_NS7_16discard_iteratorINS7_11use_defaultEEES9_S9_S9_S9_S9_S9_S9_S9_EEEESB_EEENSN_IJSM_SM_EEESB_PlJNSF_9not_fun_tINSF_14equal_to_valueISA_EEEEEEE10hipError_tPvRmT3_T4_T5_T6_T7_T9_mT8_P12ihipStream_tbDpT10_ENKUlT_T0_E_clISt17integral_constantIbLb1EES1I_IbLb0EEEEDaS1E_S1F_EUlS1E_E_NS1_11comp_targetILNS1_3genE9ELNS1_11target_archE1100ELNS1_3gpuE3ELNS1_3repE0EEENS1_30default_config_static_selectorELNS0_4arch9wavefront6targetE0EEEvT1_,comdat
.Lfunc_end1843:
	.size	_ZN7rocprim17ROCPRIM_400000_NS6detail17trampoline_kernelINS0_14default_configENS1_25partition_config_selectorILNS1_17partition_subalgoE6EN6thrust23THRUST_200600_302600_NS5tupleIddNS7_9null_typeES9_S9_S9_S9_S9_S9_S9_EENS0_10empty_typeEbEEZZNS1_14partition_implILS5_6ELb0ES3_mNS7_12zip_iteratorINS8_INS7_6detail15normal_iteratorINS7_10device_ptrIdEEEESJ_S9_S9_S9_S9_S9_S9_S9_S9_EEEEPSB_SM_NS0_5tupleIJNSE_INS8_ISJ_NS7_16discard_iteratorINS7_11use_defaultEEES9_S9_S9_S9_S9_S9_S9_S9_EEEESB_EEENSN_IJSM_SM_EEESB_PlJNSF_9not_fun_tINSF_14equal_to_valueISA_EEEEEEE10hipError_tPvRmT3_T4_T5_T6_T7_T9_mT8_P12ihipStream_tbDpT10_ENKUlT_T0_E_clISt17integral_constantIbLb1EES1I_IbLb0EEEEDaS1E_S1F_EUlS1E_E_NS1_11comp_targetILNS1_3genE9ELNS1_11target_archE1100ELNS1_3gpuE3ELNS1_3repE0EEENS1_30default_config_static_selectorELNS0_4arch9wavefront6targetE0EEEvT1_, .Lfunc_end1843-_ZN7rocprim17ROCPRIM_400000_NS6detail17trampoline_kernelINS0_14default_configENS1_25partition_config_selectorILNS1_17partition_subalgoE6EN6thrust23THRUST_200600_302600_NS5tupleIddNS7_9null_typeES9_S9_S9_S9_S9_S9_S9_EENS0_10empty_typeEbEEZZNS1_14partition_implILS5_6ELb0ES3_mNS7_12zip_iteratorINS8_INS7_6detail15normal_iteratorINS7_10device_ptrIdEEEESJ_S9_S9_S9_S9_S9_S9_S9_S9_EEEEPSB_SM_NS0_5tupleIJNSE_INS8_ISJ_NS7_16discard_iteratorINS7_11use_defaultEEES9_S9_S9_S9_S9_S9_S9_S9_EEEESB_EEENSN_IJSM_SM_EEESB_PlJNSF_9not_fun_tINSF_14equal_to_valueISA_EEEEEEE10hipError_tPvRmT3_T4_T5_T6_T7_T9_mT8_P12ihipStream_tbDpT10_ENKUlT_T0_E_clISt17integral_constantIbLb1EES1I_IbLb0EEEEDaS1E_S1F_EUlS1E_E_NS1_11comp_targetILNS1_3genE9ELNS1_11target_archE1100ELNS1_3gpuE3ELNS1_3repE0EEENS1_30default_config_static_selectorELNS0_4arch9wavefront6targetE0EEEvT1_
                                        ; -- End function
	.set _ZN7rocprim17ROCPRIM_400000_NS6detail17trampoline_kernelINS0_14default_configENS1_25partition_config_selectorILNS1_17partition_subalgoE6EN6thrust23THRUST_200600_302600_NS5tupleIddNS7_9null_typeES9_S9_S9_S9_S9_S9_S9_EENS0_10empty_typeEbEEZZNS1_14partition_implILS5_6ELb0ES3_mNS7_12zip_iteratorINS8_INS7_6detail15normal_iteratorINS7_10device_ptrIdEEEESJ_S9_S9_S9_S9_S9_S9_S9_S9_EEEEPSB_SM_NS0_5tupleIJNSE_INS8_ISJ_NS7_16discard_iteratorINS7_11use_defaultEEES9_S9_S9_S9_S9_S9_S9_S9_EEEESB_EEENSN_IJSM_SM_EEESB_PlJNSF_9not_fun_tINSF_14equal_to_valueISA_EEEEEEE10hipError_tPvRmT3_T4_T5_T6_T7_T9_mT8_P12ihipStream_tbDpT10_ENKUlT_T0_E_clISt17integral_constantIbLb1EES1I_IbLb0EEEEDaS1E_S1F_EUlS1E_E_NS1_11comp_targetILNS1_3genE9ELNS1_11target_archE1100ELNS1_3gpuE3ELNS1_3repE0EEENS1_30default_config_static_selectorELNS0_4arch9wavefront6targetE0EEEvT1_.num_vgpr, 0
	.set _ZN7rocprim17ROCPRIM_400000_NS6detail17trampoline_kernelINS0_14default_configENS1_25partition_config_selectorILNS1_17partition_subalgoE6EN6thrust23THRUST_200600_302600_NS5tupleIddNS7_9null_typeES9_S9_S9_S9_S9_S9_S9_EENS0_10empty_typeEbEEZZNS1_14partition_implILS5_6ELb0ES3_mNS7_12zip_iteratorINS8_INS7_6detail15normal_iteratorINS7_10device_ptrIdEEEESJ_S9_S9_S9_S9_S9_S9_S9_S9_EEEEPSB_SM_NS0_5tupleIJNSE_INS8_ISJ_NS7_16discard_iteratorINS7_11use_defaultEEES9_S9_S9_S9_S9_S9_S9_S9_EEEESB_EEENSN_IJSM_SM_EEESB_PlJNSF_9not_fun_tINSF_14equal_to_valueISA_EEEEEEE10hipError_tPvRmT3_T4_T5_T6_T7_T9_mT8_P12ihipStream_tbDpT10_ENKUlT_T0_E_clISt17integral_constantIbLb1EES1I_IbLb0EEEEDaS1E_S1F_EUlS1E_E_NS1_11comp_targetILNS1_3genE9ELNS1_11target_archE1100ELNS1_3gpuE3ELNS1_3repE0EEENS1_30default_config_static_selectorELNS0_4arch9wavefront6targetE0EEEvT1_.num_agpr, 0
	.set _ZN7rocprim17ROCPRIM_400000_NS6detail17trampoline_kernelINS0_14default_configENS1_25partition_config_selectorILNS1_17partition_subalgoE6EN6thrust23THRUST_200600_302600_NS5tupleIddNS7_9null_typeES9_S9_S9_S9_S9_S9_S9_EENS0_10empty_typeEbEEZZNS1_14partition_implILS5_6ELb0ES3_mNS7_12zip_iteratorINS8_INS7_6detail15normal_iteratorINS7_10device_ptrIdEEEESJ_S9_S9_S9_S9_S9_S9_S9_S9_EEEEPSB_SM_NS0_5tupleIJNSE_INS8_ISJ_NS7_16discard_iteratorINS7_11use_defaultEEES9_S9_S9_S9_S9_S9_S9_S9_EEEESB_EEENSN_IJSM_SM_EEESB_PlJNSF_9not_fun_tINSF_14equal_to_valueISA_EEEEEEE10hipError_tPvRmT3_T4_T5_T6_T7_T9_mT8_P12ihipStream_tbDpT10_ENKUlT_T0_E_clISt17integral_constantIbLb1EES1I_IbLb0EEEEDaS1E_S1F_EUlS1E_E_NS1_11comp_targetILNS1_3genE9ELNS1_11target_archE1100ELNS1_3gpuE3ELNS1_3repE0EEENS1_30default_config_static_selectorELNS0_4arch9wavefront6targetE0EEEvT1_.numbered_sgpr, 0
	.set _ZN7rocprim17ROCPRIM_400000_NS6detail17trampoline_kernelINS0_14default_configENS1_25partition_config_selectorILNS1_17partition_subalgoE6EN6thrust23THRUST_200600_302600_NS5tupleIddNS7_9null_typeES9_S9_S9_S9_S9_S9_S9_EENS0_10empty_typeEbEEZZNS1_14partition_implILS5_6ELb0ES3_mNS7_12zip_iteratorINS8_INS7_6detail15normal_iteratorINS7_10device_ptrIdEEEESJ_S9_S9_S9_S9_S9_S9_S9_S9_EEEEPSB_SM_NS0_5tupleIJNSE_INS8_ISJ_NS7_16discard_iteratorINS7_11use_defaultEEES9_S9_S9_S9_S9_S9_S9_S9_EEEESB_EEENSN_IJSM_SM_EEESB_PlJNSF_9not_fun_tINSF_14equal_to_valueISA_EEEEEEE10hipError_tPvRmT3_T4_T5_T6_T7_T9_mT8_P12ihipStream_tbDpT10_ENKUlT_T0_E_clISt17integral_constantIbLb1EES1I_IbLb0EEEEDaS1E_S1F_EUlS1E_E_NS1_11comp_targetILNS1_3genE9ELNS1_11target_archE1100ELNS1_3gpuE3ELNS1_3repE0EEENS1_30default_config_static_selectorELNS0_4arch9wavefront6targetE0EEEvT1_.num_named_barrier, 0
	.set _ZN7rocprim17ROCPRIM_400000_NS6detail17trampoline_kernelINS0_14default_configENS1_25partition_config_selectorILNS1_17partition_subalgoE6EN6thrust23THRUST_200600_302600_NS5tupleIddNS7_9null_typeES9_S9_S9_S9_S9_S9_S9_EENS0_10empty_typeEbEEZZNS1_14partition_implILS5_6ELb0ES3_mNS7_12zip_iteratorINS8_INS7_6detail15normal_iteratorINS7_10device_ptrIdEEEESJ_S9_S9_S9_S9_S9_S9_S9_S9_EEEEPSB_SM_NS0_5tupleIJNSE_INS8_ISJ_NS7_16discard_iteratorINS7_11use_defaultEEES9_S9_S9_S9_S9_S9_S9_S9_EEEESB_EEENSN_IJSM_SM_EEESB_PlJNSF_9not_fun_tINSF_14equal_to_valueISA_EEEEEEE10hipError_tPvRmT3_T4_T5_T6_T7_T9_mT8_P12ihipStream_tbDpT10_ENKUlT_T0_E_clISt17integral_constantIbLb1EES1I_IbLb0EEEEDaS1E_S1F_EUlS1E_E_NS1_11comp_targetILNS1_3genE9ELNS1_11target_archE1100ELNS1_3gpuE3ELNS1_3repE0EEENS1_30default_config_static_selectorELNS0_4arch9wavefront6targetE0EEEvT1_.private_seg_size, 0
	.set _ZN7rocprim17ROCPRIM_400000_NS6detail17trampoline_kernelINS0_14default_configENS1_25partition_config_selectorILNS1_17partition_subalgoE6EN6thrust23THRUST_200600_302600_NS5tupleIddNS7_9null_typeES9_S9_S9_S9_S9_S9_S9_EENS0_10empty_typeEbEEZZNS1_14partition_implILS5_6ELb0ES3_mNS7_12zip_iteratorINS8_INS7_6detail15normal_iteratorINS7_10device_ptrIdEEEESJ_S9_S9_S9_S9_S9_S9_S9_S9_EEEEPSB_SM_NS0_5tupleIJNSE_INS8_ISJ_NS7_16discard_iteratorINS7_11use_defaultEEES9_S9_S9_S9_S9_S9_S9_S9_EEEESB_EEENSN_IJSM_SM_EEESB_PlJNSF_9not_fun_tINSF_14equal_to_valueISA_EEEEEEE10hipError_tPvRmT3_T4_T5_T6_T7_T9_mT8_P12ihipStream_tbDpT10_ENKUlT_T0_E_clISt17integral_constantIbLb1EES1I_IbLb0EEEEDaS1E_S1F_EUlS1E_E_NS1_11comp_targetILNS1_3genE9ELNS1_11target_archE1100ELNS1_3gpuE3ELNS1_3repE0EEENS1_30default_config_static_selectorELNS0_4arch9wavefront6targetE0EEEvT1_.uses_vcc, 0
	.set _ZN7rocprim17ROCPRIM_400000_NS6detail17trampoline_kernelINS0_14default_configENS1_25partition_config_selectorILNS1_17partition_subalgoE6EN6thrust23THRUST_200600_302600_NS5tupleIddNS7_9null_typeES9_S9_S9_S9_S9_S9_S9_EENS0_10empty_typeEbEEZZNS1_14partition_implILS5_6ELb0ES3_mNS7_12zip_iteratorINS8_INS7_6detail15normal_iteratorINS7_10device_ptrIdEEEESJ_S9_S9_S9_S9_S9_S9_S9_S9_EEEEPSB_SM_NS0_5tupleIJNSE_INS8_ISJ_NS7_16discard_iteratorINS7_11use_defaultEEES9_S9_S9_S9_S9_S9_S9_S9_EEEESB_EEENSN_IJSM_SM_EEESB_PlJNSF_9not_fun_tINSF_14equal_to_valueISA_EEEEEEE10hipError_tPvRmT3_T4_T5_T6_T7_T9_mT8_P12ihipStream_tbDpT10_ENKUlT_T0_E_clISt17integral_constantIbLb1EES1I_IbLb0EEEEDaS1E_S1F_EUlS1E_E_NS1_11comp_targetILNS1_3genE9ELNS1_11target_archE1100ELNS1_3gpuE3ELNS1_3repE0EEENS1_30default_config_static_selectorELNS0_4arch9wavefront6targetE0EEEvT1_.uses_flat_scratch, 0
	.set _ZN7rocprim17ROCPRIM_400000_NS6detail17trampoline_kernelINS0_14default_configENS1_25partition_config_selectorILNS1_17partition_subalgoE6EN6thrust23THRUST_200600_302600_NS5tupleIddNS7_9null_typeES9_S9_S9_S9_S9_S9_S9_EENS0_10empty_typeEbEEZZNS1_14partition_implILS5_6ELb0ES3_mNS7_12zip_iteratorINS8_INS7_6detail15normal_iteratorINS7_10device_ptrIdEEEESJ_S9_S9_S9_S9_S9_S9_S9_S9_EEEEPSB_SM_NS0_5tupleIJNSE_INS8_ISJ_NS7_16discard_iteratorINS7_11use_defaultEEES9_S9_S9_S9_S9_S9_S9_S9_EEEESB_EEENSN_IJSM_SM_EEESB_PlJNSF_9not_fun_tINSF_14equal_to_valueISA_EEEEEEE10hipError_tPvRmT3_T4_T5_T6_T7_T9_mT8_P12ihipStream_tbDpT10_ENKUlT_T0_E_clISt17integral_constantIbLb1EES1I_IbLb0EEEEDaS1E_S1F_EUlS1E_E_NS1_11comp_targetILNS1_3genE9ELNS1_11target_archE1100ELNS1_3gpuE3ELNS1_3repE0EEENS1_30default_config_static_selectorELNS0_4arch9wavefront6targetE0EEEvT1_.has_dyn_sized_stack, 0
	.set _ZN7rocprim17ROCPRIM_400000_NS6detail17trampoline_kernelINS0_14default_configENS1_25partition_config_selectorILNS1_17partition_subalgoE6EN6thrust23THRUST_200600_302600_NS5tupleIddNS7_9null_typeES9_S9_S9_S9_S9_S9_S9_EENS0_10empty_typeEbEEZZNS1_14partition_implILS5_6ELb0ES3_mNS7_12zip_iteratorINS8_INS7_6detail15normal_iteratorINS7_10device_ptrIdEEEESJ_S9_S9_S9_S9_S9_S9_S9_S9_EEEEPSB_SM_NS0_5tupleIJNSE_INS8_ISJ_NS7_16discard_iteratorINS7_11use_defaultEEES9_S9_S9_S9_S9_S9_S9_S9_EEEESB_EEENSN_IJSM_SM_EEESB_PlJNSF_9not_fun_tINSF_14equal_to_valueISA_EEEEEEE10hipError_tPvRmT3_T4_T5_T6_T7_T9_mT8_P12ihipStream_tbDpT10_ENKUlT_T0_E_clISt17integral_constantIbLb1EES1I_IbLb0EEEEDaS1E_S1F_EUlS1E_E_NS1_11comp_targetILNS1_3genE9ELNS1_11target_archE1100ELNS1_3gpuE3ELNS1_3repE0EEENS1_30default_config_static_selectorELNS0_4arch9wavefront6targetE0EEEvT1_.has_recursion, 0
	.set _ZN7rocprim17ROCPRIM_400000_NS6detail17trampoline_kernelINS0_14default_configENS1_25partition_config_selectorILNS1_17partition_subalgoE6EN6thrust23THRUST_200600_302600_NS5tupleIddNS7_9null_typeES9_S9_S9_S9_S9_S9_S9_EENS0_10empty_typeEbEEZZNS1_14partition_implILS5_6ELb0ES3_mNS7_12zip_iteratorINS8_INS7_6detail15normal_iteratorINS7_10device_ptrIdEEEESJ_S9_S9_S9_S9_S9_S9_S9_S9_EEEEPSB_SM_NS0_5tupleIJNSE_INS8_ISJ_NS7_16discard_iteratorINS7_11use_defaultEEES9_S9_S9_S9_S9_S9_S9_S9_EEEESB_EEENSN_IJSM_SM_EEESB_PlJNSF_9not_fun_tINSF_14equal_to_valueISA_EEEEEEE10hipError_tPvRmT3_T4_T5_T6_T7_T9_mT8_P12ihipStream_tbDpT10_ENKUlT_T0_E_clISt17integral_constantIbLb1EES1I_IbLb0EEEEDaS1E_S1F_EUlS1E_E_NS1_11comp_targetILNS1_3genE9ELNS1_11target_archE1100ELNS1_3gpuE3ELNS1_3repE0EEENS1_30default_config_static_selectorELNS0_4arch9wavefront6targetE0EEEvT1_.has_indirect_call, 0
	.section	.AMDGPU.csdata,"",@progbits
; Kernel info:
; codeLenInByte = 0
; TotalNumSgprs: 0
; NumVgprs: 0
; ScratchSize: 0
; MemoryBound: 0
; FloatMode: 240
; IeeeMode: 1
; LDSByteSize: 0 bytes/workgroup (compile time only)
; SGPRBlocks: 0
; VGPRBlocks: 0
; NumSGPRsForWavesPerEU: 1
; NumVGPRsForWavesPerEU: 1
; Occupancy: 16
; WaveLimiterHint : 0
; COMPUTE_PGM_RSRC2:SCRATCH_EN: 0
; COMPUTE_PGM_RSRC2:USER_SGPR: 2
; COMPUTE_PGM_RSRC2:TRAP_HANDLER: 0
; COMPUTE_PGM_RSRC2:TGID_X_EN: 1
; COMPUTE_PGM_RSRC2:TGID_Y_EN: 0
; COMPUTE_PGM_RSRC2:TGID_Z_EN: 0
; COMPUTE_PGM_RSRC2:TIDIG_COMP_CNT: 0
	.section	.text._ZN7rocprim17ROCPRIM_400000_NS6detail17trampoline_kernelINS0_14default_configENS1_25partition_config_selectorILNS1_17partition_subalgoE6EN6thrust23THRUST_200600_302600_NS5tupleIddNS7_9null_typeES9_S9_S9_S9_S9_S9_S9_EENS0_10empty_typeEbEEZZNS1_14partition_implILS5_6ELb0ES3_mNS7_12zip_iteratorINS8_INS7_6detail15normal_iteratorINS7_10device_ptrIdEEEESJ_S9_S9_S9_S9_S9_S9_S9_S9_EEEEPSB_SM_NS0_5tupleIJNSE_INS8_ISJ_NS7_16discard_iteratorINS7_11use_defaultEEES9_S9_S9_S9_S9_S9_S9_S9_EEEESB_EEENSN_IJSM_SM_EEESB_PlJNSF_9not_fun_tINSF_14equal_to_valueISA_EEEEEEE10hipError_tPvRmT3_T4_T5_T6_T7_T9_mT8_P12ihipStream_tbDpT10_ENKUlT_T0_E_clISt17integral_constantIbLb1EES1I_IbLb0EEEEDaS1E_S1F_EUlS1E_E_NS1_11comp_targetILNS1_3genE8ELNS1_11target_archE1030ELNS1_3gpuE2ELNS1_3repE0EEENS1_30default_config_static_selectorELNS0_4arch9wavefront6targetE0EEEvT1_,"axG",@progbits,_ZN7rocprim17ROCPRIM_400000_NS6detail17trampoline_kernelINS0_14default_configENS1_25partition_config_selectorILNS1_17partition_subalgoE6EN6thrust23THRUST_200600_302600_NS5tupleIddNS7_9null_typeES9_S9_S9_S9_S9_S9_S9_EENS0_10empty_typeEbEEZZNS1_14partition_implILS5_6ELb0ES3_mNS7_12zip_iteratorINS8_INS7_6detail15normal_iteratorINS7_10device_ptrIdEEEESJ_S9_S9_S9_S9_S9_S9_S9_S9_EEEEPSB_SM_NS0_5tupleIJNSE_INS8_ISJ_NS7_16discard_iteratorINS7_11use_defaultEEES9_S9_S9_S9_S9_S9_S9_S9_EEEESB_EEENSN_IJSM_SM_EEESB_PlJNSF_9not_fun_tINSF_14equal_to_valueISA_EEEEEEE10hipError_tPvRmT3_T4_T5_T6_T7_T9_mT8_P12ihipStream_tbDpT10_ENKUlT_T0_E_clISt17integral_constantIbLb1EES1I_IbLb0EEEEDaS1E_S1F_EUlS1E_E_NS1_11comp_targetILNS1_3genE8ELNS1_11target_archE1030ELNS1_3gpuE2ELNS1_3repE0EEENS1_30default_config_static_selectorELNS0_4arch9wavefront6targetE0EEEvT1_,comdat
	.protected	_ZN7rocprim17ROCPRIM_400000_NS6detail17trampoline_kernelINS0_14default_configENS1_25partition_config_selectorILNS1_17partition_subalgoE6EN6thrust23THRUST_200600_302600_NS5tupleIddNS7_9null_typeES9_S9_S9_S9_S9_S9_S9_EENS0_10empty_typeEbEEZZNS1_14partition_implILS5_6ELb0ES3_mNS7_12zip_iteratorINS8_INS7_6detail15normal_iteratorINS7_10device_ptrIdEEEESJ_S9_S9_S9_S9_S9_S9_S9_S9_EEEEPSB_SM_NS0_5tupleIJNSE_INS8_ISJ_NS7_16discard_iteratorINS7_11use_defaultEEES9_S9_S9_S9_S9_S9_S9_S9_EEEESB_EEENSN_IJSM_SM_EEESB_PlJNSF_9not_fun_tINSF_14equal_to_valueISA_EEEEEEE10hipError_tPvRmT3_T4_T5_T6_T7_T9_mT8_P12ihipStream_tbDpT10_ENKUlT_T0_E_clISt17integral_constantIbLb1EES1I_IbLb0EEEEDaS1E_S1F_EUlS1E_E_NS1_11comp_targetILNS1_3genE8ELNS1_11target_archE1030ELNS1_3gpuE2ELNS1_3repE0EEENS1_30default_config_static_selectorELNS0_4arch9wavefront6targetE0EEEvT1_ ; -- Begin function _ZN7rocprim17ROCPRIM_400000_NS6detail17trampoline_kernelINS0_14default_configENS1_25partition_config_selectorILNS1_17partition_subalgoE6EN6thrust23THRUST_200600_302600_NS5tupleIddNS7_9null_typeES9_S9_S9_S9_S9_S9_S9_EENS0_10empty_typeEbEEZZNS1_14partition_implILS5_6ELb0ES3_mNS7_12zip_iteratorINS8_INS7_6detail15normal_iteratorINS7_10device_ptrIdEEEESJ_S9_S9_S9_S9_S9_S9_S9_S9_EEEEPSB_SM_NS0_5tupleIJNSE_INS8_ISJ_NS7_16discard_iteratorINS7_11use_defaultEEES9_S9_S9_S9_S9_S9_S9_S9_EEEESB_EEENSN_IJSM_SM_EEESB_PlJNSF_9not_fun_tINSF_14equal_to_valueISA_EEEEEEE10hipError_tPvRmT3_T4_T5_T6_T7_T9_mT8_P12ihipStream_tbDpT10_ENKUlT_T0_E_clISt17integral_constantIbLb1EES1I_IbLb0EEEEDaS1E_S1F_EUlS1E_E_NS1_11comp_targetILNS1_3genE8ELNS1_11target_archE1030ELNS1_3gpuE2ELNS1_3repE0EEENS1_30default_config_static_selectorELNS0_4arch9wavefront6targetE0EEEvT1_
	.globl	_ZN7rocprim17ROCPRIM_400000_NS6detail17trampoline_kernelINS0_14default_configENS1_25partition_config_selectorILNS1_17partition_subalgoE6EN6thrust23THRUST_200600_302600_NS5tupleIddNS7_9null_typeES9_S9_S9_S9_S9_S9_S9_EENS0_10empty_typeEbEEZZNS1_14partition_implILS5_6ELb0ES3_mNS7_12zip_iteratorINS8_INS7_6detail15normal_iteratorINS7_10device_ptrIdEEEESJ_S9_S9_S9_S9_S9_S9_S9_S9_EEEEPSB_SM_NS0_5tupleIJNSE_INS8_ISJ_NS7_16discard_iteratorINS7_11use_defaultEEES9_S9_S9_S9_S9_S9_S9_S9_EEEESB_EEENSN_IJSM_SM_EEESB_PlJNSF_9not_fun_tINSF_14equal_to_valueISA_EEEEEEE10hipError_tPvRmT3_T4_T5_T6_T7_T9_mT8_P12ihipStream_tbDpT10_ENKUlT_T0_E_clISt17integral_constantIbLb1EES1I_IbLb0EEEEDaS1E_S1F_EUlS1E_E_NS1_11comp_targetILNS1_3genE8ELNS1_11target_archE1030ELNS1_3gpuE2ELNS1_3repE0EEENS1_30default_config_static_selectorELNS0_4arch9wavefront6targetE0EEEvT1_
	.p2align	8
	.type	_ZN7rocprim17ROCPRIM_400000_NS6detail17trampoline_kernelINS0_14default_configENS1_25partition_config_selectorILNS1_17partition_subalgoE6EN6thrust23THRUST_200600_302600_NS5tupleIddNS7_9null_typeES9_S9_S9_S9_S9_S9_S9_EENS0_10empty_typeEbEEZZNS1_14partition_implILS5_6ELb0ES3_mNS7_12zip_iteratorINS8_INS7_6detail15normal_iteratorINS7_10device_ptrIdEEEESJ_S9_S9_S9_S9_S9_S9_S9_S9_EEEEPSB_SM_NS0_5tupleIJNSE_INS8_ISJ_NS7_16discard_iteratorINS7_11use_defaultEEES9_S9_S9_S9_S9_S9_S9_S9_EEEESB_EEENSN_IJSM_SM_EEESB_PlJNSF_9not_fun_tINSF_14equal_to_valueISA_EEEEEEE10hipError_tPvRmT3_T4_T5_T6_T7_T9_mT8_P12ihipStream_tbDpT10_ENKUlT_T0_E_clISt17integral_constantIbLb1EES1I_IbLb0EEEEDaS1E_S1F_EUlS1E_E_NS1_11comp_targetILNS1_3genE8ELNS1_11target_archE1030ELNS1_3gpuE2ELNS1_3repE0EEENS1_30default_config_static_selectorELNS0_4arch9wavefront6targetE0EEEvT1_,@function
_ZN7rocprim17ROCPRIM_400000_NS6detail17trampoline_kernelINS0_14default_configENS1_25partition_config_selectorILNS1_17partition_subalgoE6EN6thrust23THRUST_200600_302600_NS5tupleIddNS7_9null_typeES9_S9_S9_S9_S9_S9_S9_EENS0_10empty_typeEbEEZZNS1_14partition_implILS5_6ELb0ES3_mNS7_12zip_iteratorINS8_INS7_6detail15normal_iteratorINS7_10device_ptrIdEEEESJ_S9_S9_S9_S9_S9_S9_S9_S9_EEEEPSB_SM_NS0_5tupleIJNSE_INS8_ISJ_NS7_16discard_iteratorINS7_11use_defaultEEES9_S9_S9_S9_S9_S9_S9_S9_EEEESB_EEENSN_IJSM_SM_EEESB_PlJNSF_9not_fun_tINSF_14equal_to_valueISA_EEEEEEE10hipError_tPvRmT3_T4_T5_T6_T7_T9_mT8_P12ihipStream_tbDpT10_ENKUlT_T0_E_clISt17integral_constantIbLb1EES1I_IbLb0EEEEDaS1E_S1F_EUlS1E_E_NS1_11comp_targetILNS1_3genE8ELNS1_11target_archE1030ELNS1_3gpuE2ELNS1_3repE0EEENS1_30default_config_static_selectorELNS0_4arch9wavefront6targetE0EEEvT1_: ; @_ZN7rocprim17ROCPRIM_400000_NS6detail17trampoline_kernelINS0_14default_configENS1_25partition_config_selectorILNS1_17partition_subalgoE6EN6thrust23THRUST_200600_302600_NS5tupleIddNS7_9null_typeES9_S9_S9_S9_S9_S9_S9_EENS0_10empty_typeEbEEZZNS1_14partition_implILS5_6ELb0ES3_mNS7_12zip_iteratorINS8_INS7_6detail15normal_iteratorINS7_10device_ptrIdEEEESJ_S9_S9_S9_S9_S9_S9_S9_S9_EEEEPSB_SM_NS0_5tupleIJNSE_INS8_ISJ_NS7_16discard_iteratorINS7_11use_defaultEEES9_S9_S9_S9_S9_S9_S9_S9_EEEESB_EEENSN_IJSM_SM_EEESB_PlJNSF_9not_fun_tINSF_14equal_to_valueISA_EEEEEEE10hipError_tPvRmT3_T4_T5_T6_T7_T9_mT8_P12ihipStream_tbDpT10_ENKUlT_T0_E_clISt17integral_constantIbLb1EES1I_IbLb0EEEEDaS1E_S1F_EUlS1E_E_NS1_11comp_targetILNS1_3genE8ELNS1_11target_archE1030ELNS1_3gpuE2ELNS1_3repE0EEENS1_30default_config_static_selectorELNS0_4arch9wavefront6targetE0EEEvT1_
; %bb.0:
	.section	.rodata,"a",@progbits
	.p2align	6, 0x0
	.amdhsa_kernel _ZN7rocprim17ROCPRIM_400000_NS6detail17trampoline_kernelINS0_14default_configENS1_25partition_config_selectorILNS1_17partition_subalgoE6EN6thrust23THRUST_200600_302600_NS5tupleIddNS7_9null_typeES9_S9_S9_S9_S9_S9_S9_EENS0_10empty_typeEbEEZZNS1_14partition_implILS5_6ELb0ES3_mNS7_12zip_iteratorINS8_INS7_6detail15normal_iteratorINS7_10device_ptrIdEEEESJ_S9_S9_S9_S9_S9_S9_S9_S9_EEEEPSB_SM_NS0_5tupleIJNSE_INS8_ISJ_NS7_16discard_iteratorINS7_11use_defaultEEES9_S9_S9_S9_S9_S9_S9_S9_EEEESB_EEENSN_IJSM_SM_EEESB_PlJNSF_9not_fun_tINSF_14equal_to_valueISA_EEEEEEE10hipError_tPvRmT3_T4_T5_T6_T7_T9_mT8_P12ihipStream_tbDpT10_ENKUlT_T0_E_clISt17integral_constantIbLb1EES1I_IbLb0EEEEDaS1E_S1F_EUlS1E_E_NS1_11comp_targetILNS1_3genE8ELNS1_11target_archE1030ELNS1_3gpuE2ELNS1_3repE0EEENS1_30default_config_static_selectorELNS0_4arch9wavefront6targetE0EEEvT1_
		.amdhsa_group_segment_fixed_size 0
		.amdhsa_private_segment_fixed_size 0
		.amdhsa_kernarg_size 152
		.amdhsa_user_sgpr_count 2
		.amdhsa_user_sgpr_dispatch_ptr 0
		.amdhsa_user_sgpr_queue_ptr 0
		.amdhsa_user_sgpr_kernarg_segment_ptr 1
		.amdhsa_user_sgpr_dispatch_id 0
		.amdhsa_user_sgpr_private_segment_size 0
		.amdhsa_wavefront_size32 1
		.amdhsa_uses_dynamic_stack 0
		.amdhsa_enable_private_segment 0
		.amdhsa_system_sgpr_workgroup_id_x 1
		.amdhsa_system_sgpr_workgroup_id_y 0
		.amdhsa_system_sgpr_workgroup_id_z 0
		.amdhsa_system_sgpr_workgroup_info 0
		.amdhsa_system_vgpr_workitem_id 0
		.amdhsa_next_free_vgpr 1
		.amdhsa_next_free_sgpr 1
		.amdhsa_reserve_vcc 0
		.amdhsa_float_round_mode_32 0
		.amdhsa_float_round_mode_16_64 0
		.amdhsa_float_denorm_mode_32 3
		.amdhsa_float_denorm_mode_16_64 3
		.amdhsa_fp16_overflow 0
		.amdhsa_workgroup_processor_mode 1
		.amdhsa_memory_ordered 1
		.amdhsa_forward_progress 1
		.amdhsa_inst_pref_size 0
		.amdhsa_round_robin_scheduling 0
		.amdhsa_exception_fp_ieee_invalid_op 0
		.amdhsa_exception_fp_denorm_src 0
		.amdhsa_exception_fp_ieee_div_zero 0
		.amdhsa_exception_fp_ieee_overflow 0
		.amdhsa_exception_fp_ieee_underflow 0
		.amdhsa_exception_fp_ieee_inexact 0
		.amdhsa_exception_int_div_zero 0
	.end_amdhsa_kernel
	.section	.text._ZN7rocprim17ROCPRIM_400000_NS6detail17trampoline_kernelINS0_14default_configENS1_25partition_config_selectorILNS1_17partition_subalgoE6EN6thrust23THRUST_200600_302600_NS5tupleIddNS7_9null_typeES9_S9_S9_S9_S9_S9_S9_EENS0_10empty_typeEbEEZZNS1_14partition_implILS5_6ELb0ES3_mNS7_12zip_iteratorINS8_INS7_6detail15normal_iteratorINS7_10device_ptrIdEEEESJ_S9_S9_S9_S9_S9_S9_S9_S9_EEEEPSB_SM_NS0_5tupleIJNSE_INS8_ISJ_NS7_16discard_iteratorINS7_11use_defaultEEES9_S9_S9_S9_S9_S9_S9_S9_EEEESB_EEENSN_IJSM_SM_EEESB_PlJNSF_9not_fun_tINSF_14equal_to_valueISA_EEEEEEE10hipError_tPvRmT3_T4_T5_T6_T7_T9_mT8_P12ihipStream_tbDpT10_ENKUlT_T0_E_clISt17integral_constantIbLb1EES1I_IbLb0EEEEDaS1E_S1F_EUlS1E_E_NS1_11comp_targetILNS1_3genE8ELNS1_11target_archE1030ELNS1_3gpuE2ELNS1_3repE0EEENS1_30default_config_static_selectorELNS0_4arch9wavefront6targetE0EEEvT1_,"axG",@progbits,_ZN7rocprim17ROCPRIM_400000_NS6detail17trampoline_kernelINS0_14default_configENS1_25partition_config_selectorILNS1_17partition_subalgoE6EN6thrust23THRUST_200600_302600_NS5tupleIddNS7_9null_typeES9_S9_S9_S9_S9_S9_S9_EENS0_10empty_typeEbEEZZNS1_14partition_implILS5_6ELb0ES3_mNS7_12zip_iteratorINS8_INS7_6detail15normal_iteratorINS7_10device_ptrIdEEEESJ_S9_S9_S9_S9_S9_S9_S9_S9_EEEEPSB_SM_NS0_5tupleIJNSE_INS8_ISJ_NS7_16discard_iteratorINS7_11use_defaultEEES9_S9_S9_S9_S9_S9_S9_S9_EEEESB_EEENSN_IJSM_SM_EEESB_PlJNSF_9not_fun_tINSF_14equal_to_valueISA_EEEEEEE10hipError_tPvRmT3_T4_T5_T6_T7_T9_mT8_P12ihipStream_tbDpT10_ENKUlT_T0_E_clISt17integral_constantIbLb1EES1I_IbLb0EEEEDaS1E_S1F_EUlS1E_E_NS1_11comp_targetILNS1_3genE8ELNS1_11target_archE1030ELNS1_3gpuE2ELNS1_3repE0EEENS1_30default_config_static_selectorELNS0_4arch9wavefront6targetE0EEEvT1_,comdat
.Lfunc_end1844:
	.size	_ZN7rocprim17ROCPRIM_400000_NS6detail17trampoline_kernelINS0_14default_configENS1_25partition_config_selectorILNS1_17partition_subalgoE6EN6thrust23THRUST_200600_302600_NS5tupleIddNS7_9null_typeES9_S9_S9_S9_S9_S9_S9_EENS0_10empty_typeEbEEZZNS1_14partition_implILS5_6ELb0ES3_mNS7_12zip_iteratorINS8_INS7_6detail15normal_iteratorINS7_10device_ptrIdEEEESJ_S9_S9_S9_S9_S9_S9_S9_S9_EEEEPSB_SM_NS0_5tupleIJNSE_INS8_ISJ_NS7_16discard_iteratorINS7_11use_defaultEEES9_S9_S9_S9_S9_S9_S9_S9_EEEESB_EEENSN_IJSM_SM_EEESB_PlJNSF_9not_fun_tINSF_14equal_to_valueISA_EEEEEEE10hipError_tPvRmT3_T4_T5_T6_T7_T9_mT8_P12ihipStream_tbDpT10_ENKUlT_T0_E_clISt17integral_constantIbLb1EES1I_IbLb0EEEEDaS1E_S1F_EUlS1E_E_NS1_11comp_targetILNS1_3genE8ELNS1_11target_archE1030ELNS1_3gpuE2ELNS1_3repE0EEENS1_30default_config_static_selectorELNS0_4arch9wavefront6targetE0EEEvT1_, .Lfunc_end1844-_ZN7rocprim17ROCPRIM_400000_NS6detail17trampoline_kernelINS0_14default_configENS1_25partition_config_selectorILNS1_17partition_subalgoE6EN6thrust23THRUST_200600_302600_NS5tupleIddNS7_9null_typeES9_S9_S9_S9_S9_S9_S9_EENS0_10empty_typeEbEEZZNS1_14partition_implILS5_6ELb0ES3_mNS7_12zip_iteratorINS8_INS7_6detail15normal_iteratorINS7_10device_ptrIdEEEESJ_S9_S9_S9_S9_S9_S9_S9_S9_EEEEPSB_SM_NS0_5tupleIJNSE_INS8_ISJ_NS7_16discard_iteratorINS7_11use_defaultEEES9_S9_S9_S9_S9_S9_S9_S9_EEEESB_EEENSN_IJSM_SM_EEESB_PlJNSF_9not_fun_tINSF_14equal_to_valueISA_EEEEEEE10hipError_tPvRmT3_T4_T5_T6_T7_T9_mT8_P12ihipStream_tbDpT10_ENKUlT_T0_E_clISt17integral_constantIbLb1EES1I_IbLb0EEEEDaS1E_S1F_EUlS1E_E_NS1_11comp_targetILNS1_3genE8ELNS1_11target_archE1030ELNS1_3gpuE2ELNS1_3repE0EEENS1_30default_config_static_selectorELNS0_4arch9wavefront6targetE0EEEvT1_
                                        ; -- End function
	.set _ZN7rocprim17ROCPRIM_400000_NS6detail17trampoline_kernelINS0_14default_configENS1_25partition_config_selectorILNS1_17partition_subalgoE6EN6thrust23THRUST_200600_302600_NS5tupleIddNS7_9null_typeES9_S9_S9_S9_S9_S9_S9_EENS0_10empty_typeEbEEZZNS1_14partition_implILS5_6ELb0ES3_mNS7_12zip_iteratorINS8_INS7_6detail15normal_iteratorINS7_10device_ptrIdEEEESJ_S9_S9_S9_S9_S9_S9_S9_S9_EEEEPSB_SM_NS0_5tupleIJNSE_INS8_ISJ_NS7_16discard_iteratorINS7_11use_defaultEEES9_S9_S9_S9_S9_S9_S9_S9_EEEESB_EEENSN_IJSM_SM_EEESB_PlJNSF_9not_fun_tINSF_14equal_to_valueISA_EEEEEEE10hipError_tPvRmT3_T4_T5_T6_T7_T9_mT8_P12ihipStream_tbDpT10_ENKUlT_T0_E_clISt17integral_constantIbLb1EES1I_IbLb0EEEEDaS1E_S1F_EUlS1E_E_NS1_11comp_targetILNS1_3genE8ELNS1_11target_archE1030ELNS1_3gpuE2ELNS1_3repE0EEENS1_30default_config_static_selectorELNS0_4arch9wavefront6targetE0EEEvT1_.num_vgpr, 0
	.set _ZN7rocprim17ROCPRIM_400000_NS6detail17trampoline_kernelINS0_14default_configENS1_25partition_config_selectorILNS1_17partition_subalgoE6EN6thrust23THRUST_200600_302600_NS5tupleIddNS7_9null_typeES9_S9_S9_S9_S9_S9_S9_EENS0_10empty_typeEbEEZZNS1_14partition_implILS5_6ELb0ES3_mNS7_12zip_iteratorINS8_INS7_6detail15normal_iteratorINS7_10device_ptrIdEEEESJ_S9_S9_S9_S9_S9_S9_S9_S9_EEEEPSB_SM_NS0_5tupleIJNSE_INS8_ISJ_NS7_16discard_iteratorINS7_11use_defaultEEES9_S9_S9_S9_S9_S9_S9_S9_EEEESB_EEENSN_IJSM_SM_EEESB_PlJNSF_9not_fun_tINSF_14equal_to_valueISA_EEEEEEE10hipError_tPvRmT3_T4_T5_T6_T7_T9_mT8_P12ihipStream_tbDpT10_ENKUlT_T0_E_clISt17integral_constantIbLb1EES1I_IbLb0EEEEDaS1E_S1F_EUlS1E_E_NS1_11comp_targetILNS1_3genE8ELNS1_11target_archE1030ELNS1_3gpuE2ELNS1_3repE0EEENS1_30default_config_static_selectorELNS0_4arch9wavefront6targetE0EEEvT1_.num_agpr, 0
	.set _ZN7rocprim17ROCPRIM_400000_NS6detail17trampoline_kernelINS0_14default_configENS1_25partition_config_selectorILNS1_17partition_subalgoE6EN6thrust23THRUST_200600_302600_NS5tupleIddNS7_9null_typeES9_S9_S9_S9_S9_S9_S9_EENS0_10empty_typeEbEEZZNS1_14partition_implILS5_6ELb0ES3_mNS7_12zip_iteratorINS8_INS7_6detail15normal_iteratorINS7_10device_ptrIdEEEESJ_S9_S9_S9_S9_S9_S9_S9_S9_EEEEPSB_SM_NS0_5tupleIJNSE_INS8_ISJ_NS7_16discard_iteratorINS7_11use_defaultEEES9_S9_S9_S9_S9_S9_S9_S9_EEEESB_EEENSN_IJSM_SM_EEESB_PlJNSF_9not_fun_tINSF_14equal_to_valueISA_EEEEEEE10hipError_tPvRmT3_T4_T5_T6_T7_T9_mT8_P12ihipStream_tbDpT10_ENKUlT_T0_E_clISt17integral_constantIbLb1EES1I_IbLb0EEEEDaS1E_S1F_EUlS1E_E_NS1_11comp_targetILNS1_3genE8ELNS1_11target_archE1030ELNS1_3gpuE2ELNS1_3repE0EEENS1_30default_config_static_selectorELNS0_4arch9wavefront6targetE0EEEvT1_.numbered_sgpr, 0
	.set _ZN7rocprim17ROCPRIM_400000_NS6detail17trampoline_kernelINS0_14default_configENS1_25partition_config_selectorILNS1_17partition_subalgoE6EN6thrust23THRUST_200600_302600_NS5tupleIddNS7_9null_typeES9_S9_S9_S9_S9_S9_S9_EENS0_10empty_typeEbEEZZNS1_14partition_implILS5_6ELb0ES3_mNS7_12zip_iteratorINS8_INS7_6detail15normal_iteratorINS7_10device_ptrIdEEEESJ_S9_S9_S9_S9_S9_S9_S9_S9_EEEEPSB_SM_NS0_5tupleIJNSE_INS8_ISJ_NS7_16discard_iteratorINS7_11use_defaultEEES9_S9_S9_S9_S9_S9_S9_S9_EEEESB_EEENSN_IJSM_SM_EEESB_PlJNSF_9not_fun_tINSF_14equal_to_valueISA_EEEEEEE10hipError_tPvRmT3_T4_T5_T6_T7_T9_mT8_P12ihipStream_tbDpT10_ENKUlT_T0_E_clISt17integral_constantIbLb1EES1I_IbLb0EEEEDaS1E_S1F_EUlS1E_E_NS1_11comp_targetILNS1_3genE8ELNS1_11target_archE1030ELNS1_3gpuE2ELNS1_3repE0EEENS1_30default_config_static_selectorELNS0_4arch9wavefront6targetE0EEEvT1_.num_named_barrier, 0
	.set _ZN7rocprim17ROCPRIM_400000_NS6detail17trampoline_kernelINS0_14default_configENS1_25partition_config_selectorILNS1_17partition_subalgoE6EN6thrust23THRUST_200600_302600_NS5tupleIddNS7_9null_typeES9_S9_S9_S9_S9_S9_S9_EENS0_10empty_typeEbEEZZNS1_14partition_implILS5_6ELb0ES3_mNS7_12zip_iteratorINS8_INS7_6detail15normal_iteratorINS7_10device_ptrIdEEEESJ_S9_S9_S9_S9_S9_S9_S9_S9_EEEEPSB_SM_NS0_5tupleIJNSE_INS8_ISJ_NS7_16discard_iteratorINS7_11use_defaultEEES9_S9_S9_S9_S9_S9_S9_S9_EEEESB_EEENSN_IJSM_SM_EEESB_PlJNSF_9not_fun_tINSF_14equal_to_valueISA_EEEEEEE10hipError_tPvRmT3_T4_T5_T6_T7_T9_mT8_P12ihipStream_tbDpT10_ENKUlT_T0_E_clISt17integral_constantIbLb1EES1I_IbLb0EEEEDaS1E_S1F_EUlS1E_E_NS1_11comp_targetILNS1_3genE8ELNS1_11target_archE1030ELNS1_3gpuE2ELNS1_3repE0EEENS1_30default_config_static_selectorELNS0_4arch9wavefront6targetE0EEEvT1_.private_seg_size, 0
	.set _ZN7rocprim17ROCPRIM_400000_NS6detail17trampoline_kernelINS0_14default_configENS1_25partition_config_selectorILNS1_17partition_subalgoE6EN6thrust23THRUST_200600_302600_NS5tupleIddNS7_9null_typeES9_S9_S9_S9_S9_S9_S9_EENS0_10empty_typeEbEEZZNS1_14partition_implILS5_6ELb0ES3_mNS7_12zip_iteratorINS8_INS7_6detail15normal_iteratorINS7_10device_ptrIdEEEESJ_S9_S9_S9_S9_S9_S9_S9_S9_EEEEPSB_SM_NS0_5tupleIJNSE_INS8_ISJ_NS7_16discard_iteratorINS7_11use_defaultEEES9_S9_S9_S9_S9_S9_S9_S9_EEEESB_EEENSN_IJSM_SM_EEESB_PlJNSF_9not_fun_tINSF_14equal_to_valueISA_EEEEEEE10hipError_tPvRmT3_T4_T5_T6_T7_T9_mT8_P12ihipStream_tbDpT10_ENKUlT_T0_E_clISt17integral_constantIbLb1EES1I_IbLb0EEEEDaS1E_S1F_EUlS1E_E_NS1_11comp_targetILNS1_3genE8ELNS1_11target_archE1030ELNS1_3gpuE2ELNS1_3repE0EEENS1_30default_config_static_selectorELNS0_4arch9wavefront6targetE0EEEvT1_.uses_vcc, 0
	.set _ZN7rocprim17ROCPRIM_400000_NS6detail17trampoline_kernelINS0_14default_configENS1_25partition_config_selectorILNS1_17partition_subalgoE6EN6thrust23THRUST_200600_302600_NS5tupleIddNS7_9null_typeES9_S9_S9_S9_S9_S9_S9_EENS0_10empty_typeEbEEZZNS1_14partition_implILS5_6ELb0ES3_mNS7_12zip_iteratorINS8_INS7_6detail15normal_iteratorINS7_10device_ptrIdEEEESJ_S9_S9_S9_S9_S9_S9_S9_S9_EEEEPSB_SM_NS0_5tupleIJNSE_INS8_ISJ_NS7_16discard_iteratorINS7_11use_defaultEEES9_S9_S9_S9_S9_S9_S9_S9_EEEESB_EEENSN_IJSM_SM_EEESB_PlJNSF_9not_fun_tINSF_14equal_to_valueISA_EEEEEEE10hipError_tPvRmT3_T4_T5_T6_T7_T9_mT8_P12ihipStream_tbDpT10_ENKUlT_T0_E_clISt17integral_constantIbLb1EES1I_IbLb0EEEEDaS1E_S1F_EUlS1E_E_NS1_11comp_targetILNS1_3genE8ELNS1_11target_archE1030ELNS1_3gpuE2ELNS1_3repE0EEENS1_30default_config_static_selectorELNS0_4arch9wavefront6targetE0EEEvT1_.uses_flat_scratch, 0
	.set _ZN7rocprim17ROCPRIM_400000_NS6detail17trampoline_kernelINS0_14default_configENS1_25partition_config_selectorILNS1_17partition_subalgoE6EN6thrust23THRUST_200600_302600_NS5tupleIddNS7_9null_typeES9_S9_S9_S9_S9_S9_S9_EENS0_10empty_typeEbEEZZNS1_14partition_implILS5_6ELb0ES3_mNS7_12zip_iteratorINS8_INS7_6detail15normal_iteratorINS7_10device_ptrIdEEEESJ_S9_S9_S9_S9_S9_S9_S9_S9_EEEEPSB_SM_NS0_5tupleIJNSE_INS8_ISJ_NS7_16discard_iteratorINS7_11use_defaultEEES9_S9_S9_S9_S9_S9_S9_S9_EEEESB_EEENSN_IJSM_SM_EEESB_PlJNSF_9not_fun_tINSF_14equal_to_valueISA_EEEEEEE10hipError_tPvRmT3_T4_T5_T6_T7_T9_mT8_P12ihipStream_tbDpT10_ENKUlT_T0_E_clISt17integral_constantIbLb1EES1I_IbLb0EEEEDaS1E_S1F_EUlS1E_E_NS1_11comp_targetILNS1_3genE8ELNS1_11target_archE1030ELNS1_3gpuE2ELNS1_3repE0EEENS1_30default_config_static_selectorELNS0_4arch9wavefront6targetE0EEEvT1_.has_dyn_sized_stack, 0
	.set _ZN7rocprim17ROCPRIM_400000_NS6detail17trampoline_kernelINS0_14default_configENS1_25partition_config_selectorILNS1_17partition_subalgoE6EN6thrust23THRUST_200600_302600_NS5tupleIddNS7_9null_typeES9_S9_S9_S9_S9_S9_S9_EENS0_10empty_typeEbEEZZNS1_14partition_implILS5_6ELb0ES3_mNS7_12zip_iteratorINS8_INS7_6detail15normal_iteratorINS7_10device_ptrIdEEEESJ_S9_S9_S9_S9_S9_S9_S9_S9_EEEEPSB_SM_NS0_5tupleIJNSE_INS8_ISJ_NS7_16discard_iteratorINS7_11use_defaultEEES9_S9_S9_S9_S9_S9_S9_S9_EEEESB_EEENSN_IJSM_SM_EEESB_PlJNSF_9not_fun_tINSF_14equal_to_valueISA_EEEEEEE10hipError_tPvRmT3_T4_T5_T6_T7_T9_mT8_P12ihipStream_tbDpT10_ENKUlT_T0_E_clISt17integral_constantIbLb1EES1I_IbLb0EEEEDaS1E_S1F_EUlS1E_E_NS1_11comp_targetILNS1_3genE8ELNS1_11target_archE1030ELNS1_3gpuE2ELNS1_3repE0EEENS1_30default_config_static_selectorELNS0_4arch9wavefront6targetE0EEEvT1_.has_recursion, 0
	.set _ZN7rocprim17ROCPRIM_400000_NS6detail17trampoline_kernelINS0_14default_configENS1_25partition_config_selectorILNS1_17partition_subalgoE6EN6thrust23THRUST_200600_302600_NS5tupleIddNS7_9null_typeES9_S9_S9_S9_S9_S9_S9_EENS0_10empty_typeEbEEZZNS1_14partition_implILS5_6ELb0ES3_mNS7_12zip_iteratorINS8_INS7_6detail15normal_iteratorINS7_10device_ptrIdEEEESJ_S9_S9_S9_S9_S9_S9_S9_S9_EEEEPSB_SM_NS0_5tupleIJNSE_INS8_ISJ_NS7_16discard_iteratorINS7_11use_defaultEEES9_S9_S9_S9_S9_S9_S9_S9_EEEESB_EEENSN_IJSM_SM_EEESB_PlJNSF_9not_fun_tINSF_14equal_to_valueISA_EEEEEEE10hipError_tPvRmT3_T4_T5_T6_T7_T9_mT8_P12ihipStream_tbDpT10_ENKUlT_T0_E_clISt17integral_constantIbLb1EES1I_IbLb0EEEEDaS1E_S1F_EUlS1E_E_NS1_11comp_targetILNS1_3genE8ELNS1_11target_archE1030ELNS1_3gpuE2ELNS1_3repE0EEENS1_30default_config_static_selectorELNS0_4arch9wavefront6targetE0EEEvT1_.has_indirect_call, 0
	.section	.AMDGPU.csdata,"",@progbits
; Kernel info:
; codeLenInByte = 0
; TotalNumSgprs: 0
; NumVgprs: 0
; ScratchSize: 0
; MemoryBound: 0
; FloatMode: 240
; IeeeMode: 1
; LDSByteSize: 0 bytes/workgroup (compile time only)
; SGPRBlocks: 0
; VGPRBlocks: 0
; NumSGPRsForWavesPerEU: 1
; NumVGPRsForWavesPerEU: 1
; Occupancy: 16
; WaveLimiterHint : 0
; COMPUTE_PGM_RSRC2:SCRATCH_EN: 0
; COMPUTE_PGM_RSRC2:USER_SGPR: 2
; COMPUTE_PGM_RSRC2:TRAP_HANDLER: 0
; COMPUTE_PGM_RSRC2:TGID_X_EN: 1
; COMPUTE_PGM_RSRC2:TGID_Y_EN: 0
; COMPUTE_PGM_RSRC2:TGID_Z_EN: 0
; COMPUTE_PGM_RSRC2:TIDIG_COMP_CNT: 0
	.section	.text._ZN7rocprim17ROCPRIM_400000_NS6detail17trampoline_kernelINS0_14default_configENS1_25partition_config_selectorILNS1_17partition_subalgoE6EN6thrust23THRUST_200600_302600_NS5tupleIddNS7_9null_typeES9_S9_S9_S9_S9_S9_S9_EENS0_10empty_typeEbEEZZNS1_14partition_implILS5_6ELb0ES3_mNS7_12zip_iteratorINS8_INS7_6detail15normal_iteratorINS7_10device_ptrIdEEEESJ_S9_S9_S9_S9_S9_S9_S9_S9_EEEEPSB_SM_NS0_5tupleIJNSE_INS8_ISJ_NS7_16discard_iteratorINS7_11use_defaultEEES9_S9_S9_S9_S9_S9_S9_S9_EEEESB_EEENSN_IJSM_SM_EEESB_PlJNSF_9not_fun_tINSF_14equal_to_valueISA_EEEEEEE10hipError_tPvRmT3_T4_T5_T6_T7_T9_mT8_P12ihipStream_tbDpT10_ENKUlT_T0_E_clISt17integral_constantIbLb0EES1I_IbLb1EEEEDaS1E_S1F_EUlS1E_E_NS1_11comp_targetILNS1_3genE0ELNS1_11target_archE4294967295ELNS1_3gpuE0ELNS1_3repE0EEENS1_30default_config_static_selectorELNS0_4arch9wavefront6targetE0EEEvT1_,"axG",@progbits,_ZN7rocprim17ROCPRIM_400000_NS6detail17trampoline_kernelINS0_14default_configENS1_25partition_config_selectorILNS1_17partition_subalgoE6EN6thrust23THRUST_200600_302600_NS5tupleIddNS7_9null_typeES9_S9_S9_S9_S9_S9_S9_EENS0_10empty_typeEbEEZZNS1_14partition_implILS5_6ELb0ES3_mNS7_12zip_iteratorINS8_INS7_6detail15normal_iteratorINS7_10device_ptrIdEEEESJ_S9_S9_S9_S9_S9_S9_S9_S9_EEEEPSB_SM_NS0_5tupleIJNSE_INS8_ISJ_NS7_16discard_iteratorINS7_11use_defaultEEES9_S9_S9_S9_S9_S9_S9_S9_EEEESB_EEENSN_IJSM_SM_EEESB_PlJNSF_9not_fun_tINSF_14equal_to_valueISA_EEEEEEE10hipError_tPvRmT3_T4_T5_T6_T7_T9_mT8_P12ihipStream_tbDpT10_ENKUlT_T0_E_clISt17integral_constantIbLb0EES1I_IbLb1EEEEDaS1E_S1F_EUlS1E_E_NS1_11comp_targetILNS1_3genE0ELNS1_11target_archE4294967295ELNS1_3gpuE0ELNS1_3repE0EEENS1_30default_config_static_selectorELNS0_4arch9wavefront6targetE0EEEvT1_,comdat
	.protected	_ZN7rocprim17ROCPRIM_400000_NS6detail17trampoline_kernelINS0_14default_configENS1_25partition_config_selectorILNS1_17partition_subalgoE6EN6thrust23THRUST_200600_302600_NS5tupleIddNS7_9null_typeES9_S9_S9_S9_S9_S9_S9_EENS0_10empty_typeEbEEZZNS1_14partition_implILS5_6ELb0ES3_mNS7_12zip_iteratorINS8_INS7_6detail15normal_iteratorINS7_10device_ptrIdEEEESJ_S9_S9_S9_S9_S9_S9_S9_S9_EEEEPSB_SM_NS0_5tupleIJNSE_INS8_ISJ_NS7_16discard_iteratorINS7_11use_defaultEEES9_S9_S9_S9_S9_S9_S9_S9_EEEESB_EEENSN_IJSM_SM_EEESB_PlJNSF_9not_fun_tINSF_14equal_to_valueISA_EEEEEEE10hipError_tPvRmT3_T4_T5_T6_T7_T9_mT8_P12ihipStream_tbDpT10_ENKUlT_T0_E_clISt17integral_constantIbLb0EES1I_IbLb1EEEEDaS1E_S1F_EUlS1E_E_NS1_11comp_targetILNS1_3genE0ELNS1_11target_archE4294967295ELNS1_3gpuE0ELNS1_3repE0EEENS1_30default_config_static_selectorELNS0_4arch9wavefront6targetE0EEEvT1_ ; -- Begin function _ZN7rocprim17ROCPRIM_400000_NS6detail17trampoline_kernelINS0_14default_configENS1_25partition_config_selectorILNS1_17partition_subalgoE6EN6thrust23THRUST_200600_302600_NS5tupleIddNS7_9null_typeES9_S9_S9_S9_S9_S9_S9_EENS0_10empty_typeEbEEZZNS1_14partition_implILS5_6ELb0ES3_mNS7_12zip_iteratorINS8_INS7_6detail15normal_iteratorINS7_10device_ptrIdEEEESJ_S9_S9_S9_S9_S9_S9_S9_S9_EEEEPSB_SM_NS0_5tupleIJNSE_INS8_ISJ_NS7_16discard_iteratorINS7_11use_defaultEEES9_S9_S9_S9_S9_S9_S9_S9_EEEESB_EEENSN_IJSM_SM_EEESB_PlJNSF_9not_fun_tINSF_14equal_to_valueISA_EEEEEEE10hipError_tPvRmT3_T4_T5_T6_T7_T9_mT8_P12ihipStream_tbDpT10_ENKUlT_T0_E_clISt17integral_constantIbLb0EES1I_IbLb1EEEEDaS1E_S1F_EUlS1E_E_NS1_11comp_targetILNS1_3genE0ELNS1_11target_archE4294967295ELNS1_3gpuE0ELNS1_3repE0EEENS1_30default_config_static_selectorELNS0_4arch9wavefront6targetE0EEEvT1_
	.globl	_ZN7rocprim17ROCPRIM_400000_NS6detail17trampoline_kernelINS0_14default_configENS1_25partition_config_selectorILNS1_17partition_subalgoE6EN6thrust23THRUST_200600_302600_NS5tupleIddNS7_9null_typeES9_S9_S9_S9_S9_S9_S9_EENS0_10empty_typeEbEEZZNS1_14partition_implILS5_6ELb0ES3_mNS7_12zip_iteratorINS8_INS7_6detail15normal_iteratorINS7_10device_ptrIdEEEESJ_S9_S9_S9_S9_S9_S9_S9_S9_EEEEPSB_SM_NS0_5tupleIJNSE_INS8_ISJ_NS7_16discard_iteratorINS7_11use_defaultEEES9_S9_S9_S9_S9_S9_S9_S9_EEEESB_EEENSN_IJSM_SM_EEESB_PlJNSF_9not_fun_tINSF_14equal_to_valueISA_EEEEEEE10hipError_tPvRmT3_T4_T5_T6_T7_T9_mT8_P12ihipStream_tbDpT10_ENKUlT_T0_E_clISt17integral_constantIbLb0EES1I_IbLb1EEEEDaS1E_S1F_EUlS1E_E_NS1_11comp_targetILNS1_3genE0ELNS1_11target_archE4294967295ELNS1_3gpuE0ELNS1_3repE0EEENS1_30default_config_static_selectorELNS0_4arch9wavefront6targetE0EEEvT1_
	.p2align	8
	.type	_ZN7rocprim17ROCPRIM_400000_NS6detail17trampoline_kernelINS0_14default_configENS1_25partition_config_selectorILNS1_17partition_subalgoE6EN6thrust23THRUST_200600_302600_NS5tupleIddNS7_9null_typeES9_S9_S9_S9_S9_S9_S9_EENS0_10empty_typeEbEEZZNS1_14partition_implILS5_6ELb0ES3_mNS7_12zip_iteratorINS8_INS7_6detail15normal_iteratorINS7_10device_ptrIdEEEESJ_S9_S9_S9_S9_S9_S9_S9_S9_EEEEPSB_SM_NS0_5tupleIJNSE_INS8_ISJ_NS7_16discard_iteratorINS7_11use_defaultEEES9_S9_S9_S9_S9_S9_S9_S9_EEEESB_EEENSN_IJSM_SM_EEESB_PlJNSF_9not_fun_tINSF_14equal_to_valueISA_EEEEEEE10hipError_tPvRmT3_T4_T5_T6_T7_T9_mT8_P12ihipStream_tbDpT10_ENKUlT_T0_E_clISt17integral_constantIbLb0EES1I_IbLb1EEEEDaS1E_S1F_EUlS1E_E_NS1_11comp_targetILNS1_3genE0ELNS1_11target_archE4294967295ELNS1_3gpuE0ELNS1_3repE0EEENS1_30default_config_static_selectorELNS0_4arch9wavefront6targetE0EEEvT1_,@function
_ZN7rocprim17ROCPRIM_400000_NS6detail17trampoline_kernelINS0_14default_configENS1_25partition_config_selectorILNS1_17partition_subalgoE6EN6thrust23THRUST_200600_302600_NS5tupleIddNS7_9null_typeES9_S9_S9_S9_S9_S9_S9_EENS0_10empty_typeEbEEZZNS1_14partition_implILS5_6ELb0ES3_mNS7_12zip_iteratorINS8_INS7_6detail15normal_iteratorINS7_10device_ptrIdEEEESJ_S9_S9_S9_S9_S9_S9_S9_S9_EEEEPSB_SM_NS0_5tupleIJNSE_INS8_ISJ_NS7_16discard_iteratorINS7_11use_defaultEEES9_S9_S9_S9_S9_S9_S9_S9_EEEESB_EEENSN_IJSM_SM_EEESB_PlJNSF_9not_fun_tINSF_14equal_to_valueISA_EEEEEEE10hipError_tPvRmT3_T4_T5_T6_T7_T9_mT8_P12ihipStream_tbDpT10_ENKUlT_T0_E_clISt17integral_constantIbLb0EES1I_IbLb1EEEEDaS1E_S1F_EUlS1E_E_NS1_11comp_targetILNS1_3genE0ELNS1_11target_archE4294967295ELNS1_3gpuE0ELNS1_3repE0EEENS1_30default_config_static_selectorELNS0_4arch9wavefront6targetE0EEEvT1_: ; @_ZN7rocprim17ROCPRIM_400000_NS6detail17trampoline_kernelINS0_14default_configENS1_25partition_config_selectorILNS1_17partition_subalgoE6EN6thrust23THRUST_200600_302600_NS5tupleIddNS7_9null_typeES9_S9_S9_S9_S9_S9_S9_EENS0_10empty_typeEbEEZZNS1_14partition_implILS5_6ELb0ES3_mNS7_12zip_iteratorINS8_INS7_6detail15normal_iteratorINS7_10device_ptrIdEEEESJ_S9_S9_S9_S9_S9_S9_S9_S9_EEEEPSB_SM_NS0_5tupleIJNSE_INS8_ISJ_NS7_16discard_iteratorINS7_11use_defaultEEES9_S9_S9_S9_S9_S9_S9_S9_EEEESB_EEENSN_IJSM_SM_EEESB_PlJNSF_9not_fun_tINSF_14equal_to_valueISA_EEEEEEE10hipError_tPvRmT3_T4_T5_T6_T7_T9_mT8_P12ihipStream_tbDpT10_ENKUlT_T0_E_clISt17integral_constantIbLb0EES1I_IbLb1EEEEDaS1E_S1F_EUlS1E_E_NS1_11comp_targetILNS1_3genE0ELNS1_11target_archE4294967295ELNS1_3gpuE0ELNS1_3repE0EEENS1_30default_config_static_selectorELNS0_4arch9wavefront6targetE0EEEvT1_
; %bb.0:
	.section	.rodata,"a",@progbits
	.p2align	6, 0x0
	.amdhsa_kernel _ZN7rocprim17ROCPRIM_400000_NS6detail17trampoline_kernelINS0_14default_configENS1_25partition_config_selectorILNS1_17partition_subalgoE6EN6thrust23THRUST_200600_302600_NS5tupleIddNS7_9null_typeES9_S9_S9_S9_S9_S9_S9_EENS0_10empty_typeEbEEZZNS1_14partition_implILS5_6ELb0ES3_mNS7_12zip_iteratorINS8_INS7_6detail15normal_iteratorINS7_10device_ptrIdEEEESJ_S9_S9_S9_S9_S9_S9_S9_S9_EEEEPSB_SM_NS0_5tupleIJNSE_INS8_ISJ_NS7_16discard_iteratorINS7_11use_defaultEEES9_S9_S9_S9_S9_S9_S9_S9_EEEESB_EEENSN_IJSM_SM_EEESB_PlJNSF_9not_fun_tINSF_14equal_to_valueISA_EEEEEEE10hipError_tPvRmT3_T4_T5_T6_T7_T9_mT8_P12ihipStream_tbDpT10_ENKUlT_T0_E_clISt17integral_constantIbLb0EES1I_IbLb1EEEEDaS1E_S1F_EUlS1E_E_NS1_11comp_targetILNS1_3genE0ELNS1_11target_archE4294967295ELNS1_3gpuE0ELNS1_3repE0EEENS1_30default_config_static_selectorELNS0_4arch9wavefront6targetE0EEEvT1_
		.amdhsa_group_segment_fixed_size 0
		.amdhsa_private_segment_fixed_size 0
		.amdhsa_kernarg_size 160
		.amdhsa_user_sgpr_count 2
		.amdhsa_user_sgpr_dispatch_ptr 0
		.amdhsa_user_sgpr_queue_ptr 0
		.amdhsa_user_sgpr_kernarg_segment_ptr 1
		.amdhsa_user_sgpr_dispatch_id 0
		.amdhsa_user_sgpr_private_segment_size 0
		.amdhsa_wavefront_size32 1
		.amdhsa_uses_dynamic_stack 0
		.amdhsa_enable_private_segment 0
		.amdhsa_system_sgpr_workgroup_id_x 1
		.amdhsa_system_sgpr_workgroup_id_y 0
		.amdhsa_system_sgpr_workgroup_id_z 0
		.amdhsa_system_sgpr_workgroup_info 0
		.amdhsa_system_vgpr_workitem_id 0
		.amdhsa_next_free_vgpr 1
		.amdhsa_next_free_sgpr 1
		.amdhsa_reserve_vcc 0
		.amdhsa_float_round_mode_32 0
		.amdhsa_float_round_mode_16_64 0
		.amdhsa_float_denorm_mode_32 3
		.amdhsa_float_denorm_mode_16_64 3
		.amdhsa_fp16_overflow 0
		.amdhsa_workgroup_processor_mode 1
		.amdhsa_memory_ordered 1
		.amdhsa_forward_progress 1
		.amdhsa_inst_pref_size 0
		.amdhsa_round_robin_scheduling 0
		.amdhsa_exception_fp_ieee_invalid_op 0
		.amdhsa_exception_fp_denorm_src 0
		.amdhsa_exception_fp_ieee_div_zero 0
		.amdhsa_exception_fp_ieee_overflow 0
		.amdhsa_exception_fp_ieee_underflow 0
		.amdhsa_exception_fp_ieee_inexact 0
		.amdhsa_exception_int_div_zero 0
	.end_amdhsa_kernel
	.section	.text._ZN7rocprim17ROCPRIM_400000_NS6detail17trampoline_kernelINS0_14default_configENS1_25partition_config_selectorILNS1_17partition_subalgoE6EN6thrust23THRUST_200600_302600_NS5tupleIddNS7_9null_typeES9_S9_S9_S9_S9_S9_S9_EENS0_10empty_typeEbEEZZNS1_14partition_implILS5_6ELb0ES3_mNS7_12zip_iteratorINS8_INS7_6detail15normal_iteratorINS7_10device_ptrIdEEEESJ_S9_S9_S9_S9_S9_S9_S9_S9_EEEEPSB_SM_NS0_5tupleIJNSE_INS8_ISJ_NS7_16discard_iteratorINS7_11use_defaultEEES9_S9_S9_S9_S9_S9_S9_S9_EEEESB_EEENSN_IJSM_SM_EEESB_PlJNSF_9not_fun_tINSF_14equal_to_valueISA_EEEEEEE10hipError_tPvRmT3_T4_T5_T6_T7_T9_mT8_P12ihipStream_tbDpT10_ENKUlT_T0_E_clISt17integral_constantIbLb0EES1I_IbLb1EEEEDaS1E_S1F_EUlS1E_E_NS1_11comp_targetILNS1_3genE0ELNS1_11target_archE4294967295ELNS1_3gpuE0ELNS1_3repE0EEENS1_30default_config_static_selectorELNS0_4arch9wavefront6targetE0EEEvT1_,"axG",@progbits,_ZN7rocprim17ROCPRIM_400000_NS6detail17trampoline_kernelINS0_14default_configENS1_25partition_config_selectorILNS1_17partition_subalgoE6EN6thrust23THRUST_200600_302600_NS5tupleIddNS7_9null_typeES9_S9_S9_S9_S9_S9_S9_EENS0_10empty_typeEbEEZZNS1_14partition_implILS5_6ELb0ES3_mNS7_12zip_iteratorINS8_INS7_6detail15normal_iteratorINS7_10device_ptrIdEEEESJ_S9_S9_S9_S9_S9_S9_S9_S9_EEEEPSB_SM_NS0_5tupleIJNSE_INS8_ISJ_NS7_16discard_iteratorINS7_11use_defaultEEES9_S9_S9_S9_S9_S9_S9_S9_EEEESB_EEENSN_IJSM_SM_EEESB_PlJNSF_9not_fun_tINSF_14equal_to_valueISA_EEEEEEE10hipError_tPvRmT3_T4_T5_T6_T7_T9_mT8_P12ihipStream_tbDpT10_ENKUlT_T0_E_clISt17integral_constantIbLb0EES1I_IbLb1EEEEDaS1E_S1F_EUlS1E_E_NS1_11comp_targetILNS1_3genE0ELNS1_11target_archE4294967295ELNS1_3gpuE0ELNS1_3repE0EEENS1_30default_config_static_selectorELNS0_4arch9wavefront6targetE0EEEvT1_,comdat
.Lfunc_end1845:
	.size	_ZN7rocprim17ROCPRIM_400000_NS6detail17trampoline_kernelINS0_14default_configENS1_25partition_config_selectorILNS1_17partition_subalgoE6EN6thrust23THRUST_200600_302600_NS5tupleIddNS7_9null_typeES9_S9_S9_S9_S9_S9_S9_EENS0_10empty_typeEbEEZZNS1_14partition_implILS5_6ELb0ES3_mNS7_12zip_iteratorINS8_INS7_6detail15normal_iteratorINS7_10device_ptrIdEEEESJ_S9_S9_S9_S9_S9_S9_S9_S9_EEEEPSB_SM_NS0_5tupleIJNSE_INS8_ISJ_NS7_16discard_iteratorINS7_11use_defaultEEES9_S9_S9_S9_S9_S9_S9_S9_EEEESB_EEENSN_IJSM_SM_EEESB_PlJNSF_9not_fun_tINSF_14equal_to_valueISA_EEEEEEE10hipError_tPvRmT3_T4_T5_T6_T7_T9_mT8_P12ihipStream_tbDpT10_ENKUlT_T0_E_clISt17integral_constantIbLb0EES1I_IbLb1EEEEDaS1E_S1F_EUlS1E_E_NS1_11comp_targetILNS1_3genE0ELNS1_11target_archE4294967295ELNS1_3gpuE0ELNS1_3repE0EEENS1_30default_config_static_selectorELNS0_4arch9wavefront6targetE0EEEvT1_, .Lfunc_end1845-_ZN7rocprim17ROCPRIM_400000_NS6detail17trampoline_kernelINS0_14default_configENS1_25partition_config_selectorILNS1_17partition_subalgoE6EN6thrust23THRUST_200600_302600_NS5tupleIddNS7_9null_typeES9_S9_S9_S9_S9_S9_S9_EENS0_10empty_typeEbEEZZNS1_14partition_implILS5_6ELb0ES3_mNS7_12zip_iteratorINS8_INS7_6detail15normal_iteratorINS7_10device_ptrIdEEEESJ_S9_S9_S9_S9_S9_S9_S9_S9_EEEEPSB_SM_NS0_5tupleIJNSE_INS8_ISJ_NS7_16discard_iteratorINS7_11use_defaultEEES9_S9_S9_S9_S9_S9_S9_S9_EEEESB_EEENSN_IJSM_SM_EEESB_PlJNSF_9not_fun_tINSF_14equal_to_valueISA_EEEEEEE10hipError_tPvRmT3_T4_T5_T6_T7_T9_mT8_P12ihipStream_tbDpT10_ENKUlT_T0_E_clISt17integral_constantIbLb0EES1I_IbLb1EEEEDaS1E_S1F_EUlS1E_E_NS1_11comp_targetILNS1_3genE0ELNS1_11target_archE4294967295ELNS1_3gpuE0ELNS1_3repE0EEENS1_30default_config_static_selectorELNS0_4arch9wavefront6targetE0EEEvT1_
                                        ; -- End function
	.set _ZN7rocprim17ROCPRIM_400000_NS6detail17trampoline_kernelINS0_14default_configENS1_25partition_config_selectorILNS1_17partition_subalgoE6EN6thrust23THRUST_200600_302600_NS5tupleIddNS7_9null_typeES9_S9_S9_S9_S9_S9_S9_EENS0_10empty_typeEbEEZZNS1_14partition_implILS5_6ELb0ES3_mNS7_12zip_iteratorINS8_INS7_6detail15normal_iteratorINS7_10device_ptrIdEEEESJ_S9_S9_S9_S9_S9_S9_S9_S9_EEEEPSB_SM_NS0_5tupleIJNSE_INS8_ISJ_NS7_16discard_iteratorINS7_11use_defaultEEES9_S9_S9_S9_S9_S9_S9_S9_EEEESB_EEENSN_IJSM_SM_EEESB_PlJNSF_9not_fun_tINSF_14equal_to_valueISA_EEEEEEE10hipError_tPvRmT3_T4_T5_T6_T7_T9_mT8_P12ihipStream_tbDpT10_ENKUlT_T0_E_clISt17integral_constantIbLb0EES1I_IbLb1EEEEDaS1E_S1F_EUlS1E_E_NS1_11comp_targetILNS1_3genE0ELNS1_11target_archE4294967295ELNS1_3gpuE0ELNS1_3repE0EEENS1_30default_config_static_selectorELNS0_4arch9wavefront6targetE0EEEvT1_.num_vgpr, 0
	.set _ZN7rocprim17ROCPRIM_400000_NS6detail17trampoline_kernelINS0_14default_configENS1_25partition_config_selectorILNS1_17partition_subalgoE6EN6thrust23THRUST_200600_302600_NS5tupleIddNS7_9null_typeES9_S9_S9_S9_S9_S9_S9_EENS0_10empty_typeEbEEZZNS1_14partition_implILS5_6ELb0ES3_mNS7_12zip_iteratorINS8_INS7_6detail15normal_iteratorINS7_10device_ptrIdEEEESJ_S9_S9_S9_S9_S9_S9_S9_S9_EEEEPSB_SM_NS0_5tupleIJNSE_INS8_ISJ_NS7_16discard_iteratorINS7_11use_defaultEEES9_S9_S9_S9_S9_S9_S9_S9_EEEESB_EEENSN_IJSM_SM_EEESB_PlJNSF_9not_fun_tINSF_14equal_to_valueISA_EEEEEEE10hipError_tPvRmT3_T4_T5_T6_T7_T9_mT8_P12ihipStream_tbDpT10_ENKUlT_T0_E_clISt17integral_constantIbLb0EES1I_IbLb1EEEEDaS1E_S1F_EUlS1E_E_NS1_11comp_targetILNS1_3genE0ELNS1_11target_archE4294967295ELNS1_3gpuE0ELNS1_3repE0EEENS1_30default_config_static_selectorELNS0_4arch9wavefront6targetE0EEEvT1_.num_agpr, 0
	.set _ZN7rocprim17ROCPRIM_400000_NS6detail17trampoline_kernelINS0_14default_configENS1_25partition_config_selectorILNS1_17partition_subalgoE6EN6thrust23THRUST_200600_302600_NS5tupleIddNS7_9null_typeES9_S9_S9_S9_S9_S9_S9_EENS0_10empty_typeEbEEZZNS1_14partition_implILS5_6ELb0ES3_mNS7_12zip_iteratorINS8_INS7_6detail15normal_iteratorINS7_10device_ptrIdEEEESJ_S9_S9_S9_S9_S9_S9_S9_S9_EEEEPSB_SM_NS0_5tupleIJNSE_INS8_ISJ_NS7_16discard_iteratorINS7_11use_defaultEEES9_S9_S9_S9_S9_S9_S9_S9_EEEESB_EEENSN_IJSM_SM_EEESB_PlJNSF_9not_fun_tINSF_14equal_to_valueISA_EEEEEEE10hipError_tPvRmT3_T4_T5_T6_T7_T9_mT8_P12ihipStream_tbDpT10_ENKUlT_T0_E_clISt17integral_constantIbLb0EES1I_IbLb1EEEEDaS1E_S1F_EUlS1E_E_NS1_11comp_targetILNS1_3genE0ELNS1_11target_archE4294967295ELNS1_3gpuE0ELNS1_3repE0EEENS1_30default_config_static_selectorELNS0_4arch9wavefront6targetE0EEEvT1_.numbered_sgpr, 0
	.set _ZN7rocprim17ROCPRIM_400000_NS6detail17trampoline_kernelINS0_14default_configENS1_25partition_config_selectorILNS1_17partition_subalgoE6EN6thrust23THRUST_200600_302600_NS5tupleIddNS7_9null_typeES9_S9_S9_S9_S9_S9_S9_EENS0_10empty_typeEbEEZZNS1_14partition_implILS5_6ELb0ES3_mNS7_12zip_iteratorINS8_INS7_6detail15normal_iteratorINS7_10device_ptrIdEEEESJ_S9_S9_S9_S9_S9_S9_S9_S9_EEEEPSB_SM_NS0_5tupleIJNSE_INS8_ISJ_NS7_16discard_iteratorINS7_11use_defaultEEES9_S9_S9_S9_S9_S9_S9_S9_EEEESB_EEENSN_IJSM_SM_EEESB_PlJNSF_9not_fun_tINSF_14equal_to_valueISA_EEEEEEE10hipError_tPvRmT3_T4_T5_T6_T7_T9_mT8_P12ihipStream_tbDpT10_ENKUlT_T0_E_clISt17integral_constantIbLb0EES1I_IbLb1EEEEDaS1E_S1F_EUlS1E_E_NS1_11comp_targetILNS1_3genE0ELNS1_11target_archE4294967295ELNS1_3gpuE0ELNS1_3repE0EEENS1_30default_config_static_selectorELNS0_4arch9wavefront6targetE0EEEvT1_.num_named_barrier, 0
	.set _ZN7rocprim17ROCPRIM_400000_NS6detail17trampoline_kernelINS0_14default_configENS1_25partition_config_selectorILNS1_17partition_subalgoE6EN6thrust23THRUST_200600_302600_NS5tupleIddNS7_9null_typeES9_S9_S9_S9_S9_S9_S9_EENS0_10empty_typeEbEEZZNS1_14partition_implILS5_6ELb0ES3_mNS7_12zip_iteratorINS8_INS7_6detail15normal_iteratorINS7_10device_ptrIdEEEESJ_S9_S9_S9_S9_S9_S9_S9_S9_EEEEPSB_SM_NS0_5tupleIJNSE_INS8_ISJ_NS7_16discard_iteratorINS7_11use_defaultEEES9_S9_S9_S9_S9_S9_S9_S9_EEEESB_EEENSN_IJSM_SM_EEESB_PlJNSF_9not_fun_tINSF_14equal_to_valueISA_EEEEEEE10hipError_tPvRmT3_T4_T5_T6_T7_T9_mT8_P12ihipStream_tbDpT10_ENKUlT_T0_E_clISt17integral_constantIbLb0EES1I_IbLb1EEEEDaS1E_S1F_EUlS1E_E_NS1_11comp_targetILNS1_3genE0ELNS1_11target_archE4294967295ELNS1_3gpuE0ELNS1_3repE0EEENS1_30default_config_static_selectorELNS0_4arch9wavefront6targetE0EEEvT1_.private_seg_size, 0
	.set _ZN7rocprim17ROCPRIM_400000_NS6detail17trampoline_kernelINS0_14default_configENS1_25partition_config_selectorILNS1_17partition_subalgoE6EN6thrust23THRUST_200600_302600_NS5tupleIddNS7_9null_typeES9_S9_S9_S9_S9_S9_S9_EENS0_10empty_typeEbEEZZNS1_14partition_implILS5_6ELb0ES3_mNS7_12zip_iteratorINS8_INS7_6detail15normal_iteratorINS7_10device_ptrIdEEEESJ_S9_S9_S9_S9_S9_S9_S9_S9_EEEEPSB_SM_NS0_5tupleIJNSE_INS8_ISJ_NS7_16discard_iteratorINS7_11use_defaultEEES9_S9_S9_S9_S9_S9_S9_S9_EEEESB_EEENSN_IJSM_SM_EEESB_PlJNSF_9not_fun_tINSF_14equal_to_valueISA_EEEEEEE10hipError_tPvRmT3_T4_T5_T6_T7_T9_mT8_P12ihipStream_tbDpT10_ENKUlT_T0_E_clISt17integral_constantIbLb0EES1I_IbLb1EEEEDaS1E_S1F_EUlS1E_E_NS1_11comp_targetILNS1_3genE0ELNS1_11target_archE4294967295ELNS1_3gpuE0ELNS1_3repE0EEENS1_30default_config_static_selectorELNS0_4arch9wavefront6targetE0EEEvT1_.uses_vcc, 0
	.set _ZN7rocprim17ROCPRIM_400000_NS6detail17trampoline_kernelINS0_14default_configENS1_25partition_config_selectorILNS1_17partition_subalgoE6EN6thrust23THRUST_200600_302600_NS5tupleIddNS7_9null_typeES9_S9_S9_S9_S9_S9_S9_EENS0_10empty_typeEbEEZZNS1_14partition_implILS5_6ELb0ES3_mNS7_12zip_iteratorINS8_INS7_6detail15normal_iteratorINS7_10device_ptrIdEEEESJ_S9_S9_S9_S9_S9_S9_S9_S9_EEEEPSB_SM_NS0_5tupleIJNSE_INS8_ISJ_NS7_16discard_iteratorINS7_11use_defaultEEES9_S9_S9_S9_S9_S9_S9_S9_EEEESB_EEENSN_IJSM_SM_EEESB_PlJNSF_9not_fun_tINSF_14equal_to_valueISA_EEEEEEE10hipError_tPvRmT3_T4_T5_T6_T7_T9_mT8_P12ihipStream_tbDpT10_ENKUlT_T0_E_clISt17integral_constantIbLb0EES1I_IbLb1EEEEDaS1E_S1F_EUlS1E_E_NS1_11comp_targetILNS1_3genE0ELNS1_11target_archE4294967295ELNS1_3gpuE0ELNS1_3repE0EEENS1_30default_config_static_selectorELNS0_4arch9wavefront6targetE0EEEvT1_.uses_flat_scratch, 0
	.set _ZN7rocprim17ROCPRIM_400000_NS6detail17trampoline_kernelINS0_14default_configENS1_25partition_config_selectorILNS1_17partition_subalgoE6EN6thrust23THRUST_200600_302600_NS5tupleIddNS7_9null_typeES9_S9_S9_S9_S9_S9_S9_EENS0_10empty_typeEbEEZZNS1_14partition_implILS5_6ELb0ES3_mNS7_12zip_iteratorINS8_INS7_6detail15normal_iteratorINS7_10device_ptrIdEEEESJ_S9_S9_S9_S9_S9_S9_S9_S9_EEEEPSB_SM_NS0_5tupleIJNSE_INS8_ISJ_NS7_16discard_iteratorINS7_11use_defaultEEES9_S9_S9_S9_S9_S9_S9_S9_EEEESB_EEENSN_IJSM_SM_EEESB_PlJNSF_9not_fun_tINSF_14equal_to_valueISA_EEEEEEE10hipError_tPvRmT3_T4_T5_T6_T7_T9_mT8_P12ihipStream_tbDpT10_ENKUlT_T0_E_clISt17integral_constantIbLb0EES1I_IbLb1EEEEDaS1E_S1F_EUlS1E_E_NS1_11comp_targetILNS1_3genE0ELNS1_11target_archE4294967295ELNS1_3gpuE0ELNS1_3repE0EEENS1_30default_config_static_selectorELNS0_4arch9wavefront6targetE0EEEvT1_.has_dyn_sized_stack, 0
	.set _ZN7rocprim17ROCPRIM_400000_NS6detail17trampoline_kernelINS0_14default_configENS1_25partition_config_selectorILNS1_17partition_subalgoE6EN6thrust23THRUST_200600_302600_NS5tupleIddNS7_9null_typeES9_S9_S9_S9_S9_S9_S9_EENS0_10empty_typeEbEEZZNS1_14partition_implILS5_6ELb0ES3_mNS7_12zip_iteratorINS8_INS7_6detail15normal_iteratorINS7_10device_ptrIdEEEESJ_S9_S9_S9_S9_S9_S9_S9_S9_EEEEPSB_SM_NS0_5tupleIJNSE_INS8_ISJ_NS7_16discard_iteratorINS7_11use_defaultEEES9_S9_S9_S9_S9_S9_S9_S9_EEEESB_EEENSN_IJSM_SM_EEESB_PlJNSF_9not_fun_tINSF_14equal_to_valueISA_EEEEEEE10hipError_tPvRmT3_T4_T5_T6_T7_T9_mT8_P12ihipStream_tbDpT10_ENKUlT_T0_E_clISt17integral_constantIbLb0EES1I_IbLb1EEEEDaS1E_S1F_EUlS1E_E_NS1_11comp_targetILNS1_3genE0ELNS1_11target_archE4294967295ELNS1_3gpuE0ELNS1_3repE0EEENS1_30default_config_static_selectorELNS0_4arch9wavefront6targetE0EEEvT1_.has_recursion, 0
	.set _ZN7rocprim17ROCPRIM_400000_NS6detail17trampoline_kernelINS0_14default_configENS1_25partition_config_selectorILNS1_17partition_subalgoE6EN6thrust23THRUST_200600_302600_NS5tupleIddNS7_9null_typeES9_S9_S9_S9_S9_S9_S9_EENS0_10empty_typeEbEEZZNS1_14partition_implILS5_6ELb0ES3_mNS7_12zip_iteratorINS8_INS7_6detail15normal_iteratorINS7_10device_ptrIdEEEESJ_S9_S9_S9_S9_S9_S9_S9_S9_EEEEPSB_SM_NS0_5tupleIJNSE_INS8_ISJ_NS7_16discard_iteratorINS7_11use_defaultEEES9_S9_S9_S9_S9_S9_S9_S9_EEEESB_EEENSN_IJSM_SM_EEESB_PlJNSF_9not_fun_tINSF_14equal_to_valueISA_EEEEEEE10hipError_tPvRmT3_T4_T5_T6_T7_T9_mT8_P12ihipStream_tbDpT10_ENKUlT_T0_E_clISt17integral_constantIbLb0EES1I_IbLb1EEEEDaS1E_S1F_EUlS1E_E_NS1_11comp_targetILNS1_3genE0ELNS1_11target_archE4294967295ELNS1_3gpuE0ELNS1_3repE0EEENS1_30default_config_static_selectorELNS0_4arch9wavefront6targetE0EEEvT1_.has_indirect_call, 0
	.section	.AMDGPU.csdata,"",@progbits
; Kernel info:
; codeLenInByte = 0
; TotalNumSgprs: 0
; NumVgprs: 0
; ScratchSize: 0
; MemoryBound: 0
; FloatMode: 240
; IeeeMode: 1
; LDSByteSize: 0 bytes/workgroup (compile time only)
; SGPRBlocks: 0
; VGPRBlocks: 0
; NumSGPRsForWavesPerEU: 1
; NumVGPRsForWavesPerEU: 1
; Occupancy: 16
; WaveLimiterHint : 0
; COMPUTE_PGM_RSRC2:SCRATCH_EN: 0
; COMPUTE_PGM_RSRC2:USER_SGPR: 2
; COMPUTE_PGM_RSRC2:TRAP_HANDLER: 0
; COMPUTE_PGM_RSRC2:TGID_X_EN: 1
; COMPUTE_PGM_RSRC2:TGID_Y_EN: 0
; COMPUTE_PGM_RSRC2:TGID_Z_EN: 0
; COMPUTE_PGM_RSRC2:TIDIG_COMP_CNT: 0
	.section	.text._ZN7rocprim17ROCPRIM_400000_NS6detail17trampoline_kernelINS0_14default_configENS1_25partition_config_selectorILNS1_17partition_subalgoE6EN6thrust23THRUST_200600_302600_NS5tupleIddNS7_9null_typeES9_S9_S9_S9_S9_S9_S9_EENS0_10empty_typeEbEEZZNS1_14partition_implILS5_6ELb0ES3_mNS7_12zip_iteratorINS8_INS7_6detail15normal_iteratorINS7_10device_ptrIdEEEESJ_S9_S9_S9_S9_S9_S9_S9_S9_EEEEPSB_SM_NS0_5tupleIJNSE_INS8_ISJ_NS7_16discard_iteratorINS7_11use_defaultEEES9_S9_S9_S9_S9_S9_S9_S9_EEEESB_EEENSN_IJSM_SM_EEESB_PlJNSF_9not_fun_tINSF_14equal_to_valueISA_EEEEEEE10hipError_tPvRmT3_T4_T5_T6_T7_T9_mT8_P12ihipStream_tbDpT10_ENKUlT_T0_E_clISt17integral_constantIbLb0EES1I_IbLb1EEEEDaS1E_S1F_EUlS1E_E_NS1_11comp_targetILNS1_3genE5ELNS1_11target_archE942ELNS1_3gpuE9ELNS1_3repE0EEENS1_30default_config_static_selectorELNS0_4arch9wavefront6targetE0EEEvT1_,"axG",@progbits,_ZN7rocprim17ROCPRIM_400000_NS6detail17trampoline_kernelINS0_14default_configENS1_25partition_config_selectorILNS1_17partition_subalgoE6EN6thrust23THRUST_200600_302600_NS5tupleIddNS7_9null_typeES9_S9_S9_S9_S9_S9_S9_EENS0_10empty_typeEbEEZZNS1_14partition_implILS5_6ELb0ES3_mNS7_12zip_iteratorINS8_INS7_6detail15normal_iteratorINS7_10device_ptrIdEEEESJ_S9_S9_S9_S9_S9_S9_S9_S9_EEEEPSB_SM_NS0_5tupleIJNSE_INS8_ISJ_NS7_16discard_iteratorINS7_11use_defaultEEES9_S9_S9_S9_S9_S9_S9_S9_EEEESB_EEENSN_IJSM_SM_EEESB_PlJNSF_9not_fun_tINSF_14equal_to_valueISA_EEEEEEE10hipError_tPvRmT3_T4_T5_T6_T7_T9_mT8_P12ihipStream_tbDpT10_ENKUlT_T0_E_clISt17integral_constantIbLb0EES1I_IbLb1EEEEDaS1E_S1F_EUlS1E_E_NS1_11comp_targetILNS1_3genE5ELNS1_11target_archE942ELNS1_3gpuE9ELNS1_3repE0EEENS1_30default_config_static_selectorELNS0_4arch9wavefront6targetE0EEEvT1_,comdat
	.protected	_ZN7rocprim17ROCPRIM_400000_NS6detail17trampoline_kernelINS0_14default_configENS1_25partition_config_selectorILNS1_17partition_subalgoE6EN6thrust23THRUST_200600_302600_NS5tupleIddNS7_9null_typeES9_S9_S9_S9_S9_S9_S9_EENS0_10empty_typeEbEEZZNS1_14partition_implILS5_6ELb0ES3_mNS7_12zip_iteratorINS8_INS7_6detail15normal_iteratorINS7_10device_ptrIdEEEESJ_S9_S9_S9_S9_S9_S9_S9_S9_EEEEPSB_SM_NS0_5tupleIJNSE_INS8_ISJ_NS7_16discard_iteratorINS7_11use_defaultEEES9_S9_S9_S9_S9_S9_S9_S9_EEEESB_EEENSN_IJSM_SM_EEESB_PlJNSF_9not_fun_tINSF_14equal_to_valueISA_EEEEEEE10hipError_tPvRmT3_T4_T5_T6_T7_T9_mT8_P12ihipStream_tbDpT10_ENKUlT_T0_E_clISt17integral_constantIbLb0EES1I_IbLb1EEEEDaS1E_S1F_EUlS1E_E_NS1_11comp_targetILNS1_3genE5ELNS1_11target_archE942ELNS1_3gpuE9ELNS1_3repE0EEENS1_30default_config_static_selectorELNS0_4arch9wavefront6targetE0EEEvT1_ ; -- Begin function _ZN7rocprim17ROCPRIM_400000_NS6detail17trampoline_kernelINS0_14default_configENS1_25partition_config_selectorILNS1_17partition_subalgoE6EN6thrust23THRUST_200600_302600_NS5tupleIddNS7_9null_typeES9_S9_S9_S9_S9_S9_S9_EENS0_10empty_typeEbEEZZNS1_14partition_implILS5_6ELb0ES3_mNS7_12zip_iteratorINS8_INS7_6detail15normal_iteratorINS7_10device_ptrIdEEEESJ_S9_S9_S9_S9_S9_S9_S9_S9_EEEEPSB_SM_NS0_5tupleIJNSE_INS8_ISJ_NS7_16discard_iteratorINS7_11use_defaultEEES9_S9_S9_S9_S9_S9_S9_S9_EEEESB_EEENSN_IJSM_SM_EEESB_PlJNSF_9not_fun_tINSF_14equal_to_valueISA_EEEEEEE10hipError_tPvRmT3_T4_T5_T6_T7_T9_mT8_P12ihipStream_tbDpT10_ENKUlT_T0_E_clISt17integral_constantIbLb0EES1I_IbLb1EEEEDaS1E_S1F_EUlS1E_E_NS1_11comp_targetILNS1_3genE5ELNS1_11target_archE942ELNS1_3gpuE9ELNS1_3repE0EEENS1_30default_config_static_selectorELNS0_4arch9wavefront6targetE0EEEvT1_
	.globl	_ZN7rocprim17ROCPRIM_400000_NS6detail17trampoline_kernelINS0_14default_configENS1_25partition_config_selectorILNS1_17partition_subalgoE6EN6thrust23THRUST_200600_302600_NS5tupleIddNS7_9null_typeES9_S9_S9_S9_S9_S9_S9_EENS0_10empty_typeEbEEZZNS1_14partition_implILS5_6ELb0ES3_mNS7_12zip_iteratorINS8_INS7_6detail15normal_iteratorINS7_10device_ptrIdEEEESJ_S9_S9_S9_S9_S9_S9_S9_S9_EEEEPSB_SM_NS0_5tupleIJNSE_INS8_ISJ_NS7_16discard_iteratorINS7_11use_defaultEEES9_S9_S9_S9_S9_S9_S9_S9_EEEESB_EEENSN_IJSM_SM_EEESB_PlJNSF_9not_fun_tINSF_14equal_to_valueISA_EEEEEEE10hipError_tPvRmT3_T4_T5_T6_T7_T9_mT8_P12ihipStream_tbDpT10_ENKUlT_T0_E_clISt17integral_constantIbLb0EES1I_IbLb1EEEEDaS1E_S1F_EUlS1E_E_NS1_11comp_targetILNS1_3genE5ELNS1_11target_archE942ELNS1_3gpuE9ELNS1_3repE0EEENS1_30default_config_static_selectorELNS0_4arch9wavefront6targetE0EEEvT1_
	.p2align	8
	.type	_ZN7rocprim17ROCPRIM_400000_NS6detail17trampoline_kernelINS0_14default_configENS1_25partition_config_selectorILNS1_17partition_subalgoE6EN6thrust23THRUST_200600_302600_NS5tupleIddNS7_9null_typeES9_S9_S9_S9_S9_S9_S9_EENS0_10empty_typeEbEEZZNS1_14partition_implILS5_6ELb0ES3_mNS7_12zip_iteratorINS8_INS7_6detail15normal_iteratorINS7_10device_ptrIdEEEESJ_S9_S9_S9_S9_S9_S9_S9_S9_EEEEPSB_SM_NS0_5tupleIJNSE_INS8_ISJ_NS7_16discard_iteratorINS7_11use_defaultEEES9_S9_S9_S9_S9_S9_S9_S9_EEEESB_EEENSN_IJSM_SM_EEESB_PlJNSF_9not_fun_tINSF_14equal_to_valueISA_EEEEEEE10hipError_tPvRmT3_T4_T5_T6_T7_T9_mT8_P12ihipStream_tbDpT10_ENKUlT_T0_E_clISt17integral_constantIbLb0EES1I_IbLb1EEEEDaS1E_S1F_EUlS1E_E_NS1_11comp_targetILNS1_3genE5ELNS1_11target_archE942ELNS1_3gpuE9ELNS1_3repE0EEENS1_30default_config_static_selectorELNS0_4arch9wavefront6targetE0EEEvT1_,@function
_ZN7rocprim17ROCPRIM_400000_NS6detail17trampoline_kernelINS0_14default_configENS1_25partition_config_selectorILNS1_17partition_subalgoE6EN6thrust23THRUST_200600_302600_NS5tupleIddNS7_9null_typeES9_S9_S9_S9_S9_S9_S9_EENS0_10empty_typeEbEEZZNS1_14partition_implILS5_6ELb0ES3_mNS7_12zip_iteratorINS8_INS7_6detail15normal_iteratorINS7_10device_ptrIdEEEESJ_S9_S9_S9_S9_S9_S9_S9_S9_EEEEPSB_SM_NS0_5tupleIJNSE_INS8_ISJ_NS7_16discard_iteratorINS7_11use_defaultEEES9_S9_S9_S9_S9_S9_S9_S9_EEEESB_EEENSN_IJSM_SM_EEESB_PlJNSF_9not_fun_tINSF_14equal_to_valueISA_EEEEEEE10hipError_tPvRmT3_T4_T5_T6_T7_T9_mT8_P12ihipStream_tbDpT10_ENKUlT_T0_E_clISt17integral_constantIbLb0EES1I_IbLb1EEEEDaS1E_S1F_EUlS1E_E_NS1_11comp_targetILNS1_3genE5ELNS1_11target_archE942ELNS1_3gpuE9ELNS1_3repE0EEENS1_30default_config_static_selectorELNS0_4arch9wavefront6targetE0EEEvT1_: ; @_ZN7rocprim17ROCPRIM_400000_NS6detail17trampoline_kernelINS0_14default_configENS1_25partition_config_selectorILNS1_17partition_subalgoE6EN6thrust23THRUST_200600_302600_NS5tupleIddNS7_9null_typeES9_S9_S9_S9_S9_S9_S9_EENS0_10empty_typeEbEEZZNS1_14partition_implILS5_6ELb0ES3_mNS7_12zip_iteratorINS8_INS7_6detail15normal_iteratorINS7_10device_ptrIdEEEESJ_S9_S9_S9_S9_S9_S9_S9_S9_EEEEPSB_SM_NS0_5tupleIJNSE_INS8_ISJ_NS7_16discard_iteratorINS7_11use_defaultEEES9_S9_S9_S9_S9_S9_S9_S9_EEEESB_EEENSN_IJSM_SM_EEESB_PlJNSF_9not_fun_tINSF_14equal_to_valueISA_EEEEEEE10hipError_tPvRmT3_T4_T5_T6_T7_T9_mT8_P12ihipStream_tbDpT10_ENKUlT_T0_E_clISt17integral_constantIbLb0EES1I_IbLb1EEEEDaS1E_S1F_EUlS1E_E_NS1_11comp_targetILNS1_3genE5ELNS1_11target_archE942ELNS1_3gpuE9ELNS1_3repE0EEENS1_30default_config_static_selectorELNS0_4arch9wavefront6targetE0EEEvT1_
; %bb.0:
	.section	.rodata,"a",@progbits
	.p2align	6, 0x0
	.amdhsa_kernel _ZN7rocprim17ROCPRIM_400000_NS6detail17trampoline_kernelINS0_14default_configENS1_25partition_config_selectorILNS1_17partition_subalgoE6EN6thrust23THRUST_200600_302600_NS5tupleIddNS7_9null_typeES9_S9_S9_S9_S9_S9_S9_EENS0_10empty_typeEbEEZZNS1_14partition_implILS5_6ELb0ES3_mNS7_12zip_iteratorINS8_INS7_6detail15normal_iteratorINS7_10device_ptrIdEEEESJ_S9_S9_S9_S9_S9_S9_S9_S9_EEEEPSB_SM_NS0_5tupleIJNSE_INS8_ISJ_NS7_16discard_iteratorINS7_11use_defaultEEES9_S9_S9_S9_S9_S9_S9_S9_EEEESB_EEENSN_IJSM_SM_EEESB_PlJNSF_9not_fun_tINSF_14equal_to_valueISA_EEEEEEE10hipError_tPvRmT3_T4_T5_T6_T7_T9_mT8_P12ihipStream_tbDpT10_ENKUlT_T0_E_clISt17integral_constantIbLb0EES1I_IbLb1EEEEDaS1E_S1F_EUlS1E_E_NS1_11comp_targetILNS1_3genE5ELNS1_11target_archE942ELNS1_3gpuE9ELNS1_3repE0EEENS1_30default_config_static_selectorELNS0_4arch9wavefront6targetE0EEEvT1_
		.amdhsa_group_segment_fixed_size 0
		.amdhsa_private_segment_fixed_size 0
		.amdhsa_kernarg_size 160
		.amdhsa_user_sgpr_count 2
		.amdhsa_user_sgpr_dispatch_ptr 0
		.amdhsa_user_sgpr_queue_ptr 0
		.amdhsa_user_sgpr_kernarg_segment_ptr 1
		.amdhsa_user_sgpr_dispatch_id 0
		.amdhsa_user_sgpr_private_segment_size 0
		.amdhsa_wavefront_size32 1
		.amdhsa_uses_dynamic_stack 0
		.amdhsa_enable_private_segment 0
		.amdhsa_system_sgpr_workgroup_id_x 1
		.amdhsa_system_sgpr_workgroup_id_y 0
		.amdhsa_system_sgpr_workgroup_id_z 0
		.amdhsa_system_sgpr_workgroup_info 0
		.amdhsa_system_vgpr_workitem_id 0
		.amdhsa_next_free_vgpr 1
		.amdhsa_next_free_sgpr 1
		.amdhsa_reserve_vcc 0
		.amdhsa_float_round_mode_32 0
		.amdhsa_float_round_mode_16_64 0
		.amdhsa_float_denorm_mode_32 3
		.amdhsa_float_denorm_mode_16_64 3
		.amdhsa_fp16_overflow 0
		.amdhsa_workgroup_processor_mode 1
		.amdhsa_memory_ordered 1
		.amdhsa_forward_progress 1
		.amdhsa_inst_pref_size 0
		.amdhsa_round_robin_scheduling 0
		.amdhsa_exception_fp_ieee_invalid_op 0
		.amdhsa_exception_fp_denorm_src 0
		.amdhsa_exception_fp_ieee_div_zero 0
		.amdhsa_exception_fp_ieee_overflow 0
		.amdhsa_exception_fp_ieee_underflow 0
		.amdhsa_exception_fp_ieee_inexact 0
		.amdhsa_exception_int_div_zero 0
	.end_amdhsa_kernel
	.section	.text._ZN7rocprim17ROCPRIM_400000_NS6detail17trampoline_kernelINS0_14default_configENS1_25partition_config_selectorILNS1_17partition_subalgoE6EN6thrust23THRUST_200600_302600_NS5tupleIddNS7_9null_typeES9_S9_S9_S9_S9_S9_S9_EENS0_10empty_typeEbEEZZNS1_14partition_implILS5_6ELb0ES3_mNS7_12zip_iteratorINS8_INS7_6detail15normal_iteratorINS7_10device_ptrIdEEEESJ_S9_S9_S9_S9_S9_S9_S9_S9_EEEEPSB_SM_NS0_5tupleIJNSE_INS8_ISJ_NS7_16discard_iteratorINS7_11use_defaultEEES9_S9_S9_S9_S9_S9_S9_S9_EEEESB_EEENSN_IJSM_SM_EEESB_PlJNSF_9not_fun_tINSF_14equal_to_valueISA_EEEEEEE10hipError_tPvRmT3_T4_T5_T6_T7_T9_mT8_P12ihipStream_tbDpT10_ENKUlT_T0_E_clISt17integral_constantIbLb0EES1I_IbLb1EEEEDaS1E_S1F_EUlS1E_E_NS1_11comp_targetILNS1_3genE5ELNS1_11target_archE942ELNS1_3gpuE9ELNS1_3repE0EEENS1_30default_config_static_selectorELNS0_4arch9wavefront6targetE0EEEvT1_,"axG",@progbits,_ZN7rocprim17ROCPRIM_400000_NS6detail17trampoline_kernelINS0_14default_configENS1_25partition_config_selectorILNS1_17partition_subalgoE6EN6thrust23THRUST_200600_302600_NS5tupleIddNS7_9null_typeES9_S9_S9_S9_S9_S9_S9_EENS0_10empty_typeEbEEZZNS1_14partition_implILS5_6ELb0ES3_mNS7_12zip_iteratorINS8_INS7_6detail15normal_iteratorINS7_10device_ptrIdEEEESJ_S9_S9_S9_S9_S9_S9_S9_S9_EEEEPSB_SM_NS0_5tupleIJNSE_INS8_ISJ_NS7_16discard_iteratorINS7_11use_defaultEEES9_S9_S9_S9_S9_S9_S9_S9_EEEESB_EEENSN_IJSM_SM_EEESB_PlJNSF_9not_fun_tINSF_14equal_to_valueISA_EEEEEEE10hipError_tPvRmT3_T4_T5_T6_T7_T9_mT8_P12ihipStream_tbDpT10_ENKUlT_T0_E_clISt17integral_constantIbLb0EES1I_IbLb1EEEEDaS1E_S1F_EUlS1E_E_NS1_11comp_targetILNS1_3genE5ELNS1_11target_archE942ELNS1_3gpuE9ELNS1_3repE0EEENS1_30default_config_static_selectorELNS0_4arch9wavefront6targetE0EEEvT1_,comdat
.Lfunc_end1846:
	.size	_ZN7rocprim17ROCPRIM_400000_NS6detail17trampoline_kernelINS0_14default_configENS1_25partition_config_selectorILNS1_17partition_subalgoE6EN6thrust23THRUST_200600_302600_NS5tupleIddNS7_9null_typeES9_S9_S9_S9_S9_S9_S9_EENS0_10empty_typeEbEEZZNS1_14partition_implILS5_6ELb0ES3_mNS7_12zip_iteratorINS8_INS7_6detail15normal_iteratorINS7_10device_ptrIdEEEESJ_S9_S9_S9_S9_S9_S9_S9_S9_EEEEPSB_SM_NS0_5tupleIJNSE_INS8_ISJ_NS7_16discard_iteratorINS7_11use_defaultEEES9_S9_S9_S9_S9_S9_S9_S9_EEEESB_EEENSN_IJSM_SM_EEESB_PlJNSF_9not_fun_tINSF_14equal_to_valueISA_EEEEEEE10hipError_tPvRmT3_T4_T5_T6_T7_T9_mT8_P12ihipStream_tbDpT10_ENKUlT_T0_E_clISt17integral_constantIbLb0EES1I_IbLb1EEEEDaS1E_S1F_EUlS1E_E_NS1_11comp_targetILNS1_3genE5ELNS1_11target_archE942ELNS1_3gpuE9ELNS1_3repE0EEENS1_30default_config_static_selectorELNS0_4arch9wavefront6targetE0EEEvT1_, .Lfunc_end1846-_ZN7rocprim17ROCPRIM_400000_NS6detail17trampoline_kernelINS0_14default_configENS1_25partition_config_selectorILNS1_17partition_subalgoE6EN6thrust23THRUST_200600_302600_NS5tupleIddNS7_9null_typeES9_S9_S9_S9_S9_S9_S9_EENS0_10empty_typeEbEEZZNS1_14partition_implILS5_6ELb0ES3_mNS7_12zip_iteratorINS8_INS7_6detail15normal_iteratorINS7_10device_ptrIdEEEESJ_S9_S9_S9_S9_S9_S9_S9_S9_EEEEPSB_SM_NS0_5tupleIJNSE_INS8_ISJ_NS7_16discard_iteratorINS7_11use_defaultEEES9_S9_S9_S9_S9_S9_S9_S9_EEEESB_EEENSN_IJSM_SM_EEESB_PlJNSF_9not_fun_tINSF_14equal_to_valueISA_EEEEEEE10hipError_tPvRmT3_T4_T5_T6_T7_T9_mT8_P12ihipStream_tbDpT10_ENKUlT_T0_E_clISt17integral_constantIbLb0EES1I_IbLb1EEEEDaS1E_S1F_EUlS1E_E_NS1_11comp_targetILNS1_3genE5ELNS1_11target_archE942ELNS1_3gpuE9ELNS1_3repE0EEENS1_30default_config_static_selectorELNS0_4arch9wavefront6targetE0EEEvT1_
                                        ; -- End function
	.set _ZN7rocprim17ROCPRIM_400000_NS6detail17trampoline_kernelINS0_14default_configENS1_25partition_config_selectorILNS1_17partition_subalgoE6EN6thrust23THRUST_200600_302600_NS5tupleIddNS7_9null_typeES9_S9_S9_S9_S9_S9_S9_EENS0_10empty_typeEbEEZZNS1_14partition_implILS5_6ELb0ES3_mNS7_12zip_iteratorINS8_INS7_6detail15normal_iteratorINS7_10device_ptrIdEEEESJ_S9_S9_S9_S9_S9_S9_S9_S9_EEEEPSB_SM_NS0_5tupleIJNSE_INS8_ISJ_NS7_16discard_iteratorINS7_11use_defaultEEES9_S9_S9_S9_S9_S9_S9_S9_EEEESB_EEENSN_IJSM_SM_EEESB_PlJNSF_9not_fun_tINSF_14equal_to_valueISA_EEEEEEE10hipError_tPvRmT3_T4_T5_T6_T7_T9_mT8_P12ihipStream_tbDpT10_ENKUlT_T0_E_clISt17integral_constantIbLb0EES1I_IbLb1EEEEDaS1E_S1F_EUlS1E_E_NS1_11comp_targetILNS1_3genE5ELNS1_11target_archE942ELNS1_3gpuE9ELNS1_3repE0EEENS1_30default_config_static_selectorELNS0_4arch9wavefront6targetE0EEEvT1_.num_vgpr, 0
	.set _ZN7rocprim17ROCPRIM_400000_NS6detail17trampoline_kernelINS0_14default_configENS1_25partition_config_selectorILNS1_17partition_subalgoE6EN6thrust23THRUST_200600_302600_NS5tupleIddNS7_9null_typeES9_S9_S9_S9_S9_S9_S9_EENS0_10empty_typeEbEEZZNS1_14partition_implILS5_6ELb0ES3_mNS7_12zip_iteratorINS8_INS7_6detail15normal_iteratorINS7_10device_ptrIdEEEESJ_S9_S9_S9_S9_S9_S9_S9_S9_EEEEPSB_SM_NS0_5tupleIJNSE_INS8_ISJ_NS7_16discard_iteratorINS7_11use_defaultEEES9_S9_S9_S9_S9_S9_S9_S9_EEEESB_EEENSN_IJSM_SM_EEESB_PlJNSF_9not_fun_tINSF_14equal_to_valueISA_EEEEEEE10hipError_tPvRmT3_T4_T5_T6_T7_T9_mT8_P12ihipStream_tbDpT10_ENKUlT_T0_E_clISt17integral_constantIbLb0EES1I_IbLb1EEEEDaS1E_S1F_EUlS1E_E_NS1_11comp_targetILNS1_3genE5ELNS1_11target_archE942ELNS1_3gpuE9ELNS1_3repE0EEENS1_30default_config_static_selectorELNS0_4arch9wavefront6targetE0EEEvT1_.num_agpr, 0
	.set _ZN7rocprim17ROCPRIM_400000_NS6detail17trampoline_kernelINS0_14default_configENS1_25partition_config_selectorILNS1_17partition_subalgoE6EN6thrust23THRUST_200600_302600_NS5tupleIddNS7_9null_typeES9_S9_S9_S9_S9_S9_S9_EENS0_10empty_typeEbEEZZNS1_14partition_implILS5_6ELb0ES3_mNS7_12zip_iteratorINS8_INS7_6detail15normal_iteratorINS7_10device_ptrIdEEEESJ_S9_S9_S9_S9_S9_S9_S9_S9_EEEEPSB_SM_NS0_5tupleIJNSE_INS8_ISJ_NS7_16discard_iteratorINS7_11use_defaultEEES9_S9_S9_S9_S9_S9_S9_S9_EEEESB_EEENSN_IJSM_SM_EEESB_PlJNSF_9not_fun_tINSF_14equal_to_valueISA_EEEEEEE10hipError_tPvRmT3_T4_T5_T6_T7_T9_mT8_P12ihipStream_tbDpT10_ENKUlT_T0_E_clISt17integral_constantIbLb0EES1I_IbLb1EEEEDaS1E_S1F_EUlS1E_E_NS1_11comp_targetILNS1_3genE5ELNS1_11target_archE942ELNS1_3gpuE9ELNS1_3repE0EEENS1_30default_config_static_selectorELNS0_4arch9wavefront6targetE0EEEvT1_.numbered_sgpr, 0
	.set _ZN7rocprim17ROCPRIM_400000_NS6detail17trampoline_kernelINS0_14default_configENS1_25partition_config_selectorILNS1_17partition_subalgoE6EN6thrust23THRUST_200600_302600_NS5tupleIddNS7_9null_typeES9_S9_S9_S9_S9_S9_S9_EENS0_10empty_typeEbEEZZNS1_14partition_implILS5_6ELb0ES3_mNS7_12zip_iteratorINS8_INS7_6detail15normal_iteratorINS7_10device_ptrIdEEEESJ_S9_S9_S9_S9_S9_S9_S9_S9_EEEEPSB_SM_NS0_5tupleIJNSE_INS8_ISJ_NS7_16discard_iteratorINS7_11use_defaultEEES9_S9_S9_S9_S9_S9_S9_S9_EEEESB_EEENSN_IJSM_SM_EEESB_PlJNSF_9not_fun_tINSF_14equal_to_valueISA_EEEEEEE10hipError_tPvRmT3_T4_T5_T6_T7_T9_mT8_P12ihipStream_tbDpT10_ENKUlT_T0_E_clISt17integral_constantIbLb0EES1I_IbLb1EEEEDaS1E_S1F_EUlS1E_E_NS1_11comp_targetILNS1_3genE5ELNS1_11target_archE942ELNS1_3gpuE9ELNS1_3repE0EEENS1_30default_config_static_selectorELNS0_4arch9wavefront6targetE0EEEvT1_.num_named_barrier, 0
	.set _ZN7rocprim17ROCPRIM_400000_NS6detail17trampoline_kernelINS0_14default_configENS1_25partition_config_selectorILNS1_17partition_subalgoE6EN6thrust23THRUST_200600_302600_NS5tupleIddNS7_9null_typeES9_S9_S9_S9_S9_S9_S9_EENS0_10empty_typeEbEEZZNS1_14partition_implILS5_6ELb0ES3_mNS7_12zip_iteratorINS8_INS7_6detail15normal_iteratorINS7_10device_ptrIdEEEESJ_S9_S9_S9_S9_S9_S9_S9_S9_EEEEPSB_SM_NS0_5tupleIJNSE_INS8_ISJ_NS7_16discard_iteratorINS7_11use_defaultEEES9_S9_S9_S9_S9_S9_S9_S9_EEEESB_EEENSN_IJSM_SM_EEESB_PlJNSF_9not_fun_tINSF_14equal_to_valueISA_EEEEEEE10hipError_tPvRmT3_T4_T5_T6_T7_T9_mT8_P12ihipStream_tbDpT10_ENKUlT_T0_E_clISt17integral_constantIbLb0EES1I_IbLb1EEEEDaS1E_S1F_EUlS1E_E_NS1_11comp_targetILNS1_3genE5ELNS1_11target_archE942ELNS1_3gpuE9ELNS1_3repE0EEENS1_30default_config_static_selectorELNS0_4arch9wavefront6targetE0EEEvT1_.private_seg_size, 0
	.set _ZN7rocprim17ROCPRIM_400000_NS6detail17trampoline_kernelINS0_14default_configENS1_25partition_config_selectorILNS1_17partition_subalgoE6EN6thrust23THRUST_200600_302600_NS5tupleIddNS7_9null_typeES9_S9_S9_S9_S9_S9_S9_EENS0_10empty_typeEbEEZZNS1_14partition_implILS5_6ELb0ES3_mNS7_12zip_iteratorINS8_INS7_6detail15normal_iteratorINS7_10device_ptrIdEEEESJ_S9_S9_S9_S9_S9_S9_S9_S9_EEEEPSB_SM_NS0_5tupleIJNSE_INS8_ISJ_NS7_16discard_iteratorINS7_11use_defaultEEES9_S9_S9_S9_S9_S9_S9_S9_EEEESB_EEENSN_IJSM_SM_EEESB_PlJNSF_9not_fun_tINSF_14equal_to_valueISA_EEEEEEE10hipError_tPvRmT3_T4_T5_T6_T7_T9_mT8_P12ihipStream_tbDpT10_ENKUlT_T0_E_clISt17integral_constantIbLb0EES1I_IbLb1EEEEDaS1E_S1F_EUlS1E_E_NS1_11comp_targetILNS1_3genE5ELNS1_11target_archE942ELNS1_3gpuE9ELNS1_3repE0EEENS1_30default_config_static_selectorELNS0_4arch9wavefront6targetE0EEEvT1_.uses_vcc, 0
	.set _ZN7rocprim17ROCPRIM_400000_NS6detail17trampoline_kernelINS0_14default_configENS1_25partition_config_selectorILNS1_17partition_subalgoE6EN6thrust23THRUST_200600_302600_NS5tupleIddNS7_9null_typeES9_S9_S9_S9_S9_S9_S9_EENS0_10empty_typeEbEEZZNS1_14partition_implILS5_6ELb0ES3_mNS7_12zip_iteratorINS8_INS7_6detail15normal_iteratorINS7_10device_ptrIdEEEESJ_S9_S9_S9_S9_S9_S9_S9_S9_EEEEPSB_SM_NS0_5tupleIJNSE_INS8_ISJ_NS7_16discard_iteratorINS7_11use_defaultEEES9_S9_S9_S9_S9_S9_S9_S9_EEEESB_EEENSN_IJSM_SM_EEESB_PlJNSF_9not_fun_tINSF_14equal_to_valueISA_EEEEEEE10hipError_tPvRmT3_T4_T5_T6_T7_T9_mT8_P12ihipStream_tbDpT10_ENKUlT_T0_E_clISt17integral_constantIbLb0EES1I_IbLb1EEEEDaS1E_S1F_EUlS1E_E_NS1_11comp_targetILNS1_3genE5ELNS1_11target_archE942ELNS1_3gpuE9ELNS1_3repE0EEENS1_30default_config_static_selectorELNS0_4arch9wavefront6targetE0EEEvT1_.uses_flat_scratch, 0
	.set _ZN7rocprim17ROCPRIM_400000_NS6detail17trampoline_kernelINS0_14default_configENS1_25partition_config_selectorILNS1_17partition_subalgoE6EN6thrust23THRUST_200600_302600_NS5tupleIddNS7_9null_typeES9_S9_S9_S9_S9_S9_S9_EENS0_10empty_typeEbEEZZNS1_14partition_implILS5_6ELb0ES3_mNS7_12zip_iteratorINS8_INS7_6detail15normal_iteratorINS7_10device_ptrIdEEEESJ_S9_S9_S9_S9_S9_S9_S9_S9_EEEEPSB_SM_NS0_5tupleIJNSE_INS8_ISJ_NS7_16discard_iteratorINS7_11use_defaultEEES9_S9_S9_S9_S9_S9_S9_S9_EEEESB_EEENSN_IJSM_SM_EEESB_PlJNSF_9not_fun_tINSF_14equal_to_valueISA_EEEEEEE10hipError_tPvRmT3_T4_T5_T6_T7_T9_mT8_P12ihipStream_tbDpT10_ENKUlT_T0_E_clISt17integral_constantIbLb0EES1I_IbLb1EEEEDaS1E_S1F_EUlS1E_E_NS1_11comp_targetILNS1_3genE5ELNS1_11target_archE942ELNS1_3gpuE9ELNS1_3repE0EEENS1_30default_config_static_selectorELNS0_4arch9wavefront6targetE0EEEvT1_.has_dyn_sized_stack, 0
	.set _ZN7rocprim17ROCPRIM_400000_NS6detail17trampoline_kernelINS0_14default_configENS1_25partition_config_selectorILNS1_17partition_subalgoE6EN6thrust23THRUST_200600_302600_NS5tupleIddNS7_9null_typeES9_S9_S9_S9_S9_S9_S9_EENS0_10empty_typeEbEEZZNS1_14partition_implILS5_6ELb0ES3_mNS7_12zip_iteratorINS8_INS7_6detail15normal_iteratorINS7_10device_ptrIdEEEESJ_S9_S9_S9_S9_S9_S9_S9_S9_EEEEPSB_SM_NS0_5tupleIJNSE_INS8_ISJ_NS7_16discard_iteratorINS7_11use_defaultEEES9_S9_S9_S9_S9_S9_S9_S9_EEEESB_EEENSN_IJSM_SM_EEESB_PlJNSF_9not_fun_tINSF_14equal_to_valueISA_EEEEEEE10hipError_tPvRmT3_T4_T5_T6_T7_T9_mT8_P12ihipStream_tbDpT10_ENKUlT_T0_E_clISt17integral_constantIbLb0EES1I_IbLb1EEEEDaS1E_S1F_EUlS1E_E_NS1_11comp_targetILNS1_3genE5ELNS1_11target_archE942ELNS1_3gpuE9ELNS1_3repE0EEENS1_30default_config_static_selectorELNS0_4arch9wavefront6targetE0EEEvT1_.has_recursion, 0
	.set _ZN7rocprim17ROCPRIM_400000_NS6detail17trampoline_kernelINS0_14default_configENS1_25partition_config_selectorILNS1_17partition_subalgoE6EN6thrust23THRUST_200600_302600_NS5tupleIddNS7_9null_typeES9_S9_S9_S9_S9_S9_S9_EENS0_10empty_typeEbEEZZNS1_14partition_implILS5_6ELb0ES3_mNS7_12zip_iteratorINS8_INS7_6detail15normal_iteratorINS7_10device_ptrIdEEEESJ_S9_S9_S9_S9_S9_S9_S9_S9_EEEEPSB_SM_NS0_5tupleIJNSE_INS8_ISJ_NS7_16discard_iteratorINS7_11use_defaultEEES9_S9_S9_S9_S9_S9_S9_S9_EEEESB_EEENSN_IJSM_SM_EEESB_PlJNSF_9not_fun_tINSF_14equal_to_valueISA_EEEEEEE10hipError_tPvRmT3_T4_T5_T6_T7_T9_mT8_P12ihipStream_tbDpT10_ENKUlT_T0_E_clISt17integral_constantIbLb0EES1I_IbLb1EEEEDaS1E_S1F_EUlS1E_E_NS1_11comp_targetILNS1_3genE5ELNS1_11target_archE942ELNS1_3gpuE9ELNS1_3repE0EEENS1_30default_config_static_selectorELNS0_4arch9wavefront6targetE0EEEvT1_.has_indirect_call, 0
	.section	.AMDGPU.csdata,"",@progbits
; Kernel info:
; codeLenInByte = 0
; TotalNumSgprs: 0
; NumVgprs: 0
; ScratchSize: 0
; MemoryBound: 0
; FloatMode: 240
; IeeeMode: 1
; LDSByteSize: 0 bytes/workgroup (compile time only)
; SGPRBlocks: 0
; VGPRBlocks: 0
; NumSGPRsForWavesPerEU: 1
; NumVGPRsForWavesPerEU: 1
; Occupancy: 16
; WaveLimiterHint : 0
; COMPUTE_PGM_RSRC2:SCRATCH_EN: 0
; COMPUTE_PGM_RSRC2:USER_SGPR: 2
; COMPUTE_PGM_RSRC2:TRAP_HANDLER: 0
; COMPUTE_PGM_RSRC2:TGID_X_EN: 1
; COMPUTE_PGM_RSRC2:TGID_Y_EN: 0
; COMPUTE_PGM_RSRC2:TGID_Z_EN: 0
; COMPUTE_PGM_RSRC2:TIDIG_COMP_CNT: 0
	.section	.text._ZN7rocprim17ROCPRIM_400000_NS6detail17trampoline_kernelINS0_14default_configENS1_25partition_config_selectorILNS1_17partition_subalgoE6EN6thrust23THRUST_200600_302600_NS5tupleIddNS7_9null_typeES9_S9_S9_S9_S9_S9_S9_EENS0_10empty_typeEbEEZZNS1_14partition_implILS5_6ELb0ES3_mNS7_12zip_iteratorINS8_INS7_6detail15normal_iteratorINS7_10device_ptrIdEEEESJ_S9_S9_S9_S9_S9_S9_S9_S9_EEEEPSB_SM_NS0_5tupleIJNSE_INS8_ISJ_NS7_16discard_iteratorINS7_11use_defaultEEES9_S9_S9_S9_S9_S9_S9_S9_EEEESB_EEENSN_IJSM_SM_EEESB_PlJNSF_9not_fun_tINSF_14equal_to_valueISA_EEEEEEE10hipError_tPvRmT3_T4_T5_T6_T7_T9_mT8_P12ihipStream_tbDpT10_ENKUlT_T0_E_clISt17integral_constantIbLb0EES1I_IbLb1EEEEDaS1E_S1F_EUlS1E_E_NS1_11comp_targetILNS1_3genE4ELNS1_11target_archE910ELNS1_3gpuE8ELNS1_3repE0EEENS1_30default_config_static_selectorELNS0_4arch9wavefront6targetE0EEEvT1_,"axG",@progbits,_ZN7rocprim17ROCPRIM_400000_NS6detail17trampoline_kernelINS0_14default_configENS1_25partition_config_selectorILNS1_17partition_subalgoE6EN6thrust23THRUST_200600_302600_NS5tupleIddNS7_9null_typeES9_S9_S9_S9_S9_S9_S9_EENS0_10empty_typeEbEEZZNS1_14partition_implILS5_6ELb0ES3_mNS7_12zip_iteratorINS8_INS7_6detail15normal_iteratorINS7_10device_ptrIdEEEESJ_S9_S9_S9_S9_S9_S9_S9_S9_EEEEPSB_SM_NS0_5tupleIJNSE_INS8_ISJ_NS7_16discard_iteratorINS7_11use_defaultEEES9_S9_S9_S9_S9_S9_S9_S9_EEEESB_EEENSN_IJSM_SM_EEESB_PlJNSF_9not_fun_tINSF_14equal_to_valueISA_EEEEEEE10hipError_tPvRmT3_T4_T5_T6_T7_T9_mT8_P12ihipStream_tbDpT10_ENKUlT_T0_E_clISt17integral_constantIbLb0EES1I_IbLb1EEEEDaS1E_S1F_EUlS1E_E_NS1_11comp_targetILNS1_3genE4ELNS1_11target_archE910ELNS1_3gpuE8ELNS1_3repE0EEENS1_30default_config_static_selectorELNS0_4arch9wavefront6targetE0EEEvT1_,comdat
	.protected	_ZN7rocprim17ROCPRIM_400000_NS6detail17trampoline_kernelINS0_14default_configENS1_25partition_config_selectorILNS1_17partition_subalgoE6EN6thrust23THRUST_200600_302600_NS5tupleIddNS7_9null_typeES9_S9_S9_S9_S9_S9_S9_EENS0_10empty_typeEbEEZZNS1_14partition_implILS5_6ELb0ES3_mNS7_12zip_iteratorINS8_INS7_6detail15normal_iteratorINS7_10device_ptrIdEEEESJ_S9_S9_S9_S9_S9_S9_S9_S9_EEEEPSB_SM_NS0_5tupleIJNSE_INS8_ISJ_NS7_16discard_iteratorINS7_11use_defaultEEES9_S9_S9_S9_S9_S9_S9_S9_EEEESB_EEENSN_IJSM_SM_EEESB_PlJNSF_9not_fun_tINSF_14equal_to_valueISA_EEEEEEE10hipError_tPvRmT3_T4_T5_T6_T7_T9_mT8_P12ihipStream_tbDpT10_ENKUlT_T0_E_clISt17integral_constantIbLb0EES1I_IbLb1EEEEDaS1E_S1F_EUlS1E_E_NS1_11comp_targetILNS1_3genE4ELNS1_11target_archE910ELNS1_3gpuE8ELNS1_3repE0EEENS1_30default_config_static_selectorELNS0_4arch9wavefront6targetE0EEEvT1_ ; -- Begin function _ZN7rocprim17ROCPRIM_400000_NS6detail17trampoline_kernelINS0_14default_configENS1_25partition_config_selectorILNS1_17partition_subalgoE6EN6thrust23THRUST_200600_302600_NS5tupleIddNS7_9null_typeES9_S9_S9_S9_S9_S9_S9_EENS0_10empty_typeEbEEZZNS1_14partition_implILS5_6ELb0ES3_mNS7_12zip_iteratorINS8_INS7_6detail15normal_iteratorINS7_10device_ptrIdEEEESJ_S9_S9_S9_S9_S9_S9_S9_S9_EEEEPSB_SM_NS0_5tupleIJNSE_INS8_ISJ_NS7_16discard_iteratorINS7_11use_defaultEEES9_S9_S9_S9_S9_S9_S9_S9_EEEESB_EEENSN_IJSM_SM_EEESB_PlJNSF_9not_fun_tINSF_14equal_to_valueISA_EEEEEEE10hipError_tPvRmT3_T4_T5_T6_T7_T9_mT8_P12ihipStream_tbDpT10_ENKUlT_T0_E_clISt17integral_constantIbLb0EES1I_IbLb1EEEEDaS1E_S1F_EUlS1E_E_NS1_11comp_targetILNS1_3genE4ELNS1_11target_archE910ELNS1_3gpuE8ELNS1_3repE0EEENS1_30default_config_static_selectorELNS0_4arch9wavefront6targetE0EEEvT1_
	.globl	_ZN7rocprim17ROCPRIM_400000_NS6detail17trampoline_kernelINS0_14default_configENS1_25partition_config_selectorILNS1_17partition_subalgoE6EN6thrust23THRUST_200600_302600_NS5tupleIddNS7_9null_typeES9_S9_S9_S9_S9_S9_S9_EENS0_10empty_typeEbEEZZNS1_14partition_implILS5_6ELb0ES3_mNS7_12zip_iteratorINS8_INS7_6detail15normal_iteratorINS7_10device_ptrIdEEEESJ_S9_S9_S9_S9_S9_S9_S9_S9_EEEEPSB_SM_NS0_5tupleIJNSE_INS8_ISJ_NS7_16discard_iteratorINS7_11use_defaultEEES9_S9_S9_S9_S9_S9_S9_S9_EEEESB_EEENSN_IJSM_SM_EEESB_PlJNSF_9not_fun_tINSF_14equal_to_valueISA_EEEEEEE10hipError_tPvRmT3_T4_T5_T6_T7_T9_mT8_P12ihipStream_tbDpT10_ENKUlT_T0_E_clISt17integral_constantIbLb0EES1I_IbLb1EEEEDaS1E_S1F_EUlS1E_E_NS1_11comp_targetILNS1_3genE4ELNS1_11target_archE910ELNS1_3gpuE8ELNS1_3repE0EEENS1_30default_config_static_selectorELNS0_4arch9wavefront6targetE0EEEvT1_
	.p2align	8
	.type	_ZN7rocprim17ROCPRIM_400000_NS6detail17trampoline_kernelINS0_14default_configENS1_25partition_config_selectorILNS1_17partition_subalgoE6EN6thrust23THRUST_200600_302600_NS5tupleIddNS7_9null_typeES9_S9_S9_S9_S9_S9_S9_EENS0_10empty_typeEbEEZZNS1_14partition_implILS5_6ELb0ES3_mNS7_12zip_iteratorINS8_INS7_6detail15normal_iteratorINS7_10device_ptrIdEEEESJ_S9_S9_S9_S9_S9_S9_S9_S9_EEEEPSB_SM_NS0_5tupleIJNSE_INS8_ISJ_NS7_16discard_iteratorINS7_11use_defaultEEES9_S9_S9_S9_S9_S9_S9_S9_EEEESB_EEENSN_IJSM_SM_EEESB_PlJNSF_9not_fun_tINSF_14equal_to_valueISA_EEEEEEE10hipError_tPvRmT3_T4_T5_T6_T7_T9_mT8_P12ihipStream_tbDpT10_ENKUlT_T0_E_clISt17integral_constantIbLb0EES1I_IbLb1EEEEDaS1E_S1F_EUlS1E_E_NS1_11comp_targetILNS1_3genE4ELNS1_11target_archE910ELNS1_3gpuE8ELNS1_3repE0EEENS1_30default_config_static_selectorELNS0_4arch9wavefront6targetE0EEEvT1_,@function
_ZN7rocprim17ROCPRIM_400000_NS6detail17trampoline_kernelINS0_14default_configENS1_25partition_config_selectorILNS1_17partition_subalgoE6EN6thrust23THRUST_200600_302600_NS5tupleIddNS7_9null_typeES9_S9_S9_S9_S9_S9_S9_EENS0_10empty_typeEbEEZZNS1_14partition_implILS5_6ELb0ES3_mNS7_12zip_iteratorINS8_INS7_6detail15normal_iteratorINS7_10device_ptrIdEEEESJ_S9_S9_S9_S9_S9_S9_S9_S9_EEEEPSB_SM_NS0_5tupleIJNSE_INS8_ISJ_NS7_16discard_iteratorINS7_11use_defaultEEES9_S9_S9_S9_S9_S9_S9_S9_EEEESB_EEENSN_IJSM_SM_EEESB_PlJNSF_9not_fun_tINSF_14equal_to_valueISA_EEEEEEE10hipError_tPvRmT3_T4_T5_T6_T7_T9_mT8_P12ihipStream_tbDpT10_ENKUlT_T0_E_clISt17integral_constantIbLb0EES1I_IbLb1EEEEDaS1E_S1F_EUlS1E_E_NS1_11comp_targetILNS1_3genE4ELNS1_11target_archE910ELNS1_3gpuE8ELNS1_3repE0EEENS1_30default_config_static_selectorELNS0_4arch9wavefront6targetE0EEEvT1_: ; @_ZN7rocprim17ROCPRIM_400000_NS6detail17trampoline_kernelINS0_14default_configENS1_25partition_config_selectorILNS1_17partition_subalgoE6EN6thrust23THRUST_200600_302600_NS5tupleIddNS7_9null_typeES9_S9_S9_S9_S9_S9_S9_EENS0_10empty_typeEbEEZZNS1_14partition_implILS5_6ELb0ES3_mNS7_12zip_iteratorINS8_INS7_6detail15normal_iteratorINS7_10device_ptrIdEEEESJ_S9_S9_S9_S9_S9_S9_S9_S9_EEEEPSB_SM_NS0_5tupleIJNSE_INS8_ISJ_NS7_16discard_iteratorINS7_11use_defaultEEES9_S9_S9_S9_S9_S9_S9_S9_EEEESB_EEENSN_IJSM_SM_EEESB_PlJNSF_9not_fun_tINSF_14equal_to_valueISA_EEEEEEE10hipError_tPvRmT3_T4_T5_T6_T7_T9_mT8_P12ihipStream_tbDpT10_ENKUlT_T0_E_clISt17integral_constantIbLb0EES1I_IbLb1EEEEDaS1E_S1F_EUlS1E_E_NS1_11comp_targetILNS1_3genE4ELNS1_11target_archE910ELNS1_3gpuE8ELNS1_3repE0EEENS1_30default_config_static_selectorELNS0_4arch9wavefront6targetE0EEEvT1_
; %bb.0:
	.section	.rodata,"a",@progbits
	.p2align	6, 0x0
	.amdhsa_kernel _ZN7rocprim17ROCPRIM_400000_NS6detail17trampoline_kernelINS0_14default_configENS1_25partition_config_selectorILNS1_17partition_subalgoE6EN6thrust23THRUST_200600_302600_NS5tupleIddNS7_9null_typeES9_S9_S9_S9_S9_S9_S9_EENS0_10empty_typeEbEEZZNS1_14partition_implILS5_6ELb0ES3_mNS7_12zip_iteratorINS8_INS7_6detail15normal_iteratorINS7_10device_ptrIdEEEESJ_S9_S9_S9_S9_S9_S9_S9_S9_EEEEPSB_SM_NS0_5tupleIJNSE_INS8_ISJ_NS7_16discard_iteratorINS7_11use_defaultEEES9_S9_S9_S9_S9_S9_S9_S9_EEEESB_EEENSN_IJSM_SM_EEESB_PlJNSF_9not_fun_tINSF_14equal_to_valueISA_EEEEEEE10hipError_tPvRmT3_T4_T5_T6_T7_T9_mT8_P12ihipStream_tbDpT10_ENKUlT_T0_E_clISt17integral_constantIbLb0EES1I_IbLb1EEEEDaS1E_S1F_EUlS1E_E_NS1_11comp_targetILNS1_3genE4ELNS1_11target_archE910ELNS1_3gpuE8ELNS1_3repE0EEENS1_30default_config_static_selectorELNS0_4arch9wavefront6targetE0EEEvT1_
		.amdhsa_group_segment_fixed_size 0
		.amdhsa_private_segment_fixed_size 0
		.amdhsa_kernarg_size 160
		.amdhsa_user_sgpr_count 2
		.amdhsa_user_sgpr_dispatch_ptr 0
		.amdhsa_user_sgpr_queue_ptr 0
		.amdhsa_user_sgpr_kernarg_segment_ptr 1
		.amdhsa_user_sgpr_dispatch_id 0
		.amdhsa_user_sgpr_private_segment_size 0
		.amdhsa_wavefront_size32 1
		.amdhsa_uses_dynamic_stack 0
		.amdhsa_enable_private_segment 0
		.amdhsa_system_sgpr_workgroup_id_x 1
		.amdhsa_system_sgpr_workgroup_id_y 0
		.amdhsa_system_sgpr_workgroup_id_z 0
		.amdhsa_system_sgpr_workgroup_info 0
		.amdhsa_system_vgpr_workitem_id 0
		.amdhsa_next_free_vgpr 1
		.amdhsa_next_free_sgpr 1
		.amdhsa_reserve_vcc 0
		.amdhsa_float_round_mode_32 0
		.amdhsa_float_round_mode_16_64 0
		.amdhsa_float_denorm_mode_32 3
		.amdhsa_float_denorm_mode_16_64 3
		.amdhsa_fp16_overflow 0
		.amdhsa_workgroup_processor_mode 1
		.amdhsa_memory_ordered 1
		.amdhsa_forward_progress 1
		.amdhsa_inst_pref_size 0
		.amdhsa_round_robin_scheduling 0
		.amdhsa_exception_fp_ieee_invalid_op 0
		.amdhsa_exception_fp_denorm_src 0
		.amdhsa_exception_fp_ieee_div_zero 0
		.amdhsa_exception_fp_ieee_overflow 0
		.amdhsa_exception_fp_ieee_underflow 0
		.amdhsa_exception_fp_ieee_inexact 0
		.amdhsa_exception_int_div_zero 0
	.end_amdhsa_kernel
	.section	.text._ZN7rocprim17ROCPRIM_400000_NS6detail17trampoline_kernelINS0_14default_configENS1_25partition_config_selectorILNS1_17partition_subalgoE6EN6thrust23THRUST_200600_302600_NS5tupleIddNS7_9null_typeES9_S9_S9_S9_S9_S9_S9_EENS0_10empty_typeEbEEZZNS1_14partition_implILS5_6ELb0ES3_mNS7_12zip_iteratorINS8_INS7_6detail15normal_iteratorINS7_10device_ptrIdEEEESJ_S9_S9_S9_S9_S9_S9_S9_S9_EEEEPSB_SM_NS0_5tupleIJNSE_INS8_ISJ_NS7_16discard_iteratorINS7_11use_defaultEEES9_S9_S9_S9_S9_S9_S9_S9_EEEESB_EEENSN_IJSM_SM_EEESB_PlJNSF_9not_fun_tINSF_14equal_to_valueISA_EEEEEEE10hipError_tPvRmT3_T4_T5_T6_T7_T9_mT8_P12ihipStream_tbDpT10_ENKUlT_T0_E_clISt17integral_constantIbLb0EES1I_IbLb1EEEEDaS1E_S1F_EUlS1E_E_NS1_11comp_targetILNS1_3genE4ELNS1_11target_archE910ELNS1_3gpuE8ELNS1_3repE0EEENS1_30default_config_static_selectorELNS0_4arch9wavefront6targetE0EEEvT1_,"axG",@progbits,_ZN7rocprim17ROCPRIM_400000_NS6detail17trampoline_kernelINS0_14default_configENS1_25partition_config_selectorILNS1_17partition_subalgoE6EN6thrust23THRUST_200600_302600_NS5tupleIddNS7_9null_typeES9_S9_S9_S9_S9_S9_S9_EENS0_10empty_typeEbEEZZNS1_14partition_implILS5_6ELb0ES3_mNS7_12zip_iteratorINS8_INS7_6detail15normal_iteratorINS7_10device_ptrIdEEEESJ_S9_S9_S9_S9_S9_S9_S9_S9_EEEEPSB_SM_NS0_5tupleIJNSE_INS8_ISJ_NS7_16discard_iteratorINS7_11use_defaultEEES9_S9_S9_S9_S9_S9_S9_S9_EEEESB_EEENSN_IJSM_SM_EEESB_PlJNSF_9not_fun_tINSF_14equal_to_valueISA_EEEEEEE10hipError_tPvRmT3_T4_T5_T6_T7_T9_mT8_P12ihipStream_tbDpT10_ENKUlT_T0_E_clISt17integral_constantIbLb0EES1I_IbLb1EEEEDaS1E_S1F_EUlS1E_E_NS1_11comp_targetILNS1_3genE4ELNS1_11target_archE910ELNS1_3gpuE8ELNS1_3repE0EEENS1_30default_config_static_selectorELNS0_4arch9wavefront6targetE0EEEvT1_,comdat
.Lfunc_end1847:
	.size	_ZN7rocprim17ROCPRIM_400000_NS6detail17trampoline_kernelINS0_14default_configENS1_25partition_config_selectorILNS1_17partition_subalgoE6EN6thrust23THRUST_200600_302600_NS5tupleIddNS7_9null_typeES9_S9_S9_S9_S9_S9_S9_EENS0_10empty_typeEbEEZZNS1_14partition_implILS5_6ELb0ES3_mNS7_12zip_iteratorINS8_INS7_6detail15normal_iteratorINS7_10device_ptrIdEEEESJ_S9_S9_S9_S9_S9_S9_S9_S9_EEEEPSB_SM_NS0_5tupleIJNSE_INS8_ISJ_NS7_16discard_iteratorINS7_11use_defaultEEES9_S9_S9_S9_S9_S9_S9_S9_EEEESB_EEENSN_IJSM_SM_EEESB_PlJNSF_9not_fun_tINSF_14equal_to_valueISA_EEEEEEE10hipError_tPvRmT3_T4_T5_T6_T7_T9_mT8_P12ihipStream_tbDpT10_ENKUlT_T0_E_clISt17integral_constantIbLb0EES1I_IbLb1EEEEDaS1E_S1F_EUlS1E_E_NS1_11comp_targetILNS1_3genE4ELNS1_11target_archE910ELNS1_3gpuE8ELNS1_3repE0EEENS1_30default_config_static_selectorELNS0_4arch9wavefront6targetE0EEEvT1_, .Lfunc_end1847-_ZN7rocprim17ROCPRIM_400000_NS6detail17trampoline_kernelINS0_14default_configENS1_25partition_config_selectorILNS1_17partition_subalgoE6EN6thrust23THRUST_200600_302600_NS5tupleIddNS7_9null_typeES9_S9_S9_S9_S9_S9_S9_EENS0_10empty_typeEbEEZZNS1_14partition_implILS5_6ELb0ES3_mNS7_12zip_iteratorINS8_INS7_6detail15normal_iteratorINS7_10device_ptrIdEEEESJ_S9_S9_S9_S9_S9_S9_S9_S9_EEEEPSB_SM_NS0_5tupleIJNSE_INS8_ISJ_NS7_16discard_iteratorINS7_11use_defaultEEES9_S9_S9_S9_S9_S9_S9_S9_EEEESB_EEENSN_IJSM_SM_EEESB_PlJNSF_9not_fun_tINSF_14equal_to_valueISA_EEEEEEE10hipError_tPvRmT3_T4_T5_T6_T7_T9_mT8_P12ihipStream_tbDpT10_ENKUlT_T0_E_clISt17integral_constantIbLb0EES1I_IbLb1EEEEDaS1E_S1F_EUlS1E_E_NS1_11comp_targetILNS1_3genE4ELNS1_11target_archE910ELNS1_3gpuE8ELNS1_3repE0EEENS1_30default_config_static_selectorELNS0_4arch9wavefront6targetE0EEEvT1_
                                        ; -- End function
	.set _ZN7rocprim17ROCPRIM_400000_NS6detail17trampoline_kernelINS0_14default_configENS1_25partition_config_selectorILNS1_17partition_subalgoE6EN6thrust23THRUST_200600_302600_NS5tupleIddNS7_9null_typeES9_S9_S9_S9_S9_S9_S9_EENS0_10empty_typeEbEEZZNS1_14partition_implILS5_6ELb0ES3_mNS7_12zip_iteratorINS8_INS7_6detail15normal_iteratorINS7_10device_ptrIdEEEESJ_S9_S9_S9_S9_S9_S9_S9_S9_EEEEPSB_SM_NS0_5tupleIJNSE_INS8_ISJ_NS7_16discard_iteratorINS7_11use_defaultEEES9_S9_S9_S9_S9_S9_S9_S9_EEEESB_EEENSN_IJSM_SM_EEESB_PlJNSF_9not_fun_tINSF_14equal_to_valueISA_EEEEEEE10hipError_tPvRmT3_T4_T5_T6_T7_T9_mT8_P12ihipStream_tbDpT10_ENKUlT_T0_E_clISt17integral_constantIbLb0EES1I_IbLb1EEEEDaS1E_S1F_EUlS1E_E_NS1_11comp_targetILNS1_3genE4ELNS1_11target_archE910ELNS1_3gpuE8ELNS1_3repE0EEENS1_30default_config_static_selectorELNS0_4arch9wavefront6targetE0EEEvT1_.num_vgpr, 0
	.set _ZN7rocprim17ROCPRIM_400000_NS6detail17trampoline_kernelINS0_14default_configENS1_25partition_config_selectorILNS1_17partition_subalgoE6EN6thrust23THRUST_200600_302600_NS5tupleIddNS7_9null_typeES9_S9_S9_S9_S9_S9_S9_EENS0_10empty_typeEbEEZZNS1_14partition_implILS5_6ELb0ES3_mNS7_12zip_iteratorINS8_INS7_6detail15normal_iteratorINS7_10device_ptrIdEEEESJ_S9_S9_S9_S9_S9_S9_S9_S9_EEEEPSB_SM_NS0_5tupleIJNSE_INS8_ISJ_NS7_16discard_iteratorINS7_11use_defaultEEES9_S9_S9_S9_S9_S9_S9_S9_EEEESB_EEENSN_IJSM_SM_EEESB_PlJNSF_9not_fun_tINSF_14equal_to_valueISA_EEEEEEE10hipError_tPvRmT3_T4_T5_T6_T7_T9_mT8_P12ihipStream_tbDpT10_ENKUlT_T0_E_clISt17integral_constantIbLb0EES1I_IbLb1EEEEDaS1E_S1F_EUlS1E_E_NS1_11comp_targetILNS1_3genE4ELNS1_11target_archE910ELNS1_3gpuE8ELNS1_3repE0EEENS1_30default_config_static_selectorELNS0_4arch9wavefront6targetE0EEEvT1_.num_agpr, 0
	.set _ZN7rocprim17ROCPRIM_400000_NS6detail17trampoline_kernelINS0_14default_configENS1_25partition_config_selectorILNS1_17partition_subalgoE6EN6thrust23THRUST_200600_302600_NS5tupleIddNS7_9null_typeES9_S9_S9_S9_S9_S9_S9_EENS0_10empty_typeEbEEZZNS1_14partition_implILS5_6ELb0ES3_mNS7_12zip_iteratorINS8_INS7_6detail15normal_iteratorINS7_10device_ptrIdEEEESJ_S9_S9_S9_S9_S9_S9_S9_S9_EEEEPSB_SM_NS0_5tupleIJNSE_INS8_ISJ_NS7_16discard_iteratorINS7_11use_defaultEEES9_S9_S9_S9_S9_S9_S9_S9_EEEESB_EEENSN_IJSM_SM_EEESB_PlJNSF_9not_fun_tINSF_14equal_to_valueISA_EEEEEEE10hipError_tPvRmT3_T4_T5_T6_T7_T9_mT8_P12ihipStream_tbDpT10_ENKUlT_T0_E_clISt17integral_constantIbLb0EES1I_IbLb1EEEEDaS1E_S1F_EUlS1E_E_NS1_11comp_targetILNS1_3genE4ELNS1_11target_archE910ELNS1_3gpuE8ELNS1_3repE0EEENS1_30default_config_static_selectorELNS0_4arch9wavefront6targetE0EEEvT1_.numbered_sgpr, 0
	.set _ZN7rocprim17ROCPRIM_400000_NS6detail17trampoline_kernelINS0_14default_configENS1_25partition_config_selectorILNS1_17partition_subalgoE6EN6thrust23THRUST_200600_302600_NS5tupleIddNS7_9null_typeES9_S9_S9_S9_S9_S9_S9_EENS0_10empty_typeEbEEZZNS1_14partition_implILS5_6ELb0ES3_mNS7_12zip_iteratorINS8_INS7_6detail15normal_iteratorINS7_10device_ptrIdEEEESJ_S9_S9_S9_S9_S9_S9_S9_S9_EEEEPSB_SM_NS0_5tupleIJNSE_INS8_ISJ_NS7_16discard_iteratorINS7_11use_defaultEEES9_S9_S9_S9_S9_S9_S9_S9_EEEESB_EEENSN_IJSM_SM_EEESB_PlJNSF_9not_fun_tINSF_14equal_to_valueISA_EEEEEEE10hipError_tPvRmT3_T4_T5_T6_T7_T9_mT8_P12ihipStream_tbDpT10_ENKUlT_T0_E_clISt17integral_constantIbLb0EES1I_IbLb1EEEEDaS1E_S1F_EUlS1E_E_NS1_11comp_targetILNS1_3genE4ELNS1_11target_archE910ELNS1_3gpuE8ELNS1_3repE0EEENS1_30default_config_static_selectorELNS0_4arch9wavefront6targetE0EEEvT1_.num_named_barrier, 0
	.set _ZN7rocprim17ROCPRIM_400000_NS6detail17trampoline_kernelINS0_14default_configENS1_25partition_config_selectorILNS1_17partition_subalgoE6EN6thrust23THRUST_200600_302600_NS5tupleIddNS7_9null_typeES9_S9_S9_S9_S9_S9_S9_EENS0_10empty_typeEbEEZZNS1_14partition_implILS5_6ELb0ES3_mNS7_12zip_iteratorINS8_INS7_6detail15normal_iteratorINS7_10device_ptrIdEEEESJ_S9_S9_S9_S9_S9_S9_S9_S9_EEEEPSB_SM_NS0_5tupleIJNSE_INS8_ISJ_NS7_16discard_iteratorINS7_11use_defaultEEES9_S9_S9_S9_S9_S9_S9_S9_EEEESB_EEENSN_IJSM_SM_EEESB_PlJNSF_9not_fun_tINSF_14equal_to_valueISA_EEEEEEE10hipError_tPvRmT3_T4_T5_T6_T7_T9_mT8_P12ihipStream_tbDpT10_ENKUlT_T0_E_clISt17integral_constantIbLb0EES1I_IbLb1EEEEDaS1E_S1F_EUlS1E_E_NS1_11comp_targetILNS1_3genE4ELNS1_11target_archE910ELNS1_3gpuE8ELNS1_3repE0EEENS1_30default_config_static_selectorELNS0_4arch9wavefront6targetE0EEEvT1_.private_seg_size, 0
	.set _ZN7rocprim17ROCPRIM_400000_NS6detail17trampoline_kernelINS0_14default_configENS1_25partition_config_selectorILNS1_17partition_subalgoE6EN6thrust23THRUST_200600_302600_NS5tupleIddNS7_9null_typeES9_S9_S9_S9_S9_S9_S9_EENS0_10empty_typeEbEEZZNS1_14partition_implILS5_6ELb0ES3_mNS7_12zip_iteratorINS8_INS7_6detail15normal_iteratorINS7_10device_ptrIdEEEESJ_S9_S9_S9_S9_S9_S9_S9_S9_EEEEPSB_SM_NS0_5tupleIJNSE_INS8_ISJ_NS7_16discard_iteratorINS7_11use_defaultEEES9_S9_S9_S9_S9_S9_S9_S9_EEEESB_EEENSN_IJSM_SM_EEESB_PlJNSF_9not_fun_tINSF_14equal_to_valueISA_EEEEEEE10hipError_tPvRmT3_T4_T5_T6_T7_T9_mT8_P12ihipStream_tbDpT10_ENKUlT_T0_E_clISt17integral_constantIbLb0EES1I_IbLb1EEEEDaS1E_S1F_EUlS1E_E_NS1_11comp_targetILNS1_3genE4ELNS1_11target_archE910ELNS1_3gpuE8ELNS1_3repE0EEENS1_30default_config_static_selectorELNS0_4arch9wavefront6targetE0EEEvT1_.uses_vcc, 0
	.set _ZN7rocprim17ROCPRIM_400000_NS6detail17trampoline_kernelINS0_14default_configENS1_25partition_config_selectorILNS1_17partition_subalgoE6EN6thrust23THRUST_200600_302600_NS5tupleIddNS7_9null_typeES9_S9_S9_S9_S9_S9_S9_EENS0_10empty_typeEbEEZZNS1_14partition_implILS5_6ELb0ES3_mNS7_12zip_iteratorINS8_INS7_6detail15normal_iteratorINS7_10device_ptrIdEEEESJ_S9_S9_S9_S9_S9_S9_S9_S9_EEEEPSB_SM_NS0_5tupleIJNSE_INS8_ISJ_NS7_16discard_iteratorINS7_11use_defaultEEES9_S9_S9_S9_S9_S9_S9_S9_EEEESB_EEENSN_IJSM_SM_EEESB_PlJNSF_9not_fun_tINSF_14equal_to_valueISA_EEEEEEE10hipError_tPvRmT3_T4_T5_T6_T7_T9_mT8_P12ihipStream_tbDpT10_ENKUlT_T0_E_clISt17integral_constantIbLb0EES1I_IbLb1EEEEDaS1E_S1F_EUlS1E_E_NS1_11comp_targetILNS1_3genE4ELNS1_11target_archE910ELNS1_3gpuE8ELNS1_3repE0EEENS1_30default_config_static_selectorELNS0_4arch9wavefront6targetE0EEEvT1_.uses_flat_scratch, 0
	.set _ZN7rocprim17ROCPRIM_400000_NS6detail17trampoline_kernelINS0_14default_configENS1_25partition_config_selectorILNS1_17partition_subalgoE6EN6thrust23THRUST_200600_302600_NS5tupleIddNS7_9null_typeES9_S9_S9_S9_S9_S9_S9_EENS0_10empty_typeEbEEZZNS1_14partition_implILS5_6ELb0ES3_mNS7_12zip_iteratorINS8_INS7_6detail15normal_iteratorINS7_10device_ptrIdEEEESJ_S9_S9_S9_S9_S9_S9_S9_S9_EEEEPSB_SM_NS0_5tupleIJNSE_INS8_ISJ_NS7_16discard_iteratorINS7_11use_defaultEEES9_S9_S9_S9_S9_S9_S9_S9_EEEESB_EEENSN_IJSM_SM_EEESB_PlJNSF_9not_fun_tINSF_14equal_to_valueISA_EEEEEEE10hipError_tPvRmT3_T4_T5_T6_T7_T9_mT8_P12ihipStream_tbDpT10_ENKUlT_T0_E_clISt17integral_constantIbLb0EES1I_IbLb1EEEEDaS1E_S1F_EUlS1E_E_NS1_11comp_targetILNS1_3genE4ELNS1_11target_archE910ELNS1_3gpuE8ELNS1_3repE0EEENS1_30default_config_static_selectorELNS0_4arch9wavefront6targetE0EEEvT1_.has_dyn_sized_stack, 0
	.set _ZN7rocprim17ROCPRIM_400000_NS6detail17trampoline_kernelINS0_14default_configENS1_25partition_config_selectorILNS1_17partition_subalgoE6EN6thrust23THRUST_200600_302600_NS5tupleIddNS7_9null_typeES9_S9_S9_S9_S9_S9_S9_EENS0_10empty_typeEbEEZZNS1_14partition_implILS5_6ELb0ES3_mNS7_12zip_iteratorINS8_INS7_6detail15normal_iteratorINS7_10device_ptrIdEEEESJ_S9_S9_S9_S9_S9_S9_S9_S9_EEEEPSB_SM_NS0_5tupleIJNSE_INS8_ISJ_NS7_16discard_iteratorINS7_11use_defaultEEES9_S9_S9_S9_S9_S9_S9_S9_EEEESB_EEENSN_IJSM_SM_EEESB_PlJNSF_9not_fun_tINSF_14equal_to_valueISA_EEEEEEE10hipError_tPvRmT3_T4_T5_T6_T7_T9_mT8_P12ihipStream_tbDpT10_ENKUlT_T0_E_clISt17integral_constantIbLb0EES1I_IbLb1EEEEDaS1E_S1F_EUlS1E_E_NS1_11comp_targetILNS1_3genE4ELNS1_11target_archE910ELNS1_3gpuE8ELNS1_3repE0EEENS1_30default_config_static_selectorELNS0_4arch9wavefront6targetE0EEEvT1_.has_recursion, 0
	.set _ZN7rocprim17ROCPRIM_400000_NS6detail17trampoline_kernelINS0_14default_configENS1_25partition_config_selectorILNS1_17partition_subalgoE6EN6thrust23THRUST_200600_302600_NS5tupleIddNS7_9null_typeES9_S9_S9_S9_S9_S9_S9_EENS0_10empty_typeEbEEZZNS1_14partition_implILS5_6ELb0ES3_mNS7_12zip_iteratorINS8_INS7_6detail15normal_iteratorINS7_10device_ptrIdEEEESJ_S9_S9_S9_S9_S9_S9_S9_S9_EEEEPSB_SM_NS0_5tupleIJNSE_INS8_ISJ_NS7_16discard_iteratorINS7_11use_defaultEEES9_S9_S9_S9_S9_S9_S9_S9_EEEESB_EEENSN_IJSM_SM_EEESB_PlJNSF_9not_fun_tINSF_14equal_to_valueISA_EEEEEEE10hipError_tPvRmT3_T4_T5_T6_T7_T9_mT8_P12ihipStream_tbDpT10_ENKUlT_T0_E_clISt17integral_constantIbLb0EES1I_IbLb1EEEEDaS1E_S1F_EUlS1E_E_NS1_11comp_targetILNS1_3genE4ELNS1_11target_archE910ELNS1_3gpuE8ELNS1_3repE0EEENS1_30default_config_static_selectorELNS0_4arch9wavefront6targetE0EEEvT1_.has_indirect_call, 0
	.section	.AMDGPU.csdata,"",@progbits
; Kernel info:
; codeLenInByte = 0
; TotalNumSgprs: 0
; NumVgprs: 0
; ScratchSize: 0
; MemoryBound: 0
; FloatMode: 240
; IeeeMode: 1
; LDSByteSize: 0 bytes/workgroup (compile time only)
; SGPRBlocks: 0
; VGPRBlocks: 0
; NumSGPRsForWavesPerEU: 1
; NumVGPRsForWavesPerEU: 1
; Occupancy: 16
; WaveLimiterHint : 0
; COMPUTE_PGM_RSRC2:SCRATCH_EN: 0
; COMPUTE_PGM_RSRC2:USER_SGPR: 2
; COMPUTE_PGM_RSRC2:TRAP_HANDLER: 0
; COMPUTE_PGM_RSRC2:TGID_X_EN: 1
; COMPUTE_PGM_RSRC2:TGID_Y_EN: 0
; COMPUTE_PGM_RSRC2:TGID_Z_EN: 0
; COMPUTE_PGM_RSRC2:TIDIG_COMP_CNT: 0
	.section	.text._ZN7rocprim17ROCPRIM_400000_NS6detail17trampoline_kernelINS0_14default_configENS1_25partition_config_selectorILNS1_17partition_subalgoE6EN6thrust23THRUST_200600_302600_NS5tupleIddNS7_9null_typeES9_S9_S9_S9_S9_S9_S9_EENS0_10empty_typeEbEEZZNS1_14partition_implILS5_6ELb0ES3_mNS7_12zip_iteratorINS8_INS7_6detail15normal_iteratorINS7_10device_ptrIdEEEESJ_S9_S9_S9_S9_S9_S9_S9_S9_EEEEPSB_SM_NS0_5tupleIJNSE_INS8_ISJ_NS7_16discard_iteratorINS7_11use_defaultEEES9_S9_S9_S9_S9_S9_S9_S9_EEEESB_EEENSN_IJSM_SM_EEESB_PlJNSF_9not_fun_tINSF_14equal_to_valueISA_EEEEEEE10hipError_tPvRmT3_T4_T5_T6_T7_T9_mT8_P12ihipStream_tbDpT10_ENKUlT_T0_E_clISt17integral_constantIbLb0EES1I_IbLb1EEEEDaS1E_S1F_EUlS1E_E_NS1_11comp_targetILNS1_3genE3ELNS1_11target_archE908ELNS1_3gpuE7ELNS1_3repE0EEENS1_30default_config_static_selectorELNS0_4arch9wavefront6targetE0EEEvT1_,"axG",@progbits,_ZN7rocprim17ROCPRIM_400000_NS6detail17trampoline_kernelINS0_14default_configENS1_25partition_config_selectorILNS1_17partition_subalgoE6EN6thrust23THRUST_200600_302600_NS5tupleIddNS7_9null_typeES9_S9_S9_S9_S9_S9_S9_EENS0_10empty_typeEbEEZZNS1_14partition_implILS5_6ELb0ES3_mNS7_12zip_iteratorINS8_INS7_6detail15normal_iteratorINS7_10device_ptrIdEEEESJ_S9_S9_S9_S9_S9_S9_S9_S9_EEEEPSB_SM_NS0_5tupleIJNSE_INS8_ISJ_NS7_16discard_iteratorINS7_11use_defaultEEES9_S9_S9_S9_S9_S9_S9_S9_EEEESB_EEENSN_IJSM_SM_EEESB_PlJNSF_9not_fun_tINSF_14equal_to_valueISA_EEEEEEE10hipError_tPvRmT3_T4_T5_T6_T7_T9_mT8_P12ihipStream_tbDpT10_ENKUlT_T0_E_clISt17integral_constantIbLb0EES1I_IbLb1EEEEDaS1E_S1F_EUlS1E_E_NS1_11comp_targetILNS1_3genE3ELNS1_11target_archE908ELNS1_3gpuE7ELNS1_3repE0EEENS1_30default_config_static_selectorELNS0_4arch9wavefront6targetE0EEEvT1_,comdat
	.protected	_ZN7rocprim17ROCPRIM_400000_NS6detail17trampoline_kernelINS0_14default_configENS1_25partition_config_selectorILNS1_17partition_subalgoE6EN6thrust23THRUST_200600_302600_NS5tupleIddNS7_9null_typeES9_S9_S9_S9_S9_S9_S9_EENS0_10empty_typeEbEEZZNS1_14partition_implILS5_6ELb0ES3_mNS7_12zip_iteratorINS8_INS7_6detail15normal_iteratorINS7_10device_ptrIdEEEESJ_S9_S9_S9_S9_S9_S9_S9_S9_EEEEPSB_SM_NS0_5tupleIJNSE_INS8_ISJ_NS7_16discard_iteratorINS7_11use_defaultEEES9_S9_S9_S9_S9_S9_S9_S9_EEEESB_EEENSN_IJSM_SM_EEESB_PlJNSF_9not_fun_tINSF_14equal_to_valueISA_EEEEEEE10hipError_tPvRmT3_T4_T5_T6_T7_T9_mT8_P12ihipStream_tbDpT10_ENKUlT_T0_E_clISt17integral_constantIbLb0EES1I_IbLb1EEEEDaS1E_S1F_EUlS1E_E_NS1_11comp_targetILNS1_3genE3ELNS1_11target_archE908ELNS1_3gpuE7ELNS1_3repE0EEENS1_30default_config_static_selectorELNS0_4arch9wavefront6targetE0EEEvT1_ ; -- Begin function _ZN7rocprim17ROCPRIM_400000_NS6detail17trampoline_kernelINS0_14default_configENS1_25partition_config_selectorILNS1_17partition_subalgoE6EN6thrust23THRUST_200600_302600_NS5tupleIddNS7_9null_typeES9_S9_S9_S9_S9_S9_S9_EENS0_10empty_typeEbEEZZNS1_14partition_implILS5_6ELb0ES3_mNS7_12zip_iteratorINS8_INS7_6detail15normal_iteratorINS7_10device_ptrIdEEEESJ_S9_S9_S9_S9_S9_S9_S9_S9_EEEEPSB_SM_NS0_5tupleIJNSE_INS8_ISJ_NS7_16discard_iteratorINS7_11use_defaultEEES9_S9_S9_S9_S9_S9_S9_S9_EEEESB_EEENSN_IJSM_SM_EEESB_PlJNSF_9not_fun_tINSF_14equal_to_valueISA_EEEEEEE10hipError_tPvRmT3_T4_T5_T6_T7_T9_mT8_P12ihipStream_tbDpT10_ENKUlT_T0_E_clISt17integral_constantIbLb0EES1I_IbLb1EEEEDaS1E_S1F_EUlS1E_E_NS1_11comp_targetILNS1_3genE3ELNS1_11target_archE908ELNS1_3gpuE7ELNS1_3repE0EEENS1_30default_config_static_selectorELNS0_4arch9wavefront6targetE0EEEvT1_
	.globl	_ZN7rocprim17ROCPRIM_400000_NS6detail17trampoline_kernelINS0_14default_configENS1_25partition_config_selectorILNS1_17partition_subalgoE6EN6thrust23THRUST_200600_302600_NS5tupleIddNS7_9null_typeES9_S9_S9_S9_S9_S9_S9_EENS0_10empty_typeEbEEZZNS1_14partition_implILS5_6ELb0ES3_mNS7_12zip_iteratorINS8_INS7_6detail15normal_iteratorINS7_10device_ptrIdEEEESJ_S9_S9_S9_S9_S9_S9_S9_S9_EEEEPSB_SM_NS0_5tupleIJNSE_INS8_ISJ_NS7_16discard_iteratorINS7_11use_defaultEEES9_S9_S9_S9_S9_S9_S9_S9_EEEESB_EEENSN_IJSM_SM_EEESB_PlJNSF_9not_fun_tINSF_14equal_to_valueISA_EEEEEEE10hipError_tPvRmT3_T4_T5_T6_T7_T9_mT8_P12ihipStream_tbDpT10_ENKUlT_T0_E_clISt17integral_constantIbLb0EES1I_IbLb1EEEEDaS1E_S1F_EUlS1E_E_NS1_11comp_targetILNS1_3genE3ELNS1_11target_archE908ELNS1_3gpuE7ELNS1_3repE0EEENS1_30default_config_static_selectorELNS0_4arch9wavefront6targetE0EEEvT1_
	.p2align	8
	.type	_ZN7rocprim17ROCPRIM_400000_NS6detail17trampoline_kernelINS0_14default_configENS1_25partition_config_selectorILNS1_17partition_subalgoE6EN6thrust23THRUST_200600_302600_NS5tupleIddNS7_9null_typeES9_S9_S9_S9_S9_S9_S9_EENS0_10empty_typeEbEEZZNS1_14partition_implILS5_6ELb0ES3_mNS7_12zip_iteratorINS8_INS7_6detail15normal_iteratorINS7_10device_ptrIdEEEESJ_S9_S9_S9_S9_S9_S9_S9_S9_EEEEPSB_SM_NS0_5tupleIJNSE_INS8_ISJ_NS7_16discard_iteratorINS7_11use_defaultEEES9_S9_S9_S9_S9_S9_S9_S9_EEEESB_EEENSN_IJSM_SM_EEESB_PlJNSF_9not_fun_tINSF_14equal_to_valueISA_EEEEEEE10hipError_tPvRmT3_T4_T5_T6_T7_T9_mT8_P12ihipStream_tbDpT10_ENKUlT_T0_E_clISt17integral_constantIbLb0EES1I_IbLb1EEEEDaS1E_S1F_EUlS1E_E_NS1_11comp_targetILNS1_3genE3ELNS1_11target_archE908ELNS1_3gpuE7ELNS1_3repE0EEENS1_30default_config_static_selectorELNS0_4arch9wavefront6targetE0EEEvT1_,@function
_ZN7rocprim17ROCPRIM_400000_NS6detail17trampoline_kernelINS0_14default_configENS1_25partition_config_selectorILNS1_17partition_subalgoE6EN6thrust23THRUST_200600_302600_NS5tupleIddNS7_9null_typeES9_S9_S9_S9_S9_S9_S9_EENS0_10empty_typeEbEEZZNS1_14partition_implILS5_6ELb0ES3_mNS7_12zip_iteratorINS8_INS7_6detail15normal_iteratorINS7_10device_ptrIdEEEESJ_S9_S9_S9_S9_S9_S9_S9_S9_EEEEPSB_SM_NS0_5tupleIJNSE_INS8_ISJ_NS7_16discard_iteratorINS7_11use_defaultEEES9_S9_S9_S9_S9_S9_S9_S9_EEEESB_EEENSN_IJSM_SM_EEESB_PlJNSF_9not_fun_tINSF_14equal_to_valueISA_EEEEEEE10hipError_tPvRmT3_T4_T5_T6_T7_T9_mT8_P12ihipStream_tbDpT10_ENKUlT_T0_E_clISt17integral_constantIbLb0EES1I_IbLb1EEEEDaS1E_S1F_EUlS1E_E_NS1_11comp_targetILNS1_3genE3ELNS1_11target_archE908ELNS1_3gpuE7ELNS1_3repE0EEENS1_30default_config_static_selectorELNS0_4arch9wavefront6targetE0EEEvT1_: ; @_ZN7rocprim17ROCPRIM_400000_NS6detail17trampoline_kernelINS0_14default_configENS1_25partition_config_selectorILNS1_17partition_subalgoE6EN6thrust23THRUST_200600_302600_NS5tupleIddNS7_9null_typeES9_S9_S9_S9_S9_S9_S9_EENS0_10empty_typeEbEEZZNS1_14partition_implILS5_6ELb0ES3_mNS7_12zip_iteratorINS8_INS7_6detail15normal_iteratorINS7_10device_ptrIdEEEESJ_S9_S9_S9_S9_S9_S9_S9_S9_EEEEPSB_SM_NS0_5tupleIJNSE_INS8_ISJ_NS7_16discard_iteratorINS7_11use_defaultEEES9_S9_S9_S9_S9_S9_S9_S9_EEEESB_EEENSN_IJSM_SM_EEESB_PlJNSF_9not_fun_tINSF_14equal_to_valueISA_EEEEEEE10hipError_tPvRmT3_T4_T5_T6_T7_T9_mT8_P12ihipStream_tbDpT10_ENKUlT_T0_E_clISt17integral_constantIbLb0EES1I_IbLb1EEEEDaS1E_S1F_EUlS1E_E_NS1_11comp_targetILNS1_3genE3ELNS1_11target_archE908ELNS1_3gpuE7ELNS1_3repE0EEENS1_30default_config_static_selectorELNS0_4arch9wavefront6targetE0EEEvT1_
; %bb.0:
	.section	.rodata,"a",@progbits
	.p2align	6, 0x0
	.amdhsa_kernel _ZN7rocprim17ROCPRIM_400000_NS6detail17trampoline_kernelINS0_14default_configENS1_25partition_config_selectorILNS1_17partition_subalgoE6EN6thrust23THRUST_200600_302600_NS5tupleIddNS7_9null_typeES9_S9_S9_S9_S9_S9_S9_EENS0_10empty_typeEbEEZZNS1_14partition_implILS5_6ELb0ES3_mNS7_12zip_iteratorINS8_INS7_6detail15normal_iteratorINS7_10device_ptrIdEEEESJ_S9_S9_S9_S9_S9_S9_S9_S9_EEEEPSB_SM_NS0_5tupleIJNSE_INS8_ISJ_NS7_16discard_iteratorINS7_11use_defaultEEES9_S9_S9_S9_S9_S9_S9_S9_EEEESB_EEENSN_IJSM_SM_EEESB_PlJNSF_9not_fun_tINSF_14equal_to_valueISA_EEEEEEE10hipError_tPvRmT3_T4_T5_T6_T7_T9_mT8_P12ihipStream_tbDpT10_ENKUlT_T0_E_clISt17integral_constantIbLb0EES1I_IbLb1EEEEDaS1E_S1F_EUlS1E_E_NS1_11comp_targetILNS1_3genE3ELNS1_11target_archE908ELNS1_3gpuE7ELNS1_3repE0EEENS1_30default_config_static_selectorELNS0_4arch9wavefront6targetE0EEEvT1_
		.amdhsa_group_segment_fixed_size 0
		.amdhsa_private_segment_fixed_size 0
		.amdhsa_kernarg_size 160
		.amdhsa_user_sgpr_count 2
		.amdhsa_user_sgpr_dispatch_ptr 0
		.amdhsa_user_sgpr_queue_ptr 0
		.amdhsa_user_sgpr_kernarg_segment_ptr 1
		.amdhsa_user_sgpr_dispatch_id 0
		.amdhsa_user_sgpr_private_segment_size 0
		.amdhsa_wavefront_size32 1
		.amdhsa_uses_dynamic_stack 0
		.amdhsa_enable_private_segment 0
		.amdhsa_system_sgpr_workgroup_id_x 1
		.amdhsa_system_sgpr_workgroup_id_y 0
		.amdhsa_system_sgpr_workgroup_id_z 0
		.amdhsa_system_sgpr_workgroup_info 0
		.amdhsa_system_vgpr_workitem_id 0
		.amdhsa_next_free_vgpr 1
		.amdhsa_next_free_sgpr 1
		.amdhsa_reserve_vcc 0
		.amdhsa_float_round_mode_32 0
		.amdhsa_float_round_mode_16_64 0
		.amdhsa_float_denorm_mode_32 3
		.amdhsa_float_denorm_mode_16_64 3
		.amdhsa_fp16_overflow 0
		.amdhsa_workgroup_processor_mode 1
		.amdhsa_memory_ordered 1
		.amdhsa_forward_progress 1
		.amdhsa_inst_pref_size 0
		.amdhsa_round_robin_scheduling 0
		.amdhsa_exception_fp_ieee_invalid_op 0
		.amdhsa_exception_fp_denorm_src 0
		.amdhsa_exception_fp_ieee_div_zero 0
		.amdhsa_exception_fp_ieee_overflow 0
		.amdhsa_exception_fp_ieee_underflow 0
		.amdhsa_exception_fp_ieee_inexact 0
		.amdhsa_exception_int_div_zero 0
	.end_amdhsa_kernel
	.section	.text._ZN7rocprim17ROCPRIM_400000_NS6detail17trampoline_kernelINS0_14default_configENS1_25partition_config_selectorILNS1_17partition_subalgoE6EN6thrust23THRUST_200600_302600_NS5tupleIddNS7_9null_typeES9_S9_S9_S9_S9_S9_S9_EENS0_10empty_typeEbEEZZNS1_14partition_implILS5_6ELb0ES3_mNS7_12zip_iteratorINS8_INS7_6detail15normal_iteratorINS7_10device_ptrIdEEEESJ_S9_S9_S9_S9_S9_S9_S9_S9_EEEEPSB_SM_NS0_5tupleIJNSE_INS8_ISJ_NS7_16discard_iteratorINS7_11use_defaultEEES9_S9_S9_S9_S9_S9_S9_S9_EEEESB_EEENSN_IJSM_SM_EEESB_PlJNSF_9not_fun_tINSF_14equal_to_valueISA_EEEEEEE10hipError_tPvRmT3_T4_T5_T6_T7_T9_mT8_P12ihipStream_tbDpT10_ENKUlT_T0_E_clISt17integral_constantIbLb0EES1I_IbLb1EEEEDaS1E_S1F_EUlS1E_E_NS1_11comp_targetILNS1_3genE3ELNS1_11target_archE908ELNS1_3gpuE7ELNS1_3repE0EEENS1_30default_config_static_selectorELNS0_4arch9wavefront6targetE0EEEvT1_,"axG",@progbits,_ZN7rocprim17ROCPRIM_400000_NS6detail17trampoline_kernelINS0_14default_configENS1_25partition_config_selectorILNS1_17partition_subalgoE6EN6thrust23THRUST_200600_302600_NS5tupleIddNS7_9null_typeES9_S9_S9_S9_S9_S9_S9_EENS0_10empty_typeEbEEZZNS1_14partition_implILS5_6ELb0ES3_mNS7_12zip_iteratorINS8_INS7_6detail15normal_iteratorINS7_10device_ptrIdEEEESJ_S9_S9_S9_S9_S9_S9_S9_S9_EEEEPSB_SM_NS0_5tupleIJNSE_INS8_ISJ_NS7_16discard_iteratorINS7_11use_defaultEEES9_S9_S9_S9_S9_S9_S9_S9_EEEESB_EEENSN_IJSM_SM_EEESB_PlJNSF_9not_fun_tINSF_14equal_to_valueISA_EEEEEEE10hipError_tPvRmT3_T4_T5_T6_T7_T9_mT8_P12ihipStream_tbDpT10_ENKUlT_T0_E_clISt17integral_constantIbLb0EES1I_IbLb1EEEEDaS1E_S1F_EUlS1E_E_NS1_11comp_targetILNS1_3genE3ELNS1_11target_archE908ELNS1_3gpuE7ELNS1_3repE0EEENS1_30default_config_static_selectorELNS0_4arch9wavefront6targetE0EEEvT1_,comdat
.Lfunc_end1848:
	.size	_ZN7rocprim17ROCPRIM_400000_NS6detail17trampoline_kernelINS0_14default_configENS1_25partition_config_selectorILNS1_17partition_subalgoE6EN6thrust23THRUST_200600_302600_NS5tupleIddNS7_9null_typeES9_S9_S9_S9_S9_S9_S9_EENS0_10empty_typeEbEEZZNS1_14partition_implILS5_6ELb0ES3_mNS7_12zip_iteratorINS8_INS7_6detail15normal_iteratorINS7_10device_ptrIdEEEESJ_S9_S9_S9_S9_S9_S9_S9_S9_EEEEPSB_SM_NS0_5tupleIJNSE_INS8_ISJ_NS7_16discard_iteratorINS7_11use_defaultEEES9_S9_S9_S9_S9_S9_S9_S9_EEEESB_EEENSN_IJSM_SM_EEESB_PlJNSF_9not_fun_tINSF_14equal_to_valueISA_EEEEEEE10hipError_tPvRmT3_T4_T5_T6_T7_T9_mT8_P12ihipStream_tbDpT10_ENKUlT_T0_E_clISt17integral_constantIbLb0EES1I_IbLb1EEEEDaS1E_S1F_EUlS1E_E_NS1_11comp_targetILNS1_3genE3ELNS1_11target_archE908ELNS1_3gpuE7ELNS1_3repE0EEENS1_30default_config_static_selectorELNS0_4arch9wavefront6targetE0EEEvT1_, .Lfunc_end1848-_ZN7rocprim17ROCPRIM_400000_NS6detail17trampoline_kernelINS0_14default_configENS1_25partition_config_selectorILNS1_17partition_subalgoE6EN6thrust23THRUST_200600_302600_NS5tupleIddNS7_9null_typeES9_S9_S9_S9_S9_S9_S9_EENS0_10empty_typeEbEEZZNS1_14partition_implILS5_6ELb0ES3_mNS7_12zip_iteratorINS8_INS7_6detail15normal_iteratorINS7_10device_ptrIdEEEESJ_S9_S9_S9_S9_S9_S9_S9_S9_EEEEPSB_SM_NS0_5tupleIJNSE_INS8_ISJ_NS7_16discard_iteratorINS7_11use_defaultEEES9_S9_S9_S9_S9_S9_S9_S9_EEEESB_EEENSN_IJSM_SM_EEESB_PlJNSF_9not_fun_tINSF_14equal_to_valueISA_EEEEEEE10hipError_tPvRmT3_T4_T5_T6_T7_T9_mT8_P12ihipStream_tbDpT10_ENKUlT_T0_E_clISt17integral_constantIbLb0EES1I_IbLb1EEEEDaS1E_S1F_EUlS1E_E_NS1_11comp_targetILNS1_3genE3ELNS1_11target_archE908ELNS1_3gpuE7ELNS1_3repE0EEENS1_30default_config_static_selectorELNS0_4arch9wavefront6targetE0EEEvT1_
                                        ; -- End function
	.set _ZN7rocprim17ROCPRIM_400000_NS6detail17trampoline_kernelINS0_14default_configENS1_25partition_config_selectorILNS1_17partition_subalgoE6EN6thrust23THRUST_200600_302600_NS5tupleIddNS7_9null_typeES9_S9_S9_S9_S9_S9_S9_EENS0_10empty_typeEbEEZZNS1_14partition_implILS5_6ELb0ES3_mNS7_12zip_iteratorINS8_INS7_6detail15normal_iteratorINS7_10device_ptrIdEEEESJ_S9_S9_S9_S9_S9_S9_S9_S9_EEEEPSB_SM_NS0_5tupleIJNSE_INS8_ISJ_NS7_16discard_iteratorINS7_11use_defaultEEES9_S9_S9_S9_S9_S9_S9_S9_EEEESB_EEENSN_IJSM_SM_EEESB_PlJNSF_9not_fun_tINSF_14equal_to_valueISA_EEEEEEE10hipError_tPvRmT3_T4_T5_T6_T7_T9_mT8_P12ihipStream_tbDpT10_ENKUlT_T0_E_clISt17integral_constantIbLb0EES1I_IbLb1EEEEDaS1E_S1F_EUlS1E_E_NS1_11comp_targetILNS1_3genE3ELNS1_11target_archE908ELNS1_3gpuE7ELNS1_3repE0EEENS1_30default_config_static_selectorELNS0_4arch9wavefront6targetE0EEEvT1_.num_vgpr, 0
	.set _ZN7rocprim17ROCPRIM_400000_NS6detail17trampoline_kernelINS0_14default_configENS1_25partition_config_selectorILNS1_17partition_subalgoE6EN6thrust23THRUST_200600_302600_NS5tupleIddNS7_9null_typeES9_S9_S9_S9_S9_S9_S9_EENS0_10empty_typeEbEEZZNS1_14partition_implILS5_6ELb0ES3_mNS7_12zip_iteratorINS8_INS7_6detail15normal_iteratorINS7_10device_ptrIdEEEESJ_S9_S9_S9_S9_S9_S9_S9_S9_EEEEPSB_SM_NS0_5tupleIJNSE_INS8_ISJ_NS7_16discard_iteratorINS7_11use_defaultEEES9_S9_S9_S9_S9_S9_S9_S9_EEEESB_EEENSN_IJSM_SM_EEESB_PlJNSF_9not_fun_tINSF_14equal_to_valueISA_EEEEEEE10hipError_tPvRmT3_T4_T5_T6_T7_T9_mT8_P12ihipStream_tbDpT10_ENKUlT_T0_E_clISt17integral_constantIbLb0EES1I_IbLb1EEEEDaS1E_S1F_EUlS1E_E_NS1_11comp_targetILNS1_3genE3ELNS1_11target_archE908ELNS1_3gpuE7ELNS1_3repE0EEENS1_30default_config_static_selectorELNS0_4arch9wavefront6targetE0EEEvT1_.num_agpr, 0
	.set _ZN7rocprim17ROCPRIM_400000_NS6detail17trampoline_kernelINS0_14default_configENS1_25partition_config_selectorILNS1_17partition_subalgoE6EN6thrust23THRUST_200600_302600_NS5tupleIddNS7_9null_typeES9_S9_S9_S9_S9_S9_S9_EENS0_10empty_typeEbEEZZNS1_14partition_implILS5_6ELb0ES3_mNS7_12zip_iteratorINS8_INS7_6detail15normal_iteratorINS7_10device_ptrIdEEEESJ_S9_S9_S9_S9_S9_S9_S9_S9_EEEEPSB_SM_NS0_5tupleIJNSE_INS8_ISJ_NS7_16discard_iteratorINS7_11use_defaultEEES9_S9_S9_S9_S9_S9_S9_S9_EEEESB_EEENSN_IJSM_SM_EEESB_PlJNSF_9not_fun_tINSF_14equal_to_valueISA_EEEEEEE10hipError_tPvRmT3_T4_T5_T6_T7_T9_mT8_P12ihipStream_tbDpT10_ENKUlT_T0_E_clISt17integral_constantIbLb0EES1I_IbLb1EEEEDaS1E_S1F_EUlS1E_E_NS1_11comp_targetILNS1_3genE3ELNS1_11target_archE908ELNS1_3gpuE7ELNS1_3repE0EEENS1_30default_config_static_selectorELNS0_4arch9wavefront6targetE0EEEvT1_.numbered_sgpr, 0
	.set _ZN7rocprim17ROCPRIM_400000_NS6detail17trampoline_kernelINS0_14default_configENS1_25partition_config_selectorILNS1_17partition_subalgoE6EN6thrust23THRUST_200600_302600_NS5tupleIddNS7_9null_typeES9_S9_S9_S9_S9_S9_S9_EENS0_10empty_typeEbEEZZNS1_14partition_implILS5_6ELb0ES3_mNS7_12zip_iteratorINS8_INS7_6detail15normal_iteratorINS7_10device_ptrIdEEEESJ_S9_S9_S9_S9_S9_S9_S9_S9_EEEEPSB_SM_NS0_5tupleIJNSE_INS8_ISJ_NS7_16discard_iteratorINS7_11use_defaultEEES9_S9_S9_S9_S9_S9_S9_S9_EEEESB_EEENSN_IJSM_SM_EEESB_PlJNSF_9not_fun_tINSF_14equal_to_valueISA_EEEEEEE10hipError_tPvRmT3_T4_T5_T6_T7_T9_mT8_P12ihipStream_tbDpT10_ENKUlT_T0_E_clISt17integral_constantIbLb0EES1I_IbLb1EEEEDaS1E_S1F_EUlS1E_E_NS1_11comp_targetILNS1_3genE3ELNS1_11target_archE908ELNS1_3gpuE7ELNS1_3repE0EEENS1_30default_config_static_selectorELNS0_4arch9wavefront6targetE0EEEvT1_.num_named_barrier, 0
	.set _ZN7rocprim17ROCPRIM_400000_NS6detail17trampoline_kernelINS0_14default_configENS1_25partition_config_selectorILNS1_17partition_subalgoE6EN6thrust23THRUST_200600_302600_NS5tupleIddNS7_9null_typeES9_S9_S9_S9_S9_S9_S9_EENS0_10empty_typeEbEEZZNS1_14partition_implILS5_6ELb0ES3_mNS7_12zip_iteratorINS8_INS7_6detail15normal_iteratorINS7_10device_ptrIdEEEESJ_S9_S9_S9_S9_S9_S9_S9_S9_EEEEPSB_SM_NS0_5tupleIJNSE_INS8_ISJ_NS7_16discard_iteratorINS7_11use_defaultEEES9_S9_S9_S9_S9_S9_S9_S9_EEEESB_EEENSN_IJSM_SM_EEESB_PlJNSF_9not_fun_tINSF_14equal_to_valueISA_EEEEEEE10hipError_tPvRmT3_T4_T5_T6_T7_T9_mT8_P12ihipStream_tbDpT10_ENKUlT_T0_E_clISt17integral_constantIbLb0EES1I_IbLb1EEEEDaS1E_S1F_EUlS1E_E_NS1_11comp_targetILNS1_3genE3ELNS1_11target_archE908ELNS1_3gpuE7ELNS1_3repE0EEENS1_30default_config_static_selectorELNS0_4arch9wavefront6targetE0EEEvT1_.private_seg_size, 0
	.set _ZN7rocprim17ROCPRIM_400000_NS6detail17trampoline_kernelINS0_14default_configENS1_25partition_config_selectorILNS1_17partition_subalgoE6EN6thrust23THRUST_200600_302600_NS5tupleIddNS7_9null_typeES9_S9_S9_S9_S9_S9_S9_EENS0_10empty_typeEbEEZZNS1_14partition_implILS5_6ELb0ES3_mNS7_12zip_iteratorINS8_INS7_6detail15normal_iteratorINS7_10device_ptrIdEEEESJ_S9_S9_S9_S9_S9_S9_S9_S9_EEEEPSB_SM_NS0_5tupleIJNSE_INS8_ISJ_NS7_16discard_iteratorINS7_11use_defaultEEES9_S9_S9_S9_S9_S9_S9_S9_EEEESB_EEENSN_IJSM_SM_EEESB_PlJNSF_9not_fun_tINSF_14equal_to_valueISA_EEEEEEE10hipError_tPvRmT3_T4_T5_T6_T7_T9_mT8_P12ihipStream_tbDpT10_ENKUlT_T0_E_clISt17integral_constantIbLb0EES1I_IbLb1EEEEDaS1E_S1F_EUlS1E_E_NS1_11comp_targetILNS1_3genE3ELNS1_11target_archE908ELNS1_3gpuE7ELNS1_3repE0EEENS1_30default_config_static_selectorELNS0_4arch9wavefront6targetE0EEEvT1_.uses_vcc, 0
	.set _ZN7rocprim17ROCPRIM_400000_NS6detail17trampoline_kernelINS0_14default_configENS1_25partition_config_selectorILNS1_17partition_subalgoE6EN6thrust23THRUST_200600_302600_NS5tupleIddNS7_9null_typeES9_S9_S9_S9_S9_S9_S9_EENS0_10empty_typeEbEEZZNS1_14partition_implILS5_6ELb0ES3_mNS7_12zip_iteratorINS8_INS7_6detail15normal_iteratorINS7_10device_ptrIdEEEESJ_S9_S9_S9_S9_S9_S9_S9_S9_EEEEPSB_SM_NS0_5tupleIJNSE_INS8_ISJ_NS7_16discard_iteratorINS7_11use_defaultEEES9_S9_S9_S9_S9_S9_S9_S9_EEEESB_EEENSN_IJSM_SM_EEESB_PlJNSF_9not_fun_tINSF_14equal_to_valueISA_EEEEEEE10hipError_tPvRmT3_T4_T5_T6_T7_T9_mT8_P12ihipStream_tbDpT10_ENKUlT_T0_E_clISt17integral_constantIbLb0EES1I_IbLb1EEEEDaS1E_S1F_EUlS1E_E_NS1_11comp_targetILNS1_3genE3ELNS1_11target_archE908ELNS1_3gpuE7ELNS1_3repE0EEENS1_30default_config_static_selectorELNS0_4arch9wavefront6targetE0EEEvT1_.uses_flat_scratch, 0
	.set _ZN7rocprim17ROCPRIM_400000_NS6detail17trampoline_kernelINS0_14default_configENS1_25partition_config_selectorILNS1_17partition_subalgoE6EN6thrust23THRUST_200600_302600_NS5tupleIddNS7_9null_typeES9_S9_S9_S9_S9_S9_S9_EENS0_10empty_typeEbEEZZNS1_14partition_implILS5_6ELb0ES3_mNS7_12zip_iteratorINS8_INS7_6detail15normal_iteratorINS7_10device_ptrIdEEEESJ_S9_S9_S9_S9_S9_S9_S9_S9_EEEEPSB_SM_NS0_5tupleIJNSE_INS8_ISJ_NS7_16discard_iteratorINS7_11use_defaultEEES9_S9_S9_S9_S9_S9_S9_S9_EEEESB_EEENSN_IJSM_SM_EEESB_PlJNSF_9not_fun_tINSF_14equal_to_valueISA_EEEEEEE10hipError_tPvRmT3_T4_T5_T6_T7_T9_mT8_P12ihipStream_tbDpT10_ENKUlT_T0_E_clISt17integral_constantIbLb0EES1I_IbLb1EEEEDaS1E_S1F_EUlS1E_E_NS1_11comp_targetILNS1_3genE3ELNS1_11target_archE908ELNS1_3gpuE7ELNS1_3repE0EEENS1_30default_config_static_selectorELNS0_4arch9wavefront6targetE0EEEvT1_.has_dyn_sized_stack, 0
	.set _ZN7rocprim17ROCPRIM_400000_NS6detail17trampoline_kernelINS0_14default_configENS1_25partition_config_selectorILNS1_17partition_subalgoE6EN6thrust23THRUST_200600_302600_NS5tupleIddNS7_9null_typeES9_S9_S9_S9_S9_S9_S9_EENS0_10empty_typeEbEEZZNS1_14partition_implILS5_6ELb0ES3_mNS7_12zip_iteratorINS8_INS7_6detail15normal_iteratorINS7_10device_ptrIdEEEESJ_S9_S9_S9_S9_S9_S9_S9_S9_EEEEPSB_SM_NS0_5tupleIJNSE_INS8_ISJ_NS7_16discard_iteratorINS7_11use_defaultEEES9_S9_S9_S9_S9_S9_S9_S9_EEEESB_EEENSN_IJSM_SM_EEESB_PlJNSF_9not_fun_tINSF_14equal_to_valueISA_EEEEEEE10hipError_tPvRmT3_T4_T5_T6_T7_T9_mT8_P12ihipStream_tbDpT10_ENKUlT_T0_E_clISt17integral_constantIbLb0EES1I_IbLb1EEEEDaS1E_S1F_EUlS1E_E_NS1_11comp_targetILNS1_3genE3ELNS1_11target_archE908ELNS1_3gpuE7ELNS1_3repE0EEENS1_30default_config_static_selectorELNS0_4arch9wavefront6targetE0EEEvT1_.has_recursion, 0
	.set _ZN7rocprim17ROCPRIM_400000_NS6detail17trampoline_kernelINS0_14default_configENS1_25partition_config_selectorILNS1_17partition_subalgoE6EN6thrust23THRUST_200600_302600_NS5tupleIddNS7_9null_typeES9_S9_S9_S9_S9_S9_S9_EENS0_10empty_typeEbEEZZNS1_14partition_implILS5_6ELb0ES3_mNS7_12zip_iteratorINS8_INS7_6detail15normal_iteratorINS7_10device_ptrIdEEEESJ_S9_S9_S9_S9_S9_S9_S9_S9_EEEEPSB_SM_NS0_5tupleIJNSE_INS8_ISJ_NS7_16discard_iteratorINS7_11use_defaultEEES9_S9_S9_S9_S9_S9_S9_S9_EEEESB_EEENSN_IJSM_SM_EEESB_PlJNSF_9not_fun_tINSF_14equal_to_valueISA_EEEEEEE10hipError_tPvRmT3_T4_T5_T6_T7_T9_mT8_P12ihipStream_tbDpT10_ENKUlT_T0_E_clISt17integral_constantIbLb0EES1I_IbLb1EEEEDaS1E_S1F_EUlS1E_E_NS1_11comp_targetILNS1_3genE3ELNS1_11target_archE908ELNS1_3gpuE7ELNS1_3repE0EEENS1_30default_config_static_selectorELNS0_4arch9wavefront6targetE0EEEvT1_.has_indirect_call, 0
	.section	.AMDGPU.csdata,"",@progbits
; Kernel info:
; codeLenInByte = 0
; TotalNumSgprs: 0
; NumVgprs: 0
; ScratchSize: 0
; MemoryBound: 0
; FloatMode: 240
; IeeeMode: 1
; LDSByteSize: 0 bytes/workgroup (compile time only)
; SGPRBlocks: 0
; VGPRBlocks: 0
; NumSGPRsForWavesPerEU: 1
; NumVGPRsForWavesPerEU: 1
; Occupancy: 16
; WaveLimiterHint : 0
; COMPUTE_PGM_RSRC2:SCRATCH_EN: 0
; COMPUTE_PGM_RSRC2:USER_SGPR: 2
; COMPUTE_PGM_RSRC2:TRAP_HANDLER: 0
; COMPUTE_PGM_RSRC2:TGID_X_EN: 1
; COMPUTE_PGM_RSRC2:TGID_Y_EN: 0
; COMPUTE_PGM_RSRC2:TGID_Z_EN: 0
; COMPUTE_PGM_RSRC2:TIDIG_COMP_CNT: 0
	.section	.text._ZN7rocprim17ROCPRIM_400000_NS6detail17trampoline_kernelINS0_14default_configENS1_25partition_config_selectorILNS1_17partition_subalgoE6EN6thrust23THRUST_200600_302600_NS5tupleIddNS7_9null_typeES9_S9_S9_S9_S9_S9_S9_EENS0_10empty_typeEbEEZZNS1_14partition_implILS5_6ELb0ES3_mNS7_12zip_iteratorINS8_INS7_6detail15normal_iteratorINS7_10device_ptrIdEEEESJ_S9_S9_S9_S9_S9_S9_S9_S9_EEEEPSB_SM_NS0_5tupleIJNSE_INS8_ISJ_NS7_16discard_iteratorINS7_11use_defaultEEES9_S9_S9_S9_S9_S9_S9_S9_EEEESB_EEENSN_IJSM_SM_EEESB_PlJNSF_9not_fun_tINSF_14equal_to_valueISA_EEEEEEE10hipError_tPvRmT3_T4_T5_T6_T7_T9_mT8_P12ihipStream_tbDpT10_ENKUlT_T0_E_clISt17integral_constantIbLb0EES1I_IbLb1EEEEDaS1E_S1F_EUlS1E_E_NS1_11comp_targetILNS1_3genE2ELNS1_11target_archE906ELNS1_3gpuE6ELNS1_3repE0EEENS1_30default_config_static_selectorELNS0_4arch9wavefront6targetE0EEEvT1_,"axG",@progbits,_ZN7rocprim17ROCPRIM_400000_NS6detail17trampoline_kernelINS0_14default_configENS1_25partition_config_selectorILNS1_17partition_subalgoE6EN6thrust23THRUST_200600_302600_NS5tupleIddNS7_9null_typeES9_S9_S9_S9_S9_S9_S9_EENS0_10empty_typeEbEEZZNS1_14partition_implILS5_6ELb0ES3_mNS7_12zip_iteratorINS8_INS7_6detail15normal_iteratorINS7_10device_ptrIdEEEESJ_S9_S9_S9_S9_S9_S9_S9_S9_EEEEPSB_SM_NS0_5tupleIJNSE_INS8_ISJ_NS7_16discard_iteratorINS7_11use_defaultEEES9_S9_S9_S9_S9_S9_S9_S9_EEEESB_EEENSN_IJSM_SM_EEESB_PlJNSF_9not_fun_tINSF_14equal_to_valueISA_EEEEEEE10hipError_tPvRmT3_T4_T5_T6_T7_T9_mT8_P12ihipStream_tbDpT10_ENKUlT_T0_E_clISt17integral_constantIbLb0EES1I_IbLb1EEEEDaS1E_S1F_EUlS1E_E_NS1_11comp_targetILNS1_3genE2ELNS1_11target_archE906ELNS1_3gpuE6ELNS1_3repE0EEENS1_30default_config_static_selectorELNS0_4arch9wavefront6targetE0EEEvT1_,comdat
	.protected	_ZN7rocprim17ROCPRIM_400000_NS6detail17trampoline_kernelINS0_14default_configENS1_25partition_config_selectorILNS1_17partition_subalgoE6EN6thrust23THRUST_200600_302600_NS5tupleIddNS7_9null_typeES9_S9_S9_S9_S9_S9_S9_EENS0_10empty_typeEbEEZZNS1_14partition_implILS5_6ELb0ES3_mNS7_12zip_iteratorINS8_INS7_6detail15normal_iteratorINS7_10device_ptrIdEEEESJ_S9_S9_S9_S9_S9_S9_S9_S9_EEEEPSB_SM_NS0_5tupleIJNSE_INS8_ISJ_NS7_16discard_iteratorINS7_11use_defaultEEES9_S9_S9_S9_S9_S9_S9_S9_EEEESB_EEENSN_IJSM_SM_EEESB_PlJNSF_9not_fun_tINSF_14equal_to_valueISA_EEEEEEE10hipError_tPvRmT3_T4_T5_T6_T7_T9_mT8_P12ihipStream_tbDpT10_ENKUlT_T0_E_clISt17integral_constantIbLb0EES1I_IbLb1EEEEDaS1E_S1F_EUlS1E_E_NS1_11comp_targetILNS1_3genE2ELNS1_11target_archE906ELNS1_3gpuE6ELNS1_3repE0EEENS1_30default_config_static_selectorELNS0_4arch9wavefront6targetE0EEEvT1_ ; -- Begin function _ZN7rocprim17ROCPRIM_400000_NS6detail17trampoline_kernelINS0_14default_configENS1_25partition_config_selectorILNS1_17partition_subalgoE6EN6thrust23THRUST_200600_302600_NS5tupleIddNS7_9null_typeES9_S9_S9_S9_S9_S9_S9_EENS0_10empty_typeEbEEZZNS1_14partition_implILS5_6ELb0ES3_mNS7_12zip_iteratorINS8_INS7_6detail15normal_iteratorINS7_10device_ptrIdEEEESJ_S9_S9_S9_S9_S9_S9_S9_S9_EEEEPSB_SM_NS0_5tupleIJNSE_INS8_ISJ_NS7_16discard_iteratorINS7_11use_defaultEEES9_S9_S9_S9_S9_S9_S9_S9_EEEESB_EEENSN_IJSM_SM_EEESB_PlJNSF_9not_fun_tINSF_14equal_to_valueISA_EEEEEEE10hipError_tPvRmT3_T4_T5_T6_T7_T9_mT8_P12ihipStream_tbDpT10_ENKUlT_T0_E_clISt17integral_constantIbLb0EES1I_IbLb1EEEEDaS1E_S1F_EUlS1E_E_NS1_11comp_targetILNS1_3genE2ELNS1_11target_archE906ELNS1_3gpuE6ELNS1_3repE0EEENS1_30default_config_static_selectorELNS0_4arch9wavefront6targetE0EEEvT1_
	.globl	_ZN7rocprim17ROCPRIM_400000_NS6detail17trampoline_kernelINS0_14default_configENS1_25partition_config_selectorILNS1_17partition_subalgoE6EN6thrust23THRUST_200600_302600_NS5tupleIddNS7_9null_typeES9_S9_S9_S9_S9_S9_S9_EENS0_10empty_typeEbEEZZNS1_14partition_implILS5_6ELb0ES3_mNS7_12zip_iteratorINS8_INS7_6detail15normal_iteratorINS7_10device_ptrIdEEEESJ_S9_S9_S9_S9_S9_S9_S9_S9_EEEEPSB_SM_NS0_5tupleIJNSE_INS8_ISJ_NS7_16discard_iteratorINS7_11use_defaultEEES9_S9_S9_S9_S9_S9_S9_S9_EEEESB_EEENSN_IJSM_SM_EEESB_PlJNSF_9not_fun_tINSF_14equal_to_valueISA_EEEEEEE10hipError_tPvRmT3_T4_T5_T6_T7_T9_mT8_P12ihipStream_tbDpT10_ENKUlT_T0_E_clISt17integral_constantIbLb0EES1I_IbLb1EEEEDaS1E_S1F_EUlS1E_E_NS1_11comp_targetILNS1_3genE2ELNS1_11target_archE906ELNS1_3gpuE6ELNS1_3repE0EEENS1_30default_config_static_selectorELNS0_4arch9wavefront6targetE0EEEvT1_
	.p2align	8
	.type	_ZN7rocprim17ROCPRIM_400000_NS6detail17trampoline_kernelINS0_14default_configENS1_25partition_config_selectorILNS1_17partition_subalgoE6EN6thrust23THRUST_200600_302600_NS5tupleIddNS7_9null_typeES9_S9_S9_S9_S9_S9_S9_EENS0_10empty_typeEbEEZZNS1_14partition_implILS5_6ELb0ES3_mNS7_12zip_iteratorINS8_INS7_6detail15normal_iteratorINS7_10device_ptrIdEEEESJ_S9_S9_S9_S9_S9_S9_S9_S9_EEEEPSB_SM_NS0_5tupleIJNSE_INS8_ISJ_NS7_16discard_iteratorINS7_11use_defaultEEES9_S9_S9_S9_S9_S9_S9_S9_EEEESB_EEENSN_IJSM_SM_EEESB_PlJNSF_9not_fun_tINSF_14equal_to_valueISA_EEEEEEE10hipError_tPvRmT3_T4_T5_T6_T7_T9_mT8_P12ihipStream_tbDpT10_ENKUlT_T0_E_clISt17integral_constantIbLb0EES1I_IbLb1EEEEDaS1E_S1F_EUlS1E_E_NS1_11comp_targetILNS1_3genE2ELNS1_11target_archE906ELNS1_3gpuE6ELNS1_3repE0EEENS1_30default_config_static_selectorELNS0_4arch9wavefront6targetE0EEEvT1_,@function
_ZN7rocprim17ROCPRIM_400000_NS6detail17trampoline_kernelINS0_14default_configENS1_25partition_config_selectorILNS1_17partition_subalgoE6EN6thrust23THRUST_200600_302600_NS5tupleIddNS7_9null_typeES9_S9_S9_S9_S9_S9_S9_EENS0_10empty_typeEbEEZZNS1_14partition_implILS5_6ELb0ES3_mNS7_12zip_iteratorINS8_INS7_6detail15normal_iteratorINS7_10device_ptrIdEEEESJ_S9_S9_S9_S9_S9_S9_S9_S9_EEEEPSB_SM_NS0_5tupleIJNSE_INS8_ISJ_NS7_16discard_iteratorINS7_11use_defaultEEES9_S9_S9_S9_S9_S9_S9_S9_EEEESB_EEENSN_IJSM_SM_EEESB_PlJNSF_9not_fun_tINSF_14equal_to_valueISA_EEEEEEE10hipError_tPvRmT3_T4_T5_T6_T7_T9_mT8_P12ihipStream_tbDpT10_ENKUlT_T0_E_clISt17integral_constantIbLb0EES1I_IbLb1EEEEDaS1E_S1F_EUlS1E_E_NS1_11comp_targetILNS1_3genE2ELNS1_11target_archE906ELNS1_3gpuE6ELNS1_3repE0EEENS1_30default_config_static_selectorELNS0_4arch9wavefront6targetE0EEEvT1_: ; @_ZN7rocprim17ROCPRIM_400000_NS6detail17trampoline_kernelINS0_14default_configENS1_25partition_config_selectorILNS1_17partition_subalgoE6EN6thrust23THRUST_200600_302600_NS5tupleIddNS7_9null_typeES9_S9_S9_S9_S9_S9_S9_EENS0_10empty_typeEbEEZZNS1_14partition_implILS5_6ELb0ES3_mNS7_12zip_iteratorINS8_INS7_6detail15normal_iteratorINS7_10device_ptrIdEEEESJ_S9_S9_S9_S9_S9_S9_S9_S9_EEEEPSB_SM_NS0_5tupleIJNSE_INS8_ISJ_NS7_16discard_iteratorINS7_11use_defaultEEES9_S9_S9_S9_S9_S9_S9_S9_EEEESB_EEENSN_IJSM_SM_EEESB_PlJNSF_9not_fun_tINSF_14equal_to_valueISA_EEEEEEE10hipError_tPvRmT3_T4_T5_T6_T7_T9_mT8_P12ihipStream_tbDpT10_ENKUlT_T0_E_clISt17integral_constantIbLb0EES1I_IbLb1EEEEDaS1E_S1F_EUlS1E_E_NS1_11comp_targetILNS1_3genE2ELNS1_11target_archE906ELNS1_3gpuE6ELNS1_3repE0EEENS1_30default_config_static_selectorELNS0_4arch9wavefront6targetE0EEEvT1_
; %bb.0:
	.section	.rodata,"a",@progbits
	.p2align	6, 0x0
	.amdhsa_kernel _ZN7rocprim17ROCPRIM_400000_NS6detail17trampoline_kernelINS0_14default_configENS1_25partition_config_selectorILNS1_17partition_subalgoE6EN6thrust23THRUST_200600_302600_NS5tupleIddNS7_9null_typeES9_S9_S9_S9_S9_S9_S9_EENS0_10empty_typeEbEEZZNS1_14partition_implILS5_6ELb0ES3_mNS7_12zip_iteratorINS8_INS7_6detail15normal_iteratorINS7_10device_ptrIdEEEESJ_S9_S9_S9_S9_S9_S9_S9_S9_EEEEPSB_SM_NS0_5tupleIJNSE_INS8_ISJ_NS7_16discard_iteratorINS7_11use_defaultEEES9_S9_S9_S9_S9_S9_S9_S9_EEEESB_EEENSN_IJSM_SM_EEESB_PlJNSF_9not_fun_tINSF_14equal_to_valueISA_EEEEEEE10hipError_tPvRmT3_T4_T5_T6_T7_T9_mT8_P12ihipStream_tbDpT10_ENKUlT_T0_E_clISt17integral_constantIbLb0EES1I_IbLb1EEEEDaS1E_S1F_EUlS1E_E_NS1_11comp_targetILNS1_3genE2ELNS1_11target_archE906ELNS1_3gpuE6ELNS1_3repE0EEENS1_30default_config_static_selectorELNS0_4arch9wavefront6targetE0EEEvT1_
		.amdhsa_group_segment_fixed_size 0
		.amdhsa_private_segment_fixed_size 0
		.amdhsa_kernarg_size 160
		.amdhsa_user_sgpr_count 2
		.amdhsa_user_sgpr_dispatch_ptr 0
		.amdhsa_user_sgpr_queue_ptr 0
		.amdhsa_user_sgpr_kernarg_segment_ptr 1
		.amdhsa_user_sgpr_dispatch_id 0
		.amdhsa_user_sgpr_private_segment_size 0
		.amdhsa_wavefront_size32 1
		.amdhsa_uses_dynamic_stack 0
		.amdhsa_enable_private_segment 0
		.amdhsa_system_sgpr_workgroup_id_x 1
		.amdhsa_system_sgpr_workgroup_id_y 0
		.amdhsa_system_sgpr_workgroup_id_z 0
		.amdhsa_system_sgpr_workgroup_info 0
		.amdhsa_system_vgpr_workitem_id 0
		.amdhsa_next_free_vgpr 1
		.amdhsa_next_free_sgpr 1
		.amdhsa_reserve_vcc 0
		.amdhsa_float_round_mode_32 0
		.amdhsa_float_round_mode_16_64 0
		.amdhsa_float_denorm_mode_32 3
		.amdhsa_float_denorm_mode_16_64 3
		.amdhsa_fp16_overflow 0
		.amdhsa_workgroup_processor_mode 1
		.amdhsa_memory_ordered 1
		.amdhsa_forward_progress 1
		.amdhsa_inst_pref_size 0
		.amdhsa_round_robin_scheduling 0
		.amdhsa_exception_fp_ieee_invalid_op 0
		.amdhsa_exception_fp_denorm_src 0
		.amdhsa_exception_fp_ieee_div_zero 0
		.amdhsa_exception_fp_ieee_overflow 0
		.amdhsa_exception_fp_ieee_underflow 0
		.amdhsa_exception_fp_ieee_inexact 0
		.amdhsa_exception_int_div_zero 0
	.end_amdhsa_kernel
	.section	.text._ZN7rocprim17ROCPRIM_400000_NS6detail17trampoline_kernelINS0_14default_configENS1_25partition_config_selectorILNS1_17partition_subalgoE6EN6thrust23THRUST_200600_302600_NS5tupleIddNS7_9null_typeES9_S9_S9_S9_S9_S9_S9_EENS0_10empty_typeEbEEZZNS1_14partition_implILS5_6ELb0ES3_mNS7_12zip_iteratorINS8_INS7_6detail15normal_iteratorINS7_10device_ptrIdEEEESJ_S9_S9_S9_S9_S9_S9_S9_S9_EEEEPSB_SM_NS0_5tupleIJNSE_INS8_ISJ_NS7_16discard_iteratorINS7_11use_defaultEEES9_S9_S9_S9_S9_S9_S9_S9_EEEESB_EEENSN_IJSM_SM_EEESB_PlJNSF_9not_fun_tINSF_14equal_to_valueISA_EEEEEEE10hipError_tPvRmT3_T4_T5_T6_T7_T9_mT8_P12ihipStream_tbDpT10_ENKUlT_T0_E_clISt17integral_constantIbLb0EES1I_IbLb1EEEEDaS1E_S1F_EUlS1E_E_NS1_11comp_targetILNS1_3genE2ELNS1_11target_archE906ELNS1_3gpuE6ELNS1_3repE0EEENS1_30default_config_static_selectorELNS0_4arch9wavefront6targetE0EEEvT1_,"axG",@progbits,_ZN7rocprim17ROCPRIM_400000_NS6detail17trampoline_kernelINS0_14default_configENS1_25partition_config_selectorILNS1_17partition_subalgoE6EN6thrust23THRUST_200600_302600_NS5tupleIddNS7_9null_typeES9_S9_S9_S9_S9_S9_S9_EENS0_10empty_typeEbEEZZNS1_14partition_implILS5_6ELb0ES3_mNS7_12zip_iteratorINS8_INS7_6detail15normal_iteratorINS7_10device_ptrIdEEEESJ_S9_S9_S9_S9_S9_S9_S9_S9_EEEEPSB_SM_NS0_5tupleIJNSE_INS8_ISJ_NS7_16discard_iteratorINS7_11use_defaultEEES9_S9_S9_S9_S9_S9_S9_S9_EEEESB_EEENSN_IJSM_SM_EEESB_PlJNSF_9not_fun_tINSF_14equal_to_valueISA_EEEEEEE10hipError_tPvRmT3_T4_T5_T6_T7_T9_mT8_P12ihipStream_tbDpT10_ENKUlT_T0_E_clISt17integral_constantIbLb0EES1I_IbLb1EEEEDaS1E_S1F_EUlS1E_E_NS1_11comp_targetILNS1_3genE2ELNS1_11target_archE906ELNS1_3gpuE6ELNS1_3repE0EEENS1_30default_config_static_selectorELNS0_4arch9wavefront6targetE0EEEvT1_,comdat
.Lfunc_end1849:
	.size	_ZN7rocprim17ROCPRIM_400000_NS6detail17trampoline_kernelINS0_14default_configENS1_25partition_config_selectorILNS1_17partition_subalgoE6EN6thrust23THRUST_200600_302600_NS5tupleIddNS7_9null_typeES9_S9_S9_S9_S9_S9_S9_EENS0_10empty_typeEbEEZZNS1_14partition_implILS5_6ELb0ES3_mNS7_12zip_iteratorINS8_INS7_6detail15normal_iteratorINS7_10device_ptrIdEEEESJ_S9_S9_S9_S9_S9_S9_S9_S9_EEEEPSB_SM_NS0_5tupleIJNSE_INS8_ISJ_NS7_16discard_iteratorINS7_11use_defaultEEES9_S9_S9_S9_S9_S9_S9_S9_EEEESB_EEENSN_IJSM_SM_EEESB_PlJNSF_9not_fun_tINSF_14equal_to_valueISA_EEEEEEE10hipError_tPvRmT3_T4_T5_T6_T7_T9_mT8_P12ihipStream_tbDpT10_ENKUlT_T0_E_clISt17integral_constantIbLb0EES1I_IbLb1EEEEDaS1E_S1F_EUlS1E_E_NS1_11comp_targetILNS1_3genE2ELNS1_11target_archE906ELNS1_3gpuE6ELNS1_3repE0EEENS1_30default_config_static_selectorELNS0_4arch9wavefront6targetE0EEEvT1_, .Lfunc_end1849-_ZN7rocprim17ROCPRIM_400000_NS6detail17trampoline_kernelINS0_14default_configENS1_25partition_config_selectorILNS1_17partition_subalgoE6EN6thrust23THRUST_200600_302600_NS5tupleIddNS7_9null_typeES9_S9_S9_S9_S9_S9_S9_EENS0_10empty_typeEbEEZZNS1_14partition_implILS5_6ELb0ES3_mNS7_12zip_iteratorINS8_INS7_6detail15normal_iteratorINS7_10device_ptrIdEEEESJ_S9_S9_S9_S9_S9_S9_S9_S9_EEEEPSB_SM_NS0_5tupleIJNSE_INS8_ISJ_NS7_16discard_iteratorINS7_11use_defaultEEES9_S9_S9_S9_S9_S9_S9_S9_EEEESB_EEENSN_IJSM_SM_EEESB_PlJNSF_9not_fun_tINSF_14equal_to_valueISA_EEEEEEE10hipError_tPvRmT3_T4_T5_T6_T7_T9_mT8_P12ihipStream_tbDpT10_ENKUlT_T0_E_clISt17integral_constantIbLb0EES1I_IbLb1EEEEDaS1E_S1F_EUlS1E_E_NS1_11comp_targetILNS1_3genE2ELNS1_11target_archE906ELNS1_3gpuE6ELNS1_3repE0EEENS1_30default_config_static_selectorELNS0_4arch9wavefront6targetE0EEEvT1_
                                        ; -- End function
	.set _ZN7rocprim17ROCPRIM_400000_NS6detail17trampoline_kernelINS0_14default_configENS1_25partition_config_selectorILNS1_17partition_subalgoE6EN6thrust23THRUST_200600_302600_NS5tupleIddNS7_9null_typeES9_S9_S9_S9_S9_S9_S9_EENS0_10empty_typeEbEEZZNS1_14partition_implILS5_6ELb0ES3_mNS7_12zip_iteratorINS8_INS7_6detail15normal_iteratorINS7_10device_ptrIdEEEESJ_S9_S9_S9_S9_S9_S9_S9_S9_EEEEPSB_SM_NS0_5tupleIJNSE_INS8_ISJ_NS7_16discard_iteratorINS7_11use_defaultEEES9_S9_S9_S9_S9_S9_S9_S9_EEEESB_EEENSN_IJSM_SM_EEESB_PlJNSF_9not_fun_tINSF_14equal_to_valueISA_EEEEEEE10hipError_tPvRmT3_T4_T5_T6_T7_T9_mT8_P12ihipStream_tbDpT10_ENKUlT_T0_E_clISt17integral_constantIbLb0EES1I_IbLb1EEEEDaS1E_S1F_EUlS1E_E_NS1_11comp_targetILNS1_3genE2ELNS1_11target_archE906ELNS1_3gpuE6ELNS1_3repE0EEENS1_30default_config_static_selectorELNS0_4arch9wavefront6targetE0EEEvT1_.num_vgpr, 0
	.set _ZN7rocprim17ROCPRIM_400000_NS6detail17trampoline_kernelINS0_14default_configENS1_25partition_config_selectorILNS1_17partition_subalgoE6EN6thrust23THRUST_200600_302600_NS5tupleIddNS7_9null_typeES9_S9_S9_S9_S9_S9_S9_EENS0_10empty_typeEbEEZZNS1_14partition_implILS5_6ELb0ES3_mNS7_12zip_iteratorINS8_INS7_6detail15normal_iteratorINS7_10device_ptrIdEEEESJ_S9_S9_S9_S9_S9_S9_S9_S9_EEEEPSB_SM_NS0_5tupleIJNSE_INS8_ISJ_NS7_16discard_iteratorINS7_11use_defaultEEES9_S9_S9_S9_S9_S9_S9_S9_EEEESB_EEENSN_IJSM_SM_EEESB_PlJNSF_9not_fun_tINSF_14equal_to_valueISA_EEEEEEE10hipError_tPvRmT3_T4_T5_T6_T7_T9_mT8_P12ihipStream_tbDpT10_ENKUlT_T0_E_clISt17integral_constantIbLb0EES1I_IbLb1EEEEDaS1E_S1F_EUlS1E_E_NS1_11comp_targetILNS1_3genE2ELNS1_11target_archE906ELNS1_3gpuE6ELNS1_3repE0EEENS1_30default_config_static_selectorELNS0_4arch9wavefront6targetE0EEEvT1_.num_agpr, 0
	.set _ZN7rocprim17ROCPRIM_400000_NS6detail17trampoline_kernelINS0_14default_configENS1_25partition_config_selectorILNS1_17partition_subalgoE6EN6thrust23THRUST_200600_302600_NS5tupleIddNS7_9null_typeES9_S9_S9_S9_S9_S9_S9_EENS0_10empty_typeEbEEZZNS1_14partition_implILS5_6ELb0ES3_mNS7_12zip_iteratorINS8_INS7_6detail15normal_iteratorINS7_10device_ptrIdEEEESJ_S9_S9_S9_S9_S9_S9_S9_S9_EEEEPSB_SM_NS0_5tupleIJNSE_INS8_ISJ_NS7_16discard_iteratorINS7_11use_defaultEEES9_S9_S9_S9_S9_S9_S9_S9_EEEESB_EEENSN_IJSM_SM_EEESB_PlJNSF_9not_fun_tINSF_14equal_to_valueISA_EEEEEEE10hipError_tPvRmT3_T4_T5_T6_T7_T9_mT8_P12ihipStream_tbDpT10_ENKUlT_T0_E_clISt17integral_constantIbLb0EES1I_IbLb1EEEEDaS1E_S1F_EUlS1E_E_NS1_11comp_targetILNS1_3genE2ELNS1_11target_archE906ELNS1_3gpuE6ELNS1_3repE0EEENS1_30default_config_static_selectorELNS0_4arch9wavefront6targetE0EEEvT1_.numbered_sgpr, 0
	.set _ZN7rocprim17ROCPRIM_400000_NS6detail17trampoline_kernelINS0_14default_configENS1_25partition_config_selectorILNS1_17partition_subalgoE6EN6thrust23THRUST_200600_302600_NS5tupleIddNS7_9null_typeES9_S9_S9_S9_S9_S9_S9_EENS0_10empty_typeEbEEZZNS1_14partition_implILS5_6ELb0ES3_mNS7_12zip_iteratorINS8_INS7_6detail15normal_iteratorINS7_10device_ptrIdEEEESJ_S9_S9_S9_S9_S9_S9_S9_S9_EEEEPSB_SM_NS0_5tupleIJNSE_INS8_ISJ_NS7_16discard_iteratorINS7_11use_defaultEEES9_S9_S9_S9_S9_S9_S9_S9_EEEESB_EEENSN_IJSM_SM_EEESB_PlJNSF_9not_fun_tINSF_14equal_to_valueISA_EEEEEEE10hipError_tPvRmT3_T4_T5_T6_T7_T9_mT8_P12ihipStream_tbDpT10_ENKUlT_T0_E_clISt17integral_constantIbLb0EES1I_IbLb1EEEEDaS1E_S1F_EUlS1E_E_NS1_11comp_targetILNS1_3genE2ELNS1_11target_archE906ELNS1_3gpuE6ELNS1_3repE0EEENS1_30default_config_static_selectorELNS0_4arch9wavefront6targetE0EEEvT1_.num_named_barrier, 0
	.set _ZN7rocprim17ROCPRIM_400000_NS6detail17trampoline_kernelINS0_14default_configENS1_25partition_config_selectorILNS1_17partition_subalgoE6EN6thrust23THRUST_200600_302600_NS5tupleIddNS7_9null_typeES9_S9_S9_S9_S9_S9_S9_EENS0_10empty_typeEbEEZZNS1_14partition_implILS5_6ELb0ES3_mNS7_12zip_iteratorINS8_INS7_6detail15normal_iteratorINS7_10device_ptrIdEEEESJ_S9_S9_S9_S9_S9_S9_S9_S9_EEEEPSB_SM_NS0_5tupleIJNSE_INS8_ISJ_NS7_16discard_iteratorINS7_11use_defaultEEES9_S9_S9_S9_S9_S9_S9_S9_EEEESB_EEENSN_IJSM_SM_EEESB_PlJNSF_9not_fun_tINSF_14equal_to_valueISA_EEEEEEE10hipError_tPvRmT3_T4_T5_T6_T7_T9_mT8_P12ihipStream_tbDpT10_ENKUlT_T0_E_clISt17integral_constantIbLb0EES1I_IbLb1EEEEDaS1E_S1F_EUlS1E_E_NS1_11comp_targetILNS1_3genE2ELNS1_11target_archE906ELNS1_3gpuE6ELNS1_3repE0EEENS1_30default_config_static_selectorELNS0_4arch9wavefront6targetE0EEEvT1_.private_seg_size, 0
	.set _ZN7rocprim17ROCPRIM_400000_NS6detail17trampoline_kernelINS0_14default_configENS1_25partition_config_selectorILNS1_17partition_subalgoE6EN6thrust23THRUST_200600_302600_NS5tupleIddNS7_9null_typeES9_S9_S9_S9_S9_S9_S9_EENS0_10empty_typeEbEEZZNS1_14partition_implILS5_6ELb0ES3_mNS7_12zip_iteratorINS8_INS7_6detail15normal_iteratorINS7_10device_ptrIdEEEESJ_S9_S9_S9_S9_S9_S9_S9_S9_EEEEPSB_SM_NS0_5tupleIJNSE_INS8_ISJ_NS7_16discard_iteratorINS7_11use_defaultEEES9_S9_S9_S9_S9_S9_S9_S9_EEEESB_EEENSN_IJSM_SM_EEESB_PlJNSF_9not_fun_tINSF_14equal_to_valueISA_EEEEEEE10hipError_tPvRmT3_T4_T5_T6_T7_T9_mT8_P12ihipStream_tbDpT10_ENKUlT_T0_E_clISt17integral_constantIbLb0EES1I_IbLb1EEEEDaS1E_S1F_EUlS1E_E_NS1_11comp_targetILNS1_3genE2ELNS1_11target_archE906ELNS1_3gpuE6ELNS1_3repE0EEENS1_30default_config_static_selectorELNS0_4arch9wavefront6targetE0EEEvT1_.uses_vcc, 0
	.set _ZN7rocprim17ROCPRIM_400000_NS6detail17trampoline_kernelINS0_14default_configENS1_25partition_config_selectorILNS1_17partition_subalgoE6EN6thrust23THRUST_200600_302600_NS5tupleIddNS7_9null_typeES9_S9_S9_S9_S9_S9_S9_EENS0_10empty_typeEbEEZZNS1_14partition_implILS5_6ELb0ES3_mNS7_12zip_iteratorINS8_INS7_6detail15normal_iteratorINS7_10device_ptrIdEEEESJ_S9_S9_S9_S9_S9_S9_S9_S9_EEEEPSB_SM_NS0_5tupleIJNSE_INS8_ISJ_NS7_16discard_iteratorINS7_11use_defaultEEES9_S9_S9_S9_S9_S9_S9_S9_EEEESB_EEENSN_IJSM_SM_EEESB_PlJNSF_9not_fun_tINSF_14equal_to_valueISA_EEEEEEE10hipError_tPvRmT3_T4_T5_T6_T7_T9_mT8_P12ihipStream_tbDpT10_ENKUlT_T0_E_clISt17integral_constantIbLb0EES1I_IbLb1EEEEDaS1E_S1F_EUlS1E_E_NS1_11comp_targetILNS1_3genE2ELNS1_11target_archE906ELNS1_3gpuE6ELNS1_3repE0EEENS1_30default_config_static_selectorELNS0_4arch9wavefront6targetE0EEEvT1_.uses_flat_scratch, 0
	.set _ZN7rocprim17ROCPRIM_400000_NS6detail17trampoline_kernelINS0_14default_configENS1_25partition_config_selectorILNS1_17partition_subalgoE6EN6thrust23THRUST_200600_302600_NS5tupleIddNS7_9null_typeES9_S9_S9_S9_S9_S9_S9_EENS0_10empty_typeEbEEZZNS1_14partition_implILS5_6ELb0ES3_mNS7_12zip_iteratorINS8_INS7_6detail15normal_iteratorINS7_10device_ptrIdEEEESJ_S9_S9_S9_S9_S9_S9_S9_S9_EEEEPSB_SM_NS0_5tupleIJNSE_INS8_ISJ_NS7_16discard_iteratorINS7_11use_defaultEEES9_S9_S9_S9_S9_S9_S9_S9_EEEESB_EEENSN_IJSM_SM_EEESB_PlJNSF_9not_fun_tINSF_14equal_to_valueISA_EEEEEEE10hipError_tPvRmT3_T4_T5_T6_T7_T9_mT8_P12ihipStream_tbDpT10_ENKUlT_T0_E_clISt17integral_constantIbLb0EES1I_IbLb1EEEEDaS1E_S1F_EUlS1E_E_NS1_11comp_targetILNS1_3genE2ELNS1_11target_archE906ELNS1_3gpuE6ELNS1_3repE0EEENS1_30default_config_static_selectorELNS0_4arch9wavefront6targetE0EEEvT1_.has_dyn_sized_stack, 0
	.set _ZN7rocprim17ROCPRIM_400000_NS6detail17trampoline_kernelINS0_14default_configENS1_25partition_config_selectorILNS1_17partition_subalgoE6EN6thrust23THRUST_200600_302600_NS5tupleIddNS7_9null_typeES9_S9_S9_S9_S9_S9_S9_EENS0_10empty_typeEbEEZZNS1_14partition_implILS5_6ELb0ES3_mNS7_12zip_iteratorINS8_INS7_6detail15normal_iteratorINS7_10device_ptrIdEEEESJ_S9_S9_S9_S9_S9_S9_S9_S9_EEEEPSB_SM_NS0_5tupleIJNSE_INS8_ISJ_NS7_16discard_iteratorINS7_11use_defaultEEES9_S9_S9_S9_S9_S9_S9_S9_EEEESB_EEENSN_IJSM_SM_EEESB_PlJNSF_9not_fun_tINSF_14equal_to_valueISA_EEEEEEE10hipError_tPvRmT3_T4_T5_T6_T7_T9_mT8_P12ihipStream_tbDpT10_ENKUlT_T0_E_clISt17integral_constantIbLb0EES1I_IbLb1EEEEDaS1E_S1F_EUlS1E_E_NS1_11comp_targetILNS1_3genE2ELNS1_11target_archE906ELNS1_3gpuE6ELNS1_3repE0EEENS1_30default_config_static_selectorELNS0_4arch9wavefront6targetE0EEEvT1_.has_recursion, 0
	.set _ZN7rocprim17ROCPRIM_400000_NS6detail17trampoline_kernelINS0_14default_configENS1_25partition_config_selectorILNS1_17partition_subalgoE6EN6thrust23THRUST_200600_302600_NS5tupleIddNS7_9null_typeES9_S9_S9_S9_S9_S9_S9_EENS0_10empty_typeEbEEZZNS1_14partition_implILS5_6ELb0ES3_mNS7_12zip_iteratorINS8_INS7_6detail15normal_iteratorINS7_10device_ptrIdEEEESJ_S9_S9_S9_S9_S9_S9_S9_S9_EEEEPSB_SM_NS0_5tupleIJNSE_INS8_ISJ_NS7_16discard_iteratorINS7_11use_defaultEEES9_S9_S9_S9_S9_S9_S9_S9_EEEESB_EEENSN_IJSM_SM_EEESB_PlJNSF_9not_fun_tINSF_14equal_to_valueISA_EEEEEEE10hipError_tPvRmT3_T4_T5_T6_T7_T9_mT8_P12ihipStream_tbDpT10_ENKUlT_T0_E_clISt17integral_constantIbLb0EES1I_IbLb1EEEEDaS1E_S1F_EUlS1E_E_NS1_11comp_targetILNS1_3genE2ELNS1_11target_archE906ELNS1_3gpuE6ELNS1_3repE0EEENS1_30default_config_static_selectorELNS0_4arch9wavefront6targetE0EEEvT1_.has_indirect_call, 0
	.section	.AMDGPU.csdata,"",@progbits
; Kernel info:
; codeLenInByte = 0
; TotalNumSgprs: 0
; NumVgprs: 0
; ScratchSize: 0
; MemoryBound: 0
; FloatMode: 240
; IeeeMode: 1
; LDSByteSize: 0 bytes/workgroup (compile time only)
; SGPRBlocks: 0
; VGPRBlocks: 0
; NumSGPRsForWavesPerEU: 1
; NumVGPRsForWavesPerEU: 1
; Occupancy: 16
; WaveLimiterHint : 0
; COMPUTE_PGM_RSRC2:SCRATCH_EN: 0
; COMPUTE_PGM_RSRC2:USER_SGPR: 2
; COMPUTE_PGM_RSRC2:TRAP_HANDLER: 0
; COMPUTE_PGM_RSRC2:TGID_X_EN: 1
; COMPUTE_PGM_RSRC2:TGID_Y_EN: 0
; COMPUTE_PGM_RSRC2:TGID_Z_EN: 0
; COMPUTE_PGM_RSRC2:TIDIG_COMP_CNT: 0
	.section	.text._ZN7rocprim17ROCPRIM_400000_NS6detail17trampoline_kernelINS0_14default_configENS1_25partition_config_selectorILNS1_17partition_subalgoE6EN6thrust23THRUST_200600_302600_NS5tupleIddNS7_9null_typeES9_S9_S9_S9_S9_S9_S9_EENS0_10empty_typeEbEEZZNS1_14partition_implILS5_6ELb0ES3_mNS7_12zip_iteratorINS8_INS7_6detail15normal_iteratorINS7_10device_ptrIdEEEESJ_S9_S9_S9_S9_S9_S9_S9_S9_EEEEPSB_SM_NS0_5tupleIJNSE_INS8_ISJ_NS7_16discard_iteratorINS7_11use_defaultEEES9_S9_S9_S9_S9_S9_S9_S9_EEEESB_EEENSN_IJSM_SM_EEESB_PlJNSF_9not_fun_tINSF_14equal_to_valueISA_EEEEEEE10hipError_tPvRmT3_T4_T5_T6_T7_T9_mT8_P12ihipStream_tbDpT10_ENKUlT_T0_E_clISt17integral_constantIbLb0EES1I_IbLb1EEEEDaS1E_S1F_EUlS1E_E_NS1_11comp_targetILNS1_3genE10ELNS1_11target_archE1200ELNS1_3gpuE4ELNS1_3repE0EEENS1_30default_config_static_selectorELNS0_4arch9wavefront6targetE0EEEvT1_,"axG",@progbits,_ZN7rocprim17ROCPRIM_400000_NS6detail17trampoline_kernelINS0_14default_configENS1_25partition_config_selectorILNS1_17partition_subalgoE6EN6thrust23THRUST_200600_302600_NS5tupleIddNS7_9null_typeES9_S9_S9_S9_S9_S9_S9_EENS0_10empty_typeEbEEZZNS1_14partition_implILS5_6ELb0ES3_mNS7_12zip_iteratorINS8_INS7_6detail15normal_iteratorINS7_10device_ptrIdEEEESJ_S9_S9_S9_S9_S9_S9_S9_S9_EEEEPSB_SM_NS0_5tupleIJNSE_INS8_ISJ_NS7_16discard_iteratorINS7_11use_defaultEEES9_S9_S9_S9_S9_S9_S9_S9_EEEESB_EEENSN_IJSM_SM_EEESB_PlJNSF_9not_fun_tINSF_14equal_to_valueISA_EEEEEEE10hipError_tPvRmT3_T4_T5_T6_T7_T9_mT8_P12ihipStream_tbDpT10_ENKUlT_T0_E_clISt17integral_constantIbLb0EES1I_IbLb1EEEEDaS1E_S1F_EUlS1E_E_NS1_11comp_targetILNS1_3genE10ELNS1_11target_archE1200ELNS1_3gpuE4ELNS1_3repE0EEENS1_30default_config_static_selectorELNS0_4arch9wavefront6targetE0EEEvT1_,comdat
	.protected	_ZN7rocprim17ROCPRIM_400000_NS6detail17trampoline_kernelINS0_14default_configENS1_25partition_config_selectorILNS1_17partition_subalgoE6EN6thrust23THRUST_200600_302600_NS5tupleIddNS7_9null_typeES9_S9_S9_S9_S9_S9_S9_EENS0_10empty_typeEbEEZZNS1_14partition_implILS5_6ELb0ES3_mNS7_12zip_iteratorINS8_INS7_6detail15normal_iteratorINS7_10device_ptrIdEEEESJ_S9_S9_S9_S9_S9_S9_S9_S9_EEEEPSB_SM_NS0_5tupleIJNSE_INS8_ISJ_NS7_16discard_iteratorINS7_11use_defaultEEES9_S9_S9_S9_S9_S9_S9_S9_EEEESB_EEENSN_IJSM_SM_EEESB_PlJNSF_9not_fun_tINSF_14equal_to_valueISA_EEEEEEE10hipError_tPvRmT3_T4_T5_T6_T7_T9_mT8_P12ihipStream_tbDpT10_ENKUlT_T0_E_clISt17integral_constantIbLb0EES1I_IbLb1EEEEDaS1E_S1F_EUlS1E_E_NS1_11comp_targetILNS1_3genE10ELNS1_11target_archE1200ELNS1_3gpuE4ELNS1_3repE0EEENS1_30default_config_static_selectorELNS0_4arch9wavefront6targetE0EEEvT1_ ; -- Begin function _ZN7rocprim17ROCPRIM_400000_NS6detail17trampoline_kernelINS0_14default_configENS1_25partition_config_selectorILNS1_17partition_subalgoE6EN6thrust23THRUST_200600_302600_NS5tupleIddNS7_9null_typeES9_S9_S9_S9_S9_S9_S9_EENS0_10empty_typeEbEEZZNS1_14partition_implILS5_6ELb0ES3_mNS7_12zip_iteratorINS8_INS7_6detail15normal_iteratorINS7_10device_ptrIdEEEESJ_S9_S9_S9_S9_S9_S9_S9_S9_EEEEPSB_SM_NS0_5tupleIJNSE_INS8_ISJ_NS7_16discard_iteratorINS7_11use_defaultEEES9_S9_S9_S9_S9_S9_S9_S9_EEEESB_EEENSN_IJSM_SM_EEESB_PlJNSF_9not_fun_tINSF_14equal_to_valueISA_EEEEEEE10hipError_tPvRmT3_T4_T5_T6_T7_T9_mT8_P12ihipStream_tbDpT10_ENKUlT_T0_E_clISt17integral_constantIbLb0EES1I_IbLb1EEEEDaS1E_S1F_EUlS1E_E_NS1_11comp_targetILNS1_3genE10ELNS1_11target_archE1200ELNS1_3gpuE4ELNS1_3repE0EEENS1_30default_config_static_selectorELNS0_4arch9wavefront6targetE0EEEvT1_
	.globl	_ZN7rocprim17ROCPRIM_400000_NS6detail17trampoline_kernelINS0_14default_configENS1_25partition_config_selectorILNS1_17partition_subalgoE6EN6thrust23THRUST_200600_302600_NS5tupleIddNS7_9null_typeES9_S9_S9_S9_S9_S9_S9_EENS0_10empty_typeEbEEZZNS1_14partition_implILS5_6ELb0ES3_mNS7_12zip_iteratorINS8_INS7_6detail15normal_iteratorINS7_10device_ptrIdEEEESJ_S9_S9_S9_S9_S9_S9_S9_S9_EEEEPSB_SM_NS0_5tupleIJNSE_INS8_ISJ_NS7_16discard_iteratorINS7_11use_defaultEEES9_S9_S9_S9_S9_S9_S9_S9_EEEESB_EEENSN_IJSM_SM_EEESB_PlJNSF_9not_fun_tINSF_14equal_to_valueISA_EEEEEEE10hipError_tPvRmT3_T4_T5_T6_T7_T9_mT8_P12ihipStream_tbDpT10_ENKUlT_T0_E_clISt17integral_constantIbLb0EES1I_IbLb1EEEEDaS1E_S1F_EUlS1E_E_NS1_11comp_targetILNS1_3genE10ELNS1_11target_archE1200ELNS1_3gpuE4ELNS1_3repE0EEENS1_30default_config_static_selectorELNS0_4arch9wavefront6targetE0EEEvT1_
	.p2align	8
	.type	_ZN7rocprim17ROCPRIM_400000_NS6detail17trampoline_kernelINS0_14default_configENS1_25partition_config_selectorILNS1_17partition_subalgoE6EN6thrust23THRUST_200600_302600_NS5tupleIddNS7_9null_typeES9_S9_S9_S9_S9_S9_S9_EENS0_10empty_typeEbEEZZNS1_14partition_implILS5_6ELb0ES3_mNS7_12zip_iteratorINS8_INS7_6detail15normal_iteratorINS7_10device_ptrIdEEEESJ_S9_S9_S9_S9_S9_S9_S9_S9_EEEEPSB_SM_NS0_5tupleIJNSE_INS8_ISJ_NS7_16discard_iteratorINS7_11use_defaultEEES9_S9_S9_S9_S9_S9_S9_S9_EEEESB_EEENSN_IJSM_SM_EEESB_PlJNSF_9not_fun_tINSF_14equal_to_valueISA_EEEEEEE10hipError_tPvRmT3_T4_T5_T6_T7_T9_mT8_P12ihipStream_tbDpT10_ENKUlT_T0_E_clISt17integral_constantIbLb0EES1I_IbLb1EEEEDaS1E_S1F_EUlS1E_E_NS1_11comp_targetILNS1_3genE10ELNS1_11target_archE1200ELNS1_3gpuE4ELNS1_3repE0EEENS1_30default_config_static_selectorELNS0_4arch9wavefront6targetE0EEEvT1_,@function
_ZN7rocprim17ROCPRIM_400000_NS6detail17trampoline_kernelINS0_14default_configENS1_25partition_config_selectorILNS1_17partition_subalgoE6EN6thrust23THRUST_200600_302600_NS5tupleIddNS7_9null_typeES9_S9_S9_S9_S9_S9_S9_EENS0_10empty_typeEbEEZZNS1_14partition_implILS5_6ELb0ES3_mNS7_12zip_iteratorINS8_INS7_6detail15normal_iteratorINS7_10device_ptrIdEEEESJ_S9_S9_S9_S9_S9_S9_S9_S9_EEEEPSB_SM_NS0_5tupleIJNSE_INS8_ISJ_NS7_16discard_iteratorINS7_11use_defaultEEES9_S9_S9_S9_S9_S9_S9_S9_EEEESB_EEENSN_IJSM_SM_EEESB_PlJNSF_9not_fun_tINSF_14equal_to_valueISA_EEEEEEE10hipError_tPvRmT3_T4_T5_T6_T7_T9_mT8_P12ihipStream_tbDpT10_ENKUlT_T0_E_clISt17integral_constantIbLb0EES1I_IbLb1EEEEDaS1E_S1F_EUlS1E_E_NS1_11comp_targetILNS1_3genE10ELNS1_11target_archE1200ELNS1_3gpuE4ELNS1_3repE0EEENS1_30default_config_static_selectorELNS0_4arch9wavefront6targetE0EEEvT1_: ; @_ZN7rocprim17ROCPRIM_400000_NS6detail17trampoline_kernelINS0_14default_configENS1_25partition_config_selectorILNS1_17partition_subalgoE6EN6thrust23THRUST_200600_302600_NS5tupleIddNS7_9null_typeES9_S9_S9_S9_S9_S9_S9_EENS0_10empty_typeEbEEZZNS1_14partition_implILS5_6ELb0ES3_mNS7_12zip_iteratorINS8_INS7_6detail15normal_iteratorINS7_10device_ptrIdEEEESJ_S9_S9_S9_S9_S9_S9_S9_S9_EEEEPSB_SM_NS0_5tupleIJNSE_INS8_ISJ_NS7_16discard_iteratorINS7_11use_defaultEEES9_S9_S9_S9_S9_S9_S9_S9_EEEESB_EEENSN_IJSM_SM_EEESB_PlJNSF_9not_fun_tINSF_14equal_to_valueISA_EEEEEEE10hipError_tPvRmT3_T4_T5_T6_T7_T9_mT8_P12ihipStream_tbDpT10_ENKUlT_T0_E_clISt17integral_constantIbLb0EES1I_IbLb1EEEEDaS1E_S1F_EUlS1E_E_NS1_11comp_targetILNS1_3genE10ELNS1_11target_archE1200ELNS1_3gpuE4ELNS1_3repE0EEENS1_30default_config_static_selectorELNS0_4arch9wavefront6targetE0EEEvT1_
; %bb.0:
	s_clause 0x5
	s_load_b128 s[4:7], s[0:1], 0x8
	s_load_b64 s[22:23], s[0:1], 0x18
	s_load_b64 s[16:17], s[0:1], 0x30
	s_load_b128 s[8:11], s[0:1], 0x58
	s_load_b64 s[20:21], s[0:1], 0x68
	s_load_b64 s[18:19], s[0:1], 0x78
	v_cmp_eq_u32_e64 s2, 0, v0
	s_and_saveexec_b32 s3, s2
	s_cbranch_execz .LBB1850_4
; %bb.1:
	s_mov_b32 s13, exec_lo
	s_mov_b32 s12, exec_lo
	v_mbcnt_lo_u32_b32 v1, s13, 0
                                        ; implicit-def: $vgpr2
	s_delay_alu instid0(VALU_DEP_1)
	v_cmpx_eq_u32_e32 0, v1
	s_cbranch_execz .LBB1850_3
; %bb.2:
	s_load_b64 s[14:15], s[0:1], 0x88
	s_bcnt1_i32_b32 s13, s13
	s_wait_alu 0xfffe
	v_dual_mov_b32 v2, 0 :: v_dual_mov_b32 v3, s13
	s_wait_kmcnt 0x0
	global_atomic_add_u32 v2, v2, v3, s[14:15] th:TH_ATOMIC_RETURN scope:SCOPE_DEV
.LBB1850_3:
	s_or_b32 exec_lo, exec_lo, s12
	s_wait_loadcnt 0x0
	v_readfirstlane_b32 s12, v2
	s_wait_alu 0xf1ff
	s_delay_alu instid0(VALU_DEP_1)
	v_dual_mov_b32 v2, 0 :: v_dual_add_nc_u32 v1, s12, v1
	ds_store_b32 v2, v1
.LBB1850_4:
	s_or_b32 exec_lo, exec_lo, s3
	v_mov_b32_e32 v1, 0
	s_clause 0x1
	s_load_b32 s3, s[0:1], 0x80
	s_load_b128 s[12:15], s[0:1], 0x90
	s_wait_dscnt 0x0
	s_barrier_signal -1
	s_barrier_wait -1
	global_inv scope:SCOPE_SE
	ds_load_b32 v2, v1
	s_wait_loadcnt_dscnt 0x0
	s_barrier_signal -1
	s_barrier_wait -1
	global_inv scope:SCOPE_SE
	s_wait_kmcnt 0x0
	global_load_b64 v[21:22], v1, s[10:11]
	s_lshl_b64 s[0:1], s[22:23], 3
	v_lshlrev_b32_e32 v13, 4, v0
	s_add_nc_u64 s[4:5], s[4:5], s[0:1]
	s_add_nc_u64 s[26:27], s[6:7], s[0:1]
	s_mov_b32 s1, 0
	s_mul_i32 s0, s3, 0x300
	s_add_co_i32 s3, s3, -1
	s_add_nc_u64 s[6:7], s[22:23], s[0:1]
	s_add_co_i32 s0, s0, s22
	v_cmp_le_u64_e64 s6, s[20:21], s[6:7]
	s_sub_co_i32 s20, s20, s0
	v_readfirstlane_b32 s24, v2
	s_cmp_eq_u32 s24, s3
	s_mul_i32 s0, s24, 0x300
	s_cselect_b32 s7, -1, 0
	s_lshl_b64 s[22:23], s[0:1], 3
	s_wait_alu 0xfffe
	s_and_b32 s6, s6, s7
	s_mov_b32 s3, -1
	s_wait_alu 0xfffe
	s_xor_b32 s10, s6, -1
	s_add_nc_u64 s[0:1], s[4:5], s[22:23]
	s_and_b32 vcc_lo, exec_lo, s10
	s_add_nc_u64 s[4:5], s[26:27], s[22:23]
	s_cbranch_vccz .LBB1850_6
; %bb.5:
	v_lshlrev_b32_e32 v11, 3, v0
	s_mov_b32 s3, 0
	s_clause 0x5
	global_load_b64 v[1:2], v11, s[0:1]
	global_load_b64 v[3:4], v11, s[4:5]
	global_load_b64 v[5:6], v11, s[0:1] offset:2048
	global_load_b64 v[9:10], v11, s[0:1] offset:4096
	;; [unrolled: 1-line block ×4, first 2 shown]
	s_wait_loadcnt 0x4
	ds_store_b128 v13, v[1:4]
	s_wait_loadcnt 0x1
	ds_store_b128 v13, v[5:8] offset:4096
	s_wait_loadcnt 0x0
	ds_store_b128 v13, v[9:12] offset:8192
	s_wait_dscnt 0x0
	s_barrier_signal -1
	s_barrier_wait -1
.LBB1850_6:
	s_and_not1_b32 vcc_lo, exec_lo, s3
	s_addk_co_i32 s20, 0x300
	s_cbranch_vccnz .LBB1850_14
; %bb.7:
	v_mov_b32_e32 v3, 0
	v_dual_mov_b32 v4, 0 :: v_dual_mov_b32 v7, 0
	v_dual_mov_b32 v5, 0 :: v_dual_mov_b32 v8, 0
	v_mov_b32_e32 v6, 0
	s_mov_b32 s3, exec_lo
	s_wait_alu 0xfffe
	v_cmpx_gt_u32_e64 s20, v0
	s_cbranch_execz .LBB1850_9
; %bb.8:
	v_lshlrev_b32_e32 v1, 3, v0
	s_clause 0x1
	global_load_b64 v[5:6], v1, s[0:1]
	global_load_b64 v[7:8], v1, s[4:5]
.LBB1850_9:
	s_or_b32 exec_lo, exec_lo, s3
	v_mov_b32_e32 v1, 0
	v_or_b32_e32 v9, 0x100, v0
	v_mov_b32_e32 v2, 0
	s_mov_b32 s3, exec_lo
	s_delay_alu instid0(VALU_DEP_2)
	v_cmpx_gt_u32_e64 s20, v9
	s_cbranch_execz .LBB1850_11
; %bb.10:
	v_lshlrev_b32_e32 v3, 3, v0
	s_clause 0x1
	global_load_b64 v[1:2], v3, s[0:1] offset:2048
	global_load_b64 v[3:4], v3, s[4:5] offset:2048
.LBB1850_11:
	s_or_b32 exec_lo, exec_lo, s3
	v_mov_b32_e32 v11, 0
	v_dual_mov_b32 v12, 0 :: v_dual_mov_b32 v9, 0
	v_or_b32_e32 v14, 0x200, v0
	v_mov_b32_e32 v10, 0
	s_mov_b32 s3, exec_lo
	s_delay_alu instid0(VALU_DEP_2)
	v_cmpx_gt_u32_e64 s20, v14
	s_cbranch_execz .LBB1850_13
; %bb.12:
	v_lshlrev_b32_e32 v11, 3, v0
	s_clause 0x1
	global_load_b64 v[9:10], v11, s[0:1] offset:4096
	global_load_b64 v[11:12], v11, s[4:5] offset:4096
.LBB1850_13:
	s_or_b32 exec_lo, exec_lo, s3
	s_wait_loadcnt 0x0
	ds_store_b128 v13, v[5:8]
	ds_store_b128 v13, v[1:4] offset:4096
	ds_store_b128 v13, v[9:12] offset:8192
	s_wait_dscnt 0x0
	s_barrier_signal -1
	s_barrier_wait -1
.LBB1850_14:
	v_mul_u32_u24_e32 v13, 3, v0
	s_wait_loadcnt 0x0
	global_inv scope:SCOPE_SE
	s_and_not1_b32 vcc_lo, exec_lo, s10
	v_lshlrev_b32_e32 v33, 4, v13
	ds_load_b128 v[1:4], v33 offset:32
	ds_load_b128 v[9:12], v33
	ds_load_b128 v[5:8], v33 offset:16
	s_wait_loadcnt_dscnt 0x0
	s_barrier_signal -1
	s_barrier_wait -1
	global_inv scope:SCOPE_SE
	v_cmp_neq_f64_e64 s0, s[12:13], v[1:2]
	v_cmp_neq_f64_e64 s1, s[14:15], v[3:4]
	s_cbranch_vccnz .LBB1850_16
; %bb.15:
	v_cmp_neq_f64_e32 vcc_lo, s[12:13], v[5:6]
	v_cmp_neq_f64_e64 s3, s[14:15], v[7:8]
	v_cmp_neq_f64_e64 s4, s[12:13], v[9:10]
	;; [unrolled: 1-line block ×3, first 2 shown]
	s_or_b32 s11, s0, s1
	s_or_b32 s3, vcc_lo, s3
	s_delay_alu instid0(SALU_CYCLE_1)
	v_cndmask_b32_e64 v31, 0, 1, s3
	s_or_b32 s3, s4, s5
	s_wait_alu 0xfffe
	v_cndmask_b32_e64 v32, 0, 1, s3
	s_cbranch_execz .LBB1850_17
	s_branch .LBB1850_18
.LBB1850_16:
                                        ; implicit-def: $sgpr11
                                        ; implicit-def: $vgpr32
                                        ; implicit-def: $vgpr31
.LBB1850_17:
	v_cmp_neq_f64_e32 vcc_lo, s[12:13], v[5:6]
	v_cmp_neq_f64_e64 s0, s[14:15], v[7:8]
	v_cmp_neq_f64_e64 s1, s[12:13], v[9:10]
	;; [unrolled: 1-line block ×5, first 2 shown]
	v_add_nc_u32_e32 v14, 1, v13
	s_wait_alu 0xfffe
	s_delay_alu instid0(VALU_DEP_1)
	v_cmp_gt_u32_e64 s6, s20, v14
	v_add_nc_u32_e32 v14, 2, v13
	s_or_b32 s0, vcc_lo, s0
	v_cmp_gt_u32_e32 vcc_lo, s20, v13
	s_and_b32 s0, s6, s0
	s_or_b32 s1, s1, s3
	v_cndmask_b32_e64 v31, 0, 1, s0
	v_cmp_gt_u32_e64 s0, s20, v14
	s_and_b32 s1, vcc_lo, s1
	s_wait_alu 0xfffe
	v_cndmask_b32_e64 v13, 0, 1, s1
	v_lshlrev_b16 v14, 8, v31
	s_or_b32 s1, s4, s5
	s_wait_alu 0xfffe
	s_and_b32 s0, s0, s1
	s_and_not1_b32 s1, s11, exec_lo
	v_or_b32_e32 v32, v13, v14
	s_wait_alu 0xfffe
	s_and_b32 s0, s0, exec_lo
	s_wait_alu 0xfffe
	s_or_b32 s11, s1, s0
.LBB1850_18:
	v_mbcnt_lo_u32_b32 v36, -1, 0
	s_delay_alu instid0(VALU_DEP_2) | instskip(SKIP_2) | instid1(VALU_DEP_4)
	v_dual_mov_b32 v24, 0 :: v_dual_and_b32 v35, 0xff, v32
	v_and_b32_e32 v34, 0xff, v31
	v_cndmask_b32_e64 v13, 0, 1, s11
	v_and_b32_e32 v37, 15, v36
	s_cmp_lg_u32 s24, 0
	s_mov_b32 s1, -1
	s_delay_alu instid0(VALU_DEP_2) | instskip(NEXT) | instid1(VALU_DEP_2)
	v_add3_u32 v23, v35, v13, v34
	v_cmp_ne_u32_e64 s0, 0, v37
	s_cbranch_scc0 .LBB1850_75
; %bb.19:
	v_mov_b32_dpp v13, v23 row_shr:1 row_mask:0xf bank_mask:0xf
	v_mov_b32_dpp v18, v24 row_shr:1 row_mask:0xf bank_mask:0xf
	v_dual_mov_b32 v17, v23 :: v_dual_mov_b32 v14, v24
	v_dual_mov_b32 v15, v23 :: v_dual_mov_b32 v16, v24
	s_and_saveexec_b32 s1, s0
; %bb.20:
	v_add_co_u32 v17, s3, v23, v13
	s_wait_alu 0xf1ff
	v_add_co_ci_u32_e64 v14, null, 0, 0, s3
	s_delay_alu instid0(VALU_DEP_2) | instskip(NEXT) | instid1(VALU_DEP_1)
	v_add_co_u32 v13, vcc_lo, 0, v17
	v_add_co_ci_u32_e64 v14, null, v18, v14, vcc_lo
	s_delay_alu instid0(VALU_DEP_1)
	v_dual_mov_b32 v16, v14 :: v_dual_mov_b32 v15, v13
; %bb.21:
	s_wait_alu 0xfffe
	s_or_b32 exec_lo, exec_lo, s1
	v_mov_b32_dpp v13, v17 row_shr:2 row_mask:0xf bank_mask:0xf
	v_mov_b32_dpp v18, v14 row_shr:2 row_mask:0xf bank_mask:0xf
	s_mov_b32 s1, exec_lo
	v_cmpx_lt_u32_e32 1, v37
; %bb.22:
	s_delay_alu instid0(VALU_DEP_3) | instskip(SKIP_2) | instid1(VALU_DEP_2)
	v_add_co_u32 v17, vcc_lo, v15, v13
	s_wait_alu 0xfffd
	v_add_co_ci_u32_e64 v14, null, 0, v16, vcc_lo
	v_add_co_u32 v13, vcc_lo, 0, v17
	s_wait_alu 0xfffd
	s_delay_alu instid0(VALU_DEP_2) | instskip(NEXT) | instid1(VALU_DEP_1)
	v_add_co_ci_u32_e64 v14, null, v18, v14, vcc_lo
	v_dual_mov_b32 v16, v14 :: v_dual_mov_b32 v15, v13
; %bb.23:
	s_wait_alu 0xfffe
	s_or_b32 exec_lo, exec_lo, s1
	v_mov_b32_dpp v13, v17 row_shr:4 row_mask:0xf bank_mask:0xf
	v_mov_b32_dpp v18, v14 row_shr:4 row_mask:0xf bank_mask:0xf
	s_mov_b32 s1, exec_lo
	v_cmpx_lt_u32_e32 3, v37
; %bb.24:
	s_delay_alu instid0(VALU_DEP_3) | instskip(SKIP_2) | instid1(VALU_DEP_2)
	v_add_co_u32 v17, vcc_lo, v15, v13
	s_wait_alu 0xfffd
	v_add_co_ci_u32_e64 v14, null, 0, v16, vcc_lo
	v_add_co_u32 v13, vcc_lo, 0, v17
	s_wait_alu 0xfffd
	s_delay_alu instid0(VALU_DEP_2) | instskip(NEXT) | instid1(VALU_DEP_1)
	v_add_co_ci_u32_e64 v14, null, v18, v14, vcc_lo
	;; [unrolled: 17-line block ×3, first 2 shown]
	v_mov_b32_e32 v14, v16
; %bb.27:
	s_wait_alu 0xfffe
	s_or_b32 exec_lo, exec_lo, s1
	ds_swizzle_b32 v13, v17 offset:swizzle(BROADCAST,32,15)
	ds_swizzle_b32 v18, v14 offset:swizzle(BROADCAST,32,15)
	v_and_b32_e32 v19, 16, v36
	s_mov_b32 s1, exec_lo
	s_delay_alu instid0(VALU_DEP_1)
	v_cmpx_ne_u32_e32 0, v19
	s_cbranch_execz .LBB1850_29
; %bb.28:
	s_wait_dscnt 0x1
	v_add_co_u32 v17, vcc_lo, v15, v13
	s_wait_alu 0xfffd
	v_add_co_ci_u32_e64 v14, null, 0, v16, vcc_lo
	s_delay_alu instid0(VALU_DEP_2) | instskip(SKIP_2) | instid1(VALU_DEP_2)
	v_add_co_u32 v13, vcc_lo, 0, v17
	s_wait_dscnt 0x0
	s_wait_alu 0xfffd
	v_add_co_ci_u32_e64 v14, null, v18, v14, vcc_lo
	s_delay_alu instid0(VALU_DEP_1)
	v_dual_mov_b32 v16, v14 :: v_dual_mov_b32 v15, v13
.LBB1850_29:
	s_wait_alu 0xfffe
	s_or_b32 exec_lo, exec_lo, s1
	s_wait_dscnt 0x0
	v_or_b32_e32 v18, 31, v0
	v_lshrrev_b32_e32 v13, 5, v0
	s_mov_b32 s1, exec_lo
	s_delay_alu instid0(VALU_DEP_2)
	v_cmpx_eq_u32_e64 v0, v18
; %bb.30:
	s_delay_alu instid0(VALU_DEP_2)
	v_lshlrev_b32_e32 v18, 3, v13
	ds_store_b64 v18, v[15:16]
; %bb.31:
	s_wait_alu 0xfffe
	s_or_b32 exec_lo, exec_lo, s1
	s_delay_alu instid0(SALU_CYCLE_1)
	s_mov_b32 s1, exec_lo
	s_wait_loadcnt_dscnt 0x0
	s_barrier_signal -1
	s_barrier_wait -1
	global_inv scope:SCOPE_SE
	v_cmpx_gt_u32_e32 8, v0
	s_cbranch_execz .LBB1850_39
; %bb.32:
	v_lshlrev_b32_e32 v18, 3, v0
	s_mov_b32 s3, exec_lo
	ds_load_b64 v[15:16], v18
	s_wait_dscnt 0x0
	v_dual_mov_b32 v20, v15 :: v_dual_and_b32 v19, 7, v36
	v_mov_b32_dpp v26, v15 row_shr:1 row_mask:0xf bank_mask:0xf
	v_mov_b32_dpp v25, v16 row_shr:1 row_mask:0xf bank_mask:0xf
	s_delay_alu instid0(VALU_DEP_3)
	v_cmpx_ne_u32_e32 0, v19
; %bb.33:
	s_delay_alu instid0(VALU_DEP_3) | instskip(SKIP_2) | instid1(VALU_DEP_2)
	v_add_co_u32 v20, vcc_lo, v15, v26
	s_wait_alu 0xfffd
	v_add_co_ci_u32_e64 v16, null, 0, v16, vcc_lo
	v_add_co_u32 v15, vcc_lo, 0, v20
	s_wait_alu 0xfffd
	s_delay_alu instid0(VALU_DEP_2)
	v_add_co_ci_u32_e64 v16, null, v25, v16, vcc_lo
; %bb.34:
	s_wait_alu 0xfffe
	s_or_b32 exec_lo, exec_lo, s3
	v_mov_b32_dpp v26, v20 row_shr:2 row_mask:0xf bank_mask:0xf
	s_delay_alu instid0(VALU_DEP_2)
	v_mov_b32_dpp v25, v16 row_shr:2 row_mask:0xf bank_mask:0xf
	s_mov_b32 s3, exec_lo
	v_cmpx_lt_u32_e32 1, v19
; %bb.35:
	s_delay_alu instid0(VALU_DEP_3) | instskip(SKIP_2) | instid1(VALU_DEP_2)
	v_add_co_u32 v20, vcc_lo, v15, v26
	s_wait_alu 0xfffd
	v_add_co_ci_u32_e64 v16, null, 0, v16, vcc_lo
	v_add_co_u32 v15, vcc_lo, 0, v20
	s_wait_alu 0xfffd
	s_delay_alu instid0(VALU_DEP_2)
	v_add_co_ci_u32_e64 v16, null, v25, v16, vcc_lo
; %bb.36:
	s_wait_alu 0xfffe
	s_or_b32 exec_lo, exec_lo, s3
	v_mov_b32_dpp v25, v20 row_shr:4 row_mask:0xf bank_mask:0xf
	s_delay_alu instid0(VALU_DEP_2)
	v_mov_b32_dpp v20, v16 row_shr:4 row_mask:0xf bank_mask:0xf
	s_mov_b32 s3, exec_lo
	v_cmpx_lt_u32_e32 3, v19
; %bb.37:
	s_delay_alu instid0(VALU_DEP_3) | instskip(SKIP_2) | instid1(VALU_DEP_2)
	v_add_co_u32 v15, vcc_lo, v15, v25
	s_wait_alu 0xfffd
	v_add_co_ci_u32_e64 v16, null, 0, v16, vcc_lo
	v_add_co_u32 v15, vcc_lo, v15, 0
	s_wait_alu 0xfffd
	s_delay_alu instid0(VALU_DEP_2)
	v_add_co_ci_u32_e64 v16, null, v16, v20, vcc_lo
; %bb.38:
	s_wait_alu 0xfffe
	s_or_b32 exec_lo, exec_lo, s3
	ds_store_b64 v18, v[15:16]
.LBB1850_39:
	s_wait_alu 0xfffe
	s_or_b32 exec_lo, exec_lo, s1
	s_delay_alu instid0(SALU_CYCLE_1)
	s_mov_b32 s3, exec_lo
	v_cmp_gt_u32_e32 vcc_lo, 32, v0
	s_wait_loadcnt_dscnt 0x0
	s_barrier_signal -1
	s_barrier_wait -1
	global_inv scope:SCOPE_SE
                                        ; implicit-def: $vgpr25_vgpr26
	v_cmpx_lt_u32_e32 31, v0
	s_cbranch_execz .LBB1850_41
; %bb.40:
	v_lshl_add_u32 v13, v13, 3, -8
	ds_load_b64 v[25:26], v13
	s_wait_dscnt 0x0
	v_add_co_u32 v17, s1, v17, v25
	s_wait_alu 0xf1ff
	v_add_co_ci_u32_e64 v14, null, v14, v26, s1
.LBB1850_41:
	s_wait_alu 0xfffe
	s_or_b32 exec_lo, exec_lo, s3
	v_sub_co_u32 v13, s1, v36, 1
	s_delay_alu instid0(VALU_DEP_1) | instskip(SKIP_1) | instid1(VALU_DEP_1)
	v_cmp_gt_i32_e64 s3, 0, v13
	s_wait_alu 0xf1ff
	v_cndmask_b32_e64 v13, v13, v36, s3
	s_delay_alu instid0(VALU_DEP_1)
	v_lshlrev_b32_e32 v13, 2, v13
	ds_bpermute_b32 v38, v13, v17
	ds_bpermute_b32 v39, v13, v14
	s_and_saveexec_b32 s3, vcc_lo
	s_cbranch_execz .LBB1850_80
; %bb.42:
	v_mov_b32_e32 v16, 0
	ds_load_b64 v[13:14], v16 offset:56
	s_and_saveexec_b32 s4, s1
	s_cbranch_execz .LBB1850_44
; %bb.43:
	s_add_co_i32 s12, s24, 32
	s_mov_b32 s13, 0
	s_wait_alu 0xfffe
	s_lshl_b64 s[12:13], s[12:13], 4
	s_wait_alu 0xfffe
	s_add_nc_u64 s[12:13], s[18:19], s[12:13]
	s_wait_alu 0xfffe
	v_dual_mov_b32 v15, 1 :: v_dual_mov_b32 v18, s13
	v_mov_b32_e32 v17, s12
	s_wait_dscnt 0x0
	;;#ASMSTART
	global_store_b128 v[17:18], v[13:16] off scope:SCOPE_DEV	
s_wait_storecnt 0x0
	;;#ASMEND
.LBB1850_44:
	s_or_b32 exec_lo, exec_lo, s4
	v_xad_u32 v27, v36, -1, s24
	s_mov_b32 s5, 0
	s_mov_b32 s4, exec_lo
	s_delay_alu instid0(VALU_DEP_1) | instskip(NEXT) | instid1(VALU_DEP_1)
	v_add_nc_u32_e32 v15, 32, v27
	v_lshlrev_b64_e32 v[15:16], 4, v[15:16]
	s_delay_alu instid0(VALU_DEP_1) | instskip(SKIP_1) | instid1(VALU_DEP_2)
	v_add_co_u32 v15, vcc_lo, s18, v15
	s_wait_alu 0xfffd
	v_add_co_ci_u32_e64 v16, null, s19, v16, vcc_lo
	;;#ASMSTART
	global_load_b128 v[17:20], v[15:16] off scope:SCOPE_DEV	
s_wait_loadcnt 0x0
	;;#ASMEND
	v_and_b32_e32 v20, 0xff, v19
	s_delay_alu instid0(VALU_DEP_1)
	v_cmpx_eq_u16_e32 0, v20
	s_cbranch_execz .LBB1850_47
.LBB1850_45:                            ; =>This Inner Loop Header: Depth=1
	;;#ASMSTART
	global_load_b128 v[17:20], v[15:16] off scope:SCOPE_DEV	
s_wait_loadcnt 0x0
	;;#ASMEND
	v_and_b32_e32 v20, 0xff, v19
	s_delay_alu instid0(VALU_DEP_1) | instskip(SKIP_1) | instid1(SALU_CYCLE_1)
	v_cmp_ne_u16_e32 vcc_lo, 0, v20
	s_or_b32 s5, vcc_lo, s5
	s_and_not1_b32 exec_lo, exec_lo, s5
	s_cbranch_execnz .LBB1850_45
; %bb.46:
	s_or_b32 exec_lo, exec_lo, s5
.LBB1850_47:
	s_delay_alu instid0(SALU_CYCLE_1)
	s_or_b32 exec_lo, exec_lo, s4
	v_cmp_ne_u32_e32 vcc_lo, 31, v36
	v_and_b32_e32 v16, 0xff, v19
	v_lshlrev_b32_e64 v41, v36, -1
	s_mov_b32 s4, exec_lo
	s_wait_alu 0xfffd
	v_add_co_ci_u32_e64 v15, null, 0, v36, vcc_lo
	v_cmp_eq_u16_e32 vcc_lo, 2, v16
	v_mov_b32_e32 v16, v17
	s_delay_alu instid0(VALU_DEP_3)
	v_lshlrev_b32_e32 v40, 2, v15
	s_wait_alu 0xfffd
	v_and_or_b32 v15, vcc_lo, v41, 0x80000000
	ds_bpermute_b32 v28, v40, v17
	ds_bpermute_b32 v20, v40, v18
	v_ctz_i32_b32_e32 v15, v15
	s_delay_alu instid0(VALU_DEP_1)
	v_cmpx_lt_u32_e64 v36, v15
	s_cbranch_execz .LBB1850_49
; %bb.48:
	s_wait_dscnt 0x1
	v_add_co_u32 v16, vcc_lo, v17, v28
	s_wait_alu 0xfffd
	v_add_co_ci_u32_e64 v18, null, 0, v18, vcc_lo
	s_delay_alu instid0(VALU_DEP_2) | instskip(SKIP_2) | instid1(VALU_DEP_2)
	v_add_co_u32 v17, vcc_lo, 0, v16
	s_wait_dscnt 0x0
	s_wait_alu 0xfffd
	v_add_co_ci_u32_e64 v18, null, v20, v18, vcc_lo
.LBB1850_49:
	s_or_b32 exec_lo, exec_lo, s4
	v_cmp_gt_u32_e32 vcc_lo, 30, v36
	v_add_nc_u32_e32 v43, 2, v36
	s_mov_b32 s4, exec_lo
	s_wait_dscnt 0x0
	s_wait_alu 0xfffd
	v_cndmask_b32_e64 v20, 0, 2, vcc_lo
	s_delay_alu instid0(VALU_DEP_1)
	v_add_lshl_u32 v42, v20, v36, 2
	ds_bpermute_b32 v28, v42, v16
	ds_bpermute_b32 v20, v42, v18
	v_cmpx_le_u32_e64 v43, v15
	s_cbranch_execz .LBB1850_51
; %bb.50:
	s_wait_dscnt 0x1
	v_add_co_u32 v16, vcc_lo, v17, v28
	s_wait_alu 0xfffd
	v_add_co_ci_u32_e64 v18, null, 0, v18, vcc_lo
	s_delay_alu instid0(VALU_DEP_2) | instskip(SKIP_2) | instid1(VALU_DEP_2)
	v_add_co_u32 v17, vcc_lo, 0, v16
	s_wait_dscnt 0x0
	s_wait_alu 0xfffd
	v_add_co_ci_u32_e64 v18, null, v20, v18, vcc_lo
.LBB1850_51:
	s_or_b32 exec_lo, exec_lo, s4
	v_cmp_gt_u32_e32 vcc_lo, 28, v36
	v_add_nc_u32_e32 v45, 4, v36
	s_mov_b32 s4, exec_lo
	s_wait_dscnt 0x0
	s_wait_alu 0xfffd
	v_cndmask_b32_e64 v20, 0, 4, vcc_lo
	s_delay_alu instid0(VALU_DEP_1)
	v_add_lshl_u32 v44, v20, v36, 2
	ds_bpermute_b32 v28, v44, v16
	ds_bpermute_b32 v20, v44, v18
	v_cmpx_le_u32_e64 v45, v15
	;; [unrolled: 24-line block ×3, first 2 shown]
	s_cbranch_execz .LBB1850_55
; %bb.54:
	s_wait_dscnt 0x1
	v_add_co_u32 v16, vcc_lo, v17, v28
	s_wait_alu 0xfffd
	v_add_co_ci_u32_e64 v18, null, 0, v18, vcc_lo
	s_delay_alu instid0(VALU_DEP_2) | instskip(SKIP_2) | instid1(VALU_DEP_2)
	v_add_co_u32 v17, vcc_lo, 0, v16
	s_wait_dscnt 0x0
	s_wait_alu 0xfffd
	v_add_co_ci_u32_e64 v18, null, v20, v18, vcc_lo
.LBB1850_55:
	s_or_b32 exec_lo, exec_lo, s4
	v_lshl_or_b32 v48, v36, 2, 64
	v_add_nc_u32_e32 v49, 16, v36
	s_mov_b32 s4, exec_lo
	s_wait_dscnt 0x0
	ds_bpermute_b32 v20, v48, v16
	ds_bpermute_b32 v16, v48, v18
	v_cmpx_le_u32_e64 v49, v15
	s_cbranch_execz .LBB1850_57
; %bb.56:
	s_wait_dscnt 0x1
	v_add_co_u32 v15, vcc_lo, v17, v20
	s_wait_alu 0xfffd
	v_add_co_ci_u32_e64 v18, null, 0, v18, vcc_lo
	s_delay_alu instid0(VALU_DEP_2) | instskip(SKIP_2) | instid1(VALU_DEP_2)
	v_add_co_u32 v17, vcc_lo, v15, 0
	s_wait_dscnt 0x0
	s_wait_alu 0xfffd
	v_add_co_ci_u32_e64 v18, null, v18, v16, vcc_lo
.LBB1850_57:
	s_or_b32 exec_lo, exec_lo, s4
	v_mov_b32_e32 v28, 0
	s_branch .LBB1850_60
.LBB1850_58:                            ;   in Loop: Header=BB1850_60 Depth=1
	s_or_b32 exec_lo, exec_lo, s4
	v_add_co_u32 v17, vcc_lo, v17, v15
	v_subrev_nc_u32_e32 v27, 32, v27
	s_wait_alu 0xfffd
	v_add_co_ci_u32_e64 v18, null, v18, v16, vcc_lo
	s_mov_b32 s4, 0
.LBB1850_59:                            ;   in Loop: Header=BB1850_60 Depth=1
	s_delay_alu instid0(SALU_CYCLE_1)
	s_and_b32 vcc_lo, exec_lo, s4
	s_wait_alu 0xfffe
	s_cbranch_vccnz .LBB1850_76
.LBB1850_60:                            ; =>This Loop Header: Depth=1
                                        ;     Child Loop BB1850_63 Depth 2
	v_and_b32_e32 v15, 0xff, v19
	s_mov_b32 s4, -1
	s_delay_alu instid0(VALU_DEP_1)
	v_cmp_ne_u16_e32 vcc_lo, 2, v15
	s_wait_dscnt 0x0
	v_dual_mov_b32 v15, v17 :: v_dual_mov_b32 v16, v18
                                        ; implicit-def: $vgpr17_vgpr18
	s_cmp_lg_u32 vcc_lo, exec_lo
	s_cbranch_scc1 .LBB1850_59
; %bb.61:                               ;   in Loop: Header=BB1850_60 Depth=1
	v_lshlrev_b64_e32 v[17:18], 4, v[27:28]
	s_mov_b32 s4, exec_lo
	s_delay_alu instid0(VALU_DEP_1) | instskip(SKIP_1) | instid1(VALU_DEP_2)
	v_add_co_u32 v29, vcc_lo, s18, v17
	s_wait_alu 0xfffd
	v_add_co_ci_u32_e64 v30, null, s19, v18, vcc_lo
	;;#ASMSTART
	global_load_b128 v[17:20], v[29:30] off scope:SCOPE_DEV	
s_wait_loadcnt 0x0
	;;#ASMEND
	v_and_b32_e32 v20, 0xff, v19
	s_delay_alu instid0(VALU_DEP_1)
	v_cmpx_eq_u16_e32 0, v20
	s_cbranch_execz .LBB1850_65
; %bb.62:                               ;   in Loop: Header=BB1850_60 Depth=1
	s_mov_b32 s5, 0
.LBB1850_63:                            ;   Parent Loop BB1850_60 Depth=1
                                        ; =>  This Inner Loop Header: Depth=2
	;;#ASMSTART
	global_load_b128 v[17:20], v[29:30] off scope:SCOPE_DEV	
s_wait_loadcnt 0x0
	;;#ASMEND
	v_and_b32_e32 v20, 0xff, v19
	s_delay_alu instid0(VALU_DEP_1) | instskip(SKIP_1) | instid1(SALU_CYCLE_1)
	v_cmp_ne_u16_e32 vcc_lo, 0, v20
	s_or_b32 s5, vcc_lo, s5
	s_and_not1_b32 exec_lo, exec_lo, s5
	s_cbranch_execnz .LBB1850_63
; %bb.64:                               ;   in Loop: Header=BB1850_60 Depth=1
	s_or_b32 exec_lo, exec_lo, s5
.LBB1850_65:                            ;   in Loop: Header=BB1850_60 Depth=1
	s_delay_alu instid0(SALU_CYCLE_1)
	s_or_b32 exec_lo, exec_lo, s4
	v_dual_mov_b32 v29, v17 :: v_dual_and_b32 v20, 0xff, v19
	ds_bpermute_b32 v50, v40, v17
	ds_bpermute_b32 v30, v40, v18
	s_mov_b32 s4, exec_lo
	v_cmp_eq_u16_e32 vcc_lo, 2, v20
	s_wait_alu 0xfffd
	v_and_or_b32 v20, vcc_lo, v41, 0x80000000
	s_delay_alu instid0(VALU_DEP_1) | instskip(NEXT) | instid1(VALU_DEP_1)
	v_ctz_i32_b32_e32 v20, v20
	v_cmpx_lt_u32_e64 v36, v20
	s_cbranch_execz .LBB1850_67
; %bb.66:                               ;   in Loop: Header=BB1850_60 Depth=1
	s_wait_dscnt 0x1
	v_add_co_u32 v29, vcc_lo, v17, v50
	s_wait_alu 0xfffd
	v_add_co_ci_u32_e64 v18, null, 0, v18, vcc_lo
	s_delay_alu instid0(VALU_DEP_2) | instskip(SKIP_2) | instid1(VALU_DEP_2)
	v_add_co_u32 v17, vcc_lo, 0, v29
	s_wait_dscnt 0x0
	s_wait_alu 0xfffd
	v_add_co_ci_u32_e64 v18, null, v30, v18, vcc_lo
.LBB1850_67:                            ;   in Loop: Header=BB1850_60 Depth=1
	s_or_b32 exec_lo, exec_lo, s4
	s_wait_dscnt 0x1
	ds_bpermute_b32 v50, v42, v29
	s_wait_dscnt 0x1
	ds_bpermute_b32 v30, v42, v18
	s_mov_b32 s4, exec_lo
	v_cmpx_le_u32_e64 v43, v20
	s_cbranch_execz .LBB1850_69
; %bb.68:                               ;   in Loop: Header=BB1850_60 Depth=1
	s_wait_dscnt 0x1
	v_add_co_u32 v29, vcc_lo, v17, v50
	s_wait_alu 0xfffd
	v_add_co_ci_u32_e64 v18, null, 0, v18, vcc_lo
	s_delay_alu instid0(VALU_DEP_2) | instskip(SKIP_2) | instid1(VALU_DEP_2)
	v_add_co_u32 v17, vcc_lo, 0, v29
	s_wait_dscnt 0x0
	s_wait_alu 0xfffd
	v_add_co_ci_u32_e64 v18, null, v30, v18, vcc_lo
.LBB1850_69:                            ;   in Loop: Header=BB1850_60 Depth=1
	s_or_b32 exec_lo, exec_lo, s4
	s_wait_dscnt 0x1
	ds_bpermute_b32 v50, v44, v29
	s_wait_dscnt 0x1
	ds_bpermute_b32 v30, v44, v18
	s_mov_b32 s4, exec_lo
	v_cmpx_le_u32_e64 v45, v20
	;; [unrolled: 19-line block ×3, first 2 shown]
	s_cbranch_execz .LBB1850_73
; %bb.72:                               ;   in Loop: Header=BB1850_60 Depth=1
	s_wait_dscnt 0x1
	v_add_co_u32 v29, vcc_lo, v17, v50
	s_wait_alu 0xfffd
	v_add_co_ci_u32_e64 v18, null, 0, v18, vcc_lo
	s_delay_alu instid0(VALU_DEP_2) | instskip(SKIP_2) | instid1(VALU_DEP_2)
	v_add_co_u32 v17, vcc_lo, 0, v29
	s_wait_dscnt 0x0
	s_wait_alu 0xfffd
	v_add_co_ci_u32_e64 v18, null, v30, v18, vcc_lo
.LBB1850_73:                            ;   in Loop: Header=BB1850_60 Depth=1
	s_or_b32 exec_lo, exec_lo, s4
	s_wait_dscnt 0x0
	ds_bpermute_b32 v30, v48, v29
	ds_bpermute_b32 v29, v48, v18
	s_mov_b32 s4, exec_lo
	v_cmpx_le_u32_e64 v49, v20
	s_cbranch_execz .LBB1850_58
; %bb.74:                               ;   in Loop: Header=BB1850_60 Depth=1
	s_wait_dscnt 0x1
	v_add_co_u32 v17, vcc_lo, v17, v30
	s_wait_alu 0xfffd
	v_add_co_ci_u32_e64 v18, null, 0, v18, vcc_lo
	s_delay_alu instid0(VALU_DEP_2) | instskip(SKIP_2) | instid1(VALU_DEP_2)
	v_add_co_u32 v17, vcc_lo, v17, 0
	s_wait_dscnt 0x0
	s_wait_alu 0xfffd
	v_add_co_ci_u32_e64 v18, null, v18, v29, vcc_lo
	s_branch .LBB1850_58
.LBB1850_75:
                                        ; implicit-def: $vgpr17_vgpr18
                                        ; implicit-def: $vgpr19_vgpr20
                                        ; implicit-def: $vgpr25_vgpr26
                                        ; implicit-def: $vgpr15_vgpr16
	s_wait_alu 0xfffe
	s_and_b32 vcc_lo, exec_lo, s1
	s_cbranch_vccnz .LBB1850_81
	s_branch .LBB1850_106
.LBB1850_76:
	s_and_saveexec_b32 s4, s1
	s_cbranch_execz .LBB1850_78
; %bb.77:
	s_add_co_i32 s12, s24, 32
	s_mov_b32 s13, 0
	v_add_co_u32 v17, vcc_lo, v15, v13
	s_wait_alu 0xfffe
	s_lshl_b64 s[12:13], s[12:13], 4
	v_dual_mov_b32 v19, 2 :: v_dual_mov_b32 v20, 0
	s_wait_alu 0xfffe
	s_add_nc_u64 s[12:13], s[18:19], s[12:13]
	s_wait_alu 0xfffd
	v_add_co_ci_u32_e64 v18, null, v16, v14, vcc_lo
	s_wait_alu 0xfffe
	v_dual_mov_b32 v28, s13 :: v_dual_mov_b32 v27, s12
	;;#ASMSTART
	global_store_b128 v[27:28], v[17:20] off scope:SCOPE_DEV	
s_wait_storecnt 0x0
	;;#ASMEND
	ds_store_b128 v20, v[13:16] offset:12288
.LBB1850_78:
	s_or_b32 exec_lo, exec_lo, s4
	s_delay_alu instid0(SALU_CYCLE_1)
	s_and_b32 exec_lo, exec_lo, s2
; %bb.79:
	v_mov_b32_e32 v13, 0
	ds_store_b64 v13, v[15:16] offset:56
.LBB1850_80:
	s_wait_alu 0xfffe
	s_or_b32 exec_lo, exec_lo, s3
	v_mov_b32_e32 v13, 0
	s_wait_loadcnt_dscnt 0x0
	s_barrier_signal -1
	s_barrier_wait -1
	global_inv scope:SCOPE_SE
	ds_load_b64 v[17:18], v13 offset:56
	v_cndmask_b32_e64 v14, v39, v26, s1
	v_cndmask_b32_e64 v15, v38, v25, s1
	s_wait_loadcnt_dscnt 0x0
	s_barrier_signal -1
	s_barrier_wait -1
	v_cndmask_b32_e64 v19, v14, 0, s2
	v_cndmask_b32_e64 v20, v15, 0, s2
	global_inv scope:SCOPE_SE
	ds_load_b128 v[13:16], v13 offset:12288
	v_add_co_u32 v25, vcc_lo, v17, v20
	s_wait_alu 0xfffd
	v_add_co_ci_u32_e64 v26, null, v18, v19, vcc_lo
	s_delay_alu instid0(VALU_DEP_2) | instskip(SKIP_1) | instid1(VALU_DEP_2)
	v_add_co_u32 v19, vcc_lo, v25, v35
	s_wait_alu 0xfffd
	v_add_co_ci_u32_e64 v20, null, 0, v26, vcc_lo
	s_delay_alu instid0(VALU_DEP_2) | instskip(SKIP_1) | instid1(VALU_DEP_2)
	v_add_co_u32 v17, vcc_lo, v19, v34
	s_wait_alu 0xfffd
	v_add_co_ci_u32_e64 v18, null, 0, v20, vcc_lo
	s_branch .LBB1850_106
.LBB1850_81:
	s_wait_dscnt 0x0
	v_dual_mov_b32 v14, 0 :: v_dual_mov_b32 v15, v23
	v_mov_b32_dpp v16, v23 row_shr:1 row_mask:0xf bank_mask:0xf
	s_delay_alu instid0(VALU_DEP_2)
	v_mov_b32_dpp v13, v14 row_shr:1 row_mask:0xf bank_mask:0xf
	s_and_saveexec_b32 s1, s0
; %bb.82:
	s_delay_alu instid0(VALU_DEP_2) | instskip(SKIP_2) | instid1(VALU_DEP_2)
	v_add_co_u32 v15, s0, v23, v16
	s_wait_alu 0xf1ff
	v_add_co_ci_u32_e64 v14, null, 0, 0, s0
	v_add_co_u32 v23, vcc_lo, 0, v15
	s_delay_alu instid0(VALU_DEP_1) | instskip(NEXT) | instid1(VALU_DEP_1)
	v_add_co_ci_u32_e64 v24, null, v13, v14, vcc_lo
	v_mov_b32_e32 v14, v24
; %bb.83:
	s_wait_alu 0xfffe
	s_or_b32 exec_lo, exec_lo, s1
	v_mov_b32_dpp v13, v15 row_shr:2 row_mask:0xf bank_mask:0xf
	s_delay_alu instid0(VALU_DEP_2)
	v_mov_b32_dpp v16, v14 row_shr:2 row_mask:0xf bank_mask:0xf
	s_mov_b32 s0, exec_lo
	v_cmpx_lt_u32_e32 1, v37
; %bb.84:
	s_delay_alu instid0(VALU_DEP_3) | instskip(SKIP_2) | instid1(VALU_DEP_2)
	v_add_co_u32 v15, vcc_lo, v23, v13
	s_wait_alu 0xfffd
	v_add_co_ci_u32_e64 v14, null, 0, v24, vcc_lo
	v_add_co_u32 v13, vcc_lo, 0, v15
	s_wait_alu 0xfffd
	s_delay_alu instid0(VALU_DEP_2) | instskip(NEXT) | instid1(VALU_DEP_1)
	v_add_co_ci_u32_e64 v14, null, v16, v14, vcc_lo
	v_dual_mov_b32 v24, v14 :: v_dual_mov_b32 v23, v13
; %bb.85:
	s_wait_alu 0xfffe
	s_or_b32 exec_lo, exec_lo, s0
	v_mov_b32_dpp v13, v15 row_shr:4 row_mask:0xf bank_mask:0xf
	v_mov_b32_dpp v16, v14 row_shr:4 row_mask:0xf bank_mask:0xf
	s_mov_b32 s0, exec_lo
	v_cmpx_lt_u32_e32 3, v37
; %bb.86:
	s_delay_alu instid0(VALU_DEP_3) | instskip(SKIP_2) | instid1(VALU_DEP_2)
	v_add_co_u32 v15, vcc_lo, v23, v13
	s_wait_alu 0xfffd
	v_add_co_ci_u32_e64 v14, null, 0, v24, vcc_lo
	v_add_co_u32 v13, vcc_lo, 0, v15
	s_wait_alu 0xfffd
	s_delay_alu instid0(VALU_DEP_2) | instskip(NEXT) | instid1(VALU_DEP_1)
	v_add_co_ci_u32_e64 v14, null, v16, v14, vcc_lo
	v_dual_mov_b32 v24, v14 :: v_dual_mov_b32 v23, v13
; %bb.87:
	s_wait_alu 0xfffe
	s_or_b32 exec_lo, exec_lo, s0
	v_mov_b32_dpp v16, v15 row_shr:8 row_mask:0xf bank_mask:0xf
	v_mov_b32_dpp v13, v14 row_shr:8 row_mask:0xf bank_mask:0xf
	s_mov_b32 s0, exec_lo
	v_cmpx_lt_u32_e32 7, v37
; %bb.88:
	s_delay_alu instid0(VALU_DEP_3) | instskip(SKIP_2) | instid1(VALU_DEP_2)
	v_add_co_u32 v15, vcc_lo, v23, v16
	s_wait_alu 0xfffd
	v_add_co_ci_u32_e64 v14, null, 0, v24, vcc_lo
	v_add_co_u32 v23, vcc_lo, 0, v15
	s_wait_alu 0xfffd
	s_delay_alu instid0(VALU_DEP_2) | instskip(NEXT) | instid1(VALU_DEP_1)
	v_add_co_ci_u32_e64 v24, null, v13, v14, vcc_lo
	v_mov_b32_e32 v14, v24
; %bb.89:
	s_wait_alu 0xfffe
	s_or_b32 exec_lo, exec_lo, s0
	ds_swizzle_b32 v15, v15 offset:swizzle(BROADCAST,32,15)
	ds_swizzle_b32 v13, v14 offset:swizzle(BROADCAST,32,15)
	v_and_b32_e32 v14, 16, v36
	s_mov_b32 s0, exec_lo
	s_delay_alu instid0(VALU_DEP_1)
	v_cmpx_ne_u32_e32 0, v14
	s_cbranch_execz .LBB1850_91
; %bb.90:
	s_wait_dscnt 0x1
	v_add_co_u32 v14, vcc_lo, v23, v15
	s_wait_alu 0xfffd
	v_add_co_ci_u32_e64 v15, null, 0, v24, vcc_lo
	s_delay_alu instid0(VALU_DEP_2) | instskip(SKIP_2) | instid1(VALU_DEP_2)
	v_add_co_u32 v23, vcc_lo, v14, 0
	s_wait_dscnt 0x0
	s_wait_alu 0xfffd
	v_add_co_ci_u32_e64 v24, null, v15, v13, vcc_lo
.LBB1850_91:
	s_wait_alu 0xfffe
	s_or_b32 exec_lo, exec_lo, s0
	s_wait_dscnt 0x0
	v_or_b32_e32 v13, 31, v0
	v_lshrrev_b32_e32 v15, 5, v0
	s_mov_b32 s0, exec_lo
	s_delay_alu instid0(VALU_DEP_2)
	v_cmpx_eq_u32_e64 v0, v13
; %bb.92:
	s_delay_alu instid0(VALU_DEP_2)
	v_lshlrev_b32_e32 v13, 3, v15
	ds_store_b64 v13, v[23:24]
; %bb.93:
	s_wait_alu 0xfffe
	s_or_b32 exec_lo, exec_lo, s0
	s_delay_alu instid0(SALU_CYCLE_1)
	s_mov_b32 s0, exec_lo
	s_wait_loadcnt_dscnt 0x0
	s_barrier_signal -1
	s_barrier_wait -1
	global_inv scope:SCOPE_SE
	v_cmpx_gt_u32_e32 8, v0
	s_cbranch_execz .LBB1850_101
; %bb.94:
	v_mad_i32_i24 v13, 0xffffffd8, v0, v33
	s_mov_b32 s1, exec_lo
	ds_load_b64 v[13:14], v13
	s_wait_dscnt 0x0
	v_dual_mov_b32 v17, v13 :: v_dual_and_b32 v16, 7, v36
	v_mov_b32_dpp v19, v13 row_shr:1 row_mask:0xf bank_mask:0xf
	v_mov_b32_dpp v18, v14 row_shr:1 row_mask:0xf bank_mask:0xf
	s_delay_alu instid0(VALU_DEP_3)
	v_cmpx_ne_u32_e32 0, v16
; %bb.95:
	s_delay_alu instid0(VALU_DEP_3) | instskip(SKIP_2) | instid1(VALU_DEP_2)
	v_add_co_u32 v17, vcc_lo, v13, v19
	s_wait_alu 0xfffd
	v_add_co_ci_u32_e64 v14, null, 0, v14, vcc_lo
	v_add_co_u32 v13, vcc_lo, 0, v17
	s_wait_alu 0xfffd
	s_delay_alu instid0(VALU_DEP_2)
	v_add_co_ci_u32_e64 v14, null, v18, v14, vcc_lo
; %bb.96:
	s_wait_alu 0xfffe
	s_or_b32 exec_lo, exec_lo, s1
	v_mov_b32_dpp v19, v17 row_shr:2 row_mask:0xf bank_mask:0xf
	s_delay_alu instid0(VALU_DEP_2)
	v_mov_b32_dpp v18, v14 row_shr:2 row_mask:0xf bank_mask:0xf
	s_mov_b32 s1, exec_lo
	v_cmpx_lt_u32_e32 1, v16
; %bb.97:
	s_delay_alu instid0(VALU_DEP_3) | instskip(SKIP_2) | instid1(VALU_DEP_2)
	v_add_co_u32 v17, vcc_lo, v13, v19
	s_wait_alu 0xfffd
	v_add_co_ci_u32_e64 v14, null, 0, v14, vcc_lo
	v_add_co_u32 v13, vcc_lo, 0, v17
	s_wait_alu 0xfffd
	s_delay_alu instid0(VALU_DEP_2)
	v_add_co_ci_u32_e64 v14, null, v18, v14, vcc_lo
; %bb.98:
	s_wait_alu 0xfffe
	s_or_b32 exec_lo, exec_lo, s1
	v_mul_i32_i24_e32 v18, 0xffffffd8, v0
	v_mov_b32_dpp v19, v17 row_shr:4 row_mask:0xf bank_mask:0xf
	v_mov_b32_dpp v17, v14 row_shr:4 row_mask:0xf bank_mask:0xf
	s_mov_b32 s1, exec_lo
	v_cmpx_lt_u32_e32 3, v16
; %bb.99:
	s_delay_alu instid0(VALU_DEP_3) | instskip(SKIP_2) | instid1(VALU_DEP_2)
	v_add_co_u32 v13, vcc_lo, v13, v19
	s_wait_alu 0xfffd
	v_add_co_ci_u32_e64 v14, null, 0, v14, vcc_lo
	v_add_co_u32 v13, vcc_lo, v13, 0
	s_wait_alu 0xfffd
	s_delay_alu instid0(VALU_DEP_2)
	v_add_co_ci_u32_e64 v14, null, v14, v17, vcc_lo
; %bb.100:
	s_wait_alu 0xfffe
	s_or_b32 exec_lo, exec_lo, s1
	v_add_nc_u32_e32 v16, v33, v18
	ds_store_b64 v16, v[13:14]
.LBB1850_101:
	s_wait_alu 0xfffe
	s_or_b32 exec_lo, exec_lo, s0
	v_mov_b32_e32 v17, 0
	v_mov_b32_e32 v18, 0
	s_mov_b32 s0, exec_lo
	s_wait_loadcnt_dscnt 0x0
	s_barrier_signal -1
	s_barrier_wait -1
	global_inv scope:SCOPE_SE
	v_cmpx_lt_u32_e32 31, v0
; %bb.102:
	v_lshl_add_u32 v13, v15, 3, -8
	ds_load_b64 v[17:18], v13
; %bb.103:
	s_wait_alu 0xfffe
	s_or_b32 exec_lo, exec_lo, s0
	v_sub_co_u32 v13, vcc_lo, v36, 1
	v_mov_b32_e32 v16, 0
	s_delay_alu instid0(VALU_DEP_2) | instskip(SKIP_1) | instid1(VALU_DEP_1)
	v_cmp_gt_i32_e64 s0, 0, v13
	s_wait_alu 0xf1ff
	v_cndmask_b32_e64 v13, v13, v36, s0
	s_wait_dscnt 0x0
	v_add_co_u32 v14, s0, v17, v23
	s_wait_alu 0xf1ff
	v_add_co_ci_u32_e64 v15, null, v18, v24, s0
	v_lshlrev_b32_e32 v13, 2, v13
	ds_bpermute_b32 v19, v13, v14
	ds_bpermute_b32 v20, v13, v15
	ds_load_b64 v[13:14], v16 offset:56
	s_and_saveexec_b32 s0, s2
	s_cbranch_execz .LBB1850_105
; %bb.104:
	s_add_nc_u64 s[4:5], s[18:19], 0x200
	s_delay_alu instid0(SALU_CYCLE_1)
	v_dual_mov_b32 v15, 2 :: v_dual_mov_b32 v24, s5
	v_mov_b32_e32 v23, s4
	s_wait_dscnt 0x0
	;;#ASMSTART
	global_store_b128 v[23:24], v[13:16] off scope:SCOPE_DEV	
s_wait_storecnt 0x0
	;;#ASMEND
.LBB1850_105:
	s_wait_alu 0xfffe
	s_or_b32 exec_lo, exec_lo, s0
	s_wait_dscnt 0x1
	s_wait_alu 0xfffd
	v_dual_cndmask_b32 v15, v19, v17 :: v_dual_cndmask_b32 v16, v20, v18
	s_wait_loadcnt_dscnt 0x0
	s_barrier_signal -1
	s_barrier_wait -1
	s_delay_alu instid0(VALU_DEP_1)
	v_cndmask_b32_e64 v25, v15, 0, s2
	v_cndmask_b32_e64 v26, v16, 0, s2
	v_mov_b32_e32 v15, 0
	v_mov_b32_e32 v16, 0
	global_inv scope:SCOPE_SE
	v_add_co_u32 v19, vcc_lo, v25, v35
	s_wait_alu 0xfffd
	v_add_co_ci_u32_e64 v20, null, 0, v26, vcc_lo
	s_delay_alu instid0(VALU_DEP_2) | instskip(SKIP_1) | instid1(VALU_DEP_2)
	v_add_co_u32 v17, vcc_lo, v19, v34
	s_wait_alu 0xfffd
	v_add_co_ci_u32_e64 v18, null, 0, v20, vcc_lo
.LBB1850_106:
	v_and_b32_e32 v29, 1, v32
	s_wait_dscnt 0x0
	v_cmp_gt_u64_e32 vcc_lo, 0x101, v[13:14]
	v_lshlrev_b64_e32 v[23:24], 3, v[21:22]
	s_mov_b32 s1, -1
	v_cmp_eq_u32_e64 s0, 1, v29
	s_cbranch_vccnz .LBB1850_110
; %bb.107:
	s_wait_alu 0xfffe
	s_and_b32 vcc_lo, exec_lo, s1
	s_wait_alu 0xfffe
	s_cbranch_vccnz .LBB1850_117
.LBB1850_108:
	s_and_b32 s0, s2, s7
	s_wait_alu 0xfffe
	s_and_saveexec_b32 s1, s0
	s_cbranch_execnz .LBB1850_126
.LBB1850_109:
	s_endpgm
.LBB1850_110:
	v_add_co_u32 v27, vcc_lo, v15, v13
	s_wait_alu 0xfffd
	v_add_co_ci_u32_e64 v28, null, v16, v14, vcc_lo
	v_add_co_u32 v30, s1, s16, v23
	s_wait_alu 0xf1fe
	v_add_co_ci_u32_e64 v32, null, s17, v24, s1
	s_delay_alu instid0(VALU_DEP_3)
	v_cmp_lt_u64_e32 vcc_lo, v[25:26], v[27:28]
	s_or_b32 s1, s10, vcc_lo
	s_wait_alu 0xfffe
	s_and_b32 s1, s1, s0
	s_wait_alu 0xfffe
	s_and_saveexec_b32 s0, s1
	s_cbranch_execz .LBB1850_112
; %bb.111:
	v_lshlrev_b64_e32 v[33:34], 3, v[25:26]
	s_delay_alu instid0(VALU_DEP_1) | instskip(SKIP_1) | instid1(VALU_DEP_2)
	v_add_co_u32 v33, vcc_lo, v30, v33
	s_wait_alu 0xfffd
	v_add_co_ci_u32_e64 v34, null, v32, v34, vcc_lo
	global_store_b64 v[33:34], v[9:10], off
.LBB1850_112:
	s_wait_alu 0xfffe
	s_or_b32 exec_lo, exec_lo, s0
	v_and_b32_e32 v26, 1, v31
	v_cmp_lt_u64_e32 vcc_lo, v[19:20], v[27:28]
	s_delay_alu instid0(VALU_DEP_2)
	v_cmp_eq_u32_e64 s0, 1, v26
	s_or_b32 s1, s10, vcc_lo
	s_wait_alu 0xfffe
	s_and_b32 s1, s1, s0
	s_wait_alu 0xfffe
	s_and_saveexec_b32 s0, s1
	s_cbranch_execz .LBB1850_114
; %bb.113:
	v_lshlrev_b64_e32 v[33:34], 3, v[19:20]
	s_delay_alu instid0(VALU_DEP_1) | instskip(SKIP_1) | instid1(VALU_DEP_2)
	v_add_co_u32 v33, vcc_lo, v30, v33
	s_wait_alu 0xfffd
	v_add_co_ci_u32_e64 v34, null, v32, v34, vcc_lo
	global_store_b64 v[33:34], v[5:6], off
.LBB1850_114:
	s_wait_alu 0xfffe
	s_or_b32 exec_lo, exec_lo, s0
	v_cmp_lt_u64_e32 vcc_lo, v[17:18], v[27:28]
	s_or_b32 s0, s10, vcc_lo
	s_wait_alu 0xfffe
	s_and_b32 s1, s0, s11
	s_wait_alu 0xfffe
	s_and_saveexec_b32 s0, s1
	s_cbranch_execz .LBB1850_116
; %bb.115:
	v_lshlrev_b64_e32 v[26:27], 3, v[17:18]
	s_delay_alu instid0(VALU_DEP_1) | instskip(SKIP_1) | instid1(VALU_DEP_2)
	v_add_co_u32 v26, vcc_lo, v30, v26
	s_wait_alu 0xfffd
	v_add_co_ci_u32_e64 v27, null, v32, v27, vcc_lo
	global_store_b64 v[26:27], v[1:2], off
.LBB1850_116:
	s_wait_alu 0xfffe
	s_or_b32 exec_lo, exec_lo, s0
	s_branch .LBB1850_108
.LBB1850_117:
	s_mov_b32 s0, exec_lo
	v_cmpx_eq_u32_e32 1, v29
; %bb.118:
	v_sub_nc_u32_e32 v18, v25, v15
	s_delay_alu instid0(VALU_DEP_1)
	v_lshlrev_b32_e32 v18, 4, v18
	ds_store_b128 v18, v[9:12]
; %bb.119:
	s_wait_alu 0xfffe
	s_or_b32 exec_lo, exec_lo, s0
	v_and_b32_e32 v9, 1, v31
	s_mov_b32 s0, exec_lo
	s_delay_alu instid0(VALU_DEP_1)
	v_cmpx_eq_u32_e32 1, v9
; %bb.120:
	v_sub_nc_u32_e32 v9, v19, v15
	s_delay_alu instid0(VALU_DEP_1)
	v_lshlrev_b32_e32 v9, 4, v9
	ds_store_b128 v9, v[5:8]
; %bb.121:
	s_wait_alu 0xfffe
	s_or_b32 exec_lo, exec_lo, s0
	s_and_saveexec_b32 s0, s11
; %bb.122:
	v_sub_nc_u32_e32 v5, v17, v15
	s_delay_alu instid0(VALU_DEP_1)
	v_lshlrev_b32_e32 v5, 4, v5
	ds_store_b128 v5, v[1:4]
; %bb.123:
	s_wait_alu 0xfffe
	s_or_b32 exec_lo, exec_lo, s0
	v_lshlrev_b64_e32 v[2:3], 3, v[15:16]
	v_mov_b32_e32 v1, 0
	s_mov_b32 s1, 0
	s_wait_storecnt 0x0
	s_wait_loadcnt_dscnt 0x0
	s_barrier_signal -1
	s_barrier_wait -1
	v_add_co_u32 v4, vcc_lo, s16, v2
	s_wait_alu 0xfffd
	v_add_co_ci_u32_e64 v5, null, s17, v3, vcc_lo
	v_dual_mov_b32 v3, v1 :: v_dual_mov_b32 v2, v0
	s_delay_alu instid0(VALU_DEP_3) | instskip(SKIP_1) | instid1(VALU_DEP_3)
	v_add_co_u32 v4, vcc_lo, v4, v23
	s_wait_alu 0xfffd
	v_add_co_ci_u32_e64 v5, null, v5, v24, vcc_lo
	v_or_b32_e32 v0, 0x100, v0
	global_inv scope:SCOPE_SE
.LBB1850_124:                           ; =>This Inner Loop Header: Depth=1
	v_lshlrev_b32_e32 v6, 4, v2
	v_lshlrev_b64_e32 v[8:9], 3, v[2:3]
	v_mov_b32_e32 v3, v1
	v_cmp_le_u64_e32 vcc_lo, v[13:14], v[0:1]
	v_mov_b32_e32 v2, v0
	ds_load_b64 v[6:7], v6
	v_add_nc_u32_e32 v0, 0x100, v0
	v_add_co_u32 v8, s0, v4, v8
	s_wait_alu 0xf1ff
	v_add_co_ci_u32_e64 v9, null, v5, v9, s0
	s_wait_alu 0xfffe
	s_or_b32 s1, vcc_lo, s1
	s_wait_dscnt 0x0
	global_store_b64 v[8:9], v[6:7], off
	s_wait_alu 0xfffe
	s_and_not1_b32 exec_lo, exec_lo, s1
	s_cbranch_execnz .LBB1850_124
; %bb.125:
	s_or_b32 exec_lo, exec_lo, s1
	s_and_b32 s0, s2, s7
	s_wait_alu 0xfffe
	s_and_saveexec_b32 s1, s0
	s_cbranch_execz .LBB1850_109
.LBB1850_126:
	v_add_co_u32 v0, vcc_lo, v15, v13
	s_wait_alu 0xfffd
	v_add_co_ci_u32_e64 v1, null, v16, v14, vcc_lo
	v_mov_b32_e32 v2, 0
	s_delay_alu instid0(VALU_DEP_3) | instskip(SKIP_1) | instid1(VALU_DEP_3)
	v_add_co_u32 v0, vcc_lo, v0, v21
	s_wait_alu 0xfffd
	v_add_co_ci_u32_e64 v1, null, v1, v22, vcc_lo
	global_store_b64 v2, v[0:1], s[8:9]
	s_endpgm
	.section	.rodata,"a",@progbits
	.p2align	6, 0x0
	.amdhsa_kernel _ZN7rocprim17ROCPRIM_400000_NS6detail17trampoline_kernelINS0_14default_configENS1_25partition_config_selectorILNS1_17partition_subalgoE6EN6thrust23THRUST_200600_302600_NS5tupleIddNS7_9null_typeES9_S9_S9_S9_S9_S9_S9_EENS0_10empty_typeEbEEZZNS1_14partition_implILS5_6ELb0ES3_mNS7_12zip_iteratorINS8_INS7_6detail15normal_iteratorINS7_10device_ptrIdEEEESJ_S9_S9_S9_S9_S9_S9_S9_S9_EEEEPSB_SM_NS0_5tupleIJNSE_INS8_ISJ_NS7_16discard_iteratorINS7_11use_defaultEEES9_S9_S9_S9_S9_S9_S9_S9_EEEESB_EEENSN_IJSM_SM_EEESB_PlJNSF_9not_fun_tINSF_14equal_to_valueISA_EEEEEEE10hipError_tPvRmT3_T4_T5_T6_T7_T9_mT8_P12ihipStream_tbDpT10_ENKUlT_T0_E_clISt17integral_constantIbLb0EES1I_IbLb1EEEEDaS1E_S1F_EUlS1E_E_NS1_11comp_targetILNS1_3genE10ELNS1_11target_archE1200ELNS1_3gpuE4ELNS1_3repE0EEENS1_30default_config_static_selectorELNS0_4arch9wavefront6targetE0EEEvT1_
		.amdhsa_group_segment_fixed_size 12304
		.amdhsa_private_segment_fixed_size 0
		.amdhsa_kernarg_size 160
		.amdhsa_user_sgpr_count 2
		.amdhsa_user_sgpr_dispatch_ptr 0
		.amdhsa_user_sgpr_queue_ptr 0
		.amdhsa_user_sgpr_kernarg_segment_ptr 1
		.amdhsa_user_sgpr_dispatch_id 0
		.amdhsa_user_sgpr_private_segment_size 0
		.amdhsa_wavefront_size32 1
		.amdhsa_uses_dynamic_stack 0
		.amdhsa_enable_private_segment 0
		.amdhsa_system_sgpr_workgroup_id_x 1
		.amdhsa_system_sgpr_workgroup_id_y 0
		.amdhsa_system_sgpr_workgroup_id_z 0
		.amdhsa_system_sgpr_workgroup_info 0
		.amdhsa_system_vgpr_workitem_id 0
		.amdhsa_next_free_vgpr 51
		.amdhsa_next_free_sgpr 28
		.amdhsa_reserve_vcc 1
		.amdhsa_float_round_mode_32 0
		.amdhsa_float_round_mode_16_64 0
		.amdhsa_float_denorm_mode_32 3
		.amdhsa_float_denorm_mode_16_64 3
		.amdhsa_fp16_overflow 0
		.amdhsa_workgroup_processor_mode 1
		.amdhsa_memory_ordered 1
		.amdhsa_forward_progress 1
		.amdhsa_inst_pref_size 47
		.amdhsa_round_robin_scheduling 0
		.amdhsa_exception_fp_ieee_invalid_op 0
		.amdhsa_exception_fp_denorm_src 0
		.amdhsa_exception_fp_ieee_div_zero 0
		.amdhsa_exception_fp_ieee_overflow 0
		.amdhsa_exception_fp_ieee_underflow 0
		.amdhsa_exception_fp_ieee_inexact 0
		.amdhsa_exception_int_div_zero 0
	.end_amdhsa_kernel
	.section	.text._ZN7rocprim17ROCPRIM_400000_NS6detail17trampoline_kernelINS0_14default_configENS1_25partition_config_selectorILNS1_17partition_subalgoE6EN6thrust23THRUST_200600_302600_NS5tupleIddNS7_9null_typeES9_S9_S9_S9_S9_S9_S9_EENS0_10empty_typeEbEEZZNS1_14partition_implILS5_6ELb0ES3_mNS7_12zip_iteratorINS8_INS7_6detail15normal_iteratorINS7_10device_ptrIdEEEESJ_S9_S9_S9_S9_S9_S9_S9_S9_EEEEPSB_SM_NS0_5tupleIJNSE_INS8_ISJ_NS7_16discard_iteratorINS7_11use_defaultEEES9_S9_S9_S9_S9_S9_S9_S9_EEEESB_EEENSN_IJSM_SM_EEESB_PlJNSF_9not_fun_tINSF_14equal_to_valueISA_EEEEEEE10hipError_tPvRmT3_T4_T5_T6_T7_T9_mT8_P12ihipStream_tbDpT10_ENKUlT_T0_E_clISt17integral_constantIbLb0EES1I_IbLb1EEEEDaS1E_S1F_EUlS1E_E_NS1_11comp_targetILNS1_3genE10ELNS1_11target_archE1200ELNS1_3gpuE4ELNS1_3repE0EEENS1_30default_config_static_selectorELNS0_4arch9wavefront6targetE0EEEvT1_,"axG",@progbits,_ZN7rocprim17ROCPRIM_400000_NS6detail17trampoline_kernelINS0_14default_configENS1_25partition_config_selectorILNS1_17partition_subalgoE6EN6thrust23THRUST_200600_302600_NS5tupleIddNS7_9null_typeES9_S9_S9_S9_S9_S9_S9_EENS0_10empty_typeEbEEZZNS1_14partition_implILS5_6ELb0ES3_mNS7_12zip_iteratorINS8_INS7_6detail15normal_iteratorINS7_10device_ptrIdEEEESJ_S9_S9_S9_S9_S9_S9_S9_S9_EEEEPSB_SM_NS0_5tupleIJNSE_INS8_ISJ_NS7_16discard_iteratorINS7_11use_defaultEEES9_S9_S9_S9_S9_S9_S9_S9_EEEESB_EEENSN_IJSM_SM_EEESB_PlJNSF_9not_fun_tINSF_14equal_to_valueISA_EEEEEEE10hipError_tPvRmT3_T4_T5_T6_T7_T9_mT8_P12ihipStream_tbDpT10_ENKUlT_T0_E_clISt17integral_constantIbLb0EES1I_IbLb1EEEEDaS1E_S1F_EUlS1E_E_NS1_11comp_targetILNS1_3genE10ELNS1_11target_archE1200ELNS1_3gpuE4ELNS1_3repE0EEENS1_30default_config_static_selectorELNS0_4arch9wavefront6targetE0EEEvT1_,comdat
.Lfunc_end1850:
	.size	_ZN7rocprim17ROCPRIM_400000_NS6detail17trampoline_kernelINS0_14default_configENS1_25partition_config_selectorILNS1_17partition_subalgoE6EN6thrust23THRUST_200600_302600_NS5tupleIddNS7_9null_typeES9_S9_S9_S9_S9_S9_S9_EENS0_10empty_typeEbEEZZNS1_14partition_implILS5_6ELb0ES3_mNS7_12zip_iteratorINS8_INS7_6detail15normal_iteratorINS7_10device_ptrIdEEEESJ_S9_S9_S9_S9_S9_S9_S9_S9_EEEEPSB_SM_NS0_5tupleIJNSE_INS8_ISJ_NS7_16discard_iteratorINS7_11use_defaultEEES9_S9_S9_S9_S9_S9_S9_S9_EEEESB_EEENSN_IJSM_SM_EEESB_PlJNSF_9not_fun_tINSF_14equal_to_valueISA_EEEEEEE10hipError_tPvRmT3_T4_T5_T6_T7_T9_mT8_P12ihipStream_tbDpT10_ENKUlT_T0_E_clISt17integral_constantIbLb0EES1I_IbLb1EEEEDaS1E_S1F_EUlS1E_E_NS1_11comp_targetILNS1_3genE10ELNS1_11target_archE1200ELNS1_3gpuE4ELNS1_3repE0EEENS1_30default_config_static_selectorELNS0_4arch9wavefront6targetE0EEEvT1_, .Lfunc_end1850-_ZN7rocprim17ROCPRIM_400000_NS6detail17trampoline_kernelINS0_14default_configENS1_25partition_config_selectorILNS1_17partition_subalgoE6EN6thrust23THRUST_200600_302600_NS5tupleIddNS7_9null_typeES9_S9_S9_S9_S9_S9_S9_EENS0_10empty_typeEbEEZZNS1_14partition_implILS5_6ELb0ES3_mNS7_12zip_iteratorINS8_INS7_6detail15normal_iteratorINS7_10device_ptrIdEEEESJ_S9_S9_S9_S9_S9_S9_S9_S9_EEEEPSB_SM_NS0_5tupleIJNSE_INS8_ISJ_NS7_16discard_iteratorINS7_11use_defaultEEES9_S9_S9_S9_S9_S9_S9_S9_EEEESB_EEENSN_IJSM_SM_EEESB_PlJNSF_9not_fun_tINSF_14equal_to_valueISA_EEEEEEE10hipError_tPvRmT3_T4_T5_T6_T7_T9_mT8_P12ihipStream_tbDpT10_ENKUlT_T0_E_clISt17integral_constantIbLb0EES1I_IbLb1EEEEDaS1E_S1F_EUlS1E_E_NS1_11comp_targetILNS1_3genE10ELNS1_11target_archE1200ELNS1_3gpuE4ELNS1_3repE0EEENS1_30default_config_static_selectorELNS0_4arch9wavefront6targetE0EEEvT1_
                                        ; -- End function
	.set _ZN7rocprim17ROCPRIM_400000_NS6detail17trampoline_kernelINS0_14default_configENS1_25partition_config_selectorILNS1_17partition_subalgoE6EN6thrust23THRUST_200600_302600_NS5tupleIddNS7_9null_typeES9_S9_S9_S9_S9_S9_S9_EENS0_10empty_typeEbEEZZNS1_14partition_implILS5_6ELb0ES3_mNS7_12zip_iteratorINS8_INS7_6detail15normal_iteratorINS7_10device_ptrIdEEEESJ_S9_S9_S9_S9_S9_S9_S9_S9_EEEEPSB_SM_NS0_5tupleIJNSE_INS8_ISJ_NS7_16discard_iteratorINS7_11use_defaultEEES9_S9_S9_S9_S9_S9_S9_S9_EEEESB_EEENSN_IJSM_SM_EEESB_PlJNSF_9not_fun_tINSF_14equal_to_valueISA_EEEEEEE10hipError_tPvRmT3_T4_T5_T6_T7_T9_mT8_P12ihipStream_tbDpT10_ENKUlT_T0_E_clISt17integral_constantIbLb0EES1I_IbLb1EEEEDaS1E_S1F_EUlS1E_E_NS1_11comp_targetILNS1_3genE10ELNS1_11target_archE1200ELNS1_3gpuE4ELNS1_3repE0EEENS1_30default_config_static_selectorELNS0_4arch9wavefront6targetE0EEEvT1_.num_vgpr, 51
	.set _ZN7rocprim17ROCPRIM_400000_NS6detail17trampoline_kernelINS0_14default_configENS1_25partition_config_selectorILNS1_17partition_subalgoE6EN6thrust23THRUST_200600_302600_NS5tupleIddNS7_9null_typeES9_S9_S9_S9_S9_S9_S9_EENS0_10empty_typeEbEEZZNS1_14partition_implILS5_6ELb0ES3_mNS7_12zip_iteratorINS8_INS7_6detail15normal_iteratorINS7_10device_ptrIdEEEESJ_S9_S9_S9_S9_S9_S9_S9_S9_EEEEPSB_SM_NS0_5tupleIJNSE_INS8_ISJ_NS7_16discard_iteratorINS7_11use_defaultEEES9_S9_S9_S9_S9_S9_S9_S9_EEEESB_EEENSN_IJSM_SM_EEESB_PlJNSF_9not_fun_tINSF_14equal_to_valueISA_EEEEEEE10hipError_tPvRmT3_T4_T5_T6_T7_T9_mT8_P12ihipStream_tbDpT10_ENKUlT_T0_E_clISt17integral_constantIbLb0EES1I_IbLb1EEEEDaS1E_S1F_EUlS1E_E_NS1_11comp_targetILNS1_3genE10ELNS1_11target_archE1200ELNS1_3gpuE4ELNS1_3repE0EEENS1_30default_config_static_selectorELNS0_4arch9wavefront6targetE0EEEvT1_.num_agpr, 0
	.set _ZN7rocprim17ROCPRIM_400000_NS6detail17trampoline_kernelINS0_14default_configENS1_25partition_config_selectorILNS1_17partition_subalgoE6EN6thrust23THRUST_200600_302600_NS5tupleIddNS7_9null_typeES9_S9_S9_S9_S9_S9_S9_EENS0_10empty_typeEbEEZZNS1_14partition_implILS5_6ELb0ES3_mNS7_12zip_iteratorINS8_INS7_6detail15normal_iteratorINS7_10device_ptrIdEEEESJ_S9_S9_S9_S9_S9_S9_S9_S9_EEEEPSB_SM_NS0_5tupleIJNSE_INS8_ISJ_NS7_16discard_iteratorINS7_11use_defaultEEES9_S9_S9_S9_S9_S9_S9_S9_EEEESB_EEENSN_IJSM_SM_EEESB_PlJNSF_9not_fun_tINSF_14equal_to_valueISA_EEEEEEE10hipError_tPvRmT3_T4_T5_T6_T7_T9_mT8_P12ihipStream_tbDpT10_ENKUlT_T0_E_clISt17integral_constantIbLb0EES1I_IbLb1EEEEDaS1E_S1F_EUlS1E_E_NS1_11comp_targetILNS1_3genE10ELNS1_11target_archE1200ELNS1_3gpuE4ELNS1_3repE0EEENS1_30default_config_static_selectorELNS0_4arch9wavefront6targetE0EEEvT1_.numbered_sgpr, 28
	.set _ZN7rocprim17ROCPRIM_400000_NS6detail17trampoline_kernelINS0_14default_configENS1_25partition_config_selectorILNS1_17partition_subalgoE6EN6thrust23THRUST_200600_302600_NS5tupleIddNS7_9null_typeES9_S9_S9_S9_S9_S9_S9_EENS0_10empty_typeEbEEZZNS1_14partition_implILS5_6ELb0ES3_mNS7_12zip_iteratorINS8_INS7_6detail15normal_iteratorINS7_10device_ptrIdEEEESJ_S9_S9_S9_S9_S9_S9_S9_S9_EEEEPSB_SM_NS0_5tupleIJNSE_INS8_ISJ_NS7_16discard_iteratorINS7_11use_defaultEEES9_S9_S9_S9_S9_S9_S9_S9_EEEESB_EEENSN_IJSM_SM_EEESB_PlJNSF_9not_fun_tINSF_14equal_to_valueISA_EEEEEEE10hipError_tPvRmT3_T4_T5_T6_T7_T9_mT8_P12ihipStream_tbDpT10_ENKUlT_T0_E_clISt17integral_constantIbLb0EES1I_IbLb1EEEEDaS1E_S1F_EUlS1E_E_NS1_11comp_targetILNS1_3genE10ELNS1_11target_archE1200ELNS1_3gpuE4ELNS1_3repE0EEENS1_30default_config_static_selectorELNS0_4arch9wavefront6targetE0EEEvT1_.num_named_barrier, 0
	.set _ZN7rocprim17ROCPRIM_400000_NS6detail17trampoline_kernelINS0_14default_configENS1_25partition_config_selectorILNS1_17partition_subalgoE6EN6thrust23THRUST_200600_302600_NS5tupleIddNS7_9null_typeES9_S9_S9_S9_S9_S9_S9_EENS0_10empty_typeEbEEZZNS1_14partition_implILS5_6ELb0ES3_mNS7_12zip_iteratorINS8_INS7_6detail15normal_iteratorINS7_10device_ptrIdEEEESJ_S9_S9_S9_S9_S9_S9_S9_S9_EEEEPSB_SM_NS0_5tupleIJNSE_INS8_ISJ_NS7_16discard_iteratorINS7_11use_defaultEEES9_S9_S9_S9_S9_S9_S9_S9_EEEESB_EEENSN_IJSM_SM_EEESB_PlJNSF_9not_fun_tINSF_14equal_to_valueISA_EEEEEEE10hipError_tPvRmT3_T4_T5_T6_T7_T9_mT8_P12ihipStream_tbDpT10_ENKUlT_T0_E_clISt17integral_constantIbLb0EES1I_IbLb1EEEEDaS1E_S1F_EUlS1E_E_NS1_11comp_targetILNS1_3genE10ELNS1_11target_archE1200ELNS1_3gpuE4ELNS1_3repE0EEENS1_30default_config_static_selectorELNS0_4arch9wavefront6targetE0EEEvT1_.private_seg_size, 0
	.set _ZN7rocprim17ROCPRIM_400000_NS6detail17trampoline_kernelINS0_14default_configENS1_25partition_config_selectorILNS1_17partition_subalgoE6EN6thrust23THRUST_200600_302600_NS5tupleIddNS7_9null_typeES9_S9_S9_S9_S9_S9_S9_EENS0_10empty_typeEbEEZZNS1_14partition_implILS5_6ELb0ES3_mNS7_12zip_iteratorINS8_INS7_6detail15normal_iteratorINS7_10device_ptrIdEEEESJ_S9_S9_S9_S9_S9_S9_S9_S9_EEEEPSB_SM_NS0_5tupleIJNSE_INS8_ISJ_NS7_16discard_iteratorINS7_11use_defaultEEES9_S9_S9_S9_S9_S9_S9_S9_EEEESB_EEENSN_IJSM_SM_EEESB_PlJNSF_9not_fun_tINSF_14equal_to_valueISA_EEEEEEE10hipError_tPvRmT3_T4_T5_T6_T7_T9_mT8_P12ihipStream_tbDpT10_ENKUlT_T0_E_clISt17integral_constantIbLb0EES1I_IbLb1EEEEDaS1E_S1F_EUlS1E_E_NS1_11comp_targetILNS1_3genE10ELNS1_11target_archE1200ELNS1_3gpuE4ELNS1_3repE0EEENS1_30default_config_static_selectorELNS0_4arch9wavefront6targetE0EEEvT1_.uses_vcc, 1
	.set _ZN7rocprim17ROCPRIM_400000_NS6detail17trampoline_kernelINS0_14default_configENS1_25partition_config_selectorILNS1_17partition_subalgoE6EN6thrust23THRUST_200600_302600_NS5tupleIddNS7_9null_typeES9_S9_S9_S9_S9_S9_S9_EENS0_10empty_typeEbEEZZNS1_14partition_implILS5_6ELb0ES3_mNS7_12zip_iteratorINS8_INS7_6detail15normal_iteratorINS7_10device_ptrIdEEEESJ_S9_S9_S9_S9_S9_S9_S9_S9_EEEEPSB_SM_NS0_5tupleIJNSE_INS8_ISJ_NS7_16discard_iteratorINS7_11use_defaultEEES9_S9_S9_S9_S9_S9_S9_S9_EEEESB_EEENSN_IJSM_SM_EEESB_PlJNSF_9not_fun_tINSF_14equal_to_valueISA_EEEEEEE10hipError_tPvRmT3_T4_T5_T6_T7_T9_mT8_P12ihipStream_tbDpT10_ENKUlT_T0_E_clISt17integral_constantIbLb0EES1I_IbLb1EEEEDaS1E_S1F_EUlS1E_E_NS1_11comp_targetILNS1_3genE10ELNS1_11target_archE1200ELNS1_3gpuE4ELNS1_3repE0EEENS1_30default_config_static_selectorELNS0_4arch9wavefront6targetE0EEEvT1_.uses_flat_scratch, 0
	.set _ZN7rocprim17ROCPRIM_400000_NS6detail17trampoline_kernelINS0_14default_configENS1_25partition_config_selectorILNS1_17partition_subalgoE6EN6thrust23THRUST_200600_302600_NS5tupleIddNS7_9null_typeES9_S9_S9_S9_S9_S9_S9_EENS0_10empty_typeEbEEZZNS1_14partition_implILS5_6ELb0ES3_mNS7_12zip_iteratorINS8_INS7_6detail15normal_iteratorINS7_10device_ptrIdEEEESJ_S9_S9_S9_S9_S9_S9_S9_S9_EEEEPSB_SM_NS0_5tupleIJNSE_INS8_ISJ_NS7_16discard_iteratorINS7_11use_defaultEEES9_S9_S9_S9_S9_S9_S9_S9_EEEESB_EEENSN_IJSM_SM_EEESB_PlJNSF_9not_fun_tINSF_14equal_to_valueISA_EEEEEEE10hipError_tPvRmT3_T4_T5_T6_T7_T9_mT8_P12ihipStream_tbDpT10_ENKUlT_T0_E_clISt17integral_constantIbLb0EES1I_IbLb1EEEEDaS1E_S1F_EUlS1E_E_NS1_11comp_targetILNS1_3genE10ELNS1_11target_archE1200ELNS1_3gpuE4ELNS1_3repE0EEENS1_30default_config_static_selectorELNS0_4arch9wavefront6targetE0EEEvT1_.has_dyn_sized_stack, 0
	.set _ZN7rocprim17ROCPRIM_400000_NS6detail17trampoline_kernelINS0_14default_configENS1_25partition_config_selectorILNS1_17partition_subalgoE6EN6thrust23THRUST_200600_302600_NS5tupleIddNS7_9null_typeES9_S9_S9_S9_S9_S9_S9_EENS0_10empty_typeEbEEZZNS1_14partition_implILS5_6ELb0ES3_mNS7_12zip_iteratorINS8_INS7_6detail15normal_iteratorINS7_10device_ptrIdEEEESJ_S9_S9_S9_S9_S9_S9_S9_S9_EEEEPSB_SM_NS0_5tupleIJNSE_INS8_ISJ_NS7_16discard_iteratorINS7_11use_defaultEEES9_S9_S9_S9_S9_S9_S9_S9_EEEESB_EEENSN_IJSM_SM_EEESB_PlJNSF_9not_fun_tINSF_14equal_to_valueISA_EEEEEEE10hipError_tPvRmT3_T4_T5_T6_T7_T9_mT8_P12ihipStream_tbDpT10_ENKUlT_T0_E_clISt17integral_constantIbLb0EES1I_IbLb1EEEEDaS1E_S1F_EUlS1E_E_NS1_11comp_targetILNS1_3genE10ELNS1_11target_archE1200ELNS1_3gpuE4ELNS1_3repE0EEENS1_30default_config_static_selectorELNS0_4arch9wavefront6targetE0EEEvT1_.has_recursion, 0
	.set _ZN7rocprim17ROCPRIM_400000_NS6detail17trampoline_kernelINS0_14default_configENS1_25partition_config_selectorILNS1_17partition_subalgoE6EN6thrust23THRUST_200600_302600_NS5tupleIddNS7_9null_typeES9_S9_S9_S9_S9_S9_S9_EENS0_10empty_typeEbEEZZNS1_14partition_implILS5_6ELb0ES3_mNS7_12zip_iteratorINS8_INS7_6detail15normal_iteratorINS7_10device_ptrIdEEEESJ_S9_S9_S9_S9_S9_S9_S9_S9_EEEEPSB_SM_NS0_5tupleIJNSE_INS8_ISJ_NS7_16discard_iteratorINS7_11use_defaultEEES9_S9_S9_S9_S9_S9_S9_S9_EEEESB_EEENSN_IJSM_SM_EEESB_PlJNSF_9not_fun_tINSF_14equal_to_valueISA_EEEEEEE10hipError_tPvRmT3_T4_T5_T6_T7_T9_mT8_P12ihipStream_tbDpT10_ENKUlT_T0_E_clISt17integral_constantIbLb0EES1I_IbLb1EEEEDaS1E_S1F_EUlS1E_E_NS1_11comp_targetILNS1_3genE10ELNS1_11target_archE1200ELNS1_3gpuE4ELNS1_3repE0EEENS1_30default_config_static_selectorELNS0_4arch9wavefront6targetE0EEEvT1_.has_indirect_call, 0
	.section	.AMDGPU.csdata,"",@progbits
; Kernel info:
; codeLenInByte = 5936
; TotalNumSgprs: 30
; NumVgprs: 51
; ScratchSize: 0
; MemoryBound: 0
; FloatMode: 240
; IeeeMode: 1
; LDSByteSize: 12304 bytes/workgroup (compile time only)
; SGPRBlocks: 0
; VGPRBlocks: 6
; NumSGPRsForWavesPerEU: 30
; NumVGPRsForWavesPerEU: 51
; Occupancy: 16
; WaveLimiterHint : 1
; COMPUTE_PGM_RSRC2:SCRATCH_EN: 0
; COMPUTE_PGM_RSRC2:USER_SGPR: 2
; COMPUTE_PGM_RSRC2:TRAP_HANDLER: 0
; COMPUTE_PGM_RSRC2:TGID_X_EN: 1
; COMPUTE_PGM_RSRC2:TGID_Y_EN: 0
; COMPUTE_PGM_RSRC2:TGID_Z_EN: 0
; COMPUTE_PGM_RSRC2:TIDIG_COMP_CNT: 0
	.section	.text._ZN7rocprim17ROCPRIM_400000_NS6detail17trampoline_kernelINS0_14default_configENS1_25partition_config_selectorILNS1_17partition_subalgoE6EN6thrust23THRUST_200600_302600_NS5tupleIddNS7_9null_typeES9_S9_S9_S9_S9_S9_S9_EENS0_10empty_typeEbEEZZNS1_14partition_implILS5_6ELb0ES3_mNS7_12zip_iteratorINS8_INS7_6detail15normal_iteratorINS7_10device_ptrIdEEEESJ_S9_S9_S9_S9_S9_S9_S9_S9_EEEEPSB_SM_NS0_5tupleIJNSE_INS8_ISJ_NS7_16discard_iteratorINS7_11use_defaultEEES9_S9_S9_S9_S9_S9_S9_S9_EEEESB_EEENSN_IJSM_SM_EEESB_PlJNSF_9not_fun_tINSF_14equal_to_valueISA_EEEEEEE10hipError_tPvRmT3_T4_T5_T6_T7_T9_mT8_P12ihipStream_tbDpT10_ENKUlT_T0_E_clISt17integral_constantIbLb0EES1I_IbLb1EEEEDaS1E_S1F_EUlS1E_E_NS1_11comp_targetILNS1_3genE9ELNS1_11target_archE1100ELNS1_3gpuE3ELNS1_3repE0EEENS1_30default_config_static_selectorELNS0_4arch9wavefront6targetE0EEEvT1_,"axG",@progbits,_ZN7rocprim17ROCPRIM_400000_NS6detail17trampoline_kernelINS0_14default_configENS1_25partition_config_selectorILNS1_17partition_subalgoE6EN6thrust23THRUST_200600_302600_NS5tupleIddNS7_9null_typeES9_S9_S9_S9_S9_S9_S9_EENS0_10empty_typeEbEEZZNS1_14partition_implILS5_6ELb0ES3_mNS7_12zip_iteratorINS8_INS7_6detail15normal_iteratorINS7_10device_ptrIdEEEESJ_S9_S9_S9_S9_S9_S9_S9_S9_EEEEPSB_SM_NS0_5tupleIJNSE_INS8_ISJ_NS7_16discard_iteratorINS7_11use_defaultEEES9_S9_S9_S9_S9_S9_S9_S9_EEEESB_EEENSN_IJSM_SM_EEESB_PlJNSF_9not_fun_tINSF_14equal_to_valueISA_EEEEEEE10hipError_tPvRmT3_T4_T5_T6_T7_T9_mT8_P12ihipStream_tbDpT10_ENKUlT_T0_E_clISt17integral_constantIbLb0EES1I_IbLb1EEEEDaS1E_S1F_EUlS1E_E_NS1_11comp_targetILNS1_3genE9ELNS1_11target_archE1100ELNS1_3gpuE3ELNS1_3repE0EEENS1_30default_config_static_selectorELNS0_4arch9wavefront6targetE0EEEvT1_,comdat
	.protected	_ZN7rocprim17ROCPRIM_400000_NS6detail17trampoline_kernelINS0_14default_configENS1_25partition_config_selectorILNS1_17partition_subalgoE6EN6thrust23THRUST_200600_302600_NS5tupleIddNS7_9null_typeES9_S9_S9_S9_S9_S9_S9_EENS0_10empty_typeEbEEZZNS1_14partition_implILS5_6ELb0ES3_mNS7_12zip_iteratorINS8_INS7_6detail15normal_iteratorINS7_10device_ptrIdEEEESJ_S9_S9_S9_S9_S9_S9_S9_S9_EEEEPSB_SM_NS0_5tupleIJNSE_INS8_ISJ_NS7_16discard_iteratorINS7_11use_defaultEEES9_S9_S9_S9_S9_S9_S9_S9_EEEESB_EEENSN_IJSM_SM_EEESB_PlJNSF_9not_fun_tINSF_14equal_to_valueISA_EEEEEEE10hipError_tPvRmT3_T4_T5_T6_T7_T9_mT8_P12ihipStream_tbDpT10_ENKUlT_T0_E_clISt17integral_constantIbLb0EES1I_IbLb1EEEEDaS1E_S1F_EUlS1E_E_NS1_11comp_targetILNS1_3genE9ELNS1_11target_archE1100ELNS1_3gpuE3ELNS1_3repE0EEENS1_30default_config_static_selectorELNS0_4arch9wavefront6targetE0EEEvT1_ ; -- Begin function _ZN7rocprim17ROCPRIM_400000_NS6detail17trampoline_kernelINS0_14default_configENS1_25partition_config_selectorILNS1_17partition_subalgoE6EN6thrust23THRUST_200600_302600_NS5tupleIddNS7_9null_typeES9_S9_S9_S9_S9_S9_S9_EENS0_10empty_typeEbEEZZNS1_14partition_implILS5_6ELb0ES3_mNS7_12zip_iteratorINS8_INS7_6detail15normal_iteratorINS7_10device_ptrIdEEEESJ_S9_S9_S9_S9_S9_S9_S9_S9_EEEEPSB_SM_NS0_5tupleIJNSE_INS8_ISJ_NS7_16discard_iteratorINS7_11use_defaultEEES9_S9_S9_S9_S9_S9_S9_S9_EEEESB_EEENSN_IJSM_SM_EEESB_PlJNSF_9not_fun_tINSF_14equal_to_valueISA_EEEEEEE10hipError_tPvRmT3_T4_T5_T6_T7_T9_mT8_P12ihipStream_tbDpT10_ENKUlT_T0_E_clISt17integral_constantIbLb0EES1I_IbLb1EEEEDaS1E_S1F_EUlS1E_E_NS1_11comp_targetILNS1_3genE9ELNS1_11target_archE1100ELNS1_3gpuE3ELNS1_3repE0EEENS1_30default_config_static_selectorELNS0_4arch9wavefront6targetE0EEEvT1_
	.globl	_ZN7rocprim17ROCPRIM_400000_NS6detail17trampoline_kernelINS0_14default_configENS1_25partition_config_selectorILNS1_17partition_subalgoE6EN6thrust23THRUST_200600_302600_NS5tupleIddNS7_9null_typeES9_S9_S9_S9_S9_S9_S9_EENS0_10empty_typeEbEEZZNS1_14partition_implILS5_6ELb0ES3_mNS7_12zip_iteratorINS8_INS7_6detail15normal_iteratorINS7_10device_ptrIdEEEESJ_S9_S9_S9_S9_S9_S9_S9_S9_EEEEPSB_SM_NS0_5tupleIJNSE_INS8_ISJ_NS7_16discard_iteratorINS7_11use_defaultEEES9_S9_S9_S9_S9_S9_S9_S9_EEEESB_EEENSN_IJSM_SM_EEESB_PlJNSF_9not_fun_tINSF_14equal_to_valueISA_EEEEEEE10hipError_tPvRmT3_T4_T5_T6_T7_T9_mT8_P12ihipStream_tbDpT10_ENKUlT_T0_E_clISt17integral_constantIbLb0EES1I_IbLb1EEEEDaS1E_S1F_EUlS1E_E_NS1_11comp_targetILNS1_3genE9ELNS1_11target_archE1100ELNS1_3gpuE3ELNS1_3repE0EEENS1_30default_config_static_selectorELNS0_4arch9wavefront6targetE0EEEvT1_
	.p2align	8
	.type	_ZN7rocprim17ROCPRIM_400000_NS6detail17trampoline_kernelINS0_14default_configENS1_25partition_config_selectorILNS1_17partition_subalgoE6EN6thrust23THRUST_200600_302600_NS5tupleIddNS7_9null_typeES9_S9_S9_S9_S9_S9_S9_EENS0_10empty_typeEbEEZZNS1_14partition_implILS5_6ELb0ES3_mNS7_12zip_iteratorINS8_INS7_6detail15normal_iteratorINS7_10device_ptrIdEEEESJ_S9_S9_S9_S9_S9_S9_S9_S9_EEEEPSB_SM_NS0_5tupleIJNSE_INS8_ISJ_NS7_16discard_iteratorINS7_11use_defaultEEES9_S9_S9_S9_S9_S9_S9_S9_EEEESB_EEENSN_IJSM_SM_EEESB_PlJNSF_9not_fun_tINSF_14equal_to_valueISA_EEEEEEE10hipError_tPvRmT3_T4_T5_T6_T7_T9_mT8_P12ihipStream_tbDpT10_ENKUlT_T0_E_clISt17integral_constantIbLb0EES1I_IbLb1EEEEDaS1E_S1F_EUlS1E_E_NS1_11comp_targetILNS1_3genE9ELNS1_11target_archE1100ELNS1_3gpuE3ELNS1_3repE0EEENS1_30default_config_static_selectorELNS0_4arch9wavefront6targetE0EEEvT1_,@function
_ZN7rocprim17ROCPRIM_400000_NS6detail17trampoline_kernelINS0_14default_configENS1_25partition_config_selectorILNS1_17partition_subalgoE6EN6thrust23THRUST_200600_302600_NS5tupleIddNS7_9null_typeES9_S9_S9_S9_S9_S9_S9_EENS0_10empty_typeEbEEZZNS1_14partition_implILS5_6ELb0ES3_mNS7_12zip_iteratorINS8_INS7_6detail15normal_iteratorINS7_10device_ptrIdEEEESJ_S9_S9_S9_S9_S9_S9_S9_S9_EEEEPSB_SM_NS0_5tupleIJNSE_INS8_ISJ_NS7_16discard_iteratorINS7_11use_defaultEEES9_S9_S9_S9_S9_S9_S9_S9_EEEESB_EEENSN_IJSM_SM_EEESB_PlJNSF_9not_fun_tINSF_14equal_to_valueISA_EEEEEEE10hipError_tPvRmT3_T4_T5_T6_T7_T9_mT8_P12ihipStream_tbDpT10_ENKUlT_T0_E_clISt17integral_constantIbLb0EES1I_IbLb1EEEEDaS1E_S1F_EUlS1E_E_NS1_11comp_targetILNS1_3genE9ELNS1_11target_archE1100ELNS1_3gpuE3ELNS1_3repE0EEENS1_30default_config_static_selectorELNS0_4arch9wavefront6targetE0EEEvT1_: ; @_ZN7rocprim17ROCPRIM_400000_NS6detail17trampoline_kernelINS0_14default_configENS1_25partition_config_selectorILNS1_17partition_subalgoE6EN6thrust23THRUST_200600_302600_NS5tupleIddNS7_9null_typeES9_S9_S9_S9_S9_S9_S9_EENS0_10empty_typeEbEEZZNS1_14partition_implILS5_6ELb0ES3_mNS7_12zip_iteratorINS8_INS7_6detail15normal_iteratorINS7_10device_ptrIdEEEESJ_S9_S9_S9_S9_S9_S9_S9_S9_EEEEPSB_SM_NS0_5tupleIJNSE_INS8_ISJ_NS7_16discard_iteratorINS7_11use_defaultEEES9_S9_S9_S9_S9_S9_S9_S9_EEEESB_EEENSN_IJSM_SM_EEESB_PlJNSF_9not_fun_tINSF_14equal_to_valueISA_EEEEEEE10hipError_tPvRmT3_T4_T5_T6_T7_T9_mT8_P12ihipStream_tbDpT10_ENKUlT_T0_E_clISt17integral_constantIbLb0EES1I_IbLb1EEEEDaS1E_S1F_EUlS1E_E_NS1_11comp_targetILNS1_3genE9ELNS1_11target_archE1100ELNS1_3gpuE3ELNS1_3repE0EEENS1_30default_config_static_selectorELNS0_4arch9wavefront6targetE0EEEvT1_
; %bb.0:
	.section	.rodata,"a",@progbits
	.p2align	6, 0x0
	.amdhsa_kernel _ZN7rocprim17ROCPRIM_400000_NS6detail17trampoline_kernelINS0_14default_configENS1_25partition_config_selectorILNS1_17partition_subalgoE6EN6thrust23THRUST_200600_302600_NS5tupleIddNS7_9null_typeES9_S9_S9_S9_S9_S9_S9_EENS0_10empty_typeEbEEZZNS1_14partition_implILS5_6ELb0ES3_mNS7_12zip_iteratorINS8_INS7_6detail15normal_iteratorINS7_10device_ptrIdEEEESJ_S9_S9_S9_S9_S9_S9_S9_S9_EEEEPSB_SM_NS0_5tupleIJNSE_INS8_ISJ_NS7_16discard_iteratorINS7_11use_defaultEEES9_S9_S9_S9_S9_S9_S9_S9_EEEESB_EEENSN_IJSM_SM_EEESB_PlJNSF_9not_fun_tINSF_14equal_to_valueISA_EEEEEEE10hipError_tPvRmT3_T4_T5_T6_T7_T9_mT8_P12ihipStream_tbDpT10_ENKUlT_T0_E_clISt17integral_constantIbLb0EES1I_IbLb1EEEEDaS1E_S1F_EUlS1E_E_NS1_11comp_targetILNS1_3genE9ELNS1_11target_archE1100ELNS1_3gpuE3ELNS1_3repE0EEENS1_30default_config_static_selectorELNS0_4arch9wavefront6targetE0EEEvT1_
		.amdhsa_group_segment_fixed_size 0
		.amdhsa_private_segment_fixed_size 0
		.amdhsa_kernarg_size 160
		.amdhsa_user_sgpr_count 2
		.amdhsa_user_sgpr_dispatch_ptr 0
		.amdhsa_user_sgpr_queue_ptr 0
		.amdhsa_user_sgpr_kernarg_segment_ptr 1
		.amdhsa_user_sgpr_dispatch_id 0
		.amdhsa_user_sgpr_private_segment_size 0
		.amdhsa_wavefront_size32 1
		.amdhsa_uses_dynamic_stack 0
		.amdhsa_enable_private_segment 0
		.amdhsa_system_sgpr_workgroup_id_x 1
		.amdhsa_system_sgpr_workgroup_id_y 0
		.amdhsa_system_sgpr_workgroup_id_z 0
		.amdhsa_system_sgpr_workgroup_info 0
		.amdhsa_system_vgpr_workitem_id 0
		.amdhsa_next_free_vgpr 1
		.amdhsa_next_free_sgpr 1
		.amdhsa_reserve_vcc 0
		.amdhsa_float_round_mode_32 0
		.amdhsa_float_round_mode_16_64 0
		.amdhsa_float_denorm_mode_32 3
		.amdhsa_float_denorm_mode_16_64 3
		.amdhsa_fp16_overflow 0
		.amdhsa_workgroup_processor_mode 1
		.amdhsa_memory_ordered 1
		.amdhsa_forward_progress 1
		.amdhsa_inst_pref_size 0
		.amdhsa_round_robin_scheduling 0
		.amdhsa_exception_fp_ieee_invalid_op 0
		.amdhsa_exception_fp_denorm_src 0
		.amdhsa_exception_fp_ieee_div_zero 0
		.amdhsa_exception_fp_ieee_overflow 0
		.amdhsa_exception_fp_ieee_underflow 0
		.amdhsa_exception_fp_ieee_inexact 0
		.amdhsa_exception_int_div_zero 0
	.end_amdhsa_kernel
	.section	.text._ZN7rocprim17ROCPRIM_400000_NS6detail17trampoline_kernelINS0_14default_configENS1_25partition_config_selectorILNS1_17partition_subalgoE6EN6thrust23THRUST_200600_302600_NS5tupleIddNS7_9null_typeES9_S9_S9_S9_S9_S9_S9_EENS0_10empty_typeEbEEZZNS1_14partition_implILS5_6ELb0ES3_mNS7_12zip_iteratorINS8_INS7_6detail15normal_iteratorINS7_10device_ptrIdEEEESJ_S9_S9_S9_S9_S9_S9_S9_S9_EEEEPSB_SM_NS0_5tupleIJNSE_INS8_ISJ_NS7_16discard_iteratorINS7_11use_defaultEEES9_S9_S9_S9_S9_S9_S9_S9_EEEESB_EEENSN_IJSM_SM_EEESB_PlJNSF_9not_fun_tINSF_14equal_to_valueISA_EEEEEEE10hipError_tPvRmT3_T4_T5_T6_T7_T9_mT8_P12ihipStream_tbDpT10_ENKUlT_T0_E_clISt17integral_constantIbLb0EES1I_IbLb1EEEEDaS1E_S1F_EUlS1E_E_NS1_11comp_targetILNS1_3genE9ELNS1_11target_archE1100ELNS1_3gpuE3ELNS1_3repE0EEENS1_30default_config_static_selectorELNS0_4arch9wavefront6targetE0EEEvT1_,"axG",@progbits,_ZN7rocprim17ROCPRIM_400000_NS6detail17trampoline_kernelINS0_14default_configENS1_25partition_config_selectorILNS1_17partition_subalgoE6EN6thrust23THRUST_200600_302600_NS5tupleIddNS7_9null_typeES9_S9_S9_S9_S9_S9_S9_EENS0_10empty_typeEbEEZZNS1_14partition_implILS5_6ELb0ES3_mNS7_12zip_iteratorINS8_INS7_6detail15normal_iteratorINS7_10device_ptrIdEEEESJ_S9_S9_S9_S9_S9_S9_S9_S9_EEEEPSB_SM_NS0_5tupleIJNSE_INS8_ISJ_NS7_16discard_iteratorINS7_11use_defaultEEES9_S9_S9_S9_S9_S9_S9_S9_EEEESB_EEENSN_IJSM_SM_EEESB_PlJNSF_9not_fun_tINSF_14equal_to_valueISA_EEEEEEE10hipError_tPvRmT3_T4_T5_T6_T7_T9_mT8_P12ihipStream_tbDpT10_ENKUlT_T0_E_clISt17integral_constantIbLb0EES1I_IbLb1EEEEDaS1E_S1F_EUlS1E_E_NS1_11comp_targetILNS1_3genE9ELNS1_11target_archE1100ELNS1_3gpuE3ELNS1_3repE0EEENS1_30default_config_static_selectorELNS0_4arch9wavefront6targetE0EEEvT1_,comdat
.Lfunc_end1851:
	.size	_ZN7rocprim17ROCPRIM_400000_NS6detail17trampoline_kernelINS0_14default_configENS1_25partition_config_selectorILNS1_17partition_subalgoE6EN6thrust23THRUST_200600_302600_NS5tupleIddNS7_9null_typeES9_S9_S9_S9_S9_S9_S9_EENS0_10empty_typeEbEEZZNS1_14partition_implILS5_6ELb0ES3_mNS7_12zip_iteratorINS8_INS7_6detail15normal_iteratorINS7_10device_ptrIdEEEESJ_S9_S9_S9_S9_S9_S9_S9_S9_EEEEPSB_SM_NS0_5tupleIJNSE_INS8_ISJ_NS7_16discard_iteratorINS7_11use_defaultEEES9_S9_S9_S9_S9_S9_S9_S9_EEEESB_EEENSN_IJSM_SM_EEESB_PlJNSF_9not_fun_tINSF_14equal_to_valueISA_EEEEEEE10hipError_tPvRmT3_T4_T5_T6_T7_T9_mT8_P12ihipStream_tbDpT10_ENKUlT_T0_E_clISt17integral_constantIbLb0EES1I_IbLb1EEEEDaS1E_S1F_EUlS1E_E_NS1_11comp_targetILNS1_3genE9ELNS1_11target_archE1100ELNS1_3gpuE3ELNS1_3repE0EEENS1_30default_config_static_selectorELNS0_4arch9wavefront6targetE0EEEvT1_, .Lfunc_end1851-_ZN7rocprim17ROCPRIM_400000_NS6detail17trampoline_kernelINS0_14default_configENS1_25partition_config_selectorILNS1_17partition_subalgoE6EN6thrust23THRUST_200600_302600_NS5tupleIddNS7_9null_typeES9_S9_S9_S9_S9_S9_S9_EENS0_10empty_typeEbEEZZNS1_14partition_implILS5_6ELb0ES3_mNS7_12zip_iteratorINS8_INS7_6detail15normal_iteratorINS7_10device_ptrIdEEEESJ_S9_S9_S9_S9_S9_S9_S9_S9_EEEEPSB_SM_NS0_5tupleIJNSE_INS8_ISJ_NS7_16discard_iteratorINS7_11use_defaultEEES9_S9_S9_S9_S9_S9_S9_S9_EEEESB_EEENSN_IJSM_SM_EEESB_PlJNSF_9not_fun_tINSF_14equal_to_valueISA_EEEEEEE10hipError_tPvRmT3_T4_T5_T6_T7_T9_mT8_P12ihipStream_tbDpT10_ENKUlT_T0_E_clISt17integral_constantIbLb0EES1I_IbLb1EEEEDaS1E_S1F_EUlS1E_E_NS1_11comp_targetILNS1_3genE9ELNS1_11target_archE1100ELNS1_3gpuE3ELNS1_3repE0EEENS1_30default_config_static_selectorELNS0_4arch9wavefront6targetE0EEEvT1_
                                        ; -- End function
	.set _ZN7rocprim17ROCPRIM_400000_NS6detail17trampoline_kernelINS0_14default_configENS1_25partition_config_selectorILNS1_17partition_subalgoE6EN6thrust23THRUST_200600_302600_NS5tupleIddNS7_9null_typeES9_S9_S9_S9_S9_S9_S9_EENS0_10empty_typeEbEEZZNS1_14partition_implILS5_6ELb0ES3_mNS7_12zip_iteratorINS8_INS7_6detail15normal_iteratorINS7_10device_ptrIdEEEESJ_S9_S9_S9_S9_S9_S9_S9_S9_EEEEPSB_SM_NS0_5tupleIJNSE_INS8_ISJ_NS7_16discard_iteratorINS7_11use_defaultEEES9_S9_S9_S9_S9_S9_S9_S9_EEEESB_EEENSN_IJSM_SM_EEESB_PlJNSF_9not_fun_tINSF_14equal_to_valueISA_EEEEEEE10hipError_tPvRmT3_T4_T5_T6_T7_T9_mT8_P12ihipStream_tbDpT10_ENKUlT_T0_E_clISt17integral_constantIbLb0EES1I_IbLb1EEEEDaS1E_S1F_EUlS1E_E_NS1_11comp_targetILNS1_3genE9ELNS1_11target_archE1100ELNS1_3gpuE3ELNS1_3repE0EEENS1_30default_config_static_selectorELNS0_4arch9wavefront6targetE0EEEvT1_.num_vgpr, 0
	.set _ZN7rocprim17ROCPRIM_400000_NS6detail17trampoline_kernelINS0_14default_configENS1_25partition_config_selectorILNS1_17partition_subalgoE6EN6thrust23THRUST_200600_302600_NS5tupleIddNS7_9null_typeES9_S9_S9_S9_S9_S9_S9_EENS0_10empty_typeEbEEZZNS1_14partition_implILS5_6ELb0ES3_mNS7_12zip_iteratorINS8_INS7_6detail15normal_iteratorINS7_10device_ptrIdEEEESJ_S9_S9_S9_S9_S9_S9_S9_S9_EEEEPSB_SM_NS0_5tupleIJNSE_INS8_ISJ_NS7_16discard_iteratorINS7_11use_defaultEEES9_S9_S9_S9_S9_S9_S9_S9_EEEESB_EEENSN_IJSM_SM_EEESB_PlJNSF_9not_fun_tINSF_14equal_to_valueISA_EEEEEEE10hipError_tPvRmT3_T4_T5_T6_T7_T9_mT8_P12ihipStream_tbDpT10_ENKUlT_T0_E_clISt17integral_constantIbLb0EES1I_IbLb1EEEEDaS1E_S1F_EUlS1E_E_NS1_11comp_targetILNS1_3genE9ELNS1_11target_archE1100ELNS1_3gpuE3ELNS1_3repE0EEENS1_30default_config_static_selectorELNS0_4arch9wavefront6targetE0EEEvT1_.num_agpr, 0
	.set _ZN7rocprim17ROCPRIM_400000_NS6detail17trampoline_kernelINS0_14default_configENS1_25partition_config_selectorILNS1_17partition_subalgoE6EN6thrust23THRUST_200600_302600_NS5tupleIddNS7_9null_typeES9_S9_S9_S9_S9_S9_S9_EENS0_10empty_typeEbEEZZNS1_14partition_implILS5_6ELb0ES3_mNS7_12zip_iteratorINS8_INS7_6detail15normal_iteratorINS7_10device_ptrIdEEEESJ_S9_S9_S9_S9_S9_S9_S9_S9_EEEEPSB_SM_NS0_5tupleIJNSE_INS8_ISJ_NS7_16discard_iteratorINS7_11use_defaultEEES9_S9_S9_S9_S9_S9_S9_S9_EEEESB_EEENSN_IJSM_SM_EEESB_PlJNSF_9not_fun_tINSF_14equal_to_valueISA_EEEEEEE10hipError_tPvRmT3_T4_T5_T6_T7_T9_mT8_P12ihipStream_tbDpT10_ENKUlT_T0_E_clISt17integral_constantIbLb0EES1I_IbLb1EEEEDaS1E_S1F_EUlS1E_E_NS1_11comp_targetILNS1_3genE9ELNS1_11target_archE1100ELNS1_3gpuE3ELNS1_3repE0EEENS1_30default_config_static_selectorELNS0_4arch9wavefront6targetE0EEEvT1_.numbered_sgpr, 0
	.set _ZN7rocprim17ROCPRIM_400000_NS6detail17trampoline_kernelINS0_14default_configENS1_25partition_config_selectorILNS1_17partition_subalgoE6EN6thrust23THRUST_200600_302600_NS5tupleIddNS7_9null_typeES9_S9_S9_S9_S9_S9_S9_EENS0_10empty_typeEbEEZZNS1_14partition_implILS5_6ELb0ES3_mNS7_12zip_iteratorINS8_INS7_6detail15normal_iteratorINS7_10device_ptrIdEEEESJ_S9_S9_S9_S9_S9_S9_S9_S9_EEEEPSB_SM_NS0_5tupleIJNSE_INS8_ISJ_NS7_16discard_iteratorINS7_11use_defaultEEES9_S9_S9_S9_S9_S9_S9_S9_EEEESB_EEENSN_IJSM_SM_EEESB_PlJNSF_9not_fun_tINSF_14equal_to_valueISA_EEEEEEE10hipError_tPvRmT3_T4_T5_T6_T7_T9_mT8_P12ihipStream_tbDpT10_ENKUlT_T0_E_clISt17integral_constantIbLb0EES1I_IbLb1EEEEDaS1E_S1F_EUlS1E_E_NS1_11comp_targetILNS1_3genE9ELNS1_11target_archE1100ELNS1_3gpuE3ELNS1_3repE0EEENS1_30default_config_static_selectorELNS0_4arch9wavefront6targetE0EEEvT1_.num_named_barrier, 0
	.set _ZN7rocprim17ROCPRIM_400000_NS6detail17trampoline_kernelINS0_14default_configENS1_25partition_config_selectorILNS1_17partition_subalgoE6EN6thrust23THRUST_200600_302600_NS5tupleIddNS7_9null_typeES9_S9_S9_S9_S9_S9_S9_EENS0_10empty_typeEbEEZZNS1_14partition_implILS5_6ELb0ES3_mNS7_12zip_iteratorINS8_INS7_6detail15normal_iteratorINS7_10device_ptrIdEEEESJ_S9_S9_S9_S9_S9_S9_S9_S9_EEEEPSB_SM_NS0_5tupleIJNSE_INS8_ISJ_NS7_16discard_iteratorINS7_11use_defaultEEES9_S9_S9_S9_S9_S9_S9_S9_EEEESB_EEENSN_IJSM_SM_EEESB_PlJNSF_9not_fun_tINSF_14equal_to_valueISA_EEEEEEE10hipError_tPvRmT3_T4_T5_T6_T7_T9_mT8_P12ihipStream_tbDpT10_ENKUlT_T0_E_clISt17integral_constantIbLb0EES1I_IbLb1EEEEDaS1E_S1F_EUlS1E_E_NS1_11comp_targetILNS1_3genE9ELNS1_11target_archE1100ELNS1_3gpuE3ELNS1_3repE0EEENS1_30default_config_static_selectorELNS0_4arch9wavefront6targetE0EEEvT1_.private_seg_size, 0
	.set _ZN7rocprim17ROCPRIM_400000_NS6detail17trampoline_kernelINS0_14default_configENS1_25partition_config_selectorILNS1_17partition_subalgoE6EN6thrust23THRUST_200600_302600_NS5tupleIddNS7_9null_typeES9_S9_S9_S9_S9_S9_S9_EENS0_10empty_typeEbEEZZNS1_14partition_implILS5_6ELb0ES3_mNS7_12zip_iteratorINS8_INS7_6detail15normal_iteratorINS7_10device_ptrIdEEEESJ_S9_S9_S9_S9_S9_S9_S9_S9_EEEEPSB_SM_NS0_5tupleIJNSE_INS8_ISJ_NS7_16discard_iteratorINS7_11use_defaultEEES9_S9_S9_S9_S9_S9_S9_S9_EEEESB_EEENSN_IJSM_SM_EEESB_PlJNSF_9not_fun_tINSF_14equal_to_valueISA_EEEEEEE10hipError_tPvRmT3_T4_T5_T6_T7_T9_mT8_P12ihipStream_tbDpT10_ENKUlT_T0_E_clISt17integral_constantIbLb0EES1I_IbLb1EEEEDaS1E_S1F_EUlS1E_E_NS1_11comp_targetILNS1_3genE9ELNS1_11target_archE1100ELNS1_3gpuE3ELNS1_3repE0EEENS1_30default_config_static_selectorELNS0_4arch9wavefront6targetE0EEEvT1_.uses_vcc, 0
	.set _ZN7rocprim17ROCPRIM_400000_NS6detail17trampoline_kernelINS0_14default_configENS1_25partition_config_selectorILNS1_17partition_subalgoE6EN6thrust23THRUST_200600_302600_NS5tupleIddNS7_9null_typeES9_S9_S9_S9_S9_S9_S9_EENS0_10empty_typeEbEEZZNS1_14partition_implILS5_6ELb0ES3_mNS7_12zip_iteratorINS8_INS7_6detail15normal_iteratorINS7_10device_ptrIdEEEESJ_S9_S9_S9_S9_S9_S9_S9_S9_EEEEPSB_SM_NS0_5tupleIJNSE_INS8_ISJ_NS7_16discard_iteratorINS7_11use_defaultEEES9_S9_S9_S9_S9_S9_S9_S9_EEEESB_EEENSN_IJSM_SM_EEESB_PlJNSF_9not_fun_tINSF_14equal_to_valueISA_EEEEEEE10hipError_tPvRmT3_T4_T5_T6_T7_T9_mT8_P12ihipStream_tbDpT10_ENKUlT_T0_E_clISt17integral_constantIbLb0EES1I_IbLb1EEEEDaS1E_S1F_EUlS1E_E_NS1_11comp_targetILNS1_3genE9ELNS1_11target_archE1100ELNS1_3gpuE3ELNS1_3repE0EEENS1_30default_config_static_selectorELNS0_4arch9wavefront6targetE0EEEvT1_.uses_flat_scratch, 0
	.set _ZN7rocprim17ROCPRIM_400000_NS6detail17trampoline_kernelINS0_14default_configENS1_25partition_config_selectorILNS1_17partition_subalgoE6EN6thrust23THRUST_200600_302600_NS5tupleIddNS7_9null_typeES9_S9_S9_S9_S9_S9_S9_EENS0_10empty_typeEbEEZZNS1_14partition_implILS5_6ELb0ES3_mNS7_12zip_iteratorINS8_INS7_6detail15normal_iteratorINS7_10device_ptrIdEEEESJ_S9_S9_S9_S9_S9_S9_S9_S9_EEEEPSB_SM_NS0_5tupleIJNSE_INS8_ISJ_NS7_16discard_iteratorINS7_11use_defaultEEES9_S9_S9_S9_S9_S9_S9_S9_EEEESB_EEENSN_IJSM_SM_EEESB_PlJNSF_9not_fun_tINSF_14equal_to_valueISA_EEEEEEE10hipError_tPvRmT3_T4_T5_T6_T7_T9_mT8_P12ihipStream_tbDpT10_ENKUlT_T0_E_clISt17integral_constantIbLb0EES1I_IbLb1EEEEDaS1E_S1F_EUlS1E_E_NS1_11comp_targetILNS1_3genE9ELNS1_11target_archE1100ELNS1_3gpuE3ELNS1_3repE0EEENS1_30default_config_static_selectorELNS0_4arch9wavefront6targetE0EEEvT1_.has_dyn_sized_stack, 0
	.set _ZN7rocprim17ROCPRIM_400000_NS6detail17trampoline_kernelINS0_14default_configENS1_25partition_config_selectorILNS1_17partition_subalgoE6EN6thrust23THRUST_200600_302600_NS5tupleIddNS7_9null_typeES9_S9_S9_S9_S9_S9_S9_EENS0_10empty_typeEbEEZZNS1_14partition_implILS5_6ELb0ES3_mNS7_12zip_iteratorINS8_INS7_6detail15normal_iteratorINS7_10device_ptrIdEEEESJ_S9_S9_S9_S9_S9_S9_S9_S9_EEEEPSB_SM_NS0_5tupleIJNSE_INS8_ISJ_NS7_16discard_iteratorINS7_11use_defaultEEES9_S9_S9_S9_S9_S9_S9_S9_EEEESB_EEENSN_IJSM_SM_EEESB_PlJNSF_9not_fun_tINSF_14equal_to_valueISA_EEEEEEE10hipError_tPvRmT3_T4_T5_T6_T7_T9_mT8_P12ihipStream_tbDpT10_ENKUlT_T0_E_clISt17integral_constantIbLb0EES1I_IbLb1EEEEDaS1E_S1F_EUlS1E_E_NS1_11comp_targetILNS1_3genE9ELNS1_11target_archE1100ELNS1_3gpuE3ELNS1_3repE0EEENS1_30default_config_static_selectorELNS0_4arch9wavefront6targetE0EEEvT1_.has_recursion, 0
	.set _ZN7rocprim17ROCPRIM_400000_NS6detail17trampoline_kernelINS0_14default_configENS1_25partition_config_selectorILNS1_17partition_subalgoE6EN6thrust23THRUST_200600_302600_NS5tupleIddNS7_9null_typeES9_S9_S9_S9_S9_S9_S9_EENS0_10empty_typeEbEEZZNS1_14partition_implILS5_6ELb0ES3_mNS7_12zip_iteratorINS8_INS7_6detail15normal_iteratorINS7_10device_ptrIdEEEESJ_S9_S9_S9_S9_S9_S9_S9_S9_EEEEPSB_SM_NS0_5tupleIJNSE_INS8_ISJ_NS7_16discard_iteratorINS7_11use_defaultEEES9_S9_S9_S9_S9_S9_S9_S9_EEEESB_EEENSN_IJSM_SM_EEESB_PlJNSF_9not_fun_tINSF_14equal_to_valueISA_EEEEEEE10hipError_tPvRmT3_T4_T5_T6_T7_T9_mT8_P12ihipStream_tbDpT10_ENKUlT_T0_E_clISt17integral_constantIbLb0EES1I_IbLb1EEEEDaS1E_S1F_EUlS1E_E_NS1_11comp_targetILNS1_3genE9ELNS1_11target_archE1100ELNS1_3gpuE3ELNS1_3repE0EEENS1_30default_config_static_selectorELNS0_4arch9wavefront6targetE0EEEvT1_.has_indirect_call, 0
	.section	.AMDGPU.csdata,"",@progbits
; Kernel info:
; codeLenInByte = 0
; TotalNumSgprs: 0
; NumVgprs: 0
; ScratchSize: 0
; MemoryBound: 0
; FloatMode: 240
; IeeeMode: 1
; LDSByteSize: 0 bytes/workgroup (compile time only)
; SGPRBlocks: 0
; VGPRBlocks: 0
; NumSGPRsForWavesPerEU: 1
; NumVGPRsForWavesPerEU: 1
; Occupancy: 16
; WaveLimiterHint : 0
; COMPUTE_PGM_RSRC2:SCRATCH_EN: 0
; COMPUTE_PGM_RSRC2:USER_SGPR: 2
; COMPUTE_PGM_RSRC2:TRAP_HANDLER: 0
; COMPUTE_PGM_RSRC2:TGID_X_EN: 1
; COMPUTE_PGM_RSRC2:TGID_Y_EN: 0
; COMPUTE_PGM_RSRC2:TGID_Z_EN: 0
; COMPUTE_PGM_RSRC2:TIDIG_COMP_CNT: 0
	.section	.text._ZN7rocprim17ROCPRIM_400000_NS6detail17trampoline_kernelINS0_14default_configENS1_25partition_config_selectorILNS1_17partition_subalgoE6EN6thrust23THRUST_200600_302600_NS5tupleIddNS7_9null_typeES9_S9_S9_S9_S9_S9_S9_EENS0_10empty_typeEbEEZZNS1_14partition_implILS5_6ELb0ES3_mNS7_12zip_iteratorINS8_INS7_6detail15normal_iteratorINS7_10device_ptrIdEEEESJ_S9_S9_S9_S9_S9_S9_S9_S9_EEEEPSB_SM_NS0_5tupleIJNSE_INS8_ISJ_NS7_16discard_iteratorINS7_11use_defaultEEES9_S9_S9_S9_S9_S9_S9_S9_EEEESB_EEENSN_IJSM_SM_EEESB_PlJNSF_9not_fun_tINSF_14equal_to_valueISA_EEEEEEE10hipError_tPvRmT3_T4_T5_T6_T7_T9_mT8_P12ihipStream_tbDpT10_ENKUlT_T0_E_clISt17integral_constantIbLb0EES1I_IbLb1EEEEDaS1E_S1F_EUlS1E_E_NS1_11comp_targetILNS1_3genE8ELNS1_11target_archE1030ELNS1_3gpuE2ELNS1_3repE0EEENS1_30default_config_static_selectorELNS0_4arch9wavefront6targetE0EEEvT1_,"axG",@progbits,_ZN7rocprim17ROCPRIM_400000_NS6detail17trampoline_kernelINS0_14default_configENS1_25partition_config_selectorILNS1_17partition_subalgoE6EN6thrust23THRUST_200600_302600_NS5tupleIddNS7_9null_typeES9_S9_S9_S9_S9_S9_S9_EENS0_10empty_typeEbEEZZNS1_14partition_implILS5_6ELb0ES3_mNS7_12zip_iteratorINS8_INS7_6detail15normal_iteratorINS7_10device_ptrIdEEEESJ_S9_S9_S9_S9_S9_S9_S9_S9_EEEEPSB_SM_NS0_5tupleIJNSE_INS8_ISJ_NS7_16discard_iteratorINS7_11use_defaultEEES9_S9_S9_S9_S9_S9_S9_S9_EEEESB_EEENSN_IJSM_SM_EEESB_PlJNSF_9not_fun_tINSF_14equal_to_valueISA_EEEEEEE10hipError_tPvRmT3_T4_T5_T6_T7_T9_mT8_P12ihipStream_tbDpT10_ENKUlT_T0_E_clISt17integral_constantIbLb0EES1I_IbLb1EEEEDaS1E_S1F_EUlS1E_E_NS1_11comp_targetILNS1_3genE8ELNS1_11target_archE1030ELNS1_3gpuE2ELNS1_3repE0EEENS1_30default_config_static_selectorELNS0_4arch9wavefront6targetE0EEEvT1_,comdat
	.protected	_ZN7rocprim17ROCPRIM_400000_NS6detail17trampoline_kernelINS0_14default_configENS1_25partition_config_selectorILNS1_17partition_subalgoE6EN6thrust23THRUST_200600_302600_NS5tupleIddNS7_9null_typeES9_S9_S9_S9_S9_S9_S9_EENS0_10empty_typeEbEEZZNS1_14partition_implILS5_6ELb0ES3_mNS7_12zip_iteratorINS8_INS7_6detail15normal_iteratorINS7_10device_ptrIdEEEESJ_S9_S9_S9_S9_S9_S9_S9_S9_EEEEPSB_SM_NS0_5tupleIJNSE_INS8_ISJ_NS7_16discard_iteratorINS7_11use_defaultEEES9_S9_S9_S9_S9_S9_S9_S9_EEEESB_EEENSN_IJSM_SM_EEESB_PlJNSF_9not_fun_tINSF_14equal_to_valueISA_EEEEEEE10hipError_tPvRmT3_T4_T5_T6_T7_T9_mT8_P12ihipStream_tbDpT10_ENKUlT_T0_E_clISt17integral_constantIbLb0EES1I_IbLb1EEEEDaS1E_S1F_EUlS1E_E_NS1_11comp_targetILNS1_3genE8ELNS1_11target_archE1030ELNS1_3gpuE2ELNS1_3repE0EEENS1_30default_config_static_selectorELNS0_4arch9wavefront6targetE0EEEvT1_ ; -- Begin function _ZN7rocprim17ROCPRIM_400000_NS6detail17trampoline_kernelINS0_14default_configENS1_25partition_config_selectorILNS1_17partition_subalgoE6EN6thrust23THRUST_200600_302600_NS5tupleIddNS7_9null_typeES9_S9_S9_S9_S9_S9_S9_EENS0_10empty_typeEbEEZZNS1_14partition_implILS5_6ELb0ES3_mNS7_12zip_iteratorINS8_INS7_6detail15normal_iteratorINS7_10device_ptrIdEEEESJ_S9_S9_S9_S9_S9_S9_S9_S9_EEEEPSB_SM_NS0_5tupleIJNSE_INS8_ISJ_NS7_16discard_iteratorINS7_11use_defaultEEES9_S9_S9_S9_S9_S9_S9_S9_EEEESB_EEENSN_IJSM_SM_EEESB_PlJNSF_9not_fun_tINSF_14equal_to_valueISA_EEEEEEE10hipError_tPvRmT3_T4_T5_T6_T7_T9_mT8_P12ihipStream_tbDpT10_ENKUlT_T0_E_clISt17integral_constantIbLb0EES1I_IbLb1EEEEDaS1E_S1F_EUlS1E_E_NS1_11comp_targetILNS1_3genE8ELNS1_11target_archE1030ELNS1_3gpuE2ELNS1_3repE0EEENS1_30default_config_static_selectorELNS0_4arch9wavefront6targetE0EEEvT1_
	.globl	_ZN7rocprim17ROCPRIM_400000_NS6detail17trampoline_kernelINS0_14default_configENS1_25partition_config_selectorILNS1_17partition_subalgoE6EN6thrust23THRUST_200600_302600_NS5tupleIddNS7_9null_typeES9_S9_S9_S9_S9_S9_S9_EENS0_10empty_typeEbEEZZNS1_14partition_implILS5_6ELb0ES3_mNS7_12zip_iteratorINS8_INS7_6detail15normal_iteratorINS7_10device_ptrIdEEEESJ_S9_S9_S9_S9_S9_S9_S9_S9_EEEEPSB_SM_NS0_5tupleIJNSE_INS8_ISJ_NS7_16discard_iteratorINS7_11use_defaultEEES9_S9_S9_S9_S9_S9_S9_S9_EEEESB_EEENSN_IJSM_SM_EEESB_PlJNSF_9not_fun_tINSF_14equal_to_valueISA_EEEEEEE10hipError_tPvRmT3_T4_T5_T6_T7_T9_mT8_P12ihipStream_tbDpT10_ENKUlT_T0_E_clISt17integral_constantIbLb0EES1I_IbLb1EEEEDaS1E_S1F_EUlS1E_E_NS1_11comp_targetILNS1_3genE8ELNS1_11target_archE1030ELNS1_3gpuE2ELNS1_3repE0EEENS1_30default_config_static_selectorELNS0_4arch9wavefront6targetE0EEEvT1_
	.p2align	8
	.type	_ZN7rocprim17ROCPRIM_400000_NS6detail17trampoline_kernelINS0_14default_configENS1_25partition_config_selectorILNS1_17partition_subalgoE6EN6thrust23THRUST_200600_302600_NS5tupleIddNS7_9null_typeES9_S9_S9_S9_S9_S9_S9_EENS0_10empty_typeEbEEZZNS1_14partition_implILS5_6ELb0ES3_mNS7_12zip_iteratorINS8_INS7_6detail15normal_iteratorINS7_10device_ptrIdEEEESJ_S9_S9_S9_S9_S9_S9_S9_S9_EEEEPSB_SM_NS0_5tupleIJNSE_INS8_ISJ_NS7_16discard_iteratorINS7_11use_defaultEEES9_S9_S9_S9_S9_S9_S9_S9_EEEESB_EEENSN_IJSM_SM_EEESB_PlJNSF_9not_fun_tINSF_14equal_to_valueISA_EEEEEEE10hipError_tPvRmT3_T4_T5_T6_T7_T9_mT8_P12ihipStream_tbDpT10_ENKUlT_T0_E_clISt17integral_constantIbLb0EES1I_IbLb1EEEEDaS1E_S1F_EUlS1E_E_NS1_11comp_targetILNS1_3genE8ELNS1_11target_archE1030ELNS1_3gpuE2ELNS1_3repE0EEENS1_30default_config_static_selectorELNS0_4arch9wavefront6targetE0EEEvT1_,@function
_ZN7rocprim17ROCPRIM_400000_NS6detail17trampoline_kernelINS0_14default_configENS1_25partition_config_selectorILNS1_17partition_subalgoE6EN6thrust23THRUST_200600_302600_NS5tupleIddNS7_9null_typeES9_S9_S9_S9_S9_S9_S9_EENS0_10empty_typeEbEEZZNS1_14partition_implILS5_6ELb0ES3_mNS7_12zip_iteratorINS8_INS7_6detail15normal_iteratorINS7_10device_ptrIdEEEESJ_S9_S9_S9_S9_S9_S9_S9_S9_EEEEPSB_SM_NS0_5tupleIJNSE_INS8_ISJ_NS7_16discard_iteratorINS7_11use_defaultEEES9_S9_S9_S9_S9_S9_S9_S9_EEEESB_EEENSN_IJSM_SM_EEESB_PlJNSF_9not_fun_tINSF_14equal_to_valueISA_EEEEEEE10hipError_tPvRmT3_T4_T5_T6_T7_T9_mT8_P12ihipStream_tbDpT10_ENKUlT_T0_E_clISt17integral_constantIbLb0EES1I_IbLb1EEEEDaS1E_S1F_EUlS1E_E_NS1_11comp_targetILNS1_3genE8ELNS1_11target_archE1030ELNS1_3gpuE2ELNS1_3repE0EEENS1_30default_config_static_selectorELNS0_4arch9wavefront6targetE0EEEvT1_: ; @_ZN7rocprim17ROCPRIM_400000_NS6detail17trampoline_kernelINS0_14default_configENS1_25partition_config_selectorILNS1_17partition_subalgoE6EN6thrust23THRUST_200600_302600_NS5tupleIddNS7_9null_typeES9_S9_S9_S9_S9_S9_S9_EENS0_10empty_typeEbEEZZNS1_14partition_implILS5_6ELb0ES3_mNS7_12zip_iteratorINS8_INS7_6detail15normal_iteratorINS7_10device_ptrIdEEEESJ_S9_S9_S9_S9_S9_S9_S9_S9_EEEEPSB_SM_NS0_5tupleIJNSE_INS8_ISJ_NS7_16discard_iteratorINS7_11use_defaultEEES9_S9_S9_S9_S9_S9_S9_S9_EEEESB_EEENSN_IJSM_SM_EEESB_PlJNSF_9not_fun_tINSF_14equal_to_valueISA_EEEEEEE10hipError_tPvRmT3_T4_T5_T6_T7_T9_mT8_P12ihipStream_tbDpT10_ENKUlT_T0_E_clISt17integral_constantIbLb0EES1I_IbLb1EEEEDaS1E_S1F_EUlS1E_E_NS1_11comp_targetILNS1_3genE8ELNS1_11target_archE1030ELNS1_3gpuE2ELNS1_3repE0EEENS1_30default_config_static_selectorELNS0_4arch9wavefront6targetE0EEEvT1_
; %bb.0:
	.section	.rodata,"a",@progbits
	.p2align	6, 0x0
	.amdhsa_kernel _ZN7rocprim17ROCPRIM_400000_NS6detail17trampoline_kernelINS0_14default_configENS1_25partition_config_selectorILNS1_17partition_subalgoE6EN6thrust23THRUST_200600_302600_NS5tupleIddNS7_9null_typeES9_S9_S9_S9_S9_S9_S9_EENS0_10empty_typeEbEEZZNS1_14partition_implILS5_6ELb0ES3_mNS7_12zip_iteratorINS8_INS7_6detail15normal_iteratorINS7_10device_ptrIdEEEESJ_S9_S9_S9_S9_S9_S9_S9_S9_EEEEPSB_SM_NS0_5tupleIJNSE_INS8_ISJ_NS7_16discard_iteratorINS7_11use_defaultEEES9_S9_S9_S9_S9_S9_S9_S9_EEEESB_EEENSN_IJSM_SM_EEESB_PlJNSF_9not_fun_tINSF_14equal_to_valueISA_EEEEEEE10hipError_tPvRmT3_T4_T5_T6_T7_T9_mT8_P12ihipStream_tbDpT10_ENKUlT_T0_E_clISt17integral_constantIbLb0EES1I_IbLb1EEEEDaS1E_S1F_EUlS1E_E_NS1_11comp_targetILNS1_3genE8ELNS1_11target_archE1030ELNS1_3gpuE2ELNS1_3repE0EEENS1_30default_config_static_selectorELNS0_4arch9wavefront6targetE0EEEvT1_
		.amdhsa_group_segment_fixed_size 0
		.amdhsa_private_segment_fixed_size 0
		.amdhsa_kernarg_size 160
		.amdhsa_user_sgpr_count 2
		.amdhsa_user_sgpr_dispatch_ptr 0
		.amdhsa_user_sgpr_queue_ptr 0
		.amdhsa_user_sgpr_kernarg_segment_ptr 1
		.amdhsa_user_sgpr_dispatch_id 0
		.amdhsa_user_sgpr_private_segment_size 0
		.amdhsa_wavefront_size32 1
		.amdhsa_uses_dynamic_stack 0
		.amdhsa_enable_private_segment 0
		.amdhsa_system_sgpr_workgroup_id_x 1
		.amdhsa_system_sgpr_workgroup_id_y 0
		.amdhsa_system_sgpr_workgroup_id_z 0
		.amdhsa_system_sgpr_workgroup_info 0
		.amdhsa_system_vgpr_workitem_id 0
		.amdhsa_next_free_vgpr 1
		.amdhsa_next_free_sgpr 1
		.amdhsa_reserve_vcc 0
		.amdhsa_float_round_mode_32 0
		.amdhsa_float_round_mode_16_64 0
		.amdhsa_float_denorm_mode_32 3
		.amdhsa_float_denorm_mode_16_64 3
		.amdhsa_fp16_overflow 0
		.amdhsa_workgroup_processor_mode 1
		.amdhsa_memory_ordered 1
		.amdhsa_forward_progress 1
		.amdhsa_inst_pref_size 0
		.amdhsa_round_robin_scheduling 0
		.amdhsa_exception_fp_ieee_invalid_op 0
		.amdhsa_exception_fp_denorm_src 0
		.amdhsa_exception_fp_ieee_div_zero 0
		.amdhsa_exception_fp_ieee_overflow 0
		.amdhsa_exception_fp_ieee_underflow 0
		.amdhsa_exception_fp_ieee_inexact 0
		.amdhsa_exception_int_div_zero 0
	.end_amdhsa_kernel
	.section	.text._ZN7rocprim17ROCPRIM_400000_NS6detail17trampoline_kernelINS0_14default_configENS1_25partition_config_selectorILNS1_17partition_subalgoE6EN6thrust23THRUST_200600_302600_NS5tupleIddNS7_9null_typeES9_S9_S9_S9_S9_S9_S9_EENS0_10empty_typeEbEEZZNS1_14partition_implILS5_6ELb0ES3_mNS7_12zip_iteratorINS8_INS7_6detail15normal_iteratorINS7_10device_ptrIdEEEESJ_S9_S9_S9_S9_S9_S9_S9_S9_EEEEPSB_SM_NS0_5tupleIJNSE_INS8_ISJ_NS7_16discard_iteratorINS7_11use_defaultEEES9_S9_S9_S9_S9_S9_S9_S9_EEEESB_EEENSN_IJSM_SM_EEESB_PlJNSF_9not_fun_tINSF_14equal_to_valueISA_EEEEEEE10hipError_tPvRmT3_T4_T5_T6_T7_T9_mT8_P12ihipStream_tbDpT10_ENKUlT_T0_E_clISt17integral_constantIbLb0EES1I_IbLb1EEEEDaS1E_S1F_EUlS1E_E_NS1_11comp_targetILNS1_3genE8ELNS1_11target_archE1030ELNS1_3gpuE2ELNS1_3repE0EEENS1_30default_config_static_selectorELNS0_4arch9wavefront6targetE0EEEvT1_,"axG",@progbits,_ZN7rocprim17ROCPRIM_400000_NS6detail17trampoline_kernelINS0_14default_configENS1_25partition_config_selectorILNS1_17partition_subalgoE6EN6thrust23THRUST_200600_302600_NS5tupleIddNS7_9null_typeES9_S9_S9_S9_S9_S9_S9_EENS0_10empty_typeEbEEZZNS1_14partition_implILS5_6ELb0ES3_mNS7_12zip_iteratorINS8_INS7_6detail15normal_iteratorINS7_10device_ptrIdEEEESJ_S9_S9_S9_S9_S9_S9_S9_S9_EEEEPSB_SM_NS0_5tupleIJNSE_INS8_ISJ_NS7_16discard_iteratorINS7_11use_defaultEEES9_S9_S9_S9_S9_S9_S9_S9_EEEESB_EEENSN_IJSM_SM_EEESB_PlJNSF_9not_fun_tINSF_14equal_to_valueISA_EEEEEEE10hipError_tPvRmT3_T4_T5_T6_T7_T9_mT8_P12ihipStream_tbDpT10_ENKUlT_T0_E_clISt17integral_constantIbLb0EES1I_IbLb1EEEEDaS1E_S1F_EUlS1E_E_NS1_11comp_targetILNS1_3genE8ELNS1_11target_archE1030ELNS1_3gpuE2ELNS1_3repE0EEENS1_30default_config_static_selectorELNS0_4arch9wavefront6targetE0EEEvT1_,comdat
.Lfunc_end1852:
	.size	_ZN7rocprim17ROCPRIM_400000_NS6detail17trampoline_kernelINS0_14default_configENS1_25partition_config_selectorILNS1_17partition_subalgoE6EN6thrust23THRUST_200600_302600_NS5tupleIddNS7_9null_typeES9_S9_S9_S9_S9_S9_S9_EENS0_10empty_typeEbEEZZNS1_14partition_implILS5_6ELb0ES3_mNS7_12zip_iteratorINS8_INS7_6detail15normal_iteratorINS7_10device_ptrIdEEEESJ_S9_S9_S9_S9_S9_S9_S9_S9_EEEEPSB_SM_NS0_5tupleIJNSE_INS8_ISJ_NS7_16discard_iteratorINS7_11use_defaultEEES9_S9_S9_S9_S9_S9_S9_S9_EEEESB_EEENSN_IJSM_SM_EEESB_PlJNSF_9not_fun_tINSF_14equal_to_valueISA_EEEEEEE10hipError_tPvRmT3_T4_T5_T6_T7_T9_mT8_P12ihipStream_tbDpT10_ENKUlT_T0_E_clISt17integral_constantIbLb0EES1I_IbLb1EEEEDaS1E_S1F_EUlS1E_E_NS1_11comp_targetILNS1_3genE8ELNS1_11target_archE1030ELNS1_3gpuE2ELNS1_3repE0EEENS1_30default_config_static_selectorELNS0_4arch9wavefront6targetE0EEEvT1_, .Lfunc_end1852-_ZN7rocprim17ROCPRIM_400000_NS6detail17trampoline_kernelINS0_14default_configENS1_25partition_config_selectorILNS1_17partition_subalgoE6EN6thrust23THRUST_200600_302600_NS5tupleIddNS7_9null_typeES9_S9_S9_S9_S9_S9_S9_EENS0_10empty_typeEbEEZZNS1_14partition_implILS5_6ELb0ES3_mNS7_12zip_iteratorINS8_INS7_6detail15normal_iteratorINS7_10device_ptrIdEEEESJ_S9_S9_S9_S9_S9_S9_S9_S9_EEEEPSB_SM_NS0_5tupleIJNSE_INS8_ISJ_NS7_16discard_iteratorINS7_11use_defaultEEES9_S9_S9_S9_S9_S9_S9_S9_EEEESB_EEENSN_IJSM_SM_EEESB_PlJNSF_9not_fun_tINSF_14equal_to_valueISA_EEEEEEE10hipError_tPvRmT3_T4_T5_T6_T7_T9_mT8_P12ihipStream_tbDpT10_ENKUlT_T0_E_clISt17integral_constantIbLb0EES1I_IbLb1EEEEDaS1E_S1F_EUlS1E_E_NS1_11comp_targetILNS1_3genE8ELNS1_11target_archE1030ELNS1_3gpuE2ELNS1_3repE0EEENS1_30default_config_static_selectorELNS0_4arch9wavefront6targetE0EEEvT1_
                                        ; -- End function
	.set _ZN7rocprim17ROCPRIM_400000_NS6detail17trampoline_kernelINS0_14default_configENS1_25partition_config_selectorILNS1_17partition_subalgoE6EN6thrust23THRUST_200600_302600_NS5tupleIddNS7_9null_typeES9_S9_S9_S9_S9_S9_S9_EENS0_10empty_typeEbEEZZNS1_14partition_implILS5_6ELb0ES3_mNS7_12zip_iteratorINS8_INS7_6detail15normal_iteratorINS7_10device_ptrIdEEEESJ_S9_S9_S9_S9_S9_S9_S9_S9_EEEEPSB_SM_NS0_5tupleIJNSE_INS8_ISJ_NS7_16discard_iteratorINS7_11use_defaultEEES9_S9_S9_S9_S9_S9_S9_S9_EEEESB_EEENSN_IJSM_SM_EEESB_PlJNSF_9not_fun_tINSF_14equal_to_valueISA_EEEEEEE10hipError_tPvRmT3_T4_T5_T6_T7_T9_mT8_P12ihipStream_tbDpT10_ENKUlT_T0_E_clISt17integral_constantIbLb0EES1I_IbLb1EEEEDaS1E_S1F_EUlS1E_E_NS1_11comp_targetILNS1_3genE8ELNS1_11target_archE1030ELNS1_3gpuE2ELNS1_3repE0EEENS1_30default_config_static_selectorELNS0_4arch9wavefront6targetE0EEEvT1_.num_vgpr, 0
	.set _ZN7rocprim17ROCPRIM_400000_NS6detail17trampoline_kernelINS0_14default_configENS1_25partition_config_selectorILNS1_17partition_subalgoE6EN6thrust23THRUST_200600_302600_NS5tupleIddNS7_9null_typeES9_S9_S9_S9_S9_S9_S9_EENS0_10empty_typeEbEEZZNS1_14partition_implILS5_6ELb0ES3_mNS7_12zip_iteratorINS8_INS7_6detail15normal_iteratorINS7_10device_ptrIdEEEESJ_S9_S9_S9_S9_S9_S9_S9_S9_EEEEPSB_SM_NS0_5tupleIJNSE_INS8_ISJ_NS7_16discard_iteratorINS7_11use_defaultEEES9_S9_S9_S9_S9_S9_S9_S9_EEEESB_EEENSN_IJSM_SM_EEESB_PlJNSF_9not_fun_tINSF_14equal_to_valueISA_EEEEEEE10hipError_tPvRmT3_T4_T5_T6_T7_T9_mT8_P12ihipStream_tbDpT10_ENKUlT_T0_E_clISt17integral_constantIbLb0EES1I_IbLb1EEEEDaS1E_S1F_EUlS1E_E_NS1_11comp_targetILNS1_3genE8ELNS1_11target_archE1030ELNS1_3gpuE2ELNS1_3repE0EEENS1_30default_config_static_selectorELNS0_4arch9wavefront6targetE0EEEvT1_.num_agpr, 0
	.set _ZN7rocprim17ROCPRIM_400000_NS6detail17trampoline_kernelINS0_14default_configENS1_25partition_config_selectorILNS1_17partition_subalgoE6EN6thrust23THRUST_200600_302600_NS5tupleIddNS7_9null_typeES9_S9_S9_S9_S9_S9_S9_EENS0_10empty_typeEbEEZZNS1_14partition_implILS5_6ELb0ES3_mNS7_12zip_iteratorINS8_INS7_6detail15normal_iteratorINS7_10device_ptrIdEEEESJ_S9_S9_S9_S9_S9_S9_S9_S9_EEEEPSB_SM_NS0_5tupleIJNSE_INS8_ISJ_NS7_16discard_iteratorINS7_11use_defaultEEES9_S9_S9_S9_S9_S9_S9_S9_EEEESB_EEENSN_IJSM_SM_EEESB_PlJNSF_9not_fun_tINSF_14equal_to_valueISA_EEEEEEE10hipError_tPvRmT3_T4_T5_T6_T7_T9_mT8_P12ihipStream_tbDpT10_ENKUlT_T0_E_clISt17integral_constantIbLb0EES1I_IbLb1EEEEDaS1E_S1F_EUlS1E_E_NS1_11comp_targetILNS1_3genE8ELNS1_11target_archE1030ELNS1_3gpuE2ELNS1_3repE0EEENS1_30default_config_static_selectorELNS0_4arch9wavefront6targetE0EEEvT1_.numbered_sgpr, 0
	.set _ZN7rocprim17ROCPRIM_400000_NS6detail17trampoline_kernelINS0_14default_configENS1_25partition_config_selectorILNS1_17partition_subalgoE6EN6thrust23THRUST_200600_302600_NS5tupleIddNS7_9null_typeES9_S9_S9_S9_S9_S9_S9_EENS0_10empty_typeEbEEZZNS1_14partition_implILS5_6ELb0ES3_mNS7_12zip_iteratorINS8_INS7_6detail15normal_iteratorINS7_10device_ptrIdEEEESJ_S9_S9_S9_S9_S9_S9_S9_S9_EEEEPSB_SM_NS0_5tupleIJNSE_INS8_ISJ_NS7_16discard_iteratorINS7_11use_defaultEEES9_S9_S9_S9_S9_S9_S9_S9_EEEESB_EEENSN_IJSM_SM_EEESB_PlJNSF_9not_fun_tINSF_14equal_to_valueISA_EEEEEEE10hipError_tPvRmT3_T4_T5_T6_T7_T9_mT8_P12ihipStream_tbDpT10_ENKUlT_T0_E_clISt17integral_constantIbLb0EES1I_IbLb1EEEEDaS1E_S1F_EUlS1E_E_NS1_11comp_targetILNS1_3genE8ELNS1_11target_archE1030ELNS1_3gpuE2ELNS1_3repE0EEENS1_30default_config_static_selectorELNS0_4arch9wavefront6targetE0EEEvT1_.num_named_barrier, 0
	.set _ZN7rocprim17ROCPRIM_400000_NS6detail17trampoline_kernelINS0_14default_configENS1_25partition_config_selectorILNS1_17partition_subalgoE6EN6thrust23THRUST_200600_302600_NS5tupleIddNS7_9null_typeES9_S9_S9_S9_S9_S9_S9_EENS0_10empty_typeEbEEZZNS1_14partition_implILS5_6ELb0ES3_mNS7_12zip_iteratorINS8_INS7_6detail15normal_iteratorINS7_10device_ptrIdEEEESJ_S9_S9_S9_S9_S9_S9_S9_S9_EEEEPSB_SM_NS0_5tupleIJNSE_INS8_ISJ_NS7_16discard_iteratorINS7_11use_defaultEEES9_S9_S9_S9_S9_S9_S9_S9_EEEESB_EEENSN_IJSM_SM_EEESB_PlJNSF_9not_fun_tINSF_14equal_to_valueISA_EEEEEEE10hipError_tPvRmT3_T4_T5_T6_T7_T9_mT8_P12ihipStream_tbDpT10_ENKUlT_T0_E_clISt17integral_constantIbLb0EES1I_IbLb1EEEEDaS1E_S1F_EUlS1E_E_NS1_11comp_targetILNS1_3genE8ELNS1_11target_archE1030ELNS1_3gpuE2ELNS1_3repE0EEENS1_30default_config_static_selectorELNS0_4arch9wavefront6targetE0EEEvT1_.private_seg_size, 0
	.set _ZN7rocprim17ROCPRIM_400000_NS6detail17trampoline_kernelINS0_14default_configENS1_25partition_config_selectorILNS1_17partition_subalgoE6EN6thrust23THRUST_200600_302600_NS5tupleIddNS7_9null_typeES9_S9_S9_S9_S9_S9_S9_EENS0_10empty_typeEbEEZZNS1_14partition_implILS5_6ELb0ES3_mNS7_12zip_iteratorINS8_INS7_6detail15normal_iteratorINS7_10device_ptrIdEEEESJ_S9_S9_S9_S9_S9_S9_S9_S9_EEEEPSB_SM_NS0_5tupleIJNSE_INS8_ISJ_NS7_16discard_iteratorINS7_11use_defaultEEES9_S9_S9_S9_S9_S9_S9_S9_EEEESB_EEENSN_IJSM_SM_EEESB_PlJNSF_9not_fun_tINSF_14equal_to_valueISA_EEEEEEE10hipError_tPvRmT3_T4_T5_T6_T7_T9_mT8_P12ihipStream_tbDpT10_ENKUlT_T0_E_clISt17integral_constantIbLb0EES1I_IbLb1EEEEDaS1E_S1F_EUlS1E_E_NS1_11comp_targetILNS1_3genE8ELNS1_11target_archE1030ELNS1_3gpuE2ELNS1_3repE0EEENS1_30default_config_static_selectorELNS0_4arch9wavefront6targetE0EEEvT1_.uses_vcc, 0
	.set _ZN7rocprim17ROCPRIM_400000_NS6detail17trampoline_kernelINS0_14default_configENS1_25partition_config_selectorILNS1_17partition_subalgoE6EN6thrust23THRUST_200600_302600_NS5tupleIddNS7_9null_typeES9_S9_S9_S9_S9_S9_S9_EENS0_10empty_typeEbEEZZNS1_14partition_implILS5_6ELb0ES3_mNS7_12zip_iteratorINS8_INS7_6detail15normal_iteratorINS7_10device_ptrIdEEEESJ_S9_S9_S9_S9_S9_S9_S9_S9_EEEEPSB_SM_NS0_5tupleIJNSE_INS8_ISJ_NS7_16discard_iteratorINS7_11use_defaultEEES9_S9_S9_S9_S9_S9_S9_S9_EEEESB_EEENSN_IJSM_SM_EEESB_PlJNSF_9not_fun_tINSF_14equal_to_valueISA_EEEEEEE10hipError_tPvRmT3_T4_T5_T6_T7_T9_mT8_P12ihipStream_tbDpT10_ENKUlT_T0_E_clISt17integral_constantIbLb0EES1I_IbLb1EEEEDaS1E_S1F_EUlS1E_E_NS1_11comp_targetILNS1_3genE8ELNS1_11target_archE1030ELNS1_3gpuE2ELNS1_3repE0EEENS1_30default_config_static_selectorELNS0_4arch9wavefront6targetE0EEEvT1_.uses_flat_scratch, 0
	.set _ZN7rocprim17ROCPRIM_400000_NS6detail17trampoline_kernelINS0_14default_configENS1_25partition_config_selectorILNS1_17partition_subalgoE6EN6thrust23THRUST_200600_302600_NS5tupleIddNS7_9null_typeES9_S9_S9_S9_S9_S9_S9_EENS0_10empty_typeEbEEZZNS1_14partition_implILS5_6ELb0ES3_mNS7_12zip_iteratorINS8_INS7_6detail15normal_iteratorINS7_10device_ptrIdEEEESJ_S9_S9_S9_S9_S9_S9_S9_S9_EEEEPSB_SM_NS0_5tupleIJNSE_INS8_ISJ_NS7_16discard_iteratorINS7_11use_defaultEEES9_S9_S9_S9_S9_S9_S9_S9_EEEESB_EEENSN_IJSM_SM_EEESB_PlJNSF_9not_fun_tINSF_14equal_to_valueISA_EEEEEEE10hipError_tPvRmT3_T4_T5_T6_T7_T9_mT8_P12ihipStream_tbDpT10_ENKUlT_T0_E_clISt17integral_constantIbLb0EES1I_IbLb1EEEEDaS1E_S1F_EUlS1E_E_NS1_11comp_targetILNS1_3genE8ELNS1_11target_archE1030ELNS1_3gpuE2ELNS1_3repE0EEENS1_30default_config_static_selectorELNS0_4arch9wavefront6targetE0EEEvT1_.has_dyn_sized_stack, 0
	.set _ZN7rocprim17ROCPRIM_400000_NS6detail17trampoline_kernelINS0_14default_configENS1_25partition_config_selectorILNS1_17partition_subalgoE6EN6thrust23THRUST_200600_302600_NS5tupleIddNS7_9null_typeES9_S9_S9_S9_S9_S9_S9_EENS0_10empty_typeEbEEZZNS1_14partition_implILS5_6ELb0ES3_mNS7_12zip_iteratorINS8_INS7_6detail15normal_iteratorINS7_10device_ptrIdEEEESJ_S9_S9_S9_S9_S9_S9_S9_S9_EEEEPSB_SM_NS0_5tupleIJNSE_INS8_ISJ_NS7_16discard_iteratorINS7_11use_defaultEEES9_S9_S9_S9_S9_S9_S9_S9_EEEESB_EEENSN_IJSM_SM_EEESB_PlJNSF_9not_fun_tINSF_14equal_to_valueISA_EEEEEEE10hipError_tPvRmT3_T4_T5_T6_T7_T9_mT8_P12ihipStream_tbDpT10_ENKUlT_T0_E_clISt17integral_constantIbLb0EES1I_IbLb1EEEEDaS1E_S1F_EUlS1E_E_NS1_11comp_targetILNS1_3genE8ELNS1_11target_archE1030ELNS1_3gpuE2ELNS1_3repE0EEENS1_30default_config_static_selectorELNS0_4arch9wavefront6targetE0EEEvT1_.has_recursion, 0
	.set _ZN7rocprim17ROCPRIM_400000_NS6detail17trampoline_kernelINS0_14default_configENS1_25partition_config_selectorILNS1_17partition_subalgoE6EN6thrust23THRUST_200600_302600_NS5tupleIddNS7_9null_typeES9_S9_S9_S9_S9_S9_S9_EENS0_10empty_typeEbEEZZNS1_14partition_implILS5_6ELb0ES3_mNS7_12zip_iteratorINS8_INS7_6detail15normal_iteratorINS7_10device_ptrIdEEEESJ_S9_S9_S9_S9_S9_S9_S9_S9_EEEEPSB_SM_NS0_5tupleIJNSE_INS8_ISJ_NS7_16discard_iteratorINS7_11use_defaultEEES9_S9_S9_S9_S9_S9_S9_S9_EEEESB_EEENSN_IJSM_SM_EEESB_PlJNSF_9not_fun_tINSF_14equal_to_valueISA_EEEEEEE10hipError_tPvRmT3_T4_T5_T6_T7_T9_mT8_P12ihipStream_tbDpT10_ENKUlT_T0_E_clISt17integral_constantIbLb0EES1I_IbLb1EEEEDaS1E_S1F_EUlS1E_E_NS1_11comp_targetILNS1_3genE8ELNS1_11target_archE1030ELNS1_3gpuE2ELNS1_3repE0EEENS1_30default_config_static_selectorELNS0_4arch9wavefront6targetE0EEEvT1_.has_indirect_call, 0
	.section	.AMDGPU.csdata,"",@progbits
; Kernel info:
; codeLenInByte = 0
; TotalNumSgprs: 0
; NumVgprs: 0
; ScratchSize: 0
; MemoryBound: 0
; FloatMode: 240
; IeeeMode: 1
; LDSByteSize: 0 bytes/workgroup (compile time only)
; SGPRBlocks: 0
; VGPRBlocks: 0
; NumSGPRsForWavesPerEU: 1
; NumVGPRsForWavesPerEU: 1
; Occupancy: 16
; WaveLimiterHint : 0
; COMPUTE_PGM_RSRC2:SCRATCH_EN: 0
; COMPUTE_PGM_RSRC2:USER_SGPR: 2
; COMPUTE_PGM_RSRC2:TRAP_HANDLER: 0
; COMPUTE_PGM_RSRC2:TGID_X_EN: 1
; COMPUTE_PGM_RSRC2:TGID_Y_EN: 0
; COMPUTE_PGM_RSRC2:TGID_Z_EN: 0
; COMPUTE_PGM_RSRC2:TIDIG_COMP_CNT: 0
	.section	.text._ZN7rocprim17ROCPRIM_400000_NS6detail17trampoline_kernelINS0_14default_configENS1_25partition_config_selectorILNS1_17partition_subalgoE6EN6thrust23THRUST_200600_302600_NS5tupleIffNS7_9null_typeES9_S9_S9_S9_S9_S9_S9_EENS0_10empty_typeEbEEZZNS1_14partition_implILS5_6ELb0ES3_mNS7_12zip_iteratorINS8_INS7_6detail15normal_iteratorINS7_10device_ptrIfEEEESJ_S9_S9_S9_S9_S9_S9_S9_S9_EEEEPSB_SM_NS0_5tupleIJNSE_INS8_ISJ_NS7_16discard_iteratorINS7_11use_defaultEEES9_S9_S9_S9_S9_S9_S9_S9_EEEESB_EEENSN_IJSM_SM_EEESB_PlJNSF_9not_fun_tINSF_14equal_to_valueISA_EEEEEEE10hipError_tPvRmT3_T4_T5_T6_T7_T9_mT8_P12ihipStream_tbDpT10_ENKUlT_T0_E_clISt17integral_constantIbLb0EES1J_EEDaS1E_S1F_EUlS1E_E_NS1_11comp_targetILNS1_3genE0ELNS1_11target_archE4294967295ELNS1_3gpuE0ELNS1_3repE0EEENS1_30default_config_static_selectorELNS0_4arch9wavefront6targetE0EEEvT1_,"axG",@progbits,_ZN7rocprim17ROCPRIM_400000_NS6detail17trampoline_kernelINS0_14default_configENS1_25partition_config_selectorILNS1_17partition_subalgoE6EN6thrust23THRUST_200600_302600_NS5tupleIffNS7_9null_typeES9_S9_S9_S9_S9_S9_S9_EENS0_10empty_typeEbEEZZNS1_14partition_implILS5_6ELb0ES3_mNS7_12zip_iteratorINS8_INS7_6detail15normal_iteratorINS7_10device_ptrIfEEEESJ_S9_S9_S9_S9_S9_S9_S9_S9_EEEEPSB_SM_NS0_5tupleIJNSE_INS8_ISJ_NS7_16discard_iteratorINS7_11use_defaultEEES9_S9_S9_S9_S9_S9_S9_S9_EEEESB_EEENSN_IJSM_SM_EEESB_PlJNSF_9not_fun_tINSF_14equal_to_valueISA_EEEEEEE10hipError_tPvRmT3_T4_T5_T6_T7_T9_mT8_P12ihipStream_tbDpT10_ENKUlT_T0_E_clISt17integral_constantIbLb0EES1J_EEDaS1E_S1F_EUlS1E_E_NS1_11comp_targetILNS1_3genE0ELNS1_11target_archE4294967295ELNS1_3gpuE0ELNS1_3repE0EEENS1_30default_config_static_selectorELNS0_4arch9wavefront6targetE0EEEvT1_,comdat
	.protected	_ZN7rocprim17ROCPRIM_400000_NS6detail17trampoline_kernelINS0_14default_configENS1_25partition_config_selectorILNS1_17partition_subalgoE6EN6thrust23THRUST_200600_302600_NS5tupleIffNS7_9null_typeES9_S9_S9_S9_S9_S9_S9_EENS0_10empty_typeEbEEZZNS1_14partition_implILS5_6ELb0ES3_mNS7_12zip_iteratorINS8_INS7_6detail15normal_iteratorINS7_10device_ptrIfEEEESJ_S9_S9_S9_S9_S9_S9_S9_S9_EEEEPSB_SM_NS0_5tupleIJNSE_INS8_ISJ_NS7_16discard_iteratorINS7_11use_defaultEEES9_S9_S9_S9_S9_S9_S9_S9_EEEESB_EEENSN_IJSM_SM_EEESB_PlJNSF_9not_fun_tINSF_14equal_to_valueISA_EEEEEEE10hipError_tPvRmT3_T4_T5_T6_T7_T9_mT8_P12ihipStream_tbDpT10_ENKUlT_T0_E_clISt17integral_constantIbLb0EES1J_EEDaS1E_S1F_EUlS1E_E_NS1_11comp_targetILNS1_3genE0ELNS1_11target_archE4294967295ELNS1_3gpuE0ELNS1_3repE0EEENS1_30default_config_static_selectorELNS0_4arch9wavefront6targetE0EEEvT1_ ; -- Begin function _ZN7rocprim17ROCPRIM_400000_NS6detail17trampoline_kernelINS0_14default_configENS1_25partition_config_selectorILNS1_17partition_subalgoE6EN6thrust23THRUST_200600_302600_NS5tupleIffNS7_9null_typeES9_S9_S9_S9_S9_S9_S9_EENS0_10empty_typeEbEEZZNS1_14partition_implILS5_6ELb0ES3_mNS7_12zip_iteratorINS8_INS7_6detail15normal_iteratorINS7_10device_ptrIfEEEESJ_S9_S9_S9_S9_S9_S9_S9_S9_EEEEPSB_SM_NS0_5tupleIJNSE_INS8_ISJ_NS7_16discard_iteratorINS7_11use_defaultEEES9_S9_S9_S9_S9_S9_S9_S9_EEEESB_EEENSN_IJSM_SM_EEESB_PlJNSF_9not_fun_tINSF_14equal_to_valueISA_EEEEEEE10hipError_tPvRmT3_T4_T5_T6_T7_T9_mT8_P12ihipStream_tbDpT10_ENKUlT_T0_E_clISt17integral_constantIbLb0EES1J_EEDaS1E_S1F_EUlS1E_E_NS1_11comp_targetILNS1_3genE0ELNS1_11target_archE4294967295ELNS1_3gpuE0ELNS1_3repE0EEENS1_30default_config_static_selectorELNS0_4arch9wavefront6targetE0EEEvT1_
	.globl	_ZN7rocprim17ROCPRIM_400000_NS6detail17trampoline_kernelINS0_14default_configENS1_25partition_config_selectorILNS1_17partition_subalgoE6EN6thrust23THRUST_200600_302600_NS5tupleIffNS7_9null_typeES9_S9_S9_S9_S9_S9_S9_EENS0_10empty_typeEbEEZZNS1_14partition_implILS5_6ELb0ES3_mNS7_12zip_iteratorINS8_INS7_6detail15normal_iteratorINS7_10device_ptrIfEEEESJ_S9_S9_S9_S9_S9_S9_S9_S9_EEEEPSB_SM_NS0_5tupleIJNSE_INS8_ISJ_NS7_16discard_iteratorINS7_11use_defaultEEES9_S9_S9_S9_S9_S9_S9_S9_EEEESB_EEENSN_IJSM_SM_EEESB_PlJNSF_9not_fun_tINSF_14equal_to_valueISA_EEEEEEE10hipError_tPvRmT3_T4_T5_T6_T7_T9_mT8_P12ihipStream_tbDpT10_ENKUlT_T0_E_clISt17integral_constantIbLb0EES1J_EEDaS1E_S1F_EUlS1E_E_NS1_11comp_targetILNS1_3genE0ELNS1_11target_archE4294967295ELNS1_3gpuE0ELNS1_3repE0EEENS1_30default_config_static_selectorELNS0_4arch9wavefront6targetE0EEEvT1_
	.p2align	8
	.type	_ZN7rocprim17ROCPRIM_400000_NS6detail17trampoline_kernelINS0_14default_configENS1_25partition_config_selectorILNS1_17partition_subalgoE6EN6thrust23THRUST_200600_302600_NS5tupleIffNS7_9null_typeES9_S9_S9_S9_S9_S9_S9_EENS0_10empty_typeEbEEZZNS1_14partition_implILS5_6ELb0ES3_mNS7_12zip_iteratorINS8_INS7_6detail15normal_iteratorINS7_10device_ptrIfEEEESJ_S9_S9_S9_S9_S9_S9_S9_S9_EEEEPSB_SM_NS0_5tupleIJNSE_INS8_ISJ_NS7_16discard_iteratorINS7_11use_defaultEEES9_S9_S9_S9_S9_S9_S9_S9_EEEESB_EEENSN_IJSM_SM_EEESB_PlJNSF_9not_fun_tINSF_14equal_to_valueISA_EEEEEEE10hipError_tPvRmT3_T4_T5_T6_T7_T9_mT8_P12ihipStream_tbDpT10_ENKUlT_T0_E_clISt17integral_constantIbLb0EES1J_EEDaS1E_S1F_EUlS1E_E_NS1_11comp_targetILNS1_3genE0ELNS1_11target_archE4294967295ELNS1_3gpuE0ELNS1_3repE0EEENS1_30default_config_static_selectorELNS0_4arch9wavefront6targetE0EEEvT1_,@function
_ZN7rocprim17ROCPRIM_400000_NS6detail17trampoline_kernelINS0_14default_configENS1_25partition_config_selectorILNS1_17partition_subalgoE6EN6thrust23THRUST_200600_302600_NS5tupleIffNS7_9null_typeES9_S9_S9_S9_S9_S9_S9_EENS0_10empty_typeEbEEZZNS1_14partition_implILS5_6ELb0ES3_mNS7_12zip_iteratorINS8_INS7_6detail15normal_iteratorINS7_10device_ptrIfEEEESJ_S9_S9_S9_S9_S9_S9_S9_S9_EEEEPSB_SM_NS0_5tupleIJNSE_INS8_ISJ_NS7_16discard_iteratorINS7_11use_defaultEEES9_S9_S9_S9_S9_S9_S9_S9_EEEESB_EEENSN_IJSM_SM_EEESB_PlJNSF_9not_fun_tINSF_14equal_to_valueISA_EEEEEEE10hipError_tPvRmT3_T4_T5_T6_T7_T9_mT8_P12ihipStream_tbDpT10_ENKUlT_T0_E_clISt17integral_constantIbLb0EES1J_EEDaS1E_S1F_EUlS1E_E_NS1_11comp_targetILNS1_3genE0ELNS1_11target_archE4294967295ELNS1_3gpuE0ELNS1_3repE0EEENS1_30default_config_static_selectorELNS0_4arch9wavefront6targetE0EEEvT1_: ; @_ZN7rocprim17ROCPRIM_400000_NS6detail17trampoline_kernelINS0_14default_configENS1_25partition_config_selectorILNS1_17partition_subalgoE6EN6thrust23THRUST_200600_302600_NS5tupleIffNS7_9null_typeES9_S9_S9_S9_S9_S9_S9_EENS0_10empty_typeEbEEZZNS1_14partition_implILS5_6ELb0ES3_mNS7_12zip_iteratorINS8_INS7_6detail15normal_iteratorINS7_10device_ptrIfEEEESJ_S9_S9_S9_S9_S9_S9_S9_S9_EEEEPSB_SM_NS0_5tupleIJNSE_INS8_ISJ_NS7_16discard_iteratorINS7_11use_defaultEEES9_S9_S9_S9_S9_S9_S9_S9_EEEESB_EEENSN_IJSM_SM_EEESB_PlJNSF_9not_fun_tINSF_14equal_to_valueISA_EEEEEEE10hipError_tPvRmT3_T4_T5_T6_T7_T9_mT8_P12ihipStream_tbDpT10_ENKUlT_T0_E_clISt17integral_constantIbLb0EES1J_EEDaS1E_S1F_EUlS1E_E_NS1_11comp_targetILNS1_3genE0ELNS1_11target_archE4294967295ELNS1_3gpuE0ELNS1_3repE0EEENS1_30default_config_static_selectorELNS0_4arch9wavefront6targetE0EEEvT1_
; %bb.0:
	.section	.rodata,"a",@progbits
	.p2align	6, 0x0
	.amdhsa_kernel _ZN7rocprim17ROCPRIM_400000_NS6detail17trampoline_kernelINS0_14default_configENS1_25partition_config_selectorILNS1_17partition_subalgoE6EN6thrust23THRUST_200600_302600_NS5tupleIffNS7_9null_typeES9_S9_S9_S9_S9_S9_S9_EENS0_10empty_typeEbEEZZNS1_14partition_implILS5_6ELb0ES3_mNS7_12zip_iteratorINS8_INS7_6detail15normal_iteratorINS7_10device_ptrIfEEEESJ_S9_S9_S9_S9_S9_S9_S9_S9_EEEEPSB_SM_NS0_5tupleIJNSE_INS8_ISJ_NS7_16discard_iteratorINS7_11use_defaultEEES9_S9_S9_S9_S9_S9_S9_S9_EEEESB_EEENSN_IJSM_SM_EEESB_PlJNSF_9not_fun_tINSF_14equal_to_valueISA_EEEEEEE10hipError_tPvRmT3_T4_T5_T6_T7_T9_mT8_P12ihipStream_tbDpT10_ENKUlT_T0_E_clISt17integral_constantIbLb0EES1J_EEDaS1E_S1F_EUlS1E_E_NS1_11comp_targetILNS1_3genE0ELNS1_11target_archE4294967295ELNS1_3gpuE0ELNS1_3repE0EEENS1_30default_config_static_selectorELNS0_4arch9wavefront6targetE0EEEvT1_
		.amdhsa_group_segment_fixed_size 0
		.amdhsa_private_segment_fixed_size 0
		.amdhsa_kernarg_size 144
		.amdhsa_user_sgpr_count 2
		.amdhsa_user_sgpr_dispatch_ptr 0
		.amdhsa_user_sgpr_queue_ptr 0
		.amdhsa_user_sgpr_kernarg_segment_ptr 1
		.amdhsa_user_sgpr_dispatch_id 0
		.amdhsa_user_sgpr_private_segment_size 0
		.amdhsa_wavefront_size32 1
		.amdhsa_uses_dynamic_stack 0
		.amdhsa_enable_private_segment 0
		.amdhsa_system_sgpr_workgroup_id_x 1
		.amdhsa_system_sgpr_workgroup_id_y 0
		.amdhsa_system_sgpr_workgroup_id_z 0
		.amdhsa_system_sgpr_workgroup_info 0
		.amdhsa_system_vgpr_workitem_id 0
		.amdhsa_next_free_vgpr 1
		.amdhsa_next_free_sgpr 1
		.amdhsa_reserve_vcc 0
		.amdhsa_float_round_mode_32 0
		.amdhsa_float_round_mode_16_64 0
		.amdhsa_float_denorm_mode_32 3
		.amdhsa_float_denorm_mode_16_64 3
		.amdhsa_fp16_overflow 0
		.amdhsa_workgroup_processor_mode 1
		.amdhsa_memory_ordered 1
		.amdhsa_forward_progress 1
		.amdhsa_inst_pref_size 0
		.amdhsa_round_robin_scheduling 0
		.amdhsa_exception_fp_ieee_invalid_op 0
		.amdhsa_exception_fp_denorm_src 0
		.amdhsa_exception_fp_ieee_div_zero 0
		.amdhsa_exception_fp_ieee_overflow 0
		.amdhsa_exception_fp_ieee_underflow 0
		.amdhsa_exception_fp_ieee_inexact 0
		.amdhsa_exception_int_div_zero 0
	.end_amdhsa_kernel
	.section	.text._ZN7rocprim17ROCPRIM_400000_NS6detail17trampoline_kernelINS0_14default_configENS1_25partition_config_selectorILNS1_17partition_subalgoE6EN6thrust23THRUST_200600_302600_NS5tupleIffNS7_9null_typeES9_S9_S9_S9_S9_S9_S9_EENS0_10empty_typeEbEEZZNS1_14partition_implILS5_6ELb0ES3_mNS7_12zip_iteratorINS8_INS7_6detail15normal_iteratorINS7_10device_ptrIfEEEESJ_S9_S9_S9_S9_S9_S9_S9_S9_EEEEPSB_SM_NS0_5tupleIJNSE_INS8_ISJ_NS7_16discard_iteratorINS7_11use_defaultEEES9_S9_S9_S9_S9_S9_S9_S9_EEEESB_EEENSN_IJSM_SM_EEESB_PlJNSF_9not_fun_tINSF_14equal_to_valueISA_EEEEEEE10hipError_tPvRmT3_T4_T5_T6_T7_T9_mT8_P12ihipStream_tbDpT10_ENKUlT_T0_E_clISt17integral_constantIbLb0EES1J_EEDaS1E_S1F_EUlS1E_E_NS1_11comp_targetILNS1_3genE0ELNS1_11target_archE4294967295ELNS1_3gpuE0ELNS1_3repE0EEENS1_30default_config_static_selectorELNS0_4arch9wavefront6targetE0EEEvT1_,"axG",@progbits,_ZN7rocprim17ROCPRIM_400000_NS6detail17trampoline_kernelINS0_14default_configENS1_25partition_config_selectorILNS1_17partition_subalgoE6EN6thrust23THRUST_200600_302600_NS5tupleIffNS7_9null_typeES9_S9_S9_S9_S9_S9_S9_EENS0_10empty_typeEbEEZZNS1_14partition_implILS5_6ELb0ES3_mNS7_12zip_iteratorINS8_INS7_6detail15normal_iteratorINS7_10device_ptrIfEEEESJ_S9_S9_S9_S9_S9_S9_S9_S9_EEEEPSB_SM_NS0_5tupleIJNSE_INS8_ISJ_NS7_16discard_iteratorINS7_11use_defaultEEES9_S9_S9_S9_S9_S9_S9_S9_EEEESB_EEENSN_IJSM_SM_EEESB_PlJNSF_9not_fun_tINSF_14equal_to_valueISA_EEEEEEE10hipError_tPvRmT3_T4_T5_T6_T7_T9_mT8_P12ihipStream_tbDpT10_ENKUlT_T0_E_clISt17integral_constantIbLb0EES1J_EEDaS1E_S1F_EUlS1E_E_NS1_11comp_targetILNS1_3genE0ELNS1_11target_archE4294967295ELNS1_3gpuE0ELNS1_3repE0EEENS1_30default_config_static_selectorELNS0_4arch9wavefront6targetE0EEEvT1_,comdat
.Lfunc_end1853:
	.size	_ZN7rocprim17ROCPRIM_400000_NS6detail17trampoline_kernelINS0_14default_configENS1_25partition_config_selectorILNS1_17partition_subalgoE6EN6thrust23THRUST_200600_302600_NS5tupleIffNS7_9null_typeES9_S9_S9_S9_S9_S9_S9_EENS0_10empty_typeEbEEZZNS1_14partition_implILS5_6ELb0ES3_mNS7_12zip_iteratorINS8_INS7_6detail15normal_iteratorINS7_10device_ptrIfEEEESJ_S9_S9_S9_S9_S9_S9_S9_S9_EEEEPSB_SM_NS0_5tupleIJNSE_INS8_ISJ_NS7_16discard_iteratorINS7_11use_defaultEEES9_S9_S9_S9_S9_S9_S9_S9_EEEESB_EEENSN_IJSM_SM_EEESB_PlJNSF_9not_fun_tINSF_14equal_to_valueISA_EEEEEEE10hipError_tPvRmT3_T4_T5_T6_T7_T9_mT8_P12ihipStream_tbDpT10_ENKUlT_T0_E_clISt17integral_constantIbLb0EES1J_EEDaS1E_S1F_EUlS1E_E_NS1_11comp_targetILNS1_3genE0ELNS1_11target_archE4294967295ELNS1_3gpuE0ELNS1_3repE0EEENS1_30default_config_static_selectorELNS0_4arch9wavefront6targetE0EEEvT1_, .Lfunc_end1853-_ZN7rocprim17ROCPRIM_400000_NS6detail17trampoline_kernelINS0_14default_configENS1_25partition_config_selectorILNS1_17partition_subalgoE6EN6thrust23THRUST_200600_302600_NS5tupleIffNS7_9null_typeES9_S9_S9_S9_S9_S9_S9_EENS0_10empty_typeEbEEZZNS1_14partition_implILS5_6ELb0ES3_mNS7_12zip_iteratorINS8_INS7_6detail15normal_iteratorINS7_10device_ptrIfEEEESJ_S9_S9_S9_S9_S9_S9_S9_S9_EEEEPSB_SM_NS0_5tupleIJNSE_INS8_ISJ_NS7_16discard_iteratorINS7_11use_defaultEEES9_S9_S9_S9_S9_S9_S9_S9_EEEESB_EEENSN_IJSM_SM_EEESB_PlJNSF_9not_fun_tINSF_14equal_to_valueISA_EEEEEEE10hipError_tPvRmT3_T4_T5_T6_T7_T9_mT8_P12ihipStream_tbDpT10_ENKUlT_T0_E_clISt17integral_constantIbLb0EES1J_EEDaS1E_S1F_EUlS1E_E_NS1_11comp_targetILNS1_3genE0ELNS1_11target_archE4294967295ELNS1_3gpuE0ELNS1_3repE0EEENS1_30default_config_static_selectorELNS0_4arch9wavefront6targetE0EEEvT1_
                                        ; -- End function
	.set _ZN7rocprim17ROCPRIM_400000_NS6detail17trampoline_kernelINS0_14default_configENS1_25partition_config_selectorILNS1_17partition_subalgoE6EN6thrust23THRUST_200600_302600_NS5tupleIffNS7_9null_typeES9_S9_S9_S9_S9_S9_S9_EENS0_10empty_typeEbEEZZNS1_14partition_implILS5_6ELb0ES3_mNS7_12zip_iteratorINS8_INS7_6detail15normal_iteratorINS7_10device_ptrIfEEEESJ_S9_S9_S9_S9_S9_S9_S9_S9_EEEEPSB_SM_NS0_5tupleIJNSE_INS8_ISJ_NS7_16discard_iteratorINS7_11use_defaultEEES9_S9_S9_S9_S9_S9_S9_S9_EEEESB_EEENSN_IJSM_SM_EEESB_PlJNSF_9not_fun_tINSF_14equal_to_valueISA_EEEEEEE10hipError_tPvRmT3_T4_T5_T6_T7_T9_mT8_P12ihipStream_tbDpT10_ENKUlT_T0_E_clISt17integral_constantIbLb0EES1J_EEDaS1E_S1F_EUlS1E_E_NS1_11comp_targetILNS1_3genE0ELNS1_11target_archE4294967295ELNS1_3gpuE0ELNS1_3repE0EEENS1_30default_config_static_selectorELNS0_4arch9wavefront6targetE0EEEvT1_.num_vgpr, 0
	.set _ZN7rocprim17ROCPRIM_400000_NS6detail17trampoline_kernelINS0_14default_configENS1_25partition_config_selectorILNS1_17partition_subalgoE6EN6thrust23THRUST_200600_302600_NS5tupleIffNS7_9null_typeES9_S9_S9_S9_S9_S9_S9_EENS0_10empty_typeEbEEZZNS1_14partition_implILS5_6ELb0ES3_mNS7_12zip_iteratorINS8_INS7_6detail15normal_iteratorINS7_10device_ptrIfEEEESJ_S9_S9_S9_S9_S9_S9_S9_S9_EEEEPSB_SM_NS0_5tupleIJNSE_INS8_ISJ_NS7_16discard_iteratorINS7_11use_defaultEEES9_S9_S9_S9_S9_S9_S9_S9_EEEESB_EEENSN_IJSM_SM_EEESB_PlJNSF_9not_fun_tINSF_14equal_to_valueISA_EEEEEEE10hipError_tPvRmT3_T4_T5_T6_T7_T9_mT8_P12ihipStream_tbDpT10_ENKUlT_T0_E_clISt17integral_constantIbLb0EES1J_EEDaS1E_S1F_EUlS1E_E_NS1_11comp_targetILNS1_3genE0ELNS1_11target_archE4294967295ELNS1_3gpuE0ELNS1_3repE0EEENS1_30default_config_static_selectorELNS0_4arch9wavefront6targetE0EEEvT1_.num_agpr, 0
	.set _ZN7rocprim17ROCPRIM_400000_NS6detail17trampoline_kernelINS0_14default_configENS1_25partition_config_selectorILNS1_17partition_subalgoE6EN6thrust23THRUST_200600_302600_NS5tupleIffNS7_9null_typeES9_S9_S9_S9_S9_S9_S9_EENS0_10empty_typeEbEEZZNS1_14partition_implILS5_6ELb0ES3_mNS7_12zip_iteratorINS8_INS7_6detail15normal_iteratorINS7_10device_ptrIfEEEESJ_S9_S9_S9_S9_S9_S9_S9_S9_EEEEPSB_SM_NS0_5tupleIJNSE_INS8_ISJ_NS7_16discard_iteratorINS7_11use_defaultEEES9_S9_S9_S9_S9_S9_S9_S9_EEEESB_EEENSN_IJSM_SM_EEESB_PlJNSF_9not_fun_tINSF_14equal_to_valueISA_EEEEEEE10hipError_tPvRmT3_T4_T5_T6_T7_T9_mT8_P12ihipStream_tbDpT10_ENKUlT_T0_E_clISt17integral_constantIbLb0EES1J_EEDaS1E_S1F_EUlS1E_E_NS1_11comp_targetILNS1_3genE0ELNS1_11target_archE4294967295ELNS1_3gpuE0ELNS1_3repE0EEENS1_30default_config_static_selectorELNS0_4arch9wavefront6targetE0EEEvT1_.numbered_sgpr, 0
	.set _ZN7rocprim17ROCPRIM_400000_NS6detail17trampoline_kernelINS0_14default_configENS1_25partition_config_selectorILNS1_17partition_subalgoE6EN6thrust23THRUST_200600_302600_NS5tupleIffNS7_9null_typeES9_S9_S9_S9_S9_S9_S9_EENS0_10empty_typeEbEEZZNS1_14partition_implILS5_6ELb0ES3_mNS7_12zip_iteratorINS8_INS7_6detail15normal_iteratorINS7_10device_ptrIfEEEESJ_S9_S9_S9_S9_S9_S9_S9_S9_EEEEPSB_SM_NS0_5tupleIJNSE_INS8_ISJ_NS7_16discard_iteratorINS7_11use_defaultEEES9_S9_S9_S9_S9_S9_S9_S9_EEEESB_EEENSN_IJSM_SM_EEESB_PlJNSF_9not_fun_tINSF_14equal_to_valueISA_EEEEEEE10hipError_tPvRmT3_T4_T5_T6_T7_T9_mT8_P12ihipStream_tbDpT10_ENKUlT_T0_E_clISt17integral_constantIbLb0EES1J_EEDaS1E_S1F_EUlS1E_E_NS1_11comp_targetILNS1_3genE0ELNS1_11target_archE4294967295ELNS1_3gpuE0ELNS1_3repE0EEENS1_30default_config_static_selectorELNS0_4arch9wavefront6targetE0EEEvT1_.num_named_barrier, 0
	.set _ZN7rocprim17ROCPRIM_400000_NS6detail17trampoline_kernelINS0_14default_configENS1_25partition_config_selectorILNS1_17partition_subalgoE6EN6thrust23THRUST_200600_302600_NS5tupleIffNS7_9null_typeES9_S9_S9_S9_S9_S9_S9_EENS0_10empty_typeEbEEZZNS1_14partition_implILS5_6ELb0ES3_mNS7_12zip_iteratorINS8_INS7_6detail15normal_iteratorINS7_10device_ptrIfEEEESJ_S9_S9_S9_S9_S9_S9_S9_S9_EEEEPSB_SM_NS0_5tupleIJNSE_INS8_ISJ_NS7_16discard_iteratorINS7_11use_defaultEEES9_S9_S9_S9_S9_S9_S9_S9_EEEESB_EEENSN_IJSM_SM_EEESB_PlJNSF_9not_fun_tINSF_14equal_to_valueISA_EEEEEEE10hipError_tPvRmT3_T4_T5_T6_T7_T9_mT8_P12ihipStream_tbDpT10_ENKUlT_T0_E_clISt17integral_constantIbLb0EES1J_EEDaS1E_S1F_EUlS1E_E_NS1_11comp_targetILNS1_3genE0ELNS1_11target_archE4294967295ELNS1_3gpuE0ELNS1_3repE0EEENS1_30default_config_static_selectorELNS0_4arch9wavefront6targetE0EEEvT1_.private_seg_size, 0
	.set _ZN7rocprim17ROCPRIM_400000_NS6detail17trampoline_kernelINS0_14default_configENS1_25partition_config_selectorILNS1_17partition_subalgoE6EN6thrust23THRUST_200600_302600_NS5tupleIffNS7_9null_typeES9_S9_S9_S9_S9_S9_S9_EENS0_10empty_typeEbEEZZNS1_14partition_implILS5_6ELb0ES3_mNS7_12zip_iteratorINS8_INS7_6detail15normal_iteratorINS7_10device_ptrIfEEEESJ_S9_S9_S9_S9_S9_S9_S9_S9_EEEEPSB_SM_NS0_5tupleIJNSE_INS8_ISJ_NS7_16discard_iteratorINS7_11use_defaultEEES9_S9_S9_S9_S9_S9_S9_S9_EEEESB_EEENSN_IJSM_SM_EEESB_PlJNSF_9not_fun_tINSF_14equal_to_valueISA_EEEEEEE10hipError_tPvRmT3_T4_T5_T6_T7_T9_mT8_P12ihipStream_tbDpT10_ENKUlT_T0_E_clISt17integral_constantIbLb0EES1J_EEDaS1E_S1F_EUlS1E_E_NS1_11comp_targetILNS1_3genE0ELNS1_11target_archE4294967295ELNS1_3gpuE0ELNS1_3repE0EEENS1_30default_config_static_selectorELNS0_4arch9wavefront6targetE0EEEvT1_.uses_vcc, 0
	.set _ZN7rocprim17ROCPRIM_400000_NS6detail17trampoline_kernelINS0_14default_configENS1_25partition_config_selectorILNS1_17partition_subalgoE6EN6thrust23THRUST_200600_302600_NS5tupleIffNS7_9null_typeES9_S9_S9_S9_S9_S9_S9_EENS0_10empty_typeEbEEZZNS1_14partition_implILS5_6ELb0ES3_mNS7_12zip_iteratorINS8_INS7_6detail15normal_iteratorINS7_10device_ptrIfEEEESJ_S9_S9_S9_S9_S9_S9_S9_S9_EEEEPSB_SM_NS0_5tupleIJNSE_INS8_ISJ_NS7_16discard_iteratorINS7_11use_defaultEEES9_S9_S9_S9_S9_S9_S9_S9_EEEESB_EEENSN_IJSM_SM_EEESB_PlJNSF_9not_fun_tINSF_14equal_to_valueISA_EEEEEEE10hipError_tPvRmT3_T4_T5_T6_T7_T9_mT8_P12ihipStream_tbDpT10_ENKUlT_T0_E_clISt17integral_constantIbLb0EES1J_EEDaS1E_S1F_EUlS1E_E_NS1_11comp_targetILNS1_3genE0ELNS1_11target_archE4294967295ELNS1_3gpuE0ELNS1_3repE0EEENS1_30default_config_static_selectorELNS0_4arch9wavefront6targetE0EEEvT1_.uses_flat_scratch, 0
	.set _ZN7rocprim17ROCPRIM_400000_NS6detail17trampoline_kernelINS0_14default_configENS1_25partition_config_selectorILNS1_17partition_subalgoE6EN6thrust23THRUST_200600_302600_NS5tupleIffNS7_9null_typeES9_S9_S9_S9_S9_S9_S9_EENS0_10empty_typeEbEEZZNS1_14partition_implILS5_6ELb0ES3_mNS7_12zip_iteratorINS8_INS7_6detail15normal_iteratorINS7_10device_ptrIfEEEESJ_S9_S9_S9_S9_S9_S9_S9_S9_EEEEPSB_SM_NS0_5tupleIJNSE_INS8_ISJ_NS7_16discard_iteratorINS7_11use_defaultEEES9_S9_S9_S9_S9_S9_S9_S9_EEEESB_EEENSN_IJSM_SM_EEESB_PlJNSF_9not_fun_tINSF_14equal_to_valueISA_EEEEEEE10hipError_tPvRmT3_T4_T5_T6_T7_T9_mT8_P12ihipStream_tbDpT10_ENKUlT_T0_E_clISt17integral_constantIbLb0EES1J_EEDaS1E_S1F_EUlS1E_E_NS1_11comp_targetILNS1_3genE0ELNS1_11target_archE4294967295ELNS1_3gpuE0ELNS1_3repE0EEENS1_30default_config_static_selectorELNS0_4arch9wavefront6targetE0EEEvT1_.has_dyn_sized_stack, 0
	.set _ZN7rocprim17ROCPRIM_400000_NS6detail17trampoline_kernelINS0_14default_configENS1_25partition_config_selectorILNS1_17partition_subalgoE6EN6thrust23THRUST_200600_302600_NS5tupleIffNS7_9null_typeES9_S9_S9_S9_S9_S9_S9_EENS0_10empty_typeEbEEZZNS1_14partition_implILS5_6ELb0ES3_mNS7_12zip_iteratorINS8_INS7_6detail15normal_iteratorINS7_10device_ptrIfEEEESJ_S9_S9_S9_S9_S9_S9_S9_S9_EEEEPSB_SM_NS0_5tupleIJNSE_INS8_ISJ_NS7_16discard_iteratorINS7_11use_defaultEEES9_S9_S9_S9_S9_S9_S9_S9_EEEESB_EEENSN_IJSM_SM_EEESB_PlJNSF_9not_fun_tINSF_14equal_to_valueISA_EEEEEEE10hipError_tPvRmT3_T4_T5_T6_T7_T9_mT8_P12ihipStream_tbDpT10_ENKUlT_T0_E_clISt17integral_constantIbLb0EES1J_EEDaS1E_S1F_EUlS1E_E_NS1_11comp_targetILNS1_3genE0ELNS1_11target_archE4294967295ELNS1_3gpuE0ELNS1_3repE0EEENS1_30default_config_static_selectorELNS0_4arch9wavefront6targetE0EEEvT1_.has_recursion, 0
	.set _ZN7rocprim17ROCPRIM_400000_NS6detail17trampoline_kernelINS0_14default_configENS1_25partition_config_selectorILNS1_17partition_subalgoE6EN6thrust23THRUST_200600_302600_NS5tupleIffNS7_9null_typeES9_S9_S9_S9_S9_S9_S9_EENS0_10empty_typeEbEEZZNS1_14partition_implILS5_6ELb0ES3_mNS7_12zip_iteratorINS8_INS7_6detail15normal_iteratorINS7_10device_ptrIfEEEESJ_S9_S9_S9_S9_S9_S9_S9_S9_EEEEPSB_SM_NS0_5tupleIJNSE_INS8_ISJ_NS7_16discard_iteratorINS7_11use_defaultEEES9_S9_S9_S9_S9_S9_S9_S9_EEEESB_EEENSN_IJSM_SM_EEESB_PlJNSF_9not_fun_tINSF_14equal_to_valueISA_EEEEEEE10hipError_tPvRmT3_T4_T5_T6_T7_T9_mT8_P12ihipStream_tbDpT10_ENKUlT_T0_E_clISt17integral_constantIbLb0EES1J_EEDaS1E_S1F_EUlS1E_E_NS1_11comp_targetILNS1_3genE0ELNS1_11target_archE4294967295ELNS1_3gpuE0ELNS1_3repE0EEENS1_30default_config_static_selectorELNS0_4arch9wavefront6targetE0EEEvT1_.has_indirect_call, 0
	.section	.AMDGPU.csdata,"",@progbits
; Kernel info:
; codeLenInByte = 0
; TotalNumSgprs: 0
; NumVgprs: 0
; ScratchSize: 0
; MemoryBound: 0
; FloatMode: 240
; IeeeMode: 1
; LDSByteSize: 0 bytes/workgroup (compile time only)
; SGPRBlocks: 0
; VGPRBlocks: 0
; NumSGPRsForWavesPerEU: 1
; NumVGPRsForWavesPerEU: 1
; Occupancy: 16
; WaveLimiterHint : 0
; COMPUTE_PGM_RSRC2:SCRATCH_EN: 0
; COMPUTE_PGM_RSRC2:USER_SGPR: 2
; COMPUTE_PGM_RSRC2:TRAP_HANDLER: 0
; COMPUTE_PGM_RSRC2:TGID_X_EN: 1
; COMPUTE_PGM_RSRC2:TGID_Y_EN: 0
; COMPUTE_PGM_RSRC2:TGID_Z_EN: 0
; COMPUTE_PGM_RSRC2:TIDIG_COMP_CNT: 0
	.section	.text._ZN7rocprim17ROCPRIM_400000_NS6detail17trampoline_kernelINS0_14default_configENS1_25partition_config_selectorILNS1_17partition_subalgoE6EN6thrust23THRUST_200600_302600_NS5tupleIffNS7_9null_typeES9_S9_S9_S9_S9_S9_S9_EENS0_10empty_typeEbEEZZNS1_14partition_implILS5_6ELb0ES3_mNS7_12zip_iteratorINS8_INS7_6detail15normal_iteratorINS7_10device_ptrIfEEEESJ_S9_S9_S9_S9_S9_S9_S9_S9_EEEEPSB_SM_NS0_5tupleIJNSE_INS8_ISJ_NS7_16discard_iteratorINS7_11use_defaultEEES9_S9_S9_S9_S9_S9_S9_S9_EEEESB_EEENSN_IJSM_SM_EEESB_PlJNSF_9not_fun_tINSF_14equal_to_valueISA_EEEEEEE10hipError_tPvRmT3_T4_T5_T6_T7_T9_mT8_P12ihipStream_tbDpT10_ENKUlT_T0_E_clISt17integral_constantIbLb0EES1J_EEDaS1E_S1F_EUlS1E_E_NS1_11comp_targetILNS1_3genE5ELNS1_11target_archE942ELNS1_3gpuE9ELNS1_3repE0EEENS1_30default_config_static_selectorELNS0_4arch9wavefront6targetE0EEEvT1_,"axG",@progbits,_ZN7rocprim17ROCPRIM_400000_NS6detail17trampoline_kernelINS0_14default_configENS1_25partition_config_selectorILNS1_17partition_subalgoE6EN6thrust23THRUST_200600_302600_NS5tupleIffNS7_9null_typeES9_S9_S9_S9_S9_S9_S9_EENS0_10empty_typeEbEEZZNS1_14partition_implILS5_6ELb0ES3_mNS7_12zip_iteratorINS8_INS7_6detail15normal_iteratorINS7_10device_ptrIfEEEESJ_S9_S9_S9_S9_S9_S9_S9_S9_EEEEPSB_SM_NS0_5tupleIJNSE_INS8_ISJ_NS7_16discard_iteratorINS7_11use_defaultEEES9_S9_S9_S9_S9_S9_S9_S9_EEEESB_EEENSN_IJSM_SM_EEESB_PlJNSF_9not_fun_tINSF_14equal_to_valueISA_EEEEEEE10hipError_tPvRmT3_T4_T5_T6_T7_T9_mT8_P12ihipStream_tbDpT10_ENKUlT_T0_E_clISt17integral_constantIbLb0EES1J_EEDaS1E_S1F_EUlS1E_E_NS1_11comp_targetILNS1_3genE5ELNS1_11target_archE942ELNS1_3gpuE9ELNS1_3repE0EEENS1_30default_config_static_selectorELNS0_4arch9wavefront6targetE0EEEvT1_,comdat
	.protected	_ZN7rocprim17ROCPRIM_400000_NS6detail17trampoline_kernelINS0_14default_configENS1_25partition_config_selectorILNS1_17partition_subalgoE6EN6thrust23THRUST_200600_302600_NS5tupleIffNS7_9null_typeES9_S9_S9_S9_S9_S9_S9_EENS0_10empty_typeEbEEZZNS1_14partition_implILS5_6ELb0ES3_mNS7_12zip_iteratorINS8_INS7_6detail15normal_iteratorINS7_10device_ptrIfEEEESJ_S9_S9_S9_S9_S9_S9_S9_S9_EEEEPSB_SM_NS0_5tupleIJNSE_INS8_ISJ_NS7_16discard_iteratorINS7_11use_defaultEEES9_S9_S9_S9_S9_S9_S9_S9_EEEESB_EEENSN_IJSM_SM_EEESB_PlJNSF_9not_fun_tINSF_14equal_to_valueISA_EEEEEEE10hipError_tPvRmT3_T4_T5_T6_T7_T9_mT8_P12ihipStream_tbDpT10_ENKUlT_T0_E_clISt17integral_constantIbLb0EES1J_EEDaS1E_S1F_EUlS1E_E_NS1_11comp_targetILNS1_3genE5ELNS1_11target_archE942ELNS1_3gpuE9ELNS1_3repE0EEENS1_30default_config_static_selectorELNS0_4arch9wavefront6targetE0EEEvT1_ ; -- Begin function _ZN7rocprim17ROCPRIM_400000_NS6detail17trampoline_kernelINS0_14default_configENS1_25partition_config_selectorILNS1_17partition_subalgoE6EN6thrust23THRUST_200600_302600_NS5tupleIffNS7_9null_typeES9_S9_S9_S9_S9_S9_S9_EENS0_10empty_typeEbEEZZNS1_14partition_implILS5_6ELb0ES3_mNS7_12zip_iteratorINS8_INS7_6detail15normal_iteratorINS7_10device_ptrIfEEEESJ_S9_S9_S9_S9_S9_S9_S9_S9_EEEEPSB_SM_NS0_5tupleIJNSE_INS8_ISJ_NS7_16discard_iteratorINS7_11use_defaultEEES9_S9_S9_S9_S9_S9_S9_S9_EEEESB_EEENSN_IJSM_SM_EEESB_PlJNSF_9not_fun_tINSF_14equal_to_valueISA_EEEEEEE10hipError_tPvRmT3_T4_T5_T6_T7_T9_mT8_P12ihipStream_tbDpT10_ENKUlT_T0_E_clISt17integral_constantIbLb0EES1J_EEDaS1E_S1F_EUlS1E_E_NS1_11comp_targetILNS1_3genE5ELNS1_11target_archE942ELNS1_3gpuE9ELNS1_3repE0EEENS1_30default_config_static_selectorELNS0_4arch9wavefront6targetE0EEEvT1_
	.globl	_ZN7rocprim17ROCPRIM_400000_NS6detail17trampoline_kernelINS0_14default_configENS1_25partition_config_selectorILNS1_17partition_subalgoE6EN6thrust23THRUST_200600_302600_NS5tupleIffNS7_9null_typeES9_S9_S9_S9_S9_S9_S9_EENS0_10empty_typeEbEEZZNS1_14partition_implILS5_6ELb0ES3_mNS7_12zip_iteratorINS8_INS7_6detail15normal_iteratorINS7_10device_ptrIfEEEESJ_S9_S9_S9_S9_S9_S9_S9_S9_EEEEPSB_SM_NS0_5tupleIJNSE_INS8_ISJ_NS7_16discard_iteratorINS7_11use_defaultEEES9_S9_S9_S9_S9_S9_S9_S9_EEEESB_EEENSN_IJSM_SM_EEESB_PlJNSF_9not_fun_tINSF_14equal_to_valueISA_EEEEEEE10hipError_tPvRmT3_T4_T5_T6_T7_T9_mT8_P12ihipStream_tbDpT10_ENKUlT_T0_E_clISt17integral_constantIbLb0EES1J_EEDaS1E_S1F_EUlS1E_E_NS1_11comp_targetILNS1_3genE5ELNS1_11target_archE942ELNS1_3gpuE9ELNS1_3repE0EEENS1_30default_config_static_selectorELNS0_4arch9wavefront6targetE0EEEvT1_
	.p2align	8
	.type	_ZN7rocprim17ROCPRIM_400000_NS6detail17trampoline_kernelINS0_14default_configENS1_25partition_config_selectorILNS1_17partition_subalgoE6EN6thrust23THRUST_200600_302600_NS5tupleIffNS7_9null_typeES9_S9_S9_S9_S9_S9_S9_EENS0_10empty_typeEbEEZZNS1_14partition_implILS5_6ELb0ES3_mNS7_12zip_iteratorINS8_INS7_6detail15normal_iteratorINS7_10device_ptrIfEEEESJ_S9_S9_S9_S9_S9_S9_S9_S9_EEEEPSB_SM_NS0_5tupleIJNSE_INS8_ISJ_NS7_16discard_iteratorINS7_11use_defaultEEES9_S9_S9_S9_S9_S9_S9_S9_EEEESB_EEENSN_IJSM_SM_EEESB_PlJNSF_9not_fun_tINSF_14equal_to_valueISA_EEEEEEE10hipError_tPvRmT3_T4_T5_T6_T7_T9_mT8_P12ihipStream_tbDpT10_ENKUlT_T0_E_clISt17integral_constantIbLb0EES1J_EEDaS1E_S1F_EUlS1E_E_NS1_11comp_targetILNS1_3genE5ELNS1_11target_archE942ELNS1_3gpuE9ELNS1_3repE0EEENS1_30default_config_static_selectorELNS0_4arch9wavefront6targetE0EEEvT1_,@function
_ZN7rocprim17ROCPRIM_400000_NS6detail17trampoline_kernelINS0_14default_configENS1_25partition_config_selectorILNS1_17partition_subalgoE6EN6thrust23THRUST_200600_302600_NS5tupleIffNS7_9null_typeES9_S9_S9_S9_S9_S9_S9_EENS0_10empty_typeEbEEZZNS1_14partition_implILS5_6ELb0ES3_mNS7_12zip_iteratorINS8_INS7_6detail15normal_iteratorINS7_10device_ptrIfEEEESJ_S9_S9_S9_S9_S9_S9_S9_S9_EEEEPSB_SM_NS0_5tupleIJNSE_INS8_ISJ_NS7_16discard_iteratorINS7_11use_defaultEEES9_S9_S9_S9_S9_S9_S9_S9_EEEESB_EEENSN_IJSM_SM_EEESB_PlJNSF_9not_fun_tINSF_14equal_to_valueISA_EEEEEEE10hipError_tPvRmT3_T4_T5_T6_T7_T9_mT8_P12ihipStream_tbDpT10_ENKUlT_T0_E_clISt17integral_constantIbLb0EES1J_EEDaS1E_S1F_EUlS1E_E_NS1_11comp_targetILNS1_3genE5ELNS1_11target_archE942ELNS1_3gpuE9ELNS1_3repE0EEENS1_30default_config_static_selectorELNS0_4arch9wavefront6targetE0EEEvT1_: ; @_ZN7rocprim17ROCPRIM_400000_NS6detail17trampoline_kernelINS0_14default_configENS1_25partition_config_selectorILNS1_17partition_subalgoE6EN6thrust23THRUST_200600_302600_NS5tupleIffNS7_9null_typeES9_S9_S9_S9_S9_S9_S9_EENS0_10empty_typeEbEEZZNS1_14partition_implILS5_6ELb0ES3_mNS7_12zip_iteratorINS8_INS7_6detail15normal_iteratorINS7_10device_ptrIfEEEESJ_S9_S9_S9_S9_S9_S9_S9_S9_EEEEPSB_SM_NS0_5tupleIJNSE_INS8_ISJ_NS7_16discard_iteratorINS7_11use_defaultEEES9_S9_S9_S9_S9_S9_S9_S9_EEEESB_EEENSN_IJSM_SM_EEESB_PlJNSF_9not_fun_tINSF_14equal_to_valueISA_EEEEEEE10hipError_tPvRmT3_T4_T5_T6_T7_T9_mT8_P12ihipStream_tbDpT10_ENKUlT_T0_E_clISt17integral_constantIbLb0EES1J_EEDaS1E_S1F_EUlS1E_E_NS1_11comp_targetILNS1_3genE5ELNS1_11target_archE942ELNS1_3gpuE9ELNS1_3repE0EEENS1_30default_config_static_selectorELNS0_4arch9wavefront6targetE0EEEvT1_
; %bb.0:
	.section	.rodata,"a",@progbits
	.p2align	6, 0x0
	.amdhsa_kernel _ZN7rocprim17ROCPRIM_400000_NS6detail17trampoline_kernelINS0_14default_configENS1_25partition_config_selectorILNS1_17partition_subalgoE6EN6thrust23THRUST_200600_302600_NS5tupleIffNS7_9null_typeES9_S9_S9_S9_S9_S9_S9_EENS0_10empty_typeEbEEZZNS1_14partition_implILS5_6ELb0ES3_mNS7_12zip_iteratorINS8_INS7_6detail15normal_iteratorINS7_10device_ptrIfEEEESJ_S9_S9_S9_S9_S9_S9_S9_S9_EEEEPSB_SM_NS0_5tupleIJNSE_INS8_ISJ_NS7_16discard_iteratorINS7_11use_defaultEEES9_S9_S9_S9_S9_S9_S9_S9_EEEESB_EEENSN_IJSM_SM_EEESB_PlJNSF_9not_fun_tINSF_14equal_to_valueISA_EEEEEEE10hipError_tPvRmT3_T4_T5_T6_T7_T9_mT8_P12ihipStream_tbDpT10_ENKUlT_T0_E_clISt17integral_constantIbLb0EES1J_EEDaS1E_S1F_EUlS1E_E_NS1_11comp_targetILNS1_3genE5ELNS1_11target_archE942ELNS1_3gpuE9ELNS1_3repE0EEENS1_30default_config_static_selectorELNS0_4arch9wavefront6targetE0EEEvT1_
		.amdhsa_group_segment_fixed_size 0
		.amdhsa_private_segment_fixed_size 0
		.amdhsa_kernarg_size 144
		.amdhsa_user_sgpr_count 2
		.amdhsa_user_sgpr_dispatch_ptr 0
		.amdhsa_user_sgpr_queue_ptr 0
		.amdhsa_user_sgpr_kernarg_segment_ptr 1
		.amdhsa_user_sgpr_dispatch_id 0
		.amdhsa_user_sgpr_private_segment_size 0
		.amdhsa_wavefront_size32 1
		.amdhsa_uses_dynamic_stack 0
		.amdhsa_enable_private_segment 0
		.amdhsa_system_sgpr_workgroup_id_x 1
		.amdhsa_system_sgpr_workgroup_id_y 0
		.amdhsa_system_sgpr_workgroup_id_z 0
		.amdhsa_system_sgpr_workgroup_info 0
		.amdhsa_system_vgpr_workitem_id 0
		.amdhsa_next_free_vgpr 1
		.amdhsa_next_free_sgpr 1
		.amdhsa_reserve_vcc 0
		.amdhsa_float_round_mode_32 0
		.amdhsa_float_round_mode_16_64 0
		.amdhsa_float_denorm_mode_32 3
		.amdhsa_float_denorm_mode_16_64 3
		.amdhsa_fp16_overflow 0
		.amdhsa_workgroup_processor_mode 1
		.amdhsa_memory_ordered 1
		.amdhsa_forward_progress 1
		.amdhsa_inst_pref_size 0
		.amdhsa_round_robin_scheduling 0
		.amdhsa_exception_fp_ieee_invalid_op 0
		.amdhsa_exception_fp_denorm_src 0
		.amdhsa_exception_fp_ieee_div_zero 0
		.amdhsa_exception_fp_ieee_overflow 0
		.amdhsa_exception_fp_ieee_underflow 0
		.amdhsa_exception_fp_ieee_inexact 0
		.amdhsa_exception_int_div_zero 0
	.end_amdhsa_kernel
	.section	.text._ZN7rocprim17ROCPRIM_400000_NS6detail17trampoline_kernelINS0_14default_configENS1_25partition_config_selectorILNS1_17partition_subalgoE6EN6thrust23THRUST_200600_302600_NS5tupleIffNS7_9null_typeES9_S9_S9_S9_S9_S9_S9_EENS0_10empty_typeEbEEZZNS1_14partition_implILS5_6ELb0ES3_mNS7_12zip_iteratorINS8_INS7_6detail15normal_iteratorINS7_10device_ptrIfEEEESJ_S9_S9_S9_S9_S9_S9_S9_S9_EEEEPSB_SM_NS0_5tupleIJNSE_INS8_ISJ_NS7_16discard_iteratorINS7_11use_defaultEEES9_S9_S9_S9_S9_S9_S9_S9_EEEESB_EEENSN_IJSM_SM_EEESB_PlJNSF_9not_fun_tINSF_14equal_to_valueISA_EEEEEEE10hipError_tPvRmT3_T4_T5_T6_T7_T9_mT8_P12ihipStream_tbDpT10_ENKUlT_T0_E_clISt17integral_constantIbLb0EES1J_EEDaS1E_S1F_EUlS1E_E_NS1_11comp_targetILNS1_3genE5ELNS1_11target_archE942ELNS1_3gpuE9ELNS1_3repE0EEENS1_30default_config_static_selectorELNS0_4arch9wavefront6targetE0EEEvT1_,"axG",@progbits,_ZN7rocprim17ROCPRIM_400000_NS6detail17trampoline_kernelINS0_14default_configENS1_25partition_config_selectorILNS1_17partition_subalgoE6EN6thrust23THRUST_200600_302600_NS5tupleIffNS7_9null_typeES9_S9_S9_S9_S9_S9_S9_EENS0_10empty_typeEbEEZZNS1_14partition_implILS5_6ELb0ES3_mNS7_12zip_iteratorINS8_INS7_6detail15normal_iteratorINS7_10device_ptrIfEEEESJ_S9_S9_S9_S9_S9_S9_S9_S9_EEEEPSB_SM_NS0_5tupleIJNSE_INS8_ISJ_NS7_16discard_iteratorINS7_11use_defaultEEES9_S9_S9_S9_S9_S9_S9_S9_EEEESB_EEENSN_IJSM_SM_EEESB_PlJNSF_9not_fun_tINSF_14equal_to_valueISA_EEEEEEE10hipError_tPvRmT3_T4_T5_T6_T7_T9_mT8_P12ihipStream_tbDpT10_ENKUlT_T0_E_clISt17integral_constantIbLb0EES1J_EEDaS1E_S1F_EUlS1E_E_NS1_11comp_targetILNS1_3genE5ELNS1_11target_archE942ELNS1_3gpuE9ELNS1_3repE0EEENS1_30default_config_static_selectorELNS0_4arch9wavefront6targetE0EEEvT1_,comdat
.Lfunc_end1854:
	.size	_ZN7rocprim17ROCPRIM_400000_NS6detail17trampoline_kernelINS0_14default_configENS1_25partition_config_selectorILNS1_17partition_subalgoE6EN6thrust23THRUST_200600_302600_NS5tupleIffNS7_9null_typeES9_S9_S9_S9_S9_S9_S9_EENS0_10empty_typeEbEEZZNS1_14partition_implILS5_6ELb0ES3_mNS7_12zip_iteratorINS8_INS7_6detail15normal_iteratorINS7_10device_ptrIfEEEESJ_S9_S9_S9_S9_S9_S9_S9_S9_EEEEPSB_SM_NS0_5tupleIJNSE_INS8_ISJ_NS7_16discard_iteratorINS7_11use_defaultEEES9_S9_S9_S9_S9_S9_S9_S9_EEEESB_EEENSN_IJSM_SM_EEESB_PlJNSF_9not_fun_tINSF_14equal_to_valueISA_EEEEEEE10hipError_tPvRmT3_T4_T5_T6_T7_T9_mT8_P12ihipStream_tbDpT10_ENKUlT_T0_E_clISt17integral_constantIbLb0EES1J_EEDaS1E_S1F_EUlS1E_E_NS1_11comp_targetILNS1_3genE5ELNS1_11target_archE942ELNS1_3gpuE9ELNS1_3repE0EEENS1_30default_config_static_selectorELNS0_4arch9wavefront6targetE0EEEvT1_, .Lfunc_end1854-_ZN7rocprim17ROCPRIM_400000_NS6detail17trampoline_kernelINS0_14default_configENS1_25partition_config_selectorILNS1_17partition_subalgoE6EN6thrust23THRUST_200600_302600_NS5tupleIffNS7_9null_typeES9_S9_S9_S9_S9_S9_S9_EENS0_10empty_typeEbEEZZNS1_14partition_implILS5_6ELb0ES3_mNS7_12zip_iteratorINS8_INS7_6detail15normal_iteratorINS7_10device_ptrIfEEEESJ_S9_S9_S9_S9_S9_S9_S9_S9_EEEEPSB_SM_NS0_5tupleIJNSE_INS8_ISJ_NS7_16discard_iteratorINS7_11use_defaultEEES9_S9_S9_S9_S9_S9_S9_S9_EEEESB_EEENSN_IJSM_SM_EEESB_PlJNSF_9not_fun_tINSF_14equal_to_valueISA_EEEEEEE10hipError_tPvRmT3_T4_T5_T6_T7_T9_mT8_P12ihipStream_tbDpT10_ENKUlT_T0_E_clISt17integral_constantIbLb0EES1J_EEDaS1E_S1F_EUlS1E_E_NS1_11comp_targetILNS1_3genE5ELNS1_11target_archE942ELNS1_3gpuE9ELNS1_3repE0EEENS1_30default_config_static_selectorELNS0_4arch9wavefront6targetE0EEEvT1_
                                        ; -- End function
	.set _ZN7rocprim17ROCPRIM_400000_NS6detail17trampoline_kernelINS0_14default_configENS1_25partition_config_selectorILNS1_17partition_subalgoE6EN6thrust23THRUST_200600_302600_NS5tupleIffNS7_9null_typeES9_S9_S9_S9_S9_S9_S9_EENS0_10empty_typeEbEEZZNS1_14partition_implILS5_6ELb0ES3_mNS7_12zip_iteratorINS8_INS7_6detail15normal_iteratorINS7_10device_ptrIfEEEESJ_S9_S9_S9_S9_S9_S9_S9_S9_EEEEPSB_SM_NS0_5tupleIJNSE_INS8_ISJ_NS7_16discard_iteratorINS7_11use_defaultEEES9_S9_S9_S9_S9_S9_S9_S9_EEEESB_EEENSN_IJSM_SM_EEESB_PlJNSF_9not_fun_tINSF_14equal_to_valueISA_EEEEEEE10hipError_tPvRmT3_T4_T5_T6_T7_T9_mT8_P12ihipStream_tbDpT10_ENKUlT_T0_E_clISt17integral_constantIbLb0EES1J_EEDaS1E_S1F_EUlS1E_E_NS1_11comp_targetILNS1_3genE5ELNS1_11target_archE942ELNS1_3gpuE9ELNS1_3repE0EEENS1_30default_config_static_selectorELNS0_4arch9wavefront6targetE0EEEvT1_.num_vgpr, 0
	.set _ZN7rocprim17ROCPRIM_400000_NS6detail17trampoline_kernelINS0_14default_configENS1_25partition_config_selectorILNS1_17partition_subalgoE6EN6thrust23THRUST_200600_302600_NS5tupleIffNS7_9null_typeES9_S9_S9_S9_S9_S9_S9_EENS0_10empty_typeEbEEZZNS1_14partition_implILS5_6ELb0ES3_mNS7_12zip_iteratorINS8_INS7_6detail15normal_iteratorINS7_10device_ptrIfEEEESJ_S9_S9_S9_S9_S9_S9_S9_S9_EEEEPSB_SM_NS0_5tupleIJNSE_INS8_ISJ_NS7_16discard_iteratorINS7_11use_defaultEEES9_S9_S9_S9_S9_S9_S9_S9_EEEESB_EEENSN_IJSM_SM_EEESB_PlJNSF_9not_fun_tINSF_14equal_to_valueISA_EEEEEEE10hipError_tPvRmT3_T4_T5_T6_T7_T9_mT8_P12ihipStream_tbDpT10_ENKUlT_T0_E_clISt17integral_constantIbLb0EES1J_EEDaS1E_S1F_EUlS1E_E_NS1_11comp_targetILNS1_3genE5ELNS1_11target_archE942ELNS1_3gpuE9ELNS1_3repE0EEENS1_30default_config_static_selectorELNS0_4arch9wavefront6targetE0EEEvT1_.num_agpr, 0
	.set _ZN7rocprim17ROCPRIM_400000_NS6detail17trampoline_kernelINS0_14default_configENS1_25partition_config_selectorILNS1_17partition_subalgoE6EN6thrust23THRUST_200600_302600_NS5tupleIffNS7_9null_typeES9_S9_S9_S9_S9_S9_S9_EENS0_10empty_typeEbEEZZNS1_14partition_implILS5_6ELb0ES3_mNS7_12zip_iteratorINS8_INS7_6detail15normal_iteratorINS7_10device_ptrIfEEEESJ_S9_S9_S9_S9_S9_S9_S9_S9_EEEEPSB_SM_NS0_5tupleIJNSE_INS8_ISJ_NS7_16discard_iteratorINS7_11use_defaultEEES9_S9_S9_S9_S9_S9_S9_S9_EEEESB_EEENSN_IJSM_SM_EEESB_PlJNSF_9not_fun_tINSF_14equal_to_valueISA_EEEEEEE10hipError_tPvRmT3_T4_T5_T6_T7_T9_mT8_P12ihipStream_tbDpT10_ENKUlT_T0_E_clISt17integral_constantIbLb0EES1J_EEDaS1E_S1F_EUlS1E_E_NS1_11comp_targetILNS1_3genE5ELNS1_11target_archE942ELNS1_3gpuE9ELNS1_3repE0EEENS1_30default_config_static_selectorELNS0_4arch9wavefront6targetE0EEEvT1_.numbered_sgpr, 0
	.set _ZN7rocprim17ROCPRIM_400000_NS6detail17trampoline_kernelINS0_14default_configENS1_25partition_config_selectorILNS1_17partition_subalgoE6EN6thrust23THRUST_200600_302600_NS5tupleIffNS7_9null_typeES9_S9_S9_S9_S9_S9_S9_EENS0_10empty_typeEbEEZZNS1_14partition_implILS5_6ELb0ES3_mNS7_12zip_iteratorINS8_INS7_6detail15normal_iteratorINS7_10device_ptrIfEEEESJ_S9_S9_S9_S9_S9_S9_S9_S9_EEEEPSB_SM_NS0_5tupleIJNSE_INS8_ISJ_NS7_16discard_iteratorINS7_11use_defaultEEES9_S9_S9_S9_S9_S9_S9_S9_EEEESB_EEENSN_IJSM_SM_EEESB_PlJNSF_9not_fun_tINSF_14equal_to_valueISA_EEEEEEE10hipError_tPvRmT3_T4_T5_T6_T7_T9_mT8_P12ihipStream_tbDpT10_ENKUlT_T0_E_clISt17integral_constantIbLb0EES1J_EEDaS1E_S1F_EUlS1E_E_NS1_11comp_targetILNS1_3genE5ELNS1_11target_archE942ELNS1_3gpuE9ELNS1_3repE0EEENS1_30default_config_static_selectorELNS0_4arch9wavefront6targetE0EEEvT1_.num_named_barrier, 0
	.set _ZN7rocprim17ROCPRIM_400000_NS6detail17trampoline_kernelINS0_14default_configENS1_25partition_config_selectorILNS1_17partition_subalgoE6EN6thrust23THRUST_200600_302600_NS5tupleIffNS7_9null_typeES9_S9_S9_S9_S9_S9_S9_EENS0_10empty_typeEbEEZZNS1_14partition_implILS5_6ELb0ES3_mNS7_12zip_iteratorINS8_INS7_6detail15normal_iteratorINS7_10device_ptrIfEEEESJ_S9_S9_S9_S9_S9_S9_S9_S9_EEEEPSB_SM_NS0_5tupleIJNSE_INS8_ISJ_NS7_16discard_iteratorINS7_11use_defaultEEES9_S9_S9_S9_S9_S9_S9_S9_EEEESB_EEENSN_IJSM_SM_EEESB_PlJNSF_9not_fun_tINSF_14equal_to_valueISA_EEEEEEE10hipError_tPvRmT3_T4_T5_T6_T7_T9_mT8_P12ihipStream_tbDpT10_ENKUlT_T0_E_clISt17integral_constantIbLb0EES1J_EEDaS1E_S1F_EUlS1E_E_NS1_11comp_targetILNS1_3genE5ELNS1_11target_archE942ELNS1_3gpuE9ELNS1_3repE0EEENS1_30default_config_static_selectorELNS0_4arch9wavefront6targetE0EEEvT1_.private_seg_size, 0
	.set _ZN7rocprim17ROCPRIM_400000_NS6detail17trampoline_kernelINS0_14default_configENS1_25partition_config_selectorILNS1_17partition_subalgoE6EN6thrust23THRUST_200600_302600_NS5tupleIffNS7_9null_typeES9_S9_S9_S9_S9_S9_S9_EENS0_10empty_typeEbEEZZNS1_14partition_implILS5_6ELb0ES3_mNS7_12zip_iteratorINS8_INS7_6detail15normal_iteratorINS7_10device_ptrIfEEEESJ_S9_S9_S9_S9_S9_S9_S9_S9_EEEEPSB_SM_NS0_5tupleIJNSE_INS8_ISJ_NS7_16discard_iteratorINS7_11use_defaultEEES9_S9_S9_S9_S9_S9_S9_S9_EEEESB_EEENSN_IJSM_SM_EEESB_PlJNSF_9not_fun_tINSF_14equal_to_valueISA_EEEEEEE10hipError_tPvRmT3_T4_T5_T6_T7_T9_mT8_P12ihipStream_tbDpT10_ENKUlT_T0_E_clISt17integral_constantIbLb0EES1J_EEDaS1E_S1F_EUlS1E_E_NS1_11comp_targetILNS1_3genE5ELNS1_11target_archE942ELNS1_3gpuE9ELNS1_3repE0EEENS1_30default_config_static_selectorELNS0_4arch9wavefront6targetE0EEEvT1_.uses_vcc, 0
	.set _ZN7rocprim17ROCPRIM_400000_NS6detail17trampoline_kernelINS0_14default_configENS1_25partition_config_selectorILNS1_17partition_subalgoE6EN6thrust23THRUST_200600_302600_NS5tupleIffNS7_9null_typeES9_S9_S9_S9_S9_S9_S9_EENS0_10empty_typeEbEEZZNS1_14partition_implILS5_6ELb0ES3_mNS7_12zip_iteratorINS8_INS7_6detail15normal_iteratorINS7_10device_ptrIfEEEESJ_S9_S9_S9_S9_S9_S9_S9_S9_EEEEPSB_SM_NS0_5tupleIJNSE_INS8_ISJ_NS7_16discard_iteratorINS7_11use_defaultEEES9_S9_S9_S9_S9_S9_S9_S9_EEEESB_EEENSN_IJSM_SM_EEESB_PlJNSF_9not_fun_tINSF_14equal_to_valueISA_EEEEEEE10hipError_tPvRmT3_T4_T5_T6_T7_T9_mT8_P12ihipStream_tbDpT10_ENKUlT_T0_E_clISt17integral_constantIbLb0EES1J_EEDaS1E_S1F_EUlS1E_E_NS1_11comp_targetILNS1_3genE5ELNS1_11target_archE942ELNS1_3gpuE9ELNS1_3repE0EEENS1_30default_config_static_selectorELNS0_4arch9wavefront6targetE0EEEvT1_.uses_flat_scratch, 0
	.set _ZN7rocprim17ROCPRIM_400000_NS6detail17trampoline_kernelINS0_14default_configENS1_25partition_config_selectorILNS1_17partition_subalgoE6EN6thrust23THRUST_200600_302600_NS5tupleIffNS7_9null_typeES9_S9_S9_S9_S9_S9_S9_EENS0_10empty_typeEbEEZZNS1_14partition_implILS5_6ELb0ES3_mNS7_12zip_iteratorINS8_INS7_6detail15normal_iteratorINS7_10device_ptrIfEEEESJ_S9_S9_S9_S9_S9_S9_S9_S9_EEEEPSB_SM_NS0_5tupleIJNSE_INS8_ISJ_NS7_16discard_iteratorINS7_11use_defaultEEES9_S9_S9_S9_S9_S9_S9_S9_EEEESB_EEENSN_IJSM_SM_EEESB_PlJNSF_9not_fun_tINSF_14equal_to_valueISA_EEEEEEE10hipError_tPvRmT3_T4_T5_T6_T7_T9_mT8_P12ihipStream_tbDpT10_ENKUlT_T0_E_clISt17integral_constantIbLb0EES1J_EEDaS1E_S1F_EUlS1E_E_NS1_11comp_targetILNS1_3genE5ELNS1_11target_archE942ELNS1_3gpuE9ELNS1_3repE0EEENS1_30default_config_static_selectorELNS0_4arch9wavefront6targetE0EEEvT1_.has_dyn_sized_stack, 0
	.set _ZN7rocprim17ROCPRIM_400000_NS6detail17trampoline_kernelINS0_14default_configENS1_25partition_config_selectorILNS1_17partition_subalgoE6EN6thrust23THRUST_200600_302600_NS5tupleIffNS7_9null_typeES9_S9_S9_S9_S9_S9_S9_EENS0_10empty_typeEbEEZZNS1_14partition_implILS5_6ELb0ES3_mNS7_12zip_iteratorINS8_INS7_6detail15normal_iteratorINS7_10device_ptrIfEEEESJ_S9_S9_S9_S9_S9_S9_S9_S9_EEEEPSB_SM_NS0_5tupleIJNSE_INS8_ISJ_NS7_16discard_iteratorINS7_11use_defaultEEES9_S9_S9_S9_S9_S9_S9_S9_EEEESB_EEENSN_IJSM_SM_EEESB_PlJNSF_9not_fun_tINSF_14equal_to_valueISA_EEEEEEE10hipError_tPvRmT3_T4_T5_T6_T7_T9_mT8_P12ihipStream_tbDpT10_ENKUlT_T0_E_clISt17integral_constantIbLb0EES1J_EEDaS1E_S1F_EUlS1E_E_NS1_11comp_targetILNS1_3genE5ELNS1_11target_archE942ELNS1_3gpuE9ELNS1_3repE0EEENS1_30default_config_static_selectorELNS0_4arch9wavefront6targetE0EEEvT1_.has_recursion, 0
	.set _ZN7rocprim17ROCPRIM_400000_NS6detail17trampoline_kernelINS0_14default_configENS1_25partition_config_selectorILNS1_17partition_subalgoE6EN6thrust23THRUST_200600_302600_NS5tupleIffNS7_9null_typeES9_S9_S9_S9_S9_S9_S9_EENS0_10empty_typeEbEEZZNS1_14partition_implILS5_6ELb0ES3_mNS7_12zip_iteratorINS8_INS7_6detail15normal_iteratorINS7_10device_ptrIfEEEESJ_S9_S9_S9_S9_S9_S9_S9_S9_EEEEPSB_SM_NS0_5tupleIJNSE_INS8_ISJ_NS7_16discard_iteratorINS7_11use_defaultEEES9_S9_S9_S9_S9_S9_S9_S9_EEEESB_EEENSN_IJSM_SM_EEESB_PlJNSF_9not_fun_tINSF_14equal_to_valueISA_EEEEEEE10hipError_tPvRmT3_T4_T5_T6_T7_T9_mT8_P12ihipStream_tbDpT10_ENKUlT_T0_E_clISt17integral_constantIbLb0EES1J_EEDaS1E_S1F_EUlS1E_E_NS1_11comp_targetILNS1_3genE5ELNS1_11target_archE942ELNS1_3gpuE9ELNS1_3repE0EEENS1_30default_config_static_selectorELNS0_4arch9wavefront6targetE0EEEvT1_.has_indirect_call, 0
	.section	.AMDGPU.csdata,"",@progbits
; Kernel info:
; codeLenInByte = 0
; TotalNumSgprs: 0
; NumVgprs: 0
; ScratchSize: 0
; MemoryBound: 0
; FloatMode: 240
; IeeeMode: 1
; LDSByteSize: 0 bytes/workgroup (compile time only)
; SGPRBlocks: 0
; VGPRBlocks: 0
; NumSGPRsForWavesPerEU: 1
; NumVGPRsForWavesPerEU: 1
; Occupancy: 16
; WaveLimiterHint : 0
; COMPUTE_PGM_RSRC2:SCRATCH_EN: 0
; COMPUTE_PGM_RSRC2:USER_SGPR: 2
; COMPUTE_PGM_RSRC2:TRAP_HANDLER: 0
; COMPUTE_PGM_RSRC2:TGID_X_EN: 1
; COMPUTE_PGM_RSRC2:TGID_Y_EN: 0
; COMPUTE_PGM_RSRC2:TGID_Z_EN: 0
; COMPUTE_PGM_RSRC2:TIDIG_COMP_CNT: 0
	.section	.text._ZN7rocprim17ROCPRIM_400000_NS6detail17trampoline_kernelINS0_14default_configENS1_25partition_config_selectorILNS1_17partition_subalgoE6EN6thrust23THRUST_200600_302600_NS5tupleIffNS7_9null_typeES9_S9_S9_S9_S9_S9_S9_EENS0_10empty_typeEbEEZZNS1_14partition_implILS5_6ELb0ES3_mNS7_12zip_iteratorINS8_INS7_6detail15normal_iteratorINS7_10device_ptrIfEEEESJ_S9_S9_S9_S9_S9_S9_S9_S9_EEEEPSB_SM_NS0_5tupleIJNSE_INS8_ISJ_NS7_16discard_iteratorINS7_11use_defaultEEES9_S9_S9_S9_S9_S9_S9_S9_EEEESB_EEENSN_IJSM_SM_EEESB_PlJNSF_9not_fun_tINSF_14equal_to_valueISA_EEEEEEE10hipError_tPvRmT3_T4_T5_T6_T7_T9_mT8_P12ihipStream_tbDpT10_ENKUlT_T0_E_clISt17integral_constantIbLb0EES1J_EEDaS1E_S1F_EUlS1E_E_NS1_11comp_targetILNS1_3genE4ELNS1_11target_archE910ELNS1_3gpuE8ELNS1_3repE0EEENS1_30default_config_static_selectorELNS0_4arch9wavefront6targetE0EEEvT1_,"axG",@progbits,_ZN7rocprim17ROCPRIM_400000_NS6detail17trampoline_kernelINS0_14default_configENS1_25partition_config_selectorILNS1_17partition_subalgoE6EN6thrust23THRUST_200600_302600_NS5tupleIffNS7_9null_typeES9_S9_S9_S9_S9_S9_S9_EENS0_10empty_typeEbEEZZNS1_14partition_implILS5_6ELb0ES3_mNS7_12zip_iteratorINS8_INS7_6detail15normal_iteratorINS7_10device_ptrIfEEEESJ_S9_S9_S9_S9_S9_S9_S9_S9_EEEEPSB_SM_NS0_5tupleIJNSE_INS8_ISJ_NS7_16discard_iteratorINS7_11use_defaultEEES9_S9_S9_S9_S9_S9_S9_S9_EEEESB_EEENSN_IJSM_SM_EEESB_PlJNSF_9not_fun_tINSF_14equal_to_valueISA_EEEEEEE10hipError_tPvRmT3_T4_T5_T6_T7_T9_mT8_P12ihipStream_tbDpT10_ENKUlT_T0_E_clISt17integral_constantIbLb0EES1J_EEDaS1E_S1F_EUlS1E_E_NS1_11comp_targetILNS1_3genE4ELNS1_11target_archE910ELNS1_3gpuE8ELNS1_3repE0EEENS1_30default_config_static_selectorELNS0_4arch9wavefront6targetE0EEEvT1_,comdat
	.protected	_ZN7rocprim17ROCPRIM_400000_NS6detail17trampoline_kernelINS0_14default_configENS1_25partition_config_selectorILNS1_17partition_subalgoE6EN6thrust23THRUST_200600_302600_NS5tupleIffNS7_9null_typeES9_S9_S9_S9_S9_S9_S9_EENS0_10empty_typeEbEEZZNS1_14partition_implILS5_6ELb0ES3_mNS7_12zip_iteratorINS8_INS7_6detail15normal_iteratorINS7_10device_ptrIfEEEESJ_S9_S9_S9_S9_S9_S9_S9_S9_EEEEPSB_SM_NS0_5tupleIJNSE_INS8_ISJ_NS7_16discard_iteratorINS7_11use_defaultEEES9_S9_S9_S9_S9_S9_S9_S9_EEEESB_EEENSN_IJSM_SM_EEESB_PlJNSF_9not_fun_tINSF_14equal_to_valueISA_EEEEEEE10hipError_tPvRmT3_T4_T5_T6_T7_T9_mT8_P12ihipStream_tbDpT10_ENKUlT_T0_E_clISt17integral_constantIbLb0EES1J_EEDaS1E_S1F_EUlS1E_E_NS1_11comp_targetILNS1_3genE4ELNS1_11target_archE910ELNS1_3gpuE8ELNS1_3repE0EEENS1_30default_config_static_selectorELNS0_4arch9wavefront6targetE0EEEvT1_ ; -- Begin function _ZN7rocprim17ROCPRIM_400000_NS6detail17trampoline_kernelINS0_14default_configENS1_25partition_config_selectorILNS1_17partition_subalgoE6EN6thrust23THRUST_200600_302600_NS5tupleIffNS7_9null_typeES9_S9_S9_S9_S9_S9_S9_EENS0_10empty_typeEbEEZZNS1_14partition_implILS5_6ELb0ES3_mNS7_12zip_iteratorINS8_INS7_6detail15normal_iteratorINS7_10device_ptrIfEEEESJ_S9_S9_S9_S9_S9_S9_S9_S9_EEEEPSB_SM_NS0_5tupleIJNSE_INS8_ISJ_NS7_16discard_iteratorINS7_11use_defaultEEES9_S9_S9_S9_S9_S9_S9_S9_EEEESB_EEENSN_IJSM_SM_EEESB_PlJNSF_9not_fun_tINSF_14equal_to_valueISA_EEEEEEE10hipError_tPvRmT3_T4_T5_T6_T7_T9_mT8_P12ihipStream_tbDpT10_ENKUlT_T0_E_clISt17integral_constantIbLb0EES1J_EEDaS1E_S1F_EUlS1E_E_NS1_11comp_targetILNS1_3genE4ELNS1_11target_archE910ELNS1_3gpuE8ELNS1_3repE0EEENS1_30default_config_static_selectorELNS0_4arch9wavefront6targetE0EEEvT1_
	.globl	_ZN7rocprim17ROCPRIM_400000_NS6detail17trampoline_kernelINS0_14default_configENS1_25partition_config_selectorILNS1_17partition_subalgoE6EN6thrust23THRUST_200600_302600_NS5tupleIffNS7_9null_typeES9_S9_S9_S9_S9_S9_S9_EENS0_10empty_typeEbEEZZNS1_14partition_implILS5_6ELb0ES3_mNS7_12zip_iteratorINS8_INS7_6detail15normal_iteratorINS7_10device_ptrIfEEEESJ_S9_S9_S9_S9_S9_S9_S9_S9_EEEEPSB_SM_NS0_5tupleIJNSE_INS8_ISJ_NS7_16discard_iteratorINS7_11use_defaultEEES9_S9_S9_S9_S9_S9_S9_S9_EEEESB_EEENSN_IJSM_SM_EEESB_PlJNSF_9not_fun_tINSF_14equal_to_valueISA_EEEEEEE10hipError_tPvRmT3_T4_T5_T6_T7_T9_mT8_P12ihipStream_tbDpT10_ENKUlT_T0_E_clISt17integral_constantIbLb0EES1J_EEDaS1E_S1F_EUlS1E_E_NS1_11comp_targetILNS1_3genE4ELNS1_11target_archE910ELNS1_3gpuE8ELNS1_3repE0EEENS1_30default_config_static_selectorELNS0_4arch9wavefront6targetE0EEEvT1_
	.p2align	8
	.type	_ZN7rocprim17ROCPRIM_400000_NS6detail17trampoline_kernelINS0_14default_configENS1_25partition_config_selectorILNS1_17partition_subalgoE6EN6thrust23THRUST_200600_302600_NS5tupleIffNS7_9null_typeES9_S9_S9_S9_S9_S9_S9_EENS0_10empty_typeEbEEZZNS1_14partition_implILS5_6ELb0ES3_mNS7_12zip_iteratorINS8_INS7_6detail15normal_iteratorINS7_10device_ptrIfEEEESJ_S9_S9_S9_S9_S9_S9_S9_S9_EEEEPSB_SM_NS0_5tupleIJNSE_INS8_ISJ_NS7_16discard_iteratorINS7_11use_defaultEEES9_S9_S9_S9_S9_S9_S9_S9_EEEESB_EEENSN_IJSM_SM_EEESB_PlJNSF_9not_fun_tINSF_14equal_to_valueISA_EEEEEEE10hipError_tPvRmT3_T4_T5_T6_T7_T9_mT8_P12ihipStream_tbDpT10_ENKUlT_T0_E_clISt17integral_constantIbLb0EES1J_EEDaS1E_S1F_EUlS1E_E_NS1_11comp_targetILNS1_3genE4ELNS1_11target_archE910ELNS1_3gpuE8ELNS1_3repE0EEENS1_30default_config_static_selectorELNS0_4arch9wavefront6targetE0EEEvT1_,@function
_ZN7rocprim17ROCPRIM_400000_NS6detail17trampoline_kernelINS0_14default_configENS1_25partition_config_selectorILNS1_17partition_subalgoE6EN6thrust23THRUST_200600_302600_NS5tupleIffNS7_9null_typeES9_S9_S9_S9_S9_S9_S9_EENS0_10empty_typeEbEEZZNS1_14partition_implILS5_6ELb0ES3_mNS7_12zip_iteratorINS8_INS7_6detail15normal_iteratorINS7_10device_ptrIfEEEESJ_S9_S9_S9_S9_S9_S9_S9_S9_EEEEPSB_SM_NS0_5tupleIJNSE_INS8_ISJ_NS7_16discard_iteratorINS7_11use_defaultEEES9_S9_S9_S9_S9_S9_S9_S9_EEEESB_EEENSN_IJSM_SM_EEESB_PlJNSF_9not_fun_tINSF_14equal_to_valueISA_EEEEEEE10hipError_tPvRmT3_T4_T5_T6_T7_T9_mT8_P12ihipStream_tbDpT10_ENKUlT_T0_E_clISt17integral_constantIbLb0EES1J_EEDaS1E_S1F_EUlS1E_E_NS1_11comp_targetILNS1_3genE4ELNS1_11target_archE910ELNS1_3gpuE8ELNS1_3repE0EEENS1_30default_config_static_selectorELNS0_4arch9wavefront6targetE0EEEvT1_: ; @_ZN7rocprim17ROCPRIM_400000_NS6detail17trampoline_kernelINS0_14default_configENS1_25partition_config_selectorILNS1_17partition_subalgoE6EN6thrust23THRUST_200600_302600_NS5tupleIffNS7_9null_typeES9_S9_S9_S9_S9_S9_S9_EENS0_10empty_typeEbEEZZNS1_14partition_implILS5_6ELb0ES3_mNS7_12zip_iteratorINS8_INS7_6detail15normal_iteratorINS7_10device_ptrIfEEEESJ_S9_S9_S9_S9_S9_S9_S9_S9_EEEEPSB_SM_NS0_5tupleIJNSE_INS8_ISJ_NS7_16discard_iteratorINS7_11use_defaultEEES9_S9_S9_S9_S9_S9_S9_S9_EEEESB_EEENSN_IJSM_SM_EEESB_PlJNSF_9not_fun_tINSF_14equal_to_valueISA_EEEEEEE10hipError_tPvRmT3_T4_T5_T6_T7_T9_mT8_P12ihipStream_tbDpT10_ENKUlT_T0_E_clISt17integral_constantIbLb0EES1J_EEDaS1E_S1F_EUlS1E_E_NS1_11comp_targetILNS1_3genE4ELNS1_11target_archE910ELNS1_3gpuE8ELNS1_3repE0EEENS1_30default_config_static_selectorELNS0_4arch9wavefront6targetE0EEEvT1_
; %bb.0:
	.section	.rodata,"a",@progbits
	.p2align	6, 0x0
	.amdhsa_kernel _ZN7rocprim17ROCPRIM_400000_NS6detail17trampoline_kernelINS0_14default_configENS1_25partition_config_selectorILNS1_17partition_subalgoE6EN6thrust23THRUST_200600_302600_NS5tupleIffNS7_9null_typeES9_S9_S9_S9_S9_S9_S9_EENS0_10empty_typeEbEEZZNS1_14partition_implILS5_6ELb0ES3_mNS7_12zip_iteratorINS8_INS7_6detail15normal_iteratorINS7_10device_ptrIfEEEESJ_S9_S9_S9_S9_S9_S9_S9_S9_EEEEPSB_SM_NS0_5tupleIJNSE_INS8_ISJ_NS7_16discard_iteratorINS7_11use_defaultEEES9_S9_S9_S9_S9_S9_S9_S9_EEEESB_EEENSN_IJSM_SM_EEESB_PlJNSF_9not_fun_tINSF_14equal_to_valueISA_EEEEEEE10hipError_tPvRmT3_T4_T5_T6_T7_T9_mT8_P12ihipStream_tbDpT10_ENKUlT_T0_E_clISt17integral_constantIbLb0EES1J_EEDaS1E_S1F_EUlS1E_E_NS1_11comp_targetILNS1_3genE4ELNS1_11target_archE910ELNS1_3gpuE8ELNS1_3repE0EEENS1_30default_config_static_selectorELNS0_4arch9wavefront6targetE0EEEvT1_
		.amdhsa_group_segment_fixed_size 0
		.amdhsa_private_segment_fixed_size 0
		.amdhsa_kernarg_size 144
		.amdhsa_user_sgpr_count 2
		.amdhsa_user_sgpr_dispatch_ptr 0
		.amdhsa_user_sgpr_queue_ptr 0
		.amdhsa_user_sgpr_kernarg_segment_ptr 1
		.amdhsa_user_sgpr_dispatch_id 0
		.amdhsa_user_sgpr_private_segment_size 0
		.amdhsa_wavefront_size32 1
		.amdhsa_uses_dynamic_stack 0
		.amdhsa_enable_private_segment 0
		.amdhsa_system_sgpr_workgroup_id_x 1
		.amdhsa_system_sgpr_workgroup_id_y 0
		.amdhsa_system_sgpr_workgroup_id_z 0
		.amdhsa_system_sgpr_workgroup_info 0
		.amdhsa_system_vgpr_workitem_id 0
		.amdhsa_next_free_vgpr 1
		.amdhsa_next_free_sgpr 1
		.amdhsa_reserve_vcc 0
		.amdhsa_float_round_mode_32 0
		.amdhsa_float_round_mode_16_64 0
		.amdhsa_float_denorm_mode_32 3
		.amdhsa_float_denorm_mode_16_64 3
		.amdhsa_fp16_overflow 0
		.amdhsa_workgroup_processor_mode 1
		.amdhsa_memory_ordered 1
		.amdhsa_forward_progress 1
		.amdhsa_inst_pref_size 0
		.amdhsa_round_robin_scheduling 0
		.amdhsa_exception_fp_ieee_invalid_op 0
		.amdhsa_exception_fp_denorm_src 0
		.amdhsa_exception_fp_ieee_div_zero 0
		.amdhsa_exception_fp_ieee_overflow 0
		.amdhsa_exception_fp_ieee_underflow 0
		.amdhsa_exception_fp_ieee_inexact 0
		.amdhsa_exception_int_div_zero 0
	.end_amdhsa_kernel
	.section	.text._ZN7rocprim17ROCPRIM_400000_NS6detail17trampoline_kernelINS0_14default_configENS1_25partition_config_selectorILNS1_17partition_subalgoE6EN6thrust23THRUST_200600_302600_NS5tupleIffNS7_9null_typeES9_S9_S9_S9_S9_S9_S9_EENS0_10empty_typeEbEEZZNS1_14partition_implILS5_6ELb0ES3_mNS7_12zip_iteratorINS8_INS7_6detail15normal_iteratorINS7_10device_ptrIfEEEESJ_S9_S9_S9_S9_S9_S9_S9_S9_EEEEPSB_SM_NS0_5tupleIJNSE_INS8_ISJ_NS7_16discard_iteratorINS7_11use_defaultEEES9_S9_S9_S9_S9_S9_S9_S9_EEEESB_EEENSN_IJSM_SM_EEESB_PlJNSF_9not_fun_tINSF_14equal_to_valueISA_EEEEEEE10hipError_tPvRmT3_T4_T5_T6_T7_T9_mT8_P12ihipStream_tbDpT10_ENKUlT_T0_E_clISt17integral_constantIbLb0EES1J_EEDaS1E_S1F_EUlS1E_E_NS1_11comp_targetILNS1_3genE4ELNS1_11target_archE910ELNS1_3gpuE8ELNS1_3repE0EEENS1_30default_config_static_selectorELNS0_4arch9wavefront6targetE0EEEvT1_,"axG",@progbits,_ZN7rocprim17ROCPRIM_400000_NS6detail17trampoline_kernelINS0_14default_configENS1_25partition_config_selectorILNS1_17partition_subalgoE6EN6thrust23THRUST_200600_302600_NS5tupleIffNS7_9null_typeES9_S9_S9_S9_S9_S9_S9_EENS0_10empty_typeEbEEZZNS1_14partition_implILS5_6ELb0ES3_mNS7_12zip_iteratorINS8_INS7_6detail15normal_iteratorINS7_10device_ptrIfEEEESJ_S9_S9_S9_S9_S9_S9_S9_S9_EEEEPSB_SM_NS0_5tupleIJNSE_INS8_ISJ_NS7_16discard_iteratorINS7_11use_defaultEEES9_S9_S9_S9_S9_S9_S9_S9_EEEESB_EEENSN_IJSM_SM_EEESB_PlJNSF_9not_fun_tINSF_14equal_to_valueISA_EEEEEEE10hipError_tPvRmT3_T4_T5_T6_T7_T9_mT8_P12ihipStream_tbDpT10_ENKUlT_T0_E_clISt17integral_constantIbLb0EES1J_EEDaS1E_S1F_EUlS1E_E_NS1_11comp_targetILNS1_3genE4ELNS1_11target_archE910ELNS1_3gpuE8ELNS1_3repE0EEENS1_30default_config_static_selectorELNS0_4arch9wavefront6targetE0EEEvT1_,comdat
.Lfunc_end1855:
	.size	_ZN7rocprim17ROCPRIM_400000_NS6detail17trampoline_kernelINS0_14default_configENS1_25partition_config_selectorILNS1_17partition_subalgoE6EN6thrust23THRUST_200600_302600_NS5tupleIffNS7_9null_typeES9_S9_S9_S9_S9_S9_S9_EENS0_10empty_typeEbEEZZNS1_14partition_implILS5_6ELb0ES3_mNS7_12zip_iteratorINS8_INS7_6detail15normal_iteratorINS7_10device_ptrIfEEEESJ_S9_S9_S9_S9_S9_S9_S9_S9_EEEEPSB_SM_NS0_5tupleIJNSE_INS8_ISJ_NS7_16discard_iteratorINS7_11use_defaultEEES9_S9_S9_S9_S9_S9_S9_S9_EEEESB_EEENSN_IJSM_SM_EEESB_PlJNSF_9not_fun_tINSF_14equal_to_valueISA_EEEEEEE10hipError_tPvRmT3_T4_T5_T6_T7_T9_mT8_P12ihipStream_tbDpT10_ENKUlT_T0_E_clISt17integral_constantIbLb0EES1J_EEDaS1E_S1F_EUlS1E_E_NS1_11comp_targetILNS1_3genE4ELNS1_11target_archE910ELNS1_3gpuE8ELNS1_3repE0EEENS1_30default_config_static_selectorELNS0_4arch9wavefront6targetE0EEEvT1_, .Lfunc_end1855-_ZN7rocprim17ROCPRIM_400000_NS6detail17trampoline_kernelINS0_14default_configENS1_25partition_config_selectorILNS1_17partition_subalgoE6EN6thrust23THRUST_200600_302600_NS5tupleIffNS7_9null_typeES9_S9_S9_S9_S9_S9_S9_EENS0_10empty_typeEbEEZZNS1_14partition_implILS5_6ELb0ES3_mNS7_12zip_iteratorINS8_INS7_6detail15normal_iteratorINS7_10device_ptrIfEEEESJ_S9_S9_S9_S9_S9_S9_S9_S9_EEEEPSB_SM_NS0_5tupleIJNSE_INS8_ISJ_NS7_16discard_iteratorINS7_11use_defaultEEES9_S9_S9_S9_S9_S9_S9_S9_EEEESB_EEENSN_IJSM_SM_EEESB_PlJNSF_9not_fun_tINSF_14equal_to_valueISA_EEEEEEE10hipError_tPvRmT3_T4_T5_T6_T7_T9_mT8_P12ihipStream_tbDpT10_ENKUlT_T0_E_clISt17integral_constantIbLb0EES1J_EEDaS1E_S1F_EUlS1E_E_NS1_11comp_targetILNS1_3genE4ELNS1_11target_archE910ELNS1_3gpuE8ELNS1_3repE0EEENS1_30default_config_static_selectorELNS0_4arch9wavefront6targetE0EEEvT1_
                                        ; -- End function
	.set _ZN7rocprim17ROCPRIM_400000_NS6detail17trampoline_kernelINS0_14default_configENS1_25partition_config_selectorILNS1_17partition_subalgoE6EN6thrust23THRUST_200600_302600_NS5tupleIffNS7_9null_typeES9_S9_S9_S9_S9_S9_S9_EENS0_10empty_typeEbEEZZNS1_14partition_implILS5_6ELb0ES3_mNS7_12zip_iteratorINS8_INS7_6detail15normal_iteratorINS7_10device_ptrIfEEEESJ_S9_S9_S9_S9_S9_S9_S9_S9_EEEEPSB_SM_NS0_5tupleIJNSE_INS8_ISJ_NS7_16discard_iteratorINS7_11use_defaultEEES9_S9_S9_S9_S9_S9_S9_S9_EEEESB_EEENSN_IJSM_SM_EEESB_PlJNSF_9not_fun_tINSF_14equal_to_valueISA_EEEEEEE10hipError_tPvRmT3_T4_T5_T6_T7_T9_mT8_P12ihipStream_tbDpT10_ENKUlT_T0_E_clISt17integral_constantIbLb0EES1J_EEDaS1E_S1F_EUlS1E_E_NS1_11comp_targetILNS1_3genE4ELNS1_11target_archE910ELNS1_3gpuE8ELNS1_3repE0EEENS1_30default_config_static_selectorELNS0_4arch9wavefront6targetE0EEEvT1_.num_vgpr, 0
	.set _ZN7rocprim17ROCPRIM_400000_NS6detail17trampoline_kernelINS0_14default_configENS1_25partition_config_selectorILNS1_17partition_subalgoE6EN6thrust23THRUST_200600_302600_NS5tupleIffNS7_9null_typeES9_S9_S9_S9_S9_S9_S9_EENS0_10empty_typeEbEEZZNS1_14partition_implILS5_6ELb0ES3_mNS7_12zip_iteratorINS8_INS7_6detail15normal_iteratorINS7_10device_ptrIfEEEESJ_S9_S9_S9_S9_S9_S9_S9_S9_EEEEPSB_SM_NS0_5tupleIJNSE_INS8_ISJ_NS7_16discard_iteratorINS7_11use_defaultEEES9_S9_S9_S9_S9_S9_S9_S9_EEEESB_EEENSN_IJSM_SM_EEESB_PlJNSF_9not_fun_tINSF_14equal_to_valueISA_EEEEEEE10hipError_tPvRmT3_T4_T5_T6_T7_T9_mT8_P12ihipStream_tbDpT10_ENKUlT_T0_E_clISt17integral_constantIbLb0EES1J_EEDaS1E_S1F_EUlS1E_E_NS1_11comp_targetILNS1_3genE4ELNS1_11target_archE910ELNS1_3gpuE8ELNS1_3repE0EEENS1_30default_config_static_selectorELNS0_4arch9wavefront6targetE0EEEvT1_.num_agpr, 0
	.set _ZN7rocprim17ROCPRIM_400000_NS6detail17trampoline_kernelINS0_14default_configENS1_25partition_config_selectorILNS1_17partition_subalgoE6EN6thrust23THRUST_200600_302600_NS5tupleIffNS7_9null_typeES9_S9_S9_S9_S9_S9_S9_EENS0_10empty_typeEbEEZZNS1_14partition_implILS5_6ELb0ES3_mNS7_12zip_iteratorINS8_INS7_6detail15normal_iteratorINS7_10device_ptrIfEEEESJ_S9_S9_S9_S9_S9_S9_S9_S9_EEEEPSB_SM_NS0_5tupleIJNSE_INS8_ISJ_NS7_16discard_iteratorINS7_11use_defaultEEES9_S9_S9_S9_S9_S9_S9_S9_EEEESB_EEENSN_IJSM_SM_EEESB_PlJNSF_9not_fun_tINSF_14equal_to_valueISA_EEEEEEE10hipError_tPvRmT3_T4_T5_T6_T7_T9_mT8_P12ihipStream_tbDpT10_ENKUlT_T0_E_clISt17integral_constantIbLb0EES1J_EEDaS1E_S1F_EUlS1E_E_NS1_11comp_targetILNS1_3genE4ELNS1_11target_archE910ELNS1_3gpuE8ELNS1_3repE0EEENS1_30default_config_static_selectorELNS0_4arch9wavefront6targetE0EEEvT1_.numbered_sgpr, 0
	.set _ZN7rocprim17ROCPRIM_400000_NS6detail17trampoline_kernelINS0_14default_configENS1_25partition_config_selectorILNS1_17partition_subalgoE6EN6thrust23THRUST_200600_302600_NS5tupleIffNS7_9null_typeES9_S9_S9_S9_S9_S9_S9_EENS0_10empty_typeEbEEZZNS1_14partition_implILS5_6ELb0ES3_mNS7_12zip_iteratorINS8_INS7_6detail15normal_iteratorINS7_10device_ptrIfEEEESJ_S9_S9_S9_S9_S9_S9_S9_S9_EEEEPSB_SM_NS0_5tupleIJNSE_INS8_ISJ_NS7_16discard_iteratorINS7_11use_defaultEEES9_S9_S9_S9_S9_S9_S9_S9_EEEESB_EEENSN_IJSM_SM_EEESB_PlJNSF_9not_fun_tINSF_14equal_to_valueISA_EEEEEEE10hipError_tPvRmT3_T4_T5_T6_T7_T9_mT8_P12ihipStream_tbDpT10_ENKUlT_T0_E_clISt17integral_constantIbLb0EES1J_EEDaS1E_S1F_EUlS1E_E_NS1_11comp_targetILNS1_3genE4ELNS1_11target_archE910ELNS1_3gpuE8ELNS1_3repE0EEENS1_30default_config_static_selectorELNS0_4arch9wavefront6targetE0EEEvT1_.num_named_barrier, 0
	.set _ZN7rocprim17ROCPRIM_400000_NS6detail17trampoline_kernelINS0_14default_configENS1_25partition_config_selectorILNS1_17partition_subalgoE6EN6thrust23THRUST_200600_302600_NS5tupleIffNS7_9null_typeES9_S9_S9_S9_S9_S9_S9_EENS0_10empty_typeEbEEZZNS1_14partition_implILS5_6ELb0ES3_mNS7_12zip_iteratorINS8_INS7_6detail15normal_iteratorINS7_10device_ptrIfEEEESJ_S9_S9_S9_S9_S9_S9_S9_S9_EEEEPSB_SM_NS0_5tupleIJNSE_INS8_ISJ_NS7_16discard_iteratorINS7_11use_defaultEEES9_S9_S9_S9_S9_S9_S9_S9_EEEESB_EEENSN_IJSM_SM_EEESB_PlJNSF_9not_fun_tINSF_14equal_to_valueISA_EEEEEEE10hipError_tPvRmT3_T4_T5_T6_T7_T9_mT8_P12ihipStream_tbDpT10_ENKUlT_T0_E_clISt17integral_constantIbLb0EES1J_EEDaS1E_S1F_EUlS1E_E_NS1_11comp_targetILNS1_3genE4ELNS1_11target_archE910ELNS1_3gpuE8ELNS1_3repE0EEENS1_30default_config_static_selectorELNS0_4arch9wavefront6targetE0EEEvT1_.private_seg_size, 0
	.set _ZN7rocprim17ROCPRIM_400000_NS6detail17trampoline_kernelINS0_14default_configENS1_25partition_config_selectorILNS1_17partition_subalgoE6EN6thrust23THRUST_200600_302600_NS5tupleIffNS7_9null_typeES9_S9_S9_S9_S9_S9_S9_EENS0_10empty_typeEbEEZZNS1_14partition_implILS5_6ELb0ES3_mNS7_12zip_iteratorINS8_INS7_6detail15normal_iteratorINS7_10device_ptrIfEEEESJ_S9_S9_S9_S9_S9_S9_S9_S9_EEEEPSB_SM_NS0_5tupleIJNSE_INS8_ISJ_NS7_16discard_iteratorINS7_11use_defaultEEES9_S9_S9_S9_S9_S9_S9_S9_EEEESB_EEENSN_IJSM_SM_EEESB_PlJNSF_9not_fun_tINSF_14equal_to_valueISA_EEEEEEE10hipError_tPvRmT3_T4_T5_T6_T7_T9_mT8_P12ihipStream_tbDpT10_ENKUlT_T0_E_clISt17integral_constantIbLb0EES1J_EEDaS1E_S1F_EUlS1E_E_NS1_11comp_targetILNS1_3genE4ELNS1_11target_archE910ELNS1_3gpuE8ELNS1_3repE0EEENS1_30default_config_static_selectorELNS0_4arch9wavefront6targetE0EEEvT1_.uses_vcc, 0
	.set _ZN7rocprim17ROCPRIM_400000_NS6detail17trampoline_kernelINS0_14default_configENS1_25partition_config_selectorILNS1_17partition_subalgoE6EN6thrust23THRUST_200600_302600_NS5tupleIffNS7_9null_typeES9_S9_S9_S9_S9_S9_S9_EENS0_10empty_typeEbEEZZNS1_14partition_implILS5_6ELb0ES3_mNS7_12zip_iteratorINS8_INS7_6detail15normal_iteratorINS7_10device_ptrIfEEEESJ_S9_S9_S9_S9_S9_S9_S9_S9_EEEEPSB_SM_NS0_5tupleIJNSE_INS8_ISJ_NS7_16discard_iteratorINS7_11use_defaultEEES9_S9_S9_S9_S9_S9_S9_S9_EEEESB_EEENSN_IJSM_SM_EEESB_PlJNSF_9not_fun_tINSF_14equal_to_valueISA_EEEEEEE10hipError_tPvRmT3_T4_T5_T6_T7_T9_mT8_P12ihipStream_tbDpT10_ENKUlT_T0_E_clISt17integral_constantIbLb0EES1J_EEDaS1E_S1F_EUlS1E_E_NS1_11comp_targetILNS1_3genE4ELNS1_11target_archE910ELNS1_3gpuE8ELNS1_3repE0EEENS1_30default_config_static_selectorELNS0_4arch9wavefront6targetE0EEEvT1_.uses_flat_scratch, 0
	.set _ZN7rocprim17ROCPRIM_400000_NS6detail17trampoline_kernelINS0_14default_configENS1_25partition_config_selectorILNS1_17partition_subalgoE6EN6thrust23THRUST_200600_302600_NS5tupleIffNS7_9null_typeES9_S9_S9_S9_S9_S9_S9_EENS0_10empty_typeEbEEZZNS1_14partition_implILS5_6ELb0ES3_mNS7_12zip_iteratorINS8_INS7_6detail15normal_iteratorINS7_10device_ptrIfEEEESJ_S9_S9_S9_S9_S9_S9_S9_S9_EEEEPSB_SM_NS0_5tupleIJNSE_INS8_ISJ_NS7_16discard_iteratorINS7_11use_defaultEEES9_S9_S9_S9_S9_S9_S9_S9_EEEESB_EEENSN_IJSM_SM_EEESB_PlJNSF_9not_fun_tINSF_14equal_to_valueISA_EEEEEEE10hipError_tPvRmT3_T4_T5_T6_T7_T9_mT8_P12ihipStream_tbDpT10_ENKUlT_T0_E_clISt17integral_constantIbLb0EES1J_EEDaS1E_S1F_EUlS1E_E_NS1_11comp_targetILNS1_3genE4ELNS1_11target_archE910ELNS1_3gpuE8ELNS1_3repE0EEENS1_30default_config_static_selectorELNS0_4arch9wavefront6targetE0EEEvT1_.has_dyn_sized_stack, 0
	.set _ZN7rocprim17ROCPRIM_400000_NS6detail17trampoline_kernelINS0_14default_configENS1_25partition_config_selectorILNS1_17partition_subalgoE6EN6thrust23THRUST_200600_302600_NS5tupleIffNS7_9null_typeES9_S9_S9_S9_S9_S9_S9_EENS0_10empty_typeEbEEZZNS1_14partition_implILS5_6ELb0ES3_mNS7_12zip_iteratorINS8_INS7_6detail15normal_iteratorINS7_10device_ptrIfEEEESJ_S9_S9_S9_S9_S9_S9_S9_S9_EEEEPSB_SM_NS0_5tupleIJNSE_INS8_ISJ_NS7_16discard_iteratorINS7_11use_defaultEEES9_S9_S9_S9_S9_S9_S9_S9_EEEESB_EEENSN_IJSM_SM_EEESB_PlJNSF_9not_fun_tINSF_14equal_to_valueISA_EEEEEEE10hipError_tPvRmT3_T4_T5_T6_T7_T9_mT8_P12ihipStream_tbDpT10_ENKUlT_T0_E_clISt17integral_constantIbLb0EES1J_EEDaS1E_S1F_EUlS1E_E_NS1_11comp_targetILNS1_3genE4ELNS1_11target_archE910ELNS1_3gpuE8ELNS1_3repE0EEENS1_30default_config_static_selectorELNS0_4arch9wavefront6targetE0EEEvT1_.has_recursion, 0
	.set _ZN7rocprim17ROCPRIM_400000_NS6detail17trampoline_kernelINS0_14default_configENS1_25partition_config_selectorILNS1_17partition_subalgoE6EN6thrust23THRUST_200600_302600_NS5tupleIffNS7_9null_typeES9_S9_S9_S9_S9_S9_S9_EENS0_10empty_typeEbEEZZNS1_14partition_implILS5_6ELb0ES3_mNS7_12zip_iteratorINS8_INS7_6detail15normal_iteratorINS7_10device_ptrIfEEEESJ_S9_S9_S9_S9_S9_S9_S9_S9_EEEEPSB_SM_NS0_5tupleIJNSE_INS8_ISJ_NS7_16discard_iteratorINS7_11use_defaultEEES9_S9_S9_S9_S9_S9_S9_S9_EEEESB_EEENSN_IJSM_SM_EEESB_PlJNSF_9not_fun_tINSF_14equal_to_valueISA_EEEEEEE10hipError_tPvRmT3_T4_T5_T6_T7_T9_mT8_P12ihipStream_tbDpT10_ENKUlT_T0_E_clISt17integral_constantIbLb0EES1J_EEDaS1E_S1F_EUlS1E_E_NS1_11comp_targetILNS1_3genE4ELNS1_11target_archE910ELNS1_3gpuE8ELNS1_3repE0EEENS1_30default_config_static_selectorELNS0_4arch9wavefront6targetE0EEEvT1_.has_indirect_call, 0
	.section	.AMDGPU.csdata,"",@progbits
; Kernel info:
; codeLenInByte = 0
; TotalNumSgprs: 0
; NumVgprs: 0
; ScratchSize: 0
; MemoryBound: 0
; FloatMode: 240
; IeeeMode: 1
; LDSByteSize: 0 bytes/workgroup (compile time only)
; SGPRBlocks: 0
; VGPRBlocks: 0
; NumSGPRsForWavesPerEU: 1
; NumVGPRsForWavesPerEU: 1
; Occupancy: 16
; WaveLimiterHint : 0
; COMPUTE_PGM_RSRC2:SCRATCH_EN: 0
; COMPUTE_PGM_RSRC2:USER_SGPR: 2
; COMPUTE_PGM_RSRC2:TRAP_HANDLER: 0
; COMPUTE_PGM_RSRC2:TGID_X_EN: 1
; COMPUTE_PGM_RSRC2:TGID_Y_EN: 0
; COMPUTE_PGM_RSRC2:TGID_Z_EN: 0
; COMPUTE_PGM_RSRC2:TIDIG_COMP_CNT: 0
	.section	.text._ZN7rocprim17ROCPRIM_400000_NS6detail17trampoline_kernelINS0_14default_configENS1_25partition_config_selectorILNS1_17partition_subalgoE6EN6thrust23THRUST_200600_302600_NS5tupleIffNS7_9null_typeES9_S9_S9_S9_S9_S9_S9_EENS0_10empty_typeEbEEZZNS1_14partition_implILS5_6ELb0ES3_mNS7_12zip_iteratorINS8_INS7_6detail15normal_iteratorINS7_10device_ptrIfEEEESJ_S9_S9_S9_S9_S9_S9_S9_S9_EEEEPSB_SM_NS0_5tupleIJNSE_INS8_ISJ_NS7_16discard_iteratorINS7_11use_defaultEEES9_S9_S9_S9_S9_S9_S9_S9_EEEESB_EEENSN_IJSM_SM_EEESB_PlJNSF_9not_fun_tINSF_14equal_to_valueISA_EEEEEEE10hipError_tPvRmT3_T4_T5_T6_T7_T9_mT8_P12ihipStream_tbDpT10_ENKUlT_T0_E_clISt17integral_constantIbLb0EES1J_EEDaS1E_S1F_EUlS1E_E_NS1_11comp_targetILNS1_3genE3ELNS1_11target_archE908ELNS1_3gpuE7ELNS1_3repE0EEENS1_30default_config_static_selectorELNS0_4arch9wavefront6targetE0EEEvT1_,"axG",@progbits,_ZN7rocprim17ROCPRIM_400000_NS6detail17trampoline_kernelINS0_14default_configENS1_25partition_config_selectorILNS1_17partition_subalgoE6EN6thrust23THRUST_200600_302600_NS5tupleIffNS7_9null_typeES9_S9_S9_S9_S9_S9_S9_EENS0_10empty_typeEbEEZZNS1_14partition_implILS5_6ELb0ES3_mNS7_12zip_iteratorINS8_INS7_6detail15normal_iteratorINS7_10device_ptrIfEEEESJ_S9_S9_S9_S9_S9_S9_S9_S9_EEEEPSB_SM_NS0_5tupleIJNSE_INS8_ISJ_NS7_16discard_iteratorINS7_11use_defaultEEES9_S9_S9_S9_S9_S9_S9_S9_EEEESB_EEENSN_IJSM_SM_EEESB_PlJNSF_9not_fun_tINSF_14equal_to_valueISA_EEEEEEE10hipError_tPvRmT3_T4_T5_T6_T7_T9_mT8_P12ihipStream_tbDpT10_ENKUlT_T0_E_clISt17integral_constantIbLb0EES1J_EEDaS1E_S1F_EUlS1E_E_NS1_11comp_targetILNS1_3genE3ELNS1_11target_archE908ELNS1_3gpuE7ELNS1_3repE0EEENS1_30default_config_static_selectorELNS0_4arch9wavefront6targetE0EEEvT1_,comdat
	.protected	_ZN7rocprim17ROCPRIM_400000_NS6detail17trampoline_kernelINS0_14default_configENS1_25partition_config_selectorILNS1_17partition_subalgoE6EN6thrust23THRUST_200600_302600_NS5tupleIffNS7_9null_typeES9_S9_S9_S9_S9_S9_S9_EENS0_10empty_typeEbEEZZNS1_14partition_implILS5_6ELb0ES3_mNS7_12zip_iteratorINS8_INS7_6detail15normal_iteratorINS7_10device_ptrIfEEEESJ_S9_S9_S9_S9_S9_S9_S9_S9_EEEEPSB_SM_NS0_5tupleIJNSE_INS8_ISJ_NS7_16discard_iteratorINS7_11use_defaultEEES9_S9_S9_S9_S9_S9_S9_S9_EEEESB_EEENSN_IJSM_SM_EEESB_PlJNSF_9not_fun_tINSF_14equal_to_valueISA_EEEEEEE10hipError_tPvRmT3_T4_T5_T6_T7_T9_mT8_P12ihipStream_tbDpT10_ENKUlT_T0_E_clISt17integral_constantIbLb0EES1J_EEDaS1E_S1F_EUlS1E_E_NS1_11comp_targetILNS1_3genE3ELNS1_11target_archE908ELNS1_3gpuE7ELNS1_3repE0EEENS1_30default_config_static_selectorELNS0_4arch9wavefront6targetE0EEEvT1_ ; -- Begin function _ZN7rocprim17ROCPRIM_400000_NS6detail17trampoline_kernelINS0_14default_configENS1_25partition_config_selectorILNS1_17partition_subalgoE6EN6thrust23THRUST_200600_302600_NS5tupleIffNS7_9null_typeES9_S9_S9_S9_S9_S9_S9_EENS0_10empty_typeEbEEZZNS1_14partition_implILS5_6ELb0ES3_mNS7_12zip_iteratorINS8_INS7_6detail15normal_iteratorINS7_10device_ptrIfEEEESJ_S9_S9_S9_S9_S9_S9_S9_S9_EEEEPSB_SM_NS0_5tupleIJNSE_INS8_ISJ_NS7_16discard_iteratorINS7_11use_defaultEEES9_S9_S9_S9_S9_S9_S9_S9_EEEESB_EEENSN_IJSM_SM_EEESB_PlJNSF_9not_fun_tINSF_14equal_to_valueISA_EEEEEEE10hipError_tPvRmT3_T4_T5_T6_T7_T9_mT8_P12ihipStream_tbDpT10_ENKUlT_T0_E_clISt17integral_constantIbLb0EES1J_EEDaS1E_S1F_EUlS1E_E_NS1_11comp_targetILNS1_3genE3ELNS1_11target_archE908ELNS1_3gpuE7ELNS1_3repE0EEENS1_30default_config_static_selectorELNS0_4arch9wavefront6targetE0EEEvT1_
	.globl	_ZN7rocprim17ROCPRIM_400000_NS6detail17trampoline_kernelINS0_14default_configENS1_25partition_config_selectorILNS1_17partition_subalgoE6EN6thrust23THRUST_200600_302600_NS5tupleIffNS7_9null_typeES9_S9_S9_S9_S9_S9_S9_EENS0_10empty_typeEbEEZZNS1_14partition_implILS5_6ELb0ES3_mNS7_12zip_iteratorINS8_INS7_6detail15normal_iteratorINS7_10device_ptrIfEEEESJ_S9_S9_S9_S9_S9_S9_S9_S9_EEEEPSB_SM_NS0_5tupleIJNSE_INS8_ISJ_NS7_16discard_iteratorINS7_11use_defaultEEES9_S9_S9_S9_S9_S9_S9_S9_EEEESB_EEENSN_IJSM_SM_EEESB_PlJNSF_9not_fun_tINSF_14equal_to_valueISA_EEEEEEE10hipError_tPvRmT3_T4_T5_T6_T7_T9_mT8_P12ihipStream_tbDpT10_ENKUlT_T0_E_clISt17integral_constantIbLb0EES1J_EEDaS1E_S1F_EUlS1E_E_NS1_11comp_targetILNS1_3genE3ELNS1_11target_archE908ELNS1_3gpuE7ELNS1_3repE0EEENS1_30default_config_static_selectorELNS0_4arch9wavefront6targetE0EEEvT1_
	.p2align	8
	.type	_ZN7rocprim17ROCPRIM_400000_NS6detail17trampoline_kernelINS0_14default_configENS1_25partition_config_selectorILNS1_17partition_subalgoE6EN6thrust23THRUST_200600_302600_NS5tupleIffNS7_9null_typeES9_S9_S9_S9_S9_S9_S9_EENS0_10empty_typeEbEEZZNS1_14partition_implILS5_6ELb0ES3_mNS7_12zip_iteratorINS8_INS7_6detail15normal_iteratorINS7_10device_ptrIfEEEESJ_S9_S9_S9_S9_S9_S9_S9_S9_EEEEPSB_SM_NS0_5tupleIJNSE_INS8_ISJ_NS7_16discard_iteratorINS7_11use_defaultEEES9_S9_S9_S9_S9_S9_S9_S9_EEEESB_EEENSN_IJSM_SM_EEESB_PlJNSF_9not_fun_tINSF_14equal_to_valueISA_EEEEEEE10hipError_tPvRmT3_T4_T5_T6_T7_T9_mT8_P12ihipStream_tbDpT10_ENKUlT_T0_E_clISt17integral_constantIbLb0EES1J_EEDaS1E_S1F_EUlS1E_E_NS1_11comp_targetILNS1_3genE3ELNS1_11target_archE908ELNS1_3gpuE7ELNS1_3repE0EEENS1_30default_config_static_selectorELNS0_4arch9wavefront6targetE0EEEvT1_,@function
_ZN7rocprim17ROCPRIM_400000_NS6detail17trampoline_kernelINS0_14default_configENS1_25partition_config_selectorILNS1_17partition_subalgoE6EN6thrust23THRUST_200600_302600_NS5tupleIffNS7_9null_typeES9_S9_S9_S9_S9_S9_S9_EENS0_10empty_typeEbEEZZNS1_14partition_implILS5_6ELb0ES3_mNS7_12zip_iteratorINS8_INS7_6detail15normal_iteratorINS7_10device_ptrIfEEEESJ_S9_S9_S9_S9_S9_S9_S9_S9_EEEEPSB_SM_NS0_5tupleIJNSE_INS8_ISJ_NS7_16discard_iteratorINS7_11use_defaultEEES9_S9_S9_S9_S9_S9_S9_S9_EEEESB_EEENSN_IJSM_SM_EEESB_PlJNSF_9not_fun_tINSF_14equal_to_valueISA_EEEEEEE10hipError_tPvRmT3_T4_T5_T6_T7_T9_mT8_P12ihipStream_tbDpT10_ENKUlT_T0_E_clISt17integral_constantIbLb0EES1J_EEDaS1E_S1F_EUlS1E_E_NS1_11comp_targetILNS1_3genE3ELNS1_11target_archE908ELNS1_3gpuE7ELNS1_3repE0EEENS1_30default_config_static_selectorELNS0_4arch9wavefront6targetE0EEEvT1_: ; @_ZN7rocprim17ROCPRIM_400000_NS6detail17trampoline_kernelINS0_14default_configENS1_25partition_config_selectorILNS1_17partition_subalgoE6EN6thrust23THRUST_200600_302600_NS5tupleIffNS7_9null_typeES9_S9_S9_S9_S9_S9_S9_EENS0_10empty_typeEbEEZZNS1_14partition_implILS5_6ELb0ES3_mNS7_12zip_iteratorINS8_INS7_6detail15normal_iteratorINS7_10device_ptrIfEEEESJ_S9_S9_S9_S9_S9_S9_S9_S9_EEEEPSB_SM_NS0_5tupleIJNSE_INS8_ISJ_NS7_16discard_iteratorINS7_11use_defaultEEES9_S9_S9_S9_S9_S9_S9_S9_EEEESB_EEENSN_IJSM_SM_EEESB_PlJNSF_9not_fun_tINSF_14equal_to_valueISA_EEEEEEE10hipError_tPvRmT3_T4_T5_T6_T7_T9_mT8_P12ihipStream_tbDpT10_ENKUlT_T0_E_clISt17integral_constantIbLb0EES1J_EEDaS1E_S1F_EUlS1E_E_NS1_11comp_targetILNS1_3genE3ELNS1_11target_archE908ELNS1_3gpuE7ELNS1_3repE0EEENS1_30default_config_static_selectorELNS0_4arch9wavefront6targetE0EEEvT1_
; %bb.0:
	.section	.rodata,"a",@progbits
	.p2align	6, 0x0
	.amdhsa_kernel _ZN7rocprim17ROCPRIM_400000_NS6detail17trampoline_kernelINS0_14default_configENS1_25partition_config_selectorILNS1_17partition_subalgoE6EN6thrust23THRUST_200600_302600_NS5tupleIffNS7_9null_typeES9_S9_S9_S9_S9_S9_S9_EENS0_10empty_typeEbEEZZNS1_14partition_implILS5_6ELb0ES3_mNS7_12zip_iteratorINS8_INS7_6detail15normal_iteratorINS7_10device_ptrIfEEEESJ_S9_S9_S9_S9_S9_S9_S9_S9_EEEEPSB_SM_NS0_5tupleIJNSE_INS8_ISJ_NS7_16discard_iteratorINS7_11use_defaultEEES9_S9_S9_S9_S9_S9_S9_S9_EEEESB_EEENSN_IJSM_SM_EEESB_PlJNSF_9not_fun_tINSF_14equal_to_valueISA_EEEEEEE10hipError_tPvRmT3_T4_T5_T6_T7_T9_mT8_P12ihipStream_tbDpT10_ENKUlT_T0_E_clISt17integral_constantIbLb0EES1J_EEDaS1E_S1F_EUlS1E_E_NS1_11comp_targetILNS1_3genE3ELNS1_11target_archE908ELNS1_3gpuE7ELNS1_3repE0EEENS1_30default_config_static_selectorELNS0_4arch9wavefront6targetE0EEEvT1_
		.amdhsa_group_segment_fixed_size 0
		.amdhsa_private_segment_fixed_size 0
		.amdhsa_kernarg_size 144
		.amdhsa_user_sgpr_count 2
		.amdhsa_user_sgpr_dispatch_ptr 0
		.amdhsa_user_sgpr_queue_ptr 0
		.amdhsa_user_sgpr_kernarg_segment_ptr 1
		.amdhsa_user_sgpr_dispatch_id 0
		.amdhsa_user_sgpr_private_segment_size 0
		.amdhsa_wavefront_size32 1
		.amdhsa_uses_dynamic_stack 0
		.amdhsa_enable_private_segment 0
		.amdhsa_system_sgpr_workgroup_id_x 1
		.amdhsa_system_sgpr_workgroup_id_y 0
		.amdhsa_system_sgpr_workgroup_id_z 0
		.amdhsa_system_sgpr_workgroup_info 0
		.amdhsa_system_vgpr_workitem_id 0
		.amdhsa_next_free_vgpr 1
		.amdhsa_next_free_sgpr 1
		.amdhsa_reserve_vcc 0
		.amdhsa_float_round_mode_32 0
		.amdhsa_float_round_mode_16_64 0
		.amdhsa_float_denorm_mode_32 3
		.amdhsa_float_denorm_mode_16_64 3
		.amdhsa_fp16_overflow 0
		.amdhsa_workgroup_processor_mode 1
		.amdhsa_memory_ordered 1
		.amdhsa_forward_progress 1
		.amdhsa_inst_pref_size 0
		.amdhsa_round_robin_scheduling 0
		.amdhsa_exception_fp_ieee_invalid_op 0
		.amdhsa_exception_fp_denorm_src 0
		.amdhsa_exception_fp_ieee_div_zero 0
		.amdhsa_exception_fp_ieee_overflow 0
		.amdhsa_exception_fp_ieee_underflow 0
		.amdhsa_exception_fp_ieee_inexact 0
		.amdhsa_exception_int_div_zero 0
	.end_amdhsa_kernel
	.section	.text._ZN7rocprim17ROCPRIM_400000_NS6detail17trampoline_kernelINS0_14default_configENS1_25partition_config_selectorILNS1_17partition_subalgoE6EN6thrust23THRUST_200600_302600_NS5tupleIffNS7_9null_typeES9_S9_S9_S9_S9_S9_S9_EENS0_10empty_typeEbEEZZNS1_14partition_implILS5_6ELb0ES3_mNS7_12zip_iteratorINS8_INS7_6detail15normal_iteratorINS7_10device_ptrIfEEEESJ_S9_S9_S9_S9_S9_S9_S9_S9_EEEEPSB_SM_NS0_5tupleIJNSE_INS8_ISJ_NS7_16discard_iteratorINS7_11use_defaultEEES9_S9_S9_S9_S9_S9_S9_S9_EEEESB_EEENSN_IJSM_SM_EEESB_PlJNSF_9not_fun_tINSF_14equal_to_valueISA_EEEEEEE10hipError_tPvRmT3_T4_T5_T6_T7_T9_mT8_P12ihipStream_tbDpT10_ENKUlT_T0_E_clISt17integral_constantIbLb0EES1J_EEDaS1E_S1F_EUlS1E_E_NS1_11comp_targetILNS1_3genE3ELNS1_11target_archE908ELNS1_3gpuE7ELNS1_3repE0EEENS1_30default_config_static_selectorELNS0_4arch9wavefront6targetE0EEEvT1_,"axG",@progbits,_ZN7rocprim17ROCPRIM_400000_NS6detail17trampoline_kernelINS0_14default_configENS1_25partition_config_selectorILNS1_17partition_subalgoE6EN6thrust23THRUST_200600_302600_NS5tupleIffNS7_9null_typeES9_S9_S9_S9_S9_S9_S9_EENS0_10empty_typeEbEEZZNS1_14partition_implILS5_6ELb0ES3_mNS7_12zip_iteratorINS8_INS7_6detail15normal_iteratorINS7_10device_ptrIfEEEESJ_S9_S9_S9_S9_S9_S9_S9_S9_EEEEPSB_SM_NS0_5tupleIJNSE_INS8_ISJ_NS7_16discard_iteratorINS7_11use_defaultEEES9_S9_S9_S9_S9_S9_S9_S9_EEEESB_EEENSN_IJSM_SM_EEESB_PlJNSF_9not_fun_tINSF_14equal_to_valueISA_EEEEEEE10hipError_tPvRmT3_T4_T5_T6_T7_T9_mT8_P12ihipStream_tbDpT10_ENKUlT_T0_E_clISt17integral_constantIbLb0EES1J_EEDaS1E_S1F_EUlS1E_E_NS1_11comp_targetILNS1_3genE3ELNS1_11target_archE908ELNS1_3gpuE7ELNS1_3repE0EEENS1_30default_config_static_selectorELNS0_4arch9wavefront6targetE0EEEvT1_,comdat
.Lfunc_end1856:
	.size	_ZN7rocprim17ROCPRIM_400000_NS6detail17trampoline_kernelINS0_14default_configENS1_25partition_config_selectorILNS1_17partition_subalgoE6EN6thrust23THRUST_200600_302600_NS5tupleIffNS7_9null_typeES9_S9_S9_S9_S9_S9_S9_EENS0_10empty_typeEbEEZZNS1_14partition_implILS5_6ELb0ES3_mNS7_12zip_iteratorINS8_INS7_6detail15normal_iteratorINS7_10device_ptrIfEEEESJ_S9_S9_S9_S9_S9_S9_S9_S9_EEEEPSB_SM_NS0_5tupleIJNSE_INS8_ISJ_NS7_16discard_iteratorINS7_11use_defaultEEES9_S9_S9_S9_S9_S9_S9_S9_EEEESB_EEENSN_IJSM_SM_EEESB_PlJNSF_9not_fun_tINSF_14equal_to_valueISA_EEEEEEE10hipError_tPvRmT3_T4_T5_T6_T7_T9_mT8_P12ihipStream_tbDpT10_ENKUlT_T0_E_clISt17integral_constantIbLb0EES1J_EEDaS1E_S1F_EUlS1E_E_NS1_11comp_targetILNS1_3genE3ELNS1_11target_archE908ELNS1_3gpuE7ELNS1_3repE0EEENS1_30default_config_static_selectorELNS0_4arch9wavefront6targetE0EEEvT1_, .Lfunc_end1856-_ZN7rocprim17ROCPRIM_400000_NS6detail17trampoline_kernelINS0_14default_configENS1_25partition_config_selectorILNS1_17partition_subalgoE6EN6thrust23THRUST_200600_302600_NS5tupleIffNS7_9null_typeES9_S9_S9_S9_S9_S9_S9_EENS0_10empty_typeEbEEZZNS1_14partition_implILS5_6ELb0ES3_mNS7_12zip_iteratorINS8_INS7_6detail15normal_iteratorINS7_10device_ptrIfEEEESJ_S9_S9_S9_S9_S9_S9_S9_S9_EEEEPSB_SM_NS0_5tupleIJNSE_INS8_ISJ_NS7_16discard_iteratorINS7_11use_defaultEEES9_S9_S9_S9_S9_S9_S9_S9_EEEESB_EEENSN_IJSM_SM_EEESB_PlJNSF_9not_fun_tINSF_14equal_to_valueISA_EEEEEEE10hipError_tPvRmT3_T4_T5_T6_T7_T9_mT8_P12ihipStream_tbDpT10_ENKUlT_T0_E_clISt17integral_constantIbLb0EES1J_EEDaS1E_S1F_EUlS1E_E_NS1_11comp_targetILNS1_3genE3ELNS1_11target_archE908ELNS1_3gpuE7ELNS1_3repE0EEENS1_30default_config_static_selectorELNS0_4arch9wavefront6targetE0EEEvT1_
                                        ; -- End function
	.set _ZN7rocprim17ROCPRIM_400000_NS6detail17trampoline_kernelINS0_14default_configENS1_25partition_config_selectorILNS1_17partition_subalgoE6EN6thrust23THRUST_200600_302600_NS5tupleIffNS7_9null_typeES9_S9_S9_S9_S9_S9_S9_EENS0_10empty_typeEbEEZZNS1_14partition_implILS5_6ELb0ES3_mNS7_12zip_iteratorINS8_INS7_6detail15normal_iteratorINS7_10device_ptrIfEEEESJ_S9_S9_S9_S9_S9_S9_S9_S9_EEEEPSB_SM_NS0_5tupleIJNSE_INS8_ISJ_NS7_16discard_iteratorINS7_11use_defaultEEES9_S9_S9_S9_S9_S9_S9_S9_EEEESB_EEENSN_IJSM_SM_EEESB_PlJNSF_9not_fun_tINSF_14equal_to_valueISA_EEEEEEE10hipError_tPvRmT3_T4_T5_T6_T7_T9_mT8_P12ihipStream_tbDpT10_ENKUlT_T0_E_clISt17integral_constantIbLb0EES1J_EEDaS1E_S1F_EUlS1E_E_NS1_11comp_targetILNS1_3genE3ELNS1_11target_archE908ELNS1_3gpuE7ELNS1_3repE0EEENS1_30default_config_static_selectorELNS0_4arch9wavefront6targetE0EEEvT1_.num_vgpr, 0
	.set _ZN7rocprim17ROCPRIM_400000_NS6detail17trampoline_kernelINS0_14default_configENS1_25partition_config_selectorILNS1_17partition_subalgoE6EN6thrust23THRUST_200600_302600_NS5tupleIffNS7_9null_typeES9_S9_S9_S9_S9_S9_S9_EENS0_10empty_typeEbEEZZNS1_14partition_implILS5_6ELb0ES3_mNS7_12zip_iteratorINS8_INS7_6detail15normal_iteratorINS7_10device_ptrIfEEEESJ_S9_S9_S9_S9_S9_S9_S9_S9_EEEEPSB_SM_NS0_5tupleIJNSE_INS8_ISJ_NS7_16discard_iteratorINS7_11use_defaultEEES9_S9_S9_S9_S9_S9_S9_S9_EEEESB_EEENSN_IJSM_SM_EEESB_PlJNSF_9not_fun_tINSF_14equal_to_valueISA_EEEEEEE10hipError_tPvRmT3_T4_T5_T6_T7_T9_mT8_P12ihipStream_tbDpT10_ENKUlT_T0_E_clISt17integral_constantIbLb0EES1J_EEDaS1E_S1F_EUlS1E_E_NS1_11comp_targetILNS1_3genE3ELNS1_11target_archE908ELNS1_3gpuE7ELNS1_3repE0EEENS1_30default_config_static_selectorELNS0_4arch9wavefront6targetE0EEEvT1_.num_agpr, 0
	.set _ZN7rocprim17ROCPRIM_400000_NS6detail17trampoline_kernelINS0_14default_configENS1_25partition_config_selectorILNS1_17partition_subalgoE6EN6thrust23THRUST_200600_302600_NS5tupleIffNS7_9null_typeES9_S9_S9_S9_S9_S9_S9_EENS0_10empty_typeEbEEZZNS1_14partition_implILS5_6ELb0ES3_mNS7_12zip_iteratorINS8_INS7_6detail15normal_iteratorINS7_10device_ptrIfEEEESJ_S9_S9_S9_S9_S9_S9_S9_S9_EEEEPSB_SM_NS0_5tupleIJNSE_INS8_ISJ_NS7_16discard_iteratorINS7_11use_defaultEEES9_S9_S9_S9_S9_S9_S9_S9_EEEESB_EEENSN_IJSM_SM_EEESB_PlJNSF_9not_fun_tINSF_14equal_to_valueISA_EEEEEEE10hipError_tPvRmT3_T4_T5_T6_T7_T9_mT8_P12ihipStream_tbDpT10_ENKUlT_T0_E_clISt17integral_constantIbLb0EES1J_EEDaS1E_S1F_EUlS1E_E_NS1_11comp_targetILNS1_3genE3ELNS1_11target_archE908ELNS1_3gpuE7ELNS1_3repE0EEENS1_30default_config_static_selectorELNS0_4arch9wavefront6targetE0EEEvT1_.numbered_sgpr, 0
	.set _ZN7rocprim17ROCPRIM_400000_NS6detail17trampoline_kernelINS0_14default_configENS1_25partition_config_selectorILNS1_17partition_subalgoE6EN6thrust23THRUST_200600_302600_NS5tupleIffNS7_9null_typeES9_S9_S9_S9_S9_S9_S9_EENS0_10empty_typeEbEEZZNS1_14partition_implILS5_6ELb0ES3_mNS7_12zip_iteratorINS8_INS7_6detail15normal_iteratorINS7_10device_ptrIfEEEESJ_S9_S9_S9_S9_S9_S9_S9_S9_EEEEPSB_SM_NS0_5tupleIJNSE_INS8_ISJ_NS7_16discard_iteratorINS7_11use_defaultEEES9_S9_S9_S9_S9_S9_S9_S9_EEEESB_EEENSN_IJSM_SM_EEESB_PlJNSF_9not_fun_tINSF_14equal_to_valueISA_EEEEEEE10hipError_tPvRmT3_T4_T5_T6_T7_T9_mT8_P12ihipStream_tbDpT10_ENKUlT_T0_E_clISt17integral_constantIbLb0EES1J_EEDaS1E_S1F_EUlS1E_E_NS1_11comp_targetILNS1_3genE3ELNS1_11target_archE908ELNS1_3gpuE7ELNS1_3repE0EEENS1_30default_config_static_selectorELNS0_4arch9wavefront6targetE0EEEvT1_.num_named_barrier, 0
	.set _ZN7rocprim17ROCPRIM_400000_NS6detail17trampoline_kernelINS0_14default_configENS1_25partition_config_selectorILNS1_17partition_subalgoE6EN6thrust23THRUST_200600_302600_NS5tupleIffNS7_9null_typeES9_S9_S9_S9_S9_S9_S9_EENS0_10empty_typeEbEEZZNS1_14partition_implILS5_6ELb0ES3_mNS7_12zip_iteratorINS8_INS7_6detail15normal_iteratorINS7_10device_ptrIfEEEESJ_S9_S9_S9_S9_S9_S9_S9_S9_EEEEPSB_SM_NS0_5tupleIJNSE_INS8_ISJ_NS7_16discard_iteratorINS7_11use_defaultEEES9_S9_S9_S9_S9_S9_S9_S9_EEEESB_EEENSN_IJSM_SM_EEESB_PlJNSF_9not_fun_tINSF_14equal_to_valueISA_EEEEEEE10hipError_tPvRmT3_T4_T5_T6_T7_T9_mT8_P12ihipStream_tbDpT10_ENKUlT_T0_E_clISt17integral_constantIbLb0EES1J_EEDaS1E_S1F_EUlS1E_E_NS1_11comp_targetILNS1_3genE3ELNS1_11target_archE908ELNS1_3gpuE7ELNS1_3repE0EEENS1_30default_config_static_selectorELNS0_4arch9wavefront6targetE0EEEvT1_.private_seg_size, 0
	.set _ZN7rocprim17ROCPRIM_400000_NS6detail17trampoline_kernelINS0_14default_configENS1_25partition_config_selectorILNS1_17partition_subalgoE6EN6thrust23THRUST_200600_302600_NS5tupleIffNS7_9null_typeES9_S9_S9_S9_S9_S9_S9_EENS0_10empty_typeEbEEZZNS1_14partition_implILS5_6ELb0ES3_mNS7_12zip_iteratorINS8_INS7_6detail15normal_iteratorINS7_10device_ptrIfEEEESJ_S9_S9_S9_S9_S9_S9_S9_S9_EEEEPSB_SM_NS0_5tupleIJNSE_INS8_ISJ_NS7_16discard_iteratorINS7_11use_defaultEEES9_S9_S9_S9_S9_S9_S9_S9_EEEESB_EEENSN_IJSM_SM_EEESB_PlJNSF_9not_fun_tINSF_14equal_to_valueISA_EEEEEEE10hipError_tPvRmT3_T4_T5_T6_T7_T9_mT8_P12ihipStream_tbDpT10_ENKUlT_T0_E_clISt17integral_constantIbLb0EES1J_EEDaS1E_S1F_EUlS1E_E_NS1_11comp_targetILNS1_3genE3ELNS1_11target_archE908ELNS1_3gpuE7ELNS1_3repE0EEENS1_30default_config_static_selectorELNS0_4arch9wavefront6targetE0EEEvT1_.uses_vcc, 0
	.set _ZN7rocprim17ROCPRIM_400000_NS6detail17trampoline_kernelINS0_14default_configENS1_25partition_config_selectorILNS1_17partition_subalgoE6EN6thrust23THRUST_200600_302600_NS5tupleIffNS7_9null_typeES9_S9_S9_S9_S9_S9_S9_EENS0_10empty_typeEbEEZZNS1_14partition_implILS5_6ELb0ES3_mNS7_12zip_iteratorINS8_INS7_6detail15normal_iteratorINS7_10device_ptrIfEEEESJ_S9_S9_S9_S9_S9_S9_S9_S9_EEEEPSB_SM_NS0_5tupleIJNSE_INS8_ISJ_NS7_16discard_iteratorINS7_11use_defaultEEES9_S9_S9_S9_S9_S9_S9_S9_EEEESB_EEENSN_IJSM_SM_EEESB_PlJNSF_9not_fun_tINSF_14equal_to_valueISA_EEEEEEE10hipError_tPvRmT3_T4_T5_T6_T7_T9_mT8_P12ihipStream_tbDpT10_ENKUlT_T0_E_clISt17integral_constantIbLb0EES1J_EEDaS1E_S1F_EUlS1E_E_NS1_11comp_targetILNS1_3genE3ELNS1_11target_archE908ELNS1_3gpuE7ELNS1_3repE0EEENS1_30default_config_static_selectorELNS0_4arch9wavefront6targetE0EEEvT1_.uses_flat_scratch, 0
	.set _ZN7rocprim17ROCPRIM_400000_NS6detail17trampoline_kernelINS0_14default_configENS1_25partition_config_selectorILNS1_17partition_subalgoE6EN6thrust23THRUST_200600_302600_NS5tupleIffNS7_9null_typeES9_S9_S9_S9_S9_S9_S9_EENS0_10empty_typeEbEEZZNS1_14partition_implILS5_6ELb0ES3_mNS7_12zip_iteratorINS8_INS7_6detail15normal_iteratorINS7_10device_ptrIfEEEESJ_S9_S9_S9_S9_S9_S9_S9_S9_EEEEPSB_SM_NS0_5tupleIJNSE_INS8_ISJ_NS7_16discard_iteratorINS7_11use_defaultEEES9_S9_S9_S9_S9_S9_S9_S9_EEEESB_EEENSN_IJSM_SM_EEESB_PlJNSF_9not_fun_tINSF_14equal_to_valueISA_EEEEEEE10hipError_tPvRmT3_T4_T5_T6_T7_T9_mT8_P12ihipStream_tbDpT10_ENKUlT_T0_E_clISt17integral_constantIbLb0EES1J_EEDaS1E_S1F_EUlS1E_E_NS1_11comp_targetILNS1_3genE3ELNS1_11target_archE908ELNS1_3gpuE7ELNS1_3repE0EEENS1_30default_config_static_selectorELNS0_4arch9wavefront6targetE0EEEvT1_.has_dyn_sized_stack, 0
	.set _ZN7rocprim17ROCPRIM_400000_NS6detail17trampoline_kernelINS0_14default_configENS1_25partition_config_selectorILNS1_17partition_subalgoE6EN6thrust23THRUST_200600_302600_NS5tupleIffNS7_9null_typeES9_S9_S9_S9_S9_S9_S9_EENS0_10empty_typeEbEEZZNS1_14partition_implILS5_6ELb0ES3_mNS7_12zip_iteratorINS8_INS7_6detail15normal_iteratorINS7_10device_ptrIfEEEESJ_S9_S9_S9_S9_S9_S9_S9_S9_EEEEPSB_SM_NS0_5tupleIJNSE_INS8_ISJ_NS7_16discard_iteratorINS7_11use_defaultEEES9_S9_S9_S9_S9_S9_S9_S9_EEEESB_EEENSN_IJSM_SM_EEESB_PlJNSF_9not_fun_tINSF_14equal_to_valueISA_EEEEEEE10hipError_tPvRmT3_T4_T5_T6_T7_T9_mT8_P12ihipStream_tbDpT10_ENKUlT_T0_E_clISt17integral_constantIbLb0EES1J_EEDaS1E_S1F_EUlS1E_E_NS1_11comp_targetILNS1_3genE3ELNS1_11target_archE908ELNS1_3gpuE7ELNS1_3repE0EEENS1_30default_config_static_selectorELNS0_4arch9wavefront6targetE0EEEvT1_.has_recursion, 0
	.set _ZN7rocprim17ROCPRIM_400000_NS6detail17trampoline_kernelINS0_14default_configENS1_25partition_config_selectorILNS1_17partition_subalgoE6EN6thrust23THRUST_200600_302600_NS5tupleIffNS7_9null_typeES9_S9_S9_S9_S9_S9_S9_EENS0_10empty_typeEbEEZZNS1_14partition_implILS5_6ELb0ES3_mNS7_12zip_iteratorINS8_INS7_6detail15normal_iteratorINS7_10device_ptrIfEEEESJ_S9_S9_S9_S9_S9_S9_S9_S9_EEEEPSB_SM_NS0_5tupleIJNSE_INS8_ISJ_NS7_16discard_iteratorINS7_11use_defaultEEES9_S9_S9_S9_S9_S9_S9_S9_EEEESB_EEENSN_IJSM_SM_EEESB_PlJNSF_9not_fun_tINSF_14equal_to_valueISA_EEEEEEE10hipError_tPvRmT3_T4_T5_T6_T7_T9_mT8_P12ihipStream_tbDpT10_ENKUlT_T0_E_clISt17integral_constantIbLb0EES1J_EEDaS1E_S1F_EUlS1E_E_NS1_11comp_targetILNS1_3genE3ELNS1_11target_archE908ELNS1_3gpuE7ELNS1_3repE0EEENS1_30default_config_static_selectorELNS0_4arch9wavefront6targetE0EEEvT1_.has_indirect_call, 0
	.section	.AMDGPU.csdata,"",@progbits
; Kernel info:
; codeLenInByte = 0
; TotalNumSgprs: 0
; NumVgprs: 0
; ScratchSize: 0
; MemoryBound: 0
; FloatMode: 240
; IeeeMode: 1
; LDSByteSize: 0 bytes/workgroup (compile time only)
; SGPRBlocks: 0
; VGPRBlocks: 0
; NumSGPRsForWavesPerEU: 1
; NumVGPRsForWavesPerEU: 1
; Occupancy: 16
; WaveLimiterHint : 0
; COMPUTE_PGM_RSRC2:SCRATCH_EN: 0
; COMPUTE_PGM_RSRC2:USER_SGPR: 2
; COMPUTE_PGM_RSRC2:TRAP_HANDLER: 0
; COMPUTE_PGM_RSRC2:TGID_X_EN: 1
; COMPUTE_PGM_RSRC2:TGID_Y_EN: 0
; COMPUTE_PGM_RSRC2:TGID_Z_EN: 0
; COMPUTE_PGM_RSRC2:TIDIG_COMP_CNT: 0
	.section	.text._ZN7rocprim17ROCPRIM_400000_NS6detail17trampoline_kernelINS0_14default_configENS1_25partition_config_selectorILNS1_17partition_subalgoE6EN6thrust23THRUST_200600_302600_NS5tupleIffNS7_9null_typeES9_S9_S9_S9_S9_S9_S9_EENS0_10empty_typeEbEEZZNS1_14partition_implILS5_6ELb0ES3_mNS7_12zip_iteratorINS8_INS7_6detail15normal_iteratorINS7_10device_ptrIfEEEESJ_S9_S9_S9_S9_S9_S9_S9_S9_EEEEPSB_SM_NS0_5tupleIJNSE_INS8_ISJ_NS7_16discard_iteratorINS7_11use_defaultEEES9_S9_S9_S9_S9_S9_S9_S9_EEEESB_EEENSN_IJSM_SM_EEESB_PlJNSF_9not_fun_tINSF_14equal_to_valueISA_EEEEEEE10hipError_tPvRmT3_T4_T5_T6_T7_T9_mT8_P12ihipStream_tbDpT10_ENKUlT_T0_E_clISt17integral_constantIbLb0EES1J_EEDaS1E_S1F_EUlS1E_E_NS1_11comp_targetILNS1_3genE2ELNS1_11target_archE906ELNS1_3gpuE6ELNS1_3repE0EEENS1_30default_config_static_selectorELNS0_4arch9wavefront6targetE0EEEvT1_,"axG",@progbits,_ZN7rocprim17ROCPRIM_400000_NS6detail17trampoline_kernelINS0_14default_configENS1_25partition_config_selectorILNS1_17partition_subalgoE6EN6thrust23THRUST_200600_302600_NS5tupleIffNS7_9null_typeES9_S9_S9_S9_S9_S9_S9_EENS0_10empty_typeEbEEZZNS1_14partition_implILS5_6ELb0ES3_mNS7_12zip_iteratorINS8_INS7_6detail15normal_iteratorINS7_10device_ptrIfEEEESJ_S9_S9_S9_S9_S9_S9_S9_S9_EEEEPSB_SM_NS0_5tupleIJNSE_INS8_ISJ_NS7_16discard_iteratorINS7_11use_defaultEEES9_S9_S9_S9_S9_S9_S9_S9_EEEESB_EEENSN_IJSM_SM_EEESB_PlJNSF_9not_fun_tINSF_14equal_to_valueISA_EEEEEEE10hipError_tPvRmT3_T4_T5_T6_T7_T9_mT8_P12ihipStream_tbDpT10_ENKUlT_T0_E_clISt17integral_constantIbLb0EES1J_EEDaS1E_S1F_EUlS1E_E_NS1_11comp_targetILNS1_3genE2ELNS1_11target_archE906ELNS1_3gpuE6ELNS1_3repE0EEENS1_30default_config_static_selectorELNS0_4arch9wavefront6targetE0EEEvT1_,comdat
	.protected	_ZN7rocprim17ROCPRIM_400000_NS6detail17trampoline_kernelINS0_14default_configENS1_25partition_config_selectorILNS1_17partition_subalgoE6EN6thrust23THRUST_200600_302600_NS5tupleIffNS7_9null_typeES9_S9_S9_S9_S9_S9_S9_EENS0_10empty_typeEbEEZZNS1_14partition_implILS5_6ELb0ES3_mNS7_12zip_iteratorINS8_INS7_6detail15normal_iteratorINS7_10device_ptrIfEEEESJ_S9_S9_S9_S9_S9_S9_S9_S9_EEEEPSB_SM_NS0_5tupleIJNSE_INS8_ISJ_NS7_16discard_iteratorINS7_11use_defaultEEES9_S9_S9_S9_S9_S9_S9_S9_EEEESB_EEENSN_IJSM_SM_EEESB_PlJNSF_9not_fun_tINSF_14equal_to_valueISA_EEEEEEE10hipError_tPvRmT3_T4_T5_T6_T7_T9_mT8_P12ihipStream_tbDpT10_ENKUlT_T0_E_clISt17integral_constantIbLb0EES1J_EEDaS1E_S1F_EUlS1E_E_NS1_11comp_targetILNS1_3genE2ELNS1_11target_archE906ELNS1_3gpuE6ELNS1_3repE0EEENS1_30default_config_static_selectorELNS0_4arch9wavefront6targetE0EEEvT1_ ; -- Begin function _ZN7rocprim17ROCPRIM_400000_NS6detail17trampoline_kernelINS0_14default_configENS1_25partition_config_selectorILNS1_17partition_subalgoE6EN6thrust23THRUST_200600_302600_NS5tupleIffNS7_9null_typeES9_S9_S9_S9_S9_S9_S9_EENS0_10empty_typeEbEEZZNS1_14partition_implILS5_6ELb0ES3_mNS7_12zip_iteratorINS8_INS7_6detail15normal_iteratorINS7_10device_ptrIfEEEESJ_S9_S9_S9_S9_S9_S9_S9_S9_EEEEPSB_SM_NS0_5tupleIJNSE_INS8_ISJ_NS7_16discard_iteratorINS7_11use_defaultEEES9_S9_S9_S9_S9_S9_S9_S9_EEEESB_EEENSN_IJSM_SM_EEESB_PlJNSF_9not_fun_tINSF_14equal_to_valueISA_EEEEEEE10hipError_tPvRmT3_T4_T5_T6_T7_T9_mT8_P12ihipStream_tbDpT10_ENKUlT_T0_E_clISt17integral_constantIbLb0EES1J_EEDaS1E_S1F_EUlS1E_E_NS1_11comp_targetILNS1_3genE2ELNS1_11target_archE906ELNS1_3gpuE6ELNS1_3repE0EEENS1_30default_config_static_selectorELNS0_4arch9wavefront6targetE0EEEvT1_
	.globl	_ZN7rocprim17ROCPRIM_400000_NS6detail17trampoline_kernelINS0_14default_configENS1_25partition_config_selectorILNS1_17partition_subalgoE6EN6thrust23THRUST_200600_302600_NS5tupleIffNS7_9null_typeES9_S9_S9_S9_S9_S9_S9_EENS0_10empty_typeEbEEZZNS1_14partition_implILS5_6ELb0ES3_mNS7_12zip_iteratorINS8_INS7_6detail15normal_iteratorINS7_10device_ptrIfEEEESJ_S9_S9_S9_S9_S9_S9_S9_S9_EEEEPSB_SM_NS0_5tupleIJNSE_INS8_ISJ_NS7_16discard_iteratorINS7_11use_defaultEEES9_S9_S9_S9_S9_S9_S9_S9_EEEESB_EEENSN_IJSM_SM_EEESB_PlJNSF_9not_fun_tINSF_14equal_to_valueISA_EEEEEEE10hipError_tPvRmT3_T4_T5_T6_T7_T9_mT8_P12ihipStream_tbDpT10_ENKUlT_T0_E_clISt17integral_constantIbLb0EES1J_EEDaS1E_S1F_EUlS1E_E_NS1_11comp_targetILNS1_3genE2ELNS1_11target_archE906ELNS1_3gpuE6ELNS1_3repE0EEENS1_30default_config_static_selectorELNS0_4arch9wavefront6targetE0EEEvT1_
	.p2align	8
	.type	_ZN7rocprim17ROCPRIM_400000_NS6detail17trampoline_kernelINS0_14default_configENS1_25partition_config_selectorILNS1_17partition_subalgoE6EN6thrust23THRUST_200600_302600_NS5tupleIffNS7_9null_typeES9_S9_S9_S9_S9_S9_S9_EENS0_10empty_typeEbEEZZNS1_14partition_implILS5_6ELb0ES3_mNS7_12zip_iteratorINS8_INS7_6detail15normal_iteratorINS7_10device_ptrIfEEEESJ_S9_S9_S9_S9_S9_S9_S9_S9_EEEEPSB_SM_NS0_5tupleIJNSE_INS8_ISJ_NS7_16discard_iteratorINS7_11use_defaultEEES9_S9_S9_S9_S9_S9_S9_S9_EEEESB_EEENSN_IJSM_SM_EEESB_PlJNSF_9not_fun_tINSF_14equal_to_valueISA_EEEEEEE10hipError_tPvRmT3_T4_T5_T6_T7_T9_mT8_P12ihipStream_tbDpT10_ENKUlT_T0_E_clISt17integral_constantIbLb0EES1J_EEDaS1E_S1F_EUlS1E_E_NS1_11comp_targetILNS1_3genE2ELNS1_11target_archE906ELNS1_3gpuE6ELNS1_3repE0EEENS1_30default_config_static_selectorELNS0_4arch9wavefront6targetE0EEEvT1_,@function
_ZN7rocprim17ROCPRIM_400000_NS6detail17trampoline_kernelINS0_14default_configENS1_25partition_config_selectorILNS1_17partition_subalgoE6EN6thrust23THRUST_200600_302600_NS5tupleIffNS7_9null_typeES9_S9_S9_S9_S9_S9_S9_EENS0_10empty_typeEbEEZZNS1_14partition_implILS5_6ELb0ES3_mNS7_12zip_iteratorINS8_INS7_6detail15normal_iteratorINS7_10device_ptrIfEEEESJ_S9_S9_S9_S9_S9_S9_S9_S9_EEEEPSB_SM_NS0_5tupleIJNSE_INS8_ISJ_NS7_16discard_iteratorINS7_11use_defaultEEES9_S9_S9_S9_S9_S9_S9_S9_EEEESB_EEENSN_IJSM_SM_EEESB_PlJNSF_9not_fun_tINSF_14equal_to_valueISA_EEEEEEE10hipError_tPvRmT3_T4_T5_T6_T7_T9_mT8_P12ihipStream_tbDpT10_ENKUlT_T0_E_clISt17integral_constantIbLb0EES1J_EEDaS1E_S1F_EUlS1E_E_NS1_11comp_targetILNS1_3genE2ELNS1_11target_archE906ELNS1_3gpuE6ELNS1_3repE0EEENS1_30default_config_static_selectorELNS0_4arch9wavefront6targetE0EEEvT1_: ; @_ZN7rocprim17ROCPRIM_400000_NS6detail17trampoline_kernelINS0_14default_configENS1_25partition_config_selectorILNS1_17partition_subalgoE6EN6thrust23THRUST_200600_302600_NS5tupleIffNS7_9null_typeES9_S9_S9_S9_S9_S9_S9_EENS0_10empty_typeEbEEZZNS1_14partition_implILS5_6ELb0ES3_mNS7_12zip_iteratorINS8_INS7_6detail15normal_iteratorINS7_10device_ptrIfEEEESJ_S9_S9_S9_S9_S9_S9_S9_S9_EEEEPSB_SM_NS0_5tupleIJNSE_INS8_ISJ_NS7_16discard_iteratorINS7_11use_defaultEEES9_S9_S9_S9_S9_S9_S9_S9_EEEESB_EEENSN_IJSM_SM_EEESB_PlJNSF_9not_fun_tINSF_14equal_to_valueISA_EEEEEEE10hipError_tPvRmT3_T4_T5_T6_T7_T9_mT8_P12ihipStream_tbDpT10_ENKUlT_T0_E_clISt17integral_constantIbLb0EES1J_EEDaS1E_S1F_EUlS1E_E_NS1_11comp_targetILNS1_3genE2ELNS1_11target_archE906ELNS1_3gpuE6ELNS1_3repE0EEENS1_30default_config_static_selectorELNS0_4arch9wavefront6targetE0EEEvT1_
; %bb.0:
	.section	.rodata,"a",@progbits
	.p2align	6, 0x0
	.amdhsa_kernel _ZN7rocprim17ROCPRIM_400000_NS6detail17trampoline_kernelINS0_14default_configENS1_25partition_config_selectorILNS1_17partition_subalgoE6EN6thrust23THRUST_200600_302600_NS5tupleIffNS7_9null_typeES9_S9_S9_S9_S9_S9_S9_EENS0_10empty_typeEbEEZZNS1_14partition_implILS5_6ELb0ES3_mNS7_12zip_iteratorINS8_INS7_6detail15normal_iteratorINS7_10device_ptrIfEEEESJ_S9_S9_S9_S9_S9_S9_S9_S9_EEEEPSB_SM_NS0_5tupleIJNSE_INS8_ISJ_NS7_16discard_iteratorINS7_11use_defaultEEES9_S9_S9_S9_S9_S9_S9_S9_EEEESB_EEENSN_IJSM_SM_EEESB_PlJNSF_9not_fun_tINSF_14equal_to_valueISA_EEEEEEE10hipError_tPvRmT3_T4_T5_T6_T7_T9_mT8_P12ihipStream_tbDpT10_ENKUlT_T0_E_clISt17integral_constantIbLb0EES1J_EEDaS1E_S1F_EUlS1E_E_NS1_11comp_targetILNS1_3genE2ELNS1_11target_archE906ELNS1_3gpuE6ELNS1_3repE0EEENS1_30default_config_static_selectorELNS0_4arch9wavefront6targetE0EEEvT1_
		.amdhsa_group_segment_fixed_size 0
		.amdhsa_private_segment_fixed_size 0
		.amdhsa_kernarg_size 144
		.amdhsa_user_sgpr_count 2
		.amdhsa_user_sgpr_dispatch_ptr 0
		.amdhsa_user_sgpr_queue_ptr 0
		.amdhsa_user_sgpr_kernarg_segment_ptr 1
		.amdhsa_user_sgpr_dispatch_id 0
		.amdhsa_user_sgpr_private_segment_size 0
		.amdhsa_wavefront_size32 1
		.amdhsa_uses_dynamic_stack 0
		.amdhsa_enable_private_segment 0
		.amdhsa_system_sgpr_workgroup_id_x 1
		.amdhsa_system_sgpr_workgroup_id_y 0
		.amdhsa_system_sgpr_workgroup_id_z 0
		.amdhsa_system_sgpr_workgroup_info 0
		.amdhsa_system_vgpr_workitem_id 0
		.amdhsa_next_free_vgpr 1
		.amdhsa_next_free_sgpr 1
		.amdhsa_reserve_vcc 0
		.amdhsa_float_round_mode_32 0
		.amdhsa_float_round_mode_16_64 0
		.amdhsa_float_denorm_mode_32 3
		.amdhsa_float_denorm_mode_16_64 3
		.amdhsa_fp16_overflow 0
		.amdhsa_workgroup_processor_mode 1
		.amdhsa_memory_ordered 1
		.amdhsa_forward_progress 1
		.amdhsa_inst_pref_size 0
		.amdhsa_round_robin_scheduling 0
		.amdhsa_exception_fp_ieee_invalid_op 0
		.amdhsa_exception_fp_denorm_src 0
		.amdhsa_exception_fp_ieee_div_zero 0
		.amdhsa_exception_fp_ieee_overflow 0
		.amdhsa_exception_fp_ieee_underflow 0
		.amdhsa_exception_fp_ieee_inexact 0
		.amdhsa_exception_int_div_zero 0
	.end_amdhsa_kernel
	.section	.text._ZN7rocprim17ROCPRIM_400000_NS6detail17trampoline_kernelINS0_14default_configENS1_25partition_config_selectorILNS1_17partition_subalgoE6EN6thrust23THRUST_200600_302600_NS5tupleIffNS7_9null_typeES9_S9_S9_S9_S9_S9_S9_EENS0_10empty_typeEbEEZZNS1_14partition_implILS5_6ELb0ES3_mNS7_12zip_iteratorINS8_INS7_6detail15normal_iteratorINS7_10device_ptrIfEEEESJ_S9_S9_S9_S9_S9_S9_S9_S9_EEEEPSB_SM_NS0_5tupleIJNSE_INS8_ISJ_NS7_16discard_iteratorINS7_11use_defaultEEES9_S9_S9_S9_S9_S9_S9_S9_EEEESB_EEENSN_IJSM_SM_EEESB_PlJNSF_9not_fun_tINSF_14equal_to_valueISA_EEEEEEE10hipError_tPvRmT3_T4_T5_T6_T7_T9_mT8_P12ihipStream_tbDpT10_ENKUlT_T0_E_clISt17integral_constantIbLb0EES1J_EEDaS1E_S1F_EUlS1E_E_NS1_11comp_targetILNS1_3genE2ELNS1_11target_archE906ELNS1_3gpuE6ELNS1_3repE0EEENS1_30default_config_static_selectorELNS0_4arch9wavefront6targetE0EEEvT1_,"axG",@progbits,_ZN7rocprim17ROCPRIM_400000_NS6detail17trampoline_kernelINS0_14default_configENS1_25partition_config_selectorILNS1_17partition_subalgoE6EN6thrust23THRUST_200600_302600_NS5tupleIffNS7_9null_typeES9_S9_S9_S9_S9_S9_S9_EENS0_10empty_typeEbEEZZNS1_14partition_implILS5_6ELb0ES3_mNS7_12zip_iteratorINS8_INS7_6detail15normal_iteratorINS7_10device_ptrIfEEEESJ_S9_S9_S9_S9_S9_S9_S9_S9_EEEEPSB_SM_NS0_5tupleIJNSE_INS8_ISJ_NS7_16discard_iteratorINS7_11use_defaultEEES9_S9_S9_S9_S9_S9_S9_S9_EEEESB_EEENSN_IJSM_SM_EEESB_PlJNSF_9not_fun_tINSF_14equal_to_valueISA_EEEEEEE10hipError_tPvRmT3_T4_T5_T6_T7_T9_mT8_P12ihipStream_tbDpT10_ENKUlT_T0_E_clISt17integral_constantIbLb0EES1J_EEDaS1E_S1F_EUlS1E_E_NS1_11comp_targetILNS1_3genE2ELNS1_11target_archE906ELNS1_3gpuE6ELNS1_3repE0EEENS1_30default_config_static_selectorELNS0_4arch9wavefront6targetE0EEEvT1_,comdat
.Lfunc_end1857:
	.size	_ZN7rocprim17ROCPRIM_400000_NS6detail17trampoline_kernelINS0_14default_configENS1_25partition_config_selectorILNS1_17partition_subalgoE6EN6thrust23THRUST_200600_302600_NS5tupleIffNS7_9null_typeES9_S9_S9_S9_S9_S9_S9_EENS0_10empty_typeEbEEZZNS1_14partition_implILS5_6ELb0ES3_mNS7_12zip_iteratorINS8_INS7_6detail15normal_iteratorINS7_10device_ptrIfEEEESJ_S9_S9_S9_S9_S9_S9_S9_S9_EEEEPSB_SM_NS0_5tupleIJNSE_INS8_ISJ_NS7_16discard_iteratorINS7_11use_defaultEEES9_S9_S9_S9_S9_S9_S9_S9_EEEESB_EEENSN_IJSM_SM_EEESB_PlJNSF_9not_fun_tINSF_14equal_to_valueISA_EEEEEEE10hipError_tPvRmT3_T4_T5_T6_T7_T9_mT8_P12ihipStream_tbDpT10_ENKUlT_T0_E_clISt17integral_constantIbLb0EES1J_EEDaS1E_S1F_EUlS1E_E_NS1_11comp_targetILNS1_3genE2ELNS1_11target_archE906ELNS1_3gpuE6ELNS1_3repE0EEENS1_30default_config_static_selectorELNS0_4arch9wavefront6targetE0EEEvT1_, .Lfunc_end1857-_ZN7rocprim17ROCPRIM_400000_NS6detail17trampoline_kernelINS0_14default_configENS1_25partition_config_selectorILNS1_17partition_subalgoE6EN6thrust23THRUST_200600_302600_NS5tupleIffNS7_9null_typeES9_S9_S9_S9_S9_S9_S9_EENS0_10empty_typeEbEEZZNS1_14partition_implILS5_6ELb0ES3_mNS7_12zip_iteratorINS8_INS7_6detail15normal_iteratorINS7_10device_ptrIfEEEESJ_S9_S9_S9_S9_S9_S9_S9_S9_EEEEPSB_SM_NS0_5tupleIJNSE_INS8_ISJ_NS7_16discard_iteratorINS7_11use_defaultEEES9_S9_S9_S9_S9_S9_S9_S9_EEEESB_EEENSN_IJSM_SM_EEESB_PlJNSF_9not_fun_tINSF_14equal_to_valueISA_EEEEEEE10hipError_tPvRmT3_T4_T5_T6_T7_T9_mT8_P12ihipStream_tbDpT10_ENKUlT_T0_E_clISt17integral_constantIbLb0EES1J_EEDaS1E_S1F_EUlS1E_E_NS1_11comp_targetILNS1_3genE2ELNS1_11target_archE906ELNS1_3gpuE6ELNS1_3repE0EEENS1_30default_config_static_selectorELNS0_4arch9wavefront6targetE0EEEvT1_
                                        ; -- End function
	.set _ZN7rocprim17ROCPRIM_400000_NS6detail17trampoline_kernelINS0_14default_configENS1_25partition_config_selectorILNS1_17partition_subalgoE6EN6thrust23THRUST_200600_302600_NS5tupleIffNS7_9null_typeES9_S9_S9_S9_S9_S9_S9_EENS0_10empty_typeEbEEZZNS1_14partition_implILS5_6ELb0ES3_mNS7_12zip_iteratorINS8_INS7_6detail15normal_iteratorINS7_10device_ptrIfEEEESJ_S9_S9_S9_S9_S9_S9_S9_S9_EEEEPSB_SM_NS0_5tupleIJNSE_INS8_ISJ_NS7_16discard_iteratorINS7_11use_defaultEEES9_S9_S9_S9_S9_S9_S9_S9_EEEESB_EEENSN_IJSM_SM_EEESB_PlJNSF_9not_fun_tINSF_14equal_to_valueISA_EEEEEEE10hipError_tPvRmT3_T4_T5_T6_T7_T9_mT8_P12ihipStream_tbDpT10_ENKUlT_T0_E_clISt17integral_constantIbLb0EES1J_EEDaS1E_S1F_EUlS1E_E_NS1_11comp_targetILNS1_3genE2ELNS1_11target_archE906ELNS1_3gpuE6ELNS1_3repE0EEENS1_30default_config_static_selectorELNS0_4arch9wavefront6targetE0EEEvT1_.num_vgpr, 0
	.set _ZN7rocprim17ROCPRIM_400000_NS6detail17trampoline_kernelINS0_14default_configENS1_25partition_config_selectorILNS1_17partition_subalgoE6EN6thrust23THRUST_200600_302600_NS5tupleIffNS7_9null_typeES9_S9_S9_S9_S9_S9_S9_EENS0_10empty_typeEbEEZZNS1_14partition_implILS5_6ELb0ES3_mNS7_12zip_iteratorINS8_INS7_6detail15normal_iteratorINS7_10device_ptrIfEEEESJ_S9_S9_S9_S9_S9_S9_S9_S9_EEEEPSB_SM_NS0_5tupleIJNSE_INS8_ISJ_NS7_16discard_iteratorINS7_11use_defaultEEES9_S9_S9_S9_S9_S9_S9_S9_EEEESB_EEENSN_IJSM_SM_EEESB_PlJNSF_9not_fun_tINSF_14equal_to_valueISA_EEEEEEE10hipError_tPvRmT3_T4_T5_T6_T7_T9_mT8_P12ihipStream_tbDpT10_ENKUlT_T0_E_clISt17integral_constantIbLb0EES1J_EEDaS1E_S1F_EUlS1E_E_NS1_11comp_targetILNS1_3genE2ELNS1_11target_archE906ELNS1_3gpuE6ELNS1_3repE0EEENS1_30default_config_static_selectorELNS0_4arch9wavefront6targetE0EEEvT1_.num_agpr, 0
	.set _ZN7rocprim17ROCPRIM_400000_NS6detail17trampoline_kernelINS0_14default_configENS1_25partition_config_selectorILNS1_17partition_subalgoE6EN6thrust23THRUST_200600_302600_NS5tupleIffNS7_9null_typeES9_S9_S9_S9_S9_S9_S9_EENS0_10empty_typeEbEEZZNS1_14partition_implILS5_6ELb0ES3_mNS7_12zip_iteratorINS8_INS7_6detail15normal_iteratorINS7_10device_ptrIfEEEESJ_S9_S9_S9_S9_S9_S9_S9_S9_EEEEPSB_SM_NS0_5tupleIJNSE_INS8_ISJ_NS7_16discard_iteratorINS7_11use_defaultEEES9_S9_S9_S9_S9_S9_S9_S9_EEEESB_EEENSN_IJSM_SM_EEESB_PlJNSF_9not_fun_tINSF_14equal_to_valueISA_EEEEEEE10hipError_tPvRmT3_T4_T5_T6_T7_T9_mT8_P12ihipStream_tbDpT10_ENKUlT_T0_E_clISt17integral_constantIbLb0EES1J_EEDaS1E_S1F_EUlS1E_E_NS1_11comp_targetILNS1_3genE2ELNS1_11target_archE906ELNS1_3gpuE6ELNS1_3repE0EEENS1_30default_config_static_selectorELNS0_4arch9wavefront6targetE0EEEvT1_.numbered_sgpr, 0
	.set _ZN7rocprim17ROCPRIM_400000_NS6detail17trampoline_kernelINS0_14default_configENS1_25partition_config_selectorILNS1_17partition_subalgoE6EN6thrust23THRUST_200600_302600_NS5tupleIffNS7_9null_typeES9_S9_S9_S9_S9_S9_S9_EENS0_10empty_typeEbEEZZNS1_14partition_implILS5_6ELb0ES3_mNS7_12zip_iteratorINS8_INS7_6detail15normal_iteratorINS7_10device_ptrIfEEEESJ_S9_S9_S9_S9_S9_S9_S9_S9_EEEEPSB_SM_NS0_5tupleIJNSE_INS8_ISJ_NS7_16discard_iteratorINS7_11use_defaultEEES9_S9_S9_S9_S9_S9_S9_S9_EEEESB_EEENSN_IJSM_SM_EEESB_PlJNSF_9not_fun_tINSF_14equal_to_valueISA_EEEEEEE10hipError_tPvRmT3_T4_T5_T6_T7_T9_mT8_P12ihipStream_tbDpT10_ENKUlT_T0_E_clISt17integral_constantIbLb0EES1J_EEDaS1E_S1F_EUlS1E_E_NS1_11comp_targetILNS1_3genE2ELNS1_11target_archE906ELNS1_3gpuE6ELNS1_3repE0EEENS1_30default_config_static_selectorELNS0_4arch9wavefront6targetE0EEEvT1_.num_named_barrier, 0
	.set _ZN7rocprim17ROCPRIM_400000_NS6detail17trampoline_kernelINS0_14default_configENS1_25partition_config_selectorILNS1_17partition_subalgoE6EN6thrust23THRUST_200600_302600_NS5tupleIffNS7_9null_typeES9_S9_S9_S9_S9_S9_S9_EENS0_10empty_typeEbEEZZNS1_14partition_implILS5_6ELb0ES3_mNS7_12zip_iteratorINS8_INS7_6detail15normal_iteratorINS7_10device_ptrIfEEEESJ_S9_S9_S9_S9_S9_S9_S9_S9_EEEEPSB_SM_NS0_5tupleIJNSE_INS8_ISJ_NS7_16discard_iteratorINS7_11use_defaultEEES9_S9_S9_S9_S9_S9_S9_S9_EEEESB_EEENSN_IJSM_SM_EEESB_PlJNSF_9not_fun_tINSF_14equal_to_valueISA_EEEEEEE10hipError_tPvRmT3_T4_T5_T6_T7_T9_mT8_P12ihipStream_tbDpT10_ENKUlT_T0_E_clISt17integral_constantIbLb0EES1J_EEDaS1E_S1F_EUlS1E_E_NS1_11comp_targetILNS1_3genE2ELNS1_11target_archE906ELNS1_3gpuE6ELNS1_3repE0EEENS1_30default_config_static_selectorELNS0_4arch9wavefront6targetE0EEEvT1_.private_seg_size, 0
	.set _ZN7rocprim17ROCPRIM_400000_NS6detail17trampoline_kernelINS0_14default_configENS1_25partition_config_selectorILNS1_17partition_subalgoE6EN6thrust23THRUST_200600_302600_NS5tupleIffNS7_9null_typeES9_S9_S9_S9_S9_S9_S9_EENS0_10empty_typeEbEEZZNS1_14partition_implILS5_6ELb0ES3_mNS7_12zip_iteratorINS8_INS7_6detail15normal_iteratorINS7_10device_ptrIfEEEESJ_S9_S9_S9_S9_S9_S9_S9_S9_EEEEPSB_SM_NS0_5tupleIJNSE_INS8_ISJ_NS7_16discard_iteratorINS7_11use_defaultEEES9_S9_S9_S9_S9_S9_S9_S9_EEEESB_EEENSN_IJSM_SM_EEESB_PlJNSF_9not_fun_tINSF_14equal_to_valueISA_EEEEEEE10hipError_tPvRmT3_T4_T5_T6_T7_T9_mT8_P12ihipStream_tbDpT10_ENKUlT_T0_E_clISt17integral_constantIbLb0EES1J_EEDaS1E_S1F_EUlS1E_E_NS1_11comp_targetILNS1_3genE2ELNS1_11target_archE906ELNS1_3gpuE6ELNS1_3repE0EEENS1_30default_config_static_selectorELNS0_4arch9wavefront6targetE0EEEvT1_.uses_vcc, 0
	.set _ZN7rocprim17ROCPRIM_400000_NS6detail17trampoline_kernelINS0_14default_configENS1_25partition_config_selectorILNS1_17partition_subalgoE6EN6thrust23THRUST_200600_302600_NS5tupleIffNS7_9null_typeES9_S9_S9_S9_S9_S9_S9_EENS0_10empty_typeEbEEZZNS1_14partition_implILS5_6ELb0ES3_mNS7_12zip_iteratorINS8_INS7_6detail15normal_iteratorINS7_10device_ptrIfEEEESJ_S9_S9_S9_S9_S9_S9_S9_S9_EEEEPSB_SM_NS0_5tupleIJNSE_INS8_ISJ_NS7_16discard_iteratorINS7_11use_defaultEEES9_S9_S9_S9_S9_S9_S9_S9_EEEESB_EEENSN_IJSM_SM_EEESB_PlJNSF_9not_fun_tINSF_14equal_to_valueISA_EEEEEEE10hipError_tPvRmT3_T4_T5_T6_T7_T9_mT8_P12ihipStream_tbDpT10_ENKUlT_T0_E_clISt17integral_constantIbLb0EES1J_EEDaS1E_S1F_EUlS1E_E_NS1_11comp_targetILNS1_3genE2ELNS1_11target_archE906ELNS1_3gpuE6ELNS1_3repE0EEENS1_30default_config_static_selectorELNS0_4arch9wavefront6targetE0EEEvT1_.uses_flat_scratch, 0
	.set _ZN7rocprim17ROCPRIM_400000_NS6detail17trampoline_kernelINS0_14default_configENS1_25partition_config_selectorILNS1_17partition_subalgoE6EN6thrust23THRUST_200600_302600_NS5tupleIffNS7_9null_typeES9_S9_S9_S9_S9_S9_S9_EENS0_10empty_typeEbEEZZNS1_14partition_implILS5_6ELb0ES3_mNS7_12zip_iteratorINS8_INS7_6detail15normal_iteratorINS7_10device_ptrIfEEEESJ_S9_S9_S9_S9_S9_S9_S9_S9_EEEEPSB_SM_NS0_5tupleIJNSE_INS8_ISJ_NS7_16discard_iteratorINS7_11use_defaultEEES9_S9_S9_S9_S9_S9_S9_S9_EEEESB_EEENSN_IJSM_SM_EEESB_PlJNSF_9not_fun_tINSF_14equal_to_valueISA_EEEEEEE10hipError_tPvRmT3_T4_T5_T6_T7_T9_mT8_P12ihipStream_tbDpT10_ENKUlT_T0_E_clISt17integral_constantIbLb0EES1J_EEDaS1E_S1F_EUlS1E_E_NS1_11comp_targetILNS1_3genE2ELNS1_11target_archE906ELNS1_3gpuE6ELNS1_3repE0EEENS1_30default_config_static_selectorELNS0_4arch9wavefront6targetE0EEEvT1_.has_dyn_sized_stack, 0
	.set _ZN7rocprim17ROCPRIM_400000_NS6detail17trampoline_kernelINS0_14default_configENS1_25partition_config_selectorILNS1_17partition_subalgoE6EN6thrust23THRUST_200600_302600_NS5tupleIffNS7_9null_typeES9_S9_S9_S9_S9_S9_S9_EENS0_10empty_typeEbEEZZNS1_14partition_implILS5_6ELb0ES3_mNS7_12zip_iteratorINS8_INS7_6detail15normal_iteratorINS7_10device_ptrIfEEEESJ_S9_S9_S9_S9_S9_S9_S9_S9_EEEEPSB_SM_NS0_5tupleIJNSE_INS8_ISJ_NS7_16discard_iteratorINS7_11use_defaultEEES9_S9_S9_S9_S9_S9_S9_S9_EEEESB_EEENSN_IJSM_SM_EEESB_PlJNSF_9not_fun_tINSF_14equal_to_valueISA_EEEEEEE10hipError_tPvRmT3_T4_T5_T6_T7_T9_mT8_P12ihipStream_tbDpT10_ENKUlT_T0_E_clISt17integral_constantIbLb0EES1J_EEDaS1E_S1F_EUlS1E_E_NS1_11comp_targetILNS1_3genE2ELNS1_11target_archE906ELNS1_3gpuE6ELNS1_3repE0EEENS1_30default_config_static_selectorELNS0_4arch9wavefront6targetE0EEEvT1_.has_recursion, 0
	.set _ZN7rocprim17ROCPRIM_400000_NS6detail17trampoline_kernelINS0_14default_configENS1_25partition_config_selectorILNS1_17partition_subalgoE6EN6thrust23THRUST_200600_302600_NS5tupleIffNS7_9null_typeES9_S9_S9_S9_S9_S9_S9_EENS0_10empty_typeEbEEZZNS1_14partition_implILS5_6ELb0ES3_mNS7_12zip_iteratorINS8_INS7_6detail15normal_iteratorINS7_10device_ptrIfEEEESJ_S9_S9_S9_S9_S9_S9_S9_S9_EEEEPSB_SM_NS0_5tupleIJNSE_INS8_ISJ_NS7_16discard_iteratorINS7_11use_defaultEEES9_S9_S9_S9_S9_S9_S9_S9_EEEESB_EEENSN_IJSM_SM_EEESB_PlJNSF_9not_fun_tINSF_14equal_to_valueISA_EEEEEEE10hipError_tPvRmT3_T4_T5_T6_T7_T9_mT8_P12ihipStream_tbDpT10_ENKUlT_T0_E_clISt17integral_constantIbLb0EES1J_EEDaS1E_S1F_EUlS1E_E_NS1_11comp_targetILNS1_3genE2ELNS1_11target_archE906ELNS1_3gpuE6ELNS1_3repE0EEENS1_30default_config_static_selectorELNS0_4arch9wavefront6targetE0EEEvT1_.has_indirect_call, 0
	.section	.AMDGPU.csdata,"",@progbits
; Kernel info:
; codeLenInByte = 0
; TotalNumSgprs: 0
; NumVgprs: 0
; ScratchSize: 0
; MemoryBound: 0
; FloatMode: 240
; IeeeMode: 1
; LDSByteSize: 0 bytes/workgroup (compile time only)
; SGPRBlocks: 0
; VGPRBlocks: 0
; NumSGPRsForWavesPerEU: 1
; NumVGPRsForWavesPerEU: 1
; Occupancy: 16
; WaveLimiterHint : 0
; COMPUTE_PGM_RSRC2:SCRATCH_EN: 0
; COMPUTE_PGM_RSRC2:USER_SGPR: 2
; COMPUTE_PGM_RSRC2:TRAP_HANDLER: 0
; COMPUTE_PGM_RSRC2:TGID_X_EN: 1
; COMPUTE_PGM_RSRC2:TGID_Y_EN: 0
; COMPUTE_PGM_RSRC2:TGID_Z_EN: 0
; COMPUTE_PGM_RSRC2:TIDIG_COMP_CNT: 0
	.section	.text._ZN7rocprim17ROCPRIM_400000_NS6detail17trampoline_kernelINS0_14default_configENS1_25partition_config_selectorILNS1_17partition_subalgoE6EN6thrust23THRUST_200600_302600_NS5tupleIffNS7_9null_typeES9_S9_S9_S9_S9_S9_S9_EENS0_10empty_typeEbEEZZNS1_14partition_implILS5_6ELb0ES3_mNS7_12zip_iteratorINS8_INS7_6detail15normal_iteratorINS7_10device_ptrIfEEEESJ_S9_S9_S9_S9_S9_S9_S9_S9_EEEEPSB_SM_NS0_5tupleIJNSE_INS8_ISJ_NS7_16discard_iteratorINS7_11use_defaultEEES9_S9_S9_S9_S9_S9_S9_S9_EEEESB_EEENSN_IJSM_SM_EEESB_PlJNSF_9not_fun_tINSF_14equal_to_valueISA_EEEEEEE10hipError_tPvRmT3_T4_T5_T6_T7_T9_mT8_P12ihipStream_tbDpT10_ENKUlT_T0_E_clISt17integral_constantIbLb0EES1J_EEDaS1E_S1F_EUlS1E_E_NS1_11comp_targetILNS1_3genE10ELNS1_11target_archE1200ELNS1_3gpuE4ELNS1_3repE0EEENS1_30default_config_static_selectorELNS0_4arch9wavefront6targetE0EEEvT1_,"axG",@progbits,_ZN7rocprim17ROCPRIM_400000_NS6detail17trampoline_kernelINS0_14default_configENS1_25partition_config_selectorILNS1_17partition_subalgoE6EN6thrust23THRUST_200600_302600_NS5tupleIffNS7_9null_typeES9_S9_S9_S9_S9_S9_S9_EENS0_10empty_typeEbEEZZNS1_14partition_implILS5_6ELb0ES3_mNS7_12zip_iteratorINS8_INS7_6detail15normal_iteratorINS7_10device_ptrIfEEEESJ_S9_S9_S9_S9_S9_S9_S9_S9_EEEEPSB_SM_NS0_5tupleIJNSE_INS8_ISJ_NS7_16discard_iteratorINS7_11use_defaultEEES9_S9_S9_S9_S9_S9_S9_S9_EEEESB_EEENSN_IJSM_SM_EEESB_PlJNSF_9not_fun_tINSF_14equal_to_valueISA_EEEEEEE10hipError_tPvRmT3_T4_T5_T6_T7_T9_mT8_P12ihipStream_tbDpT10_ENKUlT_T0_E_clISt17integral_constantIbLb0EES1J_EEDaS1E_S1F_EUlS1E_E_NS1_11comp_targetILNS1_3genE10ELNS1_11target_archE1200ELNS1_3gpuE4ELNS1_3repE0EEENS1_30default_config_static_selectorELNS0_4arch9wavefront6targetE0EEEvT1_,comdat
	.protected	_ZN7rocprim17ROCPRIM_400000_NS6detail17trampoline_kernelINS0_14default_configENS1_25partition_config_selectorILNS1_17partition_subalgoE6EN6thrust23THRUST_200600_302600_NS5tupleIffNS7_9null_typeES9_S9_S9_S9_S9_S9_S9_EENS0_10empty_typeEbEEZZNS1_14partition_implILS5_6ELb0ES3_mNS7_12zip_iteratorINS8_INS7_6detail15normal_iteratorINS7_10device_ptrIfEEEESJ_S9_S9_S9_S9_S9_S9_S9_S9_EEEEPSB_SM_NS0_5tupleIJNSE_INS8_ISJ_NS7_16discard_iteratorINS7_11use_defaultEEES9_S9_S9_S9_S9_S9_S9_S9_EEEESB_EEENSN_IJSM_SM_EEESB_PlJNSF_9not_fun_tINSF_14equal_to_valueISA_EEEEEEE10hipError_tPvRmT3_T4_T5_T6_T7_T9_mT8_P12ihipStream_tbDpT10_ENKUlT_T0_E_clISt17integral_constantIbLb0EES1J_EEDaS1E_S1F_EUlS1E_E_NS1_11comp_targetILNS1_3genE10ELNS1_11target_archE1200ELNS1_3gpuE4ELNS1_3repE0EEENS1_30default_config_static_selectorELNS0_4arch9wavefront6targetE0EEEvT1_ ; -- Begin function _ZN7rocprim17ROCPRIM_400000_NS6detail17trampoline_kernelINS0_14default_configENS1_25partition_config_selectorILNS1_17partition_subalgoE6EN6thrust23THRUST_200600_302600_NS5tupleIffNS7_9null_typeES9_S9_S9_S9_S9_S9_S9_EENS0_10empty_typeEbEEZZNS1_14partition_implILS5_6ELb0ES3_mNS7_12zip_iteratorINS8_INS7_6detail15normal_iteratorINS7_10device_ptrIfEEEESJ_S9_S9_S9_S9_S9_S9_S9_S9_EEEEPSB_SM_NS0_5tupleIJNSE_INS8_ISJ_NS7_16discard_iteratorINS7_11use_defaultEEES9_S9_S9_S9_S9_S9_S9_S9_EEEESB_EEENSN_IJSM_SM_EEESB_PlJNSF_9not_fun_tINSF_14equal_to_valueISA_EEEEEEE10hipError_tPvRmT3_T4_T5_T6_T7_T9_mT8_P12ihipStream_tbDpT10_ENKUlT_T0_E_clISt17integral_constantIbLb0EES1J_EEDaS1E_S1F_EUlS1E_E_NS1_11comp_targetILNS1_3genE10ELNS1_11target_archE1200ELNS1_3gpuE4ELNS1_3repE0EEENS1_30default_config_static_selectorELNS0_4arch9wavefront6targetE0EEEvT1_
	.globl	_ZN7rocprim17ROCPRIM_400000_NS6detail17trampoline_kernelINS0_14default_configENS1_25partition_config_selectorILNS1_17partition_subalgoE6EN6thrust23THRUST_200600_302600_NS5tupleIffNS7_9null_typeES9_S9_S9_S9_S9_S9_S9_EENS0_10empty_typeEbEEZZNS1_14partition_implILS5_6ELb0ES3_mNS7_12zip_iteratorINS8_INS7_6detail15normal_iteratorINS7_10device_ptrIfEEEESJ_S9_S9_S9_S9_S9_S9_S9_S9_EEEEPSB_SM_NS0_5tupleIJNSE_INS8_ISJ_NS7_16discard_iteratorINS7_11use_defaultEEES9_S9_S9_S9_S9_S9_S9_S9_EEEESB_EEENSN_IJSM_SM_EEESB_PlJNSF_9not_fun_tINSF_14equal_to_valueISA_EEEEEEE10hipError_tPvRmT3_T4_T5_T6_T7_T9_mT8_P12ihipStream_tbDpT10_ENKUlT_T0_E_clISt17integral_constantIbLb0EES1J_EEDaS1E_S1F_EUlS1E_E_NS1_11comp_targetILNS1_3genE10ELNS1_11target_archE1200ELNS1_3gpuE4ELNS1_3repE0EEENS1_30default_config_static_selectorELNS0_4arch9wavefront6targetE0EEEvT1_
	.p2align	8
	.type	_ZN7rocprim17ROCPRIM_400000_NS6detail17trampoline_kernelINS0_14default_configENS1_25partition_config_selectorILNS1_17partition_subalgoE6EN6thrust23THRUST_200600_302600_NS5tupleIffNS7_9null_typeES9_S9_S9_S9_S9_S9_S9_EENS0_10empty_typeEbEEZZNS1_14partition_implILS5_6ELb0ES3_mNS7_12zip_iteratorINS8_INS7_6detail15normal_iteratorINS7_10device_ptrIfEEEESJ_S9_S9_S9_S9_S9_S9_S9_S9_EEEEPSB_SM_NS0_5tupleIJNSE_INS8_ISJ_NS7_16discard_iteratorINS7_11use_defaultEEES9_S9_S9_S9_S9_S9_S9_S9_EEEESB_EEENSN_IJSM_SM_EEESB_PlJNSF_9not_fun_tINSF_14equal_to_valueISA_EEEEEEE10hipError_tPvRmT3_T4_T5_T6_T7_T9_mT8_P12ihipStream_tbDpT10_ENKUlT_T0_E_clISt17integral_constantIbLb0EES1J_EEDaS1E_S1F_EUlS1E_E_NS1_11comp_targetILNS1_3genE10ELNS1_11target_archE1200ELNS1_3gpuE4ELNS1_3repE0EEENS1_30default_config_static_selectorELNS0_4arch9wavefront6targetE0EEEvT1_,@function
_ZN7rocprim17ROCPRIM_400000_NS6detail17trampoline_kernelINS0_14default_configENS1_25partition_config_selectorILNS1_17partition_subalgoE6EN6thrust23THRUST_200600_302600_NS5tupleIffNS7_9null_typeES9_S9_S9_S9_S9_S9_S9_EENS0_10empty_typeEbEEZZNS1_14partition_implILS5_6ELb0ES3_mNS7_12zip_iteratorINS8_INS7_6detail15normal_iteratorINS7_10device_ptrIfEEEESJ_S9_S9_S9_S9_S9_S9_S9_S9_EEEEPSB_SM_NS0_5tupleIJNSE_INS8_ISJ_NS7_16discard_iteratorINS7_11use_defaultEEES9_S9_S9_S9_S9_S9_S9_S9_EEEESB_EEENSN_IJSM_SM_EEESB_PlJNSF_9not_fun_tINSF_14equal_to_valueISA_EEEEEEE10hipError_tPvRmT3_T4_T5_T6_T7_T9_mT8_P12ihipStream_tbDpT10_ENKUlT_T0_E_clISt17integral_constantIbLb0EES1J_EEDaS1E_S1F_EUlS1E_E_NS1_11comp_targetILNS1_3genE10ELNS1_11target_archE1200ELNS1_3gpuE4ELNS1_3repE0EEENS1_30default_config_static_selectorELNS0_4arch9wavefront6targetE0EEEvT1_: ; @_ZN7rocprim17ROCPRIM_400000_NS6detail17trampoline_kernelINS0_14default_configENS1_25partition_config_selectorILNS1_17partition_subalgoE6EN6thrust23THRUST_200600_302600_NS5tupleIffNS7_9null_typeES9_S9_S9_S9_S9_S9_S9_EENS0_10empty_typeEbEEZZNS1_14partition_implILS5_6ELb0ES3_mNS7_12zip_iteratorINS8_INS7_6detail15normal_iteratorINS7_10device_ptrIfEEEESJ_S9_S9_S9_S9_S9_S9_S9_S9_EEEEPSB_SM_NS0_5tupleIJNSE_INS8_ISJ_NS7_16discard_iteratorINS7_11use_defaultEEES9_S9_S9_S9_S9_S9_S9_S9_EEEESB_EEENSN_IJSM_SM_EEESB_PlJNSF_9not_fun_tINSF_14equal_to_valueISA_EEEEEEE10hipError_tPvRmT3_T4_T5_T6_T7_T9_mT8_P12ihipStream_tbDpT10_ENKUlT_T0_E_clISt17integral_constantIbLb0EES1J_EEDaS1E_S1F_EUlS1E_E_NS1_11comp_targetILNS1_3genE10ELNS1_11target_archE1200ELNS1_3gpuE4ELNS1_3repE0EEENS1_30default_config_static_selectorELNS0_4arch9wavefront6targetE0EEEvT1_
; %bb.0:
	s_clause 0x5
	s_load_b64 s[2:3], s[0:1], 0x18
	s_load_b128 s[12:15], s[0:1], 0x58
	s_load_b32 s4, s[0:1], 0x80
	s_load_b128 s[20:23], s[0:1], 0x8
	s_load_b64 s[6:7], s[0:1], 0x68
	s_load_b64 s[16:17], s[0:1], 0x88
	s_mov_b32 s5, 0
	v_lshlrev_b32_e32 v9, 2, v0
	v_lshrrev_b32_e32 v10, 2, v0
	v_or_b32_e32 v12, 0x200, v0
	v_or_b32_e32 v11, 0x300, v0
	s_mov_b32 s8, -1
	s_wait_kmcnt 0x0
	s_lshl_b64 s[18:19], s[2:3], 2
	s_load_b64 s[10:11], s[14:15], 0x0
	s_add_co_i32 s9, s4, -1
	s_lshl_b32 s4, s4, 10
	s_add_nc_u64 s[20:21], s[20:21], s[18:19]
	s_add_nc_u64 s[14:15], s[2:3], s[4:5]
	s_lshl_b32 s3, s9, 10
	v_cmp_le_u64_e64 s15, s[6:7], s[14:15]
	s_add_co_i32 s7, s2, s3
	s_cmp_eq_u32 ttmp9, s9
	s_add_nc_u64 s[18:19], s[22:23], s[18:19]
	s_cselect_b32 s14, -1, 0
	s_lshl_b32 s4, ttmp9, 10
	s_wait_alu 0xfffe
	s_and_b32 s2, s14, s15
	s_lshl_b64 s[4:5], s[4:5], 2
	s_xor_b32 s15, s2, -1
	s_add_nc_u64 s[2:3], s[20:21], s[4:5]
	s_wait_alu 0xfffe
	s_and_b32 vcc_lo, exec_lo, s15
	s_add_nc_u64 s[4:5], s[18:19], s[4:5]
	s_cbranch_vccz .LBB1858_2
; %bb.1:
	s_clause 0x7
	global_load_b32 v1, v9, s[2:3]
	global_load_b32 v2, v9, s[4:5]
	global_load_b32 v3, v9, s[2:3] offset:1024
	global_load_b32 v4, v9, s[4:5] offset:1024
	;; [unrolled: 1-line block ×6, first 2 shown]
	v_or_b32_e32 v13, 0x100, v0
	v_lshrrev_b32_e32 v14, 2, v12
	v_lshrrev_b32_e32 v15, 2, v11
	v_and_b32_e32 v16, 56, v10
	v_lshlrev_b32_e32 v17, 3, v0
	v_lshrrev_b32_e32 v13, 2, v13
	v_and_b32_e32 v14, 0xb8, v14
	v_and_b32_e32 v15, 0xf8, v15
	s_mov_b32 s8, 0
	v_add_nc_u32_e32 v16, v16, v17
	v_and_b32_e32 v13, 0x78, v13
	v_add_nc_u32_e32 v14, v14, v17
	v_add_nc_u32_e32 v15, v15, v17
	s_delay_alu instid0(VALU_DEP_3)
	v_add_nc_u32_e32 v13, v13, v17
	s_wait_loadcnt 0x6
	ds_store_b64 v16, v[1:2]
	s_wait_loadcnt 0x4
	ds_store_b64 v13, v[3:4] offset:2048
	s_wait_loadcnt 0x2
	ds_store_b64 v14, v[5:6] offset:4096
	;; [unrolled: 2-line block ×3, first 2 shown]
	s_wait_dscnt 0x0
	s_barrier_signal -1
	s_barrier_wait -1
.LBB1858_2:
	s_and_not1_b32 vcc_lo, exec_lo, s8
	s_sub_co_i32 s18, s6, s7
	s_cbranch_vccnz .LBB1858_12
; %bb.3:
	v_dual_mov_b32 v2, 0 :: v_dual_mov_b32 v3, 0
	v_mov_b32_e32 v4, 0
	s_mov_b32 s6, exec_lo
	v_cmpx_gt_u32_e64 s18, v0
	s_cbranch_execz .LBB1858_5
; %bb.4:
	s_clause 0x1
	global_load_b32 v3, v9, s[2:3]
	global_load_b32 v4, v9, s[4:5]
.LBB1858_5:
	s_wait_alu 0xfffe
	s_or_b32 exec_lo, exec_lo, s6
	v_or_b32_e32 v13, 0x100, v0
	v_mov_b32_e32 v1, 0
	s_mov_b32 s6, exec_lo
	s_delay_alu instid0(VALU_DEP_2)
	v_cmpx_gt_u32_e64 s18, v13
	s_cbranch_execz .LBB1858_7
; %bb.6:
	s_clause 0x1
	global_load_b32 v1, v9, s[2:3] offset:1024
	global_load_b32 v2, v9, s[4:5] offset:1024
.LBB1858_7:
	s_wait_alu 0xfffe
	s_or_b32 exec_lo, exec_lo, s6
	v_dual_mov_b32 v6, 0 :: v_dual_mov_b32 v7, 0
	v_mov_b32_e32 v8, 0
	s_mov_b32 s6, exec_lo
	v_cmpx_gt_u32_e64 s18, v12
	s_cbranch_execz .LBB1858_9
; %bb.8:
	s_clause 0x1
	global_load_b32 v7, v9, s[2:3] offset:2048
	global_load_b32 v8, v9, s[4:5] offset:2048
.LBB1858_9:
	s_wait_alu 0xfffe
	s_or_b32 exec_lo, exec_lo, s6
	v_mov_b32_e32 v5, 0
	s_mov_b32 s6, exec_lo
	v_cmpx_gt_u32_e64 s18, v11
	s_cbranch_execz .LBB1858_11
; %bb.10:
	s_clause 0x1
	global_load_b32 v5, v9, s[2:3] offset:3072
	global_load_b32 v6, v9, s[4:5] offset:3072
.LBB1858_11:
	s_wait_alu 0xfffe
	s_or_b32 exec_lo, exec_lo, s6
	v_lshrrev_b32_e32 v13, 2, v13
	v_lshrrev_b32_e32 v12, 2, v12
	;; [unrolled: 1-line block ×3, first 2 shown]
	v_and_b32_e32 v10, 56, v10
	v_lshlrev_b32_e32 v14, 3, v0
	v_and_b32_e32 v13, 0x78, v13
	v_and_b32_e32 v12, 0xf8, v12
	v_and_b32_e32 v11, 0xf8, v11
	s_delay_alu instid0(VALU_DEP_4) | instskip(NEXT) | instid1(VALU_DEP_4)
	v_add_nc_u32_e32 v10, v10, v14
	v_add_nc_u32_e32 v13, v13, v14
	s_delay_alu instid0(VALU_DEP_4) | instskip(NEXT) | instid1(VALU_DEP_4)
	v_add_nc_u32_e32 v12, v12, v14
	v_add_nc_u32_e32 v11, v11, v14
	s_wait_loadcnt 0x0
	ds_store_b64 v10, v[3:4]
	ds_store_b64 v13, v[1:2] offset:2048
	ds_store_b64 v12, v[7:8] offset:4096
	;; [unrolled: 1-line block ×3, first 2 shown]
	s_wait_dscnt 0x0
	s_barrier_signal -1
	s_barrier_wait -1
.LBB1858_12:
	v_and_b32_e32 v1, 0xf8, v0
	global_inv scope:SCOPE_SE
	s_and_not1_b32 vcc_lo, exec_lo, s15
	v_lshl_add_u32 v5, v0, 5, v1
	ds_load_2addr_b64 v[1:4], v5 offset1:3
	ds_load_2addr_b64 v[5:8], v5 offset0:1 offset1:2
	s_wait_loadcnt_dscnt 0x0
	s_barrier_signal -1
	s_barrier_wait -1
	global_inv scope:SCOPE_SE
	v_cmp_neq_f32_e64 s2, s16, v1
	v_cmp_neq_f32_e64 s4, s17, v2
	;; [unrolled: 1-line block ×8, first 2 shown]
	s_cbranch_vccnz .LBB1858_14
; %bb.13:
	s_or_b32 s7, s7, s9
	s_or_b32 s6, s6, s8
	s_wait_alu 0xfffe
	v_cndmask_b32_e64 v25, 0, 1, s7
	v_cndmask_b32_e64 v10, 0, 1, s6
	s_or_b32 s2, s2, s4
	s_or_b32 s8, s3, s5
	v_cndmask_b32_e64 v27, 0, 1, s2
	v_lshlrev_b16 v11, 8, v25
	s_delay_alu instid0(VALU_DEP_1)
	v_or_b32_e32 v26, v10, v11
	s_cbranch_execz .LBB1858_15
	s_branch .LBB1858_16
.LBB1858_14:
                                        ; implicit-def: $sgpr8
                                        ; implicit-def: $vgpr27
                                        ; implicit-def: $vgpr26
                                        ; implicit-def: $vgpr25
.LBB1858_15:
	v_or_b32_e32 v10, 2, v9
	v_cmp_neq_f32_e32 vcc_lo, s16, v7
	v_cmp_neq_f32_e64 s2, s17, v8
	v_cmp_neq_f32_e64 s4, s16, v5
	;; [unrolled: 1-line block ×3, first 2 shown]
	v_cmp_gt_u32_e64 s3, s18, v10
	v_or_b32_e32 v10, 1, v9
	s_or_b32 s2, vcc_lo, s2
	v_cmp_neq_f32_e32 vcc_lo, s17, v6
	v_or_b32_e32 v12, 3, v9
	s_wait_alu 0xfffe
	s_and_b32 s2, s3, s2
	v_cmp_neq_f32_e64 s3, s16, v1
	s_wait_alu 0xfffe
	v_cndmask_b32_e64 v25, 0, 1, s2
	v_cmp_gt_u32_e64 s2, s18, v10
	s_or_b32 s4, s4, vcc_lo
	v_cmp_neq_f32_e32 vcc_lo, s16, v3
	s_or_b32 s5, s3, s5
	v_cmp_gt_u32_e64 s3, s18, v12
	s_and_b32 s2, s2, s4
	v_cmp_gt_u32_e64 s4, s18, v9
	s_wait_alu 0xfffe
	v_cndmask_b32_e64 v11, 0, 1, s2
	v_cmp_neq_f32_e64 s2, s17, v4
	v_lshlrev_b16 v10, 8, v25
	s_and_b32 s4, s4, s5
	s_or_b32 s2, vcc_lo, s2
	s_delay_alu instid0(VALU_DEP_1)
	v_or_b32_e32 v26, v11, v10
	s_wait_alu 0xfffe
	s_and_b32 s2, s3, s2
	v_cndmask_b32_e64 v27, 0, 1, s4
	s_and_not1_b32 s3, s8, exec_lo
	s_wait_alu 0xfffe
	s_and_b32 s2, s2, exec_lo
	s_wait_alu 0xfffe
	s_or_b32 s8, s3, s2
.LBB1858_16:
	s_load_b64 s[6:7], s[0:1], 0x78
	v_and_b32_e32 v30, 0xff, v27
	v_dual_mov_b32 v10, 0 :: v_dual_and_b32 v29, 0xff, v26
	v_cndmask_b32_e64 v9, 0, 1, s8
	v_mbcnt_lo_u32_b32 v31, -1, 0
	v_and_b32_e32 v28, 0xff, v25
	s_cmp_lg_u32 ttmp9, 0
	s_mov_b32 s3, -1
	v_add3_u32 v9, v30, v9, v29
	v_and_b32_e32 v32, 15, v31
	s_delay_alu instid0(VALU_DEP_2) | instskip(SKIP_2) | instid1(VALU_DEP_3)
	v_add_co_u32 v17, s2, v9, v28
	s_wait_alu 0xf1ff
	v_add_co_ci_u32_e64 v18, null, 0, 0, s2
	v_cmp_ne_u32_e64 s2, 0, v32
	s_cbranch_scc0 .LBB1858_73
; %bb.17:
	v_mov_b32_e32 v11, v17
	v_mov_b32_dpp v9, v17 row_shr:1 row_mask:0xf bank_mask:0xf
	v_mov_b32_dpp v14, v10 row_shr:1 row_mask:0xf bank_mask:0xf
	v_dual_mov_b32 v13, v17 :: v_dual_mov_b32 v12, v18
	s_and_saveexec_b32 s3, s2
; %bb.18:
	s_delay_alu instid0(VALU_DEP_3) | instskip(NEXT) | instid1(VALU_DEP_1)
	v_add_co_u32 v13, vcc_lo, v17, v9
	v_add_co_ci_u32_e64 v10, null, 0, v18, vcc_lo
	s_delay_alu instid0(VALU_DEP_2) | instskip(SKIP_1) | instid1(VALU_DEP_2)
	v_add_co_u32 v9, vcc_lo, 0, v13
	s_wait_alu 0xfffd
	v_add_co_ci_u32_e64 v10, null, v14, v10, vcc_lo
	s_delay_alu instid0(VALU_DEP_1)
	v_dual_mov_b32 v12, v10 :: v_dual_mov_b32 v11, v9
; %bb.19:
	s_wait_alu 0xfffe
	s_or_b32 exec_lo, exec_lo, s3
	v_mov_b32_dpp v9, v13 row_shr:2 row_mask:0xf bank_mask:0xf
	v_mov_b32_dpp v14, v10 row_shr:2 row_mask:0xf bank_mask:0xf
	s_mov_b32 s3, exec_lo
	v_cmpx_lt_u32_e32 1, v32
; %bb.20:
	s_delay_alu instid0(VALU_DEP_3) | instskip(SKIP_2) | instid1(VALU_DEP_2)
	v_add_co_u32 v13, vcc_lo, v11, v9
	s_wait_alu 0xfffd
	v_add_co_ci_u32_e64 v10, null, 0, v12, vcc_lo
	v_add_co_u32 v9, vcc_lo, 0, v13
	s_wait_alu 0xfffd
	s_delay_alu instid0(VALU_DEP_2) | instskip(NEXT) | instid1(VALU_DEP_1)
	v_add_co_ci_u32_e64 v10, null, v14, v10, vcc_lo
	v_dual_mov_b32 v12, v10 :: v_dual_mov_b32 v11, v9
; %bb.21:
	s_wait_alu 0xfffe
	s_or_b32 exec_lo, exec_lo, s3
	v_mov_b32_dpp v9, v13 row_shr:4 row_mask:0xf bank_mask:0xf
	v_mov_b32_dpp v14, v10 row_shr:4 row_mask:0xf bank_mask:0xf
	s_mov_b32 s3, exec_lo
	v_cmpx_lt_u32_e32 3, v32
; %bb.22:
	s_delay_alu instid0(VALU_DEP_3) | instskip(SKIP_2) | instid1(VALU_DEP_2)
	v_add_co_u32 v13, vcc_lo, v11, v9
	s_wait_alu 0xfffd
	v_add_co_ci_u32_e64 v10, null, 0, v12, vcc_lo
	v_add_co_u32 v9, vcc_lo, 0, v13
	s_wait_alu 0xfffd
	s_delay_alu instid0(VALU_DEP_2) | instskip(NEXT) | instid1(VALU_DEP_1)
	v_add_co_ci_u32_e64 v10, null, v14, v10, vcc_lo
	;; [unrolled: 17-line block ×3, first 2 shown]
	v_mov_b32_e32 v10, v12
; %bb.25:
	s_wait_alu 0xfffe
	s_or_b32 exec_lo, exec_lo, s3
	ds_swizzle_b32 v9, v13 offset:swizzle(BROADCAST,32,15)
	ds_swizzle_b32 v14, v10 offset:swizzle(BROADCAST,32,15)
	v_and_b32_e32 v15, 16, v31
	s_mov_b32 s3, exec_lo
	s_delay_alu instid0(VALU_DEP_1)
	v_cmpx_ne_u32_e32 0, v15
	s_cbranch_execz .LBB1858_27
; %bb.26:
	s_wait_dscnt 0x1
	v_add_co_u32 v13, vcc_lo, v11, v9
	s_wait_alu 0xfffd
	v_add_co_ci_u32_e64 v10, null, 0, v12, vcc_lo
	s_delay_alu instid0(VALU_DEP_2) | instskip(SKIP_2) | instid1(VALU_DEP_2)
	v_add_co_u32 v9, vcc_lo, 0, v13
	s_wait_dscnt 0x0
	s_wait_alu 0xfffd
	v_add_co_ci_u32_e64 v10, null, v14, v10, vcc_lo
	s_delay_alu instid0(VALU_DEP_1)
	v_dual_mov_b32 v12, v10 :: v_dual_mov_b32 v11, v9
.LBB1858_27:
	s_wait_alu 0xfffe
	s_or_b32 exec_lo, exec_lo, s3
	s_wait_dscnt 0x0
	v_or_b32_e32 v14, 31, v0
	v_lshrrev_b32_e32 v9, 5, v0
	s_mov_b32 s3, exec_lo
	s_delay_alu instid0(VALU_DEP_2)
	v_cmpx_eq_u32_e64 v0, v14
; %bb.28:
	s_delay_alu instid0(VALU_DEP_2)
	v_lshlrev_b32_e32 v14, 3, v9
	ds_store_b64 v14, v[11:12]
; %bb.29:
	s_wait_alu 0xfffe
	s_or_b32 exec_lo, exec_lo, s3
	s_delay_alu instid0(SALU_CYCLE_1)
	s_mov_b32 s3, exec_lo
	s_wait_loadcnt_dscnt 0x0
	s_barrier_signal -1
	s_barrier_wait -1
	global_inv scope:SCOPE_SE
	v_cmpx_gt_u32_e32 8, v0
	s_cbranch_execz .LBB1858_37
; %bb.30:
	v_lshlrev_b32_e32 v14, 3, v0
	s_mov_b32 s4, exec_lo
	ds_load_b64 v[11:12], v14
	s_wait_dscnt 0x0
	v_dual_mov_b32 v16, v11 :: v_dual_and_b32 v15, 7, v31
	v_mov_b32_dpp v20, v11 row_shr:1 row_mask:0xf bank_mask:0xf
	v_mov_b32_dpp v19, v12 row_shr:1 row_mask:0xf bank_mask:0xf
	s_delay_alu instid0(VALU_DEP_3)
	v_cmpx_ne_u32_e32 0, v15
; %bb.31:
	s_delay_alu instid0(VALU_DEP_3) | instskip(SKIP_2) | instid1(VALU_DEP_2)
	v_add_co_u32 v16, vcc_lo, v11, v20
	s_wait_alu 0xfffd
	v_add_co_ci_u32_e64 v12, null, 0, v12, vcc_lo
	v_add_co_u32 v11, vcc_lo, 0, v16
	s_wait_alu 0xfffd
	s_delay_alu instid0(VALU_DEP_2)
	v_add_co_ci_u32_e64 v12, null, v19, v12, vcc_lo
; %bb.32:
	s_wait_alu 0xfffe
	s_or_b32 exec_lo, exec_lo, s4
	v_mov_b32_dpp v20, v16 row_shr:2 row_mask:0xf bank_mask:0xf
	s_delay_alu instid0(VALU_DEP_2)
	v_mov_b32_dpp v19, v12 row_shr:2 row_mask:0xf bank_mask:0xf
	s_mov_b32 s4, exec_lo
	v_cmpx_lt_u32_e32 1, v15
; %bb.33:
	s_delay_alu instid0(VALU_DEP_3) | instskip(SKIP_2) | instid1(VALU_DEP_2)
	v_add_co_u32 v16, vcc_lo, v11, v20
	s_wait_alu 0xfffd
	v_add_co_ci_u32_e64 v12, null, 0, v12, vcc_lo
	v_add_co_u32 v11, vcc_lo, 0, v16
	s_wait_alu 0xfffd
	s_delay_alu instid0(VALU_DEP_2)
	v_add_co_ci_u32_e64 v12, null, v19, v12, vcc_lo
; %bb.34:
	s_wait_alu 0xfffe
	s_or_b32 exec_lo, exec_lo, s4
	v_mov_b32_dpp v19, v16 row_shr:4 row_mask:0xf bank_mask:0xf
	s_delay_alu instid0(VALU_DEP_2)
	v_mov_b32_dpp v16, v12 row_shr:4 row_mask:0xf bank_mask:0xf
	s_mov_b32 s4, exec_lo
	v_cmpx_lt_u32_e32 3, v15
; %bb.35:
	s_delay_alu instid0(VALU_DEP_3) | instskip(SKIP_2) | instid1(VALU_DEP_2)
	v_add_co_u32 v11, vcc_lo, v11, v19
	s_wait_alu 0xfffd
	v_add_co_ci_u32_e64 v12, null, 0, v12, vcc_lo
	v_add_co_u32 v11, vcc_lo, v11, 0
	s_wait_alu 0xfffd
	s_delay_alu instid0(VALU_DEP_2)
	v_add_co_ci_u32_e64 v12, null, v12, v16, vcc_lo
; %bb.36:
	s_wait_alu 0xfffe
	s_or_b32 exec_lo, exec_lo, s4
	ds_store_b64 v14, v[11:12]
.LBB1858_37:
	s_wait_alu 0xfffe
	s_or_b32 exec_lo, exec_lo, s3
	s_delay_alu instid0(SALU_CYCLE_1)
	s_mov_b32 s4, exec_lo
	v_cmp_gt_u32_e32 vcc_lo, 32, v0
	s_wait_loadcnt_dscnt 0x0
	s_barrier_signal -1
	s_barrier_wait -1
	global_inv scope:SCOPE_SE
                                        ; implicit-def: $vgpr19_vgpr20
	v_cmpx_lt_u32_e32 31, v0
	s_cbranch_execz .LBB1858_39
; %bb.38:
	v_lshl_add_u32 v9, v9, 3, -8
	ds_load_b64 v[19:20], v9
	s_wait_dscnt 0x0
	v_add_co_u32 v13, s3, v13, v19
	s_wait_alu 0xf1ff
	v_add_co_ci_u32_e64 v10, null, v10, v20, s3
.LBB1858_39:
	s_wait_alu 0xfffe
	s_or_b32 exec_lo, exec_lo, s4
	v_sub_co_u32 v9, s3, v31, 1
	s_delay_alu instid0(VALU_DEP_1) | instskip(SKIP_1) | instid1(VALU_DEP_1)
	v_cmp_gt_i32_e64 s4, 0, v9
	s_wait_alu 0xf1ff
	v_cndmask_b32_e64 v9, v9, v31, s4
	s_delay_alu instid0(VALU_DEP_1)
	v_lshlrev_b32_e32 v9, 2, v9
	ds_bpermute_b32 v33, v9, v13
	ds_bpermute_b32 v34, v9, v10
	s_and_saveexec_b32 s4, vcc_lo
	s_cbranch_execz .LBB1858_78
; %bb.40:
	v_mov_b32_e32 v12, 0
	ds_load_b64 v[9:10], v12 offset:56
	s_and_saveexec_b32 s5, s3
	s_cbranch_execz .LBB1858_42
; %bb.41:
	s_add_co_i32 s16, ttmp9, 32
	s_mov_b32 s17, 0
	s_wait_alu 0xfffe
	s_lshl_b64 s[16:17], s[16:17], 4
	s_wait_kmcnt 0x0
	s_wait_alu 0xfffe
	s_add_nc_u64 s[16:17], s[6:7], s[16:17]
	v_mov_b32_e32 v11, 1
	s_wait_alu 0xfffe
	v_dual_mov_b32 v13, s16 :: v_dual_mov_b32 v14, s17
	s_wait_dscnt 0x0
	;;#ASMSTART
	global_store_b128 v[13:14], v[9:12] off scope:SCOPE_DEV	
s_wait_storecnt 0x0
	;;#ASMEND
.LBB1858_42:
	s_wait_alu 0xfffe
	s_or_b32 exec_lo, exec_lo, s5
	v_xad_u32 v21, v31, -1, ttmp9
	s_mov_b32 s9, 0
	s_mov_b32 s5, exec_lo
	s_delay_alu instid0(VALU_DEP_1) | instskip(NEXT) | instid1(VALU_DEP_1)
	v_add_nc_u32_e32 v11, 32, v21
	v_lshlrev_b64_e32 v[11:12], 4, v[11:12]
	s_wait_kmcnt 0x0
	s_delay_alu instid0(VALU_DEP_1) | instskip(SKIP_1) | instid1(VALU_DEP_2)
	v_add_co_u32 v11, vcc_lo, s6, v11
	s_wait_alu 0xfffd
	v_add_co_ci_u32_e64 v12, null, s7, v12, vcc_lo
	;;#ASMSTART
	global_load_b128 v[13:16], v[11:12] off scope:SCOPE_DEV	
s_wait_loadcnt 0x0
	;;#ASMEND
	v_and_b32_e32 v16, 0xff, v15
	s_delay_alu instid0(VALU_DEP_1)
	v_cmpx_eq_u16_e32 0, v16
	s_cbranch_execz .LBB1858_45
.LBB1858_43:                            ; =>This Inner Loop Header: Depth=1
	;;#ASMSTART
	global_load_b128 v[13:16], v[11:12] off scope:SCOPE_DEV	
s_wait_loadcnt 0x0
	;;#ASMEND
	v_and_b32_e32 v16, 0xff, v15
	s_delay_alu instid0(VALU_DEP_1)
	v_cmp_ne_u16_e32 vcc_lo, 0, v16
	s_wait_alu 0xfffe
	s_or_b32 s9, vcc_lo, s9
	s_wait_alu 0xfffe
	s_and_not1_b32 exec_lo, exec_lo, s9
	s_cbranch_execnz .LBB1858_43
; %bb.44:
	s_or_b32 exec_lo, exec_lo, s9
.LBB1858_45:
	s_wait_alu 0xfffe
	s_or_b32 exec_lo, exec_lo, s5
	v_cmp_ne_u32_e32 vcc_lo, 31, v31
	v_and_b32_e32 v12, 0xff, v15
	v_lshlrev_b32_e64 v36, v31, -1
	s_mov_b32 s5, exec_lo
	s_wait_alu 0xfffd
	v_add_co_ci_u32_e64 v11, null, 0, v31, vcc_lo
	v_cmp_eq_u16_e32 vcc_lo, 2, v12
	s_delay_alu instid0(VALU_DEP_2)
	v_dual_mov_b32 v12, v13 :: v_dual_lshlrev_b32 v35, 2, v11
	s_wait_alu 0xfffd
	v_and_or_b32 v11, vcc_lo, v36, 0x80000000
	ds_bpermute_b32 v22, v35, v13
	ds_bpermute_b32 v16, v35, v14
	v_ctz_i32_b32_e32 v11, v11
	s_delay_alu instid0(VALU_DEP_1)
	v_cmpx_lt_u32_e64 v31, v11
	s_cbranch_execz .LBB1858_47
; %bb.46:
	s_wait_dscnt 0x1
	v_add_co_u32 v12, vcc_lo, v13, v22
	s_wait_alu 0xfffd
	v_add_co_ci_u32_e64 v14, null, 0, v14, vcc_lo
	s_delay_alu instid0(VALU_DEP_2) | instskip(SKIP_2) | instid1(VALU_DEP_2)
	v_add_co_u32 v13, vcc_lo, 0, v12
	s_wait_dscnt 0x0
	s_wait_alu 0xfffd
	v_add_co_ci_u32_e64 v14, null, v16, v14, vcc_lo
.LBB1858_47:
	s_wait_alu 0xfffe
	s_or_b32 exec_lo, exec_lo, s5
	v_cmp_gt_u32_e32 vcc_lo, 30, v31
	v_add_nc_u32_e32 v38, 2, v31
	s_mov_b32 s5, exec_lo
	s_wait_dscnt 0x0
	s_wait_alu 0xfffd
	v_cndmask_b32_e64 v16, 0, 2, vcc_lo
	s_delay_alu instid0(VALU_DEP_1)
	v_add_lshl_u32 v37, v16, v31, 2
	ds_bpermute_b32 v22, v37, v12
	ds_bpermute_b32 v16, v37, v14
	v_cmpx_le_u32_e64 v38, v11
	s_cbranch_execz .LBB1858_49
; %bb.48:
	s_wait_dscnt 0x1
	v_add_co_u32 v12, vcc_lo, v13, v22
	s_wait_alu 0xfffd
	v_add_co_ci_u32_e64 v14, null, 0, v14, vcc_lo
	s_delay_alu instid0(VALU_DEP_2) | instskip(SKIP_2) | instid1(VALU_DEP_2)
	v_add_co_u32 v13, vcc_lo, 0, v12
	s_wait_dscnt 0x0
	s_wait_alu 0xfffd
	v_add_co_ci_u32_e64 v14, null, v16, v14, vcc_lo
.LBB1858_49:
	s_wait_alu 0xfffe
	s_or_b32 exec_lo, exec_lo, s5
	v_cmp_gt_u32_e32 vcc_lo, 28, v31
	v_add_nc_u32_e32 v40, 4, v31
	s_mov_b32 s5, exec_lo
	s_wait_dscnt 0x0
	s_wait_alu 0xfffd
	v_cndmask_b32_e64 v16, 0, 4, vcc_lo
	s_delay_alu instid0(VALU_DEP_1)
	v_add_lshl_u32 v39, v16, v31, 2
	ds_bpermute_b32 v22, v39, v12
	ds_bpermute_b32 v16, v39, v14
	v_cmpx_le_u32_e64 v40, v11
	;; [unrolled: 25-line block ×3, first 2 shown]
	s_cbranch_execz .LBB1858_53
; %bb.52:
	s_wait_dscnt 0x1
	v_add_co_u32 v12, vcc_lo, v13, v22
	s_wait_alu 0xfffd
	v_add_co_ci_u32_e64 v14, null, 0, v14, vcc_lo
	s_delay_alu instid0(VALU_DEP_2) | instskip(SKIP_2) | instid1(VALU_DEP_2)
	v_add_co_u32 v13, vcc_lo, 0, v12
	s_wait_dscnt 0x0
	s_wait_alu 0xfffd
	v_add_co_ci_u32_e64 v14, null, v16, v14, vcc_lo
.LBB1858_53:
	s_wait_alu 0xfffe
	s_or_b32 exec_lo, exec_lo, s5
	v_lshl_or_b32 v43, v31, 2, 64
	v_add_nc_u32_e32 v44, 16, v31
	s_mov_b32 s5, exec_lo
	s_wait_dscnt 0x0
	ds_bpermute_b32 v16, v43, v12
	ds_bpermute_b32 v12, v43, v14
	v_cmpx_le_u32_e64 v44, v11
	s_cbranch_execz .LBB1858_55
; %bb.54:
	s_wait_dscnt 0x1
	v_add_co_u32 v11, vcc_lo, v13, v16
	s_wait_alu 0xfffd
	v_add_co_ci_u32_e64 v14, null, 0, v14, vcc_lo
	s_delay_alu instid0(VALU_DEP_2) | instskip(SKIP_2) | instid1(VALU_DEP_2)
	v_add_co_u32 v13, vcc_lo, v11, 0
	s_wait_dscnt 0x0
	s_wait_alu 0xfffd
	v_add_co_ci_u32_e64 v14, null, v14, v12, vcc_lo
.LBB1858_55:
	s_wait_alu 0xfffe
	s_or_b32 exec_lo, exec_lo, s5
	v_mov_b32_e32 v22, 0
	s_branch .LBB1858_58
.LBB1858_56:                            ;   in Loop: Header=BB1858_58 Depth=1
	s_wait_alu 0xfffe
	s_or_b32 exec_lo, exec_lo, s5
	v_add_co_u32 v13, vcc_lo, v13, v11
	v_subrev_nc_u32_e32 v21, 32, v21
	s_wait_alu 0xfffd
	v_add_co_ci_u32_e64 v14, null, v14, v12, vcc_lo
	s_mov_b32 s5, 0
.LBB1858_57:                            ;   in Loop: Header=BB1858_58 Depth=1
	s_wait_alu 0xfffe
	s_and_b32 vcc_lo, exec_lo, s5
	s_wait_alu 0xfffe
	s_cbranch_vccnz .LBB1858_74
.LBB1858_58:                            ; =>This Loop Header: Depth=1
                                        ;     Child Loop BB1858_61 Depth 2
	v_and_b32_e32 v11, 0xff, v15
	s_mov_b32 s5, -1
	s_delay_alu instid0(VALU_DEP_1)
	v_cmp_ne_u16_e32 vcc_lo, 2, v11
	s_wait_dscnt 0x0
	v_dual_mov_b32 v11, v13 :: v_dual_mov_b32 v12, v14
                                        ; implicit-def: $vgpr13_vgpr14
	s_cmp_lg_u32 vcc_lo, exec_lo
	s_cbranch_scc1 .LBB1858_57
; %bb.59:                               ;   in Loop: Header=BB1858_58 Depth=1
	v_lshlrev_b64_e32 v[13:14], 4, v[21:22]
	s_mov_b32 s5, exec_lo
	s_delay_alu instid0(VALU_DEP_1) | instskip(SKIP_1) | instid1(VALU_DEP_2)
	v_add_co_u32 v23, vcc_lo, s6, v13
	s_wait_alu 0xfffd
	v_add_co_ci_u32_e64 v24, null, s7, v14, vcc_lo
	;;#ASMSTART
	global_load_b128 v[13:16], v[23:24] off scope:SCOPE_DEV	
s_wait_loadcnt 0x0
	;;#ASMEND
	v_and_b32_e32 v16, 0xff, v15
	s_delay_alu instid0(VALU_DEP_1)
	v_cmpx_eq_u16_e32 0, v16
	s_cbranch_execz .LBB1858_63
; %bb.60:                               ;   in Loop: Header=BB1858_58 Depth=1
	s_mov_b32 s9, 0
.LBB1858_61:                            ;   Parent Loop BB1858_58 Depth=1
                                        ; =>  This Inner Loop Header: Depth=2
	;;#ASMSTART
	global_load_b128 v[13:16], v[23:24] off scope:SCOPE_DEV	
s_wait_loadcnt 0x0
	;;#ASMEND
	v_and_b32_e32 v16, 0xff, v15
	s_delay_alu instid0(VALU_DEP_1)
	v_cmp_ne_u16_e32 vcc_lo, 0, v16
	s_wait_alu 0xfffe
	s_or_b32 s9, vcc_lo, s9
	s_wait_alu 0xfffe
	s_and_not1_b32 exec_lo, exec_lo, s9
	s_cbranch_execnz .LBB1858_61
; %bb.62:                               ;   in Loop: Header=BB1858_58 Depth=1
	s_or_b32 exec_lo, exec_lo, s9
.LBB1858_63:                            ;   in Loop: Header=BB1858_58 Depth=1
	s_wait_alu 0xfffe
	s_or_b32 exec_lo, exec_lo, s5
	v_dual_mov_b32 v23, v13 :: v_dual_and_b32 v16, 0xff, v15
	ds_bpermute_b32 v45, v35, v13
	ds_bpermute_b32 v24, v35, v14
	s_mov_b32 s5, exec_lo
	v_cmp_eq_u16_e32 vcc_lo, 2, v16
	s_wait_alu 0xfffd
	v_and_or_b32 v16, vcc_lo, v36, 0x80000000
	s_delay_alu instid0(VALU_DEP_1) | instskip(NEXT) | instid1(VALU_DEP_1)
	v_ctz_i32_b32_e32 v16, v16
	v_cmpx_lt_u32_e64 v31, v16
	s_cbranch_execz .LBB1858_65
; %bb.64:                               ;   in Loop: Header=BB1858_58 Depth=1
	s_wait_dscnt 0x1
	v_add_co_u32 v23, vcc_lo, v13, v45
	s_wait_alu 0xfffd
	v_add_co_ci_u32_e64 v14, null, 0, v14, vcc_lo
	s_delay_alu instid0(VALU_DEP_2) | instskip(SKIP_2) | instid1(VALU_DEP_2)
	v_add_co_u32 v13, vcc_lo, 0, v23
	s_wait_dscnt 0x0
	s_wait_alu 0xfffd
	v_add_co_ci_u32_e64 v14, null, v24, v14, vcc_lo
.LBB1858_65:                            ;   in Loop: Header=BB1858_58 Depth=1
	s_wait_alu 0xfffe
	s_or_b32 exec_lo, exec_lo, s5
	s_wait_dscnt 0x1
	ds_bpermute_b32 v45, v37, v23
	s_wait_dscnt 0x1
	ds_bpermute_b32 v24, v37, v14
	s_mov_b32 s5, exec_lo
	v_cmpx_le_u32_e64 v38, v16
	s_cbranch_execz .LBB1858_67
; %bb.66:                               ;   in Loop: Header=BB1858_58 Depth=1
	s_wait_dscnt 0x1
	v_add_co_u32 v23, vcc_lo, v13, v45
	s_wait_alu 0xfffd
	v_add_co_ci_u32_e64 v14, null, 0, v14, vcc_lo
	s_delay_alu instid0(VALU_DEP_2) | instskip(SKIP_2) | instid1(VALU_DEP_2)
	v_add_co_u32 v13, vcc_lo, 0, v23
	s_wait_dscnt 0x0
	s_wait_alu 0xfffd
	v_add_co_ci_u32_e64 v14, null, v24, v14, vcc_lo
.LBB1858_67:                            ;   in Loop: Header=BB1858_58 Depth=1
	s_wait_alu 0xfffe
	s_or_b32 exec_lo, exec_lo, s5
	s_wait_dscnt 0x1
	ds_bpermute_b32 v45, v39, v23
	s_wait_dscnt 0x1
	ds_bpermute_b32 v24, v39, v14
	s_mov_b32 s5, exec_lo
	v_cmpx_le_u32_e64 v40, v16
	s_cbranch_execz .LBB1858_69
; %bb.68:                               ;   in Loop: Header=BB1858_58 Depth=1
	s_wait_dscnt 0x1
	v_add_co_u32 v23, vcc_lo, v13, v45
	s_wait_alu 0xfffd
	v_add_co_ci_u32_e64 v14, null, 0, v14, vcc_lo
	s_delay_alu instid0(VALU_DEP_2) | instskip(SKIP_2) | instid1(VALU_DEP_2)
	v_add_co_u32 v13, vcc_lo, 0, v23
	s_wait_dscnt 0x0
	s_wait_alu 0xfffd
	v_add_co_ci_u32_e64 v14, null, v24, v14, vcc_lo
.LBB1858_69:                            ;   in Loop: Header=BB1858_58 Depth=1
	s_wait_alu 0xfffe
	s_or_b32 exec_lo, exec_lo, s5
	s_wait_dscnt 0x1
	ds_bpermute_b32 v45, v41, v23
	s_wait_dscnt 0x1
	ds_bpermute_b32 v24, v41, v14
	s_mov_b32 s5, exec_lo
	v_cmpx_le_u32_e64 v42, v16
	s_cbranch_execz .LBB1858_71
; %bb.70:                               ;   in Loop: Header=BB1858_58 Depth=1
	s_wait_dscnt 0x1
	v_add_co_u32 v23, vcc_lo, v13, v45
	s_wait_alu 0xfffd
	v_add_co_ci_u32_e64 v14, null, 0, v14, vcc_lo
	s_delay_alu instid0(VALU_DEP_2) | instskip(SKIP_2) | instid1(VALU_DEP_2)
	v_add_co_u32 v13, vcc_lo, 0, v23
	s_wait_dscnt 0x0
	s_wait_alu 0xfffd
	v_add_co_ci_u32_e64 v14, null, v24, v14, vcc_lo
.LBB1858_71:                            ;   in Loop: Header=BB1858_58 Depth=1
	s_wait_alu 0xfffe
	s_or_b32 exec_lo, exec_lo, s5
	s_wait_dscnt 0x0
	ds_bpermute_b32 v24, v43, v23
	ds_bpermute_b32 v23, v43, v14
	s_mov_b32 s5, exec_lo
	v_cmpx_le_u32_e64 v44, v16
	s_cbranch_execz .LBB1858_56
; %bb.72:                               ;   in Loop: Header=BB1858_58 Depth=1
	s_wait_dscnt 0x1
	v_add_co_u32 v13, vcc_lo, v13, v24
	s_wait_alu 0xfffd
	v_add_co_ci_u32_e64 v14, null, 0, v14, vcc_lo
	s_delay_alu instid0(VALU_DEP_2) | instskip(SKIP_2) | instid1(VALU_DEP_2)
	v_add_co_u32 v13, vcc_lo, v13, 0
	s_wait_dscnt 0x0
	s_wait_alu 0xfffd
	v_add_co_ci_u32_e64 v14, null, v14, v23, vcc_lo
	s_branch .LBB1858_56
.LBB1858_73:
                                        ; implicit-def: $vgpr15_vgpr16
                                        ; implicit-def: $vgpr13_vgpr14
                                        ; implicit-def: $vgpr19_vgpr20
                                        ; implicit-def: $vgpr21_vgpr22
                                        ; implicit-def: $vgpr11_vgpr12
	s_wait_alu 0xfffe
	s_and_b32 vcc_lo, exec_lo, s3
	s_cbranch_vccnz .LBB1858_79
	s_branch .LBB1858_104
.LBB1858_74:
	s_and_saveexec_b32 s5, s3
	s_cbranch_execz .LBB1858_76
; %bb.75:
	s_add_co_i32 s16, ttmp9, 32
	s_mov_b32 s17, 0
	v_add_co_u32 v13, vcc_lo, v11, v9
	s_wait_alu 0xfffe
	s_lshl_b64 s[16:17], s[16:17], 4
	v_dual_mov_b32 v15, 2 :: v_dual_mov_b32 v16, 0
	s_wait_alu 0xfffe
	s_add_nc_u64 s[16:17], s[6:7], s[16:17]
	s_wait_alu 0xfffd
	v_add_co_ci_u32_e64 v14, null, v12, v10, vcc_lo
	s_wait_alu 0xfffe
	v_dual_mov_b32 v22, s17 :: v_dual_mov_b32 v21, s16
	;;#ASMSTART
	global_store_b128 v[21:22], v[13:16] off scope:SCOPE_DEV	
s_wait_storecnt 0x0
	;;#ASMEND
	ds_store_b128 v16, v[9:12] offset:8448
.LBB1858_76:
	s_wait_alu 0xfffe
	s_or_b32 exec_lo, exec_lo, s5
	v_cmp_eq_u32_e32 vcc_lo, 0, v0
	s_and_b32 exec_lo, exec_lo, vcc_lo
; %bb.77:
	v_mov_b32_e32 v9, 0
	ds_store_b64 v9, v[11:12] offset:56
.LBB1858_78:
	s_wait_alu 0xfffe
	s_or_b32 exec_lo, exec_lo, s4
	s_wait_dscnt 0x1
	v_cndmask_b32_e64 v10, v33, v19, s3
	v_cmp_ne_u32_e32 vcc_lo, 0, v0
	v_mov_b32_e32 v9, 0
	s_wait_loadcnt_dscnt 0x0
	s_barrier_signal -1
	s_barrier_wait -1
	global_inv scope:SCOPE_SE
	s_wait_alu 0xfffd
	v_cndmask_b32_e32 v16, 0, v10, vcc_lo
	ds_load_b64 v[13:14], v9 offset:56
	v_cndmask_b32_e64 v11, v34, v20, s3
	s_wait_loadcnt_dscnt 0x0
	s_barrier_signal -1
	s_barrier_wait -1
	global_inv scope:SCOPE_SE
	v_cndmask_b32_e32 v15, 0, v11, vcc_lo
	ds_load_b128 v[9:12], v9 offset:8448
	v_add_co_u32 v21, vcc_lo, v13, v16
	s_wait_alu 0xfffd
	v_add_co_ci_u32_e64 v22, null, v14, v15, vcc_lo
	s_delay_alu instid0(VALU_DEP_2) | instskip(SKIP_1) | instid1(VALU_DEP_2)
	v_add_co_u32 v19, vcc_lo, v21, v30
	s_wait_alu 0xfffd
	v_add_co_ci_u32_e64 v20, null, 0, v22, vcc_lo
	s_delay_alu instid0(VALU_DEP_2) | instskip(SKIP_1) | instid1(VALU_DEP_2)
	;; [unrolled: 4-line block ×3, first 2 shown]
	v_add_co_u32 v15, vcc_lo, v13, v28
	s_wait_alu 0xfffd
	v_add_co_ci_u32_e64 v16, null, 0, v14, vcc_lo
	s_branch .LBB1858_104
.LBB1858_79:
	s_wait_dscnt 0x0
	v_dual_mov_b32 v10, 0 :: v_dual_mov_b32 v11, v17
	v_mov_b32_dpp v12, v17 row_shr:1 row_mask:0xf bank_mask:0xf
	s_delay_alu instid0(VALU_DEP_2)
	v_mov_b32_dpp v9, v10 row_shr:1 row_mask:0xf bank_mask:0xf
	s_and_saveexec_b32 s3, s2
; %bb.80:
	s_delay_alu instid0(VALU_DEP_2) | instskip(NEXT) | instid1(VALU_DEP_1)
	v_add_co_u32 v11, vcc_lo, v17, v12
	v_add_co_ci_u32_e64 v10, null, 0, v18, vcc_lo
	s_delay_alu instid0(VALU_DEP_2) | instskip(SKIP_1) | instid1(VALU_DEP_2)
	v_add_co_u32 v17, vcc_lo, 0, v11
	s_wait_alu 0xfffd
	v_add_co_ci_u32_e64 v18, null, v9, v10, vcc_lo
	s_delay_alu instid0(VALU_DEP_1)
	v_mov_b32_e32 v10, v18
; %bb.81:
	s_wait_alu 0xfffe
	s_or_b32 exec_lo, exec_lo, s3
	v_mov_b32_dpp v9, v11 row_shr:2 row_mask:0xf bank_mask:0xf
	s_delay_alu instid0(VALU_DEP_2)
	v_mov_b32_dpp v12, v10 row_shr:2 row_mask:0xf bank_mask:0xf
	s_mov_b32 s2, exec_lo
	v_cmpx_lt_u32_e32 1, v32
; %bb.82:
	s_delay_alu instid0(VALU_DEP_3) | instskip(SKIP_2) | instid1(VALU_DEP_2)
	v_add_co_u32 v11, vcc_lo, v17, v9
	s_wait_alu 0xfffd
	v_add_co_ci_u32_e64 v10, null, 0, v18, vcc_lo
	v_add_co_u32 v9, vcc_lo, 0, v11
	s_wait_alu 0xfffd
	s_delay_alu instid0(VALU_DEP_2) | instskip(NEXT) | instid1(VALU_DEP_1)
	v_add_co_ci_u32_e64 v10, null, v12, v10, vcc_lo
	v_dual_mov_b32 v18, v10 :: v_dual_mov_b32 v17, v9
; %bb.83:
	s_wait_alu 0xfffe
	s_or_b32 exec_lo, exec_lo, s2
	v_mov_b32_dpp v9, v11 row_shr:4 row_mask:0xf bank_mask:0xf
	v_mov_b32_dpp v12, v10 row_shr:4 row_mask:0xf bank_mask:0xf
	s_mov_b32 s2, exec_lo
	v_cmpx_lt_u32_e32 3, v32
; %bb.84:
	s_delay_alu instid0(VALU_DEP_3) | instskip(SKIP_2) | instid1(VALU_DEP_2)
	v_add_co_u32 v11, vcc_lo, v17, v9
	s_wait_alu 0xfffd
	v_add_co_ci_u32_e64 v10, null, 0, v18, vcc_lo
	v_add_co_u32 v9, vcc_lo, 0, v11
	s_wait_alu 0xfffd
	s_delay_alu instid0(VALU_DEP_2) | instskip(NEXT) | instid1(VALU_DEP_1)
	v_add_co_ci_u32_e64 v10, null, v12, v10, vcc_lo
	v_dual_mov_b32 v18, v10 :: v_dual_mov_b32 v17, v9
; %bb.85:
	s_wait_alu 0xfffe
	s_or_b32 exec_lo, exec_lo, s2
	v_mov_b32_dpp v12, v11 row_shr:8 row_mask:0xf bank_mask:0xf
	v_mov_b32_dpp v9, v10 row_shr:8 row_mask:0xf bank_mask:0xf
	s_mov_b32 s2, exec_lo
	v_cmpx_lt_u32_e32 7, v32
; %bb.86:
	s_delay_alu instid0(VALU_DEP_3) | instskip(SKIP_2) | instid1(VALU_DEP_2)
	v_add_co_u32 v11, vcc_lo, v17, v12
	s_wait_alu 0xfffd
	v_add_co_ci_u32_e64 v10, null, 0, v18, vcc_lo
	v_add_co_u32 v17, vcc_lo, 0, v11
	s_wait_alu 0xfffd
	s_delay_alu instid0(VALU_DEP_2) | instskip(NEXT) | instid1(VALU_DEP_1)
	v_add_co_ci_u32_e64 v18, null, v9, v10, vcc_lo
	v_mov_b32_e32 v10, v18
; %bb.87:
	s_wait_alu 0xfffe
	s_or_b32 exec_lo, exec_lo, s2
	ds_swizzle_b32 v11, v11 offset:swizzle(BROADCAST,32,15)
	ds_swizzle_b32 v9, v10 offset:swizzle(BROADCAST,32,15)
	v_and_b32_e32 v10, 16, v31
	s_mov_b32 s2, exec_lo
	s_delay_alu instid0(VALU_DEP_1)
	v_cmpx_ne_u32_e32 0, v10
	s_cbranch_execz .LBB1858_89
; %bb.88:
	s_wait_dscnt 0x1
	v_add_co_u32 v10, vcc_lo, v17, v11
	s_wait_alu 0xfffd
	v_add_co_ci_u32_e64 v11, null, 0, v18, vcc_lo
	s_delay_alu instid0(VALU_DEP_2) | instskip(SKIP_2) | instid1(VALU_DEP_2)
	v_add_co_u32 v17, vcc_lo, v10, 0
	s_wait_dscnt 0x0
	s_wait_alu 0xfffd
	v_add_co_ci_u32_e64 v18, null, v11, v9, vcc_lo
.LBB1858_89:
	s_wait_alu 0xfffe
	s_or_b32 exec_lo, exec_lo, s2
	s_wait_dscnt 0x0
	v_or_b32_e32 v9, 31, v0
	v_lshrrev_b32_e32 v11, 5, v0
	s_mov_b32 s2, exec_lo
	s_delay_alu instid0(VALU_DEP_2)
	v_cmpx_eq_u32_e64 v0, v9
; %bb.90:
	s_delay_alu instid0(VALU_DEP_2)
	v_lshlrev_b32_e32 v9, 3, v11
	ds_store_b64 v9, v[17:18]
; %bb.91:
	s_wait_alu 0xfffe
	s_or_b32 exec_lo, exec_lo, s2
	s_delay_alu instid0(SALU_CYCLE_1)
	s_mov_b32 s2, exec_lo
	s_wait_loadcnt_dscnt 0x0
	s_barrier_signal -1
	s_barrier_wait -1
	global_inv scope:SCOPE_SE
	v_cmpx_gt_u32_e32 8, v0
	s_cbranch_execz .LBB1858_99
; %bb.92:
	v_lshlrev_b32_e32 v12, 3, v0
	s_mov_b32 s3, exec_lo
	ds_load_b64 v[9:10], v12
	s_wait_dscnt 0x0
	v_dual_mov_b32 v14, v9 :: v_dual_and_b32 v13, 7, v31
	v_mov_b32_dpp v16, v9 row_shr:1 row_mask:0xf bank_mask:0xf
	v_mov_b32_dpp v15, v10 row_shr:1 row_mask:0xf bank_mask:0xf
	s_delay_alu instid0(VALU_DEP_3)
	v_cmpx_ne_u32_e32 0, v13
; %bb.93:
	s_delay_alu instid0(VALU_DEP_3) | instskip(SKIP_2) | instid1(VALU_DEP_2)
	v_add_co_u32 v14, vcc_lo, v9, v16
	s_wait_alu 0xfffd
	v_add_co_ci_u32_e64 v10, null, 0, v10, vcc_lo
	v_add_co_u32 v9, vcc_lo, 0, v14
	s_wait_alu 0xfffd
	s_delay_alu instid0(VALU_DEP_2)
	v_add_co_ci_u32_e64 v10, null, v15, v10, vcc_lo
; %bb.94:
	s_wait_alu 0xfffe
	s_or_b32 exec_lo, exec_lo, s3
	v_mov_b32_dpp v16, v14 row_shr:2 row_mask:0xf bank_mask:0xf
	s_delay_alu instid0(VALU_DEP_2)
	v_mov_b32_dpp v15, v10 row_shr:2 row_mask:0xf bank_mask:0xf
	s_mov_b32 s3, exec_lo
	v_cmpx_lt_u32_e32 1, v13
; %bb.95:
	s_delay_alu instid0(VALU_DEP_3) | instskip(SKIP_2) | instid1(VALU_DEP_2)
	v_add_co_u32 v14, vcc_lo, v9, v16
	s_wait_alu 0xfffd
	v_add_co_ci_u32_e64 v10, null, 0, v10, vcc_lo
	v_add_co_u32 v9, vcc_lo, 0, v14
	s_wait_alu 0xfffd
	s_delay_alu instid0(VALU_DEP_2)
	v_add_co_ci_u32_e64 v10, null, v15, v10, vcc_lo
; %bb.96:
	s_wait_alu 0xfffe
	s_or_b32 exec_lo, exec_lo, s3
	v_mov_b32_dpp v15, v14 row_shr:4 row_mask:0xf bank_mask:0xf
	s_delay_alu instid0(VALU_DEP_2)
	v_mov_b32_dpp v14, v10 row_shr:4 row_mask:0xf bank_mask:0xf
	s_mov_b32 s3, exec_lo
	v_cmpx_lt_u32_e32 3, v13
; %bb.97:
	s_delay_alu instid0(VALU_DEP_3) | instskip(SKIP_2) | instid1(VALU_DEP_2)
	v_add_co_u32 v9, vcc_lo, v9, v15
	s_wait_alu 0xfffd
	v_add_co_ci_u32_e64 v10, null, 0, v10, vcc_lo
	v_add_co_u32 v9, vcc_lo, v9, 0
	s_wait_alu 0xfffd
	s_delay_alu instid0(VALU_DEP_2)
	v_add_co_ci_u32_e64 v10, null, v10, v14, vcc_lo
; %bb.98:
	s_wait_alu 0xfffe
	s_or_b32 exec_lo, exec_lo, s3
	ds_store_b64 v12, v[9:10]
.LBB1858_99:
	s_wait_alu 0xfffe
	s_or_b32 exec_lo, exec_lo, s2
	v_mov_b32_e32 v13, 0
	v_mov_b32_e32 v14, 0
	s_mov_b32 s2, exec_lo
	s_wait_loadcnt_dscnt 0x0
	s_barrier_signal -1
	s_barrier_wait -1
	global_inv scope:SCOPE_SE
	v_cmpx_lt_u32_e32 31, v0
; %bb.100:
	v_lshl_add_u32 v9, v11, 3, -8
	ds_load_b64 v[13:14], v9
; %bb.101:
	s_wait_alu 0xfffe
	s_or_b32 exec_lo, exec_lo, s2
	v_sub_co_u32 v9, vcc_lo, v31, 1
	v_mov_b32_e32 v12, 0
	s_delay_alu instid0(VALU_DEP_2) | instskip(SKIP_1) | instid1(VALU_DEP_1)
	v_cmp_gt_i32_e64 s2, 0, v9
	s_wait_alu 0xf1ff
	v_cndmask_b32_e64 v9, v9, v31, s2
	s_wait_dscnt 0x0
	v_add_co_u32 v10, s2, v13, v17
	s_wait_alu 0xf1ff
	v_add_co_ci_u32_e64 v11, null, v14, v18, s2
	v_lshlrev_b32_e32 v9, 2, v9
	v_cmp_eq_u32_e64 s2, 0, v0
	ds_bpermute_b32 v15, v9, v10
	ds_bpermute_b32 v16, v9, v11
	ds_load_b64 v[9:10], v12 offset:56
	s_and_saveexec_b32 s3, s2
	s_cbranch_execz .LBB1858_103
; %bb.102:
	s_wait_kmcnt 0x0
	s_add_nc_u64 s[4:5], s[6:7], 0x200
	s_wait_alu 0xfffe
	v_dual_mov_b32 v11, 2 :: v_dual_mov_b32 v18, s5
	v_mov_b32_e32 v17, s4
	s_wait_dscnt 0x0
	;;#ASMSTART
	global_store_b128 v[17:18], v[9:12] off scope:SCOPE_DEV	
s_wait_storecnt 0x0
	;;#ASMEND
.LBB1858_103:
	s_wait_alu 0xfffe
	s_or_b32 exec_lo, exec_lo, s3
	s_wait_dscnt 0x1
	s_wait_alu 0xfffd
	v_dual_cndmask_b32 v11, v15, v13 :: v_dual_cndmask_b32 v12, v16, v14
	s_wait_loadcnt_dscnt 0x0
	s_barrier_signal -1
	s_barrier_wait -1
	s_delay_alu instid0(VALU_DEP_1)
	v_cndmask_b32_e64 v21, v11, 0, s2
	v_cndmask_b32_e64 v22, v12, 0, s2
	v_mov_b32_e32 v11, 0
	v_mov_b32_e32 v12, 0
	global_inv scope:SCOPE_SE
	v_add_co_u32 v19, vcc_lo, v21, v30
	s_wait_alu 0xfffd
	v_add_co_ci_u32_e64 v20, null, 0, v22, vcc_lo
	s_delay_alu instid0(VALU_DEP_2) | instskip(SKIP_1) | instid1(VALU_DEP_2)
	v_add_co_u32 v13, vcc_lo, v19, v29
	s_wait_alu 0xfffd
	v_add_co_ci_u32_e64 v14, null, 0, v20, vcc_lo
	s_delay_alu instid0(VALU_DEP_2) | instskip(SKIP_1) | instid1(VALU_DEP_2)
	v_add_co_u32 v15, vcc_lo, v13, v28
	s_wait_alu 0xfffd
	v_add_co_ci_u32_e64 v16, null, 0, v14, vcc_lo
.LBB1858_104:
	s_load_b64 s[2:3], s[0:1], 0x30
	v_and_b32_e32 v23, 1, v27
	s_wait_dscnt 0x0
	v_cmp_gt_u64_e32 vcc_lo, 0x101, v[9:10]
	s_mov_b32 s1, -1
	s_delay_alu instid0(VALU_DEP_2)
	v_cmp_eq_u32_e64 s0, 1, v23
	s_cbranch_vccnz .LBB1858_108
; %bb.105:
	s_wait_alu 0xfffe
	s_and_b32 vcc_lo, exec_lo, s1
	s_wait_alu 0xfffe
	s_cbranch_vccnz .LBB1858_117
.LBB1858_106:
	v_cmp_eq_u32_e32 vcc_lo, 0, v0
	s_and_b32 s0, vcc_lo, s14
	s_wait_alu 0xfffe
	s_and_saveexec_b32 s1, s0
	s_cbranch_execnz .LBB1858_129
.LBB1858_107:
	s_endpgm
.LBB1858_108:
	v_add_co_u32 v17, vcc_lo, v11, v9
	s_wait_alu 0xfffd
	v_add_co_ci_u32_e64 v18, null, v12, v10, vcc_lo
	s_wait_kmcnt 0x0
	s_lshl_b64 s[4:5], s[10:11], 2
	s_wait_alu 0xfffe
	s_add_nc_u64 s[4:5], s[2:3], s[4:5]
	v_cmp_lt_u64_e32 vcc_lo, v[21:22], v[17:18]
	s_or_b32 s1, s15, vcc_lo
	s_wait_alu 0xfffe
	s_and_b32 s1, s1, s0
	s_wait_alu 0xfffe
	s_and_saveexec_b32 s0, s1
	s_cbranch_execz .LBB1858_110
; %bb.109:
	v_lshlrev_b64_e32 v[27:28], 2, v[21:22]
	s_delay_alu instid0(VALU_DEP_1) | instskip(SKIP_1) | instid1(VALU_DEP_2)
	v_add_co_u32 v27, vcc_lo, s4, v27
	s_wait_alu 0xfffd
	v_add_co_ci_u32_e64 v28, null, s5, v28, vcc_lo
	global_store_b32 v[27:28], v1, off
.LBB1858_110:
	s_wait_alu 0xfffe
	s_or_b32 exec_lo, exec_lo, s0
	v_and_b32_e32 v22, 1, v26
	v_cmp_lt_u64_e32 vcc_lo, v[19:20], v[17:18]
	s_delay_alu instid0(VALU_DEP_2)
	v_cmp_eq_u32_e64 s0, 1, v22
	s_or_b32 s1, s15, vcc_lo
	s_wait_alu 0xfffe
	s_and_b32 s1, s1, s0
	s_wait_alu 0xfffe
	s_and_saveexec_b32 s0, s1
	s_cbranch_execz .LBB1858_112
; %bb.111:
	v_lshlrev_b64_e32 v[27:28], 2, v[19:20]
	s_delay_alu instid0(VALU_DEP_1) | instskip(SKIP_1) | instid1(VALU_DEP_2)
	v_add_co_u32 v27, vcc_lo, s4, v27
	s_wait_alu 0xfffd
	v_add_co_ci_u32_e64 v28, null, s5, v28, vcc_lo
	global_store_b32 v[27:28], v5, off
.LBB1858_112:
	s_wait_alu 0xfffe
	s_or_b32 exec_lo, exec_lo, s0
	v_and_b32_e32 v20, 1, v25
	v_cmp_lt_u64_e32 vcc_lo, v[13:14], v[17:18]
	s_delay_alu instid0(VALU_DEP_2)
	v_cmp_eq_u32_e64 s0, 1, v20
	s_or_b32 s1, s15, vcc_lo
	s_wait_alu 0xfffe
	s_and_b32 s1, s1, s0
	s_wait_alu 0xfffe
	s_and_saveexec_b32 s0, s1
	s_cbranch_execz .LBB1858_114
; %bb.113:
	v_lshlrev_b64_e32 v[27:28], 2, v[13:14]
	s_delay_alu instid0(VALU_DEP_1) | instskip(SKIP_1) | instid1(VALU_DEP_2)
	v_add_co_u32 v27, vcc_lo, s4, v27
	s_wait_alu 0xfffd
	v_add_co_ci_u32_e64 v28, null, s5, v28, vcc_lo
	global_store_b32 v[27:28], v7, off
.LBB1858_114:
	s_wait_alu 0xfffe
	s_or_b32 exec_lo, exec_lo, s0
	v_cmp_lt_u64_e32 vcc_lo, v[15:16], v[17:18]
	s_or_b32 s0, s15, vcc_lo
	s_wait_alu 0xfffe
	s_and_b32 s1, s0, s8
	s_wait_alu 0xfffe
	s_and_saveexec_b32 s0, s1
	s_cbranch_execz .LBB1858_116
; %bb.115:
	v_lshlrev_b64_e32 v[16:17], 2, v[15:16]
	s_delay_alu instid0(VALU_DEP_1) | instskip(SKIP_1) | instid1(VALU_DEP_2)
	v_add_co_u32 v16, vcc_lo, s4, v16
	s_wait_alu 0xfffd
	v_add_co_ci_u32_e64 v17, null, s5, v17, vcc_lo
	global_store_b32 v[16:17], v3, off
.LBB1858_116:
	s_wait_alu 0xfffe
	s_or_b32 exec_lo, exec_lo, s0
	s_branch .LBB1858_106
.LBB1858_117:
	s_mov_b32 s0, exec_lo
	v_cmpx_eq_u32_e32 1, v23
; %bb.118:
	v_sub_nc_u32_e32 v14, v21, v11
	s_delay_alu instid0(VALU_DEP_1)
	v_lshlrev_b32_e32 v14, 3, v14
	ds_store_b64 v14, v[1:2]
; %bb.119:
	s_wait_alu 0xfffe
	s_or_b32 exec_lo, exec_lo, s0
	v_and_b32_e32 v1, 1, v26
	s_mov_b32 s0, exec_lo
	s_delay_alu instid0(VALU_DEP_1)
	v_cmpx_eq_u32_e32 1, v1
; %bb.120:
	v_sub_nc_u32_e32 v1, v19, v11
	s_delay_alu instid0(VALU_DEP_1)
	v_lshlrev_b32_e32 v1, 3, v1
	ds_store_b64 v1, v[5:6]
; %bb.121:
	s_wait_alu 0xfffe
	s_or_b32 exec_lo, exec_lo, s0
	v_and_b32_e32 v1, 1, v25
	s_mov_b32 s0, exec_lo
	s_delay_alu instid0(VALU_DEP_1)
	v_cmpx_eq_u32_e32 1, v1
; %bb.122:
	v_sub_nc_u32_e32 v1, v13, v11
	s_delay_alu instid0(VALU_DEP_1)
	v_lshlrev_b32_e32 v1, 3, v1
	ds_store_b64 v1, v[7:8]
; %bb.123:
	s_wait_alu 0xfffe
	s_or_b32 exec_lo, exec_lo, s0
	s_and_saveexec_b32 s0, s8
; %bb.124:
	v_sub_nc_u32_e32 v1, v15, v11
	s_delay_alu instid0(VALU_DEP_1)
	v_lshlrev_b32_e32 v1, 3, v1
	ds_store_b64 v1, v[3:4]
; %bb.125:
	s_wait_alu 0xfffe
	s_or_b32 exec_lo, exec_lo, s0
	v_mov_b32_e32 v3, 0
	s_mov_b32 s1, exec_lo
	s_wait_storecnt 0x0
	s_wait_loadcnt_dscnt 0x0
	s_barrier_signal -1
	s_barrier_wait -1
	v_mov_b32_e32 v1, v3
	global_inv scope:SCOPE_SE
	v_cmpx_gt_u64_e64 v[9:10], v[0:1]
	s_cbranch_execz .LBB1858_128
; %bb.126:
	v_lshlrev_b64_e32 v[4:5], 2, v[11:12]
	s_wait_kmcnt 0x0
	s_lshl_b64 s[4:5], s[10:11], 2
	v_or_b32_e32 v2, 0x100, v0
	s_wait_alu 0xfffe
	s_add_nc_u64 s[2:3], s[2:3], s[4:5]
	s_wait_alu 0xfffe
	v_add_co_u32 v6, vcc_lo, s2, v4
	s_wait_alu 0xfffd
	v_add_co_ci_u32_e64 v7, null, s3, v5, vcc_lo
	v_dual_mov_b32 v5, v1 :: v_dual_mov_b32 v4, v0
	s_mov_b32 s2, 0
.LBB1858_127:                           ; =>This Inner Loop Header: Depth=1
	s_delay_alu instid0(VALU_DEP_1) | instskip(NEXT) | instid1(VALU_DEP_2)
	v_lshlrev_b32_e32 v1, 3, v4
	v_lshlrev_b64_e32 v[13:14], 2, v[4:5]
	v_dual_mov_b32 v5, v3 :: v_dual_mov_b32 v4, v2
	v_cmp_le_u64_e32 vcc_lo, v[9:10], v[2:3]
	ds_load_b32 v1, v1
	v_add_nc_u32_e32 v2, 0x100, v2
	v_add_co_u32 v13, s0, v6, v13
	s_wait_alu 0xf1ff
	v_add_co_ci_u32_e64 v14, null, v7, v14, s0
	s_wait_alu 0xfffe
	s_or_b32 s2, vcc_lo, s2
	s_wait_dscnt 0x0
	global_store_b32 v[13:14], v1, off
	s_wait_alu 0xfffe
	s_and_not1_b32 exec_lo, exec_lo, s2
	s_cbranch_execnz .LBB1858_127
.LBB1858_128:
	s_wait_alu 0xfffe
	s_or_b32 exec_lo, exec_lo, s1
	v_cmp_eq_u32_e32 vcc_lo, 0, v0
	s_and_b32 s0, vcc_lo, s14
	s_wait_alu 0xfffe
	s_and_saveexec_b32 s1, s0
	s_cbranch_execz .LBB1858_107
.LBB1858_129:
	v_add_co_u32 v0, vcc_lo, v11, v9
	s_wait_alu 0xfffd
	v_add_co_ci_u32_e64 v1, null, v12, v10, vcc_lo
	v_mov_b32_e32 v2, 0
	s_wait_kmcnt 0x0
	v_add_co_u32 v0, vcc_lo, v0, s10
	s_wait_alu 0xfffd
	v_add_co_ci_u32_e64 v1, null, s11, v1, vcc_lo
	global_store_b64 v2, v[0:1], s[12:13]
	s_endpgm
	.section	.rodata,"a",@progbits
	.p2align	6, 0x0
	.amdhsa_kernel _ZN7rocprim17ROCPRIM_400000_NS6detail17trampoline_kernelINS0_14default_configENS1_25partition_config_selectorILNS1_17partition_subalgoE6EN6thrust23THRUST_200600_302600_NS5tupleIffNS7_9null_typeES9_S9_S9_S9_S9_S9_S9_EENS0_10empty_typeEbEEZZNS1_14partition_implILS5_6ELb0ES3_mNS7_12zip_iteratorINS8_INS7_6detail15normal_iteratorINS7_10device_ptrIfEEEESJ_S9_S9_S9_S9_S9_S9_S9_S9_EEEEPSB_SM_NS0_5tupleIJNSE_INS8_ISJ_NS7_16discard_iteratorINS7_11use_defaultEEES9_S9_S9_S9_S9_S9_S9_S9_EEEESB_EEENSN_IJSM_SM_EEESB_PlJNSF_9not_fun_tINSF_14equal_to_valueISA_EEEEEEE10hipError_tPvRmT3_T4_T5_T6_T7_T9_mT8_P12ihipStream_tbDpT10_ENKUlT_T0_E_clISt17integral_constantIbLb0EES1J_EEDaS1E_S1F_EUlS1E_E_NS1_11comp_targetILNS1_3genE10ELNS1_11target_archE1200ELNS1_3gpuE4ELNS1_3repE0EEENS1_30default_config_static_selectorELNS0_4arch9wavefront6targetE0EEEvT1_
		.amdhsa_group_segment_fixed_size 8464
		.amdhsa_private_segment_fixed_size 0
		.amdhsa_kernarg_size 144
		.amdhsa_user_sgpr_count 2
		.amdhsa_user_sgpr_dispatch_ptr 0
		.amdhsa_user_sgpr_queue_ptr 0
		.amdhsa_user_sgpr_kernarg_segment_ptr 1
		.amdhsa_user_sgpr_dispatch_id 0
		.amdhsa_user_sgpr_private_segment_size 0
		.amdhsa_wavefront_size32 1
		.amdhsa_uses_dynamic_stack 0
		.amdhsa_enable_private_segment 0
		.amdhsa_system_sgpr_workgroup_id_x 1
		.amdhsa_system_sgpr_workgroup_id_y 0
		.amdhsa_system_sgpr_workgroup_id_z 0
		.amdhsa_system_sgpr_workgroup_info 0
		.amdhsa_system_vgpr_workitem_id 0
		.amdhsa_next_free_vgpr 46
		.amdhsa_next_free_sgpr 24
		.amdhsa_reserve_vcc 1
		.amdhsa_float_round_mode_32 0
		.amdhsa_float_round_mode_16_64 0
		.amdhsa_float_denorm_mode_32 3
		.amdhsa_float_denorm_mode_16_64 3
		.amdhsa_fp16_overflow 0
		.amdhsa_workgroup_processor_mode 1
		.amdhsa_memory_ordered 1
		.amdhsa_forward_progress 1
		.amdhsa_inst_pref_size 50
		.amdhsa_round_robin_scheduling 0
		.amdhsa_exception_fp_ieee_invalid_op 0
		.amdhsa_exception_fp_denorm_src 0
		.amdhsa_exception_fp_ieee_div_zero 0
		.amdhsa_exception_fp_ieee_overflow 0
		.amdhsa_exception_fp_ieee_underflow 0
		.amdhsa_exception_fp_ieee_inexact 0
		.amdhsa_exception_int_div_zero 0
	.end_amdhsa_kernel
	.section	.text._ZN7rocprim17ROCPRIM_400000_NS6detail17trampoline_kernelINS0_14default_configENS1_25partition_config_selectorILNS1_17partition_subalgoE6EN6thrust23THRUST_200600_302600_NS5tupleIffNS7_9null_typeES9_S9_S9_S9_S9_S9_S9_EENS0_10empty_typeEbEEZZNS1_14partition_implILS5_6ELb0ES3_mNS7_12zip_iteratorINS8_INS7_6detail15normal_iteratorINS7_10device_ptrIfEEEESJ_S9_S9_S9_S9_S9_S9_S9_S9_EEEEPSB_SM_NS0_5tupleIJNSE_INS8_ISJ_NS7_16discard_iteratorINS7_11use_defaultEEES9_S9_S9_S9_S9_S9_S9_S9_EEEESB_EEENSN_IJSM_SM_EEESB_PlJNSF_9not_fun_tINSF_14equal_to_valueISA_EEEEEEE10hipError_tPvRmT3_T4_T5_T6_T7_T9_mT8_P12ihipStream_tbDpT10_ENKUlT_T0_E_clISt17integral_constantIbLb0EES1J_EEDaS1E_S1F_EUlS1E_E_NS1_11comp_targetILNS1_3genE10ELNS1_11target_archE1200ELNS1_3gpuE4ELNS1_3repE0EEENS1_30default_config_static_selectorELNS0_4arch9wavefront6targetE0EEEvT1_,"axG",@progbits,_ZN7rocprim17ROCPRIM_400000_NS6detail17trampoline_kernelINS0_14default_configENS1_25partition_config_selectorILNS1_17partition_subalgoE6EN6thrust23THRUST_200600_302600_NS5tupleIffNS7_9null_typeES9_S9_S9_S9_S9_S9_S9_EENS0_10empty_typeEbEEZZNS1_14partition_implILS5_6ELb0ES3_mNS7_12zip_iteratorINS8_INS7_6detail15normal_iteratorINS7_10device_ptrIfEEEESJ_S9_S9_S9_S9_S9_S9_S9_S9_EEEEPSB_SM_NS0_5tupleIJNSE_INS8_ISJ_NS7_16discard_iteratorINS7_11use_defaultEEES9_S9_S9_S9_S9_S9_S9_S9_EEEESB_EEENSN_IJSM_SM_EEESB_PlJNSF_9not_fun_tINSF_14equal_to_valueISA_EEEEEEE10hipError_tPvRmT3_T4_T5_T6_T7_T9_mT8_P12ihipStream_tbDpT10_ENKUlT_T0_E_clISt17integral_constantIbLb0EES1J_EEDaS1E_S1F_EUlS1E_E_NS1_11comp_targetILNS1_3genE10ELNS1_11target_archE1200ELNS1_3gpuE4ELNS1_3repE0EEENS1_30default_config_static_selectorELNS0_4arch9wavefront6targetE0EEEvT1_,comdat
.Lfunc_end1858:
	.size	_ZN7rocprim17ROCPRIM_400000_NS6detail17trampoline_kernelINS0_14default_configENS1_25partition_config_selectorILNS1_17partition_subalgoE6EN6thrust23THRUST_200600_302600_NS5tupleIffNS7_9null_typeES9_S9_S9_S9_S9_S9_S9_EENS0_10empty_typeEbEEZZNS1_14partition_implILS5_6ELb0ES3_mNS7_12zip_iteratorINS8_INS7_6detail15normal_iteratorINS7_10device_ptrIfEEEESJ_S9_S9_S9_S9_S9_S9_S9_S9_EEEEPSB_SM_NS0_5tupleIJNSE_INS8_ISJ_NS7_16discard_iteratorINS7_11use_defaultEEES9_S9_S9_S9_S9_S9_S9_S9_EEEESB_EEENSN_IJSM_SM_EEESB_PlJNSF_9not_fun_tINSF_14equal_to_valueISA_EEEEEEE10hipError_tPvRmT3_T4_T5_T6_T7_T9_mT8_P12ihipStream_tbDpT10_ENKUlT_T0_E_clISt17integral_constantIbLb0EES1J_EEDaS1E_S1F_EUlS1E_E_NS1_11comp_targetILNS1_3genE10ELNS1_11target_archE1200ELNS1_3gpuE4ELNS1_3repE0EEENS1_30default_config_static_selectorELNS0_4arch9wavefront6targetE0EEEvT1_, .Lfunc_end1858-_ZN7rocprim17ROCPRIM_400000_NS6detail17trampoline_kernelINS0_14default_configENS1_25partition_config_selectorILNS1_17partition_subalgoE6EN6thrust23THRUST_200600_302600_NS5tupleIffNS7_9null_typeES9_S9_S9_S9_S9_S9_S9_EENS0_10empty_typeEbEEZZNS1_14partition_implILS5_6ELb0ES3_mNS7_12zip_iteratorINS8_INS7_6detail15normal_iteratorINS7_10device_ptrIfEEEESJ_S9_S9_S9_S9_S9_S9_S9_S9_EEEEPSB_SM_NS0_5tupleIJNSE_INS8_ISJ_NS7_16discard_iteratorINS7_11use_defaultEEES9_S9_S9_S9_S9_S9_S9_S9_EEEESB_EEENSN_IJSM_SM_EEESB_PlJNSF_9not_fun_tINSF_14equal_to_valueISA_EEEEEEE10hipError_tPvRmT3_T4_T5_T6_T7_T9_mT8_P12ihipStream_tbDpT10_ENKUlT_T0_E_clISt17integral_constantIbLb0EES1J_EEDaS1E_S1F_EUlS1E_E_NS1_11comp_targetILNS1_3genE10ELNS1_11target_archE1200ELNS1_3gpuE4ELNS1_3repE0EEENS1_30default_config_static_selectorELNS0_4arch9wavefront6targetE0EEEvT1_
                                        ; -- End function
	.set _ZN7rocprim17ROCPRIM_400000_NS6detail17trampoline_kernelINS0_14default_configENS1_25partition_config_selectorILNS1_17partition_subalgoE6EN6thrust23THRUST_200600_302600_NS5tupleIffNS7_9null_typeES9_S9_S9_S9_S9_S9_S9_EENS0_10empty_typeEbEEZZNS1_14partition_implILS5_6ELb0ES3_mNS7_12zip_iteratorINS8_INS7_6detail15normal_iteratorINS7_10device_ptrIfEEEESJ_S9_S9_S9_S9_S9_S9_S9_S9_EEEEPSB_SM_NS0_5tupleIJNSE_INS8_ISJ_NS7_16discard_iteratorINS7_11use_defaultEEES9_S9_S9_S9_S9_S9_S9_S9_EEEESB_EEENSN_IJSM_SM_EEESB_PlJNSF_9not_fun_tINSF_14equal_to_valueISA_EEEEEEE10hipError_tPvRmT3_T4_T5_T6_T7_T9_mT8_P12ihipStream_tbDpT10_ENKUlT_T0_E_clISt17integral_constantIbLb0EES1J_EEDaS1E_S1F_EUlS1E_E_NS1_11comp_targetILNS1_3genE10ELNS1_11target_archE1200ELNS1_3gpuE4ELNS1_3repE0EEENS1_30default_config_static_selectorELNS0_4arch9wavefront6targetE0EEEvT1_.num_vgpr, 46
	.set _ZN7rocprim17ROCPRIM_400000_NS6detail17trampoline_kernelINS0_14default_configENS1_25partition_config_selectorILNS1_17partition_subalgoE6EN6thrust23THRUST_200600_302600_NS5tupleIffNS7_9null_typeES9_S9_S9_S9_S9_S9_S9_EENS0_10empty_typeEbEEZZNS1_14partition_implILS5_6ELb0ES3_mNS7_12zip_iteratorINS8_INS7_6detail15normal_iteratorINS7_10device_ptrIfEEEESJ_S9_S9_S9_S9_S9_S9_S9_S9_EEEEPSB_SM_NS0_5tupleIJNSE_INS8_ISJ_NS7_16discard_iteratorINS7_11use_defaultEEES9_S9_S9_S9_S9_S9_S9_S9_EEEESB_EEENSN_IJSM_SM_EEESB_PlJNSF_9not_fun_tINSF_14equal_to_valueISA_EEEEEEE10hipError_tPvRmT3_T4_T5_T6_T7_T9_mT8_P12ihipStream_tbDpT10_ENKUlT_T0_E_clISt17integral_constantIbLb0EES1J_EEDaS1E_S1F_EUlS1E_E_NS1_11comp_targetILNS1_3genE10ELNS1_11target_archE1200ELNS1_3gpuE4ELNS1_3repE0EEENS1_30default_config_static_selectorELNS0_4arch9wavefront6targetE0EEEvT1_.num_agpr, 0
	.set _ZN7rocprim17ROCPRIM_400000_NS6detail17trampoline_kernelINS0_14default_configENS1_25partition_config_selectorILNS1_17partition_subalgoE6EN6thrust23THRUST_200600_302600_NS5tupleIffNS7_9null_typeES9_S9_S9_S9_S9_S9_S9_EENS0_10empty_typeEbEEZZNS1_14partition_implILS5_6ELb0ES3_mNS7_12zip_iteratorINS8_INS7_6detail15normal_iteratorINS7_10device_ptrIfEEEESJ_S9_S9_S9_S9_S9_S9_S9_S9_EEEEPSB_SM_NS0_5tupleIJNSE_INS8_ISJ_NS7_16discard_iteratorINS7_11use_defaultEEES9_S9_S9_S9_S9_S9_S9_S9_EEEESB_EEENSN_IJSM_SM_EEESB_PlJNSF_9not_fun_tINSF_14equal_to_valueISA_EEEEEEE10hipError_tPvRmT3_T4_T5_T6_T7_T9_mT8_P12ihipStream_tbDpT10_ENKUlT_T0_E_clISt17integral_constantIbLb0EES1J_EEDaS1E_S1F_EUlS1E_E_NS1_11comp_targetILNS1_3genE10ELNS1_11target_archE1200ELNS1_3gpuE4ELNS1_3repE0EEENS1_30default_config_static_selectorELNS0_4arch9wavefront6targetE0EEEvT1_.numbered_sgpr, 24
	.set _ZN7rocprim17ROCPRIM_400000_NS6detail17trampoline_kernelINS0_14default_configENS1_25partition_config_selectorILNS1_17partition_subalgoE6EN6thrust23THRUST_200600_302600_NS5tupleIffNS7_9null_typeES9_S9_S9_S9_S9_S9_S9_EENS0_10empty_typeEbEEZZNS1_14partition_implILS5_6ELb0ES3_mNS7_12zip_iteratorINS8_INS7_6detail15normal_iteratorINS7_10device_ptrIfEEEESJ_S9_S9_S9_S9_S9_S9_S9_S9_EEEEPSB_SM_NS0_5tupleIJNSE_INS8_ISJ_NS7_16discard_iteratorINS7_11use_defaultEEES9_S9_S9_S9_S9_S9_S9_S9_EEEESB_EEENSN_IJSM_SM_EEESB_PlJNSF_9not_fun_tINSF_14equal_to_valueISA_EEEEEEE10hipError_tPvRmT3_T4_T5_T6_T7_T9_mT8_P12ihipStream_tbDpT10_ENKUlT_T0_E_clISt17integral_constantIbLb0EES1J_EEDaS1E_S1F_EUlS1E_E_NS1_11comp_targetILNS1_3genE10ELNS1_11target_archE1200ELNS1_3gpuE4ELNS1_3repE0EEENS1_30default_config_static_selectorELNS0_4arch9wavefront6targetE0EEEvT1_.num_named_barrier, 0
	.set _ZN7rocprim17ROCPRIM_400000_NS6detail17trampoline_kernelINS0_14default_configENS1_25partition_config_selectorILNS1_17partition_subalgoE6EN6thrust23THRUST_200600_302600_NS5tupleIffNS7_9null_typeES9_S9_S9_S9_S9_S9_S9_EENS0_10empty_typeEbEEZZNS1_14partition_implILS5_6ELb0ES3_mNS7_12zip_iteratorINS8_INS7_6detail15normal_iteratorINS7_10device_ptrIfEEEESJ_S9_S9_S9_S9_S9_S9_S9_S9_EEEEPSB_SM_NS0_5tupleIJNSE_INS8_ISJ_NS7_16discard_iteratorINS7_11use_defaultEEES9_S9_S9_S9_S9_S9_S9_S9_EEEESB_EEENSN_IJSM_SM_EEESB_PlJNSF_9not_fun_tINSF_14equal_to_valueISA_EEEEEEE10hipError_tPvRmT3_T4_T5_T6_T7_T9_mT8_P12ihipStream_tbDpT10_ENKUlT_T0_E_clISt17integral_constantIbLb0EES1J_EEDaS1E_S1F_EUlS1E_E_NS1_11comp_targetILNS1_3genE10ELNS1_11target_archE1200ELNS1_3gpuE4ELNS1_3repE0EEENS1_30default_config_static_selectorELNS0_4arch9wavefront6targetE0EEEvT1_.private_seg_size, 0
	.set _ZN7rocprim17ROCPRIM_400000_NS6detail17trampoline_kernelINS0_14default_configENS1_25partition_config_selectorILNS1_17partition_subalgoE6EN6thrust23THRUST_200600_302600_NS5tupleIffNS7_9null_typeES9_S9_S9_S9_S9_S9_S9_EENS0_10empty_typeEbEEZZNS1_14partition_implILS5_6ELb0ES3_mNS7_12zip_iteratorINS8_INS7_6detail15normal_iteratorINS7_10device_ptrIfEEEESJ_S9_S9_S9_S9_S9_S9_S9_S9_EEEEPSB_SM_NS0_5tupleIJNSE_INS8_ISJ_NS7_16discard_iteratorINS7_11use_defaultEEES9_S9_S9_S9_S9_S9_S9_S9_EEEESB_EEENSN_IJSM_SM_EEESB_PlJNSF_9not_fun_tINSF_14equal_to_valueISA_EEEEEEE10hipError_tPvRmT3_T4_T5_T6_T7_T9_mT8_P12ihipStream_tbDpT10_ENKUlT_T0_E_clISt17integral_constantIbLb0EES1J_EEDaS1E_S1F_EUlS1E_E_NS1_11comp_targetILNS1_3genE10ELNS1_11target_archE1200ELNS1_3gpuE4ELNS1_3repE0EEENS1_30default_config_static_selectorELNS0_4arch9wavefront6targetE0EEEvT1_.uses_vcc, 1
	.set _ZN7rocprim17ROCPRIM_400000_NS6detail17trampoline_kernelINS0_14default_configENS1_25partition_config_selectorILNS1_17partition_subalgoE6EN6thrust23THRUST_200600_302600_NS5tupleIffNS7_9null_typeES9_S9_S9_S9_S9_S9_S9_EENS0_10empty_typeEbEEZZNS1_14partition_implILS5_6ELb0ES3_mNS7_12zip_iteratorINS8_INS7_6detail15normal_iteratorINS7_10device_ptrIfEEEESJ_S9_S9_S9_S9_S9_S9_S9_S9_EEEEPSB_SM_NS0_5tupleIJNSE_INS8_ISJ_NS7_16discard_iteratorINS7_11use_defaultEEES9_S9_S9_S9_S9_S9_S9_S9_EEEESB_EEENSN_IJSM_SM_EEESB_PlJNSF_9not_fun_tINSF_14equal_to_valueISA_EEEEEEE10hipError_tPvRmT3_T4_T5_T6_T7_T9_mT8_P12ihipStream_tbDpT10_ENKUlT_T0_E_clISt17integral_constantIbLb0EES1J_EEDaS1E_S1F_EUlS1E_E_NS1_11comp_targetILNS1_3genE10ELNS1_11target_archE1200ELNS1_3gpuE4ELNS1_3repE0EEENS1_30default_config_static_selectorELNS0_4arch9wavefront6targetE0EEEvT1_.uses_flat_scratch, 0
	.set _ZN7rocprim17ROCPRIM_400000_NS6detail17trampoline_kernelINS0_14default_configENS1_25partition_config_selectorILNS1_17partition_subalgoE6EN6thrust23THRUST_200600_302600_NS5tupleIffNS7_9null_typeES9_S9_S9_S9_S9_S9_S9_EENS0_10empty_typeEbEEZZNS1_14partition_implILS5_6ELb0ES3_mNS7_12zip_iteratorINS8_INS7_6detail15normal_iteratorINS7_10device_ptrIfEEEESJ_S9_S9_S9_S9_S9_S9_S9_S9_EEEEPSB_SM_NS0_5tupleIJNSE_INS8_ISJ_NS7_16discard_iteratorINS7_11use_defaultEEES9_S9_S9_S9_S9_S9_S9_S9_EEEESB_EEENSN_IJSM_SM_EEESB_PlJNSF_9not_fun_tINSF_14equal_to_valueISA_EEEEEEE10hipError_tPvRmT3_T4_T5_T6_T7_T9_mT8_P12ihipStream_tbDpT10_ENKUlT_T0_E_clISt17integral_constantIbLb0EES1J_EEDaS1E_S1F_EUlS1E_E_NS1_11comp_targetILNS1_3genE10ELNS1_11target_archE1200ELNS1_3gpuE4ELNS1_3repE0EEENS1_30default_config_static_selectorELNS0_4arch9wavefront6targetE0EEEvT1_.has_dyn_sized_stack, 0
	.set _ZN7rocprim17ROCPRIM_400000_NS6detail17trampoline_kernelINS0_14default_configENS1_25partition_config_selectorILNS1_17partition_subalgoE6EN6thrust23THRUST_200600_302600_NS5tupleIffNS7_9null_typeES9_S9_S9_S9_S9_S9_S9_EENS0_10empty_typeEbEEZZNS1_14partition_implILS5_6ELb0ES3_mNS7_12zip_iteratorINS8_INS7_6detail15normal_iteratorINS7_10device_ptrIfEEEESJ_S9_S9_S9_S9_S9_S9_S9_S9_EEEEPSB_SM_NS0_5tupleIJNSE_INS8_ISJ_NS7_16discard_iteratorINS7_11use_defaultEEES9_S9_S9_S9_S9_S9_S9_S9_EEEESB_EEENSN_IJSM_SM_EEESB_PlJNSF_9not_fun_tINSF_14equal_to_valueISA_EEEEEEE10hipError_tPvRmT3_T4_T5_T6_T7_T9_mT8_P12ihipStream_tbDpT10_ENKUlT_T0_E_clISt17integral_constantIbLb0EES1J_EEDaS1E_S1F_EUlS1E_E_NS1_11comp_targetILNS1_3genE10ELNS1_11target_archE1200ELNS1_3gpuE4ELNS1_3repE0EEENS1_30default_config_static_selectorELNS0_4arch9wavefront6targetE0EEEvT1_.has_recursion, 0
	.set _ZN7rocprim17ROCPRIM_400000_NS6detail17trampoline_kernelINS0_14default_configENS1_25partition_config_selectorILNS1_17partition_subalgoE6EN6thrust23THRUST_200600_302600_NS5tupleIffNS7_9null_typeES9_S9_S9_S9_S9_S9_S9_EENS0_10empty_typeEbEEZZNS1_14partition_implILS5_6ELb0ES3_mNS7_12zip_iteratorINS8_INS7_6detail15normal_iteratorINS7_10device_ptrIfEEEESJ_S9_S9_S9_S9_S9_S9_S9_S9_EEEEPSB_SM_NS0_5tupleIJNSE_INS8_ISJ_NS7_16discard_iteratorINS7_11use_defaultEEES9_S9_S9_S9_S9_S9_S9_S9_EEEESB_EEENSN_IJSM_SM_EEESB_PlJNSF_9not_fun_tINSF_14equal_to_valueISA_EEEEEEE10hipError_tPvRmT3_T4_T5_T6_T7_T9_mT8_P12ihipStream_tbDpT10_ENKUlT_T0_E_clISt17integral_constantIbLb0EES1J_EEDaS1E_S1F_EUlS1E_E_NS1_11comp_targetILNS1_3genE10ELNS1_11target_archE1200ELNS1_3gpuE4ELNS1_3repE0EEENS1_30default_config_static_selectorELNS0_4arch9wavefront6targetE0EEEvT1_.has_indirect_call, 0
	.section	.AMDGPU.csdata,"",@progbits
; Kernel info:
; codeLenInByte = 6344
; TotalNumSgprs: 26
; NumVgprs: 46
; ScratchSize: 0
; MemoryBound: 0
; FloatMode: 240
; IeeeMode: 1
; LDSByteSize: 8464 bytes/workgroup (compile time only)
; SGPRBlocks: 0
; VGPRBlocks: 5
; NumSGPRsForWavesPerEU: 26
; NumVGPRsForWavesPerEU: 46
; Occupancy: 16
; WaveLimiterHint : 1
; COMPUTE_PGM_RSRC2:SCRATCH_EN: 0
; COMPUTE_PGM_RSRC2:USER_SGPR: 2
; COMPUTE_PGM_RSRC2:TRAP_HANDLER: 0
; COMPUTE_PGM_RSRC2:TGID_X_EN: 1
; COMPUTE_PGM_RSRC2:TGID_Y_EN: 0
; COMPUTE_PGM_RSRC2:TGID_Z_EN: 0
; COMPUTE_PGM_RSRC2:TIDIG_COMP_CNT: 0
	.section	.text._ZN7rocprim17ROCPRIM_400000_NS6detail17trampoline_kernelINS0_14default_configENS1_25partition_config_selectorILNS1_17partition_subalgoE6EN6thrust23THRUST_200600_302600_NS5tupleIffNS7_9null_typeES9_S9_S9_S9_S9_S9_S9_EENS0_10empty_typeEbEEZZNS1_14partition_implILS5_6ELb0ES3_mNS7_12zip_iteratorINS8_INS7_6detail15normal_iteratorINS7_10device_ptrIfEEEESJ_S9_S9_S9_S9_S9_S9_S9_S9_EEEEPSB_SM_NS0_5tupleIJNSE_INS8_ISJ_NS7_16discard_iteratorINS7_11use_defaultEEES9_S9_S9_S9_S9_S9_S9_S9_EEEESB_EEENSN_IJSM_SM_EEESB_PlJNSF_9not_fun_tINSF_14equal_to_valueISA_EEEEEEE10hipError_tPvRmT3_T4_T5_T6_T7_T9_mT8_P12ihipStream_tbDpT10_ENKUlT_T0_E_clISt17integral_constantIbLb0EES1J_EEDaS1E_S1F_EUlS1E_E_NS1_11comp_targetILNS1_3genE9ELNS1_11target_archE1100ELNS1_3gpuE3ELNS1_3repE0EEENS1_30default_config_static_selectorELNS0_4arch9wavefront6targetE0EEEvT1_,"axG",@progbits,_ZN7rocprim17ROCPRIM_400000_NS6detail17trampoline_kernelINS0_14default_configENS1_25partition_config_selectorILNS1_17partition_subalgoE6EN6thrust23THRUST_200600_302600_NS5tupleIffNS7_9null_typeES9_S9_S9_S9_S9_S9_S9_EENS0_10empty_typeEbEEZZNS1_14partition_implILS5_6ELb0ES3_mNS7_12zip_iteratorINS8_INS7_6detail15normal_iteratorINS7_10device_ptrIfEEEESJ_S9_S9_S9_S9_S9_S9_S9_S9_EEEEPSB_SM_NS0_5tupleIJNSE_INS8_ISJ_NS7_16discard_iteratorINS7_11use_defaultEEES9_S9_S9_S9_S9_S9_S9_S9_EEEESB_EEENSN_IJSM_SM_EEESB_PlJNSF_9not_fun_tINSF_14equal_to_valueISA_EEEEEEE10hipError_tPvRmT3_T4_T5_T6_T7_T9_mT8_P12ihipStream_tbDpT10_ENKUlT_T0_E_clISt17integral_constantIbLb0EES1J_EEDaS1E_S1F_EUlS1E_E_NS1_11comp_targetILNS1_3genE9ELNS1_11target_archE1100ELNS1_3gpuE3ELNS1_3repE0EEENS1_30default_config_static_selectorELNS0_4arch9wavefront6targetE0EEEvT1_,comdat
	.protected	_ZN7rocprim17ROCPRIM_400000_NS6detail17trampoline_kernelINS0_14default_configENS1_25partition_config_selectorILNS1_17partition_subalgoE6EN6thrust23THRUST_200600_302600_NS5tupleIffNS7_9null_typeES9_S9_S9_S9_S9_S9_S9_EENS0_10empty_typeEbEEZZNS1_14partition_implILS5_6ELb0ES3_mNS7_12zip_iteratorINS8_INS7_6detail15normal_iteratorINS7_10device_ptrIfEEEESJ_S9_S9_S9_S9_S9_S9_S9_S9_EEEEPSB_SM_NS0_5tupleIJNSE_INS8_ISJ_NS7_16discard_iteratorINS7_11use_defaultEEES9_S9_S9_S9_S9_S9_S9_S9_EEEESB_EEENSN_IJSM_SM_EEESB_PlJNSF_9not_fun_tINSF_14equal_to_valueISA_EEEEEEE10hipError_tPvRmT3_T4_T5_T6_T7_T9_mT8_P12ihipStream_tbDpT10_ENKUlT_T0_E_clISt17integral_constantIbLb0EES1J_EEDaS1E_S1F_EUlS1E_E_NS1_11comp_targetILNS1_3genE9ELNS1_11target_archE1100ELNS1_3gpuE3ELNS1_3repE0EEENS1_30default_config_static_selectorELNS0_4arch9wavefront6targetE0EEEvT1_ ; -- Begin function _ZN7rocprim17ROCPRIM_400000_NS6detail17trampoline_kernelINS0_14default_configENS1_25partition_config_selectorILNS1_17partition_subalgoE6EN6thrust23THRUST_200600_302600_NS5tupleIffNS7_9null_typeES9_S9_S9_S9_S9_S9_S9_EENS0_10empty_typeEbEEZZNS1_14partition_implILS5_6ELb0ES3_mNS7_12zip_iteratorINS8_INS7_6detail15normal_iteratorINS7_10device_ptrIfEEEESJ_S9_S9_S9_S9_S9_S9_S9_S9_EEEEPSB_SM_NS0_5tupleIJNSE_INS8_ISJ_NS7_16discard_iteratorINS7_11use_defaultEEES9_S9_S9_S9_S9_S9_S9_S9_EEEESB_EEENSN_IJSM_SM_EEESB_PlJNSF_9not_fun_tINSF_14equal_to_valueISA_EEEEEEE10hipError_tPvRmT3_T4_T5_T6_T7_T9_mT8_P12ihipStream_tbDpT10_ENKUlT_T0_E_clISt17integral_constantIbLb0EES1J_EEDaS1E_S1F_EUlS1E_E_NS1_11comp_targetILNS1_3genE9ELNS1_11target_archE1100ELNS1_3gpuE3ELNS1_3repE0EEENS1_30default_config_static_selectorELNS0_4arch9wavefront6targetE0EEEvT1_
	.globl	_ZN7rocprim17ROCPRIM_400000_NS6detail17trampoline_kernelINS0_14default_configENS1_25partition_config_selectorILNS1_17partition_subalgoE6EN6thrust23THRUST_200600_302600_NS5tupleIffNS7_9null_typeES9_S9_S9_S9_S9_S9_S9_EENS0_10empty_typeEbEEZZNS1_14partition_implILS5_6ELb0ES3_mNS7_12zip_iteratorINS8_INS7_6detail15normal_iteratorINS7_10device_ptrIfEEEESJ_S9_S9_S9_S9_S9_S9_S9_S9_EEEEPSB_SM_NS0_5tupleIJNSE_INS8_ISJ_NS7_16discard_iteratorINS7_11use_defaultEEES9_S9_S9_S9_S9_S9_S9_S9_EEEESB_EEENSN_IJSM_SM_EEESB_PlJNSF_9not_fun_tINSF_14equal_to_valueISA_EEEEEEE10hipError_tPvRmT3_T4_T5_T6_T7_T9_mT8_P12ihipStream_tbDpT10_ENKUlT_T0_E_clISt17integral_constantIbLb0EES1J_EEDaS1E_S1F_EUlS1E_E_NS1_11comp_targetILNS1_3genE9ELNS1_11target_archE1100ELNS1_3gpuE3ELNS1_3repE0EEENS1_30default_config_static_selectorELNS0_4arch9wavefront6targetE0EEEvT1_
	.p2align	8
	.type	_ZN7rocprim17ROCPRIM_400000_NS6detail17trampoline_kernelINS0_14default_configENS1_25partition_config_selectorILNS1_17partition_subalgoE6EN6thrust23THRUST_200600_302600_NS5tupleIffNS7_9null_typeES9_S9_S9_S9_S9_S9_S9_EENS0_10empty_typeEbEEZZNS1_14partition_implILS5_6ELb0ES3_mNS7_12zip_iteratorINS8_INS7_6detail15normal_iteratorINS7_10device_ptrIfEEEESJ_S9_S9_S9_S9_S9_S9_S9_S9_EEEEPSB_SM_NS0_5tupleIJNSE_INS8_ISJ_NS7_16discard_iteratorINS7_11use_defaultEEES9_S9_S9_S9_S9_S9_S9_S9_EEEESB_EEENSN_IJSM_SM_EEESB_PlJNSF_9not_fun_tINSF_14equal_to_valueISA_EEEEEEE10hipError_tPvRmT3_T4_T5_T6_T7_T9_mT8_P12ihipStream_tbDpT10_ENKUlT_T0_E_clISt17integral_constantIbLb0EES1J_EEDaS1E_S1F_EUlS1E_E_NS1_11comp_targetILNS1_3genE9ELNS1_11target_archE1100ELNS1_3gpuE3ELNS1_3repE0EEENS1_30default_config_static_selectorELNS0_4arch9wavefront6targetE0EEEvT1_,@function
_ZN7rocprim17ROCPRIM_400000_NS6detail17trampoline_kernelINS0_14default_configENS1_25partition_config_selectorILNS1_17partition_subalgoE6EN6thrust23THRUST_200600_302600_NS5tupleIffNS7_9null_typeES9_S9_S9_S9_S9_S9_S9_EENS0_10empty_typeEbEEZZNS1_14partition_implILS5_6ELb0ES3_mNS7_12zip_iteratorINS8_INS7_6detail15normal_iteratorINS7_10device_ptrIfEEEESJ_S9_S9_S9_S9_S9_S9_S9_S9_EEEEPSB_SM_NS0_5tupleIJNSE_INS8_ISJ_NS7_16discard_iteratorINS7_11use_defaultEEES9_S9_S9_S9_S9_S9_S9_S9_EEEESB_EEENSN_IJSM_SM_EEESB_PlJNSF_9not_fun_tINSF_14equal_to_valueISA_EEEEEEE10hipError_tPvRmT3_T4_T5_T6_T7_T9_mT8_P12ihipStream_tbDpT10_ENKUlT_T0_E_clISt17integral_constantIbLb0EES1J_EEDaS1E_S1F_EUlS1E_E_NS1_11comp_targetILNS1_3genE9ELNS1_11target_archE1100ELNS1_3gpuE3ELNS1_3repE0EEENS1_30default_config_static_selectorELNS0_4arch9wavefront6targetE0EEEvT1_: ; @_ZN7rocprim17ROCPRIM_400000_NS6detail17trampoline_kernelINS0_14default_configENS1_25partition_config_selectorILNS1_17partition_subalgoE6EN6thrust23THRUST_200600_302600_NS5tupleIffNS7_9null_typeES9_S9_S9_S9_S9_S9_S9_EENS0_10empty_typeEbEEZZNS1_14partition_implILS5_6ELb0ES3_mNS7_12zip_iteratorINS8_INS7_6detail15normal_iteratorINS7_10device_ptrIfEEEESJ_S9_S9_S9_S9_S9_S9_S9_S9_EEEEPSB_SM_NS0_5tupleIJNSE_INS8_ISJ_NS7_16discard_iteratorINS7_11use_defaultEEES9_S9_S9_S9_S9_S9_S9_S9_EEEESB_EEENSN_IJSM_SM_EEESB_PlJNSF_9not_fun_tINSF_14equal_to_valueISA_EEEEEEE10hipError_tPvRmT3_T4_T5_T6_T7_T9_mT8_P12ihipStream_tbDpT10_ENKUlT_T0_E_clISt17integral_constantIbLb0EES1J_EEDaS1E_S1F_EUlS1E_E_NS1_11comp_targetILNS1_3genE9ELNS1_11target_archE1100ELNS1_3gpuE3ELNS1_3repE0EEENS1_30default_config_static_selectorELNS0_4arch9wavefront6targetE0EEEvT1_
; %bb.0:
	.section	.rodata,"a",@progbits
	.p2align	6, 0x0
	.amdhsa_kernel _ZN7rocprim17ROCPRIM_400000_NS6detail17trampoline_kernelINS0_14default_configENS1_25partition_config_selectorILNS1_17partition_subalgoE6EN6thrust23THRUST_200600_302600_NS5tupleIffNS7_9null_typeES9_S9_S9_S9_S9_S9_S9_EENS0_10empty_typeEbEEZZNS1_14partition_implILS5_6ELb0ES3_mNS7_12zip_iteratorINS8_INS7_6detail15normal_iteratorINS7_10device_ptrIfEEEESJ_S9_S9_S9_S9_S9_S9_S9_S9_EEEEPSB_SM_NS0_5tupleIJNSE_INS8_ISJ_NS7_16discard_iteratorINS7_11use_defaultEEES9_S9_S9_S9_S9_S9_S9_S9_EEEESB_EEENSN_IJSM_SM_EEESB_PlJNSF_9not_fun_tINSF_14equal_to_valueISA_EEEEEEE10hipError_tPvRmT3_T4_T5_T6_T7_T9_mT8_P12ihipStream_tbDpT10_ENKUlT_T0_E_clISt17integral_constantIbLb0EES1J_EEDaS1E_S1F_EUlS1E_E_NS1_11comp_targetILNS1_3genE9ELNS1_11target_archE1100ELNS1_3gpuE3ELNS1_3repE0EEENS1_30default_config_static_selectorELNS0_4arch9wavefront6targetE0EEEvT1_
		.amdhsa_group_segment_fixed_size 0
		.amdhsa_private_segment_fixed_size 0
		.amdhsa_kernarg_size 144
		.amdhsa_user_sgpr_count 2
		.amdhsa_user_sgpr_dispatch_ptr 0
		.amdhsa_user_sgpr_queue_ptr 0
		.amdhsa_user_sgpr_kernarg_segment_ptr 1
		.amdhsa_user_sgpr_dispatch_id 0
		.amdhsa_user_sgpr_private_segment_size 0
		.amdhsa_wavefront_size32 1
		.amdhsa_uses_dynamic_stack 0
		.amdhsa_enable_private_segment 0
		.amdhsa_system_sgpr_workgroup_id_x 1
		.amdhsa_system_sgpr_workgroup_id_y 0
		.amdhsa_system_sgpr_workgroup_id_z 0
		.amdhsa_system_sgpr_workgroup_info 0
		.amdhsa_system_vgpr_workitem_id 0
		.amdhsa_next_free_vgpr 1
		.amdhsa_next_free_sgpr 1
		.amdhsa_reserve_vcc 0
		.amdhsa_float_round_mode_32 0
		.amdhsa_float_round_mode_16_64 0
		.amdhsa_float_denorm_mode_32 3
		.amdhsa_float_denorm_mode_16_64 3
		.amdhsa_fp16_overflow 0
		.amdhsa_workgroup_processor_mode 1
		.amdhsa_memory_ordered 1
		.amdhsa_forward_progress 1
		.amdhsa_inst_pref_size 0
		.amdhsa_round_robin_scheduling 0
		.amdhsa_exception_fp_ieee_invalid_op 0
		.amdhsa_exception_fp_denorm_src 0
		.amdhsa_exception_fp_ieee_div_zero 0
		.amdhsa_exception_fp_ieee_overflow 0
		.amdhsa_exception_fp_ieee_underflow 0
		.amdhsa_exception_fp_ieee_inexact 0
		.amdhsa_exception_int_div_zero 0
	.end_amdhsa_kernel
	.section	.text._ZN7rocprim17ROCPRIM_400000_NS6detail17trampoline_kernelINS0_14default_configENS1_25partition_config_selectorILNS1_17partition_subalgoE6EN6thrust23THRUST_200600_302600_NS5tupleIffNS7_9null_typeES9_S9_S9_S9_S9_S9_S9_EENS0_10empty_typeEbEEZZNS1_14partition_implILS5_6ELb0ES3_mNS7_12zip_iteratorINS8_INS7_6detail15normal_iteratorINS7_10device_ptrIfEEEESJ_S9_S9_S9_S9_S9_S9_S9_S9_EEEEPSB_SM_NS0_5tupleIJNSE_INS8_ISJ_NS7_16discard_iteratorINS7_11use_defaultEEES9_S9_S9_S9_S9_S9_S9_S9_EEEESB_EEENSN_IJSM_SM_EEESB_PlJNSF_9not_fun_tINSF_14equal_to_valueISA_EEEEEEE10hipError_tPvRmT3_T4_T5_T6_T7_T9_mT8_P12ihipStream_tbDpT10_ENKUlT_T0_E_clISt17integral_constantIbLb0EES1J_EEDaS1E_S1F_EUlS1E_E_NS1_11comp_targetILNS1_3genE9ELNS1_11target_archE1100ELNS1_3gpuE3ELNS1_3repE0EEENS1_30default_config_static_selectorELNS0_4arch9wavefront6targetE0EEEvT1_,"axG",@progbits,_ZN7rocprim17ROCPRIM_400000_NS6detail17trampoline_kernelINS0_14default_configENS1_25partition_config_selectorILNS1_17partition_subalgoE6EN6thrust23THRUST_200600_302600_NS5tupleIffNS7_9null_typeES9_S9_S9_S9_S9_S9_S9_EENS0_10empty_typeEbEEZZNS1_14partition_implILS5_6ELb0ES3_mNS7_12zip_iteratorINS8_INS7_6detail15normal_iteratorINS7_10device_ptrIfEEEESJ_S9_S9_S9_S9_S9_S9_S9_S9_EEEEPSB_SM_NS0_5tupleIJNSE_INS8_ISJ_NS7_16discard_iteratorINS7_11use_defaultEEES9_S9_S9_S9_S9_S9_S9_S9_EEEESB_EEENSN_IJSM_SM_EEESB_PlJNSF_9not_fun_tINSF_14equal_to_valueISA_EEEEEEE10hipError_tPvRmT3_T4_T5_T6_T7_T9_mT8_P12ihipStream_tbDpT10_ENKUlT_T0_E_clISt17integral_constantIbLb0EES1J_EEDaS1E_S1F_EUlS1E_E_NS1_11comp_targetILNS1_3genE9ELNS1_11target_archE1100ELNS1_3gpuE3ELNS1_3repE0EEENS1_30default_config_static_selectorELNS0_4arch9wavefront6targetE0EEEvT1_,comdat
.Lfunc_end1859:
	.size	_ZN7rocprim17ROCPRIM_400000_NS6detail17trampoline_kernelINS0_14default_configENS1_25partition_config_selectorILNS1_17partition_subalgoE6EN6thrust23THRUST_200600_302600_NS5tupleIffNS7_9null_typeES9_S9_S9_S9_S9_S9_S9_EENS0_10empty_typeEbEEZZNS1_14partition_implILS5_6ELb0ES3_mNS7_12zip_iteratorINS8_INS7_6detail15normal_iteratorINS7_10device_ptrIfEEEESJ_S9_S9_S9_S9_S9_S9_S9_S9_EEEEPSB_SM_NS0_5tupleIJNSE_INS8_ISJ_NS7_16discard_iteratorINS7_11use_defaultEEES9_S9_S9_S9_S9_S9_S9_S9_EEEESB_EEENSN_IJSM_SM_EEESB_PlJNSF_9not_fun_tINSF_14equal_to_valueISA_EEEEEEE10hipError_tPvRmT3_T4_T5_T6_T7_T9_mT8_P12ihipStream_tbDpT10_ENKUlT_T0_E_clISt17integral_constantIbLb0EES1J_EEDaS1E_S1F_EUlS1E_E_NS1_11comp_targetILNS1_3genE9ELNS1_11target_archE1100ELNS1_3gpuE3ELNS1_3repE0EEENS1_30default_config_static_selectorELNS0_4arch9wavefront6targetE0EEEvT1_, .Lfunc_end1859-_ZN7rocprim17ROCPRIM_400000_NS6detail17trampoline_kernelINS0_14default_configENS1_25partition_config_selectorILNS1_17partition_subalgoE6EN6thrust23THRUST_200600_302600_NS5tupleIffNS7_9null_typeES9_S9_S9_S9_S9_S9_S9_EENS0_10empty_typeEbEEZZNS1_14partition_implILS5_6ELb0ES3_mNS7_12zip_iteratorINS8_INS7_6detail15normal_iteratorINS7_10device_ptrIfEEEESJ_S9_S9_S9_S9_S9_S9_S9_S9_EEEEPSB_SM_NS0_5tupleIJNSE_INS8_ISJ_NS7_16discard_iteratorINS7_11use_defaultEEES9_S9_S9_S9_S9_S9_S9_S9_EEEESB_EEENSN_IJSM_SM_EEESB_PlJNSF_9not_fun_tINSF_14equal_to_valueISA_EEEEEEE10hipError_tPvRmT3_T4_T5_T6_T7_T9_mT8_P12ihipStream_tbDpT10_ENKUlT_T0_E_clISt17integral_constantIbLb0EES1J_EEDaS1E_S1F_EUlS1E_E_NS1_11comp_targetILNS1_3genE9ELNS1_11target_archE1100ELNS1_3gpuE3ELNS1_3repE0EEENS1_30default_config_static_selectorELNS0_4arch9wavefront6targetE0EEEvT1_
                                        ; -- End function
	.set _ZN7rocprim17ROCPRIM_400000_NS6detail17trampoline_kernelINS0_14default_configENS1_25partition_config_selectorILNS1_17partition_subalgoE6EN6thrust23THRUST_200600_302600_NS5tupleIffNS7_9null_typeES9_S9_S9_S9_S9_S9_S9_EENS0_10empty_typeEbEEZZNS1_14partition_implILS5_6ELb0ES3_mNS7_12zip_iteratorINS8_INS7_6detail15normal_iteratorINS7_10device_ptrIfEEEESJ_S9_S9_S9_S9_S9_S9_S9_S9_EEEEPSB_SM_NS0_5tupleIJNSE_INS8_ISJ_NS7_16discard_iteratorINS7_11use_defaultEEES9_S9_S9_S9_S9_S9_S9_S9_EEEESB_EEENSN_IJSM_SM_EEESB_PlJNSF_9not_fun_tINSF_14equal_to_valueISA_EEEEEEE10hipError_tPvRmT3_T4_T5_T6_T7_T9_mT8_P12ihipStream_tbDpT10_ENKUlT_T0_E_clISt17integral_constantIbLb0EES1J_EEDaS1E_S1F_EUlS1E_E_NS1_11comp_targetILNS1_3genE9ELNS1_11target_archE1100ELNS1_3gpuE3ELNS1_3repE0EEENS1_30default_config_static_selectorELNS0_4arch9wavefront6targetE0EEEvT1_.num_vgpr, 0
	.set _ZN7rocprim17ROCPRIM_400000_NS6detail17trampoline_kernelINS0_14default_configENS1_25partition_config_selectorILNS1_17partition_subalgoE6EN6thrust23THRUST_200600_302600_NS5tupleIffNS7_9null_typeES9_S9_S9_S9_S9_S9_S9_EENS0_10empty_typeEbEEZZNS1_14partition_implILS5_6ELb0ES3_mNS7_12zip_iteratorINS8_INS7_6detail15normal_iteratorINS7_10device_ptrIfEEEESJ_S9_S9_S9_S9_S9_S9_S9_S9_EEEEPSB_SM_NS0_5tupleIJNSE_INS8_ISJ_NS7_16discard_iteratorINS7_11use_defaultEEES9_S9_S9_S9_S9_S9_S9_S9_EEEESB_EEENSN_IJSM_SM_EEESB_PlJNSF_9not_fun_tINSF_14equal_to_valueISA_EEEEEEE10hipError_tPvRmT3_T4_T5_T6_T7_T9_mT8_P12ihipStream_tbDpT10_ENKUlT_T0_E_clISt17integral_constantIbLb0EES1J_EEDaS1E_S1F_EUlS1E_E_NS1_11comp_targetILNS1_3genE9ELNS1_11target_archE1100ELNS1_3gpuE3ELNS1_3repE0EEENS1_30default_config_static_selectorELNS0_4arch9wavefront6targetE0EEEvT1_.num_agpr, 0
	.set _ZN7rocprim17ROCPRIM_400000_NS6detail17trampoline_kernelINS0_14default_configENS1_25partition_config_selectorILNS1_17partition_subalgoE6EN6thrust23THRUST_200600_302600_NS5tupleIffNS7_9null_typeES9_S9_S9_S9_S9_S9_S9_EENS0_10empty_typeEbEEZZNS1_14partition_implILS5_6ELb0ES3_mNS7_12zip_iteratorINS8_INS7_6detail15normal_iteratorINS7_10device_ptrIfEEEESJ_S9_S9_S9_S9_S9_S9_S9_S9_EEEEPSB_SM_NS0_5tupleIJNSE_INS8_ISJ_NS7_16discard_iteratorINS7_11use_defaultEEES9_S9_S9_S9_S9_S9_S9_S9_EEEESB_EEENSN_IJSM_SM_EEESB_PlJNSF_9not_fun_tINSF_14equal_to_valueISA_EEEEEEE10hipError_tPvRmT3_T4_T5_T6_T7_T9_mT8_P12ihipStream_tbDpT10_ENKUlT_T0_E_clISt17integral_constantIbLb0EES1J_EEDaS1E_S1F_EUlS1E_E_NS1_11comp_targetILNS1_3genE9ELNS1_11target_archE1100ELNS1_3gpuE3ELNS1_3repE0EEENS1_30default_config_static_selectorELNS0_4arch9wavefront6targetE0EEEvT1_.numbered_sgpr, 0
	.set _ZN7rocprim17ROCPRIM_400000_NS6detail17trampoline_kernelINS0_14default_configENS1_25partition_config_selectorILNS1_17partition_subalgoE6EN6thrust23THRUST_200600_302600_NS5tupleIffNS7_9null_typeES9_S9_S9_S9_S9_S9_S9_EENS0_10empty_typeEbEEZZNS1_14partition_implILS5_6ELb0ES3_mNS7_12zip_iteratorINS8_INS7_6detail15normal_iteratorINS7_10device_ptrIfEEEESJ_S9_S9_S9_S9_S9_S9_S9_S9_EEEEPSB_SM_NS0_5tupleIJNSE_INS8_ISJ_NS7_16discard_iteratorINS7_11use_defaultEEES9_S9_S9_S9_S9_S9_S9_S9_EEEESB_EEENSN_IJSM_SM_EEESB_PlJNSF_9not_fun_tINSF_14equal_to_valueISA_EEEEEEE10hipError_tPvRmT3_T4_T5_T6_T7_T9_mT8_P12ihipStream_tbDpT10_ENKUlT_T0_E_clISt17integral_constantIbLb0EES1J_EEDaS1E_S1F_EUlS1E_E_NS1_11comp_targetILNS1_3genE9ELNS1_11target_archE1100ELNS1_3gpuE3ELNS1_3repE0EEENS1_30default_config_static_selectorELNS0_4arch9wavefront6targetE0EEEvT1_.num_named_barrier, 0
	.set _ZN7rocprim17ROCPRIM_400000_NS6detail17trampoline_kernelINS0_14default_configENS1_25partition_config_selectorILNS1_17partition_subalgoE6EN6thrust23THRUST_200600_302600_NS5tupleIffNS7_9null_typeES9_S9_S9_S9_S9_S9_S9_EENS0_10empty_typeEbEEZZNS1_14partition_implILS5_6ELb0ES3_mNS7_12zip_iteratorINS8_INS7_6detail15normal_iteratorINS7_10device_ptrIfEEEESJ_S9_S9_S9_S9_S9_S9_S9_S9_EEEEPSB_SM_NS0_5tupleIJNSE_INS8_ISJ_NS7_16discard_iteratorINS7_11use_defaultEEES9_S9_S9_S9_S9_S9_S9_S9_EEEESB_EEENSN_IJSM_SM_EEESB_PlJNSF_9not_fun_tINSF_14equal_to_valueISA_EEEEEEE10hipError_tPvRmT3_T4_T5_T6_T7_T9_mT8_P12ihipStream_tbDpT10_ENKUlT_T0_E_clISt17integral_constantIbLb0EES1J_EEDaS1E_S1F_EUlS1E_E_NS1_11comp_targetILNS1_3genE9ELNS1_11target_archE1100ELNS1_3gpuE3ELNS1_3repE0EEENS1_30default_config_static_selectorELNS0_4arch9wavefront6targetE0EEEvT1_.private_seg_size, 0
	.set _ZN7rocprim17ROCPRIM_400000_NS6detail17trampoline_kernelINS0_14default_configENS1_25partition_config_selectorILNS1_17partition_subalgoE6EN6thrust23THRUST_200600_302600_NS5tupleIffNS7_9null_typeES9_S9_S9_S9_S9_S9_S9_EENS0_10empty_typeEbEEZZNS1_14partition_implILS5_6ELb0ES3_mNS7_12zip_iteratorINS8_INS7_6detail15normal_iteratorINS7_10device_ptrIfEEEESJ_S9_S9_S9_S9_S9_S9_S9_S9_EEEEPSB_SM_NS0_5tupleIJNSE_INS8_ISJ_NS7_16discard_iteratorINS7_11use_defaultEEES9_S9_S9_S9_S9_S9_S9_S9_EEEESB_EEENSN_IJSM_SM_EEESB_PlJNSF_9not_fun_tINSF_14equal_to_valueISA_EEEEEEE10hipError_tPvRmT3_T4_T5_T6_T7_T9_mT8_P12ihipStream_tbDpT10_ENKUlT_T0_E_clISt17integral_constantIbLb0EES1J_EEDaS1E_S1F_EUlS1E_E_NS1_11comp_targetILNS1_3genE9ELNS1_11target_archE1100ELNS1_3gpuE3ELNS1_3repE0EEENS1_30default_config_static_selectorELNS0_4arch9wavefront6targetE0EEEvT1_.uses_vcc, 0
	.set _ZN7rocprim17ROCPRIM_400000_NS6detail17trampoline_kernelINS0_14default_configENS1_25partition_config_selectorILNS1_17partition_subalgoE6EN6thrust23THRUST_200600_302600_NS5tupleIffNS7_9null_typeES9_S9_S9_S9_S9_S9_S9_EENS0_10empty_typeEbEEZZNS1_14partition_implILS5_6ELb0ES3_mNS7_12zip_iteratorINS8_INS7_6detail15normal_iteratorINS7_10device_ptrIfEEEESJ_S9_S9_S9_S9_S9_S9_S9_S9_EEEEPSB_SM_NS0_5tupleIJNSE_INS8_ISJ_NS7_16discard_iteratorINS7_11use_defaultEEES9_S9_S9_S9_S9_S9_S9_S9_EEEESB_EEENSN_IJSM_SM_EEESB_PlJNSF_9not_fun_tINSF_14equal_to_valueISA_EEEEEEE10hipError_tPvRmT3_T4_T5_T6_T7_T9_mT8_P12ihipStream_tbDpT10_ENKUlT_T0_E_clISt17integral_constantIbLb0EES1J_EEDaS1E_S1F_EUlS1E_E_NS1_11comp_targetILNS1_3genE9ELNS1_11target_archE1100ELNS1_3gpuE3ELNS1_3repE0EEENS1_30default_config_static_selectorELNS0_4arch9wavefront6targetE0EEEvT1_.uses_flat_scratch, 0
	.set _ZN7rocprim17ROCPRIM_400000_NS6detail17trampoline_kernelINS0_14default_configENS1_25partition_config_selectorILNS1_17partition_subalgoE6EN6thrust23THRUST_200600_302600_NS5tupleIffNS7_9null_typeES9_S9_S9_S9_S9_S9_S9_EENS0_10empty_typeEbEEZZNS1_14partition_implILS5_6ELb0ES3_mNS7_12zip_iteratorINS8_INS7_6detail15normal_iteratorINS7_10device_ptrIfEEEESJ_S9_S9_S9_S9_S9_S9_S9_S9_EEEEPSB_SM_NS0_5tupleIJNSE_INS8_ISJ_NS7_16discard_iteratorINS7_11use_defaultEEES9_S9_S9_S9_S9_S9_S9_S9_EEEESB_EEENSN_IJSM_SM_EEESB_PlJNSF_9not_fun_tINSF_14equal_to_valueISA_EEEEEEE10hipError_tPvRmT3_T4_T5_T6_T7_T9_mT8_P12ihipStream_tbDpT10_ENKUlT_T0_E_clISt17integral_constantIbLb0EES1J_EEDaS1E_S1F_EUlS1E_E_NS1_11comp_targetILNS1_3genE9ELNS1_11target_archE1100ELNS1_3gpuE3ELNS1_3repE0EEENS1_30default_config_static_selectorELNS0_4arch9wavefront6targetE0EEEvT1_.has_dyn_sized_stack, 0
	.set _ZN7rocprim17ROCPRIM_400000_NS6detail17trampoline_kernelINS0_14default_configENS1_25partition_config_selectorILNS1_17partition_subalgoE6EN6thrust23THRUST_200600_302600_NS5tupleIffNS7_9null_typeES9_S9_S9_S9_S9_S9_S9_EENS0_10empty_typeEbEEZZNS1_14partition_implILS5_6ELb0ES3_mNS7_12zip_iteratorINS8_INS7_6detail15normal_iteratorINS7_10device_ptrIfEEEESJ_S9_S9_S9_S9_S9_S9_S9_S9_EEEEPSB_SM_NS0_5tupleIJNSE_INS8_ISJ_NS7_16discard_iteratorINS7_11use_defaultEEES9_S9_S9_S9_S9_S9_S9_S9_EEEESB_EEENSN_IJSM_SM_EEESB_PlJNSF_9not_fun_tINSF_14equal_to_valueISA_EEEEEEE10hipError_tPvRmT3_T4_T5_T6_T7_T9_mT8_P12ihipStream_tbDpT10_ENKUlT_T0_E_clISt17integral_constantIbLb0EES1J_EEDaS1E_S1F_EUlS1E_E_NS1_11comp_targetILNS1_3genE9ELNS1_11target_archE1100ELNS1_3gpuE3ELNS1_3repE0EEENS1_30default_config_static_selectorELNS0_4arch9wavefront6targetE0EEEvT1_.has_recursion, 0
	.set _ZN7rocprim17ROCPRIM_400000_NS6detail17trampoline_kernelINS0_14default_configENS1_25partition_config_selectorILNS1_17partition_subalgoE6EN6thrust23THRUST_200600_302600_NS5tupleIffNS7_9null_typeES9_S9_S9_S9_S9_S9_S9_EENS0_10empty_typeEbEEZZNS1_14partition_implILS5_6ELb0ES3_mNS7_12zip_iteratorINS8_INS7_6detail15normal_iteratorINS7_10device_ptrIfEEEESJ_S9_S9_S9_S9_S9_S9_S9_S9_EEEEPSB_SM_NS0_5tupleIJNSE_INS8_ISJ_NS7_16discard_iteratorINS7_11use_defaultEEES9_S9_S9_S9_S9_S9_S9_S9_EEEESB_EEENSN_IJSM_SM_EEESB_PlJNSF_9not_fun_tINSF_14equal_to_valueISA_EEEEEEE10hipError_tPvRmT3_T4_T5_T6_T7_T9_mT8_P12ihipStream_tbDpT10_ENKUlT_T0_E_clISt17integral_constantIbLb0EES1J_EEDaS1E_S1F_EUlS1E_E_NS1_11comp_targetILNS1_3genE9ELNS1_11target_archE1100ELNS1_3gpuE3ELNS1_3repE0EEENS1_30default_config_static_selectorELNS0_4arch9wavefront6targetE0EEEvT1_.has_indirect_call, 0
	.section	.AMDGPU.csdata,"",@progbits
; Kernel info:
; codeLenInByte = 0
; TotalNumSgprs: 0
; NumVgprs: 0
; ScratchSize: 0
; MemoryBound: 0
; FloatMode: 240
; IeeeMode: 1
; LDSByteSize: 0 bytes/workgroup (compile time only)
; SGPRBlocks: 0
; VGPRBlocks: 0
; NumSGPRsForWavesPerEU: 1
; NumVGPRsForWavesPerEU: 1
; Occupancy: 16
; WaveLimiterHint : 0
; COMPUTE_PGM_RSRC2:SCRATCH_EN: 0
; COMPUTE_PGM_RSRC2:USER_SGPR: 2
; COMPUTE_PGM_RSRC2:TRAP_HANDLER: 0
; COMPUTE_PGM_RSRC2:TGID_X_EN: 1
; COMPUTE_PGM_RSRC2:TGID_Y_EN: 0
; COMPUTE_PGM_RSRC2:TGID_Z_EN: 0
; COMPUTE_PGM_RSRC2:TIDIG_COMP_CNT: 0
	.section	.text._ZN7rocprim17ROCPRIM_400000_NS6detail17trampoline_kernelINS0_14default_configENS1_25partition_config_selectorILNS1_17partition_subalgoE6EN6thrust23THRUST_200600_302600_NS5tupleIffNS7_9null_typeES9_S9_S9_S9_S9_S9_S9_EENS0_10empty_typeEbEEZZNS1_14partition_implILS5_6ELb0ES3_mNS7_12zip_iteratorINS8_INS7_6detail15normal_iteratorINS7_10device_ptrIfEEEESJ_S9_S9_S9_S9_S9_S9_S9_S9_EEEEPSB_SM_NS0_5tupleIJNSE_INS8_ISJ_NS7_16discard_iteratorINS7_11use_defaultEEES9_S9_S9_S9_S9_S9_S9_S9_EEEESB_EEENSN_IJSM_SM_EEESB_PlJNSF_9not_fun_tINSF_14equal_to_valueISA_EEEEEEE10hipError_tPvRmT3_T4_T5_T6_T7_T9_mT8_P12ihipStream_tbDpT10_ENKUlT_T0_E_clISt17integral_constantIbLb0EES1J_EEDaS1E_S1F_EUlS1E_E_NS1_11comp_targetILNS1_3genE8ELNS1_11target_archE1030ELNS1_3gpuE2ELNS1_3repE0EEENS1_30default_config_static_selectorELNS0_4arch9wavefront6targetE0EEEvT1_,"axG",@progbits,_ZN7rocprim17ROCPRIM_400000_NS6detail17trampoline_kernelINS0_14default_configENS1_25partition_config_selectorILNS1_17partition_subalgoE6EN6thrust23THRUST_200600_302600_NS5tupleIffNS7_9null_typeES9_S9_S9_S9_S9_S9_S9_EENS0_10empty_typeEbEEZZNS1_14partition_implILS5_6ELb0ES3_mNS7_12zip_iteratorINS8_INS7_6detail15normal_iteratorINS7_10device_ptrIfEEEESJ_S9_S9_S9_S9_S9_S9_S9_S9_EEEEPSB_SM_NS0_5tupleIJNSE_INS8_ISJ_NS7_16discard_iteratorINS7_11use_defaultEEES9_S9_S9_S9_S9_S9_S9_S9_EEEESB_EEENSN_IJSM_SM_EEESB_PlJNSF_9not_fun_tINSF_14equal_to_valueISA_EEEEEEE10hipError_tPvRmT3_T4_T5_T6_T7_T9_mT8_P12ihipStream_tbDpT10_ENKUlT_T0_E_clISt17integral_constantIbLb0EES1J_EEDaS1E_S1F_EUlS1E_E_NS1_11comp_targetILNS1_3genE8ELNS1_11target_archE1030ELNS1_3gpuE2ELNS1_3repE0EEENS1_30default_config_static_selectorELNS0_4arch9wavefront6targetE0EEEvT1_,comdat
	.protected	_ZN7rocprim17ROCPRIM_400000_NS6detail17trampoline_kernelINS0_14default_configENS1_25partition_config_selectorILNS1_17partition_subalgoE6EN6thrust23THRUST_200600_302600_NS5tupleIffNS7_9null_typeES9_S9_S9_S9_S9_S9_S9_EENS0_10empty_typeEbEEZZNS1_14partition_implILS5_6ELb0ES3_mNS7_12zip_iteratorINS8_INS7_6detail15normal_iteratorINS7_10device_ptrIfEEEESJ_S9_S9_S9_S9_S9_S9_S9_S9_EEEEPSB_SM_NS0_5tupleIJNSE_INS8_ISJ_NS7_16discard_iteratorINS7_11use_defaultEEES9_S9_S9_S9_S9_S9_S9_S9_EEEESB_EEENSN_IJSM_SM_EEESB_PlJNSF_9not_fun_tINSF_14equal_to_valueISA_EEEEEEE10hipError_tPvRmT3_T4_T5_T6_T7_T9_mT8_P12ihipStream_tbDpT10_ENKUlT_T0_E_clISt17integral_constantIbLb0EES1J_EEDaS1E_S1F_EUlS1E_E_NS1_11comp_targetILNS1_3genE8ELNS1_11target_archE1030ELNS1_3gpuE2ELNS1_3repE0EEENS1_30default_config_static_selectorELNS0_4arch9wavefront6targetE0EEEvT1_ ; -- Begin function _ZN7rocprim17ROCPRIM_400000_NS6detail17trampoline_kernelINS0_14default_configENS1_25partition_config_selectorILNS1_17partition_subalgoE6EN6thrust23THRUST_200600_302600_NS5tupleIffNS7_9null_typeES9_S9_S9_S9_S9_S9_S9_EENS0_10empty_typeEbEEZZNS1_14partition_implILS5_6ELb0ES3_mNS7_12zip_iteratorINS8_INS7_6detail15normal_iteratorINS7_10device_ptrIfEEEESJ_S9_S9_S9_S9_S9_S9_S9_S9_EEEEPSB_SM_NS0_5tupleIJNSE_INS8_ISJ_NS7_16discard_iteratorINS7_11use_defaultEEES9_S9_S9_S9_S9_S9_S9_S9_EEEESB_EEENSN_IJSM_SM_EEESB_PlJNSF_9not_fun_tINSF_14equal_to_valueISA_EEEEEEE10hipError_tPvRmT3_T4_T5_T6_T7_T9_mT8_P12ihipStream_tbDpT10_ENKUlT_T0_E_clISt17integral_constantIbLb0EES1J_EEDaS1E_S1F_EUlS1E_E_NS1_11comp_targetILNS1_3genE8ELNS1_11target_archE1030ELNS1_3gpuE2ELNS1_3repE0EEENS1_30default_config_static_selectorELNS0_4arch9wavefront6targetE0EEEvT1_
	.globl	_ZN7rocprim17ROCPRIM_400000_NS6detail17trampoline_kernelINS0_14default_configENS1_25partition_config_selectorILNS1_17partition_subalgoE6EN6thrust23THRUST_200600_302600_NS5tupleIffNS7_9null_typeES9_S9_S9_S9_S9_S9_S9_EENS0_10empty_typeEbEEZZNS1_14partition_implILS5_6ELb0ES3_mNS7_12zip_iteratorINS8_INS7_6detail15normal_iteratorINS7_10device_ptrIfEEEESJ_S9_S9_S9_S9_S9_S9_S9_S9_EEEEPSB_SM_NS0_5tupleIJNSE_INS8_ISJ_NS7_16discard_iteratorINS7_11use_defaultEEES9_S9_S9_S9_S9_S9_S9_S9_EEEESB_EEENSN_IJSM_SM_EEESB_PlJNSF_9not_fun_tINSF_14equal_to_valueISA_EEEEEEE10hipError_tPvRmT3_T4_T5_T6_T7_T9_mT8_P12ihipStream_tbDpT10_ENKUlT_T0_E_clISt17integral_constantIbLb0EES1J_EEDaS1E_S1F_EUlS1E_E_NS1_11comp_targetILNS1_3genE8ELNS1_11target_archE1030ELNS1_3gpuE2ELNS1_3repE0EEENS1_30default_config_static_selectorELNS0_4arch9wavefront6targetE0EEEvT1_
	.p2align	8
	.type	_ZN7rocprim17ROCPRIM_400000_NS6detail17trampoline_kernelINS0_14default_configENS1_25partition_config_selectorILNS1_17partition_subalgoE6EN6thrust23THRUST_200600_302600_NS5tupleIffNS7_9null_typeES9_S9_S9_S9_S9_S9_S9_EENS0_10empty_typeEbEEZZNS1_14partition_implILS5_6ELb0ES3_mNS7_12zip_iteratorINS8_INS7_6detail15normal_iteratorINS7_10device_ptrIfEEEESJ_S9_S9_S9_S9_S9_S9_S9_S9_EEEEPSB_SM_NS0_5tupleIJNSE_INS8_ISJ_NS7_16discard_iteratorINS7_11use_defaultEEES9_S9_S9_S9_S9_S9_S9_S9_EEEESB_EEENSN_IJSM_SM_EEESB_PlJNSF_9not_fun_tINSF_14equal_to_valueISA_EEEEEEE10hipError_tPvRmT3_T4_T5_T6_T7_T9_mT8_P12ihipStream_tbDpT10_ENKUlT_T0_E_clISt17integral_constantIbLb0EES1J_EEDaS1E_S1F_EUlS1E_E_NS1_11comp_targetILNS1_3genE8ELNS1_11target_archE1030ELNS1_3gpuE2ELNS1_3repE0EEENS1_30default_config_static_selectorELNS0_4arch9wavefront6targetE0EEEvT1_,@function
_ZN7rocprim17ROCPRIM_400000_NS6detail17trampoline_kernelINS0_14default_configENS1_25partition_config_selectorILNS1_17partition_subalgoE6EN6thrust23THRUST_200600_302600_NS5tupleIffNS7_9null_typeES9_S9_S9_S9_S9_S9_S9_EENS0_10empty_typeEbEEZZNS1_14partition_implILS5_6ELb0ES3_mNS7_12zip_iteratorINS8_INS7_6detail15normal_iteratorINS7_10device_ptrIfEEEESJ_S9_S9_S9_S9_S9_S9_S9_S9_EEEEPSB_SM_NS0_5tupleIJNSE_INS8_ISJ_NS7_16discard_iteratorINS7_11use_defaultEEES9_S9_S9_S9_S9_S9_S9_S9_EEEESB_EEENSN_IJSM_SM_EEESB_PlJNSF_9not_fun_tINSF_14equal_to_valueISA_EEEEEEE10hipError_tPvRmT3_T4_T5_T6_T7_T9_mT8_P12ihipStream_tbDpT10_ENKUlT_T0_E_clISt17integral_constantIbLb0EES1J_EEDaS1E_S1F_EUlS1E_E_NS1_11comp_targetILNS1_3genE8ELNS1_11target_archE1030ELNS1_3gpuE2ELNS1_3repE0EEENS1_30default_config_static_selectorELNS0_4arch9wavefront6targetE0EEEvT1_: ; @_ZN7rocprim17ROCPRIM_400000_NS6detail17trampoline_kernelINS0_14default_configENS1_25partition_config_selectorILNS1_17partition_subalgoE6EN6thrust23THRUST_200600_302600_NS5tupleIffNS7_9null_typeES9_S9_S9_S9_S9_S9_S9_EENS0_10empty_typeEbEEZZNS1_14partition_implILS5_6ELb0ES3_mNS7_12zip_iteratorINS8_INS7_6detail15normal_iteratorINS7_10device_ptrIfEEEESJ_S9_S9_S9_S9_S9_S9_S9_S9_EEEEPSB_SM_NS0_5tupleIJNSE_INS8_ISJ_NS7_16discard_iteratorINS7_11use_defaultEEES9_S9_S9_S9_S9_S9_S9_S9_EEEESB_EEENSN_IJSM_SM_EEESB_PlJNSF_9not_fun_tINSF_14equal_to_valueISA_EEEEEEE10hipError_tPvRmT3_T4_T5_T6_T7_T9_mT8_P12ihipStream_tbDpT10_ENKUlT_T0_E_clISt17integral_constantIbLb0EES1J_EEDaS1E_S1F_EUlS1E_E_NS1_11comp_targetILNS1_3genE8ELNS1_11target_archE1030ELNS1_3gpuE2ELNS1_3repE0EEENS1_30default_config_static_selectorELNS0_4arch9wavefront6targetE0EEEvT1_
; %bb.0:
	.section	.rodata,"a",@progbits
	.p2align	6, 0x0
	.amdhsa_kernel _ZN7rocprim17ROCPRIM_400000_NS6detail17trampoline_kernelINS0_14default_configENS1_25partition_config_selectorILNS1_17partition_subalgoE6EN6thrust23THRUST_200600_302600_NS5tupleIffNS7_9null_typeES9_S9_S9_S9_S9_S9_S9_EENS0_10empty_typeEbEEZZNS1_14partition_implILS5_6ELb0ES3_mNS7_12zip_iteratorINS8_INS7_6detail15normal_iteratorINS7_10device_ptrIfEEEESJ_S9_S9_S9_S9_S9_S9_S9_S9_EEEEPSB_SM_NS0_5tupleIJNSE_INS8_ISJ_NS7_16discard_iteratorINS7_11use_defaultEEES9_S9_S9_S9_S9_S9_S9_S9_EEEESB_EEENSN_IJSM_SM_EEESB_PlJNSF_9not_fun_tINSF_14equal_to_valueISA_EEEEEEE10hipError_tPvRmT3_T4_T5_T6_T7_T9_mT8_P12ihipStream_tbDpT10_ENKUlT_T0_E_clISt17integral_constantIbLb0EES1J_EEDaS1E_S1F_EUlS1E_E_NS1_11comp_targetILNS1_3genE8ELNS1_11target_archE1030ELNS1_3gpuE2ELNS1_3repE0EEENS1_30default_config_static_selectorELNS0_4arch9wavefront6targetE0EEEvT1_
		.amdhsa_group_segment_fixed_size 0
		.amdhsa_private_segment_fixed_size 0
		.amdhsa_kernarg_size 144
		.amdhsa_user_sgpr_count 2
		.amdhsa_user_sgpr_dispatch_ptr 0
		.amdhsa_user_sgpr_queue_ptr 0
		.amdhsa_user_sgpr_kernarg_segment_ptr 1
		.amdhsa_user_sgpr_dispatch_id 0
		.amdhsa_user_sgpr_private_segment_size 0
		.amdhsa_wavefront_size32 1
		.amdhsa_uses_dynamic_stack 0
		.amdhsa_enable_private_segment 0
		.amdhsa_system_sgpr_workgroup_id_x 1
		.amdhsa_system_sgpr_workgroup_id_y 0
		.amdhsa_system_sgpr_workgroup_id_z 0
		.amdhsa_system_sgpr_workgroup_info 0
		.amdhsa_system_vgpr_workitem_id 0
		.amdhsa_next_free_vgpr 1
		.amdhsa_next_free_sgpr 1
		.amdhsa_reserve_vcc 0
		.amdhsa_float_round_mode_32 0
		.amdhsa_float_round_mode_16_64 0
		.amdhsa_float_denorm_mode_32 3
		.amdhsa_float_denorm_mode_16_64 3
		.amdhsa_fp16_overflow 0
		.amdhsa_workgroup_processor_mode 1
		.amdhsa_memory_ordered 1
		.amdhsa_forward_progress 1
		.amdhsa_inst_pref_size 0
		.amdhsa_round_robin_scheduling 0
		.amdhsa_exception_fp_ieee_invalid_op 0
		.amdhsa_exception_fp_denorm_src 0
		.amdhsa_exception_fp_ieee_div_zero 0
		.amdhsa_exception_fp_ieee_overflow 0
		.amdhsa_exception_fp_ieee_underflow 0
		.amdhsa_exception_fp_ieee_inexact 0
		.amdhsa_exception_int_div_zero 0
	.end_amdhsa_kernel
	.section	.text._ZN7rocprim17ROCPRIM_400000_NS6detail17trampoline_kernelINS0_14default_configENS1_25partition_config_selectorILNS1_17partition_subalgoE6EN6thrust23THRUST_200600_302600_NS5tupleIffNS7_9null_typeES9_S9_S9_S9_S9_S9_S9_EENS0_10empty_typeEbEEZZNS1_14partition_implILS5_6ELb0ES3_mNS7_12zip_iteratorINS8_INS7_6detail15normal_iteratorINS7_10device_ptrIfEEEESJ_S9_S9_S9_S9_S9_S9_S9_S9_EEEEPSB_SM_NS0_5tupleIJNSE_INS8_ISJ_NS7_16discard_iteratorINS7_11use_defaultEEES9_S9_S9_S9_S9_S9_S9_S9_EEEESB_EEENSN_IJSM_SM_EEESB_PlJNSF_9not_fun_tINSF_14equal_to_valueISA_EEEEEEE10hipError_tPvRmT3_T4_T5_T6_T7_T9_mT8_P12ihipStream_tbDpT10_ENKUlT_T0_E_clISt17integral_constantIbLb0EES1J_EEDaS1E_S1F_EUlS1E_E_NS1_11comp_targetILNS1_3genE8ELNS1_11target_archE1030ELNS1_3gpuE2ELNS1_3repE0EEENS1_30default_config_static_selectorELNS0_4arch9wavefront6targetE0EEEvT1_,"axG",@progbits,_ZN7rocprim17ROCPRIM_400000_NS6detail17trampoline_kernelINS0_14default_configENS1_25partition_config_selectorILNS1_17partition_subalgoE6EN6thrust23THRUST_200600_302600_NS5tupleIffNS7_9null_typeES9_S9_S9_S9_S9_S9_S9_EENS0_10empty_typeEbEEZZNS1_14partition_implILS5_6ELb0ES3_mNS7_12zip_iteratorINS8_INS7_6detail15normal_iteratorINS7_10device_ptrIfEEEESJ_S9_S9_S9_S9_S9_S9_S9_S9_EEEEPSB_SM_NS0_5tupleIJNSE_INS8_ISJ_NS7_16discard_iteratorINS7_11use_defaultEEES9_S9_S9_S9_S9_S9_S9_S9_EEEESB_EEENSN_IJSM_SM_EEESB_PlJNSF_9not_fun_tINSF_14equal_to_valueISA_EEEEEEE10hipError_tPvRmT3_T4_T5_T6_T7_T9_mT8_P12ihipStream_tbDpT10_ENKUlT_T0_E_clISt17integral_constantIbLb0EES1J_EEDaS1E_S1F_EUlS1E_E_NS1_11comp_targetILNS1_3genE8ELNS1_11target_archE1030ELNS1_3gpuE2ELNS1_3repE0EEENS1_30default_config_static_selectorELNS0_4arch9wavefront6targetE0EEEvT1_,comdat
.Lfunc_end1860:
	.size	_ZN7rocprim17ROCPRIM_400000_NS6detail17trampoline_kernelINS0_14default_configENS1_25partition_config_selectorILNS1_17partition_subalgoE6EN6thrust23THRUST_200600_302600_NS5tupleIffNS7_9null_typeES9_S9_S9_S9_S9_S9_S9_EENS0_10empty_typeEbEEZZNS1_14partition_implILS5_6ELb0ES3_mNS7_12zip_iteratorINS8_INS7_6detail15normal_iteratorINS7_10device_ptrIfEEEESJ_S9_S9_S9_S9_S9_S9_S9_S9_EEEEPSB_SM_NS0_5tupleIJNSE_INS8_ISJ_NS7_16discard_iteratorINS7_11use_defaultEEES9_S9_S9_S9_S9_S9_S9_S9_EEEESB_EEENSN_IJSM_SM_EEESB_PlJNSF_9not_fun_tINSF_14equal_to_valueISA_EEEEEEE10hipError_tPvRmT3_T4_T5_T6_T7_T9_mT8_P12ihipStream_tbDpT10_ENKUlT_T0_E_clISt17integral_constantIbLb0EES1J_EEDaS1E_S1F_EUlS1E_E_NS1_11comp_targetILNS1_3genE8ELNS1_11target_archE1030ELNS1_3gpuE2ELNS1_3repE0EEENS1_30default_config_static_selectorELNS0_4arch9wavefront6targetE0EEEvT1_, .Lfunc_end1860-_ZN7rocprim17ROCPRIM_400000_NS6detail17trampoline_kernelINS0_14default_configENS1_25partition_config_selectorILNS1_17partition_subalgoE6EN6thrust23THRUST_200600_302600_NS5tupleIffNS7_9null_typeES9_S9_S9_S9_S9_S9_S9_EENS0_10empty_typeEbEEZZNS1_14partition_implILS5_6ELb0ES3_mNS7_12zip_iteratorINS8_INS7_6detail15normal_iteratorINS7_10device_ptrIfEEEESJ_S9_S9_S9_S9_S9_S9_S9_S9_EEEEPSB_SM_NS0_5tupleIJNSE_INS8_ISJ_NS7_16discard_iteratorINS7_11use_defaultEEES9_S9_S9_S9_S9_S9_S9_S9_EEEESB_EEENSN_IJSM_SM_EEESB_PlJNSF_9not_fun_tINSF_14equal_to_valueISA_EEEEEEE10hipError_tPvRmT3_T4_T5_T6_T7_T9_mT8_P12ihipStream_tbDpT10_ENKUlT_T0_E_clISt17integral_constantIbLb0EES1J_EEDaS1E_S1F_EUlS1E_E_NS1_11comp_targetILNS1_3genE8ELNS1_11target_archE1030ELNS1_3gpuE2ELNS1_3repE0EEENS1_30default_config_static_selectorELNS0_4arch9wavefront6targetE0EEEvT1_
                                        ; -- End function
	.set _ZN7rocprim17ROCPRIM_400000_NS6detail17trampoline_kernelINS0_14default_configENS1_25partition_config_selectorILNS1_17partition_subalgoE6EN6thrust23THRUST_200600_302600_NS5tupleIffNS7_9null_typeES9_S9_S9_S9_S9_S9_S9_EENS0_10empty_typeEbEEZZNS1_14partition_implILS5_6ELb0ES3_mNS7_12zip_iteratorINS8_INS7_6detail15normal_iteratorINS7_10device_ptrIfEEEESJ_S9_S9_S9_S9_S9_S9_S9_S9_EEEEPSB_SM_NS0_5tupleIJNSE_INS8_ISJ_NS7_16discard_iteratorINS7_11use_defaultEEES9_S9_S9_S9_S9_S9_S9_S9_EEEESB_EEENSN_IJSM_SM_EEESB_PlJNSF_9not_fun_tINSF_14equal_to_valueISA_EEEEEEE10hipError_tPvRmT3_T4_T5_T6_T7_T9_mT8_P12ihipStream_tbDpT10_ENKUlT_T0_E_clISt17integral_constantIbLb0EES1J_EEDaS1E_S1F_EUlS1E_E_NS1_11comp_targetILNS1_3genE8ELNS1_11target_archE1030ELNS1_3gpuE2ELNS1_3repE0EEENS1_30default_config_static_selectorELNS0_4arch9wavefront6targetE0EEEvT1_.num_vgpr, 0
	.set _ZN7rocprim17ROCPRIM_400000_NS6detail17trampoline_kernelINS0_14default_configENS1_25partition_config_selectorILNS1_17partition_subalgoE6EN6thrust23THRUST_200600_302600_NS5tupleIffNS7_9null_typeES9_S9_S9_S9_S9_S9_S9_EENS0_10empty_typeEbEEZZNS1_14partition_implILS5_6ELb0ES3_mNS7_12zip_iteratorINS8_INS7_6detail15normal_iteratorINS7_10device_ptrIfEEEESJ_S9_S9_S9_S9_S9_S9_S9_S9_EEEEPSB_SM_NS0_5tupleIJNSE_INS8_ISJ_NS7_16discard_iteratorINS7_11use_defaultEEES9_S9_S9_S9_S9_S9_S9_S9_EEEESB_EEENSN_IJSM_SM_EEESB_PlJNSF_9not_fun_tINSF_14equal_to_valueISA_EEEEEEE10hipError_tPvRmT3_T4_T5_T6_T7_T9_mT8_P12ihipStream_tbDpT10_ENKUlT_T0_E_clISt17integral_constantIbLb0EES1J_EEDaS1E_S1F_EUlS1E_E_NS1_11comp_targetILNS1_3genE8ELNS1_11target_archE1030ELNS1_3gpuE2ELNS1_3repE0EEENS1_30default_config_static_selectorELNS0_4arch9wavefront6targetE0EEEvT1_.num_agpr, 0
	.set _ZN7rocprim17ROCPRIM_400000_NS6detail17trampoline_kernelINS0_14default_configENS1_25partition_config_selectorILNS1_17partition_subalgoE6EN6thrust23THRUST_200600_302600_NS5tupleIffNS7_9null_typeES9_S9_S9_S9_S9_S9_S9_EENS0_10empty_typeEbEEZZNS1_14partition_implILS5_6ELb0ES3_mNS7_12zip_iteratorINS8_INS7_6detail15normal_iteratorINS7_10device_ptrIfEEEESJ_S9_S9_S9_S9_S9_S9_S9_S9_EEEEPSB_SM_NS0_5tupleIJNSE_INS8_ISJ_NS7_16discard_iteratorINS7_11use_defaultEEES9_S9_S9_S9_S9_S9_S9_S9_EEEESB_EEENSN_IJSM_SM_EEESB_PlJNSF_9not_fun_tINSF_14equal_to_valueISA_EEEEEEE10hipError_tPvRmT3_T4_T5_T6_T7_T9_mT8_P12ihipStream_tbDpT10_ENKUlT_T0_E_clISt17integral_constantIbLb0EES1J_EEDaS1E_S1F_EUlS1E_E_NS1_11comp_targetILNS1_3genE8ELNS1_11target_archE1030ELNS1_3gpuE2ELNS1_3repE0EEENS1_30default_config_static_selectorELNS0_4arch9wavefront6targetE0EEEvT1_.numbered_sgpr, 0
	.set _ZN7rocprim17ROCPRIM_400000_NS6detail17trampoline_kernelINS0_14default_configENS1_25partition_config_selectorILNS1_17partition_subalgoE6EN6thrust23THRUST_200600_302600_NS5tupleIffNS7_9null_typeES9_S9_S9_S9_S9_S9_S9_EENS0_10empty_typeEbEEZZNS1_14partition_implILS5_6ELb0ES3_mNS7_12zip_iteratorINS8_INS7_6detail15normal_iteratorINS7_10device_ptrIfEEEESJ_S9_S9_S9_S9_S9_S9_S9_S9_EEEEPSB_SM_NS0_5tupleIJNSE_INS8_ISJ_NS7_16discard_iteratorINS7_11use_defaultEEES9_S9_S9_S9_S9_S9_S9_S9_EEEESB_EEENSN_IJSM_SM_EEESB_PlJNSF_9not_fun_tINSF_14equal_to_valueISA_EEEEEEE10hipError_tPvRmT3_T4_T5_T6_T7_T9_mT8_P12ihipStream_tbDpT10_ENKUlT_T0_E_clISt17integral_constantIbLb0EES1J_EEDaS1E_S1F_EUlS1E_E_NS1_11comp_targetILNS1_3genE8ELNS1_11target_archE1030ELNS1_3gpuE2ELNS1_3repE0EEENS1_30default_config_static_selectorELNS0_4arch9wavefront6targetE0EEEvT1_.num_named_barrier, 0
	.set _ZN7rocprim17ROCPRIM_400000_NS6detail17trampoline_kernelINS0_14default_configENS1_25partition_config_selectorILNS1_17partition_subalgoE6EN6thrust23THRUST_200600_302600_NS5tupleIffNS7_9null_typeES9_S9_S9_S9_S9_S9_S9_EENS0_10empty_typeEbEEZZNS1_14partition_implILS5_6ELb0ES3_mNS7_12zip_iteratorINS8_INS7_6detail15normal_iteratorINS7_10device_ptrIfEEEESJ_S9_S9_S9_S9_S9_S9_S9_S9_EEEEPSB_SM_NS0_5tupleIJNSE_INS8_ISJ_NS7_16discard_iteratorINS7_11use_defaultEEES9_S9_S9_S9_S9_S9_S9_S9_EEEESB_EEENSN_IJSM_SM_EEESB_PlJNSF_9not_fun_tINSF_14equal_to_valueISA_EEEEEEE10hipError_tPvRmT3_T4_T5_T6_T7_T9_mT8_P12ihipStream_tbDpT10_ENKUlT_T0_E_clISt17integral_constantIbLb0EES1J_EEDaS1E_S1F_EUlS1E_E_NS1_11comp_targetILNS1_3genE8ELNS1_11target_archE1030ELNS1_3gpuE2ELNS1_3repE0EEENS1_30default_config_static_selectorELNS0_4arch9wavefront6targetE0EEEvT1_.private_seg_size, 0
	.set _ZN7rocprim17ROCPRIM_400000_NS6detail17trampoline_kernelINS0_14default_configENS1_25partition_config_selectorILNS1_17partition_subalgoE6EN6thrust23THRUST_200600_302600_NS5tupleIffNS7_9null_typeES9_S9_S9_S9_S9_S9_S9_EENS0_10empty_typeEbEEZZNS1_14partition_implILS5_6ELb0ES3_mNS7_12zip_iteratorINS8_INS7_6detail15normal_iteratorINS7_10device_ptrIfEEEESJ_S9_S9_S9_S9_S9_S9_S9_S9_EEEEPSB_SM_NS0_5tupleIJNSE_INS8_ISJ_NS7_16discard_iteratorINS7_11use_defaultEEES9_S9_S9_S9_S9_S9_S9_S9_EEEESB_EEENSN_IJSM_SM_EEESB_PlJNSF_9not_fun_tINSF_14equal_to_valueISA_EEEEEEE10hipError_tPvRmT3_T4_T5_T6_T7_T9_mT8_P12ihipStream_tbDpT10_ENKUlT_T0_E_clISt17integral_constantIbLb0EES1J_EEDaS1E_S1F_EUlS1E_E_NS1_11comp_targetILNS1_3genE8ELNS1_11target_archE1030ELNS1_3gpuE2ELNS1_3repE0EEENS1_30default_config_static_selectorELNS0_4arch9wavefront6targetE0EEEvT1_.uses_vcc, 0
	.set _ZN7rocprim17ROCPRIM_400000_NS6detail17trampoline_kernelINS0_14default_configENS1_25partition_config_selectorILNS1_17partition_subalgoE6EN6thrust23THRUST_200600_302600_NS5tupleIffNS7_9null_typeES9_S9_S9_S9_S9_S9_S9_EENS0_10empty_typeEbEEZZNS1_14partition_implILS5_6ELb0ES3_mNS7_12zip_iteratorINS8_INS7_6detail15normal_iteratorINS7_10device_ptrIfEEEESJ_S9_S9_S9_S9_S9_S9_S9_S9_EEEEPSB_SM_NS0_5tupleIJNSE_INS8_ISJ_NS7_16discard_iteratorINS7_11use_defaultEEES9_S9_S9_S9_S9_S9_S9_S9_EEEESB_EEENSN_IJSM_SM_EEESB_PlJNSF_9not_fun_tINSF_14equal_to_valueISA_EEEEEEE10hipError_tPvRmT3_T4_T5_T6_T7_T9_mT8_P12ihipStream_tbDpT10_ENKUlT_T0_E_clISt17integral_constantIbLb0EES1J_EEDaS1E_S1F_EUlS1E_E_NS1_11comp_targetILNS1_3genE8ELNS1_11target_archE1030ELNS1_3gpuE2ELNS1_3repE0EEENS1_30default_config_static_selectorELNS0_4arch9wavefront6targetE0EEEvT1_.uses_flat_scratch, 0
	.set _ZN7rocprim17ROCPRIM_400000_NS6detail17trampoline_kernelINS0_14default_configENS1_25partition_config_selectorILNS1_17partition_subalgoE6EN6thrust23THRUST_200600_302600_NS5tupleIffNS7_9null_typeES9_S9_S9_S9_S9_S9_S9_EENS0_10empty_typeEbEEZZNS1_14partition_implILS5_6ELb0ES3_mNS7_12zip_iteratorINS8_INS7_6detail15normal_iteratorINS7_10device_ptrIfEEEESJ_S9_S9_S9_S9_S9_S9_S9_S9_EEEEPSB_SM_NS0_5tupleIJNSE_INS8_ISJ_NS7_16discard_iteratorINS7_11use_defaultEEES9_S9_S9_S9_S9_S9_S9_S9_EEEESB_EEENSN_IJSM_SM_EEESB_PlJNSF_9not_fun_tINSF_14equal_to_valueISA_EEEEEEE10hipError_tPvRmT3_T4_T5_T6_T7_T9_mT8_P12ihipStream_tbDpT10_ENKUlT_T0_E_clISt17integral_constantIbLb0EES1J_EEDaS1E_S1F_EUlS1E_E_NS1_11comp_targetILNS1_3genE8ELNS1_11target_archE1030ELNS1_3gpuE2ELNS1_3repE0EEENS1_30default_config_static_selectorELNS0_4arch9wavefront6targetE0EEEvT1_.has_dyn_sized_stack, 0
	.set _ZN7rocprim17ROCPRIM_400000_NS6detail17trampoline_kernelINS0_14default_configENS1_25partition_config_selectorILNS1_17partition_subalgoE6EN6thrust23THRUST_200600_302600_NS5tupleIffNS7_9null_typeES9_S9_S9_S9_S9_S9_S9_EENS0_10empty_typeEbEEZZNS1_14partition_implILS5_6ELb0ES3_mNS7_12zip_iteratorINS8_INS7_6detail15normal_iteratorINS7_10device_ptrIfEEEESJ_S9_S9_S9_S9_S9_S9_S9_S9_EEEEPSB_SM_NS0_5tupleIJNSE_INS8_ISJ_NS7_16discard_iteratorINS7_11use_defaultEEES9_S9_S9_S9_S9_S9_S9_S9_EEEESB_EEENSN_IJSM_SM_EEESB_PlJNSF_9not_fun_tINSF_14equal_to_valueISA_EEEEEEE10hipError_tPvRmT3_T4_T5_T6_T7_T9_mT8_P12ihipStream_tbDpT10_ENKUlT_T0_E_clISt17integral_constantIbLb0EES1J_EEDaS1E_S1F_EUlS1E_E_NS1_11comp_targetILNS1_3genE8ELNS1_11target_archE1030ELNS1_3gpuE2ELNS1_3repE0EEENS1_30default_config_static_selectorELNS0_4arch9wavefront6targetE0EEEvT1_.has_recursion, 0
	.set _ZN7rocprim17ROCPRIM_400000_NS6detail17trampoline_kernelINS0_14default_configENS1_25partition_config_selectorILNS1_17partition_subalgoE6EN6thrust23THRUST_200600_302600_NS5tupleIffNS7_9null_typeES9_S9_S9_S9_S9_S9_S9_EENS0_10empty_typeEbEEZZNS1_14partition_implILS5_6ELb0ES3_mNS7_12zip_iteratorINS8_INS7_6detail15normal_iteratorINS7_10device_ptrIfEEEESJ_S9_S9_S9_S9_S9_S9_S9_S9_EEEEPSB_SM_NS0_5tupleIJNSE_INS8_ISJ_NS7_16discard_iteratorINS7_11use_defaultEEES9_S9_S9_S9_S9_S9_S9_S9_EEEESB_EEENSN_IJSM_SM_EEESB_PlJNSF_9not_fun_tINSF_14equal_to_valueISA_EEEEEEE10hipError_tPvRmT3_T4_T5_T6_T7_T9_mT8_P12ihipStream_tbDpT10_ENKUlT_T0_E_clISt17integral_constantIbLb0EES1J_EEDaS1E_S1F_EUlS1E_E_NS1_11comp_targetILNS1_3genE8ELNS1_11target_archE1030ELNS1_3gpuE2ELNS1_3repE0EEENS1_30default_config_static_selectorELNS0_4arch9wavefront6targetE0EEEvT1_.has_indirect_call, 0
	.section	.AMDGPU.csdata,"",@progbits
; Kernel info:
; codeLenInByte = 0
; TotalNumSgprs: 0
; NumVgprs: 0
; ScratchSize: 0
; MemoryBound: 0
; FloatMode: 240
; IeeeMode: 1
; LDSByteSize: 0 bytes/workgroup (compile time only)
; SGPRBlocks: 0
; VGPRBlocks: 0
; NumSGPRsForWavesPerEU: 1
; NumVGPRsForWavesPerEU: 1
; Occupancy: 16
; WaveLimiterHint : 0
; COMPUTE_PGM_RSRC2:SCRATCH_EN: 0
; COMPUTE_PGM_RSRC2:USER_SGPR: 2
; COMPUTE_PGM_RSRC2:TRAP_HANDLER: 0
; COMPUTE_PGM_RSRC2:TGID_X_EN: 1
; COMPUTE_PGM_RSRC2:TGID_Y_EN: 0
; COMPUTE_PGM_RSRC2:TGID_Z_EN: 0
; COMPUTE_PGM_RSRC2:TIDIG_COMP_CNT: 0
	.section	.text._ZN7rocprim17ROCPRIM_400000_NS6detail17trampoline_kernelINS0_14default_configENS1_25partition_config_selectorILNS1_17partition_subalgoE6EN6thrust23THRUST_200600_302600_NS5tupleIffNS7_9null_typeES9_S9_S9_S9_S9_S9_S9_EENS0_10empty_typeEbEEZZNS1_14partition_implILS5_6ELb0ES3_mNS7_12zip_iteratorINS8_INS7_6detail15normal_iteratorINS7_10device_ptrIfEEEESJ_S9_S9_S9_S9_S9_S9_S9_S9_EEEEPSB_SM_NS0_5tupleIJNSE_INS8_ISJ_NS7_16discard_iteratorINS7_11use_defaultEEES9_S9_S9_S9_S9_S9_S9_S9_EEEESB_EEENSN_IJSM_SM_EEESB_PlJNSF_9not_fun_tINSF_14equal_to_valueISA_EEEEEEE10hipError_tPvRmT3_T4_T5_T6_T7_T9_mT8_P12ihipStream_tbDpT10_ENKUlT_T0_E_clISt17integral_constantIbLb1EES1J_EEDaS1E_S1F_EUlS1E_E_NS1_11comp_targetILNS1_3genE0ELNS1_11target_archE4294967295ELNS1_3gpuE0ELNS1_3repE0EEENS1_30default_config_static_selectorELNS0_4arch9wavefront6targetE0EEEvT1_,"axG",@progbits,_ZN7rocprim17ROCPRIM_400000_NS6detail17trampoline_kernelINS0_14default_configENS1_25partition_config_selectorILNS1_17partition_subalgoE6EN6thrust23THRUST_200600_302600_NS5tupleIffNS7_9null_typeES9_S9_S9_S9_S9_S9_S9_EENS0_10empty_typeEbEEZZNS1_14partition_implILS5_6ELb0ES3_mNS7_12zip_iteratorINS8_INS7_6detail15normal_iteratorINS7_10device_ptrIfEEEESJ_S9_S9_S9_S9_S9_S9_S9_S9_EEEEPSB_SM_NS0_5tupleIJNSE_INS8_ISJ_NS7_16discard_iteratorINS7_11use_defaultEEES9_S9_S9_S9_S9_S9_S9_S9_EEEESB_EEENSN_IJSM_SM_EEESB_PlJNSF_9not_fun_tINSF_14equal_to_valueISA_EEEEEEE10hipError_tPvRmT3_T4_T5_T6_T7_T9_mT8_P12ihipStream_tbDpT10_ENKUlT_T0_E_clISt17integral_constantIbLb1EES1J_EEDaS1E_S1F_EUlS1E_E_NS1_11comp_targetILNS1_3genE0ELNS1_11target_archE4294967295ELNS1_3gpuE0ELNS1_3repE0EEENS1_30default_config_static_selectorELNS0_4arch9wavefront6targetE0EEEvT1_,comdat
	.protected	_ZN7rocprim17ROCPRIM_400000_NS6detail17trampoline_kernelINS0_14default_configENS1_25partition_config_selectorILNS1_17partition_subalgoE6EN6thrust23THRUST_200600_302600_NS5tupleIffNS7_9null_typeES9_S9_S9_S9_S9_S9_S9_EENS0_10empty_typeEbEEZZNS1_14partition_implILS5_6ELb0ES3_mNS7_12zip_iteratorINS8_INS7_6detail15normal_iteratorINS7_10device_ptrIfEEEESJ_S9_S9_S9_S9_S9_S9_S9_S9_EEEEPSB_SM_NS0_5tupleIJNSE_INS8_ISJ_NS7_16discard_iteratorINS7_11use_defaultEEES9_S9_S9_S9_S9_S9_S9_S9_EEEESB_EEENSN_IJSM_SM_EEESB_PlJNSF_9not_fun_tINSF_14equal_to_valueISA_EEEEEEE10hipError_tPvRmT3_T4_T5_T6_T7_T9_mT8_P12ihipStream_tbDpT10_ENKUlT_T0_E_clISt17integral_constantIbLb1EES1J_EEDaS1E_S1F_EUlS1E_E_NS1_11comp_targetILNS1_3genE0ELNS1_11target_archE4294967295ELNS1_3gpuE0ELNS1_3repE0EEENS1_30default_config_static_selectorELNS0_4arch9wavefront6targetE0EEEvT1_ ; -- Begin function _ZN7rocprim17ROCPRIM_400000_NS6detail17trampoline_kernelINS0_14default_configENS1_25partition_config_selectorILNS1_17partition_subalgoE6EN6thrust23THRUST_200600_302600_NS5tupleIffNS7_9null_typeES9_S9_S9_S9_S9_S9_S9_EENS0_10empty_typeEbEEZZNS1_14partition_implILS5_6ELb0ES3_mNS7_12zip_iteratorINS8_INS7_6detail15normal_iteratorINS7_10device_ptrIfEEEESJ_S9_S9_S9_S9_S9_S9_S9_S9_EEEEPSB_SM_NS0_5tupleIJNSE_INS8_ISJ_NS7_16discard_iteratorINS7_11use_defaultEEES9_S9_S9_S9_S9_S9_S9_S9_EEEESB_EEENSN_IJSM_SM_EEESB_PlJNSF_9not_fun_tINSF_14equal_to_valueISA_EEEEEEE10hipError_tPvRmT3_T4_T5_T6_T7_T9_mT8_P12ihipStream_tbDpT10_ENKUlT_T0_E_clISt17integral_constantIbLb1EES1J_EEDaS1E_S1F_EUlS1E_E_NS1_11comp_targetILNS1_3genE0ELNS1_11target_archE4294967295ELNS1_3gpuE0ELNS1_3repE0EEENS1_30default_config_static_selectorELNS0_4arch9wavefront6targetE0EEEvT1_
	.globl	_ZN7rocprim17ROCPRIM_400000_NS6detail17trampoline_kernelINS0_14default_configENS1_25partition_config_selectorILNS1_17partition_subalgoE6EN6thrust23THRUST_200600_302600_NS5tupleIffNS7_9null_typeES9_S9_S9_S9_S9_S9_S9_EENS0_10empty_typeEbEEZZNS1_14partition_implILS5_6ELb0ES3_mNS7_12zip_iteratorINS8_INS7_6detail15normal_iteratorINS7_10device_ptrIfEEEESJ_S9_S9_S9_S9_S9_S9_S9_S9_EEEEPSB_SM_NS0_5tupleIJNSE_INS8_ISJ_NS7_16discard_iteratorINS7_11use_defaultEEES9_S9_S9_S9_S9_S9_S9_S9_EEEESB_EEENSN_IJSM_SM_EEESB_PlJNSF_9not_fun_tINSF_14equal_to_valueISA_EEEEEEE10hipError_tPvRmT3_T4_T5_T6_T7_T9_mT8_P12ihipStream_tbDpT10_ENKUlT_T0_E_clISt17integral_constantIbLb1EES1J_EEDaS1E_S1F_EUlS1E_E_NS1_11comp_targetILNS1_3genE0ELNS1_11target_archE4294967295ELNS1_3gpuE0ELNS1_3repE0EEENS1_30default_config_static_selectorELNS0_4arch9wavefront6targetE0EEEvT1_
	.p2align	8
	.type	_ZN7rocprim17ROCPRIM_400000_NS6detail17trampoline_kernelINS0_14default_configENS1_25partition_config_selectorILNS1_17partition_subalgoE6EN6thrust23THRUST_200600_302600_NS5tupleIffNS7_9null_typeES9_S9_S9_S9_S9_S9_S9_EENS0_10empty_typeEbEEZZNS1_14partition_implILS5_6ELb0ES3_mNS7_12zip_iteratorINS8_INS7_6detail15normal_iteratorINS7_10device_ptrIfEEEESJ_S9_S9_S9_S9_S9_S9_S9_S9_EEEEPSB_SM_NS0_5tupleIJNSE_INS8_ISJ_NS7_16discard_iteratorINS7_11use_defaultEEES9_S9_S9_S9_S9_S9_S9_S9_EEEESB_EEENSN_IJSM_SM_EEESB_PlJNSF_9not_fun_tINSF_14equal_to_valueISA_EEEEEEE10hipError_tPvRmT3_T4_T5_T6_T7_T9_mT8_P12ihipStream_tbDpT10_ENKUlT_T0_E_clISt17integral_constantIbLb1EES1J_EEDaS1E_S1F_EUlS1E_E_NS1_11comp_targetILNS1_3genE0ELNS1_11target_archE4294967295ELNS1_3gpuE0ELNS1_3repE0EEENS1_30default_config_static_selectorELNS0_4arch9wavefront6targetE0EEEvT1_,@function
_ZN7rocprim17ROCPRIM_400000_NS6detail17trampoline_kernelINS0_14default_configENS1_25partition_config_selectorILNS1_17partition_subalgoE6EN6thrust23THRUST_200600_302600_NS5tupleIffNS7_9null_typeES9_S9_S9_S9_S9_S9_S9_EENS0_10empty_typeEbEEZZNS1_14partition_implILS5_6ELb0ES3_mNS7_12zip_iteratorINS8_INS7_6detail15normal_iteratorINS7_10device_ptrIfEEEESJ_S9_S9_S9_S9_S9_S9_S9_S9_EEEEPSB_SM_NS0_5tupleIJNSE_INS8_ISJ_NS7_16discard_iteratorINS7_11use_defaultEEES9_S9_S9_S9_S9_S9_S9_S9_EEEESB_EEENSN_IJSM_SM_EEESB_PlJNSF_9not_fun_tINSF_14equal_to_valueISA_EEEEEEE10hipError_tPvRmT3_T4_T5_T6_T7_T9_mT8_P12ihipStream_tbDpT10_ENKUlT_T0_E_clISt17integral_constantIbLb1EES1J_EEDaS1E_S1F_EUlS1E_E_NS1_11comp_targetILNS1_3genE0ELNS1_11target_archE4294967295ELNS1_3gpuE0ELNS1_3repE0EEENS1_30default_config_static_selectorELNS0_4arch9wavefront6targetE0EEEvT1_: ; @_ZN7rocprim17ROCPRIM_400000_NS6detail17trampoline_kernelINS0_14default_configENS1_25partition_config_selectorILNS1_17partition_subalgoE6EN6thrust23THRUST_200600_302600_NS5tupleIffNS7_9null_typeES9_S9_S9_S9_S9_S9_S9_EENS0_10empty_typeEbEEZZNS1_14partition_implILS5_6ELb0ES3_mNS7_12zip_iteratorINS8_INS7_6detail15normal_iteratorINS7_10device_ptrIfEEEESJ_S9_S9_S9_S9_S9_S9_S9_S9_EEEEPSB_SM_NS0_5tupleIJNSE_INS8_ISJ_NS7_16discard_iteratorINS7_11use_defaultEEES9_S9_S9_S9_S9_S9_S9_S9_EEEESB_EEENSN_IJSM_SM_EEESB_PlJNSF_9not_fun_tINSF_14equal_to_valueISA_EEEEEEE10hipError_tPvRmT3_T4_T5_T6_T7_T9_mT8_P12ihipStream_tbDpT10_ENKUlT_T0_E_clISt17integral_constantIbLb1EES1J_EEDaS1E_S1F_EUlS1E_E_NS1_11comp_targetILNS1_3genE0ELNS1_11target_archE4294967295ELNS1_3gpuE0ELNS1_3repE0EEENS1_30default_config_static_selectorELNS0_4arch9wavefront6targetE0EEEvT1_
; %bb.0:
	.section	.rodata,"a",@progbits
	.p2align	6, 0x0
	.amdhsa_kernel _ZN7rocprim17ROCPRIM_400000_NS6detail17trampoline_kernelINS0_14default_configENS1_25partition_config_selectorILNS1_17partition_subalgoE6EN6thrust23THRUST_200600_302600_NS5tupleIffNS7_9null_typeES9_S9_S9_S9_S9_S9_S9_EENS0_10empty_typeEbEEZZNS1_14partition_implILS5_6ELb0ES3_mNS7_12zip_iteratorINS8_INS7_6detail15normal_iteratorINS7_10device_ptrIfEEEESJ_S9_S9_S9_S9_S9_S9_S9_S9_EEEEPSB_SM_NS0_5tupleIJNSE_INS8_ISJ_NS7_16discard_iteratorINS7_11use_defaultEEES9_S9_S9_S9_S9_S9_S9_S9_EEEESB_EEENSN_IJSM_SM_EEESB_PlJNSF_9not_fun_tINSF_14equal_to_valueISA_EEEEEEE10hipError_tPvRmT3_T4_T5_T6_T7_T9_mT8_P12ihipStream_tbDpT10_ENKUlT_T0_E_clISt17integral_constantIbLb1EES1J_EEDaS1E_S1F_EUlS1E_E_NS1_11comp_targetILNS1_3genE0ELNS1_11target_archE4294967295ELNS1_3gpuE0ELNS1_3repE0EEENS1_30default_config_static_selectorELNS0_4arch9wavefront6targetE0EEEvT1_
		.amdhsa_group_segment_fixed_size 0
		.amdhsa_private_segment_fixed_size 0
		.amdhsa_kernarg_size 152
		.amdhsa_user_sgpr_count 2
		.amdhsa_user_sgpr_dispatch_ptr 0
		.amdhsa_user_sgpr_queue_ptr 0
		.amdhsa_user_sgpr_kernarg_segment_ptr 1
		.amdhsa_user_sgpr_dispatch_id 0
		.amdhsa_user_sgpr_private_segment_size 0
		.amdhsa_wavefront_size32 1
		.amdhsa_uses_dynamic_stack 0
		.amdhsa_enable_private_segment 0
		.amdhsa_system_sgpr_workgroup_id_x 1
		.amdhsa_system_sgpr_workgroup_id_y 0
		.amdhsa_system_sgpr_workgroup_id_z 0
		.amdhsa_system_sgpr_workgroup_info 0
		.amdhsa_system_vgpr_workitem_id 0
		.amdhsa_next_free_vgpr 1
		.amdhsa_next_free_sgpr 1
		.amdhsa_reserve_vcc 0
		.amdhsa_float_round_mode_32 0
		.amdhsa_float_round_mode_16_64 0
		.amdhsa_float_denorm_mode_32 3
		.amdhsa_float_denorm_mode_16_64 3
		.amdhsa_fp16_overflow 0
		.amdhsa_workgroup_processor_mode 1
		.amdhsa_memory_ordered 1
		.amdhsa_forward_progress 1
		.amdhsa_inst_pref_size 0
		.amdhsa_round_robin_scheduling 0
		.amdhsa_exception_fp_ieee_invalid_op 0
		.amdhsa_exception_fp_denorm_src 0
		.amdhsa_exception_fp_ieee_div_zero 0
		.amdhsa_exception_fp_ieee_overflow 0
		.amdhsa_exception_fp_ieee_underflow 0
		.amdhsa_exception_fp_ieee_inexact 0
		.amdhsa_exception_int_div_zero 0
	.end_amdhsa_kernel
	.section	.text._ZN7rocprim17ROCPRIM_400000_NS6detail17trampoline_kernelINS0_14default_configENS1_25partition_config_selectorILNS1_17partition_subalgoE6EN6thrust23THRUST_200600_302600_NS5tupleIffNS7_9null_typeES9_S9_S9_S9_S9_S9_S9_EENS0_10empty_typeEbEEZZNS1_14partition_implILS5_6ELb0ES3_mNS7_12zip_iteratorINS8_INS7_6detail15normal_iteratorINS7_10device_ptrIfEEEESJ_S9_S9_S9_S9_S9_S9_S9_S9_EEEEPSB_SM_NS0_5tupleIJNSE_INS8_ISJ_NS7_16discard_iteratorINS7_11use_defaultEEES9_S9_S9_S9_S9_S9_S9_S9_EEEESB_EEENSN_IJSM_SM_EEESB_PlJNSF_9not_fun_tINSF_14equal_to_valueISA_EEEEEEE10hipError_tPvRmT3_T4_T5_T6_T7_T9_mT8_P12ihipStream_tbDpT10_ENKUlT_T0_E_clISt17integral_constantIbLb1EES1J_EEDaS1E_S1F_EUlS1E_E_NS1_11comp_targetILNS1_3genE0ELNS1_11target_archE4294967295ELNS1_3gpuE0ELNS1_3repE0EEENS1_30default_config_static_selectorELNS0_4arch9wavefront6targetE0EEEvT1_,"axG",@progbits,_ZN7rocprim17ROCPRIM_400000_NS6detail17trampoline_kernelINS0_14default_configENS1_25partition_config_selectorILNS1_17partition_subalgoE6EN6thrust23THRUST_200600_302600_NS5tupleIffNS7_9null_typeES9_S9_S9_S9_S9_S9_S9_EENS0_10empty_typeEbEEZZNS1_14partition_implILS5_6ELb0ES3_mNS7_12zip_iteratorINS8_INS7_6detail15normal_iteratorINS7_10device_ptrIfEEEESJ_S9_S9_S9_S9_S9_S9_S9_S9_EEEEPSB_SM_NS0_5tupleIJNSE_INS8_ISJ_NS7_16discard_iteratorINS7_11use_defaultEEES9_S9_S9_S9_S9_S9_S9_S9_EEEESB_EEENSN_IJSM_SM_EEESB_PlJNSF_9not_fun_tINSF_14equal_to_valueISA_EEEEEEE10hipError_tPvRmT3_T4_T5_T6_T7_T9_mT8_P12ihipStream_tbDpT10_ENKUlT_T0_E_clISt17integral_constantIbLb1EES1J_EEDaS1E_S1F_EUlS1E_E_NS1_11comp_targetILNS1_3genE0ELNS1_11target_archE4294967295ELNS1_3gpuE0ELNS1_3repE0EEENS1_30default_config_static_selectorELNS0_4arch9wavefront6targetE0EEEvT1_,comdat
.Lfunc_end1861:
	.size	_ZN7rocprim17ROCPRIM_400000_NS6detail17trampoline_kernelINS0_14default_configENS1_25partition_config_selectorILNS1_17partition_subalgoE6EN6thrust23THRUST_200600_302600_NS5tupleIffNS7_9null_typeES9_S9_S9_S9_S9_S9_S9_EENS0_10empty_typeEbEEZZNS1_14partition_implILS5_6ELb0ES3_mNS7_12zip_iteratorINS8_INS7_6detail15normal_iteratorINS7_10device_ptrIfEEEESJ_S9_S9_S9_S9_S9_S9_S9_S9_EEEEPSB_SM_NS0_5tupleIJNSE_INS8_ISJ_NS7_16discard_iteratorINS7_11use_defaultEEES9_S9_S9_S9_S9_S9_S9_S9_EEEESB_EEENSN_IJSM_SM_EEESB_PlJNSF_9not_fun_tINSF_14equal_to_valueISA_EEEEEEE10hipError_tPvRmT3_T4_T5_T6_T7_T9_mT8_P12ihipStream_tbDpT10_ENKUlT_T0_E_clISt17integral_constantIbLb1EES1J_EEDaS1E_S1F_EUlS1E_E_NS1_11comp_targetILNS1_3genE0ELNS1_11target_archE4294967295ELNS1_3gpuE0ELNS1_3repE0EEENS1_30default_config_static_selectorELNS0_4arch9wavefront6targetE0EEEvT1_, .Lfunc_end1861-_ZN7rocprim17ROCPRIM_400000_NS6detail17trampoline_kernelINS0_14default_configENS1_25partition_config_selectorILNS1_17partition_subalgoE6EN6thrust23THRUST_200600_302600_NS5tupleIffNS7_9null_typeES9_S9_S9_S9_S9_S9_S9_EENS0_10empty_typeEbEEZZNS1_14partition_implILS5_6ELb0ES3_mNS7_12zip_iteratorINS8_INS7_6detail15normal_iteratorINS7_10device_ptrIfEEEESJ_S9_S9_S9_S9_S9_S9_S9_S9_EEEEPSB_SM_NS0_5tupleIJNSE_INS8_ISJ_NS7_16discard_iteratorINS7_11use_defaultEEES9_S9_S9_S9_S9_S9_S9_S9_EEEESB_EEENSN_IJSM_SM_EEESB_PlJNSF_9not_fun_tINSF_14equal_to_valueISA_EEEEEEE10hipError_tPvRmT3_T4_T5_T6_T7_T9_mT8_P12ihipStream_tbDpT10_ENKUlT_T0_E_clISt17integral_constantIbLb1EES1J_EEDaS1E_S1F_EUlS1E_E_NS1_11comp_targetILNS1_3genE0ELNS1_11target_archE4294967295ELNS1_3gpuE0ELNS1_3repE0EEENS1_30default_config_static_selectorELNS0_4arch9wavefront6targetE0EEEvT1_
                                        ; -- End function
	.set _ZN7rocprim17ROCPRIM_400000_NS6detail17trampoline_kernelINS0_14default_configENS1_25partition_config_selectorILNS1_17partition_subalgoE6EN6thrust23THRUST_200600_302600_NS5tupleIffNS7_9null_typeES9_S9_S9_S9_S9_S9_S9_EENS0_10empty_typeEbEEZZNS1_14partition_implILS5_6ELb0ES3_mNS7_12zip_iteratorINS8_INS7_6detail15normal_iteratorINS7_10device_ptrIfEEEESJ_S9_S9_S9_S9_S9_S9_S9_S9_EEEEPSB_SM_NS0_5tupleIJNSE_INS8_ISJ_NS7_16discard_iteratorINS7_11use_defaultEEES9_S9_S9_S9_S9_S9_S9_S9_EEEESB_EEENSN_IJSM_SM_EEESB_PlJNSF_9not_fun_tINSF_14equal_to_valueISA_EEEEEEE10hipError_tPvRmT3_T4_T5_T6_T7_T9_mT8_P12ihipStream_tbDpT10_ENKUlT_T0_E_clISt17integral_constantIbLb1EES1J_EEDaS1E_S1F_EUlS1E_E_NS1_11comp_targetILNS1_3genE0ELNS1_11target_archE4294967295ELNS1_3gpuE0ELNS1_3repE0EEENS1_30default_config_static_selectorELNS0_4arch9wavefront6targetE0EEEvT1_.num_vgpr, 0
	.set _ZN7rocprim17ROCPRIM_400000_NS6detail17trampoline_kernelINS0_14default_configENS1_25partition_config_selectorILNS1_17partition_subalgoE6EN6thrust23THRUST_200600_302600_NS5tupleIffNS7_9null_typeES9_S9_S9_S9_S9_S9_S9_EENS0_10empty_typeEbEEZZNS1_14partition_implILS5_6ELb0ES3_mNS7_12zip_iteratorINS8_INS7_6detail15normal_iteratorINS7_10device_ptrIfEEEESJ_S9_S9_S9_S9_S9_S9_S9_S9_EEEEPSB_SM_NS0_5tupleIJNSE_INS8_ISJ_NS7_16discard_iteratorINS7_11use_defaultEEES9_S9_S9_S9_S9_S9_S9_S9_EEEESB_EEENSN_IJSM_SM_EEESB_PlJNSF_9not_fun_tINSF_14equal_to_valueISA_EEEEEEE10hipError_tPvRmT3_T4_T5_T6_T7_T9_mT8_P12ihipStream_tbDpT10_ENKUlT_T0_E_clISt17integral_constantIbLb1EES1J_EEDaS1E_S1F_EUlS1E_E_NS1_11comp_targetILNS1_3genE0ELNS1_11target_archE4294967295ELNS1_3gpuE0ELNS1_3repE0EEENS1_30default_config_static_selectorELNS0_4arch9wavefront6targetE0EEEvT1_.num_agpr, 0
	.set _ZN7rocprim17ROCPRIM_400000_NS6detail17trampoline_kernelINS0_14default_configENS1_25partition_config_selectorILNS1_17partition_subalgoE6EN6thrust23THRUST_200600_302600_NS5tupleIffNS7_9null_typeES9_S9_S9_S9_S9_S9_S9_EENS0_10empty_typeEbEEZZNS1_14partition_implILS5_6ELb0ES3_mNS7_12zip_iteratorINS8_INS7_6detail15normal_iteratorINS7_10device_ptrIfEEEESJ_S9_S9_S9_S9_S9_S9_S9_S9_EEEEPSB_SM_NS0_5tupleIJNSE_INS8_ISJ_NS7_16discard_iteratorINS7_11use_defaultEEES9_S9_S9_S9_S9_S9_S9_S9_EEEESB_EEENSN_IJSM_SM_EEESB_PlJNSF_9not_fun_tINSF_14equal_to_valueISA_EEEEEEE10hipError_tPvRmT3_T4_T5_T6_T7_T9_mT8_P12ihipStream_tbDpT10_ENKUlT_T0_E_clISt17integral_constantIbLb1EES1J_EEDaS1E_S1F_EUlS1E_E_NS1_11comp_targetILNS1_3genE0ELNS1_11target_archE4294967295ELNS1_3gpuE0ELNS1_3repE0EEENS1_30default_config_static_selectorELNS0_4arch9wavefront6targetE0EEEvT1_.numbered_sgpr, 0
	.set _ZN7rocprim17ROCPRIM_400000_NS6detail17trampoline_kernelINS0_14default_configENS1_25partition_config_selectorILNS1_17partition_subalgoE6EN6thrust23THRUST_200600_302600_NS5tupleIffNS7_9null_typeES9_S9_S9_S9_S9_S9_S9_EENS0_10empty_typeEbEEZZNS1_14partition_implILS5_6ELb0ES3_mNS7_12zip_iteratorINS8_INS7_6detail15normal_iteratorINS7_10device_ptrIfEEEESJ_S9_S9_S9_S9_S9_S9_S9_S9_EEEEPSB_SM_NS0_5tupleIJNSE_INS8_ISJ_NS7_16discard_iteratorINS7_11use_defaultEEES9_S9_S9_S9_S9_S9_S9_S9_EEEESB_EEENSN_IJSM_SM_EEESB_PlJNSF_9not_fun_tINSF_14equal_to_valueISA_EEEEEEE10hipError_tPvRmT3_T4_T5_T6_T7_T9_mT8_P12ihipStream_tbDpT10_ENKUlT_T0_E_clISt17integral_constantIbLb1EES1J_EEDaS1E_S1F_EUlS1E_E_NS1_11comp_targetILNS1_3genE0ELNS1_11target_archE4294967295ELNS1_3gpuE0ELNS1_3repE0EEENS1_30default_config_static_selectorELNS0_4arch9wavefront6targetE0EEEvT1_.num_named_barrier, 0
	.set _ZN7rocprim17ROCPRIM_400000_NS6detail17trampoline_kernelINS0_14default_configENS1_25partition_config_selectorILNS1_17partition_subalgoE6EN6thrust23THRUST_200600_302600_NS5tupleIffNS7_9null_typeES9_S9_S9_S9_S9_S9_S9_EENS0_10empty_typeEbEEZZNS1_14partition_implILS5_6ELb0ES3_mNS7_12zip_iteratorINS8_INS7_6detail15normal_iteratorINS7_10device_ptrIfEEEESJ_S9_S9_S9_S9_S9_S9_S9_S9_EEEEPSB_SM_NS0_5tupleIJNSE_INS8_ISJ_NS7_16discard_iteratorINS7_11use_defaultEEES9_S9_S9_S9_S9_S9_S9_S9_EEEESB_EEENSN_IJSM_SM_EEESB_PlJNSF_9not_fun_tINSF_14equal_to_valueISA_EEEEEEE10hipError_tPvRmT3_T4_T5_T6_T7_T9_mT8_P12ihipStream_tbDpT10_ENKUlT_T0_E_clISt17integral_constantIbLb1EES1J_EEDaS1E_S1F_EUlS1E_E_NS1_11comp_targetILNS1_3genE0ELNS1_11target_archE4294967295ELNS1_3gpuE0ELNS1_3repE0EEENS1_30default_config_static_selectorELNS0_4arch9wavefront6targetE0EEEvT1_.private_seg_size, 0
	.set _ZN7rocprim17ROCPRIM_400000_NS6detail17trampoline_kernelINS0_14default_configENS1_25partition_config_selectorILNS1_17partition_subalgoE6EN6thrust23THRUST_200600_302600_NS5tupleIffNS7_9null_typeES9_S9_S9_S9_S9_S9_S9_EENS0_10empty_typeEbEEZZNS1_14partition_implILS5_6ELb0ES3_mNS7_12zip_iteratorINS8_INS7_6detail15normal_iteratorINS7_10device_ptrIfEEEESJ_S9_S9_S9_S9_S9_S9_S9_S9_EEEEPSB_SM_NS0_5tupleIJNSE_INS8_ISJ_NS7_16discard_iteratorINS7_11use_defaultEEES9_S9_S9_S9_S9_S9_S9_S9_EEEESB_EEENSN_IJSM_SM_EEESB_PlJNSF_9not_fun_tINSF_14equal_to_valueISA_EEEEEEE10hipError_tPvRmT3_T4_T5_T6_T7_T9_mT8_P12ihipStream_tbDpT10_ENKUlT_T0_E_clISt17integral_constantIbLb1EES1J_EEDaS1E_S1F_EUlS1E_E_NS1_11comp_targetILNS1_3genE0ELNS1_11target_archE4294967295ELNS1_3gpuE0ELNS1_3repE0EEENS1_30default_config_static_selectorELNS0_4arch9wavefront6targetE0EEEvT1_.uses_vcc, 0
	.set _ZN7rocprim17ROCPRIM_400000_NS6detail17trampoline_kernelINS0_14default_configENS1_25partition_config_selectorILNS1_17partition_subalgoE6EN6thrust23THRUST_200600_302600_NS5tupleIffNS7_9null_typeES9_S9_S9_S9_S9_S9_S9_EENS0_10empty_typeEbEEZZNS1_14partition_implILS5_6ELb0ES3_mNS7_12zip_iteratorINS8_INS7_6detail15normal_iteratorINS7_10device_ptrIfEEEESJ_S9_S9_S9_S9_S9_S9_S9_S9_EEEEPSB_SM_NS0_5tupleIJNSE_INS8_ISJ_NS7_16discard_iteratorINS7_11use_defaultEEES9_S9_S9_S9_S9_S9_S9_S9_EEEESB_EEENSN_IJSM_SM_EEESB_PlJNSF_9not_fun_tINSF_14equal_to_valueISA_EEEEEEE10hipError_tPvRmT3_T4_T5_T6_T7_T9_mT8_P12ihipStream_tbDpT10_ENKUlT_T0_E_clISt17integral_constantIbLb1EES1J_EEDaS1E_S1F_EUlS1E_E_NS1_11comp_targetILNS1_3genE0ELNS1_11target_archE4294967295ELNS1_3gpuE0ELNS1_3repE0EEENS1_30default_config_static_selectorELNS0_4arch9wavefront6targetE0EEEvT1_.uses_flat_scratch, 0
	.set _ZN7rocprim17ROCPRIM_400000_NS6detail17trampoline_kernelINS0_14default_configENS1_25partition_config_selectorILNS1_17partition_subalgoE6EN6thrust23THRUST_200600_302600_NS5tupleIffNS7_9null_typeES9_S9_S9_S9_S9_S9_S9_EENS0_10empty_typeEbEEZZNS1_14partition_implILS5_6ELb0ES3_mNS7_12zip_iteratorINS8_INS7_6detail15normal_iteratorINS7_10device_ptrIfEEEESJ_S9_S9_S9_S9_S9_S9_S9_S9_EEEEPSB_SM_NS0_5tupleIJNSE_INS8_ISJ_NS7_16discard_iteratorINS7_11use_defaultEEES9_S9_S9_S9_S9_S9_S9_S9_EEEESB_EEENSN_IJSM_SM_EEESB_PlJNSF_9not_fun_tINSF_14equal_to_valueISA_EEEEEEE10hipError_tPvRmT3_T4_T5_T6_T7_T9_mT8_P12ihipStream_tbDpT10_ENKUlT_T0_E_clISt17integral_constantIbLb1EES1J_EEDaS1E_S1F_EUlS1E_E_NS1_11comp_targetILNS1_3genE0ELNS1_11target_archE4294967295ELNS1_3gpuE0ELNS1_3repE0EEENS1_30default_config_static_selectorELNS0_4arch9wavefront6targetE0EEEvT1_.has_dyn_sized_stack, 0
	.set _ZN7rocprim17ROCPRIM_400000_NS6detail17trampoline_kernelINS0_14default_configENS1_25partition_config_selectorILNS1_17partition_subalgoE6EN6thrust23THRUST_200600_302600_NS5tupleIffNS7_9null_typeES9_S9_S9_S9_S9_S9_S9_EENS0_10empty_typeEbEEZZNS1_14partition_implILS5_6ELb0ES3_mNS7_12zip_iteratorINS8_INS7_6detail15normal_iteratorINS7_10device_ptrIfEEEESJ_S9_S9_S9_S9_S9_S9_S9_S9_EEEEPSB_SM_NS0_5tupleIJNSE_INS8_ISJ_NS7_16discard_iteratorINS7_11use_defaultEEES9_S9_S9_S9_S9_S9_S9_S9_EEEESB_EEENSN_IJSM_SM_EEESB_PlJNSF_9not_fun_tINSF_14equal_to_valueISA_EEEEEEE10hipError_tPvRmT3_T4_T5_T6_T7_T9_mT8_P12ihipStream_tbDpT10_ENKUlT_T0_E_clISt17integral_constantIbLb1EES1J_EEDaS1E_S1F_EUlS1E_E_NS1_11comp_targetILNS1_3genE0ELNS1_11target_archE4294967295ELNS1_3gpuE0ELNS1_3repE0EEENS1_30default_config_static_selectorELNS0_4arch9wavefront6targetE0EEEvT1_.has_recursion, 0
	.set _ZN7rocprim17ROCPRIM_400000_NS6detail17trampoline_kernelINS0_14default_configENS1_25partition_config_selectorILNS1_17partition_subalgoE6EN6thrust23THRUST_200600_302600_NS5tupleIffNS7_9null_typeES9_S9_S9_S9_S9_S9_S9_EENS0_10empty_typeEbEEZZNS1_14partition_implILS5_6ELb0ES3_mNS7_12zip_iteratorINS8_INS7_6detail15normal_iteratorINS7_10device_ptrIfEEEESJ_S9_S9_S9_S9_S9_S9_S9_S9_EEEEPSB_SM_NS0_5tupleIJNSE_INS8_ISJ_NS7_16discard_iteratorINS7_11use_defaultEEES9_S9_S9_S9_S9_S9_S9_S9_EEEESB_EEENSN_IJSM_SM_EEESB_PlJNSF_9not_fun_tINSF_14equal_to_valueISA_EEEEEEE10hipError_tPvRmT3_T4_T5_T6_T7_T9_mT8_P12ihipStream_tbDpT10_ENKUlT_T0_E_clISt17integral_constantIbLb1EES1J_EEDaS1E_S1F_EUlS1E_E_NS1_11comp_targetILNS1_3genE0ELNS1_11target_archE4294967295ELNS1_3gpuE0ELNS1_3repE0EEENS1_30default_config_static_selectorELNS0_4arch9wavefront6targetE0EEEvT1_.has_indirect_call, 0
	.section	.AMDGPU.csdata,"",@progbits
; Kernel info:
; codeLenInByte = 0
; TotalNumSgprs: 0
; NumVgprs: 0
; ScratchSize: 0
; MemoryBound: 0
; FloatMode: 240
; IeeeMode: 1
; LDSByteSize: 0 bytes/workgroup (compile time only)
; SGPRBlocks: 0
; VGPRBlocks: 0
; NumSGPRsForWavesPerEU: 1
; NumVGPRsForWavesPerEU: 1
; Occupancy: 16
; WaveLimiterHint : 0
; COMPUTE_PGM_RSRC2:SCRATCH_EN: 0
; COMPUTE_PGM_RSRC2:USER_SGPR: 2
; COMPUTE_PGM_RSRC2:TRAP_HANDLER: 0
; COMPUTE_PGM_RSRC2:TGID_X_EN: 1
; COMPUTE_PGM_RSRC2:TGID_Y_EN: 0
; COMPUTE_PGM_RSRC2:TGID_Z_EN: 0
; COMPUTE_PGM_RSRC2:TIDIG_COMP_CNT: 0
	.section	.text._ZN7rocprim17ROCPRIM_400000_NS6detail17trampoline_kernelINS0_14default_configENS1_25partition_config_selectorILNS1_17partition_subalgoE6EN6thrust23THRUST_200600_302600_NS5tupleIffNS7_9null_typeES9_S9_S9_S9_S9_S9_S9_EENS0_10empty_typeEbEEZZNS1_14partition_implILS5_6ELb0ES3_mNS7_12zip_iteratorINS8_INS7_6detail15normal_iteratorINS7_10device_ptrIfEEEESJ_S9_S9_S9_S9_S9_S9_S9_S9_EEEEPSB_SM_NS0_5tupleIJNSE_INS8_ISJ_NS7_16discard_iteratorINS7_11use_defaultEEES9_S9_S9_S9_S9_S9_S9_S9_EEEESB_EEENSN_IJSM_SM_EEESB_PlJNSF_9not_fun_tINSF_14equal_to_valueISA_EEEEEEE10hipError_tPvRmT3_T4_T5_T6_T7_T9_mT8_P12ihipStream_tbDpT10_ENKUlT_T0_E_clISt17integral_constantIbLb1EES1J_EEDaS1E_S1F_EUlS1E_E_NS1_11comp_targetILNS1_3genE5ELNS1_11target_archE942ELNS1_3gpuE9ELNS1_3repE0EEENS1_30default_config_static_selectorELNS0_4arch9wavefront6targetE0EEEvT1_,"axG",@progbits,_ZN7rocprim17ROCPRIM_400000_NS6detail17trampoline_kernelINS0_14default_configENS1_25partition_config_selectorILNS1_17partition_subalgoE6EN6thrust23THRUST_200600_302600_NS5tupleIffNS7_9null_typeES9_S9_S9_S9_S9_S9_S9_EENS0_10empty_typeEbEEZZNS1_14partition_implILS5_6ELb0ES3_mNS7_12zip_iteratorINS8_INS7_6detail15normal_iteratorINS7_10device_ptrIfEEEESJ_S9_S9_S9_S9_S9_S9_S9_S9_EEEEPSB_SM_NS0_5tupleIJNSE_INS8_ISJ_NS7_16discard_iteratorINS7_11use_defaultEEES9_S9_S9_S9_S9_S9_S9_S9_EEEESB_EEENSN_IJSM_SM_EEESB_PlJNSF_9not_fun_tINSF_14equal_to_valueISA_EEEEEEE10hipError_tPvRmT3_T4_T5_T6_T7_T9_mT8_P12ihipStream_tbDpT10_ENKUlT_T0_E_clISt17integral_constantIbLb1EES1J_EEDaS1E_S1F_EUlS1E_E_NS1_11comp_targetILNS1_3genE5ELNS1_11target_archE942ELNS1_3gpuE9ELNS1_3repE0EEENS1_30default_config_static_selectorELNS0_4arch9wavefront6targetE0EEEvT1_,comdat
	.protected	_ZN7rocprim17ROCPRIM_400000_NS6detail17trampoline_kernelINS0_14default_configENS1_25partition_config_selectorILNS1_17partition_subalgoE6EN6thrust23THRUST_200600_302600_NS5tupleIffNS7_9null_typeES9_S9_S9_S9_S9_S9_S9_EENS0_10empty_typeEbEEZZNS1_14partition_implILS5_6ELb0ES3_mNS7_12zip_iteratorINS8_INS7_6detail15normal_iteratorINS7_10device_ptrIfEEEESJ_S9_S9_S9_S9_S9_S9_S9_S9_EEEEPSB_SM_NS0_5tupleIJNSE_INS8_ISJ_NS7_16discard_iteratorINS7_11use_defaultEEES9_S9_S9_S9_S9_S9_S9_S9_EEEESB_EEENSN_IJSM_SM_EEESB_PlJNSF_9not_fun_tINSF_14equal_to_valueISA_EEEEEEE10hipError_tPvRmT3_T4_T5_T6_T7_T9_mT8_P12ihipStream_tbDpT10_ENKUlT_T0_E_clISt17integral_constantIbLb1EES1J_EEDaS1E_S1F_EUlS1E_E_NS1_11comp_targetILNS1_3genE5ELNS1_11target_archE942ELNS1_3gpuE9ELNS1_3repE0EEENS1_30default_config_static_selectorELNS0_4arch9wavefront6targetE0EEEvT1_ ; -- Begin function _ZN7rocprim17ROCPRIM_400000_NS6detail17trampoline_kernelINS0_14default_configENS1_25partition_config_selectorILNS1_17partition_subalgoE6EN6thrust23THRUST_200600_302600_NS5tupleIffNS7_9null_typeES9_S9_S9_S9_S9_S9_S9_EENS0_10empty_typeEbEEZZNS1_14partition_implILS5_6ELb0ES3_mNS7_12zip_iteratorINS8_INS7_6detail15normal_iteratorINS7_10device_ptrIfEEEESJ_S9_S9_S9_S9_S9_S9_S9_S9_EEEEPSB_SM_NS0_5tupleIJNSE_INS8_ISJ_NS7_16discard_iteratorINS7_11use_defaultEEES9_S9_S9_S9_S9_S9_S9_S9_EEEESB_EEENSN_IJSM_SM_EEESB_PlJNSF_9not_fun_tINSF_14equal_to_valueISA_EEEEEEE10hipError_tPvRmT3_T4_T5_T6_T7_T9_mT8_P12ihipStream_tbDpT10_ENKUlT_T0_E_clISt17integral_constantIbLb1EES1J_EEDaS1E_S1F_EUlS1E_E_NS1_11comp_targetILNS1_3genE5ELNS1_11target_archE942ELNS1_3gpuE9ELNS1_3repE0EEENS1_30default_config_static_selectorELNS0_4arch9wavefront6targetE0EEEvT1_
	.globl	_ZN7rocprim17ROCPRIM_400000_NS6detail17trampoline_kernelINS0_14default_configENS1_25partition_config_selectorILNS1_17partition_subalgoE6EN6thrust23THRUST_200600_302600_NS5tupleIffNS7_9null_typeES9_S9_S9_S9_S9_S9_S9_EENS0_10empty_typeEbEEZZNS1_14partition_implILS5_6ELb0ES3_mNS7_12zip_iteratorINS8_INS7_6detail15normal_iteratorINS7_10device_ptrIfEEEESJ_S9_S9_S9_S9_S9_S9_S9_S9_EEEEPSB_SM_NS0_5tupleIJNSE_INS8_ISJ_NS7_16discard_iteratorINS7_11use_defaultEEES9_S9_S9_S9_S9_S9_S9_S9_EEEESB_EEENSN_IJSM_SM_EEESB_PlJNSF_9not_fun_tINSF_14equal_to_valueISA_EEEEEEE10hipError_tPvRmT3_T4_T5_T6_T7_T9_mT8_P12ihipStream_tbDpT10_ENKUlT_T0_E_clISt17integral_constantIbLb1EES1J_EEDaS1E_S1F_EUlS1E_E_NS1_11comp_targetILNS1_3genE5ELNS1_11target_archE942ELNS1_3gpuE9ELNS1_3repE0EEENS1_30default_config_static_selectorELNS0_4arch9wavefront6targetE0EEEvT1_
	.p2align	8
	.type	_ZN7rocprim17ROCPRIM_400000_NS6detail17trampoline_kernelINS0_14default_configENS1_25partition_config_selectorILNS1_17partition_subalgoE6EN6thrust23THRUST_200600_302600_NS5tupleIffNS7_9null_typeES9_S9_S9_S9_S9_S9_S9_EENS0_10empty_typeEbEEZZNS1_14partition_implILS5_6ELb0ES3_mNS7_12zip_iteratorINS8_INS7_6detail15normal_iteratorINS7_10device_ptrIfEEEESJ_S9_S9_S9_S9_S9_S9_S9_S9_EEEEPSB_SM_NS0_5tupleIJNSE_INS8_ISJ_NS7_16discard_iteratorINS7_11use_defaultEEES9_S9_S9_S9_S9_S9_S9_S9_EEEESB_EEENSN_IJSM_SM_EEESB_PlJNSF_9not_fun_tINSF_14equal_to_valueISA_EEEEEEE10hipError_tPvRmT3_T4_T5_T6_T7_T9_mT8_P12ihipStream_tbDpT10_ENKUlT_T0_E_clISt17integral_constantIbLb1EES1J_EEDaS1E_S1F_EUlS1E_E_NS1_11comp_targetILNS1_3genE5ELNS1_11target_archE942ELNS1_3gpuE9ELNS1_3repE0EEENS1_30default_config_static_selectorELNS0_4arch9wavefront6targetE0EEEvT1_,@function
_ZN7rocprim17ROCPRIM_400000_NS6detail17trampoline_kernelINS0_14default_configENS1_25partition_config_selectorILNS1_17partition_subalgoE6EN6thrust23THRUST_200600_302600_NS5tupleIffNS7_9null_typeES9_S9_S9_S9_S9_S9_S9_EENS0_10empty_typeEbEEZZNS1_14partition_implILS5_6ELb0ES3_mNS7_12zip_iteratorINS8_INS7_6detail15normal_iteratorINS7_10device_ptrIfEEEESJ_S9_S9_S9_S9_S9_S9_S9_S9_EEEEPSB_SM_NS0_5tupleIJNSE_INS8_ISJ_NS7_16discard_iteratorINS7_11use_defaultEEES9_S9_S9_S9_S9_S9_S9_S9_EEEESB_EEENSN_IJSM_SM_EEESB_PlJNSF_9not_fun_tINSF_14equal_to_valueISA_EEEEEEE10hipError_tPvRmT3_T4_T5_T6_T7_T9_mT8_P12ihipStream_tbDpT10_ENKUlT_T0_E_clISt17integral_constantIbLb1EES1J_EEDaS1E_S1F_EUlS1E_E_NS1_11comp_targetILNS1_3genE5ELNS1_11target_archE942ELNS1_3gpuE9ELNS1_3repE0EEENS1_30default_config_static_selectorELNS0_4arch9wavefront6targetE0EEEvT1_: ; @_ZN7rocprim17ROCPRIM_400000_NS6detail17trampoline_kernelINS0_14default_configENS1_25partition_config_selectorILNS1_17partition_subalgoE6EN6thrust23THRUST_200600_302600_NS5tupleIffNS7_9null_typeES9_S9_S9_S9_S9_S9_S9_EENS0_10empty_typeEbEEZZNS1_14partition_implILS5_6ELb0ES3_mNS7_12zip_iteratorINS8_INS7_6detail15normal_iteratorINS7_10device_ptrIfEEEESJ_S9_S9_S9_S9_S9_S9_S9_S9_EEEEPSB_SM_NS0_5tupleIJNSE_INS8_ISJ_NS7_16discard_iteratorINS7_11use_defaultEEES9_S9_S9_S9_S9_S9_S9_S9_EEEESB_EEENSN_IJSM_SM_EEESB_PlJNSF_9not_fun_tINSF_14equal_to_valueISA_EEEEEEE10hipError_tPvRmT3_T4_T5_T6_T7_T9_mT8_P12ihipStream_tbDpT10_ENKUlT_T0_E_clISt17integral_constantIbLb1EES1J_EEDaS1E_S1F_EUlS1E_E_NS1_11comp_targetILNS1_3genE5ELNS1_11target_archE942ELNS1_3gpuE9ELNS1_3repE0EEENS1_30default_config_static_selectorELNS0_4arch9wavefront6targetE0EEEvT1_
; %bb.0:
	.section	.rodata,"a",@progbits
	.p2align	6, 0x0
	.amdhsa_kernel _ZN7rocprim17ROCPRIM_400000_NS6detail17trampoline_kernelINS0_14default_configENS1_25partition_config_selectorILNS1_17partition_subalgoE6EN6thrust23THRUST_200600_302600_NS5tupleIffNS7_9null_typeES9_S9_S9_S9_S9_S9_S9_EENS0_10empty_typeEbEEZZNS1_14partition_implILS5_6ELb0ES3_mNS7_12zip_iteratorINS8_INS7_6detail15normal_iteratorINS7_10device_ptrIfEEEESJ_S9_S9_S9_S9_S9_S9_S9_S9_EEEEPSB_SM_NS0_5tupleIJNSE_INS8_ISJ_NS7_16discard_iteratorINS7_11use_defaultEEES9_S9_S9_S9_S9_S9_S9_S9_EEEESB_EEENSN_IJSM_SM_EEESB_PlJNSF_9not_fun_tINSF_14equal_to_valueISA_EEEEEEE10hipError_tPvRmT3_T4_T5_T6_T7_T9_mT8_P12ihipStream_tbDpT10_ENKUlT_T0_E_clISt17integral_constantIbLb1EES1J_EEDaS1E_S1F_EUlS1E_E_NS1_11comp_targetILNS1_3genE5ELNS1_11target_archE942ELNS1_3gpuE9ELNS1_3repE0EEENS1_30default_config_static_selectorELNS0_4arch9wavefront6targetE0EEEvT1_
		.amdhsa_group_segment_fixed_size 0
		.amdhsa_private_segment_fixed_size 0
		.amdhsa_kernarg_size 152
		.amdhsa_user_sgpr_count 2
		.amdhsa_user_sgpr_dispatch_ptr 0
		.amdhsa_user_sgpr_queue_ptr 0
		.amdhsa_user_sgpr_kernarg_segment_ptr 1
		.amdhsa_user_sgpr_dispatch_id 0
		.amdhsa_user_sgpr_private_segment_size 0
		.amdhsa_wavefront_size32 1
		.amdhsa_uses_dynamic_stack 0
		.amdhsa_enable_private_segment 0
		.amdhsa_system_sgpr_workgroup_id_x 1
		.amdhsa_system_sgpr_workgroup_id_y 0
		.amdhsa_system_sgpr_workgroup_id_z 0
		.amdhsa_system_sgpr_workgroup_info 0
		.amdhsa_system_vgpr_workitem_id 0
		.amdhsa_next_free_vgpr 1
		.amdhsa_next_free_sgpr 1
		.amdhsa_reserve_vcc 0
		.amdhsa_float_round_mode_32 0
		.amdhsa_float_round_mode_16_64 0
		.amdhsa_float_denorm_mode_32 3
		.amdhsa_float_denorm_mode_16_64 3
		.amdhsa_fp16_overflow 0
		.amdhsa_workgroup_processor_mode 1
		.amdhsa_memory_ordered 1
		.amdhsa_forward_progress 1
		.amdhsa_inst_pref_size 0
		.amdhsa_round_robin_scheduling 0
		.amdhsa_exception_fp_ieee_invalid_op 0
		.amdhsa_exception_fp_denorm_src 0
		.amdhsa_exception_fp_ieee_div_zero 0
		.amdhsa_exception_fp_ieee_overflow 0
		.amdhsa_exception_fp_ieee_underflow 0
		.amdhsa_exception_fp_ieee_inexact 0
		.amdhsa_exception_int_div_zero 0
	.end_amdhsa_kernel
	.section	.text._ZN7rocprim17ROCPRIM_400000_NS6detail17trampoline_kernelINS0_14default_configENS1_25partition_config_selectorILNS1_17partition_subalgoE6EN6thrust23THRUST_200600_302600_NS5tupleIffNS7_9null_typeES9_S9_S9_S9_S9_S9_S9_EENS0_10empty_typeEbEEZZNS1_14partition_implILS5_6ELb0ES3_mNS7_12zip_iteratorINS8_INS7_6detail15normal_iteratorINS7_10device_ptrIfEEEESJ_S9_S9_S9_S9_S9_S9_S9_S9_EEEEPSB_SM_NS0_5tupleIJNSE_INS8_ISJ_NS7_16discard_iteratorINS7_11use_defaultEEES9_S9_S9_S9_S9_S9_S9_S9_EEEESB_EEENSN_IJSM_SM_EEESB_PlJNSF_9not_fun_tINSF_14equal_to_valueISA_EEEEEEE10hipError_tPvRmT3_T4_T5_T6_T7_T9_mT8_P12ihipStream_tbDpT10_ENKUlT_T0_E_clISt17integral_constantIbLb1EES1J_EEDaS1E_S1F_EUlS1E_E_NS1_11comp_targetILNS1_3genE5ELNS1_11target_archE942ELNS1_3gpuE9ELNS1_3repE0EEENS1_30default_config_static_selectorELNS0_4arch9wavefront6targetE0EEEvT1_,"axG",@progbits,_ZN7rocprim17ROCPRIM_400000_NS6detail17trampoline_kernelINS0_14default_configENS1_25partition_config_selectorILNS1_17partition_subalgoE6EN6thrust23THRUST_200600_302600_NS5tupleIffNS7_9null_typeES9_S9_S9_S9_S9_S9_S9_EENS0_10empty_typeEbEEZZNS1_14partition_implILS5_6ELb0ES3_mNS7_12zip_iteratorINS8_INS7_6detail15normal_iteratorINS7_10device_ptrIfEEEESJ_S9_S9_S9_S9_S9_S9_S9_S9_EEEEPSB_SM_NS0_5tupleIJNSE_INS8_ISJ_NS7_16discard_iteratorINS7_11use_defaultEEES9_S9_S9_S9_S9_S9_S9_S9_EEEESB_EEENSN_IJSM_SM_EEESB_PlJNSF_9not_fun_tINSF_14equal_to_valueISA_EEEEEEE10hipError_tPvRmT3_T4_T5_T6_T7_T9_mT8_P12ihipStream_tbDpT10_ENKUlT_T0_E_clISt17integral_constantIbLb1EES1J_EEDaS1E_S1F_EUlS1E_E_NS1_11comp_targetILNS1_3genE5ELNS1_11target_archE942ELNS1_3gpuE9ELNS1_3repE0EEENS1_30default_config_static_selectorELNS0_4arch9wavefront6targetE0EEEvT1_,comdat
.Lfunc_end1862:
	.size	_ZN7rocprim17ROCPRIM_400000_NS6detail17trampoline_kernelINS0_14default_configENS1_25partition_config_selectorILNS1_17partition_subalgoE6EN6thrust23THRUST_200600_302600_NS5tupleIffNS7_9null_typeES9_S9_S9_S9_S9_S9_S9_EENS0_10empty_typeEbEEZZNS1_14partition_implILS5_6ELb0ES3_mNS7_12zip_iteratorINS8_INS7_6detail15normal_iteratorINS7_10device_ptrIfEEEESJ_S9_S9_S9_S9_S9_S9_S9_S9_EEEEPSB_SM_NS0_5tupleIJNSE_INS8_ISJ_NS7_16discard_iteratorINS7_11use_defaultEEES9_S9_S9_S9_S9_S9_S9_S9_EEEESB_EEENSN_IJSM_SM_EEESB_PlJNSF_9not_fun_tINSF_14equal_to_valueISA_EEEEEEE10hipError_tPvRmT3_T4_T5_T6_T7_T9_mT8_P12ihipStream_tbDpT10_ENKUlT_T0_E_clISt17integral_constantIbLb1EES1J_EEDaS1E_S1F_EUlS1E_E_NS1_11comp_targetILNS1_3genE5ELNS1_11target_archE942ELNS1_3gpuE9ELNS1_3repE0EEENS1_30default_config_static_selectorELNS0_4arch9wavefront6targetE0EEEvT1_, .Lfunc_end1862-_ZN7rocprim17ROCPRIM_400000_NS6detail17trampoline_kernelINS0_14default_configENS1_25partition_config_selectorILNS1_17partition_subalgoE6EN6thrust23THRUST_200600_302600_NS5tupleIffNS7_9null_typeES9_S9_S9_S9_S9_S9_S9_EENS0_10empty_typeEbEEZZNS1_14partition_implILS5_6ELb0ES3_mNS7_12zip_iteratorINS8_INS7_6detail15normal_iteratorINS7_10device_ptrIfEEEESJ_S9_S9_S9_S9_S9_S9_S9_S9_EEEEPSB_SM_NS0_5tupleIJNSE_INS8_ISJ_NS7_16discard_iteratorINS7_11use_defaultEEES9_S9_S9_S9_S9_S9_S9_S9_EEEESB_EEENSN_IJSM_SM_EEESB_PlJNSF_9not_fun_tINSF_14equal_to_valueISA_EEEEEEE10hipError_tPvRmT3_T4_T5_T6_T7_T9_mT8_P12ihipStream_tbDpT10_ENKUlT_T0_E_clISt17integral_constantIbLb1EES1J_EEDaS1E_S1F_EUlS1E_E_NS1_11comp_targetILNS1_3genE5ELNS1_11target_archE942ELNS1_3gpuE9ELNS1_3repE0EEENS1_30default_config_static_selectorELNS0_4arch9wavefront6targetE0EEEvT1_
                                        ; -- End function
	.set _ZN7rocprim17ROCPRIM_400000_NS6detail17trampoline_kernelINS0_14default_configENS1_25partition_config_selectorILNS1_17partition_subalgoE6EN6thrust23THRUST_200600_302600_NS5tupleIffNS7_9null_typeES9_S9_S9_S9_S9_S9_S9_EENS0_10empty_typeEbEEZZNS1_14partition_implILS5_6ELb0ES3_mNS7_12zip_iteratorINS8_INS7_6detail15normal_iteratorINS7_10device_ptrIfEEEESJ_S9_S9_S9_S9_S9_S9_S9_S9_EEEEPSB_SM_NS0_5tupleIJNSE_INS8_ISJ_NS7_16discard_iteratorINS7_11use_defaultEEES9_S9_S9_S9_S9_S9_S9_S9_EEEESB_EEENSN_IJSM_SM_EEESB_PlJNSF_9not_fun_tINSF_14equal_to_valueISA_EEEEEEE10hipError_tPvRmT3_T4_T5_T6_T7_T9_mT8_P12ihipStream_tbDpT10_ENKUlT_T0_E_clISt17integral_constantIbLb1EES1J_EEDaS1E_S1F_EUlS1E_E_NS1_11comp_targetILNS1_3genE5ELNS1_11target_archE942ELNS1_3gpuE9ELNS1_3repE0EEENS1_30default_config_static_selectorELNS0_4arch9wavefront6targetE0EEEvT1_.num_vgpr, 0
	.set _ZN7rocprim17ROCPRIM_400000_NS6detail17trampoline_kernelINS0_14default_configENS1_25partition_config_selectorILNS1_17partition_subalgoE6EN6thrust23THRUST_200600_302600_NS5tupleIffNS7_9null_typeES9_S9_S9_S9_S9_S9_S9_EENS0_10empty_typeEbEEZZNS1_14partition_implILS5_6ELb0ES3_mNS7_12zip_iteratorINS8_INS7_6detail15normal_iteratorINS7_10device_ptrIfEEEESJ_S9_S9_S9_S9_S9_S9_S9_S9_EEEEPSB_SM_NS0_5tupleIJNSE_INS8_ISJ_NS7_16discard_iteratorINS7_11use_defaultEEES9_S9_S9_S9_S9_S9_S9_S9_EEEESB_EEENSN_IJSM_SM_EEESB_PlJNSF_9not_fun_tINSF_14equal_to_valueISA_EEEEEEE10hipError_tPvRmT3_T4_T5_T6_T7_T9_mT8_P12ihipStream_tbDpT10_ENKUlT_T0_E_clISt17integral_constantIbLb1EES1J_EEDaS1E_S1F_EUlS1E_E_NS1_11comp_targetILNS1_3genE5ELNS1_11target_archE942ELNS1_3gpuE9ELNS1_3repE0EEENS1_30default_config_static_selectorELNS0_4arch9wavefront6targetE0EEEvT1_.num_agpr, 0
	.set _ZN7rocprim17ROCPRIM_400000_NS6detail17trampoline_kernelINS0_14default_configENS1_25partition_config_selectorILNS1_17partition_subalgoE6EN6thrust23THRUST_200600_302600_NS5tupleIffNS7_9null_typeES9_S9_S9_S9_S9_S9_S9_EENS0_10empty_typeEbEEZZNS1_14partition_implILS5_6ELb0ES3_mNS7_12zip_iteratorINS8_INS7_6detail15normal_iteratorINS7_10device_ptrIfEEEESJ_S9_S9_S9_S9_S9_S9_S9_S9_EEEEPSB_SM_NS0_5tupleIJNSE_INS8_ISJ_NS7_16discard_iteratorINS7_11use_defaultEEES9_S9_S9_S9_S9_S9_S9_S9_EEEESB_EEENSN_IJSM_SM_EEESB_PlJNSF_9not_fun_tINSF_14equal_to_valueISA_EEEEEEE10hipError_tPvRmT3_T4_T5_T6_T7_T9_mT8_P12ihipStream_tbDpT10_ENKUlT_T0_E_clISt17integral_constantIbLb1EES1J_EEDaS1E_S1F_EUlS1E_E_NS1_11comp_targetILNS1_3genE5ELNS1_11target_archE942ELNS1_3gpuE9ELNS1_3repE0EEENS1_30default_config_static_selectorELNS0_4arch9wavefront6targetE0EEEvT1_.numbered_sgpr, 0
	.set _ZN7rocprim17ROCPRIM_400000_NS6detail17trampoline_kernelINS0_14default_configENS1_25partition_config_selectorILNS1_17partition_subalgoE6EN6thrust23THRUST_200600_302600_NS5tupleIffNS7_9null_typeES9_S9_S9_S9_S9_S9_S9_EENS0_10empty_typeEbEEZZNS1_14partition_implILS5_6ELb0ES3_mNS7_12zip_iteratorINS8_INS7_6detail15normal_iteratorINS7_10device_ptrIfEEEESJ_S9_S9_S9_S9_S9_S9_S9_S9_EEEEPSB_SM_NS0_5tupleIJNSE_INS8_ISJ_NS7_16discard_iteratorINS7_11use_defaultEEES9_S9_S9_S9_S9_S9_S9_S9_EEEESB_EEENSN_IJSM_SM_EEESB_PlJNSF_9not_fun_tINSF_14equal_to_valueISA_EEEEEEE10hipError_tPvRmT3_T4_T5_T6_T7_T9_mT8_P12ihipStream_tbDpT10_ENKUlT_T0_E_clISt17integral_constantIbLb1EES1J_EEDaS1E_S1F_EUlS1E_E_NS1_11comp_targetILNS1_3genE5ELNS1_11target_archE942ELNS1_3gpuE9ELNS1_3repE0EEENS1_30default_config_static_selectorELNS0_4arch9wavefront6targetE0EEEvT1_.num_named_barrier, 0
	.set _ZN7rocprim17ROCPRIM_400000_NS6detail17trampoline_kernelINS0_14default_configENS1_25partition_config_selectorILNS1_17partition_subalgoE6EN6thrust23THRUST_200600_302600_NS5tupleIffNS7_9null_typeES9_S9_S9_S9_S9_S9_S9_EENS0_10empty_typeEbEEZZNS1_14partition_implILS5_6ELb0ES3_mNS7_12zip_iteratorINS8_INS7_6detail15normal_iteratorINS7_10device_ptrIfEEEESJ_S9_S9_S9_S9_S9_S9_S9_S9_EEEEPSB_SM_NS0_5tupleIJNSE_INS8_ISJ_NS7_16discard_iteratorINS7_11use_defaultEEES9_S9_S9_S9_S9_S9_S9_S9_EEEESB_EEENSN_IJSM_SM_EEESB_PlJNSF_9not_fun_tINSF_14equal_to_valueISA_EEEEEEE10hipError_tPvRmT3_T4_T5_T6_T7_T9_mT8_P12ihipStream_tbDpT10_ENKUlT_T0_E_clISt17integral_constantIbLb1EES1J_EEDaS1E_S1F_EUlS1E_E_NS1_11comp_targetILNS1_3genE5ELNS1_11target_archE942ELNS1_3gpuE9ELNS1_3repE0EEENS1_30default_config_static_selectorELNS0_4arch9wavefront6targetE0EEEvT1_.private_seg_size, 0
	.set _ZN7rocprim17ROCPRIM_400000_NS6detail17trampoline_kernelINS0_14default_configENS1_25partition_config_selectorILNS1_17partition_subalgoE6EN6thrust23THRUST_200600_302600_NS5tupleIffNS7_9null_typeES9_S9_S9_S9_S9_S9_S9_EENS0_10empty_typeEbEEZZNS1_14partition_implILS5_6ELb0ES3_mNS7_12zip_iteratorINS8_INS7_6detail15normal_iteratorINS7_10device_ptrIfEEEESJ_S9_S9_S9_S9_S9_S9_S9_S9_EEEEPSB_SM_NS0_5tupleIJNSE_INS8_ISJ_NS7_16discard_iteratorINS7_11use_defaultEEES9_S9_S9_S9_S9_S9_S9_S9_EEEESB_EEENSN_IJSM_SM_EEESB_PlJNSF_9not_fun_tINSF_14equal_to_valueISA_EEEEEEE10hipError_tPvRmT3_T4_T5_T6_T7_T9_mT8_P12ihipStream_tbDpT10_ENKUlT_T0_E_clISt17integral_constantIbLb1EES1J_EEDaS1E_S1F_EUlS1E_E_NS1_11comp_targetILNS1_3genE5ELNS1_11target_archE942ELNS1_3gpuE9ELNS1_3repE0EEENS1_30default_config_static_selectorELNS0_4arch9wavefront6targetE0EEEvT1_.uses_vcc, 0
	.set _ZN7rocprim17ROCPRIM_400000_NS6detail17trampoline_kernelINS0_14default_configENS1_25partition_config_selectorILNS1_17partition_subalgoE6EN6thrust23THRUST_200600_302600_NS5tupleIffNS7_9null_typeES9_S9_S9_S9_S9_S9_S9_EENS0_10empty_typeEbEEZZNS1_14partition_implILS5_6ELb0ES3_mNS7_12zip_iteratorINS8_INS7_6detail15normal_iteratorINS7_10device_ptrIfEEEESJ_S9_S9_S9_S9_S9_S9_S9_S9_EEEEPSB_SM_NS0_5tupleIJNSE_INS8_ISJ_NS7_16discard_iteratorINS7_11use_defaultEEES9_S9_S9_S9_S9_S9_S9_S9_EEEESB_EEENSN_IJSM_SM_EEESB_PlJNSF_9not_fun_tINSF_14equal_to_valueISA_EEEEEEE10hipError_tPvRmT3_T4_T5_T6_T7_T9_mT8_P12ihipStream_tbDpT10_ENKUlT_T0_E_clISt17integral_constantIbLb1EES1J_EEDaS1E_S1F_EUlS1E_E_NS1_11comp_targetILNS1_3genE5ELNS1_11target_archE942ELNS1_3gpuE9ELNS1_3repE0EEENS1_30default_config_static_selectorELNS0_4arch9wavefront6targetE0EEEvT1_.uses_flat_scratch, 0
	.set _ZN7rocprim17ROCPRIM_400000_NS6detail17trampoline_kernelINS0_14default_configENS1_25partition_config_selectorILNS1_17partition_subalgoE6EN6thrust23THRUST_200600_302600_NS5tupleIffNS7_9null_typeES9_S9_S9_S9_S9_S9_S9_EENS0_10empty_typeEbEEZZNS1_14partition_implILS5_6ELb0ES3_mNS7_12zip_iteratorINS8_INS7_6detail15normal_iteratorINS7_10device_ptrIfEEEESJ_S9_S9_S9_S9_S9_S9_S9_S9_EEEEPSB_SM_NS0_5tupleIJNSE_INS8_ISJ_NS7_16discard_iteratorINS7_11use_defaultEEES9_S9_S9_S9_S9_S9_S9_S9_EEEESB_EEENSN_IJSM_SM_EEESB_PlJNSF_9not_fun_tINSF_14equal_to_valueISA_EEEEEEE10hipError_tPvRmT3_T4_T5_T6_T7_T9_mT8_P12ihipStream_tbDpT10_ENKUlT_T0_E_clISt17integral_constantIbLb1EES1J_EEDaS1E_S1F_EUlS1E_E_NS1_11comp_targetILNS1_3genE5ELNS1_11target_archE942ELNS1_3gpuE9ELNS1_3repE0EEENS1_30default_config_static_selectorELNS0_4arch9wavefront6targetE0EEEvT1_.has_dyn_sized_stack, 0
	.set _ZN7rocprim17ROCPRIM_400000_NS6detail17trampoline_kernelINS0_14default_configENS1_25partition_config_selectorILNS1_17partition_subalgoE6EN6thrust23THRUST_200600_302600_NS5tupleIffNS7_9null_typeES9_S9_S9_S9_S9_S9_S9_EENS0_10empty_typeEbEEZZNS1_14partition_implILS5_6ELb0ES3_mNS7_12zip_iteratorINS8_INS7_6detail15normal_iteratorINS7_10device_ptrIfEEEESJ_S9_S9_S9_S9_S9_S9_S9_S9_EEEEPSB_SM_NS0_5tupleIJNSE_INS8_ISJ_NS7_16discard_iteratorINS7_11use_defaultEEES9_S9_S9_S9_S9_S9_S9_S9_EEEESB_EEENSN_IJSM_SM_EEESB_PlJNSF_9not_fun_tINSF_14equal_to_valueISA_EEEEEEE10hipError_tPvRmT3_T4_T5_T6_T7_T9_mT8_P12ihipStream_tbDpT10_ENKUlT_T0_E_clISt17integral_constantIbLb1EES1J_EEDaS1E_S1F_EUlS1E_E_NS1_11comp_targetILNS1_3genE5ELNS1_11target_archE942ELNS1_3gpuE9ELNS1_3repE0EEENS1_30default_config_static_selectorELNS0_4arch9wavefront6targetE0EEEvT1_.has_recursion, 0
	.set _ZN7rocprim17ROCPRIM_400000_NS6detail17trampoline_kernelINS0_14default_configENS1_25partition_config_selectorILNS1_17partition_subalgoE6EN6thrust23THRUST_200600_302600_NS5tupleIffNS7_9null_typeES9_S9_S9_S9_S9_S9_S9_EENS0_10empty_typeEbEEZZNS1_14partition_implILS5_6ELb0ES3_mNS7_12zip_iteratorINS8_INS7_6detail15normal_iteratorINS7_10device_ptrIfEEEESJ_S9_S9_S9_S9_S9_S9_S9_S9_EEEEPSB_SM_NS0_5tupleIJNSE_INS8_ISJ_NS7_16discard_iteratorINS7_11use_defaultEEES9_S9_S9_S9_S9_S9_S9_S9_EEEESB_EEENSN_IJSM_SM_EEESB_PlJNSF_9not_fun_tINSF_14equal_to_valueISA_EEEEEEE10hipError_tPvRmT3_T4_T5_T6_T7_T9_mT8_P12ihipStream_tbDpT10_ENKUlT_T0_E_clISt17integral_constantIbLb1EES1J_EEDaS1E_S1F_EUlS1E_E_NS1_11comp_targetILNS1_3genE5ELNS1_11target_archE942ELNS1_3gpuE9ELNS1_3repE0EEENS1_30default_config_static_selectorELNS0_4arch9wavefront6targetE0EEEvT1_.has_indirect_call, 0
	.section	.AMDGPU.csdata,"",@progbits
; Kernel info:
; codeLenInByte = 0
; TotalNumSgprs: 0
; NumVgprs: 0
; ScratchSize: 0
; MemoryBound: 0
; FloatMode: 240
; IeeeMode: 1
; LDSByteSize: 0 bytes/workgroup (compile time only)
; SGPRBlocks: 0
; VGPRBlocks: 0
; NumSGPRsForWavesPerEU: 1
; NumVGPRsForWavesPerEU: 1
; Occupancy: 16
; WaveLimiterHint : 0
; COMPUTE_PGM_RSRC2:SCRATCH_EN: 0
; COMPUTE_PGM_RSRC2:USER_SGPR: 2
; COMPUTE_PGM_RSRC2:TRAP_HANDLER: 0
; COMPUTE_PGM_RSRC2:TGID_X_EN: 1
; COMPUTE_PGM_RSRC2:TGID_Y_EN: 0
; COMPUTE_PGM_RSRC2:TGID_Z_EN: 0
; COMPUTE_PGM_RSRC2:TIDIG_COMP_CNT: 0
	.section	.text._ZN7rocprim17ROCPRIM_400000_NS6detail17trampoline_kernelINS0_14default_configENS1_25partition_config_selectorILNS1_17partition_subalgoE6EN6thrust23THRUST_200600_302600_NS5tupleIffNS7_9null_typeES9_S9_S9_S9_S9_S9_S9_EENS0_10empty_typeEbEEZZNS1_14partition_implILS5_6ELb0ES3_mNS7_12zip_iteratorINS8_INS7_6detail15normal_iteratorINS7_10device_ptrIfEEEESJ_S9_S9_S9_S9_S9_S9_S9_S9_EEEEPSB_SM_NS0_5tupleIJNSE_INS8_ISJ_NS7_16discard_iteratorINS7_11use_defaultEEES9_S9_S9_S9_S9_S9_S9_S9_EEEESB_EEENSN_IJSM_SM_EEESB_PlJNSF_9not_fun_tINSF_14equal_to_valueISA_EEEEEEE10hipError_tPvRmT3_T4_T5_T6_T7_T9_mT8_P12ihipStream_tbDpT10_ENKUlT_T0_E_clISt17integral_constantIbLb1EES1J_EEDaS1E_S1F_EUlS1E_E_NS1_11comp_targetILNS1_3genE4ELNS1_11target_archE910ELNS1_3gpuE8ELNS1_3repE0EEENS1_30default_config_static_selectorELNS0_4arch9wavefront6targetE0EEEvT1_,"axG",@progbits,_ZN7rocprim17ROCPRIM_400000_NS6detail17trampoline_kernelINS0_14default_configENS1_25partition_config_selectorILNS1_17partition_subalgoE6EN6thrust23THRUST_200600_302600_NS5tupleIffNS7_9null_typeES9_S9_S9_S9_S9_S9_S9_EENS0_10empty_typeEbEEZZNS1_14partition_implILS5_6ELb0ES3_mNS7_12zip_iteratorINS8_INS7_6detail15normal_iteratorINS7_10device_ptrIfEEEESJ_S9_S9_S9_S9_S9_S9_S9_S9_EEEEPSB_SM_NS0_5tupleIJNSE_INS8_ISJ_NS7_16discard_iteratorINS7_11use_defaultEEES9_S9_S9_S9_S9_S9_S9_S9_EEEESB_EEENSN_IJSM_SM_EEESB_PlJNSF_9not_fun_tINSF_14equal_to_valueISA_EEEEEEE10hipError_tPvRmT3_T4_T5_T6_T7_T9_mT8_P12ihipStream_tbDpT10_ENKUlT_T0_E_clISt17integral_constantIbLb1EES1J_EEDaS1E_S1F_EUlS1E_E_NS1_11comp_targetILNS1_3genE4ELNS1_11target_archE910ELNS1_3gpuE8ELNS1_3repE0EEENS1_30default_config_static_selectorELNS0_4arch9wavefront6targetE0EEEvT1_,comdat
	.protected	_ZN7rocprim17ROCPRIM_400000_NS6detail17trampoline_kernelINS0_14default_configENS1_25partition_config_selectorILNS1_17partition_subalgoE6EN6thrust23THRUST_200600_302600_NS5tupleIffNS7_9null_typeES9_S9_S9_S9_S9_S9_S9_EENS0_10empty_typeEbEEZZNS1_14partition_implILS5_6ELb0ES3_mNS7_12zip_iteratorINS8_INS7_6detail15normal_iteratorINS7_10device_ptrIfEEEESJ_S9_S9_S9_S9_S9_S9_S9_S9_EEEEPSB_SM_NS0_5tupleIJNSE_INS8_ISJ_NS7_16discard_iteratorINS7_11use_defaultEEES9_S9_S9_S9_S9_S9_S9_S9_EEEESB_EEENSN_IJSM_SM_EEESB_PlJNSF_9not_fun_tINSF_14equal_to_valueISA_EEEEEEE10hipError_tPvRmT3_T4_T5_T6_T7_T9_mT8_P12ihipStream_tbDpT10_ENKUlT_T0_E_clISt17integral_constantIbLb1EES1J_EEDaS1E_S1F_EUlS1E_E_NS1_11comp_targetILNS1_3genE4ELNS1_11target_archE910ELNS1_3gpuE8ELNS1_3repE0EEENS1_30default_config_static_selectorELNS0_4arch9wavefront6targetE0EEEvT1_ ; -- Begin function _ZN7rocprim17ROCPRIM_400000_NS6detail17trampoline_kernelINS0_14default_configENS1_25partition_config_selectorILNS1_17partition_subalgoE6EN6thrust23THRUST_200600_302600_NS5tupleIffNS7_9null_typeES9_S9_S9_S9_S9_S9_S9_EENS0_10empty_typeEbEEZZNS1_14partition_implILS5_6ELb0ES3_mNS7_12zip_iteratorINS8_INS7_6detail15normal_iteratorINS7_10device_ptrIfEEEESJ_S9_S9_S9_S9_S9_S9_S9_S9_EEEEPSB_SM_NS0_5tupleIJNSE_INS8_ISJ_NS7_16discard_iteratorINS7_11use_defaultEEES9_S9_S9_S9_S9_S9_S9_S9_EEEESB_EEENSN_IJSM_SM_EEESB_PlJNSF_9not_fun_tINSF_14equal_to_valueISA_EEEEEEE10hipError_tPvRmT3_T4_T5_T6_T7_T9_mT8_P12ihipStream_tbDpT10_ENKUlT_T0_E_clISt17integral_constantIbLb1EES1J_EEDaS1E_S1F_EUlS1E_E_NS1_11comp_targetILNS1_3genE4ELNS1_11target_archE910ELNS1_3gpuE8ELNS1_3repE0EEENS1_30default_config_static_selectorELNS0_4arch9wavefront6targetE0EEEvT1_
	.globl	_ZN7rocprim17ROCPRIM_400000_NS6detail17trampoline_kernelINS0_14default_configENS1_25partition_config_selectorILNS1_17partition_subalgoE6EN6thrust23THRUST_200600_302600_NS5tupleIffNS7_9null_typeES9_S9_S9_S9_S9_S9_S9_EENS0_10empty_typeEbEEZZNS1_14partition_implILS5_6ELb0ES3_mNS7_12zip_iteratorINS8_INS7_6detail15normal_iteratorINS7_10device_ptrIfEEEESJ_S9_S9_S9_S9_S9_S9_S9_S9_EEEEPSB_SM_NS0_5tupleIJNSE_INS8_ISJ_NS7_16discard_iteratorINS7_11use_defaultEEES9_S9_S9_S9_S9_S9_S9_S9_EEEESB_EEENSN_IJSM_SM_EEESB_PlJNSF_9not_fun_tINSF_14equal_to_valueISA_EEEEEEE10hipError_tPvRmT3_T4_T5_T6_T7_T9_mT8_P12ihipStream_tbDpT10_ENKUlT_T0_E_clISt17integral_constantIbLb1EES1J_EEDaS1E_S1F_EUlS1E_E_NS1_11comp_targetILNS1_3genE4ELNS1_11target_archE910ELNS1_3gpuE8ELNS1_3repE0EEENS1_30default_config_static_selectorELNS0_4arch9wavefront6targetE0EEEvT1_
	.p2align	8
	.type	_ZN7rocprim17ROCPRIM_400000_NS6detail17trampoline_kernelINS0_14default_configENS1_25partition_config_selectorILNS1_17partition_subalgoE6EN6thrust23THRUST_200600_302600_NS5tupleIffNS7_9null_typeES9_S9_S9_S9_S9_S9_S9_EENS0_10empty_typeEbEEZZNS1_14partition_implILS5_6ELb0ES3_mNS7_12zip_iteratorINS8_INS7_6detail15normal_iteratorINS7_10device_ptrIfEEEESJ_S9_S9_S9_S9_S9_S9_S9_S9_EEEEPSB_SM_NS0_5tupleIJNSE_INS8_ISJ_NS7_16discard_iteratorINS7_11use_defaultEEES9_S9_S9_S9_S9_S9_S9_S9_EEEESB_EEENSN_IJSM_SM_EEESB_PlJNSF_9not_fun_tINSF_14equal_to_valueISA_EEEEEEE10hipError_tPvRmT3_T4_T5_T6_T7_T9_mT8_P12ihipStream_tbDpT10_ENKUlT_T0_E_clISt17integral_constantIbLb1EES1J_EEDaS1E_S1F_EUlS1E_E_NS1_11comp_targetILNS1_3genE4ELNS1_11target_archE910ELNS1_3gpuE8ELNS1_3repE0EEENS1_30default_config_static_selectorELNS0_4arch9wavefront6targetE0EEEvT1_,@function
_ZN7rocprim17ROCPRIM_400000_NS6detail17trampoline_kernelINS0_14default_configENS1_25partition_config_selectorILNS1_17partition_subalgoE6EN6thrust23THRUST_200600_302600_NS5tupleIffNS7_9null_typeES9_S9_S9_S9_S9_S9_S9_EENS0_10empty_typeEbEEZZNS1_14partition_implILS5_6ELb0ES3_mNS7_12zip_iteratorINS8_INS7_6detail15normal_iteratorINS7_10device_ptrIfEEEESJ_S9_S9_S9_S9_S9_S9_S9_S9_EEEEPSB_SM_NS0_5tupleIJNSE_INS8_ISJ_NS7_16discard_iteratorINS7_11use_defaultEEES9_S9_S9_S9_S9_S9_S9_S9_EEEESB_EEENSN_IJSM_SM_EEESB_PlJNSF_9not_fun_tINSF_14equal_to_valueISA_EEEEEEE10hipError_tPvRmT3_T4_T5_T6_T7_T9_mT8_P12ihipStream_tbDpT10_ENKUlT_T0_E_clISt17integral_constantIbLb1EES1J_EEDaS1E_S1F_EUlS1E_E_NS1_11comp_targetILNS1_3genE4ELNS1_11target_archE910ELNS1_3gpuE8ELNS1_3repE0EEENS1_30default_config_static_selectorELNS0_4arch9wavefront6targetE0EEEvT1_: ; @_ZN7rocprim17ROCPRIM_400000_NS6detail17trampoline_kernelINS0_14default_configENS1_25partition_config_selectorILNS1_17partition_subalgoE6EN6thrust23THRUST_200600_302600_NS5tupleIffNS7_9null_typeES9_S9_S9_S9_S9_S9_S9_EENS0_10empty_typeEbEEZZNS1_14partition_implILS5_6ELb0ES3_mNS7_12zip_iteratorINS8_INS7_6detail15normal_iteratorINS7_10device_ptrIfEEEESJ_S9_S9_S9_S9_S9_S9_S9_S9_EEEEPSB_SM_NS0_5tupleIJNSE_INS8_ISJ_NS7_16discard_iteratorINS7_11use_defaultEEES9_S9_S9_S9_S9_S9_S9_S9_EEEESB_EEENSN_IJSM_SM_EEESB_PlJNSF_9not_fun_tINSF_14equal_to_valueISA_EEEEEEE10hipError_tPvRmT3_T4_T5_T6_T7_T9_mT8_P12ihipStream_tbDpT10_ENKUlT_T0_E_clISt17integral_constantIbLb1EES1J_EEDaS1E_S1F_EUlS1E_E_NS1_11comp_targetILNS1_3genE4ELNS1_11target_archE910ELNS1_3gpuE8ELNS1_3repE0EEENS1_30default_config_static_selectorELNS0_4arch9wavefront6targetE0EEEvT1_
; %bb.0:
	.section	.rodata,"a",@progbits
	.p2align	6, 0x0
	.amdhsa_kernel _ZN7rocprim17ROCPRIM_400000_NS6detail17trampoline_kernelINS0_14default_configENS1_25partition_config_selectorILNS1_17partition_subalgoE6EN6thrust23THRUST_200600_302600_NS5tupleIffNS7_9null_typeES9_S9_S9_S9_S9_S9_S9_EENS0_10empty_typeEbEEZZNS1_14partition_implILS5_6ELb0ES3_mNS7_12zip_iteratorINS8_INS7_6detail15normal_iteratorINS7_10device_ptrIfEEEESJ_S9_S9_S9_S9_S9_S9_S9_S9_EEEEPSB_SM_NS0_5tupleIJNSE_INS8_ISJ_NS7_16discard_iteratorINS7_11use_defaultEEES9_S9_S9_S9_S9_S9_S9_S9_EEEESB_EEENSN_IJSM_SM_EEESB_PlJNSF_9not_fun_tINSF_14equal_to_valueISA_EEEEEEE10hipError_tPvRmT3_T4_T5_T6_T7_T9_mT8_P12ihipStream_tbDpT10_ENKUlT_T0_E_clISt17integral_constantIbLb1EES1J_EEDaS1E_S1F_EUlS1E_E_NS1_11comp_targetILNS1_3genE4ELNS1_11target_archE910ELNS1_3gpuE8ELNS1_3repE0EEENS1_30default_config_static_selectorELNS0_4arch9wavefront6targetE0EEEvT1_
		.amdhsa_group_segment_fixed_size 0
		.amdhsa_private_segment_fixed_size 0
		.amdhsa_kernarg_size 152
		.amdhsa_user_sgpr_count 2
		.amdhsa_user_sgpr_dispatch_ptr 0
		.amdhsa_user_sgpr_queue_ptr 0
		.amdhsa_user_sgpr_kernarg_segment_ptr 1
		.amdhsa_user_sgpr_dispatch_id 0
		.amdhsa_user_sgpr_private_segment_size 0
		.amdhsa_wavefront_size32 1
		.amdhsa_uses_dynamic_stack 0
		.amdhsa_enable_private_segment 0
		.amdhsa_system_sgpr_workgroup_id_x 1
		.amdhsa_system_sgpr_workgroup_id_y 0
		.amdhsa_system_sgpr_workgroup_id_z 0
		.amdhsa_system_sgpr_workgroup_info 0
		.amdhsa_system_vgpr_workitem_id 0
		.amdhsa_next_free_vgpr 1
		.amdhsa_next_free_sgpr 1
		.amdhsa_reserve_vcc 0
		.amdhsa_float_round_mode_32 0
		.amdhsa_float_round_mode_16_64 0
		.amdhsa_float_denorm_mode_32 3
		.amdhsa_float_denorm_mode_16_64 3
		.amdhsa_fp16_overflow 0
		.amdhsa_workgroup_processor_mode 1
		.amdhsa_memory_ordered 1
		.amdhsa_forward_progress 1
		.amdhsa_inst_pref_size 0
		.amdhsa_round_robin_scheduling 0
		.amdhsa_exception_fp_ieee_invalid_op 0
		.amdhsa_exception_fp_denorm_src 0
		.amdhsa_exception_fp_ieee_div_zero 0
		.amdhsa_exception_fp_ieee_overflow 0
		.amdhsa_exception_fp_ieee_underflow 0
		.amdhsa_exception_fp_ieee_inexact 0
		.amdhsa_exception_int_div_zero 0
	.end_amdhsa_kernel
	.section	.text._ZN7rocprim17ROCPRIM_400000_NS6detail17trampoline_kernelINS0_14default_configENS1_25partition_config_selectorILNS1_17partition_subalgoE6EN6thrust23THRUST_200600_302600_NS5tupleIffNS7_9null_typeES9_S9_S9_S9_S9_S9_S9_EENS0_10empty_typeEbEEZZNS1_14partition_implILS5_6ELb0ES3_mNS7_12zip_iteratorINS8_INS7_6detail15normal_iteratorINS7_10device_ptrIfEEEESJ_S9_S9_S9_S9_S9_S9_S9_S9_EEEEPSB_SM_NS0_5tupleIJNSE_INS8_ISJ_NS7_16discard_iteratorINS7_11use_defaultEEES9_S9_S9_S9_S9_S9_S9_S9_EEEESB_EEENSN_IJSM_SM_EEESB_PlJNSF_9not_fun_tINSF_14equal_to_valueISA_EEEEEEE10hipError_tPvRmT3_T4_T5_T6_T7_T9_mT8_P12ihipStream_tbDpT10_ENKUlT_T0_E_clISt17integral_constantIbLb1EES1J_EEDaS1E_S1F_EUlS1E_E_NS1_11comp_targetILNS1_3genE4ELNS1_11target_archE910ELNS1_3gpuE8ELNS1_3repE0EEENS1_30default_config_static_selectorELNS0_4arch9wavefront6targetE0EEEvT1_,"axG",@progbits,_ZN7rocprim17ROCPRIM_400000_NS6detail17trampoline_kernelINS0_14default_configENS1_25partition_config_selectorILNS1_17partition_subalgoE6EN6thrust23THRUST_200600_302600_NS5tupleIffNS7_9null_typeES9_S9_S9_S9_S9_S9_S9_EENS0_10empty_typeEbEEZZNS1_14partition_implILS5_6ELb0ES3_mNS7_12zip_iteratorINS8_INS7_6detail15normal_iteratorINS7_10device_ptrIfEEEESJ_S9_S9_S9_S9_S9_S9_S9_S9_EEEEPSB_SM_NS0_5tupleIJNSE_INS8_ISJ_NS7_16discard_iteratorINS7_11use_defaultEEES9_S9_S9_S9_S9_S9_S9_S9_EEEESB_EEENSN_IJSM_SM_EEESB_PlJNSF_9not_fun_tINSF_14equal_to_valueISA_EEEEEEE10hipError_tPvRmT3_T4_T5_T6_T7_T9_mT8_P12ihipStream_tbDpT10_ENKUlT_T0_E_clISt17integral_constantIbLb1EES1J_EEDaS1E_S1F_EUlS1E_E_NS1_11comp_targetILNS1_3genE4ELNS1_11target_archE910ELNS1_3gpuE8ELNS1_3repE0EEENS1_30default_config_static_selectorELNS0_4arch9wavefront6targetE0EEEvT1_,comdat
.Lfunc_end1863:
	.size	_ZN7rocprim17ROCPRIM_400000_NS6detail17trampoline_kernelINS0_14default_configENS1_25partition_config_selectorILNS1_17partition_subalgoE6EN6thrust23THRUST_200600_302600_NS5tupleIffNS7_9null_typeES9_S9_S9_S9_S9_S9_S9_EENS0_10empty_typeEbEEZZNS1_14partition_implILS5_6ELb0ES3_mNS7_12zip_iteratorINS8_INS7_6detail15normal_iteratorINS7_10device_ptrIfEEEESJ_S9_S9_S9_S9_S9_S9_S9_S9_EEEEPSB_SM_NS0_5tupleIJNSE_INS8_ISJ_NS7_16discard_iteratorINS7_11use_defaultEEES9_S9_S9_S9_S9_S9_S9_S9_EEEESB_EEENSN_IJSM_SM_EEESB_PlJNSF_9not_fun_tINSF_14equal_to_valueISA_EEEEEEE10hipError_tPvRmT3_T4_T5_T6_T7_T9_mT8_P12ihipStream_tbDpT10_ENKUlT_T0_E_clISt17integral_constantIbLb1EES1J_EEDaS1E_S1F_EUlS1E_E_NS1_11comp_targetILNS1_3genE4ELNS1_11target_archE910ELNS1_3gpuE8ELNS1_3repE0EEENS1_30default_config_static_selectorELNS0_4arch9wavefront6targetE0EEEvT1_, .Lfunc_end1863-_ZN7rocprim17ROCPRIM_400000_NS6detail17trampoline_kernelINS0_14default_configENS1_25partition_config_selectorILNS1_17partition_subalgoE6EN6thrust23THRUST_200600_302600_NS5tupleIffNS7_9null_typeES9_S9_S9_S9_S9_S9_S9_EENS0_10empty_typeEbEEZZNS1_14partition_implILS5_6ELb0ES3_mNS7_12zip_iteratorINS8_INS7_6detail15normal_iteratorINS7_10device_ptrIfEEEESJ_S9_S9_S9_S9_S9_S9_S9_S9_EEEEPSB_SM_NS0_5tupleIJNSE_INS8_ISJ_NS7_16discard_iteratorINS7_11use_defaultEEES9_S9_S9_S9_S9_S9_S9_S9_EEEESB_EEENSN_IJSM_SM_EEESB_PlJNSF_9not_fun_tINSF_14equal_to_valueISA_EEEEEEE10hipError_tPvRmT3_T4_T5_T6_T7_T9_mT8_P12ihipStream_tbDpT10_ENKUlT_T0_E_clISt17integral_constantIbLb1EES1J_EEDaS1E_S1F_EUlS1E_E_NS1_11comp_targetILNS1_3genE4ELNS1_11target_archE910ELNS1_3gpuE8ELNS1_3repE0EEENS1_30default_config_static_selectorELNS0_4arch9wavefront6targetE0EEEvT1_
                                        ; -- End function
	.set _ZN7rocprim17ROCPRIM_400000_NS6detail17trampoline_kernelINS0_14default_configENS1_25partition_config_selectorILNS1_17partition_subalgoE6EN6thrust23THRUST_200600_302600_NS5tupleIffNS7_9null_typeES9_S9_S9_S9_S9_S9_S9_EENS0_10empty_typeEbEEZZNS1_14partition_implILS5_6ELb0ES3_mNS7_12zip_iteratorINS8_INS7_6detail15normal_iteratorINS7_10device_ptrIfEEEESJ_S9_S9_S9_S9_S9_S9_S9_S9_EEEEPSB_SM_NS0_5tupleIJNSE_INS8_ISJ_NS7_16discard_iteratorINS7_11use_defaultEEES9_S9_S9_S9_S9_S9_S9_S9_EEEESB_EEENSN_IJSM_SM_EEESB_PlJNSF_9not_fun_tINSF_14equal_to_valueISA_EEEEEEE10hipError_tPvRmT3_T4_T5_T6_T7_T9_mT8_P12ihipStream_tbDpT10_ENKUlT_T0_E_clISt17integral_constantIbLb1EES1J_EEDaS1E_S1F_EUlS1E_E_NS1_11comp_targetILNS1_3genE4ELNS1_11target_archE910ELNS1_3gpuE8ELNS1_3repE0EEENS1_30default_config_static_selectorELNS0_4arch9wavefront6targetE0EEEvT1_.num_vgpr, 0
	.set _ZN7rocprim17ROCPRIM_400000_NS6detail17trampoline_kernelINS0_14default_configENS1_25partition_config_selectorILNS1_17partition_subalgoE6EN6thrust23THRUST_200600_302600_NS5tupleIffNS7_9null_typeES9_S9_S9_S9_S9_S9_S9_EENS0_10empty_typeEbEEZZNS1_14partition_implILS5_6ELb0ES3_mNS7_12zip_iteratorINS8_INS7_6detail15normal_iteratorINS7_10device_ptrIfEEEESJ_S9_S9_S9_S9_S9_S9_S9_S9_EEEEPSB_SM_NS0_5tupleIJNSE_INS8_ISJ_NS7_16discard_iteratorINS7_11use_defaultEEES9_S9_S9_S9_S9_S9_S9_S9_EEEESB_EEENSN_IJSM_SM_EEESB_PlJNSF_9not_fun_tINSF_14equal_to_valueISA_EEEEEEE10hipError_tPvRmT3_T4_T5_T6_T7_T9_mT8_P12ihipStream_tbDpT10_ENKUlT_T0_E_clISt17integral_constantIbLb1EES1J_EEDaS1E_S1F_EUlS1E_E_NS1_11comp_targetILNS1_3genE4ELNS1_11target_archE910ELNS1_3gpuE8ELNS1_3repE0EEENS1_30default_config_static_selectorELNS0_4arch9wavefront6targetE0EEEvT1_.num_agpr, 0
	.set _ZN7rocprim17ROCPRIM_400000_NS6detail17trampoline_kernelINS0_14default_configENS1_25partition_config_selectorILNS1_17partition_subalgoE6EN6thrust23THRUST_200600_302600_NS5tupleIffNS7_9null_typeES9_S9_S9_S9_S9_S9_S9_EENS0_10empty_typeEbEEZZNS1_14partition_implILS5_6ELb0ES3_mNS7_12zip_iteratorINS8_INS7_6detail15normal_iteratorINS7_10device_ptrIfEEEESJ_S9_S9_S9_S9_S9_S9_S9_S9_EEEEPSB_SM_NS0_5tupleIJNSE_INS8_ISJ_NS7_16discard_iteratorINS7_11use_defaultEEES9_S9_S9_S9_S9_S9_S9_S9_EEEESB_EEENSN_IJSM_SM_EEESB_PlJNSF_9not_fun_tINSF_14equal_to_valueISA_EEEEEEE10hipError_tPvRmT3_T4_T5_T6_T7_T9_mT8_P12ihipStream_tbDpT10_ENKUlT_T0_E_clISt17integral_constantIbLb1EES1J_EEDaS1E_S1F_EUlS1E_E_NS1_11comp_targetILNS1_3genE4ELNS1_11target_archE910ELNS1_3gpuE8ELNS1_3repE0EEENS1_30default_config_static_selectorELNS0_4arch9wavefront6targetE0EEEvT1_.numbered_sgpr, 0
	.set _ZN7rocprim17ROCPRIM_400000_NS6detail17trampoline_kernelINS0_14default_configENS1_25partition_config_selectorILNS1_17partition_subalgoE6EN6thrust23THRUST_200600_302600_NS5tupleIffNS7_9null_typeES9_S9_S9_S9_S9_S9_S9_EENS0_10empty_typeEbEEZZNS1_14partition_implILS5_6ELb0ES3_mNS7_12zip_iteratorINS8_INS7_6detail15normal_iteratorINS7_10device_ptrIfEEEESJ_S9_S9_S9_S9_S9_S9_S9_S9_EEEEPSB_SM_NS0_5tupleIJNSE_INS8_ISJ_NS7_16discard_iteratorINS7_11use_defaultEEES9_S9_S9_S9_S9_S9_S9_S9_EEEESB_EEENSN_IJSM_SM_EEESB_PlJNSF_9not_fun_tINSF_14equal_to_valueISA_EEEEEEE10hipError_tPvRmT3_T4_T5_T6_T7_T9_mT8_P12ihipStream_tbDpT10_ENKUlT_T0_E_clISt17integral_constantIbLb1EES1J_EEDaS1E_S1F_EUlS1E_E_NS1_11comp_targetILNS1_3genE4ELNS1_11target_archE910ELNS1_3gpuE8ELNS1_3repE0EEENS1_30default_config_static_selectorELNS0_4arch9wavefront6targetE0EEEvT1_.num_named_barrier, 0
	.set _ZN7rocprim17ROCPRIM_400000_NS6detail17trampoline_kernelINS0_14default_configENS1_25partition_config_selectorILNS1_17partition_subalgoE6EN6thrust23THRUST_200600_302600_NS5tupleIffNS7_9null_typeES9_S9_S9_S9_S9_S9_S9_EENS0_10empty_typeEbEEZZNS1_14partition_implILS5_6ELb0ES3_mNS7_12zip_iteratorINS8_INS7_6detail15normal_iteratorINS7_10device_ptrIfEEEESJ_S9_S9_S9_S9_S9_S9_S9_S9_EEEEPSB_SM_NS0_5tupleIJNSE_INS8_ISJ_NS7_16discard_iteratorINS7_11use_defaultEEES9_S9_S9_S9_S9_S9_S9_S9_EEEESB_EEENSN_IJSM_SM_EEESB_PlJNSF_9not_fun_tINSF_14equal_to_valueISA_EEEEEEE10hipError_tPvRmT3_T4_T5_T6_T7_T9_mT8_P12ihipStream_tbDpT10_ENKUlT_T0_E_clISt17integral_constantIbLb1EES1J_EEDaS1E_S1F_EUlS1E_E_NS1_11comp_targetILNS1_3genE4ELNS1_11target_archE910ELNS1_3gpuE8ELNS1_3repE0EEENS1_30default_config_static_selectorELNS0_4arch9wavefront6targetE0EEEvT1_.private_seg_size, 0
	.set _ZN7rocprim17ROCPRIM_400000_NS6detail17trampoline_kernelINS0_14default_configENS1_25partition_config_selectorILNS1_17partition_subalgoE6EN6thrust23THRUST_200600_302600_NS5tupleIffNS7_9null_typeES9_S9_S9_S9_S9_S9_S9_EENS0_10empty_typeEbEEZZNS1_14partition_implILS5_6ELb0ES3_mNS7_12zip_iteratorINS8_INS7_6detail15normal_iteratorINS7_10device_ptrIfEEEESJ_S9_S9_S9_S9_S9_S9_S9_S9_EEEEPSB_SM_NS0_5tupleIJNSE_INS8_ISJ_NS7_16discard_iteratorINS7_11use_defaultEEES9_S9_S9_S9_S9_S9_S9_S9_EEEESB_EEENSN_IJSM_SM_EEESB_PlJNSF_9not_fun_tINSF_14equal_to_valueISA_EEEEEEE10hipError_tPvRmT3_T4_T5_T6_T7_T9_mT8_P12ihipStream_tbDpT10_ENKUlT_T0_E_clISt17integral_constantIbLb1EES1J_EEDaS1E_S1F_EUlS1E_E_NS1_11comp_targetILNS1_3genE4ELNS1_11target_archE910ELNS1_3gpuE8ELNS1_3repE0EEENS1_30default_config_static_selectorELNS0_4arch9wavefront6targetE0EEEvT1_.uses_vcc, 0
	.set _ZN7rocprim17ROCPRIM_400000_NS6detail17trampoline_kernelINS0_14default_configENS1_25partition_config_selectorILNS1_17partition_subalgoE6EN6thrust23THRUST_200600_302600_NS5tupleIffNS7_9null_typeES9_S9_S9_S9_S9_S9_S9_EENS0_10empty_typeEbEEZZNS1_14partition_implILS5_6ELb0ES3_mNS7_12zip_iteratorINS8_INS7_6detail15normal_iteratorINS7_10device_ptrIfEEEESJ_S9_S9_S9_S9_S9_S9_S9_S9_EEEEPSB_SM_NS0_5tupleIJNSE_INS8_ISJ_NS7_16discard_iteratorINS7_11use_defaultEEES9_S9_S9_S9_S9_S9_S9_S9_EEEESB_EEENSN_IJSM_SM_EEESB_PlJNSF_9not_fun_tINSF_14equal_to_valueISA_EEEEEEE10hipError_tPvRmT3_T4_T5_T6_T7_T9_mT8_P12ihipStream_tbDpT10_ENKUlT_T0_E_clISt17integral_constantIbLb1EES1J_EEDaS1E_S1F_EUlS1E_E_NS1_11comp_targetILNS1_3genE4ELNS1_11target_archE910ELNS1_3gpuE8ELNS1_3repE0EEENS1_30default_config_static_selectorELNS0_4arch9wavefront6targetE0EEEvT1_.uses_flat_scratch, 0
	.set _ZN7rocprim17ROCPRIM_400000_NS6detail17trampoline_kernelINS0_14default_configENS1_25partition_config_selectorILNS1_17partition_subalgoE6EN6thrust23THRUST_200600_302600_NS5tupleIffNS7_9null_typeES9_S9_S9_S9_S9_S9_S9_EENS0_10empty_typeEbEEZZNS1_14partition_implILS5_6ELb0ES3_mNS7_12zip_iteratorINS8_INS7_6detail15normal_iteratorINS7_10device_ptrIfEEEESJ_S9_S9_S9_S9_S9_S9_S9_S9_EEEEPSB_SM_NS0_5tupleIJNSE_INS8_ISJ_NS7_16discard_iteratorINS7_11use_defaultEEES9_S9_S9_S9_S9_S9_S9_S9_EEEESB_EEENSN_IJSM_SM_EEESB_PlJNSF_9not_fun_tINSF_14equal_to_valueISA_EEEEEEE10hipError_tPvRmT3_T4_T5_T6_T7_T9_mT8_P12ihipStream_tbDpT10_ENKUlT_T0_E_clISt17integral_constantIbLb1EES1J_EEDaS1E_S1F_EUlS1E_E_NS1_11comp_targetILNS1_3genE4ELNS1_11target_archE910ELNS1_3gpuE8ELNS1_3repE0EEENS1_30default_config_static_selectorELNS0_4arch9wavefront6targetE0EEEvT1_.has_dyn_sized_stack, 0
	.set _ZN7rocprim17ROCPRIM_400000_NS6detail17trampoline_kernelINS0_14default_configENS1_25partition_config_selectorILNS1_17partition_subalgoE6EN6thrust23THRUST_200600_302600_NS5tupleIffNS7_9null_typeES9_S9_S9_S9_S9_S9_S9_EENS0_10empty_typeEbEEZZNS1_14partition_implILS5_6ELb0ES3_mNS7_12zip_iteratorINS8_INS7_6detail15normal_iteratorINS7_10device_ptrIfEEEESJ_S9_S9_S9_S9_S9_S9_S9_S9_EEEEPSB_SM_NS0_5tupleIJNSE_INS8_ISJ_NS7_16discard_iteratorINS7_11use_defaultEEES9_S9_S9_S9_S9_S9_S9_S9_EEEESB_EEENSN_IJSM_SM_EEESB_PlJNSF_9not_fun_tINSF_14equal_to_valueISA_EEEEEEE10hipError_tPvRmT3_T4_T5_T6_T7_T9_mT8_P12ihipStream_tbDpT10_ENKUlT_T0_E_clISt17integral_constantIbLb1EES1J_EEDaS1E_S1F_EUlS1E_E_NS1_11comp_targetILNS1_3genE4ELNS1_11target_archE910ELNS1_3gpuE8ELNS1_3repE0EEENS1_30default_config_static_selectorELNS0_4arch9wavefront6targetE0EEEvT1_.has_recursion, 0
	.set _ZN7rocprim17ROCPRIM_400000_NS6detail17trampoline_kernelINS0_14default_configENS1_25partition_config_selectorILNS1_17partition_subalgoE6EN6thrust23THRUST_200600_302600_NS5tupleIffNS7_9null_typeES9_S9_S9_S9_S9_S9_S9_EENS0_10empty_typeEbEEZZNS1_14partition_implILS5_6ELb0ES3_mNS7_12zip_iteratorINS8_INS7_6detail15normal_iteratorINS7_10device_ptrIfEEEESJ_S9_S9_S9_S9_S9_S9_S9_S9_EEEEPSB_SM_NS0_5tupleIJNSE_INS8_ISJ_NS7_16discard_iteratorINS7_11use_defaultEEES9_S9_S9_S9_S9_S9_S9_S9_EEEESB_EEENSN_IJSM_SM_EEESB_PlJNSF_9not_fun_tINSF_14equal_to_valueISA_EEEEEEE10hipError_tPvRmT3_T4_T5_T6_T7_T9_mT8_P12ihipStream_tbDpT10_ENKUlT_T0_E_clISt17integral_constantIbLb1EES1J_EEDaS1E_S1F_EUlS1E_E_NS1_11comp_targetILNS1_3genE4ELNS1_11target_archE910ELNS1_3gpuE8ELNS1_3repE0EEENS1_30default_config_static_selectorELNS0_4arch9wavefront6targetE0EEEvT1_.has_indirect_call, 0
	.section	.AMDGPU.csdata,"",@progbits
; Kernel info:
; codeLenInByte = 0
; TotalNumSgprs: 0
; NumVgprs: 0
; ScratchSize: 0
; MemoryBound: 0
; FloatMode: 240
; IeeeMode: 1
; LDSByteSize: 0 bytes/workgroup (compile time only)
; SGPRBlocks: 0
; VGPRBlocks: 0
; NumSGPRsForWavesPerEU: 1
; NumVGPRsForWavesPerEU: 1
; Occupancy: 16
; WaveLimiterHint : 0
; COMPUTE_PGM_RSRC2:SCRATCH_EN: 0
; COMPUTE_PGM_RSRC2:USER_SGPR: 2
; COMPUTE_PGM_RSRC2:TRAP_HANDLER: 0
; COMPUTE_PGM_RSRC2:TGID_X_EN: 1
; COMPUTE_PGM_RSRC2:TGID_Y_EN: 0
; COMPUTE_PGM_RSRC2:TGID_Z_EN: 0
; COMPUTE_PGM_RSRC2:TIDIG_COMP_CNT: 0
	.section	.text._ZN7rocprim17ROCPRIM_400000_NS6detail17trampoline_kernelINS0_14default_configENS1_25partition_config_selectorILNS1_17partition_subalgoE6EN6thrust23THRUST_200600_302600_NS5tupleIffNS7_9null_typeES9_S9_S9_S9_S9_S9_S9_EENS0_10empty_typeEbEEZZNS1_14partition_implILS5_6ELb0ES3_mNS7_12zip_iteratorINS8_INS7_6detail15normal_iteratorINS7_10device_ptrIfEEEESJ_S9_S9_S9_S9_S9_S9_S9_S9_EEEEPSB_SM_NS0_5tupleIJNSE_INS8_ISJ_NS7_16discard_iteratorINS7_11use_defaultEEES9_S9_S9_S9_S9_S9_S9_S9_EEEESB_EEENSN_IJSM_SM_EEESB_PlJNSF_9not_fun_tINSF_14equal_to_valueISA_EEEEEEE10hipError_tPvRmT3_T4_T5_T6_T7_T9_mT8_P12ihipStream_tbDpT10_ENKUlT_T0_E_clISt17integral_constantIbLb1EES1J_EEDaS1E_S1F_EUlS1E_E_NS1_11comp_targetILNS1_3genE3ELNS1_11target_archE908ELNS1_3gpuE7ELNS1_3repE0EEENS1_30default_config_static_selectorELNS0_4arch9wavefront6targetE0EEEvT1_,"axG",@progbits,_ZN7rocprim17ROCPRIM_400000_NS6detail17trampoline_kernelINS0_14default_configENS1_25partition_config_selectorILNS1_17partition_subalgoE6EN6thrust23THRUST_200600_302600_NS5tupleIffNS7_9null_typeES9_S9_S9_S9_S9_S9_S9_EENS0_10empty_typeEbEEZZNS1_14partition_implILS5_6ELb0ES3_mNS7_12zip_iteratorINS8_INS7_6detail15normal_iteratorINS7_10device_ptrIfEEEESJ_S9_S9_S9_S9_S9_S9_S9_S9_EEEEPSB_SM_NS0_5tupleIJNSE_INS8_ISJ_NS7_16discard_iteratorINS7_11use_defaultEEES9_S9_S9_S9_S9_S9_S9_S9_EEEESB_EEENSN_IJSM_SM_EEESB_PlJNSF_9not_fun_tINSF_14equal_to_valueISA_EEEEEEE10hipError_tPvRmT3_T4_T5_T6_T7_T9_mT8_P12ihipStream_tbDpT10_ENKUlT_T0_E_clISt17integral_constantIbLb1EES1J_EEDaS1E_S1F_EUlS1E_E_NS1_11comp_targetILNS1_3genE3ELNS1_11target_archE908ELNS1_3gpuE7ELNS1_3repE0EEENS1_30default_config_static_selectorELNS0_4arch9wavefront6targetE0EEEvT1_,comdat
	.protected	_ZN7rocprim17ROCPRIM_400000_NS6detail17trampoline_kernelINS0_14default_configENS1_25partition_config_selectorILNS1_17partition_subalgoE6EN6thrust23THRUST_200600_302600_NS5tupleIffNS7_9null_typeES9_S9_S9_S9_S9_S9_S9_EENS0_10empty_typeEbEEZZNS1_14partition_implILS5_6ELb0ES3_mNS7_12zip_iteratorINS8_INS7_6detail15normal_iteratorINS7_10device_ptrIfEEEESJ_S9_S9_S9_S9_S9_S9_S9_S9_EEEEPSB_SM_NS0_5tupleIJNSE_INS8_ISJ_NS7_16discard_iteratorINS7_11use_defaultEEES9_S9_S9_S9_S9_S9_S9_S9_EEEESB_EEENSN_IJSM_SM_EEESB_PlJNSF_9not_fun_tINSF_14equal_to_valueISA_EEEEEEE10hipError_tPvRmT3_T4_T5_T6_T7_T9_mT8_P12ihipStream_tbDpT10_ENKUlT_T0_E_clISt17integral_constantIbLb1EES1J_EEDaS1E_S1F_EUlS1E_E_NS1_11comp_targetILNS1_3genE3ELNS1_11target_archE908ELNS1_3gpuE7ELNS1_3repE0EEENS1_30default_config_static_selectorELNS0_4arch9wavefront6targetE0EEEvT1_ ; -- Begin function _ZN7rocprim17ROCPRIM_400000_NS6detail17trampoline_kernelINS0_14default_configENS1_25partition_config_selectorILNS1_17partition_subalgoE6EN6thrust23THRUST_200600_302600_NS5tupleIffNS7_9null_typeES9_S9_S9_S9_S9_S9_S9_EENS0_10empty_typeEbEEZZNS1_14partition_implILS5_6ELb0ES3_mNS7_12zip_iteratorINS8_INS7_6detail15normal_iteratorINS7_10device_ptrIfEEEESJ_S9_S9_S9_S9_S9_S9_S9_S9_EEEEPSB_SM_NS0_5tupleIJNSE_INS8_ISJ_NS7_16discard_iteratorINS7_11use_defaultEEES9_S9_S9_S9_S9_S9_S9_S9_EEEESB_EEENSN_IJSM_SM_EEESB_PlJNSF_9not_fun_tINSF_14equal_to_valueISA_EEEEEEE10hipError_tPvRmT3_T4_T5_T6_T7_T9_mT8_P12ihipStream_tbDpT10_ENKUlT_T0_E_clISt17integral_constantIbLb1EES1J_EEDaS1E_S1F_EUlS1E_E_NS1_11comp_targetILNS1_3genE3ELNS1_11target_archE908ELNS1_3gpuE7ELNS1_3repE0EEENS1_30default_config_static_selectorELNS0_4arch9wavefront6targetE0EEEvT1_
	.globl	_ZN7rocprim17ROCPRIM_400000_NS6detail17trampoline_kernelINS0_14default_configENS1_25partition_config_selectorILNS1_17partition_subalgoE6EN6thrust23THRUST_200600_302600_NS5tupleIffNS7_9null_typeES9_S9_S9_S9_S9_S9_S9_EENS0_10empty_typeEbEEZZNS1_14partition_implILS5_6ELb0ES3_mNS7_12zip_iteratorINS8_INS7_6detail15normal_iteratorINS7_10device_ptrIfEEEESJ_S9_S9_S9_S9_S9_S9_S9_S9_EEEEPSB_SM_NS0_5tupleIJNSE_INS8_ISJ_NS7_16discard_iteratorINS7_11use_defaultEEES9_S9_S9_S9_S9_S9_S9_S9_EEEESB_EEENSN_IJSM_SM_EEESB_PlJNSF_9not_fun_tINSF_14equal_to_valueISA_EEEEEEE10hipError_tPvRmT3_T4_T5_T6_T7_T9_mT8_P12ihipStream_tbDpT10_ENKUlT_T0_E_clISt17integral_constantIbLb1EES1J_EEDaS1E_S1F_EUlS1E_E_NS1_11comp_targetILNS1_3genE3ELNS1_11target_archE908ELNS1_3gpuE7ELNS1_3repE0EEENS1_30default_config_static_selectorELNS0_4arch9wavefront6targetE0EEEvT1_
	.p2align	8
	.type	_ZN7rocprim17ROCPRIM_400000_NS6detail17trampoline_kernelINS0_14default_configENS1_25partition_config_selectorILNS1_17partition_subalgoE6EN6thrust23THRUST_200600_302600_NS5tupleIffNS7_9null_typeES9_S9_S9_S9_S9_S9_S9_EENS0_10empty_typeEbEEZZNS1_14partition_implILS5_6ELb0ES3_mNS7_12zip_iteratorINS8_INS7_6detail15normal_iteratorINS7_10device_ptrIfEEEESJ_S9_S9_S9_S9_S9_S9_S9_S9_EEEEPSB_SM_NS0_5tupleIJNSE_INS8_ISJ_NS7_16discard_iteratorINS7_11use_defaultEEES9_S9_S9_S9_S9_S9_S9_S9_EEEESB_EEENSN_IJSM_SM_EEESB_PlJNSF_9not_fun_tINSF_14equal_to_valueISA_EEEEEEE10hipError_tPvRmT3_T4_T5_T6_T7_T9_mT8_P12ihipStream_tbDpT10_ENKUlT_T0_E_clISt17integral_constantIbLb1EES1J_EEDaS1E_S1F_EUlS1E_E_NS1_11comp_targetILNS1_3genE3ELNS1_11target_archE908ELNS1_3gpuE7ELNS1_3repE0EEENS1_30default_config_static_selectorELNS0_4arch9wavefront6targetE0EEEvT1_,@function
_ZN7rocprim17ROCPRIM_400000_NS6detail17trampoline_kernelINS0_14default_configENS1_25partition_config_selectorILNS1_17partition_subalgoE6EN6thrust23THRUST_200600_302600_NS5tupleIffNS7_9null_typeES9_S9_S9_S9_S9_S9_S9_EENS0_10empty_typeEbEEZZNS1_14partition_implILS5_6ELb0ES3_mNS7_12zip_iteratorINS8_INS7_6detail15normal_iteratorINS7_10device_ptrIfEEEESJ_S9_S9_S9_S9_S9_S9_S9_S9_EEEEPSB_SM_NS0_5tupleIJNSE_INS8_ISJ_NS7_16discard_iteratorINS7_11use_defaultEEES9_S9_S9_S9_S9_S9_S9_S9_EEEESB_EEENSN_IJSM_SM_EEESB_PlJNSF_9not_fun_tINSF_14equal_to_valueISA_EEEEEEE10hipError_tPvRmT3_T4_T5_T6_T7_T9_mT8_P12ihipStream_tbDpT10_ENKUlT_T0_E_clISt17integral_constantIbLb1EES1J_EEDaS1E_S1F_EUlS1E_E_NS1_11comp_targetILNS1_3genE3ELNS1_11target_archE908ELNS1_3gpuE7ELNS1_3repE0EEENS1_30default_config_static_selectorELNS0_4arch9wavefront6targetE0EEEvT1_: ; @_ZN7rocprim17ROCPRIM_400000_NS6detail17trampoline_kernelINS0_14default_configENS1_25partition_config_selectorILNS1_17partition_subalgoE6EN6thrust23THRUST_200600_302600_NS5tupleIffNS7_9null_typeES9_S9_S9_S9_S9_S9_S9_EENS0_10empty_typeEbEEZZNS1_14partition_implILS5_6ELb0ES3_mNS7_12zip_iteratorINS8_INS7_6detail15normal_iteratorINS7_10device_ptrIfEEEESJ_S9_S9_S9_S9_S9_S9_S9_S9_EEEEPSB_SM_NS0_5tupleIJNSE_INS8_ISJ_NS7_16discard_iteratorINS7_11use_defaultEEES9_S9_S9_S9_S9_S9_S9_S9_EEEESB_EEENSN_IJSM_SM_EEESB_PlJNSF_9not_fun_tINSF_14equal_to_valueISA_EEEEEEE10hipError_tPvRmT3_T4_T5_T6_T7_T9_mT8_P12ihipStream_tbDpT10_ENKUlT_T0_E_clISt17integral_constantIbLb1EES1J_EEDaS1E_S1F_EUlS1E_E_NS1_11comp_targetILNS1_3genE3ELNS1_11target_archE908ELNS1_3gpuE7ELNS1_3repE0EEENS1_30default_config_static_selectorELNS0_4arch9wavefront6targetE0EEEvT1_
; %bb.0:
	.section	.rodata,"a",@progbits
	.p2align	6, 0x0
	.amdhsa_kernel _ZN7rocprim17ROCPRIM_400000_NS6detail17trampoline_kernelINS0_14default_configENS1_25partition_config_selectorILNS1_17partition_subalgoE6EN6thrust23THRUST_200600_302600_NS5tupleIffNS7_9null_typeES9_S9_S9_S9_S9_S9_S9_EENS0_10empty_typeEbEEZZNS1_14partition_implILS5_6ELb0ES3_mNS7_12zip_iteratorINS8_INS7_6detail15normal_iteratorINS7_10device_ptrIfEEEESJ_S9_S9_S9_S9_S9_S9_S9_S9_EEEEPSB_SM_NS0_5tupleIJNSE_INS8_ISJ_NS7_16discard_iteratorINS7_11use_defaultEEES9_S9_S9_S9_S9_S9_S9_S9_EEEESB_EEENSN_IJSM_SM_EEESB_PlJNSF_9not_fun_tINSF_14equal_to_valueISA_EEEEEEE10hipError_tPvRmT3_T4_T5_T6_T7_T9_mT8_P12ihipStream_tbDpT10_ENKUlT_T0_E_clISt17integral_constantIbLb1EES1J_EEDaS1E_S1F_EUlS1E_E_NS1_11comp_targetILNS1_3genE3ELNS1_11target_archE908ELNS1_3gpuE7ELNS1_3repE0EEENS1_30default_config_static_selectorELNS0_4arch9wavefront6targetE0EEEvT1_
		.amdhsa_group_segment_fixed_size 0
		.amdhsa_private_segment_fixed_size 0
		.amdhsa_kernarg_size 152
		.amdhsa_user_sgpr_count 2
		.amdhsa_user_sgpr_dispatch_ptr 0
		.amdhsa_user_sgpr_queue_ptr 0
		.amdhsa_user_sgpr_kernarg_segment_ptr 1
		.amdhsa_user_sgpr_dispatch_id 0
		.amdhsa_user_sgpr_private_segment_size 0
		.amdhsa_wavefront_size32 1
		.amdhsa_uses_dynamic_stack 0
		.amdhsa_enable_private_segment 0
		.amdhsa_system_sgpr_workgroup_id_x 1
		.amdhsa_system_sgpr_workgroup_id_y 0
		.amdhsa_system_sgpr_workgroup_id_z 0
		.amdhsa_system_sgpr_workgroup_info 0
		.amdhsa_system_vgpr_workitem_id 0
		.amdhsa_next_free_vgpr 1
		.amdhsa_next_free_sgpr 1
		.amdhsa_reserve_vcc 0
		.amdhsa_float_round_mode_32 0
		.amdhsa_float_round_mode_16_64 0
		.amdhsa_float_denorm_mode_32 3
		.amdhsa_float_denorm_mode_16_64 3
		.amdhsa_fp16_overflow 0
		.amdhsa_workgroup_processor_mode 1
		.amdhsa_memory_ordered 1
		.amdhsa_forward_progress 1
		.amdhsa_inst_pref_size 0
		.amdhsa_round_robin_scheduling 0
		.amdhsa_exception_fp_ieee_invalid_op 0
		.amdhsa_exception_fp_denorm_src 0
		.amdhsa_exception_fp_ieee_div_zero 0
		.amdhsa_exception_fp_ieee_overflow 0
		.amdhsa_exception_fp_ieee_underflow 0
		.amdhsa_exception_fp_ieee_inexact 0
		.amdhsa_exception_int_div_zero 0
	.end_amdhsa_kernel
	.section	.text._ZN7rocprim17ROCPRIM_400000_NS6detail17trampoline_kernelINS0_14default_configENS1_25partition_config_selectorILNS1_17partition_subalgoE6EN6thrust23THRUST_200600_302600_NS5tupleIffNS7_9null_typeES9_S9_S9_S9_S9_S9_S9_EENS0_10empty_typeEbEEZZNS1_14partition_implILS5_6ELb0ES3_mNS7_12zip_iteratorINS8_INS7_6detail15normal_iteratorINS7_10device_ptrIfEEEESJ_S9_S9_S9_S9_S9_S9_S9_S9_EEEEPSB_SM_NS0_5tupleIJNSE_INS8_ISJ_NS7_16discard_iteratorINS7_11use_defaultEEES9_S9_S9_S9_S9_S9_S9_S9_EEEESB_EEENSN_IJSM_SM_EEESB_PlJNSF_9not_fun_tINSF_14equal_to_valueISA_EEEEEEE10hipError_tPvRmT3_T4_T5_T6_T7_T9_mT8_P12ihipStream_tbDpT10_ENKUlT_T0_E_clISt17integral_constantIbLb1EES1J_EEDaS1E_S1F_EUlS1E_E_NS1_11comp_targetILNS1_3genE3ELNS1_11target_archE908ELNS1_3gpuE7ELNS1_3repE0EEENS1_30default_config_static_selectorELNS0_4arch9wavefront6targetE0EEEvT1_,"axG",@progbits,_ZN7rocprim17ROCPRIM_400000_NS6detail17trampoline_kernelINS0_14default_configENS1_25partition_config_selectorILNS1_17partition_subalgoE6EN6thrust23THRUST_200600_302600_NS5tupleIffNS7_9null_typeES9_S9_S9_S9_S9_S9_S9_EENS0_10empty_typeEbEEZZNS1_14partition_implILS5_6ELb0ES3_mNS7_12zip_iteratorINS8_INS7_6detail15normal_iteratorINS7_10device_ptrIfEEEESJ_S9_S9_S9_S9_S9_S9_S9_S9_EEEEPSB_SM_NS0_5tupleIJNSE_INS8_ISJ_NS7_16discard_iteratorINS7_11use_defaultEEES9_S9_S9_S9_S9_S9_S9_S9_EEEESB_EEENSN_IJSM_SM_EEESB_PlJNSF_9not_fun_tINSF_14equal_to_valueISA_EEEEEEE10hipError_tPvRmT3_T4_T5_T6_T7_T9_mT8_P12ihipStream_tbDpT10_ENKUlT_T0_E_clISt17integral_constantIbLb1EES1J_EEDaS1E_S1F_EUlS1E_E_NS1_11comp_targetILNS1_3genE3ELNS1_11target_archE908ELNS1_3gpuE7ELNS1_3repE0EEENS1_30default_config_static_selectorELNS0_4arch9wavefront6targetE0EEEvT1_,comdat
.Lfunc_end1864:
	.size	_ZN7rocprim17ROCPRIM_400000_NS6detail17trampoline_kernelINS0_14default_configENS1_25partition_config_selectorILNS1_17partition_subalgoE6EN6thrust23THRUST_200600_302600_NS5tupleIffNS7_9null_typeES9_S9_S9_S9_S9_S9_S9_EENS0_10empty_typeEbEEZZNS1_14partition_implILS5_6ELb0ES3_mNS7_12zip_iteratorINS8_INS7_6detail15normal_iteratorINS7_10device_ptrIfEEEESJ_S9_S9_S9_S9_S9_S9_S9_S9_EEEEPSB_SM_NS0_5tupleIJNSE_INS8_ISJ_NS7_16discard_iteratorINS7_11use_defaultEEES9_S9_S9_S9_S9_S9_S9_S9_EEEESB_EEENSN_IJSM_SM_EEESB_PlJNSF_9not_fun_tINSF_14equal_to_valueISA_EEEEEEE10hipError_tPvRmT3_T4_T5_T6_T7_T9_mT8_P12ihipStream_tbDpT10_ENKUlT_T0_E_clISt17integral_constantIbLb1EES1J_EEDaS1E_S1F_EUlS1E_E_NS1_11comp_targetILNS1_3genE3ELNS1_11target_archE908ELNS1_3gpuE7ELNS1_3repE0EEENS1_30default_config_static_selectorELNS0_4arch9wavefront6targetE0EEEvT1_, .Lfunc_end1864-_ZN7rocprim17ROCPRIM_400000_NS6detail17trampoline_kernelINS0_14default_configENS1_25partition_config_selectorILNS1_17partition_subalgoE6EN6thrust23THRUST_200600_302600_NS5tupleIffNS7_9null_typeES9_S9_S9_S9_S9_S9_S9_EENS0_10empty_typeEbEEZZNS1_14partition_implILS5_6ELb0ES3_mNS7_12zip_iteratorINS8_INS7_6detail15normal_iteratorINS7_10device_ptrIfEEEESJ_S9_S9_S9_S9_S9_S9_S9_S9_EEEEPSB_SM_NS0_5tupleIJNSE_INS8_ISJ_NS7_16discard_iteratorINS7_11use_defaultEEES9_S9_S9_S9_S9_S9_S9_S9_EEEESB_EEENSN_IJSM_SM_EEESB_PlJNSF_9not_fun_tINSF_14equal_to_valueISA_EEEEEEE10hipError_tPvRmT3_T4_T5_T6_T7_T9_mT8_P12ihipStream_tbDpT10_ENKUlT_T0_E_clISt17integral_constantIbLb1EES1J_EEDaS1E_S1F_EUlS1E_E_NS1_11comp_targetILNS1_3genE3ELNS1_11target_archE908ELNS1_3gpuE7ELNS1_3repE0EEENS1_30default_config_static_selectorELNS0_4arch9wavefront6targetE0EEEvT1_
                                        ; -- End function
	.set _ZN7rocprim17ROCPRIM_400000_NS6detail17trampoline_kernelINS0_14default_configENS1_25partition_config_selectorILNS1_17partition_subalgoE6EN6thrust23THRUST_200600_302600_NS5tupleIffNS7_9null_typeES9_S9_S9_S9_S9_S9_S9_EENS0_10empty_typeEbEEZZNS1_14partition_implILS5_6ELb0ES3_mNS7_12zip_iteratorINS8_INS7_6detail15normal_iteratorINS7_10device_ptrIfEEEESJ_S9_S9_S9_S9_S9_S9_S9_S9_EEEEPSB_SM_NS0_5tupleIJNSE_INS8_ISJ_NS7_16discard_iteratorINS7_11use_defaultEEES9_S9_S9_S9_S9_S9_S9_S9_EEEESB_EEENSN_IJSM_SM_EEESB_PlJNSF_9not_fun_tINSF_14equal_to_valueISA_EEEEEEE10hipError_tPvRmT3_T4_T5_T6_T7_T9_mT8_P12ihipStream_tbDpT10_ENKUlT_T0_E_clISt17integral_constantIbLb1EES1J_EEDaS1E_S1F_EUlS1E_E_NS1_11comp_targetILNS1_3genE3ELNS1_11target_archE908ELNS1_3gpuE7ELNS1_3repE0EEENS1_30default_config_static_selectorELNS0_4arch9wavefront6targetE0EEEvT1_.num_vgpr, 0
	.set _ZN7rocprim17ROCPRIM_400000_NS6detail17trampoline_kernelINS0_14default_configENS1_25partition_config_selectorILNS1_17partition_subalgoE6EN6thrust23THRUST_200600_302600_NS5tupleIffNS7_9null_typeES9_S9_S9_S9_S9_S9_S9_EENS0_10empty_typeEbEEZZNS1_14partition_implILS5_6ELb0ES3_mNS7_12zip_iteratorINS8_INS7_6detail15normal_iteratorINS7_10device_ptrIfEEEESJ_S9_S9_S9_S9_S9_S9_S9_S9_EEEEPSB_SM_NS0_5tupleIJNSE_INS8_ISJ_NS7_16discard_iteratorINS7_11use_defaultEEES9_S9_S9_S9_S9_S9_S9_S9_EEEESB_EEENSN_IJSM_SM_EEESB_PlJNSF_9not_fun_tINSF_14equal_to_valueISA_EEEEEEE10hipError_tPvRmT3_T4_T5_T6_T7_T9_mT8_P12ihipStream_tbDpT10_ENKUlT_T0_E_clISt17integral_constantIbLb1EES1J_EEDaS1E_S1F_EUlS1E_E_NS1_11comp_targetILNS1_3genE3ELNS1_11target_archE908ELNS1_3gpuE7ELNS1_3repE0EEENS1_30default_config_static_selectorELNS0_4arch9wavefront6targetE0EEEvT1_.num_agpr, 0
	.set _ZN7rocprim17ROCPRIM_400000_NS6detail17trampoline_kernelINS0_14default_configENS1_25partition_config_selectorILNS1_17partition_subalgoE6EN6thrust23THRUST_200600_302600_NS5tupleIffNS7_9null_typeES9_S9_S9_S9_S9_S9_S9_EENS0_10empty_typeEbEEZZNS1_14partition_implILS5_6ELb0ES3_mNS7_12zip_iteratorINS8_INS7_6detail15normal_iteratorINS7_10device_ptrIfEEEESJ_S9_S9_S9_S9_S9_S9_S9_S9_EEEEPSB_SM_NS0_5tupleIJNSE_INS8_ISJ_NS7_16discard_iteratorINS7_11use_defaultEEES9_S9_S9_S9_S9_S9_S9_S9_EEEESB_EEENSN_IJSM_SM_EEESB_PlJNSF_9not_fun_tINSF_14equal_to_valueISA_EEEEEEE10hipError_tPvRmT3_T4_T5_T6_T7_T9_mT8_P12ihipStream_tbDpT10_ENKUlT_T0_E_clISt17integral_constantIbLb1EES1J_EEDaS1E_S1F_EUlS1E_E_NS1_11comp_targetILNS1_3genE3ELNS1_11target_archE908ELNS1_3gpuE7ELNS1_3repE0EEENS1_30default_config_static_selectorELNS0_4arch9wavefront6targetE0EEEvT1_.numbered_sgpr, 0
	.set _ZN7rocprim17ROCPRIM_400000_NS6detail17trampoline_kernelINS0_14default_configENS1_25partition_config_selectorILNS1_17partition_subalgoE6EN6thrust23THRUST_200600_302600_NS5tupleIffNS7_9null_typeES9_S9_S9_S9_S9_S9_S9_EENS0_10empty_typeEbEEZZNS1_14partition_implILS5_6ELb0ES3_mNS7_12zip_iteratorINS8_INS7_6detail15normal_iteratorINS7_10device_ptrIfEEEESJ_S9_S9_S9_S9_S9_S9_S9_S9_EEEEPSB_SM_NS0_5tupleIJNSE_INS8_ISJ_NS7_16discard_iteratorINS7_11use_defaultEEES9_S9_S9_S9_S9_S9_S9_S9_EEEESB_EEENSN_IJSM_SM_EEESB_PlJNSF_9not_fun_tINSF_14equal_to_valueISA_EEEEEEE10hipError_tPvRmT3_T4_T5_T6_T7_T9_mT8_P12ihipStream_tbDpT10_ENKUlT_T0_E_clISt17integral_constantIbLb1EES1J_EEDaS1E_S1F_EUlS1E_E_NS1_11comp_targetILNS1_3genE3ELNS1_11target_archE908ELNS1_3gpuE7ELNS1_3repE0EEENS1_30default_config_static_selectorELNS0_4arch9wavefront6targetE0EEEvT1_.num_named_barrier, 0
	.set _ZN7rocprim17ROCPRIM_400000_NS6detail17trampoline_kernelINS0_14default_configENS1_25partition_config_selectorILNS1_17partition_subalgoE6EN6thrust23THRUST_200600_302600_NS5tupleIffNS7_9null_typeES9_S9_S9_S9_S9_S9_S9_EENS0_10empty_typeEbEEZZNS1_14partition_implILS5_6ELb0ES3_mNS7_12zip_iteratorINS8_INS7_6detail15normal_iteratorINS7_10device_ptrIfEEEESJ_S9_S9_S9_S9_S9_S9_S9_S9_EEEEPSB_SM_NS0_5tupleIJNSE_INS8_ISJ_NS7_16discard_iteratorINS7_11use_defaultEEES9_S9_S9_S9_S9_S9_S9_S9_EEEESB_EEENSN_IJSM_SM_EEESB_PlJNSF_9not_fun_tINSF_14equal_to_valueISA_EEEEEEE10hipError_tPvRmT3_T4_T5_T6_T7_T9_mT8_P12ihipStream_tbDpT10_ENKUlT_T0_E_clISt17integral_constantIbLb1EES1J_EEDaS1E_S1F_EUlS1E_E_NS1_11comp_targetILNS1_3genE3ELNS1_11target_archE908ELNS1_3gpuE7ELNS1_3repE0EEENS1_30default_config_static_selectorELNS0_4arch9wavefront6targetE0EEEvT1_.private_seg_size, 0
	.set _ZN7rocprim17ROCPRIM_400000_NS6detail17trampoline_kernelINS0_14default_configENS1_25partition_config_selectorILNS1_17partition_subalgoE6EN6thrust23THRUST_200600_302600_NS5tupleIffNS7_9null_typeES9_S9_S9_S9_S9_S9_S9_EENS0_10empty_typeEbEEZZNS1_14partition_implILS5_6ELb0ES3_mNS7_12zip_iteratorINS8_INS7_6detail15normal_iteratorINS7_10device_ptrIfEEEESJ_S9_S9_S9_S9_S9_S9_S9_S9_EEEEPSB_SM_NS0_5tupleIJNSE_INS8_ISJ_NS7_16discard_iteratorINS7_11use_defaultEEES9_S9_S9_S9_S9_S9_S9_S9_EEEESB_EEENSN_IJSM_SM_EEESB_PlJNSF_9not_fun_tINSF_14equal_to_valueISA_EEEEEEE10hipError_tPvRmT3_T4_T5_T6_T7_T9_mT8_P12ihipStream_tbDpT10_ENKUlT_T0_E_clISt17integral_constantIbLb1EES1J_EEDaS1E_S1F_EUlS1E_E_NS1_11comp_targetILNS1_3genE3ELNS1_11target_archE908ELNS1_3gpuE7ELNS1_3repE0EEENS1_30default_config_static_selectorELNS0_4arch9wavefront6targetE0EEEvT1_.uses_vcc, 0
	.set _ZN7rocprim17ROCPRIM_400000_NS6detail17trampoline_kernelINS0_14default_configENS1_25partition_config_selectorILNS1_17partition_subalgoE6EN6thrust23THRUST_200600_302600_NS5tupleIffNS7_9null_typeES9_S9_S9_S9_S9_S9_S9_EENS0_10empty_typeEbEEZZNS1_14partition_implILS5_6ELb0ES3_mNS7_12zip_iteratorINS8_INS7_6detail15normal_iteratorINS7_10device_ptrIfEEEESJ_S9_S9_S9_S9_S9_S9_S9_S9_EEEEPSB_SM_NS0_5tupleIJNSE_INS8_ISJ_NS7_16discard_iteratorINS7_11use_defaultEEES9_S9_S9_S9_S9_S9_S9_S9_EEEESB_EEENSN_IJSM_SM_EEESB_PlJNSF_9not_fun_tINSF_14equal_to_valueISA_EEEEEEE10hipError_tPvRmT3_T4_T5_T6_T7_T9_mT8_P12ihipStream_tbDpT10_ENKUlT_T0_E_clISt17integral_constantIbLb1EES1J_EEDaS1E_S1F_EUlS1E_E_NS1_11comp_targetILNS1_3genE3ELNS1_11target_archE908ELNS1_3gpuE7ELNS1_3repE0EEENS1_30default_config_static_selectorELNS0_4arch9wavefront6targetE0EEEvT1_.uses_flat_scratch, 0
	.set _ZN7rocprim17ROCPRIM_400000_NS6detail17trampoline_kernelINS0_14default_configENS1_25partition_config_selectorILNS1_17partition_subalgoE6EN6thrust23THRUST_200600_302600_NS5tupleIffNS7_9null_typeES9_S9_S9_S9_S9_S9_S9_EENS0_10empty_typeEbEEZZNS1_14partition_implILS5_6ELb0ES3_mNS7_12zip_iteratorINS8_INS7_6detail15normal_iteratorINS7_10device_ptrIfEEEESJ_S9_S9_S9_S9_S9_S9_S9_S9_EEEEPSB_SM_NS0_5tupleIJNSE_INS8_ISJ_NS7_16discard_iteratorINS7_11use_defaultEEES9_S9_S9_S9_S9_S9_S9_S9_EEEESB_EEENSN_IJSM_SM_EEESB_PlJNSF_9not_fun_tINSF_14equal_to_valueISA_EEEEEEE10hipError_tPvRmT3_T4_T5_T6_T7_T9_mT8_P12ihipStream_tbDpT10_ENKUlT_T0_E_clISt17integral_constantIbLb1EES1J_EEDaS1E_S1F_EUlS1E_E_NS1_11comp_targetILNS1_3genE3ELNS1_11target_archE908ELNS1_3gpuE7ELNS1_3repE0EEENS1_30default_config_static_selectorELNS0_4arch9wavefront6targetE0EEEvT1_.has_dyn_sized_stack, 0
	.set _ZN7rocprim17ROCPRIM_400000_NS6detail17trampoline_kernelINS0_14default_configENS1_25partition_config_selectorILNS1_17partition_subalgoE6EN6thrust23THRUST_200600_302600_NS5tupleIffNS7_9null_typeES9_S9_S9_S9_S9_S9_S9_EENS0_10empty_typeEbEEZZNS1_14partition_implILS5_6ELb0ES3_mNS7_12zip_iteratorINS8_INS7_6detail15normal_iteratorINS7_10device_ptrIfEEEESJ_S9_S9_S9_S9_S9_S9_S9_S9_EEEEPSB_SM_NS0_5tupleIJNSE_INS8_ISJ_NS7_16discard_iteratorINS7_11use_defaultEEES9_S9_S9_S9_S9_S9_S9_S9_EEEESB_EEENSN_IJSM_SM_EEESB_PlJNSF_9not_fun_tINSF_14equal_to_valueISA_EEEEEEE10hipError_tPvRmT3_T4_T5_T6_T7_T9_mT8_P12ihipStream_tbDpT10_ENKUlT_T0_E_clISt17integral_constantIbLb1EES1J_EEDaS1E_S1F_EUlS1E_E_NS1_11comp_targetILNS1_3genE3ELNS1_11target_archE908ELNS1_3gpuE7ELNS1_3repE0EEENS1_30default_config_static_selectorELNS0_4arch9wavefront6targetE0EEEvT1_.has_recursion, 0
	.set _ZN7rocprim17ROCPRIM_400000_NS6detail17trampoline_kernelINS0_14default_configENS1_25partition_config_selectorILNS1_17partition_subalgoE6EN6thrust23THRUST_200600_302600_NS5tupleIffNS7_9null_typeES9_S9_S9_S9_S9_S9_S9_EENS0_10empty_typeEbEEZZNS1_14partition_implILS5_6ELb0ES3_mNS7_12zip_iteratorINS8_INS7_6detail15normal_iteratorINS7_10device_ptrIfEEEESJ_S9_S9_S9_S9_S9_S9_S9_S9_EEEEPSB_SM_NS0_5tupleIJNSE_INS8_ISJ_NS7_16discard_iteratorINS7_11use_defaultEEES9_S9_S9_S9_S9_S9_S9_S9_EEEESB_EEENSN_IJSM_SM_EEESB_PlJNSF_9not_fun_tINSF_14equal_to_valueISA_EEEEEEE10hipError_tPvRmT3_T4_T5_T6_T7_T9_mT8_P12ihipStream_tbDpT10_ENKUlT_T0_E_clISt17integral_constantIbLb1EES1J_EEDaS1E_S1F_EUlS1E_E_NS1_11comp_targetILNS1_3genE3ELNS1_11target_archE908ELNS1_3gpuE7ELNS1_3repE0EEENS1_30default_config_static_selectorELNS0_4arch9wavefront6targetE0EEEvT1_.has_indirect_call, 0
	.section	.AMDGPU.csdata,"",@progbits
; Kernel info:
; codeLenInByte = 0
; TotalNumSgprs: 0
; NumVgprs: 0
; ScratchSize: 0
; MemoryBound: 0
; FloatMode: 240
; IeeeMode: 1
; LDSByteSize: 0 bytes/workgroup (compile time only)
; SGPRBlocks: 0
; VGPRBlocks: 0
; NumSGPRsForWavesPerEU: 1
; NumVGPRsForWavesPerEU: 1
; Occupancy: 16
; WaveLimiterHint : 0
; COMPUTE_PGM_RSRC2:SCRATCH_EN: 0
; COMPUTE_PGM_RSRC2:USER_SGPR: 2
; COMPUTE_PGM_RSRC2:TRAP_HANDLER: 0
; COMPUTE_PGM_RSRC2:TGID_X_EN: 1
; COMPUTE_PGM_RSRC2:TGID_Y_EN: 0
; COMPUTE_PGM_RSRC2:TGID_Z_EN: 0
; COMPUTE_PGM_RSRC2:TIDIG_COMP_CNT: 0
	.section	.text._ZN7rocprim17ROCPRIM_400000_NS6detail17trampoline_kernelINS0_14default_configENS1_25partition_config_selectorILNS1_17partition_subalgoE6EN6thrust23THRUST_200600_302600_NS5tupleIffNS7_9null_typeES9_S9_S9_S9_S9_S9_S9_EENS0_10empty_typeEbEEZZNS1_14partition_implILS5_6ELb0ES3_mNS7_12zip_iteratorINS8_INS7_6detail15normal_iteratorINS7_10device_ptrIfEEEESJ_S9_S9_S9_S9_S9_S9_S9_S9_EEEEPSB_SM_NS0_5tupleIJNSE_INS8_ISJ_NS7_16discard_iteratorINS7_11use_defaultEEES9_S9_S9_S9_S9_S9_S9_S9_EEEESB_EEENSN_IJSM_SM_EEESB_PlJNSF_9not_fun_tINSF_14equal_to_valueISA_EEEEEEE10hipError_tPvRmT3_T4_T5_T6_T7_T9_mT8_P12ihipStream_tbDpT10_ENKUlT_T0_E_clISt17integral_constantIbLb1EES1J_EEDaS1E_S1F_EUlS1E_E_NS1_11comp_targetILNS1_3genE2ELNS1_11target_archE906ELNS1_3gpuE6ELNS1_3repE0EEENS1_30default_config_static_selectorELNS0_4arch9wavefront6targetE0EEEvT1_,"axG",@progbits,_ZN7rocprim17ROCPRIM_400000_NS6detail17trampoline_kernelINS0_14default_configENS1_25partition_config_selectorILNS1_17partition_subalgoE6EN6thrust23THRUST_200600_302600_NS5tupleIffNS7_9null_typeES9_S9_S9_S9_S9_S9_S9_EENS0_10empty_typeEbEEZZNS1_14partition_implILS5_6ELb0ES3_mNS7_12zip_iteratorINS8_INS7_6detail15normal_iteratorINS7_10device_ptrIfEEEESJ_S9_S9_S9_S9_S9_S9_S9_S9_EEEEPSB_SM_NS0_5tupleIJNSE_INS8_ISJ_NS7_16discard_iteratorINS7_11use_defaultEEES9_S9_S9_S9_S9_S9_S9_S9_EEEESB_EEENSN_IJSM_SM_EEESB_PlJNSF_9not_fun_tINSF_14equal_to_valueISA_EEEEEEE10hipError_tPvRmT3_T4_T5_T6_T7_T9_mT8_P12ihipStream_tbDpT10_ENKUlT_T0_E_clISt17integral_constantIbLb1EES1J_EEDaS1E_S1F_EUlS1E_E_NS1_11comp_targetILNS1_3genE2ELNS1_11target_archE906ELNS1_3gpuE6ELNS1_3repE0EEENS1_30default_config_static_selectorELNS0_4arch9wavefront6targetE0EEEvT1_,comdat
	.protected	_ZN7rocprim17ROCPRIM_400000_NS6detail17trampoline_kernelINS0_14default_configENS1_25partition_config_selectorILNS1_17partition_subalgoE6EN6thrust23THRUST_200600_302600_NS5tupleIffNS7_9null_typeES9_S9_S9_S9_S9_S9_S9_EENS0_10empty_typeEbEEZZNS1_14partition_implILS5_6ELb0ES3_mNS7_12zip_iteratorINS8_INS7_6detail15normal_iteratorINS7_10device_ptrIfEEEESJ_S9_S9_S9_S9_S9_S9_S9_S9_EEEEPSB_SM_NS0_5tupleIJNSE_INS8_ISJ_NS7_16discard_iteratorINS7_11use_defaultEEES9_S9_S9_S9_S9_S9_S9_S9_EEEESB_EEENSN_IJSM_SM_EEESB_PlJNSF_9not_fun_tINSF_14equal_to_valueISA_EEEEEEE10hipError_tPvRmT3_T4_T5_T6_T7_T9_mT8_P12ihipStream_tbDpT10_ENKUlT_T0_E_clISt17integral_constantIbLb1EES1J_EEDaS1E_S1F_EUlS1E_E_NS1_11comp_targetILNS1_3genE2ELNS1_11target_archE906ELNS1_3gpuE6ELNS1_3repE0EEENS1_30default_config_static_selectorELNS0_4arch9wavefront6targetE0EEEvT1_ ; -- Begin function _ZN7rocprim17ROCPRIM_400000_NS6detail17trampoline_kernelINS0_14default_configENS1_25partition_config_selectorILNS1_17partition_subalgoE6EN6thrust23THRUST_200600_302600_NS5tupleIffNS7_9null_typeES9_S9_S9_S9_S9_S9_S9_EENS0_10empty_typeEbEEZZNS1_14partition_implILS5_6ELb0ES3_mNS7_12zip_iteratorINS8_INS7_6detail15normal_iteratorINS7_10device_ptrIfEEEESJ_S9_S9_S9_S9_S9_S9_S9_S9_EEEEPSB_SM_NS0_5tupleIJNSE_INS8_ISJ_NS7_16discard_iteratorINS7_11use_defaultEEES9_S9_S9_S9_S9_S9_S9_S9_EEEESB_EEENSN_IJSM_SM_EEESB_PlJNSF_9not_fun_tINSF_14equal_to_valueISA_EEEEEEE10hipError_tPvRmT3_T4_T5_T6_T7_T9_mT8_P12ihipStream_tbDpT10_ENKUlT_T0_E_clISt17integral_constantIbLb1EES1J_EEDaS1E_S1F_EUlS1E_E_NS1_11comp_targetILNS1_3genE2ELNS1_11target_archE906ELNS1_3gpuE6ELNS1_3repE0EEENS1_30default_config_static_selectorELNS0_4arch9wavefront6targetE0EEEvT1_
	.globl	_ZN7rocprim17ROCPRIM_400000_NS6detail17trampoline_kernelINS0_14default_configENS1_25partition_config_selectorILNS1_17partition_subalgoE6EN6thrust23THRUST_200600_302600_NS5tupleIffNS7_9null_typeES9_S9_S9_S9_S9_S9_S9_EENS0_10empty_typeEbEEZZNS1_14partition_implILS5_6ELb0ES3_mNS7_12zip_iteratorINS8_INS7_6detail15normal_iteratorINS7_10device_ptrIfEEEESJ_S9_S9_S9_S9_S9_S9_S9_S9_EEEEPSB_SM_NS0_5tupleIJNSE_INS8_ISJ_NS7_16discard_iteratorINS7_11use_defaultEEES9_S9_S9_S9_S9_S9_S9_S9_EEEESB_EEENSN_IJSM_SM_EEESB_PlJNSF_9not_fun_tINSF_14equal_to_valueISA_EEEEEEE10hipError_tPvRmT3_T4_T5_T6_T7_T9_mT8_P12ihipStream_tbDpT10_ENKUlT_T0_E_clISt17integral_constantIbLb1EES1J_EEDaS1E_S1F_EUlS1E_E_NS1_11comp_targetILNS1_3genE2ELNS1_11target_archE906ELNS1_3gpuE6ELNS1_3repE0EEENS1_30default_config_static_selectorELNS0_4arch9wavefront6targetE0EEEvT1_
	.p2align	8
	.type	_ZN7rocprim17ROCPRIM_400000_NS6detail17trampoline_kernelINS0_14default_configENS1_25partition_config_selectorILNS1_17partition_subalgoE6EN6thrust23THRUST_200600_302600_NS5tupleIffNS7_9null_typeES9_S9_S9_S9_S9_S9_S9_EENS0_10empty_typeEbEEZZNS1_14partition_implILS5_6ELb0ES3_mNS7_12zip_iteratorINS8_INS7_6detail15normal_iteratorINS7_10device_ptrIfEEEESJ_S9_S9_S9_S9_S9_S9_S9_S9_EEEEPSB_SM_NS0_5tupleIJNSE_INS8_ISJ_NS7_16discard_iteratorINS7_11use_defaultEEES9_S9_S9_S9_S9_S9_S9_S9_EEEESB_EEENSN_IJSM_SM_EEESB_PlJNSF_9not_fun_tINSF_14equal_to_valueISA_EEEEEEE10hipError_tPvRmT3_T4_T5_T6_T7_T9_mT8_P12ihipStream_tbDpT10_ENKUlT_T0_E_clISt17integral_constantIbLb1EES1J_EEDaS1E_S1F_EUlS1E_E_NS1_11comp_targetILNS1_3genE2ELNS1_11target_archE906ELNS1_3gpuE6ELNS1_3repE0EEENS1_30default_config_static_selectorELNS0_4arch9wavefront6targetE0EEEvT1_,@function
_ZN7rocprim17ROCPRIM_400000_NS6detail17trampoline_kernelINS0_14default_configENS1_25partition_config_selectorILNS1_17partition_subalgoE6EN6thrust23THRUST_200600_302600_NS5tupleIffNS7_9null_typeES9_S9_S9_S9_S9_S9_S9_EENS0_10empty_typeEbEEZZNS1_14partition_implILS5_6ELb0ES3_mNS7_12zip_iteratorINS8_INS7_6detail15normal_iteratorINS7_10device_ptrIfEEEESJ_S9_S9_S9_S9_S9_S9_S9_S9_EEEEPSB_SM_NS0_5tupleIJNSE_INS8_ISJ_NS7_16discard_iteratorINS7_11use_defaultEEES9_S9_S9_S9_S9_S9_S9_S9_EEEESB_EEENSN_IJSM_SM_EEESB_PlJNSF_9not_fun_tINSF_14equal_to_valueISA_EEEEEEE10hipError_tPvRmT3_T4_T5_T6_T7_T9_mT8_P12ihipStream_tbDpT10_ENKUlT_T0_E_clISt17integral_constantIbLb1EES1J_EEDaS1E_S1F_EUlS1E_E_NS1_11comp_targetILNS1_3genE2ELNS1_11target_archE906ELNS1_3gpuE6ELNS1_3repE0EEENS1_30default_config_static_selectorELNS0_4arch9wavefront6targetE0EEEvT1_: ; @_ZN7rocprim17ROCPRIM_400000_NS6detail17trampoline_kernelINS0_14default_configENS1_25partition_config_selectorILNS1_17partition_subalgoE6EN6thrust23THRUST_200600_302600_NS5tupleIffNS7_9null_typeES9_S9_S9_S9_S9_S9_S9_EENS0_10empty_typeEbEEZZNS1_14partition_implILS5_6ELb0ES3_mNS7_12zip_iteratorINS8_INS7_6detail15normal_iteratorINS7_10device_ptrIfEEEESJ_S9_S9_S9_S9_S9_S9_S9_S9_EEEEPSB_SM_NS0_5tupleIJNSE_INS8_ISJ_NS7_16discard_iteratorINS7_11use_defaultEEES9_S9_S9_S9_S9_S9_S9_S9_EEEESB_EEENSN_IJSM_SM_EEESB_PlJNSF_9not_fun_tINSF_14equal_to_valueISA_EEEEEEE10hipError_tPvRmT3_T4_T5_T6_T7_T9_mT8_P12ihipStream_tbDpT10_ENKUlT_T0_E_clISt17integral_constantIbLb1EES1J_EEDaS1E_S1F_EUlS1E_E_NS1_11comp_targetILNS1_3genE2ELNS1_11target_archE906ELNS1_3gpuE6ELNS1_3repE0EEENS1_30default_config_static_selectorELNS0_4arch9wavefront6targetE0EEEvT1_
; %bb.0:
	.section	.rodata,"a",@progbits
	.p2align	6, 0x0
	.amdhsa_kernel _ZN7rocprim17ROCPRIM_400000_NS6detail17trampoline_kernelINS0_14default_configENS1_25partition_config_selectorILNS1_17partition_subalgoE6EN6thrust23THRUST_200600_302600_NS5tupleIffNS7_9null_typeES9_S9_S9_S9_S9_S9_S9_EENS0_10empty_typeEbEEZZNS1_14partition_implILS5_6ELb0ES3_mNS7_12zip_iteratorINS8_INS7_6detail15normal_iteratorINS7_10device_ptrIfEEEESJ_S9_S9_S9_S9_S9_S9_S9_S9_EEEEPSB_SM_NS0_5tupleIJNSE_INS8_ISJ_NS7_16discard_iteratorINS7_11use_defaultEEES9_S9_S9_S9_S9_S9_S9_S9_EEEESB_EEENSN_IJSM_SM_EEESB_PlJNSF_9not_fun_tINSF_14equal_to_valueISA_EEEEEEE10hipError_tPvRmT3_T4_T5_T6_T7_T9_mT8_P12ihipStream_tbDpT10_ENKUlT_T0_E_clISt17integral_constantIbLb1EES1J_EEDaS1E_S1F_EUlS1E_E_NS1_11comp_targetILNS1_3genE2ELNS1_11target_archE906ELNS1_3gpuE6ELNS1_3repE0EEENS1_30default_config_static_selectorELNS0_4arch9wavefront6targetE0EEEvT1_
		.amdhsa_group_segment_fixed_size 0
		.amdhsa_private_segment_fixed_size 0
		.amdhsa_kernarg_size 152
		.amdhsa_user_sgpr_count 2
		.amdhsa_user_sgpr_dispatch_ptr 0
		.amdhsa_user_sgpr_queue_ptr 0
		.amdhsa_user_sgpr_kernarg_segment_ptr 1
		.amdhsa_user_sgpr_dispatch_id 0
		.amdhsa_user_sgpr_private_segment_size 0
		.amdhsa_wavefront_size32 1
		.amdhsa_uses_dynamic_stack 0
		.amdhsa_enable_private_segment 0
		.amdhsa_system_sgpr_workgroup_id_x 1
		.amdhsa_system_sgpr_workgroup_id_y 0
		.amdhsa_system_sgpr_workgroup_id_z 0
		.amdhsa_system_sgpr_workgroup_info 0
		.amdhsa_system_vgpr_workitem_id 0
		.amdhsa_next_free_vgpr 1
		.amdhsa_next_free_sgpr 1
		.amdhsa_reserve_vcc 0
		.amdhsa_float_round_mode_32 0
		.amdhsa_float_round_mode_16_64 0
		.amdhsa_float_denorm_mode_32 3
		.amdhsa_float_denorm_mode_16_64 3
		.amdhsa_fp16_overflow 0
		.amdhsa_workgroup_processor_mode 1
		.amdhsa_memory_ordered 1
		.amdhsa_forward_progress 1
		.amdhsa_inst_pref_size 0
		.amdhsa_round_robin_scheduling 0
		.amdhsa_exception_fp_ieee_invalid_op 0
		.amdhsa_exception_fp_denorm_src 0
		.amdhsa_exception_fp_ieee_div_zero 0
		.amdhsa_exception_fp_ieee_overflow 0
		.amdhsa_exception_fp_ieee_underflow 0
		.amdhsa_exception_fp_ieee_inexact 0
		.amdhsa_exception_int_div_zero 0
	.end_amdhsa_kernel
	.section	.text._ZN7rocprim17ROCPRIM_400000_NS6detail17trampoline_kernelINS0_14default_configENS1_25partition_config_selectorILNS1_17partition_subalgoE6EN6thrust23THRUST_200600_302600_NS5tupleIffNS7_9null_typeES9_S9_S9_S9_S9_S9_S9_EENS0_10empty_typeEbEEZZNS1_14partition_implILS5_6ELb0ES3_mNS7_12zip_iteratorINS8_INS7_6detail15normal_iteratorINS7_10device_ptrIfEEEESJ_S9_S9_S9_S9_S9_S9_S9_S9_EEEEPSB_SM_NS0_5tupleIJNSE_INS8_ISJ_NS7_16discard_iteratorINS7_11use_defaultEEES9_S9_S9_S9_S9_S9_S9_S9_EEEESB_EEENSN_IJSM_SM_EEESB_PlJNSF_9not_fun_tINSF_14equal_to_valueISA_EEEEEEE10hipError_tPvRmT3_T4_T5_T6_T7_T9_mT8_P12ihipStream_tbDpT10_ENKUlT_T0_E_clISt17integral_constantIbLb1EES1J_EEDaS1E_S1F_EUlS1E_E_NS1_11comp_targetILNS1_3genE2ELNS1_11target_archE906ELNS1_3gpuE6ELNS1_3repE0EEENS1_30default_config_static_selectorELNS0_4arch9wavefront6targetE0EEEvT1_,"axG",@progbits,_ZN7rocprim17ROCPRIM_400000_NS6detail17trampoline_kernelINS0_14default_configENS1_25partition_config_selectorILNS1_17partition_subalgoE6EN6thrust23THRUST_200600_302600_NS5tupleIffNS7_9null_typeES9_S9_S9_S9_S9_S9_S9_EENS0_10empty_typeEbEEZZNS1_14partition_implILS5_6ELb0ES3_mNS7_12zip_iteratorINS8_INS7_6detail15normal_iteratorINS7_10device_ptrIfEEEESJ_S9_S9_S9_S9_S9_S9_S9_S9_EEEEPSB_SM_NS0_5tupleIJNSE_INS8_ISJ_NS7_16discard_iteratorINS7_11use_defaultEEES9_S9_S9_S9_S9_S9_S9_S9_EEEESB_EEENSN_IJSM_SM_EEESB_PlJNSF_9not_fun_tINSF_14equal_to_valueISA_EEEEEEE10hipError_tPvRmT3_T4_T5_T6_T7_T9_mT8_P12ihipStream_tbDpT10_ENKUlT_T0_E_clISt17integral_constantIbLb1EES1J_EEDaS1E_S1F_EUlS1E_E_NS1_11comp_targetILNS1_3genE2ELNS1_11target_archE906ELNS1_3gpuE6ELNS1_3repE0EEENS1_30default_config_static_selectorELNS0_4arch9wavefront6targetE0EEEvT1_,comdat
.Lfunc_end1865:
	.size	_ZN7rocprim17ROCPRIM_400000_NS6detail17trampoline_kernelINS0_14default_configENS1_25partition_config_selectorILNS1_17partition_subalgoE6EN6thrust23THRUST_200600_302600_NS5tupleIffNS7_9null_typeES9_S9_S9_S9_S9_S9_S9_EENS0_10empty_typeEbEEZZNS1_14partition_implILS5_6ELb0ES3_mNS7_12zip_iteratorINS8_INS7_6detail15normal_iteratorINS7_10device_ptrIfEEEESJ_S9_S9_S9_S9_S9_S9_S9_S9_EEEEPSB_SM_NS0_5tupleIJNSE_INS8_ISJ_NS7_16discard_iteratorINS7_11use_defaultEEES9_S9_S9_S9_S9_S9_S9_S9_EEEESB_EEENSN_IJSM_SM_EEESB_PlJNSF_9not_fun_tINSF_14equal_to_valueISA_EEEEEEE10hipError_tPvRmT3_T4_T5_T6_T7_T9_mT8_P12ihipStream_tbDpT10_ENKUlT_T0_E_clISt17integral_constantIbLb1EES1J_EEDaS1E_S1F_EUlS1E_E_NS1_11comp_targetILNS1_3genE2ELNS1_11target_archE906ELNS1_3gpuE6ELNS1_3repE0EEENS1_30default_config_static_selectorELNS0_4arch9wavefront6targetE0EEEvT1_, .Lfunc_end1865-_ZN7rocprim17ROCPRIM_400000_NS6detail17trampoline_kernelINS0_14default_configENS1_25partition_config_selectorILNS1_17partition_subalgoE6EN6thrust23THRUST_200600_302600_NS5tupleIffNS7_9null_typeES9_S9_S9_S9_S9_S9_S9_EENS0_10empty_typeEbEEZZNS1_14partition_implILS5_6ELb0ES3_mNS7_12zip_iteratorINS8_INS7_6detail15normal_iteratorINS7_10device_ptrIfEEEESJ_S9_S9_S9_S9_S9_S9_S9_S9_EEEEPSB_SM_NS0_5tupleIJNSE_INS8_ISJ_NS7_16discard_iteratorINS7_11use_defaultEEES9_S9_S9_S9_S9_S9_S9_S9_EEEESB_EEENSN_IJSM_SM_EEESB_PlJNSF_9not_fun_tINSF_14equal_to_valueISA_EEEEEEE10hipError_tPvRmT3_T4_T5_T6_T7_T9_mT8_P12ihipStream_tbDpT10_ENKUlT_T0_E_clISt17integral_constantIbLb1EES1J_EEDaS1E_S1F_EUlS1E_E_NS1_11comp_targetILNS1_3genE2ELNS1_11target_archE906ELNS1_3gpuE6ELNS1_3repE0EEENS1_30default_config_static_selectorELNS0_4arch9wavefront6targetE0EEEvT1_
                                        ; -- End function
	.set _ZN7rocprim17ROCPRIM_400000_NS6detail17trampoline_kernelINS0_14default_configENS1_25partition_config_selectorILNS1_17partition_subalgoE6EN6thrust23THRUST_200600_302600_NS5tupleIffNS7_9null_typeES9_S9_S9_S9_S9_S9_S9_EENS0_10empty_typeEbEEZZNS1_14partition_implILS5_6ELb0ES3_mNS7_12zip_iteratorINS8_INS7_6detail15normal_iteratorINS7_10device_ptrIfEEEESJ_S9_S9_S9_S9_S9_S9_S9_S9_EEEEPSB_SM_NS0_5tupleIJNSE_INS8_ISJ_NS7_16discard_iteratorINS7_11use_defaultEEES9_S9_S9_S9_S9_S9_S9_S9_EEEESB_EEENSN_IJSM_SM_EEESB_PlJNSF_9not_fun_tINSF_14equal_to_valueISA_EEEEEEE10hipError_tPvRmT3_T4_T5_T6_T7_T9_mT8_P12ihipStream_tbDpT10_ENKUlT_T0_E_clISt17integral_constantIbLb1EES1J_EEDaS1E_S1F_EUlS1E_E_NS1_11comp_targetILNS1_3genE2ELNS1_11target_archE906ELNS1_3gpuE6ELNS1_3repE0EEENS1_30default_config_static_selectorELNS0_4arch9wavefront6targetE0EEEvT1_.num_vgpr, 0
	.set _ZN7rocprim17ROCPRIM_400000_NS6detail17trampoline_kernelINS0_14default_configENS1_25partition_config_selectorILNS1_17partition_subalgoE6EN6thrust23THRUST_200600_302600_NS5tupleIffNS7_9null_typeES9_S9_S9_S9_S9_S9_S9_EENS0_10empty_typeEbEEZZNS1_14partition_implILS5_6ELb0ES3_mNS7_12zip_iteratorINS8_INS7_6detail15normal_iteratorINS7_10device_ptrIfEEEESJ_S9_S9_S9_S9_S9_S9_S9_S9_EEEEPSB_SM_NS0_5tupleIJNSE_INS8_ISJ_NS7_16discard_iteratorINS7_11use_defaultEEES9_S9_S9_S9_S9_S9_S9_S9_EEEESB_EEENSN_IJSM_SM_EEESB_PlJNSF_9not_fun_tINSF_14equal_to_valueISA_EEEEEEE10hipError_tPvRmT3_T4_T5_T6_T7_T9_mT8_P12ihipStream_tbDpT10_ENKUlT_T0_E_clISt17integral_constantIbLb1EES1J_EEDaS1E_S1F_EUlS1E_E_NS1_11comp_targetILNS1_3genE2ELNS1_11target_archE906ELNS1_3gpuE6ELNS1_3repE0EEENS1_30default_config_static_selectorELNS0_4arch9wavefront6targetE0EEEvT1_.num_agpr, 0
	.set _ZN7rocprim17ROCPRIM_400000_NS6detail17trampoline_kernelINS0_14default_configENS1_25partition_config_selectorILNS1_17partition_subalgoE6EN6thrust23THRUST_200600_302600_NS5tupleIffNS7_9null_typeES9_S9_S9_S9_S9_S9_S9_EENS0_10empty_typeEbEEZZNS1_14partition_implILS5_6ELb0ES3_mNS7_12zip_iteratorINS8_INS7_6detail15normal_iteratorINS7_10device_ptrIfEEEESJ_S9_S9_S9_S9_S9_S9_S9_S9_EEEEPSB_SM_NS0_5tupleIJNSE_INS8_ISJ_NS7_16discard_iteratorINS7_11use_defaultEEES9_S9_S9_S9_S9_S9_S9_S9_EEEESB_EEENSN_IJSM_SM_EEESB_PlJNSF_9not_fun_tINSF_14equal_to_valueISA_EEEEEEE10hipError_tPvRmT3_T4_T5_T6_T7_T9_mT8_P12ihipStream_tbDpT10_ENKUlT_T0_E_clISt17integral_constantIbLb1EES1J_EEDaS1E_S1F_EUlS1E_E_NS1_11comp_targetILNS1_3genE2ELNS1_11target_archE906ELNS1_3gpuE6ELNS1_3repE0EEENS1_30default_config_static_selectorELNS0_4arch9wavefront6targetE0EEEvT1_.numbered_sgpr, 0
	.set _ZN7rocprim17ROCPRIM_400000_NS6detail17trampoline_kernelINS0_14default_configENS1_25partition_config_selectorILNS1_17partition_subalgoE6EN6thrust23THRUST_200600_302600_NS5tupleIffNS7_9null_typeES9_S9_S9_S9_S9_S9_S9_EENS0_10empty_typeEbEEZZNS1_14partition_implILS5_6ELb0ES3_mNS7_12zip_iteratorINS8_INS7_6detail15normal_iteratorINS7_10device_ptrIfEEEESJ_S9_S9_S9_S9_S9_S9_S9_S9_EEEEPSB_SM_NS0_5tupleIJNSE_INS8_ISJ_NS7_16discard_iteratorINS7_11use_defaultEEES9_S9_S9_S9_S9_S9_S9_S9_EEEESB_EEENSN_IJSM_SM_EEESB_PlJNSF_9not_fun_tINSF_14equal_to_valueISA_EEEEEEE10hipError_tPvRmT3_T4_T5_T6_T7_T9_mT8_P12ihipStream_tbDpT10_ENKUlT_T0_E_clISt17integral_constantIbLb1EES1J_EEDaS1E_S1F_EUlS1E_E_NS1_11comp_targetILNS1_3genE2ELNS1_11target_archE906ELNS1_3gpuE6ELNS1_3repE0EEENS1_30default_config_static_selectorELNS0_4arch9wavefront6targetE0EEEvT1_.num_named_barrier, 0
	.set _ZN7rocprim17ROCPRIM_400000_NS6detail17trampoline_kernelINS0_14default_configENS1_25partition_config_selectorILNS1_17partition_subalgoE6EN6thrust23THRUST_200600_302600_NS5tupleIffNS7_9null_typeES9_S9_S9_S9_S9_S9_S9_EENS0_10empty_typeEbEEZZNS1_14partition_implILS5_6ELb0ES3_mNS7_12zip_iteratorINS8_INS7_6detail15normal_iteratorINS7_10device_ptrIfEEEESJ_S9_S9_S9_S9_S9_S9_S9_S9_EEEEPSB_SM_NS0_5tupleIJNSE_INS8_ISJ_NS7_16discard_iteratorINS7_11use_defaultEEES9_S9_S9_S9_S9_S9_S9_S9_EEEESB_EEENSN_IJSM_SM_EEESB_PlJNSF_9not_fun_tINSF_14equal_to_valueISA_EEEEEEE10hipError_tPvRmT3_T4_T5_T6_T7_T9_mT8_P12ihipStream_tbDpT10_ENKUlT_T0_E_clISt17integral_constantIbLb1EES1J_EEDaS1E_S1F_EUlS1E_E_NS1_11comp_targetILNS1_3genE2ELNS1_11target_archE906ELNS1_3gpuE6ELNS1_3repE0EEENS1_30default_config_static_selectorELNS0_4arch9wavefront6targetE0EEEvT1_.private_seg_size, 0
	.set _ZN7rocprim17ROCPRIM_400000_NS6detail17trampoline_kernelINS0_14default_configENS1_25partition_config_selectorILNS1_17partition_subalgoE6EN6thrust23THRUST_200600_302600_NS5tupleIffNS7_9null_typeES9_S9_S9_S9_S9_S9_S9_EENS0_10empty_typeEbEEZZNS1_14partition_implILS5_6ELb0ES3_mNS7_12zip_iteratorINS8_INS7_6detail15normal_iteratorINS7_10device_ptrIfEEEESJ_S9_S9_S9_S9_S9_S9_S9_S9_EEEEPSB_SM_NS0_5tupleIJNSE_INS8_ISJ_NS7_16discard_iteratorINS7_11use_defaultEEES9_S9_S9_S9_S9_S9_S9_S9_EEEESB_EEENSN_IJSM_SM_EEESB_PlJNSF_9not_fun_tINSF_14equal_to_valueISA_EEEEEEE10hipError_tPvRmT3_T4_T5_T6_T7_T9_mT8_P12ihipStream_tbDpT10_ENKUlT_T0_E_clISt17integral_constantIbLb1EES1J_EEDaS1E_S1F_EUlS1E_E_NS1_11comp_targetILNS1_3genE2ELNS1_11target_archE906ELNS1_3gpuE6ELNS1_3repE0EEENS1_30default_config_static_selectorELNS0_4arch9wavefront6targetE0EEEvT1_.uses_vcc, 0
	.set _ZN7rocprim17ROCPRIM_400000_NS6detail17trampoline_kernelINS0_14default_configENS1_25partition_config_selectorILNS1_17partition_subalgoE6EN6thrust23THRUST_200600_302600_NS5tupleIffNS7_9null_typeES9_S9_S9_S9_S9_S9_S9_EENS0_10empty_typeEbEEZZNS1_14partition_implILS5_6ELb0ES3_mNS7_12zip_iteratorINS8_INS7_6detail15normal_iteratorINS7_10device_ptrIfEEEESJ_S9_S9_S9_S9_S9_S9_S9_S9_EEEEPSB_SM_NS0_5tupleIJNSE_INS8_ISJ_NS7_16discard_iteratorINS7_11use_defaultEEES9_S9_S9_S9_S9_S9_S9_S9_EEEESB_EEENSN_IJSM_SM_EEESB_PlJNSF_9not_fun_tINSF_14equal_to_valueISA_EEEEEEE10hipError_tPvRmT3_T4_T5_T6_T7_T9_mT8_P12ihipStream_tbDpT10_ENKUlT_T0_E_clISt17integral_constantIbLb1EES1J_EEDaS1E_S1F_EUlS1E_E_NS1_11comp_targetILNS1_3genE2ELNS1_11target_archE906ELNS1_3gpuE6ELNS1_3repE0EEENS1_30default_config_static_selectorELNS0_4arch9wavefront6targetE0EEEvT1_.uses_flat_scratch, 0
	.set _ZN7rocprim17ROCPRIM_400000_NS6detail17trampoline_kernelINS0_14default_configENS1_25partition_config_selectorILNS1_17partition_subalgoE6EN6thrust23THRUST_200600_302600_NS5tupleIffNS7_9null_typeES9_S9_S9_S9_S9_S9_S9_EENS0_10empty_typeEbEEZZNS1_14partition_implILS5_6ELb0ES3_mNS7_12zip_iteratorINS8_INS7_6detail15normal_iteratorINS7_10device_ptrIfEEEESJ_S9_S9_S9_S9_S9_S9_S9_S9_EEEEPSB_SM_NS0_5tupleIJNSE_INS8_ISJ_NS7_16discard_iteratorINS7_11use_defaultEEES9_S9_S9_S9_S9_S9_S9_S9_EEEESB_EEENSN_IJSM_SM_EEESB_PlJNSF_9not_fun_tINSF_14equal_to_valueISA_EEEEEEE10hipError_tPvRmT3_T4_T5_T6_T7_T9_mT8_P12ihipStream_tbDpT10_ENKUlT_T0_E_clISt17integral_constantIbLb1EES1J_EEDaS1E_S1F_EUlS1E_E_NS1_11comp_targetILNS1_3genE2ELNS1_11target_archE906ELNS1_3gpuE6ELNS1_3repE0EEENS1_30default_config_static_selectorELNS0_4arch9wavefront6targetE0EEEvT1_.has_dyn_sized_stack, 0
	.set _ZN7rocprim17ROCPRIM_400000_NS6detail17trampoline_kernelINS0_14default_configENS1_25partition_config_selectorILNS1_17partition_subalgoE6EN6thrust23THRUST_200600_302600_NS5tupleIffNS7_9null_typeES9_S9_S9_S9_S9_S9_S9_EENS0_10empty_typeEbEEZZNS1_14partition_implILS5_6ELb0ES3_mNS7_12zip_iteratorINS8_INS7_6detail15normal_iteratorINS7_10device_ptrIfEEEESJ_S9_S9_S9_S9_S9_S9_S9_S9_EEEEPSB_SM_NS0_5tupleIJNSE_INS8_ISJ_NS7_16discard_iteratorINS7_11use_defaultEEES9_S9_S9_S9_S9_S9_S9_S9_EEEESB_EEENSN_IJSM_SM_EEESB_PlJNSF_9not_fun_tINSF_14equal_to_valueISA_EEEEEEE10hipError_tPvRmT3_T4_T5_T6_T7_T9_mT8_P12ihipStream_tbDpT10_ENKUlT_T0_E_clISt17integral_constantIbLb1EES1J_EEDaS1E_S1F_EUlS1E_E_NS1_11comp_targetILNS1_3genE2ELNS1_11target_archE906ELNS1_3gpuE6ELNS1_3repE0EEENS1_30default_config_static_selectorELNS0_4arch9wavefront6targetE0EEEvT1_.has_recursion, 0
	.set _ZN7rocprim17ROCPRIM_400000_NS6detail17trampoline_kernelINS0_14default_configENS1_25partition_config_selectorILNS1_17partition_subalgoE6EN6thrust23THRUST_200600_302600_NS5tupleIffNS7_9null_typeES9_S9_S9_S9_S9_S9_S9_EENS0_10empty_typeEbEEZZNS1_14partition_implILS5_6ELb0ES3_mNS7_12zip_iteratorINS8_INS7_6detail15normal_iteratorINS7_10device_ptrIfEEEESJ_S9_S9_S9_S9_S9_S9_S9_S9_EEEEPSB_SM_NS0_5tupleIJNSE_INS8_ISJ_NS7_16discard_iteratorINS7_11use_defaultEEES9_S9_S9_S9_S9_S9_S9_S9_EEEESB_EEENSN_IJSM_SM_EEESB_PlJNSF_9not_fun_tINSF_14equal_to_valueISA_EEEEEEE10hipError_tPvRmT3_T4_T5_T6_T7_T9_mT8_P12ihipStream_tbDpT10_ENKUlT_T0_E_clISt17integral_constantIbLb1EES1J_EEDaS1E_S1F_EUlS1E_E_NS1_11comp_targetILNS1_3genE2ELNS1_11target_archE906ELNS1_3gpuE6ELNS1_3repE0EEENS1_30default_config_static_selectorELNS0_4arch9wavefront6targetE0EEEvT1_.has_indirect_call, 0
	.section	.AMDGPU.csdata,"",@progbits
; Kernel info:
; codeLenInByte = 0
; TotalNumSgprs: 0
; NumVgprs: 0
; ScratchSize: 0
; MemoryBound: 0
; FloatMode: 240
; IeeeMode: 1
; LDSByteSize: 0 bytes/workgroup (compile time only)
; SGPRBlocks: 0
; VGPRBlocks: 0
; NumSGPRsForWavesPerEU: 1
; NumVGPRsForWavesPerEU: 1
; Occupancy: 16
; WaveLimiterHint : 0
; COMPUTE_PGM_RSRC2:SCRATCH_EN: 0
; COMPUTE_PGM_RSRC2:USER_SGPR: 2
; COMPUTE_PGM_RSRC2:TRAP_HANDLER: 0
; COMPUTE_PGM_RSRC2:TGID_X_EN: 1
; COMPUTE_PGM_RSRC2:TGID_Y_EN: 0
; COMPUTE_PGM_RSRC2:TGID_Z_EN: 0
; COMPUTE_PGM_RSRC2:TIDIG_COMP_CNT: 0
	.section	.text._ZN7rocprim17ROCPRIM_400000_NS6detail17trampoline_kernelINS0_14default_configENS1_25partition_config_selectorILNS1_17partition_subalgoE6EN6thrust23THRUST_200600_302600_NS5tupleIffNS7_9null_typeES9_S9_S9_S9_S9_S9_S9_EENS0_10empty_typeEbEEZZNS1_14partition_implILS5_6ELb0ES3_mNS7_12zip_iteratorINS8_INS7_6detail15normal_iteratorINS7_10device_ptrIfEEEESJ_S9_S9_S9_S9_S9_S9_S9_S9_EEEEPSB_SM_NS0_5tupleIJNSE_INS8_ISJ_NS7_16discard_iteratorINS7_11use_defaultEEES9_S9_S9_S9_S9_S9_S9_S9_EEEESB_EEENSN_IJSM_SM_EEESB_PlJNSF_9not_fun_tINSF_14equal_to_valueISA_EEEEEEE10hipError_tPvRmT3_T4_T5_T6_T7_T9_mT8_P12ihipStream_tbDpT10_ENKUlT_T0_E_clISt17integral_constantIbLb1EES1J_EEDaS1E_S1F_EUlS1E_E_NS1_11comp_targetILNS1_3genE10ELNS1_11target_archE1200ELNS1_3gpuE4ELNS1_3repE0EEENS1_30default_config_static_selectorELNS0_4arch9wavefront6targetE0EEEvT1_,"axG",@progbits,_ZN7rocprim17ROCPRIM_400000_NS6detail17trampoline_kernelINS0_14default_configENS1_25partition_config_selectorILNS1_17partition_subalgoE6EN6thrust23THRUST_200600_302600_NS5tupleIffNS7_9null_typeES9_S9_S9_S9_S9_S9_S9_EENS0_10empty_typeEbEEZZNS1_14partition_implILS5_6ELb0ES3_mNS7_12zip_iteratorINS8_INS7_6detail15normal_iteratorINS7_10device_ptrIfEEEESJ_S9_S9_S9_S9_S9_S9_S9_S9_EEEEPSB_SM_NS0_5tupleIJNSE_INS8_ISJ_NS7_16discard_iteratorINS7_11use_defaultEEES9_S9_S9_S9_S9_S9_S9_S9_EEEESB_EEENSN_IJSM_SM_EEESB_PlJNSF_9not_fun_tINSF_14equal_to_valueISA_EEEEEEE10hipError_tPvRmT3_T4_T5_T6_T7_T9_mT8_P12ihipStream_tbDpT10_ENKUlT_T0_E_clISt17integral_constantIbLb1EES1J_EEDaS1E_S1F_EUlS1E_E_NS1_11comp_targetILNS1_3genE10ELNS1_11target_archE1200ELNS1_3gpuE4ELNS1_3repE0EEENS1_30default_config_static_selectorELNS0_4arch9wavefront6targetE0EEEvT1_,comdat
	.protected	_ZN7rocprim17ROCPRIM_400000_NS6detail17trampoline_kernelINS0_14default_configENS1_25partition_config_selectorILNS1_17partition_subalgoE6EN6thrust23THRUST_200600_302600_NS5tupleIffNS7_9null_typeES9_S9_S9_S9_S9_S9_S9_EENS0_10empty_typeEbEEZZNS1_14partition_implILS5_6ELb0ES3_mNS7_12zip_iteratorINS8_INS7_6detail15normal_iteratorINS7_10device_ptrIfEEEESJ_S9_S9_S9_S9_S9_S9_S9_S9_EEEEPSB_SM_NS0_5tupleIJNSE_INS8_ISJ_NS7_16discard_iteratorINS7_11use_defaultEEES9_S9_S9_S9_S9_S9_S9_S9_EEEESB_EEENSN_IJSM_SM_EEESB_PlJNSF_9not_fun_tINSF_14equal_to_valueISA_EEEEEEE10hipError_tPvRmT3_T4_T5_T6_T7_T9_mT8_P12ihipStream_tbDpT10_ENKUlT_T0_E_clISt17integral_constantIbLb1EES1J_EEDaS1E_S1F_EUlS1E_E_NS1_11comp_targetILNS1_3genE10ELNS1_11target_archE1200ELNS1_3gpuE4ELNS1_3repE0EEENS1_30default_config_static_selectorELNS0_4arch9wavefront6targetE0EEEvT1_ ; -- Begin function _ZN7rocprim17ROCPRIM_400000_NS6detail17trampoline_kernelINS0_14default_configENS1_25partition_config_selectorILNS1_17partition_subalgoE6EN6thrust23THRUST_200600_302600_NS5tupleIffNS7_9null_typeES9_S9_S9_S9_S9_S9_S9_EENS0_10empty_typeEbEEZZNS1_14partition_implILS5_6ELb0ES3_mNS7_12zip_iteratorINS8_INS7_6detail15normal_iteratorINS7_10device_ptrIfEEEESJ_S9_S9_S9_S9_S9_S9_S9_S9_EEEEPSB_SM_NS0_5tupleIJNSE_INS8_ISJ_NS7_16discard_iteratorINS7_11use_defaultEEES9_S9_S9_S9_S9_S9_S9_S9_EEEESB_EEENSN_IJSM_SM_EEESB_PlJNSF_9not_fun_tINSF_14equal_to_valueISA_EEEEEEE10hipError_tPvRmT3_T4_T5_T6_T7_T9_mT8_P12ihipStream_tbDpT10_ENKUlT_T0_E_clISt17integral_constantIbLb1EES1J_EEDaS1E_S1F_EUlS1E_E_NS1_11comp_targetILNS1_3genE10ELNS1_11target_archE1200ELNS1_3gpuE4ELNS1_3repE0EEENS1_30default_config_static_selectorELNS0_4arch9wavefront6targetE0EEEvT1_
	.globl	_ZN7rocprim17ROCPRIM_400000_NS6detail17trampoline_kernelINS0_14default_configENS1_25partition_config_selectorILNS1_17partition_subalgoE6EN6thrust23THRUST_200600_302600_NS5tupleIffNS7_9null_typeES9_S9_S9_S9_S9_S9_S9_EENS0_10empty_typeEbEEZZNS1_14partition_implILS5_6ELb0ES3_mNS7_12zip_iteratorINS8_INS7_6detail15normal_iteratorINS7_10device_ptrIfEEEESJ_S9_S9_S9_S9_S9_S9_S9_S9_EEEEPSB_SM_NS0_5tupleIJNSE_INS8_ISJ_NS7_16discard_iteratorINS7_11use_defaultEEES9_S9_S9_S9_S9_S9_S9_S9_EEEESB_EEENSN_IJSM_SM_EEESB_PlJNSF_9not_fun_tINSF_14equal_to_valueISA_EEEEEEE10hipError_tPvRmT3_T4_T5_T6_T7_T9_mT8_P12ihipStream_tbDpT10_ENKUlT_T0_E_clISt17integral_constantIbLb1EES1J_EEDaS1E_S1F_EUlS1E_E_NS1_11comp_targetILNS1_3genE10ELNS1_11target_archE1200ELNS1_3gpuE4ELNS1_3repE0EEENS1_30default_config_static_selectorELNS0_4arch9wavefront6targetE0EEEvT1_
	.p2align	8
	.type	_ZN7rocprim17ROCPRIM_400000_NS6detail17trampoline_kernelINS0_14default_configENS1_25partition_config_selectorILNS1_17partition_subalgoE6EN6thrust23THRUST_200600_302600_NS5tupleIffNS7_9null_typeES9_S9_S9_S9_S9_S9_S9_EENS0_10empty_typeEbEEZZNS1_14partition_implILS5_6ELb0ES3_mNS7_12zip_iteratorINS8_INS7_6detail15normal_iteratorINS7_10device_ptrIfEEEESJ_S9_S9_S9_S9_S9_S9_S9_S9_EEEEPSB_SM_NS0_5tupleIJNSE_INS8_ISJ_NS7_16discard_iteratorINS7_11use_defaultEEES9_S9_S9_S9_S9_S9_S9_S9_EEEESB_EEENSN_IJSM_SM_EEESB_PlJNSF_9not_fun_tINSF_14equal_to_valueISA_EEEEEEE10hipError_tPvRmT3_T4_T5_T6_T7_T9_mT8_P12ihipStream_tbDpT10_ENKUlT_T0_E_clISt17integral_constantIbLb1EES1J_EEDaS1E_S1F_EUlS1E_E_NS1_11comp_targetILNS1_3genE10ELNS1_11target_archE1200ELNS1_3gpuE4ELNS1_3repE0EEENS1_30default_config_static_selectorELNS0_4arch9wavefront6targetE0EEEvT1_,@function
_ZN7rocprim17ROCPRIM_400000_NS6detail17trampoline_kernelINS0_14default_configENS1_25partition_config_selectorILNS1_17partition_subalgoE6EN6thrust23THRUST_200600_302600_NS5tupleIffNS7_9null_typeES9_S9_S9_S9_S9_S9_S9_EENS0_10empty_typeEbEEZZNS1_14partition_implILS5_6ELb0ES3_mNS7_12zip_iteratorINS8_INS7_6detail15normal_iteratorINS7_10device_ptrIfEEEESJ_S9_S9_S9_S9_S9_S9_S9_S9_EEEEPSB_SM_NS0_5tupleIJNSE_INS8_ISJ_NS7_16discard_iteratorINS7_11use_defaultEEES9_S9_S9_S9_S9_S9_S9_S9_EEEESB_EEENSN_IJSM_SM_EEESB_PlJNSF_9not_fun_tINSF_14equal_to_valueISA_EEEEEEE10hipError_tPvRmT3_T4_T5_T6_T7_T9_mT8_P12ihipStream_tbDpT10_ENKUlT_T0_E_clISt17integral_constantIbLb1EES1J_EEDaS1E_S1F_EUlS1E_E_NS1_11comp_targetILNS1_3genE10ELNS1_11target_archE1200ELNS1_3gpuE4ELNS1_3repE0EEENS1_30default_config_static_selectorELNS0_4arch9wavefront6targetE0EEEvT1_: ; @_ZN7rocprim17ROCPRIM_400000_NS6detail17trampoline_kernelINS0_14default_configENS1_25partition_config_selectorILNS1_17partition_subalgoE6EN6thrust23THRUST_200600_302600_NS5tupleIffNS7_9null_typeES9_S9_S9_S9_S9_S9_S9_EENS0_10empty_typeEbEEZZNS1_14partition_implILS5_6ELb0ES3_mNS7_12zip_iteratorINS8_INS7_6detail15normal_iteratorINS7_10device_ptrIfEEEESJ_S9_S9_S9_S9_S9_S9_S9_S9_EEEEPSB_SM_NS0_5tupleIJNSE_INS8_ISJ_NS7_16discard_iteratorINS7_11use_defaultEEES9_S9_S9_S9_S9_S9_S9_S9_EEEESB_EEENSN_IJSM_SM_EEESB_PlJNSF_9not_fun_tINSF_14equal_to_valueISA_EEEEEEE10hipError_tPvRmT3_T4_T5_T6_T7_T9_mT8_P12ihipStream_tbDpT10_ENKUlT_T0_E_clISt17integral_constantIbLb1EES1J_EEDaS1E_S1F_EUlS1E_E_NS1_11comp_targetILNS1_3genE10ELNS1_11target_archE1200ELNS1_3gpuE4ELNS1_3repE0EEENS1_30default_config_static_selectorELNS0_4arch9wavefront6targetE0EEEvT1_
; %bb.0:
	s_endpgm
	.section	.rodata,"a",@progbits
	.p2align	6, 0x0
	.amdhsa_kernel _ZN7rocprim17ROCPRIM_400000_NS6detail17trampoline_kernelINS0_14default_configENS1_25partition_config_selectorILNS1_17partition_subalgoE6EN6thrust23THRUST_200600_302600_NS5tupleIffNS7_9null_typeES9_S9_S9_S9_S9_S9_S9_EENS0_10empty_typeEbEEZZNS1_14partition_implILS5_6ELb0ES3_mNS7_12zip_iteratorINS8_INS7_6detail15normal_iteratorINS7_10device_ptrIfEEEESJ_S9_S9_S9_S9_S9_S9_S9_S9_EEEEPSB_SM_NS0_5tupleIJNSE_INS8_ISJ_NS7_16discard_iteratorINS7_11use_defaultEEES9_S9_S9_S9_S9_S9_S9_S9_EEEESB_EEENSN_IJSM_SM_EEESB_PlJNSF_9not_fun_tINSF_14equal_to_valueISA_EEEEEEE10hipError_tPvRmT3_T4_T5_T6_T7_T9_mT8_P12ihipStream_tbDpT10_ENKUlT_T0_E_clISt17integral_constantIbLb1EES1J_EEDaS1E_S1F_EUlS1E_E_NS1_11comp_targetILNS1_3genE10ELNS1_11target_archE1200ELNS1_3gpuE4ELNS1_3repE0EEENS1_30default_config_static_selectorELNS0_4arch9wavefront6targetE0EEEvT1_
		.amdhsa_group_segment_fixed_size 0
		.amdhsa_private_segment_fixed_size 0
		.amdhsa_kernarg_size 152
		.amdhsa_user_sgpr_count 2
		.amdhsa_user_sgpr_dispatch_ptr 0
		.amdhsa_user_sgpr_queue_ptr 0
		.amdhsa_user_sgpr_kernarg_segment_ptr 1
		.amdhsa_user_sgpr_dispatch_id 0
		.amdhsa_user_sgpr_private_segment_size 0
		.amdhsa_wavefront_size32 1
		.amdhsa_uses_dynamic_stack 0
		.amdhsa_enable_private_segment 0
		.amdhsa_system_sgpr_workgroup_id_x 1
		.amdhsa_system_sgpr_workgroup_id_y 0
		.amdhsa_system_sgpr_workgroup_id_z 0
		.amdhsa_system_sgpr_workgroup_info 0
		.amdhsa_system_vgpr_workitem_id 0
		.amdhsa_next_free_vgpr 1
		.amdhsa_next_free_sgpr 1
		.amdhsa_reserve_vcc 0
		.amdhsa_float_round_mode_32 0
		.amdhsa_float_round_mode_16_64 0
		.amdhsa_float_denorm_mode_32 3
		.amdhsa_float_denorm_mode_16_64 3
		.amdhsa_fp16_overflow 0
		.amdhsa_workgroup_processor_mode 1
		.amdhsa_memory_ordered 1
		.amdhsa_forward_progress 1
		.amdhsa_inst_pref_size 1
		.amdhsa_round_robin_scheduling 0
		.amdhsa_exception_fp_ieee_invalid_op 0
		.amdhsa_exception_fp_denorm_src 0
		.amdhsa_exception_fp_ieee_div_zero 0
		.amdhsa_exception_fp_ieee_overflow 0
		.amdhsa_exception_fp_ieee_underflow 0
		.amdhsa_exception_fp_ieee_inexact 0
		.amdhsa_exception_int_div_zero 0
	.end_amdhsa_kernel
	.section	.text._ZN7rocprim17ROCPRIM_400000_NS6detail17trampoline_kernelINS0_14default_configENS1_25partition_config_selectorILNS1_17partition_subalgoE6EN6thrust23THRUST_200600_302600_NS5tupleIffNS7_9null_typeES9_S9_S9_S9_S9_S9_S9_EENS0_10empty_typeEbEEZZNS1_14partition_implILS5_6ELb0ES3_mNS7_12zip_iteratorINS8_INS7_6detail15normal_iteratorINS7_10device_ptrIfEEEESJ_S9_S9_S9_S9_S9_S9_S9_S9_EEEEPSB_SM_NS0_5tupleIJNSE_INS8_ISJ_NS7_16discard_iteratorINS7_11use_defaultEEES9_S9_S9_S9_S9_S9_S9_S9_EEEESB_EEENSN_IJSM_SM_EEESB_PlJNSF_9not_fun_tINSF_14equal_to_valueISA_EEEEEEE10hipError_tPvRmT3_T4_T5_T6_T7_T9_mT8_P12ihipStream_tbDpT10_ENKUlT_T0_E_clISt17integral_constantIbLb1EES1J_EEDaS1E_S1F_EUlS1E_E_NS1_11comp_targetILNS1_3genE10ELNS1_11target_archE1200ELNS1_3gpuE4ELNS1_3repE0EEENS1_30default_config_static_selectorELNS0_4arch9wavefront6targetE0EEEvT1_,"axG",@progbits,_ZN7rocprim17ROCPRIM_400000_NS6detail17trampoline_kernelINS0_14default_configENS1_25partition_config_selectorILNS1_17partition_subalgoE6EN6thrust23THRUST_200600_302600_NS5tupleIffNS7_9null_typeES9_S9_S9_S9_S9_S9_S9_EENS0_10empty_typeEbEEZZNS1_14partition_implILS5_6ELb0ES3_mNS7_12zip_iteratorINS8_INS7_6detail15normal_iteratorINS7_10device_ptrIfEEEESJ_S9_S9_S9_S9_S9_S9_S9_S9_EEEEPSB_SM_NS0_5tupleIJNSE_INS8_ISJ_NS7_16discard_iteratorINS7_11use_defaultEEES9_S9_S9_S9_S9_S9_S9_S9_EEEESB_EEENSN_IJSM_SM_EEESB_PlJNSF_9not_fun_tINSF_14equal_to_valueISA_EEEEEEE10hipError_tPvRmT3_T4_T5_T6_T7_T9_mT8_P12ihipStream_tbDpT10_ENKUlT_T0_E_clISt17integral_constantIbLb1EES1J_EEDaS1E_S1F_EUlS1E_E_NS1_11comp_targetILNS1_3genE10ELNS1_11target_archE1200ELNS1_3gpuE4ELNS1_3repE0EEENS1_30default_config_static_selectorELNS0_4arch9wavefront6targetE0EEEvT1_,comdat
.Lfunc_end1866:
	.size	_ZN7rocprim17ROCPRIM_400000_NS6detail17trampoline_kernelINS0_14default_configENS1_25partition_config_selectorILNS1_17partition_subalgoE6EN6thrust23THRUST_200600_302600_NS5tupleIffNS7_9null_typeES9_S9_S9_S9_S9_S9_S9_EENS0_10empty_typeEbEEZZNS1_14partition_implILS5_6ELb0ES3_mNS7_12zip_iteratorINS8_INS7_6detail15normal_iteratorINS7_10device_ptrIfEEEESJ_S9_S9_S9_S9_S9_S9_S9_S9_EEEEPSB_SM_NS0_5tupleIJNSE_INS8_ISJ_NS7_16discard_iteratorINS7_11use_defaultEEES9_S9_S9_S9_S9_S9_S9_S9_EEEESB_EEENSN_IJSM_SM_EEESB_PlJNSF_9not_fun_tINSF_14equal_to_valueISA_EEEEEEE10hipError_tPvRmT3_T4_T5_T6_T7_T9_mT8_P12ihipStream_tbDpT10_ENKUlT_T0_E_clISt17integral_constantIbLb1EES1J_EEDaS1E_S1F_EUlS1E_E_NS1_11comp_targetILNS1_3genE10ELNS1_11target_archE1200ELNS1_3gpuE4ELNS1_3repE0EEENS1_30default_config_static_selectorELNS0_4arch9wavefront6targetE0EEEvT1_, .Lfunc_end1866-_ZN7rocprim17ROCPRIM_400000_NS6detail17trampoline_kernelINS0_14default_configENS1_25partition_config_selectorILNS1_17partition_subalgoE6EN6thrust23THRUST_200600_302600_NS5tupleIffNS7_9null_typeES9_S9_S9_S9_S9_S9_S9_EENS0_10empty_typeEbEEZZNS1_14partition_implILS5_6ELb0ES3_mNS7_12zip_iteratorINS8_INS7_6detail15normal_iteratorINS7_10device_ptrIfEEEESJ_S9_S9_S9_S9_S9_S9_S9_S9_EEEEPSB_SM_NS0_5tupleIJNSE_INS8_ISJ_NS7_16discard_iteratorINS7_11use_defaultEEES9_S9_S9_S9_S9_S9_S9_S9_EEEESB_EEENSN_IJSM_SM_EEESB_PlJNSF_9not_fun_tINSF_14equal_to_valueISA_EEEEEEE10hipError_tPvRmT3_T4_T5_T6_T7_T9_mT8_P12ihipStream_tbDpT10_ENKUlT_T0_E_clISt17integral_constantIbLb1EES1J_EEDaS1E_S1F_EUlS1E_E_NS1_11comp_targetILNS1_3genE10ELNS1_11target_archE1200ELNS1_3gpuE4ELNS1_3repE0EEENS1_30default_config_static_selectorELNS0_4arch9wavefront6targetE0EEEvT1_
                                        ; -- End function
	.set _ZN7rocprim17ROCPRIM_400000_NS6detail17trampoline_kernelINS0_14default_configENS1_25partition_config_selectorILNS1_17partition_subalgoE6EN6thrust23THRUST_200600_302600_NS5tupleIffNS7_9null_typeES9_S9_S9_S9_S9_S9_S9_EENS0_10empty_typeEbEEZZNS1_14partition_implILS5_6ELb0ES3_mNS7_12zip_iteratorINS8_INS7_6detail15normal_iteratorINS7_10device_ptrIfEEEESJ_S9_S9_S9_S9_S9_S9_S9_S9_EEEEPSB_SM_NS0_5tupleIJNSE_INS8_ISJ_NS7_16discard_iteratorINS7_11use_defaultEEES9_S9_S9_S9_S9_S9_S9_S9_EEEESB_EEENSN_IJSM_SM_EEESB_PlJNSF_9not_fun_tINSF_14equal_to_valueISA_EEEEEEE10hipError_tPvRmT3_T4_T5_T6_T7_T9_mT8_P12ihipStream_tbDpT10_ENKUlT_T0_E_clISt17integral_constantIbLb1EES1J_EEDaS1E_S1F_EUlS1E_E_NS1_11comp_targetILNS1_3genE10ELNS1_11target_archE1200ELNS1_3gpuE4ELNS1_3repE0EEENS1_30default_config_static_selectorELNS0_4arch9wavefront6targetE0EEEvT1_.num_vgpr, 0
	.set _ZN7rocprim17ROCPRIM_400000_NS6detail17trampoline_kernelINS0_14default_configENS1_25partition_config_selectorILNS1_17partition_subalgoE6EN6thrust23THRUST_200600_302600_NS5tupleIffNS7_9null_typeES9_S9_S9_S9_S9_S9_S9_EENS0_10empty_typeEbEEZZNS1_14partition_implILS5_6ELb0ES3_mNS7_12zip_iteratorINS8_INS7_6detail15normal_iteratorINS7_10device_ptrIfEEEESJ_S9_S9_S9_S9_S9_S9_S9_S9_EEEEPSB_SM_NS0_5tupleIJNSE_INS8_ISJ_NS7_16discard_iteratorINS7_11use_defaultEEES9_S9_S9_S9_S9_S9_S9_S9_EEEESB_EEENSN_IJSM_SM_EEESB_PlJNSF_9not_fun_tINSF_14equal_to_valueISA_EEEEEEE10hipError_tPvRmT3_T4_T5_T6_T7_T9_mT8_P12ihipStream_tbDpT10_ENKUlT_T0_E_clISt17integral_constantIbLb1EES1J_EEDaS1E_S1F_EUlS1E_E_NS1_11comp_targetILNS1_3genE10ELNS1_11target_archE1200ELNS1_3gpuE4ELNS1_3repE0EEENS1_30default_config_static_selectorELNS0_4arch9wavefront6targetE0EEEvT1_.num_agpr, 0
	.set _ZN7rocprim17ROCPRIM_400000_NS6detail17trampoline_kernelINS0_14default_configENS1_25partition_config_selectorILNS1_17partition_subalgoE6EN6thrust23THRUST_200600_302600_NS5tupleIffNS7_9null_typeES9_S9_S9_S9_S9_S9_S9_EENS0_10empty_typeEbEEZZNS1_14partition_implILS5_6ELb0ES3_mNS7_12zip_iteratorINS8_INS7_6detail15normal_iteratorINS7_10device_ptrIfEEEESJ_S9_S9_S9_S9_S9_S9_S9_S9_EEEEPSB_SM_NS0_5tupleIJNSE_INS8_ISJ_NS7_16discard_iteratorINS7_11use_defaultEEES9_S9_S9_S9_S9_S9_S9_S9_EEEESB_EEENSN_IJSM_SM_EEESB_PlJNSF_9not_fun_tINSF_14equal_to_valueISA_EEEEEEE10hipError_tPvRmT3_T4_T5_T6_T7_T9_mT8_P12ihipStream_tbDpT10_ENKUlT_T0_E_clISt17integral_constantIbLb1EES1J_EEDaS1E_S1F_EUlS1E_E_NS1_11comp_targetILNS1_3genE10ELNS1_11target_archE1200ELNS1_3gpuE4ELNS1_3repE0EEENS1_30default_config_static_selectorELNS0_4arch9wavefront6targetE0EEEvT1_.numbered_sgpr, 0
	.set _ZN7rocprim17ROCPRIM_400000_NS6detail17trampoline_kernelINS0_14default_configENS1_25partition_config_selectorILNS1_17partition_subalgoE6EN6thrust23THRUST_200600_302600_NS5tupleIffNS7_9null_typeES9_S9_S9_S9_S9_S9_S9_EENS0_10empty_typeEbEEZZNS1_14partition_implILS5_6ELb0ES3_mNS7_12zip_iteratorINS8_INS7_6detail15normal_iteratorINS7_10device_ptrIfEEEESJ_S9_S9_S9_S9_S9_S9_S9_S9_EEEEPSB_SM_NS0_5tupleIJNSE_INS8_ISJ_NS7_16discard_iteratorINS7_11use_defaultEEES9_S9_S9_S9_S9_S9_S9_S9_EEEESB_EEENSN_IJSM_SM_EEESB_PlJNSF_9not_fun_tINSF_14equal_to_valueISA_EEEEEEE10hipError_tPvRmT3_T4_T5_T6_T7_T9_mT8_P12ihipStream_tbDpT10_ENKUlT_T0_E_clISt17integral_constantIbLb1EES1J_EEDaS1E_S1F_EUlS1E_E_NS1_11comp_targetILNS1_3genE10ELNS1_11target_archE1200ELNS1_3gpuE4ELNS1_3repE0EEENS1_30default_config_static_selectorELNS0_4arch9wavefront6targetE0EEEvT1_.num_named_barrier, 0
	.set _ZN7rocprim17ROCPRIM_400000_NS6detail17trampoline_kernelINS0_14default_configENS1_25partition_config_selectorILNS1_17partition_subalgoE6EN6thrust23THRUST_200600_302600_NS5tupleIffNS7_9null_typeES9_S9_S9_S9_S9_S9_S9_EENS0_10empty_typeEbEEZZNS1_14partition_implILS5_6ELb0ES3_mNS7_12zip_iteratorINS8_INS7_6detail15normal_iteratorINS7_10device_ptrIfEEEESJ_S9_S9_S9_S9_S9_S9_S9_S9_EEEEPSB_SM_NS0_5tupleIJNSE_INS8_ISJ_NS7_16discard_iteratorINS7_11use_defaultEEES9_S9_S9_S9_S9_S9_S9_S9_EEEESB_EEENSN_IJSM_SM_EEESB_PlJNSF_9not_fun_tINSF_14equal_to_valueISA_EEEEEEE10hipError_tPvRmT3_T4_T5_T6_T7_T9_mT8_P12ihipStream_tbDpT10_ENKUlT_T0_E_clISt17integral_constantIbLb1EES1J_EEDaS1E_S1F_EUlS1E_E_NS1_11comp_targetILNS1_3genE10ELNS1_11target_archE1200ELNS1_3gpuE4ELNS1_3repE0EEENS1_30default_config_static_selectorELNS0_4arch9wavefront6targetE0EEEvT1_.private_seg_size, 0
	.set _ZN7rocprim17ROCPRIM_400000_NS6detail17trampoline_kernelINS0_14default_configENS1_25partition_config_selectorILNS1_17partition_subalgoE6EN6thrust23THRUST_200600_302600_NS5tupleIffNS7_9null_typeES9_S9_S9_S9_S9_S9_S9_EENS0_10empty_typeEbEEZZNS1_14partition_implILS5_6ELb0ES3_mNS7_12zip_iteratorINS8_INS7_6detail15normal_iteratorINS7_10device_ptrIfEEEESJ_S9_S9_S9_S9_S9_S9_S9_S9_EEEEPSB_SM_NS0_5tupleIJNSE_INS8_ISJ_NS7_16discard_iteratorINS7_11use_defaultEEES9_S9_S9_S9_S9_S9_S9_S9_EEEESB_EEENSN_IJSM_SM_EEESB_PlJNSF_9not_fun_tINSF_14equal_to_valueISA_EEEEEEE10hipError_tPvRmT3_T4_T5_T6_T7_T9_mT8_P12ihipStream_tbDpT10_ENKUlT_T0_E_clISt17integral_constantIbLb1EES1J_EEDaS1E_S1F_EUlS1E_E_NS1_11comp_targetILNS1_3genE10ELNS1_11target_archE1200ELNS1_3gpuE4ELNS1_3repE0EEENS1_30default_config_static_selectorELNS0_4arch9wavefront6targetE0EEEvT1_.uses_vcc, 0
	.set _ZN7rocprim17ROCPRIM_400000_NS6detail17trampoline_kernelINS0_14default_configENS1_25partition_config_selectorILNS1_17partition_subalgoE6EN6thrust23THRUST_200600_302600_NS5tupleIffNS7_9null_typeES9_S9_S9_S9_S9_S9_S9_EENS0_10empty_typeEbEEZZNS1_14partition_implILS5_6ELb0ES3_mNS7_12zip_iteratorINS8_INS7_6detail15normal_iteratorINS7_10device_ptrIfEEEESJ_S9_S9_S9_S9_S9_S9_S9_S9_EEEEPSB_SM_NS0_5tupleIJNSE_INS8_ISJ_NS7_16discard_iteratorINS7_11use_defaultEEES9_S9_S9_S9_S9_S9_S9_S9_EEEESB_EEENSN_IJSM_SM_EEESB_PlJNSF_9not_fun_tINSF_14equal_to_valueISA_EEEEEEE10hipError_tPvRmT3_T4_T5_T6_T7_T9_mT8_P12ihipStream_tbDpT10_ENKUlT_T0_E_clISt17integral_constantIbLb1EES1J_EEDaS1E_S1F_EUlS1E_E_NS1_11comp_targetILNS1_3genE10ELNS1_11target_archE1200ELNS1_3gpuE4ELNS1_3repE0EEENS1_30default_config_static_selectorELNS0_4arch9wavefront6targetE0EEEvT1_.uses_flat_scratch, 0
	.set _ZN7rocprim17ROCPRIM_400000_NS6detail17trampoline_kernelINS0_14default_configENS1_25partition_config_selectorILNS1_17partition_subalgoE6EN6thrust23THRUST_200600_302600_NS5tupleIffNS7_9null_typeES9_S9_S9_S9_S9_S9_S9_EENS0_10empty_typeEbEEZZNS1_14partition_implILS5_6ELb0ES3_mNS7_12zip_iteratorINS8_INS7_6detail15normal_iteratorINS7_10device_ptrIfEEEESJ_S9_S9_S9_S9_S9_S9_S9_S9_EEEEPSB_SM_NS0_5tupleIJNSE_INS8_ISJ_NS7_16discard_iteratorINS7_11use_defaultEEES9_S9_S9_S9_S9_S9_S9_S9_EEEESB_EEENSN_IJSM_SM_EEESB_PlJNSF_9not_fun_tINSF_14equal_to_valueISA_EEEEEEE10hipError_tPvRmT3_T4_T5_T6_T7_T9_mT8_P12ihipStream_tbDpT10_ENKUlT_T0_E_clISt17integral_constantIbLb1EES1J_EEDaS1E_S1F_EUlS1E_E_NS1_11comp_targetILNS1_3genE10ELNS1_11target_archE1200ELNS1_3gpuE4ELNS1_3repE0EEENS1_30default_config_static_selectorELNS0_4arch9wavefront6targetE0EEEvT1_.has_dyn_sized_stack, 0
	.set _ZN7rocprim17ROCPRIM_400000_NS6detail17trampoline_kernelINS0_14default_configENS1_25partition_config_selectorILNS1_17partition_subalgoE6EN6thrust23THRUST_200600_302600_NS5tupleIffNS7_9null_typeES9_S9_S9_S9_S9_S9_S9_EENS0_10empty_typeEbEEZZNS1_14partition_implILS5_6ELb0ES3_mNS7_12zip_iteratorINS8_INS7_6detail15normal_iteratorINS7_10device_ptrIfEEEESJ_S9_S9_S9_S9_S9_S9_S9_S9_EEEEPSB_SM_NS0_5tupleIJNSE_INS8_ISJ_NS7_16discard_iteratorINS7_11use_defaultEEES9_S9_S9_S9_S9_S9_S9_S9_EEEESB_EEENSN_IJSM_SM_EEESB_PlJNSF_9not_fun_tINSF_14equal_to_valueISA_EEEEEEE10hipError_tPvRmT3_T4_T5_T6_T7_T9_mT8_P12ihipStream_tbDpT10_ENKUlT_T0_E_clISt17integral_constantIbLb1EES1J_EEDaS1E_S1F_EUlS1E_E_NS1_11comp_targetILNS1_3genE10ELNS1_11target_archE1200ELNS1_3gpuE4ELNS1_3repE0EEENS1_30default_config_static_selectorELNS0_4arch9wavefront6targetE0EEEvT1_.has_recursion, 0
	.set _ZN7rocprim17ROCPRIM_400000_NS6detail17trampoline_kernelINS0_14default_configENS1_25partition_config_selectorILNS1_17partition_subalgoE6EN6thrust23THRUST_200600_302600_NS5tupleIffNS7_9null_typeES9_S9_S9_S9_S9_S9_S9_EENS0_10empty_typeEbEEZZNS1_14partition_implILS5_6ELb0ES3_mNS7_12zip_iteratorINS8_INS7_6detail15normal_iteratorINS7_10device_ptrIfEEEESJ_S9_S9_S9_S9_S9_S9_S9_S9_EEEEPSB_SM_NS0_5tupleIJNSE_INS8_ISJ_NS7_16discard_iteratorINS7_11use_defaultEEES9_S9_S9_S9_S9_S9_S9_S9_EEEESB_EEENSN_IJSM_SM_EEESB_PlJNSF_9not_fun_tINSF_14equal_to_valueISA_EEEEEEE10hipError_tPvRmT3_T4_T5_T6_T7_T9_mT8_P12ihipStream_tbDpT10_ENKUlT_T0_E_clISt17integral_constantIbLb1EES1J_EEDaS1E_S1F_EUlS1E_E_NS1_11comp_targetILNS1_3genE10ELNS1_11target_archE1200ELNS1_3gpuE4ELNS1_3repE0EEENS1_30default_config_static_selectorELNS0_4arch9wavefront6targetE0EEEvT1_.has_indirect_call, 0
	.section	.AMDGPU.csdata,"",@progbits
; Kernel info:
; codeLenInByte = 4
; TotalNumSgprs: 0
; NumVgprs: 0
; ScratchSize: 0
; MemoryBound: 0
; FloatMode: 240
; IeeeMode: 1
; LDSByteSize: 0 bytes/workgroup (compile time only)
; SGPRBlocks: 0
; VGPRBlocks: 0
; NumSGPRsForWavesPerEU: 1
; NumVGPRsForWavesPerEU: 1
; Occupancy: 16
; WaveLimiterHint : 0
; COMPUTE_PGM_RSRC2:SCRATCH_EN: 0
; COMPUTE_PGM_RSRC2:USER_SGPR: 2
; COMPUTE_PGM_RSRC2:TRAP_HANDLER: 0
; COMPUTE_PGM_RSRC2:TGID_X_EN: 1
; COMPUTE_PGM_RSRC2:TGID_Y_EN: 0
; COMPUTE_PGM_RSRC2:TGID_Z_EN: 0
; COMPUTE_PGM_RSRC2:TIDIG_COMP_CNT: 0
	.section	.text._ZN7rocprim17ROCPRIM_400000_NS6detail17trampoline_kernelINS0_14default_configENS1_25partition_config_selectorILNS1_17partition_subalgoE6EN6thrust23THRUST_200600_302600_NS5tupleIffNS7_9null_typeES9_S9_S9_S9_S9_S9_S9_EENS0_10empty_typeEbEEZZNS1_14partition_implILS5_6ELb0ES3_mNS7_12zip_iteratorINS8_INS7_6detail15normal_iteratorINS7_10device_ptrIfEEEESJ_S9_S9_S9_S9_S9_S9_S9_S9_EEEEPSB_SM_NS0_5tupleIJNSE_INS8_ISJ_NS7_16discard_iteratorINS7_11use_defaultEEES9_S9_S9_S9_S9_S9_S9_S9_EEEESB_EEENSN_IJSM_SM_EEESB_PlJNSF_9not_fun_tINSF_14equal_to_valueISA_EEEEEEE10hipError_tPvRmT3_T4_T5_T6_T7_T9_mT8_P12ihipStream_tbDpT10_ENKUlT_T0_E_clISt17integral_constantIbLb1EES1J_EEDaS1E_S1F_EUlS1E_E_NS1_11comp_targetILNS1_3genE9ELNS1_11target_archE1100ELNS1_3gpuE3ELNS1_3repE0EEENS1_30default_config_static_selectorELNS0_4arch9wavefront6targetE0EEEvT1_,"axG",@progbits,_ZN7rocprim17ROCPRIM_400000_NS6detail17trampoline_kernelINS0_14default_configENS1_25partition_config_selectorILNS1_17partition_subalgoE6EN6thrust23THRUST_200600_302600_NS5tupleIffNS7_9null_typeES9_S9_S9_S9_S9_S9_S9_EENS0_10empty_typeEbEEZZNS1_14partition_implILS5_6ELb0ES3_mNS7_12zip_iteratorINS8_INS7_6detail15normal_iteratorINS7_10device_ptrIfEEEESJ_S9_S9_S9_S9_S9_S9_S9_S9_EEEEPSB_SM_NS0_5tupleIJNSE_INS8_ISJ_NS7_16discard_iteratorINS7_11use_defaultEEES9_S9_S9_S9_S9_S9_S9_S9_EEEESB_EEENSN_IJSM_SM_EEESB_PlJNSF_9not_fun_tINSF_14equal_to_valueISA_EEEEEEE10hipError_tPvRmT3_T4_T5_T6_T7_T9_mT8_P12ihipStream_tbDpT10_ENKUlT_T0_E_clISt17integral_constantIbLb1EES1J_EEDaS1E_S1F_EUlS1E_E_NS1_11comp_targetILNS1_3genE9ELNS1_11target_archE1100ELNS1_3gpuE3ELNS1_3repE0EEENS1_30default_config_static_selectorELNS0_4arch9wavefront6targetE0EEEvT1_,comdat
	.protected	_ZN7rocprim17ROCPRIM_400000_NS6detail17trampoline_kernelINS0_14default_configENS1_25partition_config_selectorILNS1_17partition_subalgoE6EN6thrust23THRUST_200600_302600_NS5tupleIffNS7_9null_typeES9_S9_S9_S9_S9_S9_S9_EENS0_10empty_typeEbEEZZNS1_14partition_implILS5_6ELb0ES3_mNS7_12zip_iteratorINS8_INS7_6detail15normal_iteratorINS7_10device_ptrIfEEEESJ_S9_S9_S9_S9_S9_S9_S9_S9_EEEEPSB_SM_NS0_5tupleIJNSE_INS8_ISJ_NS7_16discard_iteratorINS7_11use_defaultEEES9_S9_S9_S9_S9_S9_S9_S9_EEEESB_EEENSN_IJSM_SM_EEESB_PlJNSF_9not_fun_tINSF_14equal_to_valueISA_EEEEEEE10hipError_tPvRmT3_T4_T5_T6_T7_T9_mT8_P12ihipStream_tbDpT10_ENKUlT_T0_E_clISt17integral_constantIbLb1EES1J_EEDaS1E_S1F_EUlS1E_E_NS1_11comp_targetILNS1_3genE9ELNS1_11target_archE1100ELNS1_3gpuE3ELNS1_3repE0EEENS1_30default_config_static_selectorELNS0_4arch9wavefront6targetE0EEEvT1_ ; -- Begin function _ZN7rocprim17ROCPRIM_400000_NS6detail17trampoline_kernelINS0_14default_configENS1_25partition_config_selectorILNS1_17partition_subalgoE6EN6thrust23THRUST_200600_302600_NS5tupleIffNS7_9null_typeES9_S9_S9_S9_S9_S9_S9_EENS0_10empty_typeEbEEZZNS1_14partition_implILS5_6ELb0ES3_mNS7_12zip_iteratorINS8_INS7_6detail15normal_iteratorINS7_10device_ptrIfEEEESJ_S9_S9_S9_S9_S9_S9_S9_S9_EEEEPSB_SM_NS0_5tupleIJNSE_INS8_ISJ_NS7_16discard_iteratorINS7_11use_defaultEEES9_S9_S9_S9_S9_S9_S9_S9_EEEESB_EEENSN_IJSM_SM_EEESB_PlJNSF_9not_fun_tINSF_14equal_to_valueISA_EEEEEEE10hipError_tPvRmT3_T4_T5_T6_T7_T9_mT8_P12ihipStream_tbDpT10_ENKUlT_T0_E_clISt17integral_constantIbLb1EES1J_EEDaS1E_S1F_EUlS1E_E_NS1_11comp_targetILNS1_3genE9ELNS1_11target_archE1100ELNS1_3gpuE3ELNS1_3repE0EEENS1_30default_config_static_selectorELNS0_4arch9wavefront6targetE0EEEvT1_
	.globl	_ZN7rocprim17ROCPRIM_400000_NS6detail17trampoline_kernelINS0_14default_configENS1_25partition_config_selectorILNS1_17partition_subalgoE6EN6thrust23THRUST_200600_302600_NS5tupleIffNS7_9null_typeES9_S9_S9_S9_S9_S9_S9_EENS0_10empty_typeEbEEZZNS1_14partition_implILS5_6ELb0ES3_mNS7_12zip_iteratorINS8_INS7_6detail15normal_iteratorINS7_10device_ptrIfEEEESJ_S9_S9_S9_S9_S9_S9_S9_S9_EEEEPSB_SM_NS0_5tupleIJNSE_INS8_ISJ_NS7_16discard_iteratorINS7_11use_defaultEEES9_S9_S9_S9_S9_S9_S9_S9_EEEESB_EEENSN_IJSM_SM_EEESB_PlJNSF_9not_fun_tINSF_14equal_to_valueISA_EEEEEEE10hipError_tPvRmT3_T4_T5_T6_T7_T9_mT8_P12ihipStream_tbDpT10_ENKUlT_T0_E_clISt17integral_constantIbLb1EES1J_EEDaS1E_S1F_EUlS1E_E_NS1_11comp_targetILNS1_3genE9ELNS1_11target_archE1100ELNS1_3gpuE3ELNS1_3repE0EEENS1_30default_config_static_selectorELNS0_4arch9wavefront6targetE0EEEvT1_
	.p2align	8
	.type	_ZN7rocprim17ROCPRIM_400000_NS6detail17trampoline_kernelINS0_14default_configENS1_25partition_config_selectorILNS1_17partition_subalgoE6EN6thrust23THRUST_200600_302600_NS5tupleIffNS7_9null_typeES9_S9_S9_S9_S9_S9_S9_EENS0_10empty_typeEbEEZZNS1_14partition_implILS5_6ELb0ES3_mNS7_12zip_iteratorINS8_INS7_6detail15normal_iteratorINS7_10device_ptrIfEEEESJ_S9_S9_S9_S9_S9_S9_S9_S9_EEEEPSB_SM_NS0_5tupleIJNSE_INS8_ISJ_NS7_16discard_iteratorINS7_11use_defaultEEES9_S9_S9_S9_S9_S9_S9_S9_EEEESB_EEENSN_IJSM_SM_EEESB_PlJNSF_9not_fun_tINSF_14equal_to_valueISA_EEEEEEE10hipError_tPvRmT3_T4_T5_T6_T7_T9_mT8_P12ihipStream_tbDpT10_ENKUlT_T0_E_clISt17integral_constantIbLb1EES1J_EEDaS1E_S1F_EUlS1E_E_NS1_11comp_targetILNS1_3genE9ELNS1_11target_archE1100ELNS1_3gpuE3ELNS1_3repE0EEENS1_30default_config_static_selectorELNS0_4arch9wavefront6targetE0EEEvT1_,@function
_ZN7rocprim17ROCPRIM_400000_NS6detail17trampoline_kernelINS0_14default_configENS1_25partition_config_selectorILNS1_17partition_subalgoE6EN6thrust23THRUST_200600_302600_NS5tupleIffNS7_9null_typeES9_S9_S9_S9_S9_S9_S9_EENS0_10empty_typeEbEEZZNS1_14partition_implILS5_6ELb0ES3_mNS7_12zip_iteratorINS8_INS7_6detail15normal_iteratorINS7_10device_ptrIfEEEESJ_S9_S9_S9_S9_S9_S9_S9_S9_EEEEPSB_SM_NS0_5tupleIJNSE_INS8_ISJ_NS7_16discard_iteratorINS7_11use_defaultEEES9_S9_S9_S9_S9_S9_S9_S9_EEEESB_EEENSN_IJSM_SM_EEESB_PlJNSF_9not_fun_tINSF_14equal_to_valueISA_EEEEEEE10hipError_tPvRmT3_T4_T5_T6_T7_T9_mT8_P12ihipStream_tbDpT10_ENKUlT_T0_E_clISt17integral_constantIbLb1EES1J_EEDaS1E_S1F_EUlS1E_E_NS1_11comp_targetILNS1_3genE9ELNS1_11target_archE1100ELNS1_3gpuE3ELNS1_3repE0EEENS1_30default_config_static_selectorELNS0_4arch9wavefront6targetE0EEEvT1_: ; @_ZN7rocprim17ROCPRIM_400000_NS6detail17trampoline_kernelINS0_14default_configENS1_25partition_config_selectorILNS1_17partition_subalgoE6EN6thrust23THRUST_200600_302600_NS5tupleIffNS7_9null_typeES9_S9_S9_S9_S9_S9_S9_EENS0_10empty_typeEbEEZZNS1_14partition_implILS5_6ELb0ES3_mNS7_12zip_iteratorINS8_INS7_6detail15normal_iteratorINS7_10device_ptrIfEEEESJ_S9_S9_S9_S9_S9_S9_S9_S9_EEEEPSB_SM_NS0_5tupleIJNSE_INS8_ISJ_NS7_16discard_iteratorINS7_11use_defaultEEES9_S9_S9_S9_S9_S9_S9_S9_EEEESB_EEENSN_IJSM_SM_EEESB_PlJNSF_9not_fun_tINSF_14equal_to_valueISA_EEEEEEE10hipError_tPvRmT3_T4_T5_T6_T7_T9_mT8_P12ihipStream_tbDpT10_ENKUlT_T0_E_clISt17integral_constantIbLb1EES1J_EEDaS1E_S1F_EUlS1E_E_NS1_11comp_targetILNS1_3genE9ELNS1_11target_archE1100ELNS1_3gpuE3ELNS1_3repE0EEENS1_30default_config_static_selectorELNS0_4arch9wavefront6targetE0EEEvT1_
; %bb.0:
	.section	.rodata,"a",@progbits
	.p2align	6, 0x0
	.amdhsa_kernel _ZN7rocprim17ROCPRIM_400000_NS6detail17trampoline_kernelINS0_14default_configENS1_25partition_config_selectorILNS1_17partition_subalgoE6EN6thrust23THRUST_200600_302600_NS5tupleIffNS7_9null_typeES9_S9_S9_S9_S9_S9_S9_EENS0_10empty_typeEbEEZZNS1_14partition_implILS5_6ELb0ES3_mNS7_12zip_iteratorINS8_INS7_6detail15normal_iteratorINS7_10device_ptrIfEEEESJ_S9_S9_S9_S9_S9_S9_S9_S9_EEEEPSB_SM_NS0_5tupleIJNSE_INS8_ISJ_NS7_16discard_iteratorINS7_11use_defaultEEES9_S9_S9_S9_S9_S9_S9_S9_EEEESB_EEENSN_IJSM_SM_EEESB_PlJNSF_9not_fun_tINSF_14equal_to_valueISA_EEEEEEE10hipError_tPvRmT3_T4_T5_T6_T7_T9_mT8_P12ihipStream_tbDpT10_ENKUlT_T0_E_clISt17integral_constantIbLb1EES1J_EEDaS1E_S1F_EUlS1E_E_NS1_11comp_targetILNS1_3genE9ELNS1_11target_archE1100ELNS1_3gpuE3ELNS1_3repE0EEENS1_30default_config_static_selectorELNS0_4arch9wavefront6targetE0EEEvT1_
		.amdhsa_group_segment_fixed_size 0
		.amdhsa_private_segment_fixed_size 0
		.amdhsa_kernarg_size 152
		.amdhsa_user_sgpr_count 2
		.amdhsa_user_sgpr_dispatch_ptr 0
		.amdhsa_user_sgpr_queue_ptr 0
		.amdhsa_user_sgpr_kernarg_segment_ptr 1
		.amdhsa_user_sgpr_dispatch_id 0
		.amdhsa_user_sgpr_private_segment_size 0
		.amdhsa_wavefront_size32 1
		.amdhsa_uses_dynamic_stack 0
		.amdhsa_enable_private_segment 0
		.amdhsa_system_sgpr_workgroup_id_x 1
		.amdhsa_system_sgpr_workgroup_id_y 0
		.amdhsa_system_sgpr_workgroup_id_z 0
		.amdhsa_system_sgpr_workgroup_info 0
		.amdhsa_system_vgpr_workitem_id 0
		.amdhsa_next_free_vgpr 1
		.amdhsa_next_free_sgpr 1
		.amdhsa_reserve_vcc 0
		.amdhsa_float_round_mode_32 0
		.amdhsa_float_round_mode_16_64 0
		.amdhsa_float_denorm_mode_32 3
		.amdhsa_float_denorm_mode_16_64 3
		.amdhsa_fp16_overflow 0
		.amdhsa_workgroup_processor_mode 1
		.amdhsa_memory_ordered 1
		.amdhsa_forward_progress 1
		.amdhsa_inst_pref_size 0
		.amdhsa_round_robin_scheduling 0
		.amdhsa_exception_fp_ieee_invalid_op 0
		.amdhsa_exception_fp_denorm_src 0
		.amdhsa_exception_fp_ieee_div_zero 0
		.amdhsa_exception_fp_ieee_overflow 0
		.amdhsa_exception_fp_ieee_underflow 0
		.amdhsa_exception_fp_ieee_inexact 0
		.amdhsa_exception_int_div_zero 0
	.end_amdhsa_kernel
	.section	.text._ZN7rocprim17ROCPRIM_400000_NS6detail17trampoline_kernelINS0_14default_configENS1_25partition_config_selectorILNS1_17partition_subalgoE6EN6thrust23THRUST_200600_302600_NS5tupleIffNS7_9null_typeES9_S9_S9_S9_S9_S9_S9_EENS0_10empty_typeEbEEZZNS1_14partition_implILS5_6ELb0ES3_mNS7_12zip_iteratorINS8_INS7_6detail15normal_iteratorINS7_10device_ptrIfEEEESJ_S9_S9_S9_S9_S9_S9_S9_S9_EEEEPSB_SM_NS0_5tupleIJNSE_INS8_ISJ_NS7_16discard_iteratorINS7_11use_defaultEEES9_S9_S9_S9_S9_S9_S9_S9_EEEESB_EEENSN_IJSM_SM_EEESB_PlJNSF_9not_fun_tINSF_14equal_to_valueISA_EEEEEEE10hipError_tPvRmT3_T4_T5_T6_T7_T9_mT8_P12ihipStream_tbDpT10_ENKUlT_T0_E_clISt17integral_constantIbLb1EES1J_EEDaS1E_S1F_EUlS1E_E_NS1_11comp_targetILNS1_3genE9ELNS1_11target_archE1100ELNS1_3gpuE3ELNS1_3repE0EEENS1_30default_config_static_selectorELNS0_4arch9wavefront6targetE0EEEvT1_,"axG",@progbits,_ZN7rocprim17ROCPRIM_400000_NS6detail17trampoline_kernelINS0_14default_configENS1_25partition_config_selectorILNS1_17partition_subalgoE6EN6thrust23THRUST_200600_302600_NS5tupleIffNS7_9null_typeES9_S9_S9_S9_S9_S9_S9_EENS0_10empty_typeEbEEZZNS1_14partition_implILS5_6ELb0ES3_mNS7_12zip_iteratorINS8_INS7_6detail15normal_iteratorINS7_10device_ptrIfEEEESJ_S9_S9_S9_S9_S9_S9_S9_S9_EEEEPSB_SM_NS0_5tupleIJNSE_INS8_ISJ_NS7_16discard_iteratorINS7_11use_defaultEEES9_S9_S9_S9_S9_S9_S9_S9_EEEESB_EEENSN_IJSM_SM_EEESB_PlJNSF_9not_fun_tINSF_14equal_to_valueISA_EEEEEEE10hipError_tPvRmT3_T4_T5_T6_T7_T9_mT8_P12ihipStream_tbDpT10_ENKUlT_T0_E_clISt17integral_constantIbLb1EES1J_EEDaS1E_S1F_EUlS1E_E_NS1_11comp_targetILNS1_3genE9ELNS1_11target_archE1100ELNS1_3gpuE3ELNS1_3repE0EEENS1_30default_config_static_selectorELNS0_4arch9wavefront6targetE0EEEvT1_,comdat
.Lfunc_end1867:
	.size	_ZN7rocprim17ROCPRIM_400000_NS6detail17trampoline_kernelINS0_14default_configENS1_25partition_config_selectorILNS1_17partition_subalgoE6EN6thrust23THRUST_200600_302600_NS5tupleIffNS7_9null_typeES9_S9_S9_S9_S9_S9_S9_EENS0_10empty_typeEbEEZZNS1_14partition_implILS5_6ELb0ES3_mNS7_12zip_iteratorINS8_INS7_6detail15normal_iteratorINS7_10device_ptrIfEEEESJ_S9_S9_S9_S9_S9_S9_S9_S9_EEEEPSB_SM_NS0_5tupleIJNSE_INS8_ISJ_NS7_16discard_iteratorINS7_11use_defaultEEES9_S9_S9_S9_S9_S9_S9_S9_EEEESB_EEENSN_IJSM_SM_EEESB_PlJNSF_9not_fun_tINSF_14equal_to_valueISA_EEEEEEE10hipError_tPvRmT3_T4_T5_T6_T7_T9_mT8_P12ihipStream_tbDpT10_ENKUlT_T0_E_clISt17integral_constantIbLb1EES1J_EEDaS1E_S1F_EUlS1E_E_NS1_11comp_targetILNS1_3genE9ELNS1_11target_archE1100ELNS1_3gpuE3ELNS1_3repE0EEENS1_30default_config_static_selectorELNS0_4arch9wavefront6targetE0EEEvT1_, .Lfunc_end1867-_ZN7rocprim17ROCPRIM_400000_NS6detail17trampoline_kernelINS0_14default_configENS1_25partition_config_selectorILNS1_17partition_subalgoE6EN6thrust23THRUST_200600_302600_NS5tupleIffNS7_9null_typeES9_S9_S9_S9_S9_S9_S9_EENS0_10empty_typeEbEEZZNS1_14partition_implILS5_6ELb0ES3_mNS7_12zip_iteratorINS8_INS7_6detail15normal_iteratorINS7_10device_ptrIfEEEESJ_S9_S9_S9_S9_S9_S9_S9_S9_EEEEPSB_SM_NS0_5tupleIJNSE_INS8_ISJ_NS7_16discard_iteratorINS7_11use_defaultEEES9_S9_S9_S9_S9_S9_S9_S9_EEEESB_EEENSN_IJSM_SM_EEESB_PlJNSF_9not_fun_tINSF_14equal_to_valueISA_EEEEEEE10hipError_tPvRmT3_T4_T5_T6_T7_T9_mT8_P12ihipStream_tbDpT10_ENKUlT_T0_E_clISt17integral_constantIbLb1EES1J_EEDaS1E_S1F_EUlS1E_E_NS1_11comp_targetILNS1_3genE9ELNS1_11target_archE1100ELNS1_3gpuE3ELNS1_3repE0EEENS1_30default_config_static_selectorELNS0_4arch9wavefront6targetE0EEEvT1_
                                        ; -- End function
	.set _ZN7rocprim17ROCPRIM_400000_NS6detail17trampoline_kernelINS0_14default_configENS1_25partition_config_selectorILNS1_17partition_subalgoE6EN6thrust23THRUST_200600_302600_NS5tupleIffNS7_9null_typeES9_S9_S9_S9_S9_S9_S9_EENS0_10empty_typeEbEEZZNS1_14partition_implILS5_6ELb0ES3_mNS7_12zip_iteratorINS8_INS7_6detail15normal_iteratorINS7_10device_ptrIfEEEESJ_S9_S9_S9_S9_S9_S9_S9_S9_EEEEPSB_SM_NS0_5tupleIJNSE_INS8_ISJ_NS7_16discard_iteratorINS7_11use_defaultEEES9_S9_S9_S9_S9_S9_S9_S9_EEEESB_EEENSN_IJSM_SM_EEESB_PlJNSF_9not_fun_tINSF_14equal_to_valueISA_EEEEEEE10hipError_tPvRmT3_T4_T5_T6_T7_T9_mT8_P12ihipStream_tbDpT10_ENKUlT_T0_E_clISt17integral_constantIbLb1EES1J_EEDaS1E_S1F_EUlS1E_E_NS1_11comp_targetILNS1_3genE9ELNS1_11target_archE1100ELNS1_3gpuE3ELNS1_3repE0EEENS1_30default_config_static_selectorELNS0_4arch9wavefront6targetE0EEEvT1_.num_vgpr, 0
	.set _ZN7rocprim17ROCPRIM_400000_NS6detail17trampoline_kernelINS0_14default_configENS1_25partition_config_selectorILNS1_17partition_subalgoE6EN6thrust23THRUST_200600_302600_NS5tupleIffNS7_9null_typeES9_S9_S9_S9_S9_S9_S9_EENS0_10empty_typeEbEEZZNS1_14partition_implILS5_6ELb0ES3_mNS7_12zip_iteratorINS8_INS7_6detail15normal_iteratorINS7_10device_ptrIfEEEESJ_S9_S9_S9_S9_S9_S9_S9_S9_EEEEPSB_SM_NS0_5tupleIJNSE_INS8_ISJ_NS7_16discard_iteratorINS7_11use_defaultEEES9_S9_S9_S9_S9_S9_S9_S9_EEEESB_EEENSN_IJSM_SM_EEESB_PlJNSF_9not_fun_tINSF_14equal_to_valueISA_EEEEEEE10hipError_tPvRmT3_T4_T5_T6_T7_T9_mT8_P12ihipStream_tbDpT10_ENKUlT_T0_E_clISt17integral_constantIbLb1EES1J_EEDaS1E_S1F_EUlS1E_E_NS1_11comp_targetILNS1_3genE9ELNS1_11target_archE1100ELNS1_3gpuE3ELNS1_3repE0EEENS1_30default_config_static_selectorELNS0_4arch9wavefront6targetE0EEEvT1_.num_agpr, 0
	.set _ZN7rocprim17ROCPRIM_400000_NS6detail17trampoline_kernelINS0_14default_configENS1_25partition_config_selectorILNS1_17partition_subalgoE6EN6thrust23THRUST_200600_302600_NS5tupleIffNS7_9null_typeES9_S9_S9_S9_S9_S9_S9_EENS0_10empty_typeEbEEZZNS1_14partition_implILS5_6ELb0ES3_mNS7_12zip_iteratorINS8_INS7_6detail15normal_iteratorINS7_10device_ptrIfEEEESJ_S9_S9_S9_S9_S9_S9_S9_S9_EEEEPSB_SM_NS0_5tupleIJNSE_INS8_ISJ_NS7_16discard_iteratorINS7_11use_defaultEEES9_S9_S9_S9_S9_S9_S9_S9_EEEESB_EEENSN_IJSM_SM_EEESB_PlJNSF_9not_fun_tINSF_14equal_to_valueISA_EEEEEEE10hipError_tPvRmT3_T4_T5_T6_T7_T9_mT8_P12ihipStream_tbDpT10_ENKUlT_T0_E_clISt17integral_constantIbLb1EES1J_EEDaS1E_S1F_EUlS1E_E_NS1_11comp_targetILNS1_3genE9ELNS1_11target_archE1100ELNS1_3gpuE3ELNS1_3repE0EEENS1_30default_config_static_selectorELNS0_4arch9wavefront6targetE0EEEvT1_.numbered_sgpr, 0
	.set _ZN7rocprim17ROCPRIM_400000_NS6detail17trampoline_kernelINS0_14default_configENS1_25partition_config_selectorILNS1_17partition_subalgoE6EN6thrust23THRUST_200600_302600_NS5tupleIffNS7_9null_typeES9_S9_S9_S9_S9_S9_S9_EENS0_10empty_typeEbEEZZNS1_14partition_implILS5_6ELb0ES3_mNS7_12zip_iteratorINS8_INS7_6detail15normal_iteratorINS7_10device_ptrIfEEEESJ_S9_S9_S9_S9_S9_S9_S9_S9_EEEEPSB_SM_NS0_5tupleIJNSE_INS8_ISJ_NS7_16discard_iteratorINS7_11use_defaultEEES9_S9_S9_S9_S9_S9_S9_S9_EEEESB_EEENSN_IJSM_SM_EEESB_PlJNSF_9not_fun_tINSF_14equal_to_valueISA_EEEEEEE10hipError_tPvRmT3_T4_T5_T6_T7_T9_mT8_P12ihipStream_tbDpT10_ENKUlT_T0_E_clISt17integral_constantIbLb1EES1J_EEDaS1E_S1F_EUlS1E_E_NS1_11comp_targetILNS1_3genE9ELNS1_11target_archE1100ELNS1_3gpuE3ELNS1_3repE0EEENS1_30default_config_static_selectorELNS0_4arch9wavefront6targetE0EEEvT1_.num_named_barrier, 0
	.set _ZN7rocprim17ROCPRIM_400000_NS6detail17trampoline_kernelINS0_14default_configENS1_25partition_config_selectorILNS1_17partition_subalgoE6EN6thrust23THRUST_200600_302600_NS5tupleIffNS7_9null_typeES9_S9_S9_S9_S9_S9_S9_EENS0_10empty_typeEbEEZZNS1_14partition_implILS5_6ELb0ES3_mNS7_12zip_iteratorINS8_INS7_6detail15normal_iteratorINS7_10device_ptrIfEEEESJ_S9_S9_S9_S9_S9_S9_S9_S9_EEEEPSB_SM_NS0_5tupleIJNSE_INS8_ISJ_NS7_16discard_iteratorINS7_11use_defaultEEES9_S9_S9_S9_S9_S9_S9_S9_EEEESB_EEENSN_IJSM_SM_EEESB_PlJNSF_9not_fun_tINSF_14equal_to_valueISA_EEEEEEE10hipError_tPvRmT3_T4_T5_T6_T7_T9_mT8_P12ihipStream_tbDpT10_ENKUlT_T0_E_clISt17integral_constantIbLb1EES1J_EEDaS1E_S1F_EUlS1E_E_NS1_11comp_targetILNS1_3genE9ELNS1_11target_archE1100ELNS1_3gpuE3ELNS1_3repE0EEENS1_30default_config_static_selectorELNS0_4arch9wavefront6targetE0EEEvT1_.private_seg_size, 0
	.set _ZN7rocprim17ROCPRIM_400000_NS6detail17trampoline_kernelINS0_14default_configENS1_25partition_config_selectorILNS1_17partition_subalgoE6EN6thrust23THRUST_200600_302600_NS5tupleIffNS7_9null_typeES9_S9_S9_S9_S9_S9_S9_EENS0_10empty_typeEbEEZZNS1_14partition_implILS5_6ELb0ES3_mNS7_12zip_iteratorINS8_INS7_6detail15normal_iteratorINS7_10device_ptrIfEEEESJ_S9_S9_S9_S9_S9_S9_S9_S9_EEEEPSB_SM_NS0_5tupleIJNSE_INS8_ISJ_NS7_16discard_iteratorINS7_11use_defaultEEES9_S9_S9_S9_S9_S9_S9_S9_EEEESB_EEENSN_IJSM_SM_EEESB_PlJNSF_9not_fun_tINSF_14equal_to_valueISA_EEEEEEE10hipError_tPvRmT3_T4_T5_T6_T7_T9_mT8_P12ihipStream_tbDpT10_ENKUlT_T0_E_clISt17integral_constantIbLb1EES1J_EEDaS1E_S1F_EUlS1E_E_NS1_11comp_targetILNS1_3genE9ELNS1_11target_archE1100ELNS1_3gpuE3ELNS1_3repE0EEENS1_30default_config_static_selectorELNS0_4arch9wavefront6targetE0EEEvT1_.uses_vcc, 0
	.set _ZN7rocprim17ROCPRIM_400000_NS6detail17trampoline_kernelINS0_14default_configENS1_25partition_config_selectorILNS1_17partition_subalgoE6EN6thrust23THRUST_200600_302600_NS5tupleIffNS7_9null_typeES9_S9_S9_S9_S9_S9_S9_EENS0_10empty_typeEbEEZZNS1_14partition_implILS5_6ELb0ES3_mNS7_12zip_iteratorINS8_INS7_6detail15normal_iteratorINS7_10device_ptrIfEEEESJ_S9_S9_S9_S9_S9_S9_S9_S9_EEEEPSB_SM_NS0_5tupleIJNSE_INS8_ISJ_NS7_16discard_iteratorINS7_11use_defaultEEES9_S9_S9_S9_S9_S9_S9_S9_EEEESB_EEENSN_IJSM_SM_EEESB_PlJNSF_9not_fun_tINSF_14equal_to_valueISA_EEEEEEE10hipError_tPvRmT3_T4_T5_T6_T7_T9_mT8_P12ihipStream_tbDpT10_ENKUlT_T0_E_clISt17integral_constantIbLb1EES1J_EEDaS1E_S1F_EUlS1E_E_NS1_11comp_targetILNS1_3genE9ELNS1_11target_archE1100ELNS1_3gpuE3ELNS1_3repE0EEENS1_30default_config_static_selectorELNS0_4arch9wavefront6targetE0EEEvT1_.uses_flat_scratch, 0
	.set _ZN7rocprim17ROCPRIM_400000_NS6detail17trampoline_kernelINS0_14default_configENS1_25partition_config_selectorILNS1_17partition_subalgoE6EN6thrust23THRUST_200600_302600_NS5tupleIffNS7_9null_typeES9_S9_S9_S9_S9_S9_S9_EENS0_10empty_typeEbEEZZNS1_14partition_implILS5_6ELb0ES3_mNS7_12zip_iteratorINS8_INS7_6detail15normal_iteratorINS7_10device_ptrIfEEEESJ_S9_S9_S9_S9_S9_S9_S9_S9_EEEEPSB_SM_NS0_5tupleIJNSE_INS8_ISJ_NS7_16discard_iteratorINS7_11use_defaultEEES9_S9_S9_S9_S9_S9_S9_S9_EEEESB_EEENSN_IJSM_SM_EEESB_PlJNSF_9not_fun_tINSF_14equal_to_valueISA_EEEEEEE10hipError_tPvRmT3_T4_T5_T6_T7_T9_mT8_P12ihipStream_tbDpT10_ENKUlT_T0_E_clISt17integral_constantIbLb1EES1J_EEDaS1E_S1F_EUlS1E_E_NS1_11comp_targetILNS1_3genE9ELNS1_11target_archE1100ELNS1_3gpuE3ELNS1_3repE0EEENS1_30default_config_static_selectorELNS0_4arch9wavefront6targetE0EEEvT1_.has_dyn_sized_stack, 0
	.set _ZN7rocprim17ROCPRIM_400000_NS6detail17trampoline_kernelINS0_14default_configENS1_25partition_config_selectorILNS1_17partition_subalgoE6EN6thrust23THRUST_200600_302600_NS5tupleIffNS7_9null_typeES9_S9_S9_S9_S9_S9_S9_EENS0_10empty_typeEbEEZZNS1_14partition_implILS5_6ELb0ES3_mNS7_12zip_iteratorINS8_INS7_6detail15normal_iteratorINS7_10device_ptrIfEEEESJ_S9_S9_S9_S9_S9_S9_S9_S9_EEEEPSB_SM_NS0_5tupleIJNSE_INS8_ISJ_NS7_16discard_iteratorINS7_11use_defaultEEES9_S9_S9_S9_S9_S9_S9_S9_EEEESB_EEENSN_IJSM_SM_EEESB_PlJNSF_9not_fun_tINSF_14equal_to_valueISA_EEEEEEE10hipError_tPvRmT3_T4_T5_T6_T7_T9_mT8_P12ihipStream_tbDpT10_ENKUlT_T0_E_clISt17integral_constantIbLb1EES1J_EEDaS1E_S1F_EUlS1E_E_NS1_11comp_targetILNS1_3genE9ELNS1_11target_archE1100ELNS1_3gpuE3ELNS1_3repE0EEENS1_30default_config_static_selectorELNS0_4arch9wavefront6targetE0EEEvT1_.has_recursion, 0
	.set _ZN7rocprim17ROCPRIM_400000_NS6detail17trampoline_kernelINS0_14default_configENS1_25partition_config_selectorILNS1_17partition_subalgoE6EN6thrust23THRUST_200600_302600_NS5tupleIffNS7_9null_typeES9_S9_S9_S9_S9_S9_S9_EENS0_10empty_typeEbEEZZNS1_14partition_implILS5_6ELb0ES3_mNS7_12zip_iteratorINS8_INS7_6detail15normal_iteratorINS7_10device_ptrIfEEEESJ_S9_S9_S9_S9_S9_S9_S9_S9_EEEEPSB_SM_NS0_5tupleIJNSE_INS8_ISJ_NS7_16discard_iteratorINS7_11use_defaultEEES9_S9_S9_S9_S9_S9_S9_S9_EEEESB_EEENSN_IJSM_SM_EEESB_PlJNSF_9not_fun_tINSF_14equal_to_valueISA_EEEEEEE10hipError_tPvRmT3_T4_T5_T6_T7_T9_mT8_P12ihipStream_tbDpT10_ENKUlT_T0_E_clISt17integral_constantIbLb1EES1J_EEDaS1E_S1F_EUlS1E_E_NS1_11comp_targetILNS1_3genE9ELNS1_11target_archE1100ELNS1_3gpuE3ELNS1_3repE0EEENS1_30default_config_static_selectorELNS0_4arch9wavefront6targetE0EEEvT1_.has_indirect_call, 0
	.section	.AMDGPU.csdata,"",@progbits
; Kernel info:
; codeLenInByte = 0
; TotalNumSgprs: 0
; NumVgprs: 0
; ScratchSize: 0
; MemoryBound: 0
; FloatMode: 240
; IeeeMode: 1
; LDSByteSize: 0 bytes/workgroup (compile time only)
; SGPRBlocks: 0
; VGPRBlocks: 0
; NumSGPRsForWavesPerEU: 1
; NumVGPRsForWavesPerEU: 1
; Occupancy: 16
; WaveLimiterHint : 0
; COMPUTE_PGM_RSRC2:SCRATCH_EN: 0
; COMPUTE_PGM_RSRC2:USER_SGPR: 2
; COMPUTE_PGM_RSRC2:TRAP_HANDLER: 0
; COMPUTE_PGM_RSRC2:TGID_X_EN: 1
; COMPUTE_PGM_RSRC2:TGID_Y_EN: 0
; COMPUTE_PGM_RSRC2:TGID_Z_EN: 0
; COMPUTE_PGM_RSRC2:TIDIG_COMP_CNT: 0
	.section	.text._ZN7rocprim17ROCPRIM_400000_NS6detail17trampoline_kernelINS0_14default_configENS1_25partition_config_selectorILNS1_17partition_subalgoE6EN6thrust23THRUST_200600_302600_NS5tupleIffNS7_9null_typeES9_S9_S9_S9_S9_S9_S9_EENS0_10empty_typeEbEEZZNS1_14partition_implILS5_6ELb0ES3_mNS7_12zip_iteratorINS8_INS7_6detail15normal_iteratorINS7_10device_ptrIfEEEESJ_S9_S9_S9_S9_S9_S9_S9_S9_EEEEPSB_SM_NS0_5tupleIJNSE_INS8_ISJ_NS7_16discard_iteratorINS7_11use_defaultEEES9_S9_S9_S9_S9_S9_S9_S9_EEEESB_EEENSN_IJSM_SM_EEESB_PlJNSF_9not_fun_tINSF_14equal_to_valueISA_EEEEEEE10hipError_tPvRmT3_T4_T5_T6_T7_T9_mT8_P12ihipStream_tbDpT10_ENKUlT_T0_E_clISt17integral_constantIbLb1EES1J_EEDaS1E_S1F_EUlS1E_E_NS1_11comp_targetILNS1_3genE8ELNS1_11target_archE1030ELNS1_3gpuE2ELNS1_3repE0EEENS1_30default_config_static_selectorELNS0_4arch9wavefront6targetE0EEEvT1_,"axG",@progbits,_ZN7rocprim17ROCPRIM_400000_NS6detail17trampoline_kernelINS0_14default_configENS1_25partition_config_selectorILNS1_17partition_subalgoE6EN6thrust23THRUST_200600_302600_NS5tupleIffNS7_9null_typeES9_S9_S9_S9_S9_S9_S9_EENS0_10empty_typeEbEEZZNS1_14partition_implILS5_6ELb0ES3_mNS7_12zip_iteratorINS8_INS7_6detail15normal_iteratorINS7_10device_ptrIfEEEESJ_S9_S9_S9_S9_S9_S9_S9_S9_EEEEPSB_SM_NS0_5tupleIJNSE_INS8_ISJ_NS7_16discard_iteratorINS7_11use_defaultEEES9_S9_S9_S9_S9_S9_S9_S9_EEEESB_EEENSN_IJSM_SM_EEESB_PlJNSF_9not_fun_tINSF_14equal_to_valueISA_EEEEEEE10hipError_tPvRmT3_T4_T5_T6_T7_T9_mT8_P12ihipStream_tbDpT10_ENKUlT_T0_E_clISt17integral_constantIbLb1EES1J_EEDaS1E_S1F_EUlS1E_E_NS1_11comp_targetILNS1_3genE8ELNS1_11target_archE1030ELNS1_3gpuE2ELNS1_3repE0EEENS1_30default_config_static_selectorELNS0_4arch9wavefront6targetE0EEEvT1_,comdat
	.protected	_ZN7rocprim17ROCPRIM_400000_NS6detail17trampoline_kernelINS0_14default_configENS1_25partition_config_selectorILNS1_17partition_subalgoE6EN6thrust23THRUST_200600_302600_NS5tupleIffNS7_9null_typeES9_S9_S9_S9_S9_S9_S9_EENS0_10empty_typeEbEEZZNS1_14partition_implILS5_6ELb0ES3_mNS7_12zip_iteratorINS8_INS7_6detail15normal_iteratorINS7_10device_ptrIfEEEESJ_S9_S9_S9_S9_S9_S9_S9_S9_EEEEPSB_SM_NS0_5tupleIJNSE_INS8_ISJ_NS7_16discard_iteratorINS7_11use_defaultEEES9_S9_S9_S9_S9_S9_S9_S9_EEEESB_EEENSN_IJSM_SM_EEESB_PlJNSF_9not_fun_tINSF_14equal_to_valueISA_EEEEEEE10hipError_tPvRmT3_T4_T5_T6_T7_T9_mT8_P12ihipStream_tbDpT10_ENKUlT_T0_E_clISt17integral_constantIbLb1EES1J_EEDaS1E_S1F_EUlS1E_E_NS1_11comp_targetILNS1_3genE8ELNS1_11target_archE1030ELNS1_3gpuE2ELNS1_3repE0EEENS1_30default_config_static_selectorELNS0_4arch9wavefront6targetE0EEEvT1_ ; -- Begin function _ZN7rocprim17ROCPRIM_400000_NS6detail17trampoline_kernelINS0_14default_configENS1_25partition_config_selectorILNS1_17partition_subalgoE6EN6thrust23THRUST_200600_302600_NS5tupleIffNS7_9null_typeES9_S9_S9_S9_S9_S9_S9_EENS0_10empty_typeEbEEZZNS1_14partition_implILS5_6ELb0ES3_mNS7_12zip_iteratorINS8_INS7_6detail15normal_iteratorINS7_10device_ptrIfEEEESJ_S9_S9_S9_S9_S9_S9_S9_S9_EEEEPSB_SM_NS0_5tupleIJNSE_INS8_ISJ_NS7_16discard_iteratorINS7_11use_defaultEEES9_S9_S9_S9_S9_S9_S9_S9_EEEESB_EEENSN_IJSM_SM_EEESB_PlJNSF_9not_fun_tINSF_14equal_to_valueISA_EEEEEEE10hipError_tPvRmT3_T4_T5_T6_T7_T9_mT8_P12ihipStream_tbDpT10_ENKUlT_T0_E_clISt17integral_constantIbLb1EES1J_EEDaS1E_S1F_EUlS1E_E_NS1_11comp_targetILNS1_3genE8ELNS1_11target_archE1030ELNS1_3gpuE2ELNS1_3repE0EEENS1_30default_config_static_selectorELNS0_4arch9wavefront6targetE0EEEvT1_
	.globl	_ZN7rocprim17ROCPRIM_400000_NS6detail17trampoline_kernelINS0_14default_configENS1_25partition_config_selectorILNS1_17partition_subalgoE6EN6thrust23THRUST_200600_302600_NS5tupleIffNS7_9null_typeES9_S9_S9_S9_S9_S9_S9_EENS0_10empty_typeEbEEZZNS1_14partition_implILS5_6ELb0ES3_mNS7_12zip_iteratorINS8_INS7_6detail15normal_iteratorINS7_10device_ptrIfEEEESJ_S9_S9_S9_S9_S9_S9_S9_S9_EEEEPSB_SM_NS0_5tupleIJNSE_INS8_ISJ_NS7_16discard_iteratorINS7_11use_defaultEEES9_S9_S9_S9_S9_S9_S9_S9_EEEESB_EEENSN_IJSM_SM_EEESB_PlJNSF_9not_fun_tINSF_14equal_to_valueISA_EEEEEEE10hipError_tPvRmT3_T4_T5_T6_T7_T9_mT8_P12ihipStream_tbDpT10_ENKUlT_T0_E_clISt17integral_constantIbLb1EES1J_EEDaS1E_S1F_EUlS1E_E_NS1_11comp_targetILNS1_3genE8ELNS1_11target_archE1030ELNS1_3gpuE2ELNS1_3repE0EEENS1_30default_config_static_selectorELNS0_4arch9wavefront6targetE0EEEvT1_
	.p2align	8
	.type	_ZN7rocprim17ROCPRIM_400000_NS6detail17trampoline_kernelINS0_14default_configENS1_25partition_config_selectorILNS1_17partition_subalgoE6EN6thrust23THRUST_200600_302600_NS5tupleIffNS7_9null_typeES9_S9_S9_S9_S9_S9_S9_EENS0_10empty_typeEbEEZZNS1_14partition_implILS5_6ELb0ES3_mNS7_12zip_iteratorINS8_INS7_6detail15normal_iteratorINS7_10device_ptrIfEEEESJ_S9_S9_S9_S9_S9_S9_S9_S9_EEEEPSB_SM_NS0_5tupleIJNSE_INS8_ISJ_NS7_16discard_iteratorINS7_11use_defaultEEES9_S9_S9_S9_S9_S9_S9_S9_EEEESB_EEENSN_IJSM_SM_EEESB_PlJNSF_9not_fun_tINSF_14equal_to_valueISA_EEEEEEE10hipError_tPvRmT3_T4_T5_T6_T7_T9_mT8_P12ihipStream_tbDpT10_ENKUlT_T0_E_clISt17integral_constantIbLb1EES1J_EEDaS1E_S1F_EUlS1E_E_NS1_11comp_targetILNS1_3genE8ELNS1_11target_archE1030ELNS1_3gpuE2ELNS1_3repE0EEENS1_30default_config_static_selectorELNS0_4arch9wavefront6targetE0EEEvT1_,@function
_ZN7rocprim17ROCPRIM_400000_NS6detail17trampoline_kernelINS0_14default_configENS1_25partition_config_selectorILNS1_17partition_subalgoE6EN6thrust23THRUST_200600_302600_NS5tupleIffNS7_9null_typeES9_S9_S9_S9_S9_S9_S9_EENS0_10empty_typeEbEEZZNS1_14partition_implILS5_6ELb0ES3_mNS7_12zip_iteratorINS8_INS7_6detail15normal_iteratorINS7_10device_ptrIfEEEESJ_S9_S9_S9_S9_S9_S9_S9_S9_EEEEPSB_SM_NS0_5tupleIJNSE_INS8_ISJ_NS7_16discard_iteratorINS7_11use_defaultEEES9_S9_S9_S9_S9_S9_S9_S9_EEEESB_EEENSN_IJSM_SM_EEESB_PlJNSF_9not_fun_tINSF_14equal_to_valueISA_EEEEEEE10hipError_tPvRmT3_T4_T5_T6_T7_T9_mT8_P12ihipStream_tbDpT10_ENKUlT_T0_E_clISt17integral_constantIbLb1EES1J_EEDaS1E_S1F_EUlS1E_E_NS1_11comp_targetILNS1_3genE8ELNS1_11target_archE1030ELNS1_3gpuE2ELNS1_3repE0EEENS1_30default_config_static_selectorELNS0_4arch9wavefront6targetE0EEEvT1_: ; @_ZN7rocprim17ROCPRIM_400000_NS6detail17trampoline_kernelINS0_14default_configENS1_25partition_config_selectorILNS1_17partition_subalgoE6EN6thrust23THRUST_200600_302600_NS5tupleIffNS7_9null_typeES9_S9_S9_S9_S9_S9_S9_EENS0_10empty_typeEbEEZZNS1_14partition_implILS5_6ELb0ES3_mNS7_12zip_iteratorINS8_INS7_6detail15normal_iteratorINS7_10device_ptrIfEEEESJ_S9_S9_S9_S9_S9_S9_S9_S9_EEEEPSB_SM_NS0_5tupleIJNSE_INS8_ISJ_NS7_16discard_iteratorINS7_11use_defaultEEES9_S9_S9_S9_S9_S9_S9_S9_EEEESB_EEENSN_IJSM_SM_EEESB_PlJNSF_9not_fun_tINSF_14equal_to_valueISA_EEEEEEE10hipError_tPvRmT3_T4_T5_T6_T7_T9_mT8_P12ihipStream_tbDpT10_ENKUlT_T0_E_clISt17integral_constantIbLb1EES1J_EEDaS1E_S1F_EUlS1E_E_NS1_11comp_targetILNS1_3genE8ELNS1_11target_archE1030ELNS1_3gpuE2ELNS1_3repE0EEENS1_30default_config_static_selectorELNS0_4arch9wavefront6targetE0EEEvT1_
; %bb.0:
	.section	.rodata,"a",@progbits
	.p2align	6, 0x0
	.amdhsa_kernel _ZN7rocprim17ROCPRIM_400000_NS6detail17trampoline_kernelINS0_14default_configENS1_25partition_config_selectorILNS1_17partition_subalgoE6EN6thrust23THRUST_200600_302600_NS5tupleIffNS7_9null_typeES9_S9_S9_S9_S9_S9_S9_EENS0_10empty_typeEbEEZZNS1_14partition_implILS5_6ELb0ES3_mNS7_12zip_iteratorINS8_INS7_6detail15normal_iteratorINS7_10device_ptrIfEEEESJ_S9_S9_S9_S9_S9_S9_S9_S9_EEEEPSB_SM_NS0_5tupleIJNSE_INS8_ISJ_NS7_16discard_iteratorINS7_11use_defaultEEES9_S9_S9_S9_S9_S9_S9_S9_EEEESB_EEENSN_IJSM_SM_EEESB_PlJNSF_9not_fun_tINSF_14equal_to_valueISA_EEEEEEE10hipError_tPvRmT3_T4_T5_T6_T7_T9_mT8_P12ihipStream_tbDpT10_ENKUlT_T0_E_clISt17integral_constantIbLb1EES1J_EEDaS1E_S1F_EUlS1E_E_NS1_11comp_targetILNS1_3genE8ELNS1_11target_archE1030ELNS1_3gpuE2ELNS1_3repE0EEENS1_30default_config_static_selectorELNS0_4arch9wavefront6targetE0EEEvT1_
		.amdhsa_group_segment_fixed_size 0
		.amdhsa_private_segment_fixed_size 0
		.amdhsa_kernarg_size 152
		.amdhsa_user_sgpr_count 2
		.amdhsa_user_sgpr_dispatch_ptr 0
		.amdhsa_user_sgpr_queue_ptr 0
		.amdhsa_user_sgpr_kernarg_segment_ptr 1
		.amdhsa_user_sgpr_dispatch_id 0
		.amdhsa_user_sgpr_private_segment_size 0
		.amdhsa_wavefront_size32 1
		.amdhsa_uses_dynamic_stack 0
		.amdhsa_enable_private_segment 0
		.amdhsa_system_sgpr_workgroup_id_x 1
		.amdhsa_system_sgpr_workgroup_id_y 0
		.amdhsa_system_sgpr_workgroup_id_z 0
		.amdhsa_system_sgpr_workgroup_info 0
		.amdhsa_system_vgpr_workitem_id 0
		.amdhsa_next_free_vgpr 1
		.amdhsa_next_free_sgpr 1
		.amdhsa_reserve_vcc 0
		.amdhsa_float_round_mode_32 0
		.amdhsa_float_round_mode_16_64 0
		.amdhsa_float_denorm_mode_32 3
		.amdhsa_float_denorm_mode_16_64 3
		.amdhsa_fp16_overflow 0
		.amdhsa_workgroup_processor_mode 1
		.amdhsa_memory_ordered 1
		.amdhsa_forward_progress 1
		.amdhsa_inst_pref_size 0
		.amdhsa_round_robin_scheduling 0
		.amdhsa_exception_fp_ieee_invalid_op 0
		.amdhsa_exception_fp_denorm_src 0
		.amdhsa_exception_fp_ieee_div_zero 0
		.amdhsa_exception_fp_ieee_overflow 0
		.amdhsa_exception_fp_ieee_underflow 0
		.amdhsa_exception_fp_ieee_inexact 0
		.amdhsa_exception_int_div_zero 0
	.end_amdhsa_kernel
	.section	.text._ZN7rocprim17ROCPRIM_400000_NS6detail17trampoline_kernelINS0_14default_configENS1_25partition_config_selectorILNS1_17partition_subalgoE6EN6thrust23THRUST_200600_302600_NS5tupleIffNS7_9null_typeES9_S9_S9_S9_S9_S9_S9_EENS0_10empty_typeEbEEZZNS1_14partition_implILS5_6ELb0ES3_mNS7_12zip_iteratorINS8_INS7_6detail15normal_iteratorINS7_10device_ptrIfEEEESJ_S9_S9_S9_S9_S9_S9_S9_S9_EEEEPSB_SM_NS0_5tupleIJNSE_INS8_ISJ_NS7_16discard_iteratorINS7_11use_defaultEEES9_S9_S9_S9_S9_S9_S9_S9_EEEESB_EEENSN_IJSM_SM_EEESB_PlJNSF_9not_fun_tINSF_14equal_to_valueISA_EEEEEEE10hipError_tPvRmT3_T4_T5_T6_T7_T9_mT8_P12ihipStream_tbDpT10_ENKUlT_T0_E_clISt17integral_constantIbLb1EES1J_EEDaS1E_S1F_EUlS1E_E_NS1_11comp_targetILNS1_3genE8ELNS1_11target_archE1030ELNS1_3gpuE2ELNS1_3repE0EEENS1_30default_config_static_selectorELNS0_4arch9wavefront6targetE0EEEvT1_,"axG",@progbits,_ZN7rocprim17ROCPRIM_400000_NS6detail17trampoline_kernelINS0_14default_configENS1_25partition_config_selectorILNS1_17partition_subalgoE6EN6thrust23THRUST_200600_302600_NS5tupleIffNS7_9null_typeES9_S9_S9_S9_S9_S9_S9_EENS0_10empty_typeEbEEZZNS1_14partition_implILS5_6ELb0ES3_mNS7_12zip_iteratorINS8_INS7_6detail15normal_iteratorINS7_10device_ptrIfEEEESJ_S9_S9_S9_S9_S9_S9_S9_S9_EEEEPSB_SM_NS0_5tupleIJNSE_INS8_ISJ_NS7_16discard_iteratorINS7_11use_defaultEEES9_S9_S9_S9_S9_S9_S9_S9_EEEESB_EEENSN_IJSM_SM_EEESB_PlJNSF_9not_fun_tINSF_14equal_to_valueISA_EEEEEEE10hipError_tPvRmT3_T4_T5_T6_T7_T9_mT8_P12ihipStream_tbDpT10_ENKUlT_T0_E_clISt17integral_constantIbLb1EES1J_EEDaS1E_S1F_EUlS1E_E_NS1_11comp_targetILNS1_3genE8ELNS1_11target_archE1030ELNS1_3gpuE2ELNS1_3repE0EEENS1_30default_config_static_selectorELNS0_4arch9wavefront6targetE0EEEvT1_,comdat
.Lfunc_end1868:
	.size	_ZN7rocprim17ROCPRIM_400000_NS6detail17trampoline_kernelINS0_14default_configENS1_25partition_config_selectorILNS1_17partition_subalgoE6EN6thrust23THRUST_200600_302600_NS5tupleIffNS7_9null_typeES9_S9_S9_S9_S9_S9_S9_EENS0_10empty_typeEbEEZZNS1_14partition_implILS5_6ELb0ES3_mNS7_12zip_iteratorINS8_INS7_6detail15normal_iteratorINS7_10device_ptrIfEEEESJ_S9_S9_S9_S9_S9_S9_S9_S9_EEEEPSB_SM_NS0_5tupleIJNSE_INS8_ISJ_NS7_16discard_iteratorINS7_11use_defaultEEES9_S9_S9_S9_S9_S9_S9_S9_EEEESB_EEENSN_IJSM_SM_EEESB_PlJNSF_9not_fun_tINSF_14equal_to_valueISA_EEEEEEE10hipError_tPvRmT3_T4_T5_T6_T7_T9_mT8_P12ihipStream_tbDpT10_ENKUlT_T0_E_clISt17integral_constantIbLb1EES1J_EEDaS1E_S1F_EUlS1E_E_NS1_11comp_targetILNS1_3genE8ELNS1_11target_archE1030ELNS1_3gpuE2ELNS1_3repE0EEENS1_30default_config_static_selectorELNS0_4arch9wavefront6targetE0EEEvT1_, .Lfunc_end1868-_ZN7rocprim17ROCPRIM_400000_NS6detail17trampoline_kernelINS0_14default_configENS1_25partition_config_selectorILNS1_17partition_subalgoE6EN6thrust23THRUST_200600_302600_NS5tupleIffNS7_9null_typeES9_S9_S9_S9_S9_S9_S9_EENS0_10empty_typeEbEEZZNS1_14partition_implILS5_6ELb0ES3_mNS7_12zip_iteratorINS8_INS7_6detail15normal_iteratorINS7_10device_ptrIfEEEESJ_S9_S9_S9_S9_S9_S9_S9_S9_EEEEPSB_SM_NS0_5tupleIJNSE_INS8_ISJ_NS7_16discard_iteratorINS7_11use_defaultEEES9_S9_S9_S9_S9_S9_S9_S9_EEEESB_EEENSN_IJSM_SM_EEESB_PlJNSF_9not_fun_tINSF_14equal_to_valueISA_EEEEEEE10hipError_tPvRmT3_T4_T5_T6_T7_T9_mT8_P12ihipStream_tbDpT10_ENKUlT_T0_E_clISt17integral_constantIbLb1EES1J_EEDaS1E_S1F_EUlS1E_E_NS1_11comp_targetILNS1_3genE8ELNS1_11target_archE1030ELNS1_3gpuE2ELNS1_3repE0EEENS1_30default_config_static_selectorELNS0_4arch9wavefront6targetE0EEEvT1_
                                        ; -- End function
	.set _ZN7rocprim17ROCPRIM_400000_NS6detail17trampoline_kernelINS0_14default_configENS1_25partition_config_selectorILNS1_17partition_subalgoE6EN6thrust23THRUST_200600_302600_NS5tupleIffNS7_9null_typeES9_S9_S9_S9_S9_S9_S9_EENS0_10empty_typeEbEEZZNS1_14partition_implILS5_6ELb0ES3_mNS7_12zip_iteratorINS8_INS7_6detail15normal_iteratorINS7_10device_ptrIfEEEESJ_S9_S9_S9_S9_S9_S9_S9_S9_EEEEPSB_SM_NS0_5tupleIJNSE_INS8_ISJ_NS7_16discard_iteratorINS7_11use_defaultEEES9_S9_S9_S9_S9_S9_S9_S9_EEEESB_EEENSN_IJSM_SM_EEESB_PlJNSF_9not_fun_tINSF_14equal_to_valueISA_EEEEEEE10hipError_tPvRmT3_T4_T5_T6_T7_T9_mT8_P12ihipStream_tbDpT10_ENKUlT_T0_E_clISt17integral_constantIbLb1EES1J_EEDaS1E_S1F_EUlS1E_E_NS1_11comp_targetILNS1_3genE8ELNS1_11target_archE1030ELNS1_3gpuE2ELNS1_3repE0EEENS1_30default_config_static_selectorELNS0_4arch9wavefront6targetE0EEEvT1_.num_vgpr, 0
	.set _ZN7rocprim17ROCPRIM_400000_NS6detail17trampoline_kernelINS0_14default_configENS1_25partition_config_selectorILNS1_17partition_subalgoE6EN6thrust23THRUST_200600_302600_NS5tupleIffNS7_9null_typeES9_S9_S9_S9_S9_S9_S9_EENS0_10empty_typeEbEEZZNS1_14partition_implILS5_6ELb0ES3_mNS7_12zip_iteratorINS8_INS7_6detail15normal_iteratorINS7_10device_ptrIfEEEESJ_S9_S9_S9_S9_S9_S9_S9_S9_EEEEPSB_SM_NS0_5tupleIJNSE_INS8_ISJ_NS7_16discard_iteratorINS7_11use_defaultEEES9_S9_S9_S9_S9_S9_S9_S9_EEEESB_EEENSN_IJSM_SM_EEESB_PlJNSF_9not_fun_tINSF_14equal_to_valueISA_EEEEEEE10hipError_tPvRmT3_T4_T5_T6_T7_T9_mT8_P12ihipStream_tbDpT10_ENKUlT_T0_E_clISt17integral_constantIbLb1EES1J_EEDaS1E_S1F_EUlS1E_E_NS1_11comp_targetILNS1_3genE8ELNS1_11target_archE1030ELNS1_3gpuE2ELNS1_3repE0EEENS1_30default_config_static_selectorELNS0_4arch9wavefront6targetE0EEEvT1_.num_agpr, 0
	.set _ZN7rocprim17ROCPRIM_400000_NS6detail17trampoline_kernelINS0_14default_configENS1_25partition_config_selectorILNS1_17partition_subalgoE6EN6thrust23THRUST_200600_302600_NS5tupleIffNS7_9null_typeES9_S9_S9_S9_S9_S9_S9_EENS0_10empty_typeEbEEZZNS1_14partition_implILS5_6ELb0ES3_mNS7_12zip_iteratorINS8_INS7_6detail15normal_iteratorINS7_10device_ptrIfEEEESJ_S9_S9_S9_S9_S9_S9_S9_S9_EEEEPSB_SM_NS0_5tupleIJNSE_INS8_ISJ_NS7_16discard_iteratorINS7_11use_defaultEEES9_S9_S9_S9_S9_S9_S9_S9_EEEESB_EEENSN_IJSM_SM_EEESB_PlJNSF_9not_fun_tINSF_14equal_to_valueISA_EEEEEEE10hipError_tPvRmT3_T4_T5_T6_T7_T9_mT8_P12ihipStream_tbDpT10_ENKUlT_T0_E_clISt17integral_constantIbLb1EES1J_EEDaS1E_S1F_EUlS1E_E_NS1_11comp_targetILNS1_3genE8ELNS1_11target_archE1030ELNS1_3gpuE2ELNS1_3repE0EEENS1_30default_config_static_selectorELNS0_4arch9wavefront6targetE0EEEvT1_.numbered_sgpr, 0
	.set _ZN7rocprim17ROCPRIM_400000_NS6detail17trampoline_kernelINS0_14default_configENS1_25partition_config_selectorILNS1_17partition_subalgoE6EN6thrust23THRUST_200600_302600_NS5tupleIffNS7_9null_typeES9_S9_S9_S9_S9_S9_S9_EENS0_10empty_typeEbEEZZNS1_14partition_implILS5_6ELb0ES3_mNS7_12zip_iteratorINS8_INS7_6detail15normal_iteratorINS7_10device_ptrIfEEEESJ_S9_S9_S9_S9_S9_S9_S9_S9_EEEEPSB_SM_NS0_5tupleIJNSE_INS8_ISJ_NS7_16discard_iteratorINS7_11use_defaultEEES9_S9_S9_S9_S9_S9_S9_S9_EEEESB_EEENSN_IJSM_SM_EEESB_PlJNSF_9not_fun_tINSF_14equal_to_valueISA_EEEEEEE10hipError_tPvRmT3_T4_T5_T6_T7_T9_mT8_P12ihipStream_tbDpT10_ENKUlT_T0_E_clISt17integral_constantIbLb1EES1J_EEDaS1E_S1F_EUlS1E_E_NS1_11comp_targetILNS1_3genE8ELNS1_11target_archE1030ELNS1_3gpuE2ELNS1_3repE0EEENS1_30default_config_static_selectorELNS0_4arch9wavefront6targetE0EEEvT1_.num_named_barrier, 0
	.set _ZN7rocprim17ROCPRIM_400000_NS6detail17trampoline_kernelINS0_14default_configENS1_25partition_config_selectorILNS1_17partition_subalgoE6EN6thrust23THRUST_200600_302600_NS5tupleIffNS7_9null_typeES9_S9_S9_S9_S9_S9_S9_EENS0_10empty_typeEbEEZZNS1_14partition_implILS5_6ELb0ES3_mNS7_12zip_iteratorINS8_INS7_6detail15normal_iteratorINS7_10device_ptrIfEEEESJ_S9_S9_S9_S9_S9_S9_S9_S9_EEEEPSB_SM_NS0_5tupleIJNSE_INS8_ISJ_NS7_16discard_iteratorINS7_11use_defaultEEES9_S9_S9_S9_S9_S9_S9_S9_EEEESB_EEENSN_IJSM_SM_EEESB_PlJNSF_9not_fun_tINSF_14equal_to_valueISA_EEEEEEE10hipError_tPvRmT3_T4_T5_T6_T7_T9_mT8_P12ihipStream_tbDpT10_ENKUlT_T0_E_clISt17integral_constantIbLb1EES1J_EEDaS1E_S1F_EUlS1E_E_NS1_11comp_targetILNS1_3genE8ELNS1_11target_archE1030ELNS1_3gpuE2ELNS1_3repE0EEENS1_30default_config_static_selectorELNS0_4arch9wavefront6targetE0EEEvT1_.private_seg_size, 0
	.set _ZN7rocprim17ROCPRIM_400000_NS6detail17trampoline_kernelINS0_14default_configENS1_25partition_config_selectorILNS1_17partition_subalgoE6EN6thrust23THRUST_200600_302600_NS5tupleIffNS7_9null_typeES9_S9_S9_S9_S9_S9_S9_EENS0_10empty_typeEbEEZZNS1_14partition_implILS5_6ELb0ES3_mNS7_12zip_iteratorINS8_INS7_6detail15normal_iteratorINS7_10device_ptrIfEEEESJ_S9_S9_S9_S9_S9_S9_S9_S9_EEEEPSB_SM_NS0_5tupleIJNSE_INS8_ISJ_NS7_16discard_iteratorINS7_11use_defaultEEES9_S9_S9_S9_S9_S9_S9_S9_EEEESB_EEENSN_IJSM_SM_EEESB_PlJNSF_9not_fun_tINSF_14equal_to_valueISA_EEEEEEE10hipError_tPvRmT3_T4_T5_T6_T7_T9_mT8_P12ihipStream_tbDpT10_ENKUlT_T0_E_clISt17integral_constantIbLb1EES1J_EEDaS1E_S1F_EUlS1E_E_NS1_11comp_targetILNS1_3genE8ELNS1_11target_archE1030ELNS1_3gpuE2ELNS1_3repE0EEENS1_30default_config_static_selectorELNS0_4arch9wavefront6targetE0EEEvT1_.uses_vcc, 0
	.set _ZN7rocprim17ROCPRIM_400000_NS6detail17trampoline_kernelINS0_14default_configENS1_25partition_config_selectorILNS1_17partition_subalgoE6EN6thrust23THRUST_200600_302600_NS5tupleIffNS7_9null_typeES9_S9_S9_S9_S9_S9_S9_EENS0_10empty_typeEbEEZZNS1_14partition_implILS5_6ELb0ES3_mNS7_12zip_iteratorINS8_INS7_6detail15normal_iteratorINS7_10device_ptrIfEEEESJ_S9_S9_S9_S9_S9_S9_S9_S9_EEEEPSB_SM_NS0_5tupleIJNSE_INS8_ISJ_NS7_16discard_iteratorINS7_11use_defaultEEES9_S9_S9_S9_S9_S9_S9_S9_EEEESB_EEENSN_IJSM_SM_EEESB_PlJNSF_9not_fun_tINSF_14equal_to_valueISA_EEEEEEE10hipError_tPvRmT3_T4_T5_T6_T7_T9_mT8_P12ihipStream_tbDpT10_ENKUlT_T0_E_clISt17integral_constantIbLb1EES1J_EEDaS1E_S1F_EUlS1E_E_NS1_11comp_targetILNS1_3genE8ELNS1_11target_archE1030ELNS1_3gpuE2ELNS1_3repE0EEENS1_30default_config_static_selectorELNS0_4arch9wavefront6targetE0EEEvT1_.uses_flat_scratch, 0
	.set _ZN7rocprim17ROCPRIM_400000_NS6detail17trampoline_kernelINS0_14default_configENS1_25partition_config_selectorILNS1_17partition_subalgoE6EN6thrust23THRUST_200600_302600_NS5tupleIffNS7_9null_typeES9_S9_S9_S9_S9_S9_S9_EENS0_10empty_typeEbEEZZNS1_14partition_implILS5_6ELb0ES3_mNS7_12zip_iteratorINS8_INS7_6detail15normal_iteratorINS7_10device_ptrIfEEEESJ_S9_S9_S9_S9_S9_S9_S9_S9_EEEEPSB_SM_NS0_5tupleIJNSE_INS8_ISJ_NS7_16discard_iteratorINS7_11use_defaultEEES9_S9_S9_S9_S9_S9_S9_S9_EEEESB_EEENSN_IJSM_SM_EEESB_PlJNSF_9not_fun_tINSF_14equal_to_valueISA_EEEEEEE10hipError_tPvRmT3_T4_T5_T6_T7_T9_mT8_P12ihipStream_tbDpT10_ENKUlT_T0_E_clISt17integral_constantIbLb1EES1J_EEDaS1E_S1F_EUlS1E_E_NS1_11comp_targetILNS1_3genE8ELNS1_11target_archE1030ELNS1_3gpuE2ELNS1_3repE0EEENS1_30default_config_static_selectorELNS0_4arch9wavefront6targetE0EEEvT1_.has_dyn_sized_stack, 0
	.set _ZN7rocprim17ROCPRIM_400000_NS6detail17trampoline_kernelINS0_14default_configENS1_25partition_config_selectorILNS1_17partition_subalgoE6EN6thrust23THRUST_200600_302600_NS5tupleIffNS7_9null_typeES9_S9_S9_S9_S9_S9_S9_EENS0_10empty_typeEbEEZZNS1_14partition_implILS5_6ELb0ES3_mNS7_12zip_iteratorINS8_INS7_6detail15normal_iteratorINS7_10device_ptrIfEEEESJ_S9_S9_S9_S9_S9_S9_S9_S9_EEEEPSB_SM_NS0_5tupleIJNSE_INS8_ISJ_NS7_16discard_iteratorINS7_11use_defaultEEES9_S9_S9_S9_S9_S9_S9_S9_EEEESB_EEENSN_IJSM_SM_EEESB_PlJNSF_9not_fun_tINSF_14equal_to_valueISA_EEEEEEE10hipError_tPvRmT3_T4_T5_T6_T7_T9_mT8_P12ihipStream_tbDpT10_ENKUlT_T0_E_clISt17integral_constantIbLb1EES1J_EEDaS1E_S1F_EUlS1E_E_NS1_11comp_targetILNS1_3genE8ELNS1_11target_archE1030ELNS1_3gpuE2ELNS1_3repE0EEENS1_30default_config_static_selectorELNS0_4arch9wavefront6targetE0EEEvT1_.has_recursion, 0
	.set _ZN7rocprim17ROCPRIM_400000_NS6detail17trampoline_kernelINS0_14default_configENS1_25partition_config_selectorILNS1_17partition_subalgoE6EN6thrust23THRUST_200600_302600_NS5tupleIffNS7_9null_typeES9_S9_S9_S9_S9_S9_S9_EENS0_10empty_typeEbEEZZNS1_14partition_implILS5_6ELb0ES3_mNS7_12zip_iteratorINS8_INS7_6detail15normal_iteratorINS7_10device_ptrIfEEEESJ_S9_S9_S9_S9_S9_S9_S9_S9_EEEEPSB_SM_NS0_5tupleIJNSE_INS8_ISJ_NS7_16discard_iteratorINS7_11use_defaultEEES9_S9_S9_S9_S9_S9_S9_S9_EEEESB_EEENSN_IJSM_SM_EEESB_PlJNSF_9not_fun_tINSF_14equal_to_valueISA_EEEEEEE10hipError_tPvRmT3_T4_T5_T6_T7_T9_mT8_P12ihipStream_tbDpT10_ENKUlT_T0_E_clISt17integral_constantIbLb1EES1J_EEDaS1E_S1F_EUlS1E_E_NS1_11comp_targetILNS1_3genE8ELNS1_11target_archE1030ELNS1_3gpuE2ELNS1_3repE0EEENS1_30default_config_static_selectorELNS0_4arch9wavefront6targetE0EEEvT1_.has_indirect_call, 0
	.section	.AMDGPU.csdata,"",@progbits
; Kernel info:
; codeLenInByte = 0
; TotalNumSgprs: 0
; NumVgprs: 0
; ScratchSize: 0
; MemoryBound: 0
; FloatMode: 240
; IeeeMode: 1
; LDSByteSize: 0 bytes/workgroup (compile time only)
; SGPRBlocks: 0
; VGPRBlocks: 0
; NumSGPRsForWavesPerEU: 1
; NumVGPRsForWavesPerEU: 1
; Occupancy: 16
; WaveLimiterHint : 0
; COMPUTE_PGM_RSRC2:SCRATCH_EN: 0
; COMPUTE_PGM_RSRC2:USER_SGPR: 2
; COMPUTE_PGM_RSRC2:TRAP_HANDLER: 0
; COMPUTE_PGM_RSRC2:TGID_X_EN: 1
; COMPUTE_PGM_RSRC2:TGID_Y_EN: 0
; COMPUTE_PGM_RSRC2:TGID_Z_EN: 0
; COMPUTE_PGM_RSRC2:TIDIG_COMP_CNT: 0
	.section	.text._ZN7rocprim17ROCPRIM_400000_NS6detail17trampoline_kernelINS0_14default_configENS1_25partition_config_selectorILNS1_17partition_subalgoE6EN6thrust23THRUST_200600_302600_NS5tupleIffNS7_9null_typeES9_S9_S9_S9_S9_S9_S9_EENS0_10empty_typeEbEEZZNS1_14partition_implILS5_6ELb0ES3_mNS7_12zip_iteratorINS8_INS7_6detail15normal_iteratorINS7_10device_ptrIfEEEESJ_S9_S9_S9_S9_S9_S9_S9_S9_EEEEPSB_SM_NS0_5tupleIJNSE_INS8_ISJ_NS7_16discard_iteratorINS7_11use_defaultEEES9_S9_S9_S9_S9_S9_S9_S9_EEEESB_EEENSN_IJSM_SM_EEESB_PlJNSF_9not_fun_tINSF_14equal_to_valueISA_EEEEEEE10hipError_tPvRmT3_T4_T5_T6_T7_T9_mT8_P12ihipStream_tbDpT10_ENKUlT_T0_E_clISt17integral_constantIbLb1EES1I_IbLb0EEEEDaS1E_S1F_EUlS1E_E_NS1_11comp_targetILNS1_3genE0ELNS1_11target_archE4294967295ELNS1_3gpuE0ELNS1_3repE0EEENS1_30default_config_static_selectorELNS0_4arch9wavefront6targetE0EEEvT1_,"axG",@progbits,_ZN7rocprim17ROCPRIM_400000_NS6detail17trampoline_kernelINS0_14default_configENS1_25partition_config_selectorILNS1_17partition_subalgoE6EN6thrust23THRUST_200600_302600_NS5tupleIffNS7_9null_typeES9_S9_S9_S9_S9_S9_S9_EENS0_10empty_typeEbEEZZNS1_14partition_implILS5_6ELb0ES3_mNS7_12zip_iteratorINS8_INS7_6detail15normal_iteratorINS7_10device_ptrIfEEEESJ_S9_S9_S9_S9_S9_S9_S9_S9_EEEEPSB_SM_NS0_5tupleIJNSE_INS8_ISJ_NS7_16discard_iteratorINS7_11use_defaultEEES9_S9_S9_S9_S9_S9_S9_S9_EEEESB_EEENSN_IJSM_SM_EEESB_PlJNSF_9not_fun_tINSF_14equal_to_valueISA_EEEEEEE10hipError_tPvRmT3_T4_T5_T6_T7_T9_mT8_P12ihipStream_tbDpT10_ENKUlT_T0_E_clISt17integral_constantIbLb1EES1I_IbLb0EEEEDaS1E_S1F_EUlS1E_E_NS1_11comp_targetILNS1_3genE0ELNS1_11target_archE4294967295ELNS1_3gpuE0ELNS1_3repE0EEENS1_30default_config_static_selectorELNS0_4arch9wavefront6targetE0EEEvT1_,comdat
	.protected	_ZN7rocprim17ROCPRIM_400000_NS6detail17trampoline_kernelINS0_14default_configENS1_25partition_config_selectorILNS1_17partition_subalgoE6EN6thrust23THRUST_200600_302600_NS5tupleIffNS7_9null_typeES9_S9_S9_S9_S9_S9_S9_EENS0_10empty_typeEbEEZZNS1_14partition_implILS5_6ELb0ES3_mNS7_12zip_iteratorINS8_INS7_6detail15normal_iteratorINS7_10device_ptrIfEEEESJ_S9_S9_S9_S9_S9_S9_S9_S9_EEEEPSB_SM_NS0_5tupleIJNSE_INS8_ISJ_NS7_16discard_iteratorINS7_11use_defaultEEES9_S9_S9_S9_S9_S9_S9_S9_EEEESB_EEENSN_IJSM_SM_EEESB_PlJNSF_9not_fun_tINSF_14equal_to_valueISA_EEEEEEE10hipError_tPvRmT3_T4_T5_T6_T7_T9_mT8_P12ihipStream_tbDpT10_ENKUlT_T0_E_clISt17integral_constantIbLb1EES1I_IbLb0EEEEDaS1E_S1F_EUlS1E_E_NS1_11comp_targetILNS1_3genE0ELNS1_11target_archE4294967295ELNS1_3gpuE0ELNS1_3repE0EEENS1_30default_config_static_selectorELNS0_4arch9wavefront6targetE0EEEvT1_ ; -- Begin function _ZN7rocprim17ROCPRIM_400000_NS6detail17trampoline_kernelINS0_14default_configENS1_25partition_config_selectorILNS1_17partition_subalgoE6EN6thrust23THRUST_200600_302600_NS5tupleIffNS7_9null_typeES9_S9_S9_S9_S9_S9_S9_EENS0_10empty_typeEbEEZZNS1_14partition_implILS5_6ELb0ES3_mNS7_12zip_iteratorINS8_INS7_6detail15normal_iteratorINS7_10device_ptrIfEEEESJ_S9_S9_S9_S9_S9_S9_S9_S9_EEEEPSB_SM_NS0_5tupleIJNSE_INS8_ISJ_NS7_16discard_iteratorINS7_11use_defaultEEES9_S9_S9_S9_S9_S9_S9_S9_EEEESB_EEENSN_IJSM_SM_EEESB_PlJNSF_9not_fun_tINSF_14equal_to_valueISA_EEEEEEE10hipError_tPvRmT3_T4_T5_T6_T7_T9_mT8_P12ihipStream_tbDpT10_ENKUlT_T0_E_clISt17integral_constantIbLb1EES1I_IbLb0EEEEDaS1E_S1F_EUlS1E_E_NS1_11comp_targetILNS1_3genE0ELNS1_11target_archE4294967295ELNS1_3gpuE0ELNS1_3repE0EEENS1_30default_config_static_selectorELNS0_4arch9wavefront6targetE0EEEvT1_
	.globl	_ZN7rocprim17ROCPRIM_400000_NS6detail17trampoline_kernelINS0_14default_configENS1_25partition_config_selectorILNS1_17partition_subalgoE6EN6thrust23THRUST_200600_302600_NS5tupleIffNS7_9null_typeES9_S9_S9_S9_S9_S9_S9_EENS0_10empty_typeEbEEZZNS1_14partition_implILS5_6ELb0ES3_mNS7_12zip_iteratorINS8_INS7_6detail15normal_iteratorINS7_10device_ptrIfEEEESJ_S9_S9_S9_S9_S9_S9_S9_S9_EEEEPSB_SM_NS0_5tupleIJNSE_INS8_ISJ_NS7_16discard_iteratorINS7_11use_defaultEEES9_S9_S9_S9_S9_S9_S9_S9_EEEESB_EEENSN_IJSM_SM_EEESB_PlJNSF_9not_fun_tINSF_14equal_to_valueISA_EEEEEEE10hipError_tPvRmT3_T4_T5_T6_T7_T9_mT8_P12ihipStream_tbDpT10_ENKUlT_T0_E_clISt17integral_constantIbLb1EES1I_IbLb0EEEEDaS1E_S1F_EUlS1E_E_NS1_11comp_targetILNS1_3genE0ELNS1_11target_archE4294967295ELNS1_3gpuE0ELNS1_3repE0EEENS1_30default_config_static_selectorELNS0_4arch9wavefront6targetE0EEEvT1_
	.p2align	8
	.type	_ZN7rocprim17ROCPRIM_400000_NS6detail17trampoline_kernelINS0_14default_configENS1_25partition_config_selectorILNS1_17partition_subalgoE6EN6thrust23THRUST_200600_302600_NS5tupleIffNS7_9null_typeES9_S9_S9_S9_S9_S9_S9_EENS0_10empty_typeEbEEZZNS1_14partition_implILS5_6ELb0ES3_mNS7_12zip_iteratorINS8_INS7_6detail15normal_iteratorINS7_10device_ptrIfEEEESJ_S9_S9_S9_S9_S9_S9_S9_S9_EEEEPSB_SM_NS0_5tupleIJNSE_INS8_ISJ_NS7_16discard_iteratorINS7_11use_defaultEEES9_S9_S9_S9_S9_S9_S9_S9_EEEESB_EEENSN_IJSM_SM_EEESB_PlJNSF_9not_fun_tINSF_14equal_to_valueISA_EEEEEEE10hipError_tPvRmT3_T4_T5_T6_T7_T9_mT8_P12ihipStream_tbDpT10_ENKUlT_T0_E_clISt17integral_constantIbLb1EES1I_IbLb0EEEEDaS1E_S1F_EUlS1E_E_NS1_11comp_targetILNS1_3genE0ELNS1_11target_archE4294967295ELNS1_3gpuE0ELNS1_3repE0EEENS1_30default_config_static_selectorELNS0_4arch9wavefront6targetE0EEEvT1_,@function
_ZN7rocprim17ROCPRIM_400000_NS6detail17trampoline_kernelINS0_14default_configENS1_25partition_config_selectorILNS1_17partition_subalgoE6EN6thrust23THRUST_200600_302600_NS5tupleIffNS7_9null_typeES9_S9_S9_S9_S9_S9_S9_EENS0_10empty_typeEbEEZZNS1_14partition_implILS5_6ELb0ES3_mNS7_12zip_iteratorINS8_INS7_6detail15normal_iteratorINS7_10device_ptrIfEEEESJ_S9_S9_S9_S9_S9_S9_S9_S9_EEEEPSB_SM_NS0_5tupleIJNSE_INS8_ISJ_NS7_16discard_iteratorINS7_11use_defaultEEES9_S9_S9_S9_S9_S9_S9_S9_EEEESB_EEENSN_IJSM_SM_EEESB_PlJNSF_9not_fun_tINSF_14equal_to_valueISA_EEEEEEE10hipError_tPvRmT3_T4_T5_T6_T7_T9_mT8_P12ihipStream_tbDpT10_ENKUlT_T0_E_clISt17integral_constantIbLb1EES1I_IbLb0EEEEDaS1E_S1F_EUlS1E_E_NS1_11comp_targetILNS1_3genE0ELNS1_11target_archE4294967295ELNS1_3gpuE0ELNS1_3repE0EEENS1_30default_config_static_selectorELNS0_4arch9wavefront6targetE0EEEvT1_: ; @_ZN7rocprim17ROCPRIM_400000_NS6detail17trampoline_kernelINS0_14default_configENS1_25partition_config_selectorILNS1_17partition_subalgoE6EN6thrust23THRUST_200600_302600_NS5tupleIffNS7_9null_typeES9_S9_S9_S9_S9_S9_S9_EENS0_10empty_typeEbEEZZNS1_14partition_implILS5_6ELb0ES3_mNS7_12zip_iteratorINS8_INS7_6detail15normal_iteratorINS7_10device_ptrIfEEEESJ_S9_S9_S9_S9_S9_S9_S9_S9_EEEEPSB_SM_NS0_5tupleIJNSE_INS8_ISJ_NS7_16discard_iteratorINS7_11use_defaultEEES9_S9_S9_S9_S9_S9_S9_S9_EEEESB_EEENSN_IJSM_SM_EEESB_PlJNSF_9not_fun_tINSF_14equal_to_valueISA_EEEEEEE10hipError_tPvRmT3_T4_T5_T6_T7_T9_mT8_P12ihipStream_tbDpT10_ENKUlT_T0_E_clISt17integral_constantIbLb1EES1I_IbLb0EEEEDaS1E_S1F_EUlS1E_E_NS1_11comp_targetILNS1_3genE0ELNS1_11target_archE4294967295ELNS1_3gpuE0ELNS1_3repE0EEENS1_30default_config_static_selectorELNS0_4arch9wavefront6targetE0EEEvT1_
; %bb.0:
	.section	.rodata,"a",@progbits
	.p2align	6, 0x0
	.amdhsa_kernel _ZN7rocprim17ROCPRIM_400000_NS6detail17trampoline_kernelINS0_14default_configENS1_25partition_config_selectorILNS1_17partition_subalgoE6EN6thrust23THRUST_200600_302600_NS5tupleIffNS7_9null_typeES9_S9_S9_S9_S9_S9_S9_EENS0_10empty_typeEbEEZZNS1_14partition_implILS5_6ELb0ES3_mNS7_12zip_iteratorINS8_INS7_6detail15normal_iteratorINS7_10device_ptrIfEEEESJ_S9_S9_S9_S9_S9_S9_S9_S9_EEEEPSB_SM_NS0_5tupleIJNSE_INS8_ISJ_NS7_16discard_iteratorINS7_11use_defaultEEES9_S9_S9_S9_S9_S9_S9_S9_EEEESB_EEENSN_IJSM_SM_EEESB_PlJNSF_9not_fun_tINSF_14equal_to_valueISA_EEEEEEE10hipError_tPvRmT3_T4_T5_T6_T7_T9_mT8_P12ihipStream_tbDpT10_ENKUlT_T0_E_clISt17integral_constantIbLb1EES1I_IbLb0EEEEDaS1E_S1F_EUlS1E_E_NS1_11comp_targetILNS1_3genE0ELNS1_11target_archE4294967295ELNS1_3gpuE0ELNS1_3repE0EEENS1_30default_config_static_selectorELNS0_4arch9wavefront6targetE0EEEvT1_
		.amdhsa_group_segment_fixed_size 0
		.amdhsa_private_segment_fixed_size 0
		.amdhsa_kernarg_size 144
		.amdhsa_user_sgpr_count 2
		.amdhsa_user_sgpr_dispatch_ptr 0
		.amdhsa_user_sgpr_queue_ptr 0
		.amdhsa_user_sgpr_kernarg_segment_ptr 1
		.amdhsa_user_sgpr_dispatch_id 0
		.amdhsa_user_sgpr_private_segment_size 0
		.amdhsa_wavefront_size32 1
		.amdhsa_uses_dynamic_stack 0
		.amdhsa_enable_private_segment 0
		.amdhsa_system_sgpr_workgroup_id_x 1
		.amdhsa_system_sgpr_workgroup_id_y 0
		.amdhsa_system_sgpr_workgroup_id_z 0
		.amdhsa_system_sgpr_workgroup_info 0
		.amdhsa_system_vgpr_workitem_id 0
		.amdhsa_next_free_vgpr 1
		.amdhsa_next_free_sgpr 1
		.amdhsa_reserve_vcc 0
		.amdhsa_float_round_mode_32 0
		.amdhsa_float_round_mode_16_64 0
		.amdhsa_float_denorm_mode_32 3
		.amdhsa_float_denorm_mode_16_64 3
		.amdhsa_fp16_overflow 0
		.amdhsa_workgroup_processor_mode 1
		.amdhsa_memory_ordered 1
		.amdhsa_forward_progress 1
		.amdhsa_inst_pref_size 0
		.amdhsa_round_robin_scheduling 0
		.amdhsa_exception_fp_ieee_invalid_op 0
		.amdhsa_exception_fp_denorm_src 0
		.amdhsa_exception_fp_ieee_div_zero 0
		.amdhsa_exception_fp_ieee_overflow 0
		.amdhsa_exception_fp_ieee_underflow 0
		.amdhsa_exception_fp_ieee_inexact 0
		.amdhsa_exception_int_div_zero 0
	.end_amdhsa_kernel
	.section	.text._ZN7rocprim17ROCPRIM_400000_NS6detail17trampoline_kernelINS0_14default_configENS1_25partition_config_selectorILNS1_17partition_subalgoE6EN6thrust23THRUST_200600_302600_NS5tupleIffNS7_9null_typeES9_S9_S9_S9_S9_S9_S9_EENS0_10empty_typeEbEEZZNS1_14partition_implILS5_6ELb0ES3_mNS7_12zip_iteratorINS8_INS7_6detail15normal_iteratorINS7_10device_ptrIfEEEESJ_S9_S9_S9_S9_S9_S9_S9_S9_EEEEPSB_SM_NS0_5tupleIJNSE_INS8_ISJ_NS7_16discard_iteratorINS7_11use_defaultEEES9_S9_S9_S9_S9_S9_S9_S9_EEEESB_EEENSN_IJSM_SM_EEESB_PlJNSF_9not_fun_tINSF_14equal_to_valueISA_EEEEEEE10hipError_tPvRmT3_T4_T5_T6_T7_T9_mT8_P12ihipStream_tbDpT10_ENKUlT_T0_E_clISt17integral_constantIbLb1EES1I_IbLb0EEEEDaS1E_S1F_EUlS1E_E_NS1_11comp_targetILNS1_3genE0ELNS1_11target_archE4294967295ELNS1_3gpuE0ELNS1_3repE0EEENS1_30default_config_static_selectorELNS0_4arch9wavefront6targetE0EEEvT1_,"axG",@progbits,_ZN7rocprim17ROCPRIM_400000_NS6detail17trampoline_kernelINS0_14default_configENS1_25partition_config_selectorILNS1_17partition_subalgoE6EN6thrust23THRUST_200600_302600_NS5tupleIffNS7_9null_typeES9_S9_S9_S9_S9_S9_S9_EENS0_10empty_typeEbEEZZNS1_14partition_implILS5_6ELb0ES3_mNS7_12zip_iteratorINS8_INS7_6detail15normal_iteratorINS7_10device_ptrIfEEEESJ_S9_S9_S9_S9_S9_S9_S9_S9_EEEEPSB_SM_NS0_5tupleIJNSE_INS8_ISJ_NS7_16discard_iteratorINS7_11use_defaultEEES9_S9_S9_S9_S9_S9_S9_S9_EEEESB_EEENSN_IJSM_SM_EEESB_PlJNSF_9not_fun_tINSF_14equal_to_valueISA_EEEEEEE10hipError_tPvRmT3_T4_T5_T6_T7_T9_mT8_P12ihipStream_tbDpT10_ENKUlT_T0_E_clISt17integral_constantIbLb1EES1I_IbLb0EEEEDaS1E_S1F_EUlS1E_E_NS1_11comp_targetILNS1_3genE0ELNS1_11target_archE4294967295ELNS1_3gpuE0ELNS1_3repE0EEENS1_30default_config_static_selectorELNS0_4arch9wavefront6targetE0EEEvT1_,comdat
.Lfunc_end1869:
	.size	_ZN7rocprim17ROCPRIM_400000_NS6detail17trampoline_kernelINS0_14default_configENS1_25partition_config_selectorILNS1_17partition_subalgoE6EN6thrust23THRUST_200600_302600_NS5tupleIffNS7_9null_typeES9_S9_S9_S9_S9_S9_S9_EENS0_10empty_typeEbEEZZNS1_14partition_implILS5_6ELb0ES3_mNS7_12zip_iteratorINS8_INS7_6detail15normal_iteratorINS7_10device_ptrIfEEEESJ_S9_S9_S9_S9_S9_S9_S9_S9_EEEEPSB_SM_NS0_5tupleIJNSE_INS8_ISJ_NS7_16discard_iteratorINS7_11use_defaultEEES9_S9_S9_S9_S9_S9_S9_S9_EEEESB_EEENSN_IJSM_SM_EEESB_PlJNSF_9not_fun_tINSF_14equal_to_valueISA_EEEEEEE10hipError_tPvRmT3_T4_T5_T6_T7_T9_mT8_P12ihipStream_tbDpT10_ENKUlT_T0_E_clISt17integral_constantIbLb1EES1I_IbLb0EEEEDaS1E_S1F_EUlS1E_E_NS1_11comp_targetILNS1_3genE0ELNS1_11target_archE4294967295ELNS1_3gpuE0ELNS1_3repE0EEENS1_30default_config_static_selectorELNS0_4arch9wavefront6targetE0EEEvT1_, .Lfunc_end1869-_ZN7rocprim17ROCPRIM_400000_NS6detail17trampoline_kernelINS0_14default_configENS1_25partition_config_selectorILNS1_17partition_subalgoE6EN6thrust23THRUST_200600_302600_NS5tupleIffNS7_9null_typeES9_S9_S9_S9_S9_S9_S9_EENS0_10empty_typeEbEEZZNS1_14partition_implILS5_6ELb0ES3_mNS7_12zip_iteratorINS8_INS7_6detail15normal_iteratorINS7_10device_ptrIfEEEESJ_S9_S9_S9_S9_S9_S9_S9_S9_EEEEPSB_SM_NS0_5tupleIJNSE_INS8_ISJ_NS7_16discard_iteratorINS7_11use_defaultEEES9_S9_S9_S9_S9_S9_S9_S9_EEEESB_EEENSN_IJSM_SM_EEESB_PlJNSF_9not_fun_tINSF_14equal_to_valueISA_EEEEEEE10hipError_tPvRmT3_T4_T5_T6_T7_T9_mT8_P12ihipStream_tbDpT10_ENKUlT_T0_E_clISt17integral_constantIbLb1EES1I_IbLb0EEEEDaS1E_S1F_EUlS1E_E_NS1_11comp_targetILNS1_3genE0ELNS1_11target_archE4294967295ELNS1_3gpuE0ELNS1_3repE0EEENS1_30default_config_static_selectorELNS0_4arch9wavefront6targetE0EEEvT1_
                                        ; -- End function
	.set _ZN7rocprim17ROCPRIM_400000_NS6detail17trampoline_kernelINS0_14default_configENS1_25partition_config_selectorILNS1_17partition_subalgoE6EN6thrust23THRUST_200600_302600_NS5tupleIffNS7_9null_typeES9_S9_S9_S9_S9_S9_S9_EENS0_10empty_typeEbEEZZNS1_14partition_implILS5_6ELb0ES3_mNS7_12zip_iteratorINS8_INS7_6detail15normal_iteratorINS7_10device_ptrIfEEEESJ_S9_S9_S9_S9_S9_S9_S9_S9_EEEEPSB_SM_NS0_5tupleIJNSE_INS8_ISJ_NS7_16discard_iteratorINS7_11use_defaultEEES9_S9_S9_S9_S9_S9_S9_S9_EEEESB_EEENSN_IJSM_SM_EEESB_PlJNSF_9not_fun_tINSF_14equal_to_valueISA_EEEEEEE10hipError_tPvRmT3_T4_T5_T6_T7_T9_mT8_P12ihipStream_tbDpT10_ENKUlT_T0_E_clISt17integral_constantIbLb1EES1I_IbLb0EEEEDaS1E_S1F_EUlS1E_E_NS1_11comp_targetILNS1_3genE0ELNS1_11target_archE4294967295ELNS1_3gpuE0ELNS1_3repE0EEENS1_30default_config_static_selectorELNS0_4arch9wavefront6targetE0EEEvT1_.num_vgpr, 0
	.set _ZN7rocprim17ROCPRIM_400000_NS6detail17trampoline_kernelINS0_14default_configENS1_25partition_config_selectorILNS1_17partition_subalgoE6EN6thrust23THRUST_200600_302600_NS5tupleIffNS7_9null_typeES9_S9_S9_S9_S9_S9_S9_EENS0_10empty_typeEbEEZZNS1_14partition_implILS5_6ELb0ES3_mNS7_12zip_iteratorINS8_INS7_6detail15normal_iteratorINS7_10device_ptrIfEEEESJ_S9_S9_S9_S9_S9_S9_S9_S9_EEEEPSB_SM_NS0_5tupleIJNSE_INS8_ISJ_NS7_16discard_iteratorINS7_11use_defaultEEES9_S9_S9_S9_S9_S9_S9_S9_EEEESB_EEENSN_IJSM_SM_EEESB_PlJNSF_9not_fun_tINSF_14equal_to_valueISA_EEEEEEE10hipError_tPvRmT3_T4_T5_T6_T7_T9_mT8_P12ihipStream_tbDpT10_ENKUlT_T0_E_clISt17integral_constantIbLb1EES1I_IbLb0EEEEDaS1E_S1F_EUlS1E_E_NS1_11comp_targetILNS1_3genE0ELNS1_11target_archE4294967295ELNS1_3gpuE0ELNS1_3repE0EEENS1_30default_config_static_selectorELNS0_4arch9wavefront6targetE0EEEvT1_.num_agpr, 0
	.set _ZN7rocprim17ROCPRIM_400000_NS6detail17trampoline_kernelINS0_14default_configENS1_25partition_config_selectorILNS1_17partition_subalgoE6EN6thrust23THRUST_200600_302600_NS5tupleIffNS7_9null_typeES9_S9_S9_S9_S9_S9_S9_EENS0_10empty_typeEbEEZZNS1_14partition_implILS5_6ELb0ES3_mNS7_12zip_iteratorINS8_INS7_6detail15normal_iteratorINS7_10device_ptrIfEEEESJ_S9_S9_S9_S9_S9_S9_S9_S9_EEEEPSB_SM_NS0_5tupleIJNSE_INS8_ISJ_NS7_16discard_iteratorINS7_11use_defaultEEES9_S9_S9_S9_S9_S9_S9_S9_EEEESB_EEENSN_IJSM_SM_EEESB_PlJNSF_9not_fun_tINSF_14equal_to_valueISA_EEEEEEE10hipError_tPvRmT3_T4_T5_T6_T7_T9_mT8_P12ihipStream_tbDpT10_ENKUlT_T0_E_clISt17integral_constantIbLb1EES1I_IbLb0EEEEDaS1E_S1F_EUlS1E_E_NS1_11comp_targetILNS1_3genE0ELNS1_11target_archE4294967295ELNS1_3gpuE0ELNS1_3repE0EEENS1_30default_config_static_selectorELNS0_4arch9wavefront6targetE0EEEvT1_.numbered_sgpr, 0
	.set _ZN7rocprim17ROCPRIM_400000_NS6detail17trampoline_kernelINS0_14default_configENS1_25partition_config_selectorILNS1_17partition_subalgoE6EN6thrust23THRUST_200600_302600_NS5tupleIffNS7_9null_typeES9_S9_S9_S9_S9_S9_S9_EENS0_10empty_typeEbEEZZNS1_14partition_implILS5_6ELb0ES3_mNS7_12zip_iteratorINS8_INS7_6detail15normal_iteratorINS7_10device_ptrIfEEEESJ_S9_S9_S9_S9_S9_S9_S9_S9_EEEEPSB_SM_NS0_5tupleIJNSE_INS8_ISJ_NS7_16discard_iteratorINS7_11use_defaultEEES9_S9_S9_S9_S9_S9_S9_S9_EEEESB_EEENSN_IJSM_SM_EEESB_PlJNSF_9not_fun_tINSF_14equal_to_valueISA_EEEEEEE10hipError_tPvRmT3_T4_T5_T6_T7_T9_mT8_P12ihipStream_tbDpT10_ENKUlT_T0_E_clISt17integral_constantIbLb1EES1I_IbLb0EEEEDaS1E_S1F_EUlS1E_E_NS1_11comp_targetILNS1_3genE0ELNS1_11target_archE4294967295ELNS1_3gpuE0ELNS1_3repE0EEENS1_30default_config_static_selectorELNS0_4arch9wavefront6targetE0EEEvT1_.num_named_barrier, 0
	.set _ZN7rocprim17ROCPRIM_400000_NS6detail17trampoline_kernelINS0_14default_configENS1_25partition_config_selectorILNS1_17partition_subalgoE6EN6thrust23THRUST_200600_302600_NS5tupleIffNS7_9null_typeES9_S9_S9_S9_S9_S9_S9_EENS0_10empty_typeEbEEZZNS1_14partition_implILS5_6ELb0ES3_mNS7_12zip_iteratorINS8_INS7_6detail15normal_iteratorINS7_10device_ptrIfEEEESJ_S9_S9_S9_S9_S9_S9_S9_S9_EEEEPSB_SM_NS0_5tupleIJNSE_INS8_ISJ_NS7_16discard_iteratorINS7_11use_defaultEEES9_S9_S9_S9_S9_S9_S9_S9_EEEESB_EEENSN_IJSM_SM_EEESB_PlJNSF_9not_fun_tINSF_14equal_to_valueISA_EEEEEEE10hipError_tPvRmT3_T4_T5_T6_T7_T9_mT8_P12ihipStream_tbDpT10_ENKUlT_T0_E_clISt17integral_constantIbLb1EES1I_IbLb0EEEEDaS1E_S1F_EUlS1E_E_NS1_11comp_targetILNS1_3genE0ELNS1_11target_archE4294967295ELNS1_3gpuE0ELNS1_3repE0EEENS1_30default_config_static_selectorELNS0_4arch9wavefront6targetE0EEEvT1_.private_seg_size, 0
	.set _ZN7rocprim17ROCPRIM_400000_NS6detail17trampoline_kernelINS0_14default_configENS1_25partition_config_selectorILNS1_17partition_subalgoE6EN6thrust23THRUST_200600_302600_NS5tupleIffNS7_9null_typeES9_S9_S9_S9_S9_S9_S9_EENS0_10empty_typeEbEEZZNS1_14partition_implILS5_6ELb0ES3_mNS7_12zip_iteratorINS8_INS7_6detail15normal_iteratorINS7_10device_ptrIfEEEESJ_S9_S9_S9_S9_S9_S9_S9_S9_EEEEPSB_SM_NS0_5tupleIJNSE_INS8_ISJ_NS7_16discard_iteratorINS7_11use_defaultEEES9_S9_S9_S9_S9_S9_S9_S9_EEEESB_EEENSN_IJSM_SM_EEESB_PlJNSF_9not_fun_tINSF_14equal_to_valueISA_EEEEEEE10hipError_tPvRmT3_T4_T5_T6_T7_T9_mT8_P12ihipStream_tbDpT10_ENKUlT_T0_E_clISt17integral_constantIbLb1EES1I_IbLb0EEEEDaS1E_S1F_EUlS1E_E_NS1_11comp_targetILNS1_3genE0ELNS1_11target_archE4294967295ELNS1_3gpuE0ELNS1_3repE0EEENS1_30default_config_static_selectorELNS0_4arch9wavefront6targetE0EEEvT1_.uses_vcc, 0
	.set _ZN7rocprim17ROCPRIM_400000_NS6detail17trampoline_kernelINS0_14default_configENS1_25partition_config_selectorILNS1_17partition_subalgoE6EN6thrust23THRUST_200600_302600_NS5tupleIffNS7_9null_typeES9_S9_S9_S9_S9_S9_S9_EENS0_10empty_typeEbEEZZNS1_14partition_implILS5_6ELb0ES3_mNS7_12zip_iteratorINS8_INS7_6detail15normal_iteratorINS7_10device_ptrIfEEEESJ_S9_S9_S9_S9_S9_S9_S9_S9_EEEEPSB_SM_NS0_5tupleIJNSE_INS8_ISJ_NS7_16discard_iteratorINS7_11use_defaultEEES9_S9_S9_S9_S9_S9_S9_S9_EEEESB_EEENSN_IJSM_SM_EEESB_PlJNSF_9not_fun_tINSF_14equal_to_valueISA_EEEEEEE10hipError_tPvRmT3_T4_T5_T6_T7_T9_mT8_P12ihipStream_tbDpT10_ENKUlT_T0_E_clISt17integral_constantIbLb1EES1I_IbLb0EEEEDaS1E_S1F_EUlS1E_E_NS1_11comp_targetILNS1_3genE0ELNS1_11target_archE4294967295ELNS1_3gpuE0ELNS1_3repE0EEENS1_30default_config_static_selectorELNS0_4arch9wavefront6targetE0EEEvT1_.uses_flat_scratch, 0
	.set _ZN7rocprim17ROCPRIM_400000_NS6detail17trampoline_kernelINS0_14default_configENS1_25partition_config_selectorILNS1_17partition_subalgoE6EN6thrust23THRUST_200600_302600_NS5tupleIffNS7_9null_typeES9_S9_S9_S9_S9_S9_S9_EENS0_10empty_typeEbEEZZNS1_14partition_implILS5_6ELb0ES3_mNS7_12zip_iteratorINS8_INS7_6detail15normal_iteratorINS7_10device_ptrIfEEEESJ_S9_S9_S9_S9_S9_S9_S9_S9_EEEEPSB_SM_NS0_5tupleIJNSE_INS8_ISJ_NS7_16discard_iteratorINS7_11use_defaultEEES9_S9_S9_S9_S9_S9_S9_S9_EEEESB_EEENSN_IJSM_SM_EEESB_PlJNSF_9not_fun_tINSF_14equal_to_valueISA_EEEEEEE10hipError_tPvRmT3_T4_T5_T6_T7_T9_mT8_P12ihipStream_tbDpT10_ENKUlT_T0_E_clISt17integral_constantIbLb1EES1I_IbLb0EEEEDaS1E_S1F_EUlS1E_E_NS1_11comp_targetILNS1_3genE0ELNS1_11target_archE4294967295ELNS1_3gpuE0ELNS1_3repE0EEENS1_30default_config_static_selectorELNS0_4arch9wavefront6targetE0EEEvT1_.has_dyn_sized_stack, 0
	.set _ZN7rocprim17ROCPRIM_400000_NS6detail17trampoline_kernelINS0_14default_configENS1_25partition_config_selectorILNS1_17partition_subalgoE6EN6thrust23THRUST_200600_302600_NS5tupleIffNS7_9null_typeES9_S9_S9_S9_S9_S9_S9_EENS0_10empty_typeEbEEZZNS1_14partition_implILS5_6ELb0ES3_mNS7_12zip_iteratorINS8_INS7_6detail15normal_iteratorINS7_10device_ptrIfEEEESJ_S9_S9_S9_S9_S9_S9_S9_S9_EEEEPSB_SM_NS0_5tupleIJNSE_INS8_ISJ_NS7_16discard_iteratorINS7_11use_defaultEEES9_S9_S9_S9_S9_S9_S9_S9_EEEESB_EEENSN_IJSM_SM_EEESB_PlJNSF_9not_fun_tINSF_14equal_to_valueISA_EEEEEEE10hipError_tPvRmT3_T4_T5_T6_T7_T9_mT8_P12ihipStream_tbDpT10_ENKUlT_T0_E_clISt17integral_constantIbLb1EES1I_IbLb0EEEEDaS1E_S1F_EUlS1E_E_NS1_11comp_targetILNS1_3genE0ELNS1_11target_archE4294967295ELNS1_3gpuE0ELNS1_3repE0EEENS1_30default_config_static_selectorELNS0_4arch9wavefront6targetE0EEEvT1_.has_recursion, 0
	.set _ZN7rocprim17ROCPRIM_400000_NS6detail17trampoline_kernelINS0_14default_configENS1_25partition_config_selectorILNS1_17partition_subalgoE6EN6thrust23THRUST_200600_302600_NS5tupleIffNS7_9null_typeES9_S9_S9_S9_S9_S9_S9_EENS0_10empty_typeEbEEZZNS1_14partition_implILS5_6ELb0ES3_mNS7_12zip_iteratorINS8_INS7_6detail15normal_iteratorINS7_10device_ptrIfEEEESJ_S9_S9_S9_S9_S9_S9_S9_S9_EEEEPSB_SM_NS0_5tupleIJNSE_INS8_ISJ_NS7_16discard_iteratorINS7_11use_defaultEEES9_S9_S9_S9_S9_S9_S9_S9_EEEESB_EEENSN_IJSM_SM_EEESB_PlJNSF_9not_fun_tINSF_14equal_to_valueISA_EEEEEEE10hipError_tPvRmT3_T4_T5_T6_T7_T9_mT8_P12ihipStream_tbDpT10_ENKUlT_T0_E_clISt17integral_constantIbLb1EES1I_IbLb0EEEEDaS1E_S1F_EUlS1E_E_NS1_11comp_targetILNS1_3genE0ELNS1_11target_archE4294967295ELNS1_3gpuE0ELNS1_3repE0EEENS1_30default_config_static_selectorELNS0_4arch9wavefront6targetE0EEEvT1_.has_indirect_call, 0
	.section	.AMDGPU.csdata,"",@progbits
; Kernel info:
; codeLenInByte = 0
; TotalNumSgprs: 0
; NumVgprs: 0
; ScratchSize: 0
; MemoryBound: 0
; FloatMode: 240
; IeeeMode: 1
; LDSByteSize: 0 bytes/workgroup (compile time only)
; SGPRBlocks: 0
; VGPRBlocks: 0
; NumSGPRsForWavesPerEU: 1
; NumVGPRsForWavesPerEU: 1
; Occupancy: 16
; WaveLimiterHint : 0
; COMPUTE_PGM_RSRC2:SCRATCH_EN: 0
; COMPUTE_PGM_RSRC2:USER_SGPR: 2
; COMPUTE_PGM_RSRC2:TRAP_HANDLER: 0
; COMPUTE_PGM_RSRC2:TGID_X_EN: 1
; COMPUTE_PGM_RSRC2:TGID_Y_EN: 0
; COMPUTE_PGM_RSRC2:TGID_Z_EN: 0
; COMPUTE_PGM_RSRC2:TIDIG_COMP_CNT: 0
	.section	.text._ZN7rocprim17ROCPRIM_400000_NS6detail17trampoline_kernelINS0_14default_configENS1_25partition_config_selectorILNS1_17partition_subalgoE6EN6thrust23THRUST_200600_302600_NS5tupleIffNS7_9null_typeES9_S9_S9_S9_S9_S9_S9_EENS0_10empty_typeEbEEZZNS1_14partition_implILS5_6ELb0ES3_mNS7_12zip_iteratorINS8_INS7_6detail15normal_iteratorINS7_10device_ptrIfEEEESJ_S9_S9_S9_S9_S9_S9_S9_S9_EEEEPSB_SM_NS0_5tupleIJNSE_INS8_ISJ_NS7_16discard_iteratorINS7_11use_defaultEEES9_S9_S9_S9_S9_S9_S9_S9_EEEESB_EEENSN_IJSM_SM_EEESB_PlJNSF_9not_fun_tINSF_14equal_to_valueISA_EEEEEEE10hipError_tPvRmT3_T4_T5_T6_T7_T9_mT8_P12ihipStream_tbDpT10_ENKUlT_T0_E_clISt17integral_constantIbLb1EES1I_IbLb0EEEEDaS1E_S1F_EUlS1E_E_NS1_11comp_targetILNS1_3genE5ELNS1_11target_archE942ELNS1_3gpuE9ELNS1_3repE0EEENS1_30default_config_static_selectorELNS0_4arch9wavefront6targetE0EEEvT1_,"axG",@progbits,_ZN7rocprim17ROCPRIM_400000_NS6detail17trampoline_kernelINS0_14default_configENS1_25partition_config_selectorILNS1_17partition_subalgoE6EN6thrust23THRUST_200600_302600_NS5tupleIffNS7_9null_typeES9_S9_S9_S9_S9_S9_S9_EENS0_10empty_typeEbEEZZNS1_14partition_implILS5_6ELb0ES3_mNS7_12zip_iteratorINS8_INS7_6detail15normal_iteratorINS7_10device_ptrIfEEEESJ_S9_S9_S9_S9_S9_S9_S9_S9_EEEEPSB_SM_NS0_5tupleIJNSE_INS8_ISJ_NS7_16discard_iteratorINS7_11use_defaultEEES9_S9_S9_S9_S9_S9_S9_S9_EEEESB_EEENSN_IJSM_SM_EEESB_PlJNSF_9not_fun_tINSF_14equal_to_valueISA_EEEEEEE10hipError_tPvRmT3_T4_T5_T6_T7_T9_mT8_P12ihipStream_tbDpT10_ENKUlT_T0_E_clISt17integral_constantIbLb1EES1I_IbLb0EEEEDaS1E_S1F_EUlS1E_E_NS1_11comp_targetILNS1_3genE5ELNS1_11target_archE942ELNS1_3gpuE9ELNS1_3repE0EEENS1_30default_config_static_selectorELNS0_4arch9wavefront6targetE0EEEvT1_,comdat
	.protected	_ZN7rocprim17ROCPRIM_400000_NS6detail17trampoline_kernelINS0_14default_configENS1_25partition_config_selectorILNS1_17partition_subalgoE6EN6thrust23THRUST_200600_302600_NS5tupleIffNS7_9null_typeES9_S9_S9_S9_S9_S9_S9_EENS0_10empty_typeEbEEZZNS1_14partition_implILS5_6ELb0ES3_mNS7_12zip_iteratorINS8_INS7_6detail15normal_iteratorINS7_10device_ptrIfEEEESJ_S9_S9_S9_S9_S9_S9_S9_S9_EEEEPSB_SM_NS0_5tupleIJNSE_INS8_ISJ_NS7_16discard_iteratorINS7_11use_defaultEEES9_S9_S9_S9_S9_S9_S9_S9_EEEESB_EEENSN_IJSM_SM_EEESB_PlJNSF_9not_fun_tINSF_14equal_to_valueISA_EEEEEEE10hipError_tPvRmT3_T4_T5_T6_T7_T9_mT8_P12ihipStream_tbDpT10_ENKUlT_T0_E_clISt17integral_constantIbLb1EES1I_IbLb0EEEEDaS1E_S1F_EUlS1E_E_NS1_11comp_targetILNS1_3genE5ELNS1_11target_archE942ELNS1_3gpuE9ELNS1_3repE0EEENS1_30default_config_static_selectorELNS0_4arch9wavefront6targetE0EEEvT1_ ; -- Begin function _ZN7rocprim17ROCPRIM_400000_NS6detail17trampoline_kernelINS0_14default_configENS1_25partition_config_selectorILNS1_17partition_subalgoE6EN6thrust23THRUST_200600_302600_NS5tupleIffNS7_9null_typeES9_S9_S9_S9_S9_S9_S9_EENS0_10empty_typeEbEEZZNS1_14partition_implILS5_6ELb0ES3_mNS7_12zip_iteratorINS8_INS7_6detail15normal_iteratorINS7_10device_ptrIfEEEESJ_S9_S9_S9_S9_S9_S9_S9_S9_EEEEPSB_SM_NS0_5tupleIJNSE_INS8_ISJ_NS7_16discard_iteratorINS7_11use_defaultEEES9_S9_S9_S9_S9_S9_S9_S9_EEEESB_EEENSN_IJSM_SM_EEESB_PlJNSF_9not_fun_tINSF_14equal_to_valueISA_EEEEEEE10hipError_tPvRmT3_T4_T5_T6_T7_T9_mT8_P12ihipStream_tbDpT10_ENKUlT_T0_E_clISt17integral_constantIbLb1EES1I_IbLb0EEEEDaS1E_S1F_EUlS1E_E_NS1_11comp_targetILNS1_3genE5ELNS1_11target_archE942ELNS1_3gpuE9ELNS1_3repE0EEENS1_30default_config_static_selectorELNS0_4arch9wavefront6targetE0EEEvT1_
	.globl	_ZN7rocprim17ROCPRIM_400000_NS6detail17trampoline_kernelINS0_14default_configENS1_25partition_config_selectorILNS1_17partition_subalgoE6EN6thrust23THRUST_200600_302600_NS5tupleIffNS7_9null_typeES9_S9_S9_S9_S9_S9_S9_EENS0_10empty_typeEbEEZZNS1_14partition_implILS5_6ELb0ES3_mNS7_12zip_iteratorINS8_INS7_6detail15normal_iteratorINS7_10device_ptrIfEEEESJ_S9_S9_S9_S9_S9_S9_S9_S9_EEEEPSB_SM_NS0_5tupleIJNSE_INS8_ISJ_NS7_16discard_iteratorINS7_11use_defaultEEES9_S9_S9_S9_S9_S9_S9_S9_EEEESB_EEENSN_IJSM_SM_EEESB_PlJNSF_9not_fun_tINSF_14equal_to_valueISA_EEEEEEE10hipError_tPvRmT3_T4_T5_T6_T7_T9_mT8_P12ihipStream_tbDpT10_ENKUlT_T0_E_clISt17integral_constantIbLb1EES1I_IbLb0EEEEDaS1E_S1F_EUlS1E_E_NS1_11comp_targetILNS1_3genE5ELNS1_11target_archE942ELNS1_3gpuE9ELNS1_3repE0EEENS1_30default_config_static_selectorELNS0_4arch9wavefront6targetE0EEEvT1_
	.p2align	8
	.type	_ZN7rocprim17ROCPRIM_400000_NS6detail17trampoline_kernelINS0_14default_configENS1_25partition_config_selectorILNS1_17partition_subalgoE6EN6thrust23THRUST_200600_302600_NS5tupleIffNS7_9null_typeES9_S9_S9_S9_S9_S9_S9_EENS0_10empty_typeEbEEZZNS1_14partition_implILS5_6ELb0ES3_mNS7_12zip_iteratorINS8_INS7_6detail15normal_iteratorINS7_10device_ptrIfEEEESJ_S9_S9_S9_S9_S9_S9_S9_S9_EEEEPSB_SM_NS0_5tupleIJNSE_INS8_ISJ_NS7_16discard_iteratorINS7_11use_defaultEEES9_S9_S9_S9_S9_S9_S9_S9_EEEESB_EEENSN_IJSM_SM_EEESB_PlJNSF_9not_fun_tINSF_14equal_to_valueISA_EEEEEEE10hipError_tPvRmT3_T4_T5_T6_T7_T9_mT8_P12ihipStream_tbDpT10_ENKUlT_T0_E_clISt17integral_constantIbLb1EES1I_IbLb0EEEEDaS1E_S1F_EUlS1E_E_NS1_11comp_targetILNS1_3genE5ELNS1_11target_archE942ELNS1_3gpuE9ELNS1_3repE0EEENS1_30default_config_static_selectorELNS0_4arch9wavefront6targetE0EEEvT1_,@function
_ZN7rocprim17ROCPRIM_400000_NS6detail17trampoline_kernelINS0_14default_configENS1_25partition_config_selectorILNS1_17partition_subalgoE6EN6thrust23THRUST_200600_302600_NS5tupleIffNS7_9null_typeES9_S9_S9_S9_S9_S9_S9_EENS0_10empty_typeEbEEZZNS1_14partition_implILS5_6ELb0ES3_mNS7_12zip_iteratorINS8_INS7_6detail15normal_iteratorINS7_10device_ptrIfEEEESJ_S9_S9_S9_S9_S9_S9_S9_S9_EEEEPSB_SM_NS0_5tupleIJNSE_INS8_ISJ_NS7_16discard_iteratorINS7_11use_defaultEEES9_S9_S9_S9_S9_S9_S9_S9_EEEESB_EEENSN_IJSM_SM_EEESB_PlJNSF_9not_fun_tINSF_14equal_to_valueISA_EEEEEEE10hipError_tPvRmT3_T4_T5_T6_T7_T9_mT8_P12ihipStream_tbDpT10_ENKUlT_T0_E_clISt17integral_constantIbLb1EES1I_IbLb0EEEEDaS1E_S1F_EUlS1E_E_NS1_11comp_targetILNS1_3genE5ELNS1_11target_archE942ELNS1_3gpuE9ELNS1_3repE0EEENS1_30default_config_static_selectorELNS0_4arch9wavefront6targetE0EEEvT1_: ; @_ZN7rocprim17ROCPRIM_400000_NS6detail17trampoline_kernelINS0_14default_configENS1_25partition_config_selectorILNS1_17partition_subalgoE6EN6thrust23THRUST_200600_302600_NS5tupleIffNS7_9null_typeES9_S9_S9_S9_S9_S9_S9_EENS0_10empty_typeEbEEZZNS1_14partition_implILS5_6ELb0ES3_mNS7_12zip_iteratorINS8_INS7_6detail15normal_iteratorINS7_10device_ptrIfEEEESJ_S9_S9_S9_S9_S9_S9_S9_S9_EEEEPSB_SM_NS0_5tupleIJNSE_INS8_ISJ_NS7_16discard_iteratorINS7_11use_defaultEEES9_S9_S9_S9_S9_S9_S9_S9_EEEESB_EEENSN_IJSM_SM_EEESB_PlJNSF_9not_fun_tINSF_14equal_to_valueISA_EEEEEEE10hipError_tPvRmT3_T4_T5_T6_T7_T9_mT8_P12ihipStream_tbDpT10_ENKUlT_T0_E_clISt17integral_constantIbLb1EES1I_IbLb0EEEEDaS1E_S1F_EUlS1E_E_NS1_11comp_targetILNS1_3genE5ELNS1_11target_archE942ELNS1_3gpuE9ELNS1_3repE0EEENS1_30default_config_static_selectorELNS0_4arch9wavefront6targetE0EEEvT1_
; %bb.0:
	.section	.rodata,"a",@progbits
	.p2align	6, 0x0
	.amdhsa_kernel _ZN7rocprim17ROCPRIM_400000_NS6detail17trampoline_kernelINS0_14default_configENS1_25partition_config_selectorILNS1_17partition_subalgoE6EN6thrust23THRUST_200600_302600_NS5tupleIffNS7_9null_typeES9_S9_S9_S9_S9_S9_S9_EENS0_10empty_typeEbEEZZNS1_14partition_implILS5_6ELb0ES3_mNS7_12zip_iteratorINS8_INS7_6detail15normal_iteratorINS7_10device_ptrIfEEEESJ_S9_S9_S9_S9_S9_S9_S9_S9_EEEEPSB_SM_NS0_5tupleIJNSE_INS8_ISJ_NS7_16discard_iteratorINS7_11use_defaultEEES9_S9_S9_S9_S9_S9_S9_S9_EEEESB_EEENSN_IJSM_SM_EEESB_PlJNSF_9not_fun_tINSF_14equal_to_valueISA_EEEEEEE10hipError_tPvRmT3_T4_T5_T6_T7_T9_mT8_P12ihipStream_tbDpT10_ENKUlT_T0_E_clISt17integral_constantIbLb1EES1I_IbLb0EEEEDaS1E_S1F_EUlS1E_E_NS1_11comp_targetILNS1_3genE5ELNS1_11target_archE942ELNS1_3gpuE9ELNS1_3repE0EEENS1_30default_config_static_selectorELNS0_4arch9wavefront6targetE0EEEvT1_
		.amdhsa_group_segment_fixed_size 0
		.amdhsa_private_segment_fixed_size 0
		.amdhsa_kernarg_size 144
		.amdhsa_user_sgpr_count 2
		.amdhsa_user_sgpr_dispatch_ptr 0
		.amdhsa_user_sgpr_queue_ptr 0
		.amdhsa_user_sgpr_kernarg_segment_ptr 1
		.amdhsa_user_sgpr_dispatch_id 0
		.amdhsa_user_sgpr_private_segment_size 0
		.amdhsa_wavefront_size32 1
		.amdhsa_uses_dynamic_stack 0
		.amdhsa_enable_private_segment 0
		.amdhsa_system_sgpr_workgroup_id_x 1
		.amdhsa_system_sgpr_workgroup_id_y 0
		.amdhsa_system_sgpr_workgroup_id_z 0
		.amdhsa_system_sgpr_workgroup_info 0
		.amdhsa_system_vgpr_workitem_id 0
		.amdhsa_next_free_vgpr 1
		.amdhsa_next_free_sgpr 1
		.amdhsa_reserve_vcc 0
		.amdhsa_float_round_mode_32 0
		.amdhsa_float_round_mode_16_64 0
		.amdhsa_float_denorm_mode_32 3
		.amdhsa_float_denorm_mode_16_64 3
		.amdhsa_fp16_overflow 0
		.amdhsa_workgroup_processor_mode 1
		.amdhsa_memory_ordered 1
		.amdhsa_forward_progress 1
		.amdhsa_inst_pref_size 0
		.amdhsa_round_robin_scheduling 0
		.amdhsa_exception_fp_ieee_invalid_op 0
		.amdhsa_exception_fp_denorm_src 0
		.amdhsa_exception_fp_ieee_div_zero 0
		.amdhsa_exception_fp_ieee_overflow 0
		.amdhsa_exception_fp_ieee_underflow 0
		.amdhsa_exception_fp_ieee_inexact 0
		.amdhsa_exception_int_div_zero 0
	.end_amdhsa_kernel
	.section	.text._ZN7rocprim17ROCPRIM_400000_NS6detail17trampoline_kernelINS0_14default_configENS1_25partition_config_selectorILNS1_17partition_subalgoE6EN6thrust23THRUST_200600_302600_NS5tupleIffNS7_9null_typeES9_S9_S9_S9_S9_S9_S9_EENS0_10empty_typeEbEEZZNS1_14partition_implILS5_6ELb0ES3_mNS7_12zip_iteratorINS8_INS7_6detail15normal_iteratorINS7_10device_ptrIfEEEESJ_S9_S9_S9_S9_S9_S9_S9_S9_EEEEPSB_SM_NS0_5tupleIJNSE_INS8_ISJ_NS7_16discard_iteratorINS7_11use_defaultEEES9_S9_S9_S9_S9_S9_S9_S9_EEEESB_EEENSN_IJSM_SM_EEESB_PlJNSF_9not_fun_tINSF_14equal_to_valueISA_EEEEEEE10hipError_tPvRmT3_T4_T5_T6_T7_T9_mT8_P12ihipStream_tbDpT10_ENKUlT_T0_E_clISt17integral_constantIbLb1EES1I_IbLb0EEEEDaS1E_S1F_EUlS1E_E_NS1_11comp_targetILNS1_3genE5ELNS1_11target_archE942ELNS1_3gpuE9ELNS1_3repE0EEENS1_30default_config_static_selectorELNS0_4arch9wavefront6targetE0EEEvT1_,"axG",@progbits,_ZN7rocprim17ROCPRIM_400000_NS6detail17trampoline_kernelINS0_14default_configENS1_25partition_config_selectorILNS1_17partition_subalgoE6EN6thrust23THRUST_200600_302600_NS5tupleIffNS7_9null_typeES9_S9_S9_S9_S9_S9_S9_EENS0_10empty_typeEbEEZZNS1_14partition_implILS5_6ELb0ES3_mNS7_12zip_iteratorINS8_INS7_6detail15normal_iteratorINS7_10device_ptrIfEEEESJ_S9_S9_S9_S9_S9_S9_S9_S9_EEEEPSB_SM_NS0_5tupleIJNSE_INS8_ISJ_NS7_16discard_iteratorINS7_11use_defaultEEES9_S9_S9_S9_S9_S9_S9_S9_EEEESB_EEENSN_IJSM_SM_EEESB_PlJNSF_9not_fun_tINSF_14equal_to_valueISA_EEEEEEE10hipError_tPvRmT3_T4_T5_T6_T7_T9_mT8_P12ihipStream_tbDpT10_ENKUlT_T0_E_clISt17integral_constantIbLb1EES1I_IbLb0EEEEDaS1E_S1F_EUlS1E_E_NS1_11comp_targetILNS1_3genE5ELNS1_11target_archE942ELNS1_3gpuE9ELNS1_3repE0EEENS1_30default_config_static_selectorELNS0_4arch9wavefront6targetE0EEEvT1_,comdat
.Lfunc_end1870:
	.size	_ZN7rocprim17ROCPRIM_400000_NS6detail17trampoline_kernelINS0_14default_configENS1_25partition_config_selectorILNS1_17partition_subalgoE6EN6thrust23THRUST_200600_302600_NS5tupleIffNS7_9null_typeES9_S9_S9_S9_S9_S9_S9_EENS0_10empty_typeEbEEZZNS1_14partition_implILS5_6ELb0ES3_mNS7_12zip_iteratorINS8_INS7_6detail15normal_iteratorINS7_10device_ptrIfEEEESJ_S9_S9_S9_S9_S9_S9_S9_S9_EEEEPSB_SM_NS0_5tupleIJNSE_INS8_ISJ_NS7_16discard_iteratorINS7_11use_defaultEEES9_S9_S9_S9_S9_S9_S9_S9_EEEESB_EEENSN_IJSM_SM_EEESB_PlJNSF_9not_fun_tINSF_14equal_to_valueISA_EEEEEEE10hipError_tPvRmT3_T4_T5_T6_T7_T9_mT8_P12ihipStream_tbDpT10_ENKUlT_T0_E_clISt17integral_constantIbLb1EES1I_IbLb0EEEEDaS1E_S1F_EUlS1E_E_NS1_11comp_targetILNS1_3genE5ELNS1_11target_archE942ELNS1_3gpuE9ELNS1_3repE0EEENS1_30default_config_static_selectorELNS0_4arch9wavefront6targetE0EEEvT1_, .Lfunc_end1870-_ZN7rocprim17ROCPRIM_400000_NS6detail17trampoline_kernelINS0_14default_configENS1_25partition_config_selectorILNS1_17partition_subalgoE6EN6thrust23THRUST_200600_302600_NS5tupleIffNS7_9null_typeES9_S9_S9_S9_S9_S9_S9_EENS0_10empty_typeEbEEZZNS1_14partition_implILS5_6ELb0ES3_mNS7_12zip_iteratorINS8_INS7_6detail15normal_iteratorINS7_10device_ptrIfEEEESJ_S9_S9_S9_S9_S9_S9_S9_S9_EEEEPSB_SM_NS0_5tupleIJNSE_INS8_ISJ_NS7_16discard_iteratorINS7_11use_defaultEEES9_S9_S9_S9_S9_S9_S9_S9_EEEESB_EEENSN_IJSM_SM_EEESB_PlJNSF_9not_fun_tINSF_14equal_to_valueISA_EEEEEEE10hipError_tPvRmT3_T4_T5_T6_T7_T9_mT8_P12ihipStream_tbDpT10_ENKUlT_T0_E_clISt17integral_constantIbLb1EES1I_IbLb0EEEEDaS1E_S1F_EUlS1E_E_NS1_11comp_targetILNS1_3genE5ELNS1_11target_archE942ELNS1_3gpuE9ELNS1_3repE0EEENS1_30default_config_static_selectorELNS0_4arch9wavefront6targetE0EEEvT1_
                                        ; -- End function
	.set _ZN7rocprim17ROCPRIM_400000_NS6detail17trampoline_kernelINS0_14default_configENS1_25partition_config_selectorILNS1_17partition_subalgoE6EN6thrust23THRUST_200600_302600_NS5tupleIffNS7_9null_typeES9_S9_S9_S9_S9_S9_S9_EENS0_10empty_typeEbEEZZNS1_14partition_implILS5_6ELb0ES3_mNS7_12zip_iteratorINS8_INS7_6detail15normal_iteratorINS7_10device_ptrIfEEEESJ_S9_S9_S9_S9_S9_S9_S9_S9_EEEEPSB_SM_NS0_5tupleIJNSE_INS8_ISJ_NS7_16discard_iteratorINS7_11use_defaultEEES9_S9_S9_S9_S9_S9_S9_S9_EEEESB_EEENSN_IJSM_SM_EEESB_PlJNSF_9not_fun_tINSF_14equal_to_valueISA_EEEEEEE10hipError_tPvRmT3_T4_T5_T6_T7_T9_mT8_P12ihipStream_tbDpT10_ENKUlT_T0_E_clISt17integral_constantIbLb1EES1I_IbLb0EEEEDaS1E_S1F_EUlS1E_E_NS1_11comp_targetILNS1_3genE5ELNS1_11target_archE942ELNS1_3gpuE9ELNS1_3repE0EEENS1_30default_config_static_selectorELNS0_4arch9wavefront6targetE0EEEvT1_.num_vgpr, 0
	.set _ZN7rocprim17ROCPRIM_400000_NS6detail17trampoline_kernelINS0_14default_configENS1_25partition_config_selectorILNS1_17partition_subalgoE6EN6thrust23THRUST_200600_302600_NS5tupleIffNS7_9null_typeES9_S9_S9_S9_S9_S9_S9_EENS0_10empty_typeEbEEZZNS1_14partition_implILS5_6ELb0ES3_mNS7_12zip_iteratorINS8_INS7_6detail15normal_iteratorINS7_10device_ptrIfEEEESJ_S9_S9_S9_S9_S9_S9_S9_S9_EEEEPSB_SM_NS0_5tupleIJNSE_INS8_ISJ_NS7_16discard_iteratorINS7_11use_defaultEEES9_S9_S9_S9_S9_S9_S9_S9_EEEESB_EEENSN_IJSM_SM_EEESB_PlJNSF_9not_fun_tINSF_14equal_to_valueISA_EEEEEEE10hipError_tPvRmT3_T4_T5_T6_T7_T9_mT8_P12ihipStream_tbDpT10_ENKUlT_T0_E_clISt17integral_constantIbLb1EES1I_IbLb0EEEEDaS1E_S1F_EUlS1E_E_NS1_11comp_targetILNS1_3genE5ELNS1_11target_archE942ELNS1_3gpuE9ELNS1_3repE0EEENS1_30default_config_static_selectorELNS0_4arch9wavefront6targetE0EEEvT1_.num_agpr, 0
	.set _ZN7rocprim17ROCPRIM_400000_NS6detail17trampoline_kernelINS0_14default_configENS1_25partition_config_selectorILNS1_17partition_subalgoE6EN6thrust23THRUST_200600_302600_NS5tupleIffNS7_9null_typeES9_S9_S9_S9_S9_S9_S9_EENS0_10empty_typeEbEEZZNS1_14partition_implILS5_6ELb0ES3_mNS7_12zip_iteratorINS8_INS7_6detail15normal_iteratorINS7_10device_ptrIfEEEESJ_S9_S9_S9_S9_S9_S9_S9_S9_EEEEPSB_SM_NS0_5tupleIJNSE_INS8_ISJ_NS7_16discard_iteratorINS7_11use_defaultEEES9_S9_S9_S9_S9_S9_S9_S9_EEEESB_EEENSN_IJSM_SM_EEESB_PlJNSF_9not_fun_tINSF_14equal_to_valueISA_EEEEEEE10hipError_tPvRmT3_T4_T5_T6_T7_T9_mT8_P12ihipStream_tbDpT10_ENKUlT_T0_E_clISt17integral_constantIbLb1EES1I_IbLb0EEEEDaS1E_S1F_EUlS1E_E_NS1_11comp_targetILNS1_3genE5ELNS1_11target_archE942ELNS1_3gpuE9ELNS1_3repE0EEENS1_30default_config_static_selectorELNS0_4arch9wavefront6targetE0EEEvT1_.numbered_sgpr, 0
	.set _ZN7rocprim17ROCPRIM_400000_NS6detail17trampoline_kernelINS0_14default_configENS1_25partition_config_selectorILNS1_17partition_subalgoE6EN6thrust23THRUST_200600_302600_NS5tupleIffNS7_9null_typeES9_S9_S9_S9_S9_S9_S9_EENS0_10empty_typeEbEEZZNS1_14partition_implILS5_6ELb0ES3_mNS7_12zip_iteratorINS8_INS7_6detail15normal_iteratorINS7_10device_ptrIfEEEESJ_S9_S9_S9_S9_S9_S9_S9_S9_EEEEPSB_SM_NS0_5tupleIJNSE_INS8_ISJ_NS7_16discard_iteratorINS7_11use_defaultEEES9_S9_S9_S9_S9_S9_S9_S9_EEEESB_EEENSN_IJSM_SM_EEESB_PlJNSF_9not_fun_tINSF_14equal_to_valueISA_EEEEEEE10hipError_tPvRmT3_T4_T5_T6_T7_T9_mT8_P12ihipStream_tbDpT10_ENKUlT_T0_E_clISt17integral_constantIbLb1EES1I_IbLb0EEEEDaS1E_S1F_EUlS1E_E_NS1_11comp_targetILNS1_3genE5ELNS1_11target_archE942ELNS1_3gpuE9ELNS1_3repE0EEENS1_30default_config_static_selectorELNS0_4arch9wavefront6targetE0EEEvT1_.num_named_barrier, 0
	.set _ZN7rocprim17ROCPRIM_400000_NS6detail17trampoline_kernelINS0_14default_configENS1_25partition_config_selectorILNS1_17partition_subalgoE6EN6thrust23THRUST_200600_302600_NS5tupleIffNS7_9null_typeES9_S9_S9_S9_S9_S9_S9_EENS0_10empty_typeEbEEZZNS1_14partition_implILS5_6ELb0ES3_mNS7_12zip_iteratorINS8_INS7_6detail15normal_iteratorINS7_10device_ptrIfEEEESJ_S9_S9_S9_S9_S9_S9_S9_S9_EEEEPSB_SM_NS0_5tupleIJNSE_INS8_ISJ_NS7_16discard_iteratorINS7_11use_defaultEEES9_S9_S9_S9_S9_S9_S9_S9_EEEESB_EEENSN_IJSM_SM_EEESB_PlJNSF_9not_fun_tINSF_14equal_to_valueISA_EEEEEEE10hipError_tPvRmT3_T4_T5_T6_T7_T9_mT8_P12ihipStream_tbDpT10_ENKUlT_T0_E_clISt17integral_constantIbLb1EES1I_IbLb0EEEEDaS1E_S1F_EUlS1E_E_NS1_11comp_targetILNS1_3genE5ELNS1_11target_archE942ELNS1_3gpuE9ELNS1_3repE0EEENS1_30default_config_static_selectorELNS0_4arch9wavefront6targetE0EEEvT1_.private_seg_size, 0
	.set _ZN7rocprim17ROCPRIM_400000_NS6detail17trampoline_kernelINS0_14default_configENS1_25partition_config_selectorILNS1_17partition_subalgoE6EN6thrust23THRUST_200600_302600_NS5tupleIffNS7_9null_typeES9_S9_S9_S9_S9_S9_S9_EENS0_10empty_typeEbEEZZNS1_14partition_implILS5_6ELb0ES3_mNS7_12zip_iteratorINS8_INS7_6detail15normal_iteratorINS7_10device_ptrIfEEEESJ_S9_S9_S9_S9_S9_S9_S9_S9_EEEEPSB_SM_NS0_5tupleIJNSE_INS8_ISJ_NS7_16discard_iteratorINS7_11use_defaultEEES9_S9_S9_S9_S9_S9_S9_S9_EEEESB_EEENSN_IJSM_SM_EEESB_PlJNSF_9not_fun_tINSF_14equal_to_valueISA_EEEEEEE10hipError_tPvRmT3_T4_T5_T6_T7_T9_mT8_P12ihipStream_tbDpT10_ENKUlT_T0_E_clISt17integral_constantIbLb1EES1I_IbLb0EEEEDaS1E_S1F_EUlS1E_E_NS1_11comp_targetILNS1_3genE5ELNS1_11target_archE942ELNS1_3gpuE9ELNS1_3repE0EEENS1_30default_config_static_selectorELNS0_4arch9wavefront6targetE0EEEvT1_.uses_vcc, 0
	.set _ZN7rocprim17ROCPRIM_400000_NS6detail17trampoline_kernelINS0_14default_configENS1_25partition_config_selectorILNS1_17partition_subalgoE6EN6thrust23THRUST_200600_302600_NS5tupleIffNS7_9null_typeES9_S9_S9_S9_S9_S9_S9_EENS0_10empty_typeEbEEZZNS1_14partition_implILS5_6ELb0ES3_mNS7_12zip_iteratorINS8_INS7_6detail15normal_iteratorINS7_10device_ptrIfEEEESJ_S9_S9_S9_S9_S9_S9_S9_S9_EEEEPSB_SM_NS0_5tupleIJNSE_INS8_ISJ_NS7_16discard_iteratorINS7_11use_defaultEEES9_S9_S9_S9_S9_S9_S9_S9_EEEESB_EEENSN_IJSM_SM_EEESB_PlJNSF_9not_fun_tINSF_14equal_to_valueISA_EEEEEEE10hipError_tPvRmT3_T4_T5_T6_T7_T9_mT8_P12ihipStream_tbDpT10_ENKUlT_T0_E_clISt17integral_constantIbLb1EES1I_IbLb0EEEEDaS1E_S1F_EUlS1E_E_NS1_11comp_targetILNS1_3genE5ELNS1_11target_archE942ELNS1_3gpuE9ELNS1_3repE0EEENS1_30default_config_static_selectorELNS0_4arch9wavefront6targetE0EEEvT1_.uses_flat_scratch, 0
	.set _ZN7rocprim17ROCPRIM_400000_NS6detail17trampoline_kernelINS0_14default_configENS1_25partition_config_selectorILNS1_17partition_subalgoE6EN6thrust23THRUST_200600_302600_NS5tupleIffNS7_9null_typeES9_S9_S9_S9_S9_S9_S9_EENS0_10empty_typeEbEEZZNS1_14partition_implILS5_6ELb0ES3_mNS7_12zip_iteratorINS8_INS7_6detail15normal_iteratorINS7_10device_ptrIfEEEESJ_S9_S9_S9_S9_S9_S9_S9_S9_EEEEPSB_SM_NS0_5tupleIJNSE_INS8_ISJ_NS7_16discard_iteratorINS7_11use_defaultEEES9_S9_S9_S9_S9_S9_S9_S9_EEEESB_EEENSN_IJSM_SM_EEESB_PlJNSF_9not_fun_tINSF_14equal_to_valueISA_EEEEEEE10hipError_tPvRmT3_T4_T5_T6_T7_T9_mT8_P12ihipStream_tbDpT10_ENKUlT_T0_E_clISt17integral_constantIbLb1EES1I_IbLb0EEEEDaS1E_S1F_EUlS1E_E_NS1_11comp_targetILNS1_3genE5ELNS1_11target_archE942ELNS1_3gpuE9ELNS1_3repE0EEENS1_30default_config_static_selectorELNS0_4arch9wavefront6targetE0EEEvT1_.has_dyn_sized_stack, 0
	.set _ZN7rocprim17ROCPRIM_400000_NS6detail17trampoline_kernelINS0_14default_configENS1_25partition_config_selectorILNS1_17partition_subalgoE6EN6thrust23THRUST_200600_302600_NS5tupleIffNS7_9null_typeES9_S9_S9_S9_S9_S9_S9_EENS0_10empty_typeEbEEZZNS1_14partition_implILS5_6ELb0ES3_mNS7_12zip_iteratorINS8_INS7_6detail15normal_iteratorINS7_10device_ptrIfEEEESJ_S9_S9_S9_S9_S9_S9_S9_S9_EEEEPSB_SM_NS0_5tupleIJNSE_INS8_ISJ_NS7_16discard_iteratorINS7_11use_defaultEEES9_S9_S9_S9_S9_S9_S9_S9_EEEESB_EEENSN_IJSM_SM_EEESB_PlJNSF_9not_fun_tINSF_14equal_to_valueISA_EEEEEEE10hipError_tPvRmT3_T4_T5_T6_T7_T9_mT8_P12ihipStream_tbDpT10_ENKUlT_T0_E_clISt17integral_constantIbLb1EES1I_IbLb0EEEEDaS1E_S1F_EUlS1E_E_NS1_11comp_targetILNS1_3genE5ELNS1_11target_archE942ELNS1_3gpuE9ELNS1_3repE0EEENS1_30default_config_static_selectorELNS0_4arch9wavefront6targetE0EEEvT1_.has_recursion, 0
	.set _ZN7rocprim17ROCPRIM_400000_NS6detail17trampoline_kernelINS0_14default_configENS1_25partition_config_selectorILNS1_17partition_subalgoE6EN6thrust23THRUST_200600_302600_NS5tupleIffNS7_9null_typeES9_S9_S9_S9_S9_S9_S9_EENS0_10empty_typeEbEEZZNS1_14partition_implILS5_6ELb0ES3_mNS7_12zip_iteratorINS8_INS7_6detail15normal_iteratorINS7_10device_ptrIfEEEESJ_S9_S9_S9_S9_S9_S9_S9_S9_EEEEPSB_SM_NS0_5tupleIJNSE_INS8_ISJ_NS7_16discard_iteratorINS7_11use_defaultEEES9_S9_S9_S9_S9_S9_S9_S9_EEEESB_EEENSN_IJSM_SM_EEESB_PlJNSF_9not_fun_tINSF_14equal_to_valueISA_EEEEEEE10hipError_tPvRmT3_T4_T5_T6_T7_T9_mT8_P12ihipStream_tbDpT10_ENKUlT_T0_E_clISt17integral_constantIbLb1EES1I_IbLb0EEEEDaS1E_S1F_EUlS1E_E_NS1_11comp_targetILNS1_3genE5ELNS1_11target_archE942ELNS1_3gpuE9ELNS1_3repE0EEENS1_30default_config_static_selectorELNS0_4arch9wavefront6targetE0EEEvT1_.has_indirect_call, 0
	.section	.AMDGPU.csdata,"",@progbits
; Kernel info:
; codeLenInByte = 0
; TotalNumSgprs: 0
; NumVgprs: 0
; ScratchSize: 0
; MemoryBound: 0
; FloatMode: 240
; IeeeMode: 1
; LDSByteSize: 0 bytes/workgroup (compile time only)
; SGPRBlocks: 0
; VGPRBlocks: 0
; NumSGPRsForWavesPerEU: 1
; NumVGPRsForWavesPerEU: 1
; Occupancy: 16
; WaveLimiterHint : 0
; COMPUTE_PGM_RSRC2:SCRATCH_EN: 0
; COMPUTE_PGM_RSRC2:USER_SGPR: 2
; COMPUTE_PGM_RSRC2:TRAP_HANDLER: 0
; COMPUTE_PGM_RSRC2:TGID_X_EN: 1
; COMPUTE_PGM_RSRC2:TGID_Y_EN: 0
; COMPUTE_PGM_RSRC2:TGID_Z_EN: 0
; COMPUTE_PGM_RSRC2:TIDIG_COMP_CNT: 0
	.section	.text._ZN7rocprim17ROCPRIM_400000_NS6detail17trampoline_kernelINS0_14default_configENS1_25partition_config_selectorILNS1_17partition_subalgoE6EN6thrust23THRUST_200600_302600_NS5tupleIffNS7_9null_typeES9_S9_S9_S9_S9_S9_S9_EENS0_10empty_typeEbEEZZNS1_14partition_implILS5_6ELb0ES3_mNS7_12zip_iteratorINS8_INS7_6detail15normal_iteratorINS7_10device_ptrIfEEEESJ_S9_S9_S9_S9_S9_S9_S9_S9_EEEEPSB_SM_NS0_5tupleIJNSE_INS8_ISJ_NS7_16discard_iteratorINS7_11use_defaultEEES9_S9_S9_S9_S9_S9_S9_S9_EEEESB_EEENSN_IJSM_SM_EEESB_PlJNSF_9not_fun_tINSF_14equal_to_valueISA_EEEEEEE10hipError_tPvRmT3_T4_T5_T6_T7_T9_mT8_P12ihipStream_tbDpT10_ENKUlT_T0_E_clISt17integral_constantIbLb1EES1I_IbLb0EEEEDaS1E_S1F_EUlS1E_E_NS1_11comp_targetILNS1_3genE4ELNS1_11target_archE910ELNS1_3gpuE8ELNS1_3repE0EEENS1_30default_config_static_selectorELNS0_4arch9wavefront6targetE0EEEvT1_,"axG",@progbits,_ZN7rocprim17ROCPRIM_400000_NS6detail17trampoline_kernelINS0_14default_configENS1_25partition_config_selectorILNS1_17partition_subalgoE6EN6thrust23THRUST_200600_302600_NS5tupleIffNS7_9null_typeES9_S9_S9_S9_S9_S9_S9_EENS0_10empty_typeEbEEZZNS1_14partition_implILS5_6ELb0ES3_mNS7_12zip_iteratorINS8_INS7_6detail15normal_iteratorINS7_10device_ptrIfEEEESJ_S9_S9_S9_S9_S9_S9_S9_S9_EEEEPSB_SM_NS0_5tupleIJNSE_INS8_ISJ_NS7_16discard_iteratorINS7_11use_defaultEEES9_S9_S9_S9_S9_S9_S9_S9_EEEESB_EEENSN_IJSM_SM_EEESB_PlJNSF_9not_fun_tINSF_14equal_to_valueISA_EEEEEEE10hipError_tPvRmT3_T4_T5_T6_T7_T9_mT8_P12ihipStream_tbDpT10_ENKUlT_T0_E_clISt17integral_constantIbLb1EES1I_IbLb0EEEEDaS1E_S1F_EUlS1E_E_NS1_11comp_targetILNS1_3genE4ELNS1_11target_archE910ELNS1_3gpuE8ELNS1_3repE0EEENS1_30default_config_static_selectorELNS0_4arch9wavefront6targetE0EEEvT1_,comdat
	.protected	_ZN7rocprim17ROCPRIM_400000_NS6detail17trampoline_kernelINS0_14default_configENS1_25partition_config_selectorILNS1_17partition_subalgoE6EN6thrust23THRUST_200600_302600_NS5tupleIffNS7_9null_typeES9_S9_S9_S9_S9_S9_S9_EENS0_10empty_typeEbEEZZNS1_14partition_implILS5_6ELb0ES3_mNS7_12zip_iteratorINS8_INS7_6detail15normal_iteratorINS7_10device_ptrIfEEEESJ_S9_S9_S9_S9_S9_S9_S9_S9_EEEEPSB_SM_NS0_5tupleIJNSE_INS8_ISJ_NS7_16discard_iteratorINS7_11use_defaultEEES9_S9_S9_S9_S9_S9_S9_S9_EEEESB_EEENSN_IJSM_SM_EEESB_PlJNSF_9not_fun_tINSF_14equal_to_valueISA_EEEEEEE10hipError_tPvRmT3_T4_T5_T6_T7_T9_mT8_P12ihipStream_tbDpT10_ENKUlT_T0_E_clISt17integral_constantIbLb1EES1I_IbLb0EEEEDaS1E_S1F_EUlS1E_E_NS1_11comp_targetILNS1_3genE4ELNS1_11target_archE910ELNS1_3gpuE8ELNS1_3repE0EEENS1_30default_config_static_selectorELNS0_4arch9wavefront6targetE0EEEvT1_ ; -- Begin function _ZN7rocprim17ROCPRIM_400000_NS6detail17trampoline_kernelINS0_14default_configENS1_25partition_config_selectorILNS1_17partition_subalgoE6EN6thrust23THRUST_200600_302600_NS5tupleIffNS7_9null_typeES9_S9_S9_S9_S9_S9_S9_EENS0_10empty_typeEbEEZZNS1_14partition_implILS5_6ELb0ES3_mNS7_12zip_iteratorINS8_INS7_6detail15normal_iteratorINS7_10device_ptrIfEEEESJ_S9_S9_S9_S9_S9_S9_S9_S9_EEEEPSB_SM_NS0_5tupleIJNSE_INS8_ISJ_NS7_16discard_iteratorINS7_11use_defaultEEES9_S9_S9_S9_S9_S9_S9_S9_EEEESB_EEENSN_IJSM_SM_EEESB_PlJNSF_9not_fun_tINSF_14equal_to_valueISA_EEEEEEE10hipError_tPvRmT3_T4_T5_T6_T7_T9_mT8_P12ihipStream_tbDpT10_ENKUlT_T0_E_clISt17integral_constantIbLb1EES1I_IbLb0EEEEDaS1E_S1F_EUlS1E_E_NS1_11comp_targetILNS1_3genE4ELNS1_11target_archE910ELNS1_3gpuE8ELNS1_3repE0EEENS1_30default_config_static_selectorELNS0_4arch9wavefront6targetE0EEEvT1_
	.globl	_ZN7rocprim17ROCPRIM_400000_NS6detail17trampoline_kernelINS0_14default_configENS1_25partition_config_selectorILNS1_17partition_subalgoE6EN6thrust23THRUST_200600_302600_NS5tupleIffNS7_9null_typeES9_S9_S9_S9_S9_S9_S9_EENS0_10empty_typeEbEEZZNS1_14partition_implILS5_6ELb0ES3_mNS7_12zip_iteratorINS8_INS7_6detail15normal_iteratorINS7_10device_ptrIfEEEESJ_S9_S9_S9_S9_S9_S9_S9_S9_EEEEPSB_SM_NS0_5tupleIJNSE_INS8_ISJ_NS7_16discard_iteratorINS7_11use_defaultEEES9_S9_S9_S9_S9_S9_S9_S9_EEEESB_EEENSN_IJSM_SM_EEESB_PlJNSF_9not_fun_tINSF_14equal_to_valueISA_EEEEEEE10hipError_tPvRmT3_T4_T5_T6_T7_T9_mT8_P12ihipStream_tbDpT10_ENKUlT_T0_E_clISt17integral_constantIbLb1EES1I_IbLb0EEEEDaS1E_S1F_EUlS1E_E_NS1_11comp_targetILNS1_3genE4ELNS1_11target_archE910ELNS1_3gpuE8ELNS1_3repE0EEENS1_30default_config_static_selectorELNS0_4arch9wavefront6targetE0EEEvT1_
	.p2align	8
	.type	_ZN7rocprim17ROCPRIM_400000_NS6detail17trampoline_kernelINS0_14default_configENS1_25partition_config_selectorILNS1_17partition_subalgoE6EN6thrust23THRUST_200600_302600_NS5tupleIffNS7_9null_typeES9_S9_S9_S9_S9_S9_S9_EENS0_10empty_typeEbEEZZNS1_14partition_implILS5_6ELb0ES3_mNS7_12zip_iteratorINS8_INS7_6detail15normal_iteratorINS7_10device_ptrIfEEEESJ_S9_S9_S9_S9_S9_S9_S9_S9_EEEEPSB_SM_NS0_5tupleIJNSE_INS8_ISJ_NS7_16discard_iteratorINS7_11use_defaultEEES9_S9_S9_S9_S9_S9_S9_S9_EEEESB_EEENSN_IJSM_SM_EEESB_PlJNSF_9not_fun_tINSF_14equal_to_valueISA_EEEEEEE10hipError_tPvRmT3_T4_T5_T6_T7_T9_mT8_P12ihipStream_tbDpT10_ENKUlT_T0_E_clISt17integral_constantIbLb1EES1I_IbLb0EEEEDaS1E_S1F_EUlS1E_E_NS1_11comp_targetILNS1_3genE4ELNS1_11target_archE910ELNS1_3gpuE8ELNS1_3repE0EEENS1_30default_config_static_selectorELNS0_4arch9wavefront6targetE0EEEvT1_,@function
_ZN7rocprim17ROCPRIM_400000_NS6detail17trampoline_kernelINS0_14default_configENS1_25partition_config_selectorILNS1_17partition_subalgoE6EN6thrust23THRUST_200600_302600_NS5tupleIffNS7_9null_typeES9_S9_S9_S9_S9_S9_S9_EENS0_10empty_typeEbEEZZNS1_14partition_implILS5_6ELb0ES3_mNS7_12zip_iteratorINS8_INS7_6detail15normal_iteratorINS7_10device_ptrIfEEEESJ_S9_S9_S9_S9_S9_S9_S9_S9_EEEEPSB_SM_NS0_5tupleIJNSE_INS8_ISJ_NS7_16discard_iteratorINS7_11use_defaultEEES9_S9_S9_S9_S9_S9_S9_S9_EEEESB_EEENSN_IJSM_SM_EEESB_PlJNSF_9not_fun_tINSF_14equal_to_valueISA_EEEEEEE10hipError_tPvRmT3_T4_T5_T6_T7_T9_mT8_P12ihipStream_tbDpT10_ENKUlT_T0_E_clISt17integral_constantIbLb1EES1I_IbLb0EEEEDaS1E_S1F_EUlS1E_E_NS1_11comp_targetILNS1_3genE4ELNS1_11target_archE910ELNS1_3gpuE8ELNS1_3repE0EEENS1_30default_config_static_selectorELNS0_4arch9wavefront6targetE0EEEvT1_: ; @_ZN7rocprim17ROCPRIM_400000_NS6detail17trampoline_kernelINS0_14default_configENS1_25partition_config_selectorILNS1_17partition_subalgoE6EN6thrust23THRUST_200600_302600_NS5tupleIffNS7_9null_typeES9_S9_S9_S9_S9_S9_S9_EENS0_10empty_typeEbEEZZNS1_14partition_implILS5_6ELb0ES3_mNS7_12zip_iteratorINS8_INS7_6detail15normal_iteratorINS7_10device_ptrIfEEEESJ_S9_S9_S9_S9_S9_S9_S9_S9_EEEEPSB_SM_NS0_5tupleIJNSE_INS8_ISJ_NS7_16discard_iteratorINS7_11use_defaultEEES9_S9_S9_S9_S9_S9_S9_S9_EEEESB_EEENSN_IJSM_SM_EEESB_PlJNSF_9not_fun_tINSF_14equal_to_valueISA_EEEEEEE10hipError_tPvRmT3_T4_T5_T6_T7_T9_mT8_P12ihipStream_tbDpT10_ENKUlT_T0_E_clISt17integral_constantIbLb1EES1I_IbLb0EEEEDaS1E_S1F_EUlS1E_E_NS1_11comp_targetILNS1_3genE4ELNS1_11target_archE910ELNS1_3gpuE8ELNS1_3repE0EEENS1_30default_config_static_selectorELNS0_4arch9wavefront6targetE0EEEvT1_
; %bb.0:
	.section	.rodata,"a",@progbits
	.p2align	6, 0x0
	.amdhsa_kernel _ZN7rocprim17ROCPRIM_400000_NS6detail17trampoline_kernelINS0_14default_configENS1_25partition_config_selectorILNS1_17partition_subalgoE6EN6thrust23THRUST_200600_302600_NS5tupleIffNS7_9null_typeES9_S9_S9_S9_S9_S9_S9_EENS0_10empty_typeEbEEZZNS1_14partition_implILS5_6ELb0ES3_mNS7_12zip_iteratorINS8_INS7_6detail15normal_iteratorINS7_10device_ptrIfEEEESJ_S9_S9_S9_S9_S9_S9_S9_S9_EEEEPSB_SM_NS0_5tupleIJNSE_INS8_ISJ_NS7_16discard_iteratorINS7_11use_defaultEEES9_S9_S9_S9_S9_S9_S9_S9_EEEESB_EEENSN_IJSM_SM_EEESB_PlJNSF_9not_fun_tINSF_14equal_to_valueISA_EEEEEEE10hipError_tPvRmT3_T4_T5_T6_T7_T9_mT8_P12ihipStream_tbDpT10_ENKUlT_T0_E_clISt17integral_constantIbLb1EES1I_IbLb0EEEEDaS1E_S1F_EUlS1E_E_NS1_11comp_targetILNS1_3genE4ELNS1_11target_archE910ELNS1_3gpuE8ELNS1_3repE0EEENS1_30default_config_static_selectorELNS0_4arch9wavefront6targetE0EEEvT1_
		.amdhsa_group_segment_fixed_size 0
		.amdhsa_private_segment_fixed_size 0
		.amdhsa_kernarg_size 144
		.amdhsa_user_sgpr_count 2
		.amdhsa_user_sgpr_dispatch_ptr 0
		.amdhsa_user_sgpr_queue_ptr 0
		.amdhsa_user_sgpr_kernarg_segment_ptr 1
		.amdhsa_user_sgpr_dispatch_id 0
		.amdhsa_user_sgpr_private_segment_size 0
		.amdhsa_wavefront_size32 1
		.amdhsa_uses_dynamic_stack 0
		.amdhsa_enable_private_segment 0
		.amdhsa_system_sgpr_workgroup_id_x 1
		.amdhsa_system_sgpr_workgroup_id_y 0
		.amdhsa_system_sgpr_workgroup_id_z 0
		.amdhsa_system_sgpr_workgroup_info 0
		.amdhsa_system_vgpr_workitem_id 0
		.amdhsa_next_free_vgpr 1
		.amdhsa_next_free_sgpr 1
		.amdhsa_reserve_vcc 0
		.amdhsa_float_round_mode_32 0
		.amdhsa_float_round_mode_16_64 0
		.amdhsa_float_denorm_mode_32 3
		.amdhsa_float_denorm_mode_16_64 3
		.amdhsa_fp16_overflow 0
		.amdhsa_workgroup_processor_mode 1
		.amdhsa_memory_ordered 1
		.amdhsa_forward_progress 1
		.amdhsa_inst_pref_size 0
		.amdhsa_round_robin_scheduling 0
		.amdhsa_exception_fp_ieee_invalid_op 0
		.amdhsa_exception_fp_denorm_src 0
		.amdhsa_exception_fp_ieee_div_zero 0
		.amdhsa_exception_fp_ieee_overflow 0
		.amdhsa_exception_fp_ieee_underflow 0
		.amdhsa_exception_fp_ieee_inexact 0
		.amdhsa_exception_int_div_zero 0
	.end_amdhsa_kernel
	.section	.text._ZN7rocprim17ROCPRIM_400000_NS6detail17trampoline_kernelINS0_14default_configENS1_25partition_config_selectorILNS1_17partition_subalgoE6EN6thrust23THRUST_200600_302600_NS5tupleIffNS7_9null_typeES9_S9_S9_S9_S9_S9_S9_EENS0_10empty_typeEbEEZZNS1_14partition_implILS5_6ELb0ES3_mNS7_12zip_iteratorINS8_INS7_6detail15normal_iteratorINS7_10device_ptrIfEEEESJ_S9_S9_S9_S9_S9_S9_S9_S9_EEEEPSB_SM_NS0_5tupleIJNSE_INS8_ISJ_NS7_16discard_iteratorINS7_11use_defaultEEES9_S9_S9_S9_S9_S9_S9_S9_EEEESB_EEENSN_IJSM_SM_EEESB_PlJNSF_9not_fun_tINSF_14equal_to_valueISA_EEEEEEE10hipError_tPvRmT3_T4_T5_T6_T7_T9_mT8_P12ihipStream_tbDpT10_ENKUlT_T0_E_clISt17integral_constantIbLb1EES1I_IbLb0EEEEDaS1E_S1F_EUlS1E_E_NS1_11comp_targetILNS1_3genE4ELNS1_11target_archE910ELNS1_3gpuE8ELNS1_3repE0EEENS1_30default_config_static_selectorELNS0_4arch9wavefront6targetE0EEEvT1_,"axG",@progbits,_ZN7rocprim17ROCPRIM_400000_NS6detail17trampoline_kernelINS0_14default_configENS1_25partition_config_selectorILNS1_17partition_subalgoE6EN6thrust23THRUST_200600_302600_NS5tupleIffNS7_9null_typeES9_S9_S9_S9_S9_S9_S9_EENS0_10empty_typeEbEEZZNS1_14partition_implILS5_6ELb0ES3_mNS7_12zip_iteratorINS8_INS7_6detail15normal_iteratorINS7_10device_ptrIfEEEESJ_S9_S9_S9_S9_S9_S9_S9_S9_EEEEPSB_SM_NS0_5tupleIJNSE_INS8_ISJ_NS7_16discard_iteratorINS7_11use_defaultEEES9_S9_S9_S9_S9_S9_S9_S9_EEEESB_EEENSN_IJSM_SM_EEESB_PlJNSF_9not_fun_tINSF_14equal_to_valueISA_EEEEEEE10hipError_tPvRmT3_T4_T5_T6_T7_T9_mT8_P12ihipStream_tbDpT10_ENKUlT_T0_E_clISt17integral_constantIbLb1EES1I_IbLb0EEEEDaS1E_S1F_EUlS1E_E_NS1_11comp_targetILNS1_3genE4ELNS1_11target_archE910ELNS1_3gpuE8ELNS1_3repE0EEENS1_30default_config_static_selectorELNS0_4arch9wavefront6targetE0EEEvT1_,comdat
.Lfunc_end1871:
	.size	_ZN7rocprim17ROCPRIM_400000_NS6detail17trampoline_kernelINS0_14default_configENS1_25partition_config_selectorILNS1_17partition_subalgoE6EN6thrust23THRUST_200600_302600_NS5tupleIffNS7_9null_typeES9_S9_S9_S9_S9_S9_S9_EENS0_10empty_typeEbEEZZNS1_14partition_implILS5_6ELb0ES3_mNS7_12zip_iteratorINS8_INS7_6detail15normal_iteratorINS7_10device_ptrIfEEEESJ_S9_S9_S9_S9_S9_S9_S9_S9_EEEEPSB_SM_NS0_5tupleIJNSE_INS8_ISJ_NS7_16discard_iteratorINS7_11use_defaultEEES9_S9_S9_S9_S9_S9_S9_S9_EEEESB_EEENSN_IJSM_SM_EEESB_PlJNSF_9not_fun_tINSF_14equal_to_valueISA_EEEEEEE10hipError_tPvRmT3_T4_T5_T6_T7_T9_mT8_P12ihipStream_tbDpT10_ENKUlT_T0_E_clISt17integral_constantIbLb1EES1I_IbLb0EEEEDaS1E_S1F_EUlS1E_E_NS1_11comp_targetILNS1_3genE4ELNS1_11target_archE910ELNS1_3gpuE8ELNS1_3repE0EEENS1_30default_config_static_selectorELNS0_4arch9wavefront6targetE0EEEvT1_, .Lfunc_end1871-_ZN7rocprim17ROCPRIM_400000_NS6detail17trampoline_kernelINS0_14default_configENS1_25partition_config_selectorILNS1_17partition_subalgoE6EN6thrust23THRUST_200600_302600_NS5tupleIffNS7_9null_typeES9_S9_S9_S9_S9_S9_S9_EENS0_10empty_typeEbEEZZNS1_14partition_implILS5_6ELb0ES3_mNS7_12zip_iteratorINS8_INS7_6detail15normal_iteratorINS7_10device_ptrIfEEEESJ_S9_S9_S9_S9_S9_S9_S9_S9_EEEEPSB_SM_NS0_5tupleIJNSE_INS8_ISJ_NS7_16discard_iteratorINS7_11use_defaultEEES9_S9_S9_S9_S9_S9_S9_S9_EEEESB_EEENSN_IJSM_SM_EEESB_PlJNSF_9not_fun_tINSF_14equal_to_valueISA_EEEEEEE10hipError_tPvRmT3_T4_T5_T6_T7_T9_mT8_P12ihipStream_tbDpT10_ENKUlT_T0_E_clISt17integral_constantIbLb1EES1I_IbLb0EEEEDaS1E_S1F_EUlS1E_E_NS1_11comp_targetILNS1_3genE4ELNS1_11target_archE910ELNS1_3gpuE8ELNS1_3repE0EEENS1_30default_config_static_selectorELNS0_4arch9wavefront6targetE0EEEvT1_
                                        ; -- End function
	.set _ZN7rocprim17ROCPRIM_400000_NS6detail17trampoline_kernelINS0_14default_configENS1_25partition_config_selectorILNS1_17partition_subalgoE6EN6thrust23THRUST_200600_302600_NS5tupleIffNS7_9null_typeES9_S9_S9_S9_S9_S9_S9_EENS0_10empty_typeEbEEZZNS1_14partition_implILS5_6ELb0ES3_mNS7_12zip_iteratorINS8_INS7_6detail15normal_iteratorINS7_10device_ptrIfEEEESJ_S9_S9_S9_S9_S9_S9_S9_S9_EEEEPSB_SM_NS0_5tupleIJNSE_INS8_ISJ_NS7_16discard_iteratorINS7_11use_defaultEEES9_S9_S9_S9_S9_S9_S9_S9_EEEESB_EEENSN_IJSM_SM_EEESB_PlJNSF_9not_fun_tINSF_14equal_to_valueISA_EEEEEEE10hipError_tPvRmT3_T4_T5_T6_T7_T9_mT8_P12ihipStream_tbDpT10_ENKUlT_T0_E_clISt17integral_constantIbLb1EES1I_IbLb0EEEEDaS1E_S1F_EUlS1E_E_NS1_11comp_targetILNS1_3genE4ELNS1_11target_archE910ELNS1_3gpuE8ELNS1_3repE0EEENS1_30default_config_static_selectorELNS0_4arch9wavefront6targetE0EEEvT1_.num_vgpr, 0
	.set _ZN7rocprim17ROCPRIM_400000_NS6detail17trampoline_kernelINS0_14default_configENS1_25partition_config_selectorILNS1_17partition_subalgoE6EN6thrust23THRUST_200600_302600_NS5tupleIffNS7_9null_typeES9_S9_S9_S9_S9_S9_S9_EENS0_10empty_typeEbEEZZNS1_14partition_implILS5_6ELb0ES3_mNS7_12zip_iteratorINS8_INS7_6detail15normal_iteratorINS7_10device_ptrIfEEEESJ_S9_S9_S9_S9_S9_S9_S9_S9_EEEEPSB_SM_NS0_5tupleIJNSE_INS8_ISJ_NS7_16discard_iteratorINS7_11use_defaultEEES9_S9_S9_S9_S9_S9_S9_S9_EEEESB_EEENSN_IJSM_SM_EEESB_PlJNSF_9not_fun_tINSF_14equal_to_valueISA_EEEEEEE10hipError_tPvRmT3_T4_T5_T6_T7_T9_mT8_P12ihipStream_tbDpT10_ENKUlT_T0_E_clISt17integral_constantIbLb1EES1I_IbLb0EEEEDaS1E_S1F_EUlS1E_E_NS1_11comp_targetILNS1_3genE4ELNS1_11target_archE910ELNS1_3gpuE8ELNS1_3repE0EEENS1_30default_config_static_selectorELNS0_4arch9wavefront6targetE0EEEvT1_.num_agpr, 0
	.set _ZN7rocprim17ROCPRIM_400000_NS6detail17trampoline_kernelINS0_14default_configENS1_25partition_config_selectorILNS1_17partition_subalgoE6EN6thrust23THRUST_200600_302600_NS5tupleIffNS7_9null_typeES9_S9_S9_S9_S9_S9_S9_EENS0_10empty_typeEbEEZZNS1_14partition_implILS5_6ELb0ES3_mNS7_12zip_iteratorINS8_INS7_6detail15normal_iteratorINS7_10device_ptrIfEEEESJ_S9_S9_S9_S9_S9_S9_S9_S9_EEEEPSB_SM_NS0_5tupleIJNSE_INS8_ISJ_NS7_16discard_iteratorINS7_11use_defaultEEES9_S9_S9_S9_S9_S9_S9_S9_EEEESB_EEENSN_IJSM_SM_EEESB_PlJNSF_9not_fun_tINSF_14equal_to_valueISA_EEEEEEE10hipError_tPvRmT3_T4_T5_T6_T7_T9_mT8_P12ihipStream_tbDpT10_ENKUlT_T0_E_clISt17integral_constantIbLb1EES1I_IbLb0EEEEDaS1E_S1F_EUlS1E_E_NS1_11comp_targetILNS1_3genE4ELNS1_11target_archE910ELNS1_3gpuE8ELNS1_3repE0EEENS1_30default_config_static_selectorELNS0_4arch9wavefront6targetE0EEEvT1_.numbered_sgpr, 0
	.set _ZN7rocprim17ROCPRIM_400000_NS6detail17trampoline_kernelINS0_14default_configENS1_25partition_config_selectorILNS1_17partition_subalgoE6EN6thrust23THRUST_200600_302600_NS5tupleIffNS7_9null_typeES9_S9_S9_S9_S9_S9_S9_EENS0_10empty_typeEbEEZZNS1_14partition_implILS5_6ELb0ES3_mNS7_12zip_iteratorINS8_INS7_6detail15normal_iteratorINS7_10device_ptrIfEEEESJ_S9_S9_S9_S9_S9_S9_S9_S9_EEEEPSB_SM_NS0_5tupleIJNSE_INS8_ISJ_NS7_16discard_iteratorINS7_11use_defaultEEES9_S9_S9_S9_S9_S9_S9_S9_EEEESB_EEENSN_IJSM_SM_EEESB_PlJNSF_9not_fun_tINSF_14equal_to_valueISA_EEEEEEE10hipError_tPvRmT3_T4_T5_T6_T7_T9_mT8_P12ihipStream_tbDpT10_ENKUlT_T0_E_clISt17integral_constantIbLb1EES1I_IbLb0EEEEDaS1E_S1F_EUlS1E_E_NS1_11comp_targetILNS1_3genE4ELNS1_11target_archE910ELNS1_3gpuE8ELNS1_3repE0EEENS1_30default_config_static_selectorELNS0_4arch9wavefront6targetE0EEEvT1_.num_named_barrier, 0
	.set _ZN7rocprim17ROCPRIM_400000_NS6detail17trampoline_kernelINS0_14default_configENS1_25partition_config_selectorILNS1_17partition_subalgoE6EN6thrust23THRUST_200600_302600_NS5tupleIffNS7_9null_typeES9_S9_S9_S9_S9_S9_S9_EENS0_10empty_typeEbEEZZNS1_14partition_implILS5_6ELb0ES3_mNS7_12zip_iteratorINS8_INS7_6detail15normal_iteratorINS7_10device_ptrIfEEEESJ_S9_S9_S9_S9_S9_S9_S9_S9_EEEEPSB_SM_NS0_5tupleIJNSE_INS8_ISJ_NS7_16discard_iteratorINS7_11use_defaultEEES9_S9_S9_S9_S9_S9_S9_S9_EEEESB_EEENSN_IJSM_SM_EEESB_PlJNSF_9not_fun_tINSF_14equal_to_valueISA_EEEEEEE10hipError_tPvRmT3_T4_T5_T6_T7_T9_mT8_P12ihipStream_tbDpT10_ENKUlT_T0_E_clISt17integral_constantIbLb1EES1I_IbLb0EEEEDaS1E_S1F_EUlS1E_E_NS1_11comp_targetILNS1_3genE4ELNS1_11target_archE910ELNS1_3gpuE8ELNS1_3repE0EEENS1_30default_config_static_selectorELNS0_4arch9wavefront6targetE0EEEvT1_.private_seg_size, 0
	.set _ZN7rocprim17ROCPRIM_400000_NS6detail17trampoline_kernelINS0_14default_configENS1_25partition_config_selectorILNS1_17partition_subalgoE6EN6thrust23THRUST_200600_302600_NS5tupleIffNS7_9null_typeES9_S9_S9_S9_S9_S9_S9_EENS0_10empty_typeEbEEZZNS1_14partition_implILS5_6ELb0ES3_mNS7_12zip_iteratorINS8_INS7_6detail15normal_iteratorINS7_10device_ptrIfEEEESJ_S9_S9_S9_S9_S9_S9_S9_S9_EEEEPSB_SM_NS0_5tupleIJNSE_INS8_ISJ_NS7_16discard_iteratorINS7_11use_defaultEEES9_S9_S9_S9_S9_S9_S9_S9_EEEESB_EEENSN_IJSM_SM_EEESB_PlJNSF_9not_fun_tINSF_14equal_to_valueISA_EEEEEEE10hipError_tPvRmT3_T4_T5_T6_T7_T9_mT8_P12ihipStream_tbDpT10_ENKUlT_T0_E_clISt17integral_constantIbLb1EES1I_IbLb0EEEEDaS1E_S1F_EUlS1E_E_NS1_11comp_targetILNS1_3genE4ELNS1_11target_archE910ELNS1_3gpuE8ELNS1_3repE0EEENS1_30default_config_static_selectorELNS0_4arch9wavefront6targetE0EEEvT1_.uses_vcc, 0
	.set _ZN7rocprim17ROCPRIM_400000_NS6detail17trampoline_kernelINS0_14default_configENS1_25partition_config_selectorILNS1_17partition_subalgoE6EN6thrust23THRUST_200600_302600_NS5tupleIffNS7_9null_typeES9_S9_S9_S9_S9_S9_S9_EENS0_10empty_typeEbEEZZNS1_14partition_implILS5_6ELb0ES3_mNS7_12zip_iteratorINS8_INS7_6detail15normal_iteratorINS7_10device_ptrIfEEEESJ_S9_S9_S9_S9_S9_S9_S9_S9_EEEEPSB_SM_NS0_5tupleIJNSE_INS8_ISJ_NS7_16discard_iteratorINS7_11use_defaultEEES9_S9_S9_S9_S9_S9_S9_S9_EEEESB_EEENSN_IJSM_SM_EEESB_PlJNSF_9not_fun_tINSF_14equal_to_valueISA_EEEEEEE10hipError_tPvRmT3_T4_T5_T6_T7_T9_mT8_P12ihipStream_tbDpT10_ENKUlT_T0_E_clISt17integral_constantIbLb1EES1I_IbLb0EEEEDaS1E_S1F_EUlS1E_E_NS1_11comp_targetILNS1_3genE4ELNS1_11target_archE910ELNS1_3gpuE8ELNS1_3repE0EEENS1_30default_config_static_selectorELNS0_4arch9wavefront6targetE0EEEvT1_.uses_flat_scratch, 0
	.set _ZN7rocprim17ROCPRIM_400000_NS6detail17trampoline_kernelINS0_14default_configENS1_25partition_config_selectorILNS1_17partition_subalgoE6EN6thrust23THRUST_200600_302600_NS5tupleIffNS7_9null_typeES9_S9_S9_S9_S9_S9_S9_EENS0_10empty_typeEbEEZZNS1_14partition_implILS5_6ELb0ES3_mNS7_12zip_iteratorINS8_INS7_6detail15normal_iteratorINS7_10device_ptrIfEEEESJ_S9_S9_S9_S9_S9_S9_S9_S9_EEEEPSB_SM_NS0_5tupleIJNSE_INS8_ISJ_NS7_16discard_iteratorINS7_11use_defaultEEES9_S9_S9_S9_S9_S9_S9_S9_EEEESB_EEENSN_IJSM_SM_EEESB_PlJNSF_9not_fun_tINSF_14equal_to_valueISA_EEEEEEE10hipError_tPvRmT3_T4_T5_T6_T7_T9_mT8_P12ihipStream_tbDpT10_ENKUlT_T0_E_clISt17integral_constantIbLb1EES1I_IbLb0EEEEDaS1E_S1F_EUlS1E_E_NS1_11comp_targetILNS1_3genE4ELNS1_11target_archE910ELNS1_3gpuE8ELNS1_3repE0EEENS1_30default_config_static_selectorELNS0_4arch9wavefront6targetE0EEEvT1_.has_dyn_sized_stack, 0
	.set _ZN7rocprim17ROCPRIM_400000_NS6detail17trampoline_kernelINS0_14default_configENS1_25partition_config_selectorILNS1_17partition_subalgoE6EN6thrust23THRUST_200600_302600_NS5tupleIffNS7_9null_typeES9_S9_S9_S9_S9_S9_S9_EENS0_10empty_typeEbEEZZNS1_14partition_implILS5_6ELb0ES3_mNS7_12zip_iteratorINS8_INS7_6detail15normal_iteratorINS7_10device_ptrIfEEEESJ_S9_S9_S9_S9_S9_S9_S9_S9_EEEEPSB_SM_NS0_5tupleIJNSE_INS8_ISJ_NS7_16discard_iteratorINS7_11use_defaultEEES9_S9_S9_S9_S9_S9_S9_S9_EEEESB_EEENSN_IJSM_SM_EEESB_PlJNSF_9not_fun_tINSF_14equal_to_valueISA_EEEEEEE10hipError_tPvRmT3_T4_T5_T6_T7_T9_mT8_P12ihipStream_tbDpT10_ENKUlT_T0_E_clISt17integral_constantIbLb1EES1I_IbLb0EEEEDaS1E_S1F_EUlS1E_E_NS1_11comp_targetILNS1_3genE4ELNS1_11target_archE910ELNS1_3gpuE8ELNS1_3repE0EEENS1_30default_config_static_selectorELNS0_4arch9wavefront6targetE0EEEvT1_.has_recursion, 0
	.set _ZN7rocprim17ROCPRIM_400000_NS6detail17trampoline_kernelINS0_14default_configENS1_25partition_config_selectorILNS1_17partition_subalgoE6EN6thrust23THRUST_200600_302600_NS5tupleIffNS7_9null_typeES9_S9_S9_S9_S9_S9_S9_EENS0_10empty_typeEbEEZZNS1_14partition_implILS5_6ELb0ES3_mNS7_12zip_iteratorINS8_INS7_6detail15normal_iteratorINS7_10device_ptrIfEEEESJ_S9_S9_S9_S9_S9_S9_S9_S9_EEEEPSB_SM_NS0_5tupleIJNSE_INS8_ISJ_NS7_16discard_iteratorINS7_11use_defaultEEES9_S9_S9_S9_S9_S9_S9_S9_EEEESB_EEENSN_IJSM_SM_EEESB_PlJNSF_9not_fun_tINSF_14equal_to_valueISA_EEEEEEE10hipError_tPvRmT3_T4_T5_T6_T7_T9_mT8_P12ihipStream_tbDpT10_ENKUlT_T0_E_clISt17integral_constantIbLb1EES1I_IbLb0EEEEDaS1E_S1F_EUlS1E_E_NS1_11comp_targetILNS1_3genE4ELNS1_11target_archE910ELNS1_3gpuE8ELNS1_3repE0EEENS1_30default_config_static_selectorELNS0_4arch9wavefront6targetE0EEEvT1_.has_indirect_call, 0
	.section	.AMDGPU.csdata,"",@progbits
; Kernel info:
; codeLenInByte = 0
; TotalNumSgprs: 0
; NumVgprs: 0
; ScratchSize: 0
; MemoryBound: 0
; FloatMode: 240
; IeeeMode: 1
; LDSByteSize: 0 bytes/workgroup (compile time only)
; SGPRBlocks: 0
; VGPRBlocks: 0
; NumSGPRsForWavesPerEU: 1
; NumVGPRsForWavesPerEU: 1
; Occupancy: 16
; WaveLimiterHint : 0
; COMPUTE_PGM_RSRC2:SCRATCH_EN: 0
; COMPUTE_PGM_RSRC2:USER_SGPR: 2
; COMPUTE_PGM_RSRC2:TRAP_HANDLER: 0
; COMPUTE_PGM_RSRC2:TGID_X_EN: 1
; COMPUTE_PGM_RSRC2:TGID_Y_EN: 0
; COMPUTE_PGM_RSRC2:TGID_Z_EN: 0
; COMPUTE_PGM_RSRC2:TIDIG_COMP_CNT: 0
	.section	.text._ZN7rocprim17ROCPRIM_400000_NS6detail17trampoline_kernelINS0_14default_configENS1_25partition_config_selectorILNS1_17partition_subalgoE6EN6thrust23THRUST_200600_302600_NS5tupleIffNS7_9null_typeES9_S9_S9_S9_S9_S9_S9_EENS0_10empty_typeEbEEZZNS1_14partition_implILS5_6ELb0ES3_mNS7_12zip_iteratorINS8_INS7_6detail15normal_iteratorINS7_10device_ptrIfEEEESJ_S9_S9_S9_S9_S9_S9_S9_S9_EEEEPSB_SM_NS0_5tupleIJNSE_INS8_ISJ_NS7_16discard_iteratorINS7_11use_defaultEEES9_S9_S9_S9_S9_S9_S9_S9_EEEESB_EEENSN_IJSM_SM_EEESB_PlJNSF_9not_fun_tINSF_14equal_to_valueISA_EEEEEEE10hipError_tPvRmT3_T4_T5_T6_T7_T9_mT8_P12ihipStream_tbDpT10_ENKUlT_T0_E_clISt17integral_constantIbLb1EES1I_IbLb0EEEEDaS1E_S1F_EUlS1E_E_NS1_11comp_targetILNS1_3genE3ELNS1_11target_archE908ELNS1_3gpuE7ELNS1_3repE0EEENS1_30default_config_static_selectorELNS0_4arch9wavefront6targetE0EEEvT1_,"axG",@progbits,_ZN7rocprim17ROCPRIM_400000_NS6detail17trampoline_kernelINS0_14default_configENS1_25partition_config_selectorILNS1_17partition_subalgoE6EN6thrust23THRUST_200600_302600_NS5tupleIffNS7_9null_typeES9_S9_S9_S9_S9_S9_S9_EENS0_10empty_typeEbEEZZNS1_14partition_implILS5_6ELb0ES3_mNS7_12zip_iteratorINS8_INS7_6detail15normal_iteratorINS7_10device_ptrIfEEEESJ_S9_S9_S9_S9_S9_S9_S9_S9_EEEEPSB_SM_NS0_5tupleIJNSE_INS8_ISJ_NS7_16discard_iteratorINS7_11use_defaultEEES9_S9_S9_S9_S9_S9_S9_S9_EEEESB_EEENSN_IJSM_SM_EEESB_PlJNSF_9not_fun_tINSF_14equal_to_valueISA_EEEEEEE10hipError_tPvRmT3_T4_T5_T6_T7_T9_mT8_P12ihipStream_tbDpT10_ENKUlT_T0_E_clISt17integral_constantIbLb1EES1I_IbLb0EEEEDaS1E_S1F_EUlS1E_E_NS1_11comp_targetILNS1_3genE3ELNS1_11target_archE908ELNS1_3gpuE7ELNS1_3repE0EEENS1_30default_config_static_selectorELNS0_4arch9wavefront6targetE0EEEvT1_,comdat
	.protected	_ZN7rocprim17ROCPRIM_400000_NS6detail17trampoline_kernelINS0_14default_configENS1_25partition_config_selectorILNS1_17partition_subalgoE6EN6thrust23THRUST_200600_302600_NS5tupleIffNS7_9null_typeES9_S9_S9_S9_S9_S9_S9_EENS0_10empty_typeEbEEZZNS1_14partition_implILS5_6ELb0ES3_mNS7_12zip_iteratorINS8_INS7_6detail15normal_iteratorINS7_10device_ptrIfEEEESJ_S9_S9_S9_S9_S9_S9_S9_S9_EEEEPSB_SM_NS0_5tupleIJNSE_INS8_ISJ_NS7_16discard_iteratorINS7_11use_defaultEEES9_S9_S9_S9_S9_S9_S9_S9_EEEESB_EEENSN_IJSM_SM_EEESB_PlJNSF_9not_fun_tINSF_14equal_to_valueISA_EEEEEEE10hipError_tPvRmT3_T4_T5_T6_T7_T9_mT8_P12ihipStream_tbDpT10_ENKUlT_T0_E_clISt17integral_constantIbLb1EES1I_IbLb0EEEEDaS1E_S1F_EUlS1E_E_NS1_11comp_targetILNS1_3genE3ELNS1_11target_archE908ELNS1_3gpuE7ELNS1_3repE0EEENS1_30default_config_static_selectorELNS0_4arch9wavefront6targetE0EEEvT1_ ; -- Begin function _ZN7rocprim17ROCPRIM_400000_NS6detail17trampoline_kernelINS0_14default_configENS1_25partition_config_selectorILNS1_17partition_subalgoE6EN6thrust23THRUST_200600_302600_NS5tupleIffNS7_9null_typeES9_S9_S9_S9_S9_S9_S9_EENS0_10empty_typeEbEEZZNS1_14partition_implILS5_6ELb0ES3_mNS7_12zip_iteratorINS8_INS7_6detail15normal_iteratorINS7_10device_ptrIfEEEESJ_S9_S9_S9_S9_S9_S9_S9_S9_EEEEPSB_SM_NS0_5tupleIJNSE_INS8_ISJ_NS7_16discard_iteratorINS7_11use_defaultEEES9_S9_S9_S9_S9_S9_S9_S9_EEEESB_EEENSN_IJSM_SM_EEESB_PlJNSF_9not_fun_tINSF_14equal_to_valueISA_EEEEEEE10hipError_tPvRmT3_T4_T5_T6_T7_T9_mT8_P12ihipStream_tbDpT10_ENKUlT_T0_E_clISt17integral_constantIbLb1EES1I_IbLb0EEEEDaS1E_S1F_EUlS1E_E_NS1_11comp_targetILNS1_3genE3ELNS1_11target_archE908ELNS1_3gpuE7ELNS1_3repE0EEENS1_30default_config_static_selectorELNS0_4arch9wavefront6targetE0EEEvT1_
	.globl	_ZN7rocprim17ROCPRIM_400000_NS6detail17trampoline_kernelINS0_14default_configENS1_25partition_config_selectorILNS1_17partition_subalgoE6EN6thrust23THRUST_200600_302600_NS5tupleIffNS7_9null_typeES9_S9_S9_S9_S9_S9_S9_EENS0_10empty_typeEbEEZZNS1_14partition_implILS5_6ELb0ES3_mNS7_12zip_iteratorINS8_INS7_6detail15normal_iteratorINS7_10device_ptrIfEEEESJ_S9_S9_S9_S9_S9_S9_S9_S9_EEEEPSB_SM_NS0_5tupleIJNSE_INS8_ISJ_NS7_16discard_iteratorINS7_11use_defaultEEES9_S9_S9_S9_S9_S9_S9_S9_EEEESB_EEENSN_IJSM_SM_EEESB_PlJNSF_9not_fun_tINSF_14equal_to_valueISA_EEEEEEE10hipError_tPvRmT3_T4_T5_T6_T7_T9_mT8_P12ihipStream_tbDpT10_ENKUlT_T0_E_clISt17integral_constantIbLb1EES1I_IbLb0EEEEDaS1E_S1F_EUlS1E_E_NS1_11comp_targetILNS1_3genE3ELNS1_11target_archE908ELNS1_3gpuE7ELNS1_3repE0EEENS1_30default_config_static_selectorELNS0_4arch9wavefront6targetE0EEEvT1_
	.p2align	8
	.type	_ZN7rocprim17ROCPRIM_400000_NS6detail17trampoline_kernelINS0_14default_configENS1_25partition_config_selectorILNS1_17partition_subalgoE6EN6thrust23THRUST_200600_302600_NS5tupleIffNS7_9null_typeES9_S9_S9_S9_S9_S9_S9_EENS0_10empty_typeEbEEZZNS1_14partition_implILS5_6ELb0ES3_mNS7_12zip_iteratorINS8_INS7_6detail15normal_iteratorINS7_10device_ptrIfEEEESJ_S9_S9_S9_S9_S9_S9_S9_S9_EEEEPSB_SM_NS0_5tupleIJNSE_INS8_ISJ_NS7_16discard_iteratorINS7_11use_defaultEEES9_S9_S9_S9_S9_S9_S9_S9_EEEESB_EEENSN_IJSM_SM_EEESB_PlJNSF_9not_fun_tINSF_14equal_to_valueISA_EEEEEEE10hipError_tPvRmT3_T4_T5_T6_T7_T9_mT8_P12ihipStream_tbDpT10_ENKUlT_T0_E_clISt17integral_constantIbLb1EES1I_IbLb0EEEEDaS1E_S1F_EUlS1E_E_NS1_11comp_targetILNS1_3genE3ELNS1_11target_archE908ELNS1_3gpuE7ELNS1_3repE0EEENS1_30default_config_static_selectorELNS0_4arch9wavefront6targetE0EEEvT1_,@function
_ZN7rocprim17ROCPRIM_400000_NS6detail17trampoline_kernelINS0_14default_configENS1_25partition_config_selectorILNS1_17partition_subalgoE6EN6thrust23THRUST_200600_302600_NS5tupleIffNS7_9null_typeES9_S9_S9_S9_S9_S9_S9_EENS0_10empty_typeEbEEZZNS1_14partition_implILS5_6ELb0ES3_mNS7_12zip_iteratorINS8_INS7_6detail15normal_iteratorINS7_10device_ptrIfEEEESJ_S9_S9_S9_S9_S9_S9_S9_S9_EEEEPSB_SM_NS0_5tupleIJNSE_INS8_ISJ_NS7_16discard_iteratorINS7_11use_defaultEEES9_S9_S9_S9_S9_S9_S9_S9_EEEESB_EEENSN_IJSM_SM_EEESB_PlJNSF_9not_fun_tINSF_14equal_to_valueISA_EEEEEEE10hipError_tPvRmT3_T4_T5_T6_T7_T9_mT8_P12ihipStream_tbDpT10_ENKUlT_T0_E_clISt17integral_constantIbLb1EES1I_IbLb0EEEEDaS1E_S1F_EUlS1E_E_NS1_11comp_targetILNS1_3genE3ELNS1_11target_archE908ELNS1_3gpuE7ELNS1_3repE0EEENS1_30default_config_static_selectorELNS0_4arch9wavefront6targetE0EEEvT1_: ; @_ZN7rocprim17ROCPRIM_400000_NS6detail17trampoline_kernelINS0_14default_configENS1_25partition_config_selectorILNS1_17partition_subalgoE6EN6thrust23THRUST_200600_302600_NS5tupleIffNS7_9null_typeES9_S9_S9_S9_S9_S9_S9_EENS0_10empty_typeEbEEZZNS1_14partition_implILS5_6ELb0ES3_mNS7_12zip_iteratorINS8_INS7_6detail15normal_iteratorINS7_10device_ptrIfEEEESJ_S9_S9_S9_S9_S9_S9_S9_S9_EEEEPSB_SM_NS0_5tupleIJNSE_INS8_ISJ_NS7_16discard_iteratorINS7_11use_defaultEEES9_S9_S9_S9_S9_S9_S9_S9_EEEESB_EEENSN_IJSM_SM_EEESB_PlJNSF_9not_fun_tINSF_14equal_to_valueISA_EEEEEEE10hipError_tPvRmT3_T4_T5_T6_T7_T9_mT8_P12ihipStream_tbDpT10_ENKUlT_T0_E_clISt17integral_constantIbLb1EES1I_IbLb0EEEEDaS1E_S1F_EUlS1E_E_NS1_11comp_targetILNS1_3genE3ELNS1_11target_archE908ELNS1_3gpuE7ELNS1_3repE0EEENS1_30default_config_static_selectorELNS0_4arch9wavefront6targetE0EEEvT1_
; %bb.0:
	.section	.rodata,"a",@progbits
	.p2align	6, 0x0
	.amdhsa_kernel _ZN7rocprim17ROCPRIM_400000_NS6detail17trampoline_kernelINS0_14default_configENS1_25partition_config_selectorILNS1_17partition_subalgoE6EN6thrust23THRUST_200600_302600_NS5tupleIffNS7_9null_typeES9_S9_S9_S9_S9_S9_S9_EENS0_10empty_typeEbEEZZNS1_14partition_implILS5_6ELb0ES3_mNS7_12zip_iteratorINS8_INS7_6detail15normal_iteratorINS7_10device_ptrIfEEEESJ_S9_S9_S9_S9_S9_S9_S9_S9_EEEEPSB_SM_NS0_5tupleIJNSE_INS8_ISJ_NS7_16discard_iteratorINS7_11use_defaultEEES9_S9_S9_S9_S9_S9_S9_S9_EEEESB_EEENSN_IJSM_SM_EEESB_PlJNSF_9not_fun_tINSF_14equal_to_valueISA_EEEEEEE10hipError_tPvRmT3_T4_T5_T6_T7_T9_mT8_P12ihipStream_tbDpT10_ENKUlT_T0_E_clISt17integral_constantIbLb1EES1I_IbLb0EEEEDaS1E_S1F_EUlS1E_E_NS1_11comp_targetILNS1_3genE3ELNS1_11target_archE908ELNS1_3gpuE7ELNS1_3repE0EEENS1_30default_config_static_selectorELNS0_4arch9wavefront6targetE0EEEvT1_
		.amdhsa_group_segment_fixed_size 0
		.amdhsa_private_segment_fixed_size 0
		.amdhsa_kernarg_size 144
		.amdhsa_user_sgpr_count 2
		.amdhsa_user_sgpr_dispatch_ptr 0
		.amdhsa_user_sgpr_queue_ptr 0
		.amdhsa_user_sgpr_kernarg_segment_ptr 1
		.amdhsa_user_sgpr_dispatch_id 0
		.amdhsa_user_sgpr_private_segment_size 0
		.amdhsa_wavefront_size32 1
		.amdhsa_uses_dynamic_stack 0
		.amdhsa_enable_private_segment 0
		.amdhsa_system_sgpr_workgroup_id_x 1
		.amdhsa_system_sgpr_workgroup_id_y 0
		.amdhsa_system_sgpr_workgroup_id_z 0
		.amdhsa_system_sgpr_workgroup_info 0
		.amdhsa_system_vgpr_workitem_id 0
		.amdhsa_next_free_vgpr 1
		.amdhsa_next_free_sgpr 1
		.amdhsa_reserve_vcc 0
		.amdhsa_float_round_mode_32 0
		.amdhsa_float_round_mode_16_64 0
		.amdhsa_float_denorm_mode_32 3
		.amdhsa_float_denorm_mode_16_64 3
		.amdhsa_fp16_overflow 0
		.amdhsa_workgroup_processor_mode 1
		.amdhsa_memory_ordered 1
		.amdhsa_forward_progress 1
		.amdhsa_inst_pref_size 0
		.amdhsa_round_robin_scheduling 0
		.amdhsa_exception_fp_ieee_invalid_op 0
		.amdhsa_exception_fp_denorm_src 0
		.amdhsa_exception_fp_ieee_div_zero 0
		.amdhsa_exception_fp_ieee_overflow 0
		.amdhsa_exception_fp_ieee_underflow 0
		.amdhsa_exception_fp_ieee_inexact 0
		.amdhsa_exception_int_div_zero 0
	.end_amdhsa_kernel
	.section	.text._ZN7rocprim17ROCPRIM_400000_NS6detail17trampoline_kernelINS0_14default_configENS1_25partition_config_selectorILNS1_17partition_subalgoE6EN6thrust23THRUST_200600_302600_NS5tupleIffNS7_9null_typeES9_S9_S9_S9_S9_S9_S9_EENS0_10empty_typeEbEEZZNS1_14partition_implILS5_6ELb0ES3_mNS7_12zip_iteratorINS8_INS7_6detail15normal_iteratorINS7_10device_ptrIfEEEESJ_S9_S9_S9_S9_S9_S9_S9_S9_EEEEPSB_SM_NS0_5tupleIJNSE_INS8_ISJ_NS7_16discard_iteratorINS7_11use_defaultEEES9_S9_S9_S9_S9_S9_S9_S9_EEEESB_EEENSN_IJSM_SM_EEESB_PlJNSF_9not_fun_tINSF_14equal_to_valueISA_EEEEEEE10hipError_tPvRmT3_T4_T5_T6_T7_T9_mT8_P12ihipStream_tbDpT10_ENKUlT_T0_E_clISt17integral_constantIbLb1EES1I_IbLb0EEEEDaS1E_S1F_EUlS1E_E_NS1_11comp_targetILNS1_3genE3ELNS1_11target_archE908ELNS1_3gpuE7ELNS1_3repE0EEENS1_30default_config_static_selectorELNS0_4arch9wavefront6targetE0EEEvT1_,"axG",@progbits,_ZN7rocprim17ROCPRIM_400000_NS6detail17trampoline_kernelINS0_14default_configENS1_25partition_config_selectorILNS1_17partition_subalgoE6EN6thrust23THRUST_200600_302600_NS5tupleIffNS7_9null_typeES9_S9_S9_S9_S9_S9_S9_EENS0_10empty_typeEbEEZZNS1_14partition_implILS5_6ELb0ES3_mNS7_12zip_iteratorINS8_INS7_6detail15normal_iteratorINS7_10device_ptrIfEEEESJ_S9_S9_S9_S9_S9_S9_S9_S9_EEEEPSB_SM_NS0_5tupleIJNSE_INS8_ISJ_NS7_16discard_iteratorINS7_11use_defaultEEES9_S9_S9_S9_S9_S9_S9_S9_EEEESB_EEENSN_IJSM_SM_EEESB_PlJNSF_9not_fun_tINSF_14equal_to_valueISA_EEEEEEE10hipError_tPvRmT3_T4_T5_T6_T7_T9_mT8_P12ihipStream_tbDpT10_ENKUlT_T0_E_clISt17integral_constantIbLb1EES1I_IbLb0EEEEDaS1E_S1F_EUlS1E_E_NS1_11comp_targetILNS1_3genE3ELNS1_11target_archE908ELNS1_3gpuE7ELNS1_3repE0EEENS1_30default_config_static_selectorELNS0_4arch9wavefront6targetE0EEEvT1_,comdat
.Lfunc_end1872:
	.size	_ZN7rocprim17ROCPRIM_400000_NS6detail17trampoline_kernelINS0_14default_configENS1_25partition_config_selectorILNS1_17partition_subalgoE6EN6thrust23THRUST_200600_302600_NS5tupleIffNS7_9null_typeES9_S9_S9_S9_S9_S9_S9_EENS0_10empty_typeEbEEZZNS1_14partition_implILS5_6ELb0ES3_mNS7_12zip_iteratorINS8_INS7_6detail15normal_iteratorINS7_10device_ptrIfEEEESJ_S9_S9_S9_S9_S9_S9_S9_S9_EEEEPSB_SM_NS0_5tupleIJNSE_INS8_ISJ_NS7_16discard_iteratorINS7_11use_defaultEEES9_S9_S9_S9_S9_S9_S9_S9_EEEESB_EEENSN_IJSM_SM_EEESB_PlJNSF_9not_fun_tINSF_14equal_to_valueISA_EEEEEEE10hipError_tPvRmT3_T4_T5_T6_T7_T9_mT8_P12ihipStream_tbDpT10_ENKUlT_T0_E_clISt17integral_constantIbLb1EES1I_IbLb0EEEEDaS1E_S1F_EUlS1E_E_NS1_11comp_targetILNS1_3genE3ELNS1_11target_archE908ELNS1_3gpuE7ELNS1_3repE0EEENS1_30default_config_static_selectorELNS0_4arch9wavefront6targetE0EEEvT1_, .Lfunc_end1872-_ZN7rocprim17ROCPRIM_400000_NS6detail17trampoline_kernelINS0_14default_configENS1_25partition_config_selectorILNS1_17partition_subalgoE6EN6thrust23THRUST_200600_302600_NS5tupleIffNS7_9null_typeES9_S9_S9_S9_S9_S9_S9_EENS0_10empty_typeEbEEZZNS1_14partition_implILS5_6ELb0ES3_mNS7_12zip_iteratorINS8_INS7_6detail15normal_iteratorINS7_10device_ptrIfEEEESJ_S9_S9_S9_S9_S9_S9_S9_S9_EEEEPSB_SM_NS0_5tupleIJNSE_INS8_ISJ_NS7_16discard_iteratorINS7_11use_defaultEEES9_S9_S9_S9_S9_S9_S9_S9_EEEESB_EEENSN_IJSM_SM_EEESB_PlJNSF_9not_fun_tINSF_14equal_to_valueISA_EEEEEEE10hipError_tPvRmT3_T4_T5_T6_T7_T9_mT8_P12ihipStream_tbDpT10_ENKUlT_T0_E_clISt17integral_constantIbLb1EES1I_IbLb0EEEEDaS1E_S1F_EUlS1E_E_NS1_11comp_targetILNS1_3genE3ELNS1_11target_archE908ELNS1_3gpuE7ELNS1_3repE0EEENS1_30default_config_static_selectorELNS0_4arch9wavefront6targetE0EEEvT1_
                                        ; -- End function
	.set _ZN7rocprim17ROCPRIM_400000_NS6detail17trampoline_kernelINS0_14default_configENS1_25partition_config_selectorILNS1_17partition_subalgoE6EN6thrust23THRUST_200600_302600_NS5tupleIffNS7_9null_typeES9_S9_S9_S9_S9_S9_S9_EENS0_10empty_typeEbEEZZNS1_14partition_implILS5_6ELb0ES3_mNS7_12zip_iteratorINS8_INS7_6detail15normal_iteratorINS7_10device_ptrIfEEEESJ_S9_S9_S9_S9_S9_S9_S9_S9_EEEEPSB_SM_NS0_5tupleIJNSE_INS8_ISJ_NS7_16discard_iteratorINS7_11use_defaultEEES9_S9_S9_S9_S9_S9_S9_S9_EEEESB_EEENSN_IJSM_SM_EEESB_PlJNSF_9not_fun_tINSF_14equal_to_valueISA_EEEEEEE10hipError_tPvRmT3_T4_T5_T6_T7_T9_mT8_P12ihipStream_tbDpT10_ENKUlT_T0_E_clISt17integral_constantIbLb1EES1I_IbLb0EEEEDaS1E_S1F_EUlS1E_E_NS1_11comp_targetILNS1_3genE3ELNS1_11target_archE908ELNS1_3gpuE7ELNS1_3repE0EEENS1_30default_config_static_selectorELNS0_4arch9wavefront6targetE0EEEvT1_.num_vgpr, 0
	.set _ZN7rocprim17ROCPRIM_400000_NS6detail17trampoline_kernelINS0_14default_configENS1_25partition_config_selectorILNS1_17partition_subalgoE6EN6thrust23THRUST_200600_302600_NS5tupleIffNS7_9null_typeES9_S9_S9_S9_S9_S9_S9_EENS0_10empty_typeEbEEZZNS1_14partition_implILS5_6ELb0ES3_mNS7_12zip_iteratorINS8_INS7_6detail15normal_iteratorINS7_10device_ptrIfEEEESJ_S9_S9_S9_S9_S9_S9_S9_S9_EEEEPSB_SM_NS0_5tupleIJNSE_INS8_ISJ_NS7_16discard_iteratorINS7_11use_defaultEEES9_S9_S9_S9_S9_S9_S9_S9_EEEESB_EEENSN_IJSM_SM_EEESB_PlJNSF_9not_fun_tINSF_14equal_to_valueISA_EEEEEEE10hipError_tPvRmT3_T4_T5_T6_T7_T9_mT8_P12ihipStream_tbDpT10_ENKUlT_T0_E_clISt17integral_constantIbLb1EES1I_IbLb0EEEEDaS1E_S1F_EUlS1E_E_NS1_11comp_targetILNS1_3genE3ELNS1_11target_archE908ELNS1_3gpuE7ELNS1_3repE0EEENS1_30default_config_static_selectorELNS0_4arch9wavefront6targetE0EEEvT1_.num_agpr, 0
	.set _ZN7rocprim17ROCPRIM_400000_NS6detail17trampoline_kernelINS0_14default_configENS1_25partition_config_selectorILNS1_17partition_subalgoE6EN6thrust23THRUST_200600_302600_NS5tupleIffNS7_9null_typeES9_S9_S9_S9_S9_S9_S9_EENS0_10empty_typeEbEEZZNS1_14partition_implILS5_6ELb0ES3_mNS7_12zip_iteratorINS8_INS7_6detail15normal_iteratorINS7_10device_ptrIfEEEESJ_S9_S9_S9_S9_S9_S9_S9_S9_EEEEPSB_SM_NS0_5tupleIJNSE_INS8_ISJ_NS7_16discard_iteratorINS7_11use_defaultEEES9_S9_S9_S9_S9_S9_S9_S9_EEEESB_EEENSN_IJSM_SM_EEESB_PlJNSF_9not_fun_tINSF_14equal_to_valueISA_EEEEEEE10hipError_tPvRmT3_T4_T5_T6_T7_T9_mT8_P12ihipStream_tbDpT10_ENKUlT_T0_E_clISt17integral_constantIbLb1EES1I_IbLb0EEEEDaS1E_S1F_EUlS1E_E_NS1_11comp_targetILNS1_3genE3ELNS1_11target_archE908ELNS1_3gpuE7ELNS1_3repE0EEENS1_30default_config_static_selectorELNS0_4arch9wavefront6targetE0EEEvT1_.numbered_sgpr, 0
	.set _ZN7rocprim17ROCPRIM_400000_NS6detail17trampoline_kernelINS0_14default_configENS1_25partition_config_selectorILNS1_17partition_subalgoE6EN6thrust23THRUST_200600_302600_NS5tupleIffNS7_9null_typeES9_S9_S9_S9_S9_S9_S9_EENS0_10empty_typeEbEEZZNS1_14partition_implILS5_6ELb0ES3_mNS7_12zip_iteratorINS8_INS7_6detail15normal_iteratorINS7_10device_ptrIfEEEESJ_S9_S9_S9_S9_S9_S9_S9_S9_EEEEPSB_SM_NS0_5tupleIJNSE_INS8_ISJ_NS7_16discard_iteratorINS7_11use_defaultEEES9_S9_S9_S9_S9_S9_S9_S9_EEEESB_EEENSN_IJSM_SM_EEESB_PlJNSF_9not_fun_tINSF_14equal_to_valueISA_EEEEEEE10hipError_tPvRmT3_T4_T5_T6_T7_T9_mT8_P12ihipStream_tbDpT10_ENKUlT_T0_E_clISt17integral_constantIbLb1EES1I_IbLb0EEEEDaS1E_S1F_EUlS1E_E_NS1_11comp_targetILNS1_3genE3ELNS1_11target_archE908ELNS1_3gpuE7ELNS1_3repE0EEENS1_30default_config_static_selectorELNS0_4arch9wavefront6targetE0EEEvT1_.num_named_barrier, 0
	.set _ZN7rocprim17ROCPRIM_400000_NS6detail17trampoline_kernelINS0_14default_configENS1_25partition_config_selectorILNS1_17partition_subalgoE6EN6thrust23THRUST_200600_302600_NS5tupleIffNS7_9null_typeES9_S9_S9_S9_S9_S9_S9_EENS0_10empty_typeEbEEZZNS1_14partition_implILS5_6ELb0ES3_mNS7_12zip_iteratorINS8_INS7_6detail15normal_iteratorINS7_10device_ptrIfEEEESJ_S9_S9_S9_S9_S9_S9_S9_S9_EEEEPSB_SM_NS0_5tupleIJNSE_INS8_ISJ_NS7_16discard_iteratorINS7_11use_defaultEEES9_S9_S9_S9_S9_S9_S9_S9_EEEESB_EEENSN_IJSM_SM_EEESB_PlJNSF_9not_fun_tINSF_14equal_to_valueISA_EEEEEEE10hipError_tPvRmT3_T4_T5_T6_T7_T9_mT8_P12ihipStream_tbDpT10_ENKUlT_T0_E_clISt17integral_constantIbLb1EES1I_IbLb0EEEEDaS1E_S1F_EUlS1E_E_NS1_11comp_targetILNS1_3genE3ELNS1_11target_archE908ELNS1_3gpuE7ELNS1_3repE0EEENS1_30default_config_static_selectorELNS0_4arch9wavefront6targetE0EEEvT1_.private_seg_size, 0
	.set _ZN7rocprim17ROCPRIM_400000_NS6detail17trampoline_kernelINS0_14default_configENS1_25partition_config_selectorILNS1_17partition_subalgoE6EN6thrust23THRUST_200600_302600_NS5tupleIffNS7_9null_typeES9_S9_S9_S9_S9_S9_S9_EENS0_10empty_typeEbEEZZNS1_14partition_implILS5_6ELb0ES3_mNS7_12zip_iteratorINS8_INS7_6detail15normal_iteratorINS7_10device_ptrIfEEEESJ_S9_S9_S9_S9_S9_S9_S9_S9_EEEEPSB_SM_NS0_5tupleIJNSE_INS8_ISJ_NS7_16discard_iteratorINS7_11use_defaultEEES9_S9_S9_S9_S9_S9_S9_S9_EEEESB_EEENSN_IJSM_SM_EEESB_PlJNSF_9not_fun_tINSF_14equal_to_valueISA_EEEEEEE10hipError_tPvRmT3_T4_T5_T6_T7_T9_mT8_P12ihipStream_tbDpT10_ENKUlT_T0_E_clISt17integral_constantIbLb1EES1I_IbLb0EEEEDaS1E_S1F_EUlS1E_E_NS1_11comp_targetILNS1_3genE3ELNS1_11target_archE908ELNS1_3gpuE7ELNS1_3repE0EEENS1_30default_config_static_selectorELNS0_4arch9wavefront6targetE0EEEvT1_.uses_vcc, 0
	.set _ZN7rocprim17ROCPRIM_400000_NS6detail17trampoline_kernelINS0_14default_configENS1_25partition_config_selectorILNS1_17partition_subalgoE6EN6thrust23THRUST_200600_302600_NS5tupleIffNS7_9null_typeES9_S9_S9_S9_S9_S9_S9_EENS0_10empty_typeEbEEZZNS1_14partition_implILS5_6ELb0ES3_mNS7_12zip_iteratorINS8_INS7_6detail15normal_iteratorINS7_10device_ptrIfEEEESJ_S9_S9_S9_S9_S9_S9_S9_S9_EEEEPSB_SM_NS0_5tupleIJNSE_INS8_ISJ_NS7_16discard_iteratorINS7_11use_defaultEEES9_S9_S9_S9_S9_S9_S9_S9_EEEESB_EEENSN_IJSM_SM_EEESB_PlJNSF_9not_fun_tINSF_14equal_to_valueISA_EEEEEEE10hipError_tPvRmT3_T4_T5_T6_T7_T9_mT8_P12ihipStream_tbDpT10_ENKUlT_T0_E_clISt17integral_constantIbLb1EES1I_IbLb0EEEEDaS1E_S1F_EUlS1E_E_NS1_11comp_targetILNS1_3genE3ELNS1_11target_archE908ELNS1_3gpuE7ELNS1_3repE0EEENS1_30default_config_static_selectorELNS0_4arch9wavefront6targetE0EEEvT1_.uses_flat_scratch, 0
	.set _ZN7rocprim17ROCPRIM_400000_NS6detail17trampoline_kernelINS0_14default_configENS1_25partition_config_selectorILNS1_17partition_subalgoE6EN6thrust23THRUST_200600_302600_NS5tupleIffNS7_9null_typeES9_S9_S9_S9_S9_S9_S9_EENS0_10empty_typeEbEEZZNS1_14partition_implILS5_6ELb0ES3_mNS7_12zip_iteratorINS8_INS7_6detail15normal_iteratorINS7_10device_ptrIfEEEESJ_S9_S9_S9_S9_S9_S9_S9_S9_EEEEPSB_SM_NS0_5tupleIJNSE_INS8_ISJ_NS7_16discard_iteratorINS7_11use_defaultEEES9_S9_S9_S9_S9_S9_S9_S9_EEEESB_EEENSN_IJSM_SM_EEESB_PlJNSF_9not_fun_tINSF_14equal_to_valueISA_EEEEEEE10hipError_tPvRmT3_T4_T5_T6_T7_T9_mT8_P12ihipStream_tbDpT10_ENKUlT_T0_E_clISt17integral_constantIbLb1EES1I_IbLb0EEEEDaS1E_S1F_EUlS1E_E_NS1_11comp_targetILNS1_3genE3ELNS1_11target_archE908ELNS1_3gpuE7ELNS1_3repE0EEENS1_30default_config_static_selectorELNS0_4arch9wavefront6targetE0EEEvT1_.has_dyn_sized_stack, 0
	.set _ZN7rocprim17ROCPRIM_400000_NS6detail17trampoline_kernelINS0_14default_configENS1_25partition_config_selectorILNS1_17partition_subalgoE6EN6thrust23THRUST_200600_302600_NS5tupleIffNS7_9null_typeES9_S9_S9_S9_S9_S9_S9_EENS0_10empty_typeEbEEZZNS1_14partition_implILS5_6ELb0ES3_mNS7_12zip_iteratorINS8_INS7_6detail15normal_iteratorINS7_10device_ptrIfEEEESJ_S9_S9_S9_S9_S9_S9_S9_S9_EEEEPSB_SM_NS0_5tupleIJNSE_INS8_ISJ_NS7_16discard_iteratorINS7_11use_defaultEEES9_S9_S9_S9_S9_S9_S9_S9_EEEESB_EEENSN_IJSM_SM_EEESB_PlJNSF_9not_fun_tINSF_14equal_to_valueISA_EEEEEEE10hipError_tPvRmT3_T4_T5_T6_T7_T9_mT8_P12ihipStream_tbDpT10_ENKUlT_T0_E_clISt17integral_constantIbLb1EES1I_IbLb0EEEEDaS1E_S1F_EUlS1E_E_NS1_11comp_targetILNS1_3genE3ELNS1_11target_archE908ELNS1_3gpuE7ELNS1_3repE0EEENS1_30default_config_static_selectorELNS0_4arch9wavefront6targetE0EEEvT1_.has_recursion, 0
	.set _ZN7rocprim17ROCPRIM_400000_NS6detail17trampoline_kernelINS0_14default_configENS1_25partition_config_selectorILNS1_17partition_subalgoE6EN6thrust23THRUST_200600_302600_NS5tupleIffNS7_9null_typeES9_S9_S9_S9_S9_S9_S9_EENS0_10empty_typeEbEEZZNS1_14partition_implILS5_6ELb0ES3_mNS7_12zip_iteratorINS8_INS7_6detail15normal_iteratorINS7_10device_ptrIfEEEESJ_S9_S9_S9_S9_S9_S9_S9_S9_EEEEPSB_SM_NS0_5tupleIJNSE_INS8_ISJ_NS7_16discard_iteratorINS7_11use_defaultEEES9_S9_S9_S9_S9_S9_S9_S9_EEEESB_EEENSN_IJSM_SM_EEESB_PlJNSF_9not_fun_tINSF_14equal_to_valueISA_EEEEEEE10hipError_tPvRmT3_T4_T5_T6_T7_T9_mT8_P12ihipStream_tbDpT10_ENKUlT_T0_E_clISt17integral_constantIbLb1EES1I_IbLb0EEEEDaS1E_S1F_EUlS1E_E_NS1_11comp_targetILNS1_3genE3ELNS1_11target_archE908ELNS1_3gpuE7ELNS1_3repE0EEENS1_30default_config_static_selectorELNS0_4arch9wavefront6targetE0EEEvT1_.has_indirect_call, 0
	.section	.AMDGPU.csdata,"",@progbits
; Kernel info:
; codeLenInByte = 0
; TotalNumSgprs: 0
; NumVgprs: 0
; ScratchSize: 0
; MemoryBound: 0
; FloatMode: 240
; IeeeMode: 1
; LDSByteSize: 0 bytes/workgroup (compile time only)
; SGPRBlocks: 0
; VGPRBlocks: 0
; NumSGPRsForWavesPerEU: 1
; NumVGPRsForWavesPerEU: 1
; Occupancy: 16
; WaveLimiterHint : 0
; COMPUTE_PGM_RSRC2:SCRATCH_EN: 0
; COMPUTE_PGM_RSRC2:USER_SGPR: 2
; COMPUTE_PGM_RSRC2:TRAP_HANDLER: 0
; COMPUTE_PGM_RSRC2:TGID_X_EN: 1
; COMPUTE_PGM_RSRC2:TGID_Y_EN: 0
; COMPUTE_PGM_RSRC2:TGID_Z_EN: 0
; COMPUTE_PGM_RSRC2:TIDIG_COMP_CNT: 0
	.section	.text._ZN7rocprim17ROCPRIM_400000_NS6detail17trampoline_kernelINS0_14default_configENS1_25partition_config_selectorILNS1_17partition_subalgoE6EN6thrust23THRUST_200600_302600_NS5tupleIffNS7_9null_typeES9_S9_S9_S9_S9_S9_S9_EENS0_10empty_typeEbEEZZNS1_14partition_implILS5_6ELb0ES3_mNS7_12zip_iteratorINS8_INS7_6detail15normal_iteratorINS7_10device_ptrIfEEEESJ_S9_S9_S9_S9_S9_S9_S9_S9_EEEEPSB_SM_NS0_5tupleIJNSE_INS8_ISJ_NS7_16discard_iteratorINS7_11use_defaultEEES9_S9_S9_S9_S9_S9_S9_S9_EEEESB_EEENSN_IJSM_SM_EEESB_PlJNSF_9not_fun_tINSF_14equal_to_valueISA_EEEEEEE10hipError_tPvRmT3_T4_T5_T6_T7_T9_mT8_P12ihipStream_tbDpT10_ENKUlT_T0_E_clISt17integral_constantIbLb1EES1I_IbLb0EEEEDaS1E_S1F_EUlS1E_E_NS1_11comp_targetILNS1_3genE2ELNS1_11target_archE906ELNS1_3gpuE6ELNS1_3repE0EEENS1_30default_config_static_selectorELNS0_4arch9wavefront6targetE0EEEvT1_,"axG",@progbits,_ZN7rocprim17ROCPRIM_400000_NS6detail17trampoline_kernelINS0_14default_configENS1_25partition_config_selectorILNS1_17partition_subalgoE6EN6thrust23THRUST_200600_302600_NS5tupleIffNS7_9null_typeES9_S9_S9_S9_S9_S9_S9_EENS0_10empty_typeEbEEZZNS1_14partition_implILS5_6ELb0ES3_mNS7_12zip_iteratorINS8_INS7_6detail15normal_iteratorINS7_10device_ptrIfEEEESJ_S9_S9_S9_S9_S9_S9_S9_S9_EEEEPSB_SM_NS0_5tupleIJNSE_INS8_ISJ_NS7_16discard_iteratorINS7_11use_defaultEEES9_S9_S9_S9_S9_S9_S9_S9_EEEESB_EEENSN_IJSM_SM_EEESB_PlJNSF_9not_fun_tINSF_14equal_to_valueISA_EEEEEEE10hipError_tPvRmT3_T4_T5_T6_T7_T9_mT8_P12ihipStream_tbDpT10_ENKUlT_T0_E_clISt17integral_constantIbLb1EES1I_IbLb0EEEEDaS1E_S1F_EUlS1E_E_NS1_11comp_targetILNS1_3genE2ELNS1_11target_archE906ELNS1_3gpuE6ELNS1_3repE0EEENS1_30default_config_static_selectorELNS0_4arch9wavefront6targetE0EEEvT1_,comdat
	.protected	_ZN7rocprim17ROCPRIM_400000_NS6detail17trampoline_kernelINS0_14default_configENS1_25partition_config_selectorILNS1_17partition_subalgoE6EN6thrust23THRUST_200600_302600_NS5tupleIffNS7_9null_typeES9_S9_S9_S9_S9_S9_S9_EENS0_10empty_typeEbEEZZNS1_14partition_implILS5_6ELb0ES3_mNS7_12zip_iteratorINS8_INS7_6detail15normal_iteratorINS7_10device_ptrIfEEEESJ_S9_S9_S9_S9_S9_S9_S9_S9_EEEEPSB_SM_NS0_5tupleIJNSE_INS8_ISJ_NS7_16discard_iteratorINS7_11use_defaultEEES9_S9_S9_S9_S9_S9_S9_S9_EEEESB_EEENSN_IJSM_SM_EEESB_PlJNSF_9not_fun_tINSF_14equal_to_valueISA_EEEEEEE10hipError_tPvRmT3_T4_T5_T6_T7_T9_mT8_P12ihipStream_tbDpT10_ENKUlT_T0_E_clISt17integral_constantIbLb1EES1I_IbLb0EEEEDaS1E_S1F_EUlS1E_E_NS1_11comp_targetILNS1_3genE2ELNS1_11target_archE906ELNS1_3gpuE6ELNS1_3repE0EEENS1_30default_config_static_selectorELNS0_4arch9wavefront6targetE0EEEvT1_ ; -- Begin function _ZN7rocprim17ROCPRIM_400000_NS6detail17trampoline_kernelINS0_14default_configENS1_25partition_config_selectorILNS1_17partition_subalgoE6EN6thrust23THRUST_200600_302600_NS5tupleIffNS7_9null_typeES9_S9_S9_S9_S9_S9_S9_EENS0_10empty_typeEbEEZZNS1_14partition_implILS5_6ELb0ES3_mNS7_12zip_iteratorINS8_INS7_6detail15normal_iteratorINS7_10device_ptrIfEEEESJ_S9_S9_S9_S9_S9_S9_S9_S9_EEEEPSB_SM_NS0_5tupleIJNSE_INS8_ISJ_NS7_16discard_iteratorINS7_11use_defaultEEES9_S9_S9_S9_S9_S9_S9_S9_EEEESB_EEENSN_IJSM_SM_EEESB_PlJNSF_9not_fun_tINSF_14equal_to_valueISA_EEEEEEE10hipError_tPvRmT3_T4_T5_T6_T7_T9_mT8_P12ihipStream_tbDpT10_ENKUlT_T0_E_clISt17integral_constantIbLb1EES1I_IbLb0EEEEDaS1E_S1F_EUlS1E_E_NS1_11comp_targetILNS1_3genE2ELNS1_11target_archE906ELNS1_3gpuE6ELNS1_3repE0EEENS1_30default_config_static_selectorELNS0_4arch9wavefront6targetE0EEEvT1_
	.globl	_ZN7rocprim17ROCPRIM_400000_NS6detail17trampoline_kernelINS0_14default_configENS1_25partition_config_selectorILNS1_17partition_subalgoE6EN6thrust23THRUST_200600_302600_NS5tupleIffNS7_9null_typeES9_S9_S9_S9_S9_S9_S9_EENS0_10empty_typeEbEEZZNS1_14partition_implILS5_6ELb0ES3_mNS7_12zip_iteratorINS8_INS7_6detail15normal_iteratorINS7_10device_ptrIfEEEESJ_S9_S9_S9_S9_S9_S9_S9_S9_EEEEPSB_SM_NS0_5tupleIJNSE_INS8_ISJ_NS7_16discard_iteratorINS7_11use_defaultEEES9_S9_S9_S9_S9_S9_S9_S9_EEEESB_EEENSN_IJSM_SM_EEESB_PlJNSF_9not_fun_tINSF_14equal_to_valueISA_EEEEEEE10hipError_tPvRmT3_T4_T5_T6_T7_T9_mT8_P12ihipStream_tbDpT10_ENKUlT_T0_E_clISt17integral_constantIbLb1EES1I_IbLb0EEEEDaS1E_S1F_EUlS1E_E_NS1_11comp_targetILNS1_3genE2ELNS1_11target_archE906ELNS1_3gpuE6ELNS1_3repE0EEENS1_30default_config_static_selectorELNS0_4arch9wavefront6targetE0EEEvT1_
	.p2align	8
	.type	_ZN7rocprim17ROCPRIM_400000_NS6detail17trampoline_kernelINS0_14default_configENS1_25partition_config_selectorILNS1_17partition_subalgoE6EN6thrust23THRUST_200600_302600_NS5tupleIffNS7_9null_typeES9_S9_S9_S9_S9_S9_S9_EENS0_10empty_typeEbEEZZNS1_14partition_implILS5_6ELb0ES3_mNS7_12zip_iteratorINS8_INS7_6detail15normal_iteratorINS7_10device_ptrIfEEEESJ_S9_S9_S9_S9_S9_S9_S9_S9_EEEEPSB_SM_NS0_5tupleIJNSE_INS8_ISJ_NS7_16discard_iteratorINS7_11use_defaultEEES9_S9_S9_S9_S9_S9_S9_S9_EEEESB_EEENSN_IJSM_SM_EEESB_PlJNSF_9not_fun_tINSF_14equal_to_valueISA_EEEEEEE10hipError_tPvRmT3_T4_T5_T6_T7_T9_mT8_P12ihipStream_tbDpT10_ENKUlT_T0_E_clISt17integral_constantIbLb1EES1I_IbLb0EEEEDaS1E_S1F_EUlS1E_E_NS1_11comp_targetILNS1_3genE2ELNS1_11target_archE906ELNS1_3gpuE6ELNS1_3repE0EEENS1_30default_config_static_selectorELNS0_4arch9wavefront6targetE0EEEvT1_,@function
_ZN7rocprim17ROCPRIM_400000_NS6detail17trampoline_kernelINS0_14default_configENS1_25partition_config_selectorILNS1_17partition_subalgoE6EN6thrust23THRUST_200600_302600_NS5tupleIffNS7_9null_typeES9_S9_S9_S9_S9_S9_S9_EENS0_10empty_typeEbEEZZNS1_14partition_implILS5_6ELb0ES3_mNS7_12zip_iteratorINS8_INS7_6detail15normal_iteratorINS7_10device_ptrIfEEEESJ_S9_S9_S9_S9_S9_S9_S9_S9_EEEEPSB_SM_NS0_5tupleIJNSE_INS8_ISJ_NS7_16discard_iteratorINS7_11use_defaultEEES9_S9_S9_S9_S9_S9_S9_S9_EEEESB_EEENSN_IJSM_SM_EEESB_PlJNSF_9not_fun_tINSF_14equal_to_valueISA_EEEEEEE10hipError_tPvRmT3_T4_T5_T6_T7_T9_mT8_P12ihipStream_tbDpT10_ENKUlT_T0_E_clISt17integral_constantIbLb1EES1I_IbLb0EEEEDaS1E_S1F_EUlS1E_E_NS1_11comp_targetILNS1_3genE2ELNS1_11target_archE906ELNS1_3gpuE6ELNS1_3repE0EEENS1_30default_config_static_selectorELNS0_4arch9wavefront6targetE0EEEvT1_: ; @_ZN7rocprim17ROCPRIM_400000_NS6detail17trampoline_kernelINS0_14default_configENS1_25partition_config_selectorILNS1_17partition_subalgoE6EN6thrust23THRUST_200600_302600_NS5tupleIffNS7_9null_typeES9_S9_S9_S9_S9_S9_S9_EENS0_10empty_typeEbEEZZNS1_14partition_implILS5_6ELb0ES3_mNS7_12zip_iteratorINS8_INS7_6detail15normal_iteratorINS7_10device_ptrIfEEEESJ_S9_S9_S9_S9_S9_S9_S9_S9_EEEEPSB_SM_NS0_5tupleIJNSE_INS8_ISJ_NS7_16discard_iteratorINS7_11use_defaultEEES9_S9_S9_S9_S9_S9_S9_S9_EEEESB_EEENSN_IJSM_SM_EEESB_PlJNSF_9not_fun_tINSF_14equal_to_valueISA_EEEEEEE10hipError_tPvRmT3_T4_T5_T6_T7_T9_mT8_P12ihipStream_tbDpT10_ENKUlT_T0_E_clISt17integral_constantIbLb1EES1I_IbLb0EEEEDaS1E_S1F_EUlS1E_E_NS1_11comp_targetILNS1_3genE2ELNS1_11target_archE906ELNS1_3gpuE6ELNS1_3repE0EEENS1_30default_config_static_selectorELNS0_4arch9wavefront6targetE0EEEvT1_
; %bb.0:
	.section	.rodata,"a",@progbits
	.p2align	6, 0x0
	.amdhsa_kernel _ZN7rocprim17ROCPRIM_400000_NS6detail17trampoline_kernelINS0_14default_configENS1_25partition_config_selectorILNS1_17partition_subalgoE6EN6thrust23THRUST_200600_302600_NS5tupleIffNS7_9null_typeES9_S9_S9_S9_S9_S9_S9_EENS0_10empty_typeEbEEZZNS1_14partition_implILS5_6ELb0ES3_mNS7_12zip_iteratorINS8_INS7_6detail15normal_iteratorINS7_10device_ptrIfEEEESJ_S9_S9_S9_S9_S9_S9_S9_S9_EEEEPSB_SM_NS0_5tupleIJNSE_INS8_ISJ_NS7_16discard_iteratorINS7_11use_defaultEEES9_S9_S9_S9_S9_S9_S9_S9_EEEESB_EEENSN_IJSM_SM_EEESB_PlJNSF_9not_fun_tINSF_14equal_to_valueISA_EEEEEEE10hipError_tPvRmT3_T4_T5_T6_T7_T9_mT8_P12ihipStream_tbDpT10_ENKUlT_T0_E_clISt17integral_constantIbLb1EES1I_IbLb0EEEEDaS1E_S1F_EUlS1E_E_NS1_11comp_targetILNS1_3genE2ELNS1_11target_archE906ELNS1_3gpuE6ELNS1_3repE0EEENS1_30default_config_static_selectorELNS0_4arch9wavefront6targetE0EEEvT1_
		.amdhsa_group_segment_fixed_size 0
		.amdhsa_private_segment_fixed_size 0
		.amdhsa_kernarg_size 144
		.amdhsa_user_sgpr_count 2
		.amdhsa_user_sgpr_dispatch_ptr 0
		.amdhsa_user_sgpr_queue_ptr 0
		.amdhsa_user_sgpr_kernarg_segment_ptr 1
		.amdhsa_user_sgpr_dispatch_id 0
		.amdhsa_user_sgpr_private_segment_size 0
		.amdhsa_wavefront_size32 1
		.amdhsa_uses_dynamic_stack 0
		.amdhsa_enable_private_segment 0
		.amdhsa_system_sgpr_workgroup_id_x 1
		.amdhsa_system_sgpr_workgroup_id_y 0
		.amdhsa_system_sgpr_workgroup_id_z 0
		.amdhsa_system_sgpr_workgroup_info 0
		.amdhsa_system_vgpr_workitem_id 0
		.amdhsa_next_free_vgpr 1
		.amdhsa_next_free_sgpr 1
		.amdhsa_reserve_vcc 0
		.amdhsa_float_round_mode_32 0
		.amdhsa_float_round_mode_16_64 0
		.amdhsa_float_denorm_mode_32 3
		.amdhsa_float_denorm_mode_16_64 3
		.amdhsa_fp16_overflow 0
		.amdhsa_workgroup_processor_mode 1
		.amdhsa_memory_ordered 1
		.amdhsa_forward_progress 1
		.amdhsa_inst_pref_size 0
		.amdhsa_round_robin_scheduling 0
		.amdhsa_exception_fp_ieee_invalid_op 0
		.amdhsa_exception_fp_denorm_src 0
		.amdhsa_exception_fp_ieee_div_zero 0
		.amdhsa_exception_fp_ieee_overflow 0
		.amdhsa_exception_fp_ieee_underflow 0
		.amdhsa_exception_fp_ieee_inexact 0
		.amdhsa_exception_int_div_zero 0
	.end_amdhsa_kernel
	.section	.text._ZN7rocprim17ROCPRIM_400000_NS6detail17trampoline_kernelINS0_14default_configENS1_25partition_config_selectorILNS1_17partition_subalgoE6EN6thrust23THRUST_200600_302600_NS5tupleIffNS7_9null_typeES9_S9_S9_S9_S9_S9_S9_EENS0_10empty_typeEbEEZZNS1_14partition_implILS5_6ELb0ES3_mNS7_12zip_iteratorINS8_INS7_6detail15normal_iteratorINS7_10device_ptrIfEEEESJ_S9_S9_S9_S9_S9_S9_S9_S9_EEEEPSB_SM_NS0_5tupleIJNSE_INS8_ISJ_NS7_16discard_iteratorINS7_11use_defaultEEES9_S9_S9_S9_S9_S9_S9_S9_EEEESB_EEENSN_IJSM_SM_EEESB_PlJNSF_9not_fun_tINSF_14equal_to_valueISA_EEEEEEE10hipError_tPvRmT3_T4_T5_T6_T7_T9_mT8_P12ihipStream_tbDpT10_ENKUlT_T0_E_clISt17integral_constantIbLb1EES1I_IbLb0EEEEDaS1E_S1F_EUlS1E_E_NS1_11comp_targetILNS1_3genE2ELNS1_11target_archE906ELNS1_3gpuE6ELNS1_3repE0EEENS1_30default_config_static_selectorELNS0_4arch9wavefront6targetE0EEEvT1_,"axG",@progbits,_ZN7rocprim17ROCPRIM_400000_NS6detail17trampoline_kernelINS0_14default_configENS1_25partition_config_selectorILNS1_17partition_subalgoE6EN6thrust23THRUST_200600_302600_NS5tupleIffNS7_9null_typeES9_S9_S9_S9_S9_S9_S9_EENS0_10empty_typeEbEEZZNS1_14partition_implILS5_6ELb0ES3_mNS7_12zip_iteratorINS8_INS7_6detail15normal_iteratorINS7_10device_ptrIfEEEESJ_S9_S9_S9_S9_S9_S9_S9_S9_EEEEPSB_SM_NS0_5tupleIJNSE_INS8_ISJ_NS7_16discard_iteratorINS7_11use_defaultEEES9_S9_S9_S9_S9_S9_S9_S9_EEEESB_EEENSN_IJSM_SM_EEESB_PlJNSF_9not_fun_tINSF_14equal_to_valueISA_EEEEEEE10hipError_tPvRmT3_T4_T5_T6_T7_T9_mT8_P12ihipStream_tbDpT10_ENKUlT_T0_E_clISt17integral_constantIbLb1EES1I_IbLb0EEEEDaS1E_S1F_EUlS1E_E_NS1_11comp_targetILNS1_3genE2ELNS1_11target_archE906ELNS1_3gpuE6ELNS1_3repE0EEENS1_30default_config_static_selectorELNS0_4arch9wavefront6targetE0EEEvT1_,comdat
.Lfunc_end1873:
	.size	_ZN7rocprim17ROCPRIM_400000_NS6detail17trampoline_kernelINS0_14default_configENS1_25partition_config_selectorILNS1_17partition_subalgoE6EN6thrust23THRUST_200600_302600_NS5tupleIffNS7_9null_typeES9_S9_S9_S9_S9_S9_S9_EENS0_10empty_typeEbEEZZNS1_14partition_implILS5_6ELb0ES3_mNS7_12zip_iteratorINS8_INS7_6detail15normal_iteratorINS7_10device_ptrIfEEEESJ_S9_S9_S9_S9_S9_S9_S9_S9_EEEEPSB_SM_NS0_5tupleIJNSE_INS8_ISJ_NS7_16discard_iteratorINS7_11use_defaultEEES9_S9_S9_S9_S9_S9_S9_S9_EEEESB_EEENSN_IJSM_SM_EEESB_PlJNSF_9not_fun_tINSF_14equal_to_valueISA_EEEEEEE10hipError_tPvRmT3_T4_T5_T6_T7_T9_mT8_P12ihipStream_tbDpT10_ENKUlT_T0_E_clISt17integral_constantIbLb1EES1I_IbLb0EEEEDaS1E_S1F_EUlS1E_E_NS1_11comp_targetILNS1_3genE2ELNS1_11target_archE906ELNS1_3gpuE6ELNS1_3repE0EEENS1_30default_config_static_selectorELNS0_4arch9wavefront6targetE0EEEvT1_, .Lfunc_end1873-_ZN7rocprim17ROCPRIM_400000_NS6detail17trampoline_kernelINS0_14default_configENS1_25partition_config_selectorILNS1_17partition_subalgoE6EN6thrust23THRUST_200600_302600_NS5tupleIffNS7_9null_typeES9_S9_S9_S9_S9_S9_S9_EENS0_10empty_typeEbEEZZNS1_14partition_implILS5_6ELb0ES3_mNS7_12zip_iteratorINS8_INS7_6detail15normal_iteratorINS7_10device_ptrIfEEEESJ_S9_S9_S9_S9_S9_S9_S9_S9_EEEEPSB_SM_NS0_5tupleIJNSE_INS8_ISJ_NS7_16discard_iteratorINS7_11use_defaultEEES9_S9_S9_S9_S9_S9_S9_S9_EEEESB_EEENSN_IJSM_SM_EEESB_PlJNSF_9not_fun_tINSF_14equal_to_valueISA_EEEEEEE10hipError_tPvRmT3_T4_T5_T6_T7_T9_mT8_P12ihipStream_tbDpT10_ENKUlT_T0_E_clISt17integral_constantIbLb1EES1I_IbLb0EEEEDaS1E_S1F_EUlS1E_E_NS1_11comp_targetILNS1_3genE2ELNS1_11target_archE906ELNS1_3gpuE6ELNS1_3repE0EEENS1_30default_config_static_selectorELNS0_4arch9wavefront6targetE0EEEvT1_
                                        ; -- End function
	.set _ZN7rocprim17ROCPRIM_400000_NS6detail17trampoline_kernelINS0_14default_configENS1_25partition_config_selectorILNS1_17partition_subalgoE6EN6thrust23THRUST_200600_302600_NS5tupleIffNS7_9null_typeES9_S9_S9_S9_S9_S9_S9_EENS0_10empty_typeEbEEZZNS1_14partition_implILS5_6ELb0ES3_mNS7_12zip_iteratorINS8_INS7_6detail15normal_iteratorINS7_10device_ptrIfEEEESJ_S9_S9_S9_S9_S9_S9_S9_S9_EEEEPSB_SM_NS0_5tupleIJNSE_INS8_ISJ_NS7_16discard_iteratorINS7_11use_defaultEEES9_S9_S9_S9_S9_S9_S9_S9_EEEESB_EEENSN_IJSM_SM_EEESB_PlJNSF_9not_fun_tINSF_14equal_to_valueISA_EEEEEEE10hipError_tPvRmT3_T4_T5_T6_T7_T9_mT8_P12ihipStream_tbDpT10_ENKUlT_T0_E_clISt17integral_constantIbLb1EES1I_IbLb0EEEEDaS1E_S1F_EUlS1E_E_NS1_11comp_targetILNS1_3genE2ELNS1_11target_archE906ELNS1_3gpuE6ELNS1_3repE0EEENS1_30default_config_static_selectorELNS0_4arch9wavefront6targetE0EEEvT1_.num_vgpr, 0
	.set _ZN7rocprim17ROCPRIM_400000_NS6detail17trampoline_kernelINS0_14default_configENS1_25partition_config_selectorILNS1_17partition_subalgoE6EN6thrust23THRUST_200600_302600_NS5tupleIffNS7_9null_typeES9_S9_S9_S9_S9_S9_S9_EENS0_10empty_typeEbEEZZNS1_14partition_implILS5_6ELb0ES3_mNS7_12zip_iteratorINS8_INS7_6detail15normal_iteratorINS7_10device_ptrIfEEEESJ_S9_S9_S9_S9_S9_S9_S9_S9_EEEEPSB_SM_NS0_5tupleIJNSE_INS8_ISJ_NS7_16discard_iteratorINS7_11use_defaultEEES9_S9_S9_S9_S9_S9_S9_S9_EEEESB_EEENSN_IJSM_SM_EEESB_PlJNSF_9not_fun_tINSF_14equal_to_valueISA_EEEEEEE10hipError_tPvRmT3_T4_T5_T6_T7_T9_mT8_P12ihipStream_tbDpT10_ENKUlT_T0_E_clISt17integral_constantIbLb1EES1I_IbLb0EEEEDaS1E_S1F_EUlS1E_E_NS1_11comp_targetILNS1_3genE2ELNS1_11target_archE906ELNS1_3gpuE6ELNS1_3repE0EEENS1_30default_config_static_selectorELNS0_4arch9wavefront6targetE0EEEvT1_.num_agpr, 0
	.set _ZN7rocprim17ROCPRIM_400000_NS6detail17trampoline_kernelINS0_14default_configENS1_25partition_config_selectorILNS1_17partition_subalgoE6EN6thrust23THRUST_200600_302600_NS5tupleIffNS7_9null_typeES9_S9_S9_S9_S9_S9_S9_EENS0_10empty_typeEbEEZZNS1_14partition_implILS5_6ELb0ES3_mNS7_12zip_iteratorINS8_INS7_6detail15normal_iteratorINS7_10device_ptrIfEEEESJ_S9_S9_S9_S9_S9_S9_S9_S9_EEEEPSB_SM_NS0_5tupleIJNSE_INS8_ISJ_NS7_16discard_iteratorINS7_11use_defaultEEES9_S9_S9_S9_S9_S9_S9_S9_EEEESB_EEENSN_IJSM_SM_EEESB_PlJNSF_9not_fun_tINSF_14equal_to_valueISA_EEEEEEE10hipError_tPvRmT3_T4_T5_T6_T7_T9_mT8_P12ihipStream_tbDpT10_ENKUlT_T0_E_clISt17integral_constantIbLb1EES1I_IbLb0EEEEDaS1E_S1F_EUlS1E_E_NS1_11comp_targetILNS1_3genE2ELNS1_11target_archE906ELNS1_3gpuE6ELNS1_3repE0EEENS1_30default_config_static_selectorELNS0_4arch9wavefront6targetE0EEEvT1_.numbered_sgpr, 0
	.set _ZN7rocprim17ROCPRIM_400000_NS6detail17trampoline_kernelINS0_14default_configENS1_25partition_config_selectorILNS1_17partition_subalgoE6EN6thrust23THRUST_200600_302600_NS5tupleIffNS7_9null_typeES9_S9_S9_S9_S9_S9_S9_EENS0_10empty_typeEbEEZZNS1_14partition_implILS5_6ELb0ES3_mNS7_12zip_iteratorINS8_INS7_6detail15normal_iteratorINS7_10device_ptrIfEEEESJ_S9_S9_S9_S9_S9_S9_S9_S9_EEEEPSB_SM_NS0_5tupleIJNSE_INS8_ISJ_NS7_16discard_iteratorINS7_11use_defaultEEES9_S9_S9_S9_S9_S9_S9_S9_EEEESB_EEENSN_IJSM_SM_EEESB_PlJNSF_9not_fun_tINSF_14equal_to_valueISA_EEEEEEE10hipError_tPvRmT3_T4_T5_T6_T7_T9_mT8_P12ihipStream_tbDpT10_ENKUlT_T0_E_clISt17integral_constantIbLb1EES1I_IbLb0EEEEDaS1E_S1F_EUlS1E_E_NS1_11comp_targetILNS1_3genE2ELNS1_11target_archE906ELNS1_3gpuE6ELNS1_3repE0EEENS1_30default_config_static_selectorELNS0_4arch9wavefront6targetE0EEEvT1_.num_named_barrier, 0
	.set _ZN7rocprim17ROCPRIM_400000_NS6detail17trampoline_kernelINS0_14default_configENS1_25partition_config_selectorILNS1_17partition_subalgoE6EN6thrust23THRUST_200600_302600_NS5tupleIffNS7_9null_typeES9_S9_S9_S9_S9_S9_S9_EENS0_10empty_typeEbEEZZNS1_14partition_implILS5_6ELb0ES3_mNS7_12zip_iteratorINS8_INS7_6detail15normal_iteratorINS7_10device_ptrIfEEEESJ_S9_S9_S9_S9_S9_S9_S9_S9_EEEEPSB_SM_NS0_5tupleIJNSE_INS8_ISJ_NS7_16discard_iteratorINS7_11use_defaultEEES9_S9_S9_S9_S9_S9_S9_S9_EEEESB_EEENSN_IJSM_SM_EEESB_PlJNSF_9not_fun_tINSF_14equal_to_valueISA_EEEEEEE10hipError_tPvRmT3_T4_T5_T6_T7_T9_mT8_P12ihipStream_tbDpT10_ENKUlT_T0_E_clISt17integral_constantIbLb1EES1I_IbLb0EEEEDaS1E_S1F_EUlS1E_E_NS1_11comp_targetILNS1_3genE2ELNS1_11target_archE906ELNS1_3gpuE6ELNS1_3repE0EEENS1_30default_config_static_selectorELNS0_4arch9wavefront6targetE0EEEvT1_.private_seg_size, 0
	.set _ZN7rocprim17ROCPRIM_400000_NS6detail17trampoline_kernelINS0_14default_configENS1_25partition_config_selectorILNS1_17partition_subalgoE6EN6thrust23THRUST_200600_302600_NS5tupleIffNS7_9null_typeES9_S9_S9_S9_S9_S9_S9_EENS0_10empty_typeEbEEZZNS1_14partition_implILS5_6ELb0ES3_mNS7_12zip_iteratorINS8_INS7_6detail15normal_iteratorINS7_10device_ptrIfEEEESJ_S9_S9_S9_S9_S9_S9_S9_S9_EEEEPSB_SM_NS0_5tupleIJNSE_INS8_ISJ_NS7_16discard_iteratorINS7_11use_defaultEEES9_S9_S9_S9_S9_S9_S9_S9_EEEESB_EEENSN_IJSM_SM_EEESB_PlJNSF_9not_fun_tINSF_14equal_to_valueISA_EEEEEEE10hipError_tPvRmT3_T4_T5_T6_T7_T9_mT8_P12ihipStream_tbDpT10_ENKUlT_T0_E_clISt17integral_constantIbLb1EES1I_IbLb0EEEEDaS1E_S1F_EUlS1E_E_NS1_11comp_targetILNS1_3genE2ELNS1_11target_archE906ELNS1_3gpuE6ELNS1_3repE0EEENS1_30default_config_static_selectorELNS0_4arch9wavefront6targetE0EEEvT1_.uses_vcc, 0
	.set _ZN7rocprim17ROCPRIM_400000_NS6detail17trampoline_kernelINS0_14default_configENS1_25partition_config_selectorILNS1_17partition_subalgoE6EN6thrust23THRUST_200600_302600_NS5tupleIffNS7_9null_typeES9_S9_S9_S9_S9_S9_S9_EENS0_10empty_typeEbEEZZNS1_14partition_implILS5_6ELb0ES3_mNS7_12zip_iteratorINS8_INS7_6detail15normal_iteratorINS7_10device_ptrIfEEEESJ_S9_S9_S9_S9_S9_S9_S9_S9_EEEEPSB_SM_NS0_5tupleIJNSE_INS8_ISJ_NS7_16discard_iteratorINS7_11use_defaultEEES9_S9_S9_S9_S9_S9_S9_S9_EEEESB_EEENSN_IJSM_SM_EEESB_PlJNSF_9not_fun_tINSF_14equal_to_valueISA_EEEEEEE10hipError_tPvRmT3_T4_T5_T6_T7_T9_mT8_P12ihipStream_tbDpT10_ENKUlT_T0_E_clISt17integral_constantIbLb1EES1I_IbLb0EEEEDaS1E_S1F_EUlS1E_E_NS1_11comp_targetILNS1_3genE2ELNS1_11target_archE906ELNS1_3gpuE6ELNS1_3repE0EEENS1_30default_config_static_selectorELNS0_4arch9wavefront6targetE0EEEvT1_.uses_flat_scratch, 0
	.set _ZN7rocprim17ROCPRIM_400000_NS6detail17trampoline_kernelINS0_14default_configENS1_25partition_config_selectorILNS1_17partition_subalgoE6EN6thrust23THRUST_200600_302600_NS5tupleIffNS7_9null_typeES9_S9_S9_S9_S9_S9_S9_EENS0_10empty_typeEbEEZZNS1_14partition_implILS5_6ELb0ES3_mNS7_12zip_iteratorINS8_INS7_6detail15normal_iteratorINS7_10device_ptrIfEEEESJ_S9_S9_S9_S9_S9_S9_S9_S9_EEEEPSB_SM_NS0_5tupleIJNSE_INS8_ISJ_NS7_16discard_iteratorINS7_11use_defaultEEES9_S9_S9_S9_S9_S9_S9_S9_EEEESB_EEENSN_IJSM_SM_EEESB_PlJNSF_9not_fun_tINSF_14equal_to_valueISA_EEEEEEE10hipError_tPvRmT3_T4_T5_T6_T7_T9_mT8_P12ihipStream_tbDpT10_ENKUlT_T0_E_clISt17integral_constantIbLb1EES1I_IbLb0EEEEDaS1E_S1F_EUlS1E_E_NS1_11comp_targetILNS1_3genE2ELNS1_11target_archE906ELNS1_3gpuE6ELNS1_3repE0EEENS1_30default_config_static_selectorELNS0_4arch9wavefront6targetE0EEEvT1_.has_dyn_sized_stack, 0
	.set _ZN7rocprim17ROCPRIM_400000_NS6detail17trampoline_kernelINS0_14default_configENS1_25partition_config_selectorILNS1_17partition_subalgoE6EN6thrust23THRUST_200600_302600_NS5tupleIffNS7_9null_typeES9_S9_S9_S9_S9_S9_S9_EENS0_10empty_typeEbEEZZNS1_14partition_implILS5_6ELb0ES3_mNS7_12zip_iteratorINS8_INS7_6detail15normal_iteratorINS7_10device_ptrIfEEEESJ_S9_S9_S9_S9_S9_S9_S9_S9_EEEEPSB_SM_NS0_5tupleIJNSE_INS8_ISJ_NS7_16discard_iteratorINS7_11use_defaultEEES9_S9_S9_S9_S9_S9_S9_S9_EEEESB_EEENSN_IJSM_SM_EEESB_PlJNSF_9not_fun_tINSF_14equal_to_valueISA_EEEEEEE10hipError_tPvRmT3_T4_T5_T6_T7_T9_mT8_P12ihipStream_tbDpT10_ENKUlT_T0_E_clISt17integral_constantIbLb1EES1I_IbLb0EEEEDaS1E_S1F_EUlS1E_E_NS1_11comp_targetILNS1_3genE2ELNS1_11target_archE906ELNS1_3gpuE6ELNS1_3repE0EEENS1_30default_config_static_selectorELNS0_4arch9wavefront6targetE0EEEvT1_.has_recursion, 0
	.set _ZN7rocprim17ROCPRIM_400000_NS6detail17trampoline_kernelINS0_14default_configENS1_25partition_config_selectorILNS1_17partition_subalgoE6EN6thrust23THRUST_200600_302600_NS5tupleIffNS7_9null_typeES9_S9_S9_S9_S9_S9_S9_EENS0_10empty_typeEbEEZZNS1_14partition_implILS5_6ELb0ES3_mNS7_12zip_iteratorINS8_INS7_6detail15normal_iteratorINS7_10device_ptrIfEEEESJ_S9_S9_S9_S9_S9_S9_S9_S9_EEEEPSB_SM_NS0_5tupleIJNSE_INS8_ISJ_NS7_16discard_iteratorINS7_11use_defaultEEES9_S9_S9_S9_S9_S9_S9_S9_EEEESB_EEENSN_IJSM_SM_EEESB_PlJNSF_9not_fun_tINSF_14equal_to_valueISA_EEEEEEE10hipError_tPvRmT3_T4_T5_T6_T7_T9_mT8_P12ihipStream_tbDpT10_ENKUlT_T0_E_clISt17integral_constantIbLb1EES1I_IbLb0EEEEDaS1E_S1F_EUlS1E_E_NS1_11comp_targetILNS1_3genE2ELNS1_11target_archE906ELNS1_3gpuE6ELNS1_3repE0EEENS1_30default_config_static_selectorELNS0_4arch9wavefront6targetE0EEEvT1_.has_indirect_call, 0
	.section	.AMDGPU.csdata,"",@progbits
; Kernel info:
; codeLenInByte = 0
; TotalNumSgprs: 0
; NumVgprs: 0
; ScratchSize: 0
; MemoryBound: 0
; FloatMode: 240
; IeeeMode: 1
; LDSByteSize: 0 bytes/workgroup (compile time only)
; SGPRBlocks: 0
; VGPRBlocks: 0
; NumSGPRsForWavesPerEU: 1
; NumVGPRsForWavesPerEU: 1
; Occupancy: 16
; WaveLimiterHint : 0
; COMPUTE_PGM_RSRC2:SCRATCH_EN: 0
; COMPUTE_PGM_RSRC2:USER_SGPR: 2
; COMPUTE_PGM_RSRC2:TRAP_HANDLER: 0
; COMPUTE_PGM_RSRC2:TGID_X_EN: 1
; COMPUTE_PGM_RSRC2:TGID_Y_EN: 0
; COMPUTE_PGM_RSRC2:TGID_Z_EN: 0
; COMPUTE_PGM_RSRC2:TIDIG_COMP_CNT: 0
	.section	.text._ZN7rocprim17ROCPRIM_400000_NS6detail17trampoline_kernelINS0_14default_configENS1_25partition_config_selectorILNS1_17partition_subalgoE6EN6thrust23THRUST_200600_302600_NS5tupleIffNS7_9null_typeES9_S9_S9_S9_S9_S9_S9_EENS0_10empty_typeEbEEZZNS1_14partition_implILS5_6ELb0ES3_mNS7_12zip_iteratorINS8_INS7_6detail15normal_iteratorINS7_10device_ptrIfEEEESJ_S9_S9_S9_S9_S9_S9_S9_S9_EEEEPSB_SM_NS0_5tupleIJNSE_INS8_ISJ_NS7_16discard_iteratorINS7_11use_defaultEEES9_S9_S9_S9_S9_S9_S9_S9_EEEESB_EEENSN_IJSM_SM_EEESB_PlJNSF_9not_fun_tINSF_14equal_to_valueISA_EEEEEEE10hipError_tPvRmT3_T4_T5_T6_T7_T9_mT8_P12ihipStream_tbDpT10_ENKUlT_T0_E_clISt17integral_constantIbLb1EES1I_IbLb0EEEEDaS1E_S1F_EUlS1E_E_NS1_11comp_targetILNS1_3genE10ELNS1_11target_archE1200ELNS1_3gpuE4ELNS1_3repE0EEENS1_30default_config_static_selectorELNS0_4arch9wavefront6targetE0EEEvT1_,"axG",@progbits,_ZN7rocprim17ROCPRIM_400000_NS6detail17trampoline_kernelINS0_14default_configENS1_25partition_config_selectorILNS1_17partition_subalgoE6EN6thrust23THRUST_200600_302600_NS5tupleIffNS7_9null_typeES9_S9_S9_S9_S9_S9_S9_EENS0_10empty_typeEbEEZZNS1_14partition_implILS5_6ELb0ES3_mNS7_12zip_iteratorINS8_INS7_6detail15normal_iteratorINS7_10device_ptrIfEEEESJ_S9_S9_S9_S9_S9_S9_S9_S9_EEEEPSB_SM_NS0_5tupleIJNSE_INS8_ISJ_NS7_16discard_iteratorINS7_11use_defaultEEES9_S9_S9_S9_S9_S9_S9_S9_EEEESB_EEENSN_IJSM_SM_EEESB_PlJNSF_9not_fun_tINSF_14equal_to_valueISA_EEEEEEE10hipError_tPvRmT3_T4_T5_T6_T7_T9_mT8_P12ihipStream_tbDpT10_ENKUlT_T0_E_clISt17integral_constantIbLb1EES1I_IbLb0EEEEDaS1E_S1F_EUlS1E_E_NS1_11comp_targetILNS1_3genE10ELNS1_11target_archE1200ELNS1_3gpuE4ELNS1_3repE0EEENS1_30default_config_static_selectorELNS0_4arch9wavefront6targetE0EEEvT1_,comdat
	.protected	_ZN7rocprim17ROCPRIM_400000_NS6detail17trampoline_kernelINS0_14default_configENS1_25partition_config_selectorILNS1_17partition_subalgoE6EN6thrust23THRUST_200600_302600_NS5tupleIffNS7_9null_typeES9_S9_S9_S9_S9_S9_S9_EENS0_10empty_typeEbEEZZNS1_14partition_implILS5_6ELb0ES3_mNS7_12zip_iteratorINS8_INS7_6detail15normal_iteratorINS7_10device_ptrIfEEEESJ_S9_S9_S9_S9_S9_S9_S9_S9_EEEEPSB_SM_NS0_5tupleIJNSE_INS8_ISJ_NS7_16discard_iteratorINS7_11use_defaultEEES9_S9_S9_S9_S9_S9_S9_S9_EEEESB_EEENSN_IJSM_SM_EEESB_PlJNSF_9not_fun_tINSF_14equal_to_valueISA_EEEEEEE10hipError_tPvRmT3_T4_T5_T6_T7_T9_mT8_P12ihipStream_tbDpT10_ENKUlT_T0_E_clISt17integral_constantIbLb1EES1I_IbLb0EEEEDaS1E_S1F_EUlS1E_E_NS1_11comp_targetILNS1_3genE10ELNS1_11target_archE1200ELNS1_3gpuE4ELNS1_3repE0EEENS1_30default_config_static_selectorELNS0_4arch9wavefront6targetE0EEEvT1_ ; -- Begin function _ZN7rocprim17ROCPRIM_400000_NS6detail17trampoline_kernelINS0_14default_configENS1_25partition_config_selectorILNS1_17partition_subalgoE6EN6thrust23THRUST_200600_302600_NS5tupleIffNS7_9null_typeES9_S9_S9_S9_S9_S9_S9_EENS0_10empty_typeEbEEZZNS1_14partition_implILS5_6ELb0ES3_mNS7_12zip_iteratorINS8_INS7_6detail15normal_iteratorINS7_10device_ptrIfEEEESJ_S9_S9_S9_S9_S9_S9_S9_S9_EEEEPSB_SM_NS0_5tupleIJNSE_INS8_ISJ_NS7_16discard_iteratorINS7_11use_defaultEEES9_S9_S9_S9_S9_S9_S9_S9_EEEESB_EEENSN_IJSM_SM_EEESB_PlJNSF_9not_fun_tINSF_14equal_to_valueISA_EEEEEEE10hipError_tPvRmT3_T4_T5_T6_T7_T9_mT8_P12ihipStream_tbDpT10_ENKUlT_T0_E_clISt17integral_constantIbLb1EES1I_IbLb0EEEEDaS1E_S1F_EUlS1E_E_NS1_11comp_targetILNS1_3genE10ELNS1_11target_archE1200ELNS1_3gpuE4ELNS1_3repE0EEENS1_30default_config_static_selectorELNS0_4arch9wavefront6targetE0EEEvT1_
	.globl	_ZN7rocprim17ROCPRIM_400000_NS6detail17trampoline_kernelINS0_14default_configENS1_25partition_config_selectorILNS1_17partition_subalgoE6EN6thrust23THRUST_200600_302600_NS5tupleIffNS7_9null_typeES9_S9_S9_S9_S9_S9_S9_EENS0_10empty_typeEbEEZZNS1_14partition_implILS5_6ELb0ES3_mNS7_12zip_iteratorINS8_INS7_6detail15normal_iteratorINS7_10device_ptrIfEEEESJ_S9_S9_S9_S9_S9_S9_S9_S9_EEEEPSB_SM_NS0_5tupleIJNSE_INS8_ISJ_NS7_16discard_iteratorINS7_11use_defaultEEES9_S9_S9_S9_S9_S9_S9_S9_EEEESB_EEENSN_IJSM_SM_EEESB_PlJNSF_9not_fun_tINSF_14equal_to_valueISA_EEEEEEE10hipError_tPvRmT3_T4_T5_T6_T7_T9_mT8_P12ihipStream_tbDpT10_ENKUlT_T0_E_clISt17integral_constantIbLb1EES1I_IbLb0EEEEDaS1E_S1F_EUlS1E_E_NS1_11comp_targetILNS1_3genE10ELNS1_11target_archE1200ELNS1_3gpuE4ELNS1_3repE0EEENS1_30default_config_static_selectorELNS0_4arch9wavefront6targetE0EEEvT1_
	.p2align	8
	.type	_ZN7rocprim17ROCPRIM_400000_NS6detail17trampoline_kernelINS0_14default_configENS1_25partition_config_selectorILNS1_17partition_subalgoE6EN6thrust23THRUST_200600_302600_NS5tupleIffNS7_9null_typeES9_S9_S9_S9_S9_S9_S9_EENS0_10empty_typeEbEEZZNS1_14partition_implILS5_6ELb0ES3_mNS7_12zip_iteratorINS8_INS7_6detail15normal_iteratorINS7_10device_ptrIfEEEESJ_S9_S9_S9_S9_S9_S9_S9_S9_EEEEPSB_SM_NS0_5tupleIJNSE_INS8_ISJ_NS7_16discard_iteratorINS7_11use_defaultEEES9_S9_S9_S9_S9_S9_S9_S9_EEEESB_EEENSN_IJSM_SM_EEESB_PlJNSF_9not_fun_tINSF_14equal_to_valueISA_EEEEEEE10hipError_tPvRmT3_T4_T5_T6_T7_T9_mT8_P12ihipStream_tbDpT10_ENKUlT_T0_E_clISt17integral_constantIbLb1EES1I_IbLb0EEEEDaS1E_S1F_EUlS1E_E_NS1_11comp_targetILNS1_3genE10ELNS1_11target_archE1200ELNS1_3gpuE4ELNS1_3repE0EEENS1_30default_config_static_selectorELNS0_4arch9wavefront6targetE0EEEvT1_,@function
_ZN7rocprim17ROCPRIM_400000_NS6detail17trampoline_kernelINS0_14default_configENS1_25partition_config_selectorILNS1_17partition_subalgoE6EN6thrust23THRUST_200600_302600_NS5tupleIffNS7_9null_typeES9_S9_S9_S9_S9_S9_S9_EENS0_10empty_typeEbEEZZNS1_14partition_implILS5_6ELb0ES3_mNS7_12zip_iteratorINS8_INS7_6detail15normal_iteratorINS7_10device_ptrIfEEEESJ_S9_S9_S9_S9_S9_S9_S9_S9_EEEEPSB_SM_NS0_5tupleIJNSE_INS8_ISJ_NS7_16discard_iteratorINS7_11use_defaultEEES9_S9_S9_S9_S9_S9_S9_S9_EEEESB_EEENSN_IJSM_SM_EEESB_PlJNSF_9not_fun_tINSF_14equal_to_valueISA_EEEEEEE10hipError_tPvRmT3_T4_T5_T6_T7_T9_mT8_P12ihipStream_tbDpT10_ENKUlT_T0_E_clISt17integral_constantIbLb1EES1I_IbLb0EEEEDaS1E_S1F_EUlS1E_E_NS1_11comp_targetILNS1_3genE10ELNS1_11target_archE1200ELNS1_3gpuE4ELNS1_3repE0EEENS1_30default_config_static_selectorELNS0_4arch9wavefront6targetE0EEEvT1_: ; @_ZN7rocprim17ROCPRIM_400000_NS6detail17trampoline_kernelINS0_14default_configENS1_25partition_config_selectorILNS1_17partition_subalgoE6EN6thrust23THRUST_200600_302600_NS5tupleIffNS7_9null_typeES9_S9_S9_S9_S9_S9_S9_EENS0_10empty_typeEbEEZZNS1_14partition_implILS5_6ELb0ES3_mNS7_12zip_iteratorINS8_INS7_6detail15normal_iteratorINS7_10device_ptrIfEEEESJ_S9_S9_S9_S9_S9_S9_S9_S9_EEEEPSB_SM_NS0_5tupleIJNSE_INS8_ISJ_NS7_16discard_iteratorINS7_11use_defaultEEES9_S9_S9_S9_S9_S9_S9_S9_EEEESB_EEENSN_IJSM_SM_EEESB_PlJNSF_9not_fun_tINSF_14equal_to_valueISA_EEEEEEE10hipError_tPvRmT3_T4_T5_T6_T7_T9_mT8_P12ihipStream_tbDpT10_ENKUlT_T0_E_clISt17integral_constantIbLb1EES1I_IbLb0EEEEDaS1E_S1F_EUlS1E_E_NS1_11comp_targetILNS1_3genE10ELNS1_11target_archE1200ELNS1_3gpuE4ELNS1_3repE0EEENS1_30default_config_static_selectorELNS0_4arch9wavefront6targetE0EEEvT1_
; %bb.0:
	s_endpgm
	.section	.rodata,"a",@progbits
	.p2align	6, 0x0
	.amdhsa_kernel _ZN7rocprim17ROCPRIM_400000_NS6detail17trampoline_kernelINS0_14default_configENS1_25partition_config_selectorILNS1_17partition_subalgoE6EN6thrust23THRUST_200600_302600_NS5tupleIffNS7_9null_typeES9_S9_S9_S9_S9_S9_S9_EENS0_10empty_typeEbEEZZNS1_14partition_implILS5_6ELb0ES3_mNS7_12zip_iteratorINS8_INS7_6detail15normal_iteratorINS7_10device_ptrIfEEEESJ_S9_S9_S9_S9_S9_S9_S9_S9_EEEEPSB_SM_NS0_5tupleIJNSE_INS8_ISJ_NS7_16discard_iteratorINS7_11use_defaultEEES9_S9_S9_S9_S9_S9_S9_S9_EEEESB_EEENSN_IJSM_SM_EEESB_PlJNSF_9not_fun_tINSF_14equal_to_valueISA_EEEEEEE10hipError_tPvRmT3_T4_T5_T6_T7_T9_mT8_P12ihipStream_tbDpT10_ENKUlT_T0_E_clISt17integral_constantIbLb1EES1I_IbLb0EEEEDaS1E_S1F_EUlS1E_E_NS1_11comp_targetILNS1_3genE10ELNS1_11target_archE1200ELNS1_3gpuE4ELNS1_3repE0EEENS1_30default_config_static_selectorELNS0_4arch9wavefront6targetE0EEEvT1_
		.amdhsa_group_segment_fixed_size 0
		.amdhsa_private_segment_fixed_size 0
		.amdhsa_kernarg_size 144
		.amdhsa_user_sgpr_count 2
		.amdhsa_user_sgpr_dispatch_ptr 0
		.amdhsa_user_sgpr_queue_ptr 0
		.amdhsa_user_sgpr_kernarg_segment_ptr 1
		.amdhsa_user_sgpr_dispatch_id 0
		.amdhsa_user_sgpr_private_segment_size 0
		.amdhsa_wavefront_size32 1
		.amdhsa_uses_dynamic_stack 0
		.amdhsa_enable_private_segment 0
		.amdhsa_system_sgpr_workgroup_id_x 1
		.amdhsa_system_sgpr_workgroup_id_y 0
		.amdhsa_system_sgpr_workgroup_id_z 0
		.amdhsa_system_sgpr_workgroup_info 0
		.amdhsa_system_vgpr_workitem_id 0
		.amdhsa_next_free_vgpr 1
		.amdhsa_next_free_sgpr 1
		.amdhsa_reserve_vcc 0
		.amdhsa_float_round_mode_32 0
		.amdhsa_float_round_mode_16_64 0
		.amdhsa_float_denorm_mode_32 3
		.amdhsa_float_denorm_mode_16_64 3
		.amdhsa_fp16_overflow 0
		.amdhsa_workgroup_processor_mode 1
		.amdhsa_memory_ordered 1
		.amdhsa_forward_progress 1
		.amdhsa_inst_pref_size 1
		.amdhsa_round_robin_scheduling 0
		.amdhsa_exception_fp_ieee_invalid_op 0
		.amdhsa_exception_fp_denorm_src 0
		.amdhsa_exception_fp_ieee_div_zero 0
		.amdhsa_exception_fp_ieee_overflow 0
		.amdhsa_exception_fp_ieee_underflow 0
		.amdhsa_exception_fp_ieee_inexact 0
		.amdhsa_exception_int_div_zero 0
	.end_amdhsa_kernel
	.section	.text._ZN7rocprim17ROCPRIM_400000_NS6detail17trampoline_kernelINS0_14default_configENS1_25partition_config_selectorILNS1_17partition_subalgoE6EN6thrust23THRUST_200600_302600_NS5tupleIffNS7_9null_typeES9_S9_S9_S9_S9_S9_S9_EENS0_10empty_typeEbEEZZNS1_14partition_implILS5_6ELb0ES3_mNS7_12zip_iteratorINS8_INS7_6detail15normal_iteratorINS7_10device_ptrIfEEEESJ_S9_S9_S9_S9_S9_S9_S9_S9_EEEEPSB_SM_NS0_5tupleIJNSE_INS8_ISJ_NS7_16discard_iteratorINS7_11use_defaultEEES9_S9_S9_S9_S9_S9_S9_S9_EEEESB_EEENSN_IJSM_SM_EEESB_PlJNSF_9not_fun_tINSF_14equal_to_valueISA_EEEEEEE10hipError_tPvRmT3_T4_T5_T6_T7_T9_mT8_P12ihipStream_tbDpT10_ENKUlT_T0_E_clISt17integral_constantIbLb1EES1I_IbLb0EEEEDaS1E_S1F_EUlS1E_E_NS1_11comp_targetILNS1_3genE10ELNS1_11target_archE1200ELNS1_3gpuE4ELNS1_3repE0EEENS1_30default_config_static_selectorELNS0_4arch9wavefront6targetE0EEEvT1_,"axG",@progbits,_ZN7rocprim17ROCPRIM_400000_NS6detail17trampoline_kernelINS0_14default_configENS1_25partition_config_selectorILNS1_17partition_subalgoE6EN6thrust23THRUST_200600_302600_NS5tupleIffNS7_9null_typeES9_S9_S9_S9_S9_S9_S9_EENS0_10empty_typeEbEEZZNS1_14partition_implILS5_6ELb0ES3_mNS7_12zip_iteratorINS8_INS7_6detail15normal_iteratorINS7_10device_ptrIfEEEESJ_S9_S9_S9_S9_S9_S9_S9_S9_EEEEPSB_SM_NS0_5tupleIJNSE_INS8_ISJ_NS7_16discard_iteratorINS7_11use_defaultEEES9_S9_S9_S9_S9_S9_S9_S9_EEEESB_EEENSN_IJSM_SM_EEESB_PlJNSF_9not_fun_tINSF_14equal_to_valueISA_EEEEEEE10hipError_tPvRmT3_T4_T5_T6_T7_T9_mT8_P12ihipStream_tbDpT10_ENKUlT_T0_E_clISt17integral_constantIbLb1EES1I_IbLb0EEEEDaS1E_S1F_EUlS1E_E_NS1_11comp_targetILNS1_3genE10ELNS1_11target_archE1200ELNS1_3gpuE4ELNS1_3repE0EEENS1_30default_config_static_selectorELNS0_4arch9wavefront6targetE0EEEvT1_,comdat
.Lfunc_end1874:
	.size	_ZN7rocprim17ROCPRIM_400000_NS6detail17trampoline_kernelINS0_14default_configENS1_25partition_config_selectorILNS1_17partition_subalgoE6EN6thrust23THRUST_200600_302600_NS5tupleIffNS7_9null_typeES9_S9_S9_S9_S9_S9_S9_EENS0_10empty_typeEbEEZZNS1_14partition_implILS5_6ELb0ES3_mNS7_12zip_iteratorINS8_INS7_6detail15normal_iteratorINS7_10device_ptrIfEEEESJ_S9_S9_S9_S9_S9_S9_S9_S9_EEEEPSB_SM_NS0_5tupleIJNSE_INS8_ISJ_NS7_16discard_iteratorINS7_11use_defaultEEES9_S9_S9_S9_S9_S9_S9_S9_EEEESB_EEENSN_IJSM_SM_EEESB_PlJNSF_9not_fun_tINSF_14equal_to_valueISA_EEEEEEE10hipError_tPvRmT3_T4_T5_T6_T7_T9_mT8_P12ihipStream_tbDpT10_ENKUlT_T0_E_clISt17integral_constantIbLb1EES1I_IbLb0EEEEDaS1E_S1F_EUlS1E_E_NS1_11comp_targetILNS1_3genE10ELNS1_11target_archE1200ELNS1_3gpuE4ELNS1_3repE0EEENS1_30default_config_static_selectorELNS0_4arch9wavefront6targetE0EEEvT1_, .Lfunc_end1874-_ZN7rocprim17ROCPRIM_400000_NS6detail17trampoline_kernelINS0_14default_configENS1_25partition_config_selectorILNS1_17partition_subalgoE6EN6thrust23THRUST_200600_302600_NS5tupleIffNS7_9null_typeES9_S9_S9_S9_S9_S9_S9_EENS0_10empty_typeEbEEZZNS1_14partition_implILS5_6ELb0ES3_mNS7_12zip_iteratorINS8_INS7_6detail15normal_iteratorINS7_10device_ptrIfEEEESJ_S9_S9_S9_S9_S9_S9_S9_S9_EEEEPSB_SM_NS0_5tupleIJNSE_INS8_ISJ_NS7_16discard_iteratorINS7_11use_defaultEEES9_S9_S9_S9_S9_S9_S9_S9_EEEESB_EEENSN_IJSM_SM_EEESB_PlJNSF_9not_fun_tINSF_14equal_to_valueISA_EEEEEEE10hipError_tPvRmT3_T4_T5_T6_T7_T9_mT8_P12ihipStream_tbDpT10_ENKUlT_T0_E_clISt17integral_constantIbLb1EES1I_IbLb0EEEEDaS1E_S1F_EUlS1E_E_NS1_11comp_targetILNS1_3genE10ELNS1_11target_archE1200ELNS1_3gpuE4ELNS1_3repE0EEENS1_30default_config_static_selectorELNS0_4arch9wavefront6targetE0EEEvT1_
                                        ; -- End function
	.set _ZN7rocprim17ROCPRIM_400000_NS6detail17trampoline_kernelINS0_14default_configENS1_25partition_config_selectorILNS1_17partition_subalgoE6EN6thrust23THRUST_200600_302600_NS5tupleIffNS7_9null_typeES9_S9_S9_S9_S9_S9_S9_EENS0_10empty_typeEbEEZZNS1_14partition_implILS5_6ELb0ES3_mNS7_12zip_iteratorINS8_INS7_6detail15normal_iteratorINS7_10device_ptrIfEEEESJ_S9_S9_S9_S9_S9_S9_S9_S9_EEEEPSB_SM_NS0_5tupleIJNSE_INS8_ISJ_NS7_16discard_iteratorINS7_11use_defaultEEES9_S9_S9_S9_S9_S9_S9_S9_EEEESB_EEENSN_IJSM_SM_EEESB_PlJNSF_9not_fun_tINSF_14equal_to_valueISA_EEEEEEE10hipError_tPvRmT3_T4_T5_T6_T7_T9_mT8_P12ihipStream_tbDpT10_ENKUlT_T0_E_clISt17integral_constantIbLb1EES1I_IbLb0EEEEDaS1E_S1F_EUlS1E_E_NS1_11comp_targetILNS1_3genE10ELNS1_11target_archE1200ELNS1_3gpuE4ELNS1_3repE0EEENS1_30default_config_static_selectorELNS0_4arch9wavefront6targetE0EEEvT1_.num_vgpr, 0
	.set _ZN7rocprim17ROCPRIM_400000_NS6detail17trampoline_kernelINS0_14default_configENS1_25partition_config_selectorILNS1_17partition_subalgoE6EN6thrust23THRUST_200600_302600_NS5tupleIffNS7_9null_typeES9_S9_S9_S9_S9_S9_S9_EENS0_10empty_typeEbEEZZNS1_14partition_implILS5_6ELb0ES3_mNS7_12zip_iteratorINS8_INS7_6detail15normal_iteratorINS7_10device_ptrIfEEEESJ_S9_S9_S9_S9_S9_S9_S9_S9_EEEEPSB_SM_NS0_5tupleIJNSE_INS8_ISJ_NS7_16discard_iteratorINS7_11use_defaultEEES9_S9_S9_S9_S9_S9_S9_S9_EEEESB_EEENSN_IJSM_SM_EEESB_PlJNSF_9not_fun_tINSF_14equal_to_valueISA_EEEEEEE10hipError_tPvRmT3_T4_T5_T6_T7_T9_mT8_P12ihipStream_tbDpT10_ENKUlT_T0_E_clISt17integral_constantIbLb1EES1I_IbLb0EEEEDaS1E_S1F_EUlS1E_E_NS1_11comp_targetILNS1_3genE10ELNS1_11target_archE1200ELNS1_3gpuE4ELNS1_3repE0EEENS1_30default_config_static_selectorELNS0_4arch9wavefront6targetE0EEEvT1_.num_agpr, 0
	.set _ZN7rocprim17ROCPRIM_400000_NS6detail17trampoline_kernelINS0_14default_configENS1_25partition_config_selectorILNS1_17partition_subalgoE6EN6thrust23THRUST_200600_302600_NS5tupleIffNS7_9null_typeES9_S9_S9_S9_S9_S9_S9_EENS0_10empty_typeEbEEZZNS1_14partition_implILS5_6ELb0ES3_mNS7_12zip_iteratorINS8_INS7_6detail15normal_iteratorINS7_10device_ptrIfEEEESJ_S9_S9_S9_S9_S9_S9_S9_S9_EEEEPSB_SM_NS0_5tupleIJNSE_INS8_ISJ_NS7_16discard_iteratorINS7_11use_defaultEEES9_S9_S9_S9_S9_S9_S9_S9_EEEESB_EEENSN_IJSM_SM_EEESB_PlJNSF_9not_fun_tINSF_14equal_to_valueISA_EEEEEEE10hipError_tPvRmT3_T4_T5_T6_T7_T9_mT8_P12ihipStream_tbDpT10_ENKUlT_T0_E_clISt17integral_constantIbLb1EES1I_IbLb0EEEEDaS1E_S1F_EUlS1E_E_NS1_11comp_targetILNS1_3genE10ELNS1_11target_archE1200ELNS1_3gpuE4ELNS1_3repE0EEENS1_30default_config_static_selectorELNS0_4arch9wavefront6targetE0EEEvT1_.numbered_sgpr, 0
	.set _ZN7rocprim17ROCPRIM_400000_NS6detail17trampoline_kernelINS0_14default_configENS1_25partition_config_selectorILNS1_17partition_subalgoE6EN6thrust23THRUST_200600_302600_NS5tupleIffNS7_9null_typeES9_S9_S9_S9_S9_S9_S9_EENS0_10empty_typeEbEEZZNS1_14partition_implILS5_6ELb0ES3_mNS7_12zip_iteratorINS8_INS7_6detail15normal_iteratorINS7_10device_ptrIfEEEESJ_S9_S9_S9_S9_S9_S9_S9_S9_EEEEPSB_SM_NS0_5tupleIJNSE_INS8_ISJ_NS7_16discard_iteratorINS7_11use_defaultEEES9_S9_S9_S9_S9_S9_S9_S9_EEEESB_EEENSN_IJSM_SM_EEESB_PlJNSF_9not_fun_tINSF_14equal_to_valueISA_EEEEEEE10hipError_tPvRmT3_T4_T5_T6_T7_T9_mT8_P12ihipStream_tbDpT10_ENKUlT_T0_E_clISt17integral_constantIbLb1EES1I_IbLb0EEEEDaS1E_S1F_EUlS1E_E_NS1_11comp_targetILNS1_3genE10ELNS1_11target_archE1200ELNS1_3gpuE4ELNS1_3repE0EEENS1_30default_config_static_selectorELNS0_4arch9wavefront6targetE0EEEvT1_.num_named_barrier, 0
	.set _ZN7rocprim17ROCPRIM_400000_NS6detail17trampoline_kernelINS0_14default_configENS1_25partition_config_selectorILNS1_17partition_subalgoE6EN6thrust23THRUST_200600_302600_NS5tupleIffNS7_9null_typeES9_S9_S9_S9_S9_S9_S9_EENS0_10empty_typeEbEEZZNS1_14partition_implILS5_6ELb0ES3_mNS7_12zip_iteratorINS8_INS7_6detail15normal_iteratorINS7_10device_ptrIfEEEESJ_S9_S9_S9_S9_S9_S9_S9_S9_EEEEPSB_SM_NS0_5tupleIJNSE_INS8_ISJ_NS7_16discard_iteratorINS7_11use_defaultEEES9_S9_S9_S9_S9_S9_S9_S9_EEEESB_EEENSN_IJSM_SM_EEESB_PlJNSF_9not_fun_tINSF_14equal_to_valueISA_EEEEEEE10hipError_tPvRmT3_T4_T5_T6_T7_T9_mT8_P12ihipStream_tbDpT10_ENKUlT_T0_E_clISt17integral_constantIbLb1EES1I_IbLb0EEEEDaS1E_S1F_EUlS1E_E_NS1_11comp_targetILNS1_3genE10ELNS1_11target_archE1200ELNS1_3gpuE4ELNS1_3repE0EEENS1_30default_config_static_selectorELNS0_4arch9wavefront6targetE0EEEvT1_.private_seg_size, 0
	.set _ZN7rocprim17ROCPRIM_400000_NS6detail17trampoline_kernelINS0_14default_configENS1_25partition_config_selectorILNS1_17partition_subalgoE6EN6thrust23THRUST_200600_302600_NS5tupleIffNS7_9null_typeES9_S9_S9_S9_S9_S9_S9_EENS0_10empty_typeEbEEZZNS1_14partition_implILS5_6ELb0ES3_mNS7_12zip_iteratorINS8_INS7_6detail15normal_iteratorINS7_10device_ptrIfEEEESJ_S9_S9_S9_S9_S9_S9_S9_S9_EEEEPSB_SM_NS0_5tupleIJNSE_INS8_ISJ_NS7_16discard_iteratorINS7_11use_defaultEEES9_S9_S9_S9_S9_S9_S9_S9_EEEESB_EEENSN_IJSM_SM_EEESB_PlJNSF_9not_fun_tINSF_14equal_to_valueISA_EEEEEEE10hipError_tPvRmT3_T4_T5_T6_T7_T9_mT8_P12ihipStream_tbDpT10_ENKUlT_T0_E_clISt17integral_constantIbLb1EES1I_IbLb0EEEEDaS1E_S1F_EUlS1E_E_NS1_11comp_targetILNS1_3genE10ELNS1_11target_archE1200ELNS1_3gpuE4ELNS1_3repE0EEENS1_30default_config_static_selectorELNS0_4arch9wavefront6targetE0EEEvT1_.uses_vcc, 0
	.set _ZN7rocprim17ROCPRIM_400000_NS6detail17trampoline_kernelINS0_14default_configENS1_25partition_config_selectorILNS1_17partition_subalgoE6EN6thrust23THRUST_200600_302600_NS5tupleIffNS7_9null_typeES9_S9_S9_S9_S9_S9_S9_EENS0_10empty_typeEbEEZZNS1_14partition_implILS5_6ELb0ES3_mNS7_12zip_iteratorINS8_INS7_6detail15normal_iteratorINS7_10device_ptrIfEEEESJ_S9_S9_S9_S9_S9_S9_S9_S9_EEEEPSB_SM_NS0_5tupleIJNSE_INS8_ISJ_NS7_16discard_iteratorINS7_11use_defaultEEES9_S9_S9_S9_S9_S9_S9_S9_EEEESB_EEENSN_IJSM_SM_EEESB_PlJNSF_9not_fun_tINSF_14equal_to_valueISA_EEEEEEE10hipError_tPvRmT3_T4_T5_T6_T7_T9_mT8_P12ihipStream_tbDpT10_ENKUlT_T0_E_clISt17integral_constantIbLb1EES1I_IbLb0EEEEDaS1E_S1F_EUlS1E_E_NS1_11comp_targetILNS1_3genE10ELNS1_11target_archE1200ELNS1_3gpuE4ELNS1_3repE0EEENS1_30default_config_static_selectorELNS0_4arch9wavefront6targetE0EEEvT1_.uses_flat_scratch, 0
	.set _ZN7rocprim17ROCPRIM_400000_NS6detail17trampoline_kernelINS0_14default_configENS1_25partition_config_selectorILNS1_17partition_subalgoE6EN6thrust23THRUST_200600_302600_NS5tupleIffNS7_9null_typeES9_S9_S9_S9_S9_S9_S9_EENS0_10empty_typeEbEEZZNS1_14partition_implILS5_6ELb0ES3_mNS7_12zip_iteratorINS8_INS7_6detail15normal_iteratorINS7_10device_ptrIfEEEESJ_S9_S9_S9_S9_S9_S9_S9_S9_EEEEPSB_SM_NS0_5tupleIJNSE_INS8_ISJ_NS7_16discard_iteratorINS7_11use_defaultEEES9_S9_S9_S9_S9_S9_S9_S9_EEEESB_EEENSN_IJSM_SM_EEESB_PlJNSF_9not_fun_tINSF_14equal_to_valueISA_EEEEEEE10hipError_tPvRmT3_T4_T5_T6_T7_T9_mT8_P12ihipStream_tbDpT10_ENKUlT_T0_E_clISt17integral_constantIbLb1EES1I_IbLb0EEEEDaS1E_S1F_EUlS1E_E_NS1_11comp_targetILNS1_3genE10ELNS1_11target_archE1200ELNS1_3gpuE4ELNS1_3repE0EEENS1_30default_config_static_selectorELNS0_4arch9wavefront6targetE0EEEvT1_.has_dyn_sized_stack, 0
	.set _ZN7rocprim17ROCPRIM_400000_NS6detail17trampoline_kernelINS0_14default_configENS1_25partition_config_selectorILNS1_17partition_subalgoE6EN6thrust23THRUST_200600_302600_NS5tupleIffNS7_9null_typeES9_S9_S9_S9_S9_S9_S9_EENS0_10empty_typeEbEEZZNS1_14partition_implILS5_6ELb0ES3_mNS7_12zip_iteratorINS8_INS7_6detail15normal_iteratorINS7_10device_ptrIfEEEESJ_S9_S9_S9_S9_S9_S9_S9_S9_EEEEPSB_SM_NS0_5tupleIJNSE_INS8_ISJ_NS7_16discard_iteratorINS7_11use_defaultEEES9_S9_S9_S9_S9_S9_S9_S9_EEEESB_EEENSN_IJSM_SM_EEESB_PlJNSF_9not_fun_tINSF_14equal_to_valueISA_EEEEEEE10hipError_tPvRmT3_T4_T5_T6_T7_T9_mT8_P12ihipStream_tbDpT10_ENKUlT_T0_E_clISt17integral_constantIbLb1EES1I_IbLb0EEEEDaS1E_S1F_EUlS1E_E_NS1_11comp_targetILNS1_3genE10ELNS1_11target_archE1200ELNS1_3gpuE4ELNS1_3repE0EEENS1_30default_config_static_selectorELNS0_4arch9wavefront6targetE0EEEvT1_.has_recursion, 0
	.set _ZN7rocprim17ROCPRIM_400000_NS6detail17trampoline_kernelINS0_14default_configENS1_25partition_config_selectorILNS1_17partition_subalgoE6EN6thrust23THRUST_200600_302600_NS5tupleIffNS7_9null_typeES9_S9_S9_S9_S9_S9_S9_EENS0_10empty_typeEbEEZZNS1_14partition_implILS5_6ELb0ES3_mNS7_12zip_iteratorINS8_INS7_6detail15normal_iteratorINS7_10device_ptrIfEEEESJ_S9_S9_S9_S9_S9_S9_S9_S9_EEEEPSB_SM_NS0_5tupleIJNSE_INS8_ISJ_NS7_16discard_iteratorINS7_11use_defaultEEES9_S9_S9_S9_S9_S9_S9_S9_EEEESB_EEENSN_IJSM_SM_EEESB_PlJNSF_9not_fun_tINSF_14equal_to_valueISA_EEEEEEE10hipError_tPvRmT3_T4_T5_T6_T7_T9_mT8_P12ihipStream_tbDpT10_ENKUlT_T0_E_clISt17integral_constantIbLb1EES1I_IbLb0EEEEDaS1E_S1F_EUlS1E_E_NS1_11comp_targetILNS1_3genE10ELNS1_11target_archE1200ELNS1_3gpuE4ELNS1_3repE0EEENS1_30default_config_static_selectorELNS0_4arch9wavefront6targetE0EEEvT1_.has_indirect_call, 0
	.section	.AMDGPU.csdata,"",@progbits
; Kernel info:
; codeLenInByte = 4
; TotalNumSgprs: 0
; NumVgprs: 0
; ScratchSize: 0
; MemoryBound: 0
; FloatMode: 240
; IeeeMode: 1
; LDSByteSize: 0 bytes/workgroup (compile time only)
; SGPRBlocks: 0
; VGPRBlocks: 0
; NumSGPRsForWavesPerEU: 1
; NumVGPRsForWavesPerEU: 1
; Occupancy: 16
; WaveLimiterHint : 0
; COMPUTE_PGM_RSRC2:SCRATCH_EN: 0
; COMPUTE_PGM_RSRC2:USER_SGPR: 2
; COMPUTE_PGM_RSRC2:TRAP_HANDLER: 0
; COMPUTE_PGM_RSRC2:TGID_X_EN: 1
; COMPUTE_PGM_RSRC2:TGID_Y_EN: 0
; COMPUTE_PGM_RSRC2:TGID_Z_EN: 0
; COMPUTE_PGM_RSRC2:TIDIG_COMP_CNT: 0
	.section	.text._ZN7rocprim17ROCPRIM_400000_NS6detail17trampoline_kernelINS0_14default_configENS1_25partition_config_selectorILNS1_17partition_subalgoE6EN6thrust23THRUST_200600_302600_NS5tupleIffNS7_9null_typeES9_S9_S9_S9_S9_S9_S9_EENS0_10empty_typeEbEEZZNS1_14partition_implILS5_6ELb0ES3_mNS7_12zip_iteratorINS8_INS7_6detail15normal_iteratorINS7_10device_ptrIfEEEESJ_S9_S9_S9_S9_S9_S9_S9_S9_EEEEPSB_SM_NS0_5tupleIJNSE_INS8_ISJ_NS7_16discard_iteratorINS7_11use_defaultEEES9_S9_S9_S9_S9_S9_S9_S9_EEEESB_EEENSN_IJSM_SM_EEESB_PlJNSF_9not_fun_tINSF_14equal_to_valueISA_EEEEEEE10hipError_tPvRmT3_T4_T5_T6_T7_T9_mT8_P12ihipStream_tbDpT10_ENKUlT_T0_E_clISt17integral_constantIbLb1EES1I_IbLb0EEEEDaS1E_S1F_EUlS1E_E_NS1_11comp_targetILNS1_3genE9ELNS1_11target_archE1100ELNS1_3gpuE3ELNS1_3repE0EEENS1_30default_config_static_selectorELNS0_4arch9wavefront6targetE0EEEvT1_,"axG",@progbits,_ZN7rocprim17ROCPRIM_400000_NS6detail17trampoline_kernelINS0_14default_configENS1_25partition_config_selectorILNS1_17partition_subalgoE6EN6thrust23THRUST_200600_302600_NS5tupleIffNS7_9null_typeES9_S9_S9_S9_S9_S9_S9_EENS0_10empty_typeEbEEZZNS1_14partition_implILS5_6ELb0ES3_mNS7_12zip_iteratorINS8_INS7_6detail15normal_iteratorINS7_10device_ptrIfEEEESJ_S9_S9_S9_S9_S9_S9_S9_S9_EEEEPSB_SM_NS0_5tupleIJNSE_INS8_ISJ_NS7_16discard_iteratorINS7_11use_defaultEEES9_S9_S9_S9_S9_S9_S9_S9_EEEESB_EEENSN_IJSM_SM_EEESB_PlJNSF_9not_fun_tINSF_14equal_to_valueISA_EEEEEEE10hipError_tPvRmT3_T4_T5_T6_T7_T9_mT8_P12ihipStream_tbDpT10_ENKUlT_T0_E_clISt17integral_constantIbLb1EES1I_IbLb0EEEEDaS1E_S1F_EUlS1E_E_NS1_11comp_targetILNS1_3genE9ELNS1_11target_archE1100ELNS1_3gpuE3ELNS1_3repE0EEENS1_30default_config_static_selectorELNS0_4arch9wavefront6targetE0EEEvT1_,comdat
	.protected	_ZN7rocprim17ROCPRIM_400000_NS6detail17trampoline_kernelINS0_14default_configENS1_25partition_config_selectorILNS1_17partition_subalgoE6EN6thrust23THRUST_200600_302600_NS5tupleIffNS7_9null_typeES9_S9_S9_S9_S9_S9_S9_EENS0_10empty_typeEbEEZZNS1_14partition_implILS5_6ELb0ES3_mNS7_12zip_iteratorINS8_INS7_6detail15normal_iteratorINS7_10device_ptrIfEEEESJ_S9_S9_S9_S9_S9_S9_S9_S9_EEEEPSB_SM_NS0_5tupleIJNSE_INS8_ISJ_NS7_16discard_iteratorINS7_11use_defaultEEES9_S9_S9_S9_S9_S9_S9_S9_EEEESB_EEENSN_IJSM_SM_EEESB_PlJNSF_9not_fun_tINSF_14equal_to_valueISA_EEEEEEE10hipError_tPvRmT3_T4_T5_T6_T7_T9_mT8_P12ihipStream_tbDpT10_ENKUlT_T0_E_clISt17integral_constantIbLb1EES1I_IbLb0EEEEDaS1E_S1F_EUlS1E_E_NS1_11comp_targetILNS1_3genE9ELNS1_11target_archE1100ELNS1_3gpuE3ELNS1_3repE0EEENS1_30default_config_static_selectorELNS0_4arch9wavefront6targetE0EEEvT1_ ; -- Begin function _ZN7rocprim17ROCPRIM_400000_NS6detail17trampoline_kernelINS0_14default_configENS1_25partition_config_selectorILNS1_17partition_subalgoE6EN6thrust23THRUST_200600_302600_NS5tupleIffNS7_9null_typeES9_S9_S9_S9_S9_S9_S9_EENS0_10empty_typeEbEEZZNS1_14partition_implILS5_6ELb0ES3_mNS7_12zip_iteratorINS8_INS7_6detail15normal_iteratorINS7_10device_ptrIfEEEESJ_S9_S9_S9_S9_S9_S9_S9_S9_EEEEPSB_SM_NS0_5tupleIJNSE_INS8_ISJ_NS7_16discard_iteratorINS7_11use_defaultEEES9_S9_S9_S9_S9_S9_S9_S9_EEEESB_EEENSN_IJSM_SM_EEESB_PlJNSF_9not_fun_tINSF_14equal_to_valueISA_EEEEEEE10hipError_tPvRmT3_T4_T5_T6_T7_T9_mT8_P12ihipStream_tbDpT10_ENKUlT_T0_E_clISt17integral_constantIbLb1EES1I_IbLb0EEEEDaS1E_S1F_EUlS1E_E_NS1_11comp_targetILNS1_3genE9ELNS1_11target_archE1100ELNS1_3gpuE3ELNS1_3repE0EEENS1_30default_config_static_selectorELNS0_4arch9wavefront6targetE0EEEvT1_
	.globl	_ZN7rocprim17ROCPRIM_400000_NS6detail17trampoline_kernelINS0_14default_configENS1_25partition_config_selectorILNS1_17partition_subalgoE6EN6thrust23THRUST_200600_302600_NS5tupleIffNS7_9null_typeES9_S9_S9_S9_S9_S9_S9_EENS0_10empty_typeEbEEZZNS1_14partition_implILS5_6ELb0ES3_mNS7_12zip_iteratorINS8_INS7_6detail15normal_iteratorINS7_10device_ptrIfEEEESJ_S9_S9_S9_S9_S9_S9_S9_S9_EEEEPSB_SM_NS0_5tupleIJNSE_INS8_ISJ_NS7_16discard_iteratorINS7_11use_defaultEEES9_S9_S9_S9_S9_S9_S9_S9_EEEESB_EEENSN_IJSM_SM_EEESB_PlJNSF_9not_fun_tINSF_14equal_to_valueISA_EEEEEEE10hipError_tPvRmT3_T4_T5_T6_T7_T9_mT8_P12ihipStream_tbDpT10_ENKUlT_T0_E_clISt17integral_constantIbLb1EES1I_IbLb0EEEEDaS1E_S1F_EUlS1E_E_NS1_11comp_targetILNS1_3genE9ELNS1_11target_archE1100ELNS1_3gpuE3ELNS1_3repE0EEENS1_30default_config_static_selectorELNS0_4arch9wavefront6targetE0EEEvT1_
	.p2align	8
	.type	_ZN7rocprim17ROCPRIM_400000_NS6detail17trampoline_kernelINS0_14default_configENS1_25partition_config_selectorILNS1_17partition_subalgoE6EN6thrust23THRUST_200600_302600_NS5tupleIffNS7_9null_typeES9_S9_S9_S9_S9_S9_S9_EENS0_10empty_typeEbEEZZNS1_14partition_implILS5_6ELb0ES3_mNS7_12zip_iteratorINS8_INS7_6detail15normal_iteratorINS7_10device_ptrIfEEEESJ_S9_S9_S9_S9_S9_S9_S9_S9_EEEEPSB_SM_NS0_5tupleIJNSE_INS8_ISJ_NS7_16discard_iteratorINS7_11use_defaultEEES9_S9_S9_S9_S9_S9_S9_S9_EEEESB_EEENSN_IJSM_SM_EEESB_PlJNSF_9not_fun_tINSF_14equal_to_valueISA_EEEEEEE10hipError_tPvRmT3_T4_T5_T6_T7_T9_mT8_P12ihipStream_tbDpT10_ENKUlT_T0_E_clISt17integral_constantIbLb1EES1I_IbLb0EEEEDaS1E_S1F_EUlS1E_E_NS1_11comp_targetILNS1_3genE9ELNS1_11target_archE1100ELNS1_3gpuE3ELNS1_3repE0EEENS1_30default_config_static_selectorELNS0_4arch9wavefront6targetE0EEEvT1_,@function
_ZN7rocprim17ROCPRIM_400000_NS6detail17trampoline_kernelINS0_14default_configENS1_25partition_config_selectorILNS1_17partition_subalgoE6EN6thrust23THRUST_200600_302600_NS5tupleIffNS7_9null_typeES9_S9_S9_S9_S9_S9_S9_EENS0_10empty_typeEbEEZZNS1_14partition_implILS5_6ELb0ES3_mNS7_12zip_iteratorINS8_INS7_6detail15normal_iteratorINS7_10device_ptrIfEEEESJ_S9_S9_S9_S9_S9_S9_S9_S9_EEEEPSB_SM_NS0_5tupleIJNSE_INS8_ISJ_NS7_16discard_iteratorINS7_11use_defaultEEES9_S9_S9_S9_S9_S9_S9_S9_EEEESB_EEENSN_IJSM_SM_EEESB_PlJNSF_9not_fun_tINSF_14equal_to_valueISA_EEEEEEE10hipError_tPvRmT3_T4_T5_T6_T7_T9_mT8_P12ihipStream_tbDpT10_ENKUlT_T0_E_clISt17integral_constantIbLb1EES1I_IbLb0EEEEDaS1E_S1F_EUlS1E_E_NS1_11comp_targetILNS1_3genE9ELNS1_11target_archE1100ELNS1_3gpuE3ELNS1_3repE0EEENS1_30default_config_static_selectorELNS0_4arch9wavefront6targetE0EEEvT1_: ; @_ZN7rocprim17ROCPRIM_400000_NS6detail17trampoline_kernelINS0_14default_configENS1_25partition_config_selectorILNS1_17partition_subalgoE6EN6thrust23THRUST_200600_302600_NS5tupleIffNS7_9null_typeES9_S9_S9_S9_S9_S9_S9_EENS0_10empty_typeEbEEZZNS1_14partition_implILS5_6ELb0ES3_mNS7_12zip_iteratorINS8_INS7_6detail15normal_iteratorINS7_10device_ptrIfEEEESJ_S9_S9_S9_S9_S9_S9_S9_S9_EEEEPSB_SM_NS0_5tupleIJNSE_INS8_ISJ_NS7_16discard_iteratorINS7_11use_defaultEEES9_S9_S9_S9_S9_S9_S9_S9_EEEESB_EEENSN_IJSM_SM_EEESB_PlJNSF_9not_fun_tINSF_14equal_to_valueISA_EEEEEEE10hipError_tPvRmT3_T4_T5_T6_T7_T9_mT8_P12ihipStream_tbDpT10_ENKUlT_T0_E_clISt17integral_constantIbLb1EES1I_IbLb0EEEEDaS1E_S1F_EUlS1E_E_NS1_11comp_targetILNS1_3genE9ELNS1_11target_archE1100ELNS1_3gpuE3ELNS1_3repE0EEENS1_30default_config_static_selectorELNS0_4arch9wavefront6targetE0EEEvT1_
; %bb.0:
	.section	.rodata,"a",@progbits
	.p2align	6, 0x0
	.amdhsa_kernel _ZN7rocprim17ROCPRIM_400000_NS6detail17trampoline_kernelINS0_14default_configENS1_25partition_config_selectorILNS1_17partition_subalgoE6EN6thrust23THRUST_200600_302600_NS5tupleIffNS7_9null_typeES9_S9_S9_S9_S9_S9_S9_EENS0_10empty_typeEbEEZZNS1_14partition_implILS5_6ELb0ES3_mNS7_12zip_iteratorINS8_INS7_6detail15normal_iteratorINS7_10device_ptrIfEEEESJ_S9_S9_S9_S9_S9_S9_S9_S9_EEEEPSB_SM_NS0_5tupleIJNSE_INS8_ISJ_NS7_16discard_iteratorINS7_11use_defaultEEES9_S9_S9_S9_S9_S9_S9_S9_EEEESB_EEENSN_IJSM_SM_EEESB_PlJNSF_9not_fun_tINSF_14equal_to_valueISA_EEEEEEE10hipError_tPvRmT3_T4_T5_T6_T7_T9_mT8_P12ihipStream_tbDpT10_ENKUlT_T0_E_clISt17integral_constantIbLb1EES1I_IbLb0EEEEDaS1E_S1F_EUlS1E_E_NS1_11comp_targetILNS1_3genE9ELNS1_11target_archE1100ELNS1_3gpuE3ELNS1_3repE0EEENS1_30default_config_static_selectorELNS0_4arch9wavefront6targetE0EEEvT1_
		.amdhsa_group_segment_fixed_size 0
		.amdhsa_private_segment_fixed_size 0
		.amdhsa_kernarg_size 144
		.amdhsa_user_sgpr_count 2
		.amdhsa_user_sgpr_dispatch_ptr 0
		.amdhsa_user_sgpr_queue_ptr 0
		.amdhsa_user_sgpr_kernarg_segment_ptr 1
		.amdhsa_user_sgpr_dispatch_id 0
		.amdhsa_user_sgpr_private_segment_size 0
		.amdhsa_wavefront_size32 1
		.amdhsa_uses_dynamic_stack 0
		.amdhsa_enable_private_segment 0
		.amdhsa_system_sgpr_workgroup_id_x 1
		.amdhsa_system_sgpr_workgroup_id_y 0
		.amdhsa_system_sgpr_workgroup_id_z 0
		.amdhsa_system_sgpr_workgroup_info 0
		.amdhsa_system_vgpr_workitem_id 0
		.amdhsa_next_free_vgpr 1
		.amdhsa_next_free_sgpr 1
		.amdhsa_reserve_vcc 0
		.amdhsa_float_round_mode_32 0
		.amdhsa_float_round_mode_16_64 0
		.amdhsa_float_denorm_mode_32 3
		.amdhsa_float_denorm_mode_16_64 3
		.amdhsa_fp16_overflow 0
		.amdhsa_workgroup_processor_mode 1
		.amdhsa_memory_ordered 1
		.amdhsa_forward_progress 1
		.amdhsa_inst_pref_size 0
		.amdhsa_round_robin_scheduling 0
		.amdhsa_exception_fp_ieee_invalid_op 0
		.amdhsa_exception_fp_denorm_src 0
		.amdhsa_exception_fp_ieee_div_zero 0
		.amdhsa_exception_fp_ieee_overflow 0
		.amdhsa_exception_fp_ieee_underflow 0
		.amdhsa_exception_fp_ieee_inexact 0
		.amdhsa_exception_int_div_zero 0
	.end_amdhsa_kernel
	.section	.text._ZN7rocprim17ROCPRIM_400000_NS6detail17trampoline_kernelINS0_14default_configENS1_25partition_config_selectorILNS1_17partition_subalgoE6EN6thrust23THRUST_200600_302600_NS5tupleIffNS7_9null_typeES9_S9_S9_S9_S9_S9_S9_EENS0_10empty_typeEbEEZZNS1_14partition_implILS5_6ELb0ES3_mNS7_12zip_iteratorINS8_INS7_6detail15normal_iteratorINS7_10device_ptrIfEEEESJ_S9_S9_S9_S9_S9_S9_S9_S9_EEEEPSB_SM_NS0_5tupleIJNSE_INS8_ISJ_NS7_16discard_iteratorINS7_11use_defaultEEES9_S9_S9_S9_S9_S9_S9_S9_EEEESB_EEENSN_IJSM_SM_EEESB_PlJNSF_9not_fun_tINSF_14equal_to_valueISA_EEEEEEE10hipError_tPvRmT3_T4_T5_T6_T7_T9_mT8_P12ihipStream_tbDpT10_ENKUlT_T0_E_clISt17integral_constantIbLb1EES1I_IbLb0EEEEDaS1E_S1F_EUlS1E_E_NS1_11comp_targetILNS1_3genE9ELNS1_11target_archE1100ELNS1_3gpuE3ELNS1_3repE0EEENS1_30default_config_static_selectorELNS0_4arch9wavefront6targetE0EEEvT1_,"axG",@progbits,_ZN7rocprim17ROCPRIM_400000_NS6detail17trampoline_kernelINS0_14default_configENS1_25partition_config_selectorILNS1_17partition_subalgoE6EN6thrust23THRUST_200600_302600_NS5tupleIffNS7_9null_typeES9_S9_S9_S9_S9_S9_S9_EENS0_10empty_typeEbEEZZNS1_14partition_implILS5_6ELb0ES3_mNS7_12zip_iteratorINS8_INS7_6detail15normal_iteratorINS7_10device_ptrIfEEEESJ_S9_S9_S9_S9_S9_S9_S9_S9_EEEEPSB_SM_NS0_5tupleIJNSE_INS8_ISJ_NS7_16discard_iteratorINS7_11use_defaultEEES9_S9_S9_S9_S9_S9_S9_S9_EEEESB_EEENSN_IJSM_SM_EEESB_PlJNSF_9not_fun_tINSF_14equal_to_valueISA_EEEEEEE10hipError_tPvRmT3_T4_T5_T6_T7_T9_mT8_P12ihipStream_tbDpT10_ENKUlT_T0_E_clISt17integral_constantIbLb1EES1I_IbLb0EEEEDaS1E_S1F_EUlS1E_E_NS1_11comp_targetILNS1_3genE9ELNS1_11target_archE1100ELNS1_3gpuE3ELNS1_3repE0EEENS1_30default_config_static_selectorELNS0_4arch9wavefront6targetE0EEEvT1_,comdat
.Lfunc_end1875:
	.size	_ZN7rocprim17ROCPRIM_400000_NS6detail17trampoline_kernelINS0_14default_configENS1_25partition_config_selectorILNS1_17partition_subalgoE6EN6thrust23THRUST_200600_302600_NS5tupleIffNS7_9null_typeES9_S9_S9_S9_S9_S9_S9_EENS0_10empty_typeEbEEZZNS1_14partition_implILS5_6ELb0ES3_mNS7_12zip_iteratorINS8_INS7_6detail15normal_iteratorINS7_10device_ptrIfEEEESJ_S9_S9_S9_S9_S9_S9_S9_S9_EEEEPSB_SM_NS0_5tupleIJNSE_INS8_ISJ_NS7_16discard_iteratorINS7_11use_defaultEEES9_S9_S9_S9_S9_S9_S9_S9_EEEESB_EEENSN_IJSM_SM_EEESB_PlJNSF_9not_fun_tINSF_14equal_to_valueISA_EEEEEEE10hipError_tPvRmT3_T4_T5_T6_T7_T9_mT8_P12ihipStream_tbDpT10_ENKUlT_T0_E_clISt17integral_constantIbLb1EES1I_IbLb0EEEEDaS1E_S1F_EUlS1E_E_NS1_11comp_targetILNS1_3genE9ELNS1_11target_archE1100ELNS1_3gpuE3ELNS1_3repE0EEENS1_30default_config_static_selectorELNS0_4arch9wavefront6targetE0EEEvT1_, .Lfunc_end1875-_ZN7rocprim17ROCPRIM_400000_NS6detail17trampoline_kernelINS0_14default_configENS1_25partition_config_selectorILNS1_17partition_subalgoE6EN6thrust23THRUST_200600_302600_NS5tupleIffNS7_9null_typeES9_S9_S9_S9_S9_S9_S9_EENS0_10empty_typeEbEEZZNS1_14partition_implILS5_6ELb0ES3_mNS7_12zip_iteratorINS8_INS7_6detail15normal_iteratorINS7_10device_ptrIfEEEESJ_S9_S9_S9_S9_S9_S9_S9_S9_EEEEPSB_SM_NS0_5tupleIJNSE_INS8_ISJ_NS7_16discard_iteratorINS7_11use_defaultEEES9_S9_S9_S9_S9_S9_S9_S9_EEEESB_EEENSN_IJSM_SM_EEESB_PlJNSF_9not_fun_tINSF_14equal_to_valueISA_EEEEEEE10hipError_tPvRmT3_T4_T5_T6_T7_T9_mT8_P12ihipStream_tbDpT10_ENKUlT_T0_E_clISt17integral_constantIbLb1EES1I_IbLb0EEEEDaS1E_S1F_EUlS1E_E_NS1_11comp_targetILNS1_3genE9ELNS1_11target_archE1100ELNS1_3gpuE3ELNS1_3repE0EEENS1_30default_config_static_selectorELNS0_4arch9wavefront6targetE0EEEvT1_
                                        ; -- End function
	.set _ZN7rocprim17ROCPRIM_400000_NS6detail17trampoline_kernelINS0_14default_configENS1_25partition_config_selectorILNS1_17partition_subalgoE6EN6thrust23THRUST_200600_302600_NS5tupleIffNS7_9null_typeES9_S9_S9_S9_S9_S9_S9_EENS0_10empty_typeEbEEZZNS1_14partition_implILS5_6ELb0ES3_mNS7_12zip_iteratorINS8_INS7_6detail15normal_iteratorINS7_10device_ptrIfEEEESJ_S9_S9_S9_S9_S9_S9_S9_S9_EEEEPSB_SM_NS0_5tupleIJNSE_INS8_ISJ_NS7_16discard_iteratorINS7_11use_defaultEEES9_S9_S9_S9_S9_S9_S9_S9_EEEESB_EEENSN_IJSM_SM_EEESB_PlJNSF_9not_fun_tINSF_14equal_to_valueISA_EEEEEEE10hipError_tPvRmT3_T4_T5_T6_T7_T9_mT8_P12ihipStream_tbDpT10_ENKUlT_T0_E_clISt17integral_constantIbLb1EES1I_IbLb0EEEEDaS1E_S1F_EUlS1E_E_NS1_11comp_targetILNS1_3genE9ELNS1_11target_archE1100ELNS1_3gpuE3ELNS1_3repE0EEENS1_30default_config_static_selectorELNS0_4arch9wavefront6targetE0EEEvT1_.num_vgpr, 0
	.set _ZN7rocprim17ROCPRIM_400000_NS6detail17trampoline_kernelINS0_14default_configENS1_25partition_config_selectorILNS1_17partition_subalgoE6EN6thrust23THRUST_200600_302600_NS5tupleIffNS7_9null_typeES9_S9_S9_S9_S9_S9_S9_EENS0_10empty_typeEbEEZZNS1_14partition_implILS5_6ELb0ES3_mNS7_12zip_iteratorINS8_INS7_6detail15normal_iteratorINS7_10device_ptrIfEEEESJ_S9_S9_S9_S9_S9_S9_S9_S9_EEEEPSB_SM_NS0_5tupleIJNSE_INS8_ISJ_NS7_16discard_iteratorINS7_11use_defaultEEES9_S9_S9_S9_S9_S9_S9_S9_EEEESB_EEENSN_IJSM_SM_EEESB_PlJNSF_9not_fun_tINSF_14equal_to_valueISA_EEEEEEE10hipError_tPvRmT3_T4_T5_T6_T7_T9_mT8_P12ihipStream_tbDpT10_ENKUlT_T0_E_clISt17integral_constantIbLb1EES1I_IbLb0EEEEDaS1E_S1F_EUlS1E_E_NS1_11comp_targetILNS1_3genE9ELNS1_11target_archE1100ELNS1_3gpuE3ELNS1_3repE0EEENS1_30default_config_static_selectorELNS0_4arch9wavefront6targetE0EEEvT1_.num_agpr, 0
	.set _ZN7rocprim17ROCPRIM_400000_NS6detail17trampoline_kernelINS0_14default_configENS1_25partition_config_selectorILNS1_17partition_subalgoE6EN6thrust23THRUST_200600_302600_NS5tupleIffNS7_9null_typeES9_S9_S9_S9_S9_S9_S9_EENS0_10empty_typeEbEEZZNS1_14partition_implILS5_6ELb0ES3_mNS7_12zip_iteratorINS8_INS7_6detail15normal_iteratorINS7_10device_ptrIfEEEESJ_S9_S9_S9_S9_S9_S9_S9_S9_EEEEPSB_SM_NS0_5tupleIJNSE_INS8_ISJ_NS7_16discard_iteratorINS7_11use_defaultEEES9_S9_S9_S9_S9_S9_S9_S9_EEEESB_EEENSN_IJSM_SM_EEESB_PlJNSF_9not_fun_tINSF_14equal_to_valueISA_EEEEEEE10hipError_tPvRmT3_T4_T5_T6_T7_T9_mT8_P12ihipStream_tbDpT10_ENKUlT_T0_E_clISt17integral_constantIbLb1EES1I_IbLb0EEEEDaS1E_S1F_EUlS1E_E_NS1_11comp_targetILNS1_3genE9ELNS1_11target_archE1100ELNS1_3gpuE3ELNS1_3repE0EEENS1_30default_config_static_selectorELNS0_4arch9wavefront6targetE0EEEvT1_.numbered_sgpr, 0
	.set _ZN7rocprim17ROCPRIM_400000_NS6detail17trampoline_kernelINS0_14default_configENS1_25partition_config_selectorILNS1_17partition_subalgoE6EN6thrust23THRUST_200600_302600_NS5tupleIffNS7_9null_typeES9_S9_S9_S9_S9_S9_S9_EENS0_10empty_typeEbEEZZNS1_14partition_implILS5_6ELb0ES3_mNS7_12zip_iteratorINS8_INS7_6detail15normal_iteratorINS7_10device_ptrIfEEEESJ_S9_S9_S9_S9_S9_S9_S9_S9_EEEEPSB_SM_NS0_5tupleIJNSE_INS8_ISJ_NS7_16discard_iteratorINS7_11use_defaultEEES9_S9_S9_S9_S9_S9_S9_S9_EEEESB_EEENSN_IJSM_SM_EEESB_PlJNSF_9not_fun_tINSF_14equal_to_valueISA_EEEEEEE10hipError_tPvRmT3_T4_T5_T6_T7_T9_mT8_P12ihipStream_tbDpT10_ENKUlT_T0_E_clISt17integral_constantIbLb1EES1I_IbLb0EEEEDaS1E_S1F_EUlS1E_E_NS1_11comp_targetILNS1_3genE9ELNS1_11target_archE1100ELNS1_3gpuE3ELNS1_3repE0EEENS1_30default_config_static_selectorELNS0_4arch9wavefront6targetE0EEEvT1_.num_named_barrier, 0
	.set _ZN7rocprim17ROCPRIM_400000_NS6detail17trampoline_kernelINS0_14default_configENS1_25partition_config_selectorILNS1_17partition_subalgoE6EN6thrust23THRUST_200600_302600_NS5tupleIffNS7_9null_typeES9_S9_S9_S9_S9_S9_S9_EENS0_10empty_typeEbEEZZNS1_14partition_implILS5_6ELb0ES3_mNS7_12zip_iteratorINS8_INS7_6detail15normal_iteratorINS7_10device_ptrIfEEEESJ_S9_S9_S9_S9_S9_S9_S9_S9_EEEEPSB_SM_NS0_5tupleIJNSE_INS8_ISJ_NS7_16discard_iteratorINS7_11use_defaultEEES9_S9_S9_S9_S9_S9_S9_S9_EEEESB_EEENSN_IJSM_SM_EEESB_PlJNSF_9not_fun_tINSF_14equal_to_valueISA_EEEEEEE10hipError_tPvRmT3_T4_T5_T6_T7_T9_mT8_P12ihipStream_tbDpT10_ENKUlT_T0_E_clISt17integral_constantIbLb1EES1I_IbLb0EEEEDaS1E_S1F_EUlS1E_E_NS1_11comp_targetILNS1_3genE9ELNS1_11target_archE1100ELNS1_3gpuE3ELNS1_3repE0EEENS1_30default_config_static_selectorELNS0_4arch9wavefront6targetE0EEEvT1_.private_seg_size, 0
	.set _ZN7rocprim17ROCPRIM_400000_NS6detail17trampoline_kernelINS0_14default_configENS1_25partition_config_selectorILNS1_17partition_subalgoE6EN6thrust23THRUST_200600_302600_NS5tupleIffNS7_9null_typeES9_S9_S9_S9_S9_S9_S9_EENS0_10empty_typeEbEEZZNS1_14partition_implILS5_6ELb0ES3_mNS7_12zip_iteratorINS8_INS7_6detail15normal_iteratorINS7_10device_ptrIfEEEESJ_S9_S9_S9_S9_S9_S9_S9_S9_EEEEPSB_SM_NS0_5tupleIJNSE_INS8_ISJ_NS7_16discard_iteratorINS7_11use_defaultEEES9_S9_S9_S9_S9_S9_S9_S9_EEEESB_EEENSN_IJSM_SM_EEESB_PlJNSF_9not_fun_tINSF_14equal_to_valueISA_EEEEEEE10hipError_tPvRmT3_T4_T5_T6_T7_T9_mT8_P12ihipStream_tbDpT10_ENKUlT_T0_E_clISt17integral_constantIbLb1EES1I_IbLb0EEEEDaS1E_S1F_EUlS1E_E_NS1_11comp_targetILNS1_3genE9ELNS1_11target_archE1100ELNS1_3gpuE3ELNS1_3repE0EEENS1_30default_config_static_selectorELNS0_4arch9wavefront6targetE0EEEvT1_.uses_vcc, 0
	.set _ZN7rocprim17ROCPRIM_400000_NS6detail17trampoline_kernelINS0_14default_configENS1_25partition_config_selectorILNS1_17partition_subalgoE6EN6thrust23THRUST_200600_302600_NS5tupleIffNS7_9null_typeES9_S9_S9_S9_S9_S9_S9_EENS0_10empty_typeEbEEZZNS1_14partition_implILS5_6ELb0ES3_mNS7_12zip_iteratorINS8_INS7_6detail15normal_iteratorINS7_10device_ptrIfEEEESJ_S9_S9_S9_S9_S9_S9_S9_S9_EEEEPSB_SM_NS0_5tupleIJNSE_INS8_ISJ_NS7_16discard_iteratorINS7_11use_defaultEEES9_S9_S9_S9_S9_S9_S9_S9_EEEESB_EEENSN_IJSM_SM_EEESB_PlJNSF_9not_fun_tINSF_14equal_to_valueISA_EEEEEEE10hipError_tPvRmT3_T4_T5_T6_T7_T9_mT8_P12ihipStream_tbDpT10_ENKUlT_T0_E_clISt17integral_constantIbLb1EES1I_IbLb0EEEEDaS1E_S1F_EUlS1E_E_NS1_11comp_targetILNS1_3genE9ELNS1_11target_archE1100ELNS1_3gpuE3ELNS1_3repE0EEENS1_30default_config_static_selectorELNS0_4arch9wavefront6targetE0EEEvT1_.uses_flat_scratch, 0
	.set _ZN7rocprim17ROCPRIM_400000_NS6detail17trampoline_kernelINS0_14default_configENS1_25partition_config_selectorILNS1_17partition_subalgoE6EN6thrust23THRUST_200600_302600_NS5tupleIffNS7_9null_typeES9_S9_S9_S9_S9_S9_S9_EENS0_10empty_typeEbEEZZNS1_14partition_implILS5_6ELb0ES3_mNS7_12zip_iteratorINS8_INS7_6detail15normal_iteratorINS7_10device_ptrIfEEEESJ_S9_S9_S9_S9_S9_S9_S9_S9_EEEEPSB_SM_NS0_5tupleIJNSE_INS8_ISJ_NS7_16discard_iteratorINS7_11use_defaultEEES9_S9_S9_S9_S9_S9_S9_S9_EEEESB_EEENSN_IJSM_SM_EEESB_PlJNSF_9not_fun_tINSF_14equal_to_valueISA_EEEEEEE10hipError_tPvRmT3_T4_T5_T6_T7_T9_mT8_P12ihipStream_tbDpT10_ENKUlT_T0_E_clISt17integral_constantIbLb1EES1I_IbLb0EEEEDaS1E_S1F_EUlS1E_E_NS1_11comp_targetILNS1_3genE9ELNS1_11target_archE1100ELNS1_3gpuE3ELNS1_3repE0EEENS1_30default_config_static_selectorELNS0_4arch9wavefront6targetE0EEEvT1_.has_dyn_sized_stack, 0
	.set _ZN7rocprim17ROCPRIM_400000_NS6detail17trampoline_kernelINS0_14default_configENS1_25partition_config_selectorILNS1_17partition_subalgoE6EN6thrust23THRUST_200600_302600_NS5tupleIffNS7_9null_typeES9_S9_S9_S9_S9_S9_S9_EENS0_10empty_typeEbEEZZNS1_14partition_implILS5_6ELb0ES3_mNS7_12zip_iteratorINS8_INS7_6detail15normal_iteratorINS7_10device_ptrIfEEEESJ_S9_S9_S9_S9_S9_S9_S9_S9_EEEEPSB_SM_NS0_5tupleIJNSE_INS8_ISJ_NS7_16discard_iteratorINS7_11use_defaultEEES9_S9_S9_S9_S9_S9_S9_S9_EEEESB_EEENSN_IJSM_SM_EEESB_PlJNSF_9not_fun_tINSF_14equal_to_valueISA_EEEEEEE10hipError_tPvRmT3_T4_T5_T6_T7_T9_mT8_P12ihipStream_tbDpT10_ENKUlT_T0_E_clISt17integral_constantIbLb1EES1I_IbLb0EEEEDaS1E_S1F_EUlS1E_E_NS1_11comp_targetILNS1_3genE9ELNS1_11target_archE1100ELNS1_3gpuE3ELNS1_3repE0EEENS1_30default_config_static_selectorELNS0_4arch9wavefront6targetE0EEEvT1_.has_recursion, 0
	.set _ZN7rocprim17ROCPRIM_400000_NS6detail17trampoline_kernelINS0_14default_configENS1_25partition_config_selectorILNS1_17partition_subalgoE6EN6thrust23THRUST_200600_302600_NS5tupleIffNS7_9null_typeES9_S9_S9_S9_S9_S9_S9_EENS0_10empty_typeEbEEZZNS1_14partition_implILS5_6ELb0ES3_mNS7_12zip_iteratorINS8_INS7_6detail15normal_iteratorINS7_10device_ptrIfEEEESJ_S9_S9_S9_S9_S9_S9_S9_S9_EEEEPSB_SM_NS0_5tupleIJNSE_INS8_ISJ_NS7_16discard_iteratorINS7_11use_defaultEEES9_S9_S9_S9_S9_S9_S9_S9_EEEESB_EEENSN_IJSM_SM_EEESB_PlJNSF_9not_fun_tINSF_14equal_to_valueISA_EEEEEEE10hipError_tPvRmT3_T4_T5_T6_T7_T9_mT8_P12ihipStream_tbDpT10_ENKUlT_T0_E_clISt17integral_constantIbLb1EES1I_IbLb0EEEEDaS1E_S1F_EUlS1E_E_NS1_11comp_targetILNS1_3genE9ELNS1_11target_archE1100ELNS1_3gpuE3ELNS1_3repE0EEENS1_30default_config_static_selectorELNS0_4arch9wavefront6targetE0EEEvT1_.has_indirect_call, 0
	.section	.AMDGPU.csdata,"",@progbits
; Kernel info:
; codeLenInByte = 0
; TotalNumSgprs: 0
; NumVgprs: 0
; ScratchSize: 0
; MemoryBound: 0
; FloatMode: 240
; IeeeMode: 1
; LDSByteSize: 0 bytes/workgroup (compile time only)
; SGPRBlocks: 0
; VGPRBlocks: 0
; NumSGPRsForWavesPerEU: 1
; NumVGPRsForWavesPerEU: 1
; Occupancy: 16
; WaveLimiterHint : 0
; COMPUTE_PGM_RSRC2:SCRATCH_EN: 0
; COMPUTE_PGM_RSRC2:USER_SGPR: 2
; COMPUTE_PGM_RSRC2:TRAP_HANDLER: 0
; COMPUTE_PGM_RSRC2:TGID_X_EN: 1
; COMPUTE_PGM_RSRC2:TGID_Y_EN: 0
; COMPUTE_PGM_RSRC2:TGID_Z_EN: 0
; COMPUTE_PGM_RSRC2:TIDIG_COMP_CNT: 0
	.section	.text._ZN7rocprim17ROCPRIM_400000_NS6detail17trampoline_kernelINS0_14default_configENS1_25partition_config_selectorILNS1_17partition_subalgoE6EN6thrust23THRUST_200600_302600_NS5tupleIffNS7_9null_typeES9_S9_S9_S9_S9_S9_S9_EENS0_10empty_typeEbEEZZNS1_14partition_implILS5_6ELb0ES3_mNS7_12zip_iteratorINS8_INS7_6detail15normal_iteratorINS7_10device_ptrIfEEEESJ_S9_S9_S9_S9_S9_S9_S9_S9_EEEEPSB_SM_NS0_5tupleIJNSE_INS8_ISJ_NS7_16discard_iteratorINS7_11use_defaultEEES9_S9_S9_S9_S9_S9_S9_S9_EEEESB_EEENSN_IJSM_SM_EEESB_PlJNSF_9not_fun_tINSF_14equal_to_valueISA_EEEEEEE10hipError_tPvRmT3_T4_T5_T6_T7_T9_mT8_P12ihipStream_tbDpT10_ENKUlT_T0_E_clISt17integral_constantIbLb1EES1I_IbLb0EEEEDaS1E_S1F_EUlS1E_E_NS1_11comp_targetILNS1_3genE8ELNS1_11target_archE1030ELNS1_3gpuE2ELNS1_3repE0EEENS1_30default_config_static_selectorELNS0_4arch9wavefront6targetE0EEEvT1_,"axG",@progbits,_ZN7rocprim17ROCPRIM_400000_NS6detail17trampoline_kernelINS0_14default_configENS1_25partition_config_selectorILNS1_17partition_subalgoE6EN6thrust23THRUST_200600_302600_NS5tupleIffNS7_9null_typeES9_S9_S9_S9_S9_S9_S9_EENS0_10empty_typeEbEEZZNS1_14partition_implILS5_6ELb0ES3_mNS7_12zip_iteratorINS8_INS7_6detail15normal_iteratorINS7_10device_ptrIfEEEESJ_S9_S9_S9_S9_S9_S9_S9_S9_EEEEPSB_SM_NS0_5tupleIJNSE_INS8_ISJ_NS7_16discard_iteratorINS7_11use_defaultEEES9_S9_S9_S9_S9_S9_S9_S9_EEEESB_EEENSN_IJSM_SM_EEESB_PlJNSF_9not_fun_tINSF_14equal_to_valueISA_EEEEEEE10hipError_tPvRmT3_T4_T5_T6_T7_T9_mT8_P12ihipStream_tbDpT10_ENKUlT_T0_E_clISt17integral_constantIbLb1EES1I_IbLb0EEEEDaS1E_S1F_EUlS1E_E_NS1_11comp_targetILNS1_3genE8ELNS1_11target_archE1030ELNS1_3gpuE2ELNS1_3repE0EEENS1_30default_config_static_selectorELNS0_4arch9wavefront6targetE0EEEvT1_,comdat
	.protected	_ZN7rocprim17ROCPRIM_400000_NS6detail17trampoline_kernelINS0_14default_configENS1_25partition_config_selectorILNS1_17partition_subalgoE6EN6thrust23THRUST_200600_302600_NS5tupleIffNS7_9null_typeES9_S9_S9_S9_S9_S9_S9_EENS0_10empty_typeEbEEZZNS1_14partition_implILS5_6ELb0ES3_mNS7_12zip_iteratorINS8_INS7_6detail15normal_iteratorINS7_10device_ptrIfEEEESJ_S9_S9_S9_S9_S9_S9_S9_S9_EEEEPSB_SM_NS0_5tupleIJNSE_INS8_ISJ_NS7_16discard_iteratorINS7_11use_defaultEEES9_S9_S9_S9_S9_S9_S9_S9_EEEESB_EEENSN_IJSM_SM_EEESB_PlJNSF_9not_fun_tINSF_14equal_to_valueISA_EEEEEEE10hipError_tPvRmT3_T4_T5_T6_T7_T9_mT8_P12ihipStream_tbDpT10_ENKUlT_T0_E_clISt17integral_constantIbLb1EES1I_IbLb0EEEEDaS1E_S1F_EUlS1E_E_NS1_11comp_targetILNS1_3genE8ELNS1_11target_archE1030ELNS1_3gpuE2ELNS1_3repE0EEENS1_30default_config_static_selectorELNS0_4arch9wavefront6targetE0EEEvT1_ ; -- Begin function _ZN7rocprim17ROCPRIM_400000_NS6detail17trampoline_kernelINS0_14default_configENS1_25partition_config_selectorILNS1_17partition_subalgoE6EN6thrust23THRUST_200600_302600_NS5tupleIffNS7_9null_typeES9_S9_S9_S9_S9_S9_S9_EENS0_10empty_typeEbEEZZNS1_14partition_implILS5_6ELb0ES3_mNS7_12zip_iteratorINS8_INS7_6detail15normal_iteratorINS7_10device_ptrIfEEEESJ_S9_S9_S9_S9_S9_S9_S9_S9_EEEEPSB_SM_NS0_5tupleIJNSE_INS8_ISJ_NS7_16discard_iteratorINS7_11use_defaultEEES9_S9_S9_S9_S9_S9_S9_S9_EEEESB_EEENSN_IJSM_SM_EEESB_PlJNSF_9not_fun_tINSF_14equal_to_valueISA_EEEEEEE10hipError_tPvRmT3_T4_T5_T6_T7_T9_mT8_P12ihipStream_tbDpT10_ENKUlT_T0_E_clISt17integral_constantIbLb1EES1I_IbLb0EEEEDaS1E_S1F_EUlS1E_E_NS1_11comp_targetILNS1_3genE8ELNS1_11target_archE1030ELNS1_3gpuE2ELNS1_3repE0EEENS1_30default_config_static_selectorELNS0_4arch9wavefront6targetE0EEEvT1_
	.globl	_ZN7rocprim17ROCPRIM_400000_NS6detail17trampoline_kernelINS0_14default_configENS1_25partition_config_selectorILNS1_17partition_subalgoE6EN6thrust23THRUST_200600_302600_NS5tupleIffNS7_9null_typeES9_S9_S9_S9_S9_S9_S9_EENS0_10empty_typeEbEEZZNS1_14partition_implILS5_6ELb0ES3_mNS7_12zip_iteratorINS8_INS7_6detail15normal_iteratorINS7_10device_ptrIfEEEESJ_S9_S9_S9_S9_S9_S9_S9_S9_EEEEPSB_SM_NS0_5tupleIJNSE_INS8_ISJ_NS7_16discard_iteratorINS7_11use_defaultEEES9_S9_S9_S9_S9_S9_S9_S9_EEEESB_EEENSN_IJSM_SM_EEESB_PlJNSF_9not_fun_tINSF_14equal_to_valueISA_EEEEEEE10hipError_tPvRmT3_T4_T5_T6_T7_T9_mT8_P12ihipStream_tbDpT10_ENKUlT_T0_E_clISt17integral_constantIbLb1EES1I_IbLb0EEEEDaS1E_S1F_EUlS1E_E_NS1_11comp_targetILNS1_3genE8ELNS1_11target_archE1030ELNS1_3gpuE2ELNS1_3repE0EEENS1_30default_config_static_selectorELNS0_4arch9wavefront6targetE0EEEvT1_
	.p2align	8
	.type	_ZN7rocprim17ROCPRIM_400000_NS6detail17trampoline_kernelINS0_14default_configENS1_25partition_config_selectorILNS1_17partition_subalgoE6EN6thrust23THRUST_200600_302600_NS5tupleIffNS7_9null_typeES9_S9_S9_S9_S9_S9_S9_EENS0_10empty_typeEbEEZZNS1_14partition_implILS5_6ELb0ES3_mNS7_12zip_iteratorINS8_INS7_6detail15normal_iteratorINS7_10device_ptrIfEEEESJ_S9_S9_S9_S9_S9_S9_S9_S9_EEEEPSB_SM_NS0_5tupleIJNSE_INS8_ISJ_NS7_16discard_iteratorINS7_11use_defaultEEES9_S9_S9_S9_S9_S9_S9_S9_EEEESB_EEENSN_IJSM_SM_EEESB_PlJNSF_9not_fun_tINSF_14equal_to_valueISA_EEEEEEE10hipError_tPvRmT3_T4_T5_T6_T7_T9_mT8_P12ihipStream_tbDpT10_ENKUlT_T0_E_clISt17integral_constantIbLb1EES1I_IbLb0EEEEDaS1E_S1F_EUlS1E_E_NS1_11comp_targetILNS1_3genE8ELNS1_11target_archE1030ELNS1_3gpuE2ELNS1_3repE0EEENS1_30default_config_static_selectorELNS0_4arch9wavefront6targetE0EEEvT1_,@function
_ZN7rocprim17ROCPRIM_400000_NS6detail17trampoline_kernelINS0_14default_configENS1_25partition_config_selectorILNS1_17partition_subalgoE6EN6thrust23THRUST_200600_302600_NS5tupleIffNS7_9null_typeES9_S9_S9_S9_S9_S9_S9_EENS0_10empty_typeEbEEZZNS1_14partition_implILS5_6ELb0ES3_mNS7_12zip_iteratorINS8_INS7_6detail15normal_iteratorINS7_10device_ptrIfEEEESJ_S9_S9_S9_S9_S9_S9_S9_S9_EEEEPSB_SM_NS0_5tupleIJNSE_INS8_ISJ_NS7_16discard_iteratorINS7_11use_defaultEEES9_S9_S9_S9_S9_S9_S9_S9_EEEESB_EEENSN_IJSM_SM_EEESB_PlJNSF_9not_fun_tINSF_14equal_to_valueISA_EEEEEEE10hipError_tPvRmT3_T4_T5_T6_T7_T9_mT8_P12ihipStream_tbDpT10_ENKUlT_T0_E_clISt17integral_constantIbLb1EES1I_IbLb0EEEEDaS1E_S1F_EUlS1E_E_NS1_11comp_targetILNS1_3genE8ELNS1_11target_archE1030ELNS1_3gpuE2ELNS1_3repE0EEENS1_30default_config_static_selectorELNS0_4arch9wavefront6targetE0EEEvT1_: ; @_ZN7rocprim17ROCPRIM_400000_NS6detail17trampoline_kernelINS0_14default_configENS1_25partition_config_selectorILNS1_17partition_subalgoE6EN6thrust23THRUST_200600_302600_NS5tupleIffNS7_9null_typeES9_S9_S9_S9_S9_S9_S9_EENS0_10empty_typeEbEEZZNS1_14partition_implILS5_6ELb0ES3_mNS7_12zip_iteratorINS8_INS7_6detail15normal_iteratorINS7_10device_ptrIfEEEESJ_S9_S9_S9_S9_S9_S9_S9_S9_EEEEPSB_SM_NS0_5tupleIJNSE_INS8_ISJ_NS7_16discard_iteratorINS7_11use_defaultEEES9_S9_S9_S9_S9_S9_S9_S9_EEEESB_EEENSN_IJSM_SM_EEESB_PlJNSF_9not_fun_tINSF_14equal_to_valueISA_EEEEEEE10hipError_tPvRmT3_T4_T5_T6_T7_T9_mT8_P12ihipStream_tbDpT10_ENKUlT_T0_E_clISt17integral_constantIbLb1EES1I_IbLb0EEEEDaS1E_S1F_EUlS1E_E_NS1_11comp_targetILNS1_3genE8ELNS1_11target_archE1030ELNS1_3gpuE2ELNS1_3repE0EEENS1_30default_config_static_selectorELNS0_4arch9wavefront6targetE0EEEvT1_
; %bb.0:
	.section	.rodata,"a",@progbits
	.p2align	6, 0x0
	.amdhsa_kernel _ZN7rocprim17ROCPRIM_400000_NS6detail17trampoline_kernelINS0_14default_configENS1_25partition_config_selectorILNS1_17partition_subalgoE6EN6thrust23THRUST_200600_302600_NS5tupleIffNS7_9null_typeES9_S9_S9_S9_S9_S9_S9_EENS0_10empty_typeEbEEZZNS1_14partition_implILS5_6ELb0ES3_mNS7_12zip_iteratorINS8_INS7_6detail15normal_iteratorINS7_10device_ptrIfEEEESJ_S9_S9_S9_S9_S9_S9_S9_S9_EEEEPSB_SM_NS0_5tupleIJNSE_INS8_ISJ_NS7_16discard_iteratorINS7_11use_defaultEEES9_S9_S9_S9_S9_S9_S9_S9_EEEESB_EEENSN_IJSM_SM_EEESB_PlJNSF_9not_fun_tINSF_14equal_to_valueISA_EEEEEEE10hipError_tPvRmT3_T4_T5_T6_T7_T9_mT8_P12ihipStream_tbDpT10_ENKUlT_T0_E_clISt17integral_constantIbLb1EES1I_IbLb0EEEEDaS1E_S1F_EUlS1E_E_NS1_11comp_targetILNS1_3genE8ELNS1_11target_archE1030ELNS1_3gpuE2ELNS1_3repE0EEENS1_30default_config_static_selectorELNS0_4arch9wavefront6targetE0EEEvT1_
		.amdhsa_group_segment_fixed_size 0
		.amdhsa_private_segment_fixed_size 0
		.amdhsa_kernarg_size 144
		.amdhsa_user_sgpr_count 2
		.amdhsa_user_sgpr_dispatch_ptr 0
		.amdhsa_user_sgpr_queue_ptr 0
		.amdhsa_user_sgpr_kernarg_segment_ptr 1
		.amdhsa_user_sgpr_dispatch_id 0
		.amdhsa_user_sgpr_private_segment_size 0
		.amdhsa_wavefront_size32 1
		.amdhsa_uses_dynamic_stack 0
		.amdhsa_enable_private_segment 0
		.amdhsa_system_sgpr_workgroup_id_x 1
		.amdhsa_system_sgpr_workgroup_id_y 0
		.amdhsa_system_sgpr_workgroup_id_z 0
		.amdhsa_system_sgpr_workgroup_info 0
		.amdhsa_system_vgpr_workitem_id 0
		.amdhsa_next_free_vgpr 1
		.amdhsa_next_free_sgpr 1
		.amdhsa_reserve_vcc 0
		.amdhsa_float_round_mode_32 0
		.amdhsa_float_round_mode_16_64 0
		.amdhsa_float_denorm_mode_32 3
		.amdhsa_float_denorm_mode_16_64 3
		.amdhsa_fp16_overflow 0
		.amdhsa_workgroup_processor_mode 1
		.amdhsa_memory_ordered 1
		.amdhsa_forward_progress 1
		.amdhsa_inst_pref_size 0
		.amdhsa_round_robin_scheduling 0
		.amdhsa_exception_fp_ieee_invalid_op 0
		.amdhsa_exception_fp_denorm_src 0
		.amdhsa_exception_fp_ieee_div_zero 0
		.amdhsa_exception_fp_ieee_overflow 0
		.amdhsa_exception_fp_ieee_underflow 0
		.amdhsa_exception_fp_ieee_inexact 0
		.amdhsa_exception_int_div_zero 0
	.end_amdhsa_kernel
	.section	.text._ZN7rocprim17ROCPRIM_400000_NS6detail17trampoline_kernelINS0_14default_configENS1_25partition_config_selectorILNS1_17partition_subalgoE6EN6thrust23THRUST_200600_302600_NS5tupleIffNS7_9null_typeES9_S9_S9_S9_S9_S9_S9_EENS0_10empty_typeEbEEZZNS1_14partition_implILS5_6ELb0ES3_mNS7_12zip_iteratorINS8_INS7_6detail15normal_iteratorINS7_10device_ptrIfEEEESJ_S9_S9_S9_S9_S9_S9_S9_S9_EEEEPSB_SM_NS0_5tupleIJNSE_INS8_ISJ_NS7_16discard_iteratorINS7_11use_defaultEEES9_S9_S9_S9_S9_S9_S9_S9_EEEESB_EEENSN_IJSM_SM_EEESB_PlJNSF_9not_fun_tINSF_14equal_to_valueISA_EEEEEEE10hipError_tPvRmT3_T4_T5_T6_T7_T9_mT8_P12ihipStream_tbDpT10_ENKUlT_T0_E_clISt17integral_constantIbLb1EES1I_IbLb0EEEEDaS1E_S1F_EUlS1E_E_NS1_11comp_targetILNS1_3genE8ELNS1_11target_archE1030ELNS1_3gpuE2ELNS1_3repE0EEENS1_30default_config_static_selectorELNS0_4arch9wavefront6targetE0EEEvT1_,"axG",@progbits,_ZN7rocprim17ROCPRIM_400000_NS6detail17trampoline_kernelINS0_14default_configENS1_25partition_config_selectorILNS1_17partition_subalgoE6EN6thrust23THRUST_200600_302600_NS5tupleIffNS7_9null_typeES9_S9_S9_S9_S9_S9_S9_EENS0_10empty_typeEbEEZZNS1_14partition_implILS5_6ELb0ES3_mNS7_12zip_iteratorINS8_INS7_6detail15normal_iteratorINS7_10device_ptrIfEEEESJ_S9_S9_S9_S9_S9_S9_S9_S9_EEEEPSB_SM_NS0_5tupleIJNSE_INS8_ISJ_NS7_16discard_iteratorINS7_11use_defaultEEES9_S9_S9_S9_S9_S9_S9_S9_EEEESB_EEENSN_IJSM_SM_EEESB_PlJNSF_9not_fun_tINSF_14equal_to_valueISA_EEEEEEE10hipError_tPvRmT3_T4_T5_T6_T7_T9_mT8_P12ihipStream_tbDpT10_ENKUlT_T0_E_clISt17integral_constantIbLb1EES1I_IbLb0EEEEDaS1E_S1F_EUlS1E_E_NS1_11comp_targetILNS1_3genE8ELNS1_11target_archE1030ELNS1_3gpuE2ELNS1_3repE0EEENS1_30default_config_static_selectorELNS0_4arch9wavefront6targetE0EEEvT1_,comdat
.Lfunc_end1876:
	.size	_ZN7rocprim17ROCPRIM_400000_NS6detail17trampoline_kernelINS0_14default_configENS1_25partition_config_selectorILNS1_17partition_subalgoE6EN6thrust23THRUST_200600_302600_NS5tupleIffNS7_9null_typeES9_S9_S9_S9_S9_S9_S9_EENS0_10empty_typeEbEEZZNS1_14partition_implILS5_6ELb0ES3_mNS7_12zip_iteratorINS8_INS7_6detail15normal_iteratorINS7_10device_ptrIfEEEESJ_S9_S9_S9_S9_S9_S9_S9_S9_EEEEPSB_SM_NS0_5tupleIJNSE_INS8_ISJ_NS7_16discard_iteratorINS7_11use_defaultEEES9_S9_S9_S9_S9_S9_S9_S9_EEEESB_EEENSN_IJSM_SM_EEESB_PlJNSF_9not_fun_tINSF_14equal_to_valueISA_EEEEEEE10hipError_tPvRmT3_T4_T5_T6_T7_T9_mT8_P12ihipStream_tbDpT10_ENKUlT_T0_E_clISt17integral_constantIbLb1EES1I_IbLb0EEEEDaS1E_S1F_EUlS1E_E_NS1_11comp_targetILNS1_3genE8ELNS1_11target_archE1030ELNS1_3gpuE2ELNS1_3repE0EEENS1_30default_config_static_selectorELNS0_4arch9wavefront6targetE0EEEvT1_, .Lfunc_end1876-_ZN7rocprim17ROCPRIM_400000_NS6detail17trampoline_kernelINS0_14default_configENS1_25partition_config_selectorILNS1_17partition_subalgoE6EN6thrust23THRUST_200600_302600_NS5tupleIffNS7_9null_typeES9_S9_S9_S9_S9_S9_S9_EENS0_10empty_typeEbEEZZNS1_14partition_implILS5_6ELb0ES3_mNS7_12zip_iteratorINS8_INS7_6detail15normal_iteratorINS7_10device_ptrIfEEEESJ_S9_S9_S9_S9_S9_S9_S9_S9_EEEEPSB_SM_NS0_5tupleIJNSE_INS8_ISJ_NS7_16discard_iteratorINS7_11use_defaultEEES9_S9_S9_S9_S9_S9_S9_S9_EEEESB_EEENSN_IJSM_SM_EEESB_PlJNSF_9not_fun_tINSF_14equal_to_valueISA_EEEEEEE10hipError_tPvRmT3_T4_T5_T6_T7_T9_mT8_P12ihipStream_tbDpT10_ENKUlT_T0_E_clISt17integral_constantIbLb1EES1I_IbLb0EEEEDaS1E_S1F_EUlS1E_E_NS1_11comp_targetILNS1_3genE8ELNS1_11target_archE1030ELNS1_3gpuE2ELNS1_3repE0EEENS1_30default_config_static_selectorELNS0_4arch9wavefront6targetE0EEEvT1_
                                        ; -- End function
	.set _ZN7rocprim17ROCPRIM_400000_NS6detail17trampoline_kernelINS0_14default_configENS1_25partition_config_selectorILNS1_17partition_subalgoE6EN6thrust23THRUST_200600_302600_NS5tupleIffNS7_9null_typeES9_S9_S9_S9_S9_S9_S9_EENS0_10empty_typeEbEEZZNS1_14partition_implILS5_6ELb0ES3_mNS7_12zip_iteratorINS8_INS7_6detail15normal_iteratorINS7_10device_ptrIfEEEESJ_S9_S9_S9_S9_S9_S9_S9_S9_EEEEPSB_SM_NS0_5tupleIJNSE_INS8_ISJ_NS7_16discard_iteratorINS7_11use_defaultEEES9_S9_S9_S9_S9_S9_S9_S9_EEEESB_EEENSN_IJSM_SM_EEESB_PlJNSF_9not_fun_tINSF_14equal_to_valueISA_EEEEEEE10hipError_tPvRmT3_T4_T5_T6_T7_T9_mT8_P12ihipStream_tbDpT10_ENKUlT_T0_E_clISt17integral_constantIbLb1EES1I_IbLb0EEEEDaS1E_S1F_EUlS1E_E_NS1_11comp_targetILNS1_3genE8ELNS1_11target_archE1030ELNS1_3gpuE2ELNS1_3repE0EEENS1_30default_config_static_selectorELNS0_4arch9wavefront6targetE0EEEvT1_.num_vgpr, 0
	.set _ZN7rocprim17ROCPRIM_400000_NS6detail17trampoline_kernelINS0_14default_configENS1_25partition_config_selectorILNS1_17partition_subalgoE6EN6thrust23THRUST_200600_302600_NS5tupleIffNS7_9null_typeES9_S9_S9_S9_S9_S9_S9_EENS0_10empty_typeEbEEZZNS1_14partition_implILS5_6ELb0ES3_mNS7_12zip_iteratorINS8_INS7_6detail15normal_iteratorINS7_10device_ptrIfEEEESJ_S9_S9_S9_S9_S9_S9_S9_S9_EEEEPSB_SM_NS0_5tupleIJNSE_INS8_ISJ_NS7_16discard_iteratorINS7_11use_defaultEEES9_S9_S9_S9_S9_S9_S9_S9_EEEESB_EEENSN_IJSM_SM_EEESB_PlJNSF_9not_fun_tINSF_14equal_to_valueISA_EEEEEEE10hipError_tPvRmT3_T4_T5_T6_T7_T9_mT8_P12ihipStream_tbDpT10_ENKUlT_T0_E_clISt17integral_constantIbLb1EES1I_IbLb0EEEEDaS1E_S1F_EUlS1E_E_NS1_11comp_targetILNS1_3genE8ELNS1_11target_archE1030ELNS1_3gpuE2ELNS1_3repE0EEENS1_30default_config_static_selectorELNS0_4arch9wavefront6targetE0EEEvT1_.num_agpr, 0
	.set _ZN7rocprim17ROCPRIM_400000_NS6detail17trampoline_kernelINS0_14default_configENS1_25partition_config_selectorILNS1_17partition_subalgoE6EN6thrust23THRUST_200600_302600_NS5tupleIffNS7_9null_typeES9_S9_S9_S9_S9_S9_S9_EENS0_10empty_typeEbEEZZNS1_14partition_implILS5_6ELb0ES3_mNS7_12zip_iteratorINS8_INS7_6detail15normal_iteratorINS7_10device_ptrIfEEEESJ_S9_S9_S9_S9_S9_S9_S9_S9_EEEEPSB_SM_NS0_5tupleIJNSE_INS8_ISJ_NS7_16discard_iteratorINS7_11use_defaultEEES9_S9_S9_S9_S9_S9_S9_S9_EEEESB_EEENSN_IJSM_SM_EEESB_PlJNSF_9not_fun_tINSF_14equal_to_valueISA_EEEEEEE10hipError_tPvRmT3_T4_T5_T6_T7_T9_mT8_P12ihipStream_tbDpT10_ENKUlT_T0_E_clISt17integral_constantIbLb1EES1I_IbLb0EEEEDaS1E_S1F_EUlS1E_E_NS1_11comp_targetILNS1_3genE8ELNS1_11target_archE1030ELNS1_3gpuE2ELNS1_3repE0EEENS1_30default_config_static_selectorELNS0_4arch9wavefront6targetE0EEEvT1_.numbered_sgpr, 0
	.set _ZN7rocprim17ROCPRIM_400000_NS6detail17trampoline_kernelINS0_14default_configENS1_25partition_config_selectorILNS1_17partition_subalgoE6EN6thrust23THRUST_200600_302600_NS5tupleIffNS7_9null_typeES9_S9_S9_S9_S9_S9_S9_EENS0_10empty_typeEbEEZZNS1_14partition_implILS5_6ELb0ES3_mNS7_12zip_iteratorINS8_INS7_6detail15normal_iteratorINS7_10device_ptrIfEEEESJ_S9_S9_S9_S9_S9_S9_S9_S9_EEEEPSB_SM_NS0_5tupleIJNSE_INS8_ISJ_NS7_16discard_iteratorINS7_11use_defaultEEES9_S9_S9_S9_S9_S9_S9_S9_EEEESB_EEENSN_IJSM_SM_EEESB_PlJNSF_9not_fun_tINSF_14equal_to_valueISA_EEEEEEE10hipError_tPvRmT3_T4_T5_T6_T7_T9_mT8_P12ihipStream_tbDpT10_ENKUlT_T0_E_clISt17integral_constantIbLb1EES1I_IbLb0EEEEDaS1E_S1F_EUlS1E_E_NS1_11comp_targetILNS1_3genE8ELNS1_11target_archE1030ELNS1_3gpuE2ELNS1_3repE0EEENS1_30default_config_static_selectorELNS0_4arch9wavefront6targetE0EEEvT1_.num_named_barrier, 0
	.set _ZN7rocprim17ROCPRIM_400000_NS6detail17trampoline_kernelINS0_14default_configENS1_25partition_config_selectorILNS1_17partition_subalgoE6EN6thrust23THRUST_200600_302600_NS5tupleIffNS7_9null_typeES9_S9_S9_S9_S9_S9_S9_EENS0_10empty_typeEbEEZZNS1_14partition_implILS5_6ELb0ES3_mNS7_12zip_iteratorINS8_INS7_6detail15normal_iteratorINS7_10device_ptrIfEEEESJ_S9_S9_S9_S9_S9_S9_S9_S9_EEEEPSB_SM_NS0_5tupleIJNSE_INS8_ISJ_NS7_16discard_iteratorINS7_11use_defaultEEES9_S9_S9_S9_S9_S9_S9_S9_EEEESB_EEENSN_IJSM_SM_EEESB_PlJNSF_9not_fun_tINSF_14equal_to_valueISA_EEEEEEE10hipError_tPvRmT3_T4_T5_T6_T7_T9_mT8_P12ihipStream_tbDpT10_ENKUlT_T0_E_clISt17integral_constantIbLb1EES1I_IbLb0EEEEDaS1E_S1F_EUlS1E_E_NS1_11comp_targetILNS1_3genE8ELNS1_11target_archE1030ELNS1_3gpuE2ELNS1_3repE0EEENS1_30default_config_static_selectorELNS0_4arch9wavefront6targetE0EEEvT1_.private_seg_size, 0
	.set _ZN7rocprim17ROCPRIM_400000_NS6detail17trampoline_kernelINS0_14default_configENS1_25partition_config_selectorILNS1_17partition_subalgoE6EN6thrust23THRUST_200600_302600_NS5tupleIffNS7_9null_typeES9_S9_S9_S9_S9_S9_S9_EENS0_10empty_typeEbEEZZNS1_14partition_implILS5_6ELb0ES3_mNS7_12zip_iteratorINS8_INS7_6detail15normal_iteratorINS7_10device_ptrIfEEEESJ_S9_S9_S9_S9_S9_S9_S9_S9_EEEEPSB_SM_NS0_5tupleIJNSE_INS8_ISJ_NS7_16discard_iteratorINS7_11use_defaultEEES9_S9_S9_S9_S9_S9_S9_S9_EEEESB_EEENSN_IJSM_SM_EEESB_PlJNSF_9not_fun_tINSF_14equal_to_valueISA_EEEEEEE10hipError_tPvRmT3_T4_T5_T6_T7_T9_mT8_P12ihipStream_tbDpT10_ENKUlT_T0_E_clISt17integral_constantIbLb1EES1I_IbLb0EEEEDaS1E_S1F_EUlS1E_E_NS1_11comp_targetILNS1_3genE8ELNS1_11target_archE1030ELNS1_3gpuE2ELNS1_3repE0EEENS1_30default_config_static_selectorELNS0_4arch9wavefront6targetE0EEEvT1_.uses_vcc, 0
	.set _ZN7rocprim17ROCPRIM_400000_NS6detail17trampoline_kernelINS0_14default_configENS1_25partition_config_selectorILNS1_17partition_subalgoE6EN6thrust23THRUST_200600_302600_NS5tupleIffNS7_9null_typeES9_S9_S9_S9_S9_S9_S9_EENS0_10empty_typeEbEEZZNS1_14partition_implILS5_6ELb0ES3_mNS7_12zip_iteratorINS8_INS7_6detail15normal_iteratorINS7_10device_ptrIfEEEESJ_S9_S9_S9_S9_S9_S9_S9_S9_EEEEPSB_SM_NS0_5tupleIJNSE_INS8_ISJ_NS7_16discard_iteratorINS7_11use_defaultEEES9_S9_S9_S9_S9_S9_S9_S9_EEEESB_EEENSN_IJSM_SM_EEESB_PlJNSF_9not_fun_tINSF_14equal_to_valueISA_EEEEEEE10hipError_tPvRmT3_T4_T5_T6_T7_T9_mT8_P12ihipStream_tbDpT10_ENKUlT_T0_E_clISt17integral_constantIbLb1EES1I_IbLb0EEEEDaS1E_S1F_EUlS1E_E_NS1_11comp_targetILNS1_3genE8ELNS1_11target_archE1030ELNS1_3gpuE2ELNS1_3repE0EEENS1_30default_config_static_selectorELNS0_4arch9wavefront6targetE0EEEvT1_.uses_flat_scratch, 0
	.set _ZN7rocprim17ROCPRIM_400000_NS6detail17trampoline_kernelINS0_14default_configENS1_25partition_config_selectorILNS1_17partition_subalgoE6EN6thrust23THRUST_200600_302600_NS5tupleIffNS7_9null_typeES9_S9_S9_S9_S9_S9_S9_EENS0_10empty_typeEbEEZZNS1_14partition_implILS5_6ELb0ES3_mNS7_12zip_iteratorINS8_INS7_6detail15normal_iteratorINS7_10device_ptrIfEEEESJ_S9_S9_S9_S9_S9_S9_S9_S9_EEEEPSB_SM_NS0_5tupleIJNSE_INS8_ISJ_NS7_16discard_iteratorINS7_11use_defaultEEES9_S9_S9_S9_S9_S9_S9_S9_EEEESB_EEENSN_IJSM_SM_EEESB_PlJNSF_9not_fun_tINSF_14equal_to_valueISA_EEEEEEE10hipError_tPvRmT3_T4_T5_T6_T7_T9_mT8_P12ihipStream_tbDpT10_ENKUlT_T0_E_clISt17integral_constantIbLb1EES1I_IbLb0EEEEDaS1E_S1F_EUlS1E_E_NS1_11comp_targetILNS1_3genE8ELNS1_11target_archE1030ELNS1_3gpuE2ELNS1_3repE0EEENS1_30default_config_static_selectorELNS0_4arch9wavefront6targetE0EEEvT1_.has_dyn_sized_stack, 0
	.set _ZN7rocprim17ROCPRIM_400000_NS6detail17trampoline_kernelINS0_14default_configENS1_25partition_config_selectorILNS1_17partition_subalgoE6EN6thrust23THRUST_200600_302600_NS5tupleIffNS7_9null_typeES9_S9_S9_S9_S9_S9_S9_EENS0_10empty_typeEbEEZZNS1_14partition_implILS5_6ELb0ES3_mNS7_12zip_iteratorINS8_INS7_6detail15normal_iteratorINS7_10device_ptrIfEEEESJ_S9_S9_S9_S9_S9_S9_S9_S9_EEEEPSB_SM_NS0_5tupleIJNSE_INS8_ISJ_NS7_16discard_iteratorINS7_11use_defaultEEES9_S9_S9_S9_S9_S9_S9_S9_EEEESB_EEENSN_IJSM_SM_EEESB_PlJNSF_9not_fun_tINSF_14equal_to_valueISA_EEEEEEE10hipError_tPvRmT3_T4_T5_T6_T7_T9_mT8_P12ihipStream_tbDpT10_ENKUlT_T0_E_clISt17integral_constantIbLb1EES1I_IbLb0EEEEDaS1E_S1F_EUlS1E_E_NS1_11comp_targetILNS1_3genE8ELNS1_11target_archE1030ELNS1_3gpuE2ELNS1_3repE0EEENS1_30default_config_static_selectorELNS0_4arch9wavefront6targetE0EEEvT1_.has_recursion, 0
	.set _ZN7rocprim17ROCPRIM_400000_NS6detail17trampoline_kernelINS0_14default_configENS1_25partition_config_selectorILNS1_17partition_subalgoE6EN6thrust23THRUST_200600_302600_NS5tupleIffNS7_9null_typeES9_S9_S9_S9_S9_S9_S9_EENS0_10empty_typeEbEEZZNS1_14partition_implILS5_6ELb0ES3_mNS7_12zip_iteratorINS8_INS7_6detail15normal_iteratorINS7_10device_ptrIfEEEESJ_S9_S9_S9_S9_S9_S9_S9_S9_EEEEPSB_SM_NS0_5tupleIJNSE_INS8_ISJ_NS7_16discard_iteratorINS7_11use_defaultEEES9_S9_S9_S9_S9_S9_S9_S9_EEEESB_EEENSN_IJSM_SM_EEESB_PlJNSF_9not_fun_tINSF_14equal_to_valueISA_EEEEEEE10hipError_tPvRmT3_T4_T5_T6_T7_T9_mT8_P12ihipStream_tbDpT10_ENKUlT_T0_E_clISt17integral_constantIbLb1EES1I_IbLb0EEEEDaS1E_S1F_EUlS1E_E_NS1_11comp_targetILNS1_3genE8ELNS1_11target_archE1030ELNS1_3gpuE2ELNS1_3repE0EEENS1_30default_config_static_selectorELNS0_4arch9wavefront6targetE0EEEvT1_.has_indirect_call, 0
	.section	.AMDGPU.csdata,"",@progbits
; Kernel info:
; codeLenInByte = 0
; TotalNumSgprs: 0
; NumVgprs: 0
; ScratchSize: 0
; MemoryBound: 0
; FloatMode: 240
; IeeeMode: 1
; LDSByteSize: 0 bytes/workgroup (compile time only)
; SGPRBlocks: 0
; VGPRBlocks: 0
; NumSGPRsForWavesPerEU: 1
; NumVGPRsForWavesPerEU: 1
; Occupancy: 16
; WaveLimiterHint : 0
; COMPUTE_PGM_RSRC2:SCRATCH_EN: 0
; COMPUTE_PGM_RSRC2:USER_SGPR: 2
; COMPUTE_PGM_RSRC2:TRAP_HANDLER: 0
; COMPUTE_PGM_RSRC2:TGID_X_EN: 1
; COMPUTE_PGM_RSRC2:TGID_Y_EN: 0
; COMPUTE_PGM_RSRC2:TGID_Z_EN: 0
; COMPUTE_PGM_RSRC2:TIDIG_COMP_CNT: 0
	.section	.text._ZN7rocprim17ROCPRIM_400000_NS6detail17trampoline_kernelINS0_14default_configENS1_25partition_config_selectorILNS1_17partition_subalgoE6EN6thrust23THRUST_200600_302600_NS5tupleIffNS7_9null_typeES9_S9_S9_S9_S9_S9_S9_EENS0_10empty_typeEbEEZZNS1_14partition_implILS5_6ELb0ES3_mNS7_12zip_iteratorINS8_INS7_6detail15normal_iteratorINS7_10device_ptrIfEEEESJ_S9_S9_S9_S9_S9_S9_S9_S9_EEEEPSB_SM_NS0_5tupleIJNSE_INS8_ISJ_NS7_16discard_iteratorINS7_11use_defaultEEES9_S9_S9_S9_S9_S9_S9_S9_EEEESB_EEENSN_IJSM_SM_EEESB_PlJNSF_9not_fun_tINSF_14equal_to_valueISA_EEEEEEE10hipError_tPvRmT3_T4_T5_T6_T7_T9_mT8_P12ihipStream_tbDpT10_ENKUlT_T0_E_clISt17integral_constantIbLb0EES1I_IbLb1EEEEDaS1E_S1F_EUlS1E_E_NS1_11comp_targetILNS1_3genE0ELNS1_11target_archE4294967295ELNS1_3gpuE0ELNS1_3repE0EEENS1_30default_config_static_selectorELNS0_4arch9wavefront6targetE0EEEvT1_,"axG",@progbits,_ZN7rocprim17ROCPRIM_400000_NS6detail17trampoline_kernelINS0_14default_configENS1_25partition_config_selectorILNS1_17partition_subalgoE6EN6thrust23THRUST_200600_302600_NS5tupleIffNS7_9null_typeES9_S9_S9_S9_S9_S9_S9_EENS0_10empty_typeEbEEZZNS1_14partition_implILS5_6ELb0ES3_mNS7_12zip_iteratorINS8_INS7_6detail15normal_iteratorINS7_10device_ptrIfEEEESJ_S9_S9_S9_S9_S9_S9_S9_S9_EEEEPSB_SM_NS0_5tupleIJNSE_INS8_ISJ_NS7_16discard_iteratorINS7_11use_defaultEEES9_S9_S9_S9_S9_S9_S9_S9_EEEESB_EEENSN_IJSM_SM_EEESB_PlJNSF_9not_fun_tINSF_14equal_to_valueISA_EEEEEEE10hipError_tPvRmT3_T4_T5_T6_T7_T9_mT8_P12ihipStream_tbDpT10_ENKUlT_T0_E_clISt17integral_constantIbLb0EES1I_IbLb1EEEEDaS1E_S1F_EUlS1E_E_NS1_11comp_targetILNS1_3genE0ELNS1_11target_archE4294967295ELNS1_3gpuE0ELNS1_3repE0EEENS1_30default_config_static_selectorELNS0_4arch9wavefront6targetE0EEEvT1_,comdat
	.protected	_ZN7rocprim17ROCPRIM_400000_NS6detail17trampoline_kernelINS0_14default_configENS1_25partition_config_selectorILNS1_17partition_subalgoE6EN6thrust23THRUST_200600_302600_NS5tupleIffNS7_9null_typeES9_S9_S9_S9_S9_S9_S9_EENS0_10empty_typeEbEEZZNS1_14partition_implILS5_6ELb0ES3_mNS7_12zip_iteratorINS8_INS7_6detail15normal_iteratorINS7_10device_ptrIfEEEESJ_S9_S9_S9_S9_S9_S9_S9_S9_EEEEPSB_SM_NS0_5tupleIJNSE_INS8_ISJ_NS7_16discard_iteratorINS7_11use_defaultEEES9_S9_S9_S9_S9_S9_S9_S9_EEEESB_EEENSN_IJSM_SM_EEESB_PlJNSF_9not_fun_tINSF_14equal_to_valueISA_EEEEEEE10hipError_tPvRmT3_T4_T5_T6_T7_T9_mT8_P12ihipStream_tbDpT10_ENKUlT_T0_E_clISt17integral_constantIbLb0EES1I_IbLb1EEEEDaS1E_S1F_EUlS1E_E_NS1_11comp_targetILNS1_3genE0ELNS1_11target_archE4294967295ELNS1_3gpuE0ELNS1_3repE0EEENS1_30default_config_static_selectorELNS0_4arch9wavefront6targetE0EEEvT1_ ; -- Begin function _ZN7rocprim17ROCPRIM_400000_NS6detail17trampoline_kernelINS0_14default_configENS1_25partition_config_selectorILNS1_17partition_subalgoE6EN6thrust23THRUST_200600_302600_NS5tupleIffNS7_9null_typeES9_S9_S9_S9_S9_S9_S9_EENS0_10empty_typeEbEEZZNS1_14partition_implILS5_6ELb0ES3_mNS7_12zip_iteratorINS8_INS7_6detail15normal_iteratorINS7_10device_ptrIfEEEESJ_S9_S9_S9_S9_S9_S9_S9_S9_EEEEPSB_SM_NS0_5tupleIJNSE_INS8_ISJ_NS7_16discard_iteratorINS7_11use_defaultEEES9_S9_S9_S9_S9_S9_S9_S9_EEEESB_EEENSN_IJSM_SM_EEESB_PlJNSF_9not_fun_tINSF_14equal_to_valueISA_EEEEEEE10hipError_tPvRmT3_T4_T5_T6_T7_T9_mT8_P12ihipStream_tbDpT10_ENKUlT_T0_E_clISt17integral_constantIbLb0EES1I_IbLb1EEEEDaS1E_S1F_EUlS1E_E_NS1_11comp_targetILNS1_3genE0ELNS1_11target_archE4294967295ELNS1_3gpuE0ELNS1_3repE0EEENS1_30default_config_static_selectorELNS0_4arch9wavefront6targetE0EEEvT1_
	.globl	_ZN7rocprim17ROCPRIM_400000_NS6detail17trampoline_kernelINS0_14default_configENS1_25partition_config_selectorILNS1_17partition_subalgoE6EN6thrust23THRUST_200600_302600_NS5tupleIffNS7_9null_typeES9_S9_S9_S9_S9_S9_S9_EENS0_10empty_typeEbEEZZNS1_14partition_implILS5_6ELb0ES3_mNS7_12zip_iteratorINS8_INS7_6detail15normal_iteratorINS7_10device_ptrIfEEEESJ_S9_S9_S9_S9_S9_S9_S9_S9_EEEEPSB_SM_NS0_5tupleIJNSE_INS8_ISJ_NS7_16discard_iteratorINS7_11use_defaultEEES9_S9_S9_S9_S9_S9_S9_S9_EEEESB_EEENSN_IJSM_SM_EEESB_PlJNSF_9not_fun_tINSF_14equal_to_valueISA_EEEEEEE10hipError_tPvRmT3_T4_T5_T6_T7_T9_mT8_P12ihipStream_tbDpT10_ENKUlT_T0_E_clISt17integral_constantIbLb0EES1I_IbLb1EEEEDaS1E_S1F_EUlS1E_E_NS1_11comp_targetILNS1_3genE0ELNS1_11target_archE4294967295ELNS1_3gpuE0ELNS1_3repE0EEENS1_30default_config_static_selectorELNS0_4arch9wavefront6targetE0EEEvT1_
	.p2align	8
	.type	_ZN7rocprim17ROCPRIM_400000_NS6detail17trampoline_kernelINS0_14default_configENS1_25partition_config_selectorILNS1_17partition_subalgoE6EN6thrust23THRUST_200600_302600_NS5tupleIffNS7_9null_typeES9_S9_S9_S9_S9_S9_S9_EENS0_10empty_typeEbEEZZNS1_14partition_implILS5_6ELb0ES3_mNS7_12zip_iteratorINS8_INS7_6detail15normal_iteratorINS7_10device_ptrIfEEEESJ_S9_S9_S9_S9_S9_S9_S9_S9_EEEEPSB_SM_NS0_5tupleIJNSE_INS8_ISJ_NS7_16discard_iteratorINS7_11use_defaultEEES9_S9_S9_S9_S9_S9_S9_S9_EEEESB_EEENSN_IJSM_SM_EEESB_PlJNSF_9not_fun_tINSF_14equal_to_valueISA_EEEEEEE10hipError_tPvRmT3_T4_T5_T6_T7_T9_mT8_P12ihipStream_tbDpT10_ENKUlT_T0_E_clISt17integral_constantIbLb0EES1I_IbLb1EEEEDaS1E_S1F_EUlS1E_E_NS1_11comp_targetILNS1_3genE0ELNS1_11target_archE4294967295ELNS1_3gpuE0ELNS1_3repE0EEENS1_30default_config_static_selectorELNS0_4arch9wavefront6targetE0EEEvT1_,@function
_ZN7rocprim17ROCPRIM_400000_NS6detail17trampoline_kernelINS0_14default_configENS1_25partition_config_selectorILNS1_17partition_subalgoE6EN6thrust23THRUST_200600_302600_NS5tupleIffNS7_9null_typeES9_S9_S9_S9_S9_S9_S9_EENS0_10empty_typeEbEEZZNS1_14partition_implILS5_6ELb0ES3_mNS7_12zip_iteratorINS8_INS7_6detail15normal_iteratorINS7_10device_ptrIfEEEESJ_S9_S9_S9_S9_S9_S9_S9_S9_EEEEPSB_SM_NS0_5tupleIJNSE_INS8_ISJ_NS7_16discard_iteratorINS7_11use_defaultEEES9_S9_S9_S9_S9_S9_S9_S9_EEEESB_EEENSN_IJSM_SM_EEESB_PlJNSF_9not_fun_tINSF_14equal_to_valueISA_EEEEEEE10hipError_tPvRmT3_T4_T5_T6_T7_T9_mT8_P12ihipStream_tbDpT10_ENKUlT_T0_E_clISt17integral_constantIbLb0EES1I_IbLb1EEEEDaS1E_S1F_EUlS1E_E_NS1_11comp_targetILNS1_3genE0ELNS1_11target_archE4294967295ELNS1_3gpuE0ELNS1_3repE0EEENS1_30default_config_static_selectorELNS0_4arch9wavefront6targetE0EEEvT1_: ; @_ZN7rocprim17ROCPRIM_400000_NS6detail17trampoline_kernelINS0_14default_configENS1_25partition_config_selectorILNS1_17partition_subalgoE6EN6thrust23THRUST_200600_302600_NS5tupleIffNS7_9null_typeES9_S9_S9_S9_S9_S9_S9_EENS0_10empty_typeEbEEZZNS1_14partition_implILS5_6ELb0ES3_mNS7_12zip_iteratorINS8_INS7_6detail15normal_iteratorINS7_10device_ptrIfEEEESJ_S9_S9_S9_S9_S9_S9_S9_S9_EEEEPSB_SM_NS0_5tupleIJNSE_INS8_ISJ_NS7_16discard_iteratorINS7_11use_defaultEEES9_S9_S9_S9_S9_S9_S9_S9_EEEESB_EEENSN_IJSM_SM_EEESB_PlJNSF_9not_fun_tINSF_14equal_to_valueISA_EEEEEEE10hipError_tPvRmT3_T4_T5_T6_T7_T9_mT8_P12ihipStream_tbDpT10_ENKUlT_T0_E_clISt17integral_constantIbLb0EES1I_IbLb1EEEEDaS1E_S1F_EUlS1E_E_NS1_11comp_targetILNS1_3genE0ELNS1_11target_archE4294967295ELNS1_3gpuE0ELNS1_3repE0EEENS1_30default_config_static_selectorELNS0_4arch9wavefront6targetE0EEEvT1_
; %bb.0:
	.section	.rodata,"a",@progbits
	.p2align	6, 0x0
	.amdhsa_kernel _ZN7rocprim17ROCPRIM_400000_NS6detail17trampoline_kernelINS0_14default_configENS1_25partition_config_selectorILNS1_17partition_subalgoE6EN6thrust23THRUST_200600_302600_NS5tupleIffNS7_9null_typeES9_S9_S9_S9_S9_S9_S9_EENS0_10empty_typeEbEEZZNS1_14partition_implILS5_6ELb0ES3_mNS7_12zip_iteratorINS8_INS7_6detail15normal_iteratorINS7_10device_ptrIfEEEESJ_S9_S9_S9_S9_S9_S9_S9_S9_EEEEPSB_SM_NS0_5tupleIJNSE_INS8_ISJ_NS7_16discard_iteratorINS7_11use_defaultEEES9_S9_S9_S9_S9_S9_S9_S9_EEEESB_EEENSN_IJSM_SM_EEESB_PlJNSF_9not_fun_tINSF_14equal_to_valueISA_EEEEEEE10hipError_tPvRmT3_T4_T5_T6_T7_T9_mT8_P12ihipStream_tbDpT10_ENKUlT_T0_E_clISt17integral_constantIbLb0EES1I_IbLb1EEEEDaS1E_S1F_EUlS1E_E_NS1_11comp_targetILNS1_3genE0ELNS1_11target_archE4294967295ELNS1_3gpuE0ELNS1_3repE0EEENS1_30default_config_static_selectorELNS0_4arch9wavefront6targetE0EEEvT1_
		.amdhsa_group_segment_fixed_size 0
		.amdhsa_private_segment_fixed_size 0
		.amdhsa_kernarg_size 152
		.amdhsa_user_sgpr_count 2
		.amdhsa_user_sgpr_dispatch_ptr 0
		.amdhsa_user_sgpr_queue_ptr 0
		.amdhsa_user_sgpr_kernarg_segment_ptr 1
		.amdhsa_user_sgpr_dispatch_id 0
		.amdhsa_user_sgpr_private_segment_size 0
		.amdhsa_wavefront_size32 1
		.amdhsa_uses_dynamic_stack 0
		.amdhsa_enable_private_segment 0
		.amdhsa_system_sgpr_workgroup_id_x 1
		.amdhsa_system_sgpr_workgroup_id_y 0
		.amdhsa_system_sgpr_workgroup_id_z 0
		.amdhsa_system_sgpr_workgroup_info 0
		.amdhsa_system_vgpr_workitem_id 0
		.amdhsa_next_free_vgpr 1
		.amdhsa_next_free_sgpr 1
		.amdhsa_reserve_vcc 0
		.amdhsa_float_round_mode_32 0
		.amdhsa_float_round_mode_16_64 0
		.amdhsa_float_denorm_mode_32 3
		.amdhsa_float_denorm_mode_16_64 3
		.amdhsa_fp16_overflow 0
		.amdhsa_workgroup_processor_mode 1
		.amdhsa_memory_ordered 1
		.amdhsa_forward_progress 1
		.amdhsa_inst_pref_size 0
		.amdhsa_round_robin_scheduling 0
		.amdhsa_exception_fp_ieee_invalid_op 0
		.amdhsa_exception_fp_denorm_src 0
		.amdhsa_exception_fp_ieee_div_zero 0
		.amdhsa_exception_fp_ieee_overflow 0
		.amdhsa_exception_fp_ieee_underflow 0
		.amdhsa_exception_fp_ieee_inexact 0
		.amdhsa_exception_int_div_zero 0
	.end_amdhsa_kernel
	.section	.text._ZN7rocprim17ROCPRIM_400000_NS6detail17trampoline_kernelINS0_14default_configENS1_25partition_config_selectorILNS1_17partition_subalgoE6EN6thrust23THRUST_200600_302600_NS5tupleIffNS7_9null_typeES9_S9_S9_S9_S9_S9_S9_EENS0_10empty_typeEbEEZZNS1_14partition_implILS5_6ELb0ES3_mNS7_12zip_iteratorINS8_INS7_6detail15normal_iteratorINS7_10device_ptrIfEEEESJ_S9_S9_S9_S9_S9_S9_S9_S9_EEEEPSB_SM_NS0_5tupleIJNSE_INS8_ISJ_NS7_16discard_iteratorINS7_11use_defaultEEES9_S9_S9_S9_S9_S9_S9_S9_EEEESB_EEENSN_IJSM_SM_EEESB_PlJNSF_9not_fun_tINSF_14equal_to_valueISA_EEEEEEE10hipError_tPvRmT3_T4_T5_T6_T7_T9_mT8_P12ihipStream_tbDpT10_ENKUlT_T0_E_clISt17integral_constantIbLb0EES1I_IbLb1EEEEDaS1E_S1F_EUlS1E_E_NS1_11comp_targetILNS1_3genE0ELNS1_11target_archE4294967295ELNS1_3gpuE0ELNS1_3repE0EEENS1_30default_config_static_selectorELNS0_4arch9wavefront6targetE0EEEvT1_,"axG",@progbits,_ZN7rocprim17ROCPRIM_400000_NS6detail17trampoline_kernelINS0_14default_configENS1_25partition_config_selectorILNS1_17partition_subalgoE6EN6thrust23THRUST_200600_302600_NS5tupleIffNS7_9null_typeES9_S9_S9_S9_S9_S9_S9_EENS0_10empty_typeEbEEZZNS1_14partition_implILS5_6ELb0ES3_mNS7_12zip_iteratorINS8_INS7_6detail15normal_iteratorINS7_10device_ptrIfEEEESJ_S9_S9_S9_S9_S9_S9_S9_S9_EEEEPSB_SM_NS0_5tupleIJNSE_INS8_ISJ_NS7_16discard_iteratorINS7_11use_defaultEEES9_S9_S9_S9_S9_S9_S9_S9_EEEESB_EEENSN_IJSM_SM_EEESB_PlJNSF_9not_fun_tINSF_14equal_to_valueISA_EEEEEEE10hipError_tPvRmT3_T4_T5_T6_T7_T9_mT8_P12ihipStream_tbDpT10_ENKUlT_T0_E_clISt17integral_constantIbLb0EES1I_IbLb1EEEEDaS1E_S1F_EUlS1E_E_NS1_11comp_targetILNS1_3genE0ELNS1_11target_archE4294967295ELNS1_3gpuE0ELNS1_3repE0EEENS1_30default_config_static_selectorELNS0_4arch9wavefront6targetE0EEEvT1_,comdat
.Lfunc_end1877:
	.size	_ZN7rocprim17ROCPRIM_400000_NS6detail17trampoline_kernelINS0_14default_configENS1_25partition_config_selectorILNS1_17partition_subalgoE6EN6thrust23THRUST_200600_302600_NS5tupleIffNS7_9null_typeES9_S9_S9_S9_S9_S9_S9_EENS0_10empty_typeEbEEZZNS1_14partition_implILS5_6ELb0ES3_mNS7_12zip_iteratorINS8_INS7_6detail15normal_iteratorINS7_10device_ptrIfEEEESJ_S9_S9_S9_S9_S9_S9_S9_S9_EEEEPSB_SM_NS0_5tupleIJNSE_INS8_ISJ_NS7_16discard_iteratorINS7_11use_defaultEEES9_S9_S9_S9_S9_S9_S9_S9_EEEESB_EEENSN_IJSM_SM_EEESB_PlJNSF_9not_fun_tINSF_14equal_to_valueISA_EEEEEEE10hipError_tPvRmT3_T4_T5_T6_T7_T9_mT8_P12ihipStream_tbDpT10_ENKUlT_T0_E_clISt17integral_constantIbLb0EES1I_IbLb1EEEEDaS1E_S1F_EUlS1E_E_NS1_11comp_targetILNS1_3genE0ELNS1_11target_archE4294967295ELNS1_3gpuE0ELNS1_3repE0EEENS1_30default_config_static_selectorELNS0_4arch9wavefront6targetE0EEEvT1_, .Lfunc_end1877-_ZN7rocprim17ROCPRIM_400000_NS6detail17trampoline_kernelINS0_14default_configENS1_25partition_config_selectorILNS1_17partition_subalgoE6EN6thrust23THRUST_200600_302600_NS5tupleIffNS7_9null_typeES9_S9_S9_S9_S9_S9_S9_EENS0_10empty_typeEbEEZZNS1_14partition_implILS5_6ELb0ES3_mNS7_12zip_iteratorINS8_INS7_6detail15normal_iteratorINS7_10device_ptrIfEEEESJ_S9_S9_S9_S9_S9_S9_S9_S9_EEEEPSB_SM_NS0_5tupleIJNSE_INS8_ISJ_NS7_16discard_iteratorINS7_11use_defaultEEES9_S9_S9_S9_S9_S9_S9_S9_EEEESB_EEENSN_IJSM_SM_EEESB_PlJNSF_9not_fun_tINSF_14equal_to_valueISA_EEEEEEE10hipError_tPvRmT3_T4_T5_T6_T7_T9_mT8_P12ihipStream_tbDpT10_ENKUlT_T0_E_clISt17integral_constantIbLb0EES1I_IbLb1EEEEDaS1E_S1F_EUlS1E_E_NS1_11comp_targetILNS1_3genE0ELNS1_11target_archE4294967295ELNS1_3gpuE0ELNS1_3repE0EEENS1_30default_config_static_selectorELNS0_4arch9wavefront6targetE0EEEvT1_
                                        ; -- End function
	.set _ZN7rocprim17ROCPRIM_400000_NS6detail17trampoline_kernelINS0_14default_configENS1_25partition_config_selectorILNS1_17partition_subalgoE6EN6thrust23THRUST_200600_302600_NS5tupleIffNS7_9null_typeES9_S9_S9_S9_S9_S9_S9_EENS0_10empty_typeEbEEZZNS1_14partition_implILS5_6ELb0ES3_mNS7_12zip_iteratorINS8_INS7_6detail15normal_iteratorINS7_10device_ptrIfEEEESJ_S9_S9_S9_S9_S9_S9_S9_S9_EEEEPSB_SM_NS0_5tupleIJNSE_INS8_ISJ_NS7_16discard_iteratorINS7_11use_defaultEEES9_S9_S9_S9_S9_S9_S9_S9_EEEESB_EEENSN_IJSM_SM_EEESB_PlJNSF_9not_fun_tINSF_14equal_to_valueISA_EEEEEEE10hipError_tPvRmT3_T4_T5_T6_T7_T9_mT8_P12ihipStream_tbDpT10_ENKUlT_T0_E_clISt17integral_constantIbLb0EES1I_IbLb1EEEEDaS1E_S1F_EUlS1E_E_NS1_11comp_targetILNS1_3genE0ELNS1_11target_archE4294967295ELNS1_3gpuE0ELNS1_3repE0EEENS1_30default_config_static_selectorELNS0_4arch9wavefront6targetE0EEEvT1_.num_vgpr, 0
	.set _ZN7rocprim17ROCPRIM_400000_NS6detail17trampoline_kernelINS0_14default_configENS1_25partition_config_selectorILNS1_17partition_subalgoE6EN6thrust23THRUST_200600_302600_NS5tupleIffNS7_9null_typeES9_S9_S9_S9_S9_S9_S9_EENS0_10empty_typeEbEEZZNS1_14partition_implILS5_6ELb0ES3_mNS7_12zip_iteratorINS8_INS7_6detail15normal_iteratorINS7_10device_ptrIfEEEESJ_S9_S9_S9_S9_S9_S9_S9_S9_EEEEPSB_SM_NS0_5tupleIJNSE_INS8_ISJ_NS7_16discard_iteratorINS7_11use_defaultEEES9_S9_S9_S9_S9_S9_S9_S9_EEEESB_EEENSN_IJSM_SM_EEESB_PlJNSF_9not_fun_tINSF_14equal_to_valueISA_EEEEEEE10hipError_tPvRmT3_T4_T5_T6_T7_T9_mT8_P12ihipStream_tbDpT10_ENKUlT_T0_E_clISt17integral_constantIbLb0EES1I_IbLb1EEEEDaS1E_S1F_EUlS1E_E_NS1_11comp_targetILNS1_3genE0ELNS1_11target_archE4294967295ELNS1_3gpuE0ELNS1_3repE0EEENS1_30default_config_static_selectorELNS0_4arch9wavefront6targetE0EEEvT1_.num_agpr, 0
	.set _ZN7rocprim17ROCPRIM_400000_NS6detail17trampoline_kernelINS0_14default_configENS1_25partition_config_selectorILNS1_17partition_subalgoE6EN6thrust23THRUST_200600_302600_NS5tupleIffNS7_9null_typeES9_S9_S9_S9_S9_S9_S9_EENS0_10empty_typeEbEEZZNS1_14partition_implILS5_6ELb0ES3_mNS7_12zip_iteratorINS8_INS7_6detail15normal_iteratorINS7_10device_ptrIfEEEESJ_S9_S9_S9_S9_S9_S9_S9_S9_EEEEPSB_SM_NS0_5tupleIJNSE_INS8_ISJ_NS7_16discard_iteratorINS7_11use_defaultEEES9_S9_S9_S9_S9_S9_S9_S9_EEEESB_EEENSN_IJSM_SM_EEESB_PlJNSF_9not_fun_tINSF_14equal_to_valueISA_EEEEEEE10hipError_tPvRmT3_T4_T5_T6_T7_T9_mT8_P12ihipStream_tbDpT10_ENKUlT_T0_E_clISt17integral_constantIbLb0EES1I_IbLb1EEEEDaS1E_S1F_EUlS1E_E_NS1_11comp_targetILNS1_3genE0ELNS1_11target_archE4294967295ELNS1_3gpuE0ELNS1_3repE0EEENS1_30default_config_static_selectorELNS0_4arch9wavefront6targetE0EEEvT1_.numbered_sgpr, 0
	.set _ZN7rocprim17ROCPRIM_400000_NS6detail17trampoline_kernelINS0_14default_configENS1_25partition_config_selectorILNS1_17partition_subalgoE6EN6thrust23THRUST_200600_302600_NS5tupleIffNS7_9null_typeES9_S9_S9_S9_S9_S9_S9_EENS0_10empty_typeEbEEZZNS1_14partition_implILS5_6ELb0ES3_mNS7_12zip_iteratorINS8_INS7_6detail15normal_iteratorINS7_10device_ptrIfEEEESJ_S9_S9_S9_S9_S9_S9_S9_S9_EEEEPSB_SM_NS0_5tupleIJNSE_INS8_ISJ_NS7_16discard_iteratorINS7_11use_defaultEEES9_S9_S9_S9_S9_S9_S9_S9_EEEESB_EEENSN_IJSM_SM_EEESB_PlJNSF_9not_fun_tINSF_14equal_to_valueISA_EEEEEEE10hipError_tPvRmT3_T4_T5_T6_T7_T9_mT8_P12ihipStream_tbDpT10_ENKUlT_T0_E_clISt17integral_constantIbLb0EES1I_IbLb1EEEEDaS1E_S1F_EUlS1E_E_NS1_11comp_targetILNS1_3genE0ELNS1_11target_archE4294967295ELNS1_3gpuE0ELNS1_3repE0EEENS1_30default_config_static_selectorELNS0_4arch9wavefront6targetE0EEEvT1_.num_named_barrier, 0
	.set _ZN7rocprim17ROCPRIM_400000_NS6detail17trampoline_kernelINS0_14default_configENS1_25partition_config_selectorILNS1_17partition_subalgoE6EN6thrust23THRUST_200600_302600_NS5tupleIffNS7_9null_typeES9_S9_S9_S9_S9_S9_S9_EENS0_10empty_typeEbEEZZNS1_14partition_implILS5_6ELb0ES3_mNS7_12zip_iteratorINS8_INS7_6detail15normal_iteratorINS7_10device_ptrIfEEEESJ_S9_S9_S9_S9_S9_S9_S9_S9_EEEEPSB_SM_NS0_5tupleIJNSE_INS8_ISJ_NS7_16discard_iteratorINS7_11use_defaultEEES9_S9_S9_S9_S9_S9_S9_S9_EEEESB_EEENSN_IJSM_SM_EEESB_PlJNSF_9not_fun_tINSF_14equal_to_valueISA_EEEEEEE10hipError_tPvRmT3_T4_T5_T6_T7_T9_mT8_P12ihipStream_tbDpT10_ENKUlT_T0_E_clISt17integral_constantIbLb0EES1I_IbLb1EEEEDaS1E_S1F_EUlS1E_E_NS1_11comp_targetILNS1_3genE0ELNS1_11target_archE4294967295ELNS1_3gpuE0ELNS1_3repE0EEENS1_30default_config_static_selectorELNS0_4arch9wavefront6targetE0EEEvT1_.private_seg_size, 0
	.set _ZN7rocprim17ROCPRIM_400000_NS6detail17trampoline_kernelINS0_14default_configENS1_25partition_config_selectorILNS1_17partition_subalgoE6EN6thrust23THRUST_200600_302600_NS5tupleIffNS7_9null_typeES9_S9_S9_S9_S9_S9_S9_EENS0_10empty_typeEbEEZZNS1_14partition_implILS5_6ELb0ES3_mNS7_12zip_iteratorINS8_INS7_6detail15normal_iteratorINS7_10device_ptrIfEEEESJ_S9_S9_S9_S9_S9_S9_S9_S9_EEEEPSB_SM_NS0_5tupleIJNSE_INS8_ISJ_NS7_16discard_iteratorINS7_11use_defaultEEES9_S9_S9_S9_S9_S9_S9_S9_EEEESB_EEENSN_IJSM_SM_EEESB_PlJNSF_9not_fun_tINSF_14equal_to_valueISA_EEEEEEE10hipError_tPvRmT3_T4_T5_T6_T7_T9_mT8_P12ihipStream_tbDpT10_ENKUlT_T0_E_clISt17integral_constantIbLb0EES1I_IbLb1EEEEDaS1E_S1F_EUlS1E_E_NS1_11comp_targetILNS1_3genE0ELNS1_11target_archE4294967295ELNS1_3gpuE0ELNS1_3repE0EEENS1_30default_config_static_selectorELNS0_4arch9wavefront6targetE0EEEvT1_.uses_vcc, 0
	.set _ZN7rocprim17ROCPRIM_400000_NS6detail17trampoline_kernelINS0_14default_configENS1_25partition_config_selectorILNS1_17partition_subalgoE6EN6thrust23THRUST_200600_302600_NS5tupleIffNS7_9null_typeES9_S9_S9_S9_S9_S9_S9_EENS0_10empty_typeEbEEZZNS1_14partition_implILS5_6ELb0ES3_mNS7_12zip_iteratorINS8_INS7_6detail15normal_iteratorINS7_10device_ptrIfEEEESJ_S9_S9_S9_S9_S9_S9_S9_S9_EEEEPSB_SM_NS0_5tupleIJNSE_INS8_ISJ_NS7_16discard_iteratorINS7_11use_defaultEEES9_S9_S9_S9_S9_S9_S9_S9_EEEESB_EEENSN_IJSM_SM_EEESB_PlJNSF_9not_fun_tINSF_14equal_to_valueISA_EEEEEEE10hipError_tPvRmT3_T4_T5_T6_T7_T9_mT8_P12ihipStream_tbDpT10_ENKUlT_T0_E_clISt17integral_constantIbLb0EES1I_IbLb1EEEEDaS1E_S1F_EUlS1E_E_NS1_11comp_targetILNS1_3genE0ELNS1_11target_archE4294967295ELNS1_3gpuE0ELNS1_3repE0EEENS1_30default_config_static_selectorELNS0_4arch9wavefront6targetE0EEEvT1_.uses_flat_scratch, 0
	.set _ZN7rocprim17ROCPRIM_400000_NS6detail17trampoline_kernelINS0_14default_configENS1_25partition_config_selectorILNS1_17partition_subalgoE6EN6thrust23THRUST_200600_302600_NS5tupleIffNS7_9null_typeES9_S9_S9_S9_S9_S9_S9_EENS0_10empty_typeEbEEZZNS1_14partition_implILS5_6ELb0ES3_mNS7_12zip_iteratorINS8_INS7_6detail15normal_iteratorINS7_10device_ptrIfEEEESJ_S9_S9_S9_S9_S9_S9_S9_S9_EEEEPSB_SM_NS0_5tupleIJNSE_INS8_ISJ_NS7_16discard_iteratorINS7_11use_defaultEEES9_S9_S9_S9_S9_S9_S9_S9_EEEESB_EEENSN_IJSM_SM_EEESB_PlJNSF_9not_fun_tINSF_14equal_to_valueISA_EEEEEEE10hipError_tPvRmT3_T4_T5_T6_T7_T9_mT8_P12ihipStream_tbDpT10_ENKUlT_T0_E_clISt17integral_constantIbLb0EES1I_IbLb1EEEEDaS1E_S1F_EUlS1E_E_NS1_11comp_targetILNS1_3genE0ELNS1_11target_archE4294967295ELNS1_3gpuE0ELNS1_3repE0EEENS1_30default_config_static_selectorELNS0_4arch9wavefront6targetE0EEEvT1_.has_dyn_sized_stack, 0
	.set _ZN7rocprim17ROCPRIM_400000_NS6detail17trampoline_kernelINS0_14default_configENS1_25partition_config_selectorILNS1_17partition_subalgoE6EN6thrust23THRUST_200600_302600_NS5tupleIffNS7_9null_typeES9_S9_S9_S9_S9_S9_S9_EENS0_10empty_typeEbEEZZNS1_14partition_implILS5_6ELb0ES3_mNS7_12zip_iteratorINS8_INS7_6detail15normal_iteratorINS7_10device_ptrIfEEEESJ_S9_S9_S9_S9_S9_S9_S9_S9_EEEEPSB_SM_NS0_5tupleIJNSE_INS8_ISJ_NS7_16discard_iteratorINS7_11use_defaultEEES9_S9_S9_S9_S9_S9_S9_S9_EEEESB_EEENSN_IJSM_SM_EEESB_PlJNSF_9not_fun_tINSF_14equal_to_valueISA_EEEEEEE10hipError_tPvRmT3_T4_T5_T6_T7_T9_mT8_P12ihipStream_tbDpT10_ENKUlT_T0_E_clISt17integral_constantIbLb0EES1I_IbLb1EEEEDaS1E_S1F_EUlS1E_E_NS1_11comp_targetILNS1_3genE0ELNS1_11target_archE4294967295ELNS1_3gpuE0ELNS1_3repE0EEENS1_30default_config_static_selectorELNS0_4arch9wavefront6targetE0EEEvT1_.has_recursion, 0
	.set _ZN7rocprim17ROCPRIM_400000_NS6detail17trampoline_kernelINS0_14default_configENS1_25partition_config_selectorILNS1_17partition_subalgoE6EN6thrust23THRUST_200600_302600_NS5tupleIffNS7_9null_typeES9_S9_S9_S9_S9_S9_S9_EENS0_10empty_typeEbEEZZNS1_14partition_implILS5_6ELb0ES3_mNS7_12zip_iteratorINS8_INS7_6detail15normal_iteratorINS7_10device_ptrIfEEEESJ_S9_S9_S9_S9_S9_S9_S9_S9_EEEEPSB_SM_NS0_5tupleIJNSE_INS8_ISJ_NS7_16discard_iteratorINS7_11use_defaultEEES9_S9_S9_S9_S9_S9_S9_S9_EEEESB_EEENSN_IJSM_SM_EEESB_PlJNSF_9not_fun_tINSF_14equal_to_valueISA_EEEEEEE10hipError_tPvRmT3_T4_T5_T6_T7_T9_mT8_P12ihipStream_tbDpT10_ENKUlT_T0_E_clISt17integral_constantIbLb0EES1I_IbLb1EEEEDaS1E_S1F_EUlS1E_E_NS1_11comp_targetILNS1_3genE0ELNS1_11target_archE4294967295ELNS1_3gpuE0ELNS1_3repE0EEENS1_30default_config_static_selectorELNS0_4arch9wavefront6targetE0EEEvT1_.has_indirect_call, 0
	.section	.AMDGPU.csdata,"",@progbits
; Kernel info:
; codeLenInByte = 0
; TotalNumSgprs: 0
; NumVgprs: 0
; ScratchSize: 0
; MemoryBound: 0
; FloatMode: 240
; IeeeMode: 1
; LDSByteSize: 0 bytes/workgroup (compile time only)
; SGPRBlocks: 0
; VGPRBlocks: 0
; NumSGPRsForWavesPerEU: 1
; NumVGPRsForWavesPerEU: 1
; Occupancy: 16
; WaveLimiterHint : 0
; COMPUTE_PGM_RSRC2:SCRATCH_EN: 0
; COMPUTE_PGM_RSRC2:USER_SGPR: 2
; COMPUTE_PGM_RSRC2:TRAP_HANDLER: 0
; COMPUTE_PGM_RSRC2:TGID_X_EN: 1
; COMPUTE_PGM_RSRC2:TGID_Y_EN: 0
; COMPUTE_PGM_RSRC2:TGID_Z_EN: 0
; COMPUTE_PGM_RSRC2:TIDIG_COMP_CNT: 0
	.section	.text._ZN7rocprim17ROCPRIM_400000_NS6detail17trampoline_kernelINS0_14default_configENS1_25partition_config_selectorILNS1_17partition_subalgoE6EN6thrust23THRUST_200600_302600_NS5tupleIffNS7_9null_typeES9_S9_S9_S9_S9_S9_S9_EENS0_10empty_typeEbEEZZNS1_14partition_implILS5_6ELb0ES3_mNS7_12zip_iteratorINS8_INS7_6detail15normal_iteratorINS7_10device_ptrIfEEEESJ_S9_S9_S9_S9_S9_S9_S9_S9_EEEEPSB_SM_NS0_5tupleIJNSE_INS8_ISJ_NS7_16discard_iteratorINS7_11use_defaultEEES9_S9_S9_S9_S9_S9_S9_S9_EEEESB_EEENSN_IJSM_SM_EEESB_PlJNSF_9not_fun_tINSF_14equal_to_valueISA_EEEEEEE10hipError_tPvRmT3_T4_T5_T6_T7_T9_mT8_P12ihipStream_tbDpT10_ENKUlT_T0_E_clISt17integral_constantIbLb0EES1I_IbLb1EEEEDaS1E_S1F_EUlS1E_E_NS1_11comp_targetILNS1_3genE5ELNS1_11target_archE942ELNS1_3gpuE9ELNS1_3repE0EEENS1_30default_config_static_selectorELNS0_4arch9wavefront6targetE0EEEvT1_,"axG",@progbits,_ZN7rocprim17ROCPRIM_400000_NS6detail17trampoline_kernelINS0_14default_configENS1_25partition_config_selectorILNS1_17partition_subalgoE6EN6thrust23THRUST_200600_302600_NS5tupleIffNS7_9null_typeES9_S9_S9_S9_S9_S9_S9_EENS0_10empty_typeEbEEZZNS1_14partition_implILS5_6ELb0ES3_mNS7_12zip_iteratorINS8_INS7_6detail15normal_iteratorINS7_10device_ptrIfEEEESJ_S9_S9_S9_S9_S9_S9_S9_S9_EEEEPSB_SM_NS0_5tupleIJNSE_INS8_ISJ_NS7_16discard_iteratorINS7_11use_defaultEEES9_S9_S9_S9_S9_S9_S9_S9_EEEESB_EEENSN_IJSM_SM_EEESB_PlJNSF_9not_fun_tINSF_14equal_to_valueISA_EEEEEEE10hipError_tPvRmT3_T4_T5_T6_T7_T9_mT8_P12ihipStream_tbDpT10_ENKUlT_T0_E_clISt17integral_constantIbLb0EES1I_IbLb1EEEEDaS1E_S1F_EUlS1E_E_NS1_11comp_targetILNS1_3genE5ELNS1_11target_archE942ELNS1_3gpuE9ELNS1_3repE0EEENS1_30default_config_static_selectorELNS0_4arch9wavefront6targetE0EEEvT1_,comdat
	.protected	_ZN7rocprim17ROCPRIM_400000_NS6detail17trampoline_kernelINS0_14default_configENS1_25partition_config_selectorILNS1_17partition_subalgoE6EN6thrust23THRUST_200600_302600_NS5tupleIffNS7_9null_typeES9_S9_S9_S9_S9_S9_S9_EENS0_10empty_typeEbEEZZNS1_14partition_implILS5_6ELb0ES3_mNS7_12zip_iteratorINS8_INS7_6detail15normal_iteratorINS7_10device_ptrIfEEEESJ_S9_S9_S9_S9_S9_S9_S9_S9_EEEEPSB_SM_NS0_5tupleIJNSE_INS8_ISJ_NS7_16discard_iteratorINS7_11use_defaultEEES9_S9_S9_S9_S9_S9_S9_S9_EEEESB_EEENSN_IJSM_SM_EEESB_PlJNSF_9not_fun_tINSF_14equal_to_valueISA_EEEEEEE10hipError_tPvRmT3_T4_T5_T6_T7_T9_mT8_P12ihipStream_tbDpT10_ENKUlT_T0_E_clISt17integral_constantIbLb0EES1I_IbLb1EEEEDaS1E_S1F_EUlS1E_E_NS1_11comp_targetILNS1_3genE5ELNS1_11target_archE942ELNS1_3gpuE9ELNS1_3repE0EEENS1_30default_config_static_selectorELNS0_4arch9wavefront6targetE0EEEvT1_ ; -- Begin function _ZN7rocprim17ROCPRIM_400000_NS6detail17trampoline_kernelINS0_14default_configENS1_25partition_config_selectorILNS1_17partition_subalgoE6EN6thrust23THRUST_200600_302600_NS5tupleIffNS7_9null_typeES9_S9_S9_S9_S9_S9_S9_EENS0_10empty_typeEbEEZZNS1_14partition_implILS5_6ELb0ES3_mNS7_12zip_iteratorINS8_INS7_6detail15normal_iteratorINS7_10device_ptrIfEEEESJ_S9_S9_S9_S9_S9_S9_S9_S9_EEEEPSB_SM_NS0_5tupleIJNSE_INS8_ISJ_NS7_16discard_iteratorINS7_11use_defaultEEES9_S9_S9_S9_S9_S9_S9_S9_EEEESB_EEENSN_IJSM_SM_EEESB_PlJNSF_9not_fun_tINSF_14equal_to_valueISA_EEEEEEE10hipError_tPvRmT3_T4_T5_T6_T7_T9_mT8_P12ihipStream_tbDpT10_ENKUlT_T0_E_clISt17integral_constantIbLb0EES1I_IbLb1EEEEDaS1E_S1F_EUlS1E_E_NS1_11comp_targetILNS1_3genE5ELNS1_11target_archE942ELNS1_3gpuE9ELNS1_3repE0EEENS1_30default_config_static_selectorELNS0_4arch9wavefront6targetE0EEEvT1_
	.globl	_ZN7rocprim17ROCPRIM_400000_NS6detail17trampoline_kernelINS0_14default_configENS1_25partition_config_selectorILNS1_17partition_subalgoE6EN6thrust23THRUST_200600_302600_NS5tupleIffNS7_9null_typeES9_S9_S9_S9_S9_S9_S9_EENS0_10empty_typeEbEEZZNS1_14partition_implILS5_6ELb0ES3_mNS7_12zip_iteratorINS8_INS7_6detail15normal_iteratorINS7_10device_ptrIfEEEESJ_S9_S9_S9_S9_S9_S9_S9_S9_EEEEPSB_SM_NS0_5tupleIJNSE_INS8_ISJ_NS7_16discard_iteratorINS7_11use_defaultEEES9_S9_S9_S9_S9_S9_S9_S9_EEEESB_EEENSN_IJSM_SM_EEESB_PlJNSF_9not_fun_tINSF_14equal_to_valueISA_EEEEEEE10hipError_tPvRmT3_T4_T5_T6_T7_T9_mT8_P12ihipStream_tbDpT10_ENKUlT_T0_E_clISt17integral_constantIbLb0EES1I_IbLb1EEEEDaS1E_S1F_EUlS1E_E_NS1_11comp_targetILNS1_3genE5ELNS1_11target_archE942ELNS1_3gpuE9ELNS1_3repE0EEENS1_30default_config_static_selectorELNS0_4arch9wavefront6targetE0EEEvT1_
	.p2align	8
	.type	_ZN7rocprim17ROCPRIM_400000_NS6detail17trampoline_kernelINS0_14default_configENS1_25partition_config_selectorILNS1_17partition_subalgoE6EN6thrust23THRUST_200600_302600_NS5tupleIffNS7_9null_typeES9_S9_S9_S9_S9_S9_S9_EENS0_10empty_typeEbEEZZNS1_14partition_implILS5_6ELb0ES3_mNS7_12zip_iteratorINS8_INS7_6detail15normal_iteratorINS7_10device_ptrIfEEEESJ_S9_S9_S9_S9_S9_S9_S9_S9_EEEEPSB_SM_NS0_5tupleIJNSE_INS8_ISJ_NS7_16discard_iteratorINS7_11use_defaultEEES9_S9_S9_S9_S9_S9_S9_S9_EEEESB_EEENSN_IJSM_SM_EEESB_PlJNSF_9not_fun_tINSF_14equal_to_valueISA_EEEEEEE10hipError_tPvRmT3_T4_T5_T6_T7_T9_mT8_P12ihipStream_tbDpT10_ENKUlT_T0_E_clISt17integral_constantIbLb0EES1I_IbLb1EEEEDaS1E_S1F_EUlS1E_E_NS1_11comp_targetILNS1_3genE5ELNS1_11target_archE942ELNS1_3gpuE9ELNS1_3repE0EEENS1_30default_config_static_selectorELNS0_4arch9wavefront6targetE0EEEvT1_,@function
_ZN7rocprim17ROCPRIM_400000_NS6detail17trampoline_kernelINS0_14default_configENS1_25partition_config_selectorILNS1_17partition_subalgoE6EN6thrust23THRUST_200600_302600_NS5tupleIffNS7_9null_typeES9_S9_S9_S9_S9_S9_S9_EENS0_10empty_typeEbEEZZNS1_14partition_implILS5_6ELb0ES3_mNS7_12zip_iteratorINS8_INS7_6detail15normal_iteratorINS7_10device_ptrIfEEEESJ_S9_S9_S9_S9_S9_S9_S9_S9_EEEEPSB_SM_NS0_5tupleIJNSE_INS8_ISJ_NS7_16discard_iteratorINS7_11use_defaultEEES9_S9_S9_S9_S9_S9_S9_S9_EEEESB_EEENSN_IJSM_SM_EEESB_PlJNSF_9not_fun_tINSF_14equal_to_valueISA_EEEEEEE10hipError_tPvRmT3_T4_T5_T6_T7_T9_mT8_P12ihipStream_tbDpT10_ENKUlT_T0_E_clISt17integral_constantIbLb0EES1I_IbLb1EEEEDaS1E_S1F_EUlS1E_E_NS1_11comp_targetILNS1_3genE5ELNS1_11target_archE942ELNS1_3gpuE9ELNS1_3repE0EEENS1_30default_config_static_selectorELNS0_4arch9wavefront6targetE0EEEvT1_: ; @_ZN7rocprim17ROCPRIM_400000_NS6detail17trampoline_kernelINS0_14default_configENS1_25partition_config_selectorILNS1_17partition_subalgoE6EN6thrust23THRUST_200600_302600_NS5tupleIffNS7_9null_typeES9_S9_S9_S9_S9_S9_S9_EENS0_10empty_typeEbEEZZNS1_14partition_implILS5_6ELb0ES3_mNS7_12zip_iteratorINS8_INS7_6detail15normal_iteratorINS7_10device_ptrIfEEEESJ_S9_S9_S9_S9_S9_S9_S9_S9_EEEEPSB_SM_NS0_5tupleIJNSE_INS8_ISJ_NS7_16discard_iteratorINS7_11use_defaultEEES9_S9_S9_S9_S9_S9_S9_S9_EEEESB_EEENSN_IJSM_SM_EEESB_PlJNSF_9not_fun_tINSF_14equal_to_valueISA_EEEEEEE10hipError_tPvRmT3_T4_T5_T6_T7_T9_mT8_P12ihipStream_tbDpT10_ENKUlT_T0_E_clISt17integral_constantIbLb0EES1I_IbLb1EEEEDaS1E_S1F_EUlS1E_E_NS1_11comp_targetILNS1_3genE5ELNS1_11target_archE942ELNS1_3gpuE9ELNS1_3repE0EEENS1_30default_config_static_selectorELNS0_4arch9wavefront6targetE0EEEvT1_
; %bb.0:
	.section	.rodata,"a",@progbits
	.p2align	6, 0x0
	.amdhsa_kernel _ZN7rocprim17ROCPRIM_400000_NS6detail17trampoline_kernelINS0_14default_configENS1_25partition_config_selectorILNS1_17partition_subalgoE6EN6thrust23THRUST_200600_302600_NS5tupleIffNS7_9null_typeES9_S9_S9_S9_S9_S9_S9_EENS0_10empty_typeEbEEZZNS1_14partition_implILS5_6ELb0ES3_mNS7_12zip_iteratorINS8_INS7_6detail15normal_iteratorINS7_10device_ptrIfEEEESJ_S9_S9_S9_S9_S9_S9_S9_S9_EEEEPSB_SM_NS0_5tupleIJNSE_INS8_ISJ_NS7_16discard_iteratorINS7_11use_defaultEEES9_S9_S9_S9_S9_S9_S9_S9_EEEESB_EEENSN_IJSM_SM_EEESB_PlJNSF_9not_fun_tINSF_14equal_to_valueISA_EEEEEEE10hipError_tPvRmT3_T4_T5_T6_T7_T9_mT8_P12ihipStream_tbDpT10_ENKUlT_T0_E_clISt17integral_constantIbLb0EES1I_IbLb1EEEEDaS1E_S1F_EUlS1E_E_NS1_11comp_targetILNS1_3genE5ELNS1_11target_archE942ELNS1_3gpuE9ELNS1_3repE0EEENS1_30default_config_static_selectorELNS0_4arch9wavefront6targetE0EEEvT1_
		.amdhsa_group_segment_fixed_size 0
		.amdhsa_private_segment_fixed_size 0
		.amdhsa_kernarg_size 152
		.amdhsa_user_sgpr_count 2
		.amdhsa_user_sgpr_dispatch_ptr 0
		.amdhsa_user_sgpr_queue_ptr 0
		.amdhsa_user_sgpr_kernarg_segment_ptr 1
		.amdhsa_user_sgpr_dispatch_id 0
		.amdhsa_user_sgpr_private_segment_size 0
		.amdhsa_wavefront_size32 1
		.amdhsa_uses_dynamic_stack 0
		.amdhsa_enable_private_segment 0
		.amdhsa_system_sgpr_workgroup_id_x 1
		.amdhsa_system_sgpr_workgroup_id_y 0
		.amdhsa_system_sgpr_workgroup_id_z 0
		.amdhsa_system_sgpr_workgroup_info 0
		.amdhsa_system_vgpr_workitem_id 0
		.amdhsa_next_free_vgpr 1
		.amdhsa_next_free_sgpr 1
		.amdhsa_reserve_vcc 0
		.amdhsa_float_round_mode_32 0
		.amdhsa_float_round_mode_16_64 0
		.amdhsa_float_denorm_mode_32 3
		.amdhsa_float_denorm_mode_16_64 3
		.amdhsa_fp16_overflow 0
		.amdhsa_workgroup_processor_mode 1
		.amdhsa_memory_ordered 1
		.amdhsa_forward_progress 1
		.amdhsa_inst_pref_size 0
		.amdhsa_round_robin_scheduling 0
		.amdhsa_exception_fp_ieee_invalid_op 0
		.amdhsa_exception_fp_denorm_src 0
		.amdhsa_exception_fp_ieee_div_zero 0
		.amdhsa_exception_fp_ieee_overflow 0
		.amdhsa_exception_fp_ieee_underflow 0
		.amdhsa_exception_fp_ieee_inexact 0
		.amdhsa_exception_int_div_zero 0
	.end_amdhsa_kernel
	.section	.text._ZN7rocprim17ROCPRIM_400000_NS6detail17trampoline_kernelINS0_14default_configENS1_25partition_config_selectorILNS1_17partition_subalgoE6EN6thrust23THRUST_200600_302600_NS5tupleIffNS7_9null_typeES9_S9_S9_S9_S9_S9_S9_EENS0_10empty_typeEbEEZZNS1_14partition_implILS5_6ELb0ES3_mNS7_12zip_iteratorINS8_INS7_6detail15normal_iteratorINS7_10device_ptrIfEEEESJ_S9_S9_S9_S9_S9_S9_S9_S9_EEEEPSB_SM_NS0_5tupleIJNSE_INS8_ISJ_NS7_16discard_iteratorINS7_11use_defaultEEES9_S9_S9_S9_S9_S9_S9_S9_EEEESB_EEENSN_IJSM_SM_EEESB_PlJNSF_9not_fun_tINSF_14equal_to_valueISA_EEEEEEE10hipError_tPvRmT3_T4_T5_T6_T7_T9_mT8_P12ihipStream_tbDpT10_ENKUlT_T0_E_clISt17integral_constantIbLb0EES1I_IbLb1EEEEDaS1E_S1F_EUlS1E_E_NS1_11comp_targetILNS1_3genE5ELNS1_11target_archE942ELNS1_3gpuE9ELNS1_3repE0EEENS1_30default_config_static_selectorELNS0_4arch9wavefront6targetE0EEEvT1_,"axG",@progbits,_ZN7rocprim17ROCPRIM_400000_NS6detail17trampoline_kernelINS0_14default_configENS1_25partition_config_selectorILNS1_17partition_subalgoE6EN6thrust23THRUST_200600_302600_NS5tupleIffNS7_9null_typeES9_S9_S9_S9_S9_S9_S9_EENS0_10empty_typeEbEEZZNS1_14partition_implILS5_6ELb0ES3_mNS7_12zip_iteratorINS8_INS7_6detail15normal_iteratorINS7_10device_ptrIfEEEESJ_S9_S9_S9_S9_S9_S9_S9_S9_EEEEPSB_SM_NS0_5tupleIJNSE_INS8_ISJ_NS7_16discard_iteratorINS7_11use_defaultEEES9_S9_S9_S9_S9_S9_S9_S9_EEEESB_EEENSN_IJSM_SM_EEESB_PlJNSF_9not_fun_tINSF_14equal_to_valueISA_EEEEEEE10hipError_tPvRmT3_T4_T5_T6_T7_T9_mT8_P12ihipStream_tbDpT10_ENKUlT_T0_E_clISt17integral_constantIbLb0EES1I_IbLb1EEEEDaS1E_S1F_EUlS1E_E_NS1_11comp_targetILNS1_3genE5ELNS1_11target_archE942ELNS1_3gpuE9ELNS1_3repE0EEENS1_30default_config_static_selectorELNS0_4arch9wavefront6targetE0EEEvT1_,comdat
.Lfunc_end1878:
	.size	_ZN7rocprim17ROCPRIM_400000_NS6detail17trampoline_kernelINS0_14default_configENS1_25partition_config_selectorILNS1_17partition_subalgoE6EN6thrust23THRUST_200600_302600_NS5tupleIffNS7_9null_typeES9_S9_S9_S9_S9_S9_S9_EENS0_10empty_typeEbEEZZNS1_14partition_implILS5_6ELb0ES3_mNS7_12zip_iteratorINS8_INS7_6detail15normal_iteratorINS7_10device_ptrIfEEEESJ_S9_S9_S9_S9_S9_S9_S9_S9_EEEEPSB_SM_NS0_5tupleIJNSE_INS8_ISJ_NS7_16discard_iteratorINS7_11use_defaultEEES9_S9_S9_S9_S9_S9_S9_S9_EEEESB_EEENSN_IJSM_SM_EEESB_PlJNSF_9not_fun_tINSF_14equal_to_valueISA_EEEEEEE10hipError_tPvRmT3_T4_T5_T6_T7_T9_mT8_P12ihipStream_tbDpT10_ENKUlT_T0_E_clISt17integral_constantIbLb0EES1I_IbLb1EEEEDaS1E_S1F_EUlS1E_E_NS1_11comp_targetILNS1_3genE5ELNS1_11target_archE942ELNS1_3gpuE9ELNS1_3repE0EEENS1_30default_config_static_selectorELNS0_4arch9wavefront6targetE0EEEvT1_, .Lfunc_end1878-_ZN7rocprim17ROCPRIM_400000_NS6detail17trampoline_kernelINS0_14default_configENS1_25partition_config_selectorILNS1_17partition_subalgoE6EN6thrust23THRUST_200600_302600_NS5tupleIffNS7_9null_typeES9_S9_S9_S9_S9_S9_S9_EENS0_10empty_typeEbEEZZNS1_14partition_implILS5_6ELb0ES3_mNS7_12zip_iteratorINS8_INS7_6detail15normal_iteratorINS7_10device_ptrIfEEEESJ_S9_S9_S9_S9_S9_S9_S9_S9_EEEEPSB_SM_NS0_5tupleIJNSE_INS8_ISJ_NS7_16discard_iteratorINS7_11use_defaultEEES9_S9_S9_S9_S9_S9_S9_S9_EEEESB_EEENSN_IJSM_SM_EEESB_PlJNSF_9not_fun_tINSF_14equal_to_valueISA_EEEEEEE10hipError_tPvRmT3_T4_T5_T6_T7_T9_mT8_P12ihipStream_tbDpT10_ENKUlT_T0_E_clISt17integral_constantIbLb0EES1I_IbLb1EEEEDaS1E_S1F_EUlS1E_E_NS1_11comp_targetILNS1_3genE5ELNS1_11target_archE942ELNS1_3gpuE9ELNS1_3repE0EEENS1_30default_config_static_selectorELNS0_4arch9wavefront6targetE0EEEvT1_
                                        ; -- End function
	.set _ZN7rocprim17ROCPRIM_400000_NS6detail17trampoline_kernelINS0_14default_configENS1_25partition_config_selectorILNS1_17partition_subalgoE6EN6thrust23THRUST_200600_302600_NS5tupleIffNS7_9null_typeES9_S9_S9_S9_S9_S9_S9_EENS0_10empty_typeEbEEZZNS1_14partition_implILS5_6ELb0ES3_mNS7_12zip_iteratorINS8_INS7_6detail15normal_iteratorINS7_10device_ptrIfEEEESJ_S9_S9_S9_S9_S9_S9_S9_S9_EEEEPSB_SM_NS0_5tupleIJNSE_INS8_ISJ_NS7_16discard_iteratorINS7_11use_defaultEEES9_S9_S9_S9_S9_S9_S9_S9_EEEESB_EEENSN_IJSM_SM_EEESB_PlJNSF_9not_fun_tINSF_14equal_to_valueISA_EEEEEEE10hipError_tPvRmT3_T4_T5_T6_T7_T9_mT8_P12ihipStream_tbDpT10_ENKUlT_T0_E_clISt17integral_constantIbLb0EES1I_IbLb1EEEEDaS1E_S1F_EUlS1E_E_NS1_11comp_targetILNS1_3genE5ELNS1_11target_archE942ELNS1_3gpuE9ELNS1_3repE0EEENS1_30default_config_static_selectorELNS0_4arch9wavefront6targetE0EEEvT1_.num_vgpr, 0
	.set _ZN7rocprim17ROCPRIM_400000_NS6detail17trampoline_kernelINS0_14default_configENS1_25partition_config_selectorILNS1_17partition_subalgoE6EN6thrust23THRUST_200600_302600_NS5tupleIffNS7_9null_typeES9_S9_S9_S9_S9_S9_S9_EENS0_10empty_typeEbEEZZNS1_14partition_implILS5_6ELb0ES3_mNS7_12zip_iteratorINS8_INS7_6detail15normal_iteratorINS7_10device_ptrIfEEEESJ_S9_S9_S9_S9_S9_S9_S9_S9_EEEEPSB_SM_NS0_5tupleIJNSE_INS8_ISJ_NS7_16discard_iteratorINS7_11use_defaultEEES9_S9_S9_S9_S9_S9_S9_S9_EEEESB_EEENSN_IJSM_SM_EEESB_PlJNSF_9not_fun_tINSF_14equal_to_valueISA_EEEEEEE10hipError_tPvRmT3_T4_T5_T6_T7_T9_mT8_P12ihipStream_tbDpT10_ENKUlT_T0_E_clISt17integral_constantIbLb0EES1I_IbLb1EEEEDaS1E_S1F_EUlS1E_E_NS1_11comp_targetILNS1_3genE5ELNS1_11target_archE942ELNS1_3gpuE9ELNS1_3repE0EEENS1_30default_config_static_selectorELNS0_4arch9wavefront6targetE0EEEvT1_.num_agpr, 0
	.set _ZN7rocprim17ROCPRIM_400000_NS6detail17trampoline_kernelINS0_14default_configENS1_25partition_config_selectorILNS1_17partition_subalgoE6EN6thrust23THRUST_200600_302600_NS5tupleIffNS7_9null_typeES9_S9_S9_S9_S9_S9_S9_EENS0_10empty_typeEbEEZZNS1_14partition_implILS5_6ELb0ES3_mNS7_12zip_iteratorINS8_INS7_6detail15normal_iteratorINS7_10device_ptrIfEEEESJ_S9_S9_S9_S9_S9_S9_S9_S9_EEEEPSB_SM_NS0_5tupleIJNSE_INS8_ISJ_NS7_16discard_iteratorINS7_11use_defaultEEES9_S9_S9_S9_S9_S9_S9_S9_EEEESB_EEENSN_IJSM_SM_EEESB_PlJNSF_9not_fun_tINSF_14equal_to_valueISA_EEEEEEE10hipError_tPvRmT3_T4_T5_T6_T7_T9_mT8_P12ihipStream_tbDpT10_ENKUlT_T0_E_clISt17integral_constantIbLb0EES1I_IbLb1EEEEDaS1E_S1F_EUlS1E_E_NS1_11comp_targetILNS1_3genE5ELNS1_11target_archE942ELNS1_3gpuE9ELNS1_3repE0EEENS1_30default_config_static_selectorELNS0_4arch9wavefront6targetE0EEEvT1_.numbered_sgpr, 0
	.set _ZN7rocprim17ROCPRIM_400000_NS6detail17trampoline_kernelINS0_14default_configENS1_25partition_config_selectorILNS1_17partition_subalgoE6EN6thrust23THRUST_200600_302600_NS5tupleIffNS7_9null_typeES9_S9_S9_S9_S9_S9_S9_EENS0_10empty_typeEbEEZZNS1_14partition_implILS5_6ELb0ES3_mNS7_12zip_iteratorINS8_INS7_6detail15normal_iteratorINS7_10device_ptrIfEEEESJ_S9_S9_S9_S9_S9_S9_S9_S9_EEEEPSB_SM_NS0_5tupleIJNSE_INS8_ISJ_NS7_16discard_iteratorINS7_11use_defaultEEES9_S9_S9_S9_S9_S9_S9_S9_EEEESB_EEENSN_IJSM_SM_EEESB_PlJNSF_9not_fun_tINSF_14equal_to_valueISA_EEEEEEE10hipError_tPvRmT3_T4_T5_T6_T7_T9_mT8_P12ihipStream_tbDpT10_ENKUlT_T0_E_clISt17integral_constantIbLb0EES1I_IbLb1EEEEDaS1E_S1F_EUlS1E_E_NS1_11comp_targetILNS1_3genE5ELNS1_11target_archE942ELNS1_3gpuE9ELNS1_3repE0EEENS1_30default_config_static_selectorELNS0_4arch9wavefront6targetE0EEEvT1_.num_named_barrier, 0
	.set _ZN7rocprim17ROCPRIM_400000_NS6detail17trampoline_kernelINS0_14default_configENS1_25partition_config_selectorILNS1_17partition_subalgoE6EN6thrust23THRUST_200600_302600_NS5tupleIffNS7_9null_typeES9_S9_S9_S9_S9_S9_S9_EENS0_10empty_typeEbEEZZNS1_14partition_implILS5_6ELb0ES3_mNS7_12zip_iteratorINS8_INS7_6detail15normal_iteratorINS7_10device_ptrIfEEEESJ_S9_S9_S9_S9_S9_S9_S9_S9_EEEEPSB_SM_NS0_5tupleIJNSE_INS8_ISJ_NS7_16discard_iteratorINS7_11use_defaultEEES9_S9_S9_S9_S9_S9_S9_S9_EEEESB_EEENSN_IJSM_SM_EEESB_PlJNSF_9not_fun_tINSF_14equal_to_valueISA_EEEEEEE10hipError_tPvRmT3_T4_T5_T6_T7_T9_mT8_P12ihipStream_tbDpT10_ENKUlT_T0_E_clISt17integral_constantIbLb0EES1I_IbLb1EEEEDaS1E_S1F_EUlS1E_E_NS1_11comp_targetILNS1_3genE5ELNS1_11target_archE942ELNS1_3gpuE9ELNS1_3repE0EEENS1_30default_config_static_selectorELNS0_4arch9wavefront6targetE0EEEvT1_.private_seg_size, 0
	.set _ZN7rocprim17ROCPRIM_400000_NS6detail17trampoline_kernelINS0_14default_configENS1_25partition_config_selectorILNS1_17partition_subalgoE6EN6thrust23THRUST_200600_302600_NS5tupleIffNS7_9null_typeES9_S9_S9_S9_S9_S9_S9_EENS0_10empty_typeEbEEZZNS1_14partition_implILS5_6ELb0ES3_mNS7_12zip_iteratorINS8_INS7_6detail15normal_iteratorINS7_10device_ptrIfEEEESJ_S9_S9_S9_S9_S9_S9_S9_S9_EEEEPSB_SM_NS0_5tupleIJNSE_INS8_ISJ_NS7_16discard_iteratorINS7_11use_defaultEEES9_S9_S9_S9_S9_S9_S9_S9_EEEESB_EEENSN_IJSM_SM_EEESB_PlJNSF_9not_fun_tINSF_14equal_to_valueISA_EEEEEEE10hipError_tPvRmT3_T4_T5_T6_T7_T9_mT8_P12ihipStream_tbDpT10_ENKUlT_T0_E_clISt17integral_constantIbLb0EES1I_IbLb1EEEEDaS1E_S1F_EUlS1E_E_NS1_11comp_targetILNS1_3genE5ELNS1_11target_archE942ELNS1_3gpuE9ELNS1_3repE0EEENS1_30default_config_static_selectorELNS0_4arch9wavefront6targetE0EEEvT1_.uses_vcc, 0
	.set _ZN7rocprim17ROCPRIM_400000_NS6detail17trampoline_kernelINS0_14default_configENS1_25partition_config_selectorILNS1_17partition_subalgoE6EN6thrust23THRUST_200600_302600_NS5tupleIffNS7_9null_typeES9_S9_S9_S9_S9_S9_S9_EENS0_10empty_typeEbEEZZNS1_14partition_implILS5_6ELb0ES3_mNS7_12zip_iteratorINS8_INS7_6detail15normal_iteratorINS7_10device_ptrIfEEEESJ_S9_S9_S9_S9_S9_S9_S9_S9_EEEEPSB_SM_NS0_5tupleIJNSE_INS8_ISJ_NS7_16discard_iteratorINS7_11use_defaultEEES9_S9_S9_S9_S9_S9_S9_S9_EEEESB_EEENSN_IJSM_SM_EEESB_PlJNSF_9not_fun_tINSF_14equal_to_valueISA_EEEEEEE10hipError_tPvRmT3_T4_T5_T6_T7_T9_mT8_P12ihipStream_tbDpT10_ENKUlT_T0_E_clISt17integral_constantIbLb0EES1I_IbLb1EEEEDaS1E_S1F_EUlS1E_E_NS1_11comp_targetILNS1_3genE5ELNS1_11target_archE942ELNS1_3gpuE9ELNS1_3repE0EEENS1_30default_config_static_selectorELNS0_4arch9wavefront6targetE0EEEvT1_.uses_flat_scratch, 0
	.set _ZN7rocprim17ROCPRIM_400000_NS6detail17trampoline_kernelINS0_14default_configENS1_25partition_config_selectorILNS1_17partition_subalgoE6EN6thrust23THRUST_200600_302600_NS5tupleIffNS7_9null_typeES9_S9_S9_S9_S9_S9_S9_EENS0_10empty_typeEbEEZZNS1_14partition_implILS5_6ELb0ES3_mNS7_12zip_iteratorINS8_INS7_6detail15normal_iteratorINS7_10device_ptrIfEEEESJ_S9_S9_S9_S9_S9_S9_S9_S9_EEEEPSB_SM_NS0_5tupleIJNSE_INS8_ISJ_NS7_16discard_iteratorINS7_11use_defaultEEES9_S9_S9_S9_S9_S9_S9_S9_EEEESB_EEENSN_IJSM_SM_EEESB_PlJNSF_9not_fun_tINSF_14equal_to_valueISA_EEEEEEE10hipError_tPvRmT3_T4_T5_T6_T7_T9_mT8_P12ihipStream_tbDpT10_ENKUlT_T0_E_clISt17integral_constantIbLb0EES1I_IbLb1EEEEDaS1E_S1F_EUlS1E_E_NS1_11comp_targetILNS1_3genE5ELNS1_11target_archE942ELNS1_3gpuE9ELNS1_3repE0EEENS1_30default_config_static_selectorELNS0_4arch9wavefront6targetE0EEEvT1_.has_dyn_sized_stack, 0
	.set _ZN7rocprim17ROCPRIM_400000_NS6detail17trampoline_kernelINS0_14default_configENS1_25partition_config_selectorILNS1_17partition_subalgoE6EN6thrust23THRUST_200600_302600_NS5tupleIffNS7_9null_typeES9_S9_S9_S9_S9_S9_S9_EENS0_10empty_typeEbEEZZNS1_14partition_implILS5_6ELb0ES3_mNS7_12zip_iteratorINS8_INS7_6detail15normal_iteratorINS7_10device_ptrIfEEEESJ_S9_S9_S9_S9_S9_S9_S9_S9_EEEEPSB_SM_NS0_5tupleIJNSE_INS8_ISJ_NS7_16discard_iteratorINS7_11use_defaultEEES9_S9_S9_S9_S9_S9_S9_S9_EEEESB_EEENSN_IJSM_SM_EEESB_PlJNSF_9not_fun_tINSF_14equal_to_valueISA_EEEEEEE10hipError_tPvRmT3_T4_T5_T6_T7_T9_mT8_P12ihipStream_tbDpT10_ENKUlT_T0_E_clISt17integral_constantIbLb0EES1I_IbLb1EEEEDaS1E_S1F_EUlS1E_E_NS1_11comp_targetILNS1_3genE5ELNS1_11target_archE942ELNS1_3gpuE9ELNS1_3repE0EEENS1_30default_config_static_selectorELNS0_4arch9wavefront6targetE0EEEvT1_.has_recursion, 0
	.set _ZN7rocprim17ROCPRIM_400000_NS6detail17trampoline_kernelINS0_14default_configENS1_25partition_config_selectorILNS1_17partition_subalgoE6EN6thrust23THRUST_200600_302600_NS5tupleIffNS7_9null_typeES9_S9_S9_S9_S9_S9_S9_EENS0_10empty_typeEbEEZZNS1_14partition_implILS5_6ELb0ES3_mNS7_12zip_iteratorINS8_INS7_6detail15normal_iteratorINS7_10device_ptrIfEEEESJ_S9_S9_S9_S9_S9_S9_S9_S9_EEEEPSB_SM_NS0_5tupleIJNSE_INS8_ISJ_NS7_16discard_iteratorINS7_11use_defaultEEES9_S9_S9_S9_S9_S9_S9_S9_EEEESB_EEENSN_IJSM_SM_EEESB_PlJNSF_9not_fun_tINSF_14equal_to_valueISA_EEEEEEE10hipError_tPvRmT3_T4_T5_T6_T7_T9_mT8_P12ihipStream_tbDpT10_ENKUlT_T0_E_clISt17integral_constantIbLb0EES1I_IbLb1EEEEDaS1E_S1F_EUlS1E_E_NS1_11comp_targetILNS1_3genE5ELNS1_11target_archE942ELNS1_3gpuE9ELNS1_3repE0EEENS1_30default_config_static_selectorELNS0_4arch9wavefront6targetE0EEEvT1_.has_indirect_call, 0
	.section	.AMDGPU.csdata,"",@progbits
; Kernel info:
; codeLenInByte = 0
; TotalNumSgprs: 0
; NumVgprs: 0
; ScratchSize: 0
; MemoryBound: 0
; FloatMode: 240
; IeeeMode: 1
; LDSByteSize: 0 bytes/workgroup (compile time only)
; SGPRBlocks: 0
; VGPRBlocks: 0
; NumSGPRsForWavesPerEU: 1
; NumVGPRsForWavesPerEU: 1
; Occupancy: 16
; WaveLimiterHint : 0
; COMPUTE_PGM_RSRC2:SCRATCH_EN: 0
; COMPUTE_PGM_RSRC2:USER_SGPR: 2
; COMPUTE_PGM_RSRC2:TRAP_HANDLER: 0
; COMPUTE_PGM_RSRC2:TGID_X_EN: 1
; COMPUTE_PGM_RSRC2:TGID_Y_EN: 0
; COMPUTE_PGM_RSRC2:TGID_Z_EN: 0
; COMPUTE_PGM_RSRC2:TIDIG_COMP_CNT: 0
	.section	.text._ZN7rocprim17ROCPRIM_400000_NS6detail17trampoline_kernelINS0_14default_configENS1_25partition_config_selectorILNS1_17partition_subalgoE6EN6thrust23THRUST_200600_302600_NS5tupleIffNS7_9null_typeES9_S9_S9_S9_S9_S9_S9_EENS0_10empty_typeEbEEZZNS1_14partition_implILS5_6ELb0ES3_mNS7_12zip_iteratorINS8_INS7_6detail15normal_iteratorINS7_10device_ptrIfEEEESJ_S9_S9_S9_S9_S9_S9_S9_S9_EEEEPSB_SM_NS0_5tupleIJNSE_INS8_ISJ_NS7_16discard_iteratorINS7_11use_defaultEEES9_S9_S9_S9_S9_S9_S9_S9_EEEESB_EEENSN_IJSM_SM_EEESB_PlJNSF_9not_fun_tINSF_14equal_to_valueISA_EEEEEEE10hipError_tPvRmT3_T4_T5_T6_T7_T9_mT8_P12ihipStream_tbDpT10_ENKUlT_T0_E_clISt17integral_constantIbLb0EES1I_IbLb1EEEEDaS1E_S1F_EUlS1E_E_NS1_11comp_targetILNS1_3genE4ELNS1_11target_archE910ELNS1_3gpuE8ELNS1_3repE0EEENS1_30default_config_static_selectorELNS0_4arch9wavefront6targetE0EEEvT1_,"axG",@progbits,_ZN7rocprim17ROCPRIM_400000_NS6detail17trampoline_kernelINS0_14default_configENS1_25partition_config_selectorILNS1_17partition_subalgoE6EN6thrust23THRUST_200600_302600_NS5tupleIffNS7_9null_typeES9_S9_S9_S9_S9_S9_S9_EENS0_10empty_typeEbEEZZNS1_14partition_implILS5_6ELb0ES3_mNS7_12zip_iteratorINS8_INS7_6detail15normal_iteratorINS7_10device_ptrIfEEEESJ_S9_S9_S9_S9_S9_S9_S9_S9_EEEEPSB_SM_NS0_5tupleIJNSE_INS8_ISJ_NS7_16discard_iteratorINS7_11use_defaultEEES9_S9_S9_S9_S9_S9_S9_S9_EEEESB_EEENSN_IJSM_SM_EEESB_PlJNSF_9not_fun_tINSF_14equal_to_valueISA_EEEEEEE10hipError_tPvRmT3_T4_T5_T6_T7_T9_mT8_P12ihipStream_tbDpT10_ENKUlT_T0_E_clISt17integral_constantIbLb0EES1I_IbLb1EEEEDaS1E_S1F_EUlS1E_E_NS1_11comp_targetILNS1_3genE4ELNS1_11target_archE910ELNS1_3gpuE8ELNS1_3repE0EEENS1_30default_config_static_selectorELNS0_4arch9wavefront6targetE0EEEvT1_,comdat
	.protected	_ZN7rocprim17ROCPRIM_400000_NS6detail17trampoline_kernelINS0_14default_configENS1_25partition_config_selectorILNS1_17partition_subalgoE6EN6thrust23THRUST_200600_302600_NS5tupleIffNS7_9null_typeES9_S9_S9_S9_S9_S9_S9_EENS0_10empty_typeEbEEZZNS1_14partition_implILS5_6ELb0ES3_mNS7_12zip_iteratorINS8_INS7_6detail15normal_iteratorINS7_10device_ptrIfEEEESJ_S9_S9_S9_S9_S9_S9_S9_S9_EEEEPSB_SM_NS0_5tupleIJNSE_INS8_ISJ_NS7_16discard_iteratorINS7_11use_defaultEEES9_S9_S9_S9_S9_S9_S9_S9_EEEESB_EEENSN_IJSM_SM_EEESB_PlJNSF_9not_fun_tINSF_14equal_to_valueISA_EEEEEEE10hipError_tPvRmT3_T4_T5_T6_T7_T9_mT8_P12ihipStream_tbDpT10_ENKUlT_T0_E_clISt17integral_constantIbLb0EES1I_IbLb1EEEEDaS1E_S1F_EUlS1E_E_NS1_11comp_targetILNS1_3genE4ELNS1_11target_archE910ELNS1_3gpuE8ELNS1_3repE0EEENS1_30default_config_static_selectorELNS0_4arch9wavefront6targetE0EEEvT1_ ; -- Begin function _ZN7rocprim17ROCPRIM_400000_NS6detail17trampoline_kernelINS0_14default_configENS1_25partition_config_selectorILNS1_17partition_subalgoE6EN6thrust23THRUST_200600_302600_NS5tupleIffNS7_9null_typeES9_S9_S9_S9_S9_S9_S9_EENS0_10empty_typeEbEEZZNS1_14partition_implILS5_6ELb0ES3_mNS7_12zip_iteratorINS8_INS7_6detail15normal_iteratorINS7_10device_ptrIfEEEESJ_S9_S9_S9_S9_S9_S9_S9_S9_EEEEPSB_SM_NS0_5tupleIJNSE_INS8_ISJ_NS7_16discard_iteratorINS7_11use_defaultEEES9_S9_S9_S9_S9_S9_S9_S9_EEEESB_EEENSN_IJSM_SM_EEESB_PlJNSF_9not_fun_tINSF_14equal_to_valueISA_EEEEEEE10hipError_tPvRmT3_T4_T5_T6_T7_T9_mT8_P12ihipStream_tbDpT10_ENKUlT_T0_E_clISt17integral_constantIbLb0EES1I_IbLb1EEEEDaS1E_S1F_EUlS1E_E_NS1_11comp_targetILNS1_3genE4ELNS1_11target_archE910ELNS1_3gpuE8ELNS1_3repE0EEENS1_30default_config_static_selectorELNS0_4arch9wavefront6targetE0EEEvT1_
	.globl	_ZN7rocprim17ROCPRIM_400000_NS6detail17trampoline_kernelINS0_14default_configENS1_25partition_config_selectorILNS1_17partition_subalgoE6EN6thrust23THRUST_200600_302600_NS5tupleIffNS7_9null_typeES9_S9_S9_S9_S9_S9_S9_EENS0_10empty_typeEbEEZZNS1_14partition_implILS5_6ELb0ES3_mNS7_12zip_iteratorINS8_INS7_6detail15normal_iteratorINS7_10device_ptrIfEEEESJ_S9_S9_S9_S9_S9_S9_S9_S9_EEEEPSB_SM_NS0_5tupleIJNSE_INS8_ISJ_NS7_16discard_iteratorINS7_11use_defaultEEES9_S9_S9_S9_S9_S9_S9_S9_EEEESB_EEENSN_IJSM_SM_EEESB_PlJNSF_9not_fun_tINSF_14equal_to_valueISA_EEEEEEE10hipError_tPvRmT3_T4_T5_T6_T7_T9_mT8_P12ihipStream_tbDpT10_ENKUlT_T0_E_clISt17integral_constantIbLb0EES1I_IbLb1EEEEDaS1E_S1F_EUlS1E_E_NS1_11comp_targetILNS1_3genE4ELNS1_11target_archE910ELNS1_3gpuE8ELNS1_3repE0EEENS1_30default_config_static_selectorELNS0_4arch9wavefront6targetE0EEEvT1_
	.p2align	8
	.type	_ZN7rocprim17ROCPRIM_400000_NS6detail17trampoline_kernelINS0_14default_configENS1_25partition_config_selectorILNS1_17partition_subalgoE6EN6thrust23THRUST_200600_302600_NS5tupleIffNS7_9null_typeES9_S9_S9_S9_S9_S9_S9_EENS0_10empty_typeEbEEZZNS1_14partition_implILS5_6ELb0ES3_mNS7_12zip_iteratorINS8_INS7_6detail15normal_iteratorINS7_10device_ptrIfEEEESJ_S9_S9_S9_S9_S9_S9_S9_S9_EEEEPSB_SM_NS0_5tupleIJNSE_INS8_ISJ_NS7_16discard_iteratorINS7_11use_defaultEEES9_S9_S9_S9_S9_S9_S9_S9_EEEESB_EEENSN_IJSM_SM_EEESB_PlJNSF_9not_fun_tINSF_14equal_to_valueISA_EEEEEEE10hipError_tPvRmT3_T4_T5_T6_T7_T9_mT8_P12ihipStream_tbDpT10_ENKUlT_T0_E_clISt17integral_constantIbLb0EES1I_IbLb1EEEEDaS1E_S1F_EUlS1E_E_NS1_11comp_targetILNS1_3genE4ELNS1_11target_archE910ELNS1_3gpuE8ELNS1_3repE0EEENS1_30default_config_static_selectorELNS0_4arch9wavefront6targetE0EEEvT1_,@function
_ZN7rocprim17ROCPRIM_400000_NS6detail17trampoline_kernelINS0_14default_configENS1_25partition_config_selectorILNS1_17partition_subalgoE6EN6thrust23THRUST_200600_302600_NS5tupleIffNS7_9null_typeES9_S9_S9_S9_S9_S9_S9_EENS0_10empty_typeEbEEZZNS1_14partition_implILS5_6ELb0ES3_mNS7_12zip_iteratorINS8_INS7_6detail15normal_iteratorINS7_10device_ptrIfEEEESJ_S9_S9_S9_S9_S9_S9_S9_S9_EEEEPSB_SM_NS0_5tupleIJNSE_INS8_ISJ_NS7_16discard_iteratorINS7_11use_defaultEEES9_S9_S9_S9_S9_S9_S9_S9_EEEESB_EEENSN_IJSM_SM_EEESB_PlJNSF_9not_fun_tINSF_14equal_to_valueISA_EEEEEEE10hipError_tPvRmT3_T4_T5_T6_T7_T9_mT8_P12ihipStream_tbDpT10_ENKUlT_T0_E_clISt17integral_constantIbLb0EES1I_IbLb1EEEEDaS1E_S1F_EUlS1E_E_NS1_11comp_targetILNS1_3genE4ELNS1_11target_archE910ELNS1_3gpuE8ELNS1_3repE0EEENS1_30default_config_static_selectorELNS0_4arch9wavefront6targetE0EEEvT1_: ; @_ZN7rocprim17ROCPRIM_400000_NS6detail17trampoline_kernelINS0_14default_configENS1_25partition_config_selectorILNS1_17partition_subalgoE6EN6thrust23THRUST_200600_302600_NS5tupleIffNS7_9null_typeES9_S9_S9_S9_S9_S9_S9_EENS0_10empty_typeEbEEZZNS1_14partition_implILS5_6ELb0ES3_mNS7_12zip_iteratorINS8_INS7_6detail15normal_iteratorINS7_10device_ptrIfEEEESJ_S9_S9_S9_S9_S9_S9_S9_S9_EEEEPSB_SM_NS0_5tupleIJNSE_INS8_ISJ_NS7_16discard_iteratorINS7_11use_defaultEEES9_S9_S9_S9_S9_S9_S9_S9_EEEESB_EEENSN_IJSM_SM_EEESB_PlJNSF_9not_fun_tINSF_14equal_to_valueISA_EEEEEEE10hipError_tPvRmT3_T4_T5_T6_T7_T9_mT8_P12ihipStream_tbDpT10_ENKUlT_T0_E_clISt17integral_constantIbLb0EES1I_IbLb1EEEEDaS1E_S1F_EUlS1E_E_NS1_11comp_targetILNS1_3genE4ELNS1_11target_archE910ELNS1_3gpuE8ELNS1_3repE0EEENS1_30default_config_static_selectorELNS0_4arch9wavefront6targetE0EEEvT1_
; %bb.0:
	.section	.rodata,"a",@progbits
	.p2align	6, 0x0
	.amdhsa_kernel _ZN7rocprim17ROCPRIM_400000_NS6detail17trampoline_kernelINS0_14default_configENS1_25partition_config_selectorILNS1_17partition_subalgoE6EN6thrust23THRUST_200600_302600_NS5tupleIffNS7_9null_typeES9_S9_S9_S9_S9_S9_S9_EENS0_10empty_typeEbEEZZNS1_14partition_implILS5_6ELb0ES3_mNS7_12zip_iteratorINS8_INS7_6detail15normal_iteratorINS7_10device_ptrIfEEEESJ_S9_S9_S9_S9_S9_S9_S9_S9_EEEEPSB_SM_NS0_5tupleIJNSE_INS8_ISJ_NS7_16discard_iteratorINS7_11use_defaultEEES9_S9_S9_S9_S9_S9_S9_S9_EEEESB_EEENSN_IJSM_SM_EEESB_PlJNSF_9not_fun_tINSF_14equal_to_valueISA_EEEEEEE10hipError_tPvRmT3_T4_T5_T6_T7_T9_mT8_P12ihipStream_tbDpT10_ENKUlT_T0_E_clISt17integral_constantIbLb0EES1I_IbLb1EEEEDaS1E_S1F_EUlS1E_E_NS1_11comp_targetILNS1_3genE4ELNS1_11target_archE910ELNS1_3gpuE8ELNS1_3repE0EEENS1_30default_config_static_selectorELNS0_4arch9wavefront6targetE0EEEvT1_
		.amdhsa_group_segment_fixed_size 0
		.amdhsa_private_segment_fixed_size 0
		.amdhsa_kernarg_size 152
		.amdhsa_user_sgpr_count 2
		.amdhsa_user_sgpr_dispatch_ptr 0
		.amdhsa_user_sgpr_queue_ptr 0
		.amdhsa_user_sgpr_kernarg_segment_ptr 1
		.amdhsa_user_sgpr_dispatch_id 0
		.amdhsa_user_sgpr_private_segment_size 0
		.amdhsa_wavefront_size32 1
		.amdhsa_uses_dynamic_stack 0
		.amdhsa_enable_private_segment 0
		.amdhsa_system_sgpr_workgroup_id_x 1
		.amdhsa_system_sgpr_workgroup_id_y 0
		.amdhsa_system_sgpr_workgroup_id_z 0
		.amdhsa_system_sgpr_workgroup_info 0
		.amdhsa_system_vgpr_workitem_id 0
		.amdhsa_next_free_vgpr 1
		.amdhsa_next_free_sgpr 1
		.amdhsa_reserve_vcc 0
		.amdhsa_float_round_mode_32 0
		.amdhsa_float_round_mode_16_64 0
		.amdhsa_float_denorm_mode_32 3
		.amdhsa_float_denorm_mode_16_64 3
		.amdhsa_fp16_overflow 0
		.amdhsa_workgroup_processor_mode 1
		.amdhsa_memory_ordered 1
		.amdhsa_forward_progress 1
		.amdhsa_inst_pref_size 0
		.amdhsa_round_robin_scheduling 0
		.amdhsa_exception_fp_ieee_invalid_op 0
		.amdhsa_exception_fp_denorm_src 0
		.amdhsa_exception_fp_ieee_div_zero 0
		.amdhsa_exception_fp_ieee_overflow 0
		.amdhsa_exception_fp_ieee_underflow 0
		.amdhsa_exception_fp_ieee_inexact 0
		.amdhsa_exception_int_div_zero 0
	.end_amdhsa_kernel
	.section	.text._ZN7rocprim17ROCPRIM_400000_NS6detail17trampoline_kernelINS0_14default_configENS1_25partition_config_selectorILNS1_17partition_subalgoE6EN6thrust23THRUST_200600_302600_NS5tupleIffNS7_9null_typeES9_S9_S9_S9_S9_S9_S9_EENS0_10empty_typeEbEEZZNS1_14partition_implILS5_6ELb0ES3_mNS7_12zip_iteratorINS8_INS7_6detail15normal_iteratorINS7_10device_ptrIfEEEESJ_S9_S9_S9_S9_S9_S9_S9_S9_EEEEPSB_SM_NS0_5tupleIJNSE_INS8_ISJ_NS7_16discard_iteratorINS7_11use_defaultEEES9_S9_S9_S9_S9_S9_S9_S9_EEEESB_EEENSN_IJSM_SM_EEESB_PlJNSF_9not_fun_tINSF_14equal_to_valueISA_EEEEEEE10hipError_tPvRmT3_T4_T5_T6_T7_T9_mT8_P12ihipStream_tbDpT10_ENKUlT_T0_E_clISt17integral_constantIbLb0EES1I_IbLb1EEEEDaS1E_S1F_EUlS1E_E_NS1_11comp_targetILNS1_3genE4ELNS1_11target_archE910ELNS1_3gpuE8ELNS1_3repE0EEENS1_30default_config_static_selectorELNS0_4arch9wavefront6targetE0EEEvT1_,"axG",@progbits,_ZN7rocprim17ROCPRIM_400000_NS6detail17trampoline_kernelINS0_14default_configENS1_25partition_config_selectorILNS1_17partition_subalgoE6EN6thrust23THRUST_200600_302600_NS5tupleIffNS7_9null_typeES9_S9_S9_S9_S9_S9_S9_EENS0_10empty_typeEbEEZZNS1_14partition_implILS5_6ELb0ES3_mNS7_12zip_iteratorINS8_INS7_6detail15normal_iteratorINS7_10device_ptrIfEEEESJ_S9_S9_S9_S9_S9_S9_S9_S9_EEEEPSB_SM_NS0_5tupleIJNSE_INS8_ISJ_NS7_16discard_iteratorINS7_11use_defaultEEES9_S9_S9_S9_S9_S9_S9_S9_EEEESB_EEENSN_IJSM_SM_EEESB_PlJNSF_9not_fun_tINSF_14equal_to_valueISA_EEEEEEE10hipError_tPvRmT3_T4_T5_T6_T7_T9_mT8_P12ihipStream_tbDpT10_ENKUlT_T0_E_clISt17integral_constantIbLb0EES1I_IbLb1EEEEDaS1E_S1F_EUlS1E_E_NS1_11comp_targetILNS1_3genE4ELNS1_11target_archE910ELNS1_3gpuE8ELNS1_3repE0EEENS1_30default_config_static_selectorELNS0_4arch9wavefront6targetE0EEEvT1_,comdat
.Lfunc_end1879:
	.size	_ZN7rocprim17ROCPRIM_400000_NS6detail17trampoline_kernelINS0_14default_configENS1_25partition_config_selectorILNS1_17partition_subalgoE6EN6thrust23THRUST_200600_302600_NS5tupleIffNS7_9null_typeES9_S9_S9_S9_S9_S9_S9_EENS0_10empty_typeEbEEZZNS1_14partition_implILS5_6ELb0ES3_mNS7_12zip_iteratorINS8_INS7_6detail15normal_iteratorINS7_10device_ptrIfEEEESJ_S9_S9_S9_S9_S9_S9_S9_S9_EEEEPSB_SM_NS0_5tupleIJNSE_INS8_ISJ_NS7_16discard_iteratorINS7_11use_defaultEEES9_S9_S9_S9_S9_S9_S9_S9_EEEESB_EEENSN_IJSM_SM_EEESB_PlJNSF_9not_fun_tINSF_14equal_to_valueISA_EEEEEEE10hipError_tPvRmT3_T4_T5_T6_T7_T9_mT8_P12ihipStream_tbDpT10_ENKUlT_T0_E_clISt17integral_constantIbLb0EES1I_IbLb1EEEEDaS1E_S1F_EUlS1E_E_NS1_11comp_targetILNS1_3genE4ELNS1_11target_archE910ELNS1_3gpuE8ELNS1_3repE0EEENS1_30default_config_static_selectorELNS0_4arch9wavefront6targetE0EEEvT1_, .Lfunc_end1879-_ZN7rocprim17ROCPRIM_400000_NS6detail17trampoline_kernelINS0_14default_configENS1_25partition_config_selectorILNS1_17partition_subalgoE6EN6thrust23THRUST_200600_302600_NS5tupleIffNS7_9null_typeES9_S9_S9_S9_S9_S9_S9_EENS0_10empty_typeEbEEZZNS1_14partition_implILS5_6ELb0ES3_mNS7_12zip_iteratorINS8_INS7_6detail15normal_iteratorINS7_10device_ptrIfEEEESJ_S9_S9_S9_S9_S9_S9_S9_S9_EEEEPSB_SM_NS0_5tupleIJNSE_INS8_ISJ_NS7_16discard_iteratorINS7_11use_defaultEEES9_S9_S9_S9_S9_S9_S9_S9_EEEESB_EEENSN_IJSM_SM_EEESB_PlJNSF_9not_fun_tINSF_14equal_to_valueISA_EEEEEEE10hipError_tPvRmT3_T4_T5_T6_T7_T9_mT8_P12ihipStream_tbDpT10_ENKUlT_T0_E_clISt17integral_constantIbLb0EES1I_IbLb1EEEEDaS1E_S1F_EUlS1E_E_NS1_11comp_targetILNS1_3genE4ELNS1_11target_archE910ELNS1_3gpuE8ELNS1_3repE0EEENS1_30default_config_static_selectorELNS0_4arch9wavefront6targetE0EEEvT1_
                                        ; -- End function
	.set _ZN7rocprim17ROCPRIM_400000_NS6detail17trampoline_kernelINS0_14default_configENS1_25partition_config_selectorILNS1_17partition_subalgoE6EN6thrust23THRUST_200600_302600_NS5tupleIffNS7_9null_typeES9_S9_S9_S9_S9_S9_S9_EENS0_10empty_typeEbEEZZNS1_14partition_implILS5_6ELb0ES3_mNS7_12zip_iteratorINS8_INS7_6detail15normal_iteratorINS7_10device_ptrIfEEEESJ_S9_S9_S9_S9_S9_S9_S9_S9_EEEEPSB_SM_NS0_5tupleIJNSE_INS8_ISJ_NS7_16discard_iteratorINS7_11use_defaultEEES9_S9_S9_S9_S9_S9_S9_S9_EEEESB_EEENSN_IJSM_SM_EEESB_PlJNSF_9not_fun_tINSF_14equal_to_valueISA_EEEEEEE10hipError_tPvRmT3_T4_T5_T6_T7_T9_mT8_P12ihipStream_tbDpT10_ENKUlT_T0_E_clISt17integral_constantIbLb0EES1I_IbLb1EEEEDaS1E_S1F_EUlS1E_E_NS1_11comp_targetILNS1_3genE4ELNS1_11target_archE910ELNS1_3gpuE8ELNS1_3repE0EEENS1_30default_config_static_selectorELNS0_4arch9wavefront6targetE0EEEvT1_.num_vgpr, 0
	.set _ZN7rocprim17ROCPRIM_400000_NS6detail17trampoline_kernelINS0_14default_configENS1_25partition_config_selectorILNS1_17partition_subalgoE6EN6thrust23THRUST_200600_302600_NS5tupleIffNS7_9null_typeES9_S9_S9_S9_S9_S9_S9_EENS0_10empty_typeEbEEZZNS1_14partition_implILS5_6ELb0ES3_mNS7_12zip_iteratorINS8_INS7_6detail15normal_iteratorINS7_10device_ptrIfEEEESJ_S9_S9_S9_S9_S9_S9_S9_S9_EEEEPSB_SM_NS0_5tupleIJNSE_INS8_ISJ_NS7_16discard_iteratorINS7_11use_defaultEEES9_S9_S9_S9_S9_S9_S9_S9_EEEESB_EEENSN_IJSM_SM_EEESB_PlJNSF_9not_fun_tINSF_14equal_to_valueISA_EEEEEEE10hipError_tPvRmT3_T4_T5_T6_T7_T9_mT8_P12ihipStream_tbDpT10_ENKUlT_T0_E_clISt17integral_constantIbLb0EES1I_IbLb1EEEEDaS1E_S1F_EUlS1E_E_NS1_11comp_targetILNS1_3genE4ELNS1_11target_archE910ELNS1_3gpuE8ELNS1_3repE0EEENS1_30default_config_static_selectorELNS0_4arch9wavefront6targetE0EEEvT1_.num_agpr, 0
	.set _ZN7rocprim17ROCPRIM_400000_NS6detail17trampoline_kernelINS0_14default_configENS1_25partition_config_selectorILNS1_17partition_subalgoE6EN6thrust23THRUST_200600_302600_NS5tupleIffNS7_9null_typeES9_S9_S9_S9_S9_S9_S9_EENS0_10empty_typeEbEEZZNS1_14partition_implILS5_6ELb0ES3_mNS7_12zip_iteratorINS8_INS7_6detail15normal_iteratorINS7_10device_ptrIfEEEESJ_S9_S9_S9_S9_S9_S9_S9_S9_EEEEPSB_SM_NS0_5tupleIJNSE_INS8_ISJ_NS7_16discard_iteratorINS7_11use_defaultEEES9_S9_S9_S9_S9_S9_S9_S9_EEEESB_EEENSN_IJSM_SM_EEESB_PlJNSF_9not_fun_tINSF_14equal_to_valueISA_EEEEEEE10hipError_tPvRmT3_T4_T5_T6_T7_T9_mT8_P12ihipStream_tbDpT10_ENKUlT_T0_E_clISt17integral_constantIbLb0EES1I_IbLb1EEEEDaS1E_S1F_EUlS1E_E_NS1_11comp_targetILNS1_3genE4ELNS1_11target_archE910ELNS1_3gpuE8ELNS1_3repE0EEENS1_30default_config_static_selectorELNS0_4arch9wavefront6targetE0EEEvT1_.numbered_sgpr, 0
	.set _ZN7rocprim17ROCPRIM_400000_NS6detail17trampoline_kernelINS0_14default_configENS1_25partition_config_selectorILNS1_17partition_subalgoE6EN6thrust23THRUST_200600_302600_NS5tupleIffNS7_9null_typeES9_S9_S9_S9_S9_S9_S9_EENS0_10empty_typeEbEEZZNS1_14partition_implILS5_6ELb0ES3_mNS7_12zip_iteratorINS8_INS7_6detail15normal_iteratorINS7_10device_ptrIfEEEESJ_S9_S9_S9_S9_S9_S9_S9_S9_EEEEPSB_SM_NS0_5tupleIJNSE_INS8_ISJ_NS7_16discard_iteratorINS7_11use_defaultEEES9_S9_S9_S9_S9_S9_S9_S9_EEEESB_EEENSN_IJSM_SM_EEESB_PlJNSF_9not_fun_tINSF_14equal_to_valueISA_EEEEEEE10hipError_tPvRmT3_T4_T5_T6_T7_T9_mT8_P12ihipStream_tbDpT10_ENKUlT_T0_E_clISt17integral_constantIbLb0EES1I_IbLb1EEEEDaS1E_S1F_EUlS1E_E_NS1_11comp_targetILNS1_3genE4ELNS1_11target_archE910ELNS1_3gpuE8ELNS1_3repE0EEENS1_30default_config_static_selectorELNS0_4arch9wavefront6targetE0EEEvT1_.num_named_barrier, 0
	.set _ZN7rocprim17ROCPRIM_400000_NS6detail17trampoline_kernelINS0_14default_configENS1_25partition_config_selectorILNS1_17partition_subalgoE6EN6thrust23THRUST_200600_302600_NS5tupleIffNS7_9null_typeES9_S9_S9_S9_S9_S9_S9_EENS0_10empty_typeEbEEZZNS1_14partition_implILS5_6ELb0ES3_mNS7_12zip_iteratorINS8_INS7_6detail15normal_iteratorINS7_10device_ptrIfEEEESJ_S9_S9_S9_S9_S9_S9_S9_S9_EEEEPSB_SM_NS0_5tupleIJNSE_INS8_ISJ_NS7_16discard_iteratorINS7_11use_defaultEEES9_S9_S9_S9_S9_S9_S9_S9_EEEESB_EEENSN_IJSM_SM_EEESB_PlJNSF_9not_fun_tINSF_14equal_to_valueISA_EEEEEEE10hipError_tPvRmT3_T4_T5_T6_T7_T9_mT8_P12ihipStream_tbDpT10_ENKUlT_T0_E_clISt17integral_constantIbLb0EES1I_IbLb1EEEEDaS1E_S1F_EUlS1E_E_NS1_11comp_targetILNS1_3genE4ELNS1_11target_archE910ELNS1_3gpuE8ELNS1_3repE0EEENS1_30default_config_static_selectorELNS0_4arch9wavefront6targetE0EEEvT1_.private_seg_size, 0
	.set _ZN7rocprim17ROCPRIM_400000_NS6detail17trampoline_kernelINS0_14default_configENS1_25partition_config_selectorILNS1_17partition_subalgoE6EN6thrust23THRUST_200600_302600_NS5tupleIffNS7_9null_typeES9_S9_S9_S9_S9_S9_S9_EENS0_10empty_typeEbEEZZNS1_14partition_implILS5_6ELb0ES3_mNS7_12zip_iteratorINS8_INS7_6detail15normal_iteratorINS7_10device_ptrIfEEEESJ_S9_S9_S9_S9_S9_S9_S9_S9_EEEEPSB_SM_NS0_5tupleIJNSE_INS8_ISJ_NS7_16discard_iteratorINS7_11use_defaultEEES9_S9_S9_S9_S9_S9_S9_S9_EEEESB_EEENSN_IJSM_SM_EEESB_PlJNSF_9not_fun_tINSF_14equal_to_valueISA_EEEEEEE10hipError_tPvRmT3_T4_T5_T6_T7_T9_mT8_P12ihipStream_tbDpT10_ENKUlT_T0_E_clISt17integral_constantIbLb0EES1I_IbLb1EEEEDaS1E_S1F_EUlS1E_E_NS1_11comp_targetILNS1_3genE4ELNS1_11target_archE910ELNS1_3gpuE8ELNS1_3repE0EEENS1_30default_config_static_selectorELNS0_4arch9wavefront6targetE0EEEvT1_.uses_vcc, 0
	.set _ZN7rocprim17ROCPRIM_400000_NS6detail17trampoline_kernelINS0_14default_configENS1_25partition_config_selectorILNS1_17partition_subalgoE6EN6thrust23THRUST_200600_302600_NS5tupleIffNS7_9null_typeES9_S9_S9_S9_S9_S9_S9_EENS0_10empty_typeEbEEZZNS1_14partition_implILS5_6ELb0ES3_mNS7_12zip_iteratorINS8_INS7_6detail15normal_iteratorINS7_10device_ptrIfEEEESJ_S9_S9_S9_S9_S9_S9_S9_S9_EEEEPSB_SM_NS0_5tupleIJNSE_INS8_ISJ_NS7_16discard_iteratorINS7_11use_defaultEEES9_S9_S9_S9_S9_S9_S9_S9_EEEESB_EEENSN_IJSM_SM_EEESB_PlJNSF_9not_fun_tINSF_14equal_to_valueISA_EEEEEEE10hipError_tPvRmT3_T4_T5_T6_T7_T9_mT8_P12ihipStream_tbDpT10_ENKUlT_T0_E_clISt17integral_constantIbLb0EES1I_IbLb1EEEEDaS1E_S1F_EUlS1E_E_NS1_11comp_targetILNS1_3genE4ELNS1_11target_archE910ELNS1_3gpuE8ELNS1_3repE0EEENS1_30default_config_static_selectorELNS0_4arch9wavefront6targetE0EEEvT1_.uses_flat_scratch, 0
	.set _ZN7rocprim17ROCPRIM_400000_NS6detail17trampoline_kernelINS0_14default_configENS1_25partition_config_selectorILNS1_17partition_subalgoE6EN6thrust23THRUST_200600_302600_NS5tupleIffNS7_9null_typeES9_S9_S9_S9_S9_S9_S9_EENS0_10empty_typeEbEEZZNS1_14partition_implILS5_6ELb0ES3_mNS7_12zip_iteratorINS8_INS7_6detail15normal_iteratorINS7_10device_ptrIfEEEESJ_S9_S9_S9_S9_S9_S9_S9_S9_EEEEPSB_SM_NS0_5tupleIJNSE_INS8_ISJ_NS7_16discard_iteratorINS7_11use_defaultEEES9_S9_S9_S9_S9_S9_S9_S9_EEEESB_EEENSN_IJSM_SM_EEESB_PlJNSF_9not_fun_tINSF_14equal_to_valueISA_EEEEEEE10hipError_tPvRmT3_T4_T5_T6_T7_T9_mT8_P12ihipStream_tbDpT10_ENKUlT_T0_E_clISt17integral_constantIbLb0EES1I_IbLb1EEEEDaS1E_S1F_EUlS1E_E_NS1_11comp_targetILNS1_3genE4ELNS1_11target_archE910ELNS1_3gpuE8ELNS1_3repE0EEENS1_30default_config_static_selectorELNS0_4arch9wavefront6targetE0EEEvT1_.has_dyn_sized_stack, 0
	.set _ZN7rocprim17ROCPRIM_400000_NS6detail17trampoline_kernelINS0_14default_configENS1_25partition_config_selectorILNS1_17partition_subalgoE6EN6thrust23THRUST_200600_302600_NS5tupleIffNS7_9null_typeES9_S9_S9_S9_S9_S9_S9_EENS0_10empty_typeEbEEZZNS1_14partition_implILS5_6ELb0ES3_mNS7_12zip_iteratorINS8_INS7_6detail15normal_iteratorINS7_10device_ptrIfEEEESJ_S9_S9_S9_S9_S9_S9_S9_S9_EEEEPSB_SM_NS0_5tupleIJNSE_INS8_ISJ_NS7_16discard_iteratorINS7_11use_defaultEEES9_S9_S9_S9_S9_S9_S9_S9_EEEESB_EEENSN_IJSM_SM_EEESB_PlJNSF_9not_fun_tINSF_14equal_to_valueISA_EEEEEEE10hipError_tPvRmT3_T4_T5_T6_T7_T9_mT8_P12ihipStream_tbDpT10_ENKUlT_T0_E_clISt17integral_constantIbLb0EES1I_IbLb1EEEEDaS1E_S1F_EUlS1E_E_NS1_11comp_targetILNS1_3genE4ELNS1_11target_archE910ELNS1_3gpuE8ELNS1_3repE0EEENS1_30default_config_static_selectorELNS0_4arch9wavefront6targetE0EEEvT1_.has_recursion, 0
	.set _ZN7rocprim17ROCPRIM_400000_NS6detail17trampoline_kernelINS0_14default_configENS1_25partition_config_selectorILNS1_17partition_subalgoE6EN6thrust23THRUST_200600_302600_NS5tupleIffNS7_9null_typeES9_S9_S9_S9_S9_S9_S9_EENS0_10empty_typeEbEEZZNS1_14partition_implILS5_6ELb0ES3_mNS7_12zip_iteratorINS8_INS7_6detail15normal_iteratorINS7_10device_ptrIfEEEESJ_S9_S9_S9_S9_S9_S9_S9_S9_EEEEPSB_SM_NS0_5tupleIJNSE_INS8_ISJ_NS7_16discard_iteratorINS7_11use_defaultEEES9_S9_S9_S9_S9_S9_S9_S9_EEEESB_EEENSN_IJSM_SM_EEESB_PlJNSF_9not_fun_tINSF_14equal_to_valueISA_EEEEEEE10hipError_tPvRmT3_T4_T5_T6_T7_T9_mT8_P12ihipStream_tbDpT10_ENKUlT_T0_E_clISt17integral_constantIbLb0EES1I_IbLb1EEEEDaS1E_S1F_EUlS1E_E_NS1_11comp_targetILNS1_3genE4ELNS1_11target_archE910ELNS1_3gpuE8ELNS1_3repE0EEENS1_30default_config_static_selectorELNS0_4arch9wavefront6targetE0EEEvT1_.has_indirect_call, 0
	.section	.AMDGPU.csdata,"",@progbits
; Kernel info:
; codeLenInByte = 0
; TotalNumSgprs: 0
; NumVgprs: 0
; ScratchSize: 0
; MemoryBound: 0
; FloatMode: 240
; IeeeMode: 1
; LDSByteSize: 0 bytes/workgroup (compile time only)
; SGPRBlocks: 0
; VGPRBlocks: 0
; NumSGPRsForWavesPerEU: 1
; NumVGPRsForWavesPerEU: 1
; Occupancy: 16
; WaveLimiterHint : 0
; COMPUTE_PGM_RSRC2:SCRATCH_EN: 0
; COMPUTE_PGM_RSRC2:USER_SGPR: 2
; COMPUTE_PGM_RSRC2:TRAP_HANDLER: 0
; COMPUTE_PGM_RSRC2:TGID_X_EN: 1
; COMPUTE_PGM_RSRC2:TGID_Y_EN: 0
; COMPUTE_PGM_RSRC2:TGID_Z_EN: 0
; COMPUTE_PGM_RSRC2:TIDIG_COMP_CNT: 0
	.section	.text._ZN7rocprim17ROCPRIM_400000_NS6detail17trampoline_kernelINS0_14default_configENS1_25partition_config_selectorILNS1_17partition_subalgoE6EN6thrust23THRUST_200600_302600_NS5tupleIffNS7_9null_typeES9_S9_S9_S9_S9_S9_S9_EENS0_10empty_typeEbEEZZNS1_14partition_implILS5_6ELb0ES3_mNS7_12zip_iteratorINS8_INS7_6detail15normal_iteratorINS7_10device_ptrIfEEEESJ_S9_S9_S9_S9_S9_S9_S9_S9_EEEEPSB_SM_NS0_5tupleIJNSE_INS8_ISJ_NS7_16discard_iteratorINS7_11use_defaultEEES9_S9_S9_S9_S9_S9_S9_S9_EEEESB_EEENSN_IJSM_SM_EEESB_PlJNSF_9not_fun_tINSF_14equal_to_valueISA_EEEEEEE10hipError_tPvRmT3_T4_T5_T6_T7_T9_mT8_P12ihipStream_tbDpT10_ENKUlT_T0_E_clISt17integral_constantIbLb0EES1I_IbLb1EEEEDaS1E_S1F_EUlS1E_E_NS1_11comp_targetILNS1_3genE3ELNS1_11target_archE908ELNS1_3gpuE7ELNS1_3repE0EEENS1_30default_config_static_selectorELNS0_4arch9wavefront6targetE0EEEvT1_,"axG",@progbits,_ZN7rocprim17ROCPRIM_400000_NS6detail17trampoline_kernelINS0_14default_configENS1_25partition_config_selectorILNS1_17partition_subalgoE6EN6thrust23THRUST_200600_302600_NS5tupleIffNS7_9null_typeES9_S9_S9_S9_S9_S9_S9_EENS0_10empty_typeEbEEZZNS1_14partition_implILS5_6ELb0ES3_mNS7_12zip_iteratorINS8_INS7_6detail15normal_iteratorINS7_10device_ptrIfEEEESJ_S9_S9_S9_S9_S9_S9_S9_S9_EEEEPSB_SM_NS0_5tupleIJNSE_INS8_ISJ_NS7_16discard_iteratorINS7_11use_defaultEEES9_S9_S9_S9_S9_S9_S9_S9_EEEESB_EEENSN_IJSM_SM_EEESB_PlJNSF_9not_fun_tINSF_14equal_to_valueISA_EEEEEEE10hipError_tPvRmT3_T4_T5_T6_T7_T9_mT8_P12ihipStream_tbDpT10_ENKUlT_T0_E_clISt17integral_constantIbLb0EES1I_IbLb1EEEEDaS1E_S1F_EUlS1E_E_NS1_11comp_targetILNS1_3genE3ELNS1_11target_archE908ELNS1_3gpuE7ELNS1_3repE0EEENS1_30default_config_static_selectorELNS0_4arch9wavefront6targetE0EEEvT1_,comdat
	.protected	_ZN7rocprim17ROCPRIM_400000_NS6detail17trampoline_kernelINS0_14default_configENS1_25partition_config_selectorILNS1_17partition_subalgoE6EN6thrust23THRUST_200600_302600_NS5tupleIffNS7_9null_typeES9_S9_S9_S9_S9_S9_S9_EENS0_10empty_typeEbEEZZNS1_14partition_implILS5_6ELb0ES3_mNS7_12zip_iteratorINS8_INS7_6detail15normal_iteratorINS7_10device_ptrIfEEEESJ_S9_S9_S9_S9_S9_S9_S9_S9_EEEEPSB_SM_NS0_5tupleIJNSE_INS8_ISJ_NS7_16discard_iteratorINS7_11use_defaultEEES9_S9_S9_S9_S9_S9_S9_S9_EEEESB_EEENSN_IJSM_SM_EEESB_PlJNSF_9not_fun_tINSF_14equal_to_valueISA_EEEEEEE10hipError_tPvRmT3_T4_T5_T6_T7_T9_mT8_P12ihipStream_tbDpT10_ENKUlT_T0_E_clISt17integral_constantIbLb0EES1I_IbLb1EEEEDaS1E_S1F_EUlS1E_E_NS1_11comp_targetILNS1_3genE3ELNS1_11target_archE908ELNS1_3gpuE7ELNS1_3repE0EEENS1_30default_config_static_selectorELNS0_4arch9wavefront6targetE0EEEvT1_ ; -- Begin function _ZN7rocprim17ROCPRIM_400000_NS6detail17trampoline_kernelINS0_14default_configENS1_25partition_config_selectorILNS1_17partition_subalgoE6EN6thrust23THRUST_200600_302600_NS5tupleIffNS7_9null_typeES9_S9_S9_S9_S9_S9_S9_EENS0_10empty_typeEbEEZZNS1_14partition_implILS5_6ELb0ES3_mNS7_12zip_iteratorINS8_INS7_6detail15normal_iteratorINS7_10device_ptrIfEEEESJ_S9_S9_S9_S9_S9_S9_S9_S9_EEEEPSB_SM_NS0_5tupleIJNSE_INS8_ISJ_NS7_16discard_iteratorINS7_11use_defaultEEES9_S9_S9_S9_S9_S9_S9_S9_EEEESB_EEENSN_IJSM_SM_EEESB_PlJNSF_9not_fun_tINSF_14equal_to_valueISA_EEEEEEE10hipError_tPvRmT3_T4_T5_T6_T7_T9_mT8_P12ihipStream_tbDpT10_ENKUlT_T0_E_clISt17integral_constantIbLb0EES1I_IbLb1EEEEDaS1E_S1F_EUlS1E_E_NS1_11comp_targetILNS1_3genE3ELNS1_11target_archE908ELNS1_3gpuE7ELNS1_3repE0EEENS1_30default_config_static_selectorELNS0_4arch9wavefront6targetE0EEEvT1_
	.globl	_ZN7rocprim17ROCPRIM_400000_NS6detail17trampoline_kernelINS0_14default_configENS1_25partition_config_selectorILNS1_17partition_subalgoE6EN6thrust23THRUST_200600_302600_NS5tupleIffNS7_9null_typeES9_S9_S9_S9_S9_S9_S9_EENS0_10empty_typeEbEEZZNS1_14partition_implILS5_6ELb0ES3_mNS7_12zip_iteratorINS8_INS7_6detail15normal_iteratorINS7_10device_ptrIfEEEESJ_S9_S9_S9_S9_S9_S9_S9_S9_EEEEPSB_SM_NS0_5tupleIJNSE_INS8_ISJ_NS7_16discard_iteratorINS7_11use_defaultEEES9_S9_S9_S9_S9_S9_S9_S9_EEEESB_EEENSN_IJSM_SM_EEESB_PlJNSF_9not_fun_tINSF_14equal_to_valueISA_EEEEEEE10hipError_tPvRmT3_T4_T5_T6_T7_T9_mT8_P12ihipStream_tbDpT10_ENKUlT_T0_E_clISt17integral_constantIbLb0EES1I_IbLb1EEEEDaS1E_S1F_EUlS1E_E_NS1_11comp_targetILNS1_3genE3ELNS1_11target_archE908ELNS1_3gpuE7ELNS1_3repE0EEENS1_30default_config_static_selectorELNS0_4arch9wavefront6targetE0EEEvT1_
	.p2align	8
	.type	_ZN7rocprim17ROCPRIM_400000_NS6detail17trampoline_kernelINS0_14default_configENS1_25partition_config_selectorILNS1_17partition_subalgoE6EN6thrust23THRUST_200600_302600_NS5tupleIffNS7_9null_typeES9_S9_S9_S9_S9_S9_S9_EENS0_10empty_typeEbEEZZNS1_14partition_implILS5_6ELb0ES3_mNS7_12zip_iteratorINS8_INS7_6detail15normal_iteratorINS7_10device_ptrIfEEEESJ_S9_S9_S9_S9_S9_S9_S9_S9_EEEEPSB_SM_NS0_5tupleIJNSE_INS8_ISJ_NS7_16discard_iteratorINS7_11use_defaultEEES9_S9_S9_S9_S9_S9_S9_S9_EEEESB_EEENSN_IJSM_SM_EEESB_PlJNSF_9not_fun_tINSF_14equal_to_valueISA_EEEEEEE10hipError_tPvRmT3_T4_T5_T6_T7_T9_mT8_P12ihipStream_tbDpT10_ENKUlT_T0_E_clISt17integral_constantIbLb0EES1I_IbLb1EEEEDaS1E_S1F_EUlS1E_E_NS1_11comp_targetILNS1_3genE3ELNS1_11target_archE908ELNS1_3gpuE7ELNS1_3repE0EEENS1_30default_config_static_selectorELNS0_4arch9wavefront6targetE0EEEvT1_,@function
_ZN7rocprim17ROCPRIM_400000_NS6detail17trampoline_kernelINS0_14default_configENS1_25partition_config_selectorILNS1_17partition_subalgoE6EN6thrust23THRUST_200600_302600_NS5tupleIffNS7_9null_typeES9_S9_S9_S9_S9_S9_S9_EENS0_10empty_typeEbEEZZNS1_14partition_implILS5_6ELb0ES3_mNS7_12zip_iteratorINS8_INS7_6detail15normal_iteratorINS7_10device_ptrIfEEEESJ_S9_S9_S9_S9_S9_S9_S9_S9_EEEEPSB_SM_NS0_5tupleIJNSE_INS8_ISJ_NS7_16discard_iteratorINS7_11use_defaultEEES9_S9_S9_S9_S9_S9_S9_S9_EEEESB_EEENSN_IJSM_SM_EEESB_PlJNSF_9not_fun_tINSF_14equal_to_valueISA_EEEEEEE10hipError_tPvRmT3_T4_T5_T6_T7_T9_mT8_P12ihipStream_tbDpT10_ENKUlT_T0_E_clISt17integral_constantIbLb0EES1I_IbLb1EEEEDaS1E_S1F_EUlS1E_E_NS1_11comp_targetILNS1_3genE3ELNS1_11target_archE908ELNS1_3gpuE7ELNS1_3repE0EEENS1_30default_config_static_selectorELNS0_4arch9wavefront6targetE0EEEvT1_: ; @_ZN7rocprim17ROCPRIM_400000_NS6detail17trampoline_kernelINS0_14default_configENS1_25partition_config_selectorILNS1_17partition_subalgoE6EN6thrust23THRUST_200600_302600_NS5tupleIffNS7_9null_typeES9_S9_S9_S9_S9_S9_S9_EENS0_10empty_typeEbEEZZNS1_14partition_implILS5_6ELb0ES3_mNS7_12zip_iteratorINS8_INS7_6detail15normal_iteratorINS7_10device_ptrIfEEEESJ_S9_S9_S9_S9_S9_S9_S9_S9_EEEEPSB_SM_NS0_5tupleIJNSE_INS8_ISJ_NS7_16discard_iteratorINS7_11use_defaultEEES9_S9_S9_S9_S9_S9_S9_S9_EEEESB_EEENSN_IJSM_SM_EEESB_PlJNSF_9not_fun_tINSF_14equal_to_valueISA_EEEEEEE10hipError_tPvRmT3_T4_T5_T6_T7_T9_mT8_P12ihipStream_tbDpT10_ENKUlT_T0_E_clISt17integral_constantIbLb0EES1I_IbLb1EEEEDaS1E_S1F_EUlS1E_E_NS1_11comp_targetILNS1_3genE3ELNS1_11target_archE908ELNS1_3gpuE7ELNS1_3repE0EEENS1_30default_config_static_selectorELNS0_4arch9wavefront6targetE0EEEvT1_
; %bb.0:
	.section	.rodata,"a",@progbits
	.p2align	6, 0x0
	.amdhsa_kernel _ZN7rocprim17ROCPRIM_400000_NS6detail17trampoline_kernelINS0_14default_configENS1_25partition_config_selectorILNS1_17partition_subalgoE6EN6thrust23THRUST_200600_302600_NS5tupleIffNS7_9null_typeES9_S9_S9_S9_S9_S9_S9_EENS0_10empty_typeEbEEZZNS1_14partition_implILS5_6ELb0ES3_mNS7_12zip_iteratorINS8_INS7_6detail15normal_iteratorINS7_10device_ptrIfEEEESJ_S9_S9_S9_S9_S9_S9_S9_S9_EEEEPSB_SM_NS0_5tupleIJNSE_INS8_ISJ_NS7_16discard_iteratorINS7_11use_defaultEEES9_S9_S9_S9_S9_S9_S9_S9_EEEESB_EEENSN_IJSM_SM_EEESB_PlJNSF_9not_fun_tINSF_14equal_to_valueISA_EEEEEEE10hipError_tPvRmT3_T4_T5_T6_T7_T9_mT8_P12ihipStream_tbDpT10_ENKUlT_T0_E_clISt17integral_constantIbLb0EES1I_IbLb1EEEEDaS1E_S1F_EUlS1E_E_NS1_11comp_targetILNS1_3genE3ELNS1_11target_archE908ELNS1_3gpuE7ELNS1_3repE0EEENS1_30default_config_static_selectorELNS0_4arch9wavefront6targetE0EEEvT1_
		.amdhsa_group_segment_fixed_size 0
		.amdhsa_private_segment_fixed_size 0
		.amdhsa_kernarg_size 152
		.amdhsa_user_sgpr_count 2
		.amdhsa_user_sgpr_dispatch_ptr 0
		.amdhsa_user_sgpr_queue_ptr 0
		.amdhsa_user_sgpr_kernarg_segment_ptr 1
		.amdhsa_user_sgpr_dispatch_id 0
		.amdhsa_user_sgpr_private_segment_size 0
		.amdhsa_wavefront_size32 1
		.amdhsa_uses_dynamic_stack 0
		.amdhsa_enable_private_segment 0
		.amdhsa_system_sgpr_workgroup_id_x 1
		.amdhsa_system_sgpr_workgroup_id_y 0
		.amdhsa_system_sgpr_workgroup_id_z 0
		.amdhsa_system_sgpr_workgroup_info 0
		.amdhsa_system_vgpr_workitem_id 0
		.amdhsa_next_free_vgpr 1
		.amdhsa_next_free_sgpr 1
		.amdhsa_reserve_vcc 0
		.amdhsa_float_round_mode_32 0
		.amdhsa_float_round_mode_16_64 0
		.amdhsa_float_denorm_mode_32 3
		.amdhsa_float_denorm_mode_16_64 3
		.amdhsa_fp16_overflow 0
		.amdhsa_workgroup_processor_mode 1
		.amdhsa_memory_ordered 1
		.amdhsa_forward_progress 1
		.amdhsa_inst_pref_size 0
		.amdhsa_round_robin_scheduling 0
		.amdhsa_exception_fp_ieee_invalid_op 0
		.amdhsa_exception_fp_denorm_src 0
		.amdhsa_exception_fp_ieee_div_zero 0
		.amdhsa_exception_fp_ieee_overflow 0
		.amdhsa_exception_fp_ieee_underflow 0
		.amdhsa_exception_fp_ieee_inexact 0
		.amdhsa_exception_int_div_zero 0
	.end_amdhsa_kernel
	.section	.text._ZN7rocprim17ROCPRIM_400000_NS6detail17trampoline_kernelINS0_14default_configENS1_25partition_config_selectorILNS1_17partition_subalgoE6EN6thrust23THRUST_200600_302600_NS5tupleIffNS7_9null_typeES9_S9_S9_S9_S9_S9_S9_EENS0_10empty_typeEbEEZZNS1_14partition_implILS5_6ELb0ES3_mNS7_12zip_iteratorINS8_INS7_6detail15normal_iteratorINS7_10device_ptrIfEEEESJ_S9_S9_S9_S9_S9_S9_S9_S9_EEEEPSB_SM_NS0_5tupleIJNSE_INS8_ISJ_NS7_16discard_iteratorINS7_11use_defaultEEES9_S9_S9_S9_S9_S9_S9_S9_EEEESB_EEENSN_IJSM_SM_EEESB_PlJNSF_9not_fun_tINSF_14equal_to_valueISA_EEEEEEE10hipError_tPvRmT3_T4_T5_T6_T7_T9_mT8_P12ihipStream_tbDpT10_ENKUlT_T0_E_clISt17integral_constantIbLb0EES1I_IbLb1EEEEDaS1E_S1F_EUlS1E_E_NS1_11comp_targetILNS1_3genE3ELNS1_11target_archE908ELNS1_3gpuE7ELNS1_3repE0EEENS1_30default_config_static_selectorELNS0_4arch9wavefront6targetE0EEEvT1_,"axG",@progbits,_ZN7rocprim17ROCPRIM_400000_NS6detail17trampoline_kernelINS0_14default_configENS1_25partition_config_selectorILNS1_17partition_subalgoE6EN6thrust23THRUST_200600_302600_NS5tupleIffNS7_9null_typeES9_S9_S9_S9_S9_S9_S9_EENS0_10empty_typeEbEEZZNS1_14partition_implILS5_6ELb0ES3_mNS7_12zip_iteratorINS8_INS7_6detail15normal_iteratorINS7_10device_ptrIfEEEESJ_S9_S9_S9_S9_S9_S9_S9_S9_EEEEPSB_SM_NS0_5tupleIJNSE_INS8_ISJ_NS7_16discard_iteratorINS7_11use_defaultEEES9_S9_S9_S9_S9_S9_S9_S9_EEEESB_EEENSN_IJSM_SM_EEESB_PlJNSF_9not_fun_tINSF_14equal_to_valueISA_EEEEEEE10hipError_tPvRmT3_T4_T5_T6_T7_T9_mT8_P12ihipStream_tbDpT10_ENKUlT_T0_E_clISt17integral_constantIbLb0EES1I_IbLb1EEEEDaS1E_S1F_EUlS1E_E_NS1_11comp_targetILNS1_3genE3ELNS1_11target_archE908ELNS1_3gpuE7ELNS1_3repE0EEENS1_30default_config_static_selectorELNS0_4arch9wavefront6targetE0EEEvT1_,comdat
.Lfunc_end1880:
	.size	_ZN7rocprim17ROCPRIM_400000_NS6detail17trampoline_kernelINS0_14default_configENS1_25partition_config_selectorILNS1_17partition_subalgoE6EN6thrust23THRUST_200600_302600_NS5tupleIffNS7_9null_typeES9_S9_S9_S9_S9_S9_S9_EENS0_10empty_typeEbEEZZNS1_14partition_implILS5_6ELb0ES3_mNS7_12zip_iteratorINS8_INS7_6detail15normal_iteratorINS7_10device_ptrIfEEEESJ_S9_S9_S9_S9_S9_S9_S9_S9_EEEEPSB_SM_NS0_5tupleIJNSE_INS8_ISJ_NS7_16discard_iteratorINS7_11use_defaultEEES9_S9_S9_S9_S9_S9_S9_S9_EEEESB_EEENSN_IJSM_SM_EEESB_PlJNSF_9not_fun_tINSF_14equal_to_valueISA_EEEEEEE10hipError_tPvRmT3_T4_T5_T6_T7_T9_mT8_P12ihipStream_tbDpT10_ENKUlT_T0_E_clISt17integral_constantIbLb0EES1I_IbLb1EEEEDaS1E_S1F_EUlS1E_E_NS1_11comp_targetILNS1_3genE3ELNS1_11target_archE908ELNS1_3gpuE7ELNS1_3repE0EEENS1_30default_config_static_selectorELNS0_4arch9wavefront6targetE0EEEvT1_, .Lfunc_end1880-_ZN7rocprim17ROCPRIM_400000_NS6detail17trampoline_kernelINS0_14default_configENS1_25partition_config_selectorILNS1_17partition_subalgoE6EN6thrust23THRUST_200600_302600_NS5tupleIffNS7_9null_typeES9_S9_S9_S9_S9_S9_S9_EENS0_10empty_typeEbEEZZNS1_14partition_implILS5_6ELb0ES3_mNS7_12zip_iteratorINS8_INS7_6detail15normal_iteratorINS7_10device_ptrIfEEEESJ_S9_S9_S9_S9_S9_S9_S9_S9_EEEEPSB_SM_NS0_5tupleIJNSE_INS8_ISJ_NS7_16discard_iteratorINS7_11use_defaultEEES9_S9_S9_S9_S9_S9_S9_S9_EEEESB_EEENSN_IJSM_SM_EEESB_PlJNSF_9not_fun_tINSF_14equal_to_valueISA_EEEEEEE10hipError_tPvRmT3_T4_T5_T6_T7_T9_mT8_P12ihipStream_tbDpT10_ENKUlT_T0_E_clISt17integral_constantIbLb0EES1I_IbLb1EEEEDaS1E_S1F_EUlS1E_E_NS1_11comp_targetILNS1_3genE3ELNS1_11target_archE908ELNS1_3gpuE7ELNS1_3repE0EEENS1_30default_config_static_selectorELNS0_4arch9wavefront6targetE0EEEvT1_
                                        ; -- End function
	.set _ZN7rocprim17ROCPRIM_400000_NS6detail17trampoline_kernelINS0_14default_configENS1_25partition_config_selectorILNS1_17partition_subalgoE6EN6thrust23THRUST_200600_302600_NS5tupleIffNS7_9null_typeES9_S9_S9_S9_S9_S9_S9_EENS0_10empty_typeEbEEZZNS1_14partition_implILS5_6ELb0ES3_mNS7_12zip_iteratorINS8_INS7_6detail15normal_iteratorINS7_10device_ptrIfEEEESJ_S9_S9_S9_S9_S9_S9_S9_S9_EEEEPSB_SM_NS0_5tupleIJNSE_INS8_ISJ_NS7_16discard_iteratorINS7_11use_defaultEEES9_S9_S9_S9_S9_S9_S9_S9_EEEESB_EEENSN_IJSM_SM_EEESB_PlJNSF_9not_fun_tINSF_14equal_to_valueISA_EEEEEEE10hipError_tPvRmT3_T4_T5_T6_T7_T9_mT8_P12ihipStream_tbDpT10_ENKUlT_T0_E_clISt17integral_constantIbLb0EES1I_IbLb1EEEEDaS1E_S1F_EUlS1E_E_NS1_11comp_targetILNS1_3genE3ELNS1_11target_archE908ELNS1_3gpuE7ELNS1_3repE0EEENS1_30default_config_static_selectorELNS0_4arch9wavefront6targetE0EEEvT1_.num_vgpr, 0
	.set _ZN7rocprim17ROCPRIM_400000_NS6detail17trampoline_kernelINS0_14default_configENS1_25partition_config_selectorILNS1_17partition_subalgoE6EN6thrust23THRUST_200600_302600_NS5tupleIffNS7_9null_typeES9_S9_S9_S9_S9_S9_S9_EENS0_10empty_typeEbEEZZNS1_14partition_implILS5_6ELb0ES3_mNS7_12zip_iteratorINS8_INS7_6detail15normal_iteratorINS7_10device_ptrIfEEEESJ_S9_S9_S9_S9_S9_S9_S9_S9_EEEEPSB_SM_NS0_5tupleIJNSE_INS8_ISJ_NS7_16discard_iteratorINS7_11use_defaultEEES9_S9_S9_S9_S9_S9_S9_S9_EEEESB_EEENSN_IJSM_SM_EEESB_PlJNSF_9not_fun_tINSF_14equal_to_valueISA_EEEEEEE10hipError_tPvRmT3_T4_T5_T6_T7_T9_mT8_P12ihipStream_tbDpT10_ENKUlT_T0_E_clISt17integral_constantIbLb0EES1I_IbLb1EEEEDaS1E_S1F_EUlS1E_E_NS1_11comp_targetILNS1_3genE3ELNS1_11target_archE908ELNS1_3gpuE7ELNS1_3repE0EEENS1_30default_config_static_selectorELNS0_4arch9wavefront6targetE0EEEvT1_.num_agpr, 0
	.set _ZN7rocprim17ROCPRIM_400000_NS6detail17trampoline_kernelINS0_14default_configENS1_25partition_config_selectorILNS1_17partition_subalgoE6EN6thrust23THRUST_200600_302600_NS5tupleIffNS7_9null_typeES9_S9_S9_S9_S9_S9_S9_EENS0_10empty_typeEbEEZZNS1_14partition_implILS5_6ELb0ES3_mNS7_12zip_iteratorINS8_INS7_6detail15normal_iteratorINS7_10device_ptrIfEEEESJ_S9_S9_S9_S9_S9_S9_S9_S9_EEEEPSB_SM_NS0_5tupleIJNSE_INS8_ISJ_NS7_16discard_iteratorINS7_11use_defaultEEES9_S9_S9_S9_S9_S9_S9_S9_EEEESB_EEENSN_IJSM_SM_EEESB_PlJNSF_9not_fun_tINSF_14equal_to_valueISA_EEEEEEE10hipError_tPvRmT3_T4_T5_T6_T7_T9_mT8_P12ihipStream_tbDpT10_ENKUlT_T0_E_clISt17integral_constantIbLb0EES1I_IbLb1EEEEDaS1E_S1F_EUlS1E_E_NS1_11comp_targetILNS1_3genE3ELNS1_11target_archE908ELNS1_3gpuE7ELNS1_3repE0EEENS1_30default_config_static_selectorELNS0_4arch9wavefront6targetE0EEEvT1_.numbered_sgpr, 0
	.set _ZN7rocprim17ROCPRIM_400000_NS6detail17trampoline_kernelINS0_14default_configENS1_25partition_config_selectorILNS1_17partition_subalgoE6EN6thrust23THRUST_200600_302600_NS5tupleIffNS7_9null_typeES9_S9_S9_S9_S9_S9_S9_EENS0_10empty_typeEbEEZZNS1_14partition_implILS5_6ELb0ES3_mNS7_12zip_iteratorINS8_INS7_6detail15normal_iteratorINS7_10device_ptrIfEEEESJ_S9_S9_S9_S9_S9_S9_S9_S9_EEEEPSB_SM_NS0_5tupleIJNSE_INS8_ISJ_NS7_16discard_iteratorINS7_11use_defaultEEES9_S9_S9_S9_S9_S9_S9_S9_EEEESB_EEENSN_IJSM_SM_EEESB_PlJNSF_9not_fun_tINSF_14equal_to_valueISA_EEEEEEE10hipError_tPvRmT3_T4_T5_T6_T7_T9_mT8_P12ihipStream_tbDpT10_ENKUlT_T0_E_clISt17integral_constantIbLb0EES1I_IbLb1EEEEDaS1E_S1F_EUlS1E_E_NS1_11comp_targetILNS1_3genE3ELNS1_11target_archE908ELNS1_3gpuE7ELNS1_3repE0EEENS1_30default_config_static_selectorELNS0_4arch9wavefront6targetE0EEEvT1_.num_named_barrier, 0
	.set _ZN7rocprim17ROCPRIM_400000_NS6detail17trampoline_kernelINS0_14default_configENS1_25partition_config_selectorILNS1_17partition_subalgoE6EN6thrust23THRUST_200600_302600_NS5tupleIffNS7_9null_typeES9_S9_S9_S9_S9_S9_S9_EENS0_10empty_typeEbEEZZNS1_14partition_implILS5_6ELb0ES3_mNS7_12zip_iteratorINS8_INS7_6detail15normal_iteratorINS7_10device_ptrIfEEEESJ_S9_S9_S9_S9_S9_S9_S9_S9_EEEEPSB_SM_NS0_5tupleIJNSE_INS8_ISJ_NS7_16discard_iteratorINS7_11use_defaultEEES9_S9_S9_S9_S9_S9_S9_S9_EEEESB_EEENSN_IJSM_SM_EEESB_PlJNSF_9not_fun_tINSF_14equal_to_valueISA_EEEEEEE10hipError_tPvRmT3_T4_T5_T6_T7_T9_mT8_P12ihipStream_tbDpT10_ENKUlT_T0_E_clISt17integral_constantIbLb0EES1I_IbLb1EEEEDaS1E_S1F_EUlS1E_E_NS1_11comp_targetILNS1_3genE3ELNS1_11target_archE908ELNS1_3gpuE7ELNS1_3repE0EEENS1_30default_config_static_selectorELNS0_4arch9wavefront6targetE0EEEvT1_.private_seg_size, 0
	.set _ZN7rocprim17ROCPRIM_400000_NS6detail17trampoline_kernelINS0_14default_configENS1_25partition_config_selectorILNS1_17partition_subalgoE6EN6thrust23THRUST_200600_302600_NS5tupleIffNS7_9null_typeES9_S9_S9_S9_S9_S9_S9_EENS0_10empty_typeEbEEZZNS1_14partition_implILS5_6ELb0ES3_mNS7_12zip_iteratorINS8_INS7_6detail15normal_iteratorINS7_10device_ptrIfEEEESJ_S9_S9_S9_S9_S9_S9_S9_S9_EEEEPSB_SM_NS0_5tupleIJNSE_INS8_ISJ_NS7_16discard_iteratorINS7_11use_defaultEEES9_S9_S9_S9_S9_S9_S9_S9_EEEESB_EEENSN_IJSM_SM_EEESB_PlJNSF_9not_fun_tINSF_14equal_to_valueISA_EEEEEEE10hipError_tPvRmT3_T4_T5_T6_T7_T9_mT8_P12ihipStream_tbDpT10_ENKUlT_T0_E_clISt17integral_constantIbLb0EES1I_IbLb1EEEEDaS1E_S1F_EUlS1E_E_NS1_11comp_targetILNS1_3genE3ELNS1_11target_archE908ELNS1_3gpuE7ELNS1_3repE0EEENS1_30default_config_static_selectorELNS0_4arch9wavefront6targetE0EEEvT1_.uses_vcc, 0
	.set _ZN7rocprim17ROCPRIM_400000_NS6detail17trampoline_kernelINS0_14default_configENS1_25partition_config_selectorILNS1_17partition_subalgoE6EN6thrust23THRUST_200600_302600_NS5tupleIffNS7_9null_typeES9_S9_S9_S9_S9_S9_S9_EENS0_10empty_typeEbEEZZNS1_14partition_implILS5_6ELb0ES3_mNS7_12zip_iteratorINS8_INS7_6detail15normal_iteratorINS7_10device_ptrIfEEEESJ_S9_S9_S9_S9_S9_S9_S9_S9_EEEEPSB_SM_NS0_5tupleIJNSE_INS8_ISJ_NS7_16discard_iteratorINS7_11use_defaultEEES9_S9_S9_S9_S9_S9_S9_S9_EEEESB_EEENSN_IJSM_SM_EEESB_PlJNSF_9not_fun_tINSF_14equal_to_valueISA_EEEEEEE10hipError_tPvRmT3_T4_T5_T6_T7_T9_mT8_P12ihipStream_tbDpT10_ENKUlT_T0_E_clISt17integral_constantIbLb0EES1I_IbLb1EEEEDaS1E_S1F_EUlS1E_E_NS1_11comp_targetILNS1_3genE3ELNS1_11target_archE908ELNS1_3gpuE7ELNS1_3repE0EEENS1_30default_config_static_selectorELNS0_4arch9wavefront6targetE0EEEvT1_.uses_flat_scratch, 0
	.set _ZN7rocprim17ROCPRIM_400000_NS6detail17trampoline_kernelINS0_14default_configENS1_25partition_config_selectorILNS1_17partition_subalgoE6EN6thrust23THRUST_200600_302600_NS5tupleIffNS7_9null_typeES9_S9_S9_S9_S9_S9_S9_EENS0_10empty_typeEbEEZZNS1_14partition_implILS5_6ELb0ES3_mNS7_12zip_iteratorINS8_INS7_6detail15normal_iteratorINS7_10device_ptrIfEEEESJ_S9_S9_S9_S9_S9_S9_S9_S9_EEEEPSB_SM_NS0_5tupleIJNSE_INS8_ISJ_NS7_16discard_iteratorINS7_11use_defaultEEES9_S9_S9_S9_S9_S9_S9_S9_EEEESB_EEENSN_IJSM_SM_EEESB_PlJNSF_9not_fun_tINSF_14equal_to_valueISA_EEEEEEE10hipError_tPvRmT3_T4_T5_T6_T7_T9_mT8_P12ihipStream_tbDpT10_ENKUlT_T0_E_clISt17integral_constantIbLb0EES1I_IbLb1EEEEDaS1E_S1F_EUlS1E_E_NS1_11comp_targetILNS1_3genE3ELNS1_11target_archE908ELNS1_3gpuE7ELNS1_3repE0EEENS1_30default_config_static_selectorELNS0_4arch9wavefront6targetE0EEEvT1_.has_dyn_sized_stack, 0
	.set _ZN7rocprim17ROCPRIM_400000_NS6detail17trampoline_kernelINS0_14default_configENS1_25partition_config_selectorILNS1_17partition_subalgoE6EN6thrust23THRUST_200600_302600_NS5tupleIffNS7_9null_typeES9_S9_S9_S9_S9_S9_S9_EENS0_10empty_typeEbEEZZNS1_14partition_implILS5_6ELb0ES3_mNS7_12zip_iteratorINS8_INS7_6detail15normal_iteratorINS7_10device_ptrIfEEEESJ_S9_S9_S9_S9_S9_S9_S9_S9_EEEEPSB_SM_NS0_5tupleIJNSE_INS8_ISJ_NS7_16discard_iteratorINS7_11use_defaultEEES9_S9_S9_S9_S9_S9_S9_S9_EEEESB_EEENSN_IJSM_SM_EEESB_PlJNSF_9not_fun_tINSF_14equal_to_valueISA_EEEEEEE10hipError_tPvRmT3_T4_T5_T6_T7_T9_mT8_P12ihipStream_tbDpT10_ENKUlT_T0_E_clISt17integral_constantIbLb0EES1I_IbLb1EEEEDaS1E_S1F_EUlS1E_E_NS1_11comp_targetILNS1_3genE3ELNS1_11target_archE908ELNS1_3gpuE7ELNS1_3repE0EEENS1_30default_config_static_selectorELNS0_4arch9wavefront6targetE0EEEvT1_.has_recursion, 0
	.set _ZN7rocprim17ROCPRIM_400000_NS6detail17trampoline_kernelINS0_14default_configENS1_25partition_config_selectorILNS1_17partition_subalgoE6EN6thrust23THRUST_200600_302600_NS5tupleIffNS7_9null_typeES9_S9_S9_S9_S9_S9_S9_EENS0_10empty_typeEbEEZZNS1_14partition_implILS5_6ELb0ES3_mNS7_12zip_iteratorINS8_INS7_6detail15normal_iteratorINS7_10device_ptrIfEEEESJ_S9_S9_S9_S9_S9_S9_S9_S9_EEEEPSB_SM_NS0_5tupleIJNSE_INS8_ISJ_NS7_16discard_iteratorINS7_11use_defaultEEES9_S9_S9_S9_S9_S9_S9_S9_EEEESB_EEENSN_IJSM_SM_EEESB_PlJNSF_9not_fun_tINSF_14equal_to_valueISA_EEEEEEE10hipError_tPvRmT3_T4_T5_T6_T7_T9_mT8_P12ihipStream_tbDpT10_ENKUlT_T0_E_clISt17integral_constantIbLb0EES1I_IbLb1EEEEDaS1E_S1F_EUlS1E_E_NS1_11comp_targetILNS1_3genE3ELNS1_11target_archE908ELNS1_3gpuE7ELNS1_3repE0EEENS1_30default_config_static_selectorELNS0_4arch9wavefront6targetE0EEEvT1_.has_indirect_call, 0
	.section	.AMDGPU.csdata,"",@progbits
; Kernel info:
; codeLenInByte = 0
; TotalNumSgprs: 0
; NumVgprs: 0
; ScratchSize: 0
; MemoryBound: 0
; FloatMode: 240
; IeeeMode: 1
; LDSByteSize: 0 bytes/workgroup (compile time only)
; SGPRBlocks: 0
; VGPRBlocks: 0
; NumSGPRsForWavesPerEU: 1
; NumVGPRsForWavesPerEU: 1
; Occupancy: 16
; WaveLimiterHint : 0
; COMPUTE_PGM_RSRC2:SCRATCH_EN: 0
; COMPUTE_PGM_RSRC2:USER_SGPR: 2
; COMPUTE_PGM_RSRC2:TRAP_HANDLER: 0
; COMPUTE_PGM_RSRC2:TGID_X_EN: 1
; COMPUTE_PGM_RSRC2:TGID_Y_EN: 0
; COMPUTE_PGM_RSRC2:TGID_Z_EN: 0
; COMPUTE_PGM_RSRC2:TIDIG_COMP_CNT: 0
	.section	.text._ZN7rocprim17ROCPRIM_400000_NS6detail17trampoline_kernelINS0_14default_configENS1_25partition_config_selectorILNS1_17partition_subalgoE6EN6thrust23THRUST_200600_302600_NS5tupleIffNS7_9null_typeES9_S9_S9_S9_S9_S9_S9_EENS0_10empty_typeEbEEZZNS1_14partition_implILS5_6ELb0ES3_mNS7_12zip_iteratorINS8_INS7_6detail15normal_iteratorINS7_10device_ptrIfEEEESJ_S9_S9_S9_S9_S9_S9_S9_S9_EEEEPSB_SM_NS0_5tupleIJNSE_INS8_ISJ_NS7_16discard_iteratorINS7_11use_defaultEEES9_S9_S9_S9_S9_S9_S9_S9_EEEESB_EEENSN_IJSM_SM_EEESB_PlJNSF_9not_fun_tINSF_14equal_to_valueISA_EEEEEEE10hipError_tPvRmT3_T4_T5_T6_T7_T9_mT8_P12ihipStream_tbDpT10_ENKUlT_T0_E_clISt17integral_constantIbLb0EES1I_IbLb1EEEEDaS1E_S1F_EUlS1E_E_NS1_11comp_targetILNS1_3genE2ELNS1_11target_archE906ELNS1_3gpuE6ELNS1_3repE0EEENS1_30default_config_static_selectorELNS0_4arch9wavefront6targetE0EEEvT1_,"axG",@progbits,_ZN7rocprim17ROCPRIM_400000_NS6detail17trampoline_kernelINS0_14default_configENS1_25partition_config_selectorILNS1_17partition_subalgoE6EN6thrust23THRUST_200600_302600_NS5tupleIffNS7_9null_typeES9_S9_S9_S9_S9_S9_S9_EENS0_10empty_typeEbEEZZNS1_14partition_implILS5_6ELb0ES3_mNS7_12zip_iteratorINS8_INS7_6detail15normal_iteratorINS7_10device_ptrIfEEEESJ_S9_S9_S9_S9_S9_S9_S9_S9_EEEEPSB_SM_NS0_5tupleIJNSE_INS8_ISJ_NS7_16discard_iteratorINS7_11use_defaultEEES9_S9_S9_S9_S9_S9_S9_S9_EEEESB_EEENSN_IJSM_SM_EEESB_PlJNSF_9not_fun_tINSF_14equal_to_valueISA_EEEEEEE10hipError_tPvRmT3_T4_T5_T6_T7_T9_mT8_P12ihipStream_tbDpT10_ENKUlT_T0_E_clISt17integral_constantIbLb0EES1I_IbLb1EEEEDaS1E_S1F_EUlS1E_E_NS1_11comp_targetILNS1_3genE2ELNS1_11target_archE906ELNS1_3gpuE6ELNS1_3repE0EEENS1_30default_config_static_selectorELNS0_4arch9wavefront6targetE0EEEvT1_,comdat
	.protected	_ZN7rocprim17ROCPRIM_400000_NS6detail17trampoline_kernelINS0_14default_configENS1_25partition_config_selectorILNS1_17partition_subalgoE6EN6thrust23THRUST_200600_302600_NS5tupleIffNS7_9null_typeES9_S9_S9_S9_S9_S9_S9_EENS0_10empty_typeEbEEZZNS1_14partition_implILS5_6ELb0ES3_mNS7_12zip_iteratorINS8_INS7_6detail15normal_iteratorINS7_10device_ptrIfEEEESJ_S9_S9_S9_S9_S9_S9_S9_S9_EEEEPSB_SM_NS0_5tupleIJNSE_INS8_ISJ_NS7_16discard_iteratorINS7_11use_defaultEEES9_S9_S9_S9_S9_S9_S9_S9_EEEESB_EEENSN_IJSM_SM_EEESB_PlJNSF_9not_fun_tINSF_14equal_to_valueISA_EEEEEEE10hipError_tPvRmT3_T4_T5_T6_T7_T9_mT8_P12ihipStream_tbDpT10_ENKUlT_T0_E_clISt17integral_constantIbLb0EES1I_IbLb1EEEEDaS1E_S1F_EUlS1E_E_NS1_11comp_targetILNS1_3genE2ELNS1_11target_archE906ELNS1_3gpuE6ELNS1_3repE0EEENS1_30default_config_static_selectorELNS0_4arch9wavefront6targetE0EEEvT1_ ; -- Begin function _ZN7rocprim17ROCPRIM_400000_NS6detail17trampoline_kernelINS0_14default_configENS1_25partition_config_selectorILNS1_17partition_subalgoE6EN6thrust23THRUST_200600_302600_NS5tupleIffNS7_9null_typeES9_S9_S9_S9_S9_S9_S9_EENS0_10empty_typeEbEEZZNS1_14partition_implILS5_6ELb0ES3_mNS7_12zip_iteratorINS8_INS7_6detail15normal_iteratorINS7_10device_ptrIfEEEESJ_S9_S9_S9_S9_S9_S9_S9_S9_EEEEPSB_SM_NS0_5tupleIJNSE_INS8_ISJ_NS7_16discard_iteratorINS7_11use_defaultEEES9_S9_S9_S9_S9_S9_S9_S9_EEEESB_EEENSN_IJSM_SM_EEESB_PlJNSF_9not_fun_tINSF_14equal_to_valueISA_EEEEEEE10hipError_tPvRmT3_T4_T5_T6_T7_T9_mT8_P12ihipStream_tbDpT10_ENKUlT_T0_E_clISt17integral_constantIbLb0EES1I_IbLb1EEEEDaS1E_S1F_EUlS1E_E_NS1_11comp_targetILNS1_3genE2ELNS1_11target_archE906ELNS1_3gpuE6ELNS1_3repE0EEENS1_30default_config_static_selectorELNS0_4arch9wavefront6targetE0EEEvT1_
	.globl	_ZN7rocprim17ROCPRIM_400000_NS6detail17trampoline_kernelINS0_14default_configENS1_25partition_config_selectorILNS1_17partition_subalgoE6EN6thrust23THRUST_200600_302600_NS5tupleIffNS7_9null_typeES9_S9_S9_S9_S9_S9_S9_EENS0_10empty_typeEbEEZZNS1_14partition_implILS5_6ELb0ES3_mNS7_12zip_iteratorINS8_INS7_6detail15normal_iteratorINS7_10device_ptrIfEEEESJ_S9_S9_S9_S9_S9_S9_S9_S9_EEEEPSB_SM_NS0_5tupleIJNSE_INS8_ISJ_NS7_16discard_iteratorINS7_11use_defaultEEES9_S9_S9_S9_S9_S9_S9_S9_EEEESB_EEENSN_IJSM_SM_EEESB_PlJNSF_9not_fun_tINSF_14equal_to_valueISA_EEEEEEE10hipError_tPvRmT3_T4_T5_T6_T7_T9_mT8_P12ihipStream_tbDpT10_ENKUlT_T0_E_clISt17integral_constantIbLb0EES1I_IbLb1EEEEDaS1E_S1F_EUlS1E_E_NS1_11comp_targetILNS1_3genE2ELNS1_11target_archE906ELNS1_3gpuE6ELNS1_3repE0EEENS1_30default_config_static_selectorELNS0_4arch9wavefront6targetE0EEEvT1_
	.p2align	8
	.type	_ZN7rocprim17ROCPRIM_400000_NS6detail17trampoline_kernelINS0_14default_configENS1_25partition_config_selectorILNS1_17partition_subalgoE6EN6thrust23THRUST_200600_302600_NS5tupleIffNS7_9null_typeES9_S9_S9_S9_S9_S9_S9_EENS0_10empty_typeEbEEZZNS1_14partition_implILS5_6ELb0ES3_mNS7_12zip_iteratorINS8_INS7_6detail15normal_iteratorINS7_10device_ptrIfEEEESJ_S9_S9_S9_S9_S9_S9_S9_S9_EEEEPSB_SM_NS0_5tupleIJNSE_INS8_ISJ_NS7_16discard_iteratorINS7_11use_defaultEEES9_S9_S9_S9_S9_S9_S9_S9_EEEESB_EEENSN_IJSM_SM_EEESB_PlJNSF_9not_fun_tINSF_14equal_to_valueISA_EEEEEEE10hipError_tPvRmT3_T4_T5_T6_T7_T9_mT8_P12ihipStream_tbDpT10_ENKUlT_T0_E_clISt17integral_constantIbLb0EES1I_IbLb1EEEEDaS1E_S1F_EUlS1E_E_NS1_11comp_targetILNS1_3genE2ELNS1_11target_archE906ELNS1_3gpuE6ELNS1_3repE0EEENS1_30default_config_static_selectorELNS0_4arch9wavefront6targetE0EEEvT1_,@function
_ZN7rocprim17ROCPRIM_400000_NS6detail17trampoline_kernelINS0_14default_configENS1_25partition_config_selectorILNS1_17partition_subalgoE6EN6thrust23THRUST_200600_302600_NS5tupleIffNS7_9null_typeES9_S9_S9_S9_S9_S9_S9_EENS0_10empty_typeEbEEZZNS1_14partition_implILS5_6ELb0ES3_mNS7_12zip_iteratorINS8_INS7_6detail15normal_iteratorINS7_10device_ptrIfEEEESJ_S9_S9_S9_S9_S9_S9_S9_S9_EEEEPSB_SM_NS0_5tupleIJNSE_INS8_ISJ_NS7_16discard_iteratorINS7_11use_defaultEEES9_S9_S9_S9_S9_S9_S9_S9_EEEESB_EEENSN_IJSM_SM_EEESB_PlJNSF_9not_fun_tINSF_14equal_to_valueISA_EEEEEEE10hipError_tPvRmT3_T4_T5_T6_T7_T9_mT8_P12ihipStream_tbDpT10_ENKUlT_T0_E_clISt17integral_constantIbLb0EES1I_IbLb1EEEEDaS1E_S1F_EUlS1E_E_NS1_11comp_targetILNS1_3genE2ELNS1_11target_archE906ELNS1_3gpuE6ELNS1_3repE0EEENS1_30default_config_static_selectorELNS0_4arch9wavefront6targetE0EEEvT1_: ; @_ZN7rocprim17ROCPRIM_400000_NS6detail17trampoline_kernelINS0_14default_configENS1_25partition_config_selectorILNS1_17partition_subalgoE6EN6thrust23THRUST_200600_302600_NS5tupleIffNS7_9null_typeES9_S9_S9_S9_S9_S9_S9_EENS0_10empty_typeEbEEZZNS1_14partition_implILS5_6ELb0ES3_mNS7_12zip_iteratorINS8_INS7_6detail15normal_iteratorINS7_10device_ptrIfEEEESJ_S9_S9_S9_S9_S9_S9_S9_S9_EEEEPSB_SM_NS0_5tupleIJNSE_INS8_ISJ_NS7_16discard_iteratorINS7_11use_defaultEEES9_S9_S9_S9_S9_S9_S9_S9_EEEESB_EEENSN_IJSM_SM_EEESB_PlJNSF_9not_fun_tINSF_14equal_to_valueISA_EEEEEEE10hipError_tPvRmT3_T4_T5_T6_T7_T9_mT8_P12ihipStream_tbDpT10_ENKUlT_T0_E_clISt17integral_constantIbLb0EES1I_IbLb1EEEEDaS1E_S1F_EUlS1E_E_NS1_11comp_targetILNS1_3genE2ELNS1_11target_archE906ELNS1_3gpuE6ELNS1_3repE0EEENS1_30default_config_static_selectorELNS0_4arch9wavefront6targetE0EEEvT1_
; %bb.0:
	.section	.rodata,"a",@progbits
	.p2align	6, 0x0
	.amdhsa_kernel _ZN7rocprim17ROCPRIM_400000_NS6detail17trampoline_kernelINS0_14default_configENS1_25partition_config_selectorILNS1_17partition_subalgoE6EN6thrust23THRUST_200600_302600_NS5tupleIffNS7_9null_typeES9_S9_S9_S9_S9_S9_S9_EENS0_10empty_typeEbEEZZNS1_14partition_implILS5_6ELb0ES3_mNS7_12zip_iteratorINS8_INS7_6detail15normal_iteratorINS7_10device_ptrIfEEEESJ_S9_S9_S9_S9_S9_S9_S9_S9_EEEEPSB_SM_NS0_5tupleIJNSE_INS8_ISJ_NS7_16discard_iteratorINS7_11use_defaultEEES9_S9_S9_S9_S9_S9_S9_S9_EEEESB_EEENSN_IJSM_SM_EEESB_PlJNSF_9not_fun_tINSF_14equal_to_valueISA_EEEEEEE10hipError_tPvRmT3_T4_T5_T6_T7_T9_mT8_P12ihipStream_tbDpT10_ENKUlT_T0_E_clISt17integral_constantIbLb0EES1I_IbLb1EEEEDaS1E_S1F_EUlS1E_E_NS1_11comp_targetILNS1_3genE2ELNS1_11target_archE906ELNS1_3gpuE6ELNS1_3repE0EEENS1_30default_config_static_selectorELNS0_4arch9wavefront6targetE0EEEvT1_
		.amdhsa_group_segment_fixed_size 0
		.amdhsa_private_segment_fixed_size 0
		.amdhsa_kernarg_size 152
		.amdhsa_user_sgpr_count 2
		.amdhsa_user_sgpr_dispatch_ptr 0
		.amdhsa_user_sgpr_queue_ptr 0
		.amdhsa_user_sgpr_kernarg_segment_ptr 1
		.amdhsa_user_sgpr_dispatch_id 0
		.amdhsa_user_sgpr_private_segment_size 0
		.amdhsa_wavefront_size32 1
		.amdhsa_uses_dynamic_stack 0
		.amdhsa_enable_private_segment 0
		.amdhsa_system_sgpr_workgroup_id_x 1
		.amdhsa_system_sgpr_workgroup_id_y 0
		.amdhsa_system_sgpr_workgroup_id_z 0
		.amdhsa_system_sgpr_workgroup_info 0
		.amdhsa_system_vgpr_workitem_id 0
		.amdhsa_next_free_vgpr 1
		.amdhsa_next_free_sgpr 1
		.amdhsa_reserve_vcc 0
		.amdhsa_float_round_mode_32 0
		.amdhsa_float_round_mode_16_64 0
		.amdhsa_float_denorm_mode_32 3
		.amdhsa_float_denorm_mode_16_64 3
		.amdhsa_fp16_overflow 0
		.amdhsa_workgroup_processor_mode 1
		.amdhsa_memory_ordered 1
		.amdhsa_forward_progress 1
		.amdhsa_inst_pref_size 0
		.amdhsa_round_robin_scheduling 0
		.amdhsa_exception_fp_ieee_invalid_op 0
		.amdhsa_exception_fp_denorm_src 0
		.amdhsa_exception_fp_ieee_div_zero 0
		.amdhsa_exception_fp_ieee_overflow 0
		.amdhsa_exception_fp_ieee_underflow 0
		.amdhsa_exception_fp_ieee_inexact 0
		.amdhsa_exception_int_div_zero 0
	.end_amdhsa_kernel
	.section	.text._ZN7rocprim17ROCPRIM_400000_NS6detail17trampoline_kernelINS0_14default_configENS1_25partition_config_selectorILNS1_17partition_subalgoE6EN6thrust23THRUST_200600_302600_NS5tupleIffNS7_9null_typeES9_S9_S9_S9_S9_S9_S9_EENS0_10empty_typeEbEEZZNS1_14partition_implILS5_6ELb0ES3_mNS7_12zip_iteratorINS8_INS7_6detail15normal_iteratorINS7_10device_ptrIfEEEESJ_S9_S9_S9_S9_S9_S9_S9_S9_EEEEPSB_SM_NS0_5tupleIJNSE_INS8_ISJ_NS7_16discard_iteratorINS7_11use_defaultEEES9_S9_S9_S9_S9_S9_S9_S9_EEEESB_EEENSN_IJSM_SM_EEESB_PlJNSF_9not_fun_tINSF_14equal_to_valueISA_EEEEEEE10hipError_tPvRmT3_T4_T5_T6_T7_T9_mT8_P12ihipStream_tbDpT10_ENKUlT_T0_E_clISt17integral_constantIbLb0EES1I_IbLb1EEEEDaS1E_S1F_EUlS1E_E_NS1_11comp_targetILNS1_3genE2ELNS1_11target_archE906ELNS1_3gpuE6ELNS1_3repE0EEENS1_30default_config_static_selectorELNS0_4arch9wavefront6targetE0EEEvT1_,"axG",@progbits,_ZN7rocprim17ROCPRIM_400000_NS6detail17trampoline_kernelINS0_14default_configENS1_25partition_config_selectorILNS1_17partition_subalgoE6EN6thrust23THRUST_200600_302600_NS5tupleIffNS7_9null_typeES9_S9_S9_S9_S9_S9_S9_EENS0_10empty_typeEbEEZZNS1_14partition_implILS5_6ELb0ES3_mNS7_12zip_iteratorINS8_INS7_6detail15normal_iteratorINS7_10device_ptrIfEEEESJ_S9_S9_S9_S9_S9_S9_S9_S9_EEEEPSB_SM_NS0_5tupleIJNSE_INS8_ISJ_NS7_16discard_iteratorINS7_11use_defaultEEES9_S9_S9_S9_S9_S9_S9_S9_EEEESB_EEENSN_IJSM_SM_EEESB_PlJNSF_9not_fun_tINSF_14equal_to_valueISA_EEEEEEE10hipError_tPvRmT3_T4_T5_T6_T7_T9_mT8_P12ihipStream_tbDpT10_ENKUlT_T0_E_clISt17integral_constantIbLb0EES1I_IbLb1EEEEDaS1E_S1F_EUlS1E_E_NS1_11comp_targetILNS1_3genE2ELNS1_11target_archE906ELNS1_3gpuE6ELNS1_3repE0EEENS1_30default_config_static_selectorELNS0_4arch9wavefront6targetE0EEEvT1_,comdat
.Lfunc_end1881:
	.size	_ZN7rocprim17ROCPRIM_400000_NS6detail17trampoline_kernelINS0_14default_configENS1_25partition_config_selectorILNS1_17partition_subalgoE6EN6thrust23THRUST_200600_302600_NS5tupleIffNS7_9null_typeES9_S9_S9_S9_S9_S9_S9_EENS0_10empty_typeEbEEZZNS1_14partition_implILS5_6ELb0ES3_mNS7_12zip_iteratorINS8_INS7_6detail15normal_iteratorINS7_10device_ptrIfEEEESJ_S9_S9_S9_S9_S9_S9_S9_S9_EEEEPSB_SM_NS0_5tupleIJNSE_INS8_ISJ_NS7_16discard_iteratorINS7_11use_defaultEEES9_S9_S9_S9_S9_S9_S9_S9_EEEESB_EEENSN_IJSM_SM_EEESB_PlJNSF_9not_fun_tINSF_14equal_to_valueISA_EEEEEEE10hipError_tPvRmT3_T4_T5_T6_T7_T9_mT8_P12ihipStream_tbDpT10_ENKUlT_T0_E_clISt17integral_constantIbLb0EES1I_IbLb1EEEEDaS1E_S1F_EUlS1E_E_NS1_11comp_targetILNS1_3genE2ELNS1_11target_archE906ELNS1_3gpuE6ELNS1_3repE0EEENS1_30default_config_static_selectorELNS0_4arch9wavefront6targetE0EEEvT1_, .Lfunc_end1881-_ZN7rocprim17ROCPRIM_400000_NS6detail17trampoline_kernelINS0_14default_configENS1_25partition_config_selectorILNS1_17partition_subalgoE6EN6thrust23THRUST_200600_302600_NS5tupleIffNS7_9null_typeES9_S9_S9_S9_S9_S9_S9_EENS0_10empty_typeEbEEZZNS1_14partition_implILS5_6ELb0ES3_mNS7_12zip_iteratorINS8_INS7_6detail15normal_iteratorINS7_10device_ptrIfEEEESJ_S9_S9_S9_S9_S9_S9_S9_S9_EEEEPSB_SM_NS0_5tupleIJNSE_INS8_ISJ_NS7_16discard_iteratorINS7_11use_defaultEEES9_S9_S9_S9_S9_S9_S9_S9_EEEESB_EEENSN_IJSM_SM_EEESB_PlJNSF_9not_fun_tINSF_14equal_to_valueISA_EEEEEEE10hipError_tPvRmT3_T4_T5_T6_T7_T9_mT8_P12ihipStream_tbDpT10_ENKUlT_T0_E_clISt17integral_constantIbLb0EES1I_IbLb1EEEEDaS1E_S1F_EUlS1E_E_NS1_11comp_targetILNS1_3genE2ELNS1_11target_archE906ELNS1_3gpuE6ELNS1_3repE0EEENS1_30default_config_static_selectorELNS0_4arch9wavefront6targetE0EEEvT1_
                                        ; -- End function
	.set _ZN7rocprim17ROCPRIM_400000_NS6detail17trampoline_kernelINS0_14default_configENS1_25partition_config_selectorILNS1_17partition_subalgoE6EN6thrust23THRUST_200600_302600_NS5tupleIffNS7_9null_typeES9_S9_S9_S9_S9_S9_S9_EENS0_10empty_typeEbEEZZNS1_14partition_implILS5_6ELb0ES3_mNS7_12zip_iteratorINS8_INS7_6detail15normal_iteratorINS7_10device_ptrIfEEEESJ_S9_S9_S9_S9_S9_S9_S9_S9_EEEEPSB_SM_NS0_5tupleIJNSE_INS8_ISJ_NS7_16discard_iteratorINS7_11use_defaultEEES9_S9_S9_S9_S9_S9_S9_S9_EEEESB_EEENSN_IJSM_SM_EEESB_PlJNSF_9not_fun_tINSF_14equal_to_valueISA_EEEEEEE10hipError_tPvRmT3_T4_T5_T6_T7_T9_mT8_P12ihipStream_tbDpT10_ENKUlT_T0_E_clISt17integral_constantIbLb0EES1I_IbLb1EEEEDaS1E_S1F_EUlS1E_E_NS1_11comp_targetILNS1_3genE2ELNS1_11target_archE906ELNS1_3gpuE6ELNS1_3repE0EEENS1_30default_config_static_selectorELNS0_4arch9wavefront6targetE0EEEvT1_.num_vgpr, 0
	.set _ZN7rocprim17ROCPRIM_400000_NS6detail17trampoline_kernelINS0_14default_configENS1_25partition_config_selectorILNS1_17partition_subalgoE6EN6thrust23THRUST_200600_302600_NS5tupleIffNS7_9null_typeES9_S9_S9_S9_S9_S9_S9_EENS0_10empty_typeEbEEZZNS1_14partition_implILS5_6ELb0ES3_mNS7_12zip_iteratorINS8_INS7_6detail15normal_iteratorINS7_10device_ptrIfEEEESJ_S9_S9_S9_S9_S9_S9_S9_S9_EEEEPSB_SM_NS0_5tupleIJNSE_INS8_ISJ_NS7_16discard_iteratorINS7_11use_defaultEEES9_S9_S9_S9_S9_S9_S9_S9_EEEESB_EEENSN_IJSM_SM_EEESB_PlJNSF_9not_fun_tINSF_14equal_to_valueISA_EEEEEEE10hipError_tPvRmT3_T4_T5_T6_T7_T9_mT8_P12ihipStream_tbDpT10_ENKUlT_T0_E_clISt17integral_constantIbLb0EES1I_IbLb1EEEEDaS1E_S1F_EUlS1E_E_NS1_11comp_targetILNS1_3genE2ELNS1_11target_archE906ELNS1_3gpuE6ELNS1_3repE0EEENS1_30default_config_static_selectorELNS0_4arch9wavefront6targetE0EEEvT1_.num_agpr, 0
	.set _ZN7rocprim17ROCPRIM_400000_NS6detail17trampoline_kernelINS0_14default_configENS1_25partition_config_selectorILNS1_17partition_subalgoE6EN6thrust23THRUST_200600_302600_NS5tupleIffNS7_9null_typeES9_S9_S9_S9_S9_S9_S9_EENS0_10empty_typeEbEEZZNS1_14partition_implILS5_6ELb0ES3_mNS7_12zip_iteratorINS8_INS7_6detail15normal_iteratorINS7_10device_ptrIfEEEESJ_S9_S9_S9_S9_S9_S9_S9_S9_EEEEPSB_SM_NS0_5tupleIJNSE_INS8_ISJ_NS7_16discard_iteratorINS7_11use_defaultEEES9_S9_S9_S9_S9_S9_S9_S9_EEEESB_EEENSN_IJSM_SM_EEESB_PlJNSF_9not_fun_tINSF_14equal_to_valueISA_EEEEEEE10hipError_tPvRmT3_T4_T5_T6_T7_T9_mT8_P12ihipStream_tbDpT10_ENKUlT_T0_E_clISt17integral_constantIbLb0EES1I_IbLb1EEEEDaS1E_S1F_EUlS1E_E_NS1_11comp_targetILNS1_3genE2ELNS1_11target_archE906ELNS1_3gpuE6ELNS1_3repE0EEENS1_30default_config_static_selectorELNS0_4arch9wavefront6targetE0EEEvT1_.numbered_sgpr, 0
	.set _ZN7rocprim17ROCPRIM_400000_NS6detail17trampoline_kernelINS0_14default_configENS1_25partition_config_selectorILNS1_17partition_subalgoE6EN6thrust23THRUST_200600_302600_NS5tupleIffNS7_9null_typeES9_S9_S9_S9_S9_S9_S9_EENS0_10empty_typeEbEEZZNS1_14partition_implILS5_6ELb0ES3_mNS7_12zip_iteratorINS8_INS7_6detail15normal_iteratorINS7_10device_ptrIfEEEESJ_S9_S9_S9_S9_S9_S9_S9_S9_EEEEPSB_SM_NS0_5tupleIJNSE_INS8_ISJ_NS7_16discard_iteratorINS7_11use_defaultEEES9_S9_S9_S9_S9_S9_S9_S9_EEEESB_EEENSN_IJSM_SM_EEESB_PlJNSF_9not_fun_tINSF_14equal_to_valueISA_EEEEEEE10hipError_tPvRmT3_T4_T5_T6_T7_T9_mT8_P12ihipStream_tbDpT10_ENKUlT_T0_E_clISt17integral_constantIbLb0EES1I_IbLb1EEEEDaS1E_S1F_EUlS1E_E_NS1_11comp_targetILNS1_3genE2ELNS1_11target_archE906ELNS1_3gpuE6ELNS1_3repE0EEENS1_30default_config_static_selectorELNS0_4arch9wavefront6targetE0EEEvT1_.num_named_barrier, 0
	.set _ZN7rocprim17ROCPRIM_400000_NS6detail17trampoline_kernelINS0_14default_configENS1_25partition_config_selectorILNS1_17partition_subalgoE6EN6thrust23THRUST_200600_302600_NS5tupleIffNS7_9null_typeES9_S9_S9_S9_S9_S9_S9_EENS0_10empty_typeEbEEZZNS1_14partition_implILS5_6ELb0ES3_mNS7_12zip_iteratorINS8_INS7_6detail15normal_iteratorINS7_10device_ptrIfEEEESJ_S9_S9_S9_S9_S9_S9_S9_S9_EEEEPSB_SM_NS0_5tupleIJNSE_INS8_ISJ_NS7_16discard_iteratorINS7_11use_defaultEEES9_S9_S9_S9_S9_S9_S9_S9_EEEESB_EEENSN_IJSM_SM_EEESB_PlJNSF_9not_fun_tINSF_14equal_to_valueISA_EEEEEEE10hipError_tPvRmT3_T4_T5_T6_T7_T9_mT8_P12ihipStream_tbDpT10_ENKUlT_T0_E_clISt17integral_constantIbLb0EES1I_IbLb1EEEEDaS1E_S1F_EUlS1E_E_NS1_11comp_targetILNS1_3genE2ELNS1_11target_archE906ELNS1_3gpuE6ELNS1_3repE0EEENS1_30default_config_static_selectorELNS0_4arch9wavefront6targetE0EEEvT1_.private_seg_size, 0
	.set _ZN7rocprim17ROCPRIM_400000_NS6detail17trampoline_kernelINS0_14default_configENS1_25partition_config_selectorILNS1_17partition_subalgoE6EN6thrust23THRUST_200600_302600_NS5tupleIffNS7_9null_typeES9_S9_S9_S9_S9_S9_S9_EENS0_10empty_typeEbEEZZNS1_14partition_implILS5_6ELb0ES3_mNS7_12zip_iteratorINS8_INS7_6detail15normal_iteratorINS7_10device_ptrIfEEEESJ_S9_S9_S9_S9_S9_S9_S9_S9_EEEEPSB_SM_NS0_5tupleIJNSE_INS8_ISJ_NS7_16discard_iteratorINS7_11use_defaultEEES9_S9_S9_S9_S9_S9_S9_S9_EEEESB_EEENSN_IJSM_SM_EEESB_PlJNSF_9not_fun_tINSF_14equal_to_valueISA_EEEEEEE10hipError_tPvRmT3_T4_T5_T6_T7_T9_mT8_P12ihipStream_tbDpT10_ENKUlT_T0_E_clISt17integral_constantIbLb0EES1I_IbLb1EEEEDaS1E_S1F_EUlS1E_E_NS1_11comp_targetILNS1_3genE2ELNS1_11target_archE906ELNS1_3gpuE6ELNS1_3repE0EEENS1_30default_config_static_selectorELNS0_4arch9wavefront6targetE0EEEvT1_.uses_vcc, 0
	.set _ZN7rocprim17ROCPRIM_400000_NS6detail17trampoline_kernelINS0_14default_configENS1_25partition_config_selectorILNS1_17partition_subalgoE6EN6thrust23THRUST_200600_302600_NS5tupleIffNS7_9null_typeES9_S9_S9_S9_S9_S9_S9_EENS0_10empty_typeEbEEZZNS1_14partition_implILS5_6ELb0ES3_mNS7_12zip_iteratorINS8_INS7_6detail15normal_iteratorINS7_10device_ptrIfEEEESJ_S9_S9_S9_S9_S9_S9_S9_S9_EEEEPSB_SM_NS0_5tupleIJNSE_INS8_ISJ_NS7_16discard_iteratorINS7_11use_defaultEEES9_S9_S9_S9_S9_S9_S9_S9_EEEESB_EEENSN_IJSM_SM_EEESB_PlJNSF_9not_fun_tINSF_14equal_to_valueISA_EEEEEEE10hipError_tPvRmT3_T4_T5_T6_T7_T9_mT8_P12ihipStream_tbDpT10_ENKUlT_T0_E_clISt17integral_constantIbLb0EES1I_IbLb1EEEEDaS1E_S1F_EUlS1E_E_NS1_11comp_targetILNS1_3genE2ELNS1_11target_archE906ELNS1_3gpuE6ELNS1_3repE0EEENS1_30default_config_static_selectorELNS0_4arch9wavefront6targetE0EEEvT1_.uses_flat_scratch, 0
	.set _ZN7rocprim17ROCPRIM_400000_NS6detail17trampoline_kernelINS0_14default_configENS1_25partition_config_selectorILNS1_17partition_subalgoE6EN6thrust23THRUST_200600_302600_NS5tupleIffNS7_9null_typeES9_S9_S9_S9_S9_S9_S9_EENS0_10empty_typeEbEEZZNS1_14partition_implILS5_6ELb0ES3_mNS7_12zip_iteratorINS8_INS7_6detail15normal_iteratorINS7_10device_ptrIfEEEESJ_S9_S9_S9_S9_S9_S9_S9_S9_EEEEPSB_SM_NS0_5tupleIJNSE_INS8_ISJ_NS7_16discard_iteratorINS7_11use_defaultEEES9_S9_S9_S9_S9_S9_S9_S9_EEEESB_EEENSN_IJSM_SM_EEESB_PlJNSF_9not_fun_tINSF_14equal_to_valueISA_EEEEEEE10hipError_tPvRmT3_T4_T5_T6_T7_T9_mT8_P12ihipStream_tbDpT10_ENKUlT_T0_E_clISt17integral_constantIbLb0EES1I_IbLb1EEEEDaS1E_S1F_EUlS1E_E_NS1_11comp_targetILNS1_3genE2ELNS1_11target_archE906ELNS1_3gpuE6ELNS1_3repE0EEENS1_30default_config_static_selectorELNS0_4arch9wavefront6targetE0EEEvT1_.has_dyn_sized_stack, 0
	.set _ZN7rocprim17ROCPRIM_400000_NS6detail17trampoline_kernelINS0_14default_configENS1_25partition_config_selectorILNS1_17partition_subalgoE6EN6thrust23THRUST_200600_302600_NS5tupleIffNS7_9null_typeES9_S9_S9_S9_S9_S9_S9_EENS0_10empty_typeEbEEZZNS1_14partition_implILS5_6ELb0ES3_mNS7_12zip_iteratorINS8_INS7_6detail15normal_iteratorINS7_10device_ptrIfEEEESJ_S9_S9_S9_S9_S9_S9_S9_S9_EEEEPSB_SM_NS0_5tupleIJNSE_INS8_ISJ_NS7_16discard_iteratorINS7_11use_defaultEEES9_S9_S9_S9_S9_S9_S9_S9_EEEESB_EEENSN_IJSM_SM_EEESB_PlJNSF_9not_fun_tINSF_14equal_to_valueISA_EEEEEEE10hipError_tPvRmT3_T4_T5_T6_T7_T9_mT8_P12ihipStream_tbDpT10_ENKUlT_T0_E_clISt17integral_constantIbLb0EES1I_IbLb1EEEEDaS1E_S1F_EUlS1E_E_NS1_11comp_targetILNS1_3genE2ELNS1_11target_archE906ELNS1_3gpuE6ELNS1_3repE0EEENS1_30default_config_static_selectorELNS0_4arch9wavefront6targetE0EEEvT1_.has_recursion, 0
	.set _ZN7rocprim17ROCPRIM_400000_NS6detail17trampoline_kernelINS0_14default_configENS1_25partition_config_selectorILNS1_17partition_subalgoE6EN6thrust23THRUST_200600_302600_NS5tupleIffNS7_9null_typeES9_S9_S9_S9_S9_S9_S9_EENS0_10empty_typeEbEEZZNS1_14partition_implILS5_6ELb0ES3_mNS7_12zip_iteratorINS8_INS7_6detail15normal_iteratorINS7_10device_ptrIfEEEESJ_S9_S9_S9_S9_S9_S9_S9_S9_EEEEPSB_SM_NS0_5tupleIJNSE_INS8_ISJ_NS7_16discard_iteratorINS7_11use_defaultEEES9_S9_S9_S9_S9_S9_S9_S9_EEEESB_EEENSN_IJSM_SM_EEESB_PlJNSF_9not_fun_tINSF_14equal_to_valueISA_EEEEEEE10hipError_tPvRmT3_T4_T5_T6_T7_T9_mT8_P12ihipStream_tbDpT10_ENKUlT_T0_E_clISt17integral_constantIbLb0EES1I_IbLb1EEEEDaS1E_S1F_EUlS1E_E_NS1_11comp_targetILNS1_3genE2ELNS1_11target_archE906ELNS1_3gpuE6ELNS1_3repE0EEENS1_30default_config_static_selectorELNS0_4arch9wavefront6targetE0EEEvT1_.has_indirect_call, 0
	.section	.AMDGPU.csdata,"",@progbits
; Kernel info:
; codeLenInByte = 0
; TotalNumSgprs: 0
; NumVgprs: 0
; ScratchSize: 0
; MemoryBound: 0
; FloatMode: 240
; IeeeMode: 1
; LDSByteSize: 0 bytes/workgroup (compile time only)
; SGPRBlocks: 0
; VGPRBlocks: 0
; NumSGPRsForWavesPerEU: 1
; NumVGPRsForWavesPerEU: 1
; Occupancy: 16
; WaveLimiterHint : 0
; COMPUTE_PGM_RSRC2:SCRATCH_EN: 0
; COMPUTE_PGM_RSRC2:USER_SGPR: 2
; COMPUTE_PGM_RSRC2:TRAP_HANDLER: 0
; COMPUTE_PGM_RSRC2:TGID_X_EN: 1
; COMPUTE_PGM_RSRC2:TGID_Y_EN: 0
; COMPUTE_PGM_RSRC2:TGID_Z_EN: 0
; COMPUTE_PGM_RSRC2:TIDIG_COMP_CNT: 0
	.section	.text._ZN7rocprim17ROCPRIM_400000_NS6detail17trampoline_kernelINS0_14default_configENS1_25partition_config_selectorILNS1_17partition_subalgoE6EN6thrust23THRUST_200600_302600_NS5tupleIffNS7_9null_typeES9_S9_S9_S9_S9_S9_S9_EENS0_10empty_typeEbEEZZNS1_14partition_implILS5_6ELb0ES3_mNS7_12zip_iteratorINS8_INS7_6detail15normal_iteratorINS7_10device_ptrIfEEEESJ_S9_S9_S9_S9_S9_S9_S9_S9_EEEEPSB_SM_NS0_5tupleIJNSE_INS8_ISJ_NS7_16discard_iteratorINS7_11use_defaultEEES9_S9_S9_S9_S9_S9_S9_S9_EEEESB_EEENSN_IJSM_SM_EEESB_PlJNSF_9not_fun_tINSF_14equal_to_valueISA_EEEEEEE10hipError_tPvRmT3_T4_T5_T6_T7_T9_mT8_P12ihipStream_tbDpT10_ENKUlT_T0_E_clISt17integral_constantIbLb0EES1I_IbLb1EEEEDaS1E_S1F_EUlS1E_E_NS1_11comp_targetILNS1_3genE10ELNS1_11target_archE1200ELNS1_3gpuE4ELNS1_3repE0EEENS1_30default_config_static_selectorELNS0_4arch9wavefront6targetE0EEEvT1_,"axG",@progbits,_ZN7rocprim17ROCPRIM_400000_NS6detail17trampoline_kernelINS0_14default_configENS1_25partition_config_selectorILNS1_17partition_subalgoE6EN6thrust23THRUST_200600_302600_NS5tupleIffNS7_9null_typeES9_S9_S9_S9_S9_S9_S9_EENS0_10empty_typeEbEEZZNS1_14partition_implILS5_6ELb0ES3_mNS7_12zip_iteratorINS8_INS7_6detail15normal_iteratorINS7_10device_ptrIfEEEESJ_S9_S9_S9_S9_S9_S9_S9_S9_EEEEPSB_SM_NS0_5tupleIJNSE_INS8_ISJ_NS7_16discard_iteratorINS7_11use_defaultEEES9_S9_S9_S9_S9_S9_S9_S9_EEEESB_EEENSN_IJSM_SM_EEESB_PlJNSF_9not_fun_tINSF_14equal_to_valueISA_EEEEEEE10hipError_tPvRmT3_T4_T5_T6_T7_T9_mT8_P12ihipStream_tbDpT10_ENKUlT_T0_E_clISt17integral_constantIbLb0EES1I_IbLb1EEEEDaS1E_S1F_EUlS1E_E_NS1_11comp_targetILNS1_3genE10ELNS1_11target_archE1200ELNS1_3gpuE4ELNS1_3repE0EEENS1_30default_config_static_selectorELNS0_4arch9wavefront6targetE0EEEvT1_,comdat
	.protected	_ZN7rocprim17ROCPRIM_400000_NS6detail17trampoline_kernelINS0_14default_configENS1_25partition_config_selectorILNS1_17partition_subalgoE6EN6thrust23THRUST_200600_302600_NS5tupleIffNS7_9null_typeES9_S9_S9_S9_S9_S9_S9_EENS0_10empty_typeEbEEZZNS1_14partition_implILS5_6ELb0ES3_mNS7_12zip_iteratorINS8_INS7_6detail15normal_iteratorINS7_10device_ptrIfEEEESJ_S9_S9_S9_S9_S9_S9_S9_S9_EEEEPSB_SM_NS0_5tupleIJNSE_INS8_ISJ_NS7_16discard_iteratorINS7_11use_defaultEEES9_S9_S9_S9_S9_S9_S9_S9_EEEESB_EEENSN_IJSM_SM_EEESB_PlJNSF_9not_fun_tINSF_14equal_to_valueISA_EEEEEEE10hipError_tPvRmT3_T4_T5_T6_T7_T9_mT8_P12ihipStream_tbDpT10_ENKUlT_T0_E_clISt17integral_constantIbLb0EES1I_IbLb1EEEEDaS1E_S1F_EUlS1E_E_NS1_11comp_targetILNS1_3genE10ELNS1_11target_archE1200ELNS1_3gpuE4ELNS1_3repE0EEENS1_30default_config_static_selectorELNS0_4arch9wavefront6targetE0EEEvT1_ ; -- Begin function _ZN7rocprim17ROCPRIM_400000_NS6detail17trampoline_kernelINS0_14default_configENS1_25partition_config_selectorILNS1_17partition_subalgoE6EN6thrust23THRUST_200600_302600_NS5tupleIffNS7_9null_typeES9_S9_S9_S9_S9_S9_S9_EENS0_10empty_typeEbEEZZNS1_14partition_implILS5_6ELb0ES3_mNS7_12zip_iteratorINS8_INS7_6detail15normal_iteratorINS7_10device_ptrIfEEEESJ_S9_S9_S9_S9_S9_S9_S9_S9_EEEEPSB_SM_NS0_5tupleIJNSE_INS8_ISJ_NS7_16discard_iteratorINS7_11use_defaultEEES9_S9_S9_S9_S9_S9_S9_S9_EEEESB_EEENSN_IJSM_SM_EEESB_PlJNSF_9not_fun_tINSF_14equal_to_valueISA_EEEEEEE10hipError_tPvRmT3_T4_T5_T6_T7_T9_mT8_P12ihipStream_tbDpT10_ENKUlT_T0_E_clISt17integral_constantIbLb0EES1I_IbLb1EEEEDaS1E_S1F_EUlS1E_E_NS1_11comp_targetILNS1_3genE10ELNS1_11target_archE1200ELNS1_3gpuE4ELNS1_3repE0EEENS1_30default_config_static_selectorELNS0_4arch9wavefront6targetE0EEEvT1_
	.globl	_ZN7rocprim17ROCPRIM_400000_NS6detail17trampoline_kernelINS0_14default_configENS1_25partition_config_selectorILNS1_17partition_subalgoE6EN6thrust23THRUST_200600_302600_NS5tupleIffNS7_9null_typeES9_S9_S9_S9_S9_S9_S9_EENS0_10empty_typeEbEEZZNS1_14partition_implILS5_6ELb0ES3_mNS7_12zip_iteratorINS8_INS7_6detail15normal_iteratorINS7_10device_ptrIfEEEESJ_S9_S9_S9_S9_S9_S9_S9_S9_EEEEPSB_SM_NS0_5tupleIJNSE_INS8_ISJ_NS7_16discard_iteratorINS7_11use_defaultEEES9_S9_S9_S9_S9_S9_S9_S9_EEEESB_EEENSN_IJSM_SM_EEESB_PlJNSF_9not_fun_tINSF_14equal_to_valueISA_EEEEEEE10hipError_tPvRmT3_T4_T5_T6_T7_T9_mT8_P12ihipStream_tbDpT10_ENKUlT_T0_E_clISt17integral_constantIbLb0EES1I_IbLb1EEEEDaS1E_S1F_EUlS1E_E_NS1_11comp_targetILNS1_3genE10ELNS1_11target_archE1200ELNS1_3gpuE4ELNS1_3repE0EEENS1_30default_config_static_selectorELNS0_4arch9wavefront6targetE0EEEvT1_
	.p2align	8
	.type	_ZN7rocprim17ROCPRIM_400000_NS6detail17trampoline_kernelINS0_14default_configENS1_25partition_config_selectorILNS1_17partition_subalgoE6EN6thrust23THRUST_200600_302600_NS5tupleIffNS7_9null_typeES9_S9_S9_S9_S9_S9_S9_EENS0_10empty_typeEbEEZZNS1_14partition_implILS5_6ELb0ES3_mNS7_12zip_iteratorINS8_INS7_6detail15normal_iteratorINS7_10device_ptrIfEEEESJ_S9_S9_S9_S9_S9_S9_S9_S9_EEEEPSB_SM_NS0_5tupleIJNSE_INS8_ISJ_NS7_16discard_iteratorINS7_11use_defaultEEES9_S9_S9_S9_S9_S9_S9_S9_EEEESB_EEENSN_IJSM_SM_EEESB_PlJNSF_9not_fun_tINSF_14equal_to_valueISA_EEEEEEE10hipError_tPvRmT3_T4_T5_T6_T7_T9_mT8_P12ihipStream_tbDpT10_ENKUlT_T0_E_clISt17integral_constantIbLb0EES1I_IbLb1EEEEDaS1E_S1F_EUlS1E_E_NS1_11comp_targetILNS1_3genE10ELNS1_11target_archE1200ELNS1_3gpuE4ELNS1_3repE0EEENS1_30default_config_static_selectorELNS0_4arch9wavefront6targetE0EEEvT1_,@function
_ZN7rocprim17ROCPRIM_400000_NS6detail17trampoline_kernelINS0_14default_configENS1_25partition_config_selectorILNS1_17partition_subalgoE6EN6thrust23THRUST_200600_302600_NS5tupleIffNS7_9null_typeES9_S9_S9_S9_S9_S9_S9_EENS0_10empty_typeEbEEZZNS1_14partition_implILS5_6ELb0ES3_mNS7_12zip_iteratorINS8_INS7_6detail15normal_iteratorINS7_10device_ptrIfEEEESJ_S9_S9_S9_S9_S9_S9_S9_S9_EEEEPSB_SM_NS0_5tupleIJNSE_INS8_ISJ_NS7_16discard_iteratorINS7_11use_defaultEEES9_S9_S9_S9_S9_S9_S9_S9_EEEESB_EEENSN_IJSM_SM_EEESB_PlJNSF_9not_fun_tINSF_14equal_to_valueISA_EEEEEEE10hipError_tPvRmT3_T4_T5_T6_T7_T9_mT8_P12ihipStream_tbDpT10_ENKUlT_T0_E_clISt17integral_constantIbLb0EES1I_IbLb1EEEEDaS1E_S1F_EUlS1E_E_NS1_11comp_targetILNS1_3genE10ELNS1_11target_archE1200ELNS1_3gpuE4ELNS1_3repE0EEENS1_30default_config_static_selectorELNS0_4arch9wavefront6targetE0EEEvT1_: ; @_ZN7rocprim17ROCPRIM_400000_NS6detail17trampoline_kernelINS0_14default_configENS1_25partition_config_selectorILNS1_17partition_subalgoE6EN6thrust23THRUST_200600_302600_NS5tupleIffNS7_9null_typeES9_S9_S9_S9_S9_S9_S9_EENS0_10empty_typeEbEEZZNS1_14partition_implILS5_6ELb0ES3_mNS7_12zip_iteratorINS8_INS7_6detail15normal_iteratorINS7_10device_ptrIfEEEESJ_S9_S9_S9_S9_S9_S9_S9_S9_EEEEPSB_SM_NS0_5tupleIJNSE_INS8_ISJ_NS7_16discard_iteratorINS7_11use_defaultEEES9_S9_S9_S9_S9_S9_S9_S9_EEEESB_EEENSN_IJSM_SM_EEESB_PlJNSF_9not_fun_tINSF_14equal_to_valueISA_EEEEEEE10hipError_tPvRmT3_T4_T5_T6_T7_T9_mT8_P12ihipStream_tbDpT10_ENKUlT_T0_E_clISt17integral_constantIbLb0EES1I_IbLb1EEEEDaS1E_S1F_EUlS1E_E_NS1_11comp_targetILNS1_3genE10ELNS1_11target_archE1200ELNS1_3gpuE4ELNS1_3repE0EEENS1_30default_config_static_selectorELNS0_4arch9wavefront6targetE0EEEvT1_
; %bb.0:
	s_clause 0x6
	s_load_b128 s[4:7], s[0:1], 0x8
	s_load_b64 s[20:21], s[0:1], 0x18
	s_load_b64 s[10:11], s[0:1], 0x30
	s_load_b128 s[12:15], s[0:1], 0x58
	s_load_b64 s[8:9], s[0:1], 0x68
	s_load_b64 s[16:17], s[0:1], 0x78
	s_load_b64 s[18:19], s[0:1], 0x90
	v_cmp_eq_u32_e64 s2, 0, v0
	s_and_saveexec_b32 s3, s2
	s_cbranch_execz .LBB1882_4
; %bb.1:
	s_mov_b32 s23, exec_lo
	s_mov_b32 s22, exec_lo
	v_mbcnt_lo_u32_b32 v1, s23, 0
                                        ; implicit-def: $vgpr2
	s_delay_alu instid0(VALU_DEP_1)
	v_cmpx_eq_u32_e32 0, v1
	s_cbranch_execz .LBB1882_3
; %bb.2:
	s_load_b64 s[24:25], s[0:1], 0x88
	s_bcnt1_i32_b32 s23, s23
	s_wait_alu 0xfffe
	v_dual_mov_b32 v2, 0 :: v_dual_mov_b32 v3, s23
	s_wait_kmcnt 0x0
	global_atomic_add_u32 v2, v2, v3, s[24:25] th:TH_ATOMIC_RETURN scope:SCOPE_DEV
.LBB1882_3:
	s_or_b32 exec_lo, exec_lo, s22
	s_wait_loadcnt 0x0
	v_readfirstlane_b32 s22, v2
	s_wait_alu 0xf1ff
	s_delay_alu instid0(VALU_DEP_1)
	v_dual_mov_b32 v2, 0 :: v_dual_add_nc_u32 v1, s22, v1
	ds_store_b32 v2, v1
.LBB1882_4:
	s_or_b32 exec_lo, exec_lo, s3
	v_mov_b32_e32 v1, 0
	s_wait_dscnt 0x0
	s_barrier_signal -1
	s_barrier_wait -1
	global_inv scope:SCOPE_SE
	ds_load_b32 v2, v1
	s_wait_loadcnt_dscnt 0x0
	s_barrier_signal -1
	s_barrier_wait -1
	global_inv scope:SCOPE_SE
	s_wait_kmcnt 0x0
	global_load_b64 v[17:18], v1, s[14:15]
	s_load_b32 s0, s[0:1], 0x80
	s_lshl_b64 s[14:15], s[20:21], 2
	s_mov_b32 s25, 0
	s_add_nc_u64 s[4:5], s[4:5], s[14:15]
	s_add_nc_u64 s[22:23], s[6:7], s[14:15]
	v_lshlrev_b32_e32 v9, 2, v0
	v_lshrrev_b32_e32 v10, 2, v0
	v_or_b32_e32 v12, 0x200, v0
	v_or_b32_e32 v11, 0x300, v0
	v_readfirstlane_b32 s15, v2
	s_wait_kmcnt 0x0
	s_lshl_b32 s24, s0, 10
	s_add_co_i32 s6, s0, -1
	s_add_nc_u64 s[0:1], s[20:21], s[24:25]
	s_lshl_b32 s3, s6, 10
	v_cmp_le_u64_e64 s0, s[8:9], s[0:1]
	s_add_co_i32 s3, s20, s3
	s_cmp_eq_u32 s15, s6
	s_mov_b32 s6, -1
	s_cselect_b32 s9, -1, 0
	s_lshl_b32 s24, s15, 10
	s_wait_alu 0xfffe
	s_and_b32 s0, s0, s9
	s_lshl_b64 s[20:21], s[24:25], 2
	s_wait_alu 0xfffe
	s_xor_b32 s14, s0, -1
	s_add_nc_u64 s[0:1], s[4:5], s[20:21]
	s_and_b32 vcc_lo, exec_lo, s14
	s_add_nc_u64 s[4:5], s[22:23], s[20:21]
	s_cbranch_vccz .LBB1882_6
; %bb.5:
	s_clause 0x7
	global_load_b32 v1, v9, s[0:1]
	global_load_b32 v2, v9, s[4:5]
	global_load_b32 v3, v9, s[0:1] offset:1024
	global_load_b32 v4, v9, s[4:5] offset:1024
	;; [unrolled: 1-line block ×6, first 2 shown]
	v_or_b32_e32 v13, 0x100, v0
	v_lshrrev_b32_e32 v14, 2, v12
	v_lshrrev_b32_e32 v15, 2, v11
	v_and_b32_e32 v16, 56, v10
	v_lshlrev_b32_e32 v19, 3, v0
	v_lshrrev_b32_e32 v13, 2, v13
	v_and_b32_e32 v14, 0xb8, v14
	v_and_b32_e32 v15, 0xf8, v15
	s_mov_b32 s6, 0
	v_add_nc_u32_e32 v16, v16, v19
	v_and_b32_e32 v13, 0x78, v13
	v_add_nc_u32_e32 v14, v14, v19
	v_add_nc_u32_e32 v15, v15, v19
	s_delay_alu instid0(VALU_DEP_3)
	v_add_nc_u32_e32 v13, v13, v19
	s_wait_loadcnt 0x6
	ds_store_b64 v16, v[1:2]
	s_wait_loadcnt 0x4
	ds_store_b64 v13, v[3:4] offset:2048
	s_wait_loadcnt 0x2
	ds_store_b64 v14, v[5:6] offset:4096
	;; [unrolled: 2-line block ×3, first 2 shown]
	s_wait_dscnt 0x0
	s_barrier_signal -1
	s_barrier_wait -1
.LBB1882_6:
	s_and_not1_b32 vcc_lo, exec_lo, s6
	s_sub_co_i32 s20, s8, s3
	s_cbranch_vccnz .LBB1882_16
; %bb.7:
	v_dual_mov_b32 v2, 0 :: v_dual_mov_b32 v3, 0
	v_mov_b32_e32 v4, 0
	s_mov_b32 s3, exec_lo
	v_cmpx_gt_u32_e64 s20, v0
	s_cbranch_execz .LBB1882_9
; %bb.8:
	s_clause 0x1
	global_load_b32 v3, v9, s[0:1]
	global_load_b32 v4, v9, s[4:5]
.LBB1882_9:
	s_or_b32 exec_lo, exec_lo, s3
	v_or_b32_e32 v13, 0x100, v0
	v_mov_b32_e32 v1, 0
	s_mov_b32 s3, exec_lo
	s_delay_alu instid0(VALU_DEP_2)
	v_cmpx_gt_u32_e64 s20, v13
	s_cbranch_execz .LBB1882_11
; %bb.10:
	s_clause 0x1
	global_load_b32 v1, v9, s[0:1] offset:1024
	global_load_b32 v2, v9, s[4:5] offset:1024
.LBB1882_11:
	s_or_b32 exec_lo, exec_lo, s3
	v_dual_mov_b32 v6, 0 :: v_dual_mov_b32 v7, 0
	v_mov_b32_e32 v8, 0
	s_mov_b32 s3, exec_lo
	v_cmpx_gt_u32_e64 s20, v12
	s_cbranch_execz .LBB1882_13
; %bb.12:
	s_clause 0x1
	global_load_b32 v7, v9, s[0:1] offset:2048
	global_load_b32 v8, v9, s[4:5] offset:2048
.LBB1882_13:
	s_or_b32 exec_lo, exec_lo, s3
	v_mov_b32_e32 v5, 0
	s_mov_b32 s3, exec_lo
	v_cmpx_gt_u32_e64 s20, v11
	s_cbranch_execz .LBB1882_15
; %bb.14:
	s_clause 0x1
	global_load_b32 v5, v9, s[0:1] offset:3072
	global_load_b32 v6, v9, s[4:5] offset:3072
.LBB1882_15:
	s_or_b32 exec_lo, exec_lo, s3
	v_lshrrev_b32_e32 v13, 2, v13
	v_lshrrev_b32_e32 v12, 2, v12
	;; [unrolled: 1-line block ×3, first 2 shown]
	v_and_b32_e32 v10, 56, v10
	v_lshlrev_b32_e32 v14, 3, v0
	v_and_b32_e32 v13, 0x78, v13
	v_and_b32_e32 v12, 0xf8, v12
	;; [unrolled: 1-line block ×3, first 2 shown]
	s_delay_alu instid0(VALU_DEP_4) | instskip(NEXT) | instid1(VALU_DEP_4)
	v_add_nc_u32_e32 v10, v10, v14
	v_add_nc_u32_e32 v13, v13, v14
	s_delay_alu instid0(VALU_DEP_4) | instskip(NEXT) | instid1(VALU_DEP_4)
	v_add_nc_u32_e32 v12, v12, v14
	v_add_nc_u32_e32 v11, v11, v14
	s_wait_loadcnt 0x0
	ds_store_b64 v10, v[3:4]
	ds_store_b64 v13, v[1:2] offset:2048
	ds_store_b64 v12, v[7:8] offset:4096
	;; [unrolled: 1-line block ×3, first 2 shown]
	s_wait_dscnt 0x0
	s_barrier_signal -1
	s_barrier_wait -1
.LBB1882_16:
	v_and_b32_e32 v1, 0xf8, v0
	s_wait_loadcnt 0x0
	global_inv scope:SCOPE_SE
	s_and_not1_b32 vcc_lo, exec_lo, s14
	v_lshl_add_u32 v5, v0, 5, v1
	ds_load_2addr_b64 v[1:4], v5 offset1:3
	ds_load_2addr_b64 v[5:8], v5 offset0:1 offset1:2
	s_wait_loadcnt_dscnt 0x0
	s_barrier_signal -1
	s_barrier_wait -1
	global_inv scope:SCOPE_SE
	v_cmp_neq_f32_e64 s0, s18, v1
	v_cmp_neq_f32_e64 s3, s19, v2
	;; [unrolled: 1-line block ×8, first 2 shown]
	s_cbranch_vccnz .LBB1882_18
; %bb.17:
	s_or_b32 s6, s6, s8
	s_or_b32 s5, s5, s7
	v_cndmask_b32_e64 v27, 0, 1, s6
	v_cndmask_b32_e64 v10, 0, 1, s5
	s_wait_alu 0xfffe
	s_or_b32 s0, s0, s3
	s_or_b32 s5, s1, s4
	s_wait_alu 0xfffe
	v_cndmask_b32_e64 v29, 0, 1, s0
	v_lshlrev_b16 v11, 8, v27
	s_delay_alu instid0(VALU_DEP_1)
	v_or_b32_e32 v28, v10, v11
	s_cbranch_execz .LBB1882_19
	s_branch .LBB1882_20
.LBB1882_18:
                                        ; implicit-def: $sgpr5
                                        ; implicit-def: $vgpr29
                                        ; implicit-def: $vgpr28
                                        ; implicit-def: $vgpr27
.LBB1882_19:
	v_or_b32_e32 v10, 2, v9
	v_cmp_neq_f32_e32 vcc_lo, s18, v7
	v_cmp_neq_f32_e64 s0, s19, v8
	v_cmp_neq_f32_e64 s3, s18, v5
	;; [unrolled: 1-line block ×3, first 2 shown]
	v_cmp_gt_u32_e64 s1, s20, v10
	v_or_b32_e32 v10, 1, v9
	s_wait_alu 0xfffe
	s_or_b32 s0, vcc_lo, s0
	v_cmp_neq_f32_e32 vcc_lo, s19, v6
	v_or_b32_e32 v12, 3, v9
	s_wait_alu 0xfffe
	s_and_b32 s0, s1, s0
	v_cmp_neq_f32_e64 s1, s18, v1
	s_wait_alu 0xfffe
	v_cndmask_b32_e64 v27, 0, 1, s0
	v_cmp_gt_u32_e64 s0, s20, v10
	s_or_b32 s3, s3, vcc_lo
	v_cmp_neq_f32_e32 vcc_lo, s18, v3
	s_or_b32 s4, s1, s4
	v_cmp_gt_u32_e64 s1, s20, v12
	s_and_b32 s0, s0, s3
	v_cmp_gt_u32_e64 s3, s20, v9
	s_wait_alu 0xfffe
	v_cndmask_b32_e64 v11, 0, 1, s0
	v_cmp_neq_f32_e64 s0, s19, v4
	v_lshlrev_b16 v10, 8, v27
	s_and_b32 s3, s3, s4
	s_or_b32 s0, vcc_lo, s0
	s_delay_alu instid0(VALU_DEP_1)
	v_or_b32_e32 v28, v11, v10
	s_wait_alu 0xfffe
	s_and_b32 s0, s1, s0
	v_cndmask_b32_e64 v29, 0, 1, s3
	s_and_not1_b32 s1, s5, exec_lo
	s_wait_alu 0xfffe
	s_and_b32 s0, s0, exec_lo
	s_wait_alu 0xfffe
	s_or_b32 s5, s1, s0
.LBB1882_20:
	v_and_b32_e32 v32, 0xff, v29
	s_delay_alu instid0(VALU_DEP_2)
	v_dual_mov_b32 v10, 0 :: v_dual_and_b32 v31, 0xff, v28
	s_wait_alu 0xfffe
	v_cndmask_b32_e64 v9, 0, 1, s5
	v_mbcnt_lo_u32_b32 v33, -1, 0
	v_and_b32_e32 v30, 0xff, v27
	s_cmp_lg_u32 s15, 0
	s_mov_b32 s1, -1
	v_add3_u32 v9, v32, v9, v31
	v_and_b32_e32 v34, 15, v33
	s_delay_alu instid0(VALU_DEP_2) | instskip(SKIP_2) | instid1(VALU_DEP_3)
	v_add_co_u32 v19, s0, v9, v30
	s_wait_alu 0xf1ff
	v_add_co_ci_u32_e64 v20, null, 0, 0, s0
	v_cmp_ne_u32_e64 s0, 0, v34
	s_cbranch_scc0 .LBB1882_77
; %bb.21:
	v_mov_b32_e32 v11, v19
	v_mov_b32_dpp v9, v19 row_shr:1 row_mask:0xf bank_mask:0xf
	v_mov_b32_dpp v14, v10 row_shr:1 row_mask:0xf bank_mask:0xf
	v_dual_mov_b32 v13, v19 :: v_dual_mov_b32 v12, v20
	s_and_saveexec_b32 s1, s0
; %bb.22:
	s_delay_alu instid0(VALU_DEP_3) | instskip(NEXT) | instid1(VALU_DEP_1)
	v_add_co_u32 v13, vcc_lo, v19, v9
	v_add_co_ci_u32_e64 v10, null, 0, v20, vcc_lo
	s_delay_alu instid0(VALU_DEP_2) | instskip(SKIP_1) | instid1(VALU_DEP_2)
	v_add_co_u32 v9, vcc_lo, 0, v13
	s_wait_alu 0xfffd
	v_add_co_ci_u32_e64 v10, null, v14, v10, vcc_lo
	s_delay_alu instid0(VALU_DEP_1)
	v_dual_mov_b32 v12, v10 :: v_dual_mov_b32 v11, v9
; %bb.23:
	s_wait_alu 0xfffe
	s_or_b32 exec_lo, exec_lo, s1
	v_mov_b32_dpp v9, v13 row_shr:2 row_mask:0xf bank_mask:0xf
	v_mov_b32_dpp v14, v10 row_shr:2 row_mask:0xf bank_mask:0xf
	s_mov_b32 s1, exec_lo
	v_cmpx_lt_u32_e32 1, v34
; %bb.24:
	s_delay_alu instid0(VALU_DEP_3) | instskip(SKIP_2) | instid1(VALU_DEP_2)
	v_add_co_u32 v13, vcc_lo, v11, v9
	s_wait_alu 0xfffd
	v_add_co_ci_u32_e64 v10, null, 0, v12, vcc_lo
	v_add_co_u32 v9, vcc_lo, 0, v13
	s_wait_alu 0xfffd
	s_delay_alu instid0(VALU_DEP_2) | instskip(NEXT) | instid1(VALU_DEP_1)
	v_add_co_ci_u32_e64 v10, null, v14, v10, vcc_lo
	v_dual_mov_b32 v12, v10 :: v_dual_mov_b32 v11, v9
; %bb.25:
	s_wait_alu 0xfffe
	s_or_b32 exec_lo, exec_lo, s1
	v_mov_b32_dpp v9, v13 row_shr:4 row_mask:0xf bank_mask:0xf
	v_mov_b32_dpp v14, v10 row_shr:4 row_mask:0xf bank_mask:0xf
	s_mov_b32 s1, exec_lo
	v_cmpx_lt_u32_e32 3, v34
; %bb.26:
	s_delay_alu instid0(VALU_DEP_3) | instskip(SKIP_2) | instid1(VALU_DEP_2)
	v_add_co_u32 v13, vcc_lo, v11, v9
	s_wait_alu 0xfffd
	v_add_co_ci_u32_e64 v10, null, 0, v12, vcc_lo
	v_add_co_u32 v9, vcc_lo, 0, v13
	s_wait_alu 0xfffd
	s_delay_alu instid0(VALU_DEP_2) | instskip(NEXT) | instid1(VALU_DEP_1)
	v_add_co_ci_u32_e64 v10, null, v14, v10, vcc_lo
	;; [unrolled: 17-line block ×3, first 2 shown]
	v_mov_b32_e32 v10, v12
; %bb.29:
	s_wait_alu 0xfffe
	s_or_b32 exec_lo, exec_lo, s1
	ds_swizzle_b32 v9, v13 offset:swizzle(BROADCAST,32,15)
	ds_swizzle_b32 v14, v10 offset:swizzle(BROADCAST,32,15)
	v_and_b32_e32 v15, 16, v33
	s_mov_b32 s1, exec_lo
	s_delay_alu instid0(VALU_DEP_1)
	v_cmpx_ne_u32_e32 0, v15
	s_cbranch_execz .LBB1882_31
; %bb.30:
	s_wait_dscnt 0x1
	v_add_co_u32 v13, vcc_lo, v11, v9
	s_wait_alu 0xfffd
	v_add_co_ci_u32_e64 v10, null, 0, v12, vcc_lo
	s_delay_alu instid0(VALU_DEP_2) | instskip(SKIP_2) | instid1(VALU_DEP_2)
	v_add_co_u32 v9, vcc_lo, 0, v13
	s_wait_dscnt 0x0
	s_wait_alu 0xfffd
	v_add_co_ci_u32_e64 v10, null, v14, v10, vcc_lo
	s_delay_alu instid0(VALU_DEP_1)
	v_dual_mov_b32 v12, v10 :: v_dual_mov_b32 v11, v9
.LBB1882_31:
	s_wait_alu 0xfffe
	s_or_b32 exec_lo, exec_lo, s1
	s_wait_dscnt 0x0
	v_or_b32_e32 v14, 31, v0
	v_lshrrev_b32_e32 v9, 5, v0
	s_mov_b32 s1, exec_lo
	s_delay_alu instid0(VALU_DEP_2)
	v_cmpx_eq_u32_e64 v0, v14
; %bb.32:
	s_delay_alu instid0(VALU_DEP_2)
	v_lshlrev_b32_e32 v14, 3, v9
	ds_store_b64 v14, v[11:12]
; %bb.33:
	s_wait_alu 0xfffe
	s_or_b32 exec_lo, exec_lo, s1
	s_delay_alu instid0(SALU_CYCLE_1)
	s_mov_b32 s1, exec_lo
	s_wait_loadcnt_dscnt 0x0
	s_barrier_signal -1
	s_barrier_wait -1
	global_inv scope:SCOPE_SE
	v_cmpx_gt_u32_e32 8, v0
	s_cbranch_execz .LBB1882_41
; %bb.34:
	v_lshlrev_b32_e32 v14, 3, v0
	s_mov_b32 s3, exec_lo
	ds_load_b64 v[11:12], v14
	s_wait_dscnt 0x0
	v_dual_mov_b32 v16, v11 :: v_dual_and_b32 v15, 7, v33
	v_mov_b32_dpp v22, v11 row_shr:1 row_mask:0xf bank_mask:0xf
	v_mov_b32_dpp v21, v12 row_shr:1 row_mask:0xf bank_mask:0xf
	s_delay_alu instid0(VALU_DEP_3)
	v_cmpx_ne_u32_e32 0, v15
; %bb.35:
	s_delay_alu instid0(VALU_DEP_3) | instskip(SKIP_2) | instid1(VALU_DEP_2)
	v_add_co_u32 v16, vcc_lo, v11, v22
	s_wait_alu 0xfffd
	v_add_co_ci_u32_e64 v12, null, 0, v12, vcc_lo
	v_add_co_u32 v11, vcc_lo, 0, v16
	s_wait_alu 0xfffd
	s_delay_alu instid0(VALU_DEP_2)
	v_add_co_ci_u32_e64 v12, null, v21, v12, vcc_lo
; %bb.36:
	s_wait_alu 0xfffe
	s_or_b32 exec_lo, exec_lo, s3
	v_mov_b32_dpp v22, v16 row_shr:2 row_mask:0xf bank_mask:0xf
	s_delay_alu instid0(VALU_DEP_2)
	v_mov_b32_dpp v21, v12 row_shr:2 row_mask:0xf bank_mask:0xf
	s_mov_b32 s3, exec_lo
	v_cmpx_lt_u32_e32 1, v15
; %bb.37:
	s_delay_alu instid0(VALU_DEP_3) | instskip(SKIP_2) | instid1(VALU_DEP_2)
	v_add_co_u32 v16, vcc_lo, v11, v22
	s_wait_alu 0xfffd
	v_add_co_ci_u32_e64 v12, null, 0, v12, vcc_lo
	v_add_co_u32 v11, vcc_lo, 0, v16
	s_wait_alu 0xfffd
	s_delay_alu instid0(VALU_DEP_2)
	v_add_co_ci_u32_e64 v12, null, v21, v12, vcc_lo
; %bb.38:
	s_wait_alu 0xfffe
	s_or_b32 exec_lo, exec_lo, s3
	v_mov_b32_dpp v21, v16 row_shr:4 row_mask:0xf bank_mask:0xf
	s_delay_alu instid0(VALU_DEP_2)
	v_mov_b32_dpp v16, v12 row_shr:4 row_mask:0xf bank_mask:0xf
	s_mov_b32 s3, exec_lo
	v_cmpx_lt_u32_e32 3, v15
; %bb.39:
	s_delay_alu instid0(VALU_DEP_3) | instskip(SKIP_2) | instid1(VALU_DEP_2)
	v_add_co_u32 v11, vcc_lo, v11, v21
	s_wait_alu 0xfffd
	v_add_co_ci_u32_e64 v12, null, 0, v12, vcc_lo
	v_add_co_u32 v11, vcc_lo, v11, 0
	s_wait_alu 0xfffd
	s_delay_alu instid0(VALU_DEP_2)
	v_add_co_ci_u32_e64 v12, null, v12, v16, vcc_lo
; %bb.40:
	s_wait_alu 0xfffe
	s_or_b32 exec_lo, exec_lo, s3
	ds_store_b64 v14, v[11:12]
.LBB1882_41:
	s_wait_alu 0xfffe
	s_or_b32 exec_lo, exec_lo, s1
	s_delay_alu instid0(SALU_CYCLE_1)
	s_mov_b32 s3, exec_lo
	v_cmp_gt_u32_e32 vcc_lo, 32, v0
	s_wait_loadcnt_dscnt 0x0
	s_barrier_signal -1
	s_barrier_wait -1
	global_inv scope:SCOPE_SE
                                        ; implicit-def: $vgpr21_vgpr22
	v_cmpx_lt_u32_e32 31, v0
	s_cbranch_execz .LBB1882_43
; %bb.42:
	v_lshl_add_u32 v9, v9, 3, -8
	ds_load_b64 v[21:22], v9
	s_wait_dscnt 0x0
	v_add_co_u32 v13, s1, v13, v21
	s_wait_alu 0xf1ff
	v_add_co_ci_u32_e64 v10, null, v10, v22, s1
.LBB1882_43:
	s_wait_alu 0xfffe
	s_or_b32 exec_lo, exec_lo, s3
	v_sub_co_u32 v9, s1, v33, 1
	s_delay_alu instid0(VALU_DEP_1) | instskip(SKIP_1) | instid1(VALU_DEP_1)
	v_cmp_gt_i32_e64 s3, 0, v9
	s_wait_alu 0xf1ff
	v_cndmask_b32_e64 v9, v9, v33, s3
	s_delay_alu instid0(VALU_DEP_1)
	v_lshlrev_b32_e32 v9, 2, v9
	ds_bpermute_b32 v35, v9, v13
	ds_bpermute_b32 v36, v9, v10
	s_and_saveexec_b32 s3, vcc_lo
	s_cbranch_execz .LBB1882_82
; %bb.44:
	v_mov_b32_e32 v12, 0
	ds_load_b64 v[9:10], v12 offset:56
	s_and_saveexec_b32 s4, s1
	s_cbranch_execz .LBB1882_46
; %bb.45:
	s_add_co_i32 s6, s15, 32
	s_mov_b32 s7, 0
	s_wait_alu 0xfffe
	s_lshl_b64 s[6:7], s[6:7], 4
	s_wait_alu 0xfffe
	s_add_nc_u64 s[6:7], s[16:17], s[6:7]
	s_wait_alu 0xfffe
	v_dual_mov_b32 v11, 1 :: v_dual_mov_b32 v14, s7
	v_mov_b32_e32 v13, s6
	s_wait_dscnt 0x0
	;;#ASMSTART
	global_store_b128 v[13:14], v[9:12] off scope:SCOPE_DEV	
s_wait_storecnt 0x0
	;;#ASMEND
.LBB1882_46:
	s_wait_alu 0xfffe
	s_or_b32 exec_lo, exec_lo, s4
	v_xad_u32 v23, v33, -1, s15
	s_mov_b32 s6, 0
	s_mov_b32 s4, exec_lo
	s_delay_alu instid0(VALU_DEP_1) | instskip(NEXT) | instid1(VALU_DEP_1)
	v_add_nc_u32_e32 v11, 32, v23
	v_lshlrev_b64_e32 v[11:12], 4, v[11:12]
	s_delay_alu instid0(VALU_DEP_1) | instskip(SKIP_1) | instid1(VALU_DEP_2)
	v_add_co_u32 v11, vcc_lo, s16, v11
	s_wait_alu 0xfffd
	v_add_co_ci_u32_e64 v12, null, s17, v12, vcc_lo
	;;#ASMSTART
	global_load_b128 v[13:16], v[11:12] off scope:SCOPE_DEV	
s_wait_loadcnt 0x0
	;;#ASMEND
	v_and_b32_e32 v16, 0xff, v15
	s_delay_alu instid0(VALU_DEP_1)
	v_cmpx_eq_u16_e32 0, v16
	s_cbranch_execz .LBB1882_49
.LBB1882_47:                            ; =>This Inner Loop Header: Depth=1
	;;#ASMSTART
	global_load_b128 v[13:16], v[11:12] off scope:SCOPE_DEV	
s_wait_loadcnt 0x0
	;;#ASMEND
	v_and_b32_e32 v16, 0xff, v15
	s_delay_alu instid0(VALU_DEP_1)
	v_cmp_ne_u16_e32 vcc_lo, 0, v16
	s_wait_alu 0xfffe
	s_or_b32 s6, vcc_lo, s6
	s_wait_alu 0xfffe
	s_and_not1_b32 exec_lo, exec_lo, s6
	s_cbranch_execnz .LBB1882_47
; %bb.48:
	s_or_b32 exec_lo, exec_lo, s6
.LBB1882_49:
	s_wait_alu 0xfffe
	s_or_b32 exec_lo, exec_lo, s4
	v_cmp_ne_u32_e32 vcc_lo, 31, v33
	v_and_b32_e32 v12, 0xff, v15
	v_lshlrev_b32_e64 v38, v33, -1
	s_mov_b32 s4, exec_lo
	s_wait_alu 0xfffd
	v_add_co_ci_u32_e64 v11, null, 0, v33, vcc_lo
	v_cmp_eq_u16_e32 vcc_lo, 2, v12
	s_delay_alu instid0(VALU_DEP_2)
	v_dual_mov_b32 v12, v13 :: v_dual_lshlrev_b32 v37, 2, v11
	s_wait_alu 0xfffd
	v_and_or_b32 v11, vcc_lo, v38, 0x80000000
	ds_bpermute_b32 v24, v37, v13
	ds_bpermute_b32 v16, v37, v14
	v_ctz_i32_b32_e32 v11, v11
	s_delay_alu instid0(VALU_DEP_1)
	v_cmpx_lt_u32_e64 v33, v11
	s_cbranch_execz .LBB1882_51
; %bb.50:
	s_wait_dscnt 0x1
	v_add_co_u32 v12, vcc_lo, v13, v24
	s_wait_alu 0xfffd
	v_add_co_ci_u32_e64 v14, null, 0, v14, vcc_lo
	s_delay_alu instid0(VALU_DEP_2) | instskip(SKIP_2) | instid1(VALU_DEP_2)
	v_add_co_u32 v13, vcc_lo, 0, v12
	s_wait_dscnt 0x0
	s_wait_alu 0xfffd
	v_add_co_ci_u32_e64 v14, null, v16, v14, vcc_lo
.LBB1882_51:
	s_wait_alu 0xfffe
	s_or_b32 exec_lo, exec_lo, s4
	v_cmp_gt_u32_e32 vcc_lo, 30, v33
	v_add_nc_u32_e32 v40, 2, v33
	s_mov_b32 s4, exec_lo
	s_wait_dscnt 0x0
	s_wait_alu 0xfffd
	v_cndmask_b32_e64 v16, 0, 2, vcc_lo
	s_delay_alu instid0(VALU_DEP_1)
	v_add_lshl_u32 v39, v16, v33, 2
	ds_bpermute_b32 v24, v39, v12
	ds_bpermute_b32 v16, v39, v14
	v_cmpx_le_u32_e64 v40, v11
	s_cbranch_execz .LBB1882_53
; %bb.52:
	s_wait_dscnt 0x1
	v_add_co_u32 v12, vcc_lo, v13, v24
	s_wait_alu 0xfffd
	v_add_co_ci_u32_e64 v14, null, 0, v14, vcc_lo
	s_delay_alu instid0(VALU_DEP_2) | instskip(SKIP_2) | instid1(VALU_DEP_2)
	v_add_co_u32 v13, vcc_lo, 0, v12
	s_wait_dscnt 0x0
	s_wait_alu 0xfffd
	v_add_co_ci_u32_e64 v14, null, v16, v14, vcc_lo
.LBB1882_53:
	s_wait_alu 0xfffe
	s_or_b32 exec_lo, exec_lo, s4
	v_cmp_gt_u32_e32 vcc_lo, 28, v33
	v_add_nc_u32_e32 v42, 4, v33
	s_mov_b32 s4, exec_lo
	s_wait_dscnt 0x0
	s_wait_alu 0xfffd
	v_cndmask_b32_e64 v16, 0, 4, vcc_lo
	s_delay_alu instid0(VALU_DEP_1)
	v_add_lshl_u32 v41, v16, v33, 2
	ds_bpermute_b32 v24, v41, v12
	ds_bpermute_b32 v16, v41, v14
	v_cmpx_le_u32_e64 v42, v11
	;; [unrolled: 25-line block ×3, first 2 shown]
	s_cbranch_execz .LBB1882_57
; %bb.56:
	s_wait_dscnt 0x1
	v_add_co_u32 v12, vcc_lo, v13, v24
	s_wait_alu 0xfffd
	v_add_co_ci_u32_e64 v14, null, 0, v14, vcc_lo
	s_delay_alu instid0(VALU_DEP_2) | instskip(SKIP_2) | instid1(VALU_DEP_2)
	v_add_co_u32 v13, vcc_lo, 0, v12
	s_wait_dscnt 0x0
	s_wait_alu 0xfffd
	v_add_co_ci_u32_e64 v14, null, v16, v14, vcc_lo
.LBB1882_57:
	s_wait_alu 0xfffe
	s_or_b32 exec_lo, exec_lo, s4
	v_lshl_or_b32 v45, v33, 2, 64
	v_add_nc_u32_e32 v46, 16, v33
	s_mov_b32 s4, exec_lo
	s_wait_dscnt 0x0
	ds_bpermute_b32 v16, v45, v12
	ds_bpermute_b32 v12, v45, v14
	v_cmpx_le_u32_e64 v46, v11
	s_cbranch_execz .LBB1882_59
; %bb.58:
	s_wait_dscnt 0x1
	v_add_co_u32 v11, vcc_lo, v13, v16
	s_wait_alu 0xfffd
	v_add_co_ci_u32_e64 v14, null, 0, v14, vcc_lo
	s_delay_alu instid0(VALU_DEP_2) | instskip(SKIP_2) | instid1(VALU_DEP_2)
	v_add_co_u32 v13, vcc_lo, v11, 0
	s_wait_dscnt 0x0
	s_wait_alu 0xfffd
	v_add_co_ci_u32_e64 v14, null, v14, v12, vcc_lo
.LBB1882_59:
	s_wait_alu 0xfffe
	s_or_b32 exec_lo, exec_lo, s4
	v_mov_b32_e32 v24, 0
	s_branch .LBB1882_62
.LBB1882_60:                            ;   in Loop: Header=BB1882_62 Depth=1
	s_wait_alu 0xfffe
	s_or_b32 exec_lo, exec_lo, s4
	v_add_co_u32 v13, vcc_lo, v13, v11
	v_subrev_nc_u32_e32 v23, 32, v23
	s_wait_alu 0xfffd
	v_add_co_ci_u32_e64 v14, null, v14, v12, vcc_lo
	s_mov_b32 s4, 0
.LBB1882_61:                            ;   in Loop: Header=BB1882_62 Depth=1
	s_wait_alu 0xfffe
	s_and_b32 vcc_lo, exec_lo, s4
	s_wait_alu 0xfffe
	s_cbranch_vccnz .LBB1882_78
.LBB1882_62:                            ; =>This Loop Header: Depth=1
                                        ;     Child Loop BB1882_65 Depth 2
	v_and_b32_e32 v11, 0xff, v15
	s_mov_b32 s4, -1
	s_delay_alu instid0(VALU_DEP_1)
	v_cmp_ne_u16_e32 vcc_lo, 2, v11
	s_wait_dscnt 0x0
	v_dual_mov_b32 v11, v13 :: v_dual_mov_b32 v12, v14
                                        ; implicit-def: $vgpr13_vgpr14
	s_cmp_lg_u32 vcc_lo, exec_lo
	s_cbranch_scc1 .LBB1882_61
; %bb.63:                               ;   in Loop: Header=BB1882_62 Depth=1
	v_lshlrev_b64_e32 v[13:14], 4, v[23:24]
	s_mov_b32 s4, exec_lo
	s_delay_alu instid0(VALU_DEP_1) | instskip(SKIP_1) | instid1(VALU_DEP_2)
	v_add_co_u32 v25, vcc_lo, s16, v13
	s_wait_alu 0xfffd
	v_add_co_ci_u32_e64 v26, null, s17, v14, vcc_lo
	;;#ASMSTART
	global_load_b128 v[13:16], v[25:26] off scope:SCOPE_DEV	
s_wait_loadcnt 0x0
	;;#ASMEND
	v_and_b32_e32 v16, 0xff, v15
	s_delay_alu instid0(VALU_DEP_1)
	v_cmpx_eq_u16_e32 0, v16
	s_cbranch_execz .LBB1882_67
; %bb.64:                               ;   in Loop: Header=BB1882_62 Depth=1
	s_mov_b32 s6, 0
.LBB1882_65:                            ;   Parent Loop BB1882_62 Depth=1
                                        ; =>  This Inner Loop Header: Depth=2
	;;#ASMSTART
	global_load_b128 v[13:16], v[25:26] off scope:SCOPE_DEV	
s_wait_loadcnt 0x0
	;;#ASMEND
	v_and_b32_e32 v16, 0xff, v15
	s_delay_alu instid0(VALU_DEP_1)
	v_cmp_ne_u16_e32 vcc_lo, 0, v16
	s_wait_alu 0xfffe
	s_or_b32 s6, vcc_lo, s6
	s_wait_alu 0xfffe
	s_and_not1_b32 exec_lo, exec_lo, s6
	s_cbranch_execnz .LBB1882_65
; %bb.66:                               ;   in Loop: Header=BB1882_62 Depth=1
	s_or_b32 exec_lo, exec_lo, s6
.LBB1882_67:                            ;   in Loop: Header=BB1882_62 Depth=1
	s_wait_alu 0xfffe
	s_or_b32 exec_lo, exec_lo, s4
	v_dual_mov_b32 v25, v13 :: v_dual_and_b32 v16, 0xff, v15
	ds_bpermute_b32 v47, v37, v13
	ds_bpermute_b32 v26, v37, v14
	s_mov_b32 s4, exec_lo
	v_cmp_eq_u16_e32 vcc_lo, 2, v16
	s_wait_alu 0xfffd
	v_and_or_b32 v16, vcc_lo, v38, 0x80000000
	s_delay_alu instid0(VALU_DEP_1) | instskip(NEXT) | instid1(VALU_DEP_1)
	v_ctz_i32_b32_e32 v16, v16
	v_cmpx_lt_u32_e64 v33, v16
	s_cbranch_execz .LBB1882_69
; %bb.68:                               ;   in Loop: Header=BB1882_62 Depth=1
	s_wait_dscnt 0x1
	v_add_co_u32 v25, vcc_lo, v13, v47
	s_wait_alu 0xfffd
	v_add_co_ci_u32_e64 v14, null, 0, v14, vcc_lo
	s_delay_alu instid0(VALU_DEP_2) | instskip(SKIP_2) | instid1(VALU_DEP_2)
	v_add_co_u32 v13, vcc_lo, 0, v25
	s_wait_dscnt 0x0
	s_wait_alu 0xfffd
	v_add_co_ci_u32_e64 v14, null, v26, v14, vcc_lo
.LBB1882_69:                            ;   in Loop: Header=BB1882_62 Depth=1
	s_wait_alu 0xfffe
	s_or_b32 exec_lo, exec_lo, s4
	s_wait_dscnt 0x1
	ds_bpermute_b32 v47, v39, v25
	s_wait_dscnt 0x1
	ds_bpermute_b32 v26, v39, v14
	s_mov_b32 s4, exec_lo
	v_cmpx_le_u32_e64 v40, v16
	s_cbranch_execz .LBB1882_71
; %bb.70:                               ;   in Loop: Header=BB1882_62 Depth=1
	s_wait_dscnt 0x1
	v_add_co_u32 v25, vcc_lo, v13, v47
	s_wait_alu 0xfffd
	v_add_co_ci_u32_e64 v14, null, 0, v14, vcc_lo
	s_delay_alu instid0(VALU_DEP_2) | instskip(SKIP_2) | instid1(VALU_DEP_2)
	v_add_co_u32 v13, vcc_lo, 0, v25
	s_wait_dscnt 0x0
	s_wait_alu 0xfffd
	v_add_co_ci_u32_e64 v14, null, v26, v14, vcc_lo
.LBB1882_71:                            ;   in Loop: Header=BB1882_62 Depth=1
	s_wait_alu 0xfffe
	s_or_b32 exec_lo, exec_lo, s4
	s_wait_dscnt 0x1
	ds_bpermute_b32 v47, v41, v25
	s_wait_dscnt 0x1
	ds_bpermute_b32 v26, v41, v14
	s_mov_b32 s4, exec_lo
	v_cmpx_le_u32_e64 v42, v16
	;; [unrolled: 20-line block ×3, first 2 shown]
	s_cbranch_execz .LBB1882_75
; %bb.74:                               ;   in Loop: Header=BB1882_62 Depth=1
	s_wait_dscnt 0x1
	v_add_co_u32 v25, vcc_lo, v13, v47
	s_wait_alu 0xfffd
	v_add_co_ci_u32_e64 v14, null, 0, v14, vcc_lo
	s_delay_alu instid0(VALU_DEP_2) | instskip(SKIP_2) | instid1(VALU_DEP_2)
	v_add_co_u32 v13, vcc_lo, 0, v25
	s_wait_dscnt 0x0
	s_wait_alu 0xfffd
	v_add_co_ci_u32_e64 v14, null, v26, v14, vcc_lo
.LBB1882_75:                            ;   in Loop: Header=BB1882_62 Depth=1
	s_wait_alu 0xfffe
	s_or_b32 exec_lo, exec_lo, s4
	s_wait_dscnt 0x0
	ds_bpermute_b32 v26, v45, v25
	ds_bpermute_b32 v25, v45, v14
	s_mov_b32 s4, exec_lo
	v_cmpx_le_u32_e64 v46, v16
	s_cbranch_execz .LBB1882_60
; %bb.76:                               ;   in Loop: Header=BB1882_62 Depth=1
	s_wait_dscnt 0x1
	v_add_co_u32 v13, vcc_lo, v13, v26
	s_wait_alu 0xfffd
	v_add_co_ci_u32_e64 v14, null, 0, v14, vcc_lo
	s_delay_alu instid0(VALU_DEP_2) | instskip(SKIP_2) | instid1(VALU_DEP_2)
	v_add_co_u32 v13, vcc_lo, v13, 0
	s_wait_dscnt 0x0
	s_wait_alu 0xfffd
	v_add_co_ci_u32_e64 v14, null, v14, v25, vcc_lo
	s_branch .LBB1882_60
.LBB1882_77:
                                        ; implicit-def: $vgpr15_vgpr16
                                        ; implicit-def: $vgpr13_vgpr14
                                        ; implicit-def: $vgpr21_vgpr22
                                        ; implicit-def: $vgpr23_vgpr24
                                        ; implicit-def: $vgpr11_vgpr12
	s_wait_alu 0xfffe
	s_and_b32 vcc_lo, exec_lo, s1
	s_cbranch_vccnz .LBB1882_83
	s_branch .LBB1882_108
.LBB1882_78:
	s_and_saveexec_b32 s4, s1
	s_cbranch_execz .LBB1882_80
; %bb.79:
	s_add_co_i32 s6, s15, 32
	s_mov_b32 s7, 0
	v_add_co_u32 v13, vcc_lo, v11, v9
	s_wait_alu 0xfffe
	s_lshl_b64 s[6:7], s[6:7], 4
	v_dual_mov_b32 v15, 2 :: v_dual_mov_b32 v16, 0
	s_wait_alu 0xfffe
	s_add_nc_u64 s[6:7], s[16:17], s[6:7]
	s_wait_alu 0xfffd
	v_add_co_ci_u32_e64 v14, null, v12, v10, vcc_lo
	s_wait_alu 0xfffe
	v_dual_mov_b32 v24, s7 :: v_dual_mov_b32 v23, s6
	;;#ASMSTART
	global_store_b128 v[23:24], v[13:16] off scope:SCOPE_DEV	
s_wait_storecnt 0x0
	;;#ASMEND
	ds_store_b128 v16, v[9:12] offset:8448
.LBB1882_80:
	s_wait_alu 0xfffe
	s_or_b32 exec_lo, exec_lo, s4
	s_delay_alu instid0(SALU_CYCLE_1)
	s_and_b32 exec_lo, exec_lo, s2
; %bb.81:
	v_mov_b32_e32 v9, 0
	ds_store_b64 v9, v[11:12] offset:56
.LBB1882_82:
	s_wait_alu 0xfffe
	s_or_b32 exec_lo, exec_lo, s3
	v_mov_b32_e32 v9, 0
	s_wait_loadcnt_dscnt 0x0
	s_barrier_signal -1
	s_barrier_wait -1
	global_inv scope:SCOPE_SE
	ds_load_b64 v[13:14], v9 offset:56
	v_cndmask_b32_e64 v11, v35, v21, s1
	v_cndmask_b32_e64 v10, v36, v22, s1
	s_wait_loadcnt_dscnt 0x0
	s_barrier_signal -1
	s_barrier_wait -1
	v_cndmask_b32_e64 v16, v11, 0, s2
	v_cndmask_b32_e64 v15, v10, 0, s2
	global_inv scope:SCOPE_SE
	ds_load_b128 v[9:12], v9 offset:8448
	v_add_co_u32 v23, vcc_lo, v13, v16
	s_wait_alu 0xfffd
	v_add_co_ci_u32_e64 v24, null, v14, v15, vcc_lo
	s_delay_alu instid0(VALU_DEP_2) | instskip(SKIP_1) | instid1(VALU_DEP_2)
	v_add_co_u32 v21, vcc_lo, v23, v32
	s_wait_alu 0xfffd
	v_add_co_ci_u32_e64 v22, null, 0, v24, vcc_lo
	s_delay_alu instid0(VALU_DEP_2) | instskip(SKIP_1) | instid1(VALU_DEP_2)
	v_add_co_u32 v13, vcc_lo, v21, v31
	s_wait_alu 0xfffd
	v_add_co_ci_u32_e64 v14, null, 0, v22, vcc_lo
	s_delay_alu instid0(VALU_DEP_2) | instskip(SKIP_1) | instid1(VALU_DEP_2)
	v_add_co_u32 v15, vcc_lo, v13, v30
	s_wait_alu 0xfffd
	v_add_co_ci_u32_e64 v16, null, 0, v14, vcc_lo
	s_branch .LBB1882_108
.LBB1882_83:
	s_wait_dscnt 0x0
	v_dual_mov_b32 v10, 0 :: v_dual_mov_b32 v11, v19
	v_mov_b32_dpp v12, v19 row_shr:1 row_mask:0xf bank_mask:0xf
	s_delay_alu instid0(VALU_DEP_2)
	v_mov_b32_dpp v9, v10 row_shr:1 row_mask:0xf bank_mask:0xf
	s_and_saveexec_b32 s1, s0
; %bb.84:
	s_delay_alu instid0(VALU_DEP_2) | instskip(NEXT) | instid1(VALU_DEP_1)
	v_add_co_u32 v11, vcc_lo, v19, v12
	v_add_co_ci_u32_e64 v10, null, 0, v20, vcc_lo
	s_delay_alu instid0(VALU_DEP_2) | instskip(SKIP_1) | instid1(VALU_DEP_2)
	v_add_co_u32 v19, vcc_lo, 0, v11
	s_wait_alu 0xfffd
	v_add_co_ci_u32_e64 v20, null, v9, v10, vcc_lo
	s_delay_alu instid0(VALU_DEP_1)
	v_mov_b32_e32 v10, v20
; %bb.85:
	s_wait_alu 0xfffe
	s_or_b32 exec_lo, exec_lo, s1
	v_mov_b32_dpp v9, v11 row_shr:2 row_mask:0xf bank_mask:0xf
	s_delay_alu instid0(VALU_DEP_2)
	v_mov_b32_dpp v12, v10 row_shr:2 row_mask:0xf bank_mask:0xf
	s_mov_b32 s0, exec_lo
	v_cmpx_lt_u32_e32 1, v34
; %bb.86:
	s_delay_alu instid0(VALU_DEP_3) | instskip(SKIP_2) | instid1(VALU_DEP_2)
	v_add_co_u32 v11, vcc_lo, v19, v9
	s_wait_alu 0xfffd
	v_add_co_ci_u32_e64 v10, null, 0, v20, vcc_lo
	v_add_co_u32 v9, vcc_lo, 0, v11
	s_wait_alu 0xfffd
	s_delay_alu instid0(VALU_DEP_2) | instskip(NEXT) | instid1(VALU_DEP_1)
	v_add_co_ci_u32_e64 v10, null, v12, v10, vcc_lo
	v_dual_mov_b32 v20, v10 :: v_dual_mov_b32 v19, v9
; %bb.87:
	s_wait_alu 0xfffe
	s_or_b32 exec_lo, exec_lo, s0
	v_mov_b32_dpp v9, v11 row_shr:4 row_mask:0xf bank_mask:0xf
	v_mov_b32_dpp v12, v10 row_shr:4 row_mask:0xf bank_mask:0xf
	s_mov_b32 s0, exec_lo
	v_cmpx_lt_u32_e32 3, v34
; %bb.88:
	s_delay_alu instid0(VALU_DEP_3) | instskip(SKIP_2) | instid1(VALU_DEP_2)
	v_add_co_u32 v11, vcc_lo, v19, v9
	s_wait_alu 0xfffd
	v_add_co_ci_u32_e64 v10, null, 0, v20, vcc_lo
	v_add_co_u32 v9, vcc_lo, 0, v11
	s_wait_alu 0xfffd
	s_delay_alu instid0(VALU_DEP_2) | instskip(NEXT) | instid1(VALU_DEP_1)
	v_add_co_ci_u32_e64 v10, null, v12, v10, vcc_lo
	v_dual_mov_b32 v20, v10 :: v_dual_mov_b32 v19, v9
; %bb.89:
	s_wait_alu 0xfffe
	s_or_b32 exec_lo, exec_lo, s0
	v_mov_b32_dpp v12, v11 row_shr:8 row_mask:0xf bank_mask:0xf
	v_mov_b32_dpp v9, v10 row_shr:8 row_mask:0xf bank_mask:0xf
	s_mov_b32 s0, exec_lo
	v_cmpx_lt_u32_e32 7, v34
; %bb.90:
	s_delay_alu instid0(VALU_DEP_3) | instskip(SKIP_2) | instid1(VALU_DEP_2)
	v_add_co_u32 v11, vcc_lo, v19, v12
	s_wait_alu 0xfffd
	v_add_co_ci_u32_e64 v10, null, 0, v20, vcc_lo
	v_add_co_u32 v19, vcc_lo, 0, v11
	s_wait_alu 0xfffd
	s_delay_alu instid0(VALU_DEP_2) | instskip(NEXT) | instid1(VALU_DEP_1)
	v_add_co_ci_u32_e64 v20, null, v9, v10, vcc_lo
	v_mov_b32_e32 v10, v20
; %bb.91:
	s_wait_alu 0xfffe
	s_or_b32 exec_lo, exec_lo, s0
	ds_swizzle_b32 v11, v11 offset:swizzle(BROADCAST,32,15)
	ds_swizzle_b32 v9, v10 offset:swizzle(BROADCAST,32,15)
	v_and_b32_e32 v10, 16, v33
	s_mov_b32 s0, exec_lo
	s_delay_alu instid0(VALU_DEP_1)
	v_cmpx_ne_u32_e32 0, v10
	s_cbranch_execz .LBB1882_93
; %bb.92:
	s_wait_dscnt 0x1
	v_add_co_u32 v10, vcc_lo, v19, v11
	s_wait_alu 0xfffd
	v_add_co_ci_u32_e64 v11, null, 0, v20, vcc_lo
	s_delay_alu instid0(VALU_DEP_2) | instskip(SKIP_2) | instid1(VALU_DEP_2)
	v_add_co_u32 v19, vcc_lo, v10, 0
	s_wait_dscnt 0x0
	s_wait_alu 0xfffd
	v_add_co_ci_u32_e64 v20, null, v11, v9, vcc_lo
.LBB1882_93:
	s_wait_alu 0xfffe
	s_or_b32 exec_lo, exec_lo, s0
	s_wait_dscnt 0x0
	v_or_b32_e32 v9, 31, v0
	v_lshrrev_b32_e32 v11, 5, v0
	s_mov_b32 s0, exec_lo
	s_delay_alu instid0(VALU_DEP_2)
	v_cmpx_eq_u32_e64 v0, v9
; %bb.94:
	s_delay_alu instid0(VALU_DEP_2)
	v_lshlrev_b32_e32 v9, 3, v11
	ds_store_b64 v9, v[19:20]
; %bb.95:
	s_wait_alu 0xfffe
	s_or_b32 exec_lo, exec_lo, s0
	s_delay_alu instid0(SALU_CYCLE_1)
	s_mov_b32 s0, exec_lo
	s_wait_loadcnt_dscnt 0x0
	s_barrier_signal -1
	s_barrier_wait -1
	global_inv scope:SCOPE_SE
	v_cmpx_gt_u32_e32 8, v0
	s_cbranch_execz .LBB1882_103
; %bb.96:
	v_lshlrev_b32_e32 v12, 3, v0
	s_mov_b32 s1, exec_lo
	ds_load_b64 v[9:10], v12
	s_wait_dscnt 0x0
	v_dual_mov_b32 v14, v9 :: v_dual_and_b32 v13, 7, v33
	v_mov_b32_dpp v16, v9 row_shr:1 row_mask:0xf bank_mask:0xf
	v_mov_b32_dpp v15, v10 row_shr:1 row_mask:0xf bank_mask:0xf
	s_delay_alu instid0(VALU_DEP_3)
	v_cmpx_ne_u32_e32 0, v13
; %bb.97:
	s_delay_alu instid0(VALU_DEP_3) | instskip(SKIP_2) | instid1(VALU_DEP_2)
	v_add_co_u32 v14, vcc_lo, v9, v16
	s_wait_alu 0xfffd
	v_add_co_ci_u32_e64 v10, null, 0, v10, vcc_lo
	v_add_co_u32 v9, vcc_lo, 0, v14
	s_wait_alu 0xfffd
	s_delay_alu instid0(VALU_DEP_2)
	v_add_co_ci_u32_e64 v10, null, v15, v10, vcc_lo
; %bb.98:
	s_wait_alu 0xfffe
	s_or_b32 exec_lo, exec_lo, s1
	v_mov_b32_dpp v16, v14 row_shr:2 row_mask:0xf bank_mask:0xf
	s_delay_alu instid0(VALU_DEP_2)
	v_mov_b32_dpp v15, v10 row_shr:2 row_mask:0xf bank_mask:0xf
	s_mov_b32 s1, exec_lo
	v_cmpx_lt_u32_e32 1, v13
; %bb.99:
	s_delay_alu instid0(VALU_DEP_3) | instskip(SKIP_2) | instid1(VALU_DEP_2)
	v_add_co_u32 v14, vcc_lo, v9, v16
	s_wait_alu 0xfffd
	v_add_co_ci_u32_e64 v10, null, 0, v10, vcc_lo
	v_add_co_u32 v9, vcc_lo, 0, v14
	s_wait_alu 0xfffd
	s_delay_alu instid0(VALU_DEP_2)
	v_add_co_ci_u32_e64 v10, null, v15, v10, vcc_lo
; %bb.100:
	s_wait_alu 0xfffe
	s_or_b32 exec_lo, exec_lo, s1
	v_mov_b32_dpp v15, v14 row_shr:4 row_mask:0xf bank_mask:0xf
	s_delay_alu instid0(VALU_DEP_2)
	v_mov_b32_dpp v14, v10 row_shr:4 row_mask:0xf bank_mask:0xf
	s_mov_b32 s1, exec_lo
	v_cmpx_lt_u32_e32 3, v13
; %bb.101:
	s_delay_alu instid0(VALU_DEP_3) | instskip(SKIP_2) | instid1(VALU_DEP_2)
	v_add_co_u32 v9, vcc_lo, v9, v15
	s_wait_alu 0xfffd
	v_add_co_ci_u32_e64 v10, null, 0, v10, vcc_lo
	v_add_co_u32 v9, vcc_lo, v9, 0
	s_wait_alu 0xfffd
	s_delay_alu instid0(VALU_DEP_2)
	v_add_co_ci_u32_e64 v10, null, v10, v14, vcc_lo
; %bb.102:
	s_wait_alu 0xfffe
	s_or_b32 exec_lo, exec_lo, s1
	ds_store_b64 v12, v[9:10]
.LBB1882_103:
	s_wait_alu 0xfffe
	s_or_b32 exec_lo, exec_lo, s0
	v_mov_b32_e32 v13, 0
	v_mov_b32_e32 v14, 0
	s_mov_b32 s0, exec_lo
	s_wait_loadcnt_dscnt 0x0
	s_barrier_signal -1
	s_barrier_wait -1
	global_inv scope:SCOPE_SE
	v_cmpx_lt_u32_e32 31, v0
; %bb.104:
	v_lshl_add_u32 v9, v11, 3, -8
	ds_load_b64 v[13:14], v9
; %bb.105:
	s_wait_alu 0xfffe
	s_or_b32 exec_lo, exec_lo, s0
	v_sub_co_u32 v9, vcc_lo, v33, 1
	v_mov_b32_e32 v12, 0
	s_delay_alu instid0(VALU_DEP_2) | instskip(SKIP_1) | instid1(VALU_DEP_1)
	v_cmp_gt_i32_e64 s0, 0, v9
	s_wait_alu 0xf1ff
	v_cndmask_b32_e64 v9, v9, v33, s0
	s_wait_dscnt 0x0
	v_add_co_u32 v10, s0, v13, v19
	s_wait_alu 0xf1ff
	v_add_co_ci_u32_e64 v11, null, v14, v20, s0
	v_lshlrev_b32_e32 v9, 2, v9
	ds_bpermute_b32 v15, v9, v10
	ds_bpermute_b32 v16, v9, v11
	ds_load_b64 v[9:10], v12 offset:56
	s_and_saveexec_b32 s0, s2
	s_cbranch_execz .LBB1882_107
; %bb.106:
	s_add_nc_u64 s[6:7], s[16:17], 0x200
	s_wait_alu 0xfffe
	v_dual_mov_b32 v11, 2 :: v_dual_mov_b32 v20, s7
	v_mov_b32_e32 v19, s6
	s_wait_dscnt 0x0
	;;#ASMSTART
	global_store_b128 v[19:20], v[9:12] off scope:SCOPE_DEV	
s_wait_storecnt 0x0
	;;#ASMEND
.LBB1882_107:
	s_wait_alu 0xfffe
	s_or_b32 exec_lo, exec_lo, s0
	s_wait_dscnt 0x1
	s_wait_alu 0xfffd
	v_dual_cndmask_b32 v11, v15, v13 :: v_dual_cndmask_b32 v12, v16, v14
	s_wait_loadcnt_dscnt 0x0
	s_barrier_signal -1
	s_barrier_wait -1
	s_delay_alu instid0(VALU_DEP_1)
	v_cndmask_b32_e64 v23, v11, 0, s2
	v_cndmask_b32_e64 v24, v12, 0, s2
	v_mov_b32_e32 v11, 0
	v_mov_b32_e32 v12, 0
	global_inv scope:SCOPE_SE
	v_add_co_u32 v21, vcc_lo, v23, v32
	s_wait_alu 0xfffd
	v_add_co_ci_u32_e64 v22, null, 0, v24, vcc_lo
	s_delay_alu instid0(VALU_DEP_2) | instskip(SKIP_1) | instid1(VALU_DEP_2)
	v_add_co_u32 v13, vcc_lo, v21, v31
	s_wait_alu 0xfffd
	v_add_co_ci_u32_e64 v14, null, 0, v22, vcc_lo
	s_delay_alu instid0(VALU_DEP_2) | instskip(SKIP_1) | instid1(VALU_DEP_2)
	v_add_co_u32 v15, vcc_lo, v13, v30
	s_wait_alu 0xfffd
	v_add_co_ci_u32_e64 v16, null, 0, v14, vcc_lo
.LBB1882_108:
	v_and_b32_e32 v25, 1, v29
	s_wait_dscnt 0x0
	v_cmp_gt_u64_e32 vcc_lo, 0x101, v[9:10]
	s_mov_b32 s1, -1
	s_delay_alu instid0(VALU_DEP_2)
	v_cmp_eq_u32_e64 s0, 1, v25
	s_cbranch_vccnz .LBB1882_112
; %bb.109:
	s_wait_alu 0xfffe
	s_and_b32 vcc_lo, exec_lo, s1
	s_wait_alu 0xfffe
	s_cbranch_vccnz .LBB1882_121
.LBB1882_110:
	s_and_b32 s0, s2, s9
	s_wait_alu 0xfffe
	s_and_saveexec_b32 s1, s0
	s_cbranch_execnz .LBB1882_133
.LBB1882_111:
	s_endpgm
.LBB1882_112:
	v_add_co_u32 v19, vcc_lo, v11, v9
	s_wait_alu 0xfffd
	v_add_co_ci_u32_e64 v20, null, v12, v10, vcc_lo
	v_lshlrev_b64_e32 v[29:30], 2, v[17:18]
	s_delay_alu instid0(VALU_DEP_2) | instskip(NEXT) | instid1(VALU_DEP_2)
	v_cmp_lt_u64_e32 vcc_lo, v[23:24], v[19:20]
	v_add_co_u32 v26, s1, s10, v29
	s_wait_alu 0xf1fe
	s_delay_alu instid0(VALU_DEP_3)
	v_add_co_ci_u32_e64 v29, null, s11, v30, s1
	s_or_b32 s1, s14, vcc_lo
	s_wait_alu 0xfffe
	s_and_b32 s1, s1, s0
	s_wait_alu 0xfffe
	s_and_saveexec_b32 s0, s1
	s_cbranch_execz .LBB1882_114
; %bb.113:
	v_lshlrev_b64_e32 v[30:31], 2, v[23:24]
	s_delay_alu instid0(VALU_DEP_1) | instskip(SKIP_1) | instid1(VALU_DEP_2)
	v_add_co_u32 v30, vcc_lo, v26, v30
	s_wait_alu 0xfffd
	v_add_co_ci_u32_e64 v31, null, v29, v31, vcc_lo
	global_store_b32 v[30:31], v1, off
.LBB1882_114:
	s_wait_alu 0xfffe
	s_or_b32 exec_lo, exec_lo, s0
	v_and_b32_e32 v24, 1, v28
	v_cmp_lt_u64_e32 vcc_lo, v[21:22], v[19:20]
	s_delay_alu instid0(VALU_DEP_2)
	v_cmp_eq_u32_e64 s0, 1, v24
	s_or_b32 s1, s14, vcc_lo
	s_wait_alu 0xfffe
	s_and_b32 s1, s1, s0
	s_wait_alu 0xfffe
	s_and_saveexec_b32 s0, s1
	s_cbranch_execz .LBB1882_116
; %bb.115:
	v_lshlrev_b64_e32 v[30:31], 2, v[21:22]
	s_delay_alu instid0(VALU_DEP_1) | instskip(SKIP_1) | instid1(VALU_DEP_2)
	v_add_co_u32 v30, vcc_lo, v26, v30
	s_wait_alu 0xfffd
	v_add_co_ci_u32_e64 v31, null, v29, v31, vcc_lo
	global_store_b32 v[30:31], v5, off
.LBB1882_116:
	s_wait_alu 0xfffe
	s_or_b32 exec_lo, exec_lo, s0
	v_and_b32_e32 v22, 1, v27
	v_cmp_lt_u64_e32 vcc_lo, v[13:14], v[19:20]
	s_delay_alu instid0(VALU_DEP_2)
	v_cmp_eq_u32_e64 s0, 1, v22
	s_or_b32 s1, s14, vcc_lo
	s_wait_alu 0xfffe
	s_and_b32 s1, s1, s0
	s_wait_alu 0xfffe
	s_and_saveexec_b32 s0, s1
	s_cbranch_execz .LBB1882_118
; %bb.117:
	v_lshlrev_b64_e32 v[30:31], 2, v[13:14]
	s_delay_alu instid0(VALU_DEP_1) | instskip(SKIP_1) | instid1(VALU_DEP_2)
	v_add_co_u32 v30, vcc_lo, v26, v30
	s_wait_alu 0xfffd
	v_add_co_ci_u32_e64 v31, null, v29, v31, vcc_lo
	global_store_b32 v[30:31], v7, off
.LBB1882_118:
	s_wait_alu 0xfffe
	s_or_b32 exec_lo, exec_lo, s0
	v_cmp_lt_u64_e32 vcc_lo, v[15:16], v[19:20]
	s_or_b32 s0, s14, vcc_lo
	s_wait_alu 0xfffe
	s_and_b32 s1, s0, s5
	s_wait_alu 0xfffe
	s_and_saveexec_b32 s0, s1
	s_cbranch_execz .LBB1882_120
; %bb.119:
	v_lshlrev_b64_e32 v[19:20], 2, v[15:16]
	s_delay_alu instid0(VALU_DEP_1) | instskip(SKIP_1) | instid1(VALU_DEP_2)
	v_add_co_u32 v19, vcc_lo, v26, v19
	s_wait_alu 0xfffd
	v_add_co_ci_u32_e64 v20, null, v29, v20, vcc_lo
	global_store_b32 v[19:20], v3, off
.LBB1882_120:
	s_wait_alu 0xfffe
	s_or_b32 exec_lo, exec_lo, s0
	s_branch .LBB1882_110
.LBB1882_121:
	s_mov_b32 s0, exec_lo
	v_cmpx_eq_u32_e32 1, v25
; %bb.122:
	v_sub_nc_u32_e32 v14, v23, v11
	s_delay_alu instid0(VALU_DEP_1)
	v_lshlrev_b32_e32 v14, 3, v14
	ds_store_b64 v14, v[1:2]
; %bb.123:
	s_wait_alu 0xfffe
	s_or_b32 exec_lo, exec_lo, s0
	v_and_b32_e32 v1, 1, v28
	s_mov_b32 s0, exec_lo
	s_delay_alu instid0(VALU_DEP_1)
	v_cmpx_eq_u32_e32 1, v1
; %bb.124:
	v_sub_nc_u32_e32 v1, v21, v11
	s_delay_alu instid0(VALU_DEP_1)
	v_lshlrev_b32_e32 v1, 3, v1
	ds_store_b64 v1, v[5:6]
; %bb.125:
	s_wait_alu 0xfffe
	s_or_b32 exec_lo, exec_lo, s0
	v_and_b32_e32 v1, 1, v27
	s_mov_b32 s0, exec_lo
	s_delay_alu instid0(VALU_DEP_1)
	v_cmpx_eq_u32_e32 1, v1
; %bb.126:
	v_sub_nc_u32_e32 v1, v13, v11
	s_delay_alu instid0(VALU_DEP_1)
	v_lshlrev_b32_e32 v1, 3, v1
	ds_store_b64 v1, v[7:8]
; %bb.127:
	s_wait_alu 0xfffe
	s_or_b32 exec_lo, exec_lo, s0
	s_and_saveexec_b32 s0, s5
; %bb.128:
	v_sub_nc_u32_e32 v1, v15, v11
	s_delay_alu instid0(VALU_DEP_1)
	v_lshlrev_b32_e32 v1, 3, v1
	ds_store_b64 v1, v[3:4]
; %bb.129:
	s_wait_alu 0xfffe
	s_or_b32 exec_lo, exec_lo, s0
	v_mov_b32_e32 v1, 0
	s_mov_b32 s1, exec_lo
	s_wait_storecnt 0x0
	s_wait_loadcnt_dscnt 0x0
	s_barrier_signal -1
	s_barrier_wait -1
	global_inv scope:SCOPE_SE
	v_cmpx_gt_u64_e64 v[9:10], v[0:1]
	s_cbranch_execz .LBB1882_132
; %bb.130:
	v_lshlrev_b64_e32 v[2:3], 2, v[17:18]
	v_lshlrev_b64_e32 v[4:5], 2, v[11:12]
	s_mov_b32 s3, 0
	s_delay_alu instid0(VALU_DEP_2) | instskip(SKIP_1) | instid1(VALU_DEP_3)
	v_add_co_u32 v6, vcc_lo, s10, v2
	s_wait_alu 0xfffd
	v_add_co_ci_u32_e64 v7, null, s11, v3, vcc_lo
	v_dual_mov_b32 v3, v1 :: v_dual_mov_b32 v2, v0
	s_delay_alu instid0(VALU_DEP_3) | instskip(SKIP_1) | instid1(VALU_DEP_3)
	v_add_co_u32 v4, vcc_lo, v6, v4
	s_wait_alu 0xfffd
	v_add_co_ci_u32_e64 v5, null, v7, v5, vcc_lo
	v_or_b32_e32 v0, 0x100, v0
.LBB1882_131:                           ; =>This Inner Loop Header: Depth=1
	v_lshlrev_b32_e32 v6, 3, v2
	s_delay_alu instid0(VALU_DEP_2)
	v_cmp_le_u64_e32 vcc_lo, v[9:10], v[0:1]
	ds_load_b32 v8, v6
	v_lshlrev_b64_e32 v[6:7], 2, v[2:3]
	v_dual_mov_b32 v3, v1 :: v_dual_mov_b32 v2, v0
	v_add_nc_u32_e32 v0, 0x100, v0
	s_wait_alu 0xfffe
	s_or_b32 s3, vcc_lo, s3
	s_delay_alu instid0(VALU_DEP_3)
	v_add_co_u32 v6, s0, v4, v6
	s_wait_alu 0xf1ff
	v_add_co_ci_u32_e64 v7, null, v5, v7, s0
	s_wait_dscnt 0x0
	global_store_b32 v[6:7], v8, off
	s_wait_alu 0xfffe
	s_and_not1_b32 exec_lo, exec_lo, s3
	s_cbranch_execnz .LBB1882_131
.LBB1882_132:
	s_wait_alu 0xfffe
	s_or_b32 exec_lo, exec_lo, s1
	s_and_b32 s0, s2, s9
	s_wait_alu 0xfffe
	s_and_saveexec_b32 s1, s0
	s_cbranch_execz .LBB1882_111
.LBB1882_133:
	v_add_co_u32 v0, vcc_lo, v11, v9
	s_wait_alu 0xfffd
	v_add_co_ci_u32_e64 v1, null, v12, v10, vcc_lo
	v_mov_b32_e32 v2, 0
	s_delay_alu instid0(VALU_DEP_3) | instskip(SKIP_1) | instid1(VALU_DEP_3)
	v_add_co_u32 v0, vcc_lo, v0, v17
	s_wait_alu 0xfffd
	v_add_co_ci_u32_e64 v1, null, v1, v18, vcc_lo
	global_store_b64 v2, v[0:1], s[12:13]
	s_endpgm
	.section	.rodata,"a",@progbits
	.p2align	6, 0x0
	.amdhsa_kernel _ZN7rocprim17ROCPRIM_400000_NS6detail17trampoline_kernelINS0_14default_configENS1_25partition_config_selectorILNS1_17partition_subalgoE6EN6thrust23THRUST_200600_302600_NS5tupleIffNS7_9null_typeES9_S9_S9_S9_S9_S9_S9_EENS0_10empty_typeEbEEZZNS1_14partition_implILS5_6ELb0ES3_mNS7_12zip_iteratorINS8_INS7_6detail15normal_iteratorINS7_10device_ptrIfEEEESJ_S9_S9_S9_S9_S9_S9_S9_S9_EEEEPSB_SM_NS0_5tupleIJNSE_INS8_ISJ_NS7_16discard_iteratorINS7_11use_defaultEEES9_S9_S9_S9_S9_S9_S9_S9_EEEESB_EEENSN_IJSM_SM_EEESB_PlJNSF_9not_fun_tINSF_14equal_to_valueISA_EEEEEEE10hipError_tPvRmT3_T4_T5_T6_T7_T9_mT8_P12ihipStream_tbDpT10_ENKUlT_T0_E_clISt17integral_constantIbLb0EES1I_IbLb1EEEEDaS1E_S1F_EUlS1E_E_NS1_11comp_targetILNS1_3genE10ELNS1_11target_archE1200ELNS1_3gpuE4ELNS1_3repE0EEENS1_30default_config_static_selectorELNS0_4arch9wavefront6targetE0EEEvT1_
		.amdhsa_group_segment_fixed_size 8464
		.amdhsa_private_segment_fixed_size 0
		.amdhsa_kernarg_size 152
		.amdhsa_user_sgpr_count 2
		.amdhsa_user_sgpr_dispatch_ptr 0
		.amdhsa_user_sgpr_queue_ptr 0
		.amdhsa_user_sgpr_kernarg_segment_ptr 1
		.amdhsa_user_sgpr_dispatch_id 0
		.amdhsa_user_sgpr_private_segment_size 0
		.amdhsa_wavefront_size32 1
		.amdhsa_uses_dynamic_stack 0
		.amdhsa_enable_private_segment 0
		.amdhsa_system_sgpr_workgroup_id_x 1
		.amdhsa_system_sgpr_workgroup_id_y 0
		.amdhsa_system_sgpr_workgroup_id_z 0
		.amdhsa_system_sgpr_workgroup_info 0
		.amdhsa_system_vgpr_workitem_id 0
		.amdhsa_next_free_vgpr 48
		.amdhsa_next_free_sgpr 26
		.amdhsa_reserve_vcc 1
		.amdhsa_float_round_mode_32 0
		.amdhsa_float_round_mode_16_64 0
		.amdhsa_float_denorm_mode_32 3
		.amdhsa_float_denorm_mode_16_64 3
		.amdhsa_fp16_overflow 0
		.amdhsa_workgroup_processor_mode 1
		.amdhsa_memory_ordered 1
		.amdhsa_forward_progress 1
		.amdhsa_inst_pref_size 52
		.amdhsa_round_robin_scheduling 0
		.amdhsa_exception_fp_ieee_invalid_op 0
		.amdhsa_exception_fp_denorm_src 0
		.amdhsa_exception_fp_ieee_div_zero 0
		.amdhsa_exception_fp_ieee_overflow 0
		.amdhsa_exception_fp_ieee_underflow 0
		.amdhsa_exception_fp_ieee_inexact 0
		.amdhsa_exception_int_div_zero 0
	.end_amdhsa_kernel
	.section	.text._ZN7rocprim17ROCPRIM_400000_NS6detail17trampoline_kernelINS0_14default_configENS1_25partition_config_selectorILNS1_17partition_subalgoE6EN6thrust23THRUST_200600_302600_NS5tupleIffNS7_9null_typeES9_S9_S9_S9_S9_S9_S9_EENS0_10empty_typeEbEEZZNS1_14partition_implILS5_6ELb0ES3_mNS7_12zip_iteratorINS8_INS7_6detail15normal_iteratorINS7_10device_ptrIfEEEESJ_S9_S9_S9_S9_S9_S9_S9_S9_EEEEPSB_SM_NS0_5tupleIJNSE_INS8_ISJ_NS7_16discard_iteratorINS7_11use_defaultEEES9_S9_S9_S9_S9_S9_S9_S9_EEEESB_EEENSN_IJSM_SM_EEESB_PlJNSF_9not_fun_tINSF_14equal_to_valueISA_EEEEEEE10hipError_tPvRmT3_T4_T5_T6_T7_T9_mT8_P12ihipStream_tbDpT10_ENKUlT_T0_E_clISt17integral_constantIbLb0EES1I_IbLb1EEEEDaS1E_S1F_EUlS1E_E_NS1_11comp_targetILNS1_3genE10ELNS1_11target_archE1200ELNS1_3gpuE4ELNS1_3repE0EEENS1_30default_config_static_selectorELNS0_4arch9wavefront6targetE0EEEvT1_,"axG",@progbits,_ZN7rocprim17ROCPRIM_400000_NS6detail17trampoline_kernelINS0_14default_configENS1_25partition_config_selectorILNS1_17partition_subalgoE6EN6thrust23THRUST_200600_302600_NS5tupleIffNS7_9null_typeES9_S9_S9_S9_S9_S9_S9_EENS0_10empty_typeEbEEZZNS1_14partition_implILS5_6ELb0ES3_mNS7_12zip_iteratorINS8_INS7_6detail15normal_iteratorINS7_10device_ptrIfEEEESJ_S9_S9_S9_S9_S9_S9_S9_S9_EEEEPSB_SM_NS0_5tupleIJNSE_INS8_ISJ_NS7_16discard_iteratorINS7_11use_defaultEEES9_S9_S9_S9_S9_S9_S9_S9_EEEESB_EEENSN_IJSM_SM_EEESB_PlJNSF_9not_fun_tINSF_14equal_to_valueISA_EEEEEEE10hipError_tPvRmT3_T4_T5_T6_T7_T9_mT8_P12ihipStream_tbDpT10_ENKUlT_T0_E_clISt17integral_constantIbLb0EES1I_IbLb1EEEEDaS1E_S1F_EUlS1E_E_NS1_11comp_targetILNS1_3genE10ELNS1_11target_archE1200ELNS1_3gpuE4ELNS1_3repE0EEENS1_30default_config_static_selectorELNS0_4arch9wavefront6targetE0EEEvT1_,comdat
.Lfunc_end1882:
	.size	_ZN7rocprim17ROCPRIM_400000_NS6detail17trampoline_kernelINS0_14default_configENS1_25partition_config_selectorILNS1_17partition_subalgoE6EN6thrust23THRUST_200600_302600_NS5tupleIffNS7_9null_typeES9_S9_S9_S9_S9_S9_S9_EENS0_10empty_typeEbEEZZNS1_14partition_implILS5_6ELb0ES3_mNS7_12zip_iteratorINS8_INS7_6detail15normal_iteratorINS7_10device_ptrIfEEEESJ_S9_S9_S9_S9_S9_S9_S9_S9_EEEEPSB_SM_NS0_5tupleIJNSE_INS8_ISJ_NS7_16discard_iteratorINS7_11use_defaultEEES9_S9_S9_S9_S9_S9_S9_S9_EEEESB_EEENSN_IJSM_SM_EEESB_PlJNSF_9not_fun_tINSF_14equal_to_valueISA_EEEEEEE10hipError_tPvRmT3_T4_T5_T6_T7_T9_mT8_P12ihipStream_tbDpT10_ENKUlT_T0_E_clISt17integral_constantIbLb0EES1I_IbLb1EEEEDaS1E_S1F_EUlS1E_E_NS1_11comp_targetILNS1_3genE10ELNS1_11target_archE1200ELNS1_3gpuE4ELNS1_3repE0EEENS1_30default_config_static_selectorELNS0_4arch9wavefront6targetE0EEEvT1_, .Lfunc_end1882-_ZN7rocprim17ROCPRIM_400000_NS6detail17trampoline_kernelINS0_14default_configENS1_25partition_config_selectorILNS1_17partition_subalgoE6EN6thrust23THRUST_200600_302600_NS5tupleIffNS7_9null_typeES9_S9_S9_S9_S9_S9_S9_EENS0_10empty_typeEbEEZZNS1_14partition_implILS5_6ELb0ES3_mNS7_12zip_iteratorINS8_INS7_6detail15normal_iteratorINS7_10device_ptrIfEEEESJ_S9_S9_S9_S9_S9_S9_S9_S9_EEEEPSB_SM_NS0_5tupleIJNSE_INS8_ISJ_NS7_16discard_iteratorINS7_11use_defaultEEES9_S9_S9_S9_S9_S9_S9_S9_EEEESB_EEENSN_IJSM_SM_EEESB_PlJNSF_9not_fun_tINSF_14equal_to_valueISA_EEEEEEE10hipError_tPvRmT3_T4_T5_T6_T7_T9_mT8_P12ihipStream_tbDpT10_ENKUlT_T0_E_clISt17integral_constantIbLb0EES1I_IbLb1EEEEDaS1E_S1F_EUlS1E_E_NS1_11comp_targetILNS1_3genE10ELNS1_11target_archE1200ELNS1_3gpuE4ELNS1_3repE0EEENS1_30default_config_static_selectorELNS0_4arch9wavefront6targetE0EEEvT1_
                                        ; -- End function
	.set _ZN7rocprim17ROCPRIM_400000_NS6detail17trampoline_kernelINS0_14default_configENS1_25partition_config_selectorILNS1_17partition_subalgoE6EN6thrust23THRUST_200600_302600_NS5tupleIffNS7_9null_typeES9_S9_S9_S9_S9_S9_S9_EENS0_10empty_typeEbEEZZNS1_14partition_implILS5_6ELb0ES3_mNS7_12zip_iteratorINS8_INS7_6detail15normal_iteratorINS7_10device_ptrIfEEEESJ_S9_S9_S9_S9_S9_S9_S9_S9_EEEEPSB_SM_NS0_5tupleIJNSE_INS8_ISJ_NS7_16discard_iteratorINS7_11use_defaultEEES9_S9_S9_S9_S9_S9_S9_S9_EEEESB_EEENSN_IJSM_SM_EEESB_PlJNSF_9not_fun_tINSF_14equal_to_valueISA_EEEEEEE10hipError_tPvRmT3_T4_T5_T6_T7_T9_mT8_P12ihipStream_tbDpT10_ENKUlT_T0_E_clISt17integral_constantIbLb0EES1I_IbLb1EEEEDaS1E_S1F_EUlS1E_E_NS1_11comp_targetILNS1_3genE10ELNS1_11target_archE1200ELNS1_3gpuE4ELNS1_3repE0EEENS1_30default_config_static_selectorELNS0_4arch9wavefront6targetE0EEEvT1_.num_vgpr, 48
	.set _ZN7rocprim17ROCPRIM_400000_NS6detail17trampoline_kernelINS0_14default_configENS1_25partition_config_selectorILNS1_17partition_subalgoE6EN6thrust23THRUST_200600_302600_NS5tupleIffNS7_9null_typeES9_S9_S9_S9_S9_S9_S9_EENS0_10empty_typeEbEEZZNS1_14partition_implILS5_6ELb0ES3_mNS7_12zip_iteratorINS8_INS7_6detail15normal_iteratorINS7_10device_ptrIfEEEESJ_S9_S9_S9_S9_S9_S9_S9_S9_EEEEPSB_SM_NS0_5tupleIJNSE_INS8_ISJ_NS7_16discard_iteratorINS7_11use_defaultEEES9_S9_S9_S9_S9_S9_S9_S9_EEEESB_EEENSN_IJSM_SM_EEESB_PlJNSF_9not_fun_tINSF_14equal_to_valueISA_EEEEEEE10hipError_tPvRmT3_T4_T5_T6_T7_T9_mT8_P12ihipStream_tbDpT10_ENKUlT_T0_E_clISt17integral_constantIbLb0EES1I_IbLb1EEEEDaS1E_S1F_EUlS1E_E_NS1_11comp_targetILNS1_3genE10ELNS1_11target_archE1200ELNS1_3gpuE4ELNS1_3repE0EEENS1_30default_config_static_selectorELNS0_4arch9wavefront6targetE0EEEvT1_.num_agpr, 0
	.set _ZN7rocprim17ROCPRIM_400000_NS6detail17trampoline_kernelINS0_14default_configENS1_25partition_config_selectorILNS1_17partition_subalgoE6EN6thrust23THRUST_200600_302600_NS5tupleIffNS7_9null_typeES9_S9_S9_S9_S9_S9_S9_EENS0_10empty_typeEbEEZZNS1_14partition_implILS5_6ELb0ES3_mNS7_12zip_iteratorINS8_INS7_6detail15normal_iteratorINS7_10device_ptrIfEEEESJ_S9_S9_S9_S9_S9_S9_S9_S9_EEEEPSB_SM_NS0_5tupleIJNSE_INS8_ISJ_NS7_16discard_iteratorINS7_11use_defaultEEES9_S9_S9_S9_S9_S9_S9_S9_EEEESB_EEENSN_IJSM_SM_EEESB_PlJNSF_9not_fun_tINSF_14equal_to_valueISA_EEEEEEE10hipError_tPvRmT3_T4_T5_T6_T7_T9_mT8_P12ihipStream_tbDpT10_ENKUlT_T0_E_clISt17integral_constantIbLb0EES1I_IbLb1EEEEDaS1E_S1F_EUlS1E_E_NS1_11comp_targetILNS1_3genE10ELNS1_11target_archE1200ELNS1_3gpuE4ELNS1_3repE0EEENS1_30default_config_static_selectorELNS0_4arch9wavefront6targetE0EEEvT1_.numbered_sgpr, 26
	.set _ZN7rocprim17ROCPRIM_400000_NS6detail17trampoline_kernelINS0_14default_configENS1_25partition_config_selectorILNS1_17partition_subalgoE6EN6thrust23THRUST_200600_302600_NS5tupleIffNS7_9null_typeES9_S9_S9_S9_S9_S9_S9_EENS0_10empty_typeEbEEZZNS1_14partition_implILS5_6ELb0ES3_mNS7_12zip_iteratorINS8_INS7_6detail15normal_iteratorINS7_10device_ptrIfEEEESJ_S9_S9_S9_S9_S9_S9_S9_S9_EEEEPSB_SM_NS0_5tupleIJNSE_INS8_ISJ_NS7_16discard_iteratorINS7_11use_defaultEEES9_S9_S9_S9_S9_S9_S9_S9_EEEESB_EEENSN_IJSM_SM_EEESB_PlJNSF_9not_fun_tINSF_14equal_to_valueISA_EEEEEEE10hipError_tPvRmT3_T4_T5_T6_T7_T9_mT8_P12ihipStream_tbDpT10_ENKUlT_T0_E_clISt17integral_constantIbLb0EES1I_IbLb1EEEEDaS1E_S1F_EUlS1E_E_NS1_11comp_targetILNS1_3genE10ELNS1_11target_archE1200ELNS1_3gpuE4ELNS1_3repE0EEENS1_30default_config_static_selectorELNS0_4arch9wavefront6targetE0EEEvT1_.num_named_barrier, 0
	.set _ZN7rocprim17ROCPRIM_400000_NS6detail17trampoline_kernelINS0_14default_configENS1_25partition_config_selectorILNS1_17partition_subalgoE6EN6thrust23THRUST_200600_302600_NS5tupleIffNS7_9null_typeES9_S9_S9_S9_S9_S9_S9_EENS0_10empty_typeEbEEZZNS1_14partition_implILS5_6ELb0ES3_mNS7_12zip_iteratorINS8_INS7_6detail15normal_iteratorINS7_10device_ptrIfEEEESJ_S9_S9_S9_S9_S9_S9_S9_S9_EEEEPSB_SM_NS0_5tupleIJNSE_INS8_ISJ_NS7_16discard_iteratorINS7_11use_defaultEEES9_S9_S9_S9_S9_S9_S9_S9_EEEESB_EEENSN_IJSM_SM_EEESB_PlJNSF_9not_fun_tINSF_14equal_to_valueISA_EEEEEEE10hipError_tPvRmT3_T4_T5_T6_T7_T9_mT8_P12ihipStream_tbDpT10_ENKUlT_T0_E_clISt17integral_constantIbLb0EES1I_IbLb1EEEEDaS1E_S1F_EUlS1E_E_NS1_11comp_targetILNS1_3genE10ELNS1_11target_archE1200ELNS1_3gpuE4ELNS1_3repE0EEENS1_30default_config_static_selectorELNS0_4arch9wavefront6targetE0EEEvT1_.private_seg_size, 0
	.set _ZN7rocprim17ROCPRIM_400000_NS6detail17trampoline_kernelINS0_14default_configENS1_25partition_config_selectorILNS1_17partition_subalgoE6EN6thrust23THRUST_200600_302600_NS5tupleIffNS7_9null_typeES9_S9_S9_S9_S9_S9_S9_EENS0_10empty_typeEbEEZZNS1_14partition_implILS5_6ELb0ES3_mNS7_12zip_iteratorINS8_INS7_6detail15normal_iteratorINS7_10device_ptrIfEEEESJ_S9_S9_S9_S9_S9_S9_S9_S9_EEEEPSB_SM_NS0_5tupleIJNSE_INS8_ISJ_NS7_16discard_iteratorINS7_11use_defaultEEES9_S9_S9_S9_S9_S9_S9_S9_EEEESB_EEENSN_IJSM_SM_EEESB_PlJNSF_9not_fun_tINSF_14equal_to_valueISA_EEEEEEE10hipError_tPvRmT3_T4_T5_T6_T7_T9_mT8_P12ihipStream_tbDpT10_ENKUlT_T0_E_clISt17integral_constantIbLb0EES1I_IbLb1EEEEDaS1E_S1F_EUlS1E_E_NS1_11comp_targetILNS1_3genE10ELNS1_11target_archE1200ELNS1_3gpuE4ELNS1_3repE0EEENS1_30default_config_static_selectorELNS0_4arch9wavefront6targetE0EEEvT1_.uses_vcc, 1
	.set _ZN7rocprim17ROCPRIM_400000_NS6detail17trampoline_kernelINS0_14default_configENS1_25partition_config_selectorILNS1_17partition_subalgoE6EN6thrust23THRUST_200600_302600_NS5tupleIffNS7_9null_typeES9_S9_S9_S9_S9_S9_S9_EENS0_10empty_typeEbEEZZNS1_14partition_implILS5_6ELb0ES3_mNS7_12zip_iteratorINS8_INS7_6detail15normal_iteratorINS7_10device_ptrIfEEEESJ_S9_S9_S9_S9_S9_S9_S9_S9_EEEEPSB_SM_NS0_5tupleIJNSE_INS8_ISJ_NS7_16discard_iteratorINS7_11use_defaultEEES9_S9_S9_S9_S9_S9_S9_S9_EEEESB_EEENSN_IJSM_SM_EEESB_PlJNSF_9not_fun_tINSF_14equal_to_valueISA_EEEEEEE10hipError_tPvRmT3_T4_T5_T6_T7_T9_mT8_P12ihipStream_tbDpT10_ENKUlT_T0_E_clISt17integral_constantIbLb0EES1I_IbLb1EEEEDaS1E_S1F_EUlS1E_E_NS1_11comp_targetILNS1_3genE10ELNS1_11target_archE1200ELNS1_3gpuE4ELNS1_3repE0EEENS1_30default_config_static_selectorELNS0_4arch9wavefront6targetE0EEEvT1_.uses_flat_scratch, 0
	.set _ZN7rocprim17ROCPRIM_400000_NS6detail17trampoline_kernelINS0_14default_configENS1_25partition_config_selectorILNS1_17partition_subalgoE6EN6thrust23THRUST_200600_302600_NS5tupleIffNS7_9null_typeES9_S9_S9_S9_S9_S9_S9_EENS0_10empty_typeEbEEZZNS1_14partition_implILS5_6ELb0ES3_mNS7_12zip_iteratorINS8_INS7_6detail15normal_iteratorINS7_10device_ptrIfEEEESJ_S9_S9_S9_S9_S9_S9_S9_S9_EEEEPSB_SM_NS0_5tupleIJNSE_INS8_ISJ_NS7_16discard_iteratorINS7_11use_defaultEEES9_S9_S9_S9_S9_S9_S9_S9_EEEESB_EEENSN_IJSM_SM_EEESB_PlJNSF_9not_fun_tINSF_14equal_to_valueISA_EEEEEEE10hipError_tPvRmT3_T4_T5_T6_T7_T9_mT8_P12ihipStream_tbDpT10_ENKUlT_T0_E_clISt17integral_constantIbLb0EES1I_IbLb1EEEEDaS1E_S1F_EUlS1E_E_NS1_11comp_targetILNS1_3genE10ELNS1_11target_archE1200ELNS1_3gpuE4ELNS1_3repE0EEENS1_30default_config_static_selectorELNS0_4arch9wavefront6targetE0EEEvT1_.has_dyn_sized_stack, 0
	.set _ZN7rocprim17ROCPRIM_400000_NS6detail17trampoline_kernelINS0_14default_configENS1_25partition_config_selectorILNS1_17partition_subalgoE6EN6thrust23THRUST_200600_302600_NS5tupleIffNS7_9null_typeES9_S9_S9_S9_S9_S9_S9_EENS0_10empty_typeEbEEZZNS1_14partition_implILS5_6ELb0ES3_mNS7_12zip_iteratorINS8_INS7_6detail15normal_iteratorINS7_10device_ptrIfEEEESJ_S9_S9_S9_S9_S9_S9_S9_S9_EEEEPSB_SM_NS0_5tupleIJNSE_INS8_ISJ_NS7_16discard_iteratorINS7_11use_defaultEEES9_S9_S9_S9_S9_S9_S9_S9_EEEESB_EEENSN_IJSM_SM_EEESB_PlJNSF_9not_fun_tINSF_14equal_to_valueISA_EEEEEEE10hipError_tPvRmT3_T4_T5_T6_T7_T9_mT8_P12ihipStream_tbDpT10_ENKUlT_T0_E_clISt17integral_constantIbLb0EES1I_IbLb1EEEEDaS1E_S1F_EUlS1E_E_NS1_11comp_targetILNS1_3genE10ELNS1_11target_archE1200ELNS1_3gpuE4ELNS1_3repE0EEENS1_30default_config_static_selectorELNS0_4arch9wavefront6targetE0EEEvT1_.has_recursion, 0
	.set _ZN7rocprim17ROCPRIM_400000_NS6detail17trampoline_kernelINS0_14default_configENS1_25partition_config_selectorILNS1_17partition_subalgoE6EN6thrust23THRUST_200600_302600_NS5tupleIffNS7_9null_typeES9_S9_S9_S9_S9_S9_S9_EENS0_10empty_typeEbEEZZNS1_14partition_implILS5_6ELb0ES3_mNS7_12zip_iteratorINS8_INS7_6detail15normal_iteratorINS7_10device_ptrIfEEEESJ_S9_S9_S9_S9_S9_S9_S9_S9_EEEEPSB_SM_NS0_5tupleIJNSE_INS8_ISJ_NS7_16discard_iteratorINS7_11use_defaultEEES9_S9_S9_S9_S9_S9_S9_S9_EEEESB_EEENSN_IJSM_SM_EEESB_PlJNSF_9not_fun_tINSF_14equal_to_valueISA_EEEEEEE10hipError_tPvRmT3_T4_T5_T6_T7_T9_mT8_P12ihipStream_tbDpT10_ENKUlT_T0_E_clISt17integral_constantIbLb0EES1I_IbLb1EEEEDaS1E_S1F_EUlS1E_E_NS1_11comp_targetILNS1_3genE10ELNS1_11target_archE1200ELNS1_3gpuE4ELNS1_3repE0EEENS1_30default_config_static_selectorELNS0_4arch9wavefront6targetE0EEEvT1_.has_indirect_call, 0
	.section	.AMDGPU.csdata,"",@progbits
; Kernel info:
; codeLenInByte = 6540
; TotalNumSgprs: 28
; NumVgprs: 48
; ScratchSize: 0
; MemoryBound: 0
; FloatMode: 240
; IeeeMode: 1
; LDSByteSize: 8464 bytes/workgroup (compile time only)
; SGPRBlocks: 0
; VGPRBlocks: 5
; NumSGPRsForWavesPerEU: 28
; NumVGPRsForWavesPerEU: 48
; Occupancy: 16
; WaveLimiterHint : 1
; COMPUTE_PGM_RSRC2:SCRATCH_EN: 0
; COMPUTE_PGM_RSRC2:USER_SGPR: 2
; COMPUTE_PGM_RSRC2:TRAP_HANDLER: 0
; COMPUTE_PGM_RSRC2:TGID_X_EN: 1
; COMPUTE_PGM_RSRC2:TGID_Y_EN: 0
; COMPUTE_PGM_RSRC2:TGID_Z_EN: 0
; COMPUTE_PGM_RSRC2:TIDIG_COMP_CNT: 0
	.section	.text._ZN7rocprim17ROCPRIM_400000_NS6detail17trampoline_kernelINS0_14default_configENS1_25partition_config_selectorILNS1_17partition_subalgoE6EN6thrust23THRUST_200600_302600_NS5tupleIffNS7_9null_typeES9_S9_S9_S9_S9_S9_S9_EENS0_10empty_typeEbEEZZNS1_14partition_implILS5_6ELb0ES3_mNS7_12zip_iteratorINS8_INS7_6detail15normal_iteratorINS7_10device_ptrIfEEEESJ_S9_S9_S9_S9_S9_S9_S9_S9_EEEEPSB_SM_NS0_5tupleIJNSE_INS8_ISJ_NS7_16discard_iteratorINS7_11use_defaultEEES9_S9_S9_S9_S9_S9_S9_S9_EEEESB_EEENSN_IJSM_SM_EEESB_PlJNSF_9not_fun_tINSF_14equal_to_valueISA_EEEEEEE10hipError_tPvRmT3_T4_T5_T6_T7_T9_mT8_P12ihipStream_tbDpT10_ENKUlT_T0_E_clISt17integral_constantIbLb0EES1I_IbLb1EEEEDaS1E_S1F_EUlS1E_E_NS1_11comp_targetILNS1_3genE9ELNS1_11target_archE1100ELNS1_3gpuE3ELNS1_3repE0EEENS1_30default_config_static_selectorELNS0_4arch9wavefront6targetE0EEEvT1_,"axG",@progbits,_ZN7rocprim17ROCPRIM_400000_NS6detail17trampoline_kernelINS0_14default_configENS1_25partition_config_selectorILNS1_17partition_subalgoE6EN6thrust23THRUST_200600_302600_NS5tupleIffNS7_9null_typeES9_S9_S9_S9_S9_S9_S9_EENS0_10empty_typeEbEEZZNS1_14partition_implILS5_6ELb0ES3_mNS7_12zip_iteratorINS8_INS7_6detail15normal_iteratorINS7_10device_ptrIfEEEESJ_S9_S9_S9_S9_S9_S9_S9_S9_EEEEPSB_SM_NS0_5tupleIJNSE_INS8_ISJ_NS7_16discard_iteratorINS7_11use_defaultEEES9_S9_S9_S9_S9_S9_S9_S9_EEEESB_EEENSN_IJSM_SM_EEESB_PlJNSF_9not_fun_tINSF_14equal_to_valueISA_EEEEEEE10hipError_tPvRmT3_T4_T5_T6_T7_T9_mT8_P12ihipStream_tbDpT10_ENKUlT_T0_E_clISt17integral_constantIbLb0EES1I_IbLb1EEEEDaS1E_S1F_EUlS1E_E_NS1_11comp_targetILNS1_3genE9ELNS1_11target_archE1100ELNS1_3gpuE3ELNS1_3repE0EEENS1_30default_config_static_selectorELNS0_4arch9wavefront6targetE0EEEvT1_,comdat
	.protected	_ZN7rocprim17ROCPRIM_400000_NS6detail17trampoline_kernelINS0_14default_configENS1_25partition_config_selectorILNS1_17partition_subalgoE6EN6thrust23THRUST_200600_302600_NS5tupleIffNS7_9null_typeES9_S9_S9_S9_S9_S9_S9_EENS0_10empty_typeEbEEZZNS1_14partition_implILS5_6ELb0ES3_mNS7_12zip_iteratorINS8_INS7_6detail15normal_iteratorINS7_10device_ptrIfEEEESJ_S9_S9_S9_S9_S9_S9_S9_S9_EEEEPSB_SM_NS0_5tupleIJNSE_INS8_ISJ_NS7_16discard_iteratorINS7_11use_defaultEEES9_S9_S9_S9_S9_S9_S9_S9_EEEESB_EEENSN_IJSM_SM_EEESB_PlJNSF_9not_fun_tINSF_14equal_to_valueISA_EEEEEEE10hipError_tPvRmT3_T4_T5_T6_T7_T9_mT8_P12ihipStream_tbDpT10_ENKUlT_T0_E_clISt17integral_constantIbLb0EES1I_IbLb1EEEEDaS1E_S1F_EUlS1E_E_NS1_11comp_targetILNS1_3genE9ELNS1_11target_archE1100ELNS1_3gpuE3ELNS1_3repE0EEENS1_30default_config_static_selectorELNS0_4arch9wavefront6targetE0EEEvT1_ ; -- Begin function _ZN7rocprim17ROCPRIM_400000_NS6detail17trampoline_kernelINS0_14default_configENS1_25partition_config_selectorILNS1_17partition_subalgoE6EN6thrust23THRUST_200600_302600_NS5tupleIffNS7_9null_typeES9_S9_S9_S9_S9_S9_S9_EENS0_10empty_typeEbEEZZNS1_14partition_implILS5_6ELb0ES3_mNS7_12zip_iteratorINS8_INS7_6detail15normal_iteratorINS7_10device_ptrIfEEEESJ_S9_S9_S9_S9_S9_S9_S9_S9_EEEEPSB_SM_NS0_5tupleIJNSE_INS8_ISJ_NS7_16discard_iteratorINS7_11use_defaultEEES9_S9_S9_S9_S9_S9_S9_S9_EEEESB_EEENSN_IJSM_SM_EEESB_PlJNSF_9not_fun_tINSF_14equal_to_valueISA_EEEEEEE10hipError_tPvRmT3_T4_T5_T6_T7_T9_mT8_P12ihipStream_tbDpT10_ENKUlT_T0_E_clISt17integral_constantIbLb0EES1I_IbLb1EEEEDaS1E_S1F_EUlS1E_E_NS1_11comp_targetILNS1_3genE9ELNS1_11target_archE1100ELNS1_3gpuE3ELNS1_3repE0EEENS1_30default_config_static_selectorELNS0_4arch9wavefront6targetE0EEEvT1_
	.globl	_ZN7rocprim17ROCPRIM_400000_NS6detail17trampoline_kernelINS0_14default_configENS1_25partition_config_selectorILNS1_17partition_subalgoE6EN6thrust23THRUST_200600_302600_NS5tupleIffNS7_9null_typeES9_S9_S9_S9_S9_S9_S9_EENS0_10empty_typeEbEEZZNS1_14partition_implILS5_6ELb0ES3_mNS7_12zip_iteratorINS8_INS7_6detail15normal_iteratorINS7_10device_ptrIfEEEESJ_S9_S9_S9_S9_S9_S9_S9_S9_EEEEPSB_SM_NS0_5tupleIJNSE_INS8_ISJ_NS7_16discard_iteratorINS7_11use_defaultEEES9_S9_S9_S9_S9_S9_S9_S9_EEEESB_EEENSN_IJSM_SM_EEESB_PlJNSF_9not_fun_tINSF_14equal_to_valueISA_EEEEEEE10hipError_tPvRmT3_T4_T5_T6_T7_T9_mT8_P12ihipStream_tbDpT10_ENKUlT_T0_E_clISt17integral_constantIbLb0EES1I_IbLb1EEEEDaS1E_S1F_EUlS1E_E_NS1_11comp_targetILNS1_3genE9ELNS1_11target_archE1100ELNS1_3gpuE3ELNS1_3repE0EEENS1_30default_config_static_selectorELNS0_4arch9wavefront6targetE0EEEvT1_
	.p2align	8
	.type	_ZN7rocprim17ROCPRIM_400000_NS6detail17trampoline_kernelINS0_14default_configENS1_25partition_config_selectorILNS1_17partition_subalgoE6EN6thrust23THRUST_200600_302600_NS5tupleIffNS7_9null_typeES9_S9_S9_S9_S9_S9_S9_EENS0_10empty_typeEbEEZZNS1_14partition_implILS5_6ELb0ES3_mNS7_12zip_iteratorINS8_INS7_6detail15normal_iteratorINS7_10device_ptrIfEEEESJ_S9_S9_S9_S9_S9_S9_S9_S9_EEEEPSB_SM_NS0_5tupleIJNSE_INS8_ISJ_NS7_16discard_iteratorINS7_11use_defaultEEES9_S9_S9_S9_S9_S9_S9_S9_EEEESB_EEENSN_IJSM_SM_EEESB_PlJNSF_9not_fun_tINSF_14equal_to_valueISA_EEEEEEE10hipError_tPvRmT3_T4_T5_T6_T7_T9_mT8_P12ihipStream_tbDpT10_ENKUlT_T0_E_clISt17integral_constantIbLb0EES1I_IbLb1EEEEDaS1E_S1F_EUlS1E_E_NS1_11comp_targetILNS1_3genE9ELNS1_11target_archE1100ELNS1_3gpuE3ELNS1_3repE0EEENS1_30default_config_static_selectorELNS0_4arch9wavefront6targetE0EEEvT1_,@function
_ZN7rocprim17ROCPRIM_400000_NS6detail17trampoline_kernelINS0_14default_configENS1_25partition_config_selectorILNS1_17partition_subalgoE6EN6thrust23THRUST_200600_302600_NS5tupleIffNS7_9null_typeES9_S9_S9_S9_S9_S9_S9_EENS0_10empty_typeEbEEZZNS1_14partition_implILS5_6ELb0ES3_mNS7_12zip_iteratorINS8_INS7_6detail15normal_iteratorINS7_10device_ptrIfEEEESJ_S9_S9_S9_S9_S9_S9_S9_S9_EEEEPSB_SM_NS0_5tupleIJNSE_INS8_ISJ_NS7_16discard_iteratorINS7_11use_defaultEEES9_S9_S9_S9_S9_S9_S9_S9_EEEESB_EEENSN_IJSM_SM_EEESB_PlJNSF_9not_fun_tINSF_14equal_to_valueISA_EEEEEEE10hipError_tPvRmT3_T4_T5_T6_T7_T9_mT8_P12ihipStream_tbDpT10_ENKUlT_T0_E_clISt17integral_constantIbLb0EES1I_IbLb1EEEEDaS1E_S1F_EUlS1E_E_NS1_11comp_targetILNS1_3genE9ELNS1_11target_archE1100ELNS1_3gpuE3ELNS1_3repE0EEENS1_30default_config_static_selectorELNS0_4arch9wavefront6targetE0EEEvT1_: ; @_ZN7rocprim17ROCPRIM_400000_NS6detail17trampoline_kernelINS0_14default_configENS1_25partition_config_selectorILNS1_17partition_subalgoE6EN6thrust23THRUST_200600_302600_NS5tupleIffNS7_9null_typeES9_S9_S9_S9_S9_S9_S9_EENS0_10empty_typeEbEEZZNS1_14partition_implILS5_6ELb0ES3_mNS7_12zip_iteratorINS8_INS7_6detail15normal_iteratorINS7_10device_ptrIfEEEESJ_S9_S9_S9_S9_S9_S9_S9_S9_EEEEPSB_SM_NS0_5tupleIJNSE_INS8_ISJ_NS7_16discard_iteratorINS7_11use_defaultEEES9_S9_S9_S9_S9_S9_S9_S9_EEEESB_EEENSN_IJSM_SM_EEESB_PlJNSF_9not_fun_tINSF_14equal_to_valueISA_EEEEEEE10hipError_tPvRmT3_T4_T5_T6_T7_T9_mT8_P12ihipStream_tbDpT10_ENKUlT_T0_E_clISt17integral_constantIbLb0EES1I_IbLb1EEEEDaS1E_S1F_EUlS1E_E_NS1_11comp_targetILNS1_3genE9ELNS1_11target_archE1100ELNS1_3gpuE3ELNS1_3repE0EEENS1_30default_config_static_selectorELNS0_4arch9wavefront6targetE0EEEvT1_
; %bb.0:
	.section	.rodata,"a",@progbits
	.p2align	6, 0x0
	.amdhsa_kernel _ZN7rocprim17ROCPRIM_400000_NS6detail17trampoline_kernelINS0_14default_configENS1_25partition_config_selectorILNS1_17partition_subalgoE6EN6thrust23THRUST_200600_302600_NS5tupleIffNS7_9null_typeES9_S9_S9_S9_S9_S9_S9_EENS0_10empty_typeEbEEZZNS1_14partition_implILS5_6ELb0ES3_mNS7_12zip_iteratorINS8_INS7_6detail15normal_iteratorINS7_10device_ptrIfEEEESJ_S9_S9_S9_S9_S9_S9_S9_S9_EEEEPSB_SM_NS0_5tupleIJNSE_INS8_ISJ_NS7_16discard_iteratorINS7_11use_defaultEEES9_S9_S9_S9_S9_S9_S9_S9_EEEESB_EEENSN_IJSM_SM_EEESB_PlJNSF_9not_fun_tINSF_14equal_to_valueISA_EEEEEEE10hipError_tPvRmT3_T4_T5_T6_T7_T9_mT8_P12ihipStream_tbDpT10_ENKUlT_T0_E_clISt17integral_constantIbLb0EES1I_IbLb1EEEEDaS1E_S1F_EUlS1E_E_NS1_11comp_targetILNS1_3genE9ELNS1_11target_archE1100ELNS1_3gpuE3ELNS1_3repE0EEENS1_30default_config_static_selectorELNS0_4arch9wavefront6targetE0EEEvT1_
		.amdhsa_group_segment_fixed_size 0
		.amdhsa_private_segment_fixed_size 0
		.amdhsa_kernarg_size 152
		.amdhsa_user_sgpr_count 2
		.amdhsa_user_sgpr_dispatch_ptr 0
		.amdhsa_user_sgpr_queue_ptr 0
		.amdhsa_user_sgpr_kernarg_segment_ptr 1
		.amdhsa_user_sgpr_dispatch_id 0
		.amdhsa_user_sgpr_private_segment_size 0
		.amdhsa_wavefront_size32 1
		.amdhsa_uses_dynamic_stack 0
		.amdhsa_enable_private_segment 0
		.amdhsa_system_sgpr_workgroup_id_x 1
		.amdhsa_system_sgpr_workgroup_id_y 0
		.amdhsa_system_sgpr_workgroup_id_z 0
		.amdhsa_system_sgpr_workgroup_info 0
		.amdhsa_system_vgpr_workitem_id 0
		.amdhsa_next_free_vgpr 1
		.amdhsa_next_free_sgpr 1
		.amdhsa_reserve_vcc 0
		.amdhsa_float_round_mode_32 0
		.amdhsa_float_round_mode_16_64 0
		.amdhsa_float_denorm_mode_32 3
		.amdhsa_float_denorm_mode_16_64 3
		.amdhsa_fp16_overflow 0
		.amdhsa_workgroup_processor_mode 1
		.amdhsa_memory_ordered 1
		.amdhsa_forward_progress 1
		.amdhsa_inst_pref_size 0
		.amdhsa_round_robin_scheduling 0
		.amdhsa_exception_fp_ieee_invalid_op 0
		.amdhsa_exception_fp_denorm_src 0
		.amdhsa_exception_fp_ieee_div_zero 0
		.amdhsa_exception_fp_ieee_overflow 0
		.amdhsa_exception_fp_ieee_underflow 0
		.amdhsa_exception_fp_ieee_inexact 0
		.amdhsa_exception_int_div_zero 0
	.end_amdhsa_kernel
	.section	.text._ZN7rocprim17ROCPRIM_400000_NS6detail17trampoline_kernelINS0_14default_configENS1_25partition_config_selectorILNS1_17partition_subalgoE6EN6thrust23THRUST_200600_302600_NS5tupleIffNS7_9null_typeES9_S9_S9_S9_S9_S9_S9_EENS0_10empty_typeEbEEZZNS1_14partition_implILS5_6ELb0ES3_mNS7_12zip_iteratorINS8_INS7_6detail15normal_iteratorINS7_10device_ptrIfEEEESJ_S9_S9_S9_S9_S9_S9_S9_S9_EEEEPSB_SM_NS0_5tupleIJNSE_INS8_ISJ_NS7_16discard_iteratorINS7_11use_defaultEEES9_S9_S9_S9_S9_S9_S9_S9_EEEESB_EEENSN_IJSM_SM_EEESB_PlJNSF_9not_fun_tINSF_14equal_to_valueISA_EEEEEEE10hipError_tPvRmT3_T4_T5_T6_T7_T9_mT8_P12ihipStream_tbDpT10_ENKUlT_T0_E_clISt17integral_constantIbLb0EES1I_IbLb1EEEEDaS1E_S1F_EUlS1E_E_NS1_11comp_targetILNS1_3genE9ELNS1_11target_archE1100ELNS1_3gpuE3ELNS1_3repE0EEENS1_30default_config_static_selectorELNS0_4arch9wavefront6targetE0EEEvT1_,"axG",@progbits,_ZN7rocprim17ROCPRIM_400000_NS6detail17trampoline_kernelINS0_14default_configENS1_25partition_config_selectorILNS1_17partition_subalgoE6EN6thrust23THRUST_200600_302600_NS5tupleIffNS7_9null_typeES9_S9_S9_S9_S9_S9_S9_EENS0_10empty_typeEbEEZZNS1_14partition_implILS5_6ELb0ES3_mNS7_12zip_iteratorINS8_INS7_6detail15normal_iteratorINS7_10device_ptrIfEEEESJ_S9_S9_S9_S9_S9_S9_S9_S9_EEEEPSB_SM_NS0_5tupleIJNSE_INS8_ISJ_NS7_16discard_iteratorINS7_11use_defaultEEES9_S9_S9_S9_S9_S9_S9_S9_EEEESB_EEENSN_IJSM_SM_EEESB_PlJNSF_9not_fun_tINSF_14equal_to_valueISA_EEEEEEE10hipError_tPvRmT3_T4_T5_T6_T7_T9_mT8_P12ihipStream_tbDpT10_ENKUlT_T0_E_clISt17integral_constantIbLb0EES1I_IbLb1EEEEDaS1E_S1F_EUlS1E_E_NS1_11comp_targetILNS1_3genE9ELNS1_11target_archE1100ELNS1_3gpuE3ELNS1_3repE0EEENS1_30default_config_static_selectorELNS0_4arch9wavefront6targetE0EEEvT1_,comdat
.Lfunc_end1883:
	.size	_ZN7rocprim17ROCPRIM_400000_NS6detail17trampoline_kernelINS0_14default_configENS1_25partition_config_selectorILNS1_17partition_subalgoE6EN6thrust23THRUST_200600_302600_NS5tupleIffNS7_9null_typeES9_S9_S9_S9_S9_S9_S9_EENS0_10empty_typeEbEEZZNS1_14partition_implILS5_6ELb0ES3_mNS7_12zip_iteratorINS8_INS7_6detail15normal_iteratorINS7_10device_ptrIfEEEESJ_S9_S9_S9_S9_S9_S9_S9_S9_EEEEPSB_SM_NS0_5tupleIJNSE_INS8_ISJ_NS7_16discard_iteratorINS7_11use_defaultEEES9_S9_S9_S9_S9_S9_S9_S9_EEEESB_EEENSN_IJSM_SM_EEESB_PlJNSF_9not_fun_tINSF_14equal_to_valueISA_EEEEEEE10hipError_tPvRmT3_T4_T5_T6_T7_T9_mT8_P12ihipStream_tbDpT10_ENKUlT_T0_E_clISt17integral_constantIbLb0EES1I_IbLb1EEEEDaS1E_S1F_EUlS1E_E_NS1_11comp_targetILNS1_3genE9ELNS1_11target_archE1100ELNS1_3gpuE3ELNS1_3repE0EEENS1_30default_config_static_selectorELNS0_4arch9wavefront6targetE0EEEvT1_, .Lfunc_end1883-_ZN7rocprim17ROCPRIM_400000_NS6detail17trampoline_kernelINS0_14default_configENS1_25partition_config_selectorILNS1_17partition_subalgoE6EN6thrust23THRUST_200600_302600_NS5tupleIffNS7_9null_typeES9_S9_S9_S9_S9_S9_S9_EENS0_10empty_typeEbEEZZNS1_14partition_implILS5_6ELb0ES3_mNS7_12zip_iteratorINS8_INS7_6detail15normal_iteratorINS7_10device_ptrIfEEEESJ_S9_S9_S9_S9_S9_S9_S9_S9_EEEEPSB_SM_NS0_5tupleIJNSE_INS8_ISJ_NS7_16discard_iteratorINS7_11use_defaultEEES9_S9_S9_S9_S9_S9_S9_S9_EEEESB_EEENSN_IJSM_SM_EEESB_PlJNSF_9not_fun_tINSF_14equal_to_valueISA_EEEEEEE10hipError_tPvRmT3_T4_T5_T6_T7_T9_mT8_P12ihipStream_tbDpT10_ENKUlT_T0_E_clISt17integral_constantIbLb0EES1I_IbLb1EEEEDaS1E_S1F_EUlS1E_E_NS1_11comp_targetILNS1_3genE9ELNS1_11target_archE1100ELNS1_3gpuE3ELNS1_3repE0EEENS1_30default_config_static_selectorELNS0_4arch9wavefront6targetE0EEEvT1_
                                        ; -- End function
	.set _ZN7rocprim17ROCPRIM_400000_NS6detail17trampoline_kernelINS0_14default_configENS1_25partition_config_selectorILNS1_17partition_subalgoE6EN6thrust23THRUST_200600_302600_NS5tupleIffNS7_9null_typeES9_S9_S9_S9_S9_S9_S9_EENS0_10empty_typeEbEEZZNS1_14partition_implILS5_6ELb0ES3_mNS7_12zip_iteratorINS8_INS7_6detail15normal_iteratorINS7_10device_ptrIfEEEESJ_S9_S9_S9_S9_S9_S9_S9_S9_EEEEPSB_SM_NS0_5tupleIJNSE_INS8_ISJ_NS7_16discard_iteratorINS7_11use_defaultEEES9_S9_S9_S9_S9_S9_S9_S9_EEEESB_EEENSN_IJSM_SM_EEESB_PlJNSF_9not_fun_tINSF_14equal_to_valueISA_EEEEEEE10hipError_tPvRmT3_T4_T5_T6_T7_T9_mT8_P12ihipStream_tbDpT10_ENKUlT_T0_E_clISt17integral_constantIbLb0EES1I_IbLb1EEEEDaS1E_S1F_EUlS1E_E_NS1_11comp_targetILNS1_3genE9ELNS1_11target_archE1100ELNS1_3gpuE3ELNS1_3repE0EEENS1_30default_config_static_selectorELNS0_4arch9wavefront6targetE0EEEvT1_.num_vgpr, 0
	.set _ZN7rocprim17ROCPRIM_400000_NS6detail17trampoline_kernelINS0_14default_configENS1_25partition_config_selectorILNS1_17partition_subalgoE6EN6thrust23THRUST_200600_302600_NS5tupleIffNS7_9null_typeES9_S9_S9_S9_S9_S9_S9_EENS0_10empty_typeEbEEZZNS1_14partition_implILS5_6ELb0ES3_mNS7_12zip_iteratorINS8_INS7_6detail15normal_iteratorINS7_10device_ptrIfEEEESJ_S9_S9_S9_S9_S9_S9_S9_S9_EEEEPSB_SM_NS0_5tupleIJNSE_INS8_ISJ_NS7_16discard_iteratorINS7_11use_defaultEEES9_S9_S9_S9_S9_S9_S9_S9_EEEESB_EEENSN_IJSM_SM_EEESB_PlJNSF_9not_fun_tINSF_14equal_to_valueISA_EEEEEEE10hipError_tPvRmT3_T4_T5_T6_T7_T9_mT8_P12ihipStream_tbDpT10_ENKUlT_T0_E_clISt17integral_constantIbLb0EES1I_IbLb1EEEEDaS1E_S1F_EUlS1E_E_NS1_11comp_targetILNS1_3genE9ELNS1_11target_archE1100ELNS1_3gpuE3ELNS1_3repE0EEENS1_30default_config_static_selectorELNS0_4arch9wavefront6targetE0EEEvT1_.num_agpr, 0
	.set _ZN7rocprim17ROCPRIM_400000_NS6detail17trampoline_kernelINS0_14default_configENS1_25partition_config_selectorILNS1_17partition_subalgoE6EN6thrust23THRUST_200600_302600_NS5tupleIffNS7_9null_typeES9_S9_S9_S9_S9_S9_S9_EENS0_10empty_typeEbEEZZNS1_14partition_implILS5_6ELb0ES3_mNS7_12zip_iteratorINS8_INS7_6detail15normal_iteratorINS7_10device_ptrIfEEEESJ_S9_S9_S9_S9_S9_S9_S9_S9_EEEEPSB_SM_NS0_5tupleIJNSE_INS8_ISJ_NS7_16discard_iteratorINS7_11use_defaultEEES9_S9_S9_S9_S9_S9_S9_S9_EEEESB_EEENSN_IJSM_SM_EEESB_PlJNSF_9not_fun_tINSF_14equal_to_valueISA_EEEEEEE10hipError_tPvRmT3_T4_T5_T6_T7_T9_mT8_P12ihipStream_tbDpT10_ENKUlT_T0_E_clISt17integral_constantIbLb0EES1I_IbLb1EEEEDaS1E_S1F_EUlS1E_E_NS1_11comp_targetILNS1_3genE9ELNS1_11target_archE1100ELNS1_3gpuE3ELNS1_3repE0EEENS1_30default_config_static_selectorELNS0_4arch9wavefront6targetE0EEEvT1_.numbered_sgpr, 0
	.set _ZN7rocprim17ROCPRIM_400000_NS6detail17trampoline_kernelINS0_14default_configENS1_25partition_config_selectorILNS1_17partition_subalgoE6EN6thrust23THRUST_200600_302600_NS5tupleIffNS7_9null_typeES9_S9_S9_S9_S9_S9_S9_EENS0_10empty_typeEbEEZZNS1_14partition_implILS5_6ELb0ES3_mNS7_12zip_iteratorINS8_INS7_6detail15normal_iteratorINS7_10device_ptrIfEEEESJ_S9_S9_S9_S9_S9_S9_S9_S9_EEEEPSB_SM_NS0_5tupleIJNSE_INS8_ISJ_NS7_16discard_iteratorINS7_11use_defaultEEES9_S9_S9_S9_S9_S9_S9_S9_EEEESB_EEENSN_IJSM_SM_EEESB_PlJNSF_9not_fun_tINSF_14equal_to_valueISA_EEEEEEE10hipError_tPvRmT3_T4_T5_T6_T7_T9_mT8_P12ihipStream_tbDpT10_ENKUlT_T0_E_clISt17integral_constantIbLb0EES1I_IbLb1EEEEDaS1E_S1F_EUlS1E_E_NS1_11comp_targetILNS1_3genE9ELNS1_11target_archE1100ELNS1_3gpuE3ELNS1_3repE0EEENS1_30default_config_static_selectorELNS0_4arch9wavefront6targetE0EEEvT1_.num_named_barrier, 0
	.set _ZN7rocprim17ROCPRIM_400000_NS6detail17trampoline_kernelINS0_14default_configENS1_25partition_config_selectorILNS1_17partition_subalgoE6EN6thrust23THRUST_200600_302600_NS5tupleIffNS7_9null_typeES9_S9_S9_S9_S9_S9_S9_EENS0_10empty_typeEbEEZZNS1_14partition_implILS5_6ELb0ES3_mNS7_12zip_iteratorINS8_INS7_6detail15normal_iteratorINS7_10device_ptrIfEEEESJ_S9_S9_S9_S9_S9_S9_S9_S9_EEEEPSB_SM_NS0_5tupleIJNSE_INS8_ISJ_NS7_16discard_iteratorINS7_11use_defaultEEES9_S9_S9_S9_S9_S9_S9_S9_EEEESB_EEENSN_IJSM_SM_EEESB_PlJNSF_9not_fun_tINSF_14equal_to_valueISA_EEEEEEE10hipError_tPvRmT3_T4_T5_T6_T7_T9_mT8_P12ihipStream_tbDpT10_ENKUlT_T0_E_clISt17integral_constantIbLb0EES1I_IbLb1EEEEDaS1E_S1F_EUlS1E_E_NS1_11comp_targetILNS1_3genE9ELNS1_11target_archE1100ELNS1_3gpuE3ELNS1_3repE0EEENS1_30default_config_static_selectorELNS0_4arch9wavefront6targetE0EEEvT1_.private_seg_size, 0
	.set _ZN7rocprim17ROCPRIM_400000_NS6detail17trampoline_kernelINS0_14default_configENS1_25partition_config_selectorILNS1_17partition_subalgoE6EN6thrust23THRUST_200600_302600_NS5tupleIffNS7_9null_typeES9_S9_S9_S9_S9_S9_S9_EENS0_10empty_typeEbEEZZNS1_14partition_implILS5_6ELb0ES3_mNS7_12zip_iteratorINS8_INS7_6detail15normal_iteratorINS7_10device_ptrIfEEEESJ_S9_S9_S9_S9_S9_S9_S9_S9_EEEEPSB_SM_NS0_5tupleIJNSE_INS8_ISJ_NS7_16discard_iteratorINS7_11use_defaultEEES9_S9_S9_S9_S9_S9_S9_S9_EEEESB_EEENSN_IJSM_SM_EEESB_PlJNSF_9not_fun_tINSF_14equal_to_valueISA_EEEEEEE10hipError_tPvRmT3_T4_T5_T6_T7_T9_mT8_P12ihipStream_tbDpT10_ENKUlT_T0_E_clISt17integral_constantIbLb0EES1I_IbLb1EEEEDaS1E_S1F_EUlS1E_E_NS1_11comp_targetILNS1_3genE9ELNS1_11target_archE1100ELNS1_3gpuE3ELNS1_3repE0EEENS1_30default_config_static_selectorELNS0_4arch9wavefront6targetE0EEEvT1_.uses_vcc, 0
	.set _ZN7rocprim17ROCPRIM_400000_NS6detail17trampoline_kernelINS0_14default_configENS1_25partition_config_selectorILNS1_17partition_subalgoE6EN6thrust23THRUST_200600_302600_NS5tupleIffNS7_9null_typeES9_S9_S9_S9_S9_S9_S9_EENS0_10empty_typeEbEEZZNS1_14partition_implILS5_6ELb0ES3_mNS7_12zip_iteratorINS8_INS7_6detail15normal_iteratorINS7_10device_ptrIfEEEESJ_S9_S9_S9_S9_S9_S9_S9_S9_EEEEPSB_SM_NS0_5tupleIJNSE_INS8_ISJ_NS7_16discard_iteratorINS7_11use_defaultEEES9_S9_S9_S9_S9_S9_S9_S9_EEEESB_EEENSN_IJSM_SM_EEESB_PlJNSF_9not_fun_tINSF_14equal_to_valueISA_EEEEEEE10hipError_tPvRmT3_T4_T5_T6_T7_T9_mT8_P12ihipStream_tbDpT10_ENKUlT_T0_E_clISt17integral_constantIbLb0EES1I_IbLb1EEEEDaS1E_S1F_EUlS1E_E_NS1_11comp_targetILNS1_3genE9ELNS1_11target_archE1100ELNS1_3gpuE3ELNS1_3repE0EEENS1_30default_config_static_selectorELNS0_4arch9wavefront6targetE0EEEvT1_.uses_flat_scratch, 0
	.set _ZN7rocprim17ROCPRIM_400000_NS6detail17trampoline_kernelINS0_14default_configENS1_25partition_config_selectorILNS1_17partition_subalgoE6EN6thrust23THRUST_200600_302600_NS5tupleIffNS7_9null_typeES9_S9_S9_S9_S9_S9_S9_EENS0_10empty_typeEbEEZZNS1_14partition_implILS5_6ELb0ES3_mNS7_12zip_iteratorINS8_INS7_6detail15normal_iteratorINS7_10device_ptrIfEEEESJ_S9_S9_S9_S9_S9_S9_S9_S9_EEEEPSB_SM_NS0_5tupleIJNSE_INS8_ISJ_NS7_16discard_iteratorINS7_11use_defaultEEES9_S9_S9_S9_S9_S9_S9_S9_EEEESB_EEENSN_IJSM_SM_EEESB_PlJNSF_9not_fun_tINSF_14equal_to_valueISA_EEEEEEE10hipError_tPvRmT3_T4_T5_T6_T7_T9_mT8_P12ihipStream_tbDpT10_ENKUlT_T0_E_clISt17integral_constantIbLb0EES1I_IbLb1EEEEDaS1E_S1F_EUlS1E_E_NS1_11comp_targetILNS1_3genE9ELNS1_11target_archE1100ELNS1_3gpuE3ELNS1_3repE0EEENS1_30default_config_static_selectorELNS0_4arch9wavefront6targetE0EEEvT1_.has_dyn_sized_stack, 0
	.set _ZN7rocprim17ROCPRIM_400000_NS6detail17trampoline_kernelINS0_14default_configENS1_25partition_config_selectorILNS1_17partition_subalgoE6EN6thrust23THRUST_200600_302600_NS5tupleIffNS7_9null_typeES9_S9_S9_S9_S9_S9_S9_EENS0_10empty_typeEbEEZZNS1_14partition_implILS5_6ELb0ES3_mNS7_12zip_iteratorINS8_INS7_6detail15normal_iteratorINS7_10device_ptrIfEEEESJ_S9_S9_S9_S9_S9_S9_S9_S9_EEEEPSB_SM_NS0_5tupleIJNSE_INS8_ISJ_NS7_16discard_iteratorINS7_11use_defaultEEES9_S9_S9_S9_S9_S9_S9_S9_EEEESB_EEENSN_IJSM_SM_EEESB_PlJNSF_9not_fun_tINSF_14equal_to_valueISA_EEEEEEE10hipError_tPvRmT3_T4_T5_T6_T7_T9_mT8_P12ihipStream_tbDpT10_ENKUlT_T0_E_clISt17integral_constantIbLb0EES1I_IbLb1EEEEDaS1E_S1F_EUlS1E_E_NS1_11comp_targetILNS1_3genE9ELNS1_11target_archE1100ELNS1_3gpuE3ELNS1_3repE0EEENS1_30default_config_static_selectorELNS0_4arch9wavefront6targetE0EEEvT1_.has_recursion, 0
	.set _ZN7rocprim17ROCPRIM_400000_NS6detail17trampoline_kernelINS0_14default_configENS1_25partition_config_selectorILNS1_17partition_subalgoE6EN6thrust23THRUST_200600_302600_NS5tupleIffNS7_9null_typeES9_S9_S9_S9_S9_S9_S9_EENS0_10empty_typeEbEEZZNS1_14partition_implILS5_6ELb0ES3_mNS7_12zip_iteratorINS8_INS7_6detail15normal_iteratorINS7_10device_ptrIfEEEESJ_S9_S9_S9_S9_S9_S9_S9_S9_EEEEPSB_SM_NS0_5tupleIJNSE_INS8_ISJ_NS7_16discard_iteratorINS7_11use_defaultEEES9_S9_S9_S9_S9_S9_S9_S9_EEEESB_EEENSN_IJSM_SM_EEESB_PlJNSF_9not_fun_tINSF_14equal_to_valueISA_EEEEEEE10hipError_tPvRmT3_T4_T5_T6_T7_T9_mT8_P12ihipStream_tbDpT10_ENKUlT_T0_E_clISt17integral_constantIbLb0EES1I_IbLb1EEEEDaS1E_S1F_EUlS1E_E_NS1_11comp_targetILNS1_3genE9ELNS1_11target_archE1100ELNS1_3gpuE3ELNS1_3repE0EEENS1_30default_config_static_selectorELNS0_4arch9wavefront6targetE0EEEvT1_.has_indirect_call, 0
	.section	.AMDGPU.csdata,"",@progbits
; Kernel info:
; codeLenInByte = 0
; TotalNumSgprs: 0
; NumVgprs: 0
; ScratchSize: 0
; MemoryBound: 0
; FloatMode: 240
; IeeeMode: 1
; LDSByteSize: 0 bytes/workgroup (compile time only)
; SGPRBlocks: 0
; VGPRBlocks: 0
; NumSGPRsForWavesPerEU: 1
; NumVGPRsForWavesPerEU: 1
; Occupancy: 16
; WaveLimiterHint : 0
; COMPUTE_PGM_RSRC2:SCRATCH_EN: 0
; COMPUTE_PGM_RSRC2:USER_SGPR: 2
; COMPUTE_PGM_RSRC2:TRAP_HANDLER: 0
; COMPUTE_PGM_RSRC2:TGID_X_EN: 1
; COMPUTE_PGM_RSRC2:TGID_Y_EN: 0
; COMPUTE_PGM_RSRC2:TGID_Z_EN: 0
; COMPUTE_PGM_RSRC2:TIDIG_COMP_CNT: 0
	.section	.text._ZN7rocprim17ROCPRIM_400000_NS6detail17trampoline_kernelINS0_14default_configENS1_25partition_config_selectorILNS1_17partition_subalgoE6EN6thrust23THRUST_200600_302600_NS5tupleIffNS7_9null_typeES9_S9_S9_S9_S9_S9_S9_EENS0_10empty_typeEbEEZZNS1_14partition_implILS5_6ELb0ES3_mNS7_12zip_iteratorINS8_INS7_6detail15normal_iteratorINS7_10device_ptrIfEEEESJ_S9_S9_S9_S9_S9_S9_S9_S9_EEEEPSB_SM_NS0_5tupleIJNSE_INS8_ISJ_NS7_16discard_iteratorINS7_11use_defaultEEES9_S9_S9_S9_S9_S9_S9_S9_EEEESB_EEENSN_IJSM_SM_EEESB_PlJNSF_9not_fun_tINSF_14equal_to_valueISA_EEEEEEE10hipError_tPvRmT3_T4_T5_T6_T7_T9_mT8_P12ihipStream_tbDpT10_ENKUlT_T0_E_clISt17integral_constantIbLb0EES1I_IbLb1EEEEDaS1E_S1F_EUlS1E_E_NS1_11comp_targetILNS1_3genE8ELNS1_11target_archE1030ELNS1_3gpuE2ELNS1_3repE0EEENS1_30default_config_static_selectorELNS0_4arch9wavefront6targetE0EEEvT1_,"axG",@progbits,_ZN7rocprim17ROCPRIM_400000_NS6detail17trampoline_kernelINS0_14default_configENS1_25partition_config_selectorILNS1_17partition_subalgoE6EN6thrust23THRUST_200600_302600_NS5tupleIffNS7_9null_typeES9_S9_S9_S9_S9_S9_S9_EENS0_10empty_typeEbEEZZNS1_14partition_implILS5_6ELb0ES3_mNS7_12zip_iteratorINS8_INS7_6detail15normal_iteratorINS7_10device_ptrIfEEEESJ_S9_S9_S9_S9_S9_S9_S9_S9_EEEEPSB_SM_NS0_5tupleIJNSE_INS8_ISJ_NS7_16discard_iteratorINS7_11use_defaultEEES9_S9_S9_S9_S9_S9_S9_S9_EEEESB_EEENSN_IJSM_SM_EEESB_PlJNSF_9not_fun_tINSF_14equal_to_valueISA_EEEEEEE10hipError_tPvRmT3_T4_T5_T6_T7_T9_mT8_P12ihipStream_tbDpT10_ENKUlT_T0_E_clISt17integral_constantIbLb0EES1I_IbLb1EEEEDaS1E_S1F_EUlS1E_E_NS1_11comp_targetILNS1_3genE8ELNS1_11target_archE1030ELNS1_3gpuE2ELNS1_3repE0EEENS1_30default_config_static_selectorELNS0_4arch9wavefront6targetE0EEEvT1_,comdat
	.protected	_ZN7rocprim17ROCPRIM_400000_NS6detail17trampoline_kernelINS0_14default_configENS1_25partition_config_selectorILNS1_17partition_subalgoE6EN6thrust23THRUST_200600_302600_NS5tupleIffNS7_9null_typeES9_S9_S9_S9_S9_S9_S9_EENS0_10empty_typeEbEEZZNS1_14partition_implILS5_6ELb0ES3_mNS7_12zip_iteratorINS8_INS7_6detail15normal_iteratorINS7_10device_ptrIfEEEESJ_S9_S9_S9_S9_S9_S9_S9_S9_EEEEPSB_SM_NS0_5tupleIJNSE_INS8_ISJ_NS7_16discard_iteratorINS7_11use_defaultEEES9_S9_S9_S9_S9_S9_S9_S9_EEEESB_EEENSN_IJSM_SM_EEESB_PlJNSF_9not_fun_tINSF_14equal_to_valueISA_EEEEEEE10hipError_tPvRmT3_T4_T5_T6_T7_T9_mT8_P12ihipStream_tbDpT10_ENKUlT_T0_E_clISt17integral_constantIbLb0EES1I_IbLb1EEEEDaS1E_S1F_EUlS1E_E_NS1_11comp_targetILNS1_3genE8ELNS1_11target_archE1030ELNS1_3gpuE2ELNS1_3repE0EEENS1_30default_config_static_selectorELNS0_4arch9wavefront6targetE0EEEvT1_ ; -- Begin function _ZN7rocprim17ROCPRIM_400000_NS6detail17trampoline_kernelINS0_14default_configENS1_25partition_config_selectorILNS1_17partition_subalgoE6EN6thrust23THRUST_200600_302600_NS5tupleIffNS7_9null_typeES9_S9_S9_S9_S9_S9_S9_EENS0_10empty_typeEbEEZZNS1_14partition_implILS5_6ELb0ES3_mNS7_12zip_iteratorINS8_INS7_6detail15normal_iteratorINS7_10device_ptrIfEEEESJ_S9_S9_S9_S9_S9_S9_S9_S9_EEEEPSB_SM_NS0_5tupleIJNSE_INS8_ISJ_NS7_16discard_iteratorINS7_11use_defaultEEES9_S9_S9_S9_S9_S9_S9_S9_EEEESB_EEENSN_IJSM_SM_EEESB_PlJNSF_9not_fun_tINSF_14equal_to_valueISA_EEEEEEE10hipError_tPvRmT3_T4_T5_T6_T7_T9_mT8_P12ihipStream_tbDpT10_ENKUlT_T0_E_clISt17integral_constantIbLb0EES1I_IbLb1EEEEDaS1E_S1F_EUlS1E_E_NS1_11comp_targetILNS1_3genE8ELNS1_11target_archE1030ELNS1_3gpuE2ELNS1_3repE0EEENS1_30default_config_static_selectorELNS0_4arch9wavefront6targetE0EEEvT1_
	.globl	_ZN7rocprim17ROCPRIM_400000_NS6detail17trampoline_kernelINS0_14default_configENS1_25partition_config_selectorILNS1_17partition_subalgoE6EN6thrust23THRUST_200600_302600_NS5tupleIffNS7_9null_typeES9_S9_S9_S9_S9_S9_S9_EENS0_10empty_typeEbEEZZNS1_14partition_implILS5_6ELb0ES3_mNS7_12zip_iteratorINS8_INS7_6detail15normal_iteratorINS7_10device_ptrIfEEEESJ_S9_S9_S9_S9_S9_S9_S9_S9_EEEEPSB_SM_NS0_5tupleIJNSE_INS8_ISJ_NS7_16discard_iteratorINS7_11use_defaultEEES9_S9_S9_S9_S9_S9_S9_S9_EEEESB_EEENSN_IJSM_SM_EEESB_PlJNSF_9not_fun_tINSF_14equal_to_valueISA_EEEEEEE10hipError_tPvRmT3_T4_T5_T6_T7_T9_mT8_P12ihipStream_tbDpT10_ENKUlT_T0_E_clISt17integral_constantIbLb0EES1I_IbLb1EEEEDaS1E_S1F_EUlS1E_E_NS1_11comp_targetILNS1_3genE8ELNS1_11target_archE1030ELNS1_3gpuE2ELNS1_3repE0EEENS1_30default_config_static_selectorELNS0_4arch9wavefront6targetE0EEEvT1_
	.p2align	8
	.type	_ZN7rocprim17ROCPRIM_400000_NS6detail17trampoline_kernelINS0_14default_configENS1_25partition_config_selectorILNS1_17partition_subalgoE6EN6thrust23THRUST_200600_302600_NS5tupleIffNS7_9null_typeES9_S9_S9_S9_S9_S9_S9_EENS0_10empty_typeEbEEZZNS1_14partition_implILS5_6ELb0ES3_mNS7_12zip_iteratorINS8_INS7_6detail15normal_iteratorINS7_10device_ptrIfEEEESJ_S9_S9_S9_S9_S9_S9_S9_S9_EEEEPSB_SM_NS0_5tupleIJNSE_INS8_ISJ_NS7_16discard_iteratorINS7_11use_defaultEEES9_S9_S9_S9_S9_S9_S9_S9_EEEESB_EEENSN_IJSM_SM_EEESB_PlJNSF_9not_fun_tINSF_14equal_to_valueISA_EEEEEEE10hipError_tPvRmT3_T4_T5_T6_T7_T9_mT8_P12ihipStream_tbDpT10_ENKUlT_T0_E_clISt17integral_constantIbLb0EES1I_IbLb1EEEEDaS1E_S1F_EUlS1E_E_NS1_11comp_targetILNS1_3genE8ELNS1_11target_archE1030ELNS1_3gpuE2ELNS1_3repE0EEENS1_30default_config_static_selectorELNS0_4arch9wavefront6targetE0EEEvT1_,@function
_ZN7rocprim17ROCPRIM_400000_NS6detail17trampoline_kernelINS0_14default_configENS1_25partition_config_selectorILNS1_17partition_subalgoE6EN6thrust23THRUST_200600_302600_NS5tupleIffNS7_9null_typeES9_S9_S9_S9_S9_S9_S9_EENS0_10empty_typeEbEEZZNS1_14partition_implILS5_6ELb0ES3_mNS7_12zip_iteratorINS8_INS7_6detail15normal_iteratorINS7_10device_ptrIfEEEESJ_S9_S9_S9_S9_S9_S9_S9_S9_EEEEPSB_SM_NS0_5tupleIJNSE_INS8_ISJ_NS7_16discard_iteratorINS7_11use_defaultEEES9_S9_S9_S9_S9_S9_S9_S9_EEEESB_EEENSN_IJSM_SM_EEESB_PlJNSF_9not_fun_tINSF_14equal_to_valueISA_EEEEEEE10hipError_tPvRmT3_T4_T5_T6_T7_T9_mT8_P12ihipStream_tbDpT10_ENKUlT_T0_E_clISt17integral_constantIbLb0EES1I_IbLb1EEEEDaS1E_S1F_EUlS1E_E_NS1_11comp_targetILNS1_3genE8ELNS1_11target_archE1030ELNS1_3gpuE2ELNS1_3repE0EEENS1_30default_config_static_selectorELNS0_4arch9wavefront6targetE0EEEvT1_: ; @_ZN7rocprim17ROCPRIM_400000_NS6detail17trampoline_kernelINS0_14default_configENS1_25partition_config_selectorILNS1_17partition_subalgoE6EN6thrust23THRUST_200600_302600_NS5tupleIffNS7_9null_typeES9_S9_S9_S9_S9_S9_S9_EENS0_10empty_typeEbEEZZNS1_14partition_implILS5_6ELb0ES3_mNS7_12zip_iteratorINS8_INS7_6detail15normal_iteratorINS7_10device_ptrIfEEEESJ_S9_S9_S9_S9_S9_S9_S9_S9_EEEEPSB_SM_NS0_5tupleIJNSE_INS8_ISJ_NS7_16discard_iteratorINS7_11use_defaultEEES9_S9_S9_S9_S9_S9_S9_S9_EEEESB_EEENSN_IJSM_SM_EEESB_PlJNSF_9not_fun_tINSF_14equal_to_valueISA_EEEEEEE10hipError_tPvRmT3_T4_T5_T6_T7_T9_mT8_P12ihipStream_tbDpT10_ENKUlT_T0_E_clISt17integral_constantIbLb0EES1I_IbLb1EEEEDaS1E_S1F_EUlS1E_E_NS1_11comp_targetILNS1_3genE8ELNS1_11target_archE1030ELNS1_3gpuE2ELNS1_3repE0EEENS1_30default_config_static_selectorELNS0_4arch9wavefront6targetE0EEEvT1_
; %bb.0:
	.section	.rodata,"a",@progbits
	.p2align	6, 0x0
	.amdhsa_kernel _ZN7rocprim17ROCPRIM_400000_NS6detail17trampoline_kernelINS0_14default_configENS1_25partition_config_selectorILNS1_17partition_subalgoE6EN6thrust23THRUST_200600_302600_NS5tupleIffNS7_9null_typeES9_S9_S9_S9_S9_S9_S9_EENS0_10empty_typeEbEEZZNS1_14partition_implILS5_6ELb0ES3_mNS7_12zip_iteratorINS8_INS7_6detail15normal_iteratorINS7_10device_ptrIfEEEESJ_S9_S9_S9_S9_S9_S9_S9_S9_EEEEPSB_SM_NS0_5tupleIJNSE_INS8_ISJ_NS7_16discard_iteratorINS7_11use_defaultEEES9_S9_S9_S9_S9_S9_S9_S9_EEEESB_EEENSN_IJSM_SM_EEESB_PlJNSF_9not_fun_tINSF_14equal_to_valueISA_EEEEEEE10hipError_tPvRmT3_T4_T5_T6_T7_T9_mT8_P12ihipStream_tbDpT10_ENKUlT_T0_E_clISt17integral_constantIbLb0EES1I_IbLb1EEEEDaS1E_S1F_EUlS1E_E_NS1_11comp_targetILNS1_3genE8ELNS1_11target_archE1030ELNS1_3gpuE2ELNS1_3repE0EEENS1_30default_config_static_selectorELNS0_4arch9wavefront6targetE0EEEvT1_
		.amdhsa_group_segment_fixed_size 0
		.amdhsa_private_segment_fixed_size 0
		.amdhsa_kernarg_size 152
		.amdhsa_user_sgpr_count 2
		.amdhsa_user_sgpr_dispatch_ptr 0
		.amdhsa_user_sgpr_queue_ptr 0
		.amdhsa_user_sgpr_kernarg_segment_ptr 1
		.amdhsa_user_sgpr_dispatch_id 0
		.amdhsa_user_sgpr_private_segment_size 0
		.amdhsa_wavefront_size32 1
		.amdhsa_uses_dynamic_stack 0
		.amdhsa_enable_private_segment 0
		.amdhsa_system_sgpr_workgroup_id_x 1
		.amdhsa_system_sgpr_workgroup_id_y 0
		.amdhsa_system_sgpr_workgroup_id_z 0
		.amdhsa_system_sgpr_workgroup_info 0
		.amdhsa_system_vgpr_workitem_id 0
		.amdhsa_next_free_vgpr 1
		.amdhsa_next_free_sgpr 1
		.amdhsa_reserve_vcc 0
		.amdhsa_float_round_mode_32 0
		.amdhsa_float_round_mode_16_64 0
		.amdhsa_float_denorm_mode_32 3
		.amdhsa_float_denorm_mode_16_64 3
		.amdhsa_fp16_overflow 0
		.amdhsa_workgroup_processor_mode 1
		.amdhsa_memory_ordered 1
		.amdhsa_forward_progress 1
		.amdhsa_inst_pref_size 0
		.amdhsa_round_robin_scheduling 0
		.amdhsa_exception_fp_ieee_invalid_op 0
		.amdhsa_exception_fp_denorm_src 0
		.amdhsa_exception_fp_ieee_div_zero 0
		.amdhsa_exception_fp_ieee_overflow 0
		.amdhsa_exception_fp_ieee_underflow 0
		.amdhsa_exception_fp_ieee_inexact 0
		.amdhsa_exception_int_div_zero 0
	.end_amdhsa_kernel
	.section	.text._ZN7rocprim17ROCPRIM_400000_NS6detail17trampoline_kernelINS0_14default_configENS1_25partition_config_selectorILNS1_17partition_subalgoE6EN6thrust23THRUST_200600_302600_NS5tupleIffNS7_9null_typeES9_S9_S9_S9_S9_S9_S9_EENS0_10empty_typeEbEEZZNS1_14partition_implILS5_6ELb0ES3_mNS7_12zip_iteratorINS8_INS7_6detail15normal_iteratorINS7_10device_ptrIfEEEESJ_S9_S9_S9_S9_S9_S9_S9_S9_EEEEPSB_SM_NS0_5tupleIJNSE_INS8_ISJ_NS7_16discard_iteratorINS7_11use_defaultEEES9_S9_S9_S9_S9_S9_S9_S9_EEEESB_EEENSN_IJSM_SM_EEESB_PlJNSF_9not_fun_tINSF_14equal_to_valueISA_EEEEEEE10hipError_tPvRmT3_T4_T5_T6_T7_T9_mT8_P12ihipStream_tbDpT10_ENKUlT_T0_E_clISt17integral_constantIbLb0EES1I_IbLb1EEEEDaS1E_S1F_EUlS1E_E_NS1_11comp_targetILNS1_3genE8ELNS1_11target_archE1030ELNS1_3gpuE2ELNS1_3repE0EEENS1_30default_config_static_selectorELNS0_4arch9wavefront6targetE0EEEvT1_,"axG",@progbits,_ZN7rocprim17ROCPRIM_400000_NS6detail17trampoline_kernelINS0_14default_configENS1_25partition_config_selectorILNS1_17partition_subalgoE6EN6thrust23THRUST_200600_302600_NS5tupleIffNS7_9null_typeES9_S9_S9_S9_S9_S9_S9_EENS0_10empty_typeEbEEZZNS1_14partition_implILS5_6ELb0ES3_mNS7_12zip_iteratorINS8_INS7_6detail15normal_iteratorINS7_10device_ptrIfEEEESJ_S9_S9_S9_S9_S9_S9_S9_S9_EEEEPSB_SM_NS0_5tupleIJNSE_INS8_ISJ_NS7_16discard_iteratorINS7_11use_defaultEEES9_S9_S9_S9_S9_S9_S9_S9_EEEESB_EEENSN_IJSM_SM_EEESB_PlJNSF_9not_fun_tINSF_14equal_to_valueISA_EEEEEEE10hipError_tPvRmT3_T4_T5_T6_T7_T9_mT8_P12ihipStream_tbDpT10_ENKUlT_T0_E_clISt17integral_constantIbLb0EES1I_IbLb1EEEEDaS1E_S1F_EUlS1E_E_NS1_11comp_targetILNS1_3genE8ELNS1_11target_archE1030ELNS1_3gpuE2ELNS1_3repE0EEENS1_30default_config_static_selectorELNS0_4arch9wavefront6targetE0EEEvT1_,comdat
.Lfunc_end1884:
	.size	_ZN7rocprim17ROCPRIM_400000_NS6detail17trampoline_kernelINS0_14default_configENS1_25partition_config_selectorILNS1_17partition_subalgoE6EN6thrust23THRUST_200600_302600_NS5tupleIffNS7_9null_typeES9_S9_S9_S9_S9_S9_S9_EENS0_10empty_typeEbEEZZNS1_14partition_implILS5_6ELb0ES3_mNS7_12zip_iteratorINS8_INS7_6detail15normal_iteratorINS7_10device_ptrIfEEEESJ_S9_S9_S9_S9_S9_S9_S9_S9_EEEEPSB_SM_NS0_5tupleIJNSE_INS8_ISJ_NS7_16discard_iteratorINS7_11use_defaultEEES9_S9_S9_S9_S9_S9_S9_S9_EEEESB_EEENSN_IJSM_SM_EEESB_PlJNSF_9not_fun_tINSF_14equal_to_valueISA_EEEEEEE10hipError_tPvRmT3_T4_T5_T6_T7_T9_mT8_P12ihipStream_tbDpT10_ENKUlT_T0_E_clISt17integral_constantIbLb0EES1I_IbLb1EEEEDaS1E_S1F_EUlS1E_E_NS1_11comp_targetILNS1_3genE8ELNS1_11target_archE1030ELNS1_3gpuE2ELNS1_3repE0EEENS1_30default_config_static_selectorELNS0_4arch9wavefront6targetE0EEEvT1_, .Lfunc_end1884-_ZN7rocprim17ROCPRIM_400000_NS6detail17trampoline_kernelINS0_14default_configENS1_25partition_config_selectorILNS1_17partition_subalgoE6EN6thrust23THRUST_200600_302600_NS5tupleIffNS7_9null_typeES9_S9_S9_S9_S9_S9_S9_EENS0_10empty_typeEbEEZZNS1_14partition_implILS5_6ELb0ES3_mNS7_12zip_iteratorINS8_INS7_6detail15normal_iteratorINS7_10device_ptrIfEEEESJ_S9_S9_S9_S9_S9_S9_S9_S9_EEEEPSB_SM_NS0_5tupleIJNSE_INS8_ISJ_NS7_16discard_iteratorINS7_11use_defaultEEES9_S9_S9_S9_S9_S9_S9_S9_EEEESB_EEENSN_IJSM_SM_EEESB_PlJNSF_9not_fun_tINSF_14equal_to_valueISA_EEEEEEE10hipError_tPvRmT3_T4_T5_T6_T7_T9_mT8_P12ihipStream_tbDpT10_ENKUlT_T0_E_clISt17integral_constantIbLb0EES1I_IbLb1EEEEDaS1E_S1F_EUlS1E_E_NS1_11comp_targetILNS1_3genE8ELNS1_11target_archE1030ELNS1_3gpuE2ELNS1_3repE0EEENS1_30default_config_static_selectorELNS0_4arch9wavefront6targetE0EEEvT1_
                                        ; -- End function
	.set _ZN7rocprim17ROCPRIM_400000_NS6detail17trampoline_kernelINS0_14default_configENS1_25partition_config_selectorILNS1_17partition_subalgoE6EN6thrust23THRUST_200600_302600_NS5tupleIffNS7_9null_typeES9_S9_S9_S9_S9_S9_S9_EENS0_10empty_typeEbEEZZNS1_14partition_implILS5_6ELb0ES3_mNS7_12zip_iteratorINS8_INS7_6detail15normal_iteratorINS7_10device_ptrIfEEEESJ_S9_S9_S9_S9_S9_S9_S9_S9_EEEEPSB_SM_NS0_5tupleIJNSE_INS8_ISJ_NS7_16discard_iteratorINS7_11use_defaultEEES9_S9_S9_S9_S9_S9_S9_S9_EEEESB_EEENSN_IJSM_SM_EEESB_PlJNSF_9not_fun_tINSF_14equal_to_valueISA_EEEEEEE10hipError_tPvRmT3_T4_T5_T6_T7_T9_mT8_P12ihipStream_tbDpT10_ENKUlT_T0_E_clISt17integral_constantIbLb0EES1I_IbLb1EEEEDaS1E_S1F_EUlS1E_E_NS1_11comp_targetILNS1_3genE8ELNS1_11target_archE1030ELNS1_3gpuE2ELNS1_3repE0EEENS1_30default_config_static_selectorELNS0_4arch9wavefront6targetE0EEEvT1_.num_vgpr, 0
	.set _ZN7rocprim17ROCPRIM_400000_NS6detail17trampoline_kernelINS0_14default_configENS1_25partition_config_selectorILNS1_17partition_subalgoE6EN6thrust23THRUST_200600_302600_NS5tupleIffNS7_9null_typeES9_S9_S9_S9_S9_S9_S9_EENS0_10empty_typeEbEEZZNS1_14partition_implILS5_6ELb0ES3_mNS7_12zip_iteratorINS8_INS7_6detail15normal_iteratorINS7_10device_ptrIfEEEESJ_S9_S9_S9_S9_S9_S9_S9_S9_EEEEPSB_SM_NS0_5tupleIJNSE_INS8_ISJ_NS7_16discard_iteratorINS7_11use_defaultEEES9_S9_S9_S9_S9_S9_S9_S9_EEEESB_EEENSN_IJSM_SM_EEESB_PlJNSF_9not_fun_tINSF_14equal_to_valueISA_EEEEEEE10hipError_tPvRmT3_T4_T5_T6_T7_T9_mT8_P12ihipStream_tbDpT10_ENKUlT_T0_E_clISt17integral_constantIbLb0EES1I_IbLb1EEEEDaS1E_S1F_EUlS1E_E_NS1_11comp_targetILNS1_3genE8ELNS1_11target_archE1030ELNS1_3gpuE2ELNS1_3repE0EEENS1_30default_config_static_selectorELNS0_4arch9wavefront6targetE0EEEvT1_.num_agpr, 0
	.set _ZN7rocprim17ROCPRIM_400000_NS6detail17trampoline_kernelINS0_14default_configENS1_25partition_config_selectorILNS1_17partition_subalgoE6EN6thrust23THRUST_200600_302600_NS5tupleIffNS7_9null_typeES9_S9_S9_S9_S9_S9_S9_EENS0_10empty_typeEbEEZZNS1_14partition_implILS5_6ELb0ES3_mNS7_12zip_iteratorINS8_INS7_6detail15normal_iteratorINS7_10device_ptrIfEEEESJ_S9_S9_S9_S9_S9_S9_S9_S9_EEEEPSB_SM_NS0_5tupleIJNSE_INS8_ISJ_NS7_16discard_iteratorINS7_11use_defaultEEES9_S9_S9_S9_S9_S9_S9_S9_EEEESB_EEENSN_IJSM_SM_EEESB_PlJNSF_9not_fun_tINSF_14equal_to_valueISA_EEEEEEE10hipError_tPvRmT3_T4_T5_T6_T7_T9_mT8_P12ihipStream_tbDpT10_ENKUlT_T0_E_clISt17integral_constantIbLb0EES1I_IbLb1EEEEDaS1E_S1F_EUlS1E_E_NS1_11comp_targetILNS1_3genE8ELNS1_11target_archE1030ELNS1_3gpuE2ELNS1_3repE0EEENS1_30default_config_static_selectorELNS0_4arch9wavefront6targetE0EEEvT1_.numbered_sgpr, 0
	.set _ZN7rocprim17ROCPRIM_400000_NS6detail17trampoline_kernelINS0_14default_configENS1_25partition_config_selectorILNS1_17partition_subalgoE6EN6thrust23THRUST_200600_302600_NS5tupleIffNS7_9null_typeES9_S9_S9_S9_S9_S9_S9_EENS0_10empty_typeEbEEZZNS1_14partition_implILS5_6ELb0ES3_mNS7_12zip_iteratorINS8_INS7_6detail15normal_iteratorINS7_10device_ptrIfEEEESJ_S9_S9_S9_S9_S9_S9_S9_S9_EEEEPSB_SM_NS0_5tupleIJNSE_INS8_ISJ_NS7_16discard_iteratorINS7_11use_defaultEEES9_S9_S9_S9_S9_S9_S9_S9_EEEESB_EEENSN_IJSM_SM_EEESB_PlJNSF_9not_fun_tINSF_14equal_to_valueISA_EEEEEEE10hipError_tPvRmT3_T4_T5_T6_T7_T9_mT8_P12ihipStream_tbDpT10_ENKUlT_T0_E_clISt17integral_constantIbLb0EES1I_IbLb1EEEEDaS1E_S1F_EUlS1E_E_NS1_11comp_targetILNS1_3genE8ELNS1_11target_archE1030ELNS1_3gpuE2ELNS1_3repE0EEENS1_30default_config_static_selectorELNS0_4arch9wavefront6targetE0EEEvT1_.num_named_barrier, 0
	.set _ZN7rocprim17ROCPRIM_400000_NS6detail17trampoline_kernelINS0_14default_configENS1_25partition_config_selectorILNS1_17partition_subalgoE6EN6thrust23THRUST_200600_302600_NS5tupleIffNS7_9null_typeES9_S9_S9_S9_S9_S9_S9_EENS0_10empty_typeEbEEZZNS1_14partition_implILS5_6ELb0ES3_mNS7_12zip_iteratorINS8_INS7_6detail15normal_iteratorINS7_10device_ptrIfEEEESJ_S9_S9_S9_S9_S9_S9_S9_S9_EEEEPSB_SM_NS0_5tupleIJNSE_INS8_ISJ_NS7_16discard_iteratorINS7_11use_defaultEEES9_S9_S9_S9_S9_S9_S9_S9_EEEESB_EEENSN_IJSM_SM_EEESB_PlJNSF_9not_fun_tINSF_14equal_to_valueISA_EEEEEEE10hipError_tPvRmT3_T4_T5_T6_T7_T9_mT8_P12ihipStream_tbDpT10_ENKUlT_T0_E_clISt17integral_constantIbLb0EES1I_IbLb1EEEEDaS1E_S1F_EUlS1E_E_NS1_11comp_targetILNS1_3genE8ELNS1_11target_archE1030ELNS1_3gpuE2ELNS1_3repE0EEENS1_30default_config_static_selectorELNS0_4arch9wavefront6targetE0EEEvT1_.private_seg_size, 0
	.set _ZN7rocprim17ROCPRIM_400000_NS6detail17trampoline_kernelINS0_14default_configENS1_25partition_config_selectorILNS1_17partition_subalgoE6EN6thrust23THRUST_200600_302600_NS5tupleIffNS7_9null_typeES9_S9_S9_S9_S9_S9_S9_EENS0_10empty_typeEbEEZZNS1_14partition_implILS5_6ELb0ES3_mNS7_12zip_iteratorINS8_INS7_6detail15normal_iteratorINS7_10device_ptrIfEEEESJ_S9_S9_S9_S9_S9_S9_S9_S9_EEEEPSB_SM_NS0_5tupleIJNSE_INS8_ISJ_NS7_16discard_iteratorINS7_11use_defaultEEES9_S9_S9_S9_S9_S9_S9_S9_EEEESB_EEENSN_IJSM_SM_EEESB_PlJNSF_9not_fun_tINSF_14equal_to_valueISA_EEEEEEE10hipError_tPvRmT3_T4_T5_T6_T7_T9_mT8_P12ihipStream_tbDpT10_ENKUlT_T0_E_clISt17integral_constantIbLb0EES1I_IbLb1EEEEDaS1E_S1F_EUlS1E_E_NS1_11comp_targetILNS1_3genE8ELNS1_11target_archE1030ELNS1_3gpuE2ELNS1_3repE0EEENS1_30default_config_static_selectorELNS0_4arch9wavefront6targetE0EEEvT1_.uses_vcc, 0
	.set _ZN7rocprim17ROCPRIM_400000_NS6detail17trampoline_kernelINS0_14default_configENS1_25partition_config_selectorILNS1_17partition_subalgoE6EN6thrust23THRUST_200600_302600_NS5tupleIffNS7_9null_typeES9_S9_S9_S9_S9_S9_S9_EENS0_10empty_typeEbEEZZNS1_14partition_implILS5_6ELb0ES3_mNS7_12zip_iteratorINS8_INS7_6detail15normal_iteratorINS7_10device_ptrIfEEEESJ_S9_S9_S9_S9_S9_S9_S9_S9_EEEEPSB_SM_NS0_5tupleIJNSE_INS8_ISJ_NS7_16discard_iteratorINS7_11use_defaultEEES9_S9_S9_S9_S9_S9_S9_S9_EEEESB_EEENSN_IJSM_SM_EEESB_PlJNSF_9not_fun_tINSF_14equal_to_valueISA_EEEEEEE10hipError_tPvRmT3_T4_T5_T6_T7_T9_mT8_P12ihipStream_tbDpT10_ENKUlT_T0_E_clISt17integral_constantIbLb0EES1I_IbLb1EEEEDaS1E_S1F_EUlS1E_E_NS1_11comp_targetILNS1_3genE8ELNS1_11target_archE1030ELNS1_3gpuE2ELNS1_3repE0EEENS1_30default_config_static_selectorELNS0_4arch9wavefront6targetE0EEEvT1_.uses_flat_scratch, 0
	.set _ZN7rocprim17ROCPRIM_400000_NS6detail17trampoline_kernelINS0_14default_configENS1_25partition_config_selectorILNS1_17partition_subalgoE6EN6thrust23THRUST_200600_302600_NS5tupleIffNS7_9null_typeES9_S9_S9_S9_S9_S9_S9_EENS0_10empty_typeEbEEZZNS1_14partition_implILS5_6ELb0ES3_mNS7_12zip_iteratorINS8_INS7_6detail15normal_iteratorINS7_10device_ptrIfEEEESJ_S9_S9_S9_S9_S9_S9_S9_S9_EEEEPSB_SM_NS0_5tupleIJNSE_INS8_ISJ_NS7_16discard_iteratorINS7_11use_defaultEEES9_S9_S9_S9_S9_S9_S9_S9_EEEESB_EEENSN_IJSM_SM_EEESB_PlJNSF_9not_fun_tINSF_14equal_to_valueISA_EEEEEEE10hipError_tPvRmT3_T4_T5_T6_T7_T9_mT8_P12ihipStream_tbDpT10_ENKUlT_T0_E_clISt17integral_constantIbLb0EES1I_IbLb1EEEEDaS1E_S1F_EUlS1E_E_NS1_11comp_targetILNS1_3genE8ELNS1_11target_archE1030ELNS1_3gpuE2ELNS1_3repE0EEENS1_30default_config_static_selectorELNS0_4arch9wavefront6targetE0EEEvT1_.has_dyn_sized_stack, 0
	.set _ZN7rocprim17ROCPRIM_400000_NS6detail17trampoline_kernelINS0_14default_configENS1_25partition_config_selectorILNS1_17partition_subalgoE6EN6thrust23THRUST_200600_302600_NS5tupleIffNS7_9null_typeES9_S9_S9_S9_S9_S9_S9_EENS0_10empty_typeEbEEZZNS1_14partition_implILS5_6ELb0ES3_mNS7_12zip_iteratorINS8_INS7_6detail15normal_iteratorINS7_10device_ptrIfEEEESJ_S9_S9_S9_S9_S9_S9_S9_S9_EEEEPSB_SM_NS0_5tupleIJNSE_INS8_ISJ_NS7_16discard_iteratorINS7_11use_defaultEEES9_S9_S9_S9_S9_S9_S9_S9_EEEESB_EEENSN_IJSM_SM_EEESB_PlJNSF_9not_fun_tINSF_14equal_to_valueISA_EEEEEEE10hipError_tPvRmT3_T4_T5_T6_T7_T9_mT8_P12ihipStream_tbDpT10_ENKUlT_T0_E_clISt17integral_constantIbLb0EES1I_IbLb1EEEEDaS1E_S1F_EUlS1E_E_NS1_11comp_targetILNS1_3genE8ELNS1_11target_archE1030ELNS1_3gpuE2ELNS1_3repE0EEENS1_30default_config_static_selectorELNS0_4arch9wavefront6targetE0EEEvT1_.has_recursion, 0
	.set _ZN7rocprim17ROCPRIM_400000_NS6detail17trampoline_kernelINS0_14default_configENS1_25partition_config_selectorILNS1_17partition_subalgoE6EN6thrust23THRUST_200600_302600_NS5tupleIffNS7_9null_typeES9_S9_S9_S9_S9_S9_S9_EENS0_10empty_typeEbEEZZNS1_14partition_implILS5_6ELb0ES3_mNS7_12zip_iteratorINS8_INS7_6detail15normal_iteratorINS7_10device_ptrIfEEEESJ_S9_S9_S9_S9_S9_S9_S9_S9_EEEEPSB_SM_NS0_5tupleIJNSE_INS8_ISJ_NS7_16discard_iteratorINS7_11use_defaultEEES9_S9_S9_S9_S9_S9_S9_S9_EEEESB_EEENSN_IJSM_SM_EEESB_PlJNSF_9not_fun_tINSF_14equal_to_valueISA_EEEEEEE10hipError_tPvRmT3_T4_T5_T6_T7_T9_mT8_P12ihipStream_tbDpT10_ENKUlT_T0_E_clISt17integral_constantIbLb0EES1I_IbLb1EEEEDaS1E_S1F_EUlS1E_E_NS1_11comp_targetILNS1_3genE8ELNS1_11target_archE1030ELNS1_3gpuE2ELNS1_3repE0EEENS1_30default_config_static_selectorELNS0_4arch9wavefront6targetE0EEEvT1_.has_indirect_call, 0
	.section	.AMDGPU.csdata,"",@progbits
; Kernel info:
; codeLenInByte = 0
; TotalNumSgprs: 0
; NumVgprs: 0
; ScratchSize: 0
; MemoryBound: 0
; FloatMode: 240
; IeeeMode: 1
; LDSByteSize: 0 bytes/workgroup (compile time only)
; SGPRBlocks: 0
; VGPRBlocks: 0
; NumSGPRsForWavesPerEU: 1
; NumVGPRsForWavesPerEU: 1
; Occupancy: 16
; WaveLimiterHint : 0
; COMPUTE_PGM_RSRC2:SCRATCH_EN: 0
; COMPUTE_PGM_RSRC2:USER_SGPR: 2
; COMPUTE_PGM_RSRC2:TRAP_HANDLER: 0
; COMPUTE_PGM_RSRC2:TGID_X_EN: 1
; COMPUTE_PGM_RSRC2:TGID_Y_EN: 0
; COMPUTE_PGM_RSRC2:TGID_Z_EN: 0
; COMPUTE_PGM_RSRC2:TIDIG_COMP_CNT: 0
	.section	.text._ZN7rocprim17ROCPRIM_400000_NS6detail17trampoline_kernelINS0_14default_configENS1_25partition_config_selectorILNS1_17partition_subalgoE6EN6thrust23THRUST_200600_302600_NS5tupleIyyNS7_9null_typeES9_S9_S9_S9_S9_S9_S9_EENS0_10empty_typeEbEEZZNS1_14partition_implILS5_6ELb0ES3_mNS7_12zip_iteratorINS8_INS7_6detail15normal_iteratorINS7_10device_ptrIyEEEESJ_S9_S9_S9_S9_S9_S9_S9_S9_EEEEPSB_SM_NS0_5tupleIJNSE_INS8_ISJ_NS7_16discard_iteratorINS7_11use_defaultEEES9_S9_S9_S9_S9_S9_S9_S9_EEEESB_EEENSN_IJSM_SM_EEESB_PlJNSF_9not_fun_tINSF_14equal_to_valueISA_EEEEEEE10hipError_tPvRmT3_T4_T5_T6_T7_T9_mT8_P12ihipStream_tbDpT10_ENKUlT_T0_E_clISt17integral_constantIbLb0EES1J_EEDaS1E_S1F_EUlS1E_E_NS1_11comp_targetILNS1_3genE0ELNS1_11target_archE4294967295ELNS1_3gpuE0ELNS1_3repE0EEENS1_30default_config_static_selectorELNS0_4arch9wavefront6targetE0EEEvT1_,"axG",@progbits,_ZN7rocprim17ROCPRIM_400000_NS6detail17trampoline_kernelINS0_14default_configENS1_25partition_config_selectorILNS1_17partition_subalgoE6EN6thrust23THRUST_200600_302600_NS5tupleIyyNS7_9null_typeES9_S9_S9_S9_S9_S9_S9_EENS0_10empty_typeEbEEZZNS1_14partition_implILS5_6ELb0ES3_mNS7_12zip_iteratorINS8_INS7_6detail15normal_iteratorINS7_10device_ptrIyEEEESJ_S9_S9_S9_S9_S9_S9_S9_S9_EEEEPSB_SM_NS0_5tupleIJNSE_INS8_ISJ_NS7_16discard_iteratorINS7_11use_defaultEEES9_S9_S9_S9_S9_S9_S9_S9_EEEESB_EEENSN_IJSM_SM_EEESB_PlJNSF_9not_fun_tINSF_14equal_to_valueISA_EEEEEEE10hipError_tPvRmT3_T4_T5_T6_T7_T9_mT8_P12ihipStream_tbDpT10_ENKUlT_T0_E_clISt17integral_constantIbLb0EES1J_EEDaS1E_S1F_EUlS1E_E_NS1_11comp_targetILNS1_3genE0ELNS1_11target_archE4294967295ELNS1_3gpuE0ELNS1_3repE0EEENS1_30default_config_static_selectorELNS0_4arch9wavefront6targetE0EEEvT1_,comdat
	.protected	_ZN7rocprim17ROCPRIM_400000_NS6detail17trampoline_kernelINS0_14default_configENS1_25partition_config_selectorILNS1_17partition_subalgoE6EN6thrust23THRUST_200600_302600_NS5tupleIyyNS7_9null_typeES9_S9_S9_S9_S9_S9_S9_EENS0_10empty_typeEbEEZZNS1_14partition_implILS5_6ELb0ES3_mNS7_12zip_iteratorINS8_INS7_6detail15normal_iteratorINS7_10device_ptrIyEEEESJ_S9_S9_S9_S9_S9_S9_S9_S9_EEEEPSB_SM_NS0_5tupleIJNSE_INS8_ISJ_NS7_16discard_iteratorINS7_11use_defaultEEES9_S9_S9_S9_S9_S9_S9_S9_EEEESB_EEENSN_IJSM_SM_EEESB_PlJNSF_9not_fun_tINSF_14equal_to_valueISA_EEEEEEE10hipError_tPvRmT3_T4_T5_T6_T7_T9_mT8_P12ihipStream_tbDpT10_ENKUlT_T0_E_clISt17integral_constantIbLb0EES1J_EEDaS1E_S1F_EUlS1E_E_NS1_11comp_targetILNS1_3genE0ELNS1_11target_archE4294967295ELNS1_3gpuE0ELNS1_3repE0EEENS1_30default_config_static_selectorELNS0_4arch9wavefront6targetE0EEEvT1_ ; -- Begin function _ZN7rocprim17ROCPRIM_400000_NS6detail17trampoline_kernelINS0_14default_configENS1_25partition_config_selectorILNS1_17partition_subalgoE6EN6thrust23THRUST_200600_302600_NS5tupleIyyNS7_9null_typeES9_S9_S9_S9_S9_S9_S9_EENS0_10empty_typeEbEEZZNS1_14partition_implILS5_6ELb0ES3_mNS7_12zip_iteratorINS8_INS7_6detail15normal_iteratorINS7_10device_ptrIyEEEESJ_S9_S9_S9_S9_S9_S9_S9_S9_EEEEPSB_SM_NS0_5tupleIJNSE_INS8_ISJ_NS7_16discard_iteratorINS7_11use_defaultEEES9_S9_S9_S9_S9_S9_S9_S9_EEEESB_EEENSN_IJSM_SM_EEESB_PlJNSF_9not_fun_tINSF_14equal_to_valueISA_EEEEEEE10hipError_tPvRmT3_T4_T5_T6_T7_T9_mT8_P12ihipStream_tbDpT10_ENKUlT_T0_E_clISt17integral_constantIbLb0EES1J_EEDaS1E_S1F_EUlS1E_E_NS1_11comp_targetILNS1_3genE0ELNS1_11target_archE4294967295ELNS1_3gpuE0ELNS1_3repE0EEENS1_30default_config_static_selectorELNS0_4arch9wavefront6targetE0EEEvT1_
	.globl	_ZN7rocprim17ROCPRIM_400000_NS6detail17trampoline_kernelINS0_14default_configENS1_25partition_config_selectorILNS1_17partition_subalgoE6EN6thrust23THRUST_200600_302600_NS5tupleIyyNS7_9null_typeES9_S9_S9_S9_S9_S9_S9_EENS0_10empty_typeEbEEZZNS1_14partition_implILS5_6ELb0ES3_mNS7_12zip_iteratorINS8_INS7_6detail15normal_iteratorINS7_10device_ptrIyEEEESJ_S9_S9_S9_S9_S9_S9_S9_S9_EEEEPSB_SM_NS0_5tupleIJNSE_INS8_ISJ_NS7_16discard_iteratorINS7_11use_defaultEEES9_S9_S9_S9_S9_S9_S9_S9_EEEESB_EEENSN_IJSM_SM_EEESB_PlJNSF_9not_fun_tINSF_14equal_to_valueISA_EEEEEEE10hipError_tPvRmT3_T4_T5_T6_T7_T9_mT8_P12ihipStream_tbDpT10_ENKUlT_T0_E_clISt17integral_constantIbLb0EES1J_EEDaS1E_S1F_EUlS1E_E_NS1_11comp_targetILNS1_3genE0ELNS1_11target_archE4294967295ELNS1_3gpuE0ELNS1_3repE0EEENS1_30default_config_static_selectorELNS0_4arch9wavefront6targetE0EEEvT1_
	.p2align	8
	.type	_ZN7rocprim17ROCPRIM_400000_NS6detail17trampoline_kernelINS0_14default_configENS1_25partition_config_selectorILNS1_17partition_subalgoE6EN6thrust23THRUST_200600_302600_NS5tupleIyyNS7_9null_typeES9_S9_S9_S9_S9_S9_S9_EENS0_10empty_typeEbEEZZNS1_14partition_implILS5_6ELb0ES3_mNS7_12zip_iteratorINS8_INS7_6detail15normal_iteratorINS7_10device_ptrIyEEEESJ_S9_S9_S9_S9_S9_S9_S9_S9_EEEEPSB_SM_NS0_5tupleIJNSE_INS8_ISJ_NS7_16discard_iteratorINS7_11use_defaultEEES9_S9_S9_S9_S9_S9_S9_S9_EEEESB_EEENSN_IJSM_SM_EEESB_PlJNSF_9not_fun_tINSF_14equal_to_valueISA_EEEEEEE10hipError_tPvRmT3_T4_T5_T6_T7_T9_mT8_P12ihipStream_tbDpT10_ENKUlT_T0_E_clISt17integral_constantIbLb0EES1J_EEDaS1E_S1F_EUlS1E_E_NS1_11comp_targetILNS1_3genE0ELNS1_11target_archE4294967295ELNS1_3gpuE0ELNS1_3repE0EEENS1_30default_config_static_selectorELNS0_4arch9wavefront6targetE0EEEvT1_,@function
_ZN7rocprim17ROCPRIM_400000_NS6detail17trampoline_kernelINS0_14default_configENS1_25partition_config_selectorILNS1_17partition_subalgoE6EN6thrust23THRUST_200600_302600_NS5tupleIyyNS7_9null_typeES9_S9_S9_S9_S9_S9_S9_EENS0_10empty_typeEbEEZZNS1_14partition_implILS5_6ELb0ES3_mNS7_12zip_iteratorINS8_INS7_6detail15normal_iteratorINS7_10device_ptrIyEEEESJ_S9_S9_S9_S9_S9_S9_S9_S9_EEEEPSB_SM_NS0_5tupleIJNSE_INS8_ISJ_NS7_16discard_iteratorINS7_11use_defaultEEES9_S9_S9_S9_S9_S9_S9_S9_EEEESB_EEENSN_IJSM_SM_EEESB_PlJNSF_9not_fun_tINSF_14equal_to_valueISA_EEEEEEE10hipError_tPvRmT3_T4_T5_T6_T7_T9_mT8_P12ihipStream_tbDpT10_ENKUlT_T0_E_clISt17integral_constantIbLb0EES1J_EEDaS1E_S1F_EUlS1E_E_NS1_11comp_targetILNS1_3genE0ELNS1_11target_archE4294967295ELNS1_3gpuE0ELNS1_3repE0EEENS1_30default_config_static_selectorELNS0_4arch9wavefront6targetE0EEEvT1_: ; @_ZN7rocprim17ROCPRIM_400000_NS6detail17trampoline_kernelINS0_14default_configENS1_25partition_config_selectorILNS1_17partition_subalgoE6EN6thrust23THRUST_200600_302600_NS5tupleIyyNS7_9null_typeES9_S9_S9_S9_S9_S9_S9_EENS0_10empty_typeEbEEZZNS1_14partition_implILS5_6ELb0ES3_mNS7_12zip_iteratorINS8_INS7_6detail15normal_iteratorINS7_10device_ptrIyEEEESJ_S9_S9_S9_S9_S9_S9_S9_S9_EEEEPSB_SM_NS0_5tupleIJNSE_INS8_ISJ_NS7_16discard_iteratorINS7_11use_defaultEEES9_S9_S9_S9_S9_S9_S9_S9_EEEESB_EEENSN_IJSM_SM_EEESB_PlJNSF_9not_fun_tINSF_14equal_to_valueISA_EEEEEEE10hipError_tPvRmT3_T4_T5_T6_T7_T9_mT8_P12ihipStream_tbDpT10_ENKUlT_T0_E_clISt17integral_constantIbLb0EES1J_EEDaS1E_S1F_EUlS1E_E_NS1_11comp_targetILNS1_3genE0ELNS1_11target_archE4294967295ELNS1_3gpuE0ELNS1_3repE0EEENS1_30default_config_static_selectorELNS0_4arch9wavefront6targetE0EEEvT1_
; %bb.0:
	.section	.rodata,"a",@progbits
	.p2align	6, 0x0
	.amdhsa_kernel _ZN7rocprim17ROCPRIM_400000_NS6detail17trampoline_kernelINS0_14default_configENS1_25partition_config_selectorILNS1_17partition_subalgoE6EN6thrust23THRUST_200600_302600_NS5tupleIyyNS7_9null_typeES9_S9_S9_S9_S9_S9_S9_EENS0_10empty_typeEbEEZZNS1_14partition_implILS5_6ELb0ES3_mNS7_12zip_iteratorINS8_INS7_6detail15normal_iteratorINS7_10device_ptrIyEEEESJ_S9_S9_S9_S9_S9_S9_S9_S9_EEEEPSB_SM_NS0_5tupleIJNSE_INS8_ISJ_NS7_16discard_iteratorINS7_11use_defaultEEES9_S9_S9_S9_S9_S9_S9_S9_EEEESB_EEENSN_IJSM_SM_EEESB_PlJNSF_9not_fun_tINSF_14equal_to_valueISA_EEEEEEE10hipError_tPvRmT3_T4_T5_T6_T7_T9_mT8_P12ihipStream_tbDpT10_ENKUlT_T0_E_clISt17integral_constantIbLb0EES1J_EEDaS1E_S1F_EUlS1E_E_NS1_11comp_targetILNS1_3genE0ELNS1_11target_archE4294967295ELNS1_3gpuE0ELNS1_3repE0EEENS1_30default_config_static_selectorELNS0_4arch9wavefront6targetE0EEEvT1_
		.amdhsa_group_segment_fixed_size 0
		.amdhsa_private_segment_fixed_size 0
		.amdhsa_kernarg_size 152
		.amdhsa_user_sgpr_count 2
		.amdhsa_user_sgpr_dispatch_ptr 0
		.amdhsa_user_sgpr_queue_ptr 0
		.amdhsa_user_sgpr_kernarg_segment_ptr 1
		.amdhsa_user_sgpr_dispatch_id 0
		.amdhsa_user_sgpr_private_segment_size 0
		.amdhsa_wavefront_size32 1
		.amdhsa_uses_dynamic_stack 0
		.amdhsa_enable_private_segment 0
		.amdhsa_system_sgpr_workgroup_id_x 1
		.amdhsa_system_sgpr_workgroup_id_y 0
		.amdhsa_system_sgpr_workgroup_id_z 0
		.amdhsa_system_sgpr_workgroup_info 0
		.amdhsa_system_vgpr_workitem_id 0
		.amdhsa_next_free_vgpr 1
		.amdhsa_next_free_sgpr 1
		.amdhsa_reserve_vcc 0
		.amdhsa_float_round_mode_32 0
		.amdhsa_float_round_mode_16_64 0
		.amdhsa_float_denorm_mode_32 3
		.amdhsa_float_denorm_mode_16_64 3
		.amdhsa_fp16_overflow 0
		.amdhsa_workgroup_processor_mode 1
		.amdhsa_memory_ordered 1
		.amdhsa_forward_progress 1
		.amdhsa_inst_pref_size 0
		.amdhsa_round_robin_scheduling 0
		.amdhsa_exception_fp_ieee_invalid_op 0
		.amdhsa_exception_fp_denorm_src 0
		.amdhsa_exception_fp_ieee_div_zero 0
		.amdhsa_exception_fp_ieee_overflow 0
		.amdhsa_exception_fp_ieee_underflow 0
		.amdhsa_exception_fp_ieee_inexact 0
		.amdhsa_exception_int_div_zero 0
	.end_amdhsa_kernel
	.section	.text._ZN7rocprim17ROCPRIM_400000_NS6detail17trampoline_kernelINS0_14default_configENS1_25partition_config_selectorILNS1_17partition_subalgoE6EN6thrust23THRUST_200600_302600_NS5tupleIyyNS7_9null_typeES9_S9_S9_S9_S9_S9_S9_EENS0_10empty_typeEbEEZZNS1_14partition_implILS5_6ELb0ES3_mNS7_12zip_iteratorINS8_INS7_6detail15normal_iteratorINS7_10device_ptrIyEEEESJ_S9_S9_S9_S9_S9_S9_S9_S9_EEEEPSB_SM_NS0_5tupleIJNSE_INS8_ISJ_NS7_16discard_iteratorINS7_11use_defaultEEES9_S9_S9_S9_S9_S9_S9_S9_EEEESB_EEENSN_IJSM_SM_EEESB_PlJNSF_9not_fun_tINSF_14equal_to_valueISA_EEEEEEE10hipError_tPvRmT3_T4_T5_T6_T7_T9_mT8_P12ihipStream_tbDpT10_ENKUlT_T0_E_clISt17integral_constantIbLb0EES1J_EEDaS1E_S1F_EUlS1E_E_NS1_11comp_targetILNS1_3genE0ELNS1_11target_archE4294967295ELNS1_3gpuE0ELNS1_3repE0EEENS1_30default_config_static_selectorELNS0_4arch9wavefront6targetE0EEEvT1_,"axG",@progbits,_ZN7rocprim17ROCPRIM_400000_NS6detail17trampoline_kernelINS0_14default_configENS1_25partition_config_selectorILNS1_17partition_subalgoE6EN6thrust23THRUST_200600_302600_NS5tupleIyyNS7_9null_typeES9_S9_S9_S9_S9_S9_S9_EENS0_10empty_typeEbEEZZNS1_14partition_implILS5_6ELb0ES3_mNS7_12zip_iteratorINS8_INS7_6detail15normal_iteratorINS7_10device_ptrIyEEEESJ_S9_S9_S9_S9_S9_S9_S9_S9_EEEEPSB_SM_NS0_5tupleIJNSE_INS8_ISJ_NS7_16discard_iteratorINS7_11use_defaultEEES9_S9_S9_S9_S9_S9_S9_S9_EEEESB_EEENSN_IJSM_SM_EEESB_PlJNSF_9not_fun_tINSF_14equal_to_valueISA_EEEEEEE10hipError_tPvRmT3_T4_T5_T6_T7_T9_mT8_P12ihipStream_tbDpT10_ENKUlT_T0_E_clISt17integral_constantIbLb0EES1J_EEDaS1E_S1F_EUlS1E_E_NS1_11comp_targetILNS1_3genE0ELNS1_11target_archE4294967295ELNS1_3gpuE0ELNS1_3repE0EEENS1_30default_config_static_selectorELNS0_4arch9wavefront6targetE0EEEvT1_,comdat
.Lfunc_end1885:
	.size	_ZN7rocprim17ROCPRIM_400000_NS6detail17trampoline_kernelINS0_14default_configENS1_25partition_config_selectorILNS1_17partition_subalgoE6EN6thrust23THRUST_200600_302600_NS5tupleIyyNS7_9null_typeES9_S9_S9_S9_S9_S9_S9_EENS0_10empty_typeEbEEZZNS1_14partition_implILS5_6ELb0ES3_mNS7_12zip_iteratorINS8_INS7_6detail15normal_iteratorINS7_10device_ptrIyEEEESJ_S9_S9_S9_S9_S9_S9_S9_S9_EEEEPSB_SM_NS0_5tupleIJNSE_INS8_ISJ_NS7_16discard_iteratorINS7_11use_defaultEEES9_S9_S9_S9_S9_S9_S9_S9_EEEESB_EEENSN_IJSM_SM_EEESB_PlJNSF_9not_fun_tINSF_14equal_to_valueISA_EEEEEEE10hipError_tPvRmT3_T4_T5_T6_T7_T9_mT8_P12ihipStream_tbDpT10_ENKUlT_T0_E_clISt17integral_constantIbLb0EES1J_EEDaS1E_S1F_EUlS1E_E_NS1_11comp_targetILNS1_3genE0ELNS1_11target_archE4294967295ELNS1_3gpuE0ELNS1_3repE0EEENS1_30default_config_static_selectorELNS0_4arch9wavefront6targetE0EEEvT1_, .Lfunc_end1885-_ZN7rocprim17ROCPRIM_400000_NS6detail17trampoline_kernelINS0_14default_configENS1_25partition_config_selectorILNS1_17partition_subalgoE6EN6thrust23THRUST_200600_302600_NS5tupleIyyNS7_9null_typeES9_S9_S9_S9_S9_S9_S9_EENS0_10empty_typeEbEEZZNS1_14partition_implILS5_6ELb0ES3_mNS7_12zip_iteratorINS8_INS7_6detail15normal_iteratorINS7_10device_ptrIyEEEESJ_S9_S9_S9_S9_S9_S9_S9_S9_EEEEPSB_SM_NS0_5tupleIJNSE_INS8_ISJ_NS7_16discard_iteratorINS7_11use_defaultEEES9_S9_S9_S9_S9_S9_S9_S9_EEEESB_EEENSN_IJSM_SM_EEESB_PlJNSF_9not_fun_tINSF_14equal_to_valueISA_EEEEEEE10hipError_tPvRmT3_T4_T5_T6_T7_T9_mT8_P12ihipStream_tbDpT10_ENKUlT_T0_E_clISt17integral_constantIbLb0EES1J_EEDaS1E_S1F_EUlS1E_E_NS1_11comp_targetILNS1_3genE0ELNS1_11target_archE4294967295ELNS1_3gpuE0ELNS1_3repE0EEENS1_30default_config_static_selectorELNS0_4arch9wavefront6targetE0EEEvT1_
                                        ; -- End function
	.set _ZN7rocprim17ROCPRIM_400000_NS6detail17trampoline_kernelINS0_14default_configENS1_25partition_config_selectorILNS1_17partition_subalgoE6EN6thrust23THRUST_200600_302600_NS5tupleIyyNS7_9null_typeES9_S9_S9_S9_S9_S9_S9_EENS0_10empty_typeEbEEZZNS1_14partition_implILS5_6ELb0ES3_mNS7_12zip_iteratorINS8_INS7_6detail15normal_iteratorINS7_10device_ptrIyEEEESJ_S9_S9_S9_S9_S9_S9_S9_S9_EEEEPSB_SM_NS0_5tupleIJNSE_INS8_ISJ_NS7_16discard_iteratorINS7_11use_defaultEEES9_S9_S9_S9_S9_S9_S9_S9_EEEESB_EEENSN_IJSM_SM_EEESB_PlJNSF_9not_fun_tINSF_14equal_to_valueISA_EEEEEEE10hipError_tPvRmT3_T4_T5_T6_T7_T9_mT8_P12ihipStream_tbDpT10_ENKUlT_T0_E_clISt17integral_constantIbLb0EES1J_EEDaS1E_S1F_EUlS1E_E_NS1_11comp_targetILNS1_3genE0ELNS1_11target_archE4294967295ELNS1_3gpuE0ELNS1_3repE0EEENS1_30default_config_static_selectorELNS0_4arch9wavefront6targetE0EEEvT1_.num_vgpr, 0
	.set _ZN7rocprim17ROCPRIM_400000_NS6detail17trampoline_kernelINS0_14default_configENS1_25partition_config_selectorILNS1_17partition_subalgoE6EN6thrust23THRUST_200600_302600_NS5tupleIyyNS7_9null_typeES9_S9_S9_S9_S9_S9_S9_EENS0_10empty_typeEbEEZZNS1_14partition_implILS5_6ELb0ES3_mNS7_12zip_iteratorINS8_INS7_6detail15normal_iteratorINS7_10device_ptrIyEEEESJ_S9_S9_S9_S9_S9_S9_S9_S9_EEEEPSB_SM_NS0_5tupleIJNSE_INS8_ISJ_NS7_16discard_iteratorINS7_11use_defaultEEES9_S9_S9_S9_S9_S9_S9_S9_EEEESB_EEENSN_IJSM_SM_EEESB_PlJNSF_9not_fun_tINSF_14equal_to_valueISA_EEEEEEE10hipError_tPvRmT3_T4_T5_T6_T7_T9_mT8_P12ihipStream_tbDpT10_ENKUlT_T0_E_clISt17integral_constantIbLb0EES1J_EEDaS1E_S1F_EUlS1E_E_NS1_11comp_targetILNS1_3genE0ELNS1_11target_archE4294967295ELNS1_3gpuE0ELNS1_3repE0EEENS1_30default_config_static_selectorELNS0_4arch9wavefront6targetE0EEEvT1_.num_agpr, 0
	.set _ZN7rocprim17ROCPRIM_400000_NS6detail17trampoline_kernelINS0_14default_configENS1_25partition_config_selectorILNS1_17partition_subalgoE6EN6thrust23THRUST_200600_302600_NS5tupleIyyNS7_9null_typeES9_S9_S9_S9_S9_S9_S9_EENS0_10empty_typeEbEEZZNS1_14partition_implILS5_6ELb0ES3_mNS7_12zip_iteratorINS8_INS7_6detail15normal_iteratorINS7_10device_ptrIyEEEESJ_S9_S9_S9_S9_S9_S9_S9_S9_EEEEPSB_SM_NS0_5tupleIJNSE_INS8_ISJ_NS7_16discard_iteratorINS7_11use_defaultEEES9_S9_S9_S9_S9_S9_S9_S9_EEEESB_EEENSN_IJSM_SM_EEESB_PlJNSF_9not_fun_tINSF_14equal_to_valueISA_EEEEEEE10hipError_tPvRmT3_T4_T5_T6_T7_T9_mT8_P12ihipStream_tbDpT10_ENKUlT_T0_E_clISt17integral_constantIbLb0EES1J_EEDaS1E_S1F_EUlS1E_E_NS1_11comp_targetILNS1_3genE0ELNS1_11target_archE4294967295ELNS1_3gpuE0ELNS1_3repE0EEENS1_30default_config_static_selectorELNS0_4arch9wavefront6targetE0EEEvT1_.numbered_sgpr, 0
	.set _ZN7rocprim17ROCPRIM_400000_NS6detail17trampoline_kernelINS0_14default_configENS1_25partition_config_selectorILNS1_17partition_subalgoE6EN6thrust23THRUST_200600_302600_NS5tupleIyyNS7_9null_typeES9_S9_S9_S9_S9_S9_S9_EENS0_10empty_typeEbEEZZNS1_14partition_implILS5_6ELb0ES3_mNS7_12zip_iteratorINS8_INS7_6detail15normal_iteratorINS7_10device_ptrIyEEEESJ_S9_S9_S9_S9_S9_S9_S9_S9_EEEEPSB_SM_NS0_5tupleIJNSE_INS8_ISJ_NS7_16discard_iteratorINS7_11use_defaultEEES9_S9_S9_S9_S9_S9_S9_S9_EEEESB_EEENSN_IJSM_SM_EEESB_PlJNSF_9not_fun_tINSF_14equal_to_valueISA_EEEEEEE10hipError_tPvRmT3_T4_T5_T6_T7_T9_mT8_P12ihipStream_tbDpT10_ENKUlT_T0_E_clISt17integral_constantIbLb0EES1J_EEDaS1E_S1F_EUlS1E_E_NS1_11comp_targetILNS1_3genE0ELNS1_11target_archE4294967295ELNS1_3gpuE0ELNS1_3repE0EEENS1_30default_config_static_selectorELNS0_4arch9wavefront6targetE0EEEvT1_.num_named_barrier, 0
	.set _ZN7rocprim17ROCPRIM_400000_NS6detail17trampoline_kernelINS0_14default_configENS1_25partition_config_selectorILNS1_17partition_subalgoE6EN6thrust23THRUST_200600_302600_NS5tupleIyyNS7_9null_typeES9_S9_S9_S9_S9_S9_S9_EENS0_10empty_typeEbEEZZNS1_14partition_implILS5_6ELb0ES3_mNS7_12zip_iteratorINS8_INS7_6detail15normal_iteratorINS7_10device_ptrIyEEEESJ_S9_S9_S9_S9_S9_S9_S9_S9_EEEEPSB_SM_NS0_5tupleIJNSE_INS8_ISJ_NS7_16discard_iteratorINS7_11use_defaultEEES9_S9_S9_S9_S9_S9_S9_S9_EEEESB_EEENSN_IJSM_SM_EEESB_PlJNSF_9not_fun_tINSF_14equal_to_valueISA_EEEEEEE10hipError_tPvRmT3_T4_T5_T6_T7_T9_mT8_P12ihipStream_tbDpT10_ENKUlT_T0_E_clISt17integral_constantIbLb0EES1J_EEDaS1E_S1F_EUlS1E_E_NS1_11comp_targetILNS1_3genE0ELNS1_11target_archE4294967295ELNS1_3gpuE0ELNS1_3repE0EEENS1_30default_config_static_selectorELNS0_4arch9wavefront6targetE0EEEvT1_.private_seg_size, 0
	.set _ZN7rocprim17ROCPRIM_400000_NS6detail17trampoline_kernelINS0_14default_configENS1_25partition_config_selectorILNS1_17partition_subalgoE6EN6thrust23THRUST_200600_302600_NS5tupleIyyNS7_9null_typeES9_S9_S9_S9_S9_S9_S9_EENS0_10empty_typeEbEEZZNS1_14partition_implILS5_6ELb0ES3_mNS7_12zip_iteratorINS8_INS7_6detail15normal_iteratorINS7_10device_ptrIyEEEESJ_S9_S9_S9_S9_S9_S9_S9_S9_EEEEPSB_SM_NS0_5tupleIJNSE_INS8_ISJ_NS7_16discard_iteratorINS7_11use_defaultEEES9_S9_S9_S9_S9_S9_S9_S9_EEEESB_EEENSN_IJSM_SM_EEESB_PlJNSF_9not_fun_tINSF_14equal_to_valueISA_EEEEEEE10hipError_tPvRmT3_T4_T5_T6_T7_T9_mT8_P12ihipStream_tbDpT10_ENKUlT_T0_E_clISt17integral_constantIbLb0EES1J_EEDaS1E_S1F_EUlS1E_E_NS1_11comp_targetILNS1_3genE0ELNS1_11target_archE4294967295ELNS1_3gpuE0ELNS1_3repE0EEENS1_30default_config_static_selectorELNS0_4arch9wavefront6targetE0EEEvT1_.uses_vcc, 0
	.set _ZN7rocprim17ROCPRIM_400000_NS6detail17trampoline_kernelINS0_14default_configENS1_25partition_config_selectorILNS1_17partition_subalgoE6EN6thrust23THRUST_200600_302600_NS5tupleIyyNS7_9null_typeES9_S9_S9_S9_S9_S9_S9_EENS0_10empty_typeEbEEZZNS1_14partition_implILS5_6ELb0ES3_mNS7_12zip_iteratorINS8_INS7_6detail15normal_iteratorINS7_10device_ptrIyEEEESJ_S9_S9_S9_S9_S9_S9_S9_S9_EEEEPSB_SM_NS0_5tupleIJNSE_INS8_ISJ_NS7_16discard_iteratorINS7_11use_defaultEEES9_S9_S9_S9_S9_S9_S9_S9_EEEESB_EEENSN_IJSM_SM_EEESB_PlJNSF_9not_fun_tINSF_14equal_to_valueISA_EEEEEEE10hipError_tPvRmT3_T4_T5_T6_T7_T9_mT8_P12ihipStream_tbDpT10_ENKUlT_T0_E_clISt17integral_constantIbLb0EES1J_EEDaS1E_S1F_EUlS1E_E_NS1_11comp_targetILNS1_3genE0ELNS1_11target_archE4294967295ELNS1_3gpuE0ELNS1_3repE0EEENS1_30default_config_static_selectorELNS0_4arch9wavefront6targetE0EEEvT1_.uses_flat_scratch, 0
	.set _ZN7rocprim17ROCPRIM_400000_NS6detail17trampoline_kernelINS0_14default_configENS1_25partition_config_selectorILNS1_17partition_subalgoE6EN6thrust23THRUST_200600_302600_NS5tupleIyyNS7_9null_typeES9_S9_S9_S9_S9_S9_S9_EENS0_10empty_typeEbEEZZNS1_14partition_implILS5_6ELb0ES3_mNS7_12zip_iteratorINS8_INS7_6detail15normal_iteratorINS7_10device_ptrIyEEEESJ_S9_S9_S9_S9_S9_S9_S9_S9_EEEEPSB_SM_NS0_5tupleIJNSE_INS8_ISJ_NS7_16discard_iteratorINS7_11use_defaultEEES9_S9_S9_S9_S9_S9_S9_S9_EEEESB_EEENSN_IJSM_SM_EEESB_PlJNSF_9not_fun_tINSF_14equal_to_valueISA_EEEEEEE10hipError_tPvRmT3_T4_T5_T6_T7_T9_mT8_P12ihipStream_tbDpT10_ENKUlT_T0_E_clISt17integral_constantIbLb0EES1J_EEDaS1E_S1F_EUlS1E_E_NS1_11comp_targetILNS1_3genE0ELNS1_11target_archE4294967295ELNS1_3gpuE0ELNS1_3repE0EEENS1_30default_config_static_selectorELNS0_4arch9wavefront6targetE0EEEvT1_.has_dyn_sized_stack, 0
	.set _ZN7rocprim17ROCPRIM_400000_NS6detail17trampoline_kernelINS0_14default_configENS1_25partition_config_selectorILNS1_17partition_subalgoE6EN6thrust23THRUST_200600_302600_NS5tupleIyyNS7_9null_typeES9_S9_S9_S9_S9_S9_S9_EENS0_10empty_typeEbEEZZNS1_14partition_implILS5_6ELb0ES3_mNS7_12zip_iteratorINS8_INS7_6detail15normal_iteratorINS7_10device_ptrIyEEEESJ_S9_S9_S9_S9_S9_S9_S9_S9_EEEEPSB_SM_NS0_5tupleIJNSE_INS8_ISJ_NS7_16discard_iteratorINS7_11use_defaultEEES9_S9_S9_S9_S9_S9_S9_S9_EEEESB_EEENSN_IJSM_SM_EEESB_PlJNSF_9not_fun_tINSF_14equal_to_valueISA_EEEEEEE10hipError_tPvRmT3_T4_T5_T6_T7_T9_mT8_P12ihipStream_tbDpT10_ENKUlT_T0_E_clISt17integral_constantIbLb0EES1J_EEDaS1E_S1F_EUlS1E_E_NS1_11comp_targetILNS1_3genE0ELNS1_11target_archE4294967295ELNS1_3gpuE0ELNS1_3repE0EEENS1_30default_config_static_selectorELNS0_4arch9wavefront6targetE0EEEvT1_.has_recursion, 0
	.set _ZN7rocprim17ROCPRIM_400000_NS6detail17trampoline_kernelINS0_14default_configENS1_25partition_config_selectorILNS1_17partition_subalgoE6EN6thrust23THRUST_200600_302600_NS5tupleIyyNS7_9null_typeES9_S9_S9_S9_S9_S9_S9_EENS0_10empty_typeEbEEZZNS1_14partition_implILS5_6ELb0ES3_mNS7_12zip_iteratorINS8_INS7_6detail15normal_iteratorINS7_10device_ptrIyEEEESJ_S9_S9_S9_S9_S9_S9_S9_S9_EEEEPSB_SM_NS0_5tupleIJNSE_INS8_ISJ_NS7_16discard_iteratorINS7_11use_defaultEEES9_S9_S9_S9_S9_S9_S9_S9_EEEESB_EEENSN_IJSM_SM_EEESB_PlJNSF_9not_fun_tINSF_14equal_to_valueISA_EEEEEEE10hipError_tPvRmT3_T4_T5_T6_T7_T9_mT8_P12ihipStream_tbDpT10_ENKUlT_T0_E_clISt17integral_constantIbLb0EES1J_EEDaS1E_S1F_EUlS1E_E_NS1_11comp_targetILNS1_3genE0ELNS1_11target_archE4294967295ELNS1_3gpuE0ELNS1_3repE0EEENS1_30default_config_static_selectorELNS0_4arch9wavefront6targetE0EEEvT1_.has_indirect_call, 0
	.section	.AMDGPU.csdata,"",@progbits
; Kernel info:
; codeLenInByte = 0
; TotalNumSgprs: 0
; NumVgprs: 0
; ScratchSize: 0
; MemoryBound: 0
; FloatMode: 240
; IeeeMode: 1
; LDSByteSize: 0 bytes/workgroup (compile time only)
; SGPRBlocks: 0
; VGPRBlocks: 0
; NumSGPRsForWavesPerEU: 1
; NumVGPRsForWavesPerEU: 1
; Occupancy: 16
; WaveLimiterHint : 0
; COMPUTE_PGM_RSRC2:SCRATCH_EN: 0
; COMPUTE_PGM_RSRC2:USER_SGPR: 2
; COMPUTE_PGM_RSRC2:TRAP_HANDLER: 0
; COMPUTE_PGM_RSRC2:TGID_X_EN: 1
; COMPUTE_PGM_RSRC2:TGID_Y_EN: 0
; COMPUTE_PGM_RSRC2:TGID_Z_EN: 0
; COMPUTE_PGM_RSRC2:TIDIG_COMP_CNT: 0
	.section	.text._ZN7rocprim17ROCPRIM_400000_NS6detail17trampoline_kernelINS0_14default_configENS1_25partition_config_selectorILNS1_17partition_subalgoE6EN6thrust23THRUST_200600_302600_NS5tupleIyyNS7_9null_typeES9_S9_S9_S9_S9_S9_S9_EENS0_10empty_typeEbEEZZNS1_14partition_implILS5_6ELb0ES3_mNS7_12zip_iteratorINS8_INS7_6detail15normal_iteratorINS7_10device_ptrIyEEEESJ_S9_S9_S9_S9_S9_S9_S9_S9_EEEEPSB_SM_NS0_5tupleIJNSE_INS8_ISJ_NS7_16discard_iteratorINS7_11use_defaultEEES9_S9_S9_S9_S9_S9_S9_S9_EEEESB_EEENSN_IJSM_SM_EEESB_PlJNSF_9not_fun_tINSF_14equal_to_valueISA_EEEEEEE10hipError_tPvRmT3_T4_T5_T6_T7_T9_mT8_P12ihipStream_tbDpT10_ENKUlT_T0_E_clISt17integral_constantIbLb0EES1J_EEDaS1E_S1F_EUlS1E_E_NS1_11comp_targetILNS1_3genE5ELNS1_11target_archE942ELNS1_3gpuE9ELNS1_3repE0EEENS1_30default_config_static_selectorELNS0_4arch9wavefront6targetE0EEEvT1_,"axG",@progbits,_ZN7rocprim17ROCPRIM_400000_NS6detail17trampoline_kernelINS0_14default_configENS1_25partition_config_selectorILNS1_17partition_subalgoE6EN6thrust23THRUST_200600_302600_NS5tupleIyyNS7_9null_typeES9_S9_S9_S9_S9_S9_S9_EENS0_10empty_typeEbEEZZNS1_14partition_implILS5_6ELb0ES3_mNS7_12zip_iteratorINS8_INS7_6detail15normal_iteratorINS7_10device_ptrIyEEEESJ_S9_S9_S9_S9_S9_S9_S9_S9_EEEEPSB_SM_NS0_5tupleIJNSE_INS8_ISJ_NS7_16discard_iteratorINS7_11use_defaultEEES9_S9_S9_S9_S9_S9_S9_S9_EEEESB_EEENSN_IJSM_SM_EEESB_PlJNSF_9not_fun_tINSF_14equal_to_valueISA_EEEEEEE10hipError_tPvRmT3_T4_T5_T6_T7_T9_mT8_P12ihipStream_tbDpT10_ENKUlT_T0_E_clISt17integral_constantIbLb0EES1J_EEDaS1E_S1F_EUlS1E_E_NS1_11comp_targetILNS1_3genE5ELNS1_11target_archE942ELNS1_3gpuE9ELNS1_3repE0EEENS1_30default_config_static_selectorELNS0_4arch9wavefront6targetE0EEEvT1_,comdat
	.protected	_ZN7rocprim17ROCPRIM_400000_NS6detail17trampoline_kernelINS0_14default_configENS1_25partition_config_selectorILNS1_17partition_subalgoE6EN6thrust23THRUST_200600_302600_NS5tupleIyyNS7_9null_typeES9_S9_S9_S9_S9_S9_S9_EENS0_10empty_typeEbEEZZNS1_14partition_implILS5_6ELb0ES3_mNS7_12zip_iteratorINS8_INS7_6detail15normal_iteratorINS7_10device_ptrIyEEEESJ_S9_S9_S9_S9_S9_S9_S9_S9_EEEEPSB_SM_NS0_5tupleIJNSE_INS8_ISJ_NS7_16discard_iteratorINS7_11use_defaultEEES9_S9_S9_S9_S9_S9_S9_S9_EEEESB_EEENSN_IJSM_SM_EEESB_PlJNSF_9not_fun_tINSF_14equal_to_valueISA_EEEEEEE10hipError_tPvRmT3_T4_T5_T6_T7_T9_mT8_P12ihipStream_tbDpT10_ENKUlT_T0_E_clISt17integral_constantIbLb0EES1J_EEDaS1E_S1F_EUlS1E_E_NS1_11comp_targetILNS1_3genE5ELNS1_11target_archE942ELNS1_3gpuE9ELNS1_3repE0EEENS1_30default_config_static_selectorELNS0_4arch9wavefront6targetE0EEEvT1_ ; -- Begin function _ZN7rocprim17ROCPRIM_400000_NS6detail17trampoline_kernelINS0_14default_configENS1_25partition_config_selectorILNS1_17partition_subalgoE6EN6thrust23THRUST_200600_302600_NS5tupleIyyNS7_9null_typeES9_S9_S9_S9_S9_S9_S9_EENS0_10empty_typeEbEEZZNS1_14partition_implILS5_6ELb0ES3_mNS7_12zip_iteratorINS8_INS7_6detail15normal_iteratorINS7_10device_ptrIyEEEESJ_S9_S9_S9_S9_S9_S9_S9_S9_EEEEPSB_SM_NS0_5tupleIJNSE_INS8_ISJ_NS7_16discard_iteratorINS7_11use_defaultEEES9_S9_S9_S9_S9_S9_S9_S9_EEEESB_EEENSN_IJSM_SM_EEESB_PlJNSF_9not_fun_tINSF_14equal_to_valueISA_EEEEEEE10hipError_tPvRmT3_T4_T5_T6_T7_T9_mT8_P12ihipStream_tbDpT10_ENKUlT_T0_E_clISt17integral_constantIbLb0EES1J_EEDaS1E_S1F_EUlS1E_E_NS1_11comp_targetILNS1_3genE5ELNS1_11target_archE942ELNS1_3gpuE9ELNS1_3repE0EEENS1_30default_config_static_selectorELNS0_4arch9wavefront6targetE0EEEvT1_
	.globl	_ZN7rocprim17ROCPRIM_400000_NS6detail17trampoline_kernelINS0_14default_configENS1_25partition_config_selectorILNS1_17partition_subalgoE6EN6thrust23THRUST_200600_302600_NS5tupleIyyNS7_9null_typeES9_S9_S9_S9_S9_S9_S9_EENS0_10empty_typeEbEEZZNS1_14partition_implILS5_6ELb0ES3_mNS7_12zip_iteratorINS8_INS7_6detail15normal_iteratorINS7_10device_ptrIyEEEESJ_S9_S9_S9_S9_S9_S9_S9_S9_EEEEPSB_SM_NS0_5tupleIJNSE_INS8_ISJ_NS7_16discard_iteratorINS7_11use_defaultEEES9_S9_S9_S9_S9_S9_S9_S9_EEEESB_EEENSN_IJSM_SM_EEESB_PlJNSF_9not_fun_tINSF_14equal_to_valueISA_EEEEEEE10hipError_tPvRmT3_T4_T5_T6_T7_T9_mT8_P12ihipStream_tbDpT10_ENKUlT_T0_E_clISt17integral_constantIbLb0EES1J_EEDaS1E_S1F_EUlS1E_E_NS1_11comp_targetILNS1_3genE5ELNS1_11target_archE942ELNS1_3gpuE9ELNS1_3repE0EEENS1_30default_config_static_selectorELNS0_4arch9wavefront6targetE0EEEvT1_
	.p2align	8
	.type	_ZN7rocprim17ROCPRIM_400000_NS6detail17trampoline_kernelINS0_14default_configENS1_25partition_config_selectorILNS1_17partition_subalgoE6EN6thrust23THRUST_200600_302600_NS5tupleIyyNS7_9null_typeES9_S9_S9_S9_S9_S9_S9_EENS0_10empty_typeEbEEZZNS1_14partition_implILS5_6ELb0ES3_mNS7_12zip_iteratorINS8_INS7_6detail15normal_iteratorINS7_10device_ptrIyEEEESJ_S9_S9_S9_S9_S9_S9_S9_S9_EEEEPSB_SM_NS0_5tupleIJNSE_INS8_ISJ_NS7_16discard_iteratorINS7_11use_defaultEEES9_S9_S9_S9_S9_S9_S9_S9_EEEESB_EEENSN_IJSM_SM_EEESB_PlJNSF_9not_fun_tINSF_14equal_to_valueISA_EEEEEEE10hipError_tPvRmT3_T4_T5_T6_T7_T9_mT8_P12ihipStream_tbDpT10_ENKUlT_T0_E_clISt17integral_constantIbLb0EES1J_EEDaS1E_S1F_EUlS1E_E_NS1_11comp_targetILNS1_3genE5ELNS1_11target_archE942ELNS1_3gpuE9ELNS1_3repE0EEENS1_30default_config_static_selectorELNS0_4arch9wavefront6targetE0EEEvT1_,@function
_ZN7rocprim17ROCPRIM_400000_NS6detail17trampoline_kernelINS0_14default_configENS1_25partition_config_selectorILNS1_17partition_subalgoE6EN6thrust23THRUST_200600_302600_NS5tupleIyyNS7_9null_typeES9_S9_S9_S9_S9_S9_S9_EENS0_10empty_typeEbEEZZNS1_14partition_implILS5_6ELb0ES3_mNS7_12zip_iteratorINS8_INS7_6detail15normal_iteratorINS7_10device_ptrIyEEEESJ_S9_S9_S9_S9_S9_S9_S9_S9_EEEEPSB_SM_NS0_5tupleIJNSE_INS8_ISJ_NS7_16discard_iteratorINS7_11use_defaultEEES9_S9_S9_S9_S9_S9_S9_S9_EEEESB_EEENSN_IJSM_SM_EEESB_PlJNSF_9not_fun_tINSF_14equal_to_valueISA_EEEEEEE10hipError_tPvRmT3_T4_T5_T6_T7_T9_mT8_P12ihipStream_tbDpT10_ENKUlT_T0_E_clISt17integral_constantIbLb0EES1J_EEDaS1E_S1F_EUlS1E_E_NS1_11comp_targetILNS1_3genE5ELNS1_11target_archE942ELNS1_3gpuE9ELNS1_3repE0EEENS1_30default_config_static_selectorELNS0_4arch9wavefront6targetE0EEEvT1_: ; @_ZN7rocprim17ROCPRIM_400000_NS6detail17trampoline_kernelINS0_14default_configENS1_25partition_config_selectorILNS1_17partition_subalgoE6EN6thrust23THRUST_200600_302600_NS5tupleIyyNS7_9null_typeES9_S9_S9_S9_S9_S9_S9_EENS0_10empty_typeEbEEZZNS1_14partition_implILS5_6ELb0ES3_mNS7_12zip_iteratorINS8_INS7_6detail15normal_iteratorINS7_10device_ptrIyEEEESJ_S9_S9_S9_S9_S9_S9_S9_S9_EEEEPSB_SM_NS0_5tupleIJNSE_INS8_ISJ_NS7_16discard_iteratorINS7_11use_defaultEEES9_S9_S9_S9_S9_S9_S9_S9_EEEESB_EEENSN_IJSM_SM_EEESB_PlJNSF_9not_fun_tINSF_14equal_to_valueISA_EEEEEEE10hipError_tPvRmT3_T4_T5_T6_T7_T9_mT8_P12ihipStream_tbDpT10_ENKUlT_T0_E_clISt17integral_constantIbLb0EES1J_EEDaS1E_S1F_EUlS1E_E_NS1_11comp_targetILNS1_3genE5ELNS1_11target_archE942ELNS1_3gpuE9ELNS1_3repE0EEENS1_30default_config_static_selectorELNS0_4arch9wavefront6targetE0EEEvT1_
; %bb.0:
	.section	.rodata,"a",@progbits
	.p2align	6, 0x0
	.amdhsa_kernel _ZN7rocprim17ROCPRIM_400000_NS6detail17trampoline_kernelINS0_14default_configENS1_25partition_config_selectorILNS1_17partition_subalgoE6EN6thrust23THRUST_200600_302600_NS5tupleIyyNS7_9null_typeES9_S9_S9_S9_S9_S9_S9_EENS0_10empty_typeEbEEZZNS1_14partition_implILS5_6ELb0ES3_mNS7_12zip_iteratorINS8_INS7_6detail15normal_iteratorINS7_10device_ptrIyEEEESJ_S9_S9_S9_S9_S9_S9_S9_S9_EEEEPSB_SM_NS0_5tupleIJNSE_INS8_ISJ_NS7_16discard_iteratorINS7_11use_defaultEEES9_S9_S9_S9_S9_S9_S9_S9_EEEESB_EEENSN_IJSM_SM_EEESB_PlJNSF_9not_fun_tINSF_14equal_to_valueISA_EEEEEEE10hipError_tPvRmT3_T4_T5_T6_T7_T9_mT8_P12ihipStream_tbDpT10_ENKUlT_T0_E_clISt17integral_constantIbLb0EES1J_EEDaS1E_S1F_EUlS1E_E_NS1_11comp_targetILNS1_3genE5ELNS1_11target_archE942ELNS1_3gpuE9ELNS1_3repE0EEENS1_30default_config_static_selectorELNS0_4arch9wavefront6targetE0EEEvT1_
		.amdhsa_group_segment_fixed_size 0
		.amdhsa_private_segment_fixed_size 0
		.amdhsa_kernarg_size 152
		.amdhsa_user_sgpr_count 2
		.amdhsa_user_sgpr_dispatch_ptr 0
		.amdhsa_user_sgpr_queue_ptr 0
		.amdhsa_user_sgpr_kernarg_segment_ptr 1
		.amdhsa_user_sgpr_dispatch_id 0
		.amdhsa_user_sgpr_private_segment_size 0
		.amdhsa_wavefront_size32 1
		.amdhsa_uses_dynamic_stack 0
		.amdhsa_enable_private_segment 0
		.amdhsa_system_sgpr_workgroup_id_x 1
		.amdhsa_system_sgpr_workgroup_id_y 0
		.amdhsa_system_sgpr_workgroup_id_z 0
		.amdhsa_system_sgpr_workgroup_info 0
		.amdhsa_system_vgpr_workitem_id 0
		.amdhsa_next_free_vgpr 1
		.amdhsa_next_free_sgpr 1
		.amdhsa_reserve_vcc 0
		.amdhsa_float_round_mode_32 0
		.amdhsa_float_round_mode_16_64 0
		.amdhsa_float_denorm_mode_32 3
		.amdhsa_float_denorm_mode_16_64 3
		.amdhsa_fp16_overflow 0
		.amdhsa_workgroup_processor_mode 1
		.amdhsa_memory_ordered 1
		.amdhsa_forward_progress 1
		.amdhsa_inst_pref_size 0
		.amdhsa_round_robin_scheduling 0
		.amdhsa_exception_fp_ieee_invalid_op 0
		.amdhsa_exception_fp_denorm_src 0
		.amdhsa_exception_fp_ieee_div_zero 0
		.amdhsa_exception_fp_ieee_overflow 0
		.amdhsa_exception_fp_ieee_underflow 0
		.amdhsa_exception_fp_ieee_inexact 0
		.amdhsa_exception_int_div_zero 0
	.end_amdhsa_kernel
	.section	.text._ZN7rocprim17ROCPRIM_400000_NS6detail17trampoline_kernelINS0_14default_configENS1_25partition_config_selectorILNS1_17partition_subalgoE6EN6thrust23THRUST_200600_302600_NS5tupleIyyNS7_9null_typeES9_S9_S9_S9_S9_S9_S9_EENS0_10empty_typeEbEEZZNS1_14partition_implILS5_6ELb0ES3_mNS7_12zip_iteratorINS8_INS7_6detail15normal_iteratorINS7_10device_ptrIyEEEESJ_S9_S9_S9_S9_S9_S9_S9_S9_EEEEPSB_SM_NS0_5tupleIJNSE_INS8_ISJ_NS7_16discard_iteratorINS7_11use_defaultEEES9_S9_S9_S9_S9_S9_S9_S9_EEEESB_EEENSN_IJSM_SM_EEESB_PlJNSF_9not_fun_tINSF_14equal_to_valueISA_EEEEEEE10hipError_tPvRmT3_T4_T5_T6_T7_T9_mT8_P12ihipStream_tbDpT10_ENKUlT_T0_E_clISt17integral_constantIbLb0EES1J_EEDaS1E_S1F_EUlS1E_E_NS1_11comp_targetILNS1_3genE5ELNS1_11target_archE942ELNS1_3gpuE9ELNS1_3repE0EEENS1_30default_config_static_selectorELNS0_4arch9wavefront6targetE0EEEvT1_,"axG",@progbits,_ZN7rocprim17ROCPRIM_400000_NS6detail17trampoline_kernelINS0_14default_configENS1_25partition_config_selectorILNS1_17partition_subalgoE6EN6thrust23THRUST_200600_302600_NS5tupleIyyNS7_9null_typeES9_S9_S9_S9_S9_S9_S9_EENS0_10empty_typeEbEEZZNS1_14partition_implILS5_6ELb0ES3_mNS7_12zip_iteratorINS8_INS7_6detail15normal_iteratorINS7_10device_ptrIyEEEESJ_S9_S9_S9_S9_S9_S9_S9_S9_EEEEPSB_SM_NS0_5tupleIJNSE_INS8_ISJ_NS7_16discard_iteratorINS7_11use_defaultEEES9_S9_S9_S9_S9_S9_S9_S9_EEEESB_EEENSN_IJSM_SM_EEESB_PlJNSF_9not_fun_tINSF_14equal_to_valueISA_EEEEEEE10hipError_tPvRmT3_T4_T5_T6_T7_T9_mT8_P12ihipStream_tbDpT10_ENKUlT_T0_E_clISt17integral_constantIbLb0EES1J_EEDaS1E_S1F_EUlS1E_E_NS1_11comp_targetILNS1_3genE5ELNS1_11target_archE942ELNS1_3gpuE9ELNS1_3repE0EEENS1_30default_config_static_selectorELNS0_4arch9wavefront6targetE0EEEvT1_,comdat
.Lfunc_end1886:
	.size	_ZN7rocprim17ROCPRIM_400000_NS6detail17trampoline_kernelINS0_14default_configENS1_25partition_config_selectorILNS1_17partition_subalgoE6EN6thrust23THRUST_200600_302600_NS5tupleIyyNS7_9null_typeES9_S9_S9_S9_S9_S9_S9_EENS0_10empty_typeEbEEZZNS1_14partition_implILS5_6ELb0ES3_mNS7_12zip_iteratorINS8_INS7_6detail15normal_iteratorINS7_10device_ptrIyEEEESJ_S9_S9_S9_S9_S9_S9_S9_S9_EEEEPSB_SM_NS0_5tupleIJNSE_INS8_ISJ_NS7_16discard_iteratorINS7_11use_defaultEEES9_S9_S9_S9_S9_S9_S9_S9_EEEESB_EEENSN_IJSM_SM_EEESB_PlJNSF_9not_fun_tINSF_14equal_to_valueISA_EEEEEEE10hipError_tPvRmT3_T4_T5_T6_T7_T9_mT8_P12ihipStream_tbDpT10_ENKUlT_T0_E_clISt17integral_constantIbLb0EES1J_EEDaS1E_S1F_EUlS1E_E_NS1_11comp_targetILNS1_3genE5ELNS1_11target_archE942ELNS1_3gpuE9ELNS1_3repE0EEENS1_30default_config_static_selectorELNS0_4arch9wavefront6targetE0EEEvT1_, .Lfunc_end1886-_ZN7rocprim17ROCPRIM_400000_NS6detail17trampoline_kernelINS0_14default_configENS1_25partition_config_selectorILNS1_17partition_subalgoE6EN6thrust23THRUST_200600_302600_NS5tupleIyyNS7_9null_typeES9_S9_S9_S9_S9_S9_S9_EENS0_10empty_typeEbEEZZNS1_14partition_implILS5_6ELb0ES3_mNS7_12zip_iteratorINS8_INS7_6detail15normal_iteratorINS7_10device_ptrIyEEEESJ_S9_S9_S9_S9_S9_S9_S9_S9_EEEEPSB_SM_NS0_5tupleIJNSE_INS8_ISJ_NS7_16discard_iteratorINS7_11use_defaultEEES9_S9_S9_S9_S9_S9_S9_S9_EEEESB_EEENSN_IJSM_SM_EEESB_PlJNSF_9not_fun_tINSF_14equal_to_valueISA_EEEEEEE10hipError_tPvRmT3_T4_T5_T6_T7_T9_mT8_P12ihipStream_tbDpT10_ENKUlT_T0_E_clISt17integral_constantIbLb0EES1J_EEDaS1E_S1F_EUlS1E_E_NS1_11comp_targetILNS1_3genE5ELNS1_11target_archE942ELNS1_3gpuE9ELNS1_3repE0EEENS1_30default_config_static_selectorELNS0_4arch9wavefront6targetE0EEEvT1_
                                        ; -- End function
	.set _ZN7rocprim17ROCPRIM_400000_NS6detail17trampoline_kernelINS0_14default_configENS1_25partition_config_selectorILNS1_17partition_subalgoE6EN6thrust23THRUST_200600_302600_NS5tupleIyyNS7_9null_typeES9_S9_S9_S9_S9_S9_S9_EENS0_10empty_typeEbEEZZNS1_14partition_implILS5_6ELb0ES3_mNS7_12zip_iteratorINS8_INS7_6detail15normal_iteratorINS7_10device_ptrIyEEEESJ_S9_S9_S9_S9_S9_S9_S9_S9_EEEEPSB_SM_NS0_5tupleIJNSE_INS8_ISJ_NS7_16discard_iteratorINS7_11use_defaultEEES9_S9_S9_S9_S9_S9_S9_S9_EEEESB_EEENSN_IJSM_SM_EEESB_PlJNSF_9not_fun_tINSF_14equal_to_valueISA_EEEEEEE10hipError_tPvRmT3_T4_T5_T6_T7_T9_mT8_P12ihipStream_tbDpT10_ENKUlT_T0_E_clISt17integral_constantIbLb0EES1J_EEDaS1E_S1F_EUlS1E_E_NS1_11comp_targetILNS1_3genE5ELNS1_11target_archE942ELNS1_3gpuE9ELNS1_3repE0EEENS1_30default_config_static_selectorELNS0_4arch9wavefront6targetE0EEEvT1_.num_vgpr, 0
	.set _ZN7rocprim17ROCPRIM_400000_NS6detail17trampoline_kernelINS0_14default_configENS1_25partition_config_selectorILNS1_17partition_subalgoE6EN6thrust23THRUST_200600_302600_NS5tupleIyyNS7_9null_typeES9_S9_S9_S9_S9_S9_S9_EENS0_10empty_typeEbEEZZNS1_14partition_implILS5_6ELb0ES3_mNS7_12zip_iteratorINS8_INS7_6detail15normal_iteratorINS7_10device_ptrIyEEEESJ_S9_S9_S9_S9_S9_S9_S9_S9_EEEEPSB_SM_NS0_5tupleIJNSE_INS8_ISJ_NS7_16discard_iteratorINS7_11use_defaultEEES9_S9_S9_S9_S9_S9_S9_S9_EEEESB_EEENSN_IJSM_SM_EEESB_PlJNSF_9not_fun_tINSF_14equal_to_valueISA_EEEEEEE10hipError_tPvRmT3_T4_T5_T6_T7_T9_mT8_P12ihipStream_tbDpT10_ENKUlT_T0_E_clISt17integral_constantIbLb0EES1J_EEDaS1E_S1F_EUlS1E_E_NS1_11comp_targetILNS1_3genE5ELNS1_11target_archE942ELNS1_3gpuE9ELNS1_3repE0EEENS1_30default_config_static_selectorELNS0_4arch9wavefront6targetE0EEEvT1_.num_agpr, 0
	.set _ZN7rocprim17ROCPRIM_400000_NS6detail17trampoline_kernelINS0_14default_configENS1_25partition_config_selectorILNS1_17partition_subalgoE6EN6thrust23THRUST_200600_302600_NS5tupleIyyNS7_9null_typeES9_S9_S9_S9_S9_S9_S9_EENS0_10empty_typeEbEEZZNS1_14partition_implILS5_6ELb0ES3_mNS7_12zip_iteratorINS8_INS7_6detail15normal_iteratorINS7_10device_ptrIyEEEESJ_S9_S9_S9_S9_S9_S9_S9_S9_EEEEPSB_SM_NS0_5tupleIJNSE_INS8_ISJ_NS7_16discard_iteratorINS7_11use_defaultEEES9_S9_S9_S9_S9_S9_S9_S9_EEEESB_EEENSN_IJSM_SM_EEESB_PlJNSF_9not_fun_tINSF_14equal_to_valueISA_EEEEEEE10hipError_tPvRmT3_T4_T5_T6_T7_T9_mT8_P12ihipStream_tbDpT10_ENKUlT_T0_E_clISt17integral_constantIbLb0EES1J_EEDaS1E_S1F_EUlS1E_E_NS1_11comp_targetILNS1_3genE5ELNS1_11target_archE942ELNS1_3gpuE9ELNS1_3repE0EEENS1_30default_config_static_selectorELNS0_4arch9wavefront6targetE0EEEvT1_.numbered_sgpr, 0
	.set _ZN7rocprim17ROCPRIM_400000_NS6detail17trampoline_kernelINS0_14default_configENS1_25partition_config_selectorILNS1_17partition_subalgoE6EN6thrust23THRUST_200600_302600_NS5tupleIyyNS7_9null_typeES9_S9_S9_S9_S9_S9_S9_EENS0_10empty_typeEbEEZZNS1_14partition_implILS5_6ELb0ES3_mNS7_12zip_iteratorINS8_INS7_6detail15normal_iteratorINS7_10device_ptrIyEEEESJ_S9_S9_S9_S9_S9_S9_S9_S9_EEEEPSB_SM_NS0_5tupleIJNSE_INS8_ISJ_NS7_16discard_iteratorINS7_11use_defaultEEES9_S9_S9_S9_S9_S9_S9_S9_EEEESB_EEENSN_IJSM_SM_EEESB_PlJNSF_9not_fun_tINSF_14equal_to_valueISA_EEEEEEE10hipError_tPvRmT3_T4_T5_T6_T7_T9_mT8_P12ihipStream_tbDpT10_ENKUlT_T0_E_clISt17integral_constantIbLb0EES1J_EEDaS1E_S1F_EUlS1E_E_NS1_11comp_targetILNS1_3genE5ELNS1_11target_archE942ELNS1_3gpuE9ELNS1_3repE0EEENS1_30default_config_static_selectorELNS0_4arch9wavefront6targetE0EEEvT1_.num_named_barrier, 0
	.set _ZN7rocprim17ROCPRIM_400000_NS6detail17trampoline_kernelINS0_14default_configENS1_25partition_config_selectorILNS1_17partition_subalgoE6EN6thrust23THRUST_200600_302600_NS5tupleIyyNS7_9null_typeES9_S9_S9_S9_S9_S9_S9_EENS0_10empty_typeEbEEZZNS1_14partition_implILS5_6ELb0ES3_mNS7_12zip_iteratorINS8_INS7_6detail15normal_iteratorINS7_10device_ptrIyEEEESJ_S9_S9_S9_S9_S9_S9_S9_S9_EEEEPSB_SM_NS0_5tupleIJNSE_INS8_ISJ_NS7_16discard_iteratorINS7_11use_defaultEEES9_S9_S9_S9_S9_S9_S9_S9_EEEESB_EEENSN_IJSM_SM_EEESB_PlJNSF_9not_fun_tINSF_14equal_to_valueISA_EEEEEEE10hipError_tPvRmT3_T4_T5_T6_T7_T9_mT8_P12ihipStream_tbDpT10_ENKUlT_T0_E_clISt17integral_constantIbLb0EES1J_EEDaS1E_S1F_EUlS1E_E_NS1_11comp_targetILNS1_3genE5ELNS1_11target_archE942ELNS1_3gpuE9ELNS1_3repE0EEENS1_30default_config_static_selectorELNS0_4arch9wavefront6targetE0EEEvT1_.private_seg_size, 0
	.set _ZN7rocprim17ROCPRIM_400000_NS6detail17trampoline_kernelINS0_14default_configENS1_25partition_config_selectorILNS1_17partition_subalgoE6EN6thrust23THRUST_200600_302600_NS5tupleIyyNS7_9null_typeES9_S9_S9_S9_S9_S9_S9_EENS0_10empty_typeEbEEZZNS1_14partition_implILS5_6ELb0ES3_mNS7_12zip_iteratorINS8_INS7_6detail15normal_iteratorINS7_10device_ptrIyEEEESJ_S9_S9_S9_S9_S9_S9_S9_S9_EEEEPSB_SM_NS0_5tupleIJNSE_INS8_ISJ_NS7_16discard_iteratorINS7_11use_defaultEEES9_S9_S9_S9_S9_S9_S9_S9_EEEESB_EEENSN_IJSM_SM_EEESB_PlJNSF_9not_fun_tINSF_14equal_to_valueISA_EEEEEEE10hipError_tPvRmT3_T4_T5_T6_T7_T9_mT8_P12ihipStream_tbDpT10_ENKUlT_T0_E_clISt17integral_constantIbLb0EES1J_EEDaS1E_S1F_EUlS1E_E_NS1_11comp_targetILNS1_3genE5ELNS1_11target_archE942ELNS1_3gpuE9ELNS1_3repE0EEENS1_30default_config_static_selectorELNS0_4arch9wavefront6targetE0EEEvT1_.uses_vcc, 0
	.set _ZN7rocprim17ROCPRIM_400000_NS6detail17trampoline_kernelINS0_14default_configENS1_25partition_config_selectorILNS1_17partition_subalgoE6EN6thrust23THRUST_200600_302600_NS5tupleIyyNS7_9null_typeES9_S9_S9_S9_S9_S9_S9_EENS0_10empty_typeEbEEZZNS1_14partition_implILS5_6ELb0ES3_mNS7_12zip_iteratorINS8_INS7_6detail15normal_iteratorINS7_10device_ptrIyEEEESJ_S9_S9_S9_S9_S9_S9_S9_S9_EEEEPSB_SM_NS0_5tupleIJNSE_INS8_ISJ_NS7_16discard_iteratorINS7_11use_defaultEEES9_S9_S9_S9_S9_S9_S9_S9_EEEESB_EEENSN_IJSM_SM_EEESB_PlJNSF_9not_fun_tINSF_14equal_to_valueISA_EEEEEEE10hipError_tPvRmT3_T4_T5_T6_T7_T9_mT8_P12ihipStream_tbDpT10_ENKUlT_T0_E_clISt17integral_constantIbLb0EES1J_EEDaS1E_S1F_EUlS1E_E_NS1_11comp_targetILNS1_3genE5ELNS1_11target_archE942ELNS1_3gpuE9ELNS1_3repE0EEENS1_30default_config_static_selectorELNS0_4arch9wavefront6targetE0EEEvT1_.uses_flat_scratch, 0
	.set _ZN7rocprim17ROCPRIM_400000_NS6detail17trampoline_kernelINS0_14default_configENS1_25partition_config_selectorILNS1_17partition_subalgoE6EN6thrust23THRUST_200600_302600_NS5tupleIyyNS7_9null_typeES9_S9_S9_S9_S9_S9_S9_EENS0_10empty_typeEbEEZZNS1_14partition_implILS5_6ELb0ES3_mNS7_12zip_iteratorINS8_INS7_6detail15normal_iteratorINS7_10device_ptrIyEEEESJ_S9_S9_S9_S9_S9_S9_S9_S9_EEEEPSB_SM_NS0_5tupleIJNSE_INS8_ISJ_NS7_16discard_iteratorINS7_11use_defaultEEES9_S9_S9_S9_S9_S9_S9_S9_EEEESB_EEENSN_IJSM_SM_EEESB_PlJNSF_9not_fun_tINSF_14equal_to_valueISA_EEEEEEE10hipError_tPvRmT3_T4_T5_T6_T7_T9_mT8_P12ihipStream_tbDpT10_ENKUlT_T0_E_clISt17integral_constantIbLb0EES1J_EEDaS1E_S1F_EUlS1E_E_NS1_11comp_targetILNS1_3genE5ELNS1_11target_archE942ELNS1_3gpuE9ELNS1_3repE0EEENS1_30default_config_static_selectorELNS0_4arch9wavefront6targetE0EEEvT1_.has_dyn_sized_stack, 0
	.set _ZN7rocprim17ROCPRIM_400000_NS6detail17trampoline_kernelINS0_14default_configENS1_25partition_config_selectorILNS1_17partition_subalgoE6EN6thrust23THRUST_200600_302600_NS5tupleIyyNS7_9null_typeES9_S9_S9_S9_S9_S9_S9_EENS0_10empty_typeEbEEZZNS1_14partition_implILS5_6ELb0ES3_mNS7_12zip_iteratorINS8_INS7_6detail15normal_iteratorINS7_10device_ptrIyEEEESJ_S9_S9_S9_S9_S9_S9_S9_S9_EEEEPSB_SM_NS0_5tupleIJNSE_INS8_ISJ_NS7_16discard_iteratorINS7_11use_defaultEEES9_S9_S9_S9_S9_S9_S9_S9_EEEESB_EEENSN_IJSM_SM_EEESB_PlJNSF_9not_fun_tINSF_14equal_to_valueISA_EEEEEEE10hipError_tPvRmT3_T4_T5_T6_T7_T9_mT8_P12ihipStream_tbDpT10_ENKUlT_T0_E_clISt17integral_constantIbLb0EES1J_EEDaS1E_S1F_EUlS1E_E_NS1_11comp_targetILNS1_3genE5ELNS1_11target_archE942ELNS1_3gpuE9ELNS1_3repE0EEENS1_30default_config_static_selectorELNS0_4arch9wavefront6targetE0EEEvT1_.has_recursion, 0
	.set _ZN7rocprim17ROCPRIM_400000_NS6detail17trampoline_kernelINS0_14default_configENS1_25partition_config_selectorILNS1_17partition_subalgoE6EN6thrust23THRUST_200600_302600_NS5tupleIyyNS7_9null_typeES9_S9_S9_S9_S9_S9_S9_EENS0_10empty_typeEbEEZZNS1_14partition_implILS5_6ELb0ES3_mNS7_12zip_iteratorINS8_INS7_6detail15normal_iteratorINS7_10device_ptrIyEEEESJ_S9_S9_S9_S9_S9_S9_S9_S9_EEEEPSB_SM_NS0_5tupleIJNSE_INS8_ISJ_NS7_16discard_iteratorINS7_11use_defaultEEES9_S9_S9_S9_S9_S9_S9_S9_EEEESB_EEENSN_IJSM_SM_EEESB_PlJNSF_9not_fun_tINSF_14equal_to_valueISA_EEEEEEE10hipError_tPvRmT3_T4_T5_T6_T7_T9_mT8_P12ihipStream_tbDpT10_ENKUlT_T0_E_clISt17integral_constantIbLb0EES1J_EEDaS1E_S1F_EUlS1E_E_NS1_11comp_targetILNS1_3genE5ELNS1_11target_archE942ELNS1_3gpuE9ELNS1_3repE0EEENS1_30default_config_static_selectorELNS0_4arch9wavefront6targetE0EEEvT1_.has_indirect_call, 0
	.section	.AMDGPU.csdata,"",@progbits
; Kernel info:
; codeLenInByte = 0
; TotalNumSgprs: 0
; NumVgprs: 0
; ScratchSize: 0
; MemoryBound: 0
; FloatMode: 240
; IeeeMode: 1
; LDSByteSize: 0 bytes/workgroup (compile time only)
; SGPRBlocks: 0
; VGPRBlocks: 0
; NumSGPRsForWavesPerEU: 1
; NumVGPRsForWavesPerEU: 1
; Occupancy: 16
; WaveLimiterHint : 0
; COMPUTE_PGM_RSRC2:SCRATCH_EN: 0
; COMPUTE_PGM_RSRC2:USER_SGPR: 2
; COMPUTE_PGM_RSRC2:TRAP_HANDLER: 0
; COMPUTE_PGM_RSRC2:TGID_X_EN: 1
; COMPUTE_PGM_RSRC2:TGID_Y_EN: 0
; COMPUTE_PGM_RSRC2:TGID_Z_EN: 0
; COMPUTE_PGM_RSRC2:TIDIG_COMP_CNT: 0
	.section	.text._ZN7rocprim17ROCPRIM_400000_NS6detail17trampoline_kernelINS0_14default_configENS1_25partition_config_selectorILNS1_17partition_subalgoE6EN6thrust23THRUST_200600_302600_NS5tupleIyyNS7_9null_typeES9_S9_S9_S9_S9_S9_S9_EENS0_10empty_typeEbEEZZNS1_14partition_implILS5_6ELb0ES3_mNS7_12zip_iteratorINS8_INS7_6detail15normal_iteratorINS7_10device_ptrIyEEEESJ_S9_S9_S9_S9_S9_S9_S9_S9_EEEEPSB_SM_NS0_5tupleIJNSE_INS8_ISJ_NS7_16discard_iteratorINS7_11use_defaultEEES9_S9_S9_S9_S9_S9_S9_S9_EEEESB_EEENSN_IJSM_SM_EEESB_PlJNSF_9not_fun_tINSF_14equal_to_valueISA_EEEEEEE10hipError_tPvRmT3_T4_T5_T6_T7_T9_mT8_P12ihipStream_tbDpT10_ENKUlT_T0_E_clISt17integral_constantIbLb0EES1J_EEDaS1E_S1F_EUlS1E_E_NS1_11comp_targetILNS1_3genE4ELNS1_11target_archE910ELNS1_3gpuE8ELNS1_3repE0EEENS1_30default_config_static_selectorELNS0_4arch9wavefront6targetE0EEEvT1_,"axG",@progbits,_ZN7rocprim17ROCPRIM_400000_NS6detail17trampoline_kernelINS0_14default_configENS1_25partition_config_selectorILNS1_17partition_subalgoE6EN6thrust23THRUST_200600_302600_NS5tupleIyyNS7_9null_typeES9_S9_S9_S9_S9_S9_S9_EENS0_10empty_typeEbEEZZNS1_14partition_implILS5_6ELb0ES3_mNS7_12zip_iteratorINS8_INS7_6detail15normal_iteratorINS7_10device_ptrIyEEEESJ_S9_S9_S9_S9_S9_S9_S9_S9_EEEEPSB_SM_NS0_5tupleIJNSE_INS8_ISJ_NS7_16discard_iteratorINS7_11use_defaultEEES9_S9_S9_S9_S9_S9_S9_S9_EEEESB_EEENSN_IJSM_SM_EEESB_PlJNSF_9not_fun_tINSF_14equal_to_valueISA_EEEEEEE10hipError_tPvRmT3_T4_T5_T6_T7_T9_mT8_P12ihipStream_tbDpT10_ENKUlT_T0_E_clISt17integral_constantIbLb0EES1J_EEDaS1E_S1F_EUlS1E_E_NS1_11comp_targetILNS1_3genE4ELNS1_11target_archE910ELNS1_3gpuE8ELNS1_3repE0EEENS1_30default_config_static_selectorELNS0_4arch9wavefront6targetE0EEEvT1_,comdat
	.protected	_ZN7rocprim17ROCPRIM_400000_NS6detail17trampoline_kernelINS0_14default_configENS1_25partition_config_selectorILNS1_17partition_subalgoE6EN6thrust23THRUST_200600_302600_NS5tupleIyyNS7_9null_typeES9_S9_S9_S9_S9_S9_S9_EENS0_10empty_typeEbEEZZNS1_14partition_implILS5_6ELb0ES3_mNS7_12zip_iteratorINS8_INS7_6detail15normal_iteratorINS7_10device_ptrIyEEEESJ_S9_S9_S9_S9_S9_S9_S9_S9_EEEEPSB_SM_NS0_5tupleIJNSE_INS8_ISJ_NS7_16discard_iteratorINS7_11use_defaultEEES9_S9_S9_S9_S9_S9_S9_S9_EEEESB_EEENSN_IJSM_SM_EEESB_PlJNSF_9not_fun_tINSF_14equal_to_valueISA_EEEEEEE10hipError_tPvRmT3_T4_T5_T6_T7_T9_mT8_P12ihipStream_tbDpT10_ENKUlT_T0_E_clISt17integral_constantIbLb0EES1J_EEDaS1E_S1F_EUlS1E_E_NS1_11comp_targetILNS1_3genE4ELNS1_11target_archE910ELNS1_3gpuE8ELNS1_3repE0EEENS1_30default_config_static_selectorELNS0_4arch9wavefront6targetE0EEEvT1_ ; -- Begin function _ZN7rocprim17ROCPRIM_400000_NS6detail17trampoline_kernelINS0_14default_configENS1_25partition_config_selectorILNS1_17partition_subalgoE6EN6thrust23THRUST_200600_302600_NS5tupleIyyNS7_9null_typeES9_S9_S9_S9_S9_S9_S9_EENS0_10empty_typeEbEEZZNS1_14partition_implILS5_6ELb0ES3_mNS7_12zip_iteratorINS8_INS7_6detail15normal_iteratorINS7_10device_ptrIyEEEESJ_S9_S9_S9_S9_S9_S9_S9_S9_EEEEPSB_SM_NS0_5tupleIJNSE_INS8_ISJ_NS7_16discard_iteratorINS7_11use_defaultEEES9_S9_S9_S9_S9_S9_S9_S9_EEEESB_EEENSN_IJSM_SM_EEESB_PlJNSF_9not_fun_tINSF_14equal_to_valueISA_EEEEEEE10hipError_tPvRmT3_T4_T5_T6_T7_T9_mT8_P12ihipStream_tbDpT10_ENKUlT_T0_E_clISt17integral_constantIbLb0EES1J_EEDaS1E_S1F_EUlS1E_E_NS1_11comp_targetILNS1_3genE4ELNS1_11target_archE910ELNS1_3gpuE8ELNS1_3repE0EEENS1_30default_config_static_selectorELNS0_4arch9wavefront6targetE0EEEvT1_
	.globl	_ZN7rocprim17ROCPRIM_400000_NS6detail17trampoline_kernelINS0_14default_configENS1_25partition_config_selectorILNS1_17partition_subalgoE6EN6thrust23THRUST_200600_302600_NS5tupleIyyNS7_9null_typeES9_S9_S9_S9_S9_S9_S9_EENS0_10empty_typeEbEEZZNS1_14partition_implILS5_6ELb0ES3_mNS7_12zip_iteratorINS8_INS7_6detail15normal_iteratorINS7_10device_ptrIyEEEESJ_S9_S9_S9_S9_S9_S9_S9_S9_EEEEPSB_SM_NS0_5tupleIJNSE_INS8_ISJ_NS7_16discard_iteratorINS7_11use_defaultEEES9_S9_S9_S9_S9_S9_S9_S9_EEEESB_EEENSN_IJSM_SM_EEESB_PlJNSF_9not_fun_tINSF_14equal_to_valueISA_EEEEEEE10hipError_tPvRmT3_T4_T5_T6_T7_T9_mT8_P12ihipStream_tbDpT10_ENKUlT_T0_E_clISt17integral_constantIbLb0EES1J_EEDaS1E_S1F_EUlS1E_E_NS1_11comp_targetILNS1_3genE4ELNS1_11target_archE910ELNS1_3gpuE8ELNS1_3repE0EEENS1_30default_config_static_selectorELNS0_4arch9wavefront6targetE0EEEvT1_
	.p2align	8
	.type	_ZN7rocprim17ROCPRIM_400000_NS6detail17trampoline_kernelINS0_14default_configENS1_25partition_config_selectorILNS1_17partition_subalgoE6EN6thrust23THRUST_200600_302600_NS5tupleIyyNS7_9null_typeES9_S9_S9_S9_S9_S9_S9_EENS0_10empty_typeEbEEZZNS1_14partition_implILS5_6ELb0ES3_mNS7_12zip_iteratorINS8_INS7_6detail15normal_iteratorINS7_10device_ptrIyEEEESJ_S9_S9_S9_S9_S9_S9_S9_S9_EEEEPSB_SM_NS0_5tupleIJNSE_INS8_ISJ_NS7_16discard_iteratorINS7_11use_defaultEEES9_S9_S9_S9_S9_S9_S9_S9_EEEESB_EEENSN_IJSM_SM_EEESB_PlJNSF_9not_fun_tINSF_14equal_to_valueISA_EEEEEEE10hipError_tPvRmT3_T4_T5_T6_T7_T9_mT8_P12ihipStream_tbDpT10_ENKUlT_T0_E_clISt17integral_constantIbLb0EES1J_EEDaS1E_S1F_EUlS1E_E_NS1_11comp_targetILNS1_3genE4ELNS1_11target_archE910ELNS1_3gpuE8ELNS1_3repE0EEENS1_30default_config_static_selectorELNS0_4arch9wavefront6targetE0EEEvT1_,@function
_ZN7rocprim17ROCPRIM_400000_NS6detail17trampoline_kernelINS0_14default_configENS1_25partition_config_selectorILNS1_17partition_subalgoE6EN6thrust23THRUST_200600_302600_NS5tupleIyyNS7_9null_typeES9_S9_S9_S9_S9_S9_S9_EENS0_10empty_typeEbEEZZNS1_14partition_implILS5_6ELb0ES3_mNS7_12zip_iteratorINS8_INS7_6detail15normal_iteratorINS7_10device_ptrIyEEEESJ_S9_S9_S9_S9_S9_S9_S9_S9_EEEEPSB_SM_NS0_5tupleIJNSE_INS8_ISJ_NS7_16discard_iteratorINS7_11use_defaultEEES9_S9_S9_S9_S9_S9_S9_S9_EEEESB_EEENSN_IJSM_SM_EEESB_PlJNSF_9not_fun_tINSF_14equal_to_valueISA_EEEEEEE10hipError_tPvRmT3_T4_T5_T6_T7_T9_mT8_P12ihipStream_tbDpT10_ENKUlT_T0_E_clISt17integral_constantIbLb0EES1J_EEDaS1E_S1F_EUlS1E_E_NS1_11comp_targetILNS1_3genE4ELNS1_11target_archE910ELNS1_3gpuE8ELNS1_3repE0EEENS1_30default_config_static_selectorELNS0_4arch9wavefront6targetE0EEEvT1_: ; @_ZN7rocprim17ROCPRIM_400000_NS6detail17trampoline_kernelINS0_14default_configENS1_25partition_config_selectorILNS1_17partition_subalgoE6EN6thrust23THRUST_200600_302600_NS5tupleIyyNS7_9null_typeES9_S9_S9_S9_S9_S9_S9_EENS0_10empty_typeEbEEZZNS1_14partition_implILS5_6ELb0ES3_mNS7_12zip_iteratorINS8_INS7_6detail15normal_iteratorINS7_10device_ptrIyEEEESJ_S9_S9_S9_S9_S9_S9_S9_S9_EEEEPSB_SM_NS0_5tupleIJNSE_INS8_ISJ_NS7_16discard_iteratorINS7_11use_defaultEEES9_S9_S9_S9_S9_S9_S9_S9_EEEESB_EEENSN_IJSM_SM_EEESB_PlJNSF_9not_fun_tINSF_14equal_to_valueISA_EEEEEEE10hipError_tPvRmT3_T4_T5_T6_T7_T9_mT8_P12ihipStream_tbDpT10_ENKUlT_T0_E_clISt17integral_constantIbLb0EES1J_EEDaS1E_S1F_EUlS1E_E_NS1_11comp_targetILNS1_3genE4ELNS1_11target_archE910ELNS1_3gpuE8ELNS1_3repE0EEENS1_30default_config_static_selectorELNS0_4arch9wavefront6targetE0EEEvT1_
; %bb.0:
	.section	.rodata,"a",@progbits
	.p2align	6, 0x0
	.amdhsa_kernel _ZN7rocprim17ROCPRIM_400000_NS6detail17trampoline_kernelINS0_14default_configENS1_25partition_config_selectorILNS1_17partition_subalgoE6EN6thrust23THRUST_200600_302600_NS5tupleIyyNS7_9null_typeES9_S9_S9_S9_S9_S9_S9_EENS0_10empty_typeEbEEZZNS1_14partition_implILS5_6ELb0ES3_mNS7_12zip_iteratorINS8_INS7_6detail15normal_iteratorINS7_10device_ptrIyEEEESJ_S9_S9_S9_S9_S9_S9_S9_S9_EEEEPSB_SM_NS0_5tupleIJNSE_INS8_ISJ_NS7_16discard_iteratorINS7_11use_defaultEEES9_S9_S9_S9_S9_S9_S9_S9_EEEESB_EEENSN_IJSM_SM_EEESB_PlJNSF_9not_fun_tINSF_14equal_to_valueISA_EEEEEEE10hipError_tPvRmT3_T4_T5_T6_T7_T9_mT8_P12ihipStream_tbDpT10_ENKUlT_T0_E_clISt17integral_constantIbLb0EES1J_EEDaS1E_S1F_EUlS1E_E_NS1_11comp_targetILNS1_3genE4ELNS1_11target_archE910ELNS1_3gpuE8ELNS1_3repE0EEENS1_30default_config_static_selectorELNS0_4arch9wavefront6targetE0EEEvT1_
		.amdhsa_group_segment_fixed_size 0
		.amdhsa_private_segment_fixed_size 0
		.amdhsa_kernarg_size 152
		.amdhsa_user_sgpr_count 2
		.amdhsa_user_sgpr_dispatch_ptr 0
		.amdhsa_user_sgpr_queue_ptr 0
		.amdhsa_user_sgpr_kernarg_segment_ptr 1
		.amdhsa_user_sgpr_dispatch_id 0
		.amdhsa_user_sgpr_private_segment_size 0
		.amdhsa_wavefront_size32 1
		.amdhsa_uses_dynamic_stack 0
		.amdhsa_enable_private_segment 0
		.amdhsa_system_sgpr_workgroup_id_x 1
		.amdhsa_system_sgpr_workgroup_id_y 0
		.amdhsa_system_sgpr_workgroup_id_z 0
		.amdhsa_system_sgpr_workgroup_info 0
		.amdhsa_system_vgpr_workitem_id 0
		.amdhsa_next_free_vgpr 1
		.amdhsa_next_free_sgpr 1
		.amdhsa_reserve_vcc 0
		.amdhsa_float_round_mode_32 0
		.amdhsa_float_round_mode_16_64 0
		.amdhsa_float_denorm_mode_32 3
		.amdhsa_float_denorm_mode_16_64 3
		.amdhsa_fp16_overflow 0
		.amdhsa_workgroup_processor_mode 1
		.amdhsa_memory_ordered 1
		.amdhsa_forward_progress 1
		.amdhsa_inst_pref_size 0
		.amdhsa_round_robin_scheduling 0
		.amdhsa_exception_fp_ieee_invalid_op 0
		.amdhsa_exception_fp_denorm_src 0
		.amdhsa_exception_fp_ieee_div_zero 0
		.amdhsa_exception_fp_ieee_overflow 0
		.amdhsa_exception_fp_ieee_underflow 0
		.amdhsa_exception_fp_ieee_inexact 0
		.amdhsa_exception_int_div_zero 0
	.end_amdhsa_kernel
	.section	.text._ZN7rocprim17ROCPRIM_400000_NS6detail17trampoline_kernelINS0_14default_configENS1_25partition_config_selectorILNS1_17partition_subalgoE6EN6thrust23THRUST_200600_302600_NS5tupleIyyNS7_9null_typeES9_S9_S9_S9_S9_S9_S9_EENS0_10empty_typeEbEEZZNS1_14partition_implILS5_6ELb0ES3_mNS7_12zip_iteratorINS8_INS7_6detail15normal_iteratorINS7_10device_ptrIyEEEESJ_S9_S9_S9_S9_S9_S9_S9_S9_EEEEPSB_SM_NS0_5tupleIJNSE_INS8_ISJ_NS7_16discard_iteratorINS7_11use_defaultEEES9_S9_S9_S9_S9_S9_S9_S9_EEEESB_EEENSN_IJSM_SM_EEESB_PlJNSF_9not_fun_tINSF_14equal_to_valueISA_EEEEEEE10hipError_tPvRmT3_T4_T5_T6_T7_T9_mT8_P12ihipStream_tbDpT10_ENKUlT_T0_E_clISt17integral_constantIbLb0EES1J_EEDaS1E_S1F_EUlS1E_E_NS1_11comp_targetILNS1_3genE4ELNS1_11target_archE910ELNS1_3gpuE8ELNS1_3repE0EEENS1_30default_config_static_selectorELNS0_4arch9wavefront6targetE0EEEvT1_,"axG",@progbits,_ZN7rocprim17ROCPRIM_400000_NS6detail17trampoline_kernelINS0_14default_configENS1_25partition_config_selectorILNS1_17partition_subalgoE6EN6thrust23THRUST_200600_302600_NS5tupleIyyNS7_9null_typeES9_S9_S9_S9_S9_S9_S9_EENS0_10empty_typeEbEEZZNS1_14partition_implILS5_6ELb0ES3_mNS7_12zip_iteratorINS8_INS7_6detail15normal_iteratorINS7_10device_ptrIyEEEESJ_S9_S9_S9_S9_S9_S9_S9_S9_EEEEPSB_SM_NS0_5tupleIJNSE_INS8_ISJ_NS7_16discard_iteratorINS7_11use_defaultEEES9_S9_S9_S9_S9_S9_S9_S9_EEEESB_EEENSN_IJSM_SM_EEESB_PlJNSF_9not_fun_tINSF_14equal_to_valueISA_EEEEEEE10hipError_tPvRmT3_T4_T5_T6_T7_T9_mT8_P12ihipStream_tbDpT10_ENKUlT_T0_E_clISt17integral_constantIbLb0EES1J_EEDaS1E_S1F_EUlS1E_E_NS1_11comp_targetILNS1_3genE4ELNS1_11target_archE910ELNS1_3gpuE8ELNS1_3repE0EEENS1_30default_config_static_selectorELNS0_4arch9wavefront6targetE0EEEvT1_,comdat
.Lfunc_end1887:
	.size	_ZN7rocprim17ROCPRIM_400000_NS6detail17trampoline_kernelINS0_14default_configENS1_25partition_config_selectorILNS1_17partition_subalgoE6EN6thrust23THRUST_200600_302600_NS5tupleIyyNS7_9null_typeES9_S9_S9_S9_S9_S9_S9_EENS0_10empty_typeEbEEZZNS1_14partition_implILS5_6ELb0ES3_mNS7_12zip_iteratorINS8_INS7_6detail15normal_iteratorINS7_10device_ptrIyEEEESJ_S9_S9_S9_S9_S9_S9_S9_S9_EEEEPSB_SM_NS0_5tupleIJNSE_INS8_ISJ_NS7_16discard_iteratorINS7_11use_defaultEEES9_S9_S9_S9_S9_S9_S9_S9_EEEESB_EEENSN_IJSM_SM_EEESB_PlJNSF_9not_fun_tINSF_14equal_to_valueISA_EEEEEEE10hipError_tPvRmT3_T4_T5_T6_T7_T9_mT8_P12ihipStream_tbDpT10_ENKUlT_T0_E_clISt17integral_constantIbLb0EES1J_EEDaS1E_S1F_EUlS1E_E_NS1_11comp_targetILNS1_3genE4ELNS1_11target_archE910ELNS1_3gpuE8ELNS1_3repE0EEENS1_30default_config_static_selectorELNS0_4arch9wavefront6targetE0EEEvT1_, .Lfunc_end1887-_ZN7rocprim17ROCPRIM_400000_NS6detail17trampoline_kernelINS0_14default_configENS1_25partition_config_selectorILNS1_17partition_subalgoE6EN6thrust23THRUST_200600_302600_NS5tupleIyyNS7_9null_typeES9_S9_S9_S9_S9_S9_S9_EENS0_10empty_typeEbEEZZNS1_14partition_implILS5_6ELb0ES3_mNS7_12zip_iteratorINS8_INS7_6detail15normal_iteratorINS7_10device_ptrIyEEEESJ_S9_S9_S9_S9_S9_S9_S9_S9_EEEEPSB_SM_NS0_5tupleIJNSE_INS8_ISJ_NS7_16discard_iteratorINS7_11use_defaultEEES9_S9_S9_S9_S9_S9_S9_S9_EEEESB_EEENSN_IJSM_SM_EEESB_PlJNSF_9not_fun_tINSF_14equal_to_valueISA_EEEEEEE10hipError_tPvRmT3_T4_T5_T6_T7_T9_mT8_P12ihipStream_tbDpT10_ENKUlT_T0_E_clISt17integral_constantIbLb0EES1J_EEDaS1E_S1F_EUlS1E_E_NS1_11comp_targetILNS1_3genE4ELNS1_11target_archE910ELNS1_3gpuE8ELNS1_3repE0EEENS1_30default_config_static_selectorELNS0_4arch9wavefront6targetE0EEEvT1_
                                        ; -- End function
	.set _ZN7rocprim17ROCPRIM_400000_NS6detail17trampoline_kernelINS0_14default_configENS1_25partition_config_selectorILNS1_17partition_subalgoE6EN6thrust23THRUST_200600_302600_NS5tupleIyyNS7_9null_typeES9_S9_S9_S9_S9_S9_S9_EENS0_10empty_typeEbEEZZNS1_14partition_implILS5_6ELb0ES3_mNS7_12zip_iteratorINS8_INS7_6detail15normal_iteratorINS7_10device_ptrIyEEEESJ_S9_S9_S9_S9_S9_S9_S9_S9_EEEEPSB_SM_NS0_5tupleIJNSE_INS8_ISJ_NS7_16discard_iteratorINS7_11use_defaultEEES9_S9_S9_S9_S9_S9_S9_S9_EEEESB_EEENSN_IJSM_SM_EEESB_PlJNSF_9not_fun_tINSF_14equal_to_valueISA_EEEEEEE10hipError_tPvRmT3_T4_T5_T6_T7_T9_mT8_P12ihipStream_tbDpT10_ENKUlT_T0_E_clISt17integral_constantIbLb0EES1J_EEDaS1E_S1F_EUlS1E_E_NS1_11comp_targetILNS1_3genE4ELNS1_11target_archE910ELNS1_3gpuE8ELNS1_3repE0EEENS1_30default_config_static_selectorELNS0_4arch9wavefront6targetE0EEEvT1_.num_vgpr, 0
	.set _ZN7rocprim17ROCPRIM_400000_NS6detail17trampoline_kernelINS0_14default_configENS1_25partition_config_selectorILNS1_17partition_subalgoE6EN6thrust23THRUST_200600_302600_NS5tupleIyyNS7_9null_typeES9_S9_S9_S9_S9_S9_S9_EENS0_10empty_typeEbEEZZNS1_14partition_implILS5_6ELb0ES3_mNS7_12zip_iteratorINS8_INS7_6detail15normal_iteratorINS7_10device_ptrIyEEEESJ_S9_S9_S9_S9_S9_S9_S9_S9_EEEEPSB_SM_NS0_5tupleIJNSE_INS8_ISJ_NS7_16discard_iteratorINS7_11use_defaultEEES9_S9_S9_S9_S9_S9_S9_S9_EEEESB_EEENSN_IJSM_SM_EEESB_PlJNSF_9not_fun_tINSF_14equal_to_valueISA_EEEEEEE10hipError_tPvRmT3_T4_T5_T6_T7_T9_mT8_P12ihipStream_tbDpT10_ENKUlT_T0_E_clISt17integral_constantIbLb0EES1J_EEDaS1E_S1F_EUlS1E_E_NS1_11comp_targetILNS1_3genE4ELNS1_11target_archE910ELNS1_3gpuE8ELNS1_3repE0EEENS1_30default_config_static_selectorELNS0_4arch9wavefront6targetE0EEEvT1_.num_agpr, 0
	.set _ZN7rocprim17ROCPRIM_400000_NS6detail17trampoline_kernelINS0_14default_configENS1_25partition_config_selectorILNS1_17partition_subalgoE6EN6thrust23THRUST_200600_302600_NS5tupleIyyNS7_9null_typeES9_S9_S9_S9_S9_S9_S9_EENS0_10empty_typeEbEEZZNS1_14partition_implILS5_6ELb0ES3_mNS7_12zip_iteratorINS8_INS7_6detail15normal_iteratorINS7_10device_ptrIyEEEESJ_S9_S9_S9_S9_S9_S9_S9_S9_EEEEPSB_SM_NS0_5tupleIJNSE_INS8_ISJ_NS7_16discard_iteratorINS7_11use_defaultEEES9_S9_S9_S9_S9_S9_S9_S9_EEEESB_EEENSN_IJSM_SM_EEESB_PlJNSF_9not_fun_tINSF_14equal_to_valueISA_EEEEEEE10hipError_tPvRmT3_T4_T5_T6_T7_T9_mT8_P12ihipStream_tbDpT10_ENKUlT_T0_E_clISt17integral_constantIbLb0EES1J_EEDaS1E_S1F_EUlS1E_E_NS1_11comp_targetILNS1_3genE4ELNS1_11target_archE910ELNS1_3gpuE8ELNS1_3repE0EEENS1_30default_config_static_selectorELNS0_4arch9wavefront6targetE0EEEvT1_.numbered_sgpr, 0
	.set _ZN7rocprim17ROCPRIM_400000_NS6detail17trampoline_kernelINS0_14default_configENS1_25partition_config_selectorILNS1_17partition_subalgoE6EN6thrust23THRUST_200600_302600_NS5tupleIyyNS7_9null_typeES9_S9_S9_S9_S9_S9_S9_EENS0_10empty_typeEbEEZZNS1_14partition_implILS5_6ELb0ES3_mNS7_12zip_iteratorINS8_INS7_6detail15normal_iteratorINS7_10device_ptrIyEEEESJ_S9_S9_S9_S9_S9_S9_S9_S9_EEEEPSB_SM_NS0_5tupleIJNSE_INS8_ISJ_NS7_16discard_iteratorINS7_11use_defaultEEES9_S9_S9_S9_S9_S9_S9_S9_EEEESB_EEENSN_IJSM_SM_EEESB_PlJNSF_9not_fun_tINSF_14equal_to_valueISA_EEEEEEE10hipError_tPvRmT3_T4_T5_T6_T7_T9_mT8_P12ihipStream_tbDpT10_ENKUlT_T0_E_clISt17integral_constantIbLb0EES1J_EEDaS1E_S1F_EUlS1E_E_NS1_11comp_targetILNS1_3genE4ELNS1_11target_archE910ELNS1_3gpuE8ELNS1_3repE0EEENS1_30default_config_static_selectorELNS0_4arch9wavefront6targetE0EEEvT1_.num_named_barrier, 0
	.set _ZN7rocprim17ROCPRIM_400000_NS6detail17trampoline_kernelINS0_14default_configENS1_25partition_config_selectorILNS1_17partition_subalgoE6EN6thrust23THRUST_200600_302600_NS5tupleIyyNS7_9null_typeES9_S9_S9_S9_S9_S9_S9_EENS0_10empty_typeEbEEZZNS1_14partition_implILS5_6ELb0ES3_mNS7_12zip_iteratorINS8_INS7_6detail15normal_iteratorINS7_10device_ptrIyEEEESJ_S9_S9_S9_S9_S9_S9_S9_S9_EEEEPSB_SM_NS0_5tupleIJNSE_INS8_ISJ_NS7_16discard_iteratorINS7_11use_defaultEEES9_S9_S9_S9_S9_S9_S9_S9_EEEESB_EEENSN_IJSM_SM_EEESB_PlJNSF_9not_fun_tINSF_14equal_to_valueISA_EEEEEEE10hipError_tPvRmT3_T4_T5_T6_T7_T9_mT8_P12ihipStream_tbDpT10_ENKUlT_T0_E_clISt17integral_constantIbLb0EES1J_EEDaS1E_S1F_EUlS1E_E_NS1_11comp_targetILNS1_3genE4ELNS1_11target_archE910ELNS1_3gpuE8ELNS1_3repE0EEENS1_30default_config_static_selectorELNS0_4arch9wavefront6targetE0EEEvT1_.private_seg_size, 0
	.set _ZN7rocprim17ROCPRIM_400000_NS6detail17trampoline_kernelINS0_14default_configENS1_25partition_config_selectorILNS1_17partition_subalgoE6EN6thrust23THRUST_200600_302600_NS5tupleIyyNS7_9null_typeES9_S9_S9_S9_S9_S9_S9_EENS0_10empty_typeEbEEZZNS1_14partition_implILS5_6ELb0ES3_mNS7_12zip_iteratorINS8_INS7_6detail15normal_iteratorINS7_10device_ptrIyEEEESJ_S9_S9_S9_S9_S9_S9_S9_S9_EEEEPSB_SM_NS0_5tupleIJNSE_INS8_ISJ_NS7_16discard_iteratorINS7_11use_defaultEEES9_S9_S9_S9_S9_S9_S9_S9_EEEESB_EEENSN_IJSM_SM_EEESB_PlJNSF_9not_fun_tINSF_14equal_to_valueISA_EEEEEEE10hipError_tPvRmT3_T4_T5_T6_T7_T9_mT8_P12ihipStream_tbDpT10_ENKUlT_T0_E_clISt17integral_constantIbLb0EES1J_EEDaS1E_S1F_EUlS1E_E_NS1_11comp_targetILNS1_3genE4ELNS1_11target_archE910ELNS1_3gpuE8ELNS1_3repE0EEENS1_30default_config_static_selectorELNS0_4arch9wavefront6targetE0EEEvT1_.uses_vcc, 0
	.set _ZN7rocprim17ROCPRIM_400000_NS6detail17trampoline_kernelINS0_14default_configENS1_25partition_config_selectorILNS1_17partition_subalgoE6EN6thrust23THRUST_200600_302600_NS5tupleIyyNS7_9null_typeES9_S9_S9_S9_S9_S9_S9_EENS0_10empty_typeEbEEZZNS1_14partition_implILS5_6ELb0ES3_mNS7_12zip_iteratorINS8_INS7_6detail15normal_iteratorINS7_10device_ptrIyEEEESJ_S9_S9_S9_S9_S9_S9_S9_S9_EEEEPSB_SM_NS0_5tupleIJNSE_INS8_ISJ_NS7_16discard_iteratorINS7_11use_defaultEEES9_S9_S9_S9_S9_S9_S9_S9_EEEESB_EEENSN_IJSM_SM_EEESB_PlJNSF_9not_fun_tINSF_14equal_to_valueISA_EEEEEEE10hipError_tPvRmT3_T4_T5_T6_T7_T9_mT8_P12ihipStream_tbDpT10_ENKUlT_T0_E_clISt17integral_constantIbLb0EES1J_EEDaS1E_S1F_EUlS1E_E_NS1_11comp_targetILNS1_3genE4ELNS1_11target_archE910ELNS1_3gpuE8ELNS1_3repE0EEENS1_30default_config_static_selectorELNS0_4arch9wavefront6targetE0EEEvT1_.uses_flat_scratch, 0
	.set _ZN7rocprim17ROCPRIM_400000_NS6detail17trampoline_kernelINS0_14default_configENS1_25partition_config_selectorILNS1_17partition_subalgoE6EN6thrust23THRUST_200600_302600_NS5tupleIyyNS7_9null_typeES9_S9_S9_S9_S9_S9_S9_EENS0_10empty_typeEbEEZZNS1_14partition_implILS5_6ELb0ES3_mNS7_12zip_iteratorINS8_INS7_6detail15normal_iteratorINS7_10device_ptrIyEEEESJ_S9_S9_S9_S9_S9_S9_S9_S9_EEEEPSB_SM_NS0_5tupleIJNSE_INS8_ISJ_NS7_16discard_iteratorINS7_11use_defaultEEES9_S9_S9_S9_S9_S9_S9_S9_EEEESB_EEENSN_IJSM_SM_EEESB_PlJNSF_9not_fun_tINSF_14equal_to_valueISA_EEEEEEE10hipError_tPvRmT3_T4_T5_T6_T7_T9_mT8_P12ihipStream_tbDpT10_ENKUlT_T0_E_clISt17integral_constantIbLb0EES1J_EEDaS1E_S1F_EUlS1E_E_NS1_11comp_targetILNS1_3genE4ELNS1_11target_archE910ELNS1_3gpuE8ELNS1_3repE0EEENS1_30default_config_static_selectorELNS0_4arch9wavefront6targetE0EEEvT1_.has_dyn_sized_stack, 0
	.set _ZN7rocprim17ROCPRIM_400000_NS6detail17trampoline_kernelINS0_14default_configENS1_25partition_config_selectorILNS1_17partition_subalgoE6EN6thrust23THRUST_200600_302600_NS5tupleIyyNS7_9null_typeES9_S9_S9_S9_S9_S9_S9_EENS0_10empty_typeEbEEZZNS1_14partition_implILS5_6ELb0ES3_mNS7_12zip_iteratorINS8_INS7_6detail15normal_iteratorINS7_10device_ptrIyEEEESJ_S9_S9_S9_S9_S9_S9_S9_S9_EEEEPSB_SM_NS0_5tupleIJNSE_INS8_ISJ_NS7_16discard_iteratorINS7_11use_defaultEEES9_S9_S9_S9_S9_S9_S9_S9_EEEESB_EEENSN_IJSM_SM_EEESB_PlJNSF_9not_fun_tINSF_14equal_to_valueISA_EEEEEEE10hipError_tPvRmT3_T4_T5_T6_T7_T9_mT8_P12ihipStream_tbDpT10_ENKUlT_T0_E_clISt17integral_constantIbLb0EES1J_EEDaS1E_S1F_EUlS1E_E_NS1_11comp_targetILNS1_3genE4ELNS1_11target_archE910ELNS1_3gpuE8ELNS1_3repE0EEENS1_30default_config_static_selectorELNS0_4arch9wavefront6targetE0EEEvT1_.has_recursion, 0
	.set _ZN7rocprim17ROCPRIM_400000_NS6detail17trampoline_kernelINS0_14default_configENS1_25partition_config_selectorILNS1_17partition_subalgoE6EN6thrust23THRUST_200600_302600_NS5tupleIyyNS7_9null_typeES9_S9_S9_S9_S9_S9_S9_EENS0_10empty_typeEbEEZZNS1_14partition_implILS5_6ELb0ES3_mNS7_12zip_iteratorINS8_INS7_6detail15normal_iteratorINS7_10device_ptrIyEEEESJ_S9_S9_S9_S9_S9_S9_S9_S9_EEEEPSB_SM_NS0_5tupleIJNSE_INS8_ISJ_NS7_16discard_iteratorINS7_11use_defaultEEES9_S9_S9_S9_S9_S9_S9_S9_EEEESB_EEENSN_IJSM_SM_EEESB_PlJNSF_9not_fun_tINSF_14equal_to_valueISA_EEEEEEE10hipError_tPvRmT3_T4_T5_T6_T7_T9_mT8_P12ihipStream_tbDpT10_ENKUlT_T0_E_clISt17integral_constantIbLb0EES1J_EEDaS1E_S1F_EUlS1E_E_NS1_11comp_targetILNS1_3genE4ELNS1_11target_archE910ELNS1_3gpuE8ELNS1_3repE0EEENS1_30default_config_static_selectorELNS0_4arch9wavefront6targetE0EEEvT1_.has_indirect_call, 0
	.section	.AMDGPU.csdata,"",@progbits
; Kernel info:
; codeLenInByte = 0
; TotalNumSgprs: 0
; NumVgprs: 0
; ScratchSize: 0
; MemoryBound: 0
; FloatMode: 240
; IeeeMode: 1
; LDSByteSize: 0 bytes/workgroup (compile time only)
; SGPRBlocks: 0
; VGPRBlocks: 0
; NumSGPRsForWavesPerEU: 1
; NumVGPRsForWavesPerEU: 1
; Occupancy: 16
; WaveLimiterHint : 0
; COMPUTE_PGM_RSRC2:SCRATCH_EN: 0
; COMPUTE_PGM_RSRC2:USER_SGPR: 2
; COMPUTE_PGM_RSRC2:TRAP_HANDLER: 0
; COMPUTE_PGM_RSRC2:TGID_X_EN: 1
; COMPUTE_PGM_RSRC2:TGID_Y_EN: 0
; COMPUTE_PGM_RSRC2:TGID_Z_EN: 0
; COMPUTE_PGM_RSRC2:TIDIG_COMP_CNT: 0
	.section	.text._ZN7rocprim17ROCPRIM_400000_NS6detail17trampoline_kernelINS0_14default_configENS1_25partition_config_selectorILNS1_17partition_subalgoE6EN6thrust23THRUST_200600_302600_NS5tupleIyyNS7_9null_typeES9_S9_S9_S9_S9_S9_S9_EENS0_10empty_typeEbEEZZNS1_14partition_implILS5_6ELb0ES3_mNS7_12zip_iteratorINS8_INS7_6detail15normal_iteratorINS7_10device_ptrIyEEEESJ_S9_S9_S9_S9_S9_S9_S9_S9_EEEEPSB_SM_NS0_5tupleIJNSE_INS8_ISJ_NS7_16discard_iteratorINS7_11use_defaultEEES9_S9_S9_S9_S9_S9_S9_S9_EEEESB_EEENSN_IJSM_SM_EEESB_PlJNSF_9not_fun_tINSF_14equal_to_valueISA_EEEEEEE10hipError_tPvRmT3_T4_T5_T6_T7_T9_mT8_P12ihipStream_tbDpT10_ENKUlT_T0_E_clISt17integral_constantIbLb0EES1J_EEDaS1E_S1F_EUlS1E_E_NS1_11comp_targetILNS1_3genE3ELNS1_11target_archE908ELNS1_3gpuE7ELNS1_3repE0EEENS1_30default_config_static_selectorELNS0_4arch9wavefront6targetE0EEEvT1_,"axG",@progbits,_ZN7rocprim17ROCPRIM_400000_NS6detail17trampoline_kernelINS0_14default_configENS1_25partition_config_selectorILNS1_17partition_subalgoE6EN6thrust23THRUST_200600_302600_NS5tupleIyyNS7_9null_typeES9_S9_S9_S9_S9_S9_S9_EENS0_10empty_typeEbEEZZNS1_14partition_implILS5_6ELb0ES3_mNS7_12zip_iteratorINS8_INS7_6detail15normal_iteratorINS7_10device_ptrIyEEEESJ_S9_S9_S9_S9_S9_S9_S9_S9_EEEEPSB_SM_NS0_5tupleIJNSE_INS8_ISJ_NS7_16discard_iteratorINS7_11use_defaultEEES9_S9_S9_S9_S9_S9_S9_S9_EEEESB_EEENSN_IJSM_SM_EEESB_PlJNSF_9not_fun_tINSF_14equal_to_valueISA_EEEEEEE10hipError_tPvRmT3_T4_T5_T6_T7_T9_mT8_P12ihipStream_tbDpT10_ENKUlT_T0_E_clISt17integral_constantIbLb0EES1J_EEDaS1E_S1F_EUlS1E_E_NS1_11comp_targetILNS1_3genE3ELNS1_11target_archE908ELNS1_3gpuE7ELNS1_3repE0EEENS1_30default_config_static_selectorELNS0_4arch9wavefront6targetE0EEEvT1_,comdat
	.protected	_ZN7rocprim17ROCPRIM_400000_NS6detail17trampoline_kernelINS0_14default_configENS1_25partition_config_selectorILNS1_17partition_subalgoE6EN6thrust23THRUST_200600_302600_NS5tupleIyyNS7_9null_typeES9_S9_S9_S9_S9_S9_S9_EENS0_10empty_typeEbEEZZNS1_14partition_implILS5_6ELb0ES3_mNS7_12zip_iteratorINS8_INS7_6detail15normal_iteratorINS7_10device_ptrIyEEEESJ_S9_S9_S9_S9_S9_S9_S9_S9_EEEEPSB_SM_NS0_5tupleIJNSE_INS8_ISJ_NS7_16discard_iteratorINS7_11use_defaultEEES9_S9_S9_S9_S9_S9_S9_S9_EEEESB_EEENSN_IJSM_SM_EEESB_PlJNSF_9not_fun_tINSF_14equal_to_valueISA_EEEEEEE10hipError_tPvRmT3_T4_T5_T6_T7_T9_mT8_P12ihipStream_tbDpT10_ENKUlT_T0_E_clISt17integral_constantIbLb0EES1J_EEDaS1E_S1F_EUlS1E_E_NS1_11comp_targetILNS1_3genE3ELNS1_11target_archE908ELNS1_3gpuE7ELNS1_3repE0EEENS1_30default_config_static_selectorELNS0_4arch9wavefront6targetE0EEEvT1_ ; -- Begin function _ZN7rocprim17ROCPRIM_400000_NS6detail17trampoline_kernelINS0_14default_configENS1_25partition_config_selectorILNS1_17partition_subalgoE6EN6thrust23THRUST_200600_302600_NS5tupleIyyNS7_9null_typeES9_S9_S9_S9_S9_S9_S9_EENS0_10empty_typeEbEEZZNS1_14partition_implILS5_6ELb0ES3_mNS7_12zip_iteratorINS8_INS7_6detail15normal_iteratorINS7_10device_ptrIyEEEESJ_S9_S9_S9_S9_S9_S9_S9_S9_EEEEPSB_SM_NS0_5tupleIJNSE_INS8_ISJ_NS7_16discard_iteratorINS7_11use_defaultEEES9_S9_S9_S9_S9_S9_S9_S9_EEEESB_EEENSN_IJSM_SM_EEESB_PlJNSF_9not_fun_tINSF_14equal_to_valueISA_EEEEEEE10hipError_tPvRmT3_T4_T5_T6_T7_T9_mT8_P12ihipStream_tbDpT10_ENKUlT_T0_E_clISt17integral_constantIbLb0EES1J_EEDaS1E_S1F_EUlS1E_E_NS1_11comp_targetILNS1_3genE3ELNS1_11target_archE908ELNS1_3gpuE7ELNS1_3repE0EEENS1_30default_config_static_selectorELNS0_4arch9wavefront6targetE0EEEvT1_
	.globl	_ZN7rocprim17ROCPRIM_400000_NS6detail17trampoline_kernelINS0_14default_configENS1_25partition_config_selectorILNS1_17partition_subalgoE6EN6thrust23THRUST_200600_302600_NS5tupleIyyNS7_9null_typeES9_S9_S9_S9_S9_S9_S9_EENS0_10empty_typeEbEEZZNS1_14partition_implILS5_6ELb0ES3_mNS7_12zip_iteratorINS8_INS7_6detail15normal_iteratorINS7_10device_ptrIyEEEESJ_S9_S9_S9_S9_S9_S9_S9_S9_EEEEPSB_SM_NS0_5tupleIJNSE_INS8_ISJ_NS7_16discard_iteratorINS7_11use_defaultEEES9_S9_S9_S9_S9_S9_S9_S9_EEEESB_EEENSN_IJSM_SM_EEESB_PlJNSF_9not_fun_tINSF_14equal_to_valueISA_EEEEEEE10hipError_tPvRmT3_T4_T5_T6_T7_T9_mT8_P12ihipStream_tbDpT10_ENKUlT_T0_E_clISt17integral_constantIbLb0EES1J_EEDaS1E_S1F_EUlS1E_E_NS1_11comp_targetILNS1_3genE3ELNS1_11target_archE908ELNS1_3gpuE7ELNS1_3repE0EEENS1_30default_config_static_selectorELNS0_4arch9wavefront6targetE0EEEvT1_
	.p2align	8
	.type	_ZN7rocprim17ROCPRIM_400000_NS6detail17trampoline_kernelINS0_14default_configENS1_25partition_config_selectorILNS1_17partition_subalgoE6EN6thrust23THRUST_200600_302600_NS5tupleIyyNS7_9null_typeES9_S9_S9_S9_S9_S9_S9_EENS0_10empty_typeEbEEZZNS1_14partition_implILS5_6ELb0ES3_mNS7_12zip_iteratorINS8_INS7_6detail15normal_iteratorINS7_10device_ptrIyEEEESJ_S9_S9_S9_S9_S9_S9_S9_S9_EEEEPSB_SM_NS0_5tupleIJNSE_INS8_ISJ_NS7_16discard_iteratorINS7_11use_defaultEEES9_S9_S9_S9_S9_S9_S9_S9_EEEESB_EEENSN_IJSM_SM_EEESB_PlJNSF_9not_fun_tINSF_14equal_to_valueISA_EEEEEEE10hipError_tPvRmT3_T4_T5_T6_T7_T9_mT8_P12ihipStream_tbDpT10_ENKUlT_T0_E_clISt17integral_constantIbLb0EES1J_EEDaS1E_S1F_EUlS1E_E_NS1_11comp_targetILNS1_3genE3ELNS1_11target_archE908ELNS1_3gpuE7ELNS1_3repE0EEENS1_30default_config_static_selectorELNS0_4arch9wavefront6targetE0EEEvT1_,@function
_ZN7rocprim17ROCPRIM_400000_NS6detail17trampoline_kernelINS0_14default_configENS1_25partition_config_selectorILNS1_17partition_subalgoE6EN6thrust23THRUST_200600_302600_NS5tupleIyyNS7_9null_typeES9_S9_S9_S9_S9_S9_S9_EENS0_10empty_typeEbEEZZNS1_14partition_implILS5_6ELb0ES3_mNS7_12zip_iteratorINS8_INS7_6detail15normal_iteratorINS7_10device_ptrIyEEEESJ_S9_S9_S9_S9_S9_S9_S9_S9_EEEEPSB_SM_NS0_5tupleIJNSE_INS8_ISJ_NS7_16discard_iteratorINS7_11use_defaultEEES9_S9_S9_S9_S9_S9_S9_S9_EEEESB_EEENSN_IJSM_SM_EEESB_PlJNSF_9not_fun_tINSF_14equal_to_valueISA_EEEEEEE10hipError_tPvRmT3_T4_T5_T6_T7_T9_mT8_P12ihipStream_tbDpT10_ENKUlT_T0_E_clISt17integral_constantIbLb0EES1J_EEDaS1E_S1F_EUlS1E_E_NS1_11comp_targetILNS1_3genE3ELNS1_11target_archE908ELNS1_3gpuE7ELNS1_3repE0EEENS1_30default_config_static_selectorELNS0_4arch9wavefront6targetE0EEEvT1_: ; @_ZN7rocprim17ROCPRIM_400000_NS6detail17trampoline_kernelINS0_14default_configENS1_25partition_config_selectorILNS1_17partition_subalgoE6EN6thrust23THRUST_200600_302600_NS5tupleIyyNS7_9null_typeES9_S9_S9_S9_S9_S9_S9_EENS0_10empty_typeEbEEZZNS1_14partition_implILS5_6ELb0ES3_mNS7_12zip_iteratorINS8_INS7_6detail15normal_iteratorINS7_10device_ptrIyEEEESJ_S9_S9_S9_S9_S9_S9_S9_S9_EEEEPSB_SM_NS0_5tupleIJNSE_INS8_ISJ_NS7_16discard_iteratorINS7_11use_defaultEEES9_S9_S9_S9_S9_S9_S9_S9_EEEESB_EEENSN_IJSM_SM_EEESB_PlJNSF_9not_fun_tINSF_14equal_to_valueISA_EEEEEEE10hipError_tPvRmT3_T4_T5_T6_T7_T9_mT8_P12ihipStream_tbDpT10_ENKUlT_T0_E_clISt17integral_constantIbLb0EES1J_EEDaS1E_S1F_EUlS1E_E_NS1_11comp_targetILNS1_3genE3ELNS1_11target_archE908ELNS1_3gpuE7ELNS1_3repE0EEENS1_30default_config_static_selectorELNS0_4arch9wavefront6targetE0EEEvT1_
; %bb.0:
	.section	.rodata,"a",@progbits
	.p2align	6, 0x0
	.amdhsa_kernel _ZN7rocprim17ROCPRIM_400000_NS6detail17trampoline_kernelINS0_14default_configENS1_25partition_config_selectorILNS1_17partition_subalgoE6EN6thrust23THRUST_200600_302600_NS5tupleIyyNS7_9null_typeES9_S9_S9_S9_S9_S9_S9_EENS0_10empty_typeEbEEZZNS1_14partition_implILS5_6ELb0ES3_mNS7_12zip_iteratorINS8_INS7_6detail15normal_iteratorINS7_10device_ptrIyEEEESJ_S9_S9_S9_S9_S9_S9_S9_S9_EEEEPSB_SM_NS0_5tupleIJNSE_INS8_ISJ_NS7_16discard_iteratorINS7_11use_defaultEEES9_S9_S9_S9_S9_S9_S9_S9_EEEESB_EEENSN_IJSM_SM_EEESB_PlJNSF_9not_fun_tINSF_14equal_to_valueISA_EEEEEEE10hipError_tPvRmT3_T4_T5_T6_T7_T9_mT8_P12ihipStream_tbDpT10_ENKUlT_T0_E_clISt17integral_constantIbLb0EES1J_EEDaS1E_S1F_EUlS1E_E_NS1_11comp_targetILNS1_3genE3ELNS1_11target_archE908ELNS1_3gpuE7ELNS1_3repE0EEENS1_30default_config_static_selectorELNS0_4arch9wavefront6targetE0EEEvT1_
		.amdhsa_group_segment_fixed_size 0
		.amdhsa_private_segment_fixed_size 0
		.amdhsa_kernarg_size 152
		.amdhsa_user_sgpr_count 2
		.amdhsa_user_sgpr_dispatch_ptr 0
		.amdhsa_user_sgpr_queue_ptr 0
		.amdhsa_user_sgpr_kernarg_segment_ptr 1
		.amdhsa_user_sgpr_dispatch_id 0
		.amdhsa_user_sgpr_private_segment_size 0
		.amdhsa_wavefront_size32 1
		.amdhsa_uses_dynamic_stack 0
		.amdhsa_enable_private_segment 0
		.amdhsa_system_sgpr_workgroup_id_x 1
		.amdhsa_system_sgpr_workgroup_id_y 0
		.amdhsa_system_sgpr_workgroup_id_z 0
		.amdhsa_system_sgpr_workgroup_info 0
		.amdhsa_system_vgpr_workitem_id 0
		.amdhsa_next_free_vgpr 1
		.amdhsa_next_free_sgpr 1
		.amdhsa_reserve_vcc 0
		.amdhsa_float_round_mode_32 0
		.amdhsa_float_round_mode_16_64 0
		.amdhsa_float_denorm_mode_32 3
		.amdhsa_float_denorm_mode_16_64 3
		.amdhsa_fp16_overflow 0
		.amdhsa_workgroup_processor_mode 1
		.amdhsa_memory_ordered 1
		.amdhsa_forward_progress 1
		.amdhsa_inst_pref_size 0
		.amdhsa_round_robin_scheduling 0
		.amdhsa_exception_fp_ieee_invalid_op 0
		.amdhsa_exception_fp_denorm_src 0
		.amdhsa_exception_fp_ieee_div_zero 0
		.amdhsa_exception_fp_ieee_overflow 0
		.amdhsa_exception_fp_ieee_underflow 0
		.amdhsa_exception_fp_ieee_inexact 0
		.amdhsa_exception_int_div_zero 0
	.end_amdhsa_kernel
	.section	.text._ZN7rocprim17ROCPRIM_400000_NS6detail17trampoline_kernelINS0_14default_configENS1_25partition_config_selectorILNS1_17partition_subalgoE6EN6thrust23THRUST_200600_302600_NS5tupleIyyNS7_9null_typeES9_S9_S9_S9_S9_S9_S9_EENS0_10empty_typeEbEEZZNS1_14partition_implILS5_6ELb0ES3_mNS7_12zip_iteratorINS8_INS7_6detail15normal_iteratorINS7_10device_ptrIyEEEESJ_S9_S9_S9_S9_S9_S9_S9_S9_EEEEPSB_SM_NS0_5tupleIJNSE_INS8_ISJ_NS7_16discard_iteratorINS7_11use_defaultEEES9_S9_S9_S9_S9_S9_S9_S9_EEEESB_EEENSN_IJSM_SM_EEESB_PlJNSF_9not_fun_tINSF_14equal_to_valueISA_EEEEEEE10hipError_tPvRmT3_T4_T5_T6_T7_T9_mT8_P12ihipStream_tbDpT10_ENKUlT_T0_E_clISt17integral_constantIbLb0EES1J_EEDaS1E_S1F_EUlS1E_E_NS1_11comp_targetILNS1_3genE3ELNS1_11target_archE908ELNS1_3gpuE7ELNS1_3repE0EEENS1_30default_config_static_selectorELNS0_4arch9wavefront6targetE0EEEvT1_,"axG",@progbits,_ZN7rocprim17ROCPRIM_400000_NS6detail17trampoline_kernelINS0_14default_configENS1_25partition_config_selectorILNS1_17partition_subalgoE6EN6thrust23THRUST_200600_302600_NS5tupleIyyNS7_9null_typeES9_S9_S9_S9_S9_S9_S9_EENS0_10empty_typeEbEEZZNS1_14partition_implILS5_6ELb0ES3_mNS7_12zip_iteratorINS8_INS7_6detail15normal_iteratorINS7_10device_ptrIyEEEESJ_S9_S9_S9_S9_S9_S9_S9_S9_EEEEPSB_SM_NS0_5tupleIJNSE_INS8_ISJ_NS7_16discard_iteratorINS7_11use_defaultEEES9_S9_S9_S9_S9_S9_S9_S9_EEEESB_EEENSN_IJSM_SM_EEESB_PlJNSF_9not_fun_tINSF_14equal_to_valueISA_EEEEEEE10hipError_tPvRmT3_T4_T5_T6_T7_T9_mT8_P12ihipStream_tbDpT10_ENKUlT_T0_E_clISt17integral_constantIbLb0EES1J_EEDaS1E_S1F_EUlS1E_E_NS1_11comp_targetILNS1_3genE3ELNS1_11target_archE908ELNS1_3gpuE7ELNS1_3repE0EEENS1_30default_config_static_selectorELNS0_4arch9wavefront6targetE0EEEvT1_,comdat
.Lfunc_end1888:
	.size	_ZN7rocprim17ROCPRIM_400000_NS6detail17trampoline_kernelINS0_14default_configENS1_25partition_config_selectorILNS1_17partition_subalgoE6EN6thrust23THRUST_200600_302600_NS5tupleIyyNS7_9null_typeES9_S9_S9_S9_S9_S9_S9_EENS0_10empty_typeEbEEZZNS1_14partition_implILS5_6ELb0ES3_mNS7_12zip_iteratorINS8_INS7_6detail15normal_iteratorINS7_10device_ptrIyEEEESJ_S9_S9_S9_S9_S9_S9_S9_S9_EEEEPSB_SM_NS0_5tupleIJNSE_INS8_ISJ_NS7_16discard_iteratorINS7_11use_defaultEEES9_S9_S9_S9_S9_S9_S9_S9_EEEESB_EEENSN_IJSM_SM_EEESB_PlJNSF_9not_fun_tINSF_14equal_to_valueISA_EEEEEEE10hipError_tPvRmT3_T4_T5_T6_T7_T9_mT8_P12ihipStream_tbDpT10_ENKUlT_T0_E_clISt17integral_constantIbLb0EES1J_EEDaS1E_S1F_EUlS1E_E_NS1_11comp_targetILNS1_3genE3ELNS1_11target_archE908ELNS1_3gpuE7ELNS1_3repE0EEENS1_30default_config_static_selectorELNS0_4arch9wavefront6targetE0EEEvT1_, .Lfunc_end1888-_ZN7rocprim17ROCPRIM_400000_NS6detail17trampoline_kernelINS0_14default_configENS1_25partition_config_selectorILNS1_17partition_subalgoE6EN6thrust23THRUST_200600_302600_NS5tupleIyyNS7_9null_typeES9_S9_S9_S9_S9_S9_S9_EENS0_10empty_typeEbEEZZNS1_14partition_implILS5_6ELb0ES3_mNS7_12zip_iteratorINS8_INS7_6detail15normal_iteratorINS7_10device_ptrIyEEEESJ_S9_S9_S9_S9_S9_S9_S9_S9_EEEEPSB_SM_NS0_5tupleIJNSE_INS8_ISJ_NS7_16discard_iteratorINS7_11use_defaultEEES9_S9_S9_S9_S9_S9_S9_S9_EEEESB_EEENSN_IJSM_SM_EEESB_PlJNSF_9not_fun_tINSF_14equal_to_valueISA_EEEEEEE10hipError_tPvRmT3_T4_T5_T6_T7_T9_mT8_P12ihipStream_tbDpT10_ENKUlT_T0_E_clISt17integral_constantIbLb0EES1J_EEDaS1E_S1F_EUlS1E_E_NS1_11comp_targetILNS1_3genE3ELNS1_11target_archE908ELNS1_3gpuE7ELNS1_3repE0EEENS1_30default_config_static_selectorELNS0_4arch9wavefront6targetE0EEEvT1_
                                        ; -- End function
	.set _ZN7rocprim17ROCPRIM_400000_NS6detail17trampoline_kernelINS0_14default_configENS1_25partition_config_selectorILNS1_17partition_subalgoE6EN6thrust23THRUST_200600_302600_NS5tupleIyyNS7_9null_typeES9_S9_S9_S9_S9_S9_S9_EENS0_10empty_typeEbEEZZNS1_14partition_implILS5_6ELb0ES3_mNS7_12zip_iteratorINS8_INS7_6detail15normal_iteratorINS7_10device_ptrIyEEEESJ_S9_S9_S9_S9_S9_S9_S9_S9_EEEEPSB_SM_NS0_5tupleIJNSE_INS8_ISJ_NS7_16discard_iteratorINS7_11use_defaultEEES9_S9_S9_S9_S9_S9_S9_S9_EEEESB_EEENSN_IJSM_SM_EEESB_PlJNSF_9not_fun_tINSF_14equal_to_valueISA_EEEEEEE10hipError_tPvRmT3_T4_T5_T6_T7_T9_mT8_P12ihipStream_tbDpT10_ENKUlT_T0_E_clISt17integral_constantIbLb0EES1J_EEDaS1E_S1F_EUlS1E_E_NS1_11comp_targetILNS1_3genE3ELNS1_11target_archE908ELNS1_3gpuE7ELNS1_3repE0EEENS1_30default_config_static_selectorELNS0_4arch9wavefront6targetE0EEEvT1_.num_vgpr, 0
	.set _ZN7rocprim17ROCPRIM_400000_NS6detail17trampoline_kernelINS0_14default_configENS1_25partition_config_selectorILNS1_17partition_subalgoE6EN6thrust23THRUST_200600_302600_NS5tupleIyyNS7_9null_typeES9_S9_S9_S9_S9_S9_S9_EENS0_10empty_typeEbEEZZNS1_14partition_implILS5_6ELb0ES3_mNS7_12zip_iteratorINS8_INS7_6detail15normal_iteratorINS7_10device_ptrIyEEEESJ_S9_S9_S9_S9_S9_S9_S9_S9_EEEEPSB_SM_NS0_5tupleIJNSE_INS8_ISJ_NS7_16discard_iteratorINS7_11use_defaultEEES9_S9_S9_S9_S9_S9_S9_S9_EEEESB_EEENSN_IJSM_SM_EEESB_PlJNSF_9not_fun_tINSF_14equal_to_valueISA_EEEEEEE10hipError_tPvRmT3_T4_T5_T6_T7_T9_mT8_P12ihipStream_tbDpT10_ENKUlT_T0_E_clISt17integral_constantIbLb0EES1J_EEDaS1E_S1F_EUlS1E_E_NS1_11comp_targetILNS1_3genE3ELNS1_11target_archE908ELNS1_3gpuE7ELNS1_3repE0EEENS1_30default_config_static_selectorELNS0_4arch9wavefront6targetE0EEEvT1_.num_agpr, 0
	.set _ZN7rocprim17ROCPRIM_400000_NS6detail17trampoline_kernelINS0_14default_configENS1_25partition_config_selectorILNS1_17partition_subalgoE6EN6thrust23THRUST_200600_302600_NS5tupleIyyNS7_9null_typeES9_S9_S9_S9_S9_S9_S9_EENS0_10empty_typeEbEEZZNS1_14partition_implILS5_6ELb0ES3_mNS7_12zip_iteratorINS8_INS7_6detail15normal_iteratorINS7_10device_ptrIyEEEESJ_S9_S9_S9_S9_S9_S9_S9_S9_EEEEPSB_SM_NS0_5tupleIJNSE_INS8_ISJ_NS7_16discard_iteratorINS7_11use_defaultEEES9_S9_S9_S9_S9_S9_S9_S9_EEEESB_EEENSN_IJSM_SM_EEESB_PlJNSF_9not_fun_tINSF_14equal_to_valueISA_EEEEEEE10hipError_tPvRmT3_T4_T5_T6_T7_T9_mT8_P12ihipStream_tbDpT10_ENKUlT_T0_E_clISt17integral_constantIbLb0EES1J_EEDaS1E_S1F_EUlS1E_E_NS1_11comp_targetILNS1_3genE3ELNS1_11target_archE908ELNS1_3gpuE7ELNS1_3repE0EEENS1_30default_config_static_selectorELNS0_4arch9wavefront6targetE0EEEvT1_.numbered_sgpr, 0
	.set _ZN7rocprim17ROCPRIM_400000_NS6detail17trampoline_kernelINS0_14default_configENS1_25partition_config_selectorILNS1_17partition_subalgoE6EN6thrust23THRUST_200600_302600_NS5tupleIyyNS7_9null_typeES9_S9_S9_S9_S9_S9_S9_EENS0_10empty_typeEbEEZZNS1_14partition_implILS5_6ELb0ES3_mNS7_12zip_iteratorINS8_INS7_6detail15normal_iteratorINS7_10device_ptrIyEEEESJ_S9_S9_S9_S9_S9_S9_S9_S9_EEEEPSB_SM_NS0_5tupleIJNSE_INS8_ISJ_NS7_16discard_iteratorINS7_11use_defaultEEES9_S9_S9_S9_S9_S9_S9_S9_EEEESB_EEENSN_IJSM_SM_EEESB_PlJNSF_9not_fun_tINSF_14equal_to_valueISA_EEEEEEE10hipError_tPvRmT3_T4_T5_T6_T7_T9_mT8_P12ihipStream_tbDpT10_ENKUlT_T0_E_clISt17integral_constantIbLb0EES1J_EEDaS1E_S1F_EUlS1E_E_NS1_11comp_targetILNS1_3genE3ELNS1_11target_archE908ELNS1_3gpuE7ELNS1_3repE0EEENS1_30default_config_static_selectorELNS0_4arch9wavefront6targetE0EEEvT1_.num_named_barrier, 0
	.set _ZN7rocprim17ROCPRIM_400000_NS6detail17trampoline_kernelINS0_14default_configENS1_25partition_config_selectorILNS1_17partition_subalgoE6EN6thrust23THRUST_200600_302600_NS5tupleIyyNS7_9null_typeES9_S9_S9_S9_S9_S9_S9_EENS0_10empty_typeEbEEZZNS1_14partition_implILS5_6ELb0ES3_mNS7_12zip_iteratorINS8_INS7_6detail15normal_iteratorINS7_10device_ptrIyEEEESJ_S9_S9_S9_S9_S9_S9_S9_S9_EEEEPSB_SM_NS0_5tupleIJNSE_INS8_ISJ_NS7_16discard_iteratorINS7_11use_defaultEEES9_S9_S9_S9_S9_S9_S9_S9_EEEESB_EEENSN_IJSM_SM_EEESB_PlJNSF_9not_fun_tINSF_14equal_to_valueISA_EEEEEEE10hipError_tPvRmT3_T4_T5_T6_T7_T9_mT8_P12ihipStream_tbDpT10_ENKUlT_T0_E_clISt17integral_constantIbLb0EES1J_EEDaS1E_S1F_EUlS1E_E_NS1_11comp_targetILNS1_3genE3ELNS1_11target_archE908ELNS1_3gpuE7ELNS1_3repE0EEENS1_30default_config_static_selectorELNS0_4arch9wavefront6targetE0EEEvT1_.private_seg_size, 0
	.set _ZN7rocprim17ROCPRIM_400000_NS6detail17trampoline_kernelINS0_14default_configENS1_25partition_config_selectorILNS1_17partition_subalgoE6EN6thrust23THRUST_200600_302600_NS5tupleIyyNS7_9null_typeES9_S9_S9_S9_S9_S9_S9_EENS0_10empty_typeEbEEZZNS1_14partition_implILS5_6ELb0ES3_mNS7_12zip_iteratorINS8_INS7_6detail15normal_iteratorINS7_10device_ptrIyEEEESJ_S9_S9_S9_S9_S9_S9_S9_S9_EEEEPSB_SM_NS0_5tupleIJNSE_INS8_ISJ_NS7_16discard_iteratorINS7_11use_defaultEEES9_S9_S9_S9_S9_S9_S9_S9_EEEESB_EEENSN_IJSM_SM_EEESB_PlJNSF_9not_fun_tINSF_14equal_to_valueISA_EEEEEEE10hipError_tPvRmT3_T4_T5_T6_T7_T9_mT8_P12ihipStream_tbDpT10_ENKUlT_T0_E_clISt17integral_constantIbLb0EES1J_EEDaS1E_S1F_EUlS1E_E_NS1_11comp_targetILNS1_3genE3ELNS1_11target_archE908ELNS1_3gpuE7ELNS1_3repE0EEENS1_30default_config_static_selectorELNS0_4arch9wavefront6targetE0EEEvT1_.uses_vcc, 0
	.set _ZN7rocprim17ROCPRIM_400000_NS6detail17trampoline_kernelINS0_14default_configENS1_25partition_config_selectorILNS1_17partition_subalgoE6EN6thrust23THRUST_200600_302600_NS5tupleIyyNS7_9null_typeES9_S9_S9_S9_S9_S9_S9_EENS0_10empty_typeEbEEZZNS1_14partition_implILS5_6ELb0ES3_mNS7_12zip_iteratorINS8_INS7_6detail15normal_iteratorINS7_10device_ptrIyEEEESJ_S9_S9_S9_S9_S9_S9_S9_S9_EEEEPSB_SM_NS0_5tupleIJNSE_INS8_ISJ_NS7_16discard_iteratorINS7_11use_defaultEEES9_S9_S9_S9_S9_S9_S9_S9_EEEESB_EEENSN_IJSM_SM_EEESB_PlJNSF_9not_fun_tINSF_14equal_to_valueISA_EEEEEEE10hipError_tPvRmT3_T4_T5_T6_T7_T9_mT8_P12ihipStream_tbDpT10_ENKUlT_T0_E_clISt17integral_constantIbLb0EES1J_EEDaS1E_S1F_EUlS1E_E_NS1_11comp_targetILNS1_3genE3ELNS1_11target_archE908ELNS1_3gpuE7ELNS1_3repE0EEENS1_30default_config_static_selectorELNS0_4arch9wavefront6targetE0EEEvT1_.uses_flat_scratch, 0
	.set _ZN7rocprim17ROCPRIM_400000_NS6detail17trampoline_kernelINS0_14default_configENS1_25partition_config_selectorILNS1_17partition_subalgoE6EN6thrust23THRUST_200600_302600_NS5tupleIyyNS7_9null_typeES9_S9_S9_S9_S9_S9_S9_EENS0_10empty_typeEbEEZZNS1_14partition_implILS5_6ELb0ES3_mNS7_12zip_iteratorINS8_INS7_6detail15normal_iteratorINS7_10device_ptrIyEEEESJ_S9_S9_S9_S9_S9_S9_S9_S9_EEEEPSB_SM_NS0_5tupleIJNSE_INS8_ISJ_NS7_16discard_iteratorINS7_11use_defaultEEES9_S9_S9_S9_S9_S9_S9_S9_EEEESB_EEENSN_IJSM_SM_EEESB_PlJNSF_9not_fun_tINSF_14equal_to_valueISA_EEEEEEE10hipError_tPvRmT3_T4_T5_T6_T7_T9_mT8_P12ihipStream_tbDpT10_ENKUlT_T0_E_clISt17integral_constantIbLb0EES1J_EEDaS1E_S1F_EUlS1E_E_NS1_11comp_targetILNS1_3genE3ELNS1_11target_archE908ELNS1_3gpuE7ELNS1_3repE0EEENS1_30default_config_static_selectorELNS0_4arch9wavefront6targetE0EEEvT1_.has_dyn_sized_stack, 0
	.set _ZN7rocprim17ROCPRIM_400000_NS6detail17trampoline_kernelINS0_14default_configENS1_25partition_config_selectorILNS1_17partition_subalgoE6EN6thrust23THRUST_200600_302600_NS5tupleIyyNS7_9null_typeES9_S9_S9_S9_S9_S9_S9_EENS0_10empty_typeEbEEZZNS1_14partition_implILS5_6ELb0ES3_mNS7_12zip_iteratorINS8_INS7_6detail15normal_iteratorINS7_10device_ptrIyEEEESJ_S9_S9_S9_S9_S9_S9_S9_S9_EEEEPSB_SM_NS0_5tupleIJNSE_INS8_ISJ_NS7_16discard_iteratorINS7_11use_defaultEEES9_S9_S9_S9_S9_S9_S9_S9_EEEESB_EEENSN_IJSM_SM_EEESB_PlJNSF_9not_fun_tINSF_14equal_to_valueISA_EEEEEEE10hipError_tPvRmT3_T4_T5_T6_T7_T9_mT8_P12ihipStream_tbDpT10_ENKUlT_T0_E_clISt17integral_constantIbLb0EES1J_EEDaS1E_S1F_EUlS1E_E_NS1_11comp_targetILNS1_3genE3ELNS1_11target_archE908ELNS1_3gpuE7ELNS1_3repE0EEENS1_30default_config_static_selectorELNS0_4arch9wavefront6targetE0EEEvT1_.has_recursion, 0
	.set _ZN7rocprim17ROCPRIM_400000_NS6detail17trampoline_kernelINS0_14default_configENS1_25partition_config_selectorILNS1_17partition_subalgoE6EN6thrust23THRUST_200600_302600_NS5tupleIyyNS7_9null_typeES9_S9_S9_S9_S9_S9_S9_EENS0_10empty_typeEbEEZZNS1_14partition_implILS5_6ELb0ES3_mNS7_12zip_iteratorINS8_INS7_6detail15normal_iteratorINS7_10device_ptrIyEEEESJ_S9_S9_S9_S9_S9_S9_S9_S9_EEEEPSB_SM_NS0_5tupleIJNSE_INS8_ISJ_NS7_16discard_iteratorINS7_11use_defaultEEES9_S9_S9_S9_S9_S9_S9_S9_EEEESB_EEENSN_IJSM_SM_EEESB_PlJNSF_9not_fun_tINSF_14equal_to_valueISA_EEEEEEE10hipError_tPvRmT3_T4_T5_T6_T7_T9_mT8_P12ihipStream_tbDpT10_ENKUlT_T0_E_clISt17integral_constantIbLb0EES1J_EEDaS1E_S1F_EUlS1E_E_NS1_11comp_targetILNS1_3genE3ELNS1_11target_archE908ELNS1_3gpuE7ELNS1_3repE0EEENS1_30default_config_static_selectorELNS0_4arch9wavefront6targetE0EEEvT1_.has_indirect_call, 0
	.section	.AMDGPU.csdata,"",@progbits
; Kernel info:
; codeLenInByte = 0
; TotalNumSgprs: 0
; NumVgprs: 0
; ScratchSize: 0
; MemoryBound: 0
; FloatMode: 240
; IeeeMode: 1
; LDSByteSize: 0 bytes/workgroup (compile time only)
; SGPRBlocks: 0
; VGPRBlocks: 0
; NumSGPRsForWavesPerEU: 1
; NumVGPRsForWavesPerEU: 1
; Occupancy: 16
; WaveLimiterHint : 0
; COMPUTE_PGM_RSRC2:SCRATCH_EN: 0
; COMPUTE_PGM_RSRC2:USER_SGPR: 2
; COMPUTE_PGM_RSRC2:TRAP_HANDLER: 0
; COMPUTE_PGM_RSRC2:TGID_X_EN: 1
; COMPUTE_PGM_RSRC2:TGID_Y_EN: 0
; COMPUTE_PGM_RSRC2:TGID_Z_EN: 0
; COMPUTE_PGM_RSRC2:TIDIG_COMP_CNT: 0
	.section	.text._ZN7rocprim17ROCPRIM_400000_NS6detail17trampoline_kernelINS0_14default_configENS1_25partition_config_selectorILNS1_17partition_subalgoE6EN6thrust23THRUST_200600_302600_NS5tupleIyyNS7_9null_typeES9_S9_S9_S9_S9_S9_S9_EENS0_10empty_typeEbEEZZNS1_14partition_implILS5_6ELb0ES3_mNS7_12zip_iteratorINS8_INS7_6detail15normal_iteratorINS7_10device_ptrIyEEEESJ_S9_S9_S9_S9_S9_S9_S9_S9_EEEEPSB_SM_NS0_5tupleIJNSE_INS8_ISJ_NS7_16discard_iteratorINS7_11use_defaultEEES9_S9_S9_S9_S9_S9_S9_S9_EEEESB_EEENSN_IJSM_SM_EEESB_PlJNSF_9not_fun_tINSF_14equal_to_valueISA_EEEEEEE10hipError_tPvRmT3_T4_T5_T6_T7_T9_mT8_P12ihipStream_tbDpT10_ENKUlT_T0_E_clISt17integral_constantIbLb0EES1J_EEDaS1E_S1F_EUlS1E_E_NS1_11comp_targetILNS1_3genE2ELNS1_11target_archE906ELNS1_3gpuE6ELNS1_3repE0EEENS1_30default_config_static_selectorELNS0_4arch9wavefront6targetE0EEEvT1_,"axG",@progbits,_ZN7rocprim17ROCPRIM_400000_NS6detail17trampoline_kernelINS0_14default_configENS1_25partition_config_selectorILNS1_17partition_subalgoE6EN6thrust23THRUST_200600_302600_NS5tupleIyyNS7_9null_typeES9_S9_S9_S9_S9_S9_S9_EENS0_10empty_typeEbEEZZNS1_14partition_implILS5_6ELb0ES3_mNS7_12zip_iteratorINS8_INS7_6detail15normal_iteratorINS7_10device_ptrIyEEEESJ_S9_S9_S9_S9_S9_S9_S9_S9_EEEEPSB_SM_NS0_5tupleIJNSE_INS8_ISJ_NS7_16discard_iteratorINS7_11use_defaultEEES9_S9_S9_S9_S9_S9_S9_S9_EEEESB_EEENSN_IJSM_SM_EEESB_PlJNSF_9not_fun_tINSF_14equal_to_valueISA_EEEEEEE10hipError_tPvRmT3_T4_T5_T6_T7_T9_mT8_P12ihipStream_tbDpT10_ENKUlT_T0_E_clISt17integral_constantIbLb0EES1J_EEDaS1E_S1F_EUlS1E_E_NS1_11comp_targetILNS1_3genE2ELNS1_11target_archE906ELNS1_3gpuE6ELNS1_3repE0EEENS1_30default_config_static_selectorELNS0_4arch9wavefront6targetE0EEEvT1_,comdat
	.protected	_ZN7rocprim17ROCPRIM_400000_NS6detail17trampoline_kernelINS0_14default_configENS1_25partition_config_selectorILNS1_17partition_subalgoE6EN6thrust23THRUST_200600_302600_NS5tupleIyyNS7_9null_typeES9_S9_S9_S9_S9_S9_S9_EENS0_10empty_typeEbEEZZNS1_14partition_implILS5_6ELb0ES3_mNS7_12zip_iteratorINS8_INS7_6detail15normal_iteratorINS7_10device_ptrIyEEEESJ_S9_S9_S9_S9_S9_S9_S9_S9_EEEEPSB_SM_NS0_5tupleIJNSE_INS8_ISJ_NS7_16discard_iteratorINS7_11use_defaultEEES9_S9_S9_S9_S9_S9_S9_S9_EEEESB_EEENSN_IJSM_SM_EEESB_PlJNSF_9not_fun_tINSF_14equal_to_valueISA_EEEEEEE10hipError_tPvRmT3_T4_T5_T6_T7_T9_mT8_P12ihipStream_tbDpT10_ENKUlT_T0_E_clISt17integral_constantIbLb0EES1J_EEDaS1E_S1F_EUlS1E_E_NS1_11comp_targetILNS1_3genE2ELNS1_11target_archE906ELNS1_3gpuE6ELNS1_3repE0EEENS1_30default_config_static_selectorELNS0_4arch9wavefront6targetE0EEEvT1_ ; -- Begin function _ZN7rocprim17ROCPRIM_400000_NS6detail17trampoline_kernelINS0_14default_configENS1_25partition_config_selectorILNS1_17partition_subalgoE6EN6thrust23THRUST_200600_302600_NS5tupleIyyNS7_9null_typeES9_S9_S9_S9_S9_S9_S9_EENS0_10empty_typeEbEEZZNS1_14partition_implILS5_6ELb0ES3_mNS7_12zip_iteratorINS8_INS7_6detail15normal_iteratorINS7_10device_ptrIyEEEESJ_S9_S9_S9_S9_S9_S9_S9_S9_EEEEPSB_SM_NS0_5tupleIJNSE_INS8_ISJ_NS7_16discard_iteratorINS7_11use_defaultEEES9_S9_S9_S9_S9_S9_S9_S9_EEEESB_EEENSN_IJSM_SM_EEESB_PlJNSF_9not_fun_tINSF_14equal_to_valueISA_EEEEEEE10hipError_tPvRmT3_T4_T5_T6_T7_T9_mT8_P12ihipStream_tbDpT10_ENKUlT_T0_E_clISt17integral_constantIbLb0EES1J_EEDaS1E_S1F_EUlS1E_E_NS1_11comp_targetILNS1_3genE2ELNS1_11target_archE906ELNS1_3gpuE6ELNS1_3repE0EEENS1_30default_config_static_selectorELNS0_4arch9wavefront6targetE0EEEvT1_
	.globl	_ZN7rocprim17ROCPRIM_400000_NS6detail17trampoline_kernelINS0_14default_configENS1_25partition_config_selectorILNS1_17partition_subalgoE6EN6thrust23THRUST_200600_302600_NS5tupleIyyNS7_9null_typeES9_S9_S9_S9_S9_S9_S9_EENS0_10empty_typeEbEEZZNS1_14partition_implILS5_6ELb0ES3_mNS7_12zip_iteratorINS8_INS7_6detail15normal_iteratorINS7_10device_ptrIyEEEESJ_S9_S9_S9_S9_S9_S9_S9_S9_EEEEPSB_SM_NS0_5tupleIJNSE_INS8_ISJ_NS7_16discard_iteratorINS7_11use_defaultEEES9_S9_S9_S9_S9_S9_S9_S9_EEEESB_EEENSN_IJSM_SM_EEESB_PlJNSF_9not_fun_tINSF_14equal_to_valueISA_EEEEEEE10hipError_tPvRmT3_T4_T5_T6_T7_T9_mT8_P12ihipStream_tbDpT10_ENKUlT_T0_E_clISt17integral_constantIbLb0EES1J_EEDaS1E_S1F_EUlS1E_E_NS1_11comp_targetILNS1_3genE2ELNS1_11target_archE906ELNS1_3gpuE6ELNS1_3repE0EEENS1_30default_config_static_selectorELNS0_4arch9wavefront6targetE0EEEvT1_
	.p2align	8
	.type	_ZN7rocprim17ROCPRIM_400000_NS6detail17trampoline_kernelINS0_14default_configENS1_25partition_config_selectorILNS1_17partition_subalgoE6EN6thrust23THRUST_200600_302600_NS5tupleIyyNS7_9null_typeES9_S9_S9_S9_S9_S9_S9_EENS0_10empty_typeEbEEZZNS1_14partition_implILS5_6ELb0ES3_mNS7_12zip_iteratorINS8_INS7_6detail15normal_iteratorINS7_10device_ptrIyEEEESJ_S9_S9_S9_S9_S9_S9_S9_S9_EEEEPSB_SM_NS0_5tupleIJNSE_INS8_ISJ_NS7_16discard_iteratorINS7_11use_defaultEEES9_S9_S9_S9_S9_S9_S9_S9_EEEESB_EEENSN_IJSM_SM_EEESB_PlJNSF_9not_fun_tINSF_14equal_to_valueISA_EEEEEEE10hipError_tPvRmT3_T4_T5_T6_T7_T9_mT8_P12ihipStream_tbDpT10_ENKUlT_T0_E_clISt17integral_constantIbLb0EES1J_EEDaS1E_S1F_EUlS1E_E_NS1_11comp_targetILNS1_3genE2ELNS1_11target_archE906ELNS1_3gpuE6ELNS1_3repE0EEENS1_30default_config_static_selectorELNS0_4arch9wavefront6targetE0EEEvT1_,@function
_ZN7rocprim17ROCPRIM_400000_NS6detail17trampoline_kernelINS0_14default_configENS1_25partition_config_selectorILNS1_17partition_subalgoE6EN6thrust23THRUST_200600_302600_NS5tupleIyyNS7_9null_typeES9_S9_S9_S9_S9_S9_S9_EENS0_10empty_typeEbEEZZNS1_14partition_implILS5_6ELb0ES3_mNS7_12zip_iteratorINS8_INS7_6detail15normal_iteratorINS7_10device_ptrIyEEEESJ_S9_S9_S9_S9_S9_S9_S9_S9_EEEEPSB_SM_NS0_5tupleIJNSE_INS8_ISJ_NS7_16discard_iteratorINS7_11use_defaultEEES9_S9_S9_S9_S9_S9_S9_S9_EEEESB_EEENSN_IJSM_SM_EEESB_PlJNSF_9not_fun_tINSF_14equal_to_valueISA_EEEEEEE10hipError_tPvRmT3_T4_T5_T6_T7_T9_mT8_P12ihipStream_tbDpT10_ENKUlT_T0_E_clISt17integral_constantIbLb0EES1J_EEDaS1E_S1F_EUlS1E_E_NS1_11comp_targetILNS1_3genE2ELNS1_11target_archE906ELNS1_3gpuE6ELNS1_3repE0EEENS1_30default_config_static_selectorELNS0_4arch9wavefront6targetE0EEEvT1_: ; @_ZN7rocprim17ROCPRIM_400000_NS6detail17trampoline_kernelINS0_14default_configENS1_25partition_config_selectorILNS1_17partition_subalgoE6EN6thrust23THRUST_200600_302600_NS5tupleIyyNS7_9null_typeES9_S9_S9_S9_S9_S9_S9_EENS0_10empty_typeEbEEZZNS1_14partition_implILS5_6ELb0ES3_mNS7_12zip_iteratorINS8_INS7_6detail15normal_iteratorINS7_10device_ptrIyEEEESJ_S9_S9_S9_S9_S9_S9_S9_S9_EEEEPSB_SM_NS0_5tupleIJNSE_INS8_ISJ_NS7_16discard_iteratorINS7_11use_defaultEEES9_S9_S9_S9_S9_S9_S9_S9_EEEESB_EEENSN_IJSM_SM_EEESB_PlJNSF_9not_fun_tINSF_14equal_to_valueISA_EEEEEEE10hipError_tPvRmT3_T4_T5_T6_T7_T9_mT8_P12ihipStream_tbDpT10_ENKUlT_T0_E_clISt17integral_constantIbLb0EES1J_EEDaS1E_S1F_EUlS1E_E_NS1_11comp_targetILNS1_3genE2ELNS1_11target_archE906ELNS1_3gpuE6ELNS1_3repE0EEENS1_30default_config_static_selectorELNS0_4arch9wavefront6targetE0EEEvT1_
; %bb.0:
	.section	.rodata,"a",@progbits
	.p2align	6, 0x0
	.amdhsa_kernel _ZN7rocprim17ROCPRIM_400000_NS6detail17trampoline_kernelINS0_14default_configENS1_25partition_config_selectorILNS1_17partition_subalgoE6EN6thrust23THRUST_200600_302600_NS5tupleIyyNS7_9null_typeES9_S9_S9_S9_S9_S9_S9_EENS0_10empty_typeEbEEZZNS1_14partition_implILS5_6ELb0ES3_mNS7_12zip_iteratorINS8_INS7_6detail15normal_iteratorINS7_10device_ptrIyEEEESJ_S9_S9_S9_S9_S9_S9_S9_S9_EEEEPSB_SM_NS0_5tupleIJNSE_INS8_ISJ_NS7_16discard_iteratorINS7_11use_defaultEEES9_S9_S9_S9_S9_S9_S9_S9_EEEESB_EEENSN_IJSM_SM_EEESB_PlJNSF_9not_fun_tINSF_14equal_to_valueISA_EEEEEEE10hipError_tPvRmT3_T4_T5_T6_T7_T9_mT8_P12ihipStream_tbDpT10_ENKUlT_T0_E_clISt17integral_constantIbLb0EES1J_EEDaS1E_S1F_EUlS1E_E_NS1_11comp_targetILNS1_3genE2ELNS1_11target_archE906ELNS1_3gpuE6ELNS1_3repE0EEENS1_30default_config_static_selectorELNS0_4arch9wavefront6targetE0EEEvT1_
		.amdhsa_group_segment_fixed_size 0
		.amdhsa_private_segment_fixed_size 0
		.amdhsa_kernarg_size 152
		.amdhsa_user_sgpr_count 2
		.amdhsa_user_sgpr_dispatch_ptr 0
		.amdhsa_user_sgpr_queue_ptr 0
		.amdhsa_user_sgpr_kernarg_segment_ptr 1
		.amdhsa_user_sgpr_dispatch_id 0
		.amdhsa_user_sgpr_private_segment_size 0
		.amdhsa_wavefront_size32 1
		.amdhsa_uses_dynamic_stack 0
		.amdhsa_enable_private_segment 0
		.amdhsa_system_sgpr_workgroup_id_x 1
		.amdhsa_system_sgpr_workgroup_id_y 0
		.amdhsa_system_sgpr_workgroup_id_z 0
		.amdhsa_system_sgpr_workgroup_info 0
		.amdhsa_system_vgpr_workitem_id 0
		.amdhsa_next_free_vgpr 1
		.amdhsa_next_free_sgpr 1
		.amdhsa_reserve_vcc 0
		.amdhsa_float_round_mode_32 0
		.amdhsa_float_round_mode_16_64 0
		.amdhsa_float_denorm_mode_32 3
		.amdhsa_float_denorm_mode_16_64 3
		.amdhsa_fp16_overflow 0
		.amdhsa_workgroup_processor_mode 1
		.amdhsa_memory_ordered 1
		.amdhsa_forward_progress 1
		.amdhsa_inst_pref_size 0
		.amdhsa_round_robin_scheduling 0
		.amdhsa_exception_fp_ieee_invalid_op 0
		.amdhsa_exception_fp_denorm_src 0
		.amdhsa_exception_fp_ieee_div_zero 0
		.amdhsa_exception_fp_ieee_overflow 0
		.amdhsa_exception_fp_ieee_underflow 0
		.amdhsa_exception_fp_ieee_inexact 0
		.amdhsa_exception_int_div_zero 0
	.end_amdhsa_kernel
	.section	.text._ZN7rocprim17ROCPRIM_400000_NS6detail17trampoline_kernelINS0_14default_configENS1_25partition_config_selectorILNS1_17partition_subalgoE6EN6thrust23THRUST_200600_302600_NS5tupleIyyNS7_9null_typeES9_S9_S9_S9_S9_S9_S9_EENS0_10empty_typeEbEEZZNS1_14partition_implILS5_6ELb0ES3_mNS7_12zip_iteratorINS8_INS7_6detail15normal_iteratorINS7_10device_ptrIyEEEESJ_S9_S9_S9_S9_S9_S9_S9_S9_EEEEPSB_SM_NS0_5tupleIJNSE_INS8_ISJ_NS7_16discard_iteratorINS7_11use_defaultEEES9_S9_S9_S9_S9_S9_S9_S9_EEEESB_EEENSN_IJSM_SM_EEESB_PlJNSF_9not_fun_tINSF_14equal_to_valueISA_EEEEEEE10hipError_tPvRmT3_T4_T5_T6_T7_T9_mT8_P12ihipStream_tbDpT10_ENKUlT_T0_E_clISt17integral_constantIbLb0EES1J_EEDaS1E_S1F_EUlS1E_E_NS1_11comp_targetILNS1_3genE2ELNS1_11target_archE906ELNS1_3gpuE6ELNS1_3repE0EEENS1_30default_config_static_selectorELNS0_4arch9wavefront6targetE0EEEvT1_,"axG",@progbits,_ZN7rocprim17ROCPRIM_400000_NS6detail17trampoline_kernelINS0_14default_configENS1_25partition_config_selectorILNS1_17partition_subalgoE6EN6thrust23THRUST_200600_302600_NS5tupleIyyNS7_9null_typeES9_S9_S9_S9_S9_S9_S9_EENS0_10empty_typeEbEEZZNS1_14partition_implILS5_6ELb0ES3_mNS7_12zip_iteratorINS8_INS7_6detail15normal_iteratorINS7_10device_ptrIyEEEESJ_S9_S9_S9_S9_S9_S9_S9_S9_EEEEPSB_SM_NS0_5tupleIJNSE_INS8_ISJ_NS7_16discard_iteratorINS7_11use_defaultEEES9_S9_S9_S9_S9_S9_S9_S9_EEEESB_EEENSN_IJSM_SM_EEESB_PlJNSF_9not_fun_tINSF_14equal_to_valueISA_EEEEEEE10hipError_tPvRmT3_T4_T5_T6_T7_T9_mT8_P12ihipStream_tbDpT10_ENKUlT_T0_E_clISt17integral_constantIbLb0EES1J_EEDaS1E_S1F_EUlS1E_E_NS1_11comp_targetILNS1_3genE2ELNS1_11target_archE906ELNS1_3gpuE6ELNS1_3repE0EEENS1_30default_config_static_selectorELNS0_4arch9wavefront6targetE0EEEvT1_,comdat
.Lfunc_end1889:
	.size	_ZN7rocprim17ROCPRIM_400000_NS6detail17trampoline_kernelINS0_14default_configENS1_25partition_config_selectorILNS1_17partition_subalgoE6EN6thrust23THRUST_200600_302600_NS5tupleIyyNS7_9null_typeES9_S9_S9_S9_S9_S9_S9_EENS0_10empty_typeEbEEZZNS1_14partition_implILS5_6ELb0ES3_mNS7_12zip_iteratorINS8_INS7_6detail15normal_iteratorINS7_10device_ptrIyEEEESJ_S9_S9_S9_S9_S9_S9_S9_S9_EEEEPSB_SM_NS0_5tupleIJNSE_INS8_ISJ_NS7_16discard_iteratorINS7_11use_defaultEEES9_S9_S9_S9_S9_S9_S9_S9_EEEESB_EEENSN_IJSM_SM_EEESB_PlJNSF_9not_fun_tINSF_14equal_to_valueISA_EEEEEEE10hipError_tPvRmT3_T4_T5_T6_T7_T9_mT8_P12ihipStream_tbDpT10_ENKUlT_T0_E_clISt17integral_constantIbLb0EES1J_EEDaS1E_S1F_EUlS1E_E_NS1_11comp_targetILNS1_3genE2ELNS1_11target_archE906ELNS1_3gpuE6ELNS1_3repE0EEENS1_30default_config_static_selectorELNS0_4arch9wavefront6targetE0EEEvT1_, .Lfunc_end1889-_ZN7rocprim17ROCPRIM_400000_NS6detail17trampoline_kernelINS0_14default_configENS1_25partition_config_selectorILNS1_17partition_subalgoE6EN6thrust23THRUST_200600_302600_NS5tupleIyyNS7_9null_typeES9_S9_S9_S9_S9_S9_S9_EENS0_10empty_typeEbEEZZNS1_14partition_implILS5_6ELb0ES3_mNS7_12zip_iteratorINS8_INS7_6detail15normal_iteratorINS7_10device_ptrIyEEEESJ_S9_S9_S9_S9_S9_S9_S9_S9_EEEEPSB_SM_NS0_5tupleIJNSE_INS8_ISJ_NS7_16discard_iteratorINS7_11use_defaultEEES9_S9_S9_S9_S9_S9_S9_S9_EEEESB_EEENSN_IJSM_SM_EEESB_PlJNSF_9not_fun_tINSF_14equal_to_valueISA_EEEEEEE10hipError_tPvRmT3_T4_T5_T6_T7_T9_mT8_P12ihipStream_tbDpT10_ENKUlT_T0_E_clISt17integral_constantIbLb0EES1J_EEDaS1E_S1F_EUlS1E_E_NS1_11comp_targetILNS1_3genE2ELNS1_11target_archE906ELNS1_3gpuE6ELNS1_3repE0EEENS1_30default_config_static_selectorELNS0_4arch9wavefront6targetE0EEEvT1_
                                        ; -- End function
	.set _ZN7rocprim17ROCPRIM_400000_NS6detail17trampoline_kernelINS0_14default_configENS1_25partition_config_selectorILNS1_17partition_subalgoE6EN6thrust23THRUST_200600_302600_NS5tupleIyyNS7_9null_typeES9_S9_S9_S9_S9_S9_S9_EENS0_10empty_typeEbEEZZNS1_14partition_implILS5_6ELb0ES3_mNS7_12zip_iteratorINS8_INS7_6detail15normal_iteratorINS7_10device_ptrIyEEEESJ_S9_S9_S9_S9_S9_S9_S9_S9_EEEEPSB_SM_NS0_5tupleIJNSE_INS8_ISJ_NS7_16discard_iteratorINS7_11use_defaultEEES9_S9_S9_S9_S9_S9_S9_S9_EEEESB_EEENSN_IJSM_SM_EEESB_PlJNSF_9not_fun_tINSF_14equal_to_valueISA_EEEEEEE10hipError_tPvRmT3_T4_T5_T6_T7_T9_mT8_P12ihipStream_tbDpT10_ENKUlT_T0_E_clISt17integral_constantIbLb0EES1J_EEDaS1E_S1F_EUlS1E_E_NS1_11comp_targetILNS1_3genE2ELNS1_11target_archE906ELNS1_3gpuE6ELNS1_3repE0EEENS1_30default_config_static_selectorELNS0_4arch9wavefront6targetE0EEEvT1_.num_vgpr, 0
	.set _ZN7rocprim17ROCPRIM_400000_NS6detail17trampoline_kernelINS0_14default_configENS1_25partition_config_selectorILNS1_17partition_subalgoE6EN6thrust23THRUST_200600_302600_NS5tupleIyyNS7_9null_typeES9_S9_S9_S9_S9_S9_S9_EENS0_10empty_typeEbEEZZNS1_14partition_implILS5_6ELb0ES3_mNS7_12zip_iteratorINS8_INS7_6detail15normal_iteratorINS7_10device_ptrIyEEEESJ_S9_S9_S9_S9_S9_S9_S9_S9_EEEEPSB_SM_NS0_5tupleIJNSE_INS8_ISJ_NS7_16discard_iteratorINS7_11use_defaultEEES9_S9_S9_S9_S9_S9_S9_S9_EEEESB_EEENSN_IJSM_SM_EEESB_PlJNSF_9not_fun_tINSF_14equal_to_valueISA_EEEEEEE10hipError_tPvRmT3_T4_T5_T6_T7_T9_mT8_P12ihipStream_tbDpT10_ENKUlT_T0_E_clISt17integral_constantIbLb0EES1J_EEDaS1E_S1F_EUlS1E_E_NS1_11comp_targetILNS1_3genE2ELNS1_11target_archE906ELNS1_3gpuE6ELNS1_3repE0EEENS1_30default_config_static_selectorELNS0_4arch9wavefront6targetE0EEEvT1_.num_agpr, 0
	.set _ZN7rocprim17ROCPRIM_400000_NS6detail17trampoline_kernelINS0_14default_configENS1_25partition_config_selectorILNS1_17partition_subalgoE6EN6thrust23THRUST_200600_302600_NS5tupleIyyNS7_9null_typeES9_S9_S9_S9_S9_S9_S9_EENS0_10empty_typeEbEEZZNS1_14partition_implILS5_6ELb0ES3_mNS7_12zip_iteratorINS8_INS7_6detail15normal_iteratorINS7_10device_ptrIyEEEESJ_S9_S9_S9_S9_S9_S9_S9_S9_EEEEPSB_SM_NS0_5tupleIJNSE_INS8_ISJ_NS7_16discard_iteratorINS7_11use_defaultEEES9_S9_S9_S9_S9_S9_S9_S9_EEEESB_EEENSN_IJSM_SM_EEESB_PlJNSF_9not_fun_tINSF_14equal_to_valueISA_EEEEEEE10hipError_tPvRmT3_T4_T5_T6_T7_T9_mT8_P12ihipStream_tbDpT10_ENKUlT_T0_E_clISt17integral_constantIbLb0EES1J_EEDaS1E_S1F_EUlS1E_E_NS1_11comp_targetILNS1_3genE2ELNS1_11target_archE906ELNS1_3gpuE6ELNS1_3repE0EEENS1_30default_config_static_selectorELNS0_4arch9wavefront6targetE0EEEvT1_.numbered_sgpr, 0
	.set _ZN7rocprim17ROCPRIM_400000_NS6detail17trampoline_kernelINS0_14default_configENS1_25partition_config_selectorILNS1_17partition_subalgoE6EN6thrust23THRUST_200600_302600_NS5tupleIyyNS7_9null_typeES9_S9_S9_S9_S9_S9_S9_EENS0_10empty_typeEbEEZZNS1_14partition_implILS5_6ELb0ES3_mNS7_12zip_iteratorINS8_INS7_6detail15normal_iteratorINS7_10device_ptrIyEEEESJ_S9_S9_S9_S9_S9_S9_S9_S9_EEEEPSB_SM_NS0_5tupleIJNSE_INS8_ISJ_NS7_16discard_iteratorINS7_11use_defaultEEES9_S9_S9_S9_S9_S9_S9_S9_EEEESB_EEENSN_IJSM_SM_EEESB_PlJNSF_9not_fun_tINSF_14equal_to_valueISA_EEEEEEE10hipError_tPvRmT3_T4_T5_T6_T7_T9_mT8_P12ihipStream_tbDpT10_ENKUlT_T0_E_clISt17integral_constantIbLb0EES1J_EEDaS1E_S1F_EUlS1E_E_NS1_11comp_targetILNS1_3genE2ELNS1_11target_archE906ELNS1_3gpuE6ELNS1_3repE0EEENS1_30default_config_static_selectorELNS0_4arch9wavefront6targetE0EEEvT1_.num_named_barrier, 0
	.set _ZN7rocprim17ROCPRIM_400000_NS6detail17trampoline_kernelINS0_14default_configENS1_25partition_config_selectorILNS1_17partition_subalgoE6EN6thrust23THRUST_200600_302600_NS5tupleIyyNS7_9null_typeES9_S9_S9_S9_S9_S9_S9_EENS0_10empty_typeEbEEZZNS1_14partition_implILS5_6ELb0ES3_mNS7_12zip_iteratorINS8_INS7_6detail15normal_iteratorINS7_10device_ptrIyEEEESJ_S9_S9_S9_S9_S9_S9_S9_S9_EEEEPSB_SM_NS0_5tupleIJNSE_INS8_ISJ_NS7_16discard_iteratorINS7_11use_defaultEEES9_S9_S9_S9_S9_S9_S9_S9_EEEESB_EEENSN_IJSM_SM_EEESB_PlJNSF_9not_fun_tINSF_14equal_to_valueISA_EEEEEEE10hipError_tPvRmT3_T4_T5_T6_T7_T9_mT8_P12ihipStream_tbDpT10_ENKUlT_T0_E_clISt17integral_constantIbLb0EES1J_EEDaS1E_S1F_EUlS1E_E_NS1_11comp_targetILNS1_3genE2ELNS1_11target_archE906ELNS1_3gpuE6ELNS1_3repE0EEENS1_30default_config_static_selectorELNS0_4arch9wavefront6targetE0EEEvT1_.private_seg_size, 0
	.set _ZN7rocprim17ROCPRIM_400000_NS6detail17trampoline_kernelINS0_14default_configENS1_25partition_config_selectorILNS1_17partition_subalgoE6EN6thrust23THRUST_200600_302600_NS5tupleIyyNS7_9null_typeES9_S9_S9_S9_S9_S9_S9_EENS0_10empty_typeEbEEZZNS1_14partition_implILS5_6ELb0ES3_mNS7_12zip_iteratorINS8_INS7_6detail15normal_iteratorINS7_10device_ptrIyEEEESJ_S9_S9_S9_S9_S9_S9_S9_S9_EEEEPSB_SM_NS0_5tupleIJNSE_INS8_ISJ_NS7_16discard_iteratorINS7_11use_defaultEEES9_S9_S9_S9_S9_S9_S9_S9_EEEESB_EEENSN_IJSM_SM_EEESB_PlJNSF_9not_fun_tINSF_14equal_to_valueISA_EEEEEEE10hipError_tPvRmT3_T4_T5_T6_T7_T9_mT8_P12ihipStream_tbDpT10_ENKUlT_T0_E_clISt17integral_constantIbLb0EES1J_EEDaS1E_S1F_EUlS1E_E_NS1_11comp_targetILNS1_3genE2ELNS1_11target_archE906ELNS1_3gpuE6ELNS1_3repE0EEENS1_30default_config_static_selectorELNS0_4arch9wavefront6targetE0EEEvT1_.uses_vcc, 0
	.set _ZN7rocprim17ROCPRIM_400000_NS6detail17trampoline_kernelINS0_14default_configENS1_25partition_config_selectorILNS1_17partition_subalgoE6EN6thrust23THRUST_200600_302600_NS5tupleIyyNS7_9null_typeES9_S9_S9_S9_S9_S9_S9_EENS0_10empty_typeEbEEZZNS1_14partition_implILS5_6ELb0ES3_mNS7_12zip_iteratorINS8_INS7_6detail15normal_iteratorINS7_10device_ptrIyEEEESJ_S9_S9_S9_S9_S9_S9_S9_S9_EEEEPSB_SM_NS0_5tupleIJNSE_INS8_ISJ_NS7_16discard_iteratorINS7_11use_defaultEEES9_S9_S9_S9_S9_S9_S9_S9_EEEESB_EEENSN_IJSM_SM_EEESB_PlJNSF_9not_fun_tINSF_14equal_to_valueISA_EEEEEEE10hipError_tPvRmT3_T4_T5_T6_T7_T9_mT8_P12ihipStream_tbDpT10_ENKUlT_T0_E_clISt17integral_constantIbLb0EES1J_EEDaS1E_S1F_EUlS1E_E_NS1_11comp_targetILNS1_3genE2ELNS1_11target_archE906ELNS1_3gpuE6ELNS1_3repE0EEENS1_30default_config_static_selectorELNS0_4arch9wavefront6targetE0EEEvT1_.uses_flat_scratch, 0
	.set _ZN7rocprim17ROCPRIM_400000_NS6detail17trampoline_kernelINS0_14default_configENS1_25partition_config_selectorILNS1_17partition_subalgoE6EN6thrust23THRUST_200600_302600_NS5tupleIyyNS7_9null_typeES9_S9_S9_S9_S9_S9_S9_EENS0_10empty_typeEbEEZZNS1_14partition_implILS5_6ELb0ES3_mNS7_12zip_iteratorINS8_INS7_6detail15normal_iteratorINS7_10device_ptrIyEEEESJ_S9_S9_S9_S9_S9_S9_S9_S9_EEEEPSB_SM_NS0_5tupleIJNSE_INS8_ISJ_NS7_16discard_iteratorINS7_11use_defaultEEES9_S9_S9_S9_S9_S9_S9_S9_EEEESB_EEENSN_IJSM_SM_EEESB_PlJNSF_9not_fun_tINSF_14equal_to_valueISA_EEEEEEE10hipError_tPvRmT3_T4_T5_T6_T7_T9_mT8_P12ihipStream_tbDpT10_ENKUlT_T0_E_clISt17integral_constantIbLb0EES1J_EEDaS1E_S1F_EUlS1E_E_NS1_11comp_targetILNS1_3genE2ELNS1_11target_archE906ELNS1_3gpuE6ELNS1_3repE0EEENS1_30default_config_static_selectorELNS0_4arch9wavefront6targetE0EEEvT1_.has_dyn_sized_stack, 0
	.set _ZN7rocprim17ROCPRIM_400000_NS6detail17trampoline_kernelINS0_14default_configENS1_25partition_config_selectorILNS1_17partition_subalgoE6EN6thrust23THRUST_200600_302600_NS5tupleIyyNS7_9null_typeES9_S9_S9_S9_S9_S9_S9_EENS0_10empty_typeEbEEZZNS1_14partition_implILS5_6ELb0ES3_mNS7_12zip_iteratorINS8_INS7_6detail15normal_iteratorINS7_10device_ptrIyEEEESJ_S9_S9_S9_S9_S9_S9_S9_S9_EEEEPSB_SM_NS0_5tupleIJNSE_INS8_ISJ_NS7_16discard_iteratorINS7_11use_defaultEEES9_S9_S9_S9_S9_S9_S9_S9_EEEESB_EEENSN_IJSM_SM_EEESB_PlJNSF_9not_fun_tINSF_14equal_to_valueISA_EEEEEEE10hipError_tPvRmT3_T4_T5_T6_T7_T9_mT8_P12ihipStream_tbDpT10_ENKUlT_T0_E_clISt17integral_constantIbLb0EES1J_EEDaS1E_S1F_EUlS1E_E_NS1_11comp_targetILNS1_3genE2ELNS1_11target_archE906ELNS1_3gpuE6ELNS1_3repE0EEENS1_30default_config_static_selectorELNS0_4arch9wavefront6targetE0EEEvT1_.has_recursion, 0
	.set _ZN7rocprim17ROCPRIM_400000_NS6detail17trampoline_kernelINS0_14default_configENS1_25partition_config_selectorILNS1_17partition_subalgoE6EN6thrust23THRUST_200600_302600_NS5tupleIyyNS7_9null_typeES9_S9_S9_S9_S9_S9_S9_EENS0_10empty_typeEbEEZZNS1_14partition_implILS5_6ELb0ES3_mNS7_12zip_iteratorINS8_INS7_6detail15normal_iteratorINS7_10device_ptrIyEEEESJ_S9_S9_S9_S9_S9_S9_S9_S9_EEEEPSB_SM_NS0_5tupleIJNSE_INS8_ISJ_NS7_16discard_iteratorINS7_11use_defaultEEES9_S9_S9_S9_S9_S9_S9_S9_EEEESB_EEENSN_IJSM_SM_EEESB_PlJNSF_9not_fun_tINSF_14equal_to_valueISA_EEEEEEE10hipError_tPvRmT3_T4_T5_T6_T7_T9_mT8_P12ihipStream_tbDpT10_ENKUlT_T0_E_clISt17integral_constantIbLb0EES1J_EEDaS1E_S1F_EUlS1E_E_NS1_11comp_targetILNS1_3genE2ELNS1_11target_archE906ELNS1_3gpuE6ELNS1_3repE0EEENS1_30default_config_static_selectorELNS0_4arch9wavefront6targetE0EEEvT1_.has_indirect_call, 0
	.section	.AMDGPU.csdata,"",@progbits
; Kernel info:
; codeLenInByte = 0
; TotalNumSgprs: 0
; NumVgprs: 0
; ScratchSize: 0
; MemoryBound: 0
; FloatMode: 240
; IeeeMode: 1
; LDSByteSize: 0 bytes/workgroup (compile time only)
; SGPRBlocks: 0
; VGPRBlocks: 0
; NumSGPRsForWavesPerEU: 1
; NumVGPRsForWavesPerEU: 1
; Occupancy: 16
; WaveLimiterHint : 0
; COMPUTE_PGM_RSRC2:SCRATCH_EN: 0
; COMPUTE_PGM_RSRC2:USER_SGPR: 2
; COMPUTE_PGM_RSRC2:TRAP_HANDLER: 0
; COMPUTE_PGM_RSRC2:TGID_X_EN: 1
; COMPUTE_PGM_RSRC2:TGID_Y_EN: 0
; COMPUTE_PGM_RSRC2:TGID_Z_EN: 0
; COMPUTE_PGM_RSRC2:TIDIG_COMP_CNT: 0
	.section	.text._ZN7rocprim17ROCPRIM_400000_NS6detail17trampoline_kernelINS0_14default_configENS1_25partition_config_selectorILNS1_17partition_subalgoE6EN6thrust23THRUST_200600_302600_NS5tupleIyyNS7_9null_typeES9_S9_S9_S9_S9_S9_S9_EENS0_10empty_typeEbEEZZNS1_14partition_implILS5_6ELb0ES3_mNS7_12zip_iteratorINS8_INS7_6detail15normal_iteratorINS7_10device_ptrIyEEEESJ_S9_S9_S9_S9_S9_S9_S9_S9_EEEEPSB_SM_NS0_5tupleIJNSE_INS8_ISJ_NS7_16discard_iteratorINS7_11use_defaultEEES9_S9_S9_S9_S9_S9_S9_S9_EEEESB_EEENSN_IJSM_SM_EEESB_PlJNSF_9not_fun_tINSF_14equal_to_valueISA_EEEEEEE10hipError_tPvRmT3_T4_T5_T6_T7_T9_mT8_P12ihipStream_tbDpT10_ENKUlT_T0_E_clISt17integral_constantIbLb0EES1J_EEDaS1E_S1F_EUlS1E_E_NS1_11comp_targetILNS1_3genE10ELNS1_11target_archE1200ELNS1_3gpuE4ELNS1_3repE0EEENS1_30default_config_static_selectorELNS0_4arch9wavefront6targetE0EEEvT1_,"axG",@progbits,_ZN7rocprim17ROCPRIM_400000_NS6detail17trampoline_kernelINS0_14default_configENS1_25partition_config_selectorILNS1_17partition_subalgoE6EN6thrust23THRUST_200600_302600_NS5tupleIyyNS7_9null_typeES9_S9_S9_S9_S9_S9_S9_EENS0_10empty_typeEbEEZZNS1_14partition_implILS5_6ELb0ES3_mNS7_12zip_iteratorINS8_INS7_6detail15normal_iteratorINS7_10device_ptrIyEEEESJ_S9_S9_S9_S9_S9_S9_S9_S9_EEEEPSB_SM_NS0_5tupleIJNSE_INS8_ISJ_NS7_16discard_iteratorINS7_11use_defaultEEES9_S9_S9_S9_S9_S9_S9_S9_EEEESB_EEENSN_IJSM_SM_EEESB_PlJNSF_9not_fun_tINSF_14equal_to_valueISA_EEEEEEE10hipError_tPvRmT3_T4_T5_T6_T7_T9_mT8_P12ihipStream_tbDpT10_ENKUlT_T0_E_clISt17integral_constantIbLb0EES1J_EEDaS1E_S1F_EUlS1E_E_NS1_11comp_targetILNS1_3genE10ELNS1_11target_archE1200ELNS1_3gpuE4ELNS1_3repE0EEENS1_30default_config_static_selectorELNS0_4arch9wavefront6targetE0EEEvT1_,comdat
	.protected	_ZN7rocprim17ROCPRIM_400000_NS6detail17trampoline_kernelINS0_14default_configENS1_25partition_config_selectorILNS1_17partition_subalgoE6EN6thrust23THRUST_200600_302600_NS5tupleIyyNS7_9null_typeES9_S9_S9_S9_S9_S9_S9_EENS0_10empty_typeEbEEZZNS1_14partition_implILS5_6ELb0ES3_mNS7_12zip_iteratorINS8_INS7_6detail15normal_iteratorINS7_10device_ptrIyEEEESJ_S9_S9_S9_S9_S9_S9_S9_S9_EEEEPSB_SM_NS0_5tupleIJNSE_INS8_ISJ_NS7_16discard_iteratorINS7_11use_defaultEEES9_S9_S9_S9_S9_S9_S9_S9_EEEESB_EEENSN_IJSM_SM_EEESB_PlJNSF_9not_fun_tINSF_14equal_to_valueISA_EEEEEEE10hipError_tPvRmT3_T4_T5_T6_T7_T9_mT8_P12ihipStream_tbDpT10_ENKUlT_T0_E_clISt17integral_constantIbLb0EES1J_EEDaS1E_S1F_EUlS1E_E_NS1_11comp_targetILNS1_3genE10ELNS1_11target_archE1200ELNS1_3gpuE4ELNS1_3repE0EEENS1_30default_config_static_selectorELNS0_4arch9wavefront6targetE0EEEvT1_ ; -- Begin function _ZN7rocprim17ROCPRIM_400000_NS6detail17trampoline_kernelINS0_14default_configENS1_25partition_config_selectorILNS1_17partition_subalgoE6EN6thrust23THRUST_200600_302600_NS5tupleIyyNS7_9null_typeES9_S9_S9_S9_S9_S9_S9_EENS0_10empty_typeEbEEZZNS1_14partition_implILS5_6ELb0ES3_mNS7_12zip_iteratorINS8_INS7_6detail15normal_iteratorINS7_10device_ptrIyEEEESJ_S9_S9_S9_S9_S9_S9_S9_S9_EEEEPSB_SM_NS0_5tupleIJNSE_INS8_ISJ_NS7_16discard_iteratorINS7_11use_defaultEEES9_S9_S9_S9_S9_S9_S9_S9_EEEESB_EEENSN_IJSM_SM_EEESB_PlJNSF_9not_fun_tINSF_14equal_to_valueISA_EEEEEEE10hipError_tPvRmT3_T4_T5_T6_T7_T9_mT8_P12ihipStream_tbDpT10_ENKUlT_T0_E_clISt17integral_constantIbLb0EES1J_EEDaS1E_S1F_EUlS1E_E_NS1_11comp_targetILNS1_3genE10ELNS1_11target_archE1200ELNS1_3gpuE4ELNS1_3repE0EEENS1_30default_config_static_selectorELNS0_4arch9wavefront6targetE0EEEvT1_
	.globl	_ZN7rocprim17ROCPRIM_400000_NS6detail17trampoline_kernelINS0_14default_configENS1_25partition_config_selectorILNS1_17partition_subalgoE6EN6thrust23THRUST_200600_302600_NS5tupleIyyNS7_9null_typeES9_S9_S9_S9_S9_S9_S9_EENS0_10empty_typeEbEEZZNS1_14partition_implILS5_6ELb0ES3_mNS7_12zip_iteratorINS8_INS7_6detail15normal_iteratorINS7_10device_ptrIyEEEESJ_S9_S9_S9_S9_S9_S9_S9_S9_EEEEPSB_SM_NS0_5tupleIJNSE_INS8_ISJ_NS7_16discard_iteratorINS7_11use_defaultEEES9_S9_S9_S9_S9_S9_S9_S9_EEEESB_EEENSN_IJSM_SM_EEESB_PlJNSF_9not_fun_tINSF_14equal_to_valueISA_EEEEEEE10hipError_tPvRmT3_T4_T5_T6_T7_T9_mT8_P12ihipStream_tbDpT10_ENKUlT_T0_E_clISt17integral_constantIbLb0EES1J_EEDaS1E_S1F_EUlS1E_E_NS1_11comp_targetILNS1_3genE10ELNS1_11target_archE1200ELNS1_3gpuE4ELNS1_3repE0EEENS1_30default_config_static_selectorELNS0_4arch9wavefront6targetE0EEEvT1_
	.p2align	8
	.type	_ZN7rocprim17ROCPRIM_400000_NS6detail17trampoline_kernelINS0_14default_configENS1_25partition_config_selectorILNS1_17partition_subalgoE6EN6thrust23THRUST_200600_302600_NS5tupleIyyNS7_9null_typeES9_S9_S9_S9_S9_S9_S9_EENS0_10empty_typeEbEEZZNS1_14partition_implILS5_6ELb0ES3_mNS7_12zip_iteratorINS8_INS7_6detail15normal_iteratorINS7_10device_ptrIyEEEESJ_S9_S9_S9_S9_S9_S9_S9_S9_EEEEPSB_SM_NS0_5tupleIJNSE_INS8_ISJ_NS7_16discard_iteratorINS7_11use_defaultEEES9_S9_S9_S9_S9_S9_S9_S9_EEEESB_EEENSN_IJSM_SM_EEESB_PlJNSF_9not_fun_tINSF_14equal_to_valueISA_EEEEEEE10hipError_tPvRmT3_T4_T5_T6_T7_T9_mT8_P12ihipStream_tbDpT10_ENKUlT_T0_E_clISt17integral_constantIbLb0EES1J_EEDaS1E_S1F_EUlS1E_E_NS1_11comp_targetILNS1_3genE10ELNS1_11target_archE1200ELNS1_3gpuE4ELNS1_3repE0EEENS1_30default_config_static_selectorELNS0_4arch9wavefront6targetE0EEEvT1_,@function
_ZN7rocprim17ROCPRIM_400000_NS6detail17trampoline_kernelINS0_14default_configENS1_25partition_config_selectorILNS1_17partition_subalgoE6EN6thrust23THRUST_200600_302600_NS5tupleIyyNS7_9null_typeES9_S9_S9_S9_S9_S9_S9_EENS0_10empty_typeEbEEZZNS1_14partition_implILS5_6ELb0ES3_mNS7_12zip_iteratorINS8_INS7_6detail15normal_iteratorINS7_10device_ptrIyEEEESJ_S9_S9_S9_S9_S9_S9_S9_S9_EEEEPSB_SM_NS0_5tupleIJNSE_INS8_ISJ_NS7_16discard_iteratorINS7_11use_defaultEEES9_S9_S9_S9_S9_S9_S9_S9_EEEESB_EEENSN_IJSM_SM_EEESB_PlJNSF_9not_fun_tINSF_14equal_to_valueISA_EEEEEEE10hipError_tPvRmT3_T4_T5_T6_T7_T9_mT8_P12ihipStream_tbDpT10_ENKUlT_T0_E_clISt17integral_constantIbLb0EES1J_EEDaS1E_S1F_EUlS1E_E_NS1_11comp_targetILNS1_3genE10ELNS1_11target_archE1200ELNS1_3gpuE4ELNS1_3repE0EEENS1_30default_config_static_selectorELNS0_4arch9wavefront6targetE0EEEvT1_: ; @_ZN7rocprim17ROCPRIM_400000_NS6detail17trampoline_kernelINS0_14default_configENS1_25partition_config_selectorILNS1_17partition_subalgoE6EN6thrust23THRUST_200600_302600_NS5tupleIyyNS7_9null_typeES9_S9_S9_S9_S9_S9_S9_EENS0_10empty_typeEbEEZZNS1_14partition_implILS5_6ELb0ES3_mNS7_12zip_iteratorINS8_INS7_6detail15normal_iteratorINS7_10device_ptrIyEEEESJ_S9_S9_S9_S9_S9_S9_S9_S9_EEEEPSB_SM_NS0_5tupleIJNSE_INS8_ISJ_NS7_16discard_iteratorINS7_11use_defaultEEES9_S9_S9_S9_S9_S9_S9_S9_EEEESB_EEENSN_IJSM_SM_EEESB_PlJNSF_9not_fun_tINSF_14equal_to_valueISA_EEEEEEE10hipError_tPvRmT3_T4_T5_T6_T7_T9_mT8_P12ihipStream_tbDpT10_ENKUlT_T0_E_clISt17integral_constantIbLb0EES1J_EEDaS1E_S1F_EUlS1E_E_NS1_11comp_targetILNS1_3genE10ELNS1_11target_archE1200ELNS1_3gpuE4ELNS1_3repE0EEENS1_30default_config_static_selectorELNS0_4arch9wavefront6targetE0EEEvT1_
; %bb.0:
	s_clause 0x4
	s_load_b64 s[2:3], s[0:1], 0x18
	s_load_b128 s[8:11], s[0:1], 0x58
	s_load_b32 s14, s[0:1], 0x80
	s_load_b128 s[4:7], s[0:1], 0x8
	s_load_b64 s[12:13], s[0:1], 0x68
	s_mov_b32 s15, 0
	v_lshlrev_b32_e32 v13, 4, v0
	s_wait_kmcnt 0x0
	s_lshl_b64 s[16:17], s[2:3], 3
	s_load_b64 s[10:11], s[10:11], 0x0
	s_add_co_i32 s20, s14, -1
	s_mulk_i32 s14, 0x300
	s_add_nc_u64 s[18:19], s[6:7], s[16:17]
	s_add_nc_u64 s[6:7], s[2:3], s[14:15]
	s_add_co_i32 s2, s14, s2
	v_cmp_le_u64_e64 s3, s[12:13], s[6:7]
	s_sub_co_i32 s7, s12, s2
	s_cmp_eq_u32 ttmp9, s20
	s_add_nc_u64 s[4:5], s[4:5], s[16:17]
	s_cselect_b32 s16, -1, 0
	s_mul_i32 s14, ttmp9, 0x300
	s_and_b32 s2, s16, s3
	s_lshl_b64 s[12:13], s[14:15], 3
	s_xor_b32 s17, s2, -1
	s_mov_b32 s6, -1
	s_wait_alu 0xfffe
	s_add_nc_u64 s[2:3], s[4:5], s[12:13]
	s_and_b32 vcc_lo, exec_lo, s17
	s_add_nc_u64 s[4:5], s[18:19], s[12:13]
	s_cbranch_vccz .LBB1890_2
; %bb.1:
	v_lshlrev_b32_e32 v11, 3, v0
	s_mov_b32 s6, 0
	s_clause 0x5
	global_load_b64 v[1:2], v11, s[2:3]
	global_load_b64 v[3:4], v11, s[4:5]
	global_load_b64 v[5:6], v11, s[2:3] offset:2048
	global_load_b64 v[9:10], v11, s[2:3] offset:4096
	;; [unrolled: 1-line block ×4, first 2 shown]
	s_wait_loadcnt 0x4
	ds_store_b128 v13, v[1:4]
	s_wait_loadcnt 0x1
	ds_store_b128 v13, v[5:8] offset:4096
	s_wait_loadcnt 0x0
	ds_store_b128 v13, v[9:12] offset:8192
	s_wait_dscnt 0x0
	s_barrier_signal -1
	s_barrier_wait -1
.LBB1890_2:
	s_load_b128 s[12:15], s[0:1], 0x88
	s_and_not1_b32 vcc_lo, exec_lo, s6
	s_addk_co_i32 s7, 0x300
	s_cbranch_vccnz .LBB1890_10
; %bb.3:
	v_mov_b32_e32 v3, 0
	v_dual_mov_b32 v4, 0 :: v_dual_mov_b32 v7, 0
	v_dual_mov_b32 v5, 0 :: v_dual_mov_b32 v8, 0
	v_mov_b32_e32 v6, 0
	s_mov_b32 s6, exec_lo
	s_wait_alu 0xfffe
	v_cmpx_gt_u32_e64 s7, v0
	s_cbranch_execz .LBB1890_5
; %bb.4:
	v_lshlrev_b32_e32 v1, 3, v0
	s_clause 0x1
	global_load_b64 v[5:6], v1, s[2:3]
	global_load_b64 v[7:8], v1, s[4:5]
.LBB1890_5:
	s_or_b32 exec_lo, exec_lo, s6
	v_mov_b32_e32 v1, 0
	v_or_b32_e32 v9, 0x100, v0
	v_mov_b32_e32 v2, 0
	s_mov_b32 s6, exec_lo
	s_delay_alu instid0(VALU_DEP_2)
	v_cmpx_gt_u32_e64 s7, v9
	s_cbranch_execz .LBB1890_7
; %bb.6:
	v_lshlrev_b32_e32 v3, 3, v0
	s_clause 0x1
	global_load_b64 v[1:2], v3, s[2:3] offset:2048
	global_load_b64 v[3:4], v3, s[4:5] offset:2048
.LBB1890_7:
	s_wait_alu 0xfffe
	s_or_b32 exec_lo, exec_lo, s6
	v_mov_b32_e32 v11, 0
	v_dual_mov_b32 v12, 0 :: v_dual_mov_b32 v9, 0
	v_or_b32_e32 v14, 0x200, v0
	v_mov_b32_e32 v10, 0
	s_mov_b32 s6, exec_lo
	s_delay_alu instid0(VALU_DEP_2)
	v_cmpx_gt_u32_e64 s7, v14
	s_cbranch_execz .LBB1890_9
; %bb.8:
	v_lshlrev_b32_e32 v11, 3, v0
	s_clause 0x1
	global_load_b64 v[9:10], v11, s[2:3] offset:4096
	global_load_b64 v[11:12], v11, s[4:5] offset:4096
.LBB1890_9:
	s_wait_alu 0xfffe
	s_or_b32 exec_lo, exec_lo, s6
	s_wait_loadcnt 0x0
	ds_store_b128 v13, v[5:8]
	ds_store_b128 v13, v[1:4] offset:4096
	ds_store_b128 v13, v[9:12] offset:8192
	s_wait_dscnt 0x0
	s_barrier_signal -1
	s_barrier_wait -1
.LBB1890_10:
	v_mul_u32_u24_e32 v13, 3, v0
	global_inv scope:SCOPE_SE
	s_and_not1_b32 vcc_lo, exec_lo, s17
	v_lshlrev_b32_e32 v31, 4, v13
	ds_load_b128 v[1:4], v31 offset:32
	ds_load_b128 v[9:12], v31
	ds_load_b128 v[5:8], v31 offset:16
	s_wait_loadcnt_dscnt 0x0
	s_barrier_signal -1
	s_barrier_wait -1
	global_inv scope:SCOPE_SE
	s_wait_kmcnt 0x0
	v_cmp_ne_u64_e64 s2, s[12:13], v[1:2]
	v_cmp_ne_u64_e64 s3, s[14:15], v[3:4]
	s_cbranch_vccnz .LBB1890_12
; %bb.11:
	v_cmp_ne_u64_e32 vcc_lo, s[12:13], v[5:6]
	v_cmp_ne_u64_e64 s4, s[14:15], v[7:8]
	v_cmp_ne_u64_e64 s5, s[12:13], v[9:10]
	;; [unrolled: 1-line block ×3, first 2 shown]
	s_or_b32 s18, s2, s3
	s_or_b32 s4, vcc_lo, s4
	s_delay_alu instid0(SALU_CYCLE_1)
	v_cndmask_b32_e64 v29, 0, 1, s4
	s_or_b32 s4, s5, s6
	s_wait_alu 0xfffe
	v_cndmask_b32_e64 v30, 0, 1, s4
	s_cbranch_execz .LBB1890_13
	s_branch .LBB1890_14
.LBB1890_12:
                                        ; implicit-def: $sgpr18
                                        ; implicit-def: $vgpr30
                                        ; implicit-def: $vgpr29
.LBB1890_13:
	v_add_nc_u32_e32 v14, 1, v13
	v_cmp_ne_u64_e32 vcc_lo, s[12:13], v[5:6]
	v_cmp_ne_u64_e64 s2, s[14:15], v[7:8]
	v_cmp_ne_u64_e64 s3, s[12:13], v[9:10]
	;; [unrolled: 1-line block ×3, first 2 shown]
	s_wait_alu 0xfffe
	v_cmp_gt_u32_e64 s4, s7, v14
	v_cmp_gt_u32_e64 s6, s7, v13
	v_add_nc_u32_e32 v13, 2, v13
	s_or_b32 s2, vcc_lo, s2
	v_cmp_ne_u64_e32 vcc_lo, s[12:13], v[1:2]
	s_and_b32 s2, s4, s2
	s_or_b32 s3, s3, s5
	v_cndmask_b32_e64 v29, 0, 1, s2
	v_cmp_ne_u64_e64 s2, s[14:15], v[3:4]
	s_and_b32 s3, s6, s3
	v_cmp_gt_u32_e64 s4, s7, v13
	s_wait_alu 0xfffe
	v_cndmask_b32_e64 v14, 0, 1, s3
	v_lshlrev_b16 v13, 8, v29
	s_and_not1_b32 s3, s18, exec_lo
	s_or_b32 s2, vcc_lo, s2
	s_wait_alu 0xfffe
	s_and_b32 s2, s4, s2
	v_or_b32_e32 v30, v14, v13
	s_wait_alu 0xfffe
	s_and_b32 s2, s2, exec_lo
	s_wait_alu 0xfffe
	s_or_b32 s18, s3, s2
.LBB1890_14:
	s_load_b64 s[6:7], s[0:1], 0x78
	v_mbcnt_lo_u32_b32 v34, -1, 0
	v_dual_mov_b32 v22, 0 :: v_dual_and_b32 v33, 0xff, v30
	v_and_b32_e32 v32, 0xff, v29
	v_cndmask_b32_e64 v13, 0, 1, s18
	s_delay_alu instid0(VALU_DEP_4) | instskip(SKIP_2) | instid1(VALU_DEP_2)
	v_and_b32_e32 v35, 15, v34
	s_cmp_lg_u32 ttmp9, 0
	s_mov_b32 s3, -1
	v_add3_u32 v21, v33, v13, v32
	s_delay_alu instid0(VALU_DEP_2)
	v_cmp_ne_u32_e64 s2, 0, v35
	s_cbranch_scc0 .LBB1890_71
; %bb.15:
	v_mov_b32_dpp v13, v21 row_shr:1 row_mask:0xf bank_mask:0xf
	v_mov_b32_dpp v18, v22 row_shr:1 row_mask:0xf bank_mask:0xf
	v_dual_mov_b32 v17, v21 :: v_dual_mov_b32 v14, v22
	v_dual_mov_b32 v15, v21 :: v_dual_mov_b32 v16, v22
	s_and_saveexec_b32 s3, s2
; %bb.16:
	v_add_co_u32 v17, s4, v21, v13
	s_wait_alu 0xf1ff
	v_add_co_ci_u32_e64 v14, null, 0, 0, s4
	s_delay_alu instid0(VALU_DEP_2) | instskip(NEXT) | instid1(VALU_DEP_1)
	v_add_co_u32 v13, vcc_lo, 0, v17
	v_add_co_ci_u32_e64 v14, null, v18, v14, vcc_lo
	s_delay_alu instid0(VALU_DEP_1)
	v_dual_mov_b32 v16, v14 :: v_dual_mov_b32 v15, v13
; %bb.17:
	s_wait_alu 0xfffe
	s_or_b32 exec_lo, exec_lo, s3
	v_mov_b32_dpp v13, v17 row_shr:2 row_mask:0xf bank_mask:0xf
	v_mov_b32_dpp v18, v14 row_shr:2 row_mask:0xf bank_mask:0xf
	s_mov_b32 s3, exec_lo
	v_cmpx_lt_u32_e32 1, v35
; %bb.18:
	s_delay_alu instid0(VALU_DEP_3) | instskip(SKIP_2) | instid1(VALU_DEP_2)
	v_add_co_u32 v17, vcc_lo, v15, v13
	s_wait_alu 0xfffd
	v_add_co_ci_u32_e64 v14, null, 0, v16, vcc_lo
	v_add_co_u32 v13, vcc_lo, 0, v17
	s_wait_alu 0xfffd
	s_delay_alu instid0(VALU_DEP_2) | instskip(NEXT) | instid1(VALU_DEP_1)
	v_add_co_ci_u32_e64 v14, null, v18, v14, vcc_lo
	v_dual_mov_b32 v16, v14 :: v_dual_mov_b32 v15, v13
; %bb.19:
	s_wait_alu 0xfffe
	s_or_b32 exec_lo, exec_lo, s3
	v_mov_b32_dpp v13, v17 row_shr:4 row_mask:0xf bank_mask:0xf
	v_mov_b32_dpp v18, v14 row_shr:4 row_mask:0xf bank_mask:0xf
	s_mov_b32 s3, exec_lo
	v_cmpx_lt_u32_e32 3, v35
; %bb.20:
	s_delay_alu instid0(VALU_DEP_3) | instskip(SKIP_2) | instid1(VALU_DEP_2)
	v_add_co_u32 v17, vcc_lo, v15, v13
	s_wait_alu 0xfffd
	v_add_co_ci_u32_e64 v14, null, 0, v16, vcc_lo
	v_add_co_u32 v13, vcc_lo, 0, v17
	s_wait_alu 0xfffd
	s_delay_alu instid0(VALU_DEP_2) | instskip(NEXT) | instid1(VALU_DEP_1)
	v_add_co_ci_u32_e64 v14, null, v18, v14, vcc_lo
	;; [unrolled: 17-line block ×3, first 2 shown]
	v_mov_b32_e32 v14, v16
; %bb.23:
	s_wait_alu 0xfffe
	s_or_b32 exec_lo, exec_lo, s3
	ds_swizzle_b32 v13, v17 offset:swizzle(BROADCAST,32,15)
	ds_swizzle_b32 v18, v14 offset:swizzle(BROADCAST,32,15)
	v_and_b32_e32 v19, 16, v34
	s_mov_b32 s3, exec_lo
	s_delay_alu instid0(VALU_DEP_1)
	v_cmpx_ne_u32_e32 0, v19
	s_cbranch_execz .LBB1890_25
; %bb.24:
	s_wait_dscnt 0x1
	v_add_co_u32 v17, vcc_lo, v15, v13
	s_wait_alu 0xfffd
	v_add_co_ci_u32_e64 v14, null, 0, v16, vcc_lo
	s_delay_alu instid0(VALU_DEP_2) | instskip(SKIP_2) | instid1(VALU_DEP_2)
	v_add_co_u32 v13, vcc_lo, 0, v17
	s_wait_dscnt 0x0
	s_wait_alu 0xfffd
	v_add_co_ci_u32_e64 v14, null, v18, v14, vcc_lo
	s_delay_alu instid0(VALU_DEP_1)
	v_dual_mov_b32 v16, v14 :: v_dual_mov_b32 v15, v13
.LBB1890_25:
	s_wait_alu 0xfffe
	s_or_b32 exec_lo, exec_lo, s3
	s_wait_dscnt 0x0
	v_or_b32_e32 v18, 31, v0
	v_lshrrev_b32_e32 v13, 5, v0
	s_mov_b32 s3, exec_lo
	s_delay_alu instid0(VALU_DEP_2)
	v_cmpx_eq_u32_e64 v0, v18
; %bb.26:
	s_delay_alu instid0(VALU_DEP_2)
	v_lshlrev_b32_e32 v18, 3, v13
	ds_store_b64 v18, v[15:16]
; %bb.27:
	s_wait_alu 0xfffe
	s_or_b32 exec_lo, exec_lo, s3
	s_delay_alu instid0(SALU_CYCLE_1)
	s_mov_b32 s3, exec_lo
	s_wait_loadcnt_dscnt 0x0
	s_barrier_signal -1
	s_barrier_wait -1
	global_inv scope:SCOPE_SE
	v_cmpx_gt_u32_e32 8, v0
	s_cbranch_execz .LBB1890_35
; %bb.28:
	v_lshlrev_b32_e32 v18, 3, v0
	s_mov_b32 s4, exec_lo
	ds_load_b64 v[15:16], v18
	s_wait_dscnt 0x0
	v_dual_mov_b32 v20, v15 :: v_dual_and_b32 v19, 7, v34
	v_mov_b32_dpp v24, v15 row_shr:1 row_mask:0xf bank_mask:0xf
	v_mov_b32_dpp v23, v16 row_shr:1 row_mask:0xf bank_mask:0xf
	s_delay_alu instid0(VALU_DEP_3)
	v_cmpx_ne_u32_e32 0, v19
; %bb.29:
	s_delay_alu instid0(VALU_DEP_3) | instskip(SKIP_2) | instid1(VALU_DEP_2)
	v_add_co_u32 v20, vcc_lo, v15, v24
	s_wait_alu 0xfffd
	v_add_co_ci_u32_e64 v16, null, 0, v16, vcc_lo
	v_add_co_u32 v15, vcc_lo, 0, v20
	s_wait_alu 0xfffd
	s_delay_alu instid0(VALU_DEP_2)
	v_add_co_ci_u32_e64 v16, null, v23, v16, vcc_lo
; %bb.30:
	s_wait_alu 0xfffe
	s_or_b32 exec_lo, exec_lo, s4
	v_mov_b32_dpp v24, v20 row_shr:2 row_mask:0xf bank_mask:0xf
	s_delay_alu instid0(VALU_DEP_2)
	v_mov_b32_dpp v23, v16 row_shr:2 row_mask:0xf bank_mask:0xf
	s_mov_b32 s4, exec_lo
	v_cmpx_lt_u32_e32 1, v19
; %bb.31:
	s_delay_alu instid0(VALU_DEP_3) | instskip(SKIP_2) | instid1(VALU_DEP_2)
	v_add_co_u32 v20, vcc_lo, v15, v24
	s_wait_alu 0xfffd
	v_add_co_ci_u32_e64 v16, null, 0, v16, vcc_lo
	v_add_co_u32 v15, vcc_lo, 0, v20
	s_wait_alu 0xfffd
	s_delay_alu instid0(VALU_DEP_2)
	v_add_co_ci_u32_e64 v16, null, v23, v16, vcc_lo
; %bb.32:
	s_wait_alu 0xfffe
	s_or_b32 exec_lo, exec_lo, s4
	v_mov_b32_dpp v23, v20 row_shr:4 row_mask:0xf bank_mask:0xf
	s_delay_alu instid0(VALU_DEP_2)
	v_mov_b32_dpp v20, v16 row_shr:4 row_mask:0xf bank_mask:0xf
	s_mov_b32 s4, exec_lo
	v_cmpx_lt_u32_e32 3, v19
; %bb.33:
	s_delay_alu instid0(VALU_DEP_3) | instskip(SKIP_2) | instid1(VALU_DEP_2)
	v_add_co_u32 v15, vcc_lo, v15, v23
	s_wait_alu 0xfffd
	v_add_co_ci_u32_e64 v16, null, 0, v16, vcc_lo
	v_add_co_u32 v15, vcc_lo, v15, 0
	s_wait_alu 0xfffd
	s_delay_alu instid0(VALU_DEP_2)
	v_add_co_ci_u32_e64 v16, null, v16, v20, vcc_lo
; %bb.34:
	s_wait_alu 0xfffe
	s_or_b32 exec_lo, exec_lo, s4
	ds_store_b64 v18, v[15:16]
.LBB1890_35:
	s_wait_alu 0xfffe
	s_or_b32 exec_lo, exec_lo, s3
	s_delay_alu instid0(SALU_CYCLE_1)
	s_mov_b32 s4, exec_lo
	v_cmp_gt_u32_e32 vcc_lo, 32, v0
	s_wait_loadcnt_dscnt 0x0
	s_barrier_signal -1
	s_barrier_wait -1
	global_inv scope:SCOPE_SE
                                        ; implicit-def: $vgpr23_vgpr24
	v_cmpx_lt_u32_e32 31, v0
	s_cbranch_execz .LBB1890_37
; %bb.36:
	v_lshl_add_u32 v13, v13, 3, -8
	ds_load_b64 v[23:24], v13
	s_wait_dscnt 0x0
	v_add_co_u32 v17, s3, v17, v23
	s_wait_alu 0xf1ff
	v_add_co_ci_u32_e64 v14, null, v14, v24, s3
.LBB1890_37:
	s_wait_alu 0xfffe
	s_or_b32 exec_lo, exec_lo, s4
	v_sub_co_u32 v13, s3, v34, 1
	s_delay_alu instid0(VALU_DEP_1) | instskip(SKIP_1) | instid1(VALU_DEP_1)
	v_cmp_gt_i32_e64 s4, 0, v13
	s_wait_alu 0xf1ff
	v_cndmask_b32_e64 v13, v13, v34, s4
	s_delay_alu instid0(VALU_DEP_1)
	v_lshlrev_b32_e32 v13, 2, v13
	ds_bpermute_b32 v36, v13, v17
	ds_bpermute_b32 v37, v13, v14
	s_and_saveexec_b32 s4, vcc_lo
	s_cbranch_execz .LBB1890_76
; %bb.38:
	v_mov_b32_e32 v16, 0
	ds_load_b64 v[13:14], v16 offset:56
	s_and_saveexec_b32 s5, s3
	s_cbranch_execz .LBB1890_40
; %bb.39:
	s_add_co_i32 s12, ttmp9, 32
	s_mov_b32 s13, 0
	s_wait_alu 0xfffe
	s_lshl_b64 s[12:13], s[12:13], 4
	s_wait_kmcnt 0x0
	s_wait_alu 0xfffe
	s_add_nc_u64 s[12:13], s[6:7], s[12:13]
	s_wait_alu 0xfffe
	v_dual_mov_b32 v15, 1 :: v_dual_mov_b32 v18, s13
	v_mov_b32_e32 v17, s12
	s_wait_dscnt 0x0
	;;#ASMSTART
	global_store_b128 v[17:18], v[13:16] off scope:SCOPE_DEV	
s_wait_storecnt 0x0
	;;#ASMEND
.LBB1890_40:
	s_wait_alu 0xfffe
	s_or_b32 exec_lo, exec_lo, s5
	v_xad_u32 v25, v34, -1, ttmp9
	s_mov_b32 s12, 0
	s_mov_b32 s5, exec_lo
	s_delay_alu instid0(VALU_DEP_1) | instskip(NEXT) | instid1(VALU_DEP_1)
	v_add_nc_u32_e32 v15, 32, v25
	v_lshlrev_b64_e32 v[15:16], 4, v[15:16]
	s_wait_kmcnt 0x0
	s_delay_alu instid0(VALU_DEP_1) | instskip(SKIP_1) | instid1(VALU_DEP_2)
	v_add_co_u32 v15, vcc_lo, s6, v15
	s_wait_alu 0xfffd
	v_add_co_ci_u32_e64 v16, null, s7, v16, vcc_lo
	;;#ASMSTART
	global_load_b128 v[17:20], v[15:16] off scope:SCOPE_DEV	
s_wait_loadcnt 0x0
	;;#ASMEND
	v_and_b32_e32 v20, 0xff, v19
	s_delay_alu instid0(VALU_DEP_1)
	v_cmpx_eq_u16_e32 0, v20
	s_cbranch_execz .LBB1890_43
.LBB1890_41:                            ; =>This Inner Loop Header: Depth=1
	;;#ASMSTART
	global_load_b128 v[17:20], v[15:16] off scope:SCOPE_DEV	
s_wait_loadcnt 0x0
	;;#ASMEND
	v_and_b32_e32 v20, 0xff, v19
	s_delay_alu instid0(VALU_DEP_1)
	v_cmp_ne_u16_e32 vcc_lo, 0, v20
	s_wait_alu 0xfffe
	s_or_b32 s12, vcc_lo, s12
	s_wait_alu 0xfffe
	s_and_not1_b32 exec_lo, exec_lo, s12
	s_cbranch_execnz .LBB1890_41
; %bb.42:
	s_or_b32 exec_lo, exec_lo, s12
.LBB1890_43:
	s_wait_alu 0xfffe
	s_or_b32 exec_lo, exec_lo, s5
	v_cmp_ne_u32_e32 vcc_lo, 31, v34
	v_and_b32_e32 v16, 0xff, v19
	v_lshlrev_b32_e64 v39, v34, -1
	s_mov_b32 s5, exec_lo
	s_wait_alu 0xfffd
	v_add_co_ci_u32_e64 v15, null, 0, v34, vcc_lo
	v_cmp_eq_u16_e32 vcc_lo, 2, v16
	v_mov_b32_e32 v16, v17
	s_delay_alu instid0(VALU_DEP_3)
	v_lshlrev_b32_e32 v38, 2, v15
	s_wait_alu 0xfffd
	v_and_or_b32 v15, vcc_lo, v39, 0x80000000
	ds_bpermute_b32 v26, v38, v17
	ds_bpermute_b32 v20, v38, v18
	v_ctz_i32_b32_e32 v15, v15
	s_delay_alu instid0(VALU_DEP_1)
	v_cmpx_lt_u32_e64 v34, v15
	s_cbranch_execz .LBB1890_45
; %bb.44:
	s_wait_dscnt 0x1
	v_add_co_u32 v16, vcc_lo, v17, v26
	s_wait_alu 0xfffd
	v_add_co_ci_u32_e64 v18, null, 0, v18, vcc_lo
	s_delay_alu instid0(VALU_DEP_2) | instskip(SKIP_2) | instid1(VALU_DEP_2)
	v_add_co_u32 v17, vcc_lo, 0, v16
	s_wait_dscnt 0x0
	s_wait_alu 0xfffd
	v_add_co_ci_u32_e64 v18, null, v20, v18, vcc_lo
.LBB1890_45:
	s_wait_alu 0xfffe
	s_or_b32 exec_lo, exec_lo, s5
	v_cmp_gt_u32_e32 vcc_lo, 30, v34
	v_add_nc_u32_e32 v41, 2, v34
	s_mov_b32 s5, exec_lo
	s_wait_dscnt 0x0
	s_wait_alu 0xfffd
	v_cndmask_b32_e64 v20, 0, 2, vcc_lo
	s_delay_alu instid0(VALU_DEP_1)
	v_add_lshl_u32 v40, v20, v34, 2
	ds_bpermute_b32 v26, v40, v16
	ds_bpermute_b32 v20, v40, v18
	v_cmpx_le_u32_e64 v41, v15
	s_cbranch_execz .LBB1890_47
; %bb.46:
	s_wait_dscnt 0x1
	v_add_co_u32 v16, vcc_lo, v17, v26
	s_wait_alu 0xfffd
	v_add_co_ci_u32_e64 v18, null, 0, v18, vcc_lo
	s_delay_alu instid0(VALU_DEP_2) | instskip(SKIP_2) | instid1(VALU_DEP_2)
	v_add_co_u32 v17, vcc_lo, 0, v16
	s_wait_dscnt 0x0
	s_wait_alu 0xfffd
	v_add_co_ci_u32_e64 v18, null, v20, v18, vcc_lo
.LBB1890_47:
	s_wait_alu 0xfffe
	s_or_b32 exec_lo, exec_lo, s5
	v_cmp_gt_u32_e32 vcc_lo, 28, v34
	v_add_nc_u32_e32 v43, 4, v34
	s_mov_b32 s5, exec_lo
	s_wait_dscnt 0x0
	s_wait_alu 0xfffd
	v_cndmask_b32_e64 v20, 0, 4, vcc_lo
	s_delay_alu instid0(VALU_DEP_1)
	v_add_lshl_u32 v42, v20, v34, 2
	ds_bpermute_b32 v26, v42, v16
	ds_bpermute_b32 v20, v42, v18
	v_cmpx_le_u32_e64 v43, v15
	;; [unrolled: 25-line block ×3, first 2 shown]
	s_cbranch_execz .LBB1890_51
; %bb.50:
	s_wait_dscnt 0x1
	v_add_co_u32 v16, vcc_lo, v17, v26
	s_wait_alu 0xfffd
	v_add_co_ci_u32_e64 v18, null, 0, v18, vcc_lo
	s_delay_alu instid0(VALU_DEP_2) | instskip(SKIP_2) | instid1(VALU_DEP_2)
	v_add_co_u32 v17, vcc_lo, 0, v16
	s_wait_dscnt 0x0
	s_wait_alu 0xfffd
	v_add_co_ci_u32_e64 v18, null, v20, v18, vcc_lo
.LBB1890_51:
	s_wait_alu 0xfffe
	s_or_b32 exec_lo, exec_lo, s5
	v_lshl_or_b32 v46, v34, 2, 64
	v_add_nc_u32_e32 v47, 16, v34
	s_mov_b32 s5, exec_lo
	s_wait_dscnt 0x0
	ds_bpermute_b32 v20, v46, v16
	ds_bpermute_b32 v16, v46, v18
	v_cmpx_le_u32_e64 v47, v15
	s_cbranch_execz .LBB1890_53
; %bb.52:
	s_wait_dscnt 0x1
	v_add_co_u32 v15, vcc_lo, v17, v20
	s_wait_alu 0xfffd
	v_add_co_ci_u32_e64 v18, null, 0, v18, vcc_lo
	s_delay_alu instid0(VALU_DEP_2) | instskip(SKIP_2) | instid1(VALU_DEP_2)
	v_add_co_u32 v17, vcc_lo, v15, 0
	s_wait_dscnt 0x0
	s_wait_alu 0xfffd
	v_add_co_ci_u32_e64 v18, null, v18, v16, vcc_lo
.LBB1890_53:
	s_wait_alu 0xfffe
	s_or_b32 exec_lo, exec_lo, s5
	v_mov_b32_e32 v26, 0
	s_branch .LBB1890_56
.LBB1890_54:                            ;   in Loop: Header=BB1890_56 Depth=1
	s_wait_alu 0xfffe
	s_or_b32 exec_lo, exec_lo, s5
	v_add_co_u32 v17, vcc_lo, v17, v15
	v_subrev_nc_u32_e32 v25, 32, v25
	s_wait_alu 0xfffd
	v_add_co_ci_u32_e64 v18, null, v18, v16, vcc_lo
	s_mov_b32 s5, 0
.LBB1890_55:                            ;   in Loop: Header=BB1890_56 Depth=1
	s_wait_alu 0xfffe
	s_and_b32 vcc_lo, exec_lo, s5
	s_wait_alu 0xfffe
	s_cbranch_vccnz .LBB1890_72
.LBB1890_56:                            ; =>This Loop Header: Depth=1
                                        ;     Child Loop BB1890_59 Depth 2
	v_and_b32_e32 v15, 0xff, v19
	s_mov_b32 s5, -1
	s_delay_alu instid0(VALU_DEP_1)
	v_cmp_ne_u16_e32 vcc_lo, 2, v15
	s_wait_dscnt 0x0
	v_dual_mov_b32 v15, v17 :: v_dual_mov_b32 v16, v18
                                        ; implicit-def: $vgpr17_vgpr18
	s_cmp_lg_u32 vcc_lo, exec_lo
	s_cbranch_scc1 .LBB1890_55
; %bb.57:                               ;   in Loop: Header=BB1890_56 Depth=1
	v_lshlrev_b64_e32 v[17:18], 4, v[25:26]
	s_mov_b32 s5, exec_lo
	s_delay_alu instid0(VALU_DEP_1) | instskip(SKIP_1) | instid1(VALU_DEP_2)
	v_add_co_u32 v27, vcc_lo, s6, v17
	s_wait_alu 0xfffd
	v_add_co_ci_u32_e64 v28, null, s7, v18, vcc_lo
	;;#ASMSTART
	global_load_b128 v[17:20], v[27:28] off scope:SCOPE_DEV	
s_wait_loadcnt 0x0
	;;#ASMEND
	v_and_b32_e32 v20, 0xff, v19
	s_delay_alu instid0(VALU_DEP_1)
	v_cmpx_eq_u16_e32 0, v20
	s_cbranch_execz .LBB1890_61
; %bb.58:                               ;   in Loop: Header=BB1890_56 Depth=1
	s_mov_b32 s12, 0
.LBB1890_59:                            ;   Parent Loop BB1890_56 Depth=1
                                        ; =>  This Inner Loop Header: Depth=2
	;;#ASMSTART
	global_load_b128 v[17:20], v[27:28] off scope:SCOPE_DEV	
s_wait_loadcnt 0x0
	;;#ASMEND
	v_and_b32_e32 v20, 0xff, v19
	s_delay_alu instid0(VALU_DEP_1)
	v_cmp_ne_u16_e32 vcc_lo, 0, v20
	s_wait_alu 0xfffe
	s_or_b32 s12, vcc_lo, s12
	s_wait_alu 0xfffe
	s_and_not1_b32 exec_lo, exec_lo, s12
	s_cbranch_execnz .LBB1890_59
; %bb.60:                               ;   in Loop: Header=BB1890_56 Depth=1
	s_or_b32 exec_lo, exec_lo, s12
.LBB1890_61:                            ;   in Loop: Header=BB1890_56 Depth=1
	s_wait_alu 0xfffe
	s_or_b32 exec_lo, exec_lo, s5
	v_dual_mov_b32 v27, v17 :: v_dual_and_b32 v20, 0xff, v19
	ds_bpermute_b32 v48, v38, v17
	ds_bpermute_b32 v28, v38, v18
	s_mov_b32 s5, exec_lo
	v_cmp_eq_u16_e32 vcc_lo, 2, v20
	s_wait_alu 0xfffd
	v_and_or_b32 v20, vcc_lo, v39, 0x80000000
	s_delay_alu instid0(VALU_DEP_1) | instskip(NEXT) | instid1(VALU_DEP_1)
	v_ctz_i32_b32_e32 v20, v20
	v_cmpx_lt_u32_e64 v34, v20
	s_cbranch_execz .LBB1890_63
; %bb.62:                               ;   in Loop: Header=BB1890_56 Depth=1
	s_wait_dscnt 0x1
	v_add_co_u32 v27, vcc_lo, v17, v48
	s_wait_alu 0xfffd
	v_add_co_ci_u32_e64 v18, null, 0, v18, vcc_lo
	s_delay_alu instid0(VALU_DEP_2) | instskip(SKIP_2) | instid1(VALU_DEP_2)
	v_add_co_u32 v17, vcc_lo, 0, v27
	s_wait_dscnt 0x0
	s_wait_alu 0xfffd
	v_add_co_ci_u32_e64 v18, null, v28, v18, vcc_lo
.LBB1890_63:                            ;   in Loop: Header=BB1890_56 Depth=1
	s_wait_alu 0xfffe
	s_or_b32 exec_lo, exec_lo, s5
	s_wait_dscnt 0x1
	ds_bpermute_b32 v48, v40, v27
	s_wait_dscnt 0x1
	ds_bpermute_b32 v28, v40, v18
	s_mov_b32 s5, exec_lo
	v_cmpx_le_u32_e64 v41, v20
	s_cbranch_execz .LBB1890_65
; %bb.64:                               ;   in Loop: Header=BB1890_56 Depth=1
	s_wait_dscnt 0x1
	v_add_co_u32 v27, vcc_lo, v17, v48
	s_wait_alu 0xfffd
	v_add_co_ci_u32_e64 v18, null, 0, v18, vcc_lo
	s_delay_alu instid0(VALU_DEP_2) | instskip(SKIP_2) | instid1(VALU_DEP_2)
	v_add_co_u32 v17, vcc_lo, 0, v27
	s_wait_dscnt 0x0
	s_wait_alu 0xfffd
	v_add_co_ci_u32_e64 v18, null, v28, v18, vcc_lo
.LBB1890_65:                            ;   in Loop: Header=BB1890_56 Depth=1
	s_wait_alu 0xfffe
	s_or_b32 exec_lo, exec_lo, s5
	s_wait_dscnt 0x1
	ds_bpermute_b32 v48, v42, v27
	s_wait_dscnt 0x1
	ds_bpermute_b32 v28, v42, v18
	s_mov_b32 s5, exec_lo
	v_cmpx_le_u32_e64 v43, v20
	;; [unrolled: 20-line block ×3, first 2 shown]
	s_cbranch_execz .LBB1890_69
; %bb.68:                               ;   in Loop: Header=BB1890_56 Depth=1
	s_wait_dscnt 0x1
	v_add_co_u32 v27, vcc_lo, v17, v48
	s_wait_alu 0xfffd
	v_add_co_ci_u32_e64 v18, null, 0, v18, vcc_lo
	s_delay_alu instid0(VALU_DEP_2) | instskip(SKIP_2) | instid1(VALU_DEP_2)
	v_add_co_u32 v17, vcc_lo, 0, v27
	s_wait_dscnt 0x0
	s_wait_alu 0xfffd
	v_add_co_ci_u32_e64 v18, null, v28, v18, vcc_lo
.LBB1890_69:                            ;   in Loop: Header=BB1890_56 Depth=1
	s_wait_alu 0xfffe
	s_or_b32 exec_lo, exec_lo, s5
	s_wait_dscnt 0x0
	ds_bpermute_b32 v28, v46, v27
	ds_bpermute_b32 v27, v46, v18
	s_mov_b32 s5, exec_lo
	v_cmpx_le_u32_e64 v47, v20
	s_cbranch_execz .LBB1890_54
; %bb.70:                               ;   in Loop: Header=BB1890_56 Depth=1
	s_wait_dscnt 0x1
	v_add_co_u32 v17, vcc_lo, v17, v28
	s_wait_alu 0xfffd
	v_add_co_ci_u32_e64 v18, null, 0, v18, vcc_lo
	s_delay_alu instid0(VALU_DEP_2) | instskip(SKIP_2) | instid1(VALU_DEP_2)
	v_add_co_u32 v17, vcc_lo, v17, 0
	s_wait_dscnt 0x0
	s_wait_alu 0xfffd
	v_add_co_ci_u32_e64 v18, null, v18, v27, vcc_lo
	s_branch .LBB1890_54
.LBB1890_71:
                                        ; implicit-def: $vgpr17_vgpr18
                                        ; implicit-def: $vgpr19_vgpr20
                                        ; implicit-def: $vgpr23_vgpr24
                                        ; implicit-def: $vgpr15_vgpr16
	s_wait_alu 0xfffe
	s_and_b32 vcc_lo, exec_lo, s3
	s_cbranch_vccnz .LBB1890_77
	s_branch .LBB1890_102
.LBB1890_72:
	s_and_saveexec_b32 s5, s3
	s_cbranch_execz .LBB1890_74
; %bb.73:
	s_add_co_i32 s12, ttmp9, 32
	s_mov_b32 s13, 0
	v_add_co_u32 v17, vcc_lo, v15, v13
	s_wait_alu 0xfffe
	s_lshl_b64 s[12:13], s[12:13], 4
	v_dual_mov_b32 v19, 2 :: v_dual_mov_b32 v20, 0
	s_wait_alu 0xfffe
	s_add_nc_u64 s[12:13], s[6:7], s[12:13]
	s_wait_alu 0xfffd
	v_add_co_ci_u32_e64 v18, null, v16, v14, vcc_lo
	s_wait_alu 0xfffe
	v_dual_mov_b32 v26, s13 :: v_dual_mov_b32 v25, s12
	;;#ASMSTART
	global_store_b128 v[25:26], v[17:20] off scope:SCOPE_DEV	
s_wait_storecnt 0x0
	;;#ASMEND
	ds_store_b128 v20, v[13:16] offset:12288
.LBB1890_74:
	s_wait_alu 0xfffe
	s_or_b32 exec_lo, exec_lo, s5
	v_cmp_eq_u32_e32 vcc_lo, 0, v0
	s_and_b32 exec_lo, exec_lo, vcc_lo
; %bb.75:
	v_mov_b32_e32 v13, 0
	ds_store_b64 v13, v[15:16] offset:56
.LBB1890_76:
	s_wait_alu 0xfffe
	s_or_b32 exec_lo, exec_lo, s4
	s_wait_dscnt 0x1
	v_cndmask_b32_e64 v14, v36, v23, s3
	v_cmp_ne_u32_e32 vcc_lo, 0, v0
	v_mov_b32_e32 v13, 0
	s_wait_loadcnt_dscnt 0x0
	s_barrier_signal -1
	s_barrier_wait -1
	global_inv scope:SCOPE_SE
	s_wait_alu 0xfffd
	v_cndmask_b32_e32 v20, 0, v14, vcc_lo
	ds_load_b64 v[17:18], v13 offset:56
	v_cndmask_b32_e64 v15, v37, v24, s3
	s_wait_loadcnt_dscnt 0x0
	s_barrier_signal -1
	s_barrier_wait -1
	global_inv scope:SCOPE_SE
	v_cndmask_b32_e32 v19, 0, v15, vcc_lo
	ds_load_b128 v[13:16], v13 offset:12288
	v_add_co_u32 v23, vcc_lo, v17, v20
	s_wait_alu 0xfffd
	v_add_co_ci_u32_e64 v24, null, v18, v19, vcc_lo
	s_delay_alu instid0(VALU_DEP_2) | instskip(SKIP_1) | instid1(VALU_DEP_2)
	v_add_co_u32 v19, vcc_lo, v23, v33
	s_wait_alu 0xfffd
	v_add_co_ci_u32_e64 v20, null, 0, v24, vcc_lo
	s_delay_alu instid0(VALU_DEP_2) | instskip(SKIP_1) | instid1(VALU_DEP_2)
	v_add_co_u32 v17, vcc_lo, v19, v32
	s_wait_alu 0xfffd
	v_add_co_ci_u32_e64 v18, null, 0, v20, vcc_lo
	s_branch .LBB1890_102
.LBB1890_77:
	s_wait_dscnt 0x0
	v_dual_mov_b32 v14, 0 :: v_dual_mov_b32 v15, v21
	v_mov_b32_dpp v16, v21 row_shr:1 row_mask:0xf bank_mask:0xf
	s_delay_alu instid0(VALU_DEP_2)
	v_mov_b32_dpp v13, v14 row_shr:1 row_mask:0xf bank_mask:0xf
	s_and_saveexec_b32 s3, s2
; %bb.78:
	s_delay_alu instid0(VALU_DEP_2) | instskip(SKIP_2) | instid1(VALU_DEP_2)
	v_add_co_u32 v15, s2, v21, v16
	s_wait_alu 0xf1ff
	v_add_co_ci_u32_e64 v14, null, 0, 0, s2
	v_add_co_u32 v21, vcc_lo, 0, v15
	s_delay_alu instid0(VALU_DEP_1) | instskip(NEXT) | instid1(VALU_DEP_1)
	v_add_co_ci_u32_e64 v22, null, v13, v14, vcc_lo
	v_mov_b32_e32 v14, v22
; %bb.79:
	s_wait_alu 0xfffe
	s_or_b32 exec_lo, exec_lo, s3
	v_mov_b32_dpp v13, v15 row_shr:2 row_mask:0xf bank_mask:0xf
	s_delay_alu instid0(VALU_DEP_2)
	v_mov_b32_dpp v16, v14 row_shr:2 row_mask:0xf bank_mask:0xf
	s_mov_b32 s2, exec_lo
	v_cmpx_lt_u32_e32 1, v35
; %bb.80:
	s_delay_alu instid0(VALU_DEP_3) | instskip(SKIP_2) | instid1(VALU_DEP_2)
	v_add_co_u32 v15, vcc_lo, v21, v13
	s_wait_alu 0xfffd
	v_add_co_ci_u32_e64 v14, null, 0, v22, vcc_lo
	v_add_co_u32 v13, vcc_lo, 0, v15
	s_wait_alu 0xfffd
	s_delay_alu instid0(VALU_DEP_2) | instskip(NEXT) | instid1(VALU_DEP_1)
	v_add_co_ci_u32_e64 v14, null, v16, v14, vcc_lo
	v_dual_mov_b32 v22, v14 :: v_dual_mov_b32 v21, v13
; %bb.81:
	s_wait_alu 0xfffe
	s_or_b32 exec_lo, exec_lo, s2
	v_mov_b32_dpp v13, v15 row_shr:4 row_mask:0xf bank_mask:0xf
	v_mov_b32_dpp v16, v14 row_shr:4 row_mask:0xf bank_mask:0xf
	s_mov_b32 s2, exec_lo
	v_cmpx_lt_u32_e32 3, v35
; %bb.82:
	s_delay_alu instid0(VALU_DEP_3) | instskip(SKIP_2) | instid1(VALU_DEP_2)
	v_add_co_u32 v15, vcc_lo, v21, v13
	s_wait_alu 0xfffd
	v_add_co_ci_u32_e64 v14, null, 0, v22, vcc_lo
	v_add_co_u32 v13, vcc_lo, 0, v15
	s_wait_alu 0xfffd
	s_delay_alu instid0(VALU_DEP_2) | instskip(NEXT) | instid1(VALU_DEP_1)
	v_add_co_ci_u32_e64 v14, null, v16, v14, vcc_lo
	v_dual_mov_b32 v22, v14 :: v_dual_mov_b32 v21, v13
; %bb.83:
	s_wait_alu 0xfffe
	s_or_b32 exec_lo, exec_lo, s2
	v_mov_b32_dpp v16, v15 row_shr:8 row_mask:0xf bank_mask:0xf
	v_mov_b32_dpp v13, v14 row_shr:8 row_mask:0xf bank_mask:0xf
	s_mov_b32 s2, exec_lo
	v_cmpx_lt_u32_e32 7, v35
; %bb.84:
	s_delay_alu instid0(VALU_DEP_3) | instskip(SKIP_2) | instid1(VALU_DEP_2)
	v_add_co_u32 v15, vcc_lo, v21, v16
	s_wait_alu 0xfffd
	v_add_co_ci_u32_e64 v14, null, 0, v22, vcc_lo
	v_add_co_u32 v21, vcc_lo, 0, v15
	s_wait_alu 0xfffd
	s_delay_alu instid0(VALU_DEP_2) | instskip(NEXT) | instid1(VALU_DEP_1)
	v_add_co_ci_u32_e64 v22, null, v13, v14, vcc_lo
	v_mov_b32_e32 v14, v22
; %bb.85:
	s_wait_alu 0xfffe
	s_or_b32 exec_lo, exec_lo, s2
	ds_swizzle_b32 v15, v15 offset:swizzle(BROADCAST,32,15)
	ds_swizzle_b32 v13, v14 offset:swizzle(BROADCAST,32,15)
	v_and_b32_e32 v14, 16, v34
	s_mov_b32 s2, exec_lo
	s_delay_alu instid0(VALU_DEP_1)
	v_cmpx_ne_u32_e32 0, v14
	s_cbranch_execz .LBB1890_87
; %bb.86:
	s_wait_dscnt 0x1
	v_add_co_u32 v14, vcc_lo, v21, v15
	s_wait_alu 0xfffd
	v_add_co_ci_u32_e64 v15, null, 0, v22, vcc_lo
	s_delay_alu instid0(VALU_DEP_2) | instskip(SKIP_2) | instid1(VALU_DEP_2)
	v_add_co_u32 v21, vcc_lo, v14, 0
	s_wait_dscnt 0x0
	s_wait_alu 0xfffd
	v_add_co_ci_u32_e64 v22, null, v15, v13, vcc_lo
.LBB1890_87:
	s_wait_alu 0xfffe
	s_or_b32 exec_lo, exec_lo, s2
	s_wait_dscnt 0x0
	v_or_b32_e32 v13, 31, v0
	v_lshrrev_b32_e32 v15, 5, v0
	s_mov_b32 s2, exec_lo
	s_delay_alu instid0(VALU_DEP_2)
	v_cmpx_eq_u32_e64 v0, v13
; %bb.88:
	s_delay_alu instid0(VALU_DEP_2)
	v_lshlrev_b32_e32 v13, 3, v15
	ds_store_b64 v13, v[21:22]
; %bb.89:
	s_wait_alu 0xfffe
	s_or_b32 exec_lo, exec_lo, s2
	s_delay_alu instid0(SALU_CYCLE_1)
	s_mov_b32 s2, exec_lo
	s_wait_loadcnt_dscnt 0x0
	s_barrier_signal -1
	s_barrier_wait -1
	global_inv scope:SCOPE_SE
	v_cmpx_gt_u32_e32 8, v0
	s_cbranch_execz .LBB1890_97
; %bb.90:
	v_mad_i32_i24 v13, 0xffffffd8, v0, v31
	s_mov_b32 s3, exec_lo
	ds_load_b64 v[13:14], v13
	s_wait_dscnt 0x0
	v_dual_mov_b32 v17, v13 :: v_dual_and_b32 v16, 7, v34
	v_mov_b32_dpp v19, v13 row_shr:1 row_mask:0xf bank_mask:0xf
	v_mov_b32_dpp v18, v14 row_shr:1 row_mask:0xf bank_mask:0xf
	s_delay_alu instid0(VALU_DEP_3)
	v_cmpx_ne_u32_e32 0, v16
; %bb.91:
	s_delay_alu instid0(VALU_DEP_3) | instskip(SKIP_2) | instid1(VALU_DEP_2)
	v_add_co_u32 v17, vcc_lo, v13, v19
	s_wait_alu 0xfffd
	v_add_co_ci_u32_e64 v14, null, 0, v14, vcc_lo
	v_add_co_u32 v13, vcc_lo, 0, v17
	s_wait_alu 0xfffd
	s_delay_alu instid0(VALU_DEP_2)
	v_add_co_ci_u32_e64 v14, null, v18, v14, vcc_lo
; %bb.92:
	s_wait_alu 0xfffe
	s_or_b32 exec_lo, exec_lo, s3
	v_mov_b32_dpp v19, v17 row_shr:2 row_mask:0xf bank_mask:0xf
	s_delay_alu instid0(VALU_DEP_2)
	v_mov_b32_dpp v18, v14 row_shr:2 row_mask:0xf bank_mask:0xf
	s_mov_b32 s3, exec_lo
	v_cmpx_lt_u32_e32 1, v16
; %bb.93:
	s_delay_alu instid0(VALU_DEP_3) | instskip(SKIP_2) | instid1(VALU_DEP_2)
	v_add_co_u32 v17, vcc_lo, v13, v19
	s_wait_alu 0xfffd
	v_add_co_ci_u32_e64 v14, null, 0, v14, vcc_lo
	v_add_co_u32 v13, vcc_lo, 0, v17
	s_wait_alu 0xfffd
	s_delay_alu instid0(VALU_DEP_2)
	v_add_co_ci_u32_e64 v14, null, v18, v14, vcc_lo
; %bb.94:
	s_wait_alu 0xfffe
	s_or_b32 exec_lo, exec_lo, s3
	v_mul_i32_i24_e32 v18, 0xffffffd8, v0
	v_mov_b32_dpp v19, v17 row_shr:4 row_mask:0xf bank_mask:0xf
	v_mov_b32_dpp v17, v14 row_shr:4 row_mask:0xf bank_mask:0xf
	s_mov_b32 s3, exec_lo
	v_cmpx_lt_u32_e32 3, v16
; %bb.95:
	s_delay_alu instid0(VALU_DEP_3) | instskip(SKIP_2) | instid1(VALU_DEP_2)
	v_add_co_u32 v13, vcc_lo, v13, v19
	s_wait_alu 0xfffd
	v_add_co_ci_u32_e64 v14, null, 0, v14, vcc_lo
	v_add_co_u32 v13, vcc_lo, v13, 0
	s_wait_alu 0xfffd
	s_delay_alu instid0(VALU_DEP_2)
	v_add_co_ci_u32_e64 v14, null, v14, v17, vcc_lo
; %bb.96:
	s_wait_alu 0xfffe
	s_or_b32 exec_lo, exec_lo, s3
	v_add_nc_u32_e32 v16, v31, v18
	ds_store_b64 v16, v[13:14]
.LBB1890_97:
	s_wait_alu 0xfffe
	s_or_b32 exec_lo, exec_lo, s2
	v_mov_b32_e32 v17, 0
	v_mov_b32_e32 v18, 0
	s_mov_b32 s2, exec_lo
	s_wait_loadcnt_dscnt 0x0
	s_barrier_signal -1
	s_barrier_wait -1
	global_inv scope:SCOPE_SE
	v_cmpx_lt_u32_e32 31, v0
; %bb.98:
	v_lshl_add_u32 v13, v15, 3, -8
	ds_load_b64 v[17:18], v13
; %bb.99:
	s_wait_alu 0xfffe
	s_or_b32 exec_lo, exec_lo, s2
	v_sub_co_u32 v13, vcc_lo, v34, 1
	v_mov_b32_e32 v16, 0
	s_delay_alu instid0(VALU_DEP_2) | instskip(SKIP_1) | instid1(VALU_DEP_1)
	v_cmp_gt_i32_e64 s2, 0, v13
	s_wait_alu 0xf1ff
	v_cndmask_b32_e64 v13, v13, v34, s2
	s_wait_dscnt 0x0
	v_add_co_u32 v14, s2, v17, v21
	s_wait_alu 0xf1ff
	v_add_co_ci_u32_e64 v15, null, v18, v22, s2
	v_lshlrev_b32_e32 v13, 2, v13
	v_cmp_eq_u32_e64 s2, 0, v0
	ds_bpermute_b32 v19, v13, v14
	ds_bpermute_b32 v20, v13, v15
	ds_load_b64 v[13:14], v16 offset:56
	s_and_saveexec_b32 s3, s2
	s_cbranch_execz .LBB1890_101
; %bb.100:
	s_wait_kmcnt 0x0
	s_add_nc_u64 s[4:5], s[6:7], 0x200
	s_wait_alu 0xfffe
	v_dual_mov_b32 v15, 2 :: v_dual_mov_b32 v22, s5
	v_mov_b32_e32 v21, s4
	s_wait_dscnt 0x0
	;;#ASMSTART
	global_store_b128 v[21:22], v[13:16] off scope:SCOPE_DEV	
s_wait_storecnt 0x0
	;;#ASMEND
.LBB1890_101:
	s_wait_alu 0xfffe
	s_or_b32 exec_lo, exec_lo, s3
	s_wait_dscnt 0x1
	s_wait_alu 0xfffd
	v_dual_cndmask_b32 v15, v19, v17 :: v_dual_cndmask_b32 v16, v20, v18
	s_wait_loadcnt_dscnt 0x0
	s_barrier_signal -1
	s_barrier_wait -1
	s_delay_alu instid0(VALU_DEP_1)
	v_cndmask_b32_e64 v23, v15, 0, s2
	v_cndmask_b32_e64 v24, v16, 0, s2
	v_mov_b32_e32 v15, 0
	v_mov_b32_e32 v16, 0
	global_inv scope:SCOPE_SE
	v_add_co_u32 v19, vcc_lo, v23, v33
	s_wait_alu 0xfffd
	v_add_co_ci_u32_e64 v20, null, 0, v24, vcc_lo
	s_delay_alu instid0(VALU_DEP_2) | instskip(SKIP_1) | instid1(VALU_DEP_2)
	v_add_co_u32 v17, vcc_lo, v19, v32
	s_wait_alu 0xfffd
	v_add_co_ci_u32_e64 v18, null, 0, v20, vcc_lo
.LBB1890_102:
	s_load_b64 s[2:3], s[0:1], 0x30
	v_and_b32_e32 v25, 1, v30
	s_wait_dscnt 0x0
	v_cmp_gt_u64_e32 vcc_lo, 0x101, v[13:14]
	s_mov_b32 s1, -1
	s_delay_alu instid0(VALU_DEP_2)
	v_cmp_eq_u32_e64 s0, 1, v25
	s_cbranch_vccnz .LBB1890_106
; %bb.103:
	s_wait_alu 0xfffe
	s_and_b32 vcc_lo, exec_lo, s1
	s_wait_alu 0xfffe
	s_cbranch_vccnz .LBB1890_113
.LBB1890_104:
	v_cmp_eq_u32_e32 vcc_lo, 0, v0
	s_and_b32 s0, vcc_lo, s16
	s_wait_alu 0xfffe
	s_and_saveexec_b32 s1, s0
	s_cbranch_execnz .LBB1890_122
.LBB1890_105:
	s_endpgm
.LBB1890_106:
	v_add_co_u32 v21, vcc_lo, v15, v13
	s_wait_alu 0xfffd
	v_add_co_ci_u32_e64 v22, null, v16, v14, vcc_lo
	s_lshl_b64 s[4:5], s[10:11], 3
	s_wait_kmcnt 0x0
	s_wait_alu 0xfffe
	s_add_nc_u64 s[4:5], s[2:3], s[4:5]
	v_cmp_lt_u64_e32 vcc_lo, v[23:24], v[21:22]
	s_or_b32 s1, s17, vcc_lo
	s_wait_alu 0xfffe
	s_and_b32 s1, s1, s0
	s_wait_alu 0xfffe
	s_and_saveexec_b32 s0, s1
	s_cbranch_execz .LBB1890_108
; %bb.107:
	v_lshlrev_b64_e32 v[26:27], 3, v[23:24]
	s_delay_alu instid0(VALU_DEP_1) | instskip(SKIP_1) | instid1(VALU_DEP_2)
	v_add_co_u32 v26, vcc_lo, s4, v26
	s_wait_alu 0xfffd
	v_add_co_ci_u32_e64 v27, null, s5, v27, vcc_lo
	global_store_b64 v[26:27], v[9:10], off
.LBB1890_108:
	s_wait_alu 0xfffe
	s_or_b32 exec_lo, exec_lo, s0
	v_and_b32_e32 v24, 1, v29
	v_cmp_lt_u64_e32 vcc_lo, v[19:20], v[21:22]
	s_delay_alu instid0(VALU_DEP_2)
	v_cmp_eq_u32_e64 s0, 1, v24
	s_or_b32 s1, s17, vcc_lo
	s_wait_alu 0xfffe
	s_and_b32 s1, s1, s0
	s_wait_alu 0xfffe
	s_and_saveexec_b32 s0, s1
	s_cbranch_execz .LBB1890_110
; %bb.109:
	v_lshlrev_b64_e32 v[26:27], 3, v[19:20]
	s_delay_alu instid0(VALU_DEP_1) | instskip(SKIP_1) | instid1(VALU_DEP_2)
	v_add_co_u32 v26, vcc_lo, s4, v26
	s_wait_alu 0xfffd
	v_add_co_ci_u32_e64 v27, null, s5, v27, vcc_lo
	global_store_b64 v[26:27], v[5:6], off
.LBB1890_110:
	s_wait_alu 0xfffe
	s_or_b32 exec_lo, exec_lo, s0
	v_cmp_lt_u64_e32 vcc_lo, v[17:18], v[21:22]
	s_or_b32 s0, s17, vcc_lo
	s_wait_alu 0xfffe
	s_and_b32 s1, s0, s18
	s_wait_alu 0xfffe
	s_and_saveexec_b32 s0, s1
	s_cbranch_execz .LBB1890_112
; %bb.111:
	v_lshlrev_b64_e32 v[20:21], 3, v[17:18]
	s_delay_alu instid0(VALU_DEP_1) | instskip(SKIP_1) | instid1(VALU_DEP_2)
	v_add_co_u32 v20, vcc_lo, s4, v20
	s_wait_alu 0xfffd
	v_add_co_ci_u32_e64 v21, null, s5, v21, vcc_lo
	global_store_b64 v[20:21], v[1:2], off
.LBB1890_112:
	s_wait_alu 0xfffe
	s_or_b32 exec_lo, exec_lo, s0
	s_branch .LBB1890_104
.LBB1890_113:
	s_mov_b32 s0, exec_lo
	v_cmpx_eq_u32_e32 1, v25
; %bb.114:
	v_sub_nc_u32_e32 v18, v23, v15
	s_delay_alu instid0(VALU_DEP_1)
	v_lshlrev_b32_e32 v18, 4, v18
	ds_store_b128 v18, v[9:12]
; %bb.115:
	s_wait_alu 0xfffe
	s_or_b32 exec_lo, exec_lo, s0
	v_and_b32_e32 v9, 1, v29
	s_mov_b32 s0, exec_lo
	s_delay_alu instid0(VALU_DEP_1)
	v_cmpx_eq_u32_e32 1, v9
; %bb.116:
	v_sub_nc_u32_e32 v9, v19, v15
	s_delay_alu instid0(VALU_DEP_1)
	v_lshlrev_b32_e32 v9, 4, v9
	ds_store_b128 v9, v[5:8]
; %bb.117:
	s_wait_alu 0xfffe
	s_or_b32 exec_lo, exec_lo, s0
	s_and_saveexec_b32 s0, s18
; %bb.118:
	v_sub_nc_u32_e32 v5, v17, v15
	s_delay_alu instid0(VALU_DEP_1)
	v_lshlrev_b32_e32 v5, 4, v5
	ds_store_b128 v5, v[1:4]
; %bb.119:
	s_wait_alu 0xfffe
	s_or_b32 exec_lo, exec_lo, s0
	v_mov_b32_e32 v3, 0
	v_lshlrev_b64_e32 v[4:5], 3, v[15:16]
	s_lshl_b64 s[0:1], s[10:11], 3
	v_or_b32_e32 v2, 0x100, v0
	s_wait_kmcnt 0x0
	s_wait_alu 0xfffe
	s_add_nc_u64 s[0:1], s[2:3], s[0:1]
	v_mov_b32_e32 v1, v3
	s_wait_storecnt 0x0
	s_wait_loadcnt_dscnt 0x0
	s_wait_alu 0xfffe
	v_add_co_u32 v6, vcc_lo, s0, v4
	s_wait_alu 0xfffd
	v_add_co_ci_u32_e64 v7, null, s1, v5, vcc_lo
	v_dual_mov_b32 v5, v1 :: v_dual_mov_b32 v4, v0
	s_mov_b32 s1, 0
	s_barrier_signal -1
	s_barrier_wait -1
	global_inv scope:SCOPE_SE
.LBB1890_120:                           ; =>This Inner Loop Header: Depth=1
	v_lshlrev_b32_e32 v1, 4, v4
	v_lshlrev_b64_e32 v[10:11], 3, v[4:5]
	v_dual_mov_b32 v5, v3 :: v_dual_mov_b32 v4, v2
	v_cmp_le_u64_e32 vcc_lo, v[13:14], v[2:3]
	ds_load_b64 v[8:9], v1
	v_add_nc_u32_e32 v2, 0x100, v2
	v_add_co_u32 v10, s0, v6, v10
	s_wait_alu 0xf1ff
	v_add_co_ci_u32_e64 v11, null, v7, v11, s0
	s_wait_alu 0xfffe
	s_or_b32 s1, vcc_lo, s1
	s_wait_dscnt 0x0
	global_store_b64 v[10:11], v[8:9], off
	s_wait_alu 0xfffe
	s_and_not1_b32 exec_lo, exec_lo, s1
	s_cbranch_execnz .LBB1890_120
; %bb.121:
	s_or_b32 exec_lo, exec_lo, s1
	v_cmp_eq_u32_e32 vcc_lo, 0, v0
	s_and_b32 s0, vcc_lo, s16
	s_wait_alu 0xfffe
	s_and_saveexec_b32 s1, s0
	s_cbranch_execz .LBB1890_105
.LBB1890_122:
	v_add_co_u32 v0, vcc_lo, v15, v13
	s_wait_alu 0xfffd
	v_add_co_ci_u32_e64 v1, null, v16, v14, vcc_lo
	v_mov_b32_e32 v2, 0
	s_delay_alu instid0(VALU_DEP_3) | instskip(SKIP_1) | instid1(VALU_DEP_3)
	v_add_co_u32 v0, vcc_lo, v0, s10
	s_wait_alu 0xfffd
	v_add_co_ci_u32_e64 v1, null, s11, v1, vcc_lo
	global_store_b64 v2, v[0:1], s[8:9]
	s_endpgm
	.section	.rodata,"a",@progbits
	.p2align	6, 0x0
	.amdhsa_kernel _ZN7rocprim17ROCPRIM_400000_NS6detail17trampoline_kernelINS0_14default_configENS1_25partition_config_selectorILNS1_17partition_subalgoE6EN6thrust23THRUST_200600_302600_NS5tupleIyyNS7_9null_typeES9_S9_S9_S9_S9_S9_S9_EENS0_10empty_typeEbEEZZNS1_14partition_implILS5_6ELb0ES3_mNS7_12zip_iteratorINS8_INS7_6detail15normal_iteratorINS7_10device_ptrIyEEEESJ_S9_S9_S9_S9_S9_S9_S9_S9_EEEEPSB_SM_NS0_5tupleIJNSE_INS8_ISJ_NS7_16discard_iteratorINS7_11use_defaultEEES9_S9_S9_S9_S9_S9_S9_S9_EEEESB_EEENSN_IJSM_SM_EEESB_PlJNSF_9not_fun_tINSF_14equal_to_valueISA_EEEEEEE10hipError_tPvRmT3_T4_T5_T6_T7_T9_mT8_P12ihipStream_tbDpT10_ENKUlT_T0_E_clISt17integral_constantIbLb0EES1J_EEDaS1E_S1F_EUlS1E_E_NS1_11comp_targetILNS1_3genE10ELNS1_11target_archE1200ELNS1_3gpuE4ELNS1_3repE0EEENS1_30default_config_static_selectorELNS0_4arch9wavefront6targetE0EEEvT1_
		.amdhsa_group_segment_fixed_size 12304
		.amdhsa_private_segment_fixed_size 0
		.amdhsa_kernarg_size 152
		.amdhsa_user_sgpr_count 2
		.amdhsa_user_sgpr_dispatch_ptr 0
		.amdhsa_user_sgpr_queue_ptr 0
		.amdhsa_user_sgpr_kernarg_segment_ptr 1
		.amdhsa_user_sgpr_dispatch_id 0
		.amdhsa_user_sgpr_private_segment_size 0
		.amdhsa_wavefront_size32 1
		.amdhsa_uses_dynamic_stack 0
		.amdhsa_enable_private_segment 0
		.amdhsa_system_sgpr_workgroup_id_x 1
		.amdhsa_system_sgpr_workgroup_id_y 0
		.amdhsa_system_sgpr_workgroup_id_z 0
		.amdhsa_system_sgpr_workgroup_info 0
		.amdhsa_system_vgpr_workitem_id 0
		.amdhsa_next_free_vgpr 49
		.amdhsa_next_free_sgpr 21
		.amdhsa_reserve_vcc 1
		.amdhsa_float_round_mode_32 0
		.amdhsa_float_round_mode_16_64 0
		.amdhsa_float_denorm_mode_32 3
		.amdhsa_float_denorm_mode_16_64 3
		.amdhsa_fp16_overflow 0
		.amdhsa_workgroup_processor_mode 1
		.amdhsa_memory_ordered 1
		.amdhsa_forward_progress 1
		.amdhsa_inst_pref_size 46
		.amdhsa_round_robin_scheduling 0
		.amdhsa_exception_fp_ieee_invalid_op 0
		.amdhsa_exception_fp_denorm_src 0
		.amdhsa_exception_fp_ieee_div_zero 0
		.amdhsa_exception_fp_ieee_overflow 0
		.amdhsa_exception_fp_ieee_underflow 0
		.amdhsa_exception_fp_ieee_inexact 0
		.amdhsa_exception_int_div_zero 0
	.end_amdhsa_kernel
	.section	.text._ZN7rocprim17ROCPRIM_400000_NS6detail17trampoline_kernelINS0_14default_configENS1_25partition_config_selectorILNS1_17partition_subalgoE6EN6thrust23THRUST_200600_302600_NS5tupleIyyNS7_9null_typeES9_S9_S9_S9_S9_S9_S9_EENS0_10empty_typeEbEEZZNS1_14partition_implILS5_6ELb0ES3_mNS7_12zip_iteratorINS8_INS7_6detail15normal_iteratorINS7_10device_ptrIyEEEESJ_S9_S9_S9_S9_S9_S9_S9_S9_EEEEPSB_SM_NS0_5tupleIJNSE_INS8_ISJ_NS7_16discard_iteratorINS7_11use_defaultEEES9_S9_S9_S9_S9_S9_S9_S9_EEEESB_EEENSN_IJSM_SM_EEESB_PlJNSF_9not_fun_tINSF_14equal_to_valueISA_EEEEEEE10hipError_tPvRmT3_T4_T5_T6_T7_T9_mT8_P12ihipStream_tbDpT10_ENKUlT_T0_E_clISt17integral_constantIbLb0EES1J_EEDaS1E_S1F_EUlS1E_E_NS1_11comp_targetILNS1_3genE10ELNS1_11target_archE1200ELNS1_3gpuE4ELNS1_3repE0EEENS1_30default_config_static_selectorELNS0_4arch9wavefront6targetE0EEEvT1_,"axG",@progbits,_ZN7rocprim17ROCPRIM_400000_NS6detail17trampoline_kernelINS0_14default_configENS1_25partition_config_selectorILNS1_17partition_subalgoE6EN6thrust23THRUST_200600_302600_NS5tupleIyyNS7_9null_typeES9_S9_S9_S9_S9_S9_S9_EENS0_10empty_typeEbEEZZNS1_14partition_implILS5_6ELb0ES3_mNS7_12zip_iteratorINS8_INS7_6detail15normal_iteratorINS7_10device_ptrIyEEEESJ_S9_S9_S9_S9_S9_S9_S9_S9_EEEEPSB_SM_NS0_5tupleIJNSE_INS8_ISJ_NS7_16discard_iteratorINS7_11use_defaultEEES9_S9_S9_S9_S9_S9_S9_S9_EEEESB_EEENSN_IJSM_SM_EEESB_PlJNSF_9not_fun_tINSF_14equal_to_valueISA_EEEEEEE10hipError_tPvRmT3_T4_T5_T6_T7_T9_mT8_P12ihipStream_tbDpT10_ENKUlT_T0_E_clISt17integral_constantIbLb0EES1J_EEDaS1E_S1F_EUlS1E_E_NS1_11comp_targetILNS1_3genE10ELNS1_11target_archE1200ELNS1_3gpuE4ELNS1_3repE0EEENS1_30default_config_static_selectorELNS0_4arch9wavefront6targetE0EEEvT1_,comdat
.Lfunc_end1890:
	.size	_ZN7rocprim17ROCPRIM_400000_NS6detail17trampoline_kernelINS0_14default_configENS1_25partition_config_selectorILNS1_17partition_subalgoE6EN6thrust23THRUST_200600_302600_NS5tupleIyyNS7_9null_typeES9_S9_S9_S9_S9_S9_S9_EENS0_10empty_typeEbEEZZNS1_14partition_implILS5_6ELb0ES3_mNS7_12zip_iteratorINS8_INS7_6detail15normal_iteratorINS7_10device_ptrIyEEEESJ_S9_S9_S9_S9_S9_S9_S9_S9_EEEEPSB_SM_NS0_5tupleIJNSE_INS8_ISJ_NS7_16discard_iteratorINS7_11use_defaultEEES9_S9_S9_S9_S9_S9_S9_S9_EEEESB_EEENSN_IJSM_SM_EEESB_PlJNSF_9not_fun_tINSF_14equal_to_valueISA_EEEEEEE10hipError_tPvRmT3_T4_T5_T6_T7_T9_mT8_P12ihipStream_tbDpT10_ENKUlT_T0_E_clISt17integral_constantIbLb0EES1J_EEDaS1E_S1F_EUlS1E_E_NS1_11comp_targetILNS1_3genE10ELNS1_11target_archE1200ELNS1_3gpuE4ELNS1_3repE0EEENS1_30default_config_static_selectorELNS0_4arch9wavefront6targetE0EEEvT1_, .Lfunc_end1890-_ZN7rocprim17ROCPRIM_400000_NS6detail17trampoline_kernelINS0_14default_configENS1_25partition_config_selectorILNS1_17partition_subalgoE6EN6thrust23THRUST_200600_302600_NS5tupleIyyNS7_9null_typeES9_S9_S9_S9_S9_S9_S9_EENS0_10empty_typeEbEEZZNS1_14partition_implILS5_6ELb0ES3_mNS7_12zip_iteratorINS8_INS7_6detail15normal_iteratorINS7_10device_ptrIyEEEESJ_S9_S9_S9_S9_S9_S9_S9_S9_EEEEPSB_SM_NS0_5tupleIJNSE_INS8_ISJ_NS7_16discard_iteratorINS7_11use_defaultEEES9_S9_S9_S9_S9_S9_S9_S9_EEEESB_EEENSN_IJSM_SM_EEESB_PlJNSF_9not_fun_tINSF_14equal_to_valueISA_EEEEEEE10hipError_tPvRmT3_T4_T5_T6_T7_T9_mT8_P12ihipStream_tbDpT10_ENKUlT_T0_E_clISt17integral_constantIbLb0EES1J_EEDaS1E_S1F_EUlS1E_E_NS1_11comp_targetILNS1_3genE10ELNS1_11target_archE1200ELNS1_3gpuE4ELNS1_3repE0EEENS1_30default_config_static_selectorELNS0_4arch9wavefront6targetE0EEEvT1_
                                        ; -- End function
	.set _ZN7rocprim17ROCPRIM_400000_NS6detail17trampoline_kernelINS0_14default_configENS1_25partition_config_selectorILNS1_17partition_subalgoE6EN6thrust23THRUST_200600_302600_NS5tupleIyyNS7_9null_typeES9_S9_S9_S9_S9_S9_S9_EENS0_10empty_typeEbEEZZNS1_14partition_implILS5_6ELb0ES3_mNS7_12zip_iteratorINS8_INS7_6detail15normal_iteratorINS7_10device_ptrIyEEEESJ_S9_S9_S9_S9_S9_S9_S9_S9_EEEEPSB_SM_NS0_5tupleIJNSE_INS8_ISJ_NS7_16discard_iteratorINS7_11use_defaultEEES9_S9_S9_S9_S9_S9_S9_S9_EEEESB_EEENSN_IJSM_SM_EEESB_PlJNSF_9not_fun_tINSF_14equal_to_valueISA_EEEEEEE10hipError_tPvRmT3_T4_T5_T6_T7_T9_mT8_P12ihipStream_tbDpT10_ENKUlT_T0_E_clISt17integral_constantIbLb0EES1J_EEDaS1E_S1F_EUlS1E_E_NS1_11comp_targetILNS1_3genE10ELNS1_11target_archE1200ELNS1_3gpuE4ELNS1_3repE0EEENS1_30default_config_static_selectorELNS0_4arch9wavefront6targetE0EEEvT1_.num_vgpr, 49
	.set _ZN7rocprim17ROCPRIM_400000_NS6detail17trampoline_kernelINS0_14default_configENS1_25partition_config_selectorILNS1_17partition_subalgoE6EN6thrust23THRUST_200600_302600_NS5tupleIyyNS7_9null_typeES9_S9_S9_S9_S9_S9_S9_EENS0_10empty_typeEbEEZZNS1_14partition_implILS5_6ELb0ES3_mNS7_12zip_iteratorINS8_INS7_6detail15normal_iteratorINS7_10device_ptrIyEEEESJ_S9_S9_S9_S9_S9_S9_S9_S9_EEEEPSB_SM_NS0_5tupleIJNSE_INS8_ISJ_NS7_16discard_iteratorINS7_11use_defaultEEES9_S9_S9_S9_S9_S9_S9_S9_EEEESB_EEENSN_IJSM_SM_EEESB_PlJNSF_9not_fun_tINSF_14equal_to_valueISA_EEEEEEE10hipError_tPvRmT3_T4_T5_T6_T7_T9_mT8_P12ihipStream_tbDpT10_ENKUlT_T0_E_clISt17integral_constantIbLb0EES1J_EEDaS1E_S1F_EUlS1E_E_NS1_11comp_targetILNS1_3genE10ELNS1_11target_archE1200ELNS1_3gpuE4ELNS1_3repE0EEENS1_30default_config_static_selectorELNS0_4arch9wavefront6targetE0EEEvT1_.num_agpr, 0
	.set _ZN7rocprim17ROCPRIM_400000_NS6detail17trampoline_kernelINS0_14default_configENS1_25partition_config_selectorILNS1_17partition_subalgoE6EN6thrust23THRUST_200600_302600_NS5tupleIyyNS7_9null_typeES9_S9_S9_S9_S9_S9_S9_EENS0_10empty_typeEbEEZZNS1_14partition_implILS5_6ELb0ES3_mNS7_12zip_iteratorINS8_INS7_6detail15normal_iteratorINS7_10device_ptrIyEEEESJ_S9_S9_S9_S9_S9_S9_S9_S9_EEEEPSB_SM_NS0_5tupleIJNSE_INS8_ISJ_NS7_16discard_iteratorINS7_11use_defaultEEES9_S9_S9_S9_S9_S9_S9_S9_EEEESB_EEENSN_IJSM_SM_EEESB_PlJNSF_9not_fun_tINSF_14equal_to_valueISA_EEEEEEE10hipError_tPvRmT3_T4_T5_T6_T7_T9_mT8_P12ihipStream_tbDpT10_ENKUlT_T0_E_clISt17integral_constantIbLb0EES1J_EEDaS1E_S1F_EUlS1E_E_NS1_11comp_targetILNS1_3genE10ELNS1_11target_archE1200ELNS1_3gpuE4ELNS1_3repE0EEENS1_30default_config_static_selectorELNS0_4arch9wavefront6targetE0EEEvT1_.numbered_sgpr, 21
	.set _ZN7rocprim17ROCPRIM_400000_NS6detail17trampoline_kernelINS0_14default_configENS1_25partition_config_selectorILNS1_17partition_subalgoE6EN6thrust23THRUST_200600_302600_NS5tupleIyyNS7_9null_typeES9_S9_S9_S9_S9_S9_S9_EENS0_10empty_typeEbEEZZNS1_14partition_implILS5_6ELb0ES3_mNS7_12zip_iteratorINS8_INS7_6detail15normal_iteratorINS7_10device_ptrIyEEEESJ_S9_S9_S9_S9_S9_S9_S9_S9_EEEEPSB_SM_NS0_5tupleIJNSE_INS8_ISJ_NS7_16discard_iteratorINS7_11use_defaultEEES9_S9_S9_S9_S9_S9_S9_S9_EEEESB_EEENSN_IJSM_SM_EEESB_PlJNSF_9not_fun_tINSF_14equal_to_valueISA_EEEEEEE10hipError_tPvRmT3_T4_T5_T6_T7_T9_mT8_P12ihipStream_tbDpT10_ENKUlT_T0_E_clISt17integral_constantIbLb0EES1J_EEDaS1E_S1F_EUlS1E_E_NS1_11comp_targetILNS1_3genE10ELNS1_11target_archE1200ELNS1_3gpuE4ELNS1_3repE0EEENS1_30default_config_static_selectorELNS0_4arch9wavefront6targetE0EEEvT1_.num_named_barrier, 0
	.set _ZN7rocprim17ROCPRIM_400000_NS6detail17trampoline_kernelINS0_14default_configENS1_25partition_config_selectorILNS1_17partition_subalgoE6EN6thrust23THRUST_200600_302600_NS5tupleIyyNS7_9null_typeES9_S9_S9_S9_S9_S9_S9_EENS0_10empty_typeEbEEZZNS1_14partition_implILS5_6ELb0ES3_mNS7_12zip_iteratorINS8_INS7_6detail15normal_iteratorINS7_10device_ptrIyEEEESJ_S9_S9_S9_S9_S9_S9_S9_S9_EEEEPSB_SM_NS0_5tupleIJNSE_INS8_ISJ_NS7_16discard_iteratorINS7_11use_defaultEEES9_S9_S9_S9_S9_S9_S9_S9_EEEESB_EEENSN_IJSM_SM_EEESB_PlJNSF_9not_fun_tINSF_14equal_to_valueISA_EEEEEEE10hipError_tPvRmT3_T4_T5_T6_T7_T9_mT8_P12ihipStream_tbDpT10_ENKUlT_T0_E_clISt17integral_constantIbLb0EES1J_EEDaS1E_S1F_EUlS1E_E_NS1_11comp_targetILNS1_3genE10ELNS1_11target_archE1200ELNS1_3gpuE4ELNS1_3repE0EEENS1_30default_config_static_selectorELNS0_4arch9wavefront6targetE0EEEvT1_.private_seg_size, 0
	.set _ZN7rocprim17ROCPRIM_400000_NS6detail17trampoline_kernelINS0_14default_configENS1_25partition_config_selectorILNS1_17partition_subalgoE6EN6thrust23THRUST_200600_302600_NS5tupleIyyNS7_9null_typeES9_S9_S9_S9_S9_S9_S9_EENS0_10empty_typeEbEEZZNS1_14partition_implILS5_6ELb0ES3_mNS7_12zip_iteratorINS8_INS7_6detail15normal_iteratorINS7_10device_ptrIyEEEESJ_S9_S9_S9_S9_S9_S9_S9_S9_EEEEPSB_SM_NS0_5tupleIJNSE_INS8_ISJ_NS7_16discard_iteratorINS7_11use_defaultEEES9_S9_S9_S9_S9_S9_S9_S9_EEEESB_EEENSN_IJSM_SM_EEESB_PlJNSF_9not_fun_tINSF_14equal_to_valueISA_EEEEEEE10hipError_tPvRmT3_T4_T5_T6_T7_T9_mT8_P12ihipStream_tbDpT10_ENKUlT_T0_E_clISt17integral_constantIbLb0EES1J_EEDaS1E_S1F_EUlS1E_E_NS1_11comp_targetILNS1_3genE10ELNS1_11target_archE1200ELNS1_3gpuE4ELNS1_3repE0EEENS1_30default_config_static_selectorELNS0_4arch9wavefront6targetE0EEEvT1_.uses_vcc, 1
	.set _ZN7rocprim17ROCPRIM_400000_NS6detail17trampoline_kernelINS0_14default_configENS1_25partition_config_selectorILNS1_17partition_subalgoE6EN6thrust23THRUST_200600_302600_NS5tupleIyyNS7_9null_typeES9_S9_S9_S9_S9_S9_S9_EENS0_10empty_typeEbEEZZNS1_14partition_implILS5_6ELb0ES3_mNS7_12zip_iteratorINS8_INS7_6detail15normal_iteratorINS7_10device_ptrIyEEEESJ_S9_S9_S9_S9_S9_S9_S9_S9_EEEEPSB_SM_NS0_5tupleIJNSE_INS8_ISJ_NS7_16discard_iteratorINS7_11use_defaultEEES9_S9_S9_S9_S9_S9_S9_S9_EEEESB_EEENSN_IJSM_SM_EEESB_PlJNSF_9not_fun_tINSF_14equal_to_valueISA_EEEEEEE10hipError_tPvRmT3_T4_T5_T6_T7_T9_mT8_P12ihipStream_tbDpT10_ENKUlT_T0_E_clISt17integral_constantIbLb0EES1J_EEDaS1E_S1F_EUlS1E_E_NS1_11comp_targetILNS1_3genE10ELNS1_11target_archE1200ELNS1_3gpuE4ELNS1_3repE0EEENS1_30default_config_static_selectorELNS0_4arch9wavefront6targetE0EEEvT1_.uses_flat_scratch, 0
	.set _ZN7rocprim17ROCPRIM_400000_NS6detail17trampoline_kernelINS0_14default_configENS1_25partition_config_selectorILNS1_17partition_subalgoE6EN6thrust23THRUST_200600_302600_NS5tupleIyyNS7_9null_typeES9_S9_S9_S9_S9_S9_S9_EENS0_10empty_typeEbEEZZNS1_14partition_implILS5_6ELb0ES3_mNS7_12zip_iteratorINS8_INS7_6detail15normal_iteratorINS7_10device_ptrIyEEEESJ_S9_S9_S9_S9_S9_S9_S9_S9_EEEEPSB_SM_NS0_5tupleIJNSE_INS8_ISJ_NS7_16discard_iteratorINS7_11use_defaultEEES9_S9_S9_S9_S9_S9_S9_S9_EEEESB_EEENSN_IJSM_SM_EEESB_PlJNSF_9not_fun_tINSF_14equal_to_valueISA_EEEEEEE10hipError_tPvRmT3_T4_T5_T6_T7_T9_mT8_P12ihipStream_tbDpT10_ENKUlT_T0_E_clISt17integral_constantIbLb0EES1J_EEDaS1E_S1F_EUlS1E_E_NS1_11comp_targetILNS1_3genE10ELNS1_11target_archE1200ELNS1_3gpuE4ELNS1_3repE0EEENS1_30default_config_static_selectorELNS0_4arch9wavefront6targetE0EEEvT1_.has_dyn_sized_stack, 0
	.set _ZN7rocprim17ROCPRIM_400000_NS6detail17trampoline_kernelINS0_14default_configENS1_25partition_config_selectorILNS1_17partition_subalgoE6EN6thrust23THRUST_200600_302600_NS5tupleIyyNS7_9null_typeES9_S9_S9_S9_S9_S9_S9_EENS0_10empty_typeEbEEZZNS1_14partition_implILS5_6ELb0ES3_mNS7_12zip_iteratorINS8_INS7_6detail15normal_iteratorINS7_10device_ptrIyEEEESJ_S9_S9_S9_S9_S9_S9_S9_S9_EEEEPSB_SM_NS0_5tupleIJNSE_INS8_ISJ_NS7_16discard_iteratorINS7_11use_defaultEEES9_S9_S9_S9_S9_S9_S9_S9_EEEESB_EEENSN_IJSM_SM_EEESB_PlJNSF_9not_fun_tINSF_14equal_to_valueISA_EEEEEEE10hipError_tPvRmT3_T4_T5_T6_T7_T9_mT8_P12ihipStream_tbDpT10_ENKUlT_T0_E_clISt17integral_constantIbLb0EES1J_EEDaS1E_S1F_EUlS1E_E_NS1_11comp_targetILNS1_3genE10ELNS1_11target_archE1200ELNS1_3gpuE4ELNS1_3repE0EEENS1_30default_config_static_selectorELNS0_4arch9wavefront6targetE0EEEvT1_.has_recursion, 0
	.set _ZN7rocprim17ROCPRIM_400000_NS6detail17trampoline_kernelINS0_14default_configENS1_25partition_config_selectorILNS1_17partition_subalgoE6EN6thrust23THRUST_200600_302600_NS5tupleIyyNS7_9null_typeES9_S9_S9_S9_S9_S9_S9_EENS0_10empty_typeEbEEZZNS1_14partition_implILS5_6ELb0ES3_mNS7_12zip_iteratorINS8_INS7_6detail15normal_iteratorINS7_10device_ptrIyEEEESJ_S9_S9_S9_S9_S9_S9_S9_S9_EEEEPSB_SM_NS0_5tupleIJNSE_INS8_ISJ_NS7_16discard_iteratorINS7_11use_defaultEEES9_S9_S9_S9_S9_S9_S9_S9_EEEESB_EEENSN_IJSM_SM_EEESB_PlJNSF_9not_fun_tINSF_14equal_to_valueISA_EEEEEEE10hipError_tPvRmT3_T4_T5_T6_T7_T9_mT8_P12ihipStream_tbDpT10_ENKUlT_T0_E_clISt17integral_constantIbLb0EES1J_EEDaS1E_S1F_EUlS1E_E_NS1_11comp_targetILNS1_3genE10ELNS1_11target_archE1200ELNS1_3gpuE4ELNS1_3repE0EEENS1_30default_config_static_selectorELNS0_4arch9wavefront6targetE0EEEvT1_.has_indirect_call, 0
	.section	.AMDGPU.csdata,"",@progbits
; Kernel info:
; codeLenInByte = 5824
; TotalNumSgprs: 23
; NumVgprs: 49
; ScratchSize: 0
; MemoryBound: 0
; FloatMode: 240
; IeeeMode: 1
; LDSByteSize: 12304 bytes/workgroup (compile time only)
; SGPRBlocks: 0
; VGPRBlocks: 6
; NumSGPRsForWavesPerEU: 23
; NumVGPRsForWavesPerEU: 49
; Occupancy: 16
; WaveLimiterHint : 1
; COMPUTE_PGM_RSRC2:SCRATCH_EN: 0
; COMPUTE_PGM_RSRC2:USER_SGPR: 2
; COMPUTE_PGM_RSRC2:TRAP_HANDLER: 0
; COMPUTE_PGM_RSRC2:TGID_X_EN: 1
; COMPUTE_PGM_RSRC2:TGID_Y_EN: 0
; COMPUTE_PGM_RSRC2:TGID_Z_EN: 0
; COMPUTE_PGM_RSRC2:TIDIG_COMP_CNT: 0
	.section	.text._ZN7rocprim17ROCPRIM_400000_NS6detail17trampoline_kernelINS0_14default_configENS1_25partition_config_selectorILNS1_17partition_subalgoE6EN6thrust23THRUST_200600_302600_NS5tupleIyyNS7_9null_typeES9_S9_S9_S9_S9_S9_S9_EENS0_10empty_typeEbEEZZNS1_14partition_implILS5_6ELb0ES3_mNS7_12zip_iteratorINS8_INS7_6detail15normal_iteratorINS7_10device_ptrIyEEEESJ_S9_S9_S9_S9_S9_S9_S9_S9_EEEEPSB_SM_NS0_5tupleIJNSE_INS8_ISJ_NS7_16discard_iteratorINS7_11use_defaultEEES9_S9_S9_S9_S9_S9_S9_S9_EEEESB_EEENSN_IJSM_SM_EEESB_PlJNSF_9not_fun_tINSF_14equal_to_valueISA_EEEEEEE10hipError_tPvRmT3_T4_T5_T6_T7_T9_mT8_P12ihipStream_tbDpT10_ENKUlT_T0_E_clISt17integral_constantIbLb0EES1J_EEDaS1E_S1F_EUlS1E_E_NS1_11comp_targetILNS1_3genE9ELNS1_11target_archE1100ELNS1_3gpuE3ELNS1_3repE0EEENS1_30default_config_static_selectorELNS0_4arch9wavefront6targetE0EEEvT1_,"axG",@progbits,_ZN7rocprim17ROCPRIM_400000_NS6detail17trampoline_kernelINS0_14default_configENS1_25partition_config_selectorILNS1_17partition_subalgoE6EN6thrust23THRUST_200600_302600_NS5tupleIyyNS7_9null_typeES9_S9_S9_S9_S9_S9_S9_EENS0_10empty_typeEbEEZZNS1_14partition_implILS5_6ELb0ES3_mNS7_12zip_iteratorINS8_INS7_6detail15normal_iteratorINS7_10device_ptrIyEEEESJ_S9_S9_S9_S9_S9_S9_S9_S9_EEEEPSB_SM_NS0_5tupleIJNSE_INS8_ISJ_NS7_16discard_iteratorINS7_11use_defaultEEES9_S9_S9_S9_S9_S9_S9_S9_EEEESB_EEENSN_IJSM_SM_EEESB_PlJNSF_9not_fun_tINSF_14equal_to_valueISA_EEEEEEE10hipError_tPvRmT3_T4_T5_T6_T7_T9_mT8_P12ihipStream_tbDpT10_ENKUlT_T0_E_clISt17integral_constantIbLb0EES1J_EEDaS1E_S1F_EUlS1E_E_NS1_11comp_targetILNS1_3genE9ELNS1_11target_archE1100ELNS1_3gpuE3ELNS1_3repE0EEENS1_30default_config_static_selectorELNS0_4arch9wavefront6targetE0EEEvT1_,comdat
	.protected	_ZN7rocprim17ROCPRIM_400000_NS6detail17trampoline_kernelINS0_14default_configENS1_25partition_config_selectorILNS1_17partition_subalgoE6EN6thrust23THRUST_200600_302600_NS5tupleIyyNS7_9null_typeES9_S9_S9_S9_S9_S9_S9_EENS0_10empty_typeEbEEZZNS1_14partition_implILS5_6ELb0ES3_mNS7_12zip_iteratorINS8_INS7_6detail15normal_iteratorINS7_10device_ptrIyEEEESJ_S9_S9_S9_S9_S9_S9_S9_S9_EEEEPSB_SM_NS0_5tupleIJNSE_INS8_ISJ_NS7_16discard_iteratorINS7_11use_defaultEEES9_S9_S9_S9_S9_S9_S9_S9_EEEESB_EEENSN_IJSM_SM_EEESB_PlJNSF_9not_fun_tINSF_14equal_to_valueISA_EEEEEEE10hipError_tPvRmT3_T4_T5_T6_T7_T9_mT8_P12ihipStream_tbDpT10_ENKUlT_T0_E_clISt17integral_constantIbLb0EES1J_EEDaS1E_S1F_EUlS1E_E_NS1_11comp_targetILNS1_3genE9ELNS1_11target_archE1100ELNS1_3gpuE3ELNS1_3repE0EEENS1_30default_config_static_selectorELNS0_4arch9wavefront6targetE0EEEvT1_ ; -- Begin function _ZN7rocprim17ROCPRIM_400000_NS6detail17trampoline_kernelINS0_14default_configENS1_25partition_config_selectorILNS1_17partition_subalgoE6EN6thrust23THRUST_200600_302600_NS5tupleIyyNS7_9null_typeES9_S9_S9_S9_S9_S9_S9_EENS0_10empty_typeEbEEZZNS1_14partition_implILS5_6ELb0ES3_mNS7_12zip_iteratorINS8_INS7_6detail15normal_iteratorINS7_10device_ptrIyEEEESJ_S9_S9_S9_S9_S9_S9_S9_S9_EEEEPSB_SM_NS0_5tupleIJNSE_INS8_ISJ_NS7_16discard_iteratorINS7_11use_defaultEEES9_S9_S9_S9_S9_S9_S9_S9_EEEESB_EEENSN_IJSM_SM_EEESB_PlJNSF_9not_fun_tINSF_14equal_to_valueISA_EEEEEEE10hipError_tPvRmT3_T4_T5_T6_T7_T9_mT8_P12ihipStream_tbDpT10_ENKUlT_T0_E_clISt17integral_constantIbLb0EES1J_EEDaS1E_S1F_EUlS1E_E_NS1_11comp_targetILNS1_3genE9ELNS1_11target_archE1100ELNS1_3gpuE3ELNS1_3repE0EEENS1_30default_config_static_selectorELNS0_4arch9wavefront6targetE0EEEvT1_
	.globl	_ZN7rocprim17ROCPRIM_400000_NS6detail17trampoline_kernelINS0_14default_configENS1_25partition_config_selectorILNS1_17partition_subalgoE6EN6thrust23THRUST_200600_302600_NS5tupleIyyNS7_9null_typeES9_S9_S9_S9_S9_S9_S9_EENS0_10empty_typeEbEEZZNS1_14partition_implILS5_6ELb0ES3_mNS7_12zip_iteratorINS8_INS7_6detail15normal_iteratorINS7_10device_ptrIyEEEESJ_S9_S9_S9_S9_S9_S9_S9_S9_EEEEPSB_SM_NS0_5tupleIJNSE_INS8_ISJ_NS7_16discard_iteratorINS7_11use_defaultEEES9_S9_S9_S9_S9_S9_S9_S9_EEEESB_EEENSN_IJSM_SM_EEESB_PlJNSF_9not_fun_tINSF_14equal_to_valueISA_EEEEEEE10hipError_tPvRmT3_T4_T5_T6_T7_T9_mT8_P12ihipStream_tbDpT10_ENKUlT_T0_E_clISt17integral_constantIbLb0EES1J_EEDaS1E_S1F_EUlS1E_E_NS1_11comp_targetILNS1_3genE9ELNS1_11target_archE1100ELNS1_3gpuE3ELNS1_3repE0EEENS1_30default_config_static_selectorELNS0_4arch9wavefront6targetE0EEEvT1_
	.p2align	8
	.type	_ZN7rocprim17ROCPRIM_400000_NS6detail17trampoline_kernelINS0_14default_configENS1_25partition_config_selectorILNS1_17partition_subalgoE6EN6thrust23THRUST_200600_302600_NS5tupleIyyNS7_9null_typeES9_S9_S9_S9_S9_S9_S9_EENS0_10empty_typeEbEEZZNS1_14partition_implILS5_6ELb0ES3_mNS7_12zip_iteratorINS8_INS7_6detail15normal_iteratorINS7_10device_ptrIyEEEESJ_S9_S9_S9_S9_S9_S9_S9_S9_EEEEPSB_SM_NS0_5tupleIJNSE_INS8_ISJ_NS7_16discard_iteratorINS7_11use_defaultEEES9_S9_S9_S9_S9_S9_S9_S9_EEEESB_EEENSN_IJSM_SM_EEESB_PlJNSF_9not_fun_tINSF_14equal_to_valueISA_EEEEEEE10hipError_tPvRmT3_T4_T5_T6_T7_T9_mT8_P12ihipStream_tbDpT10_ENKUlT_T0_E_clISt17integral_constantIbLb0EES1J_EEDaS1E_S1F_EUlS1E_E_NS1_11comp_targetILNS1_3genE9ELNS1_11target_archE1100ELNS1_3gpuE3ELNS1_3repE0EEENS1_30default_config_static_selectorELNS0_4arch9wavefront6targetE0EEEvT1_,@function
_ZN7rocprim17ROCPRIM_400000_NS6detail17trampoline_kernelINS0_14default_configENS1_25partition_config_selectorILNS1_17partition_subalgoE6EN6thrust23THRUST_200600_302600_NS5tupleIyyNS7_9null_typeES9_S9_S9_S9_S9_S9_S9_EENS0_10empty_typeEbEEZZNS1_14partition_implILS5_6ELb0ES3_mNS7_12zip_iteratorINS8_INS7_6detail15normal_iteratorINS7_10device_ptrIyEEEESJ_S9_S9_S9_S9_S9_S9_S9_S9_EEEEPSB_SM_NS0_5tupleIJNSE_INS8_ISJ_NS7_16discard_iteratorINS7_11use_defaultEEES9_S9_S9_S9_S9_S9_S9_S9_EEEESB_EEENSN_IJSM_SM_EEESB_PlJNSF_9not_fun_tINSF_14equal_to_valueISA_EEEEEEE10hipError_tPvRmT3_T4_T5_T6_T7_T9_mT8_P12ihipStream_tbDpT10_ENKUlT_T0_E_clISt17integral_constantIbLb0EES1J_EEDaS1E_S1F_EUlS1E_E_NS1_11comp_targetILNS1_3genE9ELNS1_11target_archE1100ELNS1_3gpuE3ELNS1_3repE0EEENS1_30default_config_static_selectorELNS0_4arch9wavefront6targetE0EEEvT1_: ; @_ZN7rocprim17ROCPRIM_400000_NS6detail17trampoline_kernelINS0_14default_configENS1_25partition_config_selectorILNS1_17partition_subalgoE6EN6thrust23THRUST_200600_302600_NS5tupleIyyNS7_9null_typeES9_S9_S9_S9_S9_S9_S9_EENS0_10empty_typeEbEEZZNS1_14partition_implILS5_6ELb0ES3_mNS7_12zip_iteratorINS8_INS7_6detail15normal_iteratorINS7_10device_ptrIyEEEESJ_S9_S9_S9_S9_S9_S9_S9_S9_EEEEPSB_SM_NS0_5tupleIJNSE_INS8_ISJ_NS7_16discard_iteratorINS7_11use_defaultEEES9_S9_S9_S9_S9_S9_S9_S9_EEEESB_EEENSN_IJSM_SM_EEESB_PlJNSF_9not_fun_tINSF_14equal_to_valueISA_EEEEEEE10hipError_tPvRmT3_T4_T5_T6_T7_T9_mT8_P12ihipStream_tbDpT10_ENKUlT_T0_E_clISt17integral_constantIbLb0EES1J_EEDaS1E_S1F_EUlS1E_E_NS1_11comp_targetILNS1_3genE9ELNS1_11target_archE1100ELNS1_3gpuE3ELNS1_3repE0EEENS1_30default_config_static_selectorELNS0_4arch9wavefront6targetE0EEEvT1_
; %bb.0:
	.section	.rodata,"a",@progbits
	.p2align	6, 0x0
	.amdhsa_kernel _ZN7rocprim17ROCPRIM_400000_NS6detail17trampoline_kernelINS0_14default_configENS1_25partition_config_selectorILNS1_17partition_subalgoE6EN6thrust23THRUST_200600_302600_NS5tupleIyyNS7_9null_typeES9_S9_S9_S9_S9_S9_S9_EENS0_10empty_typeEbEEZZNS1_14partition_implILS5_6ELb0ES3_mNS7_12zip_iteratorINS8_INS7_6detail15normal_iteratorINS7_10device_ptrIyEEEESJ_S9_S9_S9_S9_S9_S9_S9_S9_EEEEPSB_SM_NS0_5tupleIJNSE_INS8_ISJ_NS7_16discard_iteratorINS7_11use_defaultEEES9_S9_S9_S9_S9_S9_S9_S9_EEEESB_EEENSN_IJSM_SM_EEESB_PlJNSF_9not_fun_tINSF_14equal_to_valueISA_EEEEEEE10hipError_tPvRmT3_T4_T5_T6_T7_T9_mT8_P12ihipStream_tbDpT10_ENKUlT_T0_E_clISt17integral_constantIbLb0EES1J_EEDaS1E_S1F_EUlS1E_E_NS1_11comp_targetILNS1_3genE9ELNS1_11target_archE1100ELNS1_3gpuE3ELNS1_3repE0EEENS1_30default_config_static_selectorELNS0_4arch9wavefront6targetE0EEEvT1_
		.amdhsa_group_segment_fixed_size 0
		.amdhsa_private_segment_fixed_size 0
		.amdhsa_kernarg_size 152
		.amdhsa_user_sgpr_count 2
		.amdhsa_user_sgpr_dispatch_ptr 0
		.amdhsa_user_sgpr_queue_ptr 0
		.amdhsa_user_sgpr_kernarg_segment_ptr 1
		.amdhsa_user_sgpr_dispatch_id 0
		.amdhsa_user_sgpr_private_segment_size 0
		.amdhsa_wavefront_size32 1
		.amdhsa_uses_dynamic_stack 0
		.amdhsa_enable_private_segment 0
		.amdhsa_system_sgpr_workgroup_id_x 1
		.amdhsa_system_sgpr_workgroup_id_y 0
		.amdhsa_system_sgpr_workgroup_id_z 0
		.amdhsa_system_sgpr_workgroup_info 0
		.amdhsa_system_vgpr_workitem_id 0
		.amdhsa_next_free_vgpr 1
		.amdhsa_next_free_sgpr 1
		.amdhsa_reserve_vcc 0
		.amdhsa_float_round_mode_32 0
		.amdhsa_float_round_mode_16_64 0
		.amdhsa_float_denorm_mode_32 3
		.amdhsa_float_denorm_mode_16_64 3
		.amdhsa_fp16_overflow 0
		.amdhsa_workgroup_processor_mode 1
		.amdhsa_memory_ordered 1
		.amdhsa_forward_progress 1
		.amdhsa_inst_pref_size 0
		.amdhsa_round_robin_scheduling 0
		.amdhsa_exception_fp_ieee_invalid_op 0
		.amdhsa_exception_fp_denorm_src 0
		.amdhsa_exception_fp_ieee_div_zero 0
		.amdhsa_exception_fp_ieee_overflow 0
		.amdhsa_exception_fp_ieee_underflow 0
		.amdhsa_exception_fp_ieee_inexact 0
		.amdhsa_exception_int_div_zero 0
	.end_amdhsa_kernel
	.section	.text._ZN7rocprim17ROCPRIM_400000_NS6detail17trampoline_kernelINS0_14default_configENS1_25partition_config_selectorILNS1_17partition_subalgoE6EN6thrust23THRUST_200600_302600_NS5tupleIyyNS7_9null_typeES9_S9_S9_S9_S9_S9_S9_EENS0_10empty_typeEbEEZZNS1_14partition_implILS5_6ELb0ES3_mNS7_12zip_iteratorINS8_INS7_6detail15normal_iteratorINS7_10device_ptrIyEEEESJ_S9_S9_S9_S9_S9_S9_S9_S9_EEEEPSB_SM_NS0_5tupleIJNSE_INS8_ISJ_NS7_16discard_iteratorINS7_11use_defaultEEES9_S9_S9_S9_S9_S9_S9_S9_EEEESB_EEENSN_IJSM_SM_EEESB_PlJNSF_9not_fun_tINSF_14equal_to_valueISA_EEEEEEE10hipError_tPvRmT3_T4_T5_T6_T7_T9_mT8_P12ihipStream_tbDpT10_ENKUlT_T0_E_clISt17integral_constantIbLb0EES1J_EEDaS1E_S1F_EUlS1E_E_NS1_11comp_targetILNS1_3genE9ELNS1_11target_archE1100ELNS1_3gpuE3ELNS1_3repE0EEENS1_30default_config_static_selectorELNS0_4arch9wavefront6targetE0EEEvT1_,"axG",@progbits,_ZN7rocprim17ROCPRIM_400000_NS6detail17trampoline_kernelINS0_14default_configENS1_25partition_config_selectorILNS1_17partition_subalgoE6EN6thrust23THRUST_200600_302600_NS5tupleIyyNS7_9null_typeES9_S9_S9_S9_S9_S9_S9_EENS0_10empty_typeEbEEZZNS1_14partition_implILS5_6ELb0ES3_mNS7_12zip_iteratorINS8_INS7_6detail15normal_iteratorINS7_10device_ptrIyEEEESJ_S9_S9_S9_S9_S9_S9_S9_S9_EEEEPSB_SM_NS0_5tupleIJNSE_INS8_ISJ_NS7_16discard_iteratorINS7_11use_defaultEEES9_S9_S9_S9_S9_S9_S9_S9_EEEESB_EEENSN_IJSM_SM_EEESB_PlJNSF_9not_fun_tINSF_14equal_to_valueISA_EEEEEEE10hipError_tPvRmT3_T4_T5_T6_T7_T9_mT8_P12ihipStream_tbDpT10_ENKUlT_T0_E_clISt17integral_constantIbLb0EES1J_EEDaS1E_S1F_EUlS1E_E_NS1_11comp_targetILNS1_3genE9ELNS1_11target_archE1100ELNS1_3gpuE3ELNS1_3repE0EEENS1_30default_config_static_selectorELNS0_4arch9wavefront6targetE0EEEvT1_,comdat
.Lfunc_end1891:
	.size	_ZN7rocprim17ROCPRIM_400000_NS6detail17trampoline_kernelINS0_14default_configENS1_25partition_config_selectorILNS1_17partition_subalgoE6EN6thrust23THRUST_200600_302600_NS5tupleIyyNS7_9null_typeES9_S9_S9_S9_S9_S9_S9_EENS0_10empty_typeEbEEZZNS1_14partition_implILS5_6ELb0ES3_mNS7_12zip_iteratorINS8_INS7_6detail15normal_iteratorINS7_10device_ptrIyEEEESJ_S9_S9_S9_S9_S9_S9_S9_S9_EEEEPSB_SM_NS0_5tupleIJNSE_INS8_ISJ_NS7_16discard_iteratorINS7_11use_defaultEEES9_S9_S9_S9_S9_S9_S9_S9_EEEESB_EEENSN_IJSM_SM_EEESB_PlJNSF_9not_fun_tINSF_14equal_to_valueISA_EEEEEEE10hipError_tPvRmT3_T4_T5_T6_T7_T9_mT8_P12ihipStream_tbDpT10_ENKUlT_T0_E_clISt17integral_constantIbLb0EES1J_EEDaS1E_S1F_EUlS1E_E_NS1_11comp_targetILNS1_3genE9ELNS1_11target_archE1100ELNS1_3gpuE3ELNS1_3repE0EEENS1_30default_config_static_selectorELNS0_4arch9wavefront6targetE0EEEvT1_, .Lfunc_end1891-_ZN7rocprim17ROCPRIM_400000_NS6detail17trampoline_kernelINS0_14default_configENS1_25partition_config_selectorILNS1_17partition_subalgoE6EN6thrust23THRUST_200600_302600_NS5tupleIyyNS7_9null_typeES9_S9_S9_S9_S9_S9_S9_EENS0_10empty_typeEbEEZZNS1_14partition_implILS5_6ELb0ES3_mNS7_12zip_iteratorINS8_INS7_6detail15normal_iteratorINS7_10device_ptrIyEEEESJ_S9_S9_S9_S9_S9_S9_S9_S9_EEEEPSB_SM_NS0_5tupleIJNSE_INS8_ISJ_NS7_16discard_iteratorINS7_11use_defaultEEES9_S9_S9_S9_S9_S9_S9_S9_EEEESB_EEENSN_IJSM_SM_EEESB_PlJNSF_9not_fun_tINSF_14equal_to_valueISA_EEEEEEE10hipError_tPvRmT3_T4_T5_T6_T7_T9_mT8_P12ihipStream_tbDpT10_ENKUlT_T0_E_clISt17integral_constantIbLb0EES1J_EEDaS1E_S1F_EUlS1E_E_NS1_11comp_targetILNS1_3genE9ELNS1_11target_archE1100ELNS1_3gpuE3ELNS1_3repE0EEENS1_30default_config_static_selectorELNS0_4arch9wavefront6targetE0EEEvT1_
                                        ; -- End function
	.set _ZN7rocprim17ROCPRIM_400000_NS6detail17trampoline_kernelINS0_14default_configENS1_25partition_config_selectorILNS1_17partition_subalgoE6EN6thrust23THRUST_200600_302600_NS5tupleIyyNS7_9null_typeES9_S9_S9_S9_S9_S9_S9_EENS0_10empty_typeEbEEZZNS1_14partition_implILS5_6ELb0ES3_mNS7_12zip_iteratorINS8_INS7_6detail15normal_iteratorINS7_10device_ptrIyEEEESJ_S9_S9_S9_S9_S9_S9_S9_S9_EEEEPSB_SM_NS0_5tupleIJNSE_INS8_ISJ_NS7_16discard_iteratorINS7_11use_defaultEEES9_S9_S9_S9_S9_S9_S9_S9_EEEESB_EEENSN_IJSM_SM_EEESB_PlJNSF_9not_fun_tINSF_14equal_to_valueISA_EEEEEEE10hipError_tPvRmT3_T4_T5_T6_T7_T9_mT8_P12ihipStream_tbDpT10_ENKUlT_T0_E_clISt17integral_constantIbLb0EES1J_EEDaS1E_S1F_EUlS1E_E_NS1_11comp_targetILNS1_3genE9ELNS1_11target_archE1100ELNS1_3gpuE3ELNS1_3repE0EEENS1_30default_config_static_selectorELNS0_4arch9wavefront6targetE0EEEvT1_.num_vgpr, 0
	.set _ZN7rocprim17ROCPRIM_400000_NS6detail17trampoline_kernelINS0_14default_configENS1_25partition_config_selectorILNS1_17partition_subalgoE6EN6thrust23THRUST_200600_302600_NS5tupleIyyNS7_9null_typeES9_S9_S9_S9_S9_S9_S9_EENS0_10empty_typeEbEEZZNS1_14partition_implILS5_6ELb0ES3_mNS7_12zip_iteratorINS8_INS7_6detail15normal_iteratorINS7_10device_ptrIyEEEESJ_S9_S9_S9_S9_S9_S9_S9_S9_EEEEPSB_SM_NS0_5tupleIJNSE_INS8_ISJ_NS7_16discard_iteratorINS7_11use_defaultEEES9_S9_S9_S9_S9_S9_S9_S9_EEEESB_EEENSN_IJSM_SM_EEESB_PlJNSF_9not_fun_tINSF_14equal_to_valueISA_EEEEEEE10hipError_tPvRmT3_T4_T5_T6_T7_T9_mT8_P12ihipStream_tbDpT10_ENKUlT_T0_E_clISt17integral_constantIbLb0EES1J_EEDaS1E_S1F_EUlS1E_E_NS1_11comp_targetILNS1_3genE9ELNS1_11target_archE1100ELNS1_3gpuE3ELNS1_3repE0EEENS1_30default_config_static_selectorELNS0_4arch9wavefront6targetE0EEEvT1_.num_agpr, 0
	.set _ZN7rocprim17ROCPRIM_400000_NS6detail17trampoline_kernelINS0_14default_configENS1_25partition_config_selectorILNS1_17partition_subalgoE6EN6thrust23THRUST_200600_302600_NS5tupleIyyNS7_9null_typeES9_S9_S9_S9_S9_S9_S9_EENS0_10empty_typeEbEEZZNS1_14partition_implILS5_6ELb0ES3_mNS7_12zip_iteratorINS8_INS7_6detail15normal_iteratorINS7_10device_ptrIyEEEESJ_S9_S9_S9_S9_S9_S9_S9_S9_EEEEPSB_SM_NS0_5tupleIJNSE_INS8_ISJ_NS7_16discard_iteratorINS7_11use_defaultEEES9_S9_S9_S9_S9_S9_S9_S9_EEEESB_EEENSN_IJSM_SM_EEESB_PlJNSF_9not_fun_tINSF_14equal_to_valueISA_EEEEEEE10hipError_tPvRmT3_T4_T5_T6_T7_T9_mT8_P12ihipStream_tbDpT10_ENKUlT_T0_E_clISt17integral_constantIbLb0EES1J_EEDaS1E_S1F_EUlS1E_E_NS1_11comp_targetILNS1_3genE9ELNS1_11target_archE1100ELNS1_3gpuE3ELNS1_3repE0EEENS1_30default_config_static_selectorELNS0_4arch9wavefront6targetE0EEEvT1_.numbered_sgpr, 0
	.set _ZN7rocprim17ROCPRIM_400000_NS6detail17trampoline_kernelINS0_14default_configENS1_25partition_config_selectorILNS1_17partition_subalgoE6EN6thrust23THRUST_200600_302600_NS5tupleIyyNS7_9null_typeES9_S9_S9_S9_S9_S9_S9_EENS0_10empty_typeEbEEZZNS1_14partition_implILS5_6ELb0ES3_mNS7_12zip_iteratorINS8_INS7_6detail15normal_iteratorINS7_10device_ptrIyEEEESJ_S9_S9_S9_S9_S9_S9_S9_S9_EEEEPSB_SM_NS0_5tupleIJNSE_INS8_ISJ_NS7_16discard_iteratorINS7_11use_defaultEEES9_S9_S9_S9_S9_S9_S9_S9_EEEESB_EEENSN_IJSM_SM_EEESB_PlJNSF_9not_fun_tINSF_14equal_to_valueISA_EEEEEEE10hipError_tPvRmT3_T4_T5_T6_T7_T9_mT8_P12ihipStream_tbDpT10_ENKUlT_T0_E_clISt17integral_constantIbLb0EES1J_EEDaS1E_S1F_EUlS1E_E_NS1_11comp_targetILNS1_3genE9ELNS1_11target_archE1100ELNS1_3gpuE3ELNS1_3repE0EEENS1_30default_config_static_selectorELNS0_4arch9wavefront6targetE0EEEvT1_.num_named_barrier, 0
	.set _ZN7rocprim17ROCPRIM_400000_NS6detail17trampoline_kernelINS0_14default_configENS1_25partition_config_selectorILNS1_17partition_subalgoE6EN6thrust23THRUST_200600_302600_NS5tupleIyyNS7_9null_typeES9_S9_S9_S9_S9_S9_S9_EENS0_10empty_typeEbEEZZNS1_14partition_implILS5_6ELb0ES3_mNS7_12zip_iteratorINS8_INS7_6detail15normal_iteratorINS7_10device_ptrIyEEEESJ_S9_S9_S9_S9_S9_S9_S9_S9_EEEEPSB_SM_NS0_5tupleIJNSE_INS8_ISJ_NS7_16discard_iteratorINS7_11use_defaultEEES9_S9_S9_S9_S9_S9_S9_S9_EEEESB_EEENSN_IJSM_SM_EEESB_PlJNSF_9not_fun_tINSF_14equal_to_valueISA_EEEEEEE10hipError_tPvRmT3_T4_T5_T6_T7_T9_mT8_P12ihipStream_tbDpT10_ENKUlT_T0_E_clISt17integral_constantIbLb0EES1J_EEDaS1E_S1F_EUlS1E_E_NS1_11comp_targetILNS1_3genE9ELNS1_11target_archE1100ELNS1_3gpuE3ELNS1_3repE0EEENS1_30default_config_static_selectorELNS0_4arch9wavefront6targetE0EEEvT1_.private_seg_size, 0
	.set _ZN7rocprim17ROCPRIM_400000_NS6detail17trampoline_kernelINS0_14default_configENS1_25partition_config_selectorILNS1_17partition_subalgoE6EN6thrust23THRUST_200600_302600_NS5tupleIyyNS7_9null_typeES9_S9_S9_S9_S9_S9_S9_EENS0_10empty_typeEbEEZZNS1_14partition_implILS5_6ELb0ES3_mNS7_12zip_iteratorINS8_INS7_6detail15normal_iteratorINS7_10device_ptrIyEEEESJ_S9_S9_S9_S9_S9_S9_S9_S9_EEEEPSB_SM_NS0_5tupleIJNSE_INS8_ISJ_NS7_16discard_iteratorINS7_11use_defaultEEES9_S9_S9_S9_S9_S9_S9_S9_EEEESB_EEENSN_IJSM_SM_EEESB_PlJNSF_9not_fun_tINSF_14equal_to_valueISA_EEEEEEE10hipError_tPvRmT3_T4_T5_T6_T7_T9_mT8_P12ihipStream_tbDpT10_ENKUlT_T0_E_clISt17integral_constantIbLb0EES1J_EEDaS1E_S1F_EUlS1E_E_NS1_11comp_targetILNS1_3genE9ELNS1_11target_archE1100ELNS1_3gpuE3ELNS1_3repE0EEENS1_30default_config_static_selectorELNS0_4arch9wavefront6targetE0EEEvT1_.uses_vcc, 0
	.set _ZN7rocprim17ROCPRIM_400000_NS6detail17trampoline_kernelINS0_14default_configENS1_25partition_config_selectorILNS1_17partition_subalgoE6EN6thrust23THRUST_200600_302600_NS5tupleIyyNS7_9null_typeES9_S9_S9_S9_S9_S9_S9_EENS0_10empty_typeEbEEZZNS1_14partition_implILS5_6ELb0ES3_mNS7_12zip_iteratorINS8_INS7_6detail15normal_iteratorINS7_10device_ptrIyEEEESJ_S9_S9_S9_S9_S9_S9_S9_S9_EEEEPSB_SM_NS0_5tupleIJNSE_INS8_ISJ_NS7_16discard_iteratorINS7_11use_defaultEEES9_S9_S9_S9_S9_S9_S9_S9_EEEESB_EEENSN_IJSM_SM_EEESB_PlJNSF_9not_fun_tINSF_14equal_to_valueISA_EEEEEEE10hipError_tPvRmT3_T4_T5_T6_T7_T9_mT8_P12ihipStream_tbDpT10_ENKUlT_T0_E_clISt17integral_constantIbLb0EES1J_EEDaS1E_S1F_EUlS1E_E_NS1_11comp_targetILNS1_3genE9ELNS1_11target_archE1100ELNS1_3gpuE3ELNS1_3repE0EEENS1_30default_config_static_selectorELNS0_4arch9wavefront6targetE0EEEvT1_.uses_flat_scratch, 0
	.set _ZN7rocprim17ROCPRIM_400000_NS6detail17trampoline_kernelINS0_14default_configENS1_25partition_config_selectorILNS1_17partition_subalgoE6EN6thrust23THRUST_200600_302600_NS5tupleIyyNS7_9null_typeES9_S9_S9_S9_S9_S9_S9_EENS0_10empty_typeEbEEZZNS1_14partition_implILS5_6ELb0ES3_mNS7_12zip_iteratorINS8_INS7_6detail15normal_iteratorINS7_10device_ptrIyEEEESJ_S9_S9_S9_S9_S9_S9_S9_S9_EEEEPSB_SM_NS0_5tupleIJNSE_INS8_ISJ_NS7_16discard_iteratorINS7_11use_defaultEEES9_S9_S9_S9_S9_S9_S9_S9_EEEESB_EEENSN_IJSM_SM_EEESB_PlJNSF_9not_fun_tINSF_14equal_to_valueISA_EEEEEEE10hipError_tPvRmT3_T4_T5_T6_T7_T9_mT8_P12ihipStream_tbDpT10_ENKUlT_T0_E_clISt17integral_constantIbLb0EES1J_EEDaS1E_S1F_EUlS1E_E_NS1_11comp_targetILNS1_3genE9ELNS1_11target_archE1100ELNS1_3gpuE3ELNS1_3repE0EEENS1_30default_config_static_selectorELNS0_4arch9wavefront6targetE0EEEvT1_.has_dyn_sized_stack, 0
	.set _ZN7rocprim17ROCPRIM_400000_NS6detail17trampoline_kernelINS0_14default_configENS1_25partition_config_selectorILNS1_17partition_subalgoE6EN6thrust23THRUST_200600_302600_NS5tupleIyyNS7_9null_typeES9_S9_S9_S9_S9_S9_S9_EENS0_10empty_typeEbEEZZNS1_14partition_implILS5_6ELb0ES3_mNS7_12zip_iteratorINS8_INS7_6detail15normal_iteratorINS7_10device_ptrIyEEEESJ_S9_S9_S9_S9_S9_S9_S9_S9_EEEEPSB_SM_NS0_5tupleIJNSE_INS8_ISJ_NS7_16discard_iteratorINS7_11use_defaultEEES9_S9_S9_S9_S9_S9_S9_S9_EEEESB_EEENSN_IJSM_SM_EEESB_PlJNSF_9not_fun_tINSF_14equal_to_valueISA_EEEEEEE10hipError_tPvRmT3_T4_T5_T6_T7_T9_mT8_P12ihipStream_tbDpT10_ENKUlT_T0_E_clISt17integral_constantIbLb0EES1J_EEDaS1E_S1F_EUlS1E_E_NS1_11comp_targetILNS1_3genE9ELNS1_11target_archE1100ELNS1_3gpuE3ELNS1_3repE0EEENS1_30default_config_static_selectorELNS0_4arch9wavefront6targetE0EEEvT1_.has_recursion, 0
	.set _ZN7rocprim17ROCPRIM_400000_NS6detail17trampoline_kernelINS0_14default_configENS1_25partition_config_selectorILNS1_17partition_subalgoE6EN6thrust23THRUST_200600_302600_NS5tupleIyyNS7_9null_typeES9_S9_S9_S9_S9_S9_S9_EENS0_10empty_typeEbEEZZNS1_14partition_implILS5_6ELb0ES3_mNS7_12zip_iteratorINS8_INS7_6detail15normal_iteratorINS7_10device_ptrIyEEEESJ_S9_S9_S9_S9_S9_S9_S9_S9_EEEEPSB_SM_NS0_5tupleIJNSE_INS8_ISJ_NS7_16discard_iteratorINS7_11use_defaultEEES9_S9_S9_S9_S9_S9_S9_S9_EEEESB_EEENSN_IJSM_SM_EEESB_PlJNSF_9not_fun_tINSF_14equal_to_valueISA_EEEEEEE10hipError_tPvRmT3_T4_T5_T6_T7_T9_mT8_P12ihipStream_tbDpT10_ENKUlT_T0_E_clISt17integral_constantIbLb0EES1J_EEDaS1E_S1F_EUlS1E_E_NS1_11comp_targetILNS1_3genE9ELNS1_11target_archE1100ELNS1_3gpuE3ELNS1_3repE0EEENS1_30default_config_static_selectorELNS0_4arch9wavefront6targetE0EEEvT1_.has_indirect_call, 0
	.section	.AMDGPU.csdata,"",@progbits
; Kernel info:
; codeLenInByte = 0
; TotalNumSgprs: 0
; NumVgprs: 0
; ScratchSize: 0
; MemoryBound: 0
; FloatMode: 240
; IeeeMode: 1
; LDSByteSize: 0 bytes/workgroup (compile time only)
; SGPRBlocks: 0
; VGPRBlocks: 0
; NumSGPRsForWavesPerEU: 1
; NumVGPRsForWavesPerEU: 1
; Occupancy: 16
; WaveLimiterHint : 0
; COMPUTE_PGM_RSRC2:SCRATCH_EN: 0
; COMPUTE_PGM_RSRC2:USER_SGPR: 2
; COMPUTE_PGM_RSRC2:TRAP_HANDLER: 0
; COMPUTE_PGM_RSRC2:TGID_X_EN: 1
; COMPUTE_PGM_RSRC2:TGID_Y_EN: 0
; COMPUTE_PGM_RSRC2:TGID_Z_EN: 0
; COMPUTE_PGM_RSRC2:TIDIG_COMP_CNT: 0
	.section	.text._ZN7rocprim17ROCPRIM_400000_NS6detail17trampoline_kernelINS0_14default_configENS1_25partition_config_selectorILNS1_17partition_subalgoE6EN6thrust23THRUST_200600_302600_NS5tupleIyyNS7_9null_typeES9_S9_S9_S9_S9_S9_S9_EENS0_10empty_typeEbEEZZNS1_14partition_implILS5_6ELb0ES3_mNS7_12zip_iteratorINS8_INS7_6detail15normal_iteratorINS7_10device_ptrIyEEEESJ_S9_S9_S9_S9_S9_S9_S9_S9_EEEEPSB_SM_NS0_5tupleIJNSE_INS8_ISJ_NS7_16discard_iteratorINS7_11use_defaultEEES9_S9_S9_S9_S9_S9_S9_S9_EEEESB_EEENSN_IJSM_SM_EEESB_PlJNSF_9not_fun_tINSF_14equal_to_valueISA_EEEEEEE10hipError_tPvRmT3_T4_T5_T6_T7_T9_mT8_P12ihipStream_tbDpT10_ENKUlT_T0_E_clISt17integral_constantIbLb0EES1J_EEDaS1E_S1F_EUlS1E_E_NS1_11comp_targetILNS1_3genE8ELNS1_11target_archE1030ELNS1_3gpuE2ELNS1_3repE0EEENS1_30default_config_static_selectorELNS0_4arch9wavefront6targetE0EEEvT1_,"axG",@progbits,_ZN7rocprim17ROCPRIM_400000_NS6detail17trampoline_kernelINS0_14default_configENS1_25partition_config_selectorILNS1_17partition_subalgoE6EN6thrust23THRUST_200600_302600_NS5tupleIyyNS7_9null_typeES9_S9_S9_S9_S9_S9_S9_EENS0_10empty_typeEbEEZZNS1_14partition_implILS5_6ELb0ES3_mNS7_12zip_iteratorINS8_INS7_6detail15normal_iteratorINS7_10device_ptrIyEEEESJ_S9_S9_S9_S9_S9_S9_S9_S9_EEEEPSB_SM_NS0_5tupleIJNSE_INS8_ISJ_NS7_16discard_iteratorINS7_11use_defaultEEES9_S9_S9_S9_S9_S9_S9_S9_EEEESB_EEENSN_IJSM_SM_EEESB_PlJNSF_9not_fun_tINSF_14equal_to_valueISA_EEEEEEE10hipError_tPvRmT3_T4_T5_T6_T7_T9_mT8_P12ihipStream_tbDpT10_ENKUlT_T0_E_clISt17integral_constantIbLb0EES1J_EEDaS1E_S1F_EUlS1E_E_NS1_11comp_targetILNS1_3genE8ELNS1_11target_archE1030ELNS1_3gpuE2ELNS1_3repE0EEENS1_30default_config_static_selectorELNS0_4arch9wavefront6targetE0EEEvT1_,comdat
	.protected	_ZN7rocprim17ROCPRIM_400000_NS6detail17trampoline_kernelINS0_14default_configENS1_25partition_config_selectorILNS1_17partition_subalgoE6EN6thrust23THRUST_200600_302600_NS5tupleIyyNS7_9null_typeES9_S9_S9_S9_S9_S9_S9_EENS0_10empty_typeEbEEZZNS1_14partition_implILS5_6ELb0ES3_mNS7_12zip_iteratorINS8_INS7_6detail15normal_iteratorINS7_10device_ptrIyEEEESJ_S9_S9_S9_S9_S9_S9_S9_S9_EEEEPSB_SM_NS0_5tupleIJNSE_INS8_ISJ_NS7_16discard_iteratorINS7_11use_defaultEEES9_S9_S9_S9_S9_S9_S9_S9_EEEESB_EEENSN_IJSM_SM_EEESB_PlJNSF_9not_fun_tINSF_14equal_to_valueISA_EEEEEEE10hipError_tPvRmT3_T4_T5_T6_T7_T9_mT8_P12ihipStream_tbDpT10_ENKUlT_T0_E_clISt17integral_constantIbLb0EES1J_EEDaS1E_S1F_EUlS1E_E_NS1_11comp_targetILNS1_3genE8ELNS1_11target_archE1030ELNS1_3gpuE2ELNS1_3repE0EEENS1_30default_config_static_selectorELNS0_4arch9wavefront6targetE0EEEvT1_ ; -- Begin function _ZN7rocprim17ROCPRIM_400000_NS6detail17trampoline_kernelINS0_14default_configENS1_25partition_config_selectorILNS1_17partition_subalgoE6EN6thrust23THRUST_200600_302600_NS5tupleIyyNS7_9null_typeES9_S9_S9_S9_S9_S9_S9_EENS0_10empty_typeEbEEZZNS1_14partition_implILS5_6ELb0ES3_mNS7_12zip_iteratorINS8_INS7_6detail15normal_iteratorINS7_10device_ptrIyEEEESJ_S9_S9_S9_S9_S9_S9_S9_S9_EEEEPSB_SM_NS0_5tupleIJNSE_INS8_ISJ_NS7_16discard_iteratorINS7_11use_defaultEEES9_S9_S9_S9_S9_S9_S9_S9_EEEESB_EEENSN_IJSM_SM_EEESB_PlJNSF_9not_fun_tINSF_14equal_to_valueISA_EEEEEEE10hipError_tPvRmT3_T4_T5_T6_T7_T9_mT8_P12ihipStream_tbDpT10_ENKUlT_T0_E_clISt17integral_constantIbLb0EES1J_EEDaS1E_S1F_EUlS1E_E_NS1_11comp_targetILNS1_3genE8ELNS1_11target_archE1030ELNS1_3gpuE2ELNS1_3repE0EEENS1_30default_config_static_selectorELNS0_4arch9wavefront6targetE0EEEvT1_
	.globl	_ZN7rocprim17ROCPRIM_400000_NS6detail17trampoline_kernelINS0_14default_configENS1_25partition_config_selectorILNS1_17partition_subalgoE6EN6thrust23THRUST_200600_302600_NS5tupleIyyNS7_9null_typeES9_S9_S9_S9_S9_S9_S9_EENS0_10empty_typeEbEEZZNS1_14partition_implILS5_6ELb0ES3_mNS7_12zip_iteratorINS8_INS7_6detail15normal_iteratorINS7_10device_ptrIyEEEESJ_S9_S9_S9_S9_S9_S9_S9_S9_EEEEPSB_SM_NS0_5tupleIJNSE_INS8_ISJ_NS7_16discard_iteratorINS7_11use_defaultEEES9_S9_S9_S9_S9_S9_S9_S9_EEEESB_EEENSN_IJSM_SM_EEESB_PlJNSF_9not_fun_tINSF_14equal_to_valueISA_EEEEEEE10hipError_tPvRmT3_T4_T5_T6_T7_T9_mT8_P12ihipStream_tbDpT10_ENKUlT_T0_E_clISt17integral_constantIbLb0EES1J_EEDaS1E_S1F_EUlS1E_E_NS1_11comp_targetILNS1_3genE8ELNS1_11target_archE1030ELNS1_3gpuE2ELNS1_3repE0EEENS1_30default_config_static_selectorELNS0_4arch9wavefront6targetE0EEEvT1_
	.p2align	8
	.type	_ZN7rocprim17ROCPRIM_400000_NS6detail17trampoline_kernelINS0_14default_configENS1_25partition_config_selectorILNS1_17partition_subalgoE6EN6thrust23THRUST_200600_302600_NS5tupleIyyNS7_9null_typeES9_S9_S9_S9_S9_S9_S9_EENS0_10empty_typeEbEEZZNS1_14partition_implILS5_6ELb0ES3_mNS7_12zip_iteratorINS8_INS7_6detail15normal_iteratorINS7_10device_ptrIyEEEESJ_S9_S9_S9_S9_S9_S9_S9_S9_EEEEPSB_SM_NS0_5tupleIJNSE_INS8_ISJ_NS7_16discard_iteratorINS7_11use_defaultEEES9_S9_S9_S9_S9_S9_S9_S9_EEEESB_EEENSN_IJSM_SM_EEESB_PlJNSF_9not_fun_tINSF_14equal_to_valueISA_EEEEEEE10hipError_tPvRmT3_T4_T5_T6_T7_T9_mT8_P12ihipStream_tbDpT10_ENKUlT_T0_E_clISt17integral_constantIbLb0EES1J_EEDaS1E_S1F_EUlS1E_E_NS1_11comp_targetILNS1_3genE8ELNS1_11target_archE1030ELNS1_3gpuE2ELNS1_3repE0EEENS1_30default_config_static_selectorELNS0_4arch9wavefront6targetE0EEEvT1_,@function
_ZN7rocprim17ROCPRIM_400000_NS6detail17trampoline_kernelINS0_14default_configENS1_25partition_config_selectorILNS1_17partition_subalgoE6EN6thrust23THRUST_200600_302600_NS5tupleIyyNS7_9null_typeES9_S9_S9_S9_S9_S9_S9_EENS0_10empty_typeEbEEZZNS1_14partition_implILS5_6ELb0ES3_mNS7_12zip_iteratorINS8_INS7_6detail15normal_iteratorINS7_10device_ptrIyEEEESJ_S9_S9_S9_S9_S9_S9_S9_S9_EEEEPSB_SM_NS0_5tupleIJNSE_INS8_ISJ_NS7_16discard_iteratorINS7_11use_defaultEEES9_S9_S9_S9_S9_S9_S9_S9_EEEESB_EEENSN_IJSM_SM_EEESB_PlJNSF_9not_fun_tINSF_14equal_to_valueISA_EEEEEEE10hipError_tPvRmT3_T4_T5_T6_T7_T9_mT8_P12ihipStream_tbDpT10_ENKUlT_T0_E_clISt17integral_constantIbLb0EES1J_EEDaS1E_S1F_EUlS1E_E_NS1_11comp_targetILNS1_3genE8ELNS1_11target_archE1030ELNS1_3gpuE2ELNS1_3repE0EEENS1_30default_config_static_selectorELNS0_4arch9wavefront6targetE0EEEvT1_: ; @_ZN7rocprim17ROCPRIM_400000_NS6detail17trampoline_kernelINS0_14default_configENS1_25partition_config_selectorILNS1_17partition_subalgoE6EN6thrust23THRUST_200600_302600_NS5tupleIyyNS7_9null_typeES9_S9_S9_S9_S9_S9_S9_EENS0_10empty_typeEbEEZZNS1_14partition_implILS5_6ELb0ES3_mNS7_12zip_iteratorINS8_INS7_6detail15normal_iteratorINS7_10device_ptrIyEEEESJ_S9_S9_S9_S9_S9_S9_S9_S9_EEEEPSB_SM_NS0_5tupleIJNSE_INS8_ISJ_NS7_16discard_iteratorINS7_11use_defaultEEES9_S9_S9_S9_S9_S9_S9_S9_EEEESB_EEENSN_IJSM_SM_EEESB_PlJNSF_9not_fun_tINSF_14equal_to_valueISA_EEEEEEE10hipError_tPvRmT3_T4_T5_T6_T7_T9_mT8_P12ihipStream_tbDpT10_ENKUlT_T0_E_clISt17integral_constantIbLb0EES1J_EEDaS1E_S1F_EUlS1E_E_NS1_11comp_targetILNS1_3genE8ELNS1_11target_archE1030ELNS1_3gpuE2ELNS1_3repE0EEENS1_30default_config_static_selectorELNS0_4arch9wavefront6targetE0EEEvT1_
; %bb.0:
	.section	.rodata,"a",@progbits
	.p2align	6, 0x0
	.amdhsa_kernel _ZN7rocprim17ROCPRIM_400000_NS6detail17trampoline_kernelINS0_14default_configENS1_25partition_config_selectorILNS1_17partition_subalgoE6EN6thrust23THRUST_200600_302600_NS5tupleIyyNS7_9null_typeES9_S9_S9_S9_S9_S9_S9_EENS0_10empty_typeEbEEZZNS1_14partition_implILS5_6ELb0ES3_mNS7_12zip_iteratorINS8_INS7_6detail15normal_iteratorINS7_10device_ptrIyEEEESJ_S9_S9_S9_S9_S9_S9_S9_S9_EEEEPSB_SM_NS0_5tupleIJNSE_INS8_ISJ_NS7_16discard_iteratorINS7_11use_defaultEEES9_S9_S9_S9_S9_S9_S9_S9_EEEESB_EEENSN_IJSM_SM_EEESB_PlJNSF_9not_fun_tINSF_14equal_to_valueISA_EEEEEEE10hipError_tPvRmT3_T4_T5_T6_T7_T9_mT8_P12ihipStream_tbDpT10_ENKUlT_T0_E_clISt17integral_constantIbLb0EES1J_EEDaS1E_S1F_EUlS1E_E_NS1_11comp_targetILNS1_3genE8ELNS1_11target_archE1030ELNS1_3gpuE2ELNS1_3repE0EEENS1_30default_config_static_selectorELNS0_4arch9wavefront6targetE0EEEvT1_
		.amdhsa_group_segment_fixed_size 0
		.amdhsa_private_segment_fixed_size 0
		.amdhsa_kernarg_size 152
		.amdhsa_user_sgpr_count 2
		.amdhsa_user_sgpr_dispatch_ptr 0
		.amdhsa_user_sgpr_queue_ptr 0
		.amdhsa_user_sgpr_kernarg_segment_ptr 1
		.amdhsa_user_sgpr_dispatch_id 0
		.amdhsa_user_sgpr_private_segment_size 0
		.amdhsa_wavefront_size32 1
		.amdhsa_uses_dynamic_stack 0
		.amdhsa_enable_private_segment 0
		.amdhsa_system_sgpr_workgroup_id_x 1
		.amdhsa_system_sgpr_workgroup_id_y 0
		.amdhsa_system_sgpr_workgroup_id_z 0
		.amdhsa_system_sgpr_workgroup_info 0
		.amdhsa_system_vgpr_workitem_id 0
		.amdhsa_next_free_vgpr 1
		.amdhsa_next_free_sgpr 1
		.amdhsa_reserve_vcc 0
		.amdhsa_float_round_mode_32 0
		.amdhsa_float_round_mode_16_64 0
		.amdhsa_float_denorm_mode_32 3
		.amdhsa_float_denorm_mode_16_64 3
		.amdhsa_fp16_overflow 0
		.amdhsa_workgroup_processor_mode 1
		.amdhsa_memory_ordered 1
		.amdhsa_forward_progress 1
		.amdhsa_inst_pref_size 0
		.amdhsa_round_robin_scheduling 0
		.amdhsa_exception_fp_ieee_invalid_op 0
		.amdhsa_exception_fp_denorm_src 0
		.amdhsa_exception_fp_ieee_div_zero 0
		.amdhsa_exception_fp_ieee_overflow 0
		.amdhsa_exception_fp_ieee_underflow 0
		.amdhsa_exception_fp_ieee_inexact 0
		.amdhsa_exception_int_div_zero 0
	.end_amdhsa_kernel
	.section	.text._ZN7rocprim17ROCPRIM_400000_NS6detail17trampoline_kernelINS0_14default_configENS1_25partition_config_selectorILNS1_17partition_subalgoE6EN6thrust23THRUST_200600_302600_NS5tupleIyyNS7_9null_typeES9_S9_S9_S9_S9_S9_S9_EENS0_10empty_typeEbEEZZNS1_14partition_implILS5_6ELb0ES3_mNS7_12zip_iteratorINS8_INS7_6detail15normal_iteratorINS7_10device_ptrIyEEEESJ_S9_S9_S9_S9_S9_S9_S9_S9_EEEEPSB_SM_NS0_5tupleIJNSE_INS8_ISJ_NS7_16discard_iteratorINS7_11use_defaultEEES9_S9_S9_S9_S9_S9_S9_S9_EEEESB_EEENSN_IJSM_SM_EEESB_PlJNSF_9not_fun_tINSF_14equal_to_valueISA_EEEEEEE10hipError_tPvRmT3_T4_T5_T6_T7_T9_mT8_P12ihipStream_tbDpT10_ENKUlT_T0_E_clISt17integral_constantIbLb0EES1J_EEDaS1E_S1F_EUlS1E_E_NS1_11comp_targetILNS1_3genE8ELNS1_11target_archE1030ELNS1_3gpuE2ELNS1_3repE0EEENS1_30default_config_static_selectorELNS0_4arch9wavefront6targetE0EEEvT1_,"axG",@progbits,_ZN7rocprim17ROCPRIM_400000_NS6detail17trampoline_kernelINS0_14default_configENS1_25partition_config_selectorILNS1_17partition_subalgoE6EN6thrust23THRUST_200600_302600_NS5tupleIyyNS7_9null_typeES9_S9_S9_S9_S9_S9_S9_EENS0_10empty_typeEbEEZZNS1_14partition_implILS5_6ELb0ES3_mNS7_12zip_iteratorINS8_INS7_6detail15normal_iteratorINS7_10device_ptrIyEEEESJ_S9_S9_S9_S9_S9_S9_S9_S9_EEEEPSB_SM_NS0_5tupleIJNSE_INS8_ISJ_NS7_16discard_iteratorINS7_11use_defaultEEES9_S9_S9_S9_S9_S9_S9_S9_EEEESB_EEENSN_IJSM_SM_EEESB_PlJNSF_9not_fun_tINSF_14equal_to_valueISA_EEEEEEE10hipError_tPvRmT3_T4_T5_T6_T7_T9_mT8_P12ihipStream_tbDpT10_ENKUlT_T0_E_clISt17integral_constantIbLb0EES1J_EEDaS1E_S1F_EUlS1E_E_NS1_11comp_targetILNS1_3genE8ELNS1_11target_archE1030ELNS1_3gpuE2ELNS1_3repE0EEENS1_30default_config_static_selectorELNS0_4arch9wavefront6targetE0EEEvT1_,comdat
.Lfunc_end1892:
	.size	_ZN7rocprim17ROCPRIM_400000_NS6detail17trampoline_kernelINS0_14default_configENS1_25partition_config_selectorILNS1_17partition_subalgoE6EN6thrust23THRUST_200600_302600_NS5tupleIyyNS7_9null_typeES9_S9_S9_S9_S9_S9_S9_EENS0_10empty_typeEbEEZZNS1_14partition_implILS5_6ELb0ES3_mNS7_12zip_iteratorINS8_INS7_6detail15normal_iteratorINS7_10device_ptrIyEEEESJ_S9_S9_S9_S9_S9_S9_S9_S9_EEEEPSB_SM_NS0_5tupleIJNSE_INS8_ISJ_NS7_16discard_iteratorINS7_11use_defaultEEES9_S9_S9_S9_S9_S9_S9_S9_EEEESB_EEENSN_IJSM_SM_EEESB_PlJNSF_9not_fun_tINSF_14equal_to_valueISA_EEEEEEE10hipError_tPvRmT3_T4_T5_T6_T7_T9_mT8_P12ihipStream_tbDpT10_ENKUlT_T0_E_clISt17integral_constantIbLb0EES1J_EEDaS1E_S1F_EUlS1E_E_NS1_11comp_targetILNS1_3genE8ELNS1_11target_archE1030ELNS1_3gpuE2ELNS1_3repE0EEENS1_30default_config_static_selectorELNS0_4arch9wavefront6targetE0EEEvT1_, .Lfunc_end1892-_ZN7rocprim17ROCPRIM_400000_NS6detail17trampoline_kernelINS0_14default_configENS1_25partition_config_selectorILNS1_17partition_subalgoE6EN6thrust23THRUST_200600_302600_NS5tupleIyyNS7_9null_typeES9_S9_S9_S9_S9_S9_S9_EENS0_10empty_typeEbEEZZNS1_14partition_implILS5_6ELb0ES3_mNS7_12zip_iteratorINS8_INS7_6detail15normal_iteratorINS7_10device_ptrIyEEEESJ_S9_S9_S9_S9_S9_S9_S9_S9_EEEEPSB_SM_NS0_5tupleIJNSE_INS8_ISJ_NS7_16discard_iteratorINS7_11use_defaultEEES9_S9_S9_S9_S9_S9_S9_S9_EEEESB_EEENSN_IJSM_SM_EEESB_PlJNSF_9not_fun_tINSF_14equal_to_valueISA_EEEEEEE10hipError_tPvRmT3_T4_T5_T6_T7_T9_mT8_P12ihipStream_tbDpT10_ENKUlT_T0_E_clISt17integral_constantIbLb0EES1J_EEDaS1E_S1F_EUlS1E_E_NS1_11comp_targetILNS1_3genE8ELNS1_11target_archE1030ELNS1_3gpuE2ELNS1_3repE0EEENS1_30default_config_static_selectorELNS0_4arch9wavefront6targetE0EEEvT1_
                                        ; -- End function
	.set _ZN7rocprim17ROCPRIM_400000_NS6detail17trampoline_kernelINS0_14default_configENS1_25partition_config_selectorILNS1_17partition_subalgoE6EN6thrust23THRUST_200600_302600_NS5tupleIyyNS7_9null_typeES9_S9_S9_S9_S9_S9_S9_EENS0_10empty_typeEbEEZZNS1_14partition_implILS5_6ELb0ES3_mNS7_12zip_iteratorINS8_INS7_6detail15normal_iteratorINS7_10device_ptrIyEEEESJ_S9_S9_S9_S9_S9_S9_S9_S9_EEEEPSB_SM_NS0_5tupleIJNSE_INS8_ISJ_NS7_16discard_iteratorINS7_11use_defaultEEES9_S9_S9_S9_S9_S9_S9_S9_EEEESB_EEENSN_IJSM_SM_EEESB_PlJNSF_9not_fun_tINSF_14equal_to_valueISA_EEEEEEE10hipError_tPvRmT3_T4_T5_T6_T7_T9_mT8_P12ihipStream_tbDpT10_ENKUlT_T0_E_clISt17integral_constantIbLb0EES1J_EEDaS1E_S1F_EUlS1E_E_NS1_11comp_targetILNS1_3genE8ELNS1_11target_archE1030ELNS1_3gpuE2ELNS1_3repE0EEENS1_30default_config_static_selectorELNS0_4arch9wavefront6targetE0EEEvT1_.num_vgpr, 0
	.set _ZN7rocprim17ROCPRIM_400000_NS6detail17trampoline_kernelINS0_14default_configENS1_25partition_config_selectorILNS1_17partition_subalgoE6EN6thrust23THRUST_200600_302600_NS5tupleIyyNS7_9null_typeES9_S9_S9_S9_S9_S9_S9_EENS0_10empty_typeEbEEZZNS1_14partition_implILS5_6ELb0ES3_mNS7_12zip_iteratorINS8_INS7_6detail15normal_iteratorINS7_10device_ptrIyEEEESJ_S9_S9_S9_S9_S9_S9_S9_S9_EEEEPSB_SM_NS0_5tupleIJNSE_INS8_ISJ_NS7_16discard_iteratorINS7_11use_defaultEEES9_S9_S9_S9_S9_S9_S9_S9_EEEESB_EEENSN_IJSM_SM_EEESB_PlJNSF_9not_fun_tINSF_14equal_to_valueISA_EEEEEEE10hipError_tPvRmT3_T4_T5_T6_T7_T9_mT8_P12ihipStream_tbDpT10_ENKUlT_T0_E_clISt17integral_constantIbLb0EES1J_EEDaS1E_S1F_EUlS1E_E_NS1_11comp_targetILNS1_3genE8ELNS1_11target_archE1030ELNS1_3gpuE2ELNS1_3repE0EEENS1_30default_config_static_selectorELNS0_4arch9wavefront6targetE0EEEvT1_.num_agpr, 0
	.set _ZN7rocprim17ROCPRIM_400000_NS6detail17trampoline_kernelINS0_14default_configENS1_25partition_config_selectorILNS1_17partition_subalgoE6EN6thrust23THRUST_200600_302600_NS5tupleIyyNS7_9null_typeES9_S9_S9_S9_S9_S9_S9_EENS0_10empty_typeEbEEZZNS1_14partition_implILS5_6ELb0ES3_mNS7_12zip_iteratorINS8_INS7_6detail15normal_iteratorINS7_10device_ptrIyEEEESJ_S9_S9_S9_S9_S9_S9_S9_S9_EEEEPSB_SM_NS0_5tupleIJNSE_INS8_ISJ_NS7_16discard_iteratorINS7_11use_defaultEEES9_S9_S9_S9_S9_S9_S9_S9_EEEESB_EEENSN_IJSM_SM_EEESB_PlJNSF_9not_fun_tINSF_14equal_to_valueISA_EEEEEEE10hipError_tPvRmT3_T4_T5_T6_T7_T9_mT8_P12ihipStream_tbDpT10_ENKUlT_T0_E_clISt17integral_constantIbLb0EES1J_EEDaS1E_S1F_EUlS1E_E_NS1_11comp_targetILNS1_3genE8ELNS1_11target_archE1030ELNS1_3gpuE2ELNS1_3repE0EEENS1_30default_config_static_selectorELNS0_4arch9wavefront6targetE0EEEvT1_.numbered_sgpr, 0
	.set _ZN7rocprim17ROCPRIM_400000_NS6detail17trampoline_kernelINS0_14default_configENS1_25partition_config_selectorILNS1_17partition_subalgoE6EN6thrust23THRUST_200600_302600_NS5tupleIyyNS7_9null_typeES9_S9_S9_S9_S9_S9_S9_EENS0_10empty_typeEbEEZZNS1_14partition_implILS5_6ELb0ES3_mNS7_12zip_iteratorINS8_INS7_6detail15normal_iteratorINS7_10device_ptrIyEEEESJ_S9_S9_S9_S9_S9_S9_S9_S9_EEEEPSB_SM_NS0_5tupleIJNSE_INS8_ISJ_NS7_16discard_iteratorINS7_11use_defaultEEES9_S9_S9_S9_S9_S9_S9_S9_EEEESB_EEENSN_IJSM_SM_EEESB_PlJNSF_9not_fun_tINSF_14equal_to_valueISA_EEEEEEE10hipError_tPvRmT3_T4_T5_T6_T7_T9_mT8_P12ihipStream_tbDpT10_ENKUlT_T0_E_clISt17integral_constantIbLb0EES1J_EEDaS1E_S1F_EUlS1E_E_NS1_11comp_targetILNS1_3genE8ELNS1_11target_archE1030ELNS1_3gpuE2ELNS1_3repE0EEENS1_30default_config_static_selectorELNS0_4arch9wavefront6targetE0EEEvT1_.num_named_barrier, 0
	.set _ZN7rocprim17ROCPRIM_400000_NS6detail17trampoline_kernelINS0_14default_configENS1_25partition_config_selectorILNS1_17partition_subalgoE6EN6thrust23THRUST_200600_302600_NS5tupleIyyNS7_9null_typeES9_S9_S9_S9_S9_S9_S9_EENS0_10empty_typeEbEEZZNS1_14partition_implILS5_6ELb0ES3_mNS7_12zip_iteratorINS8_INS7_6detail15normal_iteratorINS7_10device_ptrIyEEEESJ_S9_S9_S9_S9_S9_S9_S9_S9_EEEEPSB_SM_NS0_5tupleIJNSE_INS8_ISJ_NS7_16discard_iteratorINS7_11use_defaultEEES9_S9_S9_S9_S9_S9_S9_S9_EEEESB_EEENSN_IJSM_SM_EEESB_PlJNSF_9not_fun_tINSF_14equal_to_valueISA_EEEEEEE10hipError_tPvRmT3_T4_T5_T6_T7_T9_mT8_P12ihipStream_tbDpT10_ENKUlT_T0_E_clISt17integral_constantIbLb0EES1J_EEDaS1E_S1F_EUlS1E_E_NS1_11comp_targetILNS1_3genE8ELNS1_11target_archE1030ELNS1_3gpuE2ELNS1_3repE0EEENS1_30default_config_static_selectorELNS0_4arch9wavefront6targetE0EEEvT1_.private_seg_size, 0
	.set _ZN7rocprim17ROCPRIM_400000_NS6detail17trampoline_kernelINS0_14default_configENS1_25partition_config_selectorILNS1_17partition_subalgoE6EN6thrust23THRUST_200600_302600_NS5tupleIyyNS7_9null_typeES9_S9_S9_S9_S9_S9_S9_EENS0_10empty_typeEbEEZZNS1_14partition_implILS5_6ELb0ES3_mNS7_12zip_iteratorINS8_INS7_6detail15normal_iteratorINS7_10device_ptrIyEEEESJ_S9_S9_S9_S9_S9_S9_S9_S9_EEEEPSB_SM_NS0_5tupleIJNSE_INS8_ISJ_NS7_16discard_iteratorINS7_11use_defaultEEES9_S9_S9_S9_S9_S9_S9_S9_EEEESB_EEENSN_IJSM_SM_EEESB_PlJNSF_9not_fun_tINSF_14equal_to_valueISA_EEEEEEE10hipError_tPvRmT3_T4_T5_T6_T7_T9_mT8_P12ihipStream_tbDpT10_ENKUlT_T0_E_clISt17integral_constantIbLb0EES1J_EEDaS1E_S1F_EUlS1E_E_NS1_11comp_targetILNS1_3genE8ELNS1_11target_archE1030ELNS1_3gpuE2ELNS1_3repE0EEENS1_30default_config_static_selectorELNS0_4arch9wavefront6targetE0EEEvT1_.uses_vcc, 0
	.set _ZN7rocprim17ROCPRIM_400000_NS6detail17trampoline_kernelINS0_14default_configENS1_25partition_config_selectorILNS1_17partition_subalgoE6EN6thrust23THRUST_200600_302600_NS5tupleIyyNS7_9null_typeES9_S9_S9_S9_S9_S9_S9_EENS0_10empty_typeEbEEZZNS1_14partition_implILS5_6ELb0ES3_mNS7_12zip_iteratorINS8_INS7_6detail15normal_iteratorINS7_10device_ptrIyEEEESJ_S9_S9_S9_S9_S9_S9_S9_S9_EEEEPSB_SM_NS0_5tupleIJNSE_INS8_ISJ_NS7_16discard_iteratorINS7_11use_defaultEEES9_S9_S9_S9_S9_S9_S9_S9_EEEESB_EEENSN_IJSM_SM_EEESB_PlJNSF_9not_fun_tINSF_14equal_to_valueISA_EEEEEEE10hipError_tPvRmT3_T4_T5_T6_T7_T9_mT8_P12ihipStream_tbDpT10_ENKUlT_T0_E_clISt17integral_constantIbLb0EES1J_EEDaS1E_S1F_EUlS1E_E_NS1_11comp_targetILNS1_3genE8ELNS1_11target_archE1030ELNS1_3gpuE2ELNS1_3repE0EEENS1_30default_config_static_selectorELNS0_4arch9wavefront6targetE0EEEvT1_.uses_flat_scratch, 0
	.set _ZN7rocprim17ROCPRIM_400000_NS6detail17trampoline_kernelINS0_14default_configENS1_25partition_config_selectorILNS1_17partition_subalgoE6EN6thrust23THRUST_200600_302600_NS5tupleIyyNS7_9null_typeES9_S9_S9_S9_S9_S9_S9_EENS0_10empty_typeEbEEZZNS1_14partition_implILS5_6ELb0ES3_mNS7_12zip_iteratorINS8_INS7_6detail15normal_iteratorINS7_10device_ptrIyEEEESJ_S9_S9_S9_S9_S9_S9_S9_S9_EEEEPSB_SM_NS0_5tupleIJNSE_INS8_ISJ_NS7_16discard_iteratorINS7_11use_defaultEEES9_S9_S9_S9_S9_S9_S9_S9_EEEESB_EEENSN_IJSM_SM_EEESB_PlJNSF_9not_fun_tINSF_14equal_to_valueISA_EEEEEEE10hipError_tPvRmT3_T4_T5_T6_T7_T9_mT8_P12ihipStream_tbDpT10_ENKUlT_T0_E_clISt17integral_constantIbLb0EES1J_EEDaS1E_S1F_EUlS1E_E_NS1_11comp_targetILNS1_3genE8ELNS1_11target_archE1030ELNS1_3gpuE2ELNS1_3repE0EEENS1_30default_config_static_selectorELNS0_4arch9wavefront6targetE0EEEvT1_.has_dyn_sized_stack, 0
	.set _ZN7rocprim17ROCPRIM_400000_NS6detail17trampoline_kernelINS0_14default_configENS1_25partition_config_selectorILNS1_17partition_subalgoE6EN6thrust23THRUST_200600_302600_NS5tupleIyyNS7_9null_typeES9_S9_S9_S9_S9_S9_S9_EENS0_10empty_typeEbEEZZNS1_14partition_implILS5_6ELb0ES3_mNS7_12zip_iteratorINS8_INS7_6detail15normal_iteratorINS7_10device_ptrIyEEEESJ_S9_S9_S9_S9_S9_S9_S9_S9_EEEEPSB_SM_NS0_5tupleIJNSE_INS8_ISJ_NS7_16discard_iteratorINS7_11use_defaultEEES9_S9_S9_S9_S9_S9_S9_S9_EEEESB_EEENSN_IJSM_SM_EEESB_PlJNSF_9not_fun_tINSF_14equal_to_valueISA_EEEEEEE10hipError_tPvRmT3_T4_T5_T6_T7_T9_mT8_P12ihipStream_tbDpT10_ENKUlT_T0_E_clISt17integral_constantIbLb0EES1J_EEDaS1E_S1F_EUlS1E_E_NS1_11comp_targetILNS1_3genE8ELNS1_11target_archE1030ELNS1_3gpuE2ELNS1_3repE0EEENS1_30default_config_static_selectorELNS0_4arch9wavefront6targetE0EEEvT1_.has_recursion, 0
	.set _ZN7rocprim17ROCPRIM_400000_NS6detail17trampoline_kernelINS0_14default_configENS1_25partition_config_selectorILNS1_17partition_subalgoE6EN6thrust23THRUST_200600_302600_NS5tupleIyyNS7_9null_typeES9_S9_S9_S9_S9_S9_S9_EENS0_10empty_typeEbEEZZNS1_14partition_implILS5_6ELb0ES3_mNS7_12zip_iteratorINS8_INS7_6detail15normal_iteratorINS7_10device_ptrIyEEEESJ_S9_S9_S9_S9_S9_S9_S9_S9_EEEEPSB_SM_NS0_5tupleIJNSE_INS8_ISJ_NS7_16discard_iteratorINS7_11use_defaultEEES9_S9_S9_S9_S9_S9_S9_S9_EEEESB_EEENSN_IJSM_SM_EEESB_PlJNSF_9not_fun_tINSF_14equal_to_valueISA_EEEEEEE10hipError_tPvRmT3_T4_T5_T6_T7_T9_mT8_P12ihipStream_tbDpT10_ENKUlT_T0_E_clISt17integral_constantIbLb0EES1J_EEDaS1E_S1F_EUlS1E_E_NS1_11comp_targetILNS1_3genE8ELNS1_11target_archE1030ELNS1_3gpuE2ELNS1_3repE0EEENS1_30default_config_static_selectorELNS0_4arch9wavefront6targetE0EEEvT1_.has_indirect_call, 0
	.section	.AMDGPU.csdata,"",@progbits
; Kernel info:
; codeLenInByte = 0
; TotalNumSgprs: 0
; NumVgprs: 0
; ScratchSize: 0
; MemoryBound: 0
; FloatMode: 240
; IeeeMode: 1
; LDSByteSize: 0 bytes/workgroup (compile time only)
; SGPRBlocks: 0
; VGPRBlocks: 0
; NumSGPRsForWavesPerEU: 1
; NumVGPRsForWavesPerEU: 1
; Occupancy: 16
; WaveLimiterHint : 0
; COMPUTE_PGM_RSRC2:SCRATCH_EN: 0
; COMPUTE_PGM_RSRC2:USER_SGPR: 2
; COMPUTE_PGM_RSRC2:TRAP_HANDLER: 0
; COMPUTE_PGM_RSRC2:TGID_X_EN: 1
; COMPUTE_PGM_RSRC2:TGID_Y_EN: 0
; COMPUTE_PGM_RSRC2:TGID_Z_EN: 0
; COMPUTE_PGM_RSRC2:TIDIG_COMP_CNT: 0
	.section	.text._ZN7rocprim17ROCPRIM_400000_NS6detail17trampoline_kernelINS0_14default_configENS1_25partition_config_selectorILNS1_17partition_subalgoE6EN6thrust23THRUST_200600_302600_NS5tupleIyyNS7_9null_typeES9_S9_S9_S9_S9_S9_S9_EENS0_10empty_typeEbEEZZNS1_14partition_implILS5_6ELb0ES3_mNS7_12zip_iteratorINS8_INS7_6detail15normal_iteratorINS7_10device_ptrIyEEEESJ_S9_S9_S9_S9_S9_S9_S9_S9_EEEEPSB_SM_NS0_5tupleIJNSE_INS8_ISJ_NS7_16discard_iteratorINS7_11use_defaultEEES9_S9_S9_S9_S9_S9_S9_S9_EEEESB_EEENSN_IJSM_SM_EEESB_PlJNSF_9not_fun_tINSF_14equal_to_valueISA_EEEEEEE10hipError_tPvRmT3_T4_T5_T6_T7_T9_mT8_P12ihipStream_tbDpT10_ENKUlT_T0_E_clISt17integral_constantIbLb1EES1J_EEDaS1E_S1F_EUlS1E_E_NS1_11comp_targetILNS1_3genE0ELNS1_11target_archE4294967295ELNS1_3gpuE0ELNS1_3repE0EEENS1_30default_config_static_selectorELNS0_4arch9wavefront6targetE0EEEvT1_,"axG",@progbits,_ZN7rocprim17ROCPRIM_400000_NS6detail17trampoline_kernelINS0_14default_configENS1_25partition_config_selectorILNS1_17partition_subalgoE6EN6thrust23THRUST_200600_302600_NS5tupleIyyNS7_9null_typeES9_S9_S9_S9_S9_S9_S9_EENS0_10empty_typeEbEEZZNS1_14partition_implILS5_6ELb0ES3_mNS7_12zip_iteratorINS8_INS7_6detail15normal_iteratorINS7_10device_ptrIyEEEESJ_S9_S9_S9_S9_S9_S9_S9_S9_EEEEPSB_SM_NS0_5tupleIJNSE_INS8_ISJ_NS7_16discard_iteratorINS7_11use_defaultEEES9_S9_S9_S9_S9_S9_S9_S9_EEEESB_EEENSN_IJSM_SM_EEESB_PlJNSF_9not_fun_tINSF_14equal_to_valueISA_EEEEEEE10hipError_tPvRmT3_T4_T5_T6_T7_T9_mT8_P12ihipStream_tbDpT10_ENKUlT_T0_E_clISt17integral_constantIbLb1EES1J_EEDaS1E_S1F_EUlS1E_E_NS1_11comp_targetILNS1_3genE0ELNS1_11target_archE4294967295ELNS1_3gpuE0ELNS1_3repE0EEENS1_30default_config_static_selectorELNS0_4arch9wavefront6targetE0EEEvT1_,comdat
	.protected	_ZN7rocprim17ROCPRIM_400000_NS6detail17trampoline_kernelINS0_14default_configENS1_25partition_config_selectorILNS1_17partition_subalgoE6EN6thrust23THRUST_200600_302600_NS5tupleIyyNS7_9null_typeES9_S9_S9_S9_S9_S9_S9_EENS0_10empty_typeEbEEZZNS1_14partition_implILS5_6ELb0ES3_mNS7_12zip_iteratorINS8_INS7_6detail15normal_iteratorINS7_10device_ptrIyEEEESJ_S9_S9_S9_S9_S9_S9_S9_S9_EEEEPSB_SM_NS0_5tupleIJNSE_INS8_ISJ_NS7_16discard_iteratorINS7_11use_defaultEEES9_S9_S9_S9_S9_S9_S9_S9_EEEESB_EEENSN_IJSM_SM_EEESB_PlJNSF_9not_fun_tINSF_14equal_to_valueISA_EEEEEEE10hipError_tPvRmT3_T4_T5_T6_T7_T9_mT8_P12ihipStream_tbDpT10_ENKUlT_T0_E_clISt17integral_constantIbLb1EES1J_EEDaS1E_S1F_EUlS1E_E_NS1_11comp_targetILNS1_3genE0ELNS1_11target_archE4294967295ELNS1_3gpuE0ELNS1_3repE0EEENS1_30default_config_static_selectorELNS0_4arch9wavefront6targetE0EEEvT1_ ; -- Begin function _ZN7rocprim17ROCPRIM_400000_NS6detail17trampoline_kernelINS0_14default_configENS1_25partition_config_selectorILNS1_17partition_subalgoE6EN6thrust23THRUST_200600_302600_NS5tupleIyyNS7_9null_typeES9_S9_S9_S9_S9_S9_S9_EENS0_10empty_typeEbEEZZNS1_14partition_implILS5_6ELb0ES3_mNS7_12zip_iteratorINS8_INS7_6detail15normal_iteratorINS7_10device_ptrIyEEEESJ_S9_S9_S9_S9_S9_S9_S9_S9_EEEEPSB_SM_NS0_5tupleIJNSE_INS8_ISJ_NS7_16discard_iteratorINS7_11use_defaultEEES9_S9_S9_S9_S9_S9_S9_S9_EEEESB_EEENSN_IJSM_SM_EEESB_PlJNSF_9not_fun_tINSF_14equal_to_valueISA_EEEEEEE10hipError_tPvRmT3_T4_T5_T6_T7_T9_mT8_P12ihipStream_tbDpT10_ENKUlT_T0_E_clISt17integral_constantIbLb1EES1J_EEDaS1E_S1F_EUlS1E_E_NS1_11comp_targetILNS1_3genE0ELNS1_11target_archE4294967295ELNS1_3gpuE0ELNS1_3repE0EEENS1_30default_config_static_selectorELNS0_4arch9wavefront6targetE0EEEvT1_
	.globl	_ZN7rocprim17ROCPRIM_400000_NS6detail17trampoline_kernelINS0_14default_configENS1_25partition_config_selectorILNS1_17partition_subalgoE6EN6thrust23THRUST_200600_302600_NS5tupleIyyNS7_9null_typeES9_S9_S9_S9_S9_S9_S9_EENS0_10empty_typeEbEEZZNS1_14partition_implILS5_6ELb0ES3_mNS7_12zip_iteratorINS8_INS7_6detail15normal_iteratorINS7_10device_ptrIyEEEESJ_S9_S9_S9_S9_S9_S9_S9_S9_EEEEPSB_SM_NS0_5tupleIJNSE_INS8_ISJ_NS7_16discard_iteratorINS7_11use_defaultEEES9_S9_S9_S9_S9_S9_S9_S9_EEEESB_EEENSN_IJSM_SM_EEESB_PlJNSF_9not_fun_tINSF_14equal_to_valueISA_EEEEEEE10hipError_tPvRmT3_T4_T5_T6_T7_T9_mT8_P12ihipStream_tbDpT10_ENKUlT_T0_E_clISt17integral_constantIbLb1EES1J_EEDaS1E_S1F_EUlS1E_E_NS1_11comp_targetILNS1_3genE0ELNS1_11target_archE4294967295ELNS1_3gpuE0ELNS1_3repE0EEENS1_30default_config_static_selectorELNS0_4arch9wavefront6targetE0EEEvT1_
	.p2align	8
	.type	_ZN7rocprim17ROCPRIM_400000_NS6detail17trampoline_kernelINS0_14default_configENS1_25partition_config_selectorILNS1_17partition_subalgoE6EN6thrust23THRUST_200600_302600_NS5tupleIyyNS7_9null_typeES9_S9_S9_S9_S9_S9_S9_EENS0_10empty_typeEbEEZZNS1_14partition_implILS5_6ELb0ES3_mNS7_12zip_iteratorINS8_INS7_6detail15normal_iteratorINS7_10device_ptrIyEEEESJ_S9_S9_S9_S9_S9_S9_S9_S9_EEEEPSB_SM_NS0_5tupleIJNSE_INS8_ISJ_NS7_16discard_iteratorINS7_11use_defaultEEES9_S9_S9_S9_S9_S9_S9_S9_EEEESB_EEENSN_IJSM_SM_EEESB_PlJNSF_9not_fun_tINSF_14equal_to_valueISA_EEEEEEE10hipError_tPvRmT3_T4_T5_T6_T7_T9_mT8_P12ihipStream_tbDpT10_ENKUlT_T0_E_clISt17integral_constantIbLb1EES1J_EEDaS1E_S1F_EUlS1E_E_NS1_11comp_targetILNS1_3genE0ELNS1_11target_archE4294967295ELNS1_3gpuE0ELNS1_3repE0EEENS1_30default_config_static_selectorELNS0_4arch9wavefront6targetE0EEEvT1_,@function
_ZN7rocprim17ROCPRIM_400000_NS6detail17trampoline_kernelINS0_14default_configENS1_25partition_config_selectorILNS1_17partition_subalgoE6EN6thrust23THRUST_200600_302600_NS5tupleIyyNS7_9null_typeES9_S9_S9_S9_S9_S9_S9_EENS0_10empty_typeEbEEZZNS1_14partition_implILS5_6ELb0ES3_mNS7_12zip_iteratorINS8_INS7_6detail15normal_iteratorINS7_10device_ptrIyEEEESJ_S9_S9_S9_S9_S9_S9_S9_S9_EEEEPSB_SM_NS0_5tupleIJNSE_INS8_ISJ_NS7_16discard_iteratorINS7_11use_defaultEEES9_S9_S9_S9_S9_S9_S9_S9_EEEESB_EEENSN_IJSM_SM_EEESB_PlJNSF_9not_fun_tINSF_14equal_to_valueISA_EEEEEEE10hipError_tPvRmT3_T4_T5_T6_T7_T9_mT8_P12ihipStream_tbDpT10_ENKUlT_T0_E_clISt17integral_constantIbLb1EES1J_EEDaS1E_S1F_EUlS1E_E_NS1_11comp_targetILNS1_3genE0ELNS1_11target_archE4294967295ELNS1_3gpuE0ELNS1_3repE0EEENS1_30default_config_static_selectorELNS0_4arch9wavefront6targetE0EEEvT1_: ; @_ZN7rocprim17ROCPRIM_400000_NS6detail17trampoline_kernelINS0_14default_configENS1_25partition_config_selectorILNS1_17partition_subalgoE6EN6thrust23THRUST_200600_302600_NS5tupleIyyNS7_9null_typeES9_S9_S9_S9_S9_S9_S9_EENS0_10empty_typeEbEEZZNS1_14partition_implILS5_6ELb0ES3_mNS7_12zip_iteratorINS8_INS7_6detail15normal_iteratorINS7_10device_ptrIyEEEESJ_S9_S9_S9_S9_S9_S9_S9_S9_EEEEPSB_SM_NS0_5tupleIJNSE_INS8_ISJ_NS7_16discard_iteratorINS7_11use_defaultEEES9_S9_S9_S9_S9_S9_S9_S9_EEEESB_EEENSN_IJSM_SM_EEESB_PlJNSF_9not_fun_tINSF_14equal_to_valueISA_EEEEEEE10hipError_tPvRmT3_T4_T5_T6_T7_T9_mT8_P12ihipStream_tbDpT10_ENKUlT_T0_E_clISt17integral_constantIbLb1EES1J_EEDaS1E_S1F_EUlS1E_E_NS1_11comp_targetILNS1_3genE0ELNS1_11target_archE4294967295ELNS1_3gpuE0ELNS1_3repE0EEENS1_30default_config_static_selectorELNS0_4arch9wavefront6targetE0EEEvT1_
; %bb.0:
	.section	.rodata,"a",@progbits
	.p2align	6, 0x0
	.amdhsa_kernel _ZN7rocprim17ROCPRIM_400000_NS6detail17trampoline_kernelINS0_14default_configENS1_25partition_config_selectorILNS1_17partition_subalgoE6EN6thrust23THRUST_200600_302600_NS5tupleIyyNS7_9null_typeES9_S9_S9_S9_S9_S9_S9_EENS0_10empty_typeEbEEZZNS1_14partition_implILS5_6ELb0ES3_mNS7_12zip_iteratorINS8_INS7_6detail15normal_iteratorINS7_10device_ptrIyEEEESJ_S9_S9_S9_S9_S9_S9_S9_S9_EEEEPSB_SM_NS0_5tupleIJNSE_INS8_ISJ_NS7_16discard_iteratorINS7_11use_defaultEEES9_S9_S9_S9_S9_S9_S9_S9_EEEESB_EEENSN_IJSM_SM_EEESB_PlJNSF_9not_fun_tINSF_14equal_to_valueISA_EEEEEEE10hipError_tPvRmT3_T4_T5_T6_T7_T9_mT8_P12ihipStream_tbDpT10_ENKUlT_T0_E_clISt17integral_constantIbLb1EES1J_EEDaS1E_S1F_EUlS1E_E_NS1_11comp_targetILNS1_3genE0ELNS1_11target_archE4294967295ELNS1_3gpuE0ELNS1_3repE0EEENS1_30default_config_static_selectorELNS0_4arch9wavefront6targetE0EEEvT1_
		.amdhsa_group_segment_fixed_size 0
		.amdhsa_private_segment_fixed_size 0
		.amdhsa_kernarg_size 160
		.amdhsa_user_sgpr_count 2
		.amdhsa_user_sgpr_dispatch_ptr 0
		.amdhsa_user_sgpr_queue_ptr 0
		.amdhsa_user_sgpr_kernarg_segment_ptr 1
		.amdhsa_user_sgpr_dispatch_id 0
		.amdhsa_user_sgpr_private_segment_size 0
		.amdhsa_wavefront_size32 1
		.amdhsa_uses_dynamic_stack 0
		.amdhsa_enable_private_segment 0
		.amdhsa_system_sgpr_workgroup_id_x 1
		.amdhsa_system_sgpr_workgroup_id_y 0
		.amdhsa_system_sgpr_workgroup_id_z 0
		.amdhsa_system_sgpr_workgroup_info 0
		.amdhsa_system_vgpr_workitem_id 0
		.amdhsa_next_free_vgpr 1
		.amdhsa_next_free_sgpr 1
		.amdhsa_reserve_vcc 0
		.amdhsa_float_round_mode_32 0
		.amdhsa_float_round_mode_16_64 0
		.amdhsa_float_denorm_mode_32 3
		.amdhsa_float_denorm_mode_16_64 3
		.amdhsa_fp16_overflow 0
		.amdhsa_workgroup_processor_mode 1
		.amdhsa_memory_ordered 1
		.amdhsa_forward_progress 1
		.amdhsa_inst_pref_size 0
		.amdhsa_round_robin_scheduling 0
		.amdhsa_exception_fp_ieee_invalid_op 0
		.amdhsa_exception_fp_denorm_src 0
		.amdhsa_exception_fp_ieee_div_zero 0
		.amdhsa_exception_fp_ieee_overflow 0
		.amdhsa_exception_fp_ieee_underflow 0
		.amdhsa_exception_fp_ieee_inexact 0
		.amdhsa_exception_int_div_zero 0
	.end_amdhsa_kernel
	.section	.text._ZN7rocprim17ROCPRIM_400000_NS6detail17trampoline_kernelINS0_14default_configENS1_25partition_config_selectorILNS1_17partition_subalgoE6EN6thrust23THRUST_200600_302600_NS5tupleIyyNS7_9null_typeES9_S9_S9_S9_S9_S9_S9_EENS0_10empty_typeEbEEZZNS1_14partition_implILS5_6ELb0ES3_mNS7_12zip_iteratorINS8_INS7_6detail15normal_iteratorINS7_10device_ptrIyEEEESJ_S9_S9_S9_S9_S9_S9_S9_S9_EEEEPSB_SM_NS0_5tupleIJNSE_INS8_ISJ_NS7_16discard_iteratorINS7_11use_defaultEEES9_S9_S9_S9_S9_S9_S9_S9_EEEESB_EEENSN_IJSM_SM_EEESB_PlJNSF_9not_fun_tINSF_14equal_to_valueISA_EEEEEEE10hipError_tPvRmT3_T4_T5_T6_T7_T9_mT8_P12ihipStream_tbDpT10_ENKUlT_T0_E_clISt17integral_constantIbLb1EES1J_EEDaS1E_S1F_EUlS1E_E_NS1_11comp_targetILNS1_3genE0ELNS1_11target_archE4294967295ELNS1_3gpuE0ELNS1_3repE0EEENS1_30default_config_static_selectorELNS0_4arch9wavefront6targetE0EEEvT1_,"axG",@progbits,_ZN7rocprim17ROCPRIM_400000_NS6detail17trampoline_kernelINS0_14default_configENS1_25partition_config_selectorILNS1_17partition_subalgoE6EN6thrust23THRUST_200600_302600_NS5tupleIyyNS7_9null_typeES9_S9_S9_S9_S9_S9_S9_EENS0_10empty_typeEbEEZZNS1_14partition_implILS5_6ELb0ES3_mNS7_12zip_iteratorINS8_INS7_6detail15normal_iteratorINS7_10device_ptrIyEEEESJ_S9_S9_S9_S9_S9_S9_S9_S9_EEEEPSB_SM_NS0_5tupleIJNSE_INS8_ISJ_NS7_16discard_iteratorINS7_11use_defaultEEES9_S9_S9_S9_S9_S9_S9_S9_EEEESB_EEENSN_IJSM_SM_EEESB_PlJNSF_9not_fun_tINSF_14equal_to_valueISA_EEEEEEE10hipError_tPvRmT3_T4_T5_T6_T7_T9_mT8_P12ihipStream_tbDpT10_ENKUlT_T0_E_clISt17integral_constantIbLb1EES1J_EEDaS1E_S1F_EUlS1E_E_NS1_11comp_targetILNS1_3genE0ELNS1_11target_archE4294967295ELNS1_3gpuE0ELNS1_3repE0EEENS1_30default_config_static_selectorELNS0_4arch9wavefront6targetE0EEEvT1_,comdat
.Lfunc_end1893:
	.size	_ZN7rocprim17ROCPRIM_400000_NS6detail17trampoline_kernelINS0_14default_configENS1_25partition_config_selectorILNS1_17partition_subalgoE6EN6thrust23THRUST_200600_302600_NS5tupleIyyNS7_9null_typeES9_S9_S9_S9_S9_S9_S9_EENS0_10empty_typeEbEEZZNS1_14partition_implILS5_6ELb0ES3_mNS7_12zip_iteratorINS8_INS7_6detail15normal_iteratorINS7_10device_ptrIyEEEESJ_S9_S9_S9_S9_S9_S9_S9_S9_EEEEPSB_SM_NS0_5tupleIJNSE_INS8_ISJ_NS7_16discard_iteratorINS7_11use_defaultEEES9_S9_S9_S9_S9_S9_S9_S9_EEEESB_EEENSN_IJSM_SM_EEESB_PlJNSF_9not_fun_tINSF_14equal_to_valueISA_EEEEEEE10hipError_tPvRmT3_T4_T5_T6_T7_T9_mT8_P12ihipStream_tbDpT10_ENKUlT_T0_E_clISt17integral_constantIbLb1EES1J_EEDaS1E_S1F_EUlS1E_E_NS1_11comp_targetILNS1_3genE0ELNS1_11target_archE4294967295ELNS1_3gpuE0ELNS1_3repE0EEENS1_30default_config_static_selectorELNS0_4arch9wavefront6targetE0EEEvT1_, .Lfunc_end1893-_ZN7rocprim17ROCPRIM_400000_NS6detail17trampoline_kernelINS0_14default_configENS1_25partition_config_selectorILNS1_17partition_subalgoE6EN6thrust23THRUST_200600_302600_NS5tupleIyyNS7_9null_typeES9_S9_S9_S9_S9_S9_S9_EENS0_10empty_typeEbEEZZNS1_14partition_implILS5_6ELb0ES3_mNS7_12zip_iteratorINS8_INS7_6detail15normal_iteratorINS7_10device_ptrIyEEEESJ_S9_S9_S9_S9_S9_S9_S9_S9_EEEEPSB_SM_NS0_5tupleIJNSE_INS8_ISJ_NS7_16discard_iteratorINS7_11use_defaultEEES9_S9_S9_S9_S9_S9_S9_S9_EEEESB_EEENSN_IJSM_SM_EEESB_PlJNSF_9not_fun_tINSF_14equal_to_valueISA_EEEEEEE10hipError_tPvRmT3_T4_T5_T6_T7_T9_mT8_P12ihipStream_tbDpT10_ENKUlT_T0_E_clISt17integral_constantIbLb1EES1J_EEDaS1E_S1F_EUlS1E_E_NS1_11comp_targetILNS1_3genE0ELNS1_11target_archE4294967295ELNS1_3gpuE0ELNS1_3repE0EEENS1_30default_config_static_selectorELNS0_4arch9wavefront6targetE0EEEvT1_
                                        ; -- End function
	.set _ZN7rocprim17ROCPRIM_400000_NS6detail17trampoline_kernelINS0_14default_configENS1_25partition_config_selectorILNS1_17partition_subalgoE6EN6thrust23THRUST_200600_302600_NS5tupleIyyNS7_9null_typeES9_S9_S9_S9_S9_S9_S9_EENS0_10empty_typeEbEEZZNS1_14partition_implILS5_6ELb0ES3_mNS7_12zip_iteratorINS8_INS7_6detail15normal_iteratorINS7_10device_ptrIyEEEESJ_S9_S9_S9_S9_S9_S9_S9_S9_EEEEPSB_SM_NS0_5tupleIJNSE_INS8_ISJ_NS7_16discard_iteratorINS7_11use_defaultEEES9_S9_S9_S9_S9_S9_S9_S9_EEEESB_EEENSN_IJSM_SM_EEESB_PlJNSF_9not_fun_tINSF_14equal_to_valueISA_EEEEEEE10hipError_tPvRmT3_T4_T5_T6_T7_T9_mT8_P12ihipStream_tbDpT10_ENKUlT_T0_E_clISt17integral_constantIbLb1EES1J_EEDaS1E_S1F_EUlS1E_E_NS1_11comp_targetILNS1_3genE0ELNS1_11target_archE4294967295ELNS1_3gpuE0ELNS1_3repE0EEENS1_30default_config_static_selectorELNS0_4arch9wavefront6targetE0EEEvT1_.num_vgpr, 0
	.set _ZN7rocprim17ROCPRIM_400000_NS6detail17trampoline_kernelINS0_14default_configENS1_25partition_config_selectorILNS1_17partition_subalgoE6EN6thrust23THRUST_200600_302600_NS5tupleIyyNS7_9null_typeES9_S9_S9_S9_S9_S9_S9_EENS0_10empty_typeEbEEZZNS1_14partition_implILS5_6ELb0ES3_mNS7_12zip_iteratorINS8_INS7_6detail15normal_iteratorINS7_10device_ptrIyEEEESJ_S9_S9_S9_S9_S9_S9_S9_S9_EEEEPSB_SM_NS0_5tupleIJNSE_INS8_ISJ_NS7_16discard_iteratorINS7_11use_defaultEEES9_S9_S9_S9_S9_S9_S9_S9_EEEESB_EEENSN_IJSM_SM_EEESB_PlJNSF_9not_fun_tINSF_14equal_to_valueISA_EEEEEEE10hipError_tPvRmT3_T4_T5_T6_T7_T9_mT8_P12ihipStream_tbDpT10_ENKUlT_T0_E_clISt17integral_constantIbLb1EES1J_EEDaS1E_S1F_EUlS1E_E_NS1_11comp_targetILNS1_3genE0ELNS1_11target_archE4294967295ELNS1_3gpuE0ELNS1_3repE0EEENS1_30default_config_static_selectorELNS0_4arch9wavefront6targetE0EEEvT1_.num_agpr, 0
	.set _ZN7rocprim17ROCPRIM_400000_NS6detail17trampoline_kernelINS0_14default_configENS1_25partition_config_selectorILNS1_17partition_subalgoE6EN6thrust23THRUST_200600_302600_NS5tupleIyyNS7_9null_typeES9_S9_S9_S9_S9_S9_S9_EENS0_10empty_typeEbEEZZNS1_14partition_implILS5_6ELb0ES3_mNS7_12zip_iteratorINS8_INS7_6detail15normal_iteratorINS7_10device_ptrIyEEEESJ_S9_S9_S9_S9_S9_S9_S9_S9_EEEEPSB_SM_NS0_5tupleIJNSE_INS8_ISJ_NS7_16discard_iteratorINS7_11use_defaultEEES9_S9_S9_S9_S9_S9_S9_S9_EEEESB_EEENSN_IJSM_SM_EEESB_PlJNSF_9not_fun_tINSF_14equal_to_valueISA_EEEEEEE10hipError_tPvRmT3_T4_T5_T6_T7_T9_mT8_P12ihipStream_tbDpT10_ENKUlT_T0_E_clISt17integral_constantIbLb1EES1J_EEDaS1E_S1F_EUlS1E_E_NS1_11comp_targetILNS1_3genE0ELNS1_11target_archE4294967295ELNS1_3gpuE0ELNS1_3repE0EEENS1_30default_config_static_selectorELNS0_4arch9wavefront6targetE0EEEvT1_.numbered_sgpr, 0
	.set _ZN7rocprim17ROCPRIM_400000_NS6detail17trampoline_kernelINS0_14default_configENS1_25partition_config_selectorILNS1_17partition_subalgoE6EN6thrust23THRUST_200600_302600_NS5tupleIyyNS7_9null_typeES9_S9_S9_S9_S9_S9_S9_EENS0_10empty_typeEbEEZZNS1_14partition_implILS5_6ELb0ES3_mNS7_12zip_iteratorINS8_INS7_6detail15normal_iteratorINS7_10device_ptrIyEEEESJ_S9_S9_S9_S9_S9_S9_S9_S9_EEEEPSB_SM_NS0_5tupleIJNSE_INS8_ISJ_NS7_16discard_iteratorINS7_11use_defaultEEES9_S9_S9_S9_S9_S9_S9_S9_EEEESB_EEENSN_IJSM_SM_EEESB_PlJNSF_9not_fun_tINSF_14equal_to_valueISA_EEEEEEE10hipError_tPvRmT3_T4_T5_T6_T7_T9_mT8_P12ihipStream_tbDpT10_ENKUlT_T0_E_clISt17integral_constantIbLb1EES1J_EEDaS1E_S1F_EUlS1E_E_NS1_11comp_targetILNS1_3genE0ELNS1_11target_archE4294967295ELNS1_3gpuE0ELNS1_3repE0EEENS1_30default_config_static_selectorELNS0_4arch9wavefront6targetE0EEEvT1_.num_named_barrier, 0
	.set _ZN7rocprim17ROCPRIM_400000_NS6detail17trampoline_kernelINS0_14default_configENS1_25partition_config_selectorILNS1_17partition_subalgoE6EN6thrust23THRUST_200600_302600_NS5tupleIyyNS7_9null_typeES9_S9_S9_S9_S9_S9_S9_EENS0_10empty_typeEbEEZZNS1_14partition_implILS5_6ELb0ES3_mNS7_12zip_iteratorINS8_INS7_6detail15normal_iteratorINS7_10device_ptrIyEEEESJ_S9_S9_S9_S9_S9_S9_S9_S9_EEEEPSB_SM_NS0_5tupleIJNSE_INS8_ISJ_NS7_16discard_iteratorINS7_11use_defaultEEES9_S9_S9_S9_S9_S9_S9_S9_EEEESB_EEENSN_IJSM_SM_EEESB_PlJNSF_9not_fun_tINSF_14equal_to_valueISA_EEEEEEE10hipError_tPvRmT3_T4_T5_T6_T7_T9_mT8_P12ihipStream_tbDpT10_ENKUlT_T0_E_clISt17integral_constantIbLb1EES1J_EEDaS1E_S1F_EUlS1E_E_NS1_11comp_targetILNS1_3genE0ELNS1_11target_archE4294967295ELNS1_3gpuE0ELNS1_3repE0EEENS1_30default_config_static_selectorELNS0_4arch9wavefront6targetE0EEEvT1_.private_seg_size, 0
	.set _ZN7rocprim17ROCPRIM_400000_NS6detail17trampoline_kernelINS0_14default_configENS1_25partition_config_selectorILNS1_17partition_subalgoE6EN6thrust23THRUST_200600_302600_NS5tupleIyyNS7_9null_typeES9_S9_S9_S9_S9_S9_S9_EENS0_10empty_typeEbEEZZNS1_14partition_implILS5_6ELb0ES3_mNS7_12zip_iteratorINS8_INS7_6detail15normal_iteratorINS7_10device_ptrIyEEEESJ_S9_S9_S9_S9_S9_S9_S9_S9_EEEEPSB_SM_NS0_5tupleIJNSE_INS8_ISJ_NS7_16discard_iteratorINS7_11use_defaultEEES9_S9_S9_S9_S9_S9_S9_S9_EEEESB_EEENSN_IJSM_SM_EEESB_PlJNSF_9not_fun_tINSF_14equal_to_valueISA_EEEEEEE10hipError_tPvRmT3_T4_T5_T6_T7_T9_mT8_P12ihipStream_tbDpT10_ENKUlT_T0_E_clISt17integral_constantIbLb1EES1J_EEDaS1E_S1F_EUlS1E_E_NS1_11comp_targetILNS1_3genE0ELNS1_11target_archE4294967295ELNS1_3gpuE0ELNS1_3repE0EEENS1_30default_config_static_selectorELNS0_4arch9wavefront6targetE0EEEvT1_.uses_vcc, 0
	.set _ZN7rocprim17ROCPRIM_400000_NS6detail17trampoline_kernelINS0_14default_configENS1_25partition_config_selectorILNS1_17partition_subalgoE6EN6thrust23THRUST_200600_302600_NS5tupleIyyNS7_9null_typeES9_S9_S9_S9_S9_S9_S9_EENS0_10empty_typeEbEEZZNS1_14partition_implILS5_6ELb0ES3_mNS7_12zip_iteratorINS8_INS7_6detail15normal_iteratorINS7_10device_ptrIyEEEESJ_S9_S9_S9_S9_S9_S9_S9_S9_EEEEPSB_SM_NS0_5tupleIJNSE_INS8_ISJ_NS7_16discard_iteratorINS7_11use_defaultEEES9_S9_S9_S9_S9_S9_S9_S9_EEEESB_EEENSN_IJSM_SM_EEESB_PlJNSF_9not_fun_tINSF_14equal_to_valueISA_EEEEEEE10hipError_tPvRmT3_T4_T5_T6_T7_T9_mT8_P12ihipStream_tbDpT10_ENKUlT_T0_E_clISt17integral_constantIbLb1EES1J_EEDaS1E_S1F_EUlS1E_E_NS1_11comp_targetILNS1_3genE0ELNS1_11target_archE4294967295ELNS1_3gpuE0ELNS1_3repE0EEENS1_30default_config_static_selectorELNS0_4arch9wavefront6targetE0EEEvT1_.uses_flat_scratch, 0
	.set _ZN7rocprim17ROCPRIM_400000_NS6detail17trampoline_kernelINS0_14default_configENS1_25partition_config_selectorILNS1_17partition_subalgoE6EN6thrust23THRUST_200600_302600_NS5tupleIyyNS7_9null_typeES9_S9_S9_S9_S9_S9_S9_EENS0_10empty_typeEbEEZZNS1_14partition_implILS5_6ELb0ES3_mNS7_12zip_iteratorINS8_INS7_6detail15normal_iteratorINS7_10device_ptrIyEEEESJ_S9_S9_S9_S9_S9_S9_S9_S9_EEEEPSB_SM_NS0_5tupleIJNSE_INS8_ISJ_NS7_16discard_iteratorINS7_11use_defaultEEES9_S9_S9_S9_S9_S9_S9_S9_EEEESB_EEENSN_IJSM_SM_EEESB_PlJNSF_9not_fun_tINSF_14equal_to_valueISA_EEEEEEE10hipError_tPvRmT3_T4_T5_T6_T7_T9_mT8_P12ihipStream_tbDpT10_ENKUlT_T0_E_clISt17integral_constantIbLb1EES1J_EEDaS1E_S1F_EUlS1E_E_NS1_11comp_targetILNS1_3genE0ELNS1_11target_archE4294967295ELNS1_3gpuE0ELNS1_3repE0EEENS1_30default_config_static_selectorELNS0_4arch9wavefront6targetE0EEEvT1_.has_dyn_sized_stack, 0
	.set _ZN7rocprim17ROCPRIM_400000_NS6detail17trampoline_kernelINS0_14default_configENS1_25partition_config_selectorILNS1_17partition_subalgoE6EN6thrust23THRUST_200600_302600_NS5tupleIyyNS7_9null_typeES9_S9_S9_S9_S9_S9_S9_EENS0_10empty_typeEbEEZZNS1_14partition_implILS5_6ELb0ES3_mNS7_12zip_iteratorINS8_INS7_6detail15normal_iteratorINS7_10device_ptrIyEEEESJ_S9_S9_S9_S9_S9_S9_S9_S9_EEEEPSB_SM_NS0_5tupleIJNSE_INS8_ISJ_NS7_16discard_iteratorINS7_11use_defaultEEES9_S9_S9_S9_S9_S9_S9_S9_EEEESB_EEENSN_IJSM_SM_EEESB_PlJNSF_9not_fun_tINSF_14equal_to_valueISA_EEEEEEE10hipError_tPvRmT3_T4_T5_T6_T7_T9_mT8_P12ihipStream_tbDpT10_ENKUlT_T0_E_clISt17integral_constantIbLb1EES1J_EEDaS1E_S1F_EUlS1E_E_NS1_11comp_targetILNS1_3genE0ELNS1_11target_archE4294967295ELNS1_3gpuE0ELNS1_3repE0EEENS1_30default_config_static_selectorELNS0_4arch9wavefront6targetE0EEEvT1_.has_recursion, 0
	.set _ZN7rocprim17ROCPRIM_400000_NS6detail17trampoline_kernelINS0_14default_configENS1_25partition_config_selectorILNS1_17partition_subalgoE6EN6thrust23THRUST_200600_302600_NS5tupleIyyNS7_9null_typeES9_S9_S9_S9_S9_S9_S9_EENS0_10empty_typeEbEEZZNS1_14partition_implILS5_6ELb0ES3_mNS7_12zip_iteratorINS8_INS7_6detail15normal_iteratorINS7_10device_ptrIyEEEESJ_S9_S9_S9_S9_S9_S9_S9_S9_EEEEPSB_SM_NS0_5tupleIJNSE_INS8_ISJ_NS7_16discard_iteratorINS7_11use_defaultEEES9_S9_S9_S9_S9_S9_S9_S9_EEEESB_EEENSN_IJSM_SM_EEESB_PlJNSF_9not_fun_tINSF_14equal_to_valueISA_EEEEEEE10hipError_tPvRmT3_T4_T5_T6_T7_T9_mT8_P12ihipStream_tbDpT10_ENKUlT_T0_E_clISt17integral_constantIbLb1EES1J_EEDaS1E_S1F_EUlS1E_E_NS1_11comp_targetILNS1_3genE0ELNS1_11target_archE4294967295ELNS1_3gpuE0ELNS1_3repE0EEENS1_30default_config_static_selectorELNS0_4arch9wavefront6targetE0EEEvT1_.has_indirect_call, 0
	.section	.AMDGPU.csdata,"",@progbits
; Kernel info:
; codeLenInByte = 0
; TotalNumSgprs: 0
; NumVgprs: 0
; ScratchSize: 0
; MemoryBound: 0
; FloatMode: 240
; IeeeMode: 1
; LDSByteSize: 0 bytes/workgroup (compile time only)
; SGPRBlocks: 0
; VGPRBlocks: 0
; NumSGPRsForWavesPerEU: 1
; NumVGPRsForWavesPerEU: 1
; Occupancy: 16
; WaveLimiterHint : 0
; COMPUTE_PGM_RSRC2:SCRATCH_EN: 0
; COMPUTE_PGM_RSRC2:USER_SGPR: 2
; COMPUTE_PGM_RSRC2:TRAP_HANDLER: 0
; COMPUTE_PGM_RSRC2:TGID_X_EN: 1
; COMPUTE_PGM_RSRC2:TGID_Y_EN: 0
; COMPUTE_PGM_RSRC2:TGID_Z_EN: 0
; COMPUTE_PGM_RSRC2:TIDIG_COMP_CNT: 0
	.section	.text._ZN7rocprim17ROCPRIM_400000_NS6detail17trampoline_kernelINS0_14default_configENS1_25partition_config_selectorILNS1_17partition_subalgoE6EN6thrust23THRUST_200600_302600_NS5tupleIyyNS7_9null_typeES9_S9_S9_S9_S9_S9_S9_EENS0_10empty_typeEbEEZZNS1_14partition_implILS5_6ELb0ES3_mNS7_12zip_iteratorINS8_INS7_6detail15normal_iteratorINS7_10device_ptrIyEEEESJ_S9_S9_S9_S9_S9_S9_S9_S9_EEEEPSB_SM_NS0_5tupleIJNSE_INS8_ISJ_NS7_16discard_iteratorINS7_11use_defaultEEES9_S9_S9_S9_S9_S9_S9_S9_EEEESB_EEENSN_IJSM_SM_EEESB_PlJNSF_9not_fun_tINSF_14equal_to_valueISA_EEEEEEE10hipError_tPvRmT3_T4_T5_T6_T7_T9_mT8_P12ihipStream_tbDpT10_ENKUlT_T0_E_clISt17integral_constantIbLb1EES1J_EEDaS1E_S1F_EUlS1E_E_NS1_11comp_targetILNS1_3genE5ELNS1_11target_archE942ELNS1_3gpuE9ELNS1_3repE0EEENS1_30default_config_static_selectorELNS0_4arch9wavefront6targetE0EEEvT1_,"axG",@progbits,_ZN7rocprim17ROCPRIM_400000_NS6detail17trampoline_kernelINS0_14default_configENS1_25partition_config_selectorILNS1_17partition_subalgoE6EN6thrust23THRUST_200600_302600_NS5tupleIyyNS7_9null_typeES9_S9_S9_S9_S9_S9_S9_EENS0_10empty_typeEbEEZZNS1_14partition_implILS5_6ELb0ES3_mNS7_12zip_iteratorINS8_INS7_6detail15normal_iteratorINS7_10device_ptrIyEEEESJ_S9_S9_S9_S9_S9_S9_S9_S9_EEEEPSB_SM_NS0_5tupleIJNSE_INS8_ISJ_NS7_16discard_iteratorINS7_11use_defaultEEES9_S9_S9_S9_S9_S9_S9_S9_EEEESB_EEENSN_IJSM_SM_EEESB_PlJNSF_9not_fun_tINSF_14equal_to_valueISA_EEEEEEE10hipError_tPvRmT3_T4_T5_T6_T7_T9_mT8_P12ihipStream_tbDpT10_ENKUlT_T0_E_clISt17integral_constantIbLb1EES1J_EEDaS1E_S1F_EUlS1E_E_NS1_11comp_targetILNS1_3genE5ELNS1_11target_archE942ELNS1_3gpuE9ELNS1_3repE0EEENS1_30default_config_static_selectorELNS0_4arch9wavefront6targetE0EEEvT1_,comdat
	.protected	_ZN7rocprim17ROCPRIM_400000_NS6detail17trampoline_kernelINS0_14default_configENS1_25partition_config_selectorILNS1_17partition_subalgoE6EN6thrust23THRUST_200600_302600_NS5tupleIyyNS7_9null_typeES9_S9_S9_S9_S9_S9_S9_EENS0_10empty_typeEbEEZZNS1_14partition_implILS5_6ELb0ES3_mNS7_12zip_iteratorINS8_INS7_6detail15normal_iteratorINS7_10device_ptrIyEEEESJ_S9_S9_S9_S9_S9_S9_S9_S9_EEEEPSB_SM_NS0_5tupleIJNSE_INS8_ISJ_NS7_16discard_iteratorINS7_11use_defaultEEES9_S9_S9_S9_S9_S9_S9_S9_EEEESB_EEENSN_IJSM_SM_EEESB_PlJNSF_9not_fun_tINSF_14equal_to_valueISA_EEEEEEE10hipError_tPvRmT3_T4_T5_T6_T7_T9_mT8_P12ihipStream_tbDpT10_ENKUlT_T0_E_clISt17integral_constantIbLb1EES1J_EEDaS1E_S1F_EUlS1E_E_NS1_11comp_targetILNS1_3genE5ELNS1_11target_archE942ELNS1_3gpuE9ELNS1_3repE0EEENS1_30default_config_static_selectorELNS0_4arch9wavefront6targetE0EEEvT1_ ; -- Begin function _ZN7rocprim17ROCPRIM_400000_NS6detail17trampoline_kernelINS0_14default_configENS1_25partition_config_selectorILNS1_17partition_subalgoE6EN6thrust23THRUST_200600_302600_NS5tupleIyyNS7_9null_typeES9_S9_S9_S9_S9_S9_S9_EENS0_10empty_typeEbEEZZNS1_14partition_implILS5_6ELb0ES3_mNS7_12zip_iteratorINS8_INS7_6detail15normal_iteratorINS7_10device_ptrIyEEEESJ_S9_S9_S9_S9_S9_S9_S9_S9_EEEEPSB_SM_NS0_5tupleIJNSE_INS8_ISJ_NS7_16discard_iteratorINS7_11use_defaultEEES9_S9_S9_S9_S9_S9_S9_S9_EEEESB_EEENSN_IJSM_SM_EEESB_PlJNSF_9not_fun_tINSF_14equal_to_valueISA_EEEEEEE10hipError_tPvRmT3_T4_T5_T6_T7_T9_mT8_P12ihipStream_tbDpT10_ENKUlT_T0_E_clISt17integral_constantIbLb1EES1J_EEDaS1E_S1F_EUlS1E_E_NS1_11comp_targetILNS1_3genE5ELNS1_11target_archE942ELNS1_3gpuE9ELNS1_3repE0EEENS1_30default_config_static_selectorELNS0_4arch9wavefront6targetE0EEEvT1_
	.globl	_ZN7rocprim17ROCPRIM_400000_NS6detail17trampoline_kernelINS0_14default_configENS1_25partition_config_selectorILNS1_17partition_subalgoE6EN6thrust23THRUST_200600_302600_NS5tupleIyyNS7_9null_typeES9_S9_S9_S9_S9_S9_S9_EENS0_10empty_typeEbEEZZNS1_14partition_implILS5_6ELb0ES3_mNS7_12zip_iteratorINS8_INS7_6detail15normal_iteratorINS7_10device_ptrIyEEEESJ_S9_S9_S9_S9_S9_S9_S9_S9_EEEEPSB_SM_NS0_5tupleIJNSE_INS8_ISJ_NS7_16discard_iteratorINS7_11use_defaultEEES9_S9_S9_S9_S9_S9_S9_S9_EEEESB_EEENSN_IJSM_SM_EEESB_PlJNSF_9not_fun_tINSF_14equal_to_valueISA_EEEEEEE10hipError_tPvRmT3_T4_T5_T6_T7_T9_mT8_P12ihipStream_tbDpT10_ENKUlT_T0_E_clISt17integral_constantIbLb1EES1J_EEDaS1E_S1F_EUlS1E_E_NS1_11comp_targetILNS1_3genE5ELNS1_11target_archE942ELNS1_3gpuE9ELNS1_3repE0EEENS1_30default_config_static_selectorELNS0_4arch9wavefront6targetE0EEEvT1_
	.p2align	8
	.type	_ZN7rocprim17ROCPRIM_400000_NS6detail17trampoline_kernelINS0_14default_configENS1_25partition_config_selectorILNS1_17partition_subalgoE6EN6thrust23THRUST_200600_302600_NS5tupleIyyNS7_9null_typeES9_S9_S9_S9_S9_S9_S9_EENS0_10empty_typeEbEEZZNS1_14partition_implILS5_6ELb0ES3_mNS7_12zip_iteratorINS8_INS7_6detail15normal_iteratorINS7_10device_ptrIyEEEESJ_S9_S9_S9_S9_S9_S9_S9_S9_EEEEPSB_SM_NS0_5tupleIJNSE_INS8_ISJ_NS7_16discard_iteratorINS7_11use_defaultEEES9_S9_S9_S9_S9_S9_S9_S9_EEEESB_EEENSN_IJSM_SM_EEESB_PlJNSF_9not_fun_tINSF_14equal_to_valueISA_EEEEEEE10hipError_tPvRmT3_T4_T5_T6_T7_T9_mT8_P12ihipStream_tbDpT10_ENKUlT_T0_E_clISt17integral_constantIbLb1EES1J_EEDaS1E_S1F_EUlS1E_E_NS1_11comp_targetILNS1_3genE5ELNS1_11target_archE942ELNS1_3gpuE9ELNS1_3repE0EEENS1_30default_config_static_selectorELNS0_4arch9wavefront6targetE0EEEvT1_,@function
_ZN7rocprim17ROCPRIM_400000_NS6detail17trampoline_kernelINS0_14default_configENS1_25partition_config_selectorILNS1_17partition_subalgoE6EN6thrust23THRUST_200600_302600_NS5tupleIyyNS7_9null_typeES9_S9_S9_S9_S9_S9_S9_EENS0_10empty_typeEbEEZZNS1_14partition_implILS5_6ELb0ES3_mNS7_12zip_iteratorINS8_INS7_6detail15normal_iteratorINS7_10device_ptrIyEEEESJ_S9_S9_S9_S9_S9_S9_S9_S9_EEEEPSB_SM_NS0_5tupleIJNSE_INS8_ISJ_NS7_16discard_iteratorINS7_11use_defaultEEES9_S9_S9_S9_S9_S9_S9_S9_EEEESB_EEENSN_IJSM_SM_EEESB_PlJNSF_9not_fun_tINSF_14equal_to_valueISA_EEEEEEE10hipError_tPvRmT3_T4_T5_T6_T7_T9_mT8_P12ihipStream_tbDpT10_ENKUlT_T0_E_clISt17integral_constantIbLb1EES1J_EEDaS1E_S1F_EUlS1E_E_NS1_11comp_targetILNS1_3genE5ELNS1_11target_archE942ELNS1_3gpuE9ELNS1_3repE0EEENS1_30default_config_static_selectorELNS0_4arch9wavefront6targetE0EEEvT1_: ; @_ZN7rocprim17ROCPRIM_400000_NS6detail17trampoline_kernelINS0_14default_configENS1_25partition_config_selectorILNS1_17partition_subalgoE6EN6thrust23THRUST_200600_302600_NS5tupleIyyNS7_9null_typeES9_S9_S9_S9_S9_S9_S9_EENS0_10empty_typeEbEEZZNS1_14partition_implILS5_6ELb0ES3_mNS7_12zip_iteratorINS8_INS7_6detail15normal_iteratorINS7_10device_ptrIyEEEESJ_S9_S9_S9_S9_S9_S9_S9_S9_EEEEPSB_SM_NS0_5tupleIJNSE_INS8_ISJ_NS7_16discard_iteratorINS7_11use_defaultEEES9_S9_S9_S9_S9_S9_S9_S9_EEEESB_EEENSN_IJSM_SM_EEESB_PlJNSF_9not_fun_tINSF_14equal_to_valueISA_EEEEEEE10hipError_tPvRmT3_T4_T5_T6_T7_T9_mT8_P12ihipStream_tbDpT10_ENKUlT_T0_E_clISt17integral_constantIbLb1EES1J_EEDaS1E_S1F_EUlS1E_E_NS1_11comp_targetILNS1_3genE5ELNS1_11target_archE942ELNS1_3gpuE9ELNS1_3repE0EEENS1_30default_config_static_selectorELNS0_4arch9wavefront6targetE0EEEvT1_
; %bb.0:
	.section	.rodata,"a",@progbits
	.p2align	6, 0x0
	.amdhsa_kernel _ZN7rocprim17ROCPRIM_400000_NS6detail17trampoline_kernelINS0_14default_configENS1_25partition_config_selectorILNS1_17partition_subalgoE6EN6thrust23THRUST_200600_302600_NS5tupleIyyNS7_9null_typeES9_S9_S9_S9_S9_S9_S9_EENS0_10empty_typeEbEEZZNS1_14partition_implILS5_6ELb0ES3_mNS7_12zip_iteratorINS8_INS7_6detail15normal_iteratorINS7_10device_ptrIyEEEESJ_S9_S9_S9_S9_S9_S9_S9_S9_EEEEPSB_SM_NS0_5tupleIJNSE_INS8_ISJ_NS7_16discard_iteratorINS7_11use_defaultEEES9_S9_S9_S9_S9_S9_S9_S9_EEEESB_EEENSN_IJSM_SM_EEESB_PlJNSF_9not_fun_tINSF_14equal_to_valueISA_EEEEEEE10hipError_tPvRmT3_T4_T5_T6_T7_T9_mT8_P12ihipStream_tbDpT10_ENKUlT_T0_E_clISt17integral_constantIbLb1EES1J_EEDaS1E_S1F_EUlS1E_E_NS1_11comp_targetILNS1_3genE5ELNS1_11target_archE942ELNS1_3gpuE9ELNS1_3repE0EEENS1_30default_config_static_selectorELNS0_4arch9wavefront6targetE0EEEvT1_
		.amdhsa_group_segment_fixed_size 0
		.amdhsa_private_segment_fixed_size 0
		.amdhsa_kernarg_size 160
		.amdhsa_user_sgpr_count 2
		.amdhsa_user_sgpr_dispatch_ptr 0
		.amdhsa_user_sgpr_queue_ptr 0
		.amdhsa_user_sgpr_kernarg_segment_ptr 1
		.amdhsa_user_sgpr_dispatch_id 0
		.amdhsa_user_sgpr_private_segment_size 0
		.amdhsa_wavefront_size32 1
		.amdhsa_uses_dynamic_stack 0
		.amdhsa_enable_private_segment 0
		.amdhsa_system_sgpr_workgroup_id_x 1
		.amdhsa_system_sgpr_workgroup_id_y 0
		.amdhsa_system_sgpr_workgroup_id_z 0
		.amdhsa_system_sgpr_workgroup_info 0
		.amdhsa_system_vgpr_workitem_id 0
		.amdhsa_next_free_vgpr 1
		.amdhsa_next_free_sgpr 1
		.amdhsa_reserve_vcc 0
		.amdhsa_float_round_mode_32 0
		.amdhsa_float_round_mode_16_64 0
		.amdhsa_float_denorm_mode_32 3
		.amdhsa_float_denorm_mode_16_64 3
		.amdhsa_fp16_overflow 0
		.amdhsa_workgroup_processor_mode 1
		.amdhsa_memory_ordered 1
		.amdhsa_forward_progress 1
		.amdhsa_inst_pref_size 0
		.amdhsa_round_robin_scheduling 0
		.amdhsa_exception_fp_ieee_invalid_op 0
		.amdhsa_exception_fp_denorm_src 0
		.amdhsa_exception_fp_ieee_div_zero 0
		.amdhsa_exception_fp_ieee_overflow 0
		.amdhsa_exception_fp_ieee_underflow 0
		.amdhsa_exception_fp_ieee_inexact 0
		.amdhsa_exception_int_div_zero 0
	.end_amdhsa_kernel
	.section	.text._ZN7rocprim17ROCPRIM_400000_NS6detail17trampoline_kernelINS0_14default_configENS1_25partition_config_selectorILNS1_17partition_subalgoE6EN6thrust23THRUST_200600_302600_NS5tupleIyyNS7_9null_typeES9_S9_S9_S9_S9_S9_S9_EENS0_10empty_typeEbEEZZNS1_14partition_implILS5_6ELb0ES3_mNS7_12zip_iteratorINS8_INS7_6detail15normal_iteratorINS7_10device_ptrIyEEEESJ_S9_S9_S9_S9_S9_S9_S9_S9_EEEEPSB_SM_NS0_5tupleIJNSE_INS8_ISJ_NS7_16discard_iteratorINS7_11use_defaultEEES9_S9_S9_S9_S9_S9_S9_S9_EEEESB_EEENSN_IJSM_SM_EEESB_PlJNSF_9not_fun_tINSF_14equal_to_valueISA_EEEEEEE10hipError_tPvRmT3_T4_T5_T6_T7_T9_mT8_P12ihipStream_tbDpT10_ENKUlT_T0_E_clISt17integral_constantIbLb1EES1J_EEDaS1E_S1F_EUlS1E_E_NS1_11comp_targetILNS1_3genE5ELNS1_11target_archE942ELNS1_3gpuE9ELNS1_3repE0EEENS1_30default_config_static_selectorELNS0_4arch9wavefront6targetE0EEEvT1_,"axG",@progbits,_ZN7rocprim17ROCPRIM_400000_NS6detail17trampoline_kernelINS0_14default_configENS1_25partition_config_selectorILNS1_17partition_subalgoE6EN6thrust23THRUST_200600_302600_NS5tupleIyyNS7_9null_typeES9_S9_S9_S9_S9_S9_S9_EENS0_10empty_typeEbEEZZNS1_14partition_implILS5_6ELb0ES3_mNS7_12zip_iteratorINS8_INS7_6detail15normal_iteratorINS7_10device_ptrIyEEEESJ_S9_S9_S9_S9_S9_S9_S9_S9_EEEEPSB_SM_NS0_5tupleIJNSE_INS8_ISJ_NS7_16discard_iteratorINS7_11use_defaultEEES9_S9_S9_S9_S9_S9_S9_S9_EEEESB_EEENSN_IJSM_SM_EEESB_PlJNSF_9not_fun_tINSF_14equal_to_valueISA_EEEEEEE10hipError_tPvRmT3_T4_T5_T6_T7_T9_mT8_P12ihipStream_tbDpT10_ENKUlT_T0_E_clISt17integral_constantIbLb1EES1J_EEDaS1E_S1F_EUlS1E_E_NS1_11comp_targetILNS1_3genE5ELNS1_11target_archE942ELNS1_3gpuE9ELNS1_3repE0EEENS1_30default_config_static_selectorELNS0_4arch9wavefront6targetE0EEEvT1_,comdat
.Lfunc_end1894:
	.size	_ZN7rocprim17ROCPRIM_400000_NS6detail17trampoline_kernelINS0_14default_configENS1_25partition_config_selectorILNS1_17partition_subalgoE6EN6thrust23THRUST_200600_302600_NS5tupleIyyNS7_9null_typeES9_S9_S9_S9_S9_S9_S9_EENS0_10empty_typeEbEEZZNS1_14partition_implILS5_6ELb0ES3_mNS7_12zip_iteratorINS8_INS7_6detail15normal_iteratorINS7_10device_ptrIyEEEESJ_S9_S9_S9_S9_S9_S9_S9_S9_EEEEPSB_SM_NS0_5tupleIJNSE_INS8_ISJ_NS7_16discard_iteratorINS7_11use_defaultEEES9_S9_S9_S9_S9_S9_S9_S9_EEEESB_EEENSN_IJSM_SM_EEESB_PlJNSF_9not_fun_tINSF_14equal_to_valueISA_EEEEEEE10hipError_tPvRmT3_T4_T5_T6_T7_T9_mT8_P12ihipStream_tbDpT10_ENKUlT_T0_E_clISt17integral_constantIbLb1EES1J_EEDaS1E_S1F_EUlS1E_E_NS1_11comp_targetILNS1_3genE5ELNS1_11target_archE942ELNS1_3gpuE9ELNS1_3repE0EEENS1_30default_config_static_selectorELNS0_4arch9wavefront6targetE0EEEvT1_, .Lfunc_end1894-_ZN7rocprim17ROCPRIM_400000_NS6detail17trampoline_kernelINS0_14default_configENS1_25partition_config_selectorILNS1_17partition_subalgoE6EN6thrust23THRUST_200600_302600_NS5tupleIyyNS7_9null_typeES9_S9_S9_S9_S9_S9_S9_EENS0_10empty_typeEbEEZZNS1_14partition_implILS5_6ELb0ES3_mNS7_12zip_iteratorINS8_INS7_6detail15normal_iteratorINS7_10device_ptrIyEEEESJ_S9_S9_S9_S9_S9_S9_S9_S9_EEEEPSB_SM_NS0_5tupleIJNSE_INS8_ISJ_NS7_16discard_iteratorINS7_11use_defaultEEES9_S9_S9_S9_S9_S9_S9_S9_EEEESB_EEENSN_IJSM_SM_EEESB_PlJNSF_9not_fun_tINSF_14equal_to_valueISA_EEEEEEE10hipError_tPvRmT3_T4_T5_T6_T7_T9_mT8_P12ihipStream_tbDpT10_ENKUlT_T0_E_clISt17integral_constantIbLb1EES1J_EEDaS1E_S1F_EUlS1E_E_NS1_11comp_targetILNS1_3genE5ELNS1_11target_archE942ELNS1_3gpuE9ELNS1_3repE0EEENS1_30default_config_static_selectorELNS0_4arch9wavefront6targetE0EEEvT1_
                                        ; -- End function
	.set _ZN7rocprim17ROCPRIM_400000_NS6detail17trampoline_kernelINS0_14default_configENS1_25partition_config_selectorILNS1_17partition_subalgoE6EN6thrust23THRUST_200600_302600_NS5tupleIyyNS7_9null_typeES9_S9_S9_S9_S9_S9_S9_EENS0_10empty_typeEbEEZZNS1_14partition_implILS5_6ELb0ES3_mNS7_12zip_iteratorINS8_INS7_6detail15normal_iteratorINS7_10device_ptrIyEEEESJ_S9_S9_S9_S9_S9_S9_S9_S9_EEEEPSB_SM_NS0_5tupleIJNSE_INS8_ISJ_NS7_16discard_iteratorINS7_11use_defaultEEES9_S9_S9_S9_S9_S9_S9_S9_EEEESB_EEENSN_IJSM_SM_EEESB_PlJNSF_9not_fun_tINSF_14equal_to_valueISA_EEEEEEE10hipError_tPvRmT3_T4_T5_T6_T7_T9_mT8_P12ihipStream_tbDpT10_ENKUlT_T0_E_clISt17integral_constantIbLb1EES1J_EEDaS1E_S1F_EUlS1E_E_NS1_11comp_targetILNS1_3genE5ELNS1_11target_archE942ELNS1_3gpuE9ELNS1_3repE0EEENS1_30default_config_static_selectorELNS0_4arch9wavefront6targetE0EEEvT1_.num_vgpr, 0
	.set _ZN7rocprim17ROCPRIM_400000_NS6detail17trampoline_kernelINS0_14default_configENS1_25partition_config_selectorILNS1_17partition_subalgoE6EN6thrust23THRUST_200600_302600_NS5tupleIyyNS7_9null_typeES9_S9_S9_S9_S9_S9_S9_EENS0_10empty_typeEbEEZZNS1_14partition_implILS5_6ELb0ES3_mNS7_12zip_iteratorINS8_INS7_6detail15normal_iteratorINS7_10device_ptrIyEEEESJ_S9_S9_S9_S9_S9_S9_S9_S9_EEEEPSB_SM_NS0_5tupleIJNSE_INS8_ISJ_NS7_16discard_iteratorINS7_11use_defaultEEES9_S9_S9_S9_S9_S9_S9_S9_EEEESB_EEENSN_IJSM_SM_EEESB_PlJNSF_9not_fun_tINSF_14equal_to_valueISA_EEEEEEE10hipError_tPvRmT3_T4_T5_T6_T7_T9_mT8_P12ihipStream_tbDpT10_ENKUlT_T0_E_clISt17integral_constantIbLb1EES1J_EEDaS1E_S1F_EUlS1E_E_NS1_11comp_targetILNS1_3genE5ELNS1_11target_archE942ELNS1_3gpuE9ELNS1_3repE0EEENS1_30default_config_static_selectorELNS0_4arch9wavefront6targetE0EEEvT1_.num_agpr, 0
	.set _ZN7rocprim17ROCPRIM_400000_NS6detail17trampoline_kernelINS0_14default_configENS1_25partition_config_selectorILNS1_17partition_subalgoE6EN6thrust23THRUST_200600_302600_NS5tupleIyyNS7_9null_typeES9_S9_S9_S9_S9_S9_S9_EENS0_10empty_typeEbEEZZNS1_14partition_implILS5_6ELb0ES3_mNS7_12zip_iteratorINS8_INS7_6detail15normal_iteratorINS7_10device_ptrIyEEEESJ_S9_S9_S9_S9_S9_S9_S9_S9_EEEEPSB_SM_NS0_5tupleIJNSE_INS8_ISJ_NS7_16discard_iteratorINS7_11use_defaultEEES9_S9_S9_S9_S9_S9_S9_S9_EEEESB_EEENSN_IJSM_SM_EEESB_PlJNSF_9not_fun_tINSF_14equal_to_valueISA_EEEEEEE10hipError_tPvRmT3_T4_T5_T6_T7_T9_mT8_P12ihipStream_tbDpT10_ENKUlT_T0_E_clISt17integral_constantIbLb1EES1J_EEDaS1E_S1F_EUlS1E_E_NS1_11comp_targetILNS1_3genE5ELNS1_11target_archE942ELNS1_3gpuE9ELNS1_3repE0EEENS1_30default_config_static_selectorELNS0_4arch9wavefront6targetE0EEEvT1_.numbered_sgpr, 0
	.set _ZN7rocprim17ROCPRIM_400000_NS6detail17trampoline_kernelINS0_14default_configENS1_25partition_config_selectorILNS1_17partition_subalgoE6EN6thrust23THRUST_200600_302600_NS5tupleIyyNS7_9null_typeES9_S9_S9_S9_S9_S9_S9_EENS0_10empty_typeEbEEZZNS1_14partition_implILS5_6ELb0ES3_mNS7_12zip_iteratorINS8_INS7_6detail15normal_iteratorINS7_10device_ptrIyEEEESJ_S9_S9_S9_S9_S9_S9_S9_S9_EEEEPSB_SM_NS0_5tupleIJNSE_INS8_ISJ_NS7_16discard_iteratorINS7_11use_defaultEEES9_S9_S9_S9_S9_S9_S9_S9_EEEESB_EEENSN_IJSM_SM_EEESB_PlJNSF_9not_fun_tINSF_14equal_to_valueISA_EEEEEEE10hipError_tPvRmT3_T4_T5_T6_T7_T9_mT8_P12ihipStream_tbDpT10_ENKUlT_T0_E_clISt17integral_constantIbLb1EES1J_EEDaS1E_S1F_EUlS1E_E_NS1_11comp_targetILNS1_3genE5ELNS1_11target_archE942ELNS1_3gpuE9ELNS1_3repE0EEENS1_30default_config_static_selectorELNS0_4arch9wavefront6targetE0EEEvT1_.num_named_barrier, 0
	.set _ZN7rocprim17ROCPRIM_400000_NS6detail17trampoline_kernelINS0_14default_configENS1_25partition_config_selectorILNS1_17partition_subalgoE6EN6thrust23THRUST_200600_302600_NS5tupleIyyNS7_9null_typeES9_S9_S9_S9_S9_S9_S9_EENS0_10empty_typeEbEEZZNS1_14partition_implILS5_6ELb0ES3_mNS7_12zip_iteratorINS8_INS7_6detail15normal_iteratorINS7_10device_ptrIyEEEESJ_S9_S9_S9_S9_S9_S9_S9_S9_EEEEPSB_SM_NS0_5tupleIJNSE_INS8_ISJ_NS7_16discard_iteratorINS7_11use_defaultEEES9_S9_S9_S9_S9_S9_S9_S9_EEEESB_EEENSN_IJSM_SM_EEESB_PlJNSF_9not_fun_tINSF_14equal_to_valueISA_EEEEEEE10hipError_tPvRmT3_T4_T5_T6_T7_T9_mT8_P12ihipStream_tbDpT10_ENKUlT_T0_E_clISt17integral_constantIbLb1EES1J_EEDaS1E_S1F_EUlS1E_E_NS1_11comp_targetILNS1_3genE5ELNS1_11target_archE942ELNS1_3gpuE9ELNS1_3repE0EEENS1_30default_config_static_selectorELNS0_4arch9wavefront6targetE0EEEvT1_.private_seg_size, 0
	.set _ZN7rocprim17ROCPRIM_400000_NS6detail17trampoline_kernelINS0_14default_configENS1_25partition_config_selectorILNS1_17partition_subalgoE6EN6thrust23THRUST_200600_302600_NS5tupleIyyNS7_9null_typeES9_S9_S9_S9_S9_S9_S9_EENS0_10empty_typeEbEEZZNS1_14partition_implILS5_6ELb0ES3_mNS7_12zip_iteratorINS8_INS7_6detail15normal_iteratorINS7_10device_ptrIyEEEESJ_S9_S9_S9_S9_S9_S9_S9_S9_EEEEPSB_SM_NS0_5tupleIJNSE_INS8_ISJ_NS7_16discard_iteratorINS7_11use_defaultEEES9_S9_S9_S9_S9_S9_S9_S9_EEEESB_EEENSN_IJSM_SM_EEESB_PlJNSF_9not_fun_tINSF_14equal_to_valueISA_EEEEEEE10hipError_tPvRmT3_T4_T5_T6_T7_T9_mT8_P12ihipStream_tbDpT10_ENKUlT_T0_E_clISt17integral_constantIbLb1EES1J_EEDaS1E_S1F_EUlS1E_E_NS1_11comp_targetILNS1_3genE5ELNS1_11target_archE942ELNS1_3gpuE9ELNS1_3repE0EEENS1_30default_config_static_selectorELNS0_4arch9wavefront6targetE0EEEvT1_.uses_vcc, 0
	.set _ZN7rocprim17ROCPRIM_400000_NS6detail17trampoline_kernelINS0_14default_configENS1_25partition_config_selectorILNS1_17partition_subalgoE6EN6thrust23THRUST_200600_302600_NS5tupleIyyNS7_9null_typeES9_S9_S9_S9_S9_S9_S9_EENS0_10empty_typeEbEEZZNS1_14partition_implILS5_6ELb0ES3_mNS7_12zip_iteratorINS8_INS7_6detail15normal_iteratorINS7_10device_ptrIyEEEESJ_S9_S9_S9_S9_S9_S9_S9_S9_EEEEPSB_SM_NS0_5tupleIJNSE_INS8_ISJ_NS7_16discard_iteratorINS7_11use_defaultEEES9_S9_S9_S9_S9_S9_S9_S9_EEEESB_EEENSN_IJSM_SM_EEESB_PlJNSF_9not_fun_tINSF_14equal_to_valueISA_EEEEEEE10hipError_tPvRmT3_T4_T5_T6_T7_T9_mT8_P12ihipStream_tbDpT10_ENKUlT_T0_E_clISt17integral_constantIbLb1EES1J_EEDaS1E_S1F_EUlS1E_E_NS1_11comp_targetILNS1_3genE5ELNS1_11target_archE942ELNS1_3gpuE9ELNS1_3repE0EEENS1_30default_config_static_selectorELNS0_4arch9wavefront6targetE0EEEvT1_.uses_flat_scratch, 0
	.set _ZN7rocprim17ROCPRIM_400000_NS6detail17trampoline_kernelINS0_14default_configENS1_25partition_config_selectorILNS1_17partition_subalgoE6EN6thrust23THRUST_200600_302600_NS5tupleIyyNS7_9null_typeES9_S9_S9_S9_S9_S9_S9_EENS0_10empty_typeEbEEZZNS1_14partition_implILS5_6ELb0ES3_mNS7_12zip_iteratorINS8_INS7_6detail15normal_iteratorINS7_10device_ptrIyEEEESJ_S9_S9_S9_S9_S9_S9_S9_S9_EEEEPSB_SM_NS0_5tupleIJNSE_INS8_ISJ_NS7_16discard_iteratorINS7_11use_defaultEEES9_S9_S9_S9_S9_S9_S9_S9_EEEESB_EEENSN_IJSM_SM_EEESB_PlJNSF_9not_fun_tINSF_14equal_to_valueISA_EEEEEEE10hipError_tPvRmT3_T4_T5_T6_T7_T9_mT8_P12ihipStream_tbDpT10_ENKUlT_T0_E_clISt17integral_constantIbLb1EES1J_EEDaS1E_S1F_EUlS1E_E_NS1_11comp_targetILNS1_3genE5ELNS1_11target_archE942ELNS1_3gpuE9ELNS1_3repE0EEENS1_30default_config_static_selectorELNS0_4arch9wavefront6targetE0EEEvT1_.has_dyn_sized_stack, 0
	.set _ZN7rocprim17ROCPRIM_400000_NS6detail17trampoline_kernelINS0_14default_configENS1_25partition_config_selectorILNS1_17partition_subalgoE6EN6thrust23THRUST_200600_302600_NS5tupleIyyNS7_9null_typeES9_S9_S9_S9_S9_S9_S9_EENS0_10empty_typeEbEEZZNS1_14partition_implILS5_6ELb0ES3_mNS7_12zip_iteratorINS8_INS7_6detail15normal_iteratorINS7_10device_ptrIyEEEESJ_S9_S9_S9_S9_S9_S9_S9_S9_EEEEPSB_SM_NS0_5tupleIJNSE_INS8_ISJ_NS7_16discard_iteratorINS7_11use_defaultEEES9_S9_S9_S9_S9_S9_S9_S9_EEEESB_EEENSN_IJSM_SM_EEESB_PlJNSF_9not_fun_tINSF_14equal_to_valueISA_EEEEEEE10hipError_tPvRmT3_T4_T5_T6_T7_T9_mT8_P12ihipStream_tbDpT10_ENKUlT_T0_E_clISt17integral_constantIbLb1EES1J_EEDaS1E_S1F_EUlS1E_E_NS1_11comp_targetILNS1_3genE5ELNS1_11target_archE942ELNS1_3gpuE9ELNS1_3repE0EEENS1_30default_config_static_selectorELNS0_4arch9wavefront6targetE0EEEvT1_.has_recursion, 0
	.set _ZN7rocprim17ROCPRIM_400000_NS6detail17trampoline_kernelINS0_14default_configENS1_25partition_config_selectorILNS1_17partition_subalgoE6EN6thrust23THRUST_200600_302600_NS5tupleIyyNS7_9null_typeES9_S9_S9_S9_S9_S9_S9_EENS0_10empty_typeEbEEZZNS1_14partition_implILS5_6ELb0ES3_mNS7_12zip_iteratorINS8_INS7_6detail15normal_iteratorINS7_10device_ptrIyEEEESJ_S9_S9_S9_S9_S9_S9_S9_S9_EEEEPSB_SM_NS0_5tupleIJNSE_INS8_ISJ_NS7_16discard_iteratorINS7_11use_defaultEEES9_S9_S9_S9_S9_S9_S9_S9_EEEESB_EEENSN_IJSM_SM_EEESB_PlJNSF_9not_fun_tINSF_14equal_to_valueISA_EEEEEEE10hipError_tPvRmT3_T4_T5_T6_T7_T9_mT8_P12ihipStream_tbDpT10_ENKUlT_T0_E_clISt17integral_constantIbLb1EES1J_EEDaS1E_S1F_EUlS1E_E_NS1_11comp_targetILNS1_3genE5ELNS1_11target_archE942ELNS1_3gpuE9ELNS1_3repE0EEENS1_30default_config_static_selectorELNS0_4arch9wavefront6targetE0EEEvT1_.has_indirect_call, 0
	.section	.AMDGPU.csdata,"",@progbits
; Kernel info:
; codeLenInByte = 0
; TotalNumSgprs: 0
; NumVgprs: 0
; ScratchSize: 0
; MemoryBound: 0
; FloatMode: 240
; IeeeMode: 1
; LDSByteSize: 0 bytes/workgroup (compile time only)
; SGPRBlocks: 0
; VGPRBlocks: 0
; NumSGPRsForWavesPerEU: 1
; NumVGPRsForWavesPerEU: 1
; Occupancy: 16
; WaveLimiterHint : 0
; COMPUTE_PGM_RSRC2:SCRATCH_EN: 0
; COMPUTE_PGM_RSRC2:USER_SGPR: 2
; COMPUTE_PGM_RSRC2:TRAP_HANDLER: 0
; COMPUTE_PGM_RSRC2:TGID_X_EN: 1
; COMPUTE_PGM_RSRC2:TGID_Y_EN: 0
; COMPUTE_PGM_RSRC2:TGID_Z_EN: 0
; COMPUTE_PGM_RSRC2:TIDIG_COMP_CNT: 0
	.section	.text._ZN7rocprim17ROCPRIM_400000_NS6detail17trampoline_kernelINS0_14default_configENS1_25partition_config_selectorILNS1_17partition_subalgoE6EN6thrust23THRUST_200600_302600_NS5tupleIyyNS7_9null_typeES9_S9_S9_S9_S9_S9_S9_EENS0_10empty_typeEbEEZZNS1_14partition_implILS5_6ELb0ES3_mNS7_12zip_iteratorINS8_INS7_6detail15normal_iteratorINS7_10device_ptrIyEEEESJ_S9_S9_S9_S9_S9_S9_S9_S9_EEEEPSB_SM_NS0_5tupleIJNSE_INS8_ISJ_NS7_16discard_iteratorINS7_11use_defaultEEES9_S9_S9_S9_S9_S9_S9_S9_EEEESB_EEENSN_IJSM_SM_EEESB_PlJNSF_9not_fun_tINSF_14equal_to_valueISA_EEEEEEE10hipError_tPvRmT3_T4_T5_T6_T7_T9_mT8_P12ihipStream_tbDpT10_ENKUlT_T0_E_clISt17integral_constantIbLb1EES1J_EEDaS1E_S1F_EUlS1E_E_NS1_11comp_targetILNS1_3genE4ELNS1_11target_archE910ELNS1_3gpuE8ELNS1_3repE0EEENS1_30default_config_static_selectorELNS0_4arch9wavefront6targetE0EEEvT1_,"axG",@progbits,_ZN7rocprim17ROCPRIM_400000_NS6detail17trampoline_kernelINS0_14default_configENS1_25partition_config_selectorILNS1_17partition_subalgoE6EN6thrust23THRUST_200600_302600_NS5tupleIyyNS7_9null_typeES9_S9_S9_S9_S9_S9_S9_EENS0_10empty_typeEbEEZZNS1_14partition_implILS5_6ELb0ES3_mNS7_12zip_iteratorINS8_INS7_6detail15normal_iteratorINS7_10device_ptrIyEEEESJ_S9_S9_S9_S9_S9_S9_S9_S9_EEEEPSB_SM_NS0_5tupleIJNSE_INS8_ISJ_NS7_16discard_iteratorINS7_11use_defaultEEES9_S9_S9_S9_S9_S9_S9_S9_EEEESB_EEENSN_IJSM_SM_EEESB_PlJNSF_9not_fun_tINSF_14equal_to_valueISA_EEEEEEE10hipError_tPvRmT3_T4_T5_T6_T7_T9_mT8_P12ihipStream_tbDpT10_ENKUlT_T0_E_clISt17integral_constantIbLb1EES1J_EEDaS1E_S1F_EUlS1E_E_NS1_11comp_targetILNS1_3genE4ELNS1_11target_archE910ELNS1_3gpuE8ELNS1_3repE0EEENS1_30default_config_static_selectorELNS0_4arch9wavefront6targetE0EEEvT1_,comdat
	.protected	_ZN7rocprim17ROCPRIM_400000_NS6detail17trampoline_kernelINS0_14default_configENS1_25partition_config_selectorILNS1_17partition_subalgoE6EN6thrust23THRUST_200600_302600_NS5tupleIyyNS7_9null_typeES9_S9_S9_S9_S9_S9_S9_EENS0_10empty_typeEbEEZZNS1_14partition_implILS5_6ELb0ES3_mNS7_12zip_iteratorINS8_INS7_6detail15normal_iteratorINS7_10device_ptrIyEEEESJ_S9_S9_S9_S9_S9_S9_S9_S9_EEEEPSB_SM_NS0_5tupleIJNSE_INS8_ISJ_NS7_16discard_iteratorINS7_11use_defaultEEES9_S9_S9_S9_S9_S9_S9_S9_EEEESB_EEENSN_IJSM_SM_EEESB_PlJNSF_9not_fun_tINSF_14equal_to_valueISA_EEEEEEE10hipError_tPvRmT3_T4_T5_T6_T7_T9_mT8_P12ihipStream_tbDpT10_ENKUlT_T0_E_clISt17integral_constantIbLb1EES1J_EEDaS1E_S1F_EUlS1E_E_NS1_11comp_targetILNS1_3genE4ELNS1_11target_archE910ELNS1_3gpuE8ELNS1_3repE0EEENS1_30default_config_static_selectorELNS0_4arch9wavefront6targetE0EEEvT1_ ; -- Begin function _ZN7rocprim17ROCPRIM_400000_NS6detail17trampoline_kernelINS0_14default_configENS1_25partition_config_selectorILNS1_17partition_subalgoE6EN6thrust23THRUST_200600_302600_NS5tupleIyyNS7_9null_typeES9_S9_S9_S9_S9_S9_S9_EENS0_10empty_typeEbEEZZNS1_14partition_implILS5_6ELb0ES3_mNS7_12zip_iteratorINS8_INS7_6detail15normal_iteratorINS7_10device_ptrIyEEEESJ_S9_S9_S9_S9_S9_S9_S9_S9_EEEEPSB_SM_NS0_5tupleIJNSE_INS8_ISJ_NS7_16discard_iteratorINS7_11use_defaultEEES9_S9_S9_S9_S9_S9_S9_S9_EEEESB_EEENSN_IJSM_SM_EEESB_PlJNSF_9not_fun_tINSF_14equal_to_valueISA_EEEEEEE10hipError_tPvRmT3_T4_T5_T6_T7_T9_mT8_P12ihipStream_tbDpT10_ENKUlT_T0_E_clISt17integral_constantIbLb1EES1J_EEDaS1E_S1F_EUlS1E_E_NS1_11comp_targetILNS1_3genE4ELNS1_11target_archE910ELNS1_3gpuE8ELNS1_3repE0EEENS1_30default_config_static_selectorELNS0_4arch9wavefront6targetE0EEEvT1_
	.globl	_ZN7rocprim17ROCPRIM_400000_NS6detail17trampoline_kernelINS0_14default_configENS1_25partition_config_selectorILNS1_17partition_subalgoE6EN6thrust23THRUST_200600_302600_NS5tupleIyyNS7_9null_typeES9_S9_S9_S9_S9_S9_S9_EENS0_10empty_typeEbEEZZNS1_14partition_implILS5_6ELb0ES3_mNS7_12zip_iteratorINS8_INS7_6detail15normal_iteratorINS7_10device_ptrIyEEEESJ_S9_S9_S9_S9_S9_S9_S9_S9_EEEEPSB_SM_NS0_5tupleIJNSE_INS8_ISJ_NS7_16discard_iteratorINS7_11use_defaultEEES9_S9_S9_S9_S9_S9_S9_S9_EEEESB_EEENSN_IJSM_SM_EEESB_PlJNSF_9not_fun_tINSF_14equal_to_valueISA_EEEEEEE10hipError_tPvRmT3_T4_T5_T6_T7_T9_mT8_P12ihipStream_tbDpT10_ENKUlT_T0_E_clISt17integral_constantIbLb1EES1J_EEDaS1E_S1F_EUlS1E_E_NS1_11comp_targetILNS1_3genE4ELNS1_11target_archE910ELNS1_3gpuE8ELNS1_3repE0EEENS1_30default_config_static_selectorELNS0_4arch9wavefront6targetE0EEEvT1_
	.p2align	8
	.type	_ZN7rocprim17ROCPRIM_400000_NS6detail17trampoline_kernelINS0_14default_configENS1_25partition_config_selectorILNS1_17partition_subalgoE6EN6thrust23THRUST_200600_302600_NS5tupleIyyNS7_9null_typeES9_S9_S9_S9_S9_S9_S9_EENS0_10empty_typeEbEEZZNS1_14partition_implILS5_6ELb0ES3_mNS7_12zip_iteratorINS8_INS7_6detail15normal_iteratorINS7_10device_ptrIyEEEESJ_S9_S9_S9_S9_S9_S9_S9_S9_EEEEPSB_SM_NS0_5tupleIJNSE_INS8_ISJ_NS7_16discard_iteratorINS7_11use_defaultEEES9_S9_S9_S9_S9_S9_S9_S9_EEEESB_EEENSN_IJSM_SM_EEESB_PlJNSF_9not_fun_tINSF_14equal_to_valueISA_EEEEEEE10hipError_tPvRmT3_T4_T5_T6_T7_T9_mT8_P12ihipStream_tbDpT10_ENKUlT_T0_E_clISt17integral_constantIbLb1EES1J_EEDaS1E_S1F_EUlS1E_E_NS1_11comp_targetILNS1_3genE4ELNS1_11target_archE910ELNS1_3gpuE8ELNS1_3repE0EEENS1_30default_config_static_selectorELNS0_4arch9wavefront6targetE0EEEvT1_,@function
_ZN7rocprim17ROCPRIM_400000_NS6detail17trampoline_kernelINS0_14default_configENS1_25partition_config_selectorILNS1_17partition_subalgoE6EN6thrust23THRUST_200600_302600_NS5tupleIyyNS7_9null_typeES9_S9_S9_S9_S9_S9_S9_EENS0_10empty_typeEbEEZZNS1_14partition_implILS5_6ELb0ES3_mNS7_12zip_iteratorINS8_INS7_6detail15normal_iteratorINS7_10device_ptrIyEEEESJ_S9_S9_S9_S9_S9_S9_S9_S9_EEEEPSB_SM_NS0_5tupleIJNSE_INS8_ISJ_NS7_16discard_iteratorINS7_11use_defaultEEES9_S9_S9_S9_S9_S9_S9_S9_EEEESB_EEENSN_IJSM_SM_EEESB_PlJNSF_9not_fun_tINSF_14equal_to_valueISA_EEEEEEE10hipError_tPvRmT3_T4_T5_T6_T7_T9_mT8_P12ihipStream_tbDpT10_ENKUlT_T0_E_clISt17integral_constantIbLb1EES1J_EEDaS1E_S1F_EUlS1E_E_NS1_11comp_targetILNS1_3genE4ELNS1_11target_archE910ELNS1_3gpuE8ELNS1_3repE0EEENS1_30default_config_static_selectorELNS0_4arch9wavefront6targetE0EEEvT1_: ; @_ZN7rocprim17ROCPRIM_400000_NS6detail17trampoline_kernelINS0_14default_configENS1_25partition_config_selectorILNS1_17partition_subalgoE6EN6thrust23THRUST_200600_302600_NS5tupleIyyNS7_9null_typeES9_S9_S9_S9_S9_S9_S9_EENS0_10empty_typeEbEEZZNS1_14partition_implILS5_6ELb0ES3_mNS7_12zip_iteratorINS8_INS7_6detail15normal_iteratorINS7_10device_ptrIyEEEESJ_S9_S9_S9_S9_S9_S9_S9_S9_EEEEPSB_SM_NS0_5tupleIJNSE_INS8_ISJ_NS7_16discard_iteratorINS7_11use_defaultEEES9_S9_S9_S9_S9_S9_S9_S9_EEEESB_EEENSN_IJSM_SM_EEESB_PlJNSF_9not_fun_tINSF_14equal_to_valueISA_EEEEEEE10hipError_tPvRmT3_T4_T5_T6_T7_T9_mT8_P12ihipStream_tbDpT10_ENKUlT_T0_E_clISt17integral_constantIbLb1EES1J_EEDaS1E_S1F_EUlS1E_E_NS1_11comp_targetILNS1_3genE4ELNS1_11target_archE910ELNS1_3gpuE8ELNS1_3repE0EEENS1_30default_config_static_selectorELNS0_4arch9wavefront6targetE0EEEvT1_
; %bb.0:
	.section	.rodata,"a",@progbits
	.p2align	6, 0x0
	.amdhsa_kernel _ZN7rocprim17ROCPRIM_400000_NS6detail17trampoline_kernelINS0_14default_configENS1_25partition_config_selectorILNS1_17partition_subalgoE6EN6thrust23THRUST_200600_302600_NS5tupleIyyNS7_9null_typeES9_S9_S9_S9_S9_S9_S9_EENS0_10empty_typeEbEEZZNS1_14partition_implILS5_6ELb0ES3_mNS7_12zip_iteratorINS8_INS7_6detail15normal_iteratorINS7_10device_ptrIyEEEESJ_S9_S9_S9_S9_S9_S9_S9_S9_EEEEPSB_SM_NS0_5tupleIJNSE_INS8_ISJ_NS7_16discard_iteratorINS7_11use_defaultEEES9_S9_S9_S9_S9_S9_S9_S9_EEEESB_EEENSN_IJSM_SM_EEESB_PlJNSF_9not_fun_tINSF_14equal_to_valueISA_EEEEEEE10hipError_tPvRmT3_T4_T5_T6_T7_T9_mT8_P12ihipStream_tbDpT10_ENKUlT_T0_E_clISt17integral_constantIbLb1EES1J_EEDaS1E_S1F_EUlS1E_E_NS1_11comp_targetILNS1_3genE4ELNS1_11target_archE910ELNS1_3gpuE8ELNS1_3repE0EEENS1_30default_config_static_selectorELNS0_4arch9wavefront6targetE0EEEvT1_
		.amdhsa_group_segment_fixed_size 0
		.amdhsa_private_segment_fixed_size 0
		.amdhsa_kernarg_size 160
		.amdhsa_user_sgpr_count 2
		.amdhsa_user_sgpr_dispatch_ptr 0
		.amdhsa_user_sgpr_queue_ptr 0
		.amdhsa_user_sgpr_kernarg_segment_ptr 1
		.amdhsa_user_sgpr_dispatch_id 0
		.amdhsa_user_sgpr_private_segment_size 0
		.amdhsa_wavefront_size32 1
		.amdhsa_uses_dynamic_stack 0
		.amdhsa_enable_private_segment 0
		.amdhsa_system_sgpr_workgroup_id_x 1
		.amdhsa_system_sgpr_workgroup_id_y 0
		.amdhsa_system_sgpr_workgroup_id_z 0
		.amdhsa_system_sgpr_workgroup_info 0
		.amdhsa_system_vgpr_workitem_id 0
		.amdhsa_next_free_vgpr 1
		.amdhsa_next_free_sgpr 1
		.amdhsa_reserve_vcc 0
		.amdhsa_float_round_mode_32 0
		.amdhsa_float_round_mode_16_64 0
		.amdhsa_float_denorm_mode_32 3
		.amdhsa_float_denorm_mode_16_64 3
		.amdhsa_fp16_overflow 0
		.amdhsa_workgroup_processor_mode 1
		.amdhsa_memory_ordered 1
		.amdhsa_forward_progress 1
		.amdhsa_inst_pref_size 0
		.amdhsa_round_robin_scheduling 0
		.amdhsa_exception_fp_ieee_invalid_op 0
		.amdhsa_exception_fp_denorm_src 0
		.amdhsa_exception_fp_ieee_div_zero 0
		.amdhsa_exception_fp_ieee_overflow 0
		.amdhsa_exception_fp_ieee_underflow 0
		.amdhsa_exception_fp_ieee_inexact 0
		.amdhsa_exception_int_div_zero 0
	.end_amdhsa_kernel
	.section	.text._ZN7rocprim17ROCPRIM_400000_NS6detail17trampoline_kernelINS0_14default_configENS1_25partition_config_selectorILNS1_17partition_subalgoE6EN6thrust23THRUST_200600_302600_NS5tupleIyyNS7_9null_typeES9_S9_S9_S9_S9_S9_S9_EENS0_10empty_typeEbEEZZNS1_14partition_implILS5_6ELb0ES3_mNS7_12zip_iteratorINS8_INS7_6detail15normal_iteratorINS7_10device_ptrIyEEEESJ_S9_S9_S9_S9_S9_S9_S9_S9_EEEEPSB_SM_NS0_5tupleIJNSE_INS8_ISJ_NS7_16discard_iteratorINS7_11use_defaultEEES9_S9_S9_S9_S9_S9_S9_S9_EEEESB_EEENSN_IJSM_SM_EEESB_PlJNSF_9not_fun_tINSF_14equal_to_valueISA_EEEEEEE10hipError_tPvRmT3_T4_T5_T6_T7_T9_mT8_P12ihipStream_tbDpT10_ENKUlT_T0_E_clISt17integral_constantIbLb1EES1J_EEDaS1E_S1F_EUlS1E_E_NS1_11comp_targetILNS1_3genE4ELNS1_11target_archE910ELNS1_3gpuE8ELNS1_3repE0EEENS1_30default_config_static_selectorELNS0_4arch9wavefront6targetE0EEEvT1_,"axG",@progbits,_ZN7rocprim17ROCPRIM_400000_NS6detail17trampoline_kernelINS0_14default_configENS1_25partition_config_selectorILNS1_17partition_subalgoE6EN6thrust23THRUST_200600_302600_NS5tupleIyyNS7_9null_typeES9_S9_S9_S9_S9_S9_S9_EENS0_10empty_typeEbEEZZNS1_14partition_implILS5_6ELb0ES3_mNS7_12zip_iteratorINS8_INS7_6detail15normal_iteratorINS7_10device_ptrIyEEEESJ_S9_S9_S9_S9_S9_S9_S9_S9_EEEEPSB_SM_NS0_5tupleIJNSE_INS8_ISJ_NS7_16discard_iteratorINS7_11use_defaultEEES9_S9_S9_S9_S9_S9_S9_S9_EEEESB_EEENSN_IJSM_SM_EEESB_PlJNSF_9not_fun_tINSF_14equal_to_valueISA_EEEEEEE10hipError_tPvRmT3_T4_T5_T6_T7_T9_mT8_P12ihipStream_tbDpT10_ENKUlT_T0_E_clISt17integral_constantIbLb1EES1J_EEDaS1E_S1F_EUlS1E_E_NS1_11comp_targetILNS1_3genE4ELNS1_11target_archE910ELNS1_3gpuE8ELNS1_3repE0EEENS1_30default_config_static_selectorELNS0_4arch9wavefront6targetE0EEEvT1_,comdat
.Lfunc_end1895:
	.size	_ZN7rocprim17ROCPRIM_400000_NS6detail17trampoline_kernelINS0_14default_configENS1_25partition_config_selectorILNS1_17partition_subalgoE6EN6thrust23THRUST_200600_302600_NS5tupleIyyNS7_9null_typeES9_S9_S9_S9_S9_S9_S9_EENS0_10empty_typeEbEEZZNS1_14partition_implILS5_6ELb0ES3_mNS7_12zip_iteratorINS8_INS7_6detail15normal_iteratorINS7_10device_ptrIyEEEESJ_S9_S9_S9_S9_S9_S9_S9_S9_EEEEPSB_SM_NS0_5tupleIJNSE_INS8_ISJ_NS7_16discard_iteratorINS7_11use_defaultEEES9_S9_S9_S9_S9_S9_S9_S9_EEEESB_EEENSN_IJSM_SM_EEESB_PlJNSF_9not_fun_tINSF_14equal_to_valueISA_EEEEEEE10hipError_tPvRmT3_T4_T5_T6_T7_T9_mT8_P12ihipStream_tbDpT10_ENKUlT_T0_E_clISt17integral_constantIbLb1EES1J_EEDaS1E_S1F_EUlS1E_E_NS1_11comp_targetILNS1_3genE4ELNS1_11target_archE910ELNS1_3gpuE8ELNS1_3repE0EEENS1_30default_config_static_selectorELNS0_4arch9wavefront6targetE0EEEvT1_, .Lfunc_end1895-_ZN7rocprim17ROCPRIM_400000_NS6detail17trampoline_kernelINS0_14default_configENS1_25partition_config_selectorILNS1_17partition_subalgoE6EN6thrust23THRUST_200600_302600_NS5tupleIyyNS7_9null_typeES9_S9_S9_S9_S9_S9_S9_EENS0_10empty_typeEbEEZZNS1_14partition_implILS5_6ELb0ES3_mNS7_12zip_iteratorINS8_INS7_6detail15normal_iteratorINS7_10device_ptrIyEEEESJ_S9_S9_S9_S9_S9_S9_S9_S9_EEEEPSB_SM_NS0_5tupleIJNSE_INS8_ISJ_NS7_16discard_iteratorINS7_11use_defaultEEES9_S9_S9_S9_S9_S9_S9_S9_EEEESB_EEENSN_IJSM_SM_EEESB_PlJNSF_9not_fun_tINSF_14equal_to_valueISA_EEEEEEE10hipError_tPvRmT3_T4_T5_T6_T7_T9_mT8_P12ihipStream_tbDpT10_ENKUlT_T0_E_clISt17integral_constantIbLb1EES1J_EEDaS1E_S1F_EUlS1E_E_NS1_11comp_targetILNS1_3genE4ELNS1_11target_archE910ELNS1_3gpuE8ELNS1_3repE0EEENS1_30default_config_static_selectorELNS0_4arch9wavefront6targetE0EEEvT1_
                                        ; -- End function
	.set _ZN7rocprim17ROCPRIM_400000_NS6detail17trampoline_kernelINS0_14default_configENS1_25partition_config_selectorILNS1_17partition_subalgoE6EN6thrust23THRUST_200600_302600_NS5tupleIyyNS7_9null_typeES9_S9_S9_S9_S9_S9_S9_EENS0_10empty_typeEbEEZZNS1_14partition_implILS5_6ELb0ES3_mNS7_12zip_iteratorINS8_INS7_6detail15normal_iteratorINS7_10device_ptrIyEEEESJ_S9_S9_S9_S9_S9_S9_S9_S9_EEEEPSB_SM_NS0_5tupleIJNSE_INS8_ISJ_NS7_16discard_iteratorINS7_11use_defaultEEES9_S9_S9_S9_S9_S9_S9_S9_EEEESB_EEENSN_IJSM_SM_EEESB_PlJNSF_9not_fun_tINSF_14equal_to_valueISA_EEEEEEE10hipError_tPvRmT3_T4_T5_T6_T7_T9_mT8_P12ihipStream_tbDpT10_ENKUlT_T0_E_clISt17integral_constantIbLb1EES1J_EEDaS1E_S1F_EUlS1E_E_NS1_11comp_targetILNS1_3genE4ELNS1_11target_archE910ELNS1_3gpuE8ELNS1_3repE0EEENS1_30default_config_static_selectorELNS0_4arch9wavefront6targetE0EEEvT1_.num_vgpr, 0
	.set _ZN7rocprim17ROCPRIM_400000_NS6detail17trampoline_kernelINS0_14default_configENS1_25partition_config_selectorILNS1_17partition_subalgoE6EN6thrust23THRUST_200600_302600_NS5tupleIyyNS7_9null_typeES9_S9_S9_S9_S9_S9_S9_EENS0_10empty_typeEbEEZZNS1_14partition_implILS5_6ELb0ES3_mNS7_12zip_iteratorINS8_INS7_6detail15normal_iteratorINS7_10device_ptrIyEEEESJ_S9_S9_S9_S9_S9_S9_S9_S9_EEEEPSB_SM_NS0_5tupleIJNSE_INS8_ISJ_NS7_16discard_iteratorINS7_11use_defaultEEES9_S9_S9_S9_S9_S9_S9_S9_EEEESB_EEENSN_IJSM_SM_EEESB_PlJNSF_9not_fun_tINSF_14equal_to_valueISA_EEEEEEE10hipError_tPvRmT3_T4_T5_T6_T7_T9_mT8_P12ihipStream_tbDpT10_ENKUlT_T0_E_clISt17integral_constantIbLb1EES1J_EEDaS1E_S1F_EUlS1E_E_NS1_11comp_targetILNS1_3genE4ELNS1_11target_archE910ELNS1_3gpuE8ELNS1_3repE0EEENS1_30default_config_static_selectorELNS0_4arch9wavefront6targetE0EEEvT1_.num_agpr, 0
	.set _ZN7rocprim17ROCPRIM_400000_NS6detail17trampoline_kernelINS0_14default_configENS1_25partition_config_selectorILNS1_17partition_subalgoE6EN6thrust23THRUST_200600_302600_NS5tupleIyyNS7_9null_typeES9_S9_S9_S9_S9_S9_S9_EENS0_10empty_typeEbEEZZNS1_14partition_implILS5_6ELb0ES3_mNS7_12zip_iteratorINS8_INS7_6detail15normal_iteratorINS7_10device_ptrIyEEEESJ_S9_S9_S9_S9_S9_S9_S9_S9_EEEEPSB_SM_NS0_5tupleIJNSE_INS8_ISJ_NS7_16discard_iteratorINS7_11use_defaultEEES9_S9_S9_S9_S9_S9_S9_S9_EEEESB_EEENSN_IJSM_SM_EEESB_PlJNSF_9not_fun_tINSF_14equal_to_valueISA_EEEEEEE10hipError_tPvRmT3_T4_T5_T6_T7_T9_mT8_P12ihipStream_tbDpT10_ENKUlT_T0_E_clISt17integral_constantIbLb1EES1J_EEDaS1E_S1F_EUlS1E_E_NS1_11comp_targetILNS1_3genE4ELNS1_11target_archE910ELNS1_3gpuE8ELNS1_3repE0EEENS1_30default_config_static_selectorELNS0_4arch9wavefront6targetE0EEEvT1_.numbered_sgpr, 0
	.set _ZN7rocprim17ROCPRIM_400000_NS6detail17trampoline_kernelINS0_14default_configENS1_25partition_config_selectorILNS1_17partition_subalgoE6EN6thrust23THRUST_200600_302600_NS5tupleIyyNS7_9null_typeES9_S9_S9_S9_S9_S9_S9_EENS0_10empty_typeEbEEZZNS1_14partition_implILS5_6ELb0ES3_mNS7_12zip_iteratorINS8_INS7_6detail15normal_iteratorINS7_10device_ptrIyEEEESJ_S9_S9_S9_S9_S9_S9_S9_S9_EEEEPSB_SM_NS0_5tupleIJNSE_INS8_ISJ_NS7_16discard_iteratorINS7_11use_defaultEEES9_S9_S9_S9_S9_S9_S9_S9_EEEESB_EEENSN_IJSM_SM_EEESB_PlJNSF_9not_fun_tINSF_14equal_to_valueISA_EEEEEEE10hipError_tPvRmT3_T4_T5_T6_T7_T9_mT8_P12ihipStream_tbDpT10_ENKUlT_T0_E_clISt17integral_constantIbLb1EES1J_EEDaS1E_S1F_EUlS1E_E_NS1_11comp_targetILNS1_3genE4ELNS1_11target_archE910ELNS1_3gpuE8ELNS1_3repE0EEENS1_30default_config_static_selectorELNS0_4arch9wavefront6targetE0EEEvT1_.num_named_barrier, 0
	.set _ZN7rocprim17ROCPRIM_400000_NS6detail17trampoline_kernelINS0_14default_configENS1_25partition_config_selectorILNS1_17partition_subalgoE6EN6thrust23THRUST_200600_302600_NS5tupleIyyNS7_9null_typeES9_S9_S9_S9_S9_S9_S9_EENS0_10empty_typeEbEEZZNS1_14partition_implILS5_6ELb0ES3_mNS7_12zip_iteratorINS8_INS7_6detail15normal_iteratorINS7_10device_ptrIyEEEESJ_S9_S9_S9_S9_S9_S9_S9_S9_EEEEPSB_SM_NS0_5tupleIJNSE_INS8_ISJ_NS7_16discard_iteratorINS7_11use_defaultEEES9_S9_S9_S9_S9_S9_S9_S9_EEEESB_EEENSN_IJSM_SM_EEESB_PlJNSF_9not_fun_tINSF_14equal_to_valueISA_EEEEEEE10hipError_tPvRmT3_T4_T5_T6_T7_T9_mT8_P12ihipStream_tbDpT10_ENKUlT_T0_E_clISt17integral_constantIbLb1EES1J_EEDaS1E_S1F_EUlS1E_E_NS1_11comp_targetILNS1_3genE4ELNS1_11target_archE910ELNS1_3gpuE8ELNS1_3repE0EEENS1_30default_config_static_selectorELNS0_4arch9wavefront6targetE0EEEvT1_.private_seg_size, 0
	.set _ZN7rocprim17ROCPRIM_400000_NS6detail17trampoline_kernelINS0_14default_configENS1_25partition_config_selectorILNS1_17partition_subalgoE6EN6thrust23THRUST_200600_302600_NS5tupleIyyNS7_9null_typeES9_S9_S9_S9_S9_S9_S9_EENS0_10empty_typeEbEEZZNS1_14partition_implILS5_6ELb0ES3_mNS7_12zip_iteratorINS8_INS7_6detail15normal_iteratorINS7_10device_ptrIyEEEESJ_S9_S9_S9_S9_S9_S9_S9_S9_EEEEPSB_SM_NS0_5tupleIJNSE_INS8_ISJ_NS7_16discard_iteratorINS7_11use_defaultEEES9_S9_S9_S9_S9_S9_S9_S9_EEEESB_EEENSN_IJSM_SM_EEESB_PlJNSF_9not_fun_tINSF_14equal_to_valueISA_EEEEEEE10hipError_tPvRmT3_T4_T5_T6_T7_T9_mT8_P12ihipStream_tbDpT10_ENKUlT_T0_E_clISt17integral_constantIbLb1EES1J_EEDaS1E_S1F_EUlS1E_E_NS1_11comp_targetILNS1_3genE4ELNS1_11target_archE910ELNS1_3gpuE8ELNS1_3repE0EEENS1_30default_config_static_selectorELNS0_4arch9wavefront6targetE0EEEvT1_.uses_vcc, 0
	.set _ZN7rocprim17ROCPRIM_400000_NS6detail17trampoline_kernelINS0_14default_configENS1_25partition_config_selectorILNS1_17partition_subalgoE6EN6thrust23THRUST_200600_302600_NS5tupleIyyNS7_9null_typeES9_S9_S9_S9_S9_S9_S9_EENS0_10empty_typeEbEEZZNS1_14partition_implILS5_6ELb0ES3_mNS7_12zip_iteratorINS8_INS7_6detail15normal_iteratorINS7_10device_ptrIyEEEESJ_S9_S9_S9_S9_S9_S9_S9_S9_EEEEPSB_SM_NS0_5tupleIJNSE_INS8_ISJ_NS7_16discard_iteratorINS7_11use_defaultEEES9_S9_S9_S9_S9_S9_S9_S9_EEEESB_EEENSN_IJSM_SM_EEESB_PlJNSF_9not_fun_tINSF_14equal_to_valueISA_EEEEEEE10hipError_tPvRmT3_T4_T5_T6_T7_T9_mT8_P12ihipStream_tbDpT10_ENKUlT_T0_E_clISt17integral_constantIbLb1EES1J_EEDaS1E_S1F_EUlS1E_E_NS1_11comp_targetILNS1_3genE4ELNS1_11target_archE910ELNS1_3gpuE8ELNS1_3repE0EEENS1_30default_config_static_selectorELNS0_4arch9wavefront6targetE0EEEvT1_.uses_flat_scratch, 0
	.set _ZN7rocprim17ROCPRIM_400000_NS6detail17trampoline_kernelINS0_14default_configENS1_25partition_config_selectorILNS1_17partition_subalgoE6EN6thrust23THRUST_200600_302600_NS5tupleIyyNS7_9null_typeES9_S9_S9_S9_S9_S9_S9_EENS0_10empty_typeEbEEZZNS1_14partition_implILS5_6ELb0ES3_mNS7_12zip_iteratorINS8_INS7_6detail15normal_iteratorINS7_10device_ptrIyEEEESJ_S9_S9_S9_S9_S9_S9_S9_S9_EEEEPSB_SM_NS0_5tupleIJNSE_INS8_ISJ_NS7_16discard_iteratorINS7_11use_defaultEEES9_S9_S9_S9_S9_S9_S9_S9_EEEESB_EEENSN_IJSM_SM_EEESB_PlJNSF_9not_fun_tINSF_14equal_to_valueISA_EEEEEEE10hipError_tPvRmT3_T4_T5_T6_T7_T9_mT8_P12ihipStream_tbDpT10_ENKUlT_T0_E_clISt17integral_constantIbLb1EES1J_EEDaS1E_S1F_EUlS1E_E_NS1_11comp_targetILNS1_3genE4ELNS1_11target_archE910ELNS1_3gpuE8ELNS1_3repE0EEENS1_30default_config_static_selectorELNS0_4arch9wavefront6targetE0EEEvT1_.has_dyn_sized_stack, 0
	.set _ZN7rocprim17ROCPRIM_400000_NS6detail17trampoline_kernelINS0_14default_configENS1_25partition_config_selectorILNS1_17partition_subalgoE6EN6thrust23THRUST_200600_302600_NS5tupleIyyNS7_9null_typeES9_S9_S9_S9_S9_S9_S9_EENS0_10empty_typeEbEEZZNS1_14partition_implILS5_6ELb0ES3_mNS7_12zip_iteratorINS8_INS7_6detail15normal_iteratorINS7_10device_ptrIyEEEESJ_S9_S9_S9_S9_S9_S9_S9_S9_EEEEPSB_SM_NS0_5tupleIJNSE_INS8_ISJ_NS7_16discard_iteratorINS7_11use_defaultEEES9_S9_S9_S9_S9_S9_S9_S9_EEEESB_EEENSN_IJSM_SM_EEESB_PlJNSF_9not_fun_tINSF_14equal_to_valueISA_EEEEEEE10hipError_tPvRmT3_T4_T5_T6_T7_T9_mT8_P12ihipStream_tbDpT10_ENKUlT_T0_E_clISt17integral_constantIbLb1EES1J_EEDaS1E_S1F_EUlS1E_E_NS1_11comp_targetILNS1_3genE4ELNS1_11target_archE910ELNS1_3gpuE8ELNS1_3repE0EEENS1_30default_config_static_selectorELNS0_4arch9wavefront6targetE0EEEvT1_.has_recursion, 0
	.set _ZN7rocprim17ROCPRIM_400000_NS6detail17trampoline_kernelINS0_14default_configENS1_25partition_config_selectorILNS1_17partition_subalgoE6EN6thrust23THRUST_200600_302600_NS5tupleIyyNS7_9null_typeES9_S9_S9_S9_S9_S9_S9_EENS0_10empty_typeEbEEZZNS1_14partition_implILS5_6ELb0ES3_mNS7_12zip_iteratorINS8_INS7_6detail15normal_iteratorINS7_10device_ptrIyEEEESJ_S9_S9_S9_S9_S9_S9_S9_S9_EEEEPSB_SM_NS0_5tupleIJNSE_INS8_ISJ_NS7_16discard_iteratorINS7_11use_defaultEEES9_S9_S9_S9_S9_S9_S9_S9_EEEESB_EEENSN_IJSM_SM_EEESB_PlJNSF_9not_fun_tINSF_14equal_to_valueISA_EEEEEEE10hipError_tPvRmT3_T4_T5_T6_T7_T9_mT8_P12ihipStream_tbDpT10_ENKUlT_T0_E_clISt17integral_constantIbLb1EES1J_EEDaS1E_S1F_EUlS1E_E_NS1_11comp_targetILNS1_3genE4ELNS1_11target_archE910ELNS1_3gpuE8ELNS1_3repE0EEENS1_30default_config_static_selectorELNS0_4arch9wavefront6targetE0EEEvT1_.has_indirect_call, 0
	.section	.AMDGPU.csdata,"",@progbits
; Kernel info:
; codeLenInByte = 0
; TotalNumSgprs: 0
; NumVgprs: 0
; ScratchSize: 0
; MemoryBound: 0
; FloatMode: 240
; IeeeMode: 1
; LDSByteSize: 0 bytes/workgroup (compile time only)
; SGPRBlocks: 0
; VGPRBlocks: 0
; NumSGPRsForWavesPerEU: 1
; NumVGPRsForWavesPerEU: 1
; Occupancy: 16
; WaveLimiterHint : 0
; COMPUTE_PGM_RSRC2:SCRATCH_EN: 0
; COMPUTE_PGM_RSRC2:USER_SGPR: 2
; COMPUTE_PGM_RSRC2:TRAP_HANDLER: 0
; COMPUTE_PGM_RSRC2:TGID_X_EN: 1
; COMPUTE_PGM_RSRC2:TGID_Y_EN: 0
; COMPUTE_PGM_RSRC2:TGID_Z_EN: 0
; COMPUTE_PGM_RSRC2:TIDIG_COMP_CNT: 0
	.section	.text._ZN7rocprim17ROCPRIM_400000_NS6detail17trampoline_kernelINS0_14default_configENS1_25partition_config_selectorILNS1_17partition_subalgoE6EN6thrust23THRUST_200600_302600_NS5tupleIyyNS7_9null_typeES9_S9_S9_S9_S9_S9_S9_EENS0_10empty_typeEbEEZZNS1_14partition_implILS5_6ELb0ES3_mNS7_12zip_iteratorINS8_INS7_6detail15normal_iteratorINS7_10device_ptrIyEEEESJ_S9_S9_S9_S9_S9_S9_S9_S9_EEEEPSB_SM_NS0_5tupleIJNSE_INS8_ISJ_NS7_16discard_iteratorINS7_11use_defaultEEES9_S9_S9_S9_S9_S9_S9_S9_EEEESB_EEENSN_IJSM_SM_EEESB_PlJNSF_9not_fun_tINSF_14equal_to_valueISA_EEEEEEE10hipError_tPvRmT3_T4_T5_T6_T7_T9_mT8_P12ihipStream_tbDpT10_ENKUlT_T0_E_clISt17integral_constantIbLb1EES1J_EEDaS1E_S1F_EUlS1E_E_NS1_11comp_targetILNS1_3genE3ELNS1_11target_archE908ELNS1_3gpuE7ELNS1_3repE0EEENS1_30default_config_static_selectorELNS0_4arch9wavefront6targetE0EEEvT1_,"axG",@progbits,_ZN7rocprim17ROCPRIM_400000_NS6detail17trampoline_kernelINS0_14default_configENS1_25partition_config_selectorILNS1_17partition_subalgoE6EN6thrust23THRUST_200600_302600_NS5tupleIyyNS7_9null_typeES9_S9_S9_S9_S9_S9_S9_EENS0_10empty_typeEbEEZZNS1_14partition_implILS5_6ELb0ES3_mNS7_12zip_iteratorINS8_INS7_6detail15normal_iteratorINS7_10device_ptrIyEEEESJ_S9_S9_S9_S9_S9_S9_S9_S9_EEEEPSB_SM_NS0_5tupleIJNSE_INS8_ISJ_NS7_16discard_iteratorINS7_11use_defaultEEES9_S9_S9_S9_S9_S9_S9_S9_EEEESB_EEENSN_IJSM_SM_EEESB_PlJNSF_9not_fun_tINSF_14equal_to_valueISA_EEEEEEE10hipError_tPvRmT3_T4_T5_T6_T7_T9_mT8_P12ihipStream_tbDpT10_ENKUlT_T0_E_clISt17integral_constantIbLb1EES1J_EEDaS1E_S1F_EUlS1E_E_NS1_11comp_targetILNS1_3genE3ELNS1_11target_archE908ELNS1_3gpuE7ELNS1_3repE0EEENS1_30default_config_static_selectorELNS0_4arch9wavefront6targetE0EEEvT1_,comdat
	.protected	_ZN7rocprim17ROCPRIM_400000_NS6detail17trampoline_kernelINS0_14default_configENS1_25partition_config_selectorILNS1_17partition_subalgoE6EN6thrust23THRUST_200600_302600_NS5tupleIyyNS7_9null_typeES9_S9_S9_S9_S9_S9_S9_EENS0_10empty_typeEbEEZZNS1_14partition_implILS5_6ELb0ES3_mNS7_12zip_iteratorINS8_INS7_6detail15normal_iteratorINS7_10device_ptrIyEEEESJ_S9_S9_S9_S9_S9_S9_S9_S9_EEEEPSB_SM_NS0_5tupleIJNSE_INS8_ISJ_NS7_16discard_iteratorINS7_11use_defaultEEES9_S9_S9_S9_S9_S9_S9_S9_EEEESB_EEENSN_IJSM_SM_EEESB_PlJNSF_9not_fun_tINSF_14equal_to_valueISA_EEEEEEE10hipError_tPvRmT3_T4_T5_T6_T7_T9_mT8_P12ihipStream_tbDpT10_ENKUlT_T0_E_clISt17integral_constantIbLb1EES1J_EEDaS1E_S1F_EUlS1E_E_NS1_11comp_targetILNS1_3genE3ELNS1_11target_archE908ELNS1_3gpuE7ELNS1_3repE0EEENS1_30default_config_static_selectorELNS0_4arch9wavefront6targetE0EEEvT1_ ; -- Begin function _ZN7rocprim17ROCPRIM_400000_NS6detail17trampoline_kernelINS0_14default_configENS1_25partition_config_selectorILNS1_17partition_subalgoE6EN6thrust23THRUST_200600_302600_NS5tupleIyyNS7_9null_typeES9_S9_S9_S9_S9_S9_S9_EENS0_10empty_typeEbEEZZNS1_14partition_implILS5_6ELb0ES3_mNS7_12zip_iteratorINS8_INS7_6detail15normal_iteratorINS7_10device_ptrIyEEEESJ_S9_S9_S9_S9_S9_S9_S9_S9_EEEEPSB_SM_NS0_5tupleIJNSE_INS8_ISJ_NS7_16discard_iteratorINS7_11use_defaultEEES9_S9_S9_S9_S9_S9_S9_S9_EEEESB_EEENSN_IJSM_SM_EEESB_PlJNSF_9not_fun_tINSF_14equal_to_valueISA_EEEEEEE10hipError_tPvRmT3_T4_T5_T6_T7_T9_mT8_P12ihipStream_tbDpT10_ENKUlT_T0_E_clISt17integral_constantIbLb1EES1J_EEDaS1E_S1F_EUlS1E_E_NS1_11comp_targetILNS1_3genE3ELNS1_11target_archE908ELNS1_3gpuE7ELNS1_3repE0EEENS1_30default_config_static_selectorELNS0_4arch9wavefront6targetE0EEEvT1_
	.globl	_ZN7rocprim17ROCPRIM_400000_NS6detail17trampoline_kernelINS0_14default_configENS1_25partition_config_selectorILNS1_17partition_subalgoE6EN6thrust23THRUST_200600_302600_NS5tupleIyyNS7_9null_typeES9_S9_S9_S9_S9_S9_S9_EENS0_10empty_typeEbEEZZNS1_14partition_implILS5_6ELb0ES3_mNS7_12zip_iteratorINS8_INS7_6detail15normal_iteratorINS7_10device_ptrIyEEEESJ_S9_S9_S9_S9_S9_S9_S9_S9_EEEEPSB_SM_NS0_5tupleIJNSE_INS8_ISJ_NS7_16discard_iteratorINS7_11use_defaultEEES9_S9_S9_S9_S9_S9_S9_S9_EEEESB_EEENSN_IJSM_SM_EEESB_PlJNSF_9not_fun_tINSF_14equal_to_valueISA_EEEEEEE10hipError_tPvRmT3_T4_T5_T6_T7_T9_mT8_P12ihipStream_tbDpT10_ENKUlT_T0_E_clISt17integral_constantIbLb1EES1J_EEDaS1E_S1F_EUlS1E_E_NS1_11comp_targetILNS1_3genE3ELNS1_11target_archE908ELNS1_3gpuE7ELNS1_3repE0EEENS1_30default_config_static_selectorELNS0_4arch9wavefront6targetE0EEEvT1_
	.p2align	8
	.type	_ZN7rocprim17ROCPRIM_400000_NS6detail17trampoline_kernelINS0_14default_configENS1_25partition_config_selectorILNS1_17partition_subalgoE6EN6thrust23THRUST_200600_302600_NS5tupleIyyNS7_9null_typeES9_S9_S9_S9_S9_S9_S9_EENS0_10empty_typeEbEEZZNS1_14partition_implILS5_6ELb0ES3_mNS7_12zip_iteratorINS8_INS7_6detail15normal_iteratorINS7_10device_ptrIyEEEESJ_S9_S9_S9_S9_S9_S9_S9_S9_EEEEPSB_SM_NS0_5tupleIJNSE_INS8_ISJ_NS7_16discard_iteratorINS7_11use_defaultEEES9_S9_S9_S9_S9_S9_S9_S9_EEEESB_EEENSN_IJSM_SM_EEESB_PlJNSF_9not_fun_tINSF_14equal_to_valueISA_EEEEEEE10hipError_tPvRmT3_T4_T5_T6_T7_T9_mT8_P12ihipStream_tbDpT10_ENKUlT_T0_E_clISt17integral_constantIbLb1EES1J_EEDaS1E_S1F_EUlS1E_E_NS1_11comp_targetILNS1_3genE3ELNS1_11target_archE908ELNS1_3gpuE7ELNS1_3repE0EEENS1_30default_config_static_selectorELNS0_4arch9wavefront6targetE0EEEvT1_,@function
_ZN7rocprim17ROCPRIM_400000_NS6detail17trampoline_kernelINS0_14default_configENS1_25partition_config_selectorILNS1_17partition_subalgoE6EN6thrust23THRUST_200600_302600_NS5tupleIyyNS7_9null_typeES9_S9_S9_S9_S9_S9_S9_EENS0_10empty_typeEbEEZZNS1_14partition_implILS5_6ELb0ES3_mNS7_12zip_iteratorINS8_INS7_6detail15normal_iteratorINS7_10device_ptrIyEEEESJ_S9_S9_S9_S9_S9_S9_S9_S9_EEEEPSB_SM_NS0_5tupleIJNSE_INS8_ISJ_NS7_16discard_iteratorINS7_11use_defaultEEES9_S9_S9_S9_S9_S9_S9_S9_EEEESB_EEENSN_IJSM_SM_EEESB_PlJNSF_9not_fun_tINSF_14equal_to_valueISA_EEEEEEE10hipError_tPvRmT3_T4_T5_T6_T7_T9_mT8_P12ihipStream_tbDpT10_ENKUlT_T0_E_clISt17integral_constantIbLb1EES1J_EEDaS1E_S1F_EUlS1E_E_NS1_11comp_targetILNS1_3genE3ELNS1_11target_archE908ELNS1_3gpuE7ELNS1_3repE0EEENS1_30default_config_static_selectorELNS0_4arch9wavefront6targetE0EEEvT1_: ; @_ZN7rocprim17ROCPRIM_400000_NS6detail17trampoline_kernelINS0_14default_configENS1_25partition_config_selectorILNS1_17partition_subalgoE6EN6thrust23THRUST_200600_302600_NS5tupleIyyNS7_9null_typeES9_S9_S9_S9_S9_S9_S9_EENS0_10empty_typeEbEEZZNS1_14partition_implILS5_6ELb0ES3_mNS7_12zip_iteratorINS8_INS7_6detail15normal_iteratorINS7_10device_ptrIyEEEESJ_S9_S9_S9_S9_S9_S9_S9_S9_EEEEPSB_SM_NS0_5tupleIJNSE_INS8_ISJ_NS7_16discard_iteratorINS7_11use_defaultEEES9_S9_S9_S9_S9_S9_S9_S9_EEEESB_EEENSN_IJSM_SM_EEESB_PlJNSF_9not_fun_tINSF_14equal_to_valueISA_EEEEEEE10hipError_tPvRmT3_T4_T5_T6_T7_T9_mT8_P12ihipStream_tbDpT10_ENKUlT_T0_E_clISt17integral_constantIbLb1EES1J_EEDaS1E_S1F_EUlS1E_E_NS1_11comp_targetILNS1_3genE3ELNS1_11target_archE908ELNS1_3gpuE7ELNS1_3repE0EEENS1_30default_config_static_selectorELNS0_4arch9wavefront6targetE0EEEvT1_
; %bb.0:
	.section	.rodata,"a",@progbits
	.p2align	6, 0x0
	.amdhsa_kernel _ZN7rocprim17ROCPRIM_400000_NS6detail17trampoline_kernelINS0_14default_configENS1_25partition_config_selectorILNS1_17partition_subalgoE6EN6thrust23THRUST_200600_302600_NS5tupleIyyNS7_9null_typeES9_S9_S9_S9_S9_S9_S9_EENS0_10empty_typeEbEEZZNS1_14partition_implILS5_6ELb0ES3_mNS7_12zip_iteratorINS8_INS7_6detail15normal_iteratorINS7_10device_ptrIyEEEESJ_S9_S9_S9_S9_S9_S9_S9_S9_EEEEPSB_SM_NS0_5tupleIJNSE_INS8_ISJ_NS7_16discard_iteratorINS7_11use_defaultEEES9_S9_S9_S9_S9_S9_S9_S9_EEEESB_EEENSN_IJSM_SM_EEESB_PlJNSF_9not_fun_tINSF_14equal_to_valueISA_EEEEEEE10hipError_tPvRmT3_T4_T5_T6_T7_T9_mT8_P12ihipStream_tbDpT10_ENKUlT_T0_E_clISt17integral_constantIbLb1EES1J_EEDaS1E_S1F_EUlS1E_E_NS1_11comp_targetILNS1_3genE3ELNS1_11target_archE908ELNS1_3gpuE7ELNS1_3repE0EEENS1_30default_config_static_selectorELNS0_4arch9wavefront6targetE0EEEvT1_
		.amdhsa_group_segment_fixed_size 0
		.amdhsa_private_segment_fixed_size 0
		.amdhsa_kernarg_size 160
		.amdhsa_user_sgpr_count 2
		.amdhsa_user_sgpr_dispatch_ptr 0
		.amdhsa_user_sgpr_queue_ptr 0
		.amdhsa_user_sgpr_kernarg_segment_ptr 1
		.amdhsa_user_sgpr_dispatch_id 0
		.amdhsa_user_sgpr_private_segment_size 0
		.amdhsa_wavefront_size32 1
		.amdhsa_uses_dynamic_stack 0
		.amdhsa_enable_private_segment 0
		.amdhsa_system_sgpr_workgroup_id_x 1
		.amdhsa_system_sgpr_workgroup_id_y 0
		.amdhsa_system_sgpr_workgroup_id_z 0
		.amdhsa_system_sgpr_workgroup_info 0
		.amdhsa_system_vgpr_workitem_id 0
		.amdhsa_next_free_vgpr 1
		.amdhsa_next_free_sgpr 1
		.amdhsa_reserve_vcc 0
		.amdhsa_float_round_mode_32 0
		.amdhsa_float_round_mode_16_64 0
		.amdhsa_float_denorm_mode_32 3
		.amdhsa_float_denorm_mode_16_64 3
		.amdhsa_fp16_overflow 0
		.amdhsa_workgroup_processor_mode 1
		.amdhsa_memory_ordered 1
		.amdhsa_forward_progress 1
		.amdhsa_inst_pref_size 0
		.amdhsa_round_robin_scheduling 0
		.amdhsa_exception_fp_ieee_invalid_op 0
		.amdhsa_exception_fp_denorm_src 0
		.amdhsa_exception_fp_ieee_div_zero 0
		.amdhsa_exception_fp_ieee_overflow 0
		.amdhsa_exception_fp_ieee_underflow 0
		.amdhsa_exception_fp_ieee_inexact 0
		.amdhsa_exception_int_div_zero 0
	.end_amdhsa_kernel
	.section	.text._ZN7rocprim17ROCPRIM_400000_NS6detail17trampoline_kernelINS0_14default_configENS1_25partition_config_selectorILNS1_17partition_subalgoE6EN6thrust23THRUST_200600_302600_NS5tupleIyyNS7_9null_typeES9_S9_S9_S9_S9_S9_S9_EENS0_10empty_typeEbEEZZNS1_14partition_implILS5_6ELb0ES3_mNS7_12zip_iteratorINS8_INS7_6detail15normal_iteratorINS7_10device_ptrIyEEEESJ_S9_S9_S9_S9_S9_S9_S9_S9_EEEEPSB_SM_NS0_5tupleIJNSE_INS8_ISJ_NS7_16discard_iteratorINS7_11use_defaultEEES9_S9_S9_S9_S9_S9_S9_S9_EEEESB_EEENSN_IJSM_SM_EEESB_PlJNSF_9not_fun_tINSF_14equal_to_valueISA_EEEEEEE10hipError_tPvRmT3_T4_T5_T6_T7_T9_mT8_P12ihipStream_tbDpT10_ENKUlT_T0_E_clISt17integral_constantIbLb1EES1J_EEDaS1E_S1F_EUlS1E_E_NS1_11comp_targetILNS1_3genE3ELNS1_11target_archE908ELNS1_3gpuE7ELNS1_3repE0EEENS1_30default_config_static_selectorELNS0_4arch9wavefront6targetE0EEEvT1_,"axG",@progbits,_ZN7rocprim17ROCPRIM_400000_NS6detail17trampoline_kernelINS0_14default_configENS1_25partition_config_selectorILNS1_17partition_subalgoE6EN6thrust23THRUST_200600_302600_NS5tupleIyyNS7_9null_typeES9_S9_S9_S9_S9_S9_S9_EENS0_10empty_typeEbEEZZNS1_14partition_implILS5_6ELb0ES3_mNS7_12zip_iteratorINS8_INS7_6detail15normal_iteratorINS7_10device_ptrIyEEEESJ_S9_S9_S9_S9_S9_S9_S9_S9_EEEEPSB_SM_NS0_5tupleIJNSE_INS8_ISJ_NS7_16discard_iteratorINS7_11use_defaultEEES9_S9_S9_S9_S9_S9_S9_S9_EEEESB_EEENSN_IJSM_SM_EEESB_PlJNSF_9not_fun_tINSF_14equal_to_valueISA_EEEEEEE10hipError_tPvRmT3_T4_T5_T6_T7_T9_mT8_P12ihipStream_tbDpT10_ENKUlT_T0_E_clISt17integral_constantIbLb1EES1J_EEDaS1E_S1F_EUlS1E_E_NS1_11comp_targetILNS1_3genE3ELNS1_11target_archE908ELNS1_3gpuE7ELNS1_3repE0EEENS1_30default_config_static_selectorELNS0_4arch9wavefront6targetE0EEEvT1_,comdat
.Lfunc_end1896:
	.size	_ZN7rocprim17ROCPRIM_400000_NS6detail17trampoline_kernelINS0_14default_configENS1_25partition_config_selectorILNS1_17partition_subalgoE6EN6thrust23THRUST_200600_302600_NS5tupleIyyNS7_9null_typeES9_S9_S9_S9_S9_S9_S9_EENS0_10empty_typeEbEEZZNS1_14partition_implILS5_6ELb0ES3_mNS7_12zip_iteratorINS8_INS7_6detail15normal_iteratorINS7_10device_ptrIyEEEESJ_S9_S9_S9_S9_S9_S9_S9_S9_EEEEPSB_SM_NS0_5tupleIJNSE_INS8_ISJ_NS7_16discard_iteratorINS7_11use_defaultEEES9_S9_S9_S9_S9_S9_S9_S9_EEEESB_EEENSN_IJSM_SM_EEESB_PlJNSF_9not_fun_tINSF_14equal_to_valueISA_EEEEEEE10hipError_tPvRmT3_T4_T5_T6_T7_T9_mT8_P12ihipStream_tbDpT10_ENKUlT_T0_E_clISt17integral_constantIbLb1EES1J_EEDaS1E_S1F_EUlS1E_E_NS1_11comp_targetILNS1_3genE3ELNS1_11target_archE908ELNS1_3gpuE7ELNS1_3repE0EEENS1_30default_config_static_selectorELNS0_4arch9wavefront6targetE0EEEvT1_, .Lfunc_end1896-_ZN7rocprim17ROCPRIM_400000_NS6detail17trampoline_kernelINS0_14default_configENS1_25partition_config_selectorILNS1_17partition_subalgoE6EN6thrust23THRUST_200600_302600_NS5tupleIyyNS7_9null_typeES9_S9_S9_S9_S9_S9_S9_EENS0_10empty_typeEbEEZZNS1_14partition_implILS5_6ELb0ES3_mNS7_12zip_iteratorINS8_INS7_6detail15normal_iteratorINS7_10device_ptrIyEEEESJ_S9_S9_S9_S9_S9_S9_S9_S9_EEEEPSB_SM_NS0_5tupleIJNSE_INS8_ISJ_NS7_16discard_iteratorINS7_11use_defaultEEES9_S9_S9_S9_S9_S9_S9_S9_EEEESB_EEENSN_IJSM_SM_EEESB_PlJNSF_9not_fun_tINSF_14equal_to_valueISA_EEEEEEE10hipError_tPvRmT3_T4_T5_T6_T7_T9_mT8_P12ihipStream_tbDpT10_ENKUlT_T0_E_clISt17integral_constantIbLb1EES1J_EEDaS1E_S1F_EUlS1E_E_NS1_11comp_targetILNS1_3genE3ELNS1_11target_archE908ELNS1_3gpuE7ELNS1_3repE0EEENS1_30default_config_static_selectorELNS0_4arch9wavefront6targetE0EEEvT1_
                                        ; -- End function
	.set _ZN7rocprim17ROCPRIM_400000_NS6detail17trampoline_kernelINS0_14default_configENS1_25partition_config_selectorILNS1_17partition_subalgoE6EN6thrust23THRUST_200600_302600_NS5tupleIyyNS7_9null_typeES9_S9_S9_S9_S9_S9_S9_EENS0_10empty_typeEbEEZZNS1_14partition_implILS5_6ELb0ES3_mNS7_12zip_iteratorINS8_INS7_6detail15normal_iteratorINS7_10device_ptrIyEEEESJ_S9_S9_S9_S9_S9_S9_S9_S9_EEEEPSB_SM_NS0_5tupleIJNSE_INS8_ISJ_NS7_16discard_iteratorINS7_11use_defaultEEES9_S9_S9_S9_S9_S9_S9_S9_EEEESB_EEENSN_IJSM_SM_EEESB_PlJNSF_9not_fun_tINSF_14equal_to_valueISA_EEEEEEE10hipError_tPvRmT3_T4_T5_T6_T7_T9_mT8_P12ihipStream_tbDpT10_ENKUlT_T0_E_clISt17integral_constantIbLb1EES1J_EEDaS1E_S1F_EUlS1E_E_NS1_11comp_targetILNS1_3genE3ELNS1_11target_archE908ELNS1_3gpuE7ELNS1_3repE0EEENS1_30default_config_static_selectorELNS0_4arch9wavefront6targetE0EEEvT1_.num_vgpr, 0
	.set _ZN7rocprim17ROCPRIM_400000_NS6detail17trampoline_kernelINS0_14default_configENS1_25partition_config_selectorILNS1_17partition_subalgoE6EN6thrust23THRUST_200600_302600_NS5tupleIyyNS7_9null_typeES9_S9_S9_S9_S9_S9_S9_EENS0_10empty_typeEbEEZZNS1_14partition_implILS5_6ELb0ES3_mNS7_12zip_iteratorINS8_INS7_6detail15normal_iteratorINS7_10device_ptrIyEEEESJ_S9_S9_S9_S9_S9_S9_S9_S9_EEEEPSB_SM_NS0_5tupleIJNSE_INS8_ISJ_NS7_16discard_iteratorINS7_11use_defaultEEES9_S9_S9_S9_S9_S9_S9_S9_EEEESB_EEENSN_IJSM_SM_EEESB_PlJNSF_9not_fun_tINSF_14equal_to_valueISA_EEEEEEE10hipError_tPvRmT3_T4_T5_T6_T7_T9_mT8_P12ihipStream_tbDpT10_ENKUlT_T0_E_clISt17integral_constantIbLb1EES1J_EEDaS1E_S1F_EUlS1E_E_NS1_11comp_targetILNS1_3genE3ELNS1_11target_archE908ELNS1_3gpuE7ELNS1_3repE0EEENS1_30default_config_static_selectorELNS0_4arch9wavefront6targetE0EEEvT1_.num_agpr, 0
	.set _ZN7rocprim17ROCPRIM_400000_NS6detail17trampoline_kernelINS0_14default_configENS1_25partition_config_selectorILNS1_17partition_subalgoE6EN6thrust23THRUST_200600_302600_NS5tupleIyyNS7_9null_typeES9_S9_S9_S9_S9_S9_S9_EENS0_10empty_typeEbEEZZNS1_14partition_implILS5_6ELb0ES3_mNS7_12zip_iteratorINS8_INS7_6detail15normal_iteratorINS7_10device_ptrIyEEEESJ_S9_S9_S9_S9_S9_S9_S9_S9_EEEEPSB_SM_NS0_5tupleIJNSE_INS8_ISJ_NS7_16discard_iteratorINS7_11use_defaultEEES9_S9_S9_S9_S9_S9_S9_S9_EEEESB_EEENSN_IJSM_SM_EEESB_PlJNSF_9not_fun_tINSF_14equal_to_valueISA_EEEEEEE10hipError_tPvRmT3_T4_T5_T6_T7_T9_mT8_P12ihipStream_tbDpT10_ENKUlT_T0_E_clISt17integral_constantIbLb1EES1J_EEDaS1E_S1F_EUlS1E_E_NS1_11comp_targetILNS1_3genE3ELNS1_11target_archE908ELNS1_3gpuE7ELNS1_3repE0EEENS1_30default_config_static_selectorELNS0_4arch9wavefront6targetE0EEEvT1_.numbered_sgpr, 0
	.set _ZN7rocprim17ROCPRIM_400000_NS6detail17trampoline_kernelINS0_14default_configENS1_25partition_config_selectorILNS1_17partition_subalgoE6EN6thrust23THRUST_200600_302600_NS5tupleIyyNS7_9null_typeES9_S9_S9_S9_S9_S9_S9_EENS0_10empty_typeEbEEZZNS1_14partition_implILS5_6ELb0ES3_mNS7_12zip_iteratorINS8_INS7_6detail15normal_iteratorINS7_10device_ptrIyEEEESJ_S9_S9_S9_S9_S9_S9_S9_S9_EEEEPSB_SM_NS0_5tupleIJNSE_INS8_ISJ_NS7_16discard_iteratorINS7_11use_defaultEEES9_S9_S9_S9_S9_S9_S9_S9_EEEESB_EEENSN_IJSM_SM_EEESB_PlJNSF_9not_fun_tINSF_14equal_to_valueISA_EEEEEEE10hipError_tPvRmT3_T4_T5_T6_T7_T9_mT8_P12ihipStream_tbDpT10_ENKUlT_T0_E_clISt17integral_constantIbLb1EES1J_EEDaS1E_S1F_EUlS1E_E_NS1_11comp_targetILNS1_3genE3ELNS1_11target_archE908ELNS1_3gpuE7ELNS1_3repE0EEENS1_30default_config_static_selectorELNS0_4arch9wavefront6targetE0EEEvT1_.num_named_barrier, 0
	.set _ZN7rocprim17ROCPRIM_400000_NS6detail17trampoline_kernelINS0_14default_configENS1_25partition_config_selectorILNS1_17partition_subalgoE6EN6thrust23THRUST_200600_302600_NS5tupleIyyNS7_9null_typeES9_S9_S9_S9_S9_S9_S9_EENS0_10empty_typeEbEEZZNS1_14partition_implILS5_6ELb0ES3_mNS7_12zip_iteratorINS8_INS7_6detail15normal_iteratorINS7_10device_ptrIyEEEESJ_S9_S9_S9_S9_S9_S9_S9_S9_EEEEPSB_SM_NS0_5tupleIJNSE_INS8_ISJ_NS7_16discard_iteratorINS7_11use_defaultEEES9_S9_S9_S9_S9_S9_S9_S9_EEEESB_EEENSN_IJSM_SM_EEESB_PlJNSF_9not_fun_tINSF_14equal_to_valueISA_EEEEEEE10hipError_tPvRmT3_T4_T5_T6_T7_T9_mT8_P12ihipStream_tbDpT10_ENKUlT_T0_E_clISt17integral_constantIbLb1EES1J_EEDaS1E_S1F_EUlS1E_E_NS1_11comp_targetILNS1_3genE3ELNS1_11target_archE908ELNS1_3gpuE7ELNS1_3repE0EEENS1_30default_config_static_selectorELNS0_4arch9wavefront6targetE0EEEvT1_.private_seg_size, 0
	.set _ZN7rocprim17ROCPRIM_400000_NS6detail17trampoline_kernelINS0_14default_configENS1_25partition_config_selectorILNS1_17partition_subalgoE6EN6thrust23THRUST_200600_302600_NS5tupleIyyNS7_9null_typeES9_S9_S9_S9_S9_S9_S9_EENS0_10empty_typeEbEEZZNS1_14partition_implILS5_6ELb0ES3_mNS7_12zip_iteratorINS8_INS7_6detail15normal_iteratorINS7_10device_ptrIyEEEESJ_S9_S9_S9_S9_S9_S9_S9_S9_EEEEPSB_SM_NS0_5tupleIJNSE_INS8_ISJ_NS7_16discard_iteratorINS7_11use_defaultEEES9_S9_S9_S9_S9_S9_S9_S9_EEEESB_EEENSN_IJSM_SM_EEESB_PlJNSF_9not_fun_tINSF_14equal_to_valueISA_EEEEEEE10hipError_tPvRmT3_T4_T5_T6_T7_T9_mT8_P12ihipStream_tbDpT10_ENKUlT_T0_E_clISt17integral_constantIbLb1EES1J_EEDaS1E_S1F_EUlS1E_E_NS1_11comp_targetILNS1_3genE3ELNS1_11target_archE908ELNS1_3gpuE7ELNS1_3repE0EEENS1_30default_config_static_selectorELNS0_4arch9wavefront6targetE0EEEvT1_.uses_vcc, 0
	.set _ZN7rocprim17ROCPRIM_400000_NS6detail17trampoline_kernelINS0_14default_configENS1_25partition_config_selectorILNS1_17partition_subalgoE6EN6thrust23THRUST_200600_302600_NS5tupleIyyNS7_9null_typeES9_S9_S9_S9_S9_S9_S9_EENS0_10empty_typeEbEEZZNS1_14partition_implILS5_6ELb0ES3_mNS7_12zip_iteratorINS8_INS7_6detail15normal_iteratorINS7_10device_ptrIyEEEESJ_S9_S9_S9_S9_S9_S9_S9_S9_EEEEPSB_SM_NS0_5tupleIJNSE_INS8_ISJ_NS7_16discard_iteratorINS7_11use_defaultEEES9_S9_S9_S9_S9_S9_S9_S9_EEEESB_EEENSN_IJSM_SM_EEESB_PlJNSF_9not_fun_tINSF_14equal_to_valueISA_EEEEEEE10hipError_tPvRmT3_T4_T5_T6_T7_T9_mT8_P12ihipStream_tbDpT10_ENKUlT_T0_E_clISt17integral_constantIbLb1EES1J_EEDaS1E_S1F_EUlS1E_E_NS1_11comp_targetILNS1_3genE3ELNS1_11target_archE908ELNS1_3gpuE7ELNS1_3repE0EEENS1_30default_config_static_selectorELNS0_4arch9wavefront6targetE0EEEvT1_.uses_flat_scratch, 0
	.set _ZN7rocprim17ROCPRIM_400000_NS6detail17trampoline_kernelINS0_14default_configENS1_25partition_config_selectorILNS1_17partition_subalgoE6EN6thrust23THRUST_200600_302600_NS5tupleIyyNS7_9null_typeES9_S9_S9_S9_S9_S9_S9_EENS0_10empty_typeEbEEZZNS1_14partition_implILS5_6ELb0ES3_mNS7_12zip_iteratorINS8_INS7_6detail15normal_iteratorINS7_10device_ptrIyEEEESJ_S9_S9_S9_S9_S9_S9_S9_S9_EEEEPSB_SM_NS0_5tupleIJNSE_INS8_ISJ_NS7_16discard_iteratorINS7_11use_defaultEEES9_S9_S9_S9_S9_S9_S9_S9_EEEESB_EEENSN_IJSM_SM_EEESB_PlJNSF_9not_fun_tINSF_14equal_to_valueISA_EEEEEEE10hipError_tPvRmT3_T4_T5_T6_T7_T9_mT8_P12ihipStream_tbDpT10_ENKUlT_T0_E_clISt17integral_constantIbLb1EES1J_EEDaS1E_S1F_EUlS1E_E_NS1_11comp_targetILNS1_3genE3ELNS1_11target_archE908ELNS1_3gpuE7ELNS1_3repE0EEENS1_30default_config_static_selectorELNS0_4arch9wavefront6targetE0EEEvT1_.has_dyn_sized_stack, 0
	.set _ZN7rocprim17ROCPRIM_400000_NS6detail17trampoline_kernelINS0_14default_configENS1_25partition_config_selectorILNS1_17partition_subalgoE6EN6thrust23THRUST_200600_302600_NS5tupleIyyNS7_9null_typeES9_S9_S9_S9_S9_S9_S9_EENS0_10empty_typeEbEEZZNS1_14partition_implILS5_6ELb0ES3_mNS7_12zip_iteratorINS8_INS7_6detail15normal_iteratorINS7_10device_ptrIyEEEESJ_S9_S9_S9_S9_S9_S9_S9_S9_EEEEPSB_SM_NS0_5tupleIJNSE_INS8_ISJ_NS7_16discard_iteratorINS7_11use_defaultEEES9_S9_S9_S9_S9_S9_S9_S9_EEEESB_EEENSN_IJSM_SM_EEESB_PlJNSF_9not_fun_tINSF_14equal_to_valueISA_EEEEEEE10hipError_tPvRmT3_T4_T5_T6_T7_T9_mT8_P12ihipStream_tbDpT10_ENKUlT_T0_E_clISt17integral_constantIbLb1EES1J_EEDaS1E_S1F_EUlS1E_E_NS1_11comp_targetILNS1_3genE3ELNS1_11target_archE908ELNS1_3gpuE7ELNS1_3repE0EEENS1_30default_config_static_selectorELNS0_4arch9wavefront6targetE0EEEvT1_.has_recursion, 0
	.set _ZN7rocprim17ROCPRIM_400000_NS6detail17trampoline_kernelINS0_14default_configENS1_25partition_config_selectorILNS1_17partition_subalgoE6EN6thrust23THRUST_200600_302600_NS5tupleIyyNS7_9null_typeES9_S9_S9_S9_S9_S9_S9_EENS0_10empty_typeEbEEZZNS1_14partition_implILS5_6ELb0ES3_mNS7_12zip_iteratorINS8_INS7_6detail15normal_iteratorINS7_10device_ptrIyEEEESJ_S9_S9_S9_S9_S9_S9_S9_S9_EEEEPSB_SM_NS0_5tupleIJNSE_INS8_ISJ_NS7_16discard_iteratorINS7_11use_defaultEEES9_S9_S9_S9_S9_S9_S9_S9_EEEESB_EEENSN_IJSM_SM_EEESB_PlJNSF_9not_fun_tINSF_14equal_to_valueISA_EEEEEEE10hipError_tPvRmT3_T4_T5_T6_T7_T9_mT8_P12ihipStream_tbDpT10_ENKUlT_T0_E_clISt17integral_constantIbLb1EES1J_EEDaS1E_S1F_EUlS1E_E_NS1_11comp_targetILNS1_3genE3ELNS1_11target_archE908ELNS1_3gpuE7ELNS1_3repE0EEENS1_30default_config_static_selectorELNS0_4arch9wavefront6targetE0EEEvT1_.has_indirect_call, 0
	.section	.AMDGPU.csdata,"",@progbits
; Kernel info:
; codeLenInByte = 0
; TotalNumSgprs: 0
; NumVgprs: 0
; ScratchSize: 0
; MemoryBound: 0
; FloatMode: 240
; IeeeMode: 1
; LDSByteSize: 0 bytes/workgroup (compile time only)
; SGPRBlocks: 0
; VGPRBlocks: 0
; NumSGPRsForWavesPerEU: 1
; NumVGPRsForWavesPerEU: 1
; Occupancy: 16
; WaveLimiterHint : 0
; COMPUTE_PGM_RSRC2:SCRATCH_EN: 0
; COMPUTE_PGM_RSRC2:USER_SGPR: 2
; COMPUTE_PGM_RSRC2:TRAP_HANDLER: 0
; COMPUTE_PGM_RSRC2:TGID_X_EN: 1
; COMPUTE_PGM_RSRC2:TGID_Y_EN: 0
; COMPUTE_PGM_RSRC2:TGID_Z_EN: 0
; COMPUTE_PGM_RSRC2:TIDIG_COMP_CNT: 0
	.section	.text._ZN7rocprim17ROCPRIM_400000_NS6detail17trampoline_kernelINS0_14default_configENS1_25partition_config_selectorILNS1_17partition_subalgoE6EN6thrust23THRUST_200600_302600_NS5tupleIyyNS7_9null_typeES9_S9_S9_S9_S9_S9_S9_EENS0_10empty_typeEbEEZZNS1_14partition_implILS5_6ELb0ES3_mNS7_12zip_iteratorINS8_INS7_6detail15normal_iteratorINS7_10device_ptrIyEEEESJ_S9_S9_S9_S9_S9_S9_S9_S9_EEEEPSB_SM_NS0_5tupleIJNSE_INS8_ISJ_NS7_16discard_iteratorINS7_11use_defaultEEES9_S9_S9_S9_S9_S9_S9_S9_EEEESB_EEENSN_IJSM_SM_EEESB_PlJNSF_9not_fun_tINSF_14equal_to_valueISA_EEEEEEE10hipError_tPvRmT3_T4_T5_T6_T7_T9_mT8_P12ihipStream_tbDpT10_ENKUlT_T0_E_clISt17integral_constantIbLb1EES1J_EEDaS1E_S1F_EUlS1E_E_NS1_11comp_targetILNS1_3genE2ELNS1_11target_archE906ELNS1_3gpuE6ELNS1_3repE0EEENS1_30default_config_static_selectorELNS0_4arch9wavefront6targetE0EEEvT1_,"axG",@progbits,_ZN7rocprim17ROCPRIM_400000_NS6detail17trampoline_kernelINS0_14default_configENS1_25partition_config_selectorILNS1_17partition_subalgoE6EN6thrust23THRUST_200600_302600_NS5tupleIyyNS7_9null_typeES9_S9_S9_S9_S9_S9_S9_EENS0_10empty_typeEbEEZZNS1_14partition_implILS5_6ELb0ES3_mNS7_12zip_iteratorINS8_INS7_6detail15normal_iteratorINS7_10device_ptrIyEEEESJ_S9_S9_S9_S9_S9_S9_S9_S9_EEEEPSB_SM_NS0_5tupleIJNSE_INS8_ISJ_NS7_16discard_iteratorINS7_11use_defaultEEES9_S9_S9_S9_S9_S9_S9_S9_EEEESB_EEENSN_IJSM_SM_EEESB_PlJNSF_9not_fun_tINSF_14equal_to_valueISA_EEEEEEE10hipError_tPvRmT3_T4_T5_T6_T7_T9_mT8_P12ihipStream_tbDpT10_ENKUlT_T0_E_clISt17integral_constantIbLb1EES1J_EEDaS1E_S1F_EUlS1E_E_NS1_11comp_targetILNS1_3genE2ELNS1_11target_archE906ELNS1_3gpuE6ELNS1_3repE0EEENS1_30default_config_static_selectorELNS0_4arch9wavefront6targetE0EEEvT1_,comdat
	.protected	_ZN7rocprim17ROCPRIM_400000_NS6detail17trampoline_kernelINS0_14default_configENS1_25partition_config_selectorILNS1_17partition_subalgoE6EN6thrust23THRUST_200600_302600_NS5tupleIyyNS7_9null_typeES9_S9_S9_S9_S9_S9_S9_EENS0_10empty_typeEbEEZZNS1_14partition_implILS5_6ELb0ES3_mNS7_12zip_iteratorINS8_INS7_6detail15normal_iteratorINS7_10device_ptrIyEEEESJ_S9_S9_S9_S9_S9_S9_S9_S9_EEEEPSB_SM_NS0_5tupleIJNSE_INS8_ISJ_NS7_16discard_iteratorINS7_11use_defaultEEES9_S9_S9_S9_S9_S9_S9_S9_EEEESB_EEENSN_IJSM_SM_EEESB_PlJNSF_9not_fun_tINSF_14equal_to_valueISA_EEEEEEE10hipError_tPvRmT3_T4_T5_T6_T7_T9_mT8_P12ihipStream_tbDpT10_ENKUlT_T0_E_clISt17integral_constantIbLb1EES1J_EEDaS1E_S1F_EUlS1E_E_NS1_11comp_targetILNS1_3genE2ELNS1_11target_archE906ELNS1_3gpuE6ELNS1_3repE0EEENS1_30default_config_static_selectorELNS0_4arch9wavefront6targetE0EEEvT1_ ; -- Begin function _ZN7rocprim17ROCPRIM_400000_NS6detail17trampoline_kernelINS0_14default_configENS1_25partition_config_selectorILNS1_17partition_subalgoE6EN6thrust23THRUST_200600_302600_NS5tupleIyyNS7_9null_typeES9_S9_S9_S9_S9_S9_S9_EENS0_10empty_typeEbEEZZNS1_14partition_implILS5_6ELb0ES3_mNS7_12zip_iteratorINS8_INS7_6detail15normal_iteratorINS7_10device_ptrIyEEEESJ_S9_S9_S9_S9_S9_S9_S9_S9_EEEEPSB_SM_NS0_5tupleIJNSE_INS8_ISJ_NS7_16discard_iteratorINS7_11use_defaultEEES9_S9_S9_S9_S9_S9_S9_S9_EEEESB_EEENSN_IJSM_SM_EEESB_PlJNSF_9not_fun_tINSF_14equal_to_valueISA_EEEEEEE10hipError_tPvRmT3_T4_T5_T6_T7_T9_mT8_P12ihipStream_tbDpT10_ENKUlT_T0_E_clISt17integral_constantIbLb1EES1J_EEDaS1E_S1F_EUlS1E_E_NS1_11comp_targetILNS1_3genE2ELNS1_11target_archE906ELNS1_3gpuE6ELNS1_3repE0EEENS1_30default_config_static_selectorELNS0_4arch9wavefront6targetE0EEEvT1_
	.globl	_ZN7rocprim17ROCPRIM_400000_NS6detail17trampoline_kernelINS0_14default_configENS1_25partition_config_selectorILNS1_17partition_subalgoE6EN6thrust23THRUST_200600_302600_NS5tupleIyyNS7_9null_typeES9_S9_S9_S9_S9_S9_S9_EENS0_10empty_typeEbEEZZNS1_14partition_implILS5_6ELb0ES3_mNS7_12zip_iteratorINS8_INS7_6detail15normal_iteratorINS7_10device_ptrIyEEEESJ_S9_S9_S9_S9_S9_S9_S9_S9_EEEEPSB_SM_NS0_5tupleIJNSE_INS8_ISJ_NS7_16discard_iteratorINS7_11use_defaultEEES9_S9_S9_S9_S9_S9_S9_S9_EEEESB_EEENSN_IJSM_SM_EEESB_PlJNSF_9not_fun_tINSF_14equal_to_valueISA_EEEEEEE10hipError_tPvRmT3_T4_T5_T6_T7_T9_mT8_P12ihipStream_tbDpT10_ENKUlT_T0_E_clISt17integral_constantIbLb1EES1J_EEDaS1E_S1F_EUlS1E_E_NS1_11comp_targetILNS1_3genE2ELNS1_11target_archE906ELNS1_3gpuE6ELNS1_3repE0EEENS1_30default_config_static_selectorELNS0_4arch9wavefront6targetE0EEEvT1_
	.p2align	8
	.type	_ZN7rocprim17ROCPRIM_400000_NS6detail17trampoline_kernelINS0_14default_configENS1_25partition_config_selectorILNS1_17partition_subalgoE6EN6thrust23THRUST_200600_302600_NS5tupleIyyNS7_9null_typeES9_S9_S9_S9_S9_S9_S9_EENS0_10empty_typeEbEEZZNS1_14partition_implILS5_6ELb0ES3_mNS7_12zip_iteratorINS8_INS7_6detail15normal_iteratorINS7_10device_ptrIyEEEESJ_S9_S9_S9_S9_S9_S9_S9_S9_EEEEPSB_SM_NS0_5tupleIJNSE_INS8_ISJ_NS7_16discard_iteratorINS7_11use_defaultEEES9_S9_S9_S9_S9_S9_S9_S9_EEEESB_EEENSN_IJSM_SM_EEESB_PlJNSF_9not_fun_tINSF_14equal_to_valueISA_EEEEEEE10hipError_tPvRmT3_T4_T5_T6_T7_T9_mT8_P12ihipStream_tbDpT10_ENKUlT_T0_E_clISt17integral_constantIbLb1EES1J_EEDaS1E_S1F_EUlS1E_E_NS1_11comp_targetILNS1_3genE2ELNS1_11target_archE906ELNS1_3gpuE6ELNS1_3repE0EEENS1_30default_config_static_selectorELNS0_4arch9wavefront6targetE0EEEvT1_,@function
_ZN7rocprim17ROCPRIM_400000_NS6detail17trampoline_kernelINS0_14default_configENS1_25partition_config_selectorILNS1_17partition_subalgoE6EN6thrust23THRUST_200600_302600_NS5tupleIyyNS7_9null_typeES9_S9_S9_S9_S9_S9_S9_EENS0_10empty_typeEbEEZZNS1_14partition_implILS5_6ELb0ES3_mNS7_12zip_iteratorINS8_INS7_6detail15normal_iteratorINS7_10device_ptrIyEEEESJ_S9_S9_S9_S9_S9_S9_S9_S9_EEEEPSB_SM_NS0_5tupleIJNSE_INS8_ISJ_NS7_16discard_iteratorINS7_11use_defaultEEES9_S9_S9_S9_S9_S9_S9_S9_EEEESB_EEENSN_IJSM_SM_EEESB_PlJNSF_9not_fun_tINSF_14equal_to_valueISA_EEEEEEE10hipError_tPvRmT3_T4_T5_T6_T7_T9_mT8_P12ihipStream_tbDpT10_ENKUlT_T0_E_clISt17integral_constantIbLb1EES1J_EEDaS1E_S1F_EUlS1E_E_NS1_11comp_targetILNS1_3genE2ELNS1_11target_archE906ELNS1_3gpuE6ELNS1_3repE0EEENS1_30default_config_static_selectorELNS0_4arch9wavefront6targetE0EEEvT1_: ; @_ZN7rocprim17ROCPRIM_400000_NS6detail17trampoline_kernelINS0_14default_configENS1_25partition_config_selectorILNS1_17partition_subalgoE6EN6thrust23THRUST_200600_302600_NS5tupleIyyNS7_9null_typeES9_S9_S9_S9_S9_S9_S9_EENS0_10empty_typeEbEEZZNS1_14partition_implILS5_6ELb0ES3_mNS7_12zip_iteratorINS8_INS7_6detail15normal_iteratorINS7_10device_ptrIyEEEESJ_S9_S9_S9_S9_S9_S9_S9_S9_EEEEPSB_SM_NS0_5tupleIJNSE_INS8_ISJ_NS7_16discard_iteratorINS7_11use_defaultEEES9_S9_S9_S9_S9_S9_S9_S9_EEEESB_EEENSN_IJSM_SM_EEESB_PlJNSF_9not_fun_tINSF_14equal_to_valueISA_EEEEEEE10hipError_tPvRmT3_T4_T5_T6_T7_T9_mT8_P12ihipStream_tbDpT10_ENKUlT_T0_E_clISt17integral_constantIbLb1EES1J_EEDaS1E_S1F_EUlS1E_E_NS1_11comp_targetILNS1_3genE2ELNS1_11target_archE906ELNS1_3gpuE6ELNS1_3repE0EEENS1_30default_config_static_selectorELNS0_4arch9wavefront6targetE0EEEvT1_
; %bb.0:
	.section	.rodata,"a",@progbits
	.p2align	6, 0x0
	.amdhsa_kernel _ZN7rocprim17ROCPRIM_400000_NS6detail17trampoline_kernelINS0_14default_configENS1_25partition_config_selectorILNS1_17partition_subalgoE6EN6thrust23THRUST_200600_302600_NS5tupleIyyNS7_9null_typeES9_S9_S9_S9_S9_S9_S9_EENS0_10empty_typeEbEEZZNS1_14partition_implILS5_6ELb0ES3_mNS7_12zip_iteratorINS8_INS7_6detail15normal_iteratorINS7_10device_ptrIyEEEESJ_S9_S9_S9_S9_S9_S9_S9_S9_EEEEPSB_SM_NS0_5tupleIJNSE_INS8_ISJ_NS7_16discard_iteratorINS7_11use_defaultEEES9_S9_S9_S9_S9_S9_S9_S9_EEEESB_EEENSN_IJSM_SM_EEESB_PlJNSF_9not_fun_tINSF_14equal_to_valueISA_EEEEEEE10hipError_tPvRmT3_T4_T5_T6_T7_T9_mT8_P12ihipStream_tbDpT10_ENKUlT_T0_E_clISt17integral_constantIbLb1EES1J_EEDaS1E_S1F_EUlS1E_E_NS1_11comp_targetILNS1_3genE2ELNS1_11target_archE906ELNS1_3gpuE6ELNS1_3repE0EEENS1_30default_config_static_selectorELNS0_4arch9wavefront6targetE0EEEvT1_
		.amdhsa_group_segment_fixed_size 0
		.amdhsa_private_segment_fixed_size 0
		.amdhsa_kernarg_size 160
		.amdhsa_user_sgpr_count 2
		.amdhsa_user_sgpr_dispatch_ptr 0
		.amdhsa_user_sgpr_queue_ptr 0
		.amdhsa_user_sgpr_kernarg_segment_ptr 1
		.amdhsa_user_sgpr_dispatch_id 0
		.amdhsa_user_sgpr_private_segment_size 0
		.amdhsa_wavefront_size32 1
		.amdhsa_uses_dynamic_stack 0
		.amdhsa_enable_private_segment 0
		.amdhsa_system_sgpr_workgroup_id_x 1
		.amdhsa_system_sgpr_workgroup_id_y 0
		.amdhsa_system_sgpr_workgroup_id_z 0
		.amdhsa_system_sgpr_workgroup_info 0
		.amdhsa_system_vgpr_workitem_id 0
		.amdhsa_next_free_vgpr 1
		.amdhsa_next_free_sgpr 1
		.amdhsa_reserve_vcc 0
		.amdhsa_float_round_mode_32 0
		.amdhsa_float_round_mode_16_64 0
		.amdhsa_float_denorm_mode_32 3
		.amdhsa_float_denorm_mode_16_64 3
		.amdhsa_fp16_overflow 0
		.amdhsa_workgroup_processor_mode 1
		.amdhsa_memory_ordered 1
		.amdhsa_forward_progress 1
		.amdhsa_inst_pref_size 0
		.amdhsa_round_robin_scheduling 0
		.amdhsa_exception_fp_ieee_invalid_op 0
		.amdhsa_exception_fp_denorm_src 0
		.amdhsa_exception_fp_ieee_div_zero 0
		.amdhsa_exception_fp_ieee_overflow 0
		.amdhsa_exception_fp_ieee_underflow 0
		.amdhsa_exception_fp_ieee_inexact 0
		.amdhsa_exception_int_div_zero 0
	.end_amdhsa_kernel
	.section	.text._ZN7rocprim17ROCPRIM_400000_NS6detail17trampoline_kernelINS0_14default_configENS1_25partition_config_selectorILNS1_17partition_subalgoE6EN6thrust23THRUST_200600_302600_NS5tupleIyyNS7_9null_typeES9_S9_S9_S9_S9_S9_S9_EENS0_10empty_typeEbEEZZNS1_14partition_implILS5_6ELb0ES3_mNS7_12zip_iteratorINS8_INS7_6detail15normal_iteratorINS7_10device_ptrIyEEEESJ_S9_S9_S9_S9_S9_S9_S9_S9_EEEEPSB_SM_NS0_5tupleIJNSE_INS8_ISJ_NS7_16discard_iteratorINS7_11use_defaultEEES9_S9_S9_S9_S9_S9_S9_S9_EEEESB_EEENSN_IJSM_SM_EEESB_PlJNSF_9not_fun_tINSF_14equal_to_valueISA_EEEEEEE10hipError_tPvRmT3_T4_T5_T6_T7_T9_mT8_P12ihipStream_tbDpT10_ENKUlT_T0_E_clISt17integral_constantIbLb1EES1J_EEDaS1E_S1F_EUlS1E_E_NS1_11comp_targetILNS1_3genE2ELNS1_11target_archE906ELNS1_3gpuE6ELNS1_3repE0EEENS1_30default_config_static_selectorELNS0_4arch9wavefront6targetE0EEEvT1_,"axG",@progbits,_ZN7rocprim17ROCPRIM_400000_NS6detail17trampoline_kernelINS0_14default_configENS1_25partition_config_selectorILNS1_17partition_subalgoE6EN6thrust23THRUST_200600_302600_NS5tupleIyyNS7_9null_typeES9_S9_S9_S9_S9_S9_S9_EENS0_10empty_typeEbEEZZNS1_14partition_implILS5_6ELb0ES3_mNS7_12zip_iteratorINS8_INS7_6detail15normal_iteratorINS7_10device_ptrIyEEEESJ_S9_S9_S9_S9_S9_S9_S9_S9_EEEEPSB_SM_NS0_5tupleIJNSE_INS8_ISJ_NS7_16discard_iteratorINS7_11use_defaultEEES9_S9_S9_S9_S9_S9_S9_S9_EEEESB_EEENSN_IJSM_SM_EEESB_PlJNSF_9not_fun_tINSF_14equal_to_valueISA_EEEEEEE10hipError_tPvRmT3_T4_T5_T6_T7_T9_mT8_P12ihipStream_tbDpT10_ENKUlT_T0_E_clISt17integral_constantIbLb1EES1J_EEDaS1E_S1F_EUlS1E_E_NS1_11comp_targetILNS1_3genE2ELNS1_11target_archE906ELNS1_3gpuE6ELNS1_3repE0EEENS1_30default_config_static_selectorELNS0_4arch9wavefront6targetE0EEEvT1_,comdat
.Lfunc_end1897:
	.size	_ZN7rocprim17ROCPRIM_400000_NS6detail17trampoline_kernelINS0_14default_configENS1_25partition_config_selectorILNS1_17partition_subalgoE6EN6thrust23THRUST_200600_302600_NS5tupleIyyNS7_9null_typeES9_S9_S9_S9_S9_S9_S9_EENS0_10empty_typeEbEEZZNS1_14partition_implILS5_6ELb0ES3_mNS7_12zip_iteratorINS8_INS7_6detail15normal_iteratorINS7_10device_ptrIyEEEESJ_S9_S9_S9_S9_S9_S9_S9_S9_EEEEPSB_SM_NS0_5tupleIJNSE_INS8_ISJ_NS7_16discard_iteratorINS7_11use_defaultEEES9_S9_S9_S9_S9_S9_S9_S9_EEEESB_EEENSN_IJSM_SM_EEESB_PlJNSF_9not_fun_tINSF_14equal_to_valueISA_EEEEEEE10hipError_tPvRmT3_T4_T5_T6_T7_T9_mT8_P12ihipStream_tbDpT10_ENKUlT_T0_E_clISt17integral_constantIbLb1EES1J_EEDaS1E_S1F_EUlS1E_E_NS1_11comp_targetILNS1_3genE2ELNS1_11target_archE906ELNS1_3gpuE6ELNS1_3repE0EEENS1_30default_config_static_selectorELNS0_4arch9wavefront6targetE0EEEvT1_, .Lfunc_end1897-_ZN7rocprim17ROCPRIM_400000_NS6detail17trampoline_kernelINS0_14default_configENS1_25partition_config_selectorILNS1_17partition_subalgoE6EN6thrust23THRUST_200600_302600_NS5tupleIyyNS7_9null_typeES9_S9_S9_S9_S9_S9_S9_EENS0_10empty_typeEbEEZZNS1_14partition_implILS5_6ELb0ES3_mNS7_12zip_iteratorINS8_INS7_6detail15normal_iteratorINS7_10device_ptrIyEEEESJ_S9_S9_S9_S9_S9_S9_S9_S9_EEEEPSB_SM_NS0_5tupleIJNSE_INS8_ISJ_NS7_16discard_iteratorINS7_11use_defaultEEES9_S9_S9_S9_S9_S9_S9_S9_EEEESB_EEENSN_IJSM_SM_EEESB_PlJNSF_9not_fun_tINSF_14equal_to_valueISA_EEEEEEE10hipError_tPvRmT3_T4_T5_T6_T7_T9_mT8_P12ihipStream_tbDpT10_ENKUlT_T0_E_clISt17integral_constantIbLb1EES1J_EEDaS1E_S1F_EUlS1E_E_NS1_11comp_targetILNS1_3genE2ELNS1_11target_archE906ELNS1_3gpuE6ELNS1_3repE0EEENS1_30default_config_static_selectorELNS0_4arch9wavefront6targetE0EEEvT1_
                                        ; -- End function
	.set _ZN7rocprim17ROCPRIM_400000_NS6detail17trampoline_kernelINS0_14default_configENS1_25partition_config_selectorILNS1_17partition_subalgoE6EN6thrust23THRUST_200600_302600_NS5tupleIyyNS7_9null_typeES9_S9_S9_S9_S9_S9_S9_EENS0_10empty_typeEbEEZZNS1_14partition_implILS5_6ELb0ES3_mNS7_12zip_iteratorINS8_INS7_6detail15normal_iteratorINS7_10device_ptrIyEEEESJ_S9_S9_S9_S9_S9_S9_S9_S9_EEEEPSB_SM_NS0_5tupleIJNSE_INS8_ISJ_NS7_16discard_iteratorINS7_11use_defaultEEES9_S9_S9_S9_S9_S9_S9_S9_EEEESB_EEENSN_IJSM_SM_EEESB_PlJNSF_9not_fun_tINSF_14equal_to_valueISA_EEEEEEE10hipError_tPvRmT3_T4_T5_T6_T7_T9_mT8_P12ihipStream_tbDpT10_ENKUlT_T0_E_clISt17integral_constantIbLb1EES1J_EEDaS1E_S1F_EUlS1E_E_NS1_11comp_targetILNS1_3genE2ELNS1_11target_archE906ELNS1_3gpuE6ELNS1_3repE0EEENS1_30default_config_static_selectorELNS0_4arch9wavefront6targetE0EEEvT1_.num_vgpr, 0
	.set _ZN7rocprim17ROCPRIM_400000_NS6detail17trampoline_kernelINS0_14default_configENS1_25partition_config_selectorILNS1_17partition_subalgoE6EN6thrust23THRUST_200600_302600_NS5tupleIyyNS7_9null_typeES9_S9_S9_S9_S9_S9_S9_EENS0_10empty_typeEbEEZZNS1_14partition_implILS5_6ELb0ES3_mNS7_12zip_iteratorINS8_INS7_6detail15normal_iteratorINS7_10device_ptrIyEEEESJ_S9_S9_S9_S9_S9_S9_S9_S9_EEEEPSB_SM_NS0_5tupleIJNSE_INS8_ISJ_NS7_16discard_iteratorINS7_11use_defaultEEES9_S9_S9_S9_S9_S9_S9_S9_EEEESB_EEENSN_IJSM_SM_EEESB_PlJNSF_9not_fun_tINSF_14equal_to_valueISA_EEEEEEE10hipError_tPvRmT3_T4_T5_T6_T7_T9_mT8_P12ihipStream_tbDpT10_ENKUlT_T0_E_clISt17integral_constantIbLb1EES1J_EEDaS1E_S1F_EUlS1E_E_NS1_11comp_targetILNS1_3genE2ELNS1_11target_archE906ELNS1_3gpuE6ELNS1_3repE0EEENS1_30default_config_static_selectorELNS0_4arch9wavefront6targetE0EEEvT1_.num_agpr, 0
	.set _ZN7rocprim17ROCPRIM_400000_NS6detail17trampoline_kernelINS0_14default_configENS1_25partition_config_selectorILNS1_17partition_subalgoE6EN6thrust23THRUST_200600_302600_NS5tupleIyyNS7_9null_typeES9_S9_S9_S9_S9_S9_S9_EENS0_10empty_typeEbEEZZNS1_14partition_implILS5_6ELb0ES3_mNS7_12zip_iteratorINS8_INS7_6detail15normal_iteratorINS7_10device_ptrIyEEEESJ_S9_S9_S9_S9_S9_S9_S9_S9_EEEEPSB_SM_NS0_5tupleIJNSE_INS8_ISJ_NS7_16discard_iteratorINS7_11use_defaultEEES9_S9_S9_S9_S9_S9_S9_S9_EEEESB_EEENSN_IJSM_SM_EEESB_PlJNSF_9not_fun_tINSF_14equal_to_valueISA_EEEEEEE10hipError_tPvRmT3_T4_T5_T6_T7_T9_mT8_P12ihipStream_tbDpT10_ENKUlT_T0_E_clISt17integral_constantIbLb1EES1J_EEDaS1E_S1F_EUlS1E_E_NS1_11comp_targetILNS1_3genE2ELNS1_11target_archE906ELNS1_3gpuE6ELNS1_3repE0EEENS1_30default_config_static_selectorELNS0_4arch9wavefront6targetE0EEEvT1_.numbered_sgpr, 0
	.set _ZN7rocprim17ROCPRIM_400000_NS6detail17trampoline_kernelINS0_14default_configENS1_25partition_config_selectorILNS1_17partition_subalgoE6EN6thrust23THRUST_200600_302600_NS5tupleIyyNS7_9null_typeES9_S9_S9_S9_S9_S9_S9_EENS0_10empty_typeEbEEZZNS1_14partition_implILS5_6ELb0ES3_mNS7_12zip_iteratorINS8_INS7_6detail15normal_iteratorINS7_10device_ptrIyEEEESJ_S9_S9_S9_S9_S9_S9_S9_S9_EEEEPSB_SM_NS0_5tupleIJNSE_INS8_ISJ_NS7_16discard_iteratorINS7_11use_defaultEEES9_S9_S9_S9_S9_S9_S9_S9_EEEESB_EEENSN_IJSM_SM_EEESB_PlJNSF_9not_fun_tINSF_14equal_to_valueISA_EEEEEEE10hipError_tPvRmT3_T4_T5_T6_T7_T9_mT8_P12ihipStream_tbDpT10_ENKUlT_T0_E_clISt17integral_constantIbLb1EES1J_EEDaS1E_S1F_EUlS1E_E_NS1_11comp_targetILNS1_3genE2ELNS1_11target_archE906ELNS1_3gpuE6ELNS1_3repE0EEENS1_30default_config_static_selectorELNS0_4arch9wavefront6targetE0EEEvT1_.num_named_barrier, 0
	.set _ZN7rocprim17ROCPRIM_400000_NS6detail17trampoline_kernelINS0_14default_configENS1_25partition_config_selectorILNS1_17partition_subalgoE6EN6thrust23THRUST_200600_302600_NS5tupleIyyNS7_9null_typeES9_S9_S9_S9_S9_S9_S9_EENS0_10empty_typeEbEEZZNS1_14partition_implILS5_6ELb0ES3_mNS7_12zip_iteratorINS8_INS7_6detail15normal_iteratorINS7_10device_ptrIyEEEESJ_S9_S9_S9_S9_S9_S9_S9_S9_EEEEPSB_SM_NS0_5tupleIJNSE_INS8_ISJ_NS7_16discard_iteratorINS7_11use_defaultEEES9_S9_S9_S9_S9_S9_S9_S9_EEEESB_EEENSN_IJSM_SM_EEESB_PlJNSF_9not_fun_tINSF_14equal_to_valueISA_EEEEEEE10hipError_tPvRmT3_T4_T5_T6_T7_T9_mT8_P12ihipStream_tbDpT10_ENKUlT_T0_E_clISt17integral_constantIbLb1EES1J_EEDaS1E_S1F_EUlS1E_E_NS1_11comp_targetILNS1_3genE2ELNS1_11target_archE906ELNS1_3gpuE6ELNS1_3repE0EEENS1_30default_config_static_selectorELNS0_4arch9wavefront6targetE0EEEvT1_.private_seg_size, 0
	.set _ZN7rocprim17ROCPRIM_400000_NS6detail17trampoline_kernelINS0_14default_configENS1_25partition_config_selectorILNS1_17partition_subalgoE6EN6thrust23THRUST_200600_302600_NS5tupleIyyNS7_9null_typeES9_S9_S9_S9_S9_S9_S9_EENS0_10empty_typeEbEEZZNS1_14partition_implILS5_6ELb0ES3_mNS7_12zip_iteratorINS8_INS7_6detail15normal_iteratorINS7_10device_ptrIyEEEESJ_S9_S9_S9_S9_S9_S9_S9_S9_EEEEPSB_SM_NS0_5tupleIJNSE_INS8_ISJ_NS7_16discard_iteratorINS7_11use_defaultEEES9_S9_S9_S9_S9_S9_S9_S9_EEEESB_EEENSN_IJSM_SM_EEESB_PlJNSF_9not_fun_tINSF_14equal_to_valueISA_EEEEEEE10hipError_tPvRmT3_T4_T5_T6_T7_T9_mT8_P12ihipStream_tbDpT10_ENKUlT_T0_E_clISt17integral_constantIbLb1EES1J_EEDaS1E_S1F_EUlS1E_E_NS1_11comp_targetILNS1_3genE2ELNS1_11target_archE906ELNS1_3gpuE6ELNS1_3repE0EEENS1_30default_config_static_selectorELNS0_4arch9wavefront6targetE0EEEvT1_.uses_vcc, 0
	.set _ZN7rocprim17ROCPRIM_400000_NS6detail17trampoline_kernelINS0_14default_configENS1_25partition_config_selectorILNS1_17partition_subalgoE6EN6thrust23THRUST_200600_302600_NS5tupleIyyNS7_9null_typeES9_S9_S9_S9_S9_S9_S9_EENS0_10empty_typeEbEEZZNS1_14partition_implILS5_6ELb0ES3_mNS7_12zip_iteratorINS8_INS7_6detail15normal_iteratorINS7_10device_ptrIyEEEESJ_S9_S9_S9_S9_S9_S9_S9_S9_EEEEPSB_SM_NS0_5tupleIJNSE_INS8_ISJ_NS7_16discard_iteratorINS7_11use_defaultEEES9_S9_S9_S9_S9_S9_S9_S9_EEEESB_EEENSN_IJSM_SM_EEESB_PlJNSF_9not_fun_tINSF_14equal_to_valueISA_EEEEEEE10hipError_tPvRmT3_T4_T5_T6_T7_T9_mT8_P12ihipStream_tbDpT10_ENKUlT_T0_E_clISt17integral_constantIbLb1EES1J_EEDaS1E_S1F_EUlS1E_E_NS1_11comp_targetILNS1_3genE2ELNS1_11target_archE906ELNS1_3gpuE6ELNS1_3repE0EEENS1_30default_config_static_selectorELNS0_4arch9wavefront6targetE0EEEvT1_.uses_flat_scratch, 0
	.set _ZN7rocprim17ROCPRIM_400000_NS6detail17trampoline_kernelINS0_14default_configENS1_25partition_config_selectorILNS1_17partition_subalgoE6EN6thrust23THRUST_200600_302600_NS5tupleIyyNS7_9null_typeES9_S9_S9_S9_S9_S9_S9_EENS0_10empty_typeEbEEZZNS1_14partition_implILS5_6ELb0ES3_mNS7_12zip_iteratorINS8_INS7_6detail15normal_iteratorINS7_10device_ptrIyEEEESJ_S9_S9_S9_S9_S9_S9_S9_S9_EEEEPSB_SM_NS0_5tupleIJNSE_INS8_ISJ_NS7_16discard_iteratorINS7_11use_defaultEEES9_S9_S9_S9_S9_S9_S9_S9_EEEESB_EEENSN_IJSM_SM_EEESB_PlJNSF_9not_fun_tINSF_14equal_to_valueISA_EEEEEEE10hipError_tPvRmT3_T4_T5_T6_T7_T9_mT8_P12ihipStream_tbDpT10_ENKUlT_T0_E_clISt17integral_constantIbLb1EES1J_EEDaS1E_S1F_EUlS1E_E_NS1_11comp_targetILNS1_3genE2ELNS1_11target_archE906ELNS1_3gpuE6ELNS1_3repE0EEENS1_30default_config_static_selectorELNS0_4arch9wavefront6targetE0EEEvT1_.has_dyn_sized_stack, 0
	.set _ZN7rocprim17ROCPRIM_400000_NS6detail17trampoline_kernelINS0_14default_configENS1_25partition_config_selectorILNS1_17partition_subalgoE6EN6thrust23THRUST_200600_302600_NS5tupleIyyNS7_9null_typeES9_S9_S9_S9_S9_S9_S9_EENS0_10empty_typeEbEEZZNS1_14partition_implILS5_6ELb0ES3_mNS7_12zip_iteratorINS8_INS7_6detail15normal_iteratorINS7_10device_ptrIyEEEESJ_S9_S9_S9_S9_S9_S9_S9_S9_EEEEPSB_SM_NS0_5tupleIJNSE_INS8_ISJ_NS7_16discard_iteratorINS7_11use_defaultEEES9_S9_S9_S9_S9_S9_S9_S9_EEEESB_EEENSN_IJSM_SM_EEESB_PlJNSF_9not_fun_tINSF_14equal_to_valueISA_EEEEEEE10hipError_tPvRmT3_T4_T5_T6_T7_T9_mT8_P12ihipStream_tbDpT10_ENKUlT_T0_E_clISt17integral_constantIbLb1EES1J_EEDaS1E_S1F_EUlS1E_E_NS1_11comp_targetILNS1_3genE2ELNS1_11target_archE906ELNS1_3gpuE6ELNS1_3repE0EEENS1_30default_config_static_selectorELNS0_4arch9wavefront6targetE0EEEvT1_.has_recursion, 0
	.set _ZN7rocprim17ROCPRIM_400000_NS6detail17trampoline_kernelINS0_14default_configENS1_25partition_config_selectorILNS1_17partition_subalgoE6EN6thrust23THRUST_200600_302600_NS5tupleIyyNS7_9null_typeES9_S9_S9_S9_S9_S9_S9_EENS0_10empty_typeEbEEZZNS1_14partition_implILS5_6ELb0ES3_mNS7_12zip_iteratorINS8_INS7_6detail15normal_iteratorINS7_10device_ptrIyEEEESJ_S9_S9_S9_S9_S9_S9_S9_S9_EEEEPSB_SM_NS0_5tupleIJNSE_INS8_ISJ_NS7_16discard_iteratorINS7_11use_defaultEEES9_S9_S9_S9_S9_S9_S9_S9_EEEESB_EEENSN_IJSM_SM_EEESB_PlJNSF_9not_fun_tINSF_14equal_to_valueISA_EEEEEEE10hipError_tPvRmT3_T4_T5_T6_T7_T9_mT8_P12ihipStream_tbDpT10_ENKUlT_T0_E_clISt17integral_constantIbLb1EES1J_EEDaS1E_S1F_EUlS1E_E_NS1_11comp_targetILNS1_3genE2ELNS1_11target_archE906ELNS1_3gpuE6ELNS1_3repE0EEENS1_30default_config_static_selectorELNS0_4arch9wavefront6targetE0EEEvT1_.has_indirect_call, 0
	.section	.AMDGPU.csdata,"",@progbits
; Kernel info:
; codeLenInByte = 0
; TotalNumSgprs: 0
; NumVgprs: 0
; ScratchSize: 0
; MemoryBound: 0
; FloatMode: 240
; IeeeMode: 1
; LDSByteSize: 0 bytes/workgroup (compile time only)
; SGPRBlocks: 0
; VGPRBlocks: 0
; NumSGPRsForWavesPerEU: 1
; NumVGPRsForWavesPerEU: 1
; Occupancy: 16
; WaveLimiterHint : 0
; COMPUTE_PGM_RSRC2:SCRATCH_EN: 0
; COMPUTE_PGM_RSRC2:USER_SGPR: 2
; COMPUTE_PGM_RSRC2:TRAP_HANDLER: 0
; COMPUTE_PGM_RSRC2:TGID_X_EN: 1
; COMPUTE_PGM_RSRC2:TGID_Y_EN: 0
; COMPUTE_PGM_RSRC2:TGID_Z_EN: 0
; COMPUTE_PGM_RSRC2:TIDIG_COMP_CNT: 0
	.section	.text._ZN7rocprim17ROCPRIM_400000_NS6detail17trampoline_kernelINS0_14default_configENS1_25partition_config_selectorILNS1_17partition_subalgoE6EN6thrust23THRUST_200600_302600_NS5tupleIyyNS7_9null_typeES9_S9_S9_S9_S9_S9_S9_EENS0_10empty_typeEbEEZZNS1_14partition_implILS5_6ELb0ES3_mNS7_12zip_iteratorINS8_INS7_6detail15normal_iteratorINS7_10device_ptrIyEEEESJ_S9_S9_S9_S9_S9_S9_S9_S9_EEEEPSB_SM_NS0_5tupleIJNSE_INS8_ISJ_NS7_16discard_iteratorINS7_11use_defaultEEES9_S9_S9_S9_S9_S9_S9_S9_EEEESB_EEENSN_IJSM_SM_EEESB_PlJNSF_9not_fun_tINSF_14equal_to_valueISA_EEEEEEE10hipError_tPvRmT3_T4_T5_T6_T7_T9_mT8_P12ihipStream_tbDpT10_ENKUlT_T0_E_clISt17integral_constantIbLb1EES1J_EEDaS1E_S1F_EUlS1E_E_NS1_11comp_targetILNS1_3genE10ELNS1_11target_archE1200ELNS1_3gpuE4ELNS1_3repE0EEENS1_30default_config_static_selectorELNS0_4arch9wavefront6targetE0EEEvT1_,"axG",@progbits,_ZN7rocprim17ROCPRIM_400000_NS6detail17trampoline_kernelINS0_14default_configENS1_25partition_config_selectorILNS1_17partition_subalgoE6EN6thrust23THRUST_200600_302600_NS5tupleIyyNS7_9null_typeES9_S9_S9_S9_S9_S9_S9_EENS0_10empty_typeEbEEZZNS1_14partition_implILS5_6ELb0ES3_mNS7_12zip_iteratorINS8_INS7_6detail15normal_iteratorINS7_10device_ptrIyEEEESJ_S9_S9_S9_S9_S9_S9_S9_S9_EEEEPSB_SM_NS0_5tupleIJNSE_INS8_ISJ_NS7_16discard_iteratorINS7_11use_defaultEEES9_S9_S9_S9_S9_S9_S9_S9_EEEESB_EEENSN_IJSM_SM_EEESB_PlJNSF_9not_fun_tINSF_14equal_to_valueISA_EEEEEEE10hipError_tPvRmT3_T4_T5_T6_T7_T9_mT8_P12ihipStream_tbDpT10_ENKUlT_T0_E_clISt17integral_constantIbLb1EES1J_EEDaS1E_S1F_EUlS1E_E_NS1_11comp_targetILNS1_3genE10ELNS1_11target_archE1200ELNS1_3gpuE4ELNS1_3repE0EEENS1_30default_config_static_selectorELNS0_4arch9wavefront6targetE0EEEvT1_,comdat
	.protected	_ZN7rocprim17ROCPRIM_400000_NS6detail17trampoline_kernelINS0_14default_configENS1_25partition_config_selectorILNS1_17partition_subalgoE6EN6thrust23THRUST_200600_302600_NS5tupleIyyNS7_9null_typeES9_S9_S9_S9_S9_S9_S9_EENS0_10empty_typeEbEEZZNS1_14partition_implILS5_6ELb0ES3_mNS7_12zip_iteratorINS8_INS7_6detail15normal_iteratorINS7_10device_ptrIyEEEESJ_S9_S9_S9_S9_S9_S9_S9_S9_EEEEPSB_SM_NS0_5tupleIJNSE_INS8_ISJ_NS7_16discard_iteratorINS7_11use_defaultEEES9_S9_S9_S9_S9_S9_S9_S9_EEEESB_EEENSN_IJSM_SM_EEESB_PlJNSF_9not_fun_tINSF_14equal_to_valueISA_EEEEEEE10hipError_tPvRmT3_T4_T5_T6_T7_T9_mT8_P12ihipStream_tbDpT10_ENKUlT_T0_E_clISt17integral_constantIbLb1EES1J_EEDaS1E_S1F_EUlS1E_E_NS1_11comp_targetILNS1_3genE10ELNS1_11target_archE1200ELNS1_3gpuE4ELNS1_3repE0EEENS1_30default_config_static_selectorELNS0_4arch9wavefront6targetE0EEEvT1_ ; -- Begin function _ZN7rocprim17ROCPRIM_400000_NS6detail17trampoline_kernelINS0_14default_configENS1_25partition_config_selectorILNS1_17partition_subalgoE6EN6thrust23THRUST_200600_302600_NS5tupleIyyNS7_9null_typeES9_S9_S9_S9_S9_S9_S9_EENS0_10empty_typeEbEEZZNS1_14partition_implILS5_6ELb0ES3_mNS7_12zip_iteratorINS8_INS7_6detail15normal_iteratorINS7_10device_ptrIyEEEESJ_S9_S9_S9_S9_S9_S9_S9_S9_EEEEPSB_SM_NS0_5tupleIJNSE_INS8_ISJ_NS7_16discard_iteratorINS7_11use_defaultEEES9_S9_S9_S9_S9_S9_S9_S9_EEEESB_EEENSN_IJSM_SM_EEESB_PlJNSF_9not_fun_tINSF_14equal_to_valueISA_EEEEEEE10hipError_tPvRmT3_T4_T5_T6_T7_T9_mT8_P12ihipStream_tbDpT10_ENKUlT_T0_E_clISt17integral_constantIbLb1EES1J_EEDaS1E_S1F_EUlS1E_E_NS1_11comp_targetILNS1_3genE10ELNS1_11target_archE1200ELNS1_3gpuE4ELNS1_3repE0EEENS1_30default_config_static_selectorELNS0_4arch9wavefront6targetE0EEEvT1_
	.globl	_ZN7rocprim17ROCPRIM_400000_NS6detail17trampoline_kernelINS0_14default_configENS1_25partition_config_selectorILNS1_17partition_subalgoE6EN6thrust23THRUST_200600_302600_NS5tupleIyyNS7_9null_typeES9_S9_S9_S9_S9_S9_S9_EENS0_10empty_typeEbEEZZNS1_14partition_implILS5_6ELb0ES3_mNS7_12zip_iteratorINS8_INS7_6detail15normal_iteratorINS7_10device_ptrIyEEEESJ_S9_S9_S9_S9_S9_S9_S9_S9_EEEEPSB_SM_NS0_5tupleIJNSE_INS8_ISJ_NS7_16discard_iteratorINS7_11use_defaultEEES9_S9_S9_S9_S9_S9_S9_S9_EEEESB_EEENSN_IJSM_SM_EEESB_PlJNSF_9not_fun_tINSF_14equal_to_valueISA_EEEEEEE10hipError_tPvRmT3_T4_T5_T6_T7_T9_mT8_P12ihipStream_tbDpT10_ENKUlT_T0_E_clISt17integral_constantIbLb1EES1J_EEDaS1E_S1F_EUlS1E_E_NS1_11comp_targetILNS1_3genE10ELNS1_11target_archE1200ELNS1_3gpuE4ELNS1_3repE0EEENS1_30default_config_static_selectorELNS0_4arch9wavefront6targetE0EEEvT1_
	.p2align	8
	.type	_ZN7rocprim17ROCPRIM_400000_NS6detail17trampoline_kernelINS0_14default_configENS1_25partition_config_selectorILNS1_17partition_subalgoE6EN6thrust23THRUST_200600_302600_NS5tupleIyyNS7_9null_typeES9_S9_S9_S9_S9_S9_S9_EENS0_10empty_typeEbEEZZNS1_14partition_implILS5_6ELb0ES3_mNS7_12zip_iteratorINS8_INS7_6detail15normal_iteratorINS7_10device_ptrIyEEEESJ_S9_S9_S9_S9_S9_S9_S9_S9_EEEEPSB_SM_NS0_5tupleIJNSE_INS8_ISJ_NS7_16discard_iteratorINS7_11use_defaultEEES9_S9_S9_S9_S9_S9_S9_S9_EEEESB_EEENSN_IJSM_SM_EEESB_PlJNSF_9not_fun_tINSF_14equal_to_valueISA_EEEEEEE10hipError_tPvRmT3_T4_T5_T6_T7_T9_mT8_P12ihipStream_tbDpT10_ENKUlT_T0_E_clISt17integral_constantIbLb1EES1J_EEDaS1E_S1F_EUlS1E_E_NS1_11comp_targetILNS1_3genE10ELNS1_11target_archE1200ELNS1_3gpuE4ELNS1_3repE0EEENS1_30default_config_static_selectorELNS0_4arch9wavefront6targetE0EEEvT1_,@function
_ZN7rocprim17ROCPRIM_400000_NS6detail17trampoline_kernelINS0_14default_configENS1_25partition_config_selectorILNS1_17partition_subalgoE6EN6thrust23THRUST_200600_302600_NS5tupleIyyNS7_9null_typeES9_S9_S9_S9_S9_S9_S9_EENS0_10empty_typeEbEEZZNS1_14partition_implILS5_6ELb0ES3_mNS7_12zip_iteratorINS8_INS7_6detail15normal_iteratorINS7_10device_ptrIyEEEESJ_S9_S9_S9_S9_S9_S9_S9_S9_EEEEPSB_SM_NS0_5tupleIJNSE_INS8_ISJ_NS7_16discard_iteratorINS7_11use_defaultEEES9_S9_S9_S9_S9_S9_S9_S9_EEEESB_EEENSN_IJSM_SM_EEESB_PlJNSF_9not_fun_tINSF_14equal_to_valueISA_EEEEEEE10hipError_tPvRmT3_T4_T5_T6_T7_T9_mT8_P12ihipStream_tbDpT10_ENKUlT_T0_E_clISt17integral_constantIbLb1EES1J_EEDaS1E_S1F_EUlS1E_E_NS1_11comp_targetILNS1_3genE10ELNS1_11target_archE1200ELNS1_3gpuE4ELNS1_3repE0EEENS1_30default_config_static_selectorELNS0_4arch9wavefront6targetE0EEEvT1_: ; @_ZN7rocprim17ROCPRIM_400000_NS6detail17trampoline_kernelINS0_14default_configENS1_25partition_config_selectorILNS1_17partition_subalgoE6EN6thrust23THRUST_200600_302600_NS5tupleIyyNS7_9null_typeES9_S9_S9_S9_S9_S9_S9_EENS0_10empty_typeEbEEZZNS1_14partition_implILS5_6ELb0ES3_mNS7_12zip_iteratorINS8_INS7_6detail15normal_iteratorINS7_10device_ptrIyEEEESJ_S9_S9_S9_S9_S9_S9_S9_S9_EEEEPSB_SM_NS0_5tupleIJNSE_INS8_ISJ_NS7_16discard_iteratorINS7_11use_defaultEEES9_S9_S9_S9_S9_S9_S9_S9_EEEESB_EEENSN_IJSM_SM_EEESB_PlJNSF_9not_fun_tINSF_14equal_to_valueISA_EEEEEEE10hipError_tPvRmT3_T4_T5_T6_T7_T9_mT8_P12ihipStream_tbDpT10_ENKUlT_T0_E_clISt17integral_constantIbLb1EES1J_EEDaS1E_S1F_EUlS1E_E_NS1_11comp_targetILNS1_3genE10ELNS1_11target_archE1200ELNS1_3gpuE4ELNS1_3repE0EEENS1_30default_config_static_selectorELNS0_4arch9wavefront6targetE0EEEvT1_
; %bb.0:
	s_endpgm
	.section	.rodata,"a",@progbits
	.p2align	6, 0x0
	.amdhsa_kernel _ZN7rocprim17ROCPRIM_400000_NS6detail17trampoline_kernelINS0_14default_configENS1_25partition_config_selectorILNS1_17partition_subalgoE6EN6thrust23THRUST_200600_302600_NS5tupleIyyNS7_9null_typeES9_S9_S9_S9_S9_S9_S9_EENS0_10empty_typeEbEEZZNS1_14partition_implILS5_6ELb0ES3_mNS7_12zip_iteratorINS8_INS7_6detail15normal_iteratorINS7_10device_ptrIyEEEESJ_S9_S9_S9_S9_S9_S9_S9_S9_EEEEPSB_SM_NS0_5tupleIJNSE_INS8_ISJ_NS7_16discard_iteratorINS7_11use_defaultEEES9_S9_S9_S9_S9_S9_S9_S9_EEEESB_EEENSN_IJSM_SM_EEESB_PlJNSF_9not_fun_tINSF_14equal_to_valueISA_EEEEEEE10hipError_tPvRmT3_T4_T5_T6_T7_T9_mT8_P12ihipStream_tbDpT10_ENKUlT_T0_E_clISt17integral_constantIbLb1EES1J_EEDaS1E_S1F_EUlS1E_E_NS1_11comp_targetILNS1_3genE10ELNS1_11target_archE1200ELNS1_3gpuE4ELNS1_3repE0EEENS1_30default_config_static_selectorELNS0_4arch9wavefront6targetE0EEEvT1_
		.amdhsa_group_segment_fixed_size 0
		.amdhsa_private_segment_fixed_size 0
		.amdhsa_kernarg_size 160
		.amdhsa_user_sgpr_count 2
		.amdhsa_user_sgpr_dispatch_ptr 0
		.amdhsa_user_sgpr_queue_ptr 0
		.amdhsa_user_sgpr_kernarg_segment_ptr 1
		.amdhsa_user_sgpr_dispatch_id 0
		.amdhsa_user_sgpr_private_segment_size 0
		.amdhsa_wavefront_size32 1
		.amdhsa_uses_dynamic_stack 0
		.amdhsa_enable_private_segment 0
		.amdhsa_system_sgpr_workgroup_id_x 1
		.amdhsa_system_sgpr_workgroup_id_y 0
		.amdhsa_system_sgpr_workgroup_id_z 0
		.amdhsa_system_sgpr_workgroup_info 0
		.amdhsa_system_vgpr_workitem_id 0
		.amdhsa_next_free_vgpr 1
		.amdhsa_next_free_sgpr 1
		.amdhsa_reserve_vcc 0
		.amdhsa_float_round_mode_32 0
		.amdhsa_float_round_mode_16_64 0
		.amdhsa_float_denorm_mode_32 3
		.amdhsa_float_denorm_mode_16_64 3
		.amdhsa_fp16_overflow 0
		.amdhsa_workgroup_processor_mode 1
		.amdhsa_memory_ordered 1
		.amdhsa_forward_progress 1
		.amdhsa_inst_pref_size 1
		.amdhsa_round_robin_scheduling 0
		.amdhsa_exception_fp_ieee_invalid_op 0
		.amdhsa_exception_fp_denorm_src 0
		.amdhsa_exception_fp_ieee_div_zero 0
		.amdhsa_exception_fp_ieee_overflow 0
		.amdhsa_exception_fp_ieee_underflow 0
		.amdhsa_exception_fp_ieee_inexact 0
		.amdhsa_exception_int_div_zero 0
	.end_amdhsa_kernel
	.section	.text._ZN7rocprim17ROCPRIM_400000_NS6detail17trampoline_kernelINS0_14default_configENS1_25partition_config_selectorILNS1_17partition_subalgoE6EN6thrust23THRUST_200600_302600_NS5tupleIyyNS7_9null_typeES9_S9_S9_S9_S9_S9_S9_EENS0_10empty_typeEbEEZZNS1_14partition_implILS5_6ELb0ES3_mNS7_12zip_iteratorINS8_INS7_6detail15normal_iteratorINS7_10device_ptrIyEEEESJ_S9_S9_S9_S9_S9_S9_S9_S9_EEEEPSB_SM_NS0_5tupleIJNSE_INS8_ISJ_NS7_16discard_iteratorINS7_11use_defaultEEES9_S9_S9_S9_S9_S9_S9_S9_EEEESB_EEENSN_IJSM_SM_EEESB_PlJNSF_9not_fun_tINSF_14equal_to_valueISA_EEEEEEE10hipError_tPvRmT3_T4_T5_T6_T7_T9_mT8_P12ihipStream_tbDpT10_ENKUlT_T0_E_clISt17integral_constantIbLb1EES1J_EEDaS1E_S1F_EUlS1E_E_NS1_11comp_targetILNS1_3genE10ELNS1_11target_archE1200ELNS1_3gpuE4ELNS1_3repE0EEENS1_30default_config_static_selectorELNS0_4arch9wavefront6targetE0EEEvT1_,"axG",@progbits,_ZN7rocprim17ROCPRIM_400000_NS6detail17trampoline_kernelINS0_14default_configENS1_25partition_config_selectorILNS1_17partition_subalgoE6EN6thrust23THRUST_200600_302600_NS5tupleIyyNS7_9null_typeES9_S9_S9_S9_S9_S9_S9_EENS0_10empty_typeEbEEZZNS1_14partition_implILS5_6ELb0ES3_mNS7_12zip_iteratorINS8_INS7_6detail15normal_iteratorINS7_10device_ptrIyEEEESJ_S9_S9_S9_S9_S9_S9_S9_S9_EEEEPSB_SM_NS0_5tupleIJNSE_INS8_ISJ_NS7_16discard_iteratorINS7_11use_defaultEEES9_S9_S9_S9_S9_S9_S9_S9_EEEESB_EEENSN_IJSM_SM_EEESB_PlJNSF_9not_fun_tINSF_14equal_to_valueISA_EEEEEEE10hipError_tPvRmT3_T4_T5_T6_T7_T9_mT8_P12ihipStream_tbDpT10_ENKUlT_T0_E_clISt17integral_constantIbLb1EES1J_EEDaS1E_S1F_EUlS1E_E_NS1_11comp_targetILNS1_3genE10ELNS1_11target_archE1200ELNS1_3gpuE4ELNS1_3repE0EEENS1_30default_config_static_selectorELNS0_4arch9wavefront6targetE0EEEvT1_,comdat
.Lfunc_end1898:
	.size	_ZN7rocprim17ROCPRIM_400000_NS6detail17trampoline_kernelINS0_14default_configENS1_25partition_config_selectorILNS1_17partition_subalgoE6EN6thrust23THRUST_200600_302600_NS5tupleIyyNS7_9null_typeES9_S9_S9_S9_S9_S9_S9_EENS0_10empty_typeEbEEZZNS1_14partition_implILS5_6ELb0ES3_mNS7_12zip_iteratorINS8_INS7_6detail15normal_iteratorINS7_10device_ptrIyEEEESJ_S9_S9_S9_S9_S9_S9_S9_S9_EEEEPSB_SM_NS0_5tupleIJNSE_INS8_ISJ_NS7_16discard_iteratorINS7_11use_defaultEEES9_S9_S9_S9_S9_S9_S9_S9_EEEESB_EEENSN_IJSM_SM_EEESB_PlJNSF_9not_fun_tINSF_14equal_to_valueISA_EEEEEEE10hipError_tPvRmT3_T4_T5_T6_T7_T9_mT8_P12ihipStream_tbDpT10_ENKUlT_T0_E_clISt17integral_constantIbLb1EES1J_EEDaS1E_S1F_EUlS1E_E_NS1_11comp_targetILNS1_3genE10ELNS1_11target_archE1200ELNS1_3gpuE4ELNS1_3repE0EEENS1_30default_config_static_selectorELNS0_4arch9wavefront6targetE0EEEvT1_, .Lfunc_end1898-_ZN7rocprim17ROCPRIM_400000_NS6detail17trampoline_kernelINS0_14default_configENS1_25partition_config_selectorILNS1_17partition_subalgoE6EN6thrust23THRUST_200600_302600_NS5tupleIyyNS7_9null_typeES9_S9_S9_S9_S9_S9_S9_EENS0_10empty_typeEbEEZZNS1_14partition_implILS5_6ELb0ES3_mNS7_12zip_iteratorINS8_INS7_6detail15normal_iteratorINS7_10device_ptrIyEEEESJ_S9_S9_S9_S9_S9_S9_S9_S9_EEEEPSB_SM_NS0_5tupleIJNSE_INS8_ISJ_NS7_16discard_iteratorINS7_11use_defaultEEES9_S9_S9_S9_S9_S9_S9_S9_EEEESB_EEENSN_IJSM_SM_EEESB_PlJNSF_9not_fun_tINSF_14equal_to_valueISA_EEEEEEE10hipError_tPvRmT3_T4_T5_T6_T7_T9_mT8_P12ihipStream_tbDpT10_ENKUlT_T0_E_clISt17integral_constantIbLb1EES1J_EEDaS1E_S1F_EUlS1E_E_NS1_11comp_targetILNS1_3genE10ELNS1_11target_archE1200ELNS1_3gpuE4ELNS1_3repE0EEENS1_30default_config_static_selectorELNS0_4arch9wavefront6targetE0EEEvT1_
                                        ; -- End function
	.set _ZN7rocprim17ROCPRIM_400000_NS6detail17trampoline_kernelINS0_14default_configENS1_25partition_config_selectorILNS1_17partition_subalgoE6EN6thrust23THRUST_200600_302600_NS5tupleIyyNS7_9null_typeES9_S9_S9_S9_S9_S9_S9_EENS0_10empty_typeEbEEZZNS1_14partition_implILS5_6ELb0ES3_mNS7_12zip_iteratorINS8_INS7_6detail15normal_iteratorINS7_10device_ptrIyEEEESJ_S9_S9_S9_S9_S9_S9_S9_S9_EEEEPSB_SM_NS0_5tupleIJNSE_INS8_ISJ_NS7_16discard_iteratorINS7_11use_defaultEEES9_S9_S9_S9_S9_S9_S9_S9_EEEESB_EEENSN_IJSM_SM_EEESB_PlJNSF_9not_fun_tINSF_14equal_to_valueISA_EEEEEEE10hipError_tPvRmT3_T4_T5_T6_T7_T9_mT8_P12ihipStream_tbDpT10_ENKUlT_T0_E_clISt17integral_constantIbLb1EES1J_EEDaS1E_S1F_EUlS1E_E_NS1_11comp_targetILNS1_3genE10ELNS1_11target_archE1200ELNS1_3gpuE4ELNS1_3repE0EEENS1_30default_config_static_selectorELNS0_4arch9wavefront6targetE0EEEvT1_.num_vgpr, 0
	.set _ZN7rocprim17ROCPRIM_400000_NS6detail17trampoline_kernelINS0_14default_configENS1_25partition_config_selectorILNS1_17partition_subalgoE6EN6thrust23THRUST_200600_302600_NS5tupleIyyNS7_9null_typeES9_S9_S9_S9_S9_S9_S9_EENS0_10empty_typeEbEEZZNS1_14partition_implILS5_6ELb0ES3_mNS7_12zip_iteratorINS8_INS7_6detail15normal_iteratorINS7_10device_ptrIyEEEESJ_S9_S9_S9_S9_S9_S9_S9_S9_EEEEPSB_SM_NS0_5tupleIJNSE_INS8_ISJ_NS7_16discard_iteratorINS7_11use_defaultEEES9_S9_S9_S9_S9_S9_S9_S9_EEEESB_EEENSN_IJSM_SM_EEESB_PlJNSF_9not_fun_tINSF_14equal_to_valueISA_EEEEEEE10hipError_tPvRmT3_T4_T5_T6_T7_T9_mT8_P12ihipStream_tbDpT10_ENKUlT_T0_E_clISt17integral_constantIbLb1EES1J_EEDaS1E_S1F_EUlS1E_E_NS1_11comp_targetILNS1_3genE10ELNS1_11target_archE1200ELNS1_3gpuE4ELNS1_3repE0EEENS1_30default_config_static_selectorELNS0_4arch9wavefront6targetE0EEEvT1_.num_agpr, 0
	.set _ZN7rocprim17ROCPRIM_400000_NS6detail17trampoline_kernelINS0_14default_configENS1_25partition_config_selectorILNS1_17partition_subalgoE6EN6thrust23THRUST_200600_302600_NS5tupleIyyNS7_9null_typeES9_S9_S9_S9_S9_S9_S9_EENS0_10empty_typeEbEEZZNS1_14partition_implILS5_6ELb0ES3_mNS7_12zip_iteratorINS8_INS7_6detail15normal_iteratorINS7_10device_ptrIyEEEESJ_S9_S9_S9_S9_S9_S9_S9_S9_EEEEPSB_SM_NS0_5tupleIJNSE_INS8_ISJ_NS7_16discard_iteratorINS7_11use_defaultEEES9_S9_S9_S9_S9_S9_S9_S9_EEEESB_EEENSN_IJSM_SM_EEESB_PlJNSF_9not_fun_tINSF_14equal_to_valueISA_EEEEEEE10hipError_tPvRmT3_T4_T5_T6_T7_T9_mT8_P12ihipStream_tbDpT10_ENKUlT_T0_E_clISt17integral_constantIbLb1EES1J_EEDaS1E_S1F_EUlS1E_E_NS1_11comp_targetILNS1_3genE10ELNS1_11target_archE1200ELNS1_3gpuE4ELNS1_3repE0EEENS1_30default_config_static_selectorELNS0_4arch9wavefront6targetE0EEEvT1_.numbered_sgpr, 0
	.set _ZN7rocprim17ROCPRIM_400000_NS6detail17trampoline_kernelINS0_14default_configENS1_25partition_config_selectorILNS1_17partition_subalgoE6EN6thrust23THRUST_200600_302600_NS5tupleIyyNS7_9null_typeES9_S9_S9_S9_S9_S9_S9_EENS0_10empty_typeEbEEZZNS1_14partition_implILS5_6ELb0ES3_mNS7_12zip_iteratorINS8_INS7_6detail15normal_iteratorINS7_10device_ptrIyEEEESJ_S9_S9_S9_S9_S9_S9_S9_S9_EEEEPSB_SM_NS0_5tupleIJNSE_INS8_ISJ_NS7_16discard_iteratorINS7_11use_defaultEEES9_S9_S9_S9_S9_S9_S9_S9_EEEESB_EEENSN_IJSM_SM_EEESB_PlJNSF_9not_fun_tINSF_14equal_to_valueISA_EEEEEEE10hipError_tPvRmT3_T4_T5_T6_T7_T9_mT8_P12ihipStream_tbDpT10_ENKUlT_T0_E_clISt17integral_constantIbLb1EES1J_EEDaS1E_S1F_EUlS1E_E_NS1_11comp_targetILNS1_3genE10ELNS1_11target_archE1200ELNS1_3gpuE4ELNS1_3repE0EEENS1_30default_config_static_selectorELNS0_4arch9wavefront6targetE0EEEvT1_.num_named_barrier, 0
	.set _ZN7rocprim17ROCPRIM_400000_NS6detail17trampoline_kernelINS0_14default_configENS1_25partition_config_selectorILNS1_17partition_subalgoE6EN6thrust23THRUST_200600_302600_NS5tupleIyyNS7_9null_typeES9_S9_S9_S9_S9_S9_S9_EENS0_10empty_typeEbEEZZNS1_14partition_implILS5_6ELb0ES3_mNS7_12zip_iteratorINS8_INS7_6detail15normal_iteratorINS7_10device_ptrIyEEEESJ_S9_S9_S9_S9_S9_S9_S9_S9_EEEEPSB_SM_NS0_5tupleIJNSE_INS8_ISJ_NS7_16discard_iteratorINS7_11use_defaultEEES9_S9_S9_S9_S9_S9_S9_S9_EEEESB_EEENSN_IJSM_SM_EEESB_PlJNSF_9not_fun_tINSF_14equal_to_valueISA_EEEEEEE10hipError_tPvRmT3_T4_T5_T6_T7_T9_mT8_P12ihipStream_tbDpT10_ENKUlT_T0_E_clISt17integral_constantIbLb1EES1J_EEDaS1E_S1F_EUlS1E_E_NS1_11comp_targetILNS1_3genE10ELNS1_11target_archE1200ELNS1_3gpuE4ELNS1_3repE0EEENS1_30default_config_static_selectorELNS0_4arch9wavefront6targetE0EEEvT1_.private_seg_size, 0
	.set _ZN7rocprim17ROCPRIM_400000_NS6detail17trampoline_kernelINS0_14default_configENS1_25partition_config_selectorILNS1_17partition_subalgoE6EN6thrust23THRUST_200600_302600_NS5tupleIyyNS7_9null_typeES9_S9_S9_S9_S9_S9_S9_EENS0_10empty_typeEbEEZZNS1_14partition_implILS5_6ELb0ES3_mNS7_12zip_iteratorINS8_INS7_6detail15normal_iteratorINS7_10device_ptrIyEEEESJ_S9_S9_S9_S9_S9_S9_S9_S9_EEEEPSB_SM_NS0_5tupleIJNSE_INS8_ISJ_NS7_16discard_iteratorINS7_11use_defaultEEES9_S9_S9_S9_S9_S9_S9_S9_EEEESB_EEENSN_IJSM_SM_EEESB_PlJNSF_9not_fun_tINSF_14equal_to_valueISA_EEEEEEE10hipError_tPvRmT3_T4_T5_T6_T7_T9_mT8_P12ihipStream_tbDpT10_ENKUlT_T0_E_clISt17integral_constantIbLb1EES1J_EEDaS1E_S1F_EUlS1E_E_NS1_11comp_targetILNS1_3genE10ELNS1_11target_archE1200ELNS1_3gpuE4ELNS1_3repE0EEENS1_30default_config_static_selectorELNS0_4arch9wavefront6targetE0EEEvT1_.uses_vcc, 0
	.set _ZN7rocprim17ROCPRIM_400000_NS6detail17trampoline_kernelINS0_14default_configENS1_25partition_config_selectorILNS1_17partition_subalgoE6EN6thrust23THRUST_200600_302600_NS5tupleIyyNS7_9null_typeES9_S9_S9_S9_S9_S9_S9_EENS0_10empty_typeEbEEZZNS1_14partition_implILS5_6ELb0ES3_mNS7_12zip_iteratorINS8_INS7_6detail15normal_iteratorINS7_10device_ptrIyEEEESJ_S9_S9_S9_S9_S9_S9_S9_S9_EEEEPSB_SM_NS0_5tupleIJNSE_INS8_ISJ_NS7_16discard_iteratorINS7_11use_defaultEEES9_S9_S9_S9_S9_S9_S9_S9_EEEESB_EEENSN_IJSM_SM_EEESB_PlJNSF_9not_fun_tINSF_14equal_to_valueISA_EEEEEEE10hipError_tPvRmT3_T4_T5_T6_T7_T9_mT8_P12ihipStream_tbDpT10_ENKUlT_T0_E_clISt17integral_constantIbLb1EES1J_EEDaS1E_S1F_EUlS1E_E_NS1_11comp_targetILNS1_3genE10ELNS1_11target_archE1200ELNS1_3gpuE4ELNS1_3repE0EEENS1_30default_config_static_selectorELNS0_4arch9wavefront6targetE0EEEvT1_.uses_flat_scratch, 0
	.set _ZN7rocprim17ROCPRIM_400000_NS6detail17trampoline_kernelINS0_14default_configENS1_25partition_config_selectorILNS1_17partition_subalgoE6EN6thrust23THRUST_200600_302600_NS5tupleIyyNS7_9null_typeES9_S9_S9_S9_S9_S9_S9_EENS0_10empty_typeEbEEZZNS1_14partition_implILS5_6ELb0ES3_mNS7_12zip_iteratorINS8_INS7_6detail15normal_iteratorINS7_10device_ptrIyEEEESJ_S9_S9_S9_S9_S9_S9_S9_S9_EEEEPSB_SM_NS0_5tupleIJNSE_INS8_ISJ_NS7_16discard_iteratorINS7_11use_defaultEEES9_S9_S9_S9_S9_S9_S9_S9_EEEESB_EEENSN_IJSM_SM_EEESB_PlJNSF_9not_fun_tINSF_14equal_to_valueISA_EEEEEEE10hipError_tPvRmT3_T4_T5_T6_T7_T9_mT8_P12ihipStream_tbDpT10_ENKUlT_T0_E_clISt17integral_constantIbLb1EES1J_EEDaS1E_S1F_EUlS1E_E_NS1_11comp_targetILNS1_3genE10ELNS1_11target_archE1200ELNS1_3gpuE4ELNS1_3repE0EEENS1_30default_config_static_selectorELNS0_4arch9wavefront6targetE0EEEvT1_.has_dyn_sized_stack, 0
	.set _ZN7rocprim17ROCPRIM_400000_NS6detail17trampoline_kernelINS0_14default_configENS1_25partition_config_selectorILNS1_17partition_subalgoE6EN6thrust23THRUST_200600_302600_NS5tupleIyyNS7_9null_typeES9_S9_S9_S9_S9_S9_S9_EENS0_10empty_typeEbEEZZNS1_14partition_implILS5_6ELb0ES3_mNS7_12zip_iteratorINS8_INS7_6detail15normal_iteratorINS7_10device_ptrIyEEEESJ_S9_S9_S9_S9_S9_S9_S9_S9_EEEEPSB_SM_NS0_5tupleIJNSE_INS8_ISJ_NS7_16discard_iteratorINS7_11use_defaultEEES9_S9_S9_S9_S9_S9_S9_S9_EEEESB_EEENSN_IJSM_SM_EEESB_PlJNSF_9not_fun_tINSF_14equal_to_valueISA_EEEEEEE10hipError_tPvRmT3_T4_T5_T6_T7_T9_mT8_P12ihipStream_tbDpT10_ENKUlT_T0_E_clISt17integral_constantIbLb1EES1J_EEDaS1E_S1F_EUlS1E_E_NS1_11comp_targetILNS1_3genE10ELNS1_11target_archE1200ELNS1_3gpuE4ELNS1_3repE0EEENS1_30default_config_static_selectorELNS0_4arch9wavefront6targetE0EEEvT1_.has_recursion, 0
	.set _ZN7rocprim17ROCPRIM_400000_NS6detail17trampoline_kernelINS0_14default_configENS1_25partition_config_selectorILNS1_17partition_subalgoE6EN6thrust23THRUST_200600_302600_NS5tupleIyyNS7_9null_typeES9_S9_S9_S9_S9_S9_S9_EENS0_10empty_typeEbEEZZNS1_14partition_implILS5_6ELb0ES3_mNS7_12zip_iteratorINS8_INS7_6detail15normal_iteratorINS7_10device_ptrIyEEEESJ_S9_S9_S9_S9_S9_S9_S9_S9_EEEEPSB_SM_NS0_5tupleIJNSE_INS8_ISJ_NS7_16discard_iteratorINS7_11use_defaultEEES9_S9_S9_S9_S9_S9_S9_S9_EEEESB_EEENSN_IJSM_SM_EEESB_PlJNSF_9not_fun_tINSF_14equal_to_valueISA_EEEEEEE10hipError_tPvRmT3_T4_T5_T6_T7_T9_mT8_P12ihipStream_tbDpT10_ENKUlT_T0_E_clISt17integral_constantIbLb1EES1J_EEDaS1E_S1F_EUlS1E_E_NS1_11comp_targetILNS1_3genE10ELNS1_11target_archE1200ELNS1_3gpuE4ELNS1_3repE0EEENS1_30default_config_static_selectorELNS0_4arch9wavefront6targetE0EEEvT1_.has_indirect_call, 0
	.section	.AMDGPU.csdata,"",@progbits
; Kernel info:
; codeLenInByte = 4
; TotalNumSgprs: 0
; NumVgprs: 0
; ScratchSize: 0
; MemoryBound: 0
; FloatMode: 240
; IeeeMode: 1
; LDSByteSize: 0 bytes/workgroup (compile time only)
; SGPRBlocks: 0
; VGPRBlocks: 0
; NumSGPRsForWavesPerEU: 1
; NumVGPRsForWavesPerEU: 1
; Occupancy: 16
; WaveLimiterHint : 0
; COMPUTE_PGM_RSRC2:SCRATCH_EN: 0
; COMPUTE_PGM_RSRC2:USER_SGPR: 2
; COMPUTE_PGM_RSRC2:TRAP_HANDLER: 0
; COMPUTE_PGM_RSRC2:TGID_X_EN: 1
; COMPUTE_PGM_RSRC2:TGID_Y_EN: 0
; COMPUTE_PGM_RSRC2:TGID_Z_EN: 0
; COMPUTE_PGM_RSRC2:TIDIG_COMP_CNT: 0
	.section	.text._ZN7rocprim17ROCPRIM_400000_NS6detail17trampoline_kernelINS0_14default_configENS1_25partition_config_selectorILNS1_17partition_subalgoE6EN6thrust23THRUST_200600_302600_NS5tupleIyyNS7_9null_typeES9_S9_S9_S9_S9_S9_S9_EENS0_10empty_typeEbEEZZNS1_14partition_implILS5_6ELb0ES3_mNS7_12zip_iteratorINS8_INS7_6detail15normal_iteratorINS7_10device_ptrIyEEEESJ_S9_S9_S9_S9_S9_S9_S9_S9_EEEEPSB_SM_NS0_5tupleIJNSE_INS8_ISJ_NS7_16discard_iteratorINS7_11use_defaultEEES9_S9_S9_S9_S9_S9_S9_S9_EEEESB_EEENSN_IJSM_SM_EEESB_PlJNSF_9not_fun_tINSF_14equal_to_valueISA_EEEEEEE10hipError_tPvRmT3_T4_T5_T6_T7_T9_mT8_P12ihipStream_tbDpT10_ENKUlT_T0_E_clISt17integral_constantIbLb1EES1J_EEDaS1E_S1F_EUlS1E_E_NS1_11comp_targetILNS1_3genE9ELNS1_11target_archE1100ELNS1_3gpuE3ELNS1_3repE0EEENS1_30default_config_static_selectorELNS0_4arch9wavefront6targetE0EEEvT1_,"axG",@progbits,_ZN7rocprim17ROCPRIM_400000_NS6detail17trampoline_kernelINS0_14default_configENS1_25partition_config_selectorILNS1_17partition_subalgoE6EN6thrust23THRUST_200600_302600_NS5tupleIyyNS7_9null_typeES9_S9_S9_S9_S9_S9_S9_EENS0_10empty_typeEbEEZZNS1_14partition_implILS5_6ELb0ES3_mNS7_12zip_iteratorINS8_INS7_6detail15normal_iteratorINS7_10device_ptrIyEEEESJ_S9_S9_S9_S9_S9_S9_S9_S9_EEEEPSB_SM_NS0_5tupleIJNSE_INS8_ISJ_NS7_16discard_iteratorINS7_11use_defaultEEES9_S9_S9_S9_S9_S9_S9_S9_EEEESB_EEENSN_IJSM_SM_EEESB_PlJNSF_9not_fun_tINSF_14equal_to_valueISA_EEEEEEE10hipError_tPvRmT3_T4_T5_T6_T7_T9_mT8_P12ihipStream_tbDpT10_ENKUlT_T0_E_clISt17integral_constantIbLb1EES1J_EEDaS1E_S1F_EUlS1E_E_NS1_11comp_targetILNS1_3genE9ELNS1_11target_archE1100ELNS1_3gpuE3ELNS1_3repE0EEENS1_30default_config_static_selectorELNS0_4arch9wavefront6targetE0EEEvT1_,comdat
	.protected	_ZN7rocprim17ROCPRIM_400000_NS6detail17trampoline_kernelINS0_14default_configENS1_25partition_config_selectorILNS1_17partition_subalgoE6EN6thrust23THRUST_200600_302600_NS5tupleIyyNS7_9null_typeES9_S9_S9_S9_S9_S9_S9_EENS0_10empty_typeEbEEZZNS1_14partition_implILS5_6ELb0ES3_mNS7_12zip_iteratorINS8_INS7_6detail15normal_iteratorINS7_10device_ptrIyEEEESJ_S9_S9_S9_S9_S9_S9_S9_S9_EEEEPSB_SM_NS0_5tupleIJNSE_INS8_ISJ_NS7_16discard_iteratorINS7_11use_defaultEEES9_S9_S9_S9_S9_S9_S9_S9_EEEESB_EEENSN_IJSM_SM_EEESB_PlJNSF_9not_fun_tINSF_14equal_to_valueISA_EEEEEEE10hipError_tPvRmT3_T4_T5_T6_T7_T9_mT8_P12ihipStream_tbDpT10_ENKUlT_T0_E_clISt17integral_constantIbLb1EES1J_EEDaS1E_S1F_EUlS1E_E_NS1_11comp_targetILNS1_3genE9ELNS1_11target_archE1100ELNS1_3gpuE3ELNS1_3repE0EEENS1_30default_config_static_selectorELNS0_4arch9wavefront6targetE0EEEvT1_ ; -- Begin function _ZN7rocprim17ROCPRIM_400000_NS6detail17trampoline_kernelINS0_14default_configENS1_25partition_config_selectorILNS1_17partition_subalgoE6EN6thrust23THRUST_200600_302600_NS5tupleIyyNS7_9null_typeES9_S9_S9_S9_S9_S9_S9_EENS0_10empty_typeEbEEZZNS1_14partition_implILS5_6ELb0ES3_mNS7_12zip_iteratorINS8_INS7_6detail15normal_iteratorINS7_10device_ptrIyEEEESJ_S9_S9_S9_S9_S9_S9_S9_S9_EEEEPSB_SM_NS0_5tupleIJNSE_INS8_ISJ_NS7_16discard_iteratorINS7_11use_defaultEEES9_S9_S9_S9_S9_S9_S9_S9_EEEESB_EEENSN_IJSM_SM_EEESB_PlJNSF_9not_fun_tINSF_14equal_to_valueISA_EEEEEEE10hipError_tPvRmT3_T4_T5_T6_T7_T9_mT8_P12ihipStream_tbDpT10_ENKUlT_T0_E_clISt17integral_constantIbLb1EES1J_EEDaS1E_S1F_EUlS1E_E_NS1_11comp_targetILNS1_3genE9ELNS1_11target_archE1100ELNS1_3gpuE3ELNS1_3repE0EEENS1_30default_config_static_selectorELNS0_4arch9wavefront6targetE0EEEvT1_
	.globl	_ZN7rocprim17ROCPRIM_400000_NS6detail17trampoline_kernelINS0_14default_configENS1_25partition_config_selectorILNS1_17partition_subalgoE6EN6thrust23THRUST_200600_302600_NS5tupleIyyNS7_9null_typeES9_S9_S9_S9_S9_S9_S9_EENS0_10empty_typeEbEEZZNS1_14partition_implILS5_6ELb0ES3_mNS7_12zip_iteratorINS8_INS7_6detail15normal_iteratorINS7_10device_ptrIyEEEESJ_S9_S9_S9_S9_S9_S9_S9_S9_EEEEPSB_SM_NS0_5tupleIJNSE_INS8_ISJ_NS7_16discard_iteratorINS7_11use_defaultEEES9_S9_S9_S9_S9_S9_S9_S9_EEEESB_EEENSN_IJSM_SM_EEESB_PlJNSF_9not_fun_tINSF_14equal_to_valueISA_EEEEEEE10hipError_tPvRmT3_T4_T5_T6_T7_T9_mT8_P12ihipStream_tbDpT10_ENKUlT_T0_E_clISt17integral_constantIbLb1EES1J_EEDaS1E_S1F_EUlS1E_E_NS1_11comp_targetILNS1_3genE9ELNS1_11target_archE1100ELNS1_3gpuE3ELNS1_3repE0EEENS1_30default_config_static_selectorELNS0_4arch9wavefront6targetE0EEEvT1_
	.p2align	8
	.type	_ZN7rocprim17ROCPRIM_400000_NS6detail17trampoline_kernelINS0_14default_configENS1_25partition_config_selectorILNS1_17partition_subalgoE6EN6thrust23THRUST_200600_302600_NS5tupleIyyNS7_9null_typeES9_S9_S9_S9_S9_S9_S9_EENS0_10empty_typeEbEEZZNS1_14partition_implILS5_6ELb0ES3_mNS7_12zip_iteratorINS8_INS7_6detail15normal_iteratorINS7_10device_ptrIyEEEESJ_S9_S9_S9_S9_S9_S9_S9_S9_EEEEPSB_SM_NS0_5tupleIJNSE_INS8_ISJ_NS7_16discard_iteratorINS7_11use_defaultEEES9_S9_S9_S9_S9_S9_S9_S9_EEEESB_EEENSN_IJSM_SM_EEESB_PlJNSF_9not_fun_tINSF_14equal_to_valueISA_EEEEEEE10hipError_tPvRmT3_T4_T5_T6_T7_T9_mT8_P12ihipStream_tbDpT10_ENKUlT_T0_E_clISt17integral_constantIbLb1EES1J_EEDaS1E_S1F_EUlS1E_E_NS1_11comp_targetILNS1_3genE9ELNS1_11target_archE1100ELNS1_3gpuE3ELNS1_3repE0EEENS1_30default_config_static_selectorELNS0_4arch9wavefront6targetE0EEEvT1_,@function
_ZN7rocprim17ROCPRIM_400000_NS6detail17trampoline_kernelINS0_14default_configENS1_25partition_config_selectorILNS1_17partition_subalgoE6EN6thrust23THRUST_200600_302600_NS5tupleIyyNS7_9null_typeES9_S9_S9_S9_S9_S9_S9_EENS0_10empty_typeEbEEZZNS1_14partition_implILS5_6ELb0ES3_mNS7_12zip_iteratorINS8_INS7_6detail15normal_iteratorINS7_10device_ptrIyEEEESJ_S9_S9_S9_S9_S9_S9_S9_S9_EEEEPSB_SM_NS0_5tupleIJNSE_INS8_ISJ_NS7_16discard_iteratorINS7_11use_defaultEEES9_S9_S9_S9_S9_S9_S9_S9_EEEESB_EEENSN_IJSM_SM_EEESB_PlJNSF_9not_fun_tINSF_14equal_to_valueISA_EEEEEEE10hipError_tPvRmT3_T4_T5_T6_T7_T9_mT8_P12ihipStream_tbDpT10_ENKUlT_T0_E_clISt17integral_constantIbLb1EES1J_EEDaS1E_S1F_EUlS1E_E_NS1_11comp_targetILNS1_3genE9ELNS1_11target_archE1100ELNS1_3gpuE3ELNS1_3repE0EEENS1_30default_config_static_selectorELNS0_4arch9wavefront6targetE0EEEvT1_: ; @_ZN7rocprim17ROCPRIM_400000_NS6detail17trampoline_kernelINS0_14default_configENS1_25partition_config_selectorILNS1_17partition_subalgoE6EN6thrust23THRUST_200600_302600_NS5tupleIyyNS7_9null_typeES9_S9_S9_S9_S9_S9_S9_EENS0_10empty_typeEbEEZZNS1_14partition_implILS5_6ELb0ES3_mNS7_12zip_iteratorINS8_INS7_6detail15normal_iteratorINS7_10device_ptrIyEEEESJ_S9_S9_S9_S9_S9_S9_S9_S9_EEEEPSB_SM_NS0_5tupleIJNSE_INS8_ISJ_NS7_16discard_iteratorINS7_11use_defaultEEES9_S9_S9_S9_S9_S9_S9_S9_EEEESB_EEENSN_IJSM_SM_EEESB_PlJNSF_9not_fun_tINSF_14equal_to_valueISA_EEEEEEE10hipError_tPvRmT3_T4_T5_T6_T7_T9_mT8_P12ihipStream_tbDpT10_ENKUlT_T0_E_clISt17integral_constantIbLb1EES1J_EEDaS1E_S1F_EUlS1E_E_NS1_11comp_targetILNS1_3genE9ELNS1_11target_archE1100ELNS1_3gpuE3ELNS1_3repE0EEENS1_30default_config_static_selectorELNS0_4arch9wavefront6targetE0EEEvT1_
; %bb.0:
	.section	.rodata,"a",@progbits
	.p2align	6, 0x0
	.amdhsa_kernel _ZN7rocprim17ROCPRIM_400000_NS6detail17trampoline_kernelINS0_14default_configENS1_25partition_config_selectorILNS1_17partition_subalgoE6EN6thrust23THRUST_200600_302600_NS5tupleIyyNS7_9null_typeES9_S9_S9_S9_S9_S9_S9_EENS0_10empty_typeEbEEZZNS1_14partition_implILS5_6ELb0ES3_mNS7_12zip_iteratorINS8_INS7_6detail15normal_iteratorINS7_10device_ptrIyEEEESJ_S9_S9_S9_S9_S9_S9_S9_S9_EEEEPSB_SM_NS0_5tupleIJNSE_INS8_ISJ_NS7_16discard_iteratorINS7_11use_defaultEEES9_S9_S9_S9_S9_S9_S9_S9_EEEESB_EEENSN_IJSM_SM_EEESB_PlJNSF_9not_fun_tINSF_14equal_to_valueISA_EEEEEEE10hipError_tPvRmT3_T4_T5_T6_T7_T9_mT8_P12ihipStream_tbDpT10_ENKUlT_T0_E_clISt17integral_constantIbLb1EES1J_EEDaS1E_S1F_EUlS1E_E_NS1_11comp_targetILNS1_3genE9ELNS1_11target_archE1100ELNS1_3gpuE3ELNS1_3repE0EEENS1_30default_config_static_selectorELNS0_4arch9wavefront6targetE0EEEvT1_
		.amdhsa_group_segment_fixed_size 0
		.amdhsa_private_segment_fixed_size 0
		.amdhsa_kernarg_size 160
		.amdhsa_user_sgpr_count 2
		.amdhsa_user_sgpr_dispatch_ptr 0
		.amdhsa_user_sgpr_queue_ptr 0
		.amdhsa_user_sgpr_kernarg_segment_ptr 1
		.amdhsa_user_sgpr_dispatch_id 0
		.amdhsa_user_sgpr_private_segment_size 0
		.amdhsa_wavefront_size32 1
		.amdhsa_uses_dynamic_stack 0
		.amdhsa_enable_private_segment 0
		.amdhsa_system_sgpr_workgroup_id_x 1
		.amdhsa_system_sgpr_workgroup_id_y 0
		.amdhsa_system_sgpr_workgroup_id_z 0
		.amdhsa_system_sgpr_workgroup_info 0
		.amdhsa_system_vgpr_workitem_id 0
		.amdhsa_next_free_vgpr 1
		.amdhsa_next_free_sgpr 1
		.amdhsa_reserve_vcc 0
		.amdhsa_float_round_mode_32 0
		.amdhsa_float_round_mode_16_64 0
		.amdhsa_float_denorm_mode_32 3
		.amdhsa_float_denorm_mode_16_64 3
		.amdhsa_fp16_overflow 0
		.amdhsa_workgroup_processor_mode 1
		.amdhsa_memory_ordered 1
		.amdhsa_forward_progress 1
		.amdhsa_inst_pref_size 0
		.amdhsa_round_robin_scheduling 0
		.amdhsa_exception_fp_ieee_invalid_op 0
		.amdhsa_exception_fp_denorm_src 0
		.amdhsa_exception_fp_ieee_div_zero 0
		.amdhsa_exception_fp_ieee_overflow 0
		.amdhsa_exception_fp_ieee_underflow 0
		.amdhsa_exception_fp_ieee_inexact 0
		.amdhsa_exception_int_div_zero 0
	.end_amdhsa_kernel
	.section	.text._ZN7rocprim17ROCPRIM_400000_NS6detail17trampoline_kernelINS0_14default_configENS1_25partition_config_selectorILNS1_17partition_subalgoE6EN6thrust23THRUST_200600_302600_NS5tupleIyyNS7_9null_typeES9_S9_S9_S9_S9_S9_S9_EENS0_10empty_typeEbEEZZNS1_14partition_implILS5_6ELb0ES3_mNS7_12zip_iteratorINS8_INS7_6detail15normal_iteratorINS7_10device_ptrIyEEEESJ_S9_S9_S9_S9_S9_S9_S9_S9_EEEEPSB_SM_NS0_5tupleIJNSE_INS8_ISJ_NS7_16discard_iteratorINS7_11use_defaultEEES9_S9_S9_S9_S9_S9_S9_S9_EEEESB_EEENSN_IJSM_SM_EEESB_PlJNSF_9not_fun_tINSF_14equal_to_valueISA_EEEEEEE10hipError_tPvRmT3_T4_T5_T6_T7_T9_mT8_P12ihipStream_tbDpT10_ENKUlT_T0_E_clISt17integral_constantIbLb1EES1J_EEDaS1E_S1F_EUlS1E_E_NS1_11comp_targetILNS1_3genE9ELNS1_11target_archE1100ELNS1_3gpuE3ELNS1_3repE0EEENS1_30default_config_static_selectorELNS0_4arch9wavefront6targetE0EEEvT1_,"axG",@progbits,_ZN7rocprim17ROCPRIM_400000_NS6detail17trampoline_kernelINS0_14default_configENS1_25partition_config_selectorILNS1_17partition_subalgoE6EN6thrust23THRUST_200600_302600_NS5tupleIyyNS7_9null_typeES9_S9_S9_S9_S9_S9_S9_EENS0_10empty_typeEbEEZZNS1_14partition_implILS5_6ELb0ES3_mNS7_12zip_iteratorINS8_INS7_6detail15normal_iteratorINS7_10device_ptrIyEEEESJ_S9_S9_S9_S9_S9_S9_S9_S9_EEEEPSB_SM_NS0_5tupleIJNSE_INS8_ISJ_NS7_16discard_iteratorINS7_11use_defaultEEES9_S9_S9_S9_S9_S9_S9_S9_EEEESB_EEENSN_IJSM_SM_EEESB_PlJNSF_9not_fun_tINSF_14equal_to_valueISA_EEEEEEE10hipError_tPvRmT3_T4_T5_T6_T7_T9_mT8_P12ihipStream_tbDpT10_ENKUlT_T0_E_clISt17integral_constantIbLb1EES1J_EEDaS1E_S1F_EUlS1E_E_NS1_11comp_targetILNS1_3genE9ELNS1_11target_archE1100ELNS1_3gpuE3ELNS1_3repE0EEENS1_30default_config_static_selectorELNS0_4arch9wavefront6targetE0EEEvT1_,comdat
.Lfunc_end1899:
	.size	_ZN7rocprim17ROCPRIM_400000_NS6detail17trampoline_kernelINS0_14default_configENS1_25partition_config_selectorILNS1_17partition_subalgoE6EN6thrust23THRUST_200600_302600_NS5tupleIyyNS7_9null_typeES9_S9_S9_S9_S9_S9_S9_EENS0_10empty_typeEbEEZZNS1_14partition_implILS5_6ELb0ES3_mNS7_12zip_iteratorINS8_INS7_6detail15normal_iteratorINS7_10device_ptrIyEEEESJ_S9_S9_S9_S9_S9_S9_S9_S9_EEEEPSB_SM_NS0_5tupleIJNSE_INS8_ISJ_NS7_16discard_iteratorINS7_11use_defaultEEES9_S9_S9_S9_S9_S9_S9_S9_EEEESB_EEENSN_IJSM_SM_EEESB_PlJNSF_9not_fun_tINSF_14equal_to_valueISA_EEEEEEE10hipError_tPvRmT3_T4_T5_T6_T7_T9_mT8_P12ihipStream_tbDpT10_ENKUlT_T0_E_clISt17integral_constantIbLb1EES1J_EEDaS1E_S1F_EUlS1E_E_NS1_11comp_targetILNS1_3genE9ELNS1_11target_archE1100ELNS1_3gpuE3ELNS1_3repE0EEENS1_30default_config_static_selectorELNS0_4arch9wavefront6targetE0EEEvT1_, .Lfunc_end1899-_ZN7rocprim17ROCPRIM_400000_NS6detail17trampoline_kernelINS0_14default_configENS1_25partition_config_selectorILNS1_17partition_subalgoE6EN6thrust23THRUST_200600_302600_NS5tupleIyyNS7_9null_typeES9_S9_S9_S9_S9_S9_S9_EENS0_10empty_typeEbEEZZNS1_14partition_implILS5_6ELb0ES3_mNS7_12zip_iteratorINS8_INS7_6detail15normal_iteratorINS7_10device_ptrIyEEEESJ_S9_S9_S9_S9_S9_S9_S9_S9_EEEEPSB_SM_NS0_5tupleIJNSE_INS8_ISJ_NS7_16discard_iteratorINS7_11use_defaultEEES9_S9_S9_S9_S9_S9_S9_S9_EEEESB_EEENSN_IJSM_SM_EEESB_PlJNSF_9not_fun_tINSF_14equal_to_valueISA_EEEEEEE10hipError_tPvRmT3_T4_T5_T6_T7_T9_mT8_P12ihipStream_tbDpT10_ENKUlT_T0_E_clISt17integral_constantIbLb1EES1J_EEDaS1E_S1F_EUlS1E_E_NS1_11comp_targetILNS1_3genE9ELNS1_11target_archE1100ELNS1_3gpuE3ELNS1_3repE0EEENS1_30default_config_static_selectorELNS0_4arch9wavefront6targetE0EEEvT1_
                                        ; -- End function
	.set _ZN7rocprim17ROCPRIM_400000_NS6detail17trampoline_kernelINS0_14default_configENS1_25partition_config_selectorILNS1_17partition_subalgoE6EN6thrust23THRUST_200600_302600_NS5tupleIyyNS7_9null_typeES9_S9_S9_S9_S9_S9_S9_EENS0_10empty_typeEbEEZZNS1_14partition_implILS5_6ELb0ES3_mNS7_12zip_iteratorINS8_INS7_6detail15normal_iteratorINS7_10device_ptrIyEEEESJ_S9_S9_S9_S9_S9_S9_S9_S9_EEEEPSB_SM_NS0_5tupleIJNSE_INS8_ISJ_NS7_16discard_iteratorINS7_11use_defaultEEES9_S9_S9_S9_S9_S9_S9_S9_EEEESB_EEENSN_IJSM_SM_EEESB_PlJNSF_9not_fun_tINSF_14equal_to_valueISA_EEEEEEE10hipError_tPvRmT3_T4_T5_T6_T7_T9_mT8_P12ihipStream_tbDpT10_ENKUlT_T0_E_clISt17integral_constantIbLb1EES1J_EEDaS1E_S1F_EUlS1E_E_NS1_11comp_targetILNS1_3genE9ELNS1_11target_archE1100ELNS1_3gpuE3ELNS1_3repE0EEENS1_30default_config_static_selectorELNS0_4arch9wavefront6targetE0EEEvT1_.num_vgpr, 0
	.set _ZN7rocprim17ROCPRIM_400000_NS6detail17trampoline_kernelINS0_14default_configENS1_25partition_config_selectorILNS1_17partition_subalgoE6EN6thrust23THRUST_200600_302600_NS5tupleIyyNS7_9null_typeES9_S9_S9_S9_S9_S9_S9_EENS0_10empty_typeEbEEZZNS1_14partition_implILS5_6ELb0ES3_mNS7_12zip_iteratorINS8_INS7_6detail15normal_iteratorINS7_10device_ptrIyEEEESJ_S9_S9_S9_S9_S9_S9_S9_S9_EEEEPSB_SM_NS0_5tupleIJNSE_INS8_ISJ_NS7_16discard_iteratorINS7_11use_defaultEEES9_S9_S9_S9_S9_S9_S9_S9_EEEESB_EEENSN_IJSM_SM_EEESB_PlJNSF_9not_fun_tINSF_14equal_to_valueISA_EEEEEEE10hipError_tPvRmT3_T4_T5_T6_T7_T9_mT8_P12ihipStream_tbDpT10_ENKUlT_T0_E_clISt17integral_constantIbLb1EES1J_EEDaS1E_S1F_EUlS1E_E_NS1_11comp_targetILNS1_3genE9ELNS1_11target_archE1100ELNS1_3gpuE3ELNS1_3repE0EEENS1_30default_config_static_selectorELNS0_4arch9wavefront6targetE0EEEvT1_.num_agpr, 0
	.set _ZN7rocprim17ROCPRIM_400000_NS6detail17trampoline_kernelINS0_14default_configENS1_25partition_config_selectorILNS1_17partition_subalgoE6EN6thrust23THRUST_200600_302600_NS5tupleIyyNS7_9null_typeES9_S9_S9_S9_S9_S9_S9_EENS0_10empty_typeEbEEZZNS1_14partition_implILS5_6ELb0ES3_mNS7_12zip_iteratorINS8_INS7_6detail15normal_iteratorINS7_10device_ptrIyEEEESJ_S9_S9_S9_S9_S9_S9_S9_S9_EEEEPSB_SM_NS0_5tupleIJNSE_INS8_ISJ_NS7_16discard_iteratorINS7_11use_defaultEEES9_S9_S9_S9_S9_S9_S9_S9_EEEESB_EEENSN_IJSM_SM_EEESB_PlJNSF_9not_fun_tINSF_14equal_to_valueISA_EEEEEEE10hipError_tPvRmT3_T4_T5_T6_T7_T9_mT8_P12ihipStream_tbDpT10_ENKUlT_T0_E_clISt17integral_constantIbLb1EES1J_EEDaS1E_S1F_EUlS1E_E_NS1_11comp_targetILNS1_3genE9ELNS1_11target_archE1100ELNS1_3gpuE3ELNS1_3repE0EEENS1_30default_config_static_selectorELNS0_4arch9wavefront6targetE0EEEvT1_.numbered_sgpr, 0
	.set _ZN7rocprim17ROCPRIM_400000_NS6detail17trampoline_kernelINS0_14default_configENS1_25partition_config_selectorILNS1_17partition_subalgoE6EN6thrust23THRUST_200600_302600_NS5tupleIyyNS7_9null_typeES9_S9_S9_S9_S9_S9_S9_EENS0_10empty_typeEbEEZZNS1_14partition_implILS5_6ELb0ES3_mNS7_12zip_iteratorINS8_INS7_6detail15normal_iteratorINS7_10device_ptrIyEEEESJ_S9_S9_S9_S9_S9_S9_S9_S9_EEEEPSB_SM_NS0_5tupleIJNSE_INS8_ISJ_NS7_16discard_iteratorINS7_11use_defaultEEES9_S9_S9_S9_S9_S9_S9_S9_EEEESB_EEENSN_IJSM_SM_EEESB_PlJNSF_9not_fun_tINSF_14equal_to_valueISA_EEEEEEE10hipError_tPvRmT3_T4_T5_T6_T7_T9_mT8_P12ihipStream_tbDpT10_ENKUlT_T0_E_clISt17integral_constantIbLb1EES1J_EEDaS1E_S1F_EUlS1E_E_NS1_11comp_targetILNS1_3genE9ELNS1_11target_archE1100ELNS1_3gpuE3ELNS1_3repE0EEENS1_30default_config_static_selectorELNS0_4arch9wavefront6targetE0EEEvT1_.num_named_barrier, 0
	.set _ZN7rocprim17ROCPRIM_400000_NS6detail17trampoline_kernelINS0_14default_configENS1_25partition_config_selectorILNS1_17partition_subalgoE6EN6thrust23THRUST_200600_302600_NS5tupleIyyNS7_9null_typeES9_S9_S9_S9_S9_S9_S9_EENS0_10empty_typeEbEEZZNS1_14partition_implILS5_6ELb0ES3_mNS7_12zip_iteratorINS8_INS7_6detail15normal_iteratorINS7_10device_ptrIyEEEESJ_S9_S9_S9_S9_S9_S9_S9_S9_EEEEPSB_SM_NS0_5tupleIJNSE_INS8_ISJ_NS7_16discard_iteratorINS7_11use_defaultEEES9_S9_S9_S9_S9_S9_S9_S9_EEEESB_EEENSN_IJSM_SM_EEESB_PlJNSF_9not_fun_tINSF_14equal_to_valueISA_EEEEEEE10hipError_tPvRmT3_T4_T5_T6_T7_T9_mT8_P12ihipStream_tbDpT10_ENKUlT_T0_E_clISt17integral_constantIbLb1EES1J_EEDaS1E_S1F_EUlS1E_E_NS1_11comp_targetILNS1_3genE9ELNS1_11target_archE1100ELNS1_3gpuE3ELNS1_3repE0EEENS1_30default_config_static_selectorELNS0_4arch9wavefront6targetE0EEEvT1_.private_seg_size, 0
	.set _ZN7rocprim17ROCPRIM_400000_NS6detail17trampoline_kernelINS0_14default_configENS1_25partition_config_selectorILNS1_17partition_subalgoE6EN6thrust23THRUST_200600_302600_NS5tupleIyyNS7_9null_typeES9_S9_S9_S9_S9_S9_S9_EENS0_10empty_typeEbEEZZNS1_14partition_implILS5_6ELb0ES3_mNS7_12zip_iteratorINS8_INS7_6detail15normal_iteratorINS7_10device_ptrIyEEEESJ_S9_S9_S9_S9_S9_S9_S9_S9_EEEEPSB_SM_NS0_5tupleIJNSE_INS8_ISJ_NS7_16discard_iteratorINS7_11use_defaultEEES9_S9_S9_S9_S9_S9_S9_S9_EEEESB_EEENSN_IJSM_SM_EEESB_PlJNSF_9not_fun_tINSF_14equal_to_valueISA_EEEEEEE10hipError_tPvRmT3_T4_T5_T6_T7_T9_mT8_P12ihipStream_tbDpT10_ENKUlT_T0_E_clISt17integral_constantIbLb1EES1J_EEDaS1E_S1F_EUlS1E_E_NS1_11comp_targetILNS1_3genE9ELNS1_11target_archE1100ELNS1_3gpuE3ELNS1_3repE0EEENS1_30default_config_static_selectorELNS0_4arch9wavefront6targetE0EEEvT1_.uses_vcc, 0
	.set _ZN7rocprim17ROCPRIM_400000_NS6detail17trampoline_kernelINS0_14default_configENS1_25partition_config_selectorILNS1_17partition_subalgoE6EN6thrust23THRUST_200600_302600_NS5tupleIyyNS7_9null_typeES9_S9_S9_S9_S9_S9_S9_EENS0_10empty_typeEbEEZZNS1_14partition_implILS5_6ELb0ES3_mNS7_12zip_iteratorINS8_INS7_6detail15normal_iteratorINS7_10device_ptrIyEEEESJ_S9_S9_S9_S9_S9_S9_S9_S9_EEEEPSB_SM_NS0_5tupleIJNSE_INS8_ISJ_NS7_16discard_iteratorINS7_11use_defaultEEES9_S9_S9_S9_S9_S9_S9_S9_EEEESB_EEENSN_IJSM_SM_EEESB_PlJNSF_9not_fun_tINSF_14equal_to_valueISA_EEEEEEE10hipError_tPvRmT3_T4_T5_T6_T7_T9_mT8_P12ihipStream_tbDpT10_ENKUlT_T0_E_clISt17integral_constantIbLb1EES1J_EEDaS1E_S1F_EUlS1E_E_NS1_11comp_targetILNS1_3genE9ELNS1_11target_archE1100ELNS1_3gpuE3ELNS1_3repE0EEENS1_30default_config_static_selectorELNS0_4arch9wavefront6targetE0EEEvT1_.uses_flat_scratch, 0
	.set _ZN7rocprim17ROCPRIM_400000_NS6detail17trampoline_kernelINS0_14default_configENS1_25partition_config_selectorILNS1_17partition_subalgoE6EN6thrust23THRUST_200600_302600_NS5tupleIyyNS7_9null_typeES9_S9_S9_S9_S9_S9_S9_EENS0_10empty_typeEbEEZZNS1_14partition_implILS5_6ELb0ES3_mNS7_12zip_iteratorINS8_INS7_6detail15normal_iteratorINS7_10device_ptrIyEEEESJ_S9_S9_S9_S9_S9_S9_S9_S9_EEEEPSB_SM_NS0_5tupleIJNSE_INS8_ISJ_NS7_16discard_iteratorINS7_11use_defaultEEES9_S9_S9_S9_S9_S9_S9_S9_EEEESB_EEENSN_IJSM_SM_EEESB_PlJNSF_9not_fun_tINSF_14equal_to_valueISA_EEEEEEE10hipError_tPvRmT3_T4_T5_T6_T7_T9_mT8_P12ihipStream_tbDpT10_ENKUlT_T0_E_clISt17integral_constantIbLb1EES1J_EEDaS1E_S1F_EUlS1E_E_NS1_11comp_targetILNS1_3genE9ELNS1_11target_archE1100ELNS1_3gpuE3ELNS1_3repE0EEENS1_30default_config_static_selectorELNS0_4arch9wavefront6targetE0EEEvT1_.has_dyn_sized_stack, 0
	.set _ZN7rocprim17ROCPRIM_400000_NS6detail17trampoline_kernelINS0_14default_configENS1_25partition_config_selectorILNS1_17partition_subalgoE6EN6thrust23THRUST_200600_302600_NS5tupleIyyNS7_9null_typeES9_S9_S9_S9_S9_S9_S9_EENS0_10empty_typeEbEEZZNS1_14partition_implILS5_6ELb0ES3_mNS7_12zip_iteratorINS8_INS7_6detail15normal_iteratorINS7_10device_ptrIyEEEESJ_S9_S9_S9_S9_S9_S9_S9_S9_EEEEPSB_SM_NS0_5tupleIJNSE_INS8_ISJ_NS7_16discard_iteratorINS7_11use_defaultEEES9_S9_S9_S9_S9_S9_S9_S9_EEEESB_EEENSN_IJSM_SM_EEESB_PlJNSF_9not_fun_tINSF_14equal_to_valueISA_EEEEEEE10hipError_tPvRmT3_T4_T5_T6_T7_T9_mT8_P12ihipStream_tbDpT10_ENKUlT_T0_E_clISt17integral_constantIbLb1EES1J_EEDaS1E_S1F_EUlS1E_E_NS1_11comp_targetILNS1_3genE9ELNS1_11target_archE1100ELNS1_3gpuE3ELNS1_3repE0EEENS1_30default_config_static_selectorELNS0_4arch9wavefront6targetE0EEEvT1_.has_recursion, 0
	.set _ZN7rocprim17ROCPRIM_400000_NS6detail17trampoline_kernelINS0_14default_configENS1_25partition_config_selectorILNS1_17partition_subalgoE6EN6thrust23THRUST_200600_302600_NS5tupleIyyNS7_9null_typeES9_S9_S9_S9_S9_S9_S9_EENS0_10empty_typeEbEEZZNS1_14partition_implILS5_6ELb0ES3_mNS7_12zip_iteratorINS8_INS7_6detail15normal_iteratorINS7_10device_ptrIyEEEESJ_S9_S9_S9_S9_S9_S9_S9_S9_EEEEPSB_SM_NS0_5tupleIJNSE_INS8_ISJ_NS7_16discard_iteratorINS7_11use_defaultEEES9_S9_S9_S9_S9_S9_S9_S9_EEEESB_EEENSN_IJSM_SM_EEESB_PlJNSF_9not_fun_tINSF_14equal_to_valueISA_EEEEEEE10hipError_tPvRmT3_T4_T5_T6_T7_T9_mT8_P12ihipStream_tbDpT10_ENKUlT_T0_E_clISt17integral_constantIbLb1EES1J_EEDaS1E_S1F_EUlS1E_E_NS1_11comp_targetILNS1_3genE9ELNS1_11target_archE1100ELNS1_3gpuE3ELNS1_3repE0EEENS1_30default_config_static_selectorELNS0_4arch9wavefront6targetE0EEEvT1_.has_indirect_call, 0
	.section	.AMDGPU.csdata,"",@progbits
; Kernel info:
; codeLenInByte = 0
; TotalNumSgprs: 0
; NumVgprs: 0
; ScratchSize: 0
; MemoryBound: 0
; FloatMode: 240
; IeeeMode: 1
; LDSByteSize: 0 bytes/workgroup (compile time only)
; SGPRBlocks: 0
; VGPRBlocks: 0
; NumSGPRsForWavesPerEU: 1
; NumVGPRsForWavesPerEU: 1
; Occupancy: 16
; WaveLimiterHint : 0
; COMPUTE_PGM_RSRC2:SCRATCH_EN: 0
; COMPUTE_PGM_RSRC2:USER_SGPR: 2
; COMPUTE_PGM_RSRC2:TRAP_HANDLER: 0
; COMPUTE_PGM_RSRC2:TGID_X_EN: 1
; COMPUTE_PGM_RSRC2:TGID_Y_EN: 0
; COMPUTE_PGM_RSRC2:TGID_Z_EN: 0
; COMPUTE_PGM_RSRC2:TIDIG_COMP_CNT: 0
	.section	.text._ZN7rocprim17ROCPRIM_400000_NS6detail17trampoline_kernelINS0_14default_configENS1_25partition_config_selectorILNS1_17partition_subalgoE6EN6thrust23THRUST_200600_302600_NS5tupleIyyNS7_9null_typeES9_S9_S9_S9_S9_S9_S9_EENS0_10empty_typeEbEEZZNS1_14partition_implILS5_6ELb0ES3_mNS7_12zip_iteratorINS8_INS7_6detail15normal_iteratorINS7_10device_ptrIyEEEESJ_S9_S9_S9_S9_S9_S9_S9_S9_EEEEPSB_SM_NS0_5tupleIJNSE_INS8_ISJ_NS7_16discard_iteratorINS7_11use_defaultEEES9_S9_S9_S9_S9_S9_S9_S9_EEEESB_EEENSN_IJSM_SM_EEESB_PlJNSF_9not_fun_tINSF_14equal_to_valueISA_EEEEEEE10hipError_tPvRmT3_T4_T5_T6_T7_T9_mT8_P12ihipStream_tbDpT10_ENKUlT_T0_E_clISt17integral_constantIbLb1EES1J_EEDaS1E_S1F_EUlS1E_E_NS1_11comp_targetILNS1_3genE8ELNS1_11target_archE1030ELNS1_3gpuE2ELNS1_3repE0EEENS1_30default_config_static_selectorELNS0_4arch9wavefront6targetE0EEEvT1_,"axG",@progbits,_ZN7rocprim17ROCPRIM_400000_NS6detail17trampoline_kernelINS0_14default_configENS1_25partition_config_selectorILNS1_17partition_subalgoE6EN6thrust23THRUST_200600_302600_NS5tupleIyyNS7_9null_typeES9_S9_S9_S9_S9_S9_S9_EENS0_10empty_typeEbEEZZNS1_14partition_implILS5_6ELb0ES3_mNS7_12zip_iteratorINS8_INS7_6detail15normal_iteratorINS7_10device_ptrIyEEEESJ_S9_S9_S9_S9_S9_S9_S9_S9_EEEEPSB_SM_NS0_5tupleIJNSE_INS8_ISJ_NS7_16discard_iteratorINS7_11use_defaultEEES9_S9_S9_S9_S9_S9_S9_S9_EEEESB_EEENSN_IJSM_SM_EEESB_PlJNSF_9not_fun_tINSF_14equal_to_valueISA_EEEEEEE10hipError_tPvRmT3_T4_T5_T6_T7_T9_mT8_P12ihipStream_tbDpT10_ENKUlT_T0_E_clISt17integral_constantIbLb1EES1J_EEDaS1E_S1F_EUlS1E_E_NS1_11comp_targetILNS1_3genE8ELNS1_11target_archE1030ELNS1_3gpuE2ELNS1_3repE0EEENS1_30default_config_static_selectorELNS0_4arch9wavefront6targetE0EEEvT1_,comdat
	.protected	_ZN7rocprim17ROCPRIM_400000_NS6detail17trampoline_kernelINS0_14default_configENS1_25partition_config_selectorILNS1_17partition_subalgoE6EN6thrust23THRUST_200600_302600_NS5tupleIyyNS7_9null_typeES9_S9_S9_S9_S9_S9_S9_EENS0_10empty_typeEbEEZZNS1_14partition_implILS5_6ELb0ES3_mNS7_12zip_iteratorINS8_INS7_6detail15normal_iteratorINS7_10device_ptrIyEEEESJ_S9_S9_S9_S9_S9_S9_S9_S9_EEEEPSB_SM_NS0_5tupleIJNSE_INS8_ISJ_NS7_16discard_iteratorINS7_11use_defaultEEES9_S9_S9_S9_S9_S9_S9_S9_EEEESB_EEENSN_IJSM_SM_EEESB_PlJNSF_9not_fun_tINSF_14equal_to_valueISA_EEEEEEE10hipError_tPvRmT3_T4_T5_T6_T7_T9_mT8_P12ihipStream_tbDpT10_ENKUlT_T0_E_clISt17integral_constantIbLb1EES1J_EEDaS1E_S1F_EUlS1E_E_NS1_11comp_targetILNS1_3genE8ELNS1_11target_archE1030ELNS1_3gpuE2ELNS1_3repE0EEENS1_30default_config_static_selectorELNS0_4arch9wavefront6targetE0EEEvT1_ ; -- Begin function _ZN7rocprim17ROCPRIM_400000_NS6detail17trampoline_kernelINS0_14default_configENS1_25partition_config_selectorILNS1_17partition_subalgoE6EN6thrust23THRUST_200600_302600_NS5tupleIyyNS7_9null_typeES9_S9_S9_S9_S9_S9_S9_EENS0_10empty_typeEbEEZZNS1_14partition_implILS5_6ELb0ES3_mNS7_12zip_iteratorINS8_INS7_6detail15normal_iteratorINS7_10device_ptrIyEEEESJ_S9_S9_S9_S9_S9_S9_S9_S9_EEEEPSB_SM_NS0_5tupleIJNSE_INS8_ISJ_NS7_16discard_iteratorINS7_11use_defaultEEES9_S9_S9_S9_S9_S9_S9_S9_EEEESB_EEENSN_IJSM_SM_EEESB_PlJNSF_9not_fun_tINSF_14equal_to_valueISA_EEEEEEE10hipError_tPvRmT3_T4_T5_T6_T7_T9_mT8_P12ihipStream_tbDpT10_ENKUlT_T0_E_clISt17integral_constantIbLb1EES1J_EEDaS1E_S1F_EUlS1E_E_NS1_11comp_targetILNS1_3genE8ELNS1_11target_archE1030ELNS1_3gpuE2ELNS1_3repE0EEENS1_30default_config_static_selectorELNS0_4arch9wavefront6targetE0EEEvT1_
	.globl	_ZN7rocprim17ROCPRIM_400000_NS6detail17trampoline_kernelINS0_14default_configENS1_25partition_config_selectorILNS1_17partition_subalgoE6EN6thrust23THRUST_200600_302600_NS5tupleIyyNS7_9null_typeES9_S9_S9_S9_S9_S9_S9_EENS0_10empty_typeEbEEZZNS1_14partition_implILS5_6ELb0ES3_mNS7_12zip_iteratorINS8_INS7_6detail15normal_iteratorINS7_10device_ptrIyEEEESJ_S9_S9_S9_S9_S9_S9_S9_S9_EEEEPSB_SM_NS0_5tupleIJNSE_INS8_ISJ_NS7_16discard_iteratorINS7_11use_defaultEEES9_S9_S9_S9_S9_S9_S9_S9_EEEESB_EEENSN_IJSM_SM_EEESB_PlJNSF_9not_fun_tINSF_14equal_to_valueISA_EEEEEEE10hipError_tPvRmT3_T4_T5_T6_T7_T9_mT8_P12ihipStream_tbDpT10_ENKUlT_T0_E_clISt17integral_constantIbLb1EES1J_EEDaS1E_S1F_EUlS1E_E_NS1_11comp_targetILNS1_3genE8ELNS1_11target_archE1030ELNS1_3gpuE2ELNS1_3repE0EEENS1_30default_config_static_selectorELNS0_4arch9wavefront6targetE0EEEvT1_
	.p2align	8
	.type	_ZN7rocprim17ROCPRIM_400000_NS6detail17trampoline_kernelINS0_14default_configENS1_25partition_config_selectorILNS1_17partition_subalgoE6EN6thrust23THRUST_200600_302600_NS5tupleIyyNS7_9null_typeES9_S9_S9_S9_S9_S9_S9_EENS0_10empty_typeEbEEZZNS1_14partition_implILS5_6ELb0ES3_mNS7_12zip_iteratorINS8_INS7_6detail15normal_iteratorINS7_10device_ptrIyEEEESJ_S9_S9_S9_S9_S9_S9_S9_S9_EEEEPSB_SM_NS0_5tupleIJNSE_INS8_ISJ_NS7_16discard_iteratorINS7_11use_defaultEEES9_S9_S9_S9_S9_S9_S9_S9_EEEESB_EEENSN_IJSM_SM_EEESB_PlJNSF_9not_fun_tINSF_14equal_to_valueISA_EEEEEEE10hipError_tPvRmT3_T4_T5_T6_T7_T9_mT8_P12ihipStream_tbDpT10_ENKUlT_T0_E_clISt17integral_constantIbLb1EES1J_EEDaS1E_S1F_EUlS1E_E_NS1_11comp_targetILNS1_3genE8ELNS1_11target_archE1030ELNS1_3gpuE2ELNS1_3repE0EEENS1_30default_config_static_selectorELNS0_4arch9wavefront6targetE0EEEvT1_,@function
_ZN7rocprim17ROCPRIM_400000_NS6detail17trampoline_kernelINS0_14default_configENS1_25partition_config_selectorILNS1_17partition_subalgoE6EN6thrust23THRUST_200600_302600_NS5tupleIyyNS7_9null_typeES9_S9_S9_S9_S9_S9_S9_EENS0_10empty_typeEbEEZZNS1_14partition_implILS5_6ELb0ES3_mNS7_12zip_iteratorINS8_INS7_6detail15normal_iteratorINS7_10device_ptrIyEEEESJ_S9_S9_S9_S9_S9_S9_S9_S9_EEEEPSB_SM_NS0_5tupleIJNSE_INS8_ISJ_NS7_16discard_iteratorINS7_11use_defaultEEES9_S9_S9_S9_S9_S9_S9_S9_EEEESB_EEENSN_IJSM_SM_EEESB_PlJNSF_9not_fun_tINSF_14equal_to_valueISA_EEEEEEE10hipError_tPvRmT3_T4_T5_T6_T7_T9_mT8_P12ihipStream_tbDpT10_ENKUlT_T0_E_clISt17integral_constantIbLb1EES1J_EEDaS1E_S1F_EUlS1E_E_NS1_11comp_targetILNS1_3genE8ELNS1_11target_archE1030ELNS1_3gpuE2ELNS1_3repE0EEENS1_30default_config_static_selectorELNS0_4arch9wavefront6targetE0EEEvT1_: ; @_ZN7rocprim17ROCPRIM_400000_NS6detail17trampoline_kernelINS0_14default_configENS1_25partition_config_selectorILNS1_17partition_subalgoE6EN6thrust23THRUST_200600_302600_NS5tupleIyyNS7_9null_typeES9_S9_S9_S9_S9_S9_S9_EENS0_10empty_typeEbEEZZNS1_14partition_implILS5_6ELb0ES3_mNS7_12zip_iteratorINS8_INS7_6detail15normal_iteratorINS7_10device_ptrIyEEEESJ_S9_S9_S9_S9_S9_S9_S9_S9_EEEEPSB_SM_NS0_5tupleIJNSE_INS8_ISJ_NS7_16discard_iteratorINS7_11use_defaultEEES9_S9_S9_S9_S9_S9_S9_S9_EEEESB_EEENSN_IJSM_SM_EEESB_PlJNSF_9not_fun_tINSF_14equal_to_valueISA_EEEEEEE10hipError_tPvRmT3_T4_T5_T6_T7_T9_mT8_P12ihipStream_tbDpT10_ENKUlT_T0_E_clISt17integral_constantIbLb1EES1J_EEDaS1E_S1F_EUlS1E_E_NS1_11comp_targetILNS1_3genE8ELNS1_11target_archE1030ELNS1_3gpuE2ELNS1_3repE0EEENS1_30default_config_static_selectorELNS0_4arch9wavefront6targetE0EEEvT1_
; %bb.0:
	.section	.rodata,"a",@progbits
	.p2align	6, 0x0
	.amdhsa_kernel _ZN7rocprim17ROCPRIM_400000_NS6detail17trampoline_kernelINS0_14default_configENS1_25partition_config_selectorILNS1_17partition_subalgoE6EN6thrust23THRUST_200600_302600_NS5tupleIyyNS7_9null_typeES9_S9_S9_S9_S9_S9_S9_EENS0_10empty_typeEbEEZZNS1_14partition_implILS5_6ELb0ES3_mNS7_12zip_iteratorINS8_INS7_6detail15normal_iteratorINS7_10device_ptrIyEEEESJ_S9_S9_S9_S9_S9_S9_S9_S9_EEEEPSB_SM_NS0_5tupleIJNSE_INS8_ISJ_NS7_16discard_iteratorINS7_11use_defaultEEES9_S9_S9_S9_S9_S9_S9_S9_EEEESB_EEENSN_IJSM_SM_EEESB_PlJNSF_9not_fun_tINSF_14equal_to_valueISA_EEEEEEE10hipError_tPvRmT3_T4_T5_T6_T7_T9_mT8_P12ihipStream_tbDpT10_ENKUlT_T0_E_clISt17integral_constantIbLb1EES1J_EEDaS1E_S1F_EUlS1E_E_NS1_11comp_targetILNS1_3genE8ELNS1_11target_archE1030ELNS1_3gpuE2ELNS1_3repE0EEENS1_30default_config_static_selectorELNS0_4arch9wavefront6targetE0EEEvT1_
		.amdhsa_group_segment_fixed_size 0
		.amdhsa_private_segment_fixed_size 0
		.amdhsa_kernarg_size 160
		.amdhsa_user_sgpr_count 2
		.amdhsa_user_sgpr_dispatch_ptr 0
		.amdhsa_user_sgpr_queue_ptr 0
		.amdhsa_user_sgpr_kernarg_segment_ptr 1
		.amdhsa_user_sgpr_dispatch_id 0
		.amdhsa_user_sgpr_private_segment_size 0
		.amdhsa_wavefront_size32 1
		.amdhsa_uses_dynamic_stack 0
		.amdhsa_enable_private_segment 0
		.amdhsa_system_sgpr_workgroup_id_x 1
		.amdhsa_system_sgpr_workgroup_id_y 0
		.amdhsa_system_sgpr_workgroup_id_z 0
		.amdhsa_system_sgpr_workgroup_info 0
		.amdhsa_system_vgpr_workitem_id 0
		.amdhsa_next_free_vgpr 1
		.amdhsa_next_free_sgpr 1
		.amdhsa_reserve_vcc 0
		.amdhsa_float_round_mode_32 0
		.amdhsa_float_round_mode_16_64 0
		.amdhsa_float_denorm_mode_32 3
		.amdhsa_float_denorm_mode_16_64 3
		.amdhsa_fp16_overflow 0
		.amdhsa_workgroup_processor_mode 1
		.amdhsa_memory_ordered 1
		.amdhsa_forward_progress 1
		.amdhsa_inst_pref_size 0
		.amdhsa_round_robin_scheduling 0
		.amdhsa_exception_fp_ieee_invalid_op 0
		.amdhsa_exception_fp_denorm_src 0
		.amdhsa_exception_fp_ieee_div_zero 0
		.amdhsa_exception_fp_ieee_overflow 0
		.amdhsa_exception_fp_ieee_underflow 0
		.amdhsa_exception_fp_ieee_inexact 0
		.amdhsa_exception_int_div_zero 0
	.end_amdhsa_kernel
	.section	.text._ZN7rocprim17ROCPRIM_400000_NS6detail17trampoline_kernelINS0_14default_configENS1_25partition_config_selectorILNS1_17partition_subalgoE6EN6thrust23THRUST_200600_302600_NS5tupleIyyNS7_9null_typeES9_S9_S9_S9_S9_S9_S9_EENS0_10empty_typeEbEEZZNS1_14partition_implILS5_6ELb0ES3_mNS7_12zip_iteratorINS8_INS7_6detail15normal_iteratorINS7_10device_ptrIyEEEESJ_S9_S9_S9_S9_S9_S9_S9_S9_EEEEPSB_SM_NS0_5tupleIJNSE_INS8_ISJ_NS7_16discard_iteratorINS7_11use_defaultEEES9_S9_S9_S9_S9_S9_S9_S9_EEEESB_EEENSN_IJSM_SM_EEESB_PlJNSF_9not_fun_tINSF_14equal_to_valueISA_EEEEEEE10hipError_tPvRmT3_T4_T5_T6_T7_T9_mT8_P12ihipStream_tbDpT10_ENKUlT_T0_E_clISt17integral_constantIbLb1EES1J_EEDaS1E_S1F_EUlS1E_E_NS1_11comp_targetILNS1_3genE8ELNS1_11target_archE1030ELNS1_3gpuE2ELNS1_3repE0EEENS1_30default_config_static_selectorELNS0_4arch9wavefront6targetE0EEEvT1_,"axG",@progbits,_ZN7rocprim17ROCPRIM_400000_NS6detail17trampoline_kernelINS0_14default_configENS1_25partition_config_selectorILNS1_17partition_subalgoE6EN6thrust23THRUST_200600_302600_NS5tupleIyyNS7_9null_typeES9_S9_S9_S9_S9_S9_S9_EENS0_10empty_typeEbEEZZNS1_14partition_implILS5_6ELb0ES3_mNS7_12zip_iteratorINS8_INS7_6detail15normal_iteratorINS7_10device_ptrIyEEEESJ_S9_S9_S9_S9_S9_S9_S9_S9_EEEEPSB_SM_NS0_5tupleIJNSE_INS8_ISJ_NS7_16discard_iteratorINS7_11use_defaultEEES9_S9_S9_S9_S9_S9_S9_S9_EEEESB_EEENSN_IJSM_SM_EEESB_PlJNSF_9not_fun_tINSF_14equal_to_valueISA_EEEEEEE10hipError_tPvRmT3_T4_T5_T6_T7_T9_mT8_P12ihipStream_tbDpT10_ENKUlT_T0_E_clISt17integral_constantIbLb1EES1J_EEDaS1E_S1F_EUlS1E_E_NS1_11comp_targetILNS1_3genE8ELNS1_11target_archE1030ELNS1_3gpuE2ELNS1_3repE0EEENS1_30default_config_static_selectorELNS0_4arch9wavefront6targetE0EEEvT1_,comdat
.Lfunc_end1900:
	.size	_ZN7rocprim17ROCPRIM_400000_NS6detail17trampoline_kernelINS0_14default_configENS1_25partition_config_selectorILNS1_17partition_subalgoE6EN6thrust23THRUST_200600_302600_NS5tupleIyyNS7_9null_typeES9_S9_S9_S9_S9_S9_S9_EENS0_10empty_typeEbEEZZNS1_14partition_implILS5_6ELb0ES3_mNS7_12zip_iteratorINS8_INS7_6detail15normal_iteratorINS7_10device_ptrIyEEEESJ_S9_S9_S9_S9_S9_S9_S9_S9_EEEEPSB_SM_NS0_5tupleIJNSE_INS8_ISJ_NS7_16discard_iteratorINS7_11use_defaultEEES9_S9_S9_S9_S9_S9_S9_S9_EEEESB_EEENSN_IJSM_SM_EEESB_PlJNSF_9not_fun_tINSF_14equal_to_valueISA_EEEEEEE10hipError_tPvRmT3_T4_T5_T6_T7_T9_mT8_P12ihipStream_tbDpT10_ENKUlT_T0_E_clISt17integral_constantIbLb1EES1J_EEDaS1E_S1F_EUlS1E_E_NS1_11comp_targetILNS1_3genE8ELNS1_11target_archE1030ELNS1_3gpuE2ELNS1_3repE0EEENS1_30default_config_static_selectorELNS0_4arch9wavefront6targetE0EEEvT1_, .Lfunc_end1900-_ZN7rocprim17ROCPRIM_400000_NS6detail17trampoline_kernelINS0_14default_configENS1_25partition_config_selectorILNS1_17partition_subalgoE6EN6thrust23THRUST_200600_302600_NS5tupleIyyNS7_9null_typeES9_S9_S9_S9_S9_S9_S9_EENS0_10empty_typeEbEEZZNS1_14partition_implILS5_6ELb0ES3_mNS7_12zip_iteratorINS8_INS7_6detail15normal_iteratorINS7_10device_ptrIyEEEESJ_S9_S9_S9_S9_S9_S9_S9_S9_EEEEPSB_SM_NS0_5tupleIJNSE_INS8_ISJ_NS7_16discard_iteratorINS7_11use_defaultEEES9_S9_S9_S9_S9_S9_S9_S9_EEEESB_EEENSN_IJSM_SM_EEESB_PlJNSF_9not_fun_tINSF_14equal_to_valueISA_EEEEEEE10hipError_tPvRmT3_T4_T5_T6_T7_T9_mT8_P12ihipStream_tbDpT10_ENKUlT_T0_E_clISt17integral_constantIbLb1EES1J_EEDaS1E_S1F_EUlS1E_E_NS1_11comp_targetILNS1_3genE8ELNS1_11target_archE1030ELNS1_3gpuE2ELNS1_3repE0EEENS1_30default_config_static_selectorELNS0_4arch9wavefront6targetE0EEEvT1_
                                        ; -- End function
	.set _ZN7rocprim17ROCPRIM_400000_NS6detail17trampoline_kernelINS0_14default_configENS1_25partition_config_selectorILNS1_17partition_subalgoE6EN6thrust23THRUST_200600_302600_NS5tupleIyyNS7_9null_typeES9_S9_S9_S9_S9_S9_S9_EENS0_10empty_typeEbEEZZNS1_14partition_implILS5_6ELb0ES3_mNS7_12zip_iteratorINS8_INS7_6detail15normal_iteratorINS7_10device_ptrIyEEEESJ_S9_S9_S9_S9_S9_S9_S9_S9_EEEEPSB_SM_NS0_5tupleIJNSE_INS8_ISJ_NS7_16discard_iteratorINS7_11use_defaultEEES9_S9_S9_S9_S9_S9_S9_S9_EEEESB_EEENSN_IJSM_SM_EEESB_PlJNSF_9not_fun_tINSF_14equal_to_valueISA_EEEEEEE10hipError_tPvRmT3_T4_T5_T6_T7_T9_mT8_P12ihipStream_tbDpT10_ENKUlT_T0_E_clISt17integral_constantIbLb1EES1J_EEDaS1E_S1F_EUlS1E_E_NS1_11comp_targetILNS1_3genE8ELNS1_11target_archE1030ELNS1_3gpuE2ELNS1_3repE0EEENS1_30default_config_static_selectorELNS0_4arch9wavefront6targetE0EEEvT1_.num_vgpr, 0
	.set _ZN7rocprim17ROCPRIM_400000_NS6detail17trampoline_kernelINS0_14default_configENS1_25partition_config_selectorILNS1_17partition_subalgoE6EN6thrust23THRUST_200600_302600_NS5tupleIyyNS7_9null_typeES9_S9_S9_S9_S9_S9_S9_EENS0_10empty_typeEbEEZZNS1_14partition_implILS5_6ELb0ES3_mNS7_12zip_iteratorINS8_INS7_6detail15normal_iteratorINS7_10device_ptrIyEEEESJ_S9_S9_S9_S9_S9_S9_S9_S9_EEEEPSB_SM_NS0_5tupleIJNSE_INS8_ISJ_NS7_16discard_iteratorINS7_11use_defaultEEES9_S9_S9_S9_S9_S9_S9_S9_EEEESB_EEENSN_IJSM_SM_EEESB_PlJNSF_9not_fun_tINSF_14equal_to_valueISA_EEEEEEE10hipError_tPvRmT3_T4_T5_T6_T7_T9_mT8_P12ihipStream_tbDpT10_ENKUlT_T0_E_clISt17integral_constantIbLb1EES1J_EEDaS1E_S1F_EUlS1E_E_NS1_11comp_targetILNS1_3genE8ELNS1_11target_archE1030ELNS1_3gpuE2ELNS1_3repE0EEENS1_30default_config_static_selectorELNS0_4arch9wavefront6targetE0EEEvT1_.num_agpr, 0
	.set _ZN7rocprim17ROCPRIM_400000_NS6detail17trampoline_kernelINS0_14default_configENS1_25partition_config_selectorILNS1_17partition_subalgoE6EN6thrust23THRUST_200600_302600_NS5tupleIyyNS7_9null_typeES9_S9_S9_S9_S9_S9_S9_EENS0_10empty_typeEbEEZZNS1_14partition_implILS5_6ELb0ES3_mNS7_12zip_iteratorINS8_INS7_6detail15normal_iteratorINS7_10device_ptrIyEEEESJ_S9_S9_S9_S9_S9_S9_S9_S9_EEEEPSB_SM_NS0_5tupleIJNSE_INS8_ISJ_NS7_16discard_iteratorINS7_11use_defaultEEES9_S9_S9_S9_S9_S9_S9_S9_EEEESB_EEENSN_IJSM_SM_EEESB_PlJNSF_9not_fun_tINSF_14equal_to_valueISA_EEEEEEE10hipError_tPvRmT3_T4_T5_T6_T7_T9_mT8_P12ihipStream_tbDpT10_ENKUlT_T0_E_clISt17integral_constantIbLb1EES1J_EEDaS1E_S1F_EUlS1E_E_NS1_11comp_targetILNS1_3genE8ELNS1_11target_archE1030ELNS1_3gpuE2ELNS1_3repE0EEENS1_30default_config_static_selectorELNS0_4arch9wavefront6targetE0EEEvT1_.numbered_sgpr, 0
	.set _ZN7rocprim17ROCPRIM_400000_NS6detail17trampoline_kernelINS0_14default_configENS1_25partition_config_selectorILNS1_17partition_subalgoE6EN6thrust23THRUST_200600_302600_NS5tupleIyyNS7_9null_typeES9_S9_S9_S9_S9_S9_S9_EENS0_10empty_typeEbEEZZNS1_14partition_implILS5_6ELb0ES3_mNS7_12zip_iteratorINS8_INS7_6detail15normal_iteratorINS7_10device_ptrIyEEEESJ_S9_S9_S9_S9_S9_S9_S9_S9_EEEEPSB_SM_NS0_5tupleIJNSE_INS8_ISJ_NS7_16discard_iteratorINS7_11use_defaultEEES9_S9_S9_S9_S9_S9_S9_S9_EEEESB_EEENSN_IJSM_SM_EEESB_PlJNSF_9not_fun_tINSF_14equal_to_valueISA_EEEEEEE10hipError_tPvRmT3_T4_T5_T6_T7_T9_mT8_P12ihipStream_tbDpT10_ENKUlT_T0_E_clISt17integral_constantIbLb1EES1J_EEDaS1E_S1F_EUlS1E_E_NS1_11comp_targetILNS1_3genE8ELNS1_11target_archE1030ELNS1_3gpuE2ELNS1_3repE0EEENS1_30default_config_static_selectorELNS0_4arch9wavefront6targetE0EEEvT1_.num_named_barrier, 0
	.set _ZN7rocprim17ROCPRIM_400000_NS6detail17trampoline_kernelINS0_14default_configENS1_25partition_config_selectorILNS1_17partition_subalgoE6EN6thrust23THRUST_200600_302600_NS5tupleIyyNS7_9null_typeES9_S9_S9_S9_S9_S9_S9_EENS0_10empty_typeEbEEZZNS1_14partition_implILS5_6ELb0ES3_mNS7_12zip_iteratorINS8_INS7_6detail15normal_iteratorINS7_10device_ptrIyEEEESJ_S9_S9_S9_S9_S9_S9_S9_S9_EEEEPSB_SM_NS0_5tupleIJNSE_INS8_ISJ_NS7_16discard_iteratorINS7_11use_defaultEEES9_S9_S9_S9_S9_S9_S9_S9_EEEESB_EEENSN_IJSM_SM_EEESB_PlJNSF_9not_fun_tINSF_14equal_to_valueISA_EEEEEEE10hipError_tPvRmT3_T4_T5_T6_T7_T9_mT8_P12ihipStream_tbDpT10_ENKUlT_T0_E_clISt17integral_constantIbLb1EES1J_EEDaS1E_S1F_EUlS1E_E_NS1_11comp_targetILNS1_3genE8ELNS1_11target_archE1030ELNS1_3gpuE2ELNS1_3repE0EEENS1_30default_config_static_selectorELNS0_4arch9wavefront6targetE0EEEvT1_.private_seg_size, 0
	.set _ZN7rocprim17ROCPRIM_400000_NS6detail17trampoline_kernelINS0_14default_configENS1_25partition_config_selectorILNS1_17partition_subalgoE6EN6thrust23THRUST_200600_302600_NS5tupleIyyNS7_9null_typeES9_S9_S9_S9_S9_S9_S9_EENS0_10empty_typeEbEEZZNS1_14partition_implILS5_6ELb0ES3_mNS7_12zip_iteratorINS8_INS7_6detail15normal_iteratorINS7_10device_ptrIyEEEESJ_S9_S9_S9_S9_S9_S9_S9_S9_EEEEPSB_SM_NS0_5tupleIJNSE_INS8_ISJ_NS7_16discard_iteratorINS7_11use_defaultEEES9_S9_S9_S9_S9_S9_S9_S9_EEEESB_EEENSN_IJSM_SM_EEESB_PlJNSF_9not_fun_tINSF_14equal_to_valueISA_EEEEEEE10hipError_tPvRmT3_T4_T5_T6_T7_T9_mT8_P12ihipStream_tbDpT10_ENKUlT_T0_E_clISt17integral_constantIbLb1EES1J_EEDaS1E_S1F_EUlS1E_E_NS1_11comp_targetILNS1_3genE8ELNS1_11target_archE1030ELNS1_3gpuE2ELNS1_3repE0EEENS1_30default_config_static_selectorELNS0_4arch9wavefront6targetE0EEEvT1_.uses_vcc, 0
	.set _ZN7rocprim17ROCPRIM_400000_NS6detail17trampoline_kernelINS0_14default_configENS1_25partition_config_selectorILNS1_17partition_subalgoE6EN6thrust23THRUST_200600_302600_NS5tupleIyyNS7_9null_typeES9_S9_S9_S9_S9_S9_S9_EENS0_10empty_typeEbEEZZNS1_14partition_implILS5_6ELb0ES3_mNS7_12zip_iteratorINS8_INS7_6detail15normal_iteratorINS7_10device_ptrIyEEEESJ_S9_S9_S9_S9_S9_S9_S9_S9_EEEEPSB_SM_NS0_5tupleIJNSE_INS8_ISJ_NS7_16discard_iteratorINS7_11use_defaultEEES9_S9_S9_S9_S9_S9_S9_S9_EEEESB_EEENSN_IJSM_SM_EEESB_PlJNSF_9not_fun_tINSF_14equal_to_valueISA_EEEEEEE10hipError_tPvRmT3_T4_T5_T6_T7_T9_mT8_P12ihipStream_tbDpT10_ENKUlT_T0_E_clISt17integral_constantIbLb1EES1J_EEDaS1E_S1F_EUlS1E_E_NS1_11comp_targetILNS1_3genE8ELNS1_11target_archE1030ELNS1_3gpuE2ELNS1_3repE0EEENS1_30default_config_static_selectorELNS0_4arch9wavefront6targetE0EEEvT1_.uses_flat_scratch, 0
	.set _ZN7rocprim17ROCPRIM_400000_NS6detail17trampoline_kernelINS0_14default_configENS1_25partition_config_selectorILNS1_17partition_subalgoE6EN6thrust23THRUST_200600_302600_NS5tupleIyyNS7_9null_typeES9_S9_S9_S9_S9_S9_S9_EENS0_10empty_typeEbEEZZNS1_14partition_implILS5_6ELb0ES3_mNS7_12zip_iteratorINS8_INS7_6detail15normal_iteratorINS7_10device_ptrIyEEEESJ_S9_S9_S9_S9_S9_S9_S9_S9_EEEEPSB_SM_NS0_5tupleIJNSE_INS8_ISJ_NS7_16discard_iteratorINS7_11use_defaultEEES9_S9_S9_S9_S9_S9_S9_S9_EEEESB_EEENSN_IJSM_SM_EEESB_PlJNSF_9not_fun_tINSF_14equal_to_valueISA_EEEEEEE10hipError_tPvRmT3_T4_T5_T6_T7_T9_mT8_P12ihipStream_tbDpT10_ENKUlT_T0_E_clISt17integral_constantIbLb1EES1J_EEDaS1E_S1F_EUlS1E_E_NS1_11comp_targetILNS1_3genE8ELNS1_11target_archE1030ELNS1_3gpuE2ELNS1_3repE0EEENS1_30default_config_static_selectorELNS0_4arch9wavefront6targetE0EEEvT1_.has_dyn_sized_stack, 0
	.set _ZN7rocprim17ROCPRIM_400000_NS6detail17trampoline_kernelINS0_14default_configENS1_25partition_config_selectorILNS1_17partition_subalgoE6EN6thrust23THRUST_200600_302600_NS5tupleIyyNS7_9null_typeES9_S9_S9_S9_S9_S9_S9_EENS0_10empty_typeEbEEZZNS1_14partition_implILS5_6ELb0ES3_mNS7_12zip_iteratorINS8_INS7_6detail15normal_iteratorINS7_10device_ptrIyEEEESJ_S9_S9_S9_S9_S9_S9_S9_S9_EEEEPSB_SM_NS0_5tupleIJNSE_INS8_ISJ_NS7_16discard_iteratorINS7_11use_defaultEEES9_S9_S9_S9_S9_S9_S9_S9_EEEESB_EEENSN_IJSM_SM_EEESB_PlJNSF_9not_fun_tINSF_14equal_to_valueISA_EEEEEEE10hipError_tPvRmT3_T4_T5_T6_T7_T9_mT8_P12ihipStream_tbDpT10_ENKUlT_T0_E_clISt17integral_constantIbLb1EES1J_EEDaS1E_S1F_EUlS1E_E_NS1_11comp_targetILNS1_3genE8ELNS1_11target_archE1030ELNS1_3gpuE2ELNS1_3repE0EEENS1_30default_config_static_selectorELNS0_4arch9wavefront6targetE0EEEvT1_.has_recursion, 0
	.set _ZN7rocprim17ROCPRIM_400000_NS6detail17trampoline_kernelINS0_14default_configENS1_25partition_config_selectorILNS1_17partition_subalgoE6EN6thrust23THRUST_200600_302600_NS5tupleIyyNS7_9null_typeES9_S9_S9_S9_S9_S9_S9_EENS0_10empty_typeEbEEZZNS1_14partition_implILS5_6ELb0ES3_mNS7_12zip_iteratorINS8_INS7_6detail15normal_iteratorINS7_10device_ptrIyEEEESJ_S9_S9_S9_S9_S9_S9_S9_S9_EEEEPSB_SM_NS0_5tupleIJNSE_INS8_ISJ_NS7_16discard_iteratorINS7_11use_defaultEEES9_S9_S9_S9_S9_S9_S9_S9_EEEESB_EEENSN_IJSM_SM_EEESB_PlJNSF_9not_fun_tINSF_14equal_to_valueISA_EEEEEEE10hipError_tPvRmT3_T4_T5_T6_T7_T9_mT8_P12ihipStream_tbDpT10_ENKUlT_T0_E_clISt17integral_constantIbLb1EES1J_EEDaS1E_S1F_EUlS1E_E_NS1_11comp_targetILNS1_3genE8ELNS1_11target_archE1030ELNS1_3gpuE2ELNS1_3repE0EEENS1_30default_config_static_selectorELNS0_4arch9wavefront6targetE0EEEvT1_.has_indirect_call, 0
	.section	.AMDGPU.csdata,"",@progbits
; Kernel info:
; codeLenInByte = 0
; TotalNumSgprs: 0
; NumVgprs: 0
; ScratchSize: 0
; MemoryBound: 0
; FloatMode: 240
; IeeeMode: 1
; LDSByteSize: 0 bytes/workgroup (compile time only)
; SGPRBlocks: 0
; VGPRBlocks: 0
; NumSGPRsForWavesPerEU: 1
; NumVGPRsForWavesPerEU: 1
; Occupancy: 16
; WaveLimiterHint : 0
; COMPUTE_PGM_RSRC2:SCRATCH_EN: 0
; COMPUTE_PGM_RSRC2:USER_SGPR: 2
; COMPUTE_PGM_RSRC2:TRAP_HANDLER: 0
; COMPUTE_PGM_RSRC2:TGID_X_EN: 1
; COMPUTE_PGM_RSRC2:TGID_Y_EN: 0
; COMPUTE_PGM_RSRC2:TGID_Z_EN: 0
; COMPUTE_PGM_RSRC2:TIDIG_COMP_CNT: 0
	.section	.text._ZN7rocprim17ROCPRIM_400000_NS6detail17trampoline_kernelINS0_14default_configENS1_25partition_config_selectorILNS1_17partition_subalgoE6EN6thrust23THRUST_200600_302600_NS5tupleIyyNS7_9null_typeES9_S9_S9_S9_S9_S9_S9_EENS0_10empty_typeEbEEZZNS1_14partition_implILS5_6ELb0ES3_mNS7_12zip_iteratorINS8_INS7_6detail15normal_iteratorINS7_10device_ptrIyEEEESJ_S9_S9_S9_S9_S9_S9_S9_S9_EEEEPSB_SM_NS0_5tupleIJNSE_INS8_ISJ_NS7_16discard_iteratorINS7_11use_defaultEEES9_S9_S9_S9_S9_S9_S9_S9_EEEESB_EEENSN_IJSM_SM_EEESB_PlJNSF_9not_fun_tINSF_14equal_to_valueISA_EEEEEEE10hipError_tPvRmT3_T4_T5_T6_T7_T9_mT8_P12ihipStream_tbDpT10_ENKUlT_T0_E_clISt17integral_constantIbLb1EES1I_IbLb0EEEEDaS1E_S1F_EUlS1E_E_NS1_11comp_targetILNS1_3genE0ELNS1_11target_archE4294967295ELNS1_3gpuE0ELNS1_3repE0EEENS1_30default_config_static_selectorELNS0_4arch9wavefront6targetE0EEEvT1_,"axG",@progbits,_ZN7rocprim17ROCPRIM_400000_NS6detail17trampoline_kernelINS0_14default_configENS1_25partition_config_selectorILNS1_17partition_subalgoE6EN6thrust23THRUST_200600_302600_NS5tupleIyyNS7_9null_typeES9_S9_S9_S9_S9_S9_S9_EENS0_10empty_typeEbEEZZNS1_14partition_implILS5_6ELb0ES3_mNS7_12zip_iteratorINS8_INS7_6detail15normal_iteratorINS7_10device_ptrIyEEEESJ_S9_S9_S9_S9_S9_S9_S9_S9_EEEEPSB_SM_NS0_5tupleIJNSE_INS8_ISJ_NS7_16discard_iteratorINS7_11use_defaultEEES9_S9_S9_S9_S9_S9_S9_S9_EEEESB_EEENSN_IJSM_SM_EEESB_PlJNSF_9not_fun_tINSF_14equal_to_valueISA_EEEEEEE10hipError_tPvRmT3_T4_T5_T6_T7_T9_mT8_P12ihipStream_tbDpT10_ENKUlT_T0_E_clISt17integral_constantIbLb1EES1I_IbLb0EEEEDaS1E_S1F_EUlS1E_E_NS1_11comp_targetILNS1_3genE0ELNS1_11target_archE4294967295ELNS1_3gpuE0ELNS1_3repE0EEENS1_30default_config_static_selectorELNS0_4arch9wavefront6targetE0EEEvT1_,comdat
	.protected	_ZN7rocprim17ROCPRIM_400000_NS6detail17trampoline_kernelINS0_14default_configENS1_25partition_config_selectorILNS1_17partition_subalgoE6EN6thrust23THRUST_200600_302600_NS5tupleIyyNS7_9null_typeES9_S9_S9_S9_S9_S9_S9_EENS0_10empty_typeEbEEZZNS1_14partition_implILS5_6ELb0ES3_mNS7_12zip_iteratorINS8_INS7_6detail15normal_iteratorINS7_10device_ptrIyEEEESJ_S9_S9_S9_S9_S9_S9_S9_S9_EEEEPSB_SM_NS0_5tupleIJNSE_INS8_ISJ_NS7_16discard_iteratorINS7_11use_defaultEEES9_S9_S9_S9_S9_S9_S9_S9_EEEESB_EEENSN_IJSM_SM_EEESB_PlJNSF_9not_fun_tINSF_14equal_to_valueISA_EEEEEEE10hipError_tPvRmT3_T4_T5_T6_T7_T9_mT8_P12ihipStream_tbDpT10_ENKUlT_T0_E_clISt17integral_constantIbLb1EES1I_IbLb0EEEEDaS1E_S1F_EUlS1E_E_NS1_11comp_targetILNS1_3genE0ELNS1_11target_archE4294967295ELNS1_3gpuE0ELNS1_3repE0EEENS1_30default_config_static_selectorELNS0_4arch9wavefront6targetE0EEEvT1_ ; -- Begin function _ZN7rocprim17ROCPRIM_400000_NS6detail17trampoline_kernelINS0_14default_configENS1_25partition_config_selectorILNS1_17partition_subalgoE6EN6thrust23THRUST_200600_302600_NS5tupleIyyNS7_9null_typeES9_S9_S9_S9_S9_S9_S9_EENS0_10empty_typeEbEEZZNS1_14partition_implILS5_6ELb0ES3_mNS7_12zip_iteratorINS8_INS7_6detail15normal_iteratorINS7_10device_ptrIyEEEESJ_S9_S9_S9_S9_S9_S9_S9_S9_EEEEPSB_SM_NS0_5tupleIJNSE_INS8_ISJ_NS7_16discard_iteratorINS7_11use_defaultEEES9_S9_S9_S9_S9_S9_S9_S9_EEEESB_EEENSN_IJSM_SM_EEESB_PlJNSF_9not_fun_tINSF_14equal_to_valueISA_EEEEEEE10hipError_tPvRmT3_T4_T5_T6_T7_T9_mT8_P12ihipStream_tbDpT10_ENKUlT_T0_E_clISt17integral_constantIbLb1EES1I_IbLb0EEEEDaS1E_S1F_EUlS1E_E_NS1_11comp_targetILNS1_3genE0ELNS1_11target_archE4294967295ELNS1_3gpuE0ELNS1_3repE0EEENS1_30default_config_static_selectorELNS0_4arch9wavefront6targetE0EEEvT1_
	.globl	_ZN7rocprim17ROCPRIM_400000_NS6detail17trampoline_kernelINS0_14default_configENS1_25partition_config_selectorILNS1_17partition_subalgoE6EN6thrust23THRUST_200600_302600_NS5tupleIyyNS7_9null_typeES9_S9_S9_S9_S9_S9_S9_EENS0_10empty_typeEbEEZZNS1_14partition_implILS5_6ELb0ES3_mNS7_12zip_iteratorINS8_INS7_6detail15normal_iteratorINS7_10device_ptrIyEEEESJ_S9_S9_S9_S9_S9_S9_S9_S9_EEEEPSB_SM_NS0_5tupleIJNSE_INS8_ISJ_NS7_16discard_iteratorINS7_11use_defaultEEES9_S9_S9_S9_S9_S9_S9_S9_EEEESB_EEENSN_IJSM_SM_EEESB_PlJNSF_9not_fun_tINSF_14equal_to_valueISA_EEEEEEE10hipError_tPvRmT3_T4_T5_T6_T7_T9_mT8_P12ihipStream_tbDpT10_ENKUlT_T0_E_clISt17integral_constantIbLb1EES1I_IbLb0EEEEDaS1E_S1F_EUlS1E_E_NS1_11comp_targetILNS1_3genE0ELNS1_11target_archE4294967295ELNS1_3gpuE0ELNS1_3repE0EEENS1_30default_config_static_selectorELNS0_4arch9wavefront6targetE0EEEvT1_
	.p2align	8
	.type	_ZN7rocprim17ROCPRIM_400000_NS6detail17trampoline_kernelINS0_14default_configENS1_25partition_config_selectorILNS1_17partition_subalgoE6EN6thrust23THRUST_200600_302600_NS5tupleIyyNS7_9null_typeES9_S9_S9_S9_S9_S9_S9_EENS0_10empty_typeEbEEZZNS1_14partition_implILS5_6ELb0ES3_mNS7_12zip_iteratorINS8_INS7_6detail15normal_iteratorINS7_10device_ptrIyEEEESJ_S9_S9_S9_S9_S9_S9_S9_S9_EEEEPSB_SM_NS0_5tupleIJNSE_INS8_ISJ_NS7_16discard_iteratorINS7_11use_defaultEEES9_S9_S9_S9_S9_S9_S9_S9_EEEESB_EEENSN_IJSM_SM_EEESB_PlJNSF_9not_fun_tINSF_14equal_to_valueISA_EEEEEEE10hipError_tPvRmT3_T4_T5_T6_T7_T9_mT8_P12ihipStream_tbDpT10_ENKUlT_T0_E_clISt17integral_constantIbLb1EES1I_IbLb0EEEEDaS1E_S1F_EUlS1E_E_NS1_11comp_targetILNS1_3genE0ELNS1_11target_archE4294967295ELNS1_3gpuE0ELNS1_3repE0EEENS1_30default_config_static_selectorELNS0_4arch9wavefront6targetE0EEEvT1_,@function
_ZN7rocprim17ROCPRIM_400000_NS6detail17trampoline_kernelINS0_14default_configENS1_25partition_config_selectorILNS1_17partition_subalgoE6EN6thrust23THRUST_200600_302600_NS5tupleIyyNS7_9null_typeES9_S9_S9_S9_S9_S9_S9_EENS0_10empty_typeEbEEZZNS1_14partition_implILS5_6ELb0ES3_mNS7_12zip_iteratorINS8_INS7_6detail15normal_iteratorINS7_10device_ptrIyEEEESJ_S9_S9_S9_S9_S9_S9_S9_S9_EEEEPSB_SM_NS0_5tupleIJNSE_INS8_ISJ_NS7_16discard_iteratorINS7_11use_defaultEEES9_S9_S9_S9_S9_S9_S9_S9_EEEESB_EEENSN_IJSM_SM_EEESB_PlJNSF_9not_fun_tINSF_14equal_to_valueISA_EEEEEEE10hipError_tPvRmT3_T4_T5_T6_T7_T9_mT8_P12ihipStream_tbDpT10_ENKUlT_T0_E_clISt17integral_constantIbLb1EES1I_IbLb0EEEEDaS1E_S1F_EUlS1E_E_NS1_11comp_targetILNS1_3genE0ELNS1_11target_archE4294967295ELNS1_3gpuE0ELNS1_3repE0EEENS1_30default_config_static_selectorELNS0_4arch9wavefront6targetE0EEEvT1_: ; @_ZN7rocprim17ROCPRIM_400000_NS6detail17trampoline_kernelINS0_14default_configENS1_25partition_config_selectorILNS1_17partition_subalgoE6EN6thrust23THRUST_200600_302600_NS5tupleIyyNS7_9null_typeES9_S9_S9_S9_S9_S9_S9_EENS0_10empty_typeEbEEZZNS1_14partition_implILS5_6ELb0ES3_mNS7_12zip_iteratorINS8_INS7_6detail15normal_iteratorINS7_10device_ptrIyEEEESJ_S9_S9_S9_S9_S9_S9_S9_S9_EEEEPSB_SM_NS0_5tupleIJNSE_INS8_ISJ_NS7_16discard_iteratorINS7_11use_defaultEEES9_S9_S9_S9_S9_S9_S9_S9_EEEESB_EEENSN_IJSM_SM_EEESB_PlJNSF_9not_fun_tINSF_14equal_to_valueISA_EEEEEEE10hipError_tPvRmT3_T4_T5_T6_T7_T9_mT8_P12ihipStream_tbDpT10_ENKUlT_T0_E_clISt17integral_constantIbLb1EES1I_IbLb0EEEEDaS1E_S1F_EUlS1E_E_NS1_11comp_targetILNS1_3genE0ELNS1_11target_archE4294967295ELNS1_3gpuE0ELNS1_3repE0EEENS1_30default_config_static_selectorELNS0_4arch9wavefront6targetE0EEEvT1_
; %bb.0:
	.section	.rodata,"a",@progbits
	.p2align	6, 0x0
	.amdhsa_kernel _ZN7rocprim17ROCPRIM_400000_NS6detail17trampoline_kernelINS0_14default_configENS1_25partition_config_selectorILNS1_17partition_subalgoE6EN6thrust23THRUST_200600_302600_NS5tupleIyyNS7_9null_typeES9_S9_S9_S9_S9_S9_S9_EENS0_10empty_typeEbEEZZNS1_14partition_implILS5_6ELb0ES3_mNS7_12zip_iteratorINS8_INS7_6detail15normal_iteratorINS7_10device_ptrIyEEEESJ_S9_S9_S9_S9_S9_S9_S9_S9_EEEEPSB_SM_NS0_5tupleIJNSE_INS8_ISJ_NS7_16discard_iteratorINS7_11use_defaultEEES9_S9_S9_S9_S9_S9_S9_S9_EEEESB_EEENSN_IJSM_SM_EEESB_PlJNSF_9not_fun_tINSF_14equal_to_valueISA_EEEEEEE10hipError_tPvRmT3_T4_T5_T6_T7_T9_mT8_P12ihipStream_tbDpT10_ENKUlT_T0_E_clISt17integral_constantIbLb1EES1I_IbLb0EEEEDaS1E_S1F_EUlS1E_E_NS1_11comp_targetILNS1_3genE0ELNS1_11target_archE4294967295ELNS1_3gpuE0ELNS1_3repE0EEENS1_30default_config_static_selectorELNS0_4arch9wavefront6targetE0EEEvT1_
		.amdhsa_group_segment_fixed_size 0
		.amdhsa_private_segment_fixed_size 0
		.amdhsa_kernarg_size 152
		.amdhsa_user_sgpr_count 2
		.amdhsa_user_sgpr_dispatch_ptr 0
		.amdhsa_user_sgpr_queue_ptr 0
		.amdhsa_user_sgpr_kernarg_segment_ptr 1
		.amdhsa_user_sgpr_dispatch_id 0
		.amdhsa_user_sgpr_private_segment_size 0
		.amdhsa_wavefront_size32 1
		.amdhsa_uses_dynamic_stack 0
		.amdhsa_enable_private_segment 0
		.amdhsa_system_sgpr_workgroup_id_x 1
		.amdhsa_system_sgpr_workgroup_id_y 0
		.amdhsa_system_sgpr_workgroup_id_z 0
		.amdhsa_system_sgpr_workgroup_info 0
		.amdhsa_system_vgpr_workitem_id 0
		.amdhsa_next_free_vgpr 1
		.amdhsa_next_free_sgpr 1
		.amdhsa_reserve_vcc 0
		.amdhsa_float_round_mode_32 0
		.amdhsa_float_round_mode_16_64 0
		.amdhsa_float_denorm_mode_32 3
		.amdhsa_float_denorm_mode_16_64 3
		.amdhsa_fp16_overflow 0
		.amdhsa_workgroup_processor_mode 1
		.amdhsa_memory_ordered 1
		.amdhsa_forward_progress 1
		.amdhsa_inst_pref_size 0
		.amdhsa_round_robin_scheduling 0
		.amdhsa_exception_fp_ieee_invalid_op 0
		.amdhsa_exception_fp_denorm_src 0
		.amdhsa_exception_fp_ieee_div_zero 0
		.amdhsa_exception_fp_ieee_overflow 0
		.amdhsa_exception_fp_ieee_underflow 0
		.amdhsa_exception_fp_ieee_inexact 0
		.amdhsa_exception_int_div_zero 0
	.end_amdhsa_kernel
	.section	.text._ZN7rocprim17ROCPRIM_400000_NS6detail17trampoline_kernelINS0_14default_configENS1_25partition_config_selectorILNS1_17partition_subalgoE6EN6thrust23THRUST_200600_302600_NS5tupleIyyNS7_9null_typeES9_S9_S9_S9_S9_S9_S9_EENS0_10empty_typeEbEEZZNS1_14partition_implILS5_6ELb0ES3_mNS7_12zip_iteratorINS8_INS7_6detail15normal_iteratorINS7_10device_ptrIyEEEESJ_S9_S9_S9_S9_S9_S9_S9_S9_EEEEPSB_SM_NS0_5tupleIJNSE_INS8_ISJ_NS7_16discard_iteratorINS7_11use_defaultEEES9_S9_S9_S9_S9_S9_S9_S9_EEEESB_EEENSN_IJSM_SM_EEESB_PlJNSF_9not_fun_tINSF_14equal_to_valueISA_EEEEEEE10hipError_tPvRmT3_T4_T5_T6_T7_T9_mT8_P12ihipStream_tbDpT10_ENKUlT_T0_E_clISt17integral_constantIbLb1EES1I_IbLb0EEEEDaS1E_S1F_EUlS1E_E_NS1_11comp_targetILNS1_3genE0ELNS1_11target_archE4294967295ELNS1_3gpuE0ELNS1_3repE0EEENS1_30default_config_static_selectorELNS0_4arch9wavefront6targetE0EEEvT1_,"axG",@progbits,_ZN7rocprim17ROCPRIM_400000_NS6detail17trampoline_kernelINS0_14default_configENS1_25partition_config_selectorILNS1_17partition_subalgoE6EN6thrust23THRUST_200600_302600_NS5tupleIyyNS7_9null_typeES9_S9_S9_S9_S9_S9_S9_EENS0_10empty_typeEbEEZZNS1_14partition_implILS5_6ELb0ES3_mNS7_12zip_iteratorINS8_INS7_6detail15normal_iteratorINS7_10device_ptrIyEEEESJ_S9_S9_S9_S9_S9_S9_S9_S9_EEEEPSB_SM_NS0_5tupleIJNSE_INS8_ISJ_NS7_16discard_iteratorINS7_11use_defaultEEES9_S9_S9_S9_S9_S9_S9_S9_EEEESB_EEENSN_IJSM_SM_EEESB_PlJNSF_9not_fun_tINSF_14equal_to_valueISA_EEEEEEE10hipError_tPvRmT3_T4_T5_T6_T7_T9_mT8_P12ihipStream_tbDpT10_ENKUlT_T0_E_clISt17integral_constantIbLb1EES1I_IbLb0EEEEDaS1E_S1F_EUlS1E_E_NS1_11comp_targetILNS1_3genE0ELNS1_11target_archE4294967295ELNS1_3gpuE0ELNS1_3repE0EEENS1_30default_config_static_selectorELNS0_4arch9wavefront6targetE0EEEvT1_,comdat
.Lfunc_end1901:
	.size	_ZN7rocprim17ROCPRIM_400000_NS6detail17trampoline_kernelINS0_14default_configENS1_25partition_config_selectorILNS1_17partition_subalgoE6EN6thrust23THRUST_200600_302600_NS5tupleIyyNS7_9null_typeES9_S9_S9_S9_S9_S9_S9_EENS0_10empty_typeEbEEZZNS1_14partition_implILS5_6ELb0ES3_mNS7_12zip_iteratorINS8_INS7_6detail15normal_iteratorINS7_10device_ptrIyEEEESJ_S9_S9_S9_S9_S9_S9_S9_S9_EEEEPSB_SM_NS0_5tupleIJNSE_INS8_ISJ_NS7_16discard_iteratorINS7_11use_defaultEEES9_S9_S9_S9_S9_S9_S9_S9_EEEESB_EEENSN_IJSM_SM_EEESB_PlJNSF_9not_fun_tINSF_14equal_to_valueISA_EEEEEEE10hipError_tPvRmT3_T4_T5_T6_T7_T9_mT8_P12ihipStream_tbDpT10_ENKUlT_T0_E_clISt17integral_constantIbLb1EES1I_IbLb0EEEEDaS1E_S1F_EUlS1E_E_NS1_11comp_targetILNS1_3genE0ELNS1_11target_archE4294967295ELNS1_3gpuE0ELNS1_3repE0EEENS1_30default_config_static_selectorELNS0_4arch9wavefront6targetE0EEEvT1_, .Lfunc_end1901-_ZN7rocprim17ROCPRIM_400000_NS6detail17trampoline_kernelINS0_14default_configENS1_25partition_config_selectorILNS1_17partition_subalgoE6EN6thrust23THRUST_200600_302600_NS5tupleIyyNS7_9null_typeES9_S9_S9_S9_S9_S9_S9_EENS0_10empty_typeEbEEZZNS1_14partition_implILS5_6ELb0ES3_mNS7_12zip_iteratorINS8_INS7_6detail15normal_iteratorINS7_10device_ptrIyEEEESJ_S9_S9_S9_S9_S9_S9_S9_S9_EEEEPSB_SM_NS0_5tupleIJNSE_INS8_ISJ_NS7_16discard_iteratorINS7_11use_defaultEEES9_S9_S9_S9_S9_S9_S9_S9_EEEESB_EEENSN_IJSM_SM_EEESB_PlJNSF_9not_fun_tINSF_14equal_to_valueISA_EEEEEEE10hipError_tPvRmT3_T4_T5_T6_T7_T9_mT8_P12ihipStream_tbDpT10_ENKUlT_T0_E_clISt17integral_constantIbLb1EES1I_IbLb0EEEEDaS1E_S1F_EUlS1E_E_NS1_11comp_targetILNS1_3genE0ELNS1_11target_archE4294967295ELNS1_3gpuE0ELNS1_3repE0EEENS1_30default_config_static_selectorELNS0_4arch9wavefront6targetE0EEEvT1_
                                        ; -- End function
	.set _ZN7rocprim17ROCPRIM_400000_NS6detail17trampoline_kernelINS0_14default_configENS1_25partition_config_selectorILNS1_17partition_subalgoE6EN6thrust23THRUST_200600_302600_NS5tupleIyyNS7_9null_typeES9_S9_S9_S9_S9_S9_S9_EENS0_10empty_typeEbEEZZNS1_14partition_implILS5_6ELb0ES3_mNS7_12zip_iteratorINS8_INS7_6detail15normal_iteratorINS7_10device_ptrIyEEEESJ_S9_S9_S9_S9_S9_S9_S9_S9_EEEEPSB_SM_NS0_5tupleIJNSE_INS8_ISJ_NS7_16discard_iteratorINS7_11use_defaultEEES9_S9_S9_S9_S9_S9_S9_S9_EEEESB_EEENSN_IJSM_SM_EEESB_PlJNSF_9not_fun_tINSF_14equal_to_valueISA_EEEEEEE10hipError_tPvRmT3_T4_T5_T6_T7_T9_mT8_P12ihipStream_tbDpT10_ENKUlT_T0_E_clISt17integral_constantIbLb1EES1I_IbLb0EEEEDaS1E_S1F_EUlS1E_E_NS1_11comp_targetILNS1_3genE0ELNS1_11target_archE4294967295ELNS1_3gpuE0ELNS1_3repE0EEENS1_30default_config_static_selectorELNS0_4arch9wavefront6targetE0EEEvT1_.num_vgpr, 0
	.set _ZN7rocprim17ROCPRIM_400000_NS6detail17trampoline_kernelINS0_14default_configENS1_25partition_config_selectorILNS1_17partition_subalgoE6EN6thrust23THRUST_200600_302600_NS5tupleIyyNS7_9null_typeES9_S9_S9_S9_S9_S9_S9_EENS0_10empty_typeEbEEZZNS1_14partition_implILS5_6ELb0ES3_mNS7_12zip_iteratorINS8_INS7_6detail15normal_iteratorINS7_10device_ptrIyEEEESJ_S9_S9_S9_S9_S9_S9_S9_S9_EEEEPSB_SM_NS0_5tupleIJNSE_INS8_ISJ_NS7_16discard_iteratorINS7_11use_defaultEEES9_S9_S9_S9_S9_S9_S9_S9_EEEESB_EEENSN_IJSM_SM_EEESB_PlJNSF_9not_fun_tINSF_14equal_to_valueISA_EEEEEEE10hipError_tPvRmT3_T4_T5_T6_T7_T9_mT8_P12ihipStream_tbDpT10_ENKUlT_T0_E_clISt17integral_constantIbLb1EES1I_IbLb0EEEEDaS1E_S1F_EUlS1E_E_NS1_11comp_targetILNS1_3genE0ELNS1_11target_archE4294967295ELNS1_3gpuE0ELNS1_3repE0EEENS1_30default_config_static_selectorELNS0_4arch9wavefront6targetE0EEEvT1_.num_agpr, 0
	.set _ZN7rocprim17ROCPRIM_400000_NS6detail17trampoline_kernelINS0_14default_configENS1_25partition_config_selectorILNS1_17partition_subalgoE6EN6thrust23THRUST_200600_302600_NS5tupleIyyNS7_9null_typeES9_S9_S9_S9_S9_S9_S9_EENS0_10empty_typeEbEEZZNS1_14partition_implILS5_6ELb0ES3_mNS7_12zip_iteratorINS8_INS7_6detail15normal_iteratorINS7_10device_ptrIyEEEESJ_S9_S9_S9_S9_S9_S9_S9_S9_EEEEPSB_SM_NS0_5tupleIJNSE_INS8_ISJ_NS7_16discard_iteratorINS7_11use_defaultEEES9_S9_S9_S9_S9_S9_S9_S9_EEEESB_EEENSN_IJSM_SM_EEESB_PlJNSF_9not_fun_tINSF_14equal_to_valueISA_EEEEEEE10hipError_tPvRmT3_T4_T5_T6_T7_T9_mT8_P12ihipStream_tbDpT10_ENKUlT_T0_E_clISt17integral_constantIbLb1EES1I_IbLb0EEEEDaS1E_S1F_EUlS1E_E_NS1_11comp_targetILNS1_3genE0ELNS1_11target_archE4294967295ELNS1_3gpuE0ELNS1_3repE0EEENS1_30default_config_static_selectorELNS0_4arch9wavefront6targetE0EEEvT1_.numbered_sgpr, 0
	.set _ZN7rocprim17ROCPRIM_400000_NS6detail17trampoline_kernelINS0_14default_configENS1_25partition_config_selectorILNS1_17partition_subalgoE6EN6thrust23THRUST_200600_302600_NS5tupleIyyNS7_9null_typeES9_S9_S9_S9_S9_S9_S9_EENS0_10empty_typeEbEEZZNS1_14partition_implILS5_6ELb0ES3_mNS7_12zip_iteratorINS8_INS7_6detail15normal_iteratorINS7_10device_ptrIyEEEESJ_S9_S9_S9_S9_S9_S9_S9_S9_EEEEPSB_SM_NS0_5tupleIJNSE_INS8_ISJ_NS7_16discard_iteratorINS7_11use_defaultEEES9_S9_S9_S9_S9_S9_S9_S9_EEEESB_EEENSN_IJSM_SM_EEESB_PlJNSF_9not_fun_tINSF_14equal_to_valueISA_EEEEEEE10hipError_tPvRmT3_T4_T5_T6_T7_T9_mT8_P12ihipStream_tbDpT10_ENKUlT_T0_E_clISt17integral_constantIbLb1EES1I_IbLb0EEEEDaS1E_S1F_EUlS1E_E_NS1_11comp_targetILNS1_3genE0ELNS1_11target_archE4294967295ELNS1_3gpuE0ELNS1_3repE0EEENS1_30default_config_static_selectorELNS0_4arch9wavefront6targetE0EEEvT1_.num_named_barrier, 0
	.set _ZN7rocprim17ROCPRIM_400000_NS6detail17trampoline_kernelINS0_14default_configENS1_25partition_config_selectorILNS1_17partition_subalgoE6EN6thrust23THRUST_200600_302600_NS5tupleIyyNS7_9null_typeES9_S9_S9_S9_S9_S9_S9_EENS0_10empty_typeEbEEZZNS1_14partition_implILS5_6ELb0ES3_mNS7_12zip_iteratorINS8_INS7_6detail15normal_iteratorINS7_10device_ptrIyEEEESJ_S9_S9_S9_S9_S9_S9_S9_S9_EEEEPSB_SM_NS0_5tupleIJNSE_INS8_ISJ_NS7_16discard_iteratorINS7_11use_defaultEEES9_S9_S9_S9_S9_S9_S9_S9_EEEESB_EEENSN_IJSM_SM_EEESB_PlJNSF_9not_fun_tINSF_14equal_to_valueISA_EEEEEEE10hipError_tPvRmT3_T4_T5_T6_T7_T9_mT8_P12ihipStream_tbDpT10_ENKUlT_T0_E_clISt17integral_constantIbLb1EES1I_IbLb0EEEEDaS1E_S1F_EUlS1E_E_NS1_11comp_targetILNS1_3genE0ELNS1_11target_archE4294967295ELNS1_3gpuE0ELNS1_3repE0EEENS1_30default_config_static_selectorELNS0_4arch9wavefront6targetE0EEEvT1_.private_seg_size, 0
	.set _ZN7rocprim17ROCPRIM_400000_NS6detail17trampoline_kernelINS0_14default_configENS1_25partition_config_selectorILNS1_17partition_subalgoE6EN6thrust23THRUST_200600_302600_NS5tupleIyyNS7_9null_typeES9_S9_S9_S9_S9_S9_S9_EENS0_10empty_typeEbEEZZNS1_14partition_implILS5_6ELb0ES3_mNS7_12zip_iteratorINS8_INS7_6detail15normal_iteratorINS7_10device_ptrIyEEEESJ_S9_S9_S9_S9_S9_S9_S9_S9_EEEEPSB_SM_NS0_5tupleIJNSE_INS8_ISJ_NS7_16discard_iteratorINS7_11use_defaultEEES9_S9_S9_S9_S9_S9_S9_S9_EEEESB_EEENSN_IJSM_SM_EEESB_PlJNSF_9not_fun_tINSF_14equal_to_valueISA_EEEEEEE10hipError_tPvRmT3_T4_T5_T6_T7_T9_mT8_P12ihipStream_tbDpT10_ENKUlT_T0_E_clISt17integral_constantIbLb1EES1I_IbLb0EEEEDaS1E_S1F_EUlS1E_E_NS1_11comp_targetILNS1_3genE0ELNS1_11target_archE4294967295ELNS1_3gpuE0ELNS1_3repE0EEENS1_30default_config_static_selectorELNS0_4arch9wavefront6targetE0EEEvT1_.uses_vcc, 0
	.set _ZN7rocprim17ROCPRIM_400000_NS6detail17trampoline_kernelINS0_14default_configENS1_25partition_config_selectorILNS1_17partition_subalgoE6EN6thrust23THRUST_200600_302600_NS5tupleIyyNS7_9null_typeES9_S9_S9_S9_S9_S9_S9_EENS0_10empty_typeEbEEZZNS1_14partition_implILS5_6ELb0ES3_mNS7_12zip_iteratorINS8_INS7_6detail15normal_iteratorINS7_10device_ptrIyEEEESJ_S9_S9_S9_S9_S9_S9_S9_S9_EEEEPSB_SM_NS0_5tupleIJNSE_INS8_ISJ_NS7_16discard_iteratorINS7_11use_defaultEEES9_S9_S9_S9_S9_S9_S9_S9_EEEESB_EEENSN_IJSM_SM_EEESB_PlJNSF_9not_fun_tINSF_14equal_to_valueISA_EEEEEEE10hipError_tPvRmT3_T4_T5_T6_T7_T9_mT8_P12ihipStream_tbDpT10_ENKUlT_T0_E_clISt17integral_constantIbLb1EES1I_IbLb0EEEEDaS1E_S1F_EUlS1E_E_NS1_11comp_targetILNS1_3genE0ELNS1_11target_archE4294967295ELNS1_3gpuE0ELNS1_3repE0EEENS1_30default_config_static_selectorELNS0_4arch9wavefront6targetE0EEEvT1_.uses_flat_scratch, 0
	.set _ZN7rocprim17ROCPRIM_400000_NS6detail17trampoline_kernelINS0_14default_configENS1_25partition_config_selectorILNS1_17partition_subalgoE6EN6thrust23THRUST_200600_302600_NS5tupleIyyNS7_9null_typeES9_S9_S9_S9_S9_S9_S9_EENS0_10empty_typeEbEEZZNS1_14partition_implILS5_6ELb0ES3_mNS7_12zip_iteratorINS8_INS7_6detail15normal_iteratorINS7_10device_ptrIyEEEESJ_S9_S9_S9_S9_S9_S9_S9_S9_EEEEPSB_SM_NS0_5tupleIJNSE_INS8_ISJ_NS7_16discard_iteratorINS7_11use_defaultEEES9_S9_S9_S9_S9_S9_S9_S9_EEEESB_EEENSN_IJSM_SM_EEESB_PlJNSF_9not_fun_tINSF_14equal_to_valueISA_EEEEEEE10hipError_tPvRmT3_T4_T5_T6_T7_T9_mT8_P12ihipStream_tbDpT10_ENKUlT_T0_E_clISt17integral_constantIbLb1EES1I_IbLb0EEEEDaS1E_S1F_EUlS1E_E_NS1_11comp_targetILNS1_3genE0ELNS1_11target_archE4294967295ELNS1_3gpuE0ELNS1_3repE0EEENS1_30default_config_static_selectorELNS0_4arch9wavefront6targetE0EEEvT1_.has_dyn_sized_stack, 0
	.set _ZN7rocprim17ROCPRIM_400000_NS6detail17trampoline_kernelINS0_14default_configENS1_25partition_config_selectorILNS1_17partition_subalgoE6EN6thrust23THRUST_200600_302600_NS5tupleIyyNS7_9null_typeES9_S9_S9_S9_S9_S9_S9_EENS0_10empty_typeEbEEZZNS1_14partition_implILS5_6ELb0ES3_mNS7_12zip_iteratorINS8_INS7_6detail15normal_iteratorINS7_10device_ptrIyEEEESJ_S9_S9_S9_S9_S9_S9_S9_S9_EEEEPSB_SM_NS0_5tupleIJNSE_INS8_ISJ_NS7_16discard_iteratorINS7_11use_defaultEEES9_S9_S9_S9_S9_S9_S9_S9_EEEESB_EEENSN_IJSM_SM_EEESB_PlJNSF_9not_fun_tINSF_14equal_to_valueISA_EEEEEEE10hipError_tPvRmT3_T4_T5_T6_T7_T9_mT8_P12ihipStream_tbDpT10_ENKUlT_T0_E_clISt17integral_constantIbLb1EES1I_IbLb0EEEEDaS1E_S1F_EUlS1E_E_NS1_11comp_targetILNS1_3genE0ELNS1_11target_archE4294967295ELNS1_3gpuE0ELNS1_3repE0EEENS1_30default_config_static_selectorELNS0_4arch9wavefront6targetE0EEEvT1_.has_recursion, 0
	.set _ZN7rocprim17ROCPRIM_400000_NS6detail17trampoline_kernelINS0_14default_configENS1_25partition_config_selectorILNS1_17partition_subalgoE6EN6thrust23THRUST_200600_302600_NS5tupleIyyNS7_9null_typeES9_S9_S9_S9_S9_S9_S9_EENS0_10empty_typeEbEEZZNS1_14partition_implILS5_6ELb0ES3_mNS7_12zip_iteratorINS8_INS7_6detail15normal_iteratorINS7_10device_ptrIyEEEESJ_S9_S9_S9_S9_S9_S9_S9_S9_EEEEPSB_SM_NS0_5tupleIJNSE_INS8_ISJ_NS7_16discard_iteratorINS7_11use_defaultEEES9_S9_S9_S9_S9_S9_S9_S9_EEEESB_EEENSN_IJSM_SM_EEESB_PlJNSF_9not_fun_tINSF_14equal_to_valueISA_EEEEEEE10hipError_tPvRmT3_T4_T5_T6_T7_T9_mT8_P12ihipStream_tbDpT10_ENKUlT_T0_E_clISt17integral_constantIbLb1EES1I_IbLb0EEEEDaS1E_S1F_EUlS1E_E_NS1_11comp_targetILNS1_3genE0ELNS1_11target_archE4294967295ELNS1_3gpuE0ELNS1_3repE0EEENS1_30default_config_static_selectorELNS0_4arch9wavefront6targetE0EEEvT1_.has_indirect_call, 0
	.section	.AMDGPU.csdata,"",@progbits
; Kernel info:
; codeLenInByte = 0
; TotalNumSgprs: 0
; NumVgprs: 0
; ScratchSize: 0
; MemoryBound: 0
; FloatMode: 240
; IeeeMode: 1
; LDSByteSize: 0 bytes/workgroup (compile time only)
; SGPRBlocks: 0
; VGPRBlocks: 0
; NumSGPRsForWavesPerEU: 1
; NumVGPRsForWavesPerEU: 1
; Occupancy: 16
; WaveLimiterHint : 0
; COMPUTE_PGM_RSRC2:SCRATCH_EN: 0
; COMPUTE_PGM_RSRC2:USER_SGPR: 2
; COMPUTE_PGM_RSRC2:TRAP_HANDLER: 0
; COMPUTE_PGM_RSRC2:TGID_X_EN: 1
; COMPUTE_PGM_RSRC2:TGID_Y_EN: 0
; COMPUTE_PGM_RSRC2:TGID_Z_EN: 0
; COMPUTE_PGM_RSRC2:TIDIG_COMP_CNT: 0
	.section	.text._ZN7rocprim17ROCPRIM_400000_NS6detail17trampoline_kernelINS0_14default_configENS1_25partition_config_selectorILNS1_17partition_subalgoE6EN6thrust23THRUST_200600_302600_NS5tupleIyyNS7_9null_typeES9_S9_S9_S9_S9_S9_S9_EENS0_10empty_typeEbEEZZNS1_14partition_implILS5_6ELb0ES3_mNS7_12zip_iteratorINS8_INS7_6detail15normal_iteratorINS7_10device_ptrIyEEEESJ_S9_S9_S9_S9_S9_S9_S9_S9_EEEEPSB_SM_NS0_5tupleIJNSE_INS8_ISJ_NS7_16discard_iteratorINS7_11use_defaultEEES9_S9_S9_S9_S9_S9_S9_S9_EEEESB_EEENSN_IJSM_SM_EEESB_PlJNSF_9not_fun_tINSF_14equal_to_valueISA_EEEEEEE10hipError_tPvRmT3_T4_T5_T6_T7_T9_mT8_P12ihipStream_tbDpT10_ENKUlT_T0_E_clISt17integral_constantIbLb1EES1I_IbLb0EEEEDaS1E_S1F_EUlS1E_E_NS1_11comp_targetILNS1_3genE5ELNS1_11target_archE942ELNS1_3gpuE9ELNS1_3repE0EEENS1_30default_config_static_selectorELNS0_4arch9wavefront6targetE0EEEvT1_,"axG",@progbits,_ZN7rocprim17ROCPRIM_400000_NS6detail17trampoline_kernelINS0_14default_configENS1_25partition_config_selectorILNS1_17partition_subalgoE6EN6thrust23THRUST_200600_302600_NS5tupleIyyNS7_9null_typeES9_S9_S9_S9_S9_S9_S9_EENS0_10empty_typeEbEEZZNS1_14partition_implILS5_6ELb0ES3_mNS7_12zip_iteratorINS8_INS7_6detail15normal_iteratorINS7_10device_ptrIyEEEESJ_S9_S9_S9_S9_S9_S9_S9_S9_EEEEPSB_SM_NS0_5tupleIJNSE_INS8_ISJ_NS7_16discard_iteratorINS7_11use_defaultEEES9_S9_S9_S9_S9_S9_S9_S9_EEEESB_EEENSN_IJSM_SM_EEESB_PlJNSF_9not_fun_tINSF_14equal_to_valueISA_EEEEEEE10hipError_tPvRmT3_T4_T5_T6_T7_T9_mT8_P12ihipStream_tbDpT10_ENKUlT_T0_E_clISt17integral_constantIbLb1EES1I_IbLb0EEEEDaS1E_S1F_EUlS1E_E_NS1_11comp_targetILNS1_3genE5ELNS1_11target_archE942ELNS1_3gpuE9ELNS1_3repE0EEENS1_30default_config_static_selectorELNS0_4arch9wavefront6targetE0EEEvT1_,comdat
	.protected	_ZN7rocprim17ROCPRIM_400000_NS6detail17trampoline_kernelINS0_14default_configENS1_25partition_config_selectorILNS1_17partition_subalgoE6EN6thrust23THRUST_200600_302600_NS5tupleIyyNS7_9null_typeES9_S9_S9_S9_S9_S9_S9_EENS0_10empty_typeEbEEZZNS1_14partition_implILS5_6ELb0ES3_mNS7_12zip_iteratorINS8_INS7_6detail15normal_iteratorINS7_10device_ptrIyEEEESJ_S9_S9_S9_S9_S9_S9_S9_S9_EEEEPSB_SM_NS0_5tupleIJNSE_INS8_ISJ_NS7_16discard_iteratorINS7_11use_defaultEEES9_S9_S9_S9_S9_S9_S9_S9_EEEESB_EEENSN_IJSM_SM_EEESB_PlJNSF_9not_fun_tINSF_14equal_to_valueISA_EEEEEEE10hipError_tPvRmT3_T4_T5_T6_T7_T9_mT8_P12ihipStream_tbDpT10_ENKUlT_T0_E_clISt17integral_constantIbLb1EES1I_IbLb0EEEEDaS1E_S1F_EUlS1E_E_NS1_11comp_targetILNS1_3genE5ELNS1_11target_archE942ELNS1_3gpuE9ELNS1_3repE0EEENS1_30default_config_static_selectorELNS0_4arch9wavefront6targetE0EEEvT1_ ; -- Begin function _ZN7rocprim17ROCPRIM_400000_NS6detail17trampoline_kernelINS0_14default_configENS1_25partition_config_selectorILNS1_17partition_subalgoE6EN6thrust23THRUST_200600_302600_NS5tupleIyyNS7_9null_typeES9_S9_S9_S9_S9_S9_S9_EENS0_10empty_typeEbEEZZNS1_14partition_implILS5_6ELb0ES3_mNS7_12zip_iteratorINS8_INS7_6detail15normal_iteratorINS7_10device_ptrIyEEEESJ_S9_S9_S9_S9_S9_S9_S9_S9_EEEEPSB_SM_NS0_5tupleIJNSE_INS8_ISJ_NS7_16discard_iteratorINS7_11use_defaultEEES9_S9_S9_S9_S9_S9_S9_S9_EEEESB_EEENSN_IJSM_SM_EEESB_PlJNSF_9not_fun_tINSF_14equal_to_valueISA_EEEEEEE10hipError_tPvRmT3_T4_T5_T6_T7_T9_mT8_P12ihipStream_tbDpT10_ENKUlT_T0_E_clISt17integral_constantIbLb1EES1I_IbLb0EEEEDaS1E_S1F_EUlS1E_E_NS1_11comp_targetILNS1_3genE5ELNS1_11target_archE942ELNS1_3gpuE9ELNS1_3repE0EEENS1_30default_config_static_selectorELNS0_4arch9wavefront6targetE0EEEvT1_
	.globl	_ZN7rocprim17ROCPRIM_400000_NS6detail17trampoline_kernelINS0_14default_configENS1_25partition_config_selectorILNS1_17partition_subalgoE6EN6thrust23THRUST_200600_302600_NS5tupleIyyNS7_9null_typeES9_S9_S9_S9_S9_S9_S9_EENS0_10empty_typeEbEEZZNS1_14partition_implILS5_6ELb0ES3_mNS7_12zip_iteratorINS8_INS7_6detail15normal_iteratorINS7_10device_ptrIyEEEESJ_S9_S9_S9_S9_S9_S9_S9_S9_EEEEPSB_SM_NS0_5tupleIJNSE_INS8_ISJ_NS7_16discard_iteratorINS7_11use_defaultEEES9_S9_S9_S9_S9_S9_S9_S9_EEEESB_EEENSN_IJSM_SM_EEESB_PlJNSF_9not_fun_tINSF_14equal_to_valueISA_EEEEEEE10hipError_tPvRmT3_T4_T5_T6_T7_T9_mT8_P12ihipStream_tbDpT10_ENKUlT_T0_E_clISt17integral_constantIbLb1EES1I_IbLb0EEEEDaS1E_S1F_EUlS1E_E_NS1_11comp_targetILNS1_3genE5ELNS1_11target_archE942ELNS1_3gpuE9ELNS1_3repE0EEENS1_30default_config_static_selectorELNS0_4arch9wavefront6targetE0EEEvT1_
	.p2align	8
	.type	_ZN7rocprim17ROCPRIM_400000_NS6detail17trampoline_kernelINS0_14default_configENS1_25partition_config_selectorILNS1_17partition_subalgoE6EN6thrust23THRUST_200600_302600_NS5tupleIyyNS7_9null_typeES9_S9_S9_S9_S9_S9_S9_EENS0_10empty_typeEbEEZZNS1_14partition_implILS5_6ELb0ES3_mNS7_12zip_iteratorINS8_INS7_6detail15normal_iteratorINS7_10device_ptrIyEEEESJ_S9_S9_S9_S9_S9_S9_S9_S9_EEEEPSB_SM_NS0_5tupleIJNSE_INS8_ISJ_NS7_16discard_iteratorINS7_11use_defaultEEES9_S9_S9_S9_S9_S9_S9_S9_EEEESB_EEENSN_IJSM_SM_EEESB_PlJNSF_9not_fun_tINSF_14equal_to_valueISA_EEEEEEE10hipError_tPvRmT3_T4_T5_T6_T7_T9_mT8_P12ihipStream_tbDpT10_ENKUlT_T0_E_clISt17integral_constantIbLb1EES1I_IbLb0EEEEDaS1E_S1F_EUlS1E_E_NS1_11comp_targetILNS1_3genE5ELNS1_11target_archE942ELNS1_3gpuE9ELNS1_3repE0EEENS1_30default_config_static_selectorELNS0_4arch9wavefront6targetE0EEEvT1_,@function
_ZN7rocprim17ROCPRIM_400000_NS6detail17trampoline_kernelINS0_14default_configENS1_25partition_config_selectorILNS1_17partition_subalgoE6EN6thrust23THRUST_200600_302600_NS5tupleIyyNS7_9null_typeES9_S9_S9_S9_S9_S9_S9_EENS0_10empty_typeEbEEZZNS1_14partition_implILS5_6ELb0ES3_mNS7_12zip_iteratorINS8_INS7_6detail15normal_iteratorINS7_10device_ptrIyEEEESJ_S9_S9_S9_S9_S9_S9_S9_S9_EEEEPSB_SM_NS0_5tupleIJNSE_INS8_ISJ_NS7_16discard_iteratorINS7_11use_defaultEEES9_S9_S9_S9_S9_S9_S9_S9_EEEESB_EEENSN_IJSM_SM_EEESB_PlJNSF_9not_fun_tINSF_14equal_to_valueISA_EEEEEEE10hipError_tPvRmT3_T4_T5_T6_T7_T9_mT8_P12ihipStream_tbDpT10_ENKUlT_T0_E_clISt17integral_constantIbLb1EES1I_IbLb0EEEEDaS1E_S1F_EUlS1E_E_NS1_11comp_targetILNS1_3genE5ELNS1_11target_archE942ELNS1_3gpuE9ELNS1_3repE0EEENS1_30default_config_static_selectorELNS0_4arch9wavefront6targetE0EEEvT1_: ; @_ZN7rocprim17ROCPRIM_400000_NS6detail17trampoline_kernelINS0_14default_configENS1_25partition_config_selectorILNS1_17partition_subalgoE6EN6thrust23THRUST_200600_302600_NS5tupleIyyNS7_9null_typeES9_S9_S9_S9_S9_S9_S9_EENS0_10empty_typeEbEEZZNS1_14partition_implILS5_6ELb0ES3_mNS7_12zip_iteratorINS8_INS7_6detail15normal_iteratorINS7_10device_ptrIyEEEESJ_S9_S9_S9_S9_S9_S9_S9_S9_EEEEPSB_SM_NS0_5tupleIJNSE_INS8_ISJ_NS7_16discard_iteratorINS7_11use_defaultEEES9_S9_S9_S9_S9_S9_S9_S9_EEEESB_EEENSN_IJSM_SM_EEESB_PlJNSF_9not_fun_tINSF_14equal_to_valueISA_EEEEEEE10hipError_tPvRmT3_T4_T5_T6_T7_T9_mT8_P12ihipStream_tbDpT10_ENKUlT_T0_E_clISt17integral_constantIbLb1EES1I_IbLb0EEEEDaS1E_S1F_EUlS1E_E_NS1_11comp_targetILNS1_3genE5ELNS1_11target_archE942ELNS1_3gpuE9ELNS1_3repE0EEENS1_30default_config_static_selectorELNS0_4arch9wavefront6targetE0EEEvT1_
; %bb.0:
	.section	.rodata,"a",@progbits
	.p2align	6, 0x0
	.amdhsa_kernel _ZN7rocprim17ROCPRIM_400000_NS6detail17trampoline_kernelINS0_14default_configENS1_25partition_config_selectorILNS1_17partition_subalgoE6EN6thrust23THRUST_200600_302600_NS5tupleIyyNS7_9null_typeES9_S9_S9_S9_S9_S9_S9_EENS0_10empty_typeEbEEZZNS1_14partition_implILS5_6ELb0ES3_mNS7_12zip_iteratorINS8_INS7_6detail15normal_iteratorINS7_10device_ptrIyEEEESJ_S9_S9_S9_S9_S9_S9_S9_S9_EEEEPSB_SM_NS0_5tupleIJNSE_INS8_ISJ_NS7_16discard_iteratorINS7_11use_defaultEEES9_S9_S9_S9_S9_S9_S9_S9_EEEESB_EEENSN_IJSM_SM_EEESB_PlJNSF_9not_fun_tINSF_14equal_to_valueISA_EEEEEEE10hipError_tPvRmT3_T4_T5_T6_T7_T9_mT8_P12ihipStream_tbDpT10_ENKUlT_T0_E_clISt17integral_constantIbLb1EES1I_IbLb0EEEEDaS1E_S1F_EUlS1E_E_NS1_11comp_targetILNS1_3genE5ELNS1_11target_archE942ELNS1_3gpuE9ELNS1_3repE0EEENS1_30default_config_static_selectorELNS0_4arch9wavefront6targetE0EEEvT1_
		.amdhsa_group_segment_fixed_size 0
		.amdhsa_private_segment_fixed_size 0
		.amdhsa_kernarg_size 152
		.amdhsa_user_sgpr_count 2
		.amdhsa_user_sgpr_dispatch_ptr 0
		.amdhsa_user_sgpr_queue_ptr 0
		.amdhsa_user_sgpr_kernarg_segment_ptr 1
		.amdhsa_user_sgpr_dispatch_id 0
		.amdhsa_user_sgpr_private_segment_size 0
		.amdhsa_wavefront_size32 1
		.amdhsa_uses_dynamic_stack 0
		.amdhsa_enable_private_segment 0
		.amdhsa_system_sgpr_workgroup_id_x 1
		.amdhsa_system_sgpr_workgroup_id_y 0
		.amdhsa_system_sgpr_workgroup_id_z 0
		.amdhsa_system_sgpr_workgroup_info 0
		.amdhsa_system_vgpr_workitem_id 0
		.amdhsa_next_free_vgpr 1
		.amdhsa_next_free_sgpr 1
		.amdhsa_reserve_vcc 0
		.amdhsa_float_round_mode_32 0
		.amdhsa_float_round_mode_16_64 0
		.amdhsa_float_denorm_mode_32 3
		.amdhsa_float_denorm_mode_16_64 3
		.amdhsa_fp16_overflow 0
		.amdhsa_workgroup_processor_mode 1
		.amdhsa_memory_ordered 1
		.amdhsa_forward_progress 1
		.amdhsa_inst_pref_size 0
		.amdhsa_round_robin_scheduling 0
		.amdhsa_exception_fp_ieee_invalid_op 0
		.amdhsa_exception_fp_denorm_src 0
		.amdhsa_exception_fp_ieee_div_zero 0
		.amdhsa_exception_fp_ieee_overflow 0
		.amdhsa_exception_fp_ieee_underflow 0
		.amdhsa_exception_fp_ieee_inexact 0
		.amdhsa_exception_int_div_zero 0
	.end_amdhsa_kernel
	.section	.text._ZN7rocprim17ROCPRIM_400000_NS6detail17trampoline_kernelINS0_14default_configENS1_25partition_config_selectorILNS1_17partition_subalgoE6EN6thrust23THRUST_200600_302600_NS5tupleIyyNS7_9null_typeES9_S9_S9_S9_S9_S9_S9_EENS0_10empty_typeEbEEZZNS1_14partition_implILS5_6ELb0ES3_mNS7_12zip_iteratorINS8_INS7_6detail15normal_iteratorINS7_10device_ptrIyEEEESJ_S9_S9_S9_S9_S9_S9_S9_S9_EEEEPSB_SM_NS0_5tupleIJNSE_INS8_ISJ_NS7_16discard_iteratorINS7_11use_defaultEEES9_S9_S9_S9_S9_S9_S9_S9_EEEESB_EEENSN_IJSM_SM_EEESB_PlJNSF_9not_fun_tINSF_14equal_to_valueISA_EEEEEEE10hipError_tPvRmT3_T4_T5_T6_T7_T9_mT8_P12ihipStream_tbDpT10_ENKUlT_T0_E_clISt17integral_constantIbLb1EES1I_IbLb0EEEEDaS1E_S1F_EUlS1E_E_NS1_11comp_targetILNS1_3genE5ELNS1_11target_archE942ELNS1_3gpuE9ELNS1_3repE0EEENS1_30default_config_static_selectorELNS0_4arch9wavefront6targetE0EEEvT1_,"axG",@progbits,_ZN7rocprim17ROCPRIM_400000_NS6detail17trampoline_kernelINS0_14default_configENS1_25partition_config_selectorILNS1_17partition_subalgoE6EN6thrust23THRUST_200600_302600_NS5tupleIyyNS7_9null_typeES9_S9_S9_S9_S9_S9_S9_EENS0_10empty_typeEbEEZZNS1_14partition_implILS5_6ELb0ES3_mNS7_12zip_iteratorINS8_INS7_6detail15normal_iteratorINS7_10device_ptrIyEEEESJ_S9_S9_S9_S9_S9_S9_S9_S9_EEEEPSB_SM_NS0_5tupleIJNSE_INS8_ISJ_NS7_16discard_iteratorINS7_11use_defaultEEES9_S9_S9_S9_S9_S9_S9_S9_EEEESB_EEENSN_IJSM_SM_EEESB_PlJNSF_9not_fun_tINSF_14equal_to_valueISA_EEEEEEE10hipError_tPvRmT3_T4_T5_T6_T7_T9_mT8_P12ihipStream_tbDpT10_ENKUlT_T0_E_clISt17integral_constantIbLb1EES1I_IbLb0EEEEDaS1E_S1F_EUlS1E_E_NS1_11comp_targetILNS1_3genE5ELNS1_11target_archE942ELNS1_3gpuE9ELNS1_3repE0EEENS1_30default_config_static_selectorELNS0_4arch9wavefront6targetE0EEEvT1_,comdat
.Lfunc_end1902:
	.size	_ZN7rocprim17ROCPRIM_400000_NS6detail17trampoline_kernelINS0_14default_configENS1_25partition_config_selectorILNS1_17partition_subalgoE6EN6thrust23THRUST_200600_302600_NS5tupleIyyNS7_9null_typeES9_S9_S9_S9_S9_S9_S9_EENS0_10empty_typeEbEEZZNS1_14partition_implILS5_6ELb0ES3_mNS7_12zip_iteratorINS8_INS7_6detail15normal_iteratorINS7_10device_ptrIyEEEESJ_S9_S9_S9_S9_S9_S9_S9_S9_EEEEPSB_SM_NS0_5tupleIJNSE_INS8_ISJ_NS7_16discard_iteratorINS7_11use_defaultEEES9_S9_S9_S9_S9_S9_S9_S9_EEEESB_EEENSN_IJSM_SM_EEESB_PlJNSF_9not_fun_tINSF_14equal_to_valueISA_EEEEEEE10hipError_tPvRmT3_T4_T5_T6_T7_T9_mT8_P12ihipStream_tbDpT10_ENKUlT_T0_E_clISt17integral_constantIbLb1EES1I_IbLb0EEEEDaS1E_S1F_EUlS1E_E_NS1_11comp_targetILNS1_3genE5ELNS1_11target_archE942ELNS1_3gpuE9ELNS1_3repE0EEENS1_30default_config_static_selectorELNS0_4arch9wavefront6targetE0EEEvT1_, .Lfunc_end1902-_ZN7rocprim17ROCPRIM_400000_NS6detail17trampoline_kernelINS0_14default_configENS1_25partition_config_selectorILNS1_17partition_subalgoE6EN6thrust23THRUST_200600_302600_NS5tupleIyyNS7_9null_typeES9_S9_S9_S9_S9_S9_S9_EENS0_10empty_typeEbEEZZNS1_14partition_implILS5_6ELb0ES3_mNS7_12zip_iteratorINS8_INS7_6detail15normal_iteratorINS7_10device_ptrIyEEEESJ_S9_S9_S9_S9_S9_S9_S9_S9_EEEEPSB_SM_NS0_5tupleIJNSE_INS8_ISJ_NS7_16discard_iteratorINS7_11use_defaultEEES9_S9_S9_S9_S9_S9_S9_S9_EEEESB_EEENSN_IJSM_SM_EEESB_PlJNSF_9not_fun_tINSF_14equal_to_valueISA_EEEEEEE10hipError_tPvRmT3_T4_T5_T6_T7_T9_mT8_P12ihipStream_tbDpT10_ENKUlT_T0_E_clISt17integral_constantIbLb1EES1I_IbLb0EEEEDaS1E_S1F_EUlS1E_E_NS1_11comp_targetILNS1_3genE5ELNS1_11target_archE942ELNS1_3gpuE9ELNS1_3repE0EEENS1_30default_config_static_selectorELNS0_4arch9wavefront6targetE0EEEvT1_
                                        ; -- End function
	.set _ZN7rocprim17ROCPRIM_400000_NS6detail17trampoline_kernelINS0_14default_configENS1_25partition_config_selectorILNS1_17partition_subalgoE6EN6thrust23THRUST_200600_302600_NS5tupleIyyNS7_9null_typeES9_S9_S9_S9_S9_S9_S9_EENS0_10empty_typeEbEEZZNS1_14partition_implILS5_6ELb0ES3_mNS7_12zip_iteratorINS8_INS7_6detail15normal_iteratorINS7_10device_ptrIyEEEESJ_S9_S9_S9_S9_S9_S9_S9_S9_EEEEPSB_SM_NS0_5tupleIJNSE_INS8_ISJ_NS7_16discard_iteratorINS7_11use_defaultEEES9_S9_S9_S9_S9_S9_S9_S9_EEEESB_EEENSN_IJSM_SM_EEESB_PlJNSF_9not_fun_tINSF_14equal_to_valueISA_EEEEEEE10hipError_tPvRmT3_T4_T5_T6_T7_T9_mT8_P12ihipStream_tbDpT10_ENKUlT_T0_E_clISt17integral_constantIbLb1EES1I_IbLb0EEEEDaS1E_S1F_EUlS1E_E_NS1_11comp_targetILNS1_3genE5ELNS1_11target_archE942ELNS1_3gpuE9ELNS1_3repE0EEENS1_30default_config_static_selectorELNS0_4arch9wavefront6targetE0EEEvT1_.num_vgpr, 0
	.set _ZN7rocprim17ROCPRIM_400000_NS6detail17trampoline_kernelINS0_14default_configENS1_25partition_config_selectorILNS1_17partition_subalgoE6EN6thrust23THRUST_200600_302600_NS5tupleIyyNS7_9null_typeES9_S9_S9_S9_S9_S9_S9_EENS0_10empty_typeEbEEZZNS1_14partition_implILS5_6ELb0ES3_mNS7_12zip_iteratorINS8_INS7_6detail15normal_iteratorINS7_10device_ptrIyEEEESJ_S9_S9_S9_S9_S9_S9_S9_S9_EEEEPSB_SM_NS0_5tupleIJNSE_INS8_ISJ_NS7_16discard_iteratorINS7_11use_defaultEEES9_S9_S9_S9_S9_S9_S9_S9_EEEESB_EEENSN_IJSM_SM_EEESB_PlJNSF_9not_fun_tINSF_14equal_to_valueISA_EEEEEEE10hipError_tPvRmT3_T4_T5_T6_T7_T9_mT8_P12ihipStream_tbDpT10_ENKUlT_T0_E_clISt17integral_constantIbLb1EES1I_IbLb0EEEEDaS1E_S1F_EUlS1E_E_NS1_11comp_targetILNS1_3genE5ELNS1_11target_archE942ELNS1_3gpuE9ELNS1_3repE0EEENS1_30default_config_static_selectorELNS0_4arch9wavefront6targetE0EEEvT1_.num_agpr, 0
	.set _ZN7rocprim17ROCPRIM_400000_NS6detail17trampoline_kernelINS0_14default_configENS1_25partition_config_selectorILNS1_17partition_subalgoE6EN6thrust23THRUST_200600_302600_NS5tupleIyyNS7_9null_typeES9_S9_S9_S9_S9_S9_S9_EENS0_10empty_typeEbEEZZNS1_14partition_implILS5_6ELb0ES3_mNS7_12zip_iteratorINS8_INS7_6detail15normal_iteratorINS7_10device_ptrIyEEEESJ_S9_S9_S9_S9_S9_S9_S9_S9_EEEEPSB_SM_NS0_5tupleIJNSE_INS8_ISJ_NS7_16discard_iteratorINS7_11use_defaultEEES9_S9_S9_S9_S9_S9_S9_S9_EEEESB_EEENSN_IJSM_SM_EEESB_PlJNSF_9not_fun_tINSF_14equal_to_valueISA_EEEEEEE10hipError_tPvRmT3_T4_T5_T6_T7_T9_mT8_P12ihipStream_tbDpT10_ENKUlT_T0_E_clISt17integral_constantIbLb1EES1I_IbLb0EEEEDaS1E_S1F_EUlS1E_E_NS1_11comp_targetILNS1_3genE5ELNS1_11target_archE942ELNS1_3gpuE9ELNS1_3repE0EEENS1_30default_config_static_selectorELNS0_4arch9wavefront6targetE0EEEvT1_.numbered_sgpr, 0
	.set _ZN7rocprim17ROCPRIM_400000_NS6detail17trampoline_kernelINS0_14default_configENS1_25partition_config_selectorILNS1_17partition_subalgoE6EN6thrust23THRUST_200600_302600_NS5tupleIyyNS7_9null_typeES9_S9_S9_S9_S9_S9_S9_EENS0_10empty_typeEbEEZZNS1_14partition_implILS5_6ELb0ES3_mNS7_12zip_iteratorINS8_INS7_6detail15normal_iteratorINS7_10device_ptrIyEEEESJ_S9_S9_S9_S9_S9_S9_S9_S9_EEEEPSB_SM_NS0_5tupleIJNSE_INS8_ISJ_NS7_16discard_iteratorINS7_11use_defaultEEES9_S9_S9_S9_S9_S9_S9_S9_EEEESB_EEENSN_IJSM_SM_EEESB_PlJNSF_9not_fun_tINSF_14equal_to_valueISA_EEEEEEE10hipError_tPvRmT3_T4_T5_T6_T7_T9_mT8_P12ihipStream_tbDpT10_ENKUlT_T0_E_clISt17integral_constantIbLb1EES1I_IbLb0EEEEDaS1E_S1F_EUlS1E_E_NS1_11comp_targetILNS1_3genE5ELNS1_11target_archE942ELNS1_3gpuE9ELNS1_3repE0EEENS1_30default_config_static_selectorELNS0_4arch9wavefront6targetE0EEEvT1_.num_named_barrier, 0
	.set _ZN7rocprim17ROCPRIM_400000_NS6detail17trampoline_kernelINS0_14default_configENS1_25partition_config_selectorILNS1_17partition_subalgoE6EN6thrust23THRUST_200600_302600_NS5tupleIyyNS7_9null_typeES9_S9_S9_S9_S9_S9_S9_EENS0_10empty_typeEbEEZZNS1_14partition_implILS5_6ELb0ES3_mNS7_12zip_iteratorINS8_INS7_6detail15normal_iteratorINS7_10device_ptrIyEEEESJ_S9_S9_S9_S9_S9_S9_S9_S9_EEEEPSB_SM_NS0_5tupleIJNSE_INS8_ISJ_NS7_16discard_iteratorINS7_11use_defaultEEES9_S9_S9_S9_S9_S9_S9_S9_EEEESB_EEENSN_IJSM_SM_EEESB_PlJNSF_9not_fun_tINSF_14equal_to_valueISA_EEEEEEE10hipError_tPvRmT3_T4_T5_T6_T7_T9_mT8_P12ihipStream_tbDpT10_ENKUlT_T0_E_clISt17integral_constantIbLb1EES1I_IbLb0EEEEDaS1E_S1F_EUlS1E_E_NS1_11comp_targetILNS1_3genE5ELNS1_11target_archE942ELNS1_3gpuE9ELNS1_3repE0EEENS1_30default_config_static_selectorELNS0_4arch9wavefront6targetE0EEEvT1_.private_seg_size, 0
	.set _ZN7rocprim17ROCPRIM_400000_NS6detail17trampoline_kernelINS0_14default_configENS1_25partition_config_selectorILNS1_17partition_subalgoE6EN6thrust23THRUST_200600_302600_NS5tupleIyyNS7_9null_typeES9_S9_S9_S9_S9_S9_S9_EENS0_10empty_typeEbEEZZNS1_14partition_implILS5_6ELb0ES3_mNS7_12zip_iteratorINS8_INS7_6detail15normal_iteratorINS7_10device_ptrIyEEEESJ_S9_S9_S9_S9_S9_S9_S9_S9_EEEEPSB_SM_NS0_5tupleIJNSE_INS8_ISJ_NS7_16discard_iteratorINS7_11use_defaultEEES9_S9_S9_S9_S9_S9_S9_S9_EEEESB_EEENSN_IJSM_SM_EEESB_PlJNSF_9not_fun_tINSF_14equal_to_valueISA_EEEEEEE10hipError_tPvRmT3_T4_T5_T6_T7_T9_mT8_P12ihipStream_tbDpT10_ENKUlT_T0_E_clISt17integral_constantIbLb1EES1I_IbLb0EEEEDaS1E_S1F_EUlS1E_E_NS1_11comp_targetILNS1_3genE5ELNS1_11target_archE942ELNS1_3gpuE9ELNS1_3repE0EEENS1_30default_config_static_selectorELNS0_4arch9wavefront6targetE0EEEvT1_.uses_vcc, 0
	.set _ZN7rocprim17ROCPRIM_400000_NS6detail17trampoline_kernelINS0_14default_configENS1_25partition_config_selectorILNS1_17partition_subalgoE6EN6thrust23THRUST_200600_302600_NS5tupleIyyNS7_9null_typeES9_S9_S9_S9_S9_S9_S9_EENS0_10empty_typeEbEEZZNS1_14partition_implILS5_6ELb0ES3_mNS7_12zip_iteratorINS8_INS7_6detail15normal_iteratorINS7_10device_ptrIyEEEESJ_S9_S9_S9_S9_S9_S9_S9_S9_EEEEPSB_SM_NS0_5tupleIJNSE_INS8_ISJ_NS7_16discard_iteratorINS7_11use_defaultEEES9_S9_S9_S9_S9_S9_S9_S9_EEEESB_EEENSN_IJSM_SM_EEESB_PlJNSF_9not_fun_tINSF_14equal_to_valueISA_EEEEEEE10hipError_tPvRmT3_T4_T5_T6_T7_T9_mT8_P12ihipStream_tbDpT10_ENKUlT_T0_E_clISt17integral_constantIbLb1EES1I_IbLb0EEEEDaS1E_S1F_EUlS1E_E_NS1_11comp_targetILNS1_3genE5ELNS1_11target_archE942ELNS1_3gpuE9ELNS1_3repE0EEENS1_30default_config_static_selectorELNS0_4arch9wavefront6targetE0EEEvT1_.uses_flat_scratch, 0
	.set _ZN7rocprim17ROCPRIM_400000_NS6detail17trampoline_kernelINS0_14default_configENS1_25partition_config_selectorILNS1_17partition_subalgoE6EN6thrust23THRUST_200600_302600_NS5tupleIyyNS7_9null_typeES9_S9_S9_S9_S9_S9_S9_EENS0_10empty_typeEbEEZZNS1_14partition_implILS5_6ELb0ES3_mNS7_12zip_iteratorINS8_INS7_6detail15normal_iteratorINS7_10device_ptrIyEEEESJ_S9_S9_S9_S9_S9_S9_S9_S9_EEEEPSB_SM_NS0_5tupleIJNSE_INS8_ISJ_NS7_16discard_iteratorINS7_11use_defaultEEES9_S9_S9_S9_S9_S9_S9_S9_EEEESB_EEENSN_IJSM_SM_EEESB_PlJNSF_9not_fun_tINSF_14equal_to_valueISA_EEEEEEE10hipError_tPvRmT3_T4_T5_T6_T7_T9_mT8_P12ihipStream_tbDpT10_ENKUlT_T0_E_clISt17integral_constantIbLb1EES1I_IbLb0EEEEDaS1E_S1F_EUlS1E_E_NS1_11comp_targetILNS1_3genE5ELNS1_11target_archE942ELNS1_3gpuE9ELNS1_3repE0EEENS1_30default_config_static_selectorELNS0_4arch9wavefront6targetE0EEEvT1_.has_dyn_sized_stack, 0
	.set _ZN7rocprim17ROCPRIM_400000_NS6detail17trampoline_kernelINS0_14default_configENS1_25partition_config_selectorILNS1_17partition_subalgoE6EN6thrust23THRUST_200600_302600_NS5tupleIyyNS7_9null_typeES9_S9_S9_S9_S9_S9_S9_EENS0_10empty_typeEbEEZZNS1_14partition_implILS5_6ELb0ES3_mNS7_12zip_iteratorINS8_INS7_6detail15normal_iteratorINS7_10device_ptrIyEEEESJ_S9_S9_S9_S9_S9_S9_S9_S9_EEEEPSB_SM_NS0_5tupleIJNSE_INS8_ISJ_NS7_16discard_iteratorINS7_11use_defaultEEES9_S9_S9_S9_S9_S9_S9_S9_EEEESB_EEENSN_IJSM_SM_EEESB_PlJNSF_9not_fun_tINSF_14equal_to_valueISA_EEEEEEE10hipError_tPvRmT3_T4_T5_T6_T7_T9_mT8_P12ihipStream_tbDpT10_ENKUlT_T0_E_clISt17integral_constantIbLb1EES1I_IbLb0EEEEDaS1E_S1F_EUlS1E_E_NS1_11comp_targetILNS1_3genE5ELNS1_11target_archE942ELNS1_3gpuE9ELNS1_3repE0EEENS1_30default_config_static_selectorELNS0_4arch9wavefront6targetE0EEEvT1_.has_recursion, 0
	.set _ZN7rocprim17ROCPRIM_400000_NS6detail17trampoline_kernelINS0_14default_configENS1_25partition_config_selectorILNS1_17partition_subalgoE6EN6thrust23THRUST_200600_302600_NS5tupleIyyNS7_9null_typeES9_S9_S9_S9_S9_S9_S9_EENS0_10empty_typeEbEEZZNS1_14partition_implILS5_6ELb0ES3_mNS7_12zip_iteratorINS8_INS7_6detail15normal_iteratorINS7_10device_ptrIyEEEESJ_S9_S9_S9_S9_S9_S9_S9_S9_EEEEPSB_SM_NS0_5tupleIJNSE_INS8_ISJ_NS7_16discard_iteratorINS7_11use_defaultEEES9_S9_S9_S9_S9_S9_S9_S9_EEEESB_EEENSN_IJSM_SM_EEESB_PlJNSF_9not_fun_tINSF_14equal_to_valueISA_EEEEEEE10hipError_tPvRmT3_T4_T5_T6_T7_T9_mT8_P12ihipStream_tbDpT10_ENKUlT_T0_E_clISt17integral_constantIbLb1EES1I_IbLb0EEEEDaS1E_S1F_EUlS1E_E_NS1_11comp_targetILNS1_3genE5ELNS1_11target_archE942ELNS1_3gpuE9ELNS1_3repE0EEENS1_30default_config_static_selectorELNS0_4arch9wavefront6targetE0EEEvT1_.has_indirect_call, 0
	.section	.AMDGPU.csdata,"",@progbits
; Kernel info:
; codeLenInByte = 0
; TotalNumSgprs: 0
; NumVgprs: 0
; ScratchSize: 0
; MemoryBound: 0
; FloatMode: 240
; IeeeMode: 1
; LDSByteSize: 0 bytes/workgroup (compile time only)
; SGPRBlocks: 0
; VGPRBlocks: 0
; NumSGPRsForWavesPerEU: 1
; NumVGPRsForWavesPerEU: 1
; Occupancy: 16
; WaveLimiterHint : 0
; COMPUTE_PGM_RSRC2:SCRATCH_EN: 0
; COMPUTE_PGM_RSRC2:USER_SGPR: 2
; COMPUTE_PGM_RSRC2:TRAP_HANDLER: 0
; COMPUTE_PGM_RSRC2:TGID_X_EN: 1
; COMPUTE_PGM_RSRC2:TGID_Y_EN: 0
; COMPUTE_PGM_RSRC2:TGID_Z_EN: 0
; COMPUTE_PGM_RSRC2:TIDIG_COMP_CNT: 0
	.section	.text._ZN7rocprim17ROCPRIM_400000_NS6detail17trampoline_kernelINS0_14default_configENS1_25partition_config_selectorILNS1_17partition_subalgoE6EN6thrust23THRUST_200600_302600_NS5tupleIyyNS7_9null_typeES9_S9_S9_S9_S9_S9_S9_EENS0_10empty_typeEbEEZZNS1_14partition_implILS5_6ELb0ES3_mNS7_12zip_iteratorINS8_INS7_6detail15normal_iteratorINS7_10device_ptrIyEEEESJ_S9_S9_S9_S9_S9_S9_S9_S9_EEEEPSB_SM_NS0_5tupleIJNSE_INS8_ISJ_NS7_16discard_iteratorINS7_11use_defaultEEES9_S9_S9_S9_S9_S9_S9_S9_EEEESB_EEENSN_IJSM_SM_EEESB_PlJNSF_9not_fun_tINSF_14equal_to_valueISA_EEEEEEE10hipError_tPvRmT3_T4_T5_T6_T7_T9_mT8_P12ihipStream_tbDpT10_ENKUlT_T0_E_clISt17integral_constantIbLb1EES1I_IbLb0EEEEDaS1E_S1F_EUlS1E_E_NS1_11comp_targetILNS1_3genE4ELNS1_11target_archE910ELNS1_3gpuE8ELNS1_3repE0EEENS1_30default_config_static_selectorELNS0_4arch9wavefront6targetE0EEEvT1_,"axG",@progbits,_ZN7rocprim17ROCPRIM_400000_NS6detail17trampoline_kernelINS0_14default_configENS1_25partition_config_selectorILNS1_17partition_subalgoE6EN6thrust23THRUST_200600_302600_NS5tupleIyyNS7_9null_typeES9_S9_S9_S9_S9_S9_S9_EENS0_10empty_typeEbEEZZNS1_14partition_implILS5_6ELb0ES3_mNS7_12zip_iteratorINS8_INS7_6detail15normal_iteratorINS7_10device_ptrIyEEEESJ_S9_S9_S9_S9_S9_S9_S9_S9_EEEEPSB_SM_NS0_5tupleIJNSE_INS8_ISJ_NS7_16discard_iteratorINS7_11use_defaultEEES9_S9_S9_S9_S9_S9_S9_S9_EEEESB_EEENSN_IJSM_SM_EEESB_PlJNSF_9not_fun_tINSF_14equal_to_valueISA_EEEEEEE10hipError_tPvRmT3_T4_T5_T6_T7_T9_mT8_P12ihipStream_tbDpT10_ENKUlT_T0_E_clISt17integral_constantIbLb1EES1I_IbLb0EEEEDaS1E_S1F_EUlS1E_E_NS1_11comp_targetILNS1_3genE4ELNS1_11target_archE910ELNS1_3gpuE8ELNS1_3repE0EEENS1_30default_config_static_selectorELNS0_4arch9wavefront6targetE0EEEvT1_,comdat
	.protected	_ZN7rocprim17ROCPRIM_400000_NS6detail17trampoline_kernelINS0_14default_configENS1_25partition_config_selectorILNS1_17partition_subalgoE6EN6thrust23THRUST_200600_302600_NS5tupleIyyNS7_9null_typeES9_S9_S9_S9_S9_S9_S9_EENS0_10empty_typeEbEEZZNS1_14partition_implILS5_6ELb0ES3_mNS7_12zip_iteratorINS8_INS7_6detail15normal_iteratorINS7_10device_ptrIyEEEESJ_S9_S9_S9_S9_S9_S9_S9_S9_EEEEPSB_SM_NS0_5tupleIJNSE_INS8_ISJ_NS7_16discard_iteratorINS7_11use_defaultEEES9_S9_S9_S9_S9_S9_S9_S9_EEEESB_EEENSN_IJSM_SM_EEESB_PlJNSF_9not_fun_tINSF_14equal_to_valueISA_EEEEEEE10hipError_tPvRmT3_T4_T5_T6_T7_T9_mT8_P12ihipStream_tbDpT10_ENKUlT_T0_E_clISt17integral_constantIbLb1EES1I_IbLb0EEEEDaS1E_S1F_EUlS1E_E_NS1_11comp_targetILNS1_3genE4ELNS1_11target_archE910ELNS1_3gpuE8ELNS1_3repE0EEENS1_30default_config_static_selectorELNS0_4arch9wavefront6targetE0EEEvT1_ ; -- Begin function _ZN7rocprim17ROCPRIM_400000_NS6detail17trampoline_kernelINS0_14default_configENS1_25partition_config_selectorILNS1_17partition_subalgoE6EN6thrust23THRUST_200600_302600_NS5tupleIyyNS7_9null_typeES9_S9_S9_S9_S9_S9_S9_EENS0_10empty_typeEbEEZZNS1_14partition_implILS5_6ELb0ES3_mNS7_12zip_iteratorINS8_INS7_6detail15normal_iteratorINS7_10device_ptrIyEEEESJ_S9_S9_S9_S9_S9_S9_S9_S9_EEEEPSB_SM_NS0_5tupleIJNSE_INS8_ISJ_NS7_16discard_iteratorINS7_11use_defaultEEES9_S9_S9_S9_S9_S9_S9_S9_EEEESB_EEENSN_IJSM_SM_EEESB_PlJNSF_9not_fun_tINSF_14equal_to_valueISA_EEEEEEE10hipError_tPvRmT3_T4_T5_T6_T7_T9_mT8_P12ihipStream_tbDpT10_ENKUlT_T0_E_clISt17integral_constantIbLb1EES1I_IbLb0EEEEDaS1E_S1F_EUlS1E_E_NS1_11comp_targetILNS1_3genE4ELNS1_11target_archE910ELNS1_3gpuE8ELNS1_3repE0EEENS1_30default_config_static_selectorELNS0_4arch9wavefront6targetE0EEEvT1_
	.globl	_ZN7rocprim17ROCPRIM_400000_NS6detail17trampoline_kernelINS0_14default_configENS1_25partition_config_selectorILNS1_17partition_subalgoE6EN6thrust23THRUST_200600_302600_NS5tupleIyyNS7_9null_typeES9_S9_S9_S9_S9_S9_S9_EENS0_10empty_typeEbEEZZNS1_14partition_implILS5_6ELb0ES3_mNS7_12zip_iteratorINS8_INS7_6detail15normal_iteratorINS7_10device_ptrIyEEEESJ_S9_S9_S9_S9_S9_S9_S9_S9_EEEEPSB_SM_NS0_5tupleIJNSE_INS8_ISJ_NS7_16discard_iteratorINS7_11use_defaultEEES9_S9_S9_S9_S9_S9_S9_S9_EEEESB_EEENSN_IJSM_SM_EEESB_PlJNSF_9not_fun_tINSF_14equal_to_valueISA_EEEEEEE10hipError_tPvRmT3_T4_T5_T6_T7_T9_mT8_P12ihipStream_tbDpT10_ENKUlT_T0_E_clISt17integral_constantIbLb1EES1I_IbLb0EEEEDaS1E_S1F_EUlS1E_E_NS1_11comp_targetILNS1_3genE4ELNS1_11target_archE910ELNS1_3gpuE8ELNS1_3repE0EEENS1_30default_config_static_selectorELNS0_4arch9wavefront6targetE0EEEvT1_
	.p2align	8
	.type	_ZN7rocprim17ROCPRIM_400000_NS6detail17trampoline_kernelINS0_14default_configENS1_25partition_config_selectorILNS1_17partition_subalgoE6EN6thrust23THRUST_200600_302600_NS5tupleIyyNS7_9null_typeES9_S9_S9_S9_S9_S9_S9_EENS0_10empty_typeEbEEZZNS1_14partition_implILS5_6ELb0ES3_mNS7_12zip_iteratorINS8_INS7_6detail15normal_iteratorINS7_10device_ptrIyEEEESJ_S9_S9_S9_S9_S9_S9_S9_S9_EEEEPSB_SM_NS0_5tupleIJNSE_INS8_ISJ_NS7_16discard_iteratorINS7_11use_defaultEEES9_S9_S9_S9_S9_S9_S9_S9_EEEESB_EEENSN_IJSM_SM_EEESB_PlJNSF_9not_fun_tINSF_14equal_to_valueISA_EEEEEEE10hipError_tPvRmT3_T4_T5_T6_T7_T9_mT8_P12ihipStream_tbDpT10_ENKUlT_T0_E_clISt17integral_constantIbLb1EES1I_IbLb0EEEEDaS1E_S1F_EUlS1E_E_NS1_11comp_targetILNS1_3genE4ELNS1_11target_archE910ELNS1_3gpuE8ELNS1_3repE0EEENS1_30default_config_static_selectorELNS0_4arch9wavefront6targetE0EEEvT1_,@function
_ZN7rocprim17ROCPRIM_400000_NS6detail17trampoline_kernelINS0_14default_configENS1_25partition_config_selectorILNS1_17partition_subalgoE6EN6thrust23THRUST_200600_302600_NS5tupleIyyNS7_9null_typeES9_S9_S9_S9_S9_S9_S9_EENS0_10empty_typeEbEEZZNS1_14partition_implILS5_6ELb0ES3_mNS7_12zip_iteratorINS8_INS7_6detail15normal_iteratorINS7_10device_ptrIyEEEESJ_S9_S9_S9_S9_S9_S9_S9_S9_EEEEPSB_SM_NS0_5tupleIJNSE_INS8_ISJ_NS7_16discard_iteratorINS7_11use_defaultEEES9_S9_S9_S9_S9_S9_S9_S9_EEEESB_EEENSN_IJSM_SM_EEESB_PlJNSF_9not_fun_tINSF_14equal_to_valueISA_EEEEEEE10hipError_tPvRmT3_T4_T5_T6_T7_T9_mT8_P12ihipStream_tbDpT10_ENKUlT_T0_E_clISt17integral_constantIbLb1EES1I_IbLb0EEEEDaS1E_S1F_EUlS1E_E_NS1_11comp_targetILNS1_3genE4ELNS1_11target_archE910ELNS1_3gpuE8ELNS1_3repE0EEENS1_30default_config_static_selectorELNS0_4arch9wavefront6targetE0EEEvT1_: ; @_ZN7rocprim17ROCPRIM_400000_NS6detail17trampoline_kernelINS0_14default_configENS1_25partition_config_selectorILNS1_17partition_subalgoE6EN6thrust23THRUST_200600_302600_NS5tupleIyyNS7_9null_typeES9_S9_S9_S9_S9_S9_S9_EENS0_10empty_typeEbEEZZNS1_14partition_implILS5_6ELb0ES3_mNS7_12zip_iteratorINS8_INS7_6detail15normal_iteratorINS7_10device_ptrIyEEEESJ_S9_S9_S9_S9_S9_S9_S9_S9_EEEEPSB_SM_NS0_5tupleIJNSE_INS8_ISJ_NS7_16discard_iteratorINS7_11use_defaultEEES9_S9_S9_S9_S9_S9_S9_S9_EEEESB_EEENSN_IJSM_SM_EEESB_PlJNSF_9not_fun_tINSF_14equal_to_valueISA_EEEEEEE10hipError_tPvRmT3_T4_T5_T6_T7_T9_mT8_P12ihipStream_tbDpT10_ENKUlT_T0_E_clISt17integral_constantIbLb1EES1I_IbLb0EEEEDaS1E_S1F_EUlS1E_E_NS1_11comp_targetILNS1_3genE4ELNS1_11target_archE910ELNS1_3gpuE8ELNS1_3repE0EEENS1_30default_config_static_selectorELNS0_4arch9wavefront6targetE0EEEvT1_
; %bb.0:
	.section	.rodata,"a",@progbits
	.p2align	6, 0x0
	.amdhsa_kernel _ZN7rocprim17ROCPRIM_400000_NS6detail17trampoline_kernelINS0_14default_configENS1_25partition_config_selectorILNS1_17partition_subalgoE6EN6thrust23THRUST_200600_302600_NS5tupleIyyNS7_9null_typeES9_S9_S9_S9_S9_S9_S9_EENS0_10empty_typeEbEEZZNS1_14partition_implILS5_6ELb0ES3_mNS7_12zip_iteratorINS8_INS7_6detail15normal_iteratorINS7_10device_ptrIyEEEESJ_S9_S9_S9_S9_S9_S9_S9_S9_EEEEPSB_SM_NS0_5tupleIJNSE_INS8_ISJ_NS7_16discard_iteratorINS7_11use_defaultEEES9_S9_S9_S9_S9_S9_S9_S9_EEEESB_EEENSN_IJSM_SM_EEESB_PlJNSF_9not_fun_tINSF_14equal_to_valueISA_EEEEEEE10hipError_tPvRmT3_T4_T5_T6_T7_T9_mT8_P12ihipStream_tbDpT10_ENKUlT_T0_E_clISt17integral_constantIbLb1EES1I_IbLb0EEEEDaS1E_S1F_EUlS1E_E_NS1_11comp_targetILNS1_3genE4ELNS1_11target_archE910ELNS1_3gpuE8ELNS1_3repE0EEENS1_30default_config_static_selectorELNS0_4arch9wavefront6targetE0EEEvT1_
		.amdhsa_group_segment_fixed_size 0
		.amdhsa_private_segment_fixed_size 0
		.amdhsa_kernarg_size 152
		.amdhsa_user_sgpr_count 2
		.amdhsa_user_sgpr_dispatch_ptr 0
		.amdhsa_user_sgpr_queue_ptr 0
		.amdhsa_user_sgpr_kernarg_segment_ptr 1
		.amdhsa_user_sgpr_dispatch_id 0
		.amdhsa_user_sgpr_private_segment_size 0
		.amdhsa_wavefront_size32 1
		.amdhsa_uses_dynamic_stack 0
		.amdhsa_enable_private_segment 0
		.amdhsa_system_sgpr_workgroup_id_x 1
		.amdhsa_system_sgpr_workgroup_id_y 0
		.amdhsa_system_sgpr_workgroup_id_z 0
		.amdhsa_system_sgpr_workgroup_info 0
		.amdhsa_system_vgpr_workitem_id 0
		.amdhsa_next_free_vgpr 1
		.amdhsa_next_free_sgpr 1
		.amdhsa_reserve_vcc 0
		.amdhsa_float_round_mode_32 0
		.amdhsa_float_round_mode_16_64 0
		.amdhsa_float_denorm_mode_32 3
		.amdhsa_float_denorm_mode_16_64 3
		.amdhsa_fp16_overflow 0
		.amdhsa_workgroup_processor_mode 1
		.amdhsa_memory_ordered 1
		.amdhsa_forward_progress 1
		.amdhsa_inst_pref_size 0
		.amdhsa_round_robin_scheduling 0
		.amdhsa_exception_fp_ieee_invalid_op 0
		.amdhsa_exception_fp_denorm_src 0
		.amdhsa_exception_fp_ieee_div_zero 0
		.amdhsa_exception_fp_ieee_overflow 0
		.amdhsa_exception_fp_ieee_underflow 0
		.amdhsa_exception_fp_ieee_inexact 0
		.amdhsa_exception_int_div_zero 0
	.end_amdhsa_kernel
	.section	.text._ZN7rocprim17ROCPRIM_400000_NS6detail17trampoline_kernelINS0_14default_configENS1_25partition_config_selectorILNS1_17partition_subalgoE6EN6thrust23THRUST_200600_302600_NS5tupleIyyNS7_9null_typeES9_S9_S9_S9_S9_S9_S9_EENS0_10empty_typeEbEEZZNS1_14partition_implILS5_6ELb0ES3_mNS7_12zip_iteratorINS8_INS7_6detail15normal_iteratorINS7_10device_ptrIyEEEESJ_S9_S9_S9_S9_S9_S9_S9_S9_EEEEPSB_SM_NS0_5tupleIJNSE_INS8_ISJ_NS7_16discard_iteratorINS7_11use_defaultEEES9_S9_S9_S9_S9_S9_S9_S9_EEEESB_EEENSN_IJSM_SM_EEESB_PlJNSF_9not_fun_tINSF_14equal_to_valueISA_EEEEEEE10hipError_tPvRmT3_T4_T5_T6_T7_T9_mT8_P12ihipStream_tbDpT10_ENKUlT_T0_E_clISt17integral_constantIbLb1EES1I_IbLb0EEEEDaS1E_S1F_EUlS1E_E_NS1_11comp_targetILNS1_3genE4ELNS1_11target_archE910ELNS1_3gpuE8ELNS1_3repE0EEENS1_30default_config_static_selectorELNS0_4arch9wavefront6targetE0EEEvT1_,"axG",@progbits,_ZN7rocprim17ROCPRIM_400000_NS6detail17trampoline_kernelINS0_14default_configENS1_25partition_config_selectorILNS1_17partition_subalgoE6EN6thrust23THRUST_200600_302600_NS5tupleIyyNS7_9null_typeES9_S9_S9_S9_S9_S9_S9_EENS0_10empty_typeEbEEZZNS1_14partition_implILS5_6ELb0ES3_mNS7_12zip_iteratorINS8_INS7_6detail15normal_iteratorINS7_10device_ptrIyEEEESJ_S9_S9_S9_S9_S9_S9_S9_S9_EEEEPSB_SM_NS0_5tupleIJNSE_INS8_ISJ_NS7_16discard_iteratorINS7_11use_defaultEEES9_S9_S9_S9_S9_S9_S9_S9_EEEESB_EEENSN_IJSM_SM_EEESB_PlJNSF_9not_fun_tINSF_14equal_to_valueISA_EEEEEEE10hipError_tPvRmT3_T4_T5_T6_T7_T9_mT8_P12ihipStream_tbDpT10_ENKUlT_T0_E_clISt17integral_constantIbLb1EES1I_IbLb0EEEEDaS1E_S1F_EUlS1E_E_NS1_11comp_targetILNS1_3genE4ELNS1_11target_archE910ELNS1_3gpuE8ELNS1_3repE0EEENS1_30default_config_static_selectorELNS0_4arch9wavefront6targetE0EEEvT1_,comdat
.Lfunc_end1903:
	.size	_ZN7rocprim17ROCPRIM_400000_NS6detail17trampoline_kernelINS0_14default_configENS1_25partition_config_selectorILNS1_17partition_subalgoE6EN6thrust23THRUST_200600_302600_NS5tupleIyyNS7_9null_typeES9_S9_S9_S9_S9_S9_S9_EENS0_10empty_typeEbEEZZNS1_14partition_implILS5_6ELb0ES3_mNS7_12zip_iteratorINS8_INS7_6detail15normal_iteratorINS7_10device_ptrIyEEEESJ_S9_S9_S9_S9_S9_S9_S9_S9_EEEEPSB_SM_NS0_5tupleIJNSE_INS8_ISJ_NS7_16discard_iteratorINS7_11use_defaultEEES9_S9_S9_S9_S9_S9_S9_S9_EEEESB_EEENSN_IJSM_SM_EEESB_PlJNSF_9not_fun_tINSF_14equal_to_valueISA_EEEEEEE10hipError_tPvRmT3_T4_T5_T6_T7_T9_mT8_P12ihipStream_tbDpT10_ENKUlT_T0_E_clISt17integral_constantIbLb1EES1I_IbLb0EEEEDaS1E_S1F_EUlS1E_E_NS1_11comp_targetILNS1_3genE4ELNS1_11target_archE910ELNS1_3gpuE8ELNS1_3repE0EEENS1_30default_config_static_selectorELNS0_4arch9wavefront6targetE0EEEvT1_, .Lfunc_end1903-_ZN7rocprim17ROCPRIM_400000_NS6detail17trampoline_kernelINS0_14default_configENS1_25partition_config_selectorILNS1_17partition_subalgoE6EN6thrust23THRUST_200600_302600_NS5tupleIyyNS7_9null_typeES9_S9_S9_S9_S9_S9_S9_EENS0_10empty_typeEbEEZZNS1_14partition_implILS5_6ELb0ES3_mNS7_12zip_iteratorINS8_INS7_6detail15normal_iteratorINS7_10device_ptrIyEEEESJ_S9_S9_S9_S9_S9_S9_S9_S9_EEEEPSB_SM_NS0_5tupleIJNSE_INS8_ISJ_NS7_16discard_iteratorINS7_11use_defaultEEES9_S9_S9_S9_S9_S9_S9_S9_EEEESB_EEENSN_IJSM_SM_EEESB_PlJNSF_9not_fun_tINSF_14equal_to_valueISA_EEEEEEE10hipError_tPvRmT3_T4_T5_T6_T7_T9_mT8_P12ihipStream_tbDpT10_ENKUlT_T0_E_clISt17integral_constantIbLb1EES1I_IbLb0EEEEDaS1E_S1F_EUlS1E_E_NS1_11comp_targetILNS1_3genE4ELNS1_11target_archE910ELNS1_3gpuE8ELNS1_3repE0EEENS1_30default_config_static_selectorELNS0_4arch9wavefront6targetE0EEEvT1_
                                        ; -- End function
	.set _ZN7rocprim17ROCPRIM_400000_NS6detail17trampoline_kernelINS0_14default_configENS1_25partition_config_selectorILNS1_17partition_subalgoE6EN6thrust23THRUST_200600_302600_NS5tupleIyyNS7_9null_typeES9_S9_S9_S9_S9_S9_S9_EENS0_10empty_typeEbEEZZNS1_14partition_implILS5_6ELb0ES3_mNS7_12zip_iteratorINS8_INS7_6detail15normal_iteratorINS7_10device_ptrIyEEEESJ_S9_S9_S9_S9_S9_S9_S9_S9_EEEEPSB_SM_NS0_5tupleIJNSE_INS8_ISJ_NS7_16discard_iteratorINS7_11use_defaultEEES9_S9_S9_S9_S9_S9_S9_S9_EEEESB_EEENSN_IJSM_SM_EEESB_PlJNSF_9not_fun_tINSF_14equal_to_valueISA_EEEEEEE10hipError_tPvRmT3_T4_T5_T6_T7_T9_mT8_P12ihipStream_tbDpT10_ENKUlT_T0_E_clISt17integral_constantIbLb1EES1I_IbLb0EEEEDaS1E_S1F_EUlS1E_E_NS1_11comp_targetILNS1_3genE4ELNS1_11target_archE910ELNS1_3gpuE8ELNS1_3repE0EEENS1_30default_config_static_selectorELNS0_4arch9wavefront6targetE0EEEvT1_.num_vgpr, 0
	.set _ZN7rocprim17ROCPRIM_400000_NS6detail17trampoline_kernelINS0_14default_configENS1_25partition_config_selectorILNS1_17partition_subalgoE6EN6thrust23THRUST_200600_302600_NS5tupleIyyNS7_9null_typeES9_S9_S9_S9_S9_S9_S9_EENS0_10empty_typeEbEEZZNS1_14partition_implILS5_6ELb0ES3_mNS7_12zip_iteratorINS8_INS7_6detail15normal_iteratorINS7_10device_ptrIyEEEESJ_S9_S9_S9_S9_S9_S9_S9_S9_EEEEPSB_SM_NS0_5tupleIJNSE_INS8_ISJ_NS7_16discard_iteratorINS7_11use_defaultEEES9_S9_S9_S9_S9_S9_S9_S9_EEEESB_EEENSN_IJSM_SM_EEESB_PlJNSF_9not_fun_tINSF_14equal_to_valueISA_EEEEEEE10hipError_tPvRmT3_T4_T5_T6_T7_T9_mT8_P12ihipStream_tbDpT10_ENKUlT_T0_E_clISt17integral_constantIbLb1EES1I_IbLb0EEEEDaS1E_S1F_EUlS1E_E_NS1_11comp_targetILNS1_3genE4ELNS1_11target_archE910ELNS1_3gpuE8ELNS1_3repE0EEENS1_30default_config_static_selectorELNS0_4arch9wavefront6targetE0EEEvT1_.num_agpr, 0
	.set _ZN7rocprim17ROCPRIM_400000_NS6detail17trampoline_kernelINS0_14default_configENS1_25partition_config_selectorILNS1_17partition_subalgoE6EN6thrust23THRUST_200600_302600_NS5tupleIyyNS7_9null_typeES9_S9_S9_S9_S9_S9_S9_EENS0_10empty_typeEbEEZZNS1_14partition_implILS5_6ELb0ES3_mNS7_12zip_iteratorINS8_INS7_6detail15normal_iteratorINS7_10device_ptrIyEEEESJ_S9_S9_S9_S9_S9_S9_S9_S9_EEEEPSB_SM_NS0_5tupleIJNSE_INS8_ISJ_NS7_16discard_iteratorINS7_11use_defaultEEES9_S9_S9_S9_S9_S9_S9_S9_EEEESB_EEENSN_IJSM_SM_EEESB_PlJNSF_9not_fun_tINSF_14equal_to_valueISA_EEEEEEE10hipError_tPvRmT3_T4_T5_T6_T7_T9_mT8_P12ihipStream_tbDpT10_ENKUlT_T0_E_clISt17integral_constantIbLb1EES1I_IbLb0EEEEDaS1E_S1F_EUlS1E_E_NS1_11comp_targetILNS1_3genE4ELNS1_11target_archE910ELNS1_3gpuE8ELNS1_3repE0EEENS1_30default_config_static_selectorELNS0_4arch9wavefront6targetE0EEEvT1_.numbered_sgpr, 0
	.set _ZN7rocprim17ROCPRIM_400000_NS6detail17trampoline_kernelINS0_14default_configENS1_25partition_config_selectorILNS1_17partition_subalgoE6EN6thrust23THRUST_200600_302600_NS5tupleIyyNS7_9null_typeES9_S9_S9_S9_S9_S9_S9_EENS0_10empty_typeEbEEZZNS1_14partition_implILS5_6ELb0ES3_mNS7_12zip_iteratorINS8_INS7_6detail15normal_iteratorINS7_10device_ptrIyEEEESJ_S9_S9_S9_S9_S9_S9_S9_S9_EEEEPSB_SM_NS0_5tupleIJNSE_INS8_ISJ_NS7_16discard_iteratorINS7_11use_defaultEEES9_S9_S9_S9_S9_S9_S9_S9_EEEESB_EEENSN_IJSM_SM_EEESB_PlJNSF_9not_fun_tINSF_14equal_to_valueISA_EEEEEEE10hipError_tPvRmT3_T4_T5_T6_T7_T9_mT8_P12ihipStream_tbDpT10_ENKUlT_T0_E_clISt17integral_constantIbLb1EES1I_IbLb0EEEEDaS1E_S1F_EUlS1E_E_NS1_11comp_targetILNS1_3genE4ELNS1_11target_archE910ELNS1_3gpuE8ELNS1_3repE0EEENS1_30default_config_static_selectorELNS0_4arch9wavefront6targetE0EEEvT1_.num_named_barrier, 0
	.set _ZN7rocprim17ROCPRIM_400000_NS6detail17trampoline_kernelINS0_14default_configENS1_25partition_config_selectorILNS1_17partition_subalgoE6EN6thrust23THRUST_200600_302600_NS5tupleIyyNS7_9null_typeES9_S9_S9_S9_S9_S9_S9_EENS0_10empty_typeEbEEZZNS1_14partition_implILS5_6ELb0ES3_mNS7_12zip_iteratorINS8_INS7_6detail15normal_iteratorINS7_10device_ptrIyEEEESJ_S9_S9_S9_S9_S9_S9_S9_S9_EEEEPSB_SM_NS0_5tupleIJNSE_INS8_ISJ_NS7_16discard_iteratorINS7_11use_defaultEEES9_S9_S9_S9_S9_S9_S9_S9_EEEESB_EEENSN_IJSM_SM_EEESB_PlJNSF_9not_fun_tINSF_14equal_to_valueISA_EEEEEEE10hipError_tPvRmT3_T4_T5_T6_T7_T9_mT8_P12ihipStream_tbDpT10_ENKUlT_T0_E_clISt17integral_constantIbLb1EES1I_IbLb0EEEEDaS1E_S1F_EUlS1E_E_NS1_11comp_targetILNS1_3genE4ELNS1_11target_archE910ELNS1_3gpuE8ELNS1_3repE0EEENS1_30default_config_static_selectorELNS0_4arch9wavefront6targetE0EEEvT1_.private_seg_size, 0
	.set _ZN7rocprim17ROCPRIM_400000_NS6detail17trampoline_kernelINS0_14default_configENS1_25partition_config_selectorILNS1_17partition_subalgoE6EN6thrust23THRUST_200600_302600_NS5tupleIyyNS7_9null_typeES9_S9_S9_S9_S9_S9_S9_EENS0_10empty_typeEbEEZZNS1_14partition_implILS5_6ELb0ES3_mNS7_12zip_iteratorINS8_INS7_6detail15normal_iteratorINS7_10device_ptrIyEEEESJ_S9_S9_S9_S9_S9_S9_S9_S9_EEEEPSB_SM_NS0_5tupleIJNSE_INS8_ISJ_NS7_16discard_iteratorINS7_11use_defaultEEES9_S9_S9_S9_S9_S9_S9_S9_EEEESB_EEENSN_IJSM_SM_EEESB_PlJNSF_9not_fun_tINSF_14equal_to_valueISA_EEEEEEE10hipError_tPvRmT3_T4_T5_T6_T7_T9_mT8_P12ihipStream_tbDpT10_ENKUlT_T0_E_clISt17integral_constantIbLb1EES1I_IbLb0EEEEDaS1E_S1F_EUlS1E_E_NS1_11comp_targetILNS1_3genE4ELNS1_11target_archE910ELNS1_3gpuE8ELNS1_3repE0EEENS1_30default_config_static_selectorELNS0_4arch9wavefront6targetE0EEEvT1_.uses_vcc, 0
	.set _ZN7rocprim17ROCPRIM_400000_NS6detail17trampoline_kernelINS0_14default_configENS1_25partition_config_selectorILNS1_17partition_subalgoE6EN6thrust23THRUST_200600_302600_NS5tupleIyyNS7_9null_typeES9_S9_S9_S9_S9_S9_S9_EENS0_10empty_typeEbEEZZNS1_14partition_implILS5_6ELb0ES3_mNS7_12zip_iteratorINS8_INS7_6detail15normal_iteratorINS7_10device_ptrIyEEEESJ_S9_S9_S9_S9_S9_S9_S9_S9_EEEEPSB_SM_NS0_5tupleIJNSE_INS8_ISJ_NS7_16discard_iteratorINS7_11use_defaultEEES9_S9_S9_S9_S9_S9_S9_S9_EEEESB_EEENSN_IJSM_SM_EEESB_PlJNSF_9not_fun_tINSF_14equal_to_valueISA_EEEEEEE10hipError_tPvRmT3_T4_T5_T6_T7_T9_mT8_P12ihipStream_tbDpT10_ENKUlT_T0_E_clISt17integral_constantIbLb1EES1I_IbLb0EEEEDaS1E_S1F_EUlS1E_E_NS1_11comp_targetILNS1_3genE4ELNS1_11target_archE910ELNS1_3gpuE8ELNS1_3repE0EEENS1_30default_config_static_selectorELNS0_4arch9wavefront6targetE0EEEvT1_.uses_flat_scratch, 0
	.set _ZN7rocprim17ROCPRIM_400000_NS6detail17trampoline_kernelINS0_14default_configENS1_25partition_config_selectorILNS1_17partition_subalgoE6EN6thrust23THRUST_200600_302600_NS5tupleIyyNS7_9null_typeES9_S9_S9_S9_S9_S9_S9_EENS0_10empty_typeEbEEZZNS1_14partition_implILS5_6ELb0ES3_mNS7_12zip_iteratorINS8_INS7_6detail15normal_iteratorINS7_10device_ptrIyEEEESJ_S9_S9_S9_S9_S9_S9_S9_S9_EEEEPSB_SM_NS0_5tupleIJNSE_INS8_ISJ_NS7_16discard_iteratorINS7_11use_defaultEEES9_S9_S9_S9_S9_S9_S9_S9_EEEESB_EEENSN_IJSM_SM_EEESB_PlJNSF_9not_fun_tINSF_14equal_to_valueISA_EEEEEEE10hipError_tPvRmT3_T4_T5_T6_T7_T9_mT8_P12ihipStream_tbDpT10_ENKUlT_T0_E_clISt17integral_constantIbLb1EES1I_IbLb0EEEEDaS1E_S1F_EUlS1E_E_NS1_11comp_targetILNS1_3genE4ELNS1_11target_archE910ELNS1_3gpuE8ELNS1_3repE0EEENS1_30default_config_static_selectorELNS0_4arch9wavefront6targetE0EEEvT1_.has_dyn_sized_stack, 0
	.set _ZN7rocprim17ROCPRIM_400000_NS6detail17trampoline_kernelINS0_14default_configENS1_25partition_config_selectorILNS1_17partition_subalgoE6EN6thrust23THRUST_200600_302600_NS5tupleIyyNS7_9null_typeES9_S9_S9_S9_S9_S9_S9_EENS0_10empty_typeEbEEZZNS1_14partition_implILS5_6ELb0ES3_mNS7_12zip_iteratorINS8_INS7_6detail15normal_iteratorINS7_10device_ptrIyEEEESJ_S9_S9_S9_S9_S9_S9_S9_S9_EEEEPSB_SM_NS0_5tupleIJNSE_INS8_ISJ_NS7_16discard_iteratorINS7_11use_defaultEEES9_S9_S9_S9_S9_S9_S9_S9_EEEESB_EEENSN_IJSM_SM_EEESB_PlJNSF_9not_fun_tINSF_14equal_to_valueISA_EEEEEEE10hipError_tPvRmT3_T4_T5_T6_T7_T9_mT8_P12ihipStream_tbDpT10_ENKUlT_T0_E_clISt17integral_constantIbLb1EES1I_IbLb0EEEEDaS1E_S1F_EUlS1E_E_NS1_11comp_targetILNS1_3genE4ELNS1_11target_archE910ELNS1_3gpuE8ELNS1_3repE0EEENS1_30default_config_static_selectorELNS0_4arch9wavefront6targetE0EEEvT1_.has_recursion, 0
	.set _ZN7rocprim17ROCPRIM_400000_NS6detail17trampoline_kernelINS0_14default_configENS1_25partition_config_selectorILNS1_17partition_subalgoE6EN6thrust23THRUST_200600_302600_NS5tupleIyyNS7_9null_typeES9_S9_S9_S9_S9_S9_S9_EENS0_10empty_typeEbEEZZNS1_14partition_implILS5_6ELb0ES3_mNS7_12zip_iteratorINS8_INS7_6detail15normal_iteratorINS7_10device_ptrIyEEEESJ_S9_S9_S9_S9_S9_S9_S9_S9_EEEEPSB_SM_NS0_5tupleIJNSE_INS8_ISJ_NS7_16discard_iteratorINS7_11use_defaultEEES9_S9_S9_S9_S9_S9_S9_S9_EEEESB_EEENSN_IJSM_SM_EEESB_PlJNSF_9not_fun_tINSF_14equal_to_valueISA_EEEEEEE10hipError_tPvRmT3_T4_T5_T6_T7_T9_mT8_P12ihipStream_tbDpT10_ENKUlT_T0_E_clISt17integral_constantIbLb1EES1I_IbLb0EEEEDaS1E_S1F_EUlS1E_E_NS1_11comp_targetILNS1_3genE4ELNS1_11target_archE910ELNS1_3gpuE8ELNS1_3repE0EEENS1_30default_config_static_selectorELNS0_4arch9wavefront6targetE0EEEvT1_.has_indirect_call, 0
	.section	.AMDGPU.csdata,"",@progbits
; Kernel info:
; codeLenInByte = 0
; TotalNumSgprs: 0
; NumVgprs: 0
; ScratchSize: 0
; MemoryBound: 0
; FloatMode: 240
; IeeeMode: 1
; LDSByteSize: 0 bytes/workgroup (compile time only)
; SGPRBlocks: 0
; VGPRBlocks: 0
; NumSGPRsForWavesPerEU: 1
; NumVGPRsForWavesPerEU: 1
; Occupancy: 16
; WaveLimiterHint : 0
; COMPUTE_PGM_RSRC2:SCRATCH_EN: 0
; COMPUTE_PGM_RSRC2:USER_SGPR: 2
; COMPUTE_PGM_RSRC2:TRAP_HANDLER: 0
; COMPUTE_PGM_RSRC2:TGID_X_EN: 1
; COMPUTE_PGM_RSRC2:TGID_Y_EN: 0
; COMPUTE_PGM_RSRC2:TGID_Z_EN: 0
; COMPUTE_PGM_RSRC2:TIDIG_COMP_CNT: 0
	.section	.text._ZN7rocprim17ROCPRIM_400000_NS6detail17trampoline_kernelINS0_14default_configENS1_25partition_config_selectorILNS1_17partition_subalgoE6EN6thrust23THRUST_200600_302600_NS5tupleIyyNS7_9null_typeES9_S9_S9_S9_S9_S9_S9_EENS0_10empty_typeEbEEZZNS1_14partition_implILS5_6ELb0ES3_mNS7_12zip_iteratorINS8_INS7_6detail15normal_iteratorINS7_10device_ptrIyEEEESJ_S9_S9_S9_S9_S9_S9_S9_S9_EEEEPSB_SM_NS0_5tupleIJNSE_INS8_ISJ_NS7_16discard_iteratorINS7_11use_defaultEEES9_S9_S9_S9_S9_S9_S9_S9_EEEESB_EEENSN_IJSM_SM_EEESB_PlJNSF_9not_fun_tINSF_14equal_to_valueISA_EEEEEEE10hipError_tPvRmT3_T4_T5_T6_T7_T9_mT8_P12ihipStream_tbDpT10_ENKUlT_T0_E_clISt17integral_constantIbLb1EES1I_IbLb0EEEEDaS1E_S1F_EUlS1E_E_NS1_11comp_targetILNS1_3genE3ELNS1_11target_archE908ELNS1_3gpuE7ELNS1_3repE0EEENS1_30default_config_static_selectorELNS0_4arch9wavefront6targetE0EEEvT1_,"axG",@progbits,_ZN7rocprim17ROCPRIM_400000_NS6detail17trampoline_kernelINS0_14default_configENS1_25partition_config_selectorILNS1_17partition_subalgoE6EN6thrust23THRUST_200600_302600_NS5tupleIyyNS7_9null_typeES9_S9_S9_S9_S9_S9_S9_EENS0_10empty_typeEbEEZZNS1_14partition_implILS5_6ELb0ES3_mNS7_12zip_iteratorINS8_INS7_6detail15normal_iteratorINS7_10device_ptrIyEEEESJ_S9_S9_S9_S9_S9_S9_S9_S9_EEEEPSB_SM_NS0_5tupleIJNSE_INS8_ISJ_NS7_16discard_iteratorINS7_11use_defaultEEES9_S9_S9_S9_S9_S9_S9_S9_EEEESB_EEENSN_IJSM_SM_EEESB_PlJNSF_9not_fun_tINSF_14equal_to_valueISA_EEEEEEE10hipError_tPvRmT3_T4_T5_T6_T7_T9_mT8_P12ihipStream_tbDpT10_ENKUlT_T0_E_clISt17integral_constantIbLb1EES1I_IbLb0EEEEDaS1E_S1F_EUlS1E_E_NS1_11comp_targetILNS1_3genE3ELNS1_11target_archE908ELNS1_3gpuE7ELNS1_3repE0EEENS1_30default_config_static_selectorELNS0_4arch9wavefront6targetE0EEEvT1_,comdat
	.protected	_ZN7rocprim17ROCPRIM_400000_NS6detail17trampoline_kernelINS0_14default_configENS1_25partition_config_selectorILNS1_17partition_subalgoE6EN6thrust23THRUST_200600_302600_NS5tupleIyyNS7_9null_typeES9_S9_S9_S9_S9_S9_S9_EENS0_10empty_typeEbEEZZNS1_14partition_implILS5_6ELb0ES3_mNS7_12zip_iteratorINS8_INS7_6detail15normal_iteratorINS7_10device_ptrIyEEEESJ_S9_S9_S9_S9_S9_S9_S9_S9_EEEEPSB_SM_NS0_5tupleIJNSE_INS8_ISJ_NS7_16discard_iteratorINS7_11use_defaultEEES9_S9_S9_S9_S9_S9_S9_S9_EEEESB_EEENSN_IJSM_SM_EEESB_PlJNSF_9not_fun_tINSF_14equal_to_valueISA_EEEEEEE10hipError_tPvRmT3_T4_T5_T6_T7_T9_mT8_P12ihipStream_tbDpT10_ENKUlT_T0_E_clISt17integral_constantIbLb1EES1I_IbLb0EEEEDaS1E_S1F_EUlS1E_E_NS1_11comp_targetILNS1_3genE3ELNS1_11target_archE908ELNS1_3gpuE7ELNS1_3repE0EEENS1_30default_config_static_selectorELNS0_4arch9wavefront6targetE0EEEvT1_ ; -- Begin function _ZN7rocprim17ROCPRIM_400000_NS6detail17trampoline_kernelINS0_14default_configENS1_25partition_config_selectorILNS1_17partition_subalgoE6EN6thrust23THRUST_200600_302600_NS5tupleIyyNS7_9null_typeES9_S9_S9_S9_S9_S9_S9_EENS0_10empty_typeEbEEZZNS1_14partition_implILS5_6ELb0ES3_mNS7_12zip_iteratorINS8_INS7_6detail15normal_iteratorINS7_10device_ptrIyEEEESJ_S9_S9_S9_S9_S9_S9_S9_S9_EEEEPSB_SM_NS0_5tupleIJNSE_INS8_ISJ_NS7_16discard_iteratorINS7_11use_defaultEEES9_S9_S9_S9_S9_S9_S9_S9_EEEESB_EEENSN_IJSM_SM_EEESB_PlJNSF_9not_fun_tINSF_14equal_to_valueISA_EEEEEEE10hipError_tPvRmT3_T4_T5_T6_T7_T9_mT8_P12ihipStream_tbDpT10_ENKUlT_T0_E_clISt17integral_constantIbLb1EES1I_IbLb0EEEEDaS1E_S1F_EUlS1E_E_NS1_11comp_targetILNS1_3genE3ELNS1_11target_archE908ELNS1_3gpuE7ELNS1_3repE0EEENS1_30default_config_static_selectorELNS0_4arch9wavefront6targetE0EEEvT1_
	.globl	_ZN7rocprim17ROCPRIM_400000_NS6detail17trampoline_kernelINS0_14default_configENS1_25partition_config_selectorILNS1_17partition_subalgoE6EN6thrust23THRUST_200600_302600_NS5tupleIyyNS7_9null_typeES9_S9_S9_S9_S9_S9_S9_EENS0_10empty_typeEbEEZZNS1_14partition_implILS5_6ELb0ES3_mNS7_12zip_iteratorINS8_INS7_6detail15normal_iteratorINS7_10device_ptrIyEEEESJ_S9_S9_S9_S9_S9_S9_S9_S9_EEEEPSB_SM_NS0_5tupleIJNSE_INS8_ISJ_NS7_16discard_iteratorINS7_11use_defaultEEES9_S9_S9_S9_S9_S9_S9_S9_EEEESB_EEENSN_IJSM_SM_EEESB_PlJNSF_9not_fun_tINSF_14equal_to_valueISA_EEEEEEE10hipError_tPvRmT3_T4_T5_T6_T7_T9_mT8_P12ihipStream_tbDpT10_ENKUlT_T0_E_clISt17integral_constantIbLb1EES1I_IbLb0EEEEDaS1E_S1F_EUlS1E_E_NS1_11comp_targetILNS1_3genE3ELNS1_11target_archE908ELNS1_3gpuE7ELNS1_3repE0EEENS1_30default_config_static_selectorELNS0_4arch9wavefront6targetE0EEEvT1_
	.p2align	8
	.type	_ZN7rocprim17ROCPRIM_400000_NS6detail17trampoline_kernelINS0_14default_configENS1_25partition_config_selectorILNS1_17partition_subalgoE6EN6thrust23THRUST_200600_302600_NS5tupleIyyNS7_9null_typeES9_S9_S9_S9_S9_S9_S9_EENS0_10empty_typeEbEEZZNS1_14partition_implILS5_6ELb0ES3_mNS7_12zip_iteratorINS8_INS7_6detail15normal_iteratorINS7_10device_ptrIyEEEESJ_S9_S9_S9_S9_S9_S9_S9_S9_EEEEPSB_SM_NS0_5tupleIJNSE_INS8_ISJ_NS7_16discard_iteratorINS7_11use_defaultEEES9_S9_S9_S9_S9_S9_S9_S9_EEEESB_EEENSN_IJSM_SM_EEESB_PlJNSF_9not_fun_tINSF_14equal_to_valueISA_EEEEEEE10hipError_tPvRmT3_T4_T5_T6_T7_T9_mT8_P12ihipStream_tbDpT10_ENKUlT_T0_E_clISt17integral_constantIbLb1EES1I_IbLb0EEEEDaS1E_S1F_EUlS1E_E_NS1_11comp_targetILNS1_3genE3ELNS1_11target_archE908ELNS1_3gpuE7ELNS1_3repE0EEENS1_30default_config_static_selectorELNS0_4arch9wavefront6targetE0EEEvT1_,@function
_ZN7rocprim17ROCPRIM_400000_NS6detail17trampoline_kernelINS0_14default_configENS1_25partition_config_selectorILNS1_17partition_subalgoE6EN6thrust23THRUST_200600_302600_NS5tupleIyyNS7_9null_typeES9_S9_S9_S9_S9_S9_S9_EENS0_10empty_typeEbEEZZNS1_14partition_implILS5_6ELb0ES3_mNS7_12zip_iteratorINS8_INS7_6detail15normal_iteratorINS7_10device_ptrIyEEEESJ_S9_S9_S9_S9_S9_S9_S9_S9_EEEEPSB_SM_NS0_5tupleIJNSE_INS8_ISJ_NS7_16discard_iteratorINS7_11use_defaultEEES9_S9_S9_S9_S9_S9_S9_S9_EEEESB_EEENSN_IJSM_SM_EEESB_PlJNSF_9not_fun_tINSF_14equal_to_valueISA_EEEEEEE10hipError_tPvRmT3_T4_T5_T6_T7_T9_mT8_P12ihipStream_tbDpT10_ENKUlT_T0_E_clISt17integral_constantIbLb1EES1I_IbLb0EEEEDaS1E_S1F_EUlS1E_E_NS1_11comp_targetILNS1_3genE3ELNS1_11target_archE908ELNS1_3gpuE7ELNS1_3repE0EEENS1_30default_config_static_selectorELNS0_4arch9wavefront6targetE0EEEvT1_: ; @_ZN7rocprim17ROCPRIM_400000_NS6detail17trampoline_kernelINS0_14default_configENS1_25partition_config_selectorILNS1_17partition_subalgoE6EN6thrust23THRUST_200600_302600_NS5tupleIyyNS7_9null_typeES9_S9_S9_S9_S9_S9_S9_EENS0_10empty_typeEbEEZZNS1_14partition_implILS5_6ELb0ES3_mNS7_12zip_iteratorINS8_INS7_6detail15normal_iteratorINS7_10device_ptrIyEEEESJ_S9_S9_S9_S9_S9_S9_S9_S9_EEEEPSB_SM_NS0_5tupleIJNSE_INS8_ISJ_NS7_16discard_iteratorINS7_11use_defaultEEES9_S9_S9_S9_S9_S9_S9_S9_EEEESB_EEENSN_IJSM_SM_EEESB_PlJNSF_9not_fun_tINSF_14equal_to_valueISA_EEEEEEE10hipError_tPvRmT3_T4_T5_T6_T7_T9_mT8_P12ihipStream_tbDpT10_ENKUlT_T0_E_clISt17integral_constantIbLb1EES1I_IbLb0EEEEDaS1E_S1F_EUlS1E_E_NS1_11comp_targetILNS1_3genE3ELNS1_11target_archE908ELNS1_3gpuE7ELNS1_3repE0EEENS1_30default_config_static_selectorELNS0_4arch9wavefront6targetE0EEEvT1_
; %bb.0:
	.section	.rodata,"a",@progbits
	.p2align	6, 0x0
	.amdhsa_kernel _ZN7rocprim17ROCPRIM_400000_NS6detail17trampoline_kernelINS0_14default_configENS1_25partition_config_selectorILNS1_17partition_subalgoE6EN6thrust23THRUST_200600_302600_NS5tupleIyyNS7_9null_typeES9_S9_S9_S9_S9_S9_S9_EENS0_10empty_typeEbEEZZNS1_14partition_implILS5_6ELb0ES3_mNS7_12zip_iteratorINS8_INS7_6detail15normal_iteratorINS7_10device_ptrIyEEEESJ_S9_S9_S9_S9_S9_S9_S9_S9_EEEEPSB_SM_NS0_5tupleIJNSE_INS8_ISJ_NS7_16discard_iteratorINS7_11use_defaultEEES9_S9_S9_S9_S9_S9_S9_S9_EEEESB_EEENSN_IJSM_SM_EEESB_PlJNSF_9not_fun_tINSF_14equal_to_valueISA_EEEEEEE10hipError_tPvRmT3_T4_T5_T6_T7_T9_mT8_P12ihipStream_tbDpT10_ENKUlT_T0_E_clISt17integral_constantIbLb1EES1I_IbLb0EEEEDaS1E_S1F_EUlS1E_E_NS1_11comp_targetILNS1_3genE3ELNS1_11target_archE908ELNS1_3gpuE7ELNS1_3repE0EEENS1_30default_config_static_selectorELNS0_4arch9wavefront6targetE0EEEvT1_
		.amdhsa_group_segment_fixed_size 0
		.amdhsa_private_segment_fixed_size 0
		.amdhsa_kernarg_size 152
		.amdhsa_user_sgpr_count 2
		.amdhsa_user_sgpr_dispatch_ptr 0
		.amdhsa_user_sgpr_queue_ptr 0
		.amdhsa_user_sgpr_kernarg_segment_ptr 1
		.amdhsa_user_sgpr_dispatch_id 0
		.amdhsa_user_sgpr_private_segment_size 0
		.amdhsa_wavefront_size32 1
		.amdhsa_uses_dynamic_stack 0
		.amdhsa_enable_private_segment 0
		.amdhsa_system_sgpr_workgroup_id_x 1
		.amdhsa_system_sgpr_workgroup_id_y 0
		.amdhsa_system_sgpr_workgroup_id_z 0
		.amdhsa_system_sgpr_workgroup_info 0
		.amdhsa_system_vgpr_workitem_id 0
		.amdhsa_next_free_vgpr 1
		.amdhsa_next_free_sgpr 1
		.amdhsa_reserve_vcc 0
		.amdhsa_float_round_mode_32 0
		.amdhsa_float_round_mode_16_64 0
		.amdhsa_float_denorm_mode_32 3
		.amdhsa_float_denorm_mode_16_64 3
		.amdhsa_fp16_overflow 0
		.amdhsa_workgroup_processor_mode 1
		.amdhsa_memory_ordered 1
		.amdhsa_forward_progress 1
		.amdhsa_inst_pref_size 0
		.amdhsa_round_robin_scheduling 0
		.amdhsa_exception_fp_ieee_invalid_op 0
		.amdhsa_exception_fp_denorm_src 0
		.amdhsa_exception_fp_ieee_div_zero 0
		.amdhsa_exception_fp_ieee_overflow 0
		.amdhsa_exception_fp_ieee_underflow 0
		.amdhsa_exception_fp_ieee_inexact 0
		.amdhsa_exception_int_div_zero 0
	.end_amdhsa_kernel
	.section	.text._ZN7rocprim17ROCPRIM_400000_NS6detail17trampoline_kernelINS0_14default_configENS1_25partition_config_selectorILNS1_17partition_subalgoE6EN6thrust23THRUST_200600_302600_NS5tupleIyyNS7_9null_typeES9_S9_S9_S9_S9_S9_S9_EENS0_10empty_typeEbEEZZNS1_14partition_implILS5_6ELb0ES3_mNS7_12zip_iteratorINS8_INS7_6detail15normal_iteratorINS7_10device_ptrIyEEEESJ_S9_S9_S9_S9_S9_S9_S9_S9_EEEEPSB_SM_NS0_5tupleIJNSE_INS8_ISJ_NS7_16discard_iteratorINS7_11use_defaultEEES9_S9_S9_S9_S9_S9_S9_S9_EEEESB_EEENSN_IJSM_SM_EEESB_PlJNSF_9not_fun_tINSF_14equal_to_valueISA_EEEEEEE10hipError_tPvRmT3_T4_T5_T6_T7_T9_mT8_P12ihipStream_tbDpT10_ENKUlT_T0_E_clISt17integral_constantIbLb1EES1I_IbLb0EEEEDaS1E_S1F_EUlS1E_E_NS1_11comp_targetILNS1_3genE3ELNS1_11target_archE908ELNS1_3gpuE7ELNS1_3repE0EEENS1_30default_config_static_selectorELNS0_4arch9wavefront6targetE0EEEvT1_,"axG",@progbits,_ZN7rocprim17ROCPRIM_400000_NS6detail17trampoline_kernelINS0_14default_configENS1_25partition_config_selectorILNS1_17partition_subalgoE6EN6thrust23THRUST_200600_302600_NS5tupleIyyNS7_9null_typeES9_S9_S9_S9_S9_S9_S9_EENS0_10empty_typeEbEEZZNS1_14partition_implILS5_6ELb0ES3_mNS7_12zip_iteratorINS8_INS7_6detail15normal_iteratorINS7_10device_ptrIyEEEESJ_S9_S9_S9_S9_S9_S9_S9_S9_EEEEPSB_SM_NS0_5tupleIJNSE_INS8_ISJ_NS7_16discard_iteratorINS7_11use_defaultEEES9_S9_S9_S9_S9_S9_S9_S9_EEEESB_EEENSN_IJSM_SM_EEESB_PlJNSF_9not_fun_tINSF_14equal_to_valueISA_EEEEEEE10hipError_tPvRmT3_T4_T5_T6_T7_T9_mT8_P12ihipStream_tbDpT10_ENKUlT_T0_E_clISt17integral_constantIbLb1EES1I_IbLb0EEEEDaS1E_S1F_EUlS1E_E_NS1_11comp_targetILNS1_3genE3ELNS1_11target_archE908ELNS1_3gpuE7ELNS1_3repE0EEENS1_30default_config_static_selectorELNS0_4arch9wavefront6targetE0EEEvT1_,comdat
.Lfunc_end1904:
	.size	_ZN7rocprim17ROCPRIM_400000_NS6detail17trampoline_kernelINS0_14default_configENS1_25partition_config_selectorILNS1_17partition_subalgoE6EN6thrust23THRUST_200600_302600_NS5tupleIyyNS7_9null_typeES9_S9_S9_S9_S9_S9_S9_EENS0_10empty_typeEbEEZZNS1_14partition_implILS5_6ELb0ES3_mNS7_12zip_iteratorINS8_INS7_6detail15normal_iteratorINS7_10device_ptrIyEEEESJ_S9_S9_S9_S9_S9_S9_S9_S9_EEEEPSB_SM_NS0_5tupleIJNSE_INS8_ISJ_NS7_16discard_iteratorINS7_11use_defaultEEES9_S9_S9_S9_S9_S9_S9_S9_EEEESB_EEENSN_IJSM_SM_EEESB_PlJNSF_9not_fun_tINSF_14equal_to_valueISA_EEEEEEE10hipError_tPvRmT3_T4_T5_T6_T7_T9_mT8_P12ihipStream_tbDpT10_ENKUlT_T0_E_clISt17integral_constantIbLb1EES1I_IbLb0EEEEDaS1E_S1F_EUlS1E_E_NS1_11comp_targetILNS1_3genE3ELNS1_11target_archE908ELNS1_3gpuE7ELNS1_3repE0EEENS1_30default_config_static_selectorELNS0_4arch9wavefront6targetE0EEEvT1_, .Lfunc_end1904-_ZN7rocprim17ROCPRIM_400000_NS6detail17trampoline_kernelINS0_14default_configENS1_25partition_config_selectorILNS1_17partition_subalgoE6EN6thrust23THRUST_200600_302600_NS5tupleIyyNS7_9null_typeES9_S9_S9_S9_S9_S9_S9_EENS0_10empty_typeEbEEZZNS1_14partition_implILS5_6ELb0ES3_mNS7_12zip_iteratorINS8_INS7_6detail15normal_iteratorINS7_10device_ptrIyEEEESJ_S9_S9_S9_S9_S9_S9_S9_S9_EEEEPSB_SM_NS0_5tupleIJNSE_INS8_ISJ_NS7_16discard_iteratorINS7_11use_defaultEEES9_S9_S9_S9_S9_S9_S9_S9_EEEESB_EEENSN_IJSM_SM_EEESB_PlJNSF_9not_fun_tINSF_14equal_to_valueISA_EEEEEEE10hipError_tPvRmT3_T4_T5_T6_T7_T9_mT8_P12ihipStream_tbDpT10_ENKUlT_T0_E_clISt17integral_constantIbLb1EES1I_IbLb0EEEEDaS1E_S1F_EUlS1E_E_NS1_11comp_targetILNS1_3genE3ELNS1_11target_archE908ELNS1_3gpuE7ELNS1_3repE0EEENS1_30default_config_static_selectorELNS0_4arch9wavefront6targetE0EEEvT1_
                                        ; -- End function
	.set _ZN7rocprim17ROCPRIM_400000_NS6detail17trampoline_kernelINS0_14default_configENS1_25partition_config_selectorILNS1_17partition_subalgoE6EN6thrust23THRUST_200600_302600_NS5tupleIyyNS7_9null_typeES9_S9_S9_S9_S9_S9_S9_EENS0_10empty_typeEbEEZZNS1_14partition_implILS5_6ELb0ES3_mNS7_12zip_iteratorINS8_INS7_6detail15normal_iteratorINS7_10device_ptrIyEEEESJ_S9_S9_S9_S9_S9_S9_S9_S9_EEEEPSB_SM_NS0_5tupleIJNSE_INS8_ISJ_NS7_16discard_iteratorINS7_11use_defaultEEES9_S9_S9_S9_S9_S9_S9_S9_EEEESB_EEENSN_IJSM_SM_EEESB_PlJNSF_9not_fun_tINSF_14equal_to_valueISA_EEEEEEE10hipError_tPvRmT3_T4_T5_T6_T7_T9_mT8_P12ihipStream_tbDpT10_ENKUlT_T0_E_clISt17integral_constantIbLb1EES1I_IbLb0EEEEDaS1E_S1F_EUlS1E_E_NS1_11comp_targetILNS1_3genE3ELNS1_11target_archE908ELNS1_3gpuE7ELNS1_3repE0EEENS1_30default_config_static_selectorELNS0_4arch9wavefront6targetE0EEEvT1_.num_vgpr, 0
	.set _ZN7rocprim17ROCPRIM_400000_NS6detail17trampoline_kernelINS0_14default_configENS1_25partition_config_selectorILNS1_17partition_subalgoE6EN6thrust23THRUST_200600_302600_NS5tupleIyyNS7_9null_typeES9_S9_S9_S9_S9_S9_S9_EENS0_10empty_typeEbEEZZNS1_14partition_implILS5_6ELb0ES3_mNS7_12zip_iteratorINS8_INS7_6detail15normal_iteratorINS7_10device_ptrIyEEEESJ_S9_S9_S9_S9_S9_S9_S9_S9_EEEEPSB_SM_NS0_5tupleIJNSE_INS8_ISJ_NS7_16discard_iteratorINS7_11use_defaultEEES9_S9_S9_S9_S9_S9_S9_S9_EEEESB_EEENSN_IJSM_SM_EEESB_PlJNSF_9not_fun_tINSF_14equal_to_valueISA_EEEEEEE10hipError_tPvRmT3_T4_T5_T6_T7_T9_mT8_P12ihipStream_tbDpT10_ENKUlT_T0_E_clISt17integral_constantIbLb1EES1I_IbLb0EEEEDaS1E_S1F_EUlS1E_E_NS1_11comp_targetILNS1_3genE3ELNS1_11target_archE908ELNS1_3gpuE7ELNS1_3repE0EEENS1_30default_config_static_selectorELNS0_4arch9wavefront6targetE0EEEvT1_.num_agpr, 0
	.set _ZN7rocprim17ROCPRIM_400000_NS6detail17trampoline_kernelINS0_14default_configENS1_25partition_config_selectorILNS1_17partition_subalgoE6EN6thrust23THRUST_200600_302600_NS5tupleIyyNS7_9null_typeES9_S9_S9_S9_S9_S9_S9_EENS0_10empty_typeEbEEZZNS1_14partition_implILS5_6ELb0ES3_mNS7_12zip_iteratorINS8_INS7_6detail15normal_iteratorINS7_10device_ptrIyEEEESJ_S9_S9_S9_S9_S9_S9_S9_S9_EEEEPSB_SM_NS0_5tupleIJNSE_INS8_ISJ_NS7_16discard_iteratorINS7_11use_defaultEEES9_S9_S9_S9_S9_S9_S9_S9_EEEESB_EEENSN_IJSM_SM_EEESB_PlJNSF_9not_fun_tINSF_14equal_to_valueISA_EEEEEEE10hipError_tPvRmT3_T4_T5_T6_T7_T9_mT8_P12ihipStream_tbDpT10_ENKUlT_T0_E_clISt17integral_constantIbLb1EES1I_IbLb0EEEEDaS1E_S1F_EUlS1E_E_NS1_11comp_targetILNS1_3genE3ELNS1_11target_archE908ELNS1_3gpuE7ELNS1_3repE0EEENS1_30default_config_static_selectorELNS0_4arch9wavefront6targetE0EEEvT1_.numbered_sgpr, 0
	.set _ZN7rocprim17ROCPRIM_400000_NS6detail17trampoline_kernelINS0_14default_configENS1_25partition_config_selectorILNS1_17partition_subalgoE6EN6thrust23THRUST_200600_302600_NS5tupleIyyNS7_9null_typeES9_S9_S9_S9_S9_S9_S9_EENS0_10empty_typeEbEEZZNS1_14partition_implILS5_6ELb0ES3_mNS7_12zip_iteratorINS8_INS7_6detail15normal_iteratorINS7_10device_ptrIyEEEESJ_S9_S9_S9_S9_S9_S9_S9_S9_EEEEPSB_SM_NS0_5tupleIJNSE_INS8_ISJ_NS7_16discard_iteratorINS7_11use_defaultEEES9_S9_S9_S9_S9_S9_S9_S9_EEEESB_EEENSN_IJSM_SM_EEESB_PlJNSF_9not_fun_tINSF_14equal_to_valueISA_EEEEEEE10hipError_tPvRmT3_T4_T5_T6_T7_T9_mT8_P12ihipStream_tbDpT10_ENKUlT_T0_E_clISt17integral_constantIbLb1EES1I_IbLb0EEEEDaS1E_S1F_EUlS1E_E_NS1_11comp_targetILNS1_3genE3ELNS1_11target_archE908ELNS1_3gpuE7ELNS1_3repE0EEENS1_30default_config_static_selectorELNS0_4arch9wavefront6targetE0EEEvT1_.num_named_barrier, 0
	.set _ZN7rocprim17ROCPRIM_400000_NS6detail17trampoline_kernelINS0_14default_configENS1_25partition_config_selectorILNS1_17partition_subalgoE6EN6thrust23THRUST_200600_302600_NS5tupleIyyNS7_9null_typeES9_S9_S9_S9_S9_S9_S9_EENS0_10empty_typeEbEEZZNS1_14partition_implILS5_6ELb0ES3_mNS7_12zip_iteratorINS8_INS7_6detail15normal_iteratorINS7_10device_ptrIyEEEESJ_S9_S9_S9_S9_S9_S9_S9_S9_EEEEPSB_SM_NS0_5tupleIJNSE_INS8_ISJ_NS7_16discard_iteratorINS7_11use_defaultEEES9_S9_S9_S9_S9_S9_S9_S9_EEEESB_EEENSN_IJSM_SM_EEESB_PlJNSF_9not_fun_tINSF_14equal_to_valueISA_EEEEEEE10hipError_tPvRmT3_T4_T5_T6_T7_T9_mT8_P12ihipStream_tbDpT10_ENKUlT_T0_E_clISt17integral_constantIbLb1EES1I_IbLb0EEEEDaS1E_S1F_EUlS1E_E_NS1_11comp_targetILNS1_3genE3ELNS1_11target_archE908ELNS1_3gpuE7ELNS1_3repE0EEENS1_30default_config_static_selectorELNS0_4arch9wavefront6targetE0EEEvT1_.private_seg_size, 0
	.set _ZN7rocprim17ROCPRIM_400000_NS6detail17trampoline_kernelINS0_14default_configENS1_25partition_config_selectorILNS1_17partition_subalgoE6EN6thrust23THRUST_200600_302600_NS5tupleIyyNS7_9null_typeES9_S9_S9_S9_S9_S9_S9_EENS0_10empty_typeEbEEZZNS1_14partition_implILS5_6ELb0ES3_mNS7_12zip_iteratorINS8_INS7_6detail15normal_iteratorINS7_10device_ptrIyEEEESJ_S9_S9_S9_S9_S9_S9_S9_S9_EEEEPSB_SM_NS0_5tupleIJNSE_INS8_ISJ_NS7_16discard_iteratorINS7_11use_defaultEEES9_S9_S9_S9_S9_S9_S9_S9_EEEESB_EEENSN_IJSM_SM_EEESB_PlJNSF_9not_fun_tINSF_14equal_to_valueISA_EEEEEEE10hipError_tPvRmT3_T4_T5_T6_T7_T9_mT8_P12ihipStream_tbDpT10_ENKUlT_T0_E_clISt17integral_constantIbLb1EES1I_IbLb0EEEEDaS1E_S1F_EUlS1E_E_NS1_11comp_targetILNS1_3genE3ELNS1_11target_archE908ELNS1_3gpuE7ELNS1_3repE0EEENS1_30default_config_static_selectorELNS0_4arch9wavefront6targetE0EEEvT1_.uses_vcc, 0
	.set _ZN7rocprim17ROCPRIM_400000_NS6detail17trampoline_kernelINS0_14default_configENS1_25partition_config_selectorILNS1_17partition_subalgoE6EN6thrust23THRUST_200600_302600_NS5tupleIyyNS7_9null_typeES9_S9_S9_S9_S9_S9_S9_EENS0_10empty_typeEbEEZZNS1_14partition_implILS5_6ELb0ES3_mNS7_12zip_iteratorINS8_INS7_6detail15normal_iteratorINS7_10device_ptrIyEEEESJ_S9_S9_S9_S9_S9_S9_S9_S9_EEEEPSB_SM_NS0_5tupleIJNSE_INS8_ISJ_NS7_16discard_iteratorINS7_11use_defaultEEES9_S9_S9_S9_S9_S9_S9_S9_EEEESB_EEENSN_IJSM_SM_EEESB_PlJNSF_9not_fun_tINSF_14equal_to_valueISA_EEEEEEE10hipError_tPvRmT3_T4_T5_T6_T7_T9_mT8_P12ihipStream_tbDpT10_ENKUlT_T0_E_clISt17integral_constantIbLb1EES1I_IbLb0EEEEDaS1E_S1F_EUlS1E_E_NS1_11comp_targetILNS1_3genE3ELNS1_11target_archE908ELNS1_3gpuE7ELNS1_3repE0EEENS1_30default_config_static_selectorELNS0_4arch9wavefront6targetE0EEEvT1_.uses_flat_scratch, 0
	.set _ZN7rocprim17ROCPRIM_400000_NS6detail17trampoline_kernelINS0_14default_configENS1_25partition_config_selectorILNS1_17partition_subalgoE6EN6thrust23THRUST_200600_302600_NS5tupleIyyNS7_9null_typeES9_S9_S9_S9_S9_S9_S9_EENS0_10empty_typeEbEEZZNS1_14partition_implILS5_6ELb0ES3_mNS7_12zip_iteratorINS8_INS7_6detail15normal_iteratorINS7_10device_ptrIyEEEESJ_S9_S9_S9_S9_S9_S9_S9_S9_EEEEPSB_SM_NS0_5tupleIJNSE_INS8_ISJ_NS7_16discard_iteratorINS7_11use_defaultEEES9_S9_S9_S9_S9_S9_S9_S9_EEEESB_EEENSN_IJSM_SM_EEESB_PlJNSF_9not_fun_tINSF_14equal_to_valueISA_EEEEEEE10hipError_tPvRmT3_T4_T5_T6_T7_T9_mT8_P12ihipStream_tbDpT10_ENKUlT_T0_E_clISt17integral_constantIbLb1EES1I_IbLb0EEEEDaS1E_S1F_EUlS1E_E_NS1_11comp_targetILNS1_3genE3ELNS1_11target_archE908ELNS1_3gpuE7ELNS1_3repE0EEENS1_30default_config_static_selectorELNS0_4arch9wavefront6targetE0EEEvT1_.has_dyn_sized_stack, 0
	.set _ZN7rocprim17ROCPRIM_400000_NS6detail17trampoline_kernelINS0_14default_configENS1_25partition_config_selectorILNS1_17partition_subalgoE6EN6thrust23THRUST_200600_302600_NS5tupleIyyNS7_9null_typeES9_S9_S9_S9_S9_S9_S9_EENS0_10empty_typeEbEEZZNS1_14partition_implILS5_6ELb0ES3_mNS7_12zip_iteratorINS8_INS7_6detail15normal_iteratorINS7_10device_ptrIyEEEESJ_S9_S9_S9_S9_S9_S9_S9_S9_EEEEPSB_SM_NS0_5tupleIJNSE_INS8_ISJ_NS7_16discard_iteratorINS7_11use_defaultEEES9_S9_S9_S9_S9_S9_S9_S9_EEEESB_EEENSN_IJSM_SM_EEESB_PlJNSF_9not_fun_tINSF_14equal_to_valueISA_EEEEEEE10hipError_tPvRmT3_T4_T5_T6_T7_T9_mT8_P12ihipStream_tbDpT10_ENKUlT_T0_E_clISt17integral_constantIbLb1EES1I_IbLb0EEEEDaS1E_S1F_EUlS1E_E_NS1_11comp_targetILNS1_3genE3ELNS1_11target_archE908ELNS1_3gpuE7ELNS1_3repE0EEENS1_30default_config_static_selectorELNS0_4arch9wavefront6targetE0EEEvT1_.has_recursion, 0
	.set _ZN7rocprim17ROCPRIM_400000_NS6detail17trampoline_kernelINS0_14default_configENS1_25partition_config_selectorILNS1_17partition_subalgoE6EN6thrust23THRUST_200600_302600_NS5tupleIyyNS7_9null_typeES9_S9_S9_S9_S9_S9_S9_EENS0_10empty_typeEbEEZZNS1_14partition_implILS5_6ELb0ES3_mNS7_12zip_iteratorINS8_INS7_6detail15normal_iteratorINS7_10device_ptrIyEEEESJ_S9_S9_S9_S9_S9_S9_S9_S9_EEEEPSB_SM_NS0_5tupleIJNSE_INS8_ISJ_NS7_16discard_iteratorINS7_11use_defaultEEES9_S9_S9_S9_S9_S9_S9_S9_EEEESB_EEENSN_IJSM_SM_EEESB_PlJNSF_9not_fun_tINSF_14equal_to_valueISA_EEEEEEE10hipError_tPvRmT3_T4_T5_T6_T7_T9_mT8_P12ihipStream_tbDpT10_ENKUlT_T0_E_clISt17integral_constantIbLb1EES1I_IbLb0EEEEDaS1E_S1F_EUlS1E_E_NS1_11comp_targetILNS1_3genE3ELNS1_11target_archE908ELNS1_3gpuE7ELNS1_3repE0EEENS1_30default_config_static_selectorELNS0_4arch9wavefront6targetE0EEEvT1_.has_indirect_call, 0
	.section	.AMDGPU.csdata,"",@progbits
; Kernel info:
; codeLenInByte = 0
; TotalNumSgprs: 0
; NumVgprs: 0
; ScratchSize: 0
; MemoryBound: 0
; FloatMode: 240
; IeeeMode: 1
; LDSByteSize: 0 bytes/workgroup (compile time only)
; SGPRBlocks: 0
; VGPRBlocks: 0
; NumSGPRsForWavesPerEU: 1
; NumVGPRsForWavesPerEU: 1
; Occupancy: 16
; WaveLimiterHint : 0
; COMPUTE_PGM_RSRC2:SCRATCH_EN: 0
; COMPUTE_PGM_RSRC2:USER_SGPR: 2
; COMPUTE_PGM_RSRC2:TRAP_HANDLER: 0
; COMPUTE_PGM_RSRC2:TGID_X_EN: 1
; COMPUTE_PGM_RSRC2:TGID_Y_EN: 0
; COMPUTE_PGM_RSRC2:TGID_Z_EN: 0
; COMPUTE_PGM_RSRC2:TIDIG_COMP_CNT: 0
	.section	.text._ZN7rocprim17ROCPRIM_400000_NS6detail17trampoline_kernelINS0_14default_configENS1_25partition_config_selectorILNS1_17partition_subalgoE6EN6thrust23THRUST_200600_302600_NS5tupleIyyNS7_9null_typeES9_S9_S9_S9_S9_S9_S9_EENS0_10empty_typeEbEEZZNS1_14partition_implILS5_6ELb0ES3_mNS7_12zip_iteratorINS8_INS7_6detail15normal_iteratorINS7_10device_ptrIyEEEESJ_S9_S9_S9_S9_S9_S9_S9_S9_EEEEPSB_SM_NS0_5tupleIJNSE_INS8_ISJ_NS7_16discard_iteratorINS7_11use_defaultEEES9_S9_S9_S9_S9_S9_S9_S9_EEEESB_EEENSN_IJSM_SM_EEESB_PlJNSF_9not_fun_tINSF_14equal_to_valueISA_EEEEEEE10hipError_tPvRmT3_T4_T5_T6_T7_T9_mT8_P12ihipStream_tbDpT10_ENKUlT_T0_E_clISt17integral_constantIbLb1EES1I_IbLb0EEEEDaS1E_S1F_EUlS1E_E_NS1_11comp_targetILNS1_3genE2ELNS1_11target_archE906ELNS1_3gpuE6ELNS1_3repE0EEENS1_30default_config_static_selectorELNS0_4arch9wavefront6targetE0EEEvT1_,"axG",@progbits,_ZN7rocprim17ROCPRIM_400000_NS6detail17trampoline_kernelINS0_14default_configENS1_25partition_config_selectorILNS1_17partition_subalgoE6EN6thrust23THRUST_200600_302600_NS5tupleIyyNS7_9null_typeES9_S9_S9_S9_S9_S9_S9_EENS0_10empty_typeEbEEZZNS1_14partition_implILS5_6ELb0ES3_mNS7_12zip_iteratorINS8_INS7_6detail15normal_iteratorINS7_10device_ptrIyEEEESJ_S9_S9_S9_S9_S9_S9_S9_S9_EEEEPSB_SM_NS0_5tupleIJNSE_INS8_ISJ_NS7_16discard_iteratorINS7_11use_defaultEEES9_S9_S9_S9_S9_S9_S9_S9_EEEESB_EEENSN_IJSM_SM_EEESB_PlJNSF_9not_fun_tINSF_14equal_to_valueISA_EEEEEEE10hipError_tPvRmT3_T4_T5_T6_T7_T9_mT8_P12ihipStream_tbDpT10_ENKUlT_T0_E_clISt17integral_constantIbLb1EES1I_IbLb0EEEEDaS1E_S1F_EUlS1E_E_NS1_11comp_targetILNS1_3genE2ELNS1_11target_archE906ELNS1_3gpuE6ELNS1_3repE0EEENS1_30default_config_static_selectorELNS0_4arch9wavefront6targetE0EEEvT1_,comdat
	.protected	_ZN7rocprim17ROCPRIM_400000_NS6detail17trampoline_kernelINS0_14default_configENS1_25partition_config_selectorILNS1_17partition_subalgoE6EN6thrust23THRUST_200600_302600_NS5tupleIyyNS7_9null_typeES9_S9_S9_S9_S9_S9_S9_EENS0_10empty_typeEbEEZZNS1_14partition_implILS5_6ELb0ES3_mNS7_12zip_iteratorINS8_INS7_6detail15normal_iteratorINS7_10device_ptrIyEEEESJ_S9_S9_S9_S9_S9_S9_S9_S9_EEEEPSB_SM_NS0_5tupleIJNSE_INS8_ISJ_NS7_16discard_iteratorINS7_11use_defaultEEES9_S9_S9_S9_S9_S9_S9_S9_EEEESB_EEENSN_IJSM_SM_EEESB_PlJNSF_9not_fun_tINSF_14equal_to_valueISA_EEEEEEE10hipError_tPvRmT3_T4_T5_T6_T7_T9_mT8_P12ihipStream_tbDpT10_ENKUlT_T0_E_clISt17integral_constantIbLb1EES1I_IbLb0EEEEDaS1E_S1F_EUlS1E_E_NS1_11comp_targetILNS1_3genE2ELNS1_11target_archE906ELNS1_3gpuE6ELNS1_3repE0EEENS1_30default_config_static_selectorELNS0_4arch9wavefront6targetE0EEEvT1_ ; -- Begin function _ZN7rocprim17ROCPRIM_400000_NS6detail17trampoline_kernelINS0_14default_configENS1_25partition_config_selectorILNS1_17partition_subalgoE6EN6thrust23THRUST_200600_302600_NS5tupleIyyNS7_9null_typeES9_S9_S9_S9_S9_S9_S9_EENS0_10empty_typeEbEEZZNS1_14partition_implILS5_6ELb0ES3_mNS7_12zip_iteratorINS8_INS7_6detail15normal_iteratorINS7_10device_ptrIyEEEESJ_S9_S9_S9_S9_S9_S9_S9_S9_EEEEPSB_SM_NS0_5tupleIJNSE_INS8_ISJ_NS7_16discard_iteratorINS7_11use_defaultEEES9_S9_S9_S9_S9_S9_S9_S9_EEEESB_EEENSN_IJSM_SM_EEESB_PlJNSF_9not_fun_tINSF_14equal_to_valueISA_EEEEEEE10hipError_tPvRmT3_T4_T5_T6_T7_T9_mT8_P12ihipStream_tbDpT10_ENKUlT_T0_E_clISt17integral_constantIbLb1EES1I_IbLb0EEEEDaS1E_S1F_EUlS1E_E_NS1_11comp_targetILNS1_3genE2ELNS1_11target_archE906ELNS1_3gpuE6ELNS1_3repE0EEENS1_30default_config_static_selectorELNS0_4arch9wavefront6targetE0EEEvT1_
	.globl	_ZN7rocprim17ROCPRIM_400000_NS6detail17trampoline_kernelINS0_14default_configENS1_25partition_config_selectorILNS1_17partition_subalgoE6EN6thrust23THRUST_200600_302600_NS5tupleIyyNS7_9null_typeES9_S9_S9_S9_S9_S9_S9_EENS0_10empty_typeEbEEZZNS1_14partition_implILS5_6ELb0ES3_mNS7_12zip_iteratorINS8_INS7_6detail15normal_iteratorINS7_10device_ptrIyEEEESJ_S9_S9_S9_S9_S9_S9_S9_S9_EEEEPSB_SM_NS0_5tupleIJNSE_INS8_ISJ_NS7_16discard_iteratorINS7_11use_defaultEEES9_S9_S9_S9_S9_S9_S9_S9_EEEESB_EEENSN_IJSM_SM_EEESB_PlJNSF_9not_fun_tINSF_14equal_to_valueISA_EEEEEEE10hipError_tPvRmT3_T4_T5_T6_T7_T9_mT8_P12ihipStream_tbDpT10_ENKUlT_T0_E_clISt17integral_constantIbLb1EES1I_IbLb0EEEEDaS1E_S1F_EUlS1E_E_NS1_11comp_targetILNS1_3genE2ELNS1_11target_archE906ELNS1_3gpuE6ELNS1_3repE0EEENS1_30default_config_static_selectorELNS0_4arch9wavefront6targetE0EEEvT1_
	.p2align	8
	.type	_ZN7rocprim17ROCPRIM_400000_NS6detail17trampoline_kernelINS0_14default_configENS1_25partition_config_selectorILNS1_17partition_subalgoE6EN6thrust23THRUST_200600_302600_NS5tupleIyyNS7_9null_typeES9_S9_S9_S9_S9_S9_S9_EENS0_10empty_typeEbEEZZNS1_14partition_implILS5_6ELb0ES3_mNS7_12zip_iteratorINS8_INS7_6detail15normal_iteratorINS7_10device_ptrIyEEEESJ_S9_S9_S9_S9_S9_S9_S9_S9_EEEEPSB_SM_NS0_5tupleIJNSE_INS8_ISJ_NS7_16discard_iteratorINS7_11use_defaultEEES9_S9_S9_S9_S9_S9_S9_S9_EEEESB_EEENSN_IJSM_SM_EEESB_PlJNSF_9not_fun_tINSF_14equal_to_valueISA_EEEEEEE10hipError_tPvRmT3_T4_T5_T6_T7_T9_mT8_P12ihipStream_tbDpT10_ENKUlT_T0_E_clISt17integral_constantIbLb1EES1I_IbLb0EEEEDaS1E_S1F_EUlS1E_E_NS1_11comp_targetILNS1_3genE2ELNS1_11target_archE906ELNS1_3gpuE6ELNS1_3repE0EEENS1_30default_config_static_selectorELNS0_4arch9wavefront6targetE0EEEvT1_,@function
_ZN7rocprim17ROCPRIM_400000_NS6detail17trampoline_kernelINS0_14default_configENS1_25partition_config_selectorILNS1_17partition_subalgoE6EN6thrust23THRUST_200600_302600_NS5tupleIyyNS7_9null_typeES9_S9_S9_S9_S9_S9_S9_EENS0_10empty_typeEbEEZZNS1_14partition_implILS5_6ELb0ES3_mNS7_12zip_iteratorINS8_INS7_6detail15normal_iteratorINS7_10device_ptrIyEEEESJ_S9_S9_S9_S9_S9_S9_S9_S9_EEEEPSB_SM_NS0_5tupleIJNSE_INS8_ISJ_NS7_16discard_iteratorINS7_11use_defaultEEES9_S9_S9_S9_S9_S9_S9_S9_EEEESB_EEENSN_IJSM_SM_EEESB_PlJNSF_9not_fun_tINSF_14equal_to_valueISA_EEEEEEE10hipError_tPvRmT3_T4_T5_T6_T7_T9_mT8_P12ihipStream_tbDpT10_ENKUlT_T0_E_clISt17integral_constantIbLb1EES1I_IbLb0EEEEDaS1E_S1F_EUlS1E_E_NS1_11comp_targetILNS1_3genE2ELNS1_11target_archE906ELNS1_3gpuE6ELNS1_3repE0EEENS1_30default_config_static_selectorELNS0_4arch9wavefront6targetE0EEEvT1_: ; @_ZN7rocprim17ROCPRIM_400000_NS6detail17trampoline_kernelINS0_14default_configENS1_25partition_config_selectorILNS1_17partition_subalgoE6EN6thrust23THRUST_200600_302600_NS5tupleIyyNS7_9null_typeES9_S9_S9_S9_S9_S9_S9_EENS0_10empty_typeEbEEZZNS1_14partition_implILS5_6ELb0ES3_mNS7_12zip_iteratorINS8_INS7_6detail15normal_iteratorINS7_10device_ptrIyEEEESJ_S9_S9_S9_S9_S9_S9_S9_S9_EEEEPSB_SM_NS0_5tupleIJNSE_INS8_ISJ_NS7_16discard_iteratorINS7_11use_defaultEEES9_S9_S9_S9_S9_S9_S9_S9_EEEESB_EEENSN_IJSM_SM_EEESB_PlJNSF_9not_fun_tINSF_14equal_to_valueISA_EEEEEEE10hipError_tPvRmT3_T4_T5_T6_T7_T9_mT8_P12ihipStream_tbDpT10_ENKUlT_T0_E_clISt17integral_constantIbLb1EES1I_IbLb0EEEEDaS1E_S1F_EUlS1E_E_NS1_11comp_targetILNS1_3genE2ELNS1_11target_archE906ELNS1_3gpuE6ELNS1_3repE0EEENS1_30default_config_static_selectorELNS0_4arch9wavefront6targetE0EEEvT1_
; %bb.0:
	.section	.rodata,"a",@progbits
	.p2align	6, 0x0
	.amdhsa_kernel _ZN7rocprim17ROCPRIM_400000_NS6detail17trampoline_kernelINS0_14default_configENS1_25partition_config_selectorILNS1_17partition_subalgoE6EN6thrust23THRUST_200600_302600_NS5tupleIyyNS7_9null_typeES9_S9_S9_S9_S9_S9_S9_EENS0_10empty_typeEbEEZZNS1_14partition_implILS5_6ELb0ES3_mNS7_12zip_iteratorINS8_INS7_6detail15normal_iteratorINS7_10device_ptrIyEEEESJ_S9_S9_S9_S9_S9_S9_S9_S9_EEEEPSB_SM_NS0_5tupleIJNSE_INS8_ISJ_NS7_16discard_iteratorINS7_11use_defaultEEES9_S9_S9_S9_S9_S9_S9_S9_EEEESB_EEENSN_IJSM_SM_EEESB_PlJNSF_9not_fun_tINSF_14equal_to_valueISA_EEEEEEE10hipError_tPvRmT3_T4_T5_T6_T7_T9_mT8_P12ihipStream_tbDpT10_ENKUlT_T0_E_clISt17integral_constantIbLb1EES1I_IbLb0EEEEDaS1E_S1F_EUlS1E_E_NS1_11comp_targetILNS1_3genE2ELNS1_11target_archE906ELNS1_3gpuE6ELNS1_3repE0EEENS1_30default_config_static_selectorELNS0_4arch9wavefront6targetE0EEEvT1_
		.amdhsa_group_segment_fixed_size 0
		.amdhsa_private_segment_fixed_size 0
		.amdhsa_kernarg_size 152
		.amdhsa_user_sgpr_count 2
		.amdhsa_user_sgpr_dispatch_ptr 0
		.amdhsa_user_sgpr_queue_ptr 0
		.amdhsa_user_sgpr_kernarg_segment_ptr 1
		.amdhsa_user_sgpr_dispatch_id 0
		.amdhsa_user_sgpr_private_segment_size 0
		.amdhsa_wavefront_size32 1
		.amdhsa_uses_dynamic_stack 0
		.amdhsa_enable_private_segment 0
		.amdhsa_system_sgpr_workgroup_id_x 1
		.amdhsa_system_sgpr_workgroup_id_y 0
		.amdhsa_system_sgpr_workgroup_id_z 0
		.amdhsa_system_sgpr_workgroup_info 0
		.amdhsa_system_vgpr_workitem_id 0
		.amdhsa_next_free_vgpr 1
		.amdhsa_next_free_sgpr 1
		.amdhsa_reserve_vcc 0
		.amdhsa_float_round_mode_32 0
		.amdhsa_float_round_mode_16_64 0
		.amdhsa_float_denorm_mode_32 3
		.amdhsa_float_denorm_mode_16_64 3
		.amdhsa_fp16_overflow 0
		.amdhsa_workgroup_processor_mode 1
		.amdhsa_memory_ordered 1
		.amdhsa_forward_progress 1
		.amdhsa_inst_pref_size 0
		.amdhsa_round_robin_scheduling 0
		.amdhsa_exception_fp_ieee_invalid_op 0
		.amdhsa_exception_fp_denorm_src 0
		.amdhsa_exception_fp_ieee_div_zero 0
		.amdhsa_exception_fp_ieee_overflow 0
		.amdhsa_exception_fp_ieee_underflow 0
		.amdhsa_exception_fp_ieee_inexact 0
		.amdhsa_exception_int_div_zero 0
	.end_amdhsa_kernel
	.section	.text._ZN7rocprim17ROCPRIM_400000_NS6detail17trampoline_kernelINS0_14default_configENS1_25partition_config_selectorILNS1_17partition_subalgoE6EN6thrust23THRUST_200600_302600_NS5tupleIyyNS7_9null_typeES9_S9_S9_S9_S9_S9_S9_EENS0_10empty_typeEbEEZZNS1_14partition_implILS5_6ELb0ES3_mNS7_12zip_iteratorINS8_INS7_6detail15normal_iteratorINS7_10device_ptrIyEEEESJ_S9_S9_S9_S9_S9_S9_S9_S9_EEEEPSB_SM_NS0_5tupleIJNSE_INS8_ISJ_NS7_16discard_iteratorINS7_11use_defaultEEES9_S9_S9_S9_S9_S9_S9_S9_EEEESB_EEENSN_IJSM_SM_EEESB_PlJNSF_9not_fun_tINSF_14equal_to_valueISA_EEEEEEE10hipError_tPvRmT3_T4_T5_T6_T7_T9_mT8_P12ihipStream_tbDpT10_ENKUlT_T0_E_clISt17integral_constantIbLb1EES1I_IbLb0EEEEDaS1E_S1F_EUlS1E_E_NS1_11comp_targetILNS1_3genE2ELNS1_11target_archE906ELNS1_3gpuE6ELNS1_3repE0EEENS1_30default_config_static_selectorELNS0_4arch9wavefront6targetE0EEEvT1_,"axG",@progbits,_ZN7rocprim17ROCPRIM_400000_NS6detail17trampoline_kernelINS0_14default_configENS1_25partition_config_selectorILNS1_17partition_subalgoE6EN6thrust23THRUST_200600_302600_NS5tupleIyyNS7_9null_typeES9_S9_S9_S9_S9_S9_S9_EENS0_10empty_typeEbEEZZNS1_14partition_implILS5_6ELb0ES3_mNS7_12zip_iteratorINS8_INS7_6detail15normal_iteratorINS7_10device_ptrIyEEEESJ_S9_S9_S9_S9_S9_S9_S9_S9_EEEEPSB_SM_NS0_5tupleIJNSE_INS8_ISJ_NS7_16discard_iteratorINS7_11use_defaultEEES9_S9_S9_S9_S9_S9_S9_S9_EEEESB_EEENSN_IJSM_SM_EEESB_PlJNSF_9not_fun_tINSF_14equal_to_valueISA_EEEEEEE10hipError_tPvRmT3_T4_T5_T6_T7_T9_mT8_P12ihipStream_tbDpT10_ENKUlT_T0_E_clISt17integral_constantIbLb1EES1I_IbLb0EEEEDaS1E_S1F_EUlS1E_E_NS1_11comp_targetILNS1_3genE2ELNS1_11target_archE906ELNS1_3gpuE6ELNS1_3repE0EEENS1_30default_config_static_selectorELNS0_4arch9wavefront6targetE0EEEvT1_,comdat
.Lfunc_end1905:
	.size	_ZN7rocprim17ROCPRIM_400000_NS6detail17trampoline_kernelINS0_14default_configENS1_25partition_config_selectorILNS1_17partition_subalgoE6EN6thrust23THRUST_200600_302600_NS5tupleIyyNS7_9null_typeES9_S9_S9_S9_S9_S9_S9_EENS0_10empty_typeEbEEZZNS1_14partition_implILS5_6ELb0ES3_mNS7_12zip_iteratorINS8_INS7_6detail15normal_iteratorINS7_10device_ptrIyEEEESJ_S9_S9_S9_S9_S9_S9_S9_S9_EEEEPSB_SM_NS0_5tupleIJNSE_INS8_ISJ_NS7_16discard_iteratorINS7_11use_defaultEEES9_S9_S9_S9_S9_S9_S9_S9_EEEESB_EEENSN_IJSM_SM_EEESB_PlJNSF_9not_fun_tINSF_14equal_to_valueISA_EEEEEEE10hipError_tPvRmT3_T4_T5_T6_T7_T9_mT8_P12ihipStream_tbDpT10_ENKUlT_T0_E_clISt17integral_constantIbLb1EES1I_IbLb0EEEEDaS1E_S1F_EUlS1E_E_NS1_11comp_targetILNS1_3genE2ELNS1_11target_archE906ELNS1_3gpuE6ELNS1_3repE0EEENS1_30default_config_static_selectorELNS0_4arch9wavefront6targetE0EEEvT1_, .Lfunc_end1905-_ZN7rocprim17ROCPRIM_400000_NS6detail17trampoline_kernelINS0_14default_configENS1_25partition_config_selectorILNS1_17partition_subalgoE6EN6thrust23THRUST_200600_302600_NS5tupleIyyNS7_9null_typeES9_S9_S9_S9_S9_S9_S9_EENS0_10empty_typeEbEEZZNS1_14partition_implILS5_6ELb0ES3_mNS7_12zip_iteratorINS8_INS7_6detail15normal_iteratorINS7_10device_ptrIyEEEESJ_S9_S9_S9_S9_S9_S9_S9_S9_EEEEPSB_SM_NS0_5tupleIJNSE_INS8_ISJ_NS7_16discard_iteratorINS7_11use_defaultEEES9_S9_S9_S9_S9_S9_S9_S9_EEEESB_EEENSN_IJSM_SM_EEESB_PlJNSF_9not_fun_tINSF_14equal_to_valueISA_EEEEEEE10hipError_tPvRmT3_T4_T5_T6_T7_T9_mT8_P12ihipStream_tbDpT10_ENKUlT_T0_E_clISt17integral_constantIbLb1EES1I_IbLb0EEEEDaS1E_S1F_EUlS1E_E_NS1_11comp_targetILNS1_3genE2ELNS1_11target_archE906ELNS1_3gpuE6ELNS1_3repE0EEENS1_30default_config_static_selectorELNS0_4arch9wavefront6targetE0EEEvT1_
                                        ; -- End function
	.set _ZN7rocprim17ROCPRIM_400000_NS6detail17trampoline_kernelINS0_14default_configENS1_25partition_config_selectorILNS1_17partition_subalgoE6EN6thrust23THRUST_200600_302600_NS5tupleIyyNS7_9null_typeES9_S9_S9_S9_S9_S9_S9_EENS0_10empty_typeEbEEZZNS1_14partition_implILS5_6ELb0ES3_mNS7_12zip_iteratorINS8_INS7_6detail15normal_iteratorINS7_10device_ptrIyEEEESJ_S9_S9_S9_S9_S9_S9_S9_S9_EEEEPSB_SM_NS0_5tupleIJNSE_INS8_ISJ_NS7_16discard_iteratorINS7_11use_defaultEEES9_S9_S9_S9_S9_S9_S9_S9_EEEESB_EEENSN_IJSM_SM_EEESB_PlJNSF_9not_fun_tINSF_14equal_to_valueISA_EEEEEEE10hipError_tPvRmT3_T4_T5_T6_T7_T9_mT8_P12ihipStream_tbDpT10_ENKUlT_T0_E_clISt17integral_constantIbLb1EES1I_IbLb0EEEEDaS1E_S1F_EUlS1E_E_NS1_11comp_targetILNS1_3genE2ELNS1_11target_archE906ELNS1_3gpuE6ELNS1_3repE0EEENS1_30default_config_static_selectorELNS0_4arch9wavefront6targetE0EEEvT1_.num_vgpr, 0
	.set _ZN7rocprim17ROCPRIM_400000_NS6detail17trampoline_kernelINS0_14default_configENS1_25partition_config_selectorILNS1_17partition_subalgoE6EN6thrust23THRUST_200600_302600_NS5tupleIyyNS7_9null_typeES9_S9_S9_S9_S9_S9_S9_EENS0_10empty_typeEbEEZZNS1_14partition_implILS5_6ELb0ES3_mNS7_12zip_iteratorINS8_INS7_6detail15normal_iteratorINS7_10device_ptrIyEEEESJ_S9_S9_S9_S9_S9_S9_S9_S9_EEEEPSB_SM_NS0_5tupleIJNSE_INS8_ISJ_NS7_16discard_iteratorINS7_11use_defaultEEES9_S9_S9_S9_S9_S9_S9_S9_EEEESB_EEENSN_IJSM_SM_EEESB_PlJNSF_9not_fun_tINSF_14equal_to_valueISA_EEEEEEE10hipError_tPvRmT3_T4_T5_T6_T7_T9_mT8_P12ihipStream_tbDpT10_ENKUlT_T0_E_clISt17integral_constantIbLb1EES1I_IbLb0EEEEDaS1E_S1F_EUlS1E_E_NS1_11comp_targetILNS1_3genE2ELNS1_11target_archE906ELNS1_3gpuE6ELNS1_3repE0EEENS1_30default_config_static_selectorELNS0_4arch9wavefront6targetE0EEEvT1_.num_agpr, 0
	.set _ZN7rocprim17ROCPRIM_400000_NS6detail17trampoline_kernelINS0_14default_configENS1_25partition_config_selectorILNS1_17partition_subalgoE6EN6thrust23THRUST_200600_302600_NS5tupleIyyNS7_9null_typeES9_S9_S9_S9_S9_S9_S9_EENS0_10empty_typeEbEEZZNS1_14partition_implILS5_6ELb0ES3_mNS7_12zip_iteratorINS8_INS7_6detail15normal_iteratorINS7_10device_ptrIyEEEESJ_S9_S9_S9_S9_S9_S9_S9_S9_EEEEPSB_SM_NS0_5tupleIJNSE_INS8_ISJ_NS7_16discard_iteratorINS7_11use_defaultEEES9_S9_S9_S9_S9_S9_S9_S9_EEEESB_EEENSN_IJSM_SM_EEESB_PlJNSF_9not_fun_tINSF_14equal_to_valueISA_EEEEEEE10hipError_tPvRmT3_T4_T5_T6_T7_T9_mT8_P12ihipStream_tbDpT10_ENKUlT_T0_E_clISt17integral_constantIbLb1EES1I_IbLb0EEEEDaS1E_S1F_EUlS1E_E_NS1_11comp_targetILNS1_3genE2ELNS1_11target_archE906ELNS1_3gpuE6ELNS1_3repE0EEENS1_30default_config_static_selectorELNS0_4arch9wavefront6targetE0EEEvT1_.numbered_sgpr, 0
	.set _ZN7rocprim17ROCPRIM_400000_NS6detail17trampoline_kernelINS0_14default_configENS1_25partition_config_selectorILNS1_17partition_subalgoE6EN6thrust23THRUST_200600_302600_NS5tupleIyyNS7_9null_typeES9_S9_S9_S9_S9_S9_S9_EENS0_10empty_typeEbEEZZNS1_14partition_implILS5_6ELb0ES3_mNS7_12zip_iteratorINS8_INS7_6detail15normal_iteratorINS7_10device_ptrIyEEEESJ_S9_S9_S9_S9_S9_S9_S9_S9_EEEEPSB_SM_NS0_5tupleIJNSE_INS8_ISJ_NS7_16discard_iteratorINS7_11use_defaultEEES9_S9_S9_S9_S9_S9_S9_S9_EEEESB_EEENSN_IJSM_SM_EEESB_PlJNSF_9not_fun_tINSF_14equal_to_valueISA_EEEEEEE10hipError_tPvRmT3_T4_T5_T6_T7_T9_mT8_P12ihipStream_tbDpT10_ENKUlT_T0_E_clISt17integral_constantIbLb1EES1I_IbLb0EEEEDaS1E_S1F_EUlS1E_E_NS1_11comp_targetILNS1_3genE2ELNS1_11target_archE906ELNS1_3gpuE6ELNS1_3repE0EEENS1_30default_config_static_selectorELNS0_4arch9wavefront6targetE0EEEvT1_.num_named_barrier, 0
	.set _ZN7rocprim17ROCPRIM_400000_NS6detail17trampoline_kernelINS0_14default_configENS1_25partition_config_selectorILNS1_17partition_subalgoE6EN6thrust23THRUST_200600_302600_NS5tupleIyyNS7_9null_typeES9_S9_S9_S9_S9_S9_S9_EENS0_10empty_typeEbEEZZNS1_14partition_implILS5_6ELb0ES3_mNS7_12zip_iteratorINS8_INS7_6detail15normal_iteratorINS7_10device_ptrIyEEEESJ_S9_S9_S9_S9_S9_S9_S9_S9_EEEEPSB_SM_NS0_5tupleIJNSE_INS8_ISJ_NS7_16discard_iteratorINS7_11use_defaultEEES9_S9_S9_S9_S9_S9_S9_S9_EEEESB_EEENSN_IJSM_SM_EEESB_PlJNSF_9not_fun_tINSF_14equal_to_valueISA_EEEEEEE10hipError_tPvRmT3_T4_T5_T6_T7_T9_mT8_P12ihipStream_tbDpT10_ENKUlT_T0_E_clISt17integral_constantIbLb1EES1I_IbLb0EEEEDaS1E_S1F_EUlS1E_E_NS1_11comp_targetILNS1_3genE2ELNS1_11target_archE906ELNS1_3gpuE6ELNS1_3repE0EEENS1_30default_config_static_selectorELNS0_4arch9wavefront6targetE0EEEvT1_.private_seg_size, 0
	.set _ZN7rocprim17ROCPRIM_400000_NS6detail17trampoline_kernelINS0_14default_configENS1_25partition_config_selectorILNS1_17partition_subalgoE6EN6thrust23THRUST_200600_302600_NS5tupleIyyNS7_9null_typeES9_S9_S9_S9_S9_S9_S9_EENS0_10empty_typeEbEEZZNS1_14partition_implILS5_6ELb0ES3_mNS7_12zip_iteratorINS8_INS7_6detail15normal_iteratorINS7_10device_ptrIyEEEESJ_S9_S9_S9_S9_S9_S9_S9_S9_EEEEPSB_SM_NS0_5tupleIJNSE_INS8_ISJ_NS7_16discard_iteratorINS7_11use_defaultEEES9_S9_S9_S9_S9_S9_S9_S9_EEEESB_EEENSN_IJSM_SM_EEESB_PlJNSF_9not_fun_tINSF_14equal_to_valueISA_EEEEEEE10hipError_tPvRmT3_T4_T5_T6_T7_T9_mT8_P12ihipStream_tbDpT10_ENKUlT_T0_E_clISt17integral_constantIbLb1EES1I_IbLb0EEEEDaS1E_S1F_EUlS1E_E_NS1_11comp_targetILNS1_3genE2ELNS1_11target_archE906ELNS1_3gpuE6ELNS1_3repE0EEENS1_30default_config_static_selectorELNS0_4arch9wavefront6targetE0EEEvT1_.uses_vcc, 0
	.set _ZN7rocprim17ROCPRIM_400000_NS6detail17trampoline_kernelINS0_14default_configENS1_25partition_config_selectorILNS1_17partition_subalgoE6EN6thrust23THRUST_200600_302600_NS5tupleIyyNS7_9null_typeES9_S9_S9_S9_S9_S9_S9_EENS0_10empty_typeEbEEZZNS1_14partition_implILS5_6ELb0ES3_mNS7_12zip_iteratorINS8_INS7_6detail15normal_iteratorINS7_10device_ptrIyEEEESJ_S9_S9_S9_S9_S9_S9_S9_S9_EEEEPSB_SM_NS0_5tupleIJNSE_INS8_ISJ_NS7_16discard_iteratorINS7_11use_defaultEEES9_S9_S9_S9_S9_S9_S9_S9_EEEESB_EEENSN_IJSM_SM_EEESB_PlJNSF_9not_fun_tINSF_14equal_to_valueISA_EEEEEEE10hipError_tPvRmT3_T4_T5_T6_T7_T9_mT8_P12ihipStream_tbDpT10_ENKUlT_T0_E_clISt17integral_constantIbLb1EES1I_IbLb0EEEEDaS1E_S1F_EUlS1E_E_NS1_11comp_targetILNS1_3genE2ELNS1_11target_archE906ELNS1_3gpuE6ELNS1_3repE0EEENS1_30default_config_static_selectorELNS0_4arch9wavefront6targetE0EEEvT1_.uses_flat_scratch, 0
	.set _ZN7rocprim17ROCPRIM_400000_NS6detail17trampoline_kernelINS0_14default_configENS1_25partition_config_selectorILNS1_17partition_subalgoE6EN6thrust23THRUST_200600_302600_NS5tupleIyyNS7_9null_typeES9_S9_S9_S9_S9_S9_S9_EENS0_10empty_typeEbEEZZNS1_14partition_implILS5_6ELb0ES3_mNS7_12zip_iteratorINS8_INS7_6detail15normal_iteratorINS7_10device_ptrIyEEEESJ_S9_S9_S9_S9_S9_S9_S9_S9_EEEEPSB_SM_NS0_5tupleIJNSE_INS8_ISJ_NS7_16discard_iteratorINS7_11use_defaultEEES9_S9_S9_S9_S9_S9_S9_S9_EEEESB_EEENSN_IJSM_SM_EEESB_PlJNSF_9not_fun_tINSF_14equal_to_valueISA_EEEEEEE10hipError_tPvRmT3_T4_T5_T6_T7_T9_mT8_P12ihipStream_tbDpT10_ENKUlT_T0_E_clISt17integral_constantIbLb1EES1I_IbLb0EEEEDaS1E_S1F_EUlS1E_E_NS1_11comp_targetILNS1_3genE2ELNS1_11target_archE906ELNS1_3gpuE6ELNS1_3repE0EEENS1_30default_config_static_selectorELNS0_4arch9wavefront6targetE0EEEvT1_.has_dyn_sized_stack, 0
	.set _ZN7rocprim17ROCPRIM_400000_NS6detail17trampoline_kernelINS0_14default_configENS1_25partition_config_selectorILNS1_17partition_subalgoE6EN6thrust23THRUST_200600_302600_NS5tupleIyyNS7_9null_typeES9_S9_S9_S9_S9_S9_S9_EENS0_10empty_typeEbEEZZNS1_14partition_implILS5_6ELb0ES3_mNS7_12zip_iteratorINS8_INS7_6detail15normal_iteratorINS7_10device_ptrIyEEEESJ_S9_S9_S9_S9_S9_S9_S9_S9_EEEEPSB_SM_NS0_5tupleIJNSE_INS8_ISJ_NS7_16discard_iteratorINS7_11use_defaultEEES9_S9_S9_S9_S9_S9_S9_S9_EEEESB_EEENSN_IJSM_SM_EEESB_PlJNSF_9not_fun_tINSF_14equal_to_valueISA_EEEEEEE10hipError_tPvRmT3_T4_T5_T6_T7_T9_mT8_P12ihipStream_tbDpT10_ENKUlT_T0_E_clISt17integral_constantIbLb1EES1I_IbLb0EEEEDaS1E_S1F_EUlS1E_E_NS1_11comp_targetILNS1_3genE2ELNS1_11target_archE906ELNS1_3gpuE6ELNS1_3repE0EEENS1_30default_config_static_selectorELNS0_4arch9wavefront6targetE0EEEvT1_.has_recursion, 0
	.set _ZN7rocprim17ROCPRIM_400000_NS6detail17trampoline_kernelINS0_14default_configENS1_25partition_config_selectorILNS1_17partition_subalgoE6EN6thrust23THRUST_200600_302600_NS5tupleIyyNS7_9null_typeES9_S9_S9_S9_S9_S9_S9_EENS0_10empty_typeEbEEZZNS1_14partition_implILS5_6ELb0ES3_mNS7_12zip_iteratorINS8_INS7_6detail15normal_iteratorINS7_10device_ptrIyEEEESJ_S9_S9_S9_S9_S9_S9_S9_S9_EEEEPSB_SM_NS0_5tupleIJNSE_INS8_ISJ_NS7_16discard_iteratorINS7_11use_defaultEEES9_S9_S9_S9_S9_S9_S9_S9_EEEESB_EEENSN_IJSM_SM_EEESB_PlJNSF_9not_fun_tINSF_14equal_to_valueISA_EEEEEEE10hipError_tPvRmT3_T4_T5_T6_T7_T9_mT8_P12ihipStream_tbDpT10_ENKUlT_T0_E_clISt17integral_constantIbLb1EES1I_IbLb0EEEEDaS1E_S1F_EUlS1E_E_NS1_11comp_targetILNS1_3genE2ELNS1_11target_archE906ELNS1_3gpuE6ELNS1_3repE0EEENS1_30default_config_static_selectorELNS0_4arch9wavefront6targetE0EEEvT1_.has_indirect_call, 0
	.section	.AMDGPU.csdata,"",@progbits
; Kernel info:
; codeLenInByte = 0
; TotalNumSgprs: 0
; NumVgprs: 0
; ScratchSize: 0
; MemoryBound: 0
; FloatMode: 240
; IeeeMode: 1
; LDSByteSize: 0 bytes/workgroup (compile time only)
; SGPRBlocks: 0
; VGPRBlocks: 0
; NumSGPRsForWavesPerEU: 1
; NumVGPRsForWavesPerEU: 1
; Occupancy: 16
; WaveLimiterHint : 0
; COMPUTE_PGM_RSRC2:SCRATCH_EN: 0
; COMPUTE_PGM_RSRC2:USER_SGPR: 2
; COMPUTE_PGM_RSRC2:TRAP_HANDLER: 0
; COMPUTE_PGM_RSRC2:TGID_X_EN: 1
; COMPUTE_PGM_RSRC2:TGID_Y_EN: 0
; COMPUTE_PGM_RSRC2:TGID_Z_EN: 0
; COMPUTE_PGM_RSRC2:TIDIG_COMP_CNT: 0
	.section	.text._ZN7rocprim17ROCPRIM_400000_NS6detail17trampoline_kernelINS0_14default_configENS1_25partition_config_selectorILNS1_17partition_subalgoE6EN6thrust23THRUST_200600_302600_NS5tupleIyyNS7_9null_typeES9_S9_S9_S9_S9_S9_S9_EENS0_10empty_typeEbEEZZNS1_14partition_implILS5_6ELb0ES3_mNS7_12zip_iteratorINS8_INS7_6detail15normal_iteratorINS7_10device_ptrIyEEEESJ_S9_S9_S9_S9_S9_S9_S9_S9_EEEEPSB_SM_NS0_5tupleIJNSE_INS8_ISJ_NS7_16discard_iteratorINS7_11use_defaultEEES9_S9_S9_S9_S9_S9_S9_S9_EEEESB_EEENSN_IJSM_SM_EEESB_PlJNSF_9not_fun_tINSF_14equal_to_valueISA_EEEEEEE10hipError_tPvRmT3_T4_T5_T6_T7_T9_mT8_P12ihipStream_tbDpT10_ENKUlT_T0_E_clISt17integral_constantIbLb1EES1I_IbLb0EEEEDaS1E_S1F_EUlS1E_E_NS1_11comp_targetILNS1_3genE10ELNS1_11target_archE1200ELNS1_3gpuE4ELNS1_3repE0EEENS1_30default_config_static_selectorELNS0_4arch9wavefront6targetE0EEEvT1_,"axG",@progbits,_ZN7rocprim17ROCPRIM_400000_NS6detail17trampoline_kernelINS0_14default_configENS1_25partition_config_selectorILNS1_17partition_subalgoE6EN6thrust23THRUST_200600_302600_NS5tupleIyyNS7_9null_typeES9_S9_S9_S9_S9_S9_S9_EENS0_10empty_typeEbEEZZNS1_14partition_implILS5_6ELb0ES3_mNS7_12zip_iteratorINS8_INS7_6detail15normal_iteratorINS7_10device_ptrIyEEEESJ_S9_S9_S9_S9_S9_S9_S9_S9_EEEEPSB_SM_NS0_5tupleIJNSE_INS8_ISJ_NS7_16discard_iteratorINS7_11use_defaultEEES9_S9_S9_S9_S9_S9_S9_S9_EEEESB_EEENSN_IJSM_SM_EEESB_PlJNSF_9not_fun_tINSF_14equal_to_valueISA_EEEEEEE10hipError_tPvRmT3_T4_T5_T6_T7_T9_mT8_P12ihipStream_tbDpT10_ENKUlT_T0_E_clISt17integral_constantIbLb1EES1I_IbLb0EEEEDaS1E_S1F_EUlS1E_E_NS1_11comp_targetILNS1_3genE10ELNS1_11target_archE1200ELNS1_3gpuE4ELNS1_3repE0EEENS1_30default_config_static_selectorELNS0_4arch9wavefront6targetE0EEEvT1_,comdat
	.protected	_ZN7rocprim17ROCPRIM_400000_NS6detail17trampoline_kernelINS0_14default_configENS1_25partition_config_selectorILNS1_17partition_subalgoE6EN6thrust23THRUST_200600_302600_NS5tupleIyyNS7_9null_typeES9_S9_S9_S9_S9_S9_S9_EENS0_10empty_typeEbEEZZNS1_14partition_implILS5_6ELb0ES3_mNS7_12zip_iteratorINS8_INS7_6detail15normal_iteratorINS7_10device_ptrIyEEEESJ_S9_S9_S9_S9_S9_S9_S9_S9_EEEEPSB_SM_NS0_5tupleIJNSE_INS8_ISJ_NS7_16discard_iteratorINS7_11use_defaultEEES9_S9_S9_S9_S9_S9_S9_S9_EEEESB_EEENSN_IJSM_SM_EEESB_PlJNSF_9not_fun_tINSF_14equal_to_valueISA_EEEEEEE10hipError_tPvRmT3_T4_T5_T6_T7_T9_mT8_P12ihipStream_tbDpT10_ENKUlT_T0_E_clISt17integral_constantIbLb1EES1I_IbLb0EEEEDaS1E_S1F_EUlS1E_E_NS1_11comp_targetILNS1_3genE10ELNS1_11target_archE1200ELNS1_3gpuE4ELNS1_3repE0EEENS1_30default_config_static_selectorELNS0_4arch9wavefront6targetE0EEEvT1_ ; -- Begin function _ZN7rocprim17ROCPRIM_400000_NS6detail17trampoline_kernelINS0_14default_configENS1_25partition_config_selectorILNS1_17partition_subalgoE6EN6thrust23THRUST_200600_302600_NS5tupleIyyNS7_9null_typeES9_S9_S9_S9_S9_S9_S9_EENS0_10empty_typeEbEEZZNS1_14partition_implILS5_6ELb0ES3_mNS7_12zip_iteratorINS8_INS7_6detail15normal_iteratorINS7_10device_ptrIyEEEESJ_S9_S9_S9_S9_S9_S9_S9_S9_EEEEPSB_SM_NS0_5tupleIJNSE_INS8_ISJ_NS7_16discard_iteratorINS7_11use_defaultEEES9_S9_S9_S9_S9_S9_S9_S9_EEEESB_EEENSN_IJSM_SM_EEESB_PlJNSF_9not_fun_tINSF_14equal_to_valueISA_EEEEEEE10hipError_tPvRmT3_T4_T5_T6_T7_T9_mT8_P12ihipStream_tbDpT10_ENKUlT_T0_E_clISt17integral_constantIbLb1EES1I_IbLb0EEEEDaS1E_S1F_EUlS1E_E_NS1_11comp_targetILNS1_3genE10ELNS1_11target_archE1200ELNS1_3gpuE4ELNS1_3repE0EEENS1_30default_config_static_selectorELNS0_4arch9wavefront6targetE0EEEvT1_
	.globl	_ZN7rocprim17ROCPRIM_400000_NS6detail17trampoline_kernelINS0_14default_configENS1_25partition_config_selectorILNS1_17partition_subalgoE6EN6thrust23THRUST_200600_302600_NS5tupleIyyNS7_9null_typeES9_S9_S9_S9_S9_S9_S9_EENS0_10empty_typeEbEEZZNS1_14partition_implILS5_6ELb0ES3_mNS7_12zip_iteratorINS8_INS7_6detail15normal_iteratorINS7_10device_ptrIyEEEESJ_S9_S9_S9_S9_S9_S9_S9_S9_EEEEPSB_SM_NS0_5tupleIJNSE_INS8_ISJ_NS7_16discard_iteratorINS7_11use_defaultEEES9_S9_S9_S9_S9_S9_S9_S9_EEEESB_EEENSN_IJSM_SM_EEESB_PlJNSF_9not_fun_tINSF_14equal_to_valueISA_EEEEEEE10hipError_tPvRmT3_T4_T5_T6_T7_T9_mT8_P12ihipStream_tbDpT10_ENKUlT_T0_E_clISt17integral_constantIbLb1EES1I_IbLb0EEEEDaS1E_S1F_EUlS1E_E_NS1_11comp_targetILNS1_3genE10ELNS1_11target_archE1200ELNS1_3gpuE4ELNS1_3repE0EEENS1_30default_config_static_selectorELNS0_4arch9wavefront6targetE0EEEvT1_
	.p2align	8
	.type	_ZN7rocprim17ROCPRIM_400000_NS6detail17trampoline_kernelINS0_14default_configENS1_25partition_config_selectorILNS1_17partition_subalgoE6EN6thrust23THRUST_200600_302600_NS5tupleIyyNS7_9null_typeES9_S9_S9_S9_S9_S9_S9_EENS0_10empty_typeEbEEZZNS1_14partition_implILS5_6ELb0ES3_mNS7_12zip_iteratorINS8_INS7_6detail15normal_iteratorINS7_10device_ptrIyEEEESJ_S9_S9_S9_S9_S9_S9_S9_S9_EEEEPSB_SM_NS0_5tupleIJNSE_INS8_ISJ_NS7_16discard_iteratorINS7_11use_defaultEEES9_S9_S9_S9_S9_S9_S9_S9_EEEESB_EEENSN_IJSM_SM_EEESB_PlJNSF_9not_fun_tINSF_14equal_to_valueISA_EEEEEEE10hipError_tPvRmT3_T4_T5_T6_T7_T9_mT8_P12ihipStream_tbDpT10_ENKUlT_T0_E_clISt17integral_constantIbLb1EES1I_IbLb0EEEEDaS1E_S1F_EUlS1E_E_NS1_11comp_targetILNS1_3genE10ELNS1_11target_archE1200ELNS1_3gpuE4ELNS1_3repE0EEENS1_30default_config_static_selectorELNS0_4arch9wavefront6targetE0EEEvT1_,@function
_ZN7rocprim17ROCPRIM_400000_NS6detail17trampoline_kernelINS0_14default_configENS1_25partition_config_selectorILNS1_17partition_subalgoE6EN6thrust23THRUST_200600_302600_NS5tupleIyyNS7_9null_typeES9_S9_S9_S9_S9_S9_S9_EENS0_10empty_typeEbEEZZNS1_14partition_implILS5_6ELb0ES3_mNS7_12zip_iteratorINS8_INS7_6detail15normal_iteratorINS7_10device_ptrIyEEEESJ_S9_S9_S9_S9_S9_S9_S9_S9_EEEEPSB_SM_NS0_5tupleIJNSE_INS8_ISJ_NS7_16discard_iteratorINS7_11use_defaultEEES9_S9_S9_S9_S9_S9_S9_S9_EEEESB_EEENSN_IJSM_SM_EEESB_PlJNSF_9not_fun_tINSF_14equal_to_valueISA_EEEEEEE10hipError_tPvRmT3_T4_T5_T6_T7_T9_mT8_P12ihipStream_tbDpT10_ENKUlT_T0_E_clISt17integral_constantIbLb1EES1I_IbLb0EEEEDaS1E_S1F_EUlS1E_E_NS1_11comp_targetILNS1_3genE10ELNS1_11target_archE1200ELNS1_3gpuE4ELNS1_3repE0EEENS1_30default_config_static_selectorELNS0_4arch9wavefront6targetE0EEEvT1_: ; @_ZN7rocprim17ROCPRIM_400000_NS6detail17trampoline_kernelINS0_14default_configENS1_25partition_config_selectorILNS1_17partition_subalgoE6EN6thrust23THRUST_200600_302600_NS5tupleIyyNS7_9null_typeES9_S9_S9_S9_S9_S9_S9_EENS0_10empty_typeEbEEZZNS1_14partition_implILS5_6ELb0ES3_mNS7_12zip_iteratorINS8_INS7_6detail15normal_iteratorINS7_10device_ptrIyEEEESJ_S9_S9_S9_S9_S9_S9_S9_S9_EEEEPSB_SM_NS0_5tupleIJNSE_INS8_ISJ_NS7_16discard_iteratorINS7_11use_defaultEEES9_S9_S9_S9_S9_S9_S9_S9_EEEESB_EEENSN_IJSM_SM_EEESB_PlJNSF_9not_fun_tINSF_14equal_to_valueISA_EEEEEEE10hipError_tPvRmT3_T4_T5_T6_T7_T9_mT8_P12ihipStream_tbDpT10_ENKUlT_T0_E_clISt17integral_constantIbLb1EES1I_IbLb0EEEEDaS1E_S1F_EUlS1E_E_NS1_11comp_targetILNS1_3genE10ELNS1_11target_archE1200ELNS1_3gpuE4ELNS1_3repE0EEENS1_30default_config_static_selectorELNS0_4arch9wavefront6targetE0EEEvT1_
; %bb.0:
	s_endpgm
	.section	.rodata,"a",@progbits
	.p2align	6, 0x0
	.amdhsa_kernel _ZN7rocprim17ROCPRIM_400000_NS6detail17trampoline_kernelINS0_14default_configENS1_25partition_config_selectorILNS1_17partition_subalgoE6EN6thrust23THRUST_200600_302600_NS5tupleIyyNS7_9null_typeES9_S9_S9_S9_S9_S9_S9_EENS0_10empty_typeEbEEZZNS1_14partition_implILS5_6ELb0ES3_mNS7_12zip_iteratorINS8_INS7_6detail15normal_iteratorINS7_10device_ptrIyEEEESJ_S9_S9_S9_S9_S9_S9_S9_S9_EEEEPSB_SM_NS0_5tupleIJNSE_INS8_ISJ_NS7_16discard_iteratorINS7_11use_defaultEEES9_S9_S9_S9_S9_S9_S9_S9_EEEESB_EEENSN_IJSM_SM_EEESB_PlJNSF_9not_fun_tINSF_14equal_to_valueISA_EEEEEEE10hipError_tPvRmT3_T4_T5_T6_T7_T9_mT8_P12ihipStream_tbDpT10_ENKUlT_T0_E_clISt17integral_constantIbLb1EES1I_IbLb0EEEEDaS1E_S1F_EUlS1E_E_NS1_11comp_targetILNS1_3genE10ELNS1_11target_archE1200ELNS1_3gpuE4ELNS1_3repE0EEENS1_30default_config_static_selectorELNS0_4arch9wavefront6targetE0EEEvT1_
		.amdhsa_group_segment_fixed_size 0
		.amdhsa_private_segment_fixed_size 0
		.amdhsa_kernarg_size 152
		.amdhsa_user_sgpr_count 2
		.amdhsa_user_sgpr_dispatch_ptr 0
		.amdhsa_user_sgpr_queue_ptr 0
		.amdhsa_user_sgpr_kernarg_segment_ptr 1
		.amdhsa_user_sgpr_dispatch_id 0
		.amdhsa_user_sgpr_private_segment_size 0
		.amdhsa_wavefront_size32 1
		.amdhsa_uses_dynamic_stack 0
		.amdhsa_enable_private_segment 0
		.amdhsa_system_sgpr_workgroup_id_x 1
		.amdhsa_system_sgpr_workgroup_id_y 0
		.amdhsa_system_sgpr_workgroup_id_z 0
		.amdhsa_system_sgpr_workgroup_info 0
		.amdhsa_system_vgpr_workitem_id 0
		.amdhsa_next_free_vgpr 1
		.amdhsa_next_free_sgpr 1
		.amdhsa_reserve_vcc 0
		.amdhsa_float_round_mode_32 0
		.amdhsa_float_round_mode_16_64 0
		.amdhsa_float_denorm_mode_32 3
		.amdhsa_float_denorm_mode_16_64 3
		.amdhsa_fp16_overflow 0
		.amdhsa_workgroup_processor_mode 1
		.amdhsa_memory_ordered 1
		.amdhsa_forward_progress 1
		.amdhsa_inst_pref_size 1
		.amdhsa_round_robin_scheduling 0
		.amdhsa_exception_fp_ieee_invalid_op 0
		.amdhsa_exception_fp_denorm_src 0
		.amdhsa_exception_fp_ieee_div_zero 0
		.amdhsa_exception_fp_ieee_overflow 0
		.amdhsa_exception_fp_ieee_underflow 0
		.amdhsa_exception_fp_ieee_inexact 0
		.amdhsa_exception_int_div_zero 0
	.end_amdhsa_kernel
	.section	.text._ZN7rocprim17ROCPRIM_400000_NS6detail17trampoline_kernelINS0_14default_configENS1_25partition_config_selectorILNS1_17partition_subalgoE6EN6thrust23THRUST_200600_302600_NS5tupleIyyNS7_9null_typeES9_S9_S9_S9_S9_S9_S9_EENS0_10empty_typeEbEEZZNS1_14partition_implILS5_6ELb0ES3_mNS7_12zip_iteratorINS8_INS7_6detail15normal_iteratorINS7_10device_ptrIyEEEESJ_S9_S9_S9_S9_S9_S9_S9_S9_EEEEPSB_SM_NS0_5tupleIJNSE_INS8_ISJ_NS7_16discard_iteratorINS7_11use_defaultEEES9_S9_S9_S9_S9_S9_S9_S9_EEEESB_EEENSN_IJSM_SM_EEESB_PlJNSF_9not_fun_tINSF_14equal_to_valueISA_EEEEEEE10hipError_tPvRmT3_T4_T5_T6_T7_T9_mT8_P12ihipStream_tbDpT10_ENKUlT_T0_E_clISt17integral_constantIbLb1EES1I_IbLb0EEEEDaS1E_S1F_EUlS1E_E_NS1_11comp_targetILNS1_3genE10ELNS1_11target_archE1200ELNS1_3gpuE4ELNS1_3repE0EEENS1_30default_config_static_selectorELNS0_4arch9wavefront6targetE0EEEvT1_,"axG",@progbits,_ZN7rocprim17ROCPRIM_400000_NS6detail17trampoline_kernelINS0_14default_configENS1_25partition_config_selectorILNS1_17partition_subalgoE6EN6thrust23THRUST_200600_302600_NS5tupleIyyNS7_9null_typeES9_S9_S9_S9_S9_S9_S9_EENS0_10empty_typeEbEEZZNS1_14partition_implILS5_6ELb0ES3_mNS7_12zip_iteratorINS8_INS7_6detail15normal_iteratorINS7_10device_ptrIyEEEESJ_S9_S9_S9_S9_S9_S9_S9_S9_EEEEPSB_SM_NS0_5tupleIJNSE_INS8_ISJ_NS7_16discard_iteratorINS7_11use_defaultEEES9_S9_S9_S9_S9_S9_S9_S9_EEEESB_EEENSN_IJSM_SM_EEESB_PlJNSF_9not_fun_tINSF_14equal_to_valueISA_EEEEEEE10hipError_tPvRmT3_T4_T5_T6_T7_T9_mT8_P12ihipStream_tbDpT10_ENKUlT_T0_E_clISt17integral_constantIbLb1EES1I_IbLb0EEEEDaS1E_S1F_EUlS1E_E_NS1_11comp_targetILNS1_3genE10ELNS1_11target_archE1200ELNS1_3gpuE4ELNS1_3repE0EEENS1_30default_config_static_selectorELNS0_4arch9wavefront6targetE0EEEvT1_,comdat
.Lfunc_end1906:
	.size	_ZN7rocprim17ROCPRIM_400000_NS6detail17trampoline_kernelINS0_14default_configENS1_25partition_config_selectorILNS1_17partition_subalgoE6EN6thrust23THRUST_200600_302600_NS5tupleIyyNS7_9null_typeES9_S9_S9_S9_S9_S9_S9_EENS0_10empty_typeEbEEZZNS1_14partition_implILS5_6ELb0ES3_mNS7_12zip_iteratorINS8_INS7_6detail15normal_iteratorINS7_10device_ptrIyEEEESJ_S9_S9_S9_S9_S9_S9_S9_S9_EEEEPSB_SM_NS0_5tupleIJNSE_INS8_ISJ_NS7_16discard_iteratorINS7_11use_defaultEEES9_S9_S9_S9_S9_S9_S9_S9_EEEESB_EEENSN_IJSM_SM_EEESB_PlJNSF_9not_fun_tINSF_14equal_to_valueISA_EEEEEEE10hipError_tPvRmT3_T4_T5_T6_T7_T9_mT8_P12ihipStream_tbDpT10_ENKUlT_T0_E_clISt17integral_constantIbLb1EES1I_IbLb0EEEEDaS1E_S1F_EUlS1E_E_NS1_11comp_targetILNS1_3genE10ELNS1_11target_archE1200ELNS1_3gpuE4ELNS1_3repE0EEENS1_30default_config_static_selectorELNS0_4arch9wavefront6targetE0EEEvT1_, .Lfunc_end1906-_ZN7rocprim17ROCPRIM_400000_NS6detail17trampoline_kernelINS0_14default_configENS1_25partition_config_selectorILNS1_17partition_subalgoE6EN6thrust23THRUST_200600_302600_NS5tupleIyyNS7_9null_typeES9_S9_S9_S9_S9_S9_S9_EENS0_10empty_typeEbEEZZNS1_14partition_implILS5_6ELb0ES3_mNS7_12zip_iteratorINS8_INS7_6detail15normal_iteratorINS7_10device_ptrIyEEEESJ_S9_S9_S9_S9_S9_S9_S9_S9_EEEEPSB_SM_NS0_5tupleIJNSE_INS8_ISJ_NS7_16discard_iteratorINS7_11use_defaultEEES9_S9_S9_S9_S9_S9_S9_S9_EEEESB_EEENSN_IJSM_SM_EEESB_PlJNSF_9not_fun_tINSF_14equal_to_valueISA_EEEEEEE10hipError_tPvRmT3_T4_T5_T6_T7_T9_mT8_P12ihipStream_tbDpT10_ENKUlT_T0_E_clISt17integral_constantIbLb1EES1I_IbLb0EEEEDaS1E_S1F_EUlS1E_E_NS1_11comp_targetILNS1_3genE10ELNS1_11target_archE1200ELNS1_3gpuE4ELNS1_3repE0EEENS1_30default_config_static_selectorELNS0_4arch9wavefront6targetE0EEEvT1_
                                        ; -- End function
	.set _ZN7rocprim17ROCPRIM_400000_NS6detail17trampoline_kernelINS0_14default_configENS1_25partition_config_selectorILNS1_17partition_subalgoE6EN6thrust23THRUST_200600_302600_NS5tupleIyyNS7_9null_typeES9_S9_S9_S9_S9_S9_S9_EENS0_10empty_typeEbEEZZNS1_14partition_implILS5_6ELb0ES3_mNS7_12zip_iteratorINS8_INS7_6detail15normal_iteratorINS7_10device_ptrIyEEEESJ_S9_S9_S9_S9_S9_S9_S9_S9_EEEEPSB_SM_NS0_5tupleIJNSE_INS8_ISJ_NS7_16discard_iteratorINS7_11use_defaultEEES9_S9_S9_S9_S9_S9_S9_S9_EEEESB_EEENSN_IJSM_SM_EEESB_PlJNSF_9not_fun_tINSF_14equal_to_valueISA_EEEEEEE10hipError_tPvRmT3_T4_T5_T6_T7_T9_mT8_P12ihipStream_tbDpT10_ENKUlT_T0_E_clISt17integral_constantIbLb1EES1I_IbLb0EEEEDaS1E_S1F_EUlS1E_E_NS1_11comp_targetILNS1_3genE10ELNS1_11target_archE1200ELNS1_3gpuE4ELNS1_3repE0EEENS1_30default_config_static_selectorELNS0_4arch9wavefront6targetE0EEEvT1_.num_vgpr, 0
	.set _ZN7rocprim17ROCPRIM_400000_NS6detail17trampoline_kernelINS0_14default_configENS1_25partition_config_selectorILNS1_17partition_subalgoE6EN6thrust23THRUST_200600_302600_NS5tupleIyyNS7_9null_typeES9_S9_S9_S9_S9_S9_S9_EENS0_10empty_typeEbEEZZNS1_14partition_implILS5_6ELb0ES3_mNS7_12zip_iteratorINS8_INS7_6detail15normal_iteratorINS7_10device_ptrIyEEEESJ_S9_S9_S9_S9_S9_S9_S9_S9_EEEEPSB_SM_NS0_5tupleIJNSE_INS8_ISJ_NS7_16discard_iteratorINS7_11use_defaultEEES9_S9_S9_S9_S9_S9_S9_S9_EEEESB_EEENSN_IJSM_SM_EEESB_PlJNSF_9not_fun_tINSF_14equal_to_valueISA_EEEEEEE10hipError_tPvRmT3_T4_T5_T6_T7_T9_mT8_P12ihipStream_tbDpT10_ENKUlT_T0_E_clISt17integral_constantIbLb1EES1I_IbLb0EEEEDaS1E_S1F_EUlS1E_E_NS1_11comp_targetILNS1_3genE10ELNS1_11target_archE1200ELNS1_3gpuE4ELNS1_3repE0EEENS1_30default_config_static_selectorELNS0_4arch9wavefront6targetE0EEEvT1_.num_agpr, 0
	.set _ZN7rocprim17ROCPRIM_400000_NS6detail17trampoline_kernelINS0_14default_configENS1_25partition_config_selectorILNS1_17partition_subalgoE6EN6thrust23THRUST_200600_302600_NS5tupleIyyNS7_9null_typeES9_S9_S9_S9_S9_S9_S9_EENS0_10empty_typeEbEEZZNS1_14partition_implILS5_6ELb0ES3_mNS7_12zip_iteratorINS8_INS7_6detail15normal_iteratorINS7_10device_ptrIyEEEESJ_S9_S9_S9_S9_S9_S9_S9_S9_EEEEPSB_SM_NS0_5tupleIJNSE_INS8_ISJ_NS7_16discard_iteratorINS7_11use_defaultEEES9_S9_S9_S9_S9_S9_S9_S9_EEEESB_EEENSN_IJSM_SM_EEESB_PlJNSF_9not_fun_tINSF_14equal_to_valueISA_EEEEEEE10hipError_tPvRmT3_T4_T5_T6_T7_T9_mT8_P12ihipStream_tbDpT10_ENKUlT_T0_E_clISt17integral_constantIbLb1EES1I_IbLb0EEEEDaS1E_S1F_EUlS1E_E_NS1_11comp_targetILNS1_3genE10ELNS1_11target_archE1200ELNS1_3gpuE4ELNS1_3repE0EEENS1_30default_config_static_selectorELNS0_4arch9wavefront6targetE0EEEvT1_.numbered_sgpr, 0
	.set _ZN7rocprim17ROCPRIM_400000_NS6detail17trampoline_kernelINS0_14default_configENS1_25partition_config_selectorILNS1_17partition_subalgoE6EN6thrust23THRUST_200600_302600_NS5tupleIyyNS7_9null_typeES9_S9_S9_S9_S9_S9_S9_EENS0_10empty_typeEbEEZZNS1_14partition_implILS5_6ELb0ES3_mNS7_12zip_iteratorINS8_INS7_6detail15normal_iteratorINS7_10device_ptrIyEEEESJ_S9_S9_S9_S9_S9_S9_S9_S9_EEEEPSB_SM_NS0_5tupleIJNSE_INS8_ISJ_NS7_16discard_iteratorINS7_11use_defaultEEES9_S9_S9_S9_S9_S9_S9_S9_EEEESB_EEENSN_IJSM_SM_EEESB_PlJNSF_9not_fun_tINSF_14equal_to_valueISA_EEEEEEE10hipError_tPvRmT3_T4_T5_T6_T7_T9_mT8_P12ihipStream_tbDpT10_ENKUlT_T0_E_clISt17integral_constantIbLb1EES1I_IbLb0EEEEDaS1E_S1F_EUlS1E_E_NS1_11comp_targetILNS1_3genE10ELNS1_11target_archE1200ELNS1_3gpuE4ELNS1_3repE0EEENS1_30default_config_static_selectorELNS0_4arch9wavefront6targetE0EEEvT1_.num_named_barrier, 0
	.set _ZN7rocprim17ROCPRIM_400000_NS6detail17trampoline_kernelINS0_14default_configENS1_25partition_config_selectorILNS1_17partition_subalgoE6EN6thrust23THRUST_200600_302600_NS5tupleIyyNS7_9null_typeES9_S9_S9_S9_S9_S9_S9_EENS0_10empty_typeEbEEZZNS1_14partition_implILS5_6ELb0ES3_mNS7_12zip_iteratorINS8_INS7_6detail15normal_iteratorINS7_10device_ptrIyEEEESJ_S9_S9_S9_S9_S9_S9_S9_S9_EEEEPSB_SM_NS0_5tupleIJNSE_INS8_ISJ_NS7_16discard_iteratorINS7_11use_defaultEEES9_S9_S9_S9_S9_S9_S9_S9_EEEESB_EEENSN_IJSM_SM_EEESB_PlJNSF_9not_fun_tINSF_14equal_to_valueISA_EEEEEEE10hipError_tPvRmT3_T4_T5_T6_T7_T9_mT8_P12ihipStream_tbDpT10_ENKUlT_T0_E_clISt17integral_constantIbLb1EES1I_IbLb0EEEEDaS1E_S1F_EUlS1E_E_NS1_11comp_targetILNS1_3genE10ELNS1_11target_archE1200ELNS1_3gpuE4ELNS1_3repE0EEENS1_30default_config_static_selectorELNS0_4arch9wavefront6targetE0EEEvT1_.private_seg_size, 0
	.set _ZN7rocprim17ROCPRIM_400000_NS6detail17trampoline_kernelINS0_14default_configENS1_25partition_config_selectorILNS1_17partition_subalgoE6EN6thrust23THRUST_200600_302600_NS5tupleIyyNS7_9null_typeES9_S9_S9_S9_S9_S9_S9_EENS0_10empty_typeEbEEZZNS1_14partition_implILS5_6ELb0ES3_mNS7_12zip_iteratorINS8_INS7_6detail15normal_iteratorINS7_10device_ptrIyEEEESJ_S9_S9_S9_S9_S9_S9_S9_S9_EEEEPSB_SM_NS0_5tupleIJNSE_INS8_ISJ_NS7_16discard_iteratorINS7_11use_defaultEEES9_S9_S9_S9_S9_S9_S9_S9_EEEESB_EEENSN_IJSM_SM_EEESB_PlJNSF_9not_fun_tINSF_14equal_to_valueISA_EEEEEEE10hipError_tPvRmT3_T4_T5_T6_T7_T9_mT8_P12ihipStream_tbDpT10_ENKUlT_T0_E_clISt17integral_constantIbLb1EES1I_IbLb0EEEEDaS1E_S1F_EUlS1E_E_NS1_11comp_targetILNS1_3genE10ELNS1_11target_archE1200ELNS1_3gpuE4ELNS1_3repE0EEENS1_30default_config_static_selectorELNS0_4arch9wavefront6targetE0EEEvT1_.uses_vcc, 0
	.set _ZN7rocprim17ROCPRIM_400000_NS6detail17trampoline_kernelINS0_14default_configENS1_25partition_config_selectorILNS1_17partition_subalgoE6EN6thrust23THRUST_200600_302600_NS5tupleIyyNS7_9null_typeES9_S9_S9_S9_S9_S9_S9_EENS0_10empty_typeEbEEZZNS1_14partition_implILS5_6ELb0ES3_mNS7_12zip_iteratorINS8_INS7_6detail15normal_iteratorINS7_10device_ptrIyEEEESJ_S9_S9_S9_S9_S9_S9_S9_S9_EEEEPSB_SM_NS0_5tupleIJNSE_INS8_ISJ_NS7_16discard_iteratorINS7_11use_defaultEEES9_S9_S9_S9_S9_S9_S9_S9_EEEESB_EEENSN_IJSM_SM_EEESB_PlJNSF_9not_fun_tINSF_14equal_to_valueISA_EEEEEEE10hipError_tPvRmT3_T4_T5_T6_T7_T9_mT8_P12ihipStream_tbDpT10_ENKUlT_T0_E_clISt17integral_constantIbLb1EES1I_IbLb0EEEEDaS1E_S1F_EUlS1E_E_NS1_11comp_targetILNS1_3genE10ELNS1_11target_archE1200ELNS1_3gpuE4ELNS1_3repE0EEENS1_30default_config_static_selectorELNS0_4arch9wavefront6targetE0EEEvT1_.uses_flat_scratch, 0
	.set _ZN7rocprim17ROCPRIM_400000_NS6detail17trampoline_kernelINS0_14default_configENS1_25partition_config_selectorILNS1_17partition_subalgoE6EN6thrust23THRUST_200600_302600_NS5tupleIyyNS7_9null_typeES9_S9_S9_S9_S9_S9_S9_EENS0_10empty_typeEbEEZZNS1_14partition_implILS5_6ELb0ES3_mNS7_12zip_iteratorINS8_INS7_6detail15normal_iteratorINS7_10device_ptrIyEEEESJ_S9_S9_S9_S9_S9_S9_S9_S9_EEEEPSB_SM_NS0_5tupleIJNSE_INS8_ISJ_NS7_16discard_iteratorINS7_11use_defaultEEES9_S9_S9_S9_S9_S9_S9_S9_EEEESB_EEENSN_IJSM_SM_EEESB_PlJNSF_9not_fun_tINSF_14equal_to_valueISA_EEEEEEE10hipError_tPvRmT3_T4_T5_T6_T7_T9_mT8_P12ihipStream_tbDpT10_ENKUlT_T0_E_clISt17integral_constantIbLb1EES1I_IbLb0EEEEDaS1E_S1F_EUlS1E_E_NS1_11comp_targetILNS1_3genE10ELNS1_11target_archE1200ELNS1_3gpuE4ELNS1_3repE0EEENS1_30default_config_static_selectorELNS0_4arch9wavefront6targetE0EEEvT1_.has_dyn_sized_stack, 0
	.set _ZN7rocprim17ROCPRIM_400000_NS6detail17trampoline_kernelINS0_14default_configENS1_25partition_config_selectorILNS1_17partition_subalgoE6EN6thrust23THRUST_200600_302600_NS5tupleIyyNS7_9null_typeES9_S9_S9_S9_S9_S9_S9_EENS0_10empty_typeEbEEZZNS1_14partition_implILS5_6ELb0ES3_mNS7_12zip_iteratorINS8_INS7_6detail15normal_iteratorINS7_10device_ptrIyEEEESJ_S9_S9_S9_S9_S9_S9_S9_S9_EEEEPSB_SM_NS0_5tupleIJNSE_INS8_ISJ_NS7_16discard_iteratorINS7_11use_defaultEEES9_S9_S9_S9_S9_S9_S9_S9_EEEESB_EEENSN_IJSM_SM_EEESB_PlJNSF_9not_fun_tINSF_14equal_to_valueISA_EEEEEEE10hipError_tPvRmT3_T4_T5_T6_T7_T9_mT8_P12ihipStream_tbDpT10_ENKUlT_T0_E_clISt17integral_constantIbLb1EES1I_IbLb0EEEEDaS1E_S1F_EUlS1E_E_NS1_11comp_targetILNS1_3genE10ELNS1_11target_archE1200ELNS1_3gpuE4ELNS1_3repE0EEENS1_30default_config_static_selectorELNS0_4arch9wavefront6targetE0EEEvT1_.has_recursion, 0
	.set _ZN7rocprim17ROCPRIM_400000_NS6detail17trampoline_kernelINS0_14default_configENS1_25partition_config_selectorILNS1_17partition_subalgoE6EN6thrust23THRUST_200600_302600_NS5tupleIyyNS7_9null_typeES9_S9_S9_S9_S9_S9_S9_EENS0_10empty_typeEbEEZZNS1_14partition_implILS5_6ELb0ES3_mNS7_12zip_iteratorINS8_INS7_6detail15normal_iteratorINS7_10device_ptrIyEEEESJ_S9_S9_S9_S9_S9_S9_S9_S9_EEEEPSB_SM_NS0_5tupleIJNSE_INS8_ISJ_NS7_16discard_iteratorINS7_11use_defaultEEES9_S9_S9_S9_S9_S9_S9_S9_EEEESB_EEENSN_IJSM_SM_EEESB_PlJNSF_9not_fun_tINSF_14equal_to_valueISA_EEEEEEE10hipError_tPvRmT3_T4_T5_T6_T7_T9_mT8_P12ihipStream_tbDpT10_ENKUlT_T0_E_clISt17integral_constantIbLb1EES1I_IbLb0EEEEDaS1E_S1F_EUlS1E_E_NS1_11comp_targetILNS1_3genE10ELNS1_11target_archE1200ELNS1_3gpuE4ELNS1_3repE0EEENS1_30default_config_static_selectorELNS0_4arch9wavefront6targetE0EEEvT1_.has_indirect_call, 0
	.section	.AMDGPU.csdata,"",@progbits
; Kernel info:
; codeLenInByte = 4
; TotalNumSgprs: 0
; NumVgprs: 0
; ScratchSize: 0
; MemoryBound: 0
; FloatMode: 240
; IeeeMode: 1
; LDSByteSize: 0 bytes/workgroup (compile time only)
; SGPRBlocks: 0
; VGPRBlocks: 0
; NumSGPRsForWavesPerEU: 1
; NumVGPRsForWavesPerEU: 1
; Occupancy: 16
; WaveLimiterHint : 0
; COMPUTE_PGM_RSRC2:SCRATCH_EN: 0
; COMPUTE_PGM_RSRC2:USER_SGPR: 2
; COMPUTE_PGM_RSRC2:TRAP_HANDLER: 0
; COMPUTE_PGM_RSRC2:TGID_X_EN: 1
; COMPUTE_PGM_RSRC2:TGID_Y_EN: 0
; COMPUTE_PGM_RSRC2:TGID_Z_EN: 0
; COMPUTE_PGM_RSRC2:TIDIG_COMP_CNT: 0
	.section	.text._ZN7rocprim17ROCPRIM_400000_NS6detail17trampoline_kernelINS0_14default_configENS1_25partition_config_selectorILNS1_17partition_subalgoE6EN6thrust23THRUST_200600_302600_NS5tupleIyyNS7_9null_typeES9_S9_S9_S9_S9_S9_S9_EENS0_10empty_typeEbEEZZNS1_14partition_implILS5_6ELb0ES3_mNS7_12zip_iteratorINS8_INS7_6detail15normal_iteratorINS7_10device_ptrIyEEEESJ_S9_S9_S9_S9_S9_S9_S9_S9_EEEEPSB_SM_NS0_5tupleIJNSE_INS8_ISJ_NS7_16discard_iteratorINS7_11use_defaultEEES9_S9_S9_S9_S9_S9_S9_S9_EEEESB_EEENSN_IJSM_SM_EEESB_PlJNSF_9not_fun_tINSF_14equal_to_valueISA_EEEEEEE10hipError_tPvRmT3_T4_T5_T6_T7_T9_mT8_P12ihipStream_tbDpT10_ENKUlT_T0_E_clISt17integral_constantIbLb1EES1I_IbLb0EEEEDaS1E_S1F_EUlS1E_E_NS1_11comp_targetILNS1_3genE9ELNS1_11target_archE1100ELNS1_3gpuE3ELNS1_3repE0EEENS1_30default_config_static_selectorELNS0_4arch9wavefront6targetE0EEEvT1_,"axG",@progbits,_ZN7rocprim17ROCPRIM_400000_NS6detail17trampoline_kernelINS0_14default_configENS1_25partition_config_selectorILNS1_17partition_subalgoE6EN6thrust23THRUST_200600_302600_NS5tupleIyyNS7_9null_typeES9_S9_S9_S9_S9_S9_S9_EENS0_10empty_typeEbEEZZNS1_14partition_implILS5_6ELb0ES3_mNS7_12zip_iteratorINS8_INS7_6detail15normal_iteratorINS7_10device_ptrIyEEEESJ_S9_S9_S9_S9_S9_S9_S9_S9_EEEEPSB_SM_NS0_5tupleIJNSE_INS8_ISJ_NS7_16discard_iteratorINS7_11use_defaultEEES9_S9_S9_S9_S9_S9_S9_S9_EEEESB_EEENSN_IJSM_SM_EEESB_PlJNSF_9not_fun_tINSF_14equal_to_valueISA_EEEEEEE10hipError_tPvRmT3_T4_T5_T6_T7_T9_mT8_P12ihipStream_tbDpT10_ENKUlT_T0_E_clISt17integral_constantIbLb1EES1I_IbLb0EEEEDaS1E_S1F_EUlS1E_E_NS1_11comp_targetILNS1_3genE9ELNS1_11target_archE1100ELNS1_3gpuE3ELNS1_3repE0EEENS1_30default_config_static_selectorELNS0_4arch9wavefront6targetE0EEEvT1_,comdat
	.protected	_ZN7rocprim17ROCPRIM_400000_NS6detail17trampoline_kernelINS0_14default_configENS1_25partition_config_selectorILNS1_17partition_subalgoE6EN6thrust23THRUST_200600_302600_NS5tupleIyyNS7_9null_typeES9_S9_S9_S9_S9_S9_S9_EENS0_10empty_typeEbEEZZNS1_14partition_implILS5_6ELb0ES3_mNS7_12zip_iteratorINS8_INS7_6detail15normal_iteratorINS7_10device_ptrIyEEEESJ_S9_S9_S9_S9_S9_S9_S9_S9_EEEEPSB_SM_NS0_5tupleIJNSE_INS8_ISJ_NS7_16discard_iteratorINS7_11use_defaultEEES9_S9_S9_S9_S9_S9_S9_S9_EEEESB_EEENSN_IJSM_SM_EEESB_PlJNSF_9not_fun_tINSF_14equal_to_valueISA_EEEEEEE10hipError_tPvRmT3_T4_T5_T6_T7_T9_mT8_P12ihipStream_tbDpT10_ENKUlT_T0_E_clISt17integral_constantIbLb1EES1I_IbLb0EEEEDaS1E_S1F_EUlS1E_E_NS1_11comp_targetILNS1_3genE9ELNS1_11target_archE1100ELNS1_3gpuE3ELNS1_3repE0EEENS1_30default_config_static_selectorELNS0_4arch9wavefront6targetE0EEEvT1_ ; -- Begin function _ZN7rocprim17ROCPRIM_400000_NS6detail17trampoline_kernelINS0_14default_configENS1_25partition_config_selectorILNS1_17partition_subalgoE6EN6thrust23THRUST_200600_302600_NS5tupleIyyNS7_9null_typeES9_S9_S9_S9_S9_S9_S9_EENS0_10empty_typeEbEEZZNS1_14partition_implILS5_6ELb0ES3_mNS7_12zip_iteratorINS8_INS7_6detail15normal_iteratorINS7_10device_ptrIyEEEESJ_S9_S9_S9_S9_S9_S9_S9_S9_EEEEPSB_SM_NS0_5tupleIJNSE_INS8_ISJ_NS7_16discard_iteratorINS7_11use_defaultEEES9_S9_S9_S9_S9_S9_S9_S9_EEEESB_EEENSN_IJSM_SM_EEESB_PlJNSF_9not_fun_tINSF_14equal_to_valueISA_EEEEEEE10hipError_tPvRmT3_T4_T5_T6_T7_T9_mT8_P12ihipStream_tbDpT10_ENKUlT_T0_E_clISt17integral_constantIbLb1EES1I_IbLb0EEEEDaS1E_S1F_EUlS1E_E_NS1_11comp_targetILNS1_3genE9ELNS1_11target_archE1100ELNS1_3gpuE3ELNS1_3repE0EEENS1_30default_config_static_selectorELNS0_4arch9wavefront6targetE0EEEvT1_
	.globl	_ZN7rocprim17ROCPRIM_400000_NS6detail17trampoline_kernelINS0_14default_configENS1_25partition_config_selectorILNS1_17partition_subalgoE6EN6thrust23THRUST_200600_302600_NS5tupleIyyNS7_9null_typeES9_S9_S9_S9_S9_S9_S9_EENS0_10empty_typeEbEEZZNS1_14partition_implILS5_6ELb0ES3_mNS7_12zip_iteratorINS8_INS7_6detail15normal_iteratorINS7_10device_ptrIyEEEESJ_S9_S9_S9_S9_S9_S9_S9_S9_EEEEPSB_SM_NS0_5tupleIJNSE_INS8_ISJ_NS7_16discard_iteratorINS7_11use_defaultEEES9_S9_S9_S9_S9_S9_S9_S9_EEEESB_EEENSN_IJSM_SM_EEESB_PlJNSF_9not_fun_tINSF_14equal_to_valueISA_EEEEEEE10hipError_tPvRmT3_T4_T5_T6_T7_T9_mT8_P12ihipStream_tbDpT10_ENKUlT_T0_E_clISt17integral_constantIbLb1EES1I_IbLb0EEEEDaS1E_S1F_EUlS1E_E_NS1_11comp_targetILNS1_3genE9ELNS1_11target_archE1100ELNS1_3gpuE3ELNS1_3repE0EEENS1_30default_config_static_selectorELNS0_4arch9wavefront6targetE0EEEvT1_
	.p2align	8
	.type	_ZN7rocprim17ROCPRIM_400000_NS6detail17trampoline_kernelINS0_14default_configENS1_25partition_config_selectorILNS1_17partition_subalgoE6EN6thrust23THRUST_200600_302600_NS5tupleIyyNS7_9null_typeES9_S9_S9_S9_S9_S9_S9_EENS0_10empty_typeEbEEZZNS1_14partition_implILS5_6ELb0ES3_mNS7_12zip_iteratorINS8_INS7_6detail15normal_iteratorINS7_10device_ptrIyEEEESJ_S9_S9_S9_S9_S9_S9_S9_S9_EEEEPSB_SM_NS0_5tupleIJNSE_INS8_ISJ_NS7_16discard_iteratorINS7_11use_defaultEEES9_S9_S9_S9_S9_S9_S9_S9_EEEESB_EEENSN_IJSM_SM_EEESB_PlJNSF_9not_fun_tINSF_14equal_to_valueISA_EEEEEEE10hipError_tPvRmT3_T4_T5_T6_T7_T9_mT8_P12ihipStream_tbDpT10_ENKUlT_T0_E_clISt17integral_constantIbLb1EES1I_IbLb0EEEEDaS1E_S1F_EUlS1E_E_NS1_11comp_targetILNS1_3genE9ELNS1_11target_archE1100ELNS1_3gpuE3ELNS1_3repE0EEENS1_30default_config_static_selectorELNS0_4arch9wavefront6targetE0EEEvT1_,@function
_ZN7rocprim17ROCPRIM_400000_NS6detail17trampoline_kernelINS0_14default_configENS1_25partition_config_selectorILNS1_17partition_subalgoE6EN6thrust23THRUST_200600_302600_NS5tupleIyyNS7_9null_typeES9_S9_S9_S9_S9_S9_S9_EENS0_10empty_typeEbEEZZNS1_14partition_implILS5_6ELb0ES3_mNS7_12zip_iteratorINS8_INS7_6detail15normal_iteratorINS7_10device_ptrIyEEEESJ_S9_S9_S9_S9_S9_S9_S9_S9_EEEEPSB_SM_NS0_5tupleIJNSE_INS8_ISJ_NS7_16discard_iteratorINS7_11use_defaultEEES9_S9_S9_S9_S9_S9_S9_S9_EEEESB_EEENSN_IJSM_SM_EEESB_PlJNSF_9not_fun_tINSF_14equal_to_valueISA_EEEEEEE10hipError_tPvRmT3_T4_T5_T6_T7_T9_mT8_P12ihipStream_tbDpT10_ENKUlT_T0_E_clISt17integral_constantIbLb1EES1I_IbLb0EEEEDaS1E_S1F_EUlS1E_E_NS1_11comp_targetILNS1_3genE9ELNS1_11target_archE1100ELNS1_3gpuE3ELNS1_3repE0EEENS1_30default_config_static_selectorELNS0_4arch9wavefront6targetE0EEEvT1_: ; @_ZN7rocprim17ROCPRIM_400000_NS6detail17trampoline_kernelINS0_14default_configENS1_25partition_config_selectorILNS1_17partition_subalgoE6EN6thrust23THRUST_200600_302600_NS5tupleIyyNS7_9null_typeES9_S9_S9_S9_S9_S9_S9_EENS0_10empty_typeEbEEZZNS1_14partition_implILS5_6ELb0ES3_mNS7_12zip_iteratorINS8_INS7_6detail15normal_iteratorINS7_10device_ptrIyEEEESJ_S9_S9_S9_S9_S9_S9_S9_S9_EEEEPSB_SM_NS0_5tupleIJNSE_INS8_ISJ_NS7_16discard_iteratorINS7_11use_defaultEEES9_S9_S9_S9_S9_S9_S9_S9_EEEESB_EEENSN_IJSM_SM_EEESB_PlJNSF_9not_fun_tINSF_14equal_to_valueISA_EEEEEEE10hipError_tPvRmT3_T4_T5_T6_T7_T9_mT8_P12ihipStream_tbDpT10_ENKUlT_T0_E_clISt17integral_constantIbLb1EES1I_IbLb0EEEEDaS1E_S1F_EUlS1E_E_NS1_11comp_targetILNS1_3genE9ELNS1_11target_archE1100ELNS1_3gpuE3ELNS1_3repE0EEENS1_30default_config_static_selectorELNS0_4arch9wavefront6targetE0EEEvT1_
; %bb.0:
	.section	.rodata,"a",@progbits
	.p2align	6, 0x0
	.amdhsa_kernel _ZN7rocprim17ROCPRIM_400000_NS6detail17trampoline_kernelINS0_14default_configENS1_25partition_config_selectorILNS1_17partition_subalgoE6EN6thrust23THRUST_200600_302600_NS5tupleIyyNS7_9null_typeES9_S9_S9_S9_S9_S9_S9_EENS0_10empty_typeEbEEZZNS1_14partition_implILS5_6ELb0ES3_mNS7_12zip_iteratorINS8_INS7_6detail15normal_iteratorINS7_10device_ptrIyEEEESJ_S9_S9_S9_S9_S9_S9_S9_S9_EEEEPSB_SM_NS0_5tupleIJNSE_INS8_ISJ_NS7_16discard_iteratorINS7_11use_defaultEEES9_S9_S9_S9_S9_S9_S9_S9_EEEESB_EEENSN_IJSM_SM_EEESB_PlJNSF_9not_fun_tINSF_14equal_to_valueISA_EEEEEEE10hipError_tPvRmT3_T4_T5_T6_T7_T9_mT8_P12ihipStream_tbDpT10_ENKUlT_T0_E_clISt17integral_constantIbLb1EES1I_IbLb0EEEEDaS1E_S1F_EUlS1E_E_NS1_11comp_targetILNS1_3genE9ELNS1_11target_archE1100ELNS1_3gpuE3ELNS1_3repE0EEENS1_30default_config_static_selectorELNS0_4arch9wavefront6targetE0EEEvT1_
		.amdhsa_group_segment_fixed_size 0
		.amdhsa_private_segment_fixed_size 0
		.amdhsa_kernarg_size 152
		.amdhsa_user_sgpr_count 2
		.amdhsa_user_sgpr_dispatch_ptr 0
		.amdhsa_user_sgpr_queue_ptr 0
		.amdhsa_user_sgpr_kernarg_segment_ptr 1
		.amdhsa_user_sgpr_dispatch_id 0
		.amdhsa_user_sgpr_private_segment_size 0
		.amdhsa_wavefront_size32 1
		.amdhsa_uses_dynamic_stack 0
		.amdhsa_enable_private_segment 0
		.amdhsa_system_sgpr_workgroup_id_x 1
		.amdhsa_system_sgpr_workgroup_id_y 0
		.amdhsa_system_sgpr_workgroup_id_z 0
		.amdhsa_system_sgpr_workgroup_info 0
		.amdhsa_system_vgpr_workitem_id 0
		.amdhsa_next_free_vgpr 1
		.amdhsa_next_free_sgpr 1
		.amdhsa_reserve_vcc 0
		.amdhsa_float_round_mode_32 0
		.amdhsa_float_round_mode_16_64 0
		.amdhsa_float_denorm_mode_32 3
		.amdhsa_float_denorm_mode_16_64 3
		.amdhsa_fp16_overflow 0
		.amdhsa_workgroup_processor_mode 1
		.amdhsa_memory_ordered 1
		.amdhsa_forward_progress 1
		.amdhsa_inst_pref_size 0
		.amdhsa_round_robin_scheduling 0
		.amdhsa_exception_fp_ieee_invalid_op 0
		.amdhsa_exception_fp_denorm_src 0
		.amdhsa_exception_fp_ieee_div_zero 0
		.amdhsa_exception_fp_ieee_overflow 0
		.amdhsa_exception_fp_ieee_underflow 0
		.amdhsa_exception_fp_ieee_inexact 0
		.amdhsa_exception_int_div_zero 0
	.end_amdhsa_kernel
	.section	.text._ZN7rocprim17ROCPRIM_400000_NS6detail17trampoline_kernelINS0_14default_configENS1_25partition_config_selectorILNS1_17partition_subalgoE6EN6thrust23THRUST_200600_302600_NS5tupleIyyNS7_9null_typeES9_S9_S9_S9_S9_S9_S9_EENS0_10empty_typeEbEEZZNS1_14partition_implILS5_6ELb0ES3_mNS7_12zip_iteratorINS8_INS7_6detail15normal_iteratorINS7_10device_ptrIyEEEESJ_S9_S9_S9_S9_S9_S9_S9_S9_EEEEPSB_SM_NS0_5tupleIJNSE_INS8_ISJ_NS7_16discard_iteratorINS7_11use_defaultEEES9_S9_S9_S9_S9_S9_S9_S9_EEEESB_EEENSN_IJSM_SM_EEESB_PlJNSF_9not_fun_tINSF_14equal_to_valueISA_EEEEEEE10hipError_tPvRmT3_T4_T5_T6_T7_T9_mT8_P12ihipStream_tbDpT10_ENKUlT_T0_E_clISt17integral_constantIbLb1EES1I_IbLb0EEEEDaS1E_S1F_EUlS1E_E_NS1_11comp_targetILNS1_3genE9ELNS1_11target_archE1100ELNS1_3gpuE3ELNS1_3repE0EEENS1_30default_config_static_selectorELNS0_4arch9wavefront6targetE0EEEvT1_,"axG",@progbits,_ZN7rocprim17ROCPRIM_400000_NS6detail17trampoline_kernelINS0_14default_configENS1_25partition_config_selectorILNS1_17partition_subalgoE6EN6thrust23THRUST_200600_302600_NS5tupleIyyNS7_9null_typeES9_S9_S9_S9_S9_S9_S9_EENS0_10empty_typeEbEEZZNS1_14partition_implILS5_6ELb0ES3_mNS7_12zip_iteratorINS8_INS7_6detail15normal_iteratorINS7_10device_ptrIyEEEESJ_S9_S9_S9_S9_S9_S9_S9_S9_EEEEPSB_SM_NS0_5tupleIJNSE_INS8_ISJ_NS7_16discard_iteratorINS7_11use_defaultEEES9_S9_S9_S9_S9_S9_S9_S9_EEEESB_EEENSN_IJSM_SM_EEESB_PlJNSF_9not_fun_tINSF_14equal_to_valueISA_EEEEEEE10hipError_tPvRmT3_T4_T5_T6_T7_T9_mT8_P12ihipStream_tbDpT10_ENKUlT_T0_E_clISt17integral_constantIbLb1EES1I_IbLb0EEEEDaS1E_S1F_EUlS1E_E_NS1_11comp_targetILNS1_3genE9ELNS1_11target_archE1100ELNS1_3gpuE3ELNS1_3repE0EEENS1_30default_config_static_selectorELNS0_4arch9wavefront6targetE0EEEvT1_,comdat
.Lfunc_end1907:
	.size	_ZN7rocprim17ROCPRIM_400000_NS6detail17trampoline_kernelINS0_14default_configENS1_25partition_config_selectorILNS1_17partition_subalgoE6EN6thrust23THRUST_200600_302600_NS5tupleIyyNS7_9null_typeES9_S9_S9_S9_S9_S9_S9_EENS0_10empty_typeEbEEZZNS1_14partition_implILS5_6ELb0ES3_mNS7_12zip_iteratorINS8_INS7_6detail15normal_iteratorINS7_10device_ptrIyEEEESJ_S9_S9_S9_S9_S9_S9_S9_S9_EEEEPSB_SM_NS0_5tupleIJNSE_INS8_ISJ_NS7_16discard_iteratorINS7_11use_defaultEEES9_S9_S9_S9_S9_S9_S9_S9_EEEESB_EEENSN_IJSM_SM_EEESB_PlJNSF_9not_fun_tINSF_14equal_to_valueISA_EEEEEEE10hipError_tPvRmT3_T4_T5_T6_T7_T9_mT8_P12ihipStream_tbDpT10_ENKUlT_T0_E_clISt17integral_constantIbLb1EES1I_IbLb0EEEEDaS1E_S1F_EUlS1E_E_NS1_11comp_targetILNS1_3genE9ELNS1_11target_archE1100ELNS1_3gpuE3ELNS1_3repE0EEENS1_30default_config_static_selectorELNS0_4arch9wavefront6targetE0EEEvT1_, .Lfunc_end1907-_ZN7rocprim17ROCPRIM_400000_NS6detail17trampoline_kernelINS0_14default_configENS1_25partition_config_selectorILNS1_17partition_subalgoE6EN6thrust23THRUST_200600_302600_NS5tupleIyyNS7_9null_typeES9_S9_S9_S9_S9_S9_S9_EENS0_10empty_typeEbEEZZNS1_14partition_implILS5_6ELb0ES3_mNS7_12zip_iteratorINS8_INS7_6detail15normal_iteratorINS7_10device_ptrIyEEEESJ_S9_S9_S9_S9_S9_S9_S9_S9_EEEEPSB_SM_NS0_5tupleIJNSE_INS8_ISJ_NS7_16discard_iteratorINS7_11use_defaultEEES9_S9_S9_S9_S9_S9_S9_S9_EEEESB_EEENSN_IJSM_SM_EEESB_PlJNSF_9not_fun_tINSF_14equal_to_valueISA_EEEEEEE10hipError_tPvRmT3_T4_T5_T6_T7_T9_mT8_P12ihipStream_tbDpT10_ENKUlT_T0_E_clISt17integral_constantIbLb1EES1I_IbLb0EEEEDaS1E_S1F_EUlS1E_E_NS1_11comp_targetILNS1_3genE9ELNS1_11target_archE1100ELNS1_3gpuE3ELNS1_3repE0EEENS1_30default_config_static_selectorELNS0_4arch9wavefront6targetE0EEEvT1_
                                        ; -- End function
	.set _ZN7rocprim17ROCPRIM_400000_NS6detail17trampoline_kernelINS0_14default_configENS1_25partition_config_selectorILNS1_17partition_subalgoE6EN6thrust23THRUST_200600_302600_NS5tupleIyyNS7_9null_typeES9_S9_S9_S9_S9_S9_S9_EENS0_10empty_typeEbEEZZNS1_14partition_implILS5_6ELb0ES3_mNS7_12zip_iteratorINS8_INS7_6detail15normal_iteratorINS7_10device_ptrIyEEEESJ_S9_S9_S9_S9_S9_S9_S9_S9_EEEEPSB_SM_NS0_5tupleIJNSE_INS8_ISJ_NS7_16discard_iteratorINS7_11use_defaultEEES9_S9_S9_S9_S9_S9_S9_S9_EEEESB_EEENSN_IJSM_SM_EEESB_PlJNSF_9not_fun_tINSF_14equal_to_valueISA_EEEEEEE10hipError_tPvRmT3_T4_T5_T6_T7_T9_mT8_P12ihipStream_tbDpT10_ENKUlT_T0_E_clISt17integral_constantIbLb1EES1I_IbLb0EEEEDaS1E_S1F_EUlS1E_E_NS1_11comp_targetILNS1_3genE9ELNS1_11target_archE1100ELNS1_3gpuE3ELNS1_3repE0EEENS1_30default_config_static_selectorELNS0_4arch9wavefront6targetE0EEEvT1_.num_vgpr, 0
	.set _ZN7rocprim17ROCPRIM_400000_NS6detail17trampoline_kernelINS0_14default_configENS1_25partition_config_selectorILNS1_17partition_subalgoE6EN6thrust23THRUST_200600_302600_NS5tupleIyyNS7_9null_typeES9_S9_S9_S9_S9_S9_S9_EENS0_10empty_typeEbEEZZNS1_14partition_implILS5_6ELb0ES3_mNS7_12zip_iteratorINS8_INS7_6detail15normal_iteratorINS7_10device_ptrIyEEEESJ_S9_S9_S9_S9_S9_S9_S9_S9_EEEEPSB_SM_NS0_5tupleIJNSE_INS8_ISJ_NS7_16discard_iteratorINS7_11use_defaultEEES9_S9_S9_S9_S9_S9_S9_S9_EEEESB_EEENSN_IJSM_SM_EEESB_PlJNSF_9not_fun_tINSF_14equal_to_valueISA_EEEEEEE10hipError_tPvRmT3_T4_T5_T6_T7_T9_mT8_P12ihipStream_tbDpT10_ENKUlT_T0_E_clISt17integral_constantIbLb1EES1I_IbLb0EEEEDaS1E_S1F_EUlS1E_E_NS1_11comp_targetILNS1_3genE9ELNS1_11target_archE1100ELNS1_3gpuE3ELNS1_3repE0EEENS1_30default_config_static_selectorELNS0_4arch9wavefront6targetE0EEEvT1_.num_agpr, 0
	.set _ZN7rocprim17ROCPRIM_400000_NS6detail17trampoline_kernelINS0_14default_configENS1_25partition_config_selectorILNS1_17partition_subalgoE6EN6thrust23THRUST_200600_302600_NS5tupleIyyNS7_9null_typeES9_S9_S9_S9_S9_S9_S9_EENS0_10empty_typeEbEEZZNS1_14partition_implILS5_6ELb0ES3_mNS7_12zip_iteratorINS8_INS7_6detail15normal_iteratorINS7_10device_ptrIyEEEESJ_S9_S9_S9_S9_S9_S9_S9_S9_EEEEPSB_SM_NS0_5tupleIJNSE_INS8_ISJ_NS7_16discard_iteratorINS7_11use_defaultEEES9_S9_S9_S9_S9_S9_S9_S9_EEEESB_EEENSN_IJSM_SM_EEESB_PlJNSF_9not_fun_tINSF_14equal_to_valueISA_EEEEEEE10hipError_tPvRmT3_T4_T5_T6_T7_T9_mT8_P12ihipStream_tbDpT10_ENKUlT_T0_E_clISt17integral_constantIbLb1EES1I_IbLb0EEEEDaS1E_S1F_EUlS1E_E_NS1_11comp_targetILNS1_3genE9ELNS1_11target_archE1100ELNS1_3gpuE3ELNS1_3repE0EEENS1_30default_config_static_selectorELNS0_4arch9wavefront6targetE0EEEvT1_.numbered_sgpr, 0
	.set _ZN7rocprim17ROCPRIM_400000_NS6detail17trampoline_kernelINS0_14default_configENS1_25partition_config_selectorILNS1_17partition_subalgoE6EN6thrust23THRUST_200600_302600_NS5tupleIyyNS7_9null_typeES9_S9_S9_S9_S9_S9_S9_EENS0_10empty_typeEbEEZZNS1_14partition_implILS5_6ELb0ES3_mNS7_12zip_iteratorINS8_INS7_6detail15normal_iteratorINS7_10device_ptrIyEEEESJ_S9_S9_S9_S9_S9_S9_S9_S9_EEEEPSB_SM_NS0_5tupleIJNSE_INS8_ISJ_NS7_16discard_iteratorINS7_11use_defaultEEES9_S9_S9_S9_S9_S9_S9_S9_EEEESB_EEENSN_IJSM_SM_EEESB_PlJNSF_9not_fun_tINSF_14equal_to_valueISA_EEEEEEE10hipError_tPvRmT3_T4_T5_T6_T7_T9_mT8_P12ihipStream_tbDpT10_ENKUlT_T0_E_clISt17integral_constantIbLb1EES1I_IbLb0EEEEDaS1E_S1F_EUlS1E_E_NS1_11comp_targetILNS1_3genE9ELNS1_11target_archE1100ELNS1_3gpuE3ELNS1_3repE0EEENS1_30default_config_static_selectorELNS0_4arch9wavefront6targetE0EEEvT1_.num_named_barrier, 0
	.set _ZN7rocprim17ROCPRIM_400000_NS6detail17trampoline_kernelINS0_14default_configENS1_25partition_config_selectorILNS1_17partition_subalgoE6EN6thrust23THRUST_200600_302600_NS5tupleIyyNS7_9null_typeES9_S9_S9_S9_S9_S9_S9_EENS0_10empty_typeEbEEZZNS1_14partition_implILS5_6ELb0ES3_mNS7_12zip_iteratorINS8_INS7_6detail15normal_iteratorINS7_10device_ptrIyEEEESJ_S9_S9_S9_S9_S9_S9_S9_S9_EEEEPSB_SM_NS0_5tupleIJNSE_INS8_ISJ_NS7_16discard_iteratorINS7_11use_defaultEEES9_S9_S9_S9_S9_S9_S9_S9_EEEESB_EEENSN_IJSM_SM_EEESB_PlJNSF_9not_fun_tINSF_14equal_to_valueISA_EEEEEEE10hipError_tPvRmT3_T4_T5_T6_T7_T9_mT8_P12ihipStream_tbDpT10_ENKUlT_T0_E_clISt17integral_constantIbLb1EES1I_IbLb0EEEEDaS1E_S1F_EUlS1E_E_NS1_11comp_targetILNS1_3genE9ELNS1_11target_archE1100ELNS1_3gpuE3ELNS1_3repE0EEENS1_30default_config_static_selectorELNS0_4arch9wavefront6targetE0EEEvT1_.private_seg_size, 0
	.set _ZN7rocprim17ROCPRIM_400000_NS6detail17trampoline_kernelINS0_14default_configENS1_25partition_config_selectorILNS1_17partition_subalgoE6EN6thrust23THRUST_200600_302600_NS5tupleIyyNS7_9null_typeES9_S9_S9_S9_S9_S9_S9_EENS0_10empty_typeEbEEZZNS1_14partition_implILS5_6ELb0ES3_mNS7_12zip_iteratorINS8_INS7_6detail15normal_iteratorINS7_10device_ptrIyEEEESJ_S9_S9_S9_S9_S9_S9_S9_S9_EEEEPSB_SM_NS0_5tupleIJNSE_INS8_ISJ_NS7_16discard_iteratorINS7_11use_defaultEEES9_S9_S9_S9_S9_S9_S9_S9_EEEESB_EEENSN_IJSM_SM_EEESB_PlJNSF_9not_fun_tINSF_14equal_to_valueISA_EEEEEEE10hipError_tPvRmT3_T4_T5_T6_T7_T9_mT8_P12ihipStream_tbDpT10_ENKUlT_T0_E_clISt17integral_constantIbLb1EES1I_IbLb0EEEEDaS1E_S1F_EUlS1E_E_NS1_11comp_targetILNS1_3genE9ELNS1_11target_archE1100ELNS1_3gpuE3ELNS1_3repE0EEENS1_30default_config_static_selectorELNS0_4arch9wavefront6targetE0EEEvT1_.uses_vcc, 0
	.set _ZN7rocprim17ROCPRIM_400000_NS6detail17trampoline_kernelINS0_14default_configENS1_25partition_config_selectorILNS1_17partition_subalgoE6EN6thrust23THRUST_200600_302600_NS5tupleIyyNS7_9null_typeES9_S9_S9_S9_S9_S9_S9_EENS0_10empty_typeEbEEZZNS1_14partition_implILS5_6ELb0ES3_mNS7_12zip_iteratorINS8_INS7_6detail15normal_iteratorINS7_10device_ptrIyEEEESJ_S9_S9_S9_S9_S9_S9_S9_S9_EEEEPSB_SM_NS0_5tupleIJNSE_INS8_ISJ_NS7_16discard_iteratorINS7_11use_defaultEEES9_S9_S9_S9_S9_S9_S9_S9_EEEESB_EEENSN_IJSM_SM_EEESB_PlJNSF_9not_fun_tINSF_14equal_to_valueISA_EEEEEEE10hipError_tPvRmT3_T4_T5_T6_T7_T9_mT8_P12ihipStream_tbDpT10_ENKUlT_T0_E_clISt17integral_constantIbLb1EES1I_IbLb0EEEEDaS1E_S1F_EUlS1E_E_NS1_11comp_targetILNS1_3genE9ELNS1_11target_archE1100ELNS1_3gpuE3ELNS1_3repE0EEENS1_30default_config_static_selectorELNS0_4arch9wavefront6targetE0EEEvT1_.uses_flat_scratch, 0
	.set _ZN7rocprim17ROCPRIM_400000_NS6detail17trampoline_kernelINS0_14default_configENS1_25partition_config_selectorILNS1_17partition_subalgoE6EN6thrust23THRUST_200600_302600_NS5tupleIyyNS7_9null_typeES9_S9_S9_S9_S9_S9_S9_EENS0_10empty_typeEbEEZZNS1_14partition_implILS5_6ELb0ES3_mNS7_12zip_iteratorINS8_INS7_6detail15normal_iteratorINS7_10device_ptrIyEEEESJ_S9_S9_S9_S9_S9_S9_S9_S9_EEEEPSB_SM_NS0_5tupleIJNSE_INS8_ISJ_NS7_16discard_iteratorINS7_11use_defaultEEES9_S9_S9_S9_S9_S9_S9_S9_EEEESB_EEENSN_IJSM_SM_EEESB_PlJNSF_9not_fun_tINSF_14equal_to_valueISA_EEEEEEE10hipError_tPvRmT3_T4_T5_T6_T7_T9_mT8_P12ihipStream_tbDpT10_ENKUlT_T0_E_clISt17integral_constantIbLb1EES1I_IbLb0EEEEDaS1E_S1F_EUlS1E_E_NS1_11comp_targetILNS1_3genE9ELNS1_11target_archE1100ELNS1_3gpuE3ELNS1_3repE0EEENS1_30default_config_static_selectorELNS0_4arch9wavefront6targetE0EEEvT1_.has_dyn_sized_stack, 0
	.set _ZN7rocprim17ROCPRIM_400000_NS6detail17trampoline_kernelINS0_14default_configENS1_25partition_config_selectorILNS1_17partition_subalgoE6EN6thrust23THRUST_200600_302600_NS5tupleIyyNS7_9null_typeES9_S9_S9_S9_S9_S9_S9_EENS0_10empty_typeEbEEZZNS1_14partition_implILS5_6ELb0ES3_mNS7_12zip_iteratorINS8_INS7_6detail15normal_iteratorINS7_10device_ptrIyEEEESJ_S9_S9_S9_S9_S9_S9_S9_S9_EEEEPSB_SM_NS0_5tupleIJNSE_INS8_ISJ_NS7_16discard_iteratorINS7_11use_defaultEEES9_S9_S9_S9_S9_S9_S9_S9_EEEESB_EEENSN_IJSM_SM_EEESB_PlJNSF_9not_fun_tINSF_14equal_to_valueISA_EEEEEEE10hipError_tPvRmT3_T4_T5_T6_T7_T9_mT8_P12ihipStream_tbDpT10_ENKUlT_T0_E_clISt17integral_constantIbLb1EES1I_IbLb0EEEEDaS1E_S1F_EUlS1E_E_NS1_11comp_targetILNS1_3genE9ELNS1_11target_archE1100ELNS1_3gpuE3ELNS1_3repE0EEENS1_30default_config_static_selectorELNS0_4arch9wavefront6targetE0EEEvT1_.has_recursion, 0
	.set _ZN7rocprim17ROCPRIM_400000_NS6detail17trampoline_kernelINS0_14default_configENS1_25partition_config_selectorILNS1_17partition_subalgoE6EN6thrust23THRUST_200600_302600_NS5tupleIyyNS7_9null_typeES9_S9_S9_S9_S9_S9_S9_EENS0_10empty_typeEbEEZZNS1_14partition_implILS5_6ELb0ES3_mNS7_12zip_iteratorINS8_INS7_6detail15normal_iteratorINS7_10device_ptrIyEEEESJ_S9_S9_S9_S9_S9_S9_S9_S9_EEEEPSB_SM_NS0_5tupleIJNSE_INS8_ISJ_NS7_16discard_iteratorINS7_11use_defaultEEES9_S9_S9_S9_S9_S9_S9_S9_EEEESB_EEENSN_IJSM_SM_EEESB_PlJNSF_9not_fun_tINSF_14equal_to_valueISA_EEEEEEE10hipError_tPvRmT3_T4_T5_T6_T7_T9_mT8_P12ihipStream_tbDpT10_ENKUlT_T0_E_clISt17integral_constantIbLb1EES1I_IbLb0EEEEDaS1E_S1F_EUlS1E_E_NS1_11comp_targetILNS1_3genE9ELNS1_11target_archE1100ELNS1_3gpuE3ELNS1_3repE0EEENS1_30default_config_static_selectorELNS0_4arch9wavefront6targetE0EEEvT1_.has_indirect_call, 0
	.section	.AMDGPU.csdata,"",@progbits
; Kernel info:
; codeLenInByte = 0
; TotalNumSgprs: 0
; NumVgprs: 0
; ScratchSize: 0
; MemoryBound: 0
; FloatMode: 240
; IeeeMode: 1
; LDSByteSize: 0 bytes/workgroup (compile time only)
; SGPRBlocks: 0
; VGPRBlocks: 0
; NumSGPRsForWavesPerEU: 1
; NumVGPRsForWavesPerEU: 1
; Occupancy: 16
; WaveLimiterHint : 0
; COMPUTE_PGM_RSRC2:SCRATCH_EN: 0
; COMPUTE_PGM_RSRC2:USER_SGPR: 2
; COMPUTE_PGM_RSRC2:TRAP_HANDLER: 0
; COMPUTE_PGM_RSRC2:TGID_X_EN: 1
; COMPUTE_PGM_RSRC2:TGID_Y_EN: 0
; COMPUTE_PGM_RSRC2:TGID_Z_EN: 0
; COMPUTE_PGM_RSRC2:TIDIG_COMP_CNT: 0
	.section	.text._ZN7rocprim17ROCPRIM_400000_NS6detail17trampoline_kernelINS0_14default_configENS1_25partition_config_selectorILNS1_17partition_subalgoE6EN6thrust23THRUST_200600_302600_NS5tupleIyyNS7_9null_typeES9_S9_S9_S9_S9_S9_S9_EENS0_10empty_typeEbEEZZNS1_14partition_implILS5_6ELb0ES3_mNS7_12zip_iteratorINS8_INS7_6detail15normal_iteratorINS7_10device_ptrIyEEEESJ_S9_S9_S9_S9_S9_S9_S9_S9_EEEEPSB_SM_NS0_5tupleIJNSE_INS8_ISJ_NS7_16discard_iteratorINS7_11use_defaultEEES9_S9_S9_S9_S9_S9_S9_S9_EEEESB_EEENSN_IJSM_SM_EEESB_PlJNSF_9not_fun_tINSF_14equal_to_valueISA_EEEEEEE10hipError_tPvRmT3_T4_T5_T6_T7_T9_mT8_P12ihipStream_tbDpT10_ENKUlT_T0_E_clISt17integral_constantIbLb1EES1I_IbLb0EEEEDaS1E_S1F_EUlS1E_E_NS1_11comp_targetILNS1_3genE8ELNS1_11target_archE1030ELNS1_3gpuE2ELNS1_3repE0EEENS1_30default_config_static_selectorELNS0_4arch9wavefront6targetE0EEEvT1_,"axG",@progbits,_ZN7rocprim17ROCPRIM_400000_NS6detail17trampoline_kernelINS0_14default_configENS1_25partition_config_selectorILNS1_17partition_subalgoE6EN6thrust23THRUST_200600_302600_NS5tupleIyyNS7_9null_typeES9_S9_S9_S9_S9_S9_S9_EENS0_10empty_typeEbEEZZNS1_14partition_implILS5_6ELb0ES3_mNS7_12zip_iteratorINS8_INS7_6detail15normal_iteratorINS7_10device_ptrIyEEEESJ_S9_S9_S9_S9_S9_S9_S9_S9_EEEEPSB_SM_NS0_5tupleIJNSE_INS8_ISJ_NS7_16discard_iteratorINS7_11use_defaultEEES9_S9_S9_S9_S9_S9_S9_S9_EEEESB_EEENSN_IJSM_SM_EEESB_PlJNSF_9not_fun_tINSF_14equal_to_valueISA_EEEEEEE10hipError_tPvRmT3_T4_T5_T6_T7_T9_mT8_P12ihipStream_tbDpT10_ENKUlT_T0_E_clISt17integral_constantIbLb1EES1I_IbLb0EEEEDaS1E_S1F_EUlS1E_E_NS1_11comp_targetILNS1_3genE8ELNS1_11target_archE1030ELNS1_3gpuE2ELNS1_3repE0EEENS1_30default_config_static_selectorELNS0_4arch9wavefront6targetE0EEEvT1_,comdat
	.protected	_ZN7rocprim17ROCPRIM_400000_NS6detail17trampoline_kernelINS0_14default_configENS1_25partition_config_selectorILNS1_17partition_subalgoE6EN6thrust23THRUST_200600_302600_NS5tupleIyyNS7_9null_typeES9_S9_S9_S9_S9_S9_S9_EENS0_10empty_typeEbEEZZNS1_14partition_implILS5_6ELb0ES3_mNS7_12zip_iteratorINS8_INS7_6detail15normal_iteratorINS7_10device_ptrIyEEEESJ_S9_S9_S9_S9_S9_S9_S9_S9_EEEEPSB_SM_NS0_5tupleIJNSE_INS8_ISJ_NS7_16discard_iteratorINS7_11use_defaultEEES9_S9_S9_S9_S9_S9_S9_S9_EEEESB_EEENSN_IJSM_SM_EEESB_PlJNSF_9not_fun_tINSF_14equal_to_valueISA_EEEEEEE10hipError_tPvRmT3_T4_T5_T6_T7_T9_mT8_P12ihipStream_tbDpT10_ENKUlT_T0_E_clISt17integral_constantIbLb1EES1I_IbLb0EEEEDaS1E_S1F_EUlS1E_E_NS1_11comp_targetILNS1_3genE8ELNS1_11target_archE1030ELNS1_3gpuE2ELNS1_3repE0EEENS1_30default_config_static_selectorELNS0_4arch9wavefront6targetE0EEEvT1_ ; -- Begin function _ZN7rocprim17ROCPRIM_400000_NS6detail17trampoline_kernelINS0_14default_configENS1_25partition_config_selectorILNS1_17partition_subalgoE6EN6thrust23THRUST_200600_302600_NS5tupleIyyNS7_9null_typeES9_S9_S9_S9_S9_S9_S9_EENS0_10empty_typeEbEEZZNS1_14partition_implILS5_6ELb0ES3_mNS7_12zip_iteratorINS8_INS7_6detail15normal_iteratorINS7_10device_ptrIyEEEESJ_S9_S9_S9_S9_S9_S9_S9_S9_EEEEPSB_SM_NS0_5tupleIJNSE_INS8_ISJ_NS7_16discard_iteratorINS7_11use_defaultEEES9_S9_S9_S9_S9_S9_S9_S9_EEEESB_EEENSN_IJSM_SM_EEESB_PlJNSF_9not_fun_tINSF_14equal_to_valueISA_EEEEEEE10hipError_tPvRmT3_T4_T5_T6_T7_T9_mT8_P12ihipStream_tbDpT10_ENKUlT_T0_E_clISt17integral_constantIbLb1EES1I_IbLb0EEEEDaS1E_S1F_EUlS1E_E_NS1_11comp_targetILNS1_3genE8ELNS1_11target_archE1030ELNS1_3gpuE2ELNS1_3repE0EEENS1_30default_config_static_selectorELNS0_4arch9wavefront6targetE0EEEvT1_
	.globl	_ZN7rocprim17ROCPRIM_400000_NS6detail17trampoline_kernelINS0_14default_configENS1_25partition_config_selectorILNS1_17partition_subalgoE6EN6thrust23THRUST_200600_302600_NS5tupleIyyNS7_9null_typeES9_S9_S9_S9_S9_S9_S9_EENS0_10empty_typeEbEEZZNS1_14partition_implILS5_6ELb0ES3_mNS7_12zip_iteratorINS8_INS7_6detail15normal_iteratorINS7_10device_ptrIyEEEESJ_S9_S9_S9_S9_S9_S9_S9_S9_EEEEPSB_SM_NS0_5tupleIJNSE_INS8_ISJ_NS7_16discard_iteratorINS7_11use_defaultEEES9_S9_S9_S9_S9_S9_S9_S9_EEEESB_EEENSN_IJSM_SM_EEESB_PlJNSF_9not_fun_tINSF_14equal_to_valueISA_EEEEEEE10hipError_tPvRmT3_T4_T5_T6_T7_T9_mT8_P12ihipStream_tbDpT10_ENKUlT_T0_E_clISt17integral_constantIbLb1EES1I_IbLb0EEEEDaS1E_S1F_EUlS1E_E_NS1_11comp_targetILNS1_3genE8ELNS1_11target_archE1030ELNS1_3gpuE2ELNS1_3repE0EEENS1_30default_config_static_selectorELNS0_4arch9wavefront6targetE0EEEvT1_
	.p2align	8
	.type	_ZN7rocprim17ROCPRIM_400000_NS6detail17trampoline_kernelINS0_14default_configENS1_25partition_config_selectorILNS1_17partition_subalgoE6EN6thrust23THRUST_200600_302600_NS5tupleIyyNS7_9null_typeES9_S9_S9_S9_S9_S9_S9_EENS0_10empty_typeEbEEZZNS1_14partition_implILS5_6ELb0ES3_mNS7_12zip_iteratorINS8_INS7_6detail15normal_iteratorINS7_10device_ptrIyEEEESJ_S9_S9_S9_S9_S9_S9_S9_S9_EEEEPSB_SM_NS0_5tupleIJNSE_INS8_ISJ_NS7_16discard_iteratorINS7_11use_defaultEEES9_S9_S9_S9_S9_S9_S9_S9_EEEESB_EEENSN_IJSM_SM_EEESB_PlJNSF_9not_fun_tINSF_14equal_to_valueISA_EEEEEEE10hipError_tPvRmT3_T4_T5_T6_T7_T9_mT8_P12ihipStream_tbDpT10_ENKUlT_T0_E_clISt17integral_constantIbLb1EES1I_IbLb0EEEEDaS1E_S1F_EUlS1E_E_NS1_11comp_targetILNS1_3genE8ELNS1_11target_archE1030ELNS1_3gpuE2ELNS1_3repE0EEENS1_30default_config_static_selectorELNS0_4arch9wavefront6targetE0EEEvT1_,@function
_ZN7rocprim17ROCPRIM_400000_NS6detail17trampoline_kernelINS0_14default_configENS1_25partition_config_selectorILNS1_17partition_subalgoE6EN6thrust23THRUST_200600_302600_NS5tupleIyyNS7_9null_typeES9_S9_S9_S9_S9_S9_S9_EENS0_10empty_typeEbEEZZNS1_14partition_implILS5_6ELb0ES3_mNS7_12zip_iteratorINS8_INS7_6detail15normal_iteratorINS7_10device_ptrIyEEEESJ_S9_S9_S9_S9_S9_S9_S9_S9_EEEEPSB_SM_NS0_5tupleIJNSE_INS8_ISJ_NS7_16discard_iteratorINS7_11use_defaultEEES9_S9_S9_S9_S9_S9_S9_S9_EEEESB_EEENSN_IJSM_SM_EEESB_PlJNSF_9not_fun_tINSF_14equal_to_valueISA_EEEEEEE10hipError_tPvRmT3_T4_T5_T6_T7_T9_mT8_P12ihipStream_tbDpT10_ENKUlT_T0_E_clISt17integral_constantIbLb1EES1I_IbLb0EEEEDaS1E_S1F_EUlS1E_E_NS1_11comp_targetILNS1_3genE8ELNS1_11target_archE1030ELNS1_3gpuE2ELNS1_3repE0EEENS1_30default_config_static_selectorELNS0_4arch9wavefront6targetE0EEEvT1_: ; @_ZN7rocprim17ROCPRIM_400000_NS6detail17trampoline_kernelINS0_14default_configENS1_25partition_config_selectorILNS1_17partition_subalgoE6EN6thrust23THRUST_200600_302600_NS5tupleIyyNS7_9null_typeES9_S9_S9_S9_S9_S9_S9_EENS0_10empty_typeEbEEZZNS1_14partition_implILS5_6ELb0ES3_mNS7_12zip_iteratorINS8_INS7_6detail15normal_iteratorINS7_10device_ptrIyEEEESJ_S9_S9_S9_S9_S9_S9_S9_S9_EEEEPSB_SM_NS0_5tupleIJNSE_INS8_ISJ_NS7_16discard_iteratorINS7_11use_defaultEEES9_S9_S9_S9_S9_S9_S9_S9_EEEESB_EEENSN_IJSM_SM_EEESB_PlJNSF_9not_fun_tINSF_14equal_to_valueISA_EEEEEEE10hipError_tPvRmT3_T4_T5_T6_T7_T9_mT8_P12ihipStream_tbDpT10_ENKUlT_T0_E_clISt17integral_constantIbLb1EES1I_IbLb0EEEEDaS1E_S1F_EUlS1E_E_NS1_11comp_targetILNS1_3genE8ELNS1_11target_archE1030ELNS1_3gpuE2ELNS1_3repE0EEENS1_30default_config_static_selectorELNS0_4arch9wavefront6targetE0EEEvT1_
; %bb.0:
	.section	.rodata,"a",@progbits
	.p2align	6, 0x0
	.amdhsa_kernel _ZN7rocprim17ROCPRIM_400000_NS6detail17trampoline_kernelINS0_14default_configENS1_25partition_config_selectorILNS1_17partition_subalgoE6EN6thrust23THRUST_200600_302600_NS5tupleIyyNS7_9null_typeES9_S9_S9_S9_S9_S9_S9_EENS0_10empty_typeEbEEZZNS1_14partition_implILS5_6ELb0ES3_mNS7_12zip_iteratorINS8_INS7_6detail15normal_iteratorINS7_10device_ptrIyEEEESJ_S9_S9_S9_S9_S9_S9_S9_S9_EEEEPSB_SM_NS0_5tupleIJNSE_INS8_ISJ_NS7_16discard_iteratorINS7_11use_defaultEEES9_S9_S9_S9_S9_S9_S9_S9_EEEESB_EEENSN_IJSM_SM_EEESB_PlJNSF_9not_fun_tINSF_14equal_to_valueISA_EEEEEEE10hipError_tPvRmT3_T4_T5_T6_T7_T9_mT8_P12ihipStream_tbDpT10_ENKUlT_T0_E_clISt17integral_constantIbLb1EES1I_IbLb0EEEEDaS1E_S1F_EUlS1E_E_NS1_11comp_targetILNS1_3genE8ELNS1_11target_archE1030ELNS1_3gpuE2ELNS1_3repE0EEENS1_30default_config_static_selectorELNS0_4arch9wavefront6targetE0EEEvT1_
		.amdhsa_group_segment_fixed_size 0
		.amdhsa_private_segment_fixed_size 0
		.amdhsa_kernarg_size 152
		.amdhsa_user_sgpr_count 2
		.amdhsa_user_sgpr_dispatch_ptr 0
		.amdhsa_user_sgpr_queue_ptr 0
		.amdhsa_user_sgpr_kernarg_segment_ptr 1
		.amdhsa_user_sgpr_dispatch_id 0
		.amdhsa_user_sgpr_private_segment_size 0
		.amdhsa_wavefront_size32 1
		.amdhsa_uses_dynamic_stack 0
		.amdhsa_enable_private_segment 0
		.amdhsa_system_sgpr_workgroup_id_x 1
		.amdhsa_system_sgpr_workgroup_id_y 0
		.amdhsa_system_sgpr_workgroup_id_z 0
		.amdhsa_system_sgpr_workgroup_info 0
		.amdhsa_system_vgpr_workitem_id 0
		.amdhsa_next_free_vgpr 1
		.amdhsa_next_free_sgpr 1
		.amdhsa_reserve_vcc 0
		.amdhsa_float_round_mode_32 0
		.amdhsa_float_round_mode_16_64 0
		.amdhsa_float_denorm_mode_32 3
		.amdhsa_float_denorm_mode_16_64 3
		.amdhsa_fp16_overflow 0
		.amdhsa_workgroup_processor_mode 1
		.amdhsa_memory_ordered 1
		.amdhsa_forward_progress 1
		.amdhsa_inst_pref_size 0
		.amdhsa_round_robin_scheduling 0
		.amdhsa_exception_fp_ieee_invalid_op 0
		.amdhsa_exception_fp_denorm_src 0
		.amdhsa_exception_fp_ieee_div_zero 0
		.amdhsa_exception_fp_ieee_overflow 0
		.amdhsa_exception_fp_ieee_underflow 0
		.amdhsa_exception_fp_ieee_inexact 0
		.amdhsa_exception_int_div_zero 0
	.end_amdhsa_kernel
	.section	.text._ZN7rocprim17ROCPRIM_400000_NS6detail17trampoline_kernelINS0_14default_configENS1_25partition_config_selectorILNS1_17partition_subalgoE6EN6thrust23THRUST_200600_302600_NS5tupleIyyNS7_9null_typeES9_S9_S9_S9_S9_S9_S9_EENS0_10empty_typeEbEEZZNS1_14partition_implILS5_6ELb0ES3_mNS7_12zip_iteratorINS8_INS7_6detail15normal_iteratorINS7_10device_ptrIyEEEESJ_S9_S9_S9_S9_S9_S9_S9_S9_EEEEPSB_SM_NS0_5tupleIJNSE_INS8_ISJ_NS7_16discard_iteratorINS7_11use_defaultEEES9_S9_S9_S9_S9_S9_S9_S9_EEEESB_EEENSN_IJSM_SM_EEESB_PlJNSF_9not_fun_tINSF_14equal_to_valueISA_EEEEEEE10hipError_tPvRmT3_T4_T5_T6_T7_T9_mT8_P12ihipStream_tbDpT10_ENKUlT_T0_E_clISt17integral_constantIbLb1EES1I_IbLb0EEEEDaS1E_S1F_EUlS1E_E_NS1_11comp_targetILNS1_3genE8ELNS1_11target_archE1030ELNS1_3gpuE2ELNS1_3repE0EEENS1_30default_config_static_selectorELNS0_4arch9wavefront6targetE0EEEvT1_,"axG",@progbits,_ZN7rocprim17ROCPRIM_400000_NS6detail17trampoline_kernelINS0_14default_configENS1_25partition_config_selectorILNS1_17partition_subalgoE6EN6thrust23THRUST_200600_302600_NS5tupleIyyNS7_9null_typeES9_S9_S9_S9_S9_S9_S9_EENS0_10empty_typeEbEEZZNS1_14partition_implILS5_6ELb0ES3_mNS7_12zip_iteratorINS8_INS7_6detail15normal_iteratorINS7_10device_ptrIyEEEESJ_S9_S9_S9_S9_S9_S9_S9_S9_EEEEPSB_SM_NS0_5tupleIJNSE_INS8_ISJ_NS7_16discard_iteratorINS7_11use_defaultEEES9_S9_S9_S9_S9_S9_S9_S9_EEEESB_EEENSN_IJSM_SM_EEESB_PlJNSF_9not_fun_tINSF_14equal_to_valueISA_EEEEEEE10hipError_tPvRmT3_T4_T5_T6_T7_T9_mT8_P12ihipStream_tbDpT10_ENKUlT_T0_E_clISt17integral_constantIbLb1EES1I_IbLb0EEEEDaS1E_S1F_EUlS1E_E_NS1_11comp_targetILNS1_3genE8ELNS1_11target_archE1030ELNS1_3gpuE2ELNS1_3repE0EEENS1_30default_config_static_selectorELNS0_4arch9wavefront6targetE0EEEvT1_,comdat
.Lfunc_end1908:
	.size	_ZN7rocprim17ROCPRIM_400000_NS6detail17trampoline_kernelINS0_14default_configENS1_25partition_config_selectorILNS1_17partition_subalgoE6EN6thrust23THRUST_200600_302600_NS5tupleIyyNS7_9null_typeES9_S9_S9_S9_S9_S9_S9_EENS0_10empty_typeEbEEZZNS1_14partition_implILS5_6ELb0ES3_mNS7_12zip_iteratorINS8_INS7_6detail15normal_iteratorINS7_10device_ptrIyEEEESJ_S9_S9_S9_S9_S9_S9_S9_S9_EEEEPSB_SM_NS0_5tupleIJNSE_INS8_ISJ_NS7_16discard_iteratorINS7_11use_defaultEEES9_S9_S9_S9_S9_S9_S9_S9_EEEESB_EEENSN_IJSM_SM_EEESB_PlJNSF_9not_fun_tINSF_14equal_to_valueISA_EEEEEEE10hipError_tPvRmT3_T4_T5_T6_T7_T9_mT8_P12ihipStream_tbDpT10_ENKUlT_T0_E_clISt17integral_constantIbLb1EES1I_IbLb0EEEEDaS1E_S1F_EUlS1E_E_NS1_11comp_targetILNS1_3genE8ELNS1_11target_archE1030ELNS1_3gpuE2ELNS1_3repE0EEENS1_30default_config_static_selectorELNS0_4arch9wavefront6targetE0EEEvT1_, .Lfunc_end1908-_ZN7rocprim17ROCPRIM_400000_NS6detail17trampoline_kernelINS0_14default_configENS1_25partition_config_selectorILNS1_17partition_subalgoE6EN6thrust23THRUST_200600_302600_NS5tupleIyyNS7_9null_typeES9_S9_S9_S9_S9_S9_S9_EENS0_10empty_typeEbEEZZNS1_14partition_implILS5_6ELb0ES3_mNS7_12zip_iteratorINS8_INS7_6detail15normal_iteratorINS7_10device_ptrIyEEEESJ_S9_S9_S9_S9_S9_S9_S9_S9_EEEEPSB_SM_NS0_5tupleIJNSE_INS8_ISJ_NS7_16discard_iteratorINS7_11use_defaultEEES9_S9_S9_S9_S9_S9_S9_S9_EEEESB_EEENSN_IJSM_SM_EEESB_PlJNSF_9not_fun_tINSF_14equal_to_valueISA_EEEEEEE10hipError_tPvRmT3_T4_T5_T6_T7_T9_mT8_P12ihipStream_tbDpT10_ENKUlT_T0_E_clISt17integral_constantIbLb1EES1I_IbLb0EEEEDaS1E_S1F_EUlS1E_E_NS1_11comp_targetILNS1_3genE8ELNS1_11target_archE1030ELNS1_3gpuE2ELNS1_3repE0EEENS1_30default_config_static_selectorELNS0_4arch9wavefront6targetE0EEEvT1_
                                        ; -- End function
	.set _ZN7rocprim17ROCPRIM_400000_NS6detail17trampoline_kernelINS0_14default_configENS1_25partition_config_selectorILNS1_17partition_subalgoE6EN6thrust23THRUST_200600_302600_NS5tupleIyyNS7_9null_typeES9_S9_S9_S9_S9_S9_S9_EENS0_10empty_typeEbEEZZNS1_14partition_implILS5_6ELb0ES3_mNS7_12zip_iteratorINS8_INS7_6detail15normal_iteratorINS7_10device_ptrIyEEEESJ_S9_S9_S9_S9_S9_S9_S9_S9_EEEEPSB_SM_NS0_5tupleIJNSE_INS8_ISJ_NS7_16discard_iteratorINS7_11use_defaultEEES9_S9_S9_S9_S9_S9_S9_S9_EEEESB_EEENSN_IJSM_SM_EEESB_PlJNSF_9not_fun_tINSF_14equal_to_valueISA_EEEEEEE10hipError_tPvRmT3_T4_T5_T6_T7_T9_mT8_P12ihipStream_tbDpT10_ENKUlT_T0_E_clISt17integral_constantIbLb1EES1I_IbLb0EEEEDaS1E_S1F_EUlS1E_E_NS1_11comp_targetILNS1_3genE8ELNS1_11target_archE1030ELNS1_3gpuE2ELNS1_3repE0EEENS1_30default_config_static_selectorELNS0_4arch9wavefront6targetE0EEEvT1_.num_vgpr, 0
	.set _ZN7rocprim17ROCPRIM_400000_NS6detail17trampoline_kernelINS0_14default_configENS1_25partition_config_selectorILNS1_17partition_subalgoE6EN6thrust23THRUST_200600_302600_NS5tupleIyyNS7_9null_typeES9_S9_S9_S9_S9_S9_S9_EENS0_10empty_typeEbEEZZNS1_14partition_implILS5_6ELb0ES3_mNS7_12zip_iteratorINS8_INS7_6detail15normal_iteratorINS7_10device_ptrIyEEEESJ_S9_S9_S9_S9_S9_S9_S9_S9_EEEEPSB_SM_NS0_5tupleIJNSE_INS8_ISJ_NS7_16discard_iteratorINS7_11use_defaultEEES9_S9_S9_S9_S9_S9_S9_S9_EEEESB_EEENSN_IJSM_SM_EEESB_PlJNSF_9not_fun_tINSF_14equal_to_valueISA_EEEEEEE10hipError_tPvRmT3_T4_T5_T6_T7_T9_mT8_P12ihipStream_tbDpT10_ENKUlT_T0_E_clISt17integral_constantIbLb1EES1I_IbLb0EEEEDaS1E_S1F_EUlS1E_E_NS1_11comp_targetILNS1_3genE8ELNS1_11target_archE1030ELNS1_3gpuE2ELNS1_3repE0EEENS1_30default_config_static_selectorELNS0_4arch9wavefront6targetE0EEEvT1_.num_agpr, 0
	.set _ZN7rocprim17ROCPRIM_400000_NS6detail17trampoline_kernelINS0_14default_configENS1_25partition_config_selectorILNS1_17partition_subalgoE6EN6thrust23THRUST_200600_302600_NS5tupleIyyNS7_9null_typeES9_S9_S9_S9_S9_S9_S9_EENS0_10empty_typeEbEEZZNS1_14partition_implILS5_6ELb0ES3_mNS7_12zip_iteratorINS8_INS7_6detail15normal_iteratorINS7_10device_ptrIyEEEESJ_S9_S9_S9_S9_S9_S9_S9_S9_EEEEPSB_SM_NS0_5tupleIJNSE_INS8_ISJ_NS7_16discard_iteratorINS7_11use_defaultEEES9_S9_S9_S9_S9_S9_S9_S9_EEEESB_EEENSN_IJSM_SM_EEESB_PlJNSF_9not_fun_tINSF_14equal_to_valueISA_EEEEEEE10hipError_tPvRmT3_T4_T5_T6_T7_T9_mT8_P12ihipStream_tbDpT10_ENKUlT_T0_E_clISt17integral_constantIbLb1EES1I_IbLb0EEEEDaS1E_S1F_EUlS1E_E_NS1_11comp_targetILNS1_3genE8ELNS1_11target_archE1030ELNS1_3gpuE2ELNS1_3repE0EEENS1_30default_config_static_selectorELNS0_4arch9wavefront6targetE0EEEvT1_.numbered_sgpr, 0
	.set _ZN7rocprim17ROCPRIM_400000_NS6detail17trampoline_kernelINS0_14default_configENS1_25partition_config_selectorILNS1_17partition_subalgoE6EN6thrust23THRUST_200600_302600_NS5tupleIyyNS7_9null_typeES9_S9_S9_S9_S9_S9_S9_EENS0_10empty_typeEbEEZZNS1_14partition_implILS5_6ELb0ES3_mNS7_12zip_iteratorINS8_INS7_6detail15normal_iteratorINS7_10device_ptrIyEEEESJ_S9_S9_S9_S9_S9_S9_S9_S9_EEEEPSB_SM_NS0_5tupleIJNSE_INS8_ISJ_NS7_16discard_iteratorINS7_11use_defaultEEES9_S9_S9_S9_S9_S9_S9_S9_EEEESB_EEENSN_IJSM_SM_EEESB_PlJNSF_9not_fun_tINSF_14equal_to_valueISA_EEEEEEE10hipError_tPvRmT3_T4_T5_T6_T7_T9_mT8_P12ihipStream_tbDpT10_ENKUlT_T0_E_clISt17integral_constantIbLb1EES1I_IbLb0EEEEDaS1E_S1F_EUlS1E_E_NS1_11comp_targetILNS1_3genE8ELNS1_11target_archE1030ELNS1_3gpuE2ELNS1_3repE0EEENS1_30default_config_static_selectorELNS0_4arch9wavefront6targetE0EEEvT1_.num_named_barrier, 0
	.set _ZN7rocprim17ROCPRIM_400000_NS6detail17trampoline_kernelINS0_14default_configENS1_25partition_config_selectorILNS1_17partition_subalgoE6EN6thrust23THRUST_200600_302600_NS5tupleIyyNS7_9null_typeES9_S9_S9_S9_S9_S9_S9_EENS0_10empty_typeEbEEZZNS1_14partition_implILS5_6ELb0ES3_mNS7_12zip_iteratorINS8_INS7_6detail15normal_iteratorINS7_10device_ptrIyEEEESJ_S9_S9_S9_S9_S9_S9_S9_S9_EEEEPSB_SM_NS0_5tupleIJNSE_INS8_ISJ_NS7_16discard_iteratorINS7_11use_defaultEEES9_S9_S9_S9_S9_S9_S9_S9_EEEESB_EEENSN_IJSM_SM_EEESB_PlJNSF_9not_fun_tINSF_14equal_to_valueISA_EEEEEEE10hipError_tPvRmT3_T4_T5_T6_T7_T9_mT8_P12ihipStream_tbDpT10_ENKUlT_T0_E_clISt17integral_constantIbLb1EES1I_IbLb0EEEEDaS1E_S1F_EUlS1E_E_NS1_11comp_targetILNS1_3genE8ELNS1_11target_archE1030ELNS1_3gpuE2ELNS1_3repE0EEENS1_30default_config_static_selectorELNS0_4arch9wavefront6targetE0EEEvT1_.private_seg_size, 0
	.set _ZN7rocprim17ROCPRIM_400000_NS6detail17trampoline_kernelINS0_14default_configENS1_25partition_config_selectorILNS1_17partition_subalgoE6EN6thrust23THRUST_200600_302600_NS5tupleIyyNS7_9null_typeES9_S9_S9_S9_S9_S9_S9_EENS0_10empty_typeEbEEZZNS1_14partition_implILS5_6ELb0ES3_mNS7_12zip_iteratorINS8_INS7_6detail15normal_iteratorINS7_10device_ptrIyEEEESJ_S9_S9_S9_S9_S9_S9_S9_S9_EEEEPSB_SM_NS0_5tupleIJNSE_INS8_ISJ_NS7_16discard_iteratorINS7_11use_defaultEEES9_S9_S9_S9_S9_S9_S9_S9_EEEESB_EEENSN_IJSM_SM_EEESB_PlJNSF_9not_fun_tINSF_14equal_to_valueISA_EEEEEEE10hipError_tPvRmT3_T4_T5_T6_T7_T9_mT8_P12ihipStream_tbDpT10_ENKUlT_T0_E_clISt17integral_constantIbLb1EES1I_IbLb0EEEEDaS1E_S1F_EUlS1E_E_NS1_11comp_targetILNS1_3genE8ELNS1_11target_archE1030ELNS1_3gpuE2ELNS1_3repE0EEENS1_30default_config_static_selectorELNS0_4arch9wavefront6targetE0EEEvT1_.uses_vcc, 0
	.set _ZN7rocprim17ROCPRIM_400000_NS6detail17trampoline_kernelINS0_14default_configENS1_25partition_config_selectorILNS1_17partition_subalgoE6EN6thrust23THRUST_200600_302600_NS5tupleIyyNS7_9null_typeES9_S9_S9_S9_S9_S9_S9_EENS0_10empty_typeEbEEZZNS1_14partition_implILS5_6ELb0ES3_mNS7_12zip_iteratorINS8_INS7_6detail15normal_iteratorINS7_10device_ptrIyEEEESJ_S9_S9_S9_S9_S9_S9_S9_S9_EEEEPSB_SM_NS0_5tupleIJNSE_INS8_ISJ_NS7_16discard_iteratorINS7_11use_defaultEEES9_S9_S9_S9_S9_S9_S9_S9_EEEESB_EEENSN_IJSM_SM_EEESB_PlJNSF_9not_fun_tINSF_14equal_to_valueISA_EEEEEEE10hipError_tPvRmT3_T4_T5_T6_T7_T9_mT8_P12ihipStream_tbDpT10_ENKUlT_T0_E_clISt17integral_constantIbLb1EES1I_IbLb0EEEEDaS1E_S1F_EUlS1E_E_NS1_11comp_targetILNS1_3genE8ELNS1_11target_archE1030ELNS1_3gpuE2ELNS1_3repE0EEENS1_30default_config_static_selectorELNS0_4arch9wavefront6targetE0EEEvT1_.uses_flat_scratch, 0
	.set _ZN7rocprim17ROCPRIM_400000_NS6detail17trampoline_kernelINS0_14default_configENS1_25partition_config_selectorILNS1_17partition_subalgoE6EN6thrust23THRUST_200600_302600_NS5tupleIyyNS7_9null_typeES9_S9_S9_S9_S9_S9_S9_EENS0_10empty_typeEbEEZZNS1_14partition_implILS5_6ELb0ES3_mNS7_12zip_iteratorINS8_INS7_6detail15normal_iteratorINS7_10device_ptrIyEEEESJ_S9_S9_S9_S9_S9_S9_S9_S9_EEEEPSB_SM_NS0_5tupleIJNSE_INS8_ISJ_NS7_16discard_iteratorINS7_11use_defaultEEES9_S9_S9_S9_S9_S9_S9_S9_EEEESB_EEENSN_IJSM_SM_EEESB_PlJNSF_9not_fun_tINSF_14equal_to_valueISA_EEEEEEE10hipError_tPvRmT3_T4_T5_T6_T7_T9_mT8_P12ihipStream_tbDpT10_ENKUlT_T0_E_clISt17integral_constantIbLb1EES1I_IbLb0EEEEDaS1E_S1F_EUlS1E_E_NS1_11comp_targetILNS1_3genE8ELNS1_11target_archE1030ELNS1_3gpuE2ELNS1_3repE0EEENS1_30default_config_static_selectorELNS0_4arch9wavefront6targetE0EEEvT1_.has_dyn_sized_stack, 0
	.set _ZN7rocprim17ROCPRIM_400000_NS6detail17trampoline_kernelINS0_14default_configENS1_25partition_config_selectorILNS1_17partition_subalgoE6EN6thrust23THRUST_200600_302600_NS5tupleIyyNS7_9null_typeES9_S9_S9_S9_S9_S9_S9_EENS0_10empty_typeEbEEZZNS1_14partition_implILS5_6ELb0ES3_mNS7_12zip_iteratorINS8_INS7_6detail15normal_iteratorINS7_10device_ptrIyEEEESJ_S9_S9_S9_S9_S9_S9_S9_S9_EEEEPSB_SM_NS0_5tupleIJNSE_INS8_ISJ_NS7_16discard_iteratorINS7_11use_defaultEEES9_S9_S9_S9_S9_S9_S9_S9_EEEESB_EEENSN_IJSM_SM_EEESB_PlJNSF_9not_fun_tINSF_14equal_to_valueISA_EEEEEEE10hipError_tPvRmT3_T4_T5_T6_T7_T9_mT8_P12ihipStream_tbDpT10_ENKUlT_T0_E_clISt17integral_constantIbLb1EES1I_IbLb0EEEEDaS1E_S1F_EUlS1E_E_NS1_11comp_targetILNS1_3genE8ELNS1_11target_archE1030ELNS1_3gpuE2ELNS1_3repE0EEENS1_30default_config_static_selectorELNS0_4arch9wavefront6targetE0EEEvT1_.has_recursion, 0
	.set _ZN7rocprim17ROCPRIM_400000_NS6detail17trampoline_kernelINS0_14default_configENS1_25partition_config_selectorILNS1_17partition_subalgoE6EN6thrust23THRUST_200600_302600_NS5tupleIyyNS7_9null_typeES9_S9_S9_S9_S9_S9_S9_EENS0_10empty_typeEbEEZZNS1_14partition_implILS5_6ELb0ES3_mNS7_12zip_iteratorINS8_INS7_6detail15normal_iteratorINS7_10device_ptrIyEEEESJ_S9_S9_S9_S9_S9_S9_S9_S9_EEEEPSB_SM_NS0_5tupleIJNSE_INS8_ISJ_NS7_16discard_iteratorINS7_11use_defaultEEES9_S9_S9_S9_S9_S9_S9_S9_EEEESB_EEENSN_IJSM_SM_EEESB_PlJNSF_9not_fun_tINSF_14equal_to_valueISA_EEEEEEE10hipError_tPvRmT3_T4_T5_T6_T7_T9_mT8_P12ihipStream_tbDpT10_ENKUlT_T0_E_clISt17integral_constantIbLb1EES1I_IbLb0EEEEDaS1E_S1F_EUlS1E_E_NS1_11comp_targetILNS1_3genE8ELNS1_11target_archE1030ELNS1_3gpuE2ELNS1_3repE0EEENS1_30default_config_static_selectorELNS0_4arch9wavefront6targetE0EEEvT1_.has_indirect_call, 0
	.section	.AMDGPU.csdata,"",@progbits
; Kernel info:
; codeLenInByte = 0
; TotalNumSgprs: 0
; NumVgprs: 0
; ScratchSize: 0
; MemoryBound: 0
; FloatMode: 240
; IeeeMode: 1
; LDSByteSize: 0 bytes/workgroup (compile time only)
; SGPRBlocks: 0
; VGPRBlocks: 0
; NumSGPRsForWavesPerEU: 1
; NumVGPRsForWavesPerEU: 1
; Occupancy: 16
; WaveLimiterHint : 0
; COMPUTE_PGM_RSRC2:SCRATCH_EN: 0
; COMPUTE_PGM_RSRC2:USER_SGPR: 2
; COMPUTE_PGM_RSRC2:TRAP_HANDLER: 0
; COMPUTE_PGM_RSRC2:TGID_X_EN: 1
; COMPUTE_PGM_RSRC2:TGID_Y_EN: 0
; COMPUTE_PGM_RSRC2:TGID_Z_EN: 0
; COMPUTE_PGM_RSRC2:TIDIG_COMP_CNT: 0
	.section	.text._ZN7rocprim17ROCPRIM_400000_NS6detail17trampoline_kernelINS0_14default_configENS1_25partition_config_selectorILNS1_17partition_subalgoE6EN6thrust23THRUST_200600_302600_NS5tupleIyyNS7_9null_typeES9_S9_S9_S9_S9_S9_S9_EENS0_10empty_typeEbEEZZNS1_14partition_implILS5_6ELb0ES3_mNS7_12zip_iteratorINS8_INS7_6detail15normal_iteratorINS7_10device_ptrIyEEEESJ_S9_S9_S9_S9_S9_S9_S9_S9_EEEEPSB_SM_NS0_5tupleIJNSE_INS8_ISJ_NS7_16discard_iteratorINS7_11use_defaultEEES9_S9_S9_S9_S9_S9_S9_S9_EEEESB_EEENSN_IJSM_SM_EEESB_PlJNSF_9not_fun_tINSF_14equal_to_valueISA_EEEEEEE10hipError_tPvRmT3_T4_T5_T6_T7_T9_mT8_P12ihipStream_tbDpT10_ENKUlT_T0_E_clISt17integral_constantIbLb0EES1I_IbLb1EEEEDaS1E_S1F_EUlS1E_E_NS1_11comp_targetILNS1_3genE0ELNS1_11target_archE4294967295ELNS1_3gpuE0ELNS1_3repE0EEENS1_30default_config_static_selectorELNS0_4arch9wavefront6targetE0EEEvT1_,"axG",@progbits,_ZN7rocprim17ROCPRIM_400000_NS6detail17trampoline_kernelINS0_14default_configENS1_25partition_config_selectorILNS1_17partition_subalgoE6EN6thrust23THRUST_200600_302600_NS5tupleIyyNS7_9null_typeES9_S9_S9_S9_S9_S9_S9_EENS0_10empty_typeEbEEZZNS1_14partition_implILS5_6ELb0ES3_mNS7_12zip_iteratorINS8_INS7_6detail15normal_iteratorINS7_10device_ptrIyEEEESJ_S9_S9_S9_S9_S9_S9_S9_S9_EEEEPSB_SM_NS0_5tupleIJNSE_INS8_ISJ_NS7_16discard_iteratorINS7_11use_defaultEEES9_S9_S9_S9_S9_S9_S9_S9_EEEESB_EEENSN_IJSM_SM_EEESB_PlJNSF_9not_fun_tINSF_14equal_to_valueISA_EEEEEEE10hipError_tPvRmT3_T4_T5_T6_T7_T9_mT8_P12ihipStream_tbDpT10_ENKUlT_T0_E_clISt17integral_constantIbLb0EES1I_IbLb1EEEEDaS1E_S1F_EUlS1E_E_NS1_11comp_targetILNS1_3genE0ELNS1_11target_archE4294967295ELNS1_3gpuE0ELNS1_3repE0EEENS1_30default_config_static_selectorELNS0_4arch9wavefront6targetE0EEEvT1_,comdat
	.protected	_ZN7rocprim17ROCPRIM_400000_NS6detail17trampoline_kernelINS0_14default_configENS1_25partition_config_selectorILNS1_17partition_subalgoE6EN6thrust23THRUST_200600_302600_NS5tupleIyyNS7_9null_typeES9_S9_S9_S9_S9_S9_S9_EENS0_10empty_typeEbEEZZNS1_14partition_implILS5_6ELb0ES3_mNS7_12zip_iteratorINS8_INS7_6detail15normal_iteratorINS7_10device_ptrIyEEEESJ_S9_S9_S9_S9_S9_S9_S9_S9_EEEEPSB_SM_NS0_5tupleIJNSE_INS8_ISJ_NS7_16discard_iteratorINS7_11use_defaultEEES9_S9_S9_S9_S9_S9_S9_S9_EEEESB_EEENSN_IJSM_SM_EEESB_PlJNSF_9not_fun_tINSF_14equal_to_valueISA_EEEEEEE10hipError_tPvRmT3_T4_T5_T6_T7_T9_mT8_P12ihipStream_tbDpT10_ENKUlT_T0_E_clISt17integral_constantIbLb0EES1I_IbLb1EEEEDaS1E_S1F_EUlS1E_E_NS1_11comp_targetILNS1_3genE0ELNS1_11target_archE4294967295ELNS1_3gpuE0ELNS1_3repE0EEENS1_30default_config_static_selectorELNS0_4arch9wavefront6targetE0EEEvT1_ ; -- Begin function _ZN7rocprim17ROCPRIM_400000_NS6detail17trampoline_kernelINS0_14default_configENS1_25partition_config_selectorILNS1_17partition_subalgoE6EN6thrust23THRUST_200600_302600_NS5tupleIyyNS7_9null_typeES9_S9_S9_S9_S9_S9_S9_EENS0_10empty_typeEbEEZZNS1_14partition_implILS5_6ELb0ES3_mNS7_12zip_iteratorINS8_INS7_6detail15normal_iteratorINS7_10device_ptrIyEEEESJ_S9_S9_S9_S9_S9_S9_S9_S9_EEEEPSB_SM_NS0_5tupleIJNSE_INS8_ISJ_NS7_16discard_iteratorINS7_11use_defaultEEES9_S9_S9_S9_S9_S9_S9_S9_EEEESB_EEENSN_IJSM_SM_EEESB_PlJNSF_9not_fun_tINSF_14equal_to_valueISA_EEEEEEE10hipError_tPvRmT3_T4_T5_T6_T7_T9_mT8_P12ihipStream_tbDpT10_ENKUlT_T0_E_clISt17integral_constantIbLb0EES1I_IbLb1EEEEDaS1E_S1F_EUlS1E_E_NS1_11comp_targetILNS1_3genE0ELNS1_11target_archE4294967295ELNS1_3gpuE0ELNS1_3repE0EEENS1_30default_config_static_selectorELNS0_4arch9wavefront6targetE0EEEvT1_
	.globl	_ZN7rocprim17ROCPRIM_400000_NS6detail17trampoline_kernelINS0_14default_configENS1_25partition_config_selectorILNS1_17partition_subalgoE6EN6thrust23THRUST_200600_302600_NS5tupleIyyNS7_9null_typeES9_S9_S9_S9_S9_S9_S9_EENS0_10empty_typeEbEEZZNS1_14partition_implILS5_6ELb0ES3_mNS7_12zip_iteratorINS8_INS7_6detail15normal_iteratorINS7_10device_ptrIyEEEESJ_S9_S9_S9_S9_S9_S9_S9_S9_EEEEPSB_SM_NS0_5tupleIJNSE_INS8_ISJ_NS7_16discard_iteratorINS7_11use_defaultEEES9_S9_S9_S9_S9_S9_S9_S9_EEEESB_EEENSN_IJSM_SM_EEESB_PlJNSF_9not_fun_tINSF_14equal_to_valueISA_EEEEEEE10hipError_tPvRmT3_T4_T5_T6_T7_T9_mT8_P12ihipStream_tbDpT10_ENKUlT_T0_E_clISt17integral_constantIbLb0EES1I_IbLb1EEEEDaS1E_S1F_EUlS1E_E_NS1_11comp_targetILNS1_3genE0ELNS1_11target_archE4294967295ELNS1_3gpuE0ELNS1_3repE0EEENS1_30default_config_static_selectorELNS0_4arch9wavefront6targetE0EEEvT1_
	.p2align	8
	.type	_ZN7rocprim17ROCPRIM_400000_NS6detail17trampoline_kernelINS0_14default_configENS1_25partition_config_selectorILNS1_17partition_subalgoE6EN6thrust23THRUST_200600_302600_NS5tupleIyyNS7_9null_typeES9_S9_S9_S9_S9_S9_S9_EENS0_10empty_typeEbEEZZNS1_14partition_implILS5_6ELb0ES3_mNS7_12zip_iteratorINS8_INS7_6detail15normal_iteratorINS7_10device_ptrIyEEEESJ_S9_S9_S9_S9_S9_S9_S9_S9_EEEEPSB_SM_NS0_5tupleIJNSE_INS8_ISJ_NS7_16discard_iteratorINS7_11use_defaultEEES9_S9_S9_S9_S9_S9_S9_S9_EEEESB_EEENSN_IJSM_SM_EEESB_PlJNSF_9not_fun_tINSF_14equal_to_valueISA_EEEEEEE10hipError_tPvRmT3_T4_T5_T6_T7_T9_mT8_P12ihipStream_tbDpT10_ENKUlT_T0_E_clISt17integral_constantIbLb0EES1I_IbLb1EEEEDaS1E_S1F_EUlS1E_E_NS1_11comp_targetILNS1_3genE0ELNS1_11target_archE4294967295ELNS1_3gpuE0ELNS1_3repE0EEENS1_30default_config_static_selectorELNS0_4arch9wavefront6targetE0EEEvT1_,@function
_ZN7rocprim17ROCPRIM_400000_NS6detail17trampoline_kernelINS0_14default_configENS1_25partition_config_selectorILNS1_17partition_subalgoE6EN6thrust23THRUST_200600_302600_NS5tupleIyyNS7_9null_typeES9_S9_S9_S9_S9_S9_S9_EENS0_10empty_typeEbEEZZNS1_14partition_implILS5_6ELb0ES3_mNS7_12zip_iteratorINS8_INS7_6detail15normal_iteratorINS7_10device_ptrIyEEEESJ_S9_S9_S9_S9_S9_S9_S9_S9_EEEEPSB_SM_NS0_5tupleIJNSE_INS8_ISJ_NS7_16discard_iteratorINS7_11use_defaultEEES9_S9_S9_S9_S9_S9_S9_S9_EEEESB_EEENSN_IJSM_SM_EEESB_PlJNSF_9not_fun_tINSF_14equal_to_valueISA_EEEEEEE10hipError_tPvRmT3_T4_T5_T6_T7_T9_mT8_P12ihipStream_tbDpT10_ENKUlT_T0_E_clISt17integral_constantIbLb0EES1I_IbLb1EEEEDaS1E_S1F_EUlS1E_E_NS1_11comp_targetILNS1_3genE0ELNS1_11target_archE4294967295ELNS1_3gpuE0ELNS1_3repE0EEENS1_30default_config_static_selectorELNS0_4arch9wavefront6targetE0EEEvT1_: ; @_ZN7rocprim17ROCPRIM_400000_NS6detail17trampoline_kernelINS0_14default_configENS1_25partition_config_selectorILNS1_17partition_subalgoE6EN6thrust23THRUST_200600_302600_NS5tupleIyyNS7_9null_typeES9_S9_S9_S9_S9_S9_S9_EENS0_10empty_typeEbEEZZNS1_14partition_implILS5_6ELb0ES3_mNS7_12zip_iteratorINS8_INS7_6detail15normal_iteratorINS7_10device_ptrIyEEEESJ_S9_S9_S9_S9_S9_S9_S9_S9_EEEEPSB_SM_NS0_5tupleIJNSE_INS8_ISJ_NS7_16discard_iteratorINS7_11use_defaultEEES9_S9_S9_S9_S9_S9_S9_S9_EEEESB_EEENSN_IJSM_SM_EEESB_PlJNSF_9not_fun_tINSF_14equal_to_valueISA_EEEEEEE10hipError_tPvRmT3_T4_T5_T6_T7_T9_mT8_P12ihipStream_tbDpT10_ENKUlT_T0_E_clISt17integral_constantIbLb0EES1I_IbLb1EEEEDaS1E_S1F_EUlS1E_E_NS1_11comp_targetILNS1_3genE0ELNS1_11target_archE4294967295ELNS1_3gpuE0ELNS1_3repE0EEENS1_30default_config_static_selectorELNS0_4arch9wavefront6targetE0EEEvT1_
; %bb.0:
	.section	.rodata,"a",@progbits
	.p2align	6, 0x0
	.amdhsa_kernel _ZN7rocprim17ROCPRIM_400000_NS6detail17trampoline_kernelINS0_14default_configENS1_25partition_config_selectorILNS1_17partition_subalgoE6EN6thrust23THRUST_200600_302600_NS5tupleIyyNS7_9null_typeES9_S9_S9_S9_S9_S9_S9_EENS0_10empty_typeEbEEZZNS1_14partition_implILS5_6ELb0ES3_mNS7_12zip_iteratorINS8_INS7_6detail15normal_iteratorINS7_10device_ptrIyEEEESJ_S9_S9_S9_S9_S9_S9_S9_S9_EEEEPSB_SM_NS0_5tupleIJNSE_INS8_ISJ_NS7_16discard_iteratorINS7_11use_defaultEEES9_S9_S9_S9_S9_S9_S9_S9_EEEESB_EEENSN_IJSM_SM_EEESB_PlJNSF_9not_fun_tINSF_14equal_to_valueISA_EEEEEEE10hipError_tPvRmT3_T4_T5_T6_T7_T9_mT8_P12ihipStream_tbDpT10_ENKUlT_T0_E_clISt17integral_constantIbLb0EES1I_IbLb1EEEEDaS1E_S1F_EUlS1E_E_NS1_11comp_targetILNS1_3genE0ELNS1_11target_archE4294967295ELNS1_3gpuE0ELNS1_3repE0EEENS1_30default_config_static_selectorELNS0_4arch9wavefront6targetE0EEEvT1_
		.amdhsa_group_segment_fixed_size 0
		.amdhsa_private_segment_fixed_size 0
		.amdhsa_kernarg_size 160
		.amdhsa_user_sgpr_count 2
		.amdhsa_user_sgpr_dispatch_ptr 0
		.amdhsa_user_sgpr_queue_ptr 0
		.amdhsa_user_sgpr_kernarg_segment_ptr 1
		.amdhsa_user_sgpr_dispatch_id 0
		.amdhsa_user_sgpr_private_segment_size 0
		.amdhsa_wavefront_size32 1
		.amdhsa_uses_dynamic_stack 0
		.amdhsa_enable_private_segment 0
		.amdhsa_system_sgpr_workgroup_id_x 1
		.amdhsa_system_sgpr_workgroup_id_y 0
		.amdhsa_system_sgpr_workgroup_id_z 0
		.amdhsa_system_sgpr_workgroup_info 0
		.amdhsa_system_vgpr_workitem_id 0
		.amdhsa_next_free_vgpr 1
		.amdhsa_next_free_sgpr 1
		.amdhsa_reserve_vcc 0
		.amdhsa_float_round_mode_32 0
		.amdhsa_float_round_mode_16_64 0
		.amdhsa_float_denorm_mode_32 3
		.amdhsa_float_denorm_mode_16_64 3
		.amdhsa_fp16_overflow 0
		.amdhsa_workgroup_processor_mode 1
		.amdhsa_memory_ordered 1
		.amdhsa_forward_progress 1
		.amdhsa_inst_pref_size 0
		.amdhsa_round_robin_scheduling 0
		.amdhsa_exception_fp_ieee_invalid_op 0
		.amdhsa_exception_fp_denorm_src 0
		.amdhsa_exception_fp_ieee_div_zero 0
		.amdhsa_exception_fp_ieee_overflow 0
		.amdhsa_exception_fp_ieee_underflow 0
		.amdhsa_exception_fp_ieee_inexact 0
		.amdhsa_exception_int_div_zero 0
	.end_amdhsa_kernel
	.section	.text._ZN7rocprim17ROCPRIM_400000_NS6detail17trampoline_kernelINS0_14default_configENS1_25partition_config_selectorILNS1_17partition_subalgoE6EN6thrust23THRUST_200600_302600_NS5tupleIyyNS7_9null_typeES9_S9_S9_S9_S9_S9_S9_EENS0_10empty_typeEbEEZZNS1_14partition_implILS5_6ELb0ES3_mNS7_12zip_iteratorINS8_INS7_6detail15normal_iteratorINS7_10device_ptrIyEEEESJ_S9_S9_S9_S9_S9_S9_S9_S9_EEEEPSB_SM_NS0_5tupleIJNSE_INS8_ISJ_NS7_16discard_iteratorINS7_11use_defaultEEES9_S9_S9_S9_S9_S9_S9_S9_EEEESB_EEENSN_IJSM_SM_EEESB_PlJNSF_9not_fun_tINSF_14equal_to_valueISA_EEEEEEE10hipError_tPvRmT3_T4_T5_T6_T7_T9_mT8_P12ihipStream_tbDpT10_ENKUlT_T0_E_clISt17integral_constantIbLb0EES1I_IbLb1EEEEDaS1E_S1F_EUlS1E_E_NS1_11comp_targetILNS1_3genE0ELNS1_11target_archE4294967295ELNS1_3gpuE0ELNS1_3repE0EEENS1_30default_config_static_selectorELNS0_4arch9wavefront6targetE0EEEvT1_,"axG",@progbits,_ZN7rocprim17ROCPRIM_400000_NS6detail17trampoline_kernelINS0_14default_configENS1_25partition_config_selectorILNS1_17partition_subalgoE6EN6thrust23THRUST_200600_302600_NS5tupleIyyNS7_9null_typeES9_S9_S9_S9_S9_S9_S9_EENS0_10empty_typeEbEEZZNS1_14partition_implILS5_6ELb0ES3_mNS7_12zip_iteratorINS8_INS7_6detail15normal_iteratorINS7_10device_ptrIyEEEESJ_S9_S9_S9_S9_S9_S9_S9_S9_EEEEPSB_SM_NS0_5tupleIJNSE_INS8_ISJ_NS7_16discard_iteratorINS7_11use_defaultEEES9_S9_S9_S9_S9_S9_S9_S9_EEEESB_EEENSN_IJSM_SM_EEESB_PlJNSF_9not_fun_tINSF_14equal_to_valueISA_EEEEEEE10hipError_tPvRmT3_T4_T5_T6_T7_T9_mT8_P12ihipStream_tbDpT10_ENKUlT_T0_E_clISt17integral_constantIbLb0EES1I_IbLb1EEEEDaS1E_S1F_EUlS1E_E_NS1_11comp_targetILNS1_3genE0ELNS1_11target_archE4294967295ELNS1_3gpuE0ELNS1_3repE0EEENS1_30default_config_static_selectorELNS0_4arch9wavefront6targetE0EEEvT1_,comdat
.Lfunc_end1909:
	.size	_ZN7rocprim17ROCPRIM_400000_NS6detail17trampoline_kernelINS0_14default_configENS1_25partition_config_selectorILNS1_17partition_subalgoE6EN6thrust23THRUST_200600_302600_NS5tupleIyyNS7_9null_typeES9_S9_S9_S9_S9_S9_S9_EENS0_10empty_typeEbEEZZNS1_14partition_implILS5_6ELb0ES3_mNS7_12zip_iteratorINS8_INS7_6detail15normal_iteratorINS7_10device_ptrIyEEEESJ_S9_S9_S9_S9_S9_S9_S9_S9_EEEEPSB_SM_NS0_5tupleIJNSE_INS8_ISJ_NS7_16discard_iteratorINS7_11use_defaultEEES9_S9_S9_S9_S9_S9_S9_S9_EEEESB_EEENSN_IJSM_SM_EEESB_PlJNSF_9not_fun_tINSF_14equal_to_valueISA_EEEEEEE10hipError_tPvRmT3_T4_T5_T6_T7_T9_mT8_P12ihipStream_tbDpT10_ENKUlT_T0_E_clISt17integral_constantIbLb0EES1I_IbLb1EEEEDaS1E_S1F_EUlS1E_E_NS1_11comp_targetILNS1_3genE0ELNS1_11target_archE4294967295ELNS1_3gpuE0ELNS1_3repE0EEENS1_30default_config_static_selectorELNS0_4arch9wavefront6targetE0EEEvT1_, .Lfunc_end1909-_ZN7rocprim17ROCPRIM_400000_NS6detail17trampoline_kernelINS0_14default_configENS1_25partition_config_selectorILNS1_17partition_subalgoE6EN6thrust23THRUST_200600_302600_NS5tupleIyyNS7_9null_typeES9_S9_S9_S9_S9_S9_S9_EENS0_10empty_typeEbEEZZNS1_14partition_implILS5_6ELb0ES3_mNS7_12zip_iteratorINS8_INS7_6detail15normal_iteratorINS7_10device_ptrIyEEEESJ_S9_S9_S9_S9_S9_S9_S9_S9_EEEEPSB_SM_NS0_5tupleIJNSE_INS8_ISJ_NS7_16discard_iteratorINS7_11use_defaultEEES9_S9_S9_S9_S9_S9_S9_S9_EEEESB_EEENSN_IJSM_SM_EEESB_PlJNSF_9not_fun_tINSF_14equal_to_valueISA_EEEEEEE10hipError_tPvRmT3_T4_T5_T6_T7_T9_mT8_P12ihipStream_tbDpT10_ENKUlT_T0_E_clISt17integral_constantIbLb0EES1I_IbLb1EEEEDaS1E_S1F_EUlS1E_E_NS1_11comp_targetILNS1_3genE0ELNS1_11target_archE4294967295ELNS1_3gpuE0ELNS1_3repE0EEENS1_30default_config_static_selectorELNS0_4arch9wavefront6targetE0EEEvT1_
                                        ; -- End function
	.set _ZN7rocprim17ROCPRIM_400000_NS6detail17trampoline_kernelINS0_14default_configENS1_25partition_config_selectorILNS1_17partition_subalgoE6EN6thrust23THRUST_200600_302600_NS5tupleIyyNS7_9null_typeES9_S9_S9_S9_S9_S9_S9_EENS0_10empty_typeEbEEZZNS1_14partition_implILS5_6ELb0ES3_mNS7_12zip_iteratorINS8_INS7_6detail15normal_iteratorINS7_10device_ptrIyEEEESJ_S9_S9_S9_S9_S9_S9_S9_S9_EEEEPSB_SM_NS0_5tupleIJNSE_INS8_ISJ_NS7_16discard_iteratorINS7_11use_defaultEEES9_S9_S9_S9_S9_S9_S9_S9_EEEESB_EEENSN_IJSM_SM_EEESB_PlJNSF_9not_fun_tINSF_14equal_to_valueISA_EEEEEEE10hipError_tPvRmT3_T4_T5_T6_T7_T9_mT8_P12ihipStream_tbDpT10_ENKUlT_T0_E_clISt17integral_constantIbLb0EES1I_IbLb1EEEEDaS1E_S1F_EUlS1E_E_NS1_11comp_targetILNS1_3genE0ELNS1_11target_archE4294967295ELNS1_3gpuE0ELNS1_3repE0EEENS1_30default_config_static_selectorELNS0_4arch9wavefront6targetE0EEEvT1_.num_vgpr, 0
	.set _ZN7rocprim17ROCPRIM_400000_NS6detail17trampoline_kernelINS0_14default_configENS1_25partition_config_selectorILNS1_17partition_subalgoE6EN6thrust23THRUST_200600_302600_NS5tupleIyyNS7_9null_typeES9_S9_S9_S9_S9_S9_S9_EENS0_10empty_typeEbEEZZNS1_14partition_implILS5_6ELb0ES3_mNS7_12zip_iteratorINS8_INS7_6detail15normal_iteratorINS7_10device_ptrIyEEEESJ_S9_S9_S9_S9_S9_S9_S9_S9_EEEEPSB_SM_NS0_5tupleIJNSE_INS8_ISJ_NS7_16discard_iteratorINS7_11use_defaultEEES9_S9_S9_S9_S9_S9_S9_S9_EEEESB_EEENSN_IJSM_SM_EEESB_PlJNSF_9not_fun_tINSF_14equal_to_valueISA_EEEEEEE10hipError_tPvRmT3_T4_T5_T6_T7_T9_mT8_P12ihipStream_tbDpT10_ENKUlT_T0_E_clISt17integral_constantIbLb0EES1I_IbLb1EEEEDaS1E_S1F_EUlS1E_E_NS1_11comp_targetILNS1_3genE0ELNS1_11target_archE4294967295ELNS1_3gpuE0ELNS1_3repE0EEENS1_30default_config_static_selectorELNS0_4arch9wavefront6targetE0EEEvT1_.num_agpr, 0
	.set _ZN7rocprim17ROCPRIM_400000_NS6detail17trampoline_kernelINS0_14default_configENS1_25partition_config_selectorILNS1_17partition_subalgoE6EN6thrust23THRUST_200600_302600_NS5tupleIyyNS7_9null_typeES9_S9_S9_S9_S9_S9_S9_EENS0_10empty_typeEbEEZZNS1_14partition_implILS5_6ELb0ES3_mNS7_12zip_iteratorINS8_INS7_6detail15normal_iteratorINS7_10device_ptrIyEEEESJ_S9_S9_S9_S9_S9_S9_S9_S9_EEEEPSB_SM_NS0_5tupleIJNSE_INS8_ISJ_NS7_16discard_iteratorINS7_11use_defaultEEES9_S9_S9_S9_S9_S9_S9_S9_EEEESB_EEENSN_IJSM_SM_EEESB_PlJNSF_9not_fun_tINSF_14equal_to_valueISA_EEEEEEE10hipError_tPvRmT3_T4_T5_T6_T7_T9_mT8_P12ihipStream_tbDpT10_ENKUlT_T0_E_clISt17integral_constantIbLb0EES1I_IbLb1EEEEDaS1E_S1F_EUlS1E_E_NS1_11comp_targetILNS1_3genE0ELNS1_11target_archE4294967295ELNS1_3gpuE0ELNS1_3repE0EEENS1_30default_config_static_selectorELNS0_4arch9wavefront6targetE0EEEvT1_.numbered_sgpr, 0
	.set _ZN7rocprim17ROCPRIM_400000_NS6detail17trampoline_kernelINS0_14default_configENS1_25partition_config_selectorILNS1_17partition_subalgoE6EN6thrust23THRUST_200600_302600_NS5tupleIyyNS7_9null_typeES9_S9_S9_S9_S9_S9_S9_EENS0_10empty_typeEbEEZZNS1_14partition_implILS5_6ELb0ES3_mNS7_12zip_iteratorINS8_INS7_6detail15normal_iteratorINS7_10device_ptrIyEEEESJ_S9_S9_S9_S9_S9_S9_S9_S9_EEEEPSB_SM_NS0_5tupleIJNSE_INS8_ISJ_NS7_16discard_iteratorINS7_11use_defaultEEES9_S9_S9_S9_S9_S9_S9_S9_EEEESB_EEENSN_IJSM_SM_EEESB_PlJNSF_9not_fun_tINSF_14equal_to_valueISA_EEEEEEE10hipError_tPvRmT3_T4_T5_T6_T7_T9_mT8_P12ihipStream_tbDpT10_ENKUlT_T0_E_clISt17integral_constantIbLb0EES1I_IbLb1EEEEDaS1E_S1F_EUlS1E_E_NS1_11comp_targetILNS1_3genE0ELNS1_11target_archE4294967295ELNS1_3gpuE0ELNS1_3repE0EEENS1_30default_config_static_selectorELNS0_4arch9wavefront6targetE0EEEvT1_.num_named_barrier, 0
	.set _ZN7rocprim17ROCPRIM_400000_NS6detail17trampoline_kernelINS0_14default_configENS1_25partition_config_selectorILNS1_17partition_subalgoE6EN6thrust23THRUST_200600_302600_NS5tupleIyyNS7_9null_typeES9_S9_S9_S9_S9_S9_S9_EENS0_10empty_typeEbEEZZNS1_14partition_implILS5_6ELb0ES3_mNS7_12zip_iteratorINS8_INS7_6detail15normal_iteratorINS7_10device_ptrIyEEEESJ_S9_S9_S9_S9_S9_S9_S9_S9_EEEEPSB_SM_NS0_5tupleIJNSE_INS8_ISJ_NS7_16discard_iteratorINS7_11use_defaultEEES9_S9_S9_S9_S9_S9_S9_S9_EEEESB_EEENSN_IJSM_SM_EEESB_PlJNSF_9not_fun_tINSF_14equal_to_valueISA_EEEEEEE10hipError_tPvRmT3_T4_T5_T6_T7_T9_mT8_P12ihipStream_tbDpT10_ENKUlT_T0_E_clISt17integral_constantIbLb0EES1I_IbLb1EEEEDaS1E_S1F_EUlS1E_E_NS1_11comp_targetILNS1_3genE0ELNS1_11target_archE4294967295ELNS1_3gpuE0ELNS1_3repE0EEENS1_30default_config_static_selectorELNS0_4arch9wavefront6targetE0EEEvT1_.private_seg_size, 0
	.set _ZN7rocprim17ROCPRIM_400000_NS6detail17trampoline_kernelINS0_14default_configENS1_25partition_config_selectorILNS1_17partition_subalgoE6EN6thrust23THRUST_200600_302600_NS5tupleIyyNS7_9null_typeES9_S9_S9_S9_S9_S9_S9_EENS0_10empty_typeEbEEZZNS1_14partition_implILS5_6ELb0ES3_mNS7_12zip_iteratorINS8_INS7_6detail15normal_iteratorINS7_10device_ptrIyEEEESJ_S9_S9_S9_S9_S9_S9_S9_S9_EEEEPSB_SM_NS0_5tupleIJNSE_INS8_ISJ_NS7_16discard_iteratorINS7_11use_defaultEEES9_S9_S9_S9_S9_S9_S9_S9_EEEESB_EEENSN_IJSM_SM_EEESB_PlJNSF_9not_fun_tINSF_14equal_to_valueISA_EEEEEEE10hipError_tPvRmT3_T4_T5_T6_T7_T9_mT8_P12ihipStream_tbDpT10_ENKUlT_T0_E_clISt17integral_constantIbLb0EES1I_IbLb1EEEEDaS1E_S1F_EUlS1E_E_NS1_11comp_targetILNS1_3genE0ELNS1_11target_archE4294967295ELNS1_3gpuE0ELNS1_3repE0EEENS1_30default_config_static_selectorELNS0_4arch9wavefront6targetE0EEEvT1_.uses_vcc, 0
	.set _ZN7rocprim17ROCPRIM_400000_NS6detail17trampoline_kernelINS0_14default_configENS1_25partition_config_selectorILNS1_17partition_subalgoE6EN6thrust23THRUST_200600_302600_NS5tupleIyyNS7_9null_typeES9_S9_S9_S9_S9_S9_S9_EENS0_10empty_typeEbEEZZNS1_14partition_implILS5_6ELb0ES3_mNS7_12zip_iteratorINS8_INS7_6detail15normal_iteratorINS7_10device_ptrIyEEEESJ_S9_S9_S9_S9_S9_S9_S9_S9_EEEEPSB_SM_NS0_5tupleIJNSE_INS8_ISJ_NS7_16discard_iteratorINS7_11use_defaultEEES9_S9_S9_S9_S9_S9_S9_S9_EEEESB_EEENSN_IJSM_SM_EEESB_PlJNSF_9not_fun_tINSF_14equal_to_valueISA_EEEEEEE10hipError_tPvRmT3_T4_T5_T6_T7_T9_mT8_P12ihipStream_tbDpT10_ENKUlT_T0_E_clISt17integral_constantIbLb0EES1I_IbLb1EEEEDaS1E_S1F_EUlS1E_E_NS1_11comp_targetILNS1_3genE0ELNS1_11target_archE4294967295ELNS1_3gpuE0ELNS1_3repE0EEENS1_30default_config_static_selectorELNS0_4arch9wavefront6targetE0EEEvT1_.uses_flat_scratch, 0
	.set _ZN7rocprim17ROCPRIM_400000_NS6detail17trampoline_kernelINS0_14default_configENS1_25partition_config_selectorILNS1_17partition_subalgoE6EN6thrust23THRUST_200600_302600_NS5tupleIyyNS7_9null_typeES9_S9_S9_S9_S9_S9_S9_EENS0_10empty_typeEbEEZZNS1_14partition_implILS5_6ELb0ES3_mNS7_12zip_iteratorINS8_INS7_6detail15normal_iteratorINS7_10device_ptrIyEEEESJ_S9_S9_S9_S9_S9_S9_S9_S9_EEEEPSB_SM_NS0_5tupleIJNSE_INS8_ISJ_NS7_16discard_iteratorINS7_11use_defaultEEES9_S9_S9_S9_S9_S9_S9_S9_EEEESB_EEENSN_IJSM_SM_EEESB_PlJNSF_9not_fun_tINSF_14equal_to_valueISA_EEEEEEE10hipError_tPvRmT3_T4_T5_T6_T7_T9_mT8_P12ihipStream_tbDpT10_ENKUlT_T0_E_clISt17integral_constantIbLb0EES1I_IbLb1EEEEDaS1E_S1F_EUlS1E_E_NS1_11comp_targetILNS1_3genE0ELNS1_11target_archE4294967295ELNS1_3gpuE0ELNS1_3repE0EEENS1_30default_config_static_selectorELNS0_4arch9wavefront6targetE0EEEvT1_.has_dyn_sized_stack, 0
	.set _ZN7rocprim17ROCPRIM_400000_NS6detail17trampoline_kernelINS0_14default_configENS1_25partition_config_selectorILNS1_17partition_subalgoE6EN6thrust23THRUST_200600_302600_NS5tupleIyyNS7_9null_typeES9_S9_S9_S9_S9_S9_S9_EENS0_10empty_typeEbEEZZNS1_14partition_implILS5_6ELb0ES3_mNS7_12zip_iteratorINS8_INS7_6detail15normal_iteratorINS7_10device_ptrIyEEEESJ_S9_S9_S9_S9_S9_S9_S9_S9_EEEEPSB_SM_NS0_5tupleIJNSE_INS8_ISJ_NS7_16discard_iteratorINS7_11use_defaultEEES9_S9_S9_S9_S9_S9_S9_S9_EEEESB_EEENSN_IJSM_SM_EEESB_PlJNSF_9not_fun_tINSF_14equal_to_valueISA_EEEEEEE10hipError_tPvRmT3_T4_T5_T6_T7_T9_mT8_P12ihipStream_tbDpT10_ENKUlT_T0_E_clISt17integral_constantIbLb0EES1I_IbLb1EEEEDaS1E_S1F_EUlS1E_E_NS1_11comp_targetILNS1_3genE0ELNS1_11target_archE4294967295ELNS1_3gpuE0ELNS1_3repE0EEENS1_30default_config_static_selectorELNS0_4arch9wavefront6targetE0EEEvT1_.has_recursion, 0
	.set _ZN7rocprim17ROCPRIM_400000_NS6detail17trampoline_kernelINS0_14default_configENS1_25partition_config_selectorILNS1_17partition_subalgoE6EN6thrust23THRUST_200600_302600_NS5tupleIyyNS7_9null_typeES9_S9_S9_S9_S9_S9_S9_EENS0_10empty_typeEbEEZZNS1_14partition_implILS5_6ELb0ES3_mNS7_12zip_iteratorINS8_INS7_6detail15normal_iteratorINS7_10device_ptrIyEEEESJ_S9_S9_S9_S9_S9_S9_S9_S9_EEEEPSB_SM_NS0_5tupleIJNSE_INS8_ISJ_NS7_16discard_iteratorINS7_11use_defaultEEES9_S9_S9_S9_S9_S9_S9_S9_EEEESB_EEENSN_IJSM_SM_EEESB_PlJNSF_9not_fun_tINSF_14equal_to_valueISA_EEEEEEE10hipError_tPvRmT3_T4_T5_T6_T7_T9_mT8_P12ihipStream_tbDpT10_ENKUlT_T0_E_clISt17integral_constantIbLb0EES1I_IbLb1EEEEDaS1E_S1F_EUlS1E_E_NS1_11comp_targetILNS1_3genE0ELNS1_11target_archE4294967295ELNS1_3gpuE0ELNS1_3repE0EEENS1_30default_config_static_selectorELNS0_4arch9wavefront6targetE0EEEvT1_.has_indirect_call, 0
	.section	.AMDGPU.csdata,"",@progbits
; Kernel info:
; codeLenInByte = 0
; TotalNumSgprs: 0
; NumVgprs: 0
; ScratchSize: 0
; MemoryBound: 0
; FloatMode: 240
; IeeeMode: 1
; LDSByteSize: 0 bytes/workgroup (compile time only)
; SGPRBlocks: 0
; VGPRBlocks: 0
; NumSGPRsForWavesPerEU: 1
; NumVGPRsForWavesPerEU: 1
; Occupancy: 16
; WaveLimiterHint : 0
; COMPUTE_PGM_RSRC2:SCRATCH_EN: 0
; COMPUTE_PGM_RSRC2:USER_SGPR: 2
; COMPUTE_PGM_RSRC2:TRAP_HANDLER: 0
; COMPUTE_PGM_RSRC2:TGID_X_EN: 1
; COMPUTE_PGM_RSRC2:TGID_Y_EN: 0
; COMPUTE_PGM_RSRC2:TGID_Z_EN: 0
; COMPUTE_PGM_RSRC2:TIDIG_COMP_CNT: 0
	.section	.text._ZN7rocprim17ROCPRIM_400000_NS6detail17trampoline_kernelINS0_14default_configENS1_25partition_config_selectorILNS1_17partition_subalgoE6EN6thrust23THRUST_200600_302600_NS5tupleIyyNS7_9null_typeES9_S9_S9_S9_S9_S9_S9_EENS0_10empty_typeEbEEZZNS1_14partition_implILS5_6ELb0ES3_mNS7_12zip_iteratorINS8_INS7_6detail15normal_iteratorINS7_10device_ptrIyEEEESJ_S9_S9_S9_S9_S9_S9_S9_S9_EEEEPSB_SM_NS0_5tupleIJNSE_INS8_ISJ_NS7_16discard_iteratorINS7_11use_defaultEEES9_S9_S9_S9_S9_S9_S9_S9_EEEESB_EEENSN_IJSM_SM_EEESB_PlJNSF_9not_fun_tINSF_14equal_to_valueISA_EEEEEEE10hipError_tPvRmT3_T4_T5_T6_T7_T9_mT8_P12ihipStream_tbDpT10_ENKUlT_T0_E_clISt17integral_constantIbLb0EES1I_IbLb1EEEEDaS1E_S1F_EUlS1E_E_NS1_11comp_targetILNS1_3genE5ELNS1_11target_archE942ELNS1_3gpuE9ELNS1_3repE0EEENS1_30default_config_static_selectorELNS0_4arch9wavefront6targetE0EEEvT1_,"axG",@progbits,_ZN7rocprim17ROCPRIM_400000_NS6detail17trampoline_kernelINS0_14default_configENS1_25partition_config_selectorILNS1_17partition_subalgoE6EN6thrust23THRUST_200600_302600_NS5tupleIyyNS7_9null_typeES9_S9_S9_S9_S9_S9_S9_EENS0_10empty_typeEbEEZZNS1_14partition_implILS5_6ELb0ES3_mNS7_12zip_iteratorINS8_INS7_6detail15normal_iteratorINS7_10device_ptrIyEEEESJ_S9_S9_S9_S9_S9_S9_S9_S9_EEEEPSB_SM_NS0_5tupleIJNSE_INS8_ISJ_NS7_16discard_iteratorINS7_11use_defaultEEES9_S9_S9_S9_S9_S9_S9_S9_EEEESB_EEENSN_IJSM_SM_EEESB_PlJNSF_9not_fun_tINSF_14equal_to_valueISA_EEEEEEE10hipError_tPvRmT3_T4_T5_T6_T7_T9_mT8_P12ihipStream_tbDpT10_ENKUlT_T0_E_clISt17integral_constantIbLb0EES1I_IbLb1EEEEDaS1E_S1F_EUlS1E_E_NS1_11comp_targetILNS1_3genE5ELNS1_11target_archE942ELNS1_3gpuE9ELNS1_3repE0EEENS1_30default_config_static_selectorELNS0_4arch9wavefront6targetE0EEEvT1_,comdat
	.protected	_ZN7rocprim17ROCPRIM_400000_NS6detail17trampoline_kernelINS0_14default_configENS1_25partition_config_selectorILNS1_17partition_subalgoE6EN6thrust23THRUST_200600_302600_NS5tupleIyyNS7_9null_typeES9_S9_S9_S9_S9_S9_S9_EENS0_10empty_typeEbEEZZNS1_14partition_implILS5_6ELb0ES3_mNS7_12zip_iteratorINS8_INS7_6detail15normal_iteratorINS7_10device_ptrIyEEEESJ_S9_S9_S9_S9_S9_S9_S9_S9_EEEEPSB_SM_NS0_5tupleIJNSE_INS8_ISJ_NS7_16discard_iteratorINS7_11use_defaultEEES9_S9_S9_S9_S9_S9_S9_S9_EEEESB_EEENSN_IJSM_SM_EEESB_PlJNSF_9not_fun_tINSF_14equal_to_valueISA_EEEEEEE10hipError_tPvRmT3_T4_T5_T6_T7_T9_mT8_P12ihipStream_tbDpT10_ENKUlT_T0_E_clISt17integral_constantIbLb0EES1I_IbLb1EEEEDaS1E_S1F_EUlS1E_E_NS1_11comp_targetILNS1_3genE5ELNS1_11target_archE942ELNS1_3gpuE9ELNS1_3repE0EEENS1_30default_config_static_selectorELNS0_4arch9wavefront6targetE0EEEvT1_ ; -- Begin function _ZN7rocprim17ROCPRIM_400000_NS6detail17trampoline_kernelINS0_14default_configENS1_25partition_config_selectorILNS1_17partition_subalgoE6EN6thrust23THRUST_200600_302600_NS5tupleIyyNS7_9null_typeES9_S9_S9_S9_S9_S9_S9_EENS0_10empty_typeEbEEZZNS1_14partition_implILS5_6ELb0ES3_mNS7_12zip_iteratorINS8_INS7_6detail15normal_iteratorINS7_10device_ptrIyEEEESJ_S9_S9_S9_S9_S9_S9_S9_S9_EEEEPSB_SM_NS0_5tupleIJNSE_INS8_ISJ_NS7_16discard_iteratorINS7_11use_defaultEEES9_S9_S9_S9_S9_S9_S9_S9_EEEESB_EEENSN_IJSM_SM_EEESB_PlJNSF_9not_fun_tINSF_14equal_to_valueISA_EEEEEEE10hipError_tPvRmT3_T4_T5_T6_T7_T9_mT8_P12ihipStream_tbDpT10_ENKUlT_T0_E_clISt17integral_constantIbLb0EES1I_IbLb1EEEEDaS1E_S1F_EUlS1E_E_NS1_11comp_targetILNS1_3genE5ELNS1_11target_archE942ELNS1_3gpuE9ELNS1_3repE0EEENS1_30default_config_static_selectorELNS0_4arch9wavefront6targetE0EEEvT1_
	.globl	_ZN7rocprim17ROCPRIM_400000_NS6detail17trampoline_kernelINS0_14default_configENS1_25partition_config_selectorILNS1_17partition_subalgoE6EN6thrust23THRUST_200600_302600_NS5tupleIyyNS7_9null_typeES9_S9_S9_S9_S9_S9_S9_EENS0_10empty_typeEbEEZZNS1_14partition_implILS5_6ELb0ES3_mNS7_12zip_iteratorINS8_INS7_6detail15normal_iteratorINS7_10device_ptrIyEEEESJ_S9_S9_S9_S9_S9_S9_S9_S9_EEEEPSB_SM_NS0_5tupleIJNSE_INS8_ISJ_NS7_16discard_iteratorINS7_11use_defaultEEES9_S9_S9_S9_S9_S9_S9_S9_EEEESB_EEENSN_IJSM_SM_EEESB_PlJNSF_9not_fun_tINSF_14equal_to_valueISA_EEEEEEE10hipError_tPvRmT3_T4_T5_T6_T7_T9_mT8_P12ihipStream_tbDpT10_ENKUlT_T0_E_clISt17integral_constantIbLb0EES1I_IbLb1EEEEDaS1E_S1F_EUlS1E_E_NS1_11comp_targetILNS1_3genE5ELNS1_11target_archE942ELNS1_3gpuE9ELNS1_3repE0EEENS1_30default_config_static_selectorELNS0_4arch9wavefront6targetE0EEEvT1_
	.p2align	8
	.type	_ZN7rocprim17ROCPRIM_400000_NS6detail17trampoline_kernelINS0_14default_configENS1_25partition_config_selectorILNS1_17partition_subalgoE6EN6thrust23THRUST_200600_302600_NS5tupleIyyNS7_9null_typeES9_S9_S9_S9_S9_S9_S9_EENS0_10empty_typeEbEEZZNS1_14partition_implILS5_6ELb0ES3_mNS7_12zip_iteratorINS8_INS7_6detail15normal_iteratorINS7_10device_ptrIyEEEESJ_S9_S9_S9_S9_S9_S9_S9_S9_EEEEPSB_SM_NS0_5tupleIJNSE_INS8_ISJ_NS7_16discard_iteratorINS7_11use_defaultEEES9_S9_S9_S9_S9_S9_S9_S9_EEEESB_EEENSN_IJSM_SM_EEESB_PlJNSF_9not_fun_tINSF_14equal_to_valueISA_EEEEEEE10hipError_tPvRmT3_T4_T5_T6_T7_T9_mT8_P12ihipStream_tbDpT10_ENKUlT_T0_E_clISt17integral_constantIbLb0EES1I_IbLb1EEEEDaS1E_S1F_EUlS1E_E_NS1_11comp_targetILNS1_3genE5ELNS1_11target_archE942ELNS1_3gpuE9ELNS1_3repE0EEENS1_30default_config_static_selectorELNS0_4arch9wavefront6targetE0EEEvT1_,@function
_ZN7rocprim17ROCPRIM_400000_NS6detail17trampoline_kernelINS0_14default_configENS1_25partition_config_selectorILNS1_17partition_subalgoE6EN6thrust23THRUST_200600_302600_NS5tupleIyyNS7_9null_typeES9_S9_S9_S9_S9_S9_S9_EENS0_10empty_typeEbEEZZNS1_14partition_implILS5_6ELb0ES3_mNS7_12zip_iteratorINS8_INS7_6detail15normal_iteratorINS7_10device_ptrIyEEEESJ_S9_S9_S9_S9_S9_S9_S9_S9_EEEEPSB_SM_NS0_5tupleIJNSE_INS8_ISJ_NS7_16discard_iteratorINS7_11use_defaultEEES9_S9_S9_S9_S9_S9_S9_S9_EEEESB_EEENSN_IJSM_SM_EEESB_PlJNSF_9not_fun_tINSF_14equal_to_valueISA_EEEEEEE10hipError_tPvRmT3_T4_T5_T6_T7_T9_mT8_P12ihipStream_tbDpT10_ENKUlT_T0_E_clISt17integral_constantIbLb0EES1I_IbLb1EEEEDaS1E_S1F_EUlS1E_E_NS1_11comp_targetILNS1_3genE5ELNS1_11target_archE942ELNS1_3gpuE9ELNS1_3repE0EEENS1_30default_config_static_selectorELNS0_4arch9wavefront6targetE0EEEvT1_: ; @_ZN7rocprim17ROCPRIM_400000_NS6detail17trampoline_kernelINS0_14default_configENS1_25partition_config_selectorILNS1_17partition_subalgoE6EN6thrust23THRUST_200600_302600_NS5tupleIyyNS7_9null_typeES9_S9_S9_S9_S9_S9_S9_EENS0_10empty_typeEbEEZZNS1_14partition_implILS5_6ELb0ES3_mNS7_12zip_iteratorINS8_INS7_6detail15normal_iteratorINS7_10device_ptrIyEEEESJ_S9_S9_S9_S9_S9_S9_S9_S9_EEEEPSB_SM_NS0_5tupleIJNSE_INS8_ISJ_NS7_16discard_iteratorINS7_11use_defaultEEES9_S9_S9_S9_S9_S9_S9_S9_EEEESB_EEENSN_IJSM_SM_EEESB_PlJNSF_9not_fun_tINSF_14equal_to_valueISA_EEEEEEE10hipError_tPvRmT3_T4_T5_T6_T7_T9_mT8_P12ihipStream_tbDpT10_ENKUlT_T0_E_clISt17integral_constantIbLb0EES1I_IbLb1EEEEDaS1E_S1F_EUlS1E_E_NS1_11comp_targetILNS1_3genE5ELNS1_11target_archE942ELNS1_3gpuE9ELNS1_3repE0EEENS1_30default_config_static_selectorELNS0_4arch9wavefront6targetE0EEEvT1_
; %bb.0:
	.section	.rodata,"a",@progbits
	.p2align	6, 0x0
	.amdhsa_kernel _ZN7rocprim17ROCPRIM_400000_NS6detail17trampoline_kernelINS0_14default_configENS1_25partition_config_selectorILNS1_17partition_subalgoE6EN6thrust23THRUST_200600_302600_NS5tupleIyyNS7_9null_typeES9_S9_S9_S9_S9_S9_S9_EENS0_10empty_typeEbEEZZNS1_14partition_implILS5_6ELb0ES3_mNS7_12zip_iteratorINS8_INS7_6detail15normal_iteratorINS7_10device_ptrIyEEEESJ_S9_S9_S9_S9_S9_S9_S9_S9_EEEEPSB_SM_NS0_5tupleIJNSE_INS8_ISJ_NS7_16discard_iteratorINS7_11use_defaultEEES9_S9_S9_S9_S9_S9_S9_S9_EEEESB_EEENSN_IJSM_SM_EEESB_PlJNSF_9not_fun_tINSF_14equal_to_valueISA_EEEEEEE10hipError_tPvRmT3_T4_T5_T6_T7_T9_mT8_P12ihipStream_tbDpT10_ENKUlT_T0_E_clISt17integral_constantIbLb0EES1I_IbLb1EEEEDaS1E_S1F_EUlS1E_E_NS1_11comp_targetILNS1_3genE5ELNS1_11target_archE942ELNS1_3gpuE9ELNS1_3repE0EEENS1_30default_config_static_selectorELNS0_4arch9wavefront6targetE0EEEvT1_
		.amdhsa_group_segment_fixed_size 0
		.amdhsa_private_segment_fixed_size 0
		.amdhsa_kernarg_size 160
		.amdhsa_user_sgpr_count 2
		.amdhsa_user_sgpr_dispatch_ptr 0
		.amdhsa_user_sgpr_queue_ptr 0
		.amdhsa_user_sgpr_kernarg_segment_ptr 1
		.amdhsa_user_sgpr_dispatch_id 0
		.amdhsa_user_sgpr_private_segment_size 0
		.amdhsa_wavefront_size32 1
		.amdhsa_uses_dynamic_stack 0
		.amdhsa_enable_private_segment 0
		.amdhsa_system_sgpr_workgroup_id_x 1
		.amdhsa_system_sgpr_workgroup_id_y 0
		.amdhsa_system_sgpr_workgroup_id_z 0
		.amdhsa_system_sgpr_workgroup_info 0
		.amdhsa_system_vgpr_workitem_id 0
		.amdhsa_next_free_vgpr 1
		.amdhsa_next_free_sgpr 1
		.amdhsa_reserve_vcc 0
		.amdhsa_float_round_mode_32 0
		.amdhsa_float_round_mode_16_64 0
		.amdhsa_float_denorm_mode_32 3
		.amdhsa_float_denorm_mode_16_64 3
		.amdhsa_fp16_overflow 0
		.amdhsa_workgroup_processor_mode 1
		.amdhsa_memory_ordered 1
		.amdhsa_forward_progress 1
		.amdhsa_inst_pref_size 0
		.amdhsa_round_robin_scheduling 0
		.amdhsa_exception_fp_ieee_invalid_op 0
		.amdhsa_exception_fp_denorm_src 0
		.amdhsa_exception_fp_ieee_div_zero 0
		.amdhsa_exception_fp_ieee_overflow 0
		.amdhsa_exception_fp_ieee_underflow 0
		.amdhsa_exception_fp_ieee_inexact 0
		.amdhsa_exception_int_div_zero 0
	.end_amdhsa_kernel
	.section	.text._ZN7rocprim17ROCPRIM_400000_NS6detail17trampoline_kernelINS0_14default_configENS1_25partition_config_selectorILNS1_17partition_subalgoE6EN6thrust23THRUST_200600_302600_NS5tupleIyyNS7_9null_typeES9_S9_S9_S9_S9_S9_S9_EENS0_10empty_typeEbEEZZNS1_14partition_implILS5_6ELb0ES3_mNS7_12zip_iteratorINS8_INS7_6detail15normal_iteratorINS7_10device_ptrIyEEEESJ_S9_S9_S9_S9_S9_S9_S9_S9_EEEEPSB_SM_NS0_5tupleIJNSE_INS8_ISJ_NS7_16discard_iteratorINS7_11use_defaultEEES9_S9_S9_S9_S9_S9_S9_S9_EEEESB_EEENSN_IJSM_SM_EEESB_PlJNSF_9not_fun_tINSF_14equal_to_valueISA_EEEEEEE10hipError_tPvRmT3_T4_T5_T6_T7_T9_mT8_P12ihipStream_tbDpT10_ENKUlT_T0_E_clISt17integral_constantIbLb0EES1I_IbLb1EEEEDaS1E_S1F_EUlS1E_E_NS1_11comp_targetILNS1_3genE5ELNS1_11target_archE942ELNS1_3gpuE9ELNS1_3repE0EEENS1_30default_config_static_selectorELNS0_4arch9wavefront6targetE0EEEvT1_,"axG",@progbits,_ZN7rocprim17ROCPRIM_400000_NS6detail17trampoline_kernelINS0_14default_configENS1_25partition_config_selectorILNS1_17partition_subalgoE6EN6thrust23THRUST_200600_302600_NS5tupleIyyNS7_9null_typeES9_S9_S9_S9_S9_S9_S9_EENS0_10empty_typeEbEEZZNS1_14partition_implILS5_6ELb0ES3_mNS7_12zip_iteratorINS8_INS7_6detail15normal_iteratorINS7_10device_ptrIyEEEESJ_S9_S9_S9_S9_S9_S9_S9_S9_EEEEPSB_SM_NS0_5tupleIJNSE_INS8_ISJ_NS7_16discard_iteratorINS7_11use_defaultEEES9_S9_S9_S9_S9_S9_S9_S9_EEEESB_EEENSN_IJSM_SM_EEESB_PlJNSF_9not_fun_tINSF_14equal_to_valueISA_EEEEEEE10hipError_tPvRmT3_T4_T5_T6_T7_T9_mT8_P12ihipStream_tbDpT10_ENKUlT_T0_E_clISt17integral_constantIbLb0EES1I_IbLb1EEEEDaS1E_S1F_EUlS1E_E_NS1_11comp_targetILNS1_3genE5ELNS1_11target_archE942ELNS1_3gpuE9ELNS1_3repE0EEENS1_30default_config_static_selectorELNS0_4arch9wavefront6targetE0EEEvT1_,comdat
.Lfunc_end1910:
	.size	_ZN7rocprim17ROCPRIM_400000_NS6detail17trampoline_kernelINS0_14default_configENS1_25partition_config_selectorILNS1_17partition_subalgoE6EN6thrust23THRUST_200600_302600_NS5tupleIyyNS7_9null_typeES9_S9_S9_S9_S9_S9_S9_EENS0_10empty_typeEbEEZZNS1_14partition_implILS5_6ELb0ES3_mNS7_12zip_iteratorINS8_INS7_6detail15normal_iteratorINS7_10device_ptrIyEEEESJ_S9_S9_S9_S9_S9_S9_S9_S9_EEEEPSB_SM_NS0_5tupleIJNSE_INS8_ISJ_NS7_16discard_iteratorINS7_11use_defaultEEES9_S9_S9_S9_S9_S9_S9_S9_EEEESB_EEENSN_IJSM_SM_EEESB_PlJNSF_9not_fun_tINSF_14equal_to_valueISA_EEEEEEE10hipError_tPvRmT3_T4_T5_T6_T7_T9_mT8_P12ihipStream_tbDpT10_ENKUlT_T0_E_clISt17integral_constantIbLb0EES1I_IbLb1EEEEDaS1E_S1F_EUlS1E_E_NS1_11comp_targetILNS1_3genE5ELNS1_11target_archE942ELNS1_3gpuE9ELNS1_3repE0EEENS1_30default_config_static_selectorELNS0_4arch9wavefront6targetE0EEEvT1_, .Lfunc_end1910-_ZN7rocprim17ROCPRIM_400000_NS6detail17trampoline_kernelINS0_14default_configENS1_25partition_config_selectorILNS1_17partition_subalgoE6EN6thrust23THRUST_200600_302600_NS5tupleIyyNS7_9null_typeES9_S9_S9_S9_S9_S9_S9_EENS0_10empty_typeEbEEZZNS1_14partition_implILS5_6ELb0ES3_mNS7_12zip_iteratorINS8_INS7_6detail15normal_iteratorINS7_10device_ptrIyEEEESJ_S9_S9_S9_S9_S9_S9_S9_S9_EEEEPSB_SM_NS0_5tupleIJNSE_INS8_ISJ_NS7_16discard_iteratorINS7_11use_defaultEEES9_S9_S9_S9_S9_S9_S9_S9_EEEESB_EEENSN_IJSM_SM_EEESB_PlJNSF_9not_fun_tINSF_14equal_to_valueISA_EEEEEEE10hipError_tPvRmT3_T4_T5_T6_T7_T9_mT8_P12ihipStream_tbDpT10_ENKUlT_T0_E_clISt17integral_constantIbLb0EES1I_IbLb1EEEEDaS1E_S1F_EUlS1E_E_NS1_11comp_targetILNS1_3genE5ELNS1_11target_archE942ELNS1_3gpuE9ELNS1_3repE0EEENS1_30default_config_static_selectorELNS0_4arch9wavefront6targetE0EEEvT1_
                                        ; -- End function
	.set _ZN7rocprim17ROCPRIM_400000_NS6detail17trampoline_kernelINS0_14default_configENS1_25partition_config_selectorILNS1_17partition_subalgoE6EN6thrust23THRUST_200600_302600_NS5tupleIyyNS7_9null_typeES9_S9_S9_S9_S9_S9_S9_EENS0_10empty_typeEbEEZZNS1_14partition_implILS5_6ELb0ES3_mNS7_12zip_iteratorINS8_INS7_6detail15normal_iteratorINS7_10device_ptrIyEEEESJ_S9_S9_S9_S9_S9_S9_S9_S9_EEEEPSB_SM_NS0_5tupleIJNSE_INS8_ISJ_NS7_16discard_iteratorINS7_11use_defaultEEES9_S9_S9_S9_S9_S9_S9_S9_EEEESB_EEENSN_IJSM_SM_EEESB_PlJNSF_9not_fun_tINSF_14equal_to_valueISA_EEEEEEE10hipError_tPvRmT3_T4_T5_T6_T7_T9_mT8_P12ihipStream_tbDpT10_ENKUlT_T0_E_clISt17integral_constantIbLb0EES1I_IbLb1EEEEDaS1E_S1F_EUlS1E_E_NS1_11comp_targetILNS1_3genE5ELNS1_11target_archE942ELNS1_3gpuE9ELNS1_3repE0EEENS1_30default_config_static_selectorELNS0_4arch9wavefront6targetE0EEEvT1_.num_vgpr, 0
	.set _ZN7rocprim17ROCPRIM_400000_NS6detail17trampoline_kernelINS0_14default_configENS1_25partition_config_selectorILNS1_17partition_subalgoE6EN6thrust23THRUST_200600_302600_NS5tupleIyyNS7_9null_typeES9_S9_S9_S9_S9_S9_S9_EENS0_10empty_typeEbEEZZNS1_14partition_implILS5_6ELb0ES3_mNS7_12zip_iteratorINS8_INS7_6detail15normal_iteratorINS7_10device_ptrIyEEEESJ_S9_S9_S9_S9_S9_S9_S9_S9_EEEEPSB_SM_NS0_5tupleIJNSE_INS8_ISJ_NS7_16discard_iteratorINS7_11use_defaultEEES9_S9_S9_S9_S9_S9_S9_S9_EEEESB_EEENSN_IJSM_SM_EEESB_PlJNSF_9not_fun_tINSF_14equal_to_valueISA_EEEEEEE10hipError_tPvRmT3_T4_T5_T6_T7_T9_mT8_P12ihipStream_tbDpT10_ENKUlT_T0_E_clISt17integral_constantIbLb0EES1I_IbLb1EEEEDaS1E_S1F_EUlS1E_E_NS1_11comp_targetILNS1_3genE5ELNS1_11target_archE942ELNS1_3gpuE9ELNS1_3repE0EEENS1_30default_config_static_selectorELNS0_4arch9wavefront6targetE0EEEvT1_.num_agpr, 0
	.set _ZN7rocprim17ROCPRIM_400000_NS6detail17trampoline_kernelINS0_14default_configENS1_25partition_config_selectorILNS1_17partition_subalgoE6EN6thrust23THRUST_200600_302600_NS5tupleIyyNS7_9null_typeES9_S9_S9_S9_S9_S9_S9_EENS0_10empty_typeEbEEZZNS1_14partition_implILS5_6ELb0ES3_mNS7_12zip_iteratorINS8_INS7_6detail15normal_iteratorINS7_10device_ptrIyEEEESJ_S9_S9_S9_S9_S9_S9_S9_S9_EEEEPSB_SM_NS0_5tupleIJNSE_INS8_ISJ_NS7_16discard_iteratorINS7_11use_defaultEEES9_S9_S9_S9_S9_S9_S9_S9_EEEESB_EEENSN_IJSM_SM_EEESB_PlJNSF_9not_fun_tINSF_14equal_to_valueISA_EEEEEEE10hipError_tPvRmT3_T4_T5_T6_T7_T9_mT8_P12ihipStream_tbDpT10_ENKUlT_T0_E_clISt17integral_constantIbLb0EES1I_IbLb1EEEEDaS1E_S1F_EUlS1E_E_NS1_11comp_targetILNS1_3genE5ELNS1_11target_archE942ELNS1_3gpuE9ELNS1_3repE0EEENS1_30default_config_static_selectorELNS0_4arch9wavefront6targetE0EEEvT1_.numbered_sgpr, 0
	.set _ZN7rocprim17ROCPRIM_400000_NS6detail17trampoline_kernelINS0_14default_configENS1_25partition_config_selectorILNS1_17partition_subalgoE6EN6thrust23THRUST_200600_302600_NS5tupleIyyNS7_9null_typeES9_S9_S9_S9_S9_S9_S9_EENS0_10empty_typeEbEEZZNS1_14partition_implILS5_6ELb0ES3_mNS7_12zip_iteratorINS8_INS7_6detail15normal_iteratorINS7_10device_ptrIyEEEESJ_S9_S9_S9_S9_S9_S9_S9_S9_EEEEPSB_SM_NS0_5tupleIJNSE_INS8_ISJ_NS7_16discard_iteratorINS7_11use_defaultEEES9_S9_S9_S9_S9_S9_S9_S9_EEEESB_EEENSN_IJSM_SM_EEESB_PlJNSF_9not_fun_tINSF_14equal_to_valueISA_EEEEEEE10hipError_tPvRmT3_T4_T5_T6_T7_T9_mT8_P12ihipStream_tbDpT10_ENKUlT_T0_E_clISt17integral_constantIbLb0EES1I_IbLb1EEEEDaS1E_S1F_EUlS1E_E_NS1_11comp_targetILNS1_3genE5ELNS1_11target_archE942ELNS1_3gpuE9ELNS1_3repE0EEENS1_30default_config_static_selectorELNS0_4arch9wavefront6targetE0EEEvT1_.num_named_barrier, 0
	.set _ZN7rocprim17ROCPRIM_400000_NS6detail17trampoline_kernelINS0_14default_configENS1_25partition_config_selectorILNS1_17partition_subalgoE6EN6thrust23THRUST_200600_302600_NS5tupleIyyNS7_9null_typeES9_S9_S9_S9_S9_S9_S9_EENS0_10empty_typeEbEEZZNS1_14partition_implILS5_6ELb0ES3_mNS7_12zip_iteratorINS8_INS7_6detail15normal_iteratorINS7_10device_ptrIyEEEESJ_S9_S9_S9_S9_S9_S9_S9_S9_EEEEPSB_SM_NS0_5tupleIJNSE_INS8_ISJ_NS7_16discard_iteratorINS7_11use_defaultEEES9_S9_S9_S9_S9_S9_S9_S9_EEEESB_EEENSN_IJSM_SM_EEESB_PlJNSF_9not_fun_tINSF_14equal_to_valueISA_EEEEEEE10hipError_tPvRmT3_T4_T5_T6_T7_T9_mT8_P12ihipStream_tbDpT10_ENKUlT_T0_E_clISt17integral_constantIbLb0EES1I_IbLb1EEEEDaS1E_S1F_EUlS1E_E_NS1_11comp_targetILNS1_3genE5ELNS1_11target_archE942ELNS1_3gpuE9ELNS1_3repE0EEENS1_30default_config_static_selectorELNS0_4arch9wavefront6targetE0EEEvT1_.private_seg_size, 0
	.set _ZN7rocprim17ROCPRIM_400000_NS6detail17trampoline_kernelINS0_14default_configENS1_25partition_config_selectorILNS1_17partition_subalgoE6EN6thrust23THRUST_200600_302600_NS5tupleIyyNS7_9null_typeES9_S9_S9_S9_S9_S9_S9_EENS0_10empty_typeEbEEZZNS1_14partition_implILS5_6ELb0ES3_mNS7_12zip_iteratorINS8_INS7_6detail15normal_iteratorINS7_10device_ptrIyEEEESJ_S9_S9_S9_S9_S9_S9_S9_S9_EEEEPSB_SM_NS0_5tupleIJNSE_INS8_ISJ_NS7_16discard_iteratorINS7_11use_defaultEEES9_S9_S9_S9_S9_S9_S9_S9_EEEESB_EEENSN_IJSM_SM_EEESB_PlJNSF_9not_fun_tINSF_14equal_to_valueISA_EEEEEEE10hipError_tPvRmT3_T4_T5_T6_T7_T9_mT8_P12ihipStream_tbDpT10_ENKUlT_T0_E_clISt17integral_constantIbLb0EES1I_IbLb1EEEEDaS1E_S1F_EUlS1E_E_NS1_11comp_targetILNS1_3genE5ELNS1_11target_archE942ELNS1_3gpuE9ELNS1_3repE0EEENS1_30default_config_static_selectorELNS0_4arch9wavefront6targetE0EEEvT1_.uses_vcc, 0
	.set _ZN7rocprim17ROCPRIM_400000_NS6detail17trampoline_kernelINS0_14default_configENS1_25partition_config_selectorILNS1_17partition_subalgoE6EN6thrust23THRUST_200600_302600_NS5tupleIyyNS7_9null_typeES9_S9_S9_S9_S9_S9_S9_EENS0_10empty_typeEbEEZZNS1_14partition_implILS5_6ELb0ES3_mNS7_12zip_iteratorINS8_INS7_6detail15normal_iteratorINS7_10device_ptrIyEEEESJ_S9_S9_S9_S9_S9_S9_S9_S9_EEEEPSB_SM_NS0_5tupleIJNSE_INS8_ISJ_NS7_16discard_iteratorINS7_11use_defaultEEES9_S9_S9_S9_S9_S9_S9_S9_EEEESB_EEENSN_IJSM_SM_EEESB_PlJNSF_9not_fun_tINSF_14equal_to_valueISA_EEEEEEE10hipError_tPvRmT3_T4_T5_T6_T7_T9_mT8_P12ihipStream_tbDpT10_ENKUlT_T0_E_clISt17integral_constantIbLb0EES1I_IbLb1EEEEDaS1E_S1F_EUlS1E_E_NS1_11comp_targetILNS1_3genE5ELNS1_11target_archE942ELNS1_3gpuE9ELNS1_3repE0EEENS1_30default_config_static_selectorELNS0_4arch9wavefront6targetE0EEEvT1_.uses_flat_scratch, 0
	.set _ZN7rocprim17ROCPRIM_400000_NS6detail17trampoline_kernelINS0_14default_configENS1_25partition_config_selectorILNS1_17partition_subalgoE6EN6thrust23THRUST_200600_302600_NS5tupleIyyNS7_9null_typeES9_S9_S9_S9_S9_S9_S9_EENS0_10empty_typeEbEEZZNS1_14partition_implILS5_6ELb0ES3_mNS7_12zip_iteratorINS8_INS7_6detail15normal_iteratorINS7_10device_ptrIyEEEESJ_S9_S9_S9_S9_S9_S9_S9_S9_EEEEPSB_SM_NS0_5tupleIJNSE_INS8_ISJ_NS7_16discard_iteratorINS7_11use_defaultEEES9_S9_S9_S9_S9_S9_S9_S9_EEEESB_EEENSN_IJSM_SM_EEESB_PlJNSF_9not_fun_tINSF_14equal_to_valueISA_EEEEEEE10hipError_tPvRmT3_T4_T5_T6_T7_T9_mT8_P12ihipStream_tbDpT10_ENKUlT_T0_E_clISt17integral_constantIbLb0EES1I_IbLb1EEEEDaS1E_S1F_EUlS1E_E_NS1_11comp_targetILNS1_3genE5ELNS1_11target_archE942ELNS1_3gpuE9ELNS1_3repE0EEENS1_30default_config_static_selectorELNS0_4arch9wavefront6targetE0EEEvT1_.has_dyn_sized_stack, 0
	.set _ZN7rocprim17ROCPRIM_400000_NS6detail17trampoline_kernelINS0_14default_configENS1_25partition_config_selectorILNS1_17partition_subalgoE6EN6thrust23THRUST_200600_302600_NS5tupleIyyNS7_9null_typeES9_S9_S9_S9_S9_S9_S9_EENS0_10empty_typeEbEEZZNS1_14partition_implILS5_6ELb0ES3_mNS7_12zip_iteratorINS8_INS7_6detail15normal_iteratorINS7_10device_ptrIyEEEESJ_S9_S9_S9_S9_S9_S9_S9_S9_EEEEPSB_SM_NS0_5tupleIJNSE_INS8_ISJ_NS7_16discard_iteratorINS7_11use_defaultEEES9_S9_S9_S9_S9_S9_S9_S9_EEEESB_EEENSN_IJSM_SM_EEESB_PlJNSF_9not_fun_tINSF_14equal_to_valueISA_EEEEEEE10hipError_tPvRmT3_T4_T5_T6_T7_T9_mT8_P12ihipStream_tbDpT10_ENKUlT_T0_E_clISt17integral_constantIbLb0EES1I_IbLb1EEEEDaS1E_S1F_EUlS1E_E_NS1_11comp_targetILNS1_3genE5ELNS1_11target_archE942ELNS1_3gpuE9ELNS1_3repE0EEENS1_30default_config_static_selectorELNS0_4arch9wavefront6targetE0EEEvT1_.has_recursion, 0
	.set _ZN7rocprim17ROCPRIM_400000_NS6detail17trampoline_kernelINS0_14default_configENS1_25partition_config_selectorILNS1_17partition_subalgoE6EN6thrust23THRUST_200600_302600_NS5tupleIyyNS7_9null_typeES9_S9_S9_S9_S9_S9_S9_EENS0_10empty_typeEbEEZZNS1_14partition_implILS5_6ELb0ES3_mNS7_12zip_iteratorINS8_INS7_6detail15normal_iteratorINS7_10device_ptrIyEEEESJ_S9_S9_S9_S9_S9_S9_S9_S9_EEEEPSB_SM_NS0_5tupleIJNSE_INS8_ISJ_NS7_16discard_iteratorINS7_11use_defaultEEES9_S9_S9_S9_S9_S9_S9_S9_EEEESB_EEENSN_IJSM_SM_EEESB_PlJNSF_9not_fun_tINSF_14equal_to_valueISA_EEEEEEE10hipError_tPvRmT3_T4_T5_T6_T7_T9_mT8_P12ihipStream_tbDpT10_ENKUlT_T0_E_clISt17integral_constantIbLb0EES1I_IbLb1EEEEDaS1E_S1F_EUlS1E_E_NS1_11comp_targetILNS1_3genE5ELNS1_11target_archE942ELNS1_3gpuE9ELNS1_3repE0EEENS1_30default_config_static_selectorELNS0_4arch9wavefront6targetE0EEEvT1_.has_indirect_call, 0
	.section	.AMDGPU.csdata,"",@progbits
; Kernel info:
; codeLenInByte = 0
; TotalNumSgprs: 0
; NumVgprs: 0
; ScratchSize: 0
; MemoryBound: 0
; FloatMode: 240
; IeeeMode: 1
; LDSByteSize: 0 bytes/workgroup (compile time only)
; SGPRBlocks: 0
; VGPRBlocks: 0
; NumSGPRsForWavesPerEU: 1
; NumVGPRsForWavesPerEU: 1
; Occupancy: 16
; WaveLimiterHint : 0
; COMPUTE_PGM_RSRC2:SCRATCH_EN: 0
; COMPUTE_PGM_RSRC2:USER_SGPR: 2
; COMPUTE_PGM_RSRC2:TRAP_HANDLER: 0
; COMPUTE_PGM_RSRC2:TGID_X_EN: 1
; COMPUTE_PGM_RSRC2:TGID_Y_EN: 0
; COMPUTE_PGM_RSRC2:TGID_Z_EN: 0
; COMPUTE_PGM_RSRC2:TIDIG_COMP_CNT: 0
	.section	.text._ZN7rocprim17ROCPRIM_400000_NS6detail17trampoline_kernelINS0_14default_configENS1_25partition_config_selectorILNS1_17partition_subalgoE6EN6thrust23THRUST_200600_302600_NS5tupleIyyNS7_9null_typeES9_S9_S9_S9_S9_S9_S9_EENS0_10empty_typeEbEEZZNS1_14partition_implILS5_6ELb0ES3_mNS7_12zip_iteratorINS8_INS7_6detail15normal_iteratorINS7_10device_ptrIyEEEESJ_S9_S9_S9_S9_S9_S9_S9_S9_EEEEPSB_SM_NS0_5tupleIJNSE_INS8_ISJ_NS7_16discard_iteratorINS7_11use_defaultEEES9_S9_S9_S9_S9_S9_S9_S9_EEEESB_EEENSN_IJSM_SM_EEESB_PlJNSF_9not_fun_tINSF_14equal_to_valueISA_EEEEEEE10hipError_tPvRmT3_T4_T5_T6_T7_T9_mT8_P12ihipStream_tbDpT10_ENKUlT_T0_E_clISt17integral_constantIbLb0EES1I_IbLb1EEEEDaS1E_S1F_EUlS1E_E_NS1_11comp_targetILNS1_3genE4ELNS1_11target_archE910ELNS1_3gpuE8ELNS1_3repE0EEENS1_30default_config_static_selectorELNS0_4arch9wavefront6targetE0EEEvT1_,"axG",@progbits,_ZN7rocprim17ROCPRIM_400000_NS6detail17trampoline_kernelINS0_14default_configENS1_25partition_config_selectorILNS1_17partition_subalgoE6EN6thrust23THRUST_200600_302600_NS5tupleIyyNS7_9null_typeES9_S9_S9_S9_S9_S9_S9_EENS0_10empty_typeEbEEZZNS1_14partition_implILS5_6ELb0ES3_mNS7_12zip_iteratorINS8_INS7_6detail15normal_iteratorINS7_10device_ptrIyEEEESJ_S9_S9_S9_S9_S9_S9_S9_S9_EEEEPSB_SM_NS0_5tupleIJNSE_INS8_ISJ_NS7_16discard_iteratorINS7_11use_defaultEEES9_S9_S9_S9_S9_S9_S9_S9_EEEESB_EEENSN_IJSM_SM_EEESB_PlJNSF_9not_fun_tINSF_14equal_to_valueISA_EEEEEEE10hipError_tPvRmT3_T4_T5_T6_T7_T9_mT8_P12ihipStream_tbDpT10_ENKUlT_T0_E_clISt17integral_constantIbLb0EES1I_IbLb1EEEEDaS1E_S1F_EUlS1E_E_NS1_11comp_targetILNS1_3genE4ELNS1_11target_archE910ELNS1_3gpuE8ELNS1_3repE0EEENS1_30default_config_static_selectorELNS0_4arch9wavefront6targetE0EEEvT1_,comdat
	.protected	_ZN7rocprim17ROCPRIM_400000_NS6detail17trampoline_kernelINS0_14default_configENS1_25partition_config_selectorILNS1_17partition_subalgoE6EN6thrust23THRUST_200600_302600_NS5tupleIyyNS7_9null_typeES9_S9_S9_S9_S9_S9_S9_EENS0_10empty_typeEbEEZZNS1_14partition_implILS5_6ELb0ES3_mNS7_12zip_iteratorINS8_INS7_6detail15normal_iteratorINS7_10device_ptrIyEEEESJ_S9_S9_S9_S9_S9_S9_S9_S9_EEEEPSB_SM_NS0_5tupleIJNSE_INS8_ISJ_NS7_16discard_iteratorINS7_11use_defaultEEES9_S9_S9_S9_S9_S9_S9_S9_EEEESB_EEENSN_IJSM_SM_EEESB_PlJNSF_9not_fun_tINSF_14equal_to_valueISA_EEEEEEE10hipError_tPvRmT3_T4_T5_T6_T7_T9_mT8_P12ihipStream_tbDpT10_ENKUlT_T0_E_clISt17integral_constantIbLb0EES1I_IbLb1EEEEDaS1E_S1F_EUlS1E_E_NS1_11comp_targetILNS1_3genE4ELNS1_11target_archE910ELNS1_3gpuE8ELNS1_3repE0EEENS1_30default_config_static_selectorELNS0_4arch9wavefront6targetE0EEEvT1_ ; -- Begin function _ZN7rocprim17ROCPRIM_400000_NS6detail17trampoline_kernelINS0_14default_configENS1_25partition_config_selectorILNS1_17partition_subalgoE6EN6thrust23THRUST_200600_302600_NS5tupleIyyNS7_9null_typeES9_S9_S9_S9_S9_S9_S9_EENS0_10empty_typeEbEEZZNS1_14partition_implILS5_6ELb0ES3_mNS7_12zip_iteratorINS8_INS7_6detail15normal_iteratorINS7_10device_ptrIyEEEESJ_S9_S9_S9_S9_S9_S9_S9_S9_EEEEPSB_SM_NS0_5tupleIJNSE_INS8_ISJ_NS7_16discard_iteratorINS7_11use_defaultEEES9_S9_S9_S9_S9_S9_S9_S9_EEEESB_EEENSN_IJSM_SM_EEESB_PlJNSF_9not_fun_tINSF_14equal_to_valueISA_EEEEEEE10hipError_tPvRmT3_T4_T5_T6_T7_T9_mT8_P12ihipStream_tbDpT10_ENKUlT_T0_E_clISt17integral_constantIbLb0EES1I_IbLb1EEEEDaS1E_S1F_EUlS1E_E_NS1_11comp_targetILNS1_3genE4ELNS1_11target_archE910ELNS1_3gpuE8ELNS1_3repE0EEENS1_30default_config_static_selectorELNS0_4arch9wavefront6targetE0EEEvT1_
	.globl	_ZN7rocprim17ROCPRIM_400000_NS6detail17trampoline_kernelINS0_14default_configENS1_25partition_config_selectorILNS1_17partition_subalgoE6EN6thrust23THRUST_200600_302600_NS5tupleIyyNS7_9null_typeES9_S9_S9_S9_S9_S9_S9_EENS0_10empty_typeEbEEZZNS1_14partition_implILS5_6ELb0ES3_mNS7_12zip_iteratorINS8_INS7_6detail15normal_iteratorINS7_10device_ptrIyEEEESJ_S9_S9_S9_S9_S9_S9_S9_S9_EEEEPSB_SM_NS0_5tupleIJNSE_INS8_ISJ_NS7_16discard_iteratorINS7_11use_defaultEEES9_S9_S9_S9_S9_S9_S9_S9_EEEESB_EEENSN_IJSM_SM_EEESB_PlJNSF_9not_fun_tINSF_14equal_to_valueISA_EEEEEEE10hipError_tPvRmT3_T4_T5_T6_T7_T9_mT8_P12ihipStream_tbDpT10_ENKUlT_T0_E_clISt17integral_constantIbLb0EES1I_IbLb1EEEEDaS1E_S1F_EUlS1E_E_NS1_11comp_targetILNS1_3genE4ELNS1_11target_archE910ELNS1_3gpuE8ELNS1_3repE0EEENS1_30default_config_static_selectorELNS0_4arch9wavefront6targetE0EEEvT1_
	.p2align	8
	.type	_ZN7rocprim17ROCPRIM_400000_NS6detail17trampoline_kernelINS0_14default_configENS1_25partition_config_selectorILNS1_17partition_subalgoE6EN6thrust23THRUST_200600_302600_NS5tupleIyyNS7_9null_typeES9_S9_S9_S9_S9_S9_S9_EENS0_10empty_typeEbEEZZNS1_14partition_implILS5_6ELb0ES3_mNS7_12zip_iteratorINS8_INS7_6detail15normal_iteratorINS7_10device_ptrIyEEEESJ_S9_S9_S9_S9_S9_S9_S9_S9_EEEEPSB_SM_NS0_5tupleIJNSE_INS8_ISJ_NS7_16discard_iteratorINS7_11use_defaultEEES9_S9_S9_S9_S9_S9_S9_S9_EEEESB_EEENSN_IJSM_SM_EEESB_PlJNSF_9not_fun_tINSF_14equal_to_valueISA_EEEEEEE10hipError_tPvRmT3_T4_T5_T6_T7_T9_mT8_P12ihipStream_tbDpT10_ENKUlT_T0_E_clISt17integral_constantIbLb0EES1I_IbLb1EEEEDaS1E_S1F_EUlS1E_E_NS1_11comp_targetILNS1_3genE4ELNS1_11target_archE910ELNS1_3gpuE8ELNS1_3repE0EEENS1_30default_config_static_selectorELNS0_4arch9wavefront6targetE0EEEvT1_,@function
_ZN7rocprim17ROCPRIM_400000_NS6detail17trampoline_kernelINS0_14default_configENS1_25partition_config_selectorILNS1_17partition_subalgoE6EN6thrust23THRUST_200600_302600_NS5tupleIyyNS7_9null_typeES9_S9_S9_S9_S9_S9_S9_EENS0_10empty_typeEbEEZZNS1_14partition_implILS5_6ELb0ES3_mNS7_12zip_iteratorINS8_INS7_6detail15normal_iteratorINS7_10device_ptrIyEEEESJ_S9_S9_S9_S9_S9_S9_S9_S9_EEEEPSB_SM_NS0_5tupleIJNSE_INS8_ISJ_NS7_16discard_iteratorINS7_11use_defaultEEES9_S9_S9_S9_S9_S9_S9_S9_EEEESB_EEENSN_IJSM_SM_EEESB_PlJNSF_9not_fun_tINSF_14equal_to_valueISA_EEEEEEE10hipError_tPvRmT3_T4_T5_T6_T7_T9_mT8_P12ihipStream_tbDpT10_ENKUlT_T0_E_clISt17integral_constantIbLb0EES1I_IbLb1EEEEDaS1E_S1F_EUlS1E_E_NS1_11comp_targetILNS1_3genE4ELNS1_11target_archE910ELNS1_3gpuE8ELNS1_3repE0EEENS1_30default_config_static_selectorELNS0_4arch9wavefront6targetE0EEEvT1_: ; @_ZN7rocprim17ROCPRIM_400000_NS6detail17trampoline_kernelINS0_14default_configENS1_25partition_config_selectorILNS1_17partition_subalgoE6EN6thrust23THRUST_200600_302600_NS5tupleIyyNS7_9null_typeES9_S9_S9_S9_S9_S9_S9_EENS0_10empty_typeEbEEZZNS1_14partition_implILS5_6ELb0ES3_mNS7_12zip_iteratorINS8_INS7_6detail15normal_iteratorINS7_10device_ptrIyEEEESJ_S9_S9_S9_S9_S9_S9_S9_S9_EEEEPSB_SM_NS0_5tupleIJNSE_INS8_ISJ_NS7_16discard_iteratorINS7_11use_defaultEEES9_S9_S9_S9_S9_S9_S9_S9_EEEESB_EEENSN_IJSM_SM_EEESB_PlJNSF_9not_fun_tINSF_14equal_to_valueISA_EEEEEEE10hipError_tPvRmT3_T4_T5_T6_T7_T9_mT8_P12ihipStream_tbDpT10_ENKUlT_T0_E_clISt17integral_constantIbLb0EES1I_IbLb1EEEEDaS1E_S1F_EUlS1E_E_NS1_11comp_targetILNS1_3genE4ELNS1_11target_archE910ELNS1_3gpuE8ELNS1_3repE0EEENS1_30default_config_static_selectorELNS0_4arch9wavefront6targetE0EEEvT1_
; %bb.0:
	.section	.rodata,"a",@progbits
	.p2align	6, 0x0
	.amdhsa_kernel _ZN7rocprim17ROCPRIM_400000_NS6detail17trampoline_kernelINS0_14default_configENS1_25partition_config_selectorILNS1_17partition_subalgoE6EN6thrust23THRUST_200600_302600_NS5tupleIyyNS7_9null_typeES9_S9_S9_S9_S9_S9_S9_EENS0_10empty_typeEbEEZZNS1_14partition_implILS5_6ELb0ES3_mNS7_12zip_iteratorINS8_INS7_6detail15normal_iteratorINS7_10device_ptrIyEEEESJ_S9_S9_S9_S9_S9_S9_S9_S9_EEEEPSB_SM_NS0_5tupleIJNSE_INS8_ISJ_NS7_16discard_iteratorINS7_11use_defaultEEES9_S9_S9_S9_S9_S9_S9_S9_EEEESB_EEENSN_IJSM_SM_EEESB_PlJNSF_9not_fun_tINSF_14equal_to_valueISA_EEEEEEE10hipError_tPvRmT3_T4_T5_T6_T7_T9_mT8_P12ihipStream_tbDpT10_ENKUlT_T0_E_clISt17integral_constantIbLb0EES1I_IbLb1EEEEDaS1E_S1F_EUlS1E_E_NS1_11comp_targetILNS1_3genE4ELNS1_11target_archE910ELNS1_3gpuE8ELNS1_3repE0EEENS1_30default_config_static_selectorELNS0_4arch9wavefront6targetE0EEEvT1_
		.amdhsa_group_segment_fixed_size 0
		.amdhsa_private_segment_fixed_size 0
		.amdhsa_kernarg_size 160
		.amdhsa_user_sgpr_count 2
		.amdhsa_user_sgpr_dispatch_ptr 0
		.amdhsa_user_sgpr_queue_ptr 0
		.amdhsa_user_sgpr_kernarg_segment_ptr 1
		.amdhsa_user_sgpr_dispatch_id 0
		.amdhsa_user_sgpr_private_segment_size 0
		.amdhsa_wavefront_size32 1
		.amdhsa_uses_dynamic_stack 0
		.amdhsa_enable_private_segment 0
		.amdhsa_system_sgpr_workgroup_id_x 1
		.amdhsa_system_sgpr_workgroup_id_y 0
		.amdhsa_system_sgpr_workgroup_id_z 0
		.amdhsa_system_sgpr_workgroup_info 0
		.amdhsa_system_vgpr_workitem_id 0
		.amdhsa_next_free_vgpr 1
		.amdhsa_next_free_sgpr 1
		.amdhsa_reserve_vcc 0
		.amdhsa_float_round_mode_32 0
		.amdhsa_float_round_mode_16_64 0
		.amdhsa_float_denorm_mode_32 3
		.amdhsa_float_denorm_mode_16_64 3
		.amdhsa_fp16_overflow 0
		.amdhsa_workgroup_processor_mode 1
		.amdhsa_memory_ordered 1
		.amdhsa_forward_progress 1
		.amdhsa_inst_pref_size 0
		.amdhsa_round_robin_scheduling 0
		.amdhsa_exception_fp_ieee_invalid_op 0
		.amdhsa_exception_fp_denorm_src 0
		.amdhsa_exception_fp_ieee_div_zero 0
		.amdhsa_exception_fp_ieee_overflow 0
		.amdhsa_exception_fp_ieee_underflow 0
		.amdhsa_exception_fp_ieee_inexact 0
		.amdhsa_exception_int_div_zero 0
	.end_amdhsa_kernel
	.section	.text._ZN7rocprim17ROCPRIM_400000_NS6detail17trampoline_kernelINS0_14default_configENS1_25partition_config_selectorILNS1_17partition_subalgoE6EN6thrust23THRUST_200600_302600_NS5tupleIyyNS7_9null_typeES9_S9_S9_S9_S9_S9_S9_EENS0_10empty_typeEbEEZZNS1_14partition_implILS5_6ELb0ES3_mNS7_12zip_iteratorINS8_INS7_6detail15normal_iteratorINS7_10device_ptrIyEEEESJ_S9_S9_S9_S9_S9_S9_S9_S9_EEEEPSB_SM_NS0_5tupleIJNSE_INS8_ISJ_NS7_16discard_iteratorINS7_11use_defaultEEES9_S9_S9_S9_S9_S9_S9_S9_EEEESB_EEENSN_IJSM_SM_EEESB_PlJNSF_9not_fun_tINSF_14equal_to_valueISA_EEEEEEE10hipError_tPvRmT3_T4_T5_T6_T7_T9_mT8_P12ihipStream_tbDpT10_ENKUlT_T0_E_clISt17integral_constantIbLb0EES1I_IbLb1EEEEDaS1E_S1F_EUlS1E_E_NS1_11comp_targetILNS1_3genE4ELNS1_11target_archE910ELNS1_3gpuE8ELNS1_3repE0EEENS1_30default_config_static_selectorELNS0_4arch9wavefront6targetE0EEEvT1_,"axG",@progbits,_ZN7rocprim17ROCPRIM_400000_NS6detail17trampoline_kernelINS0_14default_configENS1_25partition_config_selectorILNS1_17partition_subalgoE6EN6thrust23THRUST_200600_302600_NS5tupleIyyNS7_9null_typeES9_S9_S9_S9_S9_S9_S9_EENS0_10empty_typeEbEEZZNS1_14partition_implILS5_6ELb0ES3_mNS7_12zip_iteratorINS8_INS7_6detail15normal_iteratorINS7_10device_ptrIyEEEESJ_S9_S9_S9_S9_S9_S9_S9_S9_EEEEPSB_SM_NS0_5tupleIJNSE_INS8_ISJ_NS7_16discard_iteratorINS7_11use_defaultEEES9_S9_S9_S9_S9_S9_S9_S9_EEEESB_EEENSN_IJSM_SM_EEESB_PlJNSF_9not_fun_tINSF_14equal_to_valueISA_EEEEEEE10hipError_tPvRmT3_T4_T5_T6_T7_T9_mT8_P12ihipStream_tbDpT10_ENKUlT_T0_E_clISt17integral_constantIbLb0EES1I_IbLb1EEEEDaS1E_S1F_EUlS1E_E_NS1_11comp_targetILNS1_3genE4ELNS1_11target_archE910ELNS1_3gpuE8ELNS1_3repE0EEENS1_30default_config_static_selectorELNS0_4arch9wavefront6targetE0EEEvT1_,comdat
.Lfunc_end1911:
	.size	_ZN7rocprim17ROCPRIM_400000_NS6detail17trampoline_kernelINS0_14default_configENS1_25partition_config_selectorILNS1_17partition_subalgoE6EN6thrust23THRUST_200600_302600_NS5tupleIyyNS7_9null_typeES9_S9_S9_S9_S9_S9_S9_EENS0_10empty_typeEbEEZZNS1_14partition_implILS5_6ELb0ES3_mNS7_12zip_iteratorINS8_INS7_6detail15normal_iteratorINS7_10device_ptrIyEEEESJ_S9_S9_S9_S9_S9_S9_S9_S9_EEEEPSB_SM_NS0_5tupleIJNSE_INS8_ISJ_NS7_16discard_iteratorINS7_11use_defaultEEES9_S9_S9_S9_S9_S9_S9_S9_EEEESB_EEENSN_IJSM_SM_EEESB_PlJNSF_9not_fun_tINSF_14equal_to_valueISA_EEEEEEE10hipError_tPvRmT3_T4_T5_T6_T7_T9_mT8_P12ihipStream_tbDpT10_ENKUlT_T0_E_clISt17integral_constantIbLb0EES1I_IbLb1EEEEDaS1E_S1F_EUlS1E_E_NS1_11comp_targetILNS1_3genE4ELNS1_11target_archE910ELNS1_3gpuE8ELNS1_3repE0EEENS1_30default_config_static_selectorELNS0_4arch9wavefront6targetE0EEEvT1_, .Lfunc_end1911-_ZN7rocprim17ROCPRIM_400000_NS6detail17trampoline_kernelINS0_14default_configENS1_25partition_config_selectorILNS1_17partition_subalgoE6EN6thrust23THRUST_200600_302600_NS5tupleIyyNS7_9null_typeES9_S9_S9_S9_S9_S9_S9_EENS0_10empty_typeEbEEZZNS1_14partition_implILS5_6ELb0ES3_mNS7_12zip_iteratorINS8_INS7_6detail15normal_iteratorINS7_10device_ptrIyEEEESJ_S9_S9_S9_S9_S9_S9_S9_S9_EEEEPSB_SM_NS0_5tupleIJNSE_INS8_ISJ_NS7_16discard_iteratorINS7_11use_defaultEEES9_S9_S9_S9_S9_S9_S9_S9_EEEESB_EEENSN_IJSM_SM_EEESB_PlJNSF_9not_fun_tINSF_14equal_to_valueISA_EEEEEEE10hipError_tPvRmT3_T4_T5_T6_T7_T9_mT8_P12ihipStream_tbDpT10_ENKUlT_T0_E_clISt17integral_constantIbLb0EES1I_IbLb1EEEEDaS1E_S1F_EUlS1E_E_NS1_11comp_targetILNS1_3genE4ELNS1_11target_archE910ELNS1_3gpuE8ELNS1_3repE0EEENS1_30default_config_static_selectorELNS0_4arch9wavefront6targetE0EEEvT1_
                                        ; -- End function
	.set _ZN7rocprim17ROCPRIM_400000_NS6detail17trampoline_kernelINS0_14default_configENS1_25partition_config_selectorILNS1_17partition_subalgoE6EN6thrust23THRUST_200600_302600_NS5tupleIyyNS7_9null_typeES9_S9_S9_S9_S9_S9_S9_EENS0_10empty_typeEbEEZZNS1_14partition_implILS5_6ELb0ES3_mNS7_12zip_iteratorINS8_INS7_6detail15normal_iteratorINS7_10device_ptrIyEEEESJ_S9_S9_S9_S9_S9_S9_S9_S9_EEEEPSB_SM_NS0_5tupleIJNSE_INS8_ISJ_NS7_16discard_iteratorINS7_11use_defaultEEES9_S9_S9_S9_S9_S9_S9_S9_EEEESB_EEENSN_IJSM_SM_EEESB_PlJNSF_9not_fun_tINSF_14equal_to_valueISA_EEEEEEE10hipError_tPvRmT3_T4_T5_T6_T7_T9_mT8_P12ihipStream_tbDpT10_ENKUlT_T0_E_clISt17integral_constantIbLb0EES1I_IbLb1EEEEDaS1E_S1F_EUlS1E_E_NS1_11comp_targetILNS1_3genE4ELNS1_11target_archE910ELNS1_3gpuE8ELNS1_3repE0EEENS1_30default_config_static_selectorELNS0_4arch9wavefront6targetE0EEEvT1_.num_vgpr, 0
	.set _ZN7rocprim17ROCPRIM_400000_NS6detail17trampoline_kernelINS0_14default_configENS1_25partition_config_selectorILNS1_17partition_subalgoE6EN6thrust23THRUST_200600_302600_NS5tupleIyyNS7_9null_typeES9_S9_S9_S9_S9_S9_S9_EENS0_10empty_typeEbEEZZNS1_14partition_implILS5_6ELb0ES3_mNS7_12zip_iteratorINS8_INS7_6detail15normal_iteratorINS7_10device_ptrIyEEEESJ_S9_S9_S9_S9_S9_S9_S9_S9_EEEEPSB_SM_NS0_5tupleIJNSE_INS8_ISJ_NS7_16discard_iteratorINS7_11use_defaultEEES9_S9_S9_S9_S9_S9_S9_S9_EEEESB_EEENSN_IJSM_SM_EEESB_PlJNSF_9not_fun_tINSF_14equal_to_valueISA_EEEEEEE10hipError_tPvRmT3_T4_T5_T6_T7_T9_mT8_P12ihipStream_tbDpT10_ENKUlT_T0_E_clISt17integral_constantIbLb0EES1I_IbLb1EEEEDaS1E_S1F_EUlS1E_E_NS1_11comp_targetILNS1_3genE4ELNS1_11target_archE910ELNS1_3gpuE8ELNS1_3repE0EEENS1_30default_config_static_selectorELNS0_4arch9wavefront6targetE0EEEvT1_.num_agpr, 0
	.set _ZN7rocprim17ROCPRIM_400000_NS6detail17trampoline_kernelINS0_14default_configENS1_25partition_config_selectorILNS1_17partition_subalgoE6EN6thrust23THRUST_200600_302600_NS5tupleIyyNS7_9null_typeES9_S9_S9_S9_S9_S9_S9_EENS0_10empty_typeEbEEZZNS1_14partition_implILS5_6ELb0ES3_mNS7_12zip_iteratorINS8_INS7_6detail15normal_iteratorINS7_10device_ptrIyEEEESJ_S9_S9_S9_S9_S9_S9_S9_S9_EEEEPSB_SM_NS0_5tupleIJNSE_INS8_ISJ_NS7_16discard_iteratorINS7_11use_defaultEEES9_S9_S9_S9_S9_S9_S9_S9_EEEESB_EEENSN_IJSM_SM_EEESB_PlJNSF_9not_fun_tINSF_14equal_to_valueISA_EEEEEEE10hipError_tPvRmT3_T4_T5_T6_T7_T9_mT8_P12ihipStream_tbDpT10_ENKUlT_T0_E_clISt17integral_constantIbLb0EES1I_IbLb1EEEEDaS1E_S1F_EUlS1E_E_NS1_11comp_targetILNS1_3genE4ELNS1_11target_archE910ELNS1_3gpuE8ELNS1_3repE0EEENS1_30default_config_static_selectorELNS0_4arch9wavefront6targetE0EEEvT1_.numbered_sgpr, 0
	.set _ZN7rocprim17ROCPRIM_400000_NS6detail17trampoline_kernelINS0_14default_configENS1_25partition_config_selectorILNS1_17partition_subalgoE6EN6thrust23THRUST_200600_302600_NS5tupleIyyNS7_9null_typeES9_S9_S9_S9_S9_S9_S9_EENS0_10empty_typeEbEEZZNS1_14partition_implILS5_6ELb0ES3_mNS7_12zip_iteratorINS8_INS7_6detail15normal_iteratorINS7_10device_ptrIyEEEESJ_S9_S9_S9_S9_S9_S9_S9_S9_EEEEPSB_SM_NS0_5tupleIJNSE_INS8_ISJ_NS7_16discard_iteratorINS7_11use_defaultEEES9_S9_S9_S9_S9_S9_S9_S9_EEEESB_EEENSN_IJSM_SM_EEESB_PlJNSF_9not_fun_tINSF_14equal_to_valueISA_EEEEEEE10hipError_tPvRmT3_T4_T5_T6_T7_T9_mT8_P12ihipStream_tbDpT10_ENKUlT_T0_E_clISt17integral_constantIbLb0EES1I_IbLb1EEEEDaS1E_S1F_EUlS1E_E_NS1_11comp_targetILNS1_3genE4ELNS1_11target_archE910ELNS1_3gpuE8ELNS1_3repE0EEENS1_30default_config_static_selectorELNS0_4arch9wavefront6targetE0EEEvT1_.num_named_barrier, 0
	.set _ZN7rocprim17ROCPRIM_400000_NS6detail17trampoline_kernelINS0_14default_configENS1_25partition_config_selectorILNS1_17partition_subalgoE6EN6thrust23THRUST_200600_302600_NS5tupleIyyNS7_9null_typeES9_S9_S9_S9_S9_S9_S9_EENS0_10empty_typeEbEEZZNS1_14partition_implILS5_6ELb0ES3_mNS7_12zip_iteratorINS8_INS7_6detail15normal_iteratorINS7_10device_ptrIyEEEESJ_S9_S9_S9_S9_S9_S9_S9_S9_EEEEPSB_SM_NS0_5tupleIJNSE_INS8_ISJ_NS7_16discard_iteratorINS7_11use_defaultEEES9_S9_S9_S9_S9_S9_S9_S9_EEEESB_EEENSN_IJSM_SM_EEESB_PlJNSF_9not_fun_tINSF_14equal_to_valueISA_EEEEEEE10hipError_tPvRmT3_T4_T5_T6_T7_T9_mT8_P12ihipStream_tbDpT10_ENKUlT_T0_E_clISt17integral_constantIbLb0EES1I_IbLb1EEEEDaS1E_S1F_EUlS1E_E_NS1_11comp_targetILNS1_3genE4ELNS1_11target_archE910ELNS1_3gpuE8ELNS1_3repE0EEENS1_30default_config_static_selectorELNS0_4arch9wavefront6targetE0EEEvT1_.private_seg_size, 0
	.set _ZN7rocprim17ROCPRIM_400000_NS6detail17trampoline_kernelINS0_14default_configENS1_25partition_config_selectorILNS1_17partition_subalgoE6EN6thrust23THRUST_200600_302600_NS5tupleIyyNS7_9null_typeES9_S9_S9_S9_S9_S9_S9_EENS0_10empty_typeEbEEZZNS1_14partition_implILS5_6ELb0ES3_mNS7_12zip_iteratorINS8_INS7_6detail15normal_iteratorINS7_10device_ptrIyEEEESJ_S9_S9_S9_S9_S9_S9_S9_S9_EEEEPSB_SM_NS0_5tupleIJNSE_INS8_ISJ_NS7_16discard_iteratorINS7_11use_defaultEEES9_S9_S9_S9_S9_S9_S9_S9_EEEESB_EEENSN_IJSM_SM_EEESB_PlJNSF_9not_fun_tINSF_14equal_to_valueISA_EEEEEEE10hipError_tPvRmT3_T4_T5_T6_T7_T9_mT8_P12ihipStream_tbDpT10_ENKUlT_T0_E_clISt17integral_constantIbLb0EES1I_IbLb1EEEEDaS1E_S1F_EUlS1E_E_NS1_11comp_targetILNS1_3genE4ELNS1_11target_archE910ELNS1_3gpuE8ELNS1_3repE0EEENS1_30default_config_static_selectorELNS0_4arch9wavefront6targetE0EEEvT1_.uses_vcc, 0
	.set _ZN7rocprim17ROCPRIM_400000_NS6detail17trampoline_kernelINS0_14default_configENS1_25partition_config_selectorILNS1_17partition_subalgoE6EN6thrust23THRUST_200600_302600_NS5tupleIyyNS7_9null_typeES9_S9_S9_S9_S9_S9_S9_EENS0_10empty_typeEbEEZZNS1_14partition_implILS5_6ELb0ES3_mNS7_12zip_iteratorINS8_INS7_6detail15normal_iteratorINS7_10device_ptrIyEEEESJ_S9_S9_S9_S9_S9_S9_S9_S9_EEEEPSB_SM_NS0_5tupleIJNSE_INS8_ISJ_NS7_16discard_iteratorINS7_11use_defaultEEES9_S9_S9_S9_S9_S9_S9_S9_EEEESB_EEENSN_IJSM_SM_EEESB_PlJNSF_9not_fun_tINSF_14equal_to_valueISA_EEEEEEE10hipError_tPvRmT3_T4_T5_T6_T7_T9_mT8_P12ihipStream_tbDpT10_ENKUlT_T0_E_clISt17integral_constantIbLb0EES1I_IbLb1EEEEDaS1E_S1F_EUlS1E_E_NS1_11comp_targetILNS1_3genE4ELNS1_11target_archE910ELNS1_3gpuE8ELNS1_3repE0EEENS1_30default_config_static_selectorELNS0_4arch9wavefront6targetE0EEEvT1_.uses_flat_scratch, 0
	.set _ZN7rocprim17ROCPRIM_400000_NS6detail17trampoline_kernelINS0_14default_configENS1_25partition_config_selectorILNS1_17partition_subalgoE6EN6thrust23THRUST_200600_302600_NS5tupleIyyNS7_9null_typeES9_S9_S9_S9_S9_S9_S9_EENS0_10empty_typeEbEEZZNS1_14partition_implILS5_6ELb0ES3_mNS7_12zip_iteratorINS8_INS7_6detail15normal_iteratorINS7_10device_ptrIyEEEESJ_S9_S9_S9_S9_S9_S9_S9_S9_EEEEPSB_SM_NS0_5tupleIJNSE_INS8_ISJ_NS7_16discard_iteratorINS7_11use_defaultEEES9_S9_S9_S9_S9_S9_S9_S9_EEEESB_EEENSN_IJSM_SM_EEESB_PlJNSF_9not_fun_tINSF_14equal_to_valueISA_EEEEEEE10hipError_tPvRmT3_T4_T5_T6_T7_T9_mT8_P12ihipStream_tbDpT10_ENKUlT_T0_E_clISt17integral_constantIbLb0EES1I_IbLb1EEEEDaS1E_S1F_EUlS1E_E_NS1_11comp_targetILNS1_3genE4ELNS1_11target_archE910ELNS1_3gpuE8ELNS1_3repE0EEENS1_30default_config_static_selectorELNS0_4arch9wavefront6targetE0EEEvT1_.has_dyn_sized_stack, 0
	.set _ZN7rocprim17ROCPRIM_400000_NS6detail17trampoline_kernelINS0_14default_configENS1_25partition_config_selectorILNS1_17partition_subalgoE6EN6thrust23THRUST_200600_302600_NS5tupleIyyNS7_9null_typeES9_S9_S9_S9_S9_S9_S9_EENS0_10empty_typeEbEEZZNS1_14partition_implILS5_6ELb0ES3_mNS7_12zip_iteratorINS8_INS7_6detail15normal_iteratorINS7_10device_ptrIyEEEESJ_S9_S9_S9_S9_S9_S9_S9_S9_EEEEPSB_SM_NS0_5tupleIJNSE_INS8_ISJ_NS7_16discard_iteratorINS7_11use_defaultEEES9_S9_S9_S9_S9_S9_S9_S9_EEEESB_EEENSN_IJSM_SM_EEESB_PlJNSF_9not_fun_tINSF_14equal_to_valueISA_EEEEEEE10hipError_tPvRmT3_T4_T5_T6_T7_T9_mT8_P12ihipStream_tbDpT10_ENKUlT_T0_E_clISt17integral_constantIbLb0EES1I_IbLb1EEEEDaS1E_S1F_EUlS1E_E_NS1_11comp_targetILNS1_3genE4ELNS1_11target_archE910ELNS1_3gpuE8ELNS1_3repE0EEENS1_30default_config_static_selectorELNS0_4arch9wavefront6targetE0EEEvT1_.has_recursion, 0
	.set _ZN7rocprim17ROCPRIM_400000_NS6detail17trampoline_kernelINS0_14default_configENS1_25partition_config_selectorILNS1_17partition_subalgoE6EN6thrust23THRUST_200600_302600_NS5tupleIyyNS7_9null_typeES9_S9_S9_S9_S9_S9_S9_EENS0_10empty_typeEbEEZZNS1_14partition_implILS5_6ELb0ES3_mNS7_12zip_iteratorINS8_INS7_6detail15normal_iteratorINS7_10device_ptrIyEEEESJ_S9_S9_S9_S9_S9_S9_S9_S9_EEEEPSB_SM_NS0_5tupleIJNSE_INS8_ISJ_NS7_16discard_iteratorINS7_11use_defaultEEES9_S9_S9_S9_S9_S9_S9_S9_EEEESB_EEENSN_IJSM_SM_EEESB_PlJNSF_9not_fun_tINSF_14equal_to_valueISA_EEEEEEE10hipError_tPvRmT3_T4_T5_T6_T7_T9_mT8_P12ihipStream_tbDpT10_ENKUlT_T0_E_clISt17integral_constantIbLb0EES1I_IbLb1EEEEDaS1E_S1F_EUlS1E_E_NS1_11comp_targetILNS1_3genE4ELNS1_11target_archE910ELNS1_3gpuE8ELNS1_3repE0EEENS1_30default_config_static_selectorELNS0_4arch9wavefront6targetE0EEEvT1_.has_indirect_call, 0
	.section	.AMDGPU.csdata,"",@progbits
; Kernel info:
; codeLenInByte = 0
; TotalNumSgprs: 0
; NumVgprs: 0
; ScratchSize: 0
; MemoryBound: 0
; FloatMode: 240
; IeeeMode: 1
; LDSByteSize: 0 bytes/workgroup (compile time only)
; SGPRBlocks: 0
; VGPRBlocks: 0
; NumSGPRsForWavesPerEU: 1
; NumVGPRsForWavesPerEU: 1
; Occupancy: 16
; WaveLimiterHint : 0
; COMPUTE_PGM_RSRC2:SCRATCH_EN: 0
; COMPUTE_PGM_RSRC2:USER_SGPR: 2
; COMPUTE_PGM_RSRC2:TRAP_HANDLER: 0
; COMPUTE_PGM_RSRC2:TGID_X_EN: 1
; COMPUTE_PGM_RSRC2:TGID_Y_EN: 0
; COMPUTE_PGM_RSRC2:TGID_Z_EN: 0
; COMPUTE_PGM_RSRC2:TIDIG_COMP_CNT: 0
	.section	.text._ZN7rocprim17ROCPRIM_400000_NS6detail17trampoline_kernelINS0_14default_configENS1_25partition_config_selectorILNS1_17partition_subalgoE6EN6thrust23THRUST_200600_302600_NS5tupleIyyNS7_9null_typeES9_S9_S9_S9_S9_S9_S9_EENS0_10empty_typeEbEEZZNS1_14partition_implILS5_6ELb0ES3_mNS7_12zip_iteratorINS8_INS7_6detail15normal_iteratorINS7_10device_ptrIyEEEESJ_S9_S9_S9_S9_S9_S9_S9_S9_EEEEPSB_SM_NS0_5tupleIJNSE_INS8_ISJ_NS7_16discard_iteratorINS7_11use_defaultEEES9_S9_S9_S9_S9_S9_S9_S9_EEEESB_EEENSN_IJSM_SM_EEESB_PlJNSF_9not_fun_tINSF_14equal_to_valueISA_EEEEEEE10hipError_tPvRmT3_T4_T5_T6_T7_T9_mT8_P12ihipStream_tbDpT10_ENKUlT_T0_E_clISt17integral_constantIbLb0EES1I_IbLb1EEEEDaS1E_S1F_EUlS1E_E_NS1_11comp_targetILNS1_3genE3ELNS1_11target_archE908ELNS1_3gpuE7ELNS1_3repE0EEENS1_30default_config_static_selectorELNS0_4arch9wavefront6targetE0EEEvT1_,"axG",@progbits,_ZN7rocprim17ROCPRIM_400000_NS6detail17trampoline_kernelINS0_14default_configENS1_25partition_config_selectorILNS1_17partition_subalgoE6EN6thrust23THRUST_200600_302600_NS5tupleIyyNS7_9null_typeES9_S9_S9_S9_S9_S9_S9_EENS0_10empty_typeEbEEZZNS1_14partition_implILS5_6ELb0ES3_mNS7_12zip_iteratorINS8_INS7_6detail15normal_iteratorINS7_10device_ptrIyEEEESJ_S9_S9_S9_S9_S9_S9_S9_S9_EEEEPSB_SM_NS0_5tupleIJNSE_INS8_ISJ_NS7_16discard_iteratorINS7_11use_defaultEEES9_S9_S9_S9_S9_S9_S9_S9_EEEESB_EEENSN_IJSM_SM_EEESB_PlJNSF_9not_fun_tINSF_14equal_to_valueISA_EEEEEEE10hipError_tPvRmT3_T4_T5_T6_T7_T9_mT8_P12ihipStream_tbDpT10_ENKUlT_T0_E_clISt17integral_constantIbLb0EES1I_IbLb1EEEEDaS1E_S1F_EUlS1E_E_NS1_11comp_targetILNS1_3genE3ELNS1_11target_archE908ELNS1_3gpuE7ELNS1_3repE0EEENS1_30default_config_static_selectorELNS0_4arch9wavefront6targetE0EEEvT1_,comdat
	.protected	_ZN7rocprim17ROCPRIM_400000_NS6detail17trampoline_kernelINS0_14default_configENS1_25partition_config_selectorILNS1_17partition_subalgoE6EN6thrust23THRUST_200600_302600_NS5tupleIyyNS7_9null_typeES9_S9_S9_S9_S9_S9_S9_EENS0_10empty_typeEbEEZZNS1_14partition_implILS5_6ELb0ES3_mNS7_12zip_iteratorINS8_INS7_6detail15normal_iteratorINS7_10device_ptrIyEEEESJ_S9_S9_S9_S9_S9_S9_S9_S9_EEEEPSB_SM_NS0_5tupleIJNSE_INS8_ISJ_NS7_16discard_iteratorINS7_11use_defaultEEES9_S9_S9_S9_S9_S9_S9_S9_EEEESB_EEENSN_IJSM_SM_EEESB_PlJNSF_9not_fun_tINSF_14equal_to_valueISA_EEEEEEE10hipError_tPvRmT3_T4_T5_T6_T7_T9_mT8_P12ihipStream_tbDpT10_ENKUlT_T0_E_clISt17integral_constantIbLb0EES1I_IbLb1EEEEDaS1E_S1F_EUlS1E_E_NS1_11comp_targetILNS1_3genE3ELNS1_11target_archE908ELNS1_3gpuE7ELNS1_3repE0EEENS1_30default_config_static_selectorELNS0_4arch9wavefront6targetE0EEEvT1_ ; -- Begin function _ZN7rocprim17ROCPRIM_400000_NS6detail17trampoline_kernelINS0_14default_configENS1_25partition_config_selectorILNS1_17partition_subalgoE6EN6thrust23THRUST_200600_302600_NS5tupleIyyNS7_9null_typeES9_S9_S9_S9_S9_S9_S9_EENS0_10empty_typeEbEEZZNS1_14partition_implILS5_6ELb0ES3_mNS7_12zip_iteratorINS8_INS7_6detail15normal_iteratorINS7_10device_ptrIyEEEESJ_S9_S9_S9_S9_S9_S9_S9_S9_EEEEPSB_SM_NS0_5tupleIJNSE_INS8_ISJ_NS7_16discard_iteratorINS7_11use_defaultEEES9_S9_S9_S9_S9_S9_S9_S9_EEEESB_EEENSN_IJSM_SM_EEESB_PlJNSF_9not_fun_tINSF_14equal_to_valueISA_EEEEEEE10hipError_tPvRmT3_T4_T5_T6_T7_T9_mT8_P12ihipStream_tbDpT10_ENKUlT_T0_E_clISt17integral_constantIbLb0EES1I_IbLb1EEEEDaS1E_S1F_EUlS1E_E_NS1_11comp_targetILNS1_3genE3ELNS1_11target_archE908ELNS1_3gpuE7ELNS1_3repE0EEENS1_30default_config_static_selectorELNS0_4arch9wavefront6targetE0EEEvT1_
	.globl	_ZN7rocprim17ROCPRIM_400000_NS6detail17trampoline_kernelINS0_14default_configENS1_25partition_config_selectorILNS1_17partition_subalgoE6EN6thrust23THRUST_200600_302600_NS5tupleIyyNS7_9null_typeES9_S9_S9_S9_S9_S9_S9_EENS0_10empty_typeEbEEZZNS1_14partition_implILS5_6ELb0ES3_mNS7_12zip_iteratorINS8_INS7_6detail15normal_iteratorINS7_10device_ptrIyEEEESJ_S9_S9_S9_S9_S9_S9_S9_S9_EEEEPSB_SM_NS0_5tupleIJNSE_INS8_ISJ_NS7_16discard_iteratorINS7_11use_defaultEEES9_S9_S9_S9_S9_S9_S9_S9_EEEESB_EEENSN_IJSM_SM_EEESB_PlJNSF_9not_fun_tINSF_14equal_to_valueISA_EEEEEEE10hipError_tPvRmT3_T4_T5_T6_T7_T9_mT8_P12ihipStream_tbDpT10_ENKUlT_T0_E_clISt17integral_constantIbLb0EES1I_IbLb1EEEEDaS1E_S1F_EUlS1E_E_NS1_11comp_targetILNS1_3genE3ELNS1_11target_archE908ELNS1_3gpuE7ELNS1_3repE0EEENS1_30default_config_static_selectorELNS0_4arch9wavefront6targetE0EEEvT1_
	.p2align	8
	.type	_ZN7rocprim17ROCPRIM_400000_NS6detail17trampoline_kernelINS0_14default_configENS1_25partition_config_selectorILNS1_17partition_subalgoE6EN6thrust23THRUST_200600_302600_NS5tupleIyyNS7_9null_typeES9_S9_S9_S9_S9_S9_S9_EENS0_10empty_typeEbEEZZNS1_14partition_implILS5_6ELb0ES3_mNS7_12zip_iteratorINS8_INS7_6detail15normal_iteratorINS7_10device_ptrIyEEEESJ_S9_S9_S9_S9_S9_S9_S9_S9_EEEEPSB_SM_NS0_5tupleIJNSE_INS8_ISJ_NS7_16discard_iteratorINS7_11use_defaultEEES9_S9_S9_S9_S9_S9_S9_S9_EEEESB_EEENSN_IJSM_SM_EEESB_PlJNSF_9not_fun_tINSF_14equal_to_valueISA_EEEEEEE10hipError_tPvRmT3_T4_T5_T6_T7_T9_mT8_P12ihipStream_tbDpT10_ENKUlT_T0_E_clISt17integral_constantIbLb0EES1I_IbLb1EEEEDaS1E_S1F_EUlS1E_E_NS1_11comp_targetILNS1_3genE3ELNS1_11target_archE908ELNS1_3gpuE7ELNS1_3repE0EEENS1_30default_config_static_selectorELNS0_4arch9wavefront6targetE0EEEvT1_,@function
_ZN7rocprim17ROCPRIM_400000_NS6detail17trampoline_kernelINS0_14default_configENS1_25partition_config_selectorILNS1_17partition_subalgoE6EN6thrust23THRUST_200600_302600_NS5tupleIyyNS7_9null_typeES9_S9_S9_S9_S9_S9_S9_EENS0_10empty_typeEbEEZZNS1_14partition_implILS5_6ELb0ES3_mNS7_12zip_iteratorINS8_INS7_6detail15normal_iteratorINS7_10device_ptrIyEEEESJ_S9_S9_S9_S9_S9_S9_S9_S9_EEEEPSB_SM_NS0_5tupleIJNSE_INS8_ISJ_NS7_16discard_iteratorINS7_11use_defaultEEES9_S9_S9_S9_S9_S9_S9_S9_EEEESB_EEENSN_IJSM_SM_EEESB_PlJNSF_9not_fun_tINSF_14equal_to_valueISA_EEEEEEE10hipError_tPvRmT3_T4_T5_T6_T7_T9_mT8_P12ihipStream_tbDpT10_ENKUlT_T0_E_clISt17integral_constantIbLb0EES1I_IbLb1EEEEDaS1E_S1F_EUlS1E_E_NS1_11comp_targetILNS1_3genE3ELNS1_11target_archE908ELNS1_3gpuE7ELNS1_3repE0EEENS1_30default_config_static_selectorELNS0_4arch9wavefront6targetE0EEEvT1_: ; @_ZN7rocprim17ROCPRIM_400000_NS6detail17trampoline_kernelINS0_14default_configENS1_25partition_config_selectorILNS1_17partition_subalgoE6EN6thrust23THRUST_200600_302600_NS5tupleIyyNS7_9null_typeES9_S9_S9_S9_S9_S9_S9_EENS0_10empty_typeEbEEZZNS1_14partition_implILS5_6ELb0ES3_mNS7_12zip_iteratorINS8_INS7_6detail15normal_iteratorINS7_10device_ptrIyEEEESJ_S9_S9_S9_S9_S9_S9_S9_S9_EEEEPSB_SM_NS0_5tupleIJNSE_INS8_ISJ_NS7_16discard_iteratorINS7_11use_defaultEEES9_S9_S9_S9_S9_S9_S9_S9_EEEESB_EEENSN_IJSM_SM_EEESB_PlJNSF_9not_fun_tINSF_14equal_to_valueISA_EEEEEEE10hipError_tPvRmT3_T4_T5_T6_T7_T9_mT8_P12ihipStream_tbDpT10_ENKUlT_T0_E_clISt17integral_constantIbLb0EES1I_IbLb1EEEEDaS1E_S1F_EUlS1E_E_NS1_11comp_targetILNS1_3genE3ELNS1_11target_archE908ELNS1_3gpuE7ELNS1_3repE0EEENS1_30default_config_static_selectorELNS0_4arch9wavefront6targetE0EEEvT1_
; %bb.0:
	.section	.rodata,"a",@progbits
	.p2align	6, 0x0
	.amdhsa_kernel _ZN7rocprim17ROCPRIM_400000_NS6detail17trampoline_kernelINS0_14default_configENS1_25partition_config_selectorILNS1_17partition_subalgoE6EN6thrust23THRUST_200600_302600_NS5tupleIyyNS7_9null_typeES9_S9_S9_S9_S9_S9_S9_EENS0_10empty_typeEbEEZZNS1_14partition_implILS5_6ELb0ES3_mNS7_12zip_iteratorINS8_INS7_6detail15normal_iteratorINS7_10device_ptrIyEEEESJ_S9_S9_S9_S9_S9_S9_S9_S9_EEEEPSB_SM_NS0_5tupleIJNSE_INS8_ISJ_NS7_16discard_iteratorINS7_11use_defaultEEES9_S9_S9_S9_S9_S9_S9_S9_EEEESB_EEENSN_IJSM_SM_EEESB_PlJNSF_9not_fun_tINSF_14equal_to_valueISA_EEEEEEE10hipError_tPvRmT3_T4_T5_T6_T7_T9_mT8_P12ihipStream_tbDpT10_ENKUlT_T0_E_clISt17integral_constantIbLb0EES1I_IbLb1EEEEDaS1E_S1F_EUlS1E_E_NS1_11comp_targetILNS1_3genE3ELNS1_11target_archE908ELNS1_3gpuE7ELNS1_3repE0EEENS1_30default_config_static_selectorELNS0_4arch9wavefront6targetE0EEEvT1_
		.amdhsa_group_segment_fixed_size 0
		.amdhsa_private_segment_fixed_size 0
		.amdhsa_kernarg_size 160
		.amdhsa_user_sgpr_count 2
		.amdhsa_user_sgpr_dispatch_ptr 0
		.amdhsa_user_sgpr_queue_ptr 0
		.amdhsa_user_sgpr_kernarg_segment_ptr 1
		.amdhsa_user_sgpr_dispatch_id 0
		.amdhsa_user_sgpr_private_segment_size 0
		.amdhsa_wavefront_size32 1
		.amdhsa_uses_dynamic_stack 0
		.amdhsa_enable_private_segment 0
		.amdhsa_system_sgpr_workgroup_id_x 1
		.amdhsa_system_sgpr_workgroup_id_y 0
		.amdhsa_system_sgpr_workgroup_id_z 0
		.amdhsa_system_sgpr_workgroup_info 0
		.amdhsa_system_vgpr_workitem_id 0
		.amdhsa_next_free_vgpr 1
		.amdhsa_next_free_sgpr 1
		.amdhsa_reserve_vcc 0
		.amdhsa_float_round_mode_32 0
		.amdhsa_float_round_mode_16_64 0
		.amdhsa_float_denorm_mode_32 3
		.amdhsa_float_denorm_mode_16_64 3
		.amdhsa_fp16_overflow 0
		.amdhsa_workgroup_processor_mode 1
		.amdhsa_memory_ordered 1
		.amdhsa_forward_progress 1
		.amdhsa_inst_pref_size 0
		.amdhsa_round_robin_scheduling 0
		.amdhsa_exception_fp_ieee_invalid_op 0
		.amdhsa_exception_fp_denorm_src 0
		.amdhsa_exception_fp_ieee_div_zero 0
		.amdhsa_exception_fp_ieee_overflow 0
		.amdhsa_exception_fp_ieee_underflow 0
		.amdhsa_exception_fp_ieee_inexact 0
		.amdhsa_exception_int_div_zero 0
	.end_amdhsa_kernel
	.section	.text._ZN7rocprim17ROCPRIM_400000_NS6detail17trampoline_kernelINS0_14default_configENS1_25partition_config_selectorILNS1_17partition_subalgoE6EN6thrust23THRUST_200600_302600_NS5tupleIyyNS7_9null_typeES9_S9_S9_S9_S9_S9_S9_EENS0_10empty_typeEbEEZZNS1_14partition_implILS5_6ELb0ES3_mNS7_12zip_iteratorINS8_INS7_6detail15normal_iteratorINS7_10device_ptrIyEEEESJ_S9_S9_S9_S9_S9_S9_S9_S9_EEEEPSB_SM_NS0_5tupleIJNSE_INS8_ISJ_NS7_16discard_iteratorINS7_11use_defaultEEES9_S9_S9_S9_S9_S9_S9_S9_EEEESB_EEENSN_IJSM_SM_EEESB_PlJNSF_9not_fun_tINSF_14equal_to_valueISA_EEEEEEE10hipError_tPvRmT3_T4_T5_T6_T7_T9_mT8_P12ihipStream_tbDpT10_ENKUlT_T0_E_clISt17integral_constantIbLb0EES1I_IbLb1EEEEDaS1E_S1F_EUlS1E_E_NS1_11comp_targetILNS1_3genE3ELNS1_11target_archE908ELNS1_3gpuE7ELNS1_3repE0EEENS1_30default_config_static_selectorELNS0_4arch9wavefront6targetE0EEEvT1_,"axG",@progbits,_ZN7rocprim17ROCPRIM_400000_NS6detail17trampoline_kernelINS0_14default_configENS1_25partition_config_selectorILNS1_17partition_subalgoE6EN6thrust23THRUST_200600_302600_NS5tupleIyyNS7_9null_typeES9_S9_S9_S9_S9_S9_S9_EENS0_10empty_typeEbEEZZNS1_14partition_implILS5_6ELb0ES3_mNS7_12zip_iteratorINS8_INS7_6detail15normal_iteratorINS7_10device_ptrIyEEEESJ_S9_S9_S9_S9_S9_S9_S9_S9_EEEEPSB_SM_NS0_5tupleIJNSE_INS8_ISJ_NS7_16discard_iteratorINS7_11use_defaultEEES9_S9_S9_S9_S9_S9_S9_S9_EEEESB_EEENSN_IJSM_SM_EEESB_PlJNSF_9not_fun_tINSF_14equal_to_valueISA_EEEEEEE10hipError_tPvRmT3_T4_T5_T6_T7_T9_mT8_P12ihipStream_tbDpT10_ENKUlT_T0_E_clISt17integral_constantIbLb0EES1I_IbLb1EEEEDaS1E_S1F_EUlS1E_E_NS1_11comp_targetILNS1_3genE3ELNS1_11target_archE908ELNS1_3gpuE7ELNS1_3repE0EEENS1_30default_config_static_selectorELNS0_4arch9wavefront6targetE0EEEvT1_,comdat
.Lfunc_end1912:
	.size	_ZN7rocprim17ROCPRIM_400000_NS6detail17trampoline_kernelINS0_14default_configENS1_25partition_config_selectorILNS1_17partition_subalgoE6EN6thrust23THRUST_200600_302600_NS5tupleIyyNS7_9null_typeES9_S9_S9_S9_S9_S9_S9_EENS0_10empty_typeEbEEZZNS1_14partition_implILS5_6ELb0ES3_mNS7_12zip_iteratorINS8_INS7_6detail15normal_iteratorINS7_10device_ptrIyEEEESJ_S9_S9_S9_S9_S9_S9_S9_S9_EEEEPSB_SM_NS0_5tupleIJNSE_INS8_ISJ_NS7_16discard_iteratorINS7_11use_defaultEEES9_S9_S9_S9_S9_S9_S9_S9_EEEESB_EEENSN_IJSM_SM_EEESB_PlJNSF_9not_fun_tINSF_14equal_to_valueISA_EEEEEEE10hipError_tPvRmT3_T4_T5_T6_T7_T9_mT8_P12ihipStream_tbDpT10_ENKUlT_T0_E_clISt17integral_constantIbLb0EES1I_IbLb1EEEEDaS1E_S1F_EUlS1E_E_NS1_11comp_targetILNS1_3genE3ELNS1_11target_archE908ELNS1_3gpuE7ELNS1_3repE0EEENS1_30default_config_static_selectorELNS0_4arch9wavefront6targetE0EEEvT1_, .Lfunc_end1912-_ZN7rocprim17ROCPRIM_400000_NS6detail17trampoline_kernelINS0_14default_configENS1_25partition_config_selectorILNS1_17partition_subalgoE6EN6thrust23THRUST_200600_302600_NS5tupleIyyNS7_9null_typeES9_S9_S9_S9_S9_S9_S9_EENS0_10empty_typeEbEEZZNS1_14partition_implILS5_6ELb0ES3_mNS7_12zip_iteratorINS8_INS7_6detail15normal_iteratorINS7_10device_ptrIyEEEESJ_S9_S9_S9_S9_S9_S9_S9_S9_EEEEPSB_SM_NS0_5tupleIJNSE_INS8_ISJ_NS7_16discard_iteratorINS7_11use_defaultEEES9_S9_S9_S9_S9_S9_S9_S9_EEEESB_EEENSN_IJSM_SM_EEESB_PlJNSF_9not_fun_tINSF_14equal_to_valueISA_EEEEEEE10hipError_tPvRmT3_T4_T5_T6_T7_T9_mT8_P12ihipStream_tbDpT10_ENKUlT_T0_E_clISt17integral_constantIbLb0EES1I_IbLb1EEEEDaS1E_S1F_EUlS1E_E_NS1_11comp_targetILNS1_3genE3ELNS1_11target_archE908ELNS1_3gpuE7ELNS1_3repE0EEENS1_30default_config_static_selectorELNS0_4arch9wavefront6targetE0EEEvT1_
                                        ; -- End function
	.set _ZN7rocprim17ROCPRIM_400000_NS6detail17trampoline_kernelINS0_14default_configENS1_25partition_config_selectorILNS1_17partition_subalgoE6EN6thrust23THRUST_200600_302600_NS5tupleIyyNS7_9null_typeES9_S9_S9_S9_S9_S9_S9_EENS0_10empty_typeEbEEZZNS1_14partition_implILS5_6ELb0ES3_mNS7_12zip_iteratorINS8_INS7_6detail15normal_iteratorINS7_10device_ptrIyEEEESJ_S9_S9_S9_S9_S9_S9_S9_S9_EEEEPSB_SM_NS0_5tupleIJNSE_INS8_ISJ_NS7_16discard_iteratorINS7_11use_defaultEEES9_S9_S9_S9_S9_S9_S9_S9_EEEESB_EEENSN_IJSM_SM_EEESB_PlJNSF_9not_fun_tINSF_14equal_to_valueISA_EEEEEEE10hipError_tPvRmT3_T4_T5_T6_T7_T9_mT8_P12ihipStream_tbDpT10_ENKUlT_T0_E_clISt17integral_constantIbLb0EES1I_IbLb1EEEEDaS1E_S1F_EUlS1E_E_NS1_11comp_targetILNS1_3genE3ELNS1_11target_archE908ELNS1_3gpuE7ELNS1_3repE0EEENS1_30default_config_static_selectorELNS0_4arch9wavefront6targetE0EEEvT1_.num_vgpr, 0
	.set _ZN7rocprim17ROCPRIM_400000_NS6detail17trampoline_kernelINS0_14default_configENS1_25partition_config_selectorILNS1_17partition_subalgoE6EN6thrust23THRUST_200600_302600_NS5tupleIyyNS7_9null_typeES9_S9_S9_S9_S9_S9_S9_EENS0_10empty_typeEbEEZZNS1_14partition_implILS5_6ELb0ES3_mNS7_12zip_iteratorINS8_INS7_6detail15normal_iteratorINS7_10device_ptrIyEEEESJ_S9_S9_S9_S9_S9_S9_S9_S9_EEEEPSB_SM_NS0_5tupleIJNSE_INS8_ISJ_NS7_16discard_iteratorINS7_11use_defaultEEES9_S9_S9_S9_S9_S9_S9_S9_EEEESB_EEENSN_IJSM_SM_EEESB_PlJNSF_9not_fun_tINSF_14equal_to_valueISA_EEEEEEE10hipError_tPvRmT3_T4_T5_T6_T7_T9_mT8_P12ihipStream_tbDpT10_ENKUlT_T0_E_clISt17integral_constantIbLb0EES1I_IbLb1EEEEDaS1E_S1F_EUlS1E_E_NS1_11comp_targetILNS1_3genE3ELNS1_11target_archE908ELNS1_3gpuE7ELNS1_3repE0EEENS1_30default_config_static_selectorELNS0_4arch9wavefront6targetE0EEEvT1_.num_agpr, 0
	.set _ZN7rocprim17ROCPRIM_400000_NS6detail17trampoline_kernelINS0_14default_configENS1_25partition_config_selectorILNS1_17partition_subalgoE6EN6thrust23THRUST_200600_302600_NS5tupleIyyNS7_9null_typeES9_S9_S9_S9_S9_S9_S9_EENS0_10empty_typeEbEEZZNS1_14partition_implILS5_6ELb0ES3_mNS7_12zip_iteratorINS8_INS7_6detail15normal_iteratorINS7_10device_ptrIyEEEESJ_S9_S9_S9_S9_S9_S9_S9_S9_EEEEPSB_SM_NS0_5tupleIJNSE_INS8_ISJ_NS7_16discard_iteratorINS7_11use_defaultEEES9_S9_S9_S9_S9_S9_S9_S9_EEEESB_EEENSN_IJSM_SM_EEESB_PlJNSF_9not_fun_tINSF_14equal_to_valueISA_EEEEEEE10hipError_tPvRmT3_T4_T5_T6_T7_T9_mT8_P12ihipStream_tbDpT10_ENKUlT_T0_E_clISt17integral_constantIbLb0EES1I_IbLb1EEEEDaS1E_S1F_EUlS1E_E_NS1_11comp_targetILNS1_3genE3ELNS1_11target_archE908ELNS1_3gpuE7ELNS1_3repE0EEENS1_30default_config_static_selectorELNS0_4arch9wavefront6targetE0EEEvT1_.numbered_sgpr, 0
	.set _ZN7rocprim17ROCPRIM_400000_NS6detail17trampoline_kernelINS0_14default_configENS1_25partition_config_selectorILNS1_17partition_subalgoE6EN6thrust23THRUST_200600_302600_NS5tupleIyyNS7_9null_typeES9_S9_S9_S9_S9_S9_S9_EENS0_10empty_typeEbEEZZNS1_14partition_implILS5_6ELb0ES3_mNS7_12zip_iteratorINS8_INS7_6detail15normal_iteratorINS7_10device_ptrIyEEEESJ_S9_S9_S9_S9_S9_S9_S9_S9_EEEEPSB_SM_NS0_5tupleIJNSE_INS8_ISJ_NS7_16discard_iteratorINS7_11use_defaultEEES9_S9_S9_S9_S9_S9_S9_S9_EEEESB_EEENSN_IJSM_SM_EEESB_PlJNSF_9not_fun_tINSF_14equal_to_valueISA_EEEEEEE10hipError_tPvRmT3_T4_T5_T6_T7_T9_mT8_P12ihipStream_tbDpT10_ENKUlT_T0_E_clISt17integral_constantIbLb0EES1I_IbLb1EEEEDaS1E_S1F_EUlS1E_E_NS1_11comp_targetILNS1_3genE3ELNS1_11target_archE908ELNS1_3gpuE7ELNS1_3repE0EEENS1_30default_config_static_selectorELNS0_4arch9wavefront6targetE0EEEvT1_.num_named_barrier, 0
	.set _ZN7rocprim17ROCPRIM_400000_NS6detail17trampoline_kernelINS0_14default_configENS1_25partition_config_selectorILNS1_17partition_subalgoE6EN6thrust23THRUST_200600_302600_NS5tupleIyyNS7_9null_typeES9_S9_S9_S9_S9_S9_S9_EENS0_10empty_typeEbEEZZNS1_14partition_implILS5_6ELb0ES3_mNS7_12zip_iteratorINS8_INS7_6detail15normal_iteratorINS7_10device_ptrIyEEEESJ_S9_S9_S9_S9_S9_S9_S9_S9_EEEEPSB_SM_NS0_5tupleIJNSE_INS8_ISJ_NS7_16discard_iteratorINS7_11use_defaultEEES9_S9_S9_S9_S9_S9_S9_S9_EEEESB_EEENSN_IJSM_SM_EEESB_PlJNSF_9not_fun_tINSF_14equal_to_valueISA_EEEEEEE10hipError_tPvRmT3_T4_T5_T6_T7_T9_mT8_P12ihipStream_tbDpT10_ENKUlT_T0_E_clISt17integral_constantIbLb0EES1I_IbLb1EEEEDaS1E_S1F_EUlS1E_E_NS1_11comp_targetILNS1_3genE3ELNS1_11target_archE908ELNS1_3gpuE7ELNS1_3repE0EEENS1_30default_config_static_selectorELNS0_4arch9wavefront6targetE0EEEvT1_.private_seg_size, 0
	.set _ZN7rocprim17ROCPRIM_400000_NS6detail17trampoline_kernelINS0_14default_configENS1_25partition_config_selectorILNS1_17partition_subalgoE6EN6thrust23THRUST_200600_302600_NS5tupleIyyNS7_9null_typeES9_S9_S9_S9_S9_S9_S9_EENS0_10empty_typeEbEEZZNS1_14partition_implILS5_6ELb0ES3_mNS7_12zip_iteratorINS8_INS7_6detail15normal_iteratorINS7_10device_ptrIyEEEESJ_S9_S9_S9_S9_S9_S9_S9_S9_EEEEPSB_SM_NS0_5tupleIJNSE_INS8_ISJ_NS7_16discard_iteratorINS7_11use_defaultEEES9_S9_S9_S9_S9_S9_S9_S9_EEEESB_EEENSN_IJSM_SM_EEESB_PlJNSF_9not_fun_tINSF_14equal_to_valueISA_EEEEEEE10hipError_tPvRmT3_T4_T5_T6_T7_T9_mT8_P12ihipStream_tbDpT10_ENKUlT_T0_E_clISt17integral_constantIbLb0EES1I_IbLb1EEEEDaS1E_S1F_EUlS1E_E_NS1_11comp_targetILNS1_3genE3ELNS1_11target_archE908ELNS1_3gpuE7ELNS1_3repE0EEENS1_30default_config_static_selectorELNS0_4arch9wavefront6targetE0EEEvT1_.uses_vcc, 0
	.set _ZN7rocprim17ROCPRIM_400000_NS6detail17trampoline_kernelINS0_14default_configENS1_25partition_config_selectorILNS1_17partition_subalgoE6EN6thrust23THRUST_200600_302600_NS5tupleIyyNS7_9null_typeES9_S9_S9_S9_S9_S9_S9_EENS0_10empty_typeEbEEZZNS1_14partition_implILS5_6ELb0ES3_mNS7_12zip_iteratorINS8_INS7_6detail15normal_iteratorINS7_10device_ptrIyEEEESJ_S9_S9_S9_S9_S9_S9_S9_S9_EEEEPSB_SM_NS0_5tupleIJNSE_INS8_ISJ_NS7_16discard_iteratorINS7_11use_defaultEEES9_S9_S9_S9_S9_S9_S9_S9_EEEESB_EEENSN_IJSM_SM_EEESB_PlJNSF_9not_fun_tINSF_14equal_to_valueISA_EEEEEEE10hipError_tPvRmT3_T4_T5_T6_T7_T9_mT8_P12ihipStream_tbDpT10_ENKUlT_T0_E_clISt17integral_constantIbLb0EES1I_IbLb1EEEEDaS1E_S1F_EUlS1E_E_NS1_11comp_targetILNS1_3genE3ELNS1_11target_archE908ELNS1_3gpuE7ELNS1_3repE0EEENS1_30default_config_static_selectorELNS0_4arch9wavefront6targetE0EEEvT1_.uses_flat_scratch, 0
	.set _ZN7rocprim17ROCPRIM_400000_NS6detail17trampoline_kernelINS0_14default_configENS1_25partition_config_selectorILNS1_17partition_subalgoE6EN6thrust23THRUST_200600_302600_NS5tupleIyyNS7_9null_typeES9_S9_S9_S9_S9_S9_S9_EENS0_10empty_typeEbEEZZNS1_14partition_implILS5_6ELb0ES3_mNS7_12zip_iteratorINS8_INS7_6detail15normal_iteratorINS7_10device_ptrIyEEEESJ_S9_S9_S9_S9_S9_S9_S9_S9_EEEEPSB_SM_NS0_5tupleIJNSE_INS8_ISJ_NS7_16discard_iteratorINS7_11use_defaultEEES9_S9_S9_S9_S9_S9_S9_S9_EEEESB_EEENSN_IJSM_SM_EEESB_PlJNSF_9not_fun_tINSF_14equal_to_valueISA_EEEEEEE10hipError_tPvRmT3_T4_T5_T6_T7_T9_mT8_P12ihipStream_tbDpT10_ENKUlT_T0_E_clISt17integral_constantIbLb0EES1I_IbLb1EEEEDaS1E_S1F_EUlS1E_E_NS1_11comp_targetILNS1_3genE3ELNS1_11target_archE908ELNS1_3gpuE7ELNS1_3repE0EEENS1_30default_config_static_selectorELNS0_4arch9wavefront6targetE0EEEvT1_.has_dyn_sized_stack, 0
	.set _ZN7rocprim17ROCPRIM_400000_NS6detail17trampoline_kernelINS0_14default_configENS1_25partition_config_selectorILNS1_17partition_subalgoE6EN6thrust23THRUST_200600_302600_NS5tupleIyyNS7_9null_typeES9_S9_S9_S9_S9_S9_S9_EENS0_10empty_typeEbEEZZNS1_14partition_implILS5_6ELb0ES3_mNS7_12zip_iteratorINS8_INS7_6detail15normal_iteratorINS7_10device_ptrIyEEEESJ_S9_S9_S9_S9_S9_S9_S9_S9_EEEEPSB_SM_NS0_5tupleIJNSE_INS8_ISJ_NS7_16discard_iteratorINS7_11use_defaultEEES9_S9_S9_S9_S9_S9_S9_S9_EEEESB_EEENSN_IJSM_SM_EEESB_PlJNSF_9not_fun_tINSF_14equal_to_valueISA_EEEEEEE10hipError_tPvRmT3_T4_T5_T6_T7_T9_mT8_P12ihipStream_tbDpT10_ENKUlT_T0_E_clISt17integral_constantIbLb0EES1I_IbLb1EEEEDaS1E_S1F_EUlS1E_E_NS1_11comp_targetILNS1_3genE3ELNS1_11target_archE908ELNS1_3gpuE7ELNS1_3repE0EEENS1_30default_config_static_selectorELNS0_4arch9wavefront6targetE0EEEvT1_.has_recursion, 0
	.set _ZN7rocprim17ROCPRIM_400000_NS6detail17trampoline_kernelINS0_14default_configENS1_25partition_config_selectorILNS1_17partition_subalgoE6EN6thrust23THRUST_200600_302600_NS5tupleIyyNS7_9null_typeES9_S9_S9_S9_S9_S9_S9_EENS0_10empty_typeEbEEZZNS1_14partition_implILS5_6ELb0ES3_mNS7_12zip_iteratorINS8_INS7_6detail15normal_iteratorINS7_10device_ptrIyEEEESJ_S9_S9_S9_S9_S9_S9_S9_S9_EEEEPSB_SM_NS0_5tupleIJNSE_INS8_ISJ_NS7_16discard_iteratorINS7_11use_defaultEEES9_S9_S9_S9_S9_S9_S9_S9_EEEESB_EEENSN_IJSM_SM_EEESB_PlJNSF_9not_fun_tINSF_14equal_to_valueISA_EEEEEEE10hipError_tPvRmT3_T4_T5_T6_T7_T9_mT8_P12ihipStream_tbDpT10_ENKUlT_T0_E_clISt17integral_constantIbLb0EES1I_IbLb1EEEEDaS1E_S1F_EUlS1E_E_NS1_11comp_targetILNS1_3genE3ELNS1_11target_archE908ELNS1_3gpuE7ELNS1_3repE0EEENS1_30default_config_static_selectorELNS0_4arch9wavefront6targetE0EEEvT1_.has_indirect_call, 0
	.section	.AMDGPU.csdata,"",@progbits
; Kernel info:
; codeLenInByte = 0
; TotalNumSgprs: 0
; NumVgprs: 0
; ScratchSize: 0
; MemoryBound: 0
; FloatMode: 240
; IeeeMode: 1
; LDSByteSize: 0 bytes/workgroup (compile time only)
; SGPRBlocks: 0
; VGPRBlocks: 0
; NumSGPRsForWavesPerEU: 1
; NumVGPRsForWavesPerEU: 1
; Occupancy: 16
; WaveLimiterHint : 0
; COMPUTE_PGM_RSRC2:SCRATCH_EN: 0
; COMPUTE_PGM_RSRC2:USER_SGPR: 2
; COMPUTE_PGM_RSRC2:TRAP_HANDLER: 0
; COMPUTE_PGM_RSRC2:TGID_X_EN: 1
; COMPUTE_PGM_RSRC2:TGID_Y_EN: 0
; COMPUTE_PGM_RSRC2:TGID_Z_EN: 0
; COMPUTE_PGM_RSRC2:TIDIG_COMP_CNT: 0
	.section	.text._ZN7rocprim17ROCPRIM_400000_NS6detail17trampoline_kernelINS0_14default_configENS1_25partition_config_selectorILNS1_17partition_subalgoE6EN6thrust23THRUST_200600_302600_NS5tupleIyyNS7_9null_typeES9_S9_S9_S9_S9_S9_S9_EENS0_10empty_typeEbEEZZNS1_14partition_implILS5_6ELb0ES3_mNS7_12zip_iteratorINS8_INS7_6detail15normal_iteratorINS7_10device_ptrIyEEEESJ_S9_S9_S9_S9_S9_S9_S9_S9_EEEEPSB_SM_NS0_5tupleIJNSE_INS8_ISJ_NS7_16discard_iteratorINS7_11use_defaultEEES9_S9_S9_S9_S9_S9_S9_S9_EEEESB_EEENSN_IJSM_SM_EEESB_PlJNSF_9not_fun_tINSF_14equal_to_valueISA_EEEEEEE10hipError_tPvRmT3_T4_T5_T6_T7_T9_mT8_P12ihipStream_tbDpT10_ENKUlT_T0_E_clISt17integral_constantIbLb0EES1I_IbLb1EEEEDaS1E_S1F_EUlS1E_E_NS1_11comp_targetILNS1_3genE2ELNS1_11target_archE906ELNS1_3gpuE6ELNS1_3repE0EEENS1_30default_config_static_selectorELNS0_4arch9wavefront6targetE0EEEvT1_,"axG",@progbits,_ZN7rocprim17ROCPRIM_400000_NS6detail17trampoline_kernelINS0_14default_configENS1_25partition_config_selectorILNS1_17partition_subalgoE6EN6thrust23THRUST_200600_302600_NS5tupleIyyNS7_9null_typeES9_S9_S9_S9_S9_S9_S9_EENS0_10empty_typeEbEEZZNS1_14partition_implILS5_6ELb0ES3_mNS7_12zip_iteratorINS8_INS7_6detail15normal_iteratorINS7_10device_ptrIyEEEESJ_S9_S9_S9_S9_S9_S9_S9_S9_EEEEPSB_SM_NS0_5tupleIJNSE_INS8_ISJ_NS7_16discard_iteratorINS7_11use_defaultEEES9_S9_S9_S9_S9_S9_S9_S9_EEEESB_EEENSN_IJSM_SM_EEESB_PlJNSF_9not_fun_tINSF_14equal_to_valueISA_EEEEEEE10hipError_tPvRmT3_T4_T5_T6_T7_T9_mT8_P12ihipStream_tbDpT10_ENKUlT_T0_E_clISt17integral_constantIbLb0EES1I_IbLb1EEEEDaS1E_S1F_EUlS1E_E_NS1_11comp_targetILNS1_3genE2ELNS1_11target_archE906ELNS1_3gpuE6ELNS1_3repE0EEENS1_30default_config_static_selectorELNS0_4arch9wavefront6targetE0EEEvT1_,comdat
	.protected	_ZN7rocprim17ROCPRIM_400000_NS6detail17trampoline_kernelINS0_14default_configENS1_25partition_config_selectorILNS1_17partition_subalgoE6EN6thrust23THRUST_200600_302600_NS5tupleIyyNS7_9null_typeES9_S9_S9_S9_S9_S9_S9_EENS0_10empty_typeEbEEZZNS1_14partition_implILS5_6ELb0ES3_mNS7_12zip_iteratorINS8_INS7_6detail15normal_iteratorINS7_10device_ptrIyEEEESJ_S9_S9_S9_S9_S9_S9_S9_S9_EEEEPSB_SM_NS0_5tupleIJNSE_INS8_ISJ_NS7_16discard_iteratorINS7_11use_defaultEEES9_S9_S9_S9_S9_S9_S9_S9_EEEESB_EEENSN_IJSM_SM_EEESB_PlJNSF_9not_fun_tINSF_14equal_to_valueISA_EEEEEEE10hipError_tPvRmT3_T4_T5_T6_T7_T9_mT8_P12ihipStream_tbDpT10_ENKUlT_T0_E_clISt17integral_constantIbLb0EES1I_IbLb1EEEEDaS1E_S1F_EUlS1E_E_NS1_11comp_targetILNS1_3genE2ELNS1_11target_archE906ELNS1_3gpuE6ELNS1_3repE0EEENS1_30default_config_static_selectorELNS0_4arch9wavefront6targetE0EEEvT1_ ; -- Begin function _ZN7rocprim17ROCPRIM_400000_NS6detail17trampoline_kernelINS0_14default_configENS1_25partition_config_selectorILNS1_17partition_subalgoE6EN6thrust23THRUST_200600_302600_NS5tupleIyyNS7_9null_typeES9_S9_S9_S9_S9_S9_S9_EENS0_10empty_typeEbEEZZNS1_14partition_implILS5_6ELb0ES3_mNS7_12zip_iteratorINS8_INS7_6detail15normal_iteratorINS7_10device_ptrIyEEEESJ_S9_S9_S9_S9_S9_S9_S9_S9_EEEEPSB_SM_NS0_5tupleIJNSE_INS8_ISJ_NS7_16discard_iteratorINS7_11use_defaultEEES9_S9_S9_S9_S9_S9_S9_S9_EEEESB_EEENSN_IJSM_SM_EEESB_PlJNSF_9not_fun_tINSF_14equal_to_valueISA_EEEEEEE10hipError_tPvRmT3_T4_T5_T6_T7_T9_mT8_P12ihipStream_tbDpT10_ENKUlT_T0_E_clISt17integral_constantIbLb0EES1I_IbLb1EEEEDaS1E_S1F_EUlS1E_E_NS1_11comp_targetILNS1_3genE2ELNS1_11target_archE906ELNS1_3gpuE6ELNS1_3repE0EEENS1_30default_config_static_selectorELNS0_4arch9wavefront6targetE0EEEvT1_
	.globl	_ZN7rocprim17ROCPRIM_400000_NS6detail17trampoline_kernelINS0_14default_configENS1_25partition_config_selectorILNS1_17partition_subalgoE6EN6thrust23THRUST_200600_302600_NS5tupleIyyNS7_9null_typeES9_S9_S9_S9_S9_S9_S9_EENS0_10empty_typeEbEEZZNS1_14partition_implILS5_6ELb0ES3_mNS7_12zip_iteratorINS8_INS7_6detail15normal_iteratorINS7_10device_ptrIyEEEESJ_S9_S9_S9_S9_S9_S9_S9_S9_EEEEPSB_SM_NS0_5tupleIJNSE_INS8_ISJ_NS7_16discard_iteratorINS7_11use_defaultEEES9_S9_S9_S9_S9_S9_S9_S9_EEEESB_EEENSN_IJSM_SM_EEESB_PlJNSF_9not_fun_tINSF_14equal_to_valueISA_EEEEEEE10hipError_tPvRmT3_T4_T5_T6_T7_T9_mT8_P12ihipStream_tbDpT10_ENKUlT_T0_E_clISt17integral_constantIbLb0EES1I_IbLb1EEEEDaS1E_S1F_EUlS1E_E_NS1_11comp_targetILNS1_3genE2ELNS1_11target_archE906ELNS1_3gpuE6ELNS1_3repE0EEENS1_30default_config_static_selectorELNS0_4arch9wavefront6targetE0EEEvT1_
	.p2align	8
	.type	_ZN7rocprim17ROCPRIM_400000_NS6detail17trampoline_kernelINS0_14default_configENS1_25partition_config_selectorILNS1_17partition_subalgoE6EN6thrust23THRUST_200600_302600_NS5tupleIyyNS7_9null_typeES9_S9_S9_S9_S9_S9_S9_EENS0_10empty_typeEbEEZZNS1_14partition_implILS5_6ELb0ES3_mNS7_12zip_iteratorINS8_INS7_6detail15normal_iteratorINS7_10device_ptrIyEEEESJ_S9_S9_S9_S9_S9_S9_S9_S9_EEEEPSB_SM_NS0_5tupleIJNSE_INS8_ISJ_NS7_16discard_iteratorINS7_11use_defaultEEES9_S9_S9_S9_S9_S9_S9_S9_EEEESB_EEENSN_IJSM_SM_EEESB_PlJNSF_9not_fun_tINSF_14equal_to_valueISA_EEEEEEE10hipError_tPvRmT3_T4_T5_T6_T7_T9_mT8_P12ihipStream_tbDpT10_ENKUlT_T0_E_clISt17integral_constantIbLb0EES1I_IbLb1EEEEDaS1E_S1F_EUlS1E_E_NS1_11comp_targetILNS1_3genE2ELNS1_11target_archE906ELNS1_3gpuE6ELNS1_3repE0EEENS1_30default_config_static_selectorELNS0_4arch9wavefront6targetE0EEEvT1_,@function
_ZN7rocprim17ROCPRIM_400000_NS6detail17trampoline_kernelINS0_14default_configENS1_25partition_config_selectorILNS1_17partition_subalgoE6EN6thrust23THRUST_200600_302600_NS5tupleIyyNS7_9null_typeES9_S9_S9_S9_S9_S9_S9_EENS0_10empty_typeEbEEZZNS1_14partition_implILS5_6ELb0ES3_mNS7_12zip_iteratorINS8_INS7_6detail15normal_iteratorINS7_10device_ptrIyEEEESJ_S9_S9_S9_S9_S9_S9_S9_S9_EEEEPSB_SM_NS0_5tupleIJNSE_INS8_ISJ_NS7_16discard_iteratorINS7_11use_defaultEEES9_S9_S9_S9_S9_S9_S9_S9_EEEESB_EEENSN_IJSM_SM_EEESB_PlJNSF_9not_fun_tINSF_14equal_to_valueISA_EEEEEEE10hipError_tPvRmT3_T4_T5_T6_T7_T9_mT8_P12ihipStream_tbDpT10_ENKUlT_T0_E_clISt17integral_constantIbLb0EES1I_IbLb1EEEEDaS1E_S1F_EUlS1E_E_NS1_11comp_targetILNS1_3genE2ELNS1_11target_archE906ELNS1_3gpuE6ELNS1_3repE0EEENS1_30default_config_static_selectorELNS0_4arch9wavefront6targetE0EEEvT1_: ; @_ZN7rocprim17ROCPRIM_400000_NS6detail17trampoline_kernelINS0_14default_configENS1_25partition_config_selectorILNS1_17partition_subalgoE6EN6thrust23THRUST_200600_302600_NS5tupleIyyNS7_9null_typeES9_S9_S9_S9_S9_S9_S9_EENS0_10empty_typeEbEEZZNS1_14partition_implILS5_6ELb0ES3_mNS7_12zip_iteratorINS8_INS7_6detail15normal_iteratorINS7_10device_ptrIyEEEESJ_S9_S9_S9_S9_S9_S9_S9_S9_EEEEPSB_SM_NS0_5tupleIJNSE_INS8_ISJ_NS7_16discard_iteratorINS7_11use_defaultEEES9_S9_S9_S9_S9_S9_S9_S9_EEEESB_EEENSN_IJSM_SM_EEESB_PlJNSF_9not_fun_tINSF_14equal_to_valueISA_EEEEEEE10hipError_tPvRmT3_T4_T5_T6_T7_T9_mT8_P12ihipStream_tbDpT10_ENKUlT_T0_E_clISt17integral_constantIbLb0EES1I_IbLb1EEEEDaS1E_S1F_EUlS1E_E_NS1_11comp_targetILNS1_3genE2ELNS1_11target_archE906ELNS1_3gpuE6ELNS1_3repE0EEENS1_30default_config_static_selectorELNS0_4arch9wavefront6targetE0EEEvT1_
; %bb.0:
	.section	.rodata,"a",@progbits
	.p2align	6, 0x0
	.amdhsa_kernel _ZN7rocprim17ROCPRIM_400000_NS6detail17trampoline_kernelINS0_14default_configENS1_25partition_config_selectorILNS1_17partition_subalgoE6EN6thrust23THRUST_200600_302600_NS5tupleIyyNS7_9null_typeES9_S9_S9_S9_S9_S9_S9_EENS0_10empty_typeEbEEZZNS1_14partition_implILS5_6ELb0ES3_mNS7_12zip_iteratorINS8_INS7_6detail15normal_iteratorINS7_10device_ptrIyEEEESJ_S9_S9_S9_S9_S9_S9_S9_S9_EEEEPSB_SM_NS0_5tupleIJNSE_INS8_ISJ_NS7_16discard_iteratorINS7_11use_defaultEEES9_S9_S9_S9_S9_S9_S9_S9_EEEESB_EEENSN_IJSM_SM_EEESB_PlJNSF_9not_fun_tINSF_14equal_to_valueISA_EEEEEEE10hipError_tPvRmT3_T4_T5_T6_T7_T9_mT8_P12ihipStream_tbDpT10_ENKUlT_T0_E_clISt17integral_constantIbLb0EES1I_IbLb1EEEEDaS1E_S1F_EUlS1E_E_NS1_11comp_targetILNS1_3genE2ELNS1_11target_archE906ELNS1_3gpuE6ELNS1_3repE0EEENS1_30default_config_static_selectorELNS0_4arch9wavefront6targetE0EEEvT1_
		.amdhsa_group_segment_fixed_size 0
		.amdhsa_private_segment_fixed_size 0
		.amdhsa_kernarg_size 160
		.amdhsa_user_sgpr_count 2
		.amdhsa_user_sgpr_dispatch_ptr 0
		.amdhsa_user_sgpr_queue_ptr 0
		.amdhsa_user_sgpr_kernarg_segment_ptr 1
		.amdhsa_user_sgpr_dispatch_id 0
		.amdhsa_user_sgpr_private_segment_size 0
		.amdhsa_wavefront_size32 1
		.amdhsa_uses_dynamic_stack 0
		.amdhsa_enable_private_segment 0
		.amdhsa_system_sgpr_workgroup_id_x 1
		.amdhsa_system_sgpr_workgroup_id_y 0
		.amdhsa_system_sgpr_workgroup_id_z 0
		.amdhsa_system_sgpr_workgroup_info 0
		.amdhsa_system_vgpr_workitem_id 0
		.amdhsa_next_free_vgpr 1
		.amdhsa_next_free_sgpr 1
		.amdhsa_reserve_vcc 0
		.amdhsa_float_round_mode_32 0
		.amdhsa_float_round_mode_16_64 0
		.amdhsa_float_denorm_mode_32 3
		.amdhsa_float_denorm_mode_16_64 3
		.amdhsa_fp16_overflow 0
		.amdhsa_workgroup_processor_mode 1
		.amdhsa_memory_ordered 1
		.amdhsa_forward_progress 1
		.amdhsa_inst_pref_size 0
		.amdhsa_round_robin_scheduling 0
		.amdhsa_exception_fp_ieee_invalid_op 0
		.amdhsa_exception_fp_denorm_src 0
		.amdhsa_exception_fp_ieee_div_zero 0
		.amdhsa_exception_fp_ieee_overflow 0
		.amdhsa_exception_fp_ieee_underflow 0
		.amdhsa_exception_fp_ieee_inexact 0
		.amdhsa_exception_int_div_zero 0
	.end_amdhsa_kernel
	.section	.text._ZN7rocprim17ROCPRIM_400000_NS6detail17trampoline_kernelINS0_14default_configENS1_25partition_config_selectorILNS1_17partition_subalgoE6EN6thrust23THRUST_200600_302600_NS5tupleIyyNS7_9null_typeES9_S9_S9_S9_S9_S9_S9_EENS0_10empty_typeEbEEZZNS1_14partition_implILS5_6ELb0ES3_mNS7_12zip_iteratorINS8_INS7_6detail15normal_iteratorINS7_10device_ptrIyEEEESJ_S9_S9_S9_S9_S9_S9_S9_S9_EEEEPSB_SM_NS0_5tupleIJNSE_INS8_ISJ_NS7_16discard_iteratorINS7_11use_defaultEEES9_S9_S9_S9_S9_S9_S9_S9_EEEESB_EEENSN_IJSM_SM_EEESB_PlJNSF_9not_fun_tINSF_14equal_to_valueISA_EEEEEEE10hipError_tPvRmT3_T4_T5_T6_T7_T9_mT8_P12ihipStream_tbDpT10_ENKUlT_T0_E_clISt17integral_constantIbLb0EES1I_IbLb1EEEEDaS1E_S1F_EUlS1E_E_NS1_11comp_targetILNS1_3genE2ELNS1_11target_archE906ELNS1_3gpuE6ELNS1_3repE0EEENS1_30default_config_static_selectorELNS0_4arch9wavefront6targetE0EEEvT1_,"axG",@progbits,_ZN7rocprim17ROCPRIM_400000_NS6detail17trampoline_kernelINS0_14default_configENS1_25partition_config_selectorILNS1_17partition_subalgoE6EN6thrust23THRUST_200600_302600_NS5tupleIyyNS7_9null_typeES9_S9_S9_S9_S9_S9_S9_EENS0_10empty_typeEbEEZZNS1_14partition_implILS5_6ELb0ES3_mNS7_12zip_iteratorINS8_INS7_6detail15normal_iteratorINS7_10device_ptrIyEEEESJ_S9_S9_S9_S9_S9_S9_S9_S9_EEEEPSB_SM_NS0_5tupleIJNSE_INS8_ISJ_NS7_16discard_iteratorINS7_11use_defaultEEES9_S9_S9_S9_S9_S9_S9_S9_EEEESB_EEENSN_IJSM_SM_EEESB_PlJNSF_9not_fun_tINSF_14equal_to_valueISA_EEEEEEE10hipError_tPvRmT3_T4_T5_T6_T7_T9_mT8_P12ihipStream_tbDpT10_ENKUlT_T0_E_clISt17integral_constantIbLb0EES1I_IbLb1EEEEDaS1E_S1F_EUlS1E_E_NS1_11comp_targetILNS1_3genE2ELNS1_11target_archE906ELNS1_3gpuE6ELNS1_3repE0EEENS1_30default_config_static_selectorELNS0_4arch9wavefront6targetE0EEEvT1_,comdat
.Lfunc_end1913:
	.size	_ZN7rocprim17ROCPRIM_400000_NS6detail17trampoline_kernelINS0_14default_configENS1_25partition_config_selectorILNS1_17partition_subalgoE6EN6thrust23THRUST_200600_302600_NS5tupleIyyNS7_9null_typeES9_S9_S9_S9_S9_S9_S9_EENS0_10empty_typeEbEEZZNS1_14partition_implILS5_6ELb0ES3_mNS7_12zip_iteratorINS8_INS7_6detail15normal_iteratorINS7_10device_ptrIyEEEESJ_S9_S9_S9_S9_S9_S9_S9_S9_EEEEPSB_SM_NS0_5tupleIJNSE_INS8_ISJ_NS7_16discard_iteratorINS7_11use_defaultEEES9_S9_S9_S9_S9_S9_S9_S9_EEEESB_EEENSN_IJSM_SM_EEESB_PlJNSF_9not_fun_tINSF_14equal_to_valueISA_EEEEEEE10hipError_tPvRmT3_T4_T5_T6_T7_T9_mT8_P12ihipStream_tbDpT10_ENKUlT_T0_E_clISt17integral_constantIbLb0EES1I_IbLb1EEEEDaS1E_S1F_EUlS1E_E_NS1_11comp_targetILNS1_3genE2ELNS1_11target_archE906ELNS1_3gpuE6ELNS1_3repE0EEENS1_30default_config_static_selectorELNS0_4arch9wavefront6targetE0EEEvT1_, .Lfunc_end1913-_ZN7rocprim17ROCPRIM_400000_NS6detail17trampoline_kernelINS0_14default_configENS1_25partition_config_selectorILNS1_17partition_subalgoE6EN6thrust23THRUST_200600_302600_NS5tupleIyyNS7_9null_typeES9_S9_S9_S9_S9_S9_S9_EENS0_10empty_typeEbEEZZNS1_14partition_implILS5_6ELb0ES3_mNS7_12zip_iteratorINS8_INS7_6detail15normal_iteratorINS7_10device_ptrIyEEEESJ_S9_S9_S9_S9_S9_S9_S9_S9_EEEEPSB_SM_NS0_5tupleIJNSE_INS8_ISJ_NS7_16discard_iteratorINS7_11use_defaultEEES9_S9_S9_S9_S9_S9_S9_S9_EEEESB_EEENSN_IJSM_SM_EEESB_PlJNSF_9not_fun_tINSF_14equal_to_valueISA_EEEEEEE10hipError_tPvRmT3_T4_T5_T6_T7_T9_mT8_P12ihipStream_tbDpT10_ENKUlT_T0_E_clISt17integral_constantIbLb0EES1I_IbLb1EEEEDaS1E_S1F_EUlS1E_E_NS1_11comp_targetILNS1_3genE2ELNS1_11target_archE906ELNS1_3gpuE6ELNS1_3repE0EEENS1_30default_config_static_selectorELNS0_4arch9wavefront6targetE0EEEvT1_
                                        ; -- End function
	.set _ZN7rocprim17ROCPRIM_400000_NS6detail17trampoline_kernelINS0_14default_configENS1_25partition_config_selectorILNS1_17partition_subalgoE6EN6thrust23THRUST_200600_302600_NS5tupleIyyNS7_9null_typeES9_S9_S9_S9_S9_S9_S9_EENS0_10empty_typeEbEEZZNS1_14partition_implILS5_6ELb0ES3_mNS7_12zip_iteratorINS8_INS7_6detail15normal_iteratorINS7_10device_ptrIyEEEESJ_S9_S9_S9_S9_S9_S9_S9_S9_EEEEPSB_SM_NS0_5tupleIJNSE_INS8_ISJ_NS7_16discard_iteratorINS7_11use_defaultEEES9_S9_S9_S9_S9_S9_S9_S9_EEEESB_EEENSN_IJSM_SM_EEESB_PlJNSF_9not_fun_tINSF_14equal_to_valueISA_EEEEEEE10hipError_tPvRmT3_T4_T5_T6_T7_T9_mT8_P12ihipStream_tbDpT10_ENKUlT_T0_E_clISt17integral_constantIbLb0EES1I_IbLb1EEEEDaS1E_S1F_EUlS1E_E_NS1_11comp_targetILNS1_3genE2ELNS1_11target_archE906ELNS1_3gpuE6ELNS1_3repE0EEENS1_30default_config_static_selectorELNS0_4arch9wavefront6targetE0EEEvT1_.num_vgpr, 0
	.set _ZN7rocprim17ROCPRIM_400000_NS6detail17trampoline_kernelINS0_14default_configENS1_25partition_config_selectorILNS1_17partition_subalgoE6EN6thrust23THRUST_200600_302600_NS5tupleIyyNS7_9null_typeES9_S9_S9_S9_S9_S9_S9_EENS0_10empty_typeEbEEZZNS1_14partition_implILS5_6ELb0ES3_mNS7_12zip_iteratorINS8_INS7_6detail15normal_iteratorINS7_10device_ptrIyEEEESJ_S9_S9_S9_S9_S9_S9_S9_S9_EEEEPSB_SM_NS0_5tupleIJNSE_INS8_ISJ_NS7_16discard_iteratorINS7_11use_defaultEEES9_S9_S9_S9_S9_S9_S9_S9_EEEESB_EEENSN_IJSM_SM_EEESB_PlJNSF_9not_fun_tINSF_14equal_to_valueISA_EEEEEEE10hipError_tPvRmT3_T4_T5_T6_T7_T9_mT8_P12ihipStream_tbDpT10_ENKUlT_T0_E_clISt17integral_constantIbLb0EES1I_IbLb1EEEEDaS1E_S1F_EUlS1E_E_NS1_11comp_targetILNS1_3genE2ELNS1_11target_archE906ELNS1_3gpuE6ELNS1_3repE0EEENS1_30default_config_static_selectorELNS0_4arch9wavefront6targetE0EEEvT1_.num_agpr, 0
	.set _ZN7rocprim17ROCPRIM_400000_NS6detail17trampoline_kernelINS0_14default_configENS1_25partition_config_selectorILNS1_17partition_subalgoE6EN6thrust23THRUST_200600_302600_NS5tupleIyyNS7_9null_typeES9_S9_S9_S9_S9_S9_S9_EENS0_10empty_typeEbEEZZNS1_14partition_implILS5_6ELb0ES3_mNS7_12zip_iteratorINS8_INS7_6detail15normal_iteratorINS7_10device_ptrIyEEEESJ_S9_S9_S9_S9_S9_S9_S9_S9_EEEEPSB_SM_NS0_5tupleIJNSE_INS8_ISJ_NS7_16discard_iteratorINS7_11use_defaultEEES9_S9_S9_S9_S9_S9_S9_S9_EEEESB_EEENSN_IJSM_SM_EEESB_PlJNSF_9not_fun_tINSF_14equal_to_valueISA_EEEEEEE10hipError_tPvRmT3_T4_T5_T6_T7_T9_mT8_P12ihipStream_tbDpT10_ENKUlT_T0_E_clISt17integral_constantIbLb0EES1I_IbLb1EEEEDaS1E_S1F_EUlS1E_E_NS1_11comp_targetILNS1_3genE2ELNS1_11target_archE906ELNS1_3gpuE6ELNS1_3repE0EEENS1_30default_config_static_selectorELNS0_4arch9wavefront6targetE0EEEvT1_.numbered_sgpr, 0
	.set _ZN7rocprim17ROCPRIM_400000_NS6detail17trampoline_kernelINS0_14default_configENS1_25partition_config_selectorILNS1_17partition_subalgoE6EN6thrust23THRUST_200600_302600_NS5tupleIyyNS7_9null_typeES9_S9_S9_S9_S9_S9_S9_EENS0_10empty_typeEbEEZZNS1_14partition_implILS5_6ELb0ES3_mNS7_12zip_iteratorINS8_INS7_6detail15normal_iteratorINS7_10device_ptrIyEEEESJ_S9_S9_S9_S9_S9_S9_S9_S9_EEEEPSB_SM_NS0_5tupleIJNSE_INS8_ISJ_NS7_16discard_iteratorINS7_11use_defaultEEES9_S9_S9_S9_S9_S9_S9_S9_EEEESB_EEENSN_IJSM_SM_EEESB_PlJNSF_9not_fun_tINSF_14equal_to_valueISA_EEEEEEE10hipError_tPvRmT3_T4_T5_T6_T7_T9_mT8_P12ihipStream_tbDpT10_ENKUlT_T0_E_clISt17integral_constantIbLb0EES1I_IbLb1EEEEDaS1E_S1F_EUlS1E_E_NS1_11comp_targetILNS1_3genE2ELNS1_11target_archE906ELNS1_3gpuE6ELNS1_3repE0EEENS1_30default_config_static_selectorELNS0_4arch9wavefront6targetE0EEEvT1_.num_named_barrier, 0
	.set _ZN7rocprim17ROCPRIM_400000_NS6detail17trampoline_kernelINS0_14default_configENS1_25partition_config_selectorILNS1_17partition_subalgoE6EN6thrust23THRUST_200600_302600_NS5tupleIyyNS7_9null_typeES9_S9_S9_S9_S9_S9_S9_EENS0_10empty_typeEbEEZZNS1_14partition_implILS5_6ELb0ES3_mNS7_12zip_iteratorINS8_INS7_6detail15normal_iteratorINS7_10device_ptrIyEEEESJ_S9_S9_S9_S9_S9_S9_S9_S9_EEEEPSB_SM_NS0_5tupleIJNSE_INS8_ISJ_NS7_16discard_iteratorINS7_11use_defaultEEES9_S9_S9_S9_S9_S9_S9_S9_EEEESB_EEENSN_IJSM_SM_EEESB_PlJNSF_9not_fun_tINSF_14equal_to_valueISA_EEEEEEE10hipError_tPvRmT3_T4_T5_T6_T7_T9_mT8_P12ihipStream_tbDpT10_ENKUlT_T0_E_clISt17integral_constantIbLb0EES1I_IbLb1EEEEDaS1E_S1F_EUlS1E_E_NS1_11comp_targetILNS1_3genE2ELNS1_11target_archE906ELNS1_3gpuE6ELNS1_3repE0EEENS1_30default_config_static_selectorELNS0_4arch9wavefront6targetE0EEEvT1_.private_seg_size, 0
	.set _ZN7rocprim17ROCPRIM_400000_NS6detail17trampoline_kernelINS0_14default_configENS1_25partition_config_selectorILNS1_17partition_subalgoE6EN6thrust23THRUST_200600_302600_NS5tupleIyyNS7_9null_typeES9_S9_S9_S9_S9_S9_S9_EENS0_10empty_typeEbEEZZNS1_14partition_implILS5_6ELb0ES3_mNS7_12zip_iteratorINS8_INS7_6detail15normal_iteratorINS7_10device_ptrIyEEEESJ_S9_S9_S9_S9_S9_S9_S9_S9_EEEEPSB_SM_NS0_5tupleIJNSE_INS8_ISJ_NS7_16discard_iteratorINS7_11use_defaultEEES9_S9_S9_S9_S9_S9_S9_S9_EEEESB_EEENSN_IJSM_SM_EEESB_PlJNSF_9not_fun_tINSF_14equal_to_valueISA_EEEEEEE10hipError_tPvRmT3_T4_T5_T6_T7_T9_mT8_P12ihipStream_tbDpT10_ENKUlT_T0_E_clISt17integral_constantIbLb0EES1I_IbLb1EEEEDaS1E_S1F_EUlS1E_E_NS1_11comp_targetILNS1_3genE2ELNS1_11target_archE906ELNS1_3gpuE6ELNS1_3repE0EEENS1_30default_config_static_selectorELNS0_4arch9wavefront6targetE0EEEvT1_.uses_vcc, 0
	.set _ZN7rocprim17ROCPRIM_400000_NS6detail17trampoline_kernelINS0_14default_configENS1_25partition_config_selectorILNS1_17partition_subalgoE6EN6thrust23THRUST_200600_302600_NS5tupleIyyNS7_9null_typeES9_S9_S9_S9_S9_S9_S9_EENS0_10empty_typeEbEEZZNS1_14partition_implILS5_6ELb0ES3_mNS7_12zip_iteratorINS8_INS7_6detail15normal_iteratorINS7_10device_ptrIyEEEESJ_S9_S9_S9_S9_S9_S9_S9_S9_EEEEPSB_SM_NS0_5tupleIJNSE_INS8_ISJ_NS7_16discard_iteratorINS7_11use_defaultEEES9_S9_S9_S9_S9_S9_S9_S9_EEEESB_EEENSN_IJSM_SM_EEESB_PlJNSF_9not_fun_tINSF_14equal_to_valueISA_EEEEEEE10hipError_tPvRmT3_T4_T5_T6_T7_T9_mT8_P12ihipStream_tbDpT10_ENKUlT_T0_E_clISt17integral_constantIbLb0EES1I_IbLb1EEEEDaS1E_S1F_EUlS1E_E_NS1_11comp_targetILNS1_3genE2ELNS1_11target_archE906ELNS1_3gpuE6ELNS1_3repE0EEENS1_30default_config_static_selectorELNS0_4arch9wavefront6targetE0EEEvT1_.uses_flat_scratch, 0
	.set _ZN7rocprim17ROCPRIM_400000_NS6detail17trampoline_kernelINS0_14default_configENS1_25partition_config_selectorILNS1_17partition_subalgoE6EN6thrust23THRUST_200600_302600_NS5tupleIyyNS7_9null_typeES9_S9_S9_S9_S9_S9_S9_EENS0_10empty_typeEbEEZZNS1_14partition_implILS5_6ELb0ES3_mNS7_12zip_iteratorINS8_INS7_6detail15normal_iteratorINS7_10device_ptrIyEEEESJ_S9_S9_S9_S9_S9_S9_S9_S9_EEEEPSB_SM_NS0_5tupleIJNSE_INS8_ISJ_NS7_16discard_iteratorINS7_11use_defaultEEES9_S9_S9_S9_S9_S9_S9_S9_EEEESB_EEENSN_IJSM_SM_EEESB_PlJNSF_9not_fun_tINSF_14equal_to_valueISA_EEEEEEE10hipError_tPvRmT3_T4_T5_T6_T7_T9_mT8_P12ihipStream_tbDpT10_ENKUlT_T0_E_clISt17integral_constantIbLb0EES1I_IbLb1EEEEDaS1E_S1F_EUlS1E_E_NS1_11comp_targetILNS1_3genE2ELNS1_11target_archE906ELNS1_3gpuE6ELNS1_3repE0EEENS1_30default_config_static_selectorELNS0_4arch9wavefront6targetE0EEEvT1_.has_dyn_sized_stack, 0
	.set _ZN7rocprim17ROCPRIM_400000_NS6detail17trampoline_kernelINS0_14default_configENS1_25partition_config_selectorILNS1_17partition_subalgoE6EN6thrust23THRUST_200600_302600_NS5tupleIyyNS7_9null_typeES9_S9_S9_S9_S9_S9_S9_EENS0_10empty_typeEbEEZZNS1_14partition_implILS5_6ELb0ES3_mNS7_12zip_iteratorINS8_INS7_6detail15normal_iteratorINS7_10device_ptrIyEEEESJ_S9_S9_S9_S9_S9_S9_S9_S9_EEEEPSB_SM_NS0_5tupleIJNSE_INS8_ISJ_NS7_16discard_iteratorINS7_11use_defaultEEES9_S9_S9_S9_S9_S9_S9_S9_EEEESB_EEENSN_IJSM_SM_EEESB_PlJNSF_9not_fun_tINSF_14equal_to_valueISA_EEEEEEE10hipError_tPvRmT3_T4_T5_T6_T7_T9_mT8_P12ihipStream_tbDpT10_ENKUlT_T0_E_clISt17integral_constantIbLb0EES1I_IbLb1EEEEDaS1E_S1F_EUlS1E_E_NS1_11comp_targetILNS1_3genE2ELNS1_11target_archE906ELNS1_3gpuE6ELNS1_3repE0EEENS1_30default_config_static_selectorELNS0_4arch9wavefront6targetE0EEEvT1_.has_recursion, 0
	.set _ZN7rocprim17ROCPRIM_400000_NS6detail17trampoline_kernelINS0_14default_configENS1_25partition_config_selectorILNS1_17partition_subalgoE6EN6thrust23THRUST_200600_302600_NS5tupleIyyNS7_9null_typeES9_S9_S9_S9_S9_S9_S9_EENS0_10empty_typeEbEEZZNS1_14partition_implILS5_6ELb0ES3_mNS7_12zip_iteratorINS8_INS7_6detail15normal_iteratorINS7_10device_ptrIyEEEESJ_S9_S9_S9_S9_S9_S9_S9_S9_EEEEPSB_SM_NS0_5tupleIJNSE_INS8_ISJ_NS7_16discard_iteratorINS7_11use_defaultEEES9_S9_S9_S9_S9_S9_S9_S9_EEEESB_EEENSN_IJSM_SM_EEESB_PlJNSF_9not_fun_tINSF_14equal_to_valueISA_EEEEEEE10hipError_tPvRmT3_T4_T5_T6_T7_T9_mT8_P12ihipStream_tbDpT10_ENKUlT_T0_E_clISt17integral_constantIbLb0EES1I_IbLb1EEEEDaS1E_S1F_EUlS1E_E_NS1_11comp_targetILNS1_3genE2ELNS1_11target_archE906ELNS1_3gpuE6ELNS1_3repE0EEENS1_30default_config_static_selectorELNS0_4arch9wavefront6targetE0EEEvT1_.has_indirect_call, 0
	.section	.AMDGPU.csdata,"",@progbits
; Kernel info:
; codeLenInByte = 0
; TotalNumSgprs: 0
; NumVgprs: 0
; ScratchSize: 0
; MemoryBound: 0
; FloatMode: 240
; IeeeMode: 1
; LDSByteSize: 0 bytes/workgroup (compile time only)
; SGPRBlocks: 0
; VGPRBlocks: 0
; NumSGPRsForWavesPerEU: 1
; NumVGPRsForWavesPerEU: 1
; Occupancy: 16
; WaveLimiterHint : 0
; COMPUTE_PGM_RSRC2:SCRATCH_EN: 0
; COMPUTE_PGM_RSRC2:USER_SGPR: 2
; COMPUTE_PGM_RSRC2:TRAP_HANDLER: 0
; COMPUTE_PGM_RSRC2:TGID_X_EN: 1
; COMPUTE_PGM_RSRC2:TGID_Y_EN: 0
; COMPUTE_PGM_RSRC2:TGID_Z_EN: 0
; COMPUTE_PGM_RSRC2:TIDIG_COMP_CNT: 0
	.section	.text._ZN7rocprim17ROCPRIM_400000_NS6detail17trampoline_kernelINS0_14default_configENS1_25partition_config_selectorILNS1_17partition_subalgoE6EN6thrust23THRUST_200600_302600_NS5tupleIyyNS7_9null_typeES9_S9_S9_S9_S9_S9_S9_EENS0_10empty_typeEbEEZZNS1_14partition_implILS5_6ELb0ES3_mNS7_12zip_iteratorINS8_INS7_6detail15normal_iteratorINS7_10device_ptrIyEEEESJ_S9_S9_S9_S9_S9_S9_S9_S9_EEEEPSB_SM_NS0_5tupleIJNSE_INS8_ISJ_NS7_16discard_iteratorINS7_11use_defaultEEES9_S9_S9_S9_S9_S9_S9_S9_EEEESB_EEENSN_IJSM_SM_EEESB_PlJNSF_9not_fun_tINSF_14equal_to_valueISA_EEEEEEE10hipError_tPvRmT3_T4_T5_T6_T7_T9_mT8_P12ihipStream_tbDpT10_ENKUlT_T0_E_clISt17integral_constantIbLb0EES1I_IbLb1EEEEDaS1E_S1F_EUlS1E_E_NS1_11comp_targetILNS1_3genE10ELNS1_11target_archE1200ELNS1_3gpuE4ELNS1_3repE0EEENS1_30default_config_static_selectorELNS0_4arch9wavefront6targetE0EEEvT1_,"axG",@progbits,_ZN7rocprim17ROCPRIM_400000_NS6detail17trampoline_kernelINS0_14default_configENS1_25partition_config_selectorILNS1_17partition_subalgoE6EN6thrust23THRUST_200600_302600_NS5tupleIyyNS7_9null_typeES9_S9_S9_S9_S9_S9_S9_EENS0_10empty_typeEbEEZZNS1_14partition_implILS5_6ELb0ES3_mNS7_12zip_iteratorINS8_INS7_6detail15normal_iteratorINS7_10device_ptrIyEEEESJ_S9_S9_S9_S9_S9_S9_S9_S9_EEEEPSB_SM_NS0_5tupleIJNSE_INS8_ISJ_NS7_16discard_iteratorINS7_11use_defaultEEES9_S9_S9_S9_S9_S9_S9_S9_EEEESB_EEENSN_IJSM_SM_EEESB_PlJNSF_9not_fun_tINSF_14equal_to_valueISA_EEEEEEE10hipError_tPvRmT3_T4_T5_T6_T7_T9_mT8_P12ihipStream_tbDpT10_ENKUlT_T0_E_clISt17integral_constantIbLb0EES1I_IbLb1EEEEDaS1E_S1F_EUlS1E_E_NS1_11comp_targetILNS1_3genE10ELNS1_11target_archE1200ELNS1_3gpuE4ELNS1_3repE0EEENS1_30default_config_static_selectorELNS0_4arch9wavefront6targetE0EEEvT1_,comdat
	.protected	_ZN7rocprim17ROCPRIM_400000_NS6detail17trampoline_kernelINS0_14default_configENS1_25partition_config_selectorILNS1_17partition_subalgoE6EN6thrust23THRUST_200600_302600_NS5tupleIyyNS7_9null_typeES9_S9_S9_S9_S9_S9_S9_EENS0_10empty_typeEbEEZZNS1_14partition_implILS5_6ELb0ES3_mNS7_12zip_iteratorINS8_INS7_6detail15normal_iteratorINS7_10device_ptrIyEEEESJ_S9_S9_S9_S9_S9_S9_S9_S9_EEEEPSB_SM_NS0_5tupleIJNSE_INS8_ISJ_NS7_16discard_iteratorINS7_11use_defaultEEES9_S9_S9_S9_S9_S9_S9_S9_EEEESB_EEENSN_IJSM_SM_EEESB_PlJNSF_9not_fun_tINSF_14equal_to_valueISA_EEEEEEE10hipError_tPvRmT3_T4_T5_T6_T7_T9_mT8_P12ihipStream_tbDpT10_ENKUlT_T0_E_clISt17integral_constantIbLb0EES1I_IbLb1EEEEDaS1E_S1F_EUlS1E_E_NS1_11comp_targetILNS1_3genE10ELNS1_11target_archE1200ELNS1_3gpuE4ELNS1_3repE0EEENS1_30default_config_static_selectorELNS0_4arch9wavefront6targetE0EEEvT1_ ; -- Begin function _ZN7rocprim17ROCPRIM_400000_NS6detail17trampoline_kernelINS0_14default_configENS1_25partition_config_selectorILNS1_17partition_subalgoE6EN6thrust23THRUST_200600_302600_NS5tupleIyyNS7_9null_typeES9_S9_S9_S9_S9_S9_S9_EENS0_10empty_typeEbEEZZNS1_14partition_implILS5_6ELb0ES3_mNS7_12zip_iteratorINS8_INS7_6detail15normal_iteratorINS7_10device_ptrIyEEEESJ_S9_S9_S9_S9_S9_S9_S9_S9_EEEEPSB_SM_NS0_5tupleIJNSE_INS8_ISJ_NS7_16discard_iteratorINS7_11use_defaultEEES9_S9_S9_S9_S9_S9_S9_S9_EEEESB_EEENSN_IJSM_SM_EEESB_PlJNSF_9not_fun_tINSF_14equal_to_valueISA_EEEEEEE10hipError_tPvRmT3_T4_T5_T6_T7_T9_mT8_P12ihipStream_tbDpT10_ENKUlT_T0_E_clISt17integral_constantIbLb0EES1I_IbLb1EEEEDaS1E_S1F_EUlS1E_E_NS1_11comp_targetILNS1_3genE10ELNS1_11target_archE1200ELNS1_3gpuE4ELNS1_3repE0EEENS1_30default_config_static_selectorELNS0_4arch9wavefront6targetE0EEEvT1_
	.globl	_ZN7rocprim17ROCPRIM_400000_NS6detail17trampoline_kernelINS0_14default_configENS1_25partition_config_selectorILNS1_17partition_subalgoE6EN6thrust23THRUST_200600_302600_NS5tupleIyyNS7_9null_typeES9_S9_S9_S9_S9_S9_S9_EENS0_10empty_typeEbEEZZNS1_14partition_implILS5_6ELb0ES3_mNS7_12zip_iteratorINS8_INS7_6detail15normal_iteratorINS7_10device_ptrIyEEEESJ_S9_S9_S9_S9_S9_S9_S9_S9_EEEEPSB_SM_NS0_5tupleIJNSE_INS8_ISJ_NS7_16discard_iteratorINS7_11use_defaultEEES9_S9_S9_S9_S9_S9_S9_S9_EEEESB_EEENSN_IJSM_SM_EEESB_PlJNSF_9not_fun_tINSF_14equal_to_valueISA_EEEEEEE10hipError_tPvRmT3_T4_T5_T6_T7_T9_mT8_P12ihipStream_tbDpT10_ENKUlT_T0_E_clISt17integral_constantIbLb0EES1I_IbLb1EEEEDaS1E_S1F_EUlS1E_E_NS1_11comp_targetILNS1_3genE10ELNS1_11target_archE1200ELNS1_3gpuE4ELNS1_3repE0EEENS1_30default_config_static_selectorELNS0_4arch9wavefront6targetE0EEEvT1_
	.p2align	8
	.type	_ZN7rocprim17ROCPRIM_400000_NS6detail17trampoline_kernelINS0_14default_configENS1_25partition_config_selectorILNS1_17partition_subalgoE6EN6thrust23THRUST_200600_302600_NS5tupleIyyNS7_9null_typeES9_S9_S9_S9_S9_S9_S9_EENS0_10empty_typeEbEEZZNS1_14partition_implILS5_6ELb0ES3_mNS7_12zip_iteratorINS8_INS7_6detail15normal_iteratorINS7_10device_ptrIyEEEESJ_S9_S9_S9_S9_S9_S9_S9_S9_EEEEPSB_SM_NS0_5tupleIJNSE_INS8_ISJ_NS7_16discard_iteratorINS7_11use_defaultEEES9_S9_S9_S9_S9_S9_S9_S9_EEEESB_EEENSN_IJSM_SM_EEESB_PlJNSF_9not_fun_tINSF_14equal_to_valueISA_EEEEEEE10hipError_tPvRmT3_T4_T5_T6_T7_T9_mT8_P12ihipStream_tbDpT10_ENKUlT_T0_E_clISt17integral_constantIbLb0EES1I_IbLb1EEEEDaS1E_S1F_EUlS1E_E_NS1_11comp_targetILNS1_3genE10ELNS1_11target_archE1200ELNS1_3gpuE4ELNS1_3repE0EEENS1_30default_config_static_selectorELNS0_4arch9wavefront6targetE0EEEvT1_,@function
_ZN7rocprim17ROCPRIM_400000_NS6detail17trampoline_kernelINS0_14default_configENS1_25partition_config_selectorILNS1_17partition_subalgoE6EN6thrust23THRUST_200600_302600_NS5tupleIyyNS7_9null_typeES9_S9_S9_S9_S9_S9_S9_EENS0_10empty_typeEbEEZZNS1_14partition_implILS5_6ELb0ES3_mNS7_12zip_iteratorINS8_INS7_6detail15normal_iteratorINS7_10device_ptrIyEEEESJ_S9_S9_S9_S9_S9_S9_S9_S9_EEEEPSB_SM_NS0_5tupleIJNSE_INS8_ISJ_NS7_16discard_iteratorINS7_11use_defaultEEES9_S9_S9_S9_S9_S9_S9_S9_EEEESB_EEENSN_IJSM_SM_EEESB_PlJNSF_9not_fun_tINSF_14equal_to_valueISA_EEEEEEE10hipError_tPvRmT3_T4_T5_T6_T7_T9_mT8_P12ihipStream_tbDpT10_ENKUlT_T0_E_clISt17integral_constantIbLb0EES1I_IbLb1EEEEDaS1E_S1F_EUlS1E_E_NS1_11comp_targetILNS1_3genE10ELNS1_11target_archE1200ELNS1_3gpuE4ELNS1_3repE0EEENS1_30default_config_static_selectorELNS0_4arch9wavefront6targetE0EEEvT1_: ; @_ZN7rocprim17ROCPRIM_400000_NS6detail17trampoline_kernelINS0_14default_configENS1_25partition_config_selectorILNS1_17partition_subalgoE6EN6thrust23THRUST_200600_302600_NS5tupleIyyNS7_9null_typeES9_S9_S9_S9_S9_S9_S9_EENS0_10empty_typeEbEEZZNS1_14partition_implILS5_6ELb0ES3_mNS7_12zip_iteratorINS8_INS7_6detail15normal_iteratorINS7_10device_ptrIyEEEESJ_S9_S9_S9_S9_S9_S9_S9_S9_EEEEPSB_SM_NS0_5tupleIJNSE_INS8_ISJ_NS7_16discard_iteratorINS7_11use_defaultEEES9_S9_S9_S9_S9_S9_S9_S9_EEEESB_EEENSN_IJSM_SM_EEESB_PlJNSF_9not_fun_tINSF_14equal_to_valueISA_EEEEEEE10hipError_tPvRmT3_T4_T5_T6_T7_T9_mT8_P12ihipStream_tbDpT10_ENKUlT_T0_E_clISt17integral_constantIbLb0EES1I_IbLb1EEEEDaS1E_S1F_EUlS1E_E_NS1_11comp_targetILNS1_3genE10ELNS1_11target_archE1200ELNS1_3gpuE4ELNS1_3repE0EEENS1_30default_config_static_selectorELNS0_4arch9wavefront6targetE0EEEvT1_
; %bb.0:
	s_clause 0x5
	s_load_b128 s[4:7], s[0:1], 0x8
	s_load_b64 s[22:23], s[0:1], 0x18
	s_load_b64 s[16:17], s[0:1], 0x30
	s_load_b128 s[8:11], s[0:1], 0x58
	s_load_b64 s[20:21], s[0:1], 0x68
	s_load_b64 s[18:19], s[0:1], 0x78
	v_cmp_eq_u32_e64 s2, 0, v0
	s_and_saveexec_b32 s3, s2
	s_cbranch_execz .LBB1914_4
; %bb.1:
	s_mov_b32 s13, exec_lo
	s_mov_b32 s12, exec_lo
	v_mbcnt_lo_u32_b32 v1, s13, 0
                                        ; implicit-def: $vgpr2
	s_delay_alu instid0(VALU_DEP_1)
	v_cmpx_eq_u32_e32 0, v1
	s_cbranch_execz .LBB1914_3
; %bb.2:
	s_load_b64 s[14:15], s[0:1], 0x88
	s_bcnt1_i32_b32 s13, s13
	s_wait_alu 0xfffe
	v_dual_mov_b32 v2, 0 :: v_dual_mov_b32 v3, s13
	s_wait_kmcnt 0x0
	global_atomic_add_u32 v2, v2, v3, s[14:15] th:TH_ATOMIC_RETURN scope:SCOPE_DEV
.LBB1914_3:
	s_or_b32 exec_lo, exec_lo, s12
	s_wait_loadcnt 0x0
	v_readfirstlane_b32 s12, v2
	s_wait_alu 0xf1ff
	s_delay_alu instid0(VALU_DEP_1)
	v_dual_mov_b32 v2, 0 :: v_dual_add_nc_u32 v1, s12, v1
	ds_store_b32 v2, v1
.LBB1914_4:
	s_or_b32 exec_lo, exec_lo, s3
	v_mov_b32_e32 v1, 0
	s_clause 0x1
	s_load_b32 s3, s[0:1], 0x80
	s_load_b128 s[12:15], s[0:1], 0x90
	s_wait_dscnt 0x0
	s_barrier_signal -1
	s_barrier_wait -1
	global_inv scope:SCOPE_SE
	ds_load_b32 v2, v1
	s_wait_loadcnt_dscnt 0x0
	s_barrier_signal -1
	s_barrier_wait -1
	global_inv scope:SCOPE_SE
	s_wait_kmcnt 0x0
	global_load_b64 v[21:22], v1, s[10:11]
	s_lshl_b64 s[0:1], s[22:23], 3
	v_lshlrev_b32_e32 v13, 4, v0
	s_add_nc_u64 s[4:5], s[4:5], s[0:1]
	s_add_nc_u64 s[24:25], s[6:7], s[0:1]
	s_mov_b32 s1, 0
	s_mul_i32 s0, s3, 0x300
	s_add_co_i32 s3, s3, -1
	s_add_nc_u64 s[6:7], s[22:23], s[0:1]
	s_add_co_i32 s0, s0, s22
	v_cmp_le_u64_e64 s7, s[20:21], s[6:7]
	s_sub_co_i32 s20, s20, s0
	v_readfirstlane_b32 s11, v2
	s_cmp_eq_u32 s11, s3
	s_mul_i32 s0, s11, 0x300
	s_cselect_b32 s6, -1, 0
	s_lshl_b64 s[22:23], s[0:1], 3
	s_wait_alu 0xfffe
	s_and_b32 s7, s7, s6
	s_mov_b32 s3, -1
	s_wait_alu 0xfffe
	s_xor_b32 s7, s7, -1
	s_add_nc_u64 s[0:1], s[4:5], s[22:23]
	s_wait_alu 0xfffe
	s_and_b32 vcc_lo, exec_lo, s7
	s_add_nc_u64 s[4:5], s[24:25], s[22:23]
	s_cbranch_vccz .LBB1914_6
; %bb.5:
	v_lshlrev_b32_e32 v11, 3, v0
	s_mov_b32 s3, 0
	s_clause 0x5
	global_load_b64 v[1:2], v11, s[0:1]
	global_load_b64 v[3:4], v11, s[4:5]
	global_load_b64 v[5:6], v11, s[0:1] offset:2048
	global_load_b64 v[9:10], v11, s[0:1] offset:4096
	;; [unrolled: 1-line block ×4, first 2 shown]
	s_wait_loadcnt 0x4
	ds_store_b128 v13, v[1:4]
	s_wait_loadcnt 0x1
	ds_store_b128 v13, v[5:8] offset:4096
	s_wait_loadcnt 0x0
	ds_store_b128 v13, v[9:12] offset:8192
	s_wait_dscnt 0x0
	s_barrier_signal -1
	s_barrier_wait -1
.LBB1914_6:
	s_and_not1_b32 vcc_lo, exec_lo, s3
	s_addk_co_i32 s20, 0x300
	s_cbranch_vccnz .LBB1914_14
; %bb.7:
	v_mov_b32_e32 v3, 0
	v_dual_mov_b32 v4, 0 :: v_dual_mov_b32 v7, 0
	v_dual_mov_b32 v5, 0 :: v_dual_mov_b32 v8, 0
	v_mov_b32_e32 v6, 0
	s_mov_b32 s3, exec_lo
	s_wait_alu 0xfffe
	v_cmpx_gt_u32_e64 s20, v0
	s_cbranch_execz .LBB1914_9
; %bb.8:
	v_lshlrev_b32_e32 v1, 3, v0
	s_clause 0x1
	global_load_b64 v[5:6], v1, s[0:1]
	global_load_b64 v[7:8], v1, s[4:5]
.LBB1914_9:
	s_or_b32 exec_lo, exec_lo, s3
	v_mov_b32_e32 v1, 0
	v_or_b32_e32 v9, 0x100, v0
	v_mov_b32_e32 v2, 0
	s_mov_b32 s3, exec_lo
	s_delay_alu instid0(VALU_DEP_2)
	v_cmpx_gt_u32_e64 s20, v9
	s_cbranch_execz .LBB1914_11
; %bb.10:
	v_lshlrev_b32_e32 v3, 3, v0
	s_clause 0x1
	global_load_b64 v[1:2], v3, s[0:1] offset:2048
	global_load_b64 v[3:4], v3, s[4:5] offset:2048
.LBB1914_11:
	s_or_b32 exec_lo, exec_lo, s3
	v_mov_b32_e32 v11, 0
	v_dual_mov_b32 v12, 0 :: v_dual_mov_b32 v9, 0
	v_or_b32_e32 v14, 0x200, v0
	v_mov_b32_e32 v10, 0
	s_mov_b32 s3, exec_lo
	s_delay_alu instid0(VALU_DEP_2)
	v_cmpx_gt_u32_e64 s20, v14
	s_cbranch_execz .LBB1914_13
; %bb.12:
	v_lshlrev_b32_e32 v11, 3, v0
	s_clause 0x1
	global_load_b64 v[9:10], v11, s[0:1] offset:4096
	global_load_b64 v[11:12], v11, s[4:5] offset:4096
.LBB1914_13:
	s_or_b32 exec_lo, exec_lo, s3
	s_wait_loadcnt 0x0
	ds_store_b128 v13, v[5:8]
	ds_store_b128 v13, v[1:4] offset:4096
	ds_store_b128 v13, v[9:12] offset:8192
	s_wait_dscnt 0x0
	s_barrier_signal -1
	s_barrier_wait -1
.LBB1914_14:
	v_mul_u32_u24_e32 v13, 3, v0
	s_wait_loadcnt 0x0
	global_inv scope:SCOPE_SE
	s_and_not1_b32 vcc_lo, exec_lo, s7
	v_lshlrev_b32_e32 v33, 4, v13
	ds_load_b128 v[1:4], v33 offset:32
	ds_load_b128 v[9:12], v33
	ds_load_b128 v[5:8], v33 offset:16
	s_wait_loadcnt_dscnt 0x0
	s_barrier_signal -1
	s_barrier_wait -1
	global_inv scope:SCOPE_SE
	v_cmp_ne_u64_e64 s0, s[12:13], v[1:2]
	v_cmp_ne_u64_e64 s1, s[14:15], v[3:4]
	s_cbranch_vccnz .LBB1914_16
; %bb.15:
	v_cmp_ne_u64_e32 vcc_lo, s[12:13], v[5:6]
	v_cmp_ne_u64_e64 s3, s[14:15], v[7:8]
	v_cmp_ne_u64_e64 s4, s[12:13], v[9:10]
	;; [unrolled: 1-line block ×3, first 2 shown]
	s_or_b32 s10, s0, s1
	s_or_b32 s3, vcc_lo, s3
	s_delay_alu instid0(SALU_CYCLE_1)
	v_cndmask_b32_e64 v31, 0, 1, s3
	s_or_b32 s3, s4, s5
	s_wait_alu 0xfffe
	v_cndmask_b32_e64 v32, 0, 1, s3
	s_cbranch_execz .LBB1914_17
	s_branch .LBB1914_18
.LBB1914_16:
                                        ; implicit-def: $sgpr10
                                        ; implicit-def: $vgpr32
                                        ; implicit-def: $vgpr31
.LBB1914_17:
	v_add_nc_u32_e32 v14, 1, v13
	v_cmp_ne_u64_e32 vcc_lo, s[12:13], v[5:6]
	v_cmp_ne_u64_e64 s0, s[14:15], v[7:8]
	v_cmp_ne_u64_e64 s1, s[12:13], v[9:10]
	;; [unrolled: 1-line block ×3, first 2 shown]
	s_wait_alu 0xfffe
	v_cmp_gt_u32_e64 s3, s20, v14
	v_cmp_gt_u32_e64 s5, s20, v13
	v_add_nc_u32_e32 v13, 2, v13
	s_or_b32 s0, vcc_lo, s0
	v_cmp_ne_u64_e32 vcc_lo, s[12:13], v[1:2]
	s_and_b32 s0, s3, s0
	s_or_b32 s1, s1, s4
	v_cndmask_b32_e64 v31, 0, 1, s0
	v_cmp_ne_u64_e64 s0, s[14:15], v[3:4]
	s_and_b32 s1, s5, s1
	v_cmp_gt_u32_e64 s3, s20, v13
	s_wait_alu 0xfffe
	v_cndmask_b32_e64 v14, 0, 1, s1
	v_lshlrev_b16 v13, 8, v31
	s_and_not1_b32 s1, s10, exec_lo
	s_or_b32 s0, vcc_lo, s0
	s_wait_alu 0xfffe
	s_and_b32 s0, s3, s0
	v_or_b32_e32 v32, v14, v13
	s_wait_alu 0xfffe
	s_and_b32 s0, s0, exec_lo
	s_wait_alu 0xfffe
	s_or_b32 s10, s1, s0
.LBB1914_18:
	v_mbcnt_lo_u32_b32 v36, -1, 0
	s_delay_alu instid0(VALU_DEP_2) | instskip(SKIP_2) | instid1(VALU_DEP_4)
	v_dual_mov_b32 v24, 0 :: v_dual_and_b32 v35, 0xff, v32
	v_and_b32_e32 v34, 0xff, v31
	v_cndmask_b32_e64 v13, 0, 1, s10
	v_and_b32_e32 v37, 15, v36
	s_cmp_lg_u32 s11, 0
	s_mov_b32 s1, -1
	s_delay_alu instid0(VALU_DEP_2) | instskip(NEXT) | instid1(VALU_DEP_2)
	v_add3_u32 v23, v35, v13, v34
	v_cmp_ne_u32_e64 s0, 0, v37
	s_cbranch_scc0 .LBB1914_75
; %bb.19:
	v_mov_b32_dpp v13, v23 row_shr:1 row_mask:0xf bank_mask:0xf
	v_mov_b32_dpp v18, v24 row_shr:1 row_mask:0xf bank_mask:0xf
	v_dual_mov_b32 v17, v23 :: v_dual_mov_b32 v14, v24
	v_dual_mov_b32 v15, v23 :: v_dual_mov_b32 v16, v24
	s_and_saveexec_b32 s1, s0
; %bb.20:
	v_add_co_u32 v17, s3, v23, v13
	s_wait_alu 0xf1ff
	v_add_co_ci_u32_e64 v14, null, 0, 0, s3
	s_delay_alu instid0(VALU_DEP_2) | instskip(NEXT) | instid1(VALU_DEP_1)
	v_add_co_u32 v13, vcc_lo, 0, v17
	v_add_co_ci_u32_e64 v14, null, v18, v14, vcc_lo
	s_delay_alu instid0(VALU_DEP_1)
	v_dual_mov_b32 v16, v14 :: v_dual_mov_b32 v15, v13
; %bb.21:
	s_wait_alu 0xfffe
	s_or_b32 exec_lo, exec_lo, s1
	v_mov_b32_dpp v13, v17 row_shr:2 row_mask:0xf bank_mask:0xf
	v_mov_b32_dpp v18, v14 row_shr:2 row_mask:0xf bank_mask:0xf
	s_mov_b32 s1, exec_lo
	v_cmpx_lt_u32_e32 1, v37
; %bb.22:
	s_delay_alu instid0(VALU_DEP_3) | instskip(SKIP_2) | instid1(VALU_DEP_2)
	v_add_co_u32 v17, vcc_lo, v15, v13
	s_wait_alu 0xfffd
	v_add_co_ci_u32_e64 v14, null, 0, v16, vcc_lo
	v_add_co_u32 v13, vcc_lo, 0, v17
	s_wait_alu 0xfffd
	s_delay_alu instid0(VALU_DEP_2) | instskip(NEXT) | instid1(VALU_DEP_1)
	v_add_co_ci_u32_e64 v14, null, v18, v14, vcc_lo
	v_dual_mov_b32 v16, v14 :: v_dual_mov_b32 v15, v13
; %bb.23:
	s_wait_alu 0xfffe
	s_or_b32 exec_lo, exec_lo, s1
	v_mov_b32_dpp v13, v17 row_shr:4 row_mask:0xf bank_mask:0xf
	v_mov_b32_dpp v18, v14 row_shr:4 row_mask:0xf bank_mask:0xf
	s_mov_b32 s1, exec_lo
	v_cmpx_lt_u32_e32 3, v37
; %bb.24:
	s_delay_alu instid0(VALU_DEP_3) | instskip(SKIP_2) | instid1(VALU_DEP_2)
	v_add_co_u32 v17, vcc_lo, v15, v13
	s_wait_alu 0xfffd
	v_add_co_ci_u32_e64 v14, null, 0, v16, vcc_lo
	v_add_co_u32 v13, vcc_lo, 0, v17
	s_wait_alu 0xfffd
	s_delay_alu instid0(VALU_DEP_2) | instskip(NEXT) | instid1(VALU_DEP_1)
	v_add_co_ci_u32_e64 v14, null, v18, v14, vcc_lo
	;; [unrolled: 17-line block ×3, first 2 shown]
	v_mov_b32_e32 v14, v16
; %bb.27:
	s_wait_alu 0xfffe
	s_or_b32 exec_lo, exec_lo, s1
	ds_swizzle_b32 v13, v17 offset:swizzle(BROADCAST,32,15)
	ds_swizzle_b32 v18, v14 offset:swizzle(BROADCAST,32,15)
	v_and_b32_e32 v19, 16, v36
	s_mov_b32 s1, exec_lo
	s_delay_alu instid0(VALU_DEP_1)
	v_cmpx_ne_u32_e32 0, v19
	s_cbranch_execz .LBB1914_29
; %bb.28:
	s_wait_dscnt 0x1
	v_add_co_u32 v17, vcc_lo, v15, v13
	s_wait_alu 0xfffd
	v_add_co_ci_u32_e64 v14, null, 0, v16, vcc_lo
	s_delay_alu instid0(VALU_DEP_2) | instskip(SKIP_2) | instid1(VALU_DEP_2)
	v_add_co_u32 v13, vcc_lo, 0, v17
	s_wait_dscnt 0x0
	s_wait_alu 0xfffd
	v_add_co_ci_u32_e64 v14, null, v18, v14, vcc_lo
	s_delay_alu instid0(VALU_DEP_1)
	v_dual_mov_b32 v16, v14 :: v_dual_mov_b32 v15, v13
.LBB1914_29:
	s_wait_alu 0xfffe
	s_or_b32 exec_lo, exec_lo, s1
	s_wait_dscnt 0x0
	v_or_b32_e32 v18, 31, v0
	v_lshrrev_b32_e32 v13, 5, v0
	s_mov_b32 s1, exec_lo
	s_delay_alu instid0(VALU_DEP_2)
	v_cmpx_eq_u32_e64 v0, v18
; %bb.30:
	s_delay_alu instid0(VALU_DEP_2)
	v_lshlrev_b32_e32 v18, 3, v13
	ds_store_b64 v18, v[15:16]
; %bb.31:
	s_wait_alu 0xfffe
	s_or_b32 exec_lo, exec_lo, s1
	s_delay_alu instid0(SALU_CYCLE_1)
	s_mov_b32 s1, exec_lo
	s_wait_loadcnt_dscnt 0x0
	s_barrier_signal -1
	s_barrier_wait -1
	global_inv scope:SCOPE_SE
	v_cmpx_gt_u32_e32 8, v0
	s_cbranch_execz .LBB1914_39
; %bb.32:
	v_lshlrev_b32_e32 v18, 3, v0
	s_mov_b32 s3, exec_lo
	ds_load_b64 v[15:16], v18
	s_wait_dscnt 0x0
	v_dual_mov_b32 v20, v15 :: v_dual_and_b32 v19, 7, v36
	v_mov_b32_dpp v26, v15 row_shr:1 row_mask:0xf bank_mask:0xf
	v_mov_b32_dpp v25, v16 row_shr:1 row_mask:0xf bank_mask:0xf
	s_delay_alu instid0(VALU_DEP_3)
	v_cmpx_ne_u32_e32 0, v19
; %bb.33:
	s_delay_alu instid0(VALU_DEP_3) | instskip(SKIP_2) | instid1(VALU_DEP_2)
	v_add_co_u32 v20, vcc_lo, v15, v26
	s_wait_alu 0xfffd
	v_add_co_ci_u32_e64 v16, null, 0, v16, vcc_lo
	v_add_co_u32 v15, vcc_lo, 0, v20
	s_wait_alu 0xfffd
	s_delay_alu instid0(VALU_DEP_2)
	v_add_co_ci_u32_e64 v16, null, v25, v16, vcc_lo
; %bb.34:
	s_wait_alu 0xfffe
	s_or_b32 exec_lo, exec_lo, s3
	v_mov_b32_dpp v26, v20 row_shr:2 row_mask:0xf bank_mask:0xf
	s_delay_alu instid0(VALU_DEP_2)
	v_mov_b32_dpp v25, v16 row_shr:2 row_mask:0xf bank_mask:0xf
	s_mov_b32 s3, exec_lo
	v_cmpx_lt_u32_e32 1, v19
; %bb.35:
	s_delay_alu instid0(VALU_DEP_3) | instskip(SKIP_2) | instid1(VALU_DEP_2)
	v_add_co_u32 v20, vcc_lo, v15, v26
	s_wait_alu 0xfffd
	v_add_co_ci_u32_e64 v16, null, 0, v16, vcc_lo
	v_add_co_u32 v15, vcc_lo, 0, v20
	s_wait_alu 0xfffd
	s_delay_alu instid0(VALU_DEP_2)
	v_add_co_ci_u32_e64 v16, null, v25, v16, vcc_lo
; %bb.36:
	s_wait_alu 0xfffe
	s_or_b32 exec_lo, exec_lo, s3
	v_mov_b32_dpp v25, v20 row_shr:4 row_mask:0xf bank_mask:0xf
	s_delay_alu instid0(VALU_DEP_2)
	v_mov_b32_dpp v20, v16 row_shr:4 row_mask:0xf bank_mask:0xf
	s_mov_b32 s3, exec_lo
	v_cmpx_lt_u32_e32 3, v19
; %bb.37:
	s_delay_alu instid0(VALU_DEP_3) | instskip(SKIP_2) | instid1(VALU_DEP_2)
	v_add_co_u32 v15, vcc_lo, v15, v25
	s_wait_alu 0xfffd
	v_add_co_ci_u32_e64 v16, null, 0, v16, vcc_lo
	v_add_co_u32 v15, vcc_lo, v15, 0
	s_wait_alu 0xfffd
	s_delay_alu instid0(VALU_DEP_2)
	v_add_co_ci_u32_e64 v16, null, v16, v20, vcc_lo
; %bb.38:
	s_wait_alu 0xfffe
	s_or_b32 exec_lo, exec_lo, s3
	ds_store_b64 v18, v[15:16]
.LBB1914_39:
	s_wait_alu 0xfffe
	s_or_b32 exec_lo, exec_lo, s1
	s_delay_alu instid0(SALU_CYCLE_1)
	s_mov_b32 s3, exec_lo
	v_cmp_gt_u32_e32 vcc_lo, 32, v0
	s_wait_loadcnt_dscnt 0x0
	s_barrier_signal -1
	s_barrier_wait -1
	global_inv scope:SCOPE_SE
                                        ; implicit-def: $vgpr25_vgpr26
	v_cmpx_lt_u32_e32 31, v0
	s_cbranch_execz .LBB1914_41
; %bb.40:
	v_lshl_add_u32 v13, v13, 3, -8
	ds_load_b64 v[25:26], v13
	s_wait_dscnt 0x0
	v_add_co_u32 v17, s1, v17, v25
	s_wait_alu 0xf1ff
	v_add_co_ci_u32_e64 v14, null, v14, v26, s1
.LBB1914_41:
	s_wait_alu 0xfffe
	s_or_b32 exec_lo, exec_lo, s3
	v_sub_co_u32 v13, s1, v36, 1
	s_delay_alu instid0(VALU_DEP_1) | instskip(SKIP_1) | instid1(VALU_DEP_1)
	v_cmp_gt_i32_e64 s3, 0, v13
	s_wait_alu 0xf1ff
	v_cndmask_b32_e64 v13, v13, v36, s3
	s_delay_alu instid0(VALU_DEP_1)
	v_lshlrev_b32_e32 v13, 2, v13
	ds_bpermute_b32 v38, v13, v17
	ds_bpermute_b32 v39, v13, v14
	s_and_saveexec_b32 s3, vcc_lo
	s_cbranch_execz .LBB1914_80
; %bb.42:
	v_mov_b32_e32 v16, 0
	ds_load_b64 v[13:14], v16 offset:56
	s_and_saveexec_b32 s4, s1
	s_cbranch_execz .LBB1914_44
; %bb.43:
	s_add_co_i32 s12, s11, 32
	s_mov_b32 s13, 0
	s_wait_alu 0xfffe
	s_lshl_b64 s[12:13], s[12:13], 4
	s_wait_alu 0xfffe
	s_add_nc_u64 s[12:13], s[18:19], s[12:13]
	s_wait_alu 0xfffe
	v_dual_mov_b32 v15, 1 :: v_dual_mov_b32 v18, s13
	v_mov_b32_e32 v17, s12
	s_wait_dscnt 0x0
	;;#ASMSTART
	global_store_b128 v[17:18], v[13:16] off scope:SCOPE_DEV	
s_wait_storecnt 0x0
	;;#ASMEND
.LBB1914_44:
	s_or_b32 exec_lo, exec_lo, s4
	v_xad_u32 v27, v36, -1, s11
	s_mov_b32 s5, 0
	s_mov_b32 s4, exec_lo
	s_delay_alu instid0(VALU_DEP_1) | instskip(NEXT) | instid1(VALU_DEP_1)
	v_add_nc_u32_e32 v15, 32, v27
	v_lshlrev_b64_e32 v[15:16], 4, v[15:16]
	s_delay_alu instid0(VALU_DEP_1) | instskip(SKIP_1) | instid1(VALU_DEP_2)
	v_add_co_u32 v15, vcc_lo, s18, v15
	s_wait_alu 0xfffd
	v_add_co_ci_u32_e64 v16, null, s19, v16, vcc_lo
	;;#ASMSTART
	global_load_b128 v[17:20], v[15:16] off scope:SCOPE_DEV	
s_wait_loadcnt 0x0
	;;#ASMEND
	v_and_b32_e32 v20, 0xff, v19
	s_delay_alu instid0(VALU_DEP_1)
	v_cmpx_eq_u16_e32 0, v20
	s_cbranch_execz .LBB1914_47
.LBB1914_45:                            ; =>This Inner Loop Header: Depth=1
	;;#ASMSTART
	global_load_b128 v[17:20], v[15:16] off scope:SCOPE_DEV	
s_wait_loadcnt 0x0
	;;#ASMEND
	v_and_b32_e32 v20, 0xff, v19
	s_delay_alu instid0(VALU_DEP_1) | instskip(SKIP_1) | instid1(SALU_CYCLE_1)
	v_cmp_ne_u16_e32 vcc_lo, 0, v20
	s_or_b32 s5, vcc_lo, s5
	s_and_not1_b32 exec_lo, exec_lo, s5
	s_cbranch_execnz .LBB1914_45
; %bb.46:
	s_or_b32 exec_lo, exec_lo, s5
.LBB1914_47:
	s_delay_alu instid0(SALU_CYCLE_1)
	s_or_b32 exec_lo, exec_lo, s4
	v_cmp_ne_u32_e32 vcc_lo, 31, v36
	v_and_b32_e32 v16, 0xff, v19
	v_lshlrev_b32_e64 v41, v36, -1
	s_mov_b32 s4, exec_lo
	s_wait_alu 0xfffd
	v_add_co_ci_u32_e64 v15, null, 0, v36, vcc_lo
	v_cmp_eq_u16_e32 vcc_lo, 2, v16
	v_mov_b32_e32 v16, v17
	s_delay_alu instid0(VALU_DEP_3)
	v_lshlrev_b32_e32 v40, 2, v15
	s_wait_alu 0xfffd
	v_and_or_b32 v15, vcc_lo, v41, 0x80000000
	ds_bpermute_b32 v28, v40, v17
	ds_bpermute_b32 v20, v40, v18
	v_ctz_i32_b32_e32 v15, v15
	s_delay_alu instid0(VALU_DEP_1)
	v_cmpx_lt_u32_e64 v36, v15
	s_cbranch_execz .LBB1914_49
; %bb.48:
	s_wait_dscnt 0x1
	v_add_co_u32 v16, vcc_lo, v17, v28
	s_wait_alu 0xfffd
	v_add_co_ci_u32_e64 v18, null, 0, v18, vcc_lo
	s_delay_alu instid0(VALU_DEP_2) | instskip(SKIP_2) | instid1(VALU_DEP_2)
	v_add_co_u32 v17, vcc_lo, 0, v16
	s_wait_dscnt 0x0
	s_wait_alu 0xfffd
	v_add_co_ci_u32_e64 v18, null, v20, v18, vcc_lo
.LBB1914_49:
	s_or_b32 exec_lo, exec_lo, s4
	v_cmp_gt_u32_e32 vcc_lo, 30, v36
	v_add_nc_u32_e32 v43, 2, v36
	s_mov_b32 s4, exec_lo
	s_wait_dscnt 0x0
	s_wait_alu 0xfffd
	v_cndmask_b32_e64 v20, 0, 2, vcc_lo
	s_delay_alu instid0(VALU_DEP_1)
	v_add_lshl_u32 v42, v20, v36, 2
	ds_bpermute_b32 v28, v42, v16
	ds_bpermute_b32 v20, v42, v18
	v_cmpx_le_u32_e64 v43, v15
	s_cbranch_execz .LBB1914_51
; %bb.50:
	s_wait_dscnt 0x1
	v_add_co_u32 v16, vcc_lo, v17, v28
	s_wait_alu 0xfffd
	v_add_co_ci_u32_e64 v18, null, 0, v18, vcc_lo
	s_delay_alu instid0(VALU_DEP_2) | instskip(SKIP_2) | instid1(VALU_DEP_2)
	v_add_co_u32 v17, vcc_lo, 0, v16
	s_wait_dscnt 0x0
	s_wait_alu 0xfffd
	v_add_co_ci_u32_e64 v18, null, v20, v18, vcc_lo
.LBB1914_51:
	s_or_b32 exec_lo, exec_lo, s4
	v_cmp_gt_u32_e32 vcc_lo, 28, v36
	v_add_nc_u32_e32 v45, 4, v36
	s_mov_b32 s4, exec_lo
	s_wait_dscnt 0x0
	s_wait_alu 0xfffd
	v_cndmask_b32_e64 v20, 0, 4, vcc_lo
	s_delay_alu instid0(VALU_DEP_1)
	v_add_lshl_u32 v44, v20, v36, 2
	ds_bpermute_b32 v28, v44, v16
	ds_bpermute_b32 v20, v44, v18
	v_cmpx_le_u32_e64 v45, v15
	;; [unrolled: 24-line block ×3, first 2 shown]
	s_cbranch_execz .LBB1914_55
; %bb.54:
	s_wait_dscnt 0x1
	v_add_co_u32 v16, vcc_lo, v17, v28
	s_wait_alu 0xfffd
	v_add_co_ci_u32_e64 v18, null, 0, v18, vcc_lo
	s_delay_alu instid0(VALU_DEP_2) | instskip(SKIP_2) | instid1(VALU_DEP_2)
	v_add_co_u32 v17, vcc_lo, 0, v16
	s_wait_dscnt 0x0
	s_wait_alu 0xfffd
	v_add_co_ci_u32_e64 v18, null, v20, v18, vcc_lo
.LBB1914_55:
	s_or_b32 exec_lo, exec_lo, s4
	v_lshl_or_b32 v48, v36, 2, 64
	v_add_nc_u32_e32 v49, 16, v36
	s_mov_b32 s4, exec_lo
	s_wait_dscnt 0x0
	ds_bpermute_b32 v20, v48, v16
	ds_bpermute_b32 v16, v48, v18
	v_cmpx_le_u32_e64 v49, v15
	s_cbranch_execz .LBB1914_57
; %bb.56:
	s_wait_dscnt 0x1
	v_add_co_u32 v15, vcc_lo, v17, v20
	s_wait_alu 0xfffd
	v_add_co_ci_u32_e64 v18, null, 0, v18, vcc_lo
	s_delay_alu instid0(VALU_DEP_2) | instskip(SKIP_2) | instid1(VALU_DEP_2)
	v_add_co_u32 v17, vcc_lo, v15, 0
	s_wait_dscnt 0x0
	s_wait_alu 0xfffd
	v_add_co_ci_u32_e64 v18, null, v18, v16, vcc_lo
.LBB1914_57:
	s_or_b32 exec_lo, exec_lo, s4
	v_mov_b32_e32 v28, 0
	s_branch .LBB1914_60
.LBB1914_58:                            ;   in Loop: Header=BB1914_60 Depth=1
	s_or_b32 exec_lo, exec_lo, s4
	v_add_co_u32 v17, vcc_lo, v17, v15
	v_subrev_nc_u32_e32 v27, 32, v27
	s_wait_alu 0xfffd
	v_add_co_ci_u32_e64 v18, null, v18, v16, vcc_lo
	s_mov_b32 s4, 0
.LBB1914_59:                            ;   in Loop: Header=BB1914_60 Depth=1
	s_delay_alu instid0(SALU_CYCLE_1)
	s_and_b32 vcc_lo, exec_lo, s4
	s_wait_alu 0xfffe
	s_cbranch_vccnz .LBB1914_76
.LBB1914_60:                            ; =>This Loop Header: Depth=1
                                        ;     Child Loop BB1914_63 Depth 2
	v_and_b32_e32 v15, 0xff, v19
	s_mov_b32 s4, -1
	s_delay_alu instid0(VALU_DEP_1)
	v_cmp_ne_u16_e32 vcc_lo, 2, v15
	s_wait_dscnt 0x0
	v_dual_mov_b32 v15, v17 :: v_dual_mov_b32 v16, v18
                                        ; implicit-def: $vgpr17_vgpr18
	s_cmp_lg_u32 vcc_lo, exec_lo
	s_cbranch_scc1 .LBB1914_59
; %bb.61:                               ;   in Loop: Header=BB1914_60 Depth=1
	v_lshlrev_b64_e32 v[17:18], 4, v[27:28]
	s_mov_b32 s4, exec_lo
	s_delay_alu instid0(VALU_DEP_1) | instskip(SKIP_1) | instid1(VALU_DEP_2)
	v_add_co_u32 v29, vcc_lo, s18, v17
	s_wait_alu 0xfffd
	v_add_co_ci_u32_e64 v30, null, s19, v18, vcc_lo
	;;#ASMSTART
	global_load_b128 v[17:20], v[29:30] off scope:SCOPE_DEV	
s_wait_loadcnt 0x0
	;;#ASMEND
	v_and_b32_e32 v20, 0xff, v19
	s_delay_alu instid0(VALU_DEP_1)
	v_cmpx_eq_u16_e32 0, v20
	s_cbranch_execz .LBB1914_65
; %bb.62:                               ;   in Loop: Header=BB1914_60 Depth=1
	s_mov_b32 s5, 0
.LBB1914_63:                            ;   Parent Loop BB1914_60 Depth=1
                                        ; =>  This Inner Loop Header: Depth=2
	;;#ASMSTART
	global_load_b128 v[17:20], v[29:30] off scope:SCOPE_DEV	
s_wait_loadcnt 0x0
	;;#ASMEND
	v_and_b32_e32 v20, 0xff, v19
	s_delay_alu instid0(VALU_DEP_1) | instskip(SKIP_1) | instid1(SALU_CYCLE_1)
	v_cmp_ne_u16_e32 vcc_lo, 0, v20
	s_or_b32 s5, vcc_lo, s5
	s_and_not1_b32 exec_lo, exec_lo, s5
	s_cbranch_execnz .LBB1914_63
; %bb.64:                               ;   in Loop: Header=BB1914_60 Depth=1
	s_or_b32 exec_lo, exec_lo, s5
.LBB1914_65:                            ;   in Loop: Header=BB1914_60 Depth=1
	s_delay_alu instid0(SALU_CYCLE_1)
	s_or_b32 exec_lo, exec_lo, s4
	v_dual_mov_b32 v29, v17 :: v_dual_and_b32 v20, 0xff, v19
	ds_bpermute_b32 v50, v40, v17
	ds_bpermute_b32 v30, v40, v18
	s_mov_b32 s4, exec_lo
	v_cmp_eq_u16_e32 vcc_lo, 2, v20
	s_wait_alu 0xfffd
	v_and_or_b32 v20, vcc_lo, v41, 0x80000000
	s_delay_alu instid0(VALU_DEP_1) | instskip(NEXT) | instid1(VALU_DEP_1)
	v_ctz_i32_b32_e32 v20, v20
	v_cmpx_lt_u32_e64 v36, v20
	s_cbranch_execz .LBB1914_67
; %bb.66:                               ;   in Loop: Header=BB1914_60 Depth=1
	s_wait_dscnt 0x1
	v_add_co_u32 v29, vcc_lo, v17, v50
	s_wait_alu 0xfffd
	v_add_co_ci_u32_e64 v18, null, 0, v18, vcc_lo
	s_delay_alu instid0(VALU_DEP_2) | instskip(SKIP_2) | instid1(VALU_DEP_2)
	v_add_co_u32 v17, vcc_lo, 0, v29
	s_wait_dscnt 0x0
	s_wait_alu 0xfffd
	v_add_co_ci_u32_e64 v18, null, v30, v18, vcc_lo
.LBB1914_67:                            ;   in Loop: Header=BB1914_60 Depth=1
	s_or_b32 exec_lo, exec_lo, s4
	s_wait_dscnt 0x1
	ds_bpermute_b32 v50, v42, v29
	s_wait_dscnt 0x1
	ds_bpermute_b32 v30, v42, v18
	s_mov_b32 s4, exec_lo
	v_cmpx_le_u32_e64 v43, v20
	s_cbranch_execz .LBB1914_69
; %bb.68:                               ;   in Loop: Header=BB1914_60 Depth=1
	s_wait_dscnt 0x1
	v_add_co_u32 v29, vcc_lo, v17, v50
	s_wait_alu 0xfffd
	v_add_co_ci_u32_e64 v18, null, 0, v18, vcc_lo
	s_delay_alu instid0(VALU_DEP_2) | instskip(SKIP_2) | instid1(VALU_DEP_2)
	v_add_co_u32 v17, vcc_lo, 0, v29
	s_wait_dscnt 0x0
	s_wait_alu 0xfffd
	v_add_co_ci_u32_e64 v18, null, v30, v18, vcc_lo
.LBB1914_69:                            ;   in Loop: Header=BB1914_60 Depth=1
	s_or_b32 exec_lo, exec_lo, s4
	s_wait_dscnt 0x1
	ds_bpermute_b32 v50, v44, v29
	s_wait_dscnt 0x1
	ds_bpermute_b32 v30, v44, v18
	s_mov_b32 s4, exec_lo
	v_cmpx_le_u32_e64 v45, v20
	s_cbranch_execz .LBB1914_71
; %bb.70:                               ;   in Loop: Header=BB1914_60 Depth=1
	s_wait_dscnt 0x1
	v_add_co_u32 v29, vcc_lo, v17, v50
	s_wait_alu 0xfffd
	v_add_co_ci_u32_e64 v18, null, 0, v18, vcc_lo
	s_delay_alu instid0(VALU_DEP_2) | instskip(SKIP_2) | instid1(VALU_DEP_2)
	v_add_co_u32 v17, vcc_lo, 0, v29
	s_wait_dscnt 0x0
	s_wait_alu 0xfffd
	v_add_co_ci_u32_e64 v18, null, v30, v18, vcc_lo
.LBB1914_71:                            ;   in Loop: Header=BB1914_60 Depth=1
	s_or_b32 exec_lo, exec_lo, s4
	s_wait_dscnt 0x1
	ds_bpermute_b32 v50, v46, v29
	s_wait_dscnt 0x1
	ds_bpermute_b32 v30, v46, v18
	s_mov_b32 s4, exec_lo
	v_cmpx_le_u32_e64 v47, v20
	s_cbranch_execz .LBB1914_73
; %bb.72:                               ;   in Loop: Header=BB1914_60 Depth=1
	s_wait_dscnt 0x1
	v_add_co_u32 v29, vcc_lo, v17, v50
	s_wait_alu 0xfffd
	v_add_co_ci_u32_e64 v18, null, 0, v18, vcc_lo
	s_delay_alu instid0(VALU_DEP_2) | instskip(SKIP_2) | instid1(VALU_DEP_2)
	v_add_co_u32 v17, vcc_lo, 0, v29
	s_wait_dscnt 0x0
	s_wait_alu 0xfffd
	v_add_co_ci_u32_e64 v18, null, v30, v18, vcc_lo
.LBB1914_73:                            ;   in Loop: Header=BB1914_60 Depth=1
	s_or_b32 exec_lo, exec_lo, s4
	s_wait_dscnt 0x0
	ds_bpermute_b32 v30, v48, v29
	ds_bpermute_b32 v29, v48, v18
	s_mov_b32 s4, exec_lo
	v_cmpx_le_u32_e64 v49, v20
	s_cbranch_execz .LBB1914_58
; %bb.74:                               ;   in Loop: Header=BB1914_60 Depth=1
	s_wait_dscnt 0x1
	v_add_co_u32 v17, vcc_lo, v17, v30
	s_wait_alu 0xfffd
	v_add_co_ci_u32_e64 v18, null, 0, v18, vcc_lo
	s_delay_alu instid0(VALU_DEP_2) | instskip(SKIP_2) | instid1(VALU_DEP_2)
	v_add_co_u32 v17, vcc_lo, v17, 0
	s_wait_dscnt 0x0
	s_wait_alu 0xfffd
	v_add_co_ci_u32_e64 v18, null, v18, v29, vcc_lo
	s_branch .LBB1914_58
.LBB1914_75:
                                        ; implicit-def: $vgpr17_vgpr18
                                        ; implicit-def: $vgpr19_vgpr20
                                        ; implicit-def: $vgpr25_vgpr26
                                        ; implicit-def: $vgpr15_vgpr16
	s_wait_alu 0xfffe
	s_and_b32 vcc_lo, exec_lo, s1
	s_cbranch_vccnz .LBB1914_81
	s_branch .LBB1914_106
.LBB1914_76:
	s_and_saveexec_b32 s4, s1
	s_cbranch_execz .LBB1914_78
; %bb.77:
	s_add_co_i32 s12, s11, 32
	s_mov_b32 s13, 0
	v_add_co_u32 v17, vcc_lo, v15, v13
	s_wait_alu 0xfffe
	s_lshl_b64 s[12:13], s[12:13], 4
	v_dual_mov_b32 v19, 2 :: v_dual_mov_b32 v20, 0
	s_wait_alu 0xfffe
	s_add_nc_u64 s[12:13], s[18:19], s[12:13]
	s_wait_alu 0xfffd
	v_add_co_ci_u32_e64 v18, null, v16, v14, vcc_lo
	s_wait_alu 0xfffe
	v_dual_mov_b32 v28, s13 :: v_dual_mov_b32 v27, s12
	;;#ASMSTART
	global_store_b128 v[27:28], v[17:20] off scope:SCOPE_DEV	
s_wait_storecnt 0x0
	;;#ASMEND
	ds_store_b128 v20, v[13:16] offset:12288
.LBB1914_78:
	s_or_b32 exec_lo, exec_lo, s4
	s_delay_alu instid0(SALU_CYCLE_1)
	s_and_b32 exec_lo, exec_lo, s2
; %bb.79:
	v_mov_b32_e32 v13, 0
	ds_store_b64 v13, v[15:16] offset:56
.LBB1914_80:
	s_wait_alu 0xfffe
	s_or_b32 exec_lo, exec_lo, s3
	v_mov_b32_e32 v13, 0
	s_wait_loadcnt_dscnt 0x0
	s_barrier_signal -1
	s_barrier_wait -1
	global_inv scope:SCOPE_SE
	ds_load_b64 v[17:18], v13 offset:56
	v_cndmask_b32_e64 v14, v39, v26, s1
	v_cndmask_b32_e64 v15, v38, v25, s1
	s_wait_loadcnt_dscnt 0x0
	s_barrier_signal -1
	s_barrier_wait -1
	v_cndmask_b32_e64 v19, v14, 0, s2
	v_cndmask_b32_e64 v20, v15, 0, s2
	global_inv scope:SCOPE_SE
	ds_load_b128 v[13:16], v13 offset:12288
	v_add_co_u32 v25, vcc_lo, v17, v20
	s_wait_alu 0xfffd
	v_add_co_ci_u32_e64 v26, null, v18, v19, vcc_lo
	s_delay_alu instid0(VALU_DEP_2) | instskip(SKIP_1) | instid1(VALU_DEP_2)
	v_add_co_u32 v19, vcc_lo, v25, v35
	s_wait_alu 0xfffd
	v_add_co_ci_u32_e64 v20, null, 0, v26, vcc_lo
	s_delay_alu instid0(VALU_DEP_2) | instskip(SKIP_1) | instid1(VALU_DEP_2)
	v_add_co_u32 v17, vcc_lo, v19, v34
	s_wait_alu 0xfffd
	v_add_co_ci_u32_e64 v18, null, 0, v20, vcc_lo
	s_branch .LBB1914_106
.LBB1914_81:
	s_wait_dscnt 0x0
	v_dual_mov_b32 v14, 0 :: v_dual_mov_b32 v15, v23
	v_mov_b32_dpp v16, v23 row_shr:1 row_mask:0xf bank_mask:0xf
	s_delay_alu instid0(VALU_DEP_2)
	v_mov_b32_dpp v13, v14 row_shr:1 row_mask:0xf bank_mask:0xf
	s_and_saveexec_b32 s1, s0
; %bb.82:
	s_delay_alu instid0(VALU_DEP_2) | instskip(SKIP_2) | instid1(VALU_DEP_2)
	v_add_co_u32 v15, s0, v23, v16
	s_wait_alu 0xf1ff
	v_add_co_ci_u32_e64 v14, null, 0, 0, s0
	v_add_co_u32 v23, vcc_lo, 0, v15
	s_delay_alu instid0(VALU_DEP_1) | instskip(NEXT) | instid1(VALU_DEP_1)
	v_add_co_ci_u32_e64 v24, null, v13, v14, vcc_lo
	v_mov_b32_e32 v14, v24
; %bb.83:
	s_wait_alu 0xfffe
	s_or_b32 exec_lo, exec_lo, s1
	v_mov_b32_dpp v13, v15 row_shr:2 row_mask:0xf bank_mask:0xf
	s_delay_alu instid0(VALU_DEP_2)
	v_mov_b32_dpp v16, v14 row_shr:2 row_mask:0xf bank_mask:0xf
	s_mov_b32 s0, exec_lo
	v_cmpx_lt_u32_e32 1, v37
; %bb.84:
	s_delay_alu instid0(VALU_DEP_3) | instskip(SKIP_2) | instid1(VALU_DEP_2)
	v_add_co_u32 v15, vcc_lo, v23, v13
	s_wait_alu 0xfffd
	v_add_co_ci_u32_e64 v14, null, 0, v24, vcc_lo
	v_add_co_u32 v13, vcc_lo, 0, v15
	s_wait_alu 0xfffd
	s_delay_alu instid0(VALU_DEP_2) | instskip(NEXT) | instid1(VALU_DEP_1)
	v_add_co_ci_u32_e64 v14, null, v16, v14, vcc_lo
	v_dual_mov_b32 v24, v14 :: v_dual_mov_b32 v23, v13
; %bb.85:
	s_wait_alu 0xfffe
	s_or_b32 exec_lo, exec_lo, s0
	v_mov_b32_dpp v13, v15 row_shr:4 row_mask:0xf bank_mask:0xf
	v_mov_b32_dpp v16, v14 row_shr:4 row_mask:0xf bank_mask:0xf
	s_mov_b32 s0, exec_lo
	v_cmpx_lt_u32_e32 3, v37
; %bb.86:
	s_delay_alu instid0(VALU_DEP_3) | instskip(SKIP_2) | instid1(VALU_DEP_2)
	v_add_co_u32 v15, vcc_lo, v23, v13
	s_wait_alu 0xfffd
	v_add_co_ci_u32_e64 v14, null, 0, v24, vcc_lo
	v_add_co_u32 v13, vcc_lo, 0, v15
	s_wait_alu 0xfffd
	s_delay_alu instid0(VALU_DEP_2) | instskip(NEXT) | instid1(VALU_DEP_1)
	v_add_co_ci_u32_e64 v14, null, v16, v14, vcc_lo
	v_dual_mov_b32 v24, v14 :: v_dual_mov_b32 v23, v13
; %bb.87:
	s_wait_alu 0xfffe
	s_or_b32 exec_lo, exec_lo, s0
	v_mov_b32_dpp v16, v15 row_shr:8 row_mask:0xf bank_mask:0xf
	v_mov_b32_dpp v13, v14 row_shr:8 row_mask:0xf bank_mask:0xf
	s_mov_b32 s0, exec_lo
	v_cmpx_lt_u32_e32 7, v37
; %bb.88:
	s_delay_alu instid0(VALU_DEP_3) | instskip(SKIP_2) | instid1(VALU_DEP_2)
	v_add_co_u32 v15, vcc_lo, v23, v16
	s_wait_alu 0xfffd
	v_add_co_ci_u32_e64 v14, null, 0, v24, vcc_lo
	v_add_co_u32 v23, vcc_lo, 0, v15
	s_wait_alu 0xfffd
	s_delay_alu instid0(VALU_DEP_2) | instskip(NEXT) | instid1(VALU_DEP_1)
	v_add_co_ci_u32_e64 v24, null, v13, v14, vcc_lo
	v_mov_b32_e32 v14, v24
; %bb.89:
	s_wait_alu 0xfffe
	s_or_b32 exec_lo, exec_lo, s0
	ds_swizzle_b32 v15, v15 offset:swizzle(BROADCAST,32,15)
	ds_swizzle_b32 v13, v14 offset:swizzle(BROADCAST,32,15)
	v_and_b32_e32 v14, 16, v36
	s_mov_b32 s0, exec_lo
	s_delay_alu instid0(VALU_DEP_1)
	v_cmpx_ne_u32_e32 0, v14
	s_cbranch_execz .LBB1914_91
; %bb.90:
	s_wait_dscnt 0x1
	v_add_co_u32 v14, vcc_lo, v23, v15
	s_wait_alu 0xfffd
	v_add_co_ci_u32_e64 v15, null, 0, v24, vcc_lo
	s_delay_alu instid0(VALU_DEP_2) | instskip(SKIP_2) | instid1(VALU_DEP_2)
	v_add_co_u32 v23, vcc_lo, v14, 0
	s_wait_dscnt 0x0
	s_wait_alu 0xfffd
	v_add_co_ci_u32_e64 v24, null, v15, v13, vcc_lo
.LBB1914_91:
	s_wait_alu 0xfffe
	s_or_b32 exec_lo, exec_lo, s0
	s_wait_dscnt 0x0
	v_or_b32_e32 v13, 31, v0
	v_lshrrev_b32_e32 v15, 5, v0
	s_mov_b32 s0, exec_lo
	s_delay_alu instid0(VALU_DEP_2)
	v_cmpx_eq_u32_e64 v0, v13
; %bb.92:
	s_delay_alu instid0(VALU_DEP_2)
	v_lshlrev_b32_e32 v13, 3, v15
	ds_store_b64 v13, v[23:24]
; %bb.93:
	s_wait_alu 0xfffe
	s_or_b32 exec_lo, exec_lo, s0
	s_delay_alu instid0(SALU_CYCLE_1)
	s_mov_b32 s0, exec_lo
	s_wait_loadcnt_dscnt 0x0
	s_barrier_signal -1
	s_barrier_wait -1
	global_inv scope:SCOPE_SE
	v_cmpx_gt_u32_e32 8, v0
	s_cbranch_execz .LBB1914_101
; %bb.94:
	v_mad_i32_i24 v13, 0xffffffd8, v0, v33
	s_mov_b32 s1, exec_lo
	ds_load_b64 v[13:14], v13
	s_wait_dscnt 0x0
	v_dual_mov_b32 v17, v13 :: v_dual_and_b32 v16, 7, v36
	v_mov_b32_dpp v19, v13 row_shr:1 row_mask:0xf bank_mask:0xf
	v_mov_b32_dpp v18, v14 row_shr:1 row_mask:0xf bank_mask:0xf
	s_delay_alu instid0(VALU_DEP_3)
	v_cmpx_ne_u32_e32 0, v16
; %bb.95:
	s_delay_alu instid0(VALU_DEP_3) | instskip(SKIP_2) | instid1(VALU_DEP_2)
	v_add_co_u32 v17, vcc_lo, v13, v19
	s_wait_alu 0xfffd
	v_add_co_ci_u32_e64 v14, null, 0, v14, vcc_lo
	v_add_co_u32 v13, vcc_lo, 0, v17
	s_wait_alu 0xfffd
	s_delay_alu instid0(VALU_DEP_2)
	v_add_co_ci_u32_e64 v14, null, v18, v14, vcc_lo
; %bb.96:
	s_wait_alu 0xfffe
	s_or_b32 exec_lo, exec_lo, s1
	v_mov_b32_dpp v19, v17 row_shr:2 row_mask:0xf bank_mask:0xf
	s_delay_alu instid0(VALU_DEP_2)
	v_mov_b32_dpp v18, v14 row_shr:2 row_mask:0xf bank_mask:0xf
	s_mov_b32 s1, exec_lo
	v_cmpx_lt_u32_e32 1, v16
; %bb.97:
	s_delay_alu instid0(VALU_DEP_3) | instskip(SKIP_2) | instid1(VALU_DEP_2)
	v_add_co_u32 v17, vcc_lo, v13, v19
	s_wait_alu 0xfffd
	v_add_co_ci_u32_e64 v14, null, 0, v14, vcc_lo
	v_add_co_u32 v13, vcc_lo, 0, v17
	s_wait_alu 0xfffd
	s_delay_alu instid0(VALU_DEP_2)
	v_add_co_ci_u32_e64 v14, null, v18, v14, vcc_lo
; %bb.98:
	s_wait_alu 0xfffe
	s_or_b32 exec_lo, exec_lo, s1
	v_mul_i32_i24_e32 v18, 0xffffffd8, v0
	v_mov_b32_dpp v19, v17 row_shr:4 row_mask:0xf bank_mask:0xf
	v_mov_b32_dpp v17, v14 row_shr:4 row_mask:0xf bank_mask:0xf
	s_mov_b32 s1, exec_lo
	v_cmpx_lt_u32_e32 3, v16
; %bb.99:
	s_delay_alu instid0(VALU_DEP_3) | instskip(SKIP_2) | instid1(VALU_DEP_2)
	v_add_co_u32 v13, vcc_lo, v13, v19
	s_wait_alu 0xfffd
	v_add_co_ci_u32_e64 v14, null, 0, v14, vcc_lo
	v_add_co_u32 v13, vcc_lo, v13, 0
	s_wait_alu 0xfffd
	s_delay_alu instid0(VALU_DEP_2)
	v_add_co_ci_u32_e64 v14, null, v14, v17, vcc_lo
; %bb.100:
	s_wait_alu 0xfffe
	s_or_b32 exec_lo, exec_lo, s1
	v_add_nc_u32_e32 v16, v33, v18
	ds_store_b64 v16, v[13:14]
.LBB1914_101:
	s_wait_alu 0xfffe
	s_or_b32 exec_lo, exec_lo, s0
	v_mov_b32_e32 v17, 0
	v_mov_b32_e32 v18, 0
	s_mov_b32 s0, exec_lo
	s_wait_loadcnt_dscnt 0x0
	s_barrier_signal -1
	s_barrier_wait -1
	global_inv scope:SCOPE_SE
	v_cmpx_lt_u32_e32 31, v0
; %bb.102:
	v_lshl_add_u32 v13, v15, 3, -8
	ds_load_b64 v[17:18], v13
; %bb.103:
	s_wait_alu 0xfffe
	s_or_b32 exec_lo, exec_lo, s0
	v_sub_co_u32 v13, vcc_lo, v36, 1
	v_mov_b32_e32 v16, 0
	s_delay_alu instid0(VALU_DEP_2) | instskip(SKIP_1) | instid1(VALU_DEP_1)
	v_cmp_gt_i32_e64 s0, 0, v13
	s_wait_alu 0xf1ff
	v_cndmask_b32_e64 v13, v13, v36, s0
	s_wait_dscnt 0x0
	v_add_co_u32 v14, s0, v17, v23
	s_wait_alu 0xf1ff
	v_add_co_ci_u32_e64 v15, null, v18, v24, s0
	v_lshlrev_b32_e32 v13, 2, v13
	ds_bpermute_b32 v19, v13, v14
	ds_bpermute_b32 v20, v13, v15
	ds_load_b64 v[13:14], v16 offset:56
	s_and_saveexec_b32 s0, s2
	s_cbranch_execz .LBB1914_105
; %bb.104:
	s_add_nc_u64 s[4:5], s[18:19], 0x200
	s_delay_alu instid0(SALU_CYCLE_1)
	v_dual_mov_b32 v15, 2 :: v_dual_mov_b32 v24, s5
	v_mov_b32_e32 v23, s4
	s_wait_dscnt 0x0
	;;#ASMSTART
	global_store_b128 v[23:24], v[13:16] off scope:SCOPE_DEV	
s_wait_storecnt 0x0
	;;#ASMEND
.LBB1914_105:
	s_wait_alu 0xfffe
	s_or_b32 exec_lo, exec_lo, s0
	s_wait_dscnt 0x1
	s_wait_alu 0xfffd
	v_dual_cndmask_b32 v15, v19, v17 :: v_dual_cndmask_b32 v16, v20, v18
	s_wait_loadcnt_dscnt 0x0
	s_barrier_signal -1
	s_barrier_wait -1
	s_delay_alu instid0(VALU_DEP_1)
	v_cndmask_b32_e64 v25, v15, 0, s2
	v_cndmask_b32_e64 v26, v16, 0, s2
	v_mov_b32_e32 v15, 0
	v_mov_b32_e32 v16, 0
	global_inv scope:SCOPE_SE
	v_add_co_u32 v19, vcc_lo, v25, v35
	s_wait_alu 0xfffd
	v_add_co_ci_u32_e64 v20, null, 0, v26, vcc_lo
	s_delay_alu instid0(VALU_DEP_2) | instskip(SKIP_1) | instid1(VALU_DEP_2)
	v_add_co_u32 v17, vcc_lo, v19, v34
	s_wait_alu 0xfffd
	v_add_co_ci_u32_e64 v18, null, 0, v20, vcc_lo
.LBB1914_106:
	v_and_b32_e32 v29, 1, v32
	s_wait_dscnt 0x0
	v_cmp_gt_u64_e32 vcc_lo, 0x101, v[13:14]
	v_lshlrev_b64_e32 v[23:24], 3, v[21:22]
	s_mov_b32 s1, -1
	v_cmp_eq_u32_e64 s0, 1, v29
	s_cbranch_vccnz .LBB1914_110
; %bb.107:
	s_wait_alu 0xfffe
	s_and_b32 vcc_lo, exec_lo, s1
	s_wait_alu 0xfffe
	s_cbranch_vccnz .LBB1914_117
.LBB1914_108:
	s_and_b32 s0, s2, s6
	s_wait_alu 0xfffe
	s_and_saveexec_b32 s1, s0
	s_cbranch_execnz .LBB1914_126
.LBB1914_109:
	s_endpgm
.LBB1914_110:
	v_add_co_u32 v27, vcc_lo, v15, v13
	s_wait_alu 0xfffd
	v_add_co_ci_u32_e64 v28, null, v16, v14, vcc_lo
	v_add_co_u32 v30, s1, s16, v23
	s_wait_alu 0xf1fe
	v_add_co_ci_u32_e64 v32, null, s17, v24, s1
	s_delay_alu instid0(VALU_DEP_3)
	v_cmp_lt_u64_e32 vcc_lo, v[25:26], v[27:28]
	s_or_b32 s1, s7, vcc_lo
	s_wait_alu 0xfffe
	s_and_b32 s1, s1, s0
	s_wait_alu 0xfffe
	s_and_saveexec_b32 s0, s1
	s_cbranch_execz .LBB1914_112
; %bb.111:
	v_lshlrev_b64_e32 v[33:34], 3, v[25:26]
	s_delay_alu instid0(VALU_DEP_1) | instskip(SKIP_1) | instid1(VALU_DEP_2)
	v_add_co_u32 v33, vcc_lo, v30, v33
	s_wait_alu 0xfffd
	v_add_co_ci_u32_e64 v34, null, v32, v34, vcc_lo
	global_store_b64 v[33:34], v[9:10], off
.LBB1914_112:
	s_wait_alu 0xfffe
	s_or_b32 exec_lo, exec_lo, s0
	v_and_b32_e32 v26, 1, v31
	v_cmp_lt_u64_e32 vcc_lo, v[19:20], v[27:28]
	s_delay_alu instid0(VALU_DEP_2)
	v_cmp_eq_u32_e64 s0, 1, v26
	s_or_b32 s1, s7, vcc_lo
	s_wait_alu 0xfffe
	s_and_b32 s1, s1, s0
	s_wait_alu 0xfffe
	s_and_saveexec_b32 s0, s1
	s_cbranch_execz .LBB1914_114
; %bb.113:
	v_lshlrev_b64_e32 v[33:34], 3, v[19:20]
	s_delay_alu instid0(VALU_DEP_1) | instskip(SKIP_1) | instid1(VALU_DEP_2)
	v_add_co_u32 v33, vcc_lo, v30, v33
	s_wait_alu 0xfffd
	v_add_co_ci_u32_e64 v34, null, v32, v34, vcc_lo
	global_store_b64 v[33:34], v[5:6], off
.LBB1914_114:
	s_wait_alu 0xfffe
	s_or_b32 exec_lo, exec_lo, s0
	v_cmp_lt_u64_e32 vcc_lo, v[17:18], v[27:28]
	s_or_b32 s0, s7, vcc_lo
	s_wait_alu 0xfffe
	s_and_b32 s1, s0, s10
	s_wait_alu 0xfffe
	s_and_saveexec_b32 s0, s1
	s_cbranch_execz .LBB1914_116
; %bb.115:
	v_lshlrev_b64_e32 v[26:27], 3, v[17:18]
	s_delay_alu instid0(VALU_DEP_1) | instskip(SKIP_1) | instid1(VALU_DEP_2)
	v_add_co_u32 v26, vcc_lo, v30, v26
	s_wait_alu 0xfffd
	v_add_co_ci_u32_e64 v27, null, v32, v27, vcc_lo
	global_store_b64 v[26:27], v[1:2], off
.LBB1914_116:
	s_wait_alu 0xfffe
	s_or_b32 exec_lo, exec_lo, s0
	s_branch .LBB1914_108
.LBB1914_117:
	s_mov_b32 s0, exec_lo
	v_cmpx_eq_u32_e32 1, v29
; %bb.118:
	v_sub_nc_u32_e32 v18, v25, v15
	s_delay_alu instid0(VALU_DEP_1)
	v_lshlrev_b32_e32 v18, 4, v18
	ds_store_b128 v18, v[9:12]
; %bb.119:
	s_wait_alu 0xfffe
	s_or_b32 exec_lo, exec_lo, s0
	v_and_b32_e32 v9, 1, v31
	s_mov_b32 s0, exec_lo
	s_delay_alu instid0(VALU_DEP_1)
	v_cmpx_eq_u32_e32 1, v9
; %bb.120:
	v_sub_nc_u32_e32 v9, v19, v15
	s_delay_alu instid0(VALU_DEP_1)
	v_lshlrev_b32_e32 v9, 4, v9
	ds_store_b128 v9, v[5:8]
; %bb.121:
	s_wait_alu 0xfffe
	s_or_b32 exec_lo, exec_lo, s0
	s_and_saveexec_b32 s0, s10
; %bb.122:
	v_sub_nc_u32_e32 v5, v17, v15
	s_delay_alu instid0(VALU_DEP_1)
	v_lshlrev_b32_e32 v5, 4, v5
	ds_store_b128 v5, v[1:4]
; %bb.123:
	s_wait_alu 0xfffe
	s_or_b32 exec_lo, exec_lo, s0
	v_lshlrev_b64_e32 v[4:5], 3, v[15:16]
	v_add_co_u32 v6, vcc_lo, s16, v23
	v_mov_b32_e32 v1, 0
	s_wait_alu 0xfffd
	v_add_co_ci_u32_e64 v7, null, s17, v24, vcc_lo
	s_delay_alu instid0(VALU_DEP_3) | instskip(NEXT) | instid1(VALU_DEP_3)
	v_add_co_u32 v4, vcc_lo, v6, v4
	v_dual_mov_b32 v3, v1 :: v_dual_mov_b32 v2, v0
	s_wait_alu 0xfffd
	s_delay_alu instid0(VALU_DEP_3)
	v_add_co_ci_u32_e64 v5, null, v7, v5, vcc_lo
	v_or_b32_e32 v0, 0x100, v0
	s_mov_b32 s1, 0
	s_wait_storecnt 0x0
	s_wait_loadcnt_dscnt 0x0
	s_barrier_signal -1
	s_barrier_wait -1
	global_inv scope:SCOPE_SE
.LBB1914_124:                           ; =>This Inner Loop Header: Depth=1
	v_lshlrev_b32_e32 v6, 4, v2
	v_lshlrev_b64_e32 v[8:9], 3, v[2:3]
	v_mov_b32_e32 v3, v1
	v_cmp_le_u64_e32 vcc_lo, v[13:14], v[0:1]
	v_mov_b32_e32 v2, v0
	ds_load_b64 v[6:7], v6
	v_add_nc_u32_e32 v0, 0x100, v0
	v_add_co_u32 v8, s0, v4, v8
	s_wait_alu 0xf1ff
	v_add_co_ci_u32_e64 v9, null, v5, v9, s0
	s_wait_alu 0xfffe
	s_or_b32 s1, vcc_lo, s1
	s_wait_dscnt 0x0
	global_store_b64 v[8:9], v[6:7], off
	s_wait_alu 0xfffe
	s_and_not1_b32 exec_lo, exec_lo, s1
	s_cbranch_execnz .LBB1914_124
; %bb.125:
	s_or_b32 exec_lo, exec_lo, s1
	s_and_b32 s0, s2, s6
	s_wait_alu 0xfffe
	s_and_saveexec_b32 s1, s0
	s_cbranch_execz .LBB1914_109
.LBB1914_126:
	v_add_co_u32 v0, vcc_lo, v15, v13
	s_wait_alu 0xfffd
	v_add_co_ci_u32_e64 v1, null, v16, v14, vcc_lo
	v_mov_b32_e32 v2, 0
	s_delay_alu instid0(VALU_DEP_3) | instskip(SKIP_1) | instid1(VALU_DEP_3)
	v_add_co_u32 v0, vcc_lo, v0, v21
	s_wait_alu 0xfffd
	v_add_co_ci_u32_e64 v1, null, v1, v22, vcc_lo
	global_store_b64 v2, v[0:1], s[8:9]
	s_endpgm
	.section	.rodata,"a",@progbits
	.p2align	6, 0x0
	.amdhsa_kernel _ZN7rocprim17ROCPRIM_400000_NS6detail17trampoline_kernelINS0_14default_configENS1_25partition_config_selectorILNS1_17partition_subalgoE6EN6thrust23THRUST_200600_302600_NS5tupleIyyNS7_9null_typeES9_S9_S9_S9_S9_S9_S9_EENS0_10empty_typeEbEEZZNS1_14partition_implILS5_6ELb0ES3_mNS7_12zip_iteratorINS8_INS7_6detail15normal_iteratorINS7_10device_ptrIyEEEESJ_S9_S9_S9_S9_S9_S9_S9_S9_EEEEPSB_SM_NS0_5tupleIJNSE_INS8_ISJ_NS7_16discard_iteratorINS7_11use_defaultEEES9_S9_S9_S9_S9_S9_S9_S9_EEEESB_EEENSN_IJSM_SM_EEESB_PlJNSF_9not_fun_tINSF_14equal_to_valueISA_EEEEEEE10hipError_tPvRmT3_T4_T5_T6_T7_T9_mT8_P12ihipStream_tbDpT10_ENKUlT_T0_E_clISt17integral_constantIbLb0EES1I_IbLb1EEEEDaS1E_S1F_EUlS1E_E_NS1_11comp_targetILNS1_3genE10ELNS1_11target_archE1200ELNS1_3gpuE4ELNS1_3repE0EEENS1_30default_config_static_selectorELNS0_4arch9wavefront6targetE0EEEvT1_
		.amdhsa_group_segment_fixed_size 12304
		.amdhsa_private_segment_fixed_size 0
		.amdhsa_kernarg_size 160
		.amdhsa_user_sgpr_count 2
		.amdhsa_user_sgpr_dispatch_ptr 0
		.amdhsa_user_sgpr_queue_ptr 0
		.amdhsa_user_sgpr_kernarg_segment_ptr 1
		.amdhsa_user_sgpr_dispatch_id 0
		.amdhsa_user_sgpr_private_segment_size 0
		.amdhsa_wavefront_size32 1
		.amdhsa_uses_dynamic_stack 0
		.amdhsa_enable_private_segment 0
		.amdhsa_system_sgpr_workgroup_id_x 1
		.amdhsa_system_sgpr_workgroup_id_y 0
		.amdhsa_system_sgpr_workgroup_id_z 0
		.amdhsa_system_sgpr_workgroup_info 0
		.amdhsa_system_vgpr_workitem_id 0
		.amdhsa_next_free_vgpr 51
		.amdhsa_next_free_sgpr 26
		.amdhsa_reserve_vcc 1
		.amdhsa_float_round_mode_32 0
		.amdhsa_float_round_mode_16_64 0
		.amdhsa_float_denorm_mode_32 3
		.amdhsa_float_denorm_mode_16_64 3
		.amdhsa_fp16_overflow 0
		.amdhsa_workgroup_processor_mode 1
		.amdhsa_memory_ordered 1
		.amdhsa_forward_progress 1
		.amdhsa_inst_pref_size 47
		.amdhsa_round_robin_scheduling 0
		.amdhsa_exception_fp_ieee_invalid_op 0
		.amdhsa_exception_fp_denorm_src 0
		.amdhsa_exception_fp_ieee_div_zero 0
		.amdhsa_exception_fp_ieee_overflow 0
		.amdhsa_exception_fp_ieee_underflow 0
		.amdhsa_exception_fp_ieee_inexact 0
		.amdhsa_exception_int_div_zero 0
	.end_amdhsa_kernel
	.section	.text._ZN7rocprim17ROCPRIM_400000_NS6detail17trampoline_kernelINS0_14default_configENS1_25partition_config_selectorILNS1_17partition_subalgoE6EN6thrust23THRUST_200600_302600_NS5tupleIyyNS7_9null_typeES9_S9_S9_S9_S9_S9_S9_EENS0_10empty_typeEbEEZZNS1_14partition_implILS5_6ELb0ES3_mNS7_12zip_iteratorINS8_INS7_6detail15normal_iteratorINS7_10device_ptrIyEEEESJ_S9_S9_S9_S9_S9_S9_S9_S9_EEEEPSB_SM_NS0_5tupleIJNSE_INS8_ISJ_NS7_16discard_iteratorINS7_11use_defaultEEES9_S9_S9_S9_S9_S9_S9_S9_EEEESB_EEENSN_IJSM_SM_EEESB_PlJNSF_9not_fun_tINSF_14equal_to_valueISA_EEEEEEE10hipError_tPvRmT3_T4_T5_T6_T7_T9_mT8_P12ihipStream_tbDpT10_ENKUlT_T0_E_clISt17integral_constantIbLb0EES1I_IbLb1EEEEDaS1E_S1F_EUlS1E_E_NS1_11comp_targetILNS1_3genE10ELNS1_11target_archE1200ELNS1_3gpuE4ELNS1_3repE0EEENS1_30default_config_static_selectorELNS0_4arch9wavefront6targetE0EEEvT1_,"axG",@progbits,_ZN7rocprim17ROCPRIM_400000_NS6detail17trampoline_kernelINS0_14default_configENS1_25partition_config_selectorILNS1_17partition_subalgoE6EN6thrust23THRUST_200600_302600_NS5tupleIyyNS7_9null_typeES9_S9_S9_S9_S9_S9_S9_EENS0_10empty_typeEbEEZZNS1_14partition_implILS5_6ELb0ES3_mNS7_12zip_iteratorINS8_INS7_6detail15normal_iteratorINS7_10device_ptrIyEEEESJ_S9_S9_S9_S9_S9_S9_S9_S9_EEEEPSB_SM_NS0_5tupleIJNSE_INS8_ISJ_NS7_16discard_iteratorINS7_11use_defaultEEES9_S9_S9_S9_S9_S9_S9_S9_EEEESB_EEENSN_IJSM_SM_EEESB_PlJNSF_9not_fun_tINSF_14equal_to_valueISA_EEEEEEE10hipError_tPvRmT3_T4_T5_T6_T7_T9_mT8_P12ihipStream_tbDpT10_ENKUlT_T0_E_clISt17integral_constantIbLb0EES1I_IbLb1EEEEDaS1E_S1F_EUlS1E_E_NS1_11comp_targetILNS1_3genE10ELNS1_11target_archE1200ELNS1_3gpuE4ELNS1_3repE0EEENS1_30default_config_static_selectorELNS0_4arch9wavefront6targetE0EEEvT1_,comdat
.Lfunc_end1914:
	.size	_ZN7rocprim17ROCPRIM_400000_NS6detail17trampoline_kernelINS0_14default_configENS1_25partition_config_selectorILNS1_17partition_subalgoE6EN6thrust23THRUST_200600_302600_NS5tupleIyyNS7_9null_typeES9_S9_S9_S9_S9_S9_S9_EENS0_10empty_typeEbEEZZNS1_14partition_implILS5_6ELb0ES3_mNS7_12zip_iteratorINS8_INS7_6detail15normal_iteratorINS7_10device_ptrIyEEEESJ_S9_S9_S9_S9_S9_S9_S9_S9_EEEEPSB_SM_NS0_5tupleIJNSE_INS8_ISJ_NS7_16discard_iteratorINS7_11use_defaultEEES9_S9_S9_S9_S9_S9_S9_S9_EEEESB_EEENSN_IJSM_SM_EEESB_PlJNSF_9not_fun_tINSF_14equal_to_valueISA_EEEEEEE10hipError_tPvRmT3_T4_T5_T6_T7_T9_mT8_P12ihipStream_tbDpT10_ENKUlT_T0_E_clISt17integral_constantIbLb0EES1I_IbLb1EEEEDaS1E_S1F_EUlS1E_E_NS1_11comp_targetILNS1_3genE10ELNS1_11target_archE1200ELNS1_3gpuE4ELNS1_3repE0EEENS1_30default_config_static_selectorELNS0_4arch9wavefront6targetE0EEEvT1_, .Lfunc_end1914-_ZN7rocprim17ROCPRIM_400000_NS6detail17trampoline_kernelINS0_14default_configENS1_25partition_config_selectorILNS1_17partition_subalgoE6EN6thrust23THRUST_200600_302600_NS5tupleIyyNS7_9null_typeES9_S9_S9_S9_S9_S9_S9_EENS0_10empty_typeEbEEZZNS1_14partition_implILS5_6ELb0ES3_mNS7_12zip_iteratorINS8_INS7_6detail15normal_iteratorINS7_10device_ptrIyEEEESJ_S9_S9_S9_S9_S9_S9_S9_S9_EEEEPSB_SM_NS0_5tupleIJNSE_INS8_ISJ_NS7_16discard_iteratorINS7_11use_defaultEEES9_S9_S9_S9_S9_S9_S9_S9_EEEESB_EEENSN_IJSM_SM_EEESB_PlJNSF_9not_fun_tINSF_14equal_to_valueISA_EEEEEEE10hipError_tPvRmT3_T4_T5_T6_T7_T9_mT8_P12ihipStream_tbDpT10_ENKUlT_T0_E_clISt17integral_constantIbLb0EES1I_IbLb1EEEEDaS1E_S1F_EUlS1E_E_NS1_11comp_targetILNS1_3genE10ELNS1_11target_archE1200ELNS1_3gpuE4ELNS1_3repE0EEENS1_30default_config_static_selectorELNS0_4arch9wavefront6targetE0EEEvT1_
                                        ; -- End function
	.set _ZN7rocprim17ROCPRIM_400000_NS6detail17trampoline_kernelINS0_14default_configENS1_25partition_config_selectorILNS1_17partition_subalgoE6EN6thrust23THRUST_200600_302600_NS5tupleIyyNS7_9null_typeES9_S9_S9_S9_S9_S9_S9_EENS0_10empty_typeEbEEZZNS1_14partition_implILS5_6ELb0ES3_mNS7_12zip_iteratorINS8_INS7_6detail15normal_iteratorINS7_10device_ptrIyEEEESJ_S9_S9_S9_S9_S9_S9_S9_S9_EEEEPSB_SM_NS0_5tupleIJNSE_INS8_ISJ_NS7_16discard_iteratorINS7_11use_defaultEEES9_S9_S9_S9_S9_S9_S9_S9_EEEESB_EEENSN_IJSM_SM_EEESB_PlJNSF_9not_fun_tINSF_14equal_to_valueISA_EEEEEEE10hipError_tPvRmT3_T4_T5_T6_T7_T9_mT8_P12ihipStream_tbDpT10_ENKUlT_T0_E_clISt17integral_constantIbLb0EES1I_IbLb1EEEEDaS1E_S1F_EUlS1E_E_NS1_11comp_targetILNS1_3genE10ELNS1_11target_archE1200ELNS1_3gpuE4ELNS1_3repE0EEENS1_30default_config_static_selectorELNS0_4arch9wavefront6targetE0EEEvT1_.num_vgpr, 51
	.set _ZN7rocprim17ROCPRIM_400000_NS6detail17trampoline_kernelINS0_14default_configENS1_25partition_config_selectorILNS1_17partition_subalgoE6EN6thrust23THRUST_200600_302600_NS5tupleIyyNS7_9null_typeES9_S9_S9_S9_S9_S9_S9_EENS0_10empty_typeEbEEZZNS1_14partition_implILS5_6ELb0ES3_mNS7_12zip_iteratorINS8_INS7_6detail15normal_iteratorINS7_10device_ptrIyEEEESJ_S9_S9_S9_S9_S9_S9_S9_S9_EEEEPSB_SM_NS0_5tupleIJNSE_INS8_ISJ_NS7_16discard_iteratorINS7_11use_defaultEEES9_S9_S9_S9_S9_S9_S9_S9_EEEESB_EEENSN_IJSM_SM_EEESB_PlJNSF_9not_fun_tINSF_14equal_to_valueISA_EEEEEEE10hipError_tPvRmT3_T4_T5_T6_T7_T9_mT8_P12ihipStream_tbDpT10_ENKUlT_T0_E_clISt17integral_constantIbLb0EES1I_IbLb1EEEEDaS1E_S1F_EUlS1E_E_NS1_11comp_targetILNS1_3genE10ELNS1_11target_archE1200ELNS1_3gpuE4ELNS1_3repE0EEENS1_30default_config_static_selectorELNS0_4arch9wavefront6targetE0EEEvT1_.num_agpr, 0
	.set _ZN7rocprim17ROCPRIM_400000_NS6detail17trampoline_kernelINS0_14default_configENS1_25partition_config_selectorILNS1_17partition_subalgoE6EN6thrust23THRUST_200600_302600_NS5tupleIyyNS7_9null_typeES9_S9_S9_S9_S9_S9_S9_EENS0_10empty_typeEbEEZZNS1_14partition_implILS5_6ELb0ES3_mNS7_12zip_iteratorINS8_INS7_6detail15normal_iteratorINS7_10device_ptrIyEEEESJ_S9_S9_S9_S9_S9_S9_S9_S9_EEEEPSB_SM_NS0_5tupleIJNSE_INS8_ISJ_NS7_16discard_iteratorINS7_11use_defaultEEES9_S9_S9_S9_S9_S9_S9_S9_EEEESB_EEENSN_IJSM_SM_EEESB_PlJNSF_9not_fun_tINSF_14equal_to_valueISA_EEEEEEE10hipError_tPvRmT3_T4_T5_T6_T7_T9_mT8_P12ihipStream_tbDpT10_ENKUlT_T0_E_clISt17integral_constantIbLb0EES1I_IbLb1EEEEDaS1E_S1F_EUlS1E_E_NS1_11comp_targetILNS1_3genE10ELNS1_11target_archE1200ELNS1_3gpuE4ELNS1_3repE0EEENS1_30default_config_static_selectorELNS0_4arch9wavefront6targetE0EEEvT1_.numbered_sgpr, 26
	.set _ZN7rocprim17ROCPRIM_400000_NS6detail17trampoline_kernelINS0_14default_configENS1_25partition_config_selectorILNS1_17partition_subalgoE6EN6thrust23THRUST_200600_302600_NS5tupleIyyNS7_9null_typeES9_S9_S9_S9_S9_S9_S9_EENS0_10empty_typeEbEEZZNS1_14partition_implILS5_6ELb0ES3_mNS7_12zip_iteratorINS8_INS7_6detail15normal_iteratorINS7_10device_ptrIyEEEESJ_S9_S9_S9_S9_S9_S9_S9_S9_EEEEPSB_SM_NS0_5tupleIJNSE_INS8_ISJ_NS7_16discard_iteratorINS7_11use_defaultEEES9_S9_S9_S9_S9_S9_S9_S9_EEEESB_EEENSN_IJSM_SM_EEESB_PlJNSF_9not_fun_tINSF_14equal_to_valueISA_EEEEEEE10hipError_tPvRmT3_T4_T5_T6_T7_T9_mT8_P12ihipStream_tbDpT10_ENKUlT_T0_E_clISt17integral_constantIbLb0EES1I_IbLb1EEEEDaS1E_S1F_EUlS1E_E_NS1_11comp_targetILNS1_3genE10ELNS1_11target_archE1200ELNS1_3gpuE4ELNS1_3repE0EEENS1_30default_config_static_selectorELNS0_4arch9wavefront6targetE0EEEvT1_.num_named_barrier, 0
	.set _ZN7rocprim17ROCPRIM_400000_NS6detail17trampoline_kernelINS0_14default_configENS1_25partition_config_selectorILNS1_17partition_subalgoE6EN6thrust23THRUST_200600_302600_NS5tupleIyyNS7_9null_typeES9_S9_S9_S9_S9_S9_S9_EENS0_10empty_typeEbEEZZNS1_14partition_implILS5_6ELb0ES3_mNS7_12zip_iteratorINS8_INS7_6detail15normal_iteratorINS7_10device_ptrIyEEEESJ_S9_S9_S9_S9_S9_S9_S9_S9_EEEEPSB_SM_NS0_5tupleIJNSE_INS8_ISJ_NS7_16discard_iteratorINS7_11use_defaultEEES9_S9_S9_S9_S9_S9_S9_S9_EEEESB_EEENSN_IJSM_SM_EEESB_PlJNSF_9not_fun_tINSF_14equal_to_valueISA_EEEEEEE10hipError_tPvRmT3_T4_T5_T6_T7_T9_mT8_P12ihipStream_tbDpT10_ENKUlT_T0_E_clISt17integral_constantIbLb0EES1I_IbLb1EEEEDaS1E_S1F_EUlS1E_E_NS1_11comp_targetILNS1_3genE10ELNS1_11target_archE1200ELNS1_3gpuE4ELNS1_3repE0EEENS1_30default_config_static_selectorELNS0_4arch9wavefront6targetE0EEEvT1_.private_seg_size, 0
	.set _ZN7rocprim17ROCPRIM_400000_NS6detail17trampoline_kernelINS0_14default_configENS1_25partition_config_selectorILNS1_17partition_subalgoE6EN6thrust23THRUST_200600_302600_NS5tupleIyyNS7_9null_typeES9_S9_S9_S9_S9_S9_S9_EENS0_10empty_typeEbEEZZNS1_14partition_implILS5_6ELb0ES3_mNS7_12zip_iteratorINS8_INS7_6detail15normal_iteratorINS7_10device_ptrIyEEEESJ_S9_S9_S9_S9_S9_S9_S9_S9_EEEEPSB_SM_NS0_5tupleIJNSE_INS8_ISJ_NS7_16discard_iteratorINS7_11use_defaultEEES9_S9_S9_S9_S9_S9_S9_S9_EEEESB_EEENSN_IJSM_SM_EEESB_PlJNSF_9not_fun_tINSF_14equal_to_valueISA_EEEEEEE10hipError_tPvRmT3_T4_T5_T6_T7_T9_mT8_P12ihipStream_tbDpT10_ENKUlT_T0_E_clISt17integral_constantIbLb0EES1I_IbLb1EEEEDaS1E_S1F_EUlS1E_E_NS1_11comp_targetILNS1_3genE10ELNS1_11target_archE1200ELNS1_3gpuE4ELNS1_3repE0EEENS1_30default_config_static_selectorELNS0_4arch9wavefront6targetE0EEEvT1_.uses_vcc, 1
	.set _ZN7rocprim17ROCPRIM_400000_NS6detail17trampoline_kernelINS0_14default_configENS1_25partition_config_selectorILNS1_17partition_subalgoE6EN6thrust23THRUST_200600_302600_NS5tupleIyyNS7_9null_typeES9_S9_S9_S9_S9_S9_S9_EENS0_10empty_typeEbEEZZNS1_14partition_implILS5_6ELb0ES3_mNS7_12zip_iteratorINS8_INS7_6detail15normal_iteratorINS7_10device_ptrIyEEEESJ_S9_S9_S9_S9_S9_S9_S9_S9_EEEEPSB_SM_NS0_5tupleIJNSE_INS8_ISJ_NS7_16discard_iteratorINS7_11use_defaultEEES9_S9_S9_S9_S9_S9_S9_S9_EEEESB_EEENSN_IJSM_SM_EEESB_PlJNSF_9not_fun_tINSF_14equal_to_valueISA_EEEEEEE10hipError_tPvRmT3_T4_T5_T6_T7_T9_mT8_P12ihipStream_tbDpT10_ENKUlT_T0_E_clISt17integral_constantIbLb0EES1I_IbLb1EEEEDaS1E_S1F_EUlS1E_E_NS1_11comp_targetILNS1_3genE10ELNS1_11target_archE1200ELNS1_3gpuE4ELNS1_3repE0EEENS1_30default_config_static_selectorELNS0_4arch9wavefront6targetE0EEEvT1_.uses_flat_scratch, 0
	.set _ZN7rocprim17ROCPRIM_400000_NS6detail17trampoline_kernelINS0_14default_configENS1_25partition_config_selectorILNS1_17partition_subalgoE6EN6thrust23THRUST_200600_302600_NS5tupleIyyNS7_9null_typeES9_S9_S9_S9_S9_S9_S9_EENS0_10empty_typeEbEEZZNS1_14partition_implILS5_6ELb0ES3_mNS7_12zip_iteratorINS8_INS7_6detail15normal_iteratorINS7_10device_ptrIyEEEESJ_S9_S9_S9_S9_S9_S9_S9_S9_EEEEPSB_SM_NS0_5tupleIJNSE_INS8_ISJ_NS7_16discard_iteratorINS7_11use_defaultEEES9_S9_S9_S9_S9_S9_S9_S9_EEEESB_EEENSN_IJSM_SM_EEESB_PlJNSF_9not_fun_tINSF_14equal_to_valueISA_EEEEEEE10hipError_tPvRmT3_T4_T5_T6_T7_T9_mT8_P12ihipStream_tbDpT10_ENKUlT_T0_E_clISt17integral_constantIbLb0EES1I_IbLb1EEEEDaS1E_S1F_EUlS1E_E_NS1_11comp_targetILNS1_3genE10ELNS1_11target_archE1200ELNS1_3gpuE4ELNS1_3repE0EEENS1_30default_config_static_selectorELNS0_4arch9wavefront6targetE0EEEvT1_.has_dyn_sized_stack, 0
	.set _ZN7rocprim17ROCPRIM_400000_NS6detail17trampoline_kernelINS0_14default_configENS1_25partition_config_selectorILNS1_17partition_subalgoE6EN6thrust23THRUST_200600_302600_NS5tupleIyyNS7_9null_typeES9_S9_S9_S9_S9_S9_S9_EENS0_10empty_typeEbEEZZNS1_14partition_implILS5_6ELb0ES3_mNS7_12zip_iteratorINS8_INS7_6detail15normal_iteratorINS7_10device_ptrIyEEEESJ_S9_S9_S9_S9_S9_S9_S9_S9_EEEEPSB_SM_NS0_5tupleIJNSE_INS8_ISJ_NS7_16discard_iteratorINS7_11use_defaultEEES9_S9_S9_S9_S9_S9_S9_S9_EEEESB_EEENSN_IJSM_SM_EEESB_PlJNSF_9not_fun_tINSF_14equal_to_valueISA_EEEEEEE10hipError_tPvRmT3_T4_T5_T6_T7_T9_mT8_P12ihipStream_tbDpT10_ENKUlT_T0_E_clISt17integral_constantIbLb0EES1I_IbLb1EEEEDaS1E_S1F_EUlS1E_E_NS1_11comp_targetILNS1_3genE10ELNS1_11target_archE1200ELNS1_3gpuE4ELNS1_3repE0EEENS1_30default_config_static_selectorELNS0_4arch9wavefront6targetE0EEEvT1_.has_recursion, 0
	.set _ZN7rocprim17ROCPRIM_400000_NS6detail17trampoline_kernelINS0_14default_configENS1_25partition_config_selectorILNS1_17partition_subalgoE6EN6thrust23THRUST_200600_302600_NS5tupleIyyNS7_9null_typeES9_S9_S9_S9_S9_S9_S9_EENS0_10empty_typeEbEEZZNS1_14partition_implILS5_6ELb0ES3_mNS7_12zip_iteratorINS8_INS7_6detail15normal_iteratorINS7_10device_ptrIyEEEESJ_S9_S9_S9_S9_S9_S9_S9_S9_EEEEPSB_SM_NS0_5tupleIJNSE_INS8_ISJ_NS7_16discard_iteratorINS7_11use_defaultEEES9_S9_S9_S9_S9_S9_S9_S9_EEEESB_EEENSN_IJSM_SM_EEESB_PlJNSF_9not_fun_tINSF_14equal_to_valueISA_EEEEEEE10hipError_tPvRmT3_T4_T5_T6_T7_T9_mT8_P12ihipStream_tbDpT10_ENKUlT_T0_E_clISt17integral_constantIbLb0EES1I_IbLb1EEEEDaS1E_S1F_EUlS1E_E_NS1_11comp_targetILNS1_3genE10ELNS1_11target_archE1200ELNS1_3gpuE4ELNS1_3repE0EEENS1_30default_config_static_selectorELNS0_4arch9wavefront6targetE0EEEvT1_.has_indirect_call, 0
	.section	.AMDGPU.csdata,"",@progbits
; Kernel info:
; codeLenInByte = 5940
; TotalNumSgprs: 28
; NumVgprs: 51
; ScratchSize: 0
; MemoryBound: 0
; FloatMode: 240
; IeeeMode: 1
; LDSByteSize: 12304 bytes/workgroup (compile time only)
; SGPRBlocks: 0
; VGPRBlocks: 6
; NumSGPRsForWavesPerEU: 28
; NumVGPRsForWavesPerEU: 51
; Occupancy: 16
; WaveLimiterHint : 1
; COMPUTE_PGM_RSRC2:SCRATCH_EN: 0
; COMPUTE_PGM_RSRC2:USER_SGPR: 2
; COMPUTE_PGM_RSRC2:TRAP_HANDLER: 0
; COMPUTE_PGM_RSRC2:TGID_X_EN: 1
; COMPUTE_PGM_RSRC2:TGID_Y_EN: 0
; COMPUTE_PGM_RSRC2:TGID_Z_EN: 0
; COMPUTE_PGM_RSRC2:TIDIG_COMP_CNT: 0
	.section	.text._ZN7rocprim17ROCPRIM_400000_NS6detail17trampoline_kernelINS0_14default_configENS1_25partition_config_selectorILNS1_17partition_subalgoE6EN6thrust23THRUST_200600_302600_NS5tupleIyyNS7_9null_typeES9_S9_S9_S9_S9_S9_S9_EENS0_10empty_typeEbEEZZNS1_14partition_implILS5_6ELb0ES3_mNS7_12zip_iteratorINS8_INS7_6detail15normal_iteratorINS7_10device_ptrIyEEEESJ_S9_S9_S9_S9_S9_S9_S9_S9_EEEEPSB_SM_NS0_5tupleIJNSE_INS8_ISJ_NS7_16discard_iteratorINS7_11use_defaultEEES9_S9_S9_S9_S9_S9_S9_S9_EEEESB_EEENSN_IJSM_SM_EEESB_PlJNSF_9not_fun_tINSF_14equal_to_valueISA_EEEEEEE10hipError_tPvRmT3_T4_T5_T6_T7_T9_mT8_P12ihipStream_tbDpT10_ENKUlT_T0_E_clISt17integral_constantIbLb0EES1I_IbLb1EEEEDaS1E_S1F_EUlS1E_E_NS1_11comp_targetILNS1_3genE9ELNS1_11target_archE1100ELNS1_3gpuE3ELNS1_3repE0EEENS1_30default_config_static_selectorELNS0_4arch9wavefront6targetE0EEEvT1_,"axG",@progbits,_ZN7rocprim17ROCPRIM_400000_NS6detail17trampoline_kernelINS0_14default_configENS1_25partition_config_selectorILNS1_17partition_subalgoE6EN6thrust23THRUST_200600_302600_NS5tupleIyyNS7_9null_typeES9_S9_S9_S9_S9_S9_S9_EENS0_10empty_typeEbEEZZNS1_14partition_implILS5_6ELb0ES3_mNS7_12zip_iteratorINS8_INS7_6detail15normal_iteratorINS7_10device_ptrIyEEEESJ_S9_S9_S9_S9_S9_S9_S9_S9_EEEEPSB_SM_NS0_5tupleIJNSE_INS8_ISJ_NS7_16discard_iteratorINS7_11use_defaultEEES9_S9_S9_S9_S9_S9_S9_S9_EEEESB_EEENSN_IJSM_SM_EEESB_PlJNSF_9not_fun_tINSF_14equal_to_valueISA_EEEEEEE10hipError_tPvRmT3_T4_T5_T6_T7_T9_mT8_P12ihipStream_tbDpT10_ENKUlT_T0_E_clISt17integral_constantIbLb0EES1I_IbLb1EEEEDaS1E_S1F_EUlS1E_E_NS1_11comp_targetILNS1_3genE9ELNS1_11target_archE1100ELNS1_3gpuE3ELNS1_3repE0EEENS1_30default_config_static_selectorELNS0_4arch9wavefront6targetE0EEEvT1_,comdat
	.protected	_ZN7rocprim17ROCPRIM_400000_NS6detail17trampoline_kernelINS0_14default_configENS1_25partition_config_selectorILNS1_17partition_subalgoE6EN6thrust23THRUST_200600_302600_NS5tupleIyyNS7_9null_typeES9_S9_S9_S9_S9_S9_S9_EENS0_10empty_typeEbEEZZNS1_14partition_implILS5_6ELb0ES3_mNS7_12zip_iteratorINS8_INS7_6detail15normal_iteratorINS7_10device_ptrIyEEEESJ_S9_S9_S9_S9_S9_S9_S9_S9_EEEEPSB_SM_NS0_5tupleIJNSE_INS8_ISJ_NS7_16discard_iteratorINS7_11use_defaultEEES9_S9_S9_S9_S9_S9_S9_S9_EEEESB_EEENSN_IJSM_SM_EEESB_PlJNSF_9not_fun_tINSF_14equal_to_valueISA_EEEEEEE10hipError_tPvRmT3_T4_T5_T6_T7_T9_mT8_P12ihipStream_tbDpT10_ENKUlT_T0_E_clISt17integral_constantIbLb0EES1I_IbLb1EEEEDaS1E_S1F_EUlS1E_E_NS1_11comp_targetILNS1_3genE9ELNS1_11target_archE1100ELNS1_3gpuE3ELNS1_3repE0EEENS1_30default_config_static_selectorELNS0_4arch9wavefront6targetE0EEEvT1_ ; -- Begin function _ZN7rocprim17ROCPRIM_400000_NS6detail17trampoline_kernelINS0_14default_configENS1_25partition_config_selectorILNS1_17partition_subalgoE6EN6thrust23THRUST_200600_302600_NS5tupleIyyNS7_9null_typeES9_S9_S9_S9_S9_S9_S9_EENS0_10empty_typeEbEEZZNS1_14partition_implILS5_6ELb0ES3_mNS7_12zip_iteratorINS8_INS7_6detail15normal_iteratorINS7_10device_ptrIyEEEESJ_S9_S9_S9_S9_S9_S9_S9_S9_EEEEPSB_SM_NS0_5tupleIJNSE_INS8_ISJ_NS7_16discard_iteratorINS7_11use_defaultEEES9_S9_S9_S9_S9_S9_S9_S9_EEEESB_EEENSN_IJSM_SM_EEESB_PlJNSF_9not_fun_tINSF_14equal_to_valueISA_EEEEEEE10hipError_tPvRmT3_T4_T5_T6_T7_T9_mT8_P12ihipStream_tbDpT10_ENKUlT_T0_E_clISt17integral_constantIbLb0EES1I_IbLb1EEEEDaS1E_S1F_EUlS1E_E_NS1_11comp_targetILNS1_3genE9ELNS1_11target_archE1100ELNS1_3gpuE3ELNS1_3repE0EEENS1_30default_config_static_selectorELNS0_4arch9wavefront6targetE0EEEvT1_
	.globl	_ZN7rocprim17ROCPRIM_400000_NS6detail17trampoline_kernelINS0_14default_configENS1_25partition_config_selectorILNS1_17partition_subalgoE6EN6thrust23THRUST_200600_302600_NS5tupleIyyNS7_9null_typeES9_S9_S9_S9_S9_S9_S9_EENS0_10empty_typeEbEEZZNS1_14partition_implILS5_6ELb0ES3_mNS7_12zip_iteratorINS8_INS7_6detail15normal_iteratorINS7_10device_ptrIyEEEESJ_S9_S9_S9_S9_S9_S9_S9_S9_EEEEPSB_SM_NS0_5tupleIJNSE_INS8_ISJ_NS7_16discard_iteratorINS7_11use_defaultEEES9_S9_S9_S9_S9_S9_S9_S9_EEEESB_EEENSN_IJSM_SM_EEESB_PlJNSF_9not_fun_tINSF_14equal_to_valueISA_EEEEEEE10hipError_tPvRmT3_T4_T5_T6_T7_T9_mT8_P12ihipStream_tbDpT10_ENKUlT_T0_E_clISt17integral_constantIbLb0EES1I_IbLb1EEEEDaS1E_S1F_EUlS1E_E_NS1_11comp_targetILNS1_3genE9ELNS1_11target_archE1100ELNS1_3gpuE3ELNS1_3repE0EEENS1_30default_config_static_selectorELNS0_4arch9wavefront6targetE0EEEvT1_
	.p2align	8
	.type	_ZN7rocprim17ROCPRIM_400000_NS6detail17trampoline_kernelINS0_14default_configENS1_25partition_config_selectorILNS1_17partition_subalgoE6EN6thrust23THRUST_200600_302600_NS5tupleIyyNS7_9null_typeES9_S9_S9_S9_S9_S9_S9_EENS0_10empty_typeEbEEZZNS1_14partition_implILS5_6ELb0ES3_mNS7_12zip_iteratorINS8_INS7_6detail15normal_iteratorINS7_10device_ptrIyEEEESJ_S9_S9_S9_S9_S9_S9_S9_S9_EEEEPSB_SM_NS0_5tupleIJNSE_INS8_ISJ_NS7_16discard_iteratorINS7_11use_defaultEEES9_S9_S9_S9_S9_S9_S9_S9_EEEESB_EEENSN_IJSM_SM_EEESB_PlJNSF_9not_fun_tINSF_14equal_to_valueISA_EEEEEEE10hipError_tPvRmT3_T4_T5_T6_T7_T9_mT8_P12ihipStream_tbDpT10_ENKUlT_T0_E_clISt17integral_constantIbLb0EES1I_IbLb1EEEEDaS1E_S1F_EUlS1E_E_NS1_11comp_targetILNS1_3genE9ELNS1_11target_archE1100ELNS1_3gpuE3ELNS1_3repE0EEENS1_30default_config_static_selectorELNS0_4arch9wavefront6targetE0EEEvT1_,@function
_ZN7rocprim17ROCPRIM_400000_NS6detail17trampoline_kernelINS0_14default_configENS1_25partition_config_selectorILNS1_17partition_subalgoE6EN6thrust23THRUST_200600_302600_NS5tupleIyyNS7_9null_typeES9_S9_S9_S9_S9_S9_S9_EENS0_10empty_typeEbEEZZNS1_14partition_implILS5_6ELb0ES3_mNS7_12zip_iteratorINS8_INS7_6detail15normal_iteratorINS7_10device_ptrIyEEEESJ_S9_S9_S9_S9_S9_S9_S9_S9_EEEEPSB_SM_NS0_5tupleIJNSE_INS8_ISJ_NS7_16discard_iteratorINS7_11use_defaultEEES9_S9_S9_S9_S9_S9_S9_S9_EEEESB_EEENSN_IJSM_SM_EEESB_PlJNSF_9not_fun_tINSF_14equal_to_valueISA_EEEEEEE10hipError_tPvRmT3_T4_T5_T6_T7_T9_mT8_P12ihipStream_tbDpT10_ENKUlT_T0_E_clISt17integral_constantIbLb0EES1I_IbLb1EEEEDaS1E_S1F_EUlS1E_E_NS1_11comp_targetILNS1_3genE9ELNS1_11target_archE1100ELNS1_3gpuE3ELNS1_3repE0EEENS1_30default_config_static_selectorELNS0_4arch9wavefront6targetE0EEEvT1_: ; @_ZN7rocprim17ROCPRIM_400000_NS6detail17trampoline_kernelINS0_14default_configENS1_25partition_config_selectorILNS1_17partition_subalgoE6EN6thrust23THRUST_200600_302600_NS5tupleIyyNS7_9null_typeES9_S9_S9_S9_S9_S9_S9_EENS0_10empty_typeEbEEZZNS1_14partition_implILS5_6ELb0ES3_mNS7_12zip_iteratorINS8_INS7_6detail15normal_iteratorINS7_10device_ptrIyEEEESJ_S9_S9_S9_S9_S9_S9_S9_S9_EEEEPSB_SM_NS0_5tupleIJNSE_INS8_ISJ_NS7_16discard_iteratorINS7_11use_defaultEEES9_S9_S9_S9_S9_S9_S9_S9_EEEESB_EEENSN_IJSM_SM_EEESB_PlJNSF_9not_fun_tINSF_14equal_to_valueISA_EEEEEEE10hipError_tPvRmT3_T4_T5_T6_T7_T9_mT8_P12ihipStream_tbDpT10_ENKUlT_T0_E_clISt17integral_constantIbLb0EES1I_IbLb1EEEEDaS1E_S1F_EUlS1E_E_NS1_11comp_targetILNS1_3genE9ELNS1_11target_archE1100ELNS1_3gpuE3ELNS1_3repE0EEENS1_30default_config_static_selectorELNS0_4arch9wavefront6targetE0EEEvT1_
; %bb.0:
	.section	.rodata,"a",@progbits
	.p2align	6, 0x0
	.amdhsa_kernel _ZN7rocprim17ROCPRIM_400000_NS6detail17trampoline_kernelINS0_14default_configENS1_25partition_config_selectorILNS1_17partition_subalgoE6EN6thrust23THRUST_200600_302600_NS5tupleIyyNS7_9null_typeES9_S9_S9_S9_S9_S9_S9_EENS0_10empty_typeEbEEZZNS1_14partition_implILS5_6ELb0ES3_mNS7_12zip_iteratorINS8_INS7_6detail15normal_iteratorINS7_10device_ptrIyEEEESJ_S9_S9_S9_S9_S9_S9_S9_S9_EEEEPSB_SM_NS0_5tupleIJNSE_INS8_ISJ_NS7_16discard_iteratorINS7_11use_defaultEEES9_S9_S9_S9_S9_S9_S9_S9_EEEESB_EEENSN_IJSM_SM_EEESB_PlJNSF_9not_fun_tINSF_14equal_to_valueISA_EEEEEEE10hipError_tPvRmT3_T4_T5_T6_T7_T9_mT8_P12ihipStream_tbDpT10_ENKUlT_T0_E_clISt17integral_constantIbLb0EES1I_IbLb1EEEEDaS1E_S1F_EUlS1E_E_NS1_11comp_targetILNS1_3genE9ELNS1_11target_archE1100ELNS1_3gpuE3ELNS1_3repE0EEENS1_30default_config_static_selectorELNS0_4arch9wavefront6targetE0EEEvT1_
		.amdhsa_group_segment_fixed_size 0
		.amdhsa_private_segment_fixed_size 0
		.amdhsa_kernarg_size 160
		.amdhsa_user_sgpr_count 2
		.amdhsa_user_sgpr_dispatch_ptr 0
		.amdhsa_user_sgpr_queue_ptr 0
		.amdhsa_user_sgpr_kernarg_segment_ptr 1
		.amdhsa_user_sgpr_dispatch_id 0
		.amdhsa_user_sgpr_private_segment_size 0
		.amdhsa_wavefront_size32 1
		.amdhsa_uses_dynamic_stack 0
		.amdhsa_enable_private_segment 0
		.amdhsa_system_sgpr_workgroup_id_x 1
		.amdhsa_system_sgpr_workgroup_id_y 0
		.amdhsa_system_sgpr_workgroup_id_z 0
		.amdhsa_system_sgpr_workgroup_info 0
		.amdhsa_system_vgpr_workitem_id 0
		.amdhsa_next_free_vgpr 1
		.amdhsa_next_free_sgpr 1
		.amdhsa_reserve_vcc 0
		.amdhsa_float_round_mode_32 0
		.amdhsa_float_round_mode_16_64 0
		.amdhsa_float_denorm_mode_32 3
		.amdhsa_float_denorm_mode_16_64 3
		.amdhsa_fp16_overflow 0
		.amdhsa_workgroup_processor_mode 1
		.amdhsa_memory_ordered 1
		.amdhsa_forward_progress 1
		.amdhsa_inst_pref_size 0
		.amdhsa_round_robin_scheduling 0
		.amdhsa_exception_fp_ieee_invalid_op 0
		.amdhsa_exception_fp_denorm_src 0
		.amdhsa_exception_fp_ieee_div_zero 0
		.amdhsa_exception_fp_ieee_overflow 0
		.amdhsa_exception_fp_ieee_underflow 0
		.amdhsa_exception_fp_ieee_inexact 0
		.amdhsa_exception_int_div_zero 0
	.end_amdhsa_kernel
	.section	.text._ZN7rocprim17ROCPRIM_400000_NS6detail17trampoline_kernelINS0_14default_configENS1_25partition_config_selectorILNS1_17partition_subalgoE6EN6thrust23THRUST_200600_302600_NS5tupleIyyNS7_9null_typeES9_S9_S9_S9_S9_S9_S9_EENS0_10empty_typeEbEEZZNS1_14partition_implILS5_6ELb0ES3_mNS7_12zip_iteratorINS8_INS7_6detail15normal_iteratorINS7_10device_ptrIyEEEESJ_S9_S9_S9_S9_S9_S9_S9_S9_EEEEPSB_SM_NS0_5tupleIJNSE_INS8_ISJ_NS7_16discard_iteratorINS7_11use_defaultEEES9_S9_S9_S9_S9_S9_S9_S9_EEEESB_EEENSN_IJSM_SM_EEESB_PlJNSF_9not_fun_tINSF_14equal_to_valueISA_EEEEEEE10hipError_tPvRmT3_T4_T5_T6_T7_T9_mT8_P12ihipStream_tbDpT10_ENKUlT_T0_E_clISt17integral_constantIbLb0EES1I_IbLb1EEEEDaS1E_S1F_EUlS1E_E_NS1_11comp_targetILNS1_3genE9ELNS1_11target_archE1100ELNS1_3gpuE3ELNS1_3repE0EEENS1_30default_config_static_selectorELNS0_4arch9wavefront6targetE0EEEvT1_,"axG",@progbits,_ZN7rocprim17ROCPRIM_400000_NS6detail17trampoline_kernelINS0_14default_configENS1_25partition_config_selectorILNS1_17partition_subalgoE6EN6thrust23THRUST_200600_302600_NS5tupleIyyNS7_9null_typeES9_S9_S9_S9_S9_S9_S9_EENS0_10empty_typeEbEEZZNS1_14partition_implILS5_6ELb0ES3_mNS7_12zip_iteratorINS8_INS7_6detail15normal_iteratorINS7_10device_ptrIyEEEESJ_S9_S9_S9_S9_S9_S9_S9_S9_EEEEPSB_SM_NS0_5tupleIJNSE_INS8_ISJ_NS7_16discard_iteratorINS7_11use_defaultEEES9_S9_S9_S9_S9_S9_S9_S9_EEEESB_EEENSN_IJSM_SM_EEESB_PlJNSF_9not_fun_tINSF_14equal_to_valueISA_EEEEEEE10hipError_tPvRmT3_T4_T5_T6_T7_T9_mT8_P12ihipStream_tbDpT10_ENKUlT_T0_E_clISt17integral_constantIbLb0EES1I_IbLb1EEEEDaS1E_S1F_EUlS1E_E_NS1_11comp_targetILNS1_3genE9ELNS1_11target_archE1100ELNS1_3gpuE3ELNS1_3repE0EEENS1_30default_config_static_selectorELNS0_4arch9wavefront6targetE0EEEvT1_,comdat
.Lfunc_end1915:
	.size	_ZN7rocprim17ROCPRIM_400000_NS6detail17trampoline_kernelINS0_14default_configENS1_25partition_config_selectorILNS1_17partition_subalgoE6EN6thrust23THRUST_200600_302600_NS5tupleIyyNS7_9null_typeES9_S9_S9_S9_S9_S9_S9_EENS0_10empty_typeEbEEZZNS1_14partition_implILS5_6ELb0ES3_mNS7_12zip_iteratorINS8_INS7_6detail15normal_iteratorINS7_10device_ptrIyEEEESJ_S9_S9_S9_S9_S9_S9_S9_S9_EEEEPSB_SM_NS0_5tupleIJNSE_INS8_ISJ_NS7_16discard_iteratorINS7_11use_defaultEEES9_S9_S9_S9_S9_S9_S9_S9_EEEESB_EEENSN_IJSM_SM_EEESB_PlJNSF_9not_fun_tINSF_14equal_to_valueISA_EEEEEEE10hipError_tPvRmT3_T4_T5_T6_T7_T9_mT8_P12ihipStream_tbDpT10_ENKUlT_T0_E_clISt17integral_constantIbLb0EES1I_IbLb1EEEEDaS1E_S1F_EUlS1E_E_NS1_11comp_targetILNS1_3genE9ELNS1_11target_archE1100ELNS1_3gpuE3ELNS1_3repE0EEENS1_30default_config_static_selectorELNS0_4arch9wavefront6targetE0EEEvT1_, .Lfunc_end1915-_ZN7rocprim17ROCPRIM_400000_NS6detail17trampoline_kernelINS0_14default_configENS1_25partition_config_selectorILNS1_17partition_subalgoE6EN6thrust23THRUST_200600_302600_NS5tupleIyyNS7_9null_typeES9_S9_S9_S9_S9_S9_S9_EENS0_10empty_typeEbEEZZNS1_14partition_implILS5_6ELb0ES3_mNS7_12zip_iteratorINS8_INS7_6detail15normal_iteratorINS7_10device_ptrIyEEEESJ_S9_S9_S9_S9_S9_S9_S9_S9_EEEEPSB_SM_NS0_5tupleIJNSE_INS8_ISJ_NS7_16discard_iteratorINS7_11use_defaultEEES9_S9_S9_S9_S9_S9_S9_S9_EEEESB_EEENSN_IJSM_SM_EEESB_PlJNSF_9not_fun_tINSF_14equal_to_valueISA_EEEEEEE10hipError_tPvRmT3_T4_T5_T6_T7_T9_mT8_P12ihipStream_tbDpT10_ENKUlT_T0_E_clISt17integral_constantIbLb0EES1I_IbLb1EEEEDaS1E_S1F_EUlS1E_E_NS1_11comp_targetILNS1_3genE9ELNS1_11target_archE1100ELNS1_3gpuE3ELNS1_3repE0EEENS1_30default_config_static_selectorELNS0_4arch9wavefront6targetE0EEEvT1_
                                        ; -- End function
	.set _ZN7rocprim17ROCPRIM_400000_NS6detail17trampoline_kernelINS0_14default_configENS1_25partition_config_selectorILNS1_17partition_subalgoE6EN6thrust23THRUST_200600_302600_NS5tupleIyyNS7_9null_typeES9_S9_S9_S9_S9_S9_S9_EENS0_10empty_typeEbEEZZNS1_14partition_implILS5_6ELb0ES3_mNS7_12zip_iteratorINS8_INS7_6detail15normal_iteratorINS7_10device_ptrIyEEEESJ_S9_S9_S9_S9_S9_S9_S9_S9_EEEEPSB_SM_NS0_5tupleIJNSE_INS8_ISJ_NS7_16discard_iteratorINS7_11use_defaultEEES9_S9_S9_S9_S9_S9_S9_S9_EEEESB_EEENSN_IJSM_SM_EEESB_PlJNSF_9not_fun_tINSF_14equal_to_valueISA_EEEEEEE10hipError_tPvRmT3_T4_T5_T6_T7_T9_mT8_P12ihipStream_tbDpT10_ENKUlT_T0_E_clISt17integral_constantIbLb0EES1I_IbLb1EEEEDaS1E_S1F_EUlS1E_E_NS1_11comp_targetILNS1_3genE9ELNS1_11target_archE1100ELNS1_3gpuE3ELNS1_3repE0EEENS1_30default_config_static_selectorELNS0_4arch9wavefront6targetE0EEEvT1_.num_vgpr, 0
	.set _ZN7rocprim17ROCPRIM_400000_NS6detail17trampoline_kernelINS0_14default_configENS1_25partition_config_selectorILNS1_17partition_subalgoE6EN6thrust23THRUST_200600_302600_NS5tupleIyyNS7_9null_typeES9_S9_S9_S9_S9_S9_S9_EENS0_10empty_typeEbEEZZNS1_14partition_implILS5_6ELb0ES3_mNS7_12zip_iteratorINS8_INS7_6detail15normal_iteratorINS7_10device_ptrIyEEEESJ_S9_S9_S9_S9_S9_S9_S9_S9_EEEEPSB_SM_NS0_5tupleIJNSE_INS8_ISJ_NS7_16discard_iteratorINS7_11use_defaultEEES9_S9_S9_S9_S9_S9_S9_S9_EEEESB_EEENSN_IJSM_SM_EEESB_PlJNSF_9not_fun_tINSF_14equal_to_valueISA_EEEEEEE10hipError_tPvRmT3_T4_T5_T6_T7_T9_mT8_P12ihipStream_tbDpT10_ENKUlT_T0_E_clISt17integral_constantIbLb0EES1I_IbLb1EEEEDaS1E_S1F_EUlS1E_E_NS1_11comp_targetILNS1_3genE9ELNS1_11target_archE1100ELNS1_3gpuE3ELNS1_3repE0EEENS1_30default_config_static_selectorELNS0_4arch9wavefront6targetE0EEEvT1_.num_agpr, 0
	.set _ZN7rocprim17ROCPRIM_400000_NS6detail17trampoline_kernelINS0_14default_configENS1_25partition_config_selectorILNS1_17partition_subalgoE6EN6thrust23THRUST_200600_302600_NS5tupleIyyNS7_9null_typeES9_S9_S9_S9_S9_S9_S9_EENS0_10empty_typeEbEEZZNS1_14partition_implILS5_6ELb0ES3_mNS7_12zip_iteratorINS8_INS7_6detail15normal_iteratorINS7_10device_ptrIyEEEESJ_S9_S9_S9_S9_S9_S9_S9_S9_EEEEPSB_SM_NS0_5tupleIJNSE_INS8_ISJ_NS7_16discard_iteratorINS7_11use_defaultEEES9_S9_S9_S9_S9_S9_S9_S9_EEEESB_EEENSN_IJSM_SM_EEESB_PlJNSF_9not_fun_tINSF_14equal_to_valueISA_EEEEEEE10hipError_tPvRmT3_T4_T5_T6_T7_T9_mT8_P12ihipStream_tbDpT10_ENKUlT_T0_E_clISt17integral_constantIbLb0EES1I_IbLb1EEEEDaS1E_S1F_EUlS1E_E_NS1_11comp_targetILNS1_3genE9ELNS1_11target_archE1100ELNS1_3gpuE3ELNS1_3repE0EEENS1_30default_config_static_selectorELNS0_4arch9wavefront6targetE0EEEvT1_.numbered_sgpr, 0
	.set _ZN7rocprim17ROCPRIM_400000_NS6detail17trampoline_kernelINS0_14default_configENS1_25partition_config_selectorILNS1_17partition_subalgoE6EN6thrust23THRUST_200600_302600_NS5tupleIyyNS7_9null_typeES9_S9_S9_S9_S9_S9_S9_EENS0_10empty_typeEbEEZZNS1_14partition_implILS5_6ELb0ES3_mNS7_12zip_iteratorINS8_INS7_6detail15normal_iteratorINS7_10device_ptrIyEEEESJ_S9_S9_S9_S9_S9_S9_S9_S9_EEEEPSB_SM_NS0_5tupleIJNSE_INS8_ISJ_NS7_16discard_iteratorINS7_11use_defaultEEES9_S9_S9_S9_S9_S9_S9_S9_EEEESB_EEENSN_IJSM_SM_EEESB_PlJNSF_9not_fun_tINSF_14equal_to_valueISA_EEEEEEE10hipError_tPvRmT3_T4_T5_T6_T7_T9_mT8_P12ihipStream_tbDpT10_ENKUlT_T0_E_clISt17integral_constantIbLb0EES1I_IbLb1EEEEDaS1E_S1F_EUlS1E_E_NS1_11comp_targetILNS1_3genE9ELNS1_11target_archE1100ELNS1_3gpuE3ELNS1_3repE0EEENS1_30default_config_static_selectorELNS0_4arch9wavefront6targetE0EEEvT1_.num_named_barrier, 0
	.set _ZN7rocprim17ROCPRIM_400000_NS6detail17trampoline_kernelINS0_14default_configENS1_25partition_config_selectorILNS1_17partition_subalgoE6EN6thrust23THRUST_200600_302600_NS5tupleIyyNS7_9null_typeES9_S9_S9_S9_S9_S9_S9_EENS0_10empty_typeEbEEZZNS1_14partition_implILS5_6ELb0ES3_mNS7_12zip_iteratorINS8_INS7_6detail15normal_iteratorINS7_10device_ptrIyEEEESJ_S9_S9_S9_S9_S9_S9_S9_S9_EEEEPSB_SM_NS0_5tupleIJNSE_INS8_ISJ_NS7_16discard_iteratorINS7_11use_defaultEEES9_S9_S9_S9_S9_S9_S9_S9_EEEESB_EEENSN_IJSM_SM_EEESB_PlJNSF_9not_fun_tINSF_14equal_to_valueISA_EEEEEEE10hipError_tPvRmT3_T4_T5_T6_T7_T9_mT8_P12ihipStream_tbDpT10_ENKUlT_T0_E_clISt17integral_constantIbLb0EES1I_IbLb1EEEEDaS1E_S1F_EUlS1E_E_NS1_11comp_targetILNS1_3genE9ELNS1_11target_archE1100ELNS1_3gpuE3ELNS1_3repE0EEENS1_30default_config_static_selectorELNS0_4arch9wavefront6targetE0EEEvT1_.private_seg_size, 0
	.set _ZN7rocprim17ROCPRIM_400000_NS6detail17trampoline_kernelINS0_14default_configENS1_25partition_config_selectorILNS1_17partition_subalgoE6EN6thrust23THRUST_200600_302600_NS5tupleIyyNS7_9null_typeES9_S9_S9_S9_S9_S9_S9_EENS0_10empty_typeEbEEZZNS1_14partition_implILS5_6ELb0ES3_mNS7_12zip_iteratorINS8_INS7_6detail15normal_iteratorINS7_10device_ptrIyEEEESJ_S9_S9_S9_S9_S9_S9_S9_S9_EEEEPSB_SM_NS0_5tupleIJNSE_INS8_ISJ_NS7_16discard_iteratorINS7_11use_defaultEEES9_S9_S9_S9_S9_S9_S9_S9_EEEESB_EEENSN_IJSM_SM_EEESB_PlJNSF_9not_fun_tINSF_14equal_to_valueISA_EEEEEEE10hipError_tPvRmT3_T4_T5_T6_T7_T9_mT8_P12ihipStream_tbDpT10_ENKUlT_T0_E_clISt17integral_constantIbLb0EES1I_IbLb1EEEEDaS1E_S1F_EUlS1E_E_NS1_11comp_targetILNS1_3genE9ELNS1_11target_archE1100ELNS1_3gpuE3ELNS1_3repE0EEENS1_30default_config_static_selectorELNS0_4arch9wavefront6targetE0EEEvT1_.uses_vcc, 0
	.set _ZN7rocprim17ROCPRIM_400000_NS6detail17trampoline_kernelINS0_14default_configENS1_25partition_config_selectorILNS1_17partition_subalgoE6EN6thrust23THRUST_200600_302600_NS5tupleIyyNS7_9null_typeES9_S9_S9_S9_S9_S9_S9_EENS0_10empty_typeEbEEZZNS1_14partition_implILS5_6ELb0ES3_mNS7_12zip_iteratorINS8_INS7_6detail15normal_iteratorINS7_10device_ptrIyEEEESJ_S9_S9_S9_S9_S9_S9_S9_S9_EEEEPSB_SM_NS0_5tupleIJNSE_INS8_ISJ_NS7_16discard_iteratorINS7_11use_defaultEEES9_S9_S9_S9_S9_S9_S9_S9_EEEESB_EEENSN_IJSM_SM_EEESB_PlJNSF_9not_fun_tINSF_14equal_to_valueISA_EEEEEEE10hipError_tPvRmT3_T4_T5_T6_T7_T9_mT8_P12ihipStream_tbDpT10_ENKUlT_T0_E_clISt17integral_constantIbLb0EES1I_IbLb1EEEEDaS1E_S1F_EUlS1E_E_NS1_11comp_targetILNS1_3genE9ELNS1_11target_archE1100ELNS1_3gpuE3ELNS1_3repE0EEENS1_30default_config_static_selectorELNS0_4arch9wavefront6targetE0EEEvT1_.uses_flat_scratch, 0
	.set _ZN7rocprim17ROCPRIM_400000_NS6detail17trampoline_kernelINS0_14default_configENS1_25partition_config_selectorILNS1_17partition_subalgoE6EN6thrust23THRUST_200600_302600_NS5tupleIyyNS7_9null_typeES9_S9_S9_S9_S9_S9_S9_EENS0_10empty_typeEbEEZZNS1_14partition_implILS5_6ELb0ES3_mNS7_12zip_iteratorINS8_INS7_6detail15normal_iteratorINS7_10device_ptrIyEEEESJ_S9_S9_S9_S9_S9_S9_S9_S9_EEEEPSB_SM_NS0_5tupleIJNSE_INS8_ISJ_NS7_16discard_iteratorINS7_11use_defaultEEES9_S9_S9_S9_S9_S9_S9_S9_EEEESB_EEENSN_IJSM_SM_EEESB_PlJNSF_9not_fun_tINSF_14equal_to_valueISA_EEEEEEE10hipError_tPvRmT3_T4_T5_T6_T7_T9_mT8_P12ihipStream_tbDpT10_ENKUlT_T0_E_clISt17integral_constantIbLb0EES1I_IbLb1EEEEDaS1E_S1F_EUlS1E_E_NS1_11comp_targetILNS1_3genE9ELNS1_11target_archE1100ELNS1_3gpuE3ELNS1_3repE0EEENS1_30default_config_static_selectorELNS0_4arch9wavefront6targetE0EEEvT1_.has_dyn_sized_stack, 0
	.set _ZN7rocprim17ROCPRIM_400000_NS6detail17trampoline_kernelINS0_14default_configENS1_25partition_config_selectorILNS1_17partition_subalgoE6EN6thrust23THRUST_200600_302600_NS5tupleIyyNS7_9null_typeES9_S9_S9_S9_S9_S9_S9_EENS0_10empty_typeEbEEZZNS1_14partition_implILS5_6ELb0ES3_mNS7_12zip_iteratorINS8_INS7_6detail15normal_iteratorINS7_10device_ptrIyEEEESJ_S9_S9_S9_S9_S9_S9_S9_S9_EEEEPSB_SM_NS0_5tupleIJNSE_INS8_ISJ_NS7_16discard_iteratorINS7_11use_defaultEEES9_S9_S9_S9_S9_S9_S9_S9_EEEESB_EEENSN_IJSM_SM_EEESB_PlJNSF_9not_fun_tINSF_14equal_to_valueISA_EEEEEEE10hipError_tPvRmT3_T4_T5_T6_T7_T9_mT8_P12ihipStream_tbDpT10_ENKUlT_T0_E_clISt17integral_constantIbLb0EES1I_IbLb1EEEEDaS1E_S1F_EUlS1E_E_NS1_11comp_targetILNS1_3genE9ELNS1_11target_archE1100ELNS1_3gpuE3ELNS1_3repE0EEENS1_30default_config_static_selectorELNS0_4arch9wavefront6targetE0EEEvT1_.has_recursion, 0
	.set _ZN7rocprim17ROCPRIM_400000_NS6detail17trampoline_kernelINS0_14default_configENS1_25partition_config_selectorILNS1_17partition_subalgoE6EN6thrust23THRUST_200600_302600_NS5tupleIyyNS7_9null_typeES9_S9_S9_S9_S9_S9_S9_EENS0_10empty_typeEbEEZZNS1_14partition_implILS5_6ELb0ES3_mNS7_12zip_iteratorINS8_INS7_6detail15normal_iteratorINS7_10device_ptrIyEEEESJ_S9_S9_S9_S9_S9_S9_S9_S9_EEEEPSB_SM_NS0_5tupleIJNSE_INS8_ISJ_NS7_16discard_iteratorINS7_11use_defaultEEES9_S9_S9_S9_S9_S9_S9_S9_EEEESB_EEENSN_IJSM_SM_EEESB_PlJNSF_9not_fun_tINSF_14equal_to_valueISA_EEEEEEE10hipError_tPvRmT3_T4_T5_T6_T7_T9_mT8_P12ihipStream_tbDpT10_ENKUlT_T0_E_clISt17integral_constantIbLb0EES1I_IbLb1EEEEDaS1E_S1F_EUlS1E_E_NS1_11comp_targetILNS1_3genE9ELNS1_11target_archE1100ELNS1_3gpuE3ELNS1_3repE0EEENS1_30default_config_static_selectorELNS0_4arch9wavefront6targetE0EEEvT1_.has_indirect_call, 0
	.section	.AMDGPU.csdata,"",@progbits
; Kernel info:
; codeLenInByte = 0
; TotalNumSgprs: 0
; NumVgprs: 0
; ScratchSize: 0
; MemoryBound: 0
; FloatMode: 240
; IeeeMode: 1
; LDSByteSize: 0 bytes/workgroup (compile time only)
; SGPRBlocks: 0
; VGPRBlocks: 0
; NumSGPRsForWavesPerEU: 1
; NumVGPRsForWavesPerEU: 1
; Occupancy: 16
; WaveLimiterHint : 0
; COMPUTE_PGM_RSRC2:SCRATCH_EN: 0
; COMPUTE_PGM_RSRC2:USER_SGPR: 2
; COMPUTE_PGM_RSRC2:TRAP_HANDLER: 0
; COMPUTE_PGM_RSRC2:TGID_X_EN: 1
; COMPUTE_PGM_RSRC2:TGID_Y_EN: 0
; COMPUTE_PGM_RSRC2:TGID_Z_EN: 0
; COMPUTE_PGM_RSRC2:TIDIG_COMP_CNT: 0
	.section	.text._ZN7rocprim17ROCPRIM_400000_NS6detail17trampoline_kernelINS0_14default_configENS1_25partition_config_selectorILNS1_17partition_subalgoE6EN6thrust23THRUST_200600_302600_NS5tupleIyyNS7_9null_typeES9_S9_S9_S9_S9_S9_S9_EENS0_10empty_typeEbEEZZNS1_14partition_implILS5_6ELb0ES3_mNS7_12zip_iteratorINS8_INS7_6detail15normal_iteratorINS7_10device_ptrIyEEEESJ_S9_S9_S9_S9_S9_S9_S9_S9_EEEEPSB_SM_NS0_5tupleIJNSE_INS8_ISJ_NS7_16discard_iteratorINS7_11use_defaultEEES9_S9_S9_S9_S9_S9_S9_S9_EEEESB_EEENSN_IJSM_SM_EEESB_PlJNSF_9not_fun_tINSF_14equal_to_valueISA_EEEEEEE10hipError_tPvRmT3_T4_T5_T6_T7_T9_mT8_P12ihipStream_tbDpT10_ENKUlT_T0_E_clISt17integral_constantIbLb0EES1I_IbLb1EEEEDaS1E_S1F_EUlS1E_E_NS1_11comp_targetILNS1_3genE8ELNS1_11target_archE1030ELNS1_3gpuE2ELNS1_3repE0EEENS1_30default_config_static_selectorELNS0_4arch9wavefront6targetE0EEEvT1_,"axG",@progbits,_ZN7rocprim17ROCPRIM_400000_NS6detail17trampoline_kernelINS0_14default_configENS1_25partition_config_selectorILNS1_17partition_subalgoE6EN6thrust23THRUST_200600_302600_NS5tupleIyyNS7_9null_typeES9_S9_S9_S9_S9_S9_S9_EENS0_10empty_typeEbEEZZNS1_14partition_implILS5_6ELb0ES3_mNS7_12zip_iteratorINS8_INS7_6detail15normal_iteratorINS7_10device_ptrIyEEEESJ_S9_S9_S9_S9_S9_S9_S9_S9_EEEEPSB_SM_NS0_5tupleIJNSE_INS8_ISJ_NS7_16discard_iteratorINS7_11use_defaultEEES9_S9_S9_S9_S9_S9_S9_S9_EEEESB_EEENSN_IJSM_SM_EEESB_PlJNSF_9not_fun_tINSF_14equal_to_valueISA_EEEEEEE10hipError_tPvRmT3_T4_T5_T6_T7_T9_mT8_P12ihipStream_tbDpT10_ENKUlT_T0_E_clISt17integral_constantIbLb0EES1I_IbLb1EEEEDaS1E_S1F_EUlS1E_E_NS1_11comp_targetILNS1_3genE8ELNS1_11target_archE1030ELNS1_3gpuE2ELNS1_3repE0EEENS1_30default_config_static_selectorELNS0_4arch9wavefront6targetE0EEEvT1_,comdat
	.protected	_ZN7rocprim17ROCPRIM_400000_NS6detail17trampoline_kernelINS0_14default_configENS1_25partition_config_selectorILNS1_17partition_subalgoE6EN6thrust23THRUST_200600_302600_NS5tupleIyyNS7_9null_typeES9_S9_S9_S9_S9_S9_S9_EENS0_10empty_typeEbEEZZNS1_14partition_implILS5_6ELb0ES3_mNS7_12zip_iteratorINS8_INS7_6detail15normal_iteratorINS7_10device_ptrIyEEEESJ_S9_S9_S9_S9_S9_S9_S9_S9_EEEEPSB_SM_NS0_5tupleIJNSE_INS8_ISJ_NS7_16discard_iteratorINS7_11use_defaultEEES9_S9_S9_S9_S9_S9_S9_S9_EEEESB_EEENSN_IJSM_SM_EEESB_PlJNSF_9not_fun_tINSF_14equal_to_valueISA_EEEEEEE10hipError_tPvRmT3_T4_T5_T6_T7_T9_mT8_P12ihipStream_tbDpT10_ENKUlT_T0_E_clISt17integral_constantIbLb0EES1I_IbLb1EEEEDaS1E_S1F_EUlS1E_E_NS1_11comp_targetILNS1_3genE8ELNS1_11target_archE1030ELNS1_3gpuE2ELNS1_3repE0EEENS1_30default_config_static_selectorELNS0_4arch9wavefront6targetE0EEEvT1_ ; -- Begin function _ZN7rocprim17ROCPRIM_400000_NS6detail17trampoline_kernelINS0_14default_configENS1_25partition_config_selectorILNS1_17partition_subalgoE6EN6thrust23THRUST_200600_302600_NS5tupleIyyNS7_9null_typeES9_S9_S9_S9_S9_S9_S9_EENS0_10empty_typeEbEEZZNS1_14partition_implILS5_6ELb0ES3_mNS7_12zip_iteratorINS8_INS7_6detail15normal_iteratorINS7_10device_ptrIyEEEESJ_S9_S9_S9_S9_S9_S9_S9_S9_EEEEPSB_SM_NS0_5tupleIJNSE_INS8_ISJ_NS7_16discard_iteratorINS7_11use_defaultEEES9_S9_S9_S9_S9_S9_S9_S9_EEEESB_EEENSN_IJSM_SM_EEESB_PlJNSF_9not_fun_tINSF_14equal_to_valueISA_EEEEEEE10hipError_tPvRmT3_T4_T5_T6_T7_T9_mT8_P12ihipStream_tbDpT10_ENKUlT_T0_E_clISt17integral_constantIbLb0EES1I_IbLb1EEEEDaS1E_S1F_EUlS1E_E_NS1_11comp_targetILNS1_3genE8ELNS1_11target_archE1030ELNS1_3gpuE2ELNS1_3repE0EEENS1_30default_config_static_selectorELNS0_4arch9wavefront6targetE0EEEvT1_
	.globl	_ZN7rocprim17ROCPRIM_400000_NS6detail17trampoline_kernelINS0_14default_configENS1_25partition_config_selectorILNS1_17partition_subalgoE6EN6thrust23THRUST_200600_302600_NS5tupleIyyNS7_9null_typeES9_S9_S9_S9_S9_S9_S9_EENS0_10empty_typeEbEEZZNS1_14partition_implILS5_6ELb0ES3_mNS7_12zip_iteratorINS8_INS7_6detail15normal_iteratorINS7_10device_ptrIyEEEESJ_S9_S9_S9_S9_S9_S9_S9_S9_EEEEPSB_SM_NS0_5tupleIJNSE_INS8_ISJ_NS7_16discard_iteratorINS7_11use_defaultEEES9_S9_S9_S9_S9_S9_S9_S9_EEEESB_EEENSN_IJSM_SM_EEESB_PlJNSF_9not_fun_tINSF_14equal_to_valueISA_EEEEEEE10hipError_tPvRmT3_T4_T5_T6_T7_T9_mT8_P12ihipStream_tbDpT10_ENKUlT_T0_E_clISt17integral_constantIbLb0EES1I_IbLb1EEEEDaS1E_S1F_EUlS1E_E_NS1_11comp_targetILNS1_3genE8ELNS1_11target_archE1030ELNS1_3gpuE2ELNS1_3repE0EEENS1_30default_config_static_selectorELNS0_4arch9wavefront6targetE0EEEvT1_
	.p2align	8
	.type	_ZN7rocprim17ROCPRIM_400000_NS6detail17trampoline_kernelINS0_14default_configENS1_25partition_config_selectorILNS1_17partition_subalgoE6EN6thrust23THRUST_200600_302600_NS5tupleIyyNS7_9null_typeES9_S9_S9_S9_S9_S9_S9_EENS0_10empty_typeEbEEZZNS1_14partition_implILS5_6ELb0ES3_mNS7_12zip_iteratorINS8_INS7_6detail15normal_iteratorINS7_10device_ptrIyEEEESJ_S9_S9_S9_S9_S9_S9_S9_S9_EEEEPSB_SM_NS0_5tupleIJNSE_INS8_ISJ_NS7_16discard_iteratorINS7_11use_defaultEEES9_S9_S9_S9_S9_S9_S9_S9_EEEESB_EEENSN_IJSM_SM_EEESB_PlJNSF_9not_fun_tINSF_14equal_to_valueISA_EEEEEEE10hipError_tPvRmT3_T4_T5_T6_T7_T9_mT8_P12ihipStream_tbDpT10_ENKUlT_T0_E_clISt17integral_constantIbLb0EES1I_IbLb1EEEEDaS1E_S1F_EUlS1E_E_NS1_11comp_targetILNS1_3genE8ELNS1_11target_archE1030ELNS1_3gpuE2ELNS1_3repE0EEENS1_30default_config_static_selectorELNS0_4arch9wavefront6targetE0EEEvT1_,@function
_ZN7rocprim17ROCPRIM_400000_NS6detail17trampoline_kernelINS0_14default_configENS1_25partition_config_selectorILNS1_17partition_subalgoE6EN6thrust23THRUST_200600_302600_NS5tupleIyyNS7_9null_typeES9_S9_S9_S9_S9_S9_S9_EENS0_10empty_typeEbEEZZNS1_14partition_implILS5_6ELb0ES3_mNS7_12zip_iteratorINS8_INS7_6detail15normal_iteratorINS7_10device_ptrIyEEEESJ_S9_S9_S9_S9_S9_S9_S9_S9_EEEEPSB_SM_NS0_5tupleIJNSE_INS8_ISJ_NS7_16discard_iteratorINS7_11use_defaultEEES9_S9_S9_S9_S9_S9_S9_S9_EEEESB_EEENSN_IJSM_SM_EEESB_PlJNSF_9not_fun_tINSF_14equal_to_valueISA_EEEEEEE10hipError_tPvRmT3_T4_T5_T6_T7_T9_mT8_P12ihipStream_tbDpT10_ENKUlT_T0_E_clISt17integral_constantIbLb0EES1I_IbLb1EEEEDaS1E_S1F_EUlS1E_E_NS1_11comp_targetILNS1_3genE8ELNS1_11target_archE1030ELNS1_3gpuE2ELNS1_3repE0EEENS1_30default_config_static_selectorELNS0_4arch9wavefront6targetE0EEEvT1_: ; @_ZN7rocprim17ROCPRIM_400000_NS6detail17trampoline_kernelINS0_14default_configENS1_25partition_config_selectorILNS1_17partition_subalgoE6EN6thrust23THRUST_200600_302600_NS5tupleIyyNS7_9null_typeES9_S9_S9_S9_S9_S9_S9_EENS0_10empty_typeEbEEZZNS1_14partition_implILS5_6ELb0ES3_mNS7_12zip_iteratorINS8_INS7_6detail15normal_iteratorINS7_10device_ptrIyEEEESJ_S9_S9_S9_S9_S9_S9_S9_S9_EEEEPSB_SM_NS0_5tupleIJNSE_INS8_ISJ_NS7_16discard_iteratorINS7_11use_defaultEEES9_S9_S9_S9_S9_S9_S9_S9_EEEESB_EEENSN_IJSM_SM_EEESB_PlJNSF_9not_fun_tINSF_14equal_to_valueISA_EEEEEEE10hipError_tPvRmT3_T4_T5_T6_T7_T9_mT8_P12ihipStream_tbDpT10_ENKUlT_T0_E_clISt17integral_constantIbLb0EES1I_IbLb1EEEEDaS1E_S1F_EUlS1E_E_NS1_11comp_targetILNS1_3genE8ELNS1_11target_archE1030ELNS1_3gpuE2ELNS1_3repE0EEENS1_30default_config_static_selectorELNS0_4arch9wavefront6targetE0EEEvT1_
; %bb.0:
	.section	.rodata,"a",@progbits
	.p2align	6, 0x0
	.amdhsa_kernel _ZN7rocprim17ROCPRIM_400000_NS6detail17trampoline_kernelINS0_14default_configENS1_25partition_config_selectorILNS1_17partition_subalgoE6EN6thrust23THRUST_200600_302600_NS5tupleIyyNS7_9null_typeES9_S9_S9_S9_S9_S9_S9_EENS0_10empty_typeEbEEZZNS1_14partition_implILS5_6ELb0ES3_mNS7_12zip_iteratorINS8_INS7_6detail15normal_iteratorINS7_10device_ptrIyEEEESJ_S9_S9_S9_S9_S9_S9_S9_S9_EEEEPSB_SM_NS0_5tupleIJNSE_INS8_ISJ_NS7_16discard_iteratorINS7_11use_defaultEEES9_S9_S9_S9_S9_S9_S9_S9_EEEESB_EEENSN_IJSM_SM_EEESB_PlJNSF_9not_fun_tINSF_14equal_to_valueISA_EEEEEEE10hipError_tPvRmT3_T4_T5_T6_T7_T9_mT8_P12ihipStream_tbDpT10_ENKUlT_T0_E_clISt17integral_constantIbLb0EES1I_IbLb1EEEEDaS1E_S1F_EUlS1E_E_NS1_11comp_targetILNS1_3genE8ELNS1_11target_archE1030ELNS1_3gpuE2ELNS1_3repE0EEENS1_30default_config_static_selectorELNS0_4arch9wavefront6targetE0EEEvT1_
		.amdhsa_group_segment_fixed_size 0
		.amdhsa_private_segment_fixed_size 0
		.amdhsa_kernarg_size 160
		.amdhsa_user_sgpr_count 2
		.amdhsa_user_sgpr_dispatch_ptr 0
		.amdhsa_user_sgpr_queue_ptr 0
		.amdhsa_user_sgpr_kernarg_segment_ptr 1
		.amdhsa_user_sgpr_dispatch_id 0
		.amdhsa_user_sgpr_private_segment_size 0
		.amdhsa_wavefront_size32 1
		.amdhsa_uses_dynamic_stack 0
		.amdhsa_enable_private_segment 0
		.amdhsa_system_sgpr_workgroup_id_x 1
		.amdhsa_system_sgpr_workgroup_id_y 0
		.amdhsa_system_sgpr_workgroup_id_z 0
		.amdhsa_system_sgpr_workgroup_info 0
		.amdhsa_system_vgpr_workitem_id 0
		.amdhsa_next_free_vgpr 1
		.amdhsa_next_free_sgpr 1
		.amdhsa_reserve_vcc 0
		.amdhsa_float_round_mode_32 0
		.amdhsa_float_round_mode_16_64 0
		.amdhsa_float_denorm_mode_32 3
		.amdhsa_float_denorm_mode_16_64 3
		.amdhsa_fp16_overflow 0
		.amdhsa_workgroup_processor_mode 1
		.amdhsa_memory_ordered 1
		.amdhsa_forward_progress 1
		.amdhsa_inst_pref_size 0
		.amdhsa_round_robin_scheduling 0
		.amdhsa_exception_fp_ieee_invalid_op 0
		.amdhsa_exception_fp_denorm_src 0
		.amdhsa_exception_fp_ieee_div_zero 0
		.amdhsa_exception_fp_ieee_overflow 0
		.amdhsa_exception_fp_ieee_underflow 0
		.amdhsa_exception_fp_ieee_inexact 0
		.amdhsa_exception_int_div_zero 0
	.end_amdhsa_kernel
	.section	.text._ZN7rocprim17ROCPRIM_400000_NS6detail17trampoline_kernelINS0_14default_configENS1_25partition_config_selectorILNS1_17partition_subalgoE6EN6thrust23THRUST_200600_302600_NS5tupleIyyNS7_9null_typeES9_S9_S9_S9_S9_S9_S9_EENS0_10empty_typeEbEEZZNS1_14partition_implILS5_6ELb0ES3_mNS7_12zip_iteratorINS8_INS7_6detail15normal_iteratorINS7_10device_ptrIyEEEESJ_S9_S9_S9_S9_S9_S9_S9_S9_EEEEPSB_SM_NS0_5tupleIJNSE_INS8_ISJ_NS7_16discard_iteratorINS7_11use_defaultEEES9_S9_S9_S9_S9_S9_S9_S9_EEEESB_EEENSN_IJSM_SM_EEESB_PlJNSF_9not_fun_tINSF_14equal_to_valueISA_EEEEEEE10hipError_tPvRmT3_T4_T5_T6_T7_T9_mT8_P12ihipStream_tbDpT10_ENKUlT_T0_E_clISt17integral_constantIbLb0EES1I_IbLb1EEEEDaS1E_S1F_EUlS1E_E_NS1_11comp_targetILNS1_3genE8ELNS1_11target_archE1030ELNS1_3gpuE2ELNS1_3repE0EEENS1_30default_config_static_selectorELNS0_4arch9wavefront6targetE0EEEvT1_,"axG",@progbits,_ZN7rocprim17ROCPRIM_400000_NS6detail17trampoline_kernelINS0_14default_configENS1_25partition_config_selectorILNS1_17partition_subalgoE6EN6thrust23THRUST_200600_302600_NS5tupleIyyNS7_9null_typeES9_S9_S9_S9_S9_S9_S9_EENS0_10empty_typeEbEEZZNS1_14partition_implILS5_6ELb0ES3_mNS7_12zip_iteratorINS8_INS7_6detail15normal_iteratorINS7_10device_ptrIyEEEESJ_S9_S9_S9_S9_S9_S9_S9_S9_EEEEPSB_SM_NS0_5tupleIJNSE_INS8_ISJ_NS7_16discard_iteratorINS7_11use_defaultEEES9_S9_S9_S9_S9_S9_S9_S9_EEEESB_EEENSN_IJSM_SM_EEESB_PlJNSF_9not_fun_tINSF_14equal_to_valueISA_EEEEEEE10hipError_tPvRmT3_T4_T5_T6_T7_T9_mT8_P12ihipStream_tbDpT10_ENKUlT_T0_E_clISt17integral_constantIbLb0EES1I_IbLb1EEEEDaS1E_S1F_EUlS1E_E_NS1_11comp_targetILNS1_3genE8ELNS1_11target_archE1030ELNS1_3gpuE2ELNS1_3repE0EEENS1_30default_config_static_selectorELNS0_4arch9wavefront6targetE0EEEvT1_,comdat
.Lfunc_end1916:
	.size	_ZN7rocprim17ROCPRIM_400000_NS6detail17trampoline_kernelINS0_14default_configENS1_25partition_config_selectorILNS1_17partition_subalgoE6EN6thrust23THRUST_200600_302600_NS5tupleIyyNS7_9null_typeES9_S9_S9_S9_S9_S9_S9_EENS0_10empty_typeEbEEZZNS1_14partition_implILS5_6ELb0ES3_mNS7_12zip_iteratorINS8_INS7_6detail15normal_iteratorINS7_10device_ptrIyEEEESJ_S9_S9_S9_S9_S9_S9_S9_S9_EEEEPSB_SM_NS0_5tupleIJNSE_INS8_ISJ_NS7_16discard_iteratorINS7_11use_defaultEEES9_S9_S9_S9_S9_S9_S9_S9_EEEESB_EEENSN_IJSM_SM_EEESB_PlJNSF_9not_fun_tINSF_14equal_to_valueISA_EEEEEEE10hipError_tPvRmT3_T4_T5_T6_T7_T9_mT8_P12ihipStream_tbDpT10_ENKUlT_T0_E_clISt17integral_constantIbLb0EES1I_IbLb1EEEEDaS1E_S1F_EUlS1E_E_NS1_11comp_targetILNS1_3genE8ELNS1_11target_archE1030ELNS1_3gpuE2ELNS1_3repE0EEENS1_30default_config_static_selectorELNS0_4arch9wavefront6targetE0EEEvT1_, .Lfunc_end1916-_ZN7rocprim17ROCPRIM_400000_NS6detail17trampoline_kernelINS0_14default_configENS1_25partition_config_selectorILNS1_17partition_subalgoE6EN6thrust23THRUST_200600_302600_NS5tupleIyyNS7_9null_typeES9_S9_S9_S9_S9_S9_S9_EENS0_10empty_typeEbEEZZNS1_14partition_implILS5_6ELb0ES3_mNS7_12zip_iteratorINS8_INS7_6detail15normal_iteratorINS7_10device_ptrIyEEEESJ_S9_S9_S9_S9_S9_S9_S9_S9_EEEEPSB_SM_NS0_5tupleIJNSE_INS8_ISJ_NS7_16discard_iteratorINS7_11use_defaultEEES9_S9_S9_S9_S9_S9_S9_S9_EEEESB_EEENSN_IJSM_SM_EEESB_PlJNSF_9not_fun_tINSF_14equal_to_valueISA_EEEEEEE10hipError_tPvRmT3_T4_T5_T6_T7_T9_mT8_P12ihipStream_tbDpT10_ENKUlT_T0_E_clISt17integral_constantIbLb0EES1I_IbLb1EEEEDaS1E_S1F_EUlS1E_E_NS1_11comp_targetILNS1_3genE8ELNS1_11target_archE1030ELNS1_3gpuE2ELNS1_3repE0EEENS1_30default_config_static_selectorELNS0_4arch9wavefront6targetE0EEEvT1_
                                        ; -- End function
	.set _ZN7rocprim17ROCPRIM_400000_NS6detail17trampoline_kernelINS0_14default_configENS1_25partition_config_selectorILNS1_17partition_subalgoE6EN6thrust23THRUST_200600_302600_NS5tupleIyyNS7_9null_typeES9_S9_S9_S9_S9_S9_S9_EENS0_10empty_typeEbEEZZNS1_14partition_implILS5_6ELb0ES3_mNS7_12zip_iteratorINS8_INS7_6detail15normal_iteratorINS7_10device_ptrIyEEEESJ_S9_S9_S9_S9_S9_S9_S9_S9_EEEEPSB_SM_NS0_5tupleIJNSE_INS8_ISJ_NS7_16discard_iteratorINS7_11use_defaultEEES9_S9_S9_S9_S9_S9_S9_S9_EEEESB_EEENSN_IJSM_SM_EEESB_PlJNSF_9not_fun_tINSF_14equal_to_valueISA_EEEEEEE10hipError_tPvRmT3_T4_T5_T6_T7_T9_mT8_P12ihipStream_tbDpT10_ENKUlT_T0_E_clISt17integral_constantIbLb0EES1I_IbLb1EEEEDaS1E_S1F_EUlS1E_E_NS1_11comp_targetILNS1_3genE8ELNS1_11target_archE1030ELNS1_3gpuE2ELNS1_3repE0EEENS1_30default_config_static_selectorELNS0_4arch9wavefront6targetE0EEEvT1_.num_vgpr, 0
	.set _ZN7rocprim17ROCPRIM_400000_NS6detail17trampoline_kernelINS0_14default_configENS1_25partition_config_selectorILNS1_17partition_subalgoE6EN6thrust23THRUST_200600_302600_NS5tupleIyyNS7_9null_typeES9_S9_S9_S9_S9_S9_S9_EENS0_10empty_typeEbEEZZNS1_14partition_implILS5_6ELb0ES3_mNS7_12zip_iteratorINS8_INS7_6detail15normal_iteratorINS7_10device_ptrIyEEEESJ_S9_S9_S9_S9_S9_S9_S9_S9_EEEEPSB_SM_NS0_5tupleIJNSE_INS8_ISJ_NS7_16discard_iteratorINS7_11use_defaultEEES9_S9_S9_S9_S9_S9_S9_S9_EEEESB_EEENSN_IJSM_SM_EEESB_PlJNSF_9not_fun_tINSF_14equal_to_valueISA_EEEEEEE10hipError_tPvRmT3_T4_T5_T6_T7_T9_mT8_P12ihipStream_tbDpT10_ENKUlT_T0_E_clISt17integral_constantIbLb0EES1I_IbLb1EEEEDaS1E_S1F_EUlS1E_E_NS1_11comp_targetILNS1_3genE8ELNS1_11target_archE1030ELNS1_3gpuE2ELNS1_3repE0EEENS1_30default_config_static_selectorELNS0_4arch9wavefront6targetE0EEEvT1_.num_agpr, 0
	.set _ZN7rocprim17ROCPRIM_400000_NS6detail17trampoline_kernelINS0_14default_configENS1_25partition_config_selectorILNS1_17partition_subalgoE6EN6thrust23THRUST_200600_302600_NS5tupleIyyNS7_9null_typeES9_S9_S9_S9_S9_S9_S9_EENS0_10empty_typeEbEEZZNS1_14partition_implILS5_6ELb0ES3_mNS7_12zip_iteratorINS8_INS7_6detail15normal_iteratorINS7_10device_ptrIyEEEESJ_S9_S9_S9_S9_S9_S9_S9_S9_EEEEPSB_SM_NS0_5tupleIJNSE_INS8_ISJ_NS7_16discard_iteratorINS7_11use_defaultEEES9_S9_S9_S9_S9_S9_S9_S9_EEEESB_EEENSN_IJSM_SM_EEESB_PlJNSF_9not_fun_tINSF_14equal_to_valueISA_EEEEEEE10hipError_tPvRmT3_T4_T5_T6_T7_T9_mT8_P12ihipStream_tbDpT10_ENKUlT_T0_E_clISt17integral_constantIbLb0EES1I_IbLb1EEEEDaS1E_S1F_EUlS1E_E_NS1_11comp_targetILNS1_3genE8ELNS1_11target_archE1030ELNS1_3gpuE2ELNS1_3repE0EEENS1_30default_config_static_selectorELNS0_4arch9wavefront6targetE0EEEvT1_.numbered_sgpr, 0
	.set _ZN7rocprim17ROCPRIM_400000_NS6detail17trampoline_kernelINS0_14default_configENS1_25partition_config_selectorILNS1_17partition_subalgoE6EN6thrust23THRUST_200600_302600_NS5tupleIyyNS7_9null_typeES9_S9_S9_S9_S9_S9_S9_EENS0_10empty_typeEbEEZZNS1_14partition_implILS5_6ELb0ES3_mNS7_12zip_iteratorINS8_INS7_6detail15normal_iteratorINS7_10device_ptrIyEEEESJ_S9_S9_S9_S9_S9_S9_S9_S9_EEEEPSB_SM_NS0_5tupleIJNSE_INS8_ISJ_NS7_16discard_iteratorINS7_11use_defaultEEES9_S9_S9_S9_S9_S9_S9_S9_EEEESB_EEENSN_IJSM_SM_EEESB_PlJNSF_9not_fun_tINSF_14equal_to_valueISA_EEEEEEE10hipError_tPvRmT3_T4_T5_T6_T7_T9_mT8_P12ihipStream_tbDpT10_ENKUlT_T0_E_clISt17integral_constantIbLb0EES1I_IbLb1EEEEDaS1E_S1F_EUlS1E_E_NS1_11comp_targetILNS1_3genE8ELNS1_11target_archE1030ELNS1_3gpuE2ELNS1_3repE0EEENS1_30default_config_static_selectorELNS0_4arch9wavefront6targetE0EEEvT1_.num_named_barrier, 0
	.set _ZN7rocprim17ROCPRIM_400000_NS6detail17trampoline_kernelINS0_14default_configENS1_25partition_config_selectorILNS1_17partition_subalgoE6EN6thrust23THRUST_200600_302600_NS5tupleIyyNS7_9null_typeES9_S9_S9_S9_S9_S9_S9_EENS0_10empty_typeEbEEZZNS1_14partition_implILS5_6ELb0ES3_mNS7_12zip_iteratorINS8_INS7_6detail15normal_iteratorINS7_10device_ptrIyEEEESJ_S9_S9_S9_S9_S9_S9_S9_S9_EEEEPSB_SM_NS0_5tupleIJNSE_INS8_ISJ_NS7_16discard_iteratorINS7_11use_defaultEEES9_S9_S9_S9_S9_S9_S9_S9_EEEESB_EEENSN_IJSM_SM_EEESB_PlJNSF_9not_fun_tINSF_14equal_to_valueISA_EEEEEEE10hipError_tPvRmT3_T4_T5_T6_T7_T9_mT8_P12ihipStream_tbDpT10_ENKUlT_T0_E_clISt17integral_constantIbLb0EES1I_IbLb1EEEEDaS1E_S1F_EUlS1E_E_NS1_11comp_targetILNS1_3genE8ELNS1_11target_archE1030ELNS1_3gpuE2ELNS1_3repE0EEENS1_30default_config_static_selectorELNS0_4arch9wavefront6targetE0EEEvT1_.private_seg_size, 0
	.set _ZN7rocprim17ROCPRIM_400000_NS6detail17trampoline_kernelINS0_14default_configENS1_25partition_config_selectorILNS1_17partition_subalgoE6EN6thrust23THRUST_200600_302600_NS5tupleIyyNS7_9null_typeES9_S9_S9_S9_S9_S9_S9_EENS0_10empty_typeEbEEZZNS1_14partition_implILS5_6ELb0ES3_mNS7_12zip_iteratorINS8_INS7_6detail15normal_iteratorINS7_10device_ptrIyEEEESJ_S9_S9_S9_S9_S9_S9_S9_S9_EEEEPSB_SM_NS0_5tupleIJNSE_INS8_ISJ_NS7_16discard_iteratorINS7_11use_defaultEEES9_S9_S9_S9_S9_S9_S9_S9_EEEESB_EEENSN_IJSM_SM_EEESB_PlJNSF_9not_fun_tINSF_14equal_to_valueISA_EEEEEEE10hipError_tPvRmT3_T4_T5_T6_T7_T9_mT8_P12ihipStream_tbDpT10_ENKUlT_T0_E_clISt17integral_constantIbLb0EES1I_IbLb1EEEEDaS1E_S1F_EUlS1E_E_NS1_11comp_targetILNS1_3genE8ELNS1_11target_archE1030ELNS1_3gpuE2ELNS1_3repE0EEENS1_30default_config_static_selectorELNS0_4arch9wavefront6targetE0EEEvT1_.uses_vcc, 0
	.set _ZN7rocprim17ROCPRIM_400000_NS6detail17trampoline_kernelINS0_14default_configENS1_25partition_config_selectorILNS1_17partition_subalgoE6EN6thrust23THRUST_200600_302600_NS5tupleIyyNS7_9null_typeES9_S9_S9_S9_S9_S9_S9_EENS0_10empty_typeEbEEZZNS1_14partition_implILS5_6ELb0ES3_mNS7_12zip_iteratorINS8_INS7_6detail15normal_iteratorINS7_10device_ptrIyEEEESJ_S9_S9_S9_S9_S9_S9_S9_S9_EEEEPSB_SM_NS0_5tupleIJNSE_INS8_ISJ_NS7_16discard_iteratorINS7_11use_defaultEEES9_S9_S9_S9_S9_S9_S9_S9_EEEESB_EEENSN_IJSM_SM_EEESB_PlJNSF_9not_fun_tINSF_14equal_to_valueISA_EEEEEEE10hipError_tPvRmT3_T4_T5_T6_T7_T9_mT8_P12ihipStream_tbDpT10_ENKUlT_T0_E_clISt17integral_constantIbLb0EES1I_IbLb1EEEEDaS1E_S1F_EUlS1E_E_NS1_11comp_targetILNS1_3genE8ELNS1_11target_archE1030ELNS1_3gpuE2ELNS1_3repE0EEENS1_30default_config_static_selectorELNS0_4arch9wavefront6targetE0EEEvT1_.uses_flat_scratch, 0
	.set _ZN7rocprim17ROCPRIM_400000_NS6detail17trampoline_kernelINS0_14default_configENS1_25partition_config_selectorILNS1_17partition_subalgoE6EN6thrust23THRUST_200600_302600_NS5tupleIyyNS7_9null_typeES9_S9_S9_S9_S9_S9_S9_EENS0_10empty_typeEbEEZZNS1_14partition_implILS5_6ELb0ES3_mNS7_12zip_iteratorINS8_INS7_6detail15normal_iteratorINS7_10device_ptrIyEEEESJ_S9_S9_S9_S9_S9_S9_S9_S9_EEEEPSB_SM_NS0_5tupleIJNSE_INS8_ISJ_NS7_16discard_iteratorINS7_11use_defaultEEES9_S9_S9_S9_S9_S9_S9_S9_EEEESB_EEENSN_IJSM_SM_EEESB_PlJNSF_9not_fun_tINSF_14equal_to_valueISA_EEEEEEE10hipError_tPvRmT3_T4_T5_T6_T7_T9_mT8_P12ihipStream_tbDpT10_ENKUlT_T0_E_clISt17integral_constantIbLb0EES1I_IbLb1EEEEDaS1E_S1F_EUlS1E_E_NS1_11comp_targetILNS1_3genE8ELNS1_11target_archE1030ELNS1_3gpuE2ELNS1_3repE0EEENS1_30default_config_static_selectorELNS0_4arch9wavefront6targetE0EEEvT1_.has_dyn_sized_stack, 0
	.set _ZN7rocprim17ROCPRIM_400000_NS6detail17trampoline_kernelINS0_14default_configENS1_25partition_config_selectorILNS1_17partition_subalgoE6EN6thrust23THRUST_200600_302600_NS5tupleIyyNS7_9null_typeES9_S9_S9_S9_S9_S9_S9_EENS0_10empty_typeEbEEZZNS1_14partition_implILS5_6ELb0ES3_mNS7_12zip_iteratorINS8_INS7_6detail15normal_iteratorINS7_10device_ptrIyEEEESJ_S9_S9_S9_S9_S9_S9_S9_S9_EEEEPSB_SM_NS0_5tupleIJNSE_INS8_ISJ_NS7_16discard_iteratorINS7_11use_defaultEEES9_S9_S9_S9_S9_S9_S9_S9_EEEESB_EEENSN_IJSM_SM_EEESB_PlJNSF_9not_fun_tINSF_14equal_to_valueISA_EEEEEEE10hipError_tPvRmT3_T4_T5_T6_T7_T9_mT8_P12ihipStream_tbDpT10_ENKUlT_T0_E_clISt17integral_constantIbLb0EES1I_IbLb1EEEEDaS1E_S1F_EUlS1E_E_NS1_11comp_targetILNS1_3genE8ELNS1_11target_archE1030ELNS1_3gpuE2ELNS1_3repE0EEENS1_30default_config_static_selectorELNS0_4arch9wavefront6targetE0EEEvT1_.has_recursion, 0
	.set _ZN7rocprim17ROCPRIM_400000_NS6detail17trampoline_kernelINS0_14default_configENS1_25partition_config_selectorILNS1_17partition_subalgoE6EN6thrust23THRUST_200600_302600_NS5tupleIyyNS7_9null_typeES9_S9_S9_S9_S9_S9_S9_EENS0_10empty_typeEbEEZZNS1_14partition_implILS5_6ELb0ES3_mNS7_12zip_iteratorINS8_INS7_6detail15normal_iteratorINS7_10device_ptrIyEEEESJ_S9_S9_S9_S9_S9_S9_S9_S9_EEEEPSB_SM_NS0_5tupleIJNSE_INS8_ISJ_NS7_16discard_iteratorINS7_11use_defaultEEES9_S9_S9_S9_S9_S9_S9_S9_EEEESB_EEENSN_IJSM_SM_EEESB_PlJNSF_9not_fun_tINSF_14equal_to_valueISA_EEEEEEE10hipError_tPvRmT3_T4_T5_T6_T7_T9_mT8_P12ihipStream_tbDpT10_ENKUlT_T0_E_clISt17integral_constantIbLb0EES1I_IbLb1EEEEDaS1E_S1F_EUlS1E_E_NS1_11comp_targetILNS1_3genE8ELNS1_11target_archE1030ELNS1_3gpuE2ELNS1_3repE0EEENS1_30default_config_static_selectorELNS0_4arch9wavefront6targetE0EEEvT1_.has_indirect_call, 0
	.section	.AMDGPU.csdata,"",@progbits
; Kernel info:
; codeLenInByte = 0
; TotalNumSgprs: 0
; NumVgprs: 0
; ScratchSize: 0
; MemoryBound: 0
; FloatMode: 240
; IeeeMode: 1
; LDSByteSize: 0 bytes/workgroup (compile time only)
; SGPRBlocks: 0
; VGPRBlocks: 0
; NumSGPRsForWavesPerEU: 1
; NumVGPRsForWavesPerEU: 1
; Occupancy: 16
; WaveLimiterHint : 0
; COMPUTE_PGM_RSRC2:SCRATCH_EN: 0
; COMPUTE_PGM_RSRC2:USER_SGPR: 2
; COMPUTE_PGM_RSRC2:TRAP_HANDLER: 0
; COMPUTE_PGM_RSRC2:TGID_X_EN: 1
; COMPUTE_PGM_RSRC2:TGID_Y_EN: 0
; COMPUTE_PGM_RSRC2:TGID_Z_EN: 0
; COMPUTE_PGM_RSRC2:TIDIG_COMP_CNT: 0
	.section	.text._ZN7rocprim17ROCPRIM_400000_NS6detail17trampoline_kernelINS0_14default_configENS1_25partition_config_selectorILNS1_17partition_subalgoE6EN6thrust23THRUST_200600_302600_NS5tupleIjjNS7_9null_typeES9_S9_S9_S9_S9_S9_S9_EENS0_10empty_typeEbEEZZNS1_14partition_implILS5_6ELb0ES3_mNS7_12zip_iteratorINS8_INS7_6detail15normal_iteratorINS7_10device_ptrIjEEEESJ_S9_S9_S9_S9_S9_S9_S9_S9_EEEEPSB_SM_NS0_5tupleIJNSE_INS8_ISJ_NS7_16discard_iteratorINS7_11use_defaultEEES9_S9_S9_S9_S9_S9_S9_S9_EEEESB_EEENSN_IJSM_SM_EEESB_PlJNSF_9not_fun_tINSF_14equal_to_valueISA_EEEEEEE10hipError_tPvRmT3_T4_T5_T6_T7_T9_mT8_P12ihipStream_tbDpT10_ENKUlT_T0_E_clISt17integral_constantIbLb0EES1J_EEDaS1E_S1F_EUlS1E_E_NS1_11comp_targetILNS1_3genE0ELNS1_11target_archE4294967295ELNS1_3gpuE0ELNS1_3repE0EEENS1_30default_config_static_selectorELNS0_4arch9wavefront6targetE0EEEvT1_,"axG",@progbits,_ZN7rocprim17ROCPRIM_400000_NS6detail17trampoline_kernelINS0_14default_configENS1_25partition_config_selectorILNS1_17partition_subalgoE6EN6thrust23THRUST_200600_302600_NS5tupleIjjNS7_9null_typeES9_S9_S9_S9_S9_S9_S9_EENS0_10empty_typeEbEEZZNS1_14partition_implILS5_6ELb0ES3_mNS7_12zip_iteratorINS8_INS7_6detail15normal_iteratorINS7_10device_ptrIjEEEESJ_S9_S9_S9_S9_S9_S9_S9_S9_EEEEPSB_SM_NS0_5tupleIJNSE_INS8_ISJ_NS7_16discard_iteratorINS7_11use_defaultEEES9_S9_S9_S9_S9_S9_S9_S9_EEEESB_EEENSN_IJSM_SM_EEESB_PlJNSF_9not_fun_tINSF_14equal_to_valueISA_EEEEEEE10hipError_tPvRmT3_T4_T5_T6_T7_T9_mT8_P12ihipStream_tbDpT10_ENKUlT_T0_E_clISt17integral_constantIbLb0EES1J_EEDaS1E_S1F_EUlS1E_E_NS1_11comp_targetILNS1_3genE0ELNS1_11target_archE4294967295ELNS1_3gpuE0ELNS1_3repE0EEENS1_30default_config_static_selectorELNS0_4arch9wavefront6targetE0EEEvT1_,comdat
	.protected	_ZN7rocprim17ROCPRIM_400000_NS6detail17trampoline_kernelINS0_14default_configENS1_25partition_config_selectorILNS1_17partition_subalgoE6EN6thrust23THRUST_200600_302600_NS5tupleIjjNS7_9null_typeES9_S9_S9_S9_S9_S9_S9_EENS0_10empty_typeEbEEZZNS1_14partition_implILS5_6ELb0ES3_mNS7_12zip_iteratorINS8_INS7_6detail15normal_iteratorINS7_10device_ptrIjEEEESJ_S9_S9_S9_S9_S9_S9_S9_S9_EEEEPSB_SM_NS0_5tupleIJNSE_INS8_ISJ_NS7_16discard_iteratorINS7_11use_defaultEEES9_S9_S9_S9_S9_S9_S9_S9_EEEESB_EEENSN_IJSM_SM_EEESB_PlJNSF_9not_fun_tINSF_14equal_to_valueISA_EEEEEEE10hipError_tPvRmT3_T4_T5_T6_T7_T9_mT8_P12ihipStream_tbDpT10_ENKUlT_T0_E_clISt17integral_constantIbLb0EES1J_EEDaS1E_S1F_EUlS1E_E_NS1_11comp_targetILNS1_3genE0ELNS1_11target_archE4294967295ELNS1_3gpuE0ELNS1_3repE0EEENS1_30default_config_static_selectorELNS0_4arch9wavefront6targetE0EEEvT1_ ; -- Begin function _ZN7rocprim17ROCPRIM_400000_NS6detail17trampoline_kernelINS0_14default_configENS1_25partition_config_selectorILNS1_17partition_subalgoE6EN6thrust23THRUST_200600_302600_NS5tupleIjjNS7_9null_typeES9_S9_S9_S9_S9_S9_S9_EENS0_10empty_typeEbEEZZNS1_14partition_implILS5_6ELb0ES3_mNS7_12zip_iteratorINS8_INS7_6detail15normal_iteratorINS7_10device_ptrIjEEEESJ_S9_S9_S9_S9_S9_S9_S9_S9_EEEEPSB_SM_NS0_5tupleIJNSE_INS8_ISJ_NS7_16discard_iteratorINS7_11use_defaultEEES9_S9_S9_S9_S9_S9_S9_S9_EEEESB_EEENSN_IJSM_SM_EEESB_PlJNSF_9not_fun_tINSF_14equal_to_valueISA_EEEEEEE10hipError_tPvRmT3_T4_T5_T6_T7_T9_mT8_P12ihipStream_tbDpT10_ENKUlT_T0_E_clISt17integral_constantIbLb0EES1J_EEDaS1E_S1F_EUlS1E_E_NS1_11comp_targetILNS1_3genE0ELNS1_11target_archE4294967295ELNS1_3gpuE0ELNS1_3repE0EEENS1_30default_config_static_selectorELNS0_4arch9wavefront6targetE0EEEvT1_
	.globl	_ZN7rocprim17ROCPRIM_400000_NS6detail17trampoline_kernelINS0_14default_configENS1_25partition_config_selectorILNS1_17partition_subalgoE6EN6thrust23THRUST_200600_302600_NS5tupleIjjNS7_9null_typeES9_S9_S9_S9_S9_S9_S9_EENS0_10empty_typeEbEEZZNS1_14partition_implILS5_6ELb0ES3_mNS7_12zip_iteratorINS8_INS7_6detail15normal_iteratorINS7_10device_ptrIjEEEESJ_S9_S9_S9_S9_S9_S9_S9_S9_EEEEPSB_SM_NS0_5tupleIJNSE_INS8_ISJ_NS7_16discard_iteratorINS7_11use_defaultEEES9_S9_S9_S9_S9_S9_S9_S9_EEEESB_EEENSN_IJSM_SM_EEESB_PlJNSF_9not_fun_tINSF_14equal_to_valueISA_EEEEEEE10hipError_tPvRmT3_T4_T5_T6_T7_T9_mT8_P12ihipStream_tbDpT10_ENKUlT_T0_E_clISt17integral_constantIbLb0EES1J_EEDaS1E_S1F_EUlS1E_E_NS1_11comp_targetILNS1_3genE0ELNS1_11target_archE4294967295ELNS1_3gpuE0ELNS1_3repE0EEENS1_30default_config_static_selectorELNS0_4arch9wavefront6targetE0EEEvT1_
	.p2align	8
	.type	_ZN7rocprim17ROCPRIM_400000_NS6detail17trampoline_kernelINS0_14default_configENS1_25partition_config_selectorILNS1_17partition_subalgoE6EN6thrust23THRUST_200600_302600_NS5tupleIjjNS7_9null_typeES9_S9_S9_S9_S9_S9_S9_EENS0_10empty_typeEbEEZZNS1_14partition_implILS5_6ELb0ES3_mNS7_12zip_iteratorINS8_INS7_6detail15normal_iteratorINS7_10device_ptrIjEEEESJ_S9_S9_S9_S9_S9_S9_S9_S9_EEEEPSB_SM_NS0_5tupleIJNSE_INS8_ISJ_NS7_16discard_iteratorINS7_11use_defaultEEES9_S9_S9_S9_S9_S9_S9_S9_EEEESB_EEENSN_IJSM_SM_EEESB_PlJNSF_9not_fun_tINSF_14equal_to_valueISA_EEEEEEE10hipError_tPvRmT3_T4_T5_T6_T7_T9_mT8_P12ihipStream_tbDpT10_ENKUlT_T0_E_clISt17integral_constantIbLb0EES1J_EEDaS1E_S1F_EUlS1E_E_NS1_11comp_targetILNS1_3genE0ELNS1_11target_archE4294967295ELNS1_3gpuE0ELNS1_3repE0EEENS1_30default_config_static_selectorELNS0_4arch9wavefront6targetE0EEEvT1_,@function
_ZN7rocprim17ROCPRIM_400000_NS6detail17trampoline_kernelINS0_14default_configENS1_25partition_config_selectorILNS1_17partition_subalgoE6EN6thrust23THRUST_200600_302600_NS5tupleIjjNS7_9null_typeES9_S9_S9_S9_S9_S9_S9_EENS0_10empty_typeEbEEZZNS1_14partition_implILS5_6ELb0ES3_mNS7_12zip_iteratorINS8_INS7_6detail15normal_iteratorINS7_10device_ptrIjEEEESJ_S9_S9_S9_S9_S9_S9_S9_S9_EEEEPSB_SM_NS0_5tupleIJNSE_INS8_ISJ_NS7_16discard_iteratorINS7_11use_defaultEEES9_S9_S9_S9_S9_S9_S9_S9_EEEESB_EEENSN_IJSM_SM_EEESB_PlJNSF_9not_fun_tINSF_14equal_to_valueISA_EEEEEEE10hipError_tPvRmT3_T4_T5_T6_T7_T9_mT8_P12ihipStream_tbDpT10_ENKUlT_T0_E_clISt17integral_constantIbLb0EES1J_EEDaS1E_S1F_EUlS1E_E_NS1_11comp_targetILNS1_3genE0ELNS1_11target_archE4294967295ELNS1_3gpuE0ELNS1_3repE0EEENS1_30default_config_static_selectorELNS0_4arch9wavefront6targetE0EEEvT1_: ; @_ZN7rocprim17ROCPRIM_400000_NS6detail17trampoline_kernelINS0_14default_configENS1_25partition_config_selectorILNS1_17partition_subalgoE6EN6thrust23THRUST_200600_302600_NS5tupleIjjNS7_9null_typeES9_S9_S9_S9_S9_S9_S9_EENS0_10empty_typeEbEEZZNS1_14partition_implILS5_6ELb0ES3_mNS7_12zip_iteratorINS8_INS7_6detail15normal_iteratorINS7_10device_ptrIjEEEESJ_S9_S9_S9_S9_S9_S9_S9_S9_EEEEPSB_SM_NS0_5tupleIJNSE_INS8_ISJ_NS7_16discard_iteratorINS7_11use_defaultEEES9_S9_S9_S9_S9_S9_S9_S9_EEEESB_EEENSN_IJSM_SM_EEESB_PlJNSF_9not_fun_tINSF_14equal_to_valueISA_EEEEEEE10hipError_tPvRmT3_T4_T5_T6_T7_T9_mT8_P12ihipStream_tbDpT10_ENKUlT_T0_E_clISt17integral_constantIbLb0EES1J_EEDaS1E_S1F_EUlS1E_E_NS1_11comp_targetILNS1_3genE0ELNS1_11target_archE4294967295ELNS1_3gpuE0ELNS1_3repE0EEENS1_30default_config_static_selectorELNS0_4arch9wavefront6targetE0EEEvT1_
; %bb.0:
	.section	.rodata,"a",@progbits
	.p2align	6, 0x0
	.amdhsa_kernel _ZN7rocprim17ROCPRIM_400000_NS6detail17trampoline_kernelINS0_14default_configENS1_25partition_config_selectorILNS1_17partition_subalgoE6EN6thrust23THRUST_200600_302600_NS5tupleIjjNS7_9null_typeES9_S9_S9_S9_S9_S9_S9_EENS0_10empty_typeEbEEZZNS1_14partition_implILS5_6ELb0ES3_mNS7_12zip_iteratorINS8_INS7_6detail15normal_iteratorINS7_10device_ptrIjEEEESJ_S9_S9_S9_S9_S9_S9_S9_S9_EEEEPSB_SM_NS0_5tupleIJNSE_INS8_ISJ_NS7_16discard_iteratorINS7_11use_defaultEEES9_S9_S9_S9_S9_S9_S9_S9_EEEESB_EEENSN_IJSM_SM_EEESB_PlJNSF_9not_fun_tINSF_14equal_to_valueISA_EEEEEEE10hipError_tPvRmT3_T4_T5_T6_T7_T9_mT8_P12ihipStream_tbDpT10_ENKUlT_T0_E_clISt17integral_constantIbLb0EES1J_EEDaS1E_S1F_EUlS1E_E_NS1_11comp_targetILNS1_3genE0ELNS1_11target_archE4294967295ELNS1_3gpuE0ELNS1_3repE0EEENS1_30default_config_static_selectorELNS0_4arch9wavefront6targetE0EEEvT1_
		.amdhsa_group_segment_fixed_size 0
		.amdhsa_private_segment_fixed_size 0
		.amdhsa_kernarg_size 144
		.amdhsa_user_sgpr_count 2
		.amdhsa_user_sgpr_dispatch_ptr 0
		.amdhsa_user_sgpr_queue_ptr 0
		.amdhsa_user_sgpr_kernarg_segment_ptr 1
		.amdhsa_user_sgpr_dispatch_id 0
		.amdhsa_user_sgpr_private_segment_size 0
		.amdhsa_wavefront_size32 1
		.amdhsa_uses_dynamic_stack 0
		.amdhsa_enable_private_segment 0
		.amdhsa_system_sgpr_workgroup_id_x 1
		.amdhsa_system_sgpr_workgroup_id_y 0
		.amdhsa_system_sgpr_workgroup_id_z 0
		.amdhsa_system_sgpr_workgroup_info 0
		.amdhsa_system_vgpr_workitem_id 0
		.amdhsa_next_free_vgpr 1
		.amdhsa_next_free_sgpr 1
		.amdhsa_reserve_vcc 0
		.amdhsa_float_round_mode_32 0
		.amdhsa_float_round_mode_16_64 0
		.amdhsa_float_denorm_mode_32 3
		.amdhsa_float_denorm_mode_16_64 3
		.amdhsa_fp16_overflow 0
		.amdhsa_workgroup_processor_mode 1
		.amdhsa_memory_ordered 1
		.amdhsa_forward_progress 1
		.amdhsa_inst_pref_size 0
		.amdhsa_round_robin_scheduling 0
		.amdhsa_exception_fp_ieee_invalid_op 0
		.amdhsa_exception_fp_denorm_src 0
		.amdhsa_exception_fp_ieee_div_zero 0
		.amdhsa_exception_fp_ieee_overflow 0
		.amdhsa_exception_fp_ieee_underflow 0
		.amdhsa_exception_fp_ieee_inexact 0
		.amdhsa_exception_int_div_zero 0
	.end_amdhsa_kernel
	.section	.text._ZN7rocprim17ROCPRIM_400000_NS6detail17trampoline_kernelINS0_14default_configENS1_25partition_config_selectorILNS1_17partition_subalgoE6EN6thrust23THRUST_200600_302600_NS5tupleIjjNS7_9null_typeES9_S9_S9_S9_S9_S9_S9_EENS0_10empty_typeEbEEZZNS1_14partition_implILS5_6ELb0ES3_mNS7_12zip_iteratorINS8_INS7_6detail15normal_iteratorINS7_10device_ptrIjEEEESJ_S9_S9_S9_S9_S9_S9_S9_S9_EEEEPSB_SM_NS0_5tupleIJNSE_INS8_ISJ_NS7_16discard_iteratorINS7_11use_defaultEEES9_S9_S9_S9_S9_S9_S9_S9_EEEESB_EEENSN_IJSM_SM_EEESB_PlJNSF_9not_fun_tINSF_14equal_to_valueISA_EEEEEEE10hipError_tPvRmT3_T4_T5_T6_T7_T9_mT8_P12ihipStream_tbDpT10_ENKUlT_T0_E_clISt17integral_constantIbLb0EES1J_EEDaS1E_S1F_EUlS1E_E_NS1_11comp_targetILNS1_3genE0ELNS1_11target_archE4294967295ELNS1_3gpuE0ELNS1_3repE0EEENS1_30default_config_static_selectorELNS0_4arch9wavefront6targetE0EEEvT1_,"axG",@progbits,_ZN7rocprim17ROCPRIM_400000_NS6detail17trampoline_kernelINS0_14default_configENS1_25partition_config_selectorILNS1_17partition_subalgoE6EN6thrust23THRUST_200600_302600_NS5tupleIjjNS7_9null_typeES9_S9_S9_S9_S9_S9_S9_EENS0_10empty_typeEbEEZZNS1_14partition_implILS5_6ELb0ES3_mNS7_12zip_iteratorINS8_INS7_6detail15normal_iteratorINS7_10device_ptrIjEEEESJ_S9_S9_S9_S9_S9_S9_S9_S9_EEEEPSB_SM_NS0_5tupleIJNSE_INS8_ISJ_NS7_16discard_iteratorINS7_11use_defaultEEES9_S9_S9_S9_S9_S9_S9_S9_EEEESB_EEENSN_IJSM_SM_EEESB_PlJNSF_9not_fun_tINSF_14equal_to_valueISA_EEEEEEE10hipError_tPvRmT3_T4_T5_T6_T7_T9_mT8_P12ihipStream_tbDpT10_ENKUlT_T0_E_clISt17integral_constantIbLb0EES1J_EEDaS1E_S1F_EUlS1E_E_NS1_11comp_targetILNS1_3genE0ELNS1_11target_archE4294967295ELNS1_3gpuE0ELNS1_3repE0EEENS1_30default_config_static_selectorELNS0_4arch9wavefront6targetE0EEEvT1_,comdat
.Lfunc_end1917:
	.size	_ZN7rocprim17ROCPRIM_400000_NS6detail17trampoline_kernelINS0_14default_configENS1_25partition_config_selectorILNS1_17partition_subalgoE6EN6thrust23THRUST_200600_302600_NS5tupleIjjNS7_9null_typeES9_S9_S9_S9_S9_S9_S9_EENS0_10empty_typeEbEEZZNS1_14partition_implILS5_6ELb0ES3_mNS7_12zip_iteratorINS8_INS7_6detail15normal_iteratorINS7_10device_ptrIjEEEESJ_S9_S9_S9_S9_S9_S9_S9_S9_EEEEPSB_SM_NS0_5tupleIJNSE_INS8_ISJ_NS7_16discard_iteratorINS7_11use_defaultEEES9_S9_S9_S9_S9_S9_S9_S9_EEEESB_EEENSN_IJSM_SM_EEESB_PlJNSF_9not_fun_tINSF_14equal_to_valueISA_EEEEEEE10hipError_tPvRmT3_T4_T5_T6_T7_T9_mT8_P12ihipStream_tbDpT10_ENKUlT_T0_E_clISt17integral_constantIbLb0EES1J_EEDaS1E_S1F_EUlS1E_E_NS1_11comp_targetILNS1_3genE0ELNS1_11target_archE4294967295ELNS1_3gpuE0ELNS1_3repE0EEENS1_30default_config_static_selectorELNS0_4arch9wavefront6targetE0EEEvT1_, .Lfunc_end1917-_ZN7rocprim17ROCPRIM_400000_NS6detail17trampoline_kernelINS0_14default_configENS1_25partition_config_selectorILNS1_17partition_subalgoE6EN6thrust23THRUST_200600_302600_NS5tupleIjjNS7_9null_typeES9_S9_S9_S9_S9_S9_S9_EENS0_10empty_typeEbEEZZNS1_14partition_implILS5_6ELb0ES3_mNS7_12zip_iteratorINS8_INS7_6detail15normal_iteratorINS7_10device_ptrIjEEEESJ_S9_S9_S9_S9_S9_S9_S9_S9_EEEEPSB_SM_NS0_5tupleIJNSE_INS8_ISJ_NS7_16discard_iteratorINS7_11use_defaultEEES9_S9_S9_S9_S9_S9_S9_S9_EEEESB_EEENSN_IJSM_SM_EEESB_PlJNSF_9not_fun_tINSF_14equal_to_valueISA_EEEEEEE10hipError_tPvRmT3_T4_T5_T6_T7_T9_mT8_P12ihipStream_tbDpT10_ENKUlT_T0_E_clISt17integral_constantIbLb0EES1J_EEDaS1E_S1F_EUlS1E_E_NS1_11comp_targetILNS1_3genE0ELNS1_11target_archE4294967295ELNS1_3gpuE0ELNS1_3repE0EEENS1_30default_config_static_selectorELNS0_4arch9wavefront6targetE0EEEvT1_
                                        ; -- End function
	.set _ZN7rocprim17ROCPRIM_400000_NS6detail17trampoline_kernelINS0_14default_configENS1_25partition_config_selectorILNS1_17partition_subalgoE6EN6thrust23THRUST_200600_302600_NS5tupleIjjNS7_9null_typeES9_S9_S9_S9_S9_S9_S9_EENS0_10empty_typeEbEEZZNS1_14partition_implILS5_6ELb0ES3_mNS7_12zip_iteratorINS8_INS7_6detail15normal_iteratorINS7_10device_ptrIjEEEESJ_S9_S9_S9_S9_S9_S9_S9_S9_EEEEPSB_SM_NS0_5tupleIJNSE_INS8_ISJ_NS7_16discard_iteratorINS7_11use_defaultEEES9_S9_S9_S9_S9_S9_S9_S9_EEEESB_EEENSN_IJSM_SM_EEESB_PlJNSF_9not_fun_tINSF_14equal_to_valueISA_EEEEEEE10hipError_tPvRmT3_T4_T5_T6_T7_T9_mT8_P12ihipStream_tbDpT10_ENKUlT_T0_E_clISt17integral_constantIbLb0EES1J_EEDaS1E_S1F_EUlS1E_E_NS1_11comp_targetILNS1_3genE0ELNS1_11target_archE4294967295ELNS1_3gpuE0ELNS1_3repE0EEENS1_30default_config_static_selectorELNS0_4arch9wavefront6targetE0EEEvT1_.num_vgpr, 0
	.set _ZN7rocprim17ROCPRIM_400000_NS6detail17trampoline_kernelINS0_14default_configENS1_25partition_config_selectorILNS1_17partition_subalgoE6EN6thrust23THRUST_200600_302600_NS5tupleIjjNS7_9null_typeES9_S9_S9_S9_S9_S9_S9_EENS0_10empty_typeEbEEZZNS1_14partition_implILS5_6ELb0ES3_mNS7_12zip_iteratorINS8_INS7_6detail15normal_iteratorINS7_10device_ptrIjEEEESJ_S9_S9_S9_S9_S9_S9_S9_S9_EEEEPSB_SM_NS0_5tupleIJNSE_INS8_ISJ_NS7_16discard_iteratorINS7_11use_defaultEEES9_S9_S9_S9_S9_S9_S9_S9_EEEESB_EEENSN_IJSM_SM_EEESB_PlJNSF_9not_fun_tINSF_14equal_to_valueISA_EEEEEEE10hipError_tPvRmT3_T4_T5_T6_T7_T9_mT8_P12ihipStream_tbDpT10_ENKUlT_T0_E_clISt17integral_constantIbLb0EES1J_EEDaS1E_S1F_EUlS1E_E_NS1_11comp_targetILNS1_3genE0ELNS1_11target_archE4294967295ELNS1_3gpuE0ELNS1_3repE0EEENS1_30default_config_static_selectorELNS0_4arch9wavefront6targetE0EEEvT1_.num_agpr, 0
	.set _ZN7rocprim17ROCPRIM_400000_NS6detail17trampoline_kernelINS0_14default_configENS1_25partition_config_selectorILNS1_17partition_subalgoE6EN6thrust23THRUST_200600_302600_NS5tupleIjjNS7_9null_typeES9_S9_S9_S9_S9_S9_S9_EENS0_10empty_typeEbEEZZNS1_14partition_implILS5_6ELb0ES3_mNS7_12zip_iteratorINS8_INS7_6detail15normal_iteratorINS7_10device_ptrIjEEEESJ_S9_S9_S9_S9_S9_S9_S9_S9_EEEEPSB_SM_NS0_5tupleIJNSE_INS8_ISJ_NS7_16discard_iteratorINS7_11use_defaultEEES9_S9_S9_S9_S9_S9_S9_S9_EEEESB_EEENSN_IJSM_SM_EEESB_PlJNSF_9not_fun_tINSF_14equal_to_valueISA_EEEEEEE10hipError_tPvRmT3_T4_T5_T6_T7_T9_mT8_P12ihipStream_tbDpT10_ENKUlT_T0_E_clISt17integral_constantIbLb0EES1J_EEDaS1E_S1F_EUlS1E_E_NS1_11comp_targetILNS1_3genE0ELNS1_11target_archE4294967295ELNS1_3gpuE0ELNS1_3repE0EEENS1_30default_config_static_selectorELNS0_4arch9wavefront6targetE0EEEvT1_.numbered_sgpr, 0
	.set _ZN7rocprim17ROCPRIM_400000_NS6detail17trampoline_kernelINS0_14default_configENS1_25partition_config_selectorILNS1_17partition_subalgoE6EN6thrust23THRUST_200600_302600_NS5tupleIjjNS7_9null_typeES9_S9_S9_S9_S9_S9_S9_EENS0_10empty_typeEbEEZZNS1_14partition_implILS5_6ELb0ES3_mNS7_12zip_iteratorINS8_INS7_6detail15normal_iteratorINS7_10device_ptrIjEEEESJ_S9_S9_S9_S9_S9_S9_S9_S9_EEEEPSB_SM_NS0_5tupleIJNSE_INS8_ISJ_NS7_16discard_iteratorINS7_11use_defaultEEES9_S9_S9_S9_S9_S9_S9_S9_EEEESB_EEENSN_IJSM_SM_EEESB_PlJNSF_9not_fun_tINSF_14equal_to_valueISA_EEEEEEE10hipError_tPvRmT3_T4_T5_T6_T7_T9_mT8_P12ihipStream_tbDpT10_ENKUlT_T0_E_clISt17integral_constantIbLb0EES1J_EEDaS1E_S1F_EUlS1E_E_NS1_11comp_targetILNS1_3genE0ELNS1_11target_archE4294967295ELNS1_3gpuE0ELNS1_3repE0EEENS1_30default_config_static_selectorELNS0_4arch9wavefront6targetE0EEEvT1_.num_named_barrier, 0
	.set _ZN7rocprim17ROCPRIM_400000_NS6detail17trampoline_kernelINS0_14default_configENS1_25partition_config_selectorILNS1_17partition_subalgoE6EN6thrust23THRUST_200600_302600_NS5tupleIjjNS7_9null_typeES9_S9_S9_S9_S9_S9_S9_EENS0_10empty_typeEbEEZZNS1_14partition_implILS5_6ELb0ES3_mNS7_12zip_iteratorINS8_INS7_6detail15normal_iteratorINS7_10device_ptrIjEEEESJ_S9_S9_S9_S9_S9_S9_S9_S9_EEEEPSB_SM_NS0_5tupleIJNSE_INS8_ISJ_NS7_16discard_iteratorINS7_11use_defaultEEES9_S9_S9_S9_S9_S9_S9_S9_EEEESB_EEENSN_IJSM_SM_EEESB_PlJNSF_9not_fun_tINSF_14equal_to_valueISA_EEEEEEE10hipError_tPvRmT3_T4_T5_T6_T7_T9_mT8_P12ihipStream_tbDpT10_ENKUlT_T0_E_clISt17integral_constantIbLb0EES1J_EEDaS1E_S1F_EUlS1E_E_NS1_11comp_targetILNS1_3genE0ELNS1_11target_archE4294967295ELNS1_3gpuE0ELNS1_3repE0EEENS1_30default_config_static_selectorELNS0_4arch9wavefront6targetE0EEEvT1_.private_seg_size, 0
	.set _ZN7rocprim17ROCPRIM_400000_NS6detail17trampoline_kernelINS0_14default_configENS1_25partition_config_selectorILNS1_17partition_subalgoE6EN6thrust23THRUST_200600_302600_NS5tupleIjjNS7_9null_typeES9_S9_S9_S9_S9_S9_S9_EENS0_10empty_typeEbEEZZNS1_14partition_implILS5_6ELb0ES3_mNS7_12zip_iteratorINS8_INS7_6detail15normal_iteratorINS7_10device_ptrIjEEEESJ_S9_S9_S9_S9_S9_S9_S9_S9_EEEEPSB_SM_NS0_5tupleIJNSE_INS8_ISJ_NS7_16discard_iteratorINS7_11use_defaultEEES9_S9_S9_S9_S9_S9_S9_S9_EEEESB_EEENSN_IJSM_SM_EEESB_PlJNSF_9not_fun_tINSF_14equal_to_valueISA_EEEEEEE10hipError_tPvRmT3_T4_T5_T6_T7_T9_mT8_P12ihipStream_tbDpT10_ENKUlT_T0_E_clISt17integral_constantIbLb0EES1J_EEDaS1E_S1F_EUlS1E_E_NS1_11comp_targetILNS1_3genE0ELNS1_11target_archE4294967295ELNS1_3gpuE0ELNS1_3repE0EEENS1_30default_config_static_selectorELNS0_4arch9wavefront6targetE0EEEvT1_.uses_vcc, 0
	.set _ZN7rocprim17ROCPRIM_400000_NS6detail17trampoline_kernelINS0_14default_configENS1_25partition_config_selectorILNS1_17partition_subalgoE6EN6thrust23THRUST_200600_302600_NS5tupleIjjNS7_9null_typeES9_S9_S9_S9_S9_S9_S9_EENS0_10empty_typeEbEEZZNS1_14partition_implILS5_6ELb0ES3_mNS7_12zip_iteratorINS8_INS7_6detail15normal_iteratorINS7_10device_ptrIjEEEESJ_S9_S9_S9_S9_S9_S9_S9_S9_EEEEPSB_SM_NS0_5tupleIJNSE_INS8_ISJ_NS7_16discard_iteratorINS7_11use_defaultEEES9_S9_S9_S9_S9_S9_S9_S9_EEEESB_EEENSN_IJSM_SM_EEESB_PlJNSF_9not_fun_tINSF_14equal_to_valueISA_EEEEEEE10hipError_tPvRmT3_T4_T5_T6_T7_T9_mT8_P12ihipStream_tbDpT10_ENKUlT_T0_E_clISt17integral_constantIbLb0EES1J_EEDaS1E_S1F_EUlS1E_E_NS1_11comp_targetILNS1_3genE0ELNS1_11target_archE4294967295ELNS1_3gpuE0ELNS1_3repE0EEENS1_30default_config_static_selectorELNS0_4arch9wavefront6targetE0EEEvT1_.uses_flat_scratch, 0
	.set _ZN7rocprim17ROCPRIM_400000_NS6detail17trampoline_kernelINS0_14default_configENS1_25partition_config_selectorILNS1_17partition_subalgoE6EN6thrust23THRUST_200600_302600_NS5tupleIjjNS7_9null_typeES9_S9_S9_S9_S9_S9_S9_EENS0_10empty_typeEbEEZZNS1_14partition_implILS5_6ELb0ES3_mNS7_12zip_iteratorINS8_INS7_6detail15normal_iteratorINS7_10device_ptrIjEEEESJ_S9_S9_S9_S9_S9_S9_S9_S9_EEEEPSB_SM_NS0_5tupleIJNSE_INS8_ISJ_NS7_16discard_iteratorINS7_11use_defaultEEES9_S9_S9_S9_S9_S9_S9_S9_EEEESB_EEENSN_IJSM_SM_EEESB_PlJNSF_9not_fun_tINSF_14equal_to_valueISA_EEEEEEE10hipError_tPvRmT3_T4_T5_T6_T7_T9_mT8_P12ihipStream_tbDpT10_ENKUlT_T0_E_clISt17integral_constantIbLb0EES1J_EEDaS1E_S1F_EUlS1E_E_NS1_11comp_targetILNS1_3genE0ELNS1_11target_archE4294967295ELNS1_3gpuE0ELNS1_3repE0EEENS1_30default_config_static_selectorELNS0_4arch9wavefront6targetE0EEEvT1_.has_dyn_sized_stack, 0
	.set _ZN7rocprim17ROCPRIM_400000_NS6detail17trampoline_kernelINS0_14default_configENS1_25partition_config_selectorILNS1_17partition_subalgoE6EN6thrust23THRUST_200600_302600_NS5tupleIjjNS7_9null_typeES9_S9_S9_S9_S9_S9_S9_EENS0_10empty_typeEbEEZZNS1_14partition_implILS5_6ELb0ES3_mNS7_12zip_iteratorINS8_INS7_6detail15normal_iteratorINS7_10device_ptrIjEEEESJ_S9_S9_S9_S9_S9_S9_S9_S9_EEEEPSB_SM_NS0_5tupleIJNSE_INS8_ISJ_NS7_16discard_iteratorINS7_11use_defaultEEES9_S9_S9_S9_S9_S9_S9_S9_EEEESB_EEENSN_IJSM_SM_EEESB_PlJNSF_9not_fun_tINSF_14equal_to_valueISA_EEEEEEE10hipError_tPvRmT3_T4_T5_T6_T7_T9_mT8_P12ihipStream_tbDpT10_ENKUlT_T0_E_clISt17integral_constantIbLb0EES1J_EEDaS1E_S1F_EUlS1E_E_NS1_11comp_targetILNS1_3genE0ELNS1_11target_archE4294967295ELNS1_3gpuE0ELNS1_3repE0EEENS1_30default_config_static_selectorELNS0_4arch9wavefront6targetE0EEEvT1_.has_recursion, 0
	.set _ZN7rocprim17ROCPRIM_400000_NS6detail17trampoline_kernelINS0_14default_configENS1_25partition_config_selectorILNS1_17partition_subalgoE6EN6thrust23THRUST_200600_302600_NS5tupleIjjNS7_9null_typeES9_S9_S9_S9_S9_S9_S9_EENS0_10empty_typeEbEEZZNS1_14partition_implILS5_6ELb0ES3_mNS7_12zip_iteratorINS8_INS7_6detail15normal_iteratorINS7_10device_ptrIjEEEESJ_S9_S9_S9_S9_S9_S9_S9_S9_EEEEPSB_SM_NS0_5tupleIJNSE_INS8_ISJ_NS7_16discard_iteratorINS7_11use_defaultEEES9_S9_S9_S9_S9_S9_S9_S9_EEEESB_EEENSN_IJSM_SM_EEESB_PlJNSF_9not_fun_tINSF_14equal_to_valueISA_EEEEEEE10hipError_tPvRmT3_T4_T5_T6_T7_T9_mT8_P12ihipStream_tbDpT10_ENKUlT_T0_E_clISt17integral_constantIbLb0EES1J_EEDaS1E_S1F_EUlS1E_E_NS1_11comp_targetILNS1_3genE0ELNS1_11target_archE4294967295ELNS1_3gpuE0ELNS1_3repE0EEENS1_30default_config_static_selectorELNS0_4arch9wavefront6targetE0EEEvT1_.has_indirect_call, 0
	.section	.AMDGPU.csdata,"",@progbits
; Kernel info:
; codeLenInByte = 0
; TotalNumSgprs: 0
; NumVgprs: 0
; ScratchSize: 0
; MemoryBound: 0
; FloatMode: 240
; IeeeMode: 1
; LDSByteSize: 0 bytes/workgroup (compile time only)
; SGPRBlocks: 0
; VGPRBlocks: 0
; NumSGPRsForWavesPerEU: 1
; NumVGPRsForWavesPerEU: 1
; Occupancy: 16
; WaveLimiterHint : 0
; COMPUTE_PGM_RSRC2:SCRATCH_EN: 0
; COMPUTE_PGM_RSRC2:USER_SGPR: 2
; COMPUTE_PGM_RSRC2:TRAP_HANDLER: 0
; COMPUTE_PGM_RSRC2:TGID_X_EN: 1
; COMPUTE_PGM_RSRC2:TGID_Y_EN: 0
; COMPUTE_PGM_RSRC2:TGID_Z_EN: 0
; COMPUTE_PGM_RSRC2:TIDIG_COMP_CNT: 0
	.section	.text._ZN7rocprim17ROCPRIM_400000_NS6detail17trampoline_kernelINS0_14default_configENS1_25partition_config_selectorILNS1_17partition_subalgoE6EN6thrust23THRUST_200600_302600_NS5tupleIjjNS7_9null_typeES9_S9_S9_S9_S9_S9_S9_EENS0_10empty_typeEbEEZZNS1_14partition_implILS5_6ELb0ES3_mNS7_12zip_iteratorINS8_INS7_6detail15normal_iteratorINS7_10device_ptrIjEEEESJ_S9_S9_S9_S9_S9_S9_S9_S9_EEEEPSB_SM_NS0_5tupleIJNSE_INS8_ISJ_NS7_16discard_iteratorINS7_11use_defaultEEES9_S9_S9_S9_S9_S9_S9_S9_EEEESB_EEENSN_IJSM_SM_EEESB_PlJNSF_9not_fun_tINSF_14equal_to_valueISA_EEEEEEE10hipError_tPvRmT3_T4_T5_T6_T7_T9_mT8_P12ihipStream_tbDpT10_ENKUlT_T0_E_clISt17integral_constantIbLb0EES1J_EEDaS1E_S1F_EUlS1E_E_NS1_11comp_targetILNS1_3genE5ELNS1_11target_archE942ELNS1_3gpuE9ELNS1_3repE0EEENS1_30default_config_static_selectorELNS0_4arch9wavefront6targetE0EEEvT1_,"axG",@progbits,_ZN7rocprim17ROCPRIM_400000_NS6detail17trampoline_kernelINS0_14default_configENS1_25partition_config_selectorILNS1_17partition_subalgoE6EN6thrust23THRUST_200600_302600_NS5tupleIjjNS7_9null_typeES9_S9_S9_S9_S9_S9_S9_EENS0_10empty_typeEbEEZZNS1_14partition_implILS5_6ELb0ES3_mNS7_12zip_iteratorINS8_INS7_6detail15normal_iteratorINS7_10device_ptrIjEEEESJ_S9_S9_S9_S9_S9_S9_S9_S9_EEEEPSB_SM_NS0_5tupleIJNSE_INS8_ISJ_NS7_16discard_iteratorINS7_11use_defaultEEES9_S9_S9_S9_S9_S9_S9_S9_EEEESB_EEENSN_IJSM_SM_EEESB_PlJNSF_9not_fun_tINSF_14equal_to_valueISA_EEEEEEE10hipError_tPvRmT3_T4_T5_T6_T7_T9_mT8_P12ihipStream_tbDpT10_ENKUlT_T0_E_clISt17integral_constantIbLb0EES1J_EEDaS1E_S1F_EUlS1E_E_NS1_11comp_targetILNS1_3genE5ELNS1_11target_archE942ELNS1_3gpuE9ELNS1_3repE0EEENS1_30default_config_static_selectorELNS0_4arch9wavefront6targetE0EEEvT1_,comdat
	.protected	_ZN7rocprim17ROCPRIM_400000_NS6detail17trampoline_kernelINS0_14default_configENS1_25partition_config_selectorILNS1_17partition_subalgoE6EN6thrust23THRUST_200600_302600_NS5tupleIjjNS7_9null_typeES9_S9_S9_S9_S9_S9_S9_EENS0_10empty_typeEbEEZZNS1_14partition_implILS5_6ELb0ES3_mNS7_12zip_iteratorINS8_INS7_6detail15normal_iteratorINS7_10device_ptrIjEEEESJ_S9_S9_S9_S9_S9_S9_S9_S9_EEEEPSB_SM_NS0_5tupleIJNSE_INS8_ISJ_NS7_16discard_iteratorINS7_11use_defaultEEES9_S9_S9_S9_S9_S9_S9_S9_EEEESB_EEENSN_IJSM_SM_EEESB_PlJNSF_9not_fun_tINSF_14equal_to_valueISA_EEEEEEE10hipError_tPvRmT3_T4_T5_T6_T7_T9_mT8_P12ihipStream_tbDpT10_ENKUlT_T0_E_clISt17integral_constantIbLb0EES1J_EEDaS1E_S1F_EUlS1E_E_NS1_11comp_targetILNS1_3genE5ELNS1_11target_archE942ELNS1_3gpuE9ELNS1_3repE0EEENS1_30default_config_static_selectorELNS0_4arch9wavefront6targetE0EEEvT1_ ; -- Begin function _ZN7rocprim17ROCPRIM_400000_NS6detail17trampoline_kernelINS0_14default_configENS1_25partition_config_selectorILNS1_17partition_subalgoE6EN6thrust23THRUST_200600_302600_NS5tupleIjjNS7_9null_typeES9_S9_S9_S9_S9_S9_S9_EENS0_10empty_typeEbEEZZNS1_14partition_implILS5_6ELb0ES3_mNS7_12zip_iteratorINS8_INS7_6detail15normal_iteratorINS7_10device_ptrIjEEEESJ_S9_S9_S9_S9_S9_S9_S9_S9_EEEEPSB_SM_NS0_5tupleIJNSE_INS8_ISJ_NS7_16discard_iteratorINS7_11use_defaultEEES9_S9_S9_S9_S9_S9_S9_S9_EEEESB_EEENSN_IJSM_SM_EEESB_PlJNSF_9not_fun_tINSF_14equal_to_valueISA_EEEEEEE10hipError_tPvRmT3_T4_T5_T6_T7_T9_mT8_P12ihipStream_tbDpT10_ENKUlT_T0_E_clISt17integral_constantIbLb0EES1J_EEDaS1E_S1F_EUlS1E_E_NS1_11comp_targetILNS1_3genE5ELNS1_11target_archE942ELNS1_3gpuE9ELNS1_3repE0EEENS1_30default_config_static_selectorELNS0_4arch9wavefront6targetE0EEEvT1_
	.globl	_ZN7rocprim17ROCPRIM_400000_NS6detail17trampoline_kernelINS0_14default_configENS1_25partition_config_selectorILNS1_17partition_subalgoE6EN6thrust23THRUST_200600_302600_NS5tupleIjjNS7_9null_typeES9_S9_S9_S9_S9_S9_S9_EENS0_10empty_typeEbEEZZNS1_14partition_implILS5_6ELb0ES3_mNS7_12zip_iteratorINS8_INS7_6detail15normal_iteratorINS7_10device_ptrIjEEEESJ_S9_S9_S9_S9_S9_S9_S9_S9_EEEEPSB_SM_NS0_5tupleIJNSE_INS8_ISJ_NS7_16discard_iteratorINS7_11use_defaultEEES9_S9_S9_S9_S9_S9_S9_S9_EEEESB_EEENSN_IJSM_SM_EEESB_PlJNSF_9not_fun_tINSF_14equal_to_valueISA_EEEEEEE10hipError_tPvRmT3_T4_T5_T6_T7_T9_mT8_P12ihipStream_tbDpT10_ENKUlT_T0_E_clISt17integral_constantIbLb0EES1J_EEDaS1E_S1F_EUlS1E_E_NS1_11comp_targetILNS1_3genE5ELNS1_11target_archE942ELNS1_3gpuE9ELNS1_3repE0EEENS1_30default_config_static_selectorELNS0_4arch9wavefront6targetE0EEEvT1_
	.p2align	8
	.type	_ZN7rocprim17ROCPRIM_400000_NS6detail17trampoline_kernelINS0_14default_configENS1_25partition_config_selectorILNS1_17partition_subalgoE6EN6thrust23THRUST_200600_302600_NS5tupleIjjNS7_9null_typeES9_S9_S9_S9_S9_S9_S9_EENS0_10empty_typeEbEEZZNS1_14partition_implILS5_6ELb0ES3_mNS7_12zip_iteratorINS8_INS7_6detail15normal_iteratorINS7_10device_ptrIjEEEESJ_S9_S9_S9_S9_S9_S9_S9_S9_EEEEPSB_SM_NS0_5tupleIJNSE_INS8_ISJ_NS7_16discard_iteratorINS7_11use_defaultEEES9_S9_S9_S9_S9_S9_S9_S9_EEEESB_EEENSN_IJSM_SM_EEESB_PlJNSF_9not_fun_tINSF_14equal_to_valueISA_EEEEEEE10hipError_tPvRmT3_T4_T5_T6_T7_T9_mT8_P12ihipStream_tbDpT10_ENKUlT_T0_E_clISt17integral_constantIbLb0EES1J_EEDaS1E_S1F_EUlS1E_E_NS1_11comp_targetILNS1_3genE5ELNS1_11target_archE942ELNS1_3gpuE9ELNS1_3repE0EEENS1_30default_config_static_selectorELNS0_4arch9wavefront6targetE0EEEvT1_,@function
_ZN7rocprim17ROCPRIM_400000_NS6detail17trampoline_kernelINS0_14default_configENS1_25partition_config_selectorILNS1_17partition_subalgoE6EN6thrust23THRUST_200600_302600_NS5tupleIjjNS7_9null_typeES9_S9_S9_S9_S9_S9_S9_EENS0_10empty_typeEbEEZZNS1_14partition_implILS5_6ELb0ES3_mNS7_12zip_iteratorINS8_INS7_6detail15normal_iteratorINS7_10device_ptrIjEEEESJ_S9_S9_S9_S9_S9_S9_S9_S9_EEEEPSB_SM_NS0_5tupleIJNSE_INS8_ISJ_NS7_16discard_iteratorINS7_11use_defaultEEES9_S9_S9_S9_S9_S9_S9_S9_EEEESB_EEENSN_IJSM_SM_EEESB_PlJNSF_9not_fun_tINSF_14equal_to_valueISA_EEEEEEE10hipError_tPvRmT3_T4_T5_T6_T7_T9_mT8_P12ihipStream_tbDpT10_ENKUlT_T0_E_clISt17integral_constantIbLb0EES1J_EEDaS1E_S1F_EUlS1E_E_NS1_11comp_targetILNS1_3genE5ELNS1_11target_archE942ELNS1_3gpuE9ELNS1_3repE0EEENS1_30default_config_static_selectorELNS0_4arch9wavefront6targetE0EEEvT1_: ; @_ZN7rocprim17ROCPRIM_400000_NS6detail17trampoline_kernelINS0_14default_configENS1_25partition_config_selectorILNS1_17partition_subalgoE6EN6thrust23THRUST_200600_302600_NS5tupleIjjNS7_9null_typeES9_S9_S9_S9_S9_S9_S9_EENS0_10empty_typeEbEEZZNS1_14partition_implILS5_6ELb0ES3_mNS7_12zip_iteratorINS8_INS7_6detail15normal_iteratorINS7_10device_ptrIjEEEESJ_S9_S9_S9_S9_S9_S9_S9_S9_EEEEPSB_SM_NS0_5tupleIJNSE_INS8_ISJ_NS7_16discard_iteratorINS7_11use_defaultEEES9_S9_S9_S9_S9_S9_S9_S9_EEEESB_EEENSN_IJSM_SM_EEESB_PlJNSF_9not_fun_tINSF_14equal_to_valueISA_EEEEEEE10hipError_tPvRmT3_T4_T5_T6_T7_T9_mT8_P12ihipStream_tbDpT10_ENKUlT_T0_E_clISt17integral_constantIbLb0EES1J_EEDaS1E_S1F_EUlS1E_E_NS1_11comp_targetILNS1_3genE5ELNS1_11target_archE942ELNS1_3gpuE9ELNS1_3repE0EEENS1_30default_config_static_selectorELNS0_4arch9wavefront6targetE0EEEvT1_
; %bb.0:
	.section	.rodata,"a",@progbits
	.p2align	6, 0x0
	.amdhsa_kernel _ZN7rocprim17ROCPRIM_400000_NS6detail17trampoline_kernelINS0_14default_configENS1_25partition_config_selectorILNS1_17partition_subalgoE6EN6thrust23THRUST_200600_302600_NS5tupleIjjNS7_9null_typeES9_S9_S9_S9_S9_S9_S9_EENS0_10empty_typeEbEEZZNS1_14partition_implILS5_6ELb0ES3_mNS7_12zip_iteratorINS8_INS7_6detail15normal_iteratorINS7_10device_ptrIjEEEESJ_S9_S9_S9_S9_S9_S9_S9_S9_EEEEPSB_SM_NS0_5tupleIJNSE_INS8_ISJ_NS7_16discard_iteratorINS7_11use_defaultEEES9_S9_S9_S9_S9_S9_S9_S9_EEEESB_EEENSN_IJSM_SM_EEESB_PlJNSF_9not_fun_tINSF_14equal_to_valueISA_EEEEEEE10hipError_tPvRmT3_T4_T5_T6_T7_T9_mT8_P12ihipStream_tbDpT10_ENKUlT_T0_E_clISt17integral_constantIbLb0EES1J_EEDaS1E_S1F_EUlS1E_E_NS1_11comp_targetILNS1_3genE5ELNS1_11target_archE942ELNS1_3gpuE9ELNS1_3repE0EEENS1_30default_config_static_selectorELNS0_4arch9wavefront6targetE0EEEvT1_
		.amdhsa_group_segment_fixed_size 0
		.amdhsa_private_segment_fixed_size 0
		.amdhsa_kernarg_size 144
		.amdhsa_user_sgpr_count 2
		.amdhsa_user_sgpr_dispatch_ptr 0
		.amdhsa_user_sgpr_queue_ptr 0
		.amdhsa_user_sgpr_kernarg_segment_ptr 1
		.amdhsa_user_sgpr_dispatch_id 0
		.amdhsa_user_sgpr_private_segment_size 0
		.amdhsa_wavefront_size32 1
		.amdhsa_uses_dynamic_stack 0
		.amdhsa_enable_private_segment 0
		.amdhsa_system_sgpr_workgroup_id_x 1
		.amdhsa_system_sgpr_workgroup_id_y 0
		.amdhsa_system_sgpr_workgroup_id_z 0
		.amdhsa_system_sgpr_workgroup_info 0
		.amdhsa_system_vgpr_workitem_id 0
		.amdhsa_next_free_vgpr 1
		.amdhsa_next_free_sgpr 1
		.amdhsa_reserve_vcc 0
		.amdhsa_float_round_mode_32 0
		.amdhsa_float_round_mode_16_64 0
		.amdhsa_float_denorm_mode_32 3
		.amdhsa_float_denorm_mode_16_64 3
		.amdhsa_fp16_overflow 0
		.amdhsa_workgroup_processor_mode 1
		.amdhsa_memory_ordered 1
		.amdhsa_forward_progress 1
		.amdhsa_inst_pref_size 0
		.amdhsa_round_robin_scheduling 0
		.amdhsa_exception_fp_ieee_invalid_op 0
		.amdhsa_exception_fp_denorm_src 0
		.amdhsa_exception_fp_ieee_div_zero 0
		.amdhsa_exception_fp_ieee_overflow 0
		.amdhsa_exception_fp_ieee_underflow 0
		.amdhsa_exception_fp_ieee_inexact 0
		.amdhsa_exception_int_div_zero 0
	.end_amdhsa_kernel
	.section	.text._ZN7rocprim17ROCPRIM_400000_NS6detail17trampoline_kernelINS0_14default_configENS1_25partition_config_selectorILNS1_17partition_subalgoE6EN6thrust23THRUST_200600_302600_NS5tupleIjjNS7_9null_typeES9_S9_S9_S9_S9_S9_S9_EENS0_10empty_typeEbEEZZNS1_14partition_implILS5_6ELb0ES3_mNS7_12zip_iteratorINS8_INS7_6detail15normal_iteratorINS7_10device_ptrIjEEEESJ_S9_S9_S9_S9_S9_S9_S9_S9_EEEEPSB_SM_NS0_5tupleIJNSE_INS8_ISJ_NS7_16discard_iteratorINS7_11use_defaultEEES9_S9_S9_S9_S9_S9_S9_S9_EEEESB_EEENSN_IJSM_SM_EEESB_PlJNSF_9not_fun_tINSF_14equal_to_valueISA_EEEEEEE10hipError_tPvRmT3_T4_T5_T6_T7_T9_mT8_P12ihipStream_tbDpT10_ENKUlT_T0_E_clISt17integral_constantIbLb0EES1J_EEDaS1E_S1F_EUlS1E_E_NS1_11comp_targetILNS1_3genE5ELNS1_11target_archE942ELNS1_3gpuE9ELNS1_3repE0EEENS1_30default_config_static_selectorELNS0_4arch9wavefront6targetE0EEEvT1_,"axG",@progbits,_ZN7rocprim17ROCPRIM_400000_NS6detail17trampoline_kernelINS0_14default_configENS1_25partition_config_selectorILNS1_17partition_subalgoE6EN6thrust23THRUST_200600_302600_NS5tupleIjjNS7_9null_typeES9_S9_S9_S9_S9_S9_S9_EENS0_10empty_typeEbEEZZNS1_14partition_implILS5_6ELb0ES3_mNS7_12zip_iteratorINS8_INS7_6detail15normal_iteratorINS7_10device_ptrIjEEEESJ_S9_S9_S9_S9_S9_S9_S9_S9_EEEEPSB_SM_NS0_5tupleIJNSE_INS8_ISJ_NS7_16discard_iteratorINS7_11use_defaultEEES9_S9_S9_S9_S9_S9_S9_S9_EEEESB_EEENSN_IJSM_SM_EEESB_PlJNSF_9not_fun_tINSF_14equal_to_valueISA_EEEEEEE10hipError_tPvRmT3_T4_T5_T6_T7_T9_mT8_P12ihipStream_tbDpT10_ENKUlT_T0_E_clISt17integral_constantIbLb0EES1J_EEDaS1E_S1F_EUlS1E_E_NS1_11comp_targetILNS1_3genE5ELNS1_11target_archE942ELNS1_3gpuE9ELNS1_3repE0EEENS1_30default_config_static_selectorELNS0_4arch9wavefront6targetE0EEEvT1_,comdat
.Lfunc_end1918:
	.size	_ZN7rocprim17ROCPRIM_400000_NS6detail17trampoline_kernelINS0_14default_configENS1_25partition_config_selectorILNS1_17partition_subalgoE6EN6thrust23THRUST_200600_302600_NS5tupleIjjNS7_9null_typeES9_S9_S9_S9_S9_S9_S9_EENS0_10empty_typeEbEEZZNS1_14partition_implILS5_6ELb0ES3_mNS7_12zip_iteratorINS8_INS7_6detail15normal_iteratorINS7_10device_ptrIjEEEESJ_S9_S9_S9_S9_S9_S9_S9_S9_EEEEPSB_SM_NS0_5tupleIJNSE_INS8_ISJ_NS7_16discard_iteratorINS7_11use_defaultEEES9_S9_S9_S9_S9_S9_S9_S9_EEEESB_EEENSN_IJSM_SM_EEESB_PlJNSF_9not_fun_tINSF_14equal_to_valueISA_EEEEEEE10hipError_tPvRmT3_T4_T5_T6_T7_T9_mT8_P12ihipStream_tbDpT10_ENKUlT_T0_E_clISt17integral_constantIbLb0EES1J_EEDaS1E_S1F_EUlS1E_E_NS1_11comp_targetILNS1_3genE5ELNS1_11target_archE942ELNS1_3gpuE9ELNS1_3repE0EEENS1_30default_config_static_selectorELNS0_4arch9wavefront6targetE0EEEvT1_, .Lfunc_end1918-_ZN7rocprim17ROCPRIM_400000_NS6detail17trampoline_kernelINS0_14default_configENS1_25partition_config_selectorILNS1_17partition_subalgoE6EN6thrust23THRUST_200600_302600_NS5tupleIjjNS7_9null_typeES9_S9_S9_S9_S9_S9_S9_EENS0_10empty_typeEbEEZZNS1_14partition_implILS5_6ELb0ES3_mNS7_12zip_iteratorINS8_INS7_6detail15normal_iteratorINS7_10device_ptrIjEEEESJ_S9_S9_S9_S9_S9_S9_S9_S9_EEEEPSB_SM_NS0_5tupleIJNSE_INS8_ISJ_NS7_16discard_iteratorINS7_11use_defaultEEES9_S9_S9_S9_S9_S9_S9_S9_EEEESB_EEENSN_IJSM_SM_EEESB_PlJNSF_9not_fun_tINSF_14equal_to_valueISA_EEEEEEE10hipError_tPvRmT3_T4_T5_T6_T7_T9_mT8_P12ihipStream_tbDpT10_ENKUlT_T0_E_clISt17integral_constantIbLb0EES1J_EEDaS1E_S1F_EUlS1E_E_NS1_11comp_targetILNS1_3genE5ELNS1_11target_archE942ELNS1_3gpuE9ELNS1_3repE0EEENS1_30default_config_static_selectorELNS0_4arch9wavefront6targetE0EEEvT1_
                                        ; -- End function
	.set _ZN7rocprim17ROCPRIM_400000_NS6detail17trampoline_kernelINS0_14default_configENS1_25partition_config_selectorILNS1_17partition_subalgoE6EN6thrust23THRUST_200600_302600_NS5tupleIjjNS7_9null_typeES9_S9_S9_S9_S9_S9_S9_EENS0_10empty_typeEbEEZZNS1_14partition_implILS5_6ELb0ES3_mNS7_12zip_iteratorINS8_INS7_6detail15normal_iteratorINS7_10device_ptrIjEEEESJ_S9_S9_S9_S9_S9_S9_S9_S9_EEEEPSB_SM_NS0_5tupleIJNSE_INS8_ISJ_NS7_16discard_iteratorINS7_11use_defaultEEES9_S9_S9_S9_S9_S9_S9_S9_EEEESB_EEENSN_IJSM_SM_EEESB_PlJNSF_9not_fun_tINSF_14equal_to_valueISA_EEEEEEE10hipError_tPvRmT3_T4_T5_T6_T7_T9_mT8_P12ihipStream_tbDpT10_ENKUlT_T0_E_clISt17integral_constantIbLb0EES1J_EEDaS1E_S1F_EUlS1E_E_NS1_11comp_targetILNS1_3genE5ELNS1_11target_archE942ELNS1_3gpuE9ELNS1_3repE0EEENS1_30default_config_static_selectorELNS0_4arch9wavefront6targetE0EEEvT1_.num_vgpr, 0
	.set _ZN7rocprim17ROCPRIM_400000_NS6detail17trampoline_kernelINS0_14default_configENS1_25partition_config_selectorILNS1_17partition_subalgoE6EN6thrust23THRUST_200600_302600_NS5tupleIjjNS7_9null_typeES9_S9_S9_S9_S9_S9_S9_EENS0_10empty_typeEbEEZZNS1_14partition_implILS5_6ELb0ES3_mNS7_12zip_iteratorINS8_INS7_6detail15normal_iteratorINS7_10device_ptrIjEEEESJ_S9_S9_S9_S9_S9_S9_S9_S9_EEEEPSB_SM_NS0_5tupleIJNSE_INS8_ISJ_NS7_16discard_iteratorINS7_11use_defaultEEES9_S9_S9_S9_S9_S9_S9_S9_EEEESB_EEENSN_IJSM_SM_EEESB_PlJNSF_9not_fun_tINSF_14equal_to_valueISA_EEEEEEE10hipError_tPvRmT3_T4_T5_T6_T7_T9_mT8_P12ihipStream_tbDpT10_ENKUlT_T0_E_clISt17integral_constantIbLb0EES1J_EEDaS1E_S1F_EUlS1E_E_NS1_11comp_targetILNS1_3genE5ELNS1_11target_archE942ELNS1_3gpuE9ELNS1_3repE0EEENS1_30default_config_static_selectorELNS0_4arch9wavefront6targetE0EEEvT1_.num_agpr, 0
	.set _ZN7rocprim17ROCPRIM_400000_NS6detail17trampoline_kernelINS0_14default_configENS1_25partition_config_selectorILNS1_17partition_subalgoE6EN6thrust23THRUST_200600_302600_NS5tupleIjjNS7_9null_typeES9_S9_S9_S9_S9_S9_S9_EENS0_10empty_typeEbEEZZNS1_14partition_implILS5_6ELb0ES3_mNS7_12zip_iteratorINS8_INS7_6detail15normal_iteratorINS7_10device_ptrIjEEEESJ_S9_S9_S9_S9_S9_S9_S9_S9_EEEEPSB_SM_NS0_5tupleIJNSE_INS8_ISJ_NS7_16discard_iteratorINS7_11use_defaultEEES9_S9_S9_S9_S9_S9_S9_S9_EEEESB_EEENSN_IJSM_SM_EEESB_PlJNSF_9not_fun_tINSF_14equal_to_valueISA_EEEEEEE10hipError_tPvRmT3_T4_T5_T6_T7_T9_mT8_P12ihipStream_tbDpT10_ENKUlT_T0_E_clISt17integral_constantIbLb0EES1J_EEDaS1E_S1F_EUlS1E_E_NS1_11comp_targetILNS1_3genE5ELNS1_11target_archE942ELNS1_3gpuE9ELNS1_3repE0EEENS1_30default_config_static_selectorELNS0_4arch9wavefront6targetE0EEEvT1_.numbered_sgpr, 0
	.set _ZN7rocprim17ROCPRIM_400000_NS6detail17trampoline_kernelINS0_14default_configENS1_25partition_config_selectorILNS1_17partition_subalgoE6EN6thrust23THRUST_200600_302600_NS5tupleIjjNS7_9null_typeES9_S9_S9_S9_S9_S9_S9_EENS0_10empty_typeEbEEZZNS1_14partition_implILS5_6ELb0ES3_mNS7_12zip_iteratorINS8_INS7_6detail15normal_iteratorINS7_10device_ptrIjEEEESJ_S9_S9_S9_S9_S9_S9_S9_S9_EEEEPSB_SM_NS0_5tupleIJNSE_INS8_ISJ_NS7_16discard_iteratorINS7_11use_defaultEEES9_S9_S9_S9_S9_S9_S9_S9_EEEESB_EEENSN_IJSM_SM_EEESB_PlJNSF_9not_fun_tINSF_14equal_to_valueISA_EEEEEEE10hipError_tPvRmT3_T4_T5_T6_T7_T9_mT8_P12ihipStream_tbDpT10_ENKUlT_T0_E_clISt17integral_constantIbLb0EES1J_EEDaS1E_S1F_EUlS1E_E_NS1_11comp_targetILNS1_3genE5ELNS1_11target_archE942ELNS1_3gpuE9ELNS1_3repE0EEENS1_30default_config_static_selectorELNS0_4arch9wavefront6targetE0EEEvT1_.num_named_barrier, 0
	.set _ZN7rocprim17ROCPRIM_400000_NS6detail17trampoline_kernelINS0_14default_configENS1_25partition_config_selectorILNS1_17partition_subalgoE6EN6thrust23THRUST_200600_302600_NS5tupleIjjNS7_9null_typeES9_S9_S9_S9_S9_S9_S9_EENS0_10empty_typeEbEEZZNS1_14partition_implILS5_6ELb0ES3_mNS7_12zip_iteratorINS8_INS7_6detail15normal_iteratorINS7_10device_ptrIjEEEESJ_S9_S9_S9_S9_S9_S9_S9_S9_EEEEPSB_SM_NS0_5tupleIJNSE_INS8_ISJ_NS7_16discard_iteratorINS7_11use_defaultEEES9_S9_S9_S9_S9_S9_S9_S9_EEEESB_EEENSN_IJSM_SM_EEESB_PlJNSF_9not_fun_tINSF_14equal_to_valueISA_EEEEEEE10hipError_tPvRmT3_T4_T5_T6_T7_T9_mT8_P12ihipStream_tbDpT10_ENKUlT_T0_E_clISt17integral_constantIbLb0EES1J_EEDaS1E_S1F_EUlS1E_E_NS1_11comp_targetILNS1_3genE5ELNS1_11target_archE942ELNS1_3gpuE9ELNS1_3repE0EEENS1_30default_config_static_selectorELNS0_4arch9wavefront6targetE0EEEvT1_.private_seg_size, 0
	.set _ZN7rocprim17ROCPRIM_400000_NS6detail17trampoline_kernelINS0_14default_configENS1_25partition_config_selectorILNS1_17partition_subalgoE6EN6thrust23THRUST_200600_302600_NS5tupleIjjNS7_9null_typeES9_S9_S9_S9_S9_S9_S9_EENS0_10empty_typeEbEEZZNS1_14partition_implILS5_6ELb0ES3_mNS7_12zip_iteratorINS8_INS7_6detail15normal_iteratorINS7_10device_ptrIjEEEESJ_S9_S9_S9_S9_S9_S9_S9_S9_EEEEPSB_SM_NS0_5tupleIJNSE_INS8_ISJ_NS7_16discard_iteratorINS7_11use_defaultEEES9_S9_S9_S9_S9_S9_S9_S9_EEEESB_EEENSN_IJSM_SM_EEESB_PlJNSF_9not_fun_tINSF_14equal_to_valueISA_EEEEEEE10hipError_tPvRmT3_T4_T5_T6_T7_T9_mT8_P12ihipStream_tbDpT10_ENKUlT_T0_E_clISt17integral_constantIbLb0EES1J_EEDaS1E_S1F_EUlS1E_E_NS1_11comp_targetILNS1_3genE5ELNS1_11target_archE942ELNS1_3gpuE9ELNS1_3repE0EEENS1_30default_config_static_selectorELNS0_4arch9wavefront6targetE0EEEvT1_.uses_vcc, 0
	.set _ZN7rocprim17ROCPRIM_400000_NS6detail17trampoline_kernelINS0_14default_configENS1_25partition_config_selectorILNS1_17partition_subalgoE6EN6thrust23THRUST_200600_302600_NS5tupleIjjNS7_9null_typeES9_S9_S9_S9_S9_S9_S9_EENS0_10empty_typeEbEEZZNS1_14partition_implILS5_6ELb0ES3_mNS7_12zip_iteratorINS8_INS7_6detail15normal_iteratorINS7_10device_ptrIjEEEESJ_S9_S9_S9_S9_S9_S9_S9_S9_EEEEPSB_SM_NS0_5tupleIJNSE_INS8_ISJ_NS7_16discard_iteratorINS7_11use_defaultEEES9_S9_S9_S9_S9_S9_S9_S9_EEEESB_EEENSN_IJSM_SM_EEESB_PlJNSF_9not_fun_tINSF_14equal_to_valueISA_EEEEEEE10hipError_tPvRmT3_T4_T5_T6_T7_T9_mT8_P12ihipStream_tbDpT10_ENKUlT_T0_E_clISt17integral_constantIbLb0EES1J_EEDaS1E_S1F_EUlS1E_E_NS1_11comp_targetILNS1_3genE5ELNS1_11target_archE942ELNS1_3gpuE9ELNS1_3repE0EEENS1_30default_config_static_selectorELNS0_4arch9wavefront6targetE0EEEvT1_.uses_flat_scratch, 0
	.set _ZN7rocprim17ROCPRIM_400000_NS6detail17trampoline_kernelINS0_14default_configENS1_25partition_config_selectorILNS1_17partition_subalgoE6EN6thrust23THRUST_200600_302600_NS5tupleIjjNS7_9null_typeES9_S9_S9_S9_S9_S9_S9_EENS0_10empty_typeEbEEZZNS1_14partition_implILS5_6ELb0ES3_mNS7_12zip_iteratorINS8_INS7_6detail15normal_iteratorINS7_10device_ptrIjEEEESJ_S9_S9_S9_S9_S9_S9_S9_S9_EEEEPSB_SM_NS0_5tupleIJNSE_INS8_ISJ_NS7_16discard_iteratorINS7_11use_defaultEEES9_S9_S9_S9_S9_S9_S9_S9_EEEESB_EEENSN_IJSM_SM_EEESB_PlJNSF_9not_fun_tINSF_14equal_to_valueISA_EEEEEEE10hipError_tPvRmT3_T4_T5_T6_T7_T9_mT8_P12ihipStream_tbDpT10_ENKUlT_T0_E_clISt17integral_constantIbLb0EES1J_EEDaS1E_S1F_EUlS1E_E_NS1_11comp_targetILNS1_3genE5ELNS1_11target_archE942ELNS1_3gpuE9ELNS1_3repE0EEENS1_30default_config_static_selectorELNS0_4arch9wavefront6targetE0EEEvT1_.has_dyn_sized_stack, 0
	.set _ZN7rocprim17ROCPRIM_400000_NS6detail17trampoline_kernelINS0_14default_configENS1_25partition_config_selectorILNS1_17partition_subalgoE6EN6thrust23THRUST_200600_302600_NS5tupleIjjNS7_9null_typeES9_S9_S9_S9_S9_S9_S9_EENS0_10empty_typeEbEEZZNS1_14partition_implILS5_6ELb0ES3_mNS7_12zip_iteratorINS8_INS7_6detail15normal_iteratorINS7_10device_ptrIjEEEESJ_S9_S9_S9_S9_S9_S9_S9_S9_EEEEPSB_SM_NS0_5tupleIJNSE_INS8_ISJ_NS7_16discard_iteratorINS7_11use_defaultEEES9_S9_S9_S9_S9_S9_S9_S9_EEEESB_EEENSN_IJSM_SM_EEESB_PlJNSF_9not_fun_tINSF_14equal_to_valueISA_EEEEEEE10hipError_tPvRmT3_T4_T5_T6_T7_T9_mT8_P12ihipStream_tbDpT10_ENKUlT_T0_E_clISt17integral_constantIbLb0EES1J_EEDaS1E_S1F_EUlS1E_E_NS1_11comp_targetILNS1_3genE5ELNS1_11target_archE942ELNS1_3gpuE9ELNS1_3repE0EEENS1_30default_config_static_selectorELNS0_4arch9wavefront6targetE0EEEvT1_.has_recursion, 0
	.set _ZN7rocprim17ROCPRIM_400000_NS6detail17trampoline_kernelINS0_14default_configENS1_25partition_config_selectorILNS1_17partition_subalgoE6EN6thrust23THRUST_200600_302600_NS5tupleIjjNS7_9null_typeES9_S9_S9_S9_S9_S9_S9_EENS0_10empty_typeEbEEZZNS1_14partition_implILS5_6ELb0ES3_mNS7_12zip_iteratorINS8_INS7_6detail15normal_iteratorINS7_10device_ptrIjEEEESJ_S9_S9_S9_S9_S9_S9_S9_S9_EEEEPSB_SM_NS0_5tupleIJNSE_INS8_ISJ_NS7_16discard_iteratorINS7_11use_defaultEEES9_S9_S9_S9_S9_S9_S9_S9_EEEESB_EEENSN_IJSM_SM_EEESB_PlJNSF_9not_fun_tINSF_14equal_to_valueISA_EEEEEEE10hipError_tPvRmT3_T4_T5_T6_T7_T9_mT8_P12ihipStream_tbDpT10_ENKUlT_T0_E_clISt17integral_constantIbLb0EES1J_EEDaS1E_S1F_EUlS1E_E_NS1_11comp_targetILNS1_3genE5ELNS1_11target_archE942ELNS1_3gpuE9ELNS1_3repE0EEENS1_30default_config_static_selectorELNS0_4arch9wavefront6targetE0EEEvT1_.has_indirect_call, 0
	.section	.AMDGPU.csdata,"",@progbits
; Kernel info:
; codeLenInByte = 0
; TotalNumSgprs: 0
; NumVgprs: 0
; ScratchSize: 0
; MemoryBound: 0
; FloatMode: 240
; IeeeMode: 1
; LDSByteSize: 0 bytes/workgroup (compile time only)
; SGPRBlocks: 0
; VGPRBlocks: 0
; NumSGPRsForWavesPerEU: 1
; NumVGPRsForWavesPerEU: 1
; Occupancy: 16
; WaveLimiterHint : 0
; COMPUTE_PGM_RSRC2:SCRATCH_EN: 0
; COMPUTE_PGM_RSRC2:USER_SGPR: 2
; COMPUTE_PGM_RSRC2:TRAP_HANDLER: 0
; COMPUTE_PGM_RSRC2:TGID_X_EN: 1
; COMPUTE_PGM_RSRC2:TGID_Y_EN: 0
; COMPUTE_PGM_RSRC2:TGID_Z_EN: 0
; COMPUTE_PGM_RSRC2:TIDIG_COMP_CNT: 0
	.section	.text._ZN7rocprim17ROCPRIM_400000_NS6detail17trampoline_kernelINS0_14default_configENS1_25partition_config_selectorILNS1_17partition_subalgoE6EN6thrust23THRUST_200600_302600_NS5tupleIjjNS7_9null_typeES9_S9_S9_S9_S9_S9_S9_EENS0_10empty_typeEbEEZZNS1_14partition_implILS5_6ELb0ES3_mNS7_12zip_iteratorINS8_INS7_6detail15normal_iteratorINS7_10device_ptrIjEEEESJ_S9_S9_S9_S9_S9_S9_S9_S9_EEEEPSB_SM_NS0_5tupleIJNSE_INS8_ISJ_NS7_16discard_iteratorINS7_11use_defaultEEES9_S9_S9_S9_S9_S9_S9_S9_EEEESB_EEENSN_IJSM_SM_EEESB_PlJNSF_9not_fun_tINSF_14equal_to_valueISA_EEEEEEE10hipError_tPvRmT3_T4_T5_T6_T7_T9_mT8_P12ihipStream_tbDpT10_ENKUlT_T0_E_clISt17integral_constantIbLb0EES1J_EEDaS1E_S1F_EUlS1E_E_NS1_11comp_targetILNS1_3genE4ELNS1_11target_archE910ELNS1_3gpuE8ELNS1_3repE0EEENS1_30default_config_static_selectorELNS0_4arch9wavefront6targetE0EEEvT1_,"axG",@progbits,_ZN7rocprim17ROCPRIM_400000_NS6detail17trampoline_kernelINS0_14default_configENS1_25partition_config_selectorILNS1_17partition_subalgoE6EN6thrust23THRUST_200600_302600_NS5tupleIjjNS7_9null_typeES9_S9_S9_S9_S9_S9_S9_EENS0_10empty_typeEbEEZZNS1_14partition_implILS5_6ELb0ES3_mNS7_12zip_iteratorINS8_INS7_6detail15normal_iteratorINS7_10device_ptrIjEEEESJ_S9_S9_S9_S9_S9_S9_S9_S9_EEEEPSB_SM_NS0_5tupleIJNSE_INS8_ISJ_NS7_16discard_iteratorINS7_11use_defaultEEES9_S9_S9_S9_S9_S9_S9_S9_EEEESB_EEENSN_IJSM_SM_EEESB_PlJNSF_9not_fun_tINSF_14equal_to_valueISA_EEEEEEE10hipError_tPvRmT3_T4_T5_T6_T7_T9_mT8_P12ihipStream_tbDpT10_ENKUlT_T0_E_clISt17integral_constantIbLb0EES1J_EEDaS1E_S1F_EUlS1E_E_NS1_11comp_targetILNS1_3genE4ELNS1_11target_archE910ELNS1_3gpuE8ELNS1_3repE0EEENS1_30default_config_static_selectorELNS0_4arch9wavefront6targetE0EEEvT1_,comdat
	.protected	_ZN7rocprim17ROCPRIM_400000_NS6detail17trampoline_kernelINS0_14default_configENS1_25partition_config_selectorILNS1_17partition_subalgoE6EN6thrust23THRUST_200600_302600_NS5tupleIjjNS7_9null_typeES9_S9_S9_S9_S9_S9_S9_EENS0_10empty_typeEbEEZZNS1_14partition_implILS5_6ELb0ES3_mNS7_12zip_iteratorINS8_INS7_6detail15normal_iteratorINS7_10device_ptrIjEEEESJ_S9_S9_S9_S9_S9_S9_S9_S9_EEEEPSB_SM_NS0_5tupleIJNSE_INS8_ISJ_NS7_16discard_iteratorINS7_11use_defaultEEES9_S9_S9_S9_S9_S9_S9_S9_EEEESB_EEENSN_IJSM_SM_EEESB_PlJNSF_9not_fun_tINSF_14equal_to_valueISA_EEEEEEE10hipError_tPvRmT3_T4_T5_T6_T7_T9_mT8_P12ihipStream_tbDpT10_ENKUlT_T0_E_clISt17integral_constantIbLb0EES1J_EEDaS1E_S1F_EUlS1E_E_NS1_11comp_targetILNS1_3genE4ELNS1_11target_archE910ELNS1_3gpuE8ELNS1_3repE0EEENS1_30default_config_static_selectorELNS0_4arch9wavefront6targetE0EEEvT1_ ; -- Begin function _ZN7rocprim17ROCPRIM_400000_NS6detail17trampoline_kernelINS0_14default_configENS1_25partition_config_selectorILNS1_17partition_subalgoE6EN6thrust23THRUST_200600_302600_NS5tupleIjjNS7_9null_typeES9_S9_S9_S9_S9_S9_S9_EENS0_10empty_typeEbEEZZNS1_14partition_implILS5_6ELb0ES3_mNS7_12zip_iteratorINS8_INS7_6detail15normal_iteratorINS7_10device_ptrIjEEEESJ_S9_S9_S9_S9_S9_S9_S9_S9_EEEEPSB_SM_NS0_5tupleIJNSE_INS8_ISJ_NS7_16discard_iteratorINS7_11use_defaultEEES9_S9_S9_S9_S9_S9_S9_S9_EEEESB_EEENSN_IJSM_SM_EEESB_PlJNSF_9not_fun_tINSF_14equal_to_valueISA_EEEEEEE10hipError_tPvRmT3_T4_T5_T6_T7_T9_mT8_P12ihipStream_tbDpT10_ENKUlT_T0_E_clISt17integral_constantIbLb0EES1J_EEDaS1E_S1F_EUlS1E_E_NS1_11comp_targetILNS1_3genE4ELNS1_11target_archE910ELNS1_3gpuE8ELNS1_3repE0EEENS1_30default_config_static_selectorELNS0_4arch9wavefront6targetE0EEEvT1_
	.globl	_ZN7rocprim17ROCPRIM_400000_NS6detail17trampoline_kernelINS0_14default_configENS1_25partition_config_selectorILNS1_17partition_subalgoE6EN6thrust23THRUST_200600_302600_NS5tupleIjjNS7_9null_typeES9_S9_S9_S9_S9_S9_S9_EENS0_10empty_typeEbEEZZNS1_14partition_implILS5_6ELb0ES3_mNS7_12zip_iteratorINS8_INS7_6detail15normal_iteratorINS7_10device_ptrIjEEEESJ_S9_S9_S9_S9_S9_S9_S9_S9_EEEEPSB_SM_NS0_5tupleIJNSE_INS8_ISJ_NS7_16discard_iteratorINS7_11use_defaultEEES9_S9_S9_S9_S9_S9_S9_S9_EEEESB_EEENSN_IJSM_SM_EEESB_PlJNSF_9not_fun_tINSF_14equal_to_valueISA_EEEEEEE10hipError_tPvRmT3_T4_T5_T6_T7_T9_mT8_P12ihipStream_tbDpT10_ENKUlT_T0_E_clISt17integral_constantIbLb0EES1J_EEDaS1E_S1F_EUlS1E_E_NS1_11comp_targetILNS1_3genE4ELNS1_11target_archE910ELNS1_3gpuE8ELNS1_3repE0EEENS1_30default_config_static_selectorELNS0_4arch9wavefront6targetE0EEEvT1_
	.p2align	8
	.type	_ZN7rocprim17ROCPRIM_400000_NS6detail17trampoline_kernelINS0_14default_configENS1_25partition_config_selectorILNS1_17partition_subalgoE6EN6thrust23THRUST_200600_302600_NS5tupleIjjNS7_9null_typeES9_S9_S9_S9_S9_S9_S9_EENS0_10empty_typeEbEEZZNS1_14partition_implILS5_6ELb0ES3_mNS7_12zip_iteratorINS8_INS7_6detail15normal_iteratorINS7_10device_ptrIjEEEESJ_S9_S9_S9_S9_S9_S9_S9_S9_EEEEPSB_SM_NS0_5tupleIJNSE_INS8_ISJ_NS7_16discard_iteratorINS7_11use_defaultEEES9_S9_S9_S9_S9_S9_S9_S9_EEEESB_EEENSN_IJSM_SM_EEESB_PlJNSF_9not_fun_tINSF_14equal_to_valueISA_EEEEEEE10hipError_tPvRmT3_T4_T5_T6_T7_T9_mT8_P12ihipStream_tbDpT10_ENKUlT_T0_E_clISt17integral_constantIbLb0EES1J_EEDaS1E_S1F_EUlS1E_E_NS1_11comp_targetILNS1_3genE4ELNS1_11target_archE910ELNS1_3gpuE8ELNS1_3repE0EEENS1_30default_config_static_selectorELNS0_4arch9wavefront6targetE0EEEvT1_,@function
_ZN7rocprim17ROCPRIM_400000_NS6detail17trampoline_kernelINS0_14default_configENS1_25partition_config_selectorILNS1_17partition_subalgoE6EN6thrust23THRUST_200600_302600_NS5tupleIjjNS7_9null_typeES9_S9_S9_S9_S9_S9_S9_EENS0_10empty_typeEbEEZZNS1_14partition_implILS5_6ELb0ES3_mNS7_12zip_iteratorINS8_INS7_6detail15normal_iteratorINS7_10device_ptrIjEEEESJ_S9_S9_S9_S9_S9_S9_S9_S9_EEEEPSB_SM_NS0_5tupleIJNSE_INS8_ISJ_NS7_16discard_iteratorINS7_11use_defaultEEES9_S9_S9_S9_S9_S9_S9_S9_EEEESB_EEENSN_IJSM_SM_EEESB_PlJNSF_9not_fun_tINSF_14equal_to_valueISA_EEEEEEE10hipError_tPvRmT3_T4_T5_T6_T7_T9_mT8_P12ihipStream_tbDpT10_ENKUlT_T0_E_clISt17integral_constantIbLb0EES1J_EEDaS1E_S1F_EUlS1E_E_NS1_11comp_targetILNS1_3genE4ELNS1_11target_archE910ELNS1_3gpuE8ELNS1_3repE0EEENS1_30default_config_static_selectorELNS0_4arch9wavefront6targetE0EEEvT1_: ; @_ZN7rocprim17ROCPRIM_400000_NS6detail17trampoline_kernelINS0_14default_configENS1_25partition_config_selectorILNS1_17partition_subalgoE6EN6thrust23THRUST_200600_302600_NS5tupleIjjNS7_9null_typeES9_S9_S9_S9_S9_S9_S9_EENS0_10empty_typeEbEEZZNS1_14partition_implILS5_6ELb0ES3_mNS7_12zip_iteratorINS8_INS7_6detail15normal_iteratorINS7_10device_ptrIjEEEESJ_S9_S9_S9_S9_S9_S9_S9_S9_EEEEPSB_SM_NS0_5tupleIJNSE_INS8_ISJ_NS7_16discard_iteratorINS7_11use_defaultEEES9_S9_S9_S9_S9_S9_S9_S9_EEEESB_EEENSN_IJSM_SM_EEESB_PlJNSF_9not_fun_tINSF_14equal_to_valueISA_EEEEEEE10hipError_tPvRmT3_T4_T5_T6_T7_T9_mT8_P12ihipStream_tbDpT10_ENKUlT_T0_E_clISt17integral_constantIbLb0EES1J_EEDaS1E_S1F_EUlS1E_E_NS1_11comp_targetILNS1_3genE4ELNS1_11target_archE910ELNS1_3gpuE8ELNS1_3repE0EEENS1_30default_config_static_selectorELNS0_4arch9wavefront6targetE0EEEvT1_
; %bb.0:
	.section	.rodata,"a",@progbits
	.p2align	6, 0x0
	.amdhsa_kernel _ZN7rocprim17ROCPRIM_400000_NS6detail17trampoline_kernelINS0_14default_configENS1_25partition_config_selectorILNS1_17partition_subalgoE6EN6thrust23THRUST_200600_302600_NS5tupleIjjNS7_9null_typeES9_S9_S9_S9_S9_S9_S9_EENS0_10empty_typeEbEEZZNS1_14partition_implILS5_6ELb0ES3_mNS7_12zip_iteratorINS8_INS7_6detail15normal_iteratorINS7_10device_ptrIjEEEESJ_S9_S9_S9_S9_S9_S9_S9_S9_EEEEPSB_SM_NS0_5tupleIJNSE_INS8_ISJ_NS7_16discard_iteratorINS7_11use_defaultEEES9_S9_S9_S9_S9_S9_S9_S9_EEEESB_EEENSN_IJSM_SM_EEESB_PlJNSF_9not_fun_tINSF_14equal_to_valueISA_EEEEEEE10hipError_tPvRmT3_T4_T5_T6_T7_T9_mT8_P12ihipStream_tbDpT10_ENKUlT_T0_E_clISt17integral_constantIbLb0EES1J_EEDaS1E_S1F_EUlS1E_E_NS1_11comp_targetILNS1_3genE4ELNS1_11target_archE910ELNS1_3gpuE8ELNS1_3repE0EEENS1_30default_config_static_selectorELNS0_4arch9wavefront6targetE0EEEvT1_
		.amdhsa_group_segment_fixed_size 0
		.amdhsa_private_segment_fixed_size 0
		.amdhsa_kernarg_size 144
		.amdhsa_user_sgpr_count 2
		.amdhsa_user_sgpr_dispatch_ptr 0
		.amdhsa_user_sgpr_queue_ptr 0
		.amdhsa_user_sgpr_kernarg_segment_ptr 1
		.amdhsa_user_sgpr_dispatch_id 0
		.amdhsa_user_sgpr_private_segment_size 0
		.amdhsa_wavefront_size32 1
		.amdhsa_uses_dynamic_stack 0
		.amdhsa_enable_private_segment 0
		.amdhsa_system_sgpr_workgroup_id_x 1
		.amdhsa_system_sgpr_workgroup_id_y 0
		.amdhsa_system_sgpr_workgroup_id_z 0
		.amdhsa_system_sgpr_workgroup_info 0
		.amdhsa_system_vgpr_workitem_id 0
		.amdhsa_next_free_vgpr 1
		.amdhsa_next_free_sgpr 1
		.amdhsa_reserve_vcc 0
		.amdhsa_float_round_mode_32 0
		.amdhsa_float_round_mode_16_64 0
		.amdhsa_float_denorm_mode_32 3
		.amdhsa_float_denorm_mode_16_64 3
		.amdhsa_fp16_overflow 0
		.amdhsa_workgroup_processor_mode 1
		.amdhsa_memory_ordered 1
		.amdhsa_forward_progress 1
		.amdhsa_inst_pref_size 0
		.amdhsa_round_robin_scheduling 0
		.amdhsa_exception_fp_ieee_invalid_op 0
		.amdhsa_exception_fp_denorm_src 0
		.amdhsa_exception_fp_ieee_div_zero 0
		.amdhsa_exception_fp_ieee_overflow 0
		.amdhsa_exception_fp_ieee_underflow 0
		.amdhsa_exception_fp_ieee_inexact 0
		.amdhsa_exception_int_div_zero 0
	.end_amdhsa_kernel
	.section	.text._ZN7rocprim17ROCPRIM_400000_NS6detail17trampoline_kernelINS0_14default_configENS1_25partition_config_selectorILNS1_17partition_subalgoE6EN6thrust23THRUST_200600_302600_NS5tupleIjjNS7_9null_typeES9_S9_S9_S9_S9_S9_S9_EENS0_10empty_typeEbEEZZNS1_14partition_implILS5_6ELb0ES3_mNS7_12zip_iteratorINS8_INS7_6detail15normal_iteratorINS7_10device_ptrIjEEEESJ_S9_S9_S9_S9_S9_S9_S9_S9_EEEEPSB_SM_NS0_5tupleIJNSE_INS8_ISJ_NS7_16discard_iteratorINS7_11use_defaultEEES9_S9_S9_S9_S9_S9_S9_S9_EEEESB_EEENSN_IJSM_SM_EEESB_PlJNSF_9not_fun_tINSF_14equal_to_valueISA_EEEEEEE10hipError_tPvRmT3_T4_T5_T6_T7_T9_mT8_P12ihipStream_tbDpT10_ENKUlT_T0_E_clISt17integral_constantIbLb0EES1J_EEDaS1E_S1F_EUlS1E_E_NS1_11comp_targetILNS1_3genE4ELNS1_11target_archE910ELNS1_3gpuE8ELNS1_3repE0EEENS1_30default_config_static_selectorELNS0_4arch9wavefront6targetE0EEEvT1_,"axG",@progbits,_ZN7rocprim17ROCPRIM_400000_NS6detail17trampoline_kernelINS0_14default_configENS1_25partition_config_selectorILNS1_17partition_subalgoE6EN6thrust23THRUST_200600_302600_NS5tupleIjjNS7_9null_typeES9_S9_S9_S9_S9_S9_S9_EENS0_10empty_typeEbEEZZNS1_14partition_implILS5_6ELb0ES3_mNS7_12zip_iteratorINS8_INS7_6detail15normal_iteratorINS7_10device_ptrIjEEEESJ_S9_S9_S9_S9_S9_S9_S9_S9_EEEEPSB_SM_NS0_5tupleIJNSE_INS8_ISJ_NS7_16discard_iteratorINS7_11use_defaultEEES9_S9_S9_S9_S9_S9_S9_S9_EEEESB_EEENSN_IJSM_SM_EEESB_PlJNSF_9not_fun_tINSF_14equal_to_valueISA_EEEEEEE10hipError_tPvRmT3_T4_T5_T6_T7_T9_mT8_P12ihipStream_tbDpT10_ENKUlT_T0_E_clISt17integral_constantIbLb0EES1J_EEDaS1E_S1F_EUlS1E_E_NS1_11comp_targetILNS1_3genE4ELNS1_11target_archE910ELNS1_3gpuE8ELNS1_3repE0EEENS1_30default_config_static_selectorELNS0_4arch9wavefront6targetE0EEEvT1_,comdat
.Lfunc_end1919:
	.size	_ZN7rocprim17ROCPRIM_400000_NS6detail17trampoline_kernelINS0_14default_configENS1_25partition_config_selectorILNS1_17partition_subalgoE6EN6thrust23THRUST_200600_302600_NS5tupleIjjNS7_9null_typeES9_S9_S9_S9_S9_S9_S9_EENS0_10empty_typeEbEEZZNS1_14partition_implILS5_6ELb0ES3_mNS7_12zip_iteratorINS8_INS7_6detail15normal_iteratorINS7_10device_ptrIjEEEESJ_S9_S9_S9_S9_S9_S9_S9_S9_EEEEPSB_SM_NS0_5tupleIJNSE_INS8_ISJ_NS7_16discard_iteratorINS7_11use_defaultEEES9_S9_S9_S9_S9_S9_S9_S9_EEEESB_EEENSN_IJSM_SM_EEESB_PlJNSF_9not_fun_tINSF_14equal_to_valueISA_EEEEEEE10hipError_tPvRmT3_T4_T5_T6_T7_T9_mT8_P12ihipStream_tbDpT10_ENKUlT_T0_E_clISt17integral_constantIbLb0EES1J_EEDaS1E_S1F_EUlS1E_E_NS1_11comp_targetILNS1_3genE4ELNS1_11target_archE910ELNS1_3gpuE8ELNS1_3repE0EEENS1_30default_config_static_selectorELNS0_4arch9wavefront6targetE0EEEvT1_, .Lfunc_end1919-_ZN7rocprim17ROCPRIM_400000_NS6detail17trampoline_kernelINS0_14default_configENS1_25partition_config_selectorILNS1_17partition_subalgoE6EN6thrust23THRUST_200600_302600_NS5tupleIjjNS7_9null_typeES9_S9_S9_S9_S9_S9_S9_EENS0_10empty_typeEbEEZZNS1_14partition_implILS5_6ELb0ES3_mNS7_12zip_iteratorINS8_INS7_6detail15normal_iteratorINS7_10device_ptrIjEEEESJ_S9_S9_S9_S9_S9_S9_S9_S9_EEEEPSB_SM_NS0_5tupleIJNSE_INS8_ISJ_NS7_16discard_iteratorINS7_11use_defaultEEES9_S9_S9_S9_S9_S9_S9_S9_EEEESB_EEENSN_IJSM_SM_EEESB_PlJNSF_9not_fun_tINSF_14equal_to_valueISA_EEEEEEE10hipError_tPvRmT3_T4_T5_T6_T7_T9_mT8_P12ihipStream_tbDpT10_ENKUlT_T0_E_clISt17integral_constantIbLb0EES1J_EEDaS1E_S1F_EUlS1E_E_NS1_11comp_targetILNS1_3genE4ELNS1_11target_archE910ELNS1_3gpuE8ELNS1_3repE0EEENS1_30default_config_static_selectorELNS0_4arch9wavefront6targetE0EEEvT1_
                                        ; -- End function
	.set _ZN7rocprim17ROCPRIM_400000_NS6detail17trampoline_kernelINS0_14default_configENS1_25partition_config_selectorILNS1_17partition_subalgoE6EN6thrust23THRUST_200600_302600_NS5tupleIjjNS7_9null_typeES9_S9_S9_S9_S9_S9_S9_EENS0_10empty_typeEbEEZZNS1_14partition_implILS5_6ELb0ES3_mNS7_12zip_iteratorINS8_INS7_6detail15normal_iteratorINS7_10device_ptrIjEEEESJ_S9_S9_S9_S9_S9_S9_S9_S9_EEEEPSB_SM_NS0_5tupleIJNSE_INS8_ISJ_NS7_16discard_iteratorINS7_11use_defaultEEES9_S9_S9_S9_S9_S9_S9_S9_EEEESB_EEENSN_IJSM_SM_EEESB_PlJNSF_9not_fun_tINSF_14equal_to_valueISA_EEEEEEE10hipError_tPvRmT3_T4_T5_T6_T7_T9_mT8_P12ihipStream_tbDpT10_ENKUlT_T0_E_clISt17integral_constantIbLb0EES1J_EEDaS1E_S1F_EUlS1E_E_NS1_11comp_targetILNS1_3genE4ELNS1_11target_archE910ELNS1_3gpuE8ELNS1_3repE0EEENS1_30default_config_static_selectorELNS0_4arch9wavefront6targetE0EEEvT1_.num_vgpr, 0
	.set _ZN7rocprim17ROCPRIM_400000_NS6detail17trampoline_kernelINS0_14default_configENS1_25partition_config_selectorILNS1_17partition_subalgoE6EN6thrust23THRUST_200600_302600_NS5tupleIjjNS7_9null_typeES9_S9_S9_S9_S9_S9_S9_EENS0_10empty_typeEbEEZZNS1_14partition_implILS5_6ELb0ES3_mNS7_12zip_iteratorINS8_INS7_6detail15normal_iteratorINS7_10device_ptrIjEEEESJ_S9_S9_S9_S9_S9_S9_S9_S9_EEEEPSB_SM_NS0_5tupleIJNSE_INS8_ISJ_NS7_16discard_iteratorINS7_11use_defaultEEES9_S9_S9_S9_S9_S9_S9_S9_EEEESB_EEENSN_IJSM_SM_EEESB_PlJNSF_9not_fun_tINSF_14equal_to_valueISA_EEEEEEE10hipError_tPvRmT3_T4_T5_T6_T7_T9_mT8_P12ihipStream_tbDpT10_ENKUlT_T0_E_clISt17integral_constantIbLb0EES1J_EEDaS1E_S1F_EUlS1E_E_NS1_11comp_targetILNS1_3genE4ELNS1_11target_archE910ELNS1_3gpuE8ELNS1_3repE0EEENS1_30default_config_static_selectorELNS0_4arch9wavefront6targetE0EEEvT1_.num_agpr, 0
	.set _ZN7rocprim17ROCPRIM_400000_NS6detail17trampoline_kernelINS0_14default_configENS1_25partition_config_selectorILNS1_17partition_subalgoE6EN6thrust23THRUST_200600_302600_NS5tupleIjjNS7_9null_typeES9_S9_S9_S9_S9_S9_S9_EENS0_10empty_typeEbEEZZNS1_14partition_implILS5_6ELb0ES3_mNS7_12zip_iteratorINS8_INS7_6detail15normal_iteratorINS7_10device_ptrIjEEEESJ_S9_S9_S9_S9_S9_S9_S9_S9_EEEEPSB_SM_NS0_5tupleIJNSE_INS8_ISJ_NS7_16discard_iteratorINS7_11use_defaultEEES9_S9_S9_S9_S9_S9_S9_S9_EEEESB_EEENSN_IJSM_SM_EEESB_PlJNSF_9not_fun_tINSF_14equal_to_valueISA_EEEEEEE10hipError_tPvRmT3_T4_T5_T6_T7_T9_mT8_P12ihipStream_tbDpT10_ENKUlT_T0_E_clISt17integral_constantIbLb0EES1J_EEDaS1E_S1F_EUlS1E_E_NS1_11comp_targetILNS1_3genE4ELNS1_11target_archE910ELNS1_3gpuE8ELNS1_3repE0EEENS1_30default_config_static_selectorELNS0_4arch9wavefront6targetE0EEEvT1_.numbered_sgpr, 0
	.set _ZN7rocprim17ROCPRIM_400000_NS6detail17trampoline_kernelINS0_14default_configENS1_25partition_config_selectorILNS1_17partition_subalgoE6EN6thrust23THRUST_200600_302600_NS5tupleIjjNS7_9null_typeES9_S9_S9_S9_S9_S9_S9_EENS0_10empty_typeEbEEZZNS1_14partition_implILS5_6ELb0ES3_mNS7_12zip_iteratorINS8_INS7_6detail15normal_iteratorINS7_10device_ptrIjEEEESJ_S9_S9_S9_S9_S9_S9_S9_S9_EEEEPSB_SM_NS0_5tupleIJNSE_INS8_ISJ_NS7_16discard_iteratorINS7_11use_defaultEEES9_S9_S9_S9_S9_S9_S9_S9_EEEESB_EEENSN_IJSM_SM_EEESB_PlJNSF_9not_fun_tINSF_14equal_to_valueISA_EEEEEEE10hipError_tPvRmT3_T4_T5_T6_T7_T9_mT8_P12ihipStream_tbDpT10_ENKUlT_T0_E_clISt17integral_constantIbLb0EES1J_EEDaS1E_S1F_EUlS1E_E_NS1_11comp_targetILNS1_3genE4ELNS1_11target_archE910ELNS1_3gpuE8ELNS1_3repE0EEENS1_30default_config_static_selectorELNS0_4arch9wavefront6targetE0EEEvT1_.num_named_barrier, 0
	.set _ZN7rocprim17ROCPRIM_400000_NS6detail17trampoline_kernelINS0_14default_configENS1_25partition_config_selectorILNS1_17partition_subalgoE6EN6thrust23THRUST_200600_302600_NS5tupleIjjNS7_9null_typeES9_S9_S9_S9_S9_S9_S9_EENS0_10empty_typeEbEEZZNS1_14partition_implILS5_6ELb0ES3_mNS7_12zip_iteratorINS8_INS7_6detail15normal_iteratorINS7_10device_ptrIjEEEESJ_S9_S9_S9_S9_S9_S9_S9_S9_EEEEPSB_SM_NS0_5tupleIJNSE_INS8_ISJ_NS7_16discard_iteratorINS7_11use_defaultEEES9_S9_S9_S9_S9_S9_S9_S9_EEEESB_EEENSN_IJSM_SM_EEESB_PlJNSF_9not_fun_tINSF_14equal_to_valueISA_EEEEEEE10hipError_tPvRmT3_T4_T5_T6_T7_T9_mT8_P12ihipStream_tbDpT10_ENKUlT_T0_E_clISt17integral_constantIbLb0EES1J_EEDaS1E_S1F_EUlS1E_E_NS1_11comp_targetILNS1_3genE4ELNS1_11target_archE910ELNS1_3gpuE8ELNS1_3repE0EEENS1_30default_config_static_selectorELNS0_4arch9wavefront6targetE0EEEvT1_.private_seg_size, 0
	.set _ZN7rocprim17ROCPRIM_400000_NS6detail17trampoline_kernelINS0_14default_configENS1_25partition_config_selectorILNS1_17partition_subalgoE6EN6thrust23THRUST_200600_302600_NS5tupleIjjNS7_9null_typeES9_S9_S9_S9_S9_S9_S9_EENS0_10empty_typeEbEEZZNS1_14partition_implILS5_6ELb0ES3_mNS7_12zip_iteratorINS8_INS7_6detail15normal_iteratorINS7_10device_ptrIjEEEESJ_S9_S9_S9_S9_S9_S9_S9_S9_EEEEPSB_SM_NS0_5tupleIJNSE_INS8_ISJ_NS7_16discard_iteratorINS7_11use_defaultEEES9_S9_S9_S9_S9_S9_S9_S9_EEEESB_EEENSN_IJSM_SM_EEESB_PlJNSF_9not_fun_tINSF_14equal_to_valueISA_EEEEEEE10hipError_tPvRmT3_T4_T5_T6_T7_T9_mT8_P12ihipStream_tbDpT10_ENKUlT_T0_E_clISt17integral_constantIbLb0EES1J_EEDaS1E_S1F_EUlS1E_E_NS1_11comp_targetILNS1_3genE4ELNS1_11target_archE910ELNS1_3gpuE8ELNS1_3repE0EEENS1_30default_config_static_selectorELNS0_4arch9wavefront6targetE0EEEvT1_.uses_vcc, 0
	.set _ZN7rocprim17ROCPRIM_400000_NS6detail17trampoline_kernelINS0_14default_configENS1_25partition_config_selectorILNS1_17partition_subalgoE6EN6thrust23THRUST_200600_302600_NS5tupleIjjNS7_9null_typeES9_S9_S9_S9_S9_S9_S9_EENS0_10empty_typeEbEEZZNS1_14partition_implILS5_6ELb0ES3_mNS7_12zip_iteratorINS8_INS7_6detail15normal_iteratorINS7_10device_ptrIjEEEESJ_S9_S9_S9_S9_S9_S9_S9_S9_EEEEPSB_SM_NS0_5tupleIJNSE_INS8_ISJ_NS7_16discard_iteratorINS7_11use_defaultEEES9_S9_S9_S9_S9_S9_S9_S9_EEEESB_EEENSN_IJSM_SM_EEESB_PlJNSF_9not_fun_tINSF_14equal_to_valueISA_EEEEEEE10hipError_tPvRmT3_T4_T5_T6_T7_T9_mT8_P12ihipStream_tbDpT10_ENKUlT_T0_E_clISt17integral_constantIbLb0EES1J_EEDaS1E_S1F_EUlS1E_E_NS1_11comp_targetILNS1_3genE4ELNS1_11target_archE910ELNS1_3gpuE8ELNS1_3repE0EEENS1_30default_config_static_selectorELNS0_4arch9wavefront6targetE0EEEvT1_.uses_flat_scratch, 0
	.set _ZN7rocprim17ROCPRIM_400000_NS6detail17trampoline_kernelINS0_14default_configENS1_25partition_config_selectorILNS1_17partition_subalgoE6EN6thrust23THRUST_200600_302600_NS5tupleIjjNS7_9null_typeES9_S9_S9_S9_S9_S9_S9_EENS0_10empty_typeEbEEZZNS1_14partition_implILS5_6ELb0ES3_mNS7_12zip_iteratorINS8_INS7_6detail15normal_iteratorINS7_10device_ptrIjEEEESJ_S9_S9_S9_S9_S9_S9_S9_S9_EEEEPSB_SM_NS0_5tupleIJNSE_INS8_ISJ_NS7_16discard_iteratorINS7_11use_defaultEEES9_S9_S9_S9_S9_S9_S9_S9_EEEESB_EEENSN_IJSM_SM_EEESB_PlJNSF_9not_fun_tINSF_14equal_to_valueISA_EEEEEEE10hipError_tPvRmT3_T4_T5_T6_T7_T9_mT8_P12ihipStream_tbDpT10_ENKUlT_T0_E_clISt17integral_constantIbLb0EES1J_EEDaS1E_S1F_EUlS1E_E_NS1_11comp_targetILNS1_3genE4ELNS1_11target_archE910ELNS1_3gpuE8ELNS1_3repE0EEENS1_30default_config_static_selectorELNS0_4arch9wavefront6targetE0EEEvT1_.has_dyn_sized_stack, 0
	.set _ZN7rocprim17ROCPRIM_400000_NS6detail17trampoline_kernelINS0_14default_configENS1_25partition_config_selectorILNS1_17partition_subalgoE6EN6thrust23THRUST_200600_302600_NS5tupleIjjNS7_9null_typeES9_S9_S9_S9_S9_S9_S9_EENS0_10empty_typeEbEEZZNS1_14partition_implILS5_6ELb0ES3_mNS7_12zip_iteratorINS8_INS7_6detail15normal_iteratorINS7_10device_ptrIjEEEESJ_S9_S9_S9_S9_S9_S9_S9_S9_EEEEPSB_SM_NS0_5tupleIJNSE_INS8_ISJ_NS7_16discard_iteratorINS7_11use_defaultEEES9_S9_S9_S9_S9_S9_S9_S9_EEEESB_EEENSN_IJSM_SM_EEESB_PlJNSF_9not_fun_tINSF_14equal_to_valueISA_EEEEEEE10hipError_tPvRmT3_T4_T5_T6_T7_T9_mT8_P12ihipStream_tbDpT10_ENKUlT_T0_E_clISt17integral_constantIbLb0EES1J_EEDaS1E_S1F_EUlS1E_E_NS1_11comp_targetILNS1_3genE4ELNS1_11target_archE910ELNS1_3gpuE8ELNS1_3repE0EEENS1_30default_config_static_selectorELNS0_4arch9wavefront6targetE0EEEvT1_.has_recursion, 0
	.set _ZN7rocprim17ROCPRIM_400000_NS6detail17trampoline_kernelINS0_14default_configENS1_25partition_config_selectorILNS1_17partition_subalgoE6EN6thrust23THRUST_200600_302600_NS5tupleIjjNS7_9null_typeES9_S9_S9_S9_S9_S9_S9_EENS0_10empty_typeEbEEZZNS1_14partition_implILS5_6ELb0ES3_mNS7_12zip_iteratorINS8_INS7_6detail15normal_iteratorINS7_10device_ptrIjEEEESJ_S9_S9_S9_S9_S9_S9_S9_S9_EEEEPSB_SM_NS0_5tupleIJNSE_INS8_ISJ_NS7_16discard_iteratorINS7_11use_defaultEEES9_S9_S9_S9_S9_S9_S9_S9_EEEESB_EEENSN_IJSM_SM_EEESB_PlJNSF_9not_fun_tINSF_14equal_to_valueISA_EEEEEEE10hipError_tPvRmT3_T4_T5_T6_T7_T9_mT8_P12ihipStream_tbDpT10_ENKUlT_T0_E_clISt17integral_constantIbLb0EES1J_EEDaS1E_S1F_EUlS1E_E_NS1_11comp_targetILNS1_3genE4ELNS1_11target_archE910ELNS1_3gpuE8ELNS1_3repE0EEENS1_30default_config_static_selectorELNS0_4arch9wavefront6targetE0EEEvT1_.has_indirect_call, 0
	.section	.AMDGPU.csdata,"",@progbits
; Kernel info:
; codeLenInByte = 0
; TotalNumSgprs: 0
; NumVgprs: 0
; ScratchSize: 0
; MemoryBound: 0
; FloatMode: 240
; IeeeMode: 1
; LDSByteSize: 0 bytes/workgroup (compile time only)
; SGPRBlocks: 0
; VGPRBlocks: 0
; NumSGPRsForWavesPerEU: 1
; NumVGPRsForWavesPerEU: 1
; Occupancy: 16
; WaveLimiterHint : 0
; COMPUTE_PGM_RSRC2:SCRATCH_EN: 0
; COMPUTE_PGM_RSRC2:USER_SGPR: 2
; COMPUTE_PGM_RSRC2:TRAP_HANDLER: 0
; COMPUTE_PGM_RSRC2:TGID_X_EN: 1
; COMPUTE_PGM_RSRC2:TGID_Y_EN: 0
; COMPUTE_PGM_RSRC2:TGID_Z_EN: 0
; COMPUTE_PGM_RSRC2:TIDIG_COMP_CNT: 0
	.section	.text._ZN7rocprim17ROCPRIM_400000_NS6detail17trampoline_kernelINS0_14default_configENS1_25partition_config_selectorILNS1_17partition_subalgoE6EN6thrust23THRUST_200600_302600_NS5tupleIjjNS7_9null_typeES9_S9_S9_S9_S9_S9_S9_EENS0_10empty_typeEbEEZZNS1_14partition_implILS5_6ELb0ES3_mNS7_12zip_iteratorINS8_INS7_6detail15normal_iteratorINS7_10device_ptrIjEEEESJ_S9_S9_S9_S9_S9_S9_S9_S9_EEEEPSB_SM_NS0_5tupleIJNSE_INS8_ISJ_NS7_16discard_iteratorINS7_11use_defaultEEES9_S9_S9_S9_S9_S9_S9_S9_EEEESB_EEENSN_IJSM_SM_EEESB_PlJNSF_9not_fun_tINSF_14equal_to_valueISA_EEEEEEE10hipError_tPvRmT3_T4_T5_T6_T7_T9_mT8_P12ihipStream_tbDpT10_ENKUlT_T0_E_clISt17integral_constantIbLb0EES1J_EEDaS1E_S1F_EUlS1E_E_NS1_11comp_targetILNS1_3genE3ELNS1_11target_archE908ELNS1_3gpuE7ELNS1_3repE0EEENS1_30default_config_static_selectorELNS0_4arch9wavefront6targetE0EEEvT1_,"axG",@progbits,_ZN7rocprim17ROCPRIM_400000_NS6detail17trampoline_kernelINS0_14default_configENS1_25partition_config_selectorILNS1_17partition_subalgoE6EN6thrust23THRUST_200600_302600_NS5tupleIjjNS7_9null_typeES9_S9_S9_S9_S9_S9_S9_EENS0_10empty_typeEbEEZZNS1_14partition_implILS5_6ELb0ES3_mNS7_12zip_iteratorINS8_INS7_6detail15normal_iteratorINS7_10device_ptrIjEEEESJ_S9_S9_S9_S9_S9_S9_S9_S9_EEEEPSB_SM_NS0_5tupleIJNSE_INS8_ISJ_NS7_16discard_iteratorINS7_11use_defaultEEES9_S9_S9_S9_S9_S9_S9_S9_EEEESB_EEENSN_IJSM_SM_EEESB_PlJNSF_9not_fun_tINSF_14equal_to_valueISA_EEEEEEE10hipError_tPvRmT3_T4_T5_T6_T7_T9_mT8_P12ihipStream_tbDpT10_ENKUlT_T0_E_clISt17integral_constantIbLb0EES1J_EEDaS1E_S1F_EUlS1E_E_NS1_11comp_targetILNS1_3genE3ELNS1_11target_archE908ELNS1_3gpuE7ELNS1_3repE0EEENS1_30default_config_static_selectorELNS0_4arch9wavefront6targetE0EEEvT1_,comdat
	.protected	_ZN7rocprim17ROCPRIM_400000_NS6detail17trampoline_kernelINS0_14default_configENS1_25partition_config_selectorILNS1_17partition_subalgoE6EN6thrust23THRUST_200600_302600_NS5tupleIjjNS7_9null_typeES9_S9_S9_S9_S9_S9_S9_EENS0_10empty_typeEbEEZZNS1_14partition_implILS5_6ELb0ES3_mNS7_12zip_iteratorINS8_INS7_6detail15normal_iteratorINS7_10device_ptrIjEEEESJ_S9_S9_S9_S9_S9_S9_S9_S9_EEEEPSB_SM_NS0_5tupleIJNSE_INS8_ISJ_NS7_16discard_iteratorINS7_11use_defaultEEES9_S9_S9_S9_S9_S9_S9_S9_EEEESB_EEENSN_IJSM_SM_EEESB_PlJNSF_9not_fun_tINSF_14equal_to_valueISA_EEEEEEE10hipError_tPvRmT3_T4_T5_T6_T7_T9_mT8_P12ihipStream_tbDpT10_ENKUlT_T0_E_clISt17integral_constantIbLb0EES1J_EEDaS1E_S1F_EUlS1E_E_NS1_11comp_targetILNS1_3genE3ELNS1_11target_archE908ELNS1_3gpuE7ELNS1_3repE0EEENS1_30default_config_static_selectorELNS0_4arch9wavefront6targetE0EEEvT1_ ; -- Begin function _ZN7rocprim17ROCPRIM_400000_NS6detail17trampoline_kernelINS0_14default_configENS1_25partition_config_selectorILNS1_17partition_subalgoE6EN6thrust23THRUST_200600_302600_NS5tupleIjjNS7_9null_typeES9_S9_S9_S9_S9_S9_S9_EENS0_10empty_typeEbEEZZNS1_14partition_implILS5_6ELb0ES3_mNS7_12zip_iteratorINS8_INS7_6detail15normal_iteratorINS7_10device_ptrIjEEEESJ_S9_S9_S9_S9_S9_S9_S9_S9_EEEEPSB_SM_NS0_5tupleIJNSE_INS8_ISJ_NS7_16discard_iteratorINS7_11use_defaultEEES9_S9_S9_S9_S9_S9_S9_S9_EEEESB_EEENSN_IJSM_SM_EEESB_PlJNSF_9not_fun_tINSF_14equal_to_valueISA_EEEEEEE10hipError_tPvRmT3_T4_T5_T6_T7_T9_mT8_P12ihipStream_tbDpT10_ENKUlT_T0_E_clISt17integral_constantIbLb0EES1J_EEDaS1E_S1F_EUlS1E_E_NS1_11comp_targetILNS1_3genE3ELNS1_11target_archE908ELNS1_3gpuE7ELNS1_3repE0EEENS1_30default_config_static_selectorELNS0_4arch9wavefront6targetE0EEEvT1_
	.globl	_ZN7rocprim17ROCPRIM_400000_NS6detail17trampoline_kernelINS0_14default_configENS1_25partition_config_selectorILNS1_17partition_subalgoE6EN6thrust23THRUST_200600_302600_NS5tupleIjjNS7_9null_typeES9_S9_S9_S9_S9_S9_S9_EENS0_10empty_typeEbEEZZNS1_14partition_implILS5_6ELb0ES3_mNS7_12zip_iteratorINS8_INS7_6detail15normal_iteratorINS7_10device_ptrIjEEEESJ_S9_S9_S9_S9_S9_S9_S9_S9_EEEEPSB_SM_NS0_5tupleIJNSE_INS8_ISJ_NS7_16discard_iteratorINS7_11use_defaultEEES9_S9_S9_S9_S9_S9_S9_S9_EEEESB_EEENSN_IJSM_SM_EEESB_PlJNSF_9not_fun_tINSF_14equal_to_valueISA_EEEEEEE10hipError_tPvRmT3_T4_T5_T6_T7_T9_mT8_P12ihipStream_tbDpT10_ENKUlT_T0_E_clISt17integral_constantIbLb0EES1J_EEDaS1E_S1F_EUlS1E_E_NS1_11comp_targetILNS1_3genE3ELNS1_11target_archE908ELNS1_3gpuE7ELNS1_3repE0EEENS1_30default_config_static_selectorELNS0_4arch9wavefront6targetE0EEEvT1_
	.p2align	8
	.type	_ZN7rocprim17ROCPRIM_400000_NS6detail17trampoline_kernelINS0_14default_configENS1_25partition_config_selectorILNS1_17partition_subalgoE6EN6thrust23THRUST_200600_302600_NS5tupleIjjNS7_9null_typeES9_S9_S9_S9_S9_S9_S9_EENS0_10empty_typeEbEEZZNS1_14partition_implILS5_6ELb0ES3_mNS7_12zip_iteratorINS8_INS7_6detail15normal_iteratorINS7_10device_ptrIjEEEESJ_S9_S9_S9_S9_S9_S9_S9_S9_EEEEPSB_SM_NS0_5tupleIJNSE_INS8_ISJ_NS7_16discard_iteratorINS7_11use_defaultEEES9_S9_S9_S9_S9_S9_S9_S9_EEEESB_EEENSN_IJSM_SM_EEESB_PlJNSF_9not_fun_tINSF_14equal_to_valueISA_EEEEEEE10hipError_tPvRmT3_T4_T5_T6_T7_T9_mT8_P12ihipStream_tbDpT10_ENKUlT_T0_E_clISt17integral_constantIbLb0EES1J_EEDaS1E_S1F_EUlS1E_E_NS1_11comp_targetILNS1_3genE3ELNS1_11target_archE908ELNS1_3gpuE7ELNS1_3repE0EEENS1_30default_config_static_selectorELNS0_4arch9wavefront6targetE0EEEvT1_,@function
_ZN7rocprim17ROCPRIM_400000_NS6detail17trampoline_kernelINS0_14default_configENS1_25partition_config_selectorILNS1_17partition_subalgoE6EN6thrust23THRUST_200600_302600_NS5tupleIjjNS7_9null_typeES9_S9_S9_S9_S9_S9_S9_EENS0_10empty_typeEbEEZZNS1_14partition_implILS5_6ELb0ES3_mNS7_12zip_iteratorINS8_INS7_6detail15normal_iteratorINS7_10device_ptrIjEEEESJ_S9_S9_S9_S9_S9_S9_S9_S9_EEEEPSB_SM_NS0_5tupleIJNSE_INS8_ISJ_NS7_16discard_iteratorINS7_11use_defaultEEES9_S9_S9_S9_S9_S9_S9_S9_EEEESB_EEENSN_IJSM_SM_EEESB_PlJNSF_9not_fun_tINSF_14equal_to_valueISA_EEEEEEE10hipError_tPvRmT3_T4_T5_T6_T7_T9_mT8_P12ihipStream_tbDpT10_ENKUlT_T0_E_clISt17integral_constantIbLb0EES1J_EEDaS1E_S1F_EUlS1E_E_NS1_11comp_targetILNS1_3genE3ELNS1_11target_archE908ELNS1_3gpuE7ELNS1_3repE0EEENS1_30default_config_static_selectorELNS0_4arch9wavefront6targetE0EEEvT1_: ; @_ZN7rocprim17ROCPRIM_400000_NS6detail17trampoline_kernelINS0_14default_configENS1_25partition_config_selectorILNS1_17partition_subalgoE6EN6thrust23THRUST_200600_302600_NS5tupleIjjNS7_9null_typeES9_S9_S9_S9_S9_S9_S9_EENS0_10empty_typeEbEEZZNS1_14partition_implILS5_6ELb0ES3_mNS7_12zip_iteratorINS8_INS7_6detail15normal_iteratorINS7_10device_ptrIjEEEESJ_S9_S9_S9_S9_S9_S9_S9_S9_EEEEPSB_SM_NS0_5tupleIJNSE_INS8_ISJ_NS7_16discard_iteratorINS7_11use_defaultEEES9_S9_S9_S9_S9_S9_S9_S9_EEEESB_EEENSN_IJSM_SM_EEESB_PlJNSF_9not_fun_tINSF_14equal_to_valueISA_EEEEEEE10hipError_tPvRmT3_T4_T5_T6_T7_T9_mT8_P12ihipStream_tbDpT10_ENKUlT_T0_E_clISt17integral_constantIbLb0EES1J_EEDaS1E_S1F_EUlS1E_E_NS1_11comp_targetILNS1_3genE3ELNS1_11target_archE908ELNS1_3gpuE7ELNS1_3repE0EEENS1_30default_config_static_selectorELNS0_4arch9wavefront6targetE0EEEvT1_
; %bb.0:
	.section	.rodata,"a",@progbits
	.p2align	6, 0x0
	.amdhsa_kernel _ZN7rocprim17ROCPRIM_400000_NS6detail17trampoline_kernelINS0_14default_configENS1_25partition_config_selectorILNS1_17partition_subalgoE6EN6thrust23THRUST_200600_302600_NS5tupleIjjNS7_9null_typeES9_S9_S9_S9_S9_S9_S9_EENS0_10empty_typeEbEEZZNS1_14partition_implILS5_6ELb0ES3_mNS7_12zip_iteratorINS8_INS7_6detail15normal_iteratorINS7_10device_ptrIjEEEESJ_S9_S9_S9_S9_S9_S9_S9_S9_EEEEPSB_SM_NS0_5tupleIJNSE_INS8_ISJ_NS7_16discard_iteratorINS7_11use_defaultEEES9_S9_S9_S9_S9_S9_S9_S9_EEEESB_EEENSN_IJSM_SM_EEESB_PlJNSF_9not_fun_tINSF_14equal_to_valueISA_EEEEEEE10hipError_tPvRmT3_T4_T5_T6_T7_T9_mT8_P12ihipStream_tbDpT10_ENKUlT_T0_E_clISt17integral_constantIbLb0EES1J_EEDaS1E_S1F_EUlS1E_E_NS1_11comp_targetILNS1_3genE3ELNS1_11target_archE908ELNS1_3gpuE7ELNS1_3repE0EEENS1_30default_config_static_selectorELNS0_4arch9wavefront6targetE0EEEvT1_
		.amdhsa_group_segment_fixed_size 0
		.amdhsa_private_segment_fixed_size 0
		.amdhsa_kernarg_size 144
		.amdhsa_user_sgpr_count 2
		.amdhsa_user_sgpr_dispatch_ptr 0
		.amdhsa_user_sgpr_queue_ptr 0
		.amdhsa_user_sgpr_kernarg_segment_ptr 1
		.amdhsa_user_sgpr_dispatch_id 0
		.amdhsa_user_sgpr_private_segment_size 0
		.amdhsa_wavefront_size32 1
		.amdhsa_uses_dynamic_stack 0
		.amdhsa_enable_private_segment 0
		.amdhsa_system_sgpr_workgroup_id_x 1
		.amdhsa_system_sgpr_workgroup_id_y 0
		.amdhsa_system_sgpr_workgroup_id_z 0
		.amdhsa_system_sgpr_workgroup_info 0
		.amdhsa_system_vgpr_workitem_id 0
		.amdhsa_next_free_vgpr 1
		.amdhsa_next_free_sgpr 1
		.amdhsa_reserve_vcc 0
		.amdhsa_float_round_mode_32 0
		.amdhsa_float_round_mode_16_64 0
		.amdhsa_float_denorm_mode_32 3
		.amdhsa_float_denorm_mode_16_64 3
		.amdhsa_fp16_overflow 0
		.amdhsa_workgroup_processor_mode 1
		.amdhsa_memory_ordered 1
		.amdhsa_forward_progress 1
		.amdhsa_inst_pref_size 0
		.amdhsa_round_robin_scheduling 0
		.amdhsa_exception_fp_ieee_invalid_op 0
		.amdhsa_exception_fp_denorm_src 0
		.amdhsa_exception_fp_ieee_div_zero 0
		.amdhsa_exception_fp_ieee_overflow 0
		.amdhsa_exception_fp_ieee_underflow 0
		.amdhsa_exception_fp_ieee_inexact 0
		.amdhsa_exception_int_div_zero 0
	.end_amdhsa_kernel
	.section	.text._ZN7rocprim17ROCPRIM_400000_NS6detail17trampoline_kernelINS0_14default_configENS1_25partition_config_selectorILNS1_17partition_subalgoE6EN6thrust23THRUST_200600_302600_NS5tupleIjjNS7_9null_typeES9_S9_S9_S9_S9_S9_S9_EENS0_10empty_typeEbEEZZNS1_14partition_implILS5_6ELb0ES3_mNS7_12zip_iteratorINS8_INS7_6detail15normal_iteratorINS7_10device_ptrIjEEEESJ_S9_S9_S9_S9_S9_S9_S9_S9_EEEEPSB_SM_NS0_5tupleIJNSE_INS8_ISJ_NS7_16discard_iteratorINS7_11use_defaultEEES9_S9_S9_S9_S9_S9_S9_S9_EEEESB_EEENSN_IJSM_SM_EEESB_PlJNSF_9not_fun_tINSF_14equal_to_valueISA_EEEEEEE10hipError_tPvRmT3_T4_T5_T6_T7_T9_mT8_P12ihipStream_tbDpT10_ENKUlT_T0_E_clISt17integral_constantIbLb0EES1J_EEDaS1E_S1F_EUlS1E_E_NS1_11comp_targetILNS1_3genE3ELNS1_11target_archE908ELNS1_3gpuE7ELNS1_3repE0EEENS1_30default_config_static_selectorELNS0_4arch9wavefront6targetE0EEEvT1_,"axG",@progbits,_ZN7rocprim17ROCPRIM_400000_NS6detail17trampoline_kernelINS0_14default_configENS1_25partition_config_selectorILNS1_17partition_subalgoE6EN6thrust23THRUST_200600_302600_NS5tupleIjjNS7_9null_typeES9_S9_S9_S9_S9_S9_S9_EENS0_10empty_typeEbEEZZNS1_14partition_implILS5_6ELb0ES3_mNS7_12zip_iteratorINS8_INS7_6detail15normal_iteratorINS7_10device_ptrIjEEEESJ_S9_S9_S9_S9_S9_S9_S9_S9_EEEEPSB_SM_NS0_5tupleIJNSE_INS8_ISJ_NS7_16discard_iteratorINS7_11use_defaultEEES9_S9_S9_S9_S9_S9_S9_S9_EEEESB_EEENSN_IJSM_SM_EEESB_PlJNSF_9not_fun_tINSF_14equal_to_valueISA_EEEEEEE10hipError_tPvRmT3_T4_T5_T6_T7_T9_mT8_P12ihipStream_tbDpT10_ENKUlT_T0_E_clISt17integral_constantIbLb0EES1J_EEDaS1E_S1F_EUlS1E_E_NS1_11comp_targetILNS1_3genE3ELNS1_11target_archE908ELNS1_3gpuE7ELNS1_3repE0EEENS1_30default_config_static_selectorELNS0_4arch9wavefront6targetE0EEEvT1_,comdat
.Lfunc_end1920:
	.size	_ZN7rocprim17ROCPRIM_400000_NS6detail17trampoline_kernelINS0_14default_configENS1_25partition_config_selectorILNS1_17partition_subalgoE6EN6thrust23THRUST_200600_302600_NS5tupleIjjNS7_9null_typeES9_S9_S9_S9_S9_S9_S9_EENS0_10empty_typeEbEEZZNS1_14partition_implILS5_6ELb0ES3_mNS7_12zip_iteratorINS8_INS7_6detail15normal_iteratorINS7_10device_ptrIjEEEESJ_S9_S9_S9_S9_S9_S9_S9_S9_EEEEPSB_SM_NS0_5tupleIJNSE_INS8_ISJ_NS7_16discard_iteratorINS7_11use_defaultEEES9_S9_S9_S9_S9_S9_S9_S9_EEEESB_EEENSN_IJSM_SM_EEESB_PlJNSF_9not_fun_tINSF_14equal_to_valueISA_EEEEEEE10hipError_tPvRmT3_T4_T5_T6_T7_T9_mT8_P12ihipStream_tbDpT10_ENKUlT_T0_E_clISt17integral_constantIbLb0EES1J_EEDaS1E_S1F_EUlS1E_E_NS1_11comp_targetILNS1_3genE3ELNS1_11target_archE908ELNS1_3gpuE7ELNS1_3repE0EEENS1_30default_config_static_selectorELNS0_4arch9wavefront6targetE0EEEvT1_, .Lfunc_end1920-_ZN7rocprim17ROCPRIM_400000_NS6detail17trampoline_kernelINS0_14default_configENS1_25partition_config_selectorILNS1_17partition_subalgoE6EN6thrust23THRUST_200600_302600_NS5tupleIjjNS7_9null_typeES9_S9_S9_S9_S9_S9_S9_EENS0_10empty_typeEbEEZZNS1_14partition_implILS5_6ELb0ES3_mNS7_12zip_iteratorINS8_INS7_6detail15normal_iteratorINS7_10device_ptrIjEEEESJ_S9_S9_S9_S9_S9_S9_S9_S9_EEEEPSB_SM_NS0_5tupleIJNSE_INS8_ISJ_NS7_16discard_iteratorINS7_11use_defaultEEES9_S9_S9_S9_S9_S9_S9_S9_EEEESB_EEENSN_IJSM_SM_EEESB_PlJNSF_9not_fun_tINSF_14equal_to_valueISA_EEEEEEE10hipError_tPvRmT3_T4_T5_T6_T7_T9_mT8_P12ihipStream_tbDpT10_ENKUlT_T0_E_clISt17integral_constantIbLb0EES1J_EEDaS1E_S1F_EUlS1E_E_NS1_11comp_targetILNS1_3genE3ELNS1_11target_archE908ELNS1_3gpuE7ELNS1_3repE0EEENS1_30default_config_static_selectorELNS0_4arch9wavefront6targetE0EEEvT1_
                                        ; -- End function
	.set _ZN7rocprim17ROCPRIM_400000_NS6detail17trampoline_kernelINS0_14default_configENS1_25partition_config_selectorILNS1_17partition_subalgoE6EN6thrust23THRUST_200600_302600_NS5tupleIjjNS7_9null_typeES9_S9_S9_S9_S9_S9_S9_EENS0_10empty_typeEbEEZZNS1_14partition_implILS5_6ELb0ES3_mNS7_12zip_iteratorINS8_INS7_6detail15normal_iteratorINS7_10device_ptrIjEEEESJ_S9_S9_S9_S9_S9_S9_S9_S9_EEEEPSB_SM_NS0_5tupleIJNSE_INS8_ISJ_NS7_16discard_iteratorINS7_11use_defaultEEES9_S9_S9_S9_S9_S9_S9_S9_EEEESB_EEENSN_IJSM_SM_EEESB_PlJNSF_9not_fun_tINSF_14equal_to_valueISA_EEEEEEE10hipError_tPvRmT3_T4_T5_T6_T7_T9_mT8_P12ihipStream_tbDpT10_ENKUlT_T0_E_clISt17integral_constantIbLb0EES1J_EEDaS1E_S1F_EUlS1E_E_NS1_11comp_targetILNS1_3genE3ELNS1_11target_archE908ELNS1_3gpuE7ELNS1_3repE0EEENS1_30default_config_static_selectorELNS0_4arch9wavefront6targetE0EEEvT1_.num_vgpr, 0
	.set _ZN7rocprim17ROCPRIM_400000_NS6detail17trampoline_kernelINS0_14default_configENS1_25partition_config_selectorILNS1_17partition_subalgoE6EN6thrust23THRUST_200600_302600_NS5tupleIjjNS7_9null_typeES9_S9_S9_S9_S9_S9_S9_EENS0_10empty_typeEbEEZZNS1_14partition_implILS5_6ELb0ES3_mNS7_12zip_iteratorINS8_INS7_6detail15normal_iteratorINS7_10device_ptrIjEEEESJ_S9_S9_S9_S9_S9_S9_S9_S9_EEEEPSB_SM_NS0_5tupleIJNSE_INS8_ISJ_NS7_16discard_iteratorINS7_11use_defaultEEES9_S9_S9_S9_S9_S9_S9_S9_EEEESB_EEENSN_IJSM_SM_EEESB_PlJNSF_9not_fun_tINSF_14equal_to_valueISA_EEEEEEE10hipError_tPvRmT3_T4_T5_T6_T7_T9_mT8_P12ihipStream_tbDpT10_ENKUlT_T0_E_clISt17integral_constantIbLb0EES1J_EEDaS1E_S1F_EUlS1E_E_NS1_11comp_targetILNS1_3genE3ELNS1_11target_archE908ELNS1_3gpuE7ELNS1_3repE0EEENS1_30default_config_static_selectorELNS0_4arch9wavefront6targetE0EEEvT1_.num_agpr, 0
	.set _ZN7rocprim17ROCPRIM_400000_NS6detail17trampoline_kernelINS0_14default_configENS1_25partition_config_selectorILNS1_17partition_subalgoE6EN6thrust23THRUST_200600_302600_NS5tupleIjjNS7_9null_typeES9_S9_S9_S9_S9_S9_S9_EENS0_10empty_typeEbEEZZNS1_14partition_implILS5_6ELb0ES3_mNS7_12zip_iteratorINS8_INS7_6detail15normal_iteratorINS7_10device_ptrIjEEEESJ_S9_S9_S9_S9_S9_S9_S9_S9_EEEEPSB_SM_NS0_5tupleIJNSE_INS8_ISJ_NS7_16discard_iteratorINS7_11use_defaultEEES9_S9_S9_S9_S9_S9_S9_S9_EEEESB_EEENSN_IJSM_SM_EEESB_PlJNSF_9not_fun_tINSF_14equal_to_valueISA_EEEEEEE10hipError_tPvRmT3_T4_T5_T6_T7_T9_mT8_P12ihipStream_tbDpT10_ENKUlT_T0_E_clISt17integral_constantIbLb0EES1J_EEDaS1E_S1F_EUlS1E_E_NS1_11comp_targetILNS1_3genE3ELNS1_11target_archE908ELNS1_3gpuE7ELNS1_3repE0EEENS1_30default_config_static_selectorELNS0_4arch9wavefront6targetE0EEEvT1_.numbered_sgpr, 0
	.set _ZN7rocprim17ROCPRIM_400000_NS6detail17trampoline_kernelINS0_14default_configENS1_25partition_config_selectorILNS1_17partition_subalgoE6EN6thrust23THRUST_200600_302600_NS5tupleIjjNS7_9null_typeES9_S9_S9_S9_S9_S9_S9_EENS0_10empty_typeEbEEZZNS1_14partition_implILS5_6ELb0ES3_mNS7_12zip_iteratorINS8_INS7_6detail15normal_iteratorINS7_10device_ptrIjEEEESJ_S9_S9_S9_S9_S9_S9_S9_S9_EEEEPSB_SM_NS0_5tupleIJNSE_INS8_ISJ_NS7_16discard_iteratorINS7_11use_defaultEEES9_S9_S9_S9_S9_S9_S9_S9_EEEESB_EEENSN_IJSM_SM_EEESB_PlJNSF_9not_fun_tINSF_14equal_to_valueISA_EEEEEEE10hipError_tPvRmT3_T4_T5_T6_T7_T9_mT8_P12ihipStream_tbDpT10_ENKUlT_T0_E_clISt17integral_constantIbLb0EES1J_EEDaS1E_S1F_EUlS1E_E_NS1_11comp_targetILNS1_3genE3ELNS1_11target_archE908ELNS1_3gpuE7ELNS1_3repE0EEENS1_30default_config_static_selectorELNS0_4arch9wavefront6targetE0EEEvT1_.num_named_barrier, 0
	.set _ZN7rocprim17ROCPRIM_400000_NS6detail17trampoline_kernelINS0_14default_configENS1_25partition_config_selectorILNS1_17partition_subalgoE6EN6thrust23THRUST_200600_302600_NS5tupleIjjNS7_9null_typeES9_S9_S9_S9_S9_S9_S9_EENS0_10empty_typeEbEEZZNS1_14partition_implILS5_6ELb0ES3_mNS7_12zip_iteratorINS8_INS7_6detail15normal_iteratorINS7_10device_ptrIjEEEESJ_S9_S9_S9_S9_S9_S9_S9_S9_EEEEPSB_SM_NS0_5tupleIJNSE_INS8_ISJ_NS7_16discard_iteratorINS7_11use_defaultEEES9_S9_S9_S9_S9_S9_S9_S9_EEEESB_EEENSN_IJSM_SM_EEESB_PlJNSF_9not_fun_tINSF_14equal_to_valueISA_EEEEEEE10hipError_tPvRmT3_T4_T5_T6_T7_T9_mT8_P12ihipStream_tbDpT10_ENKUlT_T0_E_clISt17integral_constantIbLb0EES1J_EEDaS1E_S1F_EUlS1E_E_NS1_11comp_targetILNS1_3genE3ELNS1_11target_archE908ELNS1_3gpuE7ELNS1_3repE0EEENS1_30default_config_static_selectorELNS0_4arch9wavefront6targetE0EEEvT1_.private_seg_size, 0
	.set _ZN7rocprim17ROCPRIM_400000_NS6detail17trampoline_kernelINS0_14default_configENS1_25partition_config_selectorILNS1_17partition_subalgoE6EN6thrust23THRUST_200600_302600_NS5tupleIjjNS7_9null_typeES9_S9_S9_S9_S9_S9_S9_EENS0_10empty_typeEbEEZZNS1_14partition_implILS5_6ELb0ES3_mNS7_12zip_iteratorINS8_INS7_6detail15normal_iteratorINS7_10device_ptrIjEEEESJ_S9_S9_S9_S9_S9_S9_S9_S9_EEEEPSB_SM_NS0_5tupleIJNSE_INS8_ISJ_NS7_16discard_iteratorINS7_11use_defaultEEES9_S9_S9_S9_S9_S9_S9_S9_EEEESB_EEENSN_IJSM_SM_EEESB_PlJNSF_9not_fun_tINSF_14equal_to_valueISA_EEEEEEE10hipError_tPvRmT3_T4_T5_T6_T7_T9_mT8_P12ihipStream_tbDpT10_ENKUlT_T0_E_clISt17integral_constantIbLb0EES1J_EEDaS1E_S1F_EUlS1E_E_NS1_11comp_targetILNS1_3genE3ELNS1_11target_archE908ELNS1_3gpuE7ELNS1_3repE0EEENS1_30default_config_static_selectorELNS0_4arch9wavefront6targetE0EEEvT1_.uses_vcc, 0
	.set _ZN7rocprim17ROCPRIM_400000_NS6detail17trampoline_kernelINS0_14default_configENS1_25partition_config_selectorILNS1_17partition_subalgoE6EN6thrust23THRUST_200600_302600_NS5tupleIjjNS7_9null_typeES9_S9_S9_S9_S9_S9_S9_EENS0_10empty_typeEbEEZZNS1_14partition_implILS5_6ELb0ES3_mNS7_12zip_iteratorINS8_INS7_6detail15normal_iteratorINS7_10device_ptrIjEEEESJ_S9_S9_S9_S9_S9_S9_S9_S9_EEEEPSB_SM_NS0_5tupleIJNSE_INS8_ISJ_NS7_16discard_iteratorINS7_11use_defaultEEES9_S9_S9_S9_S9_S9_S9_S9_EEEESB_EEENSN_IJSM_SM_EEESB_PlJNSF_9not_fun_tINSF_14equal_to_valueISA_EEEEEEE10hipError_tPvRmT3_T4_T5_T6_T7_T9_mT8_P12ihipStream_tbDpT10_ENKUlT_T0_E_clISt17integral_constantIbLb0EES1J_EEDaS1E_S1F_EUlS1E_E_NS1_11comp_targetILNS1_3genE3ELNS1_11target_archE908ELNS1_3gpuE7ELNS1_3repE0EEENS1_30default_config_static_selectorELNS0_4arch9wavefront6targetE0EEEvT1_.uses_flat_scratch, 0
	.set _ZN7rocprim17ROCPRIM_400000_NS6detail17trampoline_kernelINS0_14default_configENS1_25partition_config_selectorILNS1_17partition_subalgoE6EN6thrust23THRUST_200600_302600_NS5tupleIjjNS7_9null_typeES9_S9_S9_S9_S9_S9_S9_EENS0_10empty_typeEbEEZZNS1_14partition_implILS5_6ELb0ES3_mNS7_12zip_iteratorINS8_INS7_6detail15normal_iteratorINS7_10device_ptrIjEEEESJ_S9_S9_S9_S9_S9_S9_S9_S9_EEEEPSB_SM_NS0_5tupleIJNSE_INS8_ISJ_NS7_16discard_iteratorINS7_11use_defaultEEES9_S9_S9_S9_S9_S9_S9_S9_EEEESB_EEENSN_IJSM_SM_EEESB_PlJNSF_9not_fun_tINSF_14equal_to_valueISA_EEEEEEE10hipError_tPvRmT3_T4_T5_T6_T7_T9_mT8_P12ihipStream_tbDpT10_ENKUlT_T0_E_clISt17integral_constantIbLb0EES1J_EEDaS1E_S1F_EUlS1E_E_NS1_11comp_targetILNS1_3genE3ELNS1_11target_archE908ELNS1_3gpuE7ELNS1_3repE0EEENS1_30default_config_static_selectorELNS0_4arch9wavefront6targetE0EEEvT1_.has_dyn_sized_stack, 0
	.set _ZN7rocprim17ROCPRIM_400000_NS6detail17trampoline_kernelINS0_14default_configENS1_25partition_config_selectorILNS1_17partition_subalgoE6EN6thrust23THRUST_200600_302600_NS5tupleIjjNS7_9null_typeES9_S9_S9_S9_S9_S9_S9_EENS0_10empty_typeEbEEZZNS1_14partition_implILS5_6ELb0ES3_mNS7_12zip_iteratorINS8_INS7_6detail15normal_iteratorINS7_10device_ptrIjEEEESJ_S9_S9_S9_S9_S9_S9_S9_S9_EEEEPSB_SM_NS0_5tupleIJNSE_INS8_ISJ_NS7_16discard_iteratorINS7_11use_defaultEEES9_S9_S9_S9_S9_S9_S9_S9_EEEESB_EEENSN_IJSM_SM_EEESB_PlJNSF_9not_fun_tINSF_14equal_to_valueISA_EEEEEEE10hipError_tPvRmT3_T4_T5_T6_T7_T9_mT8_P12ihipStream_tbDpT10_ENKUlT_T0_E_clISt17integral_constantIbLb0EES1J_EEDaS1E_S1F_EUlS1E_E_NS1_11comp_targetILNS1_3genE3ELNS1_11target_archE908ELNS1_3gpuE7ELNS1_3repE0EEENS1_30default_config_static_selectorELNS0_4arch9wavefront6targetE0EEEvT1_.has_recursion, 0
	.set _ZN7rocprim17ROCPRIM_400000_NS6detail17trampoline_kernelINS0_14default_configENS1_25partition_config_selectorILNS1_17partition_subalgoE6EN6thrust23THRUST_200600_302600_NS5tupleIjjNS7_9null_typeES9_S9_S9_S9_S9_S9_S9_EENS0_10empty_typeEbEEZZNS1_14partition_implILS5_6ELb0ES3_mNS7_12zip_iteratorINS8_INS7_6detail15normal_iteratorINS7_10device_ptrIjEEEESJ_S9_S9_S9_S9_S9_S9_S9_S9_EEEEPSB_SM_NS0_5tupleIJNSE_INS8_ISJ_NS7_16discard_iteratorINS7_11use_defaultEEES9_S9_S9_S9_S9_S9_S9_S9_EEEESB_EEENSN_IJSM_SM_EEESB_PlJNSF_9not_fun_tINSF_14equal_to_valueISA_EEEEEEE10hipError_tPvRmT3_T4_T5_T6_T7_T9_mT8_P12ihipStream_tbDpT10_ENKUlT_T0_E_clISt17integral_constantIbLb0EES1J_EEDaS1E_S1F_EUlS1E_E_NS1_11comp_targetILNS1_3genE3ELNS1_11target_archE908ELNS1_3gpuE7ELNS1_3repE0EEENS1_30default_config_static_selectorELNS0_4arch9wavefront6targetE0EEEvT1_.has_indirect_call, 0
	.section	.AMDGPU.csdata,"",@progbits
; Kernel info:
; codeLenInByte = 0
; TotalNumSgprs: 0
; NumVgprs: 0
; ScratchSize: 0
; MemoryBound: 0
; FloatMode: 240
; IeeeMode: 1
; LDSByteSize: 0 bytes/workgroup (compile time only)
; SGPRBlocks: 0
; VGPRBlocks: 0
; NumSGPRsForWavesPerEU: 1
; NumVGPRsForWavesPerEU: 1
; Occupancy: 16
; WaveLimiterHint : 0
; COMPUTE_PGM_RSRC2:SCRATCH_EN: 0
; COMPUTE_PGM_RSRC2:USER_SGPR: 2
; COMPUTE_PGM_RSRC2:TRAP_HANDLER: 0
; COMPUTE_PGM_RSRC2:TGID_X_EN: 1
; COMPUTE_PGM_RSRC2:TGID_Y_EN: 0
; COMPUTE_PGM_RSRC2:TGID_Z_EN: 0
; COMPUTE_PGM_RSRC2:TIDIG_COMP_CNT: 0
	.section	.text._ZN7rocprim17ROCPRIM_400000_NS6detail17trampoline_kernelINS0_14default_configENS1_25partition_config_selectorILNS1_17partition_subalgoE6EN6thrust23THRUST_200600_302600_NS5tupleIjjNS7_9null_typeES9_S9_S9_S9_S9_S9_S9_EENS0_10empty_typeEbEEZZNS1_14partition_implILS5_6ELb0ES3_mNS7_12zip_iteratorINS8_INS7_6detail15normal_iteratorINS7_10device_ptrIjEEEESJ_S9_S9_S9_S9_S9_S9_S9_S9_EEEEPSB_SM_NS0_5tupleIJNSE_INS8_ISJ_NS7_16discard_iteratorINS7_11use_defaultEEES9_S9_S9_S9_S9_S9_S9_S9_EEEESB_EEENSN_IJSM_SM_EEESB_PlJNSF_9not_fun_tINSF_14equal_to_valueISA_EEEEEEE10hipError_tPvRmT3_T4_T5_T6_T7_T9_mT8_P12ihipStream_tbDpT10_ENKUlT_T0_E_clISt17integral_constantIbLb0EES1J_EEDaS1E_S1F_EUlS1E_E_NS1_11comp_targetILNS1_3genE2ELNS1_11target_archE906ELNS1_3gpuE6ELNS1_3repE0EEENS1_30default_config_static_selectorELNS0_4arch9wavefront6targetE0EEEvT1_,"axG",@progbits,_ZN7rocprim17ROCPRIM_400000_NS6detail17trampoline_kernelINS0_14default_configENS1_25partition_config_selectorILNS1_17partition_subalgoE6EN6thrust23THRUST_200600_302600_NS5tupleIjjNS7_9null_typeES9_S9_S9_S9_S9_S9_S9_EENS0_10empty_typeEbEEZZNS1_14partition_implILS5_6ELb0ES3_mNS7_12zip_iteratorINS8_INS7_6detail15normal_iteratorINS7_10device_ptrIjEEEESJ_S9_S9_S9_S9_S9_S9_S9_S9_EEEEPSB_SM_NS0_5tupleIJNSE_INS8_ISJ_NS7_16discard_iteratorINS7_11use_defaultEEES9_S9_S9_S9_S9_S9_S9_S9_EEEESB_EEENSN_IJSM_SM_EEESB_PlJNSF_9not_fun_tINSF_14equal_to_valueISA_EEEEEEE10hipError_tPvRmT3_T4_T5_T6_T7_T9_mT8_P12ihipStream_tbDpT10_ENKUlT_T0_E_clISt17integral_constantIbLb0EES1J_EEDaS1E_S1F_EUlS1E_E_NS1_11comp_targetILNS1_3genE2ELNS1_11target_archE906ELNS1_3gpuE6ELNS1_3repE0EEENS1_30default_config_static_selectorELNS0_4arch9wavefront6targetE0EEEvT1_,comdat
	.protected	_ZN7rocprim17ROCPRIM_400000_NS6detail17trampoline_kernelINS0_14default_configENS1_25partition_config_selectorILNS1_17partition_subalgoE6EN6thrust23THRUST_200600_302600_NS5tupleIjjNS7_9null_typeES9_S9_S9_S9_S9_S9_S9_EENS0_10empty_typeEbEEZZNS1_14partition_implILS5_6ELb0ES3_mNS7_12zip_iteratorINS8_INS7_6detail15normal_iteratorINS7_10device_ptrIjEEEESJ_S9_S9_S9_S9_S9_S9_S9_S9_EEEEPSB_SM_NS0_5tupleIJNSE_INS8_ISJ_NS7_16discard_iteratorINS7_11use_defaultEEES9_S9_S9_S9_S9_S9_S9_S9_EEEESB_EEENSN_IJSM_SM_EEESB_PlJNSF_9not_fun_tINSF_14equal_to_valueISA_EEEEEEE10hipError_tPvRmT3_T4_T5_T6_T7_T9_mT8_P12ihipStream_tbDpT10_ENKUlT_T0_E_clISt17integral_constantIbLb0EES1J_EEDaS1E_S1F_EUlS1E_E_NS1_11comp_targetILNS1_3genE2ELNS1_11target_archE906ELNS1_3gpuE6ELNS1_3repE0EEENS1_30default_config_static_selectorELNS0_4arch9wavefront6targetE0EEEvT1_ ; -- Begin function _ZN7rocprim17ROCPRIM_400000_NS6detail17trampoline_kernelINS0_14default_configENS1_25partition_config_selectorILNS1_17partition_subalgoE6EN6thrust23THRUST_200600_302600_NS5tupleIjjNS7_9null_typeES9_S9_S9_S9_S9_S9_S9_EENS0_10empty_typeEbEEZZNS1_14partition_implILS5_6ELb0ES3_mNS7_12zip_iteratorINS8_INS7_6detail15normal_iteratorINS7_10device_ptrIjEEEESJ_S9_S9_S9_S9_S9_S9_S9_S9_EEEEPSB_SM_NS0_5tupleIJNSE_INS8_ISJ_NS7_16discard_iteratorINS7_11use_defaultEEES9_S9_S9_S9_S9_S9_S9_S9_EEEESB_EEENSN_IJSM_SM_EEESB_PlJNSF_9not_fun_tINSF_14equal_to_valueISA_EEEEEEE10hipError_tPvRmT3_T4_T5_T6_T7_T9_mT8_P12ihipStream_tbDpT10_ENKUlT_T0_E_clISt17integral_constantIbLb0EES1J_EEDaS1E_S1F_EUlS1E_E_NS1_11comp_targetILNS1_3genE2ELNS1_11target_archE906ELNS1_3gpuE6ELNS1_3repE0EEENS1_30default_config_static_selectorELNS0_4arch9wavefront6targetE0EEEvT1_
	.globl	_ZN7rocprim17ROCPRIM_400000_NS6detail17trampoline_kernelINS0_14default_configENS1_25partition_config_selectorILNS1_17partition_subalgoE6EN6thrust23THRUST_200600_302600_NS5tupleIjjNS7_9null_typeES9_S9_S9_S9_S9_S9_S9_EENS0_10empty_typeEbEEZZNS1_14partition_implILS5_6ELb0ES3_mNS7_12zip_iteratorINS8_INS7_6detail15normal_iteratorINS7_10device_ptrIjEEEESJ_S9_S9_S9_S9_S9_S9_S9_S9_EEEEPSB_SM_NS0_5tupleIJNSE_INS8_ISJ_NS7_16discard_iteratorINS7_11use_defaultEEES9_S9_S9_S9_S9_S9_S9_S9_EEEESB_EEENSN_IJSM_SM_EEESB_PlJNSF_9not_fun_tINSF_14equal_to_valueISA_EEEEEEE10hipError_tPvRmT3_T4_T5_T6_T7_T9_mT8_P12ihipStream_tbDpT10_ENKUlT_T0_E_clISt17integral_constantIbLb0EES1J_EEDaS1E_S1F_EUlS1E_E_NS1_11comp_targetILNS1_3genE2ELNS1_11target_archE906ELNS1_3gpuE6ELNS1_3repE0EEENS1_30default_config_static_selectorELNS0_4arch9wavefront6targetE0EEEvT1_
	.p2align	8
	.type	_ZN7rocprim17ROCPRIM_400000_NS6detail17trampoline_kernelINS0_14default_configENS1_25partition_config_selectorILNS1_17partition_subalgoE6EN6thrust23THRUST_200600_302600_NS5tupleIjjNS7_9null_typeES9_S9_S9_S9_S9_S9_S9_EENS0_10empty_typeEbEEZZNS1_14partition_implILS5_6ELb0ES3_mNS7_12zip_iteratorINS8_INS7_6detail15normal_iteratorINS7_10device_ptrIjEEEESJ_S9_S9_S9_S9_S9_S9_S9_S9_EEEEPSB_SM_NS0_5tupleIJNSE_INS8_ISJ_NS7_16discard_iteratorINS7_11use_defaultEEES9_S9_S9_S9_S9_S9_S9_S9_EEEESB_EEENSN_IJSM_SM_EEESB_PlJNSF_9not_fun_tINSF_14equal_to_valueISA_EEEEEEE10hipError_tPvRmT3_T4_T5_T6_T7_T9_mT8_P12ihipStream_tbDpT10_ENKUlT_T0_E_clISt17integral_constantIbLb0EES1J_EEDaS1E_S1F_EUlS1E_E_NS1_11comp_targetILNS1_3genE2ELNS1_11target_archE906ELNS1_3gpuE6ELNS1_3repE0EEENS1_30default_config_static_selectorELNS0_4arch9wavefront6targetE0EEEvT1_,@function
_ZN7rocprim17ROCPRIM_400000_NS6detail17trampoline_kernelINS0_14default_configENS1_25partition_config_selectorILNS1_17partition_subalgoE6EN6thrust23THRUST_200600_302600_NS5tupleIjjNS7_9null_typeES9_S9_S9_S9_S9_S9_S9_EENS0_10empty_typeEbEEZZNS1_14partition_implILS5_6ELb0ES3_mNS7_12zip_iteratorINS8_INS7_6detail15normal_iteratorINS7_10device_ptrIjEEEESJ_S9_S9_S9_S9_S9_S9_S9_S9_EEEEPSB_SM_NS0_5tupleIJNSE_INS8_ISJ_NS7_16discard_iteratorINS7_11use_defaultEEES9_S9_S9_S9_S9_S9_S9_S9_EEEESB_EEENSN_IJSM_SM_EEESB_PlJNSF_9not_fun_tINSF_14equal_to_valueISA_EEEEEEE10hipError_tPvRmT3_T4_T5_T6_T7_T9_mT8_P12ihipStream_tbDpT10_ENKUlT_T0_E_clISt17integral_constantIbLb0EES1J_EEDaS1E_S1F_EUlS1E_E_NS1_11comp_targetILNS1_3genE2ELNS1_11target_archE906ELNS1_3gpuE6ELNS1_3repE0EEENS1_30default_config_static_selectorELNS0_4arch9wavefront6targetE0EEEvT1_: ; @_ZN7rocprim17ROCPRIM_400000_NS6detail17trampoline_kernelINS0_14default_configENS1_25partition_config_selectorILNS1_17partition_subalgoE6EN6thrust23THRUST_200600_302600_NS5tupleIjjNS7_9null_typeES9_S9_S9_S9_S9_S9_S9_EENS0_10empty_typeEbEEZZNS1_14partition_implILS5_6ELb0ES3_mNS7_12zip_iteratorINS8_INS7_6detail15normal_iteratorINS7_10device_ptrIjEEEESJ_S9_S9_S9_S9_S9_S9_S9_S9_EEEEPSB_SM_NS0_5tupleIJNSE_INS8_ISJ_NS7_16discard_iteratorINS7_11use_defaultEEES9_S9_S9_S9_S9_S9_S9_S9_EEEESB_EEENSN_IJSM_SM_EEESB_PlJNSF_9not_fun_tINSF_14equal_to_valueISA_EEEEEEE10hipError_tPvRmT3_T4_T5_T6_T7_T9_mT8_P12ihipStream_tbDpT10_ENKUlT_T0_E_clISt17integral_constantIbLb0EES1J_EEDaS1E_S1F_EUlS1E_E_NS1_11comp_targetILNS1_3genE2ELNS1_11target_archE906ELNS1_3gpuE6ELNS1_3repE0EEENS1_30default_config_static_selectorELNS0_4arch9wavefront6targetE0EEEvT1_
; %bb.0:
	.section	.rodata,"a",@progbits
	.p2align	6, 0x0
	.amdhsa_kernel _ZN7rocprim17ROCPRIM_400000_NS6detail17trampoline_kernelINS0_14default_configENS1_25partition_config_selectorILNS1_17partition_subalgoE6EN6thrust23THRUST_200600_302600_NS5tupleIjjNS7_9null_typeES9_S9_S9_S9_S9_S9_S9_EENS0_10empty_typeEbEEZZNS1_14partition_implILS5_6ELb0ES3_mNS7_12zip_iteratorINS8_INS7_6detail15normal_iteratorINS7_10device_ptrIjEEEESJ_S9_S9_S9_S9_S9_S9_S9_S9_EEEEPSB_SM_NS0_5tupleIJNSE_INS8_ISJ_NS7_16discard_iteratorINS7_11use_defaultEEES9_S9_S9_S9_S9_S9_S9_S9_EEEESB_EEENSN_IJSM_SM_EEESB_PlJNSF_9not_fun_tINSF_14equal_to_valueISA_EEEEEEE10hipError_tPvRmT3_T4_T5_T6_T7_T9_mT8_P12ihipStream_tbDpT10_ENKUlT_T0_E_clISt17integral_constantIbLb0EES1J_EEDaS1E_S1F_EUlS1E_E_NS1_11comp_targetILNS1_3genE2ELNS1_11target_archE906ELNS1_3gpuE6ELNS1_3repE0EEENS1_30default_config_static_selectorELNS0_4arch9wavefront6targetE0EEEvT1_
		.amdhsa_group_segment_fixed_size 0
		.amdhsa_private_segment_fixed_size 0
		.amdhsa_kernarg_size 144
		.amdhsa_user_sgpr_count 2
		.amdhsa_user_sgpr_dispatch_ptr 0
		.amdhsa_user_sgpr_queue_ptr 0
		.amdhsa_user_sgpr_kernarg_segment_ptr 1
		.amdhsa_user_sgpr_dispatch_id 0
		.amdhsa_user_sgpr_private_segment_size 0
		.amdhsa_wavefront_size32 1
		.amdhsa_uses_dynamic_stack 0
		.amdhsa_enable_private_segment 0
		.amdhsa_system_sgpr_workgroup_id_x 1
		.amdhsa_system_sgpr_workgroup_id_y 0
		.amdhsa_system_sgpr_workgroup_id_z 0
		.amdhsa_system_sgpr_workgroup_info 0
		.amdhsa_system_vgpr_workitem_id 0
		.amdhsa_next_free_vgpr 1
		.amdhsa_next_free_sgpr 1
		.amdhsa_reserve_vcc 0
		.amdhsa_float_round_mode_32 0
		.amdhsa_float_round_mode_16_64 0
		.amdhsa_float_denorm_mode_32 3
		.amdhsa_float_denorm_mode_16_64 3
		.amdhsa_fp16_overflow 0
		.amdhsa_workgroup_processor_mode 1
		.amdhsa_memory_ordered 1
		.amdhsa_forward_progress 1
		.amdhsa_inst_pref_size 0
		.amdhsa_round_robin_scheduling 0
		.amdhsa_exception_fp_ieee_invalid_op 0
		.amdhsa_exception_fp_denorm_src 0
		.amdhsa_exception_fp_ieee_div_zero 0
		.amdhsa_exception_fp_ieee_overflow 0
		.amdhsa_exception_fp_ieee_underflow 0
		.amdhsa_exception_fp_ieee_inexact 0
		.amdhsa_exception_int_div_zero 0
	.end_amdhsa_kernel
	.section	.text._ZN7rocprim17ROCPRIM_400000_NS6detail17trampoline_kernelINS0_14default_configENS1_25partition_config_selectorILNS1_17partition_subalgoE6EN6thrust23THRUST_200600_302600_NS5tupleIjjNS7_9null_typeES9_S9_S9_S9_S9_S9_S9_EENS0_10empty_typeEbEEZZNS1_14partition_implILS5_6ELb0ES3_mNS7_12zip_iteratorINS8_INS7_6detail15normal_iteratorINS7_10device_ptrIjEEEESJ_S9_S9_S9_S9_S9_S9_S9_S9_EEEEPSB_SM_NS0_5tupleIJNSE_INS8_ISJ_NS7_16discard_iteratorINS7_11use_defaultEEES9_S9_S9_S9_S9_S9_S9_S9_EEEESB_EEENSN_IJSM_SM_EEESB_PlJNSF_9not_fun_tINSF_14equal_to_valueISA_EEEEEEE10hipError_tPvRmT3_T4_T5_T6_T7_T9_mT8_P12ihipStream_tbDpT10_ENKUlT_T0_E_clISt17integral_constantIbLb0EES1J_EEDaS1E_S1F_EUlS1E_E_NS1_11comp_targetILNS1_3genE2ELNS1_11target_archE906ELNS1_3gpuE6ELNS1_3repE0EEENS1_30default_config_static_selectorELNS0_4arch9wavefront6targetE0EEEvT1_,"axG",@progbits,_ZN7rocprim17ROCPRIM_400000_NS6detail17trampoline_kernelINS0_14default_configENS1_25partition_config_selectorILNS1_17partition_subalgoE6EN6thrust23THRUST_200600_302600_NS5tupleIjjNS7_9null_typeES9_S9_S9_S9_S9_S9_S9_EENS0_10empty_typeEbEEZZNS1_14partition_implILS5_6ELb0ES3_mNS7_12zip_iteratorINS8_INS7_6detail15normal_iteratorINS7_10device_ptrIjEEEESJ_S9_S9_S9_S9_S9_S9_S9_S9_EEEEPSB_SM_NS0_5tupleIJNSE_INS8_ISJ_NS7_16discard_iteratorINS7_11use_defaultEEES9_S9_S9_S9_S9_S9_S9_S9_EEEESB_EEENSN_IJSM_SM_EEESB_PlJNSF_9not_fun_tINSF_14equal_to_valueISA_EEEEEEE10hipError_tPvRmT3_T4_T5_T6_T7_T9_mT8_P12ihipStream_tbDpT10_ENKUlT_T0_E_clISt17integral_constantIbLb0EES1J_EEDaS1E_S1F_EUlS1E_E_NS1_11comp_targetILNS1_3genE2ELNS1_11target_archE906ELNS1_3gpuE6ELNS1_3repE0EEENS1_30default_config_static_selectorELNS0_4arch9wavefront6targetE0EEEvT1_,comdat
.Lfunc_end1921:
	.size	_ZN7rocprim17ROCPRIM_400000_NS6detail17trampoline_kernelINS0_14default_configENS1_25partition_config_selectorILNS1_17partition_subalgoE6EN6thrust23THRUST_200600_302600_NS5tupleIjjNS7_9null_typeES9_S9_S9_S9_S9_S9_S9_EENS0_10empty_typeEbEEZZNS1_14partition_implILS5_6ELb0ES3_mNS7_12zip_iteratorINS8_INS7_6detail15normal_iteratorINS7_10device_ptrIjEEEESJ_S9_S9_S9_S9_S9_S9_S9_S9_EEEEPSB_SM_NS0_5tupleIJNSE_INS8_ISJ_NS7_16discard_iteratorINS7_11use_defaultEEES9_S9_S9_S9_S9_S9_S9_S9_EEEESB_EEENSN_IJSM_SM_EEESB_PlJNSF_9not_fun_tINSF_14equal_to_valueISA_EEEEEEE10hipError_tPvRmT3_T4_T5_T6_T7_T9_mT8_P12ihipStream_tbDpT10_ENKUlT_T0_E_clISt17integral_constantIbLb0EES1J_EEDaS1E_S1F_EUlS1E_E_NS1_11comp_targetILNS1_3genE2ELNS1_11target_archE906ELNS1_3gpuE6ELNS1_3repE0EEENS1_30default_config_static_selectorELNS0_4arch9wavefront6targetE0EEEvT1_, .Lfunc_end1921-_ZN7rocprim17ROCPRIM_400000_NS6detail17trampoline_kernelINS0_14default_configENS1_25partition_config_selectorILNS1_17partition_subalgoE6EN6thrust23THRUST_200600_302600_NS5tupleIjjNS7_9null_typeES9_S9_S9_S9_S9_S9_S9_EENS0_10empty_typeEbEEZZNS1_14partition_implILS5_6ELb0ES3_mNS7_12zip_iteratorINS8_INS7_6detail15normal_iteratorINS7_10device_ptrIjEEEESJ_S9_S9_S9_S9_S9_S9_S9_S9_EEEEPSB_SM_NS0_5tupleIJNSE_INS8_ISJ_NS7_16discard_iteratorINS7_11use_defaultEEES9_S9_S9_S9_S9_S9_S9_S9_EEEESB_EEENSN_IJSM_SM_EEESB_PlJNSF_9not_fun_tINSF_14equal_to_valueISA_EEEEEEE10hipError_tPvRmT3_T4_T5_T6_T7_T9_mT8_P12ihipStream_tbDpT10_ENKUlT_T0_E_clISt17integral_constantIbLb0EES1J_EEDaS1E_S1F_EUlS1E_E_NS1_11comp_targetILNS1_3genE2ELNS1_11target_archE906ELNS1_3gpuE6ELNS1_3repE0EEENS1_30default_config_static_selectorELNS0_4arch9wavefront6targetE0EEEvT1_
                                        ; -- End function
	.set _ZN7rocprim17ROCPRIM_400000_NS6detail17trampoline_kernelINS0_14default_configENS1_25partition_config_selectorILNS1_17partition_subalgoE6EN6thrust23THRUST_200600_302600_NS5tupleIjjNS7_9null_typeES9_S9_S9_S9_S9_S9_S9_EENS0_10empty_typeEbEEZZNS1_14partition_implILS5_6ELb0ES3_mNS7_12zip_iteratorINS8_INS7_6detail15normal_iteratorINS7_10device_ptrIjEEEESJ_S9_S9_S9_S9_S9_S9_S9_S9_EEEEPSB_SM_NS0_5tupleIJNSE_INS8_ISJ_NS7_16discard_iteratorINS7_11use_defaultEEES9_S9_S9_S9_S9_S9_S9_S9_EEEESB_EEENSN_IJSM_SM_EEESB_PlJNSF_9not_fun_tINSF_14equal_to_valueISA_EEEEEEE10hipError_tPvRmT3_T4_T5_T6_T7_T9_mT8_P12ihipStream_tbDpT10_ENKUlT_T0_E_clISt17integral_constantIbLb0EES1J_EEDaS1E_S1F_EUlS1E_E_NS1_11comp_targetILNS1_3genE2ELNS1_11target_archE906ELNS1_3gpuE6ELNS1_3repE0EEENS1_30default_config_static_selectorELNS0_4arch9wavefront6targetE0EEEvT1_.num_vgpr, 0
	.set _ZN7rocprim17ROCPRIM_400000_NS6detail17trampoline_kernelINS0_14default_configENS1_25partition_config_selectorILNS1_17partition_subalgoE6EN6thrust23THRUST_200600_302600_NS5tupleIjjNS7_9null_typeES9_S9_S9_S9_S9_S9_S9_EENS0_10empty_typeEbEEZZNS1_14partition_implILS5_6ELb0ES3_mNS7_12zip_iteratorINS8_INS7_6detail15normal_iteratorINS7_10device_ptrIjEEEESJ_S9_S9_S9_S9_S9_S9_S9_S9_EEEEPSB_SM_NS0_5tupleIJNSE_INS8_ISJ_NS7_16discard_iteratorINS7_11use_defaultEEES9_S9_S9_S9_S9_S9_S9_S9_EEEESB_EEENSN_IJSM_SM_EEESB_PlJNSF_9not_fun_tINSF_14equal_to_valueISA_EEEEEEE10hipError_tPvRmT3_T4_T5_T6_T7_T9_mT8_P12ihipStream_tbDpT10_ENKUlT_T0_E_clISt17integral_constantIbLb0EES1J_EEDaS1E_S1F_EUlS1E_E_NS1_11comp_targetILNS1_3genE2ELNS1_11target_archE906ELNS1_3gpuE6ELNS1_3repE0EEENS1_30default_config_static_selectorELNS0_4arch9wavefront6targetE0EEEvT1_.num_agpr, 0
	.set _ZN7rocprim17ROCPRIM_400000_NS6detail17trampoline_kernelINS0_14default_configENS1_25partition_config_selectorILNS1_17partition_subalgoE6EN6thrust23THRUST_200600_302600_NS5tupleIjjNS7_9null_typeES9_S9_S9_S9_S9_S9_S9_EENS0_10empty_typeEbEEZZNS1_14partition_implILS5_6ELb0ES3_mNS7_12zip_iteratorINS8_INS7_6detail15normal_iteratorINS7_10device_ptrIjEEEESJ_S9_S9_S9_S9_S9_S9_S9_S9_EEEEPSB_SM_NS0_5tupleIJNSE_INS8_ISJ_NS7_16discard_iteratorINS7_11use_defaultEEES9_S9_S9_S9_S9_S9_S9_S9_EEEESB_EEENSN_IJSM_SM_EEESB_PlJNSF_9not_fun_tINSF_14equal_to_valueISA_EEEEEEE10hipError_tPvRmT3_T4_T5_T6_T7_T9_mT8_P12ihipStream_tbDpT10_ENKUlT_T0_E_clISt17integral_constantIbLb0EES1J_EEDaS1E_S1F_EUlS1E_E_NS1_11comp_targetILNS1_3genE2ELNS1_11target_archE906ELNS1_3gpuE6ELNS1_3repE0EEENS1_30default_config_static_selectorELNS0_4arch9wavefront6targetE0EEEvT1_.numbered_sgpr, 0
	.set _ZN7rocprim17ROCPRIM_400000_NS6detail17trampoline_kernelINS0_14default_configENS1_25partition_config_selectorILNS1_17partition_subalgoE6EN6thrust23THRUST_200600_302600_NS5tupleIjjNS7_9null_typeES9_S9_S9_S9_S9_S9_S9_EENS0_10empty_typeEbEEZZNS1_14partition_implILS5_6ELb0ES3_mNS7_12zip_iteratorINS8_INS7_6detail15normal_iteratorINS7_10device_ptrIjEEEESJ_S9_S9_S9_S9_S9_S9_S9_S9_EEEEPSB_SM_NS0_5tupleIJNSE_INS8_ISJ_NS7_16discard_iteratorINS7_11use_defaultEEES9_S9_S9_S9_S9_S9_S9_S9_EEEESB_EEENSN_IJSM_SM_EEESB_PlJNSF_9not_fun_tINSF_14equal_to_valueISA_EEEEEEE10hipError_tPvRmT3_T4_T5_T6_T7_T9_mT8_P12ihipStream_tbDpT10_ENKUlT_T0_E_clISt17integral_constantIbLb0EES1J_EEDaS1E_S1F_EUlS1E_E_NS1_11comp_targetILNS1_3genE2ELNS1_11target_archE906ELNS1_3gpuE6ELNS1_3repE0EEENS1_30default_config_static_selectorELNS0_4arch9wavefront6targetE0EEEvT1_.num_named_barrier, 0
	.set _ZN7rocprim17ROCPRIM_400000_NS6detail17trampoline_kernelINS0_14default_configENS1_25partition_config_selectorILNS1_17partition_subalgoE6EN6thrust23THRUST_200600_302600_NS5tupleIjjNS7_9null_typeES9_S9_S9_S9_S9_S9_S9_EENS0_10empty_typeEbEEZZNS1_14partition_implILS5_6ELb0ES3_mNS7_12zip_iteratorINS8_INS7_6detail15normal_iteratorINS7_10device_ptrIjEEEESJ_S9_S9_S9_S9_S9_S9_S9_S9_EEEEPSB_SM_NS0_5tupleIJNSE_INS8_ISJ_NS7_16discard_iteratorINS7_11use_defaultEEES9_S9_S9_S9_S9_S9_S9_S9_EEEESB_EEENSN_IJSM_SM_EEESB_PlJNSF_9not_fun_tINSF_14equal_to_valueISA_EEEEEEE10hipError_tPvRmT3_T4_T5_T6_T7_T9_mT8_P12ihipStream_tbDpT10_ENKUlT_T0_E_clISt17integral_constantIbLb0EES1J_EEDaS1E_S1F_EUlS1E_E_NS1_11comp_targetILNS1_3genE2ELNS1_11target_archE906ELNS1_3gpuE6ELNS1_3repE0EEENS1_30default_config_static_selectorELNS0_4arch9wavefront6targetE0EEEvT1_.private_seg_size, 0
	.set _ZN7rocprim17ROCPRIM_400000_NS6detail17trampoline_kernelINS0_14default_configENS1_25partition_config_selectorILNS1_17partition_subalgoE6EN6thrust23THRUST_200600_302600_NS5tupleIjjNS7_9null_typeES9_S9_S9_S9_S9_S9_S9_EENS0_10empty_typeEbEEZZNS1_14partition_implILS5_6ELb0ES3_mNS7_12zip_iteratorINS8_INS7_6detail15normal_iteratorINS7_10device_ptrIjEEEESJ_S9_S9_S9_S9_S9_S9_S9_S9_EEEEPSB_SM_NS0_5tupleIJNSE_INS8_ISJ_NS7_16discard_iteratorINS7_11use_defaultEEES9_S9_S9_S9_S9_S9_S9_S9_EEEESB_EEENSN_IJSM_SM_EEESB_PlJNSF_9not_fun_tINSF_14equal_to_valueISA_EEEEEEE10hipError_tPvRmT3_T4_T5_T6_T7_T9_mT8_P12ihipStream_tbDpT10_ENKUlT_T0_E_clISt17integral_constantIbLb0EES1J_EEDaS1E_S1F_EUlS1E_E_NS1_11comp_targetILNS1_3genE2ELNS1_11target_archE906ELNS1_3gpuE6ELNS1_3repE0EEENS1_30default_config_static_selectorELNS0_4arch9wavefront6targetE0EEEvT1_.uses_vcc, 0
	.set _ZN7rocprim17ROCPRIM_400000_NS6detail17trampoline_kernelINS0_14default_configENS1_25partition_config_selectorILNS1_17partition_subalgoE6EN6thrust23THRUST_200600_302600_NS5tupleIjjNS7_9null_typeES9_S9_S9_S9_S9_S9_S9_EENS0_10empty_typeEbEEZZNS1_14partition_implILS5_6ELb0ES3_mNS7_12zip_iteratorINS8_INS7_6detail15normal_iteratorINS7_10device_ptrIjEEEESJ_S9_S9_S9_S9_S9_S9_S9_S9_EEEEPSB_SM_NS0_5tupleIJNSE_INS8_ISJ_NS7_16discard_iteratorINS7_11use_defaultEEES9_S9_S9_S9_S9_S9_S9_S9_EEEESB_EEENSN_IJSM_SM_EEESB_PlJNSF_9not_fun_tINSF_14equal_to_valueISA_EEEEEEE10hipError_tPvRmT3_T4_T5_T6_T7_T9_mT8_P12ihipStream_tbDpT10_ENKUlT_T0_E_clISt17integral_constantIbLb0EES1J_EEDaS1E_S1F_EUlS1E_E_NS1_11comp_targetILNS1_3genE2ELNS1_11target_archE906ELNS1_3gpuE6ELNS1_3repE0EEENS1_30default_config_static_selectorELNS0_4arch9wavefront6targetE0EEEvT1_.uses_flat_scratch, 0
	.set _ZN7rocprim17ROCPRIM_400000_NS6detail17trampoline_kernelINS0_14default_configENS1_25partition_config_selectorILNS1_17partition_subalgoE6EN6thrust23THRUST_200600_302600_NS5tupleIjjNS7_9null_typeES9_S9_S9_S9_S9_S9_S9_EENS0_10empty_typeEbEEZZNS1_14partition_implILS5_6ELb0ES3_mNS7_12zip_iteratorINS8_INS7_6detail15normal_iteratorINS7_10device_ptrIjEEEESJ_S9_S9_S9_S9_S9_S9_S9_S9_EEEEPSB_SM_NS0_5tupleIJNSE_INS8_ISJ_NS7_16discard_iteratorINS7_11use_defaultEEES9_S9_S9_S9_S9_S9_S9_S9_EEEESB_EEENSN_IJSM_SM_EEESB_PlJNSF_9not_fun_tINSF_14equal_to_valueISA_EEEEEEE10hipError_tPvRmT3_T4_T5_T6_T7_T9_mT8_P12ihipStream_tbDpT10_ENKUlT_T0_E_clISt17integral_constantIbLb0EES1J_EEDaS1E_S1F_EUlS1E_E_NS1_11comp_targetILNS1_3genE2ELNS1_11target_archE906ELNS1_3gpuE6ELNS1_3repE0EEENS1_30default_config_static_selectorELNS0_4arch9wavefront6targetE0EEEvT1_.has_dyn_sized_stack, 0
	.set _ZN7rocprim17ROCPRIM_400000_NS6detail17trampoline_kernelINS0_14default_configENS1_25partition_config_selectorILNS1_17partition_subalgoE6EN6thrust23THRUST_200600_302600_NS5tupleIjjNS7_9null_typeES9_S9_S9_S9_S9_S9_S9_EENS0_10empty_typeEbEEZZNS1_14partition_implILS5_6ELb0ES3_mNS7_12zip_iteratorINS8_INS7_6detail15normal_iteratorINS7_10device_ptrIjEEEESJ_S9_S9_S9_S9_S9_S9_S9_S9_EEEEPSB_SM_NS0_5tupleIJNSE_INS8_ISJ_NS7_16discard_iteratorINS7_11use_defaultEEES9_S9_S9_S9_S9_S9_S9_S9_EEEESB_EEENSN_IJSM_SM_EEESB_PlJNSF_9not_fun_tINSF_14equal_to_valueISA_EEEEEEE10hipError_tPvRmT3_T4_T5_T6_T7_T9_mT8_P12ihipStream_tbDpT10_ENKUlT_T0_E_clISt17integral_constantIbLb0EES1J_EEDaS1E_S1F_EUlS1E_E_NS1_11comp_targetILNS1_3genE2ELNS1_11target_archE906ELNS1_3gpuE6ELNS1_3repE0EEENS1_30default_config_static_selectorELNS0_4arch9wavefront6targetE0EEEvT1_.has_recursion, 0
	.set _ZN7rocprim17ROCPRIM_400000_NS6detail17trampoline_kernelINS0_14default_configENS1_25partition_config_selectorILNS1_17partition_subalgoE6EN6thrust23THRUST_200600_302600_NS5tupleIjjNS7_9null_typeES9_S9_S9_S9_S9_S9_S9_EENS0_10empty_typeEbEEZZNS1_14partition_implILS5_6ELb0ES3_mNS7_12zip_iteratorINS8_INS7_6detail15normal_iteratorINS7_10device_ptrIjEEEESJ_S9_S9_S9_S9_S9_S9_S9_S9_EEEEPSB_SM_NS0_5tupleIJNSE_INS8_ISJ_NS7_16discard_iteratorINS7_11use_defaultEEES9_S9_S9_S9_S9_S9_S9_S9_EEEESB_EEENSN_IJSM_SM_EEESB_PlJNSF_9not_fun_tINSF_14equal_to_valueISA_EEEEEEE10hipError_tPvRmT3_T4_T5_T6_T7_T9_mT8_P12ihipStream_tbDpT10_ENKUlT_T0_E_clISt17integral_constantIbLb0EES1J_EEDaS1E_S1F_EUlS1E_E_NS1_11comp_targetILNS1_3genE2ELNS1_11target_archE906ELNS1_3gpuE6ELNS1_3repE0EEENS1_30default_config_static_selectorELNS0_4arch9wavefront6targetE0EEEvT1_.has_indirect_call, 0
	.section	.AMDGPU.csdata,"",@progbits
; Kernel info:
; codeLenInByte = 0
; TotalNumSgprs: 0
; NumVgprs: 0
; ScratchSize: 0
; MemoryBound: 0
; FloatMode: 240
; IeeeMode: 1
; LDSByteSize: 0 bytes/workgroup (compile time only)
; SGPRBlocks: 0
; VGPRBlocks: 0
; NumSGPRsForWavesPerEU: 1
; NumVGPRsForWavesPerEU: 1
; Occupancy: 16
; WaveLimiterHint : 0
; COMPUTE_PGM_RSRC2:SCRATCH_EN: 0
; COMPUTE_PGM_RSRC2:USER_SGPR: 2
; COMPUTE_PGM_RSRC2:TRAP_HANDLER: 0
; COMPUTE_PGM_RSRC2:TGID_X_EN: 1
; COMPUTE_PGM_RSRC2:TGID_Y_EN: 0
; COMPUTE_PGM_RSRC2:TGID_Z_EN: 0
; COMPUTE_PGM_RSRC2:TIDIG_COMP_CNT: 0
	.section	.text._ZN7rocprim17ROCPRIM_400000_NS6detail17trampoline_kernelINS0_14default_configENS1_25partition_config_selectorILNS1_17partition_subalgoE6EN6thrust23THRUST_200600_302600_NS5tupleIjjNS7_9null_typeES9_S9_S9_S9_S9_S9_S9_EENS0_10empty_typeEbEEZZNS1_14partition_implILS5_6ELb0ES3_mNS7_12zip_iteratorINS8_INS7_6detail15normal_iteratorINS7_10device_ptrIjEEEESJ_S9_S9_S9_S9_S9_S9_S9_S9_EEEEPSB_SM_NS0_5tupleIJNSE_INS8_ISJ_NS7_16discard_iteratorINS7_11use_defaultEEES9_S9_S9_S9_S9_S9_S9_S9_EEEESB_EEENSN_IJSM_SM_EEESB_PlJNSF_9not_fun_tINSF_14equal_to_valueISA_EEEEEEE10hipError_tPvRmT3_T4_T5_T6_T7_T9_mT8_P12ihipStream_tbDpT10_ENKUlT_T0_E_clISt17integral_constantIbLb0EES1J_EEDaS1E_S1F_EUlS1E_E_NS1_11comp_targetILNS1_3genE10ELNS1_11target_archE1200ELNS1_3gpuE4ELNS1_3repE0EEENS1_30default_config_static_selectorELNS0_4arch9wavefront6targetE0EEEvT1_,"axG",@progbits,_ZN7rocprim17ROCPRIM_400000_NS6detail17trampoline_kernelINS0_14default_configENS1_25partition_config_selectorILNS1_17partition_subalgoE6EN6thrust23THRUST_200600_302600_NS5tupleIjjNS7_9null_typeES9_S9_S9_S9_S9_S9_S9_EENS0_10empty_typeEbEEZZNS1_14partition_implILS5_6ELb0ES3_mNS7_12zip_iteratorINS8_INS7_6detail15normal_iteratorINS7_10device_ptrIjEEEESJ_S9_S9_S9_S9_S9_S9_S9_S9_EEEEPSB_SM_NS0_5tupleIJNSE_INS8_ISJ_NS7_16discard_iteratorINS7_11use_defaultEEES9_S9_S9_S9_S9_S9_S9_S9_EEEESB_EEENSN_IJSM_SM_EEESB_PlJNSF_9not_fun_tINSF_14equal_to_valueISA_EEEEEEE10hipError_tPvRmT3_T4_T5_T6_T7_T9_mT8_P12ihipStream_tbDpT10_ENKUlT_T0_E_clISt17integral_constantIbLb0EES1J_EEDaS1E_S1F_EUlS1E_E_NS1_11comp_targetILNS1_3genE10ELNS1_11target_archE1200ELNS1_3gpuE4ELNS1_3repE0EEENS1_30default_config_static_selectorELNS0_4arch9wavefront6targetE0EEEvT1_,comdat
	.protected	_ZN7rocprim17ROCPRIM_400000_NS6detail17trampoline_kernelINS0_14default_configENS1_25partition_config_selectorILNS1_17partition_subalgoE6EN6thrust23THRUST_200600_302600_NS5tupleIjjNS7_9null_typeES9_S9_S9_S9_S9_S9_S9_EENS0_10empty_typeEbEEZZNS1_14partition_implILS5_6ELb0ES3_mNS7_12zip_iteratorINS8_INS7_6detail15normal_iteratorINS7_10device_ptrIjEEEESJ_S9_S9_S9_S9_S9_S9_S9_S9_EEEEPSB_SM_NS0_5tupleIJNSE_INS8_ISJ_NS7_16discard_iteratorINS7_11use_defaultEEES9_S9_S9_S9_S9_S9_S9_S9_EEEESB_EEENSN_IJSM_SM_EEESB_PlJNSF_9not_fun_tINSF_14equal_to_valueISA_EEEEEEE10hipError_tPvRmT3_T4_T5_T6_T7_T9_mT8_P12ihipStream_tbDpT10_ENKUlT_T0_E_clISt17integral_constantIbLb0EES1J_EEDaS1E_S1F_EUlS1E_E_NS1_11comp_targetILNS1_3genE10ELNS1_11target_archE1200ELNS1_3gpuE4ELNS1_3repE0EEENS1_30default_config_static_selectorELNS0_4arch9wavefront6targetE0EEEvT1_ ; -- Begin function _ZN7rocprim17ROCPRIM_400000_NS6detail17trampoline_kernelINS0_14default_configENS1_25partition_config_selectorILNS1_17partition_subalgoE6EN6thrust23THRUST_200600_302600_NS5tupleIjjNS7_9null_typeES9_S9_S9_S9_S9_S9_S9_EENS0_10empty_typeEbEEZZNS1_14partition_implILS5_6ELb0ES3_mNS7_12zip_iteratorINS8_INS7_6detail15normal_iteratorINS7_10device_ptrIjEEEESJ_S9_S9_S9_S9_S9_S9_S9_S9_EEEEPSB_SM_NS0_5tupleIJNSE_INS8_ISJ_NS7_16discard_iteratorINS7_11use_defaultEEES9_S9_S9_S9_S9_S9_S9_S9_EEEESB_EEENSN_IJSM_SM_EEESB_PlJNSF_9not_fun_tINSF_14equal_to_valueISA_EEEEEEE10hipError_tPvRmT3_T4_T5_T6_T7_T9_mT8_P12ihipStream_tbDpT10_ENKUlT_T0_E_clISt17integral_constantIbLb0EES1J_EEDaS1E_S1F_EUlS1E_E_NS1_11comp_targetILNS1_3genE10ELNS1_11target_archE1200ELNS1_3gpuE4ELNS1_3repE0EEENS1_30default_config_static_selectorELNS0_4arch9wavefront6targetE0EEEvT1_
	.globl	_ZN7rocprim17ROCPRIM_400000_NS6detail17trampoline_kernelINS0_14default_configENS1_25partition_config_selectorILNS1_17partition_subalgoE6EN6thrust23THRUST_200600_302600_NS5tupleIjjNS7_9null_typeES9_S9_S9_S9_S9_S9_S9_EENS0_10empty_typeEbEEZZNS1_14partition_implILS5_6ELb0ES3_mNS7_12zip_iteratorINS8_INS7_6detail15normal_iteratorINS7_10device_ptrIjEEEESJ_S9_S9_S9_S9_S9_S9_S9_S9_EEEEPSB_SM_NS0_5tupleIJNSE_INS8_ISJ_NS7_16discard_iteratorINS7_11use_defaultEEES9_S9_S9_S9_S9_S9_S9_S9_EEEESB_EEENSN_IJSM_SM_EEESB_PlJNSF_9not_fun_tINSF_14equal_to_valueISA_EEEEEEE10hipError_tPvRmT3_T4_T5_T6_T7_T9_mT8_P12ihipStream_tbDpT10_ENKUlT_T0_E_clISt17integral_constantIbLb0EES1J_EEDaS1E_S1F_EUlS1E_E_NS1_11comp_targetILNS1_3genE10ELNS1_11target_archE1200ELNS1_3gpuE4ELNS1_3repE0EEENS1_30default_config_static_selectorELNS0_4arch9wavefront6targetE0EEEvT1_
	.p2align	8
	.type	_ZN7rocprim17ROCPRIM_400000_NS6detail17trampoline_kernelINS0_14default_configENS1_25partition_config_selectorILNS1_17partition_subalgoE6EN6thrust23THRUST_200600_302600_NS5tupleIjjNS7_9null_typeES9_S9_S9_S9_S9_S9_S9_EENS0_10empty_typeEbEEZZNS1_14partition_implILS5_6ELb0ES3_mNS7_12zip_iteratorINS8_INS7_6detail15normal_iteratorINS7_10device_ptrIjEEEESJ_S9_S9_S9_S9_S9_S9_S9_S9_EEEEPSB_SM_NS0_5tupleIJNSE_INS8_ISJ_NS7_16discard_iteratorINS7_11use_defaultEEES9_S9_S9_S9_S9_S9_S9_S9_EEEESB_EEENSN_IJSM_SM_EEESB_PlJNSF_9not_fun_tINSF_14equal_to_valueISA_EEEEEEE10hipError_tPvRmT3_T4_T5_T6_T7_T9_mT8_P12ihipStream_tbDpT10_ENKUlT_T0_E_clISt17integral_constantIbLb0EES1J_EEDaS1E_S1F_EUlS1E_E_NS1_11comp_targetILNS1_3genE10ELNS1_11target_archE1200ELNS1_3gpuE4ELNS1_3repE0EEENS1_30default_config_static_selectorELNS0_4arch9wavefront6targetE0EEEvT1_,@function
_ZN7rocprim17ROCPRIM_400000_NS6detail17trampoline_kernelINS0_14default_configENS1_25partition_config_selectorILNS1_17partition_subalgoE6EN6thrust23THRUST_200600_302600_NS5tupleIjjNS7_9null_typeES9_S9_S9_S9_S9_S9_S9_EENS0_10empty_typeEbEEZZNS1_14partition_implILS5_6ELb0ES3_mNS7_12zip_iteratorINS8_INS7_6detail15normal_iteratorINS7_10device_ptrIjEEEESJ_S9_S9_S9_S9_S9_S9_S9_S9_EEEEPSB_SM_NS0_5tupleIJNSE_INS8_ISJ_NS7_16discard_iteratorINS7_11use_defaultEEES9_S9_S9_S9_S9_S9_S9_S9_EEEESB_EEENSN_IJSM_SM_EEESB_PlJNSF_9not_fun_tINSF_14equal_to_valueISA_EEEEEEE10hipError_tPvRmT3_T4_T5_T6_T7_T9_mT8_P12ihipStream_tbDpT10_ENKUlT_T0_E_clISt17integral_constantIbLb0EES1J_EEDaS1E_S1F_EUlS1E_E_NS1_11comp_targetILNS1_3genE10ELNS1_11target_archE1200ELNS1_3gpuE4ELNS1_3repE0EEENS1_30default_config_static_selectorELNS0_4arch9wavefront6targetE0EEEvT1_: ; @_ZN7rocprim17ROCPRIM_400000_NS6detail17trampoline_kernelINS0_14default_configENS1_25partition_config_selectorILNS1_17partition_subalgoE6EN6thrust23THRUST_200600_302600_NS5tupleIjjNS7_9null_typeES9_S9_S9_S9_S9_S9_S9_EENS0_10empty_typeEbEEZZNS1_14partition_implILS5_6ELb0ES3_mNS7_12zip_iteratorINS8_INS7_6detail15normal_iteratorINS7_10device_ptrIjEEEESJ_S9_S9_S9_S9_S9_S9_S9_S9_EEEEPSB_SM_NS0_5tupleIJNSE_INS8_ISJ_NS7_16discard_iteratorINS7_11use_defaultEEES9_S9_S9_S9_S9_S9_S9_S9_EEEESB_EEENSN_IJSM_SM_EEESB_PlJNSF_9not_fun_tINSF_14equal_to_valueISA_EEEEEEE10hipError_tPvRmT3_T4_T5_T6_T7_T9_mT8_P12ihipStream_tbDpT10_ENKUlT_T0_E_clISt17integral_constantIbLb0EES1J_EEDaS1E_S1F_EUlS1E_E_NS1_11comp_targetILNS1_3genE10ELNS1_11target_archE1200ELNS1_3gpuE4ELNS1_3repE0EEENS1_30default_config_static_selectorELNS0_4arch9wavefront6targetE0EEEvT1_
; %bb.0:
	s_clause 0x5
	s_load_b64 s[2:3], s[0:1], 0x18
	s_load_b128 s[12:15], s[0:1], 0x58
	s_load_b32 s4, s[0:1], 0x80
	s_load_b128 s[20:23], s[0:1], 0x8
	s_load_b64 s[6:7], s[0:1], 0x68
	s_load_b64 s[16:17], s[0:1], 0x88
	s_mov_b32 s5, 0
	v_lshlrev_b32_e32 v9, 2, v0
	v_lshrrev_b32_e32 v10, 2, v0
	v_or_b32_e32 v12, 0x200, v0
	v_or_b32_e32 v11, 0x300, v0
	s_mov_b32 s8, -1
	s_wait_kmcnt 0x0
	s_lshl_b64 s[18:19], s[2:3], 2
	s_load_b64 s[10:11], s[14:15], 0x0
	s_add_co_i32 s9, s4, -1
	s_lshl_b32 s4, s4, 10
	s_add_nc_u64 s[20:21], s[20:21], s[18:19]
	s_add_nc_u64 s[14:15], s[2:3], s[4:5]
	s_lshl_b32 s3, s9, 10
	v_cmp_le_u64_e64 s15, s[6:7], s[14:15]
	s_add_co_i32 s7, s2, s3
	s_cmp_eq_u32 ttmp9, s9
	s_add_nc_u64 s[18:19], s[22:23], s[18:19]
	s_cselect_b32 s14, -1, 0
	s_lshl_b32 s4, ttmp9, 10
	s_wait_alu 0xfffe
	s_and_b32 s2, s14, s15
	s_lshl_b64 s[4:5], s[4:5], 2
	s_xor_b32 s15, s2, -1
	s_add_nc_u64 s[2:3], s[20:21], s[4:5]
	s_wait_alu 0xfffe
	s_and_b32 vcc_lo, exec_lo, s15
	s_add_nc_u64 s[4:5], s[18:19], s[4:5]
	s_cbranch_vccz .LBB1922_2
; %bb.1:
	s_clause 0x7
	global_load_b32 v1, v9, s[2:3]
	global_load_b32 v2, v9, s[4:5]
	global_load_b32 v3, v9, s[2:3] offset:1024
	global_load_b32 v4, v9, s[4:5] offset:1024
	;; [unrolled: 1-line block ×6, first 2 shown]
	v_or_b32_e32 v13, 0x100, v0
	v_lshrrev_b32_e32 v14, 2, v12
	v_lshrrev_b32_e32 v15, 2, v11
	v_and_b32_e32 v16, 56, v10
	v_lshlrev_b32_e32 v17, 3, v0
	v_lshrrev_b32_e32 v13, 2, v13
	v_and_b32_e32 v14, 0xb8, v14
	v_and_b32_e32 v15, 0xf8, v15
	s_mov_b32 s8, 0
	v_add_nc_u32_e32 v16, v16, v17
	v_and_b32_e32 v13, 0x78, v13
	v_add_nc_u32_e32 v14, v14, v17
	v_add_nc_u32_e32 v15, v15, v17
	s_delay_alu instid0(VALU_DEP_3)
	v_add_nc_u32_e32 v13, v13, v17
	s_wait_loadcnt 0x6
	ds_store_b64 v16, v[1:2]
	s_wait_loadcnt 0x4
	ds_store_b64 v13, v[3:4] offset:2048
	s_wait_loadcnt 0x2
	ds_store_b64 v14, v[5:6] offset:4096
	;; [unrolled: 2-line block ×3, first 2 shown]
	s_wait_dscnt 0x0
	s_barrier_signal -1
	s_barrier_wait -1
.LBB1922_2:
	s_and_not1_b32 vcc_lo, exec_lo, s8
	s_sub_co_i32 s18, s6, s7
	s_cbranch_vccnz .LBB1922_12
; %bb.3:
	v_mov_b32_e32 v1, 0
	v_dual_mov_b32 v2, 0 :: v_dual_mov_b32 v3, 0
	v_mov_b32_e32 v4, 0
	s_mov_b32 s6, exec_lo
	v_cmpx_gt_u32_e64 s18, v0
	s_cbranch_execz .LBB1922_5
; %bb.4:
	s_clause 0x1
	global_load_b32 v3, v9, s[2:3]
	global_load_b32 v4, v9, s[4:5]
.LBB1922_5:
	s_wait_alu 0xfffe
	s_or_b32 exec_lo, exec_lo, s6
	v_or_b32_e32 v13, 0x100, v0
	s_mov_b32 s6, exec_lo
	s_delay_alu instid0(VALU_DEP_1)
	v_cmpx_gt_u32_e64 s18, v13
	s_cbranch_execz .LBB1922_7
; %bb.6:
	s_clause 0x1
	global_load_b32 v1, v9, s[2:3] offset:1024
	global_load_b32 v2, v9, s[4:5] offset:1024
.LBB1922_7:
	s_wait_alu 0xfffe
	s_or_b32 exec_lo, exec_lo, s6
	v_mov_b32_e32 v5, 0
	v_dual_mov_b32 v6, 0 :: v_dual_mov_b32 v7, 0
	v_mov_b32_e32 v8, 0
	s_mov_b32 s6, exec_lo
	v_cmpx_gt_u32_e64 s18, v12
	s_cbranch_execz .LBB1922_9
; %bb.8:
	s_clause 0x1
	global_load_b32 v7, v9, s[2:3] offset:2048
	global_load_b32 v8, v9, s[4:5] offset:2048
.LBB1922_9:
	s_wait_alu 0xfffe
	s_or_b32 exec_lo, exec_lo, s6
	s_delay_alu instid0(SALU_CYCLE_1)
	s_mov_b32 s6, exec_lo
	v_cmpx_gt_u32_e64 s18, v11
	s_cbranch_execz .LBB1922_11
; %bb.10:
	s_clause 0x1
	global_load_b32 v5, v9, s[2:3] offset:3072
	global_load_b32 v6, v9, s[4:5] offset:3072
.LBB1922_11:
	s_wait_alu 0xfffe
	s_or_b32 exec_lo, exec_lo, s6
	v_lshrrev_b32_e32 v13, 2, v13
	v_lshrrev_b32_e32 v12, 2, v12
	;; [unrolled: 1-line block ×3, first 2 shown]
	v_and_b32_e32 v10, 56, v10
	v_lshlrev_b32_e32 v14, 3, v0
	v_and_b32_e32 v13, 0x78, v13
	v_and_b32_e32 v12, 0xf8, v12
	;; [unrolled: 1-line block ×3, first 2 shown]
	s_delay_alu instid0(VALU_DEP_4) | instskip(NEXT) | instid1(VALU_DEP_4)
	v_add_nc_u32_e32 v10, v10, v14
	v_add_nc_u32_e32 v13, v13, v14
	s_delay_alu instid0(VALU_DEP_4) | instskip(NEXT) | instid1(VALU_DEP_4)
	v_add_nc_u32_e32 v12, v12, v14
	v_add_nc_u32_e32 v11, v11, v14
	s_wait_loadcnt 0x0
	ds_store_b64 v10, v[3:4]
	ds_store_b64 v13, v[1:2] offset:2048
	ds_store_b64 v12, v[7:8] offset:4096
	;; [unrolled: 1-line block ×3, first 2 shown]
	s_wait_dscnt 0x0
	s_barrier_signal -1
	s_barrier_wait -1
.LBB1922_12:
	v_and_b32_e32 v1, 0xf8, v0
	global_inv scope:SCOPE_SE
	s_and_not1_b32 vcc_lo, exec_lo, s15
	v_lshl_add_u32 v5, v0, 5, v1
	ds_load_2addr_b64 v[1:4], v5 offset1:3
	ds_load_2addr_b64 v[5:8], v5 offset0:1 offset1:2
	s_wait_loadcnt_dscnt 0x0
	s_barrier_signal -1
	s_barrier_wait -1
	global_inv scope:SCOPE_SE
	v_cmp_ne_u32_e64 s2, s16, v1
	v_cmp_ne_u32_e64 s4, s17, v2
	;; [unrolled: 1-line block ×8, first 2 shown]
	s_cbranch_vccnz .LBB1922_14
; %bb.13:
	s_or_b32 s7, s7, s9
	s_or_b32 s6, s6, s8
	s_wait_alu 0xfffe
	v_cndmask_b32_e64 v25, 0, 1, s7
	v_cndmask_b32_e64 v10, 0, 1, s6
	s_or_b32 s2, s2, s4
	s_or_b32 s8, s3, s5
	v_cndmask_b32_e64 v27, 0, 1, s2
	v_lshlrev_b16 v11, 8, v25
	s_delay_alu instid0(VALU_DEP_1)
	v_or_b32_e32 v26, v10, v11
	s_cbranch_execz .LBB1922_15
	s_branch .LBB1922_16
.LBB1922_14:
                                        ; implicit-def: $sgpr8
                                        ; implicit-def: $vgpr27
                                        ; implicit-def: $vgpr26
                                        ; implicit-def: $vgpr25
.LBB1922_15:
	v_or_b32_e32 v10, 2, v9
	v_cmp_ne_u32_e32 vcc_lo, s16, v7
	v_cmp_ne_u32_e64 s2, s17, v8
	v_cmp_ne_u32_e64 s4, s16, v5
	;; [unrolled: 1-line block ×3, first 2 shown]
	v_cmp_gt_u32_e64 s3, s18, v10
	v_or_b32_e32 v10, 1, v9
	s_or_b32 s2, vcc_lo, s2
	v_cmp_ne_u32_e32 vcc_lo, s17, v6
	v_or_b32_e32 v12, 3, v9
	s_wait_alu 0xfffe
	s_and_b32 s2, s3, s2
	v_cmp_ne_u32_e64 s3, s16, v1
	s_wait_alu 0xfffe
	v_cndmask_b32_e64 v25, 0, 1, s2
	v_cmp_gt_u32_e64 s2, s18, v10
	s_or_b32 s4, s4, vcc_lo
	v_cmp_ne_u32_e32 vcc_lo, s16, v3
	s_or_b32 s5, s3, s5
	v_cmp_gt_u32_e64 s3, s18, v12
	s_and_b32 s2, s2, s4
	v_cmp_gt_u32_e64 s4, s18, v9
	s_wait_alu 0xfffe
	v_cndmask_b32_e64 v11, 0, 1, s2
	v_cmp_ne_u32_e64 s2, s17, v4
	v_lshlrev_b16 v10, 8, v25
	s_and_b32 s4, s4, s5
	s_or_b32 s2, vcc_lo, s2
	s_delay_alu instid0(VALU_DEP_1)
	v_or_b32_e32 v26, v11, v10
	s_wait_alu 0xfffe
	s_and_b32 s2, s3, s2
	v_cndmask_b32_e64 v27, 0, 1, s4
	s_and_not1_b32 s3, s8, exec_lo
	s_wait_alu 0xfffe
	s_and_b32 s2, s2, exec_lo
	s_wait_alu 0xfffe
	s_or_b32 s8, s3, s2
.LBB1922_16:
	s_load_b64 s[6:7], s[0:1], 0x78
	v_and_b32_e32 v30, 0xff, v27
	v_dual_mov_b32 v10, 0 :: v_dual_and_b32 v29, 0xff, v26
	v_cndmask_b32_e64 v9, 0, 1, s8
	v_mbcnt_lo_u32_b32 v31, -1, 0
	v_and_b32_e32 v28, 0xff, v25
	s_cmp_lg_u32 ttmp9, 0
	s_mov_b32 s3, -1
	v_add3_u32 v9, v30, v9, v29
	v_and_b32_e32 v32, 15, v31
	s_delay_alu instid0(VALU_DEP_2) | instskip(SKIP_2) | instid1(VALU_DEP_3)
	v_add_co_u32 v17, s2, v9, v28
	s_wait_alu 0xf1ff
	v_add_co_ci_u32_e64 v18, null, 0, 0, s2
	v_cmp_ne_u32_e64 s2, 0, v32
	s_cbranch_scc0 .LBB1922_73
; %bb.17:
	v_mov_b32_e32 v11, v17
	v_mov_b32_dpp v9, v17 row_shr:1 row_mask:0xf bank_mask:0xf
	v_mov_b32_dpp v14, v10 row_shr:1 row_mask:0xf bank_mask:0xf
	v_dual_mov_b32 v13, v17 :: v_dual_mov_b32 v12, v18
	s_and_saveexec_b32 s3, s2
; %bb.18:
	s_delay_alu instid0(VALU_DEP_3) | instskip(NEXT) | instid1(VALU_DEP_1)
	v_add_co_u32 v13, vcc_lo, v17, v9
	v_add_co_ci_u32_e64 v10, null, 0, v18, vcc_lo
	s_delay_alu instid0(VALU_DEP_2) | instskip(SKIP_1) | instid1(VALU_DEP_2)
	v_add_co_u32 v9, vcc_lo, 0, v13
	s_wait_alu 0xfffd
	v_add_co_ci_u32_e64 v10, null, v14, v10, vcc_lo
	s_delay_alu instid0(VALU_DEP_1)
	v_dual_mov_b32 v12, v10 :: v_dual_mov_b32 v11, v9
; %bb.19:
	s_wait_alu 0xfffe
	s_or_b32 exec_lo, exec_lo, s3
	v_mov_b32_dpp v9, v13 row_shr:2 row_mask:0xf bank_mask:0xf
	v_mov_b32_dpp v14, v10 row_shr:2 row_mask:0xf bank_mask:0xf
	s_mov_b32 s3, exec_lo
	v_cmpx_lt_u32_e32 1, v32
; %bb.20:
	s_delay_alu instid0(VALU_DEP_3) | instskip(SKIP_2) | instid1(VALU_DEP_2)
	v_add_co_u32 v13, vcc_lo, v11, v9
	s_wait_alu 0xfffd
	v_add_co_ci_u32_e64 v10, null, 0, v12, vcc_lo
	v_add_co_u32 v9, vcc_lo, 0, v13
	s_wait_alu 0xfffd
	s_delay_alu instid0(VALU_DEP_2) | instskip(NEXT) | instid1(VALU_DEP_1)
	v_add_co_ci_u32_e64 v10, null, v14, v10, vcc_lo
	v_dual_mov_b32 v12, v10 :: v_dual_mov_b32 v11, v9
; %bb.21:
	s_wait_alu 0xfffe
	s_or_b32 exec_lo, exec_lo, s3
	v_mov_b32_dpp v9, v13 row_shr:4 row_mask:0xf bank_mask:0xf
	v_mov_b32_dpp v14, v10 row_shr:4 row_mask:0xf bank_mask:0xf
	s_mov_b32 s3, exec_lo
	v_cmpx_lt_u32_e32 3, v32
; %bb.22:
	s_delay_alu instid0(VALU_DEP_3) | instskip(SKIP_2) | instid1(VALU_DEP_2)
	v_add_co_u32 v13, vcc_lo, v11, v9
	s_wait_alu 0xfffd
	v_add_co_ci_u32_e64 v10, null, 0, v12, vcc_lo
	v_add_co_u32 v9, vcc_lo, 0, v13
	s_wait_alu 0xfffd
	s_delay_alu instid0(VALU_DEP_2) | instskip(NEXT) | instid1(VALU_DEP_1)
	v_add_co_ci_u32_e64 v10, null, v14, v10, vcc_lo
	v_dual_mov_b32 v12, v10 :: v_dual_mov_b32 v11, v9
; %bb.23:
	s_wait_alu 0xfffe
	s_or_b32 exec_lo, exec_lo, s3
	v_mov_b32_dpp v14, v13 row_shr:8 row_mask:0xf bank_mask:0xf
	v_mov_b32_dpp v9, v10 row_shr:8 row_mask:0xf bank_mask:0xf
	s_mov_b32 s3, exec_lo
	v_cmpx_lt_u32_e32 7, v32
; %bb.24:
	s_delay_alu instid0(VALU_DEP_3) | instskip(SKIP_2) | instid1(VALU_DEP_2)
	v_add_co_u32 v13, vcc_lo, v11, v14
	s_wait_alu 0xfffd
	v_add_co_ci_u32_e64 v10, null, 0, v12, vcc_lo
	v_add_co_u32 v11, vcc_lo, 0, v13
	s_wait_alu 0xfffd
	s_delay_alu instid0(VALU_DEP_2) | instskip(NEXT) | instid1(VALU_DEP_1)
	v_add_co_ci_u32_e64 v12, null, v9, v10, vcc_lo
	v_mov_b32_e32 v10, v12
; %bb.25:
	s_wait_alu 0xfffe
	s_or_b32 exec_lo, exec_lo, s3
	ds_swizzle_b32 v9, v13 offset:swizzle(BROADCAST,32,15)
	ds_swizzle_b32 v14, v10 offset:swizzle(BROADCAST,32,15)
	v_and_b32_e32 v15, 16, v31
	s_mov_b32 s3, exec_lo
	s_delay_alu instid0(VALU_DEP_1)
	v_cmpx_ne_u32_e32 0, v15
	s_cbranch_execz .LBB1922_27
; %bb.26:
	s_wait_dscnt 0x1
	v_add_co_u32 v13, vcc_lo, v11, v9
	s_wait_alu 0xfffd
	v_add_co_ci_u32_e64 v10, null, 0, v12, vcc_lo
	s_delay_alu instid0(VALU_DEP_2) | instskip(SKIP_2) | instid1(VALU_DEP_2)
	v_add_co_u32 v9, vcc_lo, 0, v13
	s_wait_dscnt 0x0
	s_wait_alu 0xfffd
	v_add_co_ci_u32_e64 v10, null, v14, v10, vcc_lo
	s_delay_alu instid0(VALU_DEP_1)
	v_dual_mov_b32 v12, v10 :: v_dual_mov_b32 v11, v9
.LBB1922_27:
	s_wait_alu 0xfffe
	s_or_b32 exec_lo, exec_lo, s3
	s_wait_dscnt 0x0
	v_or_b32_e32 v14, 31, v0
	v_lshrrev_b32_e32 v9, 5, v0
	s_mov_b32 s3, exec_lo
	s_delay_alu instid0(VALU_DEP_2)
	v_cmpx_eq_u32_e64 v0, v14
; %bb.28:
	s_delay_alu instid0(VALU_DEP_2)
	v_lshlrev_b32_e32 v14, 3, v9
	ds_store_b64 v14, v[11:12]
; %bb.29:
	s_wait_alu 0xfffe
	s_or_b32 exec_lo, exec_lo, s3
	s_delay_alu instid0(SALU_CYCLE_1)
	s_mov_b32 s3, exec_lo
	s_wait_loadcnt_dscnt 0x0
	s_barrier_signal -1
	s_barrier_wait -1
	global_inv scope:SCOPE_SE
	v_cmpx_gt_u32_e32 8, v0
	s_cbranch_execz .LBB1922_37
; %bb.30:
	v_lshlrev_b32_e32 v14, 3, v0
	s_mov_b32 s4, exec_lo
	ds_load_b64 v[11:12], v14
	s_wait_dscnt 0x0
	v_dual_mov_b32 v16, v11 :: v_dual_and_b32 v15, 7, v31
	v_mov_b32_dpp v20, v11 row_shr:1 row_mask:0xf bank_mask:0xf
	v_mov_b32_dpp v19, v12 row_shr:1 row_mask:0xf bank_mask:0xf
	s_delay_alu instid0(VALU_DEP_3)
	v_cmpx_ne_u32_e32 0, v15
; %bb.31:
	s_delay_alu instid0(VALU_DEP_3) | instskip(SKIP_2) | instid1(VALU_DEP_2)
	v_add_co_u32 v16, vcc_lo, v11, v20
	s_wait_alu 0xfffd
	v_add_co_ci_u32_e64 v12, null, 0, v12, vcc_lo
	v_add_co_u32 v11, vcc_lo, 0, v16
	s_wait_alu 0xfffd
	s_delay_alu instid0(VALU_DEP_2)
	v_add_co_ci_u32_e64 v12, null, v19, v12, vcc_lo
; %bb.32:
	s_wait_alu 0xfffe
	s_or_b32 exec_lo, exec_lo, s4
	v_mov_b32_dpp v20, v16 row_shr:2 row_mask:0xf bank_mask:0xf
	s_delay_alu instid0(VALU_DEP_2)
	v_mov_b32_dpp v19, v12 row_shr:2 row_mask:0xf bank_mask:0xf
	s_mov_b32 s4, exec_lo
	v_cmpx_lt_u32_e32 1, v15
; %bb.33:
	s_delay_alu instid0(VALU_DEP_3) | instskip(SKIP_2) | instid1(VALU_DEP_2)
	v_add_co_u32 v16, vcc_lo, v11, v20
	s_wait_alu 0xfffd
	v_add_co_ci_u32_e64 v12, null, 0, v12, vcc_lo
	v_add_co_u32 v11, vcc_lo, 0, v16
	s_wait_alu 0xfffd
	s_delay_alu instid0(VALU_DEP_2)
	v_add_co_ci_u32_e64 v12, null, v19, v12, vcc_lo
; %bb.34:
	s_wait_alu 0xfffe
	s_or_b32 exec_lo, exec_lo, s4
	v_mov_b32_dpp v19, v16 row_shr:4 row_mask:0xf bank_mask:0xf
	s_delay_alu instid0(VALU_DEP_2)
	v_mov_b32_dpp v16, v12 row_shr:4 row_mask:0xf bank_mask:0xf
	s_mov_b32 s4, exec_lo
	v_cmpx_lt_u32_e32 3, v15
; %bb.35:
	s_delay_alu instid0(VALU_DEP_3) | instskip(SKIP_2) | instid1(VALU_DEP_2)
	v_add_co_u32 v11, vcc_lo, v11, v19
	s_wait_alu 0xfffd
	v_add_co_ci_u32_e64 v12, null, 0, v12, vcc_lo
	v_add_co_u32 v11, vcc_lo, v11, 0
	s_wait_alu 0xfffd
	s_delay_alu instid0(VALU_DEP_2)
	v_add_co_ci_u32_e64 v12, null, v12, v16, vcc_lo
; %bb.36:
	s_wait_alu 0xfffe
	s_or_b32 exec_lo, exec_lo, s4
	ds_store_b64 v14, v[11:12]
.LBB1922_37:
	s_wait_alu 0xfffe
	s_or_b32 exec_lo, exec_lo, s3
	s_delay_alu instid0(SALU_CYCLE_1)
	s_mov_b32 s4, exec_lo
	v_cmp_gt_u32_e32 vcc_lo, 32, v0
	s_wait_loadcnt_dscnt 0x0
	s_barrier_signal -1
	s_barrier_wait -1
	global_inv scope:SCOPE_SE
                                        ; implicit-def: $vgpr19_vgpr20
	v_cmpx_lt_u32_e32 31, v0
	s_cbranch_execz .LBB1922_39
; %bb.38:
	v_lshl_add_u32 v9, v9, 3, -8
	ds_load_b64 v[19:20], v9
	s_wait_dscnt 0x0
	v_add_co_u32 v13, s3, v13, v19
	s_wait_alu 0xf1ff
	v_add_co_ci_u32_e64 v10, null, v10, v20, s3
.LBB1922_39:
	s_wait_alu 0xfffe
	s_or_b32 exec_lo, exec_lo, s4
	v_sub_co_u32 v9, s3, v31, 1
	s_delay_alu instid0(VALU_DEP_1) | instskip(SKIP_1) | instid1(VALU_DEP_1)
	v_cmp_gt_i32_e64 s4, 0, v9
	s_wait_alu 0xf1ff
	v_cndmask_b32_e64 v9, v9, v31, s4
	s_delay_alu instid0(VALU_DEP_1)
	v_lshlrev_b32_e32 v9, 2, v9
	ds_bpermute_b32 v33, v9, v13
	ds_bpermute_b32 v34, v9, v10
	s_and_saveexec_b32 s4, vcc_lo
	s_cbranch_execz .LBB1922_78
; %bb.40:
	v_mov_b32_e32 v12, 0
	ds_load_b64 v[9:10], v12 offset:56
	s_and_saveexec_b32 s5, s3
	s_cbranch_execz .LBB1922_42
; %bb.41:
	s_add_co_i32 s16, ttmp9, 32
	s_mov_b32 s17, 0
	s_wait_alu 0xfffe
	s_lshl_b64 s[16:17], s[16:17], 4
	s_wait_kmcnt 0x0
	s_wait_alu 0xfffe
	s_add_nc_u64 s[16:17], s[6:7], s[16:17]
	v_mov_b32_e32 v11, 1
	s_wait_alu 0xfffe
	v_dual_mov_b32 v13, s16 :: v_dual_mov_b32 v14, s17
	s_wait_dscnt 0x0
	;;#ASMSTART
	global_store_b128 v[13:14], v[9:12] off scope:SCOPE_DEV	
s_wait_storecnt 0x0
	;;#ASMEND
.LBB1922_42:
	s_wait_alu 0xfffe
	s_or_b32 exec_lo, exec_lo, s5
	v_xad_u32 v21, v31, -1, ttmp9
	s_mov_b32 s9, 0
	s_mov_b32 s5, exec_lo
	s_delay_alu instid0(VALU_DEP_1) | instskip(NEXT) | instid1(VALU_DEP_1)
	v_add_nc_u32_e32 v11, 32, v21
	v_lshlrev_b64_e32 v[11:12], 4, v[11:12]
	s_wait_kmcnt 0x0
	s_delay_alu instid0(VALU_DEP_1) | instskip(SKIP_1) | instid1(VALU_DEP_2)
	v_add_co_u32 v11, vcc_lo, s6, v11
	s_wait_alu 0xfffd
	v_add_co_ci_u32_e64 v12, null, s7, v12, vcc_lo
	;;#ASMSTART
	global_load_b128 v[13:16], v[11:12] off scope:SCOPE_DEV	
s_wait_loadcnt 0x0
	;;#ASMEND
	v_and_b32_e32 v16, 0xff, v15
	s_delay_alu instid0(VALU_DEP_1)
	v_cmpx_eq_u16_e32 0, v16
	s_cbranch_execz .LBB1922_45
.LBB1922_43:                            ; =>This Inner Loop Header: Depth=1
	;;#ASMSTART
	global_load_b128 v[13:16], v[11:12] off scope:SCOPE_DEV	
s_wait_loadcnt 0x0
	;;#ASMEND
	v_and_b32_e32 v16, 0xff, v15
	s_delay_alu instid0(VALU_DEP_1)
	v_cmp_ne_u16_e32 vcc_lo, 0, v16
	s_wait_alu 0xfffe
	s_or_b32 s9, vcc_lo, s9
	s_wait_alu 0xfffe
	s_and_not1_b32 exec_lo, exec_lo, s9
	s_cbranch_execnz .LBB1922_43
; %bb.44:
	s_or_b32 exec_lo, exec_lo, s9
.LBB1922_45:
	s_wait_alu 0xfffe
	s_or_b32 exec_lo, exec_lo, s5
	v_cmp_ne_u32_e32 vcc_lo, 31, v31
	v_and_b32_e32 v12, 0xff, v15
	v_lshlrev_b32_e64 v36, v31, -1
	s_mov_b32 s5, exec_lo
	s_wait_alu 0xfffd
	v_add_co_ci_u32_e64 v11, null, 0, v31, vcc_lo
	v_cmp_eq_u16_e32 vcc_lo, 2, v12
	s_delay_alu instid0(VALU_DEP_2)
	v_dual_mov_b32 v12, v13 :: v_dual_lshlrev_b32 v35, 2, v11
	s_wait_alu 0xfffd
	v_and_or_b32 v11, vcc_lo, v36, 0x80000000
	ds_bpermute_b32 v22, v35, v13
	ds_bpermute_b32 v16, v35, v14
	v_ctz_i32_b32_e32 v11, v11
	s_delay_alu instid0(VALU_DEP_1)
	v_cmpx_lt_u32_e64 v31, v11
	s_cbranch_execz .LBB1922_47
; %bb.46:
	s_wait_dscnt 0x1
	v_add_co_u32 v12, vcc_lo, v13, v22
	s_wait_alu 0xfffd
	v_add_co_ci_u32_e64 v14, null, 0, v14, vcc_lo
	s_delay_alu instid0(VALU_DEP_2) | instskip(SKIP_2) | instid1(VALU_DEP_2)
	v_add_co_u32 v13, vcc_lo, 0, v12
	s_wait_dscnt 0x0
	s_wait_alu 0xfffd
	v_add_co_ci_u32_e64 v14, null, v16, v14, vcc_lo
.LBB1922_47:
	s_wait_alu 0xfffe
	s_or_b32 exec_lo, exec_lo, s5
	v_cmp_gt_u32_e32 vcc_lo, 30, v31
	v_add_nc_u32_e32 v38, 2, v31
	s_mov_b32 s5, exec_lo
	s_wait_dscnt 0x0
	s_wait_alu 0xfffd
	v_cndmask_b32_e64 v16, 0, 2, vcc_lo
	s_delay_alu instid0(VALU_DEP_1)
	v_add_lshl_u32 v37, v16, v31, 2
	ds_bpermute_b32 v22, v37, v12
	ds_bpermute_b32 v16, v37, v14
	v_cmpx_le_u32_e64 v38, v11
	s_cbranch_execz .LBB1922_49
; %bb.48:
	s_wait_dscnt 0x1
	v_add_co_u32 v12, vcc_lo, v13, v22
	s_wait_alu 0xfffd
	v_add_co_ci_u32_e64 v14, null, 0, v14, vcc_lo
	s_delay_alu instid0(VALU_DEP_2) | instskip(SKIP_2) | instid1(VALU_DEP_2)
	v_add_co_u32 v13, vcc_lo, 0, v12
	s_wait_dscnt 0x0
	s_wait_alu 0xfffd
	v_add_co_ci_u32_e64 v14, null, v16, v14, vcc_lo
.LBB1922_49:
	s_wait_alu 0xfffe
	s_or_b32 exec_lo, exec_lo, s5
	v_cmp_gt_u32_e32 vcc_lo, 28, v31
	v_add_nc_u32_e32 v40, 4, v31
	s_mov_b32 s5, exec_lo
	s_wait_dscnt 0x0
	s_wait_alu 0xfffd
	v_cndmask_b32_e64 v16, 0, 4, vcc_lo
	s_delay_alu instid0(VALU_DEP_1)
	v_add_lshl_u32 v39, v16, v31, 2
	ds_bpermute_b32 v22, v39, v12
	ds_bpermute_b32 v16, v39, v14
	v_cmpx_le_u32_e64 v40, v11
	;; [unrolled: 25-line block ×3, first 2 shown]
	s_cbranch_execz .LBB1922_53
; %bb.52:
	s_wait_dscnt 0x1
	v_add_co_u32 v12, vcc_lo, v13, v22
	s_wait_alu 0xfffd
	v_add_co_ci_u32_e64 v14, null, 0, v14, vcc_lo
	s_delay_alu instid0(VALU_DEP_2) | instskip(SKIP_2) | instid1(VALU_DEP_2)
	v_add_co_u32 v13, vcc_lo, 0, v12
	s_wait_dscnt 0x0
	s_wait_alu 0xfffd
	v_add_co_ci_u32_e64 v14, null, v16, v14, vcc_lo
.LBB1922_53:
	s_wait_alu 0xfffe
	s_or_b32 exec_lo, exec_lo, s5
	v_lshl_or_b32 v43, v31, 2, 64
	v_add_nc_u32_e32 v44, 16, v31
	s_mov_b32 s5, exec_lo
	s_wait_dscnt 0x0
	ds_bpermute_b32 v16, v43, v12
	ds_bpermute_b32 v12, v43, v14
	v_cmpx_le_u32_e64 v44, v11
	s_cbranch_execz .LBB1922_55
; %bb.54:
	s_wait_dscnt 0x1
	v_add_co_u32 v11, vcc_lo, v13, v16
	s_wait_alu 0xfffd
	v_add_co_ci_u32_e64 v14, null, 0, v14, vcc_lo
	s_delay_alu instid0(VALU_DEP_2) | instskip(SKIP_2) | instid1(VALU_DEP_2)
	v_add_co_u32 v13, vcc_lo, v11, 0
	s_wait_dscnt 0x0
	s_wait_alu 0xfffd
	v_add_co_ci_u32_e64 v14, null, v14, v12, vcc_lo
.LBB1922_55:
	s_wait_alu 0xfffe
	s_or_b32 exec_lo, exec_lo, s5
	v_mov_b32_e32 v22, 0
	s_branch .LBB1922_58
.LBB1922_56:                            ;   in Loop: Header=BB1922_58 Depth=1
	s_wait_alu 0xfffe
	s_or_b32 exec_lo, exec_lo, s5
	v_add_co_u32 v13, vcc_lo, v13, v11
	v_subrev_nc_u32_e32 v21, 32, v21
	s_wait_alu 0xfffd
	v_add_co_ci_u32_e64 v14, null, v14, v12, vcc_lo
	s_mov_b32 s5, 0
.LBB1922_57:                            ;   in Loop: Header=BB1922_58 Depth=1
	s_wait_alu 0xfffe
	s_and_b32 vcc_lo, exec_lo, s5
	s_wait_alu 0xfffe
	s_cbranch_vccnz .LBB1922_74
.LBB1922_58:                            ; =>This Loop Header: Depth=1
                                        ;     Child Loop BB1922_61 Depth 2
	v_and_b32_e32 v11, 0xff, v15
	s_mov_b32 s5, -1
	s_delay_alu instid0(VALU_DEP_1)
	v_cmp_ne_u16_e32 vcc_lo, 2, v11
	s_wait_dscnt 0x0
	v_dual_mov_b32 v11, v13 :: v_dual_mov_b32 v12, v14
                                        ; implicit-def: $vgpr13_vgpr14
	s_cmp_lg_u32 vcc_lo, exec_lo
	s_cbranch_scc1 .LBB1922_57
; %bb.59:                               ;   in Loop: Header=BB1922_58 Depth=1
	v_lshlrev_b64_e32 v[13:14], 4, v[21:22]
	s_mov_b32 s5, exec_lo
	s_delay_alu instid0(VALU_DEP_1) | instskip(SKIP_1) | instid1(VALU_DEP_2)
	v_add_co_u32 v23, vcc_lo, s6, v13
	s_wait_alu 0xfffd
	v_add_co_ci_u32_e64 v24, null, s7, v14, vcc_lo
	;;#ASMSTART
	global_load_b128 v[13:16], v[23:24] off scope:SCOPE_DEV	
s_wait_loadcnt 0x0
	;;#ASMEND
	v_and_b32_e32 v16, 0xff, v15
	s_delay_alu instid0(VALU_DEP_1)
	v_cmpx_eq_u16_e32 0, v16
	s_cbranch_execz .LBB1922_63
; %bb.60:                               ;   in Loop: Header=BB1922_58 Depth=1
	s_mov_b32 s9, 0
.LBB1922_61:                            ;   Parent Loop BB1922_58 Depth=1
                                        ; =>  This Inner Loop Header: Depth=2
	;;#ASMSTART
	global_load_b128 v[13:16], v[23:24] off scope:SCOPE_DEV	
s_wait_loadcnt 0x0
	;;#ASMEND
	v_and_b32_e32 v16, 0xff, v15
	s_delay_alu instid0(VALU_DEP_1)
	v_cmp_ne_u16_e32 vcc_lo, 0, v16
	s_wait_alu 0xfffe
	s_or_b32 s9, vcc_lo, s9
	s_wait_alu 0xfffe
	s_and_not1_b32 exec_lo, exec_lo, s9
	s_cbranch_execnz .LBB1922_61
; %bb.62:                               ;   in Loop: Header=BB1922_58 Depth=1
	s_or_b32 exec_lo, exec_lo, s9
.LBB1922_63:                            ;   in Loop: Header=BB1922_58 Depth=1
	s_wait_alu 0xfffe
	s_or_b32 exec_lo, exec_lo, s5
	v_dual_mov_b32 v23, v13 :: v_dual_and_b32 v16, 0xff, v15
	ds_bpermute_b32 v45, v35, v13
	ds_bpermute_b32 v24, v35, v14
	s_mov_b32 s5, exec_lo
	v_cmp_eq_u16_e32 vcc_lo, 2, v16
	s_wait_alu 0xfffd
	v_and_or_b32 v16, vcc_lo, v36, 0x80000000
	s_delay_alu instid0(VALU_DEP_1) | instskip(NEXT) | instid1(VALU_DEP_1)
	v_ctz_i32_b32_e32 v16, v16
	v_cmpx_lt_u32_e64 v31, v16
	s_cbranch_execz .LBB1922_65
; %bb.64:                               ;   in Loop: Header=BB1922_58 Depth=1
	s_wait_dscnt 0x1
	v_add_co_u32 v23, vcc_lo, v13, v45
	s_wait_alu 0xfffd
	v_add_co_ci_u32_e64 v14, null, 0, v14, vcc_lo
	s_delay_alu instid0(VALU_DEP_2) | instskip(SKIP_2) | instid1(VALU_DEP_2)
	v_add_co_u32 v13, vcc_lo, 0, v23
	s_wait_dscnt 0x0
	s_wait_alu 0xfffd
	v_add_co_ci_u32_e64 v14, null, v24, v14, vcc_lo
.LBB1922_65:                            ;   in Loop: Header=BB1922_58 Depth=1
	s_wait_alu 0xfffe
	s_or_b32 exec_lo, exec_lo, s5
	s_wait_dscnt 0x1
	ds_bpermute_b32 v45, v37, v23
	s_wait_dscnt 0x1
	ds_bpermute_b32 v24, v37, v14
	s_mov_b32 s5, exec_lo
	v_cmpx_le_u32_e64 v38, v16
	s_cbranch_execz .LBB1922_67
; %bb.66:                               ;   in Loop: Header=BB1922_58 Depth=1
	s_wait_dscnt 0x1
	v_add_co_u32 v23, vcc_lo, v13, v45
	s_wait_alu 0xfffd
	v_add_co_ci_u32_e64 v14, null, 0, v14, vcc_lo
	s_delay_alu instid0(VALU_DEP_2) | instskip(SKIP_2) | instid1(VALU_DEP_2)
	v_add_co_u32 v13, vcc_lo, 0, v23
	s_wait_dscnt 0x0
	s_wait_alu 0xfffd
	v_add_co_ci_u32_e64 v14, null, v24, v14, vcc_lo
.LBB1922_67:                            ;   in Loop: Header=BB1922_58 Depth=1
	s_wait_alu 0xfffe
	s_or_b32 exec_lo, exec_lo, s5
	s_wait_dscnt 0x1
	ds_bpermute_b32 v45, v39, v23
	s_wait_dscnt 0x1
	ds_bpermute_b32 v24, v39, v14
	s_mov_b32 s5, exec_lo
	v_cmpx_le_u32_e64 v40, v16
	;; [unrolled: 20-line block ×3, first 2 shown]
	s_cbranch_execz .LBB1922_71
; %bb.70:                               ;   in Loop: Header=BB1922_58 Depth=1
	s_wait_dscnt 0x1
	v_add_co_u32 v23, vcc_lo, v13, v45
	s_wait_alu 0xfffd
	v_add_co_ci_u32_e64 v14, null, 0, v14, vcc_lo
	s_delay_alu instid0(VALU_DEP_2) | instskip(SKIP_2) | instid1(VALU_DEP_2)
	v_add_co_u32 v13, vcc_lo, 0, v23
	s_wait_dscnt 0x0
	s_wait_alu 0xfffd
	v_add_co_ci_u32_e64 v14, null, v24, v14, vcc_lo
.LBB1922_71:                            ;   in Loop: Header=BB1922_58 Depth=1
	s_wait_alu 0xfffe
	s_or_b32 exec_lo, exec_lo, s5
	s_wait_dscnt 0x0
	ds_bpermute_b32 v24, v43, v23
	ds_bpermute_b32 v23, v43, v14
	s_mov_b32 s5, exec_lo
	v_cmpx_le_u32_e64 v44, v16
	s_cbranch_execz .LBB1922_56
; %bb.72:                               ;   in Loop: Header=BB1922_58 Depth=1
	s_wait_dscnt 0x1
	v_add_co_u32 v13, vcc_lo, v13, v24
	s_wait_alu 0xfffd
	v_add_co_ci_u32_e64 v14, null, 0, v14, vcc_lo
	s_delay_alu instid0(VALU_DEP_2) | instskip(SKIP_2) | instid1(VALU_DEP_2)
	v_add_co_u32 v13, vcc_lo, v13, 0
	s_wait_dscnt 0x0
	s_wait_alu 0xfffd
	v_add_co_ci_u32_e64 v14, null, v14, v23, vcc_lo
	s_branch .LBB1922_56
.LBB1922_73:
                                        ; implicit-def: $vgpr15_vgpr16
                                        ; implicit-def: $vgpr13_vgpr14
                                        ; implicit-def: $vgpr19_vgpr20
                                        ; implicit-def: $vgpr21_vgpr22
                                        ; implicit-def: $vgpr11_vgpr12
	s_wait_alu 0xfffe
	s_and_b32 vcc_lo, exec_lo, s3
	s_cbranch_vccnz .LBB1922_79
	s_branch .LBB1922_104
.LBB1922_74:
	s_and_saveexec_b32 s5, s3
	s_cbranch_execz .LBB1922_76
; %bb.75:
	s_add_co_i32 s16, ttmp9, 32
	s_mov_b32 s17, 0
	v_add_co_u32 v13, vcc_lo, v11, v9
	s_wait_alu 0xfffe
	s_lshl_b64 s[16:17], s[16:17], 4
	v_dual_mov_b32 v15, 2 :: v_dual_mov_b32 v16, 0
	s_wait_alu 0xfffe
	s_add_nc_u64 s[16:17], s[6:7], s[16:17]
	s_wait_alu 0xfffd
	v_add_co_ci_u32_e64 v14, null, v12, v10, vcc_lo
	s_wait_alu 0xfffe
	v_dual_mov_b32 v22, s17 :: v_dual_mov_b32 v21, s16
	;;#ASMSTART
	global_store_b128 v[21:22], v[13:16] off scope:SCOPE_DEV	
s_wait_storecnt 0x0
	;;#ASMEND
	ds_store_b128 v16, v[9:12] offset:8448
.LBB1922_76:
	s_wait_alu 0xfffe
	s_or_b32 exec_lo, exec_lo, s5
	v_cmp_eq_u32_e32 vcc_lo, 0, v0
	s_and_b32 exec_lo, exec_lo, vcc_lo
; %bb.77:
	v_mov_b32_e32 v9, 0
	ds_store_b64 v9, v[11:12] offset:56
.LBB1922_78:
	s_wait_alu 0xfffe
	s_or_b32 exec_lo, exec_lo, s4
	s_wait_dscnt 0x1
	v_cndmask_b32_e64 v10, v33, v19, s3
	v_cmp_ne_u32_e32 vcc_lo, 0, v0
	v_mov_b32_e32 v9, 0
	s_wait_loadcnt_dscnt 0x0
	s_barrier_signal -1
	s_barrier_wait -1
	global_inv scope:SCOPE_SE
	s_wait_alu 0xfffd
	v_cndmask_b32_e32 v16, 0, v10, vcc_lo
	ds_load_b64 v[13:14], v9 offset:56
	v_cndmask_b32_e64 v11, v34, v20, s3
	s_wait_loadcnt_dscnt 0x0
	s_barrier_signal -1
	s_barrier_wait -1
	global_inv scope:SCOPE_SE
	v_cndmask_b32_e32 v15, 0, v11, vcc_lo
	ds_load_b128 v[9:12], v9 offset:8448
	v_add_co_u32 v21, vcc_lo, v13, v16
	s_wait_alu 0xfffd
	v_add_co_ci_u32_e64 v22, null, v14, v15, vcc_lo
	s_delay_alu instid0(VALU_DEP_2) | instskip(SKIP_1) | instid1(VALU_DEP_2)
	v_add_co_u32 v19, vcc_lo, v21, v30
	s_wait_alu 0xfffd
	v_add_co_ci_u32_e64 v20, null, 0, v22, vcc_lo
	s_delay_alu instid0(VALU_DEP_2) | instskip(SKIP_1) | instid1(VALU_DEP_2)
	;; [unrolled: 4-line block ×3, first 2 shown]
	v_add_co_u32 v15, vcc_lo, v13, v28
	s_wait_alu 0xfffd
	v_add_co_ci_u32_e64 v16, null, 0, v14, vcc_lo
	s_branch .LBB1922_104
.LBB1922_79:
	s_wait_dscnt 0x0
	v_dual_mov_b32 v10, 0 :: v_dual_mov_b32 v11, v17
	v_mov_b32_dpp v12, v17 row_shr:1 row_mask:0xf bank_mask:0xf
	s_delay_alu instid0(VALU_DEP_2)
	v_mov_b32_dpp v9, v10 row_shr:1 row_mask:0xf bank_mask:0xf
	s_and_saveexec_b32 s3, s2
; %bb.80:
	s_delay_alu instid0(VALU_DEP_2) | instskip(NEXT) | instid1(VALU_DEP_1)
	v_add_co_u32 v11, vcc_lo, v17, v12
	v_add_co_ci_u32_e64 v10, null, 0, v18, vcc_lo
	s_delay_alu instid0(VALU_DEP_2) | instskip(SKIP_1) | instid1(VALU_DEP_2)
	v_add_co_u32 v17, vcc_lo, 0, v11
	s_wait_alu 0xfffd
	v_add_co_ci_u32_e64 v18, null, v9, v10, vcc_lo
	s_delay_alu instid0(VALU_DEP_1)
	v_mov_b32_e32 v10, v18
; %bb.81:
	s_wait_alu 0xfffe
	s_or_b32 exec_lo, exec_lo, s3
	v_mov_b32_dpp v9, v11 row_shr:2 row_mask:0xf bank_mask:0xf
	s_delay_alu instid0(VALU_DEP_2)
	v_mov_b32_dpp v12, v10 row_shr:2 row_mask:0xf bank_mask:0xf
	s_mov_b32 s2, exec_lo
	v_cmpx_lt_u32_e32 1, v32
; %bb.82:
	s_delay_alu instid0(VALU_DEP_3) | instskip(SKIP_2) | instid1(VALU_DEP_2)
	v_add_co_u32 v11, vcc_lo, v17, v9
	s_wait_alu 0xfffd
	v_add_co_ci_u32_e64 v10, null, 0, v18, vcc_lo
	v_add_co_u32 v9, vcc_lo, 0, v11
	s_wait_alu 0xfffd
	s_delay_alu instid0(VALU_DEP_2) | instskip(NEXT) | instid1(VALU_DEP_1)
	v_add_co_ci_u32_e64 v10, null, v12, v10, vcc_lo
	v_dual_mov_b32 v18, v10 :: v_dual_mov_b32 v17, v9
; %bb.83:
	s_wait_alu 0xfffe
	s_or_b32 exec_lo, exec_lo, s2
	v_mov_b32_dpp v9, v11 row_shr:4 row_mask:0xf bank_mask:0xf
	v_mov_b32_dpp v12, v10 row_shr:4 row_mask:0xf bank_mask:0xf
	s_mov_b32 s2, exec_lo
	v_cmpx_lt_u32_e32 3, v32
; %bb.84:
	s_delay_alu instid0(VALU_DEP_3) | instskip(SKIP_2) | instid1(VALU_DEP_2)
	v_add_co_u32 v11, vcc_lo, v17, v9
	s_wait_alu 0xfffd
	v_add_co_ci_u32_e64 v10, null, 0, v18, vcc_lo
	v_add_co_u32 v9, vcc_lo, 0, v11
	s_wait_alu 0xfffd
	s_delay_alu instid0(VALU_DEP_2) | instskip(NEXT) | instid1(VALU_DEP_1)
	v_add_co_ci_u32_e64 v10, null, v12, v10, vcc_lo
	v_dual_mov_b32 v18, v10 :: v_dual_mov_b32 v17, v9
; %bb.85:
	s_wait_alu 0xfffe
	s_or_b32 exec_lo, exec_lo, s2
	v_mov_b32_dpp v12, v11 row_shr:8 row_mask:0xf bank_mask:0xf
	v_mov_b32_dpp v9, v10 row_shr:8 row_mask:0xf bank_mask:0xf
	s_mov_b32 s2, exec_lo
	v_cmpx_lt_u32_e32 7, v32
; %bb.86:
	s_delay_alu instid0(VALU_DEP_3) | instskip(SKIP_2) | instid1(VALU_DEP_2)
	v_add_co_u32 v11, vcc_lo, v17, v12
	s_wait_alu 0xfffd
	v_add_co_ci_u32_e64 v10, null, 0, v18, vcc_lo
	v_add_co_u32 v17, vcc_lo, 0, v11
	s_wait_alu 0xfffd
	s_delay_alu instid0(VALU_DEP_2) | instskip(NEXT) | instid1(VALU_DEP_1)
	v_add_co_ci_u32_e64 v18, null, v9, v10, vcc_lo
	v_mov_b32_e32 v10, v18
; %bb.87:
	s_wait_alu 0xfffe
	s_or_b32 exec_lo, exec_lo, s2
	ds_swizzle_b32 v11, v11 offset:swizzle(BROADCAST,32,15)
	ds_swizzle_b32 v9, v10 offset:swizzle(BROADCAST,32,15)
	v_and_b32_e32 v10, 16, v31
	s_mov_b32 s2, exec_lo
	s_delay_alu instid0(VALU_DEP_1)
	v_cmpx_ne_u32_e32 0, v10
	s_cbranch_execz .LBB1922_89
; %bb.88:
	s_wait_dscnt 0x1
	v_add_co_u32 v10, vcc_lo, v17, v11
	s_wait_alu 0xfffd
	v_add_co_ci_u32_e64 v11, null, 0, v18, vcc_lo
	s_delay_alu instid0(VALU_DEP_2) | instskip(SKIP_2) | instid1(VALU_DEP_2)
	v_add_co_u32 v17, vcc_lo, v10, 0
	s_wait_dscnt 0x0
	s_wait_alu 0xfffd
	v_add_co_ci_u32_e64 v18, null, v11, v9, vcc_lo
.LBB1922_89:
	s_wait_alu 0xfffe
	s_or_b32 exec_lo, exec_lo, s2
	s_wait_dscnt 0x0
	v_or_b32_e32 v9, 31, v0
	v_lshrrev_b32_e32 v11, 5, v0
	s_mov_b32 s2, exec_lo
	s_delay_alu instid0(VALU_DEP_2)
	v_cmpx_eq_u32_e64 v0, v9
; %bb.90:
	s_delay_alu instid0(VALU_DEP_2)
	v_lshlrev_b32_e32 v9, 3, v11
	ds_store_b64 v9, v[17:18]
; %bb.91:
	s_wait_alu 0xfffe
	s_or_b32 exec_lo, exec_lo, s2
	s_delay_alu instid0(SALU_CYCLE_1)
	s_mov_b32 s2, exec_lo
	s_wait_loadcnt_dscnt 0x0
	s_barrier_signal -1
	s_barrier_wait -1
	global_inv scope:SCOPE_SE
	v_cmpx_gt_u32_e32 8, v0
	s_cbranch_execz .LBB1922_99
; %bb.92:
	v_lshlrev_b32_e32 v12, 3, v0
	s_mov_b32 s3, exec_lo
	ds_load_b64 v[9:10], v12
	s_wait_dscnt 0x0
	v_dual_mov_b32 v14, v9 :: v_dual_and_b32 v13, 7, v31
	v_mov_b32_dpp v16, v9 row_shr:1 row_mask:0xf bank_mask:0xf
	v_mov_b32_dpp v15, v10 row_shr:1 row_mask:0xf bank_mask:0xf
	s_delay_alu instid0(VALU_DEP_3)
	v_cmpx_ne_u32_e32 0, v13
; %bb.93:
	s_delay_alu instid0(VALU_DEP_3) | instskip(SKIP_2) | instid1(VALU_DEP_2)
	v_add_co_u32 v14, vcc_lo, v9, v16
	s_wait_alu 0xfffd
	v_add_co_ci_u32_e64 v10, null, 0, v10, vcc_lo
	v_add_co_u32 v9, vcc_lo, 0, v14
	s_wait_alu 0xfffd
	s_delay_alu instid0(VALU_DEP_2)
	v_add_co_ci_u32_e64 v10, null, v15, v10, vcc_lo
; %bb.94:
	s_wait_alu 0xfffe
	s_or_b32 exec_lo, exec_lo, s3
	v_mov_b32_dpp v16, v14 row_shr:2 row_mask:0xf bank_mask:0xf
	s_delay_alu instid0(VALU_DEP_2)
	v_mov_b32_dpp v15, v10 row_shr:2 row_mask:0xf bank_mask:0xf
	s_mov_b32 s3, exec_lo
	v_cmpx_lt_u32_e32 1, v13
; %bb.95:
	s_delay_alu instid0(VALU_DEP_3) | instskip(SKIP_2) | instid1(VALU_DEP_2)
	v_add_co_u32 v14, vcc_lo, v9, v16
	s_wait_alu 0xfffd
	v_add_co_ci_u32_e64 v10, null, 0, v10, vcc_lo
	v_add_co_u32 v9, vcc_lo, 0, v14
	s_wait_alu 0xfffd
	s_delay_alu instid0(VALU_DEP_2)
	v_add_co_ci_u32_e64 v10, null, v15, v10, vcc_lo
; %bb.96:
	s_wait_alu 0xfffe
	s_or_b32 exec_lo, exec_lo, s3
	v_mov_b32_dpp v15, v14 row_shr:4 row_mask:0xf bank_mask:0xf
	s_delay_alu instid0(VALU_DEP_2)
	v_mov_b32_dpp v14, v10 row_shr:4 row_mask:0xf bank_mask:0xf
	s_mov_b32 s3, exec_lo
	v_cmpx_lt_u32_e32 3, v13
; %bb.97:
	s_delay_alu instid0(VALU_DEP_3) | instskip(SKIP_2) | instid1(VALU_DEP_2)
	v_add_co_u32 v9, vcc_lo, v9, v15
	s_wait_alu 0xfffd
	v_add_co_ci_u32_e64 v10, null, 0, v10, vcc_lo
	v_add_co_u32 v9, vcc_lo, v9, 0
	s_wait_alu 0xfffd
	s_delay_alu instid0(VALU_DEP_2)
	v_add_co_ci_u32_e64 v10, null, v10, v14, vcc_lo
; %bb.98:
	s_wait_alu 0xfffe
	s_or_b32 exec_lo, exec_lo, s3
	ds_store_b64 v12, v[9:10]
.LBB1922_99:
	s_wait_alu 0xfffe
	s_or_b32 exec_lo, exec_lo, s2
	v_mov_b32_e32 v13, 0
	v_mov_b32_e32 v14, 0
	s_mov_b32 s2, exec_lo
	s_wait_loadcnt_dscnt 0x0
	s_barrier_signal -1
	s_barrier_wait -1
	global_inv scope:SCOPE_SE
	v_cmpx_lt_u32_e32 31, v0
; %bb.100:
	v_lshl_add_u32 v9, v11, 3, -8
	ds_load_b64 v[13:14], v9
; %bb.101:
	s_wait_alu 0xfffe
	s_or_b32 exec_lo, exec_lo, s2
	v_sub_co_u32 v9, vcc_lo, v31, 1
	v_mov_b32_e32 v12, 0
	s_delay_alu instid0(VALU_DEP_2) | instskip(SKIP_1) | instid1(VALU_DEP_1)
	v_cmp_gt_i32_e64 s2, 0, v9
	s_wait_alu 0xf1ff
	v_cndmask_b32_e64 v9, v9, v31, s2
	s_wait_dscnt 0x0
	v_add_co_u32 v10, s2, v13, v17
	s_wait_alu 0xf1ff
	v_add_co_ci_u32_e64 v11, null, v14, v18, s2
	v_lshlrev_b32_e32 v9, 2, v9
	v_cmp_eq_u32_e64 s2, 0, v0
	ds_bpermute_b32 v15, v9, v10
	ds_bpermute_b32 v16, v9, v11
	ds_load_b64 v[9:10], v12 offset:56
	s_and_saveexec_b32 s3, s2
	s_cbranch_execz .LBB1922_103
; %bb.102:
	s_wait_kmcnt 0x0
	s_add_nc_u64 s[4:5], s[6:7], 0x200
	s_wait_alu 0xfffe
	v_dual_mov_b32 v11, 2 :: v_dual_mov_b32 v18, s5
	v_mov_b32_e32 v17, s4
	s_wait_dscnt 0x0
	;;#ASMSTART
	global_store_b128 v[17:18], v[9:12] off scope:SCOPE_DEV	
s_wait_storecnt 0x0
	;;#ASMEND
.LBB1922_103:
	s_wait_alu 0xfffe
	s_or_b32 exec_lo, exec_lo, s3
	s_wait_dscnt 0x1
	s_wait_alu 0xfffd
	v_dual_cndmask_b32 v11, v15, v13 :: v_dual_cndmask_b32 v12, v16, v14
	s_wait_loadcnt_dscnt 0x0
	s_barrier_signal -1
	s_barrier_wait -1
	s_delay_alu instid0(VALU_DEP_1)
	v_cndmask_b32_e64 v21, v11, 0, s2
	v_cndmask_b32_e64 v22, v12, 0, s2
	v_mov_b32_e32 v11, 0
	v_mov_b32_e32 v12, 0
	global_inv scope:SCOPE_SE
	v_add_co_u32 v19, vcc_lo, v21, v30
	s_wait_alu 0xfffd
	v_add_co_ci_u32_e64 v20, null, 0, v22, vcc_lo
	s_delay_alu instid0(VALU_DEP_2) | instskip(SKIP_1) | instid1(VALU_DEP_2)
	v_add_co_u32 v13, vcc_lo, v19, v29
	s_wait_alu 0xfffd
	v_add_co_ci_u32_e64 v14, null, 0, v20, vcc_lo
	s_delay_alu instid0(VALU_DEP_2) | instskip(SKIP_1) | instid1(VALU_DEP_2)
	v_add_co_u32 v15, vcc_lo, v13, v28
	s_wait_alu 0xfffd
	v_add_co_ci_u32_e64 v16, null, 0, v14, vcc_lo
.LBB1922_104:
	s_load_b64 s[2:3], s[0:1], 0x30
	v_and_b32_e32 v23, 1, v27
	s_wait_dscnt 0x0
	v_cmp_gt_u64_e32 vcc_lo, 0x101, v[9:10]
	s_mov_b32 s1, -1
	s_delay_alu instid0(VALU_DEP_2)
	v_cmp_eq_u32_e64 s0, 1, v23
	s_cbranch_vccnz .LBB1922_108
; %bb.105:
	s_wait_alu 0xfffe
	s_and_b32 vcc_lo, exec_lo, s1
	s_wait_alu 0xfffe
	s_cbranch_vccnz .LBB1922_117
.LBB1922_106:
	v_cmp_eq_u32_e32 vcc_lo, 0, v0
	s_and_b32 s0, vcc_lo, s14
	s_wait_alu 0xfffe
	s_and_saveexec_b32 s1, s0
	s_cbranch_execnz .LBB1922_129
.LBB1922_107:
	s_endpgm
.LBB1922_108:
	v_add_co_u32 v17, vcc_lo, v11, v9
	s_wait_alu 0xfffd
	v_add_co_ci_u32_e64 v18, null, v12, v10, vcc_lo
	s_wait_kmcnt 0x0
	s_lshl_b64 s[4:5], s[10:11], 2
	s_wait_alu 0xfffe
	s_add_nc_u64 s[4:5], s[2:3], s[4:5]
	v_cmp_lt_u64_e32 vcc_lo, v[21:22], v[17:18]
	s_or_b32 s1, s15, vcc_lo
	s_wait_alu 0xfffe
	s_and_b32 s1, s1, s0
	s_wait_alu 0xfffe
	s_and_saveexec_b32 s0, s1
	s_cbranch_execz .LBB1922_110
; %bb.109:
	v_lshlrev_b64_e32 v[27:28], 2, v[21:22]
	s_delay_alu instid0(VALU_DEP_1) | instskip(SKIP_1) | instid1(VALU_DEP_2)
	v_add_co_u32 v27, vcc_lo, s4, v27
	s_wait_alu 0xfffd
	v_add_co_ci_u32_e64 v28, null, s5, v28, vcc_lo
	global_store_b32 v[27:28], v1, off
.LBB1922_110:
	s_wait_alu 0xfffe
	s_or_b32 exec_lo, exec_lo, s0
	v_and_b32_e32 v22, 1, v26
	v_cmp_lt_u64_e32 vcc_lo, v[19:20], v[17:18]
	s_delay_alu instid0(VALU_DEP_2)
	v_cmp_eq_u32_e64 s0, 1, v22
	s_or_b32 s1, s15, vcc_lo
	s_wait_alu 0xfffe
	s_and_b32 s1, s1, s0
	s_wait_alu 0xfffe
	s_and_saveexec_b32 s0, s1
	s_cbranch_execz .LBB1922_112
; %bb.111:
	v_lshlrev_b64_e32 v[27:28], 2, v[19:20]
	s_delay_alu instid0(VALU_DEP_1) | instskip(SKIP_1) | instid1(VALU_DEP_2)
	v_add_co_u32 v27, vcc_lo, s4, v27
	s_wait_alu 0xfffd
	v_add_co_ci_u32_e64 v28, null, s5, v28, vcc_lo
	global_store_b32 v[27:28], v5, off
.LBB1922_112:
	s_wait_alu 0xfffe
	s_or_b32 exec_lo, exec_lo, s0
	v_and_b32_e32 v20, 1, v25
	v_cmp_lt_u64_e32 vcc_lo, v[13:14], v[17:18]
	s_delay_alu instid0(VALU_DEP_2)
	v_cmp_eq_u32_e64 s0, 1, v20
	s_or_b32 s1, s15, vcc_lo
	s_wait_alu 0xfffe
	s_and_b32 s1, s1, s0
	s_wait_alu 0xfffe
	s_and_saveexec_b32 s0, s1
	s_cbranch_execz .LBB1922_114
; %bb.113:
	v_lshlrev_b64_e32 v[27:28], 2, v[13:14]
	s_delay_alu instid0(VALU_DEP_1) | instskip(SKIP_1) | instid1(VALU_DEP_2)
	v_add_co_u32 v27, vcc_lo, s4, v27
	s_wait_alu 0xfffd
	v_add_co_ci_u32_e64 v28, null, s5, v28, vcc_lo
	global_store_b32 v[27:28], v7, off
.LBB1922_114:
	s_wait_alu 0xfffe
	s_or_b32 exec_lo, exec_lo, s0
	v_cmp_lt_u64_e32 vcc_lo, v[15:16], v[17:18]
	s_or_b32 s0, s15, vcc_lo
	s_wait_alu 0xfffe
	s_and_b32 s1, s0, s8
	s_wait_alu 0xfffe
	s_and_saveexec_b32 s0, s1
	s_cbranch_execz .LBB1922_116
; %bb.115:
	v_lshlrev_b64_e32 v[16:17], 2, v[15:16]
	s_delay_alu instid0(VALU_DEP_1) | instskip(SKIP_1) | instid1(VALU_DEP_2)
	v_add_co_u32 v16, vcc_lo, s4, v16
	s_wait_alu 0xfffd
	v_add_co_ci_u32_e64 v17, null, s5, v17, vcc_lo
	global_store_b32 v[16:17], v3, off
.LBB1922_116:
	s_wait_alu 0xfffe
	s_or_b32 exec_lo, exec_lo, s0
	s_branch .LBB1922_106
.LBB1922_117:
	s_mov_b32 s0, exec_lo
	v_cmpx_eq_u32_e32 1, v23
; %bb.118:
	v_sub_nc_u32_e32 v14, v21, v11
	s_delay_alu instid0(VALU_DEP_1)
	v_lshlrev_b32_e32 v14, 3, v14
	ds_store_b64 v14, v[1:2]
; %bb.119:
	s_wait_alu 0xfffe
	s_or_b32 exec_lo, exec_lo, s0
	v_and_b32_e32 v1, 1, v26
	s_mov_b32 s0, exec_lo
	s_delay_alu instid0(VALU_DEP_1)
	v_cmpx_eq_u32_e32 1, v1
; %bb.120:
	v_sub_nc_u32_e32 v1, v19, v11
	s_delay_alu instid0(VALU_DEP_1)
	v_lshlrev_b32_e32 v1, 3, v1
	ds_store_b64 v1, v[5:6]
; %bb.121:
	s_wait_alu 0xfffe
	s_or_b32 exec_lo, exec_lo, s0
	v_and_b32_e32 v1, 1, v25
	s_mov_b32 s0, exec_lo
	s_delay_alu instid0(VALU_DEP_1)
	v_cmpx_eq_u32_e32 1, v1
; %bb.122:
	v_sub_nc_u32_e32 v1, v13, v11
	s_delay_alu instid0(VALU_DEP_1)
	v_lshlrev_b32_e32 v1, 3, v1
	ds_store_b64 v1, v[7:8]
; %bb.123:
	s_wait_alu 0xfffe
	s_or_b32 exec_lo, exec_lo, s0
	s_and_saveexec_b32 s0, s8
; %bb.124:
	v_sub_nc_u32_e32 v1, v15, v11
	s_delay_alu instid0(VALU_DEP_1)
	v_lshlrev_b32_e32 v1, 3, v1
	ds_store_b64 v1, v[3:4]
; %bb.125:
	s_wait_alu 0xfffe
	s_or_b32 exec_lo, exec_lo, s0
	v_mov_b32_e32 v3, 0
	s_mov_b32 s1, exec_lo
	s_wait_storecnt 0x0
	s_wait_loadcnt_dscnt 0x0
	s_barrier_signal -1
	s_barrier_wait -1
	v_mov_b32_e32 v1, v3
	global_inv scope:SCOPE_SE
	v_cmpx_gt_u64_e64 v[9:10], v[0:1]
	s_cbranch_execz .LBB1922_128
; %bb.126:
	v_lshlrev_b64_e32 v[4:5], 2, v[11:12]
	s_wait_kmcnt 0x0
	s_lshl_b64 s[4:5], s[10:11], 2
	v_or_b32_e32 v2, 0x100, v0
	s_wait_alu 0xfffe
	s_add_nc_u64 s[2:3], s[2:3], s[4:5]
	s_wait_alu 0xfffe
	v_add_co_u32 v6, vcc_lo, s2, v4
	s_wait_alu 0xfffd
	v_add_co_ci_u32_e64 v7, null, s3, v5, vcc_lo
	v_dual_mov_b32 v5, v1 :: v_dual_mov_b32 v4, v0
	s_mov_b32 s2, 0
.LBB1922_127:                           ; =>This Inner Loop Header: Depth=1
	s_delay_alu instid0(VALU_DEP_1) | instskip(NEXT) | instid1(VALU_DEP_2)
	v_lshlrev_b32_e32 v1, 3, v4
	v_lshlrev_b64_e32 v[13:14], 2, v[4:5]
	v_dual_mov_b32 v5, v3 :: v_dual_mov_b32 v4, v2
	v_cmp_le_u64_e32 vcc_lo, v[9:10], v[2:3]
	ds_load_b32 v1, v1
	v_add_nc_u32_e32 v2, 0x100, v2
	v_add_co_u32 v13, s0, v6, v13
	s_wait_alu 0xf1ff
	v_add_co_ci_u32_e64 v14, null, v7, v14, s0
	s_wait_alu 0xfffe
	s_or_b32 s2, vcc_lo, s2
	s_wait_dscnt 0x0
	global_store_b32 v[13:14], v1, off
	s_wait_alu 0xfffe
	s_and_not1_b32 exec_lo, exec_lo, s2
	s_cbranch_execnz .LBB1922_127
.LBB1922_128:
	s_wait_alu 0xfffe
	s_or_b32 exec_lo, exec_lo, s1
	v_cmp_eq_u32_e32 vcc_lo, 0, v0
	s_and_b32 s0, vcc_lo, s14
	s_wait_alu 0xfffe
	s_and_saveexec_b32 s1, s0
	s_cbranch_execz .LBB1922_107
.LBB1922_129:
	v_add_co_u32 v0, vcc_lo, v11, v9
	s_wait_alu 0xfffd
	v_add_co_ci_u32_e64 v1, null, v12, v10, vcc_lo
	v_mov_b32_e32 v2, 0
	s_wait_kmcnt 0x0
	v_add_co_u32 v0, vcc_lo, v0, s10
	s_wait_alu 0xfffd
	v_add_co_ci_u32_e64 v1, null, s11, v1, vcc_lo
	global_store_b64 v2, v[0:1], s[12:13]
	s_endpgm
	.section	.rodata,"a",@progbits
	.p2align	6, 0x0
	.amdhsa_kernel _ZN7rocprim17ROCPRIM_400000_NS6detail17trampoline_kernelINS0_14default_configENS1_25partition_config_selectorILNS1_17partition_subalgoE6EN6thrust23THRUST_200600_302600_NS5tupleIjjNS7_9null_typeES9_S9_S9_S9_S9_S9_S9_EENS0_10empty_typeEbEEZZNS1_14partition_implILS5_6ELb0ES3_mNS7_12zip_iteratorINS8_INS7_6detail15normal_iteratorINS7_10device_ptrIjEEEESJ_S9_S9_S9_S9_S9_S9_S9_S9_EEEEPSB_SM_NS0_5tupleIJNSE_INS8_ISJ_NS7_16discard_iteratorINS7_11use_defaultEEES9_S9_S9_S9_S9_S9_S9_S9_EEEESB_EEENSN_IJSM_SM_EEESB_PlJNSF_9not_fun_tINSF_14equal_to_valueISA_EEEEEEE10hipError_tPvRmT3_T4_T5_T6_T7_T9_mT8_P12ihipStream_tbDpT10_ENKUlT_T0_E_clISt17integral_constantIbLb0EES1J_EEDaS1E_S1F_EUlS1E_E_NS1_11comp_targetILNS1_3genE10ELNS1_11target_archE1200ELNS1_3gpuE4ELNS1_3repE0EEENS1_30default_config_static_selectorELNS0_4arch9wavefront6targetE0EEEvT1_
		.amdhsa_group_segment_fixed_size 8464
		.amdhsa_private_segment_fixed_size 0
		.amdhsa_kernarg_size 144
		.amdhsa_user_sgpr_count 2
		.amdhsa_user_sgpr_dispatch_ptr 0
		.amdhsa_user_sgpr_queue_ptr 0
		.amdhsa_user_sgpr_kernarg_segment_ptr 1
		.amdhsa_user_sgpr_dispatch_id 0
		.amdhsa_user_sgpr_private_segment_size 0
		.amdhsa_wavefront_size32 1
		.amdhsa_uses_dynamic_stack 0
		.amdhsa_enable_private_segment 0
		.amdhsa_system_sgpr_workgroup_id_x 1
		.amdhsa_system_sgpr_workgroup_id_y 0
		.amdhsa_system_sgpr_workgroup_id_z 0
		.amdhsa_system_sgpr_workgroup_info 0
		.amdhsa_system_vgpr_workitem_id 0
		.amdhsa_next_free_vgpr 46
		.amdhsa_next_free_sgpr 24
		.amdhsa_reserve_vcc 1
		.amdhsa_float_round_mode_32 0
		.amdhsa_float_round_mode_16_64 0
		.amdhsa_float_denorm_mode_32 3
		.amdhsa_float_denorm_mode_16_64 3
		.amdhsa_fp16_overflow 0
		.amdhsa_workgroup_processor_mode 1
		.amdhsa_memory_ordered 1
		.amdhsa_forward_progress 1
		.amdhsa_inst_pref_size 50
		.amdhsa_round_robin_scheduling 0
		.amdhsa_exception_fp_ieee_invalid_op 0
		.amdhsa_exception_fp_denorm_src 0
		.amdhsa_exception_fp_ieee_div_zero 0
		.amdhsa_exception_fp_ieee_overflow 0
		.amdhsa_exception_fp_ieee_underflow 0
		.amdhsa_exception_fp_ieee_inexact 0
		.amdhsa_exception_int_div_zero 0
	.end_amdhsa_kernel
	.section	.text._ZN7rocprim17ROCPRIM_400000_NS6detail17trampoline_kernelINS0_14default_configENS1_25partition_config_selectorILNS1_17partition_subalgoE6EN6thrust23THRUST_200600_302600_NS5tupleIjjNS7_9null_typeES9_S9_S9_S9_S9_S9_S9_EENS0_10empty_typeEbEEZZNS1_14partition_implILS5_6ELb0ES3_mNS7_12zip_iteratorINS8_INS7_6detail15normal_iteratorINS7_10device_ptrIjEEEESJ_S9_S9_S9_S9_S9_S9_S9_S9_EEEEPSB_SM_NS0_5tupleIJNSE_INS8_ISJ_NS7_16discard_iteratorINS7_11use_defaultEEES9_S9_S9_S9_S9_S9_S9_S9_EEEESB_EEENSN_IJSM_SM_EEESB_PlJNSF_9not_fun_tINSF_14equal_to_valueISA_EEEEEEE10hipError_tPvRmT3_T4_T5_T6_T7_T9_mT8_P12ihipStream_tbDpT10_ENKUlT_T0_E_clISt17integral_constantIbLb0EES1J_EEDaS1E_S1F_EUlS1E_E_NS1_11comp_targetILNS1_3genE10ELNS1_11target_archE1200ELNS1_3gpuE4ELNS1_3repE0EEENS1_30default_config_static_selectorELNS0_4arch9wavefront6targetE0EEEvT1_,"axG",@progbits,_ZN7rocprim17ROCPRIM_400000_NS6detail17trampoline_kernelINS0_14default_configENS1_25partition_config_selectorILNS1_17partition_subalgoE6EN6thrust23THRUST_200600_302600_NS5tupleIjjNS7_9null_typeES9_S9_S9_S9_S9_S9_S9_EENS0_10empty_typeEbEEZZNS1_14partition_implILS5_6ELb0ES3_mNS7_12zip_iteratorINS8_INS7_6detail15normal_iteratorINS7_10device_ptrIjEEEESJ_S9_S9_S9_S9_S9_S9_S9_S9_EEEEPSB_SM_NS0_5tupleIJNSE_INS8_ISJ_NS7_16discard_iteratorINS7_11use_defaultEEES9_S9_S9_S9_S9_S9_S9_S9_EEEESB_EEENSN_IJSM_SM_EEESB_PlJNSF_9not_fun_tINSF_14equal_to_valueISA_EEEEEEE10hipError_tPvRmT3_T4_T5_T6_T7_T9_mT8_P12ihipStream_tbDpT10_ENKUlT_T0_E_clISt17integral_constantIbLb0EES1J_EEDaS1E_S1F_EUlS1E_E_NS1_11comp_targetILNS1_3genE10ELNS1_11target_archE1200ELNS1_3gpuE4ELNS1_3repE0EEENS1_30default_config_static_selectorELNS0_4arch9wavefront6targetE0EEEvT1_,comdat
.Lfunc_end1922:
	.size	_ZN7rocprim17ROCPRIM_400000_NS6detail17trampoline_kernelINS0_14default_configENS1_25partition_config_selectorILNS1_17partition_subalgoE6EN6thrust23THRUST_200600_302600_NS5tupleIjjNS7_9null_typeES9_S9_S9_S9_S9_S9_S9_EENS0_10empty_typeEbEEZZNS1_14partition_implILS5_6ELb0ES3_mNS7_12zip_iteratorINS8_INS7_6detail15normal_iteratorINS7_10device_ptrIjEEEESJ_S9_S9_S9_S9_S9_S9_S9_S9_EEEEPSB_SM_NS0_5tupleIJNSE_INS8_ISJ_NS7_16discard_iteratorINS7_11use_defaultEEES9_S9_S9_S9_S9_S9_S9_S9_EEEESB_EEENSN_IJSM_SM_EEESB_PlJNSF_9not_fun_tINSF_14equal_to_valueISA_EEEEEEE10hipError_tPvRmT3_T4_T5_T6_T7_T9_mT8_P12ihipStream_tbDpT10_ENKUlT_T0_E_clISt17integral_constantIbLb0EES1J_EEDaS1E_S1F_EUlS1E_E_NS1_11comp_targetILNS1_3genE10ELNS1_11target_archE1200ELNS1_3gpuE4ELNS1_3repE0EEENS1_30default_config_static_selectorELNS0_4arch9wavefront6targetE0EEEvT1_, .Lfunc_end1922-_ZN7rocprim17ROCPRIM_400000_NS6detail17trampoline_kernelINS0_14default_configENS1_25partition_config_selectorILNS1_17partition_subalgoE6EN6thrust23THRUST_200600_302600_NS5tupleIjjNS7_9null_typeES9_S9_S9_S9_S9_S9_S9_EENS0_10empty_typeEbEEZZNS1_14partition_implILS5_6ELb0ES3_mNS7_12zip_iteratorINS8_INS7_6detail15normal_iteratorINS7_10device_ptrIjEEEESJ_S9_S9_S9_S9_S9_S9_S9_S9_EEEEPSB_SM_NS0_5tupleIJNSE_INS8_ISJ_NS7_16discard_iteratorINS7_11use_defaultEEES9_S9_S9_S9_S9_S9_S9_S9_EEEESB_EEENSN_IJSM_SM_EEESB_PlJNSF_9not_fun_tINSF_14equal_to_valueISA_EEEEEEE10hipError_tPvRmT3_T4_T5_T6_T7_T9_mT8_P12ihipStream_tbDpT10_ENKUlT_T0_E_clISt17integral_constantIbLb0EES1J_EEDaS1E_S1F_EUlS1E_E_NS1_11comp_targetILNS1_3genE10ELNS1_11target_archE1200ELNS1_3gpuE4ELNS1_3repE0EEENS1_30default_config_static_selectorELNS0_4arch9wavefront6targetE0EEEvT1_
                                        ; -- End function
	.set _ZN7rocprim17ROCPRIM_400000_NS6detail17trampoline_kernelINS0_14default_configENS1_25partition_config_selectorILNS1_17partition_subalgoE6EN6thrust23THRUST_200600_302600_NS5tupleIjjNS7_9null_typeES9_S9_S9_S9_S9_S9_S9_EENS0_10empty_typeEbEEZZNS1_14partition_implILS5_6ELb0ES3_mNS7_12zip_iteratorINS8_INS7_6detail15normal_iteratorINS7_10device_ptrIjEEEESJ_S9_S9_S9_S9_S9_S9_S9_S9_EEEEPSB_SM_NS0_5tupleIJNSE_INS8_ISJ_NS7_16discard_iteratorINS7_11use_defaultEEES9_S9_S9_S9_S9_S9_S9_S9_EEEESB_EEENSN_IJSM_SM_EEESB_PlJNSF_9not_fun_tINSF_14equal_to_valueISA_EEEEEEE10hipError_tPvRmT3_T4_T5_T6_T7_T9_mT8_P12ihipStream_tbDpT10_ENKUlT_T0_E_clISt17integral_constantIbLb0EES1J_EEDaS1E_S1F_EUlS1E_E_NS1_11comp_targetILNS1_3genE10ELNS1_11target_archE1200ELNS1_3gpuE4ELNS1_3repE0EEENS1_30default_config_static_selectorELNS0_4arch9wavefront6targetE0EEEvT1_.num_vgpr, 46
	.set _ZN7rocprim17ROCPRIM_400000_NS6detail17trampoline_kernelINS0_14default_configENS1_25partition_config_selectorILNS1_17partition_subalgoE6EN6thrust23THRUST_200600_302600_NS5tupleIjjNS7_9null_typeES9_S9_S9_S9_S9_S9_S9_EENS0_10empty_typeEbEEZZNS1_14partition_implILS5_6ELb0ES3_mNS7_12zip_iteratorINS8_INS7_6detail15normal_iteratorINS7_10device_ptrIjEEEESJ_S9_S9_S9_S9_S9_S9_S9_S9_EEEEPSB_SM_NS0_5tupleIJNSE_INS8_ISJ_NS7_16discard_iteratorINS7_11use_defaultEEES9_S9_S9_S9_S9_S9_S9_S9_EEEESB_EEENSN_IJSM_SM_EEESB_PlJNSF_9not_fun_tINSF_14equal_to_valueISA_EEEEEEE10hipError_tPvRmT3_T4_T5_T6_T7_T9_mT8_P12ihipStream_tbDpT10_ENKUlT_T0_E_clISt17integral_constantIbLb0EES1J_EEDaS1E_S1F_EUlS1E_E_NS1_11comp_targetILNS1_3genE10ELNS1_11target_archE1200ELNS1_3gpuE4ELNS1_3repE0EEENS1_30default_config_static_selectorELNS0_4arch9wavefront6targetE0EEEvT1_.num_agpr, 0
	.set _ZN7rocprim17ROCPRIM_400000_NS6detail17trampoline_kernelINS0_14default_configENS1_25partition_config_selectorILNS1_17partition_subalgoE6EN6thrust23THRUST_200600_302600_NS5tupleIjjNS7_9null_typeES9_S9_S9_S9_S9_S9_S9_EENS0_10empty_typeEbEEZZNS1_14partition_implILS5_6ELb0ES3_mNS7_12zip_iteratorINS8_INS7_6detail15normal_iteratorINS7_10device_ptrIjEEEESJ_S9_S9_S9_S9_S9_S9_S9_S9_EEEEPSB_SM_NS0_5tupleIJNSE_INS8_ISJ_NS7_16discard_iteratorINS7_11use_defaultEEES9_S9_S9_S9_S9_S9_S9_S9_EEEESB_EEENSN_IJSM_SM_EEESB_PlJNSF_9not_fun_tINSF_14equal_to_valueISA_EEEEEEE10hipError_tPvRmT3_T4_T5_T6_T7_T9_mT8_P12ihipStream_tbDpT10_ENKUlT_T0_E_clISt17integral_constantIbLb0EES1J_EEDaS1E_S1F_EUlS1E_E_NS1_11comp_targetILNS1_3genE10ELNS1_11target_archE1200ELNS1_3gpuE4ELNS1_3repE0EEENS1_30default_config_static_selectorELNS0_4arch9wavefront6targetE0EEEvT1_.numbered_sgpr, 24
	.set _ZN7rocprim17ROCPRIM_400000_NS6detail17trampoline_kernelINS0_14default_configENS1_25partition_config_selectorILNS1_17partition_subalgoE6EN6thrust23THRUST_200600_302600_NS5tupleIjjNS7_9null_typeES9_S9_S9_S9_S9_S9_S9_EENS0_10empty_typeEbEEZZNS1_14partition_implILS5_6ELb0ES3_mNS7_12zip_iteratorINS8_INS7_6detail15normal_iteratorINS7_10device_ptrIjEEEESJ_S9_S9_S9_S9_S9_S9_S9_S9_EEEEPSB_SM_NS0_5tupleIJNSE_INS8_ISJ_NS7_16discard_iteratorINS7_11use_defaultEEES9_S9_S9_S9_S9_S9_S9_S9_EEEESB_EEENSN_IJSM_SM_EEESB_PlJNSF_9not_fun_tINSF_14equal_to_valueISA_EEEEEEE10hipError_tPvRmT3_T4_T5_T6_T7_T9_mT8_P12ihipStream_tbDpT10_ENKUlT_T0_E_clISt17integral_constantIbLb0EES1J_EEDaS1E_S1F_EUlS1E_E_NS1_11comp_targetILNS1_3genE10ELNS1_11target_archE1200ELNS1_3gpuE4ELNS1_3repE0EEENS1_30default_config_static_selectorELNS0_4arch9wavefront6targetE0EEEvT1_.num_named_barrier, 0
	.set _ZN7rocprim17ROCPRIM_400000_NS6detail17trampoline_kernelINS0_14default_configENS1_25partition_config_selectorILNS1_17partition_subalgoE6EN6thrust23THRUST_200600_302600_NS5tupleIjjNS7_9null_typeES9_S9_S9_S9_S9_S9_S9_EENS0_10empty_typeEbEEZZNS1_14partition_implILS5_6ELb0ES3_mNS7_12zip_iteratorINS8_INS7_6detail15normal_iteratorINS7_10device_ptrIjEEEESJ_S9_S9_S9_S9_S9_S9_S9_S9_EEEEPSB_SM_NS0_5tupleIJNSE_INS8_ISJ_NS7_16discard_iteratorINS7_11use_defaultEEES9_S9_S9_S9_S9_S9_S9_S9_EEEESB_EEENSN_IJSM_SM_EEESB_PlJNSF_9not_fun_tINSF_14equal_to_valueISA_EEEEEEE10hipError_tPvRmT3_T4_T5_T6_T7_T9_mT8_P12ihipStream_tbDpT10_ENKUlT_T0_E_clISt17integral_constantIbLb0EES1J_EEDaS1E_S1F_EUlS1E_E_NS1_11comp_targetILNS1_3genE10ELNS1_11target_archE1200ELNS1_3gpuE4ELNS1_3repE0EEENS1_30default_config_static_selectorELNS0_4arch9wavefront6targetE0EEEvT1_.private_seg_size, 0
	.set _ZN7rocprim17ROCPRIM_400000_NS6detail17trampoline_kernelINS0_14default_configENS1_25partition_config_selectorILNS1_17partition_subalgoE6EN6thrust23THRUST_200600_302600_NS5tupleIjjNS7_9null_typeES9_S9_S9_S9_S9_S9_S9_EENS0_10empty_typeEbEEZZNS1_14partition_implILS5_6ELb0ES3_mNS7_12zip_iteratorINS8_INS7_6detail15normal_iteratorINS7_10device_ptrIjEEEESJ_S9_S9_S9_S9_S9_S9_S9_S9_EEEEPSB_SM_NS0_5tupleIJNSE_INS8_ISJ_NS7_16discard_iteratorINS7_11use_defaultEEES9_S9_S9_S9_S9_S9_S9_S9_EEEESB_EEENSN_IJSM_SM_EEESB_PlJNSF_9not_fun_tINSF_14equal_to_valueISA_EEEEEEE10hipError_tPvRmT3_T4_T5_T6_T7_T9_mT8_P12ihipStream_tbDpT10_ENKUlT_T0_E_clISt17integral_constantIbLb0EES1J_EEDaS1E_S1F_EUlS1E_E_NS1_11comp_targetILNS1_3genE10ELNS1_11target_archE1200ELNS1_3gpuE4ELNS1_3repE0EEENS1_30default_config_static_selectorELNS0_4arch9wavefront6targetE0EEEvT1_.uses_vcc, 1
	.set _ZN7rocprim17ROCPRIM_400000_NS6detail17trampoline_kernelINS0_14default_configENS1_25partition_config_selectorILNS1_17partition_subalgoE6EN6thrust23THRUST_200600_302600_NS5tupleIjjNS7_9null_typeES9_S9_S9_S9_S9_S9_S9_EENS0_10empty_typeEbEEZZNS1_14partition_implILS5_6ELb0ES3_mNS7_12zip_iteratorINS8_INS7_6detail15normal_iteratorINS7_10device_ptrIjEEEESJ_S9_S9_S9_S9_S9_S9_S9_S9_EEEEPSB_SM_NS0_5tupleIJNSE_INS8_ISJ_NS7_16discard_iteratorINS7_11use_defaultEEES9_S9_S9_S9_S9_S9_S9_S9_EEEESB_EEENSN_IJSM_SM_EEESB_PlJNSF_9not_fun_tINSF_14equal_to_valueISA_EEEEEEE10hipError_tPvRmT3_T4_T5_T6_T7_T9_mT8_P12ihipStream_tbDpT10_ENKUlT_T0_E_clISt17integral_constantIbLb0EES1J_EEDaS1E_S1F_EUlS1E_E_NS1_11comp_targetILNS1_3genE10ELNS1_11target_archE1200ELNS1_3gpuE4ELNS1_3repE0EEENS1_30default_config_static_selectorELNS0_4arch9wavefront6targetE0EEEvT1_.uses_flat_scratch, 0
	.set _ZN7rocprim17ROCPRIM_400000_NS6detail17trampoline_kernelINS0_14default_configENS1_25partition_config_selectorILNS1_17partition_subalgoE6EN6thrust23THRUST_200600_302600_NS5tupleIjjNS7_9null_typeES9_S9_S9_S9_S9_S9_S9_EENS0_10empty_typeEbEEZZNS1_14partition_implILS5_6ELb0ES3_mNS7_12zip_iteratorINS8_INS7_6detail15normal_iteratorINS7_10device_ptrIjEEEESJ_S9_S9_S9_S9_S9_S9_S9_S9_EEEEPSB_SM_NS0_5tupleIJNSE_INS8_ISJ_NS7_16discard_iteratorINS7_11use_defaultEEES9_S9_S9_S9_S9_S9_S9_S9_EEEESB_EEENSN_IJSM_SM_EEESB_PlJNSF_9not_fun_tINSF_14equal_to_valueISA_EEEEEEE10hipError_tPvRmT3_T4_T5_T6_T7_T9_mT8_P12ihipStream_tbDpT10_ENKUlT_T0_E_clISt17integral_constantIbLb0EES1J_EEDaS1E_S1F_EUlS1E_E_NS1_11comp_targetILNS1_3genE10ELNS1_11target_archE1200ELNS1_3gpuE4ELNS1_3repE0EEENS1_30default_config_static_selectorELNS0_4arch9wavefront6targetE0EEEvT1_.has_dyn_sized_stack, 0
	.set _ZN7rocprim17ROCPRIM_400000_NS6detail17trampoline_kernelINS0_14default_configENS1_25partition_config_selectorILNS1_17partition_subalgoE6EN6thrust23THRUST_200600_302600_NS5tupleIjjNS7_9null_typeES9_S9_S9_S9_S9_S9_S9_EENS0_10empty_typeEbEEZZNS1_14partition_implILS5_6ELb0ES3_mNS7_12zip_iteratorINS8_INS7_6detail15normal_iteratorINS7_10device_ptrIjEEEESJ_S9_S9_S9_S9_S9_S9_S9_S9_EEEEPSB_SM_NS0_5tupleIJNSE_INS8_ISJ_NS7_16discard_iteratorINS7_11use_defaultEEES9_S9_S9_S9_S9_S9_S9_S9_EEEESB_EEENSN_IJSM_SM_EEESB_PlJNSF_9not_fun_tINSF_14equal_to_valueISA_EEEEEEE10hipError_tPvRmT3_T4_T5_T6_T7_T9_mT8_P12ihipStream_tbDpT10_ENKUlT_T0_E_clISt17integral_constantIbLb0EES1J_EEDaS1E_S1F_EUlS1E_E_NS1_11comp_targetILNS1_3genE10ELNS1_11target_archE1200ELNS1_3gpuE4ELNS1_3repE0EEENS1_30default_config_static_selectorELNS0_4arch9wavefront6targetE0EEEvT1_.has_recursion, 0
	.set _ZN7rocprim17ROCPRIM_400000_NS6detail17trampoline_kernelINS0_14default_configENS1_25partition_config_selectorILNS1_17partition_subalgoE6EN6thrust23THRUST_200600_302600_NS5tupleIjjNS7_9null_typeES9_S9_S9_S9_S9_S9_S9_EENS0_10empty_typeEbEEZZNS1_14partition_implILS5_6ELb0ES3_mNS7_12zip_iteratorINS8_INS7_6detail15normal_iteratorINS7_10device_ptrIjEEEESJ_S9_S9_S9_S9_S9_S9_S9_S9_EEEEPSB_SM_NS0_5tupleIJNSE_INS8_ISJ_NS7_16discard_iteratorINS7_11use_defaultEEES9_S9_S9_S9_S9_S9_S9_S9_EEEESB_EEENSN_IJSM_SM_EEESB_PlJNSF_9not_fun_tINSF_14equal_to_valueISA_EEEEEEE10hipError_tPvRmT3_T4_T5_T6_T7_T9_mT8_P12ihipStream_tbDpT10_ENKUlT_T0_E_clISt17integral_constantIbLb0EES1J_EEDaS1E_S1F_EUlS1E_E_NS1_11comp_targetILNS1_3genE10ELNS1_11target_archE1200ELNS1_3gpuE4ELNS1_3repE0EEENS1_30default_config_static_selectorELNS0_4arch9wavefront6targetE0EEEvT1_.has_indirect_call, 0
	.section	.AMDGPU.csdata,"",@progbits
; Kernel info:
; codeLenInByte = 6348
; TotalNumSgprs: 26
; NumVgprs: 46
; ScratchSize: 0
; MemoryBound: 0
; FloatMode: 240
; IeeeMode: 1
; LDSByteSize: 8464 bytes/workgroup (compile time only)
; SGPRBlocks: 0
; VGPRBlocks: 5
; NumSGPRsForWavesPerEU: 26
; NumVGPRsForWavesPerEU: 46
; Occupancy: 16
; WaveLimiterHint : 1
; COMPUTE_PGM_RSRC2:SCRATCH_EN: 0
; COMPUTE_PGM_RSRC2:USER_SGPR: 2
; COMPUTE_PGM_RSRC2:TRAP_HANDLER: 0
; COMPUTE_PGM_RSRC2:TGID_X_EN: 1
; COMPUTE_PGM_RSRC2:TGID_Y_EN: 0
; COMPUTE_PGM_RSRC2:TGID_Z_EN: 0
; COMPUTE_PGM_RSRC2:TIDIG_COMP_CNT: 0
	.section	.text._ZN7rocprim17ROCPRIM_400000_NS6detail17trampoline_kernelINS0_14default_configENS1_25partition_config_selectorILNS1_17partition_subalgoE6EN6thrust23THRUST_200600_302600_NS5tupleIjjNS7_9null_typeES9_S9_S9_S9_S9_S9_S9_EENS0_10empty_typeEbEEZZNS1_14partition_implILS5_6ELb0ES3_mNS7_12zip_iteratorINS8_INS7_6detail15normal_iteratorINS7_10device_ptrIjEEEESJ_S9_S9_S9_S9_S9_S9_S9_S9_EEEEPSB_SM_NS0_5tupleIJNSE_INS8_ISJ_NS7_16discard_iteratorINS7_11use_defaultEEES9_S9_S9_S9_S9_S9_S9_S9_EEEESB_EEENSN_IJSM_SM_EEESB_PlJNSF_9not_fun_tINSF_14equal_to_valueISA_EEEEEEE10hipError_tPvRmT3_T4_T5_T6_T7_T9_mT8_P12ihipStream_tbDpT10_ENKUlT_T0_E_clISt17integral_constantIbLb0EES1J_EEDaS1E_S1F_EUlS1E_E_NS1_11comp_targetILNS1_3genE9ELNS1_11target_archE1100ELNS1_3gpuE3ELNS1_3repE0EEENS1_30default_config_static_selectorELNS0_4arch9wavefront6targetE0EEEvT1_,"axG",@progbits,_ZN7rocprim17ROCPRIM_400000_NS6detail17trampoline_kernelINS0_14default_configENS1_25partition_config_selectorILNS1_17partition_subalgoE6EN6thrust23THRUST_200600_302600_NS5tupleIjjNS7_9null_typeES9_S9_S9_S9_S9_S9_S9_EENS0_10empty_typeEbEEZZNS1_14partition_implILS5_6ELb0ES3_mNS7_12zip_iteratorINS8_INS7_6detail15normal_iteratorINS7_10device_ptrIjEEEESJ_S9_S9_S9_S9_S9_S9_S9_S9_EEEEPSB_SM_NS0_5tupleIJNSE_INS8_ISJ_NS7_16discard_iteratorINS7_11use_defaultEEES9_S9_S9_S9_S9_S9_S9_S9_EEEESB_EEENSN_IJSM_SM_EEESB_PlJNSF_9not_fun_tINSF_14equal_to_valueISA_EEEEEEE10hipError_tPvRmT3_T4_T5_T6_T7_T9_mT8_P12ihipStream_tbDpT10_ENKUlT_T0_E_clISt17integral_constantIbLb0EES1J_EEDaS1E_S1F_EUlS1E_E_NS1_11comp_targetILNS1_3genE9ELNS1_11target_archE1100ELNS1_3gpuE3ELNS1_3repE0EEENS1_30default_config_static_selectorELNS0_4arch9wavefront6targetE0EEEvT1_,comdat
	.protected	_ZN7rocprim17ROCPRIM_400000_NS6detail17trampoline_kernelINS0_14default_configENS1_25partition_config_selectorILNS1_17partition_subalgoE6EN6thrust23THRUST_200600_302600_NS5tupleIjjNS7_9null_typeES9_S9_S9_S9_S9_S9_S9_EENS0_10empty_typeEbEEZZNS1_14partition_implILS5_6ELb0ES3_mNS7_12zip_iteratorINS8_INS7_6detail15normal_iteratorINS7_10device_ptrIjEEEESJ_S9_S9_S9_S9_S9_S9_S9_S9_EEEEPSB_SM_NS0_5tupleIJNSE_INS8_ISJ_NS7_16discard_iteratorINS7_11use_defaultEEES9_S9_S9_S9_S9_S9_S9_S9_EEEESB_EEENSN_IJSM_SM_EEESB_PlJNSF_9not_fun_tINSF_14equal_to_valueISA_EEEEEEE10hipError_tPvRmT3_T4_T5_T6_T7_T9_mT8_P12ihipStream_tbDpT10_ENKUlT_T0_E_clISt17integral_constantIbLb0EES1J_EEDaS1E_S1F_EUlS1E_E_NS1_11comp_targetILNS1_3genE9ELNS1_11target_archE1100ELNS1_3gpuE3ELNS1_3repE0EEENS1_30default_config_static_selectorELNS0_4arch9wavefront6targetE0EEEvT1_ ; -- Begin function _ZN7rocprim17ROCPRIM_400000_NS6detail17trampoline_kernelINS0_14default_configENS1_25partition_config_selectorILNS1_17partition_subalgoE6EN6thrust23THRUST_200600_302600_NS5tupleIjjNS7_9null_typeES9_S9_S9_S9_S9_S9_S9_EENS0_10empty_typeEbEEZZNS1_14partition_implILS5_6ELb0ES3_mNS7_12zip_iteratorINS8_INS7_6detail15normal_iteratorINS7_10device_ptrIjEEEESJ_S9_S9_S9_S9_S9_S9_S9_S9_EEEEPSB_SM_NS0_5tupleIJNSE_INS8_ISJ_NS7_16discard_iteratorINS7_11use_defaultEEES9_S9_S9_S9_S9_S9_S9_S9_EEEESB_EEENSN_IJSM_SM_EEESB_PlJNSF_9not_fun_tINSF_14equal_to_valueISA_EEEEEEE10hipError_tPvRmT3_T4_T5_T6_T7_T9_mT8_P12ihipStream_tbDpT10_ENKUlT_T0_E_clISt17integral_constantIbLb0EES1J_EEDaS1E_S1F_EUlS1E_E_NS1_11comp_targetILNS1_3genE9ELNS1_11target_archE1100ELNS1_3gpuE3ELNS1_3repE0EEENS1_30default_config_static_selectorELNS0_4arch9wavefront6targetE0EEEvT1_
	.globl	_ZN7rocprim17ROCPRIM_400000_NS6detail17trampoline_kernelINS0_14default_configENS1_25partition_config_selectorILNS1_17partition_subalgoE6EN6thrust23THRUST_200600_302600_NS5tupleIjjNS7_9null_typeES9_S9_S9_S9_S9_S9_S9_EENS0_10empty_typeEbEEZZNS1_14partition_implILS5_6ELb0ES3_mNS7_12zip_iteratorINS8_INS7_6detail15normal_iteratorINS7_10device_ptrIjEEEESJ_S9_S9_S9_S9_S9_S9_S9_S9_EEEEPSB_SM_NS0_5tupleIJNSE_INS8_ISJ_NS7_16discard_iteratorINS7_11use_defaultEEES9_S9_S9_S9_S9_S9_S9_S9_EEEESB_EEENSN_IJSM_SM_EEESB_PlJNSF_9not_fun_tINSF_14equal_to_valueISA_EEEEEEE10hipError_tPvRmT3_T4_T5_T6_T7_T9_mT8_P12ihipStream_tbDpT10_ENKUlT_T0_E_clISt17integral_constantIbLb0EES1J_EEDaS1E_S1F_EUlS1E_E_NS1_11comp_targetILNS1_3genE9ELNS1_11target_archE1100ELNS1_3gpuE3ELNS1_3repE0EEENS1_30default_config_static_selectorELNS0_4arch9wavefront6targetE0EEEvT1_
	.p2align	8
	.type	_ZN7rocprim17ROCPRIM_400000_NS6detail17trampoline_kernelINS0_14default_configENS1_25partition_config_selectorILNS1_17partition_subalgoE6EN6thrust23THRUST_200600_302600_NS5tupleIjjNS7_9null_typeES9_S9_S9_S9_S9_S9_S9_EENS0_10empty_typeEbEEZZNS1_14partition_implILS5_6ELb0ES3_mNS7_12zip_iteratorINS8_INS7_6detail15normal_iteratorINS7_10device_ptrIjEEEESJ_S9_S9_S9_S9_S9_S9_S9_S9_EEEEPSB_SM_NS0_5tupleIJNSE_INS8_ISJ_NS7_16discard_iteratorINS7_11use_defaultEEES9_S9_S9_S9_S9_S9_S9_S9_EEEESB_EEENSN_IJSM_SM_EEESB_PlJNSF_9not_fun_tINSF_14equal_to_valueISA_EEEEEEE10hipError_tPvRmT3_T4_T5_T6_T7_T9_mT8_P12ihipStream_tbDpT10_ENKUlT_T0_E_clISt17integral_constantIbLb0EES1J_EEDaS1E_S1F_EUlS1E_E_NS1_11comp_targetILNS1_3genE9ELNS1_11target_archE1100ELNS1_3gpuE3ELNS1_3repE0EEENS1_30default_config_static_selectorELNS0_4arch9wavefront6targetE0EEEvT1_,@function
_ZN7rocprim17ROCPRIM_400000_NS6detail17trampoline_kernelINS0_14default_configENS1_25partition_config_selectorILNS1_17partition_subalgoE6EN6thrust23THRUST_200600_302600_NS5tupleIjjNS7_9null_typeES9_S9_S9_S9_S9_S9_S9_EENS0_10empty_typeEbEEZZNS1_14partition_implILS5_6ELb0ES3_mNS7_12zip_iteratorINS8_INS7_6detail15normal_iteratorINS7_10device_ptrIjEEEESJ_S9_S9_S9_S9_S9_S9_S9_S9_EEEEPSB_SM_NS0_5tupleIJNSE_INS8_ISJ_NS7_16discard_iteratorINS7_11use_defaultEEES9_S9_S9_S9_S9_S9_S9_S9_EEEESB_EEENSN_IJSM_SM_EEESB_PlJNSF_9not_fun_tINSF_14equal_to_valueISA_EEEEEEE10hipError_tPvRmT3_T4_T5_T6_T7_T9_mT8_P12ihipStream_tbDpT10_ENKUlT_T0_E_clISt17integral_constantIbLb0EES1J_EEDaS1E_S1F_EUlS1E_E_NS1_11comp_targetILNS1_3genE9ELNS1_11target_archE1100ELNS1_3gpuE3ELNS1_3repE0EEENS1_30default_config_static_selectorELNS0_4arch9wavefront6targetE0EEEvT1_: ; @_ZN7rocprim17ROCPRIM_400000_NS6detail17trampoline_kernelINS0_14default_configENS1_25partition_config_selectorILNS1_17partition_subalgoE6EN6thrust23THRUST_200600_302600_NS5tupleIjjNS7_9null_typeES9_S9_S9_S9_S9_S9_S9_EENS0_10empty_typeEbEEZZNS1_14partition_implILS5_6ELb0ES3_mNS7_12zip_iteratorINS8_INS7_6detail15normal_iteratorINS7_10device_ptrIjEEEESJ_S9_S9_S9_S9_S9_S9_S9_S9_EEEEPSB_SM_NS0_5tupleIJNSE_INS8_ISJ_NS7_16discard_iteratorINS7_11use_defaultEEES9_S9_S9_S9_S9_S9_S9_S9_EEEESB_EEENSN_IJSM_SM_EEESB_PlJNSF_9not_fun_tINSF_14equal_to_valueISA_EEEEEEE10hipError_tPvRmT3_T4_T5_T6_T7_T9_mT8_P12ihipStream_tbDpT10_ENKUlT_T0_E_clISt17integral_constantIbLb0EES1J_EEDaS1E_S1F_EUlS1E_E_NS1_11comp_targetILNS1_3genE9ELNS1_11target_archE1100ELNS1_3gpuE3ELNS1_3repE0EEENS1_30default_config_static_selectorELNS0_4arch9wavefront6targetE0EEEvT1_
; %bb.0:
	.section	.rodata,"a",@progbits
	.p2align	6, 0x0
	.amdhsa_kernel _ZN7rocprim17ROCPRIM_400000_NS6detail17trampoline_kernelINS0_14default_configENS1_25partition_config_selectorILNS1_17partition_subalgoE6EN6thrust23THRUST_200600_302600_NS5tupleIjjNS7_9null_typeES9_S9_S9_S9_S9_S9_S9_EENS0_10empty_typeEbEEZZNS1_14partition_implILS5_6ELb0ES3_mNS7_12zip_iteratorINS8_INS7_6detail15normal_iteratorINS7_10device_ptrIjEEEESJ_S9_S9_S9_S9_S9_S9_S9_S9_EEEEPSB_SM_NS0_5tupleIJNSE_INS8_ISJ_NS7_16discard_iteratorINS7_11use_defaultEEES9_S9_S9_S9_S9_S9_S9_S9_EEEESB_EEENSN_IJSM_SM_EEESB_PlJNSF_9not_fun_tINSF_14equal_to_valueISA_EEEEEEE10hipError_tPvRmT3_T4_T5_T6_T7_T9_mT8_P12ihipStream_tbDpT10_ENKUlT_T0_E_clISt17integral_constantIbLb0EES1J_EEDaS1E_S1F_EUlS1E_E_NS1_11comp_targetILNS1_3genE9ELNS1_11target_archE1100ELNS1_3gpuE3ELNS1_3repE0EEENS1_30default_config_static_selectorELNS0_4arch9wavefront6targetE0EEEvT1_
		.amdhsa_group_segment_fixed_size 0
		.amdhsa_private_segment_fixed_size 0
		.amdhsa_kernarg_size 144
		.amdhsa_user_sgpr_count 2
		.amdhsa_user_sgpr_dispatch_ptr 0
		.amdhsa_user_sgpr_queue_ptr 0
		.amdhsa_user_sgpr_kernarg_segment_ptr 1
		.amdhsa_user_sgpr_dispatch_id 0
		.amdhsa_user_sgpr_private_segment_size 0
		.amdhsa_wavefront_size32 1
		.amdhsa_uses_dynamic_stack 0
		.amdhsa_enable_private_segment 0
		.amdhsa_system_sgpr_workgroup_id_x 1
		.amdhsa_system_sgpr_workgroup_id_y 0
		.amdhsa_system_sgpr_workgroup_id_z 0
		.amdhsa_system_sgpr_workgroup_info 0
		.amdhsa_system_vgpr_workitem_id 0
		.amdhsa_next_free_vgpr 1
		.amdhsa_next_free_sgpr 1
		.amdhsa_reserve_vcc 0
		.amdhsa_float_round_mode_32 0
		.amdhsa_float_round_mode_16_64 0
		.amdhsa_float_denorm_mode_32 3
		.amdhsa_float_denorm_mode_16_64 3
		.amdhsa_fp16_overflow 0
		.amdhsa_workgroup_processor_mode 1
		.amdhsa_memory_ordered 1
		.amdhsa_forward_progress 1
		.amdhsa_inst_pref_size 0
		.amdhsa_round_robin_scheduling 0
		.amdhsa_exception_fp_ieee_invalid_op 0
		.amdhsa_exception_fp_denorm_src 0
		.amdhsa_exception_fp_ieee_div_zero 0
		.amdhsa_exception_fp_ieee_overflow 0
		.amdhsa_exception_fp_ieee_underflow 0
		.amdhsa_exception_fp_ieee_inexact 0
		.amdhsa_exception_int_div_zero 0
	.end_amdhsa_kernel
	.section	.text._ZN7rocprim17ROCPRIM_400000_NS6detail17trampoline_kernelINS0_14default_configENS1_25partition_config_selectorILNS1_17partition_subalgoE6EN6thrust23THRUST_200600_302600_NS5tupleIjjNS7_9null_typeES9_S9_S9_S9_S9_S9_S9_EENS0_10empty_typeEbEEZZNS1_14partition_implILS5_6ELb0ES3_mNS7_12zip_iteratorINS8_INS7_6detail15normal_iteratorINS7_10device_ptrIjEEEESJ_S9_S9_S9_S9_S9_S9_S9_S9_EEEEPSB_SM_NS0_5tupleIJNSE_INS8_ISJ_NS7_16discard_iteratorINS7_11use_defaultEEES9_S9_S9_S9_S9_S9_S9_S9_EEEESB_EEENSN_IJSM_SM_EEESB_PlJNSF_9not_fun_tINSF_14equal_to_valueISA_EEEEEEE10hipError_tPvRmT3_T4_T5_T6_T7_T9_mT8_P12ihipStream_tbDpT10_ENKUlT_T0_E_clISt17integral_constantIbLb0EES1J_EEDaS1E_S1F_EUlS1E_E_NS1_11comp_targetILNS1_3genE9ELNS1_11target_archE1100ELNS1_3gpuE3ELNS1_3repE0EEENS1_30default_config_static_selectorELNS0_4arch9wavefront6targetE0EEEvT1_,"axG",@progbits,_ZN7rocprim17ROCPRIM_400000_NS6detail17trampoline_kernelINS0_14default_configENS1_25partition_config_selectorILNS1_17partition_subalgoE6EN6thrust23THRUST_200600_302600_NS5tupleIjjNS7_9null_typeES9_S9_S9_S9_S9_S9_S9_EENS0_10empty_typeEbEEZZNS1_14partition_implILS5_6ELb0ES3_mNS7_12zip_iteratorINS8_INS7_6detail15normal_iteratorINS7_10device_ptrIjEEEESJ_S9_S9_S9_S9_S9_S9_S9_S9_EEEEPSB_SM_NS0_5tupleIJNSE_INS8_ISJ_NS7_16discard_iteratorINS7_11use_defaultEEES9_S9_S9_S9_S9_S9_S9_S9_EEEESB_EEENSN_IJSM_SM_EEESB_PlJNSF_9not_fun_tINSF_14equal_to_valueISA_EEEEEEE10hipError_tPvRmT3_T4_T5_T6_T7_T9_mT8_P12ihipStream_tbDpT10_ENKUlT_T0_E_clISt17integral_constantIbLb0EES1J_EEDaS1E_S1F_EUlS1E_E_NS1_11comp_targetILNS1_3genE9ELNS1_11target_archE1100ELNS1_3gpuE3ELNS1_3repE0EEENS1_30default_config_static_selectorELNS0_4arch9wavefront6targetE0EEEvT1_,comdat
.Lfunc_end1923:
	.size	_ZN7rocprim17ROCPRIM_400000_NS6detail17trampoline_kernelINS0_14default_configENS1_25partition_config_selectorILNS1_17partition_subalgoE6EN6thrust23THRUST_200600_302600_NS5tupleIjjNS7_9null_typeES9_S9_S9_S9_S9_S9_S9_EENS0_10empty_typeEbEEZZNS1_14partition_implILS5_6ELb0ES3_mNS7_12zip_iteratorINS8_INS7_6detail15normal_iteratorINS7_10device_ptrIjEEEESJ_S9_S9_S9_S9_S9_S9_S9_S9_EEEEPSB_SM_NS0_5tupleIJNSE_INS8_ISJ_NS7_16discard_iteratorINS7_11use_defaultEEES9_S9_S9_S9_S9_S9_S9_S9_EEEESB_EEENSN_IJSM_SM_EEESB_PlJNSF_9not_fun_tINSF_14equal_to_valueISA_EEEEEEE10hipError_tPvRmT3_T4_T5_T6_T7_T9_mT8_P12ihipStream_tbDpT10_ENKUlT_T0_E_clISt17integral_constantIbLb0EES1J_EEDaS1E_S1F_EUlS1E_E_NS1_11comp_targetILNS1_3genE9ELNS1_11target_archE1100ELNS1_3gpuE3ELNS1_3repE0EEENS1_30default_config_static_selectorELNS0_4arch9wavefront6targetE0EEEvT1_, .Lfunc_end1923-_ZN7rocprim17ROCPRIM_400000_NS6detail17trampoline_kernelINS0_14default_configENS1_25partition_config_selectorILNS1_17partition_subalgoE6EN6thrust23THRUST_200600_302600_NS5tupleIjjNS7_9null_typeES9_S9_S9_S9_S9_S9_S9_EENS0_10empty_typeEbEEZZNS1_14partition_implILS5_6ELb0ES3_mNS7_12zip_iteratorINS8_INS7_6detail15normal_iteratorINS7_10device_ptrIjEEEESJ_S9_S9_S9_S9_S9_S9_S9_S9_EEEEPSB_SM_NS0_5tupleIJNSE_INS8_ISJ_NS7_16discard_iteratorINS7_11use_defaultEEES9_S9_S9_S9_S9_S9_S9_S9_EEEESB_EEENSN_IJSM_SM_EEESB_PlJNSF_9not_fun_tINSF_14equal_to_valueISA_EEEEEEE10hipError_tPvRmT3_T4_T5_T6_T7_T9_mT8_P12ihipStream_tbDpT10_ENKUlT_T0_E_clISt17integral_constantIbLb0EES1J_EEDaS1E_S1F_EUlS1E_E_NS1_11comp_targetILNS1_3genE9ELNS1_11target_archE1100ELNS1_3gpuE3ELNS1_3repE0EEENS1_30default_config_static_selectorELNS0_4arch9wavefront6targetE0EEEvT1_
                                        ; -- End function
	.set _ZN7rocprim17ROCPRIM_400000_NS6detail17trampoline_kernelINS0_14default_configENS1_25partition_config_selectorILNS1_17partition_subalgoE6EN6thrust23THRUST_200600_302600_NS5tupleIjjNS7_9null_typeES9_S9_S9_S9_S9_S9_S9_EENS0_10empty_typeEbEEZZNS1_14partition_implILS5_6ELb0ES3_mNS7_12zip_iteratorINS8_INS7_6detail15normal_iteratorINS7_10device_ptrIjEEEESJ_S9_S9_S9_S9_S9_S9_S9_S9_EEEEPSB_SM_NS0_5tupleIJNSE_INS8_ISJ_NS7_16discard_iteratorINS7_11use_defaultEEES9_S9_S9_S9_S9_S9_S9_S9_EEEESB_EEENSN_IJSM_SM_EEESB_PlJNSF_9not_fun_tINSF_14equal_to_valueISA_EEEEEEE10hipError_tPvRmT3_T4_T5_T6_T7_T9_mT8_P12ihipStream_tbDpT10_ENKUlT_T0_E_clISt17integral_constantIbLb0EES1J_EEDaS1E_S1F_EUlS1E_E_NS1_11comp_targetILNS1_3genE9ELNS1_11target_archE1100ELNS1_3gpuE3ELNS1_3repE0EEENS1_30default_config_static_selectorELNS0_4arch9wavefront6targetE0EEEvT1_.num_vgpr, 0
	.set _ZN7rocprim17ROCPRIM_400000_NS6detail17trampoline_kernelINS0_14default_configENS1_25partition_config_selectorILNS1_17partition_subalgoE6EN6thrust23THRUST_200600_302600_NS5tupleIjjNS7_9null_typeES9_S9_S9_S9_S9_S9_S9_EENS0_10empty_typeEbEEZZNS1_14partition_implILS5_6ELb0ES3_mNS7_12zip_iteratorINS8_INS7_6detail15normal_iteratorINS7_10device_ptrIjEEEESJ_S9_S9_S9_S9_S9_S9_S9_S9_EEEEPSB_SM_NS0_5tupleIJNSE_INS8_ISJ_NS7_16discard_iteratorINS7_11use_defaultEEES9_S9_S9_S9_S9_S9_S9_S9_EEEESB_EEENSN_IJSM_SM_EEESB_PlJNSF_9not_fun_tINSF_14equal_to_valueISA_EEEEEEE10hipError_tPvRmT3_T4_T5_T6_T7_T9_mT8_P12ihipStream_tbDpT10_ENKUlT_T0_E_clISt17integral_constantIbLb0EES1J_EEDaS1E_S1F_EUlS1E_E_NS1_11comp_targetILNS1_3genE9ELNS1_11target_archE1100ELNS1_3gpuE3ELNS1_3repE0EEENS1_30default_config_static_selectorELNS0_4arch9wavefront6targetE0EEEvT1_.num_agpr, 0
	.set _ZN7rocprim17ROCPRIM_400000_NS6detail17trampoline_kernelINS0_14default_configENS1_25partition_config_selectorILNS1_17partition_subalgoE6EN6thrust23THRUST_200600_302600_NS5tupleIjjNS7_9null_typeES9_S9_S9_S9_S9_S9_S9_EENS0_10empty_typeEbEEZZNS1_14partition_implILS5_6ELb0ES3_mNS7_12zip_iteratorINS8_INS7_6detail15normal_iteratorINS7_10device_ptrIjEEEESJ_S9_S9_S9_S9_S9_S9_S9_S9_EEEEPSB_SM_NS0_5tupleIJNSE_INS8_ISJ_NS7_16discard_iteratorINS7_11use_defaultEEES9_S9_S9_S9_S9_S9_S9_S9_EEEESB_EEENSN_IJSM_SM_EEESB_PlJNSF_9not_fun_tINSF_14equal_to_valueISA_EEEEEEE10hipError_tPvRmT3_T4_T5_T6_T7_T9_mT8_P12ihipStream_tbDpT10_ENKUlT_T0_E_clISt17integral_constantIbLb0EES1J_EEDaS1E_S1F_EUlS1E_E_NS1_11comp_targetILNS1_3genE9ELNS1_11target_archE1100ELNS1_3gpuE3ELNS1_3repE0EEENS1_30default_config_static_selectorELNS0_4arch9wavefront6targetE0EEEvT1_.numbered_sgpr, 0
	.set _ZN7rocprim17ROCPRIM_400000_NS6detail17trampoline_kernelINS0_14default_configENS1_25partition_config_selectorILNS1_17partition_subalgoE6EN6thrust23THRUST_200600_302600_NS5tupleIjjNS7_9null_typeES9_S9_S9_S9_S9_S9_S9_EENS0_10empty_typeEbEEZZNS1_14partition_implILS5_6ELb0ES3_mNS7_12zip_iteratorINS8_INS7_6detail15normal_iteratorINS7_10device_ptrIjEEEESJ_S9_S9_S9_S9_S9_S9_S9_S9_EEEEPSB_SM_NS0_5tupleIJNSE_INS8_ISJ_NS7_16discard_iteratorINS7_11use_defaultEEES9_S9_S9_S9_S9_S9_S9_S9_EEEESB_EEENSN_IJSM_SM_EEESB_PlJNSF_9not_fun_tINSF_14equal_to_valueISA_EEEEEEE10hipError_tPvRmT3_T4_T5_T6_T7_T9_mT8_P12ihipStream_tbDpT10_ENKUlT_T0_E_clISt17integral_constantIbLb0EES1J_EEDaS1E_S1F_EUlS1E_E_NS1_11comp_targetILNS1_3genE9ELNS1_11target_archE1100ELNS1_3gpuE3ELNS1_3repE0EEENS1_30default_config_static_selectorELNS0_4arch9wavefront6targetE0EEEvT1_.num_named_barrier, 0
	.set _ZN7rocprim17ROCPRIM_400000_NS6detail17trampoline_kernelINS0_14default_configENS1_25partition_config_selectorILNS1_17partition_subalgoE6EN6thrust23THRUST_200600_302600_NS5tupleIjjNS7_9null_typeES9_S9_S9_S9_S9_S9_S9_EENS0_10empty_typeEbEEZZNS1_14partition_implILS5_6ELb0ES3_mNS7_12zip_iteratorINS8_INS7_6detail15normal_iteratorINS7_10device_ptrIjEEEESJ_S9_S9_S9_S9_S9_S9_S9_S9_EEEEPSB_SM_NS0_5tupleIJNSE_INS8_ISJ_NS7_16discard_iteratorINS7_11use_defaultEEES9_S9_S9_S9_S9_S9_S9_S9_EEEESB_EEENSN_IJSM_SM_EEESB_PlJNSF_9not_fun_tINSF_14equal_to_valueISA_EEEEEEE10hipError_tPvRmT3_T4_T5_T6_T7_T9_mT8_P12ihipStream_tbDpT10_ENKUlT_T0_E_clISt17integral_constantIbLb0EES1J_EEDaS1E_S1F_EUlS1E_E_NS1_11comp_targetILNS1_3genE9ELNS1_11target_archE1100ELNS1_3gpuE3ELNS1_3repE0EEENS1_30default_config_static_selectorELNS0_4arch9wavefront6targetE0EEEvT1_.private_seg_size, 0
	.set _ZN7rocprim17ROCPRIM_400000_NS6detail17trampoline_kernelINS0_14default_configENS1_25partition_config_selectorILNS1_17partition_subalgoE6EN6thrust23THRUST_200600_302600_NS5tupleIjjNS7_9null_typeES9_S9_S9_S9_S9_S9_S9_EENS0_10empty_typeEbEEZZNS1_14partition_implILS5_6ELb0ES3_mNS7_12zip_iteratorINS8_INS7_6detail15normal_iteratorINS7_10device_ptrIjEEEESJ_S9_S9_S9_S9_S9_S9_S9_S9_EEEEPSB_SM_NS0_5tupleIJNSE_INS8_ISJ_NS7_16discard_iteratorINS7_11use_defaultEEES9_S9_S9_S9_S9_S9_S9_S9_EEEESB_EEENSN_IJSM_SM_EEESB_PlJNSF_9not_fun_tINSF_14equal_to_valueISA_EEEEEEE10hipError_tPvRmT3_T4_T5_T6_T7_T9_mT8_P12ihipStream_tbDpT10_ENKUlT_T0_E_clISt17integral_constantIbLb0EES1J_EEDaS1E_S1F_EUlS1E_E_NS1_11comp_targetILNS1_3genE9ELNS1_11target_archE1100ELNS1_3gpuE3ELNS1_3repE0EEENS1_30default_config_static_selectorELNS0_4arch9wavefront6targetE0EEEvT1_.uses_vcc, 0
	.set _ZN7rocprim17ROCPRIM_400000_NS6detail17trampoline_kernelINS0_14default_configENS1_25partition_config_selectorILNS1_17partition_subalgoE6EN6thrust23THRUST_200600_302600_NS5tupleIjjNS7_9null_typeES9_S9_S9_S9_S9_S9_S9_EENS0_10empty_typeEbEEZZNS1_14partition_implILS5_6ELb0ES3_mNS7_12zip_iteratorINS8_INS7_6detail15normal_iteratorINS7_10device_ptrIjEEEESJ_S9_S9_S9_S9_S9_S9_S9_S9_EEEEPSB_SM_NS0_5tupleIJNSE_INS8_ISJ_NS7_16discard_iteratorINS7_11use_defaultEEES9_S9_S9_S9_S9_S9_S9_S9_EEEESB_EEENSN_IJSM_SM_EEESB_PlJNSF_9not_fun_tINSF_14equal_to_valueISA_EEEEEEE10hipError_tPvRmT3_T4_T5_T6_T7_T9_mT8_P12ihipStream_tbDpT10_ENKUlT_T0_E_clISt17integral_constantIbLb0EES1J_EEDaS1E_S1F_EUlS1E_E_NS1_11comp_targetILNS1_3genE9ELNS1_11target_archE1100ELNS1_3gpuE3ELNS1_3repE0EEENS1_30default_config_static_selectorELNS0_4arch9wavefront6targetE0EEEvT1_.uses_flat_scratch, 0
	.set _ZN7rocprim17ROCPRIM_400000_NS6detail17trampoline_kernelINS0_14default_configENS1_25partition_config_selectorILNS1_17partition_subalgoE6EN6thrust23THRUST_200600_302600_NS5tupleIjjNS7_9null_typeES9_S9_S9_S9_S9_S9_S9_EENS0_10empty_typeEbEEZZNS1_14partition_implILS5_6ELb0ES3_mNS7_12zip_iteratorINS8_INS7_6detail15normal_iteratorINS7_10device_ptrIjEEEESJ_S9_S9_S9_S9_S9_S9_S9_S9_EEEEPSB_SM_NS0_5tupleIJNSE_INS8_ISJ_NS7_16discard_iteratorINS7_11use_defaultEEES9_S9_S9_S9_S9_S9_S9_S9_EEEESB_EEENSN_IJSM_SM_EEESB_PlJNSF_9not_fun_tINSF_14equal_to_valueISA_EEEEEEE10hipError_tPvRmT3_T4_T5_T6_T7_T9_mT8_P12ihipStream_tbDpT10_ENKUlT_T0_E_clISt17integral_constantIbLb0EES1J_EEDaS1E_S1F_EUlS1E_E_NS1_11comp_targetILNS1_3genE9ELNS1_11target_archE1100ELNS1_3gpuE3ELNS1_3repE0EEENS1_30default_config_static_selectorELNS0_4arch9wavefront6targetE0EEEvT1_.has_dyn_sized_stack, 0
	.set _ZN7rocprim17ROCPRIM_400000_NS6detail17trampoline_kernelINS0_14default_configENS1_25partition_config_selectorILNS1_17partition_subalgoE6EN6thrust23THRUST_200600_302600_NS5tupleIjjNS7_9null_typeES9_S9_S9_S9_S9_S9_S9_EENS0_10empty_typeEbEEZZNS1_14partition_implILS5_6ELb0ES3_mNS7_12zip_iteratorINS8_INS7_6detail15normal_iteratorINS7_10device_ptrIjEEEESJ_S9_S9_S9_S9_S9_S9_S9_S9_EEEEPSB_SM_NS0_5tupleIJNSE_INS8_ISJ_NS7_16discard_iteratorINS7_11use_defaultEEES9_S9_S9_S9_S9_S9_S9_S9_EEEESB_EEENSN_IJSM_SM_EEESB_PlJNSF_9not_fun_tINSF_14equal_to_valueISA_EEEEEEE10hipError_tPvRmT3_T4_T5_T6_T7_T9_mT8_P12ihipStream_tbDpT10_ENKUlT_T0_E_clISt17integral_constantIbLb0EES1J_EEDaS1E_S1F_EUlS1E_E_NS1_11comp_targetILNS1_3genE9ELNS1_11target_archE1100ELNS1_3gpuE3ELNS1_3repE0EEENS1_30default_config_static_selectorELNS0_4arch9wavefront6targetE0EEEvT1_.has_recursion, 0
	.set _ZN7rocprim17ROCPRIM_400000_NS6detail17trampoline_kernelINS0_14default_configENS1_25partition_config_selectorILNS1_17partition_subalgoE6EN6thrust23THRUST_200600_302600_NS5tupleIjjNS7_9null_typeES9_S9_S9_S9_S9_S9_S9_EENS0_10empty_typeEbEEZZNS1_14partition_implILS5_6ELb0ES3_mNS7_12zip_iteratorINS8_INS7_6detail15normal_iteratorINS7_10device_ptrIjEEEESJ_S9_S9_S9_S9_S9_S9_S9_S9_EEEEPSB_SM_NS0_5tupleIJNSE_INS8_ISJ_NS7_16discard_iteratorINS7_11use_defaultEEES9_S9_S9_S9_S9_S9_S9_S9_EEEESB_EEENSN_IJSM_SM_EEESB_PlJNSF_9not_fun_tINSF_14equal_to_valueISA_EEEEEEE10hipError_tPvRmT3_T4_T5_T6_T7_T9_mT8_P12ihipStream_tbDpT10_ENKUlT_T0_E_clISt17integral_constantIbLb0EES1J_EEDaS1E_S1F_EUlS1E_E_NS1_11comp_targetILNS1_3genE9ELNS1_11target_archE1100ELNS1_3gpuE3ELNS1_3repE0EEENS1_30default_config_static_selectorELNS0_4arch9wavefront6targetE0EEEvT1_.has_indirect_call, 0
	.section	.AMDGPU.csdata,"",@progbits
; Kernel info:
; codeLenInByte = 0
; TotalNumSgprs: 0
; NumVgprs: 0
; ScratchSize: 0
; MemoryBound: 0
; FloatMode: 240
; IeeeMode: 1
; LDSByteSize: 0 bytes/workgroup (compile time only)
; SGPRBlocks: 0
; VGPRBlocks: 0
; NumSGPRsForWavesPerEU: 1
; NumVGPRsForWavesPerEU: 1
; Occupancy: 16
; WaveLimiterHint : 0
; COMPUTE_PGM_RSRC2:SCRATCH_EN: 0
; COMPUTE_PGM_RSRC2:USER_SGPR: 2
; COMPUTE_PGM_RSRC2:TRAP_HANDLER: 0
; COMPUTE_PGM_RSRC2:TGID_X_EN: 1
; COMPUTE_PGM_RSRC2:TGID_Y_EN: 0
; COMPUTE_PGM_RSRC2:TGID_Z_EN: 0
; COMPUTE_PGM_RSRC2:TIDIG_COMP_CNT: 0
	.section	.text._ZN7rocprim17ROCPRIM_400000_NS6detail17trampoline_kernelINS0_14default_configENS1_25partition_config_selectorILNS1_17partition_subalgoE6EN6thrust23THRUST_200600_302600_NS5tupleIjjNS7_9null_typeES9_S9_S9_S9_S9_S9_S9_EENS0_10empty_typeEbEEZZNS1_14partition_implILS5_6ELb0ES3_mNS7_12zip_iteratorINS8_INS7_6detail15normal_iteratorINS7_10device_ptrIjEEEESJ_S9_S9_S9_S9_S9_S9_S9_S9_EEEEPSB_SM_NS0_5tupleIJNSE_INS8_ISJ_NS7_16discard_iteratorINS7_11use_defaultEEES9_S9_S9_S9_S9_S9_S9_S9_EEEESB_EEENSN_IJSM_SM_EEESB_PlJNSF_9not_fun_tINSF_14equal_to_valueISA_EEEEEEE10hipError_tPvRmT3_T4_T5_T6_T7_T9_mT8_P12ihipStream_tbDpT10_ENKUlT_T0_E_clISt17integral_constantIbLb0EES1J_EEDaS1E_S1F_EUlS1E_E_NS1_11comp_targetILNS1_3genE8ELNS1_11target_archE1030ELNS1_3gpuE2ELNS1_3repE0EEENS1_30default_config_static_selectorELNS0_4arch9wavefront6targetE0EEEvT1_,"axG",@progbits,_ZN7rocprim17ROCPRIM_400000_NS6detail17trampoline_kernelINS0_14default_configENS1_25partition_config_selectorILNS1_17partition_subalgoE6EN6thrust23THRUST_200600_302600_NS5tupleIjjNS7_9null_typeES9_S9_S9_S9_S9_S9_S9_EENS0_10empty_typeEbEEZZNS1_14partition_implILS5_6ELb0ES3_mNS7_12zip_iteratorINS8_INS7_6detail15normal_iteratorINS7_10device_ptrIjEEEESJ_S9_S9_S9_S9_S9_S9_S9_S9_EEEEPSB_SM_NS0_5tupleIJNSE_INS8_ISJ_NS7_16discard_iteratorINS7_11use_defaultEEES9_S9_S9_S9_S9_S9_S9_S9_EEEESB_EEENSN_IJSM_SM_EEESB_PlJNSF_9not_fun_tINSF_14equal_to_valueISA_EEEEEEE10hipError_tPvRmT3_T4_T5_T6_T7_T9_mT8_P12ihipStream_tbDpT10_ENKUlT_T0_E_clISt17integral_constantIbLb0EES1J_EEDaS1E_S1F_EUlS1E_E_NS1_11comp_targetILNS1_3genE8ELNS1_11target_archE1030ELNS1_3gpuE2ELNS1_3repE0EEENS1_30default_config_static_selectorELNS0_4arch9wavefront6targetE0EEEvT1_,comdat
	.protected	_ZN7rocprim17ROCPRIM_400000_NS6detail17trampoline_kernelINS0_14default_configENS1_25partition_config_selectorILNS1_17partition_subalgoE6EN6thrust23THRUST_200600_302600_NS5tupleIjjNS7_9null_typeES9_S9_S9_S9_S9_S9_S9_EENS0_10empty_typeEbEEZZNS1_14partition_implILS5_6ELb0ES3_mNS7_12zip_iteratorINS8_INS7_6detail15normal_iteratorINS7_10device_ptrIjEEEESJ_S9_S9_S9_S9_S9_S9_S9_S9_EEEEPSB_SM_NS0_5tupleIJNSE_INS8_ISJ_NS7_16discard_iteratorINS7_11use_defaultEEES9_S9_S9_S9_S9_S9_S9_S9_EEEESB_EEENSN_IJSM_SM_EEESB_PlJNSF_9not_fun_tINSF_14equal_to_valueISA_EEEEEEE10hipError_tPvRmT3_T4_T5_T6_T7_T9_mT8_P12ihipStream_tbDpT10_ENKUlT_T0_E_clISt17integral_constantIbLb0EES1J_EEDaS1E_S1F_EUlS1E_E_NS1_11comp_targetILNS1_3genE8ELNS1_11target_archE1030ELNS1_3gpuE2ELNS1_3repE0EEENS1_30default_config_static_selectorELNS0_4arch9wavefront6targetE0EEEvT1_ ; -- Begin function _ZN7rocprim17ROCPRIM_400000_NS6detail17trampoline_kernelINS0_14default_configENS1_25partition_config_selectorILNS1_17partition_subalgoE6EN6thrust23THRUST_200600_302600_NS5tupleIjjNS7_9null_typeES9_S9_S9_S9_S9_S9_S9_EENS0_10empty_typeEbEEZZNS1_14partition_implILS5_6ELb0ES3_mNS7_12zip_iteratorINS8_INS7_6detail15normal_iteratorINS7_10device_ptrIjEEEESJ_S9_S9_S9_S9_S9_S9_S9_S9_EEEEPSB_SM_NS0_5tupleIJNSE_INS8_ISJ_NS7_16discard_iteratorINS7_11use_defaultEEES9_S9_S9_S9_S9_S9_S9_S9_EEEESB_EEENSN_IJSM_SM_EEESB_PlJNSF_9not_fun_tINSF_14equal_to_valueISA_EEEEEEE10hipError_tPvRmT3_T4_T5_T6_T7_T9_mT8_P12ihipStream_tbDpT10_ENKUlT_T0_E_clISt17integral_constantIbLb0EES1J_EEDaS1E_S1F_EUlS1E_E_NS1_11comp_targetILNS1_3genE8ELNS1_11target_archE1030ELNS1_3gpuE2ELNS1_3repE0EEENS1_30default_config_static_selectorELNS0_4arch9wavefront6targetE0EEEvT1_
	.globl	_ZN7rocprim17ROCPRIM_400000_NS6detail17trampoline_kernelINS0_14default_configENS1_25partition_config_selectorILNS1_17partition_subalgoE6EN6thrust23THRUST_200600_302600_NS5tupleIjjNS7_9null_typeES9_S9_S9_S9_S9_S9_S9_EENS0_10empty_typeEbEEZZNS1_14partition_implILS5_6ELb0ES3_mNS7_12zip_iteratorINS8_INS7_6detail15normal_iteratorINS7_10device_ptrIjEEEESJ_S9_S9_S9_S9_S9_S9_S9_S9_EEEEPSB_SM_NS0_5tupleIJNSE_INS8_ISJ_NS7_16discard_iteratorINS7_11use_defaultEEES9_S9_S9_S9_S9_S9_S9_S9_EEEESB_EEENSN_IJSM_SM_EEESB_PlJNSF_9not_fun_tINSF_14equal_to_valueISA_EEEEEEE10hipError_tPvRmT3_T4_T5_T6_T7_T9_mT8_P12ihipStream_tbDpT10_ENKUlT_T0_E_clISt17integral_constantIbLb0EES1J_EEDaS1E_S1F_EUlS1E_E_NS1_11comp_targetILNS1_3genE8ELNS1_11target_archE1030ELNS1_3gpuE2ELNS1_3repE0EEENS1_30default_config_static_selectorELNS0_4arch9wavefront6targetE0EEEvT1_
	.p2align	8
	.type	_ZN7rocprim17ROCPRIM_400000_NS6detail17trampoline_kernelINS0_14default_configENS1_25partition_config_selectorILNS1_17partition_subalgoE6EN6thrust23THRUST_200600_302600_NS5tupleIjjNS7_9null_typeES9_S9_S9_S9_S9_S9_S9_EENS0_10empty_typeEbEEZZNS1_14partition_implILS5_6ELb0ES3_mNS7_12zip_iteratorINS8_INS7_6detail15normal_iteratorINS7_10device_ptrIjEEEESJ_S9_S9_S9_S9_S9_S9_S9_S9_EEEEPSB_SM_NS0_5tupleIJNSE_INS8_ISJ_NS7_16discard_iteratorINS7_11use_defaultEEES9_S9_S9_S9_S9_S9_S9_S9_EEEESB_EEENSN_IJSM_SM_EEESB_PlJNSF_9not_fun_tINSF_14equal_to_valueISA_EEEEEEE10hipError_tPvRmT3_T4_T5_T6_T7_T9_mT8_P12ihipStream_tbDpT10_ENKUlT_T0_E_clISt17integral_constantIbLb0EES1J_EEDaS1E_S1F_EUlS1E_E_NS1_11comp_targetILNS1_3genE8ELNS1_11target_archE1030ELNS1_3gpuE2ELNS1_3repE0EEENS1_30default_config_static_selectorELNS0_4arch9wavefront6targetE0EEEvT1_,@function
_ZN7rocprim17ROCPRIM_400000_NS6detail17trampoline_kernelINS0_14default_configENS1_25partition_config_selectorILNS1_17partition_subalgoE6EN6thrust23THRUST_200600_302600_NS5tupleIjjNS7_9null_typeES9_S9_S9_S9_S9_S9_S9_EENS0_10empty_typeEbEEZZNS1_14partition_implILS5_6ELb0ES3_mNS7_12zip_iteratorINS8_INS7_6detail15normal_iteratorINS7_10device_ptrIjEEEESJ_S9_S9_S9_S9_S9_S9_S9_S9_EEEEPSB_SM_NS0_5tupleIJNSE_INS8_ISJ_NS7_16discard_iteratorINS7_11use_defaultEEES9_S9_S9_S9_S9_S9_S9_S9_EEEESB_EEENSN_IJSM_SM_EEESB_PlJNSF_9not_fun_tINSF_14equal_to_valueISA_EEEEEEE10hipError_tPvRmT3_T4_T5_T6_T7_T9_mT8_P12ihipStream_tbDpT10_ENKUlT_T0_E_clISt17integral_constantIbLb0EES1J_EEDaS1E_S1F_EUlS1E_E_NS1_11comp_targetILNS1_3genE8ELNS1_11target_archE1030ELNS1_3gpuE2ELNS1_3repE0EEENS1_30default_config_static_selectorELNS0_4arch9wavefront6targetE0EEEvT1_: ; @_ZN7rocprim17ROCPRIM_400000_NS6detail17trampoline_kernelINS0_14default_configENS1_25partition_config_selectorILNS1_17partition_subalgoE6EN6thrust23THRUST_200600_302600_NS5tupleIjjNS7_9null_typeES9_S9_S9_S9_S9_S9_S9_EENS0_10empty_typeEbEEZZNS1_14partition_implILS5_6ELb0ES3_mNS7_12zip_iteratorINS8_INS7_6detail15normal_iteratorINS7_10device_ptrIjEEEESJ_S9_S9_S9_S9_S9_S9_S9_S9_EEEEPSB_SM_NS0_5tupleIJNSE_INS8_ISJ_NS7_16discard_iteratorINS7_11use_defaultEEES9_S9_S9_S9_S9_S9_S9_S9_EEEESB_EEENSN_IJSM_SM_EEESB_PlJNSF_9not_fun_tINSF_14equal_to_valueISA_EEEEEEE10hipError_tPvRmT3_T4_T5_T6_T7_T9_mT8_P12ihipStream_tbDpT10_ENKUlT_T0_E_clISt17integral_constantIbLb0EES1J_EEDaS1E_S1F_EUlS1E_E_NS1_11comp_targetILNS1_3genE8ELNS1_11target_archE1030ELNS1_3gpuE2ELNS1_3repE0EEENS1_30default_config_static_selectorELNS0_4arch9wavefront6targetE0EEEvT1_
; %bb.0:
	.section	.rodata,"a",@progbits
	.p2align	6, 0x0
	.amdhsa_kernel _ZN7rocprim17ROCPRIM_400000_NS6detail17trampoline_kernelINS0_14default_configENS1_25partition_config_selectorILNS1_17partition_subalgoE6EN6thrust23THRUST_200600_302600_NS5tupleIjjNS7_9null_typeES9_S9_S9_S9_S9_S9_S9_EENS0_10empty_typeEbEEZZNS1_14partition_implILS5_6ELb0ES3_mNS7_12zip_iteratorINS8_INS7_6detail15normal_iteratorINS7_10device_ptrIjEEEESJ_S9_S9_S9_S9_S9_S9_S9_S9_EEEEPSB_SM_NS0_5tupleIJNSE_INS8_ISJ_NS7_16discard_iteratorINS7_11use_defaultEEES9_S9_S9_S9_S9_S9_S9_S9_EEEESB_EEENSN_IJSM_SM_EEESB_PlJNSF_9not_fun_tINSF_14equal_to_valueISA_EEEEEEE10hipError_tPvRmT3_T4_T5_T6_T7_T9_mT8_P12ihipStream_tbDpT10_ENKUlT_T0_E_clISt17integral_constantIbLb0EES1J_EEDaS1E_S1F_EUlS1E_E_NS1_11comp_targetILNS1_3genE8ELNS1_11target_archE1030ELNS1_3gpuE2ELNS1_3repE0EEENS1_30default_config_static_selectorELNS0_4arch9wavefront6targetE0EEEvT1_
		.amdhsa_group_segment_fixed_size 0
		.amdhsa_private_segment_fixed_size 0
		.amdhsa_kernarg_size 144
		.amdhsa_user_sgpr_count 2
		.amdhsa_user_sgpr_dispatch_ptr 0
		.amdhsa_user_sgpr_queue_ptr 0
		.amdhsa_user_sgpr_kernarg_segment_ptr 1
		.amdhsa_user_sgpr_dispatch_id 0
		.amdhsa_user_sgpr_private_segment_size 0
		.amdhsa_wavefront_size32 1
		.amdhsa_uses_dynamic_stack 0
		.amdhsa_enable_private_segment 0
		.amdhsa_system_sgpr_workgroup_id_x 1
		.amdhsa_system_sgpr_workgroup_id_y 0
		.amdhsa_system_sgpr_workgroup_id_z 0
		.amdhsa_system_sgpr_workgroup_info 0
		.amdhsa_system_vgpr_workitem_id 0
		.amdhsa_next_free_vgpr 1
		.amdhsa_next_free_sgpr 1
		.amdhsa_reserve_vcc 0
		.amdhsa_float_round_mode_32 0
		.amdhsa_float_round_mode_16_64 0
		.amdhsa_float_denorm_mode_32 3
		.amdhsa_float_denorm_mode_16_64 3
		.amdhsa_fp16_overflow 0
		.amdhsa_workgroup_processor_mode 1
		.amdhsa_memory_ordered 1
		.amdhsa_forward_progress 1
		.amdhsa_inst_pref_size 0
		.amdhsa_round_robin_scheduling 0
		.amdhsa_exception_fp_ieee_invalid_op 0
		.amdhsa_exception_fp_denorm_src 0
		.amdhsa_exception_fp_ieee_div_zero 0
		.amdhsa_exception_fp_ieee_overflow 0
		.amdhsa_exception_fp_ieee_underflow 0
		.amdhsa_exception_fp_ieee_inexact 0
		.amdhsa_exception_int_div_zero 0
	.end_amdhsa_kernel
	.section	.text._ZN7rocprim17ROCPRIM_400000_NS6detail17trampoline_kernelINS0_14default_configENS1_25partition_config_selectorILNS1_17partition_subalgoE6EN6thrust23THRUST_200600_302600_NS5tupleIjjNS7_9null_typeES9_S9_S9_S9_S9_S9_S9_EENS0_10empty_typeEbEEZZNS1_14partition_implILS5_6ELb0ES3_mNS7_12zip_iteratorINS8_INS7_6detail15normal_iteratorINS7_10device_ptrIjEEEESJ_S9_S9_S9_S9_S9_S9_S9_S9_EEEEPSB_SM_NS0_5tupleIJNSE_INS8_ISJ_NS7_16discard_iteratorINS7_11use_defaultEEES9_S9_S9_S9_S9_S9_S9_S9_EEEESB_EEENSN_IJSM_SM_EEESB_PlJNSF_9not_fun_tINSF_14equal_to_valueISA_EEEEEEE10hipError_tPvRmT3_T4_T5_T6_T7_T9_mT8_P12ihipStream_tbDpT10_ENKUlT_T0_E_clISt17integral_constantIbLb0EES1J_EEDaS1E_S1F_EUlS1E_E_NS1_11comp_targetILNS1_3genE8ELNS1_11target_archE1030ELNS1_3gpuE2ELNS1_3repE0EEENS1_30default_config_static_selectorELNS0_4arch9wavefront6targetE0EEEvT1_,"axG",@progbits,_ZN7rocprim17ROCPRIM_400000_NS6detail17trampoline_kernelINS0_14default_configENS1_25partition_config_selectorILNS1_17partition_subalgoE6EN6thrust23THRUST_200600_302600_NS5tupleIjjNS7_9null_typeES9_S9_S9_S9_S9_S9_S9_EENS0_10empty_typeEbEEZZNS1_14partition_implILS5_6ELb0ES3_mNS7_12zip_iteratorINS8_INS7_6detail15normal_iteratorINS7_10device_ptrIjEEEESJ_S9_S9_S9_S9_S9_S9_S9_S9_EEEEPSB_SM_NS0_5tupleIJNSE_INS8_ISJ_NS7_16discard_iteratorINS7_11use_defaultEEES9_S9_S9_S9_S9_S9_S9_S9_EEEESB_EEENSN_IJSM_SM_EEESB_PlJNSF_9not_fun_tINSF_14equal_to_valueISA_EEEEEEE10hipError_tPvRmT3_T4_T5_T6_T7_T9_mT8_P12ihipStream_tbDpT10_ENKUlT_T0_E_clISt17integral_constantIbLb0EES1J_EEDaS1E_S1F_EUlS1E_E_NS1_11comp_targetILNS1_3genE8ELNS1_11target_archE1030ELNS1_3gpuE2ELNS1_3repE0EEENS1_30default_config_static_selectorELNS0_4arch9wavefront6targetE0EEEvT1_,comdat
.Lfunc_end1924:
	.size	_ZN7rocprim17ROCPRIM_400000_NS6detail17trampoline_kernelINS0_14default_configENS1_25partition_config_selectorILNS1_17partition_subalgoE6EN6thrust23THRUST_200600_302600_NS5tupleIjjNS7_9null_typeES9_S9_S9_S9_S9_S9_S9_EENS0_10empty_typeEbEEZZNS1_14partition_implILS5_6ELb0ES3_mNS7_12zip_iteratorINS8_INS7_6detail15normal_iteratorINS7_10device_ptrIjEEEESJ_S9_S9_S9_S9_S9_S9_S9_S9_EEEEPSB_SM_NS0_5tupleIJNSE_INS8_ISJ_NS7_16discard_iteratorINS7_11use_defaultEEES9_S9_S9_S9_S9_S9_S9_S9_EEEESB_EEENSN_IJSM_SM_EEESB_PlJNSF_9not_fun_tINSF_14equal_to_valueISA_EEEEEEE10hipError_tPvRmT3_T4_T5_T6_T7_T9_mT8_P12ihipStream_tbDpT10_ENKUlT_T0_E_clISt17integral_constantIbLb0EES1J_EEDaS1E_S1F_EUlS1E_E_NS1_11comp_targetILNS1_3genE8ELNS1_11target_archE1030ELNS1_3gpuE2ELNS1_3repE0EEENS1_30default_config_static_selectorELNS0_4arch9wavefront6targetE0EEEvT1_, .Lfunc_end1924-_ZN7rocprim17ROCPRIM_400000_NS6detail17trampoline_kernelINS0_14default_configENS1_25partition_config_selectorILNS1_17partition_subalgoE6EN6thrust23THRUST_200600_302600_NS5tupleIjjNS7_9null_typeES9_S9_S9_S9_S9_S9_S9_EENS0_10empty_typeEbEEZZNS1_14partition_implILS5_6ELb0ES3_mNS7_12zip_iteratorINS8_INS7_6detail15normal_iteratorINS7_10device_ptrIjEEEESJ_S9_S9_S9_S9_S9_S9_S9_S9_EEEEPSB_SM_NS0_5tupleIJNSE_INS8_ISJ_NS7_16discard_iteratorINS7_11use_defaultEEES9_S9_S9_S9_S9_S9_S9_S9_EEEESB_EEENSN_IJSM_SM_EEESB_PlJNSF_9not_fun_tINSF_14equal_to_valueISA_EEEEEEE10hipError_tPvRmT3_T4_T5_T6_T7_T9_mT8_P12ihipStream_tbDpT10_ENKUlT_T0_E_clISt17integral_constantIbLb0EES1J_EEDaS1E_S1F_EUlS1E_E_NS1_11comp_targetILNS1_3genE8ELNS1_11target_archE1030ELNS1_3gpuE2ELNS1_3repE0EEENS1_30default_config_static_selectorELNS0_4arch9wavefront6targetE0EEEvT1_
                                        ; -- End function
	.set _ZN7rocprim17ROCPRIM_400000_NS6detail17trampoline_kernelINS0_14default_configENS1_25partition_config_selectorILNS1_17partition_subalgoE6EN6thrust23THRUST_200600_302600_NS5tupleIjjNS7_9null_typeES9_S9_S9_S9_S9_S9_S9_EENS0_10empty_typeEbEEZZNS1_14partition_implILS5_6ELb0ES3_mNS7_12zip_iteratorINS8_INS7_6detail15normal_iteratorINS7_10device_ptrIjEEEESJ_S9_S9_S9_S9_S9_S9_S9_S9_EEEEPSB_SM_NS0_5tupleIJNSE_INS8_ISJ_NS7_16discard_iteratorINS7_11use_defaultEEES9_S9_S9_S9_S9_S9_S9_S9_EEEESB_EEENSN_IJSM_SM_EEESB_PlJNSF_9not_fun_tINSF_14equal_to_valueISA_EEEEEEE10hipError_tPvRmT3_T4_T5_T6_T7_T9_mT8_P12ihipStream_tbDpT10_ENKUlT_T0_E_clISt17integral_constantIbLb0EES1J_EEDaS1E_S1F_EUlS1E_E_NS1_11comp_targetILNS1_3genE8ELNS1_11target_archE1030ELNS1_3gpuE2ELNS1_3repE0EEENS1_30default_config_static_selectorELNS0_4arch9wavefront6targetE0EEEvT1_.num_vgpr, 0
	.set _ZN7rocprim17ROCPRIM_400000_NS6detail17trampoline_kernelINS0_14default_configENS1_25partition_config_selectorILNS1_17partition_subalgoE6EN6thrust23THRUST_200600_302600_NS5tupleIjjNS7_9null_typeES9_S9_S9_S9_S9_S9_S9_EENS0_10empty_typeEbEEZZNS1_14partition_implILS5_6ELb0ES3_mNS7_12zip_iteratorINS8_INS7_6detail15normal_iteratorINS7_10device_ptrIjEEEESJ_S9_S9_S9_S9_S9_S9_S9_S9_EEEEPSB_SM_NS0_5tupleIJNSE_INS8_ISJ_NS7_16discard_iteratorINS7_11use_defaultEEES9_S9_S9_S9_S9_S9_S9_S9_EEEESB_EEENSN_IJSM_SM_EEESB_PlJNSF_9not_fun_tINSF_14equal_to_valueISA_EEEEEEE10hipError_tPvRmT3_T4_T5_T6_T7_T9_mT8_P12ihipStream_tbDpT10_ENKUlT_T0_E_clISt17integral_constantIbLb0EES1J_EEDaS1E_S1F_EUlS1E_E_NS1_11comp_targetILNS1_3genE8ELNS1_11target_archE1030ELNS1_3gpuE2ELNS1_3repE0EEENS1_30default_config_static_selectorELNS0_4arch9wavefront6targetE0EEEvT1_.num_agpr, 0
	.set _ZN7rocprim17ROCPRIM_400000_NS6detail17trampoline_kernelINS0_14default_configENS1_25partition_config_selectorILNS1_17partition_subalgoE6EN6thrust23THRUST_200600_302600_NS5tupleIjjNS7_9null_typeES9_S9_S9_S9_S9_S9_S9_EENS0_10empty_typeEbEEZZNS1_14partition_implILS5_6ELb0ES3_mNS7_12zip_iteratorINS8_INS7_6detail15normal_iteratorINS7_10device_ptrIjEEEESJ_S9_S9_S9_S9_S9_S9_S9_S9_EEEEPSB_SM_NS0_5tupleIJNSE_INS8_ISJ_NS7_16discard_iteratorINS7_11use_defaultEEES9_S9_S9_S9_S9_S9_S9_S9_EEEESB_EEENSN_IJSM_SM_EEESB_PlJNSF_9not_fun_tINSF_14equal_to_valueISA_EEEEEEE10hipError_tPvRmT3_T4_T5_T6_T7_T9_mT8_P12ihipStream_tbDpT10_ENKUlT_T0_E_clISt17integral_constantIbLb0EES1J_EEDaS1E_S1F_EUlS1E_E_NS1_11comp_targetILNS1_3genE8ELNS1_11target_archE1030ELNS1_3gpuE2ELNS1_3repE0EEENS1_30default_config_static_selectorELNS0_4arch9wavefront6targetE0EEEvT1_.numbered_sgpr, 0
	.set _ZN7rocprim17ROCPRIM_400000_NS6detail17trampoline_kernelINS0_14default_configENS1_25partition_config_selectorILNS1_17partition_subalgoE6EN6thrust23THRUST_200600_302600_NS5tupleIjjNS7_9null_typeES9_S9_S9_S9_S9_S9_S9_EENS0_10empty_typeEbEEZZNS1_14partition_implILS5_6ELb0ES3_mNS7_12zip_iteratorINS8_INS7_6detail15normal_iteratorINS7_10device_ptrIjEEEESJ_S9_S9_S9_S9_S9_S9_S9_S9_EEEEPSB_SM_NS0_5tupleIJNSE_INS8_ISJ_NS7_16discard_iteratorINS7_11use_defaultEEES9_S9_S9_S9_S9_S9_S9_S9_EEEESB_EEENSN_IJSM_SM_EEESB_PlJNSF_9not_fun_tINSF_14equal_to_valueISA_EEEEEEE10hipError_tPvRmT3_T4_T5_T6_T7_T9_mT8_P12ihipStream_tbDpT10_ENKUlT_T0_E_clISt17integral_constantIbLb0EES1J_EEDaS1E_S1F_EUlS1E_E_NS1_11comp_targetILNS1_3genE8ELNS1_11target_archE1030ELNS1_3gpuE2ELNS1_3repE0EEENS1_30default_config_static_selectorELNS0_4arch9wavefront6targetE0EEEvT1_.num_named_barrier, 0
	.set _ZN7rocprim17ROCPRIM_400000_NS6detail17trampoline_kernelINS0_14default_configENS1_25partition_config_selectorILNS1_17partition_subalgoE6EN6thrust23THRUST_200600_302600_NS5tupleIjjNS7_9null_typeES9_S9_S9_S9_S9_S9_S9_EENS0_10empty_typeEbEEZZNS1_14partition_implILS5_6ELb0ES3_mNS7_12zip_iteratorINS8_INS7_6detail15normal_iteratorINS7_10device_ptrIjEEEESJ_S9_S9_S9_S9_S9_S9_S9_S9_EEEEPSB_SM_NS0_5tupleIJNSE_INS8_ISJ_NS7_16discard_iteratorINS7_11use_defaultEEES9_S9_S9_S9_S9_S9_S9_S9_EEEESB_EEENSN_IJSM_SM_EEESB_PlJNSF_9not_fun_tINSF_14equal_to_valueISA_EEEEEEE10hipError_tPvRmT3_T4_T5_T6_T7_T9_mT8_P12ihipStream_tbDpT10_ENKUlT_T0_E_clISt17integral_constantIbLb0EES1J_EEDaS1E_S1F_EUlS1E_E_NS1_11comp_targetILNS1_3genE8ELNS1_11target_archE1030ELNS1_3gpuE2ELNS1_3repE0EEENS1_30default_config_static_selectorELNS0_4arch9wavefront6targetE0EEEvT1_.private_seg_size, 0
	.set _ZN7rocprim17ROCPRIM_400000_NS6detail17trampoline_kernelINS0_14default_configENS1_25partition_config_selectorILNS1_17partition_subalgoE6EN6thrust23THRUST_200600_302600_NS5tupleIjjNS7_9null_typeES9_S9_S9_S9_S9_S9_S9_EENS0_10empty_typeEbEEZZNS1_14partition_implILS5_6ELb0ES3_mNS7_12zip_iteratorINS8_INS7_6detail15normal_iteratorINS7_10device_ptrIjEEEESJ_S9_S9_S9_S9_S9_S9_S9_S9_EEEEPSB_SM_NS0_5tupleIJNSE_INS8_ISJ_NS7_16discard_iteratorINS7_11use_defaultEEES9_S9_S9_S9_S9_S9_S9_S9_EEEESB_EEENSN_IJSM_SM_EEESB_PlJNSF_9not_fun_tINSF_14equal_to_valueISA_EEEEEEE10hipError_tPvRmT3_T4_T5_T6_T7_T9_mT8_P12ihipStream_tbDpT10_ENKUlT_T0_E_clISt17integral_constantIbLb0EES1J_EEDaS1E_S1F_EUlS1E_E_NS1_11comp_targetILNS1_3genE8ELNS1_11target_archE1030ELNS1_3gpuE2ELNS1_3repE0EEENS1_30default_config_static_selectorELNS0_4arch9wavefront6targetE0EEEvT1_.uses_vcc, 0
	.set _ZN7rocprim17ROCPRIM_400000_NS6detail17trampoline_kernelINS0_14default_configENS1_25partition_config_selectorILNS1_17partition_subalgoE6EN6thrust23THRUST_200600_302600_NS5tupleIjjNS7_9null_typeES9_S9_S9_S9_S9_S9_S9_EENS0_10empty_typeEbEEZZNS1_14partition_implILS5_6ELb0ES3_mNS7_12zip_iteratorINS8_INS7_6detail15normal_iteratorINS7_10device_ptrIjEEEESJ_S9_S9_S9_S9_S9_S9_S9_S9_EEEEPSB_SM_NS0_5tupleIJNSE_INS8_ISJ_NS7_16discard_iteratorINS7_11use_defaultEEES9_S9_S9_S9_S9_S9_S9_S9_EEEESB_EEENSN_IJSM_SM_EEESB_PlJNSF_9not_fun_tINSF_14equal_to_valueISA_EEEEEEE10hipError_tPvRmT3_T4_T5_T6_T7_T9_mT8_P12ihipStream_tbDpT10_ENKUlT_T0_E_clISt17integral_constantIbLb0EES1J_EEDaS1E_S1F_EUlS1E_E_NS1_11comp_targetILNS1_3genE8ELNS1_11target_archE1030ELNS1_3gpuE2ELNS1_3repE0EEENS1_30default_config_static_selectorELNS0_4arch9wavefront6targetE0EEEvT1_.uses_flat_scratch, 0
	.set _ZN7rocprim17ROCPRIM_400000_NS6detail17trampoline_kernelINS0_14default_configENS1_25partition_config_selectorILNS1_17partition_subalgoE6EN6thrust23THRUST_200600_302600_NS5tupleIjjNS7_9null_typeES9_S9_S9_S9_S9_S9_S9_EENS0_10empty_typeEbEEZZNS1_14partition_implILS5_6ELb0ES3_mNS7_12zip_iteratorINS8_INS7_6detail15normal_iteratorINS7_10device_ptrIjEEEESJ_S9_S9_S9_S9_S9_S9_S9_S9_EEEEPSB_SM_NS0_5tupleIJNSE_INS8_ISJ_NS7_16discard_iteratorINS7_11use_defaultEEES9_S9_S9_S9_S9_S9_S9_S9_EEEESB_EEENSN_IJSM_SM_EEESB_PlJNSF_9not_fun_tINSF_14equal_to_valueISA_EEEEEEE10hipError_tPvRmT3_T4_T5_T6_T7_T9_mT8_P12ihipStream_tbDpT10_ENKUlT_T0_E_clISt17integral_constantIbLb0EES1J_EEDaS1E_S1F_EUlS1E_E_NS1_11comp_targetILNS1_3genE8ELNS1_11target_archE1030ELNS1_3gpuE2ELNS1_3repE0EEENS1_30default_config_static_selectorELNS0_4arch9wavefront6targetE0EEEvT1_.has_dyn_sized_stack, 0
	.set _ZN7rocprim17ROCPRIM_400000_NS6detail17trampoline_kernelINS0_14default_configENS1_25partition_config_selectorILNS1_17partition_subalgoE6EN6thrust23THRUST_200600_302600_NS5tupleIjjNS7_9null_typeES9_S9_S9_S9_S9_S9_S9_EENS0_10empty_typeEbEEZZNS1_14partition_implILS5_6ELb0ES3_mNS7_12zip_iteratorINS8_INS7_6detail15normal_iteratorINS7_10device_ptrIjEEEESJ_S9_S9_S9_S9_S9_S9_S9_S9_EEEEPSB_SM_NS0_5tupleIJNSE_INS8_ISJ_NS7_16discard_iteratorINS7_11use_defaultEEES9_S9_S9_S9_S9_S9_S9_S9_EEEESB_EEENSN_IJSM_SM_EEESB_PlJNSF_9not_fun_tINSF_14equal_to_valueISA_EEEEEEE10hipError_tPvRmT3_T4_T5_T6_T7_T9_mT8_P12ihipStream_tbDpT10_ENKUlT_T0_E_clISt17integral_constantIbLb0EES1J_EEDaS1E_S1F_EUlS1E_E_NS1_11comp_targetILNS1_3genE8ELNS1_11target_archE1030ELNS1_3gpuE2ELNS1_3repE0EEENS1_30default_config_static_selectorELNS0_4arch9wavefront6targetE0EEEvT1_.has_recursion, 0
	.set _ZN7rocprim17ROCPRIM_400000_NS6detail17trampoline_kernelINS0_14default_configENS1_25partition_config_selectorILNS1_17partition_subalgoE6EN6thrust23THRUST_200600_302600_NS5tupleIjjNS7_9null_typeES9_S9_S9_S9_S9_S9_S9_EENS0_10empty_typeEbEEZZNS1_14partition_implILS5_6ELb0ES3_mNS7_12zip_iteratorINS8_INS7_6detail15normal_iteratorINS7_10device_ptrIjEEEESJ_S9_S9_S9_S9_S9_S9_S9_S9_EEEEPSB_SM_NS0_5tupleIJNSE_INS8_ISJ_NS7_16discard_iteratorINS7_11use_defaultEEES9_S9_S9_S9_S9_S9_S9_S9_EEEESB_EEENSN_IJSM_SM_EEESB_PlJNSF_9not_fun_tINSF_14equal_to_valueISA_EEEEEEE10hipError_tPvRmT3_T4_T5_T6_T7_T9_mT8_P12ihipStream_tbDpT10_ENKUlT_T0_E_clISt17integral_constantIbLb0EES1J_EEDaS1E_S1F_EUlS1E_E_NS1_11comp_targetILNS1_3genE8ELNS1_11target_archE1030ELNS1_3gpuE2ELNS1_3repE0EEENS1_30default_config_static_selectorELNS0_4arch9wavefront6targetE0EEEvT1_.has_indirect_call, 0
	.section	.AMDGPU.csdata,"",@progbits
; Kernel info:
; codeLenInByte = 0
; TotalNumSgprs: 0
; NumVgprs: 0
; ScratchSize: 0
; MemoryBound: 0
; FloatMode: 240
; IeeeMode: 1
; LDSByteSize: 0 bytes/workgroup (compile time only)
; SGPRBlocks: 0
; VGPRBlocks: 0
; NumSGPRsForWavesPerEU: 1
; NumVGPRsForWavesPerEU: 1
; Occupancy: 16
; WaveLimiterHint : 0
; COMPUTE_PGM_RSRC2:SCRATCH_EN: 0
; COMPUTE_PGM_RSRC2:USER_SGPR: 2
; COMPUTE_PGM_RSRC2:TRAP_HANDLER: 0
; COMPUTE_PGM_RSRC2:TGID_X_EN: 1
; COMPUTE_PGM_RSRC2:TGID_Y_EN: 0
; COMPUTE_PGM_RSRC2:TGID_Z_EN: 0
; COMPUTE_PGM_RSRC2:TIDIG_COMP_CNT: 0
	.section	.text._ZN7rocprim17ROCPRIM_400000_NS6detail17trampoline_kernelINS0_14default_configENS1_25partition_config_selectorILNS1_17partition_subalgoE6EN6thrust23THRUST_200600_302600_NS5tupleIjjNS7_9null_typeES9_S9_S9_S9_S9_S9_S9_EENS0_10empty_typeEbEEZZNS1_14partition_implILS5_6ELb0ES3_mNS7_12zip_iteratorINS8_INS7_6detail15normal_iteratorINS7_10device_ptrIjEEEESJ_S9_S9_S9_S9_S9_S9_S9_S9_EEEEPSB_SM_NS0_5tupleIJNSE_INS8_ISJ_NS7_16discard_iteratorINS7_11use_defaultEEES9_S9_S9_S9_S9_S9_S9_S9_EEEESB_EEENSN_IJSM_SM_EEESB_PlJNSF_9not_fun_tINSF_14equal_to_valueISA_EEEEEEE10hipError_tPvRmT3_T4_T5_T6_T7_T9_mT8_P12ihipStream_tbDpT10_ENKUlT_T0_E_clISt17integral_constantIbLb1EES1J_EEDaS1E_S1F_EUlS1E_E_NS1_11comp_targetILNS1_3genE0ELNS1_11target_archE4294967295ELNS1_3gpuE0ELNS1_3repE0EEENS1_30default_config_static_selectorELNS0_4arch9wavefront6targetE0EEEvT1_,"axG",@progbits,_ZN7rocprim17ROCPRIM_400000_NS6detail17trampoline_kernelINS0_14default_configENS1_25partition_config_selectorILNS1_17partition_subalgoE6EN6thrust23THRUST_200600_302600_NS5tupleIjjNS7_9null_typeES9_S9_S9_S9_S9_S9_S9_EENS0_10empty_typeEbEEZZNS1_14partition_implILS5_6ELb0ES3_mNS7_12zip_iteratorINS8_INS7_6detail15normal_iteratorINS7_10device_ptrIjEEEESJ_S9_S9_S9_S9_S9_S9_S9_S9_EEEEPSB_SM_NS0_5tupleIJNSE_INS8_ISJ_NS7_16discard_iteratorINS7_11use_defaultEEES9_S9_S9_S9_S9_S9_S9_S9_EEEESB_EEENSN_IJSM_SM_EEESB_PlJNSF_9not_fun_tINSF_14equal_to_valueISA_EEEEEEE10hipError_tPvRmT3_T4_T5_T6_T7_T9_mT8_P12ihipStream_tbDpT10_ENKUlT_T0_E_clISt17integral_constantIbLb1EES1J_EEDaS1E_S1F_EUlS1E_E_NS1_11comp_targetILNS1_3genE0ELNS1_11target_archE4294967295ELNS1_3gpuE0ELNS1_3repE0EEENS1_30default_config_static_selectorELNS0_4arch9wavefront6targetE0EEEvT1_,comdat
	.protected	_ZN7rocprim17ROCPRIM_400000_NS6detail17trampoline_kernelINS0_14default_configENS1_25partition_config_selectorILNS1_17partition_subalgoE6EN6thrust23THRUST_200600_302600_NS5tupleIjjNS7_9null_typeES9_S9_S9_S9_S9_S9_S9_EENS0_10empty_typeEbEEZZNS1_14partition_implILS5_6ELb0ES3_mNS7_12zip_iteratorINS8_INS7_6detail15normal_iteratorINS7_10device_ptrIjEEEESJ_S9_S9_S9_S9_S9_S9_S9_S9_EEEEPSB_SM_NS0_5tupleIJNSE_INS8_ISJ_NS7_16discard_iteratorINS7_11use_defaultEEES9_S9_S9_S9_S9_S9_S9_S9_EEEESB_EEENSN_IJSM_SM_EEESB_PlJNSF_9not_fun_tINSF_14equal_to_valueISA_EEEEEEE10hipError_tPvRmT3_T4_T5_T6_T7_T9_mT8_P12ihipStream_tbDpT10_ENKUlT_T0_E_clISt17integral_constantIbLb1EES1J_EEDaS1E_S1F_EUlS1E_E_NS1_11comp_targetILNS1_3genE0ELNS1_11target_archE4294967295ELNS1_3gpuE0ELNS1_3repE0EEENS1_30default_config_static_selectorELNS0_4arch9wavefront6targetE0EEEvT1_ ; -- Begin function _ZN7rocprim17ROCPRIM_400000_NS6detail17trampoline_kernelINS0_14default_configENS1_25partition_config_selectorILNS1_17partition_subalgoE6EN6thrust23THRUST_200600_302600_NS5tupleIjjNS7_9null_typeES9_S9_S9_S9_S9_S9_S9_EENS0_10empty_typeEbEEZZNS1_14partition_implILS5_6ELb0ES3_mNS7_12zip_iteratorINS8_INS7_6detail15normal_iteratorINS7_10device_ptrIjEEEESJ_S9_S9_S9_S9_S9_S9_S9_S9_EEEEPSB_SM_NS0_5tupleIJNSE_INS8_ISJ_NS7_16discard_iteratorINS7_11use_defaultEEES9_S9_S9_S9_S9_S9_S9_S9_EEEESB_EEENSN_IJSM_SM_EEESB_PlJNSF_9not_fun_tINSF_14equal_to_valueISA_EEEEEEE10hipError_tPvRmT3_T4_T5_T6_T7_T9_mT8_P12ihipStream_tbDpT10_ENKUlT_T0_E_clISt17integral_constantIbLb1EES1J_EEDaS1E_S1F_EUlS1E_E_NS1_11comp_targetILNS1_3genE0ELNS1_11target_archE4294967295ELNS1_3gpuE0ELNS1_3repE0EEENS1_30default_config_static_selectorELNS0_4arch9wavefront6targetE0EEEvT1_
	.globl	_ZN7rocprim17ROCPRIM_400000_NS6detail17trampoline_kernelINS0_14default_configENS1_25partition_config_selectorILNS1_17partition_subalgoE6EN6thrust23THRUST_200600_302600_NS5tupleIjjNS7_9null_typeES9_S9_S9_S9_S9_S9_S9_EENS0_10empty_typeEbEEZZNS1_14partition_implILS5_6ELb0ES3_mNS7_12zip_iteratorINS8_INS7_6detail15normal_iteratorINS7_10device_ptrIjEEEESJ_S9_S9_S9_S9_S9_S9_S9_S9_EEEEPSB_SM_NS0_5tupleIJNSE_INS8_ISJ_NS7_16discard_iteratorINS7_11use_defaultEEES9_S9_S9_S9_S9_S9_S9_S9_EEEESB_EEENSN_IJSM_SM_EEESB_PlJNSF_9not_fun_tINSF_14equal_to_valueISA_EEEEEEE10hipError_tPvRmT3_T4_T5_T6_T7_T9_mT8_P12ihipStream_tbDpT10_ENKUlT_T0_E_clISt17integral_constantIbLb1EES1J_EEDaS1E_S1F_EUlS1E_E_NS1_11comp_targetILNS1_3genE0ELNS1_11target_archE4294967295ELNS1_3gpuE0ELNS1_3repE0EEENS1_30default_config_static_selectorELNS0_4arch9wavefront6targetE0EEEvT1_
	.p2align	8
	.type	_ZN7rocprim17ROCPRIM_400000_NS6detail17trampoline_kernelINS0_14default_configENS1_25partition_config_selectorILNS1_17partition_subalgoE6EN6thrust23THRUST_200600_302600_NS5tupleIjjNS7_9null_typeES9_S9_S9_S9_S9_S9_S9_EENS0_10empty_typeEbEEZZNS1_14partition_implILS5_6ELb0ES3_mNS7_12zip_iteratorINS8_INS7_6detail15normal_iteratorINS7_10device_ptrIjEEEESJ_S9_S9_S9_S9_S9_S9_S9_S9_EEEEPSB_SM_NS0_5tupleIJNSE_INS8_ISJ_NS7_16discard_iteratorINS7_11use_defaultEEES9_S9_S9_S9_S9_S9_S9_S9_EEEESB_EEENSN_IJSM_SM_EEESB_PlJNSF_9not_fun_tINSF_14equal_to_valueISA_EEEEEEE10hipError_tPvRmT3_T4_T5_T6_T7_T9_mT8_P12ihipStream_tbDpT10_ENKUlT_T0_E_clISt17integral_constantIbLb1EES1J_EEDaS1E_S1F_EUlS1E_E_NS1_11comp_targetILNS1_3genE0ELNS1_11target_archE4294967295ELNS1_3gpuE0ELNS1_3repE0EEENS1_30default_config_static_selectorELNS0_4arch9wavefront6targetE0EEEvT1_,@function
_ZN7rocprim17ROCPRIM_400000_NS6detail17trampoline_kernelINS0_14default_configENS1_25partition_config_selectorILNS1_17partition_subalgoE6EN6thrust23THRUST_200600_302600_NS5tupleIjjNS7_9null_typeES9_S9_S9_S9_S9_S9_S9_EENS0_10empty_typeEbEEZZNS1_14partition_implILS5_6ELb0ES3_mNS7_12zip_iteratorINS8_INS7_6detail15normal_iteratorINS7_10device_ptrIjEEEESJ_S9_S9_S9_S9_S9_S9_S9_S9_EEEEPSB_SM_NS0_5tupleIJNSE_INS8_ISJ_NS7_16discard_iteratorINS7_11use_defaultEEES9_S9_S9_S9_S9_S9_S9_S9_EEEESB_EEENSN_IJSM_SM_EEESB_PlJNSF_9not_fun_tINSF_14equal_to_valueISA_EEEEEEE10hipError_tPvRmT3_T4_T5_T6_T7_T9_mT8_P12ihipStream_tbDpT10_ENKUlT_T0_E_clISt17integral_constantIbLb1EES1J_EEDaS1E_S1F_EUlS1E_E_NS1_11comp_targetILNS1_3genE0ELNS1_11target_archE4294967295ELNS1_3gpuE0ELNS1_3repE0EEENS1_30default_config_static_selectorELNS0_4arch9wavefront6targetE0EEEvT1_: ; @_ZN7rocprim17ROCPRIM_400000_NS6detail17trampoline_kernelINS0_14default_configENS1_25partition_config_selectorILNS1_17partition_subalgoE6EN6thrust23THRUST_200600_302600_NS5tupleIjjNS7_9null_typeES9_S9_S9_S9_S9_S9_S9_EENS0_10empty_typeEbEEZZNS1_14partition_implILS5_6ELb0ES3_mNS7_12zip_iteratorINS8_INS7_6detail15normal_iteratorINS7_10device_ptrIjEEEESJ_S9_S9_S9_S9_S9_S9_S9_S9_EEEEPSB_SM_NS0_5tupleIJNSE_INS8_ISJ_NS7_16discard_iteratorINS7_11use_defaultEEES9_S9_S9_S9_S9_S9_S9_S9_EEEESB_EEENSN_IJSM_SM_EEESB_PlJNSF_9not_fun_tINSF_14equal_to_valueISA_EEEEEEE10hipError_tPvRmT3_T4_T5_T6_T7_T9_mT8_P12ihipStream_tbDpT10_ENKUlT_T0_E_clISt17integral_constantIbLb1EES1J_EEDaS1E_S1F_EUlS1E_E_NS1_11comp_targetILNS1_3genE0ELNS1_11target_archE4294967295ELNS1_3gpuE0ELNS1_3repE0EEENS1_30default_config_static_selectorELNS0_4arch9wavefront6targetE0EEEvT1_
; %bb.0:
	.section	.rodata,"a",@progbits
	.p2align	6, 0x0
	.amdhsa_kernel _ZN7rocprim17ROCPRIM_400000_NS6detail17trampoline_kernelINS0_14default_configENS1_25partition_config_selectorILNS1_17partition_subalgoE6EN6thrust23THRUST_200600_302600_NS5tupleIjjNS7_9null_typeES9_S9_S9_S9_S9_S9_S9_EENS0_10empty_typeEbEEZZNS1_14partition_implILS5_6ELb0ES3_mNS7_12zip_iteratorINS8_INS7_6detail15normal_iteratorINS7_10device_ptrIjEEEESJ_S9_S9_S9_S9_S9_S9_S9_S9_EEEEPSB_SM_NS0_5tupleIJNSE_INS8_ISJ_NS7_16discard_iteratorINS7_11use_defaultEEES9_S9_S9_S9_S9_S9_S9_S9_EEEESB_EEENSN_IJSM_SM_EEESB_PlJNSF_9not_fun_tINSF_14equal_to_valueISA_EEEEEEE10hipError_tPvRmT3_T4_T5_T6_T7_T9_mT8_P12ihipStream_tbDpT10_ENKUlT_T0_E_clISt17integral_constantIbLb1EES1J_EEDaS1E_S1F_EUlS1E_E_NS1_11comp_targetILNS1_3genE0ELNS1_11target_archE4294967295ELNS1_3gpuE0ELNS1_3repE0EEENS1_30default_config_static_selectorELNS0_4arch9wavefront6targetE0EEEvT1_
		.amdhsa_group_segment_fixed_size 0
		.amdhsa_private_segment_fixed_size 0
		.amdhsa_kernarg_size 152
		.amdhsa_user_sgpr_count 2
		.amdhsa_user_sgpr_dispatch_ptr 0
		.amdhsa_user_sgpr_queue_ptr 0
		.amdhsa_user_sgpr_kernarg_segment_ptr 1
		.amdhsa_user_sgpr_dispatch_id 0
		.amdhsa_user_sgpr_private_segment_size 0
		.amdhsa_wavefront_size32 1
		.amdhsa_uses_dynamic_stack 0
		.amdhsa_enable_private_segment 0
		.amdhsa_system_sgpr_workgroup_id_x 1
		.amdhsa_system_sgpr_workgroup_id_y 0
		.amdhsa_system_sgpr_workgroup_id_z 0
		.amdhsa_system_sgpr_workgroup_info 0
		.amdhsa_system_vgpr_workitem_id 0
		.amdhsa_next_free_vgpr 1
		.amdhsa_next_free_sgpr 1
		.amdhsa_reserve_vcc 0
		.amdhsa_float_round_mode_32 0
		.amdhsa_float_round_mode_16_64 0
		.amdhsa_float_denorm_mode_32 3
		.amdhsa_float_denorm_mode_16_64 3
		.amdhsa_fp16_overflow 0
		.amdhsa_workgroup_processor_mode 1
		.amdhsa_memory_ordered 1
		.amdhsa_forward_progress 1
		.amdhsa_inst_pref_size 0
		.amdhsa_round_robin_scheduling 0
		.amdhsa_exception_fp_ieee_invalid_op 0
		.amdhsa_exception_fp_denorm_src 0
		.amdhsa_exception_fp_ieee_div_zero 0
		.amdhsa_exception_fp_ieee_overflow 0
		.amdhsa_exception_fp_ieee_underflow 0
		.amdhsa_exception_fp_ieee_inexact 0
		.amdhsa_exception_int_div_zero 0
	.end_amdhsa_kernel
	.section	.text._ZN7rocprim17ROCPRIM_400000_NS6detail17trampoline_kernelINS0_14default_configENS1_25partition_config_selectorILNS1_17partition_subalgoE6EN6thrust23THRUST_200600_302600_NS5tupleIjjNS7_9null_typeES9_S9_S9_S9_S9_S9_S9_EENS0_10empty_typeEbEEZZNS1_14partition_implILS5_6ELb0ES3_mNS7_12zip_iteratorINS8_INS7_6detail15normal_iteratorINS7_10device_ptrIjEEEESJ_S9_S9_S9_S9_S9_S9_S9_S9_EEEEPSB_SM_NS0_5tupleIJNSE_INS8_ISJ_NS7_16discard_iteratorINS7_11use_defaultEEES9_S9_S9_S9_S9_S9_S9_S9_EEEESB_EEENSN_IJSM_SM_EEESB_PlJNSF_9not_fun_tINSF_14equal_to_valueISA_EEEEEEE10hipError_tPvRmT3_T4_T5_T6_T7_T9_mT8_P12ihipStream_tbDpT10_ENKUlT_T0_E_clISt17integral_constantIbLb1EES1J_EEDaS1E_S1F_EUlS1E_E_NS1_11comp_targetILNS1_3genE0ELNS1_11target_archE4294967295ELNS1_3gpuE0ELNS1_3repE0EEENS1_30default_config_static_selectorELNS0_4arch9wavefront6targetE0EEEvT1_,"axG",@progbits,_ZN7rocprim17ROCPRIM_400000_NS6detail17trampoline_kernelINS0_14default_configENS1_25partition_config_selectorILNS1_17partition_subalgoE6EN6thrust23THRUST_200600_302600_NS5tupleIjjNS7_9null_typeES9_S9_S9_S9_S9_S9_S9_EENS0_10empty_typeEbEEZZNS1_14partition_implILS5_6ELb0ES3_mNS7_12zip_iteratorINS8_INS7_6detail15normal_iteratorINS7_10device_ptrIjEEEESJ_S9_S9_S9_S9_S9_S9_S9_S9_EEEEPSB_SM_NS0_5tupleIJNSE_INS8_ISJ_NS7_16discard_iteratorINS7_11use_defaultEEES9_S9_S9_S9_S9_S9_S9_S9_EEEESB_EEENSN_IJSM_SM_EEESB_PlJNSF_9not_fun_tINSF_14equal_to_valueISA_EEEEEEE10hipError_tPvRmT3_T4_T5_T6_T7_T9_mT8_P12ihipStream_tbDpT10_ENKUlT_T0_E_clISt17integral_constantIbLb1EES1J_EEDaS1E_S1F_EUlS1E_E_NS1_11comp_targetILNS1_3genE0ELNS1_11target_archE4294967295ELNS1_3gpuE0ELNS1_3repE0EEENS1_30default_config_static_selectorELNS0_4arch9wavefront6targetE0EEEvT1_,comdat
.Lfunc_end1925:
	.size	_ZN7rocprim17ROCPRIM_400000_NS6detail17trampoline_kernelINS0_14default_configENS1_25partition_config_selectorILNS1_17partition_subalgoE6EN6thrust23THRUST_200600_302600_NS5tupleIjjNS7_9null_typeES9_S9_S9_S9_S9_S9_S9_EENS0_10empty_typeEbEEZZNS1_14partition_implILS5_6ELb0ES3_mNS7_12zip_iteratorINS8_INS7_6detail15normal_iteratorINS7_10device_ptrIjEEEESJ_S9_S9_S9_S9_S9_S9_S9_S9_EEEEPSB_SM_NS0_5tupleIJNSE_INS8_ISJ_NS7_16discard_iteratorINS7_11use_defaultEEES9_S9_S9_S9_S9_S9_S9_S9_EEEESB_EEENSN_IJSM_SM_EEESB_PlJNSF_9not_fun_tINSF_14equal_to_valueISA_EEEEEEE10hipError_tPvRmT3_T4_T5_T6_T7_T9_mT8_P12ihipStream_tbDpT10_ENKUlT_T0_E_clISt17integral_constantIbLb1EES1J_EEDaS1E_S1F_EUlS1E_E_NS1_11comp_targetILNS1_3genE0ELNS1_11target_archE4294967295ELNS1_3gpuE0ELNS1_3repE0EEENS1_30default_config_static_selectorELNS0_4arch9wavefront6targetE0EEEvT1_, .Lfunc_end1925-_ZN7rocprim17ROCPRIM_400000_NS6detail17trampoline_kernelINS0_14default_configENS1_25partition_config_selectorILNS1_17partition_subalgoE6EN6thrust23THRUST_200600_302600_NS5tupleIjjNS7_9null_typeES9_S9_S9_S9_S9_S9_S9_EENS0_10empty_typeEbEEZZNS1_14partition_implILS5_6ELb0ES3_mNS7_12zip_iteratorINS8_INS7_6detail15normal_iteratorINS7_10device_ptrIjEEEESJ_S9_S9_S9_S9_S9_S9_S9_S9_EEEEPSB_SM_NS0_5tupleIJNSE_INS8_ISJ_NS7_16discard_iteratorINS7_11use_defaultEEES9_S9_S9_S9_S9_S9_S9_S9_EEEESB_EEENSN_IJSM_SM_EEESB_PlJNSF_9not_fun_tINSF_14equal_to_valueISA_EEEEEEE10hipError_tPvRmT3_T4_T5_T6_T7_T9_mT8_P12ihipStream_tbDpT10_ENKUlT_T0_E_clISt17integral_constantIbLb1EES1J_EEDaS1E_S1F_EUlS1E_E_NS1_11comp_targetILNS1_3genE0ELNS1_11target_archE4294967295ELNS1_3gpuE0ELNS1_3repE0EEENS1_30default_config_static_selectorELNS0_4arch9wavefront6targetE0EEEvT1_
                                        ; -- End function
	.set _ZN7rocprim17ROCPRIM_400000_NS6detail17trampoline_kernelINS0_14default_configENS1_25partition_config_selectorILNS1_17partition_subalgoE6EN6thrust23THRUST_200600_302600_NS5tupleIjjNS7_9null_typeES9_S9_S9_S9_S9_S9_S9_EENS0_10empty_typeEbEEZZNS1_14partition_implILS5_6ELb0ES3_mNS7_12zip_iteratorINS8_INS7_6detail15normal_iteratorINS7_10device_ptrIjEEEESJ_S9_S9_S9_S9_S9_S9_S9_S9_EEEEPSB_SM_NS0_5tupleIJNSE_INS8_ISJ_NS7_16discard_iteratorINS7_11use_defaultEEES9_S9_S9_S9_S9_S9_S9_S9_EEEESB_EEENSN_IJSM_SM_EEESB_PlJNSF_9not_fun_tINSF_14equal_to_valueISA_EEEEEEE10hipError_tPvRmT3_T4_T5_T6_T7_T9_mT8_P12ihipStream_tbDpT10_ENKUlT_T0_E_clISt17integral_constantIbLb1EES1J_EEDaS1E_S1F_EUlS1E_E_NS1_11comp_targetILNS1_3genE0ELNS1_11target_archE4294967295ELNS1_3gpuE0ELNS1_3repE0EEENS1_30default_config_static_selectorELNS0_4arch9wavefront6targetE0EEEvT1_.num_vgpr, 0
	.set _ZN7rocprim17ROCPRIM_400000_NS6detail17trampoline_kernelINS0_14default_configENS1_25partition_config_selectorILNS1_17partition_subalgoE6EN6thrust23THRUST_200600_302600_NS5tupleIjjNS7_9null_typeES9_S9_S9_S9_S9_S9_S9_EENS0_10empty_typeEbEEZZNS1_14partition_implILS5_6ELb0ES3_mNS7_12zip_iteratorINS8_INS7_6detail15normal_iteratorINS7_10device_ptrIjEEEESJ_S9_S9_S9_S9_S9_S9_S9_S9_EEEEPSB_SM_NS0_5tupleIJNSE_INS8_ISJ_NS7_16discard_iteratorINS7_11use_defaultEEES9_S9_S9_S9_S9_S9_S9_S9_EEEESB_EEENSN_IJSM_SM_EEESB_PlJNSF_9not_fun_tINSF_14equal_to_valueISA_EEEEEEE10hipError_tPvRmT3_T4_T5_T6_T7_T9_mT8_P12ihipStream_tbDpT10_ENKUlT_T0_E_clISt17integral_constantIbLb1EES1J_EEDaS1E_S1F_EUlS1E_E_NS1_11comp_targetILNS1_3genE0ELNS1_11target_archE4294967295ELNS1_3gpuE0ELNS1_3repE0EEENS1_30default_config_static_selectorELNS0_4arch9wavefront6targetE0EEEvT1_.num_agpr, 0
	.set _ZN7rocprim17ROCPRIM_400000_NS6detail17trampoline_kernelINS0_14default_configENS1_25partition_config_selectorILNS1_17partition_subalgoE6EN6thrust23THRUST_200600_302600_NS5tupleIjjNS7_9null_typeES9_S9_S9_S9_S9_S9_S9_EENS0_10empty_typeEbEEZZNS1_14partition_implILS5_6ELb0ES3_mNS7_12zip_iteratorINS8_INS7_6detail15normal_iteratorINS7_10device_ptrIjEEEESJ_S9_S9_S9_S9_S9_S9_S9_S9_EEEEPSB_SM_NS0_5tupleIJNSE_INS8_ISJ_NS7_16discard_iteratorINS7_11use_defaultEEES9_S9_S9_S9_S9_S9_S9_S9_EEEESB_EEENSN_IJSM_SM_EEESB_PlJNSF_9not_fun_tINSF_14equal_to_valueISA_EEEEEEE10hipError_tPvRmT3_T4_T5_T6_T7_T9_mT8_P12ihipStream_tbDpT10_ENKUlT_T0_E_clISt17integral_constantIbLb1EES1J_EEDaS1E_S1F_EUlS1E_E_NS1_11comp_targetILNS1_3genE0ELNS1_11target_archE4294967295ELNS1_3gpuE0ELNS1_3repE0EEENS1_30default_config_static_selectorELNS0_4arch9wavefront6targetE0EEEvT1_.numbered_sgpr, 0
	.set _ZN7rocprim17ROCPRIM_400000_NS6detail17trampoline_kernelINS0_14default_configENS1_25partition_config_selectorILNS1_17partition_subalgoE6EN6thrust23THRUST_200600_302600_NS5tupleIjjNS7_9null_typeES9_S9_S9_S9_S9_S9_S9_EENS0_10empty_typeEbEEZZNS1_14partition_implILS5_6ELb0ES3_mNS7_12zip_iteratorINS8_INS7_6detail15normal_iteratorINS7_10device_ptrIjEEEESJ_S9_S9_S9_S9_S9_S9_S9_S9_EEEEPSB_SM_NS0_5tupleIJNSE_INS8_ISJ_NS7_16discard_iteratorINS7_11use_defaultEEES9_S9_S9_S9_S9_S9_S9_S9_EEEESB_EEENSN_IJSM_SM_EEESB_PlJNSF_9not_fun_tINSF_14equal_to_valueISA_EEEEEEE10hipError_tPvRmT3_T4_T5_T6_T7_T9_mT8_P12ihipStream_tbDpT10_ENKUlT_T0_E_clISt17integral_constantIbLb1EES1J_EEDaS1E_S1F_EUlS1E_E_NS1_11comp_targetILNS1_3genE0ELNS1_11target_archE4294967295ELNS1_3gpuE0ELNS1_3repE0EEENS1_30default_config_static_selectorELNS0_4arch9wavefront6targetE0EEEvT1_.num_named_barrier, 0
	.set _ZN7rocprim17ROCPRIM_400000_NS6detail17trampoline_kernelINS0_14default_configENS1_25partition_config_selectorILNS1_17partition_subalgoE6EN6thrust23THRUST_200600_302600_NS5tupleIjjNS7_9null_typeES9_S9_S9_S9_S9_S9_S9_EENS0_10empty_typeEbEEZZNS1_14partition_implILS5_6ELb0ES3_mNS7_12zip_iteratorINS8_INS7_6detail15normal_iteratorINS7_10device_ptrIjEEEESJ_S9_S9_S9_S9_S9_S9_S9_S9_EEEEPSB_SM_NS0_5tupleIJNSE_INS8_ISJ_NS7_16discard_iteratorINS7_11use_defaultEEES9_S9_S9_S9_S9_S9_S9_S9_EEEESB_EEENSN_IJSM_SM_EEESB_PlJNSF_9not_fun_tINSF_14equal_to_valueISA_EEEEEEE10hipError_tPvRmT3_T4_T5_T6_T7_T9_mT8_P12ihipStream_tbDpT10_ENKUlT_T0_E_clISt17integral_constantIbLb1EES1J_EEDaS1E_S1F_EUlS1E_E_NS1_11comp_targetILNS1_3genE0ELNS1_11target_archE4294967295ELNS1_3gpuE0ELNS1_3repE0EEENS1_30default_config_static_selectorELNS0_4arch9wavefront6targetE0EEEvT1_.private_seg_size, 0
	.set _ZN7rocprim17ROCPRIM_400000_NS6detail17trampoline_kernelINS0_14default_configENS1_25partition_config_selectorILNS1_17partition_subalgoE6EN6thrust23THRUST_200600_302600_NS5tupleIjjNS7_9null_typeES9_S9_S9_S9_S9_S9_S9_EENS0_10empty_typeEbEEZZNS1_14partition_implILS5_6ELb0ES3_mNS7_12zip_iteratorINS8_INS7_6detail15normal_iteratorINS7_10device_ptrIjEEEESJ_S9_S9_S9_S9_S9_S9_S9_S9_EEEEPSB_SM_NS0_5tupleIJNSE_INS8_ISJ_NS7_16discard_iteratorINS7_11use_defaultEEES9_S9_S9_S9_S9_S9_S9_S9_EEEESB_EEENSN_IJSM_SM_EEESB_PlJNSF_9not_fun_tINSF_14equal_to_valueISA_EEEEEEE10hipError_tPvRmT3_T4_T5_T6_T7_T9_mT8_P12ihipStream_tbDpT10_ENKUlT_T0_E_clISt17integral_constantIbLb1EES1J_EEDaS1E_S1F_EUlS1E_E_NS1_11comp_targetILNS1_3genE0ELNS1_11target_archE4294967295ELNS1_3gpuE0ELNS1_3repE0EEENS1_30default_config_static_selectorELNS0_4arch9wavefront6targetE0EEEvT1_.uses_vcc, 0
	.set _ZN7rocprim17ROCPRIM_400000_NS6detail17trampoline_kernelINS0_14default_configENS1_25partition_config_selectorILNS1_17partition_subalgoE6EN6thrust23THRUST_200600_302600_NS5tupleIjjNS7_9null_typeES9_S9_S9_S9_S9_S9_S9_EENS0_10empty_typeEbEEZZNS1_14partition_implILS5_6ELb0ES3_mNS7_12zip_iteratorINS8_INS7_6detail15normal_iteratorINS7_10device_ptrIjEEEESJ_S9_S9_S9_S9_S9_S9_S9_S9_EEEEPSB_SM_NS0_5tupleIJNSE_INS8_ISJ_NS7_16discard_iteratorINS7_11use_defaultEEES9_S9_S9_S9_S9_S9_S9_S9_EEEESB_EEENSN_IJSM_SM_EEESB_PlJNSF_9not_fun_tINSF_14equal_to_valueISA_EEEEEEE10hipError_tPvRmT3_T4_T5_T6_T7_T9_mT8_P12ihipStream_tbDpT10_ENKUlT_T0_E_clISt17integral_constantIbLb1EES1J_EEDaS1E_S1F_EUlS1E_E_NS1_11comp_targetILNS1_3genE0ELNS1_11target_archE4294967295ELNS1_3gpuE0ELNS1_3repE0EEENS1_30default_config_static_selectorELNS0_4arch9wavefront6targetE0EEEvT1_.uses_flat_scratch, 0
	.set _ZN7rocprim17ROCPRIM_400000_NS6detail17trampoline_kernelINS0_14default_configENS1_25partition_config_selectorILNS1_17partition_subalgoE6EN6thrust23THRUST_200600_302600_NS5tupleIjjNS7_9null_typeES9_S9_S9_S9_S9_S9_S9_EENS0_10empty_typeEbEEZZNS1_14partition_implILS5_6ELb0ES3_mNS7_12zip_iteratorINS8_INS7_6detail15normal_iteratorINS7_10device_ptrIjEEEESJ_S9_S9_S9_S9_S9_S9_S9_S9_EEEEPSB_SM_NS0_5tupleIJNSE_INS8_ISJ_NS7_16discard_iteratorINS7_11use_defaultEEES9_S9_S9_S9_S9_S9_S9_S9_EEEESB_EEENSN_IJSM_SM_EEESB_PlJNSF_9not_fun_tINSF_14equal_to_valueISA_EEEEEEE10hipError_tPvRmT3_T4_T5_T6_T7_T9_mT8_P12ihipStream_tbDpT10_ENKUlT_T0_E_clISt17integral_constantIbLb1EES1J_EEDaS1E_S1F_EUlS1E_E_NS1_11comp_targetILNS1_3genE0ELNS1_11target_archE4294967295ELNS1_3gpuE0ELNS1_3repE0EEENS1_30default_config_static_selectorELNS0_4arch9wavefront6targetE0EEEvT1_.has_dyn_sized_stack, 0
	.set _ZN7rocprim17ROCPRIM_400000_NS6detail17trampoline_kernelINS0_14default_configENS1_25partition_config_selectorILNS1_17partition_subalgoE6EN6thrust23THRUST_200600_302600_NS5tupleIjjNS7_9null_typeES9_S9_S9_S9_S9_S9_S9_EENS0_10empty_typeEbEEZZNS1_14partition_implILS5_6ELb0ES3_mNS7_12zip_iteratorINS8_INS7_6detail15normal_iteratorINS7_10device_ptrIjEEEESJ_S9_S9_S9_S9_S9_S9_S9_S9_EEEEPSB_SM_NS0_5tupleIJNSE_INS8_ISJ_NS7_16discard_iteratorINS7_11use_defaultEEES9_S9_S9_S9_S9_S9_S9_S9_EEEESB_EEENSN_IJSM_SM_EEESB_PlJNSF_9not_fun_tINSF_14equal_to_valueISA_EEEEEEE10hipError_tPvRmT3_T4_T5_T6_T7_T9_mT8_P12ihipStream_tbDpT10_ENKUlT_T0_E_clISt17integral_constantIbLb1EES1J_EEDaS1E_S1F_EUlS1E_E_NS1_11comp_targetILNS1_3genE0ELNS1_11target_archE4294967295ELNS1_3gpuE0ELNS1_3repE0EEENS1_30default_config_static_selectorELNS0_4arch9wavefront6targetE0EEEvT1_.has_recursion, 0
	.set _ZN7rocprim17ROCPRIM_400000_NS6detail17trampoline_kernelINS0_14default_configENS1_25partition_config_selectorILNS1_17partition_subalgoE6EN6thrust23THRUST_200600_302600_NS5tupleIjjNS7_9null_typeES9_S9_S9_S9_S9_S9_S9_EENS0_10empty_typeEbEEZZNS1_14partition_implILS5_6ELb0ES3_mNS7_12zip_iteratorINS8_INS7_6detail15normal_iteratorINS7_10device_ptrIjEEEESJ_S9_S9_S9_S9_S9_S9_S9_S9_EEEEPSB_SM_NS0_5tupleIJNSE_INS8_ISJ_NS7_16discard_iteratorINS7_11use_defaultEEES9_S9_S9_S9_S9_S9_S9_S9_EEEESB_EEENSN_IJSM_SM_EEESB_PlJNSF_9not_fun_tINSF_14equal_to_valueISA_EEEEEEE10hipError_tPvRmT3_T4_T5_T6_T7_T9_mT8_P12ihipStream_tbDpT10_ENKUlT_T0_E_clISt17integral_constantIbLb1EES1J_EEDaS1E_S1F_EUlS1E_E_NS1_11comp_targetILNS1_3genE0ELNS1_11target_archE4294967295ELNS1_3gpuE0ELNS1_3repE0EEENS1_30default_config_static_selectorELNS0_4arch9wavefront6targetE0EEEvT1_.has_indirect_call, 0
	.section	.AMDGPU.csdata,"",@progbits
; Kernel info:
; codeLenInByte = 0
; TotalNumSgprs: 0
; NumVgprs: 0
; ScratchSize: 0
; MemoryBound: 0
; FloatMode: 240
; IeeeMode: 1
; LDSByteSize: 0 bytes/workgroup (compile time only)
; SGPRBlocks: 0
; VGPRBlocks: 0
; NumSGPRsForWavesPerEU: 1
; NumVGPRsForWavesPerEU: 1
; Occupancy: 16
; WaveLimiterHint : 0
; COMPUTE_PGM_RSRC2:SCRATCH_EN: 0
; COMPUTE_PGM_RSRC2:USER_SGPR: 2
; COMPUTE_PGM_RSRC2:TRAP_HANDLER: 0
; COMPUTE_PGM_RSRC2:TGID_X_EN: 1
; COMPUTE_PGM_RSRC2:TGID_Y_EN: 0
; COMPUTE_PGM_RSRC2:TGID_Z_EN: 0
; COMPUTE_PGM_RSRC2:TIDIG_COMP_CNT: 0
	.section	.text._ZN7rocprim17ROCPRIM_400000_NS6detail17trampoline_kernelINS0_14default_configENS1_25partition_config_selectorILNS1_17partition_subalgoE6EN6thrust23THRUST_200600_302600_NS5tupleIjjNS7_9null_typeES9_S9_S9_S9_S9_S9_S9_EENS0_10empty_typeEbEEZZNS1_14partition_implILS5_6ELb0ES3_mNS7_12zip_iteratorINS8_INS7_6detail15normal_iteratorINS7_10device_ptrIjEEEESJ_S9_S9_S9_S9_S9_S9_S9_S9_EEEEPSB_SM_NS0_5tupleIJNSE_INS8_ISJ_NS7_16discard_iteratorINS7_11use_defaultEEES9_S9_S9_S9_S9_S9_S9_S9_EEEESB_EEENSN_IJSM_SM_EEESB_PlJNSF_9not_fun_tINSF_14equal_to_valueISA_EEEEEEE10hipError_tPvRmT3_T4_T5_T6_T7_T9_mT8_P12ihipStream_tbDpT10_ENKUlT_T0_E_clISt17integral_constantIbLb1EES1J_EEDaS1E_S1F_EUlS1E_E_NS1_11comp_targetILNS1_3genE5ELNS1_11target_archE942ELNS1_3gpuE9ELNS1_3repE0EEENS1_30default_config_static_selectorELNS0_4arch9wavefront6targetE0EEEvT1_,"axG",@progbits,_ZN7rocprim17ROCPRIM_400000_NS6detail17trampoline_kernelINS0_14default_configENS1_25partition_config_selectorILNS1_17partition_subalgoE6EN6thrust23THRUST_200600_302600_NS5tupleIjjNS7_9null_typeES9_S9_S9_S9_S9_S9_S9_EENS0_10empty_typeEbEEZZNS1_14partition_implILS5_6ELb0ES3_mNS7_12zip_iteratorINS8_INS7_6detail15normal_iteratorINS7_10device_ptrIjEEEESJ_S9_S9_S9_S9_S9_S9_S9_S9_EEEEPSB_SM_NS0_5tupleIJNSE_INS8_ISJ_NS7_16discard_iteratorINS7_11use_defaultEEES9_S9_S9_S9_S9_S9_S9_S9_EEEESB_EEENSN_IJSM_SM_EEESB_PlJNSF_9not_fun_tINSF_14equal_to_valueISA_EEEEEEE10hipError_tPvRmT3_T4_T5_T6_T7_T9_mT8_P12ihipStream_tbDpT10_ENKUlT_T0_E_clISt17integral_constantIbLb1EES1J_EEDaS1E_S1F_EUlS1E_E_NS1_11comp_targetILNS1_3genE5ELNS1_11target_archE942ELNS1_3gpuE9ELNS1_3repE0EEENS1_30default_config_static_selectorELNS0_4arch9wavefront6targetE0EEEvT1_,comdat
	.protected	_ZN7rocprim17ROCPRIM_400000_NS6detail17trampoline_kernelINS0_14default_configENS1_25partition_config_selectorILNS1_17partition_subalgoE6EN6thrust23THRUST_200600_302600_NS5tupleIjjNS7_9null_typeES9_S9_S9_S9_S9_S9_S9_EENS0_10empty_typeEbEEZZNS1_14partition_implILS5_6ELb0ES3_mNS7_12zip_iteratorINS8_INS7_6detail15normal_iteratorINS7_10device_ptrIjEEEESJ_S9_S9_S9_S9_S9_S9_S9_S9_EEEEPSB_SM_NS0_5tupleIJNSE_INS8_ISJ_NS7_16discard_iteratorINS7_11use_defaultEEES9_S9_S9_S9_S9_S9_S9_S9_EEEESB_EEENSN_IJSM_SM_EEESB_PlJNSF_9not_fun_tINSF_14equal_to_valueISA_EEEEEEE10hipError_tPvRmT3_T4_T5_T6_T7_T9_mT8_P12ihipStream_tbDpT10_ENKUlT_T0_E_clISt17integral_constantIbLb1EES1J_EEDaS1E_S1F_EUlS1E_E_NS1_11comp_targetILNS1_3genE5ELNS1_11target_archE942ELNS1_3gpuE9ELNS1_3repE0EEENS1_30default_config_static_selectorELNS0_4arch9wavefront6targetE0EEEvT1_ ; -- Begin function _ZN7rocprim17ROCPRIM_400000_NS6detail17trampoline_kernelINS0_14default_configENS1_25partition_config_selectorILNS1_17partition_subalgoE6EN6thrust23THRUST_200600_302600_NS5tupleIjjNS7_9null_typeES9_S9_S9_S9_S9_S9_S9_EENS0_10empty_typeEbEEZZNS1_14partition_implILS5_6ELb0ES3_mNS7_12zip_iteratorINS8_INS7_6detail15normal_iteratorINS7_10device_ptrIjEEEESJ_S9_S9_S9_S9_S9_S9_S9_S9_EEEEPSB_SM_NS0_5tupleIJNSE_INS8_ISJ_NS7_16discard_iteratorINS7_11use_defaultEEES9_S9_S9_S9_S9_S9_S9_S9_EEEESB_EEENSN_IJSM_SM_EEESB_PlJNSF_9not_fun_tINSF_14equal_to_valueISA_EEEEEEE10hipError_tPvRmT3_T4_T5_T6_T7_T9_mT8_P12ihipStream_tbDpT10_ENKUlT_T0_E_clISt17integral_constantIbLb1EES1J_EEDaS1E_S1F_EUlS1E_E_NS1_11comp_targetILNS1_3genE5ELNS1_11target_archE942ELNS1_3gpuE9ELNS1_3repE0EEENS1_30default_config_static_selectorELNS0_4arch9wavefront6targetE0EEEvT1_
	.globl	_ZN7rocprim17ROCPRIM_400000_NS6detail17trampoline_kernelINS0_14default_configENS1_25partition_config_selectorILNS1_17partition_subalgoE6EN6thrust23THRUST_200600_302600_NS5tupleIjjNS7_9null_typeES9_S9_S9_S9_S9_S9_S9_EENS0_10empty_typeEbEEZZNS1_14partition_implILS5_6ELb0ES3_mNS7_12zip_iteratorINS8_INS7_6detail15normal_iteratorINS7_10device_ptrIjEEEESJ_S9_S9_S9_S9_S9_S9_S9_S9_EEEEPSB_SM_NS0_5tupleIJNSE_INS8_ISJ_NS7_16discard_iteratorINS7_11use_defaultEEES9_S9_S9_S9_S9_S9_S9_S9_EEEESB_EEENSN_IJSM_SM_EEESB_PlJNSF_9not_fun_tINSF_14equal_to_valueISA_EEEEEEE10hipError_tPvRmT3_T4_T5_T6_T7_T9_mT8_P12ihipStream_tbDpT10_ENKUlT_T0_E_clISt17integral_constantIbLb1EES1J_EEDaS1E_S1F_EUlS1E_E_NS1_11comp_targetILNS1_3genE5ELNS1_11target_archE942ELNS1_3gpuE9ELNS1_3repE0EEENS1_30default_config_static_selectorELNS0_4arch9wavefront6targetE0EEEvT1_
	.p2align	8
	.type	_ZN7rocprim17ROCPRIM_400000_NS6detail17trampoline_kernelINS0_14default_configENS1_25partition_config_selectorILNS1_17partition_subalgoE6EN6thrust23THRUST_200600_302600_NS5tupleIjjNS7_9null_typeES9_S9_S9_S9_S9_S9_S9_EENS0_10empty_typeEbEEZZNS1_14partition_implILS5_6ELb0ES3_mNS7_12zip_iteratorINS8_INS7_6detail15normal_iteratorINS7_10device_ptrIjEEEESJ_S9_S9_S9_S9_S9_S9_S9_S9_EEEEPSB_SM_NS0_5tupleIJNSE_INS8_ISJ_NS7_16discard_iteratorINS7_11use_defaultEEES9_S9_S9_S9_S9_S9_S9_S9_EEEESB_EEENSN_IJSM_SM_EEESB_PlJNSF_9not_fun_tINSF_14equal_to_valueISA_EEEEEEE10hipError_tPvRmT3_T4_T5_T6_T7_T9_mT8_P12ihipStream_tbDpT10_ENKUlT_T0_E_clISt17integral_constantIbLb1EES1J_EEDaS1E_S1F_EUlS1E_E_NS1_11comp_targetILNS1_3genE5ELNS1_11target_archE942ELNS1_3gpuE9ELNS1_3repE0EEENS1_30default_config_static_selectorELNS0_4arch9wavefront6targetE0EEEvT1_,@function
_ZN7rocprim17ROCPRIM_400000_NS6detail17trampoline_kernelINS0_14default_configENS1_25partition_config_selectorILNS1_17partition_subalgoE6EN6thrust23THRUST_200600_302600_NS5tupleIjjNS7_9null_typeES9_S9_S9_S9_S9_S9_S9_EENS0_10empty_typeEbEEZZNS1_14partition_implILS5_6ELb0ES3_mNS7_12zip_iteratorINS8_INS7_6detail15normal_iteratorINS7_10device_ptrIjEEEESJ_S9_S9_S9_S9_S9_S9_S9_S9_EEEEPSB_SM_NS0_5tupleIJNSE_INS8_ISJ_NS7_16discard_iteratorINS7_11use_defaultEEES9_S9_S9_S9_S9_S9_S9_S9_EEEESB_EEENSN_IJSM_SM_EEESB_PlJNSF_9not_fun_tINSF_14equal_to_valueISA_EEEEEEE10hipError_tPvRmT3_T4_T5_T6_T7_T9_mT8_P12ihipStream_tbDpT10_ENKUlT_T0_E_clISt17integral_constantIbLb1EES1J_EEDaS1E_S1F_EUlS1E_E_NS1_11comp_targetILNS1_3genE5ELNS1_11target_archE942ELNS1_3gpuE9ELNS1_3repE0EEENS1_30default_config_static_selectorELNS0_4arch9wavefront6targetE0EEEvT1_: ; @_ZN7rocprim17ROCPRIM_400000_NS6detail17trampoline_kernelINS0_14default_configENS1_25partition_config_selectorILNS1_17partition_subalgoE6EN6thrust23THRUST_200600_302600_NS5tupleIjjNS7_9null_typeES9_S9_S9_S9_S9_S9_S9_EENS0_10empty_typeEbEEZZNS1_14partition_implILS5_6ELb0ES3_mNS7_12zip_iteratorINS8_INS7_6detail15normal_iteratorINS7_10device_ptrIjEEEESJ_S9_S9_S9_S9_S9_S9_S9_S9_EEEEPSB_SM_NS0_5tupleIJNSE_INS8_ISJ_NS7_16discard_iteratorINS7_11use_defaultEEES9_S9_S9_S9_S9_S9_S9_S9_EEEESB_EEENSN_IJSM_SM_EEESB_PlJNSF_9not_fun_tINSF_14equal_to_valueISA_EEEEEEE10hipError_tPvRmT3_T4_T5_T6_T7_T9_mT8_P12ihipStream_tbDpT10_ENKUlT_T0_E_clISt17integral_constantIbLb1EES1J_EEDaS1E_S1F_EUlS1E_E_NS1_11comp_targetILNS1_3genE5ELNS1_11target_archE942ELNS1_3gpuE9ELNS1_3repE0EEENS1_30default_config_static_selectorELNS0_4arch9wavefront6targetE0EEEvT1_
; %bb.0:
	.section	.rodata,"a",@progbits
	.p2align	6, 0x0
	.amdhsa_kernel _ZN7rocprim17ROCPRIM_400000_NS6detail17trampoline_kernelINS0_14default_configENS1_25partition_config_selectorILNS1_17partition_subalgoE6EN6thrust23THRUST_200600_302600_NS5tupleIjjNS7_9null_typeES9_S9_S9_S9_S9_S9_S9_EENS0_10empty_typeEbEEZZNS1_14partition_implILS5_6ELb0ES3_mNS7_12zip_iteratorINS8_INS7_6detail15normal_iteratorINS7_10device_ptrIjEEEESJ_S9_S9_S9_S9_S9_S9_S9_S9_EEEEPSB_SM_NS0_5tupleIJNSE_INS8_ISJ_NS7_16discard_iteratorINS7_11use_defaultEEES9_S9_S9_S9_S9_S9_S9_S9_EEEESB_EEENSN_IJSM_SM_EEESB_PlJNSF_9not_fun_tINSF_14equal_to_valueISA_EEEEEEE10hipError_tPvRmT3_T4_T5_T6_T7_T9_mT8_P12ihipStream_tbDpT10_ENKUlT_T0_E_clISt17integral_constantIbLb1EES1J_EEDaS1E_S1F_EUlS1E_E_NS1_11comp_targetILNS1_3genE5ELNS1_11target_archE942ELNS1_3gpuE9ELNS1_3repE0EEENS1_30default_config_static_selectorELNS0_4arch9wavefront6targetE0EEEvT1_
		.amdhsa_group_segment_fixed_size 0
		.amdhsa_private_segment_fixed_size 0
		.amdhsa_kernarg_size 152
		.amdhsa_user_sgpr_count 2
		.amdhsa_user_sgpr_dispatch_ptr 0
		.amdhsa_user_sgpr_queue_ptr 0
		.amdhsa_user_sgpr_kernarg_segment_ptr 1
		.amdhsa_user_sgpr_dispatch_id 0
		.amdhsa_user_sgpr_private_segment_size 0
		.amdhsa_wavefront_size32 1
		.amdhsa_uses_dynamic_stack 0
		.amdhsa_enable_private_segment 0
		.amdhsa_system_sgpr_workgroup_id_x 1
		.amdhsa_system_sgpr_workgroup_id_y 0
		.amdhsa_system_sgpr_workgroup_id_z 0
		.amdhsa_system_sgpr_workgroup_info 0
		.amdhsa_system_vgpr_workitem_id 0
		.amdhsa_next_free_vgpr 1
		.amdhsa_next_free_sgpr 1
		.amdhsa_reserve_vcc 0
		.amdhsa_float_round_mode_32 0
		.amdhsa_float_round_mode_16_64 0
		.amdhsa_float_denorm_mode_32 3
		.amdhsa_float_denorm_mode_16_64 3
		.amdhsa_fp16_overflow 0
		.amdhsa_workgroup_processor_mode 1
		.amdhsa_memory_ordered 1
		.amdhsa_forward_progress 1
		.amdhsa_inst_pref_size 0
		.amdhsa_round_robin_scheduling 0
		.amdhsa_exception_fp_ieee_invalid_op 0
		.amdhsa_exception_fp_denorm_src 0
		.amdhsa_exception_fp_ieee_div_zero 0
		.amdhsa_exception_fp_ieee_overflow 0
		.amdhsa_exception_fp_ieee_underflow 0
		.amdhsa_exception_fp_ieee_inexact 0
		.amdhsa_exception_int_div_zero 0
	.end_amdhsa_kernel
	.section	.text._ZN7rocprim17ROCPRIM_400000_NS6detail17trampoline_kernelINS0_14default_configENS1_25partition_config_selectorILNS1_17partition_subalgoE6EN6thrust23THRUST_200600_302600_NS5tupleIjjNS7_9null_typeES9_S9_S9_S9_S9_S9_S9_EENS0_10empty_typeEbEEZZNS1_14partition_implILS5_6ELb0ES3_mNS7_12zip_iteratorINS8_INS7_6detail15normal_iteratorINS7_10device_ptrIjEEEESJ_S9_S9_S9_S9_S9_S9_S9_S9_EEEEPSB_SM_NS0_5tupleIJNSE_INS8_ISJ_NS7_16discard_iteratorINS7_11use_defaultEEES9_S9_S9_S9_S9_S9_S9_S9_EEEESB_EEENSN_IJSM_SM_EEESB_PlJNSF_9not_fun_tINSF_14equal_to_valueISA_EEEEEEE10hipError_tPvRmT3_T4_T5_T6_T7_T9_mT8_P12ihipStream_tbDpT10_ENKUlT_T0_E_clISt17integral_constantIbLb1EES1J_EEDaS1E_S1F_EUlS1E_E_NS1_11comp_targetILNS1_3genE5ELNS1_11target_archE942ELNS1_3gpuE9ELNS1_3repE0EEENS1_30default_config_static_selectorELNS0_4arch9wavefront6targetE0EEEvT1_,"axG",@progbits,_ZN7rocprim17ROCPRIM_400000_NS6detail17trampoline_kernelINS0_14default_configENS1_25partition_config_selectorILNS1_17partition_subalgoE6EN6thrust23THRUST_200600_302600_NS5tupleIjjNS7_9null_typeES9_S9_S9_S9_S9_S9_S9_EENS0_10empty_typeEbEEZZNS1_14partition_implILS5_6ELb0ES3_mNS7_12zip_iteratorINS8_INS7_6detail15normal_iteratorINS7_10device_ptrIjEEEESJ_S9_S9_S9_S9_S9_S9_S9_S9_EEEEPSB_SM_NS0_5tupleIJNSE_INS8_ISJ_NS7_16discard_iteratorINS7_11use_defaultEEES9_S9_S9_S9_S9_S9_S9_S9_EEEESB_EEENSN_IJSM_SM_EEESB_PlJNSF_9not_fun_tINSF_14equal_to_valueISA_EEEEEEE10hipError_tPvRmT3_T4_T5_T6_T7_T9_mT8_P12ihipStream_tbDpT10_ENKUlT_T0_E_clISt17integral_constantIbLb1EES1J_EEDaS1E_S1F_EUlS1E_E_NS1_11comp_targetILNS1_3genE5ELNS1_11target_archE942ELNS1_3gpuE9ELNS1_3repE0EEENS1_30default_config_static_selectorELNS0_4arch9wavefront6targetE0EEEvT1_,comdat
.Lfunc_end1926:
	.size	_ZN7rocprim17ROCPRIM_400000_NS6detail17trampoline_kernelINS0_14default_configENS1_25partition_config_selectorILNS1_17partition_subalgoE6EN6thrust23THRUST_200600_302600_NS5tupleIjjNS7_9null_typeES9_S9_S9_S9_S9_S9_S9_EENS0_10empty_typeEbEEZZNS1_14partition_implILS5_6ELb0ES3_mNS7_12zip_iteratorINS8_INS7_6detail15normal_iteratorINS7_10device_ptrIjEEEESJ_S9_S9_S9_S9_S9_S9_S9_S9_EEEEPSB_SM_NS0_5tupleIJNSE_INS8_ISJ_NS7_16discard_iteratorINS7_11use_defaultEEES9_S9_S9_S9_S9_S9_S9_S9_EEEESB_EEENSN_IJSM_SM_EEESB_PlJNSF_9not_fun_tINSF_14equal_to_valueISA_EEEEEEE10hipError_tPvRmT3_T4_T5_T6_T7_T9_mT8_P12ihipStream_tbDpT10_ENKUlT_T0_E_clISt17integral_constantIbLb1EES1J_EEDaS1E_S1F_EUlS1E_E_NS1_11comp_targetILNS1_3genE5ELNS1_11target_archE942ELNS1_3gpuE9ELNS1_3repE0EEENS1_30default_config_static_selectorELNS0_4arch9wavefront6targetE0EEEvT1_, .Lfunc_end1926-_ZN7rocprim17ROCPRIM_400000_NS6detail17trampoline_kernelINS0_14default_configENS1_25partition_config_selectorILNS1_17partition_subalgoE6EN6thrust23THRUST_200600_302600_NS5tupleIjjNS7_9null_typeES9_S9_S9_S9_S9_S9_S9_EENS0_10empty_typeEbEEZZNS1_14partition_implILS5_6ELb0ES3_mNS7_12zip_iteratorINS8_INS7_6detail15normal_iteratorINS7_10device_ptrIjEEEESJ_S9_S9_S9_S9_S9_S9_S9_S9_EEEEPSB_SM_NS0_5tupleIJNSE_INS8_ISJ_NS7_16discard_iteratorINS7_11use_defaultEEES9_S9_S9_S9_S9_S9_S9_S9_EEEESB_EEENSN_IJSM_SM_EEESB_PlJNSF_9not_fun_tINSF_14equal_to_valueISA_EEEEEEE10hipError_tPvRmT3_T4_T5_T6_T7_T9_mT8_P12ihipStream_tbDpT10_ENKUlT_T0_E_clISt17integral_constantIbLb1EES1J_EEDaS1E_S1F_EUlS1E_E_NS1_11comp_targetILNS1_3genE5ELNS1_11target_archE942ELNS1_3gpuE9ELNS1_3repE0EEENS1_30default_config_static_selectorELNS0_4arch9wavefront6targetE0EEEvT1_
                                        ; -- End function
	.set _ZN7rocprim17ROCPRIM_400000_NS6detail17trampoline_kernelINS0_14default_configENS1_25partition_config_selectorILNS1_17partition_subalgoE6EN6thrust23THRUST_200600_302600_NS5tupleIjjNS7_9null_typeES9_S9_S9_S9_S9_S9_S9_EENS0_10empty_typeEbEEZZNS1_14partition_implILS5_6ELb0ES3_mNS7_12zip_iteratorINS8_INS7_6detail15normal_iteratorINS7_10device_ptrIjEEEESJ_S9_S9_S9_S9_S9_S9_S9_S9_EEEEPSB_SM_NS0_5tupleIJNSE_INS8_ISJ_NS7_16discard_iteratorINS7_11use_defaultEEES9_S9_S9_S9_S9_S9_S9_S9_EEEESB_EEENSN_IJSM_SM_EEESB_PlJNSF_9not_fun_tINSF_14equal_to_valueISA_EEEEEEE10hipError_tPvRmT3_T4_T5_T6_T7_T9_mT8_P12ihipStream_tbDpT10_ENKUlT_T0_E_clISt17integral_constantIbLb1EES1J_EEDaS1E_S1F_EUlS1E_E_NS1_11comp_targetILNS1_3genE5ELNS1_11target_archE942ELNS1_3gpuE9ELNS1_3repE0EEENS1_30default_config_static_selectorELNS0_4arch9wavefront6targetE0EEEvT1_.num_vgpr, 0
	.set _ZN7rocprim17ROCPRIM_400000_NS6detail17trampoline_kernelINS0_14default_configENS1_25partition_config_selectorILNS1_17partition_subalgoE6EN6thrust23THRUST_200600_302600_NS5tupleIjjNS7_9null_typeES9_S9_S9_S9_S9_S9_S9_EENS0_10empty_typeEbEEZZNS1_14partition_implILS5_6ELb0ES3_mNS7_12zip_iteratorINS8_INS7_6detail15normal_iteratorINS7_10device_ptrIjEEEESJ_S9_S9_S9_S9_S9_S9_S9_S9_EEEEPSB_SM_NS0_5tupleIJNSE_INS8_ISJ_NS7_16discard_iteratorINS7_11use_defaultEEES9_S9_S9_S9_S9_S9_S9_S9_EEEESB_EEENSN_IJSM_SM_EEESB_PlJNSF_9not_fun_tINSF_14equal_to_valueISA_EEEEEEE10hipError_tPvRmT3_T4_T5_T6_T7_T9_mT8_P12ihipStream_tbDpT10_ENKUlT_T0_E_clISt17integral_constantIbLb1EES1J_EEDaS1E_S1F_EUlS1E_E_NS1_11comp_targetILNS1_3genE5ELNS1_11target_archE942ELNS1_3gpuE9ELNS1_3repE0EEENS1_30default_config_static_selectorELNS0_4arch9wavefront6targetE0EEEvT1_.num_agpr, 0
	.set _ZN7rocprim17ROCPRIM_400000_NS6detail17trampoline_kernelINS0_14default_configENS1_25partition_config_selectorILNS1_17partition_subalgoE6EN6thrust23THRUST_200600_302600_NS5tupleIjjNS7_9null_typeES9_S9_S9_S9_S9_S9_S9_EENS0_10empty_typeEbEEZZNS1_14partition_implILS5_6ELb0ES3_mNS7_12zip_iteratorINS8_INS7_6detail15normal_iteratorINS7_10device_ptrIjEEEESJ_S9_S9_S9_S9_S9_S9_S9_S9_EEEEPSB_SM_NS0_5tupleIJNSE_INS8_ISJ_NS7_16discard_iteratorINS7_11use_defaultEEES9_S9_S9_S9_S9_S9_S9_S9_EEEESB_EEENSN_IJSM_SM_EEESB_PlJNSF_9not_fun_tINSF_14equal_to_valueISA_EEEEEEE10hipError_tPvRmT3_T4_T5_T6_T7_T9_mT8_P12ihipStream_tbDpT10_ENKUlT_T0_E_clISt17integral_constantIbLb1EES1J_EEDaS1E_S1F_EUlS1E_E_NS1_11comp_targetILNS1_3genE5ELNS1_11target_archE942ELNS1_3gpuE9ELNS1_3repE0EEENS1_30default_config_static_selectorELNS0_4arch9wavefront6targetE0EEEvT1_.numbered_sgpr, 0
	.set _ZN7rocprim17ROCPRIM_400000_NS6detail17trampoline_kernelINS0_14default_configENS1_25partition_config_selectorILNS1_17partition_subalgoE6EN6thrust23THRUST_200600_302600_NS5tupleIjjNS7_9null_typeES9_S9_S9_S9_S9_S9_S9_EENS0_10empty_typeEbEEZZNS1_14partition_implILS5_6ELb0ES3_mNS7_12zip_iteratorINS8_INS7_6detail15normal_iteratorINS7_10device_ptrIjEEEESJ_S9_S9_S9_S9_S9_S9_S9_S9_EEEEPSB_SM_NS0_5tupleIJNSE_INS8_ISJ_NS7_16discard_iteratorINS7_11use_defaultEEES9_S9_S9_S9_S9_S9_S9_S9_EEEESB_EEENSN_IJSM_SM_EEESB_PlJNSF_9not_fun_tINSF_14equal_to_valueISA_EEEEEEE10hipError_tPvRmT3_T4_T5_T6_T7_T9_mT8_P12ihipStream_tbDpT10_ENKUlT_T0_E_clISt17integral_constantIbLb1EES1J_EEDaS1E_S1F_EUlS1E_E_NS1_11comp_targetILNS1_3genE5ELNS1_11target_archE942ELNS1_3gpuE9ELNS1_3repE0EEENS1_30default_config_static_selectorELNS0_4arch9wavefront6targetE0EEEvT1_.num_named_barrier, 0
	.set _ZN7rocprim17ROCPRIM_400000_NS6detail17trampoline_kernelINS0_14default_configENS1_25partition_config_selectorILNS1_17partition_subalgoE6EN6thrust23THRUST_200600_302600_NS5tupleIjjNS7_9null_typeES9_S9_S9_S9_S9_S9_S9_EENS0_10empty_typeEbEEZZNS1_14partition_implILS5_6ELb0ES3_mNS7_12zip_iteratorINS8_INS7_6detail15normal_iteratorINS7_10device_ptrIjEEEESJ_S9_S9_S9_S9_S9_S9_S9_S9_EEEEPSB_SM_NS0_5tupleIJNSE_INS8_ISJ_NS7_16discard_iteratorINS7_11use_defaultEEES9_S9_S9_S9_S9_S9_S9_S9_EEEESB_EEENSN_IJSM_SM_EEESB_PlJNSF_9not_fun_tINSF_14equal_to_valueISA_EEEEEEE10hipError_tPvRmT3_T4_T5_T6_T7_T9_mT8_P12ihipStream_tbDpT10_ENKUlT_T0_E_clISt17integral_constantIbLb1EES1J_EEDaS1E_S1F_EUlS1E_E_NS1_11comp_targetILNS1_3genE5ELNS1_11target_archE942ELNS1_3gpuE9ELNS1_3repE0EEENS1_30default_config_static_selectorELNS0_4arch9wavefront6targetE0EEEvT1_.private_seg_size, 0
	.set _ZN7rocprim17ROCPRIM_400000_NS6detail17trampoline_kernelINS0_14default_configENS1_25partition_config_selectorILNS1_17partition_subalgoE6EN6thrust23THRUST_200600_302600_NS5tupleIjjNS7_9null_typeES9_S9_S9_S9_S9_S9_S9_EENS0_10empty_typeEbEEZZNS1_14partition_implILS5_6ELb0ES3_mNS7_12zip_iteratorINS8_INS7_6detail15normal_iteratorINS7_10device_ptrIjEEEESJ_S9_S9_S9_S9_S9_S9_S9_S9_EEEEPSB_SM_NS0_5tupleIJNSE_INS8_ISJ_NS7_16discard_iteratorINS7_11use_defaultEEES9_S9_S9_S9_S9_S9_S9_S9_EEEESB_EEENSN_IJSM_SM_EEESB_PlJNSF_9not_fun_tINSF_14equal_to_valueISA_EEEEEEE10hipError_tPvRmT3_T4_T5_T6_T7_T9_mT8_P12ihipStream_tbDpT10_ENKUlT_T0_E_clISt17integral_constantIbLb1EES1J_EEDaS1E_S1F_EUlS1E_E_NS1_11comp_targetILNS1_3genE5ELNS1_11target_archE942ELNS1_3gpuE9ELNS1_3repE0EEENS1_30default_config_static_selectorELNS0_4arch9wavefront6targetE0EEEvT1_.uses_vcc, 0
	.set _ZN7rocprim17ROCPRIM_400000_NS6detail17trampoline_kernelINS0_14default_configENS1_25partition_config_selectorILNS1_17partition_subalgoE6EN6thrust23THRUST_200600_302600_NS5tupleIjjNS7_9null_typeES9_S9_S9_S9_S9_S9_S9_EENS0_10empty_typeEbEEZZNS1_14partition_implILS5_6ELb0ES3_mNS7_12zip_iteratorINS8_INS7_6detail15normal_iteratorINS7_10device_ptrIjEEEESJ_S9_S9_S9_S9_S9_S9_S9_S9_EEEEPSB_SM_NS0_5tupleIJNSE_INS8_ISJ_NS7_16discard_iteratorINS7_11use_defaultEEES9_S9_S9_S9_S9_S9_S9_S9_EEEESB_EEENSN_IJSM_SM_EEESB_PlJNSF_9not_fun_tINSF_14equal_to_valueISA_EEEEEEE10hipError_tPvRmT3_T4_T5_T6_T7_T9_mT8_P12ihipStream_tbDpT10_ENKUlT_T0_E_clISt17integral_constantIbLb1EES1J_EEDaS1E_S1F_EUlS1E_E_NS1_11comp_targetILNS1_3genE5ELNS1_11target_archE942ELNS1_3gpuE9ELNS1_3repE0EEENS1_30default_config_static_selectorELNS0_4arch9wavefront6targetE0EEEvT1_.uses_flat_scratch, 0
	.set _ZN7rocprim17ROCPRIM_400000_NS6detail17trampoline_kernelINS0_14default_configENS1_25partition_config_selectorILNS1_17partition_subalgoE6EN6thrust23THRUST_200600_302600_NS5tupleIjjNS7_9null_typeES9_S9_S9_S9_S9_S9_S9_EENS0_10empty_typeEbEEZZNS1_14partition_implILS5_6ELb0ES3_mNS7_12zip_iteratorINS8_INS7_6detail15normal_iteratorINS7_10device_ptrIjEEEESJ_S9_S9_S9_S9_S9_S9_S9_S9_EEEEPSB_SM_NS0_5tupleIJNSE_INS8_ISJ_NS7_16discard_iteratorINS7_11use_defaultEEES9_S9_S9_S9_S9_S9_S9_S9_EEEESB_EEENSN_IJSM_SM_EEESB_PlJNSF_9not_fun_tINSF_14equal_to_valueISA_EEEEEEE10hipError_tPvRmT3_T4_T5_T6_T7_T9_mT8_P12ihipStream_tbDpT10_ENKUlT_T0_E_clISt17integral_constantIbLb1EES1J_EEDaS1E_S1F_EUlS1E_E_NS1_11comp_targetILNS1_3genE5ELNS1_11target_archE942ELNS1_3gpuE9ELNS1_3repE0EEENS1_30default_config_static_selectorELNS0_4arch9wavefront6targetE0EEEvT1_.has_dyn_sized_stack, 0
	.set _ZN7rocprim17ROCPRIM_400000_NS6detail17trampoline_kernelINS0_14default_configENS1_25partition_config_selectorILNS1_17partition_subalgoE6EN6thrust23THRUST_200600_302600_NS5tupleIjjNS7_9null_typeES9_S9_S9_S9_S9_S9_S9_EENS0_10empty_typeEbEEZZNS1_14partition_implILS5_6ELb0ES3_mNS7_12zip_iteratorINS8_INS7_6detail15normal_iteratorINS7_10device_ptrIjEEEESJ_S9_S9_S9_S9_S9_S9_S9_S9_EEEEPSB_SM_NS0_5tupleIJNSE_INS8_ISJ_NS7_16discard_iteratorINS7_11use_defaultEEES9_S9_S9_S9_S9_S9_S9_S9_EEEESB_EEENSN_IJSM_SM_EEESB_PlJNSF_9not_fun_tINSF_14equal_to_valueISA_EEEEEEE10hipError_tPvRmT3_T4_T5_T6_T7_T9_mT8_P12ihipStream_tbDpT10_ENKUlT_T0_E_clISt17integral_constantIbLb1EES1J_EEDaS1E_S1F_EUlS1E_E_NS1_11comp_targetILNS1_3genE5ELNS1_11target_archE942ELNS1_3gpuE9ELNS1_3repE0EEENS1_30default_config_static_selectorELNS0_4arch9wavefront6targetE0EEEvT1_.has_recursion, 0
	.set _ZN7rocprim17ROCPRIM_400000_NS6detail17trampoline_kernelINS0_14default_configENS1_25partition_config_selectorILNS1_17partition_subalgoE6EN6thrust23THRUST_200600_302600_NS5tupleIjjNS7_9null_typeES9_S9_S9_S9_S9_S9_S9_EENS0_10empty_typeEbEEZZNS1_14partition_implILS5_6ELb0ES3_mNS7_12zip_iteratorINS8_INS7_6detail15normal_iteratorINS7_10device_ptrIjEEEESJ_S9_S9_S9_S9_S9_S9_S9_S9_EEEEPSB_SM_NS0_5tupleIJNSE_INS8_ISJ_NS7_16discard_iteratorINS7_11use_defaultEEES9_S9_S9_S9_S9_S9_S9_S9_EEEESB_EEENSN_IJSM_SM_EEESB_PlJNSF_9not_fun_tINSF_14equal_to_valueISA_EEEEEEE10hipError_tPvRmT3_T4_T5_T6_T7_T9_mT8_P12ihipStream_tbDpT10_ENKUlT_T0_E_clISt17integral_constantIbLb1EES1J_EEDaS1E_S1F_EUlS1E_E_NS1_11comp_targetILNS1_3genE5ELNS1_11target_archE942ELNS1_3gpuE9ELNS1_3repE0EEENS1_30default_config_static_selectorELNS0_4arch9wavefront6targetE0EEEvT1_.has_indirect_call, 0
	.section	.AMDGPU.csdata,"",@progbits
; Kernel info:
; codeLenInByte = 0
; TotalNumSgprs: 0
; NumVgprs: 0
; ScratchSize: 0
; MemoryBound: 0
; FloatMode: 240
; IeeeMode: 1
; LDSByteSize: 0 bytes/workgroup (compile time only)
; SGPRBlocks: 0
; VGPRBlocks: 0
; NumSGPRsForWavesPerEU: 1
; NumVGPRsForWavesPerEU: 1
; Occupancy: 16
; WaveLimiterHint : 0
; COMPUTE_PGM_RSRC2:SCRATCH_EN: 0
; COMPUTE_PGM_RSRC2:USER_SGPR: 2
; COMPUTE_PGM_RSRC2:TRAP_HANDLER: 0
; COMPUTE_PGM_RSRC2:TGID_X_EN: 1
; COMPUTE_PGM_RSRC2:TGID_Y_EN: 0
; COMPUTE_PGM_RSRC2:TGID_Z_EN: 0
; COMPUTE_PGM_RSRC2:TIDIG_COMP_CNT: 0
	.section	.text._ZN7rocprim17ROCPRIM_400000_NS6detail17trampoline_kernelINS0_14default_configENS1_25partition_config_selectorILNS1_17partition_subalgoE6EN6thrust23THRUST_200600_302600_NS5tupleIjjNS7_9null_typeES9_S9_S9_S9_S9_S9_S9_EENS0_10empty_typeEbEEZZNS1_14partition_implILS5_6ELb0ES3_mNS7_12zip_iteratorINS8_INS7_6detail15normal_iteratorINS7_10device_ptrIjEEEESJ_S9_S9_S9_S9_S9_S9_S9_S9_EEEEPSB_SM_NS0_5tupleIJNSE_INS8_ISJ_NS7_16discard_iteratorINS7_11use_defaultEEES9_S9_S9_S9_S9_S9_S9_S9_EEEESB_EEENSN_IJSM_SM_EEESB_PlJNSF_9not_fun_tINSF_14equal_to_valueISA_EEEEEEE10hipError_tPvRmT3_T4_T5_T6_T7_T9_mT8_P12ihipStream_tbDpT10_ENKUlT_T0_E_clISt17integral_constantIbLb1EES1J_EEDaS1E_S1F_EUlS1E_E_NS1_11comp_targetILNS1_3genE4ELNS1_11target_archE910ELNS1_3gpuE8ELNS1_3repE0EEENS1_30default_config_static_selectorELNS0_4arch9wavefront6targetE0EEEvT1_,"axG",@progbits,_ZN7rocprim17ROCPRIM_400000_NS6detail17trampoline_kernelINS0_14default_configENS1_25partition_config_selectorILNS1_17partition_subalgoE6EN6thrust23THRUST_200600_302600_NS5tupleIjjNS7_9null_typeES9_S9_S9_S9_S9_S9_S9_EENS0_10empty_typeEbEEZZNS1_14partition_implILS5_6ELb0ES3_mNS7_12zip_iteratorINS8_INS7_6detail15normal_iteratorINS7_10device_ptrIjEEEESJ_S9_S9_S9_S9_S9_S9_S9_S9_EEEEPSB_SM_NS0_5tupleIJNSE_INS8_ISJ_NS7_16discard_iteratorINS7_11use_defaultEEES9_S9_S9_S9_S9_S9_S9_S9_EEEESB_EEENSN_IJSM_SM_EEESB_PlJNSF_9not_fun_tINSF_14equal_to_valueISA_EEEEEEE10hipError_tPvRmT3_T4_T5_T6_T7_T9_mT8_P12ihipStream_tbDpT10_ENKUlT_T0_E_clISt17integral_constantIbLb1EES1J_EEDaS1E_S1F_EUlS1E_E_NS1_11comp_targetILNS1_3genE4ELNS1_11target_archE910ELNS1_3gpuE8ELNS1_3repE0EEENS1_30default_config_static_selectorELNS0_4arch9wavefront6targetE0EEEvT1_,comdat
	.protected	_ZN7rocprim17ROCPRIM_400000_NS6detail17trampoline_kernelINS0_14default_configENS1_25partition_config_selectorILNS1_17partition_subalgoE6EN6thrust23THRUST_200600_302600_NS5tupleIjjNS7_9null_typeES9_S9_S9_S9_S9_S9_S9_EENS0_10empty_typeEbEEZZNS1_14partition_implILS5_6ELb0ES3_mNS7_12zip_iteratorINS8_INS7_6detail15normal_iteratorINS7_10device_ptrIjEEEESJ_S9_S9_S9_S9_S9_S9_S9_S9_EEEEPSB_SM_NS0_5tupleIJNSE_INS8_ISJ_NS7_16discard_iteratorINS7_11use_defaultEEES9_S9_S9_S9_S9_S9_S9_S9_EEEESB_EEENSN_IJSM_SM_EEESB_PlJNSF_9not_fun_tINSF_14equal_to_valueISA_EEEEEEE10hipError_tPvRmT3_T4_T5_T6_T7_T9_mT8_P12ihipStream_tbDpT10_ENKUlT_T0_E_clISt17integral_constantIbLb1EES1J_EEDaS1E_S1F_EUlS1E_E_NS1_11comp_targetILNS1_3genE4ELNS1_11target_archE910ELNS1_3gpuE8ELNS1_3repE0EEENS1_30default_config_static_selectorELNS0_4arch9wavefront6targetE0EEEvT1_ ; -- Begin function _ZN7rocprim17ROCPRIM_400000_NS6detail17trampoline_kernelINS0_14default_configENS1_25partition_config_selectorILNS1_17partition_subalgoE6EN6thrust23THRUST_200600_302600_NS5tupleIjjNS7_9null_typeES9_S9_S9_S9_S9_S9_S9_EENS0_10empty_typeEbEEZZNS1_14partition_implILS5_6ELb0ES3_mNS7_12zip_iteratorINS8_INS7_6detail15normal_iteratorINS7_10device_ptrIjEEEESJ_S9_S9_S9_S9_S9_S9_S9_S9_EEEEPSB_SM_NS0_5tupleIJNSE_INS8_ISJ_NS7_16discard_iteratorINS7_11use_defaultEEES9_S9_S9_S9_S9_S9_S9_S9_EEEESB_EEENSN_IJSM_SM_EEESB_PlJNSF_9not_fun_tINSF_14equal_to_valueISA_EEEEEEE10hipError_tPvRmT3_T4_T5_T6_T7_T9_mT8_P12ihipStream_tbDpT10_ENKUlT_T0_E_clISt17integral_constantIbLb1EES1J_EEDaS1E_S1F_EUlS1E_E_NS1_11comp_targetILNS1_3genE4ELNS1_11target_archE910ELNS1_3gpuE8ELNS1_3repE0EEENS1_30default_config_static_selectorELNS0_4arch9wavefront6targetE0EEEvT1_
	.globl	_ZN7rocprim17ROCPRIM_400000_NS6detail17trampoline_kernelINS0_14default_configENS1_25partition_config_selectorILNS1_17partition_subalgoE6EN6thrust23THRUST_200600_302600_NS5tupleIjjNS7_9null_typeES9_S9_S9_S9_S9_S9_S9_EENS0_10empty_typeEbEEZZNS1_14partition_implILS5_6ELb0ES3_mNS7_12zip_iteratorINS8_INS7_6detail15normal_iteratorINS7_10device_ptrIjEEEESJ_S9_S9_S9_S9_S9_S9_S9_S9_EEEEPSB_SM_NS0_5tupleIJNSE_INS8_ISJ_NS7_16discard_iteratorINS7_11use_defaultEEES9_S9_S9_S9_S9_S9_S9_S9_EEEESB_EEENSN_IJSM_SM_EEESB_PlJNSF_9not_fun_tINSF_14equal_to_valueISA_EEEEEEE10hipError_tPvRmT3_T4_T5_T6_T7_T9_mT8_P12ihipStream_tbDpT10_ENKUlT_T0_E_clISt17integral_constantIbLb1EES1J_EEDaS1E_S1F_EUlS1E_E_NS1_11comp_targetILNS1_3genE4ELNS1_11target_archE910ELNS1_3gpuE8ELNS1_3repE0EEENS1_30default_config_static_selectorELNS0_4arch9wavefront6targetE0EEEvT1_
	.p2align	8
	.type	_ZN7rocprim17ROCPRIM_400000_NS6detail17trampoline_kernelINS0_14default_configENS1_25partition_config_selectorILNS1_17partition_subalgoE6EN6thrust23THRUST_200600_302600_NS5tupleIjjNS7_9null_typeES9_S9_S9_S9_S9_S9_S9_EENS0_10empty_typeEbEEZZNS1_14partition_implILS5_6ELb0ES3_mNS7_12zip_iteratorINS8_INS7_6detail15normal_iteratorINS7_10device_ptrIjEEEESJ_S9_S9_S9_S9_S9_S9_S9_S9_EEEEPSB_SM_NS0_5tupleIJNSE_INS8_ISJ_NS7_16discard_iteratorINS7_11use_defaultEEES9_S9_S9_S9_S9_S9_S9_S9_EEEESB_EEENSN_IJSM_SM_EEESB_PlJNSF_9not_fun_tINSF_14equal_to_valueISA_EEEEEEE10hipError_tPvRmT3_T4_T5_T6_T7_T9_mT8_P12ihipStream_tbDpT10_ENKUlT_T0_E_clISt17integral_constantIbLb1EES1J_EEDaS1E_S1F_EUlS1E_E_NS1_11comp_targetILNS1_3genE4ELNS1_11target_archE910ELNS1_3gpuE8ELNS1_3repE0EEENS1_30default_config_static_selectorELNS0_4arch9wavefront6targetE0EEEvT1_,@function
_ZN7rocprim17ROCPRIM_400000_NS6detail17trampoline_kernelINS0_14default_configENS1_25partition_config_selectorILNS1_17partition_subalgoE6EN6thrust23THRUST_200600_302600_NS5tupleIjjNS7_9null_typeES9_S9_S9_S9_S9_S9_S9_EENS0_10empty_typeEbEEZZNS1_14partition_implILS5_6ELb0ES3_mNS7_12zip_iteratorINS8_INS7_6detail15normal_iteratorINS7_10device_ptrIjEEEESJ_S9_S9_S9_S9_S9_S9_S9_S9_EEEEPSB_SM_NS0_5tupleIJNSE_INS8_ISJ_NS7_16discard_iteratorINS7_11use_defaultEEES9_S9_S9_S9_S9_S9_S9_S9_EEEESB_EEENSN_IJSM_SM_EEESB_PlJNSF_9not_fun_tINSF_14equal_to_valueISA_EEEEEEE10hipError_tPvRmT3_T4_T5_T6_T7_T9_mT8_P12ihipStream_tbDpT10_ENKUlT_T0_E_clISt17integral_constantIbLb1EES1J_EEDaS1E_S1F_EUlS1E_E_NS1_11comp_targetILNS1_3genE4ELNS1_11target_archE910ELNS1_3gpuE8ELNS1_3repE0EEENS1_30default_config_static_selectorELNS0_4arch9wavefront6targetE0EEEvT1_: ; @_ZN7rocprim17ROCPRIM_400000_NS6detail17trampoline_kernelINS0_14default_configENS1_25partition_config_selectorILNS1_17partition_subalgoE6EN6thrust23THRUST_200600_302600_NS5tupleIjjNS7_9null_typeES9_S9_S9_S9_S9_S9_S9_EENS0_10empty_typeEbEEZZNS1_14partition_implILS5_6ELb0ES3_mNS7_12zip_iteratorINS8_INS7_6detail15normal_iteratorINS7_10device_ptrIjEEEESJ_S9_S9_S9_S9_S9_S9_S9_S9_EEEEPSB_SM_NS0_5tupleIJNSE_INS8_ISJ_NS7_16discard_iteratorINS7_11use_defaultEEES9_S9_S9_S9_S9_S9_S9_S9_EEEESB_EEENSN_IJSM_SM_EEESB_PlJNSF_9not_fun_tINSF_14equal_to_valueISA_EEEEEEE10hipError_tPvRmT3_T4_T5_T6_T7_T9_mT8_P12ihipStream_tbDpT10_ENKUlT_T0_E_clISt17integral_constantIbLb1EES1J_EEDaS1E_S1F_EUlS1E_E_NS1_11comp_targetILNS1_3genE4ELNS1_11target_archE910ELNS1_3gpuE8ELNS1_3repE0EEENS1_30default_config_static_selectorELNS0_4arch9wavefront6targetE0EEEvT1_
; %bb.0:
	.section	.rodata,"a",@progbits
	.p2align	6, 0x0
	.amdhsa_kernel _ZN7rocprim17ROCPRIM_400000_NS6detail17trampoline_kernelINS0_14default_configENS1_25partition_config_selectorILNS1_17partition_subalgoE6EN6thrust23THRUST_200600_302600_NS5tupleIjjNS7_9null_typeES9_S9_S9_S9_S9_S9_S9_EENS0_10empty_typeEbEEZZNS1_14partition_implILS5_6ELb0ES3_mNS7_12zip_iteratorINS8_INS7_6detail15normal_iteratorINS7_10device_ptrIjEEEESJ_S9_S9_S9_S9_S9_S9_S9_S9_EEEEPSB_SM_NS0_5tupleIJNSE_INS8_ISJ_NS7_16discard_iteratorINS7_11use_defaultEEES9_S9_S9_S9_S9_S9_S9_S9_EEEESB_EEENSN_IJSM_SM_EEESB_PlJNSF_9not_fun_tINSF_14equal_to_valueISA_EEEEEEE10hipError_tPvRmT3_T4_T5_T6_T7_T9_mT8_P12ihipStream_tbDpT10_ENKUlT_T0_E_clISt17integral_constantIbLb1EES1J_EEDaS1E_S1F_EUlS1E_E_NS1_11comp_targetILNS1_3genE4ELNS1_11target_archE910ELNS1_3gpuE8ELNS1_3repE0EEENS1_30default_config_static_selectorELNS0_4arch9wavefront6targetE0EEEvT1_
		.amdhsa_group_segment_fixed_size 0
		.amdhsa_private_segment_fixed_size 0
		.amdhsa_kernarg_size 152
		.amdhsa_user_sgpr_count 2
		.amdhsa_user_sgpr_dispatch_ptr 0
		.amdhsa_user_sgpr_queue_ptr 0
		.amdhsa_user_sgpr_kernarg_segment_ptr 1
		.amdhsa_user_sgpr_dispatch_id 0
		.amdhsa_user_sgpr_private_segment_size 0
		.amdhsa_wavefront_size32 1
		.amdhsa_uses_dynamic_stack 0
		.amdhsa_enable_private_segment 0
		.amdhsa_system_sgpr_workgroup_id_x 1
		.amdhsa_system_sgpr_workgroup_id_y 0
		.amdhsa_system_sgpr_workgroup_id_z 0
		.amdhsa_system_sgpr_workgroup_info 0
		.amdhsa_system_vgpr_workitem_id 0
		.amdhsa_next_free_vgpr 1
		.amdhsa_next_free_sgpr 1
		.amdhsa_reserve_vcc 0
		.amdhsa_float_round_mode_32 0
		.amdhsa_float_round_mode_16_64 0
		.amdhsa_float_denorm_mode_32 3
		.amdhsa_float_denorm_mode_16_64 3
		.amdhsa_fp16_overflow 0
		.amdhsa_workgroup_processor_mode 1
		.amdhsa_memory_ordered 1
		.amdhsa_forward_progress 1
		.amdhsa_inst_pref_size 0
		.amdhsa_round_robin_scheduling 0
		.amdhsa_exception_fp_ieee_invalid_op 0
		.amdhsa_exception_fp_denorm_src 0
		.amdhsa_exception_fp_ieee_div_zero 0
		.amdhsa_exception_fp_ieee_overflow 0
		.amdhsa_exception_fp_ieee_underflow 0
		.amdhsa_exception_fp_ieee_inexact 0
		.amdhsa_exception_int_div_zero 0
	.end_amdhsa_kernel
	.section	.text._ZN7rocprim17ROCPRIM_400000_NS6detail17trampoline_kernelINS0_14default_configENS1_25partition_config_selectorILNS1_17partition_subalgoE6EN6thrust23THRUST_200600_302600_NS5tupleIjjNS7_9null_typeES9_S9_S9_S9_S9_S9_S9_EENS0_10empty_typeEbEEZZNS1_14partition_implILS5_6ELb0ES3_mNS7_12zip_iteratorINS8_INS7_6detail15normal_iteratorINS7_10device_ptrIjEEEESJ_S9_S9_S9_S9_S9_S9_S9_S9_EEEEPSB_SM_NS0_5tupleIJNSE_INS8_ISJ_NS7_16discard_iteratorINS7_11use_defaultEEES9_S9_S9_S9_S9_S9_S9_S9_EEEESB_EEENSN_IJSM_SM_EEESB_PlJNSF_9not_fun_tINSF_14equal_to_valueISA_EEEEEEE10hipError_tPvRmT3_T4_T5_T6_T7_T9_mT8_P12ihipStream_tbDpT10_ENKUlT_T0_E_clISt17integral_constantIbLb1EES1J_EEDaS1E_S1F_EUlS1E_E_NS1_11comp_targetILNS1_3genE4ELNS1_11target_archE910ELNS1_3gpuE8ELNS1_3repE0EEENS1_30default_config_static_selectorELNS0_4arch9wavefront6targetE0EEEvT1_,"axG",@progbits,_ZN7rocprim17ROCPRIM_400000_NS6detail17trampoline_kernelINS0_14default_configENS1_25partition_config_selectorILNS1_17partition_subalgoE6EN6thrust23THRUST_200600_302600_NS5tupleIjjNS7_9null_typeES9_S9_S9_S9_S9_S9_S9_EENS0_10empty_typeEbEEZZNS1_14partition_implILS5_6ELb0ES3_mNS7_12zip_iteratorINS8_INS7_6detail15normal_iteratorINS7_10device_ptrIjEEEESJ_S9_S9_S9_S9_S9_S9_S9_S9_EEEEPSB_SM_NS0_5tupleIJNSE_INS8_ISJ_NS7_16discard_iteratorINS7_11use_defaultEEES9_S9_S9_S9_S9_S9_S9_S9_EEEESB_EEENSN_IJSM_SM_EEESB_PlJNSF_9not_fun_tINSF_14equal_to_valueISA_EEEEEEE10hipError_tPvRmT3_T4_T5_T6_T7_T9_mT8_P12ihipStream_tbDpT10_ENKUlT_T0_E_clISt17integral_constantIbLb1EES1J_EEDaS1E_S1F_EUlS1E_E_NS1_11comp_targetILNS1_3genE4ELNS1_11target_archE910ELNS1_3gpuE8ELNS1_3repE0EEENS1_30default_config_static_selectorELNS0_4arch9wavefront6targetE0EEEvT1_,comdat
.Lfunc_end1927:
	.size	_ZN7rocprim17ROCPRIM_400000_NS6detail17trampoline_kernelINS0_14default_configENS1_25partition_config_selectorILNS1_17partition_subalgoE6EN6thrust23THRUST_200600_302600_NS5tupleIjjNS7_9null_typeES9_S9_S9_S9_S9_S9_S9_EENS0_10empty_typeEbEEZZNS1_14partition_implILS5_6ELb0ES3_mNS7_12zip_iteratorINS8_INS7_6detail15normal_iteratorINS7_10device_ptrIjEEEESJ_S9_S9_S9_S9_S9_S9_S9_S9_EEEEPSB_SM_NS0_5tupleIJNSE_INS8_ISJ_NS7_16discard_iteratorINS7_11use_defaultEEES9_S9_S9_S9_S9_S9_S9_S9_EEEESB_EEENSN_IJSM_SM_EEESB_PlJNSF_9not_fun_tINSF_14equal_to_valueISA_EEEEEEE10hipError_tPvRmT3_T4_T5_T6_T7_T9_mT8_P12ihipStream_tbDpT10_ENKUlT_T0_E_clISt17integral_constantIbLb1EES1J_EEDaS1E_S1F_EUlS1E_E_NS1_11comp_targetILNS1_3genE4ELNS1_11target_archE910ELNS1_3gpuE8ELNS1_3repE0EEENS1_30default_config_static_selectorELNS0_4arch9wavefront6targetE0EEEvT1_, .Lfunc_end1927-_ZN7rocprim17ROCPRIM_400000_NS6detail17trampoline_kernelINS0_14default_configENS1_25partition_config_selectorILNS1_17partition_subalgoE6EN6thrust23THRUST_200600_302600_NS5tupleIjjNS7_9null_typeES9_S9_S9_S9_S9_S9_S9_EENS0_10empty_typeEbEEZZNS1_14partition_implILS5_6ELb0ES3_mNS7_12zip_iteratorINS8_INS7_6detail15normal_iteratorINS7_10device_ptrIjEEEESJ_S9_S9_S9_S9_S9_S9_S9_S9_EEEEPSB_SM_NS0_5tupleIJNSE_INS8_ISJ_NS7_16discard_iteratorINS7_11use_defaultEEES9_S9_S9_S9_S9_S9_S9_S9_EEEESB_EEENSN_IJSM_SM_EEESB_PlJNSF_9not_fun_tINSF_14equal_to_valueISA_EEEEEEE10hipError_tPvRmT3_T4_T5_T6_T7_T9_mT8_P12ihipStream_tbDpT10_ENKUlT_T0_E_clISt17integral_constantIbLb1EES1J_EEDaS1E_S1F_EUlS1E_E_NS1_11comp_targetILNS1_3genE4ELNS1_11target_archE910ELNS1_3gpuE8ELNS1_3repE0EEENS1_30default_config_static_selectorELNS0_4arch9wavefront6targetE0EEEvT1_
                                        ; -- End function
	.set _ZN7rocprim17ROCPRIM_400000_NS6detail17trampoline_kernelINS0_14default_configENS1_25partition_config_selectorILNS1_17partition_subalgoE6EN6thrust23THRUST_200600_302600_NS5tupleIjjNS7_9null_typeES9_S9_S9_S9_S9_S9_S9_EENS0_10empty_typeEbEEZZNS1_14partition_implILS5_6ELb0ES3_mNS7_12zip_iteratorINS8_INS7_6detail15normal_iteratorINS7_10device_ptrIjEEEESJ_S9_S9_S9_S9_S9_S9_S9_S9_EEEEPSB_SM_NS0_5tupleIJNSE_INS8_ISJ_NS7_16discard_iteratorINS7_11use_defaultEEES9_S9_S9_S9_S9_S9_S9_S9_EEEESB_EEENSN_IJSM_SM_EEESB_PlJNSF_9not_fun_tINSF_14equal_to_valueISA_EEEEEEE10hipError_tPvRmT3_T4_T5_T6_T7_T9_mT8_P12ihipStream_tbDpT10_ENKUlT_T0_E_clISt17integral_constantIbLb1EES1J_EEDaS1E_S1F_EUlS1E_E_NS1_11comp_targetILNS1_3genE4ELNS1_11target_archE910ELNS1_3gpuE8ELNS1_3repE0EEENS1_30default_config_static_selectorELNS0_4arch9wavefront6targetE0EEEvT1_.num_vgpr, 0
	.set _ZN7rocprim17ROCPRIM_400000_NS6detail17trampoline_kernelINS0_14default_configENS1_25partition_config_selectorILNS1_17partition_subalgoE6EN6thrust23THRUST_200600_302600_NS5tupleIjjNS7_9null_typeES9_S9_S9_S9_S9_S9_S9_EENS0_10empty_typeEbEEZZNS1_14partition_implILS5_6ELb0ES3_mNS7_12zip_iteratorINS8_INS7_6detail15normal_iteratorINS7_10device_ptrIjEEEESJ_S9_S9_S9_S9_S9_S9_S9_S9_EEEEPSB_SM_NS0_5tupleIJNSE_INS8_ISJ_NS7_16discard_iteratorINS7_11use_defaultEEES9_S9_S9_S9_S9_S9_S9_S9_EEEESB_EEENSN_IJSM_SM_EEESB_PlJNSF_9not_fun_tINSF_14equal_to_valueISA_EEEEEEE10hipError_tPvRmT3_T4_T5_T6_T7_T9_mT8_P12ihipStream_tbDpT10_ENKUlT_T0_E_clISt17integral_constantIbLb1EES1J_EEDaS1E_S1F_EUlS1E_E_NS1_11comp_targetILNS1_3genE4ELNS1_11target_archE910ELNS1_3gpuE8ELNS1_3repE0EEENS1_30default_config_static_selectorELNS0_4arch9wavefront6targetE0EEEvT1_.num_agpr, 0
	.set _ZN7rocprim17ROCPRIM_400000_NS6detail17trampoline_kernelINS0_14default_configENS1_25partition_config_selectorILNS1_17partition_subalgoE6EN6thrust23THRUST_200600_302600_NS5tupleIjjNS7_9null_typeES9_S9_S9_S9_S9_S9_S9_EENS0_10empty_typeEbEEZZNS1_14partition_implILS5_6ELb0ES3_mNS7_12zip_iteratorINS8_INS7_6detail15normal_iteratorINS7_10device_ptrIjEEEESJ_S9_S9_S9_S9_S9_S9_S9_S9_EEEEPSB_SM_NS0_5tupleIJNSE_INS8_ISJ_NS7_16discard_iteratorINS7_11use_defaultEEES9_S9_S9_S9_S9_S9_S9_S9_EEEESB_EEENSN_IJSM_SM_EEESB_PlJNSF_9not_fun_tINSF_14equal_to_valueISA_EEEEEEE10hipError_tPvRmT3_T4_T5_T6_T7_T9_mT8_P12ihipStream_tbDpT10_ENKUlT_T0_E_clISt17integral_constantIbLb1EES1J_EEDaS1E_S1F_EUlS1E_E_NS1_11comp_targetILNS1_3genE4ELNS1_11target_archE910ELNS1_3gpuE8ELNS1_3repE0EEENS1_30default_config_static_selectorELNS0_4arch9wavefront6targetE0EEEvT1_.numbered_sgpr, 0
	.set _ZN7rocprim17ROCPRIM_400000_NS6detail17trampoline_kernelINS0_14default_configENS1_25partition_config_selectorILNS1_17partition_subalgoE6EN6thrust23THRUST_200600_302600_NS5tupleIjjNS7_9null_typeES9_S9_S9_S9_S9_S9_S9_EENS0_10empty_typeEbEEZZNS1_14partition_implILS5_6ELb0ES3_mNS7_12zip_iteratorINS8_INS7_6detail15normal_iteratorINS7_10device_ptrIjEEEESJ_S9_S9_S9_S9_S9_S9_S9_S9_EEEEPSB_SM_NS0_5tupleIJNSE_INS8_ISJ_NS7_16discard_iteratorINS7_11use_defaultEEES9_S9_S9_S9_S9_S9_S9_S9_EEEESB_EEENSN_IJSM_SM_EEESB_PlJNSF_9not_fun_tINSF_14equal_to_valueISA_EEEEEEE10hipError_tPvRmT3_T4_T5_T6_T7_T9_mT8_P12ihipStream_tbDpT10_ENKUlT_T0_E_clISt17integral_constantIbLb1EES1J_EEDaS1E_S1F_EUlS1E_E_NS1_11comp_targetILNS1_3genE4ELNS1_11target_archE910ELNS1_3gpuE8ELNS1_3repE0EEENS1_30default_config_static_selectorELNS0_4arch9wavefront6targetE0EEEvT1_.num_named_barrier, 0
	.set _ZN7rocprim17ROCPRIM_400000_NS6detail17trampoline_kernelINS0_14default_configENS1_25partition_config_selectorILNS1_17partition_subalgoE6EN6thrust23THRUST_200600_302600_NS5tupleIjjNS7_9null_typeES9_S9_S9_S9_S9_S9_S9_EENS0_10empty_typeEbEEZZNS1_14partition_implILS5_6ELb0ES3_mNS7_12zip_iteratorINS8_INS7_6detail15normal_iteratorINS7_10device_ptrIjEEEESJ_S9_S9_S9_S9_S9_S9_S9_S9_EEEEPSB_SM_NS0_5tupleIJNSE_INS8_ISJ_NS7_16discard_iteratorINS7_11use_defaultEEES9_S9_S9_S9_S9_S9_S9_S9_EEEESB_EEENSN_IJSM_SM_EEESB_PlJNSF_9not_fun_tINSF_14equal_to_valueISA_EEEEEEE10hipError_tPvRmT3_T4_T5_T6_T7_T9_mT8_P12ihipStream_tbDpT10_ENKUlT_T0_E_clISt17integral_constantIbLb1EES1J_EEDaS1E_S1F_EUlS1E_E_NS1_11comp_targetILNS1_3genE4ELNS1_11target_archE910ELNS1_3gpuE8ELNS1_3repE0EEENS1_30default_config_static_selectorELNS0_4arch9wavefront6targetE0EEEvT1_.private_seg_size, 0
	.set _ZN7rocprim17ROCPRIM_400000_NS6detail17trampoline_kernelINS0_14default_configENS1_25partition_config_selectorILNS1_17partition_subalgoE6EN6thrust23THRUST_200600_302600_NS5tupleIjjNS7_9null_typeES9_S9_S9_S9_S9_S9_S9_EENS0_10empty_typeEbEEZZNS1_14partition_implILS5_6ELb0ES3_mNS7_12zip_iteratorINS8_INS7_6detail15normal_iteratorINS7_10device_ptrIjEEEESJ_S9_S9_S9_S9_S9_S9_S9_S9_EEEEPSB_SM_NS0_5tupleIJNSE_INS8_ISJ_NS7_16discard_iteratorINS7_11use_defaultEEES9_S9_S9_S9_S9_S9_S9_S9_EEEESB_EEENSN_IJSM_SM_EEESB_PlJNSF_9not_fun_tINSF_14equal_to_valueISA_EEEEEEE10hipError_tPvRmT3_T4_T5_T6_T7_T9_mT8_P12ihipStream_tbDpT10_ENKUlT_T0_E_clISt17integral_constantIbLb1EES1J_EEDaS1E_S1F_EUlS1E_E_NS1_11comp_targetILNS1_3genE4ELNS1_11target_archE910ELNS1_3gpuE8ELNS1_3repE0EEENS1_30default_config_static_selectorELNS0_4arch9wavefront6targetE0EEEvT1_.uses_vcc, 0
	.set _ZN7rocprim17ROCPRIM_400000_NS6detail17trampoline_kernelINS0_14default_configENS1_25partition_config_selectorILNS1_17partition_subalgoE6EN6thrust23THRUST_200600_302600_NS5tupleIjjNS7_9null_typeES9_S9_S9_S9_S9_S9_S9_EENS0_10empty_typeEbEEZZNS1_14partition_implILS5_6ELb0ES3_mNS7_12zip_iteratorINS8_INS7_6detail15normal_iteratorINS7_10device_ptrIjEEEESJ_S9_S9_S9_S9_S9_S9_S9_S9_EEEEPSB_SM_NS0_5tupleIJNSE_INS8_ISJ_NS7_16discard_iteratorINS7_11use_defaultEEES9_S9_S9_S9_S9_S9_S9_S9_EEEESB_EEENSN_IJSM_SM_EEESB_PlJNSF_9not_fun_tINSF_14equal_to_valueISA_EEEEEEE10hipError_tPvRmT3_T4_T5_T6_T7_T9_mT8_P12ihipStream_tbDpT10_ENKUlT_T0_E_clISt17integral_constantIbLb1EES1J_EEDaS1E_S1F_EUlS1E_E_NS1_11comp_targetILNS1_3genE4ELNS1_11target_archE910ELNS1_3gpuE8ELNS1_3repE0EEENS1_30default_config_static_selectorELNS0_4arch9wavefront6targetE0EEEvT1_.uses_flat_scratch, 0
	.set _ZN7rocprim17ROCPRIM_400000_NS6detail17trampoline_kernelINS0_14default_configENS1_25partition_config_selectorILNS1_17partition_subalgoE6EN6thrust23THRUST_200600_302600_NS5tupleIjjNS7_9null_typeES9_S9_S9_S9_S9_S9_S9_EENS0_10empty_typeEbEEZZNS1_14partition_implILS5_6ELb0ES3_mNS7_12zip_iteratorINS8_INS7_6detail15normal_iteratorINS7_10device_ptrIjEEEESJ_S9_S9_S9_S9_S9_S9_S9_S9_EEEEPSB_SM_NS0_5tupleIJNSE_INS8_ISJ_NS7_16discard_iteratorINS7_11use_defaultEEES9_S9_S9_S9_S9_S9_S9_S9_EEEESB_EEENSN_IJSM_SM_EEESB_PlJNSF_9not_fun_tINSF_14equal_to_valueISA_EEEEEEE10hipError_tPvRmT3_T4_T5_T6_T7_T9_mT8_P12ihipStream_tbDpT10_ENKUlT_T0_E_clISt17integral_constantIbLb1EES1J_EEDaS1E_S1F_EUlS1E_E_NS1_11comp_targetILNS1_3genE4ELNS1_11target_archE910ELNS1_3gpuE8ELNS1_3repE0EEENS1_30default_config_static_selectorELNS0_4arch9wavefront6targetE0EEEvT1_.has_dyn_sized_stack, 0
	.set _ZN7rocprim17ROCPRIM_400000_NS6detail17trampoline_kernelINS0_14default_configENS1_25partition_config_selectorILNS1_17partition_subalgoE6EN6thrust23THRUST_200600_302600_NS5tupleIjjNS7_9null_typeES9_S9_S9_S9_S9_S9_S9_EENS0_10empty_typeEbEEZZNS1_14partition_implILS5_6ELb0ES3_mNS7_12zip_iteratorINS8_INS7_6detail15normal_iteratorINS7_10device_ptrIjEEEESJ_S9_S9_S9_S9_S9_S9_S9_S9_EEEEPSB_SM_NS0_5tupleIJNSE_INS8_ISJ_NS7_16discard_iteratorINS7_11use_defaultEEES9_S9_S9_S9_S9_S9_S9_S9_EEEESB_EEENSN_IJSM_SM_EEESB_PlJNSF_9not_fun_tINSF_14equal_to_valueISA_EEEEEEE10hipError_tPvRmT3_T4_T5_T6_T7_T9_mT8_P12ihipStream_tbDpT10_ENKUlT_T0_E_clISt17integral_constantIbLb1EES1J_EEDaS1E_S1F_EUlS1E_E_NS1_11comp_targetILNS1_3genE4ELNS1_11target_archE910ELNS1_3gpuE8ELNS1_3repE0EEENS1_30default_config_static_selectorELNS0_4arch9wavefront6targetE0EEEvT1_.has_recursion, 0
	.set _ZN7rocprim17ROCPRIM_400000_NS6detail17trampoline_kernelINS0_14default_configENS1_25partition_config_selectorILNS1_17partition_subalgoE6EN6thrust23THRUST_200600_302600_NS5tupleIjjNS7_9null_typeES9_S9_S9_S9_S9_S9_S9_EENS0_10empty_typeEbEEZZNS1_14partition_implILS5_6ELb0ES3_mNS7_12zip_iteratorINS8_INS7_6detail15normal_iteratorINS7_10device_ptrIjEEEESJ_S9_S9_S9_S9_S9_S9_S9_S9_EEEEPSB_SM_NS0_5tupleIJNSE_INS8_ISJ_NS7_16discard_iteratorINS7_11use_defaultEEES9_S9_S9_S9_S9_S9_S9_S9_EEEESB_EEENSN_IJSM_SM_EEESB_PlJNSF_9not_fun_tINSF_14equal_to_valueISA_EEEEEEE10hipError_tPvRmT3_T4_T5_T6_T7_T9_mT8_P12ihipStream_tbDpT10_ENKUlT_T0_E_clISt17integral_constantIbLb1EES1J_EEDaS1E_S1F_EUlS1E_E_NS1_11comp_targetILNS1_3genE4ELNS1_11target_archE910ELNS1_3gpuE8ELNS1_3repE0EEENS1_30default_config_static_selectorELNS0_4arch9wavefront6targetE0EEEvT1_.has_indirect_call, 0
	.section	.AMDGPU.csdata,"",@progbits
; Kernel info:
; codeLenInByte = 0
; TotalNumSgprs: 0
; NumVgprs: 0
; ScratchSize: 0
; MemoryBound: 0
; FloatMode: 240
; IeeeMode: 1
; LDSByteSize: 0 bytes/workgroup (compile time only)
; SGPRBlocks: 0
; VGPRBlocks: 0
; NumSGPRsForWavesPerEU: 1
; NumVGPRsForWavesPerEU: 1
; Occupancy: 16
; WaveLimiterHint : 0
; COMPUTE_PGM_RSRC2:SCRATCH_EN: 0
; COMPUTE_PGM_RSRC2:USER_SGPR: 2
; COMPUTE_PGM_RSRC2:TRAP_HANDLER: 0
; COMPUTE_PGM_RSRC2:TGID_X_EN: 1
; COMPUTE_PGM_RSRC2:TGID_Y_EN: 0
; COMPUTE_PGM_RSRC2:TGID_Z_EN: 0
; COMPUTE_PGM_RSRC2:TIDIG_COMP_CNT: 0
	.section	.text._ZN7rocprim17ROCPRIM_400000_NS6detail17trampoline_kernelINS0_14default_configENS1_25partition_config_selectorILNS1_17partition_subalgoE6EN6thrust23THRUST_200600_302600_NS5tupleIjjNS7_9null_typeES9_S9_S9_S9_S9_S9_S9_EENS0_10empty_typeEbEEZZNS1_14partition_implILS5_6ELb0ES3_mNS7_12zip_iteratorINS8_INS7_6detail15normal_iteratorINS7_10device_ptrIjEEEESJ_S9_S9_S9_S9_S9_S9_S9_S9_EEEEPSB_SM_NS0_5tupleIJNSE_INS8_ISJ_NS7_16discard_iteratorINS7_11use_defaultEEES9_S9_S9_S9_S9_S9_S9_S9_EEEESB_EEENSN_IJSM_SM_EEESB_PlJNSF_9not_fun_tINSF_14equal_to_valueISA_EEEEEEE10hipError_tPvRmT3_T4_T5_T6_T7_T9_mT8_P12ihipStream_tbDpT10_ENKUlT_T0_E_clISt17integral_constantIbLb1EES1J_EEDaS1E_S1F_EUlS1E_E_NS1_11comp_targetILNS1_3genE3ELNS1_11target_archE908ELNS1_3gpuE7ELNS1_3repE0EEENS1_30default_config_static_selectorELNS0_4arch9wavefront6targetE0EEEvT1_,"axG",@progbits,_ZN7rocprim17ROCPRIM_400000_NS6detail17trampoline_kernelINS0_14default_configENS1_25partition_config_selectorILNS1_17partition_subalgoE6EN6thrust23THRUST_200600_302600_NS5tupleIjjNS7_9null_typeES9_S9_S9_S9_S9_S9_S9_EENS0_10empty_typeEbEEZZNS1_14partition_implILS5_6ELb0ES3_mNS7_12zip_iteratorINS8_INS7_6detail15normal_iteratorINS7_10device_ptrIjEEEESJ_S9_S9_S9_S9_S9_S9_S9_S9_EEEEPSB_SM_NS0_5tupleIJNSE_INS8_ISJ_NS7_16discard_iteratorINS7_11use_defaultEEES9_S9_S9_S9_S9_S9_S9_S9_EEEESB_EEENSN_IJSM_SM_EEESB_PlJNSF_9not_fun_tINSF_14equal_to_valueISA_EEEEEEE10hipError_tPvRmT3_T4_T5_T6_T7_T9_mT8_P12ihipStream_tbDpT10_ENKUlT_T0_E_clISt17integral_constantIbLb1EES1J_EEDaS1E_S1F_EUlS1E_E_NS1_11comp_targetILNS1_3genE3ELNS1_11target_archE908ELNS1_3gpuE7ELNS1_3repE0EEENS1_30default_config_static_selectorELNS0_4arch9wavefront6targetE0EEEvT1_,comdat
	.protected	_ZN7rocprim17ROCPRIM_400000_NS6detail17trampoline_kernelINS0_14default_configENS1_25partition_config_selectorILNS1_17partition_subalgoE6EN6thrust23THRUST_200600_302600_NS5tupleIjjNS7_9null_typeES9_S9_S9_S9_S9_S9_S9_EENS0_10empty_typeEbEEZZNS1_14partition_implILS5_6ELb0ES3_mNS7_12zip_iteratorINS8_INS7_6detail15normal_iteratorINS7_10device_ptrIjEEEESJ_S9_S9_S9_S9_S9_S9_S9_S9_EEEEPSB_SM_NS0_5tupleIJNSE_INS8_ISJ_NS7_16discard_iteratorINS7_11use_defaultEEES9_S9_S9_S9_S9_S9_S9_S9_EEEESB_EEENSN_IJSM_SM_EEESB_PlJNSF_9not_fun_tINSF_14equal_to_valueISA_EEEEEEE10hipError_tPvRmT3_T4_T5_T6_T7_T9_mT8_P12ihipStream_tbDpT10_ENKUlT_T0_E_clISt17integral_constantIbLb1EES1J_EEDaS1E_S1F_EUlS1E_E_NS1_11comp_targetILNS1_3genE3ELNS1_11target_archE908ELNS1_3gpuE7ELNS1_3repE0EEENS1_30default_config_static_selectorELNS0_4arch9wavefront6targetE0EEEvT1_ ; -- Begin function _ZN7rocprim17ROCPRIM_400000_NS6detail17trampoline_kernelINS0_14default_configENS1_25partition_config_selectorILNS1_17partition_subalgoE6EN6thrust23THRUST_200600_302600_NS5tupleIjjNS7_9null_typeES9_S9_S9_S9_S9_S9_S9_EENS0_10empty_typeEbEEZZNS1_14partition_implILS5_6ELb0ES3_mNS7_12zip_iteratorINS8_INS7_6detail15normal_iteratorINS7_10device_ptrIjEEEESJ_S9_S9_S9_S9_S9_S9_S9_S9_EEEEPSB_SM_NS0_5tupleIJNSE_INS8_ISJ_NS7_16discard_iteratorINS7_11use_defaultEEES9_S9_S9_S9_S9_S9_S9_S9_EEEESB_EEENSN_IJSM_SM_EEESB_PlJNSF_9not_fun_tINSF_14equal_to_valueISA_EEEEEEE10hipError_tPvRmT3_T4_T5_T6_T7_T9_mT8_P12ihipStream_tbDpT10_ENKUlT_T0_E_clISt17integral_constantIbLb1EES1J_EEDaS1E_S1F_EUlS1E_E_NS1_11comp_targetILNS1_3genE3ELNS1_11target_archE908ELNS1_3gpuE7ELNS1_3repE0EEENS1_30default_config_static_selectorELNS0_4arch9wavefront6targetE0EEEvT1_
	.globl	_ZN7rocprim17ROCPRIM_400000_NS6detail17trampoline_kernelINS0_14default_configENS1_25partition_config_selectorILNS1_17partition_subalgoE6EN6thrust23THRUST_200600_302600_NS5tupleIjjNS7_9null_typeES9_S9_S9_S9_S9_S9_S9_EENS0_10empty_typeEbEEZZNS1_14partition_implILS5_6ELb0ES3_mNS7_12zip_iteratorINS8_INS7_6detail15normal_iteratorINS7_10device_ptrIjEEEESJ_S9_S9_S9_S9_S9_S9_S9_S9_EEEEPSB_SM_NS0_5tupleIJNSE_INS8_ISJ_NS7_16discard_iteratorINS7_11use_defaultEEES9_S9_S9_S9_S9_S9_S9_S9_EEEESB_EEENSN_IJSM_SM_EEESB_PlJNSF_9not_fun_tINSF_14equal_to_valueISA_EEEEEEE10hipError_tPvRmT3_T4_T5_T6_T7_T9_mT8_P12ihipStream_tbDpT10_ENKUlT_T0_E_clISt17integral_constantIbLb1EES1J_EEDaS1E_S1F_EUlS1E_E_NS1_11comp_targetILNS1_3genE3ELNS1_11target_archE908ELNS1_3gpuE7ELNS1_3repE0EEENS1_30default_config_static_selectorELNS0_4arch9wavefront6targetE0EEEvT1_
	.p2align	8
	.type	_ZN7rocprim17ROCPRIM_400000_NS6detail17trampoline_kernelINS0_14default_configENS1_25partition_config_selectorILNS1_17partition_subalgoE6EN6thrust23THRUST_200600_302600_NS5tupleIjjNS7_9null_typeES9_S9_S9_S9_S9_S9_S9_EENS0_10empty_typeEbEEZZNS1_14partition_implILS5_6ELb0ES3_mNS7_12zip_iteratorINS8_INS7_6detail15normal_iteratorINS7_10device_ptrIjEEEESJ_S9_S9_S9_S9_S9_S9_S9_S9_EEEEPSB_SM_NS0_5tupleIJNSE_INS8_ISJ_NS7_16discard_iteratorINS7_11use_defaultEEES9_S9_S9_S9_S9_S9_S9_S9_EEEESB_EEENSN_IJSM_SM_EEESB_PlJNSF_9not_fun_tINSF_14equal_to_valueISA_EEEEEEE10hipError_tPvRmT3_T4_T5_T6_T7_T9_mT8_P12ihipStream_tbDpT10_ENKUlT_T0_E_clISt17integral_constantIbLb1EES1J_EEDaS1E_S1F_EUlS1E_E_NS1_11comp_targetILNS1_3genE3ELNS1_11target_archE908ELNS1_3gpuE7ELNS1_3repE0EEENS1_30default_config_static_selectorELNS0_4arch9wavefront6targetE0EEEvT1_,@function
_ZN7rocprim17ROCPRIM_400000_NS6detail17trampoline_kernelINS0_14default_configENS1_25partition_config_selectorILNS1_17partition_subalgoE6EN6thrust23THRUST_200600_302600_NS5tupleIjjNS7_9null_typeES9_S9_S9_S9_S9_S9_S9_EENS0_10empty_typeEbEEZZNS1_14partition_implILS5_6ELb0ES3_mNS7_12zip_iteratorINS8_INS7_6detail15normal_iteratorINS7_10device_ptrIjEEEESJ_S9_S9_S9_S9_S9_S9_S9_S9_EEEEPSB_SM_NS0_5tupleIJNSE_INS8_ISJ_NS7_16discard_iteratorINS7_11use_defaultEEES9_S9_S9_S9_S9_S9_S9_S9_EEEESB_EEENSN_IJSM_SM_EEESB_PlJNSF_9not_fun_tINSF_14equal_to_valueISA_EEEEEEE10hipError_tPvRmT3_T4_T5_T6_T7_T9_mT8_P12ihipStream_tbDpT10_ENKUlT_T0_E_clISt17integral_constantIbLb1EES1J_EEDaS1E_S1F_EUlS1E_E_NS1_11comp_targetILNS1_3genE3ELNS1_11target_archE908ELNS1_3gpuE7ELNS1_3repE0EEENS1_30default_config_static_selectorELNS0_4arch9wavefront6targetE0EEEvT1_: ; @_ZN7rocprim17ROCPRIM_400000_NS6detail17trampoline_kernelINS0_14default_configENS1_25partition_config_selectorILNS1_17partition_subalgoE6EN6thrust23THRUST_200600_302600_NS5tupleIjjNS7_9null_typeES9_S9_S9_S9_S9_S9_S9_EENS0_10empty_typeEbEEZZNS1_14partition_implILS5_6ELb0ES3_mNS7_12zip_iteratorINS8_INS7_6detail15normal_iteratorINS7_10device_ptrIjEEEESJ_S9_S9_S9_S9_S9_S9_S9_S9_EEEEPSB_SM_NS0_5tupleIJNSE_INS8_ISJ_NS7_16discard_iteratorINS7_11use_defaultEEES9_S9_S9_S9_S9_S9_S9_S9_EEEESB_EEENSN_IJSM_SM_EEESB_PlJNSF_9not_fun_tINSF_14equal_to_valueISA_EEEEEEE10hipError_tPvRmT3_T4_T5_T6_T7_T9_mT8_P12ihipStream_tbDpT10_ENKUlT_T0_E_clISt17integral_constantIbLb1EES1J_EEDaS1E_S1F_EUlS1E_E_NS1_11comp_targetILNS1_3genE3ELNS1_11target_archE908ELNS1_3gpuE7ELNS1_3repE0EEENS1_30default_config_static_selectorELNS0_4arch9wavefront6targetE0EEEvT1_
; %bb.0:
	.section	.rodata,"a",@progbits
	.p2align	6, 0x0
	.amdhsa_kernel _ZN7rocprim17ROCPRIM_400000_NS6detail17trampoline_kernelINS0_14default_configENS1_25partition_config_selectorILNS1_17partition_subalgoE6EN6thrust23THRUST_200600_302600_NS5tupleIjjNS7_9null_typeES9_S9_S9_S9_S9_S9_S9_EENS0_10empty_typeEbEEZZNS1_14partition_implILS5_6ELb0ES3_mNS7_12zip_iteratorINS8_INS7_6detail15normal_iteratorINS7_10device_ptrIjEEEESJ_S9_S9_S9_S9_S9_S9_S9_S9_EEEEPSB_SM_NS0_5tupleIJNSE_INS8_ISJ_NS7_16discard_iteratorINS7_11use_defaultEEES9_S9_S9_S9_S9_S9_S9_S9_EEEESB_EEENSN_IJSM_SM_EEESB_PlJNSF_9not_fun_tINSF_14equal_to_valueISA_EEEEEEE10hipError_tPvRmT3_T4_T5_T6_T7_T9_mT8_P12ihipStream_tbDpT10_ENKUlT_T0_E_clISt17integral_constantIbLb1EES1J_EEDaS1E_S1F_EUlS1E_E_NS1_11comp_targetILNS1_3genE3ELNS1_11target_archE908ELNS1_3gpuE7ELNS1_3repE0EEENS1_30default_config_static_selectorELNS0_4arch9wavefront6targetE0EEEvT1_
		.amdhsa_group_segment_fixed_size 0
		.amdhsa_private_segment_fixed_size 0
		.amdhsa_kernarg_size 152
		.amdhsa_user_sgpr_count 2
		.amdhsa_user_sgpr_dispatch_ptr 0
		.amdhsa_user_sgpr_queue_ptr 0
		.amdhsa_user_sgpr_kernarg_segment_ptr 1
		.amdhsa_user_sgpr_dispatch_id 0
		.amdhsa_user_sgpr_private_segment_size 0
		.amdhsa_wavefront_size32 1
		.amdhsa_uses_dynamic_stack 0
		.amdhsa_enable_private_segment 0
		.amdhsa_system_sgpr_workgroup_id_x 1
		.amdhsa_system_sgpr_workgroup_id_y 0
		.amdhsa_system_sgpr_workgroup_id_z 0
		.amdhsa_system_sgpr_workgroup_info 0
		.amdhsa_system_vgpr_workitem_id 0
		.amdhsa_next_free_vgpr 1
		.amdhsa_next_free_sgpr 1
		.amdhsa_reserve_vcc 0
		.amdhsa_float_round_mode_32 0
		.amdhsa_float_round_mode_16_64 0
		.amdhsa_float_denorm_mode_32 3
		.amdhsa_float_denorm_mode_16_64 3
		.amdhsa_fp16_overflow 0
		.amdhsa_workgroup_processor_mode 1
		.amdhsa_memory_ordered 1
		.amdhsa_forward_progress 1
		.amdhsa_inst_pref_size 0
		.amdhsa_round_robin_scheduling 0
		.amdhsa_exception_fp_ieee_invalid_op 0
		.amdhsa_exception_fp_denorm_src 0
		.amdhsa_exception_fp_ieee_div_zero 0
		.amdhsa_exception_fp_ieee_overflow 0
		.amdhsa_exception_fp_ieee_underflow 0
		.amdhsa_exception_fp_ieee_inexact 0
		.amdhsa_exception_int_div_zero 0
	.end_amdhsa_kernel
	.section	.text._ZN7rocprim17ROCPRIM_400000_NS6detail17trampoline_kernelINS0_14default_configENS1_25partition_config_selectorILNS1_17partition_subalgoE6EN6thrust23THRUST_200600_302600_NS5tupleIjjNS7_9null_typeES9_S9_S9_S9_S9_S9_S9_EENS0_10empty_typeEbEEZZNS1_14partition_implILS5_6ELb0ES3_mNS7_12zip_iteratorINS8_INS7_6detail15normal_iteratorINS7_10device_ptrIjEEEESJ_S9_S9_S9_S9_S9_S9_S9_S9_EEEEPSB_SM_NS0_5tupleIJNSE_INS8_ISJ_NS7_16discard_iteratorINS7_11use_defaultEEES9_S9_S9_S9_S9_S9_S9_S9_EEEESB_EEENSN_IJSM_SM_EEESB_PlJNSF_9not_fun_tINSF_14equal_to_valueISA_EEEEEEE10hipError_tPvRmT3_T4_T5_T6_T7_T9_mT8_P12ihipStream_tbDpT10_ENKUlT_T0_E_clISt17integral_constantIbLb1EES1J_EEDaS1E_S1F_EUlS1E_E_NS1_11comp_targetILNS1_3genE3ELNS1_11target_archE908ELNS1_3gpuE7ELNS1_3repE0EEENS1_30default_config_static_selectorELNS0_4arch9wavefront6targetE0EEEvT1_,"axG",@progbits,_ZN7rocprim17ROCPRIM_400000_NS6detail17trampoline_kernelINS0_14default_configENS1_25partition_config_selectorILNS1_17partition_subalgoE6EN6thrust23THRUST_200600_302600_NS5tupleIjjNS7_9null_typeES9_S9_S9_S9_S9_S9_S9_EENS0_10empty_typeEbEEZZNS1_14partition_implILS5_6ELb0ES3_mNS7_12zip_iteratorINS8_INS7_6detail15normal_iteratorINS7_10device_ptrIjEEEESJ_S9_S9_S9_S9_S9_S9_S9_S9_EEEEPSB_SM_NS0_5tupleIJNSE_INS8_ISJ_NS7_16discard_iteratorINS7_11use_defaultEEES9_S9_S9_S9_S9_S9_S9_S9_EEEESB_EEENSN_IJSM_SM_EEESB_PlJNSF_9not_fun_tINSF_14equal_to_valueISA_EEEEEEE10hipError_tPvRmT3_T4_T5_T6_T7_T9_mT8_P12ihipStream_tbDpT10_ENKUlT_T0_E_clISt17integral_constantIbLb1EES1J_EEDaS1E_S1F_EUlS1E_E_NS1_11comp_targetILNS1_3genE3ELNS1_11target_archE908ELNS1_3gpuE7ELNS1_3repE0EEENS1_30default_config_static_selectorELNS0_4arch9wavefront6targetE0EEEvT1_,comdat
.Lfunc_end1928:
	.size	_ZN7rocprim17ROCPRIM_400000_NS6detail17trampoline_kernelINS0_14default_configENS1_25partition_config_selectorILNS1_17partition_subalgoE6EN6thrust23THRUST_200600_302600_NS5tupleIjjNS7_9null_typeES9_S9_S9_S9_S9_S9_S9_EENS0_10empty_typeEbEEZZNS1_14partition_implILS5_6ELb0ES3_mNS7_12zip_iteratorINS8_INS7_6detail15normal_iteratorINS7_10device_ptrIjEEEESJ_S9_S9_S9_S9_S9_S9_S9_S9_EEEEPSB_SM_NS0_5tupleIJNSE_INS8_ISJ_NS7_16discard_iteratorINS7_11use_defaultEEES9_S9_S9_S9_S9_S9_S9_S9_EEEESB_EEENSN_IJSM_SM_EEESB_PlJNSF_9not_fun_tINSF_14equal_to_valueISA_EEEEEEE10hipError_tPvRmT3_T4_T5_T6_T7_T9_mT8_P12ihipStream_tbDpT10_ENKUlT_T0_E_clISt17integral_constantIbLb1EES1J_EEDaS1E_S1F_EUlS1E_E_NS1_11comp_targetILNS1_3genE3ELNS1_11target_archE908ELNS1_3gpuE7ELNS1_3repE0EEENS1_30default_config_static_selectorELNS0_4arch9wavefront6targetE0EEEvT1_, .Lfunc_end1928-_ZN7rocprim17ROCPRIM_400000_NS6detail17trampoline_kernelINS0_14default_configENS1_25partition_config_selectorILNS1_17partition_subalgoE6EN6thrust23THRUST_200600_302600_NS5tupleIjjNS7_9null_typeES9_S9_S9_S9_S9_S9_S9_EENS0_10empty_typeEbEEZZNS1_14partition_implILS5_6ELb0ES3_mNS7_12zip_iteratorINS8_INS7_6detail15normal_iteratorINS7_10device_ptrIjEEEESJ_S9_S9_S9_S9_S9_S9_S9_S9_EEEEPSB_SM_NS0_5tupleIJNSE_INS8_ISJ_NS7_16discard_iteratorINS7_11use_defaultEEES9_S9_S9_S9_S9_S9_S9_S9_EEEESB_EEENSN_IJSM_SM_EEESB_PlJNSF_9not_fun_tINSF_14equal_to_valueISA_EEEEEEE10hipError_tPvRmT3_T4_T5_T6_T7_T9_mT8_P12ihipStream_tbDpT10_ENKUlT_T0_E_clISt17integral_constantIbLb1EES1J_EEDaS1E_S1F_EUlS1E_E_NS1_11comp_targetILNS1_3genE3ELNS1_11target_archE908ELNS1_3gpuE7ELNS1_3repE0EEENS1_30default_config_static_selectorELNS0_4arch9wavefront6targetE0EEEvT1_
                                        ; -- End function
	.set _ZN7rocprim17ROCPRIM_400000_NS6detail17trampoline_kernelINS0_14default_configENS1_25partition_config_selectorILNS1_17partition_subalgoE6EN6thrust23THRUST_200600_302600_NS5tupleIjjNS7_9null_typeES9_S9_S9_S9_S9_S9_S9_EENS0_10empty_typeEbEEZZNS1_14partition_implILS5_6ELb0ES3_mNS7_12zip_iteratorINS8_INS7_6detail15normal_iteratorINS7_10device_ptrIjEEEESJ_S9_S9_S9_S9_S9_S9_S9_S9_EEEEPSB_SM_NS0_5tupleIJNSE_INS8_ISJ_NS7_16discard_iteratorINS7_11use_defaultEEES9_S9_S9_S9_S9_S9_S9_S9_EEEESB_EEENSN_IJSM_SM_EEESB_PlJNSF_9not_fun_tINSF_14equal_to_valueISA_EEEEEEE10hipError_tPvRmT3_T4_T5_T6_T7_T9_mT8_P12ihipStream_tbDpT10_ENKUlT_T0_E_clISt17integral_constantIbLb1EES1J_EEDaS1E_S1F_EUlS1E_E_NS1_11comp_targetILNS1_3genE3ELNS1_11target_archE908ELNS1_3gpuE7ELNS1_3repE0EEENS1_30default_config_static_selectorELNS0_4arch9wavefront6targetE0EEEvT1_.num_vgpr, 0
	.set _ZN7rocprim17ROCPRIM_400000_NS6detail17trampoline_kernelINS0_14default_configENS1_25partition_config_selectorILNS1_17partition_subalgoE6EN6thrust23THRUST_200600_302600_NS5tupleIjjNS7_9null_typeES9_S9_S9_S9_S9_S9_S9_EENS0_10empty_typeEbEEZZNS1_14partition_implILS5_6ELb0ES3_mNS7_12zip_iteratorINS8_INS7_6detail15normal_iteratorINS7_10device_ptrIjEEEESJ_S9_S9_S9_S9_S9_S9_S9_S9_EEEEPSB_SM_NS0_5tupleIJNSE_INS8_ISJ_NS7_16discard_iteratorINS7_11use_defaultEEES9_S9_S9_S9_S9_S9_S9_S9_EEEESB_EEENSN_IJSM_SM_EEESB_PlJNSF_9not_fun_tINSF_14equal_to_valueISA_EEEEEEE10hipError_tPvRmT3_T4_T5_T6_T7_T9_mT8_P12ihipStream_tbDpT10_ENKUlT_T0_E_clISt17integral_constantIbLb1EES1J_EEDaS1E_S1F_EUlS1E_E_NS1_11comp_targetILNS1_3genE3ELNS1_11target_archE908ELNS1_3gpuE7ELNS1_3repE0EEENS1_30default_config_static_selectorELNS0_4arch9wavefront6targetE0EEEvT1_.num_agpr, 0
	.set _ZN7rocprim17ROCPRIM_400000_NS6detail17trampoline_kernelINS0_14default_configENS1_25partition_config_selectorILNS1_17partition_subalgoE6EN6thrust23THRUST_200600_302600_NS5tupleIjjNS7_9null_typeES9_S9_S9_S9_S9_S9_S9_EENS0_10empty_typeEbEEZZNS1_14partition_implILS5_6ELb0ES3_mNS7_12zip_iteratorINS8_INS7_6detail15normal_iteratorINS7_10device_ptrIjEEEESJ_S9_S9_S9_S9_S9_S9_S9_S9_EEEEPSB_SM_NS0_5tupleIJNSE_INS8_ISJ_NS7_16discard_iteratorINS7_11use_defaultEEES9_S9_S9_S9_S9_S9_S9_S9_EEEESB_EEENSN_IJSM_SM_EEESB_PlJNSF_9not_fun_tINSF_14equal_to_valueISA_EEEEEEE10hipError_tPvRmT3_T4_T5_T6_T7_T9_mT8_P12ihipStream_tbDpT10_ENKUlT_T0_E_clISt17integral_constantIbLb1EES1J_EEDaS1E_S1F_EUlS1E_E_NS1_11comp_targetILNS1_3genE3ELNS1_11target_archE908ELNS1_3gpuE7ELNS1_3repE0EEENS1_30default_config_static_selectorELNS0_4arch9wavefront6targetE0EEEvT1_.numbered_sgpr, 0
	.set _ZN7rocprim17ROCPRIM_400000_NS6detail17trampoline_kernelINS0_14default_configENS1_25partition_config_selectorILNS1_17partition_subalgoE6EN6thrust23THRUST_200600_302600_NS5tupleIjjNS7_9null_typeES9_S9_S9_S9_S9_S9_S9_EENS0_10empty_typeEbEEZZNS1_14partition_implILS5_6ELb0ES3_mNS7_12zip_iteratorINS8_INS7_6detail15normal_iteratorINS7_10device_ptrIjEEEESJ_S9_S9_S9_S9_S9_S9_S9_S9_EEEEPSB_SM_NS0_5tupleIJNSE_INS8_ISJ_NS7_16discard_iteratorINS7_11use_defaultEEES9_S9_S9_S9_S9_S9_S9_S9_EEEESB_EEENSN_IJSM_SM_EEESB_PlJNSF_9not_fun_tINSF_14equal_to_valueISA_EEEEEEE10hipError_tPvRmT3_T4_T5_T6_T7_T9_mT8_P12ihipStream_tbDpT10_ENKUlT_T0_E_clISt17integral_constantIbLb1EES1J_EEDaS1E_S1F_EUlS1E_E_NS1_11comp_targetILNS1_3genE3ELNS1_11target_archE908ELNS1_3gpuE7ELNS1_3repE0EEENS1_30default_config_static_selectorELNS0_4arch9wavefront6targetE0EEEvT1_.num_named_barrier, 0
	.set _ZN7rocprim17ROCPRIM_400000_NS6detail17trampoline_kernelINS0_14default_configENS1_25partition_config_selectorILNS1_17partition_subalgoE6EN6thrust23THRUST_200600_302600_NS5tupleIjjNS7_9null_typeES9_S9_S9_S9_S9_S9_S9_EENS0_10empty_typeEbEEZZNS1_14partition_implILS5_6ELb0ES3_mNS7_12zip_iteratorINS8_INS7_6detail15normal_iteratorINS7_10device_ptrIjEEEESJ_S9_S9_S9_S9_S9_S9_S9_S9_EEEEPSB_SM_NS0_5tupleIJNSE_INS8_ISJ_NS7_16discard_iteratorINS7_11use_defaultEEES9_S9_S9_S9_S9_S9_S9_S9_EEEESB_EEENSN_IJSM_SM_EEESB_PlJNSF_9not_fun_tINSF_14equal_to_valueISA_EEEEEEE10hipError_tPvRmT3_T4_T5_T6_T7_T9_mT8_P12ihipStream_tbDpT10_ENKUlT_T0_E_clISt17integral_constantIbLb1EES1J_EEDaS1E_S1F_EUlS1E_E_NS1_11comp_targetILNS1_3genE3ELNS1_11target_archE908ELNS1_3gpuE7ELNS1_3repE0EEENS1_30default_config_static_selectorELNS0_4arch9wavefront6targetE0EEEvT1_.private_seg_size, 0
	.set _ZN7rocprim17ROCPRIM_400000_NS6detail17trampoline_kernelINS0_14default_configENS1_25partition_config_selectorILNS1_17partition_subalgoE6EN6thrust23THRUST_200600_302600_NS5tupleIjjNS7_9null_typeES9_S9_S9_S9_S9_S9_S9_EENS0_10empty_typeEbEEZZNS1_14partition_implILS5_6ELb0ES3_mNS7_12zip_iteratorINS8_INS7_6detail15normal_iteratorINS7_10device_ptrIjEEEESJ_S9_S9_S9_S9_S9_S9_S9_S9_EEEEPSB_SM_NS0_5tupleIJNSE_INS8_ISJ_NS7_16discard_iteratorINS7_11use_defaultEEES9_S9_S9_S9_S9_S9_S9_S9_EEEESB_EEENSN_IJSM_SM_EEESB_PlJNSF_9not_fun_tINSF_14equal_to_valueISA_EEEEEEE10hipError_tPvRmT3_T4_T5_T6_T7_T9_mT8_P12ihipStream_tbDpT10_ENKUlT_T0_E_clISt17integral_constantIbLb1EES1J_EEDaS1E_S1F_EUlS1E_E_NS1_11comp_targetILNS1_3genE3ELNS1_11target_archE908ELNS1_3gpuE7ELNS1_3repE0EEENS1_30default_config_static_selectorELNS0_4arch9wavefront6targetE0EEEvT1_.uses_vcc, 0
	.set _ZN7rocprim17ROCPRIM_400000_NS6detail17trampoline_kernelINS0_14default_configENS1_25partition_config_selectorILNS1_17partition_subalgoE6EN6thrust23THRUST_200600_302600_NS5tupleIjjNS7_9null_typeES9_S9_S9_S9_S9_S9_S9_EENS0_10empty_typeEbEEZZNS1_14partition_implILS5_6ELb0ES3_mNS7_12zip_iteratorINS8_INS7_6detail15normal_iteratorINS7_10device_ptrIjEEEESJ_S9_S9_S9_S9_S9_S9_S9_S9_EEEEPSB_SM_NS0_5tupleIJNSE_INS8_ISJ_NS7_16discard_iteratorINS7_11use_defaultEEES9_S9_S9_S9_S9_S9_S9_S9_EEEESB_EEENSN_IJSM_SM_EEESB_PlJNSF_9not_fun_tINSF_14equal_to_valueISA_EEEEEEE10hipError_tPvRmT3_T4_T5_T6_T7_T9_mT8_P12ihipStream_tbDpT10_ENKUlT_T0_E_clISt17integral_constantIbLb1EES1J_EEDaS1E_S1F_EUlS1E_E_NS1_11comp_targetILNS1_3genE3ELNS1_11target_archE908ELNS1_3gpuE7ELNS1_3repE0EEENS1_30default_config_static_selectorELNS0_4arch9wavefront6targetE0EEEvT1_.uses_flat_scratch, 0
	.set _ZN7rocprim17ROCPRIM_400000_NS6detail17trampoline_kernelINS0_14default_configENS1_25partition_config_selectorILNS1_17partition_subalgoE6EN6thrust23THRUST_200600_302600_NS5tupleIjjNS7_9null_typeES9_S9_S9_S9_S9_S9_S9_EENS0_10empty_typeEbEEZZNS1_14partition_implILS5_6ELb0ES3_mNS7_12zip_iteratorINS8_INS7_6detail15normal_iteratorINS7_10device_ptrIjEEEESJ_S9_S9_S9_S9_S9_S9_S9_S9_EEEEPSB_SM_NS0_5tupleIJNSE_INS8_ISJ_NS7_16discard_iteratorINS7_11use_defaultEEES9_S9_S9_S9_S9_S9_S9_S9_EEEESB_EEENSN_IJSM_SM_EEESB_PlJNSF_9not_fun_tINSF_14equal_to_valueISA_EEEEEEE10hipError_tPvRmT3_T4_T5_T6_T7_T9_mT8_P12ihipStream_tbDpT10_ENKUlT_T0_E_clISt17integral_constantIbLb1EES1J_EEDaS1E_S1F_EUlS1E_E_NS1_11comp_targetILNS1_3genE3ELNS1_11target_archE908ELNS1_3gpuE7ELNS1_3repE0EEENS1_30default_config_static_selectorELNS0_4arch9wavefront6targetE0EEEvT1_.has_dyn_sized_stack, 0
	.set _ZN7rocprim17ROCPRIM_400000_NS6detail17trampoline_kernelINS0_14default_configENS1_25partition_config_selectorILNS1_17partition_subalgoE6EN6thrust23THRUST_200600_302600_NS5tupleIjjNS7_9null_typeES9_S9_S9_S9_S9_S9_S9_EENS0_10empty_typeEbEEZZNS1_14partition_implILS5_6ELb0ES3_mNS7_12zip_iteratorINS8_INS7_6detail15normal_iteratorINS7_10device_ptrIjEEEESJ_S9_S9_S9_S9_S9_S9_S9_S9_EEEEPSB_SM_NS0_5tupleIJNSE_INS8_ISJ_NS7_16discard_iteratorINS7_11use_defaultEEES9_S9_S9_S9_S9_S9_S9_S9_EEEESB_EEENSN_IJSM_SM_EEESB_PlJNSF_9not_fun_tINSF_14equal_to_valueISA_EEEEEEE10hipError_tPvRmT3_T4_T5_T6_T7_T9_mT8_P12ihipStream_tbDpT10_ENKUlT_T0_E_clISt17integral_constantIbLb1EES1J_EEDaS1E_S1F_EUlS1E_E_NS1_11comp_targetILNS1_3genE3ELNS1_11target_archE908ELNS1_3gpuE7ELNS1_3repE0EEENS1_30default_config_static_selectorELNS0_4arch9wavefront6targetE0EEEvT1_.has_recursion, 0
	.set _ZN7rocprim17ROCPRIM_400000_NS6detail17trampoline_kernelINS0_14default_configENS1_25partition_config_selectorILNS1_17partition_subalgoE6EN6thrust23THRUST_200600_302600_NS5tupleIjjNS7_9null_typeES9_S9_S9_S9_S9_S9_S9_EENS0_10empty_typeEbEEZZNS1_14partition_implILS5_6ELb0ES3_mNS7_12zip_iteratorINS8_INS7_6detail15normal_iteratorINS7_10device_ptrIjEEEESJ_S9_S9_S9_S9_S9_S9_S9_S9_EEEEPSB_SM_NS0_5tupleIJNSE_INS8_ISJ_NS7_16discard_iteratorINS7_11use_defaultEEES9_S9_S9_S9_S9_S9_S9_S9_EEEESB_EEENSN_IJSM_SM_EEESB_PlJNSF_9not_fun_tINSF_14equal_to_valueISA_EEEEEEE10hipError_tPvRmT3_T4_T5_T6_T7_T9_mT8_P12ihipStream_tbDpT10_ENKUlT_T0_E_clISt17integral_constantIbLb1EES1J_EEDaS1E_S1F_EUlS1E_E_NS1_11comp_targetILNS1_3genE3ELNS1_11target_archE908ELNS1_3gpuE7ELNS1_3repE0EEENS1_30default_config_static_selectorELNS0_4arch9wavefront6targetE0EEEvT1_.has_indirect_call, 0
	.section	.AMDGPU.csdata,"",@progbits
; Kernel info:
; codeLenInByte = 0
; TotalNumSgprs: 0
; NumVgprs: 0
; ScratchSize: 0
; MemoryBound: 0
; FloatMode: 240
; IeeeMode: 1
; LDSByteSize: 0 bytes/workgroup (compile time only)
; SGPRBlocks: 0
; VGPRBlocks: 0
; NumSGPRsForWavesPerEU: 1
; NumVGPRsForWavesPerEU: 1
; Occupancy: 16
; WaveLimiterHint : 0
; COMPUTE_PGM_RSRC2:SCRATCH_EN: 0
; COMPUTE_PGM_RSRC2:USER_SGPR: 2
; COMPUTE_PGM_RSRC2:TRAP_HANDLER: 0
; COMPUTE_PGM_RSRC2:TGID_X_EN: 1
; COMPUTE_PGM_RSRC2:TGID_Y_EN: 0
; COMPUTE_PGM_RSRC2:TGID_Z_EN: 0
; COMPUTE_PGM_RSRC2:TIDIG_COMP_CNT: 0
	.section	.text._ZN7rocprim17ROCPRIM_400000_NS6detail17trampoline_kernelINS0_14default_configENS1_25partition_config_selectorILNS1_17partition_subalgoE6EN6thrust23THRUST_200600_302600_NS5tupleIjjNS7_9null_typeES9_S9_S9_S9_S9_S9_S9_EENS0_10empty_typeEbEEZZNS1_14partition_implILS5_6ELb0ES3_mNS7_12zip_iteratorINS8_INS7_6detail15normal_iteratorINS7_10device_ptrIjEEEESJ_S9_S9_S9_S9_S9_S9_S9_S9_EEEEPSB_SM_NS0_5tupleIJNSE_INS8_ISJ_NS7_16discard_iteratorINS7_11use_defaultEEES9_S9_S9_S9_S9_S9_S9_S9_EEEESB_EEENSN_IJSM_SM_EEESB_PlJNSF_9not_fun_tINSF_14equal_to_valueISA_EEEEEEE10hipError_tPvRmT3_T4_T5_T6_T7_T9_mT8_P12ihipStream_tbDpT10_ENKUlT_T0_E_clISt17integral_constantIbLb1EES1J_EEDaS1E_S1F_EUlS1E_E_NS1_11comp_targetILNS1_3genE2ELNS1_11target_archE906ELNS1_3gpuE6ELNS1_3repE0EEENS1_30default_config_static_selectorELNS0_4arch9wavefront6targetE0EEEvT1_,"axG",@progbits,_ZN7rocprim17ROCPRIM_400000_NS6detail17trampoline_kernelINS0_14default_configENS1_25partition_config_selectorILNS1_17partition_subalgoE6EN6thrust23THRUST_200600_302600_NS5tupleIjjNS7_9null_typeES9_S9_S9_S9_S9_S9_S9_EENS0_10empty_typeEbEEZZNS1_14partition_implILS5_6ELb0ES3_mNS7_12zip_iteratorINS8_INS7_6detail15normal_iteratorINS7_10device_ptrIjEEEESJ_S9_S9_S9_S9_S9_S9_S9_S9_EEEEPSB_SM_NS0_5tupleIJNSE_INS8_ISJ_NS7_16discard_iteratorINS7_11use_defaultEEES9_S9_S9_S9_S9_S9_S9_S9_EEEESB_EEENSN_IJSM_SM_EEESB_PlJNSF_9not_fun_tINSF_14equal_to_valueISA_EEEEEEE10hipError_tPvRmT3_T4_T5_T6_T7_T9_mT8_P12ihipStream_tbDpT10_ENKUlT_T0_E_clISt17integral_constantIbLb1EES1J_EEDaS1E_S1F_EUlS1E_E_NS1_11comp_targetILNS1_3genE2ELNS1_11target_archE906ELNS1_3gpuE6ELNS1_3repE0EEENS1_30default_config_static_selectorELNS0_4arch9wavefront6targetE0EEEvT1_,comdat
	.protected	_ZN7rocprim17ROCPRIM_400000_NS6detail17trampoline_kernelINS0_14default_configENS1_25partition_config_selectorILNS1_17partition_subalgoE6EN6thrust23THRUST_200600_302600_NS5tupleIjjNS7_9null_typeES9_S9_S9_S9_S9_S9_S9_EENS0_10empty_typeEbEEZZNS1_14partition_implILS5_6ELb0ES3_mNS7_12zip_iteratorINS8_INS7_6detail15normal_iteratorINS7_10device_ptrIjEEEESJ_S9_S9_S9_S9_S9_S9_S9_S9_EEEEPSB_SM_NS0_5tupleIJNSE_INS8_ISJ_NS7_16discard_iteratorINS7_11use_defaultEEES9_S9_S9_S9_S9_S9_S9_S9_EEEESB_EEENSN_IJSM_SM_EEESB_PlJNSF_9not_fun_tINSF_14equal_to_valueISA_EEEEEEE10hipError_tPvRmT3_T4_T5_T6_T7_T9_mT8_P12ihipStream_tbDpT10_ENKUlT_T0_E_clISt17integral_constantIbLb1EES1J_EEDaS1E_S1F_EUlS1E_E_NS1_11comp_targetILNS1_3genE2ELNS1_11target_archE906ELNS1_3gpuE6ELNS1_3repE0EEENS1_30default_config_static_selectorELNS0_4arch9wavefront6targetE0EEEvT1_ ; -- Begin function _ZN7rocprim17ROCPRIM_400000_NS6detail17trampoline_kernelINS0_14default_configENS1_25partition_config_selectorILNS1_17partition_subalgoE6EN6thrust23THRUST_200600_302600_NS5tupleIjjNS7_9null_typeES9_S9_S9_S9_S9_S9_S9_EENS0_10empty_typeEbEEZZNS1_14partition_implILS5_6ELb0ES3_mNS7_12zip_iteratorINS8_INS7_6detail15normal_iteratorINS7_10device_ptrIjEEEESJ_S9_S9_S9_S9_S9_S9_S9_S9_EEEEPSB_SM_NS0_5tupleIJNSE_INS8_ISJ_NS7_16discard_iteratorINS7_11use_defaultEEES9_S9_S9_S9_S9_S9_S9_S9_EEEESB_EEENSN_IJSM_SM_EEESB_PlJNSF_9not_fun_tINSF_14equal_to_valueISA_EEEEEEE10hipError_tPvRmT3_T4_T5_T6_T7_T9_mT8_P12ihipStream_tbDpT10_ENKUlT_T0_E_clISt17integral_constantIbLb1EES1J_EEDaS1E_S1F_EUlS1E_E_NS1_11comp_targetILNS1_3genE2ELNS1_11target_archE906ELNS1_3gpuE6ELNS1_3repE0EEENS1_30default_config_static_selectorELNS0_4arch9wavefront6targetE0EEEvT1_
	.globl	_ZN7rocprim17ROCPRIM_400000_NS6detail17trampoline_kernelINS0_14default_configENS1_25partition_config_selectorILNS1_17partition_subalgoE6EN6thrust23THRUST_200600_302600_NS5tupleIjjNS7_9null_typeES9_S9_S9_S9_S9_S9_S9_EENS0_10empty_typeEbEEZZNS1_14partition_implILS5_6ELb0ES3_mNS7_12zip_iteratorINS8_INS7_6detail15normal_iteratorINS7_10device_ptrIjEEEESJ_S9_S9_S9_S9_S9_S9_S9_S9_EEEEPSB_SM_NS0_5tupleIJNSE_INS8_ISJ_NS7_16discard_iteratorINS7_11use_defaultEEES9_S9_S9_S9_S9_S9_S9_S9_EEEESB_EEENSN_IJSM_SM_EEESB_PlJNSF_9not_fun_tINSF_14equal_to_valueISA_EEEEEEE10hipError_tPvRmT3_T4_T5_T6_T7_T9_mT8_P12ihipStream_tbDpT10_ENKUlT_T0_E_clISt17integral_constantIbLb1EES1J_EEDaS1E_S1F_EUlS1E_E_NS1_11comp_targetILNS1_3genE2ELNS1_11target_archE906ELNS1_3gpuE6ELNS1_3repE0EEENS1_30default_config_static_selectorELNS0_4arch9wavefront6targetE0EEEvT1_
	.p2align	8
	.type	_ZN7rocprim17ROCPRIM_400000_NS6detail17trampoline_kernelINS0_14default_configENS1_25partition_config_selectorILNS1_17partition_subalgoE6EN6thrust23THRUST_200600_302600_NS5tupleIjjNS7_9null_typeES9_S9_S9_S9_S9_S9_S9_EENS0_10empty_typeEbEEZZNS1_14partition_implILS5_6ELb0ES3_mNS7_12zip_iteratorINS8_INS7_6detail15normal_iteratorINS7_10device_ptrIjEEEESJ_S9_S9_S9_S9_S9_S9_S9_S9_EEEEPSB_SM_NS0_5tupleIJNSE_INS8_ISJ_NS7_16discard_iteratorINS7_11use_defaultEEES9_S9_S9_S9_S9_S9_S9_S9_EEEESB_EEENSN_IJSM_SM_EEESB_PlJNSF_9not_fun_tINSF_14equal_to_valueISA_EEEEEEE10hipError_tPvRmT3_T4_T5_T6_T7_T9_mT8_P12ihipStream_tbDpT10_ENKUlT_T0_E_clISt17integral_constantIbLb1EES1J_EEDaS1E_S1F_EUlS1E_E_NS1_11comp_targetILNS1_3genE2ELNS1_11target_archE906ELNS1_3gpuE6ELNS1_3repE0EEENS1_30default_config_static_selectorELNS0_4arch9wavefront6targetE0EEEvT1_,@function
_ZN7rocprim17ROCPRIM_400000_NS6detail17trampoline_kernelINS0_14default_configENS1_25partition_config_selectorILNS1_17partition_subalgoE6EN6thrust23THRUST_200600_302600_NS5tupleIjjNS7_9null_typeES9_S9_S9_S9_S9_S9_S9_EENS0_10empty_typeEbEEZZNS1_14partition_implILS5_6ELb0ES3_mNS7_12zip_iteratorINS8_INS7_6detail15normal_iteratorINS7_10device_ptrIjEEEESJ_S9_S9_S9_S9_S9_S9_S9_S9_EEEEPSB_SM_NS0_5tupleIJNSE_INS8_ISJ_NS7_16discard_iteratorINS7_11use_defaultEEES9_S9_S9_S9_S9_S9_S9_S9_EEEESB_EEENSN_IJSM_SM_EEESB_PlJNSF_9not_fun_tINSF_14equal_to_valueISA_EEEEEEE10hipError_tPvRmT3_T4_T5_T6_T7_T9_mT8_P12ihipStream_tbDpT10_ENKUlT_T0_E_clISt17integral_constantIbLb1EES1J_EEDaS1E_S1F_EUlS1E_E_NS1_11comp_targetILNS1_3genE2ELNS1_11target_archE906ELNS1_3gpuE6ELNS1_3repE0EEENS1_30default_config_static_selectorELNS0_4arch9wavefront6targetE0EEEvT1_: ; @_ZN7rocprim17ROCPRIM_400000_NS6detail17trampoline_kernelINS0_14default_configENS1_25partition_config_selectorILNS1_17partition_subalgoE6EN6thrust23THRUST_200600_302600_NS5tupleIjjNS7_9null_typeES9_S9_S9_S9_S9_S9_S9_EENS0_10empty_typeEbEEZZNS1_14partition_implILS5_6ELb0ES3_mNS7_12zip_iteratorINS8_INS7_6detail15normal_iteratorINS7_10device_ptrIjEEEESJ_S9_S9_S9_S9_S9_S9_S9_S9_EEEEPSB_SM_NS0_5tupleIJNSE_INS8_ISJ_NS7_16discard_iteratorINS7_11use_defaultEEES9_S9_S9_S9_S9_S9_S9_S9_EEEESB_EEENSN_IJSM_SM_EEESB_PlJNSF_9not_fun_tINSF_14equal_to_valueISA_EEEEEEE10hipError_tPvRmT3_T4_T5_T6_T7_T9_mT8_P12ihipStream_tbDpT10_ENKUlT_T0_E_clISt17integral_constantIbLb1EES1J_EEDaS1E_S1F_EUlS1E_E_NS1_11comp_targetILNS1_3genE2ELNS1_11target_archE906ELNS1_3gpuE6ELNS1_3repE0EEENS1_30default_config_static_selectorELNS0_4arch9wavefront6targetE0EEEvT1_
; %bb.0:
	.section	.rodata,"a",@progbits
	.p2align	6, 0x0
	.amdhsa_kernel _ZN7rocprim17ROCPRIM_400000_NS6detail17trampoline_kernelINS0_14default_configENS1_25partition_config_selectorILNS1_17partition_subalgoE6EN6thrust23THRUST_200600_302600_NS5tupleIjjNS7_9null_typeES9_S9_S9_S9_S9_S9_S9_EENS0_10empty_typeEbEEZZNS1_14partition_implILS5_6ELb0ES3_mNS7_12zip_iteratorINS8_INS7_6detail15normal_iteratorINS7_10device_ptrIjEEEESJ_S9_S9_S9_S9_S9_S9_S9_S9_EEEEPSB_SM_NS0_5tupleIJNSE_INS8_ISJ_NS7_16discard_iteratorINS7_11use_defaultEEES9_S9_S9_S9_S9_S9_S9_S9_EEEESB_EEENSN_IJSM_SM_EEESB_PlJNSF_9not_fun_tINSF_14equal_to_valueISA_EEEEEEE10hipError_tPvRmT3_T4_T5_T6_T7_T9_mT8_P12ihipStream_tbDpT10_ENKUlT_T0_E_clISt17integral_constantIbLb1EES1J_EEDaS1E_S1F_EUlS1E_E_NS1_11comp_targetILNS1_3genE2ELNS1_11target_archE906ELNS1_3gpuE6ELNS1_3repE0EEENS1_30default_config_static_selectorELNS0_4arch9wavefront6targetE0EEEvT1_
		.amdhsa_group_segment_fixed_size 0
		.amdhsa_private_segment_fixed_size 0
		.amdhsa_kernarg_size 152
		.amdhsa_user_sgpr_count 2
		.amdhsa_user_sgpr_dispatch_ptr 0
		.amdhsa_user_sgpr_queue_ptr 0
		.amdhsa_user_sgpr_kernarg_segment_ptr 1
		.amdhsa_user_sgpr_dispatch_id 0
		.amdhsa_user_sgpr_private_segment_size 0
		.amdhsa_wavefront_size32 1
		.amdhsa_uses_dynamic_stack 0
		.amdhsa_enable_private_segment 0
		.amdhsa_system_sgpr_workgroup_id_x 1
		.amdhsa_system_sgpr_workgroup_id_y 0
		.amdhsa_system_sgpr_workgroup_id_z 0
		.amdhsa_system_sgpr_workgroup_info 0
		.amdhsa_system_vgpr_workitem_id 0
		.amdhsa_next_free_vgpr 1
		.amdhsa_next_free_sgpr 1
		.amdhsa_reserve_vcc 0
		.amdhsa_float_round_mode_32 0
		.amdhsa_float_round_mode_16_64 0
		.amdhsa_float_denorm_mode_32 3
		.amdhsa_float_denorm_mode_16_64 3
		.amdhsa_fp16_overflow 0
		.amdhsa_workgroup_processor_mode 1
		.amdhsa_memory_ordered 1
		.amdhsa_forward_progress 1
		.amdhsa_inst_pref_size 0
		.amdhsa_round_robin_scheduling 0
		.amdhsa_exception_fp_ieee_invalid_op 0
		.amdhsa_exception_fp_denorm_src 0
		.amdhsa_exception_fp_ieee_div_zero 0
		.amdhsa_exception_fp_ieee_overflow 0
		.amdhsa_exception_fp_ieee_underflow 0
		.amdhsa_exception_fp_ieee_inexact 0
		.amdhsa_exception_int_div_zero 0
	.end_amdhsa_kernel
	.section	.text._ZN7rocprim17ROCPRIM_400000_NS6detail17trampoline_kernelINS0_14default_configENS1_25partition_config_selectorILNS1_17partition_subalgoE6EN6thrust23THRUST_200600_302600_NS5tupleIjjNS7_9null_typeES9_S9_S9_S9_S9_S9_S9_EENS0_10empty_typeEbEEZZNS1_14partition_implILS5_6ELb0ES3_mNS7_12zip_iteratorINS8_INS7_6detail15normal_iteratorINS7_10device_ptrIjEEEESJ_S9_S9_S9_S9_S9_S9_S9_S9_EEEEPSB_SM_NS0_5tupleIJNSE_INS8_ISJ_NS7_16discard_iteratorINS7_11use_defaultEEES9_S9_S9_S9_S9_S9_S9_S9_EEEESB_EEENSN_IJSM_SM_EEESB_PlJNSF_9not_fun_tINSF_14equal_to_valueISA_EEEEEEE10hipError_tPvRmT3_T4_T5_T6_T7_T9_mT8_P12ihipStream_tbDpT10_ENKUlT_T0_E_clISt17integral_constantIbLb1EES1J_EEDaS1E_S1F_EUlS1E_E_NS1_11comp_targetILNS1_3genE2ELNS1_11target_archE906ELNS1_3gpuE6ELNS1_3repE0EEENS1_30default_config_static_selectorELNS0_4arch9wavefront6targetE0EEEvT1_,"axG",@progbits,_ZN7rocprim17ROCPRIM_400000_NS6detail17trampoline_kernelINS0_14default_configENS1_25partition_config_selectorILNS1_17partition_subalgoE6EN6thrust23THRUST_200600_302600_NS5tupleIjjNS7_9null_typeES9_S9_S9_S9_S9_S9_S9_EENS0_10empty_typeEbEEZZNS1_14partition_implILS5_6ELb0ES3_mNS7_12zip_iteratorINS8_INS7_6detail15normal_iteratorINS7_10device_ptrIjEEEESJ_S9_S9_S9_S9_S9_S9_S9_S9_EEEEPSB_SM_NS0_5tupleIJNSE_INS8_ISJ_NS7_16discard_iteratorINS7_11use_defaultEEES9_S9_S9_S9_S9_S9_S9_S9_EEEESB_EEENSN_IJSM_SM_EEESB_PlJNSF_9not_fun_tINSF_14equal_to_valueISA_EEEEEEE10hipError_tPvRmT3_T4_T5_T6_T7_T9_mT8_P12ihipStream_tbDpT10_ENKUlT_T0_E_clISt17integral_constantIbLb1EES1J_EEDaS1E_S1F_EUlS1E_E_NS1_11comp_targetILNS1_3genE2ELNS1_11target_archE906ELNS1_3gpuE6ELNS1_3repE0EEENS1_30default_config_static_selectorELNS0_4arch9wavefront6targetE0EEEvT1_,comdat
.Lfunc_end1929:
	.size	_ZN7rocprim17ROCPRIM_400000_NS6detail17trampoline_kernelINS0_14default_configENS1_25partition_config_selectorILNS1_17partition_subalgoE6EN6thrust23THRUST_200600_302600_NS5tupleIjjNS7_9null_typeES9_S9_S9_S9_S9_S9_S9_EENS0_10empty_typeEbEEZZNS1_14partition_implILS5_6ELb0ES3_mNS7_12zip_iteratorINS8_INS7_6detail15normal_iteratorINS7_10device_ptrIjEEEESJ_S9_S9_S9_S9_S9_S9_S9_S9_EEEEPSB_SM_NS0_5tupleIJNSE_INS8_ISJ_NS7_16discard_iteratorINS7_11use_defaultEEES9_S9_S9_S9_S9_S9_S9_S9_EEEESB_EEENSN_IJSM_SM_EEESB_PlJNSF_9not_fun_tINSF_14equal_to_valueISA_EEEEEEE10hipError_tPvRmT3_T4_T5_T6_T7_T9_mT8_P12ihipStream_tbDpT10_ENKUlT_T0_E_clISt17integral_constantIbLb1EES1J_EEDaS1E_S1F_EUlS1E_E_NS1_11comp_targetILNS1_3genE2ELNS1_11target_archE906ELNS1_3gpuE6ELNS1_3repE0EEENS1_30default_config_static_selectorELNS0_4arch9wavefront6targetE0EEEvT1_, .Lfunc_end1929-_ZN7rocprim17ROCPRIM_400000_NS6detail17trampoline_kernelINS0_14default_configENS1_25partition_config_selectorILNS1_17partition_subalgoE6EN6thrust23THRUST_200600_302600_NS5tupleIjjNS7_9null_typeES9_S9_S9_S9_S9_S9_S9_EENS0_10empty_typeEbEEZZNS1_14partition_implILS5_6ELb0ES3_mNS7_12zip_iteratorINS8_INS7_6detail15normal_iteratorINS7_10device_ptrIjEEEESJ_S9_S9_S9_S9_S9_S9_S9_S9_EEEEPSB_SM_NS0_5tupleIJNSE_INS8_ISJ_NS7_16discard_iteratorINS7_11use_defaultEEES9_S9_S9_S9_S9_S9_S9_S9_EEEESB_EEENSN_IJSM_SM_EEESB_PlJNSF_9not_fun_tINSF_14equal_to_valueISA_EEEEEEE10hipError_tPvRmT3_T4_T5_T6_T7_T9_mT8_P12ihipStream_tbDpT10_ENKUlT_T0_E_clISt17integral_constantIbLb1EES1J_EEDaS1E_S1F_EUlS1E_E_NS1_11comp_targetILNS1_3genE2ELNS1_11target_archE906ELNS1_3gpuE6ELNS1_3repE0EEENS1_30default_config_static_selectorELNS0_4arch9wavefront6targetE0EEEvT1_
                                        ; -- End function
	.set _ZN7rocprim17ROCPRIM_400000_NS6detail17trampoline_kernelINS0_14default_configENS1_25partition_config_selectorILNS1_17partition_subalgoE6EN6thrust23THRUST_200600_302600_NS5tupleIjjNS7_9null_typeES9_S9_S9_S9_S9_S9_S9_EENS0_10empty_typeEbEEZZNS1_14partition_implILS5_6ELb0ES3_mNS7_12zip_iteratorINS8_INS7_6detail15normal_iteratorINS7_10device_ptrIjEEEESJ_S9_S9_S9_S9_S9_S9_S9_S9_EEEEPSB_SM_NS0_5tupleIJNSE_INS8_ISJ_NS7_16discard_iteratorINS7_11use_defaultEEES9_S9_S9_S9_S9_S9_S9_S9_EEEESB_EEENSN_IJSM_SM_EEESB_PlJNSF_9not_fun_tINSF_14equal_to_valueISA_EEEEEEE10hipError_tPvRmT3_T4_T5_T6_T7_T9_mT8_P12ihipStream_tbDpT10_ENKUlT_T0_E_clISt17integral_constantIbLb1EES1J_EEDaS1E_S1F_EUlS1E_E_NS1_11comp_targetILNS1_3genE2ELNS1_11target_archE906ELNS1_3gpuE6ELNS1_3repE0EEENS1_30default_config_static_selectorELNS0_4arch9wavefront6targetE0EEEvT1_.num_vgpr, 0
	.set _ZN7rocprim17ROCPRIM_400000_NS6detail17trampoline_kernelINS0_14default_configENS1_25partition_config_selectorILNS1_17partition_subalgoE6EN6thrust23THRUST_200600_302600_NS5tupleIjjNS7_9null_typeES9_S9_S9_S9_S9_S9_S9_EENS0_10empty_typeEbEEZZNS1_14partition_implILS5_6ELb0ES3_mNS7_12zip_iteratorINS8_INS7_6detail15normal_iteratorINS7_10device_ptrIjEEEESJ_S9_S9_S9_S9_S9_S9_S9_S9_EEEEPSB_SM_NS0_5tupleIJNSE_INS8_ISJ_NS7_16discard_iteratorINS7_11use_defaultEEES9_S9_S9_S9_S9_S9_S9_S9_EEEESB_EEENSN_IJSM_SM_EEESB_PlJNSF_9not_fun_tINSF_14equal_to_valueISA_EEEEEEE10hipError_tPvRmT3_T4_T5_T6_T7_T9_mT8_P12ihipStream_tbDpT10_ENKUlT_T0_E_clISt17integral_constantIbLb1EES1J_EEDaS1E_S1F_EUlS1E_E_NS1_11comp_targetILNS1_3genE2ELNS1_11target_archE906ELNS1_3gpuE6ELNS1_3repE0EEENS1_30default_config_static_selectorELNS0_4arch9wavefront6targetE0EEEvT1_.num_agpr, 0
	.set _ZN7rocprim17ROCPRIM_400000_NS6detail17trampoline_kernelINS0_14default_configENS1_25partition_config_selectorILNS1_17partition_subalgoE6EN6thrust23THRUST_200600_302600_NS5tupleIjjNS7_9null_typeES9_S9_S9_S9_S9_S9_S9_EENS0_10empty_typeEbEEZZNS1_14partition_implILS5_6ELb0ES3_mNS7_12zip_iteratorINS8_INS7_6detail15normal_iteratorINS7_10device_ptrIjEEEESJ_S9_S9_S9_S9_S9_S9_S9_S9_EEEEPSB_SM_NS0_5tupleIJNSE_INS8_ISJ_NS7_16discard_iteratorINS7_11use_defaultEEES9_S9_S9_S9_S9_S9_S9_S9_EEEESB_EEENSN_IJSM_SM_EEESB_PlJNSF_9not_fun_tINSF_14equal_to_valueISA_EEEEEEE10hipError_tPvRmT3_T4_T5_T6_T7_T9_mT8_P12ihipStream_tbDpT10_ENKUlT_T0_E_clISt17integral_constantIbLb1EES1J_EEDaS1E_S1F_EUlS1E_E_NS1_11comp_targetILNS1_3genE2ELNS1_11target_archE906ELNS1_3gpuE6ELNS1_3repE0EEENS1_30default_config_static_selectorELNS0_4arch9wavefront6targetE0EEEvT1_.numbered_sgpr, 0
	.set _ZN7rocprim17ROCPRIM_400000_NS6detail17trampoline_kernelINS0_14default_configENS1_25partition_config_selectorILNS1_17partition_subalgoE6EN6thrust23THRUST_200600_302600_NS5tupleIjjNS7_9null_typeES9_S9_S9_S9_S9_S9_S9_EENS0_10empty_typeEbEEZZNS1_14partition_implILS5_6ELb0ES3_mNS7_12zip_iteratorINS8_INS7_6detail15normal_iteratorINS7_10device_ptrIjEEEESJ_S9_S9_S9_S9_S9_S9_S9_S9_EEEEPSB_SM_NS0_5tupleIJNSE_INS8_ISJ_NS7_16discard_iteratorINS7_11use_defaultEEES9_S9_S9_S9_S9_S9_S9_S9_EEEESB_EEENSN_IJSM_SM_EEESB_PlJNSF_9not_fun_tINSF_14equal_to_valueISA_EEEEEEE10hipError_tPvRmT3_T4_T5_T6_T7_T9_mT8_P12ihipStream_tbDpT10_ENKUlT_T0_E_clISt17integral_constantIbLb1EES1J_EEDaS1E_S1F_EUlS1E_E_NS1_11comp_targetILNS1_3genE2ELNS1_11target_archE906ELNS1_3gpuE6ELNS1_3repE0EEENS1_30default_config_static_selectorELNS0_4arch9wavefront6targetE0EEEvT1_.num_named_barrier, 0
	.set _ZN7rocprim17ROCPRIM_400000_NS6detail17trampoline_kernelINS0_14default_configENS1_25partition_config_selectorILNS1_17partition_subalgoE6EN6thrust23THRUST_200600_302600_NS5tupleIjjNS7_9null_typeES9_S9_S9_S9_S9_S9_S9_EENS0_10empty_typeEbEEZZNS1_14partition_implILS5_6ELb0ES3_mNS7_12zip_iteratorINS8_INS7_6detail15normal_iteratorINS7_10device_ptrIjEEEESJ_S9_S9_S9_S9_S9_S9_S9_S9_EEEEPSB_SM_NS0_5tupleIJNSE_INS8_ISJ_NS7_16discard_iteratorINS7_11use_defaultEEES9_S9_S9_S9_S9_S9_S9_S9_EEEESB_EEENSN_IJSM_SM_EEESB_PlJNSF_9not_fun_tINSF_14equal_to_valueISA_EEEEEEE10hipError_tPvRmT3_T4_T5_T6_T7_T9_mT8_P12ihipStream_tbDpT10_ENKUlT_T0_E_clISt17integral_constantIbLb1EES1J_EEDaS1E_S1F_EUlS1E_E_NS1_11comp_targetILNS1_3genE2ELNS1_11target_archE906ELNS1_3gpuE6ELNS1_3repE0EEENS1_30default_config_static_selectorELNS0_4arch9wavefront6targetE0EEEvT1_.private_seg_size, 0
	.set _ZN7rocprim17ROCPRIM_400000_NS6detail17trampoline_kernelINS0_14default_configENS1_25partition_config_selectorILNS1_17partition_subalgoE6EN6thrust23THRUST_200600_302600_NS5tupleIjjNS7_9null_typeES9_S9_S9_S9_S9_S9_S9_EENS0_10empty_typeEbEEZZNS1_14partition_implILS5_6ELb0ES3_mNS7_12zip_iteratorINS8_INS7_6detail15normal_iteratorINS7_10device_ptrIjEEEESJ_S9_S9_S9_S9_S9_S9_S9_S9_EEEEPSB_SM_NS0_5tupleIJNSE_INS8_ISJ_NS7_16discard_iteratorINS7_11use_defaultEEES9_S9_S9_S9_S9_S9_S9_S9_EEEESB_EEENSN_IJSM_SM_EEESB_PlJNSF_9not_fun_tINSF_14equal_to_valueISA_EEEEEEE10hipError_tPvRmT3_T4_T5_T6_T7_T9_mT8_P12ihipStream_tbDpT10_ENKUlT_T0_E_clISt17integral_constantIbLb1EES1J_EEDaS1E_S1F_EUlS1E_E_NS1_11comp_targetILNS1_3genE2ELNS1_11target_archE906ELNS1_3gpuE6ELNS1_3repE0EEENS1_30default_config_static_selectorELNS0_4arch9wavefront6targetE0EEEvT1_.uses_vcc, 0
	.set _ZN7rocprim17ROCPRIM_400000_NS6detail17trampoline_kernelINS0_14default_configENS1_25partition_config_selectorILNS1_17partition_subalgoE6EN6thrust23THRUST_200600_302600_NS5tupleIjjNS7_9null_typeES9_S9_S9_S9_S9_S9_S9_EENS0_10empty_typeEbEEZZNS1_14partition_implILS5_6ELb0ES3_mNS7_12zip_iteratorINS8_INS7_6detail15normal_iteratorINS7_10device_ptrIjEEEESJ_S9_S9_S9_S9_S9_S9_S9_S9_EEEEPSB_SM_NS0_5tupleIJNSE_INS8_ISJ_NS7_16discard_iteratorINS7_11use_defaultEEES9_S9_S9_S9_S9_S9_S9_S9_EEEESB_EEENSN_IJSM_SM_EEESB_PlJNSF_9not_fun_tINSF_14equal_to_valueISA_EEEEEEE10hipError_tPvRmT3_T4_T5_T6_T7_T9_mT8_P12ihipStream_tbDpT10_ENKUlT_T0_E_clISt17integral_constantIbLb1EES1J_EEDaS1E_S1F_EUlS1E_E_NS1_11comp_targetILNS1_3genE2ELNS1_11target_archE906ELNS1_3gpuE6ELNS1_3repE0EEENS1_30default_config_static_selectorELNS0_4arch9wavefront6targetE0EEEvT1_.uses_flat_scratch, 0
	.set _ZN7rocprim17ROCPRIM_400000_NS6detail17trampoline_kernelINS0_14default_configENS1_25partition_config_selectorILNS1_17partition_subalgoE6EN6thrust23THRUST_200600_302600_NS5tupleIjjNS7_9null_typeES9_S9_S9_S9_S9_S9_S9_EENS0_10empty_typeEbEEZZNS1_14partition_implILS5_6ELb0ES3_mNS7_12zip_iteratorINS8_INS7_6detail15normal_iteratorINS7_10device_ptrIjEEEESJ_S9_S9_S9_S9_S9_S9_S9_S9_EEEEPSB_SM_NS0_5tupleIJNSE_INS8_ISJ_NS7_16discard_iteratorINS7_11use_defaultEEES9_S9_S9_S9_S9_S9_S9_S9_EEEESB_EEENSN_IJSM_SM_EEESB_PlJNSF_9not_fun_tINSF_14equal_to_valueISA_EEEEEEE10hipError_tPvRmT3_T4_T5_T6_T7_T9_mT8_P12ihipStream_tbDpT10_ENKUlT_T0_E_clISt17integral_constantIbLb1EES1J_EEDaS1E_S1F_EUlS1E_E_NS1_11comp_targetILNS1_3genE2ELNS1_11target_archE906ELNS1_3gpuE6ELNS1_3repE0EEENS1_30default_config_static_selectorELNS0_4arch9wavefront6targetE0EEEvT1_.has_dyn_sized_stack, 0
	.set _ZN7rocprim17ROCPRIM_400000_NS6detail17trampoline_kernelINS0_14default_configENS1_25partition_config_selectorILNS1_17partition_subalgoE6EN6thrust23THRUST_200600_302600_NS5tupleIjjNS7_9null_typeES9_S9_S9_S9_S9_S9_S9_EENS0_10empty_typeEbEEZZNS1_14partition_implILS5_6ELb0ES3_mNS7_12zip_iteratorINS8_INS7_6detail15normal_iteratorINS7_10device_ptrIjEEEESJ_S9_S9_S9_S9_S9_S9_S9_S9_EEEEPSB_SM_NS0_5tupleIJNSE_INS8_ISJ_NS7_16discard_iteratorINS7_11use_defaultEEES9_S9_S9_S9_S9_S9_S9_S9_EEEESB_EEENSN_IJSM_SM_EEESB_PlJNSF_9not_fun_tINSF_14equal_to_valueISA_EEEEEEE10hipError_tPvRmT3_T4_T5_T6_T7_T9_mT8_P12ihipStream_tbDpT10_ENKUlT_T0_E_clISt17integral_constantIbLb1EES1J_EEDaS1E_S1F_EUlS1E_E_NS1_11comp_targetILNS1_3genE2ELNS1_11target_archE906ELNS1_3gpuE6ELNS1_3repE0EEENS1_30default_config_static_selectorELNS0_4arch9wavefront6targetE0EEEvT1_.has_recursion, 0
	.set _ZN7rocprim17ROCPRIM_400000_NS6detail17trampoline_kernelINS0_14default_configENS1_25partition_config_selectorILNS1_17partition_subalgoE6EN6thrust23THRUST_200600_302600_NS5tupleIjjNS7_9null_typeES9_S9_S9_S9_S9_S9_S9_EENS0_10empty_typeEbEEZZNS1_14partition_implILS5_6ELb0ES3_mNS7_12zip_iteratorINS8_INS7_6detail15normal_iteratorINS7_10device_ptrIjEEEESJ_S9_S9_S9_S9_S9_S9_S9_S9_EEEEPSB_SM_NS0_5tupleIJNSE_INS8_ISJ_NS7_16discard_iteratorINS7_11use_defaultEEES9_S9_S9_S9_S9_S9_S9_S9_EEEESB_EEENSN_IJSM_SM_EEESB_PlJNSF_9not_fun_tINSF_14equal_to_valueISA_EEEEEEE10hipError_tPvRmT3_T4_T5_T6_T7_T9_mT8_P12ihipStream_tbDpT10_ENKUlT_T0_E_clISt17integral_constantIbLb1EES1J_EEDaS1E_S1F_EUlS1E_E_NS1_11comp_targetILNS1_3genE2ELNS1_11target_archE906ELNS1_3gpuE6ELNS1_3repE0EEENS1_30default_config_static_selectorELNS0_4arch9wavefront6targetE0EEEvT1_.has_indirect_call, 0
	.section	.AMDGPU.csdata,"",@progbits
; Kernel info:
; codeLenInByte = 0
; TotalNumSgprs: 0
; NumVgprs: 0
; ScratchSize: 0
; MemoryBound: 0
; FloatMode: 240
; IeeeMode: 1
; LDSByteSize: 0 bytes/workgroup (compile time only)
; SGPRBlocks: 0
; VGPRBlocks: 0
; NumSGPRsForWavesPerEU: 1
; NumVGPRsForWavesPerEU: 1
; Occupancy: 16
; WaveLimiterHint : 0
; COMPUTE_PGM_RSRC2:SCRATCH_EN: 0
; COMPUTE_PGM_RSRC2:USER_SGPR: 2
; COMPUTE_PGM_RSRC2:TRAP_HANDLER: 0
; COMPUTE_PGM_RSRC2:TGID_X_EN: 1
; COMPUTE_PGM_RSRC2:TGID_Y_EN: 0
; COMPUTE_PGM_RSRC2:TGID_Z_EN: 0
; COMPUTE_PGM_RSRC2:TIDIG_COMP_CNT: 0
	.section	.text._ZN7rocprim17ROCPRIM_400000_NS6detail17trampoline_kernelINS0_14default_configENS1_25partition_config_selectorILNS1_17partition_subalgoE6EN6thrust23THRUST_200600_302600_NS5tupleIjjNS7_9null_typeES9_S9_S9_S9_S9_S9_S9_EENS0_10empty_typeEbEEZZNS1_14partition_implILS5_6ELb0ES3_mNS7_12zip_iteratorINS8_INS7_6detail15normal_iteratorINS7_10device_ptrIjEEEESJ_S9_S9_S9_S9_S9_S9_S9_S9_EEEEPSB_SM_NS0_5tupleIJNSE_INS8_ISJ_NS7_16discard_iteratorINS7_11use_defaultEEES9_S9_S9_S9_S9_S9_S9_S9_EEEESB_EEENSN_IJSM_SM_EEESB_PlJNSF_9not_fun_tINSF_14equal_to_valueISA_EEEEEEE10hipError_tPvRmT3_T4_T5_T6_T7_T9_mT8_P12ihipStream_tbDpT10_ENKUlT_T0_E_clISt17integral_constantIbLb1EES1J_EEDaS1E_S1F_EUlS1E_E_NS1_11comp_targetILNS1_3genE10ELNS1_11target_archE1200ELNS1_3gpuE4ELNS1_3repE0EEENS1_30default_config_static_selectorELNS0_4arch9wavefront6targetE0EEEvT1_,"axG",@progbits,_ZN7rocprim17ROCPRIM_400000_NS6detail17trampoline_kernelINS0_14default_configENS1_25partition_config_selectorILNS1_17partition_subalgoE6EN6thrust23THRUST_200600_302600_NS5tupleIjjNS7_9null_typeES9_S9_S9_S9_S9_S9_S9_EENS0_10empty_typeEbEEZZNS1_14partition_implILS5_6ELb0ES3_mNS7_12zip_iteratorINS8_INS7_6detail15normal_iteratorINS7_10device_ptrIjEEEESJ_S9_S9_S9_S9_S9_S9_S9_S9_EEEEPSB_SM_NS0_5tupleIJNSE_INS8_ISJ_NS7_16discard_iteratorINS7_11use_defaultEEES9_S9_S9_S9_S9_S9_S9_S9_EEEESB_EEENSN_IJSM_SM_EEESB_PlJNSF_9not_fun_tINSF_14equal_to_valueISA_EEEEEEE10hipError_tPvRmT3_T4_T5_T6_T7_T9_mT8_P12ihipStream_tbDpT10_ENKUlT_T0_E_clISt17integral_constantIbLb1EES1J_EEDaS1E_S1F_EUlS1E_E_NS1_11comp_targetILNS1_3genE10ELNS1_11target_archE1200ELNS1_3gpuE4ELNS1_3repE0EEENS1_30default_config_static_selectorELNS0_4arch9wavefront6targetE0EEEvT1_,comdat
	.protected	_ZN7rocprim17ROCPRIM_400000_NS6detail17trampoline_kernelINS0_14default_configENS1_25partition_config_selectorILNS1_17partition_subalgoE6EN6thrust23THRUST_200600_302600_NS5tupleIjjNS7_9null_typeES9_S9_S9_S9_S9_S9_S9_EENS0_10empty_typeEbEEZZNS1_14partition_implILS5_6ELb0ES3_mNS7_12zip_iteratorINS8_INS7_6detail15normal_iteratorINS7_10device_ptrIjEEEESJ_S9_S9_S9_S9_S9_S9_S9_S9_EEEEPSB_SM_NS0_5tupleIJNSE_INS8_ISJ_NS7_16discard_iteratorINS7_11use_defaultEEES9_S9_S9_S9_S9_S9_S9_S9_EEEESB_EEENSN_IJSM_SM_EEESB_PlJNSF_9not_fun_tINSF_14equal_to_valueISA_EEEEEEE10hipError_tPvRmT3_T4_T5_T6_T7_T9_mT8_P12ihipStream_tbDpT10_ENKUlT_T0_E_clISt17integral_constantIbLb1EES1J_EEDaS1E_S1F_EUlS1E_E_NS1_11comp_targetILNS1_3genE10ELNS1_11target_archE1200ELNS1_3gpuE4ELNS1_3repE0EEENS1_30default_config_static_selectorELNS0_4arch9wavefront6targetE0EEEvT1_ ; -- Begin function _ZN7rocprim17ROCPRIM_400000_NS6detail17trampoline_kernelINS0_14default_configENS1_25partition_config_selectorILNS1_17partition_subalgoE6EN6thrust23THRUST_200600_302600_NS5tupleIjjNS7_9null_typeES9_S9_S9_S9_S9_S9_S9_EENS0_10empty_typeEbEEZZNS1_14partition_implILS5_6ELb0ES3_mNS7_12zip_iteratorINS8_INS7_6detail15normal_iteratorINS7_10device_ptrIjEEEESJ_S9_S9_S9_S9_S9_S9_S9_S9_EEEEPSB_SM_NS0_5tupleIJNSE_INS8_ISJ_NS7_16discard_iteratorINS7_11use_defaultEEES9_S9_S9_S9_S9_S9_S9_S9_EEEESB_EEENSN_IJSM_SM_EEESB_PlJNSF_9not_fun_tINSF_14equal_to_valueISA_EEEEEEE10hipError_tPvRmT3_T4_T5_T6_T7_T9_mT8_P12ihipStream_tbDpT10_ENKUlT_T0_E_clISt17integral_constantIbLb1EES1J_EEDaS1E_S1F_EUlS1E_E_NS1_11comp_targetILNS1_3genE10ELNS1_11target_archE1200ELNS1_3gpuE4ELNS1_3repE0EEENS1_30default_config_static_selectorELNS0_4arch9wavefront6targetE0EEEvT1_
	.globl	_ZN7rocprim17ROCPRIM_400000_NS6detail17trampoline_kernelINS0_14default_configENS1_25partition_config_selectorILNS1_17partition_subalgoE6EN6thrust23THRUST_200600_302600_NS5tupleIjjNS7_9null_typeES9_S9_S9_S9_S9_S9_S9_EENS0_10empty_typeEbEEZZNS1_14partition_implILS5_6ELb0ES3_mNS7_12zip_iteratorINS8_INS7_6detail15normal_iteratorINS7_10device_ptrIjEEEESJ_S9_S9_S9_S9_S9_S9_S9_S9_EEEEPSB_SM_NS0_5tupleIJNSE_INS8_ISJ_NS7_16discard_iteratorINS7_11use_defaultEEES9_S9_S9_S9_S9_S9_S9_S9_EEEESB_EEENSN_IJSM_SM_EEESB_PlJNSF_9not_fun_tINSF_14equal_to_valueISA_EEEEEEE10hipError_tPvRmT3_T4_T5_T6_T7_T9_mT8_P12ihipStream_tbDpT10_ENKUlT_T0_E_clISt17integral_constantIbLb1EES1J_EEDaS1E_S1F_EUlS1E_E_NS1_11comp_targetILNS1_3genE10ELNS1_11target_archE1200ELNS1_3gpuE4ELNS1_3repE0EEENS1_30default_config_static_selectorELNS0_4arch9wavefront6targetE0EEEvT1_
	.p2align	8
	.type	_ZN7rocprim17ROCPRIM_400000_NS6detail17trampoline_kernelINS0_14default_configENS1_25partition_config_selectorILNS1_17partition_subalgoE6EN6thrust23THRUST_200600_302600_NS5tupleIjjNS7_9null_typeES9_S9_S9_S9_S9_S9_S9_EENS0_10empty_typeEbEEZZNS1_14partition_implILS5_6ELb0ES3_mNS7_12zip_iteratorINS8_INS7_6detail15normal_iteratorINS7_10device_ptrIjEEEESJ_S9_S9_S9_S9_S9_S9_S9_S9_EEEEPSB_SM_NS0_5tupleIJNSE_INS8_ISJ_NS7_16discard_iteratorINS7_11use_defaultEEES9_S9_S9_S9_S9_S9_S9_S9_EEEESB_EEENSN_IJSM_SM_EEESB_PlJNSF_9not_fun_tINSF_14equal_to_valueISA_EEEEEEE10hipError_tPvRmT3_T4_T5_T6_T7_T9_mT8_P12ihipStream_tbDpT10_ENKUlT_T0_E_clISt17integral_constantIbLb1EES1J_EEDaS1E_S1F_EUlS1E_E_NS1_11comp_targetILNS1_3genE10ELNS1_11target_archE1200ELNS1_3gpuE4ELNS1_3repE0EEENS1_30default_config_static_selectorELNS0_4arch9wavefront6targetE0EEEvT1_,@function
_ZN7rocprim17ROCPRIM_400000_NS6detail17trampoline_kernelINS0_14default_configENS1_25partition_config_selectorILNS1_17partition_subalgoE6EN6thrust23THRUST_200600_302600_NS5tupleIjjNS7_9null_typeES9_S9_S9_S9_S9_S9_S9_EENS0_10empty_typeEbEEZZNS1_14partition_implILS5_6ELb0ES3_mNS7_12zip_iteratorINS8_INS7_6detail15normal_iteratorINS7_10device_ptrIjEEEESJ_S9_S9_S9_S9_S9_S9_S9_S9_EEEEPSB_SM_NS0_5tupleIJNSE_INS8_ISJ_NS7_16discard_iteratorINS7_11use_defaultEEES9_S9_S9_S9_S9_S9_S9_S9_EEEESB_EEENSN_IJSM_SM_EEESB_PlJNSF_9not_fun_tINSF_14equal_to_valueISA_EEEEEEE10hipError_tPvRmT3_T4_T5_T6_T7_T9_mT8_P12ihipStream_tbDpT10_ENKUlT_T0_E_clISt17integral_constantIbLb1EES1J_EEDaS1E_S1F_EUlS1E_E_NS1_11comp_targetILNS1_3genE10ELNS1_11target_archE1200ELNS1_3gpuE4ELNS1_3repE0EEENS1_30default_config_static_selectorELNS0_4arch9wavefront6targetE0EEEvT1_: ; @_ZN7rocprim17ROCPRIM_400000_NS6detail17trampoline_kernelINS0_14default_configENS1_25partition_config_selectorILNS1_17partition_subalgoE6EN6thrust23THRUST_200600_302600_NS5tupleIjjNS7_9null_typeES9_S9_S9_S9_S9_S9_S9_EENS0_10empty_typeEbEEZZNS1_14partition_implILS5_6ELb0ES3_mNS7_12zip_iteratorINS8_INS7_6detail15normal_iteratorINS7_10device_ptrIjEEEESJ_S9_S9_S9_S9_S9_S9_S9_S9_EEEEPSB_SM_NS0_5tupleIJNSE_INS8_ISJ_NS7_16discard_iteratorINS7_11use_defaultEEES9_S9_S9_S9_S9_S9_S9_S9_EEEESB_EEENSN_IJSM_SM_EEESB_PlJNSF_9not_fun_tINSF_14equal_to_valueISA_EEEEEEE10hipError_tPvRmT3_T4_T5_T6_T7_T9_mT8_P12ihipStream_tbDpT10_ENKUlT_T0_E_clISt17integral_constantIbLb1EES1J_EEDaS1E_S1F_EUlS1E_E_NS1_11comp_targetILNS1_3genE10ELNS1_11target_archE1200ELNS1_3gpuE4ELNS1_3repE0EEENS1_30default_config_static_selectorELNS0_4arch9wavefront6targetE0EEEvT1_
; %bb.0:
	s_endpgm
	.section	.rodata,"a",@progbits
	.p2align	6, 0x0
	.amdhsa_kernel _ZN7rocprim17ROCPRIM_400000_NS6detail17trampoline_kernelINS0_14default_configENS1_25partition_config_selectorILNS1_17partition_subalgoE6EN6thrust23THRUST_200600_302600_NS5tupleIjjNS7_9null_typeES9_S9_S9_S9_S9_S9_S9_EENS0_10empty_typeEbEEZZNS1_14partition_implILS5_6ELb0ES3_mNS7_12zip_iteratorINS8_INS7_6detail15normal_iteratorINS7_10device_ptrIjEEEESJ_S9_S9_S9_S9_S9_S9_S9_S9_EEEEPSB_SM_NS0_5tupleIJNSE_INS8_ISJ_NS7_16discard_iteratorINS7_11use_defaultEEES9_S9_S9_S9_S9_S9_S9_S9_EEEESB_EEENSN_IJSM_SM_EEESB_PlJNSF_9not_fun_tINSF_14equal_to_valueISA_EEEEEEE10hipError_tPvRmT3_T4_T5_T6_T7_T9_mT8_P12ihipStream_tbDpT10_ENKUlT_T0_E_clISt17integral_constantIbLb1EES1J_EEDaS1E_S1F_EUlS1E_E_NS1_11comp_targetILNS1_3genE10ELNS1_11target_archE1200ELNS1_3gpuE4ELNS1_3repE0EEENS1_30default_config_static_selectorELNS0_4arch9wavefront6targetE0EEEvT1_
		.amdhsa_group_segment_fixed_size 0
		.amdhsa_private_segment_fixed_size 0
		.amdhsa_kernarg_size 152
		.amdhsa_user_sgpr_count 2
		.amdhsa_user_sgpr_dispatch_ptr 0
		.amdhsa_user_sgpr_queue_ptr 0
		.amdhsa_user_sgpr_kernarg_segment_ptr 1
		.amdhsa_user_sgpr_dispatch_id 0
		.amdhsa_user_sgpr_private_segment_size 0
		.amdhsa_wavefront_size32 1
		.amdhsa_uses_dynamic_stack 0
		.amdhsa_enable_private_segment 0
		.amdhsa_system_sgpr_workgroup_id_x 1
		.amdhsa_system_sgpr_workgroup_id_y 0
		.amdhsa_system_sgpr_workgroup_id_z 0
		.amdhsa_system_sgpr_workgroup_info 0
		.amdhsa_system_vgpr_workitem_id 0
		.amdhsa_next_free_vgpr 1
		.amdhsa_next_free_sgpr 1
		.amdhsa_reserve_vcc 0
		.amdhsa_float_round_mode_32 0
		.amdhsa_float_round_mode_16_64 0
		.amdhsa_float_denorm_mode_32 3
		.amdhsa_float_denorm_mode_16_64 3
		.amdhsa_fp16_overflow 0
		.amdhsa_workgroup_processor_mode 1
		.amdhsa_memory_ordered 1
		.amdhsa_forward_progress 1
		.amdhsa_inst_pref_size 1
		.amdhsa_round_robin_scheduling 0
		.amdhsa_exception_fp_ieee_invalid_op 0
		.amdhsa_exception_fp_denorm_src 0
		.amdhsa_exception_fp_ieee_div_zero 0
		.amdhsa_exception_fp_ieee_overflow 0
		.amdhsa_exception_fp_ieee_underflow 0
		.amdhsa_exception_fp_ieee_inexact 0
		.amdhsa_exception_int_div_zero 0
	.end_amdhsa_kernel
	.section	.text._ZN7rocprim17ROCPRIM_400000_NS6detail17trampoline_kernelINS0_14default_configENS1_25partition_config_selectorILNS1_17partition_subalgoE6EN6thrust23THRUST_200600_302600_NS5tupleIjjNS7_9null_typeES9_S9_S9_S9_S9_S9_S9_EENS0_10empty_typeEbEEZZNS1_14partition_implILS5_6ELb0ES3_mNS7_12zip_iteratorINS8_INS7_6detail15normal_iteratorINS7_10device_ptrIjEEEESJ_S9_S9_S9_S9_S9_S9_S9_S9_EEEEPSB_SM_NS0_5tupleIJNSE_INS8_ISJ_NS7_16discard_iteratorINS7_11use_defaultEEES9_S9_S9_S9_S9_S9_S9_S9_EEEESB_EEENSN_IJSM_SM_EEESB_PlJNSF_9not_fun_tINSF_14equal_to_valueISA_EEEEEEE10hipError_tPvRmT3_T4_T5_T6_T7_T9_mT8_P12ihipStream_tbDpT10_ENKUlT_T0_E_clISt17integral_constantIbLb1EES1J_EEDaS1E_S1F_EUlS1E_E_NS1_11comp_targetILNS1_3genE10ELNS1_11target_archE1200ELNS1_3gpuE4ELNS1_3repE0EEENS1_30default_config_static_selectorELNS0_4arch9wavefront6targetE0EEEvT1_,"axG",@progbits,_ZN7rocprim17ROCPRIM_400000_NS6detail17trampoline_kernelINS0_14default_configENS1_25partition_config_selectorILNS1_17partition_subalgoE6EN6thrust23THRUST_200600_302600_NS5tupleIjjNS7_9null_typeES9_S9_S9_S9_S9_S9_S9_EENS0_10empty_typeEbEEZZNS1_14partition_implILS5_6ELb0ES3_mNS7_12zip_iteratorINS8_INS7_6detail15normal_iteratorINS7_10device_ptrIjEEEESJ_S9_S9_S9_S9_S9_S9_S9_S9_EEEEPSB_SM_NS0_5tupleIJNSE_INS8_ISJ_NS7_16discard_iteratorINS7_11use_defaultEEES9_S9_S9_S9_S9_S9_S9_S9_EEEESB_EEENSN_IJSM_SM_EEESB_PlJNSF_9not_fun_tINSF_14equal_to_valueISA_EEEEEEE10hipError_tPvRmT3_T4_T5_T6_T7_T9_mT8_P12ihipStream_tbDpT10_ENKUlT_T0_E_clISt17integral_constantIbLb1EES1J_EEDaS1E_S1F_EUlS1E_E_NS1_11comp_targetILNS1_3genE10ELNS1_11target_archE1200ELNS1_3gpuE4ELNS1_3repE0EEENS1_30default_config_static_selectorELNS0_4arch9wavefront6targetE0EEEvT1_,comdat
.Lfunc_end1930:
	.size	_ZN7rocprim17ROCPRIM_400000_NS6detail17trampoline_kernelINS0_14default_configENS1_25partition_config_selectorILNS1_17partition_subalgoE6EN6thrust23THRUST_200600_302600_NS5tupleIjjNS7_9null_typeES9_S9_S9_S9_S9_S9_S9_EENS0_10empty_typeEbEEZZNS1_14partition_implILS5_6ELb0ES3_mNS7_12zip_iteratorINS8_INS7_6detail15normal_iteratorINS7_10device_ptrIjEEEESJ_S9_S9_S9_S9_S9_S9_S9_S9_EEEEPSB_SM_NS0_5tupleIJNSE_INS8_ISJ_NS7_16discard_iteratorINS7_11use_defaultEEES9_S9_S9_S9_S9_S9_S9_S9_EEEESB_EEENSN_IJSM_SM_EEESB_PlJNSF_9not_fun_tINSF_14equal_to_valueISA_EEEEEEE10hipError_tPvRmT3_T4_T5_T6_T7_T9_mT8_P12ihipStream_tbDpT10_ENKUlT_T0_E_clISt17integral_constantIbLb1EES1J_EEDaS1E_S1F_EUlS1E_E_NS1_11comp_targetILNS1_3genE10ELNS1_11target_archE1200ELNS1_3gpuE4ELNS1_3repE0EEENS1_30default_config_static_selectorELNS0_4arch9wavefront6targetE0EEEvT1_, .Lfunc_end1930-_ZN7rocprim17ROCPRIM_400000_NS6detail17trampoline_kernelINS0_14default_configENS1_25partition_config_selectorILNS1_17partition_subalgoE6EN6thrust23THRUST_200600_302600_NS5tupleIjjNS7_9null_typeES9_S9_S9_S9_S9_S9_S9_EENS0_10empty_typeEbEEZZNS1_14partition_implILS5_6ELb0ES3_mNS7_12zip_iteratorINS8_INS7_6detail15normal_iteratorINS7_10device_ptrIjEEEESJ_S9_S9_S9_S9_S9_S9_S9_S9_EEEEPSB_SM_NS0_5tupleIJNSE_INS8_ISJ_NS7_16discard_iteratorINS7_11use_defaultEEES9_S9_S9_S9_S9_S9_S9_S9_EEEESB_EEENSN_IJSM_SM_EEESB_PlJNSF_9not_fun_tINSF_14equal_to_valueISA_EEEEEEE10hipError_tPvRmT3_T4_T5_T6_T7_T9_mT8_P12ihipStream_tbDpT10_ENKUlT_T0_E_clISt17integral_constantIbLb1EES1J_EEDaS1E_S1F_EUlS1E_E_NS1_11comp_targetILNS1_3genE10ELNS1_11target_archE1200ELNS1_3gpuE4ELNS1_3repE0EEENS1_30default_config_static_selectorELNS0_4arch9wavefront6targetE0EEEvT1_
                                        ; -- End function
	.set _ZN7rocprim17ROCPRIM_400000_NS6detail17trampoline_kernelINS0_14default_configENS1_25partition_config_selectorILNS1_17partition_subalgoE6EN6thrust23THRUST_200600_302600_NS5tupleIjjNS7_9null_typeES9_S9_S9_S9_S9_S9_S9_EENS0_10empty_typeEbEEZZNS1_14partition_implILS5_6ELb0ES3_mNS7_12zip_iteratorINS8_INS7_6detail15normal_iteratorINS7_10device_ptrIjEEEESJ_S9_S9_S9_S9_S9_S9_S9_S9_EEEEPSB_SM_NS0_5tupleIJNSE_INS8_ISJ_NS7_16discard_iteratorINS7_11use_defaultEEES9_S9_S9_S9_S9_S9_S9_S9_EEEESB_EEENSN_IJSM_SM_EEESB_PlJNSF_9not_fun_tINSF_14equal_to_valueISA_EEEEEEE10hipError_tPvRmT3_T4_T5_T6_T7_T9_mT8_P12ihipStream_tbDpT10_ENKUlT_T0_E_clISt17integral_constantIbLb1EES1J_EEDaS1E_S1F_EUlS1E_E_NS1_11comp_targetILNS1_3genE10ELNS1_11target_archE1200ELNS1_3gpuE4ELNS1_3repE0EEENS1_30default_config_static_selectorELNS0_4arch9wavefront6targetE0EEEvT1_.num_vgpr, 0
	.set _ZN7rocprim17ROCPRIM_400000_NS6detail17trampoline_kernelINS0_14default_configENS1_25partition_config_selectorILNS1_17partition_subalgoE6EN6thrust23THRUST_200600_302600_NS5tupleIjjNS7_9null_typeES9_S9_S9_S9_S9_S9_S9_EENS0_10empty_typeEbEEZZNS1_14partition_implILS5_6ELb0ES3_mNS7_12zip_iteratorINS8_INS7_6detail15normal_iteratorINS7_10device_ptrIjEEEESJ_S9_S9_S9_S9_S9_S9_S9_S9_EEEEPSB_SM_NS0_5tupleIJNSE_INS8_ISJ_NS7_16discard_iteratorINS7_11use_defaultEEES9_S9_S9_S9_S9_S9_S9_S9_EEEESB_EEENSN_IJSM_SM_EEESB_PlJNSF_9not_fun_tINSF_14equal_to_valueISA_EEEEEEE10hipError_tPvRmT3_T4_T5_T6_T7_T9_mT8_P12ihipStream_tbDpT10_ENKUlT_T0_E_clISt17integral_constantIbLb1EES1J_EEDaS1E_S1F_EUlS1E_E_NS1_11comp_targetILNS1_3genE10ELNS1_11target_archE1200ELNS1_3gpuE4ELNS1_3repE0EEENS1_30default_config_static_selectorELNS0_4arch9wavefront6targetE0EEEvT1_.num_agpr, 0
	.set _ZN7rocprim17ROCPRIM_400000_NS6detail17trampoline_kernelINS0_14default_configENS1_25partition_config_selectorILNS1_17partition_subalgoE6EN6thrust23THRUST_200600_302600_NS5tupleIjjNS7_9null_typeES9_S9_S9_S9_S9_S9_S9_EENS0_10empty_typeEbEEZZNS1_14partition_implILS5_6ELb0ES3_mNS7_12zip_iteratorINS8_INS7_6detail15normal_iteratorINS7_10device_ptrIjEEEESJ_S9_S9_S9_S9_S9_S9_S9_S9_EEEEPSB_SM_NS0_5tupleIJNSE_INS8_ISJ_NS7_16discard_iteratorINS7_11use_defaultEEES9_S9_S9_S9_S9_S9_S9_S9_EEEESB_EEENSN_IJSM_SM_EEESB_PlJNSF_9not_fun_tINSF_14equal_to_valueISA_EEEEEEE10hipError_tPvRmT3_T4_T5_T6_T7_T9_mT8_P12ihipStream_tbDpT10_ENKUlT_T0_E_clISt17integral_constantIbLb1EES1J_EEDaS1E_S1F_EUlS1E_E_NS1_11comp_targetILNS1_3genE10ELNS1_11target_archE1200ELNS1_3gpuE4ELNS1_3repE0EEENS1_30default_config_static_selectorELNS0_4arch9wavefront6targetE0EEEvT1_.numbered_sgpr, 0
	.set _ZN7rocprim17ROCPRIM_400000_NS6detail17trampoline_kernelINS0_14default_configENS1_25partition_config_selectorILNS1_17partition_subalgoE6EN6thrust23THRUST_200600_302600_NS5tupleIjjNS7_9null_typeES9_S9_S9_S9_S9_S9_S9_EENS0_10empty_typeEbEEZZNS1_14partition_implILS5_6ELb0ES3_mNS7_12zip_iteratorINS8_INS7_6detail15normal_iteratorINS7_10device_ptrIjEEEESJ_S9_S9_S9_S9_S9_S9_S9_S9_EEEEPSB_SM_NS0_5tupleIJNSE_INS8_ISJ_NS7_16discard_iteratorINS7_11use_defaultEEES9_S9_S9_S9_S9_S9_S9_S9_EEEESB_EEENSN_IJSM_SM_EEESB_PlJNSF_9not_fun_tINSF_14equal_to_valueISA_EEEEEEE10hipError_tPvRmT3_T4_T5_T6_T7_T9_mT8_P12ihipStream_tbDpT10_ENKUlT_T0_E_clISt17integral_constantIbLb1EES1J_EEDaS1E_S1F_EUlS1E_E_NS1_11comp_targetILNS1_3genE10ELNS1_11target_archE1200ELNS1_3gpuE4ELNS1_3repE0EEENS1_30default_config_static_selectorELNS0_4arch9wavefront6targetE0EEEvT1_.num_named_barrier, 0
	.set _ZN7rocprim17ROCPRIM_400000_NS6detail17trampoline_kernelINS0_14default_configENS1_25partition_config_selectorILNS1_17partition_subalgoE6EN6thrust23THRUST_200600_302600_NS5tupleIjjNS7_9null_typeES9_S9_S9_S9_S9_S9_S9_EENS0_10empty_typeEbEEZZNS1_14partition_implILS5_6ELb0ES3_mNS7_12zip_iteratorINS8_INS7_6detail15normal_iteratorINS7_10device_ptrIjEEEESJ_S9_S9_S9_S9_S9_S9_S9_S9_EEEEPSB_SM_NS0_5tupleIJNSE_INS8_ISJ_NS7_16discard_iteratorINS7_11use_defaultEEES9_S9_S9_S9_S9_S9_S9_S9_EEEESB_EEENSN_IJSM_SM_EEESB_PlJNSF_9not_fun_tINSF_14equal_to_valueISA_EEEEEEE10hipError_tPvRmT3_T4_T5_T6_T7_T9_mT8_P12ihipStream_tbDpT10_ENKUlT_T0_E_clISt17integral_constantIbLb1EES1J_EEDaS1E_S1F_EUlS1E_E_NS1_11comp_targetILNS1_3genE10ELNS1_11target_archE1200ELNS1_3gpuE4ELNS1_3repE0EEENS1_30default_config_static_selectorELNS0_4arch9wavefront6targetE0EEEvT1_.private_seg_size, 0
	.set _ZN7rocprim17ROCPRIM_400000_NS6detail17trampoline_kernelINS0_14default_configENS1_25partition_config_selectorILNS1_17partition_subalgoE6EN6thrust23THRUST_200600_302600_NS5tupleIjjNS7_9null_typeES9_S9_S9_S9_S9_S9_S9_EENS0_10empty_typeEbEEZZNS1_14partition_implILS5_6ELb0ES3_mNS7_12zip_iteratorINS8_INS7_6detail15normal_iteratorINS7_10device_ptrIjEEEESJ_S9_S9_S9_S9_S9_S9_S9_S9_EEEEPSB_SM_NS0_5tupleIJNSE_INS8_ISJ_NS7_16discard_iteratorINS7_11use_defaultEEES9_S9_S9_S9_S9_S9_S9_S9_EEEESB_EEENSN_IJSM_SM_EEESB_PlJNSF_9not_fun_tINSF_14equal_to_valueISA_EEEEEEE10hipError_tPvRmT3_T4_T5_T6_T7_T9_mT8_P12ihipStream_tbDpT10_ENKUlT_T0_E_clISt17integral_constantIbLb1EES1J_EEDaS1E_S1F_EUlS1E_E_NS1_11comp_targetILNS1_3genE10ELNS1_11target_archE1200ELNS1_3gpuE4ELNS1_3repE0EEENS1_30default_config_static_selectorELNS0_4arch9wavefront6targetE0EEEvT1_.uses_vcc, 0
	.set _ZN7rocprim17ROCPRIM_400000_NS6detail17trampoline_kernelINS0_14default_configENS1_25partition_config_selectorILNS1_17partition_subalgoE6EN6thrust23THRUST_200600_302600_NS5tupleIjjNS7_9null_typeES9_S9_S9_S9_S9_S9_S9_EENS0_10empty_typeEbEEZZNS1_14partition_implILS5_6ELb0ES3_mNS7_12zip_iteratorINS8_INS7_6detail15normal_iteratorINS7_10device_ptrIjEEEESJ_S9_S9_S9_S9_S9_S9_S9_S9_EEEEPSB_SM_NS0_5tupleIJNSE_INS8_ISJ_NS7_16discard_iteratorINS7_11use_defaultEEES9_S9_S9_S9_S9_S9_S9_S9_EEEESB_EEENSN_IJSM_SM_EEESB_PlJNSF_9not_fun_tINSF_14equal_to_valueISA_EEEEEEE10hipError_tPvRmT3_T4_T5_T6_T7_T9_mT8_P12ihipStream_tbDpT10_ENKUlT_T0_E_clISt17integral_constantIbLb1EES1J_EEDaS1E_S1F_EUlS1E_E_NS1_11comp_targetILNS1_3genE10ELNS1_11target_archE1200ELNS1_3gpuE4ELNS1_3repE0EEENS1_30default_config_static_selectorELNS0_4arch9wavefront6targetE0EEEvT1_.uses_flat_scratch, 0
	.set _ZN7rocprim17ROCPRIM_400000_NS6detail17trampoline_kernelINS0_14default_configENS1_25partition_config_selectorILNS1_17partition_subalgoE6EN6thrust23THRUST_200600_302600_NS5tupleIjjNS7_9null_typeES9_S9_S9_S9_S9_S9_S9_EENS0_10empty_typeEbEEZZNS1_14partition_implILS5_6ELb0ES3_mNS7_12zip_iteratorINS8_INS7_6detail15normal_iteratorINS7_10device_ptrIjEEEESJ_S9_S9_S9_S9_S9_S9_S9_S9_EEEEPSB_SM_NS0_5tupleIJNSE_INS8_ISJ_NS7_16discard_iteratorINS7_11use_defaultEEES9_S9_S9_S9_S9_S9_S9_S9_EEEESB_EEENSN_IJSM_SM_EEESB_PlJNSF_9not_fun_tINSF_14equal_to_valueISA_EEEEEEE10hipError_tPvRmT3_T4_T5_T6_T7_T9_mT8_P12ihipStream_tbDpT10_ENKUlT_T0_E_clISt17integral_constantIbLb1EES1J_EEDaS1E_S1F_EUlS1E_E_NS1_11comp_targetILNS1_3genE10ELNS1_11target_archE1200ELNS1_3gpuE4ELNS1_3repE0EEENS1_30default_config_static_selectorELNS0_4arch9wavefront6targetE0EEEvT1_.has_dyn_sized_stack, 0
	.set _ZN7rocprim17ROCPRIM_400000_NS6detail17trampoline_kernelINS0_14default_configENS1_25partition_config_selectorILNS1_17partition_subalgoE6EN6thrust23THRUST_200600_302600_NS5tupleIjjNS7_9null_typeES9_S9_S9_S9_S9_S9_S9_EENS0_10empty_typeEbEEZZNS1_14partition_implILS5_6ELb0ES3_mNS7_12zip_iteratorINS8_INS7_6detail15normal_iteratorINS7_10device_ptrIjEEEESJ_S9_S9_S9_S9_S9_S9_S9_S9_EEEEPSB_SM_NS0_5tupleIJNSE_INS8_ISJ_NS7_16discard_iteratorINS7_11use_defaultEEES9_S9_S9_S9_S9_S9_S9_S9_EEEESB_EEENSN_IJSM_SM_EEESB_PlJNSF_9not_fun_tINSF_14equal_to_valueISA_EEEEEEE10hipError_tPvRmT3_T4_T5_T6_T7_T9_mT8_P12ihipStream_tbDpT10_ENKUlT_T0_E_clISt17integral_constantIbLb1EES1J_EEDaS1E_S1F_EUlS1E_E_NS1_11comp_targetILNS1_3genE10ELNS1_11target_archE1200ELNS1_3gpuE4ELNS1_3repE0EEENS1_30default_config_static_selectorELNS0_4arch9wavefront6targetE0EEEvT1_.has_recursion, 0
	.set _ZN7rocprim17ROCPRIM_400000_NS6detail17trampoline_kernelINS0_14default_configENS1_25partition_config_selectorILNS1_17partition_subalgoE6EN6thrust23THRUST_200600_302600_NS5tupleIjjNS7_9null_typeES9_S9_S9_S9_S9_S9_S9_EENS0_10empty_typeEbEEZZNS1_14partition_implILS5_6ELb0ES3_mNS7_12zip_iteratorINS8_INS7_6detail15normal_iteratorINS7_10device_ptrIjEEEESJ_S9_S9_S9_S9_S9_S9_S9_S9_EEEEPSB_SM_NS0_5tupleIJNSE_INS8_ISJ_NS7_16discard_iteratorINS7_11use_defaultEEES9_S9_S9_S9_S9_S9_S9_S9_EEEESB_EEENSN_IJSM_SM_EEESB_PlJNSF_9not_fun_tINSF_14equal_to_valueISA_EEEEEEE10hipError_tPvRmT3_T4_T5_T6_T7_T9_mT8_P12ihipStream_tbDpT10_ENKUlT_T0_E_clISt17integral_constantIbLb1EES1J_EEDaS1E_S1F_EUlS1E_E_NS1_11comp_targetILNS1_3genE10ELNS1_11target_archE1200ELNS1_3gpuE4ELNS1_3repE0EEENS1_30default_config_static_selectorELNS0_4arch9wavefront6targetE0EEEvT1_.has_indirect_call, 0
	.section	.AMDGPU.csdata,"",@progbits
; Kernel info:
; codeLenInByte = 4
; TotalNumSgprs: 0
; NumVgprs: 0
; ScratchSize: 0
; MemoryBound: 0
; FloatMode: 240
; IeeeMode: 1
; LDSByteSize: 0 bytes/workgroup (compile time only)
; SGPRBlocks: 0
; VGPRBlocks: 0
; NumSGPRsForWavesPerEU: 1
; NumVGPRsForWavesPerEU: 1
; Occupancy: 16
; WaveLimiterHint : 0
; COMPUTE_PGM_RSRC2:SCRATCH_EN: 0
; COMPUTE_PGM_RSRC2:USER_SGPR: 2
; COMPUTE_PGM_RSRC2:TRAP_HANDLER: 0
; COMPUTE_PGM_RSRC2:TGID_X_EN: 1
; COMPUTE_PGM_RSRC2:TGID_Y_EN: 0
; COMPUTE_PGM_RSRC2:TGID_Z_EN: 0
; COMPUTE_PGM_RSRC2:TIDIG_COMP_CNT: 0
	.section	.text._ZN7rocprim17ROCPRIM_400000_NS6detail17trampoline_kernelINS0_14default_configENS1_25partition_config_selectorILNS1_17partition_subalgoE6EN6thrust23THRUST_200600_302600_NS5tupleIjjNS7_9null_typeES9_S9_S9_S9_S9_S9_S9_EENS0_10empty_typeEbEEZZNS1_14partition_implILS5_6ELb0ES3_mNS7_12zip_iteratorINS8_INS7_6detail15normal_iteratorINS7_10device_ptrIjEEEESJ_S9_S9_S9_S9_S9_S9_S9_S9_EEEEPSB_SM_NS0_5tupleIJNSE_INS8_ISJ_NS7_16discard_iteratorINS7_11use_defaultEEES9_S9_S9_S9_S9_S9_S9_S9_EEEESB_EEENSN_IJSM_SM_EEESB_PlJNSF_9not_fun_tINSF_14equal_to_valueISA_EEEEEEE10hipError_tPvRmT3_T4_T5_T6_T7_T9_mT8_P12ihipStream_tbDpT10_ENKUlT_T0_E_clISt17integral_constantIbLb1EES1J_EEDaS1E_S1F_EUlS1E_E_NS1_11comp_targetILNS1_3genE9ELNS1_11target_archE1100ELNS1_3gpuE3ELNS1_3repE0EEENS1_30default_config_static_selectorELNS0_4arch9wavefront6targetE0EEEvT1_,"axG",@progbits,_ZN7rocprim17ROCPRIM_400000_NS6detail17trampoline_kernelINS0_14default_configENS1_25partition_config_selectorILNS1_17partition_subalgoE6EN6thrust23THRUST_200600_302600_NS5tupleIjjNS7_9null_typeES9_S9_S9_S9_S9_S9_S9_EENS0_10empty_typeEbEEZZNS1_14partition_implILS5_6ELb0ES3_mNS7_12zip_iteratorINS8_INS7_6detail15normal_iteratorINS7_10device_ptrIjEEEESJ_S9_S9_S9_S9_S9_S9_S9_S9_EEEEPSB_SM_NS0_5tupleIJNSE_INS8_ISJ_NS7_16discard_iteratorINS7_11use_defaultEEES9_S9_S9_S9_S9_S9_S9_S9_EEEESB_EEENSN_IJSM_SM_EEESB_PlJNSF_9not_fun_tINSF_14equal_to_valueISA_EEEEEEE10hipError_tPvRmT3_T4_T5_T6_T7_T9_mT8_P12ihipStream_tbDpT10_ENKUlT_T0_E_clISt17integral_constantIbLb1EES1J_EEDaS1E_S1F_EUlS1E_E_NS1_11comp_targetILNS1_3genE9ELNS1_11target_archE1100ELNS1_3gpuE3ELNS1_3repE0EEENS1_30default_config_static_selectorELNS0_4arch9wavefront6targetE0EEEvT1_,comdat
	.protected	_ZN7rocprim17ROCPRIM_400000_NS6detail17trampoline_kernelINS0_14default_configENS1_25partition_config_selectorILNS1_17partition_subalgoE6EN6thrust23THRUST_200600_302600_NS5tupleIjjNS7_9null_typeES9_S9_S9_S9_S9_S9_S9_EENS0_10empty_typeEbEEZZNS1_14partition_implILS5_6ELb0ES3_mNS7_12zip_iteratorINS8_INS7_6detail15normal_iteratorINS7_10device_ptrIjEEEESJ_S9_S9_S9_S9_S9_S9_S9_S9_EEEEPSB_SM_NS0_5tupleIJNSE_INS8_ISJ_NS7_16discard_iteratorINS7_11use_defaultEEES9_S9_S9_S9_S9_S9_S9_S9_EEEESB_EEENSN_IJSM_SM_EEESB_PlJNSF_9not_fun_tINSF_14equal_to_valueISA_EEEEEEE10hipError_tPvRmT3_T4_T5_T6_T7_T9_mT8_P12ihipStream_tbDpT10_ENKUlT_T0_E_clISt17integral_constantIbLb1EES1J_EEDaS1E_S1F_EUlS1E_E_NS1_11comp_targetILNS1_3genE9ELNS1_11target_archE1100ELNS1_3gpuE3ELNS1_3repE0EEENS1_30default_config_static_selectorELNS0_4arch9wavefront6targetE0EEEvT1_ ; -- Begin function _ZN7rocprim17ROCPRIM_400000_NS6detail17trampoline_kernelINS0_14default_configENS1_25partition_config_selectorILNS1_17partition_subalgoE6EN6thrust23THRUST_200600_302600_NS5tupleIjjNS7_9null_typeES9_S9_S9_S9_S9_S9_S9_EENS0_10empty_typeEbEEZZNS1_14partition_implILS5_6ELb0ES3_mNS7_12zip_iteratorINS8_INS7_6detail15normal_iteratorINS7_10device_ptrIjEEEESJ_S9_S9_S9_S9_S9_S9_S9_S9_EEEEPSB_SM_NS0_5tupleIJNSE_INS8_ISJ_NS7_16discard_iteratorINS7_11use_defaultEEES9_S9_S9_S9_S9_S9_S9_S9_EEEESB_EEENSN_IJSM_SM_EEESB_PlJNSF_9not_fun_tINSF_14equal_to_valueISA_EEEEEEE10hipError_tPvRmT3_T4_T5_T6_T7_T9_mT8_P12ihipStream_tbDpT10_ENKUlT_T0_E_clISt17integral_constantIbLb1EES1J_EEDaS1E_S1F_EUlS1E_E_NS1_11comp_targetILNS1_3genE9ELNS1_11target_archE1100ELNS1_3gpuE3ELNS1_3repE0EEENS1_30default_config_static_selectorELNS0_4arch9wavefront6targetE0EEEvT1_
	.globl	_ZN7rocprim17ROCPRIM_400000_NS6detail17trampoline_kernelINS0_14default_configENS1_25partition_config_selectorILNS1_17partition_subalgoE6EN6thrust23THRUST_200600_302600_NS5tupleIjjNS7_9null_typeES9_S9_S9_S9_S9_S9_S9_EENS0_10empty_typeEbEEZZNS1_14partition_implILS5_6ELb0ES3_mNS7_12zip_iteratorINS8_INS7_6detail15normal_iteratorINS7_10device_ptrIjEEEESJ_S9_S9_S9_S9_S9_S9_S9_S9_EEEEPSB_SM_NS0_5tupleIJNSE_INS8_ISJ_NS7_16discard_iteratorINS7_11use_defaultEEES9_S9_S9_S9_S9_S9_S9_S9_EEEESB_EEENSN_IJSM_SM_EEESB_PlJNSF_9not_fun_tINSF_14equal_to_valueISA_EEEEEEE10hipError_tPvRmT3_T4_T5_T6_T7_T9_mT8_P12ihipStream_tbDpT10_ENKUlT_T0_E_clISt17integral_constantIbLb1EES1J_EEDaS1E_S1F_EUlS1E_E_NS1_11comp_targetILNS1_3genE9ELNS1_11target_archE1100ELNS1_3gpuE3ELNS1_3repE0EEENS1_30default_config_static_selectorELNS0_4arch9wavefront6targetE0EEEvT1_
	.p2align	8
	.type	_ZN7rocprim17ROCPRIM_400000_NS6detail17trampoline_kernelINS0_14default_configENS1_25partition_config_selectorILNS1_17partition_subalgoE6EN6thrust23THRUST_200600_302600_NS5tupleIjjNS7_9null_typeES9_S9_S9_S9_S9_S9_S9_EENS0_10empty_typeEbEEZZNS1_14partition_implILS5_6ELb0ES3_mNS7_12zip_iteratorINS8_INS7_6detail15normal_iteratorINS7_10device_ptrIjEEEESJ_S9_S9_S9_S9_S9_S9_S9_S9_EEEEPSB_SM_NS0_5tupleIJNSE_INS8_ISJ_NS7_16discard_iteratorINS7_11use_defaultEEES9_S9_S9_S9_S9_S9_S9_S9_EEEESB_EEENSN_IJSM_SM_EEESB_PlJNSF_9not_fun_tINSF_14equal_to_valueISA_EEEEEEE10hipError_tPvRmT3_T4_T5_T6_T7_T9_mT8_P12ihipStream_tbDpT10_ENKUlT_T0_E_clISt17integral_constantIbLb1EES1J_EEDaS1E_S1F_EUlS1E_E_NS1_11comp_targetILNS1_3genE9ELNS1_11target_archE1100ELNS1_3gpuE3ELNS1_3repE0EEENS1_30default_config_static_selectorELNS0_4arch9wavefront6targetE0EEEvT1_,@function
_ZN7rocprim17ROCPRIM_400000_NS6detail17trampoline_kernelINS0_14default_configENS1_25partition_config_selectorILNS1_17partition_subalgoE6EN6thrust23THRUST_200600_302600_NS5tupleIjjNS7_9null_typeES9_S9_S9_S9_S9_S9_S9_EENS0_10empty_typeEbEEZZNS1_14partition_implILS5_6ELb0ES3_mNS7_12zip_iteratorINS8_INS7_6detail15normal_iteratorINS7_10device_ptrIjEEEESJ_S9_S9_S9_S9_S9_S9_S9_S9_EEEEPSB_SM_NS0_5tupleIJNSE_INS8_ISJ_NS7_16discard_iteratorINS7_11use_defaultEEES9_S9_S9_S9_S9_S9_S9_S9_EEEESB_EEENSN_IJSM_SM_EEESB_PlJNSF_9not_fun_tINSF_14equal_to_valueISA_EEEEEEE10hipError_tPvRmT3_T4_T5_T6_T7_T9_mT8_P12ihipStream_tbDpT10_ENKUlT_T0_E_clISt17integral_constantIbLb1EES1J_EEDaS1E_S1F_EUlS1E_E_NS1_11comp_targetILNS1_3genE9ELNS1_11target_archE1100ELNS1_3gpuE3ELNS1_3repE0EEENS1_30default_config_static_selectorELNS0_4arch9wavefront6targetE0EEEvT1_: ; @_ZN7rocprim17ROCPRIM_400000_NS6detail17trampoline_kernelINS0_14default_configENS1_25partition_config_selectorILNS1_17partition_subalgoE6EN6thrust23THRUST_200600_302600_NS5tupleIjjNS7_9null_typeES9_S9_S9_S9_S9_S9_S9_EENS0_10empty_typeEbEEZZNS1_14partition_implILS5_6ELb0ES3_mNS7_12zip_iteratorINS8_INS7_6detail15normal_iteratorINS7_10device_ptrIjEEEESJ_S9_S9_S9_S9_S9_S9_S9_S9_EEEEPSB_SM_NS0_5tupleIJNSE_INS8_ISJ_NS7_16discard_iteratorINS7_11use_defaultEEES9_S9_S9_S9_S9_S9_S9_S9_EEEESB_EEENSN_IJSM_SM_EEESB_PlJNSF_9not_fun_tINSF_14equal_to_valueISA_EEEEEEE10hipError_tPvRmT3_T4_T5_T6_T7_T9_mT8_P12ihipStream_tbDpT10_ENKUlT_T0_E_clISt17integral_constantIbLb1EES1J_EEDaS1E_S1F_EUlS1E_E_NS1_11comp_targetILNS1_3genE9ELNS1_11target_archE1100ELNS1_3gpuE3ELNS1_3repE0EEENS1_30default_config_static_selectorELNS0_4arch9wavefront6targetE0EEEvT1_
; %bb.0:
	.section	.rodata,"a",@progbits
	.p2align	6, 0x0
	.amdhsa_kernel _ZN7rocprim17ROCPRIM_400000_NS6detail17trampoline_kernelINS0_14default_configENS1_25partition_config_selectorILNS1_17partition_subalgoE6EN6thrust23THRUST_200600_302600_NS5tupleIjjNS7_9null_typeES9_S9_S9_S9_S9_S9_S9_EENS0_10empty_typeEbEEZZNS1_14partition_implILS5_6ELb0ES3_mNS7_12zip_iteratorINS8_INS7_6detail15normal_iteratorINS7_10device_ptrIjEEEESJ_S9_S9_S9_S9_S9_S9_S9_S9_EEEEPSB_SM_NS0_5tupleIJNSE_INS8_ISJ_NS7_16discard_iteratorINS7_11use_defaultEEES9_S9_S9_S9_S9_S9_S9_S9_EEEESB_EEENSN_IJSM_SM_EEESB_PlJNSF_9not_fun_tINSF_14equal_to_valueISA_EEEEEEE10hipError_tPvRmT3_T4_T5_T6_T7_T9_mT8_P12ihipStream_tbDpT10_ENKUlT_T0_E_clISt17integral_constantIbLb1EES1J_EEDaS1E_S1F_EUlS1E_E_NS1_11comp_targetILNS1_3genE9ELNS1_11target_archE1100ELNS1_3gpuE3ELNS1_3repE0EEENS1_30default_config_static_selectorELNS0_4arch9wavefront6targetE0EEEvT1_
		.amdhsa_group_segment_fixed_size 0
		.amdhsa_private_segment_fixed_size 0
		.amdhsa_kernarg_size 152
		.amdhsa_user_sgpr_count 2
		.amdhsa_user_sgpr_dispatch_ptr 0
		.amdhsa_user_sgpr_queue_ptr 0
		.amdhsa_user_sgpr_kernarg_segment_ptr 1
		.amdhsa_user_sgpr_dispatch_id 0
		.amdhsa_user_sgpr_private_segment_size 0
		.amdhsa_wavefront_size32 1
		.amdhsa_uses_dynamic_stack 0
		.amdhsa_enable_private_segment 0
		.amdhsa_system_sgpr_workgroup_id_x 1
		.amdhsa_system_sgpr_workgroup_id_y 0
		.amdhsa_system_sgpr_workgroup_id_z 0
		.amdhsa_system_sgpr_workgroup_info 0
		.amdhsa_system_vgpr_workitem_id 0
		.amdhsa_next_free_vgpr 1
		.amdhsa_next_free_sgpr 1
		.amdhsa_reserve_vcc 0
		.amdhsa_float_round_mode_32 0
		.amdhsa_float_round_mode_16_64 0
		.amdhsa_float_denorm_mode_32 3
		.amdhsa_float_denorm_mode_16_64 3
		.amdhsa_fp16_overflow 0
		.amdhsa_workgroup_processor_mode 1
		.amdhsa_memory_ordered 1
		.amdhsa_forward_progress 1
		.amdhsa_inst_pref_size 0
		.amdhsa_round_robin_scheduling 0
		.amdhsa_exception_fp_ieee_invalid_op 0
		.amdhsa_exception_fp_denorm_src 0
		.amdhsa_exception_fp_ieee_div_zero 0
		.amdhsa_exception_fp_ieee_overflow 0
		.amdhsa_exception_fp_ieee_underflow 0
		.amdhsa_exception_fp_ieee_inexact 0
		.amdhsa_exception_int_div_zero 0
	.end_amdhsa_kernel
	.section	.text._ZN7rocprim17ROCPRIM_400000_NS6detail17trampoline_kernelINS0_14default_configENS1_25partition_config_selectorILNS1_17partition_subalgoE6EN6thrust23THRUST_200600_302600_NS5tupleIjjNS7_9null_typeES9_S9_S9_S9_S9_S9_S9_EENS0_10empty_typeEbEEZZNS1_14partition_implILS5_6ELb0ES3_mNS7_12zip_iteratorINS8_INS7_6detail15normal_iteratorINS7_10device_ptrIjEEEESJ_S9_S9_S9_S9_S9_S9_S9_S9_EEEEPSB_SM_NS0_5tupleIJNSE_INS8_ISJ_NS7_16discard_iteratorINS7_11use_defaultEEES9_S9_S9_S9_S9_S9_S9_S9_EEEESB_EEENSN_IJSM_SM_EEESB_PlJNSF_9not_fun_tINSF_14equal_to_valueISA_EEEEEEE10hipError_tPvRmT3_T4_T5_T6_T7_T9_mT8_P12ihipStream_tbDpT10_ENKUlT_T0_E_clISt17integral_constantIbLb1EES1J_EEDaS1E_S1F_EUlS1E_E_NS1_11comp_targetILNS1_3genE9ELNS1_11target_archE1100ELNS1_3gpuE3ELNS1_3repE0EEENS1_30default_config_static_selectorELNS0_4arch9wavefront6targetE0EEEvT1_,"axG",@progbits,_ZN7rocprim17ROCPRIM_400000_NS6detail17trampoline_kernelINS0_14default_configENS1_25partition_config_selectorILNS1_17partition_subalgoE6EN6thrust23THRUST_200600_302600_NS5tupleIjjNS7_9null_typeES9_S9_S9_S9_S9_S9_S9_EENS0_10empty_typeEbEEZZNS1_14partition_implILS5_6ELb0ES3_mNS7_12zip_iteratorINS8_INS7_6detail15normal_iteratorINS7_10device_ptrIjEEEESJ_S9_S9_S9_S9_S9_S9_S9_S9_EEEEPSB_SM_NS0_5tupleIJNSE_INS8_ISJ_NS7_16discard_iteratorINS7_11use_defaultEEES9_S9_S9_S9_S9_S9_S9_S9_EEEESB_EEENSN_IJSM_SM_EEESB_PlJNSF_9not_fun_tINSF_14equal_to_valueISA_EEEEEEE10hipError_tPvRmT3_T4_T5_T6_T7_T9_mT8_P12ihipStream_tbDpT10_ENKUlT_T0_E_clISt17integral_constantIbLb1EES1J_EEDaS1E_S1F_EUlS1E_E_NS1_11comp_targetILNS1_3genE9ELNS1_11target_archE1100ELNS1_3gpuE3ELNS1_3repE0EEENS1_30default_config_static_selectorELNS0_4arch9wavefront6targetE0EEEvT1_,comdat
.Lfunc_end1931:
	.size	_ZN7rocprim17ROCPRIM_400000_NS6detail17trampoline_kernelINS0_14default_configENS1_25partition_config_selectorILNS1_17partition_subalgoE6EN6thrust23THRUST_200600_302600_NS5tupleIjjNS7_9null_typeES9_S9_S9_S9_S9_S9_S9_EENS0_10empty_typeEbEEZZNS1_14partition_implILS5_6ELb0ES3_mNS7_12zip_iteratorINS8_INS7_6detail15normal_iteratorINS7_10device_ptrIjEEEESJ_S9_S9_S9_S9_S9_S9_S9_S9_EEEEPSB_SM_NS0_5tupleIJNSE_INS8_ISJ_NS7_16discard_iteratorINS7_11use_defaultEEES9_S9_S9_S9_S9_S9_S9_S9_EEEESB_EEENSN_IJSM_SM_EEESB_PlJNSF_9not_fun_tINSF_14equal_to_valueISA_EEEEEEE10hipError_tPvRmT3_T4_T5_T6_T7_T9_mT8_P12ihipStream_tbDpT10_ENKUlT_T0_E_clISt17integral_constantIbLb1EES1J_EEDaS1E_S1F_EUlS1E_E_NS1_11comp_targetILNS1_3genE9ELNS1_11target_archE1100ELNS1_3gpuE3ELNS1_3repE0EEENS1_30default_config_static_selectorELNS0_4arch9wavefront6targetE0EEEvT1_, .Lfunc_end1931-_ZN7rocprim17ROCPRIM_400000_NS6detail17trampoline_kernelINS0_14default_configENS1_25partition_config_selectorILNS1_17partition_subalgoE6EN6thrust23THRUST_200600_302600_NS5tupleIjjNS7_9null_typeES9_S9_S9_S9_S9_S9_S9_EENS0_10empty_typeEbEEZZNS1_14partition_implILS5_6ELb0ES3_mNS7_12zip_iteratorINS8_INS7_6detail15normal_iteratorINS7_10device_ptrIjEEEESJ_S9_S9_S9_S9_S9_S9_S9_S9_EEEEPSB_SM_NS0_5tupleIJNSE_INS8_ISJ_NS7_16discard_iteratorINS7_11use_defaultEEES9_S9_S9_S9_S9_S9_S9_S9_EEEESB_EEENSN_IJSM_SM_EEESB_PlJNSF_9not_fun_tINSF_14equal_to_valueISA_EEEEEEE10hipError_tPvRmT3_T4_T5_T6_T7_T9_mT8_P12ihipStream_tbDpT10_ENKUlT_T0_E_clISt17integral_constantIbLb1EES1J_EEDaS1E_S1F_EUlS1E_E_NS1_11comp_targetILNS1_3genE9ELNS1_11target_archE1100ELNS1_3gpuE3ELNS1_3repE0EEENS1_30default_config_static_selectorELNS0_4arch9wavefront6targetE0EEEvT1_
                                        ; -- End function
	.set _ZN7rocprim17ROCPRIM_400000_NS6detail17trampoline_kernelINS0_14default_configENS1_25partition_config_selectorILNS1_17partition_subalgoE6EN6thrust23THRUST_200600_302600_NS5tupleIjjNS7_9null_typeES9_S9_S9_S9_S9_S9_S9_EENS0_10empty_typeEbEEZZNS1_14partition_implILS5_6ELb0ES3_mNS7_12zip_iteratorINS8_INS7_6detail15normal_iteratorINS7_10device_ptrIjEEEESJ_S9_S9_S9_S9_S9_S9_S9_S9_EEEEPSB_SM_NS0_5tupleIJNSE_INS8_ISJ_NS7_16discard_iteratorINS7_11use_defaultEEES9_S9_S9_S9_S9_S9_S9_S9_EEEESB_EEENSN_IJSM_SM_EEESB_PlJNSF_9not_fun_tINSF_14equal_to_valueISA_EEEEEEE10hipError_tPvRmT3_T4_T5_T6_T7_T9_mT8_P12ihipStream_tbDpT10_ENKUlT_T0_E_clISt17integral_constantIbLb1EES1J_EEDaS1E_S1F_EUlS1E_E_NS1_11comp_targetILNS1_3genE9ELNS1_11target_archE1100ELNS1_3gpuE3ELNS1_3repE0EEENS1_30default_config_static_selectorELNS0_4arch9wavefront6targetE0EEEvT1_.num_vgpr, 0
	.set _ZN7rocprim17ROCPRIM_400000_NS6detail17trampoline_kernelINS0_14default_configENS1_25partition_config_selectorILNS1_17partition_subalgoE6EN6thrust23THRUST_200600_302600_NS5tupleIjjNS7_9null_typeES9_S9_S9_S9_S9_S9_S9_EENS0_10empty_typeEbEEZZNS1_14partition_implILS5_6ELb0ES3_mNS7_12zip_iteratorINS8_INS7_6detail15normal_iteratorINS7_10device_ptrIjEEEESJ_S9_S9_S9_S9_S9_S9_S9_S9_EEEEPSB_SM_NS0_5tupleIJNSE_INS8_ISJ_NS7_16discard_iteratorINS7_11use_defaultEEES9_S9_S9_S9_S9_S9_S9_S9_EEEESB_EEENSN_IJSM_SM_EEESB_PlJNSF_9not_fun_tINSF_14equal_to_valueISA_EEEEEEE10hipError_tPvRmT3_T4_T5_T6_T7_T9_mT8_P12ihipStream_tbDpT10_ENKUlT_T0_E_clISt17integral_constantIbLb1EES1J_EEDaS1E_S1F_EUlS1E_E_NS1_11comp_targetILNS1_3genE9ELNS1_11target_archE1100ELNS1_3gpuE3ELNS1_3repE0EEENS1_30default_config_static_selectorELNS0_4arch9wavefront6targetE0EEEvT1_.num_agpr, 0
	.set _ZN7rocprim17ROCPRIM_400000_NS6detail17trampoline_kernelINS0_14default_configENS1_25partition_config_selectorILNS1_17partition_subalgoE6EN6thrust23THRUST_200600_302600_NS5tupleIjjNS7_9null_typeES9_S9_S9_S9_S9_S9_S9_EENS0_10empty_typeEbEEZZNS1_14partition_implILS5_6ELb0ES3_mNS7_12zip_iteratorINS8_INS7_6detail15normal_iteratorINS7_10device_ptrIjEEEESJ_S9_S9_S9_S9_S9_S9_S9_S9_EEEEPSB_SM_NS0_5tupleIJNSE_INS8_ISJ_NS7_16discard_iteratorINS7_11use_defaultEEES9_S9_S9_S9_S9_S9_S9_S9_EEEESB_EEENSN_IJSM_SM_EEESB_PlJNSF_9not_fun_tINSF_14equal_to_valueISA_EEEEEEE10hipError_tPvRmT3_T4_T5_T6_T7_T9_mT8_P12ihipStream_tbDpT10_ENKUlT_T0_E_clISt17integral_constantIbLb1EES1J_EEDaS1E_S1F_EUlS1E_E_NS1_11comp_targetILNS1_3genE9ELNS1_11target_archE1100ELNS1_3gpuE3ELNS1_3repE0EEENS1_30default_config_static_selectorELNS0_4arch9wavefront6targetE0EEEvT1_.numbered_sgpr, 0
	.set _ZN7rocprim17ROCPRIM_400000_NS6detail17trampoline_kernelINS0_14default_configENS1_25partition_config_selectorILNS1_17partition_subalgoE6EN6thrust23THRUST_200600_302600_NS5tupleIjjNS7_9null_typeES9_S9_S9_S9_S9_S9_S9_EENS0_10empty_typeEbEEZZNS1_14partition_implILS5_6ELb0ES3_mNS7_12zip_iteratorINS8_INS7_6detail15normal_iteratorINS7_10device_ptrIjEEEESJ_S9_S9_S9_S9_S9_S9_S9_S9_EEEEPSB_SM_NS0_5tupleIJNSE_INS8_ISJ_NS7_16discard_iteratorINS7_11use_defaultEEES9_S9_S9_S9_S9_S9_S9_S9_EEEESB_EEENSN_IJSM_SM_EEESB_PlJNSF_9not_fun_tINSF_14equal_to_valueISA_EEEEEEE10hipError_tPvRmT3_T4_T5_T6_T7_T9_mT8_P12ihipStream_tbDpT10_ENKUlT_T0_E_clISt17integral_constantIbLb1EES1J_EEDaS1E_S1F_EUlS1E_E_NS1_11comp_targetILNS1_3genE9ELNS1_11target_archE1100ELNS1_3gpuE3ELNS1_3repE0EEENS1_30default_config_static_selectorELNS0_4arch9wavefront6targetE0EEEvT1_.num_named_barrier, 0
	.set _ZN7rocprim17ROCPRIM_400000_NS6detail17trampoline_kernelINS0_14default_configENS1_25partition_config_selectorILNS1_17partition_subalgoE6EN6thrust23THRUST_200600_302600_NS5tupleIjjNS7_9null_typeES9_S9_S9_S9_S9_S9_S9_EENS0_10empty_typeEbEEZZNS1_14partition_implILS5_6ELb0ES3_mNS7_12zip_iteratorINS8_INS7_6detail15normal_iteratorINS7_10device_ptrIjEEEESJ_S9_S9_S9_S9_S9_S9_S9_S9_EEEEPSB_SM_NS0_5tupleIJNSE_INS8_ISJ_NS7_16discard_iteratorINS7_11use_defaultEEES9_S9_S9_S9_S9_S9_S9_S9_EEEESB_EEENSN_IJSM_SM_EEESB_PlJNSF_9not_fun_tINSF_14equal_to_valueISA_EEEEEEE10hipError_tPvRmT3_T4_T5_T6_T7_T9_mT8_P12ihipStream_tbDpT10_ENKUlT_T0_E_clISt17integral_constantIbLb1EES1J_EEDaS1E_S1F_EUlS1E_E_NS1_11comp_targetILNS1_3genE9ELNS1_11target_archE1100ELNS1_3gpuE3ELNS1_3repE0EEENS1_30default_config_static_selectorELNS0_4arch9wavefront6targetE0EEEvT1_.private_seg_size, 0
	.set _ZN7rocprim17ROCPRIM_400000_NS6detail17trampoline_kernelINS0_14default_configENS1_25partition_config_selectorILNS1_17partition_subalgoE6EN6thrust23THRUST_200600_302600_NS5tupleIjjNS7_9null_typeES9_S9_S9_S9_S9_S9_S9_EENS0_10empty_typeEbEEZZNS1_14partition_implILS5_6ELb0ES3_mNS7_12zip_iteratorINS8_INS7_6detail15normal_iteratorINS7_10device_ptrIjEEEESJ_S9_S9_S9_S9_S9_S9_S9_S9_EEEEPSB_SM_NS0_5tupleIJNSE_INS8_ISJ_NS7_16discard_iteratorINS7_11use_defaultEEES9_S9_S9_S9_S9_S9_S9_S9_EEEESB_EEENSN_IJSM_SM_EEESB_PlJNSF_9not_fun_tINSF_14equal_to_valueISA_EEEEEEE10hipError_tPvRmT3_T4_T5_T6_T7_T9_mT8_P12ihipStream_tbDpT10_ENKUlT_T0_E_clISt17integral_constantIbLb1EES1J_EEDaS1E_S1F_EUlS1E_E_NS1_11comp_targetILNS1_3genE9ELNS1_11target_archE1100ELNS1_3gpuE3ELNS1_3repE0EEENS1_30default_config_static_selectorELNS0_4arch9wavefront6targetE0EEEvT1_.uses_vcc, 0
	.set _ZN7rocprim17ROCPRIM_400000_NS6detail17trampoline_kernelINS0_14default_configENS1_25partition_config_selectorILNS1_17partition_subalgoE6EN6thrust23THRUST_200600_302600_NS5tupleIjjNS7_9null_typeES9_S9_S9_S9_S9_S9_S9_EENS0_10empty_typeEbEEZZNS1_14partition_implILS5_6ELb0ES3_mNS7_12zip_iteratorINS8_INS7_6detail15normal_iteratorINS7_10device_ptrIjEEEESJ_S9_S9_S9_S9_S9_S9_S9_S9_EEEEPSB_SM_NS0_5tupleIJNSE_INS8_ISJ_NS7_16discard_iteratorINS7_11use_defaultEEES9_S9_S9_S9_S9_S9_S9_S9_EEEESB_EEENSN_IJSM_SM_EEESB_PlJNSF_9not_fun_tINSF_14equal_to_valueISA_EEEEEEE10hipError_tPvRmT3_T4_T5_T6_T7_T9_mT8_P12ihipStream_tbDpT10_ENKUlT_T0_E_clISt17integral_constantIbLb1EES1J_EEDaS1E_S1F_EUlS1E_E_NS1_11comp_targetILNS1_3genE9ELNS1_11target_archE1100ELNS1_3gpuE3ELNS1_3repE0EEENS1_30default_config_static_selectorELNS0_4arch9wavefront6targetE0EEEvT1_.uses_flat_scratch, 0
	.set _ZN7rocprim17ROCPRIM_400000_NS6detail17trampoline_kernelINS0_14default_configENS1_25partition_config_selectorILNS1_17partition_subalgoE6EN6thrust23THRUST_200600_302600_NS5tupleIjjNS7_9null_typeES9_S9_S9_S9_S9_S9_S9_EENS0_10empty_typeEbEEZZNS1_14partition_implILS5_6ELb0ES3_mNS7_12zip_iteratorINS8_INS7_6detail15normal_iteratorINS7_10device_ptrIjEEEESJ_S9_S9_S9_S9_S9_S9_S9_S9_EEEEPSB_SM_NS0_5tupleIJNSE_INS8_ISJ_NS7_16discard_iteratorINS7_11use_defaultEEES9_S9_S9_S9_S9_S9_S9_S9_EEEESB_EEENSN_IJSM_SM_EEESB_PlJNSF_9not_fun_tINSF_14equal_to_valueISA_EEEEEEE10hipError_tPvRmT3_T4_T5_T6_T7_T9_mT8_P12ihipStream_tbDpT10_ENKUlT_T0_E_clISt17integral_constantIbLb1EES1J_EEDaS1E_S1F_EUlS1E_E_NS1_11comp_targetILNS1_3genE9ELNS1_11target_archE1100ELNS1_3gpuE3ELNS1_3repE0EEENS1_30default_config_static_selectorELNS0_4arch9wavefront6targetE0EEEvT1_.has_dyn_sized_stack, 0
	.set _ZN7rocprim17ROCPRIM_400000_NS6detail17trampoline_kernelINS0_14default_configENS1_25partition_config_selectorILNS1_17partition_subalgoE6EN6thrust23THRUST_200600_302600_NS5tupleIjjNS7_9null_typeES9_S9_S9_S9_S9_S9_S9_EENS0_10empty_typeEbEEZZNS1_14partition_implILS5_6ELb0ES3_mNS7_12zip_iteratorINS8_INS7_6detail15normal_iteratorINS7_10device_ptrIjEEEESJ_S9_S9_S9_S9_S9_S9_S9_S9_EEEEPSB_SM_NS0_5tupleIJNSE_INS8_ISJ_NS7_16discard_iteratorINS7_11use_defaultEEES9_S9_S9_S9_S9_S9_S9_S9_EEEESB_EEENSN_IJSM_SM_EEESB_PlJNSF_9not_fun_tINSF_14equal_to_valueISA_EEEEEEE10hipError_tPvRmT3_T4_T5_T6_T7_T9_mT8_P12ihipStream_tbDpT10_ENKUlT_T0_E_clISt17integral_constantIbLb1EES1J_EEDaS1E_S1F_EUlS1E_E_NS1_11comp_targetILNS1_3genE9ELNS1_11target_archE1100ELNS1_3gpuE3ELNS1_3repE0EEENS1_30default_config_static_selectorELNS0_4arch9wavefront6targetE0EEEvT1_.has_recursion, 0
	.set _ZN7rocprim17ROCPRIM_400000_NS6detail17trampoline_kernelINS0_14default_configENS1_25partition_config_selectorILNS1_17partition_subalgoE6EN6thrust23THRUST_200600_302600_NS5tupleIjjNS7_9null_typeES9_S9_S9_S9_S9_S9_S9_EENS0_10empty_typeEbEEZZNS1_14partition_implILS5_6ELb0ES3_mNS7_12zip_iteratorINS8_INS7_6detail15normal_iteratorINS7_10device_ptrIjEEEESJ_S9_S9_S9_S9_S9_S9_S9_S9_EEEEPSB_SM_NS0_5tupleIJNSE_INS8_ISJ_NS7_16discard_iteratorINS7_11use_defaultEEES9_S9_S9_S9_S9_S9_S9_S9_EEEESB_EEENSN_IJSM_SM_EEESB_PlJNSF_9not_fun_tINSF_14equal_to_valueISA_EEEEEEE10hipError_tPvRmT3_T4_T5_T6_T7_T9_mT8_P12ihipStream_tbDpT10_ENKUlT_T0_E_clISt17integral_constantIbLb1EES1J_EEDaS1E_S1F_EUlS1E_E_NS1_11comp_targetILNS1_3genE9ELNS1_11target_archE1100ELNS1_3gpuE3ELNS1_3repE0EEENS1_30default_config_static_selectorELNS0_4arch9wavefront6targetE0EEEvT1_.has_indirect_call, 0
	.section	.AMDGPU.csdata,"",@progbits
; Kernel info:
; codeLenInByte = 0
; TotalNumSgprs: 0
; NumVgprs: 0
; ScratchSize: 0
; MemoryBound: 0
; FloatMode: 240
; IeeeMode: 1
; LDSByteSize: 0 bytes/workgroup (compile time only)
; SGPRBlocks: 0
; VGPRBlocks: 0
; NumSGPRsForWavesPerEU: 1
; NumVGPRsForWavesPerEU: 1
; Occupancy: 16
; WaveLimiterHint : 0
; COMPUTE_PGM_RSRC2:SCRATCH_EN: 0
; COMPUTE_PGM_RSRC2:USER_SGPR: 2
; COMPUTE_PGM_RSRC2:TRAP_HANDLER: 0
; COMPUTE_PGM_RSRC2:TGID_X_EN: 1
; COMPUTE_PGM_RSRC2:TGID_Y_EN: 0
; COMPUTE_PGM_RSRC2:TGID_Z_EN: 0
; COMPUTE_PGM_RSRC2:TIDIG_COMP_CNT: 0
	.section	.text._ZN7rocprim17ROCPRIM_400000_NS6detail17trampoline_kernelINS0_14default_configENS1_25partition_config_selectorILNS1_17partition_subalgoE6EN6thrust23THRUST_200600_302600_NS5tupleIjjNS7_9null_typeES9_S9_S9_S9_S9_S9_S9_EENS0_10empty_typeEbEEZZNS1_14partition_implILS5_6ELb0ES3_mNS7_12zip_iteratorINS8_INS7_6detail15normal_iteratorINS7_10device_ptrIjEEEESJ_S9_S9_S9_S9_S9_S9_S9_S9_EEEEPSB_SM_NS0_5tupleIJNSE_INS8_ISJ_NS7_16discard_iteratorINS7_11use_defaultEEES9_S9_S9_S9_S9_S9_S9_S9_EEEESB_EEENSN_IJSM_SM_EEESB_PlJNSF_9not_fun_tINSF_14equal_to_valueISA_EEEEEEE10hipError_tPvRmT3_T4_T5_T6_T7_T9_mT8_P12ihipStream_tbDpT10_ENKUlT_T0_E_clISt17integral_constantIbLb1EES1J_EEDaS1E_S1F_EUlS1E_E_NS1_11comp_targetILNS1_3genE8ELNS1_11target_archE1030ELNS1_3gpuE2ELNS1_3repE0EEENS1_30default_config_static_selectorELNS0_4arch9wavefront6targetE0EEEvT1_,"axG",@progbits,_ZN7rocprim17ROCPRIM_400000_NS6detail17trampoline_kernelINS0_14default_configENS1_25partition_config_selectorILNS1_17partition_subalgoE6EN6thrust23THRUST_200600_302600_NS5tupleIjjNS7_9null_typeES9_S9_S9_S9_S9_S9_S9_EENS0_10empty_typeEbEEZZNS1_14partition_implILS5_6ELb0ES3_mNS7_12zip_iteratorINS8_INS7_6detail15normal_iteratorINS7_10device_ptrIjEEEESJ_S9_S9_S9_S9_S9_S9_S9_S9_EEEEPSB_SM_NS0_5tupleIJNSE_INS8_ISJ_NS7_16discard_iteratorINS7_11use_defaultEEES9_S9_S9_S9_S9_S9_S9_S9_EEEESB_EEENSN_IJSM_SM_EEESB_PlJNSF_9not_fun_tINSF_14equal_to_valueISA_EEEEEEE10hipError_tPvRmT3_T4_T5_T6_T7_T9_mT8_P12ihipStream_tbDpT10_ENKUlT_T0_E_clISt17integral_constantIbLb1EES1J_EEDaS1E_S1F_EUlS1E_E_NS1_11comp_targetILNS1_3genE8ELNS1_11target_archE1030ELNS1_3gpuE2ELNS1_3repE0EEENS1_30default_config_static_selectorELNS0_4arch9wavefront6targetE0EEEvT1_,comdat
	.protected	_ZN7rocprim17ROCPRIM_400000_NS6detail17trampoline_kernelINS0_14default_configENS1_25partition_config_selectorILNS1_17partition_subalgoE6EN6thrust23THRUST_200600_302600_NS5tupleIjjNS7_9null_typeES9_S9_S9_S9_S9_S9_S9_EENS0_10empty_typeEbEEZZNS1_14partition_implILS5_6ELb0ES3_mNS7_12zip_iteratorINS8_INS7_6detail15normal_iteratorINS7_10device_ptrIjEEEESJ_S9_S9_S9_S9_S9_S9_S9_S9_EEEEPSB_SM_NS0_5tupleIJNSE_INS8_ISJ_NS7_16discard_iteratorINS7_11use_defaultEEES9_S9_S9_S9_S9_S9_S9_S9_EEEESB_EEENSN_IJSM_SM_EEESB_PlJNSF_9not_fun_tINSF_14equal_to_valueISA_EEEEEEE10hipError_tPvRmT3_T4_T5_T6_T7_T9_mT8_P12ihipStream_tbDpT10_ENKUlT_T0_E_clISt17integral_constantIbLb1EES1J_EEDaS1E_S1F_EUlS1E_E_NS1_11comp_targetILNS1_3genE8ELNS1_11target_archE1030ELNS1_3gpuE2ELNS1_3repE0EEENS1_30default_config_static_selectorELNS0_4arch9wavefront6targetE0EEEvT1_ ; -- Begin function _ZN7rocprim17ROCPRIM_400000_NS6detail17trampoline_kernelINS0_14default_configENS1_25partition_config_selectorILNS1_17partition_subalgoE6EN6thrust23THRUST_200600_302600_NS5tupleIjjNS7_9null_typeES9_S9_S9_S9_S9_S9_S9_EENS0_10empty_typeEbEEZZNS1_14partition_implILS5_6ELb0ES3_mNS7_12zip_iteratorINS8_INS7_6detail15normal_iteratorINS7_10device_ptrIjEEEESJ_S9_S9_S9_S9_S9_S9_S9_S9_EEEEPSB_SM_NS0_5tupleIJNSE_INS8_ISJ_NS7_16discard_iteratorINS7_11use_defaultEEES9_S9_S9_S9_S9_S9_S9_S9_EEEESB_EEENSN_IJSM_SM_EEESB_PlJNSF_9not_fun_tINSF_14equal_to_valueISA_EEEEEEE10hipError_tPvRmT3_T4_T5_T6_T7_T9_mT8_P12ihipStream_tbDpT10_ENKUlT_T0_E_clISt17integral_constantIbLb1EES1J_EEDaS1E_S1F_EUlS1E_E_NS1_11comp_targetILNS1_3genE8ELNS1_11target_archE1030ELNS1_3gpuE2ELNS1_3repE0EEENS1_30default_config_static_selectorELNS0_4arch9wavefront6targetE0EEEvT1_
	.globl	_ZN7rocprim17ROCPRIM_400000_NS6detail17trampoline_kernelINS0_14default_configENS1_25partition_config_selectorILNS1_17partition_subalgoE6EN6thrust23THRUST_200600_302600_NS5tupleIjjNS7_9null_typeES9_S9_S9_S9_S9_S9_S9_EENS0_10empty_typeEbEEZZNS1_14partition_implILS5_6ELb0ES3_mNS7_12zip_iteratorINS8_INS7_6detail15normal_iteratorINS7_10device_ptrIjEEEESJ_S9_S9_S9_S9_S9_S9_S9_S9_EEEEPSB_SM_NS0_5tupleIJNSE_INS8_ISJ_NS7_16discard_iteratorINS7_11use_defaultEEES9_S9_S9_S9_S9_S9_S9_S9_EEEESB_EEENSN_IJSM_SM_EEESB_PlJNSF_9not_fun_tINSF_14equal_to_valueISA_EEEEEEE10hipError_tPvRmT3_T4_T5_T6_T7_T9_mT8_P12ihipStream_tbDpT10_ENKUlT_T0_E_clISt17integral_constantIbLb1EES1J_EEDaS1E_S1F_EUlS1E_E_NS1_11comp_targetILNS1_3genE8ELNS1_11target_archE1030ELNS1_3gpuE2ELNS1_3repE0EEENS1_30default_config_static_selectorELNS0_4arch9wavefront6targetE0EEEvT1_
	.p2align	8
	.type	_ZN7rocprim17ROCPRIM_400000_NS6detail17trampoline_kernelINS0_14default_configENS1_25partition_config_selectorILNS1_17partition_subalgoE6EN6thrust23THRUST_200600_302600_NS5tupleIjjNS7_9null_typeES9_S9_S9_S9_S9_S9_S9_EENS0_10empty_typeEbEEZZNS1_14partition_implILS5_6ELb0ES3_mNS7_12zip_iteratorINS8_INS7_6detail15normal_iteratorINS7_10device_ptrIjEEEESJ_S9_S9_S9_S9_S9_S9_S9_S9_EEEEPSB_SM_NS0_5tupleIJNSE_INS8_ISJ_NS7_16discard_iteratorINS7_11use_defaultEEES9_S9_S9_S9_S9_S9_S9_S9_EEEESB_EEENSN_IJSM_SM_EEESB_PlJNSF_9not_fun_tINSF_14equal_to_valueISA_EEEEEEE10hipError_tPvRmT3_T4_T5_T6_T7_T9_mT8_P12ihipStream_tbDpT10_ENKUlT_T0_E_clISt17integral_constantIbLb1EES1J_EEDaS1E_S1F_EUlS1E_E_NS1_11comp_targetILNS1_3genE8ELNS1_11target_archE1030ELNS1_3gpuE2ELNS1_3repE0EEENS1_30default_config_static_selectorELNS0_4arch9wavefront6targetE0EEEvT1_,@function
_ZN7rocprim17ROCPRIM_400000_NS6detail17trampoline_kernelINS0_14default_configENS1_25partition_config_selectorILNS1_17partition_subalgoE6EN6thrust23THRUST_200600_302600_NS5tupleIjjNS7_9null_typeES9_S9_S9_S9_S9_S9_S9_EENS0_10empty_typeEbEEZZNS1_14partition_implILS5_6ELb0ES3_mNS7_12zip_iteratorINS8_INS7_6detail15normal_iteratorINS7_10device_ptrIjEEEESJ_S9_S9_S9_S9_S9_S9_S9_S9_EEEEPSB_SM_NS0_5tupleIJNSE_INS8_ISJ_NS7_16discard_iteratorINS7_11use_defaultEEES9_S9_S9_S9_S9_S9_S9_S9_EEEESB_EEENSN_IJSM_SM_EEESB_PlJNSF_9not_fun_tINSF_14equal_to_valueISA_EEEEEEE10hipError_tPvRmT3_T4_T5_T6_T7_T9_mT8_P12ihipStream_tbDpT10_ENKUlT_T0_E_clISt17integral_constantIbLb1EES1J_EEDaS1E_S1F_EUlS1E_E_NS1_11comp_targetILNS1_3genE8ELNS1_11target_archE1030ELNS1_3gpuE2ELNS1_3repE0EEENS1_30default_config_static_selectorELNS0_4arch9wavefront6targetE0EEEvT1_: ; @_ZN7rocprim17ROCPRIM_400000_NS6detail17trampoline_kernelINS0_14default_configENS1_25partition_config_selectorILNS1_17partition_subalgoE6EN6thrust23THRUST_200600_302600_NS5tupleIjjNS7_9null_typeES9_S9_S9_S9_S9_S9_S9_EENS0_10empty_typeEbEEZZNS1_14partition_implILS5_6ELb0ES3_mNS7_12zip_iteratorINS8_INS7_6detail15normal_iteratorINS7_10device_ptrIjEEEESJ_S9_S9_S9_S9_S9_S9_S9_S9_EEEEPSB_SM_NS0_5tupleIJNSE_INS8_ISJ_NS7_16discard_iteratorINS7_11use_defaultEEES9_S9_S9_S9_S9_S9_S9_S9_EEEESB_EEENSN_IJSM_SM_EEESB_PlJNSF_9not_fun_tINSF_14equal_to_valueISA_EEEEEEE10hipError_tPvRmT3_T4_T5_T6_T7_T9_mT8_P12ihipStream_tbDpT10_ENKUlT_T0_E_clISt17integral_constantIbLb1EES1J_EEDaS1E_S1F_EUlS1E_E_NS1_11comp_targetILNS1_3genE8ELNS1_11target_archE1030ELNS1_3gpuE2ELNS1_3repE0EEENS1_30default_config_static_selectorELNS0_4arch9wavefront6targetE0EEEvT1_
; %bb.0:
	.section	.rodata,"a",@progbits
	.p2align	6, 0x0
	.amdhsa_kernel _ZN7rocprim17ROCPRIM_400000_NS6detail17trampoline_kernelINS0_14default_configENS1_25partition_config_selectorILNS1_17partition_subalgoE6EN6thrust23THRUST_200600_302600_NS5tupleIjjNS7_9null_typeES9_S9_S9_S9_S9_S9_S9_EENS0_10empty_typeEbEEZZNS1_14partition_implILS5_6ELb0ES3_mNS7_12zip_iteratorINS8_INS7_6detail15normal_iteratorINS7_10device_ptrIjEEEESJ_S9_S9_S9_S9_S9_S9_S9_S9_EEEEPSB_SM_NS0_5tupleIJNSE_INS8_ISJ_NS7_16discard_iteratorINS7_11use_defaultEEES9_S9_S9_S9_S9_S9_S9_S9_EEEESB_EEENSN_IJSM_SM_EEESB_PlJNSF_9not_fun_tINSF_14equal_to_valueISA_EEEEEEE10hipError_tPvRmT3_T4_T5_T6_T7_T9_mT8_P12ihipStream_tbDpT10_ENKUlT_T0_E_clISt17integral_constantIbLb1EES1J_EEDaS1E_S1F_EUlS1E_E_NS1_11comp_targetILNS1_3genE8ELNS1_11target_archE1030ELNS1_3gpuE2ELNS1_3repE0EEENS1_30default_config_static_selectorELNS0_4arch9wavefront6targetE0EEEvT1_
		.amdhsa_group_segment_fixed_size 0
		.amdhsa_private_segment_fixed_size 0
		.amdhsa_kernarg_size 152
		.amdhsa_user_sgpr_count 2
		.amdhsa_user_sgpr_dispatch_ptr 0
		.amdhsa_user_sgpr_queue_ptr 0
		.amdhsa_user_sgpr_kernarg_segment_ptr 1
		.amdhsa_user_sgpr_dispatch_id 0
		.amdhsa_user_sgpr_private_segment_size 0
		.amdhsa_wavefront_size32 1
		.amdhsa_uses_dynamic_stack 0
		.amdhsa_enable_private_segment 0
		.amdhsa_system_sgpr_workgroup_id_x 1
		.amdhsa_system_sgpr_workgroup_id_y 0
		.amdhsa_system_sgpr_workgroup_id_z 0
		.amdhsa_system_sgpr_workgroup_info 0
		.amdhsa_system_vgpr_workitem_id 0
		.amdhsa_next_free_vgpr 1
		.amdhsa_next_free_sgpr 1
		.amdhsa_reserve_vcc 0
		.amdhsa_float_round_mode_32 0
		.amdhsa_float_round_mode_16_64 0
		.amdhsa_float_denorm_mode_32 3
		.amdhsa_float_denorm_mode_16_64 3
		.amdhsa_fp16_overflow 0
		.amdhsa_workgroup_processor_mode 1
		.amdhsa_memory_ordered 1
		.amdhsa_forward_progress 1
		.amdhsa_inst_pref_size 0
		.amdhsa_round_robin_scheduling 0
		.amdhsa_exception_fp_ieee_invalid_op 0
		.amdhsa_exception_fp_denorm_src 0
		.amdhsa_exception_fp_ieee_div_zero 0
		.amdhsa_exception_fp_ieee_overflow 0
		.amdhsa_exception_fp_ieee_underflow 0
		.amdhsa_exception_fp_ieee_inexact 0
		.amdhsa_exception_int_div_zero 0
	.end_amdhsa_kernel
	.section	.text._ZN7rocprim17ROCPRIM_400000_NS6detail17trampoline_kernelINS0_14default_configENS1_25partition_config_selectorILNS1_17partition_subalgoE6EN6thrust23THRUST_200600_302600_NS5tupleIjjNS7_9null_typeES9_S9_S9_S9_S9_S9_S9_EENS0_10empty_typeEbEEZZNS1_14partition_implILS5_6ELb0ES3_mNS7_12zip_iteratorINS8_INS7_6detail15normal_iteratorINS7_10device_ptrIjEEEESJ_S9_S9_S9_S9_S9_S9_S9_S9_EEEEPSB_SM_NS0_5tupleIJNSE_INS8_ISJ_NS7_16discard_iteratorINS7_11use_defaultEEES9_S9_S9_S9_S9_S9_S9_S9_EEEESB_EEENSN_IJSM_SM_EEESB_PlJNSF_9not_fun_tINSF_14equal_to_valueISA_EEEEEEE10hipError_tPvRmT3_T4_T5_T6_T7_T9_mT8_P12ihipStream_tbDpT10_ENKUlT_T0_E_clISt17integral_constantIbLb1EES1J_EEDaS1E_S1F_EUlS1E_E_NS1_11comp_targetILNS1_3genE8ELNS1_11target_archE1030ELNS1_3gpuE2ELNS1_3repE0EEENS1_30default_config_static_selectorELNS0_4arch9wavefront6targetE0EEEvT1_,"axG",@progbits,_ZN7rocprim17ROCPRIM_400000_NS6detail17trampoline_kernelINS0_14default_configENS1_25partition_config_selectorILNS1_17partition_subalgoE6EN6thrust23THRUST_200600_302600_NS5tupleIjjNS7_9null_typeES9_S9_S9_S9_S9_S9_S9_EENS0_10empty_typeEbEEZZNS1_14partition_implILS5_6ELb0ES3_mNS7_12zip_iteratorINS8_INS7_6detail15normal_iteratorINS7_10device_ptrIjEEEESJ_S9_S9_S9_S9_S9_S9_S9_S9_EEEEPSB_SM_NS0_5tupleIJNSE_INS8_ISJ_NS7_16discard_iteratorINS7_11use_defaultEEES9_S9_S9_S9_S9_S9_S9_S9_EEEESB_EEENSN_IJSM_SM_EEESB_PlJNSF_9not_fun_tINSF_14equal_to_valueISA_EEEEEEE10hipError_tPvRmT3_T4_T5_T6_T7_T9_mT8_P12ihipStream_tbDpT10_ENKUlT_T0_E_clISt17integral_constantIbLb1EES1J_EEDaS1E_S1F_EUlS1E_E_NS1_11comp_targetILNS1_3genE8ELNS1_11target_archE1030ELNS1_3gpuE2ELNS1_3repE0EEENS1_30default_config_static_selectorELNS0_4arch9wavefront6targetE0EEEvT1_,comdat
.Lfunc_end1932:
	.size	_ZN7rocprim17ROCPRIM_400000_NS6detail17trampoline_kernelINS0_14default_configENS1_25partition_config_selectorILNS1_17partition_subalgoE6EN6thrust23THRUST_200600_302600_NS5tupleIjjNS7_9null_typeES9_S9_S9_S9_S9_S9_S9_EENS0_10empty_typeEbEEZZNS1_14partition_implILS5_6ELb0ES3_mNS7_12zip_iteratorINS8_INS7_6detail15normal_iteratorINS7_10device_ptrIjEEEESJ_S9_S9_S9_S9_S9_S9_S9_S9_EEEEPSB_SM_NS0_5tupleIJNSE_INS8_ISJ_NS7_16discard_iteratorINS7_11use_defaultEEES9_S9_S9_S9_S9_S9_S9_S9_EEEESB_EEENSN_IJSM_SM_EEESB_PlJNSF_9not_fun_tINSF_14equal_to_valueISA_EEEEEEE10hipError_tPvRmT3_T4_T5_T6_T7_T9_mT8_P12ihipStream_tbDpT10_ENKUlT_T0_E_clISt17integral_constantIbLb1EES1J_EEDaS1E_S1F_EUlS1E_E_NS1_11comp_targetILNS1_3genE8ELNS1_11target_archE1030ELNS1_3gpuE2ELNS1_3repE0EEENS1_30default_config_static_selectorELNS0_4arch9wavefront6targetE0EEEvT1_, .Lfunc_end1932-_ZN7rocprim17ROCPRIM_400000_NS6detail17trampoline_kernelINS0_14default_configENS1_25partition_config_selectorILNS1_17partition_subalgoE6EN6thrust23THRUST_200600_302600_NS5tupleIjjNS7_9null_typeES9_S9_S9_S9_S9_S9_S9_EENS0_10empty_typeEbEEZZNS1_14partition_implILS5_6ELb0ES3_mNS7_12zip_iteratorINS8_INS7_6detail15normal_iteratorINS7_10device_ptrIjEEEESJ_S9_S9_S9_S9_S9_S9_S9_S9_EEEEPSB_SM_NS0_5tupleIJNSE_INS8_ISJ_NS7_16discard_iteratorINS7_11use_defaultEEES9_S9_S9_S9_S9_S9_S9_S9_EEEESB_EEENSN_IJSM_SM_EEESB_PlJNSF_9not_fun_tINSF_14equal_to_valueISA_EEEEEEE10hipError_tPvRmT3_T4_T5_T6_T7_T9_mT8_P12ihipStream_tbDpT10_ENKUlT_T0_E_clISt17integral_constantIbLb1EES1J_EEDaS1E_S1F_EUlS1E_E_NS1_11comp_targetILNS1_3genE8ELNS1_11target_archE1030ELNS1_3gpuE2ELNS1_3repE0EEENS1_30default_config_static_selectorELNS0_4arch9wavefront6targetE0EEEvT1_
                                        ; -- End function
	.set _ZN7rocprim17ROCPRIM_400000_NS6detail17trampoline_kernelINS0_14default_configENS1_25partition_config_selectorILNS1_17partition_subalgoE6EN6thrust23THRUST_200600_302600_NS5tupleIjjNS7_9null_typeES9_S9_S9_S9_S9_S9_S9_EENS0_10empty_typeEbEEZZNS1_14partition_implILS5_6ELb0ES3_mNS7_12zip_iteratorINS8_INS7_6detail15normal_iteratorINS7_10device_ptrIjEEEESJ_S9_S9_S9_S9_S9_S9_S9_S9_EEEEPSB_SM_NS0_5tupleIJNSE_INS8_ISJ_NS7_16discard_iteratorINS7_11use_defaultEEES9_S9_S9_S9_S9_S9_S9_S9_EEEESB_EEENSN_IJSM_SM_EEESB_PlJNSF_9not_fun_tINSF_14equal_to_valueISA_EEEEEEE10hipError_tPvRmT3_T4_T5_T6_T7_T9_mT8_P12ihipStream_tbDpT10_ENKUlT_T0_E_clISt17integral_constantIbLb1EES1J_EEDaS1E_S1F_EUlS1E_E_NS1_11comp_targetILNS1_3genE8ELNS1_11target_archE1030ELNS1_3gpuE2ELNS1_3repE0EEENS1_30default_config_static_selectorELNS0_4arch9wavefront6targetE0EEEvT1_.num_vgpr, 0
	.set _ZN7rocprim17ROCPRIM_400000_NS6detail17trampoline_kernelINS0_14default_configENS1_25partition_config_selectorILNS1_17partition_subalgoE6EN6thrust23THRUST_200600_302600_NS5tupleIjjNS7_9null_typeES9_S9_S9_S9_S9_S9_S9_EENS0_10empty_typeEbEEZZNS1_14partition_implILS5_6ELb0ES3_mNS7_12zip_iteratorINS8_INS7_6detail15normal_iteratorINS7_10device_ptrIjEEEESJ_S9_S9_S9_S9_S9_S9_S9_S9_EEEEPSB_SM_NS0_5tupleIJNSE_INS8_ISJ_NS7_16discard_iteratorINS7_11use_defaultEEES9_S9_S9_S9_S9_S9_S9_S9_EEEESB_EEENSN_IJSM_SM_EEESB_PlJNSF_9not_fun_tINSF_14equal_to_valueISA_EEEEEEE10hipError_tPvRmT3_T4_T5_T6_T7_T9_mT8_P12ihipStream_tbDpT10_ENKUlT_T0_E_clISt17integral_constantIbLb1EES1J_EEDaS1E_S1F_EUlS1E_E_NS1_11comp_targetILNS1_3genE8ELNS1_11target_archE1030ELNS1_3gpuE2ELNS1_3repE0EEENS1_30default_config_static_selectorELNS0_4arch9wavefront6targetE0EEEvT1_.num_agpr, 0
	.set _ZN7rocprim17ROCPRIM_400000_NS6detail17trampoline_kernelINS0_14default_configENS1_25partition_config_selectorILNS1_17partition_subalgoE6EN6thrust23THRUST_200600_302600_NS5tupleIjjNS7_9null_typeES9_S9_S9_S9_S9_S9_S9_EENS0_10empty_typeEbEEZZNS1_14partition_implILS5_6ELb0ES3_mNS7_12zip_iteratorINS8_INS7_6detail15normal_iteratorINS7_10device_ptrIjEEEESJ_S9_S9_S9_S9_S9_S9_S9_S9_EEEEPSB_SM_NS0_5tupleIJNSE_INS8_ISJ_NS7_16discard_iteratorINS7_11use_defaultEEES9_S9_S9_S9_S9_S9_S9_S9_EEEESB_EEENSN_IJSM_SM_EEESB_PlJNSF_9not_fun_tINSF_14equal_to_valueISA_EEEEEEE10hipError_tPvRmT3_T4_T5_T6_T7_T9_mT8_P12ihipStream_tbDpT10_ENKUlT_T0_E_clISt17integral_constantIbLb1EES1J_EEDaS1E_S1F_EUlS1E_E_NS1_11comp_targetILNS1_3genE8ELNS1_11target_archE1030ELNS1_3gpuE2ELNS1_3repE0EEENS1_30default_config_static_selectorELNS0_4arch9wavefront6targetE0EEEvT1_.numbered_sgpr, 0
	.set _ZN7rocprim17ROCPRIM_400000_NS6detail17trampoline_kernelINS0_14default_configENS1_25partition_config_selectorILNS1_17partition_subalgoE6EN6thrust23THRUST_200600_302600_NS5tupleIjjNS7_9null_typeES9_S9_S9_S9_S9_S9_S9_EENS0_10empty_typeEbEEZZNS1_14partition_implILS5_6ELb0ES3_mNS7_12zip_iteratorINS8_INS7_6detail15normal_iteratorINS7_10device_ptrIjEEEESJ_S9_S9_S9_S9_S9_S9_S9_S9_EEEEPSB_SM_NS0_5tupleIJNSE_INS8_ISJ_NS7_16discard_iteratorINS7_11use_defaultEEES9_S9_S9_S9_S9_S9_S9_S9_EEEESB_EEENSN_IJSM_SM_EEESB_PlJNSF_9not_fun_tINSF_14equal_to_valueISA_EEEEEEE10hipError_tPvRmT3_T4_T5_T6_T7_T9_mT8_P12ihipStream_tbDpT10_ENKUlT_T0_E_clISt17integral_constantIbLb1EES1J_EEDaS1E_S1F_EUlS1E_E_NS1_11comp_targetILNS1_3genE8ELNS1_11target_archE1030ELNS1_3gpuE2ELNS1_3repE0EEENS1_30default_config_static_selectorELNS0_4arch9wavefront6targetE0EEEvT1_.num_named_barrier, 0
	.set _ZN7rocprim17ROCPRIM_400000_NS6detail17trampoline_kernelINS0_14default_configENS1_25partition_config_selectorILNS1_17partition_subalgoE6EN6thrust23THRUST_200600_302600_NS5tupleIjjNS7_9null_typeES9_S9_S9_S9_S9_S9_S9_EENS0_10empty_typeEbEEZZNS1_14partition_implILS5_6ELb0ES3_mNS7_12zip_iteratorINS8_INS7_6detail15normal_iteratorINS7_10device_ptrIjEEEESJ_S9_S9_S9_S9_S9_S9_S9_S9_EEEEPSB_SM_NS0_5tupleIJNSE_INS8_ISJ_NS7_16discard_iteratorINS7_11use_defaultEEES9_S9_S9_S9_S9_S9_S9_S9_EEEESB_EEENSN_IJSM_SM_EEESB_PlJNSF_9not_fun_tINSF_14equal_to_valueISA_EEEEEEE10hipError_tPvRmT3_T4_T5_T6_T7_T9_mT8_P12ihipStream_tbDpT10_ENKUlT_T0_E_clISt17integral_constantIbLb1EES1J_EEDaS1E_S1F_EUlS1E_E_NS1_11comp_targetILNS1_3genE8ELNS1_11target_archE1030ELNS1_3gpuE2ELNS1_3repE0EEENS1_30default_config_static_selectorELNS0_4arch9wavefront6targetE0EEEvT1_.private_seg_size, 0
	.set _ZN7rocprim17ROCPRIM_400000_NS6detail17trampoline_kernelINS0_14default_configENS1_25partition_config_selectorILNS1_17partition_subalgoE6EN6thrust23THRUST_200600_302600_NS5tupleIjjNS7_9null_typeES9_S9_S9_S9_S9_S9_S9_EENS0_10empty_typeEbEEZZNS1_14partition_implILS5_6ELb0ES3_mNS7_12zip_iteratorINS8_INS7_6detail15normal_iteratorINS7_10device_ptrIjEEEESJ_S9_S9_S9_S9_S9_S9_S9_S9_EEEEPSB_SM_NS0_5tupleIJNSE_INS8_ISJ_NS7_16discard_iteratorINS7_11use_defaultEEES9_S9_S9_S9_S9_S9_S9_S9_EEEESB_EEENSN_IJSM_SM_EEESB_PlJNSF_9not_fun_tINSF_14equal_to_valueISA_EEEEEEE10hipError_tPvRmT3_T4_T5_T6_T7_T9_mT8_P12ihipStream_tbDpT10_ENKUlT_T0_E_clISt17integral_constantIbLb1EES1J_EEDaS1E_S1F_EUlS1E_E_NS1_11comp_targetILNS1_3genE8ELNS1_11target_archE1030ELNS1_3gpuE2ELNS1_3repE0EEENS1_30default_config_static_selectorELNS0_4arch9wavefront6targetE0EEEvT1_.uses_vcc, 0
	.set _ZN7rocprim17ROCPRIM_400000_NS6detail17trampoline_kernelINS0_14default_configENS1_25partition_config_selectorILNS1_17partition_subalgoE6EN6thrust23THRUST_200600_302600_NS5tupleIjjNS7_9null_typeES9_S9_S9_S9_S9_S9_S9_EENS0_10empty_typeEbEEZZNS1_14partition_implILS5_6ELb0ES3_mNS7_12zip_iteratorINS8_INS7_6detail15normal_iteratorINS7_10device_ptrIjEEEESJ_S9_S9_S9_S9_S9_S9_S9_S9_EEEEPSB_SM_NS0_5tupleIJNSE_INS8_ISJ_NS7_16discard_iteratorINS7_11use_defaultEEES9_S9_S9_S9_S9_S9_S9_S9_EEEESB_EEENSN_IJSM_SM_EEESB_PlJNSF_9not_fun_tINSF_14equal_to_valueISA_EEEEEEE10hipError_tPvRmT3_T4_T5_T6_T7_T9_mT8_P12ihipStream_tbDpT10_ENKUlT_T0_E_clISt17integral_constantIbLb1EES1J_EEDaS1E_S1F_EUlS1E_E_NS1_11comp_targetILNS1_3genE8ELNS1_11target_archE1030ELNS1_3gpuE2ELNS1_3repE0EEENS1_30default_config_static_selectorELNS0_4arch9wavefront6targetE0EEEvT1_.uses_flat_scratch, 0
	.set _ZN7rocprim17ROCPRIM_400000_NS6detail17trampoline_kernelINS0_14default_configENS1_25partition_config_selectorILNS1_17partition_subalgoE6EN6thrust23THRUST_200600_302600_NS5tupleIjjNS7_9null_typeES9_S9_S9_S9_S9_S9_S9_EENS0_10empty_typeEbEEZZNS1_14partition_implILS5_6ELb0ES3_mNS7_12zip_iteratorINS8_INS7_6detail15normal_iteratorINS7_10device_ptrIjEEEESJ_S9_S9_S9_S9_S9_S9_S9_S9_EEEEPSB_SM_NS0_5tupleIJNSE_INS8_ISJ_NS7_16discard_iteratorINS7_11use_defaultEEES9_S9_S9_S9_S9_S9_S9_S9_EEEESB_EEENSN_IJSM_SM_EEESB_PlJNSF_9not_fun_tINSF_14equal_to_valueISA_EEEEEEE10hipError_tPvRmT3_T4_T5_T6_T7_T9_mT8_P12ihipStream_tbDpT10_ENKUlT_T0_E_clISt17integral_constantIbLb1EES1J_EEDaS1E_S1F_EUlS1E_E_NS1_11comp_targetILNS1_3genE8ELNS1_11target_archE1030ELNS1_3gpuE2ELNS1_3repE0EEENS1_30default_config_static_selectorELNS0_4arch9wavefront6targetE0EEEvT1_.has_dyn_sized_stack, 0
	.set _ZN7rocprim17ROCPRIM_400000_NS6detail17trampoline_kernelINS0_14default_configENS1_25partition_config_selectorILNS1_17partition_subalgoE6EN6thrust23THRUST_200600_302600_NS5tupleIjjNS7_9null_typeES9_S9_S9_S9_S9_S9_S9_EENS0_10empty_typeEbEEZZNS1_14partition_implILS5_6ELb0ES3_mNS7_12zip_iteratorINS8_INS7_6detail15normal_iteratorINS7_10device_ptrIjEEEESJ_S9_S9_S9_S9_S9_S9_S9_S9_EEEEPSB_SM_NS0_5tupleIJNSE_INS8_ISJ_NS7_16discard_iteratorINS7_11use_defaultEEES9_S9_S9_S9_S9_S9_S9_S9_EEEESB_EEENSN_IJSM_SM_EEESB_PlJNSF_9not_fun_tINSF_14equal_to_valueISA_EEEEEEE10hipError_tPvRmT3_T4_T5_T6_T7_T9_mT8_P12ihipStream_tbDpT10_ENKUlT_T0_E_clISt17integral_constantIbLb1EES1J_EEDaS1E_S1F_EUlS1E_E_NS1_11comp_targetILNS1_3genE8ELNS1_11target_archE1030ELNS1_3gpuE2ELNS1_3repE0EEENS1_30default_config_static_selectorELNS0_4arch9wavefront6targetE0EEEvT1_.has_recursion, 0
	.set _ZN7rocprim17ROCPRIM_400000_NS6detail17trampoline_kernelINS0_14default_configENS1_25partition_config_selectorILNS1_17partition_subalgoE6EN6thrust23THRUST_200600_302600_NS5tupleIjjNS7_9null_typeES9_S9_S9_S9_S9_S9_S9_EENS0_10empty_typeEbEEZZNS1_14partition_implILS5_6ELb0ES3_mNS7_12zip_iteratorINS8_INS7_6detail15normal_iteratorINS7_10device_ptrIjEEEESJ_S9_S9_S9_S9_S9_S9_S9_S9_EEEEPSB_SM_NS0_5tupleIJNSE_INS8_ISJ_NS7_16discard_iteratorINS7_11use_defaultEEES9_S9_S9_S9_S9_S9_S9_S9_EEEESB_EEENSN_IJSM_SM_EEESB_PlJNSF_9not_fun_tINSF_14equal_to_valueISA_EEEEEEE10hipError_tPvRmT3_T4_T5_T6_T7_T9_mT8_P12ihipStream_tbDpT10_ENKUlT_T0_E_clISt17integral_constantIbLb1EES1J_EEDaS1E_S1F_EUlS1E_E_NS1_11comp_targetILNS1_3genE8ELNS1_11target_archE1030ELNS1_3gpuE2ELNS1_3repE0EEENS1_30default_config_static_selectorELNS0_4arch9wavefront6targetE0EEEvT1_.has_indirect_call, 0
	.section	.AMDGPU.csdata,"",@progbits
; Kernel info:
; codeLenInByte = 0
; TotalNumSgprs: 0
; NumVgprs: 0
; ScratchSize: 0
; MemoryBound: 0
; FloatMode: 240
; IeeeMode: 1
; LDSByteSize: 0 bytes/workgroup (compile time only)
; SGPRBlocks: 0
; VGPRBlocks: 0
; NumSGPRsForWavesPerEU: 1
; NumVGPRsForWavesPerEU: 1
; Occupancy: 16
; WaveLimiterHint : 0
; COMPUTE_PGM_RSRC2:SCRATCH_EN: 0
; COMPUTE_PGM_RSRC2:USER_SGPR: 2
; COMPUTE_PGM_RSRC2:TRAP_HANDLER: 0
; COMPUTE_PGM_RSRC2:TGID_X_EN: 1
; COMPUTE_PGM_RSRC2:TGID_Y_EN: 0
; COMPUTE_PGM_RSRC2:TGID_Z_EN: 0
; COMPUTE_PGM_RSRC2:TIDIG_COMP_CNT: 0
	.section	.text._ZN7rocprim17ROCPRIM_400000_NS6detail17trampoline_kernelINS0_14default_configENS1_25partition_config_selectorILNS1_17partition_subalgoE6EN6thrust23THRUST_200600_302600_NS5tupleIjjNS7_9null_typeES9_S9_S9_S9_S9_S9_S9_EENS0_10empty_typeEbEEZZNS1_14partition_implILS5_6ELb0ES3_mNS7_12zip_iteratorINS8_INS7_6detail15normal_iteratorINS7_10device_ptrIjEEEESJ_S9_S9_S9_S9_S9_S9_S9_S9_EEEEPSB_SM_NS0_5tupleIJNSE_INS8_ISJ_NS7_16discard_iteratorINS7_11use_defaultEEES9_S9_S9_S9_S9_S9_S9_S9_EEEESB_EEENSN_IJSM_SM_EEESB_PlJNSF_9not_fun_tINSF_14equal_to_valueISA_EEEEEEE10hipError_tPvRmT3_T4_T5_T6_T7_T9_mT8_P12ihipStream_tbDpT10_ENKUlT_T0_E_clISt17integral_constantIbLb1EES1I_IbLb0EEEEDaS1E_S1F_EUlS1E_E_NS1_11comp_targetILNS1_3genE0ELNS1_11target_archE4294967295ELNS1_3gpuE0ELNS1_3repE0EEENS1_30default_config_static_selectorELNS0_4arch9wavefront6targetE0EEEvT1_,"axG",@progbits,_ZN7rocprim17ROCPRIM_400000_NS6detail17trampoline_kernelINS0_14default_configENS1_25partition_config_selectorILNS1_17partition_subalgoE6EN6thrust23THRUST_200600_302600_NS5tupleIjjNS7_9null_typeES9_S9_S9_S9_S9_S9_S9_EENS0_10empty_typeEbEEZZNS1_14partition_implILS5_6ELb0ES3_mNS7_12zip_iteratorINS8_INS7_6detail15normal_iteratorINS7_10device_ptrIjEEEESJ_S9_S9_S9_S9_S9_S9_S9_S9_EEEEPSB_SM_NS0_5tupleIJNSE_INS8_ISJ_NS7_16discard_iteratorINS7_11use_defaultEEES9_S9_S9_S9_S9_S9_S9_S9_EEEESB_EEENSN_IJSM_SM_EEESB_PlJNSF_9not_fun_tINSF_14equal_to_valueISA_EEEEEEE10hipError_tPvRmT3_T4_T5_T6_T7_T9_mT8_P12ihipStream_tbDpT10_ENKUlT_T0_E_clISt17integral_constantIbLb1EES1I_IbLb0EEEEDaS1E_S1F_EUlS1E_E_NS1_11comp_targetILNS1_3genE0ELNS1_11target_archE4294967295ELNS1_3gpuE0ELNS1_3repE0EEENS1_30default_config_static_selectorELNS0_4arch9wavefront6targetE0EEEvT1_,comdat
	.protected	_ZN7rocprim17ROCPRIM_400000_NS6detail17trampoline_kernelINS0_14default_configENS1_25partition_config_selectorILNS1_17partition_subalgoE6EN6thrust23THRUST_200600_302600_NS5tupleIjjNS7_9null_typeES9_S9_S9_S9_S9_S9_S9_EENS0_10empty_typeEbEEZZNS1_14partition_implILS5_6ELb0ES3_mNS7_12zip_iteratorINS8_INS7_6detail15normal_iteratorINS7_10device_ptrIjEEEESJ_S9_S9_S9_S9_S9_S9_S9_S9_EEEEPSB_SM_NS0_5tupleIJNSE_INS8_ISJ_NS7_16discard_iteratorINS7_11use_defaultEEES9_S9_S9_S9_S9_S9_S9_S9_EEEESB_EEENSN_IJSM_SM_EEESB_PlJNSF_9not_fun_tINSF_14equal_to_valueISA_EEEEEEE10hipError_tPvRmT3_T4_T5_T6_T7_T9_mT8_P12ihipStream_tbDpT10_ENKUlT_T0_E_clISt17integral_constantIbLb1EES1I_IbLb0EEEEDaS1E_S1F_EUlS1E_E_NS1_11comp_targetILNS1_3genE0ELNS1_11target_archE4294967295ELNS1_3gpuE0ELNS1_3repE0EEENS1_30default_config_static_selectorELNS0_4arch9wavefront6targetE0EEEvT1_ ; -- Begin function _ZN7rocprim17ROCPRIM_400000_NS6detail17trampoline_kernelINS0_14default_configENS1_25partition_config_selectorILNS1_17partition_subalgoE6EN6thrust23THRUST_200600_302600_NS5tupleIjjNS7_9null_typeES9_S9_S9_S9_S9_S9_S9_EENS0_10empty_typeEbEEZZNS1_14partition_implILS5_6ELb0ES3_mNS7_12zip_iteratorINS8_INS7_6detail15normal_iteratorINS7_10device_ptrIjEEEESJ_S9_S9_S9_S9_S9_S9_S9_S9_EEEEPSB_SM_NS0_5tupleIJNSE_INS8_ISJ_NS7_16discard_iteratorINS7_11use_defaultEEES9_S9_S9_S9_S9_S9_S9_S9_EEEESB_EEENSN_IJSM_SM_EEESB_PlJNSF_9not_fun_tINSF_14equal_to_valueISA_EEEEEEE10hipError_tPvRmT3_T4_T5_T6_T7_T9_mT8_P12ihipStream_tbDpT10_ENKUlT_T0_E_clISt17integral_constantIbLb1EES1I_IbLb0EEEEDaS1E_S1F_EUlS1E_E_NS1_11comp_targetILNS1_3genE0ELNS1_11target_archE4294967295ELNS1_3gpuE0ELNS1_3repE0EEENS1_30default_config_static_selectorELNS0_4arch9wavefront6targetE0EEEvT1_
	.globl	_ZN7rocprim17ROCPRIM_400000_NS6detail17trampoline_kernelINS0_14default_configENS1_25partition_config_selectorILNS1_17partition_subalgoE6EN6thrust23THRUST_200600_302600_NS5tupleIjjNS7_9null_typeES9_S9_S9_S9_S9_S9_S9_EENS0_10empty_typeEbEEZZNS1_14partition_implILS5_6ELb0ES3_mNS7_12zip_iteratorINS8_INS7_6detail15normal_iteratorINS7_10device_ptrIjEEEESJ_S9_S9_S9_S9_S9_S9_S9_S9_EEEEPSB_SM_NS0_5tupleIJNSE_INS8_ISJ_NS7_16discard_iteratorINS7_11use_defaultEEES9_S9_S9_S9_S9_S9_S9_S9_EEEESB_EEENSN_IJSM_SM_EEESB_PlJNSF_9not_fun_tINSF_14equal_to_valueISA_EEEEEEE10hipError_tPvRmT3_T4_T5_T6_T7_T9_mT8_P12ihipStream_tbDpT10_ENKUlT_T0_E_clISt17integral_constantIbLb1EES1I_IbLb0EEEEDaS1E_S1F_EUlS1E_E_NS1_11comp_targetILNS1_3genE0ELNS1_11target_archE4294967295ELNS1_3gpuE0ELNS1_3repE0EEENS1_30default_config_static_selectorELNS0_4arch9wavefront6targetE0EEEvT1_
	.p2align	8
	.type	_ZN7rocprim17ROCPRIM_400000_NS6detail17trampoline_kernelINS0_14default_configENS1_25partition_config_selectorILNS1_17partition_subalgoE6EN6thrust23THRUST_200600_302600_NS5tupleIjjNS7_9null_typeES9_S9_S9_S9_S9_S9_S9_EENS0_10empty_typeEbEEZZNS1_14partition_implILS5_6ELb0ES3_mNS7_12zip_iteratorINS8_INS7_6detail15normal_iteratorINS7_10device_ptrIjEEEESJ_S9_S9_S9_S9_S9_S9_S9_S9_EEEEPSB_SM_NS0_5tupleIJNSE_INS8_ISJ_NS7_16discard_iteratorINS7_11use_defaultEEES9_S9_S9_S9_S9_S9_S9_S9_EEEESB_EEENSN_IJSM_SM_EEESB_PlJNSF_9not_fun_tINSF_14equal_to_valueISA_EEEEEEE10hipError_tPvRmT3_T4_T5_T6_T7_T9_mT8_P12ihipStream_tbDpT10_ENKUlT_T0_E_clISt17integral_constantIbLb1EES1I_IbLb0EEEEDaS1E_S1F_EUlS1E_E_NS1_11comp_targetILNS1_3genE0ELNS1_11target_archE4294967295ELNS1_3gpuE0ELNS1_3repE0EEENS1_30default_config_static_selectorELNS0_4arch9wavefront6targetE0EEEvT1_,@function
_ZN7rocprim17ROCPRIM_400000_NS6detail17trampoline_kernelINS0_14default_configENS1_25partition_config_selectorILNS1_17partition_subalgoE6EN6thrust23THRUST_200600_302600_NS5tupleIjjNS7_9null_typeES9_S9_S9_S9_S9_S9_S9_EENS0_10empty_typeEbEEZZNS1_14partition_implILS5_6ELb0ES3_mNS7_12zip_iteratorINS8_INS7_6detail15normal_iteratorINS7_10device_ptrIjEEEESJ_S9_S9_S9_S9_S9_S9_S9_S9_EEEEPSB_SM_NS0_5tupleIJNSE_INS8_ISJ_NS7_16discard_iteratorINS7_11use_defaultEEES9_S9_S9_S9_S9_S9_S9_S9_EEEESB_EEENSN_IJSM_SM_EEESB_PlJNSF_9not_fun_tINSF_14equal_to_valueISA_EEEEEEE10hipError_tPvRmT3_T4_T5_T6_T7_T9_mT8_P12ihipStream_tbDpT10_ENKUlT_T0_E_clISt17integral_constantIbLb1EES1I_IbLb0EEEEDaS1E_S1F_EUlS1E_E_NS1_11comp_targetILNS1_3genE0ELNS1_11target_archE4294967295ELNS1_3gpuE0ELNS1_3repE0EEENS1_30default_config_static_selectorELNS0_4arch9wavefront6targetE0EEEvT1_: ; @_ZN7rocprim17ROCPRIM_400000_NS6detail17trampoline_kernelINS0_14default_configENS1_25partition_config_selectorILNS1_17partition_subalgoE6EN6thrust23THRUST_200600_302600_NS5tupleIjjNS7_9null_typeES9_S9_S9_S9_S9_S9_S9_EENS0_10empty_typeEbEEZZNS1_14partition_implILS5_6ELb0ES3_mNS7_12zip_iteratorINS8_INS7_6detail15normal_iteratorINS7_10device_ptrIjEEEESJ_S9_S9_S9_S9_S9_S9_S9_S9_EEEEPSB_SM_NS0_5tupleIJNSE_INS8_ISJ_NS7_16discard_iteratorINS7_11use_defaultEEES9_S9_S9_S9_S9_S9_S9_S9_EEEESB_EEENSN_IJSM_SM_EEESB_PlJNSF_9not_fun_tINSF_14equal_to_valueISA_EEEEEEE10hipError_tPvRmT3_T4_T5_T6_T7_T9_mT8_P12ihipStream_tbDpT10_ENKUlT_T0_E_clISt17integral_constantIbLb1EES1I_IbLb0EEEEDaS1E_S1F_EUlS1E_E_NS1_11comp_targetILNS1_3genE0ELNS1_11target_archE4294967295ELNS1_3gpuE0ELNS1_3repE0EEENS1_30default_config_static_selectorELNS0_4arch9wavefront6targetE0EEEvT1_
; %bb.0:
	.section	.rodata,"a",@progbits
	.p2align	6, 0x0
	.amdhsa_kernel _ZN7rocprim17ROCPRIM_400000_NS6detail17trampoline_kernelINS0_14default_configENS1_25partition_config_selectorILNS1_17partition_subalgoE6EN6thrust23THRUST_200600_302600_NS5tupleIjjNS7_9null_typeES9_S9_S9_S9_S9_S9_S9_EENS0_10empty_typeEbEEZZNS1_14partition_implILS5_6ELb0ES3_mNS7_12zip_iteratorINS8_INS7_6detail15normal_iteratorINS7_10device_ptrIjEEEESJ_S9_S9_S9_S9_S9_S9_S9_S9_EEEEPSB_SM_NS0_5tupleIJNSE_INS8_ISJ_NS7_16discard_iteratorINS7_11use_defaultEEES9_S9_S9_S9_S9_S9_S9_S9_EEEESB_EEENSN_IJSM_SM_EEESB_PlJNSF_9not_fun_tINSF_14equal_to_valueISA_EEEEEEE10hipError_tPvRmT3_T4_T5_T6_T7_T9_mT8_P12ihipStream_tbDpT10_ENKUlT_T0_E_clISt17integral_constantIbLb1EES1I_IbLb0EEEEDaS1E_S1F_EUlS1E_E_NS1_11comp_targetILNS1_3genE0ELNS1_11target_archE4294967295ELNS1_3gpuE0ELNS1_3repE0EEENS1_30default_config_static_selectorELNS0_4arch9wavefront6targetE0EEEvT1_
		.amdhsa_group_segment_fixed_size 0
		.amdhsa_private_segment_fixed_size 0
		.amdhsa_kernarg_size 144
		.amdhsa_user_sgpr_count 2
		.amdhsa_user_sgpr_dispatch_ptr 0
		.amdhsa_user_sgpr_queue_ptr 0
		.amdhsa_user_sgpr_kernarg_segment_ptr 1
		.amdhsa_user_sgpr_dispatch_id 0
		.amdhsa_user_sgpr_private_segment_size 0
		.amdhsa_wavefront_size32 1
		.amdhsa_uses_dynamic_stack 0
		.amdhsa_enable_private_segment 0
		.amdhsa_system_sgpr_workgroup_id_x 1
		.amdhsa_system_sgpr_workgroup_id_y 0
		.amdhsa_system_sgpr_workgroup_id_z 0
		.amdhsa_system_sgpr_workgroup_info 0
		.amdhsa_system_vgpr_workitem_id 0
		.amdhsa_next_free_vgpr 1
		.amdhsa_next_free_sgpr 1
		.amdhsa_reserve_vcc 0
		.amdhsa_float_round_mode_32 0
		.amdhsa_float_round_mode_16_64 0
		.amdhsa_float_denorm_mode_32 3
		.amdhsa_float_denorm_mode_16_64 3
		.amdhsa_fp16_overflow 0
		.amdhsa_workgroup_processor_mode 1
		.amdhsa_memory_ordered 1
		.amdhsa_forward_progress 1
		.amdhsa_inst_pref_size 0
		.amdhsa_round_robin_scheduling 0
		.amdhsa_exception_fp_ieee_invalid_op 0
		.amdhsa_exception_fp_denorm_src 0
		.amdhsa_exception_fp_ieee_div_zero 0
		.amdhsa_exception_fp_ieee_overflow 0
		.amdhsa_exception_fp_ieee_underflow 0
		.amdhsa_exception_fp_ieee_inexact 0
		.amdhsa_exception_int_div_zero 0
	.end_amdhsa_kernel
	.section	.text._ZN7rocprim17ROCPRIM_400000_NS6detail17trampoline_kernelINS0_14default_configENS1_25partition_config_selectorILNS1_17partition_subalgoE6EN6thrust23THRUST_200600_302600_NS5tupleIjjNS7_9null_typeES9_S9_S9_S9_S9_S9_S9_EENS0_10empty_typeEbEEZZNS1_14partition_implILS5_6ELb0ES3_mNS7_12zip_iteratorINS8_INS7_6detail15normal_iteratorINS7_10device_ptrIjEEEESJ_S9_S9_S9_S9_S9_S9_S9_S9_EEEEPSB_SM_NS0_5tupleIJNSE_INS8_ISJ_NS7_16discard_iteratorINS7_11use_defaultEEES9_S9_S9_S9_S9_S9_S9_S9_EEEESB_EEENSN_IJSM_SM_EEESB_PlJNSF_9not_fun_tINSF_14equal_to_valueISA_EEEEEEE10hipError_tPvRmT3_T4_T5_T6_T7_T9_mT8_P12ihipStream_tbDpT10_ENKUlT_T0_E_clISt17integral_constantIbLb1EES1I_IbLb0EEEEDaS1E_S1F_EUlS1E_E_NS1_11comp_targetILNS1_3genE0ELNS1_11target_archE4294967295ELNS1_3gpuE0ELNS1_3repE0EEENS1_30default_config_static_selectorELNS0_4arch9wavefront6targetE0EEEvT1_,"axG",@progbits,_ZN7rocprim17ROCPRIM_400000_NS6detail17trampoline_kernelINS0_14default_configENS1_25partition_config_selectorILNS1_17partition_subalgoE6EN6thrust23THRUST_200600_302600_NS5tupleIjjNS7_9null_typeES9_S9_S9_S9_S9_S9_S9_EENS0_10empty_typeEbEEZZNS1_14partition_implILS5_6ELb0ES3_mNS7_12zip_iteratorINS8_INS7_6detail15normal_iteratorINS7_10device_ptrIjEEEESJ_S9_S9_S9_S9_S9_S9_S9_S9_EEEEPSB_SM_NS0_5tupleIJNSE_INS8_ISJ_NS7_16discard_iteratorINS7_11use_defaultEEES9_S9_S9_S9_S9_S9_S9_S9_EEEESB_EEENSN_IJSM_SM_EEESB_PlJNSF_9not_fun_tINSF_14equal_to_valueISA_EEEEEEE10hipError_tPvRmT3_T4_T5_T6_T7_T9_mT8_P12ihipStream_tbDpT10_ENKUlT_T0_E_clISt17integral_constantIbLb1EES1I_IbLb0EEEEDaS1E_S1F_EUlS1E_E_NS1_11comp_targetILNS1_3genE0ELNS1_11target_archE4294967295ELNS1_3gpuE0ELNS1_3repE0EEENS1_30default_config_static_selectorELNS0_4arch9wavefront6targetE0EEEvT1_,comdat
.Lfunc_end1933:
	.size	_ZN7rocprim17ROCPRIM_400000_NS6detail17trampoline_kernelINS0_14default_configENS1_25partition_config_selectorILNS1_17partition_subalgoE6EN6thrust23THRUST_200600_302600_NS5tupleIjjNS7_9null_typeES9_S9_S9_S9_S9_S9_S9_EENS0_10empty_typeEbEEZZNS1_14partition_implILS5_6ELb0ES3_mNS7_12zip_iteratorINS8_INS7_6detail15normal_iteratorINS7_10device_ptrIjEEEESJ_S9_S9_S9_S9_S9_S9_S9_S9_EEEEPSB_SM_NS0_5tupleIJNSE_INS8_ISJ_NS7_16discard_iteratorINS7_11use_defaultEEES9_S9_S9_S9_S9_S9_S9_S9_EEEESB_EEENSN_IJSM_SM_EEESB_PlJNSF_9not_fun_tINSF_14equal_to_valueISA_EEEEEEE10hipError_tPvRmT3_T4_T5_T6_T7_T9_mT8_P12ihipStream_tbDpT10_ENKUlT_T0_E_clISt17integral_constantIbLb1EES1I_IbLb0EEEEDaS1E_S1F_EUlS1E_E_NS1_11comp_targetILNS1_3genE0ELNS1_11target_archE4294967295ELNS1_3gpuE0ELNS1_3repE0EEENS1_30default_config_static_selectorELNS0_4arch9wavefront6targetE0EEEvT1_, .Lfunc_end1933-_ZN7rocprim17ROCPRIM_400000_NS6detail17trampoline_kernelINS0_14default_configENS1_25partition_config_selectorILNS1_17partition_subalgoE6EN6thrust23THRUST_200600_302600_NS5tupleIjjNS7_9null_typeES9_S9_S9_S9_S9_S9_S9_EENS0_10empty_typeEbEEZZNS1_14partition_implILS5_6ELb0ES3_mNS7_12zip_iteratorINS8_INS7_6detail15normal_iteratorINS7_10device_ptrIjEEEESJ_S9_S9_S9_S9_S9_S9_S9_S9_EEEEPSB_SM_NS0_5tupleIJNSE_INS8_ISJ_NS7_16discard_iteratorINS7_11use_defaultEEES9_S9_S9_S9_S9_S9_S9_S9_EEEESB_EEENSN_IJSM_SM_EEESB_PlJNSF_9not_fun_tINSF_14equal_to_valueISA_EEEEEEE10hipError_tPvRmT3_T4_T5_T6_T7_T9_mT8_P12ihipStream_tbDpT10_ENKUlT_T0_E_clISt17integral_constantIbLb1EES1I_IbLb0EEEEDaS1E_S1F_EUlS1E_E_NS1_11comp_targetILNS1_3genE0ELNS1_11target_archE4294967295ELNS1_3gpuE0ELNS1_3repE0EEENS1_30default_config_static_selectorELNS0_4arch9wavefront6targetE0EEEvT1_
                                        ; -- End function
	.set _ZN7rocprim17ROCPRIM_400000_NS6detail17trampoline_kernelINS0_14default_configENS1_25partition_config_selectorILNS1_17partition_subalgoE6EN6thrust23THRUST_200600_302600_NS5tupleIjjNS7_9null_typeES9_S9_S9_S9_S9_S9_S9_EENS0_10empty_typeEbEEZZNS1_14partition_implILS5_6ELb0ES3_mNS7_12zip_iteratorINS8_INS7_6detail15normal_iteratorINS7_10device_ptrIjEEEESJ_S9_S9_S9_S9_S9_S9_S9_S9_EEEEPSB_SM_NS0_5tupleIJNSE_INS8_ISJ_NS7_16discard_iteratorINS7_11use_defaultEEES9_S9_S9_S9_S9_S9_S9_S9_EEEESB_EEENSN_IJSM_SM_EEESB_PlJNSF_9not_fun_tINSF_14equal_to_valueISA_EEEEEEE10hipError_tPvRmT3_T4_T5_T6_T7_T9_mT8_P12ihipStream_tbDpT10_ENKUlT_T0_E_clISt17integral_constantIbLb1EES1I_IbLb0EEEEDaS1E_S1F_EUlS1E_E_NS1_11comp_targetILNS1_3genE0ELNS1_11target_archE4294967295ELNS1_3gpuE0ELNS1_3repE0EEENS1_30default_config_static_selectorELNS0_4arch9wavefront6targetE0EEEvT1_.num_vgpr, 0
	.set _ZN7rocprim17ROCPRIM_400000_NS6detail17trampoline_kernelINS0_14default_configENS1_25partition_config_selectorILNS1_17partition_subalgoE6EN6thrust23THRUST_200600_302600_NS5tupleIjjNS7_9null_typeES9_S9_S9_S9_S9_S9_S9_EENS0_10empty_typeEbEEZZNS1_14partition_implILS5_6ELb0ES3_mNS7_12zip_iteratorINS8_INS7_6detail15normal_iteratorINS7_10device_ptrIjEEEESJ_S9_S9_S9_S9_S9_S9_S9_S9_EEEEPSB_SM_NS0_5tupleIJNSE_INS8_ISJ_NS7_16discard_iteratorINS7_11use_defaultEEES9_S9_S9_S9_S9_S9_S9_S9_EEEESB_EEENSN_IJSM_SM_EEESB_PlJNSF_9not_fun_tINSF_14equal_to_valueISA_EEEEEEE10hipError_tPvRmT3_T4_T5_T6_T7_T9_mT8_P12ihipStream_tbDpT10_ENKUlT_T0_E_clISt17integral_constantIbLb1EES1I_IbLb0EEEEDaS1E_S1F_EUlS1E_E_NS1_11comp_targetILNS1_3genE0ELNS1_11target_archE4294967295ELNS1_3gpuE0ELNS1_3repE0EEENS1_30default_config_static_selectorELNS0_4arch9wavefront6targetE0EEEvT1_.num_agpr, 0
	.set _ZN7rocprim17ROCPRIM_400000_NS6detail17trampoline_kernelINS0_14default_configENS1_25partition_config_selectorILNS1_17partition_subalgoE6EN6thrust23THRUST_200600_302600_NS5tupleIjjNS7_9null_typeES9_S9_S9_S9_S9_S9_S9_EENS0_10empty_typeEbEEZZNS1_14partition_implILS5_6ELb0ES3_mNS7_12zip_iteratorINS8_INS7_6detail15normal_iteratorINS7_10device_ptrIjEEEESJ_S9_S9_S9_S9_S9_S9_S9_S9_EEEEPSB_SM_NS0_5tupleIJNSE_INS8_ISJ_NS7_16discard_iteratorINS7_11use_defaultEEES9_S9_S9_S9_S9_S9_S9_S9_EEEESB_EEENSN_IJSM_SM_EEESB_PlJNSF_9not_fun_tINSF_14equal_to_valueISA_EEEEEEE10hipError_tPvRmT3_T4_T5_T6_T7_T9_mT8_P12ihipStream_tbDpT10_ENKUlT_T0_E_clISt17integral_constantIbLb1EES1I_IbLb0EEEEDaS1E_S1F_EUlS1E_E_NS1_11comp_targetILNS1_3genE0ELNS1_11target_archE4294967295ELNS1_3gpuE0ELNS1_3repE0EEENS1_30default_config_static_selectorELNS0_4arch9wavefront6targetE0EEEvT1_.numbered_sgpr, 0
	.set _ZN7rocprim17ROCPRIM_400000_NS6detail17trampoline_kernelINS0_14default_configENS1_25partition_config_selectorILNS1_17partition_subalgoE6EN6thrust23THRUST_200600_302600_NS5tupleIjjNS7_9null_typeES9_S9_S9_S9_S9_S9_S9_EENS0_10empty_typeEbEEZZNS1_14partition_implILS5_6ELb0ES3_mNS7_12zip_iteratorINS8_INS7_6detail15normal_iteratorINS7_10device_ptrIjEEEESJ_S9_S9_S9_S9_S9_S9_S9_S9_EEEEPSB_SM_NS0_5tupleIJNSE_INS8_ISJ_NS7_16discard_iteratorINS7_11use_defaultEEES9_S9_S9_S9_S9_S9_S9_S9_EEEESB_EEENSN_IJSM_SM_EEESB_PlJNSF_9not_fun_tINSF_14equal_to_valueISA_EEEEEEE10hipError_tPvRmT3_T4_T5_T6_T7_T9_mT8_P12ihipStream_tbDpT10_ENKUlT_T0_E_clISt17integral_constantIbLb1EES1I_IbLb0EEEEDaS1E_S1F_EUlS1E_E_NS1_11comp_targetILNS1_3genE0ELNS1_11target_archE4294967295ELNS1_3gpuE0ELNS1_3repE0EEENS1_30default_config_static_selectorELNS0_4arch9wavefront6targetE0EEEvT1_.num_named_barrier, 0
	.set _ZN7rocprim17ROCPRIM_400000_NS6detail17trampoline_kernelINS0_14default_configENS1_25partition_config_selectorILNS1_17partition_subalgoE6EN6thrust23THRUST_200600_302600_NS5tupleIjjNS7_9null_typeES9_S9_S9_S9_S9_S9_S9_EENS0_10empty_typeEbEEZZNS1_14partition_implILS5_6ELb0ES3_mNS7_12zip_iteratorINS8_INS7_6detail15normal_iteratorINS7_10device_ptrIjEEEESJ_S9_S9_S9_S9_S9_S9_S9_S9_EEEEPSB_SM_NS0_5tupleIJNSE_INS8_ISJ_NS7_16discard_iteratorINS7_11use_defaultEEES9_S9_S9_S9_S9_S9_S9_S9_EEEESB_EEENSN_IJSM_SM_EEESB_PlJNSF_9not_fun_tINSF_14equal_to_valueISA_EEEEEEE10hipError_tPvRmT3_T4_T5_T6_T7_T9_mT8_P12ihipStream_tbDpT10_ENKUlT_T0_E_clISt17integral_constantIbLb1EES1I_IbLb0EEEEDaS1E_S1F_EUlS1E_E_NS1_11comp_targetILNS1_3genE0ELNS1_11target_archE4294967295ELNS1_3gpuE0ELNS1_3repE0EEENS1_30default_config_static_selectorELNS0_4arch9wavefront6targetE0EEEvT1_.private_seg_size, 0
	.set _ZN7rocprim17ROCPRIM_400000_NS6detail17trampoline_kernelINS0_14default_configENS1_25partition_config_selectorILNS1_17partition_subalgoE6EN6thrust23THRUST_200600_302600_NS5tupleIjjNS7_9null_typeES9_S9_S9_S9_S9_S9_S9_EENS0_10empty_typeEbEEZZNS1_14partition_implILS5_6ELb0ES3_mNS7_12zip_iteratorINS8_INS7_6detail15normal_iteratorINS7_10device_ptrIjEEEESJ_S9_S9_S9_S9_S9_S9_S9_S9_EEEEPSB_SM_NS0_5tupleIJNSE_INS8_ISJ_NS7_16discard_iteratorINS7_11use_defaultEEES9_S9_S9_S9_S9_S9_S9_S9_EEEESB_EEENSN_IJSM_SM_EEESB_PlJNSF_9not_fun_tINSF_14equal_to_valueISA_EEEEEEE10hipError_tPvRmT3_T4_T5_T6_T7_T9_mT8_P12ihipStream_tbDpT10_ENKUlT_T0_E_clISt17integral_constantIbLb1EES1I_IbLb0EEEEDaS1E_S1F_EUlS1E_E_NS1_11comp_targetILNS1_3genE0ELNS1_11target_archE4294967295ELNS1_3gpuE0ELNS1_3repE0EEENS1_30default_config_static_selectorELNS0_4arch9wavefront6targetE0EEEvT1_.uses_vcc, 0
	.set _ZN7rocprim17ROCPRIM_400000_NS6detail17trampoline_kernelINS0_14default_configENS1_25partition_config_selectorILNS1_17partition_subalgoE6EN6thrust23THRUST_200600_302600_NS5tupleIjjNS7_9null_typeES9_S9_S9_S9_S9_S9_S9_EENS0_10empty_typeEbEEZZNS1_14partition_implILS5_6ELb0ES3_mNS7_12zip_iteratorINS8_INS7_6detail15normal_iteratorINS7_10device_ptrIjEEEESJ_S9_S9_S9_S9_S9_S9_S9_S9_EEEEPSB_SM_NS0_5tupleIJNSE_INS8_ISJ_NS7_16discard_iteratorINS7_11use_defaultEEES9_S9_S9_S9_S9_S9_S9_S9_EEEESB_EEENSN_IJSM_SM_EEESB_PlJNSF_9not_fun_tINSF_14equal_to_valueISA_EEEEEEE10hipError_tPvRmT3_T4_T5_T6_T7_T9_mT8_P12ihipStream_tbDpT10_ENKUlT_T0_E_clISt17integral_constantIbLb1EES1I_IbLb0EEEEDaS1E_S1F_EUlS1E_E_NS1_11comp_targetILNS1_3genE0ELNS1_11target_archE4294967295ELNS1_3gpuE0ELNS1_3repE0EEENS1_30default_config_static_selectorELNS0_4arch9wavefront6targetE0EEEvT1_.uses_flat_scratch, 0
	.set _ZN7rocprim17ROCPRIM_400000_NS6detail17trampoline_kernelINS0_14default_configENS1_25partition_config_selectorILNS1_17partition_subalgoE6EN6thrust23THRUST_200600_302600_NS5tupleIjjNS7_9null_typeES9_S9_S9_S9_S9_S9_S9_EENS0_10empty_typeEbEEZZNS1_14partition_implILS5_6ELb0ES3_mNS7_12zip_iteratorINS8_INS7_6detail15normal_iteratorINS7_10device_ptrIjEEEESJ_S9_S9_S9_S9_S9_S9_S9_S9_EEEEPSB_SM_NS0_5tupleIJNSE_INS8_ISJ_NS7_16discard_iteratorINS7_11use_defaultEEES9_S9_S9_S9_S9_S9_S9_S9_EEEESB_EEENSN_IJSM_SM_EEESB_PlJNSF_9not_fun_tINSF_14equal_to_valueISA_EEEEEEE10hipError_tPvRmT3_T4_T5_T6_T7_T9_mT8_P12ihipStream_tbDpT10_ENKUlT_T0_E_clISt17integral_constantIbLb1EES1I_IbLb0EEEEDaS1E_S1F_EUlS1E_E_NS1_11comp_targetILNS1_3genE0ELNS1_11target_archE4294967295ELNS1_3gpuE0ELNS1_3repE0EEENS1_30default_config_static_selectorELNS0_4arch9wavefront6targetE0EEEvT1_.has_dyn_sized_stack, 0
	.set _ZN7rocprim17ROCPRIM_400000_NS6detail17trampoline_kernelINS0_14default_configENS1_25partition_config_selectorILNS1_17partition_subalgoE6EN6thrust23THRUST_200600_302600_NS5tupleIjjNS7_9null_typeES9_S9_S9_S9_S9_S9_S9_EENS0_10empty_typeEbEEZZNS1_14partition_implILS5_6ELb0ES3_mNS7_12zip_iteratorINS8_INS7_6detail15normal_iteratorINS7_10device_ptrIjEEEESJ_S9_S9_S9_S9_S9_S9_S9_S9_EEEEPSB_SM_NS0_5tupleIJNSE_INS8_ISJ_NS7_16discard_iteratorINS7_11use_defaultEEES9_S9_S9_S9_S9_S9_S9_S9_EEEESB_EEENSN_IJSM_SM_EEESB_PlJNSF_9not_fun_tINSF_14equal_to_valueISA_EEEEEEE10hipError_tPvRmT3_T4_T5_T6_T7_T9_mT8_P12ihipStream_tbDpT10_ENKUlT_T0_E_clISt17integral_constantIbLb1EES1I_IbLb0EEEEDaS1E_S1F_EUlS1E_E_NS1_11comp_targetILNS1_3genE0ELNS1_11target_archE4294967295ELNS1_3gpuE0ELNS1_3repE0EEENS1_30default_config_static_selectorELNS0_4arch9wavefront6targetE0EEEvT1_.has_recursion, 0
	.set _ZN7rocprim17ROCPRIM_400000_NS6detail17trampoline_kernelINS0_14default_configENS1_25partition_config_selectorILNS1_17partition_subalgoE6EN6thrust23THRUST_200600_302600_NS5tupleIjjNS7_9null_typeES9_S9_S9_S9_S9_S9_S9_EENS0_10empty_typeEbEEZZNS1_14partition_implILS5_6ELb0ES3_mNS7_12zip_iteratorINS8_INS7_6detail15normal_iteratorINS7_10device_ptrIjEEEESJ_S9_S9_S9_S9_S9_S9_S9_S9_EEEEPSB_SM_NS0_5tupleIJNSE_INS8_ISJ_NS7_16discard_iteratorINS7_11use_defaultEEES9_S9_S9_S9_S9_S9_S9_S9_EEEESB_EEENSN_IJSM_SM_EEESB_PlJNSF_9not_fun_tINSF_14equal_to_valueISA_EEEEEEE10hipError_tPvRmT3_T4_T5_T6_T7_T9_mT8_P12ihipStream_tbDpT10_ENKUlT_T0_E_clISt17integral_constantIbLb1EES1I_IbLb0EEEEDaS1E_S1F_EUlS1E_E_NS1_11comp_targetILNS1_3genE0ELNS1_11target_archE4294967295ELNS1_3gpuE0ELNS1_3repE0EEENS1_30default_config_static_selectorELNS0_4arch9wavefront6targetE0EEEvT1_.has_indirect_call, 0
	.section	.AMDGPU.csdata,"",@progbits
; Kernel info:
; codeLenInByte = 0
; TotalNumSgprs: 0
; NumVgprs: 0
; ScratchSize: 0
; MemoryBound: 0
; FloatMode: 240
; IeeeMode: 1
; LDSByteSize: 0 bytes/workgroup (compile time only)
; SGPRBlocks: 0
; VGPRBlocks: 0
; NumSGPRsForWavesPerEU: 1
; NumVGPRsForWavesPerEU: 1
; Occupancy: 16
; WaveLimiterHint : 0
; COMPUTE_PGM_RSRC2:SCRATCH_EN: 0
; COMPUTE_PGM_RSRC2:USER_SGPR: 2
; COMPUTE_PGM_RSRC2:TRAP_HANDLER: 0
; COMPUTE_PGM_RSRC2:TGID_X_EN: 1
; COMPUTE_PGM_RSRC2:TGID_Y_EN: 0
; COMPUTE_PGM_RSRC2:TGID_Z_EN: 0
; COMPUTE_PGM_RSRC2:TIDIG_COMP_CNT: 0
	.section	.text._ZN7rocprim17ROCPRIM_400000_NS6detail17trampoline_kernelINS0_14default_configENS1_25partition_config_selectorILNS1_17partition_subalgoE6EN6thrust23THRUST_200600_302600_NS5tupleIjjNS7_9null_typeES9_S9_S9_S9_S9_S9_S9_EENS0_10empty_typeEbEEZZNS1_14partition_implILS5_6ELb0ES3_mNS7_12zip_iteratorINS8_INS7_6detail15normal_iteratorINS7_10device_ptrIjEEEESJ_S9_S9_S9_S9_S9_S9_S9_S9_EEEEPSB_SM_NS0_5tupleIJNSE_INS8_ISJ_NS7_16discard_iteratorINS7_11use_defaultEEES9_S9_S9_S9_S9_S9_S9_S9_EEEESB_EEENSN_IJSM_SM_EEESB_PlJNSF_9not_fun_tINSF_14equal_to_valueISA_EEEEEEE10hipError_tPvRmT3_T4_T5_T6_T7_T9_mT8_P12ihipStream_tbDpT10_ENKUlT_T0_E_clISt17integral_constantIbLb1EES1I_IbLb0EEEEDaS1E_S1F_EUlS1E_E_NS1_11comp_targetILNS1_3genE5ELNS1_11target_archE942ELNS1_3gpuE9ELNS1_3repE0EEENS1_30default_config_static_selectorELNS0_4arch9wavefront6targetE0EEEvT1_,"axG",@progbits,_ZN7rocprim17ROCPRIM_400000_NS6detail17trampoline_kernelINS0_14default_configENS1_25partition_config_selectorILNS1_17partition_subalgoE6EN6thrust23THRUST_200600_302600_NS5tupleIjjNS7_9null_typeES9_S9_S9_S9_S9_S9_S9_EENS0_10empty_typeEbEEZZNS1_14partition_implILS5_6ELb0ES3_mNS7_12zip_iteratorINS8_INS7_6detail15normal_iteratorINS7_10device_ptrIjEEEESJ_S9_S9_S9_S9_S9_S9_S9_S9_EEEEPSB_SM_NS0_5tupleIJNSE_INS8_ISJ_NS7_16discard_iteratorINS7_11use_defaultEEES9_S9_S9_S9_S9_S9_S9_S9_EEEESB_EEENSN_IJSM_SM_EEESB_PlJNSF_9not_fun_tINSF_14equal_to_valueISA_EEEEEEE10hipError_tPvRmT3_T4_T5_T6_T7_T9_mT8_P12ihipStream_tbDpT10_ENKUlT_T0_E_clISt17integral_constantIbLb1EES1I_IbLb0EEEEDaS1E_S1F_EUlS1E_E_NS1_11comp_targetILNS1_3genE5ELNS1_11target_archE942ELNS1_3gpuE9ELNS1_3repE0EEENS1_30default_config_static_selectorELNS0_4arch9wavefront6targetE0EEEvT1_,comdat
	.protected	_ZN7rocprim17ROCPRIM_400000_NS6detail17trampoline_kernelINS0_14default_configENS1_25partition_config_selectorILNS1_17partition_subalgoE6EN6thrust23THRUST_200600_302600_NS5tupleIjjNS7_9null_typeES9_S9_S9_S9_S9_S9_S9_EENS0_10empty_typeEbEEZZNS1_14partition_implILS5_6ELb0ES3_mNS7_12zip_iteratorINS8_INS7_6detail15normal_iteratorINS7_10device_ptrIjEEEESJ_S9_S9_S9_S9_S9_S9_S9_S9_EEEEPSB_SM_NS0_5tupleIJNSE_INS8_ISJ_NS7_16discard_iteratorINS7_11use_defaultEEES9_S9_S9_S9_S9_S9_S9_S9_EEEESB_EEENSN_IJSM_SM_EEESB_PlJNSF_9not_fun_tINSF_14equal_to_valueISA_EEEEEEE10hipError_tPvRmT3_T4_T5_T6_T7_T9_mT8_P12ihipStream_tbDpT10_ENKUlT_T0_E_clISt17integral_constantIbLb1EES1I_IbLb0EEEEDaS1E_S1F_EUlS1E_E_NS1_11comp_targetILNS1_3genE5ELNS1_11target_archE942ELNS1_3gpuE9ELNS1_3repE0EEENS1_30default_config_static_selectorELNS0_4arch9wavefront6targetE0EEEvT1_ ; -- Begin function _ZN7rocprim17ROCPRIM_400000_NS6detail17trampoline_kernelINS0_14default_configENS1_25partition_config_selectorILNS1_17partition_subalgoE6EN6thrust23THRUST_200600_302600_NS5tupleIjjNS7_9null_typeES9_S9_S9_S9_S9_S9_S9_EENS0_10empty_typeEbEEZZNS1_14partition_implILS5_6ELb0ES3_mNS7_12zip_iteratorINS8_INS7_6detail15normal_iteratorINS7_10device_ptrIjEEEESJ_S9_S9_S9_S9_S9_S9_S9_S9_EEEEPSB_SM_NS0_5tupleIJNSE_INS8_ISJ_NS7_16discard_iteratorINS7_11use_defaultEEES9_S9_S9_S9_S9_S9_S9_S9_EEEESB_EEENSN_IJSM_SM_EEESB_PlJNSF_9not_fun_tINSF_14equal_to_valueISA_EEEEEEE10hipError_tPvRmT3_T4_T5_T6_T7_T9_mT8_P12ihipStream_tbDpT10_ENKUlT_T0_E_clISt17integral_constantIbLb1EES1I_IbLb0EEEEDaS1E_S1F_EUlS1E_E_NS1_11comp_targetILNS1_3genE5ELNS1_11target_archE942ELNS1_3gpuE9ELNS1_3repE0EEENS1_30default_config_static_selectorELNS0_4arch9wavefront6targetE0EEEvT1_
	.globl	_ZN7rocprim17ROCPRIM_400000_NS6detail17trampoline_kernelINS0_14default_configENS1_25partition_config_selectorILNS1_17partition_subalgoE6EN6thrust23THRUST_200600_302600_NS5tupleIjjNS7_9null_typeES9_S9_S9_S9_S9_S9_S9_EENS0_10empty_typeEbEEZZNS1_14partition_implILS5_6ELb0ES3_mNS7_12zip_iteratorINS8_INS7_6detail15normal_iteratorINS7_10device_ptrIjEEEESJ_S9_S9_S9_S9_S9_S9_S9_S9_EEEEPSB_SM_NS0_5tupleIJNSE_INS8_ISJ_NS7_16discard_iteratorINS7_11use_defaultEEES9_S9_S9_S9_S9_S9_S9_S9_EEEESB_EEENSN_IJSM_SM_EEESB_PlJNSF_9not_fun_tINSF_14equal_to_valueISA_EEEEEEE10hipError_tPvRmT3_T4_T5_T6_T7_T9_mT8_P12ihipStream_tbDpT10_ENKUlT_T0_E_clISt17integral_constantIbLb1EES1I_IbLb0EEEEDaS1E_S1F_EUlS1E_E_NS1_11comp_targetILNS1_3genE5ELNS1_11target_archE942ELNS1_3gpuE9ELNS1_3repE0EEENS1_30default_config_static_selectorELNS0_4arch9wavefront6targetE0EEEvT1_
	.p2align	8
	.type	_ZN7rocprim17ROCPRIM_400000_NS6detail17trampoline_kernelINS0_14default_configENS1_25partition_config_selectorILNS1_17partition_subalgoE6EN6thrust23THRUST_200600_302600_NS5tupleIjjNS7_9null_typeES9_S9_S9_S9_S9_S9_S9_EENS0_10empty_typeEbEEZZNS1_14partition_implILS5_6ELb0ES3_mNS7_12zip_iteratorINS8_INS7_6detail15normal_iteratorINS7_10device_ptrIjEEEESJ_S9_S9_S9_S9_S9_S9_S9_S9_EEEEPSB_SM_NS0_5tupleIJNSE_INS8_ISJ_NS7_16discard_iteratorINS7_11use_defaultEEES9_S9_S9_S9_S9_S9_S9_S9_EEEESB_EEENSN_IJSM_SM_EEESB_PlJNSF_9not_fun_tINSF_14equal_to_valueISA_EEEEEEE10hipError_tPvRmT3_T4_T5_T6_T7_T9_mT8_P12ihipStream_tbDpT10_ENKUlT_T0_E_clISt17integral_constantIbLb1EES1I_IbLb0EEEEDaS1E_S1F_EUlS1E_E_NS1_11comp_targetILNS1_3genE5ELNS1_11target_archE942ELNS1_3gpuE9ELNS1_3repE0EEENS1_30default_config_static_selectorELNS0_4arch9wavefront6targetE0EEEvT1_,@function
_ZN7rocprim17ROCPRIM_400000_NS6detail17trampoline_kernelINS0_14default_configENS1_25partition_config_selectorILNS1_17partition_subalgoE6EN6thrust23THRUST_200600_302600_NS5tupleIjjNS7_9null_typeES9_S9_S9_S9_S9_S9_S9_EENS0_10empty_typeEbEEZZNS1_14partition_implILS5_6ELb0ES3_mNS7_12zip_iteratorINS8_INS7_6detail15normal_iteratorINS7_10device_ptrIjEEEESJ_S9_S9_S9_S9_S9_S9_S9_S9_EEEEPSB_SM_NS0_5tupleIJNSE_INS8_ISJ_NS7_16discard_iteratorINS7_11use_defaultEEES9_S9_S9_S9_S9_S9_S9_S9_EEEESB_EEENSN_IJSM_SM_EEESB_PlJNSF_9not_fun_tINSF_14equal_to_valueISA_EEEEEEE10hipError_tPvRmT3_T4_T5_T6_T7_T9_mT8_P12ihipStream_tbDpT10_ENKUlT_T0_E_clISt17integral_constantIbLb1EES1I_IbLb0EEEEDaS1E_S1F_EUlS1E_E_NS1_11comp_targetILNS1_3genE5ELNS1_11target_archE942ELNS1_3gpuE9ELNS1_3repE0EEENS1_30default_config_static_selectorELNS0_4arch9wavefront6targetE0EEEvT1_: ; @_ZN7rocprim17ROCPRIM_400000_NS6detail17trampoline_kernelINS0_14default_configENS1_25partition_config_selectorILNS1_17partition_subalgoE6EN6thrust23THRUST_200600_302600_NS5tupleIjjNS7_9null_typeES9_S9_S9_S9_S9_S9_S9_EENS0_10empty_typeEbEEZZNS1_14partition_implILS5_6ELb0ES3_mNS7_12zip_iteratorINS8_INS7_6detail15normal_iteratorINS7_10device_ptrIjEEEESJ_S9_S9_S9_S9_S9_S9_S9_S9_EEEEPSB_SM_NS0_5tupleIJNSE_INS8_ISJ_NS7_16discard_iteratorINS7_11use_defaultEEES9_S9_S9_S9_S9_S9_S9_S9_EEEESB_EEENSN_IJSM_SM_EEESB_PlJNSF_9not_fun_tINSF_14equal_to_valueISA_EEEEEEE10hipError_tPvRmT3_T4_T5_T6_T7_T9_mT8_P12ihipStream_tbDpT10_ENKUlT_T0_E_clISt17integral_constantIbLb1EES1I_IbLb0EEEEDaS1E_S1F_EUlS1E_E_NS1_11comp_targetILNS1_3genE5ELNS1_11target_archE942ELNS1_3gpuE9ELNS1_3repE0EEENS1_30default_config_static_selectorELNS0_4arch9wavefront6targetE0EEEvT1_
; %bb.0:
	.section	.rodata,"a",@progbits
	.p2align	6, 0x0
	.amdhsa_kernel _ZN7rocprim17ROCPRIM_400000_NS6detail17trampoline_kernelINS0_14default_configENS1_25partition_config_selectorILNS1_17partition_subalgoE6EN6thrust23THRUST_200600_302600_NS5tupleIjjNS7_9null_typeES9_S9_S9_S9_S9_S9_S9_EENS0_10empty_typeEbEEZZNS1_14partition_implILS5_6ELb0ES3_mNS7_12zip_iteratorINS8_INS7_6detail15normal_iteratorINS7_10device_ptrIjEEEESJ_S9_S9_S9_S9_S9_S9_S9_S9_EEEEPSB_SM_NS0_5tupleIJNSE_INS8_ISJ_NS7_16discard_iteratorINS7_11use_defaultEEES9_S9_S9_S9_S9_S9_S9_S9_EEEESB_EEENSN_IJSM_SM_EEESB_PlJNSF_9not_fun_tINSF_14equal_to_valueISA_EEEEEEE10hipError_tPvRmT3_T4_T5_T6_T7_T9_mT8_P12ihipStream_tbDpT10_ENKUlT_T0_E_clISt17integral_constantIbLb1EES1I_IbLb0EEEEDaS1E_S1F_EUlS1E_E_NS1_11comp_targetILNS1_3genE5ELNS1_11target_archE942ELNS1_3gpuE9ELNS1_3repE0EEENS1_30default_config_static_selectorELNS0_4arch9wavefront6targetE0EEEvT1_
		.amdhsa_group_segment_fixed_size 0
		.amdhsa_private_segment_fixed_size 0
		.amdhsa_kernarg_size 144
		.amdhsa_user_sgpr_count 2
		.amdhsa_user_sgpr_dispatch_ptr 0
		.amdhsa_user_sgpr_queue_ptr 0
		.amdhsa_user_sgpr_kernarg_segment_ptr 1
		.amdhsa_user_sgpr_dispatch_id 0
		.amdhsa_user_sgpr_private_segment_size 0
		.amdhsa_wavefront_size32 1
		.amdhsa_uses_dynamic_stack 0
		.amdhsa_enable_private_segment 0
		.amdhsa_system_sgpr_workgroup_id_x 1
		.amdhsa_system_sgpr_workgroup_id_y 0
		.amdhsa_system_sgpr_workgroup_id_z 0
		.amdhsa_system_sgpr_workgroup_info 0
		.amdhsa_system_vgpr_workitem_id 0
		.amdhsa_next_free_vgpr 1
		.amdhsa_next_free_sgpr 1
		.amdhsa_reserve_vcc 0
		.amdhsa_float_round_mode_32 0
		.amdhsa_float_round_mode_16_64 0
		.amdhsa_float_denorm_mode_32 3
		.amdhsa_float_denorm_mode_16_64 3
		.amdhsa_fp16_overflow 0
		.amdhsa_workgroup_processor_mode 1
		.amdhsa_memory_ordered 1
		.amdhsa_forward_progress 1
		.amdhsa_inst_pref_size 0
		.amdhsa_round_robin_scheduling 0
		.amdhsa_exception_fp_ieee_invalid_op 0
		.amdhsa_exception_fp_denorm_src 0
		.amdhsa_exception_fp_ieee_div_zero 0
		.amdhsa_exception_fp_ieee_overflow 0
		.amdhsa_exception_fp_ieee_underflow 0
		.amdhsa_exception_fp_ieee_inexact 0
		.amdhsa_exception_int_div_zero 0
	.end_amdhsa_kernel
	.section	.text._ZN7rocprim17ROCPRIM_400000_NS6detail17trampoline_kernelINS0_14default_configENS1_25partition_config_selectorILNS1_17partition_subalgoE6EN6thrust23THRUST_200600_302600_NS5tupleIjjNS7_9null_typeES9_S9_S9_S9_S9_S9_S9_EENS0_10empty_typeEbEEZZNS1_14partition_implILS5_6ELb0ES3_mNS7_12zip_iteratorINS8_INS7_6detail15normal_iteratorINS7_10device_ptrIjEEEESJ_S9_S9_S9_S9_S9_S9_S9_S9_EEEEPSB_SM_NS0_5tupleIJNSE_INS8_ISJ_NS7_16discard_iteratorINS7_11use_defaultEEES9_S9_S9_S9_S9_S9_S9_S9_EEEESB_EEENSN_IJSM_SM_EEESB_PlJNSF_9not_fun_tINSF_14equal_to_valueISA_EEEEEEE10hipError_tPvRmT3_T4_T5_T6_T7_T9_mT8_P12ihipStream_tbDpT10_ENKUlT_T0_E_clISt17integral_constantIbLb1EES1I_IbLb0EEEEDaS1E_S1F_EUlS1E_E_NS1_11comp_targetILNS1_3genE5ELNS1_11target_archE942ELNS1_3gpuE9ELNS1_3repE0EEENS1_30default_config_static_selectorELNS0_4arch9wavefront6targetE0EEEvT1_,"axG",@progbits,_ZN7rocprim17ROCPRIM_400000_NS6detail17trampoline_kernelINS0_14default_configENS1_25partition_config_selectorILNS1_17partition_subalgoE6EN6thrust23THRUST_200600_302600_NS5tupleIjjNS7_9null_typeES9_S9_S9_S9_S9_S9_S9_EENS0_10empty_typeEbEEZZNS1_14partition_implILS5_6ELb0ES3_mNS7_12zip_iteratorINS8_INS7_6detail15normal_iteratorINS7_10device_ptrIjEEEESJ_S9_S9_S9_S9_S9_S9_S9_S9_EEEEPSB_SM_NS0_5tupleIJNSE_INS8_ISJ_NS7_16discard_iteratorINS7_11use_defaultEEES9_S9_S9_S9_S9_S9_S9_S9_EEEESB_EEENSN_IJSM_SM_EEESB_PlJNSF_9not_fun_tINSF_14equal_to_valueISA_EEEEEEE10hipError_tPvRmT3_T4_T5_T6_T7_T9_mT8_P12ihipStream_tbDpT10_ENKUlT_T0_E_clISt17integral_constantIbLb1EES1I_IbLb0EEEEDaS1E_S1F_EUlS1E_E_NS1_11comp_targetILNS1_3genE5ELNS1_11target_archE942ELNS1_3gpuE9ELNS1_3repE0EEENS1_30default_config_static_selectorELNS0_4arch9wavefront6targetE0EEEvT1_,comdat
.Lfunc_end1934:
	.size	_ZN7rocprim17ROCPRIM_400000_NS6detail17trampoline_kernelINS0_14default_configENS1_25partition_config_selectorILNS1_17partition_subalgoE6EN6thrust23THRUST_200600_302600_NS5tupleIjjNS7_9null_typeES9_S9_S9_S9_S9_S9_S9_EENS0_10empty_typeEbEEZZNS1_14partition_implILS5_6ELb0ES3_mNS7_12zip_iteratorINS8_INS7_6detail15normal_iteratorINS7_10device_ptrIjEEEESJ_S9_S9_S9_S9_S9_S9_S9_S9_EEEEPSB_SM_NS0_5tupleIJNSE_INS8_ISJ_NS7_16discard_iteratorINS7_11use_defaultEEES9_S9_S9_S9_S9_S9_S9_S9_EEEESB_EEENSN_IJSM_SM_EEESB_PlJNSF_9not_fun_tINSF_14equal_to_valueISA_EEEEEEE10hipError_tPvRmT3_T4_T5_T6_T7_T9_mT8_P12ihipStream_tbDpT10_ENKUlT_T0_E_clISt17integral_constantIbLb1EES1I_IbLb0EEEEDaS1E_S1F_EUlS1E_E_NS1_11comp_targetILNS1_3genE5ELNS1_11target_archE942ELNS1_3gpuE9ELNS1_3repE0EEENS1_30default_config_static_selectorELNS0_4arch9wavefront6targetE0EEEvT1_, .Lfunc_end1934-_ZN7rocprim17ROCPRIM_400000_NS6detail17trampoline_kernelINS0_14default_configENS1_25partition_config_selectorILNS1_17partition_subalgoE6EN6thrust23THRUST_200600_302600_NS5tupleIjjNS7_9null_typeES9_S9_S9_S9_S9_S9_S9_EENS0_10empty_typeEbEEZZNS1_14partition_implILS5_6ELb0ES3_mNS7_12zip_iteratorINS8_INS7_6detail15normal_iteratorINS7_10device_ptrIjEEEESJ_S9_S9_S9_S9_S9_S9_S9_S9_EEEEPSB_SM_NS0_5tupleIJNSE_INS8_ISJ_NS7_16discard_iteratorINS7_11use_defaultEEES9_S9_S9_S9_S9_S9_S9_S9_EEEESB_EEENSN_IJSM_SM_EEESB_PlJNSF_9not_fun_tINSF_14equal_to_valueISA_EEEEEEE10hipError_tPvRmT3_T4_T5_T6_T7_T9_mT8_P12ihipStream_tbDpT10_ENKUlT_T0_E_clISt17integral_constantIbLb1EES1I_IbLb0EEEEDaS1E_S1F_EUlS1E_E_NS1_11comp_targetILNS1_3genE5ELNS1_11target_archE942ELNS1_3gpuE9ELNS1_3repE0EEENS1_30default_config_static_selectorELNS0_4arch9wavefront6targetE0EEEvT1_
                                        ; -- End function
	.set _ZN7rocprim17ROCPRIM_400000_NS6detail17trampoline_kernelINS0_14default_configENS1_25partition_config_selectorILNS1_17partition_subalgoE6EN6thrust23THRUST_200600_302600_NS5tupleIjjNS7_9null_typeES9_S9_S9_S9_S9_S9_S9_EENS0_10empty_typeEbEEZZNS1_14partition_implILS5_6ELb0ES3_mNS7_12zip_iteratorINS8_INS7_6detail15normal_iteratorINS7_10device_ptrIjEEEESJ_S9_S9_S9_S9_S9_S9_S9_S9_EEEEPSB_SM_NS0_5tupleIJNSE_INS8_ISJ_NS7_16discard_iteratorINS7_11use_defaultEEES9_S9_S9_S9_S9_S9_S9_S9_EEEESB_EEENSN_IJSM_SM_EEESB_PlJNSF_9not_fun_tINSF_14equal_to_valueISA_EEEEEEE10hipError_tPvRmT3_T4_T5_T6_T7_T9_mT8_P12ihipStream_tbDpT10_ENKUlT_T0_E_clISt17integral_constantIbLb1EES1I_IbLb0EEEEDaS1E_S1F_EUlS1E_E_NS1_11comp_targetILNS1_3genE5ELNS1_11target_archE942ELNS1_3gpuE9ELNS1_3repE0EEENS1_30default_config_static_selectorELNS0_4arch9wavefront6targetE0EEEvT1_.num_vgpr, 0
	.set _ZN7rocprim17ROCPRIM_400000_NS6detail17trampoline_kernelINS0_14default_configENS1_25partition_config_selectorILNS1_17partition_subalgoE6EN6thrust23THRUST_200600_302600_NS5tupleIjjNS7_9null_typeES9_S9_S9_S9_S9_S9_S9_EENS0_10empty_typeEbEEZZNS1_14partition_implILS5_6ELb0ES3_mNS7_12zip_iteratorINS8_INS7_6detail15normal_iteratorINS7_10device_ptrIjEEEESJ_S9_S9_S9_S9_S9_S9_S9_S9_EEEEPSB_SM_NS0_5tupleIJNSE_INS8_ISJ_NS7_16discard_iteratorINS7_11use_defaultEEES9_S9_S9_S9_S9_S9_S9_S9_EEEESB_EEENSN_IJSM_SM_EEESB_PlJNSF_9not_fun_tINSF_14equal_to_valueISA_EEEEEEE10hipError_tPvRmT3_T4_T5_T6_T7_T9_mT8_P12ihipStream_tbDpT10_ENKUlT_T0_E_clISt17integral_constantIbLb1EES1I_IbLb0EEEEDaS1E_S1F_EUlS1E_E_NS1_11comp_targetILNS1_3genE5ELNS1_11target_archE942ELNS1_3gpuE9ELNS1_3repE0EEENS1_30default_config_static_selectorELNS0_4arch9wavefront6targetE0EEEvT1_.num_agpr, 0
	.set _ZN7rocprim17ROCPRIM_400000_NS6detail17trampoline_kernelINS0_14default_configENS1_25partition_config_selectorILNS1_17partition_subalgoE6EN6thrust23THRUST_200600_302600_NS5tupleIjjNS7_9null_typeES9_S9_S9_S9_S9_S9_S9_EENS0_10empty_typeEbEEZZNS1_14partition_implILS5_6ELb0ES3_mNS7_12zip_iteratorINS8_INS7_6detail15normal_iteratorINS7_10device_ptrIjEEEESJ_S9_S9_S9_S9_S9_S9_S9_S9_EEEEPSB_SM_NS0_5tupleIJNSE_INS8_ISJ_NS7_16discard_iteratorINS7_11use_defaultEEES9_S9_S9_S9_S9_S9_S9_S9_EEEESB_EEENSN_IJSM_SM_EEESB_PlJNSF_9not_fun_tINSF_14equal_to_valueISA_EEEEEEE10hipError_tPvRmT3_T4_T5_T6_T7_T9_mT8_P12ihipStream_tbDpT10_ENKUlT_T0_E_clISt17integral_constantIbLb1EES1I_IbLb0EEEEDaS1E_S1F_EUlS1E_E_NS1_11comp_targetILNS1_3genE5ELNS1_11target_archE942ELNS1_3gpuE9ELNS1_3repE0EEENS1_30default_config_static_selectorELNS0_4arch9wavefront6targetE0EEEvT1_.numbered_sgpr, 0
	.set _ZN7rocprim17ROCPRIM_400000_NS6detail17trampoline_kernelINS0_14default_configENS1_25partition_config_selectorILNS1_17partition_subalgoE6EN6thrust23THRUST_200600_302600_NS5tupleIjjNS7_9null_typeES9_S9_S9_S9_S9_S9_S9_EENS0_10empty_typeEbEEZZNS1_14partition_implILS5_6ELb0ES3_mNS7_12zip_iteratorINS8_INS7_6detail15normal_iteratorINS7_10device_ptrIjEEEESJ_S9_S9_S9_S9_S9_S9_S9_S9_EEEEPSB_SM_NS0_5tupleIJNSE_INS8_ISJ_NS7_16discard_iteratorINS7_11use_defaultEEES9_S9_S9_S9_S9_S9_S9_S9_EEEESB_EEENSN_IJSM_SM_EEESB_PlJNSF_9not_fun_tINSF_14equal_to_valueISA_EEEEEEE10hipError_tPvRmT3_T4_T5_T6_T7_T9_mT8_P12ihipStream_tbDpT10_ENKUlT_T0_E_clISt17integral_constantIbLb1EES1I_IbLb0EEEEDaS1E_S1F_EUlS1E_E_NS1_11comp_targetILNS1_3genE5ELNS1_11target_archE942ELNS1_3gpuE9ELNS1_3repE0EEENS1_30default_config_static_selectorELNS0_4arch9wavefront6targetE0EEEvT1_.num_named_barrier, 0
	.set _ZN7rocprim17ROCPRIM_400000_NS6detail17trampoline_kernelINS0_14default_configENS1_25partition_config_selectorILNS1_17partition_subalgoE6EN6thrust23THRUST_200600_302600_NS5tupleIjjNS7_9null_typeES9_S9_S9_S9_S9_S9_S9_EENS0_10empty_typeEbEEZZNS1_14partition_implILS5_6ELb0ES3_mNS7_12zip_iteratorINS8_INS7_6detail15normal_iteratorINS7_10device_ptrIjEEEESJ_S9_S9_S9_S9_S9_S9_S9_S9_EEEEPSB_SM_NS0_5tupleIJNSE_INS8_ISJ_NS7_16discard_iteratorINS7_11use_defaultEEES9_S9_S9_S9_S9_S9_S9_S9_EEEESB_EEENSN_IJSM_SM_EEESB_PlJNSF_9not_fun_tINSF_14equal_to_valueISA_EEEEEEE10hipError_tPvRmT3_T4_T5_T6_T7_T9_mT8_P12ihipStream_tbDpT10_ENKUlT_T0_E_clISt17integral_constantIbLb1EES1I_IbLb0EEEEDaS1E_S1F_EUlS1E_E_NS1_11comp_targetILNS1_3genE5ELNS1_11target_archE942ELNS1_3gpuE9ELNS1_3repE0EEENS1_30default_config_static_selectorELNS0_4arch9wavefront6targetE0EEEvT1_.private_seg_size, 0
	.set _ZN7rocprim17ROCPRIM_400000_NS6detail17trampoline_kernelINS0_14default_configENS1_25partition_config_selectorILNS1_17partition_subalgoE6EN6thrust23THRUST_200600_302600_NS5tupleIjjNS7_9null_typeES9_S9_S9_S9_S9_S9_S9_EENS0_10empty_typeEbEEZZNS1_14partition_implILS5_6ELb0ES3_mNS7_12zip_iteratorINS8_INS7_6detail15normal_iteratorINS7_10device_ptrIjEEEESJ_S9_S9_S9_S9_S9_S9_S9_S9_EEEEPSB_SM_NS0_5tupleIJNSE_INS8_ISJ_NS7_16discard_iteratorINS7_11use_defaultEEES9_S9_S9_S9_S9_S9_S9_S9_EEEESB_EEENSN_IJSM_SM_EEESB_PlJNSF_9not_fun_tINSF_14equal_to_valueISA_EEEEEEE10hipError_tPvRmT3_T4_T5_T6_T7_T9_mT8_P12ihipStream_tbDpT10_ENKUlT_T0_E_clISt17integral_constantIbLb1EES1I_IbLb0EEEEDaS1E_S1F_EUlS1E_E_NS1_11comp_targetILNS1_3genE5ELNS1_11target_archE942ELNS1_3gpuE9ELNS1_3repE0EEENS1_30default_config_static_selectorELNS0_4arch9wavefront6targetE0EEEvT1_.uses_vcc, 0
	.set _ZN7rocprim17ROCPRIM_400000_NS6detail17trampoline_kernelINS0_14default_configENS1_25partition_config_selectorILNS1_17partition_subalgoE6EN6thrust23THRUST_200600_302600_NS5tupleIjjNS7_9null_typeES9_S9_S9_S9_S9_S9_S9_EENS0_10empty_typeEbEEZZNS1_14partition_implILS5_6ELb0ES3_mNS7_12zip_iteratorINS8_INS7_6detail15normal_iteratorINS7_10device_ptrIjEEEESJ_S9_S9_S9_S9_S9_S9_S9_S9_EEEEPSB_SM_NS0_5tupleIJNSE_INS8_ISJ_NS7_16discard_iteratorINS7_11use_defaultEEES9_S9_S9_S9_S9_S9_S9_S9_EEEESB_EEENSN_IJSM_SM_EEESB_PlJNSF_9not_fun_tINSF_14equal_to_valueISA_EEEEEEE10hipError_tPvRmT3_T4_T5_T6_T7_T9_mT8_P12ihipStream_tbDpT10_ENKUlT_T0_E_clISt17integral_constantIbLb1EES1I_IbLb0EEEEDaS1E_S1F_EUlS1E_E_NS1_11comp_targetILNS1_3genE5ELNS1_11target_archE942ELNS1_3gpuE9ELNS1_3repE0EEENS1_30default_config_static_selectorELNS0_4arch9wavefront6targetE0EEEvT1_.uses_flat_scratch, 0
	.set _ZN7rocprim17ROCPRIM_400000_NS6detail17trampoline_kernelINS0_14default_configENS1_25partition_config_selectorILNS1_17partition_subalgoE6EN6thrust23THRUST_200600_302600_NS5tupleIjjNS7_9null_typeES9_S9_S9_S9_S9_S9_S9_EENS0_10empty_typeEbEEZZNS1_14partition_implILS5_6ELb0ES3_mNS7_12zip_iteratorINS8_INS7_6detail15normal_iteratorINS7_10device_ptrIjEEEESJ_S9_S9_S9_S9_S9_S9_S9_S9_EEEEPSB_SM_NS0_5tupleIJNSE_INS8_ISJ_NS7_16discard_iteratorINS7_11use_defaultEEES9_S9_S9_S9_S9_S9_S9_S9_EEEESB_EEENSN_IJSM_SM_EEESB_PlJNSF_9not_fun_tINSF_14equal_to_valueISA_EEEEEEE10hipError_tPvRmT3_T4_T5_T6_T7_T9_mT8_P12ihipStream_tbDpT10_ENKUlT_T0_E_clISt17integral_constantIbLb1EES1I_IbLb0EEEEDaS1E_S1F_EUlS1E_E_NS1_11comp_targetILNS1_3genE5ELNS1_11target_archE942ELNS1_3gpuE9ELNS1_3repE0EEENS1_30default_config_static_selectorELNS0_4arch9wavefront6targetE0EEEvT1_.has_dyn_sized_stack, 0
	.set _ZN7rocprim17ROCPRIM_400000_NS6detail17trampoline_kernelINS0_14default_configENS1_25partition_config_selectorILNS1_17partition_subalgoE6EN6thrust23THRUST_200600_302600_NS5tupleIjjNS7_9null_typeES9_S9_S9_S9_S9_S9_S9_EENS0_10empty_typeEbEEZZNS1_14partition_implILS5_6ELb0ES3_mNS7_12zip_iteratorINS8_INS7_6detail15normal_iteratorINS7_10device_ptrIjEEEESJ_S9_S9_S9_S9_S9_S9_S9_S9_EEEEPSB_SM_NS0_5tupleIJNSE_INS8_ISJ_NS7_16discard_iteratorINS7_11use_defaultEEES9_S9_S9_S9_S9_S9_S9_S9_EEEESB_EEENSN_IJSM_SM_EEESB_PlJNSF_9not_fun_tINSF_14equal_to_valueISA_EEEEEEE10hipError_tPvRmT3_T4_T5_T6_T7_T9_mT8_P12ihipStream_tbDpT10_ENKUlT_T0_E_clISt17integral_constantIbLb1EES1I_IbLb0EEEEDaS1E_S1F_EUlS1E_E_NS1_11comp_targetILNS1_3genE5ELNS1_11target_archE942ELNS1_3gpuE9ELNS1_3repE0EEENS1_30default_config_static_selectorELNS0_4arch9wavefront6targetE0EEEvT1_.has_recursion, 0
	.set _ZN7rocprim17ROCPRIM_400000_NS6detail17trampoline_kernelINS0_14default_configENS1_25partition_config_selectorILNS1_17partition_subalgoE6EN6thrust23THRUST_200600_302600_NS5tupleIjjNS7_9null_typeES9_S9_S9_S9_S9_S9_S9_EENS0_10empty_typeEbEEZZNS1_14partition_implILS5_6ELb0ES3_mNS7_12zip_iteratorINS8_INS7_6detail15normal_iteratorINS7_10device_ptrIjEEEESJ_S9_S9_S9_S9_S9_S9_S9_S9_EEEEPSB_SM_NS0_5tupleIJNSE_INS8_ISJ_NS7_16discard_iteratorINS7_11use_defaultEEES9_S9_S9_S9_S9_S9_S9_S9_EEEESB_EEENSN_IJSM_SM_EEESB_PlJNSF_9not_fun_tINSF_14equal_to_valueISA_EEEEEEE10hipError_tPvRmT3_T4_T5_T6_T7_T9_mT8_P12ihipStream_tbDpT10_ENKUlT_T0_E_clISt17integral_constantIbLb1EES1I_IbLb0EEEEDaS1E_S1F_EUlS1E_E_NS1_11comp_targetILNS1_3genE5ELNS1_11target_archE942ELNS1_3gpuE9ELNS1_3repE0EEENS1_30default_config_static_selectorELNS0_4arch9wavefront6targetE0EEEvT1_.has_indirect_call, 0
	.section	.AMDGPU.csdata,"",@progbits
; Kernel info:
; codeLenInByte = 0
; TotalNumSgprs: 0
; NumVgprs: 0
; ScratchSize: 0
; MemoryBound: 0
; FloatMode: 240
; IeeeMode: 1
; LDSByteSize: 0 bytes/workgroup (compile time only)
; SGPRBlocks: 0
; VGPRBlocks: 0
; NumSGPRsForWavesPerEU: 1
; NumVGPRsForWavesPerEU: 1
; Occupancy: 16
; WaveLimiterHint : 0
; COMPUTE_PGM_RSRC2:SCRATCH_EN: 0
; COMPUTE_PGM_RSRC2:USER_SGPR: 2
; COMPUTE_PGM_RSRC2:TRAP_HANDLER: 0
; COMPUTE_PGM_RSRC2:TGID_X_EN: 1
; COMPUTE_PGM_RSRC2:TGID_Y_EN: 0
; COMPUTE_PGM_RSRC2:TGID_Z_EN: 0
; COMPUTE_PGM_RSRC2:TIDIG_COMP_CNT: 0
	.section	.text._ZN7rocprim17ROCPRIM_400000_NS6detail17trampoline_kernelINS0_14default_configENS1_25partition_config_selectorILNS1_17partition_subalgoE6EN6thrust23THRUST_200600_302600_NS5tupleIjjNS7_9null_typeES9_S9_S9_S9_S9_S9_S9_EENS0_10empty_typeEbEEZZNS1_14partition_implILS5_6ELb0ES3_mNS7_12zip_iteratorINS8_INS7_6detail15normal_iteratorINS7_10device_ptrIjEEEESJ_S9_S9_S9_S9_S9_S9_S9_S9_EEEEPSB_SM_NS0_5tupleIJNSE_INS8_ISJ_NS7_16discard_iteratorINS7_11use_defaultEEES9_S9_S9_S9_S9_S9_S9_S9_EEEESB_EEENSN_IJSM_SM_EEESB_PlJNSF_9not_fun_tINSF_14equal_to_valueISA_EEEEEEE10hipError_tPvRmT3_T4_T5_T6_T7_T9_mT8_P12ihipStream_tbDpT10_ENKUlT_T0_E_clISt17integral_constantIbLb1EES1I_IbLb0EEEEDaS1E_S1F_EUlS1E_E_NS1_11comp_targetILNS1_3genE4ELNS1_11target_archE910ELNS1_3gpuE8ELNS1_3repE0EEENS1_30default_config_static_selectorELNS0_4arch9wavefront6targetE0EEEvT1_,"axG",@progbits,_ZN7rocprim17ROCPRIM_400000_NS6detail17trampoline_kernelINS0_14default_configENS1_25partition_config_selectorILNS1_17partition_subalgoE6EN6thrust23THRUST_200600_302600_NS5tupleIjjNS7_9null_typeES9_S9_S9_S9_S9_S9_S9_EENS0_10empty_typeEbEEZZNS1_14partition_implILS5_6ELb0ES3_mNS7_12zip_iteratorINS8_INS7_6detail15normal_iteratorINS7_10device_ptrIjEEEESJ_S9_S9_S9_S9_S9_S9_S9_S9_EEEEPSB_SM_NS0_5tupleIJNSE_INS8_ISJ_NS7_16discard_iteratorINS7_11use_defaultEEES9_S9_S9_S9_S9_S9_S9_S9_EEEESB_EEENSN_IJSM_SM_EEESB_PlJNSF_9not_fun_tINSF_14equal_to_valueISA_EEEEEEE10hipError_tPvRmT3_T4_T5_T6_T7_T9_mT8_P12ihipStream_tbDpT10_ENKUlT_T0_E_clISt17integral_constantIbLb1EES1I_IbLb0EEEEDaS1E_S1F_EUlS1E_E_NS1_11comp_targetILNS1_3genE4ELNS1_11target_archE910ELNS1_3gpuE8ELNS1_3repE0EEENS1_30default_config_static_selectorELNS0_4arch9wavefront6targetE0EEEvT1_,comdat
	.protected	_ZN7rocprim17ROCPRIM_400000_NS6detail17trampoline_kernelINS0_14default_configENS1_25partition_config_selectorILNS1_17partition_subalgoE6EN6thrust23THRUST_200600_302600_NS5tupleIjjNS7_9null_typeES9_S9_S9_S9_S9_S9_S9_EENS0_10empty_typeEbEEZZNS1_14partition_implILS5_6ELb0ES3_mNS7_12zip_iteratorINS8_INS7_6detail15normal_iteratorINS7_10device_ptrIjEEEESJ_S9_S9_S9_S9_S9_S9_S9_S9_EEEEPSB_SM_NS0_5tupleIJNSE_INS8_ISJ_NS7_16discard_iteratorINS7_11use_defaultEEES9_S9_S9_S9_S9_S9_S9_S9_EEEESB_EEENSN_IJSM_SM_EEESB_PlJNSF_9not_fun_tINSF_14equal_to_valueISA_EEEEEEE10hipError_tPvRmT3_T4_T5_T6_T7_T9_mT8_P12ihipStream_tbDpT10_ENKUlT_T0_E_clISt17integral_constantIbLb1EES1I_IbLb0EEEEDaS1E_S1F_EUlS1E_E_NS1_11comp_targetILNS1_3genE4ELNS1_11target_archE910ELNS1_3gpuE8ELNS1_3repE0EEENS1_30default_config_static_selectorELNS0_4arch9wavefront6targetE0EEEvT1_ ; -- Begin function _ZN7rocprim17ROCPRIM_400000_NS6detail17trampoline_kernelINS0_14default_configENS1_25partition_config_selectorILNS1_17partition_subalgoE6EN6thrust23THRUST_200600_302600_NS5tupleIjjNS7_9null_typeES9_S9_S9_S9_S9_S9_S9_EENS0_10empty_typeEbEEZZNS1_14partition_implILS5_6ELb0ES3_mNS7_12zip_iteratorINS8_INS7_6detail15normal_iteratorINS7_10device_ptrIjEEEESJ_S9_S9_S9_S9_S9_S9_S9_S9_EEEEPSB_SM_NS0_5tupleIJNSE_INS8_ISJ_NS7_16discard_iteratorINS7_11use_defaultEEES9_S9_S9_S9_S9_S9_S9_S9_EEEESB_EEENSN_IJSM_SM_EEESB_PlJNSF_9not_fun_tINSF_14equal_to_valueISA_EEEEEEE10hipError_tPvRmT3_T4_T5_T6_T7_T9_mT8_P12ihipStream_tbDpT10_ENKUlT_T0_E_clISt17integral_constantIbLb1EES1I_IbLb0EEEEDaS1E_S1F_EUlS1E_E_NS1_11comp_targetILNS1_3genE4ELNS1_11target_archE910ELNS1_3gpuE8ELNS1_3repE0EEENS1_30default_config_static_selectorELNS0_4arch9wavefront6targetE0EEEvT1_
	.globl	_ZN7rocprim17ROCPRIM_400000_NS6detail17trampoline_kernelINS0_14default_configENS1_25partition_config_selectorILNS1_17partition_subalgoE6EN6thrust23THRUST_200600_302600_NS5tupleIjjNS7_9null_typeES9_S9_S9_S9_S9_S9_S9_EENS0_10empty_typeEbEEZZNS1_14partition_implILS5_6ELb0ES3_mNS7_12zip_iteratorINS8_INS7_6detail15normal_iteratorINS7_10device_ptrIjEEEESJ_S9_S9_S9_S9_S9_S9_S9_S9_EEEEPSB_SM_NS0_5tupleIJNSE_INS8_ISJ_NS7_16discard_iteratorINS7_11use_defaultEEES9_S9_S9_S9_S9_S9_S9_S9_EEEESB_EEENSN_IJSM_SM_EEESB_PlJNSF_9not_fun_tINSF_14equal_to_valueISA_EEEEEEE10hipError_tPvRmT3_T4_T5_T6_T7_T9_mT8_P12ihipStream_tbDpT10_ENKUlT_T0_E_clISt17integral_constantIbLb1EES1I_IbLb0EEEEDaS1E_S1F_EUlS1E_E_NS1_11comp_targetILNS1_3genE4ELNS1_11target_archE910ELNS1_3gpuE8ELNS1_3repE0EEENS1_30default_config_static_selectorELNS0_4arch9wavefront6targetE0EEEvT1_
	.p2align	8
	.type	_ZN7rocprim17ROCPRIM_400000_NS6detail17trampoline_kernelINS0_14default_configENS1_25partition_config_selectorILNS1_17partition_subalgoE6EN6thrust23THRUST_200600_302600_NS5tupleIjjNS7_9null_typeES9_S9_S9_S9_S9_S9_S9_EENS0_10empty_typeEbEEZZNS1_14partition_implILS5_6ELb0ES3_mNS7_12zip_iteratorINS8_INS7_6detail15normal_iteratorINS7_10device_ptrIjEEEESJ_S9_S9_S9_S9_S9_S9_S9_S9_EEEEPSB_SM_NS0_5tupleIJNSE_INS8_ISJ_NS7_16discard_iteratorINS7_11use_defaultEEES9_S9_S9_S9_S9_S9_S9_S9_EEEESB_EEENSN_IJSM_SM_EEESB_PlJNSF_9not_fun_tINSF_14equal_to_valueISA_EEEEEEE10hipError_tPvRmT3_T4_T5_T6_T7_T9_mT8_P12ihipStream_tbDpT10_ENKUlT_T0_E_clISt17integral_constantIbLb1EES1I_IbLb0EEEEDaS1E_S1F_EUlS1E_E_NS1_11comp_targetILNS1_3genE4ELNS1_11target_archE910ELNS1_3gpuE8ELNS1_3repE0EEENS1_30default_config_static_selectorELNS0_4arch9wavefront6targetE0EEEvT1_,@function
_ZN7rocprim17ROCPRIM_400000_NS6detail17trampoline_kernelINS0_14default_configENS1_25partition_config_selectorILNS1_17partition_subalgoE6EN6thrust23THRUST_200600_302600_NS5tupleIjjNS7_9null_typeES9_S9_S9_S9_S9_S9_S9_EENS0_10empty_typeEbEEZZNS1_14partition_implILS5_6ELb0ES3_mNS7_12zip_iteratorINS8_INS7_6detail15normal_iteratorINS7_10device_ptrIjEEEESJ_S9_S9_S9_S9_S9_S9_S9_S9_EEEEPSB_SM_NS0_5tupleIJNSE_INS8_ISJ_NS7_16discard_iteratorINS7_11use_defaultEEES9_S9_S9_S9_S9_S9_S9_S9_EEEESB_EEENSN_IJSM_SM_EEESB_PlJNSF_9not_fun_tINSF_14equal_to_valueISA_EEEEEEE10hipError_tPvRmT3_T4_T5_T6_T7_T9_mT8_P12ihipStream_tbDpT10_ENKUlT_T0_E_clISt17integral_constantIbLb1EES1I_IbLb0EEEEDaS1E_S1F_EUlS1E_E_NS1_11comp_targetILNS1_3genE4ELNS1_11target_archE910ELNS1_3gpuE8ELNS1_3repE0EEENS1_30default_config_static_selectorELNS0_4arch9wavefront6targetE0EEEvT1_: ; @_ZN7rocprim17ROCPRIM_400000_NS6detail17trampoline_kernelINS0_14default_configENS1_25partition_config_selectorILNS1_17partition_subalgoE6EN6thrust23THRUST_200600_302600_NS5tupleIjjNS7_9null_typeES9_S9_S9_S9_S9_S9_S9_EENS0_10empty_typeEbEEZZNS1_14partition_implILS5_6ELb0ES3_mNS7_12zip_iteratorINS8_INS7_6detail15normal_iteratorINS7_10device_ptrIjEEEESJ_S9_S9_S9_S9_S9_S9_S9_S9_EEEEPSB_SM_NS0_5tupleIJNSE_INS8_ISJ_NS7_16discard_iteratorINS7_11use_defaultEEES9_S9_S9_S9_S9_S9_S9_S9_EEEESB_EEENSN_IJSM_SM_EEESB_PlJNSF_9not_fun_tINSF_14equal_to_valueISA_EEEEEEE10hipError_tPvRmT3_T4_T5_T6_T7_T9_mT8_P12ihipStream_tbDpT10_ENKUlT_T0_E_clISt17integral_constantIbLb1EES1I_IbLb0EEEEDaS1E_S1F_EUlS1E_E_NS1_11comp_targetILNS1_3genE4ELNS1_11target_archE910ELNS1_3gpuE8ELNS1_3repE0EEENS1_30default_config_static_selectorELNS0_4arch9wavefront6targetE0EEEvT1_
; %bb.0:
	.section	.rodata,"a",@progbits
	.p2align	6, 0x0
	.amdhsa_kernel _ZN7rocprim17ROCPRIM_400000_NS6detail17trampoline_kernelINS0_14default_configENS1_25partition_config_selectorILNS1_17partition_subalgoE6EN6thrust23THRUST_200600_302600_NS5tupleIjjNS7_9null_typeES9_S9_S9_S9_S9_S9_S9_EENS0_10empty_typeEbEEZZNS1_14partition_implILS5_6ELb0ES3_mNS7_12zip_iteratorINS8_INS7_6detail15normal_iteratorINS7_10device_ptrIjEEEESJ_S9_S9_S9_S9_S9_S9_S9_S9_EEEEPSB_SM_NS0_5tupleIJNSE_INS8_ISJ_NS7_16discard_iteratorINS7_11use_defaultEEES9_S9_S9_S9_S9_S9_S9_S9_EEEESB_EEENSN_IJSM_SM_EEESB_PlJNSF_9not_fun_tINSF_14equal_to_valueISA_EEEEEEE10hipError_tPvRmT3_T4_T5_T6_T7_T9_mT8_P12ihipStream_tbDpT10_ENKUlT_T0_E_clISt17integral_constantIbLb1EES1I_IbLb0EEEEDaS1E_S1F_EUlS1E_E_NS1_11comp_targetILNS1_3genE4ELNS1_11target_archE910ELNS1_3gpuE8ELNS1_3repE0EEENS1_30default_config_static_selectorELNS0_4arch9wavefront6targetE0EEEvT1_
		.amdhsa_group_segment_fixed_size 0
		.amdhsa_private_segment_fixed_size 0
		.amdhsa_kernarg_size 144
		.amdhsa_user_sgpr_count 2
		.amdhsa_user_sgpr_dispatch_ptr 0
		.amdhsa_user_sgpr_queue_ptr 0
		.amdhsa_user_sgpr_kernarg_segment_ptr 1
		.amdhsa_user_sgpr_dispatch_id 0
		.amdhsa_user_sgpr_private_segment_size 0
		.amdhsa_wavefront_size32 1
		.amdhsa_uses_dynamic_stack 0
		.amdhsa_enable_private_segment 0
		.amdhsa_system_sgpr_workgroup_id_x 1
		.amdhsa_system_sgpr_workgroup_id_y 0
		.amdhsa_system_sgpr_workgroup_id_z 0
		.amdhsa_system_sgpr_workgroup_info 0
		.amdhsa_system_vgpr_workitem_id 0
		.amdhsa_next_free_vgpr 1
		.amdhsa_next_free_sgpr 1
		.amdhsa_reserve_vcc 0
		.amdhsa_float_round_mode_32 0
		.amdhsa_float_round_mode_16_64 0
		.amdhsa_float_denorm_mode_32 3
		.amdhsa_float_denorm_mode_16_64 3
		.amdhsa_fp16_overflow 0
		.amdhsa_workgroup_processor_mode 1
		.amdhsa_memory_ordered 1
		.amdhsa_forward_progress 1
		.amdhsa_inst_pref_size 0
		.amdhsa_round_robin_scheduling 0
		.amdhsa_exception_fp_ieee_invalid_op 0
		.amdhsa_exception_fp_denorm_src 0
		.amdhsa_exception_fp_ieee_div_zero 0
		.amdhsa_exception_fp_ieee_overflow 0
		.amdhsa_exception_fp_ieee_underflow 0
		.amdhsa_exception_fp_ieee_inexact 0
		.amdhsa_exception_int_div_zero 0
	.end_amdhsa_kernel
	.section	.text._ZN7rocprim17ROCPRIM_400000_NS6detail17trampoline_kernelINS0_14default_configENS1_25partition_config_selectorILNS1_17partition_subalgoE6EN6thrust23THRUST_200600_302600_NS5tupleIjjNS7_9null_typeES9_S9_S9_S9_S9_S9_S9_EENS0_10empty_typeEbEEZZNS1_14partition_implILS5_6ELb0ES3_mNS7_12zip_iteratorINS8_INS7_6detail15normal_iteratorINS7_10device_ptrIjEEEESJ_S9_S9_S9_S9_S9_S9_S9_S9_EEEEPSB_SM_NS0_5tupleIJNSE_INS8_ISJ_NS7_16discard_iteratorINS7_11use_defaultEEES9_S9_S9_S9_S9_S9_S9_S9_EEEESB_EEENSN_IJSM_SM_EEESB_PlJNSF_9not_fun_tINSF_14equal_to_valueISA_EEEEEEE10hipError_tPvRmT3_T4_T5_T6_T7_T9_mT8_P12ihipStream_tbDpT10_ENKUlT_T0_E_clISt17integral_constantIbLb1EES1I_IbLb0EEEEDaS1E_S1F_EUlS1E_E_NS1_11comp_targetILNS1_3genE4ELNS1_11target_archE910ELNS1_3gpuE8ELNS1_3repE0EEENS1_30default_config_static_selectorELNS0_4arch9wavefront6targetE0EEEvT1_,"axG",@progbits,_ZN7rocprim17ROCPRIM_400000_NS6detail17trampoline_kernelINS0_14default_configENS1_25partition_config_selectorILNS1_17partition_subalgoE6EN6thrust23THRUST_200600_302600_NS5tupleIjjNS7_9null_typeES9_S9_S9_S9_S9_S9_S9_EENS0_10empty_typeEbEEZZNS1_14partition_implILS5_6ELb0ES3_mNS7_12zip_iteratorINS8_INS7_6detail15normal_iteratorINS7_10device_ptrIjEEEESJ_S9_S9_S9_S9_S9_S9_S9_S9_EEEEPSB_SM_NS0_5tupleIJNSE_INS8_ISJ_NS7_16discard_iteratorINS7_11use_defaultEEES9_S9_S9_S9_S9_S9_S9_S9_EEEESB_EEENSN_IJSM_SM_EEESB_PlJNSF_9not_fun_tINSF_14equal_to_valueISA_EEEEEEE10hipError_tPvRmT3_T4_T5_T6_T7_T9_mT8_P12ihipStream_tbDpT10_ENKUlT_T0_E_clISt17integral_constantIbLb1EES1I_IbLb0EEEEDaS1E_S1F_EUlS1E_E_NS1_11comp_targetILNS1_3genE4ELNS1_11target_archE910ELNS1_3gpuE8ELNS1_3repE0EEENS1_30default_config_static_selectorELNS0_4arch9wavefront6targetE0EEEvT1_,comdat
.Lfunc_end1935:
	.size	_ZN7rocprim17ROCPRIM_400000_NS6detail17trampoline_kernelINS0_14default_configENS1_25partition_config_selectorILNS1_17partition_subalgoE6EN6thrust23THRUST_200600_302600_NS5tupleIjjNS7_9null_typeES9_S9_S9_S9_S9_S9_S9_EENS0_10empty_typeEbEEZZNS1_14partition_implILS5_6ELb0ES3_mNS7_12zip_iteratorINS8_INS7_6detail15normal_iteratorINS7_10device_ptrIjEEEESJ_S9_S9_S9_S9_S9_S9_S9_S9_EEEEPSB_SM_NS0_5tupleIJNSE_INS8_ISJ_NS7_16discard_iteratorINS7_11use_defaultEEES9_S9_S9_S9_S9_S9_S9_S9_EEEESB_EEENSN_IJSM_SM_EEESB_PlJNSF_9not_fun_tINSF_14equal_to_valueISA_EEEEEEE10hipError_tPvRmT3_T4_T5_T6_T7_T9_mT8_P12ihipStream_tbDpT10_ENKUlT_T0_E_clISt17integral_constantIbLb1EES1I_IbLb0EEEEDaS1E_S1F_EUlS1E_E_NS1_11comp_targetILNS1_3genE4ELNS1_11target_archE910ELNS1_3gpuE8ELNS1_3repE0EEENS1_30default_config_static_selectorELNS0_4arch9wavefront6targetE0EEEvT1_, .Lfunc_end1935-_ZN7rocprim17ROCPRIM_400000_NS6detail17trampoline_kernelINS0_14default_configENS1_25partition_config_selectorILNS1_17partition_subalgoE6EN6thrust23THRUST_200600_302600_NS5tupleIjjNS7_9null_typeES9_S9_S9_S9_S9_S9_S9_EENS0_10empty_typeEbEEZZNS1_14partition_implILS5_6ELb0ES3_mNS7_12zip_iteratorINS8_INS7_6detail15normal_iteratorINS7_10device_ptrIjEEEESJ_S9_S9_S9_S9_S9_S9_S9_S9_EEEEPSB_SM_NS0_5tupleIJNSE_INS8_ISJ_NS7_16discard_iteratorINS7_11use_defaultEEES9_S9_S9_S9_S9_S9_S9_S9_EEEESB_EEENSN_IJSM_SM_EEESB_PlJNSF_9not_fun_tINSF_14equal_to_valueISA_EEEEEEE10hipError_tPvRmT3_T4_T5_T6_T7_T9_mT8_P12ihipStream_tbDpT10_ENKUlT_T0_E_clISt17integral_constantIbLb1EES1I_IbLb0EEEEDaS1E_S1F_EUlS1E_E_NS1_11comp_targetILNS1_3genE4ELNS1_11target_archE910ELNS1_3gpuE8ELNS1_3repE0EEENS1_30default_config_static_selectorELNS0_4arch9wavefront6targetE0EEEvT1_
                                        ; -- End function
	.set _ZN7rocprim17ROCPRIM_400000_NS6detail17trampoline_kernelINS0_14default_configENS1_25partition_config_selectorILNS1_17partition_subalgoE6EN6thrust23THRUST_200600_302600_NS5tupleIjjNS7_9null_typeES9_S9_S9_S9_S9_S9_S9_EENS0_10empty_typeEbEEZZNS1_14partition_implILS5_6ELb0ES3_mNS7_12zip_iteratorINS8_INS7_6detail15normal_iteratorINS7_10device_ptrIjEEEESJ_S9_S9_S9_S9_S9_S9_S9_S9_EEEEPSB_SM_NS0_5tupleIJNSE_INS8_ISJ_NS7_16discard_iteratorINS7_11use_defaultEEES9_S9_S9_S9_S9_S9_S9_S9_EEEESB_EEENSN_IJSM_SM_EEESB_PlJNSF_9not_fun_tINSF_14equal_to_valueISA_EEEEEEE10hipError_tPvRmT3_T4_T5_T6_T7_T9_mT8_P12ihipStream_tbDpT10_ENKUlT_T0_E_clISt17integral_constantIbLb1EES1I_IbLb0EEEEDaS1E_S1F_EUlS1E_E_NS1_11comp_targetILNS1_3genE4ELNS1_11target_archE910ELNS1_3gpuE8ELNS1_3repE0EEENS1_30default_config_static_selectorELNS0_4arch9wavefront6targetE0EEEvT1_.num_vgpr, 0
	.set _ZN7rocprim17ROCPRIM_400000_NS6detail17trampoline_kernelINS0_14default_configENS1_25partition_config_selectorILNS1_17partition_subalgoE6EN6thrust23THRUST_200600_302600_NS5tupleIjjNS7_9null_typeES9_S9_S9_S9_S9_S9_S9_EENS0_10empty_typeEbEEZZNS1_14partition_implILS5_6ELb0ES3_mNS7_12zip_iteratorINS8_INS7_6detail15normal_iteratorINS7_10device_ptrIjEEEESJ_S9_S9_S9_S9_S9_S9_S9_S9_EEEEPSB_SM_NS0_5tupleIJNSE_INS8_ISJ_NS7_16discard_iteratorINS7_11use_defaultEEES9_S9_S9_S9_S9_S9_S9_S9_EEEESB_EEENSN_IJSM_SM_EEESB_PlJNSF_9not_fun_tINSF_14equal_to_valueISA_EEEEEEE10hipError_tPvRmT3_T4_T5_T6_T7_T9_mT8_P12ihipStream_tbDpT10_ENKUlT_T0_E_clISt17integral_constantIbLb1EES1I_IbLb0EEEEDaS1E_S1F_EUlS1E_E_NS1_11comp_targetILNS1_3genE4ELNS1_11target_archE910ELNS1_3gpuE8ELNS1_3repE0EEENS1_30default_config_static_selectorELNS0_4arch9wavefront6targetE0EEEvT1_.num_agpr, 0
	.set _ZN7rocprim17ROCPRIM_400000_NS6detail17trampoline_kernelINS0_14default_configENS1_25partition_config_selectorILNS1_17partition_subalgoE6EN6thrust23THRUST_200600_302600_NS5tupleIjjNS7_9null_typeES9_S9_S9_S9_S9_S9_S9_EENS0_10empty_typeEbEEZZNS1_14partition_implILS5_6ELb0ES3_mNS7_12zip_iteratorINS8_INS7_6detail15normal_iteratorINS7_10device_ptrIjEEEESJ_S9_S9_S9_S9_S9_S9_S9_S9_EEEEPSB_SM_NS0_5tupleIJNSE_INS8_ISJ_NS7_16discard_iteratorINS7_11use_defaultEEES9_S9_S9_S9_S9_S9_S9_S9_EEEESB_EEENSN_IJSM_SM_EEESB_PlJNSF_9not_fun_tINSF_14equal_to_valueISA_EEEEEEE10hipError_tPvRmT3_T4_T5_T6_T7_T9_mT8_P12ihipStream_tbDpT10_ENKUlT_T0_E_clISt17integral_constantIbLb1EES1I_IbLb0EEEEDaS1E_S1F_EUlS1E_E_NS1_11comp_targetILNS1_3genE4ELNS1_11target_archE910ELNS1_3gpuE8ELNS1_3repE0EEENS1_30default_config_static_selectorELNS0_4arch9wavefront6targetE0EEEvT1_.numbered_sgpr, 0
	.set _ZN7rocprim17ROCPRIM_400000_NS6detail17trampoline_kernelINS0_14default_configENS1_25partition_config_selectorILNS1_17partition_subalgoE6EN6thrust23THRUST_200600_302600_NS5tupleIjjNS7_9null_typeES9_S9_S9_S9_S9_S9_S9_EENS0_10empty_typeEbEEZZNS1_14partition_implILS5_6ELb0ES3_mNS7_12zip_iteratorINS8_INS7_6detail15normal_iteratorINS7_10device_ptrIjEEEESJ_S9_S9_S9_S9_S9_S9_S9_S9_EEEEPSB_SM_NS0_5tupleIJNSE_INS8_ISJ_NS7_16discard_iteratorINS7_11use_defaultEEES9_S9_S9_S9_S9_S9_S9_S9_EEEESB_EEENSN_IJSM_SM_EEESB_PlJNSF_9not_fun_tINSF_14equal_to_valueISA_EEEEEEE10hipError_tPvRmT3_T4_T5_T6_T7_T9_mT8_P12ihipStream_tbDpT10_ENKUlT_T0_E_clISt17integral_constantIbLb1EES1I_IbLb0EEEEDaS1E_S1F_EUlS1E_E_NS1_11comp_targetILNS1_3genE4ELNS1_11target_archE910ELNS1_3gpuE8ELNS1_3repE0EEENS1_30default_config_static_selectorELNS0_4arch9wavefront6targetE0EEEvT1_.num_named_barrier, 0
	.set _ZN7rocprim17ROCPRIM_400000_NS6detail17trampoline_kernelINS0_14default_configENS1_25partition_config_selectorILNS1_17partition_subalgoE6EN6thrust23THRUST_200600_302600_NS5tupleIjjNS7_9null_typeES9_S9_S9_S9_S9_S9_S9_EENS0_10empty_typeEbEEZZNS1_14partition_implILS5_6ELb0ES3_mNS7_12zip_iteratorINS8_INS7_6detail15normal_iteratorINS7_10device_ptrIjEEEESJ_S9_S9_S9_S9_S9_S9_S9_S9_EEEEPSB_SM_NS0_5tupleIJNSE_INS8_ISJ_NS7_16discard_iteratorINS7_11use_defaultEEES9_S9_S9_S9_S9_S9_S9_S9_EEEESB_EEENSN_IJSM_SM_EEESB_PlJNSF_9not_fun_tINSF_14equal_to_valueISA_EEEEEEE10hipError_tPvRmT3_T4_T5_T6_T7_T9_mT8_P12ihipStream_tbDpT10_ENKUlT_T0_E_clISt17integral_constantIbLb1EES1I_IbLb0EEEEDaS1E_S1F_EUlS1E_E_NS1_11comp_targetILNS1_3genE4ELNS1_11target_archE910ELNS1_3gpuE8ELNS1_3repE0EEENS1_30default_config_static_selectorELNS0_4arch9wavefront6targetE0EEEvT1_.private_seg_size, 0
	.set _ZN7rocprim17ROCPRIM_400000_NS6detail17trampoline_kernelINS0_14default_configENS1_25partition_config_selectorILNS1_17partition_subalgoE6EN6thrust23THRUST_200600_302600_NS5tupleIjjNS7_9null_typeES9_S9_S9_S9_S9_S9_S9_EENS0_10empty_typeEbEEZZNS1_14partition_implILS5_6ELb0ES3_mNS7_12zip_iteratorINS8_INS7_6detail15normal_iteratorINS7_10device_ptrIjEEEESJ_S9_S9_S9_S9_S9_S9_S9_S9_EEEEPSB_SM_NS0_5tupleIJNSE_INS8_ISJ_NS7_16discard_iteratorINS7_11use_defaultEEES9_S9_S9_S9_S9_S9_S9_S9_EEEESB_EEENSN_IJSM_SM_EEESB_PlJNSF_9not_fun_tINSF_14equal_to_valueISA_EEEEEEE10hipError_tPvRmT3_T4_T5_T6_T7_T9_mT8_P12ihipStream_tbDpT10_ENKUlT_T0_E_clISt17integral_constantIbLb1EES1I_IbLb0EEEEDaS1E_S1F_EUlS1E_E_NS1_11comp_targetILNS1_3genE4ELNS1_11target_archE910ELNS1_3gpuE8ELNS1_3repE0EEENS1_30default_config_static_selectorELNS0_4arch9wavefront6targetE0EEEvT1_.uses_vcc, 0
	.set _ZN7rocprim17ROCPRIM_400000_NS6detail17trampoline_kernelINS0_14default_configENS1_25partition_config_selectorILNS1_17partition_subalgoE6EN6thrust23THRUST_200600_302600_NS5tupleIjjNS7_9null_typeES9_S9_S9_S9_S9_S9_S9_EENS0_10empty_typeEbEEZZNS1_14partition_implILS5_6ELb0ES3_mNS7_12zip_iteratorINS8_INS7_6detail15normal_iteratorINS7_10device_ptrIjEEEESJ_S9_S9_S9_S9_S9_S9_S9_S9_EEEEPSB_SM_NS0_5tupleIJNSE_INS8_ISJ_NS7_16discard_iteratorINS7_11use_defaultEEES9_S9_S9_S9_S9_S9_S9_S9_EEEESB_EEENSN_IJSM_SM_EEESB_PlJNSF_9not_fun_tINSF_14equal_to_valueISA_EEEEEEE10hipError_tPvRmT3_T4_T5_T6_T7_T9_mT8_P12ihipStream_tbDpT10_ENKUlT_T0_E_clISt17integral_constantIbLb1EES1I_IbLb0EEEEDaS1E_S1F_EUlS1E_E_NS1_11comp_targetILNS1_3genE4ELNS1_11target_archE910ELNS1_3gpuE8ELNS1_3repE0EEENS1_30default_config_static_selectorELNS0_4arch9wavefront6targetE0EEEvT1_.uses_flat_scratch, 0
	.set _ZN7rocprim17ROCPRIM_400000_NS6detail17trampoline_kernelINS0_14default_configENS1_25partition_config_selectorILNS1_17partition_subalgoE6EN6thrust23THRUST_200600_302600_NS5tupleIjjNS7_9null_typeES9_S9_S9_S9_S9_S9_S9_EENS0_10empty_typeEbEEZZNS1_14partition_implILS5_6ELb0ES3_mNS7_12zip_iteratorINS8_INS7_6detail15normal_iteratorINS7_10device_ptrIjEEEESJ_S9_S9_S9_S9_S9_S9_S9_S9_EEEEPSB_SM_NS0_5tupleIJNSE_INS8_ISJ_NS7_16discard_iteratorINS7_11use_defaultEEES9_S9_S9_S9_S9_S9_S9_S9_EEEESB_EEENSN_IJSM_SM_EEESB_PlJNSF_9not_fun_tINSF_14equal_to_valueISA_EEEEEEE10hipError_tPvRmT3_T4_T5_T6_T7_T9_mT8_P12ihipStream_tbDpT10_ENKUlT_T0_E_clISt17integral_constantIbLb1EES1I_IbLb0EEEEDaS1E_S1F_EUlS1E_E_NS1_11comp_targetILNS1_3genE4ELNS1_11target_archE910ELNS1_3gpuE8ELNS1_3repE0EEENS1_30default_config_static_selectorELNS0_4arch9wavefront6targetE0EEEvT1_.has_dyn_sized_stack, 0
	.set _ZN7rocprim17ROCPRIM_400000_NS6detail17trampoline_kernelINS0_14default_configENS1_25partition_config_selectorILNS1_17partition_subalgoE6EN6thrust23THRUST_200600_302600_NS5tupleIjjNS7_9null_typeES9_S9_S9_S9_S9_S9_S9_EENS0_10empty_typeEbEEZZNS1_14partition_implILS5_6ELb0ES3_mNS7_12zip_iteratorINS8_INS7_6detail15normal_iteratorINS7_10device_ptrIjEEEESJ_S9_S9_S9_S9_S9_S9_S9_S9_EEEEPSB_SM_NS0_5tupleIJNSE_INS8_ISJ_NS7_16discard_iteratorINS7_11use_defaultEEES9_S9_S9_S9_S9_S9_S9_S9_EEEESB_EEENSN_IJSM_SM_EEESB_PlJNSF_9not_fun_tINSF_14equal_to_valueISA_EEEEEEE10hipError_tPvRmT3_T4_T5_T6_T7_T9_mT8_P12ihipStream_tbDpT10_ENKUlT_T0_E_clISt17integral_constantIbLb1EES1I_IbLb0EEEEDaS1E_S1F_EUlS1E_E_NS1_11comp_targetILNS1_3genE4ELNS1_11target_archE910ELNS1_3gpuE8ELNS1_3repE0EEENS1_30default_config_static_selectorELNS0_4arch9wavefront6targetE0EEEvT1_.has_recursion, 0
	.set _ZN7rocprim17ROCPRIM_400000_NS6detail17trampoline_kernelINS0_14default_configENS1_25partition_config_selectorILNS1_17partition_subalgoE6EN6thrust23THRUST_200600_302600_NS5tupleIjjNS7_9null_typeES9_S9_S9_S9_S9_S9_S9_EENS0_10empty_typeEbEEZZNS1_14partition_implILS5_6ELb0ES3_mNS7_12zip_iteratorINS8_INS7_6detail15normal_iteratorINS7_10device_ptrIjEEEESJ_S9_S9_S9_S9_S9_S9_S9_S9_EEEEPSB_SM_NS0_5tupleIJNSE_INS8_ISJ_NS7_16discard_iteratorINS7_11use_defaultEEES9_S9_S9_S9_S9_S9_S9_S9_EEEESB_EEENSN_IJSM_SM_EEESB_PlJNSF_9not_fun_tINSF_14equal_to_valueISA_EEEEEEE10hipError_tPvRmT3_T4_T5_T6_T7_T9_mT8_P12ihipStream_tbDpT10_ENKUlT_T0_E_clISt17integral_constantIbLb1EES1I_IbLb0EEEEDaS1E_S1F_EUlS1E_E_NS1_11comp_targetILNS1_3genE4ELNS1_11target_archE910ELNS1_3gpuE8ELNS1_3repE0EEENS1_30default_config_static_selectorELNS0_4arch9wavefront6targetE0EEEvT1_.has_indirect_call, 0
	.section	.AMDGPU.csdata,"",@progbits
; Kernel info:
; codeLenInByte = 0
; TotalNumSgprs: 0
; NumVgprs: 0
; ScratchSize: 0
; MemoryBound: 0
; FloatMode: 240
; IeeeMode: 1
; LDSByteSize: 0 bytes/workgroup (compile time only)
; SGPRBlocks: 0
; VGPRBlocks: 0
; NumSGPRsForWavesPerEU: 1
; NumVGPRsForWavesPerEU: 1
; Occupancy: 16
; WaveLimiterHint : 0
; COMPUTE_PGM_RSRC2:SCRATCH_EN: 0
; COMPUTE_PGM_RSRC2:USER_SGPR: 2
; COMPUTE_PGM_RSRC2:TRAP_HANDLER: 0
; COMPUTE_PGM_RSRC2:TGID_X_EN: 1
; COMPUTE_PGM_RSRC2:TGID_Y_EN: 0
; COMPUTE_PGM_RSRC2:TGID_Z_EN: 0
; COMPUTE_PGM_RSRC2:TIDIG_COMP_CNT: 0
	.section	.text._ZN7rocprim17ROCPRIM_400000_NS6detail17trampoline_kernelINS0_14default_configENS1_25partition_config_selectorILNS1_17partition_subalgoE6EN6thrust23THRUST_200600_302600_NS5tupleIjjNS7_9null_typeES9_S9_S9_S9_S9_S9_S9_EENS0_10empty_typeEbEEZZNS1_14partition_implILS5_6ELb0ES3_mNS7_12zip_iteratorINS8_INS7_6detail15normal_iteratorINS7_10device_ptrIjEEEESJ_S9_S9_S9_S9_S9_S9_S9_S9_EEEEPSB_SM_NS0_5tupleIJNSE_INS8_ISJ_NS7_16discard_iteratorINS7_11use_defaultEEES9_S9_S9_S9_S9_S9_S9_S9_EEEESB_EEENSN_IJSM_SM_EEESB_PlJNSF_9not_fun_tINSF_14equal_to_valueISA_EEEEEEE10hipError_tPvRmT3_T4_T5_T6_T7_T9_mT8_P12ihipStream_tbDpT10_ENKUlT_T0_E_clISt17integral_constantIbLb1EES1I_IbLb0EEEEDaS1E_S1F_EUlS1E_E_NS1_11comp_targetILNS1_3genE3ELNS1_11target_archE908ELNS1_3gpuE7ELNS1_3repE0EEENS1_30default_config_static_selectorELNS0_4arch9wavefront6targetE0EEEvT1_,"axG",@progbits,_ZN7rocprim17ROCPRIM_400000_NS6detail17trampoline_kernelINS0_14default_configENS1_25partition_config_selectorILNS1_17partition_subalgoE6EN6thrust23THRUST_200600_302600_NS5tupleIjjNS7_9null_typeES9_S9_S9_S9_S9_S9_S9_EENS0_10empty_typeEbEEZZNS1_14partition_implILS5_6ELb0ES3_mNS7_12zip_iteratorINS8_INS7_6detail15normal_iteratorINS7_10device_ptrIjEEEESJ_S9_S9_S9_S9_S9_S9_S9_S9_EEEEPSB_SM_NS0_5tupleIJNSE_INS8_ISJ_NS7_16discard_iteratorINS7_11use_defaultEEES9_S9_S9_S9_S9_S9_S9_S9_EEEESB_EEENSN_IJSM_SM_EEESB_PlJNSF_9not_fun_tINSF_14equal_to_valueISA_EEEEEEE10hipError_tPvRmT3_T4_T5_T6_T7_T9_mT8_P12ihipStream_tbDpT10_ENKUlT_T0_E_clISt17integral_constantIbLb1EES1I_IbLb0EEEEDaS1E_S1F_EUlS1E_E_NS1_11comp_targetILNS1_3genE3ELNS1_11target_archE908ELNS1_3gpuE7ELNS1_3repE0EEENS1_30default_config_static_selectorELNS0_4arch9wavefront6targetE0EEEvT1_,comdat
	.protected	_ZN7rocprim17ROCPRIM_400000_NS6detail17trampoline_kernelINS0_14default_configENS1_25partition_config_selectorILNS1_17partition_subalgoE6EN6thrust23THRUST_200600_302600_NS5tupleIjjNS7_9null_typeES9_S9_S9_S9_S9_S9_S9_EENS0_10empty_typeEbEEZZNS1_14partition_implILS5_6ELb0ES3_mNS7_12zip_iteratorINS8_INS7_6detail15normal_iteratorINS7_10device_ptrIjEEEESJ_S9_S9_S9_S9_S9_S9_S9_S9_EEEEPSB_SM_NS0_5tupleIJNSE_INS8_ISJ_NS7_16discard_iteratorINS7_11use_defaultEEES9_S9_S9_S9_S9_S9_S9_S9_EEEESB_EEENSN_IJSM_SM_EEESB_PlJNSF_9not_fun_tINSF_14equal_to_valueISA_EEEEEEE10hipError_tPvRmT3_T4_T5_T6_T7_T9_mT8_P12ihipStream_tbDpT10_ENKUlT_T0_E_clISt17integral_constantIbLb1EES1I_IbLb0EEEEDaS1E_S1F_EUlS1E_E_NS1_11comp_targetILNS1_3genE3ELNS1_11target_archE908ELNS1_3gpuE7ELNS1_3repE0EEENS1_30default_config_static_selectorELNS0_4arch9wavefront6targetE0EEEvT1_ ; -- Begin function _ZN7rocprim17ROCPRIM_400000_NS6detail17trampoline_kernelINS0_14default_configENS1_25partition_config_selectorILNS1_17partition_subalgoE6EN6thrust23THRUST_200600_302600_NS5tupleIjjNS7_9null_typeES9_S9_S9_S9_S9_S9_S9_EENS0_10empty_typeEbEEZZNS1_14partition_implILS5_6ELb0ES3_mNS7_12zip_iteratorINS8_INS7_6detail15normal_iteratorINS7_10device_ptrIjEEEESJ_S9_S9_S9_S9_S9_S9_S9_S9_EEEEPSB_SM_NS0_5tupleIJNSE_INS8_ISJ_NS7_16discard_iteratorINS7_11use_defaultEEES9_S9_S9_S9_S9_S9_S9_S9_EEEESB_EEENSN_IJSM_SM_EEESB_PlJNSF_9not_fun_tINSF_14equal_to_valueISA_EEEEEEE10hipError_tPvRmT3_T4_T5_T6_T7_T9_mT8_P12ihipStream_tbDpT10_ENKUlT_T0_E_clISt17integral_constantIbLb1EES1I_IbLb0EEEEDaS1E_S1F_EUlS1E_E_NS1_11comp_targetILNS1_3genE3ELNS1_11target_archE908ELNS1_3gpuE7ELNS1_3repE0EEENS1_30default_config_static_selectorELNS0_4arch9wavefront6targetE0EEEvT1_
	.globl	_ZN7rocprim17ROCPRIM_400000_NS6detail17trampoline_kernelINS0_14default_configENS1_25partition_config_selectorILNS1_17partition_subalgoE6EN6thrust23THRUST_200600_302600_NS5tupleIjjNS7_9null_typeES9_S9_S9_S9_S9_S9_S9_EENS0_10empty_typeEbEEZZNS1_14partition_implILS5_6ELb0ES3_mNS7_12zip_iteratorINS8_INS7_6detail15normal_iteratorINS7_10device_ptrIjEEEESJ_S9_S9_S9_S9_S9_S9_S9_S9_EEEEPSB_SM_NS0_5tupleIJNSE_INS8_ISJ_NS7_16discard_iteratorINS7_11use_defaultEEES9_S9_S9_S9_S9_S9_S9_S9_EEEESB_EEENSN_IJSM_SM_EEESB_PlJNSF_9not_fun_tINSF_14equal_to_valueISA_EEEEEEE10hipError_tPvRmT3_T4_T5_T6_T7_T9_mT8_P12ihipStream_tbDpT10_ENKUlT_T0_E_clISt17integral_constantIbLb1EES1I_IbLb0EEEEDaS1E_S1F_EUlS1E_E_NS1_11comp_targetILNS1_3genE3ELNS1_11target_archE908ELNS1_3gpuE7ELNS1_3repE0EEENS1_30default_config_static_selectorELNS0_4arch9wavefront6targetE0EEEvT1_
	.p2align	8
	.type	_ZN7rocprim17ROCPRIM_400000_NS6detail17trampoline_kernelINS0_14default_configENS1_25partition_config_selectorILNS1_17partition_subalgoE6EN6thrust23THRUST_200600_302600_NS5tupleIjjNS7_9null_typeES9_S9_S9_S9_S9_S9_S9_EENS0_10empty_typeEbEEZZNS1_14partition_implILS5_6ELb0ES3_mNS7_12zip_iteratorINS8_INS7_6detail15normal_iteratorINS7_10device_ptrIjEEEESJ_S9_S9_S9_S9_S9_S9_S9_S9_EEEEPSB_SM_NS0_5tupleIJNSE_INS8_ISJ_NS7_16discard_iteratorINS7_11use_defaultEEES9_S9_S9_S9_S9_S9_S9_S9_EEEESB_EEENSN_IJSM_SM_EEESB_PlJNSF_9not_fun_tINSF_14equal_to_valueISA_EEEEEEE10hipError_tPvRmT3_T4_T5_T6_T7_T9_mT8_P12ihipStream_tbDpT10_ENKUlT_T0_E_clISt17integral_constantIbLb1EES1I_IbLb0EEEEDaS1E_S1F_EUlS1E_E_NS1_11comp_targetILNS1_3genE3ELNS1_11target_archE908ELNS1_3gpuE7ELNS1_3repE0EEENS1_30default_config_static_selectorELNS0_4arch9wavefront6targetE0EEEvT1_,@function
_ZN7rocprim17ROCPRIM_400000_NS6detail17trampoline_kernelINS0_14default_configENS1_25partition_config_selectorILNS1_17partition_subalgoE6EN6thrust23THRUST_200600_302600_NS5tupleIjjNS7_9null_typeES9_S9_S9_S9_S9_S9_S9_EENS0_10empty_typeEbEEZZNS1_14partition_implILS5_6ELb0ES3_mNS7_12zip_iteratorINS8_INS7_6detail15normal_iteratorINS7_10device_ptrIjEEEESJ_S9_S9_S9_S9_S9_S9_S9_S9_EEEEPSB_SM_NS0_5tupleIJNSE_INS8_ISJ_NS7_16discard_iteratorINS7_11use_defaultEEES9_S9_S9_S9_S9_S9_S9_S9_EEEESB_EEENSN_IJSM_SM_EEESB_PlJNSF_9not_fun_tINSF_14equal_to_valueISA_EEEEEEE10hipError_tPvRmT3_T4_T5_T6_T7_T9_mT8_P12ihipStream_tbDpT10_ENKUlT_T0_E_clISt17integral_constantIbLb1EES1I_IbLb0EEEEDaS1E_S1F_EUlS1E_E_NS1_11comp_targetILNS1_3genE3ELNS1_11target_archE908ELNS1_3gpuE7ELNS1_3repE0EEENS1_30default_config_static_selectorELNS0_4arch9wavefront6targetE0EEEvT1_: ; @_ZN7rocprim17ROCPRIM_400000_NS6detail17trampoline_kernelINS0_14default_configENS1_25partition_config_selectorILNS1_17partition_subalgoE6EN6thrust23THRUST_200600_302600_NS5tupleIjjNS7_9null_typeES9_S9_S9_S9_S9_S9_S9_EENS0_10empty_typeEbEEZZNS1_14partition_implILS5_6ELb0ES3_mNS7_12zip_iteratorINS8_INS7_6detail15normal_iteratorINS7_10device_ptrIjEEEESJ_S9_S9_S9_S9_S9_S9_S9_S9_EEEEPSB_SM_NS0_5tupleIJNSE_INS8_ISJ_NS7_16discard_iteratorINS7_11use_defaultEEES9_S9_S9_S9_S9_S9_S9_S9_EEEESB_EEENSN_IJSM_SM_EEESB_PlJNSF_9not_fun_tINSF_14equal_to_valueISA_EEEEEEE10hipError_tPvRmT3_T4_T5_T6_T7_T9_mT8_P12ihipStream_tbDpT10_ENKUlT_T0_E_clISt17integral_constantIbLb1EES1I_IbLb0EEEEDaS1E_S1F_EUlS1E_E_NS1_11comp_targetILNS1_3genE3ELNS1_11target_archE908ELNS1_3gpuE7ELNS1_3repE0EEENS1_30default_config_static_selectorELNS0_4arch9wavefront6targetE0EEEvT1_
; %bb.0:
	.section	.rodata,"a",@progbits
	.p2align	6, 0x0
	.amdhsa_kernel _ZN7rocprim17ROCPRIM_400000_NS6detail17trampoline_kernelINS0_14default_configENS1_25partition_config_selectorILNS1_17partition_subalgoE6EN6thrust23THRUST_200600_302600_NS5tupleIjjNS7_9null_typeES9_S9_S9_S9_S9_S9_S9_EENS0_10empty_typeEbEEZZNS1_14partition_implILS5_6ELb0ES3_mNS7_12zip_iteratorINS8_INS7_6detail15normal_iteratorINS7_10device_ptrIjEEEESJ_S9_S9_S9_S9_S9_S9_S9_S9_EEEEPSB_SM_NS0_5tupleIJNSE_INS8_ISJ_NS7_16discard_iteratorINS7_11use_defaultEEES9_S9_S9_S9_S9_S9_S9_S9_EEEESB_EEENSN_IJSM_SM_EEESB_PlJNSF_9not_fun_tINSF_14equal_to_valueISA_EEEEEEE10hipError_tPvRmT3_T4_T5_T6_T7_T9_mT8_P12ihipStream_tbDpT10_ENKUlT_T0_E_clISt17integral_constantIbLb1EES1I_IbLb0EEEEDaS1E_S1F_EUlS1E_E_NS1_11comp_targetILNS1_3genE3ELNS1_11target_archE908ELNS1_3gpuE7ELNS1_3repE0EEENS1_30default_config_static_selectorELNS0_4arch9wavefront6targetE0EEEvT1_
		.amdhsa_group_segment_fixed_size 0
		.amdhsa_private_segment_fixed_size 0
		.amdhsa_kernarg_size 144
		.amdhsa_user_sgpr_count 2
		.amdhsa_user_sgpr_dispatch_ptr 0
		.amdhsa_user_sgpr_queue_ptr 0
		.amdhsa_user_sgpr_kernarg_segment_ptr 1
		.amdhsa_user_sgpr_dispatch_id 0
		.amdhsa_user_sgpr_private_segment_size 0
		.amdhsa_wavefront_size32 1
		.amdhsa_uses_dynamic_stack 0
		.amdhsa_enable_private_segment 0
		.amdhsa_system_sgpr_workgroup_id_x 1
		.amdhsa_system_sgpr_workgroup_id_y 0
		.amdhsa_system_sgpr_workgroup_id_z 0
		.amdhsa_system_sgpr_workgroup_info 0
		.amdhsa_system_vgpr_workitem_id 0
		.amdhsa_next_free_vgpr 1
		.amdhsa_next_free_sgpr 1
		.amdhsa_reserve_vcc 0
		.amdhsa_float_round_mode_32 0
		.amdhsa_float_round_mode_16_64 0
		.amdhsa_float_denorm_mode_32 3
		.amdhsa_float_denorm_mode_16_64 3
		.amdhsa_fp16_overflow 0
		.amdhsa_workgroup_processor_mode 1
		.amdhsa_memory_ordered 1
		.amdhsa_forward_progress 1
		.amdhsa_inst_pref_size 0
		.amdhsa_round_robin_scheduling 0
		.amdhsa_exception_fp_ieee_invalid_op 0
		.amdhsa_exception_fp_denorm_src 0
		.amdhsa_exception_fp_ieee_div_zero 0
		.amdhsa_exception_fp_ieee_overflow 0
		.amdhsa_exception_fp_ieee_underflow 0
		.amdhsa_exception_fp_ieee_inexact 0
		.amdhsa_exception_int_div_zero 0
	.end_amdhsa_kernel
	.section	.text._ZN7rocprim17ROCPRIM_400000_NS6detail17trampoline_kernelINS0_14default_configENS1_25partition_config_selectorILNS1_17partition_subalgoE6EN6thrust23THRUST_200600_302600_NS5tupleIjjNS7_9null_typeES9_S9_S9_S9_S9_S9_S9_EENS0_10empty_typeEbEEZZNS1_14partition_implILS5_6ELb0ES3_mNS7_12zip_iteratorINS8_INS7_6detail15normal_iteratorINS7_10device_ptrIjEEEESJ_S9_S9_S9_S9_S9_S9_S9_S9_EEEEPSB_SM_NS0_5tupleIJNSE_INS8_ISJ_NS7_16discard_iteratorINS7_11use_defaultEEES9_S9_S9_S9_S9_S9_S9_S9_EEEESB_EEENSN_IJSM_SM_EEESB_PlJNSF_9not_fun_tINSF_14equal_to_valueISA_EEEEEEE10hipError_tPvRmT3_T4_T5_T6_T7_T9_mT8_P12ihipStream_tbDpT10_ENKUlT_T0_E_clISt17integral_constantIbLb1EES1I_IbLb0EEEEDaS1E_S1F_EUlS1E_E_NS1_11comp_targetILNS1_3genE3ELNS1_11target_archE908ELNS1_3gpuE7ELNS1_3repE0EEENS1_30default_config_static_selectorELNS0_4arch9wavefront6targetE0EEEvT1_,"axG",@progbits,_ZN7rocprim17ROCPRIM_400000_NS6detail17trampoline_kernelINS0_14default_configENS1_25partition_config_selectorILNS1_17partition_subalgoE6EN6thrust23THRUST_200600_302600_NS5tupleIjjNS7_9null_typeES9_S9_S9_S9_S9_S9_S9_EENS0_10empty_typeEbEEZZNS1_14partition_implILS5_6ELb0ES3_mNS7_12zip_iteratorINS8_INS7_6detail15normal_iteratorINS7_10device_ptrIjEEEESJ_S9_S9_S9_S9_S9_S9_S9_S9_EEEEPSB_SM_NS0_5tupleIJNSE_INS8_ISJ_NS7_16discard_iteratorINS7_11use_defaultEEES9_S9_S9_S9_S9_S9_S9_S9_EEEESB_EEENSN_IJSM_SM_EEESB_PlJNSF_9not_fun_tINSF_14equal_to_valueISA_EEEEEEE10hipError_tPvRmT3_T4_T5_T6_T7_T9_mT8_P12ihipStream_tbDpT10_ENKUlT_T0_E_clISt17integral_constantIbLb1EES1I_IbLb0EEEEDaS1E_S1F_EUlS1E_E_NS1_11comp_targetILNS1_3genE3ELNS1_11target_archE908ELNS1_3gpuE7ELNS1_3repE0EEENS1_30default_config_static_selectorELNS0_4arch9wavefront6targetE0EEEvT1_,comdat
.Lfunc_end1936:
	.size	_ZN7rocprim17ROCPRIM_400000_NS6detail17trampoline_kernelINS0_14default_configENS1_25partition_config_selectorILNS1_17partition_subalgoE6EN6thrust23THRUST_200600_302600_NS5tupleIjjNS7_9null_typeES9_S9_S9_S9_S9_S9_S9_EENS0_10empty_typeEbEEZZNS1_14partition_implILS5_6ELb0ES3_mNS7_12zip_iteratorINS8_INS7_6detail15normal_iteratorINS7_10device_ptrIjEEEESJ_S9_S9_S9_S9_S9_S9_S9_S9_EEEEPSB_SM_NS0_5tupleIJNSE_INS8_ISJ_NS7_16discard_iteratorINS7_11use_defaultEEES9_S9_S9_S9_S9_S9_S9_S9_EEEESB_EEENSN_IJSM_SM_EEESB_PlJNSF_9not_fun_tINSF_14equal_to_valueISA_EEEEEEE10hipError_tPvRmT3_T4_T5_T6_T7_T9_mT8_P12ihipStream_tbDpT10_ENKUlT_T0_E_clISt17integral_constantIbLb1EES1I_IbLb0EEEEDaS1E_S1F_EUlS1E_E_NS1_11comp_targetILNS1_3genE3ELNS1_11target_archE908ELNS1_3gpuE7ELNS1_3repE0EEENS1_30default_config_static_selectorELNS0_4arch9wavefront6targetE0EEEvT1_, .Lfunc_end1936-_ZN7rocprim17ROCPRIM_400000_NS6detail17trampoline_kernelINS0_14default_configENS1_25partition_config_selectorILNS1_17partition_subalgoE6EN6thrust23THRUST_200600_302600_NS5tupleIjjNS7_9null_typeES9_S9_S9_S9_S9_S9_S9_EENS0_10empty_typeEbEEZZNS1_14partition_implILS5_6ELb0ES3_mNS7_12zip_iteratorINS8_INS7_6detail15normal_iteratorINS7_10device_ptrIjEEEESJ_S9_S9_S9_S9_S9_S9_S9_S9_EEEEPSB_SM_NS0_5tupleIJNSE_INS8_ISJ_NS7_16discard_iteratorINS7_11use_defaultEEES9_S9_S9_S9_S9_S9_S9_S9_EEEESB_EEENSN_IJSM_SM_EEESB_PlJNSF_9not_fun_tINSF_14equal_to_valueISA_EEEEEEE10hipError_tPvRmT3_T4_T5_T6_T7_T9_mT8_P12ihipStream_tbDpT10_ENKUlT_T0_E_clISt17integral_constantIbLb1EES1I_IbLb0EEEEDaS1E_S1F_EUlS1E_E_NS1_11comp_targetILNS1_3genE3ELNS1_11target_archE908ELNS1_3gpuE7ELNS1_3repE0EEENS1_30default_config_static_selectorELNS0_4arch9wavefront6targetE0EEEvT1_
                                        ; -- End function
	.set _ZN7rocprim17ROCPRIM_400000_NS6detail17trampoline_kernelINS0_14default_configENS1_25partition_config_selectorILNS1_17partition_subalgoE6EN6thrust23THRUST_200600_302600_NS5tupleIjjNS7_9null_typeES9_S9_S9_S9_S9_S9_S9_EENS0_10empty_typeEbEEZZNS1_14partition_implILS5_6ELb0ES3_mNS7_12zip_iteratorINS8_INS7_6detail15normal_iteratorINS7_10device_ptrIjEEEESJ_S9_S9_S9_S9_S9_S9_S9_S9_EEEEPSB_SM_NS0_5tupleIJNSE_INS8_ISJ_NS7_16discard_iteratorINS7_11use_defaultEEES9_S9_S9_S9_S9_S9_S9_S9_EEEESB_EEENSN_IJSM_SM_EEESB_PlJNSF_9not_fun_tINSF_14equal_to_valueISA_EEEEEEE10hipError_tPvRmT3_T4_T5_T6_T7_T9_mT8_P12ihipStream_tbDpT10_ENKUlT_T0_E_clISt17integral_constantIbLb1EES1I_IbLb0EEEEDaS1E_S1F_EUlS1E_E_NS1_11comp_targetILNS1_3genE3ELNS1_11target_archE908ELNS1_3gpuE7ELNS1_3repE0EEENS1_30default_config_static_selectorELNS0_4arch9wavefront6targetE0EEEvT1_.num_vgpr, 0
	.set _ZN7rocprim17ROCPRIM_400000_NS6detail17trampoline_kernelINS0_14default_configENS1_25partition_config_selectorILNS1_17partition_subalgoE6EN6thrust23THRUST_200600_302600_NS5tupleIjjNS7_9null_typeES9_S9_S9_S9_S9_S9_S9_EENS0_10empty_typeEbEEZZNS1_14partition_implILS5_6ELb0ES3_mNS7_12zip_iteratorINS8_INS7_6detail15normal_iteratorINS7_10device_ptrIjEEEESJ_S9_S9_S9_S9_S9_S9_S9_S9_EEEEPSB_SM_NS0_5tupleIJNSE_INS8_ISJ_NS7_16discard_iteratorINS7_11use_defaultEEES9_S9_S9_S9_S9_S9_S9_S9_EEEESB_EEENSN_IJSM_SM_EEESB_PlJNSF_9not_fun_tINSF_14equal_to_valueISA_EEEEEEE10hipError_tPvRmT3_T4_T5_T6_T7_T9_mT8_P12ihipStream_tbDpT10_ENKUlT_T0_E_clISt17integral_constantIbLb1EES1I_IbLb0EEEEDaS1E_S1F_EUlS1E_E_NS1_11comp_targetILNS1_3genE3ELNS1_11target_archE908ELNS1_3gpuE7ELNS1_3repE0EEENS1_30default_config_static_selectorELNS0_4arch9wavefront6targetE0EEEvT1_.num_agpr, 0
	.set _ZN7rocprim17ROCPRIM_400000_NS6detail17trampoline_kernelINS0_14default_configENS1_25partition_config_selectorILNS1_17partition_subalgoE6EN6thrust23THRUST_200600_302600_NS5tupleIjjNS7_9null_typeES9_S9_S9_S9_S9_S9_S9_EENS0_10empty_typeEbEEZZNS1_14partition_implILS5_6ELb0ES3_mNS7_12zip_iteratorINS8_INS7_6detail15normal_iteratorINS7_10device_ptrIjEEEESJ_S9_S9_S9_S9_S9_S9_S9_S9_EEEEPSB_SM_NS0_5tupleIJNSE_INS8_ISJ_NS7_16discard_iteratorINS7_11use_defaultEEES9_S9_S9_S9_S9_S9_S9_S9_EEEESB_EEENSN_IJSM_SM_EEESB_PlJNSF_9not_fun_tINSF_14equal_to_valueISA_EEEEEEE10hipError_tPvRmT3_T4_T5_T6_T7_T9_mT8_P12ihipStream_tbDpT10_ENKUlT_T0_E_clISt17integral_constantIbLb1EES1I_IbLb0EEEEDaS1E_S1F_EUlS1E_E_NS1_11comp_targetILNS1_3genE3ELNS1_11target_archE908ELNS1_3gpuE7ELNS1_3repE0EEENS1_30default_config_static_selectorELNS0_4arch9wavefront6targetE0EEEvT1_.numbered_sgpr, 0
	.set _ZN7rocprim17ROCPRIM_400000_NS6detail17trampoline_kernelINS0_14default_configENS1_25partition_config_selectorILNS1_17partition_subalgoE6EN6thrust23THRUST_200600_302600_NS5tupleIjjNS7_9null_typeES9_S9_S9_S9_S9_S9_S9_EENS0_10empty_typeEbEEZZNS1_14partition_implILS5_6ELb0ES3_mNS7_12zip_iteratorINS8_INS7_6detail15normal_iteratorINS7_10device_ptrIjEEEESJ_S9_S9_S9_S9_S9_S9_S9_S9_EEEEPSB_SM_NS0_5tupleIJNSE_INS8_ISJ_NS7_16discard_iteratorINS7_11use_defaultEEES9_S9_S9_S9_S9_S9_S9_S9_EEEESB_EEENSN_IJSM_SM_EEESB_PlJNSF_9not_fun_tINSF_14equal_to_valueISA_EEEEEEE10hipError_tPvRmT3_T4_T5_T6_T7_T9_mT8_P12ihipStream_tbDpT10_ENKUlT_T0_E_clISt17integral_constantIbLb1EES1I_IbLb0EEEEDaS1E_S1F_EUlS1E_E_NS1_11comp_targetILNS1_3genE3ELNS1_11target_archE908ELNS1_3gpuE7ELNS1_3repE0EEENS1_30default_config_static_selectorELNS0_4arch9wavefront6targetE0EEEvT1_.num_named_barrier, 0
	.set _ZN7rocprim17ROCPRIM_400000_NS6detail17trampoline_kernelINS0_14default_configENS1_25partition_config_selectorILNS1_17partition_subalgoE6EN6thrust23THRUST_200600_302600_NS5tupleIjjNS7_9null_typeES9_S9_S9_S9_S9_S9_S9_EENS0_10empty_typeEbEEZZNS1_14partition_implILS5_6ELb0ES3_mNS7_12zip_iteratorINS8_INS7_6detail15normal_iteratorINS7_10device_ptrIjEEEESJ_S9_S9_S9_S9_S9_S9_S9_S9_EEEEPSB_SM_NS0_5tupleIJNSE_INS8_ISJ_NS7_16discard_iteratorINS7_11use_defaultEEES9_S9_S9_S9_S9_S9_S9_S9_EEEESB_EEENSN_IJSM_SM_EEESB_PlJNSF_9not_fun_tINSF_14equal_to_valueISA_EEEEEEE10hipError_tPvRmT3_T4_T5_T6_T7_T9_mT8_P12ihipStream_tbDpT10_ENKUlT_T0_E_clISt17integral_constantIbLb1EES1I_IbLb0EEEEDaS1E_S1F_EUlS1E_E_NS1_11comp_targetILNS1_3genE3ELNS1_11target_archE908ELNS1_3gpuE7ELNS1_3repE0EEENS1_30default_config_static_selectorELNS0_4arch9wavefront6targetE0EEEvT1_.private_seg_size, 0
	.set _ZN7rocprim17ROCPRIM_400000_NS6detail17trampoline_kernelINS0_14default_configENS1_25partition_config_selectorILNS1_17partition_subalgoE6EN6thrust23THRUST_200600_302600_NS5tupleIjjNS7_9null_typeES9_S9_S9_S9_S9_S9_S9_EENS0_10empty_typeEbEEZZNS1_14partition_implILS5_6ELb0ES3_mNS7_12zip_iteratorINS8_INS7_6detail15normal_iteratorINS7_10device_ptrIjEEEESJ_S9_S9_S9_S9_S9_S9_S9_S9_EEEEPSB_SM_NS0_5tupleIJNSE_INS8_ISJ_NS7_16discard_iteratorINS7_11use_defaultEEES9_S9_S9_S9_S9_S9_S9_S9_EEEESB_EEENSN_IJSM_SM_EEESB_PlJNSF_9not_fun_tINSF_14equal_to_valueISA_EEEEEEE10hipError_tPvRmT3_T4_T5_T6_T7_T9_mT8_P12ihipStream_tbDpT10_ENKUlT_T0_E_clISt17integral_constantIbLb1EES1I_IbLb0EEEEDaS1E_S1F_EUlS1E_E_NS1_11comp_targetILNS1_3genE3ELNS1_11target_archE908ELNS1_3gpuE7ELNS1_3repE0EEENS1_30default_config_static_selectorELNS0_4arch9wavefront6targetE0EEEvT1_.uses_vcc, 0
	.set _ZN7rocprim17ROCPRIM_400000_NS6detail17trampoline_kernelINS0_14default_configENS1_25partition_config_selectorILNS1_17partition_subalgoE6EN6thrust23THRUST_200600_302600_NS5tupleIjjNS7_9null_typeES9_S9_S9_S9_S9_S9_S9_EENS0_10empty_typeEbEEZZNS1_14partition_implILS5_6ELb0ES3_mNS7_12zip_iteratorINS8_INS7_6detail15normal_iteratorINS7_10device_ptrIjEEEESJ_S9_S9_S9_S9_S9_S9_S9_S9_EEEEPSB_SM_NS0_5tupleIJNSE_INS8_ISJ_NS7_16discard_iteratorINS7_11use_defaultEEES9_S9_S9_S9_S9_S9_S9_S9_EEEESB_EEENSN_IJSM_SM_EEESB_PlJNSF_9not_fun_tINSF_14equal_to_valueISA_EEEEEEE10hipError_tPvRmT3_T4_T5_T6_T7_T9_mT8_P12ihipStream_tbDpT10_ENKUlT_T0_E_clISt17integral_constantIbLb1EES1I_IbLb0EEEEDaS1E_S1F_EUlS1E_E_NS1_11comp_targetILNS1_3genE3ELNS1_11target_archE908ELNS1_3gpuE7ELNS1_3repE0EEENS1_30default_config_static_selectorELNS0_4arch9wavefront6targetE0EEEvT1_.uses_flat_scratch, 0
	.set _ZN7rocprim17ROCPRIM_400000_NS6detail17trampoline_kernelINS0_14default_configENS1_25partition_config_selectorILNS1_17partition_subalgoE6EN6thrust23THRUST_200600_302600_NS5tupleIjjNS7_9null_typeES9_S9_S9_S9_S9_S9_S9_EENS0_10empty_typeEbEEZZNS1_14partition_implILS5_6ELb0ES3_mNS7_12zip_iteratorINS8_INS7_6detail15normal_iteratorINS7_10device_ptrIjEEEESJ_S9_S9_S9_S9_S9_S9_S9_S9_EEEEPSB_SM_NS0_5tupleIJNSE_INS8_ISJ_NS7_16discard_iteratorINS7_11use_defaultEEES9_S9_S9_S9_S9_S9_S9_S9_EEEESB_EEENSN_IJSM_SM_EEESB_PlJNSF_9not_fun_tINSF_14equal_to_valueISA_EEEEEEE10hipError_tPvRmT3_T4_T5_T6_T7_T9_mT8_P12ihipStream_tbDpT10_ENKUlT_T0_E_clISt17integral_constantIbLb1EES1I_IbLb0EEEEDaS1E_S1F_EUlS1E_E_NS1_11comp_targetILNS1_3genE3ELNS1_11target_archE908ELNS1_3gpuE7ELNS1_3repE0EEENS1_30default_config_static_selectorELNS0_4arch9wavefront6targetE0EEEvT1_.has_dyn_sized_stack, 0
	.set _ZN7rocprim17ROCPRIM_400000_NS6detail17trampoline_kernelINS0_14default_configENS1_25partition_config_selectorILNS1_17partition_subalgoE6EN6thrust23THRUST_200600_302600_NS5tupleIjjNS7_9null_typeES9_S9_S9_S9_S9_S9_S9_EENS0_10empty_typeEbEEZZNS1_14partition_implILS5_6ELb0ES3_mNS7_12zip_iteratorINS8_INS7_6detail15normal_iteratorINS7_10device_ptrIjEEEESJ_S9_S9_S9_S9_S9_S9_S9_S9_EEEEPSB_SM_NS0_5tupleIJNSE_INS8_ISJ_NS7_16discard_iteratorINS7_11use_defaultEEES9_S9_S9_S9_S9_S9_S9_S9_EEEESB_EEENSN_IJSM_SM_EEESB_PlJNSF_9not_fun_tINSF_14equal_to_valueISA_EEEEEEE10hipError_tPvRmT3_T4_T5_T6_T7_T9_mT8_P12ihipStream_tbDpT10_ENKUlT_T0_E_clISt17integral_constantIbLb1EES1I_IbLb0EEEEDaS1E_S1F_EUlS1E_E_NS1_11comp_targetILNS1_3genE3ELNS1_11target_archE908ELNS1_3gpuE7ELNS1_3repE0EEENS1_30default_config_static_selectorELNS0_4arch9wavefront6targetE0EEEvT1_.has_recursion, 0
	.set _ZN7rocprim17ROCPRIM_400000_NS6detail17trampoline_kernelINS0_14default_configENS1_25partition_config_selectorILNS1_17partition_subalgoE6EN6thrust23THRUST_200600_302600_NS5tupleIjjNS7_9null_typeES9_S9_S9_S9_S9_S9_S9_EENS0_10empty_typeEbEEZZNS1_14partition_implILS5_6ELb0ES3_mNS7_12zip_iteratorINS8_INS7_6detail15normal_iteratorINS7_10device_ptrIjEEEESJ_S9_S9_S9_S9_S9_S9_S9_S9_EEEEPSB_SM_NS0_5tupleIJNSE_INS8_ISJ_NS7_16discard_iteratorINS7_11use_defaultEEES9_S9_S9_S9_S9_S9_S9_S9_EEEESB_EEENSN_IJSM_SM_EEESB_PlJNSF_9not_fun_tINSF_14equal_to_valueISA_EEEEEEE10hipError_tPvRmT3_T4_T5_T6_T7_T9_mT8_P12ihipStream_tbDpT10_ENKUlT_T0_E_clISt17integral_constantIbLb1EES1I_IbLb0EEEEDaS1E_S1F_EUlS1E_E_NS1_11comp_targetILNS1_3genE3ELNS1_11target_archE908ELNS1_3gpuE7ELNS1_3repE0EEENS1_30default_config_static_selectorELNS0_4arch9wavefront6targetE0EEEvT1_.has_indirect_call, 0
	.section	.AMDGPU.csdata,"",@progbits
; Kernel info:
; codeLenInByte = 0
; TotalNumSgprs: 0
; NumVgprs: 0
; ScratchSize: 0
; MemoryBound: 0
; FloatMode: 240
; IeeeMode: 1
; LDSByteSize: 0 bytes/workgroup (compile time only)
; SGPRBlocks: 0
; VGPRBlocks: 0
; NumSGPRsForWavesPerEU: 1
; NumVGPRsForWavesPerEU: 1
; Occupancy: 16
; WaveLimiterHint : 0
; COMPUTE_PGM_RSRC2:SCRATCH_EN: 0
; COMPUTE_PGM_RSRC2:USER_SGPR: 2
; COMPUTE_PGM_RSRC2:TRAP_HANDLER: 0
; COMPUTE_PGM_RSRC2:TGID_X_EN: 1
; COMPUTE_PGM_RSRC2:TGID_Y_EN: 0
; COMPUTE_PGM_RSRC2:TGID_Z_EN: 0
; COMPUTE_PGM_RSRC2:TIDIG_COMP_CNT: 0
	.section	.text._ZN7rocprim17ROCPRIM_400000_NS6detail17trampoline_kernelINS0_14default_configENS1_25partition_config_selectorILNS1_17partition_subalgoE6EN6thrust23THRUST_200600_302600_NS5tupleIjjNS7_9null_typeES9_S9_S9_S9_S9_S9_S9_EENS0_10empty_typeEbEEZZNS1_14partition_implILS5_6ELb0ES3_mNS7_12zip_iteratorINS8_INS7_6detail15normal_iteratorINS7_10device_ptrIjEEEESJ_S9_S9_S9_S9_S9_S9_S9_S9_EEEEPSB_SM_NS0_5tupleIJNSE_INS8_ISJ_NS7_16discard_iteratorINS7_11use_defaultEEES9_S9_S9_S9_S9_S9_S9_S9_EEEESB_EEENSN_IJSM_SM_EEESB_PlJNSF_9not_fun_tINSF_14equal_to_valueISA_EEEEEEE10hipError_tPvRmT3_T4_T5_T6_T7_T9_mT8_P12ihipStream_tbDpT10_ENKUlT_T0_E_clISt17integral_constantIbLb1EES1I_IbLb0EEEEDaS1E_S1F_EUlS1E_E_NS1_11comp_targetILNS1_3genE2ELNS1_11target_archE906ELNS1_3gpuE6ELNS1_3repE0EEENS1_30default_config_static_selectorELNS0_4arch9wavefront6targetE0EEEvT1_,"axG",@progbits,_ZN7rocprim17ROCPRIM_400000_NS6detail17trampoline_kernelINS0_14default_configENS1_25partition_config_selectorILNS1_17partition_subalgoE6EN6thrust23THRUST_200600_302600_NS5tupleIjjNS7_9null_typeES9_S9_S9_S9_S9_S9_S9_EENS0_10empty_typeEbEEZZNS1_14partition_implILS5_6ELb0ES3_mNS7_12zip_iteratorINS8_INS7_6detail15normal_iteratorINS7_10device_ptrIjEEEESJ_S9_S9_S9_S9_S9_S9_S9_S9_EEEEPSB_SM_NS0_5tupleIJNSE_INS8_ISJ_NS7_16discard_iteratorINS7_11use_defaultEEES9_S9_S9_S9_S9_S9_S9_S9_EEEESB_EEENSN_IJSM_SM_EEESB_PlJNSF_9not_fun_tINSF_14equal_to_valueISA_EEEEEEE10hipError_tPvRmT3_T4_T5_T6_T7_T9_mT8_P12ihipStream_tbDpT10_ENKUlT_T0_E_clISt17integral_constantIbLb1EES1I_IbLb0EEEEDaS1E_S1F_EUlS1E_E_NS1_11comp_targetILNS1_3genE2ELNS1_11target_archE906ELNS1_3gpuE6ELNS1_3repE0EEENS1_30default_config_static_selectorELNS0_4arch9wavefront6targetE0EEEvT1_,comdat
	.protected	_ZN7rocprim17ROCPRIM_400000_NS6detail17trampoline_kernelINS0_14default_configENS1_25partition_config_selectorILNS1_17partition_subalgoE6EN6thrust23THRUST_200600_302600_NS5tupleIjjNS7_9null_typeES9_S9_S9_S9_S9_S9_S9_EENS0_10empty_typeEbEEZZNS1_14partition_implILS5_6ELb0ES3_mNS7_12zip_iteratorINS8_INS7_6detail15normal_iteratorINS7_10device_ptrIjEEEESJ_S9_S9_S9_S9_S9_S9_S9_S9_EEEEPSB_SM_NS0_5tupleIJNSE_INS8_ISJ_NS7_16discard_iteratorINS7_11use_defaultEEES9_S9_S9_S9_S9_S9_S9_S9_EEEESB_EEENSN_IJSM_SM_EEESB_PlJNSF_9not_fun_tINSF_14equal_to_valueISA_EEEEEEE10hipError_tPvRmT3_T4_T5_T6_T7_T9_mT8_P12ihipStream_tbDpT10_ENKUlT_T0_E_clISt17integral_constantIbLb1EES1I_IbLb0EEEEDaS1E_S1F_EUlS1E_E_NS1_11comp_targetILNS1_3genE2ELNS1_11target_archE906ELNS1_3gpuE6ELNS1_3repE0EEENS1_30default_config_static_selectorELNS0_4arch9wavefront6targetE0EEEvT1_ ; -- Begin function _ZN7rocprim17ROCPRIM_400000_NS6detail17trampoline_kernelINS0_14default_configENS1_25partition_config_selectorILNS1_17partition_subalgoE6EN6thrust23THRUST_200600_302600_NS5tupleIjjNS7_9null_typeES9_S9_S9_S9_S9_S9_S9_EENS0_10empty_typeEbEEZZNS1_14partition_implILS5_6ELb0ES3_mNS7_12zip_iteratorINS8_INS7_6detail15normal_iteratorINS7_10device_ptrIjEEEESJ_S9_S9_S9_S9_S9_S9_S9_S9_EEEEPSB_SM_NS0_5tupleIJNSE_INS8_ISJ_NS7_16discard_iteratorINS7_11use_defaultEEES9_S9_S9_S9_S9_S9_S9_S9_EEEESB_EEENSN_IJSM_SM_EEESB_PlJNSF_9not_fun_tINSF_14equal_to_valueISA_EEEEEEE10hipError_tPvRmT3_T4_T5_T6_T7_T9_mT8_P12ihipStream_tbDpT10_ENKUlT_T0_E_clISt17integral_constantIbLb1EES1I_IbLb0EEEEDaS1E_S1F_EUlS1E_E_NS1_11comp_targetILNS1_3genE2ELNS1_11target_archE906ELNS1_3gpuE6ELNS1_3repE0EEENS1_30default_config_static_selectorELNS0_4arch9wavefront6targetE0EEEvT1_
	.globl	_ZN7rocprim17ROCPRIM_400000_NS6detail17trampoline_kernelINS0_14default_configENS1_25partition_config_selectorILNS1_17partition_subalgoE6EN6thrust23THRUST_200600_302600_NS5tupleIjjNS7_9null_typeES9_S9_S9_S9_S9_S9_S9_EENS0_10empty_typeEbEEZZNS1_14partition_implILS5_6ELb0ES3_mNS7_12zip_iteratorINS8_INS7_6detail15normal_iteratorINS7_10device_ptrIjEEEESJ_S9_S9_S9_S9_S9_S9_S9_S9_EEEEPSB_SM_NS0_5tupleIJNSE_INS8_ISJ_NS7_16discard_iteratorINS7_11use_defaultEEES9_S9_S9_S9_S9_S9_S9_S9_EEEESB_EEENSN_IJSM_SM_EEESB_PlJNSF_9not_fun_tINSF_14equal_to_valueISA_EEEEEEE10hipError_tPvRmT3_T4_T5_T6_T7_T9_mT8_P12ihipStream_tbDpT10_ENKUlT_T0_E_clISt17integral_constantIbLb1EES1I_IbLb0EEEEDaS1E_S1F_EUlS1E_E_NS1_11comp_targetILNS1_3genE2ELNS1_11target_archE906ELNS1_3gpuE6ELNS1_3repE0EEENS1_30default_config_static_selectorELNS0_4arch9wavefront6targetE0EEEvT1_
	.p2align	8
	.type	_ZN7rocprim17ROCPRIM_400000_NS6detail17trampoline_kernelINS0_14default_configENS1_25partition_config_selectorILNS1_17partition_subalgoE6EN6thrust23THRUST_200600_302600_NS5tupleIjjNS7_9null_typeES9_S9_S9_S9_S9_S9_S9_EENS0_10empty_typeEbEEZZNS1_14partition_implILS5_6ELb0ES3_mNS7_12zip_iteratorINS8_INS7_6detail15normal_iteratorINS7_10device_ptrIjEEEESJ_S9_S9_S9_S9_S9_S9_S9_S9_EEEEPSB_SM_NS0_5tupleIJNSE_INS8_ISJ_NS7_16discard_iteratorINS7_11use_defaultEEES9_S9_S9_S9_S9_S9_S9_S9_EEEESB_EEENSN_IJSM_SM_EEESB_PlJNSF_9not_fun_tINSF_14equal_to_valueISA_EEEEEEE10hipError_tPvRmT3_T4_T5_T6_T7_T9_mT8_P12ihipStream_tbDpT10_ENKUlT_T0_E_clISt17integral_constantIbLb1EES1I_IbLb0EEEEDaS1E_S1F_EUlS1E_E_NS1_11comp_targetILNS1_3genE2ELNS1_11target_archE906ELNS1_3gpuE6ELNS1_3repE0EEENS1_30default_config_static_selectorELNS0_4arch9wavefront6targetE0EEEvT1_,@function
_ZN7rocprim17ROCPRIM_400000_NS6detail17trampoline_kernelINS0_14default_configENS1_25partition_config_selectorILNS1_17partition_subalgoE6EN6thrust23THRUST_200600_302600_NS5tupleIjjNS7_9null_typeES9_S9_S9_S9_S9_S9_S9_EENS0_10empty_typeEbEEZZNS1_14partition_implILS5_6ELb0ES3_mNS7_12zip_iteratorINS8_INS7_6detail15normal_iteratorINS7_10device_ptrIjEEEESJ_S9_S9_S9_S9_S9_S9_S9_S9_EEEEPSB_SM_NS0_5tupleIJNSE_INS8_ISJ_NS7_16discard_iteratorINS7_11use_defaultEEES9_S9_S9_S9_S9_S9_S9_S9_EEEESB_EEENSN_IJSM_SM_EEESB_PlJNSF_9not_fun_tINSF_14equal_to_valueISA_EEEEEEE10hipError_tPvRmT3_T4_T5_T6_T7_T9_mT8_P12ihipStream_tbDpT10_ENKUlT_T0_E_clISt17integral_constantIbLb1EES1I_IbLb0EEEEDaS1E_S1F_EUlS1E_E_NS1_11comp_targetILNS1_3genE2ELNS1_11target_archE906ELNS1_3gpuE6ELNS1_3repE0EEENS1_30default_config_static_selectorELNS0_4arch9wavefront6targetE0EEEvT1_: ; @_ZN7rocprim17ROCPRIM_400000_NS6detail17trampoline_kernelINS0_14default_configENS1_25partition_config_selectorILNS1_17partition_subalgoE6EN6thrust23THRUST_200600_302600_NS5tupleIjjNS7_9null_typeES9_S9_S9_S9_S9_S9_S9_EENS0_10empty_typeEbEEZZNS1_14partition_implILS5_6ELb0ES3_mNS7_12zip_iteratorINS8_INS7_6detail15normal_iteratorINS7_10device_ptrIjEEEESJ_S9_S9_S9_S9_S9_S9_S9_S9_EEEEPSB_SM_NS0_5tupleIJNSE_INS8_ISJ_NS7_16discard_iteratorINS7_11use_defaultEEES9_S9_S9_S9_S9_S9_S9_S9_EEEESB_EEENSN_IJSM_SM_EEESB_PlJNSF_9not_fun_tINSF_14equal_to_valueISA_EEEEEEE10hipError_tPvRmT3_T4_T5_T6_T7_T9_mT8_P12ihipStream_tbDpT10_ENKUlT_T0_E_clISt17integral_constantIbLb1EES1I_IbLb0EEEEDaS1E_S1F_EUlS1E_E_NS1_11comp_targetILNS1_3genE2ELNS1_11target_archE906ELNS1_3gpuE6ELNS1_3repE0EEENS1_30default_config_static_selectorELNS0_4arch9wavefront6targetE0EEEvT1_
; %bb.0:
	.section	.rodata,"a",@progbits
	.p2align	6, 0x0
	.amdhsa_kernel _ZN7rocprim17ROCPRIM_400000_NS6detail17trampoline_kernelINS0_14default_configENS1_25partition_config_selectorILNS1_17partition_subalgoE6EN6thrust23THRUST_200600_302600_NS5tupleIjjNS7_9null_typeES9_S9_S9_S9_S9_S9_S9_EENS0_10empty_typeEbEEZZNS1_14partition_implILS5_6ELb0ES3_mNS7_12zip_iteratorINS8_INS7_6detail15normal_iteratorINS7_10device_ptrIjEEEESJ_S9_S9_S9_S9_S9_S9_S9_S9_EEEEPSB_SM_NS0_5tupleIJNSE_INS8_ISJ_NS7_16discard_iteratorINS7_11use_defaultEEES9_S9_S9_S9_S9_S9_S9_S9_EEEESB_EEENSN_IJSM_SM_EEESB_PlJNSF_9not_fun_tINSF_14equal_to_valueISA_EEEEEEE10hipError_tPvRmT3_T4_T5_T6_T7_T9_mT8_P12ihipStream_tbDpT10_ENKUlT_T0_E_clISt17integral_constantIbLb1EES1I_IbLb0EEEEDaS1E_S1F_EUlS1E_E_NS1_11comp_targetILNS1_3genE2ELNS1_11target_archE906ELNS1_3gpuE6ELNS1_3repE0EEENS1_30default_config_static_selectorELNS0_4arch9wavefront6targetE0EEEvT1_
		.amdhsa_group_segment_fixed_size 0
		.amdhsa_private_segment_fixed_size 0
		.amdhsa_kernarg_size 144
		.amdhsa_user_sgpr_count 2
		.amdhsa_user_sgpr_dispatch_ptr 0
		.amdhsa_user_sgpr_queue_ptr 0
		.amdhsa_user_sgpr_kernarg_segment_ptr 1
		.amdhsa_user_sgpr_dispatch_id 0
		.amdhsa_user_sgpr_private_segment_size 0
		.amdhsa_wavefront_size32 1
		.amdhsa_uses_dynamic_stack 0
		.amdhsa_enable_private_segment 0
		.amdhsa_system_sgpr_workgroup_id_x 1
		.amdhsa_system_sgpr_workgroup_id_y 0
		.amdhsa_system_sgpr_workgroup_id_z 0
		.amdhsa_system_sgpr_workgroup_info 0
		.amdhsa_system_vgpr_workitem_id 0
		.amdhsa_next_free_vgpr 1
		.amdhsa_next_free_sgpr 1
		.amdhsa_reserve_vcc 0
		.amdhsa_float_round_mode_32 0
		.amdhsa_float_round_mode_16_64 0
		.amdhsa_float_denorm_mode_32 3
		.amdhsa_float_denorm_mode_16_64 3
		.amdhsa_fp16_overflow 0
		.amdhsa_workgroup_processor_mode 1
		.amdhsa_memory_ordered 1
		.amdhsa_forward_progress 1
		.amdhsa_inst_pref_size 0
		.amdhsa_round_robin_scheduling 0
		.amdhsa_exception_fp_ieee_invalid_op 0
		.amdhsa_exception_fp_denorm_src 0
		.amdhsa_exception_fp_ieee_div_zero 0
		.amdhsa_exception_fp_ieee_overflow 0
		.amdhsa_exception_fp_ieee_underflow 0
		.amdhsa_exception_fp_ieee_inexact 0
		.amdhsa_exception_int_div_zero 0
	.end_amdhsa_kernel
	.section	.text._ZN7rocprim17ROCPRIM_400000_NS6detail17trampoline_kernelINS0_14default_configENS1_25partition_config_selectorILNS1_17partition_subalgoE6EN6thrust23THRUST_200600_302600_NS5tupleIjjNS7_9null_typeES9_S9_S9_S9_S9_S9_S9_EENS0_10empty_typeEbEEZZNS1_14partition_implILS5_6ELb0ES3_mNS7_12zip_iteratorINS8_INS7_6detail15normal_iteratorINS7_10device_ptrIjEEEESJ_S9_S9_S9_S9_S9_S9_S9_S9_EEEEPSB_SM_NS0_5tupleIJNSE_INS8_ISJ_NS7_16discard_iteratorINS7_11use_defaultEEES9_S9_S9_S9_S9_S9_S9_S9_EEEESB_EEENSN_IJSM_SM_EEESB_PlJNSF_9not_fun_tINSF_14equal_to_valueISA_EEEEEEE10hipError_tPvRmT3_T4_T5_T6_T7_T9_mT8_P12ihipStream_tbDpT10_ENKUlT_T0_E_clISt17integral_constantIbLb1EES1I_IbLb0EEEEDaS1E_S1F_EUlS1E_E_NS1_11comp_targetILNS1_3genE2ELNS1_11target_archE906ELNS1_3gpuE6ELNS1_3repE0EEENS1_30default_config_static_selectorELNS0_4arch9wavefront6targetE0EEEvT1_,"axG",@progbits,_ZN7rocprim17ROCPRIM_400000_NS6detail17trampoline_kernelINS0_14default_configENS1_25partition_config_selectorILNS1_17partition_subalgoE6EN6thrust23THRUST_200600_302600_NS5tupleIjjNS7_9null_typeES9_S9_S9_S9_S9_S9_S9_EENS0_10empty_typeEbEEZZNS1_14partition_implILS5_6ELb0ES3_mNS7_12zip_iteratorINS8_INS7_6detail15normal_iteratorINS7_10device_ptrIjEEEESJ_S9_S9_S9_S9_S9_S9_S9_S9_EEEEPSB_SM_NS0_5tupleIJNSE_INS8_ISJ_NS7_16discard_iteratorINS7_11use_defaultEEES9_S9_S9_S9_S9_S9_S9_S9_EEEESB_EEENSN_IJSM_SM_EEESB_PlJNSF_9not_fun_tINSF_14equal_to_valueISA_EEEEEEE10hipError_tPvRmT3_T4_T5_T6_T7_T9_mT8_P12ihipStream_tbDpT10_ENKUlT_T0_E_clISt17integral_constantIbLb1EES1I_IbLb0EEEEDaS1E_S1F_EUlS1E_E_NS1_11comp_targetILNS1_3genE2ELNS1_11target_archE906ELNS1_3gpuE6ELNS1_3repE0EEENS1_30default_config_static_selectorELNS0_4arch9wavefront6targetE0EEEvT1_,comdat
.Lfunc_end1937:
	.size	_ZN7rocprim17ROCPRIM_400000_NS6detail17trampoline_kernelINS0_14default_configENS1_25partition_config_selectorILNS1_17partition_subalgoE6EN6thrust23THRUST_200600_302600_NS5tupleIjjNS7_9null_typeES9_S9_S9_S9_S9_S9_S9_EENS0_10empty_typeEbEEZZNS1_14partition_implILS5_6ELb0ES3_mNS7_12zip_iteratorINS8_INS7_6detail15normal_iteratorINS7_10device_ptrIjEEEESJ_S9_S9_S9_S9_S9_S9_S9_S9_EEEEPSB_SM_NS0_5tupleIJNSE_INS8_ISJ_NS7_16discard_iteratorINS7_11use_defaultEEES9_S9_S9_S9_S9_S9_S9_S9_EEEESB_EEENSN_IJSM_SM_EEESB_PlJNSF_9not_fun_tINSF_14equal_to_valueISA_EEEEEEE10hipError_tPvRmT3_T4_T5_T6_T7_T9_mT8_P12ihipStream_tbDpT10_ENKUlT_T0_E_clISt17integral_constantIbLb1EES1I_IbLb0EEEEDaS1E_S1F_EUlS1E_E_NS1_11comp_targetILNS1_3genE2ELNS1_11target_archE906ELNS1_3gpuE6ELNS1_3repE0EEENS1_30default_config_static_selectorELNS0_4arch9wavefront6targetE0EEEvT1_, .Lfunc_end1937-_ZN7rocprim17ROCPRIM_400000_NS6detail17trampoline_kernelINS0_14default_configENS1_25partition_config_selectorILNS1_17partition_subalgoE6EN6thrust23THRUST_200600_302600_NS5tupleIjjNS7_9null_typeES9_S9_S9_S9_S9_S9_S9_EENS0_10empty_typeEbEEZZNS1_14partition_implILS5_6ELb0ES3_mNS7_12zip_iteratorINS8_INS7_6detail15normal_iteratorINS7_10device_ptrIjEEEESJ_S9_S9_S9_S9_S9_S9_S9_S9_EEEEPSB_SM_NS0_5tupleIJNSE_INS8_ISJ_NS7_16discard_iteratorINS7_11use_defaultEEES9_S9_S9_S9_S9_S9_S9_S9_EEEESB_EEENSN_IJSM_SM_EEESB_PlJNSF_9not_fun_tINSF_14equal_to_valueISA_EEEEEEE10hipError_tPvRmT3_T4_T5_T6_T7_T9_mT8_P12ihipStream_tbDpT10_ENKUlT_T0_E_clISt17integral_constantIbLb1EES1I_IbLb0EEEEDaS1E_S1F_EUlS1E_E_NS1_11comp_targetILNS1_3genE2ELNS1_11target_archE906ELNS1_3gpuE6ELNS1_3repE0EEENS1_30default_config_static_selectorELNS0_4arch9wavefront6targetE0EEEvT1_
                                        ; -- End function
	.set _ZN7rocprim17ROCPRIM_400000_NS6detail17trampoline_kernelINS0_14default_configENS1_25partition_config_selectorILNS1_17partition_subalgoE6EN6thrust23THRUST_200600_302600_NS5tupleIjjNS7_9null_typeES9_S9_S9_S9_S9_S9_S9_EENS0_10empty_typeEbEEZZNS1_14partition_implILS5_6ELb0ES3_mNS7_12zip_iteratorINS8_INS7_6detail15normal_iteratorINS7_10device_ptrIjEEEESJ_S9_S9_S9_S9_S9_S9_S9_S9_EEEEPSB_SM_NS0_5tupleIJNSE_INS8_ISJ_NS7_16discard_iteratorINS7_11use_defaultEEES9_S9_S9_S9_S9_S9_S9_S9_EEEESB_EEENSN_IJSM_SM_EEESB_PlJNSF_9not_fun_tINSF_14equal_to_valueISA_EEEEEEE10hipError_tPvRmT3_T4_T5_T6_T7_T9_mT8_P12ihipStream_tbDpT10_ENKUlT_T0_E_clISt17integral_constantIbLb1EES1I_IbLb0EEEEDaS1E_S1F_EUlS1E_E_NS1_11comp_targetILNS1_3genE2ELNS1_11target_archE906ELNS1_3gpuE6ELNS1_3repE0EEENS1_30default_config_static_selectorELNS0_4arch9wavefront6targetE0EEEvT1_.num_vgpr, 0
	.set _ZN7rocprim17ROCPRIM_400000_NS6detail17trampoline_kernelINS0_14default_configENS1_25partition_config_selectorILNS1_17partition_subalgoE6EN6thrust23THRUST_200600_302600_NS5tupleIjjNS7_9null_typeES9_S9_S9_S9_S9_S9_S9_EENS0_10empty_typeEbEEZZNS1_14partition_implILS5_6ELb0ES3_mNS7_12zip_iteratorINS8_INS7_6detail15normal_iteratorINS7_10device_ptrIjEEEESJ_S9_S9_S9_S9_S9_S9_S9_S9_EEEEPSB_SM_NS0_5tupleIJNSE_INS8_ISJ_NS7_16discard_iteratorINS7_11use_defaultEEES9_S9_S9_S9_S9_S9_S9_S9_EEEESB_EEENSN_IJSM_SM_EEESB_PlJNSF_9not_fun_tINSF_14equal_to_valueISA_EEEEEEE10hipError_tPvRmT3_T4_T5_T6_T7_T9_mT8_P12ihipStream_tbDpT10_ENKUlT_T0_E_clISt17integral_constantIbLb1EES1I_IbLb0EEEEDaS1E_S1F_EUlS1E_E_NS1_11comp_targetILNS1_3genE2ELNS1_11target_archE906ELNS1_3gpuE6ELNS1_3repE0EEENS1_30default_config_static_selectorELNS0_4arch9wavefront6targetE0EEEvT1_.num_agpr, 0
	.set _ZN7rocprim17ROCPRIM_400000_NS6detail17trampoline_kernelINS0_14default_configENS1_25partition_config_selectorILNS1_17partition_subalgoE6EN6thrust23THRUST_200600_302600_NS5tupleIjjNS7_9null_typeES9_S9_S9_S9_S9_S9_S9_EENS0_10empty_typeEbEEZZNS1_14partition_implILS5_6ELb0ES3_mNS7_12zip_iteratorINS8_INS7_6detail15normal_iteratorINS7_10device_ptrIjEEEESJ_S9_S9_S9_S9_S9_S9_S9_S9_EEEEPSB_SM_NS0_5tupleIJNSE_INS8_ISJ_NS7_16discard_iteratorINS7_11use_defaultEEES9_S9_S9_S9_S9_S9_S9_S9_EEEESB_EEENSN_IJSM_SM_EEESB_PlJNSF_9not_fun_tINSF_14equal_to_valueISA_EEEEEEE10hipError_tPvRmT3_T4_T5_T6_T7_T9_mT8_P12ihipStream_tbDpT10_ENKUlT_T0_E_clISt17integral_constantIbLb1EES1I_IbLb0EEEEDaS1E_S1F_EUlS1E_E_NS1_11comp_targetILNS1_3genE2ELNS1_11target_archE906ELNS1_3gpuE6ELNS1_3repE0EEENS1_30default_config_static_selectorELNS0_4arch9wavefront6targetE0EEEvT1_.numbered_sgpr, 0
	.set _ZN7rocprim17ROCPRIM_400000_NS6detail17trampoline_kernelINS0_14default_configENS1_25partition_config_selectorILNS1_17partition_subalgoE6EN6thrust23THRUST_200600_302600_NS5tupleIjjNS7_9null_typeES9_S9_S9_S9_S9_S9_S9_EENS0_10empty_typeEbEEZZNS1_14partition_implILS5_6ELb0ES3_mNS7_12zip_iteratorINS8_INS7_6detail15normal_iteratorINS7_10device_ptrIjEEEESJ_S9_S9_S9_S9_S9_S9_S9_S9_EEEEPSB_SM_NS0_5tupleIJNSE_INS8_ISJ_NS7_16discard_iteratorINS7_11use_defaultEEES9_S9_S9_S9_S9_S9_S9_S9_EEEESB_EEENSN_IJSM_SM_EEESB_PlJNSF_9not_fun_tINSF_14equal_to_valueISA_EEEEEEE10hipError_tPvRmT3_T4_T5_T6_T7_T9_mT8_P12ihipStream_tbDpT10_ENKUlT_T0_E_clISt17integral_constantIbLb1EES1I_IbLb0EEEEDaS1E_S1F_EUlS1E_E_NS1_11comp_targetILNS1_3genE2ELNS1_11target_archE906ELNS1_3gpuE6ELNS1_3repE0EEENS1_30default_config_static_selectorELNS0_4arch9wavefront6targetE0EEEvT1_.num_named_barrier, 0
	.set _ZN7rocprim17ROCPRIM_400000_NS6detail17trampoline_kernelINS0_14default_configENS1_25partition_config_selectorILNS1_17partition_subalgoE6EN6thrust23THRUST_200600_302600_NS5tupleIjjNS7_9null_typeES9_S9_S9_S9_S9_S9_S9_EENS0_10empty_typeEbEEZZNS1_14partition_implILS5_6ELb0ES3_mNS7_12zip_iteratorINS8_INS7_6detail15normal_iteratorINS7_10device_ptrIjEEEESJ_S9_S9_S9_S9_S9_S9_S9_S9_EEEEPSB_SM_NS0_5tupleIJNSE_INS8_ISJ_NS7_16discard_iteratorINS7_11use_defaultEEES9_S9_S9_S9_S9_S9_S9_S9_EEEESB_EEENSN_IJSM_SM_EEESB_PlJNSF_9not_fun_tINSF_14equal_to_valueISA_EEEEEEE10hipError_tPvRmT3_T4_T5_T6_T7_T9_mT8_P12ihipStream_tbDpT10_ENKUlT_T0_E_clISt17integral_constantIbLb1EES1I_IbLb0EEEEDaS1E_S1F_EUlS1E_E_NS1_11comp_targetILNS1_3genE2ELNS1_11target_archE906ELNS1_3gpuE6ELNS1_3repE0EEENS1_30default_config_static_selectorELNS0_4arch9wavefront6targetE0EEEvT1_.private_seg_size, 0
	.set _ZN7rocprim17ROCPRIM_400000_NS6detail17trampoline_kernelINS0_14default_configENS1_25partition_config_selectorILNS1_17partition_subalgoE6EN6thrust23THRUST_200600_302600_NS5tupleIjjNS7_9null_typeES9_S9_S9_S9_S9_S9_S9_EENS0_10empty_typeEbEEZZNS1_14partition_implILS5_6ELb0ES3_mNS7_12zip_iteratorINS8_INS7_6detail15normal_iteratorINS7_10device_ptrIjEEEESJ_S9_S9_S9_S9_S9_S9_S9_S9_EEEEPSB_SM_NS0_5tupleIJNSE_INS8_ISJ_NS7_16discard_iteratorINS7_11use_defaultEEES9_S9_S9_S9_S9_S9_S9_S9_EEEESB_EEENSN_IJSM_SM_EEESB_PlJNSF_9not_fun_tINSF_14equal_to_valueISA_EEEEEEE10hipError_tPvRmT3_T4_T5_T6_T7_T9_mT8_P12ihipStream_tbDpT10_ENKUlT_T0_E_clISt17integral_constantIbLb1EES1I_IbLb0EEEEDaS1E_S1F_EUlS1E_E_NS1_11comp_targetILNS1_3genE2ELNS1_11target_archE906ELNS1_3gpuE6ELNS1_3repE0EEENS1_30default_config_static_selectorELNS0_4arch9wavefront6targetE0EEEvT1_.uses_vcc, 0
	.set _ZN7rocprim17ROCPRIM_400000_NS6detail17trampoline_kernelINS0_14default_configENS1_25partition_config_selectorILNS1_17partition_subalgoE6EN6thrust23THRUST_200600_302600_NS5tupleIjjNS7_9null_typeES9_S9_S9_S9_S9_S9_S9_EENS0_10empty_typeEbEEZZNS1_14partition_implILS5_6ELb0ES3_mNS7_12zip_iteratorINS8_INS7_6detail15normal_iteratorINS7_10device_ptrIjEEEESJ_S9_S9_S9_S9_S9_S9_S9_S9_EEEEPSB_SM_NS0_5tupleIJNSE_INS8_ISJ_NS7_16discard_iteratorINS7_11use_defaultEEES9_S9_S9_S9_S9_S9_S9_S9_EEEESB_EEENSN_IJSM_SM_EEESB_PlJNSF_9not_fun_tINSF_14equal_to_valueISA_EEEEEEE10hipError_tPvRmT3_T4_T5_T6_T7_T9_mT8_P12ihipStream_tbDpT10_ENKUlT_T0_E_clISt17integral_constantIbLb1EES1I_IbLb0EEEEDaS1E_S1F_EUlS1E_E_NS1_11comp_targetILNS1_3genE2ELNS1_11target_archE906ELNS1_3gpuE6ELNS1_3repE0EEENS1_30default_config_static_selectorELNS0_4arch9wavefront6targetE0EEEvT1_.uses_flat_scratch, 0
	.set _ZN7rocprim17ROCPRIM_400000_NS6detail17trampoline_kernelINS0_14default_configENS1_25partition_config_selectorILNS1_17partition_subalgoE6EN6thrust23THRUST_200600_302600_NS5tupleIjjNS7_9null_typeES9_S9_S9_S9_S9_S9_S9_EENS0_10empty_typeEbEEZZNS1_14partition_implILS5_6ELb0ES3_mNS7_12zip_iteratorINS8_INS7_6detail15normal_iteratorINS7_10device_ptrIjEEEESJ_S9_S9_S9_S9_S9_S9_S9_S9_EEEEPSB_SM_NS0_5tupleIJNSE_INS8_ISJ_NS7_16discard_iteratorINS7_11use_defaultEEES9_S9_S9_S9_S9_S9_S9_S9_EEEESB_EEENSN_IJSM_SM_EEESB_PlJNSF_9not_fun_tINSF_14equal_to_valueISA_EEEEEEE10hipError_tPvRmT3_T4_T5_T6_T7_T9_mT8_P12ihipStream_tbDpT10_ENKUlT_T0_E_clISt17integral_constantIbLb1EES1I_IbLb0EEEEDaS1E_S1F_EUlS1E_E_NS1_11comp_targetILNS1_3genE2ELNS1_11target_archE906ELNS1_3gpuE6ELNS1_3repE0EEENS1_30default_config_static_selectorELNS0_4arch9wavefront6targetE0EEEvT1_.has_dyn_sized_stack, 0
	.set _ZN7rocprim17ROCPRIM_400000_NS6detail17trampoline_kernelINS0_14default_configENS1_25partition_config_selectorILNS1_17partition_subalgoE6EN6thrust23THRUST_200600_302600_NS5tupleIjjNS7_9null_typeES9_S9_S9_S9_S9_S9_S9_EENS0_10empty_typeEbEEZZNS1_14partition_implILS5_6ELb0ES3_mNS7_12zip_iteratorINS8_INS7_6detail15normal_iteratorINS7_10device_ptrIjEEEESJ_S9_S9_S9_S9_S9_S9_S9_S9_EEEEPSB_SM_NS0_5tupleIJNSE_INS8_ISJ_NS7_16discard_iteratorINS7_11use_defaultEEES9_S9_S9_S9_S9_S9_S9_S9_EEEESB_EEENSN_IJSM_SM_EEESB_PlJNSF_9not_fun_tINSF_14equal_to_valueISA_EEEEEEE10hipError_tPvRmT3_T4_T5_T6_T7_T9_mT8_P12ihipStream_tbDpT10_ENKUlT_T0_E_clISt17integral_constantIbLb1EES1I_IbLb0EEEEDaS1E_S1F_EUlS1E_E_NS1_11comp_targetILNS1_3genE2ELNS1_11target_archE906ELNS1_3gpuE6ELNS1_3repE0EEENS1_30default_config_static_selectorELNS0_4arch9wavefront6targetE0EEEvT1_.has_recursion, 0
	.set _ZN7rocprim17ROCPRIM_400000_NS6detail17trampoline_kernelINS0_14default_configENS1_25partition_config_selectorILNS1_17partition_subalgoE6EN6thrust23THRUST_200600_302600_NS5tupleIjjNS7_9null_typeES9_S9_S9_S9_S9_S9_S9_EENS0_10empty_typeEbEEZZNS1_14partition_implILS5_6ELb0ES3_mNS7_12zip_iteratorINS8_INS7_6detail15normal_iteratorINS7_10device_ptrIjEEEESJ_S9_S9_S9_S9_S9_S9_S9_S9_EEEEPSB_SM_NS0_5tupleIJNSE_INS8_ISJ_NS7_16discard_iteratorINS7_11use_defaultEEES9_S9_S9_S9_S9_S9_S9_S9_EEEESB_EEENSN_IJSM_SM_EEESB_PlJNSF_9not_fun_tINSF_14equal_to_valueISA_EEEEEEE10hipError_tPvRmT3_T4_T5_T6_T7_T9_mT8_P12ihipStream_tbDpT10_ENKUlT_T0_E_clISt17integral_constantIbLb1EES1I_IbLb0EEEEDaS1E_S1F_EUlS1E_E_NS1_11comp_targetILNS1_3genE2ELNS1_11target_archE906ELNS1_3gpuE6ELNS1_3repE0EEENS1_30default_config_static_selectorELNS0_4arch9wavefront6targetE0EEEvT1_.has_indirect_call, 0
	.section	.AMDGPU.csdata,"",@progbits
; Kernel info:
; codeLenInByte = 0
; TotalNumSgprs: 0
; NumVgprs: 0
; ScratchSize: 0
; MemoryBound: 0
; FloatMode: 240
; IeeeMode: 1
; LDSByteSize: 0 bytes/workgroup (compile time only)
; SGPRBlocks: 0
; VGPRBlocks: 0
; NumSGPRsForWavesPerEU: 1
; NumVGPRsForWavesPerEU: 1
; Occupancy: 16
; WaveLimiterHint : 0
; COMPUTE_PGM_RSRC2:SCRATCH_EN: 0
; COMPUTE_PGM_RSRC2:USER_SGPR: 2
; COMPUTE_PGM_RSRC2:TRAP_HANDLER: 0
; COMPUTE_PGM_RSRC2:TGID_X_EN: 1
; COMPUTE_PGM_RSRC2:TGID_Y_EN: 0
; COMPUTE_PGM_RSRC2:TGID_Z_EN: 0
; COMPUTE_PGM_RSRC2:TIDIG_COMP_CNT: 0
	.section	.text._ZN7rocprim17ROCPRIM_400000_NS6detail17trampoline_kernelINS0_14default_configENS1_25partition_config_selectorILNS1_17partition_subalgoE6EN6thrust23THRUST_200600_302600_NS5tupleIjjNS7_9null_typeES9_S9_S9_S9_S9_S9_S9_EENS0_10empty_typeEbEEZZNS1_14partition_implILS5_6ELb0ES3_mNS7_12zip_iteratorINS8_INS7_6detail15normal_iteratorINS7_10device_ptrIjEEEESJ_S9_S9_S9_S9_S9_S9_S9_S9_EEEEPSB_SM_NS0_5tupleIJNSE_INS8_ISJ_NS7_16discard_iteratorINS7_11use_defaultEEES9_S9_S9_S9_S9_S9_S9_S9_EEEESB_EEENSN_IJSM_SM_EEESB_PlJNSF_9not_fun_tINSF_14equal_to_valueISA_EEEEEEE10hipError_tPvRmT3_T4_T5_T6_T7_T9_mT8_P12ihipStream_tbDpT10_ENKUlT_T0_E_clISt17integral_constantIbLb1EES1I_IbLb0EEEEDaS1E_S1F_EUlS1E_E_NS1_11comp_targetILNS1_3genE10ELNS1_11target_archE1200ELNS1_3gpuE4ELNS1_3repE0EEENS1_30default_config_static_selectorELNS0_4arch9wavefront6targetE0EEEvT1_,"axG",@progbits,_ZN7rocprim17ROCPRIM_400000_NS6detail17trampoline_kernelINS0_14default_configENS1_25partition_config_selectorILNS1_17partition_subalgoE6EN6thrust23THRUST_200600_302600_NS5tupleIjjNS7_9null_typeES9_S9_S9_S9_S9_S9_S9_EENS0_10empty_typeEbEEZZNS1_14partition_implILS5_6ELb0ES3_mNS7_12zip_iteratorINS8_INS7_6detail15normal_iteratorINS7_10device_ptrIjEEEESJ_S9_S9_S9_S9_S9_S9_S9_S9_EEEEPSB_SM_NS0_5tupleIJNSE_INS8_ISJ_NS7_16discard_iteratorINS7_11use_defaultEEES9_S9_S9_S9_S9_S9_S9_S9_EEEESB_EEENSN_IJSM_SM_EEESB_PlJNSF_9not_fun_tINSF_14equal_to_valueISA_EEEEEEE10hipError_tPvRmT3_T4_T5_T6_T7_T9_mT8_P12ihipStream_tbDpT10_ENKUlT_T0_E_clISt17integral_constantIbLb1EES1I_IbLb0EEEEDaS1E_S1F_EUlS1E_E_NS1_11comp_targetILNS1_3genE10ELNS1_11target_archE1200ELNS1_3gpuE4ELNS1_3repE0EEENS1_30default_config_static_selectorELNS0_4arch9wavefront6targetE0EEEvT1_,comdat
	.protected	_ZN7rocprim17ROCPRIM_400000_NS6detail17trampoline_kernelINS0_14default_configENS1_25partition_config_selectorILNS1_17partition_subalgoE6EN6thrust23THRUST_200600_302600_NS5tupleIjjNS7_9null_typeES9_S9_S9_S9_S9_S9_S9_EENS0_10empty_typeEbEEZZNS1_14partition_implILS5_6ELb0ES3_mNS7_12zip_iteratorINS8_INS7_6detail15normal_iteratorINS7_10device_ptrIjEEEESJ_S9_S9_S9_S9_S9_S9_S9_S9_EEEEPSB_SM_NS0_5tupleIJNSE_INS8_ISJ_NS7_16discard_iteratorINS7_11use_defaultEEES9_S9_S9_S9_S9_S9_S9_S9_EEEESB_EEENSN_IJSM_SM_EEESB_PlJNSF_9not_fun_tINSF_14equal_to_valueISA_EEEEEEE10hipError_tPvRmT3_T4_T5_T6_T7_T9_mT8_P12ihipStream_tbDpT10_ENKUlT_T0_E_clISt17integral_constantIbLb1EES1I_IbLb0EEEEDaS1E_S1F_EUlS1E_E_NS1_11comp_targetILNS1_3genE10ELNS1_11target_archE1200ELNS1_3gpuE4ELNS1_3repE0EEENS1_30default_config_static_selectorELNS0_4arch9wavefront6targetE0EEEvT1_ ; -- Begin function _ZN7rocprim17ROCPRIM_400000_NS6detail17trampoline_kernelINS0_14default_configENS1_25partition_config_selectorILNS1_17partition_subalgoE6EN6thrust23THRUST_200600_302600_NS5tupleIjjNS7_9null_typeES9_S9_S9_S9_S9_S9_S9_EENS0_10empty_typeEbEEZZNS1_14partition_implILS5_6ELb0ES3_mNS7_12zip_iteratorINS8_INS7_6detail15normal_iteratorINS7_10device_ptrIjEEEESJ_S9_S9_S9_S9_S9_S9_S9_S9_EEEEPSB_SM_NS0_5tupleIJNSE_INS8_ISJ_NS7_16discard_iteratorINS7_11use_defaultEEES9_S9_S9_S9_S9_S9_S9_S9_EEEESB_EEENSN_IJSM_SM_EEESB_PlJNSF_9not_fun_tINSF_14equal_to_valueISA_EEEEEEE10hipError_tPvRmT3_T4_T5_T6_T7_T9_mT8_P12ihipStream_tbDpT10_ENKUlT_T0_E_clISt17integral_constantIbLb1EES1I_IbLb0EEEEDaS1E_S1F_EUlS1E_E_NS1_11comp_targetILNS1_3genE10ELNS1_11target_archE1200ELNS1_3gpuE4ELNS1_3repE0EEENS1_30default_config_static_selectorELNS0_4arch9wavefront6targetE0EEEvT1_
	.globl	_ZN7rocprim17ROCPRIM_400000_NS6detail17trampoline_kernelINS0_14default_configENS1_25partition_config_selectorILNS1_17partition_subalgoE6EN6thrust23THRUST_200600_302600_NS5tupleIjjNS7_9null_typeES9_S9_S9_S9_S9_S9_S9_EENS0_10empty_typeEbEEZZNS1_14partition_implILS5_6ELb0ES3_mNS7_12zip_iteratorINS8_INS7_6detail15normal_iteratorINS7_10device_ptrIjEEEESJ_S9_S9_S9_S9_S9_S9_S9_S9_EEEEPSB_SM_NS0_5tupleIJNSE_INS8_ISJ_NS7_16discard_iteratorINS7_11use_defaultEEES9_S9_S9_S9_S9_S9_S9_S9_EEEESB_EEENSN_IJSM_SM_EEESB_PlJNSF_9not_fun_tINSF_14equal_to_valueISA_EEEEEEE10hipError_tPvRmT3_T4_T5_T6_T7_T9_mT8_P12ihipStream_tbDpT10_ENKUlT_T0_E_clISt17integral_constantIbLb1EES1I_IbLb0EEEEDaS1E_S1F_EUlS1E_E_NS1_11comp_targetILNS1_3genE10ELNS1_11target_archE1200ELNS1_3gpuE4ELNS1_3repE0EEENS1_30default_config_static_selectorELNS0_4arch9wavefront6targetE0EEEvT1_
	.p2align	8
	.type	_ZN7rocprim17ROCPRIM_400000_NS6detail17trampoline_kernelINS0_14default_configENS1_25partition_config_selectorILNS1_17partition_subalgoE6EN6thrust23THRUST_200600_302600_NS5tupleIjjNS7_9null_typeES9_S9_S9_S9_S9_S9_S9_EENS0_10empty_typeEbEEZZNS1_14partition_implILS5_6ELb0ES3_mNS7_12zip_iteratorINS8_INS7_6detail15normal_iteratorINS7_10device_ptrIjEEEESJ_S9_S9_S9_S9_S9_S9_S9_S9_EEEEPSB_SM_NS0_5tupleIJNSE_INS8_ISJ_NS7_16discard_iteratorINS7_11use_defaultEEES9_S9_S9_S9_S9_S9_S9_S9_EEEESB_EEENSN_IJSM_SM_EEESB_PlJNSF_9not_fun_tINSF_14equal_to_valueISA_EEEEEEE10hipError_tPvRmT3_T4_T5_T6_T7_T9_mT8_P12ihipStream_tbDpT10_ENKUlT_T0_E_clISt17integral_constantIbLb1EES1I_IbLb0EEEEDaS1E_S1F_EUlS1E_E_NS1_11comp_targetILNS1_3genE10ELNS1_11target_archE1200ELNS1_3gpuE4ELNS1_3repE0EEENS1_30default_config_static_selectorELNS0_4arch9wavefront6targetE0EEEvT1_,@function
_ZN7rocprim17ROCPRIM_400000_NS6detail17trampoline_kernelINS0_14default_configENS1_25partition_config_selectorILNS1_17partition_subalgoE6EN6thrust23THRUST_200600_302600_NS5tupleIjjNS7_9null_typeES9_S9_S9_S9_S9_S9_S9_EENS0_10empty_typeEbEEZZNS1_14partition_implILS5_6ELb0ES3_mNS7_12zip_iteratorINS8_INS7_6detail15normal_iteratorINS7_10device_ptrIjEEEESJ_S9_S9_S9_S9_S9_S9_S9_S9_EEEEPSB_SM_NS0_5tupleIJNSE_INS8_ISJ_NS7_16discard_iteratorINS7_11use_defaultEEES9_S9_S9_S9_S9_S9_S9_S9_EEEESB_EEENSN_IJSM_SM_EEESB_PlJNSF_9not_fun_tINSF_14equal_to_valueISA_EEEEEEE10hipError_tPvRmT3_T4_T5_T6_T7_T9_mT8_P12ihipStream_tbDpT10_ENKUlT_T0_E_clISt17integral_constantIbLb1EES1I_IbLb0EEEEDaS1E_S1F_EUlS1E_E_NS1_11comp_targetILNS1_3genE10ELNS1_11target_archE1200ELNS1_3gpuE4ELNS1_3repE0EEENS1_30default_config_static_selectorELNS0_4arch9wavefront6targetE0EEEvT1_: ; @_ZN7rocprim17ROCPRIM_400000_NS6detail17trampoline_kernelINS0_14default_configENS1_25partition_config_selectorILNS1_17partition_subalgoE6EN6thrust23THRUST_200600_302600_NS5tupleIjjNS7_9null_typeES9_S9_S9_S9_S9_S9_S9_EENS0_10empty_typeEbEEZZNS1_14partition_implILS5_6ELb0ES3_mNS7_12zip_iteratorINS8_INS7_6detail15normal_iteratorINS7_10device_ptrIjEEEESJ_S9_S9_S9_S9_S9_S9_S9_S9_EEEEPSB_SM_NS0_5tupleIJNSE_INS8_ISJ_NS7_16discard_iteratorINS7_11use_defaultEEES9_S9_S9_S9_S9_S9_S9_S9_EEEESB_EEENSN_IJSM_SM_EEESB_PlJNSF_9not_fun_tINSF_14equal_to_valueISA_EEEEEEE10hipError_tPvRmT3_T4_T5_T6_T7_T9_mT8_P12ihipStream_tbDpT10_ENKUlT_T0_E_clISt17integral_constantIbLb1EES1I_IbLb0EEEEDaS1E_S1F_EUlS1E_E_NS1_11comp_targetILNS1_3genE10ELNS1_11target_archE1200ELNS1_3gpuE4ELNS1_3repE0EEENS1_30default_config_static_selectorELNS0_4arch9wavefront6targetE0EEEvT1_
; %bb.0:
	s_endpgm
	.section	.rodata,"a",@progbits
	.p2align	6, 0x0
	.amdhsa_kernel _ZN7rocprim17ROCPRIM_400000_NS6detail17trampoline_kernelINS0_14default_configENS1_25partition_config_selectorILNS1_17partition_subalgoE6EN6thrust23THRUST_200600_302600_NS5tupleIjjNS7_9null_typeES9_S9_S9_S9_S9_S9_S9_EENS0_10empty_typeEbEEZZNS1_14partition_implILS5_6ELb0ES3_mNS7_12zip_iteratorINS8_INS7_6detail15normal_iteratorINS7_10device_ptrIjEEEESJ_S9_S9_S9_S9_S9_S9_S9_S9_EEEEPSB_SM_NS0_5tupleIJNSE_INS8_ISJ_NS7_16discard_iteratorINS7_11use_defaultEEES9_S9_S9_S9_S9_S9_S9_S9_EEEESB_EEENSN_IJSM_SM_EEESB_PlJNSF_9not_fun_tINSF_14equal_to_valueISA_EEEEEEE10hipError_tPvRmT3_T4_T5_T6_T7_T9_mT8_P12ihipStream_tbDpT10_ENKUlT_T0_E_clISt17integral_constantIbLb1EES1I_IbLb0EEEEDaS1E_S1F_EUlS1E_E_NS1_11comp_targetILNS1_3genE10ELNS1_11target_archE1200ELNS1_3gpuE4ELNS1_3repE0EEENS1_30default_config_static_selectorELNS0_4arch9wavefront6targetE0EEEvT1_
		.amdhsa_group_segment_fixed_size 0
		.amdhsa_private_segment_fixed_size 0
		.amdhsa_kernarg_size 144
		.amdhsa_user_sgpr_count 2
		.amdhsa_user_sgpr_dispatch_ptr 0
		.amdhsa_user_sgpr_queue_ptr 0
		.amdhsa_user_sgpr_kernarg_segment_ptr 1
		.amdhsa_user_sgpr_dispatch_id 0
		.amdhsa_user_sgpr_private_segment_size 0
		.amdhsa_wavefront_size32 1
		.amdhsa_uses_dynamic_stack 0
		.amdhsa_enable_private_segment 0
		.amdhsa_system_sgpr_workgroup_id_x 1
		.amdhsa_system_sgpr_workgroup_id_y 0
		.amdhsa_system_sgpr_workgroup_id_z 0
		.amdhsa_system_sgpr_workgroup_info 0
		.amdhsa_system_vgpr_workitem_id 0
		.amdhsa_next_free_vgpr 1
		.amdhsa_next_free_sgpr 1
		.amdhsa_reserve_vcc 0
		.amdhsa_float_round_mode_32 0
		.amdhsa_float_round_mode_16_64 0
		.amdhsa_float_denorm_mode_32 3
		.amdhsa_float_denorm_mode_16_64 3
		.amdhsa_fp16_overflow 0
		.amdhsa_workgroup_processor_mode 1
		.amdhsa_memory_ordered 1
		.amdhsa_forward_progress 1
		.amdhsa_inst_pref_size 1
		.amdhsa_round_robin_scheduling 0
		.amdhsa_exception_fp_ieee_invalid_op 0
		.amdhsa_exception_fp_denorm_src 0
		.amdhsa_exception_fp_ieee_div_zero 0
		.amdhsa_exception_fp_ieee_overflow 0
		.amdhsa_exception_fp_ieee_underflow 0
		.amdhsa_exception_fp_ieee_inexact 0
		.amdhsa_exception_int_div_zero 0
	.end_amdhsa_kernel
	.section	.text._ZN7rocprim17ROCPRIM_400000_NS6detail17trampoline_kernelINS0_14default_configENS1_25partition_config_selectorILNS1_17partition_subalgoE6EN6thrust23THRUST_200600_302600_NS5tupleIjjNS7_9null_typeES9_S9_S9_S9_S9_S9_S9_EENS0_10empty_typeEbEEZZNS1_14partition_implILS5_6ELb0ES3_mNS7_12zip_iteratorINS8_INS7_6detail15normal_iteratorINS7_10device_ptrIjEEEESJ_S9_S9_S9_S9_S9_S9_S9_S9_EEEEPSB_SM_NS0_5tupleIJNSE_INS8_ISJ_NS7_16discard_iteratorINS7_11use_defaultEEES9_S9_S9_S9_S9_S9_S9_S9_EEEESB_EEENSN_IJSM_SM_EEESB_PlJNSF_9not_fun_tINSF_14equal_to_valueISA_EEEEEEE10hipError_tPvRmT3_T4_T5_T6_T7_T9_mT8_P12ihipStream_tbDpT10_ENKUlT_T0_E_clISt17integral_constantIbLb1EES1I_IbLb0EEEEDaS1E_S1F_EUlS1E_E_NS1_11comp_targetILNS1_3genE10ELNS1_11target_archE1200ELNS1_3gpuE4ELNS1_3repE0EEENS1_30default_config_static_selectorELNS0_4arch9wavefront6targetE0EEEvT1_,"axG",@progbits,_ZN7rocprim17ROCPRIM_400000_NS6detail17trampoline_kernelINS0_14default_configENS1_25partition_config_selectorILNS1_17partition_subalgoE6EN6thrust23THRUST_200600_302600_NS5tupleIjjNS7_9null_typeES9_S9_S9_S9_S9_S9_S9_EENS0_10empty_typeEbEEZZNS1_14partition_implILS5_6ELb0ES3_mNS7_12zip_iteratorINS8_INS7_6detail15normal_iteratorINS7_10device_ptrIjEEEESJ_S9_S9_S9_S9_S9_S9_S9_S9_EEEEPSB_SM_NS0_5tupleIJNSE_INS8_ISJ_NS7_16discard_iteratorINS7_11use_defaultEEES9_S9_S9_S9_S9_S9_S9_S9_EEEESB_EEENSN_IJSM_SM_EEESB_PlJNSF_9not_fun_tINSF_14equal_to_valueISA_EEEEEEE10hipError_tPvRmT3_T4_T5_T6_T7_T9_mT8_P12ihipStream_tbDpT10_ENKUlT_T0_E_clISt17integral_constantIbLb1EES1I_IbLb0EEEEDaS1E_S1F_EUlS1E_E_NS1_11comp_targetILNS1_3genE10ELNS1_11target_archE1200ELNS1_3gpuE4ELNS1_3repE0EEENS1_30default_config_static_selectorELNS0_4arch9wavefront6targetE0EEEvT1_,comdat
.Lfunc_end1938:
	.size	_ZN7rocprim17ROCPRIM_400000_NS6detail17trampoline_kernelINS0_14default_configENS1_25partition_config_selectorILNS1_17partition_subalgoE6EN6thrust23THRUST_200600_302600_NS5tupleIjjNS7_9null_typeES9_S9_S9_S9_S9_S9_S9_EENS0_10empty_typeEbEEZZNS1_14partition_implILS5_6ELb0ES3_mNS7_12zip_iteratorINS8_INS7_6detail15normal_iteratorINS7_10device_ptrIjEEEESJ_S9_S9_S9_S9_S9_S9_S9_S9_EEEEPSB_SM_NS0_5tupleIJNSE_INS8_ISJ_NS7_16discard_iteratorINS7_11use_defaultEEES9_S9_S9_S9_S9_S9_S9_S9_EEEESB_EEENSN_IJSM_SM_EEESB_PlJNSF_9not_fun_tINSF_14equal_to_valueISA_EEEEEEE10hipError_tPvRmT3_T4_T5_T6_T7_T9_mT8_P12ihipStream_tbDpT10_ENKUlT_T0_E_clISt17integral_constantIbLb1EES1I_IbLb0EEEEDaS1E_S1F_EUlS1E_E_NS1_11comp_targetILNS1_3genE10ELNS1_11target_archE1200ELNS1_3gpuE4ELNS1_3repE0EEENS1_30default_config_static_selectorELNS0_4arch9wavefront6targetE0EEEvT1_, .Lfunc_end1938-_ZN7rocprim17ROCPRIM_400000_NS6detail17trampoline_kernelINS0_14default_configENS1_25partition_config_selectorILNS1_17partition_subalgoE6EN6thrust23THRUST_200600_302600_NS5tupleIjjNS7_9null_typeES9_S9_S9_S9_S9_S9_S9_EENS0_10empty_typeEbEEZZNS1_14partition_implILS5_6ELb0ES3_mNS7_12zip_iteratorINS8_INS7_6detail15normal_iteratorINS7_10device_ptrIjEEEESJ_S9_S9_S9_S9_S9_S9_S9_S9_EEEEPSB_SM_NS0_5tupleIJNSE_INS8_ISJ_NS7_16discard_iteratorINS7_11use_defaultEEES9_S9_S9_S9_S9_S9_S9_S9_EEEESB_EEENSN_IJSM_SM_EEESB_PlJNSF_9not_fun_tINSF_14equal_to_valueISA_EEEEEEE10hipError_tPvRmT3_T4_T5_T6_T7_T9_mT8_P12ihipStream_tbDpT10_ENKUlT_T0_E_clISt17integral_constantIbLb1EES1I_IbLb0EEEEDaS1E_S1F_EUlS1E_E_NS1_11comp_targetILNS1_3genE10ELNS1_11target_archE1200ELNS1_3gpuE4ELNS1_3repE0EEENS1_30default_config_static_selectorELNS0_4arch9wavefront6targetE0EEEvT1_
                                        ; -- End function
	.set _ZN7rocprim17ROCPRIM_400000_NS6detail17trampoline_kernelINS0_14default_configENS1_25partition_config_selectorILNS1_17partition_subalgoE6EN6thrust23THRUST_200600_302600_NS5tupleIjjNS7_9null_typeES9_S9_S9_S9_S9_S9_S9_EENS0_10empty_typeEbEEZZNS1_14partition_implILS5_6ELb0ES3_mNS7_12zip_iteratorINS8_INS7_6detail15normal_iteratorINS7_10device_ptrIjEEEESJ_S9_S9_S9_S9_S9_S9_S9_S9_EEEEPSB_SM_NS0_5tupleIJNSE_INS8_ISJ_NS7_16discard_iteratorINS7_11use_defaultEEES9_S9_S9_S9_S9_S9_S9_S9_EEEESB_EEENSN_IJSM_SM_EEESB_PlJNSF_9not_fun_tINSF_14equal_to_valueISA_EEEEEEE10hipError_tPvRmT3_T4_T5_T6_T7_T9_mT8_P12ihipStream_tbDpT10_ENKUlT_T0_E_clISt17integral_constantIbLb1EES1I_IbLb0EEEEDaS1E_S1F_EUlS1E_E_NS1_11comp_targetILNS1_3genE10ELNS1_11target_archE1200ELNS1_3gpuE4ELNS1_3repE0EEENS1_30default_config_static_selectorELNS0_4arch9wavefront6targetE0EEEvT1_.num_vgpr, 0
	.set _ZN7rocprim17ROCPRIM_400000_NS6detail17trampoline_kernelINS0_14default_configENS1_25partition_config_selectorILNS1_17partition_subalgoE6EN6thrust23THRUST_200600_302600_NS5tupleIjjNS7_9null_typeES9_S9_S9_S9_S9_S9_S9_EENS0_10empty_typeEbEEZZNS1_14partition_implILS5_6ELb0ES3_mNS7_12zip_iteratorINS8_INS7_6detail15normal_iteratorINS7_10device_ptrIjEEEESJ_S9_S9_S9_S9_S9_S9_S9_S9_EEEEPSB_SM_NS0_5tupleIJNSE_INS8_ISJ_NS7_16discard_iteratorINS7_11use_defaultEEES9_S9_S9_S9_S9_S9_S9_S9_EEEESB_EEENSN_IJSM_SM_EEESB_PlJNSF_9not_fun_tINSF_14equal_to_valueISA_EEEEEEE10hipError_tPvRmT3_T4_T5_T6_T7_T9_mT8_P12ihipStream_tbDpT10_ENKUlT_T0_E_clISt17integral_constantIbLb1EES1I_IbLb0EEEEDaS1E_S1F_EUlS1E_E_NS1_11comp_targetILNS1_3genE10ELNS1_11target_archE1200ELNS1_3gpuE4ELNS1_3repE0EEENS1_30default_config_static_selectorELNS0_4arch9wavefront6targetE0EEEvT1_.num_agpr, 0
	.set _ZN7rocprim17ROCPRIM_400000_NS6detail17trampoline_kernelINS0_14default_configENS1_25partition_config_selectorILNS1_17partition_subalgoE6EN6thrust23THRUST_200600_302600_NS5tupleIjjNS7_9null_typeES9_S9_S9_S9_S9_S9_S9_EENS0_10empty_typeEbEEZZNS1_14partition_implILS5_6ELb0ES3_mNS7_12zip_iteratorINS8_INS7_6detail15normal_iteratorINS7_10device_ptrIjEEEESJ_S9_S9_S9_S9_S9_S9_S9_S9_EEEEPSB_SM_NS0_5tupleIJNSE_INS8_ISJ_NS7_16discard_iteratorINS7_11use_defaultEEES9_S9_S9_S9_S9_S9_S9_S9_EEEESB_EEENSN_IJSM_SM_EEESB_PlJNSF_9not_fun_tINSF_14equal_to_valueISA_EEEEEEE10hipError_tPvRmT3_T4_T5_T6_T7_T9_mT8_P12ihipStream_tbDpT10_ENKUlT_T0_E_clISt17integral_constantIbLb1EES1I_IbLb0EEEEDaS1E_S1F_EUlS1E_E_NS1_11comp_targetILNS1_3genE10ELNS1_11target_archE1200ELNS1_3gpuE4ELNS1_3repE0EEENS1_30default_config_static_selectorELNS0_4arch9wavefront6targetE0EEEvT1_.numbered_sgpr, 0
	.set _ZN7rocprim17ROCPRIM_400000_NS6detail17trampoline_kernelINS0_14default_configENS1_25partition_config_selectorILNS1_17partition_subalgoE6EN6thrust23THRUST_200600_302600_NS5tupleIjjNS7_9null_typeES9_S9_S9_S9_S9_S9_S9_EENS0_10empty_typeEbEEZZNS1_14partition_implILS5_6ELb0ES3_mNS7_12zip_iteratorINS8_INS7_6detail15normal_iteratorINS7_10device_ptrIjEEEESJ_S9_S9_S9_S9_S9_S9_S9_S9_EEEEPSB_SM_NS0_5tupleIJNSE_INS8_ISJ_NS7_16discard_iteratorINS7_11use_defaultEEES9_S9_S9_S9_S9_S9_S9_S9_EEEESB_EEENSN_IJSM_SM_EEESB_PlJNSF_9not_fun_tINSF_14equal_to_valueISA_EEEEEEE10hipError_tPvRmT3_T4_T5_T6_T7_T9_mT8_P12ihipStream_tbDpT10_ENKUlT_T0_E_clISt17integral_constantIbLb1EES1I_IbLb0EEEEDaS1E_S1F_EUlS1E_E_NS1_11comp_targetILNS1_3genE10ELNS1_11target_archE1200ELNS1_3gpuE4ELNS1_3repE0EEENS1_30default_config_static_selectorELNS0_4arch9wavefront6targetE0EEEvT1_.num_named_barrier, 0
	.set _ZN7rocprim17ROCPRIM_400000_NS6detail17trampoline_kernelINS0_14default_configENS1_25partition_config_selectorILNS1_17partition_subalgoE6EN6thrust23THRUST_200600_302600_NS5tupleIjjNS7_9null_typeES9_S9_S9_S9_S9_S9_S9_EENS0_10empty_typeEbEEZZNS1_14partition_implILS5_6ELb0ES3_mNS7_12zip_iteratorINS8_INS7_6detail15normal_iteratorINS7_10device_ptrIjEEEESJ_S9_S9_S9_S9_S9_S9_S9_S9_EEEEPSB_SM_NS0_5tupleIJNSE_INS8_ISJ_NS7_16discard_iteratorINS7_11use_defaultEEES9_S9_S9_S9_S9_S9_S9_S9_EEEESB_EEENSN_IJSM_SM_EEESB_PlJNSF_9not_fun_tINSF_14equal_to_valueISA_EEEEEEE10hipError_tPvRmT3_T4_T5_T6_T7_T9_mT8_P12ihipStream_tbDpT10_ENKUlT_T0_E_clISt17integral_constantIbLb1EES1I_IbLb0EEEEDaS1E_S1F_EUlS1E_E_NS1_11comp_targetILNS1_3genE10ELNS1_11target_archE1200ELNS1_3gpuE4ELNS1_3repE0EEENS1_30default_config_static_selectorELNS0_4arch9wavefront6targetE0EEEvT1_.private_seg_size, 0
	.set _ZN7rocprim17ROCPRIM_400000_NS6detail17trampoline_kernelINS0_14default_configENS1_25partition_config_selectorILNS1_17partition_subalgoE6EN6thrust23THRUST_200600_302600_NS5tupleIjjNS7_9null_typeES9_S9_S9_S9_S9_S9_S9_EENS0_10empty_typeEbEEZZNS1_14partition_implILS5_6ELb0ES3_mNS7_12zip_iteratorINS8_INS7_6detail15normal_iteratorINS7_10device_ptrIjEEEESJ_S9_S9_S9_S9_S9_S9_S9_S9_EEEEPSB_SM_NS0_5tupleIJNSE_INS8_ISJ_NS7_16discard_iteratorINS7_11use_defaultEEES9_S9_S9_S9_S9_S9_S9_S9_EEEESB_EEENSN_IJSM_SM_EEESB_PlJNSF_9not_fun_tINSF_14equal_to_valueISA_EEEEEEE10hipError_tPvRmT3_T4_T5_T6_T7_T9_mT8_P12ihipStream_tbDpT10_ENKUlT_T0_E_clISt17integral_constantIbLb1EES1I_IbLb0EEEEDaS1E_S1F_EUlS1E_E_NS1_11comp_targetILNS1_3genE10ELNS1_11target_archE1200ELNS1_3gpuE4ELNS1_3repE0EEENS1_30default_config_static_selectorELNS0_4arch9wavefront6targetE0EEEvT1_.uses_vcc, 0
	.set _ZN7rocprim17ROCPRIM_400000_NS6detail17trampoline_kernelINS0_14default_configENS1_25partition_config_selectorILNS1_17partition_subalgoE6EN6thrust23THRUST_200600_302600_NS5tupleIjjNS7_9null_typeES9_S9_S9_S9_S9_S9_S9_EENS0_10empty_typeEbEEZZNS1_14partition_implILS5_6ELb0ES3_mNS7_12zip_iteratorINS8_INS7_6detail15normal_iteratorINS7_10device_ptrIjEEEESJ_S9_S9_S9_S9_S9_S9_S9_S9_EEEEPSB_SM_NS0_5tupleIJNSE_INS8_ISJ_NS7_16discard_iteratorINS7_11use_defaultEEES9_S9_S9_S9_S9_S9_S9_S9_EEEESB_EEENSN_IJSM_SM_EEESB_PlJNSF_9not_fun_tINSF_14equal_to_valueISA_EEEEEEE10hipError_tPvRmT3_T4_T5_T6_T7_T9_mT8_P12ihipStream_tbDpT10_ENKUlT_T0_E_clISt17integral_constantIbLb1EES1I_IbLb0EEEEDaS1E_S1F_EUlS1E_E_NS1_11comp_targetILNS1_3genE10ELNS1_11target_archE1200ELNS1_3gpuE4ELNS1_3repE0EEENS1_30default_config_static_selectorELNS0_4arch9wavefront6targetE0EEEvT1_.uses_flat_scratch, 0
	.set _ZN7rocprim17ROCPRIM_400000_NS6detail17trampoline_kernelINS0_14default_configENS1_25partition_config_selectorILNS1_17partition_subalgoE6EN6thrust23THRUST_200600_302600_NS5tupleIjjNS7_9null_typeES9_S9_S9_S9_S9_S9_S9_EENS0_10empty_typeEbEEZZNS1_14partition_implILS5_6ELb0ES3_mNS7_12zip_iteratorINS8_INS7_6detail15normal_iteratorINS7_10device_ptrIjEEEESJ_S9_S9_S9_S9_S9_S9_S9_S9_EEEEPSB_SM_NS0_5tupleIJNSE_INS8_ISJ_NS7_16discard_iteratorINS7_11use_defaultEEES9_S9_S9_S9_S9_S9_S9_S9_EEEESB_EEENSN_IJSM_SM_EEESB_PlJNSF_9not_fun_tINSF_14equal_to_valueISA_EEEEEEE10hipError_tPvRmT3_T4_T5_T6_T7_T9_mT8_P12ihipStream_tbDpT10_ENKUlT_T0_E_clISt17integral_constantIbLb1EES1I_IbLb0EEEEDaS1E_S1F_EUlS1E_E_NS1_11comp_targetILNS1_3genE10ELNS1_11target_archE1200ELNS1_3gpuE4ELNS1_3repE0EEENS1_30default_config_static_selectorELNS0_4arch9wavefront6targetE0EEEvT1_.has_dyn_sized_stack, 0
	.set _ZN7rocprim17ROCPRIM_400000_NS6detail17trampoline_kernelINS0_14default_configENS1_25partition_config_selectorILNS1_17partition_subalgoE6EN6thrust23THRUST_200600_302600_NS5tupleIjjNS7_9null_typeES9_S9_S9_S9_S9_S9_S9_EENS0_10empty_typeEbEEZZNS1_14partition_implILS5_6ELb0ES3_mNS7_12zip_iteratorINS8_INS7_6detail15normal_iteratorINS7_10device_ptrIjEEEESJ_S9_S9_S9_S9_S9_S9_S9_S9_EEEEPSB_SM_NS0_5tupleIJNSE_INS8_ISJ_NS7_16discard_iteratorINS7_11use_defaultEEES9_S9_S9_S9_S9_S9_S9_S9_EEEESB_EEENSN_IJSM_SM_EEESB_PlJNSF_9not_fun_tINSF_14equal_to_valueISA_EEEEEEE10hipError_tPvRmT3_T4_T5_T6_T7_T9_mT8_P12ihipStream_tbDpT10_ENKUlT_T0_E_clISt17integral_constantIbLb1EES1I_IbLb0EEEEDaS1E_S1F_EUlS1E_E_NS1_11comp_targetILNS1_3genE10ELNS1_11target_archE1200ELNS1_3gpuE4ELNS1_3repE0EEENS1_30default_config_static_selectorELNS0_4arch9wavefront6targetE0EEEvT1_.has_recursion, 0
	.set _ZN7rocprim17ROCPRIM_400000_NS6detail17trampoline_kernelINS0_14default_configENS1_25partition_config_selectorILNS1_17partition_subalgoE6EN6thrust23THRUST_200600_302600_NS5tupleIjjNS7_9null_typeES9_S9_S9_S9_S9_S9_S9_EENS0_10empty_typeEbEEZZNS1_14partition_implILS5_6ELb0ES3_mNS7_12zip_iteratorINS8_INS7_6detail15normal_iteratorINS7_10device_ptrIjEEEESJ_S9_S9_S9_S9_S9_S9_S9_S9_EEEEPSB_SM_NS0_5tupleIJNSE_INS8_ISJ_NS7_16discard_iteratorINS7_11use_defaultEEES9_S9_S9_S9_S9_S9_S9_S9_EEEESB_EEENSN_IJSM_SM_EEESB_PlJNSF_9not_fun_tINSF_14equal_to_valueISA_EEEEEEE10hipError_tPvRmT3_T4_T5_T6_T7_T9_mT8_P12ihipStream_tbDpT10_ENKUlT_T0_E_clISt17integral_constantIbLb1EES1I_IbLb0EEEEDaS1E_S1F_EUlS1E_E_NS1_11comp_targetILNS1_3genE10ELNS1_11target_archE1200ELNS1_3gpuE4ELNS1_3repE0EEENS1_30default_config_static_selectorELNS0_4arch9wavefront6targetE0EEEvT1_.has_indirect_call, 0
	.section	.AMDGPU.csdata,"",@progbits
; Kernel info:
; codeLenInByte = 4
; TotalNumSgprs: 0
; NumVgprs: 0
; ScratchSize: 0
; MemoryBound: 0
; FloatMode: 240
; IeeeMode: 1
; LDSByteSize: 0 bytes/workgroup (compile time only)
; SGPRBlocks: 0
; VGPRBlocks: 0
; NumSGPRsForWavesPerEU: 1
; NumVGPRsForWavesPerEU: 1
; Occupancy: 16
; WaveLimiterHint : 0
; COMPUTE_PGM_RSRC2:SCRATCH_EN: 0
; COMPUTE_PGM_RSRC2:USER_SGPR: 2
; COMPUTE_PGM_RSRC2:TRAP_HANDLER: 0
; COMPUTE_PGM_RSRC2:TGID_X_EN: 1
; COMPUTE_PGM_RSRC2:TGID_Y_EN: 0
; COMPUTE_PGM_RSRC2:TGID_Z_EN: 0
; COMPUTE_PGM_RSRC2:TIDIG_COMP_CNT: 0
	.section	.text._ZN7rocprim17ROCPRIM_400000_NS6detail17trampoline_kernelINS0_14default_configENS1_25partition_config_selectorILNS1_17partition_subalgoE6EN6thrust23THRUST_200600_302600_NS5tupleIjjNS7_9null_typeES9_S9_S9_S9_S9_S9_S9_EENS0_10empty_typeEbEEZZNS1_14partition_implILS5_6ELb0ES3_mNS7_12zip_iteratorINS8_INS7_6detail15normal_iteratorINS7_10device_ptrIjEEEESJ_S9_S9_S9_S9_S9_S9_S9_S9_EEEEPSB_SM_NS0_5tupleIJNSE_INS8_ISJ_NS7_16discard_iteratorINS7_11use_defaultEEES9_S9_S9_S9_S9_S9_S9_S9_EEEESB_EEENSN_IJSM_SM_EEESB_PlJNSF_9not_fun_tINSF_14equal_to_valueISA_EEEEEEE10hipError_tPvRmT3_T4_T5_T6_T7_T9_mT8_P12ihipStream_tbDpT10_ENKUlT_T0_E_clISt17integral_constantIbLb1EES1I_IbLb0EEEEDaS1E_S1F_EUlS1E_E_NS1_11comp_targetILNS1_3genE9ELNS1_11target_archE1100ELNS1_3gpuE3ELNS1_3repE0EEENS1_30default_config_static_selectorELNS0_4arch9wavefront6targetE0EEEvT1_,"axG",@progbits,_ZN7rocprim17ROCPRIM_400000_NS6detail17trampoline_kernelINS0_14default_configENS1_25partition_config_selectorILNS1_17partition_subalgoE6EN6thrust23THRUST_200600_302600_NS5tupleIjjNS7_9null_typeES9_S9_S9_S9_S9_S9_S9_EENS0_10empty_typeEbEEZZNS1_14partition_implILS5_6ELb0ES3_mNS7_12zip_iteratorINS8_INS7_6detail15normal_iteratorINS7_10device_ptrIjEEEESJ_S9_S9_S9_S9_S9_S9_S9_S9_EEEEPSB_SM_NS0_5tupleIJNSE_INS8_ISJ_NS7_16discard_iteratorINS7_11use_defaultEEES9_S9_S9_S9_S9_S9_S9_S9_EEEESB_EEENSN_IJSM_SM_EEESB_PlJNSF_9not_fun_tINSF_14equal_to_valueISA_EEEEEEE10hipError_tPvRmT3_T4_T5_T6_T7_T9_mT8_P12ihipStream_tbDpT10_ENKUlT_T0_E_clISt17integral_constantIbLb1EES1I_IbLb0EEEEDaS1E_S1F_EUlS1E_E_NS1_11comp_targetILNS1_3genE9ELNS1_11target_archE1100ELNS1_3gpuE3ELNS1_3repE0EEENS1_30default_config_static_selectorELNS0_4arch9wavefront6targetE0EEEvT1_,comdat
	.protected	_ZN7rocprim17ROCPRIM_400000_NS6detail17trampoline_kernelINS0_14default_configENS1_25partition_config_selectorILNS1_17partition_subalgoE6EN6thrust23THRUST_200600_302600_NS5tupleIjjNS7_9null_typeES9_S9_S9_S9_S9_S9_S9_EENS0_10empty_typeEbEEZZNS1_14partition_implILS5_6ELb0ES3_mNS7_12zip_iteratorINS8_INS7_6detail15normal_iteratorINS7_10device_ptrIjEEEESJ_S9_S9_S9_S9_S9_S9_S9_S9_EEEEPSB_SM_NS0_5tupleIJNSE_INS8_ISJ_NS7_16discard_iteratorINS7_11use_defaultEEES9_S9_S9_S9_S9_S9_S9_S9_EEEESB_EEENSN_IJSM_SM_EEESB_PlJNSF_9not_fun_tINSF_14equal_to_valueISA_EEEEEEE10hipError_tPvRmT3_T4_T5_T6_T7_T9_mT8_P12ihipStream_tbDpT10_ENKUlT_T0_E_clISt17integral_constantIbLb1EES1I_IbLb0EEEEDaS1E_S1F_EUlS1E_E_NS1_11comp_targetILNS1_3genE9ELNS1_11target_archE1100ELNS1_3gpuE3ELNS1_3repE0EEENS1_30default_config_static_selectorELNS0_4arch9wavefront6targetE0EEEvT1_ ; -- Begin function _ZN7rocprim17ROCPRIM_400000_NS6detail17trampoline_kernelINS0_14default_configENS1_25partition_config_selectorILNS1_17partition_subalgoE6EN6thrust23THRUST_200600_302600_NS5tupleIjjNS7_9null_typeES9_S9_S9_S9_S9_S9_S9_EENS0_10empty_typeEbEEZZNS1_14partition_implILS5_6ELb0ES3_mNS7_12zip_iteratorINS8_INS7_6detail15normal_iteratorINS7_10device_ptrIjEEEESJ_S9_S9_S9_S9_S9_S9_S9_S9_EEEEPSB_SM_NS0_5tupleIJNSE_INS8_ISJ_NS7_16discard_iteratorINS7_11use_defaultEEES9_S9_S9_S9_S9_S9_S9_S9_EEEESB_EEENSN_IJSM_SM_EEESB_PlJNSF_9not_fun_tINSF_14equal_to_valueISA_EEEEEEE10hipError_tPvRmT3_T4_T5_T6_T7_T9_mT8_P12ihipStream_tbDpT10_ENKUlT_T0_E_clISt17integral_constantIbLb1EES1I_IbLb0EEEEDaS1E_S1F_EUlS1E_E_NS1_11comp_targetILNS1_3genE9ELNS1_11target_archE1100ELNS1_3gpuE3ELNS1_3repE0EEENS1_30default_config_static_selectorELNS0_4arch9wavefront6targetE0EEEvT1_
	.globl	_ZN7rocprim17ROCPRIM_400000_NS6detail17trampoline_kernelINS0_14default_configENS1_25partition_config_selectorILNS1_17partition_subalgoE6EN6thrust23THRUST_200600_302600_NS5tupleIjjNS7_9null_typeES9_S9_S9_S9_S9_S9_S9_EENS0_10empty_typeEbEEZZNS1_14partition_implILS5_6ELb0ES3_mNS7_12zip_iteratorINS8_INS7_6detail15normal_iteratorINS7_10device_ptrIjEEEESJ_S9_S9_S9_S9_S9_S9_S9_S9_EEEEPSB_SM_NS0_5tupleIJNSE_INS8_ISJ_NS7_16discard_iteratorINS7_11use_defaultEEES9_S9_S9_S9_S9_S9_S9_S9_EEEESB_EEENSN_IJSM_SM_EEESB_PlJNSF_9not_fun_tINSF_14equal_to_valueISA_EEEEEEE10hipError_tPvRmT3_T4_T5_T6_T7_T9_mT8_P12ihipStream_tbDpT10_ENKUlT_T0_E_clISt17integral_constantIbLb1EES1I_IbLb0EEEEDaS1E_S1F_EUlS1E_E_NS1_11comp_targetILNS1_3genE9ELNS1_11target_archE1100ELNS1_3gpuE3ELNS1_3repE0EEENS1_30default_config_static_selectorELNS0_4arch9wavefront6targetE0EEEvT1_
	.p2align	8
	.type	_ZN7rocprim17ROCPRIM_400000_NS6detail17trampoline_kernelINS0_14default_configENS1_25partition_config_selectorILNS1_17partition_subalgoE6EN6thrust23THRUST_200600_302600_NS5tupleIjjNS7_9null_typeES9_S9_S9_S9_S9_S9_S9_EENS0_10empty_typeEbEEZZNS1_14partition_implILS5_6ELb0ES3_mNS7_12zip_iteratorINS8_INS7_6detail15normal_iteratorINS7_10device_ptrIjEEEESJ_S9_S9_S9_S9_S9_S9_S9_S9_EEEEPSB_SM_NS0_5tupleIJNSE_INS8_ISJ_NS7_16discard_iteratorINS7_11use_defaultEEES9_S9_S9_S9_S9_S9_S9_S9_EEEESB_EEENSN_IJSM_SM_EEESB_PlJNSF_9not_fun_tINSF_14equal_to_valueISA_EEEEEEE10hipError_tPvRmT3_T4_T5_T6_T7_T9_mT8_P12ihipStream_tbDpT10_ENKUlT_T0_E_clISt17integral_constantIbLb1EES1I_IbLb0EEEEDaS1E_S1F_EUlS1E_E_NS1_11comp_targetILNS1_3genE9ELNS1_11target_archE1100ELNS1_3gpuE3ELNS1_3repE0EEENS1_30default_config_static_selectorELNS0_4arch9wavefront6targetE0EEEvT1_,@function
_ZN7rocprim17ROCPRIM_400000_NS6detail17trampoline_kernelINS0_14default_configENS1_25partition_config_selectorILNS1_17partition_subalgoE6EN6thrust23THRUST_200600_302600_NS5tupleIjjNS7_9null_typeES9_S9_S9_S9_S9_S9_S9_EENS0_10empty_typeEbEEZZNS1_14partition_implILS5_6ELb0ES3_mNS7_12zip_iteratorINS8_INS7_6detail15normal_iteratorINS7_10device_ptrIjEEEESJ_S9_S9_S9_S9_S9_S9_S9_S9_EEEEPSB_SM_NS0_5tupleIJNSE_INS8_ISJ_NS7_16discard_iteratorINS7_11use_defaultEEES9_S9_S9_S9_S9_S9_S9_S9_EEEESB_EEENSN_IJSM_SM_EEESB_PlJNSF_9not_fun_tINSF_14equal_to_valueISA_EEEEEEE10hipError_tPvRmT3_T4_T5_T6_T7_T9_mT8_P12ihipStream_tbDpT10_ENKUlT_T0_E_clISt17integral_constantIbLb1EES1I_IbLb0EEEEDaS1E_S1F_EUlS1E_E_NS1_11comp_targetILNS1_3genE9ELNS1_11target_archE1100ELNS1_3gpuE3ELNS1_3repE0EEENS1_30default_config_static_selectorELNS0_4arch9wavefront6targetE0EEEvT1_: ; @_ZN7rocprim17ROCPRIM_400000_NS6detail17trampoline_kernelINS0_14default_configENS1_25partition_config_selectorILNS1_17partition_subalgoE6EN6thrust23THRUST_200600_302600_NS5tupleIjjNS7_9null_typeES9_S9_S9_S9_S9_S9_S9_EENS0_10empty_typeEbEEZZNS1_14partition_implILS5_6ELb0ES3_mNS7_12zip_iteratorINS8_INS7_6detail15normal_iteratorINS7_10device_ptrIjEEEESJ_S9_S9_S9_S9_S9_S9_S9_S9_EEEEPSB_SM_NS0_5tupleIJNSE_INS8_ISJ_NS7_16discard_iteratorINS7_11use_defaultEEES9_S9_S9_S9_S9_S9_S9_S9_EEEESB_EEENSN_IJSM_SM_EEESB_PlJNSF_9not_fun_tINSF_14equal_to_valueISA_EEEEEEE10hipError_tPvRmT3_T4_T5_T6_T7_T9_mT8_P12ihipStream_tbDpT10_ENKUlT_T0_E_clISt17integral_constantIbLb1EES1I_IbLb0EEEEDaS1E_S1F_EUlS1E_E_NS1_11comp_targetILNS1_3genE9ELNS1_11target_archE1100ELNS1_3gpuE3ELNS1_3repE0EEENS1_30default_config_static_selectorELNS0_4arch9wavefront6targetE0EEEvT1_
; %bb.0:
	.section	.rodata,"a",@progbits
	.p2align	6, 0x0
	.amdhsa_kernel _ZN7rocprim17ROCPRIM_400000_NS6detail17trampoline_kernelINS0_14default_configENS1_25partition_config_selectorILNS1_17partition_subalgoE6EN6thrust23THRUST_200600_302600_NS5tupleIjjNS7_9null_typeES9_S9_S9_S9_S9_S9_S9_EENS0_10empty_typeEbEEZZNS1_14partition_implILS5_6ELb0ES3_mNS7_12zip_iteratorINS8_INS7_6detail15normal_iteratorINS7_10device_ptrIjEEEESJ_S9_S9_S9_S9_S9_S9_S9_S9_EEEEPSB_SM_NS0_5tupleIJNSE_INS8_ISJ_NS7_16discard_iteratorINS7_11use_defaultEEES9_S9_S9_S9_S9_S9_S9_S9_EEEESB_EEENSN_IJSM_SM_EEESB_PlJNSF_9not_fun_tINSF_14equal_to_valueISA_EEEEEEE10hipError_tPvRmT3_T4_T5_T6_T7_T9_mT8_P12ihipStream_tbDpT10_ENKUlT_T0_E_clISt17integral_constantIbLb1EES1I_IbLb0EEEEDaS1E_S1F_EUlS1E_E_NS1_11comp_targetILNS1_3genE9ELNS1_11target_archE1100ELNS1_3gpuE3ELNS1_3repE0EEENS1_30default_config_static_selectorELNS0_4arch9wavefront6targetE0EEEvT1_
		.amdhsa_group_segment_fixed_size 0
		.amdhsa_private_segment_fixed_size 0
		.amdhsa_kernarg_size 144
		.amdhsa_user_sgpr_count 2
		.amdhsa_user_sgpr_dispatch_ptr 0
		.amdhsa_user_sgpr_queue_ptr 0
		.amdhsa_user_sgpr_kernarg_segment_ptr 1
		.amdhsa_user_sgpr_dispatch_id 0
		.amdhsa_user_sgpr_private_segment_size 0
		.amdhsa_wavefront_size32 1
		.amdhsa_uses_dynamic_stack 0
		.amdhsa_enable_private_segment 0
		.amdhsa_system_sgpr_workgroup_id_x 1
		.amdhsa_system_sgpr_workgroup_id_y 0
		.amdhsa_system_sgpr_workgroup_id_z 0
		.amdhsa_system_sgpr_workgroup_info 0
		.amdhsa_system_vgpr_workitem_id 0
		.amdhsa_next_free_vgpr 1
		.amdhsa_next_free_sgpr 1
		.amdhsa_reserve_vcc 0
		.amdhsa_float_round_mode_32 0
		.amdhsa_float_round_mode_16_64 0
		.amdhsa_float_denorm_mode_32 3
		.amdhsa_float_denorm_mode_16_64 3
		.amdhsa_fp16_overflow 0
		.amdhsa_workgroup_processor_mode 1
		.amdhsa_memory_ordered 1
		.amdhsa_forward_progress 1
		.amdhsa_inst_pref_size 0
		.amdhsa_round_robin_scheduling 0
		.amdhsa_exception_fp_ieee_invalid_op 0
		.amdhsa_exception_fp_denorm_src 0
		.amdhsa_exception_fp_ieee_div_zero 0
		.amdhsa_exception_fp_ieee_overflow 0
		.amdhsa_exception_fp_ieee_underflow 0
		.amdhsa_exception_fp_ieee_inexact 0
		.amdhsa_exception_int_div_zero 0
	.end_amdhsa_kernel
	.section	.text._ZN7rocprim17ROCPRIM_400000_NS6detail17trampoline_kernelINS0_14default_configENS1_25partition_config_selectorILNS1_17partition_subalgoE6EN6thrust23THRUST_200600_302600_NS5tupleIjjNS7_9null_typeES9_S9_S9_S9_S9_S9_S9_EENS0_10empty_typeEbEEZZNS1_14partition_implILS5_6ELb0ES3_mNS7_12zip_iteratorINS8_INS7_6detail15normal_iteratorINS7_10device_ptrIjEEEESJ_S9_S9_S9_S9_S9_S9_S9_S9_EEEEPSB_SM_NS0_5tupleIJNSE_INS8_ISJ_NS7_16discard_iteratorINS7_11use_defaultEEES9_S9_S9_S9_S9_S9_S9_S9_EEEESB_EEENSN_IJSM_SM_EEESB_PlJNSF_9not_fun_tINSF_14equal_to_valueISA_EEEEEEE10hipError_tPvRmT3_T4_T5_T6_T7_T9_mT8_P12ihipStream_tbDpT10_ENKUlT_T0_E_clISt17integral_constantIbLb1EES1I_IbLb0EEEEDaS1E_S1F_EUlS1E_E_NS1_11comp_targetILNS1_3genE9ELNS1_11target_archE1100ELNS1_3gpuE3ELNS1_3repE0EEENS1_30default_config_static_selectorELNS0_4arch9wavefront6targetE0EEEvT1_,"axG",@progbits,_ZN7rocprim17ROCPRIM_400000_NS6detail17trampoline_kernelINS0_14default_configENS1_25partition_config_selectorILNS1_17partition_subalgoE6EN6thrust23THRUST_200600_302600_NS5tupleIjjNS7_9null_typeES9_S9_S9_S9_S9_S9_S9_EENS0_10empty_typeEbEEZZNS1_14partition_implILS5_6ELb0ES3_mNS7_12zip_iteratorINS8_INS7_6detail15normal_iteratorINS7_10device_ptrIjEEEESJ_S9_S9_S9_S9_S9_S9_S9_S9_EEEEPSB_SM_NS0_5tupleIJNSE_INS8_ISJ_NS7_16discard_iteratorINS7_11use_defaultEEES9_S9_S9_S9_S9_S9_S9_S9_EEEESB_EEENSN_IJSM_SM_EEESB_PlJNSF_9not_fun_tINSF_14equal_to_valueISA_EEEEEEE10hipError_tPvRmT3_T4_T5_T6_T7_T9_mT8_P12ihipStream_tbDpT10_ENKUlT_T0_E_clISt17integral_constantIbLb1EES1I_IbLb0EEEEDaS1E_S1F_EUlS1E_E_NS1_11comp_targetILNS1_3genE9ELNS1_11target_archE1100ELNS1_3gpuE3ELNS1_3repE0EEENS1_30default_config_static_selectorELNS0_4arch9wavefront6targetE0EEEvT1_,comdat
.Lfunc_end1939:
	.size	_ZN7rocprim17ROCPRIM_400000_NS6detail17trampoline_kernelINS0_14default_configENS1_25partition_config_selectorILNS1_17partition_subalgoE6EN6thrust23THRUST_200600_302600_NS5tupleIjjNS7_9null_typeES9_S9_S9_S9_S9_S9_S9_EENS0_10empty_typeEbEEZZNS1_14partition_implILS5_6ELb0ES3_mNS7_12zip_iteratorINS8_INS7_6detail15normal_iteratorINS7_10device_ptrIjEEEESJ_S9_S9_S9_S9_S9_S9_S9_S9_EEEEPSB_SM_NS0_5tupleIJNSE_INS8_ISJ_NS7_16discard_iteratorINS7_11use_defaultEEES9_S9_S9_S9_S9_S9_S9_S9_EEEESB_EEENSN_IJSM_SM_EEESB_PlJNSF_9not_fun_tINSF_14equal_to_valueISA_EEEEEEE10hipError_tPvRmT3_T4_T5_T6_T7_T9_mT8_P12ihipStream_tbDpT10_ENKUlT_T0_E_clISt17integral_constantIbLb1EES1I_IbLb0EEEEDaS1E_S1F_EUlS1E_E_NS1_11comp_targetILNS1_3genE9ELNS1_11target_archE1100ELNS1_3gpuE3ELNS1_3repE0EEENS1_30default_config_static_selectorELNS0_4arch9wavefront6targetE0EEEvT1_, .Lfunc_end1939-_ZN7rocprim17ROCPRIM_400000_NS6detail17trampoline_kernelINS0_14default_configENS1_25partition_config_selectorILNS1_17partition_subalgoE6EN6thrust23THRUST_200600_302600_NS5tupleIjjNS7_9null_typeES9_S9_S9_S9_S9_S9_S9_EENS0_10empty_typeEbEEZZNS1_14partition_implILS5_6ELb0ES3_mNS7_12zip_iteratorINS8_INS7_6detail15normal_iteratorINS7_10device_ptrIjEEEESJ_S9_S9_S9_S9_S9_S9_S9_S9_EEEEPSB_SM_NS0_5tupleIJNSE_INS8_ISJ_NS7_16discard_iteratorINS7_11use_defaultEEES9_S9_S9_S9_S9_S9_S9_S9_EEEESB_EEENSN_IJSM_SM_EEESB_PlJNSF_9not_fun_tINSF_14equal_to_valueISA_EEEEEEE10hipError_tPvRmT3_T4_T5_T6_T7_T9_mT8_P12ihipStream_tbDpT10_ENKUlT_T0_E_clISt17integral_constantIbLb1EES1I_IbLb0EEEEDaS1E_S1F_EUlS1E_E_NS1_11comp_targetILNS1_3genE9ELNS1_11target_archE1100ELNS1_3gpuE3ELNS1_3repE0EEENS1_30default_config_static_selectorELNS0_4arch9wavefront6targetE0EEEvT1_
                                        ; -- End function
	.set _ZN7rocprim17ROCPRIM_400000_NS6detail17trampoline_kernelINS0_14default_configENS1_25partition_config_selectorILNS1_17partition_subalgoE6EN6thrust23THRUST_200600_302600_NS5tupleIjjNS7_9null_typeES9_S9_S9_S9_S9_S9_S9_EENS0_10empty_typeEbEEZZNS1_14partition_implILS5_6ELb0ES3_mNS7_12zip_iteratorINS8_INS7_6detail15normal_iteratorINS7_10device_ptrIjEEEESJ_S9_S9_S9_S9_S9_S9_S9_S9_EEEEPSB_SM_NS0_5tupleIJNSE_INS8_ISJ_NS7_16discard_iteratorINS7_11use_defaultEEES9_S9_S9_S9_S9_S9_S9_S9_EEEESB_EEENSN_IJSM_SM_EEESB_PlJNSF_9not_fun_tINSF_14equal_to_valueISA_EEEEEEE10hipError_tPvRmT3_T4_T5_T6_T7_T9_mT8_P12ihipStream_tbDpT10_ENKUlT_T0_E_clISt17integral_constantIbLb1EES1I_IbLb0EEEEDaS1E_S1F_EUlS1E_E_NS1_11comp_targetILNS1_3genE9ELNS1_11target_archE1100ELNS1_3gpuE3ELNS1_3repE0EEENS1_30default_config_static_selectorELNS0_4arch9wavefront6targetE0EEEvT1_.num_vgpr, 0
	.set _ZN7rocprim17ROCPRIM_400000_NS6detail17trampoline_kernelINS0_14default_configENS1_25partition_config_selectorILNS1_17partition_subalgoE6EN6thrust23THRUST_200600_302600_NS5tupleIjjNS7_9null_typeES9_S9_S9_S9_S9_S9_S9_EENS0_10empty_typeEbEEZZNS1_14partition_implILS5_6ELb0ES3_mNS7_12zip_iteratorINS8_INS7_6detail15normal_iteratorINS7_10device_ptrIjEEEESJ_S9_S9_S9_S9_S9_S9_S9_S9_EEEEPSB_SM_NS0_5tupleIJNSE_INS8_ISJ_NS7_16discard_iteratorINS7_11use_defaultEEES9_S9_S9_S9_S9_S9_S9_S9_EEEESB_EEENSN_IJSM_SM_EEESB_PlJNSF_9not_fun_tINSF_14equal_to_valueISA_EEEEEEE10hipError_tPvRmT3_T4_T5_T6_T7_T9_mT8_P12ihipStream_tbDpT10_ENKUlT_T0_E_clISt17integral_constantIbLb1EES1I_IbLb0EEEEDaS1E_S1F_EUlS1E_E_NS1_11comp_targetILNS1_3genE9ELNS1_11target_archE1100ELNS1_3gpuE3ELNS1_3repE0EEENS1_30default_config_static_selectorELNS0_4arch9wavefront6targetE0EEEvT1_.num_agpr, 0
	.set _ZN7rocprim17ROCPRIM_400000_NS6detail17trampoline_kernelINS0_14default_configENS1_25partition_config_selectorILNS1_17partition_subalgoE6EN6thrust23THRUST_200600_302600_NS5tupleIjjNS7_9null_typeES9_S9_S9_S9_S9_S9_S9_EENS0_10empty_typeEbEEZZNS1_14partition_implILS5_6ELb0ES3_mNS7_12zip_iteratorINS8_INS7_6detail15normal_iteratorINS7_10device_ptrIjEEEESJ_S9_S9_S9_S9_S9_S9_S9_S9_EEEEPSB_SM_NS0_5tupleIJNSE_INS8_ISJ_NS7_16discard_iteratorINS7_11use_defaultEEES9_S9_S9_S9_S9_S9_S9_S9_EEEESB_EEENSN_IJSM_SM_EEESB_PlJNSF_9not_fun_tINSF_14equal_to_valueISA_EEEEEEE10hipError_tPvRmT3_T4_T5_T6_T7_T9_mT8_P12ihipStream_tbDpT10_ENKUlT_T0_E_clISt17integral_constantIbLb1EES1I_IbLb0EEEEDaS1E_S1F_EUlS1E_E_NS1_11comp_targetILNS1_3genE9ELNS1_11target_archE1100ELNS1_3gpuE3ELNS1_3repE0EEENS1_30default_config_static_selectorELNS0_4arch9wavefront6targetE0EEEvT1_.numbered_sgpr, 0
	.set _ZN7rocprim17ROCPRIM_400000_NS6detail17trampoline_kernelINS0_14default_configENS1_25partition_config_selectorILNS1_17partition_subalgoE6EN6thrust23THRUST_200600_302600_NS5tupleIjjNS7_9null_typeES9_S9_S9_S9_S9_S9_S9_EENS0_10empty_typeEbEEZZNS1_14partition_implILS5_6ELb0ES3_mNS7_12zip_iteratorINS8_INS7_6detail15normal_iteratorINS7_10device_ptrIjEEEESJ_S9_S9_S9_S9_S9_S9_S9_S9_EEEEPSB_SM_NS0_5tupleIJNSE_INS8_ISJ_NS7_16discard_iteratorINS7_11use_defaultEEES9_S9_S9_S9_S9_S9_S9_S9_EEEESB_EEENSN_IJSM_SM_EEESB_PlJNSF_9not_fun_tINSF_14equal_to_valueISA_EEEEEEE10hipError_tPvRmT3_T4_T5_T6_T7_T9_mT8_P12ihipStream_tbDpT10_ENKUlT_T0_E_clISt17integral_constantIbLb1EES1I_IbLb0EEEEDaS1E_S1F_EUlS1E_E_NS1_11comp_targetILNS1_3genE9ELNS1_11target_archE1100ELNS1_3gpuE3ELNS1_3repE0EEENS1_30default_config_static_selectorELNS0_4arch9wavefront6targetE0EEEvT1_.num_named_barrier, 0
	.set _ZN7rocprim17ROCPRIM_400000_NS6detail17trampoline_kernelINS0_14default_configENS1_25partition_config_selectorILNS1_17partition_subalgoE6EN6thrust23THRUST_200600_302600_NS5tupleIjjNS7_9null_typeES9_S9_S9_S9_S9_S9_S9_EENS0_10empty_typeEbEEZZNS1_14partition_implILS5_6ELb0ES3_mNS7_12zip_iteratorINS8_INS7_6detail15normal_iteratorINS7_10device_ptrIjEEEESJ_S9_S9_S9_S9_S9_S9_S9_S9_EEEEPSB_SM_NS0_5tupleIJNSE_INS8_ISJ_NS7_16discard_iteratorINS7_11use_defaultEEES9_S9_S9_S9_S9_S9_S9_S9_EEEESB_EEENSN_IJSM_SM_EEESB_PlJNSF_9not_fun_tINSF_14equal_to_valueISA_EEEEEEE10hipError_tPvRmT3_T4_T5_T6_T7_T9_mT8_P12ihipStream_tbDpT10_ENKUlT_T0_E_clISt17integral_constantIbLb1EES1I_IbLb0EEEEDaS1E_S1F_EUlS1E_E_NS1_11comp_targetILNS1_3genE9ELNS1_11target_archE1100ELNS1_3gpuE3ELNS1_3repE0EEENS1_30default_config_static_selectorELNS0_4arch9wavefront6targetE0EEEvT1_.private_seg_size, 0
	.set _ZN7rocprim17ROCPRIM_400000_NS6detail17trampoline_kernelINS0_14default_configENS1_25partition_config_selectorILNS1_17partition_subalgoE6EN6thrust23THRUST_200600_302600_NS5tupleIjjNS7_9null_typeES9_S9_S9_S9_S9_S9_S9_EENS0_10empty_typeEbEEZZNS1_14partition_implILS5_6ELb0ES3_mNS7_12zip_iteratorINS8_INS7_6detail15normal_iteratorINS7_10device_ptrIjEEEESJ_S9_S9_S9_S9_S9_S9_S9_S9_EEEEPSB_SM_NS0_5tupleIJNSE_INS8_ISJ_NS7_16discard_iteratorINS7_11use_defaultEEES9_S9_S9_S9_S9_S9_S9_S9_EEEESB_EEENSN_IJSM_SM_EEESB_PlJNSF_9not_fun_tINSF_14equal_to_valueISA_EEEEEEE10hipError_tPvRmT3_T4_T5_T6_T7_T9_mT8_P12ihipStream_tbDpT10_ENKUlT_T0_E_clISt17integral_constantIbLb1EES1I_IbLb0EEEEDaS1E_S1F_EUlS1E_E_NS1_11comp_targetILNS1_3genE9ELNS1_11target_archE1100ELNS1_3gpuE3ELNS1_3repE0EEENS1_30default_config_static_selectorELNS0_4arch9wavefront6targetE0EEEvT1_.uses_vcc, 0
	.set _ZN7rocprim17ROCPRIM_400000_NS6detail17trampoline_kernelINS0_14default_configENS1_25partition_config_selectorILNS1_17partition_subalgoE6EN6thrust23THRUST_200600_302600_NS5tupleIjjNS7_9null_typeES9_S9_S9_S9_S9_S9_S9_EENS0_10empty_typeEbEEZZNS1_14partition_implILS5_6ELb0ES3_mNS7_12zip_iteratorINS8_INS7_6detail15normal_iteratorINS7_10device_ptrIjEEEESJ_S9_S9_S9_S9_S9_S9_S9_S9_EEEEPSB_SM_NS0_5tupleIJNSE_INS8_ISJ_NS7_16discard_iteratorINS7_11use_defaultEEES9_S9_S9_S9_S9_S9_S9_S9_EEEESB_EEENSN_IJSM_SM_EEESB_PlJNSF_9not_fun_tINSF_14equal_to_valueISA_EEEEEEE10hipError_tPvRmT3_T4_T5_T6_T7_T9_mT8_P12ihipStream_tbDpT10_ENKUlT_T0_E_clISt17integral_constantIbLb1EES1I_IbLb0EEEEDaS1E_S1F_EUlS1E_E_NS1_11comp_targetILNS1_3genE9ELNS1_11target_archE1100ELNS1_3gpuE3ELNS1_3repE0EEENS1_30default_config_static_selectorELNS0_4arch9wavefront6targetE0EEEvT1_.uses_flat_scratch, 0
	.set _ZN7rocprim17ROCPRIM_400000_NS6detail17trampoline_kernelINS0_14default_configENS1_25partition_config_selectorILNS1_17partition_subalgoE6EN6thrust23THRUST_200600_302600_NS5tupleIjjNS7_9null_typeES9_S9_S9_S9_S9_S9_S9_EENS0_10empty_typeEbEEZZNS1_14partition_implILS5_6ELb0ES3_mNS7_12zip_iteratorINS8_INS7_6detail15normal_iteratorINS7_10device_ptrIjEEEESJ_S9_S9_S9_S9_S9_S9_S9_S9_EEEEPSB_SM_NS0_5tupleIJNSE_INS8_ISJ_NS7_16discard_iteratorINS7_11use_defaultEEES9_S9_S9_S9_S9_S9_S9_S9_EEEESB_EEENSN_IJSM_SM_EEESB_PlJNSF_9not_fun_tINSF_14equal_to_valueISA_EEEEEEE10hipError_tPvRmT3_T4_T5_T6_T7_T9_mT8_P12ihipStream_tbDpT10_ENKUlT_T0_E_clISt17integral_constantIbLb1EES1I_IbLb0EEEEDaS1E_S1F_EUlS1E_E_NS1_11comp_targetILNS1_3genE9ELNS1_11target_archE1100ELNS1_3gpuE3ELNS1_3repE0EEENS1_30default_config_static_selectorELNS0_4arch9wavefront6targetE0EEEvT1_.has_dyn_sized_stack, 0
	.set _ZN7rocprim17ROCPRIM_400000_NS6detail17trampoline_kernelINS0_14default_configENS1_25partition_config_selectorILNS1_17partition_subalgoE6EN6thrust23THRUST_200600_302600_NS5tupleIjjNS7_9null_typeES9_S9_S9_S9_S9_S9_S9_EENS0_10empty_typeEbEEZZNS1_14partition_implILS5_6ELb0ES3_mNS7_12zip_iteratorINS8_INS7_6detail15normal_iteratorINS7_10device_ptrIjEEEESJ_S9_S9_S9_S9_S9_S9_S9_S9_EEEEPSB_SM_NS0_5tupleIJNSE_INS8_ISJ_NS7_16discard_iteratorINS7_11use_defaultEEES9_S9_S9_S9_S9_S9_S9_S9_EEEESB_EEENSN_IJSM_SM_EEESB_PlJNSF_9not_fun_tINSF_14equal_to_valueISA_EEEEEEE10hipError_tPvRmT3_T4_T5_T6_T7_T9_mT8_P12ihipStream_tbDpT10_ENKUlT_T0_E_clISt17integral_constantIbLb1EES1I_IbLb0EEEEDaS1E_S1F_EUlS1E_E_NS1_11comp_targetILNS1_3genE9ELNS1_11target_archE1100ELNS1_3gpuE3ELNS1_3repE0EEENS1_30default_config_static_selectorELNS0_4arch9wavefront6targetE0EEEvT1_.has_recursion, 0
	.set _ZN7rocprim17ROCPRIM_400000_NS6detail17trampoline_kernelINS0_14default_configENS1_25partition_config_selectorILNS1_17partition_subalgoE6EN6thrust23THRUST_200600_302600_NS5tupleIjjNS7_9null_typeES9_S9_S9_S9_S9_S9_S9_EENS0_10empty_typeEbEEZZNS1_14partition_implILS5_6ELb0ES3_mNS7_12zip_iteratorINS8_INS7_6detail15normal_iteratorINS7_10device_ptrIjEEEESJ_S9_S9_S9_S9_S9_S9_S9_S9_EEEEPSB_SM_NS0_5tupleIJNSE_INS8_ISJ_NS7_16discard_iteratorINS7_11use_defaultEEES9_S9_S9_S9_S9_S9_S9_S9_EEEESB_EEENSN_IJSM_SM_EEESB_PlJNSF_9not_fun_tINSF_14equal_to_valueISA_EEEEEEE10hipError_tPvRmT3_T4_T5_T6_T7_T9_mT8_P12ihipStream_tbDpT10_ENKUlT_T0_E_clISt17integral_constantIbLb1EES1I_IbLb0EEEEDaS1E_S1F_EUlS1E_E_NS1_11comp_targetILNS1_3genE9ELNS1_11target_archE1100ELNS1_3gpuE3ELNS1_3repE0EEENS1_30default_config_static_selectorELNS0_4arch9wavefront6targetE0EEEvT1_.has_indirect_call, 0
	.section	.AMDGPU.csdata,"",@progbits
; Kernel info:
; codeLenInByte = 0
; TotalNumSgprs: 0
; NumVgprs: 0
; ScratchSize: 0
; MemoryBound: 0
; FloatMode: 240
; IeeeMode: 1
; LDSByteSize: 0 bytes/workgroup (compile time only)
; SGPRBlocks: 0
; VGPRBlocks: 0
; NumSGPRsForWavesPerEU: 1
; NumVGPRsForWavesPerEU: 1
; Occupancy: 16
; WaveLimiterHint : 0
; COMPUTE_PGM_RSRC2:SCRATCH_EN: 0
; COMPUTE_PGM_RSRC2:USER_SGPR: 2
; COMPUTE_PGM_RSRC2:TRAP_HANDLER: 0
; COMPUTE_PGM_RSRC2:TGID_X_EN: 1
; COMPUTE_PGM_RSRC2:TGID_Y_EN: 0
; COMPUTE_PGM_RSRC2:TGID_Z_EN: 0
; COMPUTE_PGM_RSRC2:TIDIG_COMP_CNT: 0
	.section	.text._ZN7rocprim17ROCPRIM_400000_NS6detail17trampoline_kernelINS0_14default_configENS1_25partition_config_selectorILNS1_17partition_subalgoE6EN6thrust23THRUST_200600_302600_NS5tupleIjjNS7_9null_typeES9_S9_S9_S9_S9_S9_S9_EENS0_10empty_typeEbEEZZNS1_14partition_implILS5_6ELb0ES3_mNS7_12zip_iteratorINS8_INS7_6detail15normal_iteratorINS7_10device_ptrIjEEEESJ_S9_S9_S9_S9_S9_S9_S9_S9_EEEEPSB_SM_NS0_5tupleIJNSE_INS8_ISJ_NS7_16discard_iteratorINS7_11use_defaultEEES9_S9_S9_S9_S9_S9_S9_S9_EEEESB_EEENSN_IJSM_SM_EEESB_PlJNSF_9not_fun_tINSF_14equal_to_valueISA_EEEEEEE10hipError_tPvRmT3_T4_T5_T6_T7_T9_mT8_P12ihipStream_tbDpT10_ENKUlT_T0_E_clISt17integral_constantIbLb1EES1I_IbLb0EEEEDaS1E_S1F_EUlS1E_E_NS1_11comp_targetILNS1_3genE8ELNS1_11target_archE1030ELNS1_3gpuE2ELNS1_3repE0EEENS1_30default_config_static_selectorELNS0_4arch9wavefront6targetE0EEEvT1_,"axG",@progbits,_ZN7rocprim17ROCPRIM_400000_NS6detail17trampoline_kernelINS0_14default_configENS1_25partition_config_selectorILNS1_17partition_subalgoE6EN6thrust23THRUST_200600_302600_NS5tupleIjjNS7_9null_typeES9_S9_S9_S9_S9_S9_S9_EENS0_10empty_typeEbEEZZNS1_14partition_implILS5_6ELb0ES3_mNS7_12zip_iteratorINS8_INS7_6detail15normal_iteratorINS7_10device_ptrIjEEEESJ_S9_S9_S9_S9_S9_S9_S9_S9_EEEEPSB_SM_NS0_5tupleIJNSE_INS8_ISJ_NS7_16discard_iteratorINS7_11use_defaultEEES9_S9_S9_S9_S9_S9_S9_S9_EEEESB_EEENSN_IJSM_SM_EEESB_PlJNSF_9not_fun_tINSF_14equal_to_valueISA_EEEEEEE10hipError_tPvRmT3_T4_T5_T6_T7_T9_mT8_P12ihipStream_tbDpT10_ENKUlT_T0_E_clISt17integral_constantIbLb1EES1I_IbLb0EEEEDaS1E_S1F_EUlS1E_E_NS1_11comp_targetILNS1_3genE8ELNS1_11target_archE1030ELNS1_3gpuE2ELNS1_3repE0EEENS1_30default_config_static_selectorELNS0_4arch9wavefront6targetE0EEEvT1_,comdat
	.protected	_ZN7rocprim17ROCPRIM_400000_NS6detail17trampoline_kernelINS0_14default_configENS1_25partition_config_selectorILNS1_17partition_subalgoE6EN6thrust23THRUST_200600_302600_NS5tupleIjjNS7_9null_typeES9_S9_S9_S9_S9_S9_S9_EENS0_10empty_typeEbEEZZNS1_14partition_implILS5_6ELb0ES3_mNS7_12zip_iteratorINS8_INS7_6detail15normal_iteratorINS7_10device_ptrIjEEEESJ_S9_S9_S9_S9_S9_S9_S9_S9_EEEEPSB_SM_NS0_5tupleIJNSE_INS8_ISJ_NS7_16discard_iteratorINS7_11use_defaultEEES9_S9_S9_S9_S9_S9_S9_S9_EEEESB_EEENSN_IJSM_SM_EEESB_PlJNSF_9not_fun_tINSF_14equal_to_valueISA_EEEEEEE10hipError_tPvRmT3_T4_T5_T6_T7_T9_mT8_P12ihipStream_tbDpT10_ENKUlT_T0_E_clISt17integral_constantIbLb1EES1I_IbLb0EEEEDaS1E_S1F_EUlS1E_E_NS1_11comp_targetILNS1_3genE8ELNS1_11target_archE1030ELNS1_3gpuE2ELNS1_3repE0EEENS1_30default_config_static_selectorELNS0_4arch9wavefront6targetE0EEEvT1_ ; -- Begin function _ZN7rocprim17ROCPRIM_400000_NS6detail17trampoline_kernelINS0_14default_configENS1_25partition_config_selectorILNS1_17partition_subalgoE6EN6thrust23THRUST_200600_302600_NS5tupleIjjNS7_9null_typeES9_S9_S9_S9_S9_S9_S9_EENS0_10empty_typeEbEEZZNS1_14partition_implILS5_6ELb0ES3_mNS7_12zip_iteratorINS8_INS7_6detail15normal_iteratorINS7_10device_ptrIjEEEESJ_S9_S9_S9_S9_S9_S9_S9_S9_EEEEPSB_SM_NS0_5tupleIJNSE_INS8_ISJ_NS7_16discard_iteratorINS7_11use_defaultEEES9_S9_S9_S9_S9_S9_S9_S9_EEEESB_EEENSN_IJSM_SM_EEESB_PlJNSF_9not_fun_tINSF_14equal_to_valueISA_EEEEEEE10hipError_tPvRmT3_T4_T5_T6_T7_T9_mT8_P12ihipStream_tbDpT10_ENKUlT_T0_E_clISt17integral_constantIbLb1EES1I_IbLb0EEEEDaS1E_S1F_EUlS1E_E_NS1_11comp_targetILNS1_3genE8ELNS1_11target_archE1030ELNS1_3gpuE2ELNS1_3repE0EEENS1_30default_config_static_selectorELNS0_4arch9wavefront6targetE0EEEvT1_
	.globl	_ZN7rocprim17ROCPRIM_400000_NS6detail17trampoline_kernelINS0_14default_configENS1_25partition_config_selectorILNS1_17partition_subalgoE6EN6thrust23THRUST_200600_302600_NS5tupleIjjNS7_9null_typeES9_S9_S9_S9_S9_S9_S9_EENS0_10empty_typeEbEEZZNS1_14partition_implILS5_6ELb0ES3_mNS7_12zip_iteratorINS8_INS7_6detail15normal_iteratorINS7_10device_ptrIjEEEESJ_S9_S9_S9_S9_S9_S9_S9_S9_EEEEPSB_SM_NS0_5tupleIJNSE_INS8_ISJ_NS7_16discard_iteratorINS7_11use_defaultEEES9_S9_S9_S9_S9_S9_S9_S9_EEEESB_EEENSN_IJSM_SM_EEESB_PlJNSF_9not_fun_tINSF_14equal_to_valueISA_EEEEEEE10hipError_tPvRmT3_T4_T5_T6_T7_T9_mT8_P12ihipStream_tbDpT10_ENKUlT_T0_E_clISt17integral_constantIbLb1EES1I_IbLb0EEEEDaS1E_S1F_EUlS1E_E_NS1_11comp_targetILNS1_3genE8ELNS1_11target_archE1030ELNS1_3gpuE2ELNS1_3repE0EEENS1_30default_config_static_selectorELNS0_4arch9wavefront6targetE0EEEvT1_
	.p2align	8
	.type	_ZN7rocprim17ROCPRIM_400000_NS6detail17trampoline_kernelINS0_14default_configENS1_25partition_config_selectorILNS1_17partition_subalgoE6EN6thrust23THRUST_200600_302600_NS5tupleIjjNS7_9null_typeES9_S9_S9_S9_S9_S9_S9_EENS0_10empty_typeEbEEZZNS1_14partition_implILS5_6ELb0ES3_mNS7_12zip_iteratorINS8_INS7_6detail15normal_iteratorINS7_10device_ptrIjEEEESJ_S9_S9_S9_S9_S9_S9_S9_S9_EEEEPSB_SM_NS0_5tupleIJNSE_INS8_ISJ_NS7_16discard_iteratorINS7_11use_defaultEEES9_S9_S9_S9_S9_S9_S9_S9_EEEESB_EEENSN_IJSM_SM_EEESB_PlJNSF_9not_fun_tINSF_14equal_to_valueISA_EEEEEEE10hipError_tPvRmT3_T4_T5_T6_T7_T9_mT8_P12ihipStream_tbDpT10_ENKUlT_T0_E_clISt17integral_constantIbLb1EES1I_IbLb0EEEEDaS1E_S1F_EUlS1E_E_NS1_11comp_targetILNS1_3genE8ELNS1_11target_archE1030ELNS1_3gpuE2ELNS1_3repE0EEENS1_30default_config_static_selectorELNS0_4arch9wavefront6targetE0EEEvT1_,@function
_ZN7rocprim17ROCPRIM_400000_NS6detail17trampoline_kernelINS0_14default_configENS1_25partition_config_selectorILNS1_17partition_subalgoE6EN6thrust23THRUST_200600_302600_NS5tupleIjjNS7_9null_typeES9_S9_S9_S9_S9_S9_S9_EENS0_10empty_typeEbEEZZNS1_14partition_implILS5_6ELb0ES3_mNS7_12zip_iteratorINS8_INS7_6detail15normal_iteratorINS7_10device_ptrIjEEEESJ_S9_S9_S9_S9_S9_S9_S9_S9_EEEEPSB_SM_NS0_5tupleIJNSE_INS8_ISJ_NS7_16discard_iteratorINS7_11use_defaultEEES9_S9_S9_S9_S9_S9_S9_S9_EEEESB_EEENSN_IJSM_SM_EEESB_PlJNSF_9not_fun_tINSF_14equal_to_valueISA_EEEEEEE10hipError_tPvRmT3_T4_T5_T6_T7_T9_mT8_P12ihipStream_tbDpT10_ENKUlT_T0_E_clISt17integral_constantIbLb1EES1I_IbLb0EEEEDaS1E_S1F_EUlS1E_E_NS1_11comp_targetILNS1_3genE8ELNS1_11target_archE1030ELNS1_3gpuE2ELNS1_3repE0EEENS1_30default_config_static_selectorELNS0_4arch9wavefront6targetE0EEEvT1_: ; @_ZN7rocprim17ROCPRIM_400000_NS6detail17trampoline_kernelINS0_14default_configENS1_25partition_config_selectorILNS1_17partition_subalgoE6EN6thrust23THRUST_200600_302600_NS5tupleIjjNS7_9null_typeES9_S9_S9_S9_S9_S9_S9_EENS0_10empty_typeEbEEZZNS1_14partition_implILS5_6ELb0ES3_mNS7_12zip_iteratorINS8_INS7_6detail15normal_iteratorINS7_10device_ptrIjEEEESJ_S9_S9_S9_S9_S9_S9_S9_S9_EEEEPSB_SM_NS0_5tupleIJNSE_INS8_ISJ_NS7_16discard_iteratorINS7_11use_defaultEEES9_S9_S9_S9_S9_S9_S9_S9_EEEESB_EEENSN_IJSM_SM_EEESB_PlJNSF_9not_fun_tINSF_14equal_to_valueISA_EEEEEEE10hipError_tPvRmT3_T4_T5_T6_T7_T9_mT8_P12ihipStream_tbDpT10_ENKUlT_T0_E_clISt17integral_constantIbLb1EES1I_IbLb0EEEEDaS1E_S1F_EUlS1E_E_NS1_11comp_targetILNS1_3genE8ELNS1_11target_archE1030ELNS1_3gpuE2ELNS1_3repE0EEENS1_30default_config_static_selectorELNS0_4arch9wavefront6targetE0EEEvT1_
; %bb.0:
	.section	.rodata,"a",@progbits
	.p2align	6, 0x0
	.amdhsa_kernel _ZN7rocprim17ROCPRIM_400000_NS6detail17trampoline_kernelINS0_14default_configENS1_25partition_config_selectorILNS1_17partition_subalgoE6EN6thrust23THRUST_200600_302600_NS5tupleIjjNS7_9null_typeES9_S9_S9_S9_S9_S9_S9_EENS0_10empty_typeEbEEZZNS1_14partition_implILS5_6ELb0ES3_mNS7_12zip_iteratorINS8_INS7_6detail15normal_iteratorINS7_10device_ptrIjEEEESJ_S9_S9_S9_S9_S9_S9_S9_S9_EEEEPSB_SM_NS0_5tupleIJNSE_INS8_ISJ_NS7_16discard_iteratorINS7_11use_defaultEEES9_S9_S9_S9_S9_S9_S9_S9_EEEESB_EEENSN_IJSM_SM_EEESB_PlJNSF_9not_fun_tINSF_14equal_to_valueISA_EEEEEEE10hipError_tPvRmT3_T4_T5_T6_T7_T9_mT8_P12ihipStream_tbDpT10_ENKUlT_T0_E_clISt17integral_constantIbLb1EES1I_IbLb0EEEEDaS1E_S1F_EUlS1E_E_NS1_11comp_targetILNS1_3genE8ELNS1_11target_archE1030ELNS1_3gpuE2ELNS1_3repE0EEENS1_30default_config_static_selectorELNS0_4arch9wavefront6targetE0EEEvT1_
		.amdhsa_group_segment_fixed_size 0
		.amdhsa_private_segment_fixed_size 0
		.amdhsa_kernarg_size 144
		.amdhsa_user_sgpr_count 2
		.amdhsa_user_sgpr_dispatch_ptr 0
		.amdhsa_user_sgpr_queue_ptr 0
		.amdhsa_user_sgpr_kernarg_segment_ptr 1
		.amdhsa_user_sgpr_dispatch_id 0
		.amdhsa_user_sgpr_private_segment_size 0
		.amdhsa_wavefront_size32 1
		.amdhsa_uses_dynamic_stack 0
		.amdhsa_enable_private_segment 0
		.amdhsa_system_sgpr_workgroup_id_x 1
		.amdhsa_system_sgpr_workgroup_id_y 0
		.amdhsa_system_sgpr_workgroup_id_z 0
		.amdhsa_system_sgpr_workgroup_info 0
		.amdhsa_system_vgpr_workitem_id 0
		.amdhsa_next_free_vgpr 1
		.amdhsa_next_free_sgpr 1
		.amdhsa_reserve_vcc 0
		.amdhsa_float_round_mode_32 0
		.amdhsa_float_round_mode_16_64 0
		.amdhsa_float_denorm_mode_32 3
		.amdhsa_float_denorm_mode_16_64 3
		.amdhsa_fp16_overflow 0
		.amdhsa_workgroup_processor_mode 1
		.amdhsa_memory_ordered 1
		.amdhsa_forward_progress 1
		.amdhsa_inst_pref_size 0
		.amdhsa_round_robin_scheduling 0
		.amdhsa_exception_fp_ieee_invalid_op 0
		.amdhsa_exception_fp_denorm_src 0
		.amdhsa_exception_fp_ieee_div_zero 0
		.amdhsa_exception_fp_ieee_overflow 0
		.amdhsa_exception_fp_ieee_underflow 0
		.amdhsa_exception_fp_ieee_inexact 0
		.amdhsa_exception_int_div_zero 0
	.end_amdhsa_kernel
	.section	.text._ZN7rocprim17ROCPRIM_400000_NS6detail17trampoline_kernelINS0_14default_configENS1_25partition_config_selectorILNS1_17partition_subalgoE6EN6thrust23THRUST_200600_302600_NS5tupleIjjNS7_9null_typeES9_S9_S9_S9_S9_S9_S9_EENS0_10empty_typeEbEEZZNS1_14partition_implILS5_6ELb0ES3_mNS7_12zip_iteratorINS8_INS7_6detail15normal_iteratorINS7_10device_ptrIjEEEESJ_S9_S9_S9_S9_S9_S9_S9_S9_EEEEPSB_SM_NS0_5tupleIJNSE_INS8_ISJ_NS7_16discard_iteratorINS7_11use_defaultEEES9_S9_S9_S9_S9_S9_S9_S9_EEEESB_EEENSN_IJSM_SM_EEESB_PlJNSF_9not_fun_tINSF_14equal_to_valueISA_EEEEEEE10hipError_tPvRmT3_T4_T5_T6_T7_T9_mT8_P12ihipStream_tbDpT10_ENKUlT_T0_E_clISt17integral_constantIbLb1EES1I_IbLb0EEEEDaS1E_S1F_EUlS1E_E_NS1_11comp_targetILNS1_3genE8ELNS1_11target_archE1030ELNS1_3gpuE2ELNS1_3repE0EEENS1_30default_config_static_selectorELNS0_4arch9wavefront6targetE0EEEvT1_,"axG",@progbits,_ZN7rocprim17ROCPRIM_400000_NS6detail17trampoline_kernelINS0_14default_configENS1_25partition_config_selectorILNS1_17partition_subalgoE6EN6thrust23THRUST_200600_302600_NS5tupleIjjNS7_9null_typeES9_S9_S9_S9_S9_S9_S9_EENS0_10empty_typeEbEEZZNS1_14partition_implILS5_6ELb0ES3_mNS7_12zip_iteratorINS8_INS7_6detail15normal_iteratorINS7_10device_ptrIjEEEESJ_S9_S9_S9_S9_S9_S9_S9_S9_EEEEPSB_SM_NS0_5tupleIJNSE_INS8_ISJ_NS7_16discard_iteratorINS7_11use_defaultEEES9_S9_S9_S9_S9_S9_S9_S9_EEEESB_EEENSN_IJSM_SM_EEESB_PlJNSF_9not_fun_tINSF_14equal_to_valueISA_EEEEEEE10hipError_tPvRmT3_T4_T5_T6_T7_T9_mT8_P12ihipStream_tbDpT10_ENKUlT_T0_E_clISt17integral_constantIbLb1EES1I_IbLb0EEEEDaS1E_S1F_EUlS1E_E_NS1_11comp_targetILNS1_3genE8ELNS1_11target_archE1030ELNS1_3gpuE2ELNS1_3repE0EEENS1_30default_config_static_selectorELNS0_4arch9wavefront6targetE0EEEvT1_,comdat
.Lfunc_end1940:
	.size	_ZN7rocprim17ROCPRIM_400000_NS6detail17trampoline_kernelINS0_14default_configENS1_25partition_config_selectorILNS1_17partition_subalgoE6EN6thrust23THRUST_200600_302600_NS5tupleIjjNS7_9null_typeES9_S9_S9_S9_S9_S9_S9_EENS0_10empty_typeEbEEZZNS1_14partition_implILS5_6ELb0ES3_mNS7_12zip_iteratorINS8_INS7_6detail15normal_iteratorINS7_10device_ptrIjEEEESJ_S9_S9_S9_S9_S9_S9_S9_S9_EEEEPSB_SM_NS0_5tupleIJNSE_INS8_ISJ_NS7_16discard_iteratorINS7_11use_defaultEEES9_S9_S9_S9_S9_S9_S9_S9_EEEESB_EEENSN_IJSM_SM_EEESB_PlJNSF_9not_fun_tINSF_14equal_to_valueISA_EEEEEEE10hipError_tPvRmT3_T4_T5_T6_T7_T9_mT8_P12ihipStream_tbDpT10_ENKUlT_T0_E_clISt17integral_constantIbLb1EES1I_IbLb0EEEEDaS1E_S1F_EUlS1E_E_NS1_11comp_targetILNS1_3genE8ELNS1_11target_archE1030ELNS1_3gpuE2ELNS1_3repE0EEENS1_30default_config_static_selectorELNS0_4arch9wavefront6targetE0EEEvT1_, .Lfunc_end1940-_ZN7rocprim17ROCPRIM_400000_NS6detail17trampoline_kernelINS0_14default_configENS1_25partition_config_selectorILNS1_17partition_subalgoE6EN6thrust23THRUST_200600_302600_NS5tupleIjjNS7_9null_typeES9_S9_S9_S9_S9_S9_S9_EENS0_10empty_typeEbEEZZNS1_14partition_implILS5_6ELb0ES3_mNS7_12zip_iteratorINS8_INS7_6detail15normal_iteratorINS7_10device_ptrIjEEEESJ_S9_S9_S9_S9_S9_S9_S9_S9_EEEEPSB_SM_NS0_5tupleIJNSE_INS8_ISJ_NS7_16discard_iteratorINS7_11use_defaultEEES9_S9_S9_S9_S9_S9_S9_S9_EEEESB_EEENSN_IJSM_SM_EEESB_PlJNSF_9not_fun_tINSF_14equal_to_valueISA_EEEEEEE10hipError_tPvRmT3_T4_T5_T6_T7_T9_mT8_P12ihipStream_tbDpT10_ENKUlT_T0_E_clISt17integral_constantIbLb1EES1I_IbLb0EEEEDaS1E_S1F_EUlS1E_E_NS1_11comp_targetILNS1_3genE8ELNS1_11target_archE1030ELNS1_3gpuE2ELNS1_3repE0EEENS1_30default_config_static_selectorELNS0_4arch9wavefront6targetE0EEEvT1_
                                        ; -- End function
	.set _ZN7rocprim17ROCPRIM_400000_NS6detail17trampoline_kernelINS0_14default_configENS1_25partition_config_selectorILNS1_17partition_subalgoE6EN6thrust23THRUST_200600_302600_NS5tupleIjjNS7_9null_typeES9_S9_S9_S9_S9_S9_S9_EENS0_10empty_typeEbEEZZNS1_14partition_implILS5_6ELb0ES3_mNS7_12zip_iteratorINS8_INS7_6detail15normal_iteratorINS7_10device_ptrIjEEEESJ_S9_S9_S9_S9_S9_S9_S9_S9_EEEEPSB_SM_NS0_5tupleIJNSE_INS8_ISJ_NS7_16discard_iteratorINS7_11use_defaultEEES9_S9_S9_S9_S9_S9_S9_S9_EEEESB_EEENSN_IJSM_SM_EEESB_PlJNSF_9not_fun_tINSF_14equal_to_valueISA_EEEEEEE10hipError_tPvRmT3_T4_T5_T6_T7_T9_mT8_P12ihipStream_tbDpT10_ENKUlT_T0_E_clISt17integral_constantIbLb1EES1I_IbLb0EEEEDaS1E_S1F_EUlS1E_E_NS1_11comp_targetILNS1_3genE8ELNS1_11target_archE1030ELNS1_3gpuE2ELNS1_3repE0EEENS1_30default_config_static_selectorELNS0_4arch9wavefront6targetE0EEEvT1_.num_vgpr, 0
	.set _ZN7rocprim17ROCPRIM_400000_NS6detail17trampoline_kernelINS0_14default_configENS1_25partition_config_selectorILNS1_17partition_subalgoE6EN6thrust23THRUST_200600_302600_NS5tupleIjjNS7_9null_typeES9_S9_S9_S9_S9_S9_S9_EENS0_10empty_typeEbEEZZNS1_14partition_implILS5_6ELb0ES3_mNS7_12zip_iteratorINS8_INS7_6detail15normal_iteratorINS7_10device_ptrIjEEEESJ_S9_S9_S9_S9_S9_S9_S9_S9_EEEEPSB_SM_NS0_5tupleIJNSE_INS8_ISJ_NS7_16discard_iteratorINS7_11use_defaultEEES9_S9_S9_S9_S9_S9_S9_S9_EEEESB_EEENSN_IJSM_SM_EEESB_PlJNSF_9not_fun_tINSF_14equal_to_valueISA_EEEEEEE10hipError_tPvRmT3_T4_T5_T6_T7_T9_mT8_P12ihipStream_tbDpT10_ENKUlT_T0_E_clISt17integral_constantIbLb1EES1I_IbLb0EEEEDaS1E_S1F_EUlS1E_E_NS1_11comp_targetILNS1_3genE8ELNS1_11target_archE1030ELNS1_3gpuE2ELNS1_3repE0EEENS1_30default_config_static_selectorELNS0_4arch9wavefront6targetE0EEEvT1_.num_agpr, 0
	.set _ZN7rocprim17ROCPRIM_400000_NS6detail17trampoline_kernelINS0_14default_configENS1_25partition_config_selectorILNS1_17partition_subalgoE6EN6thrust23THRUST_200600_302600_NS5tupleIjjNS7_9null_typeES9_S9_S9_S9_S9_S9_S9_EENS0_10empty_typeEbEEZZNS1_14partition_implILS5_6ELb0ES3_mNS7_12zip_iteratorINS8_INS7_6detail15normal_iteratorINS7_10device_ptrIjEEEESJ_S9_S9_S9_S9_S9_S9_S9_S9_EEEEPSB_SM_NS0_5tupleIJNSE_INS8_ISJ_NS7_16discard_iteratorINS7_11use_defaultEEES9_S9_S9_S9_S9_S9_S9_S9_EEEESB_EEENSN_IJSM_SM_EEESB_PlJNSF_9not_fun_tINSF_14equal_to_valueISA_EEEEEEE10hipError_tPvRmT3_T4_T5_T6_T7_T9_mT8_P12ihipStream_tbDpT10_ENKUlT_T0_E_clISt17integral_constantIbLb1EES1I_IbLb0EEEEDaS1E_S1F_EUlS1E_E_NS1_11comp_targetILNS1_3genE8ELNS1_11target_archE1030ELNS1_3gpuE2ELNS1_3repE0EEENS1_30default_config_static_selectorELNS0_4arch9wavefront6targetE0EEEvT1_.numbered_sgpr, 0
	.set _ZN7rocprim17ROCPRIM_400000_NS6detail17trampoline_kernelINS0_14default_configENS1_25partition_config_selectorILNS1_17partition_subalgoE6EN6thrust23THRUST_200600_302600_NS5tupleIjjNS7_9null_typeES9_S9_S9_S9_S9_S9_S9_EENS0_10empty_typeEbEEZZNS1_14partition_implILS5_6ELb0ES3_mNS7_12zip_iteratorINS8_INS7_6detail15normal_iteratorINS7_10device_ptrIjEEEESJ_S9_S9_S9_S9_S9_S9_S9_S9_EEEEPSB_SM_NS0_5tupleIJNSE_INS8_ISJ_NS7_16discard_iteratorINS7_11use_defaultEEES9_S9_S9_S9_S9_S9_S9_S9_EEEESB_EEENSN_IJSM_SM_EEESB_PlJNSF_9not_fun_tINSF_14equal_to_valueISA_EEEEEEE10hipError_tPvRmT3_T4_T5_T6_T7_T9_mT8_P12ihipStream_tbDpT10_ENKUlT_T0_E_clISt17integral_constantIbLb1EES1I_IbLb0EEEEDaS1E_S1F_EUlS1E_E_NS1_11comp_targetILNS1_3genE8ELNS1_11target_archE1030ELNS1_3gpuE2ELNS1_3repE0EEENS1_30default_config_static_selectorELNS0_4arch9wavefront6targetE0EEEvT1_.num_named_barrier, 0
	.set _ZN7rocprim17ROCPRIM_400000_NS6detail17trampoline_kernelINS0_14default_configENS1_25partition_config_selectorILNS1_17partition_subalgoE6EN6thrust23THRUST_200600_302600_NS5tupleIjjNS7_9null_typeES9_S9_S9_S9_S9_S9_S9_EENS0_10empty_typeEbEEZZNS1_14partition_implILS5_6ELb0ES3_mNS7_12zip_iteratorINS8_INS7_6detail15normal_iteratorINS7_10device_ptrIjEEEESJ_S9_S9_S9_S9_S9_S9_S9_S9_EEEEPSB_SM_NS0_5tupleIJNSE_INS8_ISJ_NS7_16discard_iteratorINS7_11use_defaultEEES9_S9_S9_S9_S9_S9_S9_S9_EEEESB_EEENSN_IJSM_SM_EEESB_PlJNSF_9not_fun_tINSF_14equal_to_valueISA_EEEEEEE10hipError_tPvRmT3_T4_T5_T6_T7_T9_mT8_P12ihipStream_tbDpT10_ENKUlT_T0_E_clISt17integral_constantIbLb1EES1I_IbLb0EEEEDaS1E_S1F_EUlS1E_E_NS1_11comp_targetILNS1_3genE8ELNS1_11target_archE1030ELNS1_3gpuE2ELNS1_3repE0EEENS1_30default_config_static_selectorELNS0_4arch9wavefront6targetE0EEEvT1_.private_seg_size, 0
	.set _ZN7rocprim17ROCPRIM_400000_NS6detail17trampoline_kernelINS0_14default_configENS1_25partition_config_selectorILNS1_17partition_subalgoE6EN6thrust23THRUST_200600_302600_NS5tupleIjjNS7_9null_typeES9_S9_S9_S9_S9_S9_S9_EENS0_10empty_typeEbEEZZNS1_14partition_implILS5_6ELb0ES3_mNS7_12zip_iteratorINS8_INS7_6detail15normal_iteratorINS7_10device_ptrIjEEEESJ_S9_S9_S9_S9_S9_S9_S9_S9_EEEEPSB_SM_NS0_5tupleIJNSE_INS8_ISJ_NS7_16discard_iteratorINS7_11use_defaultEEES9_S9_S9_S9_S9_S9_S9_S9_EEEESB_EEENSN_IJSM_SM_EEESB_PlJNSF_9not_fun_tINSF_14equal_to_valueISA_EEEEEEE10hipError_tPvRmT3_T4_T5_T6_T7_T9_mT8_P12ihipStream_tbDpT10_ENKUlT_T0_E_clISt17integral_constantIbLb1EES1I_IbLb0EEEEDaS1E_S1F_EUlS1E_E_NS1_11comp_targetILNS1_3genE8ELNS1_11target_archE1030ELNS1_3gpuE2ELNS1_3repE0EEENS1_30default_config_static_selectorELNS0_4arch9wavefront6targetE0EEEvT1_.uses_vcc, 0
	.set _ZN7rocprim17ROCPRIM_400000_NS6detail17trampoline_kernelINS0_14default_configENS1_25partition_config_selectorILNS1_17partition_subalgoE6EN6thrust23THRUST_200600_302600_NS5tupleIjjNS7_9null_typeES9_S9_S9_S9_S9_S9_S9_EENS0_10empty_typeEbEEZZNS1_14partition_implILS5_6ELb0ES3_mNS7_12zip_iteratorINS8_INS7_6detail15normal_iteratorINS7_10device_ptrIjEEEESJ_S9_S9_S9_S9_S9_S9_S9_S9_EEEEPSB_SM_NS0_5tupleIJNSE_INS8_ISJ_NS7_16discard_iteratorINS7_11use_defaultEEES9_S9_S9_S9_S9_S9_S9_S9_EEEESB_EEENSN_IJSM_SM_EEESB_PlJNSF_9not_fun_tINSF_14equal_to_valueISA_EEEEEEE10hipError_tPvRmT3_T4_T5_T6_T7_T9_mT8_P12ihipStream_tbDpT10_ENKUlT_T0_E_clISt17integral_constantIbLb1EES1I_IbLb0EEEEDaS1E_S1F_EUlS1E_E_NS1_11comp_targetILNS1_3genE8ELNS1_11target_archE1030ELNS1_3gpuE2ELNS1_3repE0EEENS1_30default_config_static_selectorELNS0_4arch9wavefront6targetE0EEEvT1_.uses_flat_scratch, 0
	.set _ZN7rocprim17ROCPRIM_400000_NS6detail17trampoline_kernelINS0_14default_configENS1_25partition_config_selectorILNS1_17partition_subalgoE6EN6thrust23THRUST_200600_302600_NS5tupleIjjNS7_9null_typeES9_S9_S9_S9_S9_S9_S9_EENS0_10empty_typeEbEEZZNS1_14partition_implILS5_6ELb0ES3_mNS7_12zip_iteratorINS8_INS7_6detail15normal_iteratorINS7_10device_ptrIjEEEESJ_S9_S9_S9_S9_S9_S9_S9_S9_EEEEPSB_SM_NS0_5tupleIJNSE_INS8_ISJ_NS7_16discard_iteratorINS7_11use_defaultEEES9_S9_S9_S9_S9_S9_S9_S9_EEEESB_EEENSN_IJSM_SM_EEESB_PlJNSF_9not_fun_tINSF_14equal_to_valueISA_EEEEEEE10hipError_tPvRmT3_T4_T5_T6_T7_T9_mT8_P12ihipStream_tbDpT10_ENKUlT_T0_E_clISt17integral_constantIbLb1EES1I_IbLb0EEEEDaS1E_S1F_EUlS1E_E_NS1_11comp_targetILNS1_3genE8ELNS1_11target_archE1030ELNS1_3gpuE2ELNS1_3repE0EEENS1_30default_config_static_selectorELNS0_4arch9wavefront6targetE0EEEvT1_.has_dyn_sized_stack, 0
	.set _ZN7rocprim17ROCPRIM_400000_NS6detail17trampoline_kernelINS0_14default_configENS1_25partition_config_selectorILNS1_17partition_subalgoE6EN6thrust23THRUST_200600_302600_NS5tupleIjjNS7_9null_typeES9_S9_S9_S9_S9_S9_S9_EENS0_10empty_typeEbEEZZNS1_14partition_implILS5_6ELb0ES3_mNS7_12zip_iteratorINS8_INS7_6detail15normal_iteratorINS7_10device_ptrIjEEEESJ_S9_S9_S9_S9_S9_S9_S9_S9_EEEEPSB_SM_NS0_5tupleIJNSE_INS8_ISJ_NS7_16discard_iteratorINS7_11use_defaultEEES9_S9_S9_S9_S9_S9_S9_S9_EEEESB_EEENSN_IJSM_SM_EEESB_PlJNSF_9not_fun_tINSF_14equal_to_valueISA_EEEEEEE10hipError_tPvRmT3_T4_T5_T6_T7_T9_mT8_P12ihipStream_tbDpT10_ENKUlT_T0_E_clISt17integral_constantIbLb1EES1I_IbLb0EEEEDaS1E_S1F_EUlS1E_E_NS1_11comp_targetILNS1_3genE8ELNS1_11target_archE1030ELNS1_3gpuE2ELNS1_3repE0EEENS1_30default_config_static_selectorELNS0_4arch9wavefront6targetE0EEEvT1_.has_recursion, 0
	.set _ZN7rocprim17ROCPRIM_400000_NS6detail17trampoline_kernelINS0_14default_configENS1_25partition_config_selectorILNS1_17partition_subalgoE6EN6thrust23THRUST_200600_302600_NS5tupleIjjNS7_9null_typeES9_S9_S9_S9_S9_S9_S9_EENS0_10empty_typeEbEEZZNS1_14partition_implILS5_6ELb0ES3_mNS7_12zip_iteratorINS8_INS7_6detail15normal_iteratorINS7_10device_ptrIjEEEESJ_S9_S9_S9_S9_S9_S9_S9_S9_EEEEPSB_SM_NS0_5tupleIJNSE_INS8_ISJ_NS7_16discard_iteratorINS7_11use_defaultEEES9_S9_S9_S9_S9_S9_S9_S9_EEEESB_EEENSN_IJSM_SM_EEESB_PlJNSF_9not_fun_tINSF_14equal_to_valueISA_EEEEEEE10hipError_tPvRmT3_T4_T5_T6_T7_T9_mT8_P12ihipStream_tbDpT10_ENKUlT_T0_E_clISt17integral_constantIbLb1EES1I_IbLb0EEEEDaS1E_S1F_EUlS1E_E_NS1_11comp_targetILNS1_3genE8ELNS1_11target_archE1030ELNS1_3gpuE2ELNS1_3repE0EEENS1_30default_config_static_selectorELNS0_4arch9wavefront6targetE0EEEvT1_.has_indirect_call, 0
	.section	.AMDGPU.csdata,"",@progbits
; Kernel info:
; codeLenInByte = 0
; TotalNumSgprs: 0
; NumVgprs: 0
; ScratchSize: 0
; MemoryBound: 0
; FloatMode: 240
; IeeeMode: 1
; LDSByteSize: 0 bytes/workgroup (compile time only)
; SGPRBlocks: 0
; VGPRBlocks: 0
; NumSGPRsForWavesPerEU: 1
; NumVGPRsForWavesPerEU: 1
; Occupancy: 16
; WaveLimiterHint : 0
; COMPUTE_PGM_RSRC2:SCRATCH_EN: 0
; COMPUTE_PGM_RSRC2:USER_SGPR: 2
; COMPUTE_PGM_RSRC2:TRAP_HANDLER: 0
; COMPUTE_PGM_RSRC2:TGID_X_EN: 1
; COMPUTE_PGM_RSRC2:TGID_Y_EN: 0
; COMPUTE_PGM_RSRC2:TGID_Z_EN: 0
; COMPUTE_PGM_RSRC2:TIDIG_COMP_CNT: 0
	.section	.text._ZN7rocprim17ROCPRIM_400000_NS6detail17trampoline_kernelINS0_14default_configENS1_25partition_config_selectorILNS1_17partition_subalgoE6EN6thrust23THRUST_200600_302600_NS5tupleIjjNS7_9null_typeES9_S9_S9_S9_S9_S9_S9_EENS0_10empty_typeEbEEZZNS1_14partition_implILS5_6ELb0ES3_mNS7_12zip_iteratorINS8_INS7_6detail15normal_iteratorINS7_10device_ptrIjEEEESJ_S9_S9_S9_S9_S9_S9_S9_S9_EEEEPSB_SM_NS0_5tupleIJNSE_INS8_ISJ_NS7_16discard_iteratorINS7_11use_defaultEEES9_S9_S9_S9_S9_S9_S9_S9_EEEESB_EEENSN_IJSM_SM_EEESB_PlJNSF_9not_fun_tINSF_14equal_to_valueISA_EEEEEEE10hipError_tPvRmT3_T4_T5_T6_T7_T9_mT8_P12ihipStream_tbDpT10_ENKUlT_T0_E_clISt17integral_constantIbLb0EES1I_IbLb1EEEEDaS1E_S1F_EUlS1E_E_NS1_11comp_targetILNS1_3genE0ELNS1_11target_archE4294967295ELNS1_3gpuE0ELNS1_3repE0EEENS1_30default_config_static_selectorELNS0_4arch9wavefront6targetE0EEEvT1_,"axG",@progbits,_ZN7rocprim17ROCPRIM_400000_NS6detail17trampoline_kernelINS0_14default_configENS1_25partition_config_selectorILNS1_17partition_subalgoE6EN6thrust23THRUST_200600_302600_NS5tupleIjjNS7_9null_typeES9_S9_S9_S9_S9_S9_S9_EENS0_10empty_typeEbEEZZNS1_14partition_implILS5_6ELb0ES3_mNS7_12zip_iteratorINS8_INS7_6detail15normal_iteratorINS7_10device_ptrIjEEEESJ_S9_S9_S9_S9_S9_S9_S9_S9_EEEEPSB_SM_NS0_5tupleIJNSE_INS8_ISJ_NS7_16discard_iteratorINS7_11use_defaultEEES9_S9_S9_S9_S9_S9_S9_S9_EEEESB_EEENSN_IJSM_SM_EEESB_PlJNSF_9not_fun_tINSF_14equal_to_valueISA_EEEEEEE10hipError_tPvRmT3_T4_T5_T6_T7_T9_mT8_P12ihipStream_tbDpT10_ENKUlT_T0_E_clISt17integral_constantIbLb0EES1I_IbLb1EEEEDaS1E_S1F_EUlS1E_E_NS1_11comp_targetILNS1_3genE0ELNS1_11target_archE4294967295ELNS1_3gpuE0ELNS1_3repE0EEENS1_30default_config_static_selectorELNS0_4arch9wavefront6targetE0EEEvT1_,comdat
	.protected	_ZN7rocprim17ROCPRIM_400000_NS6detail17trampoline_kernelINS0_14default_configENS1_25partition_config_selectorILNS1_17partition_subalgoE6EN6thrust23THRUST_200600_302600_NS5tupleIjjNS7_9null_typeES9_S9_S9_S9_S9_S9_S9_EENS0_10empty_typeEbEEZZNS1_14partition_implILS5_6ELb0ES3_mNS7_12zip_iteratorINS8_INS7_6detail15normal_iteratorINS7_10device_ptrIjEEEESJ_S9_S9_S9_S9_S9_S9_S9_S9_EEEEPSB_SM_NS0_5tupleIJNSE_INS8_ISJ_NS7_16discard_iteratorINS7_11use_defaultEEES9_S9_S9_S9_S9_S9_S9_S9_EEEESB_EEENSN_IJSM_SM_EEESB_PlJNSF_9not_fun_tINSF_14equal_to_valueISA_EEEEEEE10hipError_tPvRmT3_T4_T5_T6_T7_T9_mT8_P12ihipStream_tbDpT10_ENKUlT_T0_E_clISt17integral_constantIbLb0EES1I_IbLb1EEEEDaS1E_S1F_EUlS1E_E_NS1_11comp_targetILNS1_3genE0ELNS1_11target_archE4294967295ELNS1_3gpuE0ELNS1_3repE0EEENS1_30default_config_static_selectorELNS0_4arch9wavefront6targetE0EEEvT1_ ; -- Begin function _ZN7rocprim17ROCPRIM_400000_NS6detail17trampoline_kernelINS0_14default_configENS1_25partition_config_selectorILNS1_17partition_subalgoE6EN6thrust23THRUST_200600_302600_NS5tupleIjjNS7_9null_typeES9_S9_S9_S9_S9_S9_S9_EENS0_10empty_typeEbEEZZNS1_14partition_implILS5_6ELb0ES3_mNS7_12zip_iteratorINS8_INS7_6detail15normal_iteratorINS7_10device_ptrIjEEEESJ_S9_S9_S9_S9_S9_S9_S9_S9_EEEEPSB_SM_NS0_5tupleIJNSE_INS8_ISJ_NS7_16discard_iteratorINS7_11use_defaultEEES9_S9_S9_S9_S9_S9_S9_S9_EEEESB_EEENSN_IJSM_SM_EEESB_PlJNSF_9not_fun_tINSF_14equal_to_valueISA_EEEEEEE10hipError_tPvRmT3_T4_T5_T6_T7_T9_mT8_P12ihipStream_tbDpT10_ENKUlT_T0_E_clISt17integral_constantIbLb0EES1I_IbLb1EEEEDaS1E_S1F_EUlS1E_E_NS1_11comp_targetILNS1_3genE0ELNS1_11target_archE4294967295ELNS1_3gpuE0ELNS1_3repE0EEENS1_30default_config_static_selectorELNS0_4arch9wavefront6targetE0EEEvT1_
	.globl	_ZN7rocprim17ROCPRIM_400000_NS6detail17trampoline_kernelINS0_14default_configENS1_25partition_config_selectorILNS1_17partition_subalgoE6EN6thrust23THRUST_200600_302600_NS5tupleIjjNS7_9null_typeES9_S9_S9_S9_S9_S9_S9_EENS0_10empty_typeEbEEZZNS1_14partition_implILS5_6ELb0ES3_mNS7_12zip_iteratorINS8_INS7_6detail15normal_iteratorINS7_10device_ptrIjEEEESJ_S9_S9_S9_S9_S9_S9_S9_S9_EEEEPSB_SM_NS0_5tupleIJNSE_INS8_ISJ_NS7_16discard_iteratorINS7_11use_defaultEEES9_S9_S9_S9_S9_S9_S9_S9_EEEESB_EEENSN_IJSM_SM_EEESB_PlJNSF_9not_fun_tINSF_14equal_to_valueISA_EEEEEEE10hipError_tPvRmT3_T4_T5_T6_T7_T9_mT8_P12ihipStream_tbDpT10_ENKUlT_T0_E_clISt17integral_constantIbLb0EES1I_IbLb1EEEEDaS1E_S1F_EUlS1E_E_NS1_11comp_targetILNS1_3genE0ELNS1_11target_archE4294967295ELNS1_3gpuE0ELNS1_3repE0EEENS1_30default_config_static_selectorELNS0_4arch9wavefront6targetE0EEEvT1_
	.p2align	8
	.type	_ZN7rocprim17ROCPRIM_400000_NS6detail17trampoline_kernelINS0_14default_configENS1_25partition_config_selectorILNS1_17partition_subalgoE6EN6thrust23THRUST_200600_302600_NS5tupleIjjNS7_9null_typeES9_S9_S9_S9_S9_S9_S9_EENS0_10empty_typeEbEEZZNS1_14partition_implILS5_6ELb0ES3_mNS7_12zip_iteratorINS8_INS7_6detail15normal_iteratorINS7_10device_ptrIjEEEESJ_S9_S9_S9_S9_S9_S9_S9_S9_EEEEPSB_SM_NS0_5tupleIJNSE_INS8_ISJ_NS7_16discard_iteratorINS7_11use_defaultEEES9_S9_S9_S9_S9_S9_S9_S9_EEEESB_EEENSN_IJSM_SM_EEESB_PlJNSF_9not_fun_tINSF_14equal_to_valueISA_EEEEEEE10hipError_tPvRmT3_T4_T5_T6_T7_T9_mT8_P12ihipStream_tbDpT10_ENKUlT_T0_E_clISt17integral_constantIbLb0EES1I_IbLb1EEEEDaS1E_S1F_EUlS1E_E_NS1_11comp_targetILNS1_3genE0ELNS1_11target_archE4294967295ELNS1_3gpuE0ELNS1_3repE0EEENS1_30default_config_static_selectorELNS0_4arch9wavefront6targetE0EEEvT1_,@function
_ZN7rocprim17ROCPRIM_400000_NS6detail17trampoline_kernelINS0_14default_configENS1_25partition_config_selectorILNS1_17partition_subalgoE6EN6thrust23THRUST_200600_302600_NS5tupleIjjNS7_9null_typeES9_S9_S9_S9_S9_S9_S9_EENS0_10empty_typeEbEEZZNS1_14partition_implILS5_6ELb0ES3_mNS7_12zip_iteratorINS8_INS7_6detail15normal_iteratorINS7_10device_ptrIjEEEESJ_S9_S9_S9_S9_S9_S9_S9_S9_EEEEPSB_SM_NS0_5tupleIJNSE_INS8_ISJ_NS7_16discard_iteratorINS7_11use_defaultEEES9_S9_S9_S9_S9_S9_S9_S9_EEEESB_EEENSN_IJSM_SM_EEESB_PlJNSF_9not_fun_tINSF_14equal_to_valueISA_EEEEEEE10hipError_tPvRmT3_T4_T5_T6_T7_T9_mT8_P12ihipStream_tbDpT10_ENKUlT_T0_E_clISt17integral_constantIbLb0EES1I_IbLb1EEEEDaS1E_S1F_EUlS1E_E_NS1_11comp_targetILNS1_3genE0ELNS1_11target_archE4294967295ELNS1_3gpuE0ELNS1_3repE0EEENS1_30default_config_static_selectorELNS0_4arch9wavefront6targetE0EEEvT1_: ; @_ZN7rocprim17ROCPRIM_400000_NS6detail17trampoline_kernelINS0_14default_configENS1_25partition_config_selectorILNS1_17partition_subalgoE6EN6thrust23THRUST_200600_302600_NS5tupleIjjNS7_9null_typeES9_S9_S9_S9_S9_S9_S9_EENS0_10empty_typeEbEEZZNS1_14partition_implILS5_6ELb0ES3_mNS7_12zip_iteratorINS8_INS7_6detail15normal_iteratorINS7_10device_ptrIjEEEESJ_S9_S9_S9_S9_S9_S9_S9_S9_EEEEPSB_SM_NS0_5tupleIJNSE_INS8_ISJ_NS7_16discard_iteratorINS7_11use_defaultEEES9_S9_S9_S9_S9_S9_S9_S9_EEEESB_EEENSN_IJSM_SM_EEESB_PlJNSF_9not_fun_tINSF_14equal_to_valueISA_EEEEEEE10hipError_tPvRmT3_T4_T5_T6_T7_T9_mT8_P12ihipStream_tbDpT10_ENKUlT_T0_E_clISt17integral_constantIbLb0EES1I_IbLb1EEEEDaS1E_S1F_EUlS1E_E_NS1_11comp_targetILNS1_3genE0ELNS1_11target_archE4294967295ELNS1_3gpuE0ELNS1_3repE0EEENS1_30default_config_static_selectorELNS0_4arch9wavefront6targetE0EEEvT1_
; %bb.0:
	.section	.rodata,"a",@progbits
	.p2align	6, 0x0
	.amdhsa_kernel _ZN7rocprim17ROCPRIM_400000_NS6detail17trampoline_kernelINS0_14default_configENS1_25partition_config_selectorILNS1_17partition_subalgoE6EN6thrust23THRUST_200600_302600_NS5tupleIjjNS7_9null_typeES9_S9_S9_S9_S9_S9_S9_EENS0_10empty_typeEbEEZZNS1_14partition_implILS5_6ELb0ES3_mNS7_12zip_iteratorINS8_INS7_6detail15normal_iteratorINS7_10device_ptrIjEEEESJ_S9_S9_S9_S9_S9_S9_S9_S9_EEEEPSB_SM_NS0_5tupleIJNSE_INS8_ISJ_NS7_16discard_iteratorINS7_11use_defaultEEES9_S9_S9_S9_S9_S9_S9_S9_EEEESB_EEENSN_IJSM_SM_EEESB_PlJNSF_9not_fun_tINSF_14equal_to_valueISA_EEEEEEE10hipError_tPvRmT3_T4_T5_T6_T7_T9_mT8_P12ihipStream_tbDpT10_ENKUlT_T0_E_clISt17integral_constantIbLb0EES1I_IbLb1EEEEDaS1E_S1F_EUlS1E_E_NS1_11comp_targetILNS1_3genE0ELNS1_11target_archE4294967295ELNS1_3gpuE0ELNS1_3repE0EEENS1_30default_config_static_selectorELNS0_4arch9wavefront6targetE0EEEvT1_
		.amdhsa_group_segment_fixed_size 0
		.amdhsa_private_segment_fixed_size 0
		.amdhsa_kernarg_size 152
		.amdhsa_user_sgpr_count 2
		.amdhsa_user_sgpr_dispatch_ptr 0
		.amdhsa_user_sgpr_queue_ptr 0
		.amdhsa_user_sgpr_kernarg_segment_ptr 1
		.amdhsa_user_sgpr_dispatch_id 0
		.amdhsa_user_sgpr_private_segment_size 0
		.amdhsa_wavefront_size32 1
		.amdhsa_uses_dynamic_stack 0
		.amdhsa_enable_private_segment 0
		.amdhsa_system_sgpr_workgroup_id_x 1
		.amdhsa_system_sgpr_workgroup_id_y 0
		.amdhsa_system_sgpr_workgroup_id_z 0
		.amdhsa_system_sgpr_workgroup_info 0
		.amdhsa_system_vgpr_workitem_id 0
		.amdhsa_next_free_vgpr 1
		.amdhsa_next_free_sgpr 1
		.amdhsa_reserve_vcc 0
		.amdhsa_float_round_mode_32 0
		.amdhsa_float_round_mode_16_64 0
		.amdhsa_float_denorm_mode_32 3
		.amdhsa_float_denorm_mode_16_64 3
		.amdhsa_fp16_overflow 0
		.amdhsa_workgroup_processor_mode 1
		.amdhsa_memory_ordered 1
		.amdhsa_forward_progress 1
		.amdhsa_inst_pref_size 0
		.amdhsa_round_robin_scheduling 0
		.amdhsa_exception_fp_ieee_invalid_op 0
		.amdhsa_exception_fp_denorm_src 0
		.amdhsa_exception_fp_ieee_div_zero 0
		.amdhsa_exception_fp_ieee_overflow 0
		.amdhsa_exception_fp_ieee_underflow 0
		.amdhsa_exception_fp_ieee_inexact 0
		.amdhsa_exception_int_div_zero 0
	.end_amdhsa_kernel
	.section	.text._ZN7rocprim17ROCPRIM_400000_NS6detail17trampoline_kernelINS0_14default_configENS1_25partition_config_selectorILNS1_17partition_subalgoE6EN6thrust23THRUST_200600_302600_NS5tupleIjjNS7_9null_typeES9_S9_S9_S9_S9_S9_S9_EENS0_10empty_typeEbEEZZNS1_14partition_implILS5_6ELb0ES3_mNS7_12zip_iteratorINS8_INS7_6detail15normal_iteratorINS7_10device_ptrIjEEEESJ_S9_S9_S9_S9_S9_S9_S9_S9_EEEEPSB_SM_NS0_5tupleIJNSE_INS8_ISJ_NS7_16discard_iteratorINS7_11use_defaultEEES9_S9_S9_S9_S9_S9_S9_S9_EEEESB_EEENSN_IJSM_SM_EEESB_PlJNSF_9not_fun_tINSF_14equal_to_valueISA_EEEEEEE10hipError_tPvRmT3_T4_T5_T6_T7_T9_mT8_P12ihipStream_tbDpT10_ENKUlT_T0_E_clISt17integral_constantIbLb0EES1I_IbLb1EEEEDaS1E_S1F_EUlS1E_E_NS1_11comp_targetILNS1_3genE0ELNS1_11target_archE4294967295ELNS1_3gpuE0ELNS1_3repE0EEENS1_30default_config_static_selectorELNS0_4arch9wavefront6targetE0EEEvT1_,"axG",@progbits,_ZN7rocprim17ROCPRIM_400000_NS6detail17trampoline_kernelINS0_14default_configENS1_25partition_config_selectorILNS1_17partition_subalgoE6EN6thrust23THRUST_200600_302600_NS5tupleIjjNS7_9null_typeES9_S9_S9_S9_S9_S9_S9_EENS0_10empty_typeEbEEZZNS1_14partition_implILS5_6ELb0ES3_mNS7_12zip_iteratorINS8_INS7_6detail15normal_iteratorINS7_10device_ptrIjEEEESJ_S9_S9_S9_S9_S9_S9_S9_S9_EEEEPSB_SM_NS0_5tupleIJNSE_INS8_ISJ_NS7_16discard_iteratorINS7_11use_defaultEEES9_S9_S9_S9_S9_S9_S9_S9_EEEESB_EEENSN_IJSM_SM_EEESB_PlJNSF_9not_fun_tINSF_14equal_to_valueISA_EEEEEEE10hipError_tPvRmT3_T4_T5_T6_T7_T9_mT8_P12ihipStream_tbDpT10_ENKUlT_T0_E_clISt17integral_constantIbLb0EES1I_IbLb1EEEEDaS1E_S1F_EUlS1E_E_NS1_11comp_targetILNS1_3genE0ELNS1_11target_archE4294967295ELNS1_3gpuE0ELNS1_3repE0EEENS1_30default_config_static_selectorELNS0_4arch9wavefront6targetE0EEEvT1_,comdat
.Lfunc_end1941:
	.size	_ZN7rocprim17ROCPRIM_400000_NS6detail17trampoline_kernelINS0_14default_configENS1_25partition_config_selectorILNS1_17partition_subalgoE6EN6thrust23THRUST_200600_302600_NS5tupleIjjNS7_9null_typeES9_S9_S9_S9_S9_S9_S9_EENS0_10empty_typeEbEEZZNS1_14partition_implILS5_6ELb0ES3_mNS7_12zip_iteratorINS8_INS7_6detail15normal_iteratorINS7_10device_ptrIjEEEESJ_S9_S9_S9_S9_S9_S9_S9_S9_EEEEPSB_SM_NS0_5tupleIJNSE_INS8_ISJ_NS7_16discard_iteratorINS7_11use_defaultEEES9_S9_S9_S9_S9_S9_S9_S9_EEEESB_EEENSN_IJSM_SM_EEESB_PlJNSF_9not_fun_tINSF_14equal_to_valueISA_EEEEEEE10hipError_tPvRmT3_T4_T5_T6_T7_T9_mT8_P12ihipStream_tbDpT10_ENKUlT_T0_E_clISt17integral_constantIbLb0EES1I_IbLb1EEEEDaS1E_S1F_EUlS1E_E_NS1_11comp_targetILNS1_3genE0ELNS1_11target_archE4294967295ELNS1_3gpuE0ELNS1_3repE0EEENS1_30default_config_static_selectorELNS0_4arch9wavefront6targetE0EEEvT1_, .Lfunc_end1941-_ZN7rocprim17ROCPRIM_400000_NS6detail17trampoline_kernelINS0_14default_configENS1_25partition_config_selectorILNS1_17partition_subalgoE6EN6thrust23THRUST_200600_302600_NS5tupleIjjNS7_9null_typeES9_S9_S9_S9_S9_S9_S9_EENS0_10empty_typeEbEEZZNS1_14partition_implILS5_6ELb0ES3_mNS7_12zip_iteratorINS8_INS7_6detail15normal_iteratorINS7_10device_ptrIjEEEESJ_S9_S9_S9_S9_S9_S9_S9_S9_EEEEPSB_SM_NS0_5tupleIJNSE_INS8_ISJ_NS7_16discard_iteratorINS7_11use_defaultEEES9_S9_S9_S9_S9_S9_S9_S9_EEEESB_EEENSN_IJSM_SM_EEESB_PlJNSF_9not_fun_tINSF_14equal_to_valueISA_EEEEEEE10hipError_tPvRmT3_T4_T5_T6_T7_T9_mT8_P12ihipStream_tbDpT10_ENKUlT_T0_E_clISt17integral_constantIbLb0EES1I_IbLb1EEEEDaS1E_S1F_EUlS1E_E_NS1_11comp_targetILNS1_3genE0ELNS1_11target_archE4294967295ELNS1_3gpuE0ELNS1_3repE0EEENS1_30default_config_static_selectorELNS0_4arch9wavefront6targetE0EEEvT1_
                                        ; -- End function
	.set _ZN7rocprim17ROCPRIM_400000_NS6detail17trampoline_kernelINS0_14default_configENS1_25partition_config_selectorILNS1_17partition_subalgoE6EN6thrust23THRUST_200600_302600_NS5tupleIjjNS7_9null_typeES9_S9_S9_S9_S9_S9_S9_EENS0_10empty_typeEbEEZZNS1_14partition_implILS5_6ELb0ES3_mNS7_12zip_iteratorINS8_INS7_6detail15normal_iteratorINS7_10device_ptrIjEEEESJ_S9_S9_S9_S9_S9_S9_S9_S9_EEEEPSB_SM_NS0_5tupleIJNSE_INS8_ISJ_NS7_16discard_iteratorINS7_11use_defaultEEES9_S9_S9_S9_S9_S9_S9_S9_EEEESB_EEENSN_IJSM_SM_EEESB_PlJNSF_9not_fun_tINSF_14equal_to_valueISA_EEEEEEE10hipError_tPvRmT3_T4_T5_T6_T7_T9_mT8_P12ihipStream_tbDpT10_ENKUlT_T0_E_clISt17integral_constantIbLb0EES1I_IbLb1EEEEDaS1E_S1F_EUlS1E_E_NS1_11comp_targetILNS1_3genE0ELNS1_11target_archE4294967295ELNS1_3gpuE0ELNS1_3repE0EEENS1_30default_config_static_selectorELNS0_4arch9wavefront6targetE0EEEvT1_.num_vgpr, 0
	.set _ZN7rocprim17ROCPRIM_400000_NS6detail17trampoline_kernelINS0_14default_configENS1_25partition_config_selectorILNS1_17partition_subalgoE6EN6thrust23THRUST_200600_302600_NS5tupleIjjNS7_9null_typeES9_S9_S9_S9_S9_S9_S9_EENS0_10empty_typeEbEEZZNS1_14partition_implILS5_6ELb0ES3_mNS7_12zip_iteratorINS8_INS7_6detail15normal_iteratorINS7_10device_ptrIjEEEESJ_S9_S9_S9_S9_S9_S9_S9_S9_EEEEPSB_SM_NS0_5tupleIJNSE_INS8_ISJ_NS7_16discard_iteratorINS7_11use_defaultEEES9_S9_S9_S9_S9_S9_S9_S9_EEEESB_EEENSN_IJSM_SM_EEESB_PlJNSF_9not_fun_tINSF_14equal_to_valueISA_EEEEEEE10hipError_tPvRmT3_T4_T5_T6_T7_T9_mT8_P12ihipStream_tbDpT10_ENKUlT_T0_E_clISt17integral_constantIbLb0EES1I_IbLb1EEEEDaS1E_S1F_EUlS1E_E_NS1_11comp_targetILNS1_3genE0ELNS1_11target_archE4294967295ELNS1_3gpuE0ELNS1_3repE0EEENS1_30default_config_static_selectorELNS0_4arch9wavefront6targetE0EEEvT1_.num_agpr, 0
	.set _ZN7rocprim17ROCPRIM_400000_NS6detail17trampoline_kernelINS0_14default_configENS1_25partition_config_selectorILNS1_17partition_subalgoE6EN6thrust23THRUST_200600_302600_NS5tupleIjjNS7_9null_typeES9_S9_S9_S9_S9_S9_S9_EENS0_10empty_typeEbEEZZNS1_14partition_implILS5_6ELb0ES3_mNS7_12zip_iteratorINS8_INS7_6detail15normal_iteratorINS7_10device_ptrIjEEEESJ_S9_S9_S9_S9_S9_S9_S9_S9_EEEEPSB_SM_NS0_5tupleIJNSE_INS8_ISJ_NS7_16discard_iteratorINS7_11use_defaultEEES9_S9_S9_S9_S9_S9_S9_S9_EEEESB_EEENSN_IJSM_SM_EEESB_PlJNSF_9not_fun_tINSF_14equal_to_valueISA_EEEEEEE10hipError_tPvRmT3_T4_T5_T6_T7_T9_mT8_P12ihipStream_tbDpT10_ENKUlT_T0_E_clISt17integral_constantIbLb0EES1I_IbLb1EEEEDaS1E_S1F_EUlS1E_E_NS1_11comp_targetILNS1_3genE0ELNS1_11target_archE4294967295ELNS1_3gpuE0ELNS1_3repE0EEENS1_30default_config_static_selectorELNS0_4arch9wavefront6targetE0EEEvT1_.numbered_sgpr, 0
	.set _ZN7rocprim17ROCPRIM_400000_NS6detail17trampoline_kernelINS0_14default_configENS1_25partition_config_selectorILNS1_17partition_subalgoE6EN6thrust23THRUST_200600_302600_NS5tupleIjjNS7_9null_typeES9_S9_S9_S9_S9_S9_S9_EENS0_10empty_typeEbEEZZNS1_14partition_implILS5_6ELb0ES3_mNS7_12zip_iteratorINS8_INS7_6detail15normal_iteratorINS7_10device_ptrIjEEEESJ_S9_S9_S9_S9_S9_S9_S9_S9_EEEEPSB_SM_NS0_5tupleIJNSE_INS8_ISJ_NS7_16discard_iteratorINS7_11use_defaultEEES9_S9_S9_S9_S9_S9_S9_S9_EEEESB_EEENSN_IJSM_SM_EEESB_PlJNSF_9not_fun_tINSF_14equal_to_valueISA_EEEEEEE10hipError_tPvRmT3_T4_T5_T6_T7_T9_mT8_P12ihipStream_tbDpT10_ENKUlT_T0_E_clISt17integral_constantIbLb0EES1I_IbLb1EEEEDaS1E_S1F_EUlS1E_E_NS1_11comp_targetILNS1_3genE0ELNS1_11target_archE4294967295ELNS1_3gpuE0ELNS1_3repE0EEENS1_30default_config_static_selectorELNS0_4arch9wavefront6targetE0EEEvT1_.num_named_barrier, 0
	.set _ZN7rocprim17ROCPRIM_400000_NS6detail17trampoline_kernelINS0_14default_configENS1_25partition_config_selectorILNS1_17partition_subalgoE6EN6thrust23THRUST_200600_302600_NS5tupleIjjNS7_9null_typeES9_S9_S9_S9_S9_S9_S9_EENS0_10empty_typeEbEEZZNS1_14partition_implILS5_6ELb0ES3_mNS7_12zip_iteratorINS8_INS7_6detail15normal_iteratorINS7_10device_ptrIjEEEESJ_S9_S9_S9_S9_S9_S9_S9_S9_EEEEPSB_SM_NS0_5tupleIJNSE_INS8_ISJ_NS7_16discard_iteratorINS7_11use_defaultEEES9_S9_S9_S9_S9_S9_S9_S9_EEEESB_EEENSN_IJSM_SM_EEESB_PlJNSF_9not_fun_tINSF_14equal_to_valueISA_EEEEEEE10hipError_tPvRmT3_T4_T5_T6_T7_T9_mT8_P12ihipStream_tbDpT10_ENKUlT_T0_E_clISt17integral_constantIbLb0EES1I_IbLb1EEEEDaS1E_S1F_EUlS1E_E_NS1_11comp_targetILNS1_3genE0ELNS1_11target_archE4294967295ELNS1_3gpuE0ELNS1_3repE0EEENS1_30default_config_static_selectorELNS0_4arch9wavefront6targetE0EEEvT1_.private_seg_size, 0
	.set _ZN7rocprim17ROCPRIM_400000_NS6detail17trampoline_kernelINS0_14default_configENS1_25partition_config_selectorILNS1_17partition_subalgoE6EN6thrust23THRUST_200600_302600_NS5tupleIjjNS7_9null_typeES9_S9_S9_S9_S9_S9_S9_EENS0_10empty_typeEbEEZZNS1_14partition_implILS5_6ELb0ES3_mNS7_12zip_iteratorINS8_INS7_6detail15normal_iteratorINS7_10device_ptrIjEEEESJ_S9_S9_S9_S9_S9_S9_S9_S9_EEEEPSB_SM_NS0_5tupleIJNSE_INS8_ISJ_NS7_16discard_iteratorINS7_11use_defaultEEES9_S9_S9_S9_S9_S9_S9_S9_EEEESB_EEENSN_IJSM_SM_EEESB_PlJNSF_9not_fun_tINSF_14equal_to_valueISA_EEEEEEE10hipError_tPvRmT3_T4_T5_T6_T7_T9_mT8_P12ihipStream_tbDpT10_ENKUlT_T0_E_clISt17integral_constantIbLb0EES1I_IbLb1EEEEDaS1E_S1F_EUlS1E_E_NS1_11comp_targetILNS1_3genE0ELNS1_11target_archE4294967295ELNS1_3gpuE0ELNS1_3repE0EEENS1_30default_config_static_selectorELNS0_4arch9wavefront6targetE0EEEvT1_.uses_vcc, 0
	.set _ZN7rocprim17ROCPRIM_400000_NS6detail17trampoline_kernelINS0_14default_configENS1_25partition_config_selectorILNS1_17partition_subalgoE6EN6thrust23THRUST_200600_302600_NS5tupleIjjNS7_9null_typeES9_S9_S9_S9_S9_S9_S9_EENS0_10empty_typeEbEEZZNS1_14partition_implILS5_6ELb0ES3_mNS7_12zip_iteratorINS8_INS7_6detail15normal_iteratorINS7_10device_ptrIjEEEESJ_S9_S9_S9_S9_S9_S9_S9_S9_EEEEPSB_SM_NS0_5tupleIJNSE_INS8_ISJ_NS7_16discard_iteratorINS7_11use_defaultEEES9_S9_S9_S9_S9_S9_S9_S9_EEEESB_EEENSN_IJSM_SM_EEESB_PlJNSF_9not_fun_tINSF_14equal_to_valueISA_EEEEEEE10hipError_tPvRmT3_T4_T5_T6_T7_T9_mT8_P12ihipStream_tbDpT10_ENKUlT_T0_E_clISt17integral_constantIbLb0EES1I_IbLb1EEEEDaS1E_S1F_EUlS1E_E_NS1_11comp_targetILNS1_3genE0ELNS1_11target_archE4294967295ELNS1_3gpuE0ELNS1_3repE0EEENS1_30default_config_static_selectorELNS0_4arch9wavefront6targetE0EEEvT1_.uses_flat_scratch, 0
	.set _ZN7rocprim17ROCPRIM_400000_NS6detail17trampoline_kernelINS0_14default_configENS1_25partition_config_selectorILNS1_17partition_subalgoE6EN6thrust23THRUST_200600_302600_NS5tupleIjjNS7_9null_typeES9_S9_S9_S9_S9_S9_S9_EENS0_10empty_typeEbEEZZNS1_14partition_implILS5_6ELb0ES3_mNS7_12zip_iteratorINS8_INS7_6detail15normal_iteratorINS7_10device_ptrIjEEEESJ_S9_S9_S9_S9_S9_S9_S9_S9_EEEEPSB_SM_NS0_5tupleIJNSE_INS8_ISJ_NS7_16discard_iteratorINS7_11use_defaultEEES9_S9_S9_S9_S9_S9_S9_S9_EEEESB_EEENSN_IJSM_SM_EEESB_PlJNSF_9not_fun_tINSF_14equal_to_valueISA_EEEEEEE10hipError_tPvRmT3_T4_T5_T6_T7_T9_mT8_P12ihipStream_tbDpT10_ENKUlT_T0_E_clISt17integral_constantIbLb0EES1I_IbLb1EEEEDaS1E_S1F_EUlS1E_E_NS1_11comp_targetILNS1_3genE0ELNS1_11target_archE4294967295ELNS1_3gpuE0ELNS1_3repE0EEENS1_30default_config_static_selectorELNS0_4arch9wavefront6targetE0EEEvT1_.has_dyn_sized_stack, 0
	.set _ZN7rocprim17ROCPRIM_400000_NS6detail17trampoline_kernelINS0_14default_configENS1_25partition_config_selectorILNS1_17partition_subalgoE6EN6thrust23THRUST_200600_302600_NS5tupleIjjNS7_9null_typeES9_S9_S9_S9_S9_S9_S9_EENS0_10empty_typeEbEEZZNS1_14partition_implILS5_6ELb0ES3_mNS7_12zip_iteratorINS8_INS7_6detail15normal_iteratorINS7_10device_ptrIjEEEESJ_S9_S9_S9_S9_S9_S9_S9_S9_EEEEPSB_SM_NS0_5tupleIJNSE_INS8_ISJ_NS7_16discard_iteratorINS7_11use_defaultEEES9_S9_S9_S9_S9_S9_S9_S9_EEEESB_EEENSN_IJSM_SM_EEESB_PlJNSF_9not_fun_tINSF_14equal_to_valueISA_EEEEEEE10hipError_tPvRmT3_T4_T5_T6_T7_T9_mT8_P12ihipStream_tbDpT10_ENKUlT_T0_E_clISt17integral_constantIbLb0EES1I_IbLb1EEEEDaS1E_S1F_EUlS1E_E_NS1_11comp_targetILNS1_3genE0ELNS1_11target_archE4294967295ELNS1_3gpuE0ELNS1_3repE0EEENS1_30default_config_static_selectorELNS0_4arch9wavefront6targetE0EEEvT1_.has_recursion, 0
	.set _ZN7rocprim17ROCPRIM_400000_NS6detail17trampoline_kernelINS0_14default_configENS1_25partition_config_selectorILNS1_17partition_subalgoE6EN6thrust23THRUST_200600_302600_NS5tupleIjjNS7_9null_typeES9_S9_S9_S9_S9_S9_S9_EENS0_10empty_typeEbEEZZNS1_14partition_implILS5_6ELb0ES3_mNS7_12zip_iteratorINS8_INS7_6detail15normal_iteratorINS7_10device_ptrIjEEEESJ_S9_S9_S9_S9_S9_S9_S9_S9_EEEEPSB_SM_NS0_5tupleIJNSE_INS8_ISJ_NS7_16discard_iteratorINS7_11use_defaultEEES9_S9_S9_S9_S9_S9_S9_S9_EEEESB_EEENSN_IJSM_SM_EEESB_PlJNSF_9not_fun_tINSF_14equal_to_valueISA_EEEEEEE10hipError_tPvRmT3_T4_T5_T6_T7_T9_mT8_P12ihipStream_tbDpT10_ENKUlT_T0_E_clISt17integral_constantIbLb0EES1I_IbLb1EEEEDaS1E_S1F_EUlS1E_E_NS1_11comp_targetILNS1_3genE0ELNS1_11target_archE4294967295ELNS1_3gpuE0ELNS1_3repE0EEENS1_30default_config_static_selectorELNS0_4arch9wavefront6targetE0EEEvT1_.has_indirect_call, 0
	.section	.AMDGPU.csdata,"",@progbits
; Kernel info:
; codeLenInByte = 0
; TotalNumSgprs: 0
; NumVgprs: 0
; ScratchSize: 0
; MemoryBound: 0
; FloatMode: 240
; IeeeMode: 1
; LDSByteSize: 0 bytes/workgroup (compile time only)
; SGPRBlocks: 0
; VGPRBlocks: 0
; NumSGPRsForWavesPerEU: 1
; NumVGPRsForWavesPerEU: 1
; Occupancy: 16
; WaveLimiterHint : 0
; COMPUTE_PGM_RSRC2:SCRATCH_EN: 0
; COMPUTE_PGM_RSRC2:USER_SGPR: 2
; COMPUTE_PGM_RSRC2:TRAP_HANDLER: 0
; COMPUTE_PGM_RSRC2:TGID_X_EN: 1
; COMPUTE_PGM_RSRC2:TGID_Y_EN: 0
; COMPUTE_PGM_RSRC2:TGID_Z_EN: 0
; COMPUTE_PGM_RSRC2:TIDIG_COMP_CNT: 0
	.section	.text._ZN7rocprim17ROCPRIM_400000_NS6detail17trampoline_kernelINS0_14default_configENS1_25partition_config_selectorILNS1_17partition_subalgoE6EN6thrust23THRUST_200600_302600_NS5tupleIjjNS7_9null_typeES9_S9_S9_S9_S9_S9_S9_EENS0_10empty_typeEbEEZZNS1_14partition_implILS5_6ELb0ES3_mNS7_12zip_iteratorINS8_INS7_6detail15normal_iteratorINS7_10device_ptrIjEEEESJ_S9_S9_S9_S9_S9_S9_S9_S9_EEEEPSB_SM_NS0_5tupleIJNSE_INS8_ISJ_NS7_16discard_iteratorINS7_11use_defaultEEES9_S9_S9_S9_S9_S9_S9_S9_EEEESB_EEENSN_IJSM_SM_EEESB_PlJNSF_9not_fun_tINSF_14equal_to_valueISA_EEEEEEE10hipError_tPvRmT3_T4_T5_T6_T7_T9_mT8_P12ihipStream_tbDpT10_ENKUlT_T0_E_clISt17integral_constantIbLb0EES1I_IbLb1EEEEDaS1E_S1F_EUlS1E_E_NS1_11comp_targetILNS1_3genE5ELNS1_11target_archE942ELNS1_3gpuE9ELNS1_3repE0EEENS1_30default_config_static_selectorELNS0_4arch9wavefront6targetE0EEEvT1_,"axG",@progbits,_ZN7rocprim17ROCPRIM_400000_NS6detail17trampoline_kernelINS0_14default_configENS1_25partition_config_selectorILNS1_17partition_subalgoE6EN6thrust23THRUST_200600_302600_NS5tupleIjjNS7_9null_typeES9_S9_S9_S9_S9_S9_S9_EENS0_10empty_typeEbEEZZNS1_14partition_implILS5_6ELb0ES3_mNS7_12zip_iteratorINS8_INS7_6detail15normal_iteratorINS7_10device_ptrIjEEEESJ_S9_S9_S9_S9_S9_S9_S9_S9_EEEEPSB_SM_NS0_5tupleIJNSE_INS8_ISJ_NS7_16discard_iteratorINS7_11use_defaultEEES9_S9_S9_S9_S9_S9_S9_S9_EEEESB_EEENSN_IJSM_SM_EEESB_PlJNSF_9not_fun_tINSF_14equal_to_valueISA_EEEEEEE10hipError_tPvRmT3_T4_T5_T6_T7_T9_mT8_P12ihipStream_tbDpT10_ENKUlT_T0_E_clISt17integral_constantIbLb0EES1I_IbLb1EEEEDaS1E_S1F_EUlS1E_E_NS1_11comp_targetILNS1_3genE5ELNS1_11target_archE942ELNS1_3gpuE9ELNS1_3repE0EEENS1_30default_config_static_selectorELNS0_4arch9wavefront6targetE0EEEvT1_,comdat
	.protected	_ZN7rocprim17ROCPRIM_400000_NS6detail17trampoline_kernelINS0_14default_configENS1_25partition_config_selectorILNS1_17partition_subalgoE6EN6thrust23THRUST_200600_302600_NS5tupleIjjNS7_9null_typeES9_S9_S9_S9_S9_S9_S9_EENS0_10empty_typeEbEEZZNS1_14partition_implILS5_6ELb0ES3_mNS7_12zip_iteratorINS8_INS7_6detail15normal_iteratorINS7_10device_ptrIjEEEESJ_S9_S9_S9_S9_S9_S9_S9_S9_EEEEPSB_SM_NS0_5tupleIJNSE_INS8_ISJ_NS7_16discard_iteratorINS7_11use_defaultEEES9_S9_S9_S9_S9_S9_S9_S9_EEEESB_EEENSN_IJSM_SM_EEESB_PlJNSF_9not_fun_tINSF_14equal_to_valueISA_EEEEEEE10hipError_tPvRmT3_T4_T5_T6_T7_T9_mT8_P12ihipStream_tbDpT10_ENKUlT_T0_E_clISt17integral_constantIbLb0EES1I_IbLb1EEEEDaS1E_S1F_EUlS1E_E_NS1_11comp_targetILNS1_3genE5ELNS1_11target_archE942ELNS1_3gpuE9ELNS1_3repE0EEENS1_30default_config_static_selectorELNS0_4arch9wavefront6targetE0EEEvT1_ ; -- Begin function _ZN7rocprim17ROCPRIM_400000_NS6detail17trampoline_kernelINS0_14default_configENS1_25partition_config_selectorILNS1_17partition_subalgoE6EN6thrust23THRUST_200600_302600_NS5tupleIjjNS7_9null_typeES9_S9_S9_S9_S9_S9_S9_EENS0_10empty_typeEbEEZZNS1_14partition_implILS5_6ELb0ES3_mNS7_12zip_iteratorINS8_INS7_6detail15normal_iteratorINS7_10device_ptrIjEEEESJ_S9_S9_S9_S9_S9_S9_S9_S9_EEEEPSB_SM_NS0_5tupleIJNSE_INS8_ISJ_NS7_16discard_iteratorINS7_11use_defaultEEES9_S9_S9_S9_S9_S9_S9_S9_EEEESB_EEENSN_IJSM_SM_EEESB_PlJNSF_9not_fun_tINSF_14equal_to_valueISA_EEEEEEE10hipError_tPvRmT3_T4_T5_T6_T7_T9_mT8_P12ihipStream_tbDpT10_ENKUlT_T0_E_clISt17integral_constantIbLb0EES1I_IbLb1EEEEDaS1E_S1F_EUlS1E_E_NS1_11comp_targetILNS1_3genE5ELNS1_11target_archE942ELNS1_3gpuE9ELNS1_3repE0EEENS1_30default_config_static_selectorELNS0_4arch9wavefront6targetE0EEEvT1_
	.globl	_ZN7rocprim17ROCPRIM_400000_NS6detail17trampoline_kernelINS0_14default_configENS1_25partition_config_selectorILNS1_17partition_subalgoE6EN6thrust23THRUST_200600_302600_NS5tupleIjjNS7_9null_typeES9_S9_S9_S9_S9_S9_S9_EENS0_10empty_typeEbEEZZNS1_14partition_implILS5_6ELb0ES3_mNS7_12zip_iteratorINS8_INS7_6detail15normal_iteratorINS7_10device_ptrIjEEEESJ_S9_S9_S9_S9_S9_S9_S9_S9_EEEEPSB_SM_NS0_5tupleIJNSE_INS8_ISJ_NS7_16discard_iteratorINS7_11use_defaultEEES9_S9_S9_S9_S9_S9_S9_S9_EEEESB_EEENSN_IJSM_SM_EEESB_PlJNSF_9not_fun_tINSF_14equal_to_valueISA_EEEEEEE10hipError_tPvRmT3_T4_T5_T6_T7_T9_mT8_P12ihipStream_tbDpT10_ENKUlT_T0_E_clISt17integral_constantIbLb0EES1I_IbLb1EEEEDaS1E_S1F_EUlS1E_E_NS1_11comp_targetILNS1_3genE5ELNS1_11target_archE942ELNS1_3gpuE9ELNS1_3repE0EEENS1_30default_config_static_selectorELNS0_4arch9wavefront6targetE0EEEvT1_
	.p2align	8
	.type	_ZN7rocprim17ROCPRIM_400000_NS6detail17trampoline_kernelINS0_14default_configENS1_25partition_config_selectorILNS1_17partition_subalgoE6EN6thrust23THRUST_200600_302600_NS5tupleIjjNS7_9null_typeES9_S9_S9_S9_S9_S9_S9_EENS0_10empty_typeEbEEZZNS1_14partition_implILS5_6ELb0ES3_mNS7_12zip_iteratorINS8_INS7_6detail15normal_iteratorINS7_10device_ptrIjEEEESJ_S9_S9_S9_S9_S9_S9_S9_S9_EEEEPSB_SM_NS0_5tupleIJNSE_INS8_ISJ_NS7_16discard_iteratorINS7_11use_defaultEEES9_S9_S9_S9_S9_S9_S9_S9_EEEESB_EEENSN_IJSM_SM_EEESB_PlJNSF_9not_fun_tINSF_14equal_to_valueISA_EEEEEEE10hipError_tPvRmT3_T4_T5_T6_T7_T9_mT8_P12ihipStream_tbDpT10_ENKUlT_T0_E_clISt17integral_constantIbLb0EES1I_IbLb1EEEEDaS1E_S1F_EUlS1E_E_NS1_11comp_targetILNS1_3genE5ELNS1_11target_archE942ELNS1_3gpuE9ELNS1_3repE0EEENS1_30default_config_static_selectorELNS0_4arch9wavefront6targetE0EEEvT1_,@function
_ZN7rocprim17ROCPRIM_400000_NS6detail17trampoline_kernelINS0_14default_configENS1_25partition_config_selectorILNS1_17partition_subalgoE6EN6thrust23THRUST_200600_302600_NS5tupleIjjNS7_9null_typeES9_S9_S9_S9_S9_S9_S9_EENS0_10empty_typeEbEEZZNS1_14partition_implILS5_6ELb0ES3_mNS7_12zip_iteratorINS8_INS7_6detail15normal_iteratorINS7_10device_ptrIjEEEESJ_S9_S9_S9_S9_S9_S9_S9_S9_EEEEPSB_SM_NS0_5tupleIJNSE_INS8_ISJ_NS7_16discard_iteratorINS7_11use_defaultEEES9_S9_S9_S9_S9_S9_S9_S9_EEEESB_EEENSN_IJSM_SM_EEESB_PlJNSF_9not_fun_tINSF_14equal_to_valueISA_EEEEEEE10hipError_tPvRmT3_T4_T5_T6_T7_T9_mT8_P12ihipStream_tbDpT10_ENKUlT_T0_E_clISt17integral_constantIbLb0EES1I_IbLb1EEEEDaS1E_S1F_EUlS1E_E_NS1_11comp_targetILNS1_3genE5ELNS1_11target_archE942ELNS1_3gpuE9ELNS1_3repE0EEENS1_30default_config_static_selectorELNS0_4arch9wavefront6targetE0EEEvT1_: ; @_ZN7rocprim17ROCPRIM_400000_NS6detail17trampoline_kernelINS0_14default_configENS1_25partition_config_selectorILNS1_17partition_subalgoE6EN6thrust23THRUST_200600_302600_NS5tupleIjjNS7_9null_typeES9_S9_S9_S9_S9_S9_S9_EENS0_10empty_typeEbEEZZNS1_14partition_implILS5_6ELb0ES3_mNS7_12zip_iteratorINS8_INS7_6detail15normal_iteratorINS7_10device_ptrIjEEEESJ_S9_S9_S9_S9_S9_S9_S9_S9_EEEEPSB_SM_NS0_5tupleIJNSE_INS8_ISJ_NS7_16discard_iteratorINS7_11use_defaultEEES9_S9_S9_S9_S9_S9_S9_S9_EEEESB_EEENSN_IJSM_SM_EEESB_PlJNSF_9not_fun_tINSF_14equal_to_valueISA_EEEEEEE10hipError_tPvRmT3_T4_T5_T6_T7_T9_mT8_P12ihipStream_tbDpT10_ENKUlT_T0_E_clISt17integral_constantIbLb0EES1I_IbLb1EEEEDaS1E_S1F_EUlS1E_E_NS1_11comp_targetILNS1_3genE5ELNS1_11target_archE942ELNS1_3gpuE9ELNS1_3repE0EEENS1_30default_config_static_selectorELNS0_4arch9wavefront6targetE0EEEvT1_
; %bb.0:
	.section	.rodata,"a",@progbits
	.p2align	6, 0x0
	.amdhsa_kernel _ZN7rocprim17ROCPRIM_400000_NS6detail17trampoline_kernelINS0_14default_configENS1_25partition_config_selectorILNS1_17partition_subalgoE6EN6thrust23THRUST_200600_302600_NS5tupleIjjNS7_9null_typeES9_S9_S9_S9_S9_S9_S9_EENS0_10empty_typeEbEEZZNS1_14partition_implILS5_6ELb0ES3_mNS7_12zip_iteratorINS8_INS7_6detail15normal_iteratorINS7_10device_ptrIjEEEESJ_S9_S9_S9_S9_S9_S9_S9_S9_EEEEPSB_SM_NS0_5tupleIJNSE_INS8_ISJ_NS7_16discard_iteratorINS7_11use_defaultEEES9_S9_S9_S9_S9_S9_S9_S9_EEEESB_EEENSN_IJSM_SM_EEESB_PlJNSF_9not_fun_tINSF_14equal_to_valueISA_EEEEEEE10hipError_tPvRmT3_T4_T5_T6_T7_T9_mT8_P12ihipStream_tbDpT10_ENKUlT_T0_E_clISt17integral_constantIbLb0EES1I_IbLb1EEEEDaS1E_S1F_EUlS1E_E_NS1_11comp_targetILNS1_3genE5ELNS1_11target_archE942ELNS1_3gpuE9ELNS1_3repE0EEENS1_30default_config_static_selectorELNS0_4arch9wavefront6targetE0EEEvT1_
		.amdhsa_group_segment_fixed_size 0
		.amdhsa_private_segment_fixed_size 0
		.amdhsa_kernarg_size 152
		.amdhsa_user_sgpr_count 2
		.amdhsa_user_sgpr_dispatch_ptr 0
		.amdhsa_user_sgpr_queue_ptr 0
		.amdhsa_user_sgpr_kernarg_segment_ptr 1
		.amdhsa_user_sgpr_dispatch_id 0
		.amdhsa_user_sgpr_private_segment_size 0
		.amdhsa_wavefront_size32 1
		.amdhsa_uses_dynamic_stack 0
		.amdhsa_enable_private_segment 0
		.amdhsa_system_sgpr_workgroup_id_x 1
		.amdhsa_system_sgpr_workgroup_id_y 0
		.amdhsa_system_sgpr_workgroup_id_z 0
		.amdhsa_system_sgpr_workgroup_info 0
		.amdhsa_system_vgpr_workitem_id 0
		.amdhsa_next_free_vgpr 1
		.amdhsa_next_free_sgpr 1
		.amdhsa_reserve_vcc 0
		.amdhsa_float_round_mode_32 0
		.amdhsa_float_round_mode_16_64 0
		.amdhsa_float_denorm_mode_32 3
		.amdhsa_float_denorm_mode_16_64 3
		.amdhsa_fp16_overflow 0
		.amdhsa_workgroup_processor_mode 1
		.amdhsa_memory_ordered 1
		.amdhsa_forward_progress 1
		.amdhsa_inst_pref_size 0
		.amdhsa_round_robin_scheduling 0
		.amdhsa_exception_fp_ieee_invalid_op 0
		.amdhsa_exception_fp_denorm_src 0
		.amdhsa_exception_fp_ieee_div_zero 0
		.amdhsa_exception_fp_ieee_overflow 0
		.amdhsa_exception_fp_ieee_underflow 0
		.amdhsa_exception_fp_ieee_inexact 0
		.amdhsa_exception_int_div_zero 0
	.end_amdhsa_kernel
	.section	.text._ZN7rocprim17ROCPRIM_400000_NS6detail17trampoline_kernelINS0_14default_configENS1_25partition_config_selectorILNS1_17partition_subalgoE6EN6thrust23THRUST_200600_302600_NS5tupleIjjNS7_9null_typeES9_S9_S9_S9_S9_S9_S9_EENS0_10empty_typeEbEEZZNS1_14partition_implILS5_6ELb0ES3_mNS7_12zip_iteratorINS8_INS7_6detail15normal_iteratorINS7_10device_ptrIjEEEESJ_S9_S9_S9_S9_S9_S9_S9_S9_EEEEPSB_SM_NS0_5tupleIJNSE_INS8_ISJ_NS7_16discard_iteratorINS7_11use_defaultEEES9_S9_S9_S9_S9_S9_S9_S9_EEEESB_EEENSN_IJSM_SM_EEESB_PlJNSF_9not_fun_tINSF_14equal_to_valueISA_EEEEEEE10hipError_tPvRmT3_T4_T5_T6_T7_T9_mT8_P12ihipStream_tbDpT10_ENKUlT_T0_E_clISt17integral_constantIbLb0EES1I_IbLb1EEEEDaS1E_S1F_EUlS1E_E_NS1_11comp_targetILNS1_3genE5ELNS1_11target_archE942ELNS1_3gpuE9ELNS1_3repE0EEENS1_30default_config_static_selectorELNS0_4arch9wavefront6targetE0EEEvT1_,"axG",@progbits,_ZN7rocprim17ROCPRIM_400000_NS6detail17trampoline_kernelINS0_14default_configENS1_25partition_config_selectorILNS1_17partition_subalgoE6EN6thrust23THRUST_200600_302600_NS5tupleIjjNS7_9null_typeES9_S9_S9_S9_S9_S9_S9_EENS0_10empty_typeEbEEZZNS1_14partition_implILS5_6ELb0ES3_mNS7_12zip_iteratorINS8_INS7_6detail15normal_iteratorINS7_10device_ptrIjEEEESJ_S9_S9_S9_S9_S9_S9_S9_S9_EEEEPSB_SM_NS0_5tupleIJNSE_INS8_ISJ_NS7_16discard_iteratorINS7_11use_defaultEEES9_S9_S9_S9_S9_S9_S9_S9_EEEESB_EEENSN_IJSM_SM_EEESB_PlJNSF_9not_fun_tINSF_14equal_to_valueISA_EEEEEEE10hipError_tPvRmT3_T4_T5_T6_T7_T9_mT8_P12ihipStream_tbDpT10_ENKUlT_T0_E_clISt17integral_constantIbLb0EES1I_IbLb1EEEEDaS1E_S1F_EUlS1E_E_NS1_11comp_targetILNS1_3genE5ELNS1_11target_archE942ELNS1_3gpuE9ELNS1_3repE0EEENS1_30default_config_static_selectorELNS0_4arch9wavefront6targetE0EEEvT1_,comdat
.Lfunc_end1942:
	.size	_ZN7rocprim17ROCPRIM_400000_NS6detail17trampoline_kernelINS0_14default_configENS1_25partition_config_selectorILNS1_17partition_subalgoE6EN6thrust23THRUST_200600_302600_NS5tupleIjjNS7_9null_typeES9_S9_S9_S9_S9_S9_S9_EENS0_10empty_typeEbEEZZNS1_14partition_implILS5_6ELb0ES3_mNS7_12zip_iteratorINS8_INS7_6detail15normal_iteratorINS7_10device_ptrIjEEEESJ_S9_S9_S9_S9_S9_S9_S9_S9_EEEEPSB_SM_NS0_5tupleIJNSE_INS8_ISJ_NS7_16discard_iteratorINS7_11use_defaultEEES9_S9_S9_S9_S9_S9_S9_S9_EEEESB_EEENSN_IJSM_SM_EEESB_PlJNSF_9not_fun_tINSF_14equal_to_valueISA_EEEEEEE10hipError_tPvRmT3_T4_T5_T6_T7_T9_mT8_P12ihipStream_tbDpT10_ENKUlT_T0_E_clISt17integral_constantIbLb0EES1I_IbLb1EEEEDaS1E_S1F_EUlS1E_E_NS1_11comp_targetILNS1_3genE5ELNS1_11target_archE942ELNS1_3gpuE9ELNS1_3repE0EEENS1_30default_config_static_selectorELNS0_4arch9wavefront6targetE0EEEvT1_, .Lfunc_end1942-_ZN7rocprim17ROCPRIM_400000_NS6detail17trampoline_kernelINS0_14default_configENS1_25partition_config_selectorILNS1_17partition_subalgoE6EN6thrust23THRUST_200600_302600_NS5tupleIjjNS7_9null_typeES9_S9_S9_S9_S9_S9_S9_EENS0_10empty_typeEbEEZZNS1_14partition_implILS5_6ELb0ES3_mNS7_12zip_iteratorINS8_INS7_6detail15normal_iteratorINS7_10device_ptrIjEEEESJ_S9_S9_S9_S9_S9_S9_S9_S9_EEEEPSB_SM_NS0_5tupleIJNSE_INS8_ISJ_NS7_16discard_iteratorINS7_11use_defaultEEES9_S9_S9_S9_S9_S9_S9_S9_EEEESB_EEENSN_IJSM_SM_EEESB_PlJNSF_9not_fun_tINSF_14equal_to_valueISA_EEEEEEE10hipError_tPvRmT3_T4_T5_T6_T7_T9_mT8_P12ihipStream_tbDpT10_ENKUlT_T0_E_clISt17integral_constantIbLb0EES1I_IbLb1EEEEDaS1E_S1F_EUlS1E_E_NS1_11comp_targetILNS1_3genE5ELNS1_11target_archE942ELNS1_3gpuE9ELNS1_3repE0EEENS1_30default_config_static_selectorELNS0_4arch9wavefront6targetE0EEEvT1_
                                        ; -- End function
	.set _ZN7rocprim17ROCPRIM_400000_NS6detail17trampoline_kernelINS0_14default_configENS1_25partition_config_selectorILNS1_17partition_subalgoE6EN6thrust23THRUST_200600_302600_NS5tupleIjjNS7_9null_typeES9_S9_S9_S9_S9_S9_S9_EENS0_10empty_typeEbEEZZNS1_14partition_implILS5_6ELb0ES3_mNS7_12zip_iteratorINS8_INS7_6detail15normal_iteratorINS7_10device_ptrIjEEEESJ_S9_S9_S9_S9_S9_S9_S9_S9_EEEEPSB_SM_NS0_5tupleIJNSE_INS8_ISJ_NS7_16discard_iteratorINS7_11use_defaultEEES9_S9_S9_S9_S9_S9_S9_S9_EEEESB_EEENSN_IJSM_SM_EEESB_PlJNSF_9not_fun_tINSF_14equal_to_valueISA_EEEEEEE10hipError_tPvRmT3_T4_T5_T6_T7_T9_mT8_P12ihipStream_tbDpT10_ENKUlT_T0_E_clISt17integral_constantIbLb0EES1I_IbLb1EEEEDaS1E_S1F_EUlS1E_E_NS1_11comp_targetILNS1_3genE5ELNS1_11target_archE942ELNS1_3gpuE9ELNS1_3repE0EEENS1_30default_config_static_selectorELNS0_4arch9wavefront6targetE0EEEvT1_.num_vgpr, 0
	.set _ZN7rocprim17ROCPRIM_400000_NS6detail17trampoline_kernelINS0_14default_configENS1_25partition_config_selectorILNS1_17partition_subalgoE6EN6thrust23THRUST_200600_302600_NS5tupleIjjNS7_9null_typeES9_S9_S9_S9_S9_S9_S9_EENS0_10empty_typeEbEEZZNS1_14partition_implILS5_6ELb0ES3_mNS7_12zip_iteratorINS8_INS7_6detail15normal_iteratorINS7_10device_ptrIjEEEESJ_S9_S9_S9_S9_S9_S9_S9_S9_EEEEPSB_SM_NS0_5tupleIJNSE_INS8_ISJ_NS7_16discard_iteratorINS7_11use_defaultEEES9_S9_S9_S9_S9_S9_S9_S9_EEEESB_EEENSN_IJSM_SM_EEESB_PlJNSF_9not_fun_tINSF_14equal_to_valueISA_EEEEEEE10hipError_tPvRmT3_T4_T5_T6_T7_T9_mT8_P12ihipStream_tbDpT10_ENKUlT_T0_E_clISt17integral_constantIbLb0EES1I_IbLb1EEEEDaS1E_S1F_EUlS1E_E_NS1_11comp_targetILNS1_3genE5ELNS1_11target_archE942ELNS1_3gpuE9ELNS1_3repE0EEENS1_30default_config_static_selectorELNS0_4arch9wavefront6targetE0EEEvT1_.num_agpr, 0
	.set _ZN7rocprim17ROCPRIM_400000_NS6detail17trampoline_kernelINS0_14default_configENS1_25partition_config_selectorILNS1_17partition_subalgoE6EN6thrust23THRUST_200600_302600_NS5tupleIjjNS7_9null_typeES9_S9_S9_S9_S9_S9_S9_EENS0_10empty_typeEbEEZZNS1_14partition_implILS5_6ELb0ES3_mNS7_12zip_iteratorINS8_INS7_6detail15normal_iteratorINS7_10device_ptrIjEEEESJ_S9_S9_S9_S9_S9_S9_S9_S9_EEEEPSB_SM_NS0_5tupleIJNSE_INS8_ISJ_NS7_16discard_iteratorINS7_11use_defaultEEES9_S9_S9_S9_S9_S9_S9_S9_EEEESB_EEENSN_IJSM_SM_EEESB_PlJNSF_9not_fun_tINSF_14equal_to_valueISA_EEEEEEE10hipError_tPvRmT3_T4_T5_T6_T7_T9_mT8_P12ihipStream_tbDpT10_ENKUlT_T0_E_clISt17integral_constantIbLb0EES1I_IbLb1EEEEDaS1E_S1F_EUlS1E_E_NS1_11comp_targetILNS1_3genE5ELNS1_11target_archE942ELNS1_3gpuE9ELNS1_3repE0EEENS1_30default_config_static_selectorELNS0_4arch9wavefront6targetE0EEEvT1_.numbered_sgpr, 0
	.set _ZN7rocprim17ROCPRIM_400000_NS6detail17trampoline_kernelINS0_14default_configENS1_25partition_config_selectorILNS1_17partition_subalgoE6EN6thrust23THRUST_200600_302600_NS5tupleIjjNS7_9null_typeES9_S9_S9_S9_S9_S9_S9_EENS0_10empty_typeEbEEZZNS1_14partition_implILS5_6ELb0ES3_mNS7_12zip_iteratorINS8_INS7_6detail15normal_iteratorINS7_10device_ptrIjEEEESJ_S9_S9_S9_S9_S9_S9_S9_S9_EEEEPSB_SM_NS0_5tupleIJNSE_INS8_ISJ_NS7_16discard_iteratorINS7_11use_defaultEEES9_S9_S9_S9_S9_S9_S9_S9_EEEESB_EEENSN_IJSM_SM_EEESB_PlJNSF_9not_fun_tINSF_14equal_to_valueISA_EEEEEEE10hipError_tPvRmT3_T4_T5_T6_T7_T9_mT8_P12ihipStream_tbDpT10_ENKUlT_T0_E_clISt17integral_constantIbLb0EES1I_IbLb1EEEEDaS1E_S1F_EUlS1E_E_NS1_11comp_targetILNS1_3genE5ELNS1_11target_archE942ELNS1_3gpuE9ELNS1_3repE0EEENS1_30default_config_static_selectorELNS0_4arch9wavefront6targetE0EEEvT1_.num_named_barrier, 0
	.set _ZN7rocprim17ROCPRIM_400000_NS6detail17trampoline_kernelINS0_14default_configENS1_25partition_config_selectorILNS1_17partition_subalgoE6EN6thrust23THRUST_200600_302600_NS5tupleIjjNS7_9null_typeES9_S9_S9_S9_S9_S9_S9_EENS0_10empty_typeEbEEZZNS1_14partition_implILS5_6ELb0ES3_mNS7_12zip_iteratorINS8_INS7_6detail15normal_iteratorINS7_10device_ptrIjEEEESJ_S9_S9_S9_S9_S9_S9_S9_S9_EEEEPSB_SM_NS0_5tupleIJNSE_INS8_ISJ_NS7_16discard_iteratorINS7_11use_defaultEEES9_S9_S9_S9_S9_S9_S9_S9_EEEESB_EEENSN_IJSM_SM_EEESB_PlJNSF_9not_fun_tINSF_14equal_to_valueISA_EEEEEEE10hipError_tPvRmT3_T4_T5_T6_T7_T9_mT8_P12ihipStream_tbDpT10_ENKUlT_T0_E_clISt17integral_constantIbLb0EES1I_IbLb1EEEEDaS1E_S1F_EUlS1E_E_NS1_11comp_targetILNS1_3genE5ELNS1_11target_archE942ELNS1_3gpuE9ELNS1_3repE0EEENS1_30default_config_static_selectorELNS0_4arch9wavefront6targetE0EEEvT1_.private_seg_size, 0
	.set _ZN7rocprim17ROCPRIM_400000_NS6detail17trampoline_kernelINS0_14default_configENS1_25partition_config_selectorILNS1_17partition_subalgoE6EN6thrust23THRUST_200600_302600_NS5tupleIjjNS7_9null_typeES9_S9_S9_S9_S9_S9_S9_EENS0_10empty_typeEbEEZZNS1_14partition_implILS5_6ELb0ES3_mNS7_12zip_iteratorINS8_INS7_6detail15normal_iteratorINS7_10device_ptrIjEEEESJ_S9_S9_S9_S9_S9_S9_S9_S9_EEEEPSB_SM_NS0_5tupleIJNSE_INS8_ISJ_NS7_16discard_iteratorINS7_11use_defaultEEES9_S9_S9_S9_S9_S9_S9_S9_EEEESB_EEENSN_IJSM_SM_EEESB_PlJNSF_9not_fun_tINSF_14equal_to_valueISA_EEEEEEE10hipError_tPvRmT3_T4_T5_T6_T7_T9_mT8_P12ihipStream_tbDpT10_ENKUlT_T0_E_clISt17integral_constantIbLb0EES1I_IbLb1EEEEDaS1E_S1F_EUlS1E_E_NS1_11comp_targetILNS1_3genE5ELNS1_11target_archE942ELNS1_3gpuE9ELNS1_3repE0EEENS1_30default_config_static_selectorELNS0_4arch9wavefront6targetE0EEEvT1_.uses_vcc, 0
	.set _ZN7rocprim17ROCPRIM_400000_NS6detail17trampoline_kernelINS0_14default_configENS1_25partition_config_selectorILNS1_17partition_subalgoE6EN6thrust23THRUST_200600_302600_NS5tupleIjjNS7_9null_typeES9_S9_S9_S9_S9_S9_S9_EENS0_10empty_typeEbEEZZNS1_14partition_implILS5_6ELb0ES3_mNS7_12zip_iteratorINS8_INS7_6detail15normal_iteratorINS7_10device_ptrIjEEEESJ_S9_S9_S9_S9_S9_S9_S9_S9_EEEEPSB_SM_NS0_5tupleIJNSE_INS8_ISJ_NS7_16discard_iteratorINS7_11use_defaultEEES9_S9_S9_S9_S9_S9_S9_S9_EEEESB_EEENSN_IJSM_SM_EEESB_PlJNSF_9not_fun_tINSF_14equal_to_valueISA_EEEEEEE10hipError_tPvRmT3_T4_T5_T6_T7_T9_mT8_P12ihipStream_tbDpT10_ENKUlT_T0_E_clISt17integral_constantIbLb0EES1I_IbLb1EEEEDaS1E_S1F_EUlS1E_E_NS1_11comp_targetILNS1_3genE5ELNS1_11target_archE942ELNS1_3gpuE9ELNS1_3repE0EEENS1_30default_config_static_selectorELNS0_4arch9wavefront6targetE0EEEvT1_.uses_flat_scratch, 0
	.set _ZN7rocprim17ROCPRIM_400000_NS6detail17trampoline_kernelINS0_14default_configENS1_25partition_config_selectorILNS1_17partition_subalgoE6EN6thrust23THRUST_200600_302600_NS5tupleIjjNS7_9null_typeES9_S9_S9_S9_S9_S9_S9_EENS0_10empty_typeEbEEZZNS1_14partition_implILS5_6ELb0ES3_mNS7_12zip_iteratorINS8_INS7_6detail15normal_iteratorINS7_10device_ptrIjEEEESJ_S9_S9_S9_S9_S9_S9_S9_S9_EEEEPSB_SM_NS0_5tupleIJNSE_INS8_ISJ_NS7_16discard_iteratorINS7_11use_defaultEEES9_S9_S9_S9_S9_S9_S9_S9_EEEESB_EEENSN_IJSM_SM_EEESB_PlJNSF_9not_fun_tINSF_14equal_to_valueISA_EEEEEEE10hipError_tPvRmT3_T4_T5_T6_T7_T9_mT8_P12ihipStream_tbDpT10_ENKUlT_T0_E_clISt17integral_constantIbLb0EES1I_IbLb1EEEEDaS1E_S1F_EUlS1E_E_NS1_11comp_targetILNS1_3genE5ELNS1_11target_archE942ELNS1_3gpuE9ELNS1_3repE0EEENS1_30default_config_static_selectorELNS0_4arch9wavefront6targetE0EEEvT1_.has_dyn_sized_stack, 0
	.set _ZN7rocprim17ROCPRIM_400000_NS6detail17trampoline_kernelINS0_14default_configENS1_25partition_config_selectorILNS1_17partition_subalgoE6EN6thrust23THRUST_200600_302600_NS5tupleIjjNS7_9null_typeES9_S9_S9_S9_S9_S9_S9_EENS0_10empty_typeEbEEZZNS1_14partition_implILS5_6ELb0ES3_mNS7_12zip_iteratorINS8_INS7_6detail15normal_iteratorINS7_10device_ptrIjEEEESJ_S9_S9_S9_S9_S9_S9_S9_S9_EEEEPSB_SM_NS0_5tupleIJNSE_INS8_ISJ_NS7_16discard_iteratorINS7_11use_defaultEEES9_S9_S9_S9_S9_S9_S9_S9_EEEESB_EEENSN_IJSM_SM_EEESB_PlJNSF_9not_fun_tINSF_14equal_to_valueISA_EEEEEEE10hipError_tPvRmT3_T4_T5_T6_T7_T9_mT8_P12ihipStream_tbDpT10_ENKUlT_T0_E_clISt17integral_constantIbLb0EES1I_IbLb1EEEEDaS1E_S1F_EUlS1E_E_NS1_11comp_targetILNS1_3genE5ELNS1_11target_archE942ELNS1_3gpuE9ELNS1_3repE0EEENS1_30default_config_static_selectorELNS0_4arch9wavefront6targetE0EEEvT1_.has_recursion, 0
	.set _ZN7rocprim17ROCPRIM_400000_NS6detail17trampoline_kernelINS0_14default_configENS1_25partition_config_selectorILNS1_17partition_subalgoE6EN6thrust23THRUST_200600_302600_NS5tupleIjjNS7_9null_typeES9_S9_S9_S9_S9_S9_S9_EENS0_10empty_typeEbEEZZNS1_14partition_implILS5_6ELb0ES3_mNS7_12zip_iteratorINS8_INS7_6detail15normal_iteratorINS7_10device_ptrIjEEEESJ_S9_S9_S9_S9_S9_S9_S9_S9_EEEEPSB_SM_NS0_5tupleIJNSE_INS8_ISJ_NS7_16discard_iteratorINS7_11use_defaultEEES9_S9_S9_S9_S9_S9_S9_S9_EEEESB_EEENSN_IJSM_SM_EEESB_PlJNSF_9not_fun_tINSF_14equal_to_valueISA_EEEEEEE10hipError_tPvRmT3_T4_T5_T6_T7_T9_mT8_P12ihipStream_tbDpT10_ENKUlT_T0_E_clISt17integral_constantIbLb0EES1I_IbLb1EEEEDaS1E_S1F_EUlS1E_E_NS1_11comp_targetILNS1_3genE5ELNS1_11target_archE942ELNS1_3gpuE9ELNS1_3repE0EEENS1_30default_config_static_selectorELNS0_4arch9wavefront6targetE0EEEvT1_.has_indirect_call, 0
	.section	.AMDGPU.csdata,"",@progbits
; Kernel info:
; codeLenInByte = 0
; TotalNumSgprs: 0
; NumVgprs: 0
; ScratchSize: 0
; MemoryBound: 0
; FloatMode: 240
; IeeeMode: 1
; LDSByteSize: 0 bytes/workgroup (compile time only)
; SGPRBlocks: 0
; VGPRBlocks: 0
; NumSGPRsForWavesPerEU: 1
; NumVGPRsForWavesPerEU: 1
; Occupancy: 16
; WaveLimiterHint : 0
; COMPUTE_PGM_RSRC2:SCRATCH_EN: 0
; COMPUTE_PGM_RSRC2:USER_SGPR: 2
; COMPUTE_PGM_RSRC2:TRAP_HANDLER: 0
; COMPUTE_PGM_RSRC2:TGID_X_EN: 1
; COMPUTE_PGM_RSRC2:TGID_Y_EN: 0
; COMPUTE_PGM_RSRC2:TGID_Z_EN: 0
; COMPUTE_PGM_RSRC2:TIDIG_COMP_CNT: 0
	.section	.text._ZN7rocprim17ROCPRIM_400000_NS6detail17trampoline_kernelINS0_14default_configENS1_25partition_config_selectorILNS1_17partition_subalgoE6EN6thrust23THRUST_200600_302600_NS5tupleIjjNS7_9null_typeES9_S9_S9_S9_S9_S9_S9_EENS0_10empty_typeEbEEZZNS1_14partition_implILS5_6ELb0ES3_mNS7_12zip_iteratorINS8_INS7_6detail15normal_iteratorINS7_10device_ptrIjEEEESJ_S9_S9_S9_S9_S9_S9_S9_S9_EEEEPSB_SM_NS0_5tupleIJNSE_INS8_ISJ_NS7_16discard_iteratorINS7_11use_defaultEEES9_S9_S9_S9_S9_S9_S9_S9_EEEESB_EEENSN_IJSM_SM_EEESB_PlJNSF_9not_fun_tINSF_14equal_to_valueISA_EEEEEEE10hipError_tPvRmT3_T4_T5_T6_T7_T9_mT8_P12ihipStream_tbDpT10_ENKUlT_T0_E_clISt17integral_constantIbLb0EES1I_IbLb1EEEEDaS1E_S1F_EUlS1E_E_NS1_11comp_targetILNS1_3genE4ELNS1_11target_archE910ELNS1_3gpuE8ELNS1_3repE0EEENS1_30default_config_static_selectorELNS0_4arch9wavefront6targetE0EEEvT1_,"axG",@progbits,_ZN7rocprim17ROCPRIM_400000_NS6detail17trampoline_kernelINS0_14default_configENS1_25partition_config_selectorILNS1_17partition_subalgoE6EN6thrust23THRUST_200600_302600_NS5tupleIjjNS7_9null_typeES9_S9_S9_S9_S9_S9_S9_EENS0_10empty_typeEbEEZZNS1_14partition_implILS5_6ELb0ES3_mNS7_12zip_iteratorINS8_INS7_6detail15normal_iteratorINS7_10device_ptrIjEEEESJ_S9_S9_S9_S9_S9_S9_S9_S9_EEEEPSB_SM_NS0_5tupleIJNSE_INS8_ISJ_NS7_16discard_iteratorINS7_11use_defaultEEES9_S9_S9_S9_S9_S9_S9_S9_EEEESB_EEENSN_IJSM_SM_EEESB_PlJNSF_9not_fun_tINSF_14equal_to_valueISA_EEEEEEE10hipError_tPvRmT3_T4_T5_T6_T7_T9_mT8_P12ihipStream_tbDpT10_ENKUlT_T0_E_clISt17integral_constantIbLb0EES1I_IbLb1EEEEDaS1E_S1F_EUlS1E_E_NS1_11comp_targetILNS1_3genE4ELNS1_11target_archE910ELNS1_3gpuE8ELNS1_3repE0EEENS1_30default_config_static_selectorELNS0_4arch9wavefront6targetE0EEEvT1_,comdat
	.protected	_ZN7rocprim17ROCPRIM_400000_NS6detail17trampoline_kernelINS0_14default_configENS1_25partition_config_selectorILNS1_17partition_subalgoE6EN6thrust23THRUST_200600_302600_NS5tupleIjjNS7_9null_typeES9_S9_S9_S9_S9_S9_S9_EENS0_10empty_typeEbEEZZNS1_14partition_implILS5_6ELb0ES3_mNS7_12zip_iteratorINS8_INS7_6detail15normal_iteratorINS7_10device_ptrIjEEEESJ_S9_S9_S9_S9_S9_S9_S9_S9_EEEEPSB_SM_NS0_5tupleIJNSE_INS8_ISJ_NS7_16discard_iteratorINS7_11use_defaultEEES9_S9_S9_S9_S9_S9_S9_S9_EEEESB_EEENSN_IJSM_SM_EEESB_PlJNSF_9not_fun_tINSF_14equal_to_valueISA_EEEEEEE10hipError_tPvRmT3_T4_T5_T6_T7_T9_mT8_P12ihipStream_tbDpT10_ENKUlT_T0_E_clISt17integral_constantIbLb0EES1I_IbLb1EEEEDaS1E_S1F_EUlS1E_E_NS1_11comp_targetILNS1_3genE4ELNS1_11target_archE910ELNS1_3gpuE8ELNS1_3repE0EEENS1_30default_config_static_selectorELNS0_4arch9wavefront6targetE0EEEvT1_ ; -- Begin function _ZN7rocprim17ROCPRIM_400000_NS6detail17trampoline_kernelINS0_14default_configENS1_25partition_config_selectorILNS1_17partition_subalgoE6EN6thrust23THRUST_200600_302600_NS5tupleIjjNS7_9null_typeES9_S9_S9_S9_S9_S9_S9_EENS0_10empty_typeEbEEZZNS1_14partition_implILS5_6ELb0ES3_mNS7_12zip_iteratorINS8_INS7_6detail15normal_iteratorINS7_10device_ptrIjEEEESJ_S9_S9_S9_S9_S9_S9_S9_S9_EEEEPSB_SM_NS0_5tupleIJNSE_INS8_ISJ_NS7_16discard_iteratorINS7_11use_defaultEEES9_S9_S9_S9_S9_S9_S9_S9_EEEESB_EEENSN_IJSM_SM_EEESB_PlJNSF_9not_fun_tINSF_14equal_to_valueISA_EEEEEEE10hipError_tPvRmT3_T4_T5_T6_T7_T9_mT8_P12ihipStream_tbDpT10_ENKUlT_T0_E_clISt17integral_constantIbLb0EES1I_IbLb1EEEEDaS1E_S1F_EUlS1E_E_NS1_11comp_targetILNS1_3genE4ELNS1_11target_archE910ELNS1_3gpuE8ELNS1_3repE0EEENS1_30default_config_static_selectorELNS0_4arch9wavefront6targetE0EEEvT1_
	.globl	_ZN7rocprim17ROCPRIM_400000_NS6detail17trampoline_kernelINS0_14default_configENS1_25partition_config_selectorILNS1_17partition_subalgoE6EN6thrust23THRUST_200600_302600_NS5tupleIjjNS7_9null_typeES9_S9_S9_S9_S9_S9_S9_EENS0_10empty_typeEbEEZZNS1_14partition_implILS5_6ELb0ES3_mNS7_12zip_iteratorINS8_INS7_6detail15normal_iteratorINS7_10device_ptrIjEEEESJ_S9_S9_S9_S9_S9_S9_S9_S9_EEEEPSB_SM_NS0_5tupleIJNSE_INS8_ISJ_NS7_16discard_iteratorINS7_11use_defaultEEES9_S9_S9_S9_S9_S9_S9_S9_EEEESB_EEENSN_IJSM_SM_EEESB_PlJNSF_9not_fun_tINSF_14equal_to_valueISA_EEEEEEE10hipError_tPvRmT3_T4_T5_T6_T7_T9_mT8_P12ihipStream_tbDpT10_ENKUlT_T0_E_clISt17integral_constantIbLb0EES1I_IbLb1EEEEDaS1E_S1F_EUlS1E_E_NS1_11comp_targetILNS1_3genE4ELNS1_11target_archE910ELNS1_3gpuE8ELNS1_3repE0EEENS1_30default_config_static_selectorELNS0_4arch9wavefront6targetE0EEEvT1_
	.p2align	8
	.type	_ZN7rocprim17ROCPRIM_400000_NS6detail17trampoline_kernelINS0_14default_configENS1_25partition_config_selectorILNS1_17partition_subalgoE6EN6thrust23THRUST_200600_302600_NS5tupleIjjNS7_9null_typeES9_S9_S9_S9_S9_S9_S9_EENS0_10empty_typeEbEEZZNS1_14partition_implILS5_6ELb0ES3_mNS7_12zip_iteratorINS8_INS7_6detail15normal_iteratorINS7_10device_ptrIjEEEESJ_S9_S9_S9_S9_S9_S9_S9_S9_EEEEPSB_SM_NS0_5tupleIJNSE_INS8_ISJ_NS7_16discard_iteratorINS7_11use_defaultEEES9_S9_S9_S9_S9_S9_S9_S9_EEEESB_EEENSN_IJSM_SM_EEESB_PlJNSF_9not_fun_tINSF_14equal_to_valueISA_EEEEEEE10hipError_tPvRmT3_T4_T5_T6_T7_T9_mT8_P12ihipStream_tbDpT10_ENKUlT_T0_E_clISt17integral_constantIbLb0EES1I_IbLb1EEEEDaS1E_S1F_EUlS1E_E_NS1_11comp_targetILNS1_3genE4ELNS1_11target_archE910ELNS1_3gpuE8ELNS1_3repE0EEENS1_30default_config_static_selectorELNS0_4arch9wavefront6targetE0EEEvT1_,@function
_ZN7rocprim17ROCPRIM_400000_NS6detail17trampoline_kernelINS0_14default_configENS1_25partition_config_selectorILNS1_17partition_subalgoE6EN6thrust23THRUST_200600_302600_NS5tupleIjjNS7_9null_typeES9_S9_S9_S9_S9_S9_S9_EENS0_10empty_typeEbEEZZNS1_14partition_implILS5_6ELb0ES3_mNS7_12zip_iteratorINS8_INS7_6detail15normal_iteratorINS7_10device_ptrIjEEEESJ_S9_S9_S9_S9_S9_S9_S9_S9_EEEEPSB_SM_NS0_5tupleIJNSE_INS8_ISJ_NS7_16discard_iteratorINS7_11use_defaultEEES9_S9_S9_S9_S9_S9_S9_S9_EEEESB_EEENSN_IJSM_SM_EEESB_PlJNSF_9not_fun_tINSF_14equal_to_valueISA_EEEEEEE10hipError_tPvRmT3_T4_T5_T6_T7_T9_mT8_P12ihipStream_tbDpT10_ENKUlT_T0_E_clISt17integral_constantIbLb0EES1I_IbLb1EEEEDaS1E_S1F_EUlS1E_E_NS1_11comp_targetILNS1_3genE4ELNS1_11target_archE910ELNS1_3gpuE8ELNS1_3repE0EEENS1_30default_config_static_selectorELNS0_4arch9wavefront6targetE0EEEvT1_: ; @_ZN7rocprim17ROCPRIM_400000_NS6detail17trampoline_kernelINS0_14default_configENS1_25partition_config_selectorILNS1_17partition_subalgoE6EN6thrust23THRUST_200600_302600_NS5tupleIjjNS7_9null_typeES9_S9_S9_S9_S9_S9_S9_EENS0_10empty_typeEbEEZZNS1_14partition_implILS5_6ELb0ES3_mNS7_12zip_iteratorINS8_INS7_6detail15normal_iteratorINS7_10device_ptrIjEEEESJ_S9_S9_S9_S9_S9_S9_S9_S9_EEEEPSB_SM_NS0_5tupleIJNSE_INS8_ISJ_NS7_16discard_iteratorINS7_11use_defaultEEES9_S9_S9_S9_S9_S9_S9_S9_EEEESB_EEENSN_IJSM_SM_EEESB_PlJNSF_9not_fun_tINSF_14equal_to_valueISA_EEEEEEE10hipError_tPvRmT3_T4_T5_T6_T7_T9_mT8_P12ihipStream_tbDpT10_ENKUlT_T0_E_clISt17integral_constantIbLb0EES1I_IbLb1EEEEDaS1E_S1F_EUlS1E_E_NS1_11comp_targetILNS1_3genE4ELNS1_11target_archE910ELNS1_3gpuE8ELNS1_3repE0EEENS1_30default_config_static_selectorELNS0_4arch9wavefront6targetE0EEEvT1_
; %bb.0:
	.section	.rodata,"a",@progbits
	.p2align	6, 0x0
	.amdhsa_kernel _ZN7rocprim17ROCPRIM_400000_NS6detail17trampoline_kernelINS0_14default_configENS1_25partition_config_selectorILNS1_17partition_subalgoE6EN6thrust23THRUST_200600_302600_NS5tupleIjjNS7_9null_typeES9_S9_S9_S9_S9_S9_S9_EENS0_10empty_typeEbEEZZNS1_14partition_implILS5_6ELb0ES3_mNS7_12zip_iteratorINS8_INS7_6detail15normal_iteratorINS7_10device_ptrIjEEEESJ_S9_S9_S9_S9_S9_S9_S9_S9_EEEEPSB_SM_NS0_5tupleIJNSE_INS8_ISJ_NS7_16discard_iteratorINS7_11use_defaultEEES9_S9_S9_S9_S9_S9_S9_S9_EEEESB_EEENSN_IJSM_SM_EEESB_PlJNSF_9not_fun_tINSF_14equal_to_valueISA_EEEEEEE10hipError_tPvRmT3_T4_T5_T6_T7_T9_mT8_P12ihipStream_tbDpT10_ENKUlT_T0_E_clISt17integral_constantIbLb0EES1I_IbLb1EEEEDaS1E_S1F_EUlS1E_E_NS1_11comp_targetILNS1_3genE4ELNS1_11target_archE910ELNS1_3gpuE8ELNS1_3repE0EEENS1_30default_config_static_selectorELNS0_4arch9wavefront6targetE0EEEvT1_
		.amdhsa_group_segment_fixed_size 0
		.amdhsa_private_segment_fixed_size 0
		.amdhsa_kernarg_size 152
		.amdhsa_user_sgpr_count 2
		.amdhsa_user_sgpr_dispatch_ptr 0
		.amdhsa_user_sgpr_queue_ptr 0
		.amdhsa_user_sgpr_kernarg_segment_ptr 1
		.amdhsa_user_sgpr_dispatch_id 0
		.amdhsa_user_sgpr_private_segment_size 0
		.amdhsa_wavefront_size32 1
		.amdhsa_uses_dynamic_stack 0
		.amdhsa_enable_private_segment 0
		.amdhsa_system_sgpr_workgroup_id_x 1
		.amdhsa_system_sgpr_workgroup_id_y 0
		.amdhsa_system_sgpr_workgroup_id_z 0
		.amdhsa_system_sgpr_workgroup_info 0
		.amdhsa_system_vgpr_workitem_id 0
		.amdhsa_next_free_vgpr 1
		.amdhsa_next_free_sgpr 1
		.amdhsa_reserve_vcc 0
		.amdhsa_float_round_mode_32 0
		.amdhsa_float_round_mode_16_64 0
		.amdhsa_float_denorm_mode_32 3
		.amdhsa_float_denorm_mode_16_64 3
		.amdhsa_fp16_overflow 0
		.amdhsa_workgroup_processor_mode 1
		.amdhsa_memory_ordered 1
		.amdhsa_forward_progress 1
		.amdhsa_inst_pref_size 0
		.amdhsa_round_robin_scheduling 0
		.amdhsa_exception_fp_ieee_invalid_op 0
		.amdhsa_exception_fp_denorm_src 0
		.amdhsa_exception_fp_ieee_div_zero 0
		.amdhsa_exception_fp_ieee_overflow 0
		.amdhsa_exception_fp_ieee_underflow 0
		.amdhsa_exception_fp_ieee_inexact 0
		.amdhsa_exception_int_div_zero 0
	.end_amdhsa_kernel
	.section	.text._ZN7rocprim17ROCPRIM_400000_NS6detail17trampoline_kernelINS0_14default_configENS1_25partition_config_selectorILNS1_17partition_subalgoE6EN6thrust23THRUST_200600_302600_NS5tupleIjjNS7_9null_typeES9_S9_S9_S9_S9_S9_S9_EENS0_10empty_typeEbEEZZNS1_14partition_implILS5_6ELb0ES3_mNS7_12zip_iteratorINS8_INS7_6detail15normal_iteratorINS7_10device_ptrIjEEEESJ_S9_S9_S9_S9_S9_S9_S9_S9_EEEEPSB_SM_NS0_5tupleIJNSE_INS8_ISJ_NS7_16discard_iteratorINS7_11use_defaultEEES9_S9_S9_S9_S9_S9_S9_S9_EEEESB_EEENSN_IJSM_SM_EEESB_PlJNSF_9not_fun_tINSF_14equal_to_valueISA_EEEEEEE10hipError_tPvRmT3_T4_T5_T6_T7_T9_mT8_P12ihipStream_tbDpT10_ENKUlT_T0_E_clISt17integral_constantIbLb0EES1I_IbLb1EEEEDaS1E_S1F_EUlS1E_E_NS1_11comp_targetILNS1_3genE4ELNS1_11target_archE910ELNS1_3gpuE8ELNS1_3repE0EEENS1_30default_config_static_selectorELNS0_4arch9wavefront6targetE0EEEvT1_,"axG",@progbits,_ZN7rocprim17ROCPRIM_400000_NS6detail17trampoline_kernelINS0_14default_configENS1_25partition_config_selectorILNS1_17partition_subalgoE6EN6thrust23THRUST_200600_302600_NS5tupleIjjNS7_9null_typeES9_S9_S9_S9_S9_S9_S9_EENS0_10empty_typeEbEEZZNS1_14partition_implILS5_6ELb0ES3_mNS7_12zip_iteratorINS8_INS7_6detail15normal_iteratorINS7_10device_ptrIjEEEESJ_S9_S9_S9_S9_S9_S9_S9_S9_EEEEPSB_SM_NS0_5tupleIJNSE_INS8_ISJ_NS7_16discard_iteratorINS7_11use_defaultEEES9_S9_S9_S9_S9_S9_S9_S9_EEEESB_EEENSN_IJSM_SM_EEESB_PlJNSF_9not_fun_tINSF_14equal_to_valueISA_EEEEEEE10hipError_tPvRmT3_T4_T5_T6_T7_T9_mT8_P12ihipStream_tbDpT10_ENKUlT_T0_E_clISt17integral_constantIbLb0EES1I_IbLb1EEEEDaS1E_S1F_EUlS1E_E_NS1_11comp_targetILNS1_3genE4ELNS1_11target_archE910ELNS1_3gpuE8ELNS1_3repE0EEENS1_30default_config_static_selectorELNS0_4arch9wavefront6targetE0EEEvT1_,comdat
.Lfunc_end1943:
	.size	_ZN7rocprim17ROCPRIM_400000_NS6detail17trampoline_kernelINS0_14default_configENS1_25partition_config_selectorILNS1_17partition_subalgoE6EN6thrust23THRUST_200600_302600_NS5tupleIjjNS7_9null_typeES9_S9_S9_S9_S9_S9_S9_EENS0_10empty_typeEbEEZZNS1_14partition_implILS5_6ELb0ES3_mNS7_12zip_iteratorINS8_INS7_6detail15normal_iteratorINS7_10device_ptrIjEEEESJ_S9_S9_S9_S9_S9_S9_S9_S9_EEEEPSB_SM_NS0_5tupleIJNSE_INS8_ISJ_NS7_16discard_iteratorINS7_11use_defaultEEES9_S9_S9_S9_S9_S9_S9_S9_EEEESB_EEENSN_IJSM_SM_EEESB_PlJNSF_9not_fun_tINSF_14equal_to_valueISA_EEEEEEE10hipError_tPvRmT3_T4_T5_T6_T7_T9_mT8_P12ihipStream_tbDpT10_ENKUlT_T0_E_clISt17integral_constantIbLb0EES1I_IbLb1EEEEDaS1E_S1F_EUlS1E_E_NS1_11comp_targetILNS1_3genE4ELNS1_11target_archE910ELNS1_3gpuE8ELNS1_3repE0EEENS1_30default_config_static_selectorELNS0_4arch9wavefront6targetE0EEEvT1_, .Lfunc_end1943-_ZN7rocprim17ROCPRIM_400000_NS6detail17trampoline_kernelINS0_14default_configENS1_25partition_config_selectorILNS1_17partition_subalgoE6EN6thrust23THRUST_200600_302600_NS5tupleIjjNS7_9null_typeES9_S9_S9_S9_S9_S9_S9_EENS0_10empty_typeEbEEZZNS1_14partition_implILS5_6ELb0ES3_mNS7_12zip_iteratorINS8_INS7_6detail15normal_iteratorINS7_10device_ptrIjEEEESJ_S9_S9_S9_S9_S9_S9_S9_S9_EEEEPSB_SM_NS0_5tupleIJNSE_INS8_ISJ_NS7_16discard_iteratorINS7_11use_defaultEEES9_S9_S9_S9_S9_S9_S9_S9_EEEESB_EEENSN_IJSM_SM_EEESB_PlJNSF_9not_fun_tINSF_14equal_to_valueISA_EEEEEEE10hipError_tPvRmT3_T4_T5_T6_T7_T9_mT8_P12ihipStream_tbDpT10_ENKUlT_T0_E_clISt17integral_constantIbLb0EES1I_IbLb1EEEEDaS1E_S1F_EUlS1E_E_NS1_11comp_targetILNS1_3genE4ELNS1_11target_archE910ELNS1_3gpuE8ELNS1_3repE0EEENS1_30default_config_static_selectorELNS0_4arch9wavefront6targetE0EEEvT1_
                                        ; -- End function
	.set _ZN7rocprim17ROCPRIM_400000_NS6detail17trampoline_kernelINS0_14default_configENS1_25partition_config_selectorILNS1_17partition_subalgoE6EN6thrust23THRUST_200600_302600_NS5tupleIjjNS7_9null_typeES9_S9_S9_S9_S9_S9_S9_EENS0_10empty_typeEbEEZZNS1_14partition_implILS5_6ELb0ES3_mNS7_12zip_iteratorINS8_INS7_6detail15normal_iteratorINS7_10device_ptrIjEEEESJ_S9_S9_S9_S9_S9_S9_S9_S9_EEEEPSB_SM_NS0_5tupleIJNSE_INS8_ISJ_NS7_16discard_iteratorINS7_11use_defaultEEES9_S9_S9_S9_S9_S9_S9_S9_EEEESB_EEENSN_IJSM_SM_EEESB_PlJNSF_9not_fun_tINSF_14equal_to_valueISA_EEEEEEE10hipError_tPvRmT3_T4_T5_T6_T7_T9_mT8_P12ihipStream_tbDpT10_ENKUlT_T0_E_clISt17integral_constantIbLb0EES1I_IbLb1EEEEDaS1E_S1F_EUlS1E_E_NS1_11comp_targetILNS1_3genE4ELNS1_11target_archE910ELNS1_3gpuE8ELNS1_3repE0EEENS1_30default_config_static_selectorELNS0_4arch9wavefront6targetE0EEEvT1_.num_vgpr, 0
	.set _ZN7rocprim17ROCPRIM_400000_NS6detail17trampoline_kernelINS0_14default_configENS1_25partition_config_selectorILNS1_17partition_subalgoE6EN6thrust23THRUST_200600_302600_NS5tupleIjjNS7_9null_typeES9_S9_S9_S9_S9_S9_S9_EENS0_10empty_typeEbEEZZNS1_14partition_implILS5_6ELb0ES3_mNS7_12zip_iteratorINS8_INS7_6detail15normal_iteratorINS7_10device_ptrIjEEEESJ_S9_S9_S9_S9_S9_S9_S9_S9_EEEEPSB_SM_NS0_5tupleIJNSE_INS8_ISJ_NS7_16discard_iteratorINS7_11use_defaultEEES9_S9_S9_S9_S9_S9_S9_S9_EEEESB_EEENSN_IJSM_SM_EEESB_PlJNSF_9not_fun_tINSF_14equal_to_valueISA_EEEEEEE10hipError_tPvRmT3_T4_T5_T6_T7_T9_mT8_P12ihipStream_tbDpT10_ENKUlT_T0_E_clISt17integral_constantIbLb0EES1I_IbLb1EEEEDaS1E_S1F_EUlS1E_E_NS1_11comp_targetILNS1_3genE4ELNS1_11target_archE910ELNS1_3gpuE8ELNS1_3repE0EEENS1_30default_config_static_selectorELNS0_4arch9wavefront6targetE0EEEvT1_.num_agpr, 0
	.set _ZN7rocprim17ROCPRIM_400000_NS6detail17trampoline_kernelINS0_14default_configENS1_25partition_config_selectorILNS1_17partition_subalgoE6EN6thrust23THRUST_200600_302600_NS5tupleIjjNS7_9null_typeES9_S9_S9_S9_S9_S9_S9_EENS0_10empty_typeEbEEZZNS1_14partition_implILS5_6ELb0ES3_mNS7_12zip_iteratorINS8_INS7_6detail15normal_iteratorINS7_10device_ptrIjEEEESJ_S9_S9_S9_S9_S9_S9_S9_S9_EEEEPSB_SM_NS0_5tupleIJNSE_INS8_ISJ_NS7_16discard_iteratorINS7_11use_defaultEEES9_S9_S9_S9_S9_S9_S9_S9_EEEESB_EEENSN_IJSM_SM_EEESB_PlJNSF_9not_fun_tINSF_14equal_to_valueISA_EEEEEEE10hipError_tPvRmT3_T4_T5_T6_T7_T9_mT8_P12ihipStream_tbDpT10_ENKUlT_T0_E_clISt17integral_constantIbLb0EES1I_IbLb1EEEEDaS1E_S1F_EUlS1E_E_NS1_11comp_targetILNS1_3genE4ELNS1_11target_archE910ELNS1_3gpuE8ELNS1_3repE0EEENS1_30default_config_static_selectorELNS0_4arch9wavefront6targetE0EEEvT1_.numbered_sgpr, 0
	.set _ZN7rocprim17ROCPRIM_400000_NS6detail17trampoline_kernelINS0_14default_configENS1_25partition_config_selectorILNS1_17partition_subalgoE6EN6thrust23THRUST_200600_302600_NS5tupleIjjNS7_9null_typeES9_S9_S9_S9_S9_S9_S9_EENS0_10empty_typeEbEEZZNS1_14partition_implILS5_6ELb0ES3_mNS7_12zip_iteratorINS8_INS7_6detail15normal_iteratorINS7_10device_ptrIjEEEESJ_S9_S9_S9_S9_S9_S9_S9_S9_EEEEPSB_SM_NS0_5tupleIJNSE_INS8_ISJ_NS7_16discard_iteratorINS7_11use_defaultEEES9_S9_S9_S9_S9_S9_S9_S9_EEEESB_EEENSN_IJSM_SM_EEESB_PlJNSF_9not_fun_tINSF_14equal_to_valueISA_EEEEEEE10hipError_tPvRmT3_T4_T5_T6_T7_T9_mT8_P12ihipStream_tbDpT10_ENKUlT_T0_E_clISt17integral_constantIbLb0EES1I_IbLb1EEEEDaS1E_S1F_EUlS1E_E_NS1_11comp_targetILNS1_3genE4ELNS1_11target_archE910ELNS1_3gpuE8ELNS1_3repE0EEENS1_30default_config_static_selectorELNS0_4arch9wavefront6targetE0EEEvT1_.num_named_barrier, 0
	.set _ZN7rocprim17ROCPRIM_400000_NS6detail17trampoline_kernelINS0_14default_configENS1_25partition_config_selectorILNS1_17partition_subalgoE6EN6thrust23THRUST_200600_302600_NS5tupleIjjNS7_9null_typeES9_S9_S9_S9_S9_S9_S9_EENS0_10empty_typeEbEEZZNS1_14partition_implILS5_6ELb0ES3_mNS7_12zip_iteratorINS8_INS7_6detail15normal_iteratorINS7_10device_ptrIjEEEESJ_S9_S9_S9_S9_S9_S9_S9_S9_EEEEPSB_SM_NS0_5tupleIJNSE_INS8_ISJ_NS7_16discard_iteratorINS7_11use_defaultEEES9_S9_S9_S9_S9_S9_S9_S9_EEEESB_EEENSN_IJSM_SM_EEESB_PlJNSF_9not_fun_tINSF_14equal_to_valueISA_EEEEEEE10hipError_tPvRmT3_T4_T5_T6_T7_T9_mT8_P12ihipStream_tbDpT10_ENKUlT_T0_E_clISt17integral_constantIbLb0EES1I_IbLb1EEEEDaS1E_S1F_EUlS1E_E_NS1_11comp_targetILNS1_3genE4ELNS1_11target_archE910ELNS1_3gpuE8ELNS1_3repE0EEENS1_30default_config_static_selectorELNS0_4arch9wavefront6targetE0EEEvT1_.private_seg_size, 0
	.set _ZN7rocprim17ROCPRIM_400000_NS6detail17trampoline_kernelINS0_14default_configENS1_25partition_config_selectorILNS1_17partition_subalgoE6EN6thrust23THRUST_200600_302600_NS5tupleIjjNS7_9null_typeES9_S9_S9_S9_S9_S9_S9_EENS0_10empty_typeEbEEZZNS1_14partition_implILS5_6ELb0ES3_mNS7_12zip_iteratorINS8_INS7_6detail15normal_iteratorINS7_10device_ptrIjEEEESJ_S9_S9_S9_S9_S9_S9_S9_S9_EEEEPSB_SM_NS0_5tupleIJNSE_INS8_ISJ_NS7_16discard_iteratorINS7_11use_defaultEEES9_S9_S9_S9_S9_S9_S9_S9_EEEESB_EEENSN_IJSM_SM_EEESB_PlJNSF_9not_fun_tINSF_14equal_to_valueISA_EEEEEEE10hipError_tPvRmT3_T4_T5_T6_T7_T9_mT8_P12ihipStream_tbDpT10_ENKUlT_T0_E_clISt17integral_constantIbLb0EES1I_IbLb1EEEEDaS1E_S1F_EUlS1E_E_NS1_11comp_targetILNS1_3genE4ELNS1_11target_archE910ELNS1_3gpuE8ELNS1_3repE0EEENS1_30default_config_static_selectorELNS0_4arch9wavefront6targetE0EEEvT1_.uses_vcc, 0
	.set _ZN7rocprim17ROCPRIM_400000_NS6detail17trampoline_kernelINS0_14default_configENS1_25partition_config_selectorILNS1_17partition_subalgoE6EN6thrust23THRUST_200600_302600_NS5tupleIjjNS7_9null_typeES9_S9_S9_S9_S9_S9_S9_EENS0_10empty_typeEbEEZZNS1_14partition_implILS5_6ELb0ES3_mNS7_12zip_iteratorINS8_INS7_6detail15normal_iteratorINS7_10device_ptrIjEEEESJ_S9_S9_S9_S9_S9_S9_S9_S9_EEEEPSB_SM_NS0_5tupleIJNSE_INS8_ISJ_NS7_16discard_iteratorINS7_11use_defaultEEES9_S9_S9_S9_S9_S9_S9_S9_EEEESB_EEENSN_IJSM_SM_EEESB_PlJNSF_9not_fun_tINSF_14equal_to_valueISA_EEEEEEE10hipError_tPvRmT3_T4_T5_T6_T7_T9_mT8_P12ihipStream_tbDpT10_ENKUlT_T0_E_clISt17integral_constantIbLb0EES1I_IbLb1EEEEDaS1E_S1F_EUlS1E_E_NS1_11comp_targetILNS1_3genE4ELNS1_11target_archE910ELNS1_3gpuE8ELNS1_3repE0EEENS1_30default_config_static_selectorELNS0_4arch9wavefront6targetE0EEEvT1_.uses_flat_scratch, 0
	.set _ZN7rocprim17ROCPRIM_400000_NS6detail17trampoline_kernelINS0_14default_configENS1_25partition_config_selectorILNS1_17partition_subalgoE6EN6thrust23THRUST_200600_302600_NS5tupleIjjNS7_9null_typeES9_S9_S9_S9_S9_S9_S9_EENS0_10empty_typeEbEEZZNS1_14partition_implILS5_6ELb0ES3_mNS7_12zip_iteratorINS8_INS7_6detail15normal_iteratorINS7_10device_ptrIjEEEESJ_S9_S9_S9_S9_S9_S9_S9_S9_EEEEPSB_SM_NS0_5tupleIJNSE_INS8_ISJ_NS7_16discard_iteratorINS7_11use_defaultEEES9_S9_S9_S9_S9_S9_S9_S9_EEEESB_EEENSN_IJSM_SM_EEESB_PlJNSF_9not_fun_tINSF_14equal_to_valueISA_EEEEEEE10hipError_tPvRmT3_T4_T5_T6_T7_T9_mT8_P12ihipStream_tbDpT10_ENKUlT_T0_E_clISt17integral_constantIbLb0EES1I_IbLb1EEEEDaS1E_S1F_EUlS1E_E_NS1_11comp_targetILNS1_3genE4ELNS1_11target_archE910ELNS1_3gpuE8ELNS1_3repE0EEENS1_30default_config_static_selectorELNS0_4arch9wavefront6targetE0EEEvT1_.has_dyn_sized_stack, 0
	.set _ZN7rocprim17ROCPRIM_400000_NS6detail17trampoline_kernelINS0_14default_configENS1_25partition_config_selectorILNS1_17partition_subalgoE6EN6thrust23THRUST_200600_302600_NS5tupleIjjNS7_9null_typeES9_S9_S9_S9_S9_S9_S9_EENS0_10empty_typeEbEEZZNS1_14partition_implILS5_6ELb0ES3_mNS7_12zip_iteratorINS8_INS7_6detail15normal_iteratorINS7_10device_ptrIjEEEESJ_S9_S9_S9_S9_S9_S9_S9_S9_EEEEPSB_SM_NS0_5tupleIJNSE_INS8_ISJ_NS7_16discard_iteratorINS7_11use_defaultEEES9_S9_S9_S9_S9_S9_S9_S9_EEEESB_EEENSN_IJSM_SM_EEESB_PlJNSF_9not_fun_tINSF_14equal_to_valueISA_EEEEEEE10hipError_tPvRmT3_T4_T5_T6_T7_T9_mT8_P12ihipStream_tbDpT10_ENKUlT_T0_E_clISt17integral_constantIbLb0EES1I_IbLb1EEEEDaS1E_S1F_EUlS1E_E_NS1_11comp_targetILNS1_3genE4ELNS1_11target_archE910ELNS1_3gpuE8ELNS1_3repE0EEENS1_30default_config_static_selectorELNS0_4arch9wavefront6targetE0EEEvT1_.has_recursion, 0
	.set _ZN7rocprim17ROCPRIM_400000_NS6detail17trampoline_kernelINS0_14default_configENS1_25partition_config_selectorILNS1_17partition_subalgoE6EN6thrust23THRUST_200600_302600_NS5tupleIjjNS7_9null_typeES9_S9_S9_S9_S9_S9_S9_EENS0_10empty_typeEbEEZZNS1_14partition_implILS5_6ELb0ES3_mNS7_12zip_iteratorINS8_INS7_6detail15normal_iteratorINS7_10device_ptrIjEEEESJ_S9_S9_S9_S9_S9_S9_S9_S9_EEEEPSB_SM_NS0_5tupleIJNSE_INS8_ISJ_NS7_16discard_iteratorINS7_11use_defaultEEES9_S9_S9_S9_S9_S9_S9_S9_EEEESB_EEENSN_IJSM_SM_EEESB_PlJNSF_9not_fun_tINSF_14equal_to_valueISA_EEEEEEE10hipError_tPvRmT3_T4_T5_T6_T7_T9_mT8_P12ihipStream_tbDpT10_ENKUlT_T0_E_clISt17integral_constantIbLb0EES1I_IbLb1EEEEDaS1E_S1F_EUlS1E_E_NS1_11comp_targetILNS1_3genE4ELNS1_11target_archE910ELNS1_3gpuE8ELNS1_3repE0EEENS1_30default_config_static_selectorELNS0_4arch9wavefront6targetE0EEEvT1_.has_indirect_call, 0
	.section	.AMDGPU.csdata,"",@progbits
; Kernel info:
; codeLenInByte = 0
; TotalNumSgprs: 0
; NumVgprs: 0
; ScratchSize: 0
; MemoryBound: 0
; FloatMode: 240
; IeeeMode: 1
; LDSByteSize: 0 bytes/workgroup (compile time only)
; SGPRBlocks: 0
; VGPRBlocks: 0
; NumSGPRsForWavesPerEU: 1
; NumVGPRsForWavesPerEU: 1
; Occupancy: 16
; WaveLimiterHint : 0
; COMPUTE_PGM_RSRC2:SCRATCH_EN: 0
; COMPUTE_PGM_RSRC2:USER_SGPR: 2
; COMPUTE_PGM_RSRC2:TRAP_HANDLER: 0
; COMPUTE_PGM_RSRC2:TGID_X_EN: 1
; COMPUTE_PGM_RSRC2:TGID_Y_EN: 0
; COMPUTE_PGM_RSRC2:TGID_Z_EN: 0
; COMPUTE_PGM_RSRC2:TIDIG_COMP_CNT: 0
	.section	.text._ZN7rocprim17ROCPRIM_400000_NS6detail17trampoline_kernelINS0_14default_configENS1_25partition_config_selectorILNS1_17partition_subalgoE6EN6thrust23THRUST_200600_302600_NS5tupleIjjNS7_9null_typeES9_S9_S9_S9_S9_S9_S9_EENS0_10empty_typeEbEEZZNS1_14partition_implILS5_6ELb0ES3_mNS7_12zip_iteratorINS8_INS7_6detail15normal_iteratorINS7_10device_ptrIjEEEESJ_S9_S9_S9_S9_S9_S9_S9_S9_EEEEPSB_SM_NS0_5tupleIJNSE_INS8_ISJ_NS7_16discard_iteratorINS7_11use_defaultEEES9_S9_S9_S9_S9_S9_S9_S9_EEEESB_EEENSN_IJSM_SM_EEESB_PlJNSF_9not_fun_tINSF_14equal_to_valueISA_EEEEEEE10hipError_tPvRmT3_T4_T5_T6_T7_T9_mT8_P12ihipStream_tbDpT10_ENKUlT_T0_E_clISt17integral_constantIbLb0EES1I_IbLb1EEEEDaS1E_S1F_EUlS1E_E_NS1_11comp_targetILNS1_3genE3ELNS1_11target_archE908ELNS1_3gpuE7ELNS1_3repE0EEENS1_30default_config_static_selectorELNS0_4arch9wavefront6targetE0EEEvT1_,"axG",@progbits,_ZN7rocprim17ROCPRIM_400000_NS6detail17trampoline_kernelINS0_14default_configENS1_25partition_config_selectorILNS1_17partition_subalgoE6EN6thrust23THRUST_200600_302600_NS5tupleIjjNS7_9null_typeES9_S9_S9_S9_S9_S9_S9_EENS0_10empty_typeEbEEZZNS1_14partition_implILS5_6ELb0ES3_mNS7_12zip_iteratorINS8_INS7_6detail15normal_iteratorINS7_10device_ptrIjEEEESJ_S9_S9_S9_S9_S9_S9_S9_S9_EEEEPSB_SM_NS0_5tupleIJNSE_INS8_ISJ_NS7_16discard_iteratorINS7_11use_defaultEEES9_S9_S9_S9_S9_S9_S9_S9_EEEESB_EEENSN_IJSM_SM_EEESB_PlJNSF_9not_fun_tINSF_14equal_to_valueISA_EEEEEEE10hipError_tPvRmT3_T4_T5_T6_T7_T9_mT8_P12ihipStream_tbDpT10_ENKUlT_T0_E_clISt17integral_constantIbLb0EES1I_IbLb1EEEEDaS1E_S1F_EUlS1E_E_NS1_11comp_targetILNS1_3genE3ELNS1_11target_archE908ELNS1_3gpuE7ELNS1_3repE0EEENS1_30default_config_static_selectorELNS0_4arch9wavefront6targetE0EEEvT1_,comdat
	.protected	_ZN7rocprim17ROCPRIM_400000_NS6detail17trampoline_kernelINS0_14default_configENS1_25partition_config_selectorILNS1_17partition_subalgoE6EN6thrust23THRUST_200600_302600_NS5tupleIjjNS7_9null_typeES9_S9_S9_S9_S9_S9_S9_EENS0_10empty_typeEbEEZZNS1_14partition_implILS5_6ELb0ES3_mNS7_12zip_iteratorINS8_INS7_6detail15normal_iteratorINS7_10device_ptrIjEEEESJ_S9_S9_S9_S9_S9_S9_S9_S9_EEEEPSB_SM_NS0_5tupleIJNSE_INS8_ISJ_NS7_16discard_iteratorINS7_11use_defaultEEES9_S9_S9_S9_S9_S9_S9_S9_EEEESB_EEENSN_IJSM_SM_EEESB_PlJNSF_9not_fun_tINSF_14equal_to_valueISA_EEEEEEE10hipError_tPvRmT3_T4_T5_T6_T7_T9_mT8_P12ihipStream_tbDpT10_ENKUlT_T0_E_clISt17integral_constantIbLb0EES1I_IbLb1EEEEDaS1E_S1F_EUlS1E_E_NS1_11comp_targetILNS1_3genE3ELNS1_11target_archE908ELNS1_3gpuE7ELNS1_3repE0EEENS1_30default_config_static_selectorELNS0_4arch9wavefront6targetE0EEEvT1_ ; -- Begin function _ZN7rocprim17ROCPRIM_400000_NS6detail17trampoline_kernelINS0_14default_configENS1_25partition_config_selectorILNS1_17partition_subalgoE6EN6thrust23THRUST_200600_302600_NS5tupleIjjNS7_9null_typeES9_S9_S9_S9_S9_S9_S9_EENS0_10empty_typeEbEEZZNS1_14partition_implILS5_6ELb0ES3_mNS7_12zip_iteratorINS8_INS7_6detail15normal_iteratorINS7_10device_ptrIjEEEESJ_S9_S9_S9_S9_S9_S9_S9_S9_EEEEPSB_SM_NS0_5tupleIJNSE_INS8_ISJ_NS7_16discard_iteratorINS7_11use_defaultEEES9_S9_S9_S9_S9_S9_S9_S9_EEEESB_EEENSN_IJSM_SM_EEESB_PlJNSF_9not_fun_tINSF_14equal_to_valueISA_EEEEEEE10hipError_tPvRmT3_T4_T5_T6_T7_T9_mT8_P12ihipStream_tbDpT10_ENKUlT_T0_E_clISt17integral_constantIbLb0EES1I_IbLb1EEEEDaS1E_S1F_EUlS1E_E_NS1_11comp_targetILNS1_3genE3ELNS1_11target_archE908ELNS1_3gpuE7ELNS1_3repE0EEENS1_30default_config_static_selectorELNS0_4arch9wavefront6targetE0EEEvT1_
	.globl	_ZN7rocprim17ROCPRIM_400000_NS6detail17trampoline_kernelINS0_14default_configENS1_25partition_config_selectorILNS1_17partition_subalgoE6EN6thrust23THRUST_200600_302600_NS5tupleIjjNS7_9null_typeES9_S9_S9_S9_S9_S9_S9_EENS0_10empty_typeEbEEZZNS1_14partition_implILS5_6ELb0ES3_mNS7_12zip_iteratorINS8_INS7_6detail15normal_iteratorINS7_10device_ptrIjEEEESJ_S9_S9_S9_S9_S9_S9_S9_S9_EEEEPSB_SM_NS0_5tupleIJNSE_INS8_ISJ_NS7_16discard_iteratorINS7_11use_defaultEEES9_S9_S9_S9_S9_S9_S9_S9_EEEESB_EEENSN_IJSM_SM_EEESB_PlJNSF_9not_fun_tINSF_14equal_to_valueISA_EEEEEEE10hipError_tPvRmT3_T4_T5_T6_T7_T9_mT8_P12ihipStream_tbDpT10_ENKUlT_T0_E_clISt17integral_constantIbLb0EES1I_IbLb1EEEEDaS1E_S1F_EUlS1E_E_NS1_11comp_targetILNS1_3genE3ELNS1_11target_archE908ELNS1_3gpuE7ELNS1_3repE0EEENS1_30default_config_static_selectorELNS0_4arch9wavefront6targetE0EEEvT1_
	.p2align	8
	.type	_ZN7rocprim17ROCPRIM_400000_NS6detail17trampoline_kernelINS0_14default_configENS1_25partition_config_selectorILNS1_17partition_subalgoE6EN6thrust23THRUST_200600_302600_NS5tupleIjjNS7_9null_typeES9_S9_S9_S9_S9_S9_S9_EENS0_10empty_typeEbEEZZNS1_14partition_implILS5_6ELb0ES3_mNS7_12zip_iteratorINS8_INS7_6detail15normal_iteratorINS7_10device_ptrIjEEEESJ_S9_S9_S9_S9_S9_S9_S9_S9_EEEEPSB_SM_NS0_5tupleIJNSE_INS8_ISJ_NS7_16discard_iteratorINS7_11use_defaultEEES9_S9_S9_S9_S9_S9_S9_S9_EEEESB_EEENSN_IJSM_SM_EEESB_PlJNSF_9not_fun_tINSF_14equal_to_valueISA_EEEEEEE10hipError_tPvRmT3_T4_T5_T6_T7_T9_mT8_P12ihipStream_tbDpT10_ENKUlT_T0_E_clISt17integral_constantIbLb0EES1I_IbLb1EEEEDaS1E_S1F_EUlS1E_E_NS1_11comp_targetILNS1_3genE3ELNS1_11target_archE908ELNS1_3gpuE7ELNS1_3repE0EEENS1_30default_config_static_selectorELNS0_4arch9wavefront6targetE0EEEvT1_,@function
_ZN7rocprim17ROCPRIM_400000_NS6detail17trampoline_kernelINS0_14default_configENS1_25partition_config_selectorILNS1_17partition_subalgoE6EN6thrust23THRUST_200600_302600_NS5tupleIjjNS7_9null_typeES9_S9_S9_S9_S9_S9_S9_EENS0_10empty_typeEbEEZZNS1_14partition_implILS5_6ELb0ES3_mNS7_12zip_iteratorINS8_INS7_6detail15normal_iteratorINS7_10device_ptrIjEEEESJ_S9_S9_S9_S9_S9_S9_S9_S9_EEEEPSB_SM_NS0_5tupleIJNSE_INS8_ISJ_NS7_16discard_iteratorINS7_11use_defaultEEES9_S9_S9_S9_S9_S9_S9_S9_EEEESB_EEENSN_IJSM_SM_EEESB_PlJNSF_9not_fun_tINSF_14equal_to_valueISA_EEEEEEE10hipError_tPvRmT3_T4_T5_T6_T7_T9_mT8_P12ihipStream_tbDpT10_ENKUlT_T0_E_clISt17integral_constantIbLb0EES1I_IbLb1EEEEDaS1E_S1F_EUlS1E_E_NS1_11comp_targetILNS1_3genE3ELNS1_11target_archE908ELNS1_3gpuE7ELNS1_3repE0EEENS1_30default_config_static_selectorELNS0_4arch9wavefront6targetE0EEEvT1_: ; @_ZN7rocprim17ROCPRIM_400000_NS6detail17trampoline_kernelINS0_14default_configENS1_25partition_config_selectorILNS1_17partition_subalgoE6EN6thrust23THRUST_200600_302600_NS5tupleIjjNS7_9null_typeES9_S9_S9_S9_S9_S9_S9_EENS0_10empty_typeEbEEZZNS1_14partition_implILS5_6ELb0ES3_mNS7_12zip_iteratorINS8_INS7_6detail15normal_iteratorINS7_10device_ptrIjEEEESJ_S9_S9_S9_S9_S9_S9_S9_S9_EEEEPSB_SM_NS0_5tupleIJNSE_INS8_ISJ_NS7_16discard_iteratorINS7_11use_defaultEEES9_S9_S9_S9_S9_S9_S9_S9_EEEESB_EEENSN_IJSM_SM_EEESB_PlJNSF_9not_fun_tINSF_14equal_to_valueISA_EEEEEEE10hipError_tPvRmT3_T4_T5_T6_T7_T9_mT8_P12ihipStream_tbDpT10_ENKUlT_T0_E_clISt17integral_constantIbLb0EES1I_IbLb1EEEEDaS1E_S1F_EUlS1E_E_NS1_11comp_targetILNS1_3genE3ELNS1_11target_archE908ELNS1_3gpuE7ELNS1_3repE0EEENS1_30default_config_static_selectorELNS0_4arch9wavefront6targetE0EEEvT1_
; %bb.0:
	.section	.rodata,"a",@progbits
	.p2align	6, 0x0
	.amdhsa_kernel _ZN7rocprim17ROCPRIM_400000_NS6detail17trampoline_kernelINS0_14default_configENS1_25partition_config_selectorILNS1_17partition_subalgoE6EN6thrust23THRUST_200600_302600_NS5tupleIjjNS7_9null_typeES9_S9_S9_S9_S9_S9_S9_EENS0_10empty_typeEbEEZZNS1_14partition_implILS5_6ELb0ES3_mNS7_12zip_iteratorINS8_INS7_6detail15normal_iteratorINS7_10device_ptrIjEEEESJ_S9_S9_S9_S9_S9_S9_S9_S9_EEEEPSB_SM_NS0_5tupleIJNSE_INS8_ISJ_NS7_16discard_iteratorINS7_11use_defaultEEES9_S9_S9_S9_S9_S9_S9_S9_EEEESB_EEENSN_IJSM_SM_EEESB_PlJNSF_9not_fun_tINSF_14equal_to_valueISA_EEEEEEE10hipError_tPvRmT3_T4_T5_T6_T7_T9_mT8_P12ihipStream_tbDpT10_ENKUlT_T0_E_clISt17integral_constantIbLb0EES1I_IbLb1EEEEDaS1E_S1F_EUlS1E_E_NS1_11comp_targetILNS1_3genE3ELNS1_11target_archE908ELNS1_3gpuE7ELNS1_3repE0EEENS1_30default_config_static_selectorELNS0_4arch9wavefront6targetE0EEEvT1_
		.amdhsa_group_segment_fixed_size 0
		.amdhsa_private_segment_fixed_size 0
		.amdhsa_kernarg_size 152
		.amdhsa_user_sgpr_count 2
		.amdhsa_user_sgpr_dispatch_ptr 0
		.amdhsa_user_sgpr_queue_ptr 0
		.amdhsa_user_sgpr_kernarg_segment_ptr 1
		.amdhsa_user_sgpr_dispatch_id 0
		.amdhsa_user_sgpr_private_segment_size 0
		.amdhsa_wavefront_size32 1
		.amdhsa_uses_dynamic_stack 0
		.amdhsa_enable_private_segment 0
		.amdhsa_system_sgpr_workgroup_id_x 1
		.amdhsa_system_sgpr_workgroup_id_y 0
		.amdhsa_system_sgpr_workgroup_id_z 0
		.amdhsa_system_sgpr_workgroup_info 0
		.amdhsa_system_vgpr_workitem_id 0
		.amdhsa_next_free_vgpr 1
		.amdhsa_next_free_sgpr 1
		.amdhsa_reserve_vcc 0
		.amdhsa_float_round_mode_32 0
		.amdhsa_float_round_mode_16_64 0
		.amdhsa_float_denorm_mode_32 3
		.amdhsa_float_denorm_mode_16_64 3
		.amdhsa_fp16_overflow 0
		.amdhsa_workgroup_processor_mode 1
		.amdhsa_memory_ordered 1
		.amdhsa_forward_progress 1
		.amdhsa_inst_pref_size 0
		.amdhsa_round_robin_scheduling 0
		.amdhsa_exception_fp_ieee_invalid_op 0
		.amdhsa_exception_fp_denorm_src 0
		.amdhsa_exception_fp_ieee_div_zero 0
		.amdhsa_exception_fp_ieee_overflow 0
		.amdhsa_exception_fp_ieee_underflow 0
		.amdhsa_exception_fp_ieee_inexact 0
		.amdhsa_exception_int_div_zero 0
	.end_amdhsa_kernel
	.section	.text._ZN7rocprim17ROCPRIM_400000_NS6detail17trampoline_kernelINS0_14default_configENS1_25partition_config_selectorILNS1_17partition_subalgoE6EN6thrust23THRUST_200600_302600_NS5tupleIjjNS7_9null_typeES9_S9_S9_S9_S9_S9_S9_EENS0_10empty_typeEbEEZZNS1_14partition_implILS5_6ELb0ES3_mNS7_12zip_iteratorINS8_INS7_6detail15normal_iteratorINS7_10device_ptrIjEEEESJ_S9_S9_S9_S9_S9_S9_S9_S9_EEEEPSB_SM_NS0_5tupleIJNSE_INS8_ISJ_NS7_16discard_iteratorINS7_11use_defaultEEES9_S9_S9_S9_S9_S9_S9_S9_EEEESB_EEENSN_IJSM_SM_EEESB_PlJNSF_9not_fun_tINSF_14equal_to_valueISA_EEEEEEE10hipError_tPvRmT3_T4_T5_T6_T7_T9_mT8_P12ihipStream_tbDpT10_ENKUlT_T0_E_clISt17integral_constantIbLb0EES1I_IbLb1EEEEDaS1E_S1F_EUlS1E_E_NS1_11comp_targetILNS1_3genE3ELNS1_11target_archE908ELNS1_3gpuE7ELNS1_3repE0EEENS1_30default_config_static_selectorELNS0_4arch9wavefront6targetE0EEEvT1_,"axG",@progbits,_ZN7rocprim17ROCPRIM_400000_NS6detail17trampoline_kernelINS0_14default_configENS1_25partition_config_selectorILNS1_17partition_subalgoE6EN6thrust23THRUST_200600_302600_NS5tupleIjjNS7_9null_typeES9_S9_S9_S9_S9_S9_S9_EENS0_10empty_typeEbEEZZNS1_14partition_implILS5_6ELb0ES3_mNS7_12zip_iteratorINS8_INS7_6detail15normal_iteratorINS7_10device_ptrIjEEEESJ_S9_S9_S9_S9_S9_S9_S9_S9_EEEEPSB_SM_NS0_5tupleIJNSE_INS8_ISJ_NS7_16discard_iteratorINS7_11use_defaultEEES9_S9_S9_S9_S9_S9_S9_S9_EEEESB_EEENSN_IJSM_SM_EEESB_PlJNSF_9not_fun_tINSF_14equal_to_valueISA_EEEEEEE10hipError_tPvRmT3_T4_T5_T6_T7_T9_mT8_P12ihipStream_tbDpT10_ENKUlT_T0_E_clISt17integral_constantIbLb0EES1I_IbLb1EEEEDaS1E_S1F_EUlS1E_E_NS1_11comp_targetILNS1_3genE3ELNS1_11target_archE908ELNS1_3gpuE7ELNS1_3repE0EEENS1_30default_config_static_selectorELNS0_4arch9wavefront6targetE0EEEvT1_,comdat
.Lfunc_end1944:
	.size	_ZN7rocprim17ROCPRIM_400000_NS6detail17trampoline_kernelINS0_14default_configENS1_25partition_config_selectorILNS1_17partition_subalgoE6EN6thrust23THRUST_200600_302600_NS5tupleIjjNS7_9null_typeES9_S9_S9_S9_S9_S9_S9_EENS0_10empty_typeEbEEZZNS1_14partition_implILS5_6ELb0ES3_mNS7_12zip_iteratorINS8_INS7_6detail15normal_iteratorINS7_10device_ptrIjEEEESJ_S9_S9_S9_S9_S9_S9_S9_S9_EEEEPSB_SM_NS0_5tupleIJNSE_INS8_ISJ_NS7_16discard_iteratorINS7_11use_defaultEEES9_S9_S9_S9_S9_S9_S9_S9_EEEESB_EEENSN_IJSM_SM_EEESB_PlJNSF_9not_fun_tINSF_14equal_to_valueISA_EEEEEEE10hipError_tPvRmT3_T4_T5_T6_T7_T9_mT8_P12ihipStream_tbDpT10_ENKUlT_T0_E_clISt17integral_constantIbLb0EES1I_IbLb1EEEEDaS1E_S1F_EUlS1E_E_NS1_11comp_targetILNS1_3genE3ELNS1_11target_archE908ELNS1_3gpuE7ELNS1_3repE0EEENS1_30default_config_static_selectorELNS0_4arch9wavefront6targetE0EEEvT1_, .Lfunc_end1944-_ZN7rocprim17ROCPRIM_400000_NS6detail17trampoline_kernelINS0_14default_configENS1_25partition_config_selectorILNS1_17partition_subalgoE6EN6thrust23THRUST_200600_302600_NS5tupleIjjNS7_9null_typeES9_S9_S9_S9_S9_S9_S9_EENS0_10empty_typeEbEEZZNS1_14partition_implILS5_6ELb0ES3_mNS7_12zip_iteratorINS8_INS7_6detail15normal_iteratorINS7_10device_ptrIjEEEESJ_S9_S9_S9_S9_S9_S9_S9_S9_EEEEPSB_SM_NS0_5tupleIJNSE_INS8_ISJ_NS7_16discard_iteratorINS7_11use_defaultEEES9_S9_S9_S9_S9_S9_S9_S9_EEEESB_EEENSN_IJSM_SM_EEESB_PlJNSF_9not_fun_tINSF_14equal_to_valueISA_EEEEEEE10hipError_tPvRmT3_T4_T5_T6_T7_T9_mT8_P12ihipStream_tbDpT10_ENKUlT_T0_E_clISt17integral_constantIbLb0EES1I_IbLb1EEEEDaS1E_S1F_EUlS1E_E_NS1_11comp_targetILNS1_3genE3ELNS1_11target_archE908ELNS1_3gpuE7ELNS1_3repE0EEENS1_30default_config_static_selectorELNS0_4arch9wavefront6targetE0EEEvT1_
                                        ; -- End function
	.set _ZN7rocprim17ROCPRIM_400000_NS6detail17trampoline_kernelINS0_14default_configENS1_25partition_config_selectorILNS1_17partition_subalgoE6EN6thrust23THRUST_200600_302600_NS5tupleIjjNS7_9null_typeES9_S9_S9_S9_S9_S9_S9_EENS0_10empty_typeEbEEZZNS1_14partition_implILS5_6ELb0ES3_mNS7_12zip_iteratorINS8_INS7_6detail15normal_iteratorINS7_10device_ptrIjEEEESJ_S9_S9_S9_S9_S9_S9_S9_S9_EEEEPSB_SM_NS0_5tupleIJNSE_INS8_ISJ_NS7_16discard_iteratorINS7_11use_defaultEEES9_S9_S9_S9_S9_S9_S9_S9_EEEESB_EEENSN_IJSM_SM_EEESB_PlJNSF_9not_fun_tINSF_14equal_to_valueISA_EEEEEEE10hipError_tPvRmT3_T4_T5_T6_T7_T9_mT8_P12ihipStream_tbDpT10_ENKUlT_T0_E_clISt17integral_constantIbLb0EES1I_IbLb1EEEEDaS1E_S1F_EUlS1E_E_NS1_11comp_targetILNS1_3genE3ELNS1_11target_archE908ELNS1_3gpuE7ELNS1_3repE0EEENS1_30default_config_static_selectorELNS0_4arch9wavefront6targetE0EEEvT1_.num_vgpr, 0
	.set _ZN7rocprim17ROCPRIM_400000_NS6detail17trampoline_kernelINS0_14default_configENS1_25partition_config_selectorILNS1_17partition_subalgoE6EN6thrust23THRUST_200600_302600_NS5tupleIjjNS7_9null_typeES9_S9_S9_S9_S9_S9_S9_EENS0_10empty_typeEbEEZZNS1_14partition_implILS5_6ELb0ES3_mNS7_12zip_iteratorINS8_INS7_6detail15normal_iteratorINS7_10device_ptrIjEEEESJ_S9_S9_S9_S9_S9_S9_S9_S9_EEEEPSB_SM_NS0_5tupleIJNSE_INS8_ISJ_NS7_16discard_iteratorINS7_11use_defaultEEES9_S9_S9_S9_S9_S9_S9_S9_EEEESB_EEENSN_IJSM_SM_EEESB_PlJNSF_9not_fun_tINSF_14equal_to_valueISA_EEEEEEE10hipError_tPvRmT3_T4_T5_T6_T7_T9_mT8_P12ihipStream_tbDpT10_ENKUlT_T0_E_clISt17integral_constantIbLb0EES1I_IbLb1EEEEDaS1E_S1F_EUlS1E_E_NS1_11comp_targetILNS1_3genE3ELNS1_11target_archE908ELNS1_3gpuE7ELNS1_3repE0EEENS1_30default_config_static_selectorELNS0_4arch9wavefront6targetE0EEEvT1_.num_agpr, 0
	.set _ZN7rocprim17ROCPRIM_400000_NS6detail17trampoline_kernelINS0_14default_configENS1_25partition_config_selectorILNS1_17partition_subalgoE6EN6thrust23THRUST_200600_302600_NS5tupleIjjNS7_9null_typeES9_S9_S9_S9_S9_S9_S9_EENS0_10empty_typeEbEEZZNS1_14partition_implILS5_6ELb0ES3_mNS7_12zip_iteratorINS8_INS7_6detail15normal_iteratorINS7_10device_ptrIjEEEESJ_S9_S9_S9_S9_S9_S9_S9_S9_EEEEPSB_SM_NS0_5tupleIJNSE_INS8_ISJ_NS7_16discard_iteratorINS7_11use_defaultEEES9_S9_S9_S9_S9_S9_S9_S9_EEEESB_EEENSN_IJSM_SM_EEESB_PlJNSF_9not_fun_tINSF_14equal_to_valueISA_EEEEEEE10hipError_tPvRmT3_T4_T5_T6_T7_T9_mT8_P12ihipStream_tbDpT10_ENKUlT_T0_E_clISt17integral_constantIbLb0EES1I_IbLb1EEEEDaS1E_S1F_EUlS1E_E_NS1_11comp_targetILNS1_3genE3ELNS1_11target_archE908ELNS1_3gpuE7ELNS1_3repE0EEENS1_30default_config_static_selectorELNS0_4arch9wavefront6targetE0EEEvT1_.numbered_sgpr, 0
	.set _ZN7rocprim17ROCPRIM_400000_NS6detail17trampoline_kernelINS0_14default_configENS1_25partition_config_selectorILNS1_17partition_subalgoE6EN6thrust23THRUST_200600_302600_NS5tupleIjjNS7_9null_typeES9_S9_S9_S9_S9_S9_S9_EENS0_10empty_typeEbEEZZNS1_14partition_implILS5_6ELb0ES3_mNS7_12zip_iteratorINS8_INS7_6detail15normal_iteratorINS7_10device_ptrIjEEEESJ_S9_S9_S9_S9_S9_S9_S9_S9_EEEEPSB_SM_NS0_5tupleIJNSE_INS8_ISJ_NS7_16discard_iteratorINS7_11use_defaultEEES9_S9_S9_S9_S9_S9_S9_S9_EEEESB_EEENSN_IJSM_SM_EEESB_PlJNSF_9not_fun_tINSF_14equal_to_valueISA_EEEEEEE10hipError_tPvRmT3_T4_T5_T6_T7_T9_mT8_P12ihipStream_tbDpT10_ENKUlT_T0_E_clISt17integral_constantIbLb0EES1I_IbLb1EEEEDaS1E_S1F_EUlS1E_E_NS1_11comp_targetILNS1_3genE3ELNS1_11target_archE908ELNS1_3gpuE7ELNS1_3repE0EEENS1_30default_config_static_selectorELNS0_4arch9wavefront6targetE0EEEvT1_.num_named_barrier, 0
	.set _ZN7rocprim17ROCPRIM_400000_NS6detail17trampoline_kernelINS0_14default_configENS1_25partition_config_selectorILNS1_17partition_subalgoE6EN6thrust23THRUST_200600_302600_NS5tupleIjjNS7_9null_typeES9_S9_S9_S9_S9_S9_S9_EENS0_10empty_typeEbEEZZNS1_14partition_implILS5_6ELb0ES3_mNS7_12zip_iteratorINS8_INS7_6detail15normal_iteratorINS7_10device_ptrIjEEEESJ_S9_S9_S9_S9_S9_S9_S9_S9_EEEEPSB_SM_NS0_5tupleIJNSE_INS8_ISJ_NS7_16discard_iteratorINS7_11use_defaultEEES9_S9_S9_S9_S9_S9_S9_S9_EEEESB_EEENSN_IJSM_SM_EEESB_PlJNSF_9not_fun_tINSF_14equal_to_valueISA_EEEEEEE10hipError_tPvRmT3_T4_T5_T6_T7_T9_mT8_P12ihipStream_tbDpT10_ENKUlT_T0_E_clISt17integral_constantIbLb0EES1I_IbLb1EEEEDaS1E_S1F_EUlS1E_E_NS1_11comp_targetILNS1_3genE3ELNS1_11target_archE908ELNS1_3gpuE7ELNS1_3repE0EEENS1_30default_config_static_selectorELNS0_4arch9wavefront6targetE0EEEvT1_.private_seg_size, 0
	.set _ZN7rocprim17ROCPRIM_400000_NS6detail17trampoline_kernelINS0_14default_configENS1_25partition_config_selectorILNS1_17partition_subalgoE6EN6thrust23THRUST_200600_302600_NS5tupleIjjNS7_9null_typeES9_S9_S9_S9_S9_S9_S9_EENS0_10empty_typeEbEEZZNS1_14partition_implILS5_6ELb0ES3_mNS7_12zip_iteratorINS8_INS7_6detail15normal_iteratorINS7_10device_ptrIjEEEESJ_S9_S9_S9_S9_S9_S9_S9_S9_EEEEPSB_SM_NS0_5tupleIJNSE_INS8_ISJ_NS7_16discard_iteratorINS7_11use_defaultEEES9_S9_S9_S9_S9_S9_S9_S9_EEEESB_EEENSN_IJSM_SM_EEESB_PlJNSF_9not_fun_tINSF_14equal_to_valueISA_EEEEEEE10hipError_tPvRmT3_T4_T5_T6_T7_T9_mT8_P12ihipStream_tbDpT10_ENKUlT_T0_E_clISt17integral_constantIbLb0EES1I_IbLb1EEEEDaS1E_S1F_EUlS1E_E_NS1_11comp_targetILNS1_3genE3ELNS1_11target_archE908ELNS1_3gpuE7ELNS1_3repE0EEENS1_30default_config_static_selectorELNS0_4arch9wavefront6targetE0EEEvT1_.uses_vcc, 0
	.set _ZN7rocprim17ROCPRIM_400000_NS6detail17trampoline_kernelINS0_14default_configENS1_25partition_config_selectorILNS1_17partition_subalgoE6EN6thrust23THRUST_200600_302600_NS5tupleIjjNS7_9null_typeES9_S9_S9_S9_S9_S9_S9_EENS0_10empty_typeEbEEZZNS1_14partition_implILS5_6ELb0ES3_mNS7_12zip_iteratorINS8_INS7_6detail15normal_iteratorINS7_10device_ptrIjEEEESJ_S9_S9_S9_S9_S9_S9_S9_S9_EEEEPSB_SM_NS0_5tupleIJNSE_INS8_ISJ_NS7_16discard_iteratorINS7_11use_defaultEEES9_S9_S9_S9_S9_S9_S9_S9_EEEESB_EEENSN_IJSM_SM_EEESB_PlJNSF_9not_fun_tINSF_14equal_to_valueISA_EEEEEEE10hipError_tPvRmT3_T4_T5_T6_T7_T9_mT8_P12ihipStream_tbDpT10_ENKUlT_T0_E_clISt17integral_constantIbLb0EES1I_IbLb1EEEEDaS1E_S1F_EUlS1E_E_NS1_11comp_targetILNS1_3genE3ELNS1_11target_archE908ELNS1_3gpuE7ELNS1_3repE0EEENS1_30default_config_static_selectorELNS0_4arch9wavefront6targetE0EEEvT1_.uses_flat_scratch, 0
	.set _ZN7rocprim17ROCPRIM_400000_NS6detail17trampoline_kernelINS0_14default_configENS1_25partition_config_selectorILNS1_17partition_subalgoE6EN6thrust23THRUST_200600_302600_NS5tupleIjjNS7_9null_typeES9_S9_S9_S9_S9_S9_S9_EENS0_10empty_typeEbEEZZNS1_14partition_implILS5_6ELb0ES3_mNS7_12zip_iteratorINS8_INS7_6detail15normal_iteratorINS7_10device_ptrIjEEEESJ_S9_S9_S9_S9_S9_S9_S9_S9_EEEEPSB_SM_NS0_5tupleIJNSE_INS8_ISJ_NS7_16discard_iteratorINS7_11use_defaultEEES9_S9_S9_S9_S9_S9_S9_S9_EEEESB_EEENSN_IJSM_SM_EEESB_PlJNSF_9not_fun_tINSF_14equal_to_valueISA_EEEEEEE10hipError_tPvRmT3_T4_T5_T6_T7_T9_mT8_P12ihipStream_tbDpT10_ENKUlT_T0_E_clISt17integral_constantIbLb0EES1I_IbLb1EEEEDaS1E_S1F_EUlS1E_E_NS1_11comp_targetILNS1_3genE3ELNS1_11target_archE908ELNS1_3gpuE7ELNS1_3repE0EEENS1_30default_config_static_selectorELNS0_4arch9wavefront6targetE0EEEvT1_.has_dyn_sized_stack, 0
	.set _ZN7rocprim17ROCPRIM_400000_NS6detail17trampoline_kernelINS0_14default_configENS1_25partition_config_selectorILNS1_17partition_subalgoE6EN6thrust23THRUST_200600_302600_NS5tupleIjjNS7_9null_typeES9_S9_S9_S9_S9_S9_S9_EENS0_10empty_typeEbEEZZNS1_14partition_implILS5_6ELb0ES3_mNS7_12zip_iteratorINS8_INS7_6detail15normal_iteratorINS7_10device_ptrIjEEEESJ_S9_S9_S9_S9_S9_S9_S9_S9_EEEEPSB_SM_NS0_5tupleIJNSE_INS8_ISJ_NS7_16discard_iteratorINS7_11use_defaultEEES9_S9_S9_S9_S9_S9_S9_S9_EEEESB_EEENSN_IJSM_SM_EEESB_PlJNSF_9not_fun_tINSF_14equal_to_valueISA_EEEEEEE10hipError_tPvRmT3_T4_T5_T6_T7_T9_mT8_P12ihipStream_tbDpT10_ENKUlT_T0_E_clISt17integral_constantIbLb0EES1I_IbLb1EEEEDaS1E_S1F_EUlS1E_E_NS1_11comp_targetILNS1_3genE3ELNS1_11target_archE908ELNS1_3gpuE7ELNS1_3repE0EEENS1_30default_config_static_selectorELNS0_4arch9wavefront6targetE0EEEvT1_.has_recursion, 0
	.set _ZN7rocprim17ROCPRIM_400000_NS6detail17trampoline_kernelINS0_14default_configENS1_25partition_config_selectorILNS1_17partition_subalgoE6EN6thrust23THRUST_200600_302600_NS5tupleIjjNS7_9null_typeES9_S9_S9_S9_S9_S9_S9_EENS0_10empty_typeEbEEZZNS1_14partition_implILS5_6ELb0ES3_mNS7_12zip_iteratorINS8_INS7_6detail15normal_iteratorINS7_10device_ptrIjEEEESJ_S9_S9_S9_S9_S9_S9_S9_S9_EEEEPSB_SM_NS0_5tupleIJNSE_INS8_ISJ_NS7_16discard_iteratorINS7_11use_defaultEEES9_S9_S9_S9_S9_S9_S9_S9_EEEESB_EEENSN_IJSM_SM_EEESB_PlJNSF_9not_fun_tINSF_14equal_to_valueISA_EEEEEEE10hipError_tPvRmT3_T4_T5_T6_T7_T9_mT8_P12ihipStream_tbDpT10_ENKUlT_T0_E_clISt17integral_constantIbLb0EES1I_IbLb1EEEEDaS1E_S1F_EUlS1E_E_NS1_11comp_targetILNS1_3genE3ELNS1_11target_archE908ELNS1_3gpuE7ELNS1_3repE0EEENS1_30default_config_static_selectorELNS0_4arch9wavefront6targetE0EEEvT1_.has_indirect_call, 0
	.section	.AMDGPU.csdata,"",@progbits
; Kernel info:
; codeLenInByte = 0
; TotalNumSgprs: 0
; NumVgprs: 0
; ScratchSize: 0
; MemoryBound: 0
; FloatMode: 240
; IeeeMode: 1
; LDSByteSize: 0 bytes/workgroup (compile time only)
; SGPRBlocks: 0
; VGPRBlocks: 0
; NumSGPRsForWavesPerEU: 1
; NumVGPRsForWavesPerEU: 1
; Occupancy: 16
; WaveLimiterHint : 0
; COMPUTE_PGM_RSRC2:SCRATCH_EN: 0
; COMPUTE_PGM_RSRC2:USER_SGPR: 2
; COMPUTE_PGM_RSRC2:TRAP_HANDLER: 0
; COMPUTE_PGM_RSRC2:TGID_X_EN: 1
; COMPUTE_PGM_RSRC2:TGID_Y_EN: 0
; COMPUTE_PGM_RSRC2:TGID_Z_EN: 0
; COMPUTE_PGM_RSRC2:TIDIG_COMP_CNT: 0
	.section	.text._ZN7rocprim17ROCPRIM_400000_NS6detail17trampoline_kernelINS0_14default_configENS1_25partition_config_selectorILNS1_17partition_subalgoE6EN6thrust23THRUST_200600_302600_NS5tupleIjjNS7_9null_typeES9_S9_S9_S9_S9_S9_S9_EENS0_10empty_typeEbEEZZNS1_14partition_implILS5_6ELb0ES3_mNS7_12zip_iteratorINS8_INS7_6detail15normal_iteratorINS7_10device_ptrIjEEEESJ_S9_S9_S9_S9_S9_S9_S9_S9_EEEEPSB_SM_NS0_5tupleIJNSE_INS8_ISJ_NS7_16discard_iteratorINS7_11use_defaultEEES9_S9_S9_S9_S9_S9_S9_S9_EEEESB_EEENSN_IJSM_SM_EEESB_PlJNSF_9not_fun_tINSF_14equal_to_valueISA_EEEEEEE10hipError_tPvRmT3_T4_T5_T6_T7_T9_mT8_P12ihipStream_tbDpT10_ENKUlT_T0_E_clISt17integral_constantIbLb0EES1I_IbLb1EEEEDaS1E_S1F_EUlS1E_E_NS1_11comp_targetILNS1_3genE2ELNS1_11target_archE906ELNS1_3gpuE6ELNS1_3repE0EEENS1_30default_config_static_selectorELNS0_4arch9wavefront6targetE0EEEvT1_,"axG",@progbits,_ZN7rocprim17ROCPRIM_400000_NS6detail17trampoline_kernelINS0_14default_configENS1_25partition_config_selectorILNS1_17partition_subalgoE6EN6thrust23THRUST_200600_302600_NS5tupleIjjNS7_9null_typeES9_S9_S9_S9_S9_S9_S9_EENS0_10empty_typeEbEEZZNS1_14partition_implILS5_6ELb0ES3_mNS7_12zip_iteratorINS8_INS7_6detail15normal_iteratorINS7_10device_ptrIjEEEESJ_S9_S9_S9_S9_S9_S9_S9_S9_EEEEPSB_SM_NS0_5tupleIJNSE_INS8_ISJ_NS7_16discard_iteratorINS7_11use_defaultEEES9_S9_S9_S9_S9_S9_S9_S9_EEEESB_EEENSN_IJSM_SM_EEESB_PlJNSF_9not_fun_tINSF_14equal_to_valueISA_EEEEEEE10hipError_tPvRmT3_T4_T5_T6_T7_T9_mT8_P12ihipStream_tbDpT10_ENKUlT_T0_E_clISt17integral_constantIbLb0EES1I_IbLb1EEEEDaS1E_S1F_EUlS1E_E_NS1_11comp_targetILNS1_3genE2ELNS1_11target_archE906ELNS1_3gpuE6ELNS1_3repE0EEENS1_30default_config_static_selectorELNS0_4arch9wavefront6targetE0EEEvT1_,comdat
	.protected	_ZN7rocprim17ROCPRIM_400000_NS6detail17trampoline_kernelINS0_14default_configENS1_25partition_config_selectorILNS1_17partition_subalgoE6EN6thrust23THRUST_200600_302600_NS5tupleIjjNS7_9null_typeES9_S9_S9_S9_S9_S9_S9_EENS0_10empty_typeEbEEZZNS1_14partition_implILS5_6ELb0ES3_mNS7_12zip_iteratorINS8_INS7_6detail15normal_iteratorINS7_10device_ptrIjEEEESJ_S9_S9_S9_S9_S9_S9_S9_S9_EEEEPSB_SM_NS0_5tupleIJNSE_INS8_ISJ_NS7_16discard_iteratorINS7_11use_defaultEEES9_S9_S9_S9_S9_S9_S9_S9_EEEESB_EEENSN_IJSM_SM_EEESB_PlJNSF_9not_fun_tINSF_14equal_to_valueISA_EEEEEEE10hipError_tPvRmT3_T4_T5_T6_T7_T9_mT8_P12ihipStream_tbDpT10_ENKUlT_T0_E_clISt17integral_constantIbLb0EES1I_IbLb1EEEEDaS1E_S1F_EUlS1E_E_NS1_11comp_targetILNS1_3genE2ELNS1_11target_archE906ELNS1_3gpuE6ELNS1_3repE0EEENS1_30default_config_static_selectorELNS0_4arch9wavefront6targetE0EEEvT1_ ; -- Begin function _ZN7rocprim17ROCPRIM_400000_NS6detail17trampoline_kernelINS0_14default_configENS1_25partition_config_selectorILNS1_17partition_subalgoE6EN6thrust23THRUST_200600_302600_NS5tupleIjjNS7_9null_typeES9_S9_S9_S9_S9_S9_S9_EENS0_10empty_typeEbEEZZNS1_14partition_implILS5_6ELb0ES3_mNS7_12zip_iteratorINS8_INS7_6detail15normal_iteratorINS7_10device_ptrIjEEEESJ_S9_S9_S9_S9_S9_S9_S9_S9_EEEEPSB_SM_NS0_5tupleIJNSE_INS8_ISJ_NS7_16discard_iteratorINS7_11use_defaultEEES9_S9_S9_S9_S9_S9_S9_S9_EEEESB_EEENSN_IJSM_SM_EEESB_PlJNSF_9not_fun_tINSF_14equal_to_valueISA_EEEEEEE10hipError_tPvRmT3_T4_T5_T6_T7_T9_mT8_P12ihipStream_tbDpT10_ENKUlT_T0_E_clISt17integral_constantIbLb0EES1I_IbLb1EEEEDaS1E_S1F_EUlS1E_E_NS1_11comp_targetILNS1_3genE2ELNS1_11target_archE906ELNS1_3gpuE6ELNS1_3repE0EEENS1_30default_config_static_selectorELNS0_4arch9wavefront6targetE0EEEvT1_
	.globl	_ZN7rocprim17ROCPRIM_400000_NS6detail17trampoline_kernelINS0_14default_configENS1_25partition_config_selectorILNS1_17partition_subalgoE6EN6thrust23THRUST_200600_302600_NS5tupleIjjNS7_9null_typeES9_S9_S9_S9_S9_S9_S9_EENS0_10empty_typeEbEEZZNS1_14partition_implILS5_6ELb0ES3_mNS7_12zip_iteratorINS8_INS7_6detail15normal_iteratorINS7_10device_ptrIjEEEESJ_S9_S9_S9_S9_S9_S9_S9_S9_EEEEPSB_SM_NS0_5tupleIJNSE_INS8_ISJ_NS7_16discard_iteratorINS7_11use_defaultEEES9_S9_S9_S9_S9_S9_S9_S9_EEEESB_EEENSN_IJSM_SM_EEESB_PlJNSF_9not_fun_tINSF_14equal_to_valueISA_EEEEEEE10hipError_tPvRmT3_T4_T5_T6_T7_T9_mT8_P12ihipStream_tbDpT10_ENKUlT_T0_E_clISt17integral_constantIbLb0EES1I_IbLb1EEEEDaS1E_S1F_EUlS1E_E_NS1_11comp_targetILNS1_3genE2ELNS1_11target_archE906ELNS1_3gpuE6ELNS1_3repE0EEENS1_30default_config_static_selectorELNS0_4arch9wavefront6targetE0EEEvT1_
	.p2align	8
	.type	_ZN7rocprim17ROCPRIM_400000_NS6detail17trampoline_kernelINS0_14default_configENS1_25partition_config_selectorILNS1_17partition_subalgoE6EN6thrust23THRUST_200600_302600_NS5tupleIjjNS7_9null_typeES9_S9_S9_S9_S9_S9_S9_EENS0_10empty_typeEbEEZZNS1_14partition_implILS5_6ELb0ES3_mNS7_12zip_iteratorINS8_INS7_6detail15normal_iteratorINS7_10device_ptrIjEEEESJ_S9_S9_S9_S9_S9_S9_S9_S9_EEEEPSB_SM_NS0_5tupleIJNSE_INS8_ISJ_NS7_16discard_iteratorINS7_11use_defaultEEES9_S9_S9_S9_S9_S9_S9_S9_EEEESB_EEENSN_IJSM_SM_EEESB_PlJNSF_9not_fun_tINSF_14equal_to_valueISA_EEEEEEE10hipError_tPvRmT3_T4_T5_T6_T7_T9_mT8_P12ihipStream_tbDpT10_ENKUlT_T0_E_clISt17integral_constantIbLb0EES1I_IbLb1EEEEDaS1E_S1F_EUlS1E_E_NS1_11comp_targetILNS1_3genE2ELNS1_11target_archE906ELNS1_3gpuE6ELNS1_3repE0EEENS1_30default_config_static_selectorELNS0_4arch9wavefront6targetE0EEEvT1_,@function
_ZN7rocprim17ROCPRIM_400000_NS6detail17trampoline_kernelINS0_14default_configENS1_25partition_config_selectorILNS1_17partition_subalgoE6EN6thrust23THRUST_200600_302600_NS5tupleIjjNS7_9null_typeES9_S9_S9_S9_S9_S9_S9_EENS0_10empty_typeEbEEZZNS1_14partition_implILS5_6ELb0ES3_mNS7_12zip_iteratorINS8_INS7_6detail15normal_iteratorINS7_10device_ptrIjEEEESJ_S9_S9_S9_S9_S9_S9_S9_S9_EEEEPSB_SM_NS0_5tupleIJNSE_INS8_ISJ_NS7_16discard_iteratorINS7_11use_defaultEEES9_S9_S9_S9_S9_S9_S9_S9_EEEESB_EEENSN_IJSM_SM_EEESB_PlJNSF_9not_fun_tINSF_14equal_to_valueISA_EEEEEEE10hipError_tPvRmT3_T4_T5_T6_T7_T9_mT8_P12ihipStream_tbDpT10_ENKUlT_T0_E_clISt17integral_constantIbLb0EES1I_IbLb1EEEEDaS1E_S1F_EUlS1E_E_NS1_11comp_targetILNS1_3genE2ELNS1_11target_archE906ELNS1_3gpuE6ELNS1_3repE0EEENS1_30default_config_static_selectorELNS0_4arch9wavefront6targetE0EEEvT1_: ; @_ZN7rocprim17ROCPRIM_400000_NS6detail17trampoline_kernelINS0_14default_configENS1_25partition_config_selectorILNS1_17partition_subalgoE6EN6thrust23THRUST_200600_302600_NS5tupleIjjNS7_9null_typeES9_S9_S9_S9_S9_S9_S9_EENS0_10empty_typeEbEEZZNS1_14partition_implILS5_6ELb0ES3_mNS7_12zip_iteratorINS8_INS7_6detail15normal_iteratorINS7_10device_ptrIjEEEESJ_S9_S9_S9_S9_S9_S9_S9_S9_EEEEPSB_SM_NS0_5tupleIJNSE_INS8_ISJ_NS7_16discard_iteratorINS7_11use_defaultEEES9_S9_S9_S9_S9_S9_S9_S9_EEEESB_EEENSN_IJSM_SM_EEESB_PlJNSF_9not_fun_tINSF_14equal_to_valueISA_EEEEEEE10hipError_tPvRmT3_T4_T5_T6_T7_T9_mT8_P12ihipStream_tbDpT10_ENKUlT_T0_E_clISt17integral_constantIbLb0EES1I_IbLb1EEEEDaS1E_S1F_EUlS1E_E_NS1_11comp_targetILNS1_3genE2ELNS1_11target_archE906ELNS1_3gpuE6ELNS1_3repE0EEENS1_30default_config_static_selectorELNS0_4arch9wavefront6targetE0EEEvT1_
; %bb.0:
	.section	.rodata,"a",@progbits
	.p2align	6, 0x0
	.amdhsa_kernel _ZN7rocprim17ROCPRIM_400000_NS6detail17trampoline_kernelINS0_14default_configENS1_25partition_config_selectorILNS1_17partition_subalgoE6EN6thrust23THRUST_200600_302600_NS5tupleIjjNS7_9null_typeES9_S9_S9_S9_S9_S9_S9_EENS0_10empty_typeEbEEZZNS1_14partition_implILS5_6ELb0ES3_mNS7_12zip_iteratorINS8_INS7_6detail15normal_iteratorINS7_10device_ptrIjEEEESJ_S9_S9_S9_S9_S9_S9_S9_S9_EEEEPSB_SM_NS0_5tupleIJNSE_INS8_ISJ_NS7_16discard_iteratorINS7_11use_defaultEEES9_S9_S9_S9_S9_S9_S9_S9_EEEESB_EEENSN_IJSM_SM_EEESB_PlJNSF_9not_fun_tINSF_14equal_to_valueISA_EEEEEEE10hipError_tPvRmT3_T4_T5_T6_T7_T9_mT8_P12ihipStream_tbDpT10_ENKUlT_T0_E_clISt17integral_constantIbLb0EES1I_IbLb1EEEEDaS1E_S1F_EUlS1E_E_NS1_11comp_targetILNS1_3genE2ELNS1_11target_archE906ELNS1_3gpuE6ELNS1_3repE0EEENS1_30default_config_static_selectorELNS0_4arch9wavefront6targetE0EEEvT1_
		.amdhsa_group_segment_fixed_size 0
		.amdhsa_private_segment_fixed_size 0
		.amdhsa_kernarg_size 152
		.amdhsa_user_sgpr_count 2
		.amdhsa_user_sgpr_dispatch_ptr 0
		.amdhsa_user_sgpr_queue_ptr 0
		.amdhsa_user_sgpr_kernarg_segment_ptr 1
		.amdhsa_user_sgpr_dispatch_id 0
		.amdhsa_user_sgpr_private_segment_size 0
		.amdhsa_wavefront_size32 1
		.amdhsa_uses_dynamic_stack 0
		.amdhsa_enable_private_segment 0
		.amdhsa_system_sgpr_workgroup_id_x 1
		.amdhsa_system_sgpr_workgroup_id_y 0
		.amdhsa_system_sgpr_workgroup_id_z 0
		.amdhsa_system_sgpr_workgroup_info 0
		.amdhsa_system_vgpr_workitem_id 0
		.amdhsa_next_free_vgpr 1
		.amdhsa_next_free_sgpr 1
		.amdhsa_reserve_vcc 0
		.amdhsa_float_round_mode_32 0
		.amdhsa_float_round_mode_16_64 0
		.amdhsa_float_denorm_mode_32 3
		.amdhsa_float_denorm_mode_16_64 3
		.amdhsa_fp16_overflow 0
		.amdhsa_workgroup_processor_mode 1
		.amdhsa_memory_ordered 1
		.amdhsa_forward_progress 1
		.amdhsa_inst_pref_size 0
		.amdhsa_round_robin_scheduling 0
		.amdhsa_exception_fp_ieee_invalid_op 0
		.amdhsa_exception_fp_denorm_src 0
		.amdhsa_exception_fp_ieee_div_zero 0
		.amdhsa_exception_fp_ieee_overflow 0
		.amdhsa_exception_fp_ieee_underflow 0
		.amdhsa_exception_fp_ieee_inexact 0
		.amdhsa_exception_int_div_zero 0
	.end_amdhsa_kernel
	.section	.text._ZN7rocprim17ROCPRIM_400000_NS6detail17trampoline_kernelINS0_14default_configENS1_25partition_config_selectorILNS1_17partition_subalgoE6EN6thrust23THRUST_200600_302600_NS5tupleIjjNS7_9null_typeES9_S9_S9_S9_S9_S9_S9_EENS0_10empty_typeEbEEZZNS1_14partition_implILS5_6ELb0ES3_mNS7_12zip_iteratorINS8_INS7_6detail15normal_iteratorINS7_10device_ptrIjEEEESJ_S9_S9_S9_S9_S9_S9_S9_S9_EEEEPSB_SM_NS0_5tupleIJNSE_INS8_ISJ_NS7_16discard_iteratorINS7_11use_defaultEEES9_S9_S9_S9_S9_S9_S9_S9_EEEESB_EEENSN_IJSM_SM_EEESB_PlJNSF_9not_fun_tINSF_14equal_to_valueISA_EEEEEEE10hipError_tPvRmT3_T4_T5_T6_T7_T9_mT8_P12ihipStream_tbDpT10_ENKUlT_T0_E_clISt17integral_constantIbLb0EES1I_IbLb1EEEEDaS1E_S1F_EUlS1E_E_NS1_11comp_targetILNS1_3genE2ELNS1_11target_archE906ELNS1_3gpuE6ELNS1_3repE0EEENS1_30default_config_static_selectorELNS0_4arch9wavefront6targetE0EEEvT1_,"axG",@progbits,_ZN7rocprim17ROCPRIM_400000_NS6detail17trampoline_kernelINS0_14default_configENS1_25partition_config_selectorILNS1_17partition_subalgoE6EN6thrust23THRUST_200600_302600_NS5tupleIjjNS7_9null_typeES9_S9_S9_S9_S9_S9_S9_EENS0_10empty_typeEbEEZZNS1_14partition_implILS5_6ELb0ES3_mNS7_12zip_iteratorINS8_INS7_6detail15normal_iteratorINS7_10device_ptrIjEEEESJ_S9_S9_S9_S9_S9_S9_S9_S9_EEEEPSB_SM_NS0_5tupleIJNSE_INS8_ISJ_NS7_16discard_iteratorINS7_11use_defaultEEES9_S9_S9_S9_S9_S9_S9_S9_EEEESB_EEENSN_IJSM_SM_EEESB_PlJNSF_9not_fun_tINSF_14equal_to_valueISA_EEEEEEE10hipError_tPvRmT3_T4_T5_T6_T7_T9_mT8_P12ihipStream_tbDpT10_ENKUlT_T0_E_clISt17integral_constantIbLb0EES1I_IbLb1EEEEDaS1E_S1F_EUlS1E_E_NS1_11comp_targetILNS1_3genE2ELNS1_11target_archE906ELNS1_3gpuE6ELNS1_3repE0EEENS1_30default_config_static_selectorELNS0_4arch9wavefront6targetE0EEEvT1_,comdat
.Lfunc_end1945:
	.size	_ZN7rocprim17ROCPRIM_400000_NS6detail17trampoline_kernelINS0_14default_configENS1_25partition_config_selectorILNS1_17partition_subalgoE6EN6thrust23THRUST_200600_302600_NS5tupleIjjNS7_9null_typeES9_S9_S9_S9_S9_S9_S9_EENS0_10empty_typeEbEEZZNS1_14partition_implILS5_6ELb0ES3_mNS7_12zip_iteratorINS8_INS7_6detail15normal_iteratorINS7_10device_ptrIjEEEESJ_S9_S9_S9_S9_S9_S9_S9_S9_EEEEPSB_SM_NS0_5tupleIJNSE_INS8_ISJ_NS7_16discard_iteratorINS7_11use_defaultEEES9_S9_S9_S9_S9_S9_S9_S9_EEEESB_EEENSN_IJSM_SM_EEESB_PlJNSF_9not_fun_tINSF_14equal_to_valueISA_EEEEEEE10hipError_tPvRmT3_T4_T5_T6_T7_T9_mT8_P12ihipStream_tbDpT10_ENKUlT_T0_E_clISt17integral_constantIbLb0EES1I_IbLb1EEEEDaS1E_S1F_EUlS1E_E_NS1_11comp_targetILNS1_3genE2ELNS1_11target_archE906ELNS1_3gpuE6ELNS1_3repE0EEENS1_30default_config_static_selectorELNS0_4arch9wavefront6targetE0EEEvT1_, .Lfunc_end1945-_ZN7rocprim17ROCPRIM_400000_NS6detail17trampoline_kernelINS0_14default_configENS1_25partition_config_selectorILNS1_17partition_subalgoE6EN6thrust23THRUST_200600_302600_NS5tupleIjjNS7_9null_typeES9_S9_S9_S9_S9_S9_S9_EENS0_10empty_typeEbEEZZNS1_14partition_implILS5_6ELb0ES3_mNS7_12zip_iteratorINS8_INS7_6detail15normal_iteratorINS7_10device_ptrIjEEEESJ_S9_S9_S9_S9_S9_S9_S9_S9_EEEEPSB_SM_NS0_5tupleIJNSE_INS8_ISJ_NS7_16discard_iteratorINS7_11use_defaultEEES9_S9_S9_S9_S9_S9_S9_S9_EEEESB_EEENSN_IJSM_SM_EEESB_PlJNSF_9not_fun_tINSF_14equal_to_valueISA_EEEEEEE10hipError_tPvRmT3_T4_T5_T6_T7_T9_mT8_P12ihipStream_tbDpT10_ENKUlT_T0_E_clISt17integral_constantIbLb0EES1I_IbLb1EEEEDaS1E_S1F_EUlS1E_E_NS1_11comp_targetILNS1_3genE2ELNS1_11target_archE906ELNS1_3gpuE6ELNS1_3repE0EEENS1_30default_config_static_selectorELNS0_4arch9wavefront6targetE0EEEvT1_
                                        ; -- End function
	.set _ZN7rocprim17ROCPRIM_400000_NS6detail17trampoline_kernelINS0_14default_configENS1_25partition_config_selectorILNS1_17partition_subalgoE6EN6thrust23THRUST_200600_302600_NS5tupleIjjNS7_9null_typeES9_S9_S9_S9_S9_S9_S9_EENS0_10empty_typeEbEEZZNS1_14partition_implILS5_6ELb0ES3_mNS7_12zip_iteratorINS8_INS7_6detail15normal_iteratorINS7_10device_ptrIjEEEESJ_S9_S9_S9_S9_S9_S9_S9_S9_EEEEPSB_SM_NS0_5tupleIJNSE_INS8_ISJ_NS7_16discard_iteratorINS7_11use_defaultEEES9_S9_S9_S9_S9_S9_S9_S9_EEEESB_EEENSN_IJSM_SM_EEESB_PlJNSF_9not_fun_tINSF_14equal_to_valueISA_EEEEEEE10hipError_tPvRmT3_T4_T5_T6_T7_T9_mT8_P12ihipStream_tbDpT10_ENKUlT_T0_E_clISt17integral_constantIbLb0EES1I_IbLb1EEEEDaS1E_S1F_EUlS1E_E_NS1_11comp_targetILNS1_3genE2ELNS1_11target_archE906ELNS1_3gpuE6ELNS1_3repE0EEENS1_30default_config_static_selectorELNS0_4arch9wavefront6targetE0EEEvT1_.num_vgpr, 0
	.set _ZN7rocprim17ROCPRIM_400000_NS6detail17trampoline_kernelINS0_14default_configENS1_25partition_config_selectorILNS1_17partition_subalgoE6EN6thrust23THRUST_200600_302600_NS5tupleIjjNS7_9null_typeES9_S9_S9_S9_S9_S9_S9_EENS0_10empty_typeEbEEZZNS1_14partition_implILS5_6ELb0ES3_mNS7_12zip_iteratorINS8_INS7_6detail15normal_iteratorINS7_10device_ptrIjEEEESJ_S9_S9_S9_S9_S9_S9_S9_S9_EEEEPSB_SM_NS0_5tupleIJNSE_INS8_ISJ_NS7_16discard_iteratorINS7_11use_defaultEEES9_S9_S9_S9_S9_S9_S9_S9_EEEESB_EEENSN_IJSM_SM_EEESB_PlJNSF_9not_fun_tINSF_14equal_to_valueISA_EEEEEEE10hipError_tPvRmT3_T4_T5_T6_T7_T9_mT8_P12ihipStream_tbDpT10_ENKUlT_T0_E_clISt17integral_constantIbLb0EES1I_IbLb1EEEEDaS1E_S1F_EUlS1E_E_NS1_11comp_targetILNS1_3genE2ELNS1_11target_archE906ELNS1_3gpuE6ELNS1_3repE0EEENS1_30default_config_static_selectorELNS0_4arch9wavefront6targetE0EEEvT1_.num_agpr, 0
	.set _ZN7rocprim17ROCPRIM_400000_NS6detail17trampoline_kernelINS0_14default_configENS1_25partition_config_selectorILNS1_17partition_subalgoE6EN6thrust23THRUST_200600_302600_NS5tupleIjjNS7_9null_typeES9_S9_S9_S9_S9_S9_S9_EENS0_10empty_typeEbEEZZNS1_14partition_implILS5_6ELb0ES3_mNS7_12zip_iteratorINS8_INS7_6detail15normal_iteratorINS7_10device_ptrIjEEEESJ_S9_S9_S9_S9_S9_S9_S9_S9_EEEEPSB_SM_NS0_5tupleIJNSE_INS8_ISJ_NS7_16discard_iteratorINS7_11use_defaultEEES9_S9_S9_S9_S9_S9_S9_S9_EEEESB_EEENSN_IJSM_SM_EEESB_PlJNSF_9not_fun_tINSF_14equal_to_valueISA_EEEEEEE10hipError_tPvRmT3_T4_T5_T6_T7_T9_mT8_P12ihipStream_tbDpT10_ENKUlT_T0_E_clISt17integral_constantIbLb0EES1I_IbLb1EEEEDaS1E_S1F_EUlS1E_E_NS1_11comp_targetILNS1_3genE2ELNS1_11target_archE906ELNS1_3gpuE6ELNS1_3repE0EEENS1_30default_config_static_selectorELNS0_4arch9wavefront6targetE0EEEvT1_.numbered_sgpr, 0
	.set _ZN7rocprim17ROCPRIM_400000_NS6detail17trampoline_kernelINS0_14default_configENS1_25partition_config_selectorILNS1_17partition_subalgoE6EN6thrust23THRUST_200600_302600_NS5tupleIjjNS7_9null_typeES9_S9_S9_S9_S9_S9_S9_EENS0_10empty_typeEbEEZZNS1_14partition_implILS5_6ELb0ES3_mNS7_12zip_iteratorINS8_INS7_6detail15normal_iteratorINS7_10device_ptrIjEEEESJ_S9_S9_S9_S9_S9_S9_S9_S9_EEEEPSB_SM_NS0_5tupleIJNSE_INS8_ISJ_NS7_16discard_iteratorINS7_11use_defaultEEES9_S9_S9_S9_S9_S9_S9_S9_EEEESB_EEENSN_IJSM_SM_EEESB_PlJNSF_9not_fun_tINSF_14equal_to_valueISA_EEEEEEE10hipError_tPvRmT3_T4_T5_T6_T7_T9_mT8_P12ihipStream_tbDpT10_ENKUlT_T0_E_clISt17integral_constantIbLb0EES1I_IbLb1EEEEDaS1E_S1F_EUlS1E_E_NS1_11comp_targetILNS1_3genE2ELNS1_11target_archE906ELNS1_3gpuE6ELNS1_3repE0EEENS1_30default_config_static_selectorELNS0_4arch9wavefront6targetE0EEEvT1_.num_named_barrier, 0
	.set _ZN7rocprim17ROCPRIM_400000_NS6detail17trampoline_kernelINS0_14default_configENS1_25partition_config_selectorILNS1_17partition_subalgoE6EN6thrust23THRUST_200600_302600_NS5tupleIjjNS7_9null_typeES9_S9_S9_S9_S9_S9_S9_EENS0_10empty_typeEbEEZZNS1_14partition_implILS5_6ELb0ES3_mNS7_12zip_iteratorINS8_INS7_6detail15normal_iteratorINS7_10device_ptrIjEEEESJ_S9_S9_S9_S9_S9_S9_S9_S9_EEEEPSB_SM_NS0_5tupleIJNSE_INS8_ISJ_NS7_16discard_iteratorINS7_11use_defaultEEES9_S9_S9_S9_S9_S9_S9_S9_EEEESB_EEENSN_IJSM_SM_EEESB_PlJNSF_9not_fun_tINSF_14equal_to_valueISA_EEEEEEE10hipError_tPvRmT3_T4_T5_T6_T7_T9_mT8_P12ihipStream_tbDpT10_ENKUlT_T0_E_clISt17integral_constantIbLb0EES1I_IbLb1EEEEDaS1E_S1F_EUlS1E_E_NS1_11comp_targetILNS1_3genE2ELNS1_11target_archE906ELNS1_3gpuE6ELNS1_3repE0EEENS1_30default_config_static_selectorELNS0_4arch9wavefront6targetE0EEEvT1_.private_seg_size, 0
	.set _ZN7rocprim17ROCPRIM_400000_NS6detail17trampoline_kernelINS0_14default_configENS1_25partition_config_selectorILNS1_17partition_subalgoE6EN6thrust23THRUST_200600_302600_NS5tupleIjjNS7_9null_typeES9_S9_S9_S9_S9_S9_S9_EENS0_10empty_typeEbEEZZNS1_14partition_implILS5_6ELb0ES3_mNS7_12zip_iteratorINS8_INS7_6detail15normal_iteratorINS7_10device_ptrIjEEEESJ_S9_S9_S9_S9_S9_S9_S9_S9_EEEEPSB_SM_NS0_5tupleIJNSE_INS8_ISJ_NS7_16discard_iteratorINS7_11use_defaultEEES9_S9_S9_S9_S9_S9_S9_S9_EEEESB_EEENSN_IJSM_SM_EEESB_PlJNSF_9not_fun_tINSF_14equal_to_valueISA_EEEEEEE10hipError_tPvRmT3_T4_T5_T6_T7_T9_mT8_P12ihipStream_tbDpT10_ENKUlT_T0_E_clISt17integral_constantIbLb0EES1I_IbLb1EEEEDaS1E_S1F_EUlS1E_E_NS1_11comp_targetILNS1_3genE2ELNS1_11target_archE906ELNS1_3gpuE6ELNS1_3repE0EEENS1_30default_config_static_selectorELNS0_4arch9wavefront6targetE0EEEvT1_.uses_vcc, 0
	.set _ZN7rocprim17ROCPRIM_400000_NS6detail17trampoline_kernelINS0_14default_configENS1_25partition_config_selectorILNS1_17partition_subalgoE6EN6thrust23THRUST_200600_302600_NS5tupleIjjNS7_9null_typeES9_S9_S9_S9_S9_S9_S9_EENS0_10empty_typeEbEEZZNS1_14partition_implILS5_6ELb0ES3_mNS7_12zip_iteratorINS8_INS7_6detail15normal_iteratorINS7_10device_ptrIjEEEESJ_S9_S9_S9_S9_S9_S9_S9_S9_EEEEPSB_SM_NS0_5tupleIJNSE_INS8_ISJ_NS7_16discard_iteratorINS7_11use_defaultEEES9_S9_S9_S9_S9_S9_S9_S9_EEEESB_EEENSN_IJSM_SM_EEESB_PlJNSF_9not_fun_tINSF_14equal_to_valueISA_EEEEEEE10hipError_tPvRmT3_T4_T5_T6_T7_T9_mT8_P12ihipStream_tbDpT10_ENKUlT_T0_E_clISt17integral_constantIbLb0EES1I_IbLb1EEEEDaS1E_S1F_EUlS1E_E_NS1_11comp_targetILNS1_3genE2ELNS1_11target_archE906ELNS1_3gpuE6ELNS1_3repE0EEENS1_30default_config_static_selectorELNS0_4arch9wavefront6targetE0EEEvT1_.uses_flat_scratch, 0
	.set _ZN7rocprim17ROCPRIM_400000_NS6detail17trampoline_kernelINS0_14default_configENS1_25partition_config_selectorILNS1_17partition_subalgoE6EN6thrust23THRUST_200600_302600_NS5tupleIjjNS7_9null_typeES9_S9_S9_S9_S9_S9_S9_EENS0_10empty_typeEbEEZZNS1_14partition_implILS5_6ELb0ES3_mNS7_12zip_iteratorINS8_INS7_6detail15normal_iteratorINS7_10device_ptrIjEEEESJ_S9_S9_S9_S9_S9_S9_S9_S9_EEEEPSB_SM_NS0_5tupleIJNSE_INS8_ISJ_NS7_16discard_iteratorINS7_11use_defaultEEES9_S9_S9_S9_S9_S9_S9_S9_EEEESB_EEENSN_IJSM_SM_EEESB_PlJNSF_9not_fun_tINSF_14equal_to_valueISA_EEEEEEE10hipError_tPvRmT3_T4_T5_T6_T7_T9_mT8_P12ihipStream_tbDpT10_ENKUlT_T0_E_clISt17integral_constantIbLb0EES1I_IbLb1EEEEDaS1E_S1F_EUlS1E_E_NS1_11comp_targetILNS1_3genE2ELNS1_11target_archE906ELNS1_3gpuE6ELNS1_3repE0EEENS1_30default_config_static_selectorELNS0_4arch9wavefront6targetE0EEEvT1_.has_dyn_sized_stack, 0
	.set _ZN7rocprim17ROCPRIM_400000_NS6detail17trampoline_kernelINS0_14default_configENS1_25partition_config_selectorILNS1_17partition_subalgoE6EN6thrust23THRUST_200600_302600_NS5tupleIjjNS7_9null_typeES9_S9_S9_S9_S9_S9_S9_EENS0_10empty_typeEbEEZZNS1_14partition_implILS5_6ELb0ES3_mNS7_12zip_iteratorINS8_INS7_6detail15normal_iteratorINS7_10device_ptrIjEEEESJ_S9_S9_S9_S9_S9_S9_S9_S9_EEEEPSB_SM_NS0_5tupleIJNSE_INS8_ISJ_NS7_16discard_iteratorINS7_11use_defaultEEES9_S9_S9_S9_S9_S9_S9_S9_EEEESB_EEENSN_IJSM_SM_EEESB_PlJNSF_9not_fun_tINSF_14equal_to_valueISA_EEEEEEE10hipError_tPvRmT3_T4_T5_T6_T7_T9_mT8_P12ihipStream_tbDpT10_ENKUlT_T0_E_clISt17integral_constantIbLb0EES1I_IbLb1EEEEDaS1E_S1F_EUlS1E_E_NS1_11comp_targetILNS1_3genE2ELNS1_11target_archE906ELNS1_3gpuE6ELNS1_3repE0EEENS1_30default_config_static_selectorELNS0_4arch9wavefront6targetE0EEEvT1_.has_recursion, 0
	.set _ZN7rocprim17ROCPRIM_400000_NS6detail17trampoline_kernelINS0_14default_configENS1_25partition_config_selectorILNS1_17partition_subalgoE6EN6thrust23THRUST_200600_302600_NS5tupleIjjNS7_9null_typeES9_S9_S9_S9_S9_S9_S9_EENS0_10empty_typeEbEEZZNS1_14partition_implILS5_6ELb0ES3_mNS7_12zip_iteratorINS8_INS7_6detail15normal_iteratorINS7_10device_ptrIjEEEESJ_S9_S9_S9_S9_S9_S9_S9_S9_EEEEPSB_SM_NS0_5tupleIJNSE_INS8_ISJ_NS7_16discard_iteratorINS7_11use_defaultEEES9_S9_S9_S9_S9_S9_S9_S9_EEEESB_EEENSN_IJSM_SM_EEESB_PlJNSF_9not_fun_tINSF_14equal_to_valueISA_EEEEEEE10hipError_tPvRmT3_T4_T5_T6_T7_T9_mT8_P12ihipStream_tbDpT10_ENKUlT_T0_E_clISt17integral_constantIbLb0EES1I_IbLb1EEEEDaS1E_S1F_EUlS1E_E_NS1_11comp_targetILNS1_3genE2ELNS1_11target_archE906ELNS1_3gpuE6ELNS1_3repE0EEENS1_30default_config_static_selectorELNS0_4arch9wavefront6targetE0EEEvT1_.has_indirect_call, 0
	.section	.AMDGPU.csdata,"",@progbits
; Kernel info:
; codeLenInByte = 0
; TotalNumSgprs: 0
; NumVgprs: 0
; ScratchSize: 0
; MemoryBound: 0
; FloatMode: 240
; IeeeMode: 1
; LDSByteSize: 0 bytes/workgroup (compile time only)
; SGPRBlocks: 0
; VGPRBlocks: 0
; NumSGPRsForWavesPerEU: 1
; NumVGPRsForWavesPerEU: 1
; Occupancy: 16
; WaveLimiterHint : 0
; COMPUTE_PGM_RSRC2:SCRATCH_EN: 0
; COMPUTE_PGM_RSRC2:USER_SGPR: 2
; COMPUTE_PGM_RSRC2:TRAP_HANDLER: 0
; COMPUTE_PGM_RSRC2:TGID_X_EN: 1
; COMPUTE_PGM_RSRC2:TGID_Y_EN: 0
; COMPUTE_PGM_RSRC2:TGID_Z_EN: 0
; COMPUTE_PGM_RSRC2:TIDIG_COMP_CNT: 0
	.section	.text._ZN7rocprim17ROCPRIM_400000_NS6detail17trampoline_kernelINS0_14default_configENS1_25partition_config_selectorILNS1_17partition_subalgoE6EN6thrust23THRUST_200600_302600_NS5tupleIjjNS7_9null_typeES9_S9_S9_S9_S9_S9_S9_EENS0_10empty_typeEbEEZZNS1_14partition_implILS5_6ELb0ES3_mNS7_12zip_iteratorINS8_INS7_6detail15normal_iteratorINS7_10device_ptrIjEEEESJ_S9_S9_S9_S9_S9_S9_S9_S9_EEEEPSB_SM_NS0_5tupleIJNSE_INS8_ISJ_NS7_16discard_iteratorINS7_11use_defaultEEES9_S9_S9_S9_S9_S9_S9_S9_EEEESB_EEENSN_IJSM_SM_EEESB_PlJNSF_9not_fun_tINSF_14equal_to_valueISA_EEEEEEE10hipError_tPvRmT3_T4_T5_T6_T7_T9_mT8_P12ihipStream_tbDpT10_ENKUlT_T0_E_clISt17integral_constantIbLb0EES1I_IbLb1EEEEDaS1E_S1F_EUlS1E_E_NS1_11comp_targetILNS1_3genE10ELNS1_11target_archE1200ELNS1_3gpuE4ELNS1_3repE0EEENS1_30default_config_static_selectorELNS0_4arch9wavefront6targetE0EEEvT1_,"axG",@progbits,_ZN7rocprim17ROCPRIM_400000_NS6detail17trampoline_kernelINS0_14default_configENS1_25partition_config_selectorILNS1_17partition_subalgoE6EN6thrust23THRUST_200600_302600_NS5tupleIjjNS7_9null_typeES9_S9_S9_S9_S9_S9_S9_EENS0_10empty_typeEbEEZZNS1_14partition_implILS5_6ELb0ES3_mNS7_12zip_iteratorINS8_INS7_6detail15normal_iteratorINS7_10device_ptrIjEEEESJ_S9_S9_S9_S9_S9_S9_S9_S9_EEEEPSB_SM_NS0_5tupleIJNSE_INS8_ISJ_NS7_16discard_iteratorINS7_11use_defaultEEES9_S9_S9_S9_S9_S9_S9_S9_EEEESB_EEENSN_IJSM_SM_EEESB_PlJNSF_9not_fun_tINSF_14equal_to_valueISA_EEEEEEE10hipError_tPvRmT3_T4_T5_T6_T7_T9_mT8_P12ihipStream_tbDpT10_ENKUlT_T0_E_clISt17integral_constantIbLb0EES1I_IbLb1EEEEDaS1E_S1F_EUlS1E_E_NS1_11comp_targetILNS1_3genE10ELNS1_11target_archE1200ELNS1_3gpuE4ELNS1_3repE0EEENS1_30default_config_static_selectorELNS0_4arch9wavefront6targetE0EEEvT1_,comdat
	.protected	_ZN7rocprim17ROCPRIM_400000_NS6detail17trampoline_kernelINS0_14default_configENS1_25partition_config_selectorILNS1_17partition_subalgoE6EN6thrust23THRUST_200600_302600_NS5tupleIjjNS7_9null_typeES9_S9_S9_S9_S9_S9_S9_EENS0_10empty_typeEbEEZZNS1_14partition_implILS5_6ELb0ES3_mNS7_12zip_iteratorINS8_INS7_6detail15normal_iteratorINS7_10device_ptrIjEEEESJ_S9_S9_S9_S9_S9_S9_S9_S9_EEEEPSB_SM_NS0_5tupleIJNSE_INS8_ISJ_NS7_16discard_iteratorINS7_11use_defaultEEES9_S9_S9_S9_S9_S9_S9_S9_EEEESB_EEENSN_IJSM_SM_EEESB_PlJNSF_9not_fun_tINSF_14equal_to_valueISA_EEEEEEE10hipError_tPvRmT3_T4_T5_T6_T7_T9_mT8_P12ihipStream_tbDpT10_ENKUlT_T0_E_clISt17integral_constantIbLb0EES1I_IbLb1EEEEDaS1E_S1F_EUlS1E_E_NS1_11comp_targetILNS1_3genE10ELNS1_11target_archE1200ELNS1_3gpuE4ELNS1_3repE0EEENS1_30default_config_static_selectorELNS0_4arch9wavefront6targetE0EEEvT1_ ; -- Begin function _ZN7rocprim17ROCPRIM_400000_NS6detail17trampoline_kernelINS0_14default_configENS1_25partition_config_selectorILNS1_17partition_subalgoE6EN6thrust23THRUST_200600_302600_NS5tupleIjjNS7_9null_typeES9_S9_S9_S9_S9_S9_S9_EENS0_10empty_typeEbEEZZNS1_14partition_implILS5_6ELb0ES3_mNS7_12zip_iteratorINS8_INS7_6detail15normal_iteratorINS7_10device_ptrIjEEEESJ_S9_S9_S9_S9_S9_S9_S9_S9_EEEEPSB_SM_NS0_5tupleIJNSE_INS8_ISJ_NS7_16discard_iteratorINS7_11use_defaultEEES9_S9_S9_S9_S9_S9_S9_S9_EEEESB_EEENSN_IJSM_SM_EEESB_PlJNSF_9not_fun_tINSF_14equal_to_valueISA_EEEEEEE10hipError_tPvRmT3_T4_T5_T6_T7_T9_mT8_P12ihipStream_tbDpT10_ENKUlT_T0_E_clISt17integral_constantIbLb0EES1I_IbLb1EEEEDaS1E_S1F_EUlS1E_E_NS1_11comp_targetILNS1_3genE10ELNS1_11target_archE1200ELNS1_3gpuE4ELNS1_3repE0EEENS1_30default_config_static_selectorELNS0_4arch9wavefront6targetE0EEEvT1_
	.globl	_ZN7rocprim17ROCPRIM_400000_NS6detail17trampoline_kernelINS0_14default_configENS1_25partition_config_selectorILNS1_17partition_subalgoE6EN6thrust23THRUST_200600_302600_NS5tupleIjjNS7_9null_typeES9_S9_S9_S9_S9_S9_S9_EENS0_10empty_typeEbEEZZNS1_14partition_implILS5_6ELb0ES3_mNS7_12zip_iteratorINS8_INS7_6detail15normal_iteratorINS7_10device_ptrIjEEEESJ_S9_S9_S9_S9_S9_S9_S9_S9_EEEEPSB_SM_NS0_5tupleIJNSE_INS8_ISJ_NS7_16discard_iteratorINS7_11use_defaultEEES9_S9_S9_S9_S9_S9_S9_S9_EEEESB_EEENSN_IJSM_SM_EEESB_PlJNSF_9not_fun_tINSF_14equal_to_valueISA_EEEEEEE10hipError_tPvRmT3_T4_T5_T6_T7_T9_mT8_P12ihipStream_tbDpT10_ENKUlT_T0_E_clISt17integral_constantIbLb0EES1I_IbLb1EEEEDaS1E_S1F_EUlS1E_E_NS1_11comp_targetILNS1_3genE10ELNS1_11target_archE1200ELNS1_3gpuE4ELNS1_3repE0EEENS1_30default_config_static_selectorELNS0_4arch9wavefront6targetE0EEEvT1_
	.p2align	8
	.type	_ZN7rocprim17ROCPRIM_400000_NS6detail17trampoline_kernelINS0_14default_configENS1_25partition_config_selectorILNS1_17partition_subalgoE6EN6thrust23THRUST_200600_302600_NS5tupleIjjNS7_9null_typeES9_S9_S9_S9_S9_S9_S9_EENS0_10empty_typeEbEEZZNS1_14partition_implILS5_6ELb0ES3_mNS7_12zip_iteratorINS8_INS7_6detail15normal_iteratorINS7_10device_ptrIjEEEESJ_S9_S9_S9_S9_S9_S9_S9_S9_EEEEPSB_SM_NS0_5tupleIJNSE_INS8_ISJ_NS7_16discard_iteratorINS7_11use_defaultEEES9_S9_S9_S9_S9_S9_S9_S9_EEEESB_EEENSN_IJSM_SM_EEESB_PlJNSF_9not_fun_tINSF_14equal_to_valueISA_EEEEEEE10hipError_tPvRmT3_T4_T5_T6_T7_T9_mT8_P12ihipStream_tbDpT10_ENKUlT_T0_E_clISt17integral_constantIbLb0EES1I_IbLb1EEEEDaS1E_S1F_EUlS1E_E_NS1_11comp_targetILNS1_3genE10ELNS1_11target_archE1200ELNS1_3gpuE4ELNS1_3repE0EEENS1_30default_config_static_selectorELNS0_4arch9wavefront6targetE0EEEvT1_,@function
_ZN7rocprim17ROCPRIM_400000_NS6detail17trampoline_kernelINS0_14default_configENS1_25partition_config_selectorILNS1_17partition_subalgoE6EN6thrust23THRUST_200600_302600_NS5tupleIjjNS7_9null_typeES9_S9_S9_S9_S9_S9_S9_EENS0_10empty_typeEbEEZZNS1_14partition_implILS5_6ELb0ES3_mNS7_12zip_iteratorINS8_INS7_6detail15normal_iteratorINS7_10device_ptrIjEEEESJ_S9_S9_S9_S9_S9_S9_S9_S9_EEEEPSB_SM_NS0_5tupleIJNSE_INS8_ISJ_NS7_16discard_iteratorINS7_11use_defaultEEES9_S9_S9_S9_S9_S9_S9_S9_EEEESB_EEENSN_IJSM_SM_EEESB_PlJNSF_9not_fun_tINSF_14equal_to_valueISA_EEEEEEE10hipError_tPvRmT3_T4_T5_T6_T7_T9_mT8_P12ihipStream_tbDpT10_ENKUlT_T0_E_clISt17integral_constantIbLb0EES1I_IbLb1EEEEDaS1E_S1F_EUlS1E_E_NS1_11comp_targetILNS1_3genE10ELNS1_11target_archE1200ELNS1_3gpuE4ELNS1_3repE0EEENS1_30default_config_static_selectorELNS0_4arch9wavefront6targetE0EEEvT1_: ; @_ZN7rocprim17ROCPRIM_400000_NS6detail17trampoline_kernelINS0_14default_configENS1_25partition_config_selectorILNS1_17partition_subalgoE6EN6thrust23THRUST_200600_302600_NS5tupleIjjNS7_9null_typeES9_S9_S9_S9_S9_S9_S9_EENS0_10empty_typeEbEEZZNS1_14partition_implILS5_6ELb0ES3_mNS7_12zip_iteratorINS8_INS7_6detail15normal_iteratorINS7_10device_ptrIjEEEESJ_S9_S9_S9_S9_S9_S9_S9_S9_EEEEPSB_SM_NS0_5tupleIJNSE_INS8_ISJ_NS7_16discard_iteratorINS7_11use_defaultEEES9_S9_S9_S9_S9_S9_S9_S9_EEEESB_EEENSN_IJSM_SM_EEESB_PlJNSF_9not_fun_tINSF_14equal_to_valueISA_EEEEEEE10hipError_tPvRmT3_T4_T5_T6_T7_T9_mT8_P12ihipStream_tbDpT10_ENKUlT_T0_E_clISt17integral_constantIbLb0EES1I_IbLb1EEEEDaS1E_S1F_EUlS1E_E_NS1_11comp_targetILNS1_3genE10ELNS1_11target_archE1200ELNS1_3gpuE4ELNS1_3repE0EEENS1_30default_config_static_selectorELNS0_4arch9wavefront6targetE0EEEvT1_
; %bb.0:
	s_clause 0x6
	s_load_b128 s[4:7], s[0:1], 0x8
	s_load_b64 s[20:21], s[0:1], 0x18
	s_load_b64 s[10:11], s[0:1], 0x30
	s_load_b128 s[12:15], s[0:1], 0x58
	s_load_b64 s[8:9], s[0:1], 0x68
	s_load_b64 s[16:17], s[0:1], 0x78
	;; [unrolled: 1-line block ×3, first 2 shown]
	v_cmp_eq_u32_e64 s2, 0, v0
	s_and_saveexec_b32 s3, s2
	s_cbranch_execz .LBB1946_4
; %bb.1:
	s_mov_b32 s23, exec_lo
	s_mov_b32 s22, exec_lo
	v_mbcnt_lo_u32_b32 v1, s23, 0
                                        ; implicit-def: $vgpr2
	s_delay_alu instid0(VALU_DEP_1)
	v_cmpx_eq_u32_e32 0, v1
	s_cbranch_execz .LBB1946_3
; %bb.2:
	s_load_b64 s[24:25], s[0:1], 0x88
	s_bcnt1_i32_b32 s23, s23
	s_wait_alu 0xfffe
	v_dual_mov_b32 v2, 0 :: v_dual_mov_b32 v3, s23
	s_wait_kmcnt 0x0
	global_atomic_add_u32 v2, v2, v3, s[24:25] th:TH_ATOMIC_RETURN scope:SCOPE_DEV
.LBB1946_3:
	s_or_b32 exec_lo, exec_lo, s22
	s_wait_loadcnt 0x0
	v_readfirstlane_b32 s22, v2
	s_wait_alu 0xf1ff
	s_delay_alu instid0(VALU_DEP_1)
	v_dual_mov_b32 v2, 0 :: v_dual_add_nc_u32 v1, s22, v1
	ds_store_b32 v2, v1
.LBB1946_4:
	s_or_b32 exec_lo, exec_lo, s3
	v_mov_b32_e32 v1, 0
	s_wait_dscnt 0x0
	s_barrier_signal -1
	s_barrier_wait -1
	global_inv scope:SCOPE_SE
	ds_load_b32 v2, v1
	s_wait_loadcnt_dscnt 0x0
	s_barrier_signal -1
	s_barrier_wait -1
	global_inv scope:SCOPE_SE
	s_wait_kmcnt 0x0
	global_load_b64 v[17:18], v1, s[14:15]
	s_load_b32 s0, s[0:1], 0x80
	s_lshl_b64 s[14:15], s[20:21], 2
	s_mov_b32 s25, 0
	s_add_nc_u64 s[4:5], s[4:5], s[14:15]
	s_add_nc_u64 s[22:23], s[6:7], s[14:15]
	v_lshlrev_b32_e32 v9, 2, v0
	v_lshrrev_b32_e32 v10, 2, v0
	v_or_b32_e32 v12, 0x200, v0
	v_or_b32_e32 v11, 0x300, v0
	v_readfirstlane_b32 s15, v2
	s_wait_kmcnt 0x0
	s_lshl_b32 s24, s0, 10
	s_add_co_i32 s6, s0, -1
	s_add_nc_u64 s[0:1], s[20:21], s[24:25]
	s_lshl_b32 s3, s6, 10
	v_cmp_le_u64_e64 s0, s[8:9], s[0:1]
	s_add_co_i32 s3, s20, s3
	s_cmp_eq_u32 s15, s6
	s_mov_b32 s6, -1
	s_cselect_b32 s9, -1, 0
	s_lshl_b32 s24, s15, 10
	s_wait_alu 0xfffe
	s_and_b32 s0, s0, s9
	s_lshl_b64 s[20:21], s[24:25], 2
	s_wait_alu 0xfffe
	s_xor_b32 s14, s0, -1
	s_add_nc_u64 s[0:1], s[4:5], s[20:21]
	s_and_b32 vcc_lo, exec_lo, s14
	s_add_nc_u64 s[4:5], s[22:23], s[20:21]
	s_cbranch_vccz .LBB1946_6
; %bb.5:
	s_clause 0x7
	global_load_b32 v1, v9, s[0:1]
	global_load_b32 v2, v9, s[4:5]
	global_load_b32 v3, v9, s[0:1] offset:1024
	global_load_b32 v4, v9, s[4:5] offset:1024
	;; [unrolled: 1-line block ×6, first 2 shown]
	v_or_b32_e32 v13, 0x100, v0
	v_lshrrev_b32_e32 v14, 2, v12
	v_lshrrev_b32_e32 v15, 2, v11
	v_and_b32_e32 v16, 56, v10
	v_lshlrev_b32_e32 v19, 3, v0
	v_lshrrev_b32_e32 v13, 2, v13
	v_and_b32_e32 v14, 0xb8, v14
	v_and_b32_e32 v15, 0xf8, v15
	s_mov_b32 s6, 0
	v_add_nc_u32_e32 v16, v16, v19
	v_and_b32_e32 v13, 0x78, v13
	v_add_nc_u32_e32 v14, v14, v19
	v_add_nc_u32_e32 v15, v15, v19
	s_delay_alu instid0(VALU_DEP_3)
	v_add_nc_u32_e32 v13, v13, v19
	s_wait_loadcnt 0x6
	ds_store_b64 v16, v[1:2]
	s_wait_loadcnt 0x4
	ds_store_b64 v13, v[3:4] offset:2048
	s_wait_loadcnt 0x2
	ds_store_b64 v14, v[5:6] offset:4096
	;; [unrolled: 2-line block ×3, first 2 shown]
	s_wait_dscnt 0x0
	s_barrier_signal -1
	s_barrier_wait -1
.LBB1946_6:
	s_and_not1_b32 vcc_lo, exec_lo, s6
	s_sub_co_i32 s20, s8, s3
	s_cbranch_vccnz .LBB1946_16
; %bb.7:
	v_mov_b32_e32 v1, 0
	v_dual_mov_b32 v2, 0 :: v_dual_mov_b32 v3, 0
	v_mov_b32_e32 v4, 0
	s_mov_b32 s3, exec_lo
	v_cmpx_gt_u32_e64 s20, v0
	s_cbranch_execz .LBB1946_9
; %bb.8:
	s_clause 0x1
	global_load_b32 v3, v9, s[0:1]
	global_load_b32 v4, v9, s[4:5]
.LBB1946_9:
	s_or_b32 exec_lo, exec_lo, s3
	v_or_b32_e32 v13, 0x100, v0
	s_mov_b32 s3, exec_lo
	s_delay_alu instid0(VALU_DEP_1)
	v_cmpx_gt_u32_e64 s20, v13
	s_cbranch_execz .LBB1946_11
; %bb.10:
	s_clause 0x1
	global_load_b32 v1, v9, s[0:1] offset:1024
	global_load_b32 v2, v9, s[4:5] offset:1024
.LBB1946_11:
	s_or_b32 exec_lo, exec_lo, s3
	v_mov_b32_e32 v5, 0
	v_dual_mov_b32 v6, 0 :: v_dual_mov_b32 v7, 0
	v_mov_b32_e32 v8, 0
	s_mov_b32 s3, exec_lo
	v_cmpx_gt_u32_e64 s20, v12
	s_cbranch_execz .LBB1946_13
; %bb.12:
	s_clause 0x1
	global_load_b32 v7, v9, s[0:1] offset:2048
	global_load_b32 v8, v9, s[4:5] offset:2048
.LBB1946_13:
	s_or_b32 exec_lo, exec_lo, s3
	s_delay_alu instid0(SALU_CYCLE_1)
	s_mov_b32 s3, exec_lo
	v_cmpx_gt_u32_e64 s20, v11
	s_cbranch_execz .LBB1946_15
; %bb.14:
	s_clause 0x1
	global_load_b32 v5, v9, s[0:1] offset:3072
	global_load_b32 v6, v9, s[4:5] offset:3072
.LBB1946_15:
	s_or_b32 exec_lo, exec_lo, s3
	v_lshrrev_b32_e32 v13, 2, v13
	v_lshrrev_b32_e32 v12, 2, v12
	;; [unrolled: 1-line block ×3, first 2 shown]
	v_and_b32_e32 v10, 56, v10
	v_lshlrev_b32_e32 v14, 3, v0
	v_and_b32_e32 v13, 0x78, v13
	v_and_b32_e32 v12, 0xf8, v12
	;; [unrolled: 1-line block ×3, first 2 shown]
	s_delay_alu instid0(VALU_DEP_4) | instskip(NEXT) | instid1(VALU_DEP_4)
	v_add_nc_u32_e32 v10, v10, v14
	v_add_nc_u32_e32 v13, v13, v14
	s_delay_alu instid0(VALU_DEP_4) | instskip(NEXT) | instid1(VALU_DEP_4)
	v_add_nc_u32_e32 v12, v12, v14
	v_add_nc_u32_e32 v11, v11, v14
	s_wait_loadcnt 0x0
	ds_store_b64 v10, v[3:4]
	ds_store_b64 v13, v[1:2] offset:2048
	ds_store_b64 v12, v[7:8] offset:4096
	;; [unrolled: 1-line block ×3, first 2 shown]
	s_wait_dscnt 0x0
	s_barrier_signal -1
	s_barrier_wait -1
.LBB1946_16:
	v_and_b32_e32 v1, 0xf8, v0
	s_wait_loadcnt 0x0
	global_inv scope:SCOPE_SE
	s_and_not1_b32 vcc_lo, exec_lo, s14
	v_lshl_add_u32 v5, v0, 5, v1
	ds_load_2addr_b64 v[1:4], v5 offset1:3
	ds_load_2addr_b64 v[5:8], v5 offset0:1 offset1:2
	s_wait_loadcnt_dscnt 0x0
	s_barrier_signal -1
	s_barrier_wait -1
	global_inv scope:SCOPE_SE
	v_cmp_ne_u32_e64 s0, s18, v1
	v_cmp_ne_u32_e64 s3, s19, v2
	;; [unrolled: 1-line block ×8, first 2 shown]
	s_cbranch_vccnz .LBB1946_18
; %bb.17:
	s_or_b32 s6, s6, s8
	s_or_b32 s5, s5, s7
	v_cndmask_b32_e64 v27, 0, 1, s6
	v_cndmask_b32_e64 v10, 0, 1, s5
	s_wait_alu 0xfffe
	s_or_b32 s0, s0, s3
	s_or_b32 s5, s1, s4
	s_wait_alu 0xfffe
	v_cndmask_b32_e64 v29, 0, 1, s0
	v_lshlrev_b16 v11, 8, v27
	s_delay_alu instid0(VALU_DEP_1)
	v_or_b32_e32 v28, v10, v11
	s_cbranch_execz .LBB1946_19
	s_branch .LBB1946_20
.LBB1946_18:
                                        ; implicit-def: $sgpr5
                                        ; implicit-def: $vgpr29
                                        ; implicit-def: $vgpr28
                                        ; implicit-def: $vgpr27
.LBB1946_19:
	v_or_b32_e32 v10, 2, v9
	v_cmp_ne_u32_e32 vcc_lo, s18, v7
	v_cmp_ne_u32_e64 s0, s19, v8
	v_cmp_ne_u32_e64 s3, s18, v5
	;; [unrolled: 1-line block ×3, first 2 shown]
	v_cmp_gt_u32_e64 s1, s20, v10
	v_or_b32_e32 v10, 1, v9
	s_wait_alu 0xfffe
	s_or_b32 s0, vcc_lo, s0
	v_cmp_ne_u32_e32 vcc_lo, s19, v6
	v_or_b32_e32 v12, 3, v9
	s_wait_alu 0xfffe
	s_and_b32 s0, s1, s0
	v_cmp_ne_u32_e64 s1, s18, v1
	s_wait_alu 0xfffe
	v_cndmask_b32_e64 v27, 0, 1, s0
	v_cmp_gt_u32_e64 s0, s20, v10
	s_or_b32 s3, s3, vcc_lo
	v_cmp_ne_u32_e32 vcc_lo, s18, v3
	s_or_b32 s4, s1, s4
	v_cmp_gt_u32_e64 s1, s20, v12
	s_and_b32 s0, s0, s3
	v_cmp_gt_u32_e64 s3, s20, v9
	s_wait_alu 0xfffe
	v_cndmask_b32_e64 v11, 0, 1, s0
	v_cmp_ne_u32_e64 s0, s19, v4
	v_lshlrev_b16 v10, 8, v27
	s_and_b32 s3, s3, s4
	s_or_b32 s0, vcc_lo, s0
	s_delay_alu instid0(VALU_DEP_1)
	v_or_b32_e32 v28, v11, v10
	s_wait_alu 0xfffe
	s_and_b32 s0, s1, s0
	v_cndmask_b32_e64 v29, 0, 1, s3
	s_and_not1_b32 s1, s5, exec_lo
	s_wait_alu 0xfffe
	s_and_b32 s0, s0, exec_lo
	s_wait_alu 0xfffe
	s_or_b32 s5, s1, s0
.LBB1946_20:
	v_and_b32_e32 v32, 0xff, v29
	s_delay_alu instid0(VALU_DEP_2)
	v_dual_mov_b32 v10, 0 :: v_dual_and_b32 v31, 0xff, v28
	s_wait_alu 0xfffe
	v_cndmask_b32_e64 v9, 0, 1, s5
	v_mbcnt_lo_u32_b32 v33, -1, 0
	v_and_b32_e32 v30, 0xff, v27
	s_cmp_lg_u32 s15, 0
	s_mov_b32 s1, -1
	v_add3_u32 v9, v32, v9, v31
	v_and_b32_e32 v34, 15, v33
	s_delay_alu instid0(VALU_DEP_2) | instskip(SKIP_2) | instid1(VALU_DEP_3)
	v_add_co_u32 v19, s0, v9, v30
	s_wait_alu 0xf1ff
	v_add_co_ci_u32_e64 v20, null, 0, 0, s0
	v_cmp_ne_u32_e64 s0, 0, v34
	s_cbranch_scc0 .LBB1946_77
; %bb.21:
	v_mov_b32_e32 v11, v19
	v_mov_b32_dpp v9, v19 row_shr:1 row_mask:0xf bank_mask:0xf
	v_mov_b32_dpp v14, v10 row_shr:1 row_mask:0xf bank_mask:0xf
	v_dual_mov_b32 v13, v19 :: v_dual_mov_b32 v12, v20
	s_and_saveexec_b32 s1, s0
; %bb.22:
	s_delay_alu instid0(VALU_DEP_3) | instskip(NEXT) | instid1(VALU_DEP_1)
	v_add_co_u32 v13, vcc_lo, v19, v9
	v_add_co_ci_u32_e64 v10, null, 0, v20, vcc_lo
	s_delay_alu instid0(VALU_DEP_2) | instskip(SKIP_1) | instid1(VALU_DEP_2)
	v_add_co_u32 v9, vcc_lo, 0, v13
	s_wait_alu 0xfffd
	v_add_co_ci_u32_e64 v10, null, v14, v10, vcc_lo
	s_delay_alu instid0(VALU_DEP_1)
	v_dual_mov_b32 v12, v10 :: v_dual_mov_b32 v11, v9
; %bb.23:
	s_wait_alu 0xfffe
	s_or_b32 exec_lo, exec_lo, s1
	v_mov_b32_dpp v9, v13 row_shr:2 row_mask:0xf bank_mask:0xf
	v_mov_b32_dpp v14, v10 row_shr:2 row_mask:0xf bank_mask:0xf
	s_mov_b32 s1, exec_lo
	v_cmpx_lt_u32_e32 1, v34
; %bb.24:
	s_delay_alu instid0(VALU_DEP_3) | instskip(SKIP_2) | instid1(VALU_DEP_2)
	v_add_co_u32 v13, vcc_lo, v11, v9
	s_wait_alu 0xfffd
	v_add_co_ci_u32_e64 v10, null, 0, v12, vcc_lo
	v_add_co_u32 v9, vcc_lo, 0, v13
	s_wait_alu 0xfffd
	s_delay_alu instid0(VALU_DEP_2) | instskip(NEXT) | instid1(VALU_DEP_1)
	v_add_co_ci_u32_e64 v10, null, v14, v10, vcc_lo
	v_dual_mov_b32 v12, v10 :: v_dual_mov_b32 v11, v9
; %bb.25:
	s_wait_alu 0xfffe
	s_or_b32 exec_lo, exec_lo, s1
	v_mov_b32_dpp v9, v13 row_shr:4 row_mask:0xf bank_mask:0xf
	v_mov_b32_dpp v14, v10 row_shr:4 row_mask:0xf bank_mask:0xf
	s_mov_b32 s1, exec_lo
	v_cmpx_lt_u32_e32 3, v34
; %bb.26:
	s_delay_alu instid0(VALU_DEP_3) | instskip(SKIP_2) | instid1(VALU_DEP_2)
	v_add_co_u32 v13, vcc_lo, v11, v9
	s_wait_alu 0xfffd
	v_add_co_ci_u32_e64 v10, null, 0, v12, vcc_lo
	v_add_co_u32 v9, vcc_lo, 0, v13
	s_wait_alu 0xfffd
	s_delay_alu instid0(VALU_DEP_2) | instskip(NEXT) | instid1(VALU_DEP_1)
	v_add_co_ci_u32_e64 v10, null, v14, v10, vcc_lo
	;; [unrolled: 17-line block ×3, first 2 shown]
	v_mov_b32_e32 v10, v12
; %bb.29:
	s_wait_alu 0xfffe
	s_or_b32 exec_lo, exec_lo, s1
	ds_swizzle_b32 v9, v13 offset:swizzle(BROADCAST,32,15)
	ds_swizzle_b32 v14, v10 offset:swizzle(BROADCAST,32,15)
	v_and_b32_e32 v15, 16, v33
	s_mov_b32 s1, exec_lo
	s_delay_alu instid0(VALU_DEP_1)
	v_cmpx_ne_u32_e32 0, v15
	s_cbranch_execz .LBB1946_31
; %bb.30:
	s_wait_dscnt 0x1
	v_add_co_u32 v13, vcc_lo, v11, v9
	s_wait_alu 0xfffd
	v_add_co_ci_u32_e64 v10, null, 0, v12, vcc_lo
	s_delay_alu instid0(VALU_DEP_2) | instskip(SKIP_2) | instid1(VALU_DEP_2)
	v_add_co_u32 v9, vcc_lo, 0, v13
	s_wait_dscnt 0x0
	s_wait_alu 0xfffd
	v_add_co_ci_u32_e64 v10, null, v14, v10, vcc_lo
	s_delay_alu instid0(VALU_DEP_1)
	v_dual_mov_b32 v12, v10 :: v_dual_mov_b32 v11, v9
.LBB1946_31:
	s_wait_alu 0xfffe
	s_or_b32 exec_lo, exec_lo, s1
	s_wait_dscnt 0x0
	v_or_b32_e32 v14, 31, v0
	v_lshrrev_b32_e32 v9, 5, v0
	s_mov_b32 s1, exec_lo
	s_delay_alu instid0(VALU_DEP_2)
	v_cmpx_eq_u32_e64 v0, v14
; %bb.32:
	s_delay_alu instid0(VALU_DEP_2)
	v_lshlrev_b32_e32 v14, 3, v9
	ds_store_b64 v14, v[11:12]
; %bb.33:
	s_wait_alu 0xfffe
	s_or_b32 exec_lo, exec_lo, s1
	s_delay_alu instid0(SALU_CYCLE_1)
	s_mov_b32 s1, exec_lo
	s_wait_loadcnt_dscnt 0x0
	s_barrier_signal -1
	s_barrier_wait -1
	global_inv scope:SCOPE_SE
	v_cmpx_gt_u32_e32 8, v0
	s_cbranch_execz .LBB1946_41
; %bb.34:
	v_lshlrev_b32_e32 v14, 3, v0
	s_mov_b32 s3, exec_lo
	ds_load_b64 v[11:12], v14
	s_wait_dscnt 0x0
	v_dual_mov_b32 v16, v11 :: v_dual_and_b32 v15, 7, v33
	v_mov_b32_dpp v22, v11 row_shr:1 row_mask:0xf bank_mask:0xf
	v_mov_b32_dpp v21, v12 row_shr:1 row_mask:0xf bank_mask:0xf
	s_delay_alu instid0(VALU_DEP_3)
	v_cmpx_ne_u32_e32 0, v15
; %bb.35:
	s_delay_alu instid0(VALU_DEP_3) | instskip(SKIP_2) | instid1(VALU_DEP_2)
	v_add_co_u32 v16, vcc_lo, v11, v22
	s_wait_alu 0xfffd
	v_add_co_ci_u32_e64 v12, null, 0, v12, vcc_lo
	v_add_co_u32 v11, vcc_lo, 0, v16
	s_wait_alu 0xfffd
	s_delay_alu instid0(VALU_DEP_2)
	v_add_co_ci_u32_e64 v12, null, v21, v12, vcc_lo
; %bb.36:
	s_wait_alu 0xfffe
	s_or_b32 exec_lo, exec_lo, s3
	v_mov_b32_dpp v22, v16 row_shr:2 row_mask:0xf bank_mask:0xf
	s_delay_alu instid0(VALU_DEP_2)
	v_mov_b32_dpp v21, v12 row_shr:2 row_mask:0xf bank_mask:0xf
	s_mov_b32 s3, exec_lo
	v_cmpx_lt_u32_e32 1, v15
; %bb.37:
	s_delay_alu instid0(VALU_DEP_3) | instskip(SKIP_2) | instid1(VALU_DEP_2)
	v_add_co_u32 v16, vcc_lo, v11, v22
	s_wait_alu 0xfffd
	v_add_co_ci_u32_e64 v12, null, 0, v12, vcc_lo
	v_add_co_u32 v11, vcc_lo, 0, v16
	s_wait_alu 0xfffd
	s_delay_alu instid0(VALU_DEP_2)
	v_add_co_ci_u32_e64 v12, null, v21, v12, vcc_lo
; %bb.38:
	s_wait_alu 0xfffe
	s_or_b32 exec_lo, exec_lo, s3
	v_mov_b32_dpp v21, v16 row_shr:4 row_mask:0xf bank_mask:0xf
	s_delay_alu instid0(VALU_DEP_2)
	v_mov_b32_dpp v16, v12 row_shr:4 row_mask:0xf bank_mask:0xf
	s_mov_b32 s3, exec_lo
	v_cmpx_lt_u32_e32 3, v15
; %bb.39:
	s_delay_alu instid0(VALU_DEP_3) | instskip(SKIP_2) | instid1(VALU_DEP_2)
	v_add_co_u32 v11, vcc_lo, v11, v21
	s_wait_alu 0xfffd
	v_add_co_ci_u32_e64 v12, null, 0, v12, vcc_lo
	v_add_co_u32 v11, vcc_lo, v11, 0
	s_wait_alu 0xfffd
	s_delay_alu instid0(VALU_DEP_2)
	v_add_co_ci_u32_e64 v12, null, v12, v16, vcc_lo
; %bb.40:
	s_wait_alu 0xfffe
	s_or_b32 exec_lo, exec_lo, s3
	ds_store_b64 v14, v[11:12]
.LBB1946_41:
	s_wait_alu 0xfffe
	s_or_b32 exec_lo, exec_lo, s1
	s_delay_alu instid0(SALU_CYCLE_1)
	s_mov_b32 s3, exec_lo
	v_cmp_gt_u32_e32 vcc_lo, 32, v0
	s_wait_loadcnt_dscnt 0x0
	s_barrier_signal -1
	s_barrier_wait -1
	global_inv scope:SCOPE_SE
                                        ; implicit-def: $vgpr21_vgpr22
	v_cmpx_lt_u32_e32 31, v0
	s_cbranch_execz .LBB1946_43
; %bb.42:
	v_lshl_add_u32 v9, v9, 3, -8
	ds_load_b64 v[21:22], v9
	s_wait_dscnt 0x0
	v_add_co_u32 v13, s1, v13, v21
	s_wait_alu 0xf1ff
	v_add_co_ci_u32_e64 v10, null, v10, v22, s1
.LBB1946_43:
	s_wait_alu 0xfffe
	s_or_b32 exec_lo, exec_lo, s3
	v_sub_co_u32 v9, s1, v33, 1
	s_delay_alu instid0(VALU_DEP_1) | instskip(SKIP_1) | instid1(VALU_DEP_1)
	v_cmp_gt_i32_e64 s3, 0, v9
	s_wait_alu 0xf1ff
	v_cndmask_b32_e64 v9, v9, v33, s3
	s_delay_alu instid0(VALU_DEP_1)
	v_lshlrev_b32_e32 v9, 2, v9
	ds_bpermute_b32 v35, v9, v13
	ds_bpermute_b32 v36, v9, v10
	s_and_saveexec_b32 s3, vcc_lo
	s_cbranch_execz .LBB1946_82
; %bb.44:
	v_mov_b32_e32 v12, 0
	ds_load_b64 v[9:10], v12 offset:56
	s_and_saveexec_b32 s4, s1
	s_cbranch_execz .LBB1946_46
; %bb.45:
	s_add_co_i32 s6, s15, 32
	s_mov_b32 s7, 0
	s_wait_alu 0xfffe
	s_lshl_b64 s[6:7], s[6:7], 4
	s_wait_alu 0xfffe
	s_add_nc_u64 s[6:7], s[16:17], s[6:7]
	s_wait_alu 0xfffe
	v_dual_mov_b32 v11, 1 :: v_dual_mov_b32 v14, s7
	v_mov_b32_e32 v13, s6
	s_wait_dscnt 0x0
	;;#ASMSTART
	global_store_b128 v[13:14], v[9:12] off scope:SCOPE_DEV	
s_wait_storecnt 0x0
	;;#ASMEND
.LBB1946_46:
	s_wait_alu 0xfffe
	s_or_b32 exec_lo, exec_lo, s4
	v_xad_u32 v23, v33, -1, s15
	s_mov_b32 s6, 0
	s_mov_b32 s4, exec_lo
	s_delay_alu instid0(VALU_DEP_1) | instskip(NEXT) | instid1(VALU_DEP_1)
	v_add_nc_u32_e32 v11, 32, v23
	v_lshlrev_b64_e32 v[11:12], 4, v[11:12]
	s_delay_alu instid0(VALU_DEP_1) | instskip(SKIP_1) | instid1(VALU_DEP_2)
	v_add_co_u32 v11, vcc_lo, s16, v11
	s_wait_alu 0xfffd
	v_add_co_ci_u32_e64 v12, null, s17, v12, vcc_lo
	;;#ASMSTART
	global_load_b128 v[13:16], v[11:12] off scope:SCOPE_DEV	
s_wait_loadcnt 0x0
	;;#ASMEND
	v_and_b32_e32 v16, 0xff, v15
	s_delay_alu instid0(VALU_DEP_1)
	v_cmpx_eq_u16_e32 0, v16
	s_cbranch_execz .LBB1946_49
.LBB1946_47:                            ; =>This Inner Loop Header: Depth=1
	;;#ASMSTART
	global_load_b128 v[13:16], v[11:12] off scope:SCOPE_DEV	
s_wait_loadcnt 0x0
	;;#ASMEND
	v_and_b32_e32 v16, 0xff, v15
	s_delay_alu instid0(VALU_DEP_1)
	v_cmp_ne_u16_e32 vcc_lo, 0, v16
	s_wait_alu 0xfffe
	s_or_b32 s6, vcc_lo, s6
	s_wait_alu 0xfffe
	s_and_not1_b32 exec_lo, exec_lo, s6
	s_cbranch_execnz .LBB1946_47
; %bb.48:
	s_or_b32 exec_lo, exec_lo, s6
.LBB1946_49:
	s_wait_alu 0xfffe
	s_or_b32 exec_lo, exec_lo, s4
	v_cmp_ne_u32_e32 vcc_lo, 31, v33
	v_and_b32_e32 v12, 0xff, v15
	v_lshlrev_b32_e64 v38, v33, -1
	s_mov_b32 s4, exec_lo
	s_wait_alu 0xfffd
	v_add_co_ci_u32_e64 v11, null, 0, v33, vcc_lo
	v_cmp_eq_u16_e32 vcc_lo, 2, v12
	s_delay_alu instid0(VALU_DEP_2)
	v_dual_mov_b32 v12, v13 :: v_dual_lshlrev_b32 v37, 2, v11
	s_wait_alu 0xfffd
	v_and_or_b32 v11, vcc_lo, v38, 0x80000000
	ds_bpermute_b32 v24, v37, v13
	ds_bpermute_b32 v16, v37, v14
	v_ctz_i32_b32_e32 v11, v11
	s_delay_alu instid0(VALU_DEP_1)
	v_cmpx_lt_u32_e64 v33, v11
	s_cbranch_execz .LBB1946_51
; %bb.50:
	s_wait_dscnt 0x1
	v_add_co_u32 v12, vcc_lo, v13, v24
	s_wait_alu 0xfffd
	v_add_co_ci_u32_e64 v14, null, 0, v14, vcc_lo
	s_delay_alu instid0(VALU_DEP_2) | instskip(SKIP_2) | instid1(VALU_DEP_2)
	v_add_co_u32 v13, vcc_lo, 0, v12
	s_wait_dscnt 0x0
	s_wait_alu 0xfffd
	v_add_co_ci_u32_e64 v14, null, v16, v14, vcc_lo
.LBB1946_51:
	s_wait_alu 0xfffe
	s_or_b32 exec_lo, exec_lo, s4
	v_cmp_gt_u32_e32 vcc_lo, 30, v33
	v_add_nc_u32_e32 v40, 2, v33
	s_mov_b32 s4, exec_lo
	s_wait_dscnt 0x0
	s_wait_alu 0xfffd
	v_cndmask_b32_e64 v16, 0, 2, vcc_lo
	s_delay_alu instid0(VALU_DEP_1)
	v_add_lshl_u32 v39, v16, v33, 2
	ds_bpermute_b32 v24, v39, v12
	ds_bpermute_b32 v16, v39, v14
	v_cmpx_le_u32_e64 v40, v11
	s_cbranch_execz .LBB1946_53
; %bb.52:
	s_wait_dscnt 0x1
	v_add_co_u32 v12, vcc_lo, v13, v24
	s_wait_alu 0xfffd
	v_add_co_ci_u32_e64 v14, null, 0, v14, vcc_lo
	s_delay_alu instid0(VALU_DEP_2) | instskip(SKIP_2) | instid1(VALU_DEP_2)
	v_add_co_u32 v13, vcc_lo, 0, v12
	s_wait_dscnt 0x0
	s_wait_alu 0xfffd
	v_add_co_ci_u32_e64 v14, null, v16, v14, vcc_lo
.LBB1946_53:
	s_wait_alu 0xfffe
	s_or_b32 exec_lo, exec_lo, s4
	v_cmp_gt_u32_e32 vcc_lo, 28, v33
	v_add_nc_u32_e32 v42, 4, v33
	s_mov_b32 s4, exec_lo
	s_wait_dscnt 0x0
	s_wait_alu 0xfffd
	v_cndmask_b32_e64 v16, 0, 4, vcc_lo
	s_delay_alu instid0(VALU_DEP_1)
	v_add_lshl_u32 v41, v16, v33, 2
	ds_bpermute_b32 v24, v41, v12
	ds_bpermute_b32 v16, v41, v14
	v_cmpx_le_u32_e64 v42, v11
	;; [unrolled: 25-line block ×3, first 2 shown]
	s_cbranch_execz .LBB1946_57
; %bb.56:
	s_wait_dscnt 0x1
	v_add_co_u32 v12, vcc_lo, v13, v24
	s_wait_alu 0xfffd
	v_add_co_ci_u32_e64 v14, null, 0, v14, vcc_lo
	s_delay_alu instid0(VALU_DEP_2) | instskip(SKIP_2) | instid1(VALU_DEP_2)
	v_add_co_u32 v13, vcc_lo, 0, v12
	s_wait_dscnt 0x0
	s_wait_alu 0xfffd
	v_add_co_ci_u32_e64 v14, null, v16, v14, vcc_lo
.LBB1946_57:
	s_wait_alu 0xfffe
	s_or_b32 exec_lo, exec_lo, s4
	v_lshl_or_b32 v45, v33, 2, 64
	v_add_nc_u32_e32 v46, 16, v33
	s_mov_b32 s4, exec_lo
	s_wait_dscnt 0x0
	ds_bpermute_b32 v16, v45, v12
	ds_bpermute_b32 v12, v45, v14
	v_cmpx_le_u32_e64 v46, v11
	s_cbranch_execz .LBB1946_59
; %bb.58:
	s_wait_dscnt 0x1
	v_add_co_u32 v11, vcc_lo, v13, v16
	s_wait_alu 0xfffd
	v_add_co_ci_u32_e64 v14, null, 0, v14, vcc_lo
	s_delay_alu instid0(VALU_DEP_2) | instskip(SKIP_2) | instid1(VALU_DEP_2)
	v_add_co_u32 v13, vcc_lo, v11, 0
	s_wait_dscnt 0x0
	s_wait_alu 0xfffd
	v_add_co_ci_u32_e64 v14, null, v14, v12, vcc_lo
.LBB1946_59:
	s_wait_alu 0xfffe
	s_or_b32 exec_lo, exec_lo, s4
	v_mov_b32_e32 v24, 0
	s_branch .LBB1946_62
.LBB1946_60:                            ;   in Loop: Header=BB1946_62 Depth=1
	s_wait_alu 0xfffe
	s_or_b32 exec_lo, exec_lo, s4
	v_add_co_u32 v13, vcc_lo, v13, v11
	v_subrev_nc_u32_e32 v23, 32, v23
	s_wait_alu 0xfffd
	v_add_co_ci_u32_e64 v14, null, v14, v12, vcc_lo
	s_mov_b32 s4, 0
.LBB1946_61:                            ;   in Loop: Header=BB1946_62 Depth=1
	s_wait_alu 0xfffe
	s_and_b32 vcc_lo, exec_lo, s4
	s_wait_alu 0xfffe
	s_cbranch_vccnz .LBB1946_78
.LBB1946_62:                            ; =>This Loop Header: Depth=1
                                        ;     Child Loop BB1946_65 Depth 2
	v_and_b32_e32 v11, 0xff, v15
	s_mov_b32 s4, -1
	s_delay_alu instid0(VALU_DEP_1)
	v_cmp_ne_u16_e32 vcc_lo, 2, v11
	s_wait_dscnt 0x0
	v_dual_mov_b32 v11, v13 :: v_dual_mov_b32 v12, v14
                                        ; implicit-def: $vgpr13_vgpr14
	s_cmp_lg_u32 vcc_lo, exec_lo
	s_cbranch_scc1 .LBB1946_61
; %bb.63:                               ;   in Loop: Header=BB1946_62 Depth=1
	v_lshlrev_b64_e32 v[13:14], 4, v[23:24]
	s_mov_b32 s4, exec_lo
	s_delay_alu instid0(VALU_DEP_1) | instskip(SKIP_1) | instid1(VALU_DEP_2)
	v_add_co_u32 v25, vcc_lo, s16, v13
	s_wait_alu 0xfffd
	v_add_co_ci_u32_e64 v26, null, s17, v14, vcc_lo
	;;#ASMSTART
	global_load_b128 v[13:16], v[25:26] off scope:SCOPE_DEV	
s_wait_loadcnt 0x0
	;;#ASMEND
	v_and_b32_e32 v16, 0xff, v15
	s_delay_alu instid0(VALU_DEP_1)
	v_cmpx_eq_u16_e32 0, v16
	s_cbranch_execz .LBB1946_67
; %bb.64:                               ;   in Loop: Header=BB1946_62 Depth=1
	s_mov_b32 s6, 0
.LBB1946_65:                            ;   Parent Loop BB1946_62 Depth=1
                                        ; =>  This Inner Loop Header: Depth=2
	;;#ASMSTART
	global_load_b128 v[13:16], v[25:26] off scope:SCOPE_DEV	
s_wait_loadcnt 0x0
	;;#ASMEND
	v_and_b32_e32 v16, 0xff, v15
	s_delay_alu instid0(VALU_DEP_1)
	v_cmp_ne_u16_e32 vcc_lo, 0, v16
	s_wait_alu 0xfffe
	s_or_b32 s6, vcc_lo, s6
	s_wait_alu 0xfffe
	s_and_not1_b32 exec_lo, exec_lo, s6
	s_cbranch_execnz .LBB1946_65
; %bb.66:                               ;   in Loop: Header=BB1946_62 Depth=1
	s_or_b32 exec_lo, exec_lo, s6
.LBB1946_67:                            ;   in Loop: Header=BB1946_62 Depth=1
	s_wait_alu 0xfffe
	s_or_b32 exec_lo, exec_lo, s4
	v_dual_mov_b32 v25, v13 :: v_dual_and_b32 v16, 0xff, v15
	ds_bpermute_b32 v47, v37, v13
	ds_bpermute_b32 v26, v37, v14
	s_mov_b32 s4, exec_lo
	v_cmp_eq_u16_e32 vcc_lo, 2, v16
	s_wait_alu 0xfffd
	v_and_or_b32 v16, vcc_lo, v38, 0x80000000
	s_delay_alu instid0(VALU_DEP_1) | instskip(NEXT) | instid1(VALU_DEP_1)
	v_ctz_i32_b32_e32 v16, v16
	v_cmpx_lt_u32_e64 v33, v16
	s_cbranch_execz .LBB1946_69
; %bb.68:                               ;   in Loop: Header=BB1946_62 Depth=1
	s_wait_dscnt 0x1
	v_add_co_u32 v25, vcc_lo, v13, v47
	s_wait_alu 0xfffd
	v_add_co_ci_u32_e64 v14, null, 0, v14, vcc_lo
	s_delay_alu instid0(VALU_DEP_2) | instskip(SKIP_2) | instid1(VALU_DEP_2)
	v_add_co_u32 v13, vcc_lo, 0, v25
	s_wait_dscnt 0x0
	s_wait_alu 0xfffd
	v_add_co_ci_u32_e64 v14, null, v26, v14, vcc_lo
.LBB1946_69:                            ;   in Loop: Header=BB1946_62 Depth=1
	s_wait_alu 0xfffe
	s_or_b32 exec_lo, exec_lo, s4
	s_wait_dscnt 0x1
	ds_bpermute_b32 v47, v39, v25
	s_wait_dscnt 0x1
	ds_bpermute_b32 v26, v39, v14
	s_mov_b32 s4, exec_lo
	v_cmpx_le_u32_e64 v40, v16
	s_cbranch_execz .LBB1946_71
; %bb.70:                               ;   in Loop: Header=BB1946_62 Depth=1
	s_wait_dscnt 0x1
	v_add_co_u32 v25, vcc_lo, v13, v47
	s_wait_alu 0xfffd
	v_add_co_ci_u32_e64 v14, null, 0, v14, vcc_lo
	s_delay_alu instid0(VALU_DEP_2) | instskip(SKIP_2) | instid1(VALU_DEP_2)
	v_add_co_u32 v13, vcc_lo, 0, v25
	s_wait_dscnt 0x0
	s_wait_alu 0xfffd
	v_add_co_ci_u32_e64 v14, null, v26, v14, vcc_lo
.LBB1946_71:                            ;   in Loop: Header=BB1946_62 Depth=1
	s_wait_alu 0xfffe
	s_or_b32 exec_lo, exec_lo, s4
	s_wait_dscnt 0x1
	ds_bpermute_b32 v47, v41, v25
	s_wait_dscnt 0x1
	ds_bpermute_b32 v26, v41, v14
	s_mov_b32 s4, exec_lo
	v_cmpx_le_u32_e64 v42, v16
	;; [unrolled: 20-line block ×3, first 2 shown]
	s_cbranch_execz .LBB1946_75
; %bb.74:                               ;   in Loop: Header=BB1946_62 Depth=1
	s_wait_dscnt 0x1
	v_add_co_u32 v25, vcc_lo, v13, v47
	s_wait_alu 0xfffd
	v_add_co_ci_u32_e64 v14, null, 0, v14, vcc_lo
	s_delay_alu instid0(VALU_DEP_2) | instskip(SKIP_2) | instid1(VALU_DEP_2)
	v_add_co_u32 v13, vcc_lo, 0, v25
	s_wait_dscnt 0x0
	s_wait_alu 0xfffd
	v_add_co_ci_u32_e64 v14, null, v26, v14, vcc_lo
.LBB1946_75:                            ;   in Loop: Header=BB1946_62 Depth=1
	s_wait_alu 0xfffe
	s_or_b32 exec_lo, exec_lo, s4
	s_wait_dscnt 0x0
	ds_bpermute_b32 v26, v45, v25
	ds_bpermute_b32 v25, v45, v14
	s_mov_b32 s4, exec_lo
	v_cmpx_le_u32_e64 v46, v16
	s_cbranch_execz .LBB1946_60
; %bb.76:                               ;   in Loop: Header=BB1946_62 Depth=1
	s_wait_dscnt 0x1
	v_add_co_u32 v13, vcc_lo, v13, v26
	s_wait_alu 0xfffd
	v_add_co_ci_u32_e64 v14, null, 0, v14, vcc_lo
	s_delay_alu instid0(VALU_DEP_2) | instskip(SKIP_2) | instid1(VALU_DEP_2)
	v_add_co_u32 v13, vcc_lo, v13, 0
	s_wait_dscnt 0x0
	s_wait_alu 0xfffd
	v_add_co_ci_u32_e64 v14, null, v14, v25, vcc_lo
	s_branch .LBB1946_60
.LBB1946_77:
                                        ; implicit-def: $vgpr15_vgpr16
                                        ; implicit-def: $vgpr13_vgpr14
                                        ; implicit-def: $vgpr21_vgpr22
                                        ; implicit-def: $vgpr23_vgpr24
                                        ; implicit-def: $vgpr11_vgpr12
	s_wait_alu 0xfffe
	s_and_b32 vcc_lo, exec_lo, s1
	s_cbranch_vccnz .LBB1946_83
	s_branch .LBB1946_108
.LBB1946_78:
	s_and_saveexec_b32 s4, s1
	s_cbranch_execz .LBB1946_80
; %bb.79:
	s_add_co_i32 s6, s15, 32
	s_mov_b32 s7, 0
	v_add_co_u32 v13, vcc_lo, v11, v9
	s_wait_alu 0xfffe
	s_lshl_b64 s[6:7], s[6:7], 4
	v_dual_mov_b32 v15, 2 :: v_dual_mov_b32 v16, 0
	s_wait_alu 0xfffe
	s_add_nc_u64 s[6:7], s[16:17], s[6:7]
	s_wait_alu 0xfffd
	v_add_co_ci_u32_e64 v14, null, v12, v10, vcc_lo
	s_wait_alu 0xfffe
	v_dual_mov_b32 v24, s7 :: v_dual_mov_b32 v23, s6
	;;#ASMSTART
	global_store_b128 v[23:24], v[13:16] off scope:SCOPE_DEV	
s_wait_storecnt 0x0
	;;#ASMEND
	ds_store_b128 v16, v[9:12] offset:8448
.LBB1946_80:
	s_wait_alu 0xfffe
	s_or_b32 exec_lo, exec_lo, s4
	s_delay_alu instid0(SALU_CYCLE_1)
	s_and_b32 exec_lo, exec_lo, s2
; %bb.81:
	v_mov_b32_e32 v9, 0
	ds_store_b64 v9, v[11:12] offset:56
.LBB1946_82:
	s_wait_alu 0xfffe
	s_or_b32 exec_lo, exec_lo, s3
	v_mov_b32_e32 v9, 0
	s_wait_loadcnt_dscnt 0x0
	s_barrier_signal -1
	s_barrier_wait -1
	global_inv scope:SCOPE_SE
	ds_load_b64 v[13:14], v9 offset:56
	v_cndmask_b32_e64 v11, v35, v21, s1
	v_cndmask_b32_e64 v10, v36, v22, s1
	s_wait_loadcnt_dscnt 0x0
	s_barrier_signal -1
	s_barrier_wait -1
	v_cndmask_b32_e64 v16, v11, 0, s2
	v_cndmask_b32_e64 v15, v10, 0, s2
	global_inv scope:SCOPE_SE
	ds_load_b128 v[9:12], v9 offset:8448
	v_add_co_u32 v23, vcc_lo, v13, v16
	s_wait_alu 0xfffd
	v_add_co_ci_u32_e64 v24, null, v14, v15, vcc_lo
	s_delay_alu instid0(VALU_DEP_2) | instskip(SKIP_1) | instid1(VALU_DEP_2)
	v_add_co_u32 v21, vcc_lo, v23, v32
	s_wait_alu 0xfffd
	v_add_co_ci_u32_e64 v22, null, 0, v24, vcc_lo
	s_delay_alu instid0(VALU_DEP_2) | instskip(SKIP_1) | instid1(VALU_DEP_2)
	;; [unrolled: 4-line block ×3, first 2 shown]
	v_add_co_u32 v15, vcc_lo, v13, v30
	s_wait_alu 0xfffd
	v_add_co_ci_u32_e64 v16, null, 0, v14, vcc_lo
	s_branch .LBB1946_108
.LBB1946_83:
	s_wait_dscnt 0x0
	v_dual_mov_b32 v10, 0 :: v_dual_mov_b32 v11, v19
	v_mov_b32_dpp v12, v19 row_shr:1 row_mask:0xf bank_mask:0xf
	s_delay_alu instid0(VALU_DEP_2)
	v_mov_b32_dpp v9, v10 row_shr:1 row_mask:0xf bank_mask:0xf
	s_and_saveexec_b32 s1, s0
; %bb.84:
	s_delay_alu instid0(VALU_DEP_2) | instskip(NEXT) | instid1(VALU_DEP_1)
	v_add_co_u32 v11, vcc_lo, v19, v12
	v_add_co_ci_u32_e64 v10, null, 0, v20, vcc_lo
	s_delay_alu instid0(VALU_DEP_2) | instskip(SKIP_1) | instid1(VALU_DEP_2)
	v_add_co_u32 v19, vcc_lo, 0, v11
	s_wait_alu 0xfffd
	v_add_co_ci_u32_e64 v20, null, v9, v10, vcc_lo
	s_delay_alu instid0(VALU_DEP_1)
	v_mov_b32_e32 v10, v20
; %bb.85:
	s_wait_alu 0xfffe
	s_or_b32 exec_lo, exec_lo, s1
	v_mov_b32_dpp v9, v11 row_shr:2 row_mask:0xf bank_mask:0xf
	s_delay_alu instid0(VALU_DEP_2)
	v_mov_b32_dpp v12, v10 row_shr:2 row_mask:0xf bank_mask:0xf
	s_mov_b32 s0, exec_lo
	v_cmpx_lt_u32_e32 1, v34
; %bb.86:
	s_delay_alu instid0(VALU_DEP_3) | instskip(SKIP_2) | instid1(VALU_DEP_2)
	v_add_co_u32 v11, vcc_lo, v19, v9
	s_wait_alu 0xfffd
	v_add_co_ci_u32_e64 v10, null, 0, v20, vcc_lo
	v_add_co_u32 v9, vcc_lo, 0, v11
	s_wait_alu 0xfffd
	s_delay_alu instid0(VALU_DEP_2) | instskip(NEXT) | instid1(VALU_DEP_1)
	v_add_co_ci_u32_e64 v10, null, v12, v10, vcc_lo
	v_dual_mov_b32 v20, v10 :: v_dual_mov_b32 v19, v9
; %bb.87:
	s_wait_alu 0xfffe
	s_or_b32 exec_lo, exec_lo, s0
	v_mov_b32_dpp v9, v11 row_shr:4 row_mask:0xf bank_mask:0xf
	v_mov_b32_dpp v12, v10 row_shr:4 row_mask:0xf bank_mask:0xf
	s_mov_b32 s0, exec_lo
	v_cmpx_lt_u32_e32 3, v34
; %bb.88:
	s_delay_alu instid0(VALU_DEP_3) | instskip(SKIP_2) | instid1(VALU_DEP_2)
	v_add_co_u32 v11, vcc_lo, v19, v9
	s_wait_alu 0xfffd
	v_add_co_ci_u32_e64 v10, null, 0, v20, vcc_lo
	v_add_co_u32 v9, vcc_lo, 0, v11
	s_wait_alu 0xfffd
	s_delay_alu instid0(VALU_DEP_2) | instskip(NEXT) | instid1(VALU_DEP_1)
	v_add_co_ci_u32_e64 v10, null, v12, v10, vcc_lo
	v_dual_mov_b32 v20, v10 :: v_dual_mov_b32 v19, v9
; %bb.89:
	s_wait_alu 0xfffe
	s_or_b32 exec_lo, exec_lo, s0
	v_mov_b32_dpp v12, v11 row_shr:8 row_mask:0xf bank_mask:0xf
	v_mov_b32_dpp v9, v10 row_shr:8 row_mask:0xf bank_mask:0xf
	s_mov_b32 s0, exec_lo
	v_cmpx_lt_u32_e32 7, v34
; %bb.90:
	s_delay_alu instid0(VALU_DEP_3) | instskip(SKIP_2) | instid1(VALU_DEP_2)
	v_add_co_u32 v11, vcc_lo, v19, v12
	s_wait_alu 0xfffd
	v_add_co_ci_u32_e64 v10, null, 0, v20, vcc_lo
	v_add_co_u32 v19, vcc_lo, 0, v11
	s_wait_alu 0xfffd
	s_delay_alu instid0(VALU_DEP_2) | instskip(NEXT) | instid1(VALU_DEP_1)
	v_add_co_ci_u32_e64 v20, null, v9, v10, vcc_lo
	v_mov_b32_e32 v10, v20
; %bb.91:
	s_wait_alu 0xfffe
	s_or_b32 exec_lo, exec_lo, s0
	ds_swizzle_b32 v11, v11 offset:swizzle(BROADCAST,32,15)
	ds_swizzle_b32 v9, v10 offset:swizzle(BROADCAST,32,15)
	v_and_b32_e32 v10, 16, v33
	s_mov_b32 s0, exec_lo
	s_delay_alu instid0(VALU_DEP_1)
	v_cmpx_ne_u32_e32 0, v10
	s_cbranch_execz .LBB1946_93
; %bb.92:
	s_wait_dscnt 0x1
	v_add_co_u32 v10, vcc_lo, v19, v11
	s_wait_alu 0xfffd
	v_add_co_ci_u32_e64 v11, null, 0, v20, vcc_lo
	s_delay_alu instid0(VALU_DEP_2) | instskip(SKIP_2) | instid1(VALU_DEP_2)
	v_add_co_u32 v19, vcc_lo, v10, 0
	s_wait_dscnt 0x0
	s_wait_alu 0xfffd
	v_add_co_ci_u32_e64 v20, null, v11, v9, vcc_lo
.LBB1946_93:
	s_wait_alu 0xfffe
	s_or_b32 exec_lo, exec_lo, s0
	s_wait_dscnt 0x0
	v_or_b32_e32 v9, 31, v0
	v_lshrrev_b32_e32 v11, 5, v0
	s_mov_b32 s0, exec_lo
	s_delay_alu instid0(VALU_DEP_2)
	v_cmpx_eq_u32_e64 v0, v9
; %bb.94:
	s_delay_alu instid0(VALU_DEP_2)
	v_lshlrev_b32_e32 v9, 3, v11
	ds_store_b64 v9, v[19:20]
; %bb.95:
	s_wait_alu 0xfffe
	s_or_b32 exec_lo, exec_lo, s0
	s_delay_alu instid0(SALU_CYCLE_1)
	s_mov_b32 s0, exec_lo
	s_wait_loadcnt_dscnt 0x0
	s_barrier_signal -1
	s_barrier_wait -1
	global_inv scope:SCOPE_SE
	v_cmpx_gt_u32_e32 8, v0
	s_cbranch_execz .LBB1946_103
; %bb.96:
	v_lshlrev_b32_e32 v12, 3, v0
	s_mov_b32 s1, exec_lo
	ds_load_b64 v[9:10], v12
	s_wait_dscnt 0x0
	v_dual_mov_b32 v14, v9 :: v_dual_and_b32 v13, 7, v33
	v_mov_b32_dpp v16, v9 row_shr:1 row_mask:0xf bank_mask:0xf
	v_mov_b32_dpp v15, v10 row_shr:1 row_mask:0xf bank_mask:0xf
	s_delay_alu instid0(VALU_DEP_3)
	v_cmpx_ne_u32_e32 0, v13
; %bb.97:
	s_delay_alu instid0(VALU_DEP_3) | instskip(SKIP_2) | instid1(VALU_DEP_2)
	v_add_co_u32 v14, vcc_lo, v9, v16
	s_wait_alu 0xfffd
	v_add_co_ci_u32_e64 v10, null, 0, v10, vcc_lo
	v_add_co_u32 v9, vcc_lo, 0, v14
	s_wait_alu 0xfffd
	s_delay_alu instid0(VALU_DEP_2)
	v_add_co_ci_u32_e64 v10, null, v15, v10, vcc_lo
; %bb.98:
	s_wait_alu 0xfffe
	s_or_b32 exec_lo, exec_lo, s1
	v_mov_b32_dpp v16, v14 row_shr:2 row_mask:0xf bank_mask:0xf
	s_delay_alu instid0(VALU_DEP_2)
	v_mov_b32_dpp v15, v10 row_shr:2 row_mask:0xf bank_mask:0xf
	s_mov_b32 s1, exec_lo
	v_cmpx_lt_u32_e32 1, v13
; %bb.99:
	s_delay_alu instid0(VALU_DEP_3) | instskip(SKIP_2) | instid1(VALU_DEP_2)
	v_add_co_u32 v14, vcc_lo, v9, v16
	s_wait_alu 0xfffd
	v_add_co_ci_u32_e64 v10, null, 0, v10, vcc_lo
	v_add_co_u32 v9, vcc_lo, 0, v14
	s_wait_alu 0xfffd
	s_delay_alu instid0(VALU_DEP_2)
	v_add_co_ci_u32_e64 v10, null, v15, v10, vcc_lo
; %bb.100:
	s_wait_alu 0xfffe
	s_or_b32 exec_lo, exec_lo, s1
	v_mov_b32_dpp v15, v14 row_shr:4 row_mask:0xf bank_mask:0xf
	s_delay_alu instid0(VALU_DEP_2)
	v_mov_b32_dpp v14, v10 row_shr:4 row_mask:0xf bank_mask:0xf
	s_mov_b32 s1, exec_lo
	v_cmpx_lt_u32_e32 3, v13
; %bb.101:
	s_delay_alu instid0(VALU_DEP_3) | instskip(SKIP_2) | instid1(VALU_DEP_2)
	v_add_co_u32 v9, vcc_lo, v9, v15
	s_wait_alu 0xfffd
	v_add_co_ci_u32_e64 v10, null, 0, v10, vcc_lo
	v_add_co_u32 v9, vcc_lo, v9, 0
	s_wait_alu 0xfffd
	s_delay_alu instid0(VALU_DEP_2)
	v_add_co_ci_u32_e64 v10, null, v10, v14, vcc_lo
; %bb.102:
	s_wait_alu 0xfffe
	s_or_b32 exec_lo, exec_lo, s1
	ds_store_b64 v12, v[9:10]
.LBB1946_103:
	s_wait_alu 0xfffe
	s_or_b32 exec_lo, exec_lo, s0
	v_mov_b32_e32 v13, 0
	v_mov_b32_e32 v14, 0
	s_mov_b32 s0, exec_lo
	s_wait_loadcnt_dscnt 0x0
	s_barrier_signal -1
	s_barrier_wait -1
	global_inv scope:SCOPE_SE
	v_cmpx_lt_u32_e32 31, v0
; %bb.104:
	v_lshl_add_u32 v9, v11, 3, -8
	ds_load_b64 v[13:14], v9
; %bb.105:
	s_wait_alu 0xfffe
	s_or_b32 exec_lo, exec_lo, s0
	v_sub_co_u32 v9, vcc_lo, v33, 1
	v_mov_b32_e32 v12, 0
	s_delay_alu instid0(VALU_DEP_2) | instskip(SKIP_1) | instid1(VALU_DEP_1)
	v_cmp_gt_i32_e64 s0, 0, v9
	s_wait_alu 0xf1ff
	v_cndmask_b32_e64 v9, v9, v33, s0
	s_wait_dscnt 0x0
	v_add_co_u32 v10, s0, v13, v19
	s_wait_alu 0xf1ff
	v_add_co_ci_u32_e64 v11, null, v14, v20, s0
	v_lshlrev_b32_e32 v9, 2, v9
	ds_bpermute_b32 v15, v9, v10
	ds_bpermute_b32 v16, v9, v11
	ds_load_b64 v[9:10], v12 offset:56
	s_and_saveexec_b32 s0, s2
	s_cbranch_execz .LBB1946_107
; %bb.106:
	s_add_nc_u64 s[6:7], s[16:17], 0x200
	s_wait_alu 0xfffe
	v_dual_mov_b32 v11, 2 :: v_dual_mov_b32 v20, s7
	v_mov_b32_e32 v19, s6
	s_wait_dscnt 0x0
	;;#ASMSTART
	global_store_b128 v[19:20], v[9:12] off scope:SCOPE_DEV	
s_wait_storecnt 0x0
	;;#ASMEND
.LBB1946_107:
	s_wait_alu 0xfffe
	s_or_b32 exec_lo, exec_lo, s0
	s_wait_dscnt 0x1
	s_wait_alu 0xfffd
	v_dual_cndmask_b32 v11, v15, v13 :: v_dual_cndmask_b32 v12, v16, v14
	s_wait_loadcnt_dscnt 0x0
	s_barrier_signal -1
	s_barrier_wait -1
	s_delay_alu instid0(VALU_DEP_1)
	v_cndmask_b32_e64 v23, v11, 0, s2
	v_cndmask_b32_e64 v24, v12, 0, s2
	v_mov_b32_e32 v11, 0
	v_mov_b32_e32 v12, 0
	global_inv scope:SCOPE_SE
	v_add_co_u32 v21, vcc_lo, v23, v32
	s_wait_alu 0xfffd
	v_add_co_ci_u32_e64 v22, null, 0, v24, vcc_lo
	s_delay_alu instid0(VALU_DEP_2) | instskip(SKIP_1) | instid1(VALU_DEP_2)
	v_add_co_u32 v13, vcc_lo, v21, v31
	s_wait_alu 0xfffd
	v_add_co_ci_u32_e64 v14, null, 0, v22, vcc_lo
	s_delay_alu instid0(VALU_DEP_2) | instskip(SKIP_1) | instid1(VALU_DEP_2)
	v_add_co_u32 v15, vcc_lo, v13, v30
	s_wait_alu 0xfffd
	v_add_co_ci_u32_e64 v16, null, 0, v14, vcc_lo
.LBB1946_108:
	v_and_b32_e32 v25, 1, v29
	s_wait_dscnt 0x0
	v_cmp_gt_u64_e32 vcc_lo, 0x101, v[9:10]
	s_mov_b32 s1, -1
	s_delay_alu instid0(VALU_DEP_2)
	v_cmp_eq_u32_e64 s0, 1, v25
	s_cbranch_vccnz .LBB1946_112
; %bb.109:
	s_wait_alu 0xfffe
	s_and_b32 vcc_lo, exec_lo, s1
	s_wait_alu 0xfffe
	s_cbranch_vccnz .LBB1946_121
.LBB1946_110:
	s_and_b32 s0, s2, s9
	s_wait_alu 0xfffe
	s_and_saveexec_b32 s1, s0
	s_cbranch_execnz .LBB1946_133
.LBB1946_111:
	s_endpgm
.LBB1946_112:
	v_add_co_u32 v19, vcc_lo, v11, v9
	s_wait_alu 0xfffd
	v_add_co_ci_u32_e64 v20, null, v12, v10, vcc_lo
	v_lshlrev_b64_e32 v[29:30], 2, v[17:18]
	s_delay_alu instid0(VALU_DEP_2) | instskip(NEXT) | instid1(VALU_DEP_2)
	v_cmp_lt_u64_e32 vcc_lo, v[23:24], v[19:20]
	v_add_co_u32 v26, s1, s10, v29
	s_wait_alu 0xf1fe
	s_delay_alu instid0(VALU_DEP_3)
	v_add_co_ci_u32_e64 v29, null, s11, v30, s1
	s_or_b32 s1, s14, vcc_lo
	s_wait_alu 0xfffe
	s_and_b32 s1, s1, s0
	s_wait_alu 0xfffe
	s_and_saveexec_b32 s0, s1
	s_cbranch_execz .LBB1946_114
; %bb.113:
	v_lshlrev_b64_e32 v[30:31], 2, v[23:24]
	s_delay_alu instid0(VALU_DEP_1) | instskip(SKIP_1) | instid1(VALU_DEP_2)
	v_add_co_u32 v30, vcc_lo, v26, v30
	s_wait_alu 0xfffd
	v_add_co_ci_u32_e64 v31, null, v29, v31, vcc_lo
	global_store_b32 v[30:31], v1, off
.LBB1946_114:
	s_wait_alu 0xfffe
	s_or_b32 exec_lo, exec_lo, s0
	v_and_b32_e32 v24, 1, v28
	v_cmp_lt_u64_e32 vcc_lo, v[21:22], v[19:20]
	s_delay_alu instid0(VALU_DEP_2)
	v_cmp_eq_u32_e64 s0, 1, v24
	s_or_b32 s1, s14, vcc_lo
	s_wait_alu 0xfffe
	s_and_b32 s1, s1, s0
	s_wait_alu 0xfffe
	s_and_saveexec_b32 s0, s1
	s_cbranch_execz .LBB1946_116
; %bb.115:
	v_lshlrev_b64_e32 v[30:31], 2, v[21:22]
	s_delay_alu instid0(VALU_DEP_1) | instskip(SKIP_1) | instid1(VALU_DEP_2)
	v_add_co_u32 v30, vcc_lo, v26, v30
	s_wait_alu 0xfffd
	v_add_co_ci_u32_e64 v31, null, v29, v31, vcc_lo
	global_store_b32 v[30:31], v5, off
.LBB1946_116:
	s_wait_alu 0xfffe
	s_or_b32 exec_lo, exec_lo, s0
	v_and_b32_e32 v22, 1, v27
	v_cmp_lt_u64_e32 vcc_lo, v[13:14], v[19:20]
	s_delay_alu instid0(VALU_DEP_2)
	v_cmp_eq_u32_e64 s0, 1, v22
	s_or_b32 s1, s14, vcc_lo
	s_wait_alu 0xfffe
	s_and_b32 s1, s1, s0
	s_wait_alu 0xfffe
	s_and_saveexec_b32 s0, s1
	s_cbranch_execz .LBB1946_118
; %bb.117:
	v_lshlrev_b64_e32 v[30:31], 2, v[13:14]
	s_delay_alu instid0(VALU_DEP_1) | instskip(SKIP_1) | instid1(VALU_DEP_2)
	v_add_co_u32 v30, vcc_lo, v26, v30
	s_wait_alu 0xfffd
	v_add_co_ci_u32_e64 v31, null, v29, v31, vcc_lo
	global_store_b32 v[30:31], v7, off
.LBB1946_118:
	s_wait_alu 0xfffe
	s_or_b32 exec_lo, exec_lo, s0
	v_cmp_lt_u64_e32 vcc_lo, v[15:16], v[19:20]
	s_or_b32 s0, s14, vcc_lo
	s_wait_alu 0xfffe
	s_and_b32 s1, s0, s5
	s_wait_alu 0xfffe
	s_and_saveexec_b32 s0, s1
	s_cbranch_execz .LBB1946_120
; %bb.119:
	v_lshlrev_b64_e32 v[19:20], 2, v[15:16]
	s_delay_alu instid0(VALU_DEP_1) | instskip(SKIP_1) | instid1(VALU_DEP_2)
	v_add_co_u32 v19, vcc_lo, v26, v19
	s_wait_alu 0xfffd
	v_add_co_ci_u32_e64 v20, null, v29, v20, vcc_lo
	global_store_b32 v[19:20], v3, off
.LBB1946_120:
	s_wait_alu 0xfffe
	s_or_b32 exec_lo, exec_lo, s0
	s_branch .LBB1946_110
.LBB1946_121:
	s_mov_b32 s0, exec_lo
	v_cmpx_eq_u32_e32 1, v25
; %bb.122:
	v_sub_nc_u32_e32 v14, v23, v11
	s_delay_alu instid0(VALU_DEP_1)
	v_lshlrev_b32_e32 v14, 3, v14
	ds_store_b64 v14, v[1:2]
; %bb.123:
	s_wait_alu 0xfffe
	s_or_b32 exec_lo, exec_lo, s0
	v_and_b32_e32 v1, 1, v28
	s_mov_b32 s0, exec_lo
	s_delay_alu instid0(VALU_DEP_1)
	v_cmpx_eq_u32_e32 1, v1
; %bb.124:
	v_sub_nc_u32_e32 v1, v21, v11
	s_delay_alu instid0(VALU_DEP_1)
	v_lshlrev_b32_e32 v1, 3, v1
	ds_store_b64 v1, v[5:6]
; %bb.125:
	s_wait_alu 0xfffe
	s_or_b32 exec_lo, exec_lo, s0
	v_and_b32_e32 v1, 1, v27
	s_mov_b32 s0, exec_lo
	s_delay_alu instid0(VALU_DEP_1)
	v_cmpx_eq_u32_e32 1, v1
; %bb.126:
	v_sub_nc_u32_e32 v1, v13, v11
	s_delay_alu instid0(VALU_DEP_1)
	v_lshlrev_b32_e32 v1, 3, v1
	ds_store_b64 v1, v[7:8]
; %bb.127:
	s_wait_alu 0xfffe
	s_or_b32 exec_lo, exec_lo, s0
	s_and_saveexec_b32 s0, s5
; %bb.128:
	v_sub_nc_u32_e32 v1, v15, v11
	s_delay_alu instid0(VALU_DEP_1)
	v_lshlrev_b32_e32 v1, 3, v1
	ds_store_b64 v1, v[3:4]
; %bb.129:
	s_wait_alu 0xfffe
	s_or_b32 exec_lo, exec_lo, s0
	v_mov_b32_e32 v1, 0
	s_mov_b32 s1, exec_lo
	s_wait_storecnt 0x0
	s_wait_loadcnt_dscnt 0x0
	s_barrier_signal -1
	s_barrier_wait -1
	global_inv scope:SCOPE_SE
	v_cmpx_gt_u64_e64 v[9:10], v[0:1]
	s_cbranch_execz .LBB1946_132
; %bb.130:
	v_lshlrev_b64_e32 v[2:3], 2, v[17:18]
	v_lshlrev_b64_e32 v[4:5], 2, v[11:12]
	s_mov_b32 s3, 0
	s_delay_alu instid0(VALU_DEP_2) | instskip(SKIP_1) | instid1(VALU_DEP_3)
	v_add_co_u32 v6, vcc_lo, s10, v2
	s_wait_alu 0xfffd
	v_add_co_ci_u32_e64 v7, null, s11, v3, vcc_lo
	v_dual_mov_b32 v3, v1 :: v_dual_mov_b32 v2, v0
	s_delay_alu instid0(VALU_DEP_3) | instskip(SKIP_1) | instid1(VALU_DEP_3)
	v_add_co_u32 v4, vcc_lo, v6, v4
	s_wait_alu 0xfffd
	v_add_co_ci_u32_e64 v5, null, v7, v5, vcc_lo
	v_or_b32_e32 v0, 0x100, v0
.LBB1946_131:                           ; =>This Inner Loop Header: Depth=1
	v_lshlrev_b32_e32 v6, 3, v2
	s_delay_alu instid0(VALU_DEP_2)
	v_cmp_le_u64_e32 vcc_lo, v[9:10], v[0:1]
	ds_load_b32 v8, v6
	v_lshlrev_b64_e32 v[6:7], 2, v[2:3]
	v_dual_mov_b32 v3, v1 :: v_dual_mov_b32 v2, v0
	v_add_nc_u32_e32 v0, 0x100, v0
	s_wait_alu 0xfffe
	s_or_b32 s3, vcc_lo, s3
	s_delay_alu instid0(VALU_DEP_3)
	v_add_co_u32 v6, s0, v4, v6
	s_wait_alu 0xf1ff
	v_add_co_ci_u32_e64 v7, null, v5, v7, s0
	s_wait_dscnt 0x0
	global_store_b32 v[6:7], v8, off
	s_wait_alu 0xfffe
	s_and_not1_b32 exec_lo, exec_lo, s3
	s_cbranch_execnz .LBB1946_131
.LBB1946_132:
	s_wait_alu 0xfffe
	s_or_b32 exec_lo, exec_lo, s1
	s_and_b32 s0, s2, s9
	s_wait_alu 0xfffe
	s_and_saveexec_b32 s1, s0
	s_cbranch_execz .LBB1946_111
.LBB1946_133:
	v_add_co_u32 v0, vcc_lo, v11, v9
	s_wait_alu 0xfffd
	v_add_co_ci_u32_e64 v1, null, v12, v10, vcc_lo
	v_mov_b32_e32 v2, 0
	s_delay_alu instid0(VALU_DEP_3) | instskip(SKIP_1) | instid1(VALU_DEP_3)
	v_add_co_u32 v0, vcc_lo, v0, v17
	s_wait_alu 0xfffd
	v_add_co_ci_u32_e64 v1, null, v1, v18, vcc_lo
	global_store_b64 v2, v[0:1], s[12:13]
	s_endpgm
	.section	.rodata,"a",@progbits
	.p2align	6, 0x0
	.amdhsa_kernel _ZN7rocprim17ROCPRIM_400000_NS6detail17trampoline_kernelINS0_14default_configENS1_25partition_config_selectorILNS1_17partition_subalgoE6EN6thrust23THRUST_200600_302600_NS5tupleIjjNS7_9null_typeES9_S9_S9_S9_S9_S9_S9_EENS0_10empty_typeEbEEZZNS1_14partition_implILS5_6ELb0ES3_mNS7_12zip_iteratorINS8_INS7_6detail15normal_iteratorINS7_10device_ptrIjEEEESJ_S9_S9_S9_S9_S9_S9_S9_S9_EEEEPSB_SM_NS0_5tupleIJNSE_INS8_ISJ_NS7_16discard_iteratorINS7_11use_defaultEEES9_S9_S9_S9_S9_S9_S9_S9_EEEESB_EEENSN_IJSM_SM_EEESB_PlJNSF_9not_fun_tINSF_14equal_to_valueISA_EEEEEEE10hipError_tPvRmT3_T4_T5_T6_T7_T9_mT8_P12ihipStream_tbDpT10_ENKUlT_T0_E_clISt17integral_constantIbLb0EES1I_IbLb1EEEEDaS1E_S1F_EUlS1E_E_NS1_11comp_targetILNS1_3genE10ELNS1_11target_archE1200ELNS1_3gpuE4ELNS1_3repE0EEENS1_30default_config_static_selectorELNS0_4arch9wavefront6targetE0EEEvT1_
		.amdhsa_group_segment_fixed_size 8464
		.amdhsa_private_segment_fixed_size 0
		.amdhsa_kernarg_size 152
		.amdhsa_user_sgpr_count 2
		.amdhsa_user_sgpr_dispatch_ptr 0
		.amdhsa_user_sgpr_queue_ptr 0
		.amdhsa_user_sgpr_kernarg_segment_ptr 1
		.amdhsa_user_sgpr_dispatch_id 0
		.amdhsa_user_sgpr_private_segment_size 0
		.amdhsa_wavefront_size32 1
		.amdhsa_uses_dynamic_stack 0
		.amdhsa_enable_private_segment 0
		.amdhsa_system_sgpr_workgroup_id_x 1
		.amdhsa_system_sgpr_workgroup_id_y 0
		.amdhsa_system_sgpr_workgroup_id_z 0
		.amdhsa_system_sgpr_workgroup_info 0
		.amdhsa_system_vgpr_workitem_id 0
		.amdhsa_next_free_vgpr 48
		.amdhsa_next_free_sgpr 26
		.amdhsa_reserve_vcc 1
		.amdhsa_float_round_mode_32 0
		.amdhsa_float_round_mode_16_64 0
		.amdhsa_float_denorm_mode_32 3
		.amdhsa_float_denorm_mode_16_64 3
		.amdhsa_fp16_overflow 0
		.amdhsa_workgroup_processor_mode 1
		.amdhsa_memory_ordered 1
		.amdhsa_forward_progress 1
		.amdhsa_inst_pref_size 52
		.amdhsa_round_robin_scheduling 0
		.amdhsa_exception_fp_ieee_invalid_op 0
		.amdhsa_exception_fp_denorm_src 0
		.amdhsa_exception_fp_ieee_div_zero 0
		.amdhsa_exception_fp_ieee_overflow 0
		.amdhsa_exception_fp_ieee_underflow 0
		.amdhsa_exception_fp_ieee_inexact 0
		.amdhsa_exception_int_div_zero 0
	.end_amdhsa_kernel
	.section	.text._ZN7rocprim17ROCPRIM_400000_NS6detail17trampoline_kernelINS0_14default_configENS1_25partition_config_selectorILNS1_17partition_subalgoE6EN6thrust23THRUST_200600_302600_NS5tupleIjjNS7_9null_typeES9_S9_S9_S9_S9_S9_S9_EENS0_10empty_typeEbEEZZNS1_14partition_implILS5_6ELb0ES3_mNS7_12zip_iteratorINS8_INS7_6detail15normal_iteratorINS7_10device_ptrIjEEEESJ_S9_S9_S9_S9_S9_S9_S9_S9_EEEEPSB_SM_NS0_5tupleIJNSE_INS8_ISJ_NS7_16discard_iteratorINS7_11use_defaultEEES9_S9_S9_S9_S9_S9_S9_S9_EEEESB_EEENSN_IJSM_SM_EEESB_PlJNSF_9not_fun_tINSF_14equal_to_valueISA_EEEEEEE10hipError_tPvRmT3_T4_T5_T6_T7_T9_mT8_P12ihipStream_tbDpT10_ENKUlT_T0_E_clISt17integral_constantIbLb0EES1I_IbLb1EEEEDaS1E_S1F_EUlS1E_E_NS1_11comp_targetILNS1_3genE10ELNS1_11target_archE1200ELNS1_3gpuE4ELNS1_3repE0EEENS1_30default_config_static_selectorELNS0_4arch9wavefront6targetE0EEEvT1_,"axG",@progbits,_ZN7rocprim17ROCPRIM_400000_NS6detail17trampoline_kernelINS0_14default_configENS1_25partition_config_selectorILNS1_17partition_subalgoE6EN6thrust23THRUST_200600_302600_NS5tupleIjjNS7_9null_typeES9_S9_S9_S9_S9_S9_S9_EENS0_10empty_typeEbEEZZNS1_14partition_implILS5_6ELb0ES3_mNS7_12zip_iteratorINS8_INS7_6detail15normal_iteratorINS7_10device_ptrIjEEEESJ_S9_S9_S9_S9_S9_S9_S9_S9_EEEEPSB_SM_NS0_5tupleIJNSE_INS8_ISJ_NS7_16discard_iteratorINS7_11use_defaultEEES9_S9_S9_S9_S9_S9_S9_S9_EEEESB_EEENSN_IJSM_SM_EEESB_PlJNSF_9not_fun_tINSF_14equal_to_valueISA_EEEEEEE10hipError_tPvRmT3_T4_T5_T6_T7_T9_mT8_P12ihipStream_tbDpT10_ENKUlT_T0_E_clISt17integral_constantIbLb0EES1I_IbLb1EEEEDaS1E_S1F_EUlS1E_E_NS1_11comp_targetILNS1_3genE10ELNS1_11target_archE1200ELNS1_3gpuE4ELNS1_3repE0EEENS1_30default_config_static_selectorELNS0_4arch9wavefront6targetE0EEEvT1_,comdat
.Lfunc_end1946:
	.size	_ZN7rocprim17ROCPRIM_400000_NS6detail17trampoline_kernelINS0_14default_configENS1_25partition_config_selectorILNS1_17partition_subalgoE6EN6thrust23THRUST_200600_302600_NS5tupleIjjNS7_9null_typeES9_S9_S9_S9_S9_S9_S9_EENS0_10empty_typeEbEEZZNS1_14partition_implILS5_6ELb0ES3_mNS7_12zip_iteratorINS8_INS7_6detail15normal_iteratorINS7_10device_ptrIjEEEESJ_S9_S9_S9_S9_S9_S9_S9_S9_EEEEPSB_SM_NS0_5tupleIJNSE_INS8_ISJ_NS7_16discard_iteratorINS7_11use_defaultEEES9_S9_S9_S9_S9_S9_S9_S9_EEEESB_EEENSN_IJSM_SM_EEESB_PlJNSF_9not_fun_tINSF_14equal_to_valueISA_EEEEEEE10hipError_tPvRmT3_T4_T5_T6_T7_T9_mT8_P12ihipStream_tbDpT10_ENKUlT_T0_E_clISt17integral_constantIbLb0EES1I_IbLb1EEEEDaS1E_S1F_EUlS1E_E_NS1_11comp_targetILNS1_3genE10ELNS1_11target_archE1200ELNS1_3gpuE4ELNS1_3repE0EEENS1_30default_config_static_selectorELNS0_4arch9wavefront6targetE0EEEvT1_, .Lfunc_end1946-_ZN7rocprim17ROCPRIM_400000_NS6detail17trampoline_kernelINS0_14default_configENS1_25partition_config_selectorILNS1_17partition_subalgoE6EN6thrust23THRUST_200600_302600_NS5tupleIjjNS7_9null_typeES9_S9_S9_S9_S9_S9_S9_EENS0_10empty_typeEbEEZZNS1_14partition_implILS5_6ELb0ES3_mNS7_12zip_iteratorINS8_INS7_6detail15normal_iteratorINS7_10device_ptrIjEEEESJ_S9_S9_S9_S9_S9_S9_S9_S9_EEEEPSB_SM_NS0_5tupleIJNSE_INS8_ISJ_NS7_16discard_iteratorINS7_11use_defaultEEES9_S9_S9_S9_S9_S9_S9_S9_EEEESB_EEENSN_IJSM_SM_EEESB_PlJNSF_9not_fun_tINSF_14equal_to_valueISA_EEEEEEE10hipError_tPvRmT3_T4_T5_T6_T7_T9_mT8_P12ihipStream_tbDpT10_ENKUlT_T0_E_clISt17integral_constantIbLb0EES1I_IbLb1EEEEDaS1E_S1F_EUlS1E_E_NS1_11comp_targetILNS1_3genE10ELNS1_11target_archE1200ELNS1_3gpuE4ELNS1_3repE0EEENS1_30default_config_static_selectorELNS0_4arch9wavefront6targetE0EEEvT1_
                                        ; -- End function
	.set _ZN7rocprim17ROCPRIM_400000_NS6detail17trampoline_kernelINS0_14default_configENS1_25partition_config_selectorILNS1_17partition_subalgoE6EN6thrust23THRUST_200600_302600_NS5tupleIjjNS7_9null_typeES9_S9_S9_S9_S9_S9_S9_EENS0_10empty_typeEbEEZZNS1_14partition_implILS5_6ELb0ES3_mNS7_12zip_iteratorINS8_INS7_6detail15normal_iteratorINS7_10device_ptrIjEEEESJ_S9_S9_S9_S9_S9_S9_S9_S9_EEEEPSB_SM_NS0_5tupleIJNSE_INS8_ISJ_NS7_16discard_iteratorINS7_11use_defaultEEES9_S9_S9_S9_S9_S9_S9_S9_EEEESB_EEENSN_IJSM_SM_EEESB_PlJNSF_9not_fun_tINSF_14equal_to_valueISA_EEEEEEE10hipError_tPvRmT3_T4_T5_T6_T7_T9_mT8_P12ihipStream_tbDpT10_ENKUlT_T0_E_clISt17integral_constantIbLb0EES1I_IbLb1EEEEDaS1E_S1F_EUlS1E_E_NS1_11comp_targetILNS1_3genE10ELNS1_11target_archE1200ELNS1_3gpuE4ELNS1_3repE0EEENS1_30default_config_static_selectorELNS0_4arch9wavefront6targetE0EEEvT1_.num_vgpr, 48
	.set _ZN7rocprim17ROCPRIM_400000_NS6detail17trampoline_kernelINS0_14default_configENS1_25partition_config_selectorILNS1_17partition_subalgoE6EN6thrust23THRUST_200600_302600_NS5tupleIjjNS7_9null_typeES9_S9_S9_S9_S9_S9_S9_EENS0_10empty_typeEbEEZZNS1_14partition_implILS5_6ELb0ES3_mNS7_12zip_iteratorINS8_INS7_6detail15normal_iteratorINS7_10device_ptrIjEEEESJ_S9_S9_S9_S9_S9_S9_S9_S9_EEEEPSB_SM_NS0_5tupleIJNSE_INS8_ISJ_NS7_16discard_iteratorINS7_11use_defaultEEES9_S9_S9_S9_S9_S9_S9_S9_EEEESB_EEENSN_IJSM_SM_EEESB_PlJNSF_9not_fun_tINSF_14equal_to_valueISA_EEEEEEE10hipError_tPvRmT3_T4_T5_T6_T7_T9_mT8_P12ihipStream_tbDpT10_ENKUlT_T0_E_clISt17integral_constantIbLb0EES1I_IbLb1EEEEDaS1E_S1F_EUlS1E_E_NS1_11comp_targetILNS1_3genE10ELNS1_11target_archE1200ELNS1_3gpuE4ELNS1_3repE0EEENS1_30default_config_static_selectorELNS0_4arch9wavefront6targetE0EEEvT1_.num_agpr, 0
	.set _ZN7rocprim17ROCPRIM_400000_NS6detail17trampoline_kernelINS0_14default_configENS1_25partition_config_selectorILNS1_17partition_subalgoE6EN6thrust23THRUST_200600_302600_NS5tupleIjjNS7_9null_typeES9_S9_S9_S9_S9_S9_S9_EENS0_10empty_typeEbEEZZNS1_14partition_implILS5_6ELb0ES3_mNS7_12zip_iteratorINS8_INS7_6detail15normal_iteratorINS7_10device_ptrIjEEEESJ_S9_S9_S9_S9_S9_S9_S9_S9_EEEEPSB_SM_NS0_5tupleIJNSE_INS8_ISJ_NS7_16discard_iteratorINS7_11use_defaultEEES9_S9_S9_S9_S9_S9_S9_S9_EEEESB_EEENSN_IJSM_SM_EEESB_PlJNSF_9not_fun_tINSF_14equal_to_valueISA_EEEEEEE10hipError_tPvRmT3_T4_T5_T6_T7_T9_mT8_P12ihipStream_tbDpT10_ENKUlT_T0_E_clISt17integral_constantIbLb0EES1I_IbLb1EEEEDaS1E_S1F_EUlS1E_E_NS1_11comp_targetILNS1_3genE10ELNS1_11target_archE1200ELNS1_3gpuE4ELNS1_3repE0EEENS1_30default_config_static_selectorELNS0_4arch9wavefront6targetE0EEEvT1_.numbered_sgpr, 26
	.set _ZN7rocprim17ROCPRIM_400000_NS6detail17trampoline_kernelINS0_14default_configENS1_25partition_config_selectorILNS1_17partition_subalgoE6EN6thrust23THRUST_200600_302600_NS5tupleIjjNS7_9null_typeES9_S9_S9_S9_S9_S9_S9_EENS0_10empty_typeEbEEZZNS1_14partition_implILS5_6ELb0ES3_mNS7_12zip_iteratorINS8_INS7_6detail15normal_iteratorINS7_10device_ptrIjEEEESJ_S9_S9_S9_S9_S9_S9_S9_S9_EEEEPSB_SM_NS0_5tupleIJNSE_INS8_ISJ_NS7_16discard_iteratorINS7_11use_defaultEEES9_S9_S9_S9_S9_S9_S9_S9_EEEESB_EEENSN_IJSM_SM_EEESB_PlJNSF_9not_fun_tINSF_14equal_to_valueISA_EEEEEEE10hipError_tPvRmT3_T4_T5_T6_T7_T9_mT8_P12ihipStream_tbDpT10_ENKUlT_T0_E_clISt17integral_constantIbLb0EES1I_IbLb1EEEEDaS1E_S1F_EUlS1E_E_NS1_11comp_targetILNS1_3genE10ELNS1_11target_archE1200ELNS1_3gpuE4ELNS1_3repE0EEENS1_30default_config_static_selectorELNS0_4arch9wavefront6targetE0EEEvT1_.num_named_barrier, 0
	.set _ZN7rocprim17ROCPRIM_400000_NS6detail17trampoline_kernelINS0_14default_configENS1_25partition_config_selectorILNS1_17partition_subalgoE6EN6thrust23THRUST_200600_302600_NS5tupleIjjNS7_9null_typeES9_S9_S9_S9_S9_S9_S9_EENS0_10empty_typeEbEEZZNS1_14partition_implILS5_6ELb0ES3_mNS7_12zip_iteratorINS8_INS7_6detail15normal_iteratorINS7_10device_ptrIjEEEESJ_S9_S9_S9_S9_S9_S9_S9_S9_EEEEPSB_SM_NS0_5tupleIJNSE_INS8_ISJ_NS7_16discard_iteratorINS7_11use_defaultEEES9_S9_S9_S9_S9_S9_S9_S9_EEEESB_EEENSN_IJSM_SM_EEESB_PlJNSF_9not_fun_tINSF_14equal_to_valueISA_EEEEEEE10hipError_tPvRmT3_T4_T5_T6_T7_T9_mT8_P12ihipStream_tbDpT10_ENKUlT_T0_E_clISt17integral_constantIbLb0EES1I_IbLb1EEEEDaS1E_S1F_EUlS1E_E_NS1_11comp_targetILNS1_3genE10ELNS1_11target_archE1200ELNS1_3gpuE4ELNS1_3repE0EEENS1_30default_config_static_selectorELNS0_4arch9wavefront6targetE0EEEvT1_.private_seg_size, 0
	.set _ZN7rocprim17ROCPRIM_400000_NS6detail17trampoline_kernelINS0_14default_configENS1_25partition_config_selectorILNS1_17partition_subalgoE6EN6thrust23THRUST_200600_302600_NS5tupleIjjNS7_9null_typeES9_S9_S9_S9_S9_S9_S9_EENS0_10empty_typeEbEEZZNS1_14partition_implILS5_6ELb0ES3_mNS7_12zip_iteratorINS8_INS7_6detail15normal_iteratorINS7_10device_ptrIjEEEESJ_S9_S9_S9_S9_S9_S9_S9_S9_EEEEPSB_SM_NS0_5tupleIJNSE_INS8_ISJ_NS7_16discard_iteratorINS7_11use_defaultEEES9_S9_S9_S9_S9_S9_S9_S9_EEEESB_EEENSN_IJSM_SM_EEESB_PlJNSF_9not_fun_tINSF_14equal_to_valueISA_EEEEEEE10hipError_tPvRmT3_T4_T5_T6_T7_T9_mT8_P12ihipStream_tbDpT10_ENKUlT_T0_E_clISt17integral_constantIbLb0EES1I_IbLb1EEEEDaS1E_S1F_EUlS1E_E_NS1_11comp_targetILNS1_3genE10ELNS1_11target_archE1200ELNS1_3gpuE4ELNS1_3repE0EEENS1_30default_config_static_selectorELNS0_4arch9wavefront6targetE0EEEvT1_.uses_vcc, 1
	.set _ZN7rocprim17ROCPRIM_400000_NS6detail17trampoline_kernelINS0_14default_configENS1_25partition_config_selectorILNS1_17partition_subalgoE6EN6thrust23THRUST_200600_302600_NS5tupleIjjNS7_9null_typeES9_S9_S9_S9_S9_S9_S9_EENS0_10empty_typeEbEEZZNS1_14partition_implILS5_6ELb0ES3_mNS7_12zip_iteratorINS8_INS7_6detail15normal_iteratorINS7_10device_ptrIjEEEESJ_S9_S9_S9_S9_S9_S9_S9_S9_EEEEPSB_SM_NS0_5tupleIJNSE_INS8_ISJ_NS7_16discard_iteratorINS7_11use_defaultEEES9_S9_S9_S9_S9_S9_S9_S9_EEEESB_EEENSN_IJSM_SM_EEESB_PlJNSF_9not_fun_tINSF_14equal_to_valueISA_EEEEEEE10hipError_tPvRmT3_T4_T5_T6_T7_T9_mT8_P12ihipStream_tbDpT10_ENKUlT_T0_E_clISt17integral_constantIbLb0EES1I_IbLb1EEEEDaS1E_S1F_EUlS1E_E_NS1_11comp_targetILNS1_3genE10ELNS1_11target_archE1200ELNS1_3gpuE4ELNS1_3repE0EEENS1_30default_config_static_selectorELNS0_4arch9wavefront6targetE0EEEvT1_.uses_flat_scratch, 0
	.set _ZN7rocprim17ROCPRIM_400000_NS6detail17trampoline_kernelINS0_14default_configENS1_25partition_config_selectorILNS1_17partition_subalgoE6EN6thrust23THRUST_200600_302600_NS5tupleIjjNS7_9null_typeES9_S9_S9_S9_S9_S9_S9_EENS0_10empty_typeEbEEZZNS1_14partition_implILS5_6ELb0ES3_mNS7_12zip_iteratorINS8_INS7_6detail15normal_iteratorINS7_10device_ptrIjEEEESJ_S9_S9_S9_S9_S9_S9_S9_S9_EEEEPSB_SM_NS0_5tupleIJNSE_INS8_ISJ_NS7_16discard_iteratorINS7_11use_defaultEEES9_S9_S9_S9_S9_S9_S9_S9_EEEESB_EEENSN_IJSM_SM_EEESB_PlJNSF_9not_fun_tINSF_14equal_to_valueISA_EEEEEEE10hipError_tPvRmT3_T4_T5_T6_T7_T9_mT8_P12ihipStream_tbDpT10_ENKUlT_T0_E_clISt17integral_constantIbLb0EES1I_IbLb1EEEEDaS1E_S1F_EUlS1E_E_NS1_11comp_targetILNS1_3genE10ELNS1_11target_archE1200ELNS1_3gpuE4ELNS1_3repE0EEENS1_30default_config_static_selectorELNS0_4arch9wavefront6targetE0EEEvT1_.has_dyn_sized_stack, 0
	.set _ZN7rocprim17ROCPRIM_400000_NS6detail17trampoline_kernelINS0_14default_configENS1_25partition_config_selectorILNS1_17partition_subalgoE6EN6thrust23THRUST_200600_302600_NS5tupleIjjNS7_9null_typeES9_S9_S9_S9_S9_S9_S9_EENS0_10empty_typeEbEEZZNS1_14partition_implILS5_6ELb0ES3_mNS7_12zip_iteratorINS8_INS7_6detail15normal_iteratorINS7_10device_ptrIjEEEESJ_S9_S9_S9_S9_S9_S9_S9_S9_EEEEPSB_SM_NS0_5tupleIJNSE_INS8_ISJ_NS7_16discard_iteratorINS7_11use_defaultEEES9_S9_S9_S9_S9_S9_S9_S9_EEEESB_EEENSN_IJSM_SM_EEESB_PlJNSF_9not_fun_tINSF_14equal_to_valueISA_EEEEEEE10hipError_tPvRmT3_T4_T5_T6_T7_T9_mT8_P12ihipStream_tbDpT10_ENKUlT_T0_E_clISt17integral_constantIbLb0EES1I_IbLb1EEEEDaS1E_S1F_EUlS1E_E_NS1_11comp_targetILNS1_3genE10ELNS1_11target_archE1200ELNS1_3gpuE4ELNS1_3repE0EEENS1_30default_config_static_selectorELNS0_4arch9wavefront6targetE0EEEvT1_.has_recursion, 0
	.set _ZN7rocprim17ROCPRIM_400000_NS6detail17trampoline_kernelINS0_14default_configENS1_25partition_config_selectorILNS1_17partition_subalgoE6EN6thrust23THRUST_200600_302600_NS5tupleIjjNS7_9null_typeES9_S9_S9_S9_S9_S9_S9_EENS0_10empty_typeEbEEZZNS1_14partition_implILS5_6ELb0ES3_mNS7_12zip_iteratorINS8_INS7_6detail15normal_iteratorINS7_10device_ptrIjEEEESJ_S9_S9_S9_S9_S9_S9_S9_S9_EEEEPSB_SM_NS0_5tupleIJNSE_INS8_ISJ_NS7_16discard_iteratorINS7_11use_defaultEEES9_S9_S9_S9_S9_S9_S9_S9_EEEESB_EEENSN_IJSM_SM_EEESB_PlJNSF_9not_fun_tINSF_14equal_to_valueISA_EEEEEEE10hipError_tPvRmT3_T4_T5_T6_T7_T9_mT8_P12ihipStream_tbDpT10_ENKUlT_T0_E_clISt17integral_constantIbLb0EES1I_IbLb1EEEEDaS1E_S1F_EUlS1E_E_NS1_11comp_targetILNS1_3genE10ELNS1_11target_archE1200ELNS1_3gpuE4ELNS1_3repE0EEENS1_30default_config_static_selectorELNS0_4arch9wavefront6targetE0EEEvT1_.has_indirect_call, 0
	.section	.AMDGPU.csdata,"",@progbits
; Kernel info:
; codeLenInByte = 6544
; TotalNumSgprs: 28
; NumVgprs: 48
; ScratchSize: 0
; MemoryBound: 0
; FloatMode: 240
; IeeeMode: 1
; LDSByteSize: 8464 bytes/workgroup (compile time only)
; SGPRBlocks: 0
; VGPRBlocks: 5
; NumSGPRsForWavesPerEU: 28
; NumVGPRsForWavesPerEU: 48
; Occupancy: 16
; WaveLimiterHint : 1
; COMPUTE_PGM_RSRC2:SCRATCH_EN: 0
; COMPUTE_PGM_RSRC2:USER_SGPR: 2
; COMPUTE_PGM_RSRC2:TRAP_HANDLER: 0
; COMPUTE_PGM_RSRC2:TGID_X_EN: 1
; COMPUTE_PGM_RSRC2:TGID_Y_EN: 0
; COMPUTE_PGM_RSRC2:TGID_Z_EN: 0
; COMPUTE_PGM_RSRC2:TIDIG_COMP_CNT: 0
	.section	.text._ZN7rocprim17ROCPRIM_400000_NS6detail17trampoline_kernelINS0_14default_configENS1_25partition_config_selectorILNS1_17partition_subalgoE6EN6thrust23THRUST_200600_302600_NS5tupleIjjNS7_9null_typeES9_S9_S9_S9_S9_S9_S9_EENS0_10empty_typeEbEEZZNS1_14partition_implILS5_6ELb0ES3_mNS7_12zip_iteratorINS8_INS7_6detail15normal_iteratorINS7_10device_ptrIjEEEESJ_S9_S9_S9_S9_S9_S9_S9_S9_EEEEPSB_SM_NS0_5tupleIJNSE_INS8_ISJ_NS7_16discard_iteratorINS7_11use_defaultEEES9_S9_S9_S9_S9_S9_S9_S9_EEEESB_EEENSN_IJSM_SM_EEESB_PlJNSF_9not_fun_tINSF_14equal_to_valueISA_EEEEEEE10hipError_tPvRmT3_T4_T5_T6_T7_T9_mT8_P12ihipStream_tbDpT10_ENKUlT_T0_E_clISt17integral_constantIbLb0EES1I_IbLb1EEEEDaS1E_S1F_EUlS1E_E_NS1_11comp_targetILNS1_3genE9ELNS1_11target_archE1100ELNS1_3gpuE3ELNS1_3repE0EEENS1_30default_config_static_selectorELNS0_4arch9wavefront6targetE0EEEvT1_,"axG",@progbits,_ZN7rocprim17ROCPRIM_400000_NS6detail17trampoline_kernelINS0_14default_configENS1_25partition_config_selectorILNS1_17partition_subalgoE6EN6thrust23THRUST_200600_302600_NS5tupleIjjNS7_9null_typeES9_S9_S9_S9_S9_S9_S9_EENS0_10empty_typeEbEEZZNS1_14partition_implILS5_6ELb0ES3_mNS7_12zip_iteratorINS8_INS7_6detail15normal_iteratorINS7_10device_ptrIjEEEESJ_S9_S9_S9_S9_S9_S9_S9_S9_EEEEPSB_SM_NS0_5tupleIJNSE_INS8_ISJ_NS7_16discard_iteratorINS7_11use_defaultEEES9_S9_S9_S9_S9_S9_S9_S9_EEEESB_EEENSN_IJSM_SM_EEESB_PlJNSF_9not_fun_tINSF_14equal_to_valueISA_EEEEEEE10hipError_tPvRmT3_T4_T5_T6_T7_T9_mT8_P12ihipStream_tbDpT10_ENKUlT_T0_E_clISt17integral_constantIbLb0EES1I_IbLb1EEEEDaS1E_S1F_EUlS1E_E_NS1_11comp_targetILNS1_3genE9ELNS1_11target_archE1100ELNS1_3gpuE3ELNS1_3repE0EEENS1_30default_config_static_selectorELNS0_4arch9wavefront6targetE0EEEvT1_,comdat
	.protected	_ZN7rocprim17ROCPRIM_400000_NS6detail17trampoline_kernelINS0_14default_configENS1_25partition_config_selectorILNS1_17partition_subalgoE6EN6thrust23THRUST_200600_302600_NS5tupleIjjNS7_9null_typeES9_S9_S9_S9_S9_S9_S9_EENS0_10empty_typeEbEEZZNS1_14partition_implILS5_6ELb0ES3_mNS7_12zip_iteratorINS8_INS7_6detail15normal_iteratorINS7_10device_ptrIjEEEESJ_S9_S9_S9_S9_S9_S9_S9_S9_EEEEPSB_SM_NS0_5tupleIJNSE_INS8_ISJ_NS7_16discard_iteratorINS7_11use_defaultEEES9_S9_S9_S9_S9_S9_S9_S9_EEEESB_EEENSN_IJSM_SM_EEESB_PlJNSF_9not_fun_tINSF_14equal_to_valueISA_EEEEEEE10hipError_tPvRmT3_T4_T5_T6_T7_T9_mT8_P12ihipStream_tbDpT10_ENKUlT_T0_E_clISt17integral_constantIbLb0EES1I_IbLb1EEEEDaS1E_S1F_EUlS1E_E_NS1_11comp_targetILNS1_3genE9ELNS1_11target_archE1100ELNS1_3gpuE3ELNS1_3repE0EEENS1_30default_config_static_selectorELNS0_4arch9wavefront6targetE0EEEvT1_ ; -- Begin function _ZN7rocprim17ROCPRIM_400000_NS6detail17trampoline_kernelINS0_14default_configENS1_25partition_config_selectorILNS1_17partition_subalgoE6EN6thrust23THRUST_200600_302600_NS5tupleIjjNS7_9null_typeES9_S9_S9_S9_S9_S9_S9_EENS0_10empty_typeEbEEZZNS1_14partition_implILS5_6ELb0ES3_mNS7_12zip_iteratorINS8_INS7_6detail15normal_iteratorINS7_10device_ptrIjEEEESJ_S9_S9_S9_S9_S9_S9_S9_S9_EEEEPSB_SM_NS0_5tupleIJNSE_INS8_ISJ_NS7_16discard_iteratorINS7_11use_defaultEEES9_S9_S9_S9_S9_S9_S9_S9_EEEESB_EEENSN_IJSM_SM_EEESB_PlJNSF_9not_fun_tINSF_14equal_to_valueISA_EEEEEEE10hipError_tPvRmT3_T4_T5_T6_T7_T9_mT8_P12ihipStream_tbDpT10_ENKUlT_T0_E_clISt17integral_constantIbLb0EES1I_IbLb1EEEEDaS1E_S1F_EUlS1E_E_NS1_11comp_targetILNS1_3genE9ELNS1_11target_archE1100ELNS1_3gpuE3ELNS1_3repE0EEENS1_30default_config_static_selectorELNS0_4arch9wavefront6targetE0EEEvT1_
	.globl	_ZN7rocprim17ROCPRIM_400000_NS6detail17trampoline_kernelINS0_14default_configENS1_25partition_config_selectorILNS1_17partition_subalgoE6EN6thrust23THRUST_200600_302600_NS5tupleIjjNS7_9null_typeES9_S9_S9_S9_S9_S9_S9_EENS0_10empty_typeEbEEZZNS1_14partition_implILS5_6ELb0ES3_mNS7_12zip_iteratorINS8_INS7_6detail15normal_iteratorINS7_10device_ptrIjEEEESJ_S9_S9_S9_S9_S9_S9_S9_S9_EEEEPSB_SM_NS0_5tupleIJNSE_INS8_ISJ_NS7_16discard_iteratorINS7_11use_defaultEEES9_S9_S9_S9_S9_S9_S9_S9_EEEESB_EEENSN_IJSM_SM_EEESB_PlJNSF_9not_fun_tINSF_14equal_to_valueISA_EEEEEEE10hipError_tPvRmT3_T4_T5_T6_T7_T9_mT8_P12ihipStream_tbDpT10_ENKUlT_T0_E_clISt17integral_constantIbLb0EES1I_IbLb1EEEEDaS1E_S1F_EUlS1E_E_NS1_11comp_targetILNS1_3genE9ELNS1_11target_archE1100ELNS1_3gpuE3ELNS1_3repE0EEENS1_30default_config_static_selectorELNS0_4arch9wavefront6targetE0EEEvT1_
	.p2align	8
	.type	_ZN7rocprim17ROCPRIM_400000_NS6detail17trampoline_kernelINS0_14default_configENS1_25partition_config_selectorILNS1_17partition_subalgoE6EN6thrust23THRUST_200600_302600_NS5tupleIjjNS7_9null_typeES9_S9_S9_S9_S9_S9_S9_EENS0_10empty_typeEbEEZZNS1_14partition_implILS5_6ELb0ES3_mNS7_12zip_iteratorINS8_INS7_6detail15normal_iteratorINS7_10device_ptrIjEEEESJ_S9_S9_S9_S9_S9_S9_S9_S9_EEEEPSB_SM_NS0_5tupleIJNSE_INS8_ISJ_NS7_16discard_iteratorINS7_11use_defaultEEES9_S9_S9_S9_S9_S9_S9_S9_EEEESB_EEENSN_IJSM_SM_EEESB_PlJNSF_9not_fun_tINSF_14equal_to_valueISA_EEEEEEE10hipError_tPvRmT3_T4_T5_T6_T7_T9_mT8_P12ihipStream_tbDpT10_ENKUlT_T0_E_clISt17integral_constantIbLb0EES1I_IbLb1EEEEDaS1E_S1F_EUlS1E_E_NS1_11comp_targetILNS1_3genE9ELNS1_11target_archE1100ELNS1_3gpuE3ELNS1_3repE0EEENS1_30default_config_static_selectorELNS0_4arch9wavefront6targetE0EEEvT1_,@function
_ZN7rocprim17ROCPRIM_400000_NS6detail17trampoline_kernelINS0_14default_configENS1_25partition_config_selectorILNS1_17partition_subalgoE6EN6thrust23THRUST_200600_302600_NS5tupleIjjNS7_9null_typeES9_S9_S9_S9_S9_S9_S9_EENS0_10empty_typeEbEEZZNS1_14partition_implILS5_6ELb0ES3_mNS7_12zip_iteratorINS8_INS7_6detail15normal_iteratorINS7_10device_ptrIjEEEESJ_S9_S9_S9_S9_S9_S9_S9_S9_EEEEPSB_SM_NS0_5tupleIJNSE_INS8_ISJ_NS7_16discard_iteratorINS7_11use_defaultEEES9_S9_S9_S9_S9_S9_S9_S9_EEEESB_EEENSN_IJSM_SM_EEESB_PlJNSF_9not_fun_tINSF_14equal_to_valueISA_EEEEEEE10hipError_tPvRmT3_T4_T5_T6_T7_T9_mT8_P12ihipStream_tbDpT10_ENKUlT_T0_E_clISt17integral_constantIbLb0EES1I_IbLb1EEEEDaS1E_S1F_EUlS1E_E_NS1_11comp_targetILNS1_3genE9ELNS1_11target_archE1100ELNS1_3gpuE3ELNS1_3repE0EEENS1_30default_config_static_selectorELNS0_4arch9wavefront6targetE0EEEvT1_: ; @_ZN7rocprim17ROCPRIM_400000_NS6detail17trampoline_kernelINS0_14default_configENS1_25partition_config_selectorILNS1_17partition_subalgoE6EN6thrust23THRUST_200600_302600_NS5tupleIjjNS7_9null_typeES9_S9_S9_S9_S9_S9_S9_EENS0_10empty_typeEbEEZZNS1_14partition_implILS5_6ELb0ES3_mNS7_12zip_iteratorINS8_INS7_6detail15normal_iteratorINS7_10device_ptrIjEEEESJ_S9_S9_S9_S9_S9_S9_S9_S9_EEEEPSB_SM_NS0_5tupleIJNSE_INS8_ISJ_NS7_16discard_iteratorINS7_11use_defaultEEES9_S9_S9_S9_S9_S9_S9_S9_EEEESB_EEENSN_IJSM_SM_EEESB_PlJNSF_9not_fun_tINSF_14equal_to_valueISA_EEEEEEE10hipError_tPvRmT3_T4_T5_T6_T7_T9_mT8_P12ihipStream_tbDpT10_ENKUlT_T0_E_clISt17integral_constantIbLb0EES1I_IbLb1EEEEDaS1E_S1F_EUlS1E_E_NS1_11comp_targetILNS1_3genE9ELNS1_11target_archE1100ELNS1_3gpuE3ELNS1_3repE0EEENS1_30default_config_static_selectorELNS0_4arch9wavefront6targetE0EEEvT1_
; %bb.0:
	.section	.rodata,"a",@progbits
	.p2align	6, 0x0
	.amdhsa_kernel _ZN7rocprim17ROCPRIM_400000_NS6detail17trampoline_kernelINS0_14default_configENS1_25partition_config_selectorILNS1_17partition_subalgoE6EN6thrust23THRUST_200600_302600_NS5tupleIjjNS7_9null_typeES9_S9_S9_S9_S9_S9_S9_EENS0_10empty_typeEbEEZZNS1_14partition_implILS5_6ELb0ES3_mNS7_12zip_iteratorINS8_INS7_6detail15normal_iteratorINS7_10device_ptrIjEEEESJ_S9_S9_S9_S9_S9_S9_S9_S9_EEEEPSB_SM_NS0_5tupleIJNSE_INS8_ISJ_NS7_16discard_iteratorINS7_11use_defaultEEES9_S9_S9_S9_S9_S9_S9_S9_EEEESB_EEENSN_IJSM_SM_EEESB_PlJNSF_9not_fun_tINSF_14equal_to_valueISA_EEEEEEE10hipError_tPvRmT3_T4_T5_T6_T7_T9_mT8_P12ihipStream_tbDpT10_ENKUlT_T0_E_clISt17integral_constantIbLb0EES1I_IbLb1EEEEDaS1E_S1F_EUlS1E_E_NS1_11comp_targetILNS1_3genE9ELNS1_11target_archE1100ELNS1_3gpuE3ELNS1_3repE0EEENS1_30default_config_static_selectorELNS0_4arch9wavefront6targetE0EEEvT1_
		.amdhsa_group_segment_fixed_size 0
		.amdhsa_private_segment_fixed_size 0
		.amdhsa_kernarg_size 152
		.amdhsa_user_sgpr_count 2
		.amdhsa_user_sgpr_dispatch_ptr 0
		.amdhsa_user_sgpr_queue_ptr 0
		.amdhsa_user_sgpr_kernarg_segment_ptr 1
		.amdhsa_user_sgpr_dispatch_id 0
		.amdhsa_user_sgpr_private_segment_size 0
		.amdhsa_wavefront_size32 1
		.amdhsa_uses_dynamic_stack 0
		.amdhsa_enable_private_segment 0
		.amdhsa_system_sgpr_workgroup_id_x 1
		.amdhsa_system_sgpr_workgroup_id_y 0
		.amdhsa_system_sgpr_workgroup_id_z 0
		.amdhsa_system_sgpr_workgroup_info 0
		.amdhsa_system_vgpr_workitem_id 0
		.amdhsa_next_free_vgpr 1
		.amdhsa_next_free_sgpr 1
		.amdhsa_reserve_vcc 0
		.amdhsa_float_round_mode_32 0
		.amdhsa_float_round_mode_16_64 0
		.amdhsa_float_denorm_mode_32 3
		.amdhsa_float_denorm_mode_16_64 3
		.amdhsa_fp16_overflow 0
		.amdhsa_workgroup_processor_mode 1
		.amdhsa_memory_ordered 1
		.amdhsa_forward_progress 1
		.amdhsa_inst_pref_size 0
		.amdhsa_round_robin_scheduling 0
		.amdhsa_exception_fp_ieee_invalid_op 0
		.amdhsa_exception_fp_denorm_src 0
		.amdhsa_exception_fp_ieee_div_zero 0
		.amdhsa_exception_fp_ieee_overflow 0
		.amdhsa_exception_fp_ieee_underflow 0
		.amdhsa_exception_fp_ieee_inexact 0
		.amdhsa_exception_int_div_zero 0
	.end_amdhsa_kernel
	.section	.text._ZN7rocprim17ROCPRIM_400000_NS6detail17trampoline_kernelINS0_14default_configENS1_25partition_config_selectorILNS1_17partition_subalgoE6EN6thrust23THRUST_200600_302600_NS5tupleIjjNS7_9null_typeES9_S9_S9_S9_S9_S9_S9_EENS0_10empty_typeEbEEZZNS1_14partition_implILS5_6ELb0ES3_mNS7_12zip_iteratorINS8_INS7_6detail15normal_iteratorINS7_10device_ptrIjEEEESJ_S9_S9_S9_S9_S9_S9_S9_S9_EEEEPSB_SM_NS0_5tupleIJNSE_INS8_ISJ_NS7_16discard_iteratorINS7_11use_defaultEEES9_S9_S9_S9_S9_S9_S9_S9_EEEESB_EEENSN_IJSM_SM_EEESB_PlJNSF_9not_fun_tINSF_14equal_to_valueISA_EEEEEEE10hipError_tPvRmT3_T4_T5_T6_T7_T9_mT8_P12ihipStream_tbDpT10_ENKUlT_T0_E_clISt17integral_constantIbLb0EES1I_IbLb1EEEEDaS1E_S1F_EUlS1E_E_NS1_11comp_targetILNS1_3genE9ELNS1_11target_archE1100ELNS1_3gpuE3ELNS1_3repE0EEENS1_30default_config_static_selectorELNS0_4arch9wavefront6targetE0EEEvT1_,"axG",@progbits,_ZN7rocprim17ROCPRIM_400000_NS6detail17trampoline_kernelINS0_14default_configENS1_25partition_config_selectorILNS1_17partition_subalgoE6EN6thrust23THRUST_200600_302600_NS5tupleIjjNS7_9null_typeES9_S9_S9_S9_S9_S9_S9_EENS0_10empty_typeEbEEZZNS1_14partition_implILS5_6ELb0ES3_mNS7_12zip_iteratorINS8_INS7_6detail15normal_iteratorINS7_10device_ptrIjEEEESJ_S9_S9_S9_S9_S9_S9_S9_S9_EEEEPSB_SM_NS0_5tupleIJNSE_INS8_ISJ_NS7_16discard_iteratorINS7_11use_defaultEEES9_S9_S9_S9_S9_S9_S9_S9_EEEESB_EEENSN_IJSM_SM_EEESB_PlJNSF_9not_fun_tINSF_14equal_to_valueISA_EEEEEEE10hipError_tPvRmT3_T4_T5_T6_T7_T9_mT8_P12ihipStream_tbDpT10_ENKUlT_T0_E_clISt17integral_constantIbLb0EES1I_IbLb1EEEEDaS1E_S1F_EUlS1E_E_NS1_11comp_targetILNS1_3genE9ELNS1_11target_archE1100ELNS1_3gpuE3ELNS1_3repE0EEENS1_30default_config_static_selectorELNS0_4arch9wavefront6targetE0EEEvT1_,comdat
.Lfunc_end1947:
	.size	_ZN7rocprim17ROCPRIM_400000_NS6detail17trampoline_kernelINS0_14default_configENS1_25partition_config_selectorILNS1_17partition_subalgoE6EN6thrust23THRUST_200600_302600_NS5tupleIjjNS7_9null_typeES9_S9_S9_S9_S9_S9_S9_EENS0_10empty_typeEbEEZZNS1_14partition_implILS5_6ELb0ES3_mNS7_12zip_iteratorINS8_INS7_6detail15normal_iteratorINS7_10device_ptrIjEEEESJ_S9_S9_S9_S9_S9_S9_S9_S9_EEEEPSB_SM_NS0_5tupleIJNSE_INS8_ISJ_NS7_16discard_iteratorINS7_11use_defaultEEES9_S9_S9_S9_S9_S9_S9_S9_EEEESB_EEENSN_IJSM_SM_EEESB_PlJNSF_9not_fun_tINSF_14equal_to_valueISA_EEEEEEE10hipError_tPvRmT3_T4_T5_T6_T7_T9_mT8_P12ihipStream_tbDpT10_ENKUlT_T0_E_clISt17integral_constantIbLb0EES1I_IbLb1EEEEDaS1E_S1F_EUlS1E_E_NS1_11comp_targetILNS1_3genE9ELNS1_11target_archE1100ELNS1_3gpuE3ELNS1_3repE0EEENS1_30default_config_static_selectorELNS0_4arch9wavefront6targetE0EEEvT1_, .Lfunc_end1947-_ZN7rocprim17ROCPRIM_400000_NS6detail17trampoline_kernelINS0_14default_configENS1_25partition_config_selectorILNS1_17partition_subalgoE6EN6thrust23THRUST_200600_302600_NS5tupleIjjNS7_9null_typeES9_S9_S9_S9_S9_S9_S9_EENS0_10empty_typeEbEEZZNS1_14partition_implILS5_6ELb0ES3_mNS7_12zip_iteratorINS8_INS7_6detail15normal_iteratorINS7_10device_ptrIjEEEESJ_S9_S9_S9_S9_S9_S9_S9_S9_EEEEPSB_SM_NS0_5tupleIJNSE_INS8_ISJ_NS7_16discard_iteratorINS7_11use_defaultEEES9_S9_S9_S9_S9_S9_S9_S9_EEEESB_EEENSN_IJSM_SM_EEESB_PlJNSF_9not_fun_tINSF_14equal_to_valueISA_EEEEEEE10hipError_tPvRmT3_T4_T5_T6_T7_T9_mT8_P12ihipStream_tbDpT10_ENKUlT_T0_E_clISt17integral_constantIbLb0EES1I_IbLb1EEEEDaS1E_S1F_EUlS1E_E_NS1_11comp_targetILNS1_3genE9ELNS1_11target_archE1100ELNS1_3gpuE3ELNS1_3repE0EEENS1_30default_config_static_selectorELNS0_4arch9wavefront6targetE0EEEvT1_
                                        ; -- End function
	.set _ZN7rocprim17ROCPRIM_400000_NS6detail17trampoline_kernelINS0_14default_configENS1_25partition_config_selectorILNS1_17partition_subalgoE6EN6thrust23THRUST_200600_302600_NS5tupleIjjNS7_9null_typeES9_S9_S9_S9_S9_S9_S9_EENS0_10empty_typeEbEEZZNS1_14partition_implILS5_6ELb0ES3_mNS7_12zip_iteratorINS8_INS7_6detail15normal_iteratorINS7_10device_ptrIjEEEESJ_S9_S9_S9_S9_S9_S9_S9_S9_EEEEPSB_SM_NS0_5tupleIJNSE_INS8_ISJ_NS7_16discard_iteratorINS7_11use_defaultEEES9_S9_S9_S9_S9_S9_S9_S9_EEEESB_EEENSN_IJSM_SM_EEESB_PlJNSF_9not_fun_tINSF_14equal_to_valueISA_EEEEEEE10hipError_tPvRmT3_T4_T5_T6_T7_T9_mT8_P12ihipStream_tbDpT10_ENKUlT_T0_E_clISt17integral_constantIbLb0EES1I_IbLb1EEEEDaS1E_S1F_EUlS1E_E_NS1_11comp_targetILNS1_3genE9ELNS1_11target_archE1100ELNS1_3gpuE3ELNS1_3repE0EEENS1_30default_config_static_selectorELNS0_4arch9wavefront6targetE0EEEvT1_.num_vgpr, 0
	.set _ZN7rocprim17ROCPRIM_400000_NS6detail17trampoline_kernelINS0_14default_configENS1_25partition_config_selectorILNS1_17partition_subalgoE6EN6thrust23THRUST_200600_302600_NS5tupleIjjNS7_9null_typeES9_S9_S9_S9_S9_S9_S9_EENS0_10empty_typeEbEEZZNS1_14partition_implILS5_6ELb0ES3_mNS7_12zip_iteratorINS8_INS7_6detail15normal_iteratorINS7_10device_ptrIjEEEESJ_S9_S9_S9_S9_S9_S9_S9_S9_EEEEPSB_SM_NS0_5tupleIJNSE_INS8_ISJ_NS7_16discard_iteratorINS7_11use_defaultEEES9_S9_S9_S9_S9_S9_S9_S9_EEEESB_EEENSN_IJSM_SM_EEESB_PlJNSF_9not_fun_tINSF_14equal_to_valueISA_EEEEEEE10hipError_tPvRmT3_T4_T5_T6_T7_T9_mT8_P12ihipStream_tbDpT10_ENKUlT_T0_E_clISt17integral_constantIbLb0EES1I_IbLb1EEEEDaS1E_S1F_EUlS1E_E_NS1_11comp_targetILNS1_3genE9ELNS1_11target_archE1100ELNS1_3gpuE3ELNS1_3repE0EEENS1_30default_config_static_selectorELNS0_4arch9wavefront6targetE0EEEvT1_.num_agpr, 0
	.set _ZN7rocprim17ROCPRIM_400000_NS6detail17trampoline_kernelINS0_14default_configENS1_25partition_config_selectorILNS1_17partition_subalgoE6EN6thrust23THRUST_200600_302600_NS5tupleIjjNS7_9null_typeES9_S9_S9_S9_S9_S9_S9_EENS0_10empty_typeEbEEZZNS1_14partition_implILS5_6ELb0ES3_mNS7_12zip_iteratorINS8_INS7_6detail15normal_iteratorINS7_10device_ptrIjEEEESJ_S9_S9_S9_S9_S9_S9_S9_S9_EEEEPSB_SM_NS0_5tupleIJNSE_INS8_ISJ_NS7_16discard_iteratorINS7_11use_defaultEEES9_S9_S9_S9_S9_S9_S9_S9_EEEESB_EEENSN_IJSM_SM_EEESB_PlJNSF_9not_fun_tINSF_14equal_to_valueISA_EEEEEEE10hipError_tPvRmT3_T4_T5_T6_T7_T9_mT8_P12ihipStream_tbDpT10_ENKUlT_T0_E_clISt17integral_constantIbLb0EES1I_IbLb1EEEEDaS1E_S1F_EUlS1E_E_NS1_11comp_targetILNS1_3genE9ELNS1_11target_archE1100ELNS1_3gpuE3ELNS1_3repE0EEENS1_30default_config_static_selectorELNS0_4arch9wavefront6targetE0EEEvT1_.numbered_sgpr, 0
	.set _ZN7rocprim17ROCPRIM_400000_NS6detail17trampoline_kernelINS0_14default_configENS1_25partition_config_selectorILNS1_17partition_subalgoE6EN6thrust23THRUST_200600_302600_NS5tupleIjjNS7_9null_typeES9_S9_S9_S9_S9_S9_S9_EENS0_10empty_typeEbEEZZNS1_14partition_implILS5_6ELb0ES3_mNS7_12zip_iteratorINS8_INS7_6detail15normal_iteratorINS7_10device_ptrIjEEEESJ_S9_S9_S9_S9_S9_S9_S9_S9_EEEEPSB_SM_NS0_5tupleIJNSE_INS8_ISJ_NS7_16discard_iteratorINS7_11use_defaultEEES9_S9_S9_S9_S9_S9_S9_S9_EEEESB_EEENSN_IJSM_SM_EEESB_PlJNSF_9not_fun_tINSF_14equal_to_valueISA_EEEEEEE10hipError_tPvRmT3_T4_T5_T6_T7_T9_mT8_P12ihipStream_tbDpT10_ENKUlT_T0_E_clISt17integral_constantIbLb0EES1I_IbLb1EEEEDaS1E_S1F_EUlS1E_E_NS1_11comp_targetILNS1_3genE9ELNS1_11target_archE1100ELNS1_3gpuE3ELNS1_3repE0EEENS1_30default_config_static_selectorELNS0_4arch9wavefront6targetE0EEEvT1_.num_named_barrier, 0
	.set _ZN7rocprim17ROCPRIM_400000_NS6detail17trampoline_kernelINS0_14default_configENS1_25partition_config_selectorILNS1_17partition_subalgoE6EN6thrust23THRUST_200600_302600_NS5tupleIjjNS7_9null_typeES9_S9_S9_S9_S9_S9_S9_EENS0_10empty_typeEbEEZZNS1_14partition_implILS5_6ELb0ES3_mNS7_12zip_iteratorINS8_INS7_6detail15normal_iteratorINS7_10device_ptrIjEEEESJ_S9_S9_S9_S9_S9_S9_S9_S9_EEEEPSB_SM_NS0_5tupleIJNSE_INS8_ISJ_NS7_16discard_iteratorINS7_11use_defaultEEES9_S9_S9_S9_S9_S9_S9_S9_EEEESB_EEENSN_IJSM_SM_EEESB_PlJNSF_9not_fun_tINSF_14equal_to_valueISA_EEEEEEE10hipError_tPvRmT3_T4_T5_T6_T7_T9_mT8_P12ihipStream_tbDpT10_ENKUlT_T0_E_clISt17integral_constantIbLb0EES1I_IbLb1EEEEDaS1E_S1F_EUlS1E_E_NS1_11comp_targetILNS1_3genE9ELNS1_11target_archE1100ELNS1_3gpuE3ELNS1_3repE0EEENS1_30default_config_static_selectorELNS0_4arch9wavefront6targetE0EEEvT1_.private_seg_size, 0
	.set _ZN7rocprim17ROCPRIM_400000_NS6detail17trampoline_kernelINS0_14default_configENS1_25partition_config_selectorILNS1_17partition_subalgoE6EN6thrust23THRUST_200600_302600_NS5tupleIjjNS7_9null_typeES9_S9_S9_S9_S9_S9_S9_EENS0_10empty_typeEbEEZZNS1_14partition_implILS5_6ELb0ES3_mNS7_12zip_iteratorINS8_INS7_6detail15normal_iteratorINS7_10device_ptrIjEEEESJ_S9_S9_S9_S9_S9_S9_S9_S9_EEEEPSB_SM_NS0_5tupleIJNSE_INS8_ISJ_NS7_16discard_iteratorINS7_11use_defaultEEES9_S9_S9_S9_S9_S9_S9_S9_EEEESB_EEENSN_IJSM_SM_EEESB_PlJNSF_9not_fun_tINSF_14equal_to_valueISA_EEEEEEE10hipError_tPvRmT3_T4_T5_T6_T7_T9_mT8_P12ihipStream_tbDpT10_ENKUlT_T0_E_clISt17integral_constantIbLb0EES1I_IbLb1EEEEDaS1E_S1F_EUlS1E_E_NS1_11comp_targetILNS1_3genE9ELNS1_11target_archE1100ELNS1_3gpuE3ELNS1_3repE0EEENS1_30default_config_static_selectorELNS0_4arch9wavefront6targetE0EEEvT1_.uses_vcc, 0
	.set _ZN7rocprim17ROCPRIM_400000_NS6detail17trampoline_kernelINS0_14default_configENS1_25partition_config_selectorILNS1_17partition_subalgoE6EN6thrust23THRUST_200600_302600_NS5tupleIjjNS7_9null_typeES9_S9_S9_S9_S9_S9_S9_EENS0_10empty_typeEbEEZZNS1_14partition_implILS5_6ELb0ES3_mNS7_12zip_iteratorINS8_INS7_6detail15normal_iteratorINS7_10device_ptrIjEEEESJ_S9_S9_S9_S9_S9_S9_S9_S9_EEEEPSB_SM_NS0_5tupleIJNSE_INS8_ISJ_NS7_16discard_iteratorINS7_11use_defaultEEES9_S9_S9_S9_S9_S9_S9_S9_EEEESB_EEENSN_IJSM_SM_EEESB_PlJNSF_9not_fun_tINSF_14equal_to_valueISA_EEEEEEE10hipError_tPvRmT3_T4_T5_T6_T7_T9_mT8_P12ihipStream_tbDpT10_ENKUlT_T0_E_clISt17integral_constantIbLb0EES1I_IbLb1EEEEDaS1E_S1F_EUlS1E_E_NS1_11comp_targetILNS1_3genE9ELNS1_11target_archE1100ELNS1_3gpuE3ELNS1_3repE0EEENS1_30default_config_static_selectorELNS0_4arch9wavefront6targetE0EEEvT1_.uses_flat_scratch, 0
	.set _ZN7rocprim17ROCPRIM_400000_NS6detail17trampoline_kernelINS0_14default_configENS1_25partition_config_selectorILNS1_17partition_subalgoE6EN6thrust23THRUST_200600_302600_NS5tupleIjjNS7_9null_typeES9_S9_S9_S9_S9_S9_S9_EENS0_10empty_typeEbEEZZNS1_14partition_implILS5_6ELb0ES3_mNS7_12zip_iteratorINS8_INS7_6detail15normal_iteratorINS7_10device_ptrIjEEEESJ_S9_S9_S9_S9_S9_S9_S9_S9_EEEEPSB_SM_NS0_5tupleIJNSE_INS8_ISJ_NS7_16discard_iteratorINS7_11use_defaultEEES9_S9_S9_S9_S9_S9_S9_S9_EEEESB_EEENSN_IJSM_SM_EEESB_PlJNSF_9not_fun_tINSF_14equal_to_valueISA_EEEEEEE10hipError_tPvRmT3_T4_T5_T6_T7_T9_mT8_P12ihipStream_tbDpT10_ENKUlT_T0_E_clISt17integral_constantIbLb0EES1I_IbLb1EEEEDaS1E_S1F_EUlS1E_E_NS1_11comp_targetILNS1_3genE9ELNS1_11target_archE1100ELNS1_3gpuE3ELNS1_3repE0EEENS1_30default_config_static_selectorELNS0_4arch9wavefront6targetE0EEEvT1_.has_dyn_sized_stack, 0
	.set _ZN7rocprim17ROCPRIM_400000_NS6detail17trampoline_kernelINS0_14default_configENS1_25partition_config_selectorILNS1_17partition_subalgoE6EN6thrust23THRUST_200600_302600_NS5tupleIjjNS7_9null_typeES9_S9_S9_S9_S9_S9_S9_EENS0_10empty_typeEbEEZZNS1_14partition_implILS5_6ELb0ES3_mNS7_12zip_iteratorINS8_INS7_6detail15normal_iteratorINS7_10device_ptrIjEEEESJ_S9_S9_S9_S9_S9_S9_S9_S9_EEEEPSB_SM_NS0_5tupleIJNSE_INS8_ISJ_NS7_16discard_iteratorINS7_11use_defaultEEES9_S9_S9_S9_S9_S9_S9_S9_EEEESB_EEENSN_IJSM_SM_EEESB_PlJNSF_9not_fun_tINSF_14equal_to_valueISA_EEEEEEE10hipError_tPvRmT3_T4_T5_T6_T7_T9_mT8_P12ihipStream_tbDpT10_ENKUlT_T0_E_clISt17integral_constantIbLb0EES1I_IbLb1EEEEDaS1E_S1F_EUlS1E_E_NS1_11comp_targetILNS1_3genE9ELNS1_11target_archE1100ELNS1_3gpuE3ELNS1_3repE0EEENS1_30default_config_static_selectorELNS0_4arch9wavefront6targetE0EEEvT1_.has_recursion, 0
	.set _ZN7rocprim17ROCPRIM_400000_NS6detail17trampoline_kernelINS0_14default_configENS1_25partition_config_selectorILNS1_17partition_subalgoE6EN6thrust23THRUST_200600_302600_NS5tupleIjjNS7_9null_typeES9_S9_S9_S9_S9_S9_S9_EENS0_10empty_typeEbEEZZNS1_14partition_implILS5_6ELb0ES3_mNS7_12zip_iteratorINS8_INS7_6detail15normal_iteratorINS7_10device_ptrIjEEEESJ_S9_S9_S9_S9_S9_S9_S9_S9_EEEEPSB_SM_NS0_5tupleIJNSE_INS8_ISJ_NS7_16discard_iteratorINS7_11use_defaultEEES9_S9_S9_S9_S9_S9_S9_S9_EEEESB_EEENSN_IJSM_SM_EEESB_PlJNSF_9not_fun_tINSF_14equal_to_valueISA_EEEEEEE10hipError_tPvRmT3_T4_T5_T6_T7_T9_mT8_P12ihipStream_tbDpT10_ENKUlT_T0_E_clISt17integral_constantIbLb0EES1I_IbLb1EEEEDaS1E_S1F_EUlS1E_E_NS1_11comp_targetILNS1_3genE9ELNS1_11target_archE1100ELNS1_3gpuE3ELNS1_3repE0EEENS1_30default_config_static_selectorELNS0_4arch9wavefront6targetE0EEEvT1_.has_indirect_call, 0
	.section	.AMDGPU.csdata,"",@progbits
; Kernel info:
; codeLenInByte = 0
; TotalNumSgprs: 0
; NumVgprs: 0
; ScratchSize: 0
; MemoryBound: 0
; FloatMode: 240
; IeeeMode: 1
; LDSByteSize: 0 bytes/workgroup (compile time only)
; SGPRBlocks: 0
; VGPRBlocks: 0
; NumSGPRsForWavesPerEU: 1
; NumVGPRsForWavesPerEU: 1
; Occupancy: 16
; WaveLimiterHint : 0
; COMPUTE_PGM_RSRC2:SCRATCH_EN: 0
; COMPUTE_PGM_RSRC2:USER_SGPR: 2
; COMPUTE_PGM_RSRC2:TRAP_HANDLER: 0
; COMPUTE_PGM_RSRC2:TGID_X_EN: 1
; COMPUTE_PGM_RSRC2:TGID_Y_EN: 0
; COMPUTE_PGM_RSRC2:TGID_Z_EN: 0
; COMPUTE_PGM_RSRC2:TIDIG_COMP_CNT: 0
	.section	.text._ZN7rocprim17ROCPRIM_400000_NS6detail17trampoline_kernelINS0_14default_configENS1_25partition_config_selectorILNS1_17partition_subalgoE6EN6thrust23THRUST_200600_302600_NS5tupleIjjNS7_9null_typeES9_S9_S9_S9_S9_S9_S9_EENS0_10empty_typeEbEEZZNS1_14partition_implILS5_6ELb0ES3_mNS7_12zip_iteratorINS8_INS7_6detail15normal_iteratorINS7_10device_ptrIjEEEESJ_S9_S9_S9_S9_S9_S9_S9_S9_EEEEPSB_SM_NS0_5tupleIJNSE_INS8_ISJ_NS7_16discard_iteratorINS7_11use_defaultEEES9_S9_S9_S9_S9_S9_S9_S9_EEEESB_EEENSN_IJSM_SM_EEESB_PlJNSF_9not_fun_tINSF_14equal_to_valueISA_EEEEEEE10hipError_tPvRmT3_T4_T5_T6_T7_T9_mT8_P12ihipStream_tbDpT10_ENKUlT_T0_E_clISt17integral_constantIbLb0EES1I_IbLb1EEEEDaS1E_S1F_EUlS1E_E_NS1_11comp_targetILNS1_3genE8ELNS1_11target_archE1030ELNS1_3gpuE2ELNS1_3repE0EEENS1_30default_config_static_selectorELNS0_4arch9wavefront6targetE0EEEvT1_,"axG",@progbits,_ZN7rocprim17ROCPRIM_400000_NS6detail17trampoline_kernelINS0_14default_configENS1_25partition_config_selectorILNS1_17partition_subalgoE6EN6thrust23THRUST_200600_302600_NS5tupleIjjNS7_9null_typeES9_S9_S9_S9_S9_S9_S9_EENS0_10empty_typeEbEEZZNS1_14partition_implILS5_6ELb0ES3_mNS7_12zip_iteratorINS8_INS7_6detail15normal_iteratorINS7_10device_ptrIjEEEESJ_S9_S9_S9_S9_S9_S9_S9_S9_EEEEPSB_SM_NS0_5tupleIJNSE_INS8_ISJ_NS7_16discard_iteratorINS7_11use_defaultEEES9_S9_S9_S9_S9_S9_S9_S9_EEEESB_EEENSN_IJSM_SM_EEESB_PlJNSF_9not_fun_tINSF_14equal_to_valueISA_EEEEEEE10hipError_tPvRmT3_T4_T5_T6_T7_T9_mT8_P12ihipStream_tbDpT10_ENKUlT_T0_E_clISt17integral_constantIbLb0EES1I_IbLb1EEEEDaS1E_S1F_EUlS1E_E_NS1_11comp_targetILNS1_3genE8ELNS1_11target_archE1030ELNS1_3gpuE2ELNS1_3repE0EEENS1_30default_config_static_selectorELNS0_4arch9wavefront6targetE0EEEvT1_,comdat
	.protected	_ZN7rocprim17ROCPRIM_400000_NS6detail17trampoline_kernelINS0_14default_configENS1_25partition_config_selectorILNS1_17partition_subalgoE6EN6thrust23THRUST_200600_302600_NS5tupleIjjNS7_9null_typeES9_S9_S9_S9_S9_S9_S9_EENS0_10empty_typeEbEEZZNS1_14partition_implILS5_6ELb0ES3_mNS7_12zip_iteratorINS8_INS7_6detail15normal_iteratorINS7_10device_ptrIjEEEESJ_S9_S9_S9_S9_S9_S9_S9_S9_EEEEPSB_SM_NS0_5tupleIJNSE_INS8_ISJ_NS7_16discard_iteratorINS7_11use_defaultEEES9_S9_S9_S9_S9_S9_S9_S9_EEEESB_EEENSN_IJSM_SM_EEESB_PlJNSF_9not_fun_tINSF_14equal_to_valueISA_EEEEEEE10hipError_tPvRmT3_T4_T5_T6_T7_T9_mT8_P12ihipStream_tbDpT10_ENKUlT_T0_E_clISt17integral_constantIbLb0EES1I_IbLb1EEEEDaS1E_S1F_EUlS1E_E_NS1_11comp_targetILNS1_3genE8ELNS1_11target_archE1030ELNS1_3gpuE2ELNS1_3repE0EEENS1_30default_config_static_selectorELNS0_4arch9wavefront6targetE0EEEvT1_ ; -- Begin function _ZN7rocprim17ROCPRIM_400000_NS6detail17trampoline_kernelINS0_14default_configENS1_25partition_config_selectorILNS1_17partition_subalgoE6EN6thrust23THRUST_200600_302600_NS5tupleIjjNS7_9null_typeES9_S9_S9_S9_S9_S9_S9_EENS0_10empty_typeEbEEZZNS1_14partition_implILS5_6ELb0ES3_mNS7_12zip_iteratorINS8_INS7_6detail15normal_iteratorINS7_10device_ptrIjEEEESJ_S9_S9_S9_S9_S9_S9_S9_S9_EEEEPSB_SM_NS0_5tupleIJNSE_INS8_ISJ_NS7_16discard_iteratorINS7_11use_defaultEEES9_S9_S9_S9_S9_S9_S9_S9_EEEESB_EEENSN_IJSM_SM_EEESB_PlJNSF_9not_fun_tINSF_14equal_to_valueISA_EEEEEEE10hipError_tPvRmT3_T4_T5_T6_T7_T9_mT8_P12ihipStream_tbDpT10_ENKUlT_T0_E_clISt17integral_constantIbLb0EES1I_IbLb1EEEEDaS1E_S1F_EUlS1E_E_NS1_11comp_targetILNS1_3genE8ELNS1_11target_archE1030ELNS1_3gpuE2ELNS1_3repE0EEENS1_30default_config_static_selectorELNS0_4arch9wavefront6targetE0EEEvT1_
	.globl	_ZN7rocprim17ROCPRIM_400000_NS6detail17trampoline_kernelINS0_14default_configENS1_25partition_config_selectorILNS1_17partition_subalgoE6EN6thrust23THRUST_200600_302600_NS5tupleIjjNS7_9null_typeES9_S9_S9_S9_S9_S9_S9_EENS0_10empty_typeEbEEZZNS1_14partition_implILS5_6ELb0ES3_mNS7_12zip_iteratorINS8_INS7_6detail15normal_iteratorINS7_10device_ptrIjEEEESJ_S9_S9_S9_S9_S9_S9_S9_S9_EEEEPSB_SM_NS0_5tupleIJNSE_INS8_ISJ_NS7_16discard_iteratorINS7_11use_defaultEEES9_S9_S9_S9_S9_S9_S9_S9_EEEESB_EEENSN_IJSM_SM_EEESB_PlJNSF_9not_fun_tINSF_14equal_to_valueISA_EEEEEEE10hipError_tPvRmT3_T4_T5_T6_T7_T9_mT8_P12ihipStream_tbDpT10_ENKUlT_T0_E_clISt17integral_constantIbLb0EES1I_IbLb1EEEEDaS1E_S1F_EUlS1E_E_NS1_11comp_targetILNS1_3genE8ELNS1_11target_archE1030ELNS1_3gpuE2ELNS1_3repE0EEENS1_30default_config_static_selectorELNS0_4arch9wavefront6targetE0EEEvT1_
	.p2align	8
	.type	_ZN7rocprim17ROCPRIM_400000_NS6detail17trampoline_kernelINS0_14default_configENS1_25partition_config_selectorILNS1_17partition_subalgoE6EN6thrust23THRUST_200600_302600_NS5tupleIjjNS7_9null_typeES9_S9_S9_S9_S9_S9_S9_EENS0_10empty_typeEbEEZZNS1_14partition_implILS5_6ELb0ES3_mNS7_12zip_iteratorINS8_INS7_6detail15normal_iteratorINS7_10device_ptrIjEEEESJ_S9_S9_S9_S9_S9_S9_S9_S9_EEEEPSB_SM_NS0_5tupleIJNSE_INS8_ISJ_NS7_16discard_iteratorINS7_11use_defaultEEES9_S9_S9_S9_S9_S9_S9_S9_EEEESB_EEENSN_IJSM_SM_EEESB_PlJNSF_9not_fun_tINSF_14equal_to_valueISA_EEEEEEE10hipError_tPvRmT3_T4_T5_T6_T7_T9_mT8_P12ihipStream_tbDpT10_ENKUlT_T0_E_clISt17integral_constantIbLb0EES1I_IbLb1EEEEDaS1E_S1F_EUlS1E_E_NS1_11comp_targetILNS1_3genE8ELNS1_11target_archE1030ELNS1_3gpuE2ELNS1_3repE0EEENS1_30default_config_static_selectorELNS0_4arch9wavefront6targetE0EEEvT1_,@function
_ZN7rocprim17ROCPRIM_400000_NS6detail17trampoline_kernelINS0_14default_configENS1_25partition_config_selectorILNS1_17partition_subalgoE6EN6thrust23THRUST_200600_302600_NS5tupleIjjNS7_9null_typeES9_S9_S9_S9_S9_S9_S9_EENS0_10empty_typeEbEEZZNS1_14partition_implILS5_6ELb0ES3_mNS7_12zip_iteratorINS8_INS7_6detail15normal_iteratorINS7_10device_ptrIjEEEESJ_S9_S9_S9_S9_S9_S9_S9_S9_EEEEPSB_SM_NS0_5tupleIJNSE_INS8_ISJ_NS7_16discard_iteratorINS7_11use_defaultEEES9_S9_S9_S9_S9_S9_S9_S9_EEEESB_EEENSN_IJSM_SM_EEESB_PlJNSF_9not_fun_tINSF_14equal_to_valueISA_EEEEEEE10hipError_tPvRmT3_T4_T5_T6_T7_T9_mT8_P12ihipStream_tbDpT10_ENKUlT_T0_E_clISt17integral_constantIbLb0EES1I_IbLb1EEEEDaS1E_S1F_EUlS1E_E_NS1_11comp_targetILNS1_3genE8ELNS1_11target_archE1030ELNS1_3gpuE2ELNS1_3repE0EEENS1_30default_config_static_selectorELNS0_4arch9wavefront6targetE0EEEvT1_: ; @_ZN7rocprim17ROCPRIM_400000_NS6detail17trampoline_kernelINS0_14default_configENS1_25partition_config_selectorILNS1_17partition_subalgoE6EN6thrust23THRUST_200600_302600_NS5tupleIjjNS7_9null_typeES9_S9_S9_S9_S9_S9_S9_EENS0_10empty_typeEbEEZZNS1_14partition_implILS5_6ELb0ES3_mNS7_12zip_iteratorINS8_INS7_6detail15normal_iteratorINS7_10device_ptrIjEEEESJ_S9_S9_S9_S9_S9_S9_S9_S9_EEEEPSB_SM_NS0_5tupleIJNSE_INS8_ISJ_NS7_16discard_iteratorINS7_11use_defaultEEES9_S9_S9_S9_S9_S9_S9_S9_EEEESB_EEENSN_IJSM_SM_EEESB_PlJNSF_9not_fun_tINSF_14equal_to_valueISA_EEEEEEE10hipError_tPvRmT3_T4_T5_T6_T7_T9_mT8_P12ihipStream_tbDpT10_ENKUlT_T0_E_clISt17integral_constantIbLb0EES1I_IbLb1EEEEDaS1E_S1F_EUlS1E_E_NS1_11comp_targetILNS1_3genE8ELNS1_11target_archE1030ELNS1_3gpuE2ELNS1_3repE0EEENS1_30default_config_static_selectorELNS0_4arch9wavefront6targetE0EEEvT1_
; %bb.0:
	.section	.rodata,"a",@progbits
	.p2align	6, 0x0
	.amdhsa_kernel _ZN7rocprim17ROCPRIM_400000_NS6detail17trampoline_kernelINS0_14default_configENS1_25partition_config_selectorILNS1_17partition_subalgoE6EN6thrust23THRUST_200600_302600_NS5tupleIjjNS7_9null_typeES9_S9_S9_S9_S9_S9_S9_EENS0_10empty_typeEbEEZZNS1_14partition_implILS5_6ELb0ES3_mNS7_12zip_iteratorINS8_INS7_6detail15normal_iteratorINS7_10device_ptrIjEEEESJ_S9_S9_S9_S9_S9_S9_S9_S9_EEEEPSB_SM_NS0_5tupleIJNSE_INS8_ISJ_NS7_16discard_iteratorINS7_11use_defaultEEES9_S9_S9_S9_S9_S9_S9_S9_EEEESB_EEENSN_IJSM_SM_EEESB_PlJNSF_9not_fun_tINSF_14equal_to_valueISA_EEEEEEE10hipError_tPvRmT3_T4_T5_T6_T7_T9_mT8_P12ihipStream_tbDpT10_ENKUlT_T0_E_clISt17integral_constantIbLb0EES1I_IbLb1EEEEDaS1E_S1F_EUlS1E_E_NS1_11comp_targetILNS1_3genE8ELNS1_11target_archE1030ELNS1_3gpuE2ELNS1_3repE0EEENS1_30default_config_static_selectorELNS0_4arch9wavefront6targetE0EEEvT1_
		.amdhsa_group_segment_fixed_size 0
		.amdhsa_private_segment_fixed_size 0
		.amdhsa_kernarg_size 152
		.amdhsa_user_sgpr_count 2
		.amdhsa_user_sgpr_dispatch_ptr 0
		.amdhsa_user_sgpr_queue_ptr 0
		.amdhsa_user_sgpr_kernarg_segment_ptr 1
		.amdhsa_user_sgpr_dispatch_id 0
		.amdhsa_user_sgpr_private_segment_size 0
		.amdhsa_wavefront_size32 1
		.amdhsa_uses_dynamic_stack 0
		.amdhsa_enable_private_segment 0
		.amdhsa_system_sgpr_workgroup_id_x 1
		.amdhsa_system_sgpr_workgroup_id_y 0
		.amdhsa_system_sgpr_workgroup_id_z 0
		.amdhsa_system_sgpr_workgroup_info 0
		.amdhsa_system_vgpr_workitem_id 0
		.amdhsa_next_free_vgpr 1
		.amdhsa_next_free_sgpr 1
		.amdhsa_reserve_vcc 0
		.amdhsa_float_round_mode_32 0
		.amdhsa_float_round_mode_16_64 0
		.amdhsa_float_denorm_mode_32 3
		.amdhsa_float_denorm_mode_16_64 3
		.amdhsa_fp16_overflow 0
		.amdhsa_workgroup_processor_mode 1
		.amdhsa_memory_ordered 1
		.amdhsa_forward_progress 1
		.amdhsa_inst_pref_size 0
		.amdhsa_round_robin_scheduling 0
		.amdhsa_exception_fp_ieee_invalid_op 0
		.amdhsa_exception_fp_denorm_src 0
		.amdhsa_exception_fp_ieee_div_zero 0
		.amdhsa_exception_fp_ieee_overflow 0
		.amdhsa_exception_fp_ieee_underflow 0
		.amdhsa_exception_fp_ieee_inexact 0
		.amdhsa_exception_int_div_zero 0
	.end_amdhsa_kernel
	.section	.text._ZN7rocprim17ROCPRIM_400000_NS6detail17trampoline_kernelINS0_14default_configENS1_25partition_config_selectorILNS1_17partition_subalgoE6EN6thrust23THRUST_200600_302600_NS5tupleIjjNS7_9null_typeES9_S9_S9_S9_S9_S9_S9_EENS0_10empty_typeEbEEZZNS1_14partition_implILS5_6ELb0ES3_mNS7_12zip_iteratorINS8_INS7_6detail15normal_iteratorINS7_10device_ptrIjEEEESJ_S9_S9_S9_S9_S9_S9_S9_S9_EEEEPSB_SM_NS0_5tupleIJNSE_INS8_ISJ_NS7_16discard_iteratorINS7_11use_defaultEEES9_S9_S9_S9_S9_S9_S9_S9_EEEESB_EEENSN_IJSM_SM_EEESB_PlJNSF_9not_fun_tINSF_14equal_to_valueISA_EEEEEEE10hipError_tPvRmT3_T4_T5_T6_T7_T9_mT8_P12ihipStream_tbDpT10_ENKUlT_T0_E_clISt17integral_constantIbLb0EES1I_IbLb1EEEEDaS1E_S1F_EUlS1E_E_NS1_11comp_targetILNS1_3genE8ELNS1_11target_archE1030ELNS1_3gpuE2ELNS1_3repE0EEENS1_30default_config_static_selectorELNS0_4arch9wavefront6targetE0EEEvT1_,"axG",@progbits,_ZN7rocprim17ROCPRIM_400000_NS6detail17trampoline_kernelINS0_14default_configENS1_25partition_config_selectorILNS1_17partition_subalgoE6EN6thrust23THRUST_200600_302600_NS5tupleIjjNS7_9null_typeES9_S9_S9_S9_S9_S9_S9_EENS0_10empty_typeEbEEZZNS1_14partition_implILS5_6ELb0ES3_mNS7_12zip_iteratorINS8_INS7_6detail15normal_iteratorINS7_10device_ptrIjEEEESJ_S9_S9_S9_S9_S9_S9_S9_S9_EEEEPSB_SM_NS0_5tupleIJNSE_INS8_ISJ_NS7_16discard_iteratorINS7_11use_defaultEEES9_S9_S9_S9_S9_S9_S9_S9_EEEESB_EEENSN_IJSM_SM_EEESB_PlJNSF_9not_fun_tINSF_14equal_to_valueISA_EEEEEEE10hipError_tPvRmT3_T4_T5_T6_T7_T9_mT8_P12ihipStream_tbDpT10_ENKUlT_T0_E_clISt17integral_constantIbLb0EES1I_IbLb1EEEEDaS1E_S1F_EUlS1E_E_NS1_11comp_targetILNS1_3genE8ELNS1_11target_archE1030ELNS1_3gpuE2ELNS1_3repE0EEENS1_30default_config_static_selectorELNS0_4arch9wavefront6targetE0EEEvT1_,comdat
.Lfunc_end1948:
	.size	_ZN7rocprim17ROCPRIM_400000_NS6detail17trampoline_kernelINS0_14default_configENS1_25partition_config_selectorILNS1_17partition_subalgoE6EN6thrust23THRUST_200600_302600_NS5tupleIjjNS7_9null_typeES9_S9_S9_S9_S9_S9_S9_EENS0_10empty_typeEbEEZZNS1_14partition_implILS5_6ELb0ES3_mNS7_12zip_iteratorINS8_INS7_6detail15normal_iteratorINS7_10device_ptrIjEEEESJ_S9_S9_S9_S9_S9_S9_S9_S9_EEEEPSB_SM_NS0_5tupleIJNSE_INS8_ISJ_NS7_16discard_iteratorINS7_11use_defaultEEES9_S9_S9_S9_S9_S9_S9_S9_EEEESB_EEENSN_IJSM_SM_EEESB_PlJNSF_9not_fun_tINSF_14equal_to_valueISA_EEEEEEE10hipError_tPvRmT3_T4_T5_T6_T7_T9_mT8_P12ihipStream_tbDpT10_ENKUlT_T0_E_clISt17integral_constantIbLb0EES1I_IbLb1EEEEDaS1E_S1F_EUlS1E_E_NS1_11comp_targetILNS1_3genE8ELNS1_11target_archE1030ELNS1_3gpuE2ELNS1_3repE0EEENS1_30default_config_static_selectorELNS0_4arch9wavefront6targetE0EEEvT1_, .Lfunc_end1948-_ZN7rocprim17ROCPRIM_400000_NS6detail17trampoline_kernelINS0_14default_configENS1_25partition_config_selectorILNS1_17partition_subalgoE6EN6thrust23THRUST_200600_302600_NS5tupleIjjNS7_9null_typeES9_S9_S9_S9_S9_S9_S9_EENS0_10empty_typeEbEEZZNS1_14partition_implILS5_6ELb0ES3_mNS7_12zip_iteratorINS8_INS7_6detail15normal_iteratorINS7_10device_ptrIjEEEESJ_S9_S9_S9_S9_S9_S9_S9_S9_EEEEPSB_SM_NS0_5tupleIJNSE_INS8_ISJ_NS7_16discard_iteratorINS7_11use_defaultEEES9_S9_S9_S9_S9_S9_S9_S9_EEEESB_EEENSN_IJSM_SM_EEESB_PlJNSF_9not_fun_tINSF_14equal_to_valueISA_EEEEEEE10hipError_tPvRmT3_T4_T5_T6_T7_T9_mT8_P12ihipStream_tbDpT10_ENKUlT_T0_E_clISt17integral_constantIbLb0EES1I_IbLb1EEEEDaS1E_S1F_EUlS1E_E_NS1_11comp_targetILNS1_3genE8ELNS1_11target_archE1030ELNS1_3gpuE2ELNS1_3repE0EEENS1_30default_config_static_selectorELNS0_4arch9wavefront6targetE0EEEvT1_
                                        ; -- End function
	.set _ZN7rocprim17ROCPRIM_400000_NS6detail17trampoline_kernelINS0_14default_configENS1_25partition_config_selectorILNS1_17partition_subalgoE6EN6thrust23THRUST_200600_302600_NS5tupleIjjNS7_9null_typeES9_S9_S9_S9_S9_S9_S9_EENS0_10empty_typeEbEEZZNS1_14partition_implILS5_6ELb0ES3_mNS7_12zip_iteratorINS8_INS7_6detail15normal_iteratorINS7_10device_ptrIjEEEESJ_S9_S9_S9_S9_S9_S9_S9_S9_EEEEPSB_SM_NS0_5tupleIJNSE_INS8_ISJ_NS7_16discard_iteratorINS7_11use_defaultEEES9_S9_S9_S9_S9_S9_S9_S9_EEEESB_EEENSN_IJSM_SM_EEESB_PlJNSF_9not_fun_tINSF_14equal_to_valueISA_EEEEEEE10hipError_tPvRmT3_T4_T5_T6_T7_T9_mT8_P12ihipStream_tbDpT10_ENKUlT_T0_E_clISt17integral_constantIbLb0EES1I_IbLb1EEEEDaS1E_S1F_EUlS1E_E_NS1_11comp_targetILNS1_3genE8ELNS1_11target_archE1030ELNS1_3gpuE2ELNS1_3repE0EEENS1_30default_config_static_selectorELNS0_4arch9wavefront6targetE0EEEvT1_.num_vgpr, 0
	.set _ZN7rocprim17ROCPRIM_400000_NS6detail17trampoline_kernelINS0_14default_configENS1_25partition_config_selectorILNS1_17partition_subalgoE6EN6thrust23THRUST_200600_302600_NS5tupleIjjNS7_9null_typeES9_S9_S9_S9_S9_S9_S9_EENS0_10empty_typeEbEEZZNS1_14partition_implILS5_6ELb0ES3_mNS7_12zip_iteratorINS8_INS7_6detail15normal_iteratorINS7_10device_ptrIjEEEESJ_S9_S9_S9_S9_S9_S9_S9_S9_EEEEPSB_SM_NS0_5tupleIJNSE_INS8_ISJ_NS7_16discard_iteratorINS7_11use_defaultEEES9_S9_S9_S9_S9_S9_S9_S9_EEEESB_EEENSN_IJSM_SM_EEESB_PlJNSF_9not_fun_tINSF_14equal_to_valueISA_EEEEEEE10hipError_tPvRmT3_T4_T5_T6_T7_T9_mT8_P12ihipStream_tbDpT10_ENKUlT_T0_E_clISt17integral_constantIbLb0EES1I_IbLb1EEEEDaS1E_S1F_EUlS1E_E_NS1_11comp_targetILNS1_3genE8ELNS1_11target_archE1030ELNS1_3gpuE2ELNS1_3repE0EEENS1_30default_config_static_selectorELNS0_4arch9wavefront6targetE0EEEvT1_.num_agpr, 0
	.set _ZN7rocprim17ROCPRIM_400000_NS6detail17trampoline_kernelINS0_14default_configENS1_25partition_config_selectorILNS1_17partition_subalgoE6EN6thrust23THRUST_200600_302600_NS5tupleIjjNS7_9null_typeES9_S9_S9_S9_S9_S9_S9_EENS0_10empty_typeEbEEZZNS1_14partition_implILS5_6ELb0ES3_mNS7_12zip_iteratorINS8_INS7_6detail15normal_iteratorINS7_10device_ptrIjEEEESJ_S9_S9_S9_S9_S9_S9_S9_S9_EEEEPSB_SM_NS0_5tupleIJNSE_INS8_ISJ_NS7_16discard_iteratorINS7_11use_defaultEEES9_S9_S9_S9_S9_S9_S9_S9_EEEESB_EEENSN_IJSM_SM_EEESB_PlJNSF_9not_fun_tINSF_14equal_to_valueISA_EEEEEEE10hipError_tPvRmT3_T4_T5_T6_T7_T9_mT8_P12ihipStream_tbDpT10_ENKUlT_T0_E_clISt17integral_constantIbLb0EES1I_IbLb1EEEEDaS1E_S1F_EUlS1E_E_NS1_11comp_targetILNS1_3genE8ELNS1_11target_archE1030ELNS1_3gpuE2ELNS1_3repE0EEENS1_30default_config_static_selectorELNS0_4arch9wavefront6targetE0EEEvT1_.numbered_sgpr, 0
	.set _ZN7rocprim17ROCPRIM_400000_NS6detail17trampoline_kernelINS0_14default_configENS1_25partition_config_selectorILNS1_17partition_subalgoE6EN6thrust23THRUST_200600_302600_NS5tupleIjjNS7_9null_typeES9_S9_S9_S9_S9_S9_S9_EENS0_10empty_typeEbEEZZNS1_14partition_implILS5_6ELb0ES3_mNS7_12zip_iteratorINS8_INS7_6detail15normal_iteratorINS7_10device_ptrIjEEEESJ_S9_S9_S9_S9_S9_S9_S9_S9_EEEEPSB_SM_NS0_5tupleIJNSE_INS8_ISJ_NS7_16discard_iteratorINS7_11use_defaultEEES9_S9_S9_S9_S9_S9_S9_S9_EEEESB_EEENSN_IJSM_SM_EEESB_PlJNSF_9not_fun_tINSF_14equal_to_valueISA_EEEEEEE10hipError_tPvRmT3_T4_T5_T6_T7_T9_mT8_P12ihipStream_tbDpT10_ENKUlT_T0_E_clISt17integral_constantIbLb0EES1I_IbLb1EEEEDaS1E_S1F_EUlS1E_E_NS1_11comp_targetILNS1_3genE8ELNS1_11target_archE1030ELNS1_3gpuE2ELNS1_3repE0EEENS1_30default_config_static_selectorELNS0_4arch9wavefront6targetE0EEEvT1_.num_named_barrier, 0
	.set _ZN7rocprim17ROCPRIM_400000_NS6detail17trampoline_kernelINS0_14default_configENS1_25partition_config_selectorILNS1_17partition_subalgoE6EN6thrust23THRUST_200600_302600_NS5tupleIjjNS7_9null_typeES9_S9_S9_S9_S9_S9_S9_EENS0_10empty_typeEbEEZZNS1_14partition_implILS5_6ELb0ES3_mNS7_12zip_iteratorINS8_INS7_6detail15normal_iteratorINS7_10device_ptrIjEEEESJ_S9_S9_S9_S9_S9_S9_S9_S9_EEEEPSB_SM_NS0_5tupleIJNSE_INS8_ISJ_NS7_16discard_iteratorINS7_11use_defaultEEES9_S9_S9_S9_S9_S9_S9_S9_EEEESB_EEENSN_IJSM_SM_EEESB_PlJNSF_9not_fun_tINSF_14equal_to_valueISA_EEEEEEE10hipError_tPvRmT3_T4_T5_T6_T7_T9_mT8_P12ihipStream_tbDpT10_ENKUlT_T0_E_clISt17integral_constantIbLb0EES1I_IbLb1EEEEDaS1E_S1F_EUlS1E_E_NS1_11comp_targetILNS1_3genE8ELNS1_11target_archE1030ELNS1_3gpuE2ELNS1_3repE0EEENS1_30default_config_static_selectorELNS0_4arch9wavefront6targetE0EEEvT1_.private_seg_size, 0
	.set _ZN7rocprim17ROCPRIM_400000_NS6detail17trampoline_kernelINS0_14default_configENS1_25partition_config_selectorILNS1_17partition_subalgoE6EN6thrust23THRUST_200600_302600_NS5tupleIjjNS7_9null_typeES9_S9_S9_S9_S9_S9_S9_EENS0_10empty_typeEbEEZZNS1_14partition_implILS5_6ELb0ES3_mNS7_12zip_iteratorINS8_INS7_6detail15normal_iteratorINS7_10device_ptrIjEEEESJ_S9_S9_S9_S9_S9_S9_S9_S9_EEEEPSB_SM_NS0_5tupleIJNSE_INS8_ISJ_NS7_16discard_iteratorINS7_11use_defaultEEES9_S9_S9_S9_S9_S9_S9_S9_EEEESB_EEENSN_IJSM_SM_EEESB_PlJNSF_9not_fun_tINSF_14equal_to_valueISA_EEEEEEE10hipError_tPvRmT3_T4_T5_T6_T7_T9_mT8_P12ihipStream_tbDpT10_ENKUlT_T0_E_clISt17integral_constantIbLb0EES1I_IbLb1EEEEDaS1E_S1F_EUlS1E_E_NS1_11comp_targetILNS1_3genE8ELNS1_11target_archE1030ELNS1_3gpuE2ELNS1_3repE0EEENS1_30default_config_static_selectorELNS0_4arch9wavefront6targetE0EEEvT1_.uses_vcc, 0
	.set _ZN7rocprim17ROCPRIM_400000_NS6detail17trampoline_kernelINS0_14default_configENS1_25partition_config_selectorILNS1_17partition_subalgoE6EN6thrust23THRUST_200600_302600_NS5tupleIjjNS7_9null_typeES9_S9_S9_S9_S9_S9_S9_EENS0_10empty_typeEbEEZZNS1_14partition_implILS5_6ELb0ES3_mNS7_12zip_iteratorINS8_INS7_6detail15normal_iteratorINS7_10device_ptrIjEEEESJ_S9_S9_S9_S9_S9_S9_S9_S9_EEEEPSB_SM_NS0_5tupleIJNSE_INS8_ISJ_NS7_16discard_iteratorINS7_11use_defaultEEES9_S9_S9_S9_S9_S9_S9_S9_EEEESB_EEENSN_IJSM_SM_EEESB_PlJNSF_9not_fun_tINSF_14equal_to_valueISA_EEEEEEE10hipError_tPvRmT3_T4_T5_T6_T7_T9_mT8_P12ihipStream_tbDpT10_ENKUlT_T0_E_clISt17integral_constantIbLb0EES1I_IbLb1EEEEDaS1E_S1F_EUlS1E_E_NS1_11comp_targetILNS1_3genE8ELNS1_11target_archE1030ELNS1_3gpuE2ELNS1_3repE0EEENS1_30default_config_static_selectorELNS0_4arch9wavefront6targetE0EEEvT1_.uses_flat_scratch, 0
	.set _ZN7rocprim17ROCPRIM_400000_NS6detail17trampoline_kernelINS0_14default_configENS1_25partition_config_selectorILNS1_17partition_subalgoE6EN6thrust23THRUST_200600_302600_NS5tupleIjjNS7_9null_typeES9_S9_S9_S9_S9_S9_S9_EENS0_10empty_typeEbEEZZNS1_14partition_implILS5_6ELb0ES3_mNS7_12zip_iteratorINS8_INS7_6detail15normal_iteratorINS7_10device_ptrIjEEEESJ_S9_S9_S9_S9_S9_S9_S9_S9_EEEEPSB_SM_NS0_5tupleIJNSE_INS8_ISJ_NS7_16discard_iteratorINS7_11use_defaultEEES9_S9_S9_S9_S9_S9_S9_S9_EEEESB_EEENSN_IJSM_SM_EEESB_PlJNSF_9not_fun_tINSF_14equal_to_valueISA_EEEEEEE10hipError_tPvRmT3_T4_T5_T6_T7_T9_mT8_P12ihipStream_tbDpT10_ENKUlT_T0_E_clISt17integral_constantIbLb0EES1I_IbLb1EEEEDaS1E_S1F_EUlS1E_E_NS1_11comp_targetILNS1_3genE8ELNS1_11target_archE1030ELNS1_3gpuE2ELNS1_3repE0EEENS1_30default_config_static_selectorELNS0_4arch9wavefront6targetE0EEEvT1_.has_dyn_sized_stack, 0
	.set _ZN7rocprim17ROCPRIM_400000_NS6detail17trampoline_kernelINS0_14default_configENS1_25partition_config_selectorILNS1_17partition_subalgoE6EN6thrust23THRUST_200600_302600_NS5tupleIjjNS7_9null_typeES9_S9_S9_S9_S9_S9_S9_EENS0_10empty_typeEbEEZZNS1_14partition_implILS5_6ELb0ES3_mNS7_12zip_iteratorINS8_INS7_6detail15normal_iteratorINS7_10device_ptrIjEEEESJ_S9_S9_S9_S9_S9_S9_S9_S9_EEEEPSB_SM_NS0_5tupleIJNSE_INS8_ISJ_NS7_16discard_iteratorINS7_11use_defaultEEES9_S9_S9_S9_S9_S9_S9_S9_EEEESB_EEENSN_IJSM_SM_EEESB_PlJNSF_9not_fun_tINSF_14equal_to_valueISA_EEEEEEE10hipError_tPvRmT3_T4_T5_T6_T7_T9_mT8_P12ihipStream_tbDpT10_ENKUlT_T0_E_clISt17integral_constantIbLb0EES1I_IbLb1EEEEDaS1E_S1F_EUlS1E_E_NS1_11comp_targetILNS1_3genE8ELNS1_11target_archE1030ELNS1_3gpuE2ELNS1_3repE0EEENS1_30default_config_static_selectorELNS0_4arch9wavefront6targetE0EEEvT1_.has_recursion, 0
	.set _ZN7rocprim17ROCPRIM_400000_NS6detail17trampoline_kernelINS0_14default_configENS1_25partition_config_selectorILNS1_17partition_subalgoE6EN6thrust23THRUST_200600_302600_NS5tupleIjjNS7_9null_typeES9_S9_S9_S9_S9_S9_S9_EENS0_10empty_typeEbEEZZNS1_14partition_implILS5_6ELb0ES3_mNS7_12zip_iteratorINS8_INS7_6detail15normal_iteratorINS7_10device_ptrIjEEEESJ_S9_S9_S9_S9_S9_S9_S9_S9_EEEEPSB_SM_NS0_5tupleIJNSE_INS8_ISJ_NS7_16discard_iteratorINS7_11use_defaultEEES9_S9_S9_S9_S9_S9_S9_S9_EEEESB_EEENSN_IJSM_SM_EEESB_PlJNSF_9not_fun_tINSF_14equal_to_valueISA_EEEEEEE10hipError_tPvRmT3_T4_T5_T6_T7_T9_mT8_P12ihipStream_tbDpT10_ENKUlT_T0_E_clISt17integral_constantIbLb0EES1I_IbLb1EEEEDaS1E_S1F_EUlS1E_E_NS1_11comp_targetILNS1_3genE8ELNS1_11target_archE1030ELNS1_3gpuE2ELNS1_3repE0EEENS1_30default_config_static_selectorELNS0_4arch9wavefront6targetE0EEEvT1_.has_indirect_call, 0
	.section	.AMDGPU.csdata,"",@progbits
; Kernel info:
; codeLenInByte = 0
; TotalNumSgprs: 0
; NumVgprs: 0
; ScratchSize: 0
; MemoryBound: 0
; FloatMode: 240
; IeeeMode: 1
; LDSByteSize: 0 bytes/workgroup (compile time only)
; SGPRBlocks: 0
; VGPRBlocks: 0
; NumSGPRsForWavesPerEU: 1
; NumVGPRsForWavesPerEU: 1
; Occupancy: 16
; WaveLimiterHint : 0
; COMPUTE_PGM_RSRC2:SCRATCH_EN: 0
; COMPUTE_PGM_RSRC2:USER_SGPR: 2
; COMPUTE_PGM_RSRC2:TRAP_HANDLER: 0
; COMPUTE_PGM_RSRC2:TGID_X_EN: 1
; COMPUTE_PGM_RSRC2:TGID_Y_EN: 0
; COMPUTE_PGM_RSRC2:TGID_Z_EN: 0
; COMPUTE_PGM_RSRC2:TIDIG_COMP_CNT: 0
	.section	.text._ZN7rocprim17ROCPRIM_400000_NS6detail17trampoline_kernelINS0_14default_configENS1_25partition_config_selectorILNS1_17partition_subalgoE6EN6thrust23THRUST_200600_302600_NS5tupleIttNS7_9null_typeES9_S9_S9_S9_S9_S9_S9_EENS0_10empty_typeEbEEZZNS1_14partition_implILS5_6ELb0ES3_mNS7_12zip_iteratorINS8_INS7_6detail15normal_iteratorINS7_10device_ptrItEEEESJ_S9_S9_S9_S9_S9_S9_S9_S9_EEEEPSB_SM_NS0_5tupleIJNSE_INS8_ISJ_NS7_16discard_iteratorINS7_11use_defaultEEES9_S9_S9_S9_S9_S9_S9_S9_EEEESB_EEENSN_IJSM_SM_EEESB_PlJNSF_9not_fun_tINSF_14equal_to_valueISA_EEEEEEE10hipError_tPvRmT3_T4_T5_T6_T7_T9_mT8_P12ihipStream_tbDpT10_ENKUlT_T0_E_clISt17integral_constantIbLb0EES1J_EEDaS1E_S1F_EUlS1E_E_NS1_11comp_targetILNS1_3genE0ELNS1_11target_archE4294967295ELNS1_3gpuE0ELNS1_3repE0EEENS1_30default_config_static_selectorELNS0_4arch9wavefront6targetE0EEEvT1_,"axG",@progbits,_ZN7rocprim17ROCPRIM_400000_NS6detail17trampoline_kernelINS0_14default_configENS1_25partition_config_selectorILNS1_17partition_subalgoE6EN6thrust23THRUST_200600_302600_NS5tupleIttNS7_9null_typeES9_S9_S9_S9_S9_S9_S9_EENS0_10empty_typeEbEEZZNS1_14partition_implILS5_6ELb0ES3_mNS7_12zip_iteratorINS8_INS7_6detail15normal_iteratorINS7_10device_ptrItEEEESJ_S9_S9_S9_S9_S9_S9_S9_S9_EEEEPSB_SM_NS0_5tupleIJNSE_INS8_ISJ_NS7_16discard_iteratorINS7_11use_defaultEEES9_S9_S9_S9_S9_S9_S9_S9_EEEESB_EEENSN_IJSM_SM_EEESB_PlJNSF_9not_fun_tINSF_14equal_to_valueISA_EEEEEEE10hipError_tPvRmT3_T4_T5_T6_T7_T9_mT8_P12ihipStream_tbDpT10_ENKUlT_T0_E_clISt17integral_constantIbLb0EES1J_EEDaS1E_S1F_EUlS1E_E_NS1_11comp_targetILNS1_3genE0ELNS1_11target_archE4294967295ELNS1_3gpuE0ELNS1_3repE0EEENS1_30default_config_static_selectorELNS0_4arch9wavefront6targetE0EEEvT1_,comdat
	.protected	_ZN7rocprim17ROCPRIM_400000_NS6detail17trampoline_kernelINS0_14default_configENS1_25partition_config_selectorILNS1_17partition_subalgoE6EN6thrust23THRUST_200600_302600_NS5tupleIttNS7_9null_typeES9_S9_S9_S9_S9_S9_S9_EENS0_10empty_typeEbEEZZNS1_14partition_implILS5_6ELb0ES3_mNS7_12zip_iteratorINS8_INS7_6detail15normal_iteratorINS7_10device_ptrItEEEESJ_S9_S9_S9_S9_S9_S9_S9_S9_EEEEPSB_SM_NS0_5tupleIJNSE_INS8_ISJ_NS7_16discard_iteratorINS7_11use_defaultEEES9_S9_S9_S9_S9_S9_S9_S9_EEEESB_EEENSN_IJSM_SM_EEESB_PlJNSF_9not_fun_tINSF_14equal_to_valueISA_EEEEEEE10hipError_tPvRmT3_T4_T5_T6_T7_T9_mT8_P12ihipStream_tbDpT10_ENKUlT_T0_E_clISt17integral_constantIbLb0EES1J_EEDaS1E_S1F_EUlS1E_E_NS1_11comp_targetILNS1_3genE0ELNS1_11target_archE4294967295ELNS1_3gpuE0ELNS1_3repE0EEENS1_30default_config_static_selectorELNS0_4arch9wavefront6targetE0EEEvT1_ ; -- Begin function _ZN7rocprim17ROCPRIM_400000_NS6detail17trampoline_kernelINS0_14default_configENS1_25partition_config_selectorILNS1_17partition_subalgoE6EN6thrust23THRUST_200600_302600_NS5tupleIttNS7_9null_typeES9_S9_S9_S9_S9_S9_S9_EENS0_10empty_typeEbEEZZNS1_14partition_implILS5_6ELb0ES3_mNS7_12zip_iteratorINS8_INS7_6detail15normal_iteratorINS7_10device_ptrItEEEESJ_S9_S9_S9_S9_S9_S9_S9_S9_EEEEPSB_SM_NS0_5tupleIJNSE_INS8_ISJ_NS7_16discard_iteratorINS7_11use_defaultEEES9_S9_S9_S9_S9_S9_S9_S9_EEEESB_EEENSN_IJSM_SM_EEESB_PlJNSF_9not_fun_tINSF_14equal_to_valueISA_EEEEEEE10hipError_tPvRmT3_T4_T5_T6_T7_T9_mT8_P12ihipStream_tbDpT10_ENKUlT_T0_E_clISt17integral_constantIbLb0EES1J_EEDaS1E_S1F_EUlS1E_E_NS1_11comp_targetILNS1_3genE0ELNS1_11target_archE4294967295ELNS1_3gpuE0ELNS1_3repE0EEENS1_30default_config_static_selectorELNS0_4arch9wavefront6targetE0EEEvT1_
	.globl	_ZN7rocprim17ROCPRIM_400000_NS6detail17trampoline_kernelINS0_14default_configENS1_25partition_config_selectorILNS1_17partition_subalgoE6EN6thrust23THRUST_200600_302600_NS5tupleIttNS7_9null_typeES9_S9_S9_S9_S9_S9_S9_EENS0_10empty_typeEbEEZZNS1_14partition_implILS5_6ELb0ES3_mNS7_12zip_iteratorINS8_INS7_6detail15normal_iteratorINS7_10device_ptrItEEEESJ_S9_S9_S9_S9_S9_S9_S9_S9_EEEEPSB_SM_NS0_5tupleIJNSE_INS8_ISJ_NS7_16discard_iteratorINS7_11use_defaultEEES9_S9_S9_S9_S9_S9_S9_S9_EEEESB_EEENSN_IJSM_SM_EEESB_PlJNSF_9not_fun_tINSF_14equal_to_valueISA_EEEEEEE10hipError_tPvRmT3_T4_T5_T6_T7_T9_mT8_P12ihipStream_tbDpT10_ENKUlT_T0_E_clISt17integral_constantIbLb0EES1J_EEDaS1E_S1F_EUlS1E_E_NS1_11comp_targetILNS1_3genE0ELNS1_11target_archE4294967295ELNS1_3gpuE0ELNS1_3repE0EEENS1_30default_config_static_selectorELNS0_4arch9wavefront6targetE0EEEvT1_
	.p2align	8
	.type	_ZN7rocprim17ROCPRIM_400000_NS6detail17trampoline_kernelINS0_14default_configENS1_25partition_config_selectorILNS1_17partition_subalgoE6EN6thrust23THRUST_200600_302600_NS5tupleIttNS7_9null_typeES9_S9_S9_S9_S9_S9_S9_EENS0_10empty_typeEbEEZZNS1_14partition_implILS5_6ELb0ES3_mNS7_12zip_iteratorINS8_INS7_6detail15normal_iteratorINS7_10device_ptrItEEEESJ_S9_S9_S9_S9_S9_S9_S9_S9_EEEEPSB_SM_NS0_5tupleIJNSE_INS8_ISJ_NS7_16discard_iteratorINS7_11use_defaultEEES9_S9_S9_S9_S9_S9_S9_S9_EEEESB_EEENSN_IJSM_SM_EEESB_PlJNSF_9not_fun_tINSF_14equal_to_valueISA_EEEEEEE10hipError_tPvRmT3_T4_T5_T6_T7_T9_mT8_P12ihipStream_tbDpT10_ENKUlT_T0_E_clISt17integral_constantIbLb0EES1J_EEDaS1E_S1F_EUlS1E_E_NS1_11comp_targetILNS1_3genE0ELNS1_11target_archE4294967295ELNS1_3gpuE0ELNS1_3repE0EEENS1_30default_config_static_selectorELNS0_4arch9wavefront6targetE0EEEvT1_,@function
_ZN7rocprim17ROCPRIM_400000_NS6detail17trampoline_kernelINS0_14default_configENS1_25partition_config_selectorILNS1_17partition_subalgoE6EN6thrust23THRUST_200600_302600_NS5tupleIttNS7_9null_typeES9_S9_S9_S9_S9_S9_S9_EENS0_10empty_typeEbEEZZNS1_14partition_implILS5_6ELb0ES3_mNS7_12zip_iteratorINS8_INS7_6detail15normal_iteratorINS7_10device_ptrItEEEESJ_S9_S9_S9_S9_S9_S9_S9_S9_EEEEPSB_SM_NS0_5tupleIJNSE_INS8_ISJ_NS7_16discard_iteratorINS7_11use_defaultEEES9_S9_S9_S9_S9_S9_S9_S9_EEEESB_EEENSN_IJSM_SM_EEESB_PlJNSF_9not_fun_tINSF_14equal_to_valueISA_EEEEEEE10hipError_tPvRmT3_T4_T5_T6_T7_T9_mT8_P12ihipStream_tbDpT10_ENKUlT_T0_E_clISt17integral_constantIbLb0EES1J_EEDaS1E_S1F_EUlS1E_E_NS1_11comp_targetILNS1_3genE0ELNS1_11target_archE4294967295ELNS1_3gpuE0ELNS1_3repE0EEENS1_30default_config_static_selectorELNS0_4arch9wavefront6targetE0EEEvT1_: ; @_ZN7rocprim17ROCPRIM_400000_NS6detail17trampoline_kernelINS0_14default_configENS1_25partition_config_selectorILNS1_17partition_subalgoE6EN6thrust23THRUST_200600_302600_NS5tupleIttNS7_9null_typeES9_S9_S9_S9_S9_S9_S9_EENS0_10empty_typeEbEEZZNS1_14partition_implILS5_6ELb0ES3_mNS7_12zip_iteratorINS8_INS7_6detail15normal_iteratorINS7_10device_ptrItEEEESJ_S9_S9_S9_S9_S9_S9_S9_S9_EEEEPSB_SM_NS0_5tupleIJNSE_INS8_ISJ_NS7_16discard_iteratorINS7_11use_defaultEEES9_S9_S9_S9_S9_S9_S9_S9_EEEESB_EEENSN_IJSM_SM_EEESB_PlJNSF_9not_fun_tINSF_14equal_to_valueISA_EEEEEEE10hipError_tPvRmT3_T4_T5_T6_T7_T9_mT8_P12ihipStream_tbDpT10_ENKUlT_T0_E_clISt17integral_constantIbLb0EES1J_EEDaS1E_S1F_EUlS1E_E_NS1_11comp_targetILNS1_3genE0ELNS1_11target_archE4294967295ELNS1_3gpuE0ELNS1_3repE0EEENS1_30default_config_static_selectorELNS0_4arch9wavefront6targetE0EEEvT1_
; %bb.0:
	.section	.rodata,"a",@progbits
	.p2align	6, 0x0
	.amdhsa_kernel _ZN7rocprim17ROCPRIM_400000_NS6detail17trampoline_kernelINS0_14default_configENS1_25partition_config_selectorILNS1_17partition_subalgoE6EN6thrust23THRUST_200600_302600_NS5tupleIttNS7_9null_typeES9_S9_S9_S9_S9_S9_S9_EENS0_10empty_typeEbEEZZNS1_14partition_implILS5_6ELb0ES3_mNS7_12zip_iteratorINS8_INS7_6detail15normal_iteratorINS7_10device_ptrItEEEESJ_S9_S9_S9_S9_S9_S9_S9_S9_EEEEPSB_SM_NS0_5tupleIJNSE_INS8_ISJ_NS7_16discard_iteratorINS7_11use_defaultEEES9_S9_S9_S9_S9_S9_S9_S9_EEEESB_EEENSN_IJSM_SM_EEESB_PlJNSF_9not_fun_tINSF_14equal_to_valueISA_EEEEEEE10hipError_tPvRmT3_T4_T5_T6_T7_T9_mT8_P12ihipStream_tbDpT10_ENKUlT_T0_E_clISt17integral_constantIbLb0EES1J_EEDaS1E_S1F_EUlS1E_E_NS1_11comp_targetILNS1_3genE0ELNS1_11target_archE4294967295ELNS1_3gpuE0ELNS1_3repE0EEENS1_30default_config_static_selectorELNS0_4arch9wavefront6targetE0EEEvT1_
		.amdhsa_group_segment_fixed_size 0
		.amdhsa_private_segment_fixed_size 0
		.amdhsa_kernarg_size 144
		.amdhsa_user_sgpr_count 2
		.amdhsa_user_sgpr_dispatch_ptr 0
		.amdhsa_user_sgpr_queue_ptr 0
		.amdhsa_user_sgpr_kernarg_segment_ptr 1
		.amdhsa_user_sgpr_dispatch_id 0
		.amdhsa_user_sgpr_private_segment_size 0
		.amdhsa_wavefront_size32 1
		.amdhsa_uses_dynamic_stack 0
		.amdhsa_enable_private_segment 0
		.amdhsa_system_sgpr_workgroup_id_x 1
		.amdhsa_system_sgpr_workgroup_id_y 0
		.amdhsa_system_sgpr_workgroup_id_z 0
		.amdhsa_system_sgpr_workgroup_info 0
		.amdhsa_system_vgpr_workitem_id 0
		.amdhsa_next_free_vgpr 1
		.amdhsa_next_free_sgpr 1
		.amdhsa_reserve_vcc 0
		.amdhsa_float_round_mode_32 0
		.amdhsa_float_round_mode_16_64 0
		.amdhsa_float_denorm_mode_32 3
		.amdhsa_float_denorm_mode_16_64 3
		.amdhsa_fp16_overflow 0
		.amdhsa_workgroup_processor_mode 1
		.amdhsa_memory_ordered 1
		.amdhsa_forward_progress 1
		.amdhsa_inst_pref_size 0
		.amdhsa_round_robin_scheduling 0
		.amdhsa_exception_fp_ieee_invalid_op 0
		.amdhsa_exception_fp_denorm_src 0
		.amdhsa_exception_fp_ieee_div_zero 0
		.amdhsa_exception_fp_ieee_overflow 0
		.amdhsa_exception_fp_ieee_underflow 0
		.amdhsa_exception_fp_ieee_inexact 0
		.amdhsa_exception_int_div_zero 0
	.end_amdhsa_kernel
	.section	.text._ZN7rocprim17ROCPRIM_400000_NS6detail17trampoline_kernelINS0_14default_configENS1_25partition_config_selectorILNS1_17partition_subalgoE6EN6thrust23THRUST_200600_302600_NS5tupleIttNS7_9null_typeES9_S9_S9_S9_S9_S9_S9_EENS0_10empty_typeEbEEZZNS1_14partition_implILS5_6ELb0ES3_mNS7_12zip_iteratorINS8_INS7_6detail15normal_iteratorINS7_10device_ptrItEEEESJ_S9_S9_S9_S9_S9_S9_S9_S9_EEEEPSB_SM_NS0_5tupleIJNSE_INS8_ISJ_NS7_16discard_iteratorINS7_11use_defaultEEES9_S9_S9_S9_S9_S9_S9_S9_EEEESB_EEENSN_IJSM_SM_EEESB_PlJNSF_9not_fun_tINSF_14equal_to_valueISA_EEEEEEE10hipError_tPvRmT3_T4_T5_T6_T7_T9_mT8_P12ihipStream_tbDpT10_ENKUlT_T0_E_clISt17integral_constantIbLb0EES1J_EEDaS1E_S1F_EUlS1E_E_NS1_11comp_targetILNS1_3genE0ELNS1_11target_archE4294967295ELNS1_3gpuE0ELNS1_3repE0EEENS1_30default_config_static_selectorELNS0_4arch9wavefront6targetE0EEEvT1_,"axG",@progbits,_ZN7rocprim17ROCPRIM_400000_NS6detail17trampoline_kernelINS0_14default_configENS1_25partition_config_selectorILNS1_17partition_subalgoE6EN6thrust23THRUST_200600_302600_NS5tupleIttNS7_9null_typeES9_S9_S9_S9_S9_S9_S9_EENS0_10empty_typeEbEEZZNS1_14partition_implILS5_6ELb0ES3_mNS7_12zip_iteratorINS8_INS7_6detail15normal_iteratorINS7_10device_ptrItEEEESJ_S9_S9_S9_S9_S9_S9_S9_S9_EEEEPSB_SM_NS0_5tupleIJNSE_INS8_ISJ_NS7_16discard_iteratorINS7_11use_defaultEEES9_S9_S9_S9_S9_S9_S9_S9_EEEESB_EEENSN_IJSM_SM_EEESB_PlJNSF_9not_fun_tINSF_14equal_to_valueISA_EEEEEEE10hipError_tPvRmT3_T4_T5_T6_T7_T9_mT8_P12ihipStream_tbDpT10_ENKUlT_T0_E_clISt17integral_constantIbLb0EES1J_EEDaS1E_S1F_EUlS1E_E_NS1_11comp_targetILNS1_3genE0ELNS1_11target_archE4294967295ELNS1_3gpuE0ELNS1_3repE0EEENS1_30default_config_static_selectorELNS0_4arch9wavefront6targetE0EEEvT1_,comdat
.Lfunc_end1949:
	.size	_ZN7rocprim17ROCPRIM_400000_NS6detail17trampoline_kernelINS0_14default_configENS1_25partition_config_selectorILNS1_17partition_subalgoE6EN6thrust23THRUST_200600_302600_NS5tupleIttNS7_9null_typeES9_S9_S9_S9_S9_S9_S9_EENS0_10empty_typeEbEEZZNS1_14partition_implILS5_6ELb0ES3_mNS7_12zip_iteratorINS8_INS7_6detail15normal_iteratorINS7_10device_ptrItEEEESJ_S9_S9_S9_S9_S9_S9_S9_S9_EEEEPSB_SM_NS0_5tupleIJNSE_INS8_ISJ_NS7_16discard_iteratorINS7_11use_defaultEEES9_S9_S9_S9_S9_S9_S9_S9_EEEESB_EEENSN_IJSM_SM_EEESB_PlJNSF_9not_fun_tINSF_14equal_to_valueISA_EEEEEEE10hipError_tPvRmT3_T4_T5_T6_T7_T9_mT8_P12ihipStream_tbDpT10_ENKUlT_T0_E_clISt17integral_constantIbLb0EES1J_EEDaS1E_S1F_EUlS1E_E_NS1_11comp_targetILNS1_3genE0ELNS1_11target_archE4294967295ELNS1_3gpuE0ELNS1_3repE0EEENS1_30default_config_static_selectorELNS0_4arch9wavefront6targetE0EEEvT1_, .Lfunc_end1949-_ZN7rocprim17ROCPRIM_400000_NS6detail17trampoline_kernelINS0_14default_configENS1_25partition_config_selectorILNS1_17partition_subalgoE6EN6thrust23THRUST_200600_302600_NS5tupleIttNS7_9null_typeES9_S9_S9_S9_S9_S9_S9_EENS0_10empty_typeEbEEZZNS1_14partition_implILS5_6ELb0ES3_mNS7_12zip_iteratorINS8_INS7_6detail15normal_iteratorINS7_10device_ptrItEEEESJ_S9_S9_S9_S9_S9_S9_S9_S9_EEEEPSB_SM_NS0_5tupleIJNSE_INS8_ISJ_NS7_16discard_iteratorINS7_11use_defaultEEES9_S9_S9_S9_S9_S9_S9_S9_EEEESB_EEENSN_IJSM_SM_EEESB_PlJNSF_9not_fun_tINSF_14equal_to_valueISA_EEEEEEE10hipError_tPvRmT3_T4_T5_T6_T7_T9_mT8_P12ihipStream_tbDpT10_ENKUlT_T0_E_clISt17integral_constantIbLb0EES1J_EEDaS1E_S1F_EUlS1E_E_NS1_11comp_targetILNS1_3genE0ELNS1_11target_archE4294967295ELNS1_3gpuE0ELNS1_3repE0EEENS1_30default_config_static_selectorELNS0_4arch9wavefront6targetE0EEEvT1_
                                        ; -- End function
	.set _ZN7rocprim17ROCPRIM_400000_NS6detail17trampoline_kernelINS0_14default_configENS1_25partition_config_selectorILNS1_17partition_subalgoE6EN6thrust23THRUST_200600_302600_NS5tupleIttNS7_9null_typeES9_S9_S9_S9_S9_S9_S9_EENS0_10empty_typeEbEEZZNS1_14partition_implILS5_6ELb0ES3_mNS7_12zip_iteratorINS8_INS7_6detail15normal_iteratorINS7_10device_ptrItEEEESJ_S9_S9_S9_S9_S9_S9_S9_S9_EEEEPSB_SM_NS0_5tupleIJNSE_INS8_ISJ_NS7_16discard_iteratorINS7_11use_defaultEEES9_S9_S9_S9_S9_S9_S9_S9_EEEESB_EEENSN_IJSM_SM_EEESB_PlJNSF_9not_fun_tINSF_14equal_to_valueISA_EEEEEEE10hipError_tPvRmT3_T4_T5_T6_T7_T9_mT8_P12ihipStream_tbDpT10_ENKUlT_T0_E_clISt17integral_constantIbLb0EES1J_EEDaS1E_S1F_EUlS1E_E_NS1_11comp_targetILNS1_3genE0ELNS1_11target_archE4294967295ELNS1_3gpuE0ELNS1_3repE0EEENS1_30default_config_static_selectorELNS0_4arch9wavefront6targetE0EEEvT1_.num_vgpr, 0
	.set _ZN7rocprim17ROCPRIM_400000_NS6detail17trampoline_kernelINS0_14default_configENS1_25partition_config_selectorILNS1_17partition_subalgoE6EN6thrust23THRUST_200600_302600_NS5tupleIttNS7_9null_typeES9_S9_S9_S9_S9_S9_S9_EENS0_10empty_typeEbEEZZNS1_14partition_implILS5_6ELb0ES3_mNS7_12zip_iteratorINS8_INS7_6detail15normal_iteratorINS7_10device_ptrItEEEESJ_S9_S9_S9_S9_S9_S9_S9_S9_EEEEPSB_SM_NS0_5tupleIJNSE_INS8_ISJ_NS7_16discard_iteratorINS7_11use_defaultEEES9_S9_S9_S9_S9_S9_S9_S9_EEEESB_EEENSN_IJSM_SM_EEESB_PlJNSF_9not_fun_tINSF_14equal_to_valueISA_EEEEEEE10hipError_tPvRmT3_T4_T5_T6_T7_T9_mT8_P12ihipStream_tbDpT10_ENKUlT_T0_E_clISt17integral_constantIbLb0EES1J_EEDaS1E_S1F_EUlS1E_E_NS1_11comp_targetILNS1_3genE0ELNS1_11target_archE4294967295ELNS1_3gpuE0ELNS1_3repE0EEENS1_30default_config_static_selectorELNS0_4arch9wavefront6targetE0EEEvT1_.num_agpr, 0
	.set _ZN7rocprim17ROCPRIM_400000_NS6detail17trampoline_kernelINS0_14default_configENS1_25partition_config_selectorILNS1_17partition_subalgoE6EN6thrust23THRUST_200600_302600_NS5tupleIttNS7_9null_typeES9_S9_S9_S9_S9_S9_S9_EENS0_10empty_typeEbEEZZNS1_14partition_implILS5_6ELb0ES3_mNS7_12zip_iteratorINS8_INS7_6detail15normal_iteratorINS7_10device_ptrItEEEESJ_S9_S9_S9_S9_S9_S9_S9_S9_EEEEPSB_SM_NS0_5tupleIJNSE_INS8_ISJ_NS7_16discard_iteratorINS7_11use_defaultEEES9_S9_S9_S9_S9_S9_S9_S9_EEEESB_EEENSN_IJSM_SM_EEESB_PlJNSF_9not_fun_tINSF_14equal_to_valueISA_EEEEEEE10hipError_tPvRmT3_T4_T5_T6_T7_T9_mT8_P12ihipStream_tbDpT10_ENKUlT_T0_E_clISt17integral_constantIbLb0EES1J_EEDaS1E_S1F_EUlS1E_E_NS1_11comp_targetILNS1_3genE0ELNS1_11target_archE4294967295ELNS1_3gpuE0ELNS1_3repE0EEENS1_30default_config_static_selectorELNS0_4arch9wavefront6targetE0EEEvT1_.numbered_sgpr, 0
	.set _ZN7rocprim17ROCPRIM_400000_NS6detail17trampoline_kernelINS0_14default_configENS1_25partition_config_selectorILNS1_17partition_subalgoE6EN6thrust23THRUST_200600_302600_NS5tupleIttNS7_9null_typeES9_S9_S9_S9_S9_S9_S9_EENS0_10empty_typeEbEEZZNS1_14partition_implILS5_6ELb0ES3_mNS7_12zip_iteratorINS8_INS7_6detail15normal_iteratorINS7_10device_ptrItEEEESJ_S9_S9_S9_S9_S9_S9_S9_S9_EEEEPSB_SM_NS0_5tupleIJNSE_INS8_ISJ_NS7_16discard_iteratorINS7_11use_defaultEEES9_S9_S9_S9_S9_S9_S9_S9_EEEESB_EEENSN_IJSM_SM_EEESB_PlJNSF_9not_fun_tINSF_14equal_to_valueISA_EEEEEEE10hipError_tPvRmT3_T4_T5_T6_T7_T9_mT8_P12ihipStream_tbDpT10_ENKUlT_T0_E_clISt17integral_constantIbLb0EES1J_EEDaS1E_S1F_EUlS1E_E_NS1_11comp_targetILNS1_3genE0ELNS1_11target_archE4294967295ELNS1_3gpuE0ELNS1_3repE0EEENS1_30default_config_static_selectorELNS0_4arch9wavefront6targetE0EEEvT1_.num_named_barrier, 0
	.set _ZN7rocprim17ROCPRIM_400000_NS6detail17trampoline_kernelINS0_14default_configENS1_25partition_config_selectorILNS1_17partition_subalgoE6EN6thrust23THRUST_200600_302600_NS5tupleIttNS7_9null_typeES9_S9_S9_S9_S9_S9_S9_EENS0_10empty_typeEbEEZZNS1_14partition_implILS5_6ELb0ES3_mNS7_12zip_iteratorINS8_INS7_6detail15normal_iteratorINS7_10device_ptrItEEEESJ_S9_S9_S9_S9_S9_S9_S9_S9_EEEEPSB_SM_NS0_5tupleIJNSE_INS8_ISJ_NS7_16discard_iteratorINS7_11use_defaultEEES9_S9_S9_S9_S9_S9_S9_S9_EEEESB_EEENSN_IJSM_SM_EEESB_PlJNSF_9not_fun_tINSF_14equal_to_valueISA_EEEEEEE10hipError_tPvRmT3_T4_T5_T6_T7_T9_mT8_P12ihipStream_tbDpT10_ENKUlT_T0_E_clISt17integral_constantIbLb0EES1J_EEDaS1E_S1F_EUlS1E_E_NS1_11comp_targetILNS1_3genE0ELNS1_11target_archE4294967295ELNS1_3gpuE0ELNS1_3repE0EEENS1_30default_config_static_selectorELNS0_4arch9wavefront6targetE0EEEvT1_.private_seg_size, 0
	.set _ZN7rocprim17ROCPRIM_400000_NS6detail17trampoline_kernelINS0_14default_configENS1_25partition_config_selectorILNS1_17partition_subalgoE6EN6thrust23THRUST_200600_302600_NS5tupleIttNS7_9null_typeES9_S9_S9_S9_S9_S9_S9_EENS0_10empty_typeEbEEZZNS1_14partition_implILS5_6ELb0ES3_mNS7_12zip_iteratorINS8_INS7_6detail15normal_iteratorINS7_10device_ptrItEEEESJ_S9_S9_S9_S9_S9_S9_S9_S9_EEEEPSB_SM_NS0_5tupleIJNSE_INS8_ISJ_NS7_16discard_iteratorINS7_11use_defaultEEES9_S9_S9_S9_S9_S9_S9_S9_EEEESB_EEENSN_IJSM_SM_EEESB_PlJNSF_9not_fun_tINSF_14equal_to_valueISA_EEEEEEE10hipError_tPvRmT3_T4_T5_T6_T7_T9_mT8_P12ihipStream_tbDpT10_ENKUlT_T0_E_clISt17integral_constantIbLb0EES1J_EEDaS1E_S1F_EUlS1E_E_NS1_11comp_targetILNS1_3genE0ELNS1_11target_archE4294967295ELNS1_3gpuE0ELNS1_3repE0EEENS1_30default_config_static_selectorELNS0_4arch9wavefront6targetE0EEEvT1_.uses_vcc, 0
	.set _ZN7rocprim17ROCPRIM_400000_NS6detail17trampoline_kernelINS0_14default_configENS1_25partition_config_selectorILNS1_17partition_subalgoE6EN6thrust23THRUST_200600_302600_NS5tupleIttNS7_9null_typeES9_S9_S9_S9_S9_S9_S9_EENS0_10empty_typeEbEEZZNS1_14partition_implILS5_6ELb0ES3_mNS7_12zip_iteratorINS8_INS7_6detail15normal_iteratorINS7_10device_ptrItEEEESJ_S9_S9_S9_S9_S9_S9_S9_S9_EEEEPSB_SM_NS0_5tupleIJNSE_INS8_ISJ_NS7_16discard_iteratorINS7_11use_defaultEEES9_S9_S9_S9_S9_S9_S9_S9_EEEESB_EEENSN_IJSM_SM_EEESB_PlJNSF_9not_fun_tINSF_14equal_to_valueISA_EEEEEEE10hipError_tPvRmT3_T4_T5_T6_T7_T9_mT8_P12ihipStream_tbDpT10_ENKUlT_T0_E_clISt17integral_constantIbLb0EES1J_EEDaS1E_S1F_EUlS1E_E_NS1_11comp_targetILNS1_3genE0ELNS1_11target_archE4294967295ELNS1_3gpuE0ELNS1_3repE0EEENS1_30default_config_static_selectorELNS0_4arch9wavefront6targetE0EEEvT1_.uses_flat_scratch, 0
	.set _ZN7rocprim17ROCPRIM_400000_NS6detail17trampoline_kernelINS0_14default_configENS1_25partition_config_selectorILNS1_17partition_subalgoE6EN6thrust23THRUST_200600_302600_NS5tupleIttNS7_9null_typeES9_S9_S9_S9_S9_S9_S9_EENS0_10empty_typeEbEEZZNS1_14partition_implILS5_6ELb0ES3_mNS7_12zip_iteratorINS8_INS7_6detail15normal_iteratorINS7_10device_ptrItEEEESJ_S9_S9_S9_S9_S9_S9_S9_S9_EEEEPSB_SM_NS0_5tupleIJNSE_INS8_ISJ_NS7_16discard_iteratorINS7_11use_defaultEEES9_S9_S9_S9_S9_S9_S9_S9_EEEESB_EEENSN_IJSM_SM_EEESB_PlJNSF_9not_fun_tINSF_14equal_to_valueISA_EEEEEEE10hipError_tPvRmT3_T4_T5_T6_T7_T9_mT8_P12ihipStream_tbDpT10_ENKUlT_T0_E_clISt17integral_constantIbLb0EES1J_EEDaS1E_S1F_EUlS1E_E_NS1_11comp_targetILNS1_3genE0ELNS1_11target_archE4294967295ELNS1_3gpuE0ELNS1_3repE0EEENS1_30default_config_static_selectorELNS0_4arch9wavefront6targetE0EEEvT1_.has_dyn_sized_stack, 0
	.set _ZN7rocprim17ROCPRIM_400000_NS6detail17trampoline_kernelINS0_14default_configENS1_25partition_config_selectorILNS1_17partition_subalgoE6EN6thrust23THRUST_200600_302600_NS5tupleIttNS7_9null_typeES9_S9_S9_S9_S9_S9_S9_EENS0_10empty_typeEbEEZZNS1_14partition_implILS5_6ELb0ES3_mNS7_12zip_iteratorINS8_INS7_6detail15normal_iteratorINS7_10device_ptrItEEEESJ_S9_S9_S9_S9_S9_S9_S9_S9_EEEEPSB_SM_NS0_5tupleIJNSE_INS8_ISJ_NS7_16discard_iteratorINS7_11use_defaultEEES9_S9_S9_S9_S9_S9_S9_S9_EEEESB_EEENSN_IJSM_SM_EEESB_PlJNSF_9not_fun_tINSF_14equal_to_valueISA_EEEEEEE10hipError_tPvRmT3_T4_T5_T6_T7_T9_mT8_P12ihipStream_tbDpT10_ENKUlT_T0_E_clISt17integral_constantIbLb0EES1J_EEDaS1E_S1F_EUlS1E_E_NS1_11comp_targetILNS1_3genE0ELNS1_11target_archE4294967295ELNS1_3gpuE0ELNS1_3repE0EEENS1_30default_config_static_selectorELNS0_4arch9wavefront6targetE0EEEvT1_.has_recursion, 0
	.set _ZN7rocprim17ROCPRIM_400000_NS6detail17trampoline_kernelINS0_14default_configENS1_25partition_config_selectorILNS1_17partition_subalgoE6EN6thrust23THRUST_200600_302600_NS5tupleIttNS7_9null_typeES9_S9_S9_S9_S9_S9_S9_EENS0_10empty_typeEbEEZZNS1_14partition_implILS5_6ELb0ES3_mNS7_12zip_iteratorINS8_INS7_6detail15normal_iteratorINS7_10device_ptrItEEEESJ_S9_S9_S9_S9_S9_S9_S9_S9_EEEEPSB_SM_NS0_5tupleIJNSE_INS8_ISJ_NS7_16discard_iteratorINS7_11use_defaultEEES9_S9_S9_S9_S9_S9_S9_S9_EEEESB_EEENSN_IJSM_SM_EEESB_PlJNSF_9not_fun_tINSF_14equal_to_valueISA_EEEEEEE10hipError_tPvRmT3_T4_T5_T6_T7_T9_mT8_P12ihipStream_tbDpT10_ENKUlT_T0_E_clISt17integral_constantIbLb0EES1J_EEDaS1E_S1F_EUlS1E_E_NS1_11comp_targetILNS1_3genE0ELNS1_11target_archE4294967295ELNS1_3gpuE0ELNS1_3repE0EEENS1_30default_config_static_selectorELNS0_4arch9wavefront6targetE0EEEvT1_.has_indirect_call, 0
	.section	.AMDGPU.csdata,"",@progbits
; Kernel info:
; codeLenInByte = 0
; TotalNumSgprs: 0
; NumVgprs: 0
; ScratchSize: 0
; MemoryBound: 0
; FloatMode: 240
; IeeeMode: 1
; LDSByteSize: 0 bytes/workgroup (compile time only)
; SGPRBlocks: 0
; VGPRBlocks: 0
; NumSGPRsForWavesPerEU: 1
; NumVGPRsForWavesPerEU: 1
; Occupancy: 16
; WaveLimiterHint : 0
; COMPUTE_PGM_RSRC2:SCRATCH_EN: 0
; COMPUTE_PGM_RSRC2:USER_SGPR: 2
; COMPUTE_PGM_RSRC2:TRAP_HANDLER: 0
; COMPUTE_PGM_RSRC2:TGID_X_EN: 1
; COMPUTE_PGM_RSRC2:TGID_Y_EN: 0
; COMPUTE_PGM_RSRC2:TGID_Z_EN: 0
; COMPUTE_PGM_RSRC2:TIDIG_COMP_CNT: 0
	.section	.text._ZN7rocprim17ROCPRIM_400000_NS6detail17trampoline_kernelINS0_14default_configENS1_25partition_config_selectorILNS1_17partition_subalgoE6EN6thrust23THRUST_200600_302600_NS5tupleIttNS7_9null_typeES9_S9_S9_S9_S9_S9_S9_EENS0_10empty_typeEbEEZZNS1_14partition_implILS5_6ELb0ES3_mNS7_12zip_iteratorINS8_INS7_6detail15normal_iteratorINS7_10device_ptrItEEEESJ_S9_S9_S9_S9_S9_S9_S9_S9_EEEEPSB_SM_NS0_5tupleIJNSE_INS8_ISJ_NS7_16discard_iteratorINS7_11use_defaultEEES9_S9_S9_S9_S9_S9_S9_S9_EEEESB_EEENSN_IJSM_SM_EEESB_PlJNSF_9not_fun_tINSF_14equal_to_valueISA_EEEEEEE10hipError_tPvRmT3_T4_T5_T6_T7_T9_mT8_P12ihipStream_tbDpT10_ENKUlT_T0_E_clISt17integral_constantIbLb0EES1J_EEDaS1E_S1F_EUlS1E_E_NS1_11comp_targetILNS1_3genE5ELNS1_11target_archE942ELNS1_3gpuE9ELNS1_3repE0EEENS1_30default_config_static_selectorELNS0_4arch9wavefront6targetE0EEEvT1_,"axG",@progbits,_ZN7rocprim17ROCPRIM_400000_NS6detail17trampoline_kernelINS0_14default_configENS1_25partition_config_selectorILNS1_17partition_subalgoE6EN6thrust23THRUST_200600_302600_NS5tupleIttNS7_9null_typeES9_S9_S9_S9_S9_S9_S9_EENS0_10empty_typeEbEEZZNS1_14partition_implILS5_6ELb0ES3_mNS7_12zip_iteratorINS8_INS7_6detail15normal_iteratorINS7_10device_ptrItEEEESJ_S9_S9_S9_S9_S9_S9_S9_S9_EEEEPSB_SM_NS0_5tupleIJNSE_INS8_ISJ_NS7_16discard_iteratorINS7_11use_defaultEEES9_S9_S9_S9_S9_S9_S9_S9_EEEESB_EEENSN_IJSM_SM_EEESB_PlJNSF_9not_fun_tINSF_14equal_to_valueISA_EEEEEEE10hipError_tPvRmT3_T4_T5_T6_T7_T9_mT8_P12ihipStream_tbDpT10_ENKUlT_T0_E_clISt17integral_constantIbLb0EES1J_EEDaS1E_S1F_EUlS1E_E_NS1_11comp_targetILNS1_3genE5ELNS1_11target_archE942ELNS1_3gpuE9ELNS1_3repE0EEENS1_30default_config_static_selectorELNS0_4arch9wavefront6targetE0EEEvT1_,comdat
	.protected	_ZN7rocprim17ROCPRIM_400000_NS6detail17trampoline_kernelINS0_14default_configENS1_25partition_config_selectorILNS1_17partition_subalgoE6EN6thrust23THRUST_200600_302600_NS5tupleIttNS7_9null_typeES9_S9_S9_S9_S9_S9_S9_EENS0_10empty_typeEbEEZZNS1_14partition_implILS5_6ELb0ES3_mNS7_12zip_iteratorINS8_INS7_6detail15normal_iteratorINS7_10device_ptrItEEEESJ_S9_S9_S9_S9_S9_S9_S9_S9_EEEEPSB_SM_NS0_5tupleIJNSE_INS8_ISJ_NS7_16discard_iteratorINS7_11use_defaultEEES9_S9_S9_S9_S9_S9_S9_S9_EEEESB_EEENSN_IJSM_SM_EEESB_PlJNSF_9not_fun_tINSF_14equal_to_valueISA_EEEEEEE10hipError_tPvRmT3_T4_T5_T6_T7_T9_mT8_P12ihipStream_tbDpT10_ENKUlT_T0_E_clISt17integral_constantIbLb0EES1J_EEDaS1E_S1F_EUlS1E_E_NS1_11comp_targetILNS1_3genE5ELNS1_11target_archE942ELNS1_3gpuE9ELNS1_3repE0EEENS1_30default_config_static_selectorELNS0_4arch9wavefront6targetE0EEEvT1_ ; -- Begin function _ZN7rocprim17ROCPRIM_400000_NS6detail17trampoline_kernelINS0_14default_configENS1_25partition_config_selectorILNS1_17partition_subalgoE6EN6thrust23THRUST_200600_302600_NS5tupleIttNS7_9null_typeES9_S9_S9_S9_S9_S9_S9_EENS0_10empty_typeEbEEZZNS1_14partition_implILS5_6ELb0ES3_mNS7_12zip_iteratorINS8_INS7_6detail15normal_iteratorINS7_10device_ptrItEEEESJ_S9_S9_S9_S9_S9_S9_S9_S9_EEEEPSB_SM_NS0_5tupleIJNSE_INS8_ISJ_NS7_16discard_iteratorINS7_11use_defaultEEES9_S9_S9_S9_S9_S9_S9_S9_EEEESB_EEENSN_IJSM_SM_EEESB_PlJNSF_9not_fun_tINSF_14equal_to_valueISA_EEEEEEE10hipError_tPvRmT3_T4_T5_T6_T7_T9_mT8_P12ihipStream_tbDpT10_ENKUlT_T0_E_clISt17integral_constantIbLb0EES1J_EEDaS1E_S1F_EUlS1E_E_NS1_11comp_targetILNS1_3genE5ELNS1_11target_archE942ELNS1_3gpuE9ELNS1_3repE0EEENS1_30default_config_static_selectorELNS0_4arch9wavefront6targetE0EEEvT1_
	.globl	_ZN7rocprim17ROCPRIM_400000_NS6detail17trampoline_kernelINS0_14default_configENS1_25partition_config_selectorILNS1_17partition_subalgoE6EN6thrust23THRUST_200600_302600_NS5tupleIttNS7_9null_typeES9_S9_S9_S9_S9_S9_S9_EENS0_10empty_typeEbEEZZNS1_14partition_implILS5_6ELb0ES3_mNS7_12zip_iteratorINS8_INS7_6detail15normal_iteratorINS7_10device_ptrItEEEESJ_S9_S9_S9_S9_S9_S9_S9_S9_EEEEPSB_SM_NS0_5tupleIJNSE_INS8_ISJ_NS7_16discard_iteratorINS7_11use_defaultEEES9_S9_S9_S9_S9_S9_S9_S9_EEEESB_EEENSN_IJSM_SM_EEESB_PlJNSF_9not_fun_tINSF_14equal_to_valueISA_EEEEEEE10hipError_tPvRmT3_T4_T5_T6_T7_T9_mT8_P12ihipStream_tbDpT10_ENKUlT_T0_E_clISt17integral_constantIbLb0EES1J_EEDaS1E_S1F_EUlS1E_E_NS1_11comp_targetILNS1_3genE5ELNS1_11target_archE942ELNS1_3gpuE9ELNS1_3repE0EEENS1_30default_config_static_selectorELNS0_4arch9wavefront6targetE0EEEvT1_
	.p2align	8
	.type	_ZN7rocprim17ROCPRIM_400000_NS6detail17trampoline_kernelINS0_14default_configENS1_25partition_config_selectorILNS1_17partition_subalgoE6EN6thrust23THRUST_200600_302600_NS5tupleIttNS7_9null_typeES9_S9_S9_S9_S9_S9_S9_EENS0_10empty_typeEbEEZZNS1_14partition_implILS5_6ELb0ES3_mNS7_12zip_iteratorINS8_INS7_6detail15normal_iteratorINS7_10device_ptrItEEEESJ_S9_S9_S9_S9_S9_S9_S9_S9_EEEEPSB_SM_NS0_5tupleIJNSE_INS8_ISJ_NS7_16discard_iteratorINS7_11use_defaultEEES9_S9_S9_S9_S9_S9_S9_S9_EEEESB_EEENSN_IJSM_SM_EEESB_PlJNSF_9not_fun_tINSF_14equal_to_valueISA_EEEEEEE10hipError_tPvRmT3_T4_T5_T6_T7_T9_mT8_P12ihipStream_tbDpT10_ENKUlT_T0_E_clISt17integral_constantIbLb0EES1J_EEDaS1E_S1F_EUlS1E_E_NS1_11comp_targetILNS1_3genE5ELNS1_11target_archE942ELNS1_3gpuE9ELNS1_3repE0EEENS1_30default_config_static_selectorELNS0_4arch9wavefront6targetE0EEEvT1_,@function
_ZN7rocprim17ROCPRIM_400000_NS6detail17trampoline_kernelINS0_14default_configENS1_25partition_config_selectorILNS1_17partition_subalgoE6EN6thrust23THRUST_200600_302600_NS5tupleIttNS7_9null_typeES9_S9_S9_S9_S9_S9_S9_EENS0_10empty_typeEbEEZZNS1_14partition_implILS5_6ELb0ES3_mNS7_12zip_iteratorINS8_INS7_6detail15normal_iteratorINS7_10device_ptrItEEEESJ_S9_S9_S9_S9_S9_S9_S9_S9_EEEEPSB_SM_NS0_5tupleIJNSE_INS8_ISJ_NS7_16discard_iteratorINS7_11use_defaultEEES9_S9_S9_S9_S9_S9_S9_S9_EEEESB_EEENSN_IJSM_SM_EEESB_PlJNSF_9not_fun_tINSF_14equal_to_valueISA_EEEEEEE10hipError_tPvRmT3_T4_T5_T6_T7_T9_mT8_P12ihipStream_tbDpT10_ENKUlT_T0_E_clISt17integral_constantIbLb0EES1J_EEDaS1E_S1F_EUlS1E_E_NS1_11comp_targetILNS1_3genE5ELNS1_11target_archE942ELNS1_3gpuE9ELNS1_3repE0EEENS1_30default_config_static_selectorELNS0_4arch9wavefront6targetE0EEEvT1_: ; @_ZN7rocprim17ROCPRIM_400000_NS6detail17trampoline_kernelINS0_14default_configENS1_25partition_config_selectorILNS1_17partition_subalgoE6EN6thrust23THRUST_200600_302600_NS5tupleIttNS7_9null_typeES9_S9_S9_S9_S9_S9_S9_EENS0_10empty_typeEbEEZZNS1_14partition_implILS5_6ELb0ES3_mNS7_12zip_iteratorINS8_INS7_6detail15normal_iteratorINS7_10device_ptrItEEEESJ_S9_S9_S9_S9_S9_S9_S9_S9_EEEEPSB_SM_NS0_5tupleIJNSE_INS8_ISJ_NS7_16discard_iteratorINS7_11use_defaultEEES9_S9_S9_S9_S9_S9_S9_S9_EEEESB_EEENSN_IJSM_SM_EEESB_PlJNSF_9not_fun_tINSF_14equal_to_valueISA_EEEEEEE10hipError_tPvRmT3_T4_T5_T6_T7_T9_mT8_P12ihipStream_tbDpT10_ENKUlT_T0_E_clISt17integral_constantIbLb0EES1J_EEDaS1E_S1F_EUlS1E_E_NS1_11comp_targetILNS1_3genE5ELNS1_11target_archE942ELNS1_3gpuE9ELNS1_3repE0EEENS1_30default_config_static_selectorELNS0_4arch9wavefront6targetE0EEEvT1_
; %bb.0:
	.section	.rodata,"a",@progbits
	.p2align	6, 0x0
	.amdhsa_kernel _ZN7rocprim17ROCPRIM_400000_NS6detail17trampoline_kernelINS0_14default_configENS1_25partition_config_selectorILNS1_17partition_subalgoE6EN6thrust23THRUST_200600_302600_NS5tupleIttNS7_9null_typeES9_S9_S9_S9_S9_S9_S9_EENS0_10empty_typeEbEEZZNS1_14partition_implILS5_6ELb0ES3_mNS7_12zip_iteratorINS8_INS7_6detail15normal_iteratorINS7_10device_ptrItEEEESJ_S9_S9_S9_S9_S9_S9_S9_S9_EEEEPSB_SM_NS0_5tupleIJNSE_INS8_ISJ_NS7_16discard_iteratorINS7_11use_defaultEEES9_S9_S9_S9_S9_S9_S9_S9_EEEESB_EEENSN_IJSM_SM_EEESB_PlJNSF_9not_fun_tINSF_14equal_to_valueISA_EEEEEEE10hipError_tPvRmT3_T4_T5_T6_T7_T9_mT8_P12ihipStream_tbDpT10_ENKUlT_T0_E_clISt17integral_constantIbLb0EES1J_EEDaS1E_S1F_EUlS1E_E_NS1_11comp_targetILNS1_3genE5ELNS1_11target_archE942ELNS1_3gpuE9ELNS1_3repE0EEENS1_30default_config_static_selectorELNS0_4arch9wavefront6targetE0EEEvT1_
		.amdhsa_group_segment_fixed_size 0
		.amdhsa_private_segment_fixed_size 0
		.amdhsa_kernarg_size 144
		.amdhsa_user_sgpr_count 2
		.amdhsa_user_sgpr_dispatch_ptr 0
		.amdhsa_user_sgpr_queue_ptr 0
		.amdhsa_user_sgpr_kernarg_segment_ptr 1
		.amdhsa_user_sgpr_dispatch_id 0
		.amdhsa_user_sgpr_private_segment_size 0
		.amdhsa_wavefront_size32 1
		.amdhsa_uses_dynamic_stack 0
		.amdhsa_enable_private_segment 0
		.amdhsa_system_sgpr_workgroup_id_x 1
		.amdhsa_system_sgpr_workgroup_id_y 0
		.amdhsa_system_sgpr_workgroup_id_z 0
		.amdhsa_system_sgpr_workgroup_info 0
		.amdhsa_system_vgpr_workitem_id 0
		.amdhsa_next_free_vgpr 1
		.amdhsa_next_free_sgpr 1
		.amdhsa_reserve_vcc 0
		.amdhsa_float_round_mode_32 0
		.amdhsa_float_round_mode_16_64 0
		.amdhsa_float_denorm_mode_32 3
		.amdhsa_float_denorm_mode_16_64 3
		.amdhsa_fp16_overflow 0
		.amdhsa_workgroup_processor_mode 1
		.amdhsa_memory_ordered 1
		.amdhsa_forward_progress 1
		.amdhsa_inst_pref_size 0
		.amdhsa_round_robin_scheduling 0
		.amdhsa_exception_fp_ieee_invalid_op 0
		.amdhsa_exception_fp_denorm_src 0
		.amdhsa_exception_fp_ieee_div_zero 0
		.amdhsa_exception_fp_ieee_overflow 0
		.amdhsa_exception_fp_ieee_underflow 0
		.amdhsa_exception_fp_ieee_inexact 0
		.amdhsa_exception_int_div_zero 0
	.end_amdhsa_kernel
	.section	.text._ZN7rocprim17ROCPRIM_400000_NS6detail17trampoline_kernelINS0_14default_configENS1_25partition_config_selectorILNS1_17partition_subalgoE6EN6thrust23THRUST_200600_302600_NS5tupleIttNS7_9null_typeES9_S9_S9_S9_S9_S9_S9_EENS0_10empty_typeEbEEZZNS1_14partition_implILS5_6ELb0ES3_mNS7_12zip_iteratorINS8_INS7_6detail15normal_iteratorINS7_10device_ptrItEEEESJ_S9_S9_S9_S9_S9_S9_S9_S9_EEEEPSB_SM_NS0_5tupleIJNSE_INS8_ISJ_NS7_16discard_iteratorINS7_11use_defaultEEES9_S9_S9_S9_S9_S9_S9_S9_EEEESB_EEENSN_IJSM_SM_EEESB_PlJNSF_9not_fun_tINSF_14equal_to_valueISA_EEEEEEE10hipError_tPvRmT3_T4_T5_T6_T7_T9_mT8_P12ihipStream_tbDpT10_ENKUlT_T0_E_clISt17integral_constantIbLb0EES1J_EEDaS1E_S1F_EUlS1E_E_NS1_11comp_targetILNS1_3genE5ELNS1_11target_archE942ELNS1_3gpuE9ELNS1_3repE0EEENS1_30default_config_static_selectorELNS0_4arch9wavefront6targetE0EEEvT1_,"axG",@progbits,_ZN7rocprim17ROCPRIM_400000_NS6detail17trampoline_kernelINS0_14default_configENS1_25partition_config_selectorILNS1_17partition_subalgoE6EN6thrust23THRUST_200600_302600_NS5tupleIttNS7_9null_typeES9_S9_S9_S9_S9_S9_S9_EENS0_10empty_typeEbEEZZNS1_14partition_implILS5_6ELb0ES3_mNS7_12zip_iteratorINS8_INS7_6detail15normal_iteratorINS7_10device_ptrItEEEESJ_S9_S9_S9_S9_S9_S9_S9_S9_EEEEPSB_SM_NS0_5tupleIJNSE_INS8_ISJ_NS7_16discard_iteratorINS7_11use_defaultEEES9_S9_S9_S9_S9_S9_S9_S9_EEEESB_EEENSN_IJSM_SM_EEESB_PlJNSF_9not_fun_tINSF_14equal_to_valueISA_EEEEEEE10hipError_tPvRmT3_T4_T5_T6_T7_T9_mT8_P12ihipStream_tbDpT10_ENKUlT_T0_E_clISt17integral_constantIbLb0EES1J_EEDaS1E_S1F_EUlS1E_E_NS1_11comp_targetILNS1_3genE5ELNS1_11target_archE942ELNS1_3gpuE9ELNS1_3repE0EEENS1_30default_config_static_selectorELNS0_4arch9wavefront6targetE0EEEvT1_,comdat
.Lfunc_end1950:
	.size	_ZN7rocprim17ROCPRIM_400000_NS6detail17trampoline_kernelINS0_14default_configENS1_25partition_config_selectorILNS1_17partition_subalgoE6EN6thrust23THRUST_200600_302600_NS5tupleIttNS7_9null_typeES9_S9_S9_S9_S9_S9_S9_EENS0_10empty_typeEbEEZZNS1_14partition_implILS5_6ELb0ES3_mNS7_12zip_iteratorINS8_INS7_6detail15normal_iteratorINS7_10device_ptrItEEEESJ_S9_S9_S9_S9_S9_S9_S9_S9_EEEEPSB_SM_NS0_5tupleIJNSE_INS8_ISJ_NS7_16discard_iteratorINS7_11use_defaultEEES9_S9_S9_S9_S9_S9_S9_S9_EEEESB_EEENSN_IJSM_SM_EEESB_PlJNSF_9not_fun_tINSF_14equal_to_valueISA_EEEEEEE10hipError_tPvRmT3_T4_T5_T6_T7_T9_mT8_P12ihipStream_tbDpT10_ENKUlT_T0_E_clISt17integral_constantIbLb0EES1J_EEDaS1E_S1F_EUlS1E_E_NS1_11comp_targetILNS1_3genE5ELNS1_11target_archE942ELNS1_3gpuE9ELNS1_3repE0EEENS1_30default_config_static_selectorELNS0_4arch9wavefront6targetE0EEEvT1_, .Lfunc_end1950-_ZN7rocprim17ROCPRIM_400000_NS6detail17trampoline_kernelINS0_14default_configENS1_25partition_config_selectorILNS1_17partition_subalgoE6EN6thrust23THRUST_200600_302600_NS5tupleIttNS7_9null_typeES9_S9_S9_S9_S9_S9_S9_EENS0_10empty_typeEbEEZZNS1_14partition_implILS5_6ELb0ES3_mNS7_12zip_iteratorINS8_INS7_6detail15normal_iteratorINS7_10device_ptrItEEEESJ_S9_S9_S9_S9_S9_S9_S9_S9_EEEEPSB_SM_NS0_5tupleIJNSE_INS8_ISJ_NS7_16discard_iteratorINS7_11use_defaultEEES9_S9_S9_S9_S9_S9_S9_S9_EEEESB_EEENSN_IJSM_SM_EEESB_PlJNSF_9not_fun_tINSF_14equal_to_valueISA_EEEEEEE10hipError_tPvRmT3_T4_T5_T6_T7_T9_mT8_P12ihipStream_tbDpT10_ENKUlT_T0_E_clISt17integral_constantIbLb0EES1J_EEDaS1E_S1F_EUlS1E_E_NS1_11comp_targetILNS1_3genE5ELNS1_11target_archE942ELNS1_3gpuE9ELNS1_3repE0EEENS1_30default_config_static_selectorELNS0_4arch9wavefront6targetE0EEEvT1_
                                        ; -- End function
	.set _ZN7rocprim17ROCPRIM_400000_NS6detail17trampoline_kernelINS0_14default_configENS1_25partition_config_selectorILNS1_17partition_subalgoE6EN6thrust23THRUST_200600_302600_NS5tupleIttNS7_9null_typeES9_S9_S9_S9_S9_S9_S9_EENS0_10empty_typeEbEEZZNS1_14partition_implILS5_6ELb0ES3_mNS7_12zip_iteratorINS8_INS7_6detail15normal_iteratorINS7_10device_ptrItEEEESJ_S9_S9_S9_S9_S9_S9_S9_S9_EEEEPSB_SM_NS0_5tupleIJNSE_INS8_ISJ_NS7_16discard_iteratorINS7_11use_defaultEEES9_S9_S9_S9_S9_S9_S9_S9_EEEESB_EEENSN_IJSM_SM_EEESB_PlJNSF_9not_fun_tINSF_14equal_to_valueISA_EEEEEEE10hipError_tPvRmT3_T4_T5_T6_T7_T9_mT8_P12ihipStream_tbDpT10_ENKUlT_T0_E_clISt17integral_constantIbLb0EES1J_EEDaS1E_S1F_EUlS1E_E_NS1_11comp_targetILNS1_3genE5ELNS1_11target_archE942ELNS1_3gpuE9ELNS1_3repE0EEENS1_30default_config_static_selectorELNS0_4arch9wavefront6targetE0EEEvT1_.num_vgpr, 0
	.set _ZN7rocprim17ROCPRIM_400000_NS6detail17trampoline_kernelINS0_14default_configENS1_25partition_config_selectorILNS1_17partition_subalgoE6EN6thrust23THRUST_200600_302600_NS5tupleIttNS7_9null_typeES9_S9_S9_S9_S9_S9_S9_EENS0_10empty_typeEbEEZZNS1_14partition_implILS5_6ELb0ES3_mNS7_12zip_iteratorINS8_INS7_6detail15normal_iteratorINS7_10device_ptrItEEEESJ_S9_S9_S9_S9_S9_S9_S9_S9_EEEEPSB_SM_NS0_5tupleIJNSE_INS8_ISJ_NS7_16discard_iteratorINS7_11use_defaultEEES9_S9_S9_S9_S9_S9_S9_S9_EEEESB_EEENSN_IJSM_SM_EEESB_PlJNSF_9not_fun_tINSF_14equal_to_valueISA_EEEEEEE10hipError_tPvRmT3_T4_T5_T6_T7_T9_mT8_P12ihipStream_tbDpT10_ENKUlT_T0_E_clISt17integral_constantIbLb0EES1J_EEDaS1E_S1F_EUlS1E_E_NS1_11comp_targetILNS1_3genE5ELNS1_11target_archE942ELNS1_3gpuE9ELNS1_3repE0EEENS1_30default_config_static_selectorELNS0_4arch9wavefront6targetE0EEEvT1_.num_agpr, 0
	.set _ZN7rocprim17ROCPRIM_400000_NS6detail17trampoline_kernelINS0_14default_configENS1_25partition_config_selectorILNS1_17partition_subalgoE6EN6thrust23THRUST_200600_302600_NS5tupleIttNS7_9null_typeES9_S9_S9_S9_S9_S9_S9_EENS0_10empty_typeEbEEZZNS1_14partition_implILS5_6ELb0ES3_mNS7_12zip_iteratorINS8_INS7_6detail15normal_iteratorINS7_10device_ptrItEEEESJ_S9_S9_S9_S9_S9_S9_S9_S9_EEEEPSB_SM_NS0_5tupleIJNSE_INS8_ISJ_NS7_16discard_iteratorINS7_11use_defaultEEES9_S9_S9_S9_S9_S9_S9_S9_EEEESB_EEENSN_IJSM_SM_EEESB_PlJNSF_9not_fun_tINSF_14equal_to_valueISA_EEEEEEE10hipError_tPvRmT3_T4_T5_T6_T7_T9_mT8_P12ihipStream_tbDpT10_ENKUlT_T0_E_clISt17integral_constantIbLb0EES1J_EEDaS1E_S1F_EUlS1E_E_NS1_11comp_targetILNS1_3genE5ELNS1_11target_archE942ELNS1_3gpuE9ELNS1_3repE0EEENS1_30default_config_static_selectorELNS0_4arch9wavefront6targetE0EEEvT1_.numbered_sgpr, 0
	.set _ZN7rocprim17ROCPRIM_400000_NS6detail17trampoline_kernelINS0_14default_configENS1_25partition_config_selectorILNS1_17partition_subalgoE6EN6thrust23THRUST_200600_302600_NS5tupleIttNS7_9null_typeES9_S9_S9_S9_S9_S9_S9_EENS0_10empty_typeEbEEZZNS1_14partition_implILS5_6ELb0ES3_mNS7_12zip_iteratorINS8_INS7_6detail15normal_iteratorINS7_10device_ptrItEEEESJ_S9_S9_S9_S9_S9_S9_S9_S9_EEEEPSB_SM_NS0_5tupleIJNSE_INS8_ISJ_NS7_16discard_iteratorINS7_11use_defaultEEES9_S9_S9_S9_S9_S9_S9_S9_EEEESB_EEENSN_IJSM_SM_EEESB_PlJNSF_9not_fun_tINSF_14equal_to_valueISA_EEEEEEE10hipError_tPvRmT3_T4_T5_T6_T7_T9_mT8_P12ihipStream_tbDpT10_ENKUlT_T0_E_clISt17integral_constantIbLb0EES1J_EEDaS1E_S1F_EUlS1E_E_NS1_11comp_targetILNS1_3genE5ELNS1_11target_archE942ELNS1_3gpuE9ELNS1_3repE0EEENS1_30default_config_static_selectorELNS0_4arch9wavefront6targetE0EEEvT1_.num_named_barrier, 0
	.set _ZN7rocprim17ROCPRIM_400000_NS6detail17trampoline_kernelINS0_14default_configENS1_25partition_config_selectorILNS1_17partition_subalgoE6EN6thrust23THRUST_200600_302600_NS5tupleIttNS7_9null_typeES9_S9_S9_S9_S9_S9_S9_EENS0_10empty_typeEbEEZZNS1_14partition_implILS5_6ELb0ES3_mNS7_12zip_iteratorINS8_INS7_6detail15normal_iteratorINS7_10device_ptrItEEEESJ_S9_S9_S9_S9_S9_S9_S9_S9_EEEEPSB_SM_NS0_5tupleIJNSE_INS8_ISJ_NS7_16discard_iteratorINS7_11use_defaultEEES9_S9_S9_S9_S9_S9_S9_S9_EEEESB_EEENSN_IJSM_SM_EEESB_PlJNSF_9not_fun_tINSF_14equal_to_valueISA_EEEEEEE10hipError_tPvRmT3_T4_T5_T6_T7_T9_mT8_P12ihipStream_tbDpT10_ENKUlT_T0_E_clISt17integral_constantIbLb0EES1J_EEDaS1E_S1F_EUlS1E_E_NS1_11comp_targetILNS1_3genE5ELNS1_11target_archE942ELNS1_3gpuE9ELNS1_3repE0EEENS1_30default_config_static_selectorELNS0_4arch9wavefront6targetE0EEEvT1_.private_seg_size, 0
	.set _ZN7rocprim17ROCPRIM_400000_NS6detail17trampoline_kernelINS0_14default_configENS1_25partition_config_selectorILNS1_17partition_subalgoE6EN6thrust23THRUST_200600_302600_NS5tupleIttNS7_9null_typeES9_S9_S9_S9_S9_S9_S9_EENS0_10empty_typeEbEEZZNS1_14partition_implILS5_6ELb0ES3_mNS7_12zip_iteratorINS8_INS7_6detail15normal_iteratorINS7_10device_ptrItEEEESJ_S9_S9_S9_S9_S9_S9_S9_S9_EEEEPSB_SM_NS0_5tupleIJNSE_INS8_ISJ_NS7_16discard_iteratorINS7_11use_defaultEEES9_S9_S9_S9_S9_S9_S9_S9_EEEESB_EEENSN_IJSM_SM_EEESB_PlJNSF_9not_fun_tINSF_14equal_to_valueISA_EEEEEEE10hipError_tPvRmT3_T4_T5_T6_T7_T9_mT8_P12ihipStream_tbDpT10_ENKUlT_T0_E_clISt17integral_constantIbLb0EES1J_EEDaS1E_S1F_EUlS1E_E_NS1_11comp_targetILNS1_3genE5ELNS1_11target_archE942ELNS1_3gpuE9ELNS1_3repE0EEENS1_30default_config_static_selectorELNS0_4arch9wavefront6targetE0EEEvT1_.uses_vcc, 0
	.set _ZN7rocprim17ROCPRIM_400000_NS6detail17trampoline_kernelINS0_14default_configENS1_25partition_config_selectorILNS1_17partition_subalgoE6EN6thrust23THRUST_200600_302600_NS5tupleIttNS7_9null_typeES9_S9_S9_S9_S9_S9_S9_EENS0_10empty_typeEbEEZZNS1_14partition_implILS5_6ELb0ES3_mNS7_12zip_iteratorINS8_INS7_6detail15normal_iteratorINS7_10device_ptrItEEEESJ_S9_S9_S9_S9_S9_S9_S9_S9_EEEEPSB_SM_NS0_5tupleIJNSE_INS8_ISJ_NS7_16discard_iteratorINS7_11use_defaultEEES9_S9_S9_S9_S9_S9_S9_S9_EEEESB_EEENSN_IJSM_SM_EEESB_PlJNSF_9not_fun_tINSF_14equal_to_valueISA_EEEEEEE10hipError_tPvRmT3_T4_T5_T6_T7_T9_mT8_P12ihipStream_tbDpT10_ENKUlT_T0_E_clISt17integral_constantIbLb0EES1J_EEDaS1E_S1F_EUlS1E_E_NS1_11comp_targetILNS1_3genE5ELNS1_11target_archE942ELNS1_3gpuE9ELNS1_3repE0EEENS1_30default_config_static_selectorELNS0_4arch9wavefront6targetE0EEEvT1_.uses_flat_scratch, 0
	.set _ZN7rocprim17ROCPRIM_400000_NS6detail17trampoline_kernelINS0_14default_configENS1_25partition_config_selectorILNS1_17partition_subalgoE6EN6thrust23THRUST_200600_302600_NS5tupleIttNS7_9null_typeES9_S9_S9_S9_S9_S9_S9_EENS0_10empty_typeEbEEZZNS1_14partition_implILS5_6ELb0ES3_mNS7_12zip_iteratorINS8_INS7_6detail15normal_iteratorINS7_10device_ptrItEEEESJ_S9_S9_S9_S9_S9_S9_S9_S9_EEEEPSB_SM_NS0_5tupleIJNSE_INS8_ISJ_NS7_16discard_iteratorINS7_11use_defaultEEES9_S9_S9_S9_S9_S9_S9_S9_EEEESB_EEENSN_IJSM_SM_EEESB_PlJNSF_9not_fun_tINSF_14equal_to_valueISA_EEEEEEE10hipError_tPvRmT3_T4_T5_T6_T7_T9_mT8_P12ihipStream_tbDpT10_ENKUlT_T0_E_clISt17integral_constantIbLb0EES1J_EEDaS1E_S1F_EUlS1E_E_NS1_11comp_targetILNS1_3genE5ELNS1_11target_archE942ELNS1_3gpuE9ELNS1_3repE0EEENS1_30default_config_static_selectorELNS0_4arch9wavefront6targetE0EEEvT1_.has_dyn_sized_stack, 0
	.set _ZN7rocprim17ROCPRIM_400000_NS6detail17trampoline_kernelINS0_14default_configENS1_25partition_config_selectorILNS1_17partition_subalgoE6EN6thrust23THRUST_200600_302600_NS5tupleIttNS7_9null_typeES9_S9_S9_S9_S9_S9_S9_EENS0_10empty_typeEbEEZZNS1_14partition_implILS5_6ELb0ES3_mNS7_12zip_iteratorINS8_INS7_6detail15normal_iteratorINS7_10device_ptrItEEEESJ_S9_S9_S9_S9_S9_S9_S9_S9_EEEEPSB_SM_NS0_5tupleIJNSE_INS8_ISJ_NS7_16discard_iteratorINS7_11use_defaultEEES9_S9_S9_S9_S9_S9_S9_S9_EEEESB_EEENSN_IJSM_SM_EEESB_PlJNSF_9not_fun_tINSF_14equal_to_valueISA_EEEEEEE10hipError_tPvRmT3_T4_T5_T6_T7_T9_mT8_P12ihipStream_tbDpT10_ENKUlT_T0_E_clISt17integral_constantIbLb0EES1J_EEDaS1E_S1F_EUlS1E_E_NS1_11comp_targetILNS1_3genE5ELNS1_11target_archE942ELNS1_3gpuE9ELNS1_3repE0EEENS1_30default_config_static_selectorELNS0_4arch9wavefront6targetE0EEEvT1_.has_recursion, 0
	.set _ZN7rocprim17ROCPRIM_400000_NS6detail17trampoline_kernelINS0_14default_configENS1_25partition_config_selectorILNS1_17partition_subalgoE6EN6thrust23THRUST_200600_302600_NS5tupleIttNS7_9null_typeES9_S9_S9_S9_S9_S9_S9_EENS0_10empty_typeEbEEZZNS1_14partition_implILS5_6ELb0ES3_mNS7_12zip_iteratorINS8_INS7_6detail15normal_iteratorINS7_10device_ptrItEEEESJ_S9_S9_S9_S9_S9_S9_S9_S9_EEEEPSB_SM_NS0_5tupleIJNSE_INS8_ISJ_NS7_16discard_iteratorINS7_11use_defaultEEES9_S9_S9_S9_S9_S9_S9_S9_EEEESB_EEENSN_IJSM_SM_EEESB_PlJNSF_9not_fun_tINSF_14equal_to_valueISA_EEEEEEE10hipError_tPvRmT3_T4_T5_T6_T7_T9_mT8_P12ihipStream_tbDpT10_ENKUlT_T0_E_clISt17integral_constantIbLb0EES1J_EEDaS1E_S1F_EUlS1E_E_NS1_11comp_targetILNS1_3genE5ELNS1_11target_archE942ELNS1_3gpuE9ELNS1_3repE0EEENS1_30default_config_static_selectorELNS0_4arch9wavefront6targetE0EEEvT1_.has_indirect_call, 0
	.section	.AMDGPU.csdata,"",@progbits
; Kernel info:
; codeLenInByte = 0
; TotalNumSgprs: 0
; NumVgprs: 0
; ScratchSize: 0
; MemoryBound: 0
; FloatMode: 240
; IeeeMode: 1
; LDSByteSize: 0 bytes/workgroup (compile time only)
; SGPRBlocks: 0
; VGPRBlocks: 0
; NumSGPRsForWavesPerEU: 1
; NumVGPRsForWavesPerEU: 1
; Occupancy: 16
; WaveLimiterHint : 0
; COMPUTE_PGM_RSRC2:SCRATCH_EN: 0
; COMPUTE_PGM_RSRC2:USER_SGPR: 2
; COMPUTE_PGM_RSRC2:TRAP_HANDLER: 0
; COMPUTE_PGM_RSRC2:TGID_X_EN: 1
; COMPUTE_PGM_RSRC2:TGID_Y_EN: 0
; COMPUTE_PGM_RSRC2:TGID_Z_EN: 0
; COMPUTE_PGM_RSRC2:TIDIG_COMP_CNT: 0
	.section	.text._ZN7rocprim17ROCPRIM_400000_NS6detail17trampoline_kernelINS0_14default_configENS1_25partition_config_selectorILNS1_17partition_subalgoE6EN6thrust23THRUST_200600_302600_NS5tupleIttNS7_9null_typeES9_S9_S9_S9_S9_S9_S9_EENS0_10empty_typeEbEEZZNS1_14partition_implILS5_6ELb0ES3_mNS7_12zip_iteratorINS8_INS7_6detail15normal_iteratorINS7_10device_ptrItEEEESJ_S9_S9_S9_S9_S9_S9_S9_S9_EEEEPSB_SM_NS0_5tupleIJNSE_INS8_ISJ_NS7_16discard_iteratorINS7_11use_defaultEEES9_S9_S9_S9_S9_S9_S9_S9_EEEESB_EEENSN_IJSM_SM_EEESB_PlJNSF_9not_fun_tINSF_14equal_to_valueISA_EEEEEEE10hipError_tPvRmT3_T4_T5_T6_T7_T9_mT8_P12ihipStream_tbDpT10_ENKUlT_T0_E_clISt17integral_constantIbLb0EES1J_EEDaS1E_S1F_EUlS1E_E_NS1_11comp_targetILNS1_3genE4ELNS1_11target_archE910ELNS1_3gpuE8ELNS1_3repE0EEENS1_30default_config_static_selectorELNS0_4arch9wavefront6targetE0EEEvT1_,"axG",@progbits,_ZN7rocprim17ROCPRIM_400000_NS6detail17trampoline_kernelINS0_14default_configENS1_25partition_config_selectorILNS1_17partition_subalgoE6EN6thrust23THRUST_200600_302600_NS5tupleIttNS7_9null_typeES9_S9_S9_S9_S9_S9_S9_EENS0_10empty_typeEbEEZZNS1_14partition_implILS5_6ELb0ES3_mNS7_12zip_iteratorINS8_INS7_6detail15normal_iteratorINS7_10device_ptrItEEEESJ_S9_S9_S9_S9_S9_S9_S9_S9_EEEEPSB_SM_NS0_5tupleIJNSE_INS8_ISJ_NS7_16discard_iteratorINS7_11use_defaultEEES9_S9_S9_S9_S9_S9_S9_S9_EEEESB_EEENSN_IJSM_SM_EEESB_PlJNSF_9not_fun_tINSF_14equal_to_valueISA_EEEEEEE10hipError_tPvRmT3_T4_T5_T6_T7_T9_mT8_P12ihipStream_tbDpT10_ENKUlT_T0_E_clISt17integral_constantIbLb0EES1J_EEDaS1E_S1F_EUlS1E_E_NS1_11comp_targetILNS1_3genE4ELNS1_11target_archE910ELNS1_3gpuE8ELNS1_3repE0EEENS1_30default_config_static_selectorELNS0_4arch9wavefront6targetE0EEEvT1_,comdat
	.protected	_ZN7rocprim17ROCPRIM_400000_NS6detail17trampoline_kernelINS0_14default_configENS1_25partition_config_selectorILNS1_17partition_subalgoE6EN6thrust23THRUST_200600_302600_NS5tupleIttNS7_9null_typeES9_S9_S9_S9_S9_S9_S9_EENS0_10empty_typeEbEEZZNS1_14partition_implILS5_6ELb0ES3_mNS7_12zip_iteratorINS8_INS7_6detail15normal_iteratorINS7_10device_ptrItEEEESJ_S9_S9_S9_S9_S9_S9_S9_S9_EEEEPSB_SM_NS0_5tupleIJNSE_INS8_ISJ_NS7_16discard_iteratorINS7_11use_defaultEEES9_S9_S9_S9_S9_S9_S9_S9_EEEESB_EEENSN_IJSM_SM_EEESB_PlJNSF_9not_fun_tINSF_14equal_to_valueISA_EEEEEEE10hipError_tPvRmT3_T4_T5_T6_T7_T9_mT8_P12ihipStream_tbDpT10_ENKUlT_T0_E_clISt17integral_constantIbLb0EES1J_EEDaS1E_S1F_EUlS1E_E_NS1_11comp_targetILNS1_3genE4ELNS1_11target_archE910ELNS1_3gpuE8ELNS1_3repE0EEENS1_30default_config_static_selectorELNS0_4arch9wavefront6targetE0EEEvT1_ ; -- Begin function _ZN7rocprim17ROCPRIM_400000_NS6detail17trampoline_kernelINS0_14default_configENS1_25partition_config_selectorILNS1_17partition_subalgoE6EN6thrust23THRUST_200600_302600_NS5tupleIttNS7_9null_typeES9_S9_S9_S9_S9_S9_S9_EENS0_10empty_typeEbEEZZNS1_14partition_implILS5_6ELb0ES3_mNS7_12zip_iteratorINS8_INS7_6detail15normal_iteratorINS7_10device_ptrItEEEESJ_S9_S9_S9_S9_S9_S9_S9_S9_EEEEPSB_SM_NS0_5tupleIJNSE_INS8_ISJ_NS7_16discard_iteratorINS7_11use_defaultEEES9_S9_S9_S9_S9_S9_S9_S9_EEEESB_EEENSN_IJSM_SM_EEESB_PlJNSF_9not_fun_tINSF_14equal_to_valueISA_EEEEEEE10hipError_tPvRmT3_T4_T5_T6_T7_T9_mT8_P12ihipStream_tbDpT10_ENKUlT_T0_E_clISt17integral_constantIbLb0EES1J_EEDaS1E_S1F_EUlS1E_E_NS1_11comp_targetILNS1_3genE4ELNS1_11target_archE910ELNS1_3gpuE8ELNS1_3repE0EEENS1_30default_config_static_selectorELNS0_4arch9wavefront6targetE0EEEvT1_
	.globl	_ZN7rocprim17ROCPRIM_400000_NS6detail17trampoline_kernelINS0_14default_configENS1_25partition_config_selectorILNS1_17partition_subalgoE6EN6thrust23THRUST_200600_302600_NS5tupleIttNS7_9null_typeES9_S9_S9_S9_S9_S9_S9_EENS0_10empty_typeEbEEZZNS1_14partition_implILS5_6ELb0ES3_mNS7_12zip_iteratorINS8_INS7_6detail15normal_iteratorINS7_10device_ptrItEEEESJ_S9_S9_S9_S9_S9_S9_S9_S9_EEEEPSB_SM_NS0_5tupleIJNSE_INS8_ISJ_NS7_16discard_iteratorINS7_11use_defaultEEES9_S9_S9_S9_S9_S9_S9_S9_EEEESB_EEENSN_IJSM_SM_EEESB_PlJNSF_9not_fun_tINSF_14equal_to_valueISA_EEEEEEE10hipError_tPvRmT3_T4_T5_T6_T7_T9_mT8_P12ihipStream_tbDpT10_ENKUlT_T0_E_clISt17integral_constantIbLb0EES1J_EEDaS1E_S1F_EUlS1E_E_NS1_11comp_targetILNS1_3genE4ELNS1_11target_archE910ELNS1_3gpuE8ELNS1_3repE0EEENS1_30default_config_static_selectorELNS0_4arch9wavefront6targetE0EEEvT1_
	.p2align	8
	.type	_ZN7rocprim17ROCPRIM_400000_NS6detail17trampoline_kernelINS0_14default_configENS1_25partition_config_selectorILNS1_17partition_subalgoE6EN6thrust23THRUST_200600_302600_NS5tupleIttNS7_9null_typeES9_S9_S9_S9_S9_S9_S9_EENS0_10empty_typeEbEEZZNS1_14partition_implILS5_6ELb0ES3_mNS7_12zip_iteratorINS8_INS7_6detail15normal_iteratorINS7_10device_ptrItEEEESJ_S9_S9_S9_S9_S9_S9_S9_S9_EEEEPSB_SM_NS0_5tupleIJNSE_INS8_ISJ_NS7_16discard_iteratorINS7_11use_defaultEEES9_S9_S9_S9_S9_S9_S9_S9_EEEESB_EEENSN_IJSM_SM_EEESB_PlJNSF_9not_fun_tINSF_14equal_to_valueISA_EEEEEEE10hipError_tPvRmT3_T4_T5_T6_T7_T9_mT8_P12ihipStream_tbDpT10_ENKUlT_T0_E_clISt17integral_constantIbLb0EES1J_EEDaS1E_S1F_EUlS1E_E_NS1_11comp_targetILNS1_3genE4ELNS1_11target_archE910ELNS1_3gpuE8ELNS1_3repE0EEENS1_30default_config_static_selectorELNS0_4arch9wavefront6targetE0EEEvT1_,@function
_ZN7rocprim17ROCPRIM_400000_NS6detail17trampoline_kernelINS0_14default_configENS1_25partition_config_selectorILNS1_17partition_subalgoE6EN6thrust23THRUST_200600_302600_NS5tupleIttNS7_9null_typeES9_S9_S9_S9_S9_S9_S9_EENS0_10empty_typeEbEEZZNS1_14partition_implILS5_6ELb0ES3_mNS7_12zip_iteratorINS8_INS7_6detail15normal_iteratorINS7_10device_ptrItEEEESJ_S9_S9_S9_S9_S9_S9_S9_S9_EEEEPSB_SM_NS0_5tupleIJNSE_INS8_ISJ_NS7_16discard_iteratorINS7_11use_defaultEEES9_S9_S9_S9_S9_S9_S9_S9_EEEESB_EEENSN_IJSM_SM_EEESB_PlJNSF_9not_fun_tINSF_14equal_to_valueISA_EEEEEEE10hipError_tPvRmT3_T4_T5_T6_T7_T9_mT8_P12ihipStream_tbDpT10_ENKUlT_T0_E_clISt17integral_constantIbLb0EES1J_EEDaS1E_S1F_EUlS1E_E_NS1_11comp_targetILNS1_3genE4ELNS1_11target_archE910ELNS1_3gpuE8ELNS1_3repE0EEENS1_30default_config_static_selectorELNS0_4arch9wavefront6targetE0EEEvT1_: ; @_ZN7rocprim17ROCPRIM_400000_NS6detail17trampoline_kernelINS0_14default_configENS1_25partition_config_selectorILNS1_17partition_subalgoE6EN6thrust23THRUST_200600_302600_NS5tupleIttNS7_9null_typeES9_S9_S9_S9_S9_S9_S9_EENS0_10empty_typeEbEEZZNS1_14partition_implILS5_6ELb0ES3_mNS7_12zip_iteratorINS8_INS7_6detail15normal_iteratorINS7_10device_ptrItEEEESJ_S9_S9_S9_S9_S9_S9_S9_S9_EEEEPSB_SM_NS0_5tupleIJNSE_INS8_ISJ_NS7_16discard_iteratorINS7_11use_defaultEEES9_S9_S9_S9_S9_S9_S9_S9_EEEESB_EEENSN_IJSM_SM_EEESB_PlJNSF_9not_fun_tINSF_14equal_to_valueISA_EEEEEEE10hipError_tPvRmT3_T4_T5_T6_T7_T9_mT8_P12ihipStream_tbDpT10_ENKUlT_T0_E_clISt17integral_constantIbLb0EES1J_EEDaS1E_S1F_EUlS1E_E_NS1_11comp_targetILNS1_3genE4ELNS1_11target_archE910ELNS1_3gpuE8ELNS1_3repE0EEENS1_30default_config_static_selectorELNS0_4arch9wavefront6targetE0EEEvT1_
; %bb.0:
	.section	.rodata,"a",@progbits
	.p2align	6, 0x0
	.amdhsa_kernel _ZN7rocprim17ROCPRIM_400000_NS6detail17trampoline_kernelINS0_14default_configENS1_25partition_config_selectorILNS1_17partition_subalgoE6EN6thrust23THRUST_200600_302600_NS5tupleIttNS7_9null_typeES9_S9_S9_S9_S9_S9_S9_EENS0_10empty_typeEbEEZZNS1_14partition_implILS5_6ELb0ES3_mNS7_12zip_iteratorINS8_INS7_6detail15normal_iteratorINS7_10device_ptrItEEEESJ_S9_S9_S9_S9_S9_S9_S9_S9_EEEEPSB_SM_NS0_5tupleIJNSE_INS8_ISJ_NS7_16discard_iteratorINS7_11use_defaultEEES9_S9_S9_S9_S9_S9_S9_S9_EEEESB_EEENSN_IJSM_SM_EEESB_PlJNSF_9not_fun_tINSF_14equal_to_valueISA_EEEEEEE10hipError_tPvRmT3_T4_T5_T6_T7_T9_mT8_P12ihipStream_tbDpT10_ENKUlT_T0_E_clISt17integral_constantIbLb0EES1J_EEDaS1E_S1F_EUlS1E_E_NS1_11comp_targetILNS1_3genE4ELNS1_11target_archE910ELNS1_3gpuE8ELNS1_3repE0EEENS1_30default_config_static_selectorELNS0_4arch9wavefront6targetE0EEEvT1_
		.amdhsa_group_segment_fixed_size 0
		.amdhsa_private_segment_fixed_size 0
		.amdhsa_kernarg_size 144
		.amdhsa_user_sgpr_count 2
		.amdhsa_user_sgpr_dispatch_ptr 0
		.amdhsa_user_sgpr_queue_ptr 0
		.amdhsa_user_sgpr_kernarg_segment_ptr 1
		.amdhsa_user_sgpr_dispatch_id 0
		.amdhsa_user_sgpr_private_segment_size 0
		.amdhsa_wavefront_size32 1
		.amdhsa_uses_dynamic_stack 0
		.amdhsa_enable_private_segment 0
		.amdhsa_system_sgpr_workgroup_id_x 1
		.amdhsa_system_sgpr_workgroup_id_y 0
		.amdhsa_system_sgpr_workgroup_id_z 0
		.amdhsa_system_sgpr_workgroup_info 0
		.amdhsa_system_vgpr_workitem_id 0
		.amdhsa_next_free_vgpr 1
		.amdhsa_next_free_sgpr 1
		.amdhsa_reserve_vcc 0
		.amdhsa_float_round_mode_32 0
		.amdhsa_float_round_mode_16_64 0
		.amdhsa_float_denorm_mode_32 3
		.amdhsa_float_denorm_mode_16_64 3
		.amdhsa_fp16_overflow 0
		.amdhsa_workgroup_processor_mode 1
		.amdhsa_memory_ordered 1
		.amdhsa_forward_progress 1
		.amdhsa_inst_pref_size 0
		.amdhsa_round_robin_scheduling 0
		.amdhsa_exception_fp_ieee_invalid_op 0
		.amdhsa_exception_fp_denorm_src 0
		.amdhsa_exception_fp_ieee_div_zero 0
		.amdhsa_exception_fp_ieee_overflow 0
		.amdhsa_exception_fp_ieee_underflow 0
		.amdhsa_exception_fp_ieee_inexact 0
		.amdhsa_exception_int_div_zero 0
	.end_amdhsa_kernel
	.section	.text._ZN7rocprim17ROCPRIM_400000_NS6detail17trampoline_kernelINS0_14default_configENS1_25partition_config_selectorILNS1_17partition_subalgoE6EN6thrust23THRUST_200600_302600_NS5tupleIttNS7_9null_typeES9_S9_S9_S9_S9_S9_S9_EENS0_10empty_typeEbEEZZNS1_14partition_implILS5_6ELb0ES3_mNS7_12zip_iteratorINS8_INS7_6detail15normal_iteratorINS7_10device_ptrItEEEESJ_S9_S9_S9_S9_S9_S9_S9_S9_EEEEPSB_SM_NS0_5tupleIJNSE_INS8_ISJ_NS7_16discard_iteratorINS7_11use_defaultEEES9_S9_S9_S9_S9_S9_S9_S9_EEEESB_EEENSN_IJSM_SM_EEESB_PlJNSF_9not_fun_tINSF_14equal_to_valueISA_EEEEEEE10hipError_tPvRmT3_T4_T5_T6_T7_T9_mT8_P12ihipStream_tbDpT10_ENKUlT_T0_E_clISt17integral_constantIbLb0EES1J_EEDaS1E_S1F_EUlS1E_E_NS1_11comp_targetILNS1_3genE4ELNS1_11target_archE910ELNS1_3gpuE8ELNS1_3repE0EEENS1_30default_config_static_selectorELNS0_4arch9wavefront6targetE0EEEvT1_,"axG",@progbits,_ZN7rocprim17ROCPRIM_400000_NS6detail17trampoline_kernelINS0_14default_configENS1_25partition_config_selectorILNS1_17partition_subalgoE6EN6thrust23THRUST_200600_302600_NS5tupleIttNS7_9null_typeES9_S9_S9_S9_S9_S9_S9_EENS0_10empty_typeEbEEZZNS1_14partition_implILS5_6ELb0ES3_mNS7_12zip_iteratorINS8_INS7_6detail15normal_iteratorINS7_10device_ptrItEEEESJ_S9_S9_S9_S9_S9_S9_S9_S9_EEEEPSB_SM_NS0_5tupleIJNSE_INS8_ISJ_NS7_16discard_iteratorINS7_11use_defaultEEES9_S9_S9_S9_S9_S9_S9_S9_EEEESB_EEENSN_IJSM_SM_EEESB_PlJNSF_9not_fun_tINSF_14equal_to_valueISA_EEEEEEE10hipError_tPvRmT3_T4_T5_T6_T7_T9_mT8_P12ihipStream_tbDpT10_ENKUlT_T0_E_clISt17integral_constantIbLb0EES1J_EEDaS1E_S1F_EUlS1E_E_NS1_11comp_targetILNS1_3genE4ELNS1_11target_archE910ELNS1_3gpuE8ELNS1_3repE0EEENS1_30default_config_static_selectorELNS0_4arch9wavefront6targetE0EEEvT1_,comdat
.Lfunc_end1951:
	.size	_ZN7rocprim17ROCPRIM_400000_NS6detail17trampoline_kernelINS0_14default_configENS1_25partition_config_selectorILNS1_17partition_subalgoE6EN6thrust23THRUST_200600_302600_NS5tupleIttNS7_9null_typeES9_S9_S9_S9_S9_S9_S9_EENS0_10empty_typeEbEEZZNS1_14partition_implILS5_6ELb0ES3_mNS7_12zip_iteratorINS8_INS7_6detail15normal_iteratorINS7_10device_ptrItEEEESJ_S9_S9_S9_S9_S9_S9_S9_S9_EEEEPSB_SM_NS0_5tupleIJNSE_INS8_ISJ_NS7_16discard_iteratorINS7_11use_defaultEEES9_S9_S9_S9_S9_S9_S9_S9_EEEESB_EEENSN_IJSM_SM_EEESB_PlJNSF_9not_fun_tINSF_14equal_to_valueISA_EEEEEEE10hipError_tPvRmT3_T4_T5_T6_T7_T9_mT8_P12ihipStream_tbDpT10_ENKUlT_T0_E_clISt17integral_constantIbLb0EES1J_EEDaS1E_S1F_EUlS1E_E_NS1_11comp_targetILNS1_3genE4ELNS1_11target_archE910ELNS1_3gpuE8ELNS1_3repE0EEENS1_30default_config_static_selectorELNS0_4arch9wavefront6targetE0EEEvT1_, .Lfunc_end1951-_ZN7rocprim17ROCPRIM_400000_NS6detail17trampoline_kernelINS0_14default_configENS1_25partition_config_selectorILNS1_17partition_subalgoE6EN6thrust23THRUST_200600_302600_NS5tupleIttNS7_9null_typeES9_S9_S9_S9_S9_S9_S9_EENS0_10empty_typeEbEEZZNS1_14partition_implILS5_6ELb0ES3_mNS7_12zip_iteratorINS8_INS7_6detail15normal_iteratorINS7_10device_ptrItEEEESJ_S9_S9_S9_S9_S9_S9_S9_S9_EEEEPSB_SM_NS0_5tupleIJNSE_INS8_ISJ_NS7_16discard_iteratorINS7_11use_defaultEEES9_S9_S9_S9_S9_S9_S9_S9_EEEESB_EEENSN_IJSM_SM_EEESB_PlJNSF_9not_fun_tINSF_14equal_to_valueISA_EEEEEEE10hipError_tPvRmT3_T4_T5_T6_T7_T9_mT8_P12ihipStream_tbDpT10_ENKUlT_T0_E_clISt17integral_constantIbLb0EES1J_EEDaS1E_S1F_EUlS1E_E_NS1_11comp_targetILNS1_3genE4ELNS1_11target_archE910ELNS1_3gpuE8ELNS1_3repE0EEENS1_30default_config_static_selectorELNS0_4arch9wavefront6targetE0EEEvT1_
                                        ; -- End function
	.set _ZN7rocprim17ROCPRIM_400000_NS6detail17trampoline_kernelINS0_14default_configENS1_25partition_config_selectorILNS1_17partition_subalgoE6EN6thrust23THRUST_200600_302600_NS5tupleIttNS7_9null_typeES9_S9_S9_S9_S9_S9_S9_EENS0_10empty_typeEbEEZZNS1_14partition_implILS5_6ELb0ES3_mNS7_12zip_iteratorINS8_INS7_6detail15normal_iteratorINS7_10device_ptrItEEEESJ_S9_S9_S9_S9_S9_S9_S9_S9_EEEEPSB_SM_NS0_5tupleIJNSE_INS8_ISJ_NS7_16discard_iteratorINS7_11use_defaultEEES9_S9_S9_S9_S9_S9_S9_S9_EEEESB_EEENSN_IJSM_SM_EEESB_PlJNSF_9not_fun_tINSF_14equal_to_valueISA_EEEEEEE10hipError_tPvRmT3_T4_T5_T6_T7_T9_mT8_P12ihipStream_tbDpT10_ENKUlT_T0_E_clISt17integral_constantIbLb0EES1J_EEDaS1E_S1F_EUlS1E_E_NS1_11comp_targetILNS1_3genE4ELNS1_11target_archE910ELNS1_3gpuE8ELNS1_3repE0EEENS1_30default_config_static_selectorELNS0_4arch9wavefront6targetE0EEEvT1_.num_vgpr, 0
	.set _ZN7rocprim17ROCPRIM_400000_NS6detail17trampoline_kernelINS0_14default_configENS1_25partition_config_selectorILNS1_17partition_subalgoE6EN6thrust23THRUST_200600_302600_NS5tupleIttNS7_9null_typeES9_S9_S9_S9_S9_S9_S9_EENS0_10empty_typeEbEEZZNS1_14partition_implILS5_6ELb0ES3_mNS7_12zip_iteratorINS8_INS7_6detail15normal_iteratorINS7_10device_ptrItEEEESJ_S9_S9_S9_S9_S9_S9_S9_S9_EEEEPSB_SM_NS0_5tupleIJNSE_INS8_ISJ_NS7_16discard_iteratorINS7_11use_defaultEEES9_S9_S9_S9_S9_S9_S9_S9_EEEESB_EEENSN_IJSM_SM_EEESB_PlJNSF_9not_fun_tINSF_14equal_to_valueISA_EEEEEEE10hipError_tPvRmT3_T4_T5_T6_T7_T9_mT8_P12ihipStream_tbDpT10_ENKUlT_T0_E_clISt17integral_constantIbLb0EES1J_EEDaS1E_S1F_EUlS1E_E_NS1_11comp_targetILNS1_3genE4ELNS1_11target_archE910ELNS1_3gpuE8ELNS1_3repE0EEENS1_30default_config_static_selectorELNS0_4arch9wavefront6targetE0EEEvT1_.num_agpr, 0
	.set _ZN7rocprim17ROCPRIM_400000_NS6detail17trampoline_kernelINS0_14default_configENS1_25partition_config_selectorILNS1_17partition_subalgoE6EN6thrust23THRUST_200600_302600_NS5tupleIttNS7_9null_typeES9_S9_S9_S9_S9_S9_S9_EENS0_10empty_typeEbEEZZNS1_14partition_implILS5_6ELb0ES3_mNS7_12zip_iteratorINS8_INS7_6detail15normal_iteratorINS7_10device_ptrItEEEESJ_S9_S9_S9_S9_S9_S9_S9_S9_EEEEPSB_SM_NS0_5tupleIJNSE_INS8_ISJ_NS7_16discard_iteratorINS7_11use_defaultEEES9_S9_S9_S9_S9_S9_S9_S9_EEEESB_EEENSN_IJSM_SM_EEESB_PlJNSF_9not_fun_tINSF_14equal_to_valueISA_EEEEEEE10hipError_tPvRmT3_T4_T5_T6_T7_T9_mT8_P12ihipStream_tbDpT10_ENKUlT_T0_E_clISt17integral_constantIbLb0EES1J_EEDaS1E_S1F_EUlS1E_E_NS1_11comp_targetILNS1_3genE4ELNS1_11target_archE910ELNS1_3gpuE8ELNS1_3repE0EEENS1_30default_config_static_selectorELNS0_4arch9wavefront6targetE0EEEvT1_.numbered_sgpr, 0
	.set _ZN7rocprim17ROCPRIM_400000_NS6detail17trampoline_kernelINS0_14default_configENS1_25partition_config_selectorILNS1_17partition_subalgoE6EN6thrust23THRUST_200600_302600_NS5tupleIttNS7_9null_typeES9_S9_S9_S9_S9_S9_S9_EENS0_10empty_typeEbEEZZNS1_14partition_implILS5_6ELb0ES3_mNS7_12zip_iteratorINS8_INS7_6detail15normal_iteratorINS7_10device_ptrItEEEESJ_S9_S9_S9_S9_S9_S9_S9_S9_EEEEPSB_SM_NS0_5tupleIJNSE_INS8_ISJ_NS7_16discard_iteratorINS7_11use_defaultEEES9_S9_S9_S9_S9_S9_S9_S9_EEEESB_EEENSN_IJSM_SM_EEESB_PlJNSF_9not_fun_tINSF_14equal_to_valueISA_EEEEEEE10hipError_tPvRmT3_T4_T5_T6_T7_T9_mT8_P12ihipStream_tbDpT10_ENKUlT_T0_E_clISt17integral_constantIbLb0EES1J_EEDaS1E_S1F_EUlS1E_E_NS1_11comp_targetILNS1_3genE4ELNS1_11target_archE910ELNS1_3gpuE8ELNS1_3repE0EEENS1_30default_config_static_selectorELNS0_4arch9wavefront6targetE0EEEvT1_.num_named_barrier, 0
	.set _ZN7rocprim17ROCPRIM_400000_NS6detail17trampoline_kernelINS0_14default_configENS1_25partition_config_selectorILNS1_17partition_subalgoE6EN6thrust23THRUST_200600_302600_NS5tupleIttNS7_9null_typeES9_S9_S9_S9_S9_S9_S9_EENS0_10empty_typeEbEEZZNS1_14partition_implILS5_6ELb0ES3_mNS7_12zip_iteratorINS8_INS7_6detail15normal_iteratorINS7_10device_ptrItEEEESJ_S9_S9_S9_S9_S9_S9_S9_S9_EEEEPSB_SM_NS0_5tupleIJNSE_INS8_ISJ_NS7_16discard_iteratorINS7_11use_defaultEEES9_S9_S9_S9_S9_S9_S9_S9_EEEESB_EEENSN_IJSM_SM_EEESB_PlJNSF_9not_fun_tINSF_14equal_to_valueISA_EEEEEEE10hipError_tPvRmT3_T4_T5_T6_T7_T9_mT8_P12ihipStream_tbDpT10_ENKUlT_T0_E_clISt17integral_constantIbLb0EES1J_EEDaS1E_S1F_EUlS1E_E_NS1_11comp_targetILNS1_3genE4ELNS1_11target_archE910ELNS1_3gpuE8ELNS1_3repE0EEENS1_30default_config_static_selectorELNS0_4arch9wavefront6targetE0EEEvT1_.private_seg_size, 0
	.set _ZN7rocprim17ROCPRIM_400000_NS6detail17trampoline_kernelINS0_14default_configENS1_25partition_config_selectorILNS1_17partition_subalgoE6EN6thrust23THRUST_200600_302600_NS5tupleIttNS7_9null_typeES9_S9_S9_S9_S9_S9_S9_EENS0_10empty_typeEbEEZZNS1_14partition_implILS5_6ELb0ES3_mNS7_12zip_iteratorINS8_INS7_6detail15normal_iteratorINS7_10device_ptrItEEEESJ_S9_S9_S9_S9_S9_S9_S9_S9_EEEEPSB_SM_NS0_5tupleIJNSE_INS8_ISJ_NS7_16discard_iteratorINS7_11use_defaultEEES9_S9_S9_S9_S9_S9_S9_S9_EEEESB_EEENSN_IJSM_SM_EEESB_PlJNSF_9not_fun_tINSF_14equal_to_valueISA_EEEEEEE10hipError_tPvRmT3_T4_T5_T6_T7_T9_mT8_P12ihipStream_tbDpT10_ENKUlT_T0_E_clISt17integral_constantIbLb0EES1J_EEDaS1E_S1F_EUlS1E_E_NS1_11comp_targetILNS1_3genE4ELNS1_11target_archE910ELNS1_3gpuE8ELNS1_3repE0EEENS1_30default_config_static_selectorELNS0_4arch9wavefront6targetE0EEEvT1_.uses_vcc, 0
	.set _ZN7rocprim17ROCPRIM_400000_NS6detail17trampoline_kernelINS0_14default_configENS1_25partition_config_selectorILNS1_17partition_subalgoE6EN6thrust23THRUST_200600_302600_NS5tupleIttNS7_9null_typeES9_S9_S9_S9_S9_S9_S9_EENS0_10empty_typeEbEEZZNS1_14partition_implILS5_6ELb0ES3_mNS7_12zip_iteratorINS8_INS7_6detail15normal_iteratorINS7_10device_ptrItEEEESJ_S9_S9_S9_S9_S9_S9_S9_S9_EEEEPSB_SM_NS0_5tupleIJNSE_INS8_ISJ_NS7_16discard_iteratorINS7_11use_defaultEEES9_S9_S9_S9_S9_S9_S9_S9_EEEESB_EEENSN_IJSM_SM_EEESB_PlJNSF_9not_fun_tINSF_14equal_to_valueISA_EEEEEEE10hipError_tPvRmT3_T4_T5_T6_T7_T9_mT8_P12ihipStream_tbDpT10_ENKUlT_T0_E_clISt17integral_constantIbLb0EES1J_EEDaS1E_S1F_EUlS1E_E_NS1_11comp_targetILNS1_3genE4ELNS1_11target_archE910ELNS1_3gpuE8ELNS1_3repE0EEENS1_30default_config_static_selectorELNS0_4arch9wavefront6targetE0EEEvT1_.uses_flat_scratch, 0
	.set _ZN7rocprim17ROCPRIM_400000_NS6detail17trampoline_kernelINS0_14default_configENS1_25partition_config_selectorILNS1_17partition_subalgoE6EN6thrust23THRUST_200600_302600_NS5tupleIttNS7_9null_typeES9_S9_S9_S9_S9_S9_S9_EENS0_10empty_typeEbEEZZNS1_14partition_implILS5_6ELb0ES3_mNS7_12zip_iteratorINS8_INS7_6detail15normal_iteratorINS7_10device_ptrItEEEESJ_S9_S9_S9_S9_S9_S9_S9_S9_EEEEPSB_SM_NS0_5tupleIJNSE_INS8_ISJ_NS7_16discard_iteratorINS7_11use_defaultEEES9_S9_S9_S9_S9_S9_S9_S9_EEEESB_EEENSN_IJSM_SM_EEESB_PlJNSF_9not_fun_tINSF_14equal_to_valueISA_EEEEEEE10hipError_tPvRmT3_T4_T5_T6_T7_T9_mT8_P12ihipStream_tbDpT10_ENKUlT_T0_E_clISt17integral_constantIbLb0EES1J_EEDaS1E_S1F_EUlS1E_E_NS1_11comp_targetILNS1_3genE4ELNS1_11target_archE910ELNS1_3gpuE8ELNS1_3repE0EEENS1_30default_config_static_selectorELNS0_4arch9wavefront6targetE0EEEvT1_.has_dyn_sized_stack, 0
	.set _ZN7rocprim17ROCPRIM_400000_NS6detail17trampoline_kernelINS0_14default_configENS1_25partition_config_selectorILNS1_17partition_subalgoE6EN6thrust23THRUST_200600_302600_NS5tupleIttNS7_9null_typeES9_S9_S9_S9_S9_S9_S9_EENS0_10empty_typeEbEEZZNS1_14partition_implILS5_6ELb0ES3_mNS7_12zip_iteratorINS8_INS7_6detail15normal_iteratorINS7_10device_ptrItEEEESJ_S9_S9_S9_S9_S9_S9_S9_S9_EEEEPSB_SM_NS0_5tupleIJNSE_INS8_ISJ_NS7_16discard_iteratorINS7_11use_defaultEEES9_S9_S9_S9_S9_S9_S9_S9_EEEESB_EEENSN_IJSM_SM_EEESB_PlJNSF_9not_fun_tINSF_14equal_to_valueISA_EEEEEEE10hipError_tPvRmT3_T4_T5_T6_T7_T9_mT8_P12ihipStream_tbDpT10_ENKUlT_T0_E_clISt17integral_constantIbLb0EES1J_EEDaS1E_S1F_EUlS1E_E_NS1_11comp_targetILNS1_3genE4ELNS1_11target_archE910ELNS1_3gpuE8ELNS1_3repE0EEENS1_30default_config_static_selectorELNS0_4arch9wavefront6targetE0EEEvT1_.has_recursion, 0
	.set _ZN7rocprim17ROCPRIM_400000_NS6detail17trampoline_kernelINS0_14default_configENS1_25partition_config_selectorILNS1_17partition_subalgoE6EN6thrust23THRUST_200600_302600_NS5tupleIttNS7_9null_typeES9_S9_S9_S9_S9_S9_S9_EENS0_10empty_typeEbEEZZNS1_14partition_implILS5_6ELb0ES3_mNS7_12zip_iteratorINS8_INS7_6detail15normal_iteratorINS7_10device_ptrItEEEESJ_S9_S9_S9_S9_S9_S9_S9_S9_EEEEPSB_SM_NS0_5tupleIJNSE_INS8_ISJ_NS7_16discard_iteratorINS7_11use_defaultEEES9_S9_S9_S9_S9_S9_S9_S9_EEEESB_EEENSN_IJSM_SM_EEESB_PlJNSF_9not_fun_tINSF_14equal_to_valueISA_EEEEEEE10hipError_tPvRmT3_T4_T5_T6_T7_T9_mT8_P12ihipStream_tbDpT10_ENKUlT_T0_E_clISt17integral_constantIbLb0EES1J_EEDaS1E_S1F_EUlS1E_E_NS1_11comp_targetILNS1_3genE4ELNS1_11target_archE910ELNS1_3gpuE8ELNS1_3repE0EEENS1_30default_config_static_selectorELNS0_4arch9wavefront6targetE0EEEvT1_.has_indirect_call, 0
	.section	.AMDGPU.csdata,"",@progbits
; Kernel info:
; codeLenInByte = 0
; TotalNumSgprs: 0
; NumVgprs: 0
; ScratchSize: 0
; MemoryBound: 0
; FloatMode: 240
; IeeeMode: 1
; LDSByteSize: 0 bytes/workgroup (compile time only)
; SGPRBlocks: 0
; VGPRBlocks: 0
; NumSGPRsForWavesPerEU: 1
; NumVGPRsForWavesPerEU: 1
; Occupancy: 16
; WaveLimiterHint : 0
; COMPUTE_PGM_RSRC2:SCRATCH_EN: 0
; COMPUTE_PGM_RSRC2:USER_SGPR: 2
; COMPUTE_PGM_RSRC2:TRAP_HANDLER: 0
; COMPUTE_PGM_RSRC2:TGID_X_EN: 1
; COMPUTE_PGM_RSRC2:TGID_Y_EN: 0
; COMPUTE_PGM_RSRC2:TGID_Z_EN: 0
; COMPUTE_PGM_RSRC2:TIDIG_COMP_CNT: 0
	.section	.text._ZN7rocprim17ROCPRIM_400000_NS6detail17trampoline_kernelINS0_14default_configENS1_25partition_config_selectorILNS1_17partition_subalgoE6EN6thrust23THRUST_200600_302600_NS5tupleIttNS7_9null_typeES9_S9_S9_S9_S9_S9_S9_EENS0_10empty_typeEbEEZZNS1_14partition_implILS5_6ELb0ES3_mNS7_12zip_iteratorINS8_INS7_6detail15normal_iteratorINS7_10device_ptrItEEEESJ_S9_S9_S9_S9_S9_S9_S9_S9_EEEEPSB_SM_NS0_5tupleIJNSE_INS8_ISJ_NS7_16discard_iteratorINS7_11use_defaultEEES9_S9_S9_S9_S9_S9_S9_S9_EEEESB_EEENSN_IJSM_SM_EEESB_PlJNSF_9not_fun_tINSF_14equal_to_valueISA_EEEEEEE10hipError_tPvRmT3_T4_T5_T6_T7_T9_mT8_P12ihipStream_tbDpT10_ENKUlT_T0_E_clISt17integral_constantIbLb0EES1J_EEDaS1E_S1F_EUlS1E_E_NS1_11comp_targetILNS1_3genE3ELNS1_11target_archE908ELNS1_3gpuE7ELNS1_3repE0EEENS1_30default_config_static_selectorELNS0_4arch9wavefront6targetE0EEEvT1_,"axG",@progbits,_ZN7rocprim17ROCPRIM_400000_NS6detail17trampoline_kernelINS0_14default_configENS1_25partition_config_selectorILNS1_17partition_subalgoE6EN6thrust23THRUST_200600_302600_NS5tupleIttNS7_9null_typeES9_S9_S9_S9_S9_S9_S9_EENS0_10empty_typeEbEEZZNS1_14partition_implILS5_6ELb0ES3_mNS7_12zip_iteratorINS8_INS7_6detail15normal_iteratorINS7_10device_ptrItEEEESJ_S9_S9_S9_S9_S9_S9_S9_S9_EEEEPSB_SM_NS0_5tupleIJNSE_INS8_ISJ_NS7_16discard_iteratorINS7_11use_defaultEEES9_S9_S9_S9_S9_S9_S9_S9_EEEESB_EEENSN_IJSM_SM_EEESB_PlJNSF_9not_fun_tINSF_14equal_to_valueISA_EEEEEEE10hipError_tPvRmT3_T4_T5_T6_T7_T9_mT8_P12ihipStream_tbDpT10_ENKUlT_T0_E_clISt17integral_constantIbLb0EES1J_EEDaS1E_S1F_EUlS1E_E_NS1_11comp_targetILNS1_3genE3ELNS1_11target_archE908ELNS1_3gpuE7ELNS1_3repE0EEENS1_30default_config_static_selectorELNS0_4arch9wavefront6targetE0EEEvT1_,comdat
	.protected	_ZN7rocprim17ROCPRIM_400000_NS6detail17trampoline_kernelINS0_14default_configENS1_25partition_config_selectorILNS1_17partition_subalgoE6EN6thrust23THRUST_200600_302600_NS5tupleIttNS7_9null_typeES9_S9_S9_S9_S9_S9_S9_EENS0_10empty_typeEbEEZZNS1_14partition_implILS5_6ELb0ES3_mNS7_12zip_iteratorINS8_INS7_6detail15normal_iteratorINS7_10device_ptrItEEEESJ_S9_S9_S9_S9_S9_S9_S9_S9_EEEEPSB_SM_NS0_5tupleIJNSE_INS8_ISJ_NS7_16discard_iteratorINS7_11use_defaultEEES9_S9_S9_S9_S9_S9_S9_S9_EEEESB_EEENSN_IJSM_SM_EEESB_PlJNSF_9not_fun_tINSF_14equal_to_valueISA_EEEEEEE10hipError_tPvRmT3_T4_T5_T6_T7_T9_mT8_P12ihipStream_tbDpT10_ENKUlT_T0_E_clISt17integral_constantIbLb0EES1J_EEDaS1E_S1F_EUlS1E_E_NS1_11comp_targetILNS1_3genE3ELNS1_11target_archE908ELNS1_3gpuE7ELNS1_3repE0EEENS1_30default_config_static_selectorELNS0_4arch9wavefront6targetE0EEEvT1_ ; -- Begin function _ZN7rocprim17ROCPRIM_400000_NS6detail17trampoline_kernelINS0_14default_configENS1_25partition_config_selectorILNS1_17partition_subalgoE6EN6thrust23THRUST_200600_302600_NS5tupleIttNS7_9null_typeES9_S9_S9_S9_S9_S9_S9_EENS0_10empty_typeEbEEZZNS1_14partition_implILS5_6ELb0ES3_mNS7_12zip_iteratorINS8_INS7_6detail15normal_iteratorINS7_10device_ptrItEEEESJ_S9_S9_S9_S9_S9_S9_S9_S9_EEEEPSB_SM_NS0_5tupleIJNSE_INS8_ISJ_NS7_16discard_iteratorINS7_11use_defaultEEES9_S9_S9_S9_S9_S9_S9_S9_EEEESB_EEENSN_IJSM_SM_EEESB_PlJNSF_9not_fun_tINSF_14equal_to_valueISA_EEEEEEE10hipError_tPvRmT3_T4_T5_T6_T7_T9_mT8_P12ihipStream_tbDpT10_ENKUlT_T0_E_clISt17integral_constantIbLb0EES1J_EEDaS1E_S1F_EUlS1E_E_NS1_11comp_targetILNS1_3genE3ELNS1_11target_archE908ELNS1_3gpuE7ELNS1_3repE0EEENS1_30default_config_static_selectorELNS0_4arch9wavefront6targetE0EEEvT1_
	.globl	_ZN7rocprim17ROCPRIM_400000_NS6detail17trampoline_kernelINS0_14default_configENS1_25partition_config_selectorILNS1_17partition_subalgoE6EN6thrust23THRUST_200600_302600_NS5tupleIttNS7_9null_typeES9_S9_S9_S9_S9_S9_S9_EENS0_10empty_typeEbEEZZNS1_14partition_implILS5_6ELb0ES3_mNS7_12zip_iteratorINS8_INS7_6detail15normal_iteratorINS7_10device_ptrItEEEESJ_S9_S9_S9_S9_S9_S9_S9_S9_EEEEPSB_SM_NS0_5tupleIJNSE_INS8_ISJ_NS7_16discard_iteratorINS7_11use_defaultEEES9_S9_S9_S9_S9_S9_S9_S9_EEEESB_EEENSN_IJSM_SM_EEESB_PlJNSF_9not_fun_tINSF_14equal_to_valueISA_EEEEEEE10hipError_tPvRmT3_T4_T5_T6_T7_T9_mT8_P12ihipStream_tbDpT10_ENKUlT_T0_E_clISt17integral_constantIbLb0EES1J_EEDaS1E_S1F_EUlS1E_E_NS1_11comp_targetILNS1_3genE3ELNS1_11target_archE908ELNS1_3gpuE7ELNS1_3repE0EEENS1_30default_config_static_selectorELNS0_4arch9wavefront6targetE0EEEvT1_
	.p2align	8
	.type	_ZN7rocprim17ROCPRIM_400000_NS6detail17trampoline_kernelINS0_14default_configENS1_25partition_config_selectorILNS1_17partition_subalgoE6EN6thrust23THRUST_200600_302600_NS5tupleIttNS7_9null_typeES9_S9_S9_S9_S9_S9_S9_EENS0_10empty_typeEbEEZZNS1_14partition_implILS5_6ELb0ES3_mNS7_12zip_iteratorINS8_INS7_6detail15normal_iteratorINS7_10device_ptrItEEEESJ_S9_S9_S9_S9_S9_S9_S9_S9_EEEEPSB_SM_NS0_5tupleIJNSE_INS8_ISJ_NS7_16discard_iteratorINS7_11use_defaultEEES9_S9_S9_S9_S9_S9_S9_S9_EEEESB_EEENSN_IJSM_SM_EEESB_PlJNSF_9not_fun_tINSF_14equal_to_valueISA_EEEEEEE10hipError_tPvRmT3_T4_T5_T6_T7_T9_mT8_P12ihipStream_tbDpT10_ENKUlT_T0_E_clISt17integral_constantIbLb0EES1J_EEDaS1E_S1F_EUlS1E_E_NS1_11comp_targetILNS1_3genE3ELNS1_11target_archE908ELNS1_3gpuE7ELNS1_3repE0EEENS1_30default_config_static_selectorELNS0_4arch9wavefront6targetE0EEEvT1_,@function
_ZN7rocprim17ROCPRIM_400000_NS6detail17trampoline_kernelINS0_14default_configENS1_25partition_config_selectorILNS1_17partition_subalgoE6EN6thrust23THRUST_200600_302600_NS5tupleIttNS7_9null_typeES9_S9_S9_S9_S9_S9_S9_EENS0_10empty_typeEbEEZZNS1_14partition_implILS5_6ELb0ES3_mNS7_12zip_iteratorINS8_INS7_6detail15normal_iteratorINS7_10device_ptrItEEEESJ_S9_S9_S9_S9_S9_S9_S9_S9_EEEEPSB_SM_NS0_5tupleIJNSE_INS8_ISJ_NS7_16discard_iteratorINS7_11use_defaultEEES9_S9_S9_S9_S9_S9_S9_S9_EEEESB_EEENSN_IJSM_SM_EEESB_PlJNSF_9not_fun_tINSF_14equal_to_valueISA_EEEEEEE10hipError_tPvRmT3_T4_T5_T6_T7_T9_mT8_P12ihipStream_tbDpT10_ENKUlT_T0_E_clISt17integral_constantIbLb0EES1J_EEDaS1E_S1F_EUlS1E_E_NS1_11comp_targetILNS1_3genE3ELNS1_11target_archE908ELNS1_3gpuE7ELNS1_3repE0EEENS1_30default_config_static_selectorELNS0_4arch9wavefront6targetE0EEEvT1_: ; @_ZN7rocprim17ROCPRIM_400000_NS6detail17trampoline_kernelINS0_14default_configENS1_25partition_config_selectorILNS1_17partition_subalgoE6EN6thrust23THRUST_200600_302600_NS5tupleIttNS7_9null_typeES9_S9_S9_S9_S9_S9_S9_EENS0_10empty_typeEbEEZZNS1_14partition_implILS5_6ELb0ES3_mNS7_12zip_iteratorINS8_INS7_6detail15normal_iteratorINS7_10device_ptrItEEEESJ_S9_S9_S9_S9_S9_S9_S9_S9_EEEEPSB_SM_NS0_5tupleIJNSE_INS8_ISJ_NS7_16discard_iteratorINS7_11use_defaultEEES9_S9_S9_S9_S9_S9_S9_S9_EEEESB_EEENSN_IJSM_SM_EEESB_PlJNSF_9not_fun_tINSF_14equal_to_valueISA_EEEEEEE10hipError_tPvRmT3_T4_T5_T6_T7_T9_mT8_P12ihipStream_tbDpT10_ENKUlT_T0_E_clISt17integral_constantIbLb0EES1J_EEDaS1E_S1F_EUlS1E_E_NS1_11comp_targetILNS1_3genE3ELNS1_11target_archE908ELNS1_3gpuE7ELNS1_3repE0EEENS1_30default_config_static_selectorELNS0_4arch9wavefront6targetE0EEEvT1_
; %bb.0:
	.section	.rodata,"a",@progbits
	.p2align	6, 0x0
	.amdhsa_kernel _ZN7rocprim17ROCPRIM_400000_NS6detail17trampoline_kernelINS0_14default_configENS1_25partition_config_selectorILNS1_17partition_subalgoE6EN6thrust23THRUST_200600_302600_NS5tupleIttNS7_9null_typeES9_S9_S9_S9_S9_S9_S9_EENS0_10empty_typeEbEEZZNS1_14partition_implILS5_6ELb0ES3_mNS7_12zip_iteratorINS8_INS7_6detail15normal_iteratorINS7_10device_ptrItEEEESJ_S9_S9_S9_S9_S9_S9_S9_S9_EEEEPSB_SM_NS0_5tupleIJNSE_INS8_ISJ_NS7_16discard_iteratorINS7_11use_defaultEEES9_S9_S9_S9_S9_S9_S9_S9_EEEESB_EEENSN_IJSM_SM_EEESB_PlJNSF_9not_fun_tINSF_14equal_to_valueISA_EEEEEEE10hipError_tPvRmT3_T4_T5_T6_T7_T9_mT8_P12ihipStream_tbDpT10_ENKUlT_T0_E_clISt17integral_constantIbLb0EES1J_EEDaS1E_S1F_EUlS1E_E_NS1_11comp_targetILNS1_3genE3ELNS1_11target_archE908ELNS1_3gpuE7ELNS1_3repE0EEENS1_30default_config_static_selectorELNS0_4arch9wavefront6targetE0EEEvT1_
		.amdhsa_group_segment_fixed_size 0
		.amdhsa_private_segment_fixed_size 0
		.amdhsa_kernarg_size 144
		.amdhsa_user_sgpr_count 2
		.amdhsa_user_sgpr_dispatch_ptr 0
		.amdhsa_user_sgpr_queue_ptr 0
		.amdhsa_user_sgpr_kernarg_segment_ptr 1
		.amdhsa_user_sgpr_dispatch_id 0
		.amdhsa_user_sgpr_private_segment_size 0
		.amdhsa_wavefront_size32 1
		.amdhsa_uses_dynamic_stack 0
		.amdhsa_enable_private_segment 0
		.amdhsa_system_sgpr_workgroup_id_x 1
		.amdhsa_system_sgpr_workgroup_id_y 0
		.amdhsa_system_sgpr_workgroup_id_z 0
		.amdhsa_system_sgpr_workgroup_info 0
		.amdhsa_system_vgpr_workitem_id 0
		.amdhsa_next_free_vgpr 1
		.amdhsa_next_free_sgpr 1
		.amdhsa_reserve_vcc 0
		.amdhsa_float_round_mode_32 0
		.amdhsa_float_round_mode_16_64 0
		.amdhsa_float_denorm_mode_32 3
		.amdhsa_float_denorm_mode_16_64 3
		.amdhsa_fp16_overflow 0
		.amdhsa_workgroup_processor_mode 1
		.amdhsa_memory_ordered 1
		.amdhsa_forward_progress 1
		.amdhsa_inst_pref_size 0
		.amdhsa_round_robin_scheduling 0
		.amdhsa_exception_fp_ieee_invalid_op 0
		.amdhsa_exception_fp_denorm_src 0
		.amdhsa_exception_fp_ieee_div_zero 0
		.amdhsa_exception_fp_ieee_overflow 0
		.amdhsa_exception_fp_ieee_underflow 0
		.amdhsa_exception_fp_ieee_inexact 0
		.amdhsa_exception_int_div_zero 0
	.end_amdhsa_kernel
	.section	.text._ZN7rocprim17ROCPRIM_400000_NS6detail17trampoline_kernelINS0_14default_configENS1_25partition_config_selectorILNS1_17partition_subalgoE6EN6thrust23THRUST_200600_302600_NS5tupleIttNS7_9null_typeES9_S9_S9_S9_S9_S9_S9_EENS0_10empty_typeEbEEZZNS1_14partition_implILS5_6ELb0ES3_mNS7_12zip_iteratorINS8_INS7_6detail15normal_iteratorINS7_10device_ptrItEEEESJ_S9_S9_S9_S9_S9_S9_S9_S9_EEEEPSB_SM_NS0_5tupleIJNSE_INS8_ISJ_NS7_16discard_iteratorINS7_11use_defaultEEES9_S9_S9_S9_S9_S9_S9_S9_EEEESB_EEENSN_IJSM_SM_EEESB_PlJNSF_9not_fun_tINSF_14equal_to_valueISA_EEEEEEE10hipError_tPvRmT3_T4_T5_T6_T7_T9_mT8_P12ihipStream_tbDpT10_ENKUlT_T0_E_clISt17integral_constantIbLb0EES1J_EEDaS1E_S1F_EUlS1E_E_NS1_11comp_targetILNS1_3genE3ELNS1_11target_archE908ELNS1_3gpuE7ELNS1_3repE0EEENS1_30default_config_static_selectorELNS0_4arch9wavefront6targetE0EEEvT1_,"axG",@progbits,_ZN7rocprim17ROCPRIM_400000_NS6detail17trampoline_kernelINS0_14default_configENS1_25partition_config_selectorILNS1_17partition_subalgoE6EN6thrust23THRUST_200600_302600_NS5tupleIttNS7_9null_typeES9_S9_S9_S9_S9_S9_S9_EENS0_10empty_typeEbEEZZNS1_14partition_implILS5_6ELb0ES3_mNS7_12zip_iteratorINS8_INS7_6detail15normal_iteratorINS7_10device_ptrItEEEESJ_S9_S9_S9_S9_S9_S9_S9_S9_EEEEPSB_SM_NS0_5tupleIJNSE_INS8_ISJ_NS7_16discard_iteratorINS7_11use_defaultEEES9_S9_S9_S9_S9_S9_S9_S9_EEEESB_EEENSN_IJSM_SM_EEESB_PlJNSF_9not_fun_tINSF_14equal_to_valueISA_EEEEEEE10hipError_tPvRmT3_T4_T5_T6_T7_T9_mT8_P12ihipStream_tbDpT10_ENKUlT_T0_E_clISt17integral_constantIbLb0EES1J_EEDaS1E_S1F_EUlS1E_E_NS1_11comp_targetILNS1_3genE3ELNS1_11target_archE908ELNS1_3gpuE7ELNS1_3repE0EEENS1_30default_config_static_selectorELNS0_4arch9wavefront6targetE0EEEvT1_,comdat
.Lfunc_end1952:
	.size	_ZN7rocprim17ROCPRIM_400000_NS6detail17trampoline_kernelINS0_14default_configENS1_25partition_config_selectorILNS1_17partition_subalgoE6EN6thrust23THRUST_200600_302600_NS5tupleIttNS7_9null_typeES9_S9_S9_S9_S9_S9_S9_EENS0_10empty_typeEbEEZZNS1_14partition_implILS5_6ELb0ES3_mNS7_12zip_iteratorINS8_INS7_6detail15normal_iteratorINS7_10device_ptrItEEEESJ_S9_S9_S9_S9_S9_S9_S9_S9_EEEEPSB_SM_NS0_5tupleIJNSE_INS8_ISJ_NS7_16discard_iteratorINS7_11use_defaultEEES9_S9_S9_S9_S9_S9_S9_S9_EEEESB_EEENSN_IJSM_SM_EEESB_PlJNSF_9not_fun_tINSF_14equal_to_valueISA_EEEEEEE10hipError_tPvRmT3_T4_T5_T6_T7_T9_mT8_P12ihipStream_tbDpT10_ENKUlT_T0_E_clISt17integral_constantIbLb0EES1J_EEDaS1E_S1F_EUlS1E_E_NS1_11comp_targetILNS1_3genE3ELNS1_11target_archE908ELNS1_3gpuE7ELNS1_3repE0EEENS1_30default_config_static_selectorELNS0_4arch9wavefront6targetE0EEEvT1_, .Lfunc_end1952-_ZN7rocprim17ROCPRIM_400000_NS6detail17trampoline_kernelINS0_14default_configENS1_25partition_config_selectorILNS1_17partition_subalgoE6EN6thrust23THRUST_200600_302600_NS5tupleIttNS7_9null_typeES9_S9_S9_S9_S9_S9_S9_EENS0_10empty_typeEbEEZZNS1_14partition_implILS5_6ELb0ES3_mNS7_12zip_iteratorINS8_INS7_6detail15normal_iteratorINS7_10device_ptrItEEEESJ_S9_S9_S9_S9_S9_S9_S9_S9_EEEEPSB_SM_NS0_5tupleIJNSE_INS8_ISJ_NS7_16discard_iteratorINS7_11use_defaultEEES9_S9_S9_S9_S9_S9_S9_S9_EEEESB_EEENSN_IJSM_SM_EEESB_PlJNSF_9not_fun_tINSF_14equal_to_valueISA_EEEEEEE10hipError_tPvRmT3_T4_T5_T6_T7_T9_mT8_P12ihipStream_tbDpT10_ENKUlT_T0_E_clISt17integral_constantIbLb0EES1J_EEDaS1E_S1F_EUlS1E_E_NS1_11comp_targetILNS1_3genE3ELNS1_11target_archE908ELNS1_3gpuE7ELNS1_3repE0EEENS1_30default_config_static_selectorELNS0_4arch9wavefront6targetE0EEEvT1_
                                        ; -- End function
	.set _ZN7rocprim17ROCPRIM_400000_NS6detail17trampoline_kernelINS0_14default_configENS1_25partition_config_selectorILNS1_17partition_subalgoE6EN6thrust23THRUST_200600_302600_NS5tupleIttNS7_9null_typeES9_S9_S9_S9_S9_S9_S9_EENS0_10empty_typeEbEEZZNS1_14partition_implILS5_6ELb0ES3_mNS7_12zip_iteratorINS8_INS7_6detail15normal_iteratorINS7_10device_ptrItEEEESJ_S9_S9_S9_S9_S9_S9_S9_S9_EEEEPSB_SM_NS0_5tupleIJNSE_INS8_ISJ_NS7_16discard_iteratorINS7_11use_defaultEEES9_S9_S9_S9_S9_S9_S9_S9_EEEESB_EEENSN_IJSM_SM_EEESB_PlJNSF_9not_fun_tINSF_14equal_to_valueISA_EEEEEEE10hipError_tPvRmT3_T4_T5_T6_T7_T9_mT8_P12ihipStream_tbDpT10_ENKUlT_T0_E_clISt17integral_constantIbLb0EES1J_EEDaS1E_S1F_EUlS1E_E_NS1_11comp_targetILNS1_3genE3ELNS1_11target_archE908ELNS1_3gpuE7ELNS1_3repE0EEENS1_30default_config_static_selectorELNS0_4arch9wavefront6targetE0EEEvT1_.num_vgpr, 0
	.set _ZN7rocprim17ROCPRIM_400000_NS6detail17trampoline_kernelINS0_14default_configENS1_25partition_config_selectorILNS1_17partition_subalgoE6EN6thrust23THRUST_200600_302600_NS5tupleIttNS7_9null_typeES9_S9_S9_S9_S9_S9_S9_EENS0_10empty_typeEbEEZZNS1_14partition_implILS5_6ELb0ES3_mNS7_12zip_iteratorINS8_INS7_6detail15normal_iteratorINS7_10device_ptrItEEEESJ_S9_S9_S9_S9_S9_S9_S9_S9_EEEEPSB_SM_NS0_5tupleIJNSE_INS8_ISJ_NS7_16discard_iteratorINS7_11use_defaultEEES9_S9_S9_S9_S9_S9_S9_S9_EEEESB_EEENSN_IJSM_SM_EEESB_PlJNSF_9not_fun_tINSF_14equal_to_valueISA_EEEEEEE10hipError_tPvRmT3_T4_T5_T6_T7_T9_mT8_P12ihipStream_tbDpT10_ENKUlT_T0_E_clISt17integral_constantIbLb0EES1J_EEDaS1E_S1F_EUlS1E_E_NS1_11comp_targetILNS1_3genE3ELNS1_11target_archE908ELNS1_3gpuE7ELNS1_3repE0EEENS1_30default_config_static_selectorELNS0_4arch9wavefront6targetE0EEEvT1_.num_agpr, 0
	.set _ZN7rocprim17ROCPRIM_400000_NS6detail17trampoline_kernelINS0_14default_configENS1_25partition_config_selectorILNS1_17partition_subalgoE6EN6thrust23THRUST_200600_302600_NS5tupleIttNS7_9null_typeES9_S9_S9_S9_S9_S9_S9_EENS0_10empty_typeEbEEZZNS1_14partition_implILS5_6ELb0ES3_mNS7_12zip_iteratorINS8_INS7_6detail15normal_iteratorINS7_10device_ptrItEEEESJ_S9_S9_S9_S9_S9_S9_S9_S9_EEEEPSB_SM_NS0_5tupleIJNSE_INS8_ISJ_NS7_16discard_iteratorINS7_11use_defaultEEES9_S9_S9_S9_S9_S9_S9_S9_EEEESB_EEENSN_IJSM_SM_EEESB_PlJNSF_9not_fun_tINSF_14equal_to_valueISA_EEEEEEE10hipError_tPvRmT3_T4_T5_T6_T7_T9_mT8_P12ihipStream_tbDpT10_ENKUlT_T0_E_clISt17integral_constantIbLb0EES1J_EEDaS1E_S1F_EUlS1E_E_NS1_11comp_targetILNS1_3genE3ELNS1_11target_archE908ELNS1_3gpuE7ELNS1_3repE0EEENS1_30default_config_static_selectorELNS0_4arch9wavefront6targetE0EEEvT1_.numbered_sgpr, 0
	.set _ZN7rocprim17ROCPRIM_400000_NS6detail17trampoline_kernelINS0_14default_configENS1_25partition_config_selectorILNS1_17partition_subalgoE6EN6thrust23THRUST_200600_302600_NS5tupleIttNS7_9null_typeES9_S9_S9_S9_S9_S9_S9_EENS0_10empty_typeEbEEZZNS1_14partition_implILS5_6ELb0ES3_mNS7_12zip_iteratorINS8_INS7_6detail15normal_iteratorINS7_10device_ptrItEEEESJ_S9_S9_S9_S9_S9_S9_S9_S9_EEEEPSB_SM_NS0_5tupleIJNSE_INS8_ISJ_NS7_16discard_iteratorINS7_11use_defaultEEES9_S9_S9_S9_S9_S9_S9_S9_EEEESB_EEENSN_IJSM_SM_EEESB_PlJNSF_9not_fun_tINSF_14equal_to_valueISA_EEEEEEE10hipError_tPvRmT3_T4_T5_T6_T7_T9_mT8_P12ihipStream_tbDpT10_ENKUlT_T0_E_clISt17integral_constantIbLb0EES1J_EEDaS1E_S1F_EUlS1E_E_NS1_11comp_targetILNS1_3genE3ELNS1_11target_archE908ELNS1_3gpuE7ELNS1_3repE0EEENS1_30default_config_static_selectorELNS0_4arch9wavefront6targetE0EEEvT1_.num_named_barrier, 0
	.set _ZN7rocprim17ROCPRIM_400000_NS6detail17trampoline_kernelINS0_14default_configENS1_25partition_config_selectorILNS1_17partition_subalgoE6EN6thrust23THRUST_200600_302600_NS5tupleIttNS7_9null_typeES9_S9_S9_S9_S9_S9_S9_EENS0_10empty_typeEbEEZZNS1_14partition_implILS5_6ELb0ES3_mNS7_12zip_iteratorINS8_INS7_6detail15normal_iteratorINS7_10device_ptrItEEEESJ_S9_S9_S9_S9_S9_S9_S9_S9_EEEEPSB_SM_NS0_5tupleIJNSE_INS8_ISJ_NS7_16discard_iteratorINS7_11use_defaultEEES9_S9_S9_S9_S9_S9_S9_S9_EEEESB_EEENSN_IJSM_SM_EEESB_PlJNSF_9not_fun_tINSF_14equal_to_valueISA_EEEEEEE10hipError_tPvRmT3_T4_T5_T6_T7_T9_mT8_P12ihipStream_tbDpT10_ENKUlT_T0_E_clISt17integral_constantIbLb0EES1J_EEDaS1E_S1F_EUlS1E_E_NS1_11comp_targetILNS1_3genE3ELNS1_11target_archE908ELNS1_3gpuE7ELNS1_3repE0EEENS1_30default_config_static_selectorELNS0_4arch9wavefront6targetE0EEEvT1_.private_seg_size, 0
	.set _ZN7rocprim17ROCPRIM_400000_NS6detail17trampoline_kernelINS0_14default_configENS1_25partition_config_selectorILNS1_17partition_subalgoE6EN6thrust23THRUST_200600_302600_NS5tupleIttNS7_9null_typeES9_S9_S9_S9_S9_S9_S9_EENS0_10empty_typeEbEEZZNS1_14partition_implILS5_6ELb0ES3_mNS7_12zip_iteratorINS8_INS7_6detail15normal_iteratorINS7_10device_ptrItEEEESJ_S9_S9_S9_S9_S9_S9_S9_S9_EEEEPSB_SM_NS0_5tupleIJNSE_INS8_ISJ_NS7_16discard_iteratorINS7_11use_defaultEEES9_S9_S9_S9_S9_S9_S9_S9_EEEESB_EEENSN_IJSM_SM_EEESB_PlJNSF_9not_fun_tINSF_14equal_to_valueISA_EEEEEEE10hipError_tPvRmT3_T4_T5_T6_T7_T9_mT8_P12ihipStream_tbDpT10_ENKUlT_T0_E_clISt17integral_constantIbLb0EES1J_EEDaS1E_S1F_EUlS1E_E_NS1_11comp_targetILNS1_3genE3ELNS1_11target_archE908ELNS1_3gpuE7ELNS1_3repE0EEENS1_30default_config_static_selectorELNS0_4arch9wavefront6targetE0EEEvT1_.uses_vcc, 0
	.set _ZN7rocprim17ROCPRIM_400000_NS6detail17trampoline_kernelINS0_14default_configENS1_25partition_config_selectorILNS1_17partition_subalgoE6EN6thrust23THRUST_200600_302600_NS5tupleIttNS7_9null_typeES9_S9_S9_S9_S9_S9_S9_EENS0_10empty_typeEbEEZZNS1_14partition_implILS5_6ELb0ES3_mNS7_12zip_iteratorINS8_INS7_6detail15normal_iteratorINS7_10device_ptrItEEEESJ_S9_S9_S9_S9_S9_S9_S9_S9_EEEEPSB_SM_NS0_5tupleIJNSE_INS8_ISJ_NS7_16discard_iteratorINS7_11use_defaultEEES9_S9_S9_S9_S9_S9_S9_S9_EEEESB_EEENSN_IJSM_SM_EEESB_PlJNSF_9not_fun_tINSF_14equal_to_valueISA_EEEEEEE10hipError_tPvRmT3_T4_T5_T6_T7_T9_mT8_P12ihipStream_tbDpT10_ENKUlT_T0_E_clISt17integral_constantIbLb0EES1J_EEDaS1E_S1F_EUlS1E_E_NS1_11comp_targetILNS1_3genE3ELNS1_11target_archE908ELNS1_3gpuE7ELNS1_3repE0EEENS1_30default_config_static_selectorELNS0_4arch9wavefront6targetE0EEEvT1_.uses_flat_scratch, 0
	.set _ZN7rocprim17ROCPRIM_400000_NS6detail17trampoline_kernelINS0_14default_configENS1_25partition_config_selectorILNS1_17partition_subalgoE6EN6thrust23THRUST_200600_302600_NS5tupleIttNS7_9null_typeES9_S9_S9_S9_S9_S9_S9_EENS0_10empty_typeEbEEZZNS1_14partition_implILS5_6ELb0ES3_mNS7_12zip_iteratorINS8_INS7_6detail15normal_iteratorINS7_10device_ptrItEEEESJ_S9_S9_S9_S9_S9_S9_S9_S9_EEEEPSB_SM_NS0_5tupleIJNSE_INS8_ISJ_NS7_16discard_iteratorINS7_11use_defaultEEES9_S9_S9_S9_S9_S9_S9_S9_EEEESB_EEENSN_IJSM_SM_EEESB_PlJNSF_9not_fun_tINSF_14equal_to_valueISA_EEEEEEE10hipError_tPvRmT3_T4_T5_T6_T7_T9_mT8_P12ihipStream_tbDpT10_ENKUlT_T0_E_clISt17integral_constantIbLb0EES1J_EEDaS1E_S1F_EUlS1E_E_NS1_11comp_targetILNS1_3genE3ELNS1_11target_archE908ELNS1_3gpuE7ELNS1_3repE0EEENS1_30default_config_static_selectorELNS0_4arch9wavefront6targetE0EEEvT1_.has_dyn_sized_stack, 0
	.set _ZN7rocprim17ROCPRIM_400000_NS6detail17trampoline_kernelINS0_14default_configENS1_25partition_config_selectorILNS1_17partition_subalgoE6EN6thrust23THRUST_200600_302600_NS5tupleIttNS7_9null_typeES9_S9_S9_S9_S9_S9_S9_EENS0_10empty_typeEbEEZZNS1_14partition_implILS5_6ELb0ES3_mNS7_12zip_iteratorINS8_INS7_6detail15normal_iteratorINS7_10device_ptrItEEEESJ_S9_S9_S9_S9_S9_S9_S9_S9_EEEEPSB_SM_NS0_5tupleIJNSE_INS8_ISJ_NS7_16discard_iteratorINS7_11use_defaultEEES9_S9_S9_S9_S9_S9_S9_S9_EEEESB_EEENSN_IJSM_SM_EEESB_PlJNSF_9not_fun_tINSF_14equal_to_valueISA_EEEEEEE10hipError_tPvRmT3_T4_T5_T6_T7_T9_mT8_P12ihipStream_tbDpT10_ENKUlT_T0_E_clISt17integral_constantIbLb0EES1J_EEDaS1E_S1F_EUlS1E_E_NS1_11comp_targetILNS1_3genE3ELNS1_11target_archE908ELNS1_3gpuE7ELNS1_3repE0EEENS1_30default_config_static_selectorELNS0_4arch9wavefront6targetE0EEEvT1_.has_recursion, 0
	.set _ZN7rocprim17ROCPRIM_400000_NS6detail17trampoline_kernelINS0_14default_configENS1_25partition_config_selectorILNS1_17partition_subalgoE6EN6thrust23THRUST_200600_302600_NS5tupleIttNS7_9null_typeES9_S9_S9_S9_S9_S9_S9_EENS0_10empty_typeEbEEZZNS1_14partition_implILS5_6ELb0ES3_mNS7_12zip_iteratorINS8_INS7_6detail15normal_iteratorINS7_10device_ptrItEEEESJ_S9_S9_S9_S9_S9_S9_S9_S9_EEEEPSB_SM_NS0_5tupleIJNSE_INS8_ISJ_NS7_16discard_iteratorINS7_11use_defaultEEES9_S9_S9_S9_S9_S9_S9_S9_EEEESB_EEENSN_IJSM_SM_EEESB_PlJNSF_9not_fun_tINSF_14equal_to_valueISA_EEEEEEE10hipError_tPvRmT3_T4_T5_T6_T7_T9_mT8_P12ihipStream_tbDpT10_ENKUlT_T0_E_clISt17integral_constantIbLb0EES1J_EEDaS1E_S1F_EUlS1E_E_NS1_11comp_targetILNS1_3genE3ELNS1_11target_archE908ELNS1_3gpuE7ELNS1_3repE0EEENS1_30default_config_static_selectorELNS0_4arch9wavefront6targetE0EEEvT1_.has_indirect_call, 0
	.section	.AMDGPU.csdata,"",@progbits
; Kernel info:
; codeLenInByte = 0
; TotalNumSgprs: 0
; NumVgprs: 0
; ScratchSize: 0
; MemoryBound: 0
; FloatMode: 240
; IeeeMode: 1
; LDSByteSize: 0 bytes/workgroup (compile time only)
; SGPRBlocks: 0
; VGPRBlocks: 0
; NumSGPRsForWavesPerEU: 1
; NumVGPRsForWavesPerEU: 1
; Occupancy: 16
; WaveLimiterHint : 0
; COMPUTE_PGM_RSRC2:SCRATCH_EN: 0
; COMPUTE_PGM_RSRC2:USER_SGPR: 2
; COMPUTE_PGM_RSRC2:TRAP_HANDLER: 0
; COMPUTE_PGM_RSRC2:TGID_X_EN: 1
; COMPUTE_PGM_RSRC2:TGID_Y_EN: 0
; COMPUTE_PGM_RSRC2:TGID_Z_EN: 0
; COMPUTE_PGM_RSRC2:TIDIG_COMP_CNT: 0
	.section	.text._ZN7rocprim17ROCPRIM_400000_NS6detail17trampoline_kernelINS0_14default_configENS1_25partition_config_selectorILNS1_17partition_subalgoE6EN6thrust23THRUST_200600_302600_NS5tupleIttNS7_9null_typeES9_S9_S9_S9_S9_S9_S9_EENS0_10empty_typeEbEEZZNS1_14partition_implILS5_6ELb0ES3_mNS7_12zip_iteratorINS8_INS7_6detail15normal_iteratorINS7_10device_ptrItEEEESJ_S9_S9_S9_S9_S9_S9_S9_S9_EEEEPSB_SM_NS0_5tupleIJNSE_INS8_ISJ_NS7_16discard_iteratorINS7_11use_defaultEEES9_S9_S9_S9_S9_S9_S9_S9_EEEESB_EEENSN_IJSM_SM_EEESB_PlJNSF_9not_fun_tINSF_14equal_to_valueISA_EEEEEEE10hipError_tPvRmT3_T4_T5_T6_T7_T9_mT8_P12ihipStream_tbDpT10_ENKUlT_T0_E_clISt17integral_constantIbLb0EES1J_EEDaS1E_S1F_EUlS1E_E_NS1_11comp_targetILNS1_3genE2ELNS1_11target_archE906ELNS1_3gpuE6ELNS1_3repE0EEENS1_30default_config_static_selectorELNS0_4arch9wavefront6targetE0EEEvT1_,"axG",@progbits,_ZN7rocprim17ROCPRIM_400000_NS6detail17trampoline_kernelINS0_14default_configENS1_25partition_config_selectorILNS1_17partition_subalgoE6EN6thrust23THRUST_200600_302600_NS5tupleIttNS7_9null_typeES9_S9_S9_S9_S9_S9_S9_EENS0_10empty_typeEbEEZZNS1_14partition_implILS5_6ELb0ES3_mNS7_12zip_iteratorINS8_INS7_6detail15normal_iteratorINS7_10device_ptrItEEEESJ_S9_S9_S9_S9_S9_S9_S9_S9_EEEEPSB_SM_NS0_5tupleIJNSE_INS8_ISJ_NS7_16discard_iteratorINS7_11use_defaultEEES9_S9_S9_S9_S9_S9_S9_S9_EEEESB_EEENSN_IJSM_SM_EEESB_PlJNSF_9not_fun_tINSF_14equal_to_valueISA_EEEEEEE10hipError_tPvRmT3_T4_T5_T6_T7_T9_mT8_P12ihipStream_tbDpT10_ENKUlT_T0_E_clISt17integral_constantIbLb0EES1J_EEDaS1E_S1F_EUlS1E_E_NS1_11comp_targetILNS1_3genE2ELNS1_11target_archE906ELNS1_3gpuE6ELNS1_3repE0EEENS1_30default_config_static_selectorELNS0_4arch9wavefront6targetE0EEEvT1_,comdat
	.protected	_ZN7rocprim17ROCPRIM_400000_NS6detail17trampoline_kernelINS0_14default_configENS1_25partition_config_selectorILNS1_17partition_subalgoE6EN6thrust23THRUST_200600_302600_NS5tupleIttNS7_9null_typeES9_S9_S9_S9_S9_S9_S9_EENS0_10empty_typeEbEEZZNS1_14partition_implILS5_6ELb0ES3_mNS7_12zip_iteratorINS8_INS7_6detail15normal_iteratorINS7_10device_ptrItEEEESJ_S9_S9_S9_S9_S9_S9_S9_S9_EEEEPSB_SM_NS0_5tupleIJNSE_INS8_ISJ_NS7_16discard_iteratorINS7_11use_defaultEEES9_S9_S9_S9_S9_S9_S9_S9_EEEESB_EEENSN_IJSM_SM_EEESB_PlJNSF_9not_fun_tINSF_14equal_to_valueISA_EEEEEEE10hipError_tPvRmT3_T4_T5_T6_T7_T9_mT8_P12ihipStream_tbDpT10_ENKUlT_T0_E_clISt17integral_constantIbLb0EES1J_EEDaS1E_S1F_EUlS1E_E_NS1_11comp_targetILNS1_3genE2ELNS1_11target_archE906ELNS1_3gpuE6ELNS1_3repE0EEENS1_30default_config_static_selectorELNS0_4arch9wavefront6targetE0EEEvT1_ ; -- Begin function _ZN7rocprim17ROCPRIM_400000_NS6detail17trampoline_kernelINS0_14default_configENS1_25partition_config_selectorILNS1_17partition_subalgoE6EN6thrust23THRUST_200600_302600_NS5tupleIttNS7_9null_typeES9_S9_S9_S9_S9_S9_S9_EENS0_10empty_typeEbEEZZNS1_14partition_implILS5_6ELb0ES3_mNS7_12zip_iteratorINS8_INS7_6detail15normal_iteratorINS7_10device_ptrItEEEESJ_S9_S9_S9_S9_S9_S9_S9_S9_EEEEPSB_SM_NS0_5tupleIJNSE_INS8_ISJ_NS7_16discard_iteratorINS7_11use_defaultEEES9_S9_S9_S9_S9_S9_S9_S9_EEEESB_EEENSN_IJSM_SM_EEESB_PlJNSF_9not_fun_tINSF_14equal_to_valueISA_EEEEEEE10hipError_tPvRmT3_T4_T5_T6_T7_T9_mT8_P12ihipStream_tbDpT10_ENKUlT_T0_E_clISt17integral_constantIbLb0EES1J_EEDaS1E_S1F_EUlS1E_E_NS1_11comp_targetILNS1_3genE2ELNS1_11target_archE906ELNS1_3gpuE6ELNS1_3repE0EEENS1_30default_config_static_selectorELNS0_4arch9wavefront6targetE0EEEvT1_
	.globl	_ZN7rocprim17ROCPRIM_400000_NS6detail17trampoline_kernelINS0_14default_configENS1_25partition_config_selectorILNS1_17partition_subalgoE6EN6thrust23THRUST_200600_302600_NS5tupleIttNS7_9null_typeES9_S9_S9_S9_S9_S9_S9_EENS0_10empty_typeEbEEZZNS1_14partition_implILS5_6ELb0ES3_mNS7_12zip_iteratorINS8_INS7_6detail15normal_iteratorINS7_10device_ptrItEEEESJ_S9_S9_S9_S9_S9_S9_S9_S9_EEEEPSB_SM_NS0_5tupleIJNSE_INS8_ISJ_NS7_16discard_iteratorINS7_11use_defaultEEES9_S9_S9_S9_S9_S9_S9_S9_EEEESB_EEENSN_IJSM_SM_EEESB_PlJNSF_9not_fun_tINSF_14equal_to_valueISA_EEEEEEE10hipError_tPvRmT3_T4_T5_T6_T7_T9_mT8_P12ihipStream_tbDpT10_ENKUlT_T0_E_clISt17integral_constantIbLb0EES1J_EEDaS1E_S1F_EUlS1E_E_NS1_11comp_targetILNS1_3genE2ELNS1_11target_archE906ELNS1_3gpuE6ELNS1_3repE0EEENS1_30default_config_static_selectorELNS0_4arch9wavefront6targetE0EEEvT1_
	.p2align	8
	.type	_ZN7rocprim17ROCPRIM_400000_NS6detail17trampoline_kernelINS0_14default_configENS1_25partition_config_selectorILNS1_17partition_subalgoE6EN6thrust23THRUST_200600_302600_NS5tupleIttNS7_9null_typeES9_S9_S9_S9_S9_S9_S9_EENS0_10empty_typeEbEEZZNS1_14partition_implILS5_6ELb0ES3_mNS7_12zip_iteratorINS8_INS7_6detail15normal_iteratorINS7_10device_ptrItEEEESJ_S9_S9_S9_S9_S9_S9_S9_S9_EEEEPSB_SM_NS0_5tupleIJNSE_INS8_ISJ_NS7_16discard_iteratorINS7_11use_defaultEEES9_S9_S9_S9_S9_S9_S9_S9_EEEESB_EEENSN_IJSM_SM_EEESB_PlJNSF_9not_fun_tINSF_14equal_to_valueISA_EEEEEEE10hipError_tPvRmT3_T4_T5_T6_T7_T9_mT8_P12ihipStream_tbDpT10_ENKUlT_T0_E_clISt17integral_constantIbLb0EES1J_EEDaS1E_S1F_EUlS1E_E_NS1_11comp_targetILNS1_3genE2ELNS1_11target_archE906ELNS1_3gpuE6ELNS1_3repE0EEENS1_30default_config_static_selectorELNS0_4arch9wavefront6targetE0EEEvT1_,@function
_ZN7rocprim17ROCPRIM_400000_NS6detail17trampoline_kernelINS0_14default_configENS1_25partition_config_selectorILNS1_17partition_subalgoE6EN6thrust23THRUST_200600_302600_NS5tupleIttNS7_9null_typeES9_S9_S9_S9_S9_S9_S9_EENS0_10empty_typeEbEEZZNS1_14partition_implILS5_6ELb0ES3_mNS7_12zip_iteratorINS8_INS7_6detail15normal_iteratorINS7_10device_ptrItEEEESJ_S9_S9_S9_S9_S9_S9_S9_S9_EEEEPSB_SM_NS0_5tupleIJNSE_INS8_ISJ_NS7_16discard_iteratorINS7_11use_defaultEEES9_S9_S9_S9_S9_S9_S9_S9_EEEESB_EEENSN_IJSM_SM_EEESB_PlJNSF_9not_fun_tINSF_14equal_to_valueISA_EEEEEEE10hipError_tPvRmT3_T4_T5_T6_T7_T9_mT8_P12ihipStream_tbDpT10_ENKUlT_T0_E_clISt17integral_constantIbLb0EES1J_EEDaS1E_S1F_EUlS1E_E_NS1_11comp_targetILNS1_3genE2ELNS1_11target_archE906ELNS1_3gpuE6ELNS1_3repE0EEENS1_30default_config_static_selectorELNS0_4arch9wavefront6targetE0EEEvT1_: ; @_ZN7rocprim17ROCPRIM_400000_NS6detail17trampoline_kernelINS0_14default_configENS1_25partition_config_selectorILNS1_17partition_subalgoE6EN6thrust23THRUST_200600_302600_NS5tupleIttNS7_9null_typeES9_S9_S9_S9_S9_S9_S9_EENS0_10empty_typeEbEEZZNS1_14partition_implILS5_6ELb0ES3_mNS7_12zip_iteratorINS8_INS7_6detail15normal_iteratorINS7_10device_ptrItEEEESJ_S9_S9_S9_S9_S9_S9_S9_S9_EEEEPSB_SM_NS0_5tupleIJNSE_INS8_ISJ_NS7_16discard_iteratorINS7_11use_defaultEEES9_S9_S9_S9_S9_S9_S9_S9_EEEESB_EEENSN_IJSM_SM_EEESB_PlJNSF_9not_fun_tINSF_14equal_to_valueISA_EEEEEEE10hipError_tPvRmT3_T4_T5_T6_T7_T9_mT8_P12ihipStream_tbDpT10_ENKUlT_T0_E_clISt17integral_constantIbLb0EES1J_EEDaS1E_S1F_EUlS1E_E_NS1_11comp_targetILNS1_3genE2ELNS1_11target_archE906ELNS1_3gpuE6ELNS1_3repE0EEENS1_30default_config_static_selectorELNS0_4arch9wavefront6targetE0EEEvT1_
; %bb.0:
	.section	.rodata,"a",@progbits
	.p2align	6, 0x0
	.amdhsa_kernel _ZN7rocprim17ROCPRIM_400000_NS6detail17trampoline_kernelINS0_14default_configENS1_25partition_config_selectorILNS1_17partition_subalgoE6EN6thrust23THRUST_200600_302600_NS5tupleIttNS7_9null_typeES9_S9_S9_S9_S9_S9_S9_EENS0_10empty_typeEbEEZZNS1_14partition_implILS5_6ELb0ES3_mNS7_12zip_iteratorINS8_INS7_6detail15normal_iteratorINS7_10device_ptrItEEEESJ_S9_S9_S9_S9_S9_S9_S9_S9_EEEEPSB_SM_NS0_5tupleIJNSE_INS8_ISJ_NS7_16discard_iteratorINS7_11use_defaultEEES9_S9_S9_S9_S9_S9_S9_S9_EEEESB_EEENSN_IJSM_SM_EEESB_PlJNSF_9not_fun_tINSF_14equal_to_valueISA_EEEEEEE10hipError_tPvRmT3_T4_T5_T6_T7_T9_mT8_P12ihipStream_tbDpT10_ENKUlT_T0_E_clISt17integral_constantIbLb0EES1J_EEDaS1E_S1F_EUlS1E_E_NS1_11comp_targetILNS1_3genE2ELNS1_11target_archE906ELNS1_3gpuE6ELNS1_3repE0EEENS1_30default_config_static_selectorELNS0_4arch9wavefront6targetE0EEEvT1_
		.amdhsa_group_segment_fixed_size 0
		.amdhsa_private_segment_fixed_size 0
		.amdhsa_kernarg_size 144
		.amdhsa_user_sgpr_count 2
		.amdhsa_user_sgpr_dispatch_ptr 0
		.amdhsa_user_sgpr_queue_ptr 0
		.amdhsa_user_sgpr_kernarg_segment_ptr 1
		.amdhsa_user_sgpr_dispatch_id 0
		.amdhsa_user_sgpr_private_segment_size 0
		.amdhsa_wavefront_size32 1
		.amdhsa_uses_dynamic_stack 0
		.amdhsa_enable_private_segment 0
		.amdhsa_system_sgpr_workgroup_id_x 1
		.amdhsa_system_sgpr_workgroup_id_y 0
		.amdhsa_system_sgpr_workgroup_id_z 0
		.amdhsa_system_sgpr_workgroup_info 0
		.amdhsa_system_vgpr_workitem_id 0
		.amdhsa_next_free_vgpr 1
		.amdhsa_next_free_sgpr 1
		.amdhsa_reserve_vcc 0
		.amdhsa_float_round_mode_32 0
		.amdhsa_float_round_mode_16_64 0
		.amdhsa_float_denorm_mode_32 3
		.amdhsa_float_denorm_mode_16_64 3
		.amdhsa_fp16_overflow 0
		.amdhsa_workgroup_processor_mode 1
		.amdhsa_memory_ordered 1
		.amdhsa_forward_progress 1
		.amdhsa_inst_pref_size 0
		.amdhsa_round_robin_scheduling 0
		.amdhsa_exception_fp_ieee_invalid_op 0
		.amdhsa_exception_fp_denorm_src 0
		.amdhsa_exception_fp_ieee_div_zero 0
		.amdhsa_exception_fp_ieee_overflow 0
		.amdhsa_exception_fp_ieee_underflow 0
		.amdhsa_exception_fp_ieee_inexact 0
		.amdhsa_exception_int_div_zero 0
	.end_amdhsa_kernel
	.section	.text._ZN7rocprim17ROCPRIM_400000_NS6detail17trampoline_kernelINS0_14default_configENS1_25partition_config_selectorILNS1_17partition_subalgoE6EN6thrust23THRUST_200600_302600_NS5tupleIttNS7_9null_typeES9_S9_S9_S9_S9_S9_S9_EENS0_10empty_typeEbEEZZNS1_14partition_implILS5_6ELb0ES3_mNS7_12zip_iteratorINS8_INS7_6detail15normal_iteratorINS7_10device_ptrItEEEESJ_S9_S9_S9_S9_S9_S9_S9_S9_EEEEPSB_SM_NS0_5tupleIJNSE_INS8_ISJ_NS7_16discard_iteratorINS7_11use_defaultEEES9_S9_S9_S9_S9_S9_S9_S9_EEEESB_EEENSN_IJSM_SM_EEESB_PlJNSF_9not_fun_tINSF_14equal_to_valueISA_EEEEEEE10hipError_tPvRmT3_T4_T5_T6_T7_T9_mT8_P12ihipStream_tbDpT10_ENKUlT_T0_E_clISt17integral_constantIbLb0EES1J_EEDaS1E_S1F_EUlS1E_E_NS1_11comp_targetILNS1_3genE2ELNS1_11target_archE906ELNS1_3gpuE6ELNS1_3repE0EEENS1_30default_config_static_selectorELNS0_4arch9wavefront6targetE0EEEvT1_,"axG",@progbits,_ZN7rocprim17ROCPRIM_400000_NS6detail17trampoline_kernelINS0_14default_configENS1_25partition_config_selectorILNS1_17partition_subalgoE6EN6thrust23THRUST_200600_302600_NS5tupleIttNS7_9null_typeES9_S9_S9_S9_S9_S9_S9_EENS0_10empty_typeEbEEZZNS1_14partition_implILS5_6ELb0ES3_mNS7_12zip_iteratorINS8_INS7_6detail15normal_iteratorINS7_10device_ptrItEEEESJ_S9_S9_S9_S9_S9_S9_S9_S9_EEEEPSB_SM_NS0_5tupleIJNSE_INS8_ISJ_NS7_16discard_iteratorINS7_11use_defaultEEES9_S9_S9_S9_S9_S9_S9_S9_EEEESB_EEENSN_IJSM_SM_EEESB_PlJNSF_9not_fun_tINSF_14equal_to_valueISA_EEEEEEE10hipError_tPvRmT3_T4_T5_T6_T7_T9_mT8_P12ihipStream_tbDpT10_ENKUlT_T0_E_clISt17integral_constantIbLb0EES1J_EEDaS1E_S1F_EUlS1E_E_NS1_11comp_targetILNS1_3genE2ELNS1_11target_archE906ELNS1_3gpuE6ELNS1_3repE0EEENS1_30default_config_static_selectorELNS0_4arch9wavefront6targetE0EEEvT1_,comdat
.Lfunc_end1953:
	.size	_ZN7rocprim17ROCPRIM_400000_NS6detail17trampoline_kernelINS0_14default_configENS1_25partition_config_selectorILNS1_17partition_subalgoE6EN6thrust23THRUST_200600_302600_NS5tupleIttNS7_9null_typeES9_S9_S9_S9_S9_S9_S9_EENS0_10empty_typeEbEEZZNS1_14partition_implILS5_6ELb0ES3_mNS7_12zip_iteratorINS8_INS7_6detail15normal_iteratorINS7_10device_ptrItEEEESJ_S9_S9_S9_S9_S9_S9_S9_S9_EEEEPSB_SM_NS0_5tupleIJNSE_INS8_ISJ_NS7_16discard_iteratorINS7_11use_defaultEEES9_S9_S9_S9_S9_S9_S9_S9_EEEESB_EEENSN_IJSM_SM_EEESB_PlJNSF_9not_fun_tINSF_14equal_to_valueISA_EEEEEEE10hipError_tPvRmT3_T4_T5_T6_T7_T9_mT8_P12ihipStream_tbDpT10_ENKUlT_T0_E_clISt17integral_constantIbLb0EES1J_EEDaS1E_S1F_EUlS1E_E_NS1_11comp_targetILNS1_3genE2ELNS1_11target_archE906ELNS1_3gpuE6ELNS1_3repE0EEENS1_30default_config_static_selectorELNS0_4arch9wavefront6targetE0EEEvT1_, .Lfunc_end1953-_ZN7rocprim17ROCPRIM_400000_NS6detail17trampoline_kernelINS0_14default_configENS1_25partition_config_selectorILNS1_17partition_subalgoE6EN6thrust23THRUST_200600_302600_NS5tupleIttNS7_9null_typeES9_S9_S9_S9_S9_S9_S9_EENS0_10empty_typeEbEEZZNS1_14partition_implILS5_6ELb0ES3_mNS7_12zip_iteratorINS8_INS7_6detail15normal_iteratorINS7_10device_ptrItEEEESJ_S9_S9_S9_S9_S9_S9_S9_S9_EEEEPSB_SM_NS0_5tupleIJNSE_INS8_ISJ_NS7_16discard_iteratorINS7_11use_defaultEEES9_S9_S9_S9_S9_S9_S9_S9_EEEESB_EEENSN_IJSM_SM_EEESB_PlJNSF_9not_fun_tINSF_14equal_to_valueISA_EEEEEEE10hipError_tPvRmT3_T4_T5_T6_T7_T9_mT8_P12ihipStream_tbDpT10_ENKUlT_T0_E_clISt17integral_constantIbLb0EES1J_EEDaS1E_S1F_EUlS1E_E_NS1_11comp_targetILNS1_3genE2ELNS1_11target_archE906ELNS1_3gpuE6ELNS1_3repE0EEENS1_30default_config_static_selectorELNS0_4arch9wavefront6targetE0EEEvT1_
                                        ; -- End function
	.set _ZN7rocprim17ROCPRIM_400000_NS6detail17trampoline_kernelINS0_14default_configENS1_25partition_config_selectorILNS1_17partition_subalgoE6EN6thrust23THRUST_200600_302600_NS5tupleIttNS7_9null_typeES9_S9_S9_S9_S9_S9_S9_EENS0_10empty_typeEbEEZZNS1_14partition_implILS5_6ELb0ES3_mNS7_12zip_iteratorINS8_INS7_6detail15normal_iteratorINS7_10device_ptrItEEEESJ_S9_S9_S9_S9_S9_S9_S9_S9_EEEEPSB_SM_NS0_5tupleIJNSE_INS8_ISJ_NS7_16discard_iteratorINS7_11use_defaultEEES9_S9_S9_S9_S9_S9_S9_S9_EEEESB_EEENSN_IJSM_SM_EEESB_PlJNSF_9not_fun_tINSF_14equal_to_valueISA_EEEEEEE10hipError_tPvRmT3_T4_T5_T6_T7_T9_mT8_P12ihipStream_tbDpT10_ENKUlT_T0_E_clISt17integral_constantIbLb0EES1J_EEDaS1E_S1F_EUlS1E_E_NS1_11comp_targetILNS1_3genE2ELNS1_11target_archE906ELNS1_3gpuE6ELNS1_3repE0EEENS1_30default_config_static_selectorELNS0_4arch9wavefront6targetE0EEEvT1_.num_vgpr, 0
	.set _ZN7rocprim17ROCPRIM_400000_NS6detail17trampoline_kernelINS0_14default_configENS1_25partition_config_selectorILNS1_17partition_subalgoE6EN6thrust23THRUST_200600_302600_NS5tupleIttNS7_9null_typeES9_S9_S9_S9_S9_S9_S9_EENS0_10empty_typeEbEEZZNS1_14partition_implILS5_6ELb0ES3_mNS7_12zip_iteratorINS8_INS7_6detail15normal_iteratorINS7_10device_ptrItEEEESJ_S9_S9_S9_S9_S9_S9_S9_S9_EEEEPSB_SM_NS0_5tupleIJNSE_INS8_ISJ_NS7_16discard_iteratorINS7_11use_defaultEEES9_S9_S9_S9_S9_S9_S9_S9_EEEESB_EEENSN_IJSM_SM_EEESB_PlJNSF_9not_fun_tINSF_14equal_to_valueISA_EEEEEEE10hipError_tPvRmT3_T4_T5_T6_T7_T9_mT8_P12ihipStream_tbDpT10_ENKUlT_T0_E_clISt17integral_constantIbLb0EES1J_EEDaS1E_S1F_EUlS1E_E_NS1_11comp_targetILNS1_3genE2ELNS1_11target_archE906ELNS1_3gpuE6ELNS1_3repE0EEENS1_30default_config_static_selectorELNS0_4arch9wavefront6targetE0EEEvT1_.num_agpr, 0
	.set _ZN7rocprim17ROCPRIM_400000_NS6detail17trampoline_kernelINS0_14default_configENS1_25partition_config_selectorILNS1_17partition_subalgoE6EN6thrust23THRUST_200600_302600_NS5tupleIttNS7_9null_typeES9_S9_S9_S9_S9_S9_S9_EENS0_10empty_typeEbEEZZNS1_14partition_implILS5_6ELb0ES3_mNS7_12zip_iteratorINS8_INS7_6detail15normal_iteratorINS7_10device_ptrItEEEESJ_S9_S9_S9_S9_S9_S9_S9_S9_EEEEPSB_SM_NS0_5tupleIJNSE_INS8_ISJ_NS7_16discard_iteratorINS7_11use_defaultEEES9_S9_S9_S9_S9_S9_S9_S9_EEEESB_EEENSN_IJSM_SM_EEESB_PlJNSF_9not_fun_tINSF_14equal_to_valueISA_EEEEEEE10hipError_tPvRmT3_T4_T5_T6_T7_T9_mT8_P12ihipStream_tbDpT10_ENKUlT_T0_E_clISt17integral_constantIbLb0EES1J_EEDaS1E_S1F_EUlS1E_E_NS1_11comp_targetILNS1_3genE2ELNS1_11target_archE906ELNS1_3gpuE6ELNS1_3repE0EEENS1_30default_config_static_selectorELNS0_4arch9wavefront6targetE0EEEvT1_.numbered_sgpr, 0
	.set _ZN7rocprim17ROCPRIM_400000_NS6detail17trampoline_kernelINS0_14default_configENS1_25partition_config_selectorILNS1_17partition_subalgoE6EN6thrust23THRUST_200600_302600_NS5tupleIttNS7_9null_typeES9_S9_S9_S9_S9_S9_S9_EENS0_10empty_typeEbEEZZNS1_14partition_implILS5_6ELb0ES3_mNS7_12zip_iteratorINS8_INS7_6detail15normal_iteratorINS7_10device_ptrItEEEESJ_S9_S9_S9_S9_S9_S9_S9_S9_EEEEPSB_SM_NS0_5tupleIJNSE_INS8_ISJ_NS7_16discard_iteratorINS7_11use_defaultEEES9_S9_S9_S9_S9_S9_S9_S9_EEEESB_EEENSN_IJSM_SM_EEESB_PlJNSF_9not_fun_tINSF_14equal_to_valueISA_EEEEEEE10hipError_tPvRmT3_T4_T5_T6_T7_T9_mT8_P12ihipStream_tbDpT10_ENKUlT_T0_E_clISt17integral_constantIbLb0EES1J_EEDaS1E_S1F_EUlS1E_E_NS1_11comp_targetILNS1_3genE2ELNS1_11target_archE906ELNS1_3gpuE6ELNS1_3repE0EEENS1_30default_config_static_selectorELNS0_4arch9wavefront6targetE0EEEvT1_.num_named_barrier, 0
	.set _ZN7rocprim17ROCPRIM_400000_NS6detail17trampoline_kernelINS0_14default_configENS1_25partition_config_selectorILNS1_17partition_subalgoE6EN6thrust23THRUST_200600_302600_NS5tupleIttNS7_9null_typeES9_S9_S9_S9_S9_S9_S9_EENS0_10empty_typeEbEEZZNS1_14partition_implILS5_6ELb0ES3_mNS7_12zip_iteratorINS8_INS7_6detail15normal_iteratorINS7_10device_ptrItEEEESJ_S9_S9_S9_S9_S9_S9_S9_S9_EEEEPSB_SM_NS0_5tupleIJNSE_INS8_ISJ_NS7_16discard_iteratorINS7_11use_defaultEEES9_S9_S9_S9_S9_S9_S9_S9_EEEESB_EEENSN_IJSM_SM_EEESB_PlJNSF_9not_fun_tINSF_14equal_to_valueISA_EEEEEEE10hipError_tPvRmT3_T4_T5_T6_T7_T9_mT8_P12ihipStream_tbDpT10_ENKUlT_T0_E_clISt17integral_constantIbLb0EES1J_EEDaS1E_S1F_EUlS1E_E_NS1_11comp_targetILNS1_3genE2ELNS1_11target_archE906ELNS1_3gpuE6ELNS1_3repE0EEENS1_30default_config_static_selectorELNS0_4arch9wavefront6targetE0EEEvT1_.private_seg_size, 0
	.set _ZN7rocprim17ROCPRIM_400000_NS6detail17trampoline_kernelINS0_14default_configENS1_25partition_config_selectorILNS1_17partition_subalgoE6EN6thrust23THRUST_200600_302600_NS5tupleIttNS7_9null_typeES9_S9_S9_S9_S9_S9_S9_EENS0_10empty_typeEbEEZZNS1_14partition_implILS5_6ELb0ES3_mNS7_12zip_iteratorINS8_INS7_6detail15normal_iteratorINS7_10device_ptrItEEEESJ_S9_S9_S9_S9_S9_S9_S9_S9_EEEEPSB_SM_NS0_5tupleIJNSE_INS8_ISJ_NS7_16discard_iteratorINS7_11use_defaultEEES9_S9_S9_S9_S9_S9_S9_S9_EEEESB_EEENSN_IJSM_SM_EEESB_PlJNSF_9not_fun_tINSF_14equal_to_valueISA_EEEEEEE10hipError_tPvRmT3_T4_T5_T6_T7_T9_mT8_P12ihipStream_tbDpT10_ENKUlT_T0_E_clISt17integral_constantIbLb0EES1J_EEDaS1E_S1F_EUlS1E_E_NS1_11comp_targetILNS1_3genE2ELNS1_11target_archE906ELNS1_3gpuE6ELNS1_3repE0EEENS1_30default_config_static_selectorELNS0_4arch9wavefront6targetE0EEEvT1_.uses_vcc, 0
	.set _ZN7rocprim17ROCPRIM_400000_NS6detail17trampoline_kernelINS0_14default_configENS1_25partition_config_selectorILNS1_17partition_subalgoE6EN6thrust23THRUST_200600_302600_NS5tupleIttNS7_9null_typeES9_S9_S9_S9_S9_S9_S9_EENS0_10empty_typeEbEEZZNS1_14partition_implILS5_6ELb0ES3_mNS7_12zip_iteratorINS8_INS7_6detail15normal_iteratorINS7_10device_ptrItEEEESJ_S9_S9_S9_S9_S9_S9_S9_S9_EEEEPSB_SM_NS0_5tupleIJNSE_INS8_ISJ_NS7_16discard_iteratorINS7_11use_defaultEEES9_S9_S9_S9_S9_S9_S9_S9_EEEESB_EEENSN_IJSM_SM_EEESB_PlJNSF_9not_fun_tINSF_14equal_to_valueISA_EEEEEEE10hipError_tPvRmT3_T4_T5_T6_T7_T9_mT8_P12ihipStream_tbDpT10_ENKUlT_T0_E_clISt17integral_constantIbLb0EES1J_EEDaS1E_S1F_EUlS1E_E_NS1_11comp_targetILNS1_3genE2ELNS1_11target_archE906ELNS1_3gpuE6ELNS1_3repE0EEENS1_30default_config_static_selectorELNS0_4arch9wavefront6targetE0EEEvT1_.uses_flat_scratch, 0
	.set _ZN7rocprim17ROCPRIM_400000_NS6detail17trampoline_kernelINS0_14default_configENS1_25partition_config_selectorILNS1_17partition_subalgoE6EN6thrust23THRUST_200600_302600_NS5tupleIttNS7_9null_typeES9_S9_S9_S9_S9_S9_S9_EENS0_10empty_typeEbEEZZNS1_14partition_implILS5_6ELb0ES3_mNS7_12zip_iteratorINS8_INS7_6detail15normal_iteratorINS7_10device_ptrItEEEESJ_S9_S9_S9_S9_S9_S9_S9_S9_EEEEPSB_SM_NS0_5tupleIJNSE_INS8_ISJ_NS7_16discard_iteratorINS7_11use_defaultEEES9_S9_S9_S9_S9_S9_S9_S9_EEEESB_EEENSN_IJSM_SM_EEESB_PlJNSF_9not_fun_tINSF_14equal_to_valueISA_EEEEEEE10hipError_tPvRmT3_T4_T5_T6_T7_T9_mT8_P12ihipStream_tbDpT10_ENKUlT_T0_E_clISt17integral_constantIbLb0EES1J_EEDaS1E_S1F_EUlS1E_E_NS1_11comp_targetILNS1_3genE2ELNS1_11target_archE906ELNS1_3gpuE6ELNS1_3repE0EEENS1_30default_config_static_selectorELNS0_4arch9wavefront6targetE0EEEvT1_.has_dyn_sized_stack, 0
	.set _ZN7rocprim17ROCPRIM_400000_NS6detail17trampoline_kernelINS0_14default_configENS1_25partition_config_selectorILNS1_17partition_subalgoE6EN6thrust23THRUST_200600_302600_NS5tupleIttNS7_9null_typeES9_S9_S9_S9_S9_S9_S9_EENS0_10empty_typeEbEEZZNS1_14partition_implILS5_6ELb0ES3_mNS7_12zip_iteratorINS8_INS7_6detail15normal_iteratorINS7_10device_ptrItEEEESJ_S9_S9_S9_S9_S9_S9_S9_S9_EEEEPSB_SM_NS0_5tupleIJNSE_INS8_ISJ_NS7_16discard_iteratorINS7_11use_defaultEEES9_S9_S9_S9_S9_S9_S9_S9_EEEESB_EEENSN_IJSM_SM_EEESB_PlJNSF_9not_fun_tINSF_14equal_to_valueISA_EEEEEEE10hipError_tPvRmT3_T4_T5_T6_T7_T9_mT8_P12ihipStream_tbDpT10_ENKUlT_T0_E_clISt17integral_constantIbLb0EES1J_EEDaS1E_S1F_EUlS1E_E_NS1_11comp_targetILNS1_3genE2ELNS1_11target_archE906ELNS1_3gpuE6ELNS1_3repE0EEENS1_30default_config_static_selectorELNS0_4arch9wavefront6targetE0EEEvT1_.has_recursion, 0
	.set _ZN7rocprim17ROCPRIM_400000_NS6detail17trampoline_kernelINS0_14default_configENS1_25partition_config_selectorILNS1_17partition_subalgoE6EN6thrust23THRUST_200600_302600_NS5tupleIttNS7_9null_typeES9_S9_S9_S9_S9_S9_S9_EENS0_10empty_typeEbEEZZNS1_14partition_implILS5_6ELb0ES3_mNS7_12zip_iteratorINS8_INS7_6detail15normal_iteratorINS7_10device_ptrItEEEESJ_S9_S9_S9_S9_S9_S9_S9_S9_EEEEPSB_SM_NS0_5tupleIJNSE_INS8_ISJ_NS7_16discard_iteratorINS7_11use_defaultEEES9_S9_S9_S9_S9_S9_S9_S9_EEEESB_EEENSN_IJSM_SM_EEESB_PlJNSF_9not_fun_tINSF_14equal_to_valueISA_EEEEEEE10hipError_tPvRmT3_T4_T5_T6_T7_T9_mT8_P12ihipStream_tbDpT10_ENKUlT_T0_E_clISt17integral_constantIbLb0EES1J_EEDaS1E_S1F_EUlS1E_E_NS1_11comp_targetILNS1_3genE2ELNS1_11target_archE906ELNS1_3gpuE6ELNS1_3repE0EEENS1_30default_config_static_selectorELNS0_4arch9wavefront6targetE0EEEvT1_.has_indirect_call, 0
	.section	.AMDGPU.csdata,"",@progbits
; Kernel info:
; codeLenInByte = 0
; TotalNumSgprs: 0
; NumVgprs: 0
; ScratchSize: 0
; MemoryBound: 0
; FloatMode: 240
; IeeeMode: 1
; LDSByteSize: 0 bytes/workgroup (compile time only)
; SGPRBlocks: 0
; VGPRBlocks: 0
; NumSGPRsForWavesPerEU: 1
; NumVGPRsForWavesPerEU: 1
; Occupancy: 16
; WaveLimiterHint : 0
; COMPUTE_PGM_RSRC2:SCRATCH_EN: 0
; COMPUTE_PGM_RSRC2:USER_SGPR: 2
; COMPUTE_PGM_RSRC2:TRAP_HANDLER: 0
; COMPUTE_PGM_RSRC2:TGID_X_EN: 1
; COMPUTE_PGM_RSRC2:TGID_Y_EN: 0
; COMPUTE_PGM_RSRC2:TGID_Z_EN: 0
; COMPUTE_PGM_RSRC2:TIDIG_COMP_CNT: 0
	.section	.text._ZN7rocprim17ROCPRIM_400000_NS6detail17trampoline_kernelINS0_14default_configENS1_25partition_config_selectorILNS1_17partition_subalgoE6EN6thrust23THRUST_200600_302600_NS5tupleIttNS7_9null_typeES9_S9_S9_S9_S9_S9_S9_EENS0_10empty_typeEbEEZZNS1_14partition_implILS5_6ELb0ES3_mNS7_12zip_iteratorINS8_INS7_6detail15normal_iteratorINS7_10device_ptrItEEEESJ_S9_S9_S9_S9_S9_S9_S9_S9_EEEEPSB_SM_NS0_5tupleIJNSE_INS8_ISJ_NS7_16discard_iteratorINS7_11use_defaultEEES9_S9_S9_S9_S9_S9_S9_S9_EEEESB_EEENSN_IJSM_SM_EEESB_PlJNSF_9not_fun_tINSF_14equal_to_valueISA_EEEEEEE10hipError_tPvRmT3_T4_T5_T6_T7_T9_mT8_P12ihipStream_tbDpT10_ENKUlT_T0_E_clISt17integral_constantIbLb0EES1J_EEDaS1E_S1F_EUlS1E_E_NS1_11comp_targetILNS1_3genE10ELNS1_11target_archE1200ELNS1_3gpuE4ELNS1_3repE0EEENS1_30default_config_static_selectorELNS0_4arch9wavefront6targetE0EEEvT1_,"axG",@progbits,_ZN7rocprim17ROCPRIM_400000_NS6detail17trampoline_kernelINS0_14default_configENS1_25partition_config_selectorILNS1_17partition_subalgoE6EN6thrust23THRUST_200600_302600_NS5tupleIttNS7_9null_typeES9_S9_S9_S9_S9_S9_S9_EENS0_10empty_typeEbEEZZNS1_14partition_implILS5_6ELb0ES3_mNS7_12zip_iteratorINS8_INS7_6detail15normal_iteratorINS7_10device_ptrItEEEESJ_S9_S9_S9_S9_S9_S9_S9_S9_EEEEPSB_SM_NS0_5tupleIJNSE_INS8_ISJ_NS7_16discard_iteratorINS7_11use_defaultEEES9_S9_S9_S9_S9_S9_S9_S9_EEEESB_EEENSN_IJSM_SM_EEESB_PlJNSF_9not_fun_tINSF_14equal_to_valueISA_EEEEEEE10hipError_tPvRmT3_T4_T5_T6_T7_T9_mT8_P12ihipStream_tbDpT10_ENKUlT_T0_E_clISt17integral_constantIbLb0EES1J_EEDaS1E_S1F_EUlS1E_E_NS1_11comp_targetILNS1_3genE10ELNS1_11target_archE1200ELNS1_3gpuE4ELNS1_3repE0EEENS1_30default_config_static_selectorELNS0_4arch9wavefront6targetE0EEEvT1_,comdat
	.protected	_ZN7rocprim17ROCPRIM_400000_NS6detail17trampoline_kernelINS0_14default_configENS1_25partition_config_selectorILNS1_17partition_subalgoE6EN6thrust23THRUST_200600_302600_NS5tupleIttNS7_9null_typeES9_S9_S9_S9_S9_S9_S9_EENS0_10empty_typeEbEEZZNS1_14partition_implILS5_6ELb0ES3_mNS7_12zip_iteratorINS8_INS7_6detail15normal_iteratorINS7_10device_ptrItEEEESJ_S9_S9_S9_S9_S9_S9_S9_S9_EEEEPSB_SM_NS0_5tupleIJNSE_INS8_ISJ_NS7_16discard_iteratorINS7_11use_defaultEEES9_S9_S9_S9_S9_S9_S9_S9_EEEESB_EEENSN_IJSM_SM_EEESB_PlJNSF_9not_fun_tINSF_14equal_to_valueISA_EEEEEEE10hipError_tPvRmT3_T4_T5_T6_T7_T9_mT8_P12ihipStream_tbDpT10_ENKUlT_T0_E_clISt17integral_constantIbLb0EES1J_EEDaS1E_S1F_EUlS1E_E_NS1_11comp_targetILNS1_3genE10ELNS1_11target_archE1200ELNS1_3gpuE4ELNS1_3repE0EEENS1_30default_config_static_selectorELNS0_4arch9wavefront6targetE0EEEvT1_ ; -- Begin function _ZN7rocprim17ROCPRIM_400000_NS6detail17trampoline_kernelINS0_14default_configENS1_25partition_config_selectorILNS1_17partition_subalgoE6EN6thrust23THRUST_200600_302600_NS5tupleIttNS7_9null_typeES9_S9_S9_S9_S9_S9_S9_EENS0_10empty_typeEbEEZZNS1_14partition_implILS5_6ELb0ES3_mNS7_12zip_iteratorINS8_INS7_6detail15normal_iteratorINS7_10device_ptrItEEEESJ_S9_S9_S9_S9_S9_S9_S9_S9_EEEEPSB_SM_NS0_5tupleIJNSE_INS8_ISJ_NS7_16discard_iteratorINS7_11use_defaultEEES9_S9_S9_S9_S9_S9_S9_S9_EEEESB_EEENSN_IJSM_SM_EEESB_PlJNSF_9not_fun_tINSF_14equal_to_valueISA_EEEEEEE10hipError_tPvRmT3_T4_T5_T6_T7_T9_mT8_P12ihipStream_tbDpT10_ENKUlT_T0_E_clISt17integral_constantIbLb0EES1J_EEDaS1E_S1F_EUlS1E_E_NS1_11comp_targetILNS1_3genE10ELNS1_11target_archE1200ELNS1_3gpuE4ELNS1_3repE0EEENS1_30default_config_static_selectorELNS0_4arch9wavefront6targetE0EEEvT1_
	.globl	_ZN7rocprim17ROCPRIM_400000_NS6detail17trampoline_kernelINS0_14default_configENS1_25partition_config_selectorILNS1_17partition_subalgoE6EN6thrust23THRUST_200600_302600_NS5tupleIttNS7_9null_typeES9_S9_S9_S9_S9_S9_S9_EENS0_10empty_typeEbEEZZNS1_14partition_implILS5_6ELb0ES3_mNS7_12zip_iteratorINS8_INS7_6detail15normal_iteratorINS7_10device_ptrItEEEESJ_S9_S9_S9_S9_S9_S9_S9_S9_EEEEPSB_SM_NS0_5tupleIJNSE_INS8_ISJ_NS7_16discard_iteratorINS7_11use_defaultEEES9_S9_S9_S9_S9_S9_S9_S9_EEEESB_EEENSN_IJSM_SM_EEESB_PlJNSF_9not_fun_tINSF_14equal_to_valueISA_EEEEEEE10hipError_tPvRmT3_T4_T5_T6_T7_T9_mT8_P12ihipStream_tbDpT10_ENKUlT_T0_E_clISt17integral_constantIbLb0EES1J_EEDaS1E_S1F_EUlS1E_E_NS1_11comp_targetILNS1_3genE10ELNS1_11target_archE1200ELNS1_3gpuE4ELNS1_3repE0EEENS1_30default_config_static_selectorELNS0_4arch9wavefront6targetE0EEEvT1_
	.p2align	8
	.type	_ZN7rocprim17ROCPRIM_400000_NS6detail17trampoline_kernelINS0_14default_configENS1_25partition_config_selectorILNS1_17partition_subalgoE6EN6thrust23THRUST_200600_302600_NS5tupleIttNS7_9null_typeES9_S9_S9_S9_S9_S9_S9_EENS0_10empty_typeEbEEZZNS1_14partition_implILS5_6ELb0ES3_mNS7_12zip_iteratorINS8_INS7_6detail15normal_iteratorINS7_10device_ptrItEEEESJ_S9_S9_S9_S9_S9_S9_S9_S9_EEEEPSB_SM_NS0_5tupleIJNSE_INS8_ISJ_NS7_16discard_iteratorINS7_11use_defaultEEES9_S9_S9_S9_S9_S9_S9_S9_EEEESB_EEENSN_IJSM_SM_EEESB_PlJNSF_9not_fun_tINSF_14equal_to_valueISA_EEEEEEE10hipError_tPvRmT3_T4_T5_T6_T7_T9_mT8_P12ihipStream_tbDpT10_ENKUlT_T0_E_clISt17integral_constantIbLb0EES1J_EEDaS1E_S1F_EUlS1E_E_NS1_11comp_targetILNS1_3genE10ELNS1_11target_archE1200ELNS1_3gpuE4ELNS1_3repE0EEENS1_30default_config_static_selectorELNS0_4arch9wavefront6targetE0EEEvT1_,@function
_ZN7rocprim17ROCPRIM_400000_NS6detail17trampoline_kernelINS0_14default_configENS1_25partition_config_selectorILNS1_17partition_subalgoE6EN6thrust23THRUST_200600_302600_NS5tupleIttNS7_9null_typeES9_S9_S9_S9_S9_S9_S9_EENS0_10empty_typeEbEEZZNS1_14partition_implILS5_6ELb0ES3_mNS7_12zip_iteratorINS8_INS7_6detail15normal_iteratorINS7_10device_ptrItEEEESJ_S9_S9_S9_S9_S9_S9_S9_S9_EEEEPSB_SM_NS0_5tupleIJNSE_INS8_ISJ_NS7_16discard_iteratorINS7_11use_defaultEEES9_S9_S9_S9_S9_S9_S9_S9_EEEESB_EEENSN_IJSM_SM_EEESB_PlJNSF_9not_fun_tINSF_14equal_to_valueISA_EEEEEEE10hipError_tPvRmT3_T4_T5_T6_T7_T9_mT8_P12ihipStream_tbDpT10_ENKUlT_T0_E_clISt17integral_constantIbLb0EES1J_EEDaS1E_S1F_EUlS1E_E_NS1_11comp_targetILNS1_3genE10ELNS1_11target_archE1200ELNS1_3gpuE4ELNS1_3repE0EEENS1_30default_config_static_selectorELNS0_4arch9wavefront6targetE0EEEvT1_: ; @_ZN7rocprim17ROCPRIM_400000_NS6detail17trampoline_kernelINS0_14default_configENS1_25partition_config_selectorILNS1_17partition_subalgoE6EN6thrust23THRUST_200600_302600_NS5tupleIttNS7_9null_typeES9_S9_S9_S9_S9_S9_S9_EENS0_10empty_typeEbEEZZNS1_14partition_implILS5_6ELb0ES3_mNS7_12zip_iteratorINS8_INS7_6detail15normal_iteratorINS7_10device_ptrItEEEESJ_S9_S9_S9_S9_S9_S9_S9_S9_EEEEPSB_SM_NS0_5tupleIJNSE_INS8_ISJ_NS7_16discard_iteratorINS7_11use_defaultEEES9_S9_S9_S9_S9_S9_S9_S9_EEEESB_EEENSN_IJSM_SM_EEESB_PlJNSF_9not_fun_tINSF_14equal_to_valueISA_EEEEEEE10hipError_tPvRmT3_T4_T5_T6_T7_T9_mT8_P12ihipStream_tbDpT10_ENKUlT_T0_E_clISt17integral_constantIbLb0EES1J_EEDaS1E_S1F_EUlS1E_E_NS1_11comp_targetILNS1_3genE10ELNS1_11target_archE1200ELNS1_3gpuE4ELNS1_3repE0EEENS1_30default_config_static_selectorELNS0_4arch9wavefront6targetE0EEEvT1_
; %bb.0:
	v_dual_mov_b32 v1, 0 :: v_dual_lshlrev_b32 v2, 2, v0
	s_clause 0x4
	s_load_b64 s[2:3], s[0:1], 0x18
	s_load_b128 s[4:7], s[0:1], 0x8
	s_load_b128 s[12:15], s[0:1], 0x58
	s_load_b32 s16, s[0:1], 0x80
	s_load_b64 s[8:9], s[0:1], 0x68
	s_mov_b32 s21, 0
	v_lshlrev_b32_e32 v3, 1, v0
	global_load_b32 v1, v1, s[0:1] offset:134
	s_wait_kmcnt 0x0
	s_lshl_b64 s[10:11], s[2:3], 1
	s_load_b64 s[14:15], s[14:15], 0x0
	s_mul_i32 s20, s16, 0xa80
	s_add_nc_u64 s[18:19], s[6:7], s[10:11]
	s_add_nc_u64 s[6:7], s[2:3], s[20:21]
	s_add_co_i32 s2, s20, s2
	s_add_co_i32 s16, s16, -1
	v_cmp_le_u64_e64 s3, s[8:9], s[6:7]
	s_sub_co_i32 s17, s8, s2
	s_cmp_eq_u32 ttmp9, s16
	s_add_nc_u64 s[4:5], s[4:5], s[10:11]
	s_cselect_b32 s11, -1, 0
	s_mul_i32 s20, ttmp9, 0xa80
	s_and_b32 s2, s11, s3
	s_lshl_b64 s[8:9], s[20:21], 1
	s_xor_b32 s16, s2, -1
	s_mov_b32 s6, -1
	s_wait_alu 0xfffe
	s_add_nc_u64 s[2:3], s[4:5], s[8:9]
	s_and_b32 vcc_lo, exec_lo, s16
	s_add_nc_u64 s[4:5], s[18:19], s[8:9]
	s_cbranch_vccz .LBB1954_2
; %bb.1:
	s_clause 0xd
	global_load_u16 v4, v3, s[2:3]
	global_load_u16 v5, v3, s[4:5]
	global_load_u16 v6, v3, s[2:3] offset:768
	global_load_u16 v7, v3, s[2:3] offset:1536
	;; [unrolled: 1-line block ×12, first 2 shown]
	s_mov_b32 s6, 0
	s_wait_loadcnt 0xc
	v_lshl_or_b32 v4, v5, 16, v4
	s_wait_loadcnt 0x5
	v_lshl_or_b32 v5, v12, 16, v6
	s_wait_loadcnt 0x4
	v_lshl_or_b32 v6, v13, 16, v7
	s_wait_loadcnt 0x3
	v_lshl_or_b32 v7, v14, 16, v8
	s_wait_loadcnt 0x2
	v_lshl_or_b32 v8, v15, 16, v9
	s_wait_loadcnt 0x1
	v_lshl_or_b32 v9, v16, 16, v10
	s_wait_loadcnt 0x0
	v_lshl_or_b32 v10, v17, 16, v11
	ds_store_2addr_stride64_b32 v2, v4, v5 offset1:6
	ds_store_2addr_stride64_b32 v2, v6, v7 offset0:12 offset1:18
	ds_store_2addr_stride64_b32 v2, v8, v9 offset0:24 offset1:30
	ds_store_b32 v2, v10 offset:9216
	s_wait_dscnt 0x0
	s_barrier_signal -1
	s_barrier_wait -1
.LBB1954_2:
	s_wait_alu 0xfffe
	s_and_not1_b32 vcc_lo, exec_lo, s6
	s_addk_co_i32 s17, 0xa80
	s_cbranch_vccnz .LBB1954_18
; %bb.3:
	v_dual_mov_b32 v4, 0 :: v_dual_mov_b32 v5, 0
	s_mov_b32 s6, exec_lo
	v_cmpx_gt_u32_e64 s17, v0
	s_cbranch_execz .LBB1954_5
; %bb.4:
	s_clause 0x1
	global_load_u16 v5, v3, s[2:3]
	global_load_u16 v6, v3, s[4:5]
	s_wait_loadcnt 0x0
	v_lshl_or_b32 v5, v6, 16, v5
.LBB1954_5:
	s_wait_alu 0xfffe
	s_or_b32 exec_lo, exec_lo, s6
	v_add_nc_u32_e32 v6, 0x180, v0
	s_mov_b32 s6, exec_lo
	s_delay_alu instid0(VALU_DEP_1)
	v_cmpx_gt_u32_e64 s17, v6
	s_cbranch_execz .LBB1954_7
; %bb.6:
	s_clause 0x1
	global_load_u16 v4, v3, s[2:3] offset:768
	global_load_u16 v6, v3, s[4:5] offset:768
	s_wait_loadcnt 0x0
	v_lshl_or_b32 v4, v6, 16, v4
.LBB1954_7:
	s_wait_alu 0xfffe
	s_or_b32 exec_lo, exec_lo, s6
	v_dual_mov_b32 v6, 0 :: v_dual_add_nc_u32 v7, 0x300, v0
	s_delay_alu instid0(VALU_DEP_1)
	v_cmp_gt_u32_e32 vcc_lo, s17, v7
	v_mov_b32_e32 v7, 0
	s_and_saveexec_b32 s6, vcc_lo
	s_cbranch_execz .LBB1954_9
; %bb.8:
	s_clause 0x1
	global_load_u16 v7, v3, s[2:3] offset:1536
	global_load_u16 v8, v3, s[4:5] offset:1536
	s_wait_loadcnt 0x0
	v_lshl_or_b32 v7, v8, 16, v7
.LBB1954_9:
	s_wait_alu 0xfffe
	s_or_b32 exec_lo, exec_lo, s6
	v_add_nc_u32_e32 v8, 0x480, v0
	s_mov_b32 s6, exec_lo
	s_delay_alu instid0(VALU_DEP_1)
	v_cmpx_gt_u32_e64 s17, v8
	s_cbranch_execz .LBB1954_11
; %bb.10:
	s_clause 0x1
	global_load_u16 v6, v3, s[2:3] offset:2304
	global_load_u16 v8, v3, s[4:5] offset:2304
	s_wait_loadcnt 0x0
	v_lshl_or_b32 v6, v8, 16, v6
.LBB1954_11:
	s_wait_alu 0xfffe
	s_or_b32 exec_lo, exec_lo, s6
	v_or_b32_e32 v9, 0x600, v0
	v_mov_b32_e32 v8, 0
	s_delay_alu instid0(VALU_DEP_2)
	v_cmp_gt_u32_e32 vcc_lo, s17, v9
	v_mov_b32_e32 v9, 0
	s_and_saveexec_b32 s6, vcc_lo
	s_cbranch_execz .LBB1954_13
; %bb.12:
	s_clause 0x1
	global_load_u16 v9, v3, s[2:3] offset:3072
	global_load_u16 v10, v3, s[4:5] offset:3072
	s_wait_loadcnt 0x0
	v_lshl_or_b32 v9, v10, 16, v9
.LBB1954_13:
	s_wait_alu 0xfffe
	s_or_b32 exec_lo, exec_lo, s6
	v_add_nc_u32_e32 v10, 0x780, v0
	s_mov_b32 s6, exec_lo
	s_delay_alu instid0(VALU_DEP_1)
	v_cmpx_gt_u32_e64 s17, v10
	s_cbranch_execz .LBB1954_15
; %bb.14:
	s_clause 0x1
	global_load_u16 v8, v3, s[2:3] offset:3840
	global_load_u16 v10, v3, s[4:5] offset:3840
	s_wait_loadcnt 0x0
	v_lshl_or_b32 v8, v10, 16, v8
.LBB1954_15:
	s_wait_alu 0xfffe
	s_or_b32 exec_lo, exec_lo, s6
	v_add_nc_u32_e32 v10, 0x900, v0
	s_delay_alu instid0(VALU_DEP_1)
	v_cmp_gt_u32_e32 vcc_lo, s17, v10
	v_mov_b32_e32 v10, 0
	s_and_saveexec_b32 s6, vcc_lo
	s_cbranch_execz .LBB1954_17
; %bb.16:
	s_clause 0x1
	global_load_u16 v10, v3, s[2:3] offset:4608
	global_load_u16 v3, v3, s[4:5] offset:4608
	s_wait_loadcnt 0x0
	v_lshl_or_b32 v10, v3, 16, v10
.LBB1954_17:
	s_wait_alu 0xfffe
	s_or_b32 exec_lo, exec_lo, s6
	ds_store_2addr_stride64_b32 v2, v5, v4 offset1:6
	ds_store_2addr_stride64_b32 v2, v7, v6 offset0:12 offset1:18
	ds_store_2addr_stride64_b32 v2, v9, v8 offset0:24 offset1:30
	ds_store_b32 v2, v10 offset:9216
	s_wait_loadcnt_dscnt 0x0
	s_barrier_signal -1
	s_barrier_wait -1
.LBB1954_18:
	v_mul_u32_u24_e32 v2, 7, v0
	s_wait_loadcnt 0x0
	global_inv scope:SCOPE_SE
	v_lshrrev_b32_e32 v3, 16, v1
	s_and_not1_b32 vcc_lo, exec_lo, s16
	v_lshlrev_b32_e32 v33, 2, v2
	ds_load_b32 v29, v33 offset:24
	ds_load_2addr_b32 v[13:14], v33 offset1:1
	ds_load_2addr_b32 v[11:12], v33 offset0:2 offset1:3
	ds_load_2addr_b32 v[9:10], v33 offset0:4 offset1:5
	s_wait_loadcnt_dscnt 0x0
	s_barrier_signal -1
	s_barrier_wait -1
	global_inv scope:SCOPE_SE
	v_lshrrev_b32_e32 v4, 16, v29
	v_lshrrev_b32_e32 v16, 16, v13
	;; [unrolled: 1-line block ×3, first 2 shown]
	v_cmp_ne_u16_e64 s8, v14, v1
	v_cmp_ne_u16_e64 s6, v13, v1
	v_lshrrev_b32_e32 v8, 16, v11
	v_lshrrev_b32_e32 v7, 16, v12
	v_cmp_ne_u16_e64 s9, v12, v1
	v_cmp_ne_u16_e64 s7, v11, v1
	v_lshrrev_b32_e32 v6, 16, v9
	v_lshrrev_b32_e32 v5, 16, v10
	v_cmp_ne_u16_e64 s5, v10, v1
	v_cmp_ne_u16_e64 s4, v9, v1
	;; [unrolled: 1-line block ×3, first 2 shown]
	v_cmp_ne_u32_e64 s3, v3, v4
	s_cbranch_vccnz .LBB1954_20
; %bb.19:
	v_cmp_ne_u32_e32 vcc_lo, v3, v15
	v_cmp_ne_u32_e64 s10, v3, v7
	s_or_b32 s8, s8, vcc_lo
	v_cmp_ne_u32_e32 vcc_lo, v3, v16
	s_wait_alu 0xfffe
	v_cndmask_b32_e64 v17, 0, 1, s8
	s_or_b32 s8, s9, s10
	v_cmp_ne_u32_e64 s9, v3, v5
	s_wait_alu 0xfffe
	v_cndmask_b32_e64 v18, 0, 1, s8
	v_cmp_ne_u32_e64 s8, v3, v8
	v_lshlrev_b16 v17, 8, v17
	s_or_b32 s6, s6, vcc_lo
	v_cmp_ne_u32_e32 vcc_lo, v3, v6
	v_lshlrev_b16 v18, 8, v18
	s_wait_alu 0xfffe
	v_cndmask_b32_e64 v19, 0, 1, s6
	v_lshrrev_b32_e32 v17, 8, v17
	s_or_b32 s6, s7, s8
	s_or_b32 s5, s5, s9
	v_lshrrev_b32_e32 v18, 8, v18
	s_wait_alu 0xfffe
	v_cndmask_b32_e64 v20, 0, 1, s6
	v_lshlrev_b16 v17, 8, v17
	v_cndmask_b32_e64 v31, 0, 1, s5
	s_or_b32 s4, s4, vcc_lo
	v_lshlrev_b16 v18, 8, v18
	s_or_b32 s8, s2, s3
	v_or_b32_e32 v17, v19, v17
	s_wait_alu 0xfffe
	v_cndmask_b32_e64 v19, 0, 1, s4
	v_or_b32_e32 v18, v20, v18
	v_lshlrev_b16 v20, 8, v31
	v_and_b32_e32 v17, 0xffff, v17
	s_delay_alu instid0(VALU_DEP_3) | instskip(NEXT) | instid1(VALU_DEP_3)
	v_lshlrev_b32_e32 v18, 16, v18
	v_or_b32_e32 v30, v19, v20
	s_delay_alu instid0(VALU_DEP_2)
	v_or_b32_e32 v34, v17, v18
	s_cbranch_execz .LBB1954_21
	s_branch .LBB1954_22
.LBB1954_20:
                                        ; implicit-def: $sgpr8
                                        ; implicit-def: $vgpr31
                                        ; implicit-def: $vgpr30
                                        ; implicit-def: $vgpr34
.LBB1954_21:
	v_cmp_ne_u16_e32 vcc_lo, v13, v1
	v_cmp_ne_u32_e64 s2, v3, v16
	v_add_nc_u32_e32 v16, 1, v2
	v_cmp_ne_u16_e64 s3, v14, v1
	v_cmp_ne_u32_e64 s4, v3, v15
	v_add_nc_u32_e32 v15, 2, v2
	s_or_b32 s6, vcc_lo, s2
	v_cmp_gt_u32_e32 vcc_lo, s17, v16
	v_cmp_gt_u32_e64 s5, s17, v2
	s_or_b32 s4, s3, s4
	v_cmp_ne_u16_e64 s2, v11, v1
	v_cmp_ne_u32_e64 s3, v3, v8
	s_wait_alu 0xfffe
	s_and_b32 s4, vcc_lo, s4
	v_cmp_gt_u32_e32 vcc_lo, s17, v15
	v_add_nc_u32_e32 v15, 3, v2
	s_and_b32 s5, s5, s6
	s_or_b32 s6, s2, s3
	v_cmp_ne_u16_e64 s2, v12, v1
	v_cmp_ne_u32_e64 s3, v3, v7
	s_wait_alu 0xfffe
	s_and_b32 s6, vcc_lo, s6
	v_cmp_gt_u32_e32 vcc_lo, s17, v15
	v_add_nc_u32_e32 v7, 4, v2
	v_cndmask_b32_e64 v8, 0, 1, s5
	s_or_b32 s3, s2, s3
	v_cndmask_b32_e64 v16, 0, 1, s4
	s_and_b32 s3, vcc_lo, s3
	v_cmp_ne_u16_e64 s4, v9, v1
	v_cmp_ne_u32_e64 s5, v3, v6
	v_cmp_gt_u32_e64 s2, s17, v7
	v_add_nc_u32_e32 v7, 5, v2
	v_cndmask_b32_e64 v15, 0, 1, s3
	s_wait_alu 0xfffe
	v_cndmask_b32_e64 v6, 0, 1, s6
	s_or_b32 s4, s4, s5
	v_cmp_ne_u32_e64 s3, v3, v5
	v_cmp_gt_u32_e32 vcc_lo, s17, v7
	v_lshlrev_b16 v7, 8, v16
	v_lshlrev_b16 v15, 8, v15
	s_wait_alu 0xfffe
	s_and_b32 s2, s2, s4
	v_add_nc_u32_e32 v2, 6, v2
	s_wait_alu 0xfffe
	v_cndmask_b32_e64 v30, 0, 1, s2
	v_cmp_ne_u16_e64 s2, v10, v1
	v_cmp_ne_u16_e64 s4, v29, v1
	v_or_b32_e32 v1, v8, v7
	v_or_b32_e32 v5, v6, v15
	v_cmp_ne_u32_e64 s5, v3, v4
	s_or_b32 s3, s2, s3
	v_cmp_gt_u32_e64 s2, s17, v2
	v_and_b32_e32 v1, 0xffff, v1
	v_lshlrev_b32_e32 v2, 16, v5
	s_or_b32 s4, s4, s5
	s_wait_alu 0xfffe
	s_and_b32 s3, vcc_lo, s3
	s_and_b32 s2, s2, s4
	s_wait_alu 0xfffe
	v_cndmask_b32_e64 v31, 0, 1, s3
	v_or_b32_e32 v34, v1, v2
	s_and_not1_b32 s3, s8, exec_lo
	s_and_b32 s2, s2, exec_lo
	s_wait_alu 0xfffe
	s_or_b32 s8, s3, s2
.LBB1954_22:
	s_delay_alu instid0(VALU_DEP_1)
	v_dual_mov_b32 v2, 0 :: v_dual_and_b32 v37, 0xff, v34
	v_bfe_u32 v36, v34, 8, 8
	s_wait_alu 0xfffe
	v_cndmask_b32_e64 v1, 0, 1, s8
	v_bfe_u32 v39, v34, 16, 8
	v_lshrrev_b32_e32 v32, 24, v34
	s_load_b64 s[6:7], s[0:1], 0x78
	v_and_b32_e32 v38, 0xff, v30
	v_add3_u32 v1, v37, v1, v36
	v_mbcnt_lo_u32_b32 v40, -1, 0
	v_and_b32_e32 v35, 0xff, v31
	s_cmp_lg_u32 ttmp9, 0
	s_mov_b32 s3, -1
	v_add_co_u32 v1, s2, v1, v39
	s_wait_alu 0xf1ff
	v_add_co_ci_u32_e64 v3, null, 0, 0, s2
	v_and_b32_e32 v41, 15, v40
	s_delay_alu instid0(VALU_DEP_3) | instskip(NEXT) | instid1(VALU_DEP_1)
	v_add_co_u32 v1, vcc_lo, v1, v32
	v_add_co_ci_u32_e64 v3, null, 0, v3, vcc_lo
	s_delay_alu instid0(VALU_DEP_3) | instskip(NEXT) | instid1(VALU_DEP_3)
	v_cmp_ne_u32_e64 s2, 0, v41
	v_add_co_u32 v1, vcc_lo, v1, v38
	s_wait_alu 0xfffd
	s_delay_alu instid0(VALU_DEP_3) | instskip(NEXT) | instid1(VALU_DEP_2)
	v_add_co_ci_u32_e64 v3, null, 0, v3, vcc_lo
	v_add_co_u32 v15, vcc_lo, v1, v35
	s_wait_alu 0xfffd
	s_delay_alu instid0(VALU_DEP_2)
	v_add_co_ci_u32_e64 v16, null, 0, v3, vcc_lo
	s_cbranch_scc0 .LBB1954_81
; %bb.23:
	v_mov_b32_e32 v3, v15
	v_mov_b32_dpp v1, v15 row_shr:1 row_mask:0xf bank_mask:0xf
	v_mov_b32_dpp v6, v2 row_shr:1 row_mask:0xf bank_mask:0xf
	v_dual_mov_b32 v5, v15 :: v_dual_mov_b32 v4, v16
	s_and_saveexec_b32 s3, s2
; %bb.24:
	s_delay_alu instid0(VALU_DEP_3) | instskip(SKIP_2) | instid1(VALU_DEP_2)
	v_add_co_u32 v5, vcc_lo, v15, v1
	s_wait_alu 0xfffd
	v_add_co_ci_u32_e64 v2, null, 0, v16, vcc_lo
	v_add_co_u32 v1, vcc_lo, 0, v5
	s_wait_alu 0xfffd
	s_delay_alu instid0(VALU_DEP_2) | instskip(NEXT) | instid1(VALU_DEP_1)
	v_add_co_ci_u32_e64 v2, null, v6, v2, vcc_lo
	v_dual_mov_b32 v4, v2 :: v_dual_mov_b32 v3, v1
; %bb.25:
	s_wait_alu 0xfffe
	s_or_b32 exec_lo, exec_lo, s3
	v_mov_b32_dpp v1, v5 row_shr:2 row_mask:0xf bank_mask:0xf
	v_mov_b32_dpp v6, v2 row_shr:2 row_mask:0xf bank_mask:0xf
	v_cmp_lt_u32_e32 vcc_lo, 1, v41
	s_and_saveexec_b32 s4, vcc_lo
; %bb.26:
	s_delay_alu instid0(VALU_DEP_3) | instskip(SKIP_2) | instid1(VALU_DEP_2)
	v_add_co_u32 v5, s3, v3, v1
	s_wait_alu 0xf1ff
	v_add_co_ci_u32_e64 v2, null, 0, v4, s3
	v_add_co_u32 v1, s3, 0, v5
	s_wait_alu 0xf1ff
	s_delay_alu instid0(VALU_DEP_2) | instskip(NEXT) | instid1(VALU_DEP_1)
	v_add_co_ci_u32_e64 v2, null, v6, v2, s3
	v_dual_mov_b32 v4, v2 :: v_dual_mov_b32 v3, v1
; %bb.27:
	s_wait_alu 0xfffe
	s_or_b32 exec_lo, exec_lo, s4
	v_mov_b32_dpp v1, v5 row_shr:4 row_mask:0xf bank_mask:0xf
	v_mov_b32_dpp v6, v2 row_shr:4 row_mask:0xf bank_mask:0xf
	v_cmp_lt_u32_e64 s3, 3, v41
	s_and_saveexec_b32 s5, s3
; %bb.28:
	v_add_co_u32 v5, s4, v3, v1
	s_wait_alu 0xf1ff
	v_add_co_ci_u32_e64 v2, null, 0, v4, s4
	s_delay_alu instid0(VALU_DEP_2) | instskip(SKIP_1) | instid1(VALU_DEP_2)
	v_add_co_u32 v1, s4, 0, v5
	s_wait_alu 0xf1ff
	v_add_co_ci_u32_e64 v2, null, v6, v2, s4
	s_delay_alu instid0(VALU_DEP_1)
	v_dual_mov_b32 v4, v2 :: v_dual_mov_b32 v3, v1
; %bb.29:
	s_wait_alu 0xfffe
	s_or_b32 exec_lo, exec_lo, s5
	v_mov_b32_dpp v6, v5 row_shr:8 row_mask:0xf bank_mask:0xf
	v_mov_b32_dpp v1, v2 row_shr:8 row_mask:0xf bank_mask:0xf
	v_cmp_lt_u32_e64 s4, 7, v41
	s_and_saveexec_b32 s9, s4
; %bb.30:
	v_add_co_u32 v5, s5, v3, v6
	s_wait_alu 0xf1ff
	v_add_co_ci_u32_e64 v2, null, 0, v4, s5
	s_delay_alu instid0(VALU_DEP_2) | instskip(SKIP_1) | instid1(VALU_DEP_2)
	v_add_co_u32 v3, s5, 0, v5
	s_wait_alu 0xf1ff
	v_add_co_ci_u32_e64 v4, null, v1, v2, s5
	s_delay_alu instid0(VALU_DEP_1)
	v_mov_b32_e32 v2, v4
; %bb.31:
	s_wait_alu 0xfffe
	s_or_b32 exec_lo, exec_lo, s9
	ds_swizzle_b32 v1, v5 offset:swizzle(BROADCAST,32,15)
	ds_swizzle_b32 v6, v2 offset:swizzle(BROADCAST,32,15)
	v_and_b32_e32 v7, 16, v40
	s_mov_b32 s9, exec_lo
	s_delay_alu instid0(VALU_DEP_1)
	v_cmpx_ne_u32_e32 0, v7
	s_cbranch_execz .LBB1954_33
; %bb.32:
	s_wait_dscnt 0x1
	v_add_co_u32 v5, s5, v3, v1
	s_wait_alu 0xf1ff
	v_add_co_ci_u32_e64 v2, null, 0, v4, s5
	s_delay_alu instid0(VALU_DEP_2) | instskip(SKIP_2) | instid1(VALU_DEP_2)
	v_add_co_u32 v1, s5, 0, v5
	s_wait_dscnt 0x0
	s_wait_alu 0xf1ff
	v_add_co_ci_u32_e64 v2, null, v6, v2, s5
	s_delay_alu instid0(VALU_DEP_1)
	v_dual_mov_b32 v4, v2 :: v_dual_mov_b32 v3, v1
.LBB1954_33:
	s_wait_alu 0xfffe
	s_or_b32 exec_lo, exec_lo, s9
	s_wait_dscnt 0x1
	v_and_b32_e32 v1, 0x1e0, v0
	s_mov_b32 s9, exec_lo
	s_delay_alu instid0(VALU_DEP_1) | instskip(SKIP_1) | instid1(VALU_DEP_1)
	v_min_u32_e32 v1, 0x160, v1
	s_wait_dscnt 0x0
	v_or_b32_e32 v6, 31, v1
	v_lshrrev_b32_e32 v1, 5, v0
	s_delay_alu instid0(VALU_DEP_2)
	v_cmpx_eq_u32_e64 v0, v6
; %bb.34:
	s_delay_alu instid0(VALU_DEP_2)
	v_lshlrev_b32_e32 v6, 3, v1
	ds_store_b64 v6, v[3:4]
; %bb.35:
	s_wait_alu 0xfffe
	s_or_b32 exec_lo, exec_lo, s9
	s_delay_alu instid0(SALU_CYCLE_1)
	s_mov_b32 s9, exec_lo
	s_wait_loadcnt_dscnt 0x0
	s_barrier_signal -1
	s_barrier_wait -1
	global_inv scope:SCOPE_SE
	v_cmpx_gt_u32_e32 12, v0
	s_cbranch_execz .LBB1954_45
; %bb.36:
	v_lshlrev_b32_e32 v6, 3, v0
	ds_load_b64 v[3:4], v6
	s_wait_dscnt 0x0
	v_mov_b32_dpp v17, v3 row_shr:1 row_mask:0xf bank_mask:0xf
	v_mov_b32_dpp v8, v4 row_shr:1 row_mask:0xf bank_mask:0xf
	v_mov_b32_e32 v7, v3
	s_and_saveexec_b32 s10, s2
; %bb.37:
	s_delay_alu instid0(VALU_DEP_3) | instskip(SKIP_2) | instid1(VALU_DEP_2)
	v_add_co_u32 v7, s5, v3, v17
	s_wait_alu 0xf1ff
	v_add_co_ci_u32_e64 v4, null, 0, v4, s5
	v_add_co_u32 v3, s5, 0, v7
	s_wait_alu 0xf1ff
	s_delay_alu instid0(VALU_DEP_2)
	v_add_co_ci_u32_e64 v4, null, v8, v4, s5
; %bb.38:
	s_or_b32 exec_lo, exec_lo, s10
	v_mov_b32_dpp v17, v7 row_shr:2 row_mask:0xf bank_mask:0xf
	s_delay_alu instid0(VALU_DEP_2)
	v_mov_b32_dpp v8, v4 row_shr:2 row_mask:0xf bank_mask:0xf
	s_and_saveexec_b32 s5, vcc_lo
; %bb.39:
	s_delay_alu instid0(VALU_DEP_2) | instskip(SKIP_2) | instid1(VALU_DEP_2)
	v_add_co_u32 v7, vcc_lo, v3, v17
	s_wait_alu 0xfffd
	v_add_co_ci_u32_e64 v4, null, 0, v4, vcc_lo
	v_add_co_u32 v3, vcc_lo, 0, v7
	s_wait_alu 0xfffd
	s_delay_alu instid0(VALU_DEP_2)
	v_add_co_ci_u32_e64 v4, null, v8, v4, vcc_lo
; %bb.40:
	s_wait_alu 0xfffe
	s_or_b32 exec_lo, exec_lo, s5
	v_mov_b32_dpp v17, v7 row_shr:4 row_mask:0xf bank_mask:0xf
	s_delay_alu instid0(VALU_DEP_2)
	v_mov_b32_dpp v8, v4 row_shr:4 row_mask:0xf bank_mask:0xf
	s_and_saveexec_b32 s5, s3
; %bb.41:
	s_delay_alu instid0(VALU_DEP_2) | instskip(SKIP_2) | instid1(VALU_DEP_2)
	v_add_co_u32 v7, vcc_lo, v3, v17
	s_wait_alu 0xfffd
	v_add_co_ci_u32_e64 v4, null, 0, v4, vcc_lo
	v_add_co_u32 v3, vcc_lo, 0, v7
	s_wait_alu 0xfffd
	s_delay_alu instid0(VALU_DEP_2)
	v_add_co_ci_u32_e64 v4, null, v8, v4, vcc_lo
; %bb.42:
	s_wait_alu 0xfffe
	s_or_b32 exec_lo, exec_lo, s5
	v_mov_b32_dpp v8, v7 row_shr:8 row_mask:0xf bank_mask:0xf
	s_delay_alu instid0(VALU_DEP_2)
	v_mov_b32_dpp v7, v4 row_shr:8 row_mask:0xf bank_mask:0xf
	s_and_saveexec_b32 s3, s4
; %bb.43:
	s_delay_alu instid0(VALU_DEP_2) | instskip(SKIP_2) | instid1(VALU_DEP_2)
	v_add_co_u32 v3, vcc_lo, v3, v8
	s_wait_alu 0xfffd
	v_add_co_ci_u32_e64 v4, null, 0, v4, vcc_lo
	v_add_co_u32 v3, vcc_lo, v3, 0
	s_wait_alu 0xfffd
	s_delay_alu instid0(VALU_DEP_2)
	v_add_co_ci_u32_e64 v4, null, v4, v7, vcc_lo
; %bb.44:
	s_wait_alu 0xfffe
	s_or_b32 exec_lo, exec_lo, s3
	ds_store_b64 v6, v[3:4]
.LBB1954_45:
	s_wait_alu 0xfffe
	s_or_b32 exec_lo, exec_lo, s9
	s_delay_alu instid0(SALU_CYCLE_1)
	s_mov_b32 s4, exec_lo
	v_cmp_gt_u32_e32 vcc_lo, 32, v0
	s_wait_loadcnt_dscnt 0x0
	s_barrier_signal -1
	s_barrier_wait -1
	global_inv scope:SCOPE_SE
                                        ; implicit-def: $vgpr17_vgpr18
	v_cmpx_lt_u32_e32 31, v0
	s_cbranch_execz .LBB1954_47
; %bb.46:
	v_lshl_add_u32 v1, v1, 3, -8
	ds_load_b64 v[17:18], v1
	s_wait_dscnt 0x0
	v_add_co_u32 v5, s3, v5, v17
	s_wait_alu 0xf1ff
	v_add_co_ci_u32_e64 v2, null, v2, v18, s3
.LBB1954_47:
	s_wait_alu 0xfffe
	s_or_b32 exec_lo, exec_lo, s4
	v_sub_co_u32 v1, s3, v40, 1
	s_delay_alu instid0(VALU_DEP_1) | instskip(SKIP_1) | instid1(VALU_DEP_1)
	v_cmp_gt_i32_e64 s4, 0, v1
	s_wait_alu 0xf1ff
	v_cndmask_b32_e64 v1, v1, v40, s4
	s_delay_alu instid0(VALU_DEP_1)
	v_lshlrev_b32_e32 v1, 2, v1
	ds_bpermute_b32 v23, v1, v5
	ds_bpermute_b32 v24, v1, v2
	s_and_saveexec_b32 s4, vcc_lo
	s_cbranch_execz .LBB1954_86
; %bb.48:
	v_mov_b32_e32 v4, 0
	ds_load_b64 v[1:2], v4 offset:88
	s_and_saveexec_b32 s5, s3
	s_cbranch_execz .LBB1954_50
; %bb.49:
	s_add_co_i32 s18, ttmp9, 32
	s_mov_b32 s19, 0
	s_delay_alu instid0(SALU_CYCLE_1)
	s_lshl_b64 s[18:19], s[18:19], 4
	s_wait_kmcnt 0x0
	s_add_nc_u64 s[18:19], s[6:7], s[18:19]
	v_mov_b32_e32 v3, 1
	v_dual_mov_b32 v5, s18 :: v_dual_mov_b32 v6, s19
	s_wait_dscnt 0x0
	;;#ASMSTART
	global_store_b128 v[5:6], v[1:4] off scope:SCOPE_DEV	
s_wait_storecnt 0x0
	;;#ASMEND
.LBB1954_50:
	s_wait_alu 0xfffe
	s_or_b32 exec_lo, exec_lo, s5
	v_xad_u32 v19, v40, -1, ttmp9
	s_mov_b32 s9, 0
	s_mov_b32 s5, exec_lo
	s_delay_alu instid0(VALU_DEP_1) | instskip(NEXT) | instid1(VALU_DEP_1)
	v_add_nc_u32_e32 v3, 32, v19
	v_lshlrev_b64_e32 v[3:4], 4, v[3:4]
	s_wait_kmcnt 0x0
	s_delay_alu instid0(VALU_DEP_1) | instskip(SKIP_1) | instid1(VALU_DEP_2)
	v_add_co_u32 v3, vcc_lo, s6, v3
	s_wait_alu 0xfffd
	v_add_co_ci_u32_e64 v4, null, s7, v4, vcc_lo
	;;#ASMSTART
	global_load_b128 v[5:8], v[3:4] off scope:SCOPE_DEV	
s_wait_loadcnt 0x0
	;;#ASMEND
	v_and_b32_e32 v8, 0xff, v7
	s_delay_alu instid0(VALU_DEP_1)
	v_cmpx_eq_u16_e32 0, v8
	s_cbranch_execz .LBB1954_53
.LBB1954_51:                            ; =>This Inner Loop Header: Depth=1
	;;#ASMSTART
	global_load_b128 v[5:8], v[3:4] off scope:SCOPE_DEV	
s_wait_loadcnt 0x0
	;;#ASMEND
	v_and_b32_e32 v8, 0xff, v7
	s_delay_alu instid0(VALU_DEP_1)
	v_cmp_ne_u16_e32 vcc_lo, 0, v8
	s_wait_alu 0xfffe
	s_or_b32 s9, vcc_lo, s9
	s_wait_alu 0xfffe
	s_and_not1_b32 exec_lo, exec_lo, s9
	s_cbranch_execnz .LBB1954_51
; %bb.52:
	s_or_b32 exec_lo, exec_lo, s9
.LBB1954_53:
	s_wait_alu 0xfffe
	s_or_b32 exec_lo, exec_lo, s5
	v_cmp_ne_u32_e32 vcc_lo, 31, v40
	v_and_b32_e32 v4, 0xff, v7
	v_lshlrev_b32_e64 v26, v40, -1
	s_mov_b32 s5, exec_lo
	s_wait_alu 0xfffd
	v_add_co_ci_u32_e64 v3, null, 0, v40, vcc_lo
	v_cmp_eq_u16_e32 vcc_lo, 2, v4
	s_delay_alu instid0(VALU_DEP_2)
	v_dual_mov_b32 v4, v5 :: v_dual_lshlrev_b32 v25, 2, v3
	s_wait_alu 0xfffd
	v_and_or_b32 v3, vcc_lo, v26, 0x80000000
	ds_bpermute_b32 v20, v25, v5
	ds_bpermute_b32 v8, v25, v6
	v_ctz_i32_b32_e32 v3, v3
	s_delay_alu instid0(VALU_DEP_1)
	v_cmpx_lt_u32_e64 v40, v3
	s_cbranch_execz .LBB1954_55
; %bb.54:
	s_wait_dscnt 0x1
	v_add_co_u32 v4, vcc_lo, v5, v20
	s_wait_alu 0xfffd
	v_add_co_ci_u32_e64 v6, null, 0, v6, vcc_lo
	s_delay_alu instid0(VALU_DEP_2) | instskip(SKIP_2) | instid1(VALU_DEP_2)
	v_add_co_u32 v5, vcc_lo, 0, v4
	s_wait_dscnt 0x0
	s_wait_alu 0xfffd
	v_add_co_ci_u32_e64 v6, null, v8, v6, vcc_lo
.LBB1954_55:
	s_wait_alu 0xfffe
	s_or_b32 exec_lo, exec_lo, s5
	v_cmp_gt_u32_e32 vcc_lo, 30, v40
	v_add_nc_u32_e32 v28, 2, v40
	s_mov_b32 s5, exec_lo
	s_wait_dscnt 0x0
	s_wait_alu 0xfffd
	v_cndmask_b32_e64 v8, 0, 2, vcc_lo
	s_delay_alu instid0(VALU_DEP_1)
	v_add_lshl_u32 v27, v8, v40, 2
	ds_bpermute_b32 v20, v27, v4
	ds_bpermute_b32 v8, v27, v6
	v_cmpx_le_u32_e64 v28, v3
	s_cbranch_execz .LBB1954_57
; %bb.56:
	s_wait_dscnt 0x1
	v_add_co_u32 v4, vcc_lo, v5, v20
	s_wait_alu 0xfffd
	v_add_co_ci_u32_e64 v6, null, 0, v6, vcc_lo
	s_delay_alu instid0(VALU_DEP_2) | instskip(SKIP_2) | instid1(VALU_DEP_2)
	v_add_co_u32 v5, vcc_lo, 0, v4
	s_wait_dscnt 0x0
	s_wait_alu 0xfffd
	v_add_co_ci_u32_e64 v6, null, v8, v6, vcc_lo
.LBB1954_57:
	s_wait_alu 0xfffe
	s_or_b32 exec_lo, exec_lo, s5
	v_cmp_gt_u32_e32 vcc_lo, 28, v40
	v_add_nc_u32_e32 v43, 4, v40
	s_mov_b32 s5, exec_lo
	s_wait_dscnt 0x0
	s_wait_alu 0xfffd
	v_cndmask_b32_e64 v8, 0, 4, vcc_lo
	s_delay_alu instid0(VALU_DEP_1)
	v_add_lshl_u32 v42, v8, v40, 2
	ds_bpermute_b32 v20, v42, v4
	ds_bpermute_b32 v8, v42, v6
	v_cmpx_le_u32_e64 v43, v3
	;; [unrolled: 25-line block ×3, first 2 shown]
	s_cbranch_execz .LBB1954_61
; %bb.60:
	s_wait_dscnt 0x1
	v_add_co_u32 v4, vcc_lo, v5, v20
	s_wait_alu 0xfffd
	v_add_co_ci_u32_e64 v6, null, 0, v6, vcc_lo
	s_delay_alu instid0(VALU_DEP_2) | instskip(SKIP_2) | instid1(VALU_DEP_2)
	v_add_co_u32 v5, vcc_lo, 0, v4
	s_wait_dscnt 0x0
	s_wait_alu 0xfffd
	v_add_co_ci_u32_e64 v6, null, v8, v6, vcc_lo
.LBB1954_61:
	s_wait_alu 0xfffe
	s_or_b32 exec_lo, exec_lo, s5
	v_lshl_or_b32 v46, v40, 2, 64
	v_add_nc_u32_e32 v47, 16, v40
	s_mov_b32 s5, exec_lo
	s_wait_dscnt 0x0
	ds_bpermute_b32 v8, v46, v4
	ds_bpermute_b32 v4, v46, v6
	v_cmpx_le_u32_e64 v47, v3
	s_cbranch_execz .LBB1954_63
; %bb.62:
	s_wait_dscnt 0x1
	v_add_co_u32 v3, vcc_lo, v5, v8
	s_wait_alu 0xfffd
	v_add_co_ci_u32_e64 v6, null, 0, v6, vcc_lo
	s_delay_alu instid0(VALU_DEP_2) | instskip(SKIP_2) | instid1(VALU_DEP_2)
	v_add_co_u32 v5, vcc_lo, v3, 0
	s_wait_dscnt 0x0
	s_wait_alu 0xfffd
	v_add_co_ci_u32_e64 v6, null, v6, v4, vcc_lo
.LBB1954_63:
	s_wait_alu 0xfffe
	s_or_b32 exec_lo, exec_lo, s5
	v_mov_b32_e32 v20, 0
	s_branch .LBB1954_66
.LBB1954_64:                            ;   in Loop: Header=BB1954_66 Depth=1
	s_wait_alu 0xfffe
	s_or_b32 exec_lo, exec_lo, s5
	v_add_co_u32 v5, vcc_lo, v5, v3
	v_subrev_nc_u32_e32 v19, 32, v19
	s_wait_alu 0xfffd
	v_add_co_ci_u32_e64 v6, null, v6, v4, vcc_lo
	s_mov_b32 s5, 0
.LBB1954_65:                            ;   in Loop: Header=BB1954_66 Depth=1
	s_wait_alu 0xfffe
	s_and_b32 vcc_lo, exec_lo, s5
	s_wait_alu 0xfffe
	s_cbranch_vccnz .LBB1954_82
.LBB1954_66:                            ; =>This Loop Header: Depth=1
                                        ;     Child Loop BB1954_69 Depth 2
	v_and_b32_e32 v3, 0xff, v7
	s_mov_b32 s5, -1
	s_delay_alu instid0(VALU_DEP_1)
	v_cmp_ne_u16_e32 vcc_lo, 2, v3
	s_wait_dscnt 0x0
	v_dual_mov_b32 v3, v5 :: v_dual_mov_b32 v4, v6
                                        ; implicit-def: $vgpr5_vgpr6
	s_cmp_lg_u32 vcc_lo, exec_lo
	s_cbranch_scc1 .LBB1954_65
; %bb.67:                               ;   in Loop: Header=BB1954_66 Depth=1
	v_lshlrev_b64_e32 v[5:6], 4, v[19:20]
	s_mov_b32 s5, exec_lo
	s_delay_alu instid0(VALU_DEP_1) | instskip(SKIP_1) | instid1(VALU_DEP_2)
	v_add_co_u32 v21, vcc_lo, s6, v5
	s_wait_alu 0xfffd
	v_add_co_ci_u32_e64 v22, null, s7, v6, vcc_lo
	;;#ASMSTART
	global_load_b128 v[5:8], v[21:22] off scope:SCOPE_DEV	
s_wait_loadcnt 0x0
	;;#ASMEND
	v_and_b32_e32 v8, 0xff, v7
	s_delay_alu instid0(VALU_DEP_1)
	v_cmpx_eq_u16_e32 0, v8
	s_cbranch_execz .LBB1954_71
; %bb.68:                               ;   in Loop: Header=BB1954_66 Depth=1
	s_mov_b32 s9, 0
.LBB1954_69:                            ;   Parent Loop BB1954_66 Depth=1
                                        ; =>  This Inner Loop Header: Depth=2
	;;#ASMSTART
	global_load_b128 v[5:8], v[21:22] off scope:SCOPE_DEV	
s_wait_loadcnt 0x0
	;;#ASMEND
	v_and_b32_e32 v8, 0xff, v7
	s_delay_alu instid0(VALU_DEP_1)
	v_cmp_ne_u16_e32 vcc_lo, 0, v8
	s_wait_alu 0xfffe
	s_or_b32 s9, vcc_lo, s9
	s_wait_alu 0xfffe
	s_and_not1_b32 exec_lo, exec_lo, s9
	s_cbranch_execnz .LBB1954_69
; %bb.70:                               ;   in Loop: Header=BB1954_66 Depth=1
	s_or_b32 exec_lo, exec_lo, s9
.LBB1954_71:                            ;   in Loop: Header=BB1954_66 Depth=1
	s_wait_alu 0xfffe
	s_or_b32 exec_lo, exec_lo, s5
	v_dual_mov_b32 v21, v5 :: v_dual_and_b32 v8, 0xff, v7
	ds_bpermute_b32 v48, v25, v5
	ds_bpermute_b32 v22, v25, v6
	s_mov_b32 s5, exec_lo
	v_cmp_eq_u16_e32 vcc_lo, 2, v8
	s_wait_alu 0xfffd
	v_and_or_b32 v8, vcc_lo, v26, 0x80000000
	s_delay_alu instid0(VALU_DEP_1) | instskip(NEXT) | instid1(VALU_DEP_1)
	v_ctz_i32_b32_e32 v8, v8
	v_cmpx_lt_u32_e64 v40, v8
	s_cbranch_execz .LBB1954_73
; %bb.72:                               ;   in Loop: Header=BB1954_66 Depth=1
	s_wait_dscnt 0x1
	v_add_co_u32 v21, vcc_lo, v5, v48
	s_wait_alu 0xfffd
	v_add_co_ci_u32_e64 v6, null, 0, v6, vcc_lo
	s_delay_alu instid0(VALU_DEP_2) | instskip(SKIP_2) | instid1(VALU_DEP_2)
	v_add_co_u32 v5, vcc_lo, 0, v21
	s_wait_dscnt 0x0
	s_wait_alu 0xfffd
	v_add_co_ci_u32_e64 v6, null, v22, v6, vcc_lo
.LBB1954_73:                            ;   in Loop: Header=BB1954_66 Depth=1
	s_wait_alu 0xfffe
	s_or_b32 exec_lo, exec_lo, s5
	s_wait_dscnt 0x1
	ds_bpermute_b32 v48, v27, v21
	s_wait_dscnt 0x1
	ds_bpermute_b32 v22, v27, v6
	s_mov_b32 s5, exec_lo
	v_cmpx_le_u32_e64 v28, v8
	s_cbranch_execz .LBB1954_75
; %bb.74:                               ;   in Loop: Header=BB1954_66 Depth=1
	s_wait_dscnt 0x1
	v_add_co_u32 v21, vcc_lo, v5, v48
	s_wait_alu 0xfffd
	v_add_co_ci_u32_e64 v6, null, 0, v6, vcc_lo
	s_delay_alu instid0(VALU_DEP_2) | instskip(SKIP_2) | instid1(VALU_DEP_2)
	v_add_co_u32 v5, vcc_lo, 0, v21
	s_wait_dscnt 0x0
	s_wait_alu 0xfffd
	v_add_co_ci_u32_e64 v6, null, v22, v6, vcc_lo
.LBB1954_75:                            ;   in Loop: Header=BB1954_66 Depth=1
	s_wait_alu 0xfffe
	s_or_b32 exec_lo, exec_lo, s5
	s_wait_dscnt 0x1
	ds_bpermute_b32 v48, v42, v21
	s_wait_dscnt 0x1
	ds_bpermute_b32 v22, v42, v6
	s_mov_b32 s5, exec_lo
	v_cmpx_le_u32_e64 v43, v8
	;; [unrolled: 20-line block ×3, first 2 shown]
	s_cbranch_execz .LBB1954_79
; %bb.78:                               ;   in Loop: Header=BB1954_66 Depth=1
	s_wait_dscnt 0x1
	v_add_co_u32 v21, vcc_lo, v5, v48
	s_wait_alu 0xfffd
	v_add_co_ci_u32_e64 v6, null, 0, v6, vcc_lo
	s_delay_alu instid0(VALU_DEP_2) | instskip(SKIP_2) | instid1(VALU_DEP_2)
	v_add_co_u32 v5, vcc_lo, 0, v21
	s_wait_dscnt 0x0
	s_wait_alu 0xfffd
	v_add_co_ci_u32_e64 v6, null, v22, v6, vcc_lo
.LBB1954_79:                            ;   in Loop: Header=BB1954_66 Depth=1
	s_wait_alu 0xfffe
	s_or_b32 exec_lo, exec_lo, s5
	s_wait_dscnt 0x0
	ds_bpermute_b32 v22, v46, v21
	ds_bpermute_b32 v21, v46, v6
	s_mov_b32 s5, exec_lo
	v_cmpx_le_u32_e64 v47, v8
	s_cbranch_execz .LBB1954_64
; %bb.80:                               ;   in Loop: Header=BB1954_66 Depth=1
	s_wait_dscnt 0x1
	v_add_co_u32 v5, vcc_lo, v5, v22
	s_wait_alu 0xfffd
	v_add_co_ci_u32_e64 v6, null, 0, v6, vcc_lo
	s_delay_alu instid0(VALU_DEP_2) | instskip(SKIP_2) | instid1(VALU_DEP_2)
	v_add_co_u32 v5, vcc_lo, v5, 0
	s_wait_dscnt 0x0
	s_wait_alu 0xfffd
	v_add_co_ci_u32_e64 v6, null, v6, v21, vcc_lo
	s_branch .LBB1954_64
.LBB1954_81:
                                        ; implicit-def: $vgpr17_vgpr18
                                        ; implicit-def: $vgpr6_vgpr7
                                        ; implicit-def: $vgpr19_vgpr20
                                        ; implicit-def: $vgpr21_vgpr22
                                        ; implicit-def: $vgpr23_vgpr24
                                        ; implicit-def: $vgpr25_vgpr26
                                        ; implicit-def: $vgpr27_vgpr28
                                        ; implicit-def: $vgpr4_vgpr5
	s_wait_alu 0xfffe
	s_and_b32 vcc_lo, exec_lo, s3
	s_wait_alu 0xfffe
	s_cbranch_vccnz .LBB1954_87
	s_branch .LBB1954_114
.LBB1954_82:
	s_and_saveexec_b32 s5, s3
	s_cbranch_execz .LBB1954_84
; %bb.83:
	s_add_co_i32 s18, ttmp9, 32
	s_mov_b32 s19, 0
	v_add_co_u32 v5, vcc_lo, v3, v1
	s_wait_alu 0xfffe
	s_lshl_b64 s[18:19], s[18:19], 4
	v_dual_mov_b32 v7, 2 :: v_dual_mov_b32 v8, 0
	s_wait_alu 0xfffe
	s_add_nc_u64 s[18:19], s[6:7], s[18:19]
	s_wait_alu 0xfffd
	v_add_co_ci_u32_e64 v6, null, v4, v2, vcc_lo
	s_wait_alu 0xfffe
	v_dual_mov_b32 v20, s19 :: v_dual_mov_b32 v19, s18
	;;#ASMSTART
	global_store_b128 v[19:20], v[5:8] off scope:SCOPE_DEV	
s_wait_storecnt 0x0
	;;#ASMEND
	ds_store_b128 v8, v[1:4] offset:10752
.LBB1954_84:
	s_wait_alu 0xfffe
	s_or_b32 exec_lo, exec_lo, s5
	v_cmp_eq_u32_e32 vcc_lo, 0, v0
	s_and_b32 exec_lo, exec_lo, vcc_lo
; %bb.85:
	v_mov_b32_e32 v1, 0
	ds_store_b64 v1, v[3:4] offset:88
.LBB1954_86:
	s_wait_alu 0xfffe
	s_or_b32 exec_lo, exec_lo, s4
	s_wait_dscnt 0x1
	v_cndmask_b32_e64 v4, v23, v17, s3
	v_cmp_ne_u32_e32 vcc_lo, 0, v0
	v_mov_b32_e32 v3, 0
	s_wait_loadcnt_dscnt 0x0
	s_barrier_signal -1
	s_barrier_wait -1
	global_inv scope:SCOPE_SE
	s_wait_alu 0xfffd
	v_cndmask_b32_e32 v4, 0, v4, vcc_lo
	ds_load_b64 v[1:2], v3 offset:88
	v_cndmask_b32_e64 v5, v24, v18, s3
	s_wait_loadcnt_dscnt 0x0
	s_barrier_signal -1
	s_barrier_wait -1
	global_inv scope:SCOPE_SE
	v_cndmask_b32_e32 v5, 0, v5, vcc_lo
	v_add_co_u32 v27, vcc_lo, v1, v4
	s_wait_alu 0xfffd
	s_delay_alu instid0(VALU_DEP_2) | instskip(SKIP_4) | instid1(VALU_DEP_2)
	v_add_co_ci_u32_e64 v28, null, v2, v5, vcc_lo
	ds_load_b128 v[2:5], v3 offset:10752
	v_add_co_u32 v25, vcc_lo, v27, v37
	s_wait_alu 0xfffd
	v_add_co_ci_u32_e64 v26, null, 0, v28, vcc_lo
	v_add_co_u32 v23, vcc_lo, v25, v36
	s_wait_alu 0xfffd
	s_delay_alu instid0(VALU_DEP_2) | instskip(NEXT) | instid1(VALU_DEP_2)
	v_add_co_ci_u32_e64 v24, null, 0, v26, vcc_lo
	v_add_co_u32 v21, vcc_lo, v23, v39
	s_wait_alu 0xfffd
	s_delay_alu instid0(VALU_DEP_2) | instskip(NEXT) | instid1(VALU_DEP_2)
	;; [unrolled: 4-line block ×4, first 2 shown]
	v_add_co_ci_u32_e64 v7, null, 0, v20, vcc_lo
	v_add_co_u32 v17, vcc_lo, v6, v35
	s_wait_alu 0xfffd
	s_delay_alu instid0(VALU_DEP_2)
	v_add_co_ci_u32_e64 v18, null, 0, v7, vcc_lo
	s_branch .LBB1954_114
.LBB1954_87:
	s_wait_dscnt 0x0
	v_dual_mov_b32 v2, 0 :: v_dual_mov_b32 v3, v15
	v_mov_b32_dpp v4, v15 row_shr:1 row_mask:0xf bank_mask:0xf
	s_delay_alu instid0(VALU_DEP_2)
	v_mov_b32_dpp v1, v2 row_shr:1 row_mask:0xf bank_mask:0xf
	s_and_saveexec_b32 s3, s2
; %bb.88:
	s_delay_alu instid0(VALU_DEP_2) | instskip(SKIP_2) | instid1(VALU_DEP_2)
	v_add_co_u32 v3, vcc_lo, v15, v4
	s_wait_alu 0xfffd
	v_add_co_ci_u32_e64 v2, null, 0, v16, vcc_lo
	v_add_co_u32 v15, vcc_lo, 0, v3
	s_wait_alu 0xfffd
	s_delay_alu instid0(VALU_DEP_2) | instskip(NEXT) | instid1(VALU_DEP_1)
	v_add_co_ci_u32_e64 v16, null, v1, v2, vcc_lo
	v_mov_b32_e32 v2, v16
; %bb.89:
	s_wait_alu 0xfffe
	s_or_b32 exec_lo, exec_lo, s3
	v_mov_b32_dpp v1, v3 row_shr:2 row_mask:0xf bank_mask:0xf
	s_delay_alu instid0(VALU_DEP_2)
	v_mov_b32_dpp v4, v2 row_shr:2 row_mask:0xf bank_mask:0xf
	v_cmp_lt_u32_e32 vcc_lo, 1, v41
	s_and_saveexec_b32 s4, vcc_lo
; %bb.90:
	s_delay_alu instid0(VALU_DEP_3) | instskip(SKIP_2) | instid1(VALU_DEP_2)
	v_add_co_u32 v3, s3, v15, v1
	s_wait_alu 0xf1ff
	v_add_co_ci_u32_e64 v2, null, 0, v16, s3
	v_add_co_u32 v1, s3, 0, v3
	s_wait_alu 0xf1ff
	s_delay_alu instid0(VALU_DEP_2) | instskip(NEXT) | instid1(VALU_DEP_1)
	v_add_co_ci_u32_e64 v2, null, v4, v2, s3
	v_dual_mov_b32 v16, v2 :: v_dual_mov_b32 v15, v1
; %bb.91:
	s_wait_alu 0xfffe
	s_or_b32 exec_lo, exec_lo, s4
	v_mov_b32_dpp v1, v3 row_shr:4 row_mask:0xf bank_mask:0xf
	v_mov_b32_dpp v4, v2 row_shr:4 row_mask:0xf bank_mask:0xf
	v_cmp_lt_u32_e64 s3, 3, v41
	s_and_saveexec_b32 s5, s3
; %bb.92:
	v_add_co_u32 v3, s4, v15, v1
	s_wait_alu 0xf1ff
	v_add_co_ci_u32_e64 v2, null, 0, v16, s4
	s_delay_alu instid0(VALU_DEP_2) | instskip(SKIP_1) | instid1(VALU_DEP_2)
	v_add_co_u32 v1, s4, 0, v3
	s_wait_alu 0xf1ff
	v_add_co_ci_u32_e64 v2, null, v4, v2, s4
	s_delay_alu instid0(VALU_DEP_1)
	v_dual_mov_b32 v16, v2 :: v_dual_mov_b32 v15, v1
; %bb.93:
	s_wait_alu 0xfffe
	s_or_b32 exec_lo, exec_lo, s5
	v_mov_b32_dpp v4, v3 row_shr:8 row_mask:0xf bank_mask:0xf
	v_mov_b32_dpp v1, v2 row_shr:8 row_mask:0xf bank_mask:0xf
	v_cmp_lt_u32_e64 s4, 7, v41
	s_and_saveexec_b32 s9, s4
; %bb.94:
	v_add_co_u32 v3, s5, v15, v4
	s_wait_alu 0xf1ff
	v_add_co_ci_u32_e64 v2, null, 0, v16, s5
	s_delay_alu instid0(VALU_DEP_2) | instskip(SKIP_1) | instid1(VALU_DEP_2)
	v_add_co_u32 v15, s5, 0, v3
	s_wait_alu 0xf1ff
	v_add_co_ci_u32_e64 v16, null, v1, v2, s5
	s_delay_alu instid0(VALU_DEP_1)
	v_mov_b32_e32 v2, v16
; %bb.95:
	s_wait_alu 0xfffe
	s_or_b32 exec_lo, exec_lo, s9
	ds_swizzle_b32 v3, v3 offset:swizzle(BROADCAST,32,15)
	ds_swizzle_b32 v1, v2 offset:swizzle(BROADCAST,32,15)
	v_and_b32_e32 v2, 16, v40
	s_mov_b32 s9, exec_lo
	s_delay_alu instid0(VALU_DEP_1)
	v_cmpx_ne_u32_e32 0, v2
	s_cbranch_execz .LBB1954_97
; %bb.96:
	s_wait_dscnt 0x1
	v_add_co_u32 v2, s5, v15, v3
	s_wait_alu 0xf1ff
	v_add_co_ci_u32_e64 v3, null, 0, v16, s5
	s_delay_alu instid0(VALU_DEP_2) | instskip(SKIP_2) | instid1(VALU_DEP_2)
	v_add_co_u32 v15, s5, v2, 0
	s_wait_dscnt 0x0
	s_wait_alu 0xf1ff
	v_add_co_ci_u32_e64 v16, null, v3, v1, s5
.LBB1954_97:
	s_wait_alu 0xfffe
	s_or_b32 exec_lo, exec_lo, s9
	s_wait_dscnt 0x0
	v_and_b32_e32 v1, 0x1e0, v0
	v_lshrrev_b32_e32 v3, 5, v0
	s_mov_b32 s9, exec_lo
	s_delay_alu instid0(VALU_DEP_2) | instskip(NEXT) | instid1(VALU_DEP_1)
	v_min_u32_e32 v1, 0x160, v1
	v_or_b32_e32 v1, 31, v1
	s_delay_alu instid0(VALU_DEP_1)
	v_cmpx_eq_u32_e64 v0, v1
; %bb.98:
	v_lshlrev_b32_e32 v1, 3, v3
	ds_store_b64 v1, v[15:16]
; %bb.99:
	s_wait_alu 0xfffe
	s_or_b32 exec_lo, exec_lo, s9
	s_delay_alu instid0(SALU_CYCLE_1)
	s_mov_b32 s9, exec_lo
	s_wait_loadcnt_dscnt 0x0
	s_barrier_signal -1
	s_barrier_wait -1
	global_inv scope:SCOPE_SE
	v_cmpx_gt_u32_e32 12, v0
	s_cbranch_execz .LBB1954_109
; %bb.100:
	v_mad_i32_i24 v1, 0xffffffec, v0, v33
	ds_load_b64 v[1:2], v1
	s_wait_dscnt 0x0
	v_mov_b32_dpp v6, v1 row_shr:1 row_mask:0xf bank_mask:0xf
	v_mov_b32_dpp v5, v2 row_shr:1 row_mask:0xf bank_mask:0xf
	v_mov_b32_e32 v4, v1
	s_and_saveexec_b32 s5, s2
; %bb.101:
	s_delay_alu instid0(VALU_DEP_3) | instskip(SKIP_2) | instid1(VALU_DEP_2)
	v_add_co_u32 v4, s2, v1, v6
	s_wait_alu 0xf1ff
	v_add_co_ci_u32_e64 v2, null, 0, v2, s2
	v_add_co_u32 v1, s2, 0, v4
	s_wait_alu 0xf1ff
	s_delay_alu instid0(VALU_DEP_2)
	v_add_co_ci_u32_e64 v2, null, v5, v2, s2
; %bb.102:
	s_wait_alu 0xfffe
	s_or_b32 exec_lo, exec_lo, s5
	v_mov_b32_dpp v6, v4 row_shr:2 row_mask:0xf bank_mask:0xf
	s_delay_alu instid0(VALU_DEP_2)
	v_mov_b32_dpp v5, v2 row_shr:2 row_mask:0xf bank_mask:0xf
	s_and_saveexec_b32 s2, vcc_lo
; %bb.103:
	s_delay_alu instid0(VALU_DEP_2) | instskip(SKIP_2) | instid1(VALU_DEP_2)
	v_add_co_u32 v4, vcc_lo, v1, v6
	s_wait_alu 0xfffd
	v_add_co_ci_u32_e64 v2, null, 0, v2, vcc_lo
	v_add_co_u32 v1, vcc_lo, 0, v4
	s_wait_alu 0xfffd
	s_delay_alu instid0(VALU_DEP_2)
	v_add_co_ci_u32_e64 v2, null, v5, v2, vcc_lo
; %bb.104:
	s_wait_alu 0xfffe
	s_or_b32 exec_lo, exec_lo, s2
	v_mov_b32_dpp v6, v4 row_shr:4 row_mask:0xf bank_mask:0xf
	s_delay_alu instid0(VALU_DEP_2)
	v_mov_b32_dpp v5, v2 row_shr:4 row_mask:0xf bank_mask:0xf
	s_and_saveexec_b32 s2, s3
; %bb.105:
	s_delay_alu instid0(VALU_DEP_2) | instskip(SKIP_2) | instid1(VALU_DEP_2)
	v_add_co_u32 v4, vcc_lo, v1, v6
	s_wait_alu 0xfffd
	v_add_co_ci_u32_e64 v2, null, 0, v2, vcc_lo
	v_add_co_u32 v1, vcc_lo, 0, v4
	s_wait_alu 0xfffd
	s_delay_alu instid0(VALU_DEP_2)
	v_add_co_ci_u32_e64 v2, null, v5, v2, vcc_lo
; %bb.106:
	s_wait_alu 0xfffe
	s_or_b32 exec_lo, exec_lo, s2
	v_mul_i32_i24_e32 v5, 0xffffffec, v0
	v_mov_b32_dpp v6, v4 row_shr:8 row_mask:0xf bank_mask:0xf
	v_mov_b32_dpp v4, v2 row_shr:8 row_mask:0xf bank_mask:0xf
	s_and_saveexec_b32 s2, s4
; %bb.107:
	s_delay_alu instid0(VALU_DEP_2) | instskip(SKIP_2) | instid1(VALU_DEP_2)
	v_add_co_u32 v1, vcc_lo, v1, v6
	s_wait_alu 0xfffd
	v_add_co_ci_u32_e64 v2, null, 0, v2, vcc_lo
	v_add_co_u32 v1, vcc_lo, v1, 0
	s_wait_alu 0xfffd
	s_delay_alu instid0(VALU_DEP_2)
	v_add_co_ci_u32_e64 v2, null, v2, v4, vcc_lo
; %bb.108:
	s_wait_alu 0xfffe
	s_or_b32 exec_lo, exec_lo, s2
	v_add_nc_u32_e32 v4, v33, v5
	ds_store_b64 v4, v[1:2]
.LBB1954_109:
	s_wait_alu 0xfffe
	s_or_b32 exec_lo, exec_lo, s9
	v_mov_b32_e32 v6, 0
	v_mov_b32_e32 v7, 0
	s_mov_b32 s2, exec_lo
	s_wait_loadcnt_dscnt 0x0
	s_barrier_signal -1
	s_barrier_wait -1
	global_inv scope:SCOPE_SE
	v_cmpx_lt_u32_e32 31, v0
; %bb.110:
	v_lshl_add_u32 v1, v3, 3, -8
	ds_load_b64 v[6:7], v1
; %bb.111:
	s_wait_alu 0xfffe
	s_or_b32 exec_lo, exec_lo, s2
	v_sub_co_u32 v1, vcc_lo, v40, 1
	v_mov_b32_e32 v5, 0
	s_delay_alu instid0(VALU_DEP_2) | instskip(SKIP_1) | instid1(VALU_DEP_1)
	v_cmp_gt_i32_e64 s2, 0, v1
	s_wait_alu 0xf1ff
	v_cndmask_b32_e64 v1, v1, v40, s2
	s_delay_alu instid0(VALU_DEP_1)
	v_lshlrev_b32_e32 v2, 2, v1
	s_wait_dscnt 0x0
	v_add_co_u32 v1, s2, v6, v15
	s_wait_alu 0xf1ff
	v_add_co_ci_u32_e64 v3, null, v7, v16, s2
	v_cmp_eq_u32_e64 s2, 0, v0
	ds_bpermute_b32 v1, v2, v1
	ds_bpermute_b32 v8, v2, v3
	ds_load_b64 v[2:3], v5 offset:88
	s_and_saveexec_b32 s3, s2
	s_cbranch_execz .LBB1954_113
; %bb.112:
	s_wait_kmcnt 0x0
	s_add_nc_u64 s[4:5], s[6:7], 0x200
	v_mov_b32_e32 v4, 2
	s_wait_alu 0xfffe
	v_dual_mov_b32 v16, s5 :: v_dual_mov_b32 v15, s4
	s_wait_dscnt 0x0
	;;#ASMSTART
	global_store_b128 v[15:16], v[2:5] off scope:SCOPE_DEV	
s_wait_storecnt 0x0
	;;#ASMEND
.LBB1954_113:
	s_wait_alu 0xfffe
	s_or_b32 exec_lo, exec_lo, s3
	s_wait_dscnt 0x1
	s_wait_alu 0xfffd
	v_dual_cndmask_b32 v1, v1, v6 :: v_dual_cndmask_b32 v4, v8, v7
	s_wait_loadcnt_dscnt 0x0
	s_barrier_signal -1
	s_barrier_wait -1
	s_delay_alu instid0(VALU_DEP_1)
	v_cndmask_b32_e64 v27, v1, 0, s2
	v_cndmask_b32_e64 v28, v4, 0, s2
	v_mov_b32_e32 v4, 0
	v_mov_b32_e32 v5, 0
	global_inv scope:SCOPE_SE
	v_add_co_u32 v25, vcc_lo, v27, v37
	s_wait_alu 0xfffd
	v_add_co_ci_u32_e64 v26, null, 0, v28, vcc_lo
	s_delay_alu instid0(VALU_DEP_2) | instskip(SKIP_1) | instid1(VALU_DEP_2)
	v_add_co_u32 v23, vcc_lo, v25, v36
	s_wait_alu 0xfffd
	v_add_co_ci_u32_e64 v24, null, 0, v26, vcc_lo
	s_delay_alu instid0(VALU_DEP_2) | instskip(SKIP_1) | instid1(VALU_DEP_2)
	;; [unrolled: 4-line block ×5, first 2 shown]
	v_add_co_u32 v17, vcc_lo, v6, v35
	s_wait_alu 0xfffd
	v_add_co_ci_u32_e64 v18, null, 0, v7, vcc_lo
.LBB1954_114:
	s_load_b64 s[2:3], s[0:1], 0x30
	v_and_b32_e32 v33, 1, v34
	s_wait_dscnt 0x0
	v_cmp_gt_u64_e32 vcc_lo, 0x181, v[2:3]
	v_lshrrev_b32_e32 v8, 8, v34
	v_lshrrev_b32_e32 v1, 16, v34
	s_mov_b32 s1, -1
	v_cmp_eq_u32_e64 s0, 1, v33
	s_cbranch_vccnz .LBB1954_118
; %bb.115:
	s_wait_alu 0xfffe
	s_and_b32 vcc_lo, exec_lo, s1
	s_wait_alu 0xfffe
	s_cbranch_vccnz .LBB1954_133
.LBB1954_116:
	v_cmp_eq_u32_e32 vcc_lo, 0, v0
	s_and_b32 s0, vcc_lo, s11
	s_wait_alu 0xfffe
	s_and_saveexec_b32 s1, s0
	s_cbranch_execnz .LBB1954_150
.LBB1954_117:
	s_endpgm
.LBB1954_118:
	v_add_co_u32 v15, vcc_lo, v4, v2
	s_wait_alu 0xfffd
	v_add_co_ci_u32_e64 v16, null, v5, v3, vcc_lo
	s_wait_kmcnt 0x0
	s_lshl_b64 s[4:5], s[14:15], 1
	s_wait_alu 0xfffe
	s_add_nc_u64 s[4:5], s[2:3], s[4:5]
	v_cmp_lt_u64_e32 vcc_lo, v[27:28], v[15:16]
	s_or_b32 s1, s16, vcc_lo
	s_wait_alu 0xfffe
	s_and_b32 s1, s1, s0
	s_wait_alu 0xfffe
	s_and_saveexec_b32 s0, s1
	s_cbranch_execz .LBB1954_120
; %bb.119:
	v_lshlrev_b64_e32 v[34:35], 1, v[27:28]
	s_delay_alu instid0(VALU_DEP_1) | instskip(SKIP_1) | instid1(VALU_DEP_2)
	v_add_co_u32 v34, vcc_lo, s4, v34
	s_wait_alu 0xfffd
	v_add_co_ci_u32_e64 v35, null, s5, v35, vcc_lo
	global_store_b16 v[34:35], v13, off
.LBB1954_120:
	s_wait_alu 0xfffe
	s_or_b32 exec_lo, exec_lo, s0
	v_and_b32_e32 v28, 1, v8
	v_cmp_lt_u64_e32 vcc_lo, v[25:26], v[15:16]
	s_delay_alu instid0(VALU_DEP_2)
	v_cmp_eq_u32_e64 s0, 1, v28
	s_or_b32 s1, s16, vcc_lo
	s_wait_alu 0xfffe
	s_and_b32 s1, s1, s0
	s_wait_alu 0xfffe
	s_and_saveexec_b32 s0, s1
	s_cbranch_execz .LBB1954_122
; %bb.121:
	v_lshlrev_b64_e32 v[34:35], 1, v[25:26]
	s_delay_alu instid0(VALU_DEP_1) | instskip(SKIP_1) | instid1(VALU_DEP_2)
	v_add_co_u32 v34, vcc_lo, s4, v34
	s_wait_alu 0xfffd
	v_add_co_ci_u32_e64 v35, null, s5, v35, vcc_lo
	global_store_b16 v[34:35], v14, off
.LBB1954_122:
	s_wait_alu 0xfffe
	s_or_b32 exec_lo, exec_lo, s0
	v_and_b32_e32 v26, 1, v1
	v_cmp_lt_u64_e32 vcc_lo, v[23:24], v[15:16]
	s_delay_alu instid0(VALU_DEP_2)
	v_cmp_eq_u32_e64 s0, 1, v26
	;; [unrolled: 20-line block ×5, first 2 shown]
	s_or_b32 s1, s16, vcc_lo
	s_wait_alu 0xfffe
	s_and_b32 s1, s1, s0
	s_wait_alu 0xfffe
	s_and_saveexec_b32 s0, s1
	s_cbranch_execz .LBB1954_130
; %bb.129:
	v_lshlrev_b64_e32 v[34:35], 1, v[6:7]
	s_delay_alu instid0(VALU_DEP_1) | instskip(SKIP_1) | instid1(VALU_DEP_2)
	v_add_co_u32 v34, vcc_lo, s4, v34
	s_wait_alu 0xfffd
	v_add_co_ci_u32_e64 v35, null, s5, v35, vcc_lo
	global_store_b16 v[34:35], v10, off
.LBB1954_130:
	s_wait_alu 0xfffe
	s_or_b32 exec_lo, exec_lo, s0
	v_cmp_lt_u64_e32 vcc_lo, v[17:18], v[15:16]
	s_or_b32 s0, s16, vcc_lo
	s_wait_alu 0xfffe
	s_and_b32 s1, s0, s8
	s_wait_alu 0xfffe
	s_and_saveexec_b32 s0, s1
	s_cbranch_execz .LBB1954_132
; %bb.131:
	v_lshlrev_b64_e32 v[15:16], 1, v[17:18]
	s_delay_alu instid0(VALU_DEP_1) | instskip(SKIP_1) | instid1(VALU_DEP_2)
	v_add_co_u32 v15, vcc_lo, s4, v15
	s_wait_alu 0xfffd
	v_add_co_ci_u32_e64 v16, null, s5, v16, vcc_lo
	global_store_b16 v[15:16], v29, off
.LBB1954_132:
	s_wait_alu 0xfffe
	s_or_b32 exec_lo, exec_lo, s0
	s_branch .LBB1954_116
.LBB1954_133:
	s_mov_b32 s0, exec_lo
	v_cmpx_eq_u32_e32 1, v33
; %bb.134:
	v_sub_nc_u32_e32 v7, v27, v4
	s_delay_alu instid0(VALU_DEP_1)
	v_lshlrev_b32_e32 v7, 2, v7
	ds_store_b32 v7, v13
; %bb.135:
	s_wait_alu 0xfffe
	s_or_b32 exec_lo, exec_lo, s0
	v_and_b32_e32 v7, 1, v8
	s_mov_b32 s0, exec_lo
	s_delay_alu instid0(VALU_DEP_1)
	v_cmpx_eq_u32_e32 1, v7
; %bb.136:
	v_sub_nc_u32_e32 v7, v25, v4
	s_delay_alu instid0(VALU_DEP_1)
	v_lshlrev_b32_e32 v7, 2, v7
	ds_store_b32 v7, v14
; %bb.137:
	s_wait_alu 0xfffe
	s_or_b32 exec_lo, exec_lo, s0
	v_and_b32_e32 v1, 1, v1
	s_mov_b32 s0, exec_lo
	s_delay_alu instid0(VALU_DEP_1)
	;; [unrolled: 12-line block ×5, first 2 shown]
	v_cmpx_eq_u32_e32 1, v1
; %bb.144:
	v_sub_nc_u32_e32 v1, v6, v4
	s_delay_alu instid0(VALU_DEP_1)
	v_lshlrev_b32_e32 v1, 2, v1
	ds_store_b32 v1, v10
; %bb.145:
	s_wait_alu 0xfffe
	s_or_b32 exec_lo, exec_lo, s0
	s_and_saveexec_b32 s0, s8
; %bb.146:
	v_sub_nc_u32_e32 v1, v17, v4
	s_delay_alu instid0(VALU_DEP_1)
	v_lshlrev_b32_e32 v1, 2, v1
	ds_store_b32 v1, v29
; %bb.147:
	s_wait_alu 0xfffe
	s_or_b32 exec_lo, exec_lo, s0
	v_dual_mov_b32 v7, 0 :: v_dual_add_nc_u32 v6, 0x180, v0
	v_lshlrev_b64_e32 v[8:9], 1, v[4:5]
	s_wait_kmcnt 0x0
	s_lshl_b64 s[0:1], s[14:15], 1
	s_wait_storecnt 0x0
	s_wait_loadcnt_dscnt 0x0
	v_mov_b32_e32 v1, v7
	s_wait_alu 0xfffe
	s_add_nc_u64 s[0:1], s[2:3], s[0:1]
	s_barrier_signal -1
	s_wait_alu 0xfffe
	v_add_co_u32 v10, vcc_lo, s0, v8
	s_wait_alu 0xfffd
	v_add_co_ci_u32_e64 v11, null, s1, v9, vcc_lo
	v_dual_mov_b32 v9, v1 :: v_dual_mov_b32 v8, v0
	s_mov_b32 s1, 0
	s_barrier_wait -1
	global_inv scope:SCOPE_SE
.LBB1954_148:                           ; =>This Inner Loop Header: Depth=1
	v_lshlrev_b32_e32 v1, 2, v8
	v_lshlrev_b64_e32 v[12:13], 1, v[8:9]
	v_dual_mov_b32 v9, v7 :: v_dual_mov_b32 v8, v6
	v_cmp_le_u64_e32 vcc_lo, v[2:3], v[6:7]
	ds_load_u16 v1, v1
	v_add_nc_u32_e32 v6, 0x180, v6
	v_add_co_u32 v12, s0, v10, v12
	s_wait_alu 0xf1ff
	v_add_co_ci_u32_e64 v13, null, v11, v13, s0
	s_wait_alu 0xfffe
	s_or_b32 s1, vcc_lo, s1
	s_wait_dscnt 0x0
	global_store_b16 v[12:13], v1, off
	s_wait_alu 0xfffe
	s_and_not1_b32 exec_lo, exec_lo, s1
	s_cbranch_execnz .LBB1954_148
; %bb.149:
	s_or_b32 exec_lo, exec_lo, s1
	v_cmp_eq_u32_e32 vcc_lo, 0, v0
	s_and_b32 s0, vcc_lo, s11
	s_wait_alu 0xfffe
	s_and_saveexec_b32 s1, s0
	s_cbranch_execz .LBB1954_117
.LBB1954_150:
	v_add_co_u32 v0, vcc_lo, v4, v2
	s_wait_alu 0xfffd
	v_add_co_ci_u32_e64 v1, null, v5, v3, vcc_lo
	v_mov_b32_e32 v2, 0
	s_wait_kmcnt 0x0
	v_add_co_u32 v0, vcc_lo, v0, s14
	s_wait_alu 0xfffd
	v_add_co_ci_u32_e64 v1, null, s15, v1, vcc_lo
	global_store_b64 v2, v[0:1], s[12:13]
	s_endpgm
	.section	.rodata,"a",@progbits
	.p2align	6, 0x0
	.amdhsa_kernel _ZN7rocprim17ROCPRIM_400000_NS6detail17trampoline_kernelINS0_14default_configENS1_25partition_config_selectorILNS1_17partition_subalgoE6EN6thrust23THRUST_200600_302600_NS5tupleIttNS7_9null_typeES9_S9_S9_S9_S9_S9_S9_EENS0_10empty_typeEbEEZZNS1_14partition_implILS5_6ELb0ES3_mNS7_12zip_iteratorINS8_INS7_6detail15normal_iteratorINS7_10device_ptrItEEEESJ_S9_S9_S9_S9_S9_S9_S9_S9_EEEEPSB_SM_NS0_5tupleIJNSE_INS8_ISJ_NS7_16discard_iteratorINS7_11use_defaultEEES9_S9_S9_S9_S9_S9_S9_S9_EEEESB_EEENSN_IJSM_SM_EEESB_PlJNSF_9not_fun_tINSF_14equal_to_valueISA_EEEEEEE10hipError_tPvRmT3_T4_T5_T6_T7_T9_mT8_P12ihipStream_tbDpT10_ENKUlT_T0_E_clISt17integral_constantIbLb0EES1J_EEDaS1E_S1F_EUlS1E_E_NS1_11comp_targetILNS1_3genE10ELNS1_11target_archE1200ELNS1_3gpuE4ELNS1_3repE0EEENS1_30default_config_static_selectorELNS0_4arch9wavefront6targetE0EEEvT1_
		.amdhsa_group_segment_fixed_size 10768
		.amdhsa_private_segment_fixed_size 0
		.amdhsa_kernarg_size 144
		.amdhsa_user_sgpr_count 2
		.amdhsa_user_sgpr_dispatch_ptr 0
		.amdhsa_user_sgpr_queue_ptr 0
		.amdhsa_user_sgpr_kernarg_segment_ptr 1
		.amdhsa_user_sgpr_dispatch_id 0
		.amdhsa_user_sgpr_private_segment_size 0
		.amdhsa_wavefront_size32 1
		.amdhsa_uses_dynamic_stack 0
		.amdhsa_enable_private_segment 0
		.amdhsa_system_sgpr_workgroup_id_x 1
		.amdhsa_system_sgpr_workgroup_id_y 0
		.amdhsa_system_sgpr_workgroup_id_z 0
		.amdhsa_system_sgpr_workgroup_info 0
		.amdhsa_system_vgpr_workitem_id 0
		.amdhsa_next_free_vgpr 49
		.amdhsa_next_free_sgpr 22
		.amdhsa_reserve_vcc 1
		.amdhsa_float_round_mode_32 0
		.amdhsa_float_round_mode_16_64 0
		.amdhsa_float_denorm_mode_32 3
		.amdhsa_float_denorm_mode_16_64 3
		.amdhsa_fp16_overflow 0
		.amdhsa_workgroup_processor_mode 1
		.amdhsa_memory_ordered 1
		.amdhsa_forward_progress 1
		.amdhsa_inst_pref_size 61
		.amdhsa_round_robin_scheduling 0
		.amdhsa_exception_fp_ieee_invalid_op 0
		.amdhsa_exception_fp_denorm_src 0
		.amdhsa_exception_fp_ieee_div_zero 0
		.amdhsa_exception_fp_ieee_overflow 0
		.amdhsa_exception_fp_ieee_underflow 0
		.amdhsa_exception_fp_ieee_inexact 0
		.amdhsa_exception_int_div_zero 0
	.end_amdhsa_kernel
	.section	.text._ZN7rocprim17ROCPRIM_400000_NS6detail17trampoline_kernelINS0_14default_configENS1_25partition_config_selectorILNS1_17partition_subalgoE6EN6thrust23THRUST_200600_302600_NS5tupleIttNS7_9null_typeES9_S9_S9_S9_S9_S9_S9_EENS0_10empty_typeEbEEZZNS1_14partition_implILS5_6ELb0ES3_mNS7_12zip_iteratorINS8_INS7_6detail15normal_iteratorINS7_10device_ptrItEEEESJ_S9_S9_S9_S9_S9_S9_S9_S9_EEEEPSB_SM_NS0_5tupleIJNSE_INS8_ISJ_NS7_16discard_iteratorINS7_11use_defaultEEES9_S9_S9_S9_S9_S9_S9_S9_EEEESB_EEENSN_IJSM_SM_EEESB_PlJNSF_9not_fun_tINSF_14equal_to_valueISA_EEEEEEE10hipError_tPvRmT3_T4_T5_T6_T7_T9_mT8_P12ihipStream_tbDpT10_ENKUlT_T0_E_clISt17integral_constantIbLb0EES1J_EEDaS1E_S1F_EUlS1E_E_NS1_11comp_targetILNS1_3genE10ELNS1_11target_archE1200ELNS1_3gpuE4ELNS1_3repE0EEENS1_30default_config_static_selectorELNS0_4arch9wavefront6targetE0EEEvT1_,"axG",@progbits,_ZN7rocprim17ROCPRIM_400000_NS6detail17trampoline_kernelINS0_14default_configENS1_25partition_config_selectorILNS1_17partition_subalgoE6EN6thrust23THRUST_200600_302600_NS5tupleIttNS7_9null_typeES9_S9_S9_S9_S9_S9_S9_EENS0_10empty_typeEbEEZZNS1_14partition_implILS5_6ELb0ES3_mNS7_12zip_iteratorINS8_INS7_6detail15normal_iteratorINS7_10device_ptrItEEEESJ_S9_S9_S9_S9_S9_S9_S9_S9_EEEEPSB_SM_NS0_5tupleIJNSE_INS8_ISJ_NS7_16discard_iteratorINS7_11use_defaultEEES9_S9_S9_S9_S9_S9_S9_S9_EEEESB_EEENSN_IJSM_SM_EEESB_PlJNSF_9not_fun_tINSF_14equal_to_valueISA_EEEEEEE10hipError_tPvRmT3_T4_T5_T6_T7_T9_mT8_P12ihipStream_tbDpT10_ENKUlT_T0_E_clISt17integral_constantIbLb0EES1J_EEDaS1E_S1F_EUlS1E_E_NS1_11comp_targetILNS1_3genE10ELNS1_11target_archE1200ELNS1_3gpuE4ELNS1_3repE0EEENS1_30default_config_static_selectorELNS0_4arch9wavefront6targetE0EEEvT1_,comdat
.Lfunc_end1954:
	.size	_ZN7rocprim17ROCPRIM_400000_NS6detail17trampoline_kernelINS0_14default_configENS1_25partition_config_selectorILNS1_17partition_subalgoE6EN6thrust23THRUST_200600_302600_NS5tupleIttNS7_9null_typeES9_S9_S9_S9_S9_S9_S9_EENS0_10empty_typeEbEEZZNS1_14partition_implILS5_6ELb0ES3_mNS7_12zip_iteratorINS8_INS7_6detail15normal_iteratorINS7_10device_ptrItEEEESJ_S9_S9_S9_S9_S9_S9_S9_S9_EEEEPSB_SM_NS0_5tupleIJNSE_INS8_ISJ_NS7_16discard_iteratorINS7_11use_defaultEEES9_S9_S9_S9_S9_S9_S9_S9_EEEESB_EEENSN_IJSM_SM_EEESB_PlJNSF_9not_fun_tINSF_14equal_to_valueISA_EEEEEEE10hipError_tPvRmT3_T4_T5_T6_T7_T9_mT8_P12ihipStream_tbDpT10_ENKUlT_T0_E_clISt17integral_constantIbLb0EES1J_EEDaS1E_S1F_EUlS1E_E_NS1_11comp_targetILNS1_3genE10ELNS1_11target_archE1200ELNS1_3gpuE4ELNS1_3repE0EEENS1_30default_config_static_selectorELNS0_4arch9wavefront6targetE0EEEvT1_, .Lfunc_end1954-_ZN7rocprim17ROCPRIM_400000_NS6detail17trampoline_kernelINS0_14default_configENS1_25partition_config_selectorILNS1_17partition_subalgoE6EN6thrust23THRUST_200600_302600_NS5tupleIttNS7_9null_typeES9_S9_S9_S9_S9_S9_S9_EENS0_10empty_typeEbEEZZNS1_14partition_implILS5_6ELb0ES3_mNS7_12zip_iteratorINS8_INS7_6detail15normal_iteratorINS7_10device_ptrItEEEESJ_S9_S9_S9_S9_S9_S9_S9_S9_EEEEPSB_SM_NS0_5tupleIJNSE_INS8_ISJ_NS7_16discard_iteratorINS7_11use_defaultEEES9_S9_S9_S9_S9_S9_S9_S9_EEEESB_EEENSN_IJSM_SM_EEESB_PlJNSF_9not_fun_tINSF_14equal_to_valueISA_EEEEEEE10hipError_tPvRmT3_T4_T5_T6_T7_T9_mT8_P12ihipStream_tbDpT10_ENKUlT_T0_E_clISt17integral_constantIbLb0EES1J_EEDaS1E_S1F_EUlS1E_E_NS1_11comp_targetILNS1_3genE10ELNS1_11target_archE1200ELNS1_3gpuE4ELNS1_3repE0EEENS1_30default_config_static_selectorELNS0_4arch9wavefront6targetE0EEEvT1_
                                        ; -- End function
	.set _ZN7rocprim17ROCPRIM_400000_NS6detail17trampoline_kernelINS0_14default_configENS1_25partition_config_selectorILNS1_17partition_subalgoE6EN6thrust23THRUST_200600_302600_NS5tupleIttNS7_9null_typeES9_S9_S9_S9_S9_S9_S9_EENS0_10empty_typeEbEEZZNS1_14partition_implILS5_6ELb0ES3_mNS7_12zip_iteratorINS8_INS7_6detail15normal_iteratorINS7_10device_ptrItEEEESJ_S9_S9_S9_S9_S9_S9_S9_S9_EEEEPSB_SM_NS0_5tupleIJNSE_INS8_ISJ_NS7_16discard_iteratorINS7_11use_defaultEEES9_S9_S9_S9_S9_S9_S9_S9_EEEESB_EEENSN_IJSM_SM_EEESB_PlJNSF_9not_fun_tINSF_14equal_to_valueISA_EEEEEEE10hipError_tPvRmT3_T4_T5_T6_T7_T9_mT8_P12ihipStream_tbDpT10_ENKUlT_T0_E_clISt17integral_constantIbLb0EES1J_EEDaS1E_S1F_EUlS1E_E_NS1_11comp_targetILNS1_3genE10ELNS1_11target_archE1200ELNS1_3gpuE4ELNS1_3repE0EEENS1_30default_config_static_selectorELNS0_4arch9wavefront6targetE0EEEvT1_.num_vgpr, 49
	.set _ZN7rocprim17ROCPRIM_400000_NS6detail17trampoline_kernelINS0_14default_configENS1_25partition_config_selectorILNS1_17partition_subalgoE6EN6thrust23THRUST_200600_302600_NS5tupleIttNS7_9null_typeES9_S9_S9_S9_S9_S9_S9_EENS0_10empty_typeEbEEZZNS1_14partition_implILS5_6ELb0ES3_mNS7_12zip_iteratorINS8_INS7_6detail15normal_iteratorINS7_10device_ptrItEEEESJ_S9_S9_S9_S9_S9_S9_S9_S9_EEEEPSB_SM_NS0_5tupleIJNSE_INS8_ISJ_NS7_16discard_iteratorINS7_11use_defaultEEES9_S9_S9_S9_S9_S9_S9_S9_EEEESB_EEENSN_IJSM_SM_EEESB_PlJNSF_9not_fun_tINSF_14equal_to_valueISA_EEEEEEE10hipError_tPvRmT3_T4_T5_T6_T7_T9_mT8_P12ihipStream_tbDpT10_ENKUlT_T0_E_clISt17integral_constantIbLb0EES1J_EEDaS1E_S1F_EUlS1E_E_NS1_11comp_targetILNS1_3genE10ELNS1_11target_archE1200ELNS1_3gpuE4ELNS1_3repE0EEENS1_30default_config_static_selectorELNS0_4arch9wavefront6targetE0EEEvT1_.num_agpr, 0
	.set _ZN7rocprim17ROCPRIM_400000_NS6detail17trampoline_kernelINS0_14default_configENS1_25partition_config_selectorILNS1_17partition_subalgoE6EN6thrust23THRUST_200600_302600_NS5tupleIttNS7_9null_typeES9_S9_S9_S9_S9_S9_S9_EENS0_10empty_typeEbEEZZNS1_14partition_implILS5_6ELb0ES3_mNS7_12zip_iteratorINS8_INS7_6detail15normal_iteratorINS7_10device_ptrItEEEESJ_S9_S9_S9_S9_S9_S9_S9_S9_EEEEPSB_SM_NS0_5tupleIJNSE_INS8_ISJ_NS7_16discard_iteratorINS7_11use_defaultEEES9_S9_S9_S9_S9_S9_S9_S9_EEEESB_EEENSN_IJSM_SM_EEESB_PlJNSF_9not_fun_tINSF_14equal_to_valueISA_EEEEEEE10hipError_tPvRmT3_T4_T5_T6_T7_T9_mT8_P12ihipStream_tbDpT10_ENKUlT_T0_E_clISt17integral_constantIbLb0EES1J_EEDaS1E_S1F_EUlS1E_E_NS1_11comp_targetILNS1_3genE10ELNS1_11target_archE1200ELNS1_3gpuE4ELNS1_3repE0EEENS1_30default_config_static_selectorELNS0_4arch9wavefront6targetE0EEEvT1_.numbered_sgpr, 22
	.set _ZN7rocprim17ROCPRIM_400000_NS6detail17trampoline_kernelINS0_14default_configENS1_25partition_config_selectorILNS1_17partition_subalgoE6EN6thrust23THRUST_200600_302600_NS5tupleIttNS7_9null_typeES9_S9_S9_S9_S9_S9_S9_EENS0_10empty_typeEbEEZZNS1_14partition_implILS5_6ELb0ES3_mNS7_12zip_iteratorINS8_INS7_6detail15normal_iteratorINS7_10device_ptrItEEEESJ_S9_S9_S9_S9_S9_S9_S9_S9_EEEEPSB_SM_NS0_5tupleIJNSE_INS8_ISJ_NS7_16discard_iteratorINS7_11use_defaultEEES9_S9_S9_S9_S9_S9_S9_S9_EEEESB_EEENSN_IJSM_SM_EEESB_PlJNSF_9not_fun_tINSF_14equal_to_valueISA_EEEEEEE10hipError_tPvRmT3_T4_T5_T6_T7_T9_mT8_P12ihipStream_tbDpT10_ENKUlT_T0_E_clISt17integral_constantIbLb0EES1J_EEDaS1E_S1F_EUlS1E_E_NS1_11comp_targetILNS1_3genE10ELNS1_11target_archE1200ELNS1_3gpuE4ELNS1_3repE0EEENS1_30default_config_static_selectorELNS0_4arch9wavefront6targetE0EEEvT1_.num_named_barrier, 0
	.set _ZN7rocprim17ROCPRIM_400000_NS6detail17trampoline_kernelINS0_14default_configENS1_25partition_config_selectorILNS1_17partition_subalgoE6EN6thrust23THRUST_200600_302600_NS5tupleIttNS7_9null_typeES9_S9_S9_S9_S9_S9_S9_EENS0_10empty_typeEbEEZZNS1_14partition_implILS5_6ELb0ES3_mNS7_12zip_iteratorINS8_INS7_6detail15normal_iteratorINS7_10device_ptrItEEEESJ_S9_S9_S9_S9_S9_S9_S9_S9_EEEEPSB_SM_NS0_5tupleIJNSE_INS8_ISJ_NS7_16discard_iteratorINS7_11use_defaultEEES9_S9_S9_S9_S9_S9_S9_S9_EEEESB_EEENSN_IJSM_SM_EEESB_PlJNSF_9not_fun_tINSF_14equal_to_valueISA_EEEEEEE10hipError_tPvRmT3_T4_T5_T6_T7_T9_mT8_P12ihipStream_tbDpT10_ENKUlT_T0_E_clISt17integral_constantIbLb0EES1J_EEDaS1E_S1F_EUlS1E_E_NS1_11comp_targetILNS1_3genE10ELNS1_11target_archE1200ELNS1_3gpuE4ELNS1_3repE0EEENS1_30default_config_static_selectorELNS0_4arch9wavefront6targetE0EEEvT1_.private_seg_size, 0
	.set _ZN7rocprim17ROCPRIM_400000_NS6detail17trampoline_kernelINS0_14default_configENS1_25partition_config_selectorILNS1_17partition_subalgoE6EN6thrust23THRUST_200600_302600_NS5tupleIttNS7_9null_typeES9_S9_S9_S9_S9_S9_S9_EENS0_10empty_typeEbEEZZNS1_14partition_implILS5_6ELb0ES3_mNS7_12zip_iteratorINS8_INS7_6detail15normal_iteratorINS7_10device_ptrItEEEESJ_S9_S9_S9_S9_S9_S9_S9_S9_EEEEPSB_SM_NS0_5tupleIJNSE_INS8_ISJ_NS7_16discard_iteratorINS7_11use_defaultEEES9_S9_S9_S9_S9_S9_S9_S9_EEEESB_EEENSN_IJSM_SM_EEESB_PlJNSF_9not_fun_tINSF_14equal_to_valueISA_EEEEEEE10hipError_tPvRmT3_T4_T5_T6_T7_T9_mT8_P12ihipStream_tbDpT10_ENKUlT_T0_E_clISt17integral_constantIbLb0EES1J_EEDaS1E_S1F_EUlS1E_E_NS1_11comp_targetILNS1_3genE10ELNS1_11target_archE1200ELNS1_3gpuE4ELNS1_3repE0EEENS1_30default_config_static_selectorELNS0_4arch9wavefront6targetE0EEEvT1_.uses_vcc, 1
	.set _ZN7rocprim17ROCPRIM_400000_NS6detail17trampoline_kernelINS0_14default_configENS1_25partition_config_selectorILNS1_17partition_subalgoE6EN6thrust23THRUST_200600_302600_NS5tupleIttNS7_9null_typeES9_S9_S9_S9_S9_S9_S9_EENS0_10empty_typeEbEEZZNS1_14partition_implILS5_6ELb0ES3_mNS7_12zip_iteratorINS8_INS7_6detail15normal_iteratorINS7_10device_ptrItEEEESJ_S9_S9_S9_S9_S9_S9_S9_S9_EEEEPSB_SM_NS0_5tupleIJNSE_INS8_ISJ_NS7_16discard_iteratorINS7_11use_defaultEEES9_S9_S9_S9_S9_S9_S9_S9_EEEESB_EEENSN_IJSM_SM_EEESB_PlJNSF_9not_fun_tINSF_14equal_to_valueISA_EEEEEEE10hipError_tPvRmT3_T4_T5_T6_T7_T9_mT8_P12ihipStream_tbDpT10_ENKUlT_T0_E_clISt17integral_constantIbLb0EES1J_EEDaS1E_S1F_EUlS1E_E_NS1_11comp_targetILNS1_3genE10ELNS1_11target_archE1200ELNS1_3gpuE4ELNS1_3repE0EEENS1_30default_config_static_selectorELNS0_4arch9wavefront6targetE0EEEvT1_.uses_flat_scratch, 0
	.set _ZN7rocprim17ROCPRIM_400000_NS6detail17trampoline_kernelINS0_14default_configENS1_25partition_config_selectorILNS1_17partition_subalgoE6EN6thrust23THRUST_200600_302600_NS5tupleIttNS7_9null_typeES9_S9_S9_S9_S9_S9_S9_EENS0_10empty_typeEbEEZZNS1_14partition_implILS5_6ELb0ES3_mNS7_12zip_iteratorINS8_INS7_6detail15normal_iteratorINS7_10device_ptrItEEEESJ_S9_S9_S9_S9_S9_S9_S9_S9_EEEEPSB_SM_NS0_5tupleIJNSE_INS8_ISJ_NS7_16discard_iteratorINS7_11use_defaultEEES9_S9_S9_S9_S9_S9_S9_S9_EEEESB_EEENSN_IJSM_SM_EEESB_PlJNSF_9not_fun_tINSF_14equal_to_valueISA_EEEEEEE10hipError_tPvRmT3_T4_T5_T6_T7_T9_mT8_P12ihipStream_tbDpT10_ENKUlT_T0_E_clISt17integral_constantIbLb0EES1J_EEDaS1E_S1F_EUlS1E_E_NS1_11comp_targetILNS1_3genE10ELNS1_11target_archE1200ELNS1_3gpuE4ELNS1_3repE0EEENS1_30default_config_static_selectorELNS0_4arch9wavefront6targetE0EEEvT1_.has_dyn_sized_stack, 0
	.set _ZN7rocprim17ROCPRIM_400000_NS6detail17trampoline_kernelINS0_14default_configENS1_25partition_config_selectorILNS1_17partition_subalgoE6EN6thrust23THRUST_200600_302600_NS5tupleIttNS7_9null_typeES9_S9_S9_S9_S9_S9_S9_EENS0_10empty_typeEbEEZZNS1_14partition_implILS5_6ELb0ES3_mNS7_12zip_iteratorINS8_INS7_6detail15normal_iteratorINS7_10device_ptrItEEEESJ_S9_S9_S9_S9_S9_S9_S9_S9_EEEEPSB_SM_NS0_5tupleIJNSE_INS8_ISJ_NS7_16discard_iteratorINS7_11use_defaultEEES9_S9_S9_S9_S9_S9_S9_S9_EEEESB_EEENSN_IJSM_SM_EEESB_PlJNSF_9not_fun_tINSF_14equal_to_valueISA_EEEEEEE10hipError_tPvRmT3_T4_T5_T6_T7_T9_mT8_P12ihipStream_tbDpT10_ENKUlT_T0_E_clISt17integral_constantIbLb0EES1J_EEDaS1E_S1F_EUlS1E_E_NS1_11comp_targetILNS1_3genE10ELNS1_11target_archE1200ELNS1_3gpuE4ELNS1_3repE0EEENS1_30default_config_static_selectorELNS0_4arch9wavefront6targetE0EEEvT1_.has_recursion, 0
	.set _ZN7rocprim17ROCPRIM_400000_NS6detail17trampoline_kernelINS0_14default_configENS1_25partition_config_selectorILNS1_17partition_subalgoE6EN6thrust23THRUST_200600_302600_NS5tupleIttNS7_9null_typeES9_S9_S9_S9_S9_S9_S9_EENS0_10empty_typeEbEEZZNS1_14partition_implILS5_6ELb0ES3_mNS7_12zip_iteratorINS8_INS7_6detail15normal_iteratorINS7_10device_ptrItEEEESJ_S9_S9_S9_S9_S9_S9_S9_S9_EEEEPSB_SM_NS0_5tupleIJNSE_INS8_ISJ_NS7_16discard_iteratorINS7_11use_defaultEEES9_S9_S9_S9_S9_S9_S9_S9_EEEESB_EEENSN_IJSM_SM_EEESB_PlJNSF_9not_fun_tINSF_14equal_to_valueISA_EEEEEEE10hipError_tPvRmT3_T4_T5_T6_T7_T9_mT8_P12ihipStream_tbDpT10_ENKUlT_T0_E_clISt17integral_constantIbLb0EES1J_EEDaS1E_S1F_EUlS1E_E_NS1_11comp_targetILNS1_3genE10ELNS1_11target_archE1200ELNS1_3gpuE4ELNS1_3repE0EEENS1_30default_config_static_selectorELNS0_4arch9wavefront6targetE0EEEvT1_.has_indirect_call, 0
	.section	.AMDGPU.csdata,"",@progbits
; Kernel info:
; codeLenInByte = 7796
; TotalNumSgprs: 24
; NumVgprs: 49
; ScratchSize: 0
; MemoryBound: 0
; FloatMode: 240
; IeeeMode: 1
; LDSByteSize: 10768 bytes/workgroup (compile time only)
; SGPRBlocks: 0
; VGPRBlocks: 6
; NumSGPRsForWavesPerEU: 24
; NumVGPRsForWavesPerEU: 49
; Occupancy: 15
; WaveLimiterHint : 1
; COMPUTE_PGM_RSRC2:SCRATCH_EN: 0
; COMPUTE_PGM_RSRC2:USER_SGPR: 2
; COMPUTE_PGM_RSRC2:TRAP_HANDLER: 0
; COMPUTE_PGM_RSRC2:TGID_X_EN: 1
; COMPUTE_PGM_RSRC2:TGID_Y_EN: 0
; COMPUTE_PGM_RSRC2:TGID_Z_EN: 0
; COMPUTE_PGM_RSRC2:TIDIG_COMP_CNT: 0
	.section	.text._ZN7rocprim17ROCPRIM_400000_NS6detail17trampoline_kernelINS0_14default_configENS1_25partition_config_selectorILNS1_17partition_subalgoE6EN6thrust23THRUST_200600_302600_NS5tupleIttNS7_9null_typeES9_S9_S9_S9_S9_S9_S9_EENS0_10empty_typeEbEEZZNS1_14partition_implILS5_6ELb0ES3_mNS7_12zip_iteratorINS8_INS7_6detail15normal_iteratorINS7_10device_ptrItEEEESJ_S9_S9_S9_S9_S9_S9_S9_S9_EEEEPSB_SM_NS0_5tupleIJNSE_INS8_ISJ_NS7_16discard_iteratorINS7_11use_defaultEEES9_S9_S9_S9_S9_S9_S9_S9_EEEESB_EEENSN_IJSM_SM_EEESB_PlJNSF_9not_fun_tINSF_14equal_to_valueISA_EEEEEEE10hipError_tPvRmT3_T4_T5_T6_T7_T9_mT8_P12ihipStream_tbDpT10_ENKUlT_T0_E_clISt17integral_constantIbLb0EES1J_EEDaS1E_S1F_EUlS1E_E_NS1_11comp_targetILNS1_3genE9ELNS1_11target_archE1100ELNS1_3gpuE3ELNS1_3repE0EEENS1_30default_config_static_selectorELNS0_4arch9wavefront6targetE0EEEvT1_,"axG",@progbits,_ZN7rocprim17ROCPRIM_400000_NS6detail17trampoline_kernelINS0_14default_configENS1_25partition_config_selectorILNS1_17partition_subalgoE6EN6thrust23THRUST_200600_302600_NS5tupleIttNS7_9null_typeES9_S9_S9_S9_S9_S9_S9_EENS0_10empty_typeEbEEZZNS1_14partition_implILS5_6ELb0ES3_mNS7_12zip_iteratorINS8_INS7_6detail15normal_iteratorINS7_10device_ptrItEEEESJ_S9_S9_S9_S9_S9_S9_S9_S9_EEEEPSB_SM_NS0_5tupleIJNSE_INS8_ISJ_NS7_16discard_iteratorINS7_11use_defaultEEES9_S9_S9_S9_S9_S9_S9_S9_EEEESB_EEENSN_IJSM_SM_EEESB_PlJNSF_9not_fun_tINSF_14equal_to_valueISA_EEEEEEE10hipError_tPvRmT3_T4_T5_T6_T7_T9_mT8_P12ihipStream_tbDpT10_ENKUlT_T0_E_clISt17integral_constantIbLb0EES1J_EEDaS1E_S1F_EUlS1E_E_NS1_11comp_targetILNS1_3genE9ELNS1_11target_archE1100ELNS1_3gpuE3ELNS1_3repE0EEENS1_30default_config_static_selectorELNS0_4arch9wavefront6targetE0EEEvT1_,comdat
	.protected	_ZN7rocprim17ROCPRIM_400000_NS6detail17trampoline_kernelINS0_14default_configENS1_25partition_config_selectorILNS1_17partition_subalgoE6EN6thrust23THRUST_200600_302600_NS5tupleIttNS7_9null_typeES9_S9_S9_S9_S9_S9_S9_EENS0_10empty_typeEbEEZZNS1_14partition_implILS5_6ELb0ES3_mNS7_12zip_iteratorINS8_INS7_6detail15normal_iteratorINS7_10device_ptrItEEEESJ_S9_S9_S9_S9_S9_S9_S9_S9_EEEEPSB_SM_NS0_5tupleIJNSE_INS8_ISJ_NS7_16discard_iteratorINS7_11use_defaultEEES9_S9_S9_S9_S9_S9_S9_S9_EEEESB_EEENSN_IJSM_SM_EEESB_PlJNSF_9not_fun_tINSF_14equal_to_valueISA_EEEEEEE10hipError_tPvRmT3_T4_T5_T6_T7_T9_mT8_P12ihipStream_tbDpT10_ENKUlT_T0_E_clISt17integral_constantIbLb0EES1J_EEDaS1E_S1F_EUlS1E_E_NS1_11comp_targetILNS1_3genE9ELNS1_11target_archE1100ELNS1_3gpuE3ELNS1_3repE0EEENS1_30default_config_static_selectorELNS0_4arch9wavefront6targetE0EEEvT1_ ; -- Begin function _ZN7rocprim17ROCPRIM_400000_NS6detail17trampoline_kernelINS0_14default_configENS1_25partition_config_selectorILNS1_17partition_subalgoE6EN6thrust23THRUST_200600_302600_NS5tupleIttNS7_9null_typeES9_S9_S9_S9_S9_S9_S9_EENS0_10empty_typeEbEEZZNS1_14partition_implILS5_6ELb0ES3_mNS7_12zip_iteratorINS8_INS7_6detail15normal_iteratorINS7_10device_ptrItEEEESJ_S9_S9_S9_S9_S9_S9_S9_S9_EEEEPSB_SM_NS0_5tupleIJNSE_INS8_ISJ_NS7_16discard_iteratorINS7_11use_defaultEEES9_S9_S9_S9_S9_S9_S9_S9_EEEESB_EEENSN_IJSM_SM_EEESB_PlJNSF_9not_fun_tINSF_14equal_to_valueISA_EEEEEEE10hipError_tPvRmT3_T4_T5_T6_T7_T9_mT8_P12ihipStream_tbDpT10_ENKUlT_T0_E_clISt17integral_constantIbLb0EES1J_EEDaS1E_S1F_EUlS1E_E_NS1_11comp_targetILNS1_3genE9ELNS1_11target_archE1100ELNS1_3gpuE3ELNS1_3repE0EEENS1_30default_config_static_selectorELNS0_4arch9wavefront6targetE0EEEvT1_
	.globl	_ZN7rocprim17ROCPRIM_400000_NS6detail17trampoline_kernelINS0_14default_configENS1_25partition_config_selectorILNS1_17partition_subalgoE6EN6thrust23THRUST_200600_302600_NS5tupleIttNS7_9null_typeES9_S9_S9_S9_S9_S9_S9_EENS0_10empty_typeEbEEZZNS1_14partition_implILS5_6ELb0ES3_mNS7_12zip_iteratorINS8_INS7_6detail15normal_iteratorINS7_10device_ptrItEEEESJ_S9_S9_S9_S9_S9_S9_S9_S9_EEEEPSB_SM_NS0_5tupleIJNSE_INS8_ISJ_NS7_16discard_iteratorINS7_11use_defaultEEES9_S9_S9_S9_S9_S9_S9_S9_EEEESB_EEENSN_IJSM_SM_EEESB_PlJNSF_9not_fun_tINSF_14equal_to_valueISA_EEEEEEE10hipError_tPvRmT3_T4_T5_T6_T7_T9_mT8_P12ihipStream_tbDpT10_ENKUlT_T0_E_clISt17integral_constantIbLb0EES1J_EEDaS1E_S1F_EUlS1E_E_NS1_11comp_targetILNS1_3genE9ELNS1_11target_archE1100ELNS1_3gpuE3ELNS1_3repE0EEENS1_30default_config_static_selectorELNS0_4arch9wavefront6targetE0EEEvT1_
	.p2align	8
	.type	_ZN7rocprim17ROCPRIM_400000_NS6detail17trampoline_kernelINS0_14default_configENS1_25partition_config_selectorILNS1_17partition_subalgoE6EN6thrust23THRUST_200600_302600_NS5tupleIttNS7_9null_typeES9_S9_S9_S9_S9_S9_S9_EENS0_10empty_typeEbEEZZNS1_14partition_implILS5_6ELb0ES3_mNS7_12zip_iteratorINS8_INS7_6detail15normal_iteratorINS7_10device_ptrItEEEESJ_S9_S9_S9_S9_S9_S9_S9_S9_EEEEPSB_SM_NS0_5tupleIJNSE_INS8_ISJ_NS7_16discard_iteratorINS7_11use_defaultEEES9_S9_S9_S9_S9_S9_S9_S9_EEEESB_EEENSN_IJSM_SM_EEESB_PlJNSF_9not_fun_tINSF_14equal_to_valueISA_EEEEEEE10hipError_tPvRmT3_T4_T5_T6_T7_T9_mT8_P12ihipStream_tbDpT10_ENKUlT_T0_E_clISt17integral_constantIbLb0EES1J_EEDaS1E_S1F_EUlS1E_E_NS1_11comp_targetILNS1_3genE9ELNS1_11target_archE1100ELNS1_3gpuE3ELNS1_3repE0EEENS1_30default_config_static_selectorELNS0_4arch9wavefront6targetE0EEEvT1_,@function
_ZN7rocprim17ROCPRIM_400000_NS6detail17trampoline_kernelINS0_14default_configENS1_25partition_config_selectorILNS1_17partition_subalgoE6EN6thrust23THRUST_200600_302600_NS5tupleIttNS7_9null_typeES9_S9_S9_S9_S9_S9_S9_EENS0_10empty_typeEbEEZZNS1_14partition_implILS5_6ELb0ES3_mNS7_12zip_iteratorINS8_INS7_6detail15normal_iteratorINS7_10device_ptrItEEEESJ_S9_S9_S9_S9_S9_S9_S9_S9_EEEEPSB_SM_NS0_5tupleIJNSE_INS8_ISJ_NS7_16discard_iteratorINS7_11use_defaultEEES9_S9_S9_S9_S9_S9_S9_S9_EEEESB_EEENSN_IJSM_SM_EEESB_PlJNSF_9not_fun_tINSF_14equal_to_valueISA_EEEEEEE10hipError_tPvRmT3_T4_T5_T6_T7_T9_mT8_P12ihipStream_tbDpT10_ENKUlT_T0_E_clISt17integral_constantIbLb0EES1J_EEDaS1E_S1F_EUlS1E_E_NS1_11comp_targetILNS1_3genE9ELNS1_11target_archE1100ELNS1_3gpuE3ELNS1_3repE0EEENS1_30default_config_static_selectorELNS0_4arch9wavefront6targetE0EEEvT1_: ; @_ZN7rocprim17ROCPRIM_400000_NS6detail17trampoline_kernelINS0_14default_configENS1_25partition_config_selectorILNS1_17partition_subalgoE6EN6thrust23THRUST_200600_302600_NS5tupleIttNS7_9null_typeES9_S9_S9_S9_S9_S9_S9_EENS0_10empty_typeEbEEZZNS1_14partition_implILS5_6ELb0ES3_mNS7_12zip_iteratorINS8_INS7_6detail15normal_iteratorINS7_10device_ptrItEEEESJ_S9_S9_S9_S9_S9_S9_S9_S9_EEEEPSB_SM_NS0_5tupleIJNSE_INS8_ISJ_NS7_16discard_iteratorINS7_11use_defaultEEES9_S9_S9_S9_S9_S9_S9_S9_EEEESB_EEENSN_IJSM_SM_EEESB_PlJNSF_9not_fun_tINSF_14equal_to_valueISA_EEEEEEE10hipError_tPvRmT3_T4_T5_T6_T7_T9_mT8_P12ihipStream_tbDpT10_ENKUlT_T0_E_clISt17integral_constantIbLb0EES1J_EEDaS1E_S1F_EUlS1E_E_NS1_11comp_targetILNS1_3genE9ELNS1_11target_archE1100ELNS1_3gpuE3ELNS1_3repE0EEENS1_30default_config_static_selectorELNS0_4arch9wavefront6targetE0EEEvT1_
; %bb.0:
	.section	.rodata,"a",@progbits
	.p2align	6, 0x0
	.amdhsa_kernel _ZN7rocprim17ROCPRIM_400000_NS6detail17trampoline_kernelINS0_14default_configENS1_25partition_config_selectorILNS1_17partition_subalgoE6EN6thrust23THRUST_200600_302600_NS5tupleIttNS7_9null_typeES9_S9_S9_S9_S9_S9_S9_EENS0_10empty_typeEbEEZZNS1_14partition_implILS5_6ELb0ES3_mNS7_12zip_iteratorINS8_INS7_6detail15normal_iteratorINS7_10device_ptrItEEEESJ_S9_S9_S9_S9_S9_S9_S9_S9_EEEEPSB_SM_NS0_5tupleIJNSE_INS8_ISJ_NS7_16discard_iteratorINS7_11use_defaultEEES9_S9_S9_S9_S9_S9_S9_S9_EEEESB_EEENSN_IJSM_SM_EEESB_PlJNSF_9not_fun_tINSF_14equal_to_valueISA_EEEEEEE10hipError_tPvRmT3_T4_T5_T6_T7_T9_mT8_P12ihipStream_tbDpT10_ENKUlT_T0_E_clISt17integral_constantIbLb0EES1J_EEDaS1E_S1F_EUlS1E_E_NS1_11comp_targetILNS1_3genE9ELNS1_11target_archE1100ELNS1_3gpuE3ELNS1_3repE0EEENS1_30default_config_static_selectorELNS0_4arch9wavefront6targetE0EEEvT1_
		.amdhsa_group_segment_fixed_size 0
		.amdhsa_private_segment_fixed_size 0
		.amdhsa_kernarg_size 144
		.amdhsa_user_sgpr_count 2
		.amdhsa_user_sgpr_dispatch_ptr 0
		.amdhsa_user_sgpr_queue_ptr 0
		.amdhsa_user_sgpr_kernarg_segment_ptr 1
		.amdhsa_user_sgpr_dispatch_id 0
		.amdhsa_user_sgpr_private_segment_size 0
		.amdhsa_wavefront_size32 1
		.amdhsa_uses_dynamic_stack 0
		.amdhsa_enable_private_segment 0
		.amdhsa_system_sgpr_workgroup_id_x 1
		.amdhsa_system_sgpr_workgroup_id_y 0
		.amdhsa_system_sgpr_workgroup_id_z 0
		.amdhsa_system_sgpr_workgroup_info 0
		.amdhsa_system_vgpr_workitem_id 0
		.amdhsa_next_free_vgpr 1
		.amdhsa_next_free_sgpr 1
		.amdhsa_reserve_vcc 0
		.amdhsa_float_round_mode_32 0
		.amdhsa_float_round_mode_16_64 0
		.amdhsa_float_denorm_mode_32 3
		.amdhsa_float_denorm_mode_16_64 3
		.amdhsa_fp16_overflow 0
		.amdhsa_workgroup_processor_mode 1
		.amdhsa_memory_ordered 1
		.amdhsa_forward_progress 1
		.amdhsa_inst_pref_size 0
		.amdhsa_round_robin_scheduling 0
		.amdhsa_exception_fp_ieee_invalid_op 0
		.amdhsa_exception_fp_denorm_src 0
		.amdhsa_exception_fp_ieee_div_zero 0
		.amdhsa_exception_fp_ieee_overflow 0
		.amdhsa_exception_fp_ieee_underflow 0
		.amdhsa_exception_fp_ieee_inexact 0
		.amdhsa_exception_int_div_zero 0
	.end_amdhsa_kernel
	.section	.text._ZN7rocprim17ROCPRIM_400000_NS6detail17trampoline_kernelINS0_14default_configENS1_25partition_config_selectorILNS1_17partition_subalgoE6EN6thrust23THRUST_200600_302600_NS5tupleIttNS7_9null_typeES9_S9_S9_S9_S9_S9_S9_EENS0_10empty_typeEbEEZZNS1_14partition_implILS5_6ELb0ES3_mNS7_12zip_iteratorINS8_INS7_6detail15normal_iteratorINS7_10device_ptrItEEEESJ_S9_S9_S9_S9_S9_S9_S9_S9_EEEEPSB_SM_NS0_5tupleIJNSE_INS8_ISJ_NS7_16discard_iteratorINS7_11use_defaultEEES9_S9_S9_S9_S9_S9_S9_S9_EEEESB_EEENSN_IJSM_SM_EEESB_PlJNSF_9not_fun_tINSF_14equal_to_valueISA_EEEEEEE10hipError_tPvRmT3_T4_T5_T6_T7_T9_mT8_P12ihipStream_tbDpT10_ENKUlT_T0_E_clISt17integral_constantIbLb0EES1J_EEDaS1E_S1F_EUlS1E_E_NS1_11comp_targetILNS1_3genE9ELNS1_11target_archE1100ELNS1_3gpuE3ELNS1_3repE0EEENS1_30default_config_static_selectorELNS0_4arch9wavefront6targetE0EEEvT1_,"axG",@progbits,_ZN7rocprim17ROCPRIM_400000_NS6detail17trampoline_kernelINS0_14default_configENS1_25partition_config_selectorILNS1_17partition_subalgoE6EN6thrust23THRUST_200600_302600_NS5tupleIttNS7_9null_typeES9_S9_S9_S9_S9_S9_S9_EENS0_10empty_typeEbEEZZNS1_14partition_implILS5_6ELb0ES3_mNS7_12zip_iteratorINS8_INS7_6detail15normal_iteratorINS7_10device_ptrItEEEESJ_S9_S9_S9_S9_S9_S9_S9_S9_EEEEPSB_SM_NS0_5tupleIJNSE_INS8_ISJ_NS7_16discard_iteratorINS7_11use_defaultEEES9_S9_S9_S9_S9_S9_S9_S9_EEEESB_EEENSN_IJSM_SM_EEESB_PlJNSF_9not_fun_tINSF_14equal_to_valueISA_EEEEEEE10hipError_tPvRmT3_T4_T5_T6_T7_T9_mT8_P12ihipStream_tbDpT10_ENKUlT_T0_E_clISt17integral_constantIbLb0EES1J_EEDaS1E_S1F_EUlS1E_E_NS1_11comp_targetILNS1_3genE9ELNS1_11target_archE1100ELNS1_3gpuE3ELNS1_3repE0EEENS1_30default_config_static_selectorELNS0_4arch9wavefront6targetE0EEEvT1_,comdat
.Lfunc_end1955:
	.size	_ZN7rocprim17ROCPRIM_400000_NS6detail17trampoline_kernelINS0_14default_configENS1_25partition_config_selectorILNS1_17partition_subalgoE6EN6thrust23THRUST_200600_302600_NS5tupleIttNS7_9null_typeES9_S9_S9_S9_S9_S9_S9_EENS0_10empty_typeEbEEZZNS1_14partition_implILS5_6ELb0ES3_mNS7_12zip_iteratorINS8_INS7_6detail15normal_iteratorINS7_10device_ptrItEEEESJ_S9_S9_S9_S9_S9_S9_S9_S9_EEEEPSB_SM_NS0_5tupleIJNSE_INS8_ISJ_NS7_16discard_iteratorINS7_11use_defaultEEES9_S9_S9_S9_S9_S9_S9_S9_EEEESB_EEENSN_IJSM_SM_EEESB_PlJNSF_9not_fun_tINSF_14equal_to_valueISA_EEEEEEE10hipError_tPvRmT3_T4_T5_T6_T7_T9_mT8_P12ihipStream_tbDpT10_ENKUlT_T0_E_clISt17integral_constantIbLb0EES1J_EEDaS1E_S1F_EUlS1E_E_NS1_11comp_targetILNS1_3genE9ELNS1_11target_archE1100ELNS1_3gpuE3ELNS1_3repE0EEENS1_30default_config_static_selectorELNS0_4arch9wavefront6targetE0EEEvT1_, .Lfunc_end1955-_ZN7rocprim17ROCPRIM_400000_NS6detail17trampoline_kernelINS0_14default_configENS1_25partition_config_selectorILNS1_17partition_subalgoE6EN6thrust23THRUST_200600_302600_NS5tupleIttNS7_9null_typeES9_S9_S9_S9_S9_S9_S9_EENS0_10empty_typeEbEEZZNS1_14partition_implILS5_6ELb0ES3_mNS7_12zip_iteratorINS8_INS7_6detail15normal_iteratorINS7_10device_ptrItEEEESJ_S9_S9_S9_S9_S9_S9_S9_S9_EEEEPSB_SM_NS0_5tupleIJNSE_INS8_ISJ_NS7_16discard_iteratorINS7_11use_defaultEEES9_S9_S9_S9_S9_S9_S9_S9_EEEESB_EEENSN_IJSM_SM_EEESB_PlJNSF_9not_fun_tINSF_14equal_to_valueISA_EEEEEEE10hipError_tPvRmT3_T4_T5_T6_T7_T9_mT8_P12ihipStream_tbDpT10_ENKUlT_T0_E_clISt17integral_constantIbLb0EES1J_EEDaS1E_S1F_EUlS1E_E_NS1_11comp_targetILNS1_3genE9ELNS1_11target_archE1100ELNS1_3gpuE3ELNS1_3repE0EEENS1_30default_config_static_selectorELNS0_4arch9wavefront6targetE0EEEvT1_
                                        ; -- End function
	.set _ZN7rocprim17ROCPRIM_400000_NS6detail17trampoline_kernelINS0_14default_configENS1_25partition_config_selectorILNS1_17partition_subalgoE6EN6thrust23THRUST_200600_302600_NS5tupleIttNS7_9null_typeES9_S9_S9_S9_S9_S9_S9_EENS0_10empty_typeEbEEZZNS1_14partition_implILS5_6ELb0ES3_mNS7_12zip_iteratorINS8_INS7_6detail15normal_iteratorINS7_10device_ptrItEEEESJ_S9_S9_S9_S9_S9_S9_S9_S9_EEEEPSB_SM_NS0_5tupleIJNSE_INS8_ISJ_NS7_16discard_iteratorINS7_11use_defaultEEES9_S9_S9_S9_S9_S9_S9_S9_EEEESB_EEENSN_IJSM_SM_EEESB_PlJNSF_9not_fun_tINSF_14equal_to_valueISA_EEEEEEE10hipError_tPvRmT3_T4_T5_T6_T7_T9_mT8_P12ihipStream_tbDpT10_ENKUlT_T0_E_clISt17integral_constantIbLb0EES1J_EEDaS1E_S1F_EUlS1E_E_NS1_11comp_targetILNS1_3genE9ELNS1_11target_archE1100ELNS1_3gpuE3ELNS1_3repE0EEENS1_30default_config_static_selectorELNS0_4arch9wavefront6targetE0EEEvT1_.num_vgpr, 0
	.set _ZN7rocprim17ROCPRIM_400000_NS6detail17trampoline_kernelINS0_14default_configENS1_25partition_config_selectorILNS1_17partition_subalgoE6EN6thrust23THRUST_200600_302600_NS5tupleIttNS7_9null_typeES9_S9_S9_S9_S9_S9_S9_EENS0_10empty_typeEbEEZZNS1_14partition_implILS5_6ELb0ES3_mNS7_12zip_iteratorINS8_INS7_6detail15normal_iteratorINS7_10device_ptrItEEEESJ_S9_S9_S9_S9_S9_S9_S9_S9_EEEEPSB_SM_NS0_5tupleIJNSE_INS8_ISJ_NS7_16discard_iteratorINS7_11use_defaultEEES9_S9_S9_S9_S9_S9_S9_S9_EEEESB_EEENSN_IJSM_SM_EEESB_PlJNSF_9not_fun_tINSF_14equal_to_valueISA_EEEEEEE10hipError_tPvRmT3_T4_T5_T6_T7_T9_mT8_P12ihipStream_tbDpT10_ENKUlT_T0_E_clISt17integral_constantIbLb0EES1J_EEDaS1E_S1F_EUlS1E_E_NS1_11comp_targetILNS1_3genE9ELNS1_11target_archE1100ELNS1_3gpuE3ELNS1_3repE0EEENS1_30default_config_static_selectorELNS0_4arch9wavefront6targetE0EEEvT1_.num_agpr, 0
	.set _ZN7rocprim17ROCPRIM_400000_NS6detail17trampoline_kernelINS0_14default_configENS1_25partition_config_selectorILNS1_17partition_subalgoE6EN6thrust23THRUST_200600_302600_NS5tupleIttNS7_9null_typeES9_S9_S9_S9_S9_S9_S9_EENS0_10empty_typeEbEEZZNS1_14partition_implILS5_6ELb0ES3_mNS7_12zip_iteratorINS8_INS7_6detail15normal_iteratorINS7_10device_ptrItEEEESJ_S9_S9_S9_S9_S9_S9_S9_S9_EEEEPSB_SM_NS0_5tupleIJNSE_INS8_ISJ_NS7_16discard_iteratorINS7_11use_defaultEEES9_S9_S9_S9_S9_S9_S9_S9_EEEESB_EEENSN_IJSM_SM_EEESB_PlJNSF_9not_fun_tINSF_14equal_to_valueISA_EEEEEEE10hipError_tPvRmT3_T4_T5_T6_T7_T9_mT8_P12ihipStream_tbDpT10_ENKUlT_T0_E_clISt17integral_constantIbLb0EES1J_EEDaS1E_S1F_EUlS1E_E_NS1_11comp_targetILNS1_3genE9ELNS1_11target_archE1100ELNS1_3gpuE3ELNS1_3repE0EEENS1_30default_config_static_selectorELNS0_4arch9wavefront6targetE0EEEvT1_.numbered_sgpr, 0
	.set _ZN7rocprim17ROCPRIM_400000_NS6detail17trampoline_kernelINS0_14default_configENS1_25partition_config_selectorILNS1_17partition_subalgoE6EN6thrust23THRUST_200600_302600_NS5tupleIttNS7_9null_typeES9_S9_S9_S9_S9_S9_S9_EENS0_10empty_typeEbEEZZNS1_14partition_implILS5_6ELb0ES3_mNS7_12zip_iteratorINS8_INS7_6detail15normal_iteratorINS7_10device_ptrItEEEESJ_S9_S9_S9_S9_S9_S9_S9_S9_EEEEPSB_SM_NS0_5tupleIJNSE_INS8_ISJ_NS7_16discard_iteratorINS7_11use_defaultEEES9_S9_S9_S9_S9_S9_S9_S9_EEEESB_EEENSN_IJSM_SM_EEESB_PlJNSF_9not_fun_tINSF_14equal_to_valueISA_EEEEEEE10hipError_tPvRmT3_T4_T5_T6_T7_T9_mT8_P12ihipStream_tbDpT10_ENKUlT_T0_E_clISt17integral_constantIbLb0EES1J_EEDaS1E_S1F_EUlS1E_E_NS1_11comp_targetILNS1_3genE9ELNS1_11target_archE1100ELNS1_3gpuE3ELNS1_3repE0EEENS1_30default_config_static_selectorELNS0_4arch9wavefront6targetE0EEEvT1_.num_named_barrier, 0
	.set _ZN7rocprim17ROCPRIM_400000_NS6detail17trampoline_kernelINS0_14default_configENS1_25partition_config_selectorILNS1_17partition_subalgoE6EN6thrust23THRUST_200600_302600_NS5tupleIttNS7_9null_typeES9_S9_S9_S9_S9_S9_S9_EENS0_10empty_typeEbEEZZNS1_14partition_implILS5_6ELb0ES3_mNS7_12zip_iteratorINS8_INS7_6detail15normal_iteratorINS7_10device_ptrItEEEESJ_S9_S9_S9_S9_S9_S9_S9_S9_EEEEPSB_SM_NS0_5tupleIJNSE_INS8_ISJ_NS7_16discard_iteratorINS7_11use_defaultEEES9_S9_S9_S9_S9_S9_S9_S9_EEEESB_EEENSN_IJSM_SM_EEESB_PlJNSF_9not_fun_tINSF_14equal_to_valueISA_EEEEEEE10hipError_tPvRmT3_T4_T5_T6_T7_T9_mT8_P12ihipStream_tbDpT10_ENKUlT_T0_E_clISt17integral_constantIbLb0EES1J_EEDaS1E_S1F_EUlS1E_E_NS1_11comp_targetILNS1_3genE9ELNS1_11target_archE1100ELNS1_3gpuE3ELNS1_3repE0EEENS1_30default_config_static_selectorELNS0_4arch9wavefront6targetE0EEEvT1_.private_seg_size, 0
	.set _ZN7rocprim17ROCPRIM_400000_NS6detail17trampoline_kernelINS0_14default_configENS1_25partition_config_selectorILNS1_17partition_subalgoE6EN6thrust23THRUST_200600_302600_NS5tupleIttNS7_9null_typeES9_S9_S9_S9_S9_S9_S9_EENS0_10empty_typeEbEEZZNS1_14partition_implILS5_6ELb0ES3_mNS7_12zip_iteratorINS8_INS7_6detail15normal_iteratorINS7_10device_ptrItEEEESJ_S9_S9_S9_S9_S9_S9_S9_S9_EEEEPSB_SM_NS0_5tupleIJNSE_INS8_ISJ_NS7_16discard_iteratorINS7_11use_defaultEEES9_S9_S9_S9_S9_S9_S9_S9_EEEESB_EEENSN_IJSM_SM_EEESB_PlJNSF_9not_fun_tINSF_14equal_to_valueISA_EEEEEEE10hipError_tPvRmT3_T4_T5_T6_T7_T9_mT8_P12ihipStream_tbDpT10_ENKUlT_T0_E_clISt17integral_constantIbLb0EES1J_EEDaS1E_S1F_EUlS1E_E_NS1_11comp_targetILNS1_3genE9ELNS1_11target_archE1100ELNS1_3gpuE3ELNS1_3repE0EEENS1_30default_config_static_selectorELNS0_4arch9wavefront6targetE0EEEvT1_.uses_vcc, 0
	.set _ZN7rocprim17ROCPRIM_400000_NS6detail17trampoline_kernelINS0_14default_configENS1_25partition_config_selectorILNS1_17partition_subalgoE6EN6thrust23THRUST_200600_302600_NS5tupleIttNS7_9null_typeES9_S9_S9_S9_S9_S9_S9_EENS0_10empty_typeEbEEZZNS1_14partition_implILS5_6ELb0ES3_mNS7_12zip_iteratorINS8_INS7_6detail15normal_iteratorINS7_10device_ptrItEEEESJ_S9_S9_S9_S9_S9_S9_S9_S9_EEEEPSB_SM_NS0_5tupleIJNSE_INS8_ISJ_NS7_16discard_iteratorINS7_11use_defaultEEES9_S9_S9_S9_S9_S9_S9_S9_EEEESB_EEENSN_IJSM_SM_EEESB_PlJNSF_9not_fun_tINSF_14equal_to_valueISA_EEEEEEE10hipError_tPvRmT3_T4_T5_T6_T7_T9_mT8_P12ihipStream_tbDpT10_ENKUlT_T0_E_clISt17integral_constantIbLb0EES1J_EEDaS1E_S1F_EUlS1E_E_NS1_11comp_targetILNS1_3genE9ELNS1_11target_archE1100ELNS1_3gpuE3ELNS1_3repE0EEENS1_30default_config_static_selectorELNS0_4arch9wavefront6targetE0EEEvT1_.uses_flat_scratch, 0
	.set _ZN7rocprim17ROCPRIM_400000_NS6detail17trampoline_kernelINS0_14default_configENS1_25partition_config_selectorILNS1_17partition_subalgoE6EN6thrust23THRUST_200600_302600_NS5tupleIttNS7_9null_typeES9_S9_S9_S9_S9_S9_S9_EENS0_10empty_typeEbEEZZNS1_14partition_implILS5_6ELb0ES3_mNS7_12zip_iteratorINS8_INS7_6detail15normal_iteratorINS7_10device_ptrItEEEESJ_S9_S9_S9_S9_S9_S9_S9_S9_EEEEPSB_SM_NS0_5tupleIJNSE_INS8_ISJ_NS7_16discard_iteratorINS7_11use_defaultEEES9_S9_S9_S9_S9_S9_S9_S9_EEEESB_EEENSN_IJSM_SM_EEESB_PlJNSF_9not_fun_tINSF_14equal_to_valueISA_EEEEEEE10hipError_tPvRmT3_T4_T5_T6_T7_T9_mT8_P12ihipStream_tbDpT10_ENKUlT_T0_E_clISt17integral_constantIbLb0EES1J_EEDaS1E_S1F_EUlS1E_E_NS1_11comp_targetILNS1_3genE9ELNS1_11target_archE1100ELNS1_3gpuE3ELNS1_3repE0EEENS1_30default_config_static_selectorELNS0_4arch9wavefront6targetE0EEEvT1_.has_dyn_sized_stack, 0
	.set _ZN7rocprim17ROCPRIM_400000_NS6detail17trampoline_kernelINS0_14default_configENS1_25partition_config_selectorILNS1_17partition_subalgoE6EN6thrust23THRUST_200600_302600_NS5tupleIttNS7_9null_typeES9_S9_S9_S9_S9_S9_S9_EENS0_10empty_typeEbEEZZNS1_14partition_implILS5_6ELb0ES3_mNS7_12zip_iteratorINS8_INS7_6detail15normal_iteratorINS7_10device_ptrItEEEESJ_S9_S9_S9_S9_S9_S9_S9_S9_EEEEPSB_SM_NS0_5tupleIJNSE_INS8_ISJ_NS7_16discard_iteratorINS7_11use_defaultEEES9_S9_S9_S9_S9_S9_S9_S9_EEEESB_EEENSN_IJSM_SM_EEESB_PlJNSF_9not_fun_tINSF_14equal_to_valueISA_EEEEEEE10hipError_tPvRmT3_T4_T5_T6_T7_T9_mT8_P12ihipStream_tbDpT10_ENKUlT_T0_E_clISt17integral_constantIbLb0EES1J_EEDaS1E_S1F_EUlS1E_E_NS1_11comp_targetILNS1_3genE9ELNS1_11target_archE1100ELNS1_3gpuE3ELNS1_3repE0EEENS1_30default_config_static_selectorELNS0_4arch9wavefront6targetE0EEEvT1_.has_recursion, 0
	.set _ZN7rocprim17ROCPRIM_400000_NS6detail17trampoline_kernelINS0_14default_configENS1_25partition_config_selectorILNS1_17partition_subalgoE6EN6thrust23THRUST_200600_302600_NS5tupleIttNS7_9null_typeES9_S9_S9_S9_S9_S9_S9_EENS0_10empty_typeEbEEZZNS1_14partition_implILS5_6ELb0ES3_mNS7_12zip_iteratorINS8_INS7_6detail15normal_iteratorINS7_10device_ptrItEEEESJ_S9_S9_S9_S9_S9_S9_S9_S9_EEEEPSB_SM_NS0_5tupleIJNSE_INS8_ISJ_NS7_16discard_iteratorINS7_11use_defaultEEES9_S9_S9_S9_S9_S9_S9_S9_EEEESB_EEENSN_IJSM_SM_EEESB_PlJNSF_9not_fun_tINSF_14equal_to_valueISA_EEEEEEE10hipError_tPvRmT3_T4_T5_T6_T7_T9_mT8_P12ihipStream_tbDpT10_ENKUlT_T0_E_clISt17integral_constantIbLb0EES1J_EEDaS1E_S1F_EUlS1E_E_NS1_11comp_targetILNS1_3genE9ELNS1_11target_archE1100ELNS1_3gpuE3ELNS1_3repE0EEENS1_30default_config_static_selectorELNS0_4arch9wavefront6targetE0EEEvT1_.has_indirect_call, 0
	.section	.AMDGPU.csdata,"",@progbits
; Kernel info:
; codeLenInByte = 0
; TotalNumSgprs: 0
; NumVgprs: 0
; ScratchSize: 0
; MemoryBound: 0
; FloatMode: 240
; IeeeMode: 1
; LDSByteSize: 0 bytes/workgroup (compile time only)
; SGPRBlocks: 0
; VGPRBlocks: 0
; NumSGPRsForWavesPerEU: 1
; NumVGPRsForWavesPerEU: 1
; Occupancy: 16
; WaveLimiterHint : 0
; COMPUTE_PGM_RSRC2:SCRATCH_EN: 0
; COMPUTE_PGM_RSRC2:USER_SGPR: 2
; COMPUTE_PGM_RSRC2:TRAP_HANDLER: 0
; COMPUTE_PGM_RSRC2:TGID_X_EN: 1
; COMPUTE_PGM_RSRC2:TGID_Y_EN: 0
; COMPUTE_PGM_RSRC2:TGID_Z_EN: 0
; COMPUTE_PGM_RSRC2:TIDIG_COMP_CNT: 0
	.section	.text._ZN7rocprim17ROCPRIM_400000_NS6detail17trampoline_kernelINS0_14default_configENS1_25partition_config_selectorILNS1_17partition_subalgoE6EN6thrust23THRUST_200600_302600_NS5tupleIttNS7_9null_typeES9_S9_S9_S9_S9_S9_S9_EENS0_10empty_typeEbEEZZNS1_14partition_implILS5_6ELb0ES3_mNS7_12zip_iteratorINS8_INS7_6detail15normal_iteratorINS7_10device_ptrItEEEESJ_S9_S9_S9_S9_S9_S9_S9_S9_EEEEPSB_SM_NS0_5tupleIJNSE_INS8_ISJ_NS7_16discard_iteratorINS7_11use_defaultEEES9_S9_S9_S9_S9_S9_S9_S9_EEEESB_EEENSN_IJSM_SM_EEESB_PlJNSF_9not_fun_tINSF_14equal_to_valueISA_EEEEEEE10hipError_tPvRmT3_T4_T5_T6_T7_T9_mT8_P12ihipStream_tbDpT10_ENKUlT_T0_E_clISt17integral_constantIbLb0EES1J_EEDaS1E_S1F_EUlS1E_E_NS1_11comp_targetILNS1_3genE8ELNS1_11target_archE1030ELNS1_3gpuE2ELNS1_3repE0EEENS1_30default_config_static_selectorELNS0_4arch9wavefront6targetE0EEEvT1_,"axG",@progbits,_ZN7rocprim17ROCPRIM_400000_NS6detail17trampoline_kernelINS0_14default_configENS1_25partition_config_selectorILNS1_17partition_subalgoE6EN6thrust23THRUST_200600_302600_NS5tupleIttNS7_9null_typeES9_S9_S9_S9_S9_S9_S9_EENS0_10empty_typeEbEEZZNS1_14partition_implILS5_6ELb0ES3_mNS7_12zip_iteratorINS8_INS7_6detail15normal_iteratorINS7_10device_ptrItEEEESJ_S9_S9_S9_S9_S9_S9_S9_S9_EEEEPSB_SM_NS0_5tupleIJNSE_INS8_ISJ_NS7_16discard_iteratorINS7_11use_defaultEEES9_S9_S9_S9_S9_S9_S9_S9_EEEESB_EEENSN_IJSM_SM_EEESB_PlJNSF_9not_fun_tINSF_14equal_to_valueISA_EEEEEEE10hipError_tPvRmT3_T4_T5_T6_T7_T9_mT8_P12ihipStream_tbDpT10_ENKUlT_T0_E_clISt17integral_constantIbLb0EES1J_EEDaS1E_S1F_EUlS1E_E_NS1_11comp_targetILNS1_3genE8ELNS1_11target_archE1030ELNS1_3gpuE2ELNS1_3repE0EEENS1_30default_config_static_selectorELNS0_4arch9wavefront6targetE0EEEvT1_,comdat
	.protected	_ZN7rocprim17ROCPRIM_400000_NS6detail17trampoline_kernelINS0_14default_configENS1_25partition_config_selectorILNS1_17partition_subalgoE6EN6thrust23THRUST_200600_302600_NS5tupleIttNS7_9null_typeES9_S9_S9_S9_S9_S9_S9_EENS0_10empty_typeEbEEZZNS1_14partition_implILS5_6ELb0ES3_mNS7_12zip_iteratorINS8_INS7_6detail15normal_iteratorINS7_10device_ptrItEEEESJ_S9_S9_S9_S9_S9_S9_S9_S9_EEEEPSB_SM_NS0_5tupleIJNSE_INS8_ISJ_NS7_16discard_iteratorINS7_11use_defaultEEES9_S9_S9_S9_S9_S9_S9_S9_EEEESB_EEENSN_IJSM_SM_EEESB_PlJNSF_9not_fun_tINSF_14equal_to_valueISA_EEEEEEE10hipError_tPvRmT3_T4_T5_T6_T7_T9_mT8_P12ihipStream_tbDpT10_ENKUlT_T0_E_clISt17integral_constantIbLb0EES1J_EEDaS1E_S1F_EUlS1E_E_NS1_11comp_targetILNS1_3genE8ELNS1_11target_archE1030ELNS1_3gpuE2ELNS1_3repE0EEENS1_30default_config_static_selectorELNS0_4arch9wavefront6targetE0EEEvT1_ ; -- Begin function _ZN7rocprim17ROCPRIM_400000_NS6detail17trampoline_kernelINS0_14default_configENS1_25partition_config_selectorILNS1_17partition_subalgoE6EN6thrust23THRUST_200600_302600_NS5tupleIttNS7_9null_typeES9_S9_S9_S9_S9_S9_S9_EENS0_10empty_typeEbEEZZNS1_14partition_implILS5_6ELb0ES3_mNS7_12zip_iteratorINS8_INS7_6detail15normal_iteratorINS7_10device_ptrItEEEESJ_S9_S9_S9_S9_S9_S9_S9_S9_EEEEPSB_SM_NS0_5tupleIJNSE_INS8_ISJ_NS7_16discard_iteratorINS7_11use_defaultEEES9_S9_S9_S9_S9_S9_S9_S9_EEEESB_EEENSN_IJSM_SM_EEESB_PlJNSF_9not_fun_tINSF_14equal_to_valueISA_EEEEEEE10hipError_tPvRmT3_T4_T5_T6_T7_T9_mT8_P12ihipStream_tbDpT10_ENKUlT_T0_E_clISt17integral_constantIbLb0EES1J_EEDaS1E_S1F_EUlS1E_E_NS1_11comp_targetILNS1_3genE8ELNS1_11target_archE1030ELNS1_3gpuE2ELNS1_3repE0EEENS1_30default_config_static_selectorELNS0_4arch9wavefront6targetE0EEEvT1_
	.globl	_ZN7rocprim17ROCPRIM_400000_NS6detail17trampoline_kernelINS0_14default_configENS1_25partition_config_selectorILNS1_17partition_subalgoE6EN6thrust23THRUST_200600_302600_NS5tupleIttNS7_9null_typeES9_S9_S9_S9_S9_S9_S9_EENS0_10empty_typeEbEEZZNS1_14partition_implILS5_6ELb0ES3_mNS7_12zip_iteratorINS8_INS7_6detail15normal_iteratorINS7_10device_ptrItEEEESJ_S9_S9_S9_S9_S9_S9_S9_S9_EEEEPSB_SM_NS0_5tupleIJNSE_INS8_ISJ_NS7_16discard_iteratorINS7_11use_defaultEEES9_S9_S9_S9_S9_S9_S9_S9_EEEESB_EEENSN_IJSM_SM_EEESB_PlJNSF_9not_fun_tINSF_14equal_to_valueISA_EEEEEEE10hipError_tPvRmT3_T4_T5_T6_T7_T9_mT8_P12ihipStream_tbDpT10_ENKUlT_T0_E_clISt17integral_constantIbLb0EES1J_EEDaS1E_S1F_EUlS1E_E_NS1_11comp_targetILNS1_3genE8ELNS1_11target_archE1030ELNS1_3gpuE2ELNS1_3repE0EEENS1_30default_config_static_selectorELNS0_4arch9wavefront6targetE0EEEvT1_
	.p2align	8
	.type	_ZN7rocprim17ROCPRIM_400000_NS6detail17trampoline_kernelINS0_14default_configENS1_25partition_config_selectorILNS1_17partition_subalgoE6EN6thrust23THRUST_200600_302600_NS5tupleIttNS7_9null_typeES9_S9_S9_S9_S9_S9_S9_EENS0_10empty_typeEbEEZZNS1_14partition_implILS5_6ELb0ES3_mNS7_12zip_iteratorINS8_INS7_6detail15normal_iteratorINS7_10device_ptrItEEEESJ_S9_S9_S9_S9_S9_S9_S9_S9_EEEEPSB_SM_NS0_5tupleIJNSE_INS8_ISJ_NS7_16discard_iteratorINS7_11use_defaultEEES9_S9_S9_S9_S9_S9_S9_S9_EEEESB_EEENSN_IJSM_SM_EEESB_PlJNSF_9not_fun_tINSF_14equal_to_valueISA_EEEEEEE10hipError_tPvRmT3_T4_T5_T6_T7_T9_mT8_P12ihipStream_tbDpT10_ENKUlT_T0_E_clISt17integral_constantIbLb0EES1J_EEDaS1E_S1F_EUlS1E_E_NS1_11comp_targetILNS1_3genE8ELNS1_11target_archE1030ELNS1_3gpuE2ELNS1_3repE0EEENS1_30default_config_static_selectorELNS0_4arch9wavefront6targetE0EEEvT1_,@function
_ZN7rocprim17ROCPRIM_400000_NS6detail17trampoline_kernelINS0_14default_configENS1_25partition_config_selectorILNS1_17partition_subalgoE6EN6thrust23THRUST_200600_302600_NS5tupleIttNS7_9null_typeES9_S9_S9_S9_S9_S9_S9_EENS0_10empty_typeEbEEZZNS1_14partition_implILS5_6ELb0ES3_mNS7_12zip_iteratorINS8_INS7_6detail15normal_iteratorINS7_10device_ptrItEEEESJ_S9_S9_S9_S9_S9_S9_S9_S9_EEEEPSB_SM_NS0_5tupleIJNSE_INS8_ISJ_NS7_16discard_iteratorINS7_11use_defaultEEES9_S9_S9_S9_S9_S9_S9_S9_EEEESB_EEENSN_IJSM_SM_EEESB_PlJNSF_9not_fun_tINSF_14equal_to_valueISA_EEEEEEE10hipError_tPvRmT3_T4_T5_T6_T7_T9_mT8_P12ihipStream_tbDpT10_ENKUlT_T0_E_clISt17integral_constantIbLb0EES1J_EEDaS1E_S1F_EUlS1E_E_NS1_11comp_targetILNS1_3genE8ELNS1_11target_archE1030ELNS1_3gpuE2ELNS1_3repE0EEENS1_30default_config_static_selectorELNS0_4arch9wavefront6targetE0EEEvT1_: ; @_ZN7rocprim17ROCPRIM_400000_NS6detail17trampoline_kernelINS0_14default_configENS1_25partition_config_selectorILNS1_17partition_subalgoE6EN6thrust23THRUST_200600_302600_NS5tupleIttNS7_9null_typeES9_S9_S9_S9_S9_S9_S9_EENS0_10empty_typeEbEEZZNS1_14partition_implILS5_6ELb0ES3_mNS7_12zip_iteratorINS8_INS7_6detail15normal_iteratorINS7_10device_ptrItEEEESJ_S9_S9_S9_S9_S9_S9_S9_S9_EEEEPSB_SM_NS0_5tupleIJNSE_INS8_ISJ_NS7_16discard_iteratorINS7_11use_defaultEEES9_S9_S9_S9_S9_S9_S9_S9_EEEESB_EEENSN_IJSM_SM_EEESB_PlJNSF_9not_fun_tINSF_14equal_to_valueISA_EEEEEEE10hipError_tPvRmT3_T4_T5_T6_T7_T9_mT8_P12ihipStream_tbDpT10_ENKUlT_T0_E_clISt17integral_constantIbLb0EES1J_EEDaS1E_S1F_EUlS1E_E_NS1_11comp_targetILNS1_3genE8ELNS1_11target_archE1030ELNS1_3gpuE2ELNS1_3repE0EEENS1_30default_config_static_selectorELNS0_4arch9wavefront6targetE0EEEvT1_
; %bb.0:
	.section	.rodata,"a",@progbits
	.p2align	6, 0x0
	.amdhsa_kernel _ZN7rocprim17ROCPRIM_400000_NS6detail17trampoline_kernelINS0_14default_configENS1_25partition_config_selectorILNS1_17partition_subalgoE6EN6thrust23THRUST_200600_302600_NS5tupleIttNS7_9null_typeES9_S9_S9_S9_S9_S9_S9_EENS0_10empty_typeEbEEZZNS1_14partition_implILS5_6ELb0ES3_mNS7_12zip_iteratorINS8_INS7_6detail15normal_iteratorINS7_10device_ptrItEEEESJ_S9_S9_S9_S9_S9_S9_S9_S9_EEEEPSB_SM_NS0_5tupleIJNSE_INS8_ISJ_NS7_16discard_iteratorINS7_11use_defaultEEES9_S9_S9_S9_S9_S9_S9_S9_EEEESB_EEENSN_IJSM_SM_EEESB_PlJNSF_9not_fun_tINSF_14equal_to_valueISA_EEEEEEE10hipError_tPvRmT3_T4_T5_T6_T7_T9_mT8_P12ihipStream_tbDpT10_ENKUlT_T0_E_clISt17integral_constantIbLb0EES1J_EEDaS1E_S1F_EUlS1E_E_NS1_11comp_targetILNS1_3genE8ELNS1_11target_archE1030ELNS1_3gpuE2ELNS1_3repE0EEENS1_30default_config_static_selectorELNS0_4arch9wavefront6targetE0EEEvT1_
		.amdhsa_group_segment_fixed_size 0
		.amdhsa_private_segment_fixed_size 0
		.amdhsa_kernarg_size 144
		.amdhsa_user_sgpr_count 2
		.amdhsa_user_sgpr_dispatch_ptr 0
		.amdhsa_user_sgpr_queue_ptr 0
		.amdhsa_user_sgpr_kernarg_segment_ptr 1
		.amdhsa_user_sgpr_dispatch_id 0
		.amdhsa_user_sgpr_private_segment_size 0
		.amdhsa_wavefront_size32 1
		.amdhsa_uses_dynamic_stack 0
		.amdhsa_enable_private_segment 0
		.amdhsa_system_sgpr_workgroup_id_x 1
		.amdhsa_system_sgpr_workgroup_id_y 0
		.amdhsa_system_sgpr_workgroup_id_z 0
		.amdhsa_system_sgpr_workgroup_info 0
		.amdhsa_system_vgpr_workitem_id 0
		.amdhsa_next_free_vgpr 1
		.amdhsa_next_free_sgpr 1
		.amdhsa_reserve_vcc 0
		.amdhsa_float_round_mode_32 0
		.amdhsa_float_round_mode_16_64 0
		.amdhsa_float_denorm_mode_32 3
		.amdhsa_float_denorm_mode_16_64 3
		.amdhsa_fp16_overflow 0
		.amdhsa_workgroup_processor_mode 1
		.amdhsa_memory_ordered 1
		.amdhsa_forward_progress 1
		.amdhsa_inst_pref_size 0
		.amdhsa_round_robin_scheduling 0
		.amdhsa_exception_fp_ieee_invalid_op 0
		.amdhsa_exception_fp_denorm_src 0
		.amdhsa_exception_fp_ieee_div_zero 0
		.amdhsa_exception_fp_ieee_overflow 0
		.amdhsa_exception_fp_ieee_underflow 0
		.amdhsa_exception_fp_ieee_inexact 0
		.amdhsa_exception_int_div_zero 0
	.end_amdhsa_kernel
	.section	.text._ZN7rocprim17ROCPRIM_400000_NS6detail17trampoline_kernelINS0_14default_configENS1_25partition_config_selectorILNS1_17partition_subalgoE6EN6thrust23THRUST_200600_302600_NS5tupleIttNS7_9null_typeES9_S9_S9_S9_S9_S9_S9_EENS0_10empty_typeEbEEZZNS1_14partition_implILS5_6ELb0ES3_mNS7_12zip_iteratorINS8_INS7_6detail15normal_iteratorINS7_10device_ptrItEEEESJ_S9_S9_S9_S9_S9_S9_S9_S9_EEEEPSB_SM_NS0_5tupleIJNSE_INS8_ISJ_NS7_16discard_iteratorINS7_11use_defaultEEES9_S9_S9_S9_S9_S9_S9_S9_EEEESB_EEENSN_IJSM_SM_EEESB_PlJNSF_9not_fun_tINSF_14equal_to_valueISA_EEEEEEE10hipError_tPvRmT3_T4_T5_T6_T7_T9_mT8_P12ihipStream_tbDpT10_ENKUlT_T0_E_clISt17integral_constantIbLb0EES1J_EEDaS1E_S1F_EUlS1E_E_NS1_11comp_targetILNS1_3genE8ELNS1_11target_archE1030ELNS1_3gpuE2ELNS1_3repE0EEENS1_30default_config_static_selectorELNS0_4arch9wavefront6targetE0EEEvT1_,"axG",@progbits,_ZN7rocprim17ROCPRIM_400000_NS6detail17trampoline_kernelINS0_14default_configENS1_25partition_config_selectorILNS1_17partition_subalgoE6EN6thrust23THRUST_200600_302600_NS5tupleIttNS7_9null_typeES9_S9_S9_S9_S9_S9_S9_EENS0_10empty_typeEbEEZZNS1_14partition_implILS5_6ELb0ES3_mNS7_12zip_iteratorINS8_INS7_6detail15normal_iteratorINS7_10device_ptrItEEEESJ_S9_S9_S9_S9_S9_S9_S9_S9_EEEEPSB_SM_NS0_5tupleIJNSE_INS8_ISJ_NS7_16discard_iteratorINS7_11use_defaultEEES9_S9_S9_S9_S9_S9_S9_S9_EEEESB_EEENSN_IJSM_SM_EEESB_PlJNSF_9not_fun_tINSF_14equal_to_valueISA_EEEEEEE10hipError_tPvRmT3_T4_T5_T6_T7_T9_mT8_P12ihipStream_tbDpT10_ENKUlT_T0_E_clISt17integral_constantIbLb0EES1J_EEDaS1E_S1F_EUlS1E_E_NS1_11comp_targetILNS1_3genE8ELNS1_11target_archE1030ELNS1_3gpuE2ELNS1_3repE0EEENS1_30default_config_static_selectorELNS0_4arch9wavefront6targetE0EEEvT1_,comdat
.Lfunc_end1956:
	.size	_ZN7rocprim17ROCPRIM_400000_NS6detail17trampoline_kernelINS0_14default_configENS1_25partition_config_selectorILNS1_17partition_subalgoE6EN6thrust23THRUST_200600_302600_NS5tupleIttNS7_9null_typeES9_S9_S9_S9_S9_S9_S9_EENS0_10empty_typeEbEEZZNS1_14partition_implILS5_6ELb0ES3_mNS7_12zip_iteratorINS8_INS7_6detail15normal_iteratorINS7_10device_ptrItEEEESJ_S9_S9_S9_S9_S9_S9_S9_S9_EEEEPSB_SM_NS0_5tupleIJNSE_INS8_ISJ_NS7_16discard_iteratorINS7_11use_defaultEEES9_S9_S9_S9_S9_S9_S9_S9_EEEESB_EEENSN_IJSM_SM_EEESB_PlJNSF_9not_fun_tINSF_14equal_to_valueISA_EEEEEEE10hipError_tPvRmT3_T4_T5_T6_T7_T9_mT8_P12ihipStream_tbDpT10_ENKUlT_T0_E_clISt17integral_constantIbLb0EES1J_EEDaS1E_S1F_EUlS1E_E_NS1_11comp_targetILNS1_3genE8ELNS1_11target_archE1030ELNS1_3gpuE2ELNS1_3repE0EEENS1_30default_config_static_selectorELNS0_4arch9wavefront6targetE0EEEvT1_, .Lfunc_end1956-_ZN7rocprim17ROCPRIM_400000_NS6detail17trampoline_kernelINS0_14default_configENS1_25partition_config_selectorILNS1_17partition_subalgoE6EN6thrust23THRUST_200600_302600_NS5tupleIttNS7_9null_typeES9_S9_S9_S9_S9_S9_S9_EENS0_10empty_typeEbEEZZNS1_14partition_implILS5_6ELb0ES3_mNS7_12zip_iteratorINS8_INS7_6detail15normal_iteratorINS7_10device_ptrItEEEESJ_S9_S9_S9_S9_S9_S9_S9_S9_EEEEPSB_SM_NS0_5tupleIJNSE_INS8_ISJ_NS7_16discard_iteratorINS7_11use_defaultEEES9_S9_S9_S9_S9_S9_S9_S9_EEEESB_EEENSN_IJSM_SM_EEESB_PlJNSF_9not_fun_tINSF_14equal_to_valueISA_EEEEEEE10hipError_tPvRmT3_T4_T5_T6_T7_T9_mT8_P12ihipStream_tbDpT10_ENKUlT_T0_E_clISt17integral_constantIbLb0EES1J_EEDaS1E_S1F_EUlS1E_E_NS1_11comp_targetILNS1_3genE8ELNS1_11target_archE1030ELNS1_3gpuE2ELNS1_3repE0EEENS1_30default_config_static_selectorELNS0_4arch9wavefront6targetE0EEEvT1_
                                        ; -- End function
	.set _ZN7rocprim17ROCPRIM_400000_NS6detail17trampoline_kernelINS0_14default_configENS1_25partition_config_selectorILNS1_17partition_subalgoE6EN6thrust23THRUST_200600_302600_NS5tupleIttNS7_9null_typeES9_S9_S9_S9_S9_S9_S9_EENS0_10empty_typeEbEEZZNS1_14partition_implILS5_6ELb0ES3_mNS7_12zip_iteratorINS8_INS7_6detail15normal_iteratorINS7_10device_ptrItEEEESJ_S9_S9_S9_S9_S9_S9_S9_S9_EEEEPSB_SM_NS0_5tupleIJNSE_INS8_ISJ_NS7_16discard_iteratorINS7_11use_defaultEEES9_S9_S9_S9_S9_S9_S9_S9_EEEESB_EEENSN_IJSM_SM_EEESB_PlJNSF_9not_fun_tINSF_14equal_to_valueISA_EEEEEEE10hipError_tPvRmT3_T4_T5_T6_T7_T9_mT8_P12ihipStream_tbDpT10_ENKUlT_T0_E_clISt17integral_constantIbLb0EES1J_EEDaS1E_S1F_EUlS1E_E_NS1_11comp_targetILNS1_3genE8ELNS1_11target_archE1030ELNS1_3gpuE2ELNS1_3repE0EEENS1_30default_config_static_selectorELNS0_4arch9wavefront6targetE0EEEvT1_.num_vgpr, 0
	.set _ZN7rocprim17ROCPRIM_400000_NS6detail17trampoline_kernelINS0_14default_configENS1_25partition_config_selectorILNS1_17partition_subalgoE6EN6thrust23THRUST_200600_302600_NS5tupleIttNS7_9null_typeES9_S9_S9_S9_S9_S9_S9_EENS0_10empty_typeEbEEZZNS1_14partition_implILS5_6ELb0ES3_mNS7_12zip_iteratorINS8_INS7_6detail15normal_iteratorINS7_10device_ptrItEEEESJ_S9_S9_S9_S9_S9_S9_S9_S9_EEEEPSB_SM_NS0_5tupleIJNSE_INS8_ISJ_NS7_16discard_iteratorINS7_11use_defaultEEES9_S9_S9_S9_S9_S9_S9_S9_EEEESB_EEENSN_IJSM_SM_EEESB_PlJNSF_9not_fun_tINSF_14equal_to_valueISA_EEEEEEE10hipError_tPvRmT3_T4_T5_T6_T7_T9_mT8_P12ihipStream_tbDpT10_ENKUlT_T0_E_clISt17integral_constantIbLb0EES1J_EEDaS1E_S1F_EUlS1E_E_NS1_11comp_targetILNS1_3genE8ELNS1_11target_archE1030ELNS1_3gpuE2ELNS1_3repE0EEENS1_30default_config_static_selectorELNS0_4arch9wavefront6targetE0EEEvT1_.num_agpr, 0
	.set _ZN7rocprim17ROCPRIM_400000_NS6detail17trampoline_kernelINS0_14default_configENS1_25partition_config_selectorILNS1_17partition_subalgoE6EN6thrust23THRUST_200600_302600_NS5tupleIttNS7_9null_typeES9_S9_S9_S9_S9_S9_S9_EENS0_10empty_typeEbEEZZNS1_14partition_implILS5_6ELb0ES3_mNS7_12zip_iteratorINS8_INS7_6detail15normal_iteratorINS7_10device_ptrItEEEESJ_S9_S9_S9_S9_S9_S9_S9_S9_EEEEPSB_SM_NS0_5tupleIJNSE_INS8_ISJ_NS7_16discard_iteratorINS7_11use_defaultEEES9_S9_S9_S9_S9_S9_S9_S9_EEEESB_EEENSN_IJSM_SM_EEESB_PlJNSF_9not_fun_tINSF_14equal_to_valueISA_EEEEEEE10hipError_tPvRmT3_T4_T5_T6_T7_T9_mT8_P12ihipStream_tbDpT10_ENKUlT_T0_E_clISt17integral_constantIbLb0EES1J_EEDaS1E_S1F_EUlS1E_E_NS1_11comp_targetILNS1_3genE8ELNS1_11target_archE1030ELNS1_3gpuE2ELNS1_3repE0EEENS1_30default_config_static_selectorELNS0_4arch9wavefront6targetE0EEEvT1_.numbered_sgpr, 0
	.set _ZN7rocprim17ROCPRIM_400000_NS6detail17trampoline_kernelINS0_14default_configENS1_25partition_config_selectorILNS1_17partition_subalgoE6EN6thrust23THRUST_200600_302600_NS5tupleIttNS7_9null_typeES9_S9_S9_S9_S9_S9_S9_EENS0_10empty_typeEbEEZZNS1_14partition_implILS5_6ELb0ES3_mNS7_12zip_iteratorINS8_INS7_6detail15normal_iteratorINS7_10device_ptrItEEEESJ_S9_S9_S9_S9_S9_S9_S9_S9_EEEEPSB_SM_NS0_5tupleIJNSE_INS8_ISJ_NS7_16discard_iteratorINS7_11use_defaultEEES9_S9_S9_S9_S9_S9_S9_S9_EEEESB_EEENSN_IJSM_SM_EEESB_PlJNSF_9not_fun_tINSF_14equal_to_valueISA_EEEEEEE10hipError_tPvRmT3_T4_T5_T6_T7_T9_mT8_P12ihipStream_tbDpT10_ENKUlT_T0_E_clISt17integral_constantIbLb0EES1J_EEDaS1E_S1F_EUlS1E_E_NS1_11comp_targetILNS1_3genE8ELNS1_11target_archE1030ELNS1_3gpuE2ELNS1_3repE0EEENS1_30default_config_static_selectorELNS0_4arch9wavefront6targetE0EEEvT1_.num_named_barrier, 0
	.set _ZN7rocprim17ROCPRIM_400000_NS6detail17trampoline_kernelINS0_14default_configENS1_25partition_config_selectorILNS1_17partition_subalgoE6EN6thrust23THRUST_200600_302600_NS5tupleIttNS7_9null_typeES9_S9_S9_S9_S9_S9_S9_EENS0_10empty_typeEbEEZZNS1_14partition_implILS5_6ELb0ES3_mNS7_12zip_iteratorINS8_INS7_6detail15normal_iteratorINS7_10device_ptrItEEEESJ_S9_S9_S9_S9_S9_S9_S9_S9_EEEEPSB_SM_NS0_5tupleIJNSE_INS8_ISJ_NS7_16discard_iteratorINS7_11use_defaultEEES9_S9_S9_S9_S9_S9_S9_S9_EEEESB_EEENSN_IJSM_SM_EEESB_PlJNSF_9not_fun_tINSF_14equal_to_valueISA_EEEEEEE10hipError_tPvRmT3_T4_T5_T6_T7_T9_mT8_P12ihipStream_tbDpT10_ENKUlT_T0_E_clISt17integral_constantIbLb0EES1J_EEDaS1E_S1F_EUlS1E_E_NS1_11comp_targetILNS1_3genE8ELNS1_11target_archE1030ELNS1_3gpuE2ELNS1_3repE0EEENS1_30default_config_static_selectorELNS0_4arch9wavefront6targetE0EEEvT1_.private_seg_size, 0
	.set _ZN7rocprim17ROCPRIM_400000_NS6detail17trampoline_kernelINS0_14default_configENS1_25partition_config_selectorILNS1_17partition_subalgoE6EN6thrust23THRUST_200600_302600_NS5tupleIttNS7_9null_typeES9_S9_S9_S9_S9_S9_S9_EENS0_10empty_typeEbEEZZNS1_14partition_implILS5_6ELb0ES3_mNS7_12zip_iteratorINS8_INS7_6detail15normal_iteratorINS7_10device_ptrItEEEESJ_S9_S9_S9_S9_S9_S9_S9_S9_EEEEPSB_SM_NS0_5tupleIJNSE_INS8_ISJ_NS7_16discard_iteratorINS7_11use_defaultEEES9_S9_S9_S9_S9_S9_S9_S9_EEEESB_EEENSN_IJSM_SM_EEESB_PlJNSF_9not_fun_tINSF_14equal_to_valueISA_EEEEEEE10hipError_tPvRmT3_T4_T5_T6_T7_T9_mT8_P12ihipStream_tbDpT10_ENKUlT_T0_E_clISt17integral_constantIbLb0EES1J_EEDaS1E_S1F_EUlS1E_E_NS1_11comp_targetILNS1_3genE8ELNS1_11target_archE1030ELNS1_3gpuE2ELNS1_3repE0EEENS1_30default_config_static_selectorELNS0_4arch9wavefront6targetE0EEEvT1_.uses_vcc, 0
	.set _ZN7rocprim17ROCPRIM_400000_NS6detail17trampoline_kernelINS0_14default_configENS1_25partition_config_selectorILNS1_17partition_subalgoE6EN6thrust23THRUST_200600_302600_NS5tupleIttNS7_9null_typeES9_S9_S9_S9_S9_S9_S9_EENS0_10empty_typeEbEEZZNS1_14partition_implILS5_6ELb0ES3_mNS7_12zip_iteratorINS8_INS7_6detail15normal_iteratorINS7_10device_ptrItEEEESJ_S9_S9_S9_S9_S9_S9_S9_S9_EEEEPSB_SM_NS0_5tupleIJNSE_INS8_ISJ_NS7_16discard_iteratorINS7_11use_defaultEEES9_S9_S9_S9_S9_S9_S9_S9_EEEESB_EEENSN_IJSM_SM_EEESB_PlJNSF_9not_fun_tINSF_14equal_to_valueISA_EEEEEEE10hipError_tPvRmT3_T4_T5_T6_T7_T9_mT8_P12ihipStream_tbDpT10_ENKUlT_T0_E_clISt17integral_constantIbLb0EES1J_EEDaS1E_S1F_EUlS1E_E_NS1_11comp_targetILNS1_3genE8ELNS1_11target_archE1030ELNS1_3gpuE2ELNS1_3repE0EEENS1_30default_config_static_selectorELNS0_4arch9wavefront6targetE0EEEvT1_.uses_flat_scratch, 0
	.set _ZN7rocprim17ROCPRIM_400000_NS6detail17trampoline_kernelINS0_14default_configENS1_25partition_config_selectorILNS1_17partition_subalgoE6EN6thrust23THRUST_200600_302600_NS5tupleIttNS7_9null_typeES9_S9_S9_S9_S9_S9_S9_EENS0_10empty_typeEbEEZZNS1_14partition_implILS5_6ELb0ES3_mNS7_12zip_iteratorINS8_INS7_6detail15normal_iteratorINS7_10device_ptrItEEEESJ_S9_S9_S9_S9_S9_S9_S9_S9_EEEEPSB_SM_NS0_5tupleIJNSE_INS8_ISJ_NS7_16discard_iteratorINS7_11use_defaultEEES9_S9_S9_S9_S9_S9_S9_S9_EEEESB_EEENSN_IJSM_SM_EEESB_PlJNSF_9not_fun_tINSF_14equal_to_valueISA_EEEEEEE10hipError_tPvRmT3_T4_T5_T6_T7_T9_mT8_P12ihipStream_tbDpT10_ENKUlT_T0_E_clISt17integral_constantIbLb0EES1J_EEDaS1E_S1F_EUlS1E_E_NS1_11comp_targetILNS1_3genE8ELNS1_11target_archE1030ELNS1_3gpuE2ELNS1_3repE0EEENS1_30default_config_static_selectorELNS0_4arch9wavefront6targetE0EEEvT1_.has_dyn_sized_stack, 0
	.set _ZN7rocprim17ROCPRIM_400000_NS6detail17trampoline_kernelINS0_14default_configENS1_25partition_config_selectorILNS1_17partition_subalgoE6EN6thrust23THRUST_200600_302600_NS5tupleIttNS7_9null_typeES9_S9_S9_S9_S9_S9_S9_EENS0_10empty_typeEbEEZZNS1_14partition_implILS5_6ELb0ES3_mNS7_12zip_iteratorINS8_INS7_6detail15normal_iteratorINS7_10device_ptrItEEEESJ_S9_S9_S9_S9_S9_S9_S9_S9_EEEEPSB_SM_NS0_5tupleIJNSE_INS8_ISJ_NS7_16discard_iteratorINS7_11use_defaultEEES9_S9_S9_S9_S9_S9_S9_S9_EEEESB_EEENSN_IJSM_SM_EEESB_PlJNSF_9not_fun_tINSF_14equal_to_valueISA_EEEEEEE10hipError_tPvRmT3_T4_T5_T6_T7_T9_mT8_P12ihipStream_tbDpT10_ENKUlT_T0_E_clISt17integral_constantIbLb0EES1J_EEDaS1E_S1F_EUlS1E_E_NS1_11comp_targetILNS1_3genE8ELNS1_11target_archE1030ELNS1_3gpuE2ELNS1_3repE0EEENS1_30default_config_static_selectorELNS0_4arch9wavefront6targetE0EEEvT1_.has_recursion, 0
	.set _ZN7rocprim17ROCPRIM_400000_NS6detail17trampoline_kernelINS0_14default_configENS1_25partition_config_selectorILNS1_17partition_subalgoE6EN6thrust23THRUST_200600_302600_NS5tupleIttNS7_9null_typeES9_S9_S9_S9_S9_S9_S9_EENS0_10empty_typeEbEEZZNS1_14partition_implILS5_6ELb0ES3_mNS7_12zip_iteratorINS8_INS7_6detail15normal_iteratorINS7_10device_ptrItEEEESJ_S9_S9_S9_S9_S9_S9_S9_S9_EEEEPSB_SM_NS0_5tupleIJNSE_INS8_ISJ_NS7_16discard_iteratorINS7_11use_defaultEEES9_S9_S9_S9_S9_S9_S9_S9_EEEESB_EEENSN_IJSM_SM_EEESB_PlJNSF_9not_fun_tINSF_14equal_to_valueISA_EEEEEEE10hipError_tPvRmT3_T4_T5_T6_T7_T9_mT8_P12ihipStream_tbDpT10_ENKUlT_T0_E_clISt17integral_constantIbLb0EES1J_EEDaS1E_S1F_EUlS1E_E_NS1_11comp_targetILNS1_3genE8ELNS1_11target_archE1030ELNS1_3gpuE2ELNS1_3repE0EEENS1_30default_config_static_selectorELNS0_4arch9wavefront6targetE0EEEvT1_.has_indirect_call, 0
	.section	.AMDGPU.csdata,"",@progbits
; Kernel info:
; codeLenInByte = 0
; TotalNumSgprs: 0
; NumVgprs: 0
; ScratchSize: 0
; MemoryBound: 0
; FloatMode: 240
; IeeeMode: 1
; LDSByteSize: 0 bytes/workgroup (compile time only)
; SGPRBlocks: 0
; VGPRBlocks: 0
; NumSGPRsForWavesPerEU: 1
; NumVGPRsForWavesPerEU: 1
; Occupancy: 16
; WaveLimiterHint : 0
; COMPUTE_PGM_RSRC2:SCRATCH_EN: 0
; COMPUTE_PGM_RSRC2:USER_SGPR: 2
; COMPUTE_PGM_RSRC2:TRAP_HANDLER: 0
; COMPUTE_PGM_RSRC2:TGID_X_EN: 1
; COMPUTE_PGM_RSRC2:TGID_Y_EN: 0
; COMPUTE_PGM_RSRC2:TGID_Z_EN: 0
; COMPUTE_PGM_RSRC2:TIDIG_COMP_CNT: 0
	.section	.text._ZN7rocprim17ROCPRIM_400000_NS6detail17trampoline_kernelINS0_14default_configENS1_25partition_config_selectorILNS1_17partition_subalgoE6EN6thrust23THRUST_200600_302600_NS5tupleIttNS7_9null_typeES9_S9_S9_S9_S9_S9_S9_EENS0_10empty_typeEbEEZZNS1_14partition_implILS5_6ELb0ES3_mNS7_12zip_iteratorINS8_INS7_6detail15normal_iteratorINS7_10device_ptrItEEEESJ_S9_S9_S9_S9_S9_S9_S9_S9_EEEEPSB_SM_NS0_5tupleIJNSE_INS8_ISJ_NS7_16discard_iteratorINS7_11use_defaultEEES9_S9_S9_S9_S9_S9_S9_S9_EEEESB_EEENSN_IJSM_SM_EEESB_PlJNSF_9not_fun_tINSF_14equal_to_valueISA_EEEEEEE10hipError_tPvRmT3_T4_T5_T6_T7_T9_mT8_P12ihipStream_tbDpT10_ENKUlT_T0_E_clISt17integral_constantIbLb1EES1J_EEDaS1E_S1F_EUlS1E_E_NS1_11comp_targetILNS1_3genE0ELNS1_11target_archE4294967295ELNS1_3gpuE0ELNS1_3repE0EEENS1_30default_config_static_selectorELNS0_4arch9wavefront6targetE0EEEvT1_,"axG",@progbits,_ZN7rocprim17ROCPRIM_400000_NS6detail17trampoline_kernelINS0_14default_configENS1_25partition_config_selectorILNS1_17partition_subalgoE6EN6thrust23THRUST_200600_302600_NS5tupleIttNS7_9null_typeES9_S9_S9_S9_S9_S9_S9_EENS0_10empty_typeEbEEZZNS1_14partition_implILS5_6ELb0ES3_mNS7_12zip_iteratorINS8_INS7_6detail15normal_iteratorINS7_10device_ptrItEEEESJ_S9_S9_S9_S9_S9_S9_S9_S9_EEEEPSB_SM_NS0_5tupleIJNSE_INS8_ISJ_NS7_16discard_iteratorINS7_11use_defaultEEES9_S9_S9_S9_S9_S9_S9_S9_EEEESB_EEENSN_IJSM_SM_EEESB_PlJNSF_9not_fun_tINSF_14equal_to_valueISA_EEEEEEE10hipError_tPvRmT3_T4_T5_T6_T7_T9_mT8_P12ihipStream_tbDpT10_ENKUlT_T0_E_clISt17integral_constantIbLb1EES1J_EEDaS1E_S1F_EUlS1E_E_NS1_11comp_targetILNS1_3genE0ELNS1_11target_archE4294967295ELNS1_3gpuE0ELNS1_3repE0EEENS1_30default_config_static_selectorELNS0_4arch9wavefront6targetE0EEEvT1_,comdat
	.protected	_ZN7rocprim17ROCPRIM_400000_NS6detail17trampoline_kernelINS0_14default_configENS1_25partition_config_selectorILNS1_17partition_subalgoE6EN6thrust23THRUST_200600_302600_NS5tupleIttNS7_9null_typeES9_S9_S9_S9_S9_S9_S9_EENS0_10empty_typeEbEEZZNS1_14partition_implILS5_6ELb0ES3_mNS7_12zip_iteratorINS8_INS7_6detail15normal_iteratorINS7_10device_ptrItEEEESJ_S9_S9_S9_S9_S9_S9_S9_S9_EEEEPSB_SM_NS0_5tupleIJNSE_INS8_ISJ_NS7_16discard_iteratorINS7_11use_defaultEEES9_S9_S9_S9_S9_S9_S9_S9_EEEESB_EEENSN_IJSM_SM_EEESB_PlJNSF_9not_fun_tINSF_14equal_to_valueISA_EEEEEEE10hipError_tPvRmT3_T4_T5_T6_T7_T9_mT8_P12ihipStream_tbDpT10_ENKUlT_T0_E_clISt17integral_constantIbLb1EES1J_EEDaS1E_S1F_EUlS1E_E_NS1_11comp_targetILNS1_3genE0ELNS1_11target_archE4294967295ELNS1_3gpuE0ELNS1_3repE0EEENS1_30default_config_static_selectorELNS0_4arch9wavefront6targetE0EEEvT1_ ; -- Begin function _ZN7rocprim17ROCPRIM_400000_NS6detail17trampoline_kernelINS0_14default_configENS1_25partition_config_selectorILNS1_17partition_subalgoE6EN6thrust23THRUST_200600_302600_NS5tupleIttNS7_9null_typeES9_S9_S9_S9_S9_S9_S9_EENS0_10empty_typeEbEEZZNS1_14partition_implILS5_6ELb0ES3_mNS7_12zip_iteratorINS8_INS7_6detail15normal_iteratorINS7_10device_ptrItEEEESJ_S9_S9_S9_S9_S9_S9_S9_S9_EEEEPSB_SM_NS0_5tupleIJNSE_INS8_ISJ_NS7_16discard_iteratorINS7_11use_defaultEEES9_S9_S9_S9_S9_S9_S9_S9_EEEESB_EEENSN_IJSM_SM_EEESB_PlJNSF_9not_fun_tINSF_14equal_to_valueISA_EEEEEEE10hipError_tPvRmT3_T4_T5_T6_T7_T9_mT8_P12ihipStream_tbDpT10_ENKUlT_T0_E_clISt17integral_constantIbLb1EES1J_EEDaS1E_S1F_EUlS1E_E_NS1_11comp_targetILNS1_3genE0ELNS1_11target_archE4294967295ELNS1_3gpuE0ELNS1_3repE0EEENS1_30default_config_static_selectorELNS0_4arch9wavefront6targetE0EEEvT1_
	.globl	_ZN7rocprim17ROCPRIM_400000_NS6detail17trampoline_kernelINS0_14default_configENS1_25partition_config_selectorILNS1_17partition_subalgoE6EN6thrust23THRUST_200600_302600_NS5tupleIttNS7_9null_typeES9_S9_S9_S9_S9_S9_S9_EENS0_10empty_typeEbEEZZNS1_14partition_implILS5_6ELb0ES3_mNS7_12zip_iteratorINS8_INS7_6detail15normal_iteratorINS7_10device_ptrItEEEESJ_S9_S9_S9_S9_S9_S9_S9_S9_EEEEPSB_SM_NS0_5tupleIJNSE_INS8_ISJ_NS7_16discard_iteratorINS7_11use_defaultEEES9_S9_S9_S9_S9_S9_S9_S9_EEEESB_EEENSN_IJSM_SM_EEESB_PlJNSF_9not_fun_tINSF_14equal_to_valueISA_EEEEEEE10hipError_tPvRmT3_T4_T5_T6_T7_T9_mT8_P12ihipStream_tbDpT10_ENKUlT_T0_E_clISt17integral_constantIbLb1EES1J_EEDaS1E_S1F_EUlS1E_E_NS1_11comp_targetILNS1_3genE0ELNS1_11target_archE4294967295ELNS1_3gpuE0ELNS1_3repE0EEENS1_30default_config_static_selectorELNS0_4arch9wavefront6targetE0EEEvT1_
	.p2align	8
	.type	_ZN7rocprim17ROCPRIM_400000_NS6detail17trampoline_kernelINS0_14default_configENS1_25partition_config_selectorILNS1_17partition_subalgoE6EN6thrust23THRUST_200600_302600_NS5tupleIttNS7_9null_typeES9_S9_S9_S9_S9_S9_S9_EENS0_10empty_typeEbEEZZNS1_14partition_implILS5_6ELb0ES3_mNS7_12zip_iteratorINS8_INS7_6detail15normal_iteratorINS7_10device_ptrItEEEESJ_S9_S9_S9_S9_S9_S9_S9_S9_EEEEPSB_SM_NS0_5tupleIJNSE_INS8_ISJ_NS7_16discard_iteratorINS7_11use_defaultEEES9_S9_S9_S9_S9_S9_S9_S9_EEEESB_EEENSN_IJSM_SM_EEESB_PlJNSF_9not_fun_tINSF_14equal_to_valueISA_EEEEEEE10hipError_tPvRmT3_T4_T5_T6_T7_T9_mT8_P12ihipStream_tbDpT10_ENKUlT_T0_E_clISt17integral_constantIbLb1EES1J_EEDaS1E_S1F_EUlS1E_E_NS1_11comp_targetILNS1_3genE0ELNS1_11target_archE4294967295ELNS1_3gpuE0ELNS1_3repE0EEENS1_30default_config_static_selectorELNS0_4arch9wavefront6targetE0EEEvT1_,@function
_ZN7rocprim17ROCPRIM_400000_NS6detail17trampoline_kernelINS0_14default_configENS1_25partition_config_selectorILNS1_17partition_subalgoE6EN6thrust23THRUST_200600_302600_NS5tupleIttNS7_9null_typeES9_S9_S9_S9_S9_S9_S9_EENS0_10empty_typeEbEEZZNS1_14partition_implILS5_6ELb0ES3_mNS7_12zip_iteratorINS8_INS7_6detail15normal_iteratorINS7_10device_ptrItEEEESJ_S9_S9_S9_S9_S9_S9_S9_S9_EEEEPSB_SM_NS0_5tupleIJNSE_INS8_ISJ_NS7_16discard_iteratorINS7_11use_defaultEEES9_S9_S9_S9_S9_S9_S9_S9_EEEESB_EEENSN_IJSM_SM_EEESB_PlJNSF_9not_fun_tINSF_14equal_to_valueISA_EEEEEEE10hipError_tPvRmT3_T4_T5_T6_T7_T9_mT8_P12ihipStream_tbDpT10_ENKUlT_T0_E_clISt17integral_constantIbLb1EES1J_EEDaS1E_S1F_EUlS1E_E_NS1_11comp_targetILNS1_3genE0ELNS1_11target_archE4294967295ELNS1_3gpuE0ELNS1_3repE0EEENS1_30default_config_static_selectorELNS0_4arch9wavefront6targetE0EEEvT1_: ; @_ZN7rocprim17ROCPRIM_400000_NS6detail17trampoline_kernelINS0_14default_configENS1_25partition_config_selectorILNS1_17partition_subalgoE6EN6thrust23THRUST_200600_302600_NS5tupleIttNS7_9null_typeES9_S9_S9_S9_S9_S9_S9_EENS0_10empty_typeEbEEZZNS1_14partition_implILS5_6ELb0ES3_mNS7_12zip_iteratorINS8_INS7_6detail15normal_iteratorINS7_10device_ptrItEEEESJ_S9_S9_S9_S9_S9_S9_S9_S9_EEEEPSB_SM_NS0_5tupleIJNSE_INS8_ISJ_NS7_16discard_iteratorINS7_11use_defaultEEES9_S9_S9_S9_S9_S9_S9_S9_EEEESB_EEENSN_IJSM_SM_EEESB_PlJNSF_9not_fun_tINSF_14equal_to_valueISA_EEEEEEE10hipError_tPvRmT3_T4_T5_T6_T7_T9_mT8_P12ihipStream_tbDpT10_ENKUlT_T0_E_clISt17integral_constantIbLb1EES1J_EEDaS1E_S1F_EUlS1E_E_NS1_11comp_targetILNS1_3genE0ELNS1_11target_archE4294967295ELNS1_3gpuE0ELNS1_3repE0EEENS1_30default_config_static_selectorELNS0_4arch9wavefront6targetE0EEEvT1_
; %bb.0:
	.section	.rodata,"a",@progbits
	.p2align	6, 0x0
	.amdhsa_kernel _ZN7rocprim17ROCPRIM_400000_NS6detail17trampoline_kernelINS0_14default_configENS1_25partition_config_selectorILNS1_17partition_subalgoE6EN6thrust23THRUST_200600_302600_NS5tupleIttNS7_9null_typeES9_S9_S9_S9_S9_S9_S9_EENS0_10empty_typeEbEEZZNS1_14partition_implILS5_6ELb0ES3_mNS7_12zip_iteratorINS8_INS7_6detail15normal_iteratorINS7_10device_ptrItEEEESJ_S9_S9_S9_S9_S9_S9_S9_S9_EEEEPSB_SM_NS0_5tupleIJNSE_INS8_ISJ_NS7_16discard_iteratorINS7_11use_defaultEEES9_S9_S9_S9_S9_S9_S9_S9_EEEESB_EEENSN_IJSM_SM_EEESB_PlJNSF_9not_fun_tINSF_14equal_to_valueISA_EEEEEEE10hipError_tPvRmT3_T4_T5_T6_T7_T9_mT8_P12ihipStream_tbDpT10_ENKUlT_T0_E_clISt17integral_constantIbLb1EES1J_EEDaS1E_S1F_EUlS1E_E_NS1_11comp_targetILNS1_3genE0ELNS1_11target_archE4294967295ELNS1_3gpuE0ELNS1_3repE0EEENS1_30default_config_static_selectorELNS0_4arch9wavefront6targetE0EEEvT1_
		.amdhsa_group_segment_fixed_size 0
		.amdhsa_private_segment_fixed_size 0
		.amdhsa_kernarg_size 152
		.amdhsa_user_sgpr_count 2
		.amdhsa_user_sgpr_dispatch_ptr 0
		.amdhsa_user_sgpr_queue_ptr 0
		.amdhsa_user_sgpr_kernarg_segment_ptr 1
		.amdhsa_user_sgpr_dispatch_id 0
		.amdhsa_user_sgpr_private_segment_size 0
		.amdhsa_wavefront_size32 1
		.amdhsa_uses_dynamic_stack 0
		.amdhsa_enable_private_segment 0
		.amdhsa_system_sgpr_workgroup_id_x 1
		.amdhsa_system_sgpr_workgroup_id_y 0
		.amdhsa_system_sgpr_workgroup_id_z 0
		.amdhsa_system_sgpr_workgroup_info 0
		.amdhsa_system_vgpr_workitem_id 0
		.amdhsa_next_free_vgpr 1
		.amdhsa_next_free_sgpr 1
		.amdhsa_reserve_vcc 0
		.amdhsa_float_round_mode_32 0
		.amdhsa_float_round_mode_16_64 0
		.amdhsa_float_denorm_mode_32 3
		.amdhsa_float_denorm_mode_16_64 3
		.amdhsa_fp16_overflow 0
		.amdhsa_workgroup_processor_mode 1
		.amdhsa_memory_ordered 1
		.amdhsa_forward_progress 1
		.amdhsa_inst_pref_size 0
		.amdhsa_round_robin_scheduling 0
		.amdhsa_exception_fp_ieee_invalid_op 0
		.amdhsa_exception_fp_denorm_src 0
		.amdhsa_exception_fp_ieee_div_zero 0
		.amdhsa_exception_fp_ieee_overflow 0
		.amdhsa_exception_fp_ieee_underflow 0
		.amdhsa_exception_fp_ieee_inexact 0
		.amdhsa_exception_int_div_zero 0
	.end_amdhsa_kernel
	.section	.text._ZN7rocprim17ROCPRIM_400000_NS6detail17trampoline_kernelINS0_14default_configENS1_25partition_config_selectorILNS1_17partition_subalgoE6EN6thrust23THRUST_200600_302600_NS5tupleIttNS7_9null_typeES9_S9_S9_S9_S9_S9_S9_EENS0_10empty_typeEbEEZZNS1_14partition_implILS5_6ELb0ES3_mNS7_12zip_iteratorINS8_INS7_6detail15normal_iteratorINS7_10device_ptrItEEEESJ_S9_S9_S9_S9_S9_S9_S9_S9_EEEEPSB_SM_NS0_5tupleIJNSE_INS8_ISJ_NS7_16discard_iteratorINS7_11use_defaultEEES9_S9_S9_S9_S9_S9_S9_S9_EEEESB_EEENSN_IJSM_SM_EEESB_PlJNSF_9not_fun_tINSF_14equal_to_valueISA_EEEEEEE10hipError_tPvRmT3_T4_T5_T6_T7_T9_mT8_P12ihipStream_tbDpT10_ENKUlT_T0_E_clISt17integral_constantIbLb1EES1J_EEDaS1E_S1F_EUlS1E_E_NS1_11comp_targetILNS1_3genE0ELNS1_11target_archE4294967295ELNS1_3gpuE0ELNS1_3repE0EEENS1_30default_config_static_selectorELNS0_4arch9wavefront6targetE0EEEvT1_,"axG",@progbits,_ZN7rocprim17ROCPRIM_400000_NS6detail17trampoline_kernelINS0_14default_configENS1_25partition_config_selectorILNS1_17partition_subalgoE6EN6thrust23THRUST_200600_302600_NS5tupleIttNS7_9null_typeES9_S9_S9_S9_S9_S9_S9_EENS0_10empty_typeEbEEZZNS1_14partition_implILS5_6ELb0ES3_mNS7_12zip_iteratorINS8_INS7_6detail15normal_iteratorINS7_10device_ptrItEEEESJ_S9_S9_S9_S9_S9_S9_S9_S9_EEEEPSB_SM_NS0_5tupleIJNSE_INS8_ISJ_NS7_16discard_iteratorINS7_11use_defaultEEES9_S9_S9_S9_S9_S9_S9_S9_EEEESB_EEENSN_IJSM_SM_EEESB_PlJNSF_9not_fun_tINSF_14equal_to_valueISA_EEEEEEE10hipError_tPvRmT3_T4_T5_T6_T7_T9_mT8_P12ihipStream_tbDpT10_ENKUlT_T0_E_clISt17integral_constantIbLb1EES1J_EEDaS1E_S1F_EUlS1E_E_NS1_11comp_targetILNS1_3genE0ELNS1_11target_archE4294967295ELNS1_3gpuE0ELNS1_3repE0EEENS1_30default_config_static_selectorELNS0_4arch9wavefront6targetE0EEEvT1_,comdat
.Lfunc_end1957:
	.size	_ZN7rocprim17ROCPRIM_400000_NS6detail17trampoline_kernelINS0_14default_configENS1_25partition_config_selectorILNS1_17partition_subalgoE6EN6thrust23THRUST_200600_302600_NS5tupleIttNS7_9null_typeES9_S9_S9_S9_S9_S9_S9_EENS0_10empty_typeEbEEZZNS1_14partition_implILS5_6ELb0ES3_mNS7_12zip_iteratorINS8_INS7_6detail15normal_iteratorINS7_10device_ptrItEEEESJ_S9_S9_S9_S9_S9_S9_S9_S9_EEEEPSB_SM_NS0_5tupleIJNSE_INS8_ISJ_NS7_16discard_iteratorINS7_11use_defaultEEES9_S9_S9_S9_S9_S9_S9_S9_EEEESB_EEENSN_IJSM_SM_EEESB_PlJNSF_9not_fun_tINSF_14equal_to_valueISA_EEEEEEE10hipError_tPvRmT3_T4_T5_T6_T7_T9_mT8_P12ihipStream_tbDpT10_ENKUlT_T0_E_clISt17integral_constantIbLb1EES1J_EEDaS1E_S1F_EUlS1E_E_NS1_11comp_targetILNS1_3genE0ELNS1_11target_archE4294967295ELNS1_3gpuE0ELNS1_3repE0EEENS1_30default_config_static_selectorELNS0_4arch9wavefront6targetE0EEEvT1_, .Lfunc_end1957-_ZN7rocprim17ROCPRIM_400000_NS6detail17trampoline_kernelINS0_14default_configENS1_25partition_config_selectorILNS1_17partition_subalgoE6EN6thrust23THRUST_200600_302600_NS5tupleIttNS7_9null_typeES9_S9_S9_S9_S9_S9_S9_EENS0_10empty_typeEbEEZZNS1_14partition_implILS5_6ELb0ES3_mNS7_12zip_iteratorINS8_INS7_6detail15normal_iteratorINS7_10device_ptrItEEEESJ_S9_S9_S9_S9_S9_S9_S9_S9_EEEEPSB_SM_NS0_5tupleIJNSE_INS8_ISJ_NS7_16discard_iteratorINS7_11use_defaultEEES9_S9_S9_S9_S9_S9_S9_S9_EEEESB_EEENSN_IJSM_SM_EEESB_PlJNSF_9not_fun_tINSF_14equal_to_valueISA_EEEEEEE10hipError_tPvRmT3_T4_T5_T6_T7_T9_mT8_P12ihipStream_tbDpT10_ENKUlT_T0_E_clISt17integral_constantIbLb1EES1J_EEDaS1E_S1F_EUlS1E_E_NS1_11comp_targetILNS1_3genE0ELNS1_11target_archE4294967295ELNS1_3gpuE0ELNS1_3repE0EEENS1_30default_config_static_selectorELNS0_4arch9wavefront6targetE0EEEvT1_
                                        ; -- End function
	.set _ZN7rocprim17ROCPRIM_400000_NS6detail17trampoline_kernelINS0_14default_configENS1_25partition_config_selectorILNS1_17partition_subalgoE6EN6thrust23THRUST_200600_302600_NS5tupleIttNS7_9null_typeES9_S9_S9_S9_S9_S9_S9_EENS0_10empty_typeEbEEZZNS1_14partition_implILS5_6ELb0ES3_mNS7_12zip_iteratorINS8_INS7_6detail15normal_iteratorINS7_10device_ptrItEEEESJ_S9_S9_S9_S9_S9_S9_S9_S9_EEEEPSB_SM_NS0_5tupleIJNSE_INS8_ISJ_NS7_16discard_iteratorINS7_11use_defaultEEES9_S9_S9_S9_S9_S9_S9_S9_EEEESB_EEENSN_IJSM_SM_EEESB_PlJNSF_9not_fun_tINSF_14equal_to_valueISA_EEEEEEE10hipError_tPvRmT3_T4_T5_T6_T7_T9_mT8_P12ihipStream_tbDpT10_ENKUlT_T0_E_clISt17integral_constantIbLb1EES1J_EEDaS1E_S1F_EUlS1E_E_NS1_11comp_targetILNS1_3genE0ELNS1_11target_archE4294967295ELNS1_3gpuE0ELNS1_3repE0EEENS1_30default_config_static_selectorELNS0_4arch9wavefront6targetE0EEEvT1_.num_vgpr, 0
	.set _ZN7rocprim17ROCPRIM_400000_NS6detail17trampoline_kernelINS0_14default_configENS1_25partition_config_selectorILNS1_17partition_subalgoE6EN6thrust23THRUST_200600_302600_NS5tupleIttNS7_9null_typeES9_S9_S9_S9_S9_S9_S9_EENS0_10empty_typeEbEEZZNS1_14partition_implILS5_6ELb0ES3_mNS7_12zip_iteratorINS8_INS7_6detail15normal_iteratorINS7_10device_ptrItEEEESJ_S9_S9_S9_S9_S9_S9_S9_S9_EEEEPSB_SM_NS0_5tupleIJNSE_INS8_ISJ_NS7_16discard_iteratorINS7_11use_defaultEEES9_S9_S9_S9_S9_S9_S9_S9_EEEESB_EEENSN_IJSM_SM_EEESB_PlJNSF_9not_fun_tINSF_14equal_to_valueISA_EEEEEEE10hipError_tPvRmT3_T4_T5_T6_T7_T9_mT8_P12ihipStream_tbDpT10_ENKUlT_T0_E_clISt17integral_constantIbLb1EES1J_EEDaS1E_S1F_EUlS1E_E_NS1_11comp_targetILNS1_3genE0ELNS1_11target_archE4294967295ELNS1_3gpuE0ELNS1_3repE0EEENS1_30default_config_static_selectorELNS0_4arch9wavefront6targetE0EEEvT1_.num_agpr, 0
	.set _ZN7rocprim17ROCPRIM_400000_NS6detail17trampoline_kernelINS0_14default_configENS1_25partition_config_selectorILNS1_17partition_subalgoE6EN6thrust23THRUST_200600_302600_NS5tupleIttNS7_9null_typeES9_S9_S9_S9_S9_S9_S9_EENS0_10empty_typeEbEEZZNS1_14partition_implILS5_6ELb0ES3_mNS7_12zip_iteratorINS8_INS7_6detail15normal_iteratorINS7_10device_ptrItEEEESJ_S9_S9_S9_S9_S9_S9_S9_S9_EEEEPSB_SM_NS0_5tupleIJNSE_INS8_ISJ_NS7_16discard_iteratorINS7_11use_defaultEEES9_S9_S9_S9_S9_S9_S9_S9_EEEESB_EEENSN_IJSM_SM_EEESB_PlJNSF_9not_fun_tINSF_14equal_to_valueISA_EEEEEEE10hipError_tPvRmT3_T4_T5_T6_T7_T9_mT8_P12ihipStream_tbDpT10_ENKUlT_T0_E_clISt17integral_constantIbLb1EES1J_EEDaS1E_S1F_EUlS1E_E_NS1_11comp_targetILNS1_3genE0ELNS1_11target_archE4294967295ELNS1_3gpuE0ELNS1_3repE0EEENS1_30default_config_static_selectorELNS0_4arch9wavefront6targetE0EEEvT1_.numbered_sgpr, 0
	.set _ZN7rocprim17ROCPRIM_400000_NS6detail17trampoline_kernelINS0_14default_configENS1_25partition_config_selectorILNS1_17partition_subalgoE6EN6thrust23THRUST_200600_302600_NS5tupleIttNS7_9null_typeES9_S9_S9_S9_S9_S9_S9_EENS0_10empty_typeEbEEZZNS1_14partition_implILS5_6ELb0ES3_mNS7_12zip_iteratorINS8_INS7_6detail15normal_iteratorINS7_10device_ptrItEEEESJ_S9_S9_S9_S9_S9_S9_S9_S9_EEEEPSB_SM_NS0_5tupleIJNSE_INS8_ISJ_NS7_16discard_iteratorINS7_11use_defaultEEES9_S9_S9_S9_S9_S9_S9_S9_EEEESB_EEENSN_IJSM_SM_EEESB_PlJNSF_9not_fun_tINSF_14equal_to_valueISA_EEEEEEE10hipError_tPvRmT3_T4_T5_T6_T7_T9_mT8_P12ihipStream_tbDpT10_ENKUlT_T0_E_clISt17integral_constantIbLb1EES1J_EEDaS1E_S1F_EUlS1E_E_NS1_11comp_targetILNS1_3genE0ELNS1_11target_archE4294967295ELNS1_3gpuE0ELNS1_3repE0EEENS1_30default_config_static_selectorELNS0_4arch9wavefront6targetE0EEEvT1_.num_named_barrier, 0
	.set _ZN7rocprim17ROCPRIM_400000_NS6detail17trampoline_kernelINS0_14default_configENS1_25partition_config_selectorILNS1_17partition_subalgoE6EN6thrust23THRUST_200600_302600_NS5tupleIttNS7_9null_typeES9_S9_S9_S9_S9_S9_S9_EENS0_10empty_typeEbEEZZNS1_14partition_implILS5_6ELb0ES3_mNS7_12zip_iteratorINS8_INS7_6detail15normal_iteratorINS7_10device_ptrItEEEESJ_S9_S9_S9_S9_S9_S9_S9_S9_EEEEPSB_SM_NS0_5tupleIJNSE_INS8_ISJ_NS7_16discard_iteratorINS7_11use_defaultEEES9_S9_S9_S9_S9_S9_S9_S9_EEEESB_EEENSN_IJSM_SM_EEESB_PlJNSF_9not_fun_tINSF_14equal_to_valueISA_EEEEEEE10hipError_tPvRmT3_T4_T5_T6_T7_T9_mT8_P12ihipStream_tbDpT10_ENKUlT_T0_E_clISt17integral_constantIbLb1EES1J_EEDaS1E_S1F_EUlS1E_E_NS1_11comp_targetILNS1_3genE0ELNS1_11target_archE4294967295ELNS1_3gpuE0ELNS1_3repE0EEENS1_30default_config_static_selectorELNS0_4arch9wavefront6targetE0EEEvT1_.private_seg_size, 0
	.set _ZN7rocprim17ROCPRIM_400000_NS6detail17trampoline_kernelINS0_14default_configENS1_25partition_config_selectorILNS1_17partition_subalgoE6EN6thrust23THRUST_200600_302600_NS5tupleIttNS7_9null_typeES9_S9_S9_S9_S9_S9_S9_EENS0_10empty_typeEbEEZZNS1_14partition_implILS5_6ELb0ES3_mNS7_12zip_iteratorINS8_INS7_6detail15normal_iteratorINS7_10device_ptrItEEEESJ_S9_S9_S9_S9_S9_S9_S9_S9_EEEEPSB_SM_NS0_5tupleIJNSE_INS8_ISJ_NS7_16discard_iteratorINS7_11use_defaultEEES9_S9_S9_S9_S9_S9_S9_S9_EEEESB_EEENSN_IJSM_SM_EEESB_PlJNSF_9not_fun_tINSF_14equal_to_valueISA_EEEEEEE10hipError_tPvRmT3_T4_T5_T6_T7_T9_mT8_P12ihipStream_tbDpT10_ENKUlT_T0_E_clISt17integral_constantIbLb1EES1J_EEDaS1E_S1F_EUlS1E_E_NS1_11comp_targetILNS1_3genE0ELNS1_11target_archE4294967295ELNS1_3gpuE0ELNS1_3repE0EEENS1_30default_config_static_selectorELNS0_4arch9wavefront6targetE0EEEvT1_.uses_vcc, 0
	.set _ZN7rocprim17ROCPRIM_400000_NS6detail17trampoline_kernelINS0_14default_configENS1_25partition_config_selectorILNS1_17partition_subalgoE6EN6thrust23THRUST_200600_302600_NS5tupleIttNS7_9null_typeES9_S9_S9_S9_S9_S9_S9_EENS0_10empty_typeEbEEZZNS1_14partition_implILS5_6ELb0ES3_mNS7_12zip_iteratorINS8_INS7_6detail15normal_iteratorINS7_10device_ptrItEEEESJ_S9_S9_S9_S9_S9_S9_S9_S9_EEEEPSB_SM_NS0_5tupleIJNSE_INS8_ISJ_NS7_16discard_iteratorINS7_11use_defaultEEES9_S9_S9_S9_S9_S9_S9_S9_EEEESB_EEENSN_IJSM_SM_EEESB_PlJNSF_9not_fun_tINSF_14equal_to_valueISA_EEEEEEE10hipError_tPvRmT3_T4_T5_T6_T7_T9_mT8_P12ihipStream_tbDpT10_ENKUlT_T0_E_clISt17integral_constantIbLb1EES1J_EEDaS1E_S1F_EUlS1E_E_NS1_11comp_targetILNS1_3genE0ELNS1_11target_archE4294967295ELNS1_3gpuE0ELNS1_3repE0EEENS1_30default_config_static_selectorELNS0_4arch9wavefront6targetE0EEEvT1_.uses_flat_scratch, 0
	.set _ZN7rocprim17ROCPRIM_400000_NS6detail17trampoline_kernelINS0_14default_configENS1_25partition_config_selectorILNS1_17partition_subalgoE6EN6thrust23THRUST_200600_302600_NS5tupleIttNS7_9null_typeES9_S9_S9_S9_S9_S9_S9_EENS0_10empty_typeEbEEZZNS1_14partition_implILS5_6ELb0ES3_mNS7_12zip_iteratorINS8_INS7_6detail15normal_iteratorINS7_10device_ptrItEEEESJ_S9_S9_S9_S9_S9_S9_S9_S9_EEEEPSB_SM_NS0_5tupleIJNSE_INS8_ISJ_NS7_16discard_iteratorINS7_11use_defaultEEES9_S9_S9_S9_S9_S9_S9_S9_EEEESB_EEENSN_IJSM_SM_EEESB_PlJNSF_9not_fun_tINSF_14equal_to_valueISA_EEEEEEE10hipError_tPvRmT3_T4_T5_T6_T7_T9_mT8_P12ihipStream_tbDpT10_ENKUlT_T0_E_clISt17integral_constantIbLb1EES1J_EEDaS1E_S1F_EUlS1E_E_NS1_11comp_targetILNS1_3genE0ELNS1_11target_archE4294967295ELNS1_3gpuE0ELNS1_3repE0EEENS1_30default_config_static_selectorELNS0_4arch9wavefront6targetE0EEEvT1_.has_dyn_sized_stack, 0
	.set _ZN7rocprim17ROCPRIM_400000_NS6detail17trampoline_kernelINS0_14default_configENS1_25partition_config_selectorILNS1_17partition_subalgoE6EN6thrust23THRUST_200600_302600_NS5tupleIttNS7_9null_typeES9_S9_S9_S9_S9_S9_S9_EENS0_10empty_typeEbEEZZNS1_14partition_implILS5_6ELb0ES3_mNS7_12zip_iteratorINS8_INS7_6detail15normal_iteratorINS7_10device_ptrItEEEESJ_S9_S9_S9_S9_S9_S9_S9_S9_EEEEPSB_SM_NS0_5tupleIJNSE_INS8_ISJ_NS7_16discard_iteratorINS7_11use_defaultEEES9_S9_S9_S9_S9_S9_S9_S9_EEEESB_EEENSN_IJSM_SM_EEESB_PlJNSF_9not_fun_tINSF_14equal_to_valueISA_EEEEEEE10hipError_tPvRmT3_T4_T5_T6_T7_T9_mT8_P12ihipStream_tbDpT10_ENKUlT_T0_E_clISt17integral_constantIbLb1EES1J_EEDaS1E_S1F_EUlS1E_E_NS1_11comp_targetILNS1_3genE0ELNS1_11target_archE4294967295ELNS1_3gpuE0ELNS1_3repE0EEENS1_30default_config_static_selectorELNS0_4arch9wavefront6targetE0EEEvT1_.has_recursion, 0
	.set _ZN7rocprim17ROCPRIM_400000_NS6detail17trampoline_kernelINS0_14default_configENS1_25partition_config_selectorILNS1_17partition_subalgoE6EN6thrust23THRUST_200600_302600_NS5tupleIttNS7_9null_typeES9_S9_S9_S9_S9_S9_S9_EENS0_10empty_typeEbEEZZNS1_14partition_implILS5_6ELb0ES3_mNS7_12zip_iteratorINS8_INS7_6detail15normal_iteratorINS7_10device_ptrItEEEESJ_S9_S9_S9_S9_S9_S9_S9_S9_EEEEPSB_SM_NS0_5tupleIJNSE_INS8_ISJ_NS7_16discard_iteratorINS7_11use_defaultEEES9_S9_S9_S9_S9_S9_S9_S9_EEEESB_EEENSN_IJSM_SM_EEESB_PlJNSF_9not_fun_tINSF_14equal_to_valueISA_EEEEEEE10hipError_tPvRmT3_T4_T5_T6_T7_T9_mT8_P12ihipStream_tbDpT10_ENKUlT_T0_E_clISt17integral_constantIbLb1EES1J_EEDaS1E_S1F_EUlS1E_E_NS1_11comp_targetILNS1_3genE0ELNS1_11target_archE4294967295ELNS1_3gpuE0ELNS1_3repE0EEENS1_30default_config_static_selectorELNS0_4arch9wavefront6targetE0EEEvT1_.has_indirect_call, 0
	.section	.AMDGPU.csdata,"",@progbits
; Kernel info:
; codeLenInByte = 0
; TotalNumSgprs: 0
; NumVgprs: 0
; ScratchSize: 0
; MemoryBound: 0
; FloatMode: 240
; IeeeMode: 1
; LDSByteSize: 0 bytes/workgroup (compile time only)
; SGPRBlocks: 0
; VGPRBlocks: 0
; NumSGPRsForWavesPerEU: 1
; NumVGPRsForWavesPerEU: 1
; Occupancy: 16
; WaveLimiterHint : 0
; COMPUTE_PGM_RSRC2:SCRATCH_EN: 0
; COMPUTE_PGM_RSRC2:USER_SGPR: 2
; COMPUTE_PGM_RSRC2:TRAP_HANDLER: 0
; COMPUTE_PGM_RSRC2:TGID_X_EN: 1
; COMPUTE_PGM_RSRC2:TGID_Y_EN: 0
; COMPUTE_PGM_RSRC2:TGID_Z_EN: 0
; COMPUTE_PGM_RSRC2:TIDIG_COMP_CNT: 0
	.section	.text._ZN7rocprim17ROCPRIM_400000_NS6detail17trampoline_kernelINS0_14default_configENS1_25partition_config_selectorILNS1_17partition_subalgoE6EN6thrust23THRUST_200600_302600_NS5tupleIttNS7_9null_typeES9_S9_S9_S9_S9_S9_S9_EENS0_10empty_typeEbEEZZNS1_14partition_implILS5_6ELb0ES3_mNS7_12zip_iteratorINS8_INS7_6detail15normal_iteratorINS7_10device_ptrItEEEESJ_S9_S9_S9_S9_S9_S9_S9_S9_EEEEPSB_SM_NS0_5tupleIJNSE_INS8_ISJ_NS7_16discard_iteratorINS7_11use_defaultEEES9_S9_S9_S9_S9_S9_S9_S9_EEEESB_EEENSN_IJSM_SM_EEESB_PlJNSF_9not_fun_tINSF_14equal_to_valueISA_EEEEEEE10hipError_tPvRmT3_T4_T5_T6_T7_T9_mT8_P12ihipStream_tbDpT10_ENKUlT_T0_E_clISt17integral_constantIbLb1EES1J_EEDaS1E_S1F_EUlS1E_E_NS1_11comp_targetILNS1_3genE5ELNS1_11target_archE942ELNS1_3gpuE9ELNS1_3repE0EEENS1_30default_config_static_selectorELNS0_4arch9wavefront6targetE0EEEvT1_,"axG",@progbits,_ZN7rocprim17ROCPRIM_400000_NS6detail17trampoline_kernelINS0_14default_configENS1_25partition_config_selectorILNS1_17partition_subalgoE6EN6thrust23THRUST_200600_302600_NS5tupleIttNS7_9null_typeES9_S9_S9_S9_S9_S9_S9_EENS0_10empty_typeEbEEZZNS1_14partition_implILS5_6ELb0ES3_mNS7_12zip_iteratorINS8_INS7_6detail15normal_iteratorINS7_10device_ptrItEEEESJ_S9_S9_S9_S9_S9_S9_S9_S9_EEEEPSB_SM_NS0_5tupleIJNSE_INS8_ISJ_NS7_16discard_iteratorINS7_11use_defaultEEES9_S9_S9_S9_S9_S9_S9_S9_EEEESB_EEENSN_IJSM_SM_EEESB_PlJNSF_9not_fun_tINSF_14equal_to_valueISA_EEEEEEE10hipError_tPvRmT3_T4_T5_T6_T7_T9_mT8_P12ihipStream_tbDpT10_ENKUlT_T0_E_clISt17integral_constantIbLb1EES1J_EEDaS1E_S1F_EUlS1E_E_NS1_11comp_targetILNS1_3genE5ELNS1_11target_archE942ELNS1_3gpuE9ELNS1_3repE0EEENS1_30default_config_static_selectorELNS0_4arch9wavefront6targetE0EEEvT1_,comdat
	.protected	_ZN7rocprim17ROCPRIM_400000_NS6detail17trampoline_kernelINS0_14default_configENS1_25partition_config_selectorILNS1_17partition_subalgoE6EN6thrust23THRUST_200600_302600_NS5tupleIttNS7_9null_typeES9_S9_S9_S9_S9_S9_S9_EENS0_10empty_typeEbEEZZNS1_14partition_implILS5_6ELb0ES3_mNS7_12zip_iteratorINS8_INS7_6detail15normal_iteratorINS7_10device_ptrItEEEESJ_S9_S9_S9_S9_S9_S9_S9_S9_EEEEPSB_SM_NS0_5tupleIJNSE_INS8_ISJ_NS7_16discard_iteratorINS7_11use_defaultEEES9_S9_S9_S9_S9_S9_S9_S9_EEEESB_EEENSN_IJSM_SM_EEESB_PlJNSF_9not_fun_tINSF_14equal_to_valueISA_EEEEEEE10hipError_tPvRmT3_T4_T5_T6_T7_T9_mT8_P12ihipStream_tbDpT10_ENKUlT_T0_E_clISt17integral_constantIbLb1EES1J_EEDaS1E_S1F_EUlS1E_E_NS1_11comp_targetILNS1_3genE5ELNS1_11target_archE942ELNS1_3gpuE9ELNS1_3repE0EEENS1_30default_config_static_selectorELNS0_4arch9wavefront6targetE0EEEvT1_ ; -- Begin function _ZN7rocprim17ROCPRIM_400000_NS6detail17trampoline_kernelINS0_14default_configENS1_25partition_config_selectorILNS1_17partition_subalgoE6EN6thrust23THRUST_200600_302600_NS5tupleIttNS7_9null_typeES9_S9_S9_S9_S9_S9_S9_EENS0_10empty_typeEbEEZZNS1_14partition_implILS5_6ELb0ES3_mNS7_12zip_iteratorINS8_INS7_6detail15normal_iteratorINS7_10device_ptrItEEEESJ_S9_S9_S9_S9_S9_S9_S9_S9_EEEEPSB_SM_NS0_5tupleIJNSE_INS8_ISJ_NS7_16discard_iteratorINS7_11use_defaultEEES9_S9_S9_S9_S9_S9_S9_S9_EEEESB_EEENSN_IJSM_SM_EEESB_PlJNSF_9not_fun_tINSF_14equal_to_valueISA_EEEEEEE10hipError_tPvRmT3_T4_T5_T6_T7_T9_mT8_P12ihipStream_tbDpT10_ENKUlT_T0_E_clISt17integral_constantIbLb1EES1J_EEDaS1E_S1F_EUlS1E_E_NS1_11comp_targetILNS1_3genE5ELNS1_11target_archE942ELNS1_3gpuE9ELNS1_3repE0EEENS1_30default_config_static_selectorELNS0_4arch9wavefront6targetE0EEEvT1_
	.globl	_ZN7rocprim17ROCPRIM_400000_NS6detail17trampoline_kernelINS0_14default_configENS1_25partition_config_selectorILNS1_17partition_subalgoE6EN6thrust23THRUST_200600_302600_NS5tupleIttNS7_9null_typeES9_S9_S9_S9_S9_S9_S9_EENS0_10empty_typeEbEEZZNS1_14partition_implILS5_6ELb0ES3_mNS7_12zip_iteratorINS8_INS7_6detail15normal_iteratorINS7_10device_ptrItEEEESJ_S9_S9_S9_S9_S9_S9_S9_S9_EEEEPSB_SM_NS0_5tupleIJNSE_INS8_ISJ_NS7_16discard_iteratorINS7_11use_defaultEEES9_S9_S9_S9_S9_S9_S9_S9_EEEESB_EEENSN_IJSM_SM_EEESB_PlJNSF_9not_fun_tINSF_14equal_to_valueISA_EEEEEEE10hipError_tPvRmT3_T4_T5_T6_T7_T9_mT8_P12ihipStream_tbDpT10_ENKUlT_T0_E_clISt17integral_constantIbLb1EES1J_EEDaS1E_S1F_EUlS1E_E_NS1_11comp_targetILNS1_3genE5ELNS1_11target_archE942ELNS1_3gpuE9ELNS1_3repE0EEENS1_30default_config_static_selectorELNS0_4arch9wavefront6targetE0EEEvT1_
	.p2align	8
	.type	_ZN7rocprim17ROCPRIM_400000_NS6detail17trampoline_kernelINS0_14default_configENS1_25partition_config_selectorILNS1_17partition_subalgoE6EN6thrust23THRUST_200600_302600_NS5tupleIttNS7_9null_typeES9_S9_S9_S9_S9_S9_S9_EENS0_10empty_typeEbEEZZNS1_14partition_implILS5_6ELb0ES3_mNS7_12zip_iteratorINS8_INS7_6detail15normal_iteratorINS7_10device_ptrItEEEESJ_S9_S9_S9_S9_S9_S9_S9_S9_EEEEPSB_SM_NS0_5tupleIJNSE_INS8_ISJ_NS7_16discard_iteratorINS7_11use_defaultEEES9_S9_S9_S9_S9_S9_S9_S9_EEEESB_EEENSN_IJSM_SM_EEESB_PlJNSF_9not_fun_tINSF_14equal_to_valueISA_EEEEEEE10hipError_tPvRmT3_T4_T5_T6_T7_T9_mT8_P12ihipStream_tbDpT10_ENKUlT_T0_E_clISt17integral_constantIbLb1EES1J_EEDaS1E_S1F_EUlS1E_E_NS1_11comp_targetILNS1_3genE5ELNS1_11target_archE942ELNS1_3gpuE9ELNS1_3repE0EEENS1_30default_config_static_selectorELNS0_4arch9wavefront6targetE0EEEvT1_,@function
_ZN7rocprim17ROCPRIM_400000_NS6detail17trampoline_kernelINS0_14default_configENS1_25partition_config_selectorILNS1_17partition_subalgoE6EN6thrust23THRUST_200600_302600_NS5tupleIttNS7_9null_typeES9_S9_S9_S9_S9_S9_S9_EENS0_10empty_typeEbEEZZNS1_14partition_implILS5_6ELb0ES3_mNS7_12zip_iteratorINS8_INS7_6detail15normal_iteratorINS7_10device_ptrItEEEESJ_S9_S9_S9_S9_S9_S9_S9_S9_EEEEPSB_SM_NS0_5tupleIJNSE_INS8_ISJ_NS7_16discard_iteratorINS7_11use_defaultEEES9_S9_S9_S9_S9_S9_S9_S9_EEEESB_EEENSN_IJSM_SM_EEESB_PlJNSF_9not_fun_tINSF_14equal_to_valueISA_EEEEEEE10hipError_tPvRmT3_T4_T5_T6_T7_T9_mT8_P12ihipStream_tbDpT10_ENKUlT_T0_E_clISt17integral_constantIbLb1EES1J_EEDaS1E_S1F_EUlS1E_E_NS1_11comp_targetILNS1_3genE5ELNS1_11target_archE942ELNS1_3gpuE9ELNS1_3repE0EEENS1_30default_config_static_selectorELNS0_4arch9wavefront6targetE0EEEvT1_: ; @_ZN7rocprim17ROCPRIM_400000_NS6detail17trampoline_kernelINS0_14default_configENS1_25partition_config_selectorILNS1_17partition_subalgoE6EN6thrust23THRUST_200600_302600_NS5tupleIttNS7_9null_typeES9_S9_S9_S9_S9_S9_S9_EENS0_10empty_typeEbEEZZNS1_14partition_implILS5_6ELb0ES3_mNS7_12zip_iteratorINS8_INS7_6detail15normal_iteratorINS7_10device_ptrItEEEESJ_S9_S9_S9_S9_S9_S9_S9_S9_EEEEPSB_SM_NS0_5tupleIJNSE_INS8_ISJ_NS7_16discard_iteratorINS7_11use_defaultEEES9_S9_S9_S9_S9_S9_S9_S9_EEEESB_EEENSN_IJSM_SM_EEESB_PlJNSF_9not_fun_tINSF_14equal_to_valueISA_EEEEEEE10hipError_tPvRmT3_T4_T5_T6_T7_T9_mT8_P12ihipStream_tbDpT10_ENKUlT_T0_E_clISt17integral_constantIbLb1EES1J_EEDaS1E_S1F_EUlS1E_E_NS1_11comp_targetILNS1_3genE5ELNS1_11target_archE942ELNS1_3gpuE9ELNS1_3repE0EEENS1_30default_config_static_selectorELNS0_4arch9wavefront6targetE0EEEvT1_
; %bb.0:
	.section	.rodata,"a",@progbits
	.p2align	6, 0x0
	.amdhsa_kernel _ZN7rocprim17ROCPRIM_400000_NS6detail17trampoline_kernelINS0_14default_configENS1_25partition_config_selectorILNS1_17partition_subalgoE6EN6thrust23THRUST_200600_302600_NS5tupleIttNS7_9null_typeES9_S9_S9_S9_S9_S9_S9_EENS0_10empty_typeEbEEZZNS1_14partition_implILS5_6ELb0ES3_mNS7_12zip_iteratorINS8_INS7_6detail15normal_iteratorINS7_10device_ptrItEEEESJ_S9_S9_S9_S9_S9_S9_S9_S9_EEEEPSB_SM_NS0_5tupleIJNSE_INS8_ISJ_NS7_16discard_iteratorINS7_11use_defaultEEES9_S9_S9_S9_S9_S9_S9_S9_EEEESB_EEENSN_IJSM_SM_EEESB_PlJNSF_9not_fun_tINSF_14equal_to_valueISA_EEEEEEE10hipError_tPvRmT3_T4_T5_T6_T7_T9_mT8_P12ihipStream_tbDpT10_ENKUlT_T0_E_clISt17integral_constantIbLb1EES1J_EEDaS1E_S1F_EUlS1E_E_NS1_11comp_targetILNS1_3genE5ELNS1_11target_archE942ELNS1_3gpuE9ELNS1_3repE0EEENS1_30default_config_static_selectorELNS0_4arch9wavefront6targetE0EEEvT1_
		.amdhsa_group_segment_fixed_size 0
		.amdhsa_private_segment_fixed_size 0
		.amdhsa_kernarg_size 152
		.amdhsa_user_sgpr_count 2
		.amdhsa_user_sgpr_dispatch_ptr 0
		.amdhsa_user_sgpr_queue_ptr 0
		.amdhsa_user_sgpr_kernarg_segment_ptr 1
		.amdhsa_user_sgpr_dispatch_id 0
		.amdhsa_user_sgpr_private_segment_size 0
		.amdhsa_wavefront_size32 1
		.amdhsa_uses_dynamic_stack 0
		.amdhsa_enable_private_segment 0
		.amdhsa_system_sgpr_workgroup_id_x 1
		.amdhsa_system_sgpr_workgroup_id_y 0
		.amdhsa_system_sgpr_workgroup_id_z 0
		.amdhsa_system_sgpr_workgroup_info 0
		.amdhsa_system_vgpr_workitem_id 0
		.amdhsa_next_free_vgpr 1
		.amdhsa_next_free_sgpr 1
		.amdhsa_reserve_vcc 0
		.amdhsa_float_round_mode_32 0
		.amdhsa_float_round_mode_16_64 0
		.amdhsa_float_denorm_mode_32 3
		.amdhsa_float_denorm_mode_16_64 3
		.amdhsa_fp16_overflow 0
		.amdhsa_workgroup_processor_mode 1
		.amdhsa_memory_ordered 1
		.amdhsa_forward_progress 1
		.amdhsa_inst_pref_size 0
		.amdhsa_round_robin_scheduling 0
		.amdhsa_exception_fp_ieee_invalid_op 0
		.amdhsa_exception_fp_denorm_src 0
		.amdhsa_exception_fp_ieee_div_zero 0
		.amdhsa_exception_fp_ieee_overflow 0
		.amdhsa_exception_fp_ieee_underflow 0
		.amdhsa_exception_fp_ieee_inexact 0
		.amdhsa_exception_int_div_zero 0
	.end_amdhsa_kernel
	.section	.text._ZN7rocprim17ROCPRIM_400000_NS6detail17trampoline_kernelINS0_14default_configENS1_25partition_config_selectorILNS1_17partition_subalgoE6EN6thrust23THRUST_200600_302600_NS5tupleIttNS7_9null_typeES9_S9_S9_S9_S9_S9_S9_EENS0_10empty_typeEbEEZZNS1_14partition_implILS5_6ELb0ES3_mNS7_12zip_iteratorINS8_INS7_6detail15normal_iteratorINS7_10device_ptrItEEEESJ_S9_S9_S9_S9_S9_S9_S9_S9_EEEEPSB_SM_NS0_5tupleIJNSE_INS8_ISJ_NS7_16discard_iteratorINS7_11use_defaultEEES9_S9_S9_S9_S9_S9_S9_S9_EEEESB_EEENSN_IJSM_SM_EEESB_PlJNSF_9not_fun_tINSF_14equal_to_valueISA_EEEEEEE10hipError_tPvRmT3_T4_T5_T6_T7_T9_mT8_P12ihipStream_tbDpT10_ENKUlT_T0_E_clISt17integral_constantIbLb1EES1J_EEDaS1E_S1F_EUlS1E_E_NS1_11comp_targetILNS1_3genE5ELNS1_11target_archE942ELNS1_3gpuE9ELNS1_3repE0EEENS1_30default_config_static_selectorELNS0_4arch9wavefront6targetE0EEEvT1_,"axG",@progbits,_ZN7rocprim17ROCPRIM_400000_NS6detail17trampoline_kernelINS0_14default_configENS1_25partition_config_selectorILNS1_17partition_subalgoE6EN6thrust23THRUST_200600_302600_NS5tupleIttNS7_9null_typeES9_S9_S9_S9_S9_S9_S9_EENS0_10empty_typeEbEEZZNS1_14partition_implILS5_6ELb0ES3_mNS7_12zip_iteratorINS8_INS7_6detail15normal_iteratorINS7_10device_ptrItEEEESJ_S9_S9_S9_S9_S9_S9_S9_S9_EEEEPSB_SM_NS0_5tupleIJNSE_INS8_ISJ_NS7_16discard_iteratorINS7_11use_defaultEEES9_S9_S9_S9_S9_S9_S9_S9_EEEESB_EEENSN_IJSM_SM_EEESB_PlJNSF_9not_fun_tINSF_14equal_to_valueISA_EEEEEEE10hipError_tPvRmT3_T4_T5_T6_T7_T9_mT8_P12ihipStream_tbDpT10_ENKUlT_T0_E_clISt17integral_constantIbLb1EES1J_EEDaS1E_S1F_EUlS1E_E_NS1_11comp_targetILNS1_3genE5ELNS1_11target_archE942ELNS1_3gpuE9ELNS1_3repE0EEENS1_30default_config_static_selectorELNS0_4arch9wavefront6targetE0EEEvT1_,comdat
.Lfunc_end1958:
	.size	_ZN7rocprim17ROCPRIM_400000_NS6detail17trampoline_kernelINS0_14default_configENS1_25partition_config_selectorILNS1_17partition_subalgoE6EN6thrust23THRUST_200600_302600_NS5tupleIttNS7_9null_typeES9_S9_S9_S9_S9_S9_S9_EENS0_10empty_typeEbEEZZNS1_14partition_implILS5_6ELb0ES3_mNS7_12zip_iteratorINS8_INS7_6detail15normal_iteratorINS7_10device_ptrItEEEESJ_S9_S9_S9_S9_S9_S9_S9_S9_EEEEPSB_SM_NS0_5tupleIJNSE_INS8_ISJ_NS7_16discard_iteratorINS7_11use_defaultEEES9_S9_S9_S9_S9_S9_S9_S9_EEEESB_EEENSN_IJSM_SM_EEESB_PlJNSF_9not_fun_tINSF_14equal_to_valueISA_EEEEEEE10hipError_tPvRmT3_T4_T5_T6_T7_T9_mT8_P12ihipStream_tbDpT10_ENKUlT_T0_E_clISt17integral_constantIbLb1EES1J_EEDaS1E_S1F_EUlS1E_E_NS1_11comp_targetILNS1_3genE5ELNS1_11target_archE942ELNS1_3gpuE9ELNS1_3repE0EEENS1_30default_config_static_selectorELNS0_4arch9wavefront6targetE0EEEvT1_, .Lfunc_end1958-_ZN7rocprim17ROCPRIM_400000_NS6detail17trampoline_kernelINS0_14default_configENS1_25partition_config_selectorILNS1_17partition_subalgoE6EN6thrust23THRUST_200600_302600_NS5tupleIttNS7_9null_typeES9_S9_S9_S9_S9_S9_S9_EENS0_10empty_typeEbEEZZNS1_14partition_implILS5_6ELb0ES3_mNS7_12zip_iteratorINS8_INS7_6detail15normal_iteratorINS7_10device_ptrItEEEESJ_S9_S9_S9_S9_S9_S9_S9_S9_EEEEPSB_SM_NS0_5tupleIJNSE_INS8_ISJ_NS7_16discard_iteratorINS7_11use_defaultEEES9_S9_S9_S9_S9_S9_S9_S9_EEEESB_EEENSN_IJSM_SM_EEESB_PlJNSF_9not_fun_tINSF_14equal_to_valueISA_EEEEEEE10hipError_tPvRmT3_T4_T5_T6_T7_T9_mT8_P12ihipStream_tbDpT10_ENKUlT_T0_E_clISt17integral_constantIbLb1EES1J_EEDaS1E_S1F_EUlS1E_E_NS1_11comp_targetILNS1_3genE5ELNS1_11target_archE942ELNS1_3gpuE9ELNS1_3repE0EEENS1_30default_config_static_selectorELNS0_4arch9wavefront6targetE0EEEvT1_
                                        ; -- End function
	.set _ZN7rocprim17ROCPRIM_400000_NS6detail17trampoline_kernelINS0_14default_configENS1_25partition_config_selectorILNS1_17partition_subalgoE6EN6thrust23THRUST_200600_302600_NS5tupleIttNS7_9null_typeES9_S9_S9_S9_S9_S9_S9_EENS0_10empty_typeEbEEZZNS1_14partition_implILS5_6ELb0ES3_mNS7_12zip_iteratorINS8_INS7_6detail15normal_iteratorINS7_10device_ptrItEEEESJ_S9_S9_S9_S9_S9_S9_S9_S9_EEEEPSB_SM_NS0_5tupleIJNSE_INS8_ISJ_NS7_16discard_iteratorINS7_11use_defaultEEES9_S9_S9_S9_S9_S9_S9_S9_EEEESB_EEENSN_IJSM_SM_EEESB_PlJNSF_9not_fun_tINSF_14equal_to_valueISA_EEEEEEE10hipError_tPvRmT3_T4_T5_T6_T7_T9_mT8_P12ihipStream_tbDpT10_ENKUlT_T0_E_clISt17integral_constantIbLb1EES1J_EEDaS1E_S1F_EUlS1E_E_NS1_11comp_targetILNS1_3genE5ELNS1_11target_archE942ELNS1_3gpuE9ELNS1_3repE0EEENS1_30default_config_static_selectorELNS0_4arch9wavefront6targetE0EEEvT1_.num_vgpr, 0
	.set _ZN7rocprim17ROCPRIM_400000_NS6detail17trampoline_kernelINS0_14default_configENS1_25partition_config_selectorILNS1_17partition_subalgoE6EN6thrust23THRUST_200600_302600_NS5tupleIttNS7_9null_typeES9_S9_S9_S9_S9_S9_S9_EENS0_10empty_typeEbEEZZNS1_14partition_implILS5_6ELb0ES3_mNS7_12zip_iteratorINS8_INS7_6detail15normal_iteratorINS7_10device_ptrItEEEESJ_S9_S9_S9_S9_S9_S9_S9_S9_EEEEPSB_SM_NS0_5tupleIJNSE_INS8_ISJ_NS7_16discard_iteratorINS7_11use_defaultEEES9_S9_S9_S9_S9_S9_S9_S9_EEEESB_EEENSN_IJSM_SM_EEESB_PlJNSF_9not_fun_tINSF_14equal_to_valueISA_EEEEEEE10hipError_tPvRmT3_T4_T5_T6_T7_T9_mT8_P12ihipStream_tbDpT10_ENKUlT_T0_E_clISt17integral_constantIbLb1EES1J_EEDaS1E_S1F_EUlS1E_E_NS1_11comp_targetILNS1_3genE5ELNS1_11target_archE942ELNS1_3gpuE9ELNS1_3repE0EEENS1_30default_config_static_selectorELNS0_4arch9wavefront6targetE0EEEvT1_.num_agpr, 0
	.set _ZN7rocprim17ROCPRIM_400000_NS6detail17trampoline_kernelINS0_14default_configENS1_25partition_config_selectorILNS1_17partition_subalgoE6EN6thrust23THRUST_200600_302600_NS5tupleIttNS7_9null_typeES9_S9_S9_S9_S9_S9_S9_EENS0_10empty_typeEbEEZZNS1_14partition_implILS5_6ELb0ES3_mNS7_12zip_iteratorINS8_INS7_6detail15normal_iteratorINS7_10device_ptrItEEEESJ_S9_S9_S9_S9_S9_S9_S9_S9_EEEEPSB_SM_NS0_5tupleIJNSE_INS8_ISJ_NS7_16discard_iteratorINS7_11use_defaultEEES9_S9_S9_S9_S9_S9_S9_S9_EEEESB_EEENSN_IJSM_SM_EEESB_PlJNSF_9not_fun_tINSF_14equal_to_valueISA_EEEEEEE10hipError_tPvRmT3_T4_T5_T6_T7_T9_mT8_P12ihipStream_tbDpT10_ENKUlT_T0_E_clISt17integral_constantIbLb1EES1J_EEDaS1E_S1F_EUlS1E_E_NS1_11comp_targetILNS1_3genE5ELNS1_11target_archE942ELNS1_3gpuE9ELNS1_3repE0EEENS1_30default_config_static_selectorELNS0_4arch9wavefront6targetE0EEEvT1_.numbered_sgpr, 0
	.set _ZN7rocprim17ROCPRIM_400000_NS6detail17trampoline_kernelINS0_14default_configENS1_25partition_config_selectorILNS1_17partition_subalgoE6EN6thrust23THRUST_200600_302600_NS5tupleIttNS7_9null_typeES9_S9_S9_S9_S9_S9_S9_EENS0_10empty_typeEbEEZZNS1_14partition_implILS5_6ELb0ES3_mNS7_12zip_iteratorINS8_INS7_6detail15normal_iteratorINS7_10device_ptrItEEEESJ_S9_S9_S9_S9_S9_S9_S9_S9_EEEEPSB_SM_NS0_5tupleIJNSE_INS8_ISJ_NS7_16discard_iteratorINS7_11use_defaultEEES9_S9_S9_S9_S9_S9_S9_S9_EEEESB_EEENSN_IJSM_SM_EEESB_PlJNSF_9not_fun_tINSF_14equal_to_valueISA_EEEEEEE10hipError_tPvRmT3_T4_T5_T6_T7_T9_mT8_P12ihipStream_tbDpT10_ENKUlT_T0_E_clISt17integral_constantIbLb1EES1J_EEDaS1E_S1F_EUlS1E_E_NS1_11comp_targetILNS1_3genE5ELNS1_11target_archE942ELNS1_3gpuE9ELNS1_3repE0EEENS1_30default_config_static_selectorELNS0_4arch9wavefront6targetE0EEEvT1_.num_named_barrier, 0
	.set _ZN7rocprim17ROCPRIM_400000_NS6detail17trampoline_kernelINS0_14default_configENS1_25partition_config_selectorILNS1_17partition_subalgoE6EN6thrust23THRUST_200600_302600_NS5tupleIttNS7_9null_typeES9_S9_S9_S9_S9_S9_S9_EENS0_10empty_typeEbEEZZNS1_14partition_implILS5_6ELb0ES3_mNS7_12zip_iteratorINS8_INS7_6detail15normal_iteratorINS7_10device_ptrItEEEESJ_S9_S9_S9_S9_S9_S9_S9_S9_EEEEPSB_SM_NS0_5tupleIJNSE_INS8_ISJ_NS7_16discard_iteratorINS7_11use_defaultEEES9_S9_S9_S9_S9_S9_S9_S9_EEEESB_EEENSN_IJSM_SM_EEESB_PlJNSF_9not_fun_tINSF_14equal_to_valueISA_EEEEEEE10hipError_tPvRmT3_T4_T5_T6_T7_T9_mT8_P12ihipStream_tbDpT10_ENKUlT_T0_E_clISt17integral_constantIbLb1EES1J_EEDaS1E_S1F_EUlS1E_E_NS1_11comp_targetILNS1_3genE5ELNS1_11target_archE942ELNS1_3gpuE9ELNS1_3repE0EEENS1_30default_config_static_selectorELNS0_4arch9wavefront6targetE0EEEvT1_.private_seg_size, 0
	.set _ZN7rocprim17ROCPRIM_400000_NS6detail17trampoline_kernelINS0_14default_configENS1_25partition_config_selectorILNS1_17partition_subalgoE6EN6thrust23THRUST_200600_302600_NS5tupleIttNS7_9null_typeES9_S9_S9_S9_S9_S9_S9_EENS0_10empty_typeEbEEZZNS1_14partition_implILS5_6ELb0ES3_mNS7_12zip_iteratorINS8_INS7_6detail15normal_iteratorINS7_10device_ptrItEEEESJ_S9_S9_S9_S9_S9_S9_S9_S9_EEEEPSB_SM_NS0_5tupleIJNSE_INS8_ISJ_NS7_16discard_iteratorINS7_11use_defaultEEES9_S9_S9_S9_S9_S9_S9_S9_EEEESB_EEENSN_IJSM_SM_EEESB_PlJNSF_9not_fun_tINSF_14equal_to_valueISA_EEEEEEE10hipError_tPvRmT3_T4_T5_T6_T7_T9_mT8_P12ihipStream_tbDpT10_ENKUlT_T0_E_clISt17integral_constantIbLb1EES1J_EEDaS1E_S1F_EUlS1E_E_NS1_11comp_targetILNS1_3genE5ELNS1_11target_archE942ELNS1_3gpuE9ELNS1_3repE0EEENS1_30default_config_static_selectorELNS0_4arch9wavefront6targetE0EEEvT1_.uses_vcc, 0
	.set _ZN7rocprim17ROCPRIM_400000_NS6detail17trampoline_kernelINS0_14default_configENS1_25partition_config_selectorILNS1_17partition_subalgoE6EN6thrust23THRUST_200600_302600_NS5tupleIttNS7_9null_typeES9_S9_S9_S9_S9_S9_S9_EENS0_10empty_typeEbEEZZNS1_14partition_implILS5_6ELb0ES3_mNS7_12zip_iteratorINS8_INS7_6detail15normal_iteratorINS7_10device_ptrItEEEESJ_S9_S9_S9_S9_S9_S9_S9_S9_EEEEPSB_SM_NS0_5tupleIJNSE_INS8_ISJ_NS7_16discard_iteratorINS7_11use_defaultEEES9_S9_S9_S9_S9_S9_S9_S9_EEEESB_EEENSN_IJSM_SM_EEESB_PlJNSF_9not_fun_tINSF_14equal_to_valueISA_EEEEEEE10hipError_tPvRmT3_T4_T5_T6_T7_T9_mT8_P12ihipStream_tbDpT10_ENKUlT_T0_E_clISt17integral_constantIbLb1EES1J_EEDaS1E_S1F_EUlS1E_E_NS1_11comp_targetILNS1_3genE5ELNS1_11target_archE942ELNS1_3gpuE9ELNS1_3repE0EEENS1_30default_config_static_selectorELNS0_4arch9wavefront6targetE0EEEvT1_.uses_flat_scratch, 0
	.set _ZN7rocprim17ROCPRIM_400000_NS6detail17trampoline_kernelINS0_14default_configENS1_25partition_config_selectorILNS1_17partition_subalgoE6EN6thrust23THRUST_200600_302600_NS5tupleIttNS7_9null_typeES9_S9_S9_S9_S9_S9_S9_EENS0_10empty_typeEbEEZZNS1_14partition_implILS5_6ELb0ES3_mNS7_12zip_iteratorINS8_INS7_6detail15normal_iteratorINS7_10device_ptrItEEEESJ_S9_S9_S9_S9_S9_S9_S9_S9_EEEEPSB_SM_NS0_5tupleIJNSE_INS8_ISJ_NS7_16discard_iteratorINS7_11use_defaultEEES9_S9_S9_S9_S9_S9_S9_S9_EEEESB_EEENSN_IJSM_SM_EEESB_PlJNSF_9not_fun_tINSF_14equal_to_valueISA_EEEEEEE10hipError_tPvRmT3_T4_T5_T6_T7_T9_mT8_P12ihipStream_tbDpT10_ENKUlT_T0_E_clISt17integral_constantIbLb1EES1J_EEDaS1E_S1F_EUlS1E_E_NS1_11comp_targetILNS1_3genE5ELNS1_11target_archE942ELNS1_3gpuE9ELNS1_3repE0EEENS1_30default_config_static_selectorELNS0_4arch9wavefront6targetE0EEEvT1_.has_dyn_sized_stack, 0
	.set _ZN7rocprim17ROCPRIM_400000_NS6detail17trampoline_kernelINS0_14default_configENS1_25partition_config_selectorILNS1_17partition_subalgoE6EN6thrust23THRUST_200600_302600_NS5tupleIttNS7_9null_typeES9_S9_S9_S9_S9_S9_S9_EENS0_10empty_typeEbEEZZNS1_14partition_implILS5_6ELb0ES3_mNS7_12zip_iteratorINS8_INS7_6detail15normal_iteratorINS7_10device_ptrItEEEESJ_S9_S9_S9_S9_S9_S9_S9_S9_EEEEPSB_SM_NS0_5tupleIJNSE_INS8_ISJ_NS7_16discard_iteratorINS7_11use_defaultEEES9_S9_S9_S9_S9_S9_S9_S9_EEEESB_EEENSN_IJSM_SM_EEESB_PlJNSF_9not_fun_tINSF_14equal_to_valueISA_EEEEEEE10hipError_tPvRmT3_T4_T5_T6_T7_T9_mT8_P12ihipStream_tbDpT10_ENKUlT_T0_E_clISt17integral_constantIbLb1EES1J_EEDaS1E_S1F_EUlS1E_E_NS1_11comp_targetILNS1_3genE5ELNS1_11target_archE942ELNS1_3gpuE9ELNS1_3repE0EEENS1_30default_config_static_selectorELNS0_4arch9wavefront6targetE0EEEvT1_.has_recursion, 0
	.set _ZN7rocprim17ROCPRIM_400000_NS6detail17trampoline_kernelINS0_14default_configENS1_25partition_config_selectorILNS1_17partition_subalgoE6EN6thrust23THRUST_200600_302600_NS5tupleIttNS7_9null_typeES9_S9_S9_S9_S9_S9_S9_EENS0_10empty_typeEbEEZZNS1_14partition_implILS5_6ELb0ES3_mNS7_12zip_iteratorINS8_INS7_6detail15normal_iteratorINS7_10device_ptrItEEEESJ_S9_S9_S9_S9_S9_S9_S9_S9_EEEEPSB_SM_NS0_5tupleIJNSE_INS8_ISJ_NS7_16discard_iteratorINS7_11use_defaultEEES9_S9_S9_S9_S9_S9_S9_S9_EEEESB_EEENSN_IJSM_SM_EEESB_PlJNSF_9not_fun_tINSF_14equal_to_valueISA_EEEEEEE10hipError_tPvRmT3_T4_T5_T6_T7_T9_mT8_P12ihipStream_tbDpT10_ENKUlT_T0_E_clISt17integral_constantIbLb1EES1J_EEDaS1E_S1F_EUlS1E_E_NS1_11comp_targetILNS1_3genE5ELNS1_11target_archE942ELNS1_3gpuE9ELNS1_3repE0EEENS1_30default_config_static_selectorELNS0_4arch9wavefront6targetE0EEEvT1_.has_indirect_call, 0
	.section	.AMDGPU.csdata,"",@progbits
; Kernel info:
; codeLenInByte = 0
; TotalNumSgprs: 0
; NumVgprs: 0
; ScratchSize: 0
; MemoryBound: 0
; FloatMode: 240
; IeeeMode: 1
; LDSByteSize: 0 bytes/workgroup (compile time only)
; SGPRBlocks: 0
; VGPRBlocks: 0
; NumSGPRsForWavesPerEU: 1
; NumVGPRsForWavesPerEU: 1
; Occupancy: 16
; WaveLimiterHint : 0
; COMPUTE_PGM_RSRC2:SCRATCH_EN: 0
; COMPUTE_PGM_RSRC2:USER_SGPR: 2
; COMPUTE_PGM_RSRC2:TRAP_HANDLER: 0
; COMPUTE_PGM_RSRC2:TGID_X_EN: 1
; COMPUTE_PGM_RSRC2:TGID_Y_EN: 0
; COMPUTE_PGM_RSRC2:TGID_Z_EN: 0
; COMPUTE_PGM_RSRC2:TIDIG_COMP_CNT: 0
	.section	.text._ZN7rocprim17ROCPRIM_400000_NS6detail17trampoline_kernelINS0_14default_configENS1_25partition_config_selectorILNS1_17partition_subalgoE6EN6thrust23THRUST_200600_302600_NS5tupleIttNS7_9null_typeES9_S9_S9_S9_S9_S9_S9_EENS0_10empty_typeEbEEZZNS1_14partition_implILS5_6ELb0ES3_mNS7_12zip_iteratorINS8_INS7_6detail15normal_iteratorINS7_10device_ptrItEEEESJ_S9_S9_S9_S9_S9_S9_S9_S9_EEEEPSB_SM_NS0_5tupleIJNSE_INS8_ISJ_NS7_16discard_iteratorINS7_11use_defaultEEES9_S9_S9_S9_S9_S9_S9_S9_EEEESB_EEENSN_IJSM_SM_EEESB_PlJNSF_9not_fun_tINSF_14equal_to_valueISA_EEEEEEE10hipError_tPvRmT3_T4_T5_T6_T7_T9_mT8_P12ihipStream_tbDpT10_ENKUlT_T0_E_clISt17integral_constantIbLb1EES1J_EEDaS1E_S1F_EUlS1E_E_NS1_11comp_targetILNS1_3genE4ELNS1_11target_archE910ELNS1_3gpuE8ELNS1_3repE0EEENS1_30default_config_static_selectorELNS0_4arch9wavefront6targetE0EEEvT1_,"axG",@progbits,_ZN7rocprim17ROCPRIM_400000_NS6detail17trampoline_kernelINS0_14default_configENS1_25partition_config_selectorILNS1_17partition_subalgoE6EN6thrust23THRUST_200600_302600_NS5tupleIttNS7_9null_typeES9_S9_S9_S9_S9_S9_S9_EENS0_10empty_typeEbEEZZNS1_14partition_implILS5_6ELb0ES3_mNS7_12zip_iteratorINS8_INS7_6detail15normal_iteratorINS7_10device_ptrItEEEESJ_S9_S9_S9_S9_S9_S9_S9_S9_EEEEPSB_SM_NS0_5tupleIJNSE_INS8_ISJ_NS7_16discard_iteratorINS7_11use_defaultEEES9_S9_S9_S9_S9_S9_S9_S9_EEEESB_EEENSN_IJSM_SM_EEESB_PlJNSF_9not_fun_tINSF_14equal_to_valueISA_EEEEEEE10hipError_tPvRmT3_T4_T5_T6_T7_T9_mT8_P12ihipStream_tbDpT10_ENKUlT_T0_E_clISt17integral_constantIbLb1EES1J_EEDaS1E_S1F_EUlS1E_E_NS1_11comp_targetILNS1_3genE4ELNS1_11target_archE910ELNS1_3gpuE8ELNS1_3repE0EEENS1_30default_config_static_selectorELNS0_4arch9wavefront6targetE0EEEvT1_,comdat
	.protected	_ZN7rocprim17ROCPRIM_400000_NS6detail17trampoline_kernelINS0_14default_configENS1_25partition_config_selectorILNS1_17partition_subalgoE6EN6thrust23THRUST_200600_302600_NS5tupleIttNS7_9null_typeES9_S9_S9_S9_S9_S9_S9_EENS0_10empty_typeEbEEZZNS1_14partition_implILS5_6ELb0ES3_mNS7_12zip_iteratorINS8_INS7_6detail15normal_iteratorINS7_10device_ptrItEEEESJ_S9_S9_S9_S9_S9_S9_S9_S9_EEEEPSB_SM_NS0_5tupleIJNSE_INS8_ISJ_NS7_16discard_iteratorINS7_11use_defaultEEES9_S9_S9_S9_S9_S9_S9_S9_EEEESB_EEENSN_IJSM_SM_EEESB_PlJNSF_9not_fun_tINSF_14equal_to_valueISA_EEEEEEE10hipError_tPvRmT3_T4_T5_T6_T7_T9_mT8_P12ihipStream_tbDpT10_ENKUlT_T0_E_clISt17integral_constantIbLb1EES1J_EEDaS1E_S1F_EUlS1E_E_NS1_11comp_targetILNS1_3genE4ELNS1_11target_archE910ELNS1_3gpuE8ELNS1_3repE0EEENS1_30default_config_static_selectorELNS0_4arch9wavefront6targetE0EEEvT1_ ; -- Begin function _ZN7rocprim17ROCPRIM_400000_NS6detail17trampoline_kernelINS0_14default_configENS1_25partition_config_selectorILNS1_17partition_subalgoE6EN6thrust23THRUST_200600_302600_NS5tupleIttNS7_9null_typeES9_S9_S9_S9_S9_S9_S9_EENS0_10empty_typeEbEEZZNS1_14partition_implILS5_6ELb0ES3_mNS7_12zip_iteratorINS8_INS7_6detail15normal_iteratorINS7_10device_ptrItEEEESJ_S9_S9_S9_S9_S9_S9_S9_S9_EEEEPSB_SM_NS0_5tupleIJNSE_INS8_ISJ_NS7_16discard_iteratorINS7_11use_defaultEEES9_S9_S9_S9_S9_S9_S9_S9_EEEESB_EEENSN_IJSM_SM_EEESB_PlJNSF_9not_fun_tINSF_14equal_to_valueISA_EEEEEEE10hipError_tPvRmT3_T4_T5_T6_T7_T9_mT8_P12ihipStream_tbDpT10_ENKUlT_T0_E_clISt17integral_constantIbLb1EES1J_EEDaS1E_S1F_EUlS1E_E_NS1_11comp_targetILNS1_3genE4ELNS1_11target_archE910ELNS1_3gpuE8ELNS1_3repE0EEENS1_30default_config_static_selectorELNS0_4arch9wavefront6targetE0EEEvT1_
	.globl	_ZN7rocprim17ROCPRIM_400000_NS6detail17trampoline_kernelINS0_14default_configENS1_25partition_config_selectorILNS1_17partition_subalgoE6EN6thrust23THRUST_200600_302600_NS5tupleIttNS7_9null_typeES9_S9_S9_S9_S9_S9_S9_EENS0_10empty_typeEbEEZZNS1_14partition_implILS5_6ELb0ES3_mNS7_12zip_iteratorINS8_INS7_6detail15normal_iteratorINS7_10device_ptrItEEEESJ_S9_S9_S9_S9_S9_S9_S9_S9_EEEEPSB_SM_NS0_5tupleIJNSE_INS8_ISJ_NS7_16discard_iteratorINS7_11use_defaultEEES9_S9_S9_S9_S9_S9_S9_S9_EEEESB_EEENSN_IJSM_SM_EEESB_PlJNSF_9not_fun_tINSF_14equal_to_valueISA_EEEEEEE10hipError_tPvRmT3_T4_T5_T6_T7_T9_mT8_P12ihipStream_tbDpT10_ENKUlT_T0_E_clISt17integral_constantIbLb1EES1J_EEDaS1E_S1F_EUlS1E_E_NS1_11comp_targetILNS1_3genE4ELNS1_11target_archE910ELNS1_3gpuE8ELNS1_3repE0EEENS1_30default_config_static_selectorELNS0_4arch9wavefront6targetE0EEEvT1_
	.p2align	8
	.type	_ZN7rocprim17ROCPRIM_400000_NS6detail17trampoline_kernelINS0_14default_configENS1_25partition_config_selectorILNS1_17partition_subalgoE6EN6thrust23THRUST_200600_302600_NS5tupleIttNS7_9null_typeES9_S9_S9_S9_S9_S9_S9_EENS0_10empty_typeEbEEZZNS1_14partition_implILS5_6ELb0ES3_mNS7_12zip_iteratorINS8_INS7_6detail15normal_iteratorINS7_10device_ptrItEEEESJ_S9_S9_S9_S9_S9_S9_S9_S9_EEEEPSB_SM_NS0_5tupleIJNSE_INS8_ISJ_NS7_16discard_iteratorINS7_11use_defaultEEES9_S9_S9_S9_S9_S9_S9_S9_EEEESB_EEENSN_IJSM_SM_EEESB_PlJNSF_9not_fun_tINSF_14equal_to_valueISA_EEEEEEE10hipError_tPvRmT3_T4_T5_T6_T7_T9_mT8_P12ihipStream_tbDpT10_ENKUlT_T0_E_clISt17integral_constantIbLb1EES1J_EEDaS1E_S1F_EUlS1E_E_NS1_11comp_targetILNS1_3genE4ELNS1_11target_archE910ELNS1_3gpuE8ELNS1_3repE0EEENS1_30default_config_static_selectorELNS0_4arch9wavefront6targetE0EEEvT1_,@function
_ZN7rocprim17ROCPRIM_400000_NS6detail17trampoline_kernelINS0_14default_configENS1_25partition_config_selectorILNS1_17partition_subalgoE6EN6thrust23THRUST_200600_302600_NS5tupleIttNS7_9null_typeES9_S9_S9_S9_S9_S9_S9_EENS0_10empty_typeEbEEZZNS1_14partition_implILS5_6ELb0ES3_mNS7_12zip_iteratorINS8_INS7_6detail15normal_iteratorINS7_10device_ptrItEEEESJ_S9_S9_S9_S9_S9_S9_S9_S9_EEEEPSB_SM_NS0_5tupleIJNSE_INS8_ISJ_NS7_16discard_iteratorINS7_11use_defaultEEES9_S9_S9_S9_S9_S9_S9_S9_EEEESB_EEENSN_IJSM_SM_EEESB_PlJNSF_9not_fun_tINSF_14equal_to_valueISA_EEEEEEE10hipError_tPvRmT3_T4_T5_T6_T7_T9_mT8_P12ihipStream_tbDpT10_ENKUlT_T0_E_clISt17integral_constantIbLb1EES1J_EEDaS1E_S1F_EUlS1E_E_NS1_11comp_targetILNS1_3genE4ELNS1_11target_archE910ELNS1_3gpuE8ELNS1_3repE0EEENS1_30default_config_static_selectorELNS0_4arch9wavefront6targetE0EEEvT1_: ; @_ZN7rocprim17ROCPRIM_400000_NS6detail17trampoline_kernelINS0_14default_configENS1_25partition_config_selectorILNS1_17partition_subalgoE6EN6thrust23THRUST_200600_302600_NS5tupleIttNS7_9null_typeES9_S9_S9_S9_S9_S9_S9_EENS0_10empty_typeEbEEZZNS1_14partition_implILS5_6ELb0ES3_mNS7_12zip_iteratorINS8_INS7_6detail15normal_iteratorINS7_10device_ptrItEEEESJ_S9_S9_S9_S9_S9_S9_S9_S9_EEEEPSB_SM_NS0_5tupleIJNSE_INS8_ISJ_NS7_16discard_iteratorINS7_11use_defaultEEES9_S9_S9_S9_S9_S9_S9_S9_EEEESB_EEENSN_IJSM_SM_EEESB_PlJNSF_9not_fun_tINSF_14equal_to_valueISA_EEEEEEE10hipError_tPvRmT3_T4_T5_T6_T7_T9_mT8_P12ihipStream_tbDpT10_ENKUlT_T0_E_clISt17integral_constantIbLb1EES1J_EEDaS1E_S1F_EUlS1E_E_NS1_11comp_targetILNS1_3genE4ELNS1_11target_archE910ELNS1_3gpuE8ELNS1_3repE0EEENS1_30default_config_static_selectorELNS0_4arch9wavefront6targetE0EEEvT1_
; %bb.0:
	.section	.rodata,"a",@progbits
	.p2align	6, 0x0
	.amdhsa_kernel _ZN7rocprim17ROCPRIM_400000_NS6detail17trampoline_kernelINS0_14default_configENS1_25partition_config_selectorILNS1_17partition_subalgoE6EN6thrust23THRUST_200600_302600_NS5tupleIttNS7_9null_typeES9_S9_S9_S9_S9_S9_S9_EENS0_10empty_typeEbEEZZNS1_14partition_implILS5_6ELb0ES3_mNS7_12zip_iteratorINS8_INS7_6detail15normal_iteratorINS7_10device_ptrItEEEESJ_S9_S9_S9_S9_S9_S9_S9_S9_EEEEPSB_SM_NS0_5tupleIJNSE_INS8_ISJ_NS7_16discard_iteratorINS7_11use_defaultEEES9_S9_S9_S9_S9_S9_S9_S9_EEEESB_EEENSN_IJSM_SM_EEESB_PlJNSF_9not_fun_tINSF_14equal_to_valueISA_EEEEEEE10hipError_tPvRmT3_T4_T5_T6_T7_T9_mT8_P12ihipStream_tbDpT10_ENKUlT_T0_E_clISt17integral_constantIbLb1EES1J_EEDaS1E_S1F_EUlS1E_E_NS1_11comp_targetILNS1_3genE4ELNS1_11target_archE910ELNS1_3gpuE8ELNS1_3repE0EEENS1_30default_config_static_selectorELNS0_4arch9wavefront6targetE0EEEvT1_
		.amdhsa_group_segment_fixed_size 0
		.amdhsa_private_segment_fixed_size 0
		.amdhsa_kernarg_size 152
		.amdhsa_user_sgpr_count 2
		.amdhsa_user_sgpr_dispatch_ptr 0
		.amdhsa_user_sgpr_queue_ptr 0
		.amdhsa_user_sgpr_kernarg_segment_ptr 1
		.amdhsa_user_sgpr_dispatch_id 0
		.amdhsa_user_sgpr_private_segment_size 0
		.amdhsa_wavefront_size32 1
		.amdhsa_uses_dynamic_stack 0
		.amdhsa_enable_private_segment 0
		.amdhsa_system_sgpr_workgroup_id_x 1
		.amdhsa_system_sgpr_workgroup_id_y 0
		.amdhsa_system_sgpr_workgroup_id_z 0
		.amdhsa_system_sgpr_workgroup_info 0
		.amdhsa_system_vgpr_workitem_id 0
		.amdhsa_next_free_vgpr 1
		.amdhsa_next_free_sgpr 1
		.amdhsa_reserve_vcc 0
		.amdhsa_float_round_mode_32 0
		.amdhsa_float_round_mode_16_64 0
		.amdhsa_float_denorm_mode_32 3
		.amdhsa_float_denorm_mode_16_64 3
		.amdhsa_fp16_overflow 0
		.amdhsa_workgroup_processor_mode 1
		.amdhsa_memory_ordered 1
		.amdhsa_forward_progress 1
		.amdhsa_inst_pref_size 0
		.amdhsa_round_robin_scheduling 0
		.amdhsa_exception_fp_ieee_invalid_op 0
		.amdhsa_exception_fp_denorm_src 0
		.amdhsa_exception_fp_ieee_div_zero 0
		.amdhsa_exception_fp_ieee_overflow 0
		.amdhsa_exception_fp_ieee_underflow 0
		.amdhsa_exception_fp_ieee_inexact 0
		.amdhsa_exception_int_div_zero 0
	.end_amdhsa_kernel
	.section	.text._ZN7rocprim17ROCPRIM_400000_NS6detail17trampoline_kernelINS0_14default_configENS1_25partition_config_selectorILNS1_17partition_subalgoE6EN6thrust23THRUST_200600_302600_NS5tupleIttNS7_9null_typeES9_S9_S9_S9_S9_S9_S9_EENS0_10empty_typeEbEEZZNS1_14partition_implILS5_6ELb0ES3_mNS7_12zip_iteratorINS8_INS7_6detail15normal_iteratorINS7_10device_ptrItEEEESJ_S9_S9_S9_S9_S9_S9_S9_S9_EEEEPSB_SM_NS0_5tupleIJNSE_INS8_ISJ_NS7_16discard_iteratorINS7_11use_defaultEEES9_S9_S9_S9_S9_S9_S9_S9_EEEESB_EEENSN_IJSM_SM_EEESB_PlJNSF_9not_fun_tINSF_14equal_to_valueISA_EEEEEEE10hipError_tPvRmT3_T4_T5_T6_T7_T9_mT8_P12ihipStream_tbDpT10_ENKUlT_T0_E_clISt17integral_constantIbLb1EES1J_EEDaS1E_S1F_EUlS1E_E_NS1_11comp_targetILNS1_3genE4ELNS1_11target_archE910ELNS1_3gpuE8ELNS1_3repE0EEENS1_30default_config_static_selectorELNS0_4arch9wavefront6targetE0EEEvT1_,"axG",@progbits,_ZN7rocprim17ROCPRIM_400000_NS6detail17trampoline_kernelINS0_14default_configENS1_25partition_config_selectorILNS1_17partition_subalgoE6EN6thrust23THRUST_200600_302600_NS5tupleIttNS7_9null_typeES9_S9_S9_S9_S9_S9_S9_EENS0_10empty_typeEbEEZZNS1_14partition_implILS5_6ELb0ES3_mNS7_12zip_iteratorINS8_INS7_6detail15normal_iteratorINS7_10device_ptrItEEEESJ_S9_S9_S9_S9_S9_S9_S9_S9_EEEEPSB_SM_NS0_5tupleIJNSE_INS8_ISJ_NS7_16discard_iteratorINS7_11use_defaultEEES9_S9_S9_S9_S9_S9_S9_S9_EEEESB_EEENSN_IJSM_SM_EEESB_PlJNSF_9not_fun_tINSF_14equal_to_valueISA_EEEEEEE10hipError_tPvRmT3_T4_T5_T6_T7_T9_mT8_P12ihipStream_tbDpT10_ENKUlT_T0_E_clISt17integral_constantIbLb1EES1J_EEDaS1E_S1F_EUlS1E_E_NS1_11comp_targetILNS1_3genE4ELNS1_11target_archE910ELNS1_3gpuE8ELNS1_3repE0EEENS1_30default_config_static_selectorELNS0_4arch9wavefront6targetE0EEEvT1_,comdat
.Lfunc_end1959:
	.size	_ZN7rocprim17ROCPRIM_400000_NS6detail17trampoline_kernelINS0_14default_configENS1_25partition_config_selectorILNS1_17partition_subalgoE6EN6thrust23THRUST_200600_302600_NS5tupleIttNS7_9null_typeES9_S9_S9_S9_S9_S9_S9_EENS0_10empty_typeEbEEZZNS1_14partition_implILS5_6ELb0ES3_mNS7_12zip_iteratorINS8_INS7_6detail15normal_iteratorINS7_10device_ptrItEEEESJ_S9_S9_S9_S9_S9_S9_S9_S9_EEEEPSB_SM_NS0_5tupleIJNSE_INS8_ISJ_NS7_16discard_iteratorINS7_11use_defaultEEES9_S9_S9_S9_S9_S9_S9_S9_EEEESB_EEENSN_IJSM_SM_EEESB_PlJNSF_9not_fun_tINSF_14equal_to_valueISA_EEEEEEE10hipError_tPvRmT3_T4_T5_T6_T7_T9_mT8_P12ihipStream_tbDpT10_ENKUlT_T0_E_clISt17integral_constantIbLb1EES1J_EEDaS1E_S1F_EUlS1E_E_NS1_11comp_targetILNS1_3genE4ELNS1_11target_archE910ELNS1_3gpuE8ELNS1_3repE0EEENS1_30default_config_static_selectorELNS0_4arch9wavefront6targetE0EEEvT1_, .Lfunc_end1959-_ZN7rocprim17ROCPRIM_400000_NS6detail17trampoline_kernelINS0_14default_configENS1_25partition_config_selectorILNS1_17partition_subalgoE6EN6thrust23THRUST_200600_302600_NS5tupleIttNS7_9null_typeES9_S9_S9_S9_S9_S9_S9_EENS0_10empty_typeEbEEZZNS1_14partition_implILS5_6ELb0ES3_mNS7_12zip_iteratorINS8_INS7_6detail15normal_iteratorINS7_10device_ptrItEEEESJ_S9_S9_S9_S9_S9_S9_S9_S9_EEEEPSB_SM_NS0_5tupleIJNSE_INS8_ISJ_NS7_16discard_iteratorINS7_11use_defaultEEES9_S9_S9_S9_S9_S9_S9_S9_EEEESB_EEENSN_IJSM_SM_EEESB_PlJNSF_9not_fun_tINSF_14equal_to_valueISA_EEEEEEE10hipError_tPvRmT3_T4_T5_T6_T7_T9_mT8_P12ihipStream_tbDpT10_ENKUlT_T0_E_clISt17integral_constantIbLb1EES1J_EEDaS1E_S1F_EUlS1E_E_NS1_11comp_targetILNS1_3genE4ELNS1_11target_archE910ELNS1_3gpuE8ELNS1_3repE0EEENS1_30default_config_static_selectorELNS0_4arch9wavefront6targetE0EEEvT1_
                                        ; -- End function
	.set _ZN7rocprim17ROCPRIM_400000_NS6detail17trampoline_kernelINS0_14default_configENS1_25partition_config_selectorILNS1_17partition_subalgoE6EN6thrust23THRUST_200600_302600_NS5tupleIttNS7_9null_typeES9_S9_S9_S9_S9_S9_S9_EENS0_10empty_typeEbEEZZNS1_14partition_implILS5_6ELb0ES3_mNS7_12zip_iteratorINS8_INS7_6detail15normal_iteratorINS7_10device_ptrItEEEESJ_S9_S9_S9_S9_S9_S9_S9_S9_EEEEPSB_SM_NS0_5tupleIJNSE_INS8_ISJ_NS7_16discard_iteratorINS7_11use_defaultEEES9_S9_S9_S9_S9_S9_S9_S9_EEEESB_EEENSN_IJSM_SM_EEESB_PlJNSF_9not_fun_tINSF_14equal_to_valueISA_EEEEEEE10hipError_tPvRmT3_T4_T5_T6_T7_T9_mT8_P12ihipStream_tbDpT10_ENKUlT_T0_E_clISt17integral_constantIbLb1EES1J_EEDaS1E_S1F_EUlS1E_E_NS1_11comp_targetILNS1_3genE4ELNS1_11target_archE910ELNS1_3gpuE8ELNS1_3repE0EEENS1_30default_config_static_selectorELNS0_4arch9wavefront6targetE0EEEvT1_.num_vgpr, 0
	.set _ZN7rocprim17ROCPRIM_400000_NS6detail17trampoline_kernelINS0_14default_configENS1_25partition_config_selectorILNS1_17partition_subalgoE6EN6thrust23THRUST_200600_302600_NS5tupleIttNS7_9null_typeES9_S9_S9_S9_S9_S9_S9_EENS0_10empty_typeEbEEZZNS1_14partition_implILS5_6ELb0ES3_mNS7_12zip_iteratorINS8_INS7_6detail15normal_iteratorINS7_10device_ptrItEEEESJ_S9_S9_S9_S9_S9_S9_S9_S9_EEEEPSB_SM_NS0_5tupleIJNSE_INS8_ISJ_NS7_16discard_iteratorINS7_11use_defaultEEES9_S9_S9_S9_S9_S9_S9_S9_EEEESB_EEENSN_IJSM_SM_EEESB_PlJNSF_9not_fun_tINSF_14equal_to_valueISA_EEEEEEE10hipError_tPvRmT3_T4_T5_T6_T7_T9_mT8_P12ihipStream_tbDpT10_ENKUlT_T0_E_clISt17integral_constantIbLb1EES1J_EEDaS1E_S1F_EUlS1E_E_NS1_11comp_targetILNS1_3genE4ELNS1_11target_archE910ELNS1_3gpuE8ELNS1_3repE0EEENS1_30default_config_static_selectorELNS0_4arch9wavefront6targetE0EEEvT1_.num_agpr, 0
	.set _ZN7rocprim17ROCPRIM_400000_NS6detail17trampoline_kernelINS0_14default_configENS1_25partition_config_selectorILNS1_17partition_subalgoE6EN6thrust23THRUST_200600_302600_NS5tupleIttNS7_9null_typeES9_S9_S9_S9_S9_S9_S9_EENS0_10empty_typeEbEEZZNS1_14partition_implILS5_6ELb0ES3_mNS7_12zip_iteratorINS8_INS7_6detail15normal_iteratorINS7_10device_ptrItEEEESJ_S9_S9_S9_S9_S9_S9_S9_S9_EEEEPSB_SM_NS0_5tupleIJNSE_INS8_ISJ_NS7_16discard_iteratorINS7_11use_defaultEEES9_S9_S9_S9_S9_S9_S9_S9_EEEESB_EEENSN_IJSM_SM_EEESB_PlJNSF_9not_fun_tINSF_14equal_to_valueISA_EEEEEEE10hipError_tPvRmT3_T4_T5_T6_T7_T9_mT8_P12ihipStream_tbDpT10_ENKUlT_T0_E_clISt17integral_constantIbLb1EES1J_EEDaS1E_S1F_EUlS1E_E_NS1_11comp_targetILNS1_3genE4ELNS1_11target_archE910ELNS1_3gpuE8ELNS1_3repE0EEENS1_30default_config_static_selectorELNS0_4arch9wavefront6targetE0EEEvT1_.numbered_sgpr, 0
	.set _ZN7rocprim17ROCPRIM_400000_NS6detail17trampoline_kernelINS0_14default_configENS1_25partition_config_selectorILNS1_17partition_subalgoE6EN6thrust23THRUST_200600_302600_NS5tupleIttNS7_9null_typeES9_S9_S9_S9_S9_S9_S9_EENS0_10empty_typeEbEEZZNS1_14partition_implILS5_6ELb0ES3_mNS7_12zip_iteratorINS8_INS7_6detail15normal_iteratorINS7_10device_ptrItEEEESJ_S9_S9_S9_S9_S9_S9_S9_S9_EEEEPSB_SM_NS0_5tupleIJNSE_INS8_ISJ_NS7_16discard_iteratorINS7_11use_defaultEEES9_S9_S9_S9_S9_S9_S9_S9_EEEESB_EEENSN_IJSM_SM_EEESB_PlJNSF_9not_fun_tINSF_14equal_to_valueISA_EEEEEEE10hipError_tPvRmT3_T4_T5_T6_T7_T9_mT8_P12ihipStream_tbDpT10_ENKUlT_T0_E_clISt17integral_constantIbLb1EES1J_EEDaS1E_S1F_EUlS1E_E_NS1_11comp_targetILNS1_3genE4ELNS1_11target_archE910ELNS1_3gpuE8ELNS1_3repE0EEENS1_30default_config_static_selectorELNS0_4arch9wavefront6targetE0EEEvT1_.num_named_barrier, 0
	.set _ZN7rocprim17ROCPRIM_400000_NS6detail17trampoline_kernelINS0_14default_configENS1_25partition_config_selectorILNS1_17partition_subalgoE6EN6thrust23THRUST_200600_302600_NS5tupleIttNS7_9null_typeES9_S9_S9_S9_S9_S9_S9_EENS0_10empty_typeEbEEZZNS1_14partition_implILS5_6ELb0ES3_mNS7_12zip_iteratorINS8_INS7_6detail15normal_iteratorINS7_10device_ptrItEEEESJ_S9_S9_S9_S9_S9_S9_S9_S9_EEEEPSB_SM_NS0_5tupleIJNSE_INS8_ISJ_NS7_16discard_iteratorINS7_11use_defaultEEES9_S9_S9_S9_S9_S9_S9_S9_EEEESB_EEENSN_IJSM_SM_EEESB_PlJNSF_9not_fun_tINSF_14equal_to_valueISA_EEEEEEE10hipError_tPvRmT3_T4_T5_T6_T7_T9_mT8_P12ihipStream_tbDpT10_ENKUlT_T0_E_clISt17integral_constantIbLb1EES1J_EEDaS1E_S1F_EUlS1E_E_NS1_11comp_targetILNS1_3genE4ELNS1_11target_archE910ELNS1_3gpuE8ELNS1_3repE0EEENS1_30default_config_static_selectorELNS0_4arch9wavefront6targetE0EEEvT1_.private_seg_size, 0
	.set _ZN7rocprim17ROCPRIM_400000_NS6detail17trampoline_kernelINS0_14default_configENS1_25partition_config_selectorILNS1_17partition_subalgoE6EN6thrust23THRUST_200600_302600_NS5tupleIttNS7_9null_typeES9_S9_S9_S9_S9_S9_S9_EENS0_10empty_typeEbEEZZNS1_14partition_implILS5_6ELb0ES3_mNS7_12zip_iteratorINS8_INS7_6detail15normal_iteratorINS7_10device_ptrItEEEESJ_S9_S9_S9_S9_S9_S9_S9_S9_EEEEPSB_SM_NS0_5tupleIJNSE_INS8_ISJ_NS7_16discard_iteratorINS7_11use_defaultEEES9_S9_S9_S9_S9_S9_S9_S9_EEEESB_EEENSN_IJSM_SM_EEESB_PlJNSF_9not_fun_tINSF_14equal_to_valueISA_EEEEEEE10hipError_tPvRmT3_T4_T5_T6_T7_T9_mT8_P12ihipStream_tbDpT10_ENKUlT_T0_E_clISt17integral_constantIbLb1EES1J_EEDaS1E_S1F_EUlS1E_E_NS1_11comp_targetILNS1_3genE4ELNS1_11target_archE910ELNS1_3gpuE8ELNS1_3repE0EEENS1_30default_config_static_selectorELNS0_4arch9wavefront6targetE0EEEvT1_.uses_vcc, 0
	.set _ZN7rocprim17ROCPRIM_400000_NS6detail17trampoline_kernelINS0_14default_configENS1_25partition_config_selectorILNS1_17partition_subalgoE6EN6thrust23THRUST_200600_302600_NS5tupleIttNS7_9null_typeES9_S9_S9_S9_S9_S9_S9_EENS0_10empty_typeEbEEZZNS1_14partition_implILS5_6ELb0ES3_mNS7_12zip_iteratorINS8_INS7_6detail15normal_iteratorINS7_10device_ptrItEEEESJ_S9_S9_S9_S9_S9_S9_S9_S9_EEEEPSB_SM_NS0_5tupleIJNSE_INS8_ISJ_NS7_16discard_iteratorINS7_11use_defaultEEES9_S9_S9_S9_S9_S9_S9_S9_EEEESB_EEENSN_IJSM_SM_EEESB_PlJNSF_9not_fun_tINSF_14equal_to_valueISA_EEEEEEE10hipError_tPvRmT3_T4_T5_T6_T7_T9_mT8_P12ihipStream_tbDpT10_ENKUlT_T0_E_clISt17integral_constantIbLb1EES1J_EEDaS1E_S1F_EUlS1E_E_NS1_11comp_targetILNS1_3genE4ELNS1_11target_archE910ELNS1_3gpuE8ELNS1_3repE0EEENS1_30default_config_static_selectorELNS0_4arch9wavefront6targetE0EEEvT1_.uses_flat_scratch, 0
	.set _ZN7rocprim17ROCPRIM_400000_NS6detail17trampoline_kernelINS0_14default_configENS1_25partition_config_selectorILNS1_17partition_subalgoE6EN6thrust23THRUST_200600_302600_NS5tupleIttNS7_9null_typeES9_S9_S9_S9_S9_S9_S9_EENS0_10empty_typeEbEEZZNS1_14partition_implILS5_6ELb0ES3_mNS7_12zip_iteratorINS8_INS7_6detail15normal_iteratorINS7_10device_ptrItEEEESJ_S9_S9_S9_S9_S9_S9_S9_S9_EEEEPSB_SM_NS0_5tupleIJNSE_INS8_ISJ_NS7_16discard_iteratorINS7_11use_defaultEEES9_S9_S9_S9_S9_S9_S9_S9_EEEESB_EEENSN_IJSM_SM_EEESB_PlJNSF_9not_fun_tINSF_14equal_to_valueISA_EEEEEEE10hipError_tPvRmT3_T4_T5_T6_T7_T9_mT8_P12ihipStream_tbDpT10_ENKUlT_T0_E_clISt17integral_constantIbLb1EES1J_EEDaS1E_S1F_EUlS1E_E_NS1_11comp_targetILNS1_3genE4ELNS1_11target_archE910ELNS1_3gpuE8ELNS1_3repE0EEENS1_30default_config_static_selectorELNS0_4arch9wavefront6targetE0EEEvT1_.has_dyn_sized_stack, 0
	.set _ZN7rocprim17ROCPRIM_400000_NS6detail17trampoline_kernelINS0_14default_configENS1_25partition_config_selectorILNS1_17partition_subalgoE6EN6thrust23THRUST_200600_302600_NS5tupleIttNS7_9null_typeES9_S9_S9_S9_S9_S9_S9_EENS0_10empty_typeEbEEZZNS1_14partition_implILS5_6ELb0ES3_mNS7_12zip_iteratorINS8_INS7_6detail15normal_iteratorINS7_10device_ptrItEEEESJ_S9_S9_S9_S9_S9_S9_S9_S9_EEEEPSB_SM_NS0_5tupleIJNSE_INS8_ISJ_NS7_16discard_iteratorINS7_11use_defaultEEES9_S9_S9_S9_S9_S9_S9_S9_EEEESB_EEENSN_IJSM_SM_EEESB_PlJNSF_9not_fun_tINSF_14equal_to_valueISA_EEEEEEE10hipError_tPvRmT3_T4_T5_T6_T7_T9_mT8_P12ihipStream_tbDpT10_ENKUlT_T0_E_clISt17integral_constantIbLb1EES1J_EEDaS1E_S1F_EUlS1E_E_NS1_11comp_targetILNS1_3genE4ELNS1_11target_archE910ELNS1_3gpuE8ELNS1_3repE0EEENS1_30default_config_static_selectorELNS0_4arch9wavefront6targetE0EEEvT1_.has_recursion, 0
	.set _ZN7rocprim17ROCPRIM_400000_NS6detail17trampoline_kernelINS0_14default_configENS1_25partition_config_selectorILNS1_17partition_subalgoE6EN6thrust23THRUST_200600_302600_NS5tupleIttNS7_9null_typeES9_S9_S9_S9_S9_S9_S9_EENS0_10empty_typeEbEEZZNS1_14partition_implILS5_6ELb0ES3_mNS7_12zip_iteratorINS8_INS7_6detail15normal_iteratorINS7_10device_ptrItEEEESJ_S9_S9_S9_S9_S9_S9_S9_S9_EEEEPSB_SM_NS0_5tupleIJNSE_INS8_ISJ_NS7_16discard_iteratorINS7_11use_defaultEEES9_S9_S9_S9_S9_S9_S9_S9_EEEESB_EEENSN_IJSM_SM_EEESB_PlJNSF_9not_fun_tINSF_14equal_to_valueISA_EEEEEEE10hipError_tPvRmT3_T4_T5_T6_T7_T9_mT8_P12ihipStream_tbDpT10_ENKUlT_T0_E_clISt17integral_constantIbLb1EES1J_EEDaS1E_S1F_EUlS1E_E_NS1_11comp_targetILNS1_3genE4ELNS1_11target_archE910ELNS1_3gpuE8ELNS1_3repE0EEENS1_30default_config_static_selectorELNS0_4arch9wavefront6targetE0EEEvT1_.has_indirect_call, 0
	.section	.AMDGPU.csdata,"",@progbits
; Kernel info:
; codeLenInByte = 0
; TotalNumSgprs: 0
; NumVgprs: 0
; ScratchSize: 0
; MemoryBound: 0
; FloatMode: 240
; IeeeMode: 1
; LDSByteSize: 0 bytes/workgroup (compile time only)
; SGPRBlocks: 0
; VGPRBlocks: 0
; NumSGPRsForWavesPerEU: 1
; NumVGPRsForWavesPerEU: 1
; Occupancy: 16
; WaveLimiterHint : 0
; COMPUTE_PGM_RSRC2:SCRATCH_EN: 0
; COMPUTE_PGM_RSRC2:USER_SGPR: 2
; COMPUTE_PGM_RSRC2:TRAP_HANDLER: 0
; COMPUTE_PGM_RSRC2:TGID_X_EN: 1
; COMPUTE_PGM_RSRC2:TGID_Y_EN: 0
; COMPUTE_PGM_RSRC2:TGID_Z_EN: 0
; COMPUTE_PGM_RSRC2:TIDIG_COMP_CNT: 0
	.section	.text._ZN7rocprim17ROCPRIM_400000_NS6detail17trampoline_kernelINS0_14default_configENS1_25partition_config_selectorILNS1_17partition_subalgoE6EN6thrust23THRUST_200600_302600_NS5tupleIttNS7_9null_typeES9_S9_S9_S9_S9_S9_S9_EENS0_10empty_typeEbEEZZNS1_14partition_implILS5_6ELb0ES3_mNS7_12zip_iteratorINS8_INS7_6detail15normal_iteratorINS7_10device_ptrItEEEESJ_S9_S9_S9_S9_S9_S9_S9_S9_EEEEPSB_SM_NS0_5tupleIJNSE_INS8_ISJ_NS7_16discard_iteratorINS7_11use_defaultEEES9_S9_S9_S9_S9_S9_S9_S9_EEEESB_EEENSN_IJSM_SM_EEESB_PlJNSF_9not_fun_tINSF_14equal_to_valueISA_EEEEEEE10hipError_tPvRmT3_T4_T5_T6_T7_T9_mT8_P12ihipStream_tbDpT10_ENKUlT_T0_E_clISt17integral_constantIbLb1EES1J_EEDaS1E_S1F_EUlS1E_E_NS1_11comp_targetILNS1_3genE3ELNS1_11target_archE908ELNS1_3gpuE7ELNS1_3repE0EEENS1_30default_config_static_selectorELNS0_4arch9wavefront6targetE0EEEvT1_,"axG",@progbits,_ZN7rocprim17ROCPRIM_400000_NS6detail17trampoline_kernelINS0_14default_configENS1_25partition_config_selectorILNS1_17partition_subalgoE6EN6thrust23THRUST_200600_302600_NS5tupleIttNS7_9null_typeES9_S9_S9_S9_S9_S9_S9_EENS0_10empty_typeEbEEZZNS1_14partition_implILS5_6ELb0ES3_mNS7_12zip_iteratorINS8_INS7_6detail15normal_iteratorINS7_10device_ptrItEEEESJ_S9_S9_S9_S9_S9_S9_S9_S9_EEEEPSB_SM_NS0_5tupleIJNSE_INS8_ISJ_NS7_16discard_iteratorINS7_11use_defaultEEES9_S9_S9_S9_S9_S9_S9_S9_EEEESB_EEENSN_IJSM_SM_EEESB_PlJNSF_9not_fun_tINSF_14equal_to_valueISA_EEEEEEE10hipError_tPvRmT3_T4_T5_T6_T7_T9_mT8_P12ihipStream_tbDpT10_ENKUlT_T0_E_clISt17integral_constantIbLb1EES1J_EEDaS1E_S1F_EUlS1E_E_NS1_11comp_targetILNS1_3genE3ELNS1_11target_archE908ELNS1_3gpuE7ELNS1_3repE0EEENS1_30default_config_static_selectorELNS0_4arch9wavefront6targetE0EEEvT1_,comdat
	.protected	_ZN7rocprim17ROCPRIM_400000_NS6detail17trampoline_kernelINS0_14default_configENS1_25partition_config_selectorILNS1_17partition_subalgoE6EN6thrust23THRUST_200600_302600_NS5tupleIttNS7_9null_typeES9_S9_S9_S9_S9_S9_S9_EENS0_10empty_typeEbEEZZNS1_14partition_implILS5_6ELb0ES3_mNS7_12zip_iteratorINS8_INS7_6detail15normal_iteratorINS7_10device_ptrItEEEESJ_S9_S9_S9_S9_S9_S9_S9_S9_EEEEPSB_SM_NS0_5tupleIJNSE_INS8_ISJ_NS7_16discard_iteratorINS7_11use_defaultEEES9_S9_S9_S9_S9_S9_S9_S9_EEEESB_EEENSN_IJSM_SM_EEESB_PlJNSF_9not_fun_tINSF_14equal_to_valueISA_EEEEEEE10hipError_tPvRmT3_T4_T5_T6_T7_T9_mT8_P12ihipStream_tbDpT10_ENKUlT_T0_E_clISt17integral_constantIbLb1EES1J_EEDaS1E_S1F_EUlS1E_E_NS1_11comp_targetILNS1_3genE3ELNS1_11target_archE908ELNS1_3gpuE7ELNS1_3repE0EEENS1_30default_config_static_selectorELNS0_4arch9wavefront6targetE0EEEvT1_ ; -- Begin function _ZN7rocprim17ROCPRIM_400000_NS6detail17trampoline_kernelINS0_14default_configENS1_25partition_config_selectorILNS1_17partition_subalgoE6EN6thrust23THRUST_200600_302600_NS5tupleIttNS7_9null_typeES9_S9_S9_S9_S9_S9_S9_EENS0_10empty_typeEbEEZZNS1_14partition_implILS5_6ELb0ES3_mNS7_12zip_iteratorINS8_INS7_6detail15normal_iteratorINS7_10device_ptrItEEEESJ_S9_S9_S9_S9_S9_S9_S9_S9_EEEEPSB_SM_NS0_5tupleIJNSE_INS8_ISJ_NS7_16discard_iteratorINS7_11use_defaultEEES9_S9_S9_S9_S9_S9_S9_S9_EEEESB_EEENSN_IJSM_SM_EEESB_PlJNSF_9not_fun_tINSF_14equal_to_valueISA_EEEEEEE10hipError_tPvRmT3_T4_T5_T6_T7_T9_mT8_P12ihipStream_tbDpT10_ENKUlT_T0_E_clISt17integral_constantIbLb1EES1J_EEDaS1E_S1F_EUlS1E_E_NS1_11comp_targetILNS1_3genE3ELNS1_11target_archE908ELNS1_3gpuE7ELNS1_3repE0EEENS1_30default_config_static_selectorELNS0_4arch9wavefront6targetE0EEEvT1_
	.globl	_ZN7rocprim17ROCPRIM_400000_NS6detail17trampoline_kernelINS0_14default_configENS1_25partition_config_selectorILNS1_17partition_subalgoE6EN6thrust23THRUST_200600_302600_NS5tupleIttNS7_9null_typeES9_S9_S9_S9_S9_S9_S9_EENS0_10empty_typeEbEEZZNS1_14partition_implILS5_6ELb0ES3_mNS7_12zip_iteratorINS8_INS7_6detail15normal_iteratorINS7_10device_ptrItEEEESJ_S9_S9_S9_S9_S9_S9_S9_S9_EEEEPSB_SM_NS0_5tupleIJNSE_INS8_ISJ_NS7_16discard_iteratorINS7_11use_defaultEEES9_S9_S9_S9_S9_S9_S9_S9_EEEESB_EEENSN_IJSM_SM_EEESB_PlJNSF_9not_fun_tINSF_14equal_to_valueISA_EEEEEEE10hipError_tPvRmT3_T4_T5_T6_T7_T9_mT8_P12ihipStream_tbDpT10_ENKUlT_T0_E_clISt17integral_constantIbLb1EES1J_EEDaS1E_S1F_EUlS1E_E_NS1_11comp_targetILNS1_3genE3ELNS1_11target_archE908ELNS1_3gpuE7ELNS1_3repE0EEENS1_30default_config_static_selectorELNS0_4arch9wavefront6targetE0EEEvT1_
	.p2align	8
	.type	_ZN7rocprim17ROCPRIM_400000_NS6detail17trampoline_kernelINS0_14default_configENS1_25partition_config_selectorILNS1_17partition_subalgoE6EN6thrust23THRUST_200600_302600_NS5tupleIttNS7_9null_typeES9_S9_S9_S9_S9_S9_S9_EENS0_10empty_typeEbEEZZNS1_14partition_implILS5_6ELb0ES3_mNS7_12zip_iteratorINS8_INS7_6detail15normal_iteratorINS7_10device_ptrItEEEESJ_S9_S9_S9_S9_S9_S9_S9_S9_EEEEPSB_SM_NS0_5tupleIJNSE_INS8_ISJ_NS7_16discard_iteratorINS7_11use_defaultEEES9_S9_S9_S9_S9_S9_S9_S9_EEEESB_EEENSN_IJSM_SM_EEESB_PlJNSF_9not_fun_tINSF_14equal_to_valueISA_EEEEEEE10hipError_tPvRmT3_T4_T5_T6_T7_T9_mT8_P12ihipStream_tbDpT10_ENKUlT_T0_E_clISt17integral_constantIbLb1EES1J_EEDaS1E_S1F_EUlS1E_E_NS1_11comp_targetILNS1_3genE3ELNS1_11target_archE908ELNS1_3gpuE7ELNS1_3repE0EEENS1_30default_config_static_selectorELNS0_4arch9wavefront6targetE0EEEvT1_,@function
_ZN7rocprim17ROCPRIM_400000_NS6detail17trampoline_kernelINS0_14default_configENS1_25partition_config_selectorILNS1_17partition_subalgoE6EN6thrust23THRUST_200600_302600_NS5tupleIttNS7_9null_typeES9_S9_S9_S9_S9_S9_S9_EENS0_10empty_typeEbEEZZNS1_14partition_implILS5_6ELb0ES3_mNS7_12zip_iteratorINS8_INS7_6detail15normal_iteratorINS7_10device_ptrItEEEESJ_S9_S9_S9_S9_S9_S9_S9_S9_EEEEPSB_SM_NS0_5tupleIJNSE_INS8_ISJ_NS7_16discard_iteratorINS7_11use_defaultEEES9_S9_S9_S9_S9_S9_S9_S9_EEEESB_EEENSN_IJSM_SM_EEESB_PlJNSF_9not_fun_tINSF_14equal_to_valueISA_EEEEEEE10hipError_tPvRmT3_T4_T5_T6_T7_T9_mT8_P12ihipStream_tbDpT10_ENKUlT_T0_E_clISt17integral_constantIbLb1EES1J_EEDaS1E_S1F_EUlS1E_E_NS1_11comp_targetILNS1_3genE3ELNS1_11target_archE908ELNS1_3gpuE7ELNS1_3repE0EEENS1_30default_config_static_selectorELNS0_4arch9wavefront6targetE0EEEvT1_: ; @_ZN7rocprim17ROCPRIM_400000_NS6detail17trampoline_kernelINS0_14default_configENS1_25partition_config_selectorILNS1_17partition_subalgoE6EN6thrust23THRUST_200600_302600_NS5tupleIttNS7_9null_typeES9_S9_S9_S9_S9_S9_S9_EENS0_10empty_typeEbEEZZNS1_14partition_implILS5_6ELb0ES3_mNS7_12zip_iteratorINS8_INS7_6detail15normal_iteratorINS7_10device_ptrItEEEESJ_S9_S9_S9_S9_S9_S9_S9_S9_EEEEPSB_SM_NS0_5tupleIJNSE_INS8_ISJ_NS7_16discard_iteratorINS7_11use_defaultEEES9_S9_S9_S9_S9_S9_S9_S9_EEEESB_EEENSN_IJSM_SM_EEESB_PlJNSF_9not_fun_tINSF_14equal_to_valueISA_EEEEEEE10hipError_tPvRmT3_T4_T5_T6_T7_T9_mT8_P12ihipStream_tbDpT10_ENKUlT_T0_E_clISt17integral_constantIbLb1EES1J_EEDaS1E_S1F_EUlS1E_E_NS1_11comp_targetILNS1_3genE3ELNS1_11target_archE908ELNS1_3gpuE7ELNS1_3repE0EEENS1_30default_config_static_selectorELNS0_4arch9wavefront6targetE0EEEvT1_
; %bb.0:
	.section	.rodata,"a",@progbits
	.p2align	6, 0x0
	.amdhsa_kernel _ZN7rocprim17ROCPRIM_400000_NS6detail17trampoline_kernelINS0_14default_configENS1_25partition_config_selectorILNS1_17partition_subalgoE6EN6thrust23THRUST_200600_302600_NS5tupleIttNS7_9null_typeES9_S9_S9_S9_S9_S9_S9_EENS0_10empty_typeEbEEZZNS1_14partition_implILS5_6ELb0ES3_mNS7_12zip_iteratorINS8_INS7_6detail15normal_iteratorINS7_10device_ptrItEEEESJ_S9_S9_S9_S9_S9_S9_S9_S9_EEEEPSB_SM_NS0_5tupleIJNSE_INS8_ISJ_NS7_16discard_iteratorINS7_11use_defaultEEES9_S9_S9_S9_S9_S9_S9_S9_EEEESB_EEENSN_IJSM_SM_EEESB_PlJNSF_9not_fun_tINSF_14equal_to_valueISA_EEEEEEE10hipError_tPvRmT3_T4_T5_T6_T7_T9_mT8_P12ihipStream_tbDpT10_ENKUlT_T0_E_clISt17integral_constantIbLb1EES1J_EEDaS1E_S1F_EUlS1E_E_NS1_11comp_targetILNS1_3genE3ELNS1_11target_archE908ELNS1_3gpuE7ELNS1_3repE0EEENS1_30default_config_static_selectorELNS0_4arch9wavefront6targetE0EEEvT1_
		.amdhsa_group_segment_fixed_size 0
		.amdhsa_private_segment_fixed_size 0
		.amdhsa_kernarg_size 152
		.amdhsa_user_sgpr_count 2
		.amdhsa_user_sgpr_dispatch_ptr 0
		.amdhsa_user_sgpr_queue_ptr 0
		.amdhsa_user_sgpr_kernarg_segment_ptr 1
		.amdhsa_user_sgpr_dispatch_id 0
		.amdhsa_user_sgpr_private_segment_size 0
		.amdhsa_wavefront_size32 1
		.amdhsa_uses_dynamic_stack 0
		.amdhsa_enable_private_segment 0
		.amdhsa_system_sgpr_workgroup_id_x 1
		.amdhsa_system_sgpr_workgroup_id_y 0
		.amdhsa_system_sgpr_workgroup_id_z 0
		.amdhsa_system_sgpr_workgroup_info 0
		.amdhsa_system_vgpr_workitem_id 0
		.amdhsa_next_free_vgpr 1
		.amdhsa_next_free_sgpr 1
		.amdhsa_reserve_vcc 0
		.amdhsa_float_round_mode_32 0
		.amdhsa_float_round_mode_16_64 0
		.amdhsa_float_denorm_mode_32 3
		.amdhsa_float_denorm_mode_16_64 3
		.amdhsa_fp16_overflow 0
		.amdhsa_workgroup_processor_mode 1
		.amdhsa_memory_ordered 1
		.amdhsa_forward_progress 1
		.amdhsa_inst_pref_size 0
		.amdhsa_round_robin_scheduling 0
		.amdhsa_exception_fp_ieee_invalid_op 0
		.amdhsa_exception_fp_denorm_src 0
		.amdhsa_exception_fp_ieee_div_zero 0
		.amdhsa_exception_fp_ieee_overflow 0
		.amdhsa_exception_fp_ieee_underflow 0
		.amdhsa_exception_fp_ieee_inexact 0
		.amdhsa_exception_int_div_zero 0
	.end_amdhsa_kernel
	.section	.text._ZN7rocprim17ROCPRIM_400000_NS6detail17trampoline_kernelINS0_14default_configENS1_25partition_config_selectorILNS1_17partition_subalgoE6EN6thrust23THRUST_200600_302600_NS5tupleIttNS7_9null_typeES9_S9_S9_S9_S9_S9_S9_EENS0_10empty_typeEbEEZZNS1_14partition_implILS5_6ELb0ES3_mNS7_12zip_iteratorINS8_INS7_6detail15normal_iteratorINS7_10device_ptrItEEEESJ_S9_S9_S9_S9_S9_S9_S9_S9_EEEEPSB_SM_NS0_5tupleIJNSE_INS8_ISJ_NS7_16discard_iteratorINS7_11use_defaultEEES9_S9_S9_S9_S9_S9_S9_S9_EEEESB_EEENSN_IJSM_SM_EEESB_PlJNSF_9not_fun_tINSF_14equal_to_valueISA_EEEEEEE10hipError_tPvRmT3_T4_T5_T6_T7_T9_mT8_P12ihipStream_tbDpT10_ENKUlT_T0_E_clISt17integral_constantIbLb1EES1J_EEDaS1E_S1F_EUlS1E_E_NS1_11comp_targetILNS1_3genE3ELNS1_11target_archE908ELNS1_3gpuE7ELNS1_3repE0EEENS1_30default_config_static_selectorELNS0_4arch9wavefront6targetE0EEEvT1_,"axG",@progbits,_ZN7rocprim17ROCPRIM_400000_NS6detail17trampoline_kernelINS0_14default_configENS1_25partition_config_selectorILNS1_17partition_subalgoE6EN6thrust23THRUST_200600_302600_NS5tupleIttNS7_9null_typeES9_S9_S9_S9_S9_S9_S9_EENS0_10empty_typeEbEEZZNS1_14partition_implILS5_6ELb0ES3_mNS7_12zip_iteratorINS8_INS7_6detail15normal_iteratorINS7_10device_ptrItEEEESJ_S9_S9_S9_S9_S9_S9_S9_S9_EEEEPSB_SM_NS0_5tupleIJNSE_INS8_ISJ_NS7_16discard_iteratorINS7_11use_defaultEEES9_S9_S9_S9_S9_S9_S9_S9_EEEESB_EEENSN_IJSM_SM_EEESB_PlJNSF_9not_fun_tINSF_14equal_to_valueISA_EEEEEEE10hipError_tPvRmT3_T4_T5_T6_T7_T9_mT8_P12ihipStream_tbDpT10_ENKUlT_T0_E_clISt17integral_constantIbLb1EES1J_EEDaS1E_S1F_EUlS1E_E_NS1_11comp_targetILNS1_3genE3ELNS1_11target_archE908ELNS1_3gpuE7ELNS1_3repE0EEENS1_30default_config_static_selectorELNS0_4arch9wavefront6targetE0EEEvT1_,comdat
.Lfunc_end1960:
	.size	_ZN7rocprim17ROCPRIM_400000_NS6detail17trampoline_kernelINS0_14default_configENS1_25partition_config_selectorILNS1_17partition_subalgoE6EN6thrust23THRUST_200600_302600_NS5tupleIttNS7_9null_typeES9_S9_S9_S9_S9_S9_S9_EENS0_10empty_typeEbEEZZNS1_14partition_implILS5_6ELb0ES3_mNS7_12zip_iteratorINS8_INS7_6detail15normal_iteratorINS7_10device_ptrItEEEESJ_S9_S9_S9_S9_S9_S9_S9_S9_EEEEPSB_SM_NS0_5tupleIJNSE_INS8_ISJ_NS7_16discard_iteratorINS7_11use_defaultEEES9_S9_S9_S9_S9_S9_S9_S9_EEEESB_EEENSN_IJSM_SM_EEESB_PlJNSF_9not_fun_tINSF_14equal_to_valueISA_EEEEEEE10hipError_tPvRmT3_T4_T5_T6_T7_T9_mT8_P12ihipStream_tbDpT10_ENKUlT_T0_E_clISt17integral_constantIbLb1EES1J_EEDaS1E_S1F_EUlS1E_E_NS1_11comp_targetILNS1_3genE3ELNS1_11target_archE908ELNS1_3gpuE7ELNS1_3repE0EEENS1_30default_config_static_selectorELNS0_4arch9wavefront6targetE0EEEvT1_, .Lfunc_end1960-_ZN7rocprim17ROCPRIM_400000_NS6detail17trampoline_kernelINS0_14default_configENS1_25partition_config_selectorILNS1_17partition_subalgoE6EN6thrust23THRUST_200600_302600_NS5tupleIttNS7_9null_typeES9_S9_S9_S9_S9_S9_S9_EENS0_10empty_typeEbEEZZNS1_14partition_implILS5_6ELb0ES3_mNS7_12zip_iteratorINS8_INS7_6detail15normal_iteratorINS7_10device_ptrItEEEESJ_S9_S9_S9_S9_S9_S9_S9_S9_EEEEPSB_SM_NS0_5tupleIJNSE_INS8_ISJ_NS7_16discard_iteratorINS7_11use_defaultEEES9_S9_S9_S9_S9_S9_S9_S9_EEEESB_EEENSN_IJSM_SM_EEESB_PlJNSF_9not_fun_tINSF_14equal_to_valueISA_EEEEEEE10hipError_tPvRmT3_T4_T5_T6_T7_T9_mT8_P12ihipStream_tbDpT10_ENKUlT_T0_E_clISt17integral_constantIbLb1EES1J_EEDaS1E_S1F_EUlS1E_E_NS1_11comp_targetILNS1_3genE3ELNS1_11target_archE908ELNS1_3gpuE7ELNS1_3repE0EEENS1_30default_config_static_selectorELNS0_4arch9wavefront6targetE0EEEvT1_
                                        ; -- End function
	.set _ZN7rocprim17ROCPRIM_400000_NS6detail17trampoline_kernelINS0_14default_configENS1_25partition_config_selectorILNS1_17partition_subalgoE6EN6thrust23THRUST_200600_302600_NS5tupleIttNS7_9null_typeES9_S9_S9_S9_S9_S9_S9_EENS0_10empty_typeEbEEZZNS1_14partition_implILS5_6ELb0ES3_mNS7_12zip_iteratorINS8_INS7_6detail15normal_iteratorINS7_10device_ptrItEEEESJ_S9_S9_S9_S9_S9_S9_S9_S9_EEEEPSB_SM_NS0_5tupleIJNSE_INS8_ISJ_NS7_16discard_iteratorINS7_11use_defaultEEES9_S9_S9_S9_S9_S9_S9_S9_EEEESB_EEENSN_IJSM_SM_EEESB_PlJNSF_9not_fun_tINSF_14equal_to_valueISA_EEEEEEE10hipError_tPvRmT3_T4_T5_T6_T7_T9_mT8_P12ihipStream_tbDpT10_ENKUlT_T0_E_clISt17integral_constantIbLb1EES1J_EEDaS1E_S1F_EUlS1E_E_NS1_11comp_targetILNS1_3genE3ELNS1_11target_archE908ELNS1_3gpuE7ELNS1_3repE0EEENS1_30default_config_static_selectorELNS0_4arch9wavefront6targetE0EEEvT1_.num_vgpr, 0
	.set _ZN7rocprim17ROCPRIM_400000_NS6detail17trampoline_kernelINS0_14default_configENS1_25partition_config_selectorILNS1_17partition_subalgoE6EN6thrust23THRUST_200600_302600_NS5tupleIttNS7_9null_typeES9_S9_S9_S9_S9_S9_S9_EENS0_10empty_typeEbEEZZNS1_14partition_implILS5_6ELb0ES3_mNS7_12zip_iteratorINS8_INS7_6detail15normal_iteratorINS7_10device_ptrItEEEESJ_S9_S9_S9_S9_S9_S9_S9_S9_EEEEPSB_SM_NS0_5tupleIJNSE_INS8_ISJ_NS7_16discard_iteratorINS7_11use_defaultEEES9_S9_S9_S9_S9_S9_S9_S9_EEEESB_EEENSN_IJSM_SM_EEESB_PlJNSF_9not_fun_tINSF_14equal_to_valueISA_EEEEEEE10hipError_tPvRmT3_T4_T5_T6_T7_T9_mT8_P12ihipStream_tbDpT10_ENKUlT_T0_E_clISt17integral_constantIbLb1EES1J_EEDaS1E_S1F_EUlS1E_E_NS1_11comp_targetILNS1_3genE3ELNS1_11target_archE908ELNS1_3gpuE7ELNS1_3repE0EEENS1_30default_config_static_selectorELNS0_4arch9wavefront6targetE0EEEvT1_.num_agpr, 0
	.set _ZN7rocprim17ROCPRIM_400000_NS6detail17trampoline_kernelINS0_14default_configENS1_25partition_config_selectorILNS1_17partition_subalgoE6EN6thrust23THRUST_200600_302600_NS5tupleIttNS7_9null_typeES9_S9_S9_S9_S9_S9_S9_EENS0_10empty_typeEbEEZZNS1_14partition_implILS5_6ELb0ES3_mNS7_12zip_iteratorINS8_INS7_6detail15normal_iteratorINS7_10device_ptrItEEEESJ_S9_S9_S9_S9_S9_S9_S9_S9_EEEEPSB_SM_NS0_5tupleIJNSE_INS8_ISJ_NS7_16discard_iteratorINS7_11use_defaultEEES9_S9_S9_S9_S9_S9_S9_S9_EEEESB_EEENSN_IJSM_SM_EEESB_PlJNSF_9not_fun_tINSF_14equal_to_valueISA_EEEEEEE10hipError_tPvRmT3_T4_T5_T6_T7_T9_mT8_P12ihipStream_tbDpT10_ENKUlT_T0_E_clISt17integral_constantIbLb1EES1J_EEDaS1E_S1F_EUlS1E_E_NS1_11comp_targetILNS1_3genE3ELNS1_11target_archE908ELNS1_3gpuE7ELNS1_3repE0EEENS1_30default_config_static_selectorELNS0_4arch9wavefront6targetE0EEEvT1_.numbered_sgpr, 0
	.set _ZN7rocprim17ROCPRIM_400000_NS6detail17trampoline_kernelINS0_14default_configENS1_25partition_config_selectorILNS1_17partition_subalgoE6EN6thrust23THRUST_200600_302600_NS5tupleIttNS7_9null_typeES9_S9_S9_S9_S9_S9_S9_EENS0_10empty_typeEbEEZZNS1_14partition_implILS5_6ELb0ES3_mNS7_12zip_iteratorINS8_INS7_6detail15normal_iteratorINS7_10device_ptrItEEEESJ_S9_S9_S9_S9_S9_S9_S9_S9_EEEEPSB_SM_NS0_5tupleIJNSE_INS8_ISJ_NS7_16discard_iteratorINS7_11use_defaultEEES9_S9_S9_S9_S9_S9_S9_S9_EEEESB_EEENSN_IJSM_SM_EEESB_PlJNSF_9not_fun_tINSF_14equal_to_valueISA_EEEEEEE10hipError_tPvRmT3_T4_T5_T6_T7_T9_mT8_P12ihipStream_tbDpT10_ENKUlT_T0_E_clISt17integral_constantIbLb1EES1J_EEDaS1E_S1F_EUlS1E_E_NS1_11comp_targetILNS1_3genE3ELNS1_11target_archE908ELNS1_3gpuE7ELNS1_3repE0EEENS1_30default_config_static_selectorELNS0_4arch9wavefront6targetE0EEEvT1_.num_named_barrier, 0
	.set _ZN7rocprim17ROCPRIM_400000_NS6detail17trampoline_kernelINS0_14default_configENS1_25partition_config_selectorILNS1_17partition_subalgoE6EN6thrust23THRUST_200600_302600_NS5tupleIttNS7_9null_typeES9_S9_S9_S9_S9_S9_S9_EENS0_10empty_typeEbEEZZNS1_14partition_implILS5_6ELb0ES3_mNS7_12zip_iteratorINS8_INS7_6detail15normal_iteratorINS7_10device_ptrItEEEESJ_S9_S9_S9_S9_S9_S9_S9_S9_EEEEPSB_SM_NS0_5tupleIJNSE_INS8_ISJ_NS7_16discard_iteratorINS7_11use_defaultEEES9_S9_S9_S9_S9_S9_S9_S9_EEEESB_EEENSN_IJSM_SM_EEESB_PlJNSF_9not_fun_tINSF_14equal_to_valueISA_EEEEEEE10hipError_tPvRmT3_T4_T5_T6_T7_T9_mT8_P12ihipStream_tbDpT10_ENKUlT_T0_E_clISt17integral_constantIbLb1EES1J_EEDaS1E_S1F_EUlS1E_E_NS1_11comp_targetILNS1_3genE3ELNS1_11target_archE908ELNS1_3gpuE7ELNS1_3repE0EEENS1_30default_config_static_selectorELNS0_4arch9wavefront6targetE0EEEvT1_.private_seg_size, 0
	.set _ZN7rocprim17ROCPRIM_400000_NS6detail17trampoline_kernelINS0_14default_configENS1_25partition_config_selectorILNS1_17partition_subalgoE6EN6thrust23THRUST_200600_302600_NS5tupleIttNS7_9null_typeES9_S9_S9_S9_S9_S9_S9_EENS0_10empty_typeEbEEZZNS1_14partition_implILS5_6ELb0ES3_mNS7_12zip_iteratorINS8_INS7_6detail15normal_iteratorINS7_10device_ptrItEEEESJ_S9_S9_S9_S9_S9_S9_S9_S9_EEEEPSB_SM_NS0_5tupleIJNSE_INS8_ISJ_NS7_16discard_iteratorINS7_11use_defaultEEES9_S9_S9_S9_S9_S9_S9_S9_EEEESB_EEENSN_IJSM_SM_EEESB_PlJNSF_9not_fun_tINSF_14equal_to_valueISA_EEEEEEE10hipError_tPvRmT3_T4_T5_T6_T7_T9_mT8_P12ihipStream_tbDpT10_ENKUlT_T0_E_clISt17integral_constantIbLb1EES1J_EEDaS1E_S1F_EUlS1E_E_NS1_11comp_targetILNS1_3genE3ELNS1_11target_archE908ELNS1_3gpuE7ELNS1_3repE0EEENS1_30default_config_static_selectorELNS0_4arch9wavefront6targetE0EEEvT1_.uses_vcc, 0
	.set _ZN7rocprim17ROCPRIM_400000_NS6detail17trampoline_kernelINS0_14default_configENS1_25partition_config_selectorILNS1_17partition_subalgoE6EN6thrust23THRUST_200600_302600_NS5tupleIttNS7_9null_typeES9_S9_S9_S9_S9_S9_S9_EENS0_10empty_typeEbEEZZNS1_14partition_implILS5_6ELb0ES3_mNS7_12zip_iteratorINS8_INS7_6detail15normal_iteratorINS7_10device_ptrItEEEESJ_S9_S9_S9_S9_S9_S9_S9_S9_EEEEPSB_SM_NS0_5tupleIJNSE_INS8_ISJ_NS7_16discard_iteratorINS7_11use_defaultEEES9_S9_S9_S9_S9_S9_S9_S9_EEEESB_EEENSN_IJSM_SM_EEESB_PlJNSF_9not_fun_tINSF_14equal_to_valueISA_EEEEEEE10hipError_tPvRmT3_T4_T5_T6_T7_T9_mT8_P12ihipStream_tbDpT10_ENKUlT_T0_E_clISt17integral_constantIbLb1EES1J_EEDaS1E_S1F_EUlS1E_E_NS1_11comp_targetILNS1_3genE3ELNS1_11target_archE908ELNS1_3gpuE7ELNS1_3repE0EEENS1_30default_config_static_selectorELNS0_4arch9wavefront6targetE0EEEvT1_.uses_flat_scratch, 0
	.set _ZN7rocprim17ROCPRIM_400000_NS6detail17trampoline_kernelINS0_14default_configENS1_25partition_config_selectorILNS1_17partition_subalgoE6EN6thrust23THRUST_200600_302600_NS5tupleIttNS7_9null_typeES9_S9_S9_S9_S9_S9_S9_EENS0_10empty_typeEbEEZZNS1_14partition_implILS5_6ELb0ES3_mNS7_12zip_iteratorINS8_INS7_6detail15normal_iteratorINS7_10device_ptrItEEEESJ_S9_S9_S9_S9_S9_S9_S9_S9_EEEEPSB_SM_NS0_5tupleIJNSE_INS8_ISJ_NS7_16discard_iteratorINS7_11use_defaultEEES9_S9_S9_S9_S9_S9_S9_S9_EEEESB_EEENSN_IJSM_SM_EEESB_PlJNSF_9not_fun_tINSF_14equal_to_valueISA_EEEEEEE10hipError_tPvRmT3_T4_T5_T6_T7_T9_mT8_P12ihipStream_tbDpT10_ENKUlT_T0_E_clISt17integral_constantIbLb1EES1J_EEDaS1E_S1F_EUlS1E_E_NS1_11comp_targetILNS1_3genE3ELNS1_11target_archE908ELNS1_3gpuE7ELNS1_3repE0EEENS1_30default_config_static_selectorELNS0_4arch9wavefront6targetE0EEEvT1_.has_dyn_sized_stack, 0
	.set _ZN7rocprim17ROCPRIM_400000_NS6detail17trampoline_kernelINS0_14default_configENS1_25partition_config_selectorILNS1_17partition_subalgoE6EN6thrust23THRUST_200600_302600_NS5tupleIttNS7_9null_typeES9_S9_S9_S9_S9_S9_S9_EENS0_10empty_typeEbEEZZNS1_14partition_implILS5_6ELb0ES3_mNS7_12zip_iteratorINS8_INS7_6detail15normal_iteratorINS7_10device_ptrItEEEESJ_S9_S9_S9_S9_S9_S9_S9_S9_EEEEPSB_SM_NS0_5tupleIJNSE_INS8_ISJ_NS7_16discard_iteratorINS7_11use_defaultEEES9_S9_S9_S9_S9_S9_S9_S9_EEEESB_EEENSN_IJSM_SM_EEESB_PlJNSF_9not_fun_tINSF_14equal_to_valueISA_EEEEEEE10hipError_tPvRmT3_T4_T5_T6_T7_T9_mT8_P12ihipStream_tbDpT10_ENKUlT_T0_E_clISt17integral_constantIbLb1EES1J_EEDaS1E_S1F_EUlS1E_E_NS1_11comp_targetILNS1_3genE3ELNS1_11target_archE908ELNS1_3gpuE7ELNS1_3repE0EEENS1_30default_config_static_selectorELNS0_4arch9wavefront6targetE0EEEvT1_.has_recursion, 0
	.set _ZN7rocprim17ROCPRIM_400000_NS6detail17trampoline_kernelINS0_14default_configENS1_25partition_config_selectorILNS1_17partition_subalgoE6EN6thrust23THRUST_200600_302600_NS5tupleIttNS7_9null_typeES9_S9_S9_S9_S9_S9_S9_EENS0_10empty_typeEbEEZZNS1_14partition_implILS5_6ELb0ES3_mNS7_12zip_iteratorINS8_INS7_6detail15normal_iteratorINS7_10device_ptrItEEEESJ_S9_S9_S9_S9_S9_S9_S9_S9_EEEEPSB_SM_NS0_5tupleIJNSE_INS8_ISJ_NS7_16discard_iteratorINS7_11use_defaultEEES9_S9_S9_S9_S9_S9_S9_S9_EEEESB_EEENSN_IJSM_SM_EEESB_PlJNSF_9not_fun_tINSF_14equal_to_valueISA_EEEEEEE10hipError_tPvRmT3_T4_T5_T6_T7_T9_mT8_P12ihipStream_tbDpT10_ENKUlT_T0_E_clISt17integral_constantIbLb1EES1J_EEDaS1E_S1F_EUlS1E_E_NS1_11comp_targetILNS1_3genE3ELNS1_11target_archE908ELNS1_3gpuE7ELNS1_3repE0EEENS1_30default_config_static_selectorELNS0_4arch9wavefront6targetE0EEEvT1_.has_indirect_call, 0
	.section	.AMDGPU.csdata,"",@progbits
; Kernel info:
; codeLenInByte = 0
; TotalNumSgprs: 0
; NumVgprs: 0
; ScratchSize: 0
; MemoryBound: 0
; FloatMode: 240
; IeeeMode: 1
; LDSByteSize: 0 bytes/workgroup (compile time only)
; SGPRBlocks: 0
; VGPRBlocks: 0
; NumSGPRsForWavesPerEU: 1
; NumVGPRsForWavesPerEU: 1
; Occupancy: 16
; WaveLimiterHint : 0
; COMPUTE_PGM_RSRC2:SCRATCH_EN: 0
; COMPUTE_PGM_RSRC2:USER_SGPR: 2
; COMPUTE_PGM_RSRC2:TRAP_HANDLER: 0
; COMPUTE_PGM_RSRC2:TGID_X_EN: 1
; COMPUTE_PGM_RSRC2:TGID_Y_EN: 0
; COMPUTE_PGM_RSRC2:TGID_Z_EN: 0
; COMPUTE_PGM_RSRC2:TIDIG_COMP_CNT: 0
	.section	.text._ZN7rocprim17ROCPRIM_400000_NS6detail17trampoline_kernelINS0_14default_configENS1_25partition_config_selectorILNS1_17partition_subalgoE6EN6thrust23THRUST_200600_302600_NS5tupleIttNS7_9null_typeES9_S9_S9_S9_S9_S9_S9_EENS0_10empty_typeEbEEZZNS1_14partition_implILS5_6ELb0ES3_mNS7_12zip_iteratorINS8_INS7_6detail15normal_iteratorINS7_10device_ptrItEEEESJ_S9_S9_S9_S9_S9_S9_S9_S9_EEEEPSB_SM_NS0_5tupleIJNSE_INS8_ISJ_NS7_16discard_iteratorINS7_11use_defaultEEES9_S9_S9_S9_S9_S9_S9_S9_EEEESB_EEENSN_IJSM_SM_EEESB_PlJNSF_9not_fun_tINSF_14equal_to_valueISA_EEEEEEE10hipError_tPvRmT3_T4_T5_T6_T7_T9_mT8_P12ihipStream_tbDpT10_ENKUlT_T0_E_clISt17integral_constantIbLb1EES1J_EEDaS1E_S1F_EUlS1E_E_NS1_11comp_targetILNS1_3genE2ELNS1_11target_archE906ELNS1_3gpuE6ELNS1_3repE0EEENS1_30default_config_static_selectorELNS0_4arch9wavefront6targetE0EEEvT1_,"axG",@progbits,_ZN7rocprim17ROCPRIM_400000_NS6detail17trampoline_kernelINS0_14default_configENS1_25partition_config_selectorILNS1_17partition_subalgoE6EN6thrust23THRUST_200600_302600_NS5tupleIttNS7_9null_typeES9_S9_S9_S9_S9_S9_S9_EENS0_10empty_typeEbEEZZNS1_14partition_implILS5_6ELb0ES3_mNS7_12zip_iteratorINS8_INS7_6detail15normal_iteratorINS7_10device_ptrItEEEESJ_S9_S9_S9_S9_S9_S9_S9_S9_EEEEPSB_SM_NS0_5tupleIJNSE_INS8_ISJ_NS7_16discard_iteratorINS7_11use_defaultEEES9_S9_S9_S9_S9_S9_S9_S9_EEEESB_EEENSN_IJSM_SM_EEESB_PlJNSF_9not_fun_tINSF_14equal_to_valueISA_EEEEEEE10hipError_tPvRmT3_T4_T5_T6_T7_T9_mT8_P12ihipStream_tbDpT10_ENKUlT_T0_E_clISt17integral_constantIbLb1EES1J_EEDaS1E_S1F_EUlS1E_E_NS1_11comp_targetILNS1_3genE2ELNS1_11target_archE906ELNS1_3gpuE6ELNS1_3repE0EEENS1_30default_config_static_selectorELNS0_4arch9wavefront6targetE0EEEvT1_,comdat
	.protected	_ZN7rocprim17ROCPRIM_400000_NS6detail17trampoline_kernelINS0_14default_configENS1_25partition_config_selectorILNS1_17partition_subalgoE6EN6thrust23THRUST_200600_302600_NS5tupleIttNS7_9null_typeES9_S9_S9_S9_S9_S9_S9_EENS0_10empty_typeEbEEZZNS1_14partition_implILS5_6ELb0ES3_mNS7_12zip_iteratorINS8_INS7_6detail15normal_iteratorINS7_10device_ptrItEEEESJ_S9_S9_S9_S9_S9_S9_S9_S9_EEEEPSB_SM_NS0_5tupleIJNSE_INS8_ISJ_NS7_16discard_iteratorINS7_11use_defaultEEES9_S9_S9_S9_S9_S9_S9_S9_EEEESB_EEENSN_IJSM_SM_EEESB_PlJNSF_9not_fun_tINSF_14equal_to_valueISA_EEEEEEE10hipError_tPvRmT3_T4_T5_T6_T7_T9_mT8_P12ihipStream_tbDpT10_ENKUlT_T0_E_clISt17integral_constantIbLb1EES1J_EEDaS1E_S1F_EUlS1E_E_NS1_11comp_targetILNS1_3genE2ELNS1_11target_archE906ELNS1_3gpuE6ELNS1_3repE0EEENS1_30default_config_static_selectorELNS0_4arch9wavefront6targetE0EEEvT1_ ; -- Begin function _ZN7rocprim17ROCPRIM_400000_NS6detail17trampoline_kernelINS0_14default_configENS1_25partition_config_selectorILNS1_17partition_subalgoE6EN6thrust23THRUST_200600_302600_NS5tupleIttNS7_9null_typeES9_S9_S9_S9_S9_S9_S9_EENS0_10empty_typeEbEEZZNS1_14partition_implILS5_6ELb0ES3_mNS7_12zip_iteratorINS8_INS7_6detail15normal_iteratorINS7_10device_ptrItEEEESJ_S9_S9_S9_S9_S9_S9_S9_S9_EEEEPSB_SM_NS0_5tupleIJNSE_INS8_ISJ_NS7_16discard_iteratorINS7_11use_defaultEEES9_S9_S9_S9_S9_S9_S9_S9_EEEESB_EEENSN_IJSM_SM_EEESB_PlJNSF_9not_fun_tINSF_14equal_to_valueISA_EEEEEEE10hipError_tPvRmT3_T4_T5_T6_T7_T9_mT8_P12ihipStream_tbDpT10_ENKUlT_T0_E_clISt17integral_constantIbLb1EES1J_EEDaS1E_S1F_EUlS1E_E_NS1_11comp_targetILNS1_3genE2ELNS1_11target_archE906ELNS1_3gpuE6ELNS1_3repE0EEENS1_30default_config_static_selectorELNS0_4arch9wavefront6targetE0EEEvT1_
	.globl	_ZN7rocprim17ROCPRIM_400000_NS6detail17trampoline_kernelINS0_14default_configENS1_25partition_config_selectorILNS1_17partition_subalgoE6EN6thrust23THRUST_200600_302600_NS5tupleIttNS7_9null_typeES9_S9_S9_S9_S9_S9_S9_EENS0_10empty_typeEbEEZZNS1_14partition_implILS5_6ELb0ES3_mNS7_12zip_iteratorINS8_INS7_6detail15normal_iteratorINS7_10device_ptrItEEEESJ_S9_S9_S9_S9_S9_S9_S9_S9_EEEEPSB_SM_NS0_5tupleIJNSE_INS8_ISJ_NS7_16discard_iteratorINS7_11use_defaultEEES9_S9_S9_S9_S9_S9_S9_S9_EEEESB_EEENSN_IJSM_SM_EEESB_PlJNSF_9not_fun_tINSF_14equal_to_valueISA_EEEEEEE10hipError_tPvRmT3_T4_T5_T6_T7_T9_mT8_P12ihipStream_tbDpT10_ENKUlT_T0_E_clISt17integral_constantIbLb1EES1J_EEDaS1E_S1F_EUlS1E_E_NS1_11comp_targetILNS1_3genE2ELNS1_11target_archE906ELNS1_3gpuE6ELNS1_3repE0EEENS1_30default_config_static_selectorELNS0_4arch9wavefront6targetE0EEEvT1_
	.p2align	8
	.type	_ZN7rocprim17ROCPRIM_400000_NS6detail17trampoline_kernelINS0_14default_configENS1_25partition_config_selectorILNS1_17partition_subalgoE6EN6thrust23THRUST_200600_302600_NS5tupleIttNS7_9null_typeES9_S9_S9_S9_S9_S9_S9_EENS0_10empty_typeEbEEZZNS1_14partition_implILS5_6ELb0ES3_mNS7_12zip_iteratorINS8_INS7_6detail15normal_iteratorINS7_10device_ptrItEEEESJ_S9_S9_S9_S9_S9_S9_S9_S9_EEEEPSB_SM_NS0_5tupleIJNSE_INS8_ISJ_NS7_16discard_iteratorINS7_11use_defaultEEES9_S9_S9_S9_S9_S9_S9_S9_EEEESB_EEENSN_IJSM_SM_EEESB_PlJNSF_9not_fun_tINSF_14equal_to_valueISA_EEEEEEE10hipError_tPvRmT3_T4_T5_T6_T7_T9_mT8_P12ihipStream_tbDpT10_ENKUlT_T0_E_clISt17integral_constantIbLb1EES1J_EEDaS1E_S1F_EUlS1E_E_NS1_11comp_targetILNS1_3genE2ELNS1_11target_archE906ELNS1_3gpuE6ELNS1_3repE0EEENS1_30default_config_static_selectorELNS0_4arch9wavefront6targetE0EEEvT1_,@function
_ZN7rocprim17ROCPRIM_400000_NS6detail17trampoline_kernelINS0_14default_configENS1_25partition_config_selectorILNS1_17partition_subalgoE6EN6thrust23THRUST_200600_302600_NS5tupleIttNS7_9null_typeES9_S9_S9_S9_S9_S9_S9_EENS0_10empty_typeEbEEZZNS1_14partition_implILS5_6ELb0ES3_mNS7_12zip_iteratorINS8_INS7_6detail15normal_iteratorINS7_10device_ptrItEEEESJ_S9_S9_S9_S9_S9_S9_S9_S9_EEEEPSB_SM_NS0_5tupleIJNSE_INS8_ISJ_NS7_16discard_iteratorINS7_11use_defaultEEES9_S9_S9_S9_S9_S9_S9_S9_EEEESB_EEENSN_IJSM_SM_EEESB_PlJNSF_9not_fun_tINSF_14equal_to_valueISA_EEEEEEE10hipError_tPvRmT3_T4_T5_T6_T7_T9_mT8_P12ihipStream_tbDpT10_ENKUlT_T0_E_clISt17integral_constantIbLb1EES1J_EEDaS1E_S1F_EUlS1E_E_NS1_11comp_targetILNS1_3genE2ELNS1_11target_archE906ELNS1_3gpuE6ELNS1_3repE0EEENS1_30default_config_static_selectorELNS0_4arch9wavefront6targetE0EEEvT1_: ; @_ZN7rocprim17ROCPRIM_400000_NS6detail17trampoline_kernelINS0_14default_configENS1_25partition_config_selectorILNS1_17partition_subalgoE6EN6thrust23THRUST_200600_302600_NS5tupleIttNS7_9null_typeES9_S9_S9_S9_S9_S9_S9_EENS0_10empty_typeEbEEZZNS1_14partition_implILS5_6ELb0ES3_mNS7_12zip_iteratorINS8_INS7_6detail15normal_iteratorINS7_10device_ptrItEEEESJ_S9_S9_S9_S9_S9_S9_S9_S9_EEEEPSB_SM_NS0_5tupleIJNSE_INS8_ISJ_NS7_16discard_iteratorINS7_11use_defaultEEES9_S9_S9_S9_S9_S9_S9_S9_EEEESB_EEENSN_IJSM_SM_EEESB_PlJNSF_9not_fun_tINSF_14equal_to_valueISA_EEEEEEE10hipError_tPvRmT3_T4_T5_T6_T7_T9_mT8_P12ihipStream_tbDpT10_ENKUlT_T0_E_clISt17integral_constantIbLb1EES1J_EEDaS1E_S1F_EUlS1E_E_NS1_11comp_targetILNS1_3genE2ELNS1_11target_archE906ELNS1_3gpuE6ELNS1_3repE0EEENS1_30default_config_static_selectorELNS0_4arch9wavefront6targetE0EEEvT1_
; %bb.0:
	.section	.rodata,"a",@progbits
	.p2align	6, 0x0
	.amdhsa_kernel _ZN7rocprim17ROCPRIM_400000_NS6detail17trampoline_kernelINS0_14default_configENS1_25partition_config_selectorILNS1_17partition_subalgoE6EN6thrust23THRUST_200600_302600_NS5tupleIttNS7_9null_typeES9_S9_S9_S9_S9_S9_S9_EENS0_10empty_typeEbEEZZNS1_14partition_implILS5_6ELb0ES3_mNS7_12zip_iteratorINS8_INS7_6detail15normal_iteratorINS7_10device_ptrItEEEESJ_S9_S9_S9_S9_S9_S9_S9_S9_EEEEPSB_SM_NS0_5tupleIJNSE_INS8_ISJ_NS7_16discard_iteratorINS7_11use_defaultEEES9_S9_S9_S9_S9_S9_S9_S9_EEEESB_EEENSN_IJSM_SM_EEESB_PlJNSF_9not_fun_tINSF_14equal_to_valueISA_EEEEEEE10hipError_tPvRmT3_T4_T5_T6_T7_T9_mT8_P12ihipStream_tbDpT10_ENKUlT_T0_E_clISt17integral_constantIbLb1EES1J_EEDaS1E_S1F_EUlS1E_E_NS1_11comp_targetILNS1_3genE2ELNS1_11target_archE906ELNS1_3gpuE6ELNS1_3repE0EEENS1_30default_config_static_selectorELNS0_4arch9wavefront6targetE0EEEvT1_
		.amdhsa_group_segment_fixed_size 0
		.amdhsa_private_segment_fixed_size 0
		.amdhsa_kernarg_size 152
		.amdhsa_user_sgpr_count 2
		.amdhsa_user_sgpr_dispatch_ptr 0
		.amdhsa_user_sgpr_queue_ptr 0
		.amdhsa_user_sgpr_kernarg_segment_ptr 1
		.amdhsa_user_sgpr_dispatch_id 0
		.amdhsa_user_sgpr_private_segment_size 0
		.amdhsa_wavefront_size32 1
		.amdhsa_uses_dynamic_stack 0
		.amdhsa_enable_private_segment 0
		.amdhsa_system_sgpr_workgroup_id_x 1
		.amdhsa_system_sgpr_workgroup_id_y 0
		.amdhsa_system_sgpr_workgroup_id_z 0
		.amdhsa_system_sgpr_workgroup_info 0
		.amdhsa_system_vgpr_workitem_id 0
		.amdhsa_next_free_vgpr 1
		.amdhsa_next_free_sgpr 1
		.amdhsa_reserve_vcc 0
		.amdhsa_float_round_mode_32 0
		.amdhsa_float_round_mode_16_64 0
		.amdhsa_float_denorm_mode_32 3
		.amdhsa_float_denorm_mode_16_64 3
		.amdhsa_fp16_overflow 0
		.amdhsa_workgroup_processor_mode 1
		.amdhsa_memory_ordered 1
		.amdhsa_forward_progress 1
		.amdhsa_inst_pref_size 0
		.amdhsa_round_robin_scheduling 0
		.amdhsa_exception_fp_ieee_invalid_op 0
		.amdhsa_exception_fp_denorm_src 0
		.amdhsa_exception_fp_ieee_div_zero 0
		.amdhsa_exception_fp_ieee_overflow 0
		.amdhsa_exception_fp_ieee_underflow 0
		.amdhsa_exception_fp_ieee_inexact 0
		.amdhsa_exception_int_div_zero 0
	.end_amdhsa_kernel
	.section	.text._ZN7rocprim17ROCPRIM_400000_NS6detail17trampoline_kernelINS0_14default_configENS1_25partition_config_selectorILNS1_17partition_subalgoE6EN6thrust23THRUST_200600_302600_NS5tupleIttNS7_9null_typeES9_S9_S9_S9_S9_S9_S9_EENS0_10empty_typeEbEEZZNS1_14partition_implILS5_6ELb0ES3_mNS7_12zip_iteratorINS8_INS7_6detail15normal_iteratorINS7_10device_ptrItEEEESJ_S9_S9_S9_S9_S9_S9_S9_S9_EEEEPSB_SM_NS0_5tupleIJNSE_INS8_ISJ_NS7_16discard_iteratorINS7_11use_defaultEEES9_S9_S9_S9_S9_S9_S9_S9_EEEESB_EEENSN_IJSM_SM_EEESB_PlJNSF_9not_fun_tINSF_14equal_to_valueISA_EEEEEEE10hipError_tPvRmT3_T4_T5_T6_T7_T9_mT8_P12ihipStream_tbDpT10_ENKUlT_T0_E_clISt17integral_constantIbLb1EES1J_EEDaS1E_S1F_EUlS1E_E_NS1_11comp_targetILNS1_3genE2ELNS1_11target_archE906ELNS1_3gpuE6ELNS1_3repE0EEENS1_30default_config_static_selectorELNS0_4arch9wavefront6targetE0EEEvT1_,"axG",@progbits,_ZN7rocprim17ROCPRIM_400000_NS6detail17trampoline_kernelINS0_14default_configENS1_25partition_config_selectorILNS1_17partition_subalgoE6EN6thrust23THRUST_200600_302600_NS5tupleIttNS7_9null_typeES9_S9_S9_S9_S9_S9_S9_EENS0_10empty_typeEbEEZZNS1_14partition_implILS5_6ELb0ES3_mNS7_12zip_iteratorINS8_INS7_6detail15normal_iteratorINS7_10device_ptrItEEEESJ_S9_S9_S9_S9_S9_S9_S9_S9_EEEEPSB_SM_NS0_5tupleIJNSE_INS8_ISJ_NS7_16discard_iteratorINS7_11use_defaultEEES9_S9_S9_S9_S9_S9_S9_S9_EEEESB_EEENSN_IJSM_SM_EEESB_PlJNSF_9not_fun_tINSF_14equal_to_valueISA_EEEEEEE10hipError_tPvRmT3_T4_T5_T6_T7_T9_mT8_P12ihipStream_tbDpT10_ENKUlT_T0_E_clISt17integral_constantIbLb1EES1J_EEDaS1E_S1F_EUlS1E_E_NS1_11comp_targetILNS1_3genE2ELNS1_11target_archE906ELNS1_3gpuE6ELNS1_3repE0EEENS1_30default_config_static_selectorELNS0_4arch9wavefront6targetE0EEEvT1_,comdat
.Lfunc_end1961:
	.size	_ZN7rocprim17ROCPRIM_400000_NS6detail17trampoline_kernelINS0_14default_configENS1_25partition_config_selectorILNS1_17partition_subalgoE6EN6thrust23THRUST_200600_302600_NS5tupleIttNS7_9null_typeES9_S9_S9_S9_S9_S9_S9_EENS0_10empty_typeEbEEZZNS1_14partition_implILS5_6ELb0ES3_mNS7_12zip_iteratorINS8_INS7_6detail15normal_iteratorINS7_10device_ptrItEEEESJ_S9_S9_S9_S9_S9_S9_S9_S9_EEEEPSB_SM_NS0_5tupleIJNSE_INS8_ISJ_NS7_16discard_iteratorINS7_11use_defaultEEES9_S9_S9_S9_S9_S9_S9_S9_EEEESB_EEENSN_IJSM_SM_EEESB_PlJNSF_9not_fun_tINSF_14equal_to_valueISA_EEEEEEE10hipError_tPvRmT3_T4_T5_T6_T7_T9_mT8_P12ihipStream_tbDpT10_ENKUlT_T0_E_clISt17integral_constantIbLb1EES1J_EEDaS1E_S1F_EUlS1E_E_NS1_11comp_targetILNS1_3genE2ELNS1_11target_archE906ELNS1_3gpuE6ELNS1_3repE0EEENS1_30default_config_static_selectorELNS0_4arch9wavefront6targetE0EEEvT1_, .Lfunc_end1961-_ZN7rocprim17ROCPRIM_400000_NS6detail17trampoline_kernelINS0_14default_configENS1_25partition_config_selectorILNS1_17partition_subalgoE6EN6thrust23THRUST_200600_302600_NS5tupleIttNS7_9null_typeES9_S9_S9_S9_S9_S9_S9_EENS0_10empty_typeEbEEZZNS1_14partition_implILS5_6ELb0ES3_mNS7_12zip_iteratorINS8_INS7_6detail15normal_iteratorINS7_10device_ptrItEEEESJ_S9_S9_S9_S9_S9_S9_S9_S9_EEEEPSB_SM_NS0_5tupleIJNSE_INS8_ISJ_NS7_16discard_iteratorINS7_11use_defaultEEES9_S9_S9_S9_S9_S9_S9_S9_EEEESB_EEENSN_IJSM_SM_EEESB_PlJNSF_9not_fun_tINSF_14equal_to_valueISA_EEEEEEE10hipError_tPvRmT3_T4_T5_T6_T7_T9_mT8_P12ihipStream_tbDpT10_ENKUlT_T0_E_clISt17integral_constantIbLb1EES1J_EEDaS1E_S1F_EUlS1E_E_NS1_11comp_targetILNS1_3genE2ELNS1_11target_archE906ELNS1_3gpuE6ELNS1_3repE0EEENS1_30default_config_static_selectorELNS0_4arch9wavefront6targetE0EEEvT1_
                                        ; -- End function
	.set _ZN7rocprim17ROCPRIM_400000_NS6detail17trampoline_kernelINS0_14default_configENS1_25partition_config_selectorILNS1_17partition_subalgoE6EN6thrust23THRUST_200600_302600_NS5tupleIttNS7_9null_typeES9_S9_S9_S9_S9_S9_S9_EENS0_10empty_typeEbEEZZNS1_14partition_implILS5_6ELb0ES3_mNS7_12zip_iteratorINS8_INS7_6detail15normal_iteratorINS7_10device_ptrItEEEESJ_S9_S9_S9_S9_S9_S9_S9_S9_EEEEPSB_SM_NS0_5tupleIJNSE_INS8_ISJ_NS7_16discard_iteratorINS7_11use_defaultEEES9_S9_S9_S9_S9_S9_S9_S9_EEEESB_EEENSN_IJSM_SM_EEESB_PlJNSF_9not_fun_tINSF_14equal_to_valueISA_EEEEEEE10hipError_tPvRmT3_T4_T5_T6_T7_T9_mT8_P12ihipStream_tbDpT10_ENKUlT_T0_E_clISt17integral_constantIbLb1EES1J_EEDaS1E_S1F_EUlS1E_E_NS1_11comp_targetILNS1_3genE2ELNS1_11target_archE906ELNS1_3gpuE6ELNS1_3repE0EEENS1_30default_config_static_selectorELNS0_4arch9wavefront6targetE0EEEvT1_.num_vgpr, 0
	.set _ZN7rocprim17ROCPRIM_400000_NS6detail17trampoline_kernelINS0_14default_configENS1_25partition_config_selectorILNS1_17partition_subalgoE6EN6thrust23THRUST_200600_302600_NS5tupleIttNS7_9null_typeES9_S9_S9_S9_S9_S9_S9_EENS0_10empty_typeEbEEZZNS1_14partition_implILS5_6ELb0ES3_mNS7_12zip_iteratorINS8_INS7_6detail15normal_iteratorINS7_10device_ptrItEEEESJ_S9_S9_S9_S9_S9_S9_S9_S9_EEEEPSB_SM_NS0_5tupleIJNSE_INS8_ISJ_NS7_16discard_iteratorINS7_11use_defaultEEES9_S9_S9_S9_S9_S9_S9_S9_EEEESB_EEENSN_IJSM_SM_EEESB_PlJNSF_9not_fun_tINSF_14equal_to_valueISA_EEEEEEE10hipError_tPvRmT3_T4_T5_T6_T7_T9_mT8_P12ihipStream_tbDpT10_ENKUlT_T0_E_clISt17integral_constantIbLb1EES1J_EEDaS1E_S1F_EUlS1E_E_NS1_11comp_targetILNS1_3genE2ELNS1_11target_archE906ELNS1_3gpuE6ELNS1_3repE0EEENS1_30default_config_static_selectorELNS0_4arch9wavefront6targetE0EEEvT1_.num_agpr, 0
	.set _ZN7rocprim17ROCPRIM_400000_NS6detail17trampoline_kernelINS0_14default_configENS1_25partition_config_selectorILNS1_17partition_subalgoE6EN6thrust23THRUST_200600_302600_NS5tupleIttNS7_9null_typeES9_S9_S9_S9_S9_S9_S9_EENS0_10empty_typeEbEEZZNS1_14partition_implILS5_6ELb0ES3_mNS7_12zip_iteratorINS8_INS7_6detail15normal_iteratorINS7_10device_ptrItEEEESJ_S9_S9_S9_S9_S9_S9_S9_S9_EEEEPSB_SM_NS0_5tupleIJNSE_INS8_ISJ_NS7_16discard_iteratorINS7_11use_defaultEEES9_S9_S9_S9_S9_S9_S9_S9_EEEESB_EEENSN_IJSM_SM_EEESB_PlJNSF_9not_fun_tINSF_14equal_to_valueISA_EEEEEEE10hipError_tPvRmT3_T4_T5_T6_T7_T9_mT8_P12ihipStream_tbDpT10_ENKUlT_T0_E_clISt17integral_constantIbLb1EES1J_EEDaS1E_S1F_EUlS1E_E_NS1_11comp_targetILNS1_3genE2ELNS1_11target_archE906ELNS1_3gpuE6ELNS1_3repE0EEENS1_30default_config_static_selectorELNS0_4arch9wavefront6targetE0EEEvT1_.numbered_sgpr, 0
	.set _ZN7rocprim17ROCPRIM_400000_NS6detail17trampoline_kernelINS0_14default_configENS1_25partition_config_selectorILNS1_17partition_subalgoE6EN6thrust23THRUST_200600_302600_NS5tupleIttNS7_9null_typeES9_S9_S9_S9_S9_S9_S9_EENS0_10empty_typeEbEEZZNS1_14partition_implILS5_6ELb0ES3_mNS7_12zip_iteratorINS8_INS7_6detail15normal_iteratorINS7_10device_ptrItEEEESJ_S9_S9_S9_S9_S9_S9_S9_S9_EEEEPSB_SM_NS0_5tupleIJNSE_INS8_ISJ_NS7_16discard_iteratorINS7_11use_defaultEEES9_S9_S9_S9_S9_S9_S9_S9_EEEESB_EEENSN_IJSM_SM_EEESB_PlJNSF_9not_fun_tINSF_14equal_to_valueISA_EEEEEEE10hipError_tPvRmT3_T4_T5_T6_T7_T9_mT8_P12ihipStream_tbDpT10_ENKUlT_T0_E_clISt17integral_constantIbLb1EES1J_EEDaS1E_S1F_EUlS1E_E_NS1_11comp_targetILNS1_3genE2ELNS1_11target_archE906ELNS1_3gpuE6ELNS1_3repE0EEENS1_30default_config_static_selectorELNS0_4arch9wavefront6targetE0EEEvT1_.num_named_barrier, 0
	.set _ZN7rocprim17ROCPRIM_400000_NS6detail17trampoline_kernelINS0_14default_configENS1_25partition_config_selectorILNS1_17partition_subalgoE6EN6thrust23THRUST_200600_302600_NS5tupleIttNS7_9null_typeES9_S9_S9_S9_S9_S9_S9_EENS0_10empty_typeEbEEZZNS1_14partition_implILS5_6ELb0ES3_mNS7_12zip_iteratorINS8_INS7_6detail15normal_iteratorINS7_10device_ptrItEEEESJ_S9_S9_S9_S9_S9_S9_S9_S9_EEEEPSB_SM_NS0_5tupleIJNSE_INS8_ISJ_NS7_16discard_iteratorINS7_11use_defaultEEES9_S9_S9_S9_S9_S9_S9_S9_EEEESB_EEENSN_IJSM_SM_EEESB_PlJNSF_9not_fun_tINSF_14equal_to_valueISA_EEEEEEE10hipError_tPvRmT3_T4_T5_T6_T7_T9_mT8_P12ihipStream_tbDpT10_ENKUlT_T0_E_clISt17integral_constantIbLb1EES1J_EEDaS1E_S1F_EUlS1E_E_NS1_11comp_targetILNS1_3genE2ELNS1_11target_archE906ELNS1_3gpuE6ELNS1_3repE0EEENS1_30default_config_static_selectorELNS0_4arch9wavefront6targetE0EEEvT1_.private_seg_size, 0
	.set _ZN7rocprim17ROCPRIM_400000_NS6detail17trampoline_kernelINS0_14default_configENS1_25partition_config_selectorILNS1_17partition_subalgoE6EN6thrust23THRUST_200600_302600_NS5tupleIttNS7_9null_typeES9_S9_S9_S9_S9_S9_S9_EENS0_10empty_typeEbEEZZNS1_14partition_implILS5_6ELb0ES3_mNS7_12zip_iteratorINS8_INS7_6detail15normal_iteratorINS7_10device_ptrItEEEESJ_S9_S9_S9_S9_S9_S9_S9_S9_EEEEPSB_SM_NS0_5tupleIJNSE_INS8_ISJ_NS7_16discard_iteratorINS7_11use_defaultEEES9_S9_S9_S9_S9_S9_S9_S9_EEEESB_EEENSN_IJSM_SM_EEESB_PlJNSF_9not_fun_tINSF_14equal_to_valueISA_EEEEEEE10hipError_tPvRmT3_T4_T5_T6_T7_T9_mT8_P12ihipStream_tbDpT10_ENKUlT_T0_E_clISt17integral_constantIbLb1EES1J_EEDaS1E_S1F_EUlS1E_E_NS1_11comp_targetILNS1_3genE2ELNS1_11target_archE906ELNS1_3gpuE6ELNS1_3repE0EEENS1_30default_config_static_selectorELNS0_4arch9wavefront6targetE0EEEvT1_.uses_vcc, 0
	.set _ZN7rocprim17ROCPRIM_400000_NS6detail17trampoline_kernelINS0_14default_configENS1_25partition_config_selectorILNS1_17partition_subalgoE6EN6thrust23THRUST_200600_302600_NS5tupleIttNS7_9null_typeES9_S9_S9_S9_S9_S9_S9_EENS0_10empty_typeEbEEZZNS1_14partition_implILS5_6ELb0ES3_mNS7_12zip_iteratorINS8_INS7_6detail15normal_iteratorINS7_10device_ptrItEEEESJ_S9_S9_S9_S9_S9_S9_S9_S9_EEEEPSB_SM_NS0_5tupleIJNSE_INS8_ISJ_NS7_16discard_iteratorINS7_11use_defaultEEES9_S9_S9_S9_S9_S9_S9_S9_EEEESB_EEENSN_IJSM_SM_EEESB_PlJNSF_9not_fun_tINSF_14equal_to_valueISA_EEEEEEE10hipError_tPvRmT3_T4_T5_T6_T7_T9_mT8_P12ihipStream_tbDpT10_ENKUlT_T0_E_clISt17integral_constantIbLb1EES1J_EEDaS1E_S1F_EUlS1E_E_NS1_11comp_targetILNS1_3genE2ELNS1_11target_archE906ELNS1_3gpuE6ELNS1_3repE0EEENS1_30default_config_static_selectorELNS0_4arch9wavefront6targetE0EEEvT1_.uses_flat_scratch, 0
	.set _ZN7rocprim17ROCPRIM_400000_NS6detail17trampoline_kernelINS0_14default_configENS1_25partition_config_selectorILNS1_17partition_subalgoE6EN6thrust23THRUST_200600_302600_NS5tupleIttNS7_9null_typeES9_S9_S9_S9_S9_S9_S9_EENS0_10empty_typeEbEEZZNS1_14partition_implILS5_6ELb0ES3_mNS7_12zip_iteratorINS8_INS7_6detail15normal_iteratorINS7_10device_ptrItEEEESJ_S9_S9_S9_S9_S9_S9_S9_S9_EEEEPSB_SM_NS0_5tupleIJNSE_INS8_ISJ_NS7_16discard_iteratorINS7_11use_defaultEEES9_S9_S9_S9_S9_S9_S9_S9_EEEESB_EEENSN_IJSM_SM_EEESB_PlJNSF_9not_fun_tINSF_14equal_to_valueISA_EEEEEEE10hipError_tPvRmT3_T4_T5_T6_T7_T9_mT8_P12ihipStream_tbDpT10_ENKUlT_T0_E_clISt17integral_constantIbLb1EES1J_EEDaS1E_S1F_EUlS1E_E_NS1_11comp_targetILNS1_3genE2ELNS1_11target_archE906ELNS1_3gpuE6ELNS1_3repE0EEENS1_30default_config_static_selectorELNS0_4arch9wavefront6targetE0EEEvT1_.has_dyn_sized_stack, 0
	.set _ZN7rocprim17ROCPRIM_400000_NS6detail17trampoline_kernelINS0_14default_configENS1_25partition_config_selectorILNS1_17partition_subalgoE6EN6thrust23THRUST_200600_302600_NS5tupleIttNS7_9null_typeES9_S9_S9_S9_S9_S9_S9_EENS0_10empty_typeEbEEZZNS1_14partition_implILS5_6ELb0ES3_mNS7_12zip_iteratorINS8_INS7_6detail15normal_iteratorINS7_10device_ptrItEEEESJ_S9_S9_S9_S9_S9_S9_S9_S9_EEEEPSB_SM_NS0_5tupleIJNSE_INS8_ISJ_NS7_16discard_iteratorINS7_11use_defaultEEES9_S9_S9_S9_S9_S9_S9_S9_EEEESB_EEENSN_IJSM_SM_EEESB_PlJNSF_9not_fun_tINSF_14equal_to_valueISA_EEEEEEE10hipError_tPvRmT3_T4_T5_T6_T7_T9_mT8_P12ihipStream_tbDpT10_ENKUlT_T0_E_clISt17integral_constantIbLb1EES1J_EEDaS1E_S1F_EUlS1E_E_NS1_11comp_targetILNS1_3genE2ELNS1_11target_archE906ELNS1_3gpuE6ELNS1_3repE0EEENS1_30default_config_static_selectorELNS0_4arch9wavefront6targetE0EEEvT1_.has_recursion, 0
	.set _ZN7rocprim17ROCPRIM_400000_NS6detail17trampoline_kernelINS0_14default_configENS1_25partition_config_selectorILNS1_17partition_subalgoE6EN6thrust23THRUST_200600_302600_NS5tupleIttNS7_9null_typeES9_S9_S9_S9_S9_S9_S9_EENS0_10empty_typeEbEEZZNS1_14partition_implILS5_6ELb0ES3_mNS7_12zip_iteratorINS8_INS7_6detail15normal_iteratorINS7_10device_ptrItEEEESJ_S9_S9_S9_S9_S9_S9_S9_S9_EEEEPSB_SM_NS0_5tupleIJNSE_INS8_ISJ_NS7_16discard_iteratorINS7_11use_defaultEEES9_S9_S9_S9_S9_S9_S9_S9_EEEESB_EEENSN_IJSM_SM_EEESB_PlJNSF_9not_fun_tINSF_14equal_to_valueISA_EEEEEEE10hipError_tPvRmT3_T4_T5_T6_T7_T9_mT8_P12ihipStream_tbDpT10_ENKUlT_T0_E_clISt17integral_constantIbLb1EES1J_EEDaS1E_S1F_EUlS1E_E_NS1_11comp_targetILNS1_3genE2ELNS1_11target_archE906ELNS1_3gpuE6ELNS1_3repE0EEENS1_30default_config_static_selectorELNS0_4arch9wavefront6targetE0EEEvT1_.has_indirect_call, 0
	.section	.AMDGPU.csdata,"",@progbits
; Kernel info:
; codeLenInByte = 0
; TotalNumSgprs: 0
; NumVgprs: 0
; ScratchSize: 0
; MemoryBound: 0
; FloatMode: 240
; IeeeMode: 1
; LDSByteSize: 0 bytes/workgroup (compile time only)
; SGPRBlocks: 0
; VGPRBlocks: 0
; NumSGPRsForWavesPerEU: 1
; NumVGPRsForWavesPerEU: 1
; Occupancy: 16
; WaveLimiterHint : 0
; COMPUTE_PGM_RSRC2:SCRATCH_EN: 0
; COMPUTE_PGM_RSRC2:USER_SGPR: 2
; COMPUTE_PGM_RSRC2:TRAP_HANDLER: 0
; COMPUTE_PGM_RSRC2:TGID_X_EN: 1
; COMPUTE_PGM_RSRC2:TGID_Y_EN: 0
; COMPUTE_PGM_RSRC2:TGID_Z_EN: 0
; COMPUTE_PGM_RSRC2:TIDIG_COMP_CNT: 0
	.section	.text._ZN7rocprim17ROCPRIM_400000_NS6detail17trampoline_kernelINS0_14default_configENS1_25partition_config_selectorILNS1_17partition_subalgoE6EN6thrust23THRUST_200600_302600_NS5tupleIttNS7_9null_typeES9_S9_S9_S9_S9_S9_S9_EENS0_10empty_typeEbEEZZNS1_14partition_implILS5_6ELb0ES3_mNS7_12zip_iteratorINS8_INS7_6detail15normal_iteratorINS7_10device_ptrItEEEESJ_S9_S9_S9_S9_S9_S9_S9_S9_EEEEPSB_SM_NS0_5tupleIJNSE_INS8_ISJ_NS7_16discard_iteratorINS7_11use_defaultEEES9_S9_S9_S9_S9_S9_S9_S9_EEEESB_EEENSN_IJSM_SM_EEESB_PlJNSF_9not_fun_tINSF_14equal_to_valueISA_EEEEEEE10hipError_tPvRmT3_T4_T5_T6_T7_T9_mT8_P12ihipStream_tbDpT10_ENKUlT_T0_E_clISt17integral_constantIbLb1EES1J_EEDaS1E_S1F_EUlS1E_E_NS1_11comp_targetILNS1_3genE10ELNS1_11target_archE1200ELNS1_3gpuE4ELNS1_3repE0EEENS1_30default_config_static_selectorELNS0_4arch9wavefront6targetE0EEEvT1_,"axG",@progbits,_ZN7rocprim17ROCPRIM_400000_NS6detail17trampoline_kernelINS0_14default_configENS1_25partition_config_selectorILNS1_17partition_subalgoE6EN6thrust23THRUST_200600_302600_NS5tupleIttNS7_9null_typeES9_S9_S9_S9_S9_S9_S9_EENS0_10empty_typeEbEEZZNS1_14partition_implILS5_6ELb0ES3_mNS7_12zip_iteratorINS8_INS7_6detail15normal_iteratorINS7_10device_ptrItEEEESJ_S9_S9_S9_S9_S9_S9_S9_S9_EEEEPSB_SM_NS0_5tupleIJNSE_INS8_ISJ_NS7_16discard_iteratorINS7_11use_defaultEEES9_S9_S9_S9_S9_S9_S9_S9_EEEESB_EEENSN_IJSM_SM_EEESB_PlJNSF_9not_fun_tINSF_14equal_to_valueISA_EEEEEEE10hipError_tPvRmT3_T4_T5_T6_T7_T9_mT8_P12ihipStream_tbDpT10_ENKUlT_T0_E_clISt17integral_constantIbLb1EES1J_EEDaS1E_S1F_EUlS1E_E_NS1_11comp_targetILNS1_3genE10ELNS1_11target_archE1200ELNS1_3gpuE4ELNS1_3repE0EEENS1_30default_config_static_selectorELNS0_4arch9wavefront6targetE0EEEvT1_,comdat
	.protected	_ZN7rocprim17ROCPRIM_400000_NS6detail17trampoline_kernelINS0_14default_configENS1_25partition_config_selectorILNS1_17partition_subalgoE6EN6thrust23THRUST_200600_302600_NS5tupleIttNS7_9null_typeES9_S9_S9_S9_S9_S9_S9_EENS0_10empty_typeEbEEZZNS1_14partition_implILS5_6ELb0ES3_mNS7_12zip_iteratorINS8_INS7_6detail15normal_iteratorINS7_10device_ptrItEEEESJ_S9_S9_S9_S9_S9_S9_S9_S9_EEEEPSB_SM_NS0_5tupleIJNSE_INS8_ISJ_NS7_16discard_iteratorINS7_11use_defaultEEES9_S9_S9_S9_S9_S9_S9_S9_EEEESB_EEENSN_IJSM_SM_EEESB_PlJNSF_9not_fun_tINSF_14equal_to_valueISA_EEEEEEE10hipError_tPvRmT3_T4_T5_T6_T7_T9_mT8_P12ihipStream_tbDpT10_ENKUlT_T0_E_clISt17integral_constantIbLb1EES1J_EEDaS1E_S1F_EUlS1E_E_NS1_11comp_targetILNS1_3genE10ELNS1_11target_archE1200ELNS1_3gpuE4ELNS1_3repE0EEENS1_30default_config_static_selectorELNS0_4arch9wavefront6targetE0EEEvT1_ ; -- Begin function _ZN7rocprim17ROCPRIM_400000_NS6detail17trampoline_kernelINS0_14default_configENS1_25partition_config_selectorILNS1_17partition_subalgoE6EN6thrust23THRUST_200600_302600_NS5tupleIttNS7_9null_typeES9_S9_S9_S9_S9_S9_S9_EENS0_10empty_typeEbEEZZNS1_14partition_implILS5_6ELb0ES3_mNS7_12zip_iteratorINS8_INS7_6detail15normal_iteratorINS7_10device_ptrItEEEESJ_S9_S9_S9_S9_S9_S9_S9_S9_EEEEPSB_SM_NS0_5tupleIJNSE_INS8_ISJ_NS7_16discard_iteratorINS7_11use_defaultEEES9_S9_S9_S9_S9_S9_S9_S9_EEEESB_EEENSN_IJSM_SM_EEESB_PlJNSF_9not_fun_tINSF_14equal_to_valueISA_EEEEEEE10hipError_tPvRmT3_T4_T5_T6_T7_T9_mT8_P12ihipStream_tbDpT10_ENKUlT_T0_E_clISt17integral_constantIbLb1EES1J_EEDaS1E_S1F_EUlS1E_E_NS1_11comp_targetILNS1_3genE10ELNS1_11target_archE1200ELNS1_3gpuE4ELNS1_3repE0EEENS1_30default_config_static_selectorELNS0_4arch9wavefront6targetE0EEEvT1_
	.globl	_ZN7rocprim17ROCPRIM_400000_NS6detail17trampoline_kernelINS0_14default_configENS1_25partition_config_selectorILNS1_17partition_subalgoE6EN6thrust23THRUST_200600_302600_NS5tupleIttNS7_9null_typeES9_S9_S9_S9_S9_S9_S9_EENS0_10empty_typeEbEEZZNS1_14partition_implILS5_6ELb0ES3_mNS7_12zip_iteratorINS8_INS7_6detail15normal_iteratorINS7_10device_ptrItEEEESJ_S9_S9_S9_S9_S9_S9_S9_S9_EEEEPSB_SM_NS0_5tupleIJNSE_INS8_ISJ_NS7_16discard_iteratorINS7_11use_defaultEEES9_S9_S9_S9_S9_S9_S9_S9_EEEESB_EEENSN_IJSM_SM_EEESB_PlJNSF_9not_fun_tINSF_14equal_to_valueISA_EEEEEEE10hipError_tPvRmT3_T4_T5_T6_T7_T9_mT8_P12ihipStream_tbDpT10_ENKUlT_T0_E_clISt17integral_constantIbLb1EES1J_EEDaS1E_S1F_EUlS1E_E_NS1_11comp_targetILNS1_3genE10ELNS1_11target_archE1200ELNS1_3gpuE4ELNS1_3repE0EEENS1_30default_config_static_selectorELNS0_4arch9wavefront6targetE0EEEvT1_
	.p2align	8
	.type	_ZN7rocprim17ROCPRIM_400000_NS6detail17trampoline_kernelINS0_14default_configENS1_25partition_config_selectorILNS1_17partition_subalgoE6EN6thrust23THRUST_200600_302600_NS5tupleIttNS7_9null_typeES9_S9_S9_S9_S9_S9_S9_EENS0_10empty_typeEbEEZZNS1_14partition_implILS5_6ELb0ES3_mNS7_12zip_iteratorINS8_INS7_6detail15normal_iteratorINS7_10device_ptrItEEEESJ_S9_S9_S9_S9_S9_S9_S9_S9_EEEEPSB_SM_NS0_5tupleIJNSE_INS8_ISJ_NS7_16discard_iteratorINS7_11use_defaultEEES9_S9_S9_S9_S9_S9_S9_S9_EEEESB_EEENSN_IJSM_SM_EEESB_PlJNSF_9not_fun_tINSF_14equal_to_valueISA_EEEEEEE10hipError_tPvRmT3_T4_T5_T6_T7_T9_mT8_P12ihipStream_tbDpT10_ENKUlT_T0_E_clISt17integral_constantIbLb1EES1J_EEDaS1E_S1F_EUlS1E_E_NS1_11comp_targetILNS1_3genE10ELNS1_11target_archE1200ELNS1_3gpuE4ELNS1_3repE0EEENS1_30default_config_static_selectorELNS0_4arch9wavefront6targetE0EEEvT1_,@function
_ZN7rocprim17ROCPRIM_400000_NS6detail17trampoline_kernelINS0_14default_configENS1_25partition_config_selectorILNS1_17partition_subalgoE6EN6thrust23THRUST_200600_302600_NS5tupleIttNS7_9null_typeES9_S9_S9_S9_S9_S9_S9_EENS0_10empty_typeEbEEZZNS1_14partition_implILS5_6ELb0ES3_mNS7_12zip_iteratorINS8_INS7_6detail15normal_iteratorINS7_10device_ptrItEEEESJ_S9_S9_S9_S9_S9_S9_S9_S9_EEEEPSB_SM_NS0_5tupleIJNSE_INS8_ISJ_NS7_16discard_iteratorINS7_11use_defaultEEES9_S9_S9_S9_S9_S9_S9_S9_EEEESB_EEENSN_IJSM_SM_EEESB_PlJNSF_9not_fun_tINSF_14equal_to_valueISA_EEEEEEE10hipError_tPvRmT3_T4_T5_T6_T7_T9_mT8_P12ihipStream_tbDpT10_ENKUlT_T0_E_clISt17integral_constantIbLb1EES1J_EEDaS1E_S1F_EUlS1E_E_NS1_11comp_targetILNS1_3genE10ELNS1_11target_archE1200ELNS1_3gpuE4ELNS1_3repE0EEENS1_30default_config_static_selectorELNS0_4arch9wavefront6targetE0EEEvT1_: ; @_ZN7rocprim17ROCPRIM_400000_NS6detail17trampoline_kernelINS0_14default_configENS1_25partition_config_selectorILNS1_17partition_subalgoE6EN6thrust23THRUST_200600_302600_NS5tupleIttNS7_9null_typeES9_S9_S9_S9_S9_S9_S9_EENS0_10empty_typeEbEEZZNS1_14partition_implILS5_6ELb0ES3_mNS7_12zip_iteratorINS8_INS7_6detail15normal_iteratorINS7_10device_ptrItEEEESJ_S9_S9_S9_S9_S9_S9_S9_S9_EEEEPSB_SM_NS0_5tupleIJNSE_INS8_ISJ_NS7_16discard_iteratorINS7_11use_defaultEEES9_S9_S9_S9_S9_S9_S9_S9_EEEESB_EEENSN_IJSM_SM_EEESB_PlJNSF_9not_fun_tINSF_14equal_to_valueISA_EEEEEEE10hipError_tPvRmT3_T4_T5_T6_T7_T9_mT8_P12ihipStream_tbDpT10_ENKUlT_T0_E_clISt17integral_constantIbLb1EES1J_EEDaS1E_S1F_EUlS1E_E_NS1_11comp_targetILNS1_3genE10ELNS1_11target_archE1200ELNS1_3gpuE4ELNS1_3repE0EEENS1_30default_config_static_selectorELNS0_4arch9wavefront6targetE0EEEvT1_
; %bb.0:
	s_endpgm
	.section	.rodata,"a",@progbits
	.p2align	6, 0x0
	.amdhsa_kernel _ZN7rocprim17ROCPRIM_400000_NS6detail17trampoline_kernelINS0_14default_configENS1_25partition_config_selectorILNS1_17partition_subalgoE6EN6thrust23THRUST_200600_302600_NS5tupleIttNS7_9null_typeES9_S9_S9_S9_S9_S9_S9_EENS0_10empty_typeEbEEZZNS1_14partition_implILS5_6ELb0ES3_mNS7_12zip_iteratorINS8_INS7_6detail15normal_iteratorINS7_10device_ptrItEEEESJ_S9_S9_S9_S9_S9_S9_S9_S9_EEEEPSB_SM_NS0_5tupleIJNSE_INS8_ISJ_NS7_16discard_iteratorINS7_11use_defaultEEES9_S9_S9_S9_S9_S9_S9_S9_EEEESB_EEENSN_IJSM_SM_EEESB_PlJNSF_9not_fun_tINSF_14equal_to_valueISA_EEEEEEE10hipError_tPvRmT3_T4_T5_T6_T7_T9_mT8_P12ihipStream_tbDpT10_ENKUlT_T0_E_clISt17integral_constantIbLb1EES1J_EEDaS1E_S1F_EUlS1E_E_NS1_11comp_targetILNS1_3genE10ELNS1_11target_archE1200ELNS1_3gpuE4ELNS1_3repE0EEENS1_30default_config_static_selectorELNS0_4arch9wavefront6targetE0EEEvT1_
		.amdhsa_group_segment_fixed_size 0
		.amdhsa_private_segment_fixed_size 0
		.amdhsa_kernarg_size 152
		.amdhsa_user_sgpr_count 2
		.amdhsa_user_sgpr_dispatch_ptr 0
		.amdhsa_user_sgpr_queue_ptr 0
		.amdhsa_user_sgpr_kernarg_segment_ptr 1
		.amdhsa_user_sgpr_dispatch_id 0
		.amdhsa_user_sgpr_private_segment_size 0
		.amdhsa_wavefront_size32 1
		.amdhsa_uses_dynamic_stack 0
		.amdhsa_enable_private_segment 0
		.amdhsa_system_sgpr_workgroup_id_x 1
		.amdhsa_system_sgpr_workgroup_id_y 0
		.amdhsa_system_sgpr_workgroup_id_z 0
		.amdhsa_system_sgpr_workgroup_info 0
		.amdhsa_system_vgpr_workitem_id 0
		.amdhsa_next_free_vgpr 1
		.amdhsa_next_free_sgpr 1
		.amdhsa_reserve_vcc 0
		.amdhsa_float_round_mode_32 0
		.amdhsa_float_round_mode_16_64 0
		.amdhsa_float_denorm_mode_32 3
		.amdhsa_float_denorm_mode_16_64 3
		.amdhsa_fp16_overflow 0
		.amdhsa_workgroup_processor_mode 1
		.amdhsa_memory_ordered 1
		.amdhsa_forward_progress 1
		.amdhsa_inst_pref_size 1
		.amdhsa_round_robin_scheduling 0
		.amdhsa_exception_fp_ieee_invalid_op 0
		.amdhsa_exception_fp_denorm_src 0
		.amdhsa_exception_fp_ieee_div_zero 0
		.amdhsa_exception_fp_ieee_overflow 0
		.amdhsa_exception_fp_ieee_underflow 0
		.amdhsa_exception_fp_ieee_inexact 0
		.amdhsa_exception_int_div_zero 0
	.end_amdhsa_kernel
	.section	.text._ZN7rocprim17ROCPRIM_400000_NS6detail17trampoline_kernelINS0_14default_configENS1_25partition_config_selectorILNS1_17partition_subalgoE6EN6thrust23THRUST_200600_302600_NS5tupleIttNS7_9null_typeES9_S9_S9_S9_S9_S9_S9_EENS0_10empty_typeEbEEZZNS1_14partition_implILS5_6ELb0ES3_mNS7_12zip_iteratorINS8_INS7_6detail15normal_iteratorINS7_10device_ptrItEEEESJ_S9_S9_S9_S9_S9_S9_S9_S9_EEEEPSB_SM_NS0_5tupleIJNSE_INS8_ISJ_NS7_16discard_iteratorINS7_11use_defaultEEES9_S9_S9_S9_S9_S9_S9_S9_EEEESB_EEENSN_IJSM_SM_EEESB_PlJNSF_9not_fun_tINSF_14equal_to_valueISA_EEEEEEE10hipError_tPvRmT3_T4_T5_T6_T7_T9_mT8_P12ihipStream_tbDpT10_ENKUlT_T0_E_clISt17integral_constantIbLb1EES1J_EEDaS1E_S1F_EUlS1E_E_NS1_11comp_targetILNS1_3genE10ELNS1_11target_archE1200ELNS1_3gpuE4ELNS1_3repE0EEENS1_30default_config_static_selectorELNS0_4arch9wavefront6targetE0EEEvT1_,"axG",@progbits,_ZN7rocprim17ROCPRIM_400000_NS6detail17trampoline_kernelINS0_14default_configENS1_25partition_config_selectorILNS1_17partition_subalgoE6EN6thrust23THRUST_200600_302600_NS5tupleIttNS7_9null_typeES9_S9_S9_S9_S9_S9_S9_EENS0_10empty_typeEbEEZZNS1_14partition_implILS5_6ELb0ES3_mNS7_12zip_iteratorINS8_INS7_6detail15normal_iteratorINS7_10device_ptrItEEEESJ_S9_S9_S9_S9_S9_S9_S9_S9_EEEEPSB_SM_NS0_5tupleIJNSE_INS8_ISJ_NS7_16discard_iteratorINS7_11use_defaultEEES9_S9_S9_S9_S9_S9_S9_S9_EEEESB_EEENSN_IJSM_SM_EEESB_PlJNSF_9not_fun_tINSF_14equal_to_valueISA_EEEEEEE10hipError_tPvRmT3_T4_T5_T6_T7_T9_mT8_P12ihipStream_tbDpT10_ENKUlT_T0_E_clISt17integral_constantIbLb1EES1J_EEDaS1E_S1F_EUlS1E_E_NS1_11comp_targetILNS1_3genE10ELNS1_11target_archE1200ELNS1_3gpuE4ELNS1_3repE0EEENS1_30default_config_static_selectorELNS0_4arch9wavefront6targetE0EEEvT1_,comdat
.Lfunc_end1962:
	.size	_ZN7rocprim17ROCPRIM_400000_NS6detail17trampoline_kernelINS0_14default_configENS1_25partition_config_selectorILNS1_17partition_subalgoE6EN6thrust23THRUST_200600_302600_NS5tupleIttNS7_9null_typeES9_S9_S9_S9_S9_S9_S9_EENS0_10empty_typeEbEEZZNS1_14partition_implILS5_6ELb0ES3_mNS7_12zip_iteratorINS8_INS7_6detail15normal_iteratorINS7_10device_ptrItEEEESJ_S9_S9_S9_S9_S9_S9_S9_S9_EEEEPSB_SM_NS0_5tupleIJNSE_INS8_ISJ_NS7_16discard_iteratorINS7_11use_defaultEEES9_S9_S9_S9_S9_S9_S9_S9_EEEESB_EEENSN_IJSM_SM_EEESB_PlJNSF_9not_fun_tINSF_14equal_to_valueISA_EEEEEEE10hipError_tPvRmT3_T4_T5_T6_T7_T9_mT8_P12ihipStream_tbDpT10_ENKUlT_T0_E_clISt17integral_constantIbLb1EES1J_EEDaS1E_S1F_EUlS1E_E_NS1_11comp_targetILNS1_3genE10ELNS1_11target_archE1200ELNS1_3gpuE4ELNS1_3repE0EEENS1_30default_config_static_selectorELNS0_4arch9wavefront6targetE0EEEvT1_, .Lfunc_end1962-_ZN7rocprim17ROCPRIM_400000_NS6detail17trampoline_kernelINS0_14default_configENS1_25partition_config_selectorILNS1_17partition_subalgoE6EN6thrust23THRUST_200600_302600_NS5tupleIttNS7_9null_typeES9_S9_S9_S9_S9_S9_S9_EENS0_10empty_typeEbEEZZNS1_14partition_implILS5_6ELb0ES3_mNS7_12zip_iteratorINS8_INS7_6detail15normal_iteratorINS7_10device_ptrItEEEESJ_S9_S9_S9_S9_S9_S9_S9_S9_EEEEPSB_SM_NS0_5tupleIJNSE_INS8_ISJ_NS7_16discard_iteratorINS7_11use_defaultEEES9_S9_S9_S9_S9_S9_S9_S9_EEEESB_EEENSN_IJSM_SM_EEESB_PlJNSF_9not_fun_tINSF_14equal_to_valueISA_EEEEEEE10hipError_tPvRmT3_T4_T5_T6_T7_T9_mT8_P12ihipStream_tbDpT10_ENKUlT_T0_E_clISt17integral_constantIbLb1EES1J_EEDaS1E_S1F_EUlS1E_E_NS1_11comp_targetILNS1_3genE10ELNS1_11target_archE1200ELNS1_3gpuE4ELNS1_3repE0EEENS1_30default_config_static_selectorELNS0_4arch9wavefront6targetE0EEEvT1_
                                        ; -- End function
	.set _ZN7rocprim17ROCPRIM_400000_NS6detail17trampoline_kernelINS0_14default_configENS1_25partition_config_selectorILNS1_17partition_subalgoE6EN6thrust23THRUST_200600_302600_NS5tupleIttNS7_9null_typeES9_S9_S9_S9_S9_S9_S9_EENS0_10empty_typeEbEEZZNS1_14partition_implILS5_6ELb0ES3_mNS7_12zip_iteratorINS8_INS7_6detail15normal_iteratorINS7_10device_ptrItEEEESJ_S9_S9_S9_S9_S9_S9_S9_S9_EEEEPSB_SM_NS0_5tupleIJNSE_INS8_ISJ_NS7_16discard_iteratorINS7_11use_defaultEEES9_S9_S9_S9_S9_S9_S9_S9_EEEESB_EEENSN_IJSM_SM_EEESB_PlJNSF_9not_fun_tINSF_14equal_to_valueISA_EEEEEEE10hipError_tPvRmT3_T4_T5_T6_T7_T9_mT8_P12ihipStream_tbDpT10_ENKUlT_T0_E_clISt17integral_constantIbLb1EES1J_EEDaS1E_S1F_EUlS1E_E_NS1_11comp_targetILNS1_3genE10ELNS1_11target_archE1200ELNS1_3gpuE4ELNS1_3repE0EEENS1_30default_config_static_selectorELNS0_4arch9wavefront6targetE0EEEvT1_.num_vgpr, 0
	.set _ZN7rocprim17ROCPRIM_400000_NS6detail17trampoline_kernelINS0_14default_configENS1_25partition_config_selectorILNS1_17partition_subalgoE6EN6thrust23THRUST_200600_302600_NS5tupleIttNS7_9null_typeES9_S9_S9_S9_S9_S9_S9_EENS0_10empty_typeEbEEZZNS1_14partition_implILS5_6ELb0ES3_mNS7_12zip_iteratorINS8_INS7_6detail15normal_iteratorINS7_10device_ptrItEEEESJ_S9_S9_S9_S9_S9_S9_S9_S9_EEEEPSB_SM_NS0_5tupleIJNSE_INS8_ISJ_NS7_16discard_iteratorINS7_11use_defaultEEES9_S9_S9_S9_S9_S9_S9_S9_EEEESB_EEENSN_IJSM_SM_EEESB_PlJNSF_9not_fun_tINSF_14equal_to_valueISA_EEEEEEE10hipError_tPvRmT3_T4_T5_T6_T7_T9_mT8_P12ihipStream_tbDpT10_ENKUlT_T0_E_clISt17integral_constantIbLb1EES1J_EEDaS1E_S1F_EUlS1E_E_NS1_11comp_targetILNS1_3genE10ELNS1_11target_archE1200ELNS1_3gpuE4ELNS1_3repE0EEENS1_30default_config_static_selectorELNS0_4arch9wavefront6targetE0EEEvT1_.num_agpr, 0
	.set _ZN7rocprim17ROCPRIM_400000_NS6detail17trampoline_kernelINS0_14default_configENS1_25partition_config_selectorILNS1_17partition_subalgoE6EN6thrust23THRUST_200600_302600_NS5tupleIttNS7_9null_typeES9_S9_S9_S9_S9_S9_S9_EENS0_10empty_typeEbEEZZNS1_14partition_implILS5_6ELb0ES3_mNS7_12zip_iteratorINS8_INS7_6detail15normal_iteratorINS7_10device_ptrItEEEESJ_S9_S9_S9_S9_S9_S9_S9_S9_EEEEPSB_SM_NS0_5tupleIJNSE_INS8_ISJ_NS7_16discard_iteratorINS7_11use_defaultEEES9_S9_S9_S9_S9_S9_S9_S9_EEEESB_EEENSN_IJSM_SM_EEESB_PlJNSF_9not_fun_tINSF_14equal_to_valueISA_EEEEEEE10hipError_tPvRmT3_T4_T5_T6_T7_T9_mT8_P12ihipStream_tbDpT10_ENKUlT_T0_E_clISt17integral_constantIbLb1EES1J_EEDaS1E_S1F_EUlS1E_E_NS1_11comp_targetILNS1_3genE10ELNS1_11target_archE1200ELNS1_3gpuE4ELNS1_3repE0EEENS1_30default_config_static_selectorELNS0_4arch9wavefront6targetE0EEEvT1_.numbered_sgpr, 0
	.set _ZN7rocprim17ROCPRIM_400000_NS6detail17trampoline_kernelINS0_14default_configENS1_25partition_config_selectorILNS1_17partition_subalgoE6EN6thrust23THRUST_200600_302600_NS5tupleIttNS7_9null_typeES9_S9_S9_S9_S9_S9_S9_EENS0_10empty_typeEbEEZZNS1_14partition_implILS5_6ELb0ES3_mNS7_12zip_iteratorINS8_INS7_6detail15normal_iteratorINS7_10device_ptrItEEEESJ_S9_S9_S9_S9_S9_S9_S9_S9_EEEEPSB_SM_NS0_5tupleIJNSE_INS8_ISJ_NS7_16discard_iteratorINS7_11use_defaultEEES9_S9_S9_S9_S9_S9_S9_S9_EEEESB_EEENSN_IJSM_SM_EEESB_PlJNSF_9not_fun_tINSF_14equal_to_valueISA_EEEEEEE10hipError_tPvRmT3_T4_T5_T6_T7_T9_mT8_P12ihipStream_tbDpT10_ENKUlT_T0_E_clISt17integral_constantIbLb1EES1J_EEDaS1E_S1F_EUlS1E_E_NS1_11comp_targetILNS1_3genE10ELNS1_11target_archE1200ELNS1_3gpuE4ELNS1_3repE0EEENS1_30default_config_static_selectorELNS0_4arch9wavefront6targetE0EEEvT1_.num_named_barrier, 0
	.set _ZN7rocprim17ROCPRIM_400000_NS6detail17trampoline_kernelINS0_14default_configENS1_25partition_config_selectorILNS1_17partition_subalgoE6EN6thrust23THRUST_200600_302600_NS5tupleIttNS7_9null_typeES9_S9_S9_S9_S9_S9_S9_EENS0_10empty_typeEbEEZZNS1_14partition_implILS5_6ELb0ES3_mNS7_12zip_iteratorINS8_INS7_6detail15normal_iteratorINS7_10device_ptrItEEEESJ_S9_S9_S9_S9_S9_S9_S9_S9_EEEEPSB_SM_NS0_5tupleIJNSE_INS8_ISJ_NS7_16discard_iteratorINS7_11use_defaultEEES9_S9_S9_S9_S9_S9_S9_S9_EEEESB_EEENSN_IJSM_SM_EEESB_PlJNSF_9not_fun_tINSF_14equal_to_valueISA_EEEEEEE10hipError_tPvRmT3_T4_T5_T6_T7_T9_mT8_P12ihipStream_tbDpT10_ENKUlT_T0_E_clISt17integral_constantIbLb1EES1J_EEDaS1E_S1F_EUlS1E_E_NS1_11comp_targetILNS1_3genE10ELNS1_11target_archE1200ELNS1_3gpuE4ELNS1_3repE0EEENS1_30default_config_static_selectorELNS0_4arch9wavefront6targetE0EEEvT1_.private_seg_size, 0
	.set _ZN7rocprim17ROCPRIM_400000_NS6detail17trampoline_kernelINS0_14default_configENS1_25partition_config_selectorILNS1_17partition_subalgoE6EN6thrust23THRUST_200600_302600_NS5tupleIttNS7_9null_typeES9_S9_S9_S9_S9_S9_S9_EENS0_10empty_typeEbEEZZNS1_14partition_implILS5_6ELb0ES3_mNS7_12zip_iteratorINS8_INS7_6detail15normal_iteratorINS7_10device_ptrItEEEESJ_S9_S9_S9_S9_S9_S9_S9_S9_EEEEPSB_SM_NS0_5tupleIJNSE_INS8_ISJ_NS7_16discard_iteratorINS7_11use_defaultEEES9_S9_S9_S9_S9_S9_S9_S9_EEEESB_EEENSN_IJSM_SM_EEESB_PlJNSF_9not_fun_tINSF_14equal_to_valueISA_EEEEEEE10hipError_tPvRmT3_T4_T5_T6_T7_T9_mT8_P12ihipStream_tbDpT10_ENKUlT_T0_E_clISt17integral_constantIbLb1EES1J_EEDaS1E_S1F_EUlS1E_E_NS1_11comp_targetILNS1_3genE10ELNS1_11target_archE1200ELNS1_3gpuE4ELNS1_3repE0EEENS1_30default_config_static_selectorELNS0_4arch9wavefront6targetE0EEEvT1_.uses_vcc, 0
	.set _ZN7rocprim17ROCPRIM_400000_NS6detail17trampoline_kernelINS0_14default_configENS1_25partition_config_selectorILNS1_17partition_subalgoE6EN6thrust23THRUST_200600_302600_NS5tupleIttNS7_9null_typeES9_S9_S9_S9_S9_S9_S9_EENS0_10empty_typeEbEEZZNS1_14partition_implILS5_6ELb0ES3_mNS7_12zip_iteratorINS8_INS7_6detail15normal_iteratorINS7_10device_ptrItEEEESJ_S9_S9_S9_S9_S9_S9_S9_S9_EEEEPSB_SM_NS0_5tupleIJNSE_INS8_ISJ_NS7_16discard_iteratorINS7_11use_defaultEEES9_S9_S9_S9_S9_S9_S9_S9_EEEESB_EEENSN_IJSM_SM_EEESB_PlJNSF_9not_fun_tINSF_14equal_to_valueISA_EEEEEEE10hipError_tPvRmT3_T4_T5_T6_T7_T9_mT8_P12ihipStream_tbDpT10_ENKUlT_T0_E_clISt17integral_constantIbLb1EES1J_EEDaS1E_S1F_EUlS1E_E_NS1_11comp_targetILNS1_3genE10ELNS1_11target_archE1200ELNS1_3gpuE4ELNS1_3repE0EEENS1_30default_config_static_selectorELNS0_4arch9wavefront6targetE0EEEvT1_.uses_flat_scratch, 0
	.set _ZN7rocprim17ROCPRIM_400000_NS6detail17trampoline_kernelINS0_14default_configENS1_25partition_config_selectorILNS1_17partition_subalgoE6EN6thrust23THRUST_200600_302600_NS5tupleIttNS7_9null_typeES9_S9_S9_S9_S9_S9_S9_EENS0_10empty_typeEbEEZZNS1_14partition_implILS5_6ELb0ES3_mNS7_12zip_iteratorINS8_INS7_6detail15normal_iteratorINS7_10device_ptrItEEEESJ_S9_S9_S9_S9_S9_S9_S9_S9_EEEEPSB_SM_NS0_5tupleIJNSE_INS8_ISJ_NS7_16discard_iteratorINS7_11use_defaultEEES9_S9_S9_S9_S9_S9_S9_S9_EEEESB_EEENSN_IJSM_SM_EEESB_PlJNSF_9not_fun_tINSF_14equal_to_valueISA_EEEEEEE10hipError_tPvRmT3_T4_T5_T6_T7_T9_mT8_P12ihipStream_tbDpT10_ENKUlT_T0_E_clISt17integral_constantIbLb1EES1J_EEDaS1E_S1F_EUlS1E_E_NS1_11comp_targetILNS1_3genE10ELNS1_11target_archE1200ELNS1_3gpuE4ELNS1_3repE0EEENS1_30default_config_static_selectorELNS0_4arch9wavefront6targetE0EEEvT1_.has_dyn_sized_stack, 0
	.set _ZN7rocprim17ROCPRIM_400000_NS6detail17trampoline_kernelINS0_14default_configENS1_25partition_config_selectorILNS1_17partition_subalgoE6EN6thrust23THRUST_200600_302600_NS5tupleIttNS7_9null_typeES9_S9_S9_S9_S9_S9_S9_EENS0_10empty_typeEbEEZZNS1_14partition_implILS5_6ELb0ES3_mNS7_12zip_iteratorINS8_INS7_6detail15normal_iteratorINS7_10device_ptrItEEEESJ_S9_S9_S9_S9_S9_S9_S9_S9_EEEEPSB_SM_NS0_5tupleIJNSE_INS8_ISJ_NS7_16discard_iteratorINS7_11use_defaultEEES9_S9_S9_S9_S9_S9_S9_S9_EEEESB_EEENSN_IJSM_SM_EEESB_PlJNSF_9not_fun_tINSF_14equal_to_valueISA_EEEEEEE10hipError_tPvRmT3_T4_T5_T6_T7_T9_mT8_P12ihipStream_tbDpT10_ENKUlT_T0_E_clISt17integral_constantIbLb1EES1J_EEDaS1E_S1F_EUlS1E_E_NS1_11comp_targetILNS1_3genE10ELNS1_11target_archE1200ELNS1_3gpuE4ELNS1_3repE0EEENS1_30default_config_static_selectorELNS0_4arch9wavefront6targetE0EEEvT1_.has_recursion, 0
	.set _ZN7rocprim17ROCPRIM_400000_NS6detail17trampoline_kernelINS0_14default_configENS1_25partition_config_selectorILNS1_17partition_subalgoE6EN6thrust23THRUST_200600_302600_NS5tupleIttNS7_9null_typeES9_S9_S9_S9_S9_S9_S9_EENS0_10empty_typeEbEEZZNS1_14partition_implILS5_6ELb0ES3_mNS7_12zip_iteratorINS8_INS7_6detail15normal_iteratorINS7_10device_ptrItEEEESJ_S9_S9_S9_S9_S9_S9_S9_S9_EEEEPSB_SM_NS0_5tupleIJNSE_INS8_ISJ_NS7_16discard_iteratorINS7_11use_defaultEEES9_S9_S9_S9_S9_S9_S9_S9_EEEESB_EEENSN_IJSM_SM_EEESB_PlJNSF_9not_fun_tINSF_14equal_to_valueISA_EEEEEEE10hipError_tPvRmT3_T4_T5_T6_T7_T9_mT8_P12ihipStream_tbDpT10_ENKUlT_T0_E_clISt17integral_constantIbLb1EES1J_EEDaS1E_S1F_EUlS1E_E_NS1_11comp_targetILNS1_3genE10ELNS1_11target_archE1200ELNS1_3gpuE4ELNS1_3repE0EEENS1_30default_config_static_selectorELNS0_4arch9wavefront6targetE0EEEvT1_.has_indirect_call, 0
	.section	.AMDGPU.csdata,"",@progbits
; Kernel info:
; codeLenInByte = 4
; TotalNumSgprs: 0
; NumVgprs: 0
; ScratchSize: 0
; MemoryBound: 0
; FloatMode: 240
; IeeeMode: 1
; LDSByteSize: 0 bytes/workgroup (compile time only)
; SGPRBlocks: 0
; VGPRBlocks: 0
; NumSGPRsForWavesPerEU: 1
; NumVGPRsForWavesPerEU: 1
; Occupancy: 16
; WaveLimiterHint : 0
; COMPUTE_PGM_RSRC2:SCRATCH_EN: 0
; COMPUTE_PGM_RSRC2:USER_SGPR: 2
; COMPUTE_PGM_RSRC2:TRAP_HANDLER: 0
; COMPUTE_PGM_RSRC2:TGID_X_EN: 1
; COMPUTE_PGM_RSRC2:TGID_Y_EN: 0
; COMPUTE_PGM_RSRC2:TGID_Z_EN: 0
; COMPUTE_PGM_RSRC2:TIDIG_COMP_CNT: 0
	.section	.text._ZN7rocprim17ROCPRIM_400000_NS6detail17trampoline_kernelINS0_14default_configENS1_25partition_config_selectorILNS1_17partition_subalgoE6EN6thrust23THRUST_200600_302600_NS5tupleIttNS7_9null_typeES9_S9_S9_S9_S9_S9_S9_EENS0_10empty_typeEbEEZZNS1_14partition_implILS5_6ELb0ES3_mNS7_12zip_iteratorINS8_INS7_6detail15normal_iteratorINS7_10device_ptrItEEEESJ_S9_S9_S9_S9_S9_S9_S9_S9_EEEEPSB_SM_NS0_5tupleIJNSE_INS8_ISJ_NS7_16discard_iteratorINS7_11use_defaultEEES9_S9_S9_S9_S9_S9_S9_S9_EEEESB_EEENSN_IJSM_SM_EEESB_PlJNSF_9not_fun_tINSF_14equal_to_valueISA_EEEEEEE10hipError_tPvRmT3_T4_T5_T6_T7_T9_mT8_P12ihipStream_tbDpT10_ENKUlT_T0_E_clISt17integral_constantIbLb1EES1J_EEDaS1E_S1F_EUlS1E_E_NS1_11comp_targetILNS1_3genE9ELNS1_11target_archE1100ELNS1_3gpuE3ELNS1_3repE0EEENS1_30default_config_static_selectorELNS0_4arch9wavefront6targetE0EEEvT1_,"axG",@progbits,_ZN7rocprim17ROCPRIM_400000_NS6detail17trampoline_kernelINS0_14default_configENS1_25partition_config_selectorILNS1_17partition_subalgoE6EN6thrust23THRUST_200600_302600_NS5tupleIttNS7_9null_typeES9_S9_S9_S9_S9_S9_S9_EENS0_10empty_typeEbEEZZNS1_14partition_implILS5_6ELb0ES3_mNS7_12zip_iteratorINS8_INS7_6detail15normal_iteratorINS7_10device_ptrItEEEESJ_S9_S9_S9_S9_S9_S9_S9_S9_EEEEPSB_SM_NS0_5tupleIJNSE_INS8_ISJ_NS7_16discard_iteratorINS7_11use_defaultEEES9_S9_S9_S9_S9_S9_S9_S9_EEEESB_EEENSN_IJSM_SM_EEESB_PlJNSF_9not_fun_tINSF_14equal_to_valueISA_EEEEEEE10hipError_tPvRmT3_T4_T5_T6_T7_T9_mT8_P12ihipStream_tbDpT10_ENKUlT_T0_E_clISt17integral_constantIbLb1EES1J_EEDaS1E_S1F_EUlS1E_E_NS1_11comp_targetILNS1_3genE9ELNS1_11target_archE1100ELNS1_3gpuE3ELNS1_3repE0EEENS1_30default_config_static_selectorELNS0_4arch9wavefront6targetE0EEEvT1_,comdat
	.protected	_ZN7rocprim17ROCPRIM_400000_NS6detail17trampoline_kernelINS0_14default_configENS1_25partition_config_selectorILNS1_17partition_subalgoE6EN6thrust23THRUST_200600_302600_NS5tupleIttNS7_9null_typeES9_S9_S9_S9_S9_S9_S9_EENS0_10empty_typeEbEEZZNS1_14partition_implILS5_6ELb0ES3_mNS7_12zip_iteratorINS8_INS7_6detail15normal_iteratorINS7_10device_ptrItEEEESJ_S9_S9_S9_S9_S9_S9_S9_S9_EEEEPSB_SM_NS0_5tupleIJNSE_INS8_ISJ_NS7_16discard_iteratorINS7_11use_defaultEEES9_S9_S9_S9_S9_S9_S9_S9_EEEESB_EEENSN_IJSM_SM_EEESB_PlJNSF_9not_fun_tINSF_14equal_to_valueISA_EEEEEEE10hipError_tPvRmT3_T4_T5_T6_T7_T9_mT8_P12ihipStream_tbDpT10_ENKUlT_T0_E_clISt17integral_constantIbLb1EES1J_EEDaS1E_S1F_EUlS1E_E_NS1_11comp_targetILNS1_3genE9ELNS1_11target_archE1100ELNS1_3gpuE3ELNS1_3repE0EEENS1_30default_config_static_selectorELNS0_4arch9wavefront6targetE0EEEvT1_ ; -- Begin function _ZN7rocprim17ROCPRIM_400000_NS6detail17trampoline_kernelINS0_14default_configENS1_25partition_config_selectorILNS1_17partition_subalgoE6EN6thrust23THRUST_200600_302600_NS5tupleIttNS7_9null_typeES9_S9_S9_S9_S9_S9_S9_EENS0_10empty_typeEbEEZZNS1_14partition_implILS5_6ELb0ES3_mNS7_12zip_iteratorINS8_INS7_6detail15normal_iteratorINS7_10device_ptrItEEEESJ_S9_S9_S9_S9_S9_S9_S9_S9_EEEEPSB_SM_NS0_5tupleIJNSE_INS8_ISJ_NS7_16discard_iteratorINS7_11use_defaultEEES9_S9_S9_S9_S9_S9_S9_S9_EEEESB_EEENSN_IJSM_SM_EEESB_PlJNSF_9not_fun_tINSF_14equal_to_valueISA_EEEEEEE10hipError_tPvRmT3_T4_T5_T6_T7_T9_mT8_P12ihipStream_tbDpT10_ENKUlT_T0_E_clISt17integral_constantIbLb1EES1J_EEDaS1E_S1F_EUlS1E_E_NS1_11comp_targetILNS1_3genE9ELNS1_11target_archE1100ELNS1_3gpuE3ELNS1_3repE0EEENS1_30default_config_static_selectorELNS0_4arch9wavefront6targetE0EEEvT1_
	.globl	_ZN7rocprim17ROCPRIM_400000_NS6detail17trampoline_kernelINS0_14default_configENS1_25partition_config_selectorILNS1_17partition_subalgoE6EN6thrust23THRUST_200600_302600_NS5tupleIttNS7_9null_typeES9_S9_S9_S9_S9_S9_S9_EENS0_10empty_typeEbEEZZNS1_14partition_implILS5_6ELb0ES3_mNS7_12zip_iteratorINS8_INS7_6detail15normal_iteratorINS7_10device_ptrItEEEESJ_S9_S9_S9_S9_S9_S9_S9_S9_EEEEPSB_SM_NS0_5tupleIJNSE_INS8_ISJ_NS7_16discard_iteratorINS7_11use_defaultEEES9_S9_S9_S9_S9_S9_S9_S9_EEEESB_EEENSN_IJSM_SM_EEESB_PlJNSF_9not_fun_tINSF_14equal_to_valueISA_EEEEEEE10hipError_tPvRmT3_T4_T5_T6_T7_T9_mT8_P12ihipStream_tbDpT10_ENKUlT_T0_E_clISt17integral_constantIbLb1EES1J_EEDaS1E_S1F_EUlS1E_E_NS1_11comp_targetILNS1_3genE9ELNS1_11target_archE1100ELNS1_3gpuE3ELNS1_3repE0EEENS1_30default_config_static_selectorELNS0_4arch9wavefront6targetE0EEEvT1_
	.p2align	8
	.type	_ZN7rocprim17ROCPRIM_400000_NS6detail17trampoline_kernelINS0_14default_configENS1_25partition_config_selectorILNS1_17partition_subalgoE6EN6thrust23THRUST_200600_302600_NS5tupleIttNS7_9null_typeES9_S9_S9_S9_S9_S9_S9_EENS0_10empty_typeEbEEZZNS1_14partition_implILS5_6ELb0ES3_mNS7_12zip_iteratorINS8_INS7_6detail15normal_iteratorINS7_10device_ptrItEEEESJ_S9_S9_S9_S9_S9_S9_S9_S9_EEEEPSB_SM_NS0_5tupleIJNSE_INS8_ISJ_NS7_16discard_iteratorINS7_11use_defaultEEES9_S9_S9_S9_S9_S9_S9_S9_EEEESB_EEENSN_IJSM_SM_EEESB_PlJNSF_9not_fun_tINSF_14equal_to_valueISA_EEEEEEE10hipError_tPvRmT3_T4_T5_T6_T7_T9_mT8_P12ihipStream_tbDpT10_ENKUlT_T0_E_clISt17integral_constantIbLb1EES1J_EEDaS1E_S1F_EUlS1E_E_NS1_11comp_targetILNS1_3genE9ELNS1_11target_archE1100ELNS1_3gpuE3ELNS1_3repE0EEENS1_30default_config_static_selectorELNS0_4arch9wavefront6targetE0EEEvT1_,@function
_ZN7rocprim17ROCPRIM_400000_NS6detail17trampoline_kernelINS0_14default_configENS1_25partition_config_selectorILNS1_17partition_subalgoE6EN6thrust23THRUST_200600_302600_NS5tupleIttNS7_9null_typeES9_S9_S9_S9_S9_S9_S9_EENS0_10empty_typeEbEEZZNS1_14partition_implILS5_6ELb0ES3_mNS7_12zip_iteratorINS8_INS7_6detail15normal_iteratorINS7_10device_ptrItEEEESJ_S9_S9_S9_S9_S9_S9_S9_S9_EEEEPSB_SM_NS0_5tupleIJNSE_INS8_ISJ_NS7_16discard_iteratorINS7_11use_defaultEEES9_S9_S9_S9_S9_S9_S9_S9_EEEESB_EEENSN_IJSM_SM_EEESB_PlJNSF_9not_fun_tINSF_14equal_to_valueISA_EEEEEEE10hipError_tPvRmT3_T4_T5_T6_T7_T9_mT8_P12ihipStream_tbDpT10_ENKUlT_T0_E_clISt17integral_constantIbLb1EES1J_EEDaS1E_S1F_EUlS1E_E_NS1_11comp_targetILNS1_3genE9ELNS1_11target_archE1100ELNS1_3gpuE3ELNS1_3repE0EEENS1_30default_config_static_selectorELNS0_4arch9wavefront6targetE0EEEvT1_: ; @_ZN7rocprim17ROCPRIM_400000_NS6detail17trampoline_kernelINS0_14default_configENS1_25partition_config_selectorILNS1_17partition_subalgoE6EN6thrust23THRUST_200600_302600_NS5tupleIttNS7_9null_typeES9_S9_S9_S9_S9_S9_S9_EENS0_10empty_typeEbEEZZNS1_14partition_implILS5_6ELb0ES3_mNS7_12zip_iteratorINS8_INS7_6detail15normal_iteratorINS7_10device_ptrItEEEESJ_S9_S9_S9_S9_S9_S9_S9_S9_EEEEPSB_SM_NS0_5tupleIJNSE_INS8_ISJ_NS7_16discard_iteratorINS7_11use_defaultEEES9_S9_S9_S9_S9_S9_S9_S9_EEEESB_EEENSN_IJSM_SM_EEESB_PlJNSF_9not_fun_tINSF_14equal_to_valueISA_EEEEEEE10hipError_tPvRmT3_T4_T5_T6_T7_T9_mT8_P12ihipStream_tbDpT10_ENKUlT_T0_E_clISt17integral_constantIbLb1EES1J_EEDaS1E_S1F_EUlS1E_E_NS1_11comp_targetILNS1_3genE9ELNS1_11target_archE1100ELNS1_3gpuE3ELNS1_3repE0EEENS1_30default_config_static_selectorELNS0_4arch9wavefront6targetE0EEEvT1_
; %bb.0:
	.section	.rodata,"a",@progbits
	.p2align	6, 0x0
	.amdhsa_kernel _ZN7rocprim17ROCPRIM_400000_NS6detail17trampoline_kernelINS0_14default_configENS1_25partition_config_selectorILNS1_17partition_subalgoE6EN6thrust23THRUST_200600_302600_NS5tupleIttNS7_9null_typeES9_S9_S9_S9_S9_S9_S9_EENS0_10empty_typeEbEEZZNS1_14partition_implILS5_6ELb0ES3_mNS7_12zip_iteratorINS8_INS7_6detail15normal_iteratorINS7_10device_ptrItEEEESJ_S9_S9_S9_S9_S9_S9_S9_S9_EEEEPSB_SM_NS0_5tupleIJNSE_INS8_ISJ_NS7_16discard_iteratorINS7_11use_defaultEEES9_S9_S9_S9_S9_S9_S9_S9_EEEESB_EEENSN_IJSM_SM_EEESB_PlJNSF_9not_fun_tINSF_14equal_to_valueISA_EEEEEEE10hipError_tPvRmT3_T4_T5_T6_T7_T9_mT8_P12ihipStream_tbDpT10_ENKUlT_T0_E_clISt17integral_constantIbLb1EES1J_EEDaS1E_S1F_EUlS1E_E_NS1_11comp_targetILNS1_3genE9ELNS1_11target_archE1100ELNS1_3gpuE3ELNS1_3repE0EEENS1_30default_config_static_selectorELNS0_4arch9wavefront6targetE0EEEvT1_
		.amdhsa_group_segment_fixed_size 0
		.amdhsa_private_segment_fixed_size 0
		.amdhsa_kernarg_size 152
		.amdhsa_user_sgpr_count 2
		.amdhsa_user_sgpr_dispatch_ptr 0
		.amdhsa_user_sgpr_queue_ptr 0
		.amdhsa_user_sgpr_kernarg_segment_ptr 1
		.amdhsa_user_sgpr_dispatch_id 0
		.amdhsa_user_sgpr_private_segment_size 0
		.amdhsa_wavefront_size32 1
		.amdhsa_uses_dynamic_stack 0
		.amdhsa_enable_private_segment 0
		.amdhsa_system_sgpr_workgroup_id_x 1
		.amdhsa_system_sgpr_workgroup_id_y 0
		.amdhsa_system_sgpr_workgroup_id_z 0
		.amdhsa_system_sgpr_workgroup_info 0
		.amdhsa_system_vgpr_workitem_id 0
		.amdhsa_next_free_vgpr 1
		.amdhsa_next_free_sgpr 1
		.amdhsa_reserve_vcc 0
		.amdhsa_float_round_mode_32 0
		.amdhsa_float_round_mode_16_64 0
		.amdhsa_float_denorm_mode_32 3
		.amdhsa_float_denorm_mode_16_64 3
		.amdhsa_fp16_overflow 0
		.amdhsa_workgroup_processor_mode 1
		.amdhsa_memory_ordered 1
		.amdhsa_forward_progress 1
		.amdhsa_inst_pref_size 0
		.amdhsa_round_robin_scheduling 0
		.amdhsa_exception_fp_ieee_invalid_op 0
		.amdhsa_exception_fp_denorm_src 0
		.amdhsa_exception_fp_ieee_div_zero 0
		.amdhsa_exception_fp_ieee_overflow 0
		.amdhsa_exception_fp_ieee_underflow 0
		.amdhsa_exception_fp_ieee_inexact 0
		.amdhsa_exception_int_div_zero 0
	.end_amdhsa_kernel
	.section	.text._ZN7rocprim17ROCPRIM_400000_NS6detail17trampoline_kernelINS0_14default_configENS1_25partition_config_selectorILNS1_17partition_subalgoE6EN6thrust23THRUST_200600_302600_NS5tupleIttNS7_9null_typeES9_S9_S9_S9_S9_S9_S9_EENS0_10empty_typeEbEEZZNS1_14partition_implILS5_6ELb0ES3_mNS7_12zip_iteratorINS8_INS7_6detail15normal_iteratorINS7_10device_ptrItEEEESJ_S9_S9_S9_S9_S9_S9_S9_S9_EEEEPSB_SM_NS0_5tupleIJNSE_INS8_ISJ_NS7_16discard_iteratorINS7_11use_defaultEEES9_S9_S9_S9_S9_S9_S9_S9_EEEESB_EEENSN_IJSM_SM_EEESB_PlJNSF_9not_fun_tINSF_14equal_to_valueISA_EEEEEEE10hipError_tPvRmT3_T4_T5_T6_T7_T9_mT8_P12ihipStream_tbDpT10_ENKUlT_T0_E_clISt17integral_constantIbLb1EES1J_EEDaS1E_S1F_EUlS1E_E_NS1_11comp_targetILNS1_3genE9ELNS1_11target_archE1100ELNS1_3gpuE3ELNS1_3repE0EEENS1_30default_config_static_selectorELNS0_4arch9wavefront6targetE0EEEvT1_,"axG",@progbits,_ZN7rocprim17ROCPRIM_400000_NS6detail17trampoline_kernelINS0_14default_configENS1_25partition_config_selectorILNS1_17partition_subalgoE6EN6thrust23THRUST_200600_302600_NS5tupleIttNS7_9null_typeES9_S9_S9_S9_S9_S9_S9_EENS0_10empty_typeEbEEZZNS1_14partition_implILS5_6ELb0ES3_mNS7_12zip_iteratorINS8_INS7_6detail15normal_iteratorINS7_10device_ptrItEEEESJ_S9_S9_S9_S9_S9_S9_S9_S9_EEEEPSB_SM_NS0_5tupleIJNSE_INS8_ISJ_NS7_16discard_iteratorINS7_11use_defaultEEES9_S9_S9_S9_S9_S9_S9_S9_EEEESB_EEENSN_IJSM_SM_EEESB_PlJNSF_9not_fun_tINSF_14equal_to_valueISA_EEEEEEE10hipError_tPvRmT3_T4_T5_T6_T7_T9_mT8_P12ihipStream_tbDpT10_ENKUlT_T0_E_clISt17integral_constantIbLb1EES1J_EEDaS1E_S1F_EUlS1E_E_NS1_11comp_targetILNS1_3genE9ELNS1_11target_archE1100ELNS1_3gpuE3ELNS1_3repE0EEENS1_30default_config_static_selectorELNS0_4arch9wavefront6targetE0EEEvT1_,comdat
.Lfunc_end1963:
	.size	_ZN7rocprim17ROCPRIM_400000_NS6detail17trampoline_kernelINS0_14default_configENS1_25partition_config_selectorILNS1_17partition_subalgoE6EN6thrust23THRUST_200600_302600_NS5tupleIttNS7_9null_typeES9_S9_S9_S9_S9_S9_S9_EENS0_10empty_typeEbEEZZNS1_14partition_implILS5_6ELb0ES3_mNS7_12zip_iteratorINS8_INS7_6detail15normal_iteratorINS7_10device_ptrItEEEESJ_S9_S9_S9_S9_S9_S9_S9_S9_EEEEPSB_SM_NS0_5tupleIJNSE_INS8_ISJ_NS7_16discard_iteratorINS7_11use_defaultEEES9_S9_S9_S9_S9_S9_S9_S9_EEEESB_EEENSN_IJSM_SM_EEESB_PlJNSF_9not_fun_tINSF_14equal_to_valueISA_EEEEEEE10hipError_tPvRmT3_T4_T5_T6_T7_T9_mT8_P12ihipStream_tbDpT10_ENKUlT_T0_E_clISt17integral_constantIbLb1EES1J_EEDaS1E_S1F_EUlS1E_E_NS1_11comp_targetILNS1_3genE9ELNS1_11target_archE1100ELNS1_3gpuE3ELNS1_3repE0EEENS1_30default_config_static_selectorELNS0_4arch9wavefront6targetE0EEEvT1_, .Lfunc_end1963-_ZN7rocprim17ROCPRIM_400000_NS6detail17trampoline_kernelINS0_14default_configENS1_25partition_config_selectorILNS1_17partition_subalgoE6EN6thrust23THRUST_200600_302600_NS5tupleIttNS7_9null_typeES9_S9_S9_S9_S9_S9_S9_EENS0_10empty_typeEbEEZZNS1_14partition_implILS5_6ELb0ES3_mNS7_12zip_iteratorINS8_INS7_6detail15normal_iteratorINS7_10device_ptrItEEEESJ_S9_S9_S9_S9_S9_S9_S9_S9_EEEEPSB_SM_NS0_5tupleIJNSE_INS8_ISJ_NS7_16discard_iteratorINS7_11use_defaultEEES9_S9_S9_S9_S9_S9_S9_S9_EEEESB_EEENSN_IJSM_SM_EEESB_PlJNSF_9not_fun_tINSF_14equal_to_valueISA_EEEEEEE10hipError_tPvRmT3_T4_T5_T6_T7_T9_mT8_P12ihipStream_tbDpT10_ENKUlT_T0_E_clISt17integral_constantIbLb1EES1J_EEDaS1E_S1F_EUlS1E_E_NS1_11comp_targetILNS1_3genE9ELNS1_11target_archE1100ELNS1_3gpuE3ELNS1_3repE0EEENS1_30default_config_static_selectorELNS0_4arch9wavefront6targetE0EEEvT1_
                                        ; -- End function
	.set _ZN7rocprim17ROCPRIM_400000_NS6detail17trampoline_kernelINS0_14default_configENS1_25partition_config_selectorILNS1_17partition_subalgoE6EN6thrust23THRUST_200600_302600_NS5tupleIttNS7_9null_typeES9_S9_S9_S9_S9_S9_S9_EENS0_10empty_typeEbEEZZNS1_14partition_implILS5_6ELb0ES3_mNS7_12zip_iteratorINS8_INS7_6detail15normal_iteratorINS7_10device_ptrItEEEESJ_S9_S9_S9_S9_S9_S9_S9_S9_EEEEPSB_SM_NS0_5tupleIJNSE_INS8_ISJ_NS7_16discard_iteratorINS7_11use_defaultEEES9_S9_S9_S9_S9_S9_S9_S9_EEEESB_EEENSN_IJSM_SM_EEESB_PlJNSF_9not_fun_tINSF_14equal_to_valueISA_EEEEEEE10hipError_tPvRmT3_T4_T5_T6_T7_T9_mT8_P12ihipStream_tbDpT10_ENKUlT_T0_E_clISt17integral_constantIbLb1EES1J_EEDaS1E_S1F_EUlS1E_E_NS1_11comp_targetILNS1_3genE9ELNS1_11target_archE1100ELNS1_3gpuE3ELNS1_3repE0EEENS1_30default_config_static_selectorELNS0_4arch9wavefront6targetE0EEEvT1_.num_vgpr, 0
	.set _ZN7rocprim17ROCPRIM_400000_NS6detail17trampoline_kernelINS0_14default_configENS1_25partition_config_selectorILNS1_17partition_subalgoE6EN6thrust23THRUST_200600_302600_NS5tupleIttNS7_9null_typeES9_S9_S9_S9_S9_S9_S9_EENS0_10empty_typeEbEEZZNS1_14partition_implILS5_6ELb0ES3_mNS7_12zip_iteratorINS8_INS7_6detail15normal_iteratorINS7_10device_ptrItEEEESJ_S9_S9_S9_S9_S9_S9_S9_S9_EEEEPSB_SM_NS0_5tupleIJNSE_INS8_ISJ_NS7_16discard_iteratorINS7_11use_defaultEEES9_S9_S9_S9_S9_S9_S9_S9_EEEESB_EEENSN_IJSM_SM_EEESB_PlJNSF_9not_fun_tINSF_14equal_to_valueISA_EEEEEEE10hipError_tPvRmT3_T4_T5_T6_T7_T9_mT8_P12ihipStream_tbDpT10_ENKUlT_T0_E_clISt17integral_constantIbLb1EES1J_EEDaS1E_S1F_EUlS1E_E_NS1_11comp_targetILNS1_3genE9ELNS1_11target_archE1100ELNS1_3gpuE3ELNS1_3repE0EEENS1_30default_config_static_selectorELNS0_4arch9wavefront6targetE0EEEvT1_.num_agpr, 0
	.set _ZN7rocprim17ROCPRIM_400000_NS6detail17trampoline_kernelINS0_14default_configENS1_25partition_config_selectorILNS1_17partition_subalgoE6EN6thrust23THRUST_200600_302600_NS5tupleIttNS7_9null_typeES9_S9_S9_S9_S9_S9_S9_EENS0_10empty_typeEbEEZZNS1_14partition_implILS5_6ELb0ES3_mNS7_12zip_iteratorINS8_INS7_6detail15normal_iteratorINS7_10device_ptrItEEEESJ_S9_S9_S9_S9_S9_S9_S9_S9_EEEEPSB_SM_NS0_5tupleIJNSE_INS8_ISJ_NS7_16discard_iteratorINS7_11use_defaultEEES9_S9_S9_S9_S9_S9_S9_S9_EEEESB_EEENSN_IJSM_SM_EEESB_PlJNSF_9not_fun_tINSF_14equal_to_valueISA_EEEEEEE10hipError_tPvRmT3_T4_T5_T6_T7_T9_mT8_P12ihipStream_tbDpT10_ENKUlT_T0_E_clISt17integral_constantIbLb1EES1J_EEDaS1E_S1F_EUlS1E_E_NS1_11comp_targetILNS1_3genE9ELNS1_11target_archE1100ELNS1_3gpuE3ELNS1_3repE0EEENS1_30default_config_static_selectorELNS0_4arch9wavefront6targetE0EEEvT1_.numbered_sgpr, 0
	.set _ZN7rocprim17ROCPRIM_400000_NS6detail17trampoline_kernelINS0_14default_configENS1_25partition_config_selectorILNS1_17partition_subalgoE6EN6thrust23THRUST_200600_302600_NS5tupleIttNS7_9null_typeES9_S9_S9_S9_S9_S9_S9_EENS0_10empty_typeEbEEZZNS1_14partition_implILS5_6ELb0ES3_mNS7_12zip_iteratorINS8_INS7_6detail15normal_iteratorINS7_10device_ptrItEEEESJ_S9_S9_S9_S9_S9_S9_S9_S9_EEEEPSB_SM_NS0_5tupleIJNSE_INS8_ISJ_NS7_16discard_iteratorINS7_11use_defaultEEES9_S9_S9_S9_S9_S9_S9_S9_EEEESB_EEENSN_IJSM_SM_EEESB_PlJNSF_9not_fun_tINSF_14equal_to_valueISA_EEEEEEE10hipError_tPvRmT3_T4_T5_T6_T7_T9_mT8_P12ihipStream_tbDpT10_ENKUlT_T0_E_clISt17integral_constantIbLb1EES1J_EEDaS1E_S1F_EUlS1E_E_NS1_11comp_targetILNS1_3genE9ELNS1_11target_archE1100ELNS1_3gpuE3ELNS1_3repE0EEENS1_30default_config_static_selectorELNS0_4arch9wavefront6targetE0EEEvT1_.num_named_barrier, 0
	.set _ZN7rocprim17ROCPRIM_400000_NS6detail17trampoline_kernelINS0_14default_configENS1_25partition_config_selectorILNS1_17partition_subalgoE6EN6thrust23THRUST_200600_302600_NS5tupleIttNS7_9null_typeES9_S9_S9_S9_S9_S9_S9_EENS0_10empty_typeEbEEZZNS1_14partition_implILS5_6ELb0ES3_mNS7_12zip_iteratorINS8_INS7_6detail15normal_iteratorINS7_10device_ptrItEEEESJ_S9_S9_S9_S9_S9_S9_S9_S9_EEEEPSB_SM_NS0_5tupleIJNSE_INS8_ISJ_NS7_16discard_iteratorINS7_11use_defaultEEES9_S9_S9_S9_S9_S9_S9_S9_EEEESB_EEENSN_IJSM_SM_EEESB_PlJNSF_9not_fun_tINSF_14equal_to_valueISA_EEEEEEE10hipError_tPvRmT3_T4_T5_T6_T7_T9_mT8_P12ihipStream_tbDpT10_ENKUlT_T0_E_clISt17integral_constantIbLb1EES1J_EEDaS1E_S1F_EUlS1E_E_NS1_11comp_targetILNS1_3genE9ELNS1_11target_archE1100ELNS1_3gpuE3ELNS1_3repE0EEENS1_30default_config_static_selectorELNS0_4arch9wavefront6targetE0EEEvT1_.private_seg_size, 0
	.set _ZN7rocprim17ROCPRIM_400000_NS6detail17trampoline_kernelINS0_14default_configENS1_25partition_config_selectorILNS1_17partition_subalgoE6EN6thrust23THRUST_200600_302600_NS5tupleIttNS7_9null_typeES9_S9_S9_S9_S9_S9_S9_EENS0_10empty_typeEbEEZZNS1_14partition_implILS5_6ELb0ES3_mNS7_12zip_iteratorINS8_INS7_6detail15normal_iteratorINS7_10device_ptrItEEEESJ_S9_S9_S9_S9_S9_S9_S9_S9_EEEEPSB_SM_NS0_5tupleIJNSE_INS8_ISJ_NS7_16discard_iteratorINS7_11use_defaultEEES9_S9_S9_S9_S9_S9_S9_S9_EEEESB_EEENSN_IJSM_SM_EEESB_PlJNSF_9not_fun_tINSF_14equal_to_valueISA_EEEEEEE10hipError_tPvRmT3_T4_T5_T6_T7_T9_mT8_P12ihipStream_tbDpT10_ENKUlT_T0_E_clISt17integral_constantIbLb1EES1J_EEDaS1E_S1F_EUlS1E_E_NS1_11comp_targetILNS1_3genE9ELNS1_11target_archE1100ELNS1_3gpuE3ELNS1_3repE0EEENS1_30default_config_static_selectorELNS0_4arch9wavefront6targetE0EEEvT1_.uses_vcc, 0
	.set _ZN7rocprim17ROCPRIM_400000_NS6detail17trampoline_kernelINS0_14default_configENS1_25partition_config_selectorILNS1_17partition_subalgoE6EN6thrust23THRUST_200600_302600_NS5tupleIttNS7_9null_typeES9_S9_S9_S9_S9_S9_S9_EENS0_10empty_typeEbEEZZNS1_14partition_implILS5_6ELb0ES3_mNS7_12zip_iteratorINS8_INS7_6detail15normal_iteratorINS7_10device_ptrItEEEESJ_S9_S9_S9_S9_S9_S9_S9_S9_EEEEPSB_SM_NS0_5tupleIJNSE_INS8_ISJ_NS7_16discard_iteratorINS7_11use_defaultEEES9_S9_S9_S9_S9_S9_S9_S9_EEEESB_EEENSN_IJSM_SM_EEESB_PlJNSF_9not_fun_tINSF_14equal_to_valueISA_EEEEEEE10hipError_tPvRmT3_T4_T5_T6_T7_T9_mT8_P12ihipStream_tbDpT10_ENKUlT_T0_E_clISt17integral_constantIbLb1EES1J_EEDaS1E_S1F_EUlS1E_E_NS1_11comp_targetILNS1_3genE9ELNS1_11target_archE1100ELNS1_3gpuE3ELNS1_3repE0EEENS1_30default_config_static_selectorELNS0_4arch9wavefront6targetE0EEEvT1_.uses_flat_scratch, 0
	.set _ZN7rocprim17ROCPRIM_400000_NS6detail17trampoline_kernelINS0_14default_configENS1_25partition_config_selectorILNS1_17partition_subalgoE6EN6thrust23THRUST_200600_302600_NS5tupleIttNS7_9null_typeES9_S9_S9_S9_S9_S9_S9_EENS0_10empty_typeEbEEZZNS1_14partition_implILS5_6ELb0ES3_mNS7_12zip_iteratorINS8_INS7_6detail15normal_iteratorINS7_10device_ptrItEEEESJ_S9_S9_S9_S9_S9_S9_S9_S9_EEEEPSB_SM_NS0_5tupleIJNSE_INS8_ISJ_NS7_16discard_iteratorINS7_11use_defaultEEES9_S9_S9_S9_S9_S9_S9_S9_EEEESB_EEENSN_IJSM_SM_EEESB_PlJNSF_9not_fun_tINSF_14equal_to_valueISA_EEEEEEE10hipError_tPvRmT3_T4_T5_T6_T7_T9_mT8_P12ihipStream_tbDpT10_ENKUlT_T0_E_clISt17integral_constantIbLb1EES1J_EEDaS1E_S1F_EUlS1E_E_NS1_11comp_targetILNS1_3genE9ELNS1_11target_archE1100ELNS1_3gpuE3ELNS1_3repE0EEENS1_30default_config_static_selectorELNS0_4arch9wavefront6targetE0EEEvT1_.has_dyn_sized_stack, 0
	.set _ZN7rocprim17ROCPRIM_400000_NS6detail17trampoline_kernelINS0_14default_configENS1_25partition_config_selectorILNS1_17partition_subalgoE6EN6thrust23THRUST_200600_302600_NS5tupleIttNS7_9null_typeES9_S9_S9_S9_S9_S9_S9_EENS0_10empty_typeEbEEZZNS1_14partition_implILS5_6ELb0ES3_mNS7_12zip_iteratorINS8_INS7_6detail15normal_iteratorINS7_10device_ptrItEEEESJ_S9_S9_S9_S9_S9_S9_S9_S9_EEEEPSB_SM_NS0_5tupleIJNSE_INS8_ISJ_NS7_16discard_iteratorINS7_11use_defaultEEES9_S9_S9_S9_S9_S9_S9_S9_EEEESB_EEENSN_IJSM_SM_EEESB_PlJNSF_9not_fun_tINSF_14equal_to_valueISA_EEEEEEE10hipError_tPvRmT3_T4_T5_T6_T7_T9_mT8_P12ihipStream_tbDpT10_ENKUlT_T0_E_clISt17integral_constantIbLb1EES1J_EEDaS1E_S1F_EUlS1E_E_NS1_11comp_targetILNS1_3genE9ELNS1_11target_archE1100ELNS1_3gpuE3ELNS1_3repE0EEENS1_30default_config_static_selectorELNS0_4arch9wavefront6targetE0EEEvT1_.has_recursion, 0
	.set _ZN7rocprim17ROCPRIM_400000_NS6detail17trampoline_kernelINS0_14default_configENS1_25partition_config_selectorILNS1_17partition_subalgoE6EN6thrust23THRUST_200600_302600_NS5tupleIttNS7_9null_typeES9_S9_S9_S9_S9_S9_S9_EENS0_10empty_typeEbEEZZNS1_14partition_implILS5_6ELb0ES3_mNS7_12zip_iteratorINS8_INS7_6detail15normal_iteratorINS7_10device_ptrItEEEESJ_S9_S9_S9_S9_S9_S9_S9_S9_EEEEPSB_SM_NS0_5tupleIJNSE_INS8_ISJ_NS7_16discard_iteratorINS7_11use_defaultEEES9_S9_S9_S9_S9_S9_S9_S9_EEEESB_EEENSN_IJSM_SM_EEESB_PlJNSF_9not_fun_tINSF_14equal_to_valueISA_EEEEEEE10hipError_tPvRmT3_T4_T5_T6_T7_T9_mT8_P12ihipStream_tbDpT10_ENKUlT_T0_E_clISt17integral_constantIbLb1EES1J_EEDaS1E_S1F_EUlS1E_E_NS1_11comp_targetILNS1_3genE9ELNS1_11target_archE1100ELNS1_3gpuE3ELNS1_3repE0EEENS1_30default_config_static_selectorELNS0_4arch9wavefront6targetE0EEEvT1_.has_indirect_call, 0
	.section	.AMDGPU.csdata,"",@progbits
; Kernel info:
; codeLenInByte = 0
; TotalNumSgprs: 0
; NumVgprs: 0
; ScratchSize: 0
; MemoryBound: 0
; FloatMode: 240
; IeeeMode: 1
; LDSByteSize: 0 bytes/workgroup (compile time only)
; SGPRBlocks: 0
; VGPRBlocks: 0
; NumSGPRsForWavesPerEU: 1
; NumVGPRsForWavesPerEU: 1
; Occupancy: 16
; WaveLimiterHint : 0
; COMPUTE_PGM_RSRC2:SCRATCH_EN: 0
; COMPUTE_PGM_RSRC2:USER_SGPR: 2
; COMPUTE_PGM_RSRC2:TRAP_HANDLER: 0
; COMPUTE_PGM_RSRC2:TGID_X_EN: 1
; COMPUTE_PGM_RSRC2:TGID_Y_EN: 0
; COMPUTE_PGM_RSRC2:TGID_Z_EN: 0
; COMPUTE_PGM_RSRC2:TIDIG_COMP_CNT: 0
	.section	.text._ZN7rocprim17ROCPRIM_400000_NS6detail17trampoline_kernelINS0_14default_configENS1_25partition_config_selectorILNS1_17partition_subalgoE6EN6thrust23THRUST_200600_302600_NS5tupleIttNS7_9null_typeES9_S9_S9_S9_S9_S9_S9_EENS0_10empty_typeEbEEZZNS1_14partition_implILS5_6ELb0ES3_mNS7_12zip_iteratorINS8_INS7_6detail15normal_iteratorINS7_10device_ptrItEEEESJ_S9_S9_S9_S9_S9_S9_S9_S9_EEEEPSB_SM_NS0_5tupleIJNSE_INS8_ISJ_NS7_16discard_iteratorINS7_11use_defaultEEES9_S9_S9_S9_S9_S9_S9_S9_EEEESB_EEENSN_IJSM_SM_EEESB_PlJNSF_9not_fun_tINSF_14equal_to_valueISA_EEEEEEE10hipError_tPvRmT3_T4_T5_T6_T7_T9_mT8_P12ihipStream_tbDpT10_ENKUlT_T0_E_clISt17integral_constantIbLb1EES1J_EEDaS1E_S1F_EUlS1E_E_NS1_11comp_targetILNS1_3genE8ELNS1_11target_archE1030ELNS1_3gpuE2ELNS1_3repE0EEENS1_30default_config_static_selectorELNS0_4arch9wavefront6targetE0EEEvT1_,"axG",@progbits,_ZN7rocprim17ROCPRIM_400000_NS6detail17trampoline_kernelINS0_14default_configENS1_25partition_config_selectorILNS1_17partition_subalgoE6EN6thrust23THRUST_200600_302600_NS5tupleIttNS7_9null_typeES9_S9_S9_S9_S9_S9_S9_EENS0_10empty_typeEbEEZZNS1_14partition_implILS5_6ELb0ES3_mNS7_12zip_iteratorINS8_INS7_6detail15normal_iteratorINS7_10device_ptrItEEEESJ_S9_S9_S9_S9_S9_S9_S9_S9_EEEEPSB_SM_NS0_5tupleIJNSE_INS8_ISJ_NS7_16discard_iteratorINS7_11use_defaultEEES9_S9_S9_S9_S9_S9_S9_S9_EEEESB_EEENSN_IJSM_SM_EEESB_PlJNSF_9not_fun_tINSF_14equal_to_valueISA_EEEEEEE10hipError_tPvRmT3_T4_T5_T6_T7_T9_mT8_P12ihipStream_tbDpT10_ENKUlT_T0_E_clISt17integral_constantIbLb1EES1J_EEDaS1E_S1F_EUlS1E_E_NS1_11comp_targetILNS1_3genE8ELNS1_11target_archE1030ELNS1_3gpuE2ELNS1_3repE0EEENS1_30default_config_static_selectorELNS0_4arch9wavefront6targetE0EEEvT1_,comdat
	.protected	_ZN7rocprim17ROCPRIM_400000_NS6detail17trampoline_kernelINS0_14default_configENS1_25partition_config_selectorILNS1_17partition_subalgoE6EN6thrust23THRUST_200600_302600_NS5tupleIttNS7_9null_typeES9_S9_S9_S9_S9_S9_S9_EENS0_10empty_typeEbEEZZNS1_14partition_implILS5_6ELb0ES3_mNS7_12zip_iteratorINS8_INS7_6detail15normal_iteratorINS7_10device_ptrItEEEESJ_S9_S9_S9_S9_S9_S9_S9_S9_EEEEPSB_SM_NS0_5tupleIJNSE_INS8_ISJ_NS7_16discard_iteratorINS7_11use_defaultEEES9_S9_S9_S9_S9_S9_S9_S9_EEEESB_EEENSN_IJSM_SM_EEESB_PlJNSF_9not_fun_tINSF_14equal_to_valueISA_EEEEEEE10hipError_tPvRmT3_T4_T5_T6_T7_T9_mT8_P12ihipStream_tbDpT10_ENKUlT_T0_E_clISt17integral_constantIbLb1EES1J_EEDaS1E_S1F_EUlS1E_E_NS1_11comp_targetILNS1_3genE8ELNS1_11target_archE1030ELNS1_3gpuE2ELNS1_3repE0EEENS1_30default_config_static_selectorELNS0_4arch9wavefront6targetE0EEEvT1_ ; -- Begin function _ZN7rocprim17ROCPRIM_400000_NS6detail17trampoline_kernelINS0_14default_configENS1_25partition_config_selectorILNS1_17partition_subalgoE6EN6thrust23THRUST_200600_302600_NS5tupleIttNS7_9null_typeES9_S9_S9_S9_S9_S9_S9_EENS0_10empty_typeEbEEZZNS1_14partition_implILS5_6ELb0ES3_mNS7_12zip_iteratorINS8_INS7_6detail15normal_iteratorINS7_10device_ptrItEEEESJ_S9_S9_S9_S9_S9_S9_S9_S9_EEEEPSB_SM_NS0_5tupleIJNSE_INS8_ISJ_NS7_16discard_iteratorINS7_11use_defaultEEES9_S9_S9_S9_S9_S9_S9_S9_EEEESB_EEENSN_IJSM_SM_EEESB_PlJNSF_9not_fun_tINSF_14equal_to_valueISA_EEEEEEE10hipError_tPvRmT3_T4_T5_T6_T7_T9_mT8_P12ihipStream_tbDpT10_ENKUlT_T0_E_clISt17integral_constantIbLb1EES1J_EEDaS1E_S1F_EUlS1E_E_NS1_11comp_targetILNS1_3genE8ELNS1_11target_archE1030ELNS1_3gpuE2ELNS1_3repE0EEENS1_30default_config_static_selectorELNS0_4arch9wavefront6targetE0EEEvT1_
	.globl	_ZN7rocprim17ROCPRIM_400000_NS6detail17trampoline_kernelINS0_14default_configENS1_25partition_config_selectorILNS1_17partition_subalgoE6EN6thrust23THRUST_200600_302600_NS5tupleIttNS7_9null_typeES9_S9_S9_S9_S9_S9_S9_EENS0_10empty_typeEbEEZZNS1_14partition_implILS5_6ELb0ES3_mNS7_12zip_iteratorINS8_INS7_6detail15normal_iteratorINS7_10device_ptrItEEEESJ_S9_S9_S9_S9_S9_S9_S9_S9_EEEEPSB_SM_NS0_5tupleIJNSE_INS8_ISJ_NS7_16discard_iteratorINS7_11use_defaultEEES9_S9_S9_S9_S9_S9_S9_S9_EEEESB_EEENSN_IJSM_SM_EEESB_PlJNSF_9not_fun_tINSF_14equal_to_valueISA_EEEEEEE10hipError_tPvRmT3_T4_T5_T6_T7_T9_mT8_P12ihipStream_tbDpT10_ENKUlT_T0_E_clISt17integral_constantIbLb1EES1J_EEDaS1E_S1F_EUlS1E_E_NS1_11comp_targetILNS1_3genE8ELNS1_11target_archE1030ELNS1_3gpuE2ELNS1_3repE0EEENS1_30default_config_static_selectorELNS0_4arch9wavefront6targetE0EEEvT1_
	.p2align	8
	.type	_ZN7rocprim17ROCPRIM_400000_NS6detail17trampoline_kernelINS0_14default_configENS1_25partition_config_selectorILNS1_17partition_subalgoE6EN6thrust23THRUST_200600_302600_NS5tupleIttNS7_9null_typeES9_S9_S9_S9_S9_S9_S9_EENS0_10empty_typeEbEEZZNS1_14partition_implILS5_6ELb0ES3_mNS7_12zip_iteratorINS8_INS7_6detail15normal_iteratorINS7_10device_ptrItEEEESJ_S9_S9_S9_S9_S9_S9_S9_S9_EEEEPSB_SM_NS0_5tupleIJNSE_INS8_ISJ_NS7_16discard_iteratorINS7_11use_defaultEEES9_S9_S9_S9_S9_S9_S9_S9_EEEESB_EEENSN_IJSM_SM_EEESB_PlJNSF_9not_fun_tINSF_14equal_to_valueISA_EEEEEEE10hipError_tPvRmT3_T4_T5_T6_T7_T9_mT8_P12ihipStream_tbDpT10_ENKUlT_T0_E_clISt17integral_constantIbLb1EES1J_EEDaS1E_S1F_EUlS1E_E_NS1_11comp_targetILNS1_3genE8ELNS1_11target_archE1030ELNS1_3gpuE2ELNS1_3repE0EEENS1_30default_config_static_selectorELNS0_4arch9wavefront6targetE0EEEvT1_,@function
_ZN7rocprim17ROCPRIM_400000_NS6detail17trampoline_kernelINS0_14default_configENS1_25partition_config_selectorILNS1_17partition_subalgoE6EN6thrust23THRUST_200600_302600_NS5tupleIttNS7_9null_typeES9_S9_S9_S9_S9_S9_S9_EENS0_10empty_typeEbEEZZNS1_14partition_implILS5_6ELb0ES3_mNS7_12zip_iteratorINS8_INS7_6detail15normal_iteratorINS7_10device_ptrItEEEESJ_S9_S9_S9_S9_S9_S9_S9_S9_EEEEPSB_SM_NS0_5tupleIJNSE_INS8_ISJ_NS7_16discard_iteratorINS7_11use_defaultEEES9_S9_S9_S9_S9_S9_S9_S9_EEEESB_EEENSN_IJSM_SM_EEESB_PlJNSF_9not_fun_tINSF_14equal_to_valueISA_EEEEEEE10hipError_tPvRmT3_T4_T5_T6_T7_T9_mT8_P12ihipStream_tbDpT10_ENKUlT_T0_E_clISt17integral_constantIbLb1EES1J_EEDaS1E_S1F_EUlS1E_E_NS1_11comp_targetILNS1_3genE8ELNS1_11target_archE1030ELNS1_3gpuE2ELNS1_3repE0EEENS1_30default_config_static_selectorELNS0_4arch9wavefront6targetE0EEEvT1_: ; @_ZN7rocprim17ROCPRIM_400000_NS6detail17trampoline_kernelINS0_14default_configENS1_25partition_config_selectorILNS1_17partition_subalgoE6EN6thrust23THRUST_200600_302600_NS5tupleIttNS7_9null_typeES9_S9_S9_S9_S9_S9_S9_EENS0_10empty_typeEbEEZZNS1_14partition_implILS5_6ELb0ES3_mNS7_12zip_iteratorINS8_INS7_6detail15normal_iteratorINS7_10device_ptrItEEEESJ_S9_S9_S9_S9_S9_S9_S9_S9_EEEEPSB_SM_NS0_5tupleIJNSE_INS8_ISJ_NS7_16discard_iteratorINS7_11use_defaultEEES9_S9_S9_S9_S9_S9_S9_S9_EEEESB_EEENSN_IJSM_SM_EEESB_PlJNSF_9not_fun_tINSF_14equal_to_valueISA_EEEEEEE10hipError_tPvRmT3_T4_T5_T6_T7_T9_mT8_P12ihipStream_tbDpT10_ENKUlT_T0_E_clISt17integral_constantIbLb1EES1J_EEDaS1E_S1F_EUlS1E_E_NS1_11comp_targetILNS1_3genE8ELNS1_11target_archE1030ELNS1_3gpuE2ELNS1_3repE0EEENS1_30default_config_static_selectorELNS0_4arch9wavefront6targetE0EEEvT1_
; %bb.0:
	.section	.rodata,"a",@progbits
	.p2align	6, 0x0
	.amdhsa_kernel _ZN7rocprim17ROCPRIM_400000_NS6detail17trampoline_kernelINS0_14default_configENS1_25partition_config_selectorILNS1_17partition_subalgoE6EN6thrust23THRUST_200600_302600_NS5tupleIttNS7_9null_typeES9_S9_S9_S9_S9_S9_S9_EENS0_10empty_typeEbEEZZNS1_14partition_implILS5_6ELb0ES3_mNS7_12zip_iteratorINS8_INS7_6detail15normal_iteratorINS7_10device_ptrItEEEESJ_S9_S9_S9_S9_S9_S9_S9_S9_EEEEPSB_SM_NS0_5tupleIJNSE_INS8_ISJ_NS7_16discard_iteratorINS7_11use_defaultEEES9_S9_S9_S9_S9_S9_S9_S9_EEEESB_EEENSN_IJSM_SM_EEESB_PlJNSF_9not_fun_tINSF_14equal_to_valueISA_EEEEEEE10hipError_tPvRmT3_T4_T5_T6_T7_T9_mT8_P12ihipStream_tbDpT10_ENKUlT_T0_E_clISt17integral_constantIbLb1EES1J_EEDaS1E_S1F_EUlS1E_E_NS1_11comp_targetILNS1_3genE8ELNS1_11target_archE1030ELNS1_3gpuE2ELNS1_3repE0EEENS1_30default_config_static_selectorELNS0_4arch9wavefront6targetE0EEEvT1_
		.amdhsa_group_segment_fixed_size 0
		.amdhsa_private_segment_fixed_size 0
		.amdhsa_kernarg_size 152
		.amdhsa_user_sgpr_count 2
		.amdhsa_user_sgpr_dispatch_ptr 0
		.amdhsa_user_sgpr_queue_ptr 0
		.amdhsa_user_sgpr_kernarg_segment_ptr 1
		.amdhsa_user_sgpr_dispatch_id 0
		.amdhsa_user_sgpr_private_segment_size 0
		.amdhsa_wavefront_size32 1
		.amdhsa_uses_dynamic_stack 0
		.amdhsa_enable_private_segment 0
		.amdhsa_system_sgpr_workgroup_id_x 1
		.amdhsa_system_sgpr_workgroup_id_y 0
		.amdhsa_system_sgpr_workgroup_id_z 0
		.amdhsa_system_sgpr_workgroup_info 0
		.amdhsa_system_vgpr_workitem_id 0
		.amdhsa_next_free_vgpr 1
		.amdhsa_next_free_sgpr 1
		.amdhsa_reserve_vcc 0
		.amdhsa_float_round_mode_32 0
		.amdhsa_float_round_mode_16_64 0
		.amdhsa_float_denorm_mode_32 3
		.amdhsa_float_denorm_mode_16_64 3
		.amdhsa_fp16_overflow 0
		.amdhsa_workgroup_processor_mode 1
		.amdhsa_memory_ordered 1
		.amdhsa_forward_progress 1
		.amdhsa_inst_pref_size 0
		.amdhsa_round_robin_scheduling 0
		.amdhsa_exception_fp_ieee_invalid_op 0
		.amdhsa_exception_fp_denorm_src 0
		.amdhsa_exception_fp_ieee_div_zero 0
		.amdhsa_exception_fp_ieee_overflow 0
		.amdhsa_exception_fp_ieee_underflow 0
		.amdhsa_exception_fp_ieee_inexact 0
		.amdhsa_exception_int_div_zero 0
	.end_amdhsa_kernel
	.section	.text._ZN7rocprim17ROCPRIM_400000_NS6detail17trampoline_kernelINS0_14default_configENS1_25partition_config_selectorILNS1_17partition_subalgoE6EN6thrust23THRUST_200600_302600_NS5tupleIttNS7_9null_typeES9_S9_S9_S9_S9_S9_S9_EENS0_10empty_typeEbEEZZNS1_14partition_implILS5_6ELb0ES3_mNS7_12zip_iteratorINS8_INS7_6detail15normal_iteratorINS7_10device_ptrItEEEESJ_S9_S9_S9_S9_S9_S9_S9_S9_EEEEPSB_SM_NS0_5tupleIJNSE_INS8_ISJ_NS7_16discard_iteratorINS7_11use_defaultEEES9_S9_S9_S9_S9_S9_S9_S9_EEEESB_EEENSN_IJSM_SM_EEESB_PlJNSF_9not_fun_tINSF_14equal_to_valueISA_EEEEEEE10hipError_tPvRmT3_T4_T5_T6_T7_T9_mT8_P12ihipStream_tbDpT10_ENKUlT_T0_E_clISt17integral_constantIbLb1EES1J_EEDaS1E_S1F_EUlS1E_E_NS1_11comp_targetILNS1_3genE8ELNS1_11target_archE1030ELNS1_3gpuE2ELNS1_3repE0EEENS1_30default_config_static_selectorELNS0_4arch9wavefront6targetE0EEEvT1_,"axG",@progbits,_ZN7rocprim17ROCPRIM_400000_NS6detail17trampoline_kernelINS0_14default_configENS1_25partition_config_selectorILNS1_17partition_subalgoE6EN6thrust23THRUST_200600_302600_NS5tupleIttNS7_9null_typeES9_S9_S9_S9_S9_S9_S9_EENS0_10empty_typeEbEEZZNS1_14partition_implILS5_6ELb0ES3_mNS7_12zip_iteratorINS8_INS7_6detail15normal_iteratorINS7_10device_ptrItEEEESJ_S9_S9_S9_S9_S9_S9_S9_S9_EEEEPSB_SM_NS0_5tupleIJNSE_INS8_ISJ_NS7_16discard_iteratorINS7_11use_defaultEEES9_S9_S9_S9_S9_S9_S9_S9_EEEESB_EEENSN_IJSM_SM_EEESB_PlJNSF_9not_fun_tINSF_14equal_to_valueISA_EEEEEEE10hipError_tPvRmT3_T4_T5_T6_T7_T9_mT8_P12ihipStream_tbDpT10_ENKUlT_T0_E_clISt17integral_constantIbLb1EES1J_EEDaS1E_S1F_EUlS1E_E_NS1_11comp_targetILNS1_3genE8ELNS1_11target_archE1030ELNS1_3gpuE2ELNS1_3repE0EEENS1_30default_config_static_selectorELNS0_4arch9wavefront6targetE0EEEvT1_,comdat
.Lfunc_end1964:
	.size	_ZN7rocprim17ROCPRIM_400000_NS6detail17trampoline_kernelINS0_14default_configENS1_25partition_config_selectorILNS1_17partition_subalgoE6EN6thrust23THRUST_200600_302600_NS5tupleIttNS7_9null_typeES9_S9_S9_S9_S9_S9_S9_EENS0_10empty_typeEbEEZZNS1_14partition_implILS5_6ELb0ES3_mNS7_12zip_iteratorINS8_INS7_6detail15normal_iteratorINS7_10device_ptrItEEEESJ_S9_S9_S9_S9_S9_S9_S9_S9_EEEEPSB_SM_NS0_5tupleIJNSE_INS8_ISJ_NS7_16discard_iteratorINS7_11use_defaultEEES9_S9_S9_S9_S9_S9_S9_S9_EEEESB_EEENSN_IJSM_SM_EEESB_PlJNSF_9not_fun_tINSF_14equal_to_valueISA_EEEEEEE10hipError_tPvRmT3_T4_T5_T6_T7_T9_mT8_P12ihipStream_tbDpT10_ENKUlT_T0_E_clISt17integral_constantIbLb1EES1J_EEDaS1E_S1F_EUlS1E_E_NS1_11comp_targetILNS1_3genE8ELNS1_11target_archE1030ELNS1_3gpuE2ELNS1_3repE0EEENS1_30default_config_static_selectorELNS0_4arch9wavefront6targetE0EEEvT1_, .Lfunc_end1964-_ZN7rocprim17ROCPRIM_400000_NS6detail17trampoline_kernelINS0_14default_configENS1_25partition_config_selectorILNS1_17partition_subalgoE6EN6thrust23THRUST_200600_302600_NS5tupleIttNS7_9null_typeES9_S9_S9_S9_S9_S9_S9_EENS0_10empty_typeEbEEZZNS1_14partition_implILS5_6ELb0ES3_mNS7_12zip_iteratorINS8_INS7_6detail15normal_iteratorINS7_10device_ptrItEEEESJ_S9_S9_S9_S9_S9_S9_S9_S9_EEEEPSB_SM_NS0_5tupleIJNSE_INS8_ISJ_NS7_16discard_iteratorINS7_11use_defaultEEES9_S9_S9_S9_S9_S9_S9_S9_EEEESB_EEENSN_IJSM_SM_EEESB_PlJNSF_9not_fun_tINSF_14equal_to_valueISA_EEEEEEE10hipError_tPvRmT3_T4_T5_T6_T7_T9_mT8_P12ihipStream_tbDpT10_ENKUlT_T0_E_clISt17integral_constantIbLb1EES1J_EEDaS1E_S1F_EUlS1E_E_NS1_11comp_targetILNS1_3genE8ELNS1_11target_archE1030ELNS1_3gpuE2ELNS1_3repE0EEENS1_30default_config_static_selectorELNS0_4arch9wavefront6targetE0EEEvT1_
                                        ; -- End function
	.set _ZN7rocprim17ROCPRIM_400000_NS6detail17trampoline_kernelINS0_14default_configENS1_25partition_config_selectorILNS1_17partition_subalgoE6EN6thrust23THRUST_200600_302600_NS5tupleIttNS7_9null_typeES9_S9_S9_S9_S9_S9_S9_EENS0_10empty_typeEbEEZZNS1_14partition_implILS5_6ELb0ES3_mNS7_12zip_iteratorINS8_INS7_6detail15normal_iteratorINS7_10device_ptrItEEEESJ_S9_S9_S9_S9_S9_S9_S9_S9_EEEEPSB_SM_NS0_5tupleIJNSE_INS8_ISJ_NS7_16discard_iteratorINS7_11use_defaultEEES9_S9_S9_S9_S9_S9_S9_S9_EEEESB_EEENSN_IJSM_SM_EEESB_PlJNSF_9not_fun_tINSF_14equal_to_valueISA_EEEEEEE10hipError_tPvRmT3_T4_T5_T6_T7_T9_mT8_P12ihipStream_tbDpT10_ENKUlT_T0_E_clISt17integral_constantIbLb1EES1J_EEDaS1E_S1F_EUlS1E_E_NS1_11comp_targetILNS1_3genE8ELNS1_11target_archE1030ELNS1_3gpuE2ELNS1_3repE0EEENS1_30default_config_static_selectorELNS0_4arch9wavefront6targetE0EEEvT1_.num_vgpr, 0
	.set _ZN7rocprim17ROCPRIM_400000_NS6detail17trampoline_kernelINS0_14default_configENS1_25partition_config_selectorILNS1_17partition_subalgoE6EN6thrust23THRUST_200600_302600_NS5tupleIttNS7_9null_typeES9_S9_S9_S9_S9_S9_S9_EENS0_10empty_typeEbEEZZNS1_14partition_implILS5_6ELb0ES3_mNS7_12zip_iteratorINS8_INS7_6detail15normal_iteratorINS7_10device_ptrItEEEESJ_S9_S9_S9_S9_S9_S9_S9_S9_EEEEPSB_SM_NS0_5tupleIJNSE_INS8_ISJ_NS7_16discard_iteratorINS7_11use_defaultEEES9_S9_S9_S9_S9_S9_S9_S9_EEEESB_EEENSN_IJSM_SM_EEESB_PlJNSF_9not_fun_tINSF_14equal_to_valueISA_EEEEEEE10hipError_tPvRmT3_T4_T5_T6_T7_T9_mT8_P12ihipStream_tbDpT10_ENKUlT_T0_E_clISt17integral_constantIbLb1EES1J_EEDaS1E_S1F_EUlS1E_E_NS1_11comp_targetILNS1_3genE8ELNS1_11target_archE1030ELNS1_3gpuE2ELNS1_3repE0EEENS1_30default_config_static_selectorELNS0_4arch9wavefront6targetE0EEEvT1_.num_agpr, 0
	.set _ZN7rocprim17ROCPRIM_400000_NS6detail17trampoline_kernelINS0_14default_configENS1_25partition_config_selectorILNS1_17partition_subalgoE6EN6thrust23THRUST_200600_302600_NS5tupleIttNS7_9null_typeES9_S9_S9_S9_S9_S9_S9_EENS0_10empty_typeEbEEZZNS1_14partition_implILS5_6ELb0ES3_mNS7_12zip_iteratorINS8_INS7_6detail15normal_iteratorINS7_10device_ptrItEEEESJ_S9_S9_S9_S9_S9_S9_S9_S9_EEEEPSB_SM_NS0_5tupleIJNSE_INS8_ISJ_NS7_16discard_iteratorINS7_11use_defaultEEES9_S9_S9_S9_S9_S9_S9_S9_EEEESB_EEENSN_IJSM_SM_EEESB_PlJNSF_9not_fun_tINSF_14equal_to_valueISA_EEEEEEE10hipError_tPvRmT3_T4_T5_T6_T7_T9_mT8_P12ihipStream_tbDpT10_ENKUlT_T0_E_clISt17integral_constantIbLb1EES1J_EEDaS1E_S1F_EUlS1E_E_NS1_11comp_targetILNS1_3genE8ELNS1_11target_archE1030ELNS1_3gpuE2ELNS1_3repE0EEENS1_30default_config_static_selectorELNS0_4arch9wavefront6targetE0EEEvT1_.numbered_sgpr, 0
	.set _ZN7rocprim17ROCPRIM_400000_NS6detail17trampoline_kernelINS0_14default_configENS1_25partition_config_selectorILNS1_17partition_subalgoE6EN6thrust23THRUST_200600_302600_NS5tupleIttNS7_9null_typeES9_S9_S9_S9_S9_S9_S9_EENS0_10empty_typeEbEEZZNS1_14partition_implILS5_6ELb0ES3_mNS7_12zip_iteratorINS8_INS7_6detail15normal_iteratorINS7_10device_ptrItEEEESJ_S9_S9_S9_S9_S9_S9_S9_S9_EEEEPSB_SM_NS0_5tupleIJNSE_INS8_ISJ_NS7_16discard_iteratorINS7_11use_defaultEEES9_S9_S9_S9_S9_S9_S9_S9_EEEESB_EEENSN_IJSM_SM_EEESB_PlJNSF_9not_fun_tINSF_14equal_to_valueISA_EEEEEEE10hipError_tPvRmT3_T4_T5_T6_T7_T9_mT8_P12ihipStream_tbDpT10_ENKUlT_T0_E_clISt17integral_constantIbLb1EES1J_EEDaS1E_S1F_EUlS1E_E_NS1_11comp_targetILNS1_3genE8ELNS1_11target_archE1030ELNS1_3gpuE2ELNS1_3repE0EEENS1_30default_config_static_selectorELNS0_4arch9wavefront6targetE0EEEvT1_.num_named_barrier, 0
	.set _ZN7rocprim17ROCPRIM_400000_NS6detail17trampoline_kernelINS0_14default_configENS1_25partition_config_selectorILNS1_17partition_subalgoE6EN6thrust23THRUST_200600_302600_NS5tupleIttNS7_9null_typeES9_S9_S9_S9_S9_S9_S9_EENS0_10empty_typeEbEEZZNS1_14partition_implILS5_6ELb0ES3_mNS7_12zip_iteratorINS8_INS7_6detail15normal_iteratorINS7_10device_ptrItEEEESJ_S9_S9_S9_S9_S9_S9_S9_S9_EEEEPSB_SM_NS0_5tupleIJNSE_INS8_ISJ_NS7_16discard_iteratorINS7_11use_defaultEEES9_S9_S9_S9_S9_S9_S9_S9_EEEESB_EEENSN_IJSM_SM_EEESB_PlJNSF_9not_fun_tINSF_14equal_to_valueISA_EEEEEEE10hipError_tPvRmT3_T4_T5_T6_T7_T9_mT8_P12ihipStream_tbDpT10_ENKUlT_T0_E_clISt17integral_constantIbLb1EES1J_EEDaS1E_S1F_EUlS1E_E_NS1_11comp_targetILNS1_3genE8ELNS1_11target_archE1030ELNS1_3gpuE2ELNS1_3repE0EEENS1_30default_config_static_selectorELNS0_4arch9wavefront6targetE0EEEvT1_.private_seg_size, 0
	.set _ZN7rocprim17ROCPRIM_400000_NS6detail17trampoline_kernelINS0_14default_configENS1_25partition_config_selectorILNS1_17partition_subalgoE6EN6thrust23THRUST_200600_302600_NS5tupleIttNS7_9null_typeES9_S9_S9_S9_S9_S9_S9_EENS0_10empty_typeEbEEZZNS1_14partition_implILS5_6ELb0ES3_mNS7_12zip_iteratorINS8_INS7_6detail15normal_iteratorINS7_10device_ptrItEEEESJ_S9_S9_S9_S9_S9_S9_S9_S9_EEEEPSB_SM_NS0_5tupleIJNSE_INS8_ISJ_NS7_16discard_iteratorINS7_11use_defaultEEES9_S9_S9_S9_S9_S9_S9_S9_EEEESB_EEENSN_IJSM_SM_EEESB_PlJNSF_9not_fun_tINSF_14equal_to_valueISA_EEEEEEE10hipError_tPvRmT3_T4_T5_T6_T7_T9_mT8_P12ihipStream_tbDpT10_ENKUlT_T0_E_clISt17integral_constantIbLb1EES1J_EEDaS1E_S1F_EUlS1E_E_NS1_11comp_targetILNS1_3genE8ELNS1_11target_archE1030ELNS1_3gpuE2ELNS1_3repE0EEENS1_30default_config_static_selectorELNS0_4arch9wavefront6targetE0EEEvT1_.uses_vcc, 0
	.set _ZN7rocprim17ROCPRIM_400000_NS6detail17trampoline_kernelINS0_14default_configENS1_25partition_config_selectorILNS1_17partition_subalgoE6EN6thrust23THRUST_200600_302600_NS5tupleIttNS7_9null_typeES9_S9_S9_S9_S9_S9_S9_EENS0_10empty_typeEbEEZZNS1_14partition_implILS5_6ELb0ES3_mNS7_12zip_iteratorINS8_INS7_6detail15normal_iteratorINS7_10device_ptrItEEEESJ_S9_S9_S9_S9_S9_S9_S9_S9_EEEEPSB_SM_NS0_5tupleIJNSE_INS8_ISJ_NS7_16discard_iteratorINS7_11use_defaultEEES9_S9_S9_S9_S9_S9_S9_S9_EEEESB_EEENSN_IJSM_SM_EEESB_PlJNSF_9not_fun_tINSF_14equal_to_valueISA_EEEEEEE10hipError_tPvRmT3_T4_T5_T6_T7_T9_mT8_P12ihipStream_tbDpT10_ENKUlT_T0_E_clISt17integral_constantIbLb1EES1J_EEDaS1E_S1F_EUlS1E_E_NS1_11comp_targetILNS1_3genE8ELNS1_11target_archE1030ELNS1_3gpuE2ELNS1_3repE0EEENS1_30default_config_static_selectorELNS0_4arch9wavefront6targetE0EEEvT1_.uses_flat_scratch, 0
	.set _ZN7rocprim17ROCPRIM_400000_NS6detail17trampoline_kernelINS0_14default_configENS1_25partition_config_selectorILNS1_17partition_subalgoE6EN6thrust23THRUST_200600_302600_NS5tupleIttNS7_9null_typeES9_S9_S9_S9_S9_S9_S9_EENS0_10empty_typeEbEEZZNS1_14partition_implILS5_6ELb0ES3_mNS7_12zip_iteratorINS8_INS7_6detail15normal_iteratorINS7_10device_ptrItEEEESJ_S9_S9_S9_S9_S9_S9_S9_S9_EEEEPSB_SM_NS0_5tupleIJNSE_INS8_ISJ_NS7_16discard_iteratorINS7_11use_defaultEEES9_S9_S9_S9_S9_S9_S9_S9_EEEESB_EEENSN_IJSM_SM_EEESB_PlJNSF_9not_fun_tINSF_14equal_to_valueISA_EEEEEEE10hipError_tPvRmT3_T4_T5_T6_T7_T9_mT8_P12ihipStream_tbDpT10_ENKUlT_T0_E_clISt17integral_constantIbLb1EES1J_EEDaS1E_S1F_EUlS1E_E_NS1_11comp_targetILNS1_3genE8ELNS1_11target_archE1030ELNS1_3gpuE2ELNS1_3repE0EEENS1_30default_config_static_selectorELNS0_4arch9wavefront6targetE0EEEvT1_.has_dyn_sized_stack, 0
	.set _ZN7rocprim17ROCPRIM_400000_NS6detail17trampoline_kernelINS0_14default_configENS1_25partition_config_selectorILNS1_17partition_subalgoE6EN6thrust23THRUST_200600_302600_NS5tupleIttNS7_9null_typeES9_S9_S9_S9_S9_S9_S9_EENS0_10empty_typeEbEEZZNS1_14partition_implILS5_6ELb0ES3_mNS7_12zip_iteratorINS8_INS7_6detail15normal_iteratorINS7_10device_ptrItEEEESJ_S9_S9_S9_S9_S9_S9_S9_S9_EEEEPSB_SM_NS0_5tupleIJNSE_INS8_ISJ_NS7_16discard_iteratorINS7_11use_defaultEEES9_S9_S9_S9_S9_S9_S9_S9_EEEESB_EEENSN_IJSM_SM_EEESB_PlJNSF_9not_fun_tINSF_14equal_to_valueISA_EEEEEEE10hipError_tPvRmT3_T4_T5_T6_T7_T9_mT8_P12ihipStream_tbDpT10_ENKUlT_T0_E_clISt17integral_constantIbLb1EES1J_EEDaS1E_S1F_EUlS1E_E_NS1_11comp_targetILNS1_3genE8ELNS1_11target_archE1030ELNS1_3gpuE2ELNS1_3repE0EEENS1_30default_config_static_selectorELNS0_4arch9wavefront6targetE0EEEvT1_.has_recursion, 0
	.set _ZN7rocprim17ROCPRIM_400000_NS6detail17trampoline_kernelINS0_14default_configENS1_25partition_config_selectorILNS1_17partition_subalgoE6EN6thrust23THRUST_200600_302600_NS5tupleIttNS7_9null_typeES9_S9_S9_S9_S9_S9_S9_EENS0_10empty_typeEbEEZZNS1_14partition_implILS5_6ELb0ES3_mNS7_12zip_iteratorINS8_INS7_6detail15normal_iteratorINS7_10device_ptrItEEEESJ_S9_S9_S9_S9_S9_S9_S9_S9_EEEEPSB_SM_NS0_5tupleIJNSE_INS8_ISJ_NS7_16discard_iteratorINS7_11use_defaultEEES9_S9_S9_S9_S9_S9_S9_S9_EEEESB_EEENSN_IJSM_SM_EEESB_PlJNSF_9not_fun_tINSF_14equal_to_valueISA_EEEEEEE10hipError_tPvRmT3_T4_T5_T6_T7_T9_mT8_P12ihipStream_tbDpT10_ENKUlT_T0_E_clISt17integral_constantIbLb1EES1J_EEDaS1E_S1F_EUlS1E_E_NS1_11comp_targetILNS1_3genE8ELNS1_11target_archE1030ELNS1_3gpuE2ELNS1_3repE0EEENS1_30default_config_static_selectorELNS0_4arch9wavefront6targetE0EEEvT1_.has_indirect_call, 0
	.section	.AMDGPU.csdata,"",@progbits
; Kernel info:
; codeLenInByte = 0
; TotalNumSgprs: 0
; NumVgprs: 0
; ScratchSize: 0
; MemoryBound: 0
; FloatMode: 240
; IeeeMode: 1
; LDSByteSize: 0 bytes/workgroup (compile time only)
; SGPRBlocks: 0
; VGPRBlocks: 0
; NumSGPRsForWavesPerEU: 1
; NumVGPRsForWavesPerEU: 1
; Occupancy: 16
; WaveLimiterHint : 0
; COMPUTE_PGM_RSRC2:SCRATCH_EN: 0
; COMPUTE_PGM_RSRC2:USER_SGPR: 2
; COMPUTE_PGM_RSRC2:TRAP_HANDLER: 0
; COMPUTE_PGM_RSRC2:TGID_X_EN: 1
; COMPUTE_PGM_RSRC2:TGID_Y_EN: 0
; COMPUTE_PGM_RSRC2:TGID_Z_EN: 0
; COMPUTE_PGM_RSRC2:TIDIG_COMP_CNT: 0
	.section	.text._ZN7rocprim17ROCPRIM_400000_NS6detail17trampoline_kernelINS0_14default_configENS1_25partition_config_selectorILNS1_17partition_subalgoE6EN6thrust23THRUST_200600_302600_NS5tupleIttNS7_9null_typeES9_S9_S9_S9_S9_S9_S9_EENS0_10empty_typeEbEEZZNS1_14partition_implILS5_6ELb0ES3_mNS7_12zip_iteratorINS8_INS7_6detail15normal_iteratorINS7_10device_ptrItEEEESJ_S9_S9_S9_S9_S9_S9_S9_S9_EEEEPSB_SM_NS0_5tupleIJNSE_INS8_ISJ_NS7_16discard_iteratorINS7_11use_defaultEEES9_S9_S9_S9_S9_S9_S9_S9_EEEESB_EEENSN_IJSM_SM_EEESB_PlJNSF_9not_fun_tINSF_14equal_to_valueISA_EEEEEEE10hipError_tPvRmT3_T4_T5_T6_T7_T9_mT8_P12ihipStream_tbDpT10_ENKUlT_T0_E_clISt17integral_constantIbLb1EES1I_IbLb0EEEEDaS1E_S1F_EUlS1E_E_NS1_11comp_targetILNS1_3genE0ELNS1_11target_archE4294967295ELNS1_3gpuE0ELNS1_3repE0EEENS1_30default_config_static_selectorELNS0_4arch9wavefront6targetE0EEEvT1_,"axG",@progbits,_ZN7rocprim17ROCPRIM_400000_NS6detail17trampoline_kernelINS0_14default_configENS1_25partition_config_selectorILNS1_17partition_subalgoE6EN6thrust23THRUST_200600_302600_NS5tupleIttNS7_9null_typeES9_S9_S9_S9_S9_S9_S9_EENS0_10empty_typeEbEEZZNS1_14partition_implILS5_6ELb0ES3_mNS7_12zip_iteratorINS8_INS7_6detail15normal_iteratorINS7_10device_ptrItEEEESJ_S9_S9_S9_S9_S9_S9_S9_S9_EEEEPSB_SM_NS0_5tupleIJNSE_INS8_ISJ_NS7_16discard_iteratorINS7_11use_defaultEEES9_S9_S9_S9_S9_S9_S9_S9_EEEESB_EEENSN_IJSM_SM_EEESB_PlJNSF_9not_fun_tINSF_14equal_to_valueISA_EEEEEEE10hipError_tPvRmT3_T4_T5_T6_T7_T9_mT8_P12ihipStream_tbDpT10_ENKUlT_T0_E_clISt17integral_constantIbLb1EES1I_IbLb0EEEEDaS1E_S1F_EUlS1E_E_NS1_11comp_targetILNS1_3genE0ELNS1_11target_archE4294967295ELNS1_3gpuE0ELNS1_3repE0EEENS1_30default_config_static_selectorELNS0_4arch9wavefront6targetE0EEEvT1_,comdat
	.protected	_ZN7rocprim17ROCPRIM_400000_NS6detail17trampoline_kernelINS0_14default_configENS1_25partition_config_selectorILNS1_17partition_subalgoE6EN6thrust23THRUST_200600_302600_NS5tupleIttNS7_9null_typeES9_S9_S9_S9_S9_S9_S9_EENS0_10empty_typeEbEEZZNS1_14partition_implILS5_6ELb0ES3_mNS7_12zip_iteratorINS8_INS7_6detail15normal_iteratorINS7_10device_ptrItEEEESJ_S9_S9_S9_S9_S9_S9_S9_S9_EEEEPSB_SM_NS0_5tupleIJNSE_INS8_ISJ_NS7_16discard_iteratorINS7_11use_defaultEEES9_S9_S9_S9_S9_S9_S9_S9_EEEESB_EEENSN_IJSM_SM_EEESB_PlJNSF_9not_fun_tINSF_14equal_to_valueISA_EEEEEEE10hipError_tPvRmT3_T4_T5_T6_T7_T9_mT8_P12ihipStream_tbDpT10_ENKUlT_T0_E_clISt17integral_constantIbLb1EES1I_IbLb0EEEEDaS1E_S1F_EUlS1E_E_NS1_11comp_targetILNS1_3genE0ELNS1_11target_archE4294967295ELNS1_3gpuE0ELNS1_3repE0EEENS1_30default_config_static_selectorELNS0_4arch9wavefront6targetE0EEEvT1_ ; -- Begin function _ZN7rocprim17ROCPRIM_400000_NS6detail17trampoline_kernelINS0_14default_configENS1_25partition_config_selectorILNS1_17partition_subalgoE6EN6thrust23THRUST_200600_302600_NS5tupleIttNS7_9null_typeES9_S9_S9_S9_S9_S9_S9_EENS0_10empty_typeEbEEZZNS1_14partition_implILS5_6ELb0ES3_mNS7_12zip_iteratorINS8_INS7_6detail15normal_iteratorINS7_10device_ptrItEEEESJ_S9_S9_S9_S9_S9_S9_S9_S9_EEEEPSB_SM_NS0_5tupleIJNSE_INS8_ISJ_NS7_16discard_iteratorINS7_11use_defaultEEES9_S9_S9_S9_S9_S9_S9_S9_EEEESB_EEENSN_IJSM_SM_EEESB_PlJNSF_9not_fun_tINSF_14equal_to_valueISA_EEEEEEE10hipError_tPvRmT3_T4_T5_T6_T7_T9_mT8_P12ihipStream_tbDpT10_ENKUlT_T0_E_clISt17integral_constantIbLb1EES1I_IbLb0EEEEDaS1E_S1F_EUlS1E_E_NS1_11comp_targetILNS1_3genE0ELNS1_11target_archE4294967295ELNS1_3gpuE0ELNS1_3repE0EEENS1_30default_config_static_selectorELNS0_4arch9wavefront6targetE0EEEvT1_
	.globl	_ZN7rocprim17ROCPRIM_400000_NS6detail17trampoline_kernelINS0_14default_configENS1_25partition_config_selectorILNS1_17partition_subalgoE6EN6thrust23THRUST_200600_302600_NS5tupleIttNS7_9null_typeES9_S9_S9_S9_S9_S9_S9_EENS0_10empty_typeEbEEZZNS1_14partition_implILS5_6ELb0ES3_mNS7_12zip_iteratorINS8_INS7_6detail15normal_iteratorINS7_10device_ptrItEEEESJ_S9_S9_S9_S9_S9_S9_S9_S9_EEEEPSB_SM_NS0_5tupleIJNSE_INS8_ISJ_NS7_16discard_iteratorINS7_11use_defaultEEES9_S9_S9_S9_S9_S9_S9_S9_EEEESB_EEENSN_IJSM_SM_EEESB_PlJNSF_9not_fun_tINSF_14equal_to_valueISA_EEEEEEE10hipError_tPvRmT3_T4_T5_T6_T7_T9_mT8_P12ihipStream_tbDpT10_ENKUlT_T0_E_clISt17integral_constantIbLb1EES1I_IbLb0EEEEDaS1E_S1F_EUlS1E_E_NS1_11comp_targetILNS1_3genE0ELNS1_11target_archE4294967295ELNS1_3gpuE0ELNS1_3repE0EEENS1_30default_config_static_selectorELNS0_4arch9wavefront6targetE0EEEvT1_
	.p2align	8
	.type	_ZN7rocprim17ROCPRIM_400000_NS6detail17trampoline_kernelINS0_14default_configENS1_25partition_config_selectorILNS1_17partition_subalgoE6EN6thrust23THRUST_200600_302600_NS5tupleIttNS7_9null_typeES9_S9_S9_S9_S9_S9_S9_EENS0_10empty_typeEbEEZZNS1_14partition_implILS5_6ELb0ES3_mNS7_12zip_iteratorINS8_INS7_6detail15normal_iteratorINS7_10device_ptrItEEEESJ_S9_S9_S9_S9_S9_S9_S9_S9_EEEEPSB_SM_NS0_5tupleIJNSE_INS8_ISJ_NS7_16discard_iteratorINS7_11use_defaultEEES9_S9_S9_S9_S9_S9_S9_S9_EEEESB_EEENSN_IJSM_SM_EEESB_PlJNSF_9not_fun_tINSF_14equal_to_valueISA_EEEEEEE10hipError_tPvRmT3_T4_T5_T6_T7_T9_mT8_P12ihipStream_tbDpT10_ENKUlT_T0_E_clISt17integral_constantIbLb1EES1I_IbLb0EEEEDaS1E_S1F_EUlS1E_E_NS1_11comp_targetILNS1_3genE0ELNS1_11target_archE4294967295ELNS1_3gpuE0ELNS1_3repE0EEENS1_30default_config_static_selectorELNS0_4arch9wavefront6targetE0EEEvT1_,@function
_ZN7rocprim17ROCPRIM_400000_NS6detail17trampoline_kernelINS0_14default_configENS1_25partition_config_selectorILNS1_17partition_subalgoE6EN6thrust23THRUST_200600_302600_NS5tupleIttNS7_9null_typeES9_S9_S9_S9_S9_S9_S9_EENS0_10empty_typeEbEEZZNS1_14partition_implILS5_6ELb0ES3_mNS7_12zip_iteratorINS8_INS7_6detail15normal_iteratorINS7_10device_ptrItEEEESJ_S9_S9_S9_S9_S9_S9_S9_S9_EEEEPSB_SM_NS0_5tupleIJNSE_INS8_ISJ_NS7_16discard_iteratorINS7_11use_defaultEEES9_S9_S9_S9_S9_S9_S9_S9_EEEESB_EEENSN_IJSM_SM_EEESB_PlJNSF_9not_fun_tINSF_14equal_to_valueISA_EEEEEEE10hipError_tPvRmT3_T4_T5_T6_T7_T9_mT8_P12ihipStream_tbDpT10_ENKUlT_T0_E_clISt17integral_constantIbLb1EES1I_IbLb0EEEEDaS1E_S1F_EUlS1E_E_NS1_11comp_targetILNS1_3genE0ELNS1_11target_archE4294967295ELNS1_3gpuE0ELNS1_3repE0EEENS1_30default_config_static_selectorELNS0_4arch9wavefront6targetE0EEEvT1_: ; @_ZN7rocprim17ROCPRIM_400000_NS6detail17trampoline_kernelINS0_14default_configENS1_25partition_config_selectorILNS1_17partition_subalgoE6EN6thrust23THRUST_200600_302600_NS5tupleIttNS7_9null_typeES9_S9_S9_S9_S9_S9_S9_EENS0_10empty_typeEbEEZZNS1_14partition_implILS5_6ELb0ES3_mNS7_12zip_iteratorINS8_INS7_6detail15normal_iteratorINS7_10device_ptrItEEEESJ_S9_S9_S9_S9_S9_S9_S9_S9_EEEEPSB_SM_NS0_5tupleIJNSE_INS8_ISJ_NS7_16discard_iteratorINS7_11use_defaultEEES9_S9_S9_S9_S9_S9_S9_S9_EEEESB_EEENSN_IJSM_SM_EEESB_PlJNSF_9not_fun_tINSF_14equal_to_valueISA_EEEEEEE10hipError_tPvRmT3_T4_T5_T6_T7_T9_mT8_P12ihipStream_tbDpT10_ENKUlT_T0_E_clISt17integral_constantIbLb1EES1I_IbLb0EEEEDaS1E_S1F_EUlS1E_E_NS1_11comp_targetILNS1_3genE0ELNS1_11target_archE4294967295ELNS1_3gpuE0ELNS1_3repE0EEENS1_30default_config_static_selectorELNS0_4arch9wavefront6targetE0EEEvT1_
; %bb.0:
	.section	.rodata,"a",@progbits
	.p2align	6, 0x0
	.amdhsa_kernel _ZN7rocprim17ROCPRIM_400000_NS6detail17trampoline_kernelINS0_14default_configENS1_25partition_config_selectorILNS1_17partition_subalgoE6EN6thrust23THRUST_200600_302600_NS5tupleIttNS7_9null_typeES9_S9_S9_S9_S9_S9_S9_EENS0_10empty_typeEbEEZZNS1_14partition_implILS5_6ELb0ES3_mNS7_12zip_iteratorINS8_INS7_6detail15normal_iteratorINS7_10device_ptrItEEEESJ_S9_S9_S9_S9_S9_S9_S9_S9_EEEEPSB_SM_NS0_5tupleIJNSE_INS8_ISJ_NS7_16discard_iteratorINS7_11use_defaultEEES9_S9_S9_S9_S9_S9_S9_S9_EEEESB_EEENSN_IJSM_SM_EEESB_PlJNSF_9not_fun_tINSF_14equal_to_valueISA_EEEEEEE10hipError_tPvRmT3_T4_T5_T6_T7_T9_mT8_P12ihipStream_tbDpT10_ENKUlT_T0_E_clISt17integral_constantIbLb1EES1I_IbLb0EEEEDaS1E_S1F_EUlS1E_E_NS1_11comp_targetILNS1_3genE0ELNS1_11target_archE4294967295ELNS1_3gpuE0ELNS1_3repE0EEENS1_30default_config_static_selectorELNS0_4arch9wavefront6targetE0EEEvT1_
		.amdhsa_group_segment_fixed_size 0
		.amdhsa_private_segment_fixed_size 0
		.amdhsa_kernarg_size 144
		.amdhsa_user_sgpr_count 2
		.amdhsa_user_sgpr_dispatch_ptr 0
		.amdhsa_user_sgpr_queue_ptr 0
		.amdhsa_user_sgpr_kernarg_segment_ptr 1
		.amdhsa_user_sgpr_dispatch_id 0
		.amdhsa_user_sgpr_private_segment_size 0
		.amdhsa_wavefront_size32 1
		.amdhsa_uses_dynamic_stack 0
		.amdhsa_enable_private_segment 0
		.amdhsa_system_sgpr_workgroup_id_x 1
		.amdhsa_system_sgpr_workgroup_id_y 0
		.amdhsa_system_sgpr_workgroup_id_z 0
		.amdhsa_system_sgpr_workgroup_info 0
		.amdhsa_system_vgpr_workitem_id 0
		.amdhsa_next_free_vgpr 1
		.amdhsa_next_free_sgpr 1
		.amdhsa_reserve_vcc 0
		.amdhsa_float_round_mode_32 0
		.amdhsa_float_round_mode_16_64 0
		.amdhsa_float_denorm_mode_32 3
		.amdhsa_float_denorm_mode_16_64 3
		.amdhsa_fp16_overflow 0
		.amdhsa_workgroup_processor_mode 1
		.amdhsa_memory_ordered 1
		.amdhsa_forward_progress 1
		.amdhsa_inst_pref_size 0
		.amdhsa_round_robin_scheduling 0
		.amdhsa_exception_fp_ieee_invalid_op 0
		.amdhsa_exception_fp_denorm_src 0
		.amdhsa_exception_fp_ieee_div_zero 0
		.amdhsa_exception_fp_ieee_overflow 0
		.amdhsa_exception_fp_ieee_underflow 0
		.amdhsa_exception_fp_ieee_inexact 0
		.amdhsa_exception_int_div_zero 0
	.end_amdhsa_kernel
	.section	.text._ZN7rocprim17ROCPRIM_400000_NS6detail17trampoline_kernelINS0_14default_configENS1_25partition_config_selectorILNS1_17partition_subalgoE6EN6thrust23THRUST_200600_302600_NS5tupleIttNS7_9null_typeES9_S9_S9_S9_S9_S9_S9_EENS0_10empty_typeEbEEZZNS1_14partition_implILS5_6ELb0ES3_mNS7_12zip_iteratorINS8_INS7_6detail15normal_iteratorINS7_10device_ptrItEEEESJ_S9_S9_S9_S9_S9_S9_S9_S9_EEEEPSB_SM_NS0_5tupleIJNSE_INS8_ISJ_NS7_16discard_iteratorINS7_11use_defaultEEES9_S9_S9_S9_S9_S9_S9_S9_EEEESB_EEENSN_IJSM_SM_EEESB_PlJNSF_9not_fun_tINSF_14equal_to_valueISA_EEEEEEE10hipError_tPvRmT3_T4_T5_T6_T7_T9_mT8_P12ihipStream_tbDpT10_ENKUlT_T0_E_clISt17integral_constantIbLb1EES1I_IbLb0EEEEDaS1E_S1F_EUlS1E_E_NS1_11comp_targetILNS1_3genE0ELNS1_11target_archE4294967295ELNS1_3gpuE0ELNS1_3repE0EEENS1_30default_config_static_selectorELNS0_4arch9wavefront6targetE0EEEvT1_,"axG",@progbits,_ZN7rocprim17ROCPRIM_400000_NS6detail17trampoline_kernelINS0_14default_configENS1_25partition_config_selectorILNS1_17partition_subalgoE6EN6thrust23THRUST_200600_302600_NS5tupleIttNS7_9null_typeES9_S9_S9_S9_S9_S9_S9_EENS0_10empty_typeEbEEZZNS1_14partition_implILS5_6ELb0ES3_mNS7_12zip_iteratorINS8_INS7_6detail15normal_iteratorINS7_10device_ptrItEEEESJ_S9_S9_S9_S9_S9_S9_S9_S9_EEEEPSB_SM_NS0_5tupleIJNSE_INS8_ISJ_NS7_16discard_iteratorINS7_11use_defaultEEES9_S9_S9_S9_S9_S9_S9_S9_EEEESB_EEENSN_IJSM_SM_EEESB_PlJNSF_9not_fun_tINSF_14equal_to_valueISA_EEEEEEE10hipError_tPvRmT3_T4_T5_T6_T7_T9_mT8_P12ihipStream_tbDpT10_ENKUlT_T0_E_clISt17integral_constantIbLb1EES1I_IbLb0EEEEDaS1E_S1F_EUlS1E_E_NS1_11comp_targetILNS1_3genE0ELNS1_11target_archE4294967295ELNS1_3gpuE0ELNS1_3repE0EEENS1_30default_config_static_selectorELNS0_4arch9wavefront6targetE0EEEvT1_,comdat
.Lfunc_end1965:
	.size	_ZN7rocprim17ROCPRIM_400000_NS6detail17trampoline_kernelINS0_14default_configENS1_25partition_config_selectorILNS1_17partition_subalgoE6EN6thrust23THRUST_200600_302600_NS5tupleIttNS7_9null_typeES9_S9_S9_S9_S9_S9_S9_EENS0_10empty_typeEbEEZZNS1_14partition_implILS5_6ELb0ES3_mNS7_12zip_iteratorINS8_INS7_6detail15normal_iteratorINS7_10device_ptrItEEEESJ_S9_S9_S9_S9_S9_S9_S9_S9_EEEEPSB_SM_NS0_5tupleIJNSE_INS8_ISJ_NS7_16discard_iteratorINS7_11use_defaultEEES9_S9_S9_S9_S9_S9_S9_S9_EEEESB_EEENSN_IJSM_SM_EEESB_PlJNSF_9not_fun_tINSF_14equal_to_valueISA_EEEEEEE10hipError_tPvRmT3_T4_T5_T6_T7_T9_mT8_P12ihipStream_tbDpT10_ENKUlT_T0_E_clISt17integral_constantIbLb1EES1I_IbLb0EEEEDaS1E_S1F_EUlS1E_E_NS1_11comp_targetILNS1_3genE0ELNS1_11target_archE4294967295ELNS1_3gpuE0ELNS1_3repE0EEENS1_30default_config_static_selectorELNS0_4arch9wavefront6targetE0EEEvT1_, .Lfunc_end1965-_ZN7rocprim17ROCPRIM_400000_NS6detail17trampoline_kernelINS0_14default_configENS1_25partition_config_selectorILNS1_17partition_subalgoE6EN6thrust23THRUST_200600_302600_NS5tupleIttNS7_9null_typeES9_S9_S9_S9_S9_S9_S9_EENS0_10empty_typeEbEEZZNS1_14partition_implILS5_6ELb0ES3_mNS7_12zip_iteratorINS8_INS7_6detail15normal_iteratorINS7_10device_ptrItEEEESJ_S9_S9_S9_S9_S9_S9_S9_S9_EEEEPSB_SM_NS0_5tupleIJNSE_INS8_ISJ_NS7_16discard_iteratorINS7_11use_defaultEEES9_S9_S9_S9_S9_S9_S9_S9_EEEESB_EEENSN_IJSM_SM_EEESB_PlJNSF_9not_fun_tINSF_14equal_to_valueISA_EEEEEEE10hipError_tPvRmT3_T4_T5_T6_T7_T9_mT8_P12ihipStream_tbDpT10_ENKUlT_T0_E_clISt17integral_constantIbLb1EES1I_IbLb0EEEEDaS1E_S1F_EUlS1E_E_NS1_11comp_targetILNS1_3genE0ELNS1_11target_archE4294967295ELNS1_3gpuE0ELNS1_3repE0EEENS1_30default_config_static_selectorELNS0_4arch9wavefront6targetE0EEEvT1_
                                        ; -- End function
	.set _ZN7rocprim17ROCPRIM_400000_NS6detail17trampoline_kernelINS0_14default_configENS1_25partition_config_selectorILNS1_17partition_subalgoE6EN6thrust23THRUST_200600_302600_NS5tupleIttNS7_9null_typeES9_S9_S9_S9_S9_S9_S9_EENS0_10empty_typeEbEEZZNS1_14partition_implILS5_6ELb0ES3_mNS7_12zip_iteratorINS8_INS7_6detail15normal_iteratorINS7_10device_ptrItEEEESJ_S9_S9_S9_S9_S9_S9_S9_S9_EEEEPSB_SM_NS0_5tupleIJNSE_INS8_ISJ_NS7_16discard_iteratorINS7_11use_defaultEEES9_S9_S9_S9_S9_S9_S9_S9_EEEESB_EEENSN_IJSM_SM_EEESB_PlJNSF_9not_fun_tINSF_14equal_to_valueISA_EEEEEEE10hipError_tPvRmT3_T4_T5_T6_T7_T9_mT8_P12ihipStream_tbDpT10_ENKUlT_T0_E_clISt17integral_constantIbLb1EES1I_IbLb0EEEEDaS1E_S1F_EUlS1E_E_NS1_11comp_targetILNS1_3genE0ELNS1_11target_archE4294967295ELNS1_3gpuE0ELNS1_3repE0EEENS1_30default_config_static_selectorELNS0_4arch9wavefront6targetE0EEEvT1_.num_vgpr, 0
	.set _ZN7rocprim17ROCPRIM_400000_NS6detail17trampoline_kernelINS0_14default_configENS1_25partition_config_selectorILNS1_17partition_subalgoE6EN6thrust23THRUST_200600_302600_NS5tupleIttNS7_9null_typeES9_S9_S9_S9_S9_S9_S9_EENS0_10empty_typeEbEEZZNS1_14partition_implILS5_6ELb0ES3_mNS7_12zip_iteratorINS8_INS7_6detail15normal_iteratorINS7_10device_ptrItEEEESJ_S9_S9_S9_S9_S9_S9_S9_S9_EEEEPSB_SM_NS0_5tupleIJNSE_INS8_ISJ_NS7_16discard_iteratorINS7_11use_defaultEEES9_S9_S9_S9_S9_S9_S9_S9_EEEESB_EEENSN_IJSM_SM_EEESB_PlJNSF_9not_fun_tINSF_14equal_to_valueISA_EEEEEEE10hipError_tPvRmT3_T4_T5_T6_T7_T9_mT8_P12ihipStream_tbDpT10_ENKUlT_T0_E_clISt17integral_constantIbLb1EES1I_IbLb0EEEEDaS1E_S1F_EUlS1E_E_NS1_11comp_targetILNS1_3genE0ELNS1_11target_archE4294967295ELNS1_3gpuE0ELNS1_3repE0EEENS1_30default_config_static_selectorELNS0_4arch9wavefront6targetE0EEEvT1_.num_agpr, 0
	.set _ZN7rocprim17ROCPRIM_400000_NS6detail17trampoline_kernelINS0_14default_configENS1_25partition_config_selectorILNS1_17partition_subalgoE6EN6thrust23THRUST_200600_302600_NS5tupleIttNS7_9null_typeES9_S9_S9_S9_S9_S9_S9_EENS0_10empty_typeEbEEZZNS1_14partition_implILS5_6ELb0ES3_mNS7_12zip_iteratorINS8_INS7_6detail15normal_iteratorINS7_10device_ptrItEEEESJ_S9_S9_S9_S9_S9_S9_S9_S9_EEEEPSB_SM_NS0_5tupleIJNSE_INS8_ISJ_NS7_16discard_iteratorINS7_11use_defaultEEES9_S9_S9_S9_S9_S9_S9_S9_EEEESB_EEENSN_IJSM_SM_EEESB_PlJNSF_9not_fun_tINSF_14equal_to_valueISA_EEEEEEE10hipError_tPvRmT3_T4_T5_T6_T7_T9_mT8_P12ihipStream_tbDpT10_ENKUlT_T0_E_clISt17integral_constantIbLb1EES1I_IbLb0EEEEDaS1E_S1F_EUlS1E_E_NS1_11comp_targetILNS1_3genE0ELNS1_11target_archE4294967295ELNS1_3gpuE0ELNS1_3repE0EEENS1_30default_config_static_selectorELNS0_4arch9wavefront6targetE0EEEvT1_.numbered_sgpr, 0
	.set _ZN7rocprim17ROCPRIM_400000_NS6detail17trampoline_kernelINS0_14default_configENS1_25partition_config_selectorILNS1_17partition_subalgoE6EN6thrust23THRUST_200600_302600_NS5tupleIttNS7_9null_typeES9_S9_S9_S9_S9_S9_S9_EENS0_10empty_typeEbEEZZNS1_14partition_implILS5_6ELb0ES3_mNS7_12zip_iteratorINS8_INS7_6detail15normal_iteratorINS7_10device_ptrItEEEESJ_S9_S9_S9_S9_S9_S9_S9_S9_EEEEPSB_SM_NS0_5tupleIJNSE_INS8_ISJ_NS7_16discard_iteratorINS7_11use_defaultEEES9_S9_S9_S9_S9_S9_S9_S9_EEEESB_EEENSN_IJSM_SM_EEESB_PlJNSF_9not_fun_tINSF_14equal_to_valueISA_EEEEEEE10hipError_tPvRmT3_T4_T5_T6_T7_T9_mT8_P12ihipStream_tbDpT10_ENKUlT_T0_E_clISt17integral_constantIbLb1EES1I_IbLb0EEEEDaS1E_S1F_EUlS1E_E_NS1_11comp_targetILNS1_3genE0ELNS1_11target_archE4294967295ELNS1_3gpuE0ELNS1_3repE0EEENS1_30default_config_static_selectorELNS0_4arch9wavefront6targetE0EEEvT1_.num_named_barrier, 0
	.set _ZN7rocprim17ROCPRIM_400000_NS6detail17trampoline_kernelINS0_14default_configENS1_25partition_config_selectorILNS1_17partition_subalgoE6EN6thrust23THRUST_200600_302600_NS5tupleIttNS7_9null_typeES9_S9_S9_S9_S9_S9_S9_EENS0_10empty_typeEbEEZZNS1_14partition_implILS5_6ELb0ES3_mNS7_12zip_iteratorINS8_INS7_6detail15normal_iteratorINS7_10device_ptrItEEEESJ_S9_S9_S9_S9_S9_S9_S9_S9_EEEEPSB_SM_NS0_5tupleIJNSE_INS8_ISJ_NS7_16discard_iteratorINS7_11use_defaultEEES9_S9_S9_S9_S9_S9_S9_S9_EEEESB_EEENSN_IJSM_SM_EEESB_PlJNSF_9not_fun_tINSF_14equal_to_valueISA_EEEEEEE10hipError_tPvRmT3_T4_T5_T6_T7_T9_mT8_P12ihipStream_tbDpT10_ENKUlT_T0_E_clISt17integral_constantIbLb1EES1I_IbLb0EEEEDaS1E_S1F_EUlS1E_E_NS1_11comp_targetILNS1_3genE0ELNS1_11target_archE4294967295ELNS1_3gpuE0ELNS1_3repE0EEENS1_30default_config_static_selectorELNS0_4arch9wavefront6targetE0EEEvT1_.private_seg_size, 0
	.set _ZN7rocprim17ROCPRIM_400000_NS6detail17trampoline_kernelINS0_14default_configENS1_25partition_config_selectorILNS1_17partition_subalgoE6EN6thrust23THRUST_200600_302600_NS5tupleIttNS7_9null_typeES9_S9_S9_S9_S9_S9_S9_EENS0_10empty_typeEbEEZZNS1_14partition_implILS5_6ELb0ES3_mNS7_12zip_iteratorINS8_INS7_6detail15normal_iteratorINS7_10device_ptrItEEEESJ_S9_S9_S9_S9_S9_S9_S9_S9_EEEEPSB_SM_NS0_5tupleIJNSE_INS8_ISJ_NS7_16discard_iteratorINS7_11use_defaultEEES9_S9_S9_S9_S9_S9_S9_S9_EEEESB_EEENSN_IJSM_SM_EEESB_PlJNSF_9not_fun_tINSF_14equal_to_valueISA_EEEEEEE10hipError_tPvRmT3_T4_T5_T6_T7_T9_mT8_P12ihipStream_tbDpT10_ENKUlT_T0_E_clISt17integral_constantIbLb1EES1I_IbLb0EEEEDaS1E_S1F_EUlS1E_E_NS1_11comp_targetILNS1_3genE0ELNS1_11target_archE4294967295ELNS1_3gpuE0ELNS1_3repE0EEENS1_30default_config_static_selectorELNS0_4arch9wavefront6targetE0EEEvT1_.uses_vcc, 0
	.set _ZN7rocprim17ROCPRIM_400000_NS6detail17trampoline_kernelINS0_14default_configENS1_25partition_config_selectorILNS1_17partition_subalgoE6EN6thrust23THRUST_200600_302600_NS5tupleIttNS7_9null_typeES9_S9_S9_S9_S9_S9_S9_EENS0_10empty_typeEbEEZZNS1_14partition_implILS5_6ELb0ES3_mNS7_12zip_iteratorINS8_INS7_6detail15normal_iteratorINS7_10device_ptrItEEEESJ_S9_S9_S9_S9_S9_S9_S9_S9_EEEEPSB_SM_NS0_5tupleIJNSE_INS8_ISJ_NS7_16discard_iteratorINS7_11use_defaultEEES9_S9_S9_S9_S9_S9_S9_S9_EEEESB_EEENSN_IJSM_SM_EEESB_PlJNSF_9not_fun_tINSF_14equal_to_valueISA_EEEEEEE10hipError_tPvRmT3_T4_T5_T6_T7_T9_mT8_P12ihipStream_tbDpT10_ENKUlT_T0_E_clISt17integral_constantIbLb1EES1I_IbLb0EEEEDaS1E_S1F_EUlS1E_E_NS1_11comp_targetILNS1_3genE0ELNS1_11target_archE4294967295ELNS1_3gpuE0ELNS1_3repE0EEENS1_30default_config_static_selectorELNS0_4arch9wavefront6targetE0EEEvT1_.uses_flat_scratch, 0
	.set _ZN7rocprim17ROCPRIM_400000_NS6detail17trampoline_kernelINS0_14default_configENS1_25partition_config_selectorILNS1_17partition_subalgoE6EN6thrust23THRUST_200600_302600_NS5tupleIttNS7_9null_typeES9_S9_S9_S9_S9_S9_S9_EENS0_10empty_typeEbEEZZNS1_14partition_implILS5_6ELb0ES3_mNS7_12zip_iteratorINS8_INS7_6detail15normal_iteratorINS7_10device_ptrItEEEESJ_S9_S9_S9_S9_S9_S9_S9_S9_EEEEPSB_SM_NS0_5tupleIJNSE_INS8_ISJ_NS7_16discard_iteratorINS7_11use_defaultEEES9_S9_S9_S9_S9_S9_S9_S9_EEEESB_EEENSN_IJSM_SM_EEESB_PlJNSF_9not_fun_tINSF_14equal_to_valueISA_EEEEEEE10hipError_tPvRmT3_T4_T5_T6_T7_T9_mT8_P12ihipStream_tbDpT10_ENKUlT_T0_E_clISt17integral_constantIbLb1EES1I_IbLb0EEEEDaS1E_S1F_EUlS1E_E_NS1_11comp_targetILNS1_3genE0ELNS1_11target_archE4294967295ELNS1_3gpuE0ELNS1_3repE0EEENS1_30default_config_static_selectorELNS0_4arch9wavefront6targetE0EEEvT1_.has_dyn_sized_stack, 0
	.set _ZN7rocprim17ROCPRIM_400000_NS6detail17trampoline_kernelINS0_14default_configENS1_25partition_config_selectorILNS1_17partition_subalgoE6EN6thrust23THRUST_200600_302600_NS5tupleIttNS7_9null_typeES9_S9_S9_S9_S9_S9_S9_EENS0_10empty_typeEbEEZZNS1_14partition_implILS5_6ELb0ES3_mNS7_12zip_iteratorINS8_INS7_6detail15normal_iteratorINS7_10device_ptrItEEEESJ_S9_S9_S9_S9_S9_S9_S9_S9_EEEEPSB_SM_NS0_5tupleIJNSE_INS8_ISJ_NS7_16discard_iteratorINS7_11use_defaultEEES9_S9_S9_S9_S9_S9_S9_S9_EEEESB_EEENSN_IJSM_SM_EEESB_PlJNSF_9not_fun_tINSF_14equal_to_valueISA_EEEEEEE10hipError_tPvRmT3_T4_T5_T6_T7_T9_mT8_P12ihipStream_tbDpT10_ENKUlT_T0_E_clISt17integral_constantIbLb1EES1I_IbLb0EEEEDaS1E_S1F_EUlS1E_E_NS1_11comp_targetILNS1_3genE0ELNS1_11target_archE4294967295ELNS1_3gpuE0ELNS1_3repE0EEENS1_30default_config_static_selectorELNS0_4arch9wavefront6targetE0EEEvT1_.has_recursion, 0
	.set _ZN7rocprim17ROCPRIM_400000_NS6detail17trampoline_kernelINS0_14default_configENS1_25partition_config_selectorILNS1_17partition_subalgoE6EN6thrust23THRUST_200600_302600_NS5tupleIttNS7_9null_typeES9_S9_S9_S9_S9_S9_S9_EENS0_10empty_typeEbEEZZNS1_14partition_implILS5_6ELb0ES3_mNS7_12zip_iteratorINS8_INS7_6detail15normal_iteratorINS7_10device_ptrItEEEESJ_S9_S9_S9_S9_S9_S9_S9_S9_EEEEPSB_SM_NS0_5tupleIJNSE_INS8_ISJ_NS7_16discard_iteratorINS7_11use_defaultEEES9_S9_S9_S9_S9_S9_S9_S9_EEEESB_EEENSN_IJSM_SM_EEESB_PlJNSF_9not_fun_tINSF_14equal_to_valueISA_EEEEEEE10hipError_tPvRmT3_T4_T5_T6_T7_T9_mT8_P12ihipStream_tbDpT10_ENKUlT_T0_E_clISt17integral_constantIbLb1EES1I_IbLb0EEEEDaS1E_S1F_EUlS1E_E_NS1_11comp_targetILNS1_3genE0ELNS1_11target_archE4294967295ELNS1_3gpuE0ELNS1_3repE0EEENS1_30default_config_static_selectorELNS0_4arch9wavefront6targetE0EEEvT1_.has_indirect_call, 0
	.section	.AMDGPU.csdata,"",@progbits
; Kernel info:
; codeLenInByte = 0
; TotalNumSgprs: 0
; NumVgprs: 0
; ScratchSize: 0
; MemoryBound: 0
; FloatMode: 240
; IeeeMode: 1
; LDSByteSize: 0 bytes/workgroup (compile time only)
; SGPRBlocks: 0
; VGPRBlocks: 0
; NumSGPRsForWavesPerEU: 1
; NumVGPRsForWavesPerEU: 1
; Occupancy: 16
; WaveLimiterHint : 0
; COMPUTE_PGM_RSRC2:SCRATCH_EN: 0
; COMPUTE_PGM_RSRC2:USER_SGPR: 2
; COMPUTE_PGM_RSRC2:TRAP_HANDLER: 0
; COMPUTE_PGM_RSRC2:TGID_X_EN: 1
; COMPUTE_PGM_RSRC2:TGID_Y_EN: 0
; COMPUTE_PGM_RSRC2:TGID_Z_EN: 0
; COMPUTE_PGM_RSRC2:TIDIG_COMP_CNT: 0
	.section	.text._ZN7rocprim17ROCPRIM_400000_NS6detail17trampoline_kernelINS0_14default_configENS1_25partition_config_selectorILNS1_17partition_subalgoE6EN6thrust23THRUST_200600_302600_NS5tupleIttNS7_9null_typeES9_S9_S9_S9_S9_S9_S9_EENS0_10empty_typeEbEEZZNS1_14partition_implILS5_6ELb0ES3_mNS7_12zip_iteratorINS8_INS7_6detail15normal_iteratorINS7_10device_ptrItEEEESJ_S9_S9_S9_S9_S9_S9_S9_S9_EEEEPSB_SM_NS0_5tupleIJNSE_INS8_ISJ_NS7_16discard_iteratorINS7_11use_defaultEEES9_S9_S9_S9_S9_S9_S9_S9_EEEESB_EEENSN_IJSM_SM_EEESB_PlJNSF_9not_fun_tINSF_14equal_to_valueISA_EEEEEEE10hipError_tPvRmT3_T4_T5_T6_T7_T9_mT8_P12ihipStream_tbDpT10_ENKUlT_T0_E_clISt17integral_constantIbLb1EES1I_IbLb0EEEEDaS1E_S1F_EUlS1E_E_NS1_11comp_targetILNS1_3genE5ELNS1_11target_archE942ELNS1_3gpuE9ELNS1_3repE0EEENS1_30default_config_static_selectorELNS0_4arch9wavefront6targetE0EEEvT1_,"axG",@progbits,_ZN7rocprim17ROCPRIM_400000_NS6detail17trampoline_kernelINS0_14default_configENS1_25partition_config_selectorILNS1_17partition_subalgoE6EN6thrust23THRUST_200600_302600_NS5tupleIttNS7_9null_typeES9_S9_S9_S9_S9_S9_S9_EENS0_10empty_typeEbEEZZNS1_14partition_implILS5_6ELb0ES3_mNS7_12zip_iteratorINS8_INS7_6detail15normal_iteratorINS7_10device_ptrItEEEESJ_S9_S9_S9_S9_S9_S9_S9_S9_EEEEPSB_SM_NS0_5tupleIJNSE_INS8_ISJ_NS7_16discard_iteratorINS7_11use_defaultEEES9_S9_S9_S9_S9_S9_S9_S9_EEEESB_EEENSN_IJSM_SM_EEESB_PlJNSF_9not_fun_tINSF_14equal_to_valueISA_EEEEEEE10hipError_tPvRmT3_T4_T5_T6_T7_T9_mT8_P12ihipStream_tbDpT10_ENKUlT_T0_E_clISt17integral_constantIbLb1EES1I_IbLb0EEEEDaS1E_S1F_EUlS1E_E_NS1_11comp_targetILNS1_3genE5ELNS1_11target_archE942ELNS1_3gpuE9ELNS1_3repE0EEENS1_30default_config_static_selectorELNS0_4arch9wavefront6targetE0EEEvT1_,comdat
	.protected	_ZN7rocprim17ROCPRIM_400000_NS6detail17trampoline_kernelINS0_14default_configENS1_25partition_config_selectorILNS1_17partition_subalgoE6EN6thrust23THRUST_200600_302600_NS5tupleIttNS7_9null_typeES9_S9_S9_S9_S9_S9_S9_EENS0_10empty_typeEbEEZZNS1_14partition_implILS5_6ELb0ES3_mNS7_12zip_iteratorINS8_INS7_6detail15normal_iteratorINS7_10device_ptrItEEEESJ_S9_S9_S9_S9_S9_S9_S9_S9_EEEEPSB_SM_NS0_5tupleIJNSE_INS8_ISJ_NS7_16discard_iteratorINS7_11use_defaultEEES9_S9_S9_S9_S9_S9_S9_S9_EEEESB_EEENSN_IJSM_SM_EEESB_PlJNSF_9not_fun_tINSF_14equal_to_valueISA_EEEEEEE10hipError_tPvRmT3_T4_T5_T6_T7_T9_mT8_P12ihipStream_tbDpT10_ENKUlT_T0_E_clISt17integral_constantIbLb1EES1I_IbLb0EEEEDaS1E_S1F_EUlS1E_E_NS1_11comp_targetILNS1_3genE5ELNS1_11target_archE942ELNS1_3gpuE9ELNS1_3repE0EEENS1_30default_config_static_selectorELNS0_4arch9wavefront6targetE0EEEvT1_ ; -- Begin function _ZN7rocprim17ROCPRIM_400000_NS6detail17trampoline_kernelINS0_14default_configENS1_25partition_config_selectorILNS1_17partition_subalgoE6EN6thrust23THRUST_200600_302600_NS5tupleIttNS7_9null_typeES9_S9_S9_S9_S9_S9_S9_EENS0_10empty_typeEbEEZZNS1_14partition_implILS5_6ELb0ES3_mNS7_12zip_iteratorINS8_INS7_6detail15normal_iteratorINS7_10device_ptrItEEEESJ_S9_S9_S9_S9_S9_S9_S9_S9_EEEEPSB_SM_NS0_5tupleIJNSE_INS8_ISJ_NS7_16discard_iteratorINS7_11use_defaultEEES9_S9_S9_S9_S9_S9_S9_S9_EEEESB_EEENSN_IJSM_SM_EEESB_PlJNSF_9not_fun_tINSF_14equal_to_valueISA_EEEEEEE10hipError_tPvRmT3_T4_T5_T6_T7_T9_mT8_P12ihipStream_tbDpT10_ENKUlT_T0_E_clISt17integral_constantIbLb1EES1I_IbLb0EEEEDaS1E_S1F_EUlS1E_E_NS1_11comp_targetILNS1_3genE5ELNS1_11target_archE942ELNS1_3gpuE9ELNS1_3repE0EEENS1_30default_config_static_selectorELNS0_4arch9wavefront6targetE0EEEvT1_
	.globl	_ZN7rocprim17ROCPRIM_400000_NS6detail17trampoline_kernelINS0_14default_configENS1_25partition_config_selectorILNS1_17partition_subalgoE6EN6thrust23THRUST_200600_302600_NS5tupleIttNS7_9null_typeES9_S9_S9_S9_S9_S9_S9_EENS0_10empty_typeEbEEZZNS1_14partition_implILS5_6ELb0ES3_mNS7_12zip_iteratorINS8_INS7_6detail15normal_iteratorINS7_10device_ptrItEEEESJ_S9_S9_S9_S9_S9_S9_S9_S9_EEEEPSB_SM_NS0_5tupleIJNSE_INS8_ISJ_NS7_16discard_iteratorINS7_11use_defaultEEES9_S9_S9_S9_S9_S9_S9_S9_EEEESB_EEENSN_IJSM_SM_EEESB_PlJNSF_9not_fun_tINSF_14equal_to_valueISA_EEEEEEE10hipError_tPvRmT3_T4_T5_T6_T7_T9_mT8_P12ihipStream_tbDpT10_ENKUlT_T0_E_clISt17integral_constantIbLb1EES1I_IbLb0EEEEDaS1E_S1F_EUlS1E_E_NS1_11comp_targetILNS1_3genE5ELNS1_11target_archE942ELNS1_3gpuE9ELNS1_3repE0EEENS1_30default_config_static_selectorELNS0_4arch9wavefront6targetE0EEEvT1_
	.p2align	8
	.type	_ZN7rocprim17ROCPRIM_400000_NS6detail17trampoline_kernelINS0_14default_configENS1_25partition_config_selectorILNS1_17partition_subalgoE6EN6thrust23THRUST_200600_302600_NS5tupleIttNS7_9null_typeES9_S9_S9_S9_S9_S9_S9_EENS0_10empty_typeEbEEZZNS1_14partition_implILS5_6ELb0ES3_mNS7_12zip_iteratorINS8_INS7_6detail15normal_iteratorINS7_10device_ptrItEEEESJ_S9_S9_S9_S9_S9_S9_S9_S9_EEEEPSB_SM_NS0_5tupleIJNSE_INS8_ISJ_NS7_16discard_iteratorINS7_11use_defaultEEES9_S9_S9_S9_S9_S9_S9_S9_EEEESB_EEENSN_IJSM_SM_EEESB_PlJNSF_9not_fun_tINSF_14equal_to_valueISA_EEEEEEE10hipError_tPvRmT3_T4_T5_T6_T7_T9_mT8_P12ihipStream_tbDpT10_ENKUlT_T0_E_clISt17integral_constantIbLb1EES1I_IbLb0EEEEDaS1E_S1F_EUlS1E_E_NS1_11comp_targetILNS1_3genE5ELNS1_11target_archE942ELNS1_3gpuE9ELNS1_3repE0EEENS1_30default_config_static_selectorELNS0_4arch9wavefront6targetE0EEEvT1_,@function
_ZN7rocprim17ROCPRIM_400000_NS6detail17trampoline_kernelINS0_14default_configENS1_25partition_config_selectorILNS1_17partition_subalgoE6EN6thrust23THRUST_200600_302600_NS5tupleIttNS7_9null_typeES9_S9_S9_S9_S9_S9_S9_EENS0_10empty_typeEbEEZZNS1_14partition_implILS5_6ELb0ES3_mNS7_12zip_iteratorINS8_INS7_6detail15normal_iteratorINS7_10device_ptrItEEEESJ_S9_S9_S9_S9_S9_S9_S9_S9_EEEEPSB_SM_NS0_5tupleIJNSE_INS8_ISJ_NS7_16discard_iteratorINS7_11use_defaultEEES9_S9_S9_S9_S9_S9_S9_S9_EEEESB_EEENSN_IJSM_SM_EEESB_PlJNSF_9not_fun_tINSF_14equal_to_valueISA_EEEEEEE10hipError_tPvRmT3_T4_T5_T6_T7_T9_mT8_P12ihipStream_tbDpT10_ENKUlT_T0_E_clISt17integral_constantIbLb1EES1I_IbLb0EEEEDaS1E_S1F_EUlS1E_E_NS1_11comp_targetILNS1_3genE5ELNS1_11target_archE942ELNS1_3gpuE9ELNS1_3repE0EEENS1_30default_config_static_selectorELNS0_4arch9wavefront6targetE0EEEvT1_: ; @_ZN7rocprim17ROCPRIM_400000_NS6detail17trampoline_kernelINS0_14default_configENS1_25partition_config_selectorILNS1_17partition_subalgoE6EN6thrust23THRUST_200600_302600_NS5tupleIttNS7_9null_typeES9_S9_S9_S9_S9_S9_S9_EENS0_10empty_typeEbEEZZNS1_14partition_implILS5_6ELb0ES3_mNS7_12zip_iteratorINS8_INS7_6detail15normal_iteratorINS7_10device_ptrItEEEESJ_S9_S9_S9_S9_S9_S9_S9_S9_EEEEPSB_SM_NS0_5tupleIJNSE_INS8_ISJ_NS7_16discard_iteratorINS7_11use_defaultEEES9_S9_S9_S9_S9_S9_S9_S9_EEEESB_EEENSN_IJSM_SM_EEESB_PlJNSF_9not_fun_tINSF_14equal_to_valueISA_EEEEEEE10hipError_tPvRmT3_T4_T5_T6_T7_T9_mT8_P12ihipStream_tbDpT10_ENKUlT_T0_E_clISt17integral_constantIbLb1EES1I_IbLb0EEEEDaS1E_S1F_EUlS1E_E_NS1_11comp_targetILNS1_3genE5ELNS1_11target_archE942ELNS1_3gpuE9ELNS1_3repE0EEENS1_30default_config_static_selectorELNS0_4arch9wavefront6targetE0EEEvT1_
; %bb.0:
	.section	.rodata,"a",@progbits
	.p2align	6, 0x0
	.amdhsa_kernel _ZN7rocprim17ROCPRIM_400000_NS6detail17trampoline_kernelINS0_14default_configENS1_25partition_config_selectorILNS1_17partition_subalgoE6EN6thrust23THRUST_200600_302600_NS5tupleIttNS7_9null_typeES9_S9_S9_S9_S9_S9_S9_EENS0_10empty_typeEbEEZZNS1_14partition_implILS5_6ELb0ES3_mNS7_12zip_iteratorINS8_INS7_6detail15normal_iteratorINS7_10device_ptrItEEEESJ_S9_S9_S9_S9_S9_S9_S9_S9_EEEEPSB_SM_NS0_5tupleIJNSE_INS8_ISJ_NS7_16discard_iteratorINS7_11use_defaultEEES9_S9_S9_S9_S9_S9_S9_S9_EEEESB_EEENSN_IJSM_SM_EEESB_PlJNSF_9not_fun_tINSF_14equal_to_valueISA_EEEEEEE10hipError_tPvRmT3_T4_T5_T6_T7_T9_mT8_P12ihipStream_tbDpT10_ENKUlT_T0_E_clISt17integral_constantIbLb1EES1I_IbLb0EEEEDaS1E_S1F_EUlS1E_E_NS1_11comp_targetILNS1_3genE5ELNS1_11target_archE942ELNS1_3gpuE9ELNS1_3repE0EEENS1_30default_config_static_selectorELNS0_4arch9wavefront6targetE0EEEvT1_
		.amdhsa_group_segment_fixed_size 0
		.amdhsa_private_segment_fixed_size 0
		.amdhsa_kernarg_size 144
		.amdhsa_user_sgpr_count 2
		.amdhsa_user_sgpr_dispatch_ptr 0
		.amdhsa_user_sgpr_queue_ptr 0
		.amdhsa_user_sgpr_kernarg_segment_ptr 1
		.amdhsa_user_sgpr_dispatch_id 0
		.amdhsa_user_sgpr_private_segment_size 0
		.amdhsa_wavefront_size32 1
		.amdhsa_uses_dynamic_stack 0
		.amdhsa_enable_private_segment 0
		.amdhsa_system_sgpr_workgroup_id_x 1
		.amdhsa_system_sgpr_workgroup_id_y 0
		.amdhsa_system_sgpr_workgroup_id_z 0
		.amdhsa_system_sgpr_workgroup_info 0
		.amdhsa_system_vgpr_workitem_id 0
		.amdhsa_next_free_vgpr 1
		.amdhsa_next_free_sgpr 1
		.amdhsa_reserve_vcc 0
		.amdhsa_float_round_mode_32 0
		.amdhsa_float_round_mode_16_64 0
		.amdhsa_float_denorm_mode_32 3
		.amdhsa_float_denorm_mode_16_64 3
		.amdhsa_fp16_overflow 0
		.amdhsa_workgroup_processor_mode 1
		.amdhsa_memory_ordered 1
		.amdhsa_forward_progress 1
		.amdhsa_inst_pref_size 0
		.amdhsa_round_robin_scheduling 0
		.amdhsa_exception_fp_ieee_invalid_op 0
		.amdhsa_exception_fp_denorm_src 0
		.amdhsa_exception_fp_ieee_div_zero 0
		.amdhsa_exception_fp_ieee_overflow 0
		.amdhsa_exception_fp_ieee_underflow 0
		.amdhsa_exception_fp_ieee_inexact 0
		.amdhsa_exception_int_div_zero 0
	.end_amdhsa_kernel
	.section	.text._ZN7rocprim17ROCPRIM_400000_NS6detail17trampoline_kernelINS0_14default_configENS1_25partition_config_selectorILNS1_17partition_subalgoE6EN6thrust23THRUST_200600_302600_NS5tupleIttNS7_9null_typeES9_S9_S9_S9_S9_S9_S9_EENS0_10empty_typeEbEEZZNS1_14partition_implILS5_6ELb0ES3_mNS7_12zip_iteratorINS8_INS7_6detail15normal_iteratorINS7_10device_ptrItEEEESJ_S9_S9_S9_S9_S9_S9_S9_S9_EEEEPSB_SM_NS0_5tupleIJNSE_INS8_ISJ_NS7_16discard_iteratorINS7_11use_defaultEEES9_S9_S9_S9_S9_S9_S9_S9_EEEESB_EEENSN_IJSM_SM_EEESB_PlJNSF_9not_fun_tINSF_14equal_to_valueISA_EEEEEEE10hipError_tPvRmT3_T4_T5_T6_T7_T9_mT8_P12ihipStream_tbDpT10_ENKUlT_T0_E_clISt17integral_constantIbLb1EES1I_IbLb0EEEEDaS1E_S1F_EUlS1E_E_NS1_11comp_targetILNS1_3genE5ELNS1_11target_archE942ELNS1_3gpuE9ELNS1_3repE0EEENS1_30default_config_static_selectorELNS0_4arch9wavefront6targetE0EEEvT1_,"axG",@progbits,_ZN7rocprim17ROCPRIM_400000_NS6detail17trampoline_kernelINS0_14default_configENS1_25partition_config_selectorILNS1_17partition_subalgoE6EN6thrust23THRUST_200600_302600_NS5tupleIttNS7_9null_typeES9_S9_S9_S9_S9_S9_S9_EENS0_10empty_typeEbEEZZNS1_14partition_implILS5_6ELb0ES3_mNS7_12zip_iteratorINS8_INS7_6detail15normal_iteratorINS7_10device_ptrItEEEESJ_S9_S9_S9_S9_S9_S9_S9_S9_EEEEPSB_SM_NS0_5tupleIJNSE_INS8_ISJ_NS7_16discard_iteratorINS7_11use_defaultEEES9_S9_S9_S9_S9_S9_S9_S9_EEEESB_EEENSN_IJSM_SM_EEESB_PlJNSF_9not_fun_tINSF_14equal_to_valueISA_EEEEEEE10hipError_tPvRmT3_T4_T5_T6_T7_T9_mT8_P12ihipStream_tbDpT10_ENKUlT_T0_E_clISt17integral_constantIbLb1EES1I_IbLb0EEEEDaS1E_S1F_EUlS1E_E_NS1_11comp_targetILNS1_3genE5ELNS1_11target_archE942ELNS1_3gpuE9ELNS1_3repE0EEENS1_30default_config_static_selectorELNS0_4arch9wavefront6targetE0EEEvT1_,comdat
.Lfunc_end1966:
	.size	_ZN7rocprim17ROCPRIM_400000_NS6detail17trampoline_kernelINS0_14default_configENS1_25partition_config_selectorILNS1_17partition_subalgoE6EN6thrust23THRUST_200600_302600_NS5tupleIttNS7_9null_typeES9_S9_S9_S9_S9_S9_S9_EENS0_10empty_typeEbEEZZNS1_14partition_implILS5_6ELb0ES3_mNS7_12zip_iteratorINS8_INS7_6detail15normal_iteratorINS7_10device_ptrItEEEESJ_S9_S9_S9_S9_S9_S9_S9_S9_EEEEPSB_SM_NS0_5tupleIJNSE_INS8_ISJ_NS7_16discard_iteratorINS7_11use_defaultEEES9_S9_S9_S9_S9_S9_S9_S9_EEEESB_EEENSN_IJSM_SM_EEESB_PlJNSF_9not_fun_tINSF_14equal_to_valueISA_EEEEEEE10hipError_tPvRmT3_T4_T5_T6_T7_T9_mT8_P12ihipStream_tbDpT10_ENKUlT_T0_E_clISt17integral_constantIbLb1EES1I_IbLb0EEEEDaS1E_S1F_EUlS1E_E_NS1_11comp_targetILNS1_3genE5ELNS1_11target_archE942ELNS1_3gpuE9ELNS1_3repE0EEENS1_30default_config_static_selectorELNS0_4arch9wavefront6targetE0EEEvT1_, .Lfunc_end1966-_ZN7rocprim17ROCPRIM_400000_NS6detail17trampoline_kernelINS0_14default_configENS1_25partition_config_selectorILNS1_17partition_subalgoE6EN6thrust23THRUST_200600_302600_NS5tupleIttNS7_9null_typeES9_S9_S9_S9_S9_S9_S9_EENS0_10empty_typeEbEEZZNS1_14partition_implILS5_6ELb0ES3_mNS7_12zip_iteratorINS8_INS7_6detail15normal_iteratorINS7_10device_ptrItEEEESJ_S9_S9_S9_S9_S9_S9_S9_S9_EEEEPSB_SM_NS0_5tupleIJNSE_INS8_ISJ_NS7_16discard_iteratorINS7_11use_defaultEEES9_S9_S9_S9_S9_S9_S9_S9_EEEESB_EEENSN_IJSM_SM_EEESB_PlJNSF_9not_fun_tINSF_14equal_to_valueISA_EEEEEEE10hipError_tPvRmT3_T4_T5_T6_T7_T9_mT8_P12ihipStream_tbDpT10_ENKUlT_T0_E_clISt17integral_constantIbLb1EES1I_IbLb0EEEEDaS1E_S1F_EUlS1E_E_NS1_11comp_targetILNS1_3genE5ELNS1_11target_archE942ELNS1_3gpuE9ELNS1_3repE0EEENS1_30default_config_static_selectorELNS0_4arch9wavefront6targetE0EEEvT1_
                                        ; -- End function
	.set _ZN7rocprim17ROCPRIM_400000_NS6detail17trampoline_kernelINS0_14default_configENS1_25partition_config_selectorILNS1_17partition_subalgoE6EN6thrust23THRUST_200600_302600_NS5tupleIttNS7_9null_typeES9_S9_S9_S9_S9_S9_S9_EENS0_10empty_typeEbEEZZNS1_14partition_implILS5_6ELb0ES3_mNS7_12zip_iteratorINS8_INS7_6detail15normal_iteratorINS7_10device_ptrItEEEESJ_S9_S9_S9_S9_S9_S9_S9_S9_EEEEPSB_SM_NS0_5tupleIJNSE_INS8_ISJ_NS7_16discard_iteratorINS7_11use_defaultEEES9_S9_S9_S9_S9_S9_S9_S9_EEEESB_EEENSN_IJSM_SM_EEESB_PlJNSF_9not_fun_tINSF_14equal_to_valueISA_EEEEEEE10hipError_tPvRmT3_T4_T5_T6_T7_T9_mT8_P12ihipStream_tbDpT10_ENKUlT_T0_E_clISt17integral_constantIbLb1EES1I_IbLb0EEEEDaS1E_S1F_EUlS1E_E_NS1_11comp_targetILNS1_3genE5ELNS1_11target_archE942ELNS1_3gpuE9ELNS1_3repE0EEENS1_30default_config_static_selectorELNS0_4arch9wavefront6targetE0EEEvT1_.num_vgpr, 0
	.set _ZN7rocprim17ROCPRIM_400000_NS6detail17trampoline_kernelINS0_14default_configENS1_25partition_config_selectorILNS1_17partition_subalgoE6EN6thrust23THRUST_200600_302600_NS5tupleIttNS7_9null_typeES9_S9_S9_S9_S9_S9_S9_EENS0_10empty_typeEbEEZZNS1_14partition_implILS5_6ELb0ES3_mNS7_12zip_iteratorINS8_INS7_6detail15normal_iteratorINS7_10device_ptrItEEEESJ_S9_S9_S9_S9_S9_S9_S9_S9_EEEEPSB_SM_NS0_5tupleIJNSE_INS8_ISJ_NS7_16discard_iteratorINS7_11use_defaultEEES9_S9_S9_S9_S9_S9_S9_S9_EEEESB_EEENSN_IJSM_SM_EEESB_PlJNSF_9not_fun_tINSF_14equal_to_valueISA_EEEEEEE10hipError_tPvRmT3_T4_T5_T6_T7_T9_mT8_P12ihipStream_tbDpT10_ENKUlT_T0_E_clISt17integral_constantIbLb1EES1I_IbLb0EEEEDaS1E_S1F_EUlS1E_E_NS1_11comp_targetILNS1_3genE5ELNS1_11target_archE942ELNS1_3gpuE9ELNS1_3repE0EEENS1_30default_config_static_selectorELNS0_4arch9wavefront6targetE0EEEvT1_.num_agpr, 0
	.set _ZN7rocprim17ROCPRIM_400000_NS6detail17trampoline_kernelINS0_14default_configENS1_25partition_config_selectorILNS1_17partition_subalgoE6EN6thrust23THRUST_200600_302600_NS5tupleIttNS7_9null_typeES9_S9_S9_S9_S9_S9_S9_EENS0_10empty_typeEbEEZZNS1_14partition_implILS5_6ELb0ES3_mNS7_12zip_iteratorINS8_INS7_6detail15normal_iteratorINS7_10device_ptrItEEEESJ_S9_S9_S9_S9_S9_S9_S9_S9_EEEEPSB_SM_NS0_5tupleIJNSE_INS8_ISJ_NS7_16discard_iteratorINS7_11use_defaultEEES9_S9_S9_S9_S9_S9_S9_S9_EEEESB_EEENSN_IJSM_SM_EEESB_PlJNSF_9not_fun_tINSF_14equal_to_valueISA_EEEEEEE10hipError_tPvRmT3_T4_T5_T6_T7_T9_mT8_P12ihipStream_tbDpT10_ENKUlT_T0_E_clISt17integral_constantIbLb1EES1I_IbLb0EEEEDaS1E_S1F_EUlS1E_E_NS1_11comp_targetILNS1_3genE5ELNS1_11target_archE942ELNS1_3gpuE9ELNS1_3repE0EEENS1_30default_config_static_selectorELNS0_4arch9wavefront6targetE0EEEvT1_.numbered_sgpr, 0
	.set _ZN7rocprim17ROCPRIM_400000_NS6detail17trampoline_kernelINS0_14default_configENS1_25partition_config_selectorILNS1_17partition_subalgoE6EN6thrust23THRUST_200600_302600_NS5tupleIttNS7_9null_typeES9_S9_S9_S9_S9_S9_S9_EENS0_10empty_typeEbEEZZNS1_14partition_implILS5_6ELb0ES3_mNS7_12zip_iteratorINS8_INS7_6detail15normal_iteratorINS7_10device_ptrItEEEESJ_S9_S9_S9_S9_S9_S9_S9_S9_EEEEPSB_SM_NS0_5tupleIJNSE_INS8_ISJ_NS7_16discard_iteratorINS7_11use_defaultEEES9_S9_S9_S9_S9_S9_S9_S9_EEEESB_EEENSN_IJSM_SM_EEESB_PlJNSF_9not_fun_tINSF_14equal_to_valueISA_EEEEEEE10hipError_tPvRmT3_T4_T5_T6_T7_T9_mT8_P12ihipStream_tbDpT10_ENKUlT_T0_E_clISt17integral_constantIbLb1EES1I_IbLb0EEEEDaS1E_S1F_EUlS1E_E_NS1_11comp_targetILNS1_3genE5ELNS1_11target_archE942ELNS1_3gpuE9ELNS1_3repE0EEENS1_30default_config_static_selectorELNS0_4arch9wavefront6targetE0EEEvT1_.num_named_barrier, 0
	.set _ZN7rocprim17ROCPRIM_400000_NS6detail17trampoline_kernelINS0_14default_configENS1_25partition_config_selectorILNS1_17partition_subalgoE6EN6thrust23THRUST_200600_302600_NS5tupleIttNS7_9null_typeES9_S9_S9_S9_S9_S9_S9_EENS0_10empty_typeEbEEZZNS1_14partition_implILS5_6ELb0ES3_mNS7_12zip_iteratorINS8_INS7_6detail15normal_iteratorINS7_10device_ptrItEEEESJ_S9_S9_S9_S9_S9_S9_S9_S9_EEEEPSB_SM_NS0_5tupleIJNSE_INS8_ISJ_NS7_16discard_iteratorINS7_11use_defaultEEES9_S9_S9_S9_S9_S9_S9_S9_EEEESB_EEENSN_IJSM_SM_EEESB_PlJNSF_9not_fun_tINSF_14equal_to_valueISA_EEEEEEE10hipError_tPvRmT3_T4_T5_T6_T7_T9_mT8_P12ihipStream_tbDpT10_ENKUlT_T0_E_clISt17integral_constantIbLb1EES1I_IbLb0EEEEDaS1E_S1F_EUlS1E_E_NS1_11comp_targetILNS1_3genE5ELNS1_11target_archE942ELNS1_3gpuE9ELNS1_3repE0EEENS1_30default_config_static_selectorELNS0_4arch9wavefront6targetE0EEEvT1_.private_seg_size, 0
	.set _ZN7rocprim17ROCPRIM_400000_NS6detail17trampoline_kernelINS0_14default_configENS1_25partition_config_selectorILNS1_17partition_subalgoE6EN6thrust23THRUST_200600_302600_NS5tupleIttNS7_9null_typeES9_S9_S9_S9_S9_S9_S9_EENS0_10empty_typeEbEEZZNS1_14partition_implILS5_6ELb0ES3_mNS7_12zip_iteratorINS8_INS7_6detail15normal_iteratorINS7_10device_ptrItEEEESJ_S9_S9_S9_S9_S9_S9_S9_S9_EEEEPSB_SM_NS0_5tupleIJNSE_INS8_ISJ_NS7_16discard_iteratorINS7_11use_defaultEEES9_S9_S9_S9_S9_S9_S9_S9_EEEESB_EEENSN_IJSM_SM_EEESB_PlJNSF_9not_fun_tINSF_14equal_to_valueISA_EEEEEEE10hipError_tPvRmT3_T4_T5_T6_T7_T9_mT8_P12ihipStream_tbDpT10_ENKUlT_T0_E_clISt17integral_constantIbLb1EES1I_IbLb0EEEEDaS1E_S1F_EUlS1E_E_NS1_11comp_targetILNS1_3genE5ELNS1_11target_archE942ELNS1_3gpuE9ELNS1_3repE0EEENS1_30default_config_static_selectorELNS0_4arch9wavefront6targetE0EEEvT1_.uses_vcc, 0
	.set _ZN7rocprim17ROCPRIM_400000_NS6detail17trampoline_kernelINS0_14default_configENS1_25partition_config_selectorILNS1_17partition_subalgoE6EN6thrust23THRUST_200600_302600_NS5tupleIttNS7_9null_typeES9_S9_S9_S9_S9_S9_S9_EENS0_10empty_typeEbEEZZNS1_14partition_implILS5_6ELb0ES3_mNS7_12zip_iteratorINS8_INS7_6detail15normal_iteratorINS7_10device_ptrItEEEESJ_S9_S9_S9_S9_S9_S9_S9_S9_EEEEPSB_SM_NS0_5tupleIJNSE_INS8_ISJ_NS7_16discard_iteratorINS7_11use_defaultEEES9_S9_S9_S9_S9_S9_S9_S9_EEEESB_EEENSN_IJSM_SM_EEESB_PlJNSF_9not_fun_tINSF_14equal_to_valueISA_EEEEEEE10hipError_tPvRmT3_T4_T5_T6_T7_T9_mT8_P12ihipStream_tbDpT10_ENKUlT_T0_E_clISt17integral_constantIbLb1EES1I_IbLb0EEEEDaS1E_S1F_EUlS1E_E_NS1_11comp_targetILNS1_3genE5ELNS1_11target_archE942ELNS1_3gpuE9ELNS1_3repE0EEENS1_30default_config_static_selectorELNS0_4arch9wavefront6targetE0EEEvT1_.uses_flat_scratch, 0
	.set _ZN7rocprim17ROCPRIM_400000_NS6detail17trampoline_kernelINS0_14default_configENS1_25partition_config_selectorILNS1_17partition_subalgoE6EN6thrust23THRUST_200600_302600_NS5tupleIttNS7_9null_typeES9_S9_S9_S9_S9_S9_S9_EENS0_10empty_typeEbEEZZNS1_14partition_implILS5_6ELb0ES3_mNS7_12zip_iteratorINS8_INS7_6detail15normal_iteratorINS7_10device_ptrItEEEESJ_S9_S9_S9_S9_S9_S9_S9_S9_EEEEPSB_SM_NS0_5tupleIJNSE_INS8_ISJ_NS7_16discard_iteratorINS7_11use_defaultEEES9_S9_S9_S9_S9_S9_S9_S9_EEEESB_EEENSN_IJSM_SM_EEESB_PlJNSF_9not_fun_tINSF_14equal_to_valueISA_EEEEEEE10hipError_tPvRmT3_T4_T5_T6_T7_T9_mT8_P12ihipStream_tbDpT10_ENKUlT_T0_E_clISt17integral_constantIbLb1EES1I_IbLb0EEEEDaS1E_S1F_EUlS1E_E_NS1_11comp_targetILNS1_3genE5ELNS1_11target_archE942ELNS1_3gpuE9ELNS1_3repE0EEENS1_30default_config_static_selectorELNS0_4arch9wavefront6targetE0EEEvT1_.has_dyn_sized_stack, 0
	.set _ZN7rocprim17ROCPRIM_400000_NS6detail17trampoline_kernelINS0_14default_configENS1_25partition_config_selectorILNS1_17partition_subalgoE6EN6thrust23THRUST_200600_302600_NS5tupleIttNS7_9null_typeES9_S9_S9_S9_S9_S9_S9_EENS0_10empty_typeEbEEZZNS1_14partition_implILS5_6ELb0ES3_mNS7_12zip_iteratorINS8_INS7_6detail15normal_iteratorINS7_10device_ptrItEEEESJ_S9_S9_S9_S9_S9_S9_S9_S9_EEEEPSB_SM_NS0_5tupleIJNSE_INS8_ISJ_NS7_16discard_iteratorINS7_11use_defaultEEES9_S9_S9_S9_S9_S9_S9_S9_EEEESB_EEENSN_IJSM_SM_EEESB_PlJNSF_9not_fun_tINSF_14equal_to_valueISA_EEEEEEE10hipError_tPvRmT3_T4_T5_T6_T7_T9_mT8_P12ihipStream_tbDpT10_ENKUlT_T0_E_clISt17integral_constantIbLb1EES1I_IbLb0EEEEDaS1E_S1F_EUlS1E_E_NS1_11comp_targetILNS1_3genE5ELNS1_11target_archE942ELNS1_3gpuE9ELNS1_3repE0EEENS1_30default_config_static_selectorELNS0_4arch9wavefront6targetE0EEEvT1_.has_recursion, 0
	.set _ZN7rocprim17ROCPRIM_400000_NS6detail17trampoline_kernelINS0_14default_configENS1_25partition_config_selectorILNS1_17partition_subalgoE6EN6thrust23THRUST_200600_302600_NS5tupleIttNS7_9null_typeES9_S9_S9_S9_S9_S9_S9_EENS0_10empty_typeEbEEZZNS1_14partition_implILS5_6ELb0ES3_mNS7_12zip_iteratorINS8_INS7_6detail15normal_iteratorINS7_10device_ptrItEEEESJ_S9_S9_S9_S9_S9_S9_S9_S9_EEEEPSB_SM_NS0_5tupleIJNSE_INS8_ISJ_NS7_16discard_iteratorINS7_11use_defaultEEES9_S9_S9_S9_S9_S9_S9_S9_EEEESB_EEENSN_IJSM_SM_EEESB_PlJNSF_9not_fun_tINSF_14equal_to_valueISA_EEEEEEE10hipError_tPvRmT3_T4_T5_T6_T7_T9_mT8_P12ihipStream_tbDpT10_ENKUlT_T0_E_clISt17integral_constantIbLb1EES1I_IbLb0EEEEDaS1E_S1F_EUlS1E_E_NS1_11comp_targetILNS1_3genE5ELNS1_11target_archE942ELNS1_3gpuE9ELNS1_3repE0EEENS1_30default_config_static_selectorELNS0_4arch9wavefront6targetE0EEEvT1_.has_indirect_call, 0
	.section	.AMDGPU.csdata,"",@progbits
; Kernel info:
; codeLenInByte = 0
; TotalNumSgprs: 0
; NumVgprs: 0
; ScratchSize: 0
; MemoryBound: 0
; FloatMode: 240
; IeeeMode: 1
; LDSByteSize: 0 bytes/workgroup (compile time only)
; SGPRBlocks: 0
; VGPRBlocks: 0
; NumSGPRsForWavesPerEU: 1
; NumVGPRsForWavesPerEU: 1
; Occupancy: 16
; WaveLimiterHint : 0
; COMPUTE_PGM_RSRC2:SCRATCH_EN: 0
; COMPUTE_PGM_RSRC2:USER_SGPR: 2
; COMPUTE_PGM_RSRC2:TRAP_HANDLER: 0
; COMPUTE_PGM_RSRC2:TGID_X_EN: 1
; COMPUTE_PGM_RSRC2:TGID_Y_EN: 0
; COMPUTE_PGM_RSRC2:TGID_Z_EN: 0
; COMPUTE_PGM_RSRC2:TIDIG_COMP_CNT: 0
	.section	.text._ZN7rocprim17ROCPRIM_400000_NS6detail17trampoline_kernelINS0_14default_configENS1_25partition_config_selectorILNS1_17partition_subalgoE6EN6thrust23THRUST_200600_302600_NS5tupleIttNS7_9null_typeES9_S9_S9_S9_S9_S9_S9_EENS0_10empty_typeEbEEZZNS1_14partition_implILS5_6ELb0ES3_mNS7_12zip_iteratorINS8_INS7_6detail15normal_iteratorINS7_10device_ptrItEEEESJ_S9_S9_S9_S9_S9_S9_S9_S9_EEEEPSB_SM_NS0_5tupleIJNSE_INS8_ISJ_NS7_16discard_iteratorINS7_11use_defaultEEES9_S9_S9_S9_S9_S9_S9_S9_EEEESB_EEENSN_IJSM_SM_EEESB_PlJNSF_9not_fun_tINSF_14equal_to_valueISA_EEEEEEE10hipError_tPvRmT3_T4_T5_T6_T7_T9_mT8_P12ihipStream_tbDpT10_ENKUlT_T0_E_clISt17integral_constantIbLb1EES1I_IbLb0EEEEDaS1E_S1F_EUlS1E_E_NS1_11comp_targetILNS1_3genE4ELNS1_11target_archE910ELNS1_3gpuE8ELNS1_3repE0EEENS1_30default_config_static_selectorELNS0_4arch9wavefront6targetE0EEEvT1_,"axG",@progbits,_ZN7rocprim17ROCPRIM_400000_NS6detail17trampoline_kernelINS0_14default_configENS1_25partition_config_selectorILNS1_17partition_subalgoE6EN6thrust23THRUST_200600_302600_NS5tupleIttNS7_9null_typeES9_S9_S9_S9_S9_S9_S9_EENS0_10empty_typeEbEEZZNS1_14partition_implILS5_6ELb0ES3_mNS7_12zip_iteratorINS8_INS7_6detail15normal_iteratorINS7_10device_ptrItEEEESJ_S9_S9_S9_S9_S9_S9_S9_S9_EEEEPSB_SM_NS0_5tupleIJNSE_INS8_ISJ_NS7_16discard_iteratorINS7_11use_defaultEEES9_S9_S9_S9_S9_S9_S9_S9_EEEESB_EEENSN_IJSM_SM_EEESB_PlJNSF_9not_fun_tINSF_14equal_to_valueISA_EEEEEEE10hipError_tPvRmT3_T4_T5_T6_T7_T9_mT8_P12ihipStream_tbDpT10_ENKUlT_T0_E_clISt17integral_constantIbLb1EES1I_IbLb0EEEEDaS1E_S1F_EUlS1E_E_NS1_11comp_targetILNS1_3genE4ELNS1_11target_archE910ELNS1_3gpuE8ELNS1_3repE0EEENS1_30default_config_static_selectorELNS0_4arch9wavefront6targetE0EEEvT1_,comdat
	.protected	_ZN7rocprim17ROCPRIM_400000_NS6detail17trampoline_kernelINS0_14default_configENS1_25partition_config_selectorILNS1_17partition_subalgoE6EN6thrust23THRUST_200600_302600_NS5tupleIttNS7_9null_typeES9_S9_S9_S9_S9_S9_S9_EENS0_10empty_typeEbEEZZNS1_14partition_implILS5_6ELb0ES3_mNS7_12zip_iteratorINS8_INS7_6detail15normal_iteratorINS7_10device_ptrItEEEESJ_S9_S9_S9_S9_S9_S9_S9_S9_EEEEPSB_SM_NS0_5tupleIJNSE_INS8_ISJ_NS7_16discard_iteratorINS7_11use_defaultEEES9_S9_S9_S9_S9_S9_S9_S9_EEEESB_EEENSN_IJSM_SM_EEESB_PlJNSF_9not_fun_tINSF_14equal_to_valueISA_EEEEEEE10hipError_tPvRmT3_T4_T5_T6_T7_T9_mT8_P12ihipStream_tbDpT10_ENKUlT_T0_E_clISt17integral_constantIbLb1EES1I_IbLb0EEEEDaS1E_S1F_EUlS1E_E_NS1_11comp_targetILNS1_3genE4ELNS1_11target_archE910ELNS1_3gpuE8ELNS1_3repE0EEENS1_30default_config_static_selectorELNS0_4arch9wavefront6targetE0EEEvT1_ ; -- Begin function _ZN7rocprim17ROCPRIM_400000_NS6detail17trampoline_kernelINS0_14default_configENS1_25partition_config_selectorILNS1_17partition_subalgoE6EN6thrust23THRUST_200600_302600_NS5tupleIttNS7_9null_typeES9_S9_S9_S9_S9_S9_S9_EENS0_10empty_typeEbEEZZNS1_14partition_implILS5_6ELb0ES3_mNS7_12zip_iteratorINS8_INS7_6detail15normal_iteratorINS7_10device_ptrItEEEESJ_S9_S9_S9_S9_S9_S9_S9_S9_EEEEPSB_SM_NS0_5tupleIJNSE_INS8_ISJ_NS7_16discard_iteratorINS7_11use_defaultEEES9_S9_S9_S9_S9_S9_S9_S9_EEEESB_EEENSN_IJSM_SM_EEESB_PlJNSF_9not_fun_tINSF_14equal_to_valueISA_EEEEEEE10hipError_tPvRmT3_T4_T5_T6_T7_T9_mT8_P12ihipStream_tbDpT10_ENKUlT_T0_E_clISt17integral_constantIbLb1EES1I_IbLb0EEEEDaS1E_S1F_EUlS1E_E_NS1_11comp_targetILNS1_3genE4ELNS1_11target_archE910ELNS1_3gpuE8ELNS1_3repE0EEENS1_30default_config_static_selectorELNS0_4arch9wavefront6targetE0EEEvT1_
	.globl	_ZN7rocprim17ROCPRIM_400000_NS6detail17trampoline_kernelINS0_14default_configENS1_25partition_config_selectorILNS1_17partition_subalgoE6EN6thrust23THRUST_200600_302600_NS5tupleIttNS7_9null_typeES9_S9_S9_S9_S9_S9_S9_EENS0_10empty_typeEbEEZZNS1_14partition_implILS5_6ELb0ES3_mNS7_12zip_iteratorINS8_INS7_6detail15normal_iteratorINS7_10device_ptrItEEEESJ_S9_S9_S9_S9_S9_S9_S9_S9_EEEEPSB_SM_NS0_5tupleIJNSE_INS8_ISJ_NS7_16discard_iteratorINS7_11use_defaultEEES9_S9_S9_S9_S9_S9_S9_S9_EEEESB_EEENSN_IJSM_SM_EEESB_PlJNSF_9not_fun_tINSF_14equal_to_valueISA_EEEEEEE10hipError_tPvRmT3_T4_T5_T6_T7_T9_mT8_P12ihipStream_tbDpT10_ENKUlT_T0_E_clISt17integral_constantIbLb1EES1I_IbLb0EEEEDaS1E_S1F_EUlS1E_E_NS1_11comp_targetILNS1_3genE4ELNS1_11target_archE910ELNS1_3gpuE8ELNS1_3repE0EEENS1_30default_config_static_selectorELNS0_4arch9wavefront6targetE0EEEvT1_
	.p2align	8
	.type	_ZN7rocprim17ROCPRIM_400000_NS6detail17trampoline_kernelINS0_14default_configENS1_25partition_config_selectorILNS1_17partition_subalgoE6EN6thrust23THRUST_200600_302600_NS5tupleIttNS7_9null_typeES9_S9_S9_S9_S9_S9_S9_EENS0_10empty_typeEbEEZZNS1_14partition_implILS5_6ELb0ES3_mNS7_12zip_iteratorINS8_INS7_6detail15normal_iteratorINS7_10device_ptrItEEEESJ_S9_S9_S9_S9_S9_S9_S9_S9_EEEEPSB_SM_NS0_5tupleIJNSE_INS8_ISJ_NS7_16discard_iteratorINS7_11use_defaultEEES9_S9_S9_S9_S9_S9_S9_S9_EEEESB_EEENSN_IJSM_SM_EEESB_PlJNSF_9not_fun_tINSF_14equal_to_valueISA_EEEEEEE10hipError_tPvRmT3_T4_T5_T6_T7_T9_mT8_P12ihipStream_tbDpT10_ENKUlT_T0_E_clISt17integral_constantIbLb1EES1I_IbLb0EEEEDaS1E_S1F_EUlS1E_E_NS1_11comp_targetILNS1_3genE4ELNS1_11target_archE910ELNS1_3gpuE8ELNS1_3repE0EEENS1_30default_config_static_selectorELNS0_4arch9wavefront6targetE0EEEvT1_,@function
_ZN7rocprim17ROCPRIM_400000_NS6detail17trampoline_kernelINS0_14default_configENS1_25partition_config_selectorILNS1_17partition_subalgoE6EN6thrust23THRUST_200600_302600_NS5tupleIttNS7_9null_typeES9_S9_S9_S9_S9_S9_S9_EENS0_10empty_typeEbEEZZNS1_14partition_implILS5_6ELb0ES3_mNS7_12zip_iteratorINS8_INS7_6detail15normal_iteratorINS7_10device_ptrItEEEESJ_S9_S9_S9_S9_S9_S9_S9_S9_EEEEPSB_SM_NS0_5tupleIJNSE_INS8_ISJ_NS7_16discard_iteratorINS7_11use_defaultEEES9_S9_S9_S9_S9_S9_S9_S9_EEEESB_EEENSN_IJSM_SM_EEESB_PlJNSF_9not_fun_tINSF_14equal_to_valueISA_EEEEEEE10hipError_tPvRmT3_T4_T5_T6_T7_T9_mT8_P12ihipStream_tbDpT10_ENKUlT_T0_E_clISt17integral_constantIbLb1EES1I_IbLb0EEEEDaS1E_S1F_EUlS1E_E_NS1_11comp_targetILNS1_3genE4ELNS1_11target_archE910ELNS1_3gpuE8ELNS1_3repE0EEENS1_30default_config_static_selectorELNS0_4arch9wavefront6targetE0EEEvT1_: ; @_ZN7rocprim17ROCPRIM_400000_NS6detail17trampoline_kernelINS0_14default_configENS1_25partition_config_selectorILNS1_17partition_subalgoE6EN6thrust23THRUST_200600_302600_NS5tupleIttNS7_9null_typeES9_S9_S9_S9_S9_S9_S9_EENS0_10empty_typeEbEEZZNS1_14partition_implILS5_6ELb0ES3_mNS7_12zip_iteratorINS8_INS7_6detail15normal_iteratorINS7_10device_ptrItEEEESJ_S9_S9_S9_S9_S9_S9_S9_S9_EEEEPSB_SM_NS0_5tupleIJNSE_INS8_ISJ_NS7_16discard_iteratorINS7_11use_defaultEEES9_S9_S9_S9_S9_S9_S9_S9_EEEESB_EEENSN_IJSM_SM_EEESB_PlJNSF_9not_fun_tINSF_14equal_to_valueISA_EEEEEEE10hipError_tPvRmT3_T4_T5_T6_T7_T9_mT8_P12ihipStream_tbDpT10_ENKUlT_T0_E_clISt17integral_constantIbLb1EES1I_IbLb0EEEEDaS1E_S1F_EUlS1E_E_NS1_11comp_targetILNS1_3genE4ELNS1_11target_archE910ELNS1_3gpuE8ELNS1_3repE0EEENS1_30default_config_static_selectorELNS0_4arch9wavefront6targetE0EEEvT1_
; %bb.0:
	.section	.rodata,"a",@progbits
	.p2align	6, 0x0
	.amdhsa_kernel _ZN7rocprim17ROCPRIM_400000_NS6detail17trampoline_kernelINS0_14default_configENS1_25partition_config_selectorILNS1_17partition_subalgoE6EN6thrust23THRUST_200600_302600_NS5tupleIttNS7_9null_typeES9_S9_S9_S9_S9_S9_S9_EENS0_10empty_typeEbEEZZNS1_14partition_implILS5_6ELb0ES3_mNS7_12zip_iteratorINS8_INS7_6detail15normal_iteratorINS7_10device_ptrItEEEESJ_S9_S9_S9_S9_S9_S9_S9_S9_EEEEPSB_SM_NS0_5tupleIJNSE_INS8_ISJ_NS7_16discard_iteratorINS7_11use_defaultEEES9_S9_S9_S9_S9_S9_S9_S9_EEEESB_EEENSN_IJSM_SM_EEESB_PlJNSF_9not_fun_tINSF_14equal_to_valueISA_EEEEEEE10hipError_tPvRmT3_T4_T5_T6_T7_T9_mT8_P12ihipStream_tbDpT10_ENKUlT_T0_E_clISt17integral_constantIbLb1EES1I_IbLb0EEEEDaS1E_S1F_EUlS1E_E_NS1_11comp_targetILNS1_3genE4ELNS1_11target_archE910ELNS1_3gpuE8ELNS1_3repE0EEENS1_30default_config_static_selectorELNS0_4arch9wavefront6targetE0EEEvT1_
		.amdhsa_group_segment_fixed_size 0
		.amdhsa_private_segment_fixed_size 0
		.amdhsa_kernarg_size 144
		.amdhsa_user_sgpr_count 2
		.amdhsa_user_sgpr_dispatch_ptr 0
		.amdhsa_user_sgpr_queue_ptr 0
		.amdhsa_user_sgpr_kernarg_segment_ptr 1
		.amdhsa_user_sgpr_dispatch_id 0
		.amdhsa_user_sgpr_private_segment_size 0
		.amdhsa_wavefront_size32 1
		.amdhsa_uses_dynamic_stack 0
		.amdhsa_enable_private_segment 0
		.amdhsa_system_sgpr_workgroup_id_x 1
		.amdhsa_system_sgpr_workgroup_id_y 0
		.amdhsa_system_sgpr_workgroup_id_z 0
		.amdhsa_system_sgpr_workgroup_info 0
		.amdhsa_system_vgpr_workitem_id 0
		.amdhsa_next_free_vgpr 1
		.amdhsa_next_free_sgpr 1
		.amdhsa_reserve_vcc 0
		.amdhsa_float_round_mode_32 0
		.amdhsa_float_round_mode_16_64 0
		.amdhsa_float_denorm_mode_32 3
		.amdhsa_float_denorm_mode_16_64 3
		.amdhsa_fp16_overflow 0
		.amdhsa_workgroup_processor_mode 1
		.amdhsa_memory_ordered 1
		.amdhsa_forward_progress 1
		.amdhsa_inst_pref_size 0
		.amdhsa_round_robin_scheduling 0
		.amdhsa_exception_fp_ieee_invalid_op 0
		.amdhsa_exception_fp_denorm_src 0
		.amdhsa_exception_fp_ieee_div_zero 0
		.amdhsa_exception_fp_ieee_overflow 0
		.amdhsa_exception_fp_ieee_underflow 0
		.amdhsa_exception_fp_ieee_inexact 0
		.amdhsa_exception_int_div_zero 0
	.end_amdhsa_kernel
	.section	.text._ZN7rocprim17ROCPRIM_400000_NS6detail17trampoline_kernelINS0_14default_configENS1_25partition_config_selectorILNS1_17partition_subalgoE6EN6thrust23THRUST_200600_302600_NS5tupleIttNS7_9null_typeES9_S9_S9_S9_S9_S9_S9_EENS0_10empty_typeEbEEZZNS1_14partition_implILS5_6ELb0ES3_mNS7_12zip_iteratorINS8_INS7_6detail15normal_iteratorINS7_10device_ptrItEEEESJ_S9_S9_S9_S9_S9_S9_S9_S9_EEEEPSB_SM_NS0_5tupleIJNSE_INS8_ISJ_NS7_16discard_iteratorINS7_11use_defaultEEES9_S9_S9_S9_S9_S9_S9_S9_EEEESB_EEENSN_IJSM_SM_EEESB_PlJNSF_9not_fun_tINSF_14equal_to_valueISA_EEEEEEE10hipError_tPvRmT3_T4_T5_T6_T7_T9_mT8_P12ihipStream_tbDpT10_ENKUlT_T0_E_clISt17integral_constantIbLb1EES1I_IbLb0EEEEDaS1E_S1F_EUlS1E_E_NS1_11comp_targetILNS1_3genE4ELNS1_11target_archE910ELNS1_3gpuE8ELNS1_3repE0EEENS1_30default_config_static_selectorELNS0_4arch9wavefront6targetE0EEEvT1_,"axG",@progbits,_ZN7rocprim17ROCPRIM_400000_NS6detail17trampoline_kernelINS0_14default_configENS1_25partition_config_selectorILNS1_17partition_subalgoE6EN6thrust23THRUST_200600_302600_NS5tupleIttNS7_9null_typeES9_S9_S9_S9_S9_S9_S9_EENS0_10empty_typeEbEEZZNS1_14partition_implILS5_6ELb0ES3_mNS7_12zip_iteratorINS8_INS7_6detail15normal_iteratorINS7_10device_ptrItEEEESJ_S9_S9_S9_S9_S9_S9_S9_S9_EEEEPSB_SM_NS0_5tupleIJNSE_INS8_ISJ_NS7_16discard_iteratorINS7_11use_defaultEEES9_S9_S9_S9_S9_S9_S9_S9_EEEESB_EEENSN_IJSM_SM_EEESB_PlJNSF_9not_fun_tINSF_14equal_to_valueISA_EEEEEEE10hipError_tPvRmT3_T4_T5_T6_T7_T9_mT8_P12ihipStream_tbDpT10_ENKUlT_T0_E_clISt17integral_constantIbLb1EES1I_IbLb0EEEEDaS1E_S1F_EUlS1E_E_NS1_11comp_targetILNS1_3genE4ELNS1_11target_archE910ELNS1_3gpuE8ELNS1_3repE0EEENS1_30default_config_static_selectorELNS0_4arch9wavefront6targetE0EEEvT1_,comdat
.Lfunc_end1967:
	.size	_ZN7rocprim17ROCPRIM_400000_NS6detail17trampoline_kernelINS0_14default_configENS1_25partition_config_selectorILNS1_17partition_subalgoE6EN6thrust23THRUST_200600_302600_NS5tupleIttNS7_9null_typeES9_S9_S9_S9_S9_S9_S9_EENS0_10empty_typeEbEEZZNS1_14partition_implILS5_6ELb0ES3_mNS7_12zip_iteratorINS8_INS7_6detail15normal_iteratorINS7_10device_ptrItEEEESJ_S9_S9_S9_S9_S9_S9_S9_S9_EEEEPSB_SM_NS0_5tupleIJNSE_INS8_ISJ_NS7_16discard_iteratorINS7_11use_defaultEEES9_S9_S9_S9_S9_S9_S9_S9_EEEESB_EEENSN_IJSM_SM_EEESB_PlJNSF_9not_fun_tINSF_14equal_to_valueISA_EEEEEEE10hipError_tPvRmT3_T4_T5_T6_T7_T9_mT8_P12ihipStream_tbDpT10_ENKUlT_T0_E_clISt17integral_constantIbLb1EES1I_IbLb0EEEEDaS1E_S1F_EUlS1E_E_NS1_11comp_targetILNS1_3genE4ELNS1_11target_archE910ELNS1_3gpuE8ELNS1_3repE0EEENS1_30default_config_static_selectorELNS0_4arch9wavefront6targetE0EEEvT1_, .Lfunc_end1967-_ZN7rocprim17ROCPRIM_400000_NS6detail17trampoline_kernelINS0_14default_configENS1_25partition_config_selectorILNS1_17partition_subalgoE6EN6thrust23THRUST_200600_302600_NS5tupleIttNS7_9null_typeES9_S9_S9_S9_S9_S9_S9_EENS0_10empty_typeEbEEZZNS1_14partition_implILS5_6ELb0ES3_mNS7_12zip_iteratorINS8_INS7_6detail15normal_iteratorINS7_10device_ptrItEEEESJ_S9_S9_S9_S9_S9_S9_S9_S9_EEEEPSB_SM_NS0_5tupleIJNSE_INS8_ISJ_NS7_16discard_iteratorINS7_11use_defaultEEES9_S9_S9_S9_S9_S9_S9_S9_EEEESB_EEENSN_IJSM_SM_EEESB_PlJNSF_9not_fun_tINSF_14equal_to_valueISA_EEEEEEE10hipError_tPvRmT3_T4_T5_T6_T7_T9_mT8_P12ihipStream_tbDpT10_ENKUlT_T0_E_clISt17integral_constantIbLb1EES1I_IbLb0EEEEDaS1E_S1F_EUlS1E_E_NS1_11comp_targetILNS1_3genE4ELNS1_11target_archE910ELNS1_3gpuE8ELNS1_3repE0EEENS1_30default_config_static_selectorELNS0_4arch9wavefront6targetE0EEEvT1_
                                        ; -- End function
	.set _ZN7rocprim17ROCPRIM_400000_NS6detail17trampoline_kernelINS0_14default_configENS1_25partition_config_selectorILNS1_17partition_subalgoE6EN6thrust23THRUST_200600_302600_NS5tupleIttNS7_9null_typeES9_S9_S9_S9_S9_S9_S9_EENS0_10empty_typeEbEEZZNS1_14partition_implILS5_6ELb0ES3_mNS7_12zip_iteratorINS8_INS7_6detail15normal_iteratorINS7_10device_ptrItEEEESJ_S9_S9_S9_S9_S9_S9_S9_S9_EEEEPSB_SM_NS0_5tupleIJNSE_INS8_ISJ_NS7_16discard_iteratorINS7_11use_defaultEEES9_S9_S9_S9_S9_S9_S9_S9_EEEESB_EEENSN_IJSM_SM_EEESB_PlJNSF_9not_fun_tINSF_14equal_to_valueISA_EEEEEEE10hipError_tPvRmT3_T4_T5_T6_T7_T9_mT8_P12ihipStream_tbDpT10_ENKUlT_T0_E_clISt17integral_constantIbLb1EES1I_IbLb0EEEEDaS1E_S1F_EUlS1E_E_NS1_11comp_targetILNS1_3genE4ELNS1_11target_archE910ELNS1_3gpuE8ELNS1_3repE0EEENS1_30default_config_static_selectorELNS0_4arch9wavefront6targetE0EEEvT1_.num_vgpr, 0
	.set _ZN7rocprim17ROCPRIM_400000_NS6detail17trampoline_kernelINS0_14default_configENS1_25partition_config_selectorILNS1_17partition_subalgoE6EN6thrust23THRUST_200600_302600_NS5tupleIttNS7_9null_typeES9_S9_S9_S9_S9_S9_S9_EENS0_10empty_typeEbEEZZNS1_14partition_implILS5_6ELb0ES3_mNS7_12zip_iteratorINS8_INS7_6detail15normal_iteratorINS7_10device_ptrItEEEESJ_S9_S9_S9_S9_S9_S9_S9_S9_EEEEPSB_SM_NS0_5tupleIJNSE_INS8_ISJ_NS7_16discard_iteratorINS7_11use_defaultEEES9_S9_S9_S9_S9_S9_S9_S9_EEEESB_EEENSN_IJSM_SM_EEESB_PlJNSF_9not_fun_tINSF_14equal_to_valueISA_EEEEEEE10hipError_tPvRmT3_T4_T5_T6_T7_T9_mT8_P12ihipStream_tbDpT10_ENKUlT_T0_E_clISt17integral_constantIbLb1EES1I_IbLb0EEEEDaS1E_S1F_EUlS1E_E_NS1_11comp_targetILNS1_3genE4ELNS1_11target_archE910ELNS1_3gpuE8ELNS1_3repE0EEENS1_30default_config_static_selectorELNS0_4arch9wavefront6targetE0EEEvT1_.num_agpr, 0
	.set _ZN7rocprim17ROCPRIM_400000_NS6detail17trampoline_kernelINS0_14default_configENS1_25partition_config_selectorILNS1_17partition_subalgoE6EN6thrust23THRUST_200600_302600_NS5tupleIttNS7_9null_typeES9_S9_S9_S9_S9_S9_S9_EENS0_10empty_typeEbEEZZNS1_14partition_implILS5_6ELb0ES3_mNS7_12zip_iteratorINS8_INS7_6detail15normal_iteratorINS7_10device_ptrItEEEESJ_S9_S9_S9_S9_S9_S9_S9_S9_EEEEPSB_SM_NS0_5tupleIJNSE_INS8_ISJ_NS7_16discard_iteratorINS7_11use_defaultEEES9_S9_S9_S9_S9_S9_S9_S9_EEEESB_EEENSN_IJSM_SM_EEESB_PlJNSF_9not_fun_tINSF_14equal_to_valueISA_EEEEEEE10hipError_tPvRmT3_T4_T5_T6_T7_T9_mT8_P12ihipStream_tbDpT10_ENKUlT_T0_E_clISt17integral_constantIbLb1EES1I_IbLb0EEEEDaS1E_S1F_EUlS1E_E_NS1_11comp_targetILNS1_3genE4ELNS1_11target_archE910ELNS1_3gpuE8ELNS1_3repE0EEENS1_30default_config_static_selectorELNS0_4arch9wavefront6targetE0EEEvT1_.numbered_sgpr, 0
	.set _ZN7rocprim17ROCPRIM_400000_NS6detail17trampoline_kernelINS0_14default_configENS1_25partition_config_selectorILNS1_17partition_subalgoE6EN6thrust23THRUST_200600_302600_NS5tupleIttNS7_9null_typeES9_S9_S9_S9_S9_S9_S9_EENS0_10empty_typeEbEEZZNS1_14partition_implILS5_6ELb0ES3_mNS7_12zip_iteratorINS8_INS7_6detail15normal_iteratorINS7_10device_ptrItEEEESJ_S9_S9_S9_S9_S9_S9_S9_S9_EEEEPSB_SM_NS0_5tupleIJNSE_INS8_ISJ_NS7_16discard_iteratorINS7_11use_defaultEEES9_S9_S9_S9_S9_S9_S9_S9_EEEESB_EEENSN_IJSM_SM_EEESB_PlJNSF_9not_fun_tINSF_14equal_to_valueISA_EEEEEEE10hipError_tPvRmT3_T4_T5_T6_T7_T9_mT8_P12ihipStream_tbDpT10_ENKUlT_T0_E_clISt17integral_constantIbLb1EES1I_IbLb0EEEEDaS1E_S1F_EUlS1E_E_NS1_11comp_targetILNS1_3genE4ELNS1_11target_archE910ELNS1_3gpuE8ELNS1_3repE0EEENS1_30default_config_static_selectorELNS0_4arch9wavefront6targetE0EEEvT1_.num_named_barrier, 0
	.set _ZN7rocprim17ROCPRIM_400000_NS6detail17trampoline_kernelINS0_14default_configENS1_25partition_config_selectorILNS1_17partition_subalgoE6EN6thrust23THRUST_200600_302600_NS5tupleIttNS7_9null_typeES9_S9_S9_S9_S9_S9_S9_EENS0_10empty_typeEbEEZZNS1_14partition_implILS5_6ELb0ES3_mNS7_12zip_iteratorINS8_INS7_6detail15normal_iteratorINS7_10device_ptrItEEEESJ_S9_S9_S9_S9_S9_S9_S9_S9_EEEEPSB_SM_NS0_5tupleIJNSE_INS8_ISJ_NS7_16discard_iteratorINS7_11use_defaultEEES9_S9_S9_S9_S9_S9_S9_S9_EEEESB_EEENSN_IJSM_SM_EEESB_PlJNSF_9not_fun_tINSF_14equal_to_valueISA_EEEEEEE10hipError_tPvRmT3_T4_T5_T6_T7_T9_mT8_P12ihipStream_tbDpT10_ENKUlT_T0_E_clISt17integral_constantIbLb1EES1I_IbLb0EEEEDaS1E_S1F_EUlS1E_E_NS1_11comp_targetILNS1_3genE4ELNS1_11target_archE910ELNS1_3gpuE8ELNS1_3repE0EEENS1_30default_config_static_selectorELNS0_4arch9wavefront6targetE0EEEvT1_.private_seg_size, 0
	.set _ZN7rocprim17ROCPRIM_400000_NS6detail17trampoline_kernelINS0_14default_configENS1_25partition_config_selectorILNS1_17partition_subalgoE6EN6thrust23THRUST_200600_302600_NS5tupleIttNS7_9null_typeES9_S9_S9_S9_S9_S9_S9_EENS0_10empty_typeEbEEZZNS1_14partition_implILS5_6ELb0ES3_mNS7_12zip_iteratorINS8_INS7_6detail15normal_iteratorINS7_10device_ptrItEEEESJ_S9_S9_S9_S9_S9_S9_S9_S9_EEEEPSB_SM_NS0_5tupleIJNSE_INS8_ISJ_NS7_16discard_iteratorINS7_11use_defaultEEES9_S9_S9_S9_S9_S9_S9_S9_EEEESB_EEENSN_IJSM_SM_EEESB_PlJNSF_9not_fun_tINSF_14equal_to_valueISA_EEEEEEE10hipError_tPvRmT3_T4_T5_T6_T7_T9_mT8_P12ihipStream_tbDpT10_ENKUlT_T0_E_clISt17integral_constantIbLb1EES1I_IbLb0EEEEDaS1E_S1F_EUlS1E_E_NS1_11comp_targetILNS1_3genE4ELNS1_11target_archE910ELNS1_3gpuE8ELNS1_3repE0EEENS1_30default_config_static_selectorELNS0_4arch9wavefront6targetE0EEEvT1_.uses_vcc, 0
	.set _ZN7rocprim17ROCPRIM_400000_NS6detail17trampoline_kernelINS0_14default_configENS1_25partition_config_selectorILNS1_17partition_subalgoE6EN6thrust23THRUST_200600_302600_NS5tupleIttNS7_9null_typeES9_S9_S9_S9_S9_S9_S9_EENS0_10empty_typeEbEEZZNS1_14partition_implILS5_6ELb0ES3_mNS7_12zip_iteratorINS8_INS7_6detail15normal_iteratorINS7_10device_ptrItEEEESJ_S9_S9_S9_S9_S9_S9_S9_S9_EEEEPSB_SM_NS0_5tupleIJNSE_INS8_ISJ_NS7_16discard_iteratorINS7_11use_defaultEEES9_S9_S9_S9_S9_S9_S9_S9_EEEESB_EEENSN_IJSM_SM_EEESB_PlJNSF_9not_fun_tINSF_14equal_to_valueISA_EEEEEEE10hipError_tPvRmT3_T4_T5_T6_T7_T9_mT8_P12ihipStream_tbDpT10_ENKUlT_T0_E_clISt17integral_constantIbLb1EES1I_IbLb0EEEEDaS1E_S1F_EUlS1E_E_NS1_11comp_targetILNS1_3genE4ELNS1_11target_archE910ELNS1_3gpuE8ELNS1_3repE0EEENS1_30default_config_static_selectorELNS0_4arch9wavefront6targetE0EEEvT1_.uses_flat_scratch, 0
	.set _ZN7rocprim17ROCPRIM_400000_NS6detail17trampoline_kernelINS0_14default_configENS1_25partition_config_selectorILNS1_17partition_subalgoE6EN6thrust23THRUST_200600_302600_NS5tupleIttNS7_9null_typeES9_S9_S9_S9_S9_S9_S9_EENS0_10empty_typeEbEEZZNS1_14partition_implILS5_6ELb0ES3_mNS7_12zip_iteratorINS8_INS7_6detail15normal_iteratorINS7_10device_ptrItEEEESJ_S9_S9_S9_S9_S9_S9_S9_S9_EEEEPSB_SM_NS0_5tupleIJNSE_INS8_ISJ_NS7_16discard_iteratorINS7_11use_defaultEEES9_S9_S9_S9_S9_S9_S9_S9_EEEESB_EEENSN_IJSM_SM_EEESB_PlJNSF_9not_fun_tINSF_14equal_to_valueISA_EEEEEEE10hipError_tPvRmT3_T4_T5_T6_T7_T9_mT8_P12ihipStream_tbDpT10_ENKUlT_T0_E_clISt17integral_constantIbLb1EES1I_IbLb0EEEEDaS1E_S1F_EUlS1E_E_NS1_11comp_targetILNS1_3genE4ELNS1_11target_archE910ELNS1_3gpuE8ELNS1_3repE0EEENS1_30default_config_static_selectorELNS0_4arch9wavefront6targetE0EEEvT1_.has_dyn_sized_stack, 0
	.set _ZN7rocprim17ROCPRIM_400000_NS6detail17trampoline_kernelINS0_14default_configENS1_25partition_config_selectorILNS1_17partition_subalgoE6EN6thrust23THRUST_200600_302600_NS5tupleIttNS7_9null_typeES9_S9_S9_S9_S9_S9_S9_EENS0_10empty_typeEbEEZZNS1_14partition_implILS5_6ELb0ES3_mNS7_12zip_iteratorINS8_INS7_6detail15normal_iteratorINS7_10device_ptrItEEEESJ_S9_S9_S9_S9_S9_S9_S9_S9_EEEEPSB_SM_NS0_5tupleIJNSE_INS8_ISJ_NS7_16discard_iteratorINS7_11use_defaultEEES9_S9_S9_S9_S9_S9_S9_S9_EEEESB_EEENSN_IJSM_SM_EEESB_PlJNSF_9not_fun_tINSF_14equal_to_valueISA_EEEEEEE10hipError_tPvRmT3_T4_T5_T6_T7_T9_mT8_P12ihipStream_tbDpT10_ENKUlT_T0_E_clISt17integral_constantIbLb1EES1I_IbLb0EEEEDaS1E_S1F_EUlS1E_E_NS1_11comp_targetILNS1_3genE4ELNS1_11target_archE910ELNS1_3gpuE8ELNS1_3repE0EEENS1_30default_config_static_selectorELNS0_4arch9wavefront6targetE0EEEvT1_.has_recursion, 0
	.set _ZN7rocprim17ROCPRIM_400000_NS6detail17trampoline_kernelINS0_14default_configENS1_25partition_config_selectorILNS1_17partition_subalgoE6EN6thrust23THRUST_200600_302600_NS5tupleIttNS7_9null_typeES9_S9_S9_S9_S9_S9_S9_EENS0_10empty_typeEbEEZZNS1_14partition_implILS5_6ELb0ES3_mNS7_12zip_iteratorINS8_INS7_6detail15normal_iteratorINS7_10device_ptrItEEEESJ_S9_S9_S9_S9_S9_S9_S9_S9_EEEEPSB_SM_NS0_5tupleIJNSE_INS8_ISJ_NS7_16discard_iteratorINS7_11use_defaultEEES9_S9_S9_S9_S9_S9_S9_S9_EEEESB_EEENSN_IJSM_SM_EEESB_PlJNSF_9not_fun_tINSF_14equal_to_valueISA_EEEEEEE10hipError_tPvRmT3_T4_T5_T6_T7_T9_mT8_P12ihipStream_tbDpT10_ENKUlT_T0_E_clISt17integral_constantIbLb1EES1I_IbLb0EEEEDaS1E_S1F_EUlS1E_E_NS1_11comp_targetILNS1_3genE4ELNS1_11target_archE910ELNS1_3gpuE8ELNS1_3repE0EEENS1_30default_config_static_selectorELNS0_4arch9wavefront6targetE0EEEvT1_.has_indirect_call, 0
	.section	.AMDGPU.csdata,"",@progbits
; Kernel info:
; codeLenInByte = 0
; TotalNumSgprs: 0
; NumVgprs: 0
; ScratchSize: 0
; MemoryBound: 0
; FloatMode: 240
; IeeeMode: 1
; LDSByteSize: 0 bytes/workgroup (compile time only)
; SGPRBlocks: 0
; VGPRBlocks: 0
; NumSGPRsForWavesPerEU: 1
; NumVGPRsForWavesPerEU: 1
; Occupancy: 16
; WaveLimiterHint : 0
; COMPUTE_PGM_RSRC2:SCRATCH_EN: 0
; COMPUTE_PGM_RSRC2:USER_SGPR: 2
; COMPUTE_PGM_RSRC2:TRAP_HANDLER: 0
; COMPUTE_PGM_RSRC2:TGID_X_EN: 1
; COMPUTE_PGM_RSRC2:TGID_Y_EN: 0
; COMPUTE_PGM_RSRC2:TGID_Z_EN: 0
; COMPUTE_PGM_RSRC2:TIDIG_COMP_CNT: 0
	.section	.text._ZN7rocprim17ROCPRIM_400000_NS6detail17trampoline_kernelINS0_14default_configENS1_25partition_config_selectorILNS1_17partition_subalgoE6EN6thrust23THRUST_200600_302600_NS5tupleIttNS7_9null_typeES9_S9_S9_S9_S9_S9_S9_EENS0_10empty_typeEbEEZZNS1_14partition_implILS5_6ELb0ES3_mNS7_12zip_iteratorINS8_INS7_6detail15normal_iteratorINS7_10device_ptrItEEEESJ_S9_S9_S9_S9_S9_S9_S9_S9_EEEEPSB_SM_NS0_5tupleIJNSE_INS8_ISJ_NS7_16discard_iteratorINS7_11use_defaultEEES9_S9_S9_S9_S9_S9_S9_S9_EEEESB_EEENSN_IJSM_SM_EEESB_PlJNSF_9not_fun_tINSF_14equal_to_valueISA_EEEEEEE10hipError_tPvRmT3_T4_T5_T6_T7_T9_mT8_P12ihipStream_tbDpT10_ENKUlT_T0_E_clISt17integral_constantIbLb1EES1I_IbLb0EEEEDaS1E_S1F_EUlS1E_E_NS1_11comp_targetILNS1_3genE3ELNS1_11target_archE908ELNS1_3gpuE7ELNS1_3repE0EEENS1_30default_config_static_selectorELNS0_4arch9wavefront6targetE0EEEvT1_,"axG",@progbits,_ZN7rocprim17ROCPRIM_400000_NS6detail17trampoline_kernelINS0_14default_configENS1_25partition_config_selectorILNS1_17partition_subalgoE6EN6thrust23THRUST_200600_302600_NS5tupleIttNS7_9null_typeES9_S9_S9_S9_S9_S9_S9_EENS0_10empty_typeEbEEZZNS1_14partition_implILS5_6ELb0ES3_mNS7_12zip_iteratorINS8_INS7_6detail15normal_iteratorINS7_10device_ptrItEEEESJ_S9_S9_S9_S9_S9_S9_S9_S9_EEEEPSB_SM_NS0_5tupleIJNSE_INS8_ISJ_NS7_16discard_iteratorINS7_11use_defaultEEES9_S9_S9_S9_S9_S9_S9_S9_EEEESB_EEENSN_IJSM_SM_EEESB_PlJNSF_9not_fun_tINSF_14equal_to_valueISA_EEEEEEE10hipError_tPvRmT3_T4_T5_T6_T7_T9_mT8_P12ihipStream_tbDpT10_ENKUlT_T0_E_clISt17integral_constantIbLb1EES1I_IbLb0EEEEDaS1E_S1F_EUlS1E_E_NS1_11comp_targetILNS1_3genE3ELNS1_11target_archE908ELNS1_3gpuE7ELNS1_3repE0EEENS1_30default_config_static_selectorELNS0_4arch9wavefront6targetE0EEEvT1_,comdat
	.protected	_ZN7rocprim17ROCPRIM_400000_NS6detail17trampoline_kernelINS0_14default_configENS1_25partition_config_selectorILNS1_17partition_subalgoE6EN6thrust23THRUST_200600_302600_NS5tupleIttNS7_9null_typeES9_S9_S9_S9_S9_S9_S9_EENS0_10empty_typeEbEEZZNS1_14partition_implILS5_6ELb0ES3_mNS7_12zip_iteratorINS8_INS7_6detail15normal_iteratorINS7_10device_ptrItEEEESJ_S9_S9_S9_S9_S9_S9_S9_S9_EEEEPSB_SM_NS0_5tupleIJNSE_INS8_ISJ_NS7_16discard_iteratorINS7_11use_defaultEEES9_S9_S9_S9_S9_S9_S9_S9_EEEESB_EEENSN_IJSM_SM_EEESB_PlJNSF_9not_fun_tINSF_14equal_to_valueISA_EEEEEEE10hipError_tPvRmT3_T4_T5_T6_T7_T9_mT8_P12ihipStream_tbDpT10_ENKUlT_T0_E_clISt17integral_constantIbLb1EES1I_IbLb0EEEEDaS1E_S1F_EUlS1E_E_NS1_11comp_targetILNS1_3genE3ELNS1_11target_archE908ELNS1_3gpuE7ELNS1_3repE0EEENS1_30default_config_static_selectorELNS0_4arch9wavefront6targetE0EEEvT1_ ; -- Begin function _ZN7rocprim17ROCPRIM_400000_NS6detail17trampoline_kernelINS0_14default_configENS1_25partition_config_selectorILNS1_17partition_subalgoE6EN6thrust23THRUST_200600_302600_NS5tupleIttNS7_9null_typeES9_S9_S9_S9_S9_S9_S9_EENS0_10empty_typeEbEEZZNS1_14partition_implILS5_6ELb0ES3_mNS7_12zip_iteratorINS8_INS7_6detail15normal_iteratorINS7_10device_ptrItEEEESJ_S9_S9_S9_S9_S9_S9_S9_S9_EEEEPSB_SM_NS0_5tupleIJNSE_INS8_ISJ_NS7_16discard_iteratorINS7_11use_defaultEEES9_S9_S9_S9_S9_S9_S9_S9_EEEESB_EEENSN_IJSM_SM_EEESB_PlJNSF_9not_fun_tINSF_14equal_to_valueISA_EEEEEEE10hipError_tPvRmT3_T4_T5_T6_T7_T9_mT8_P12ihipStream_tbDpT10_ENKUlT_T0_E_clISt17integral_constantIbLb1EES1I_IbLb0EEEEDaS1E_S1F_EUlS1E_E_NS1_11comp_targetILNS1_3genE3ELNS1_11target_archE908ELNS1_3gpuE7ELNS1_3repE0EEENS1_30default_config_static_selectorELNS0_4arch9wavefront6targetE0EEEvT1_
	.globl	_ZN7rocprim17ROCPRIM_400000_NS6detail17trampoline_kernelINS0_14default_configENS1_25partition_config_selectorILNS1_17partition_subalgoE6EN6thrust23THRUST_200600_302600_NS5tupleIttNS7_9null_typeES9_S9_S9_S9_S9_S9_S9_EENS0_10empty_typeEbEEZZNS1_14partition_implILS5_6ELb0ES3_mNS7_12zip_iteratorINS8_INS7_6detail15normal_iteratorINS7_10device_ptrItEEEESJ_S9_S9_S9_S9_S9_S9_S9_S9_EEEEPSB_SM_NS0_5tupleIJNSE_INS8_ISJ_NS7_16discard_iteratorINS7_11use_defaultEEES9_S9_S9_S9_S9_S9_S9_S9_EEEESB_EEENSN_IJSM_SM_EEESB_PlJNSF_9not_fun_tINSF_14equal_to_valueISA_EEEEEEE10hipError_tPvRmT3_T4_T5_T6_T7_T9_mT8_P12ihipStream_tbDpT10_ENKUlT_T0_E_clISt17integral_constantIbLb1EES1I_IbLb0EEEEDaS1E_S1F_EUlS1E_E_NS1_11comp_targetILNS1_3genE3ELNS1_11target_archE908ELNS1_3gpuE7ELNS1_3repE0EEENS1_30default_config_static_selectorELNS0_4arch9wavefront6targetE0EEEvT1_
	.p2align	8
	.type	_ZN7rocprim17ROCPRIM_400000_NS6detail17trampoline_kernelINS0_14default_configENS1_25partition_config_selectorILNS1_17partition_subalgoE6EN6thrust23THRUST_200600_302600_NS5tupleIttNS7_9null_typeES9_S9_S9_S9_S9_S9_S9_EENS0_10empty_typeEbEEZZNS1_14partition_implILS5_6ELb0ES3_mNS7_12zip_iteratorINS8_INS7_6detail15normal_iteratorINS7_10device_ptrItEEEESJ_S9_S9_S9_S9_S9_S9_S9_S9_EEEEPSB_SM_NS0_5tupleIJNSE_INS8_ISJ_NS7_16discard_iteratorINS7_11use_defaultEEES9_S9_S9_S9_S9_S9_S9_S9_EEEESB_EEENSN_IJSM_SM_EEESB_PlJNSF_9not_fun_tINSF_14equal_to_valueISA_EEEEEEE10hipError_tPvRmT3_T4_T5_T6_T7_T9_mT8_P12ihipStream_tbDpT10_ENKUlT_T0_E_clISt17integral_constantIbLb1EES1I_IbLb0EEEEDaS1E_S1F_EUlS1E_E_NS1_11comp_targetILNS1_3genE3ELNS1_11target_archE908ELNS1_3gpuE7ELNS1_3repE0EEENS1_30default_config_static_selectorELNS0_4arch9wavefront6targetE0EEEvT1_,@function
_ZN7rocprim17ROCPRIM_400000_NS6detail17trampoline_kernelINS0_14default_configENS1_25partition_config_selectorILNS1_17partition_subalgoE6EN6thrust23THRUST_200600_302600_NS5tupleIttNS7_9null_typeES9_S9_S9_S9_S9_S9_S9_EENS0_10empty_typeEbEEZZNS1_14partition_implILS5_6ELb0ES3_mNS7_12zip_iteratorINS8_INS7_6detail15normal_iteratorINS7_10device_ptrItEEEESJ_S9_S9_S9_S9_S9_S9_S9_S9_EEEEPSB_SM_NS0_5tupleIJNSE_INS8_ISJ_NS7_16discard_iteratorINS7_11use_defaultEEES9_S9_S9_S9_S9_S9_S9_S9_EEEESB_EEENSN_IJSM_SM_EEESB_PlJNSF_9not_fun_tINSF_14equal_to_valueISA_EEEEEEE10hipError_tPvRmT3_T4_T5_T6_T7_T9_mT8_P12ihipStream_tbDpT10_ENKUlT_T0_E_clISt17integral_constantIbLb1EES1I_IbLb0EEEEDaS1E_S1F_EUlS1E_E_NS1_11comp_targetILNS1_3genE3ELNS1_11target_archE908ELNS1_3gpuE7ELNS1_3repE0EEENS1_30default_config_static_selectorELNS0_4arch9wavefront6targetE0EEEvT1_: ; @_ZN7rocprim17ROCPRIM_400000_NS6detail17trampoline_kernelINS0_14default_configENS1_25partition_config_selectorILNS1_17partition_subalgoE6EN6thrust23THRUST_200600_302600_NS5tupleIttNS7_9null_typeES9_S9_S9_S9_S9_S9_S9_EENS0_10empty_typeEbEEZZNS1_14partition_implILS5_6ELb0ES3_mNS7_12zip_iteratorINS8_INS7_6detail15normal_iteratorINS7_10device_ptrItEEEESJ_S9_S9_S9_S9_S9_S9_S9_S9_EEEEPSB_SM_NS0_5tupleIJNSE_INS8_ISJ_NS7_16discard_iteratorINS7_11use_defaultEEES9_S9_S9_S9_S9_S9_S9_S9_EEEESB_EEENSN_IJSM_SM_EEESB_PlJNSF_9not_fun_tINSF_14equal_to_valueISA_EEEEEEE10hipError_tPvRmT3_T4_T5_T6_T7_T9_mT8_P12ihipStream_tbDpT10_ENKUlT_T0_E_clISt17integral_constantIbLb1EES1I_IbLb0EEEEDaS1E_S1F_EUlS1E_E_NS1_11comp_targetILNS1_3genE3ELNS1_11target_archE908ELNS1_3gpuE7ELNS1_3repE0EEENS1_30default_config_static_selectorELNS0_4arch9wavefront6targetE0EEEvT1_
; %bb.0:
	.section	.rodata,"a",@progbits
	.p2align	6, 0x0
	.amdhsa_kernel _ZN7rocprim17ROCPRIM_400000_NS6detail17trampoline_kernelINS0_14default_configENS1_25partition_config_selectorILNS1_17partition_subalgoE6EN6thrust23THRUST_200600_302600_NS5tupleIttNS7_9null_typeES9_S9_S9_S9_S9_S9_S9_EENS0_10empty_typeEbEEZZNS1_14partition_implILS5_6ELb0ES3_mNS7_12zip_iteratorINS8_INS7_6detail15normal_iteratorINS7_10device_ptrItEEEESJ_S9_S9_S9_S9_S9_S9_S9_S9_EEEEPSB_SM_NS0_5tupleIJNSE_INS8_ISJ_NS7_16discard_iteratorINS7_11use_defaultEEES9_S9_S9_S9_S9_S9_S9_S9_EEEESB_EEENSN_IJSM_SM_EEESB_PlJNSF_9not_fun_tINSF_14equal_to_valueISA_EEEEEEE10hipError_tPvRmT3_T4_T5_T6_T7_T9_mT8_P12ihipStream_tbDpT10_ENKUlT_T0_E_clISt17integral_constantIbLb1EES1I_IbLb0EEEEDaS1E_S1F_EUlS1E_E_NS1_11comp_targetILNS1_3genE3ELNS1_11target_archE908ELNS1_3gpuE7ELNS1_3repE0EEENS1_30default_config_static_selectorELNS0_4arch9wavefront6targetE0EEEvT1_
		.amdhsa_group_segment_fixed_size 0
		.amdhsa_private_segment_fixed_size 0
		.amdhsa_kernarg_size 144
		.amdhsa_user_sgpr_count 2
		.amdhsa_user_sgpr_dispatch_ptr 0
		.amdhsa_user_sgpr_queue_ptr 0
		.amdhsa_user_sgpr_kernarg_segment_ptr 1
		.amdhsa_user_sgpr_dispatch_id 0
		.amdhsa_user_sgpr_private_segment_size 0
		.amdhsa_wavefront_size32 1
		.amdhsa_uses_dynamic_stack 0
		.amdhsa_enable_private_segment 0
		.amdhsa_system_sgpr_workgroup_id_x 1
		.amdhsa_system_sgpr_workgroup_id_y 0
		.amdhsa_system_sgpr_workgroup_id_z 0
		.amdhsa_system_sgpr_workgroup_info 0
		.amdhsa_system_vgpr_workitem_id 0
		.amdhsa_next_free_vgpr 1
		.amdhsa_next_free_sgpr 1
		.amdhsa_reserve_vcc 0
		.amdhsa_float_round_mode_32 0
		.amdhsa_float_round_mode_16_64 0
		.amdhsa_float_denorm_mode_32 3
		.amdhsa_float_denorm_mode_16_64 3
		.amdhsa_fp16_overflow 0
		.amdhsa_workgroup_processor_mode 1
		.amdhsa_memory_ordered 1
		.amdhsa_forward_progress 1
		.amdhsa_inst_pref_size 0
		.amdhsa_round_robin_scheduling 0
		.amdhsa_exception_fp_ieee_invalid_op 0
		.amdhsa_exception_fp_denorm_src 0
		.amdhsa_exception_fp_ieee_div_zero 0
		.amdhsa_exception_fp_ieee_overflow 0
		.amdhsa_exception_fp_ieee_underflow 0
		.amdhsa_exception_fp_ieee_inexact 0
		.amdhsa_exception_int_div_zero 0
	.end_amdhsa_kernel
	.section	.text._ZN7rocprim17ROCPRIM_400000_NS6detail17trampoline_kernelINS0_14default_configENS1_25partition_config_selectorILNS1_17partition_subalgoE6EN6thrust23THRUST_200600_302600_NS5tupleIttNS7_9null_typeES9_S9_S9_S9_S9_S9_S9_EENS0_10empty_typeEbEEZZNS1_14partition_implILS5_6ELb0ES3_mNS7_12zip_iteratorINS8_INS7_6detail15normal_iteratorINS7_10device_ptrItEEEESJ_S9_S9_S9_S9_S9_S9_S9_S9_EEEEPSB_SM_NS0_5tupleIJNSE_INS8_ISJ_NS7_16discard_iteratorINS7_11use_defaultEEES9_S9_S9_S9_S9_S9_S9_S9_EEEESB_EEENSN_IJSM_SM_EEESB_PlJNSF_9not_fun_tINSF_14equal_to_valueISA_EEEEEEE10hipError_tPvRmT3_T4_T5_T6_T7_T9_mT8_P12ihipStream_tbDpT10_ENKUlT_T0_E_clISt17integral_constantIbLb1EES1I_IbLb0EEEEDaS1E_S1F_EUlS1E_E_NS1_11comp_targetILNS1_3genE3ELNS1_11target_archE908ELNS1_3gpuE7ELNS1_3repE0EEENS1_30default_config_static_selectorELNS0_4arch9wavefront6targetE0EEEvT1_,"axG",@progbits,_ZN7rocprim17ROCPRIM_400000_NS6detail17trampoline_kernelINS0_14default_configENS1_25partition_config_selectorILNS1_17partition_subalgoE6EN6thrust23THRUST_200600_302600_NS5tupleIttNS7_9null_typeES9_S9_S9_S9_S9_S9_S9_EENS0_10empty_typeEbEEZZNS1_14partition_implILS5_6ELb0ES3_mNS7_12zip_iteratorINS8_INS7_6detail15normal_iteratorINS7_10device_ptrItEEEESJ_S9_S9_S9_S9_S9_S9_S9_S9_EEEEPSB_SM_NS0_5tupleIJNSE_INS8_ISJ_NS7_16discard_iteratorINS7_11use_defaultEEES9_S9_S9_S9_S9_S9_S9_S9_EEEESB_EEENSN_IJSM_SM_EEESB_PlJNSF_9not_fun_tINSF_14equal_to_valueISA_EEEEEEE10hipError_tPvRmT3_T4_T5_T6_T7_T9_mT8_P12ihipStream_tbDpT10_ENKUlT_T0_E_clISt17integral_constantIbLb1EES1I_IbLb0EEEEDaS1E_S1F_EUlS1E_E_NS1_11comp_targetILNS1_3genE3ELNS1_11target_archE908ELNS1_3gpuE7ELNS1_3repE0EEENS1_30default_config_static_selectorELNS0_4arch9wavefront6targetE0EEEvT1_,comdat
.Lfunc_end1968:
	.size	_ZN7rocprim17ROCPRIM_400000_NS6detail17trampoline_kernelINS0_14default_configENS1_25partition_config_selectorILNS1_17partition_subalgoE6EN6thrust23THRUST_200600_302600_NS5tupleIttNS7_9null_typeES9_S9_S9_S9_S9_S9_S9_EENS0_10empty_typeEbEEZZNS1_14partition_implILS5_6ELb0ES3_mNS7_12zip_iteratorINS8_INS7_6detail15normal_iteratorINS7_10device_ptrItEEEESJ_S9_S9_S9_S9_S9_S9_S9_S9_EEEEPSB_SM_NS0_5tupleIJNSE_INS8_ISJ_NS7_16discard_iteratorINS7_11use_defaultEEES9_S9_S9_S9_S9_S9_S9_S9_EEEESB_EEENSN_IJSM_SM_EEESB_PlJNSF_9not_fun_tINSF_14equal_to_valueISA_EEEEEEE10hipError_tPvRmT3_T4_T5_T6_T7_T9_mT8_P12ihipStream_tbDpT10_ENKUlT_T0_E_clISt17integral_constantIbLb1EES1I_IbLb0EEEEDaS1E_S1F_EUlS1E_E_NS1_11comp_targetILNS1_3genE3ELNS1_11target_archE908ELNS1_3gpuE7ELNS1_3repE0EEENS1_30default_config_static_selectorELNS0_4arch9wavefront6targetE0EEEvT1_, .Lfunc_end1968-_ZN7rocprim17ROCPRIM_400000_NS6detail17trampoline_kernelINS0_14default_configENS1_25partition_config_selectorILNS1_17partition_subalgoE6EN6thrust23THRUST_200600_302600_NS5tupleIttNS7_9null_typeES9_S9_S9_S9_S9_S9_S9_EENS0_10empty_typeEbEEZZNS1_14partition_implILS5_6ELb0ES3_mNS7_12zip_iteratorINS8_INS7_6detail15normal_iteratorINS7_10device_ptrItEEEESJ_S9_S9_S9_S9_S9_S9_S9_S9_EEEEPSB_SM_NS0_5tupleIJNSE_INS8_ISJ_NS7_16discard_iteratorINS7_11use_defaultEEES9_S9_S9_S9_S9_S9_S9_S9_EEEESB_EEENSN_IJSM_SM_EEESB_PlJNSF_9not_fun_tINSF_14equal_to_valueISA_EEEEEEE10hipError_tPvRmT3_T4_T5_T6_T7_T9_mT8_P12ihipStream_tbDpT10_ENKUlT_T0_E_clISt17integral_constantIbLb1EES1I_IbLb0EEEEDaS1E_S1F_EUlS1E_E_NS1_11comp_targetILNS1_3genE3ELNS1_11target_archE908ELNS1_3gpuE7ELNS1_3repE0EEENS1_30default_config_static_selectorELNS0_4arch9wavefront6targetE0EEEvT1_
                                        ; -- End function
	.set _ZN7rocprim17ROCPRIM_400000_NS6detail17trampoline_kernelINS0_14default_configENS1_25partition_config_selectorILNS1_17partition_subalgoE6EN6thrust23THRUST_200600_302600_NS5tupleIttNS7_9null_typeES9_S9_S9_S9_S9_S9_S9_EENS0_10empty_typeEbEEZZNS1_14partition_implILS5_6ELb0ES3_mNS7_12zip_iteratorINS8_INS7_6detail15normal_iteratorINS7_10device_ptrItEEEESJ_S9_S9_S9_S9_S9_S9_S9_S9_EEEEPSB_SM_NS0_5tupleIJNSE_INS8_ISJ_NS7_16discard_iteratorINS7_11use_defaultEEES9_S9_S9_S9_S9_S9_S9_S9_EEEESB_EEENSN_IJSM_SM_EEESB_PlJNSF_9not_fun_tINSF_14equal_to_valueISA_EEEEEEE10hipError_tPvRmT3_T4_T5_T6_T7_T9_mT8_P12ihipStream_tbDpT10_ENKUlT_T0_E_clISt17integral_constantIbLb1EES1I_IbLb0EEEEDaS1E_S1F_EUlS1E_E_NS1_11comp_targetILNS1_3genE3ELNS1_11target_archE908ELNS1_3gpuE7ELNS1_3repE0EEENS1_30default_config_static_selectorELNS0_4arch9wavefront6targetE0EEEvT1_.num_vgpr, 0
	.set _ZN7rocprim17ROCPRIM_400000_NS6detail17trampoline_kernelINS0_14default_configENS1_25partition_config_selectorILNS1_17partition_subalgoE6EN6thrust23THRUST_200600_302600_NS5tupleIttNS7_9null_typeES9_S9_S9_S9_S9_S9_S9_EENS0_10empty_typeEbEEZZNS1_14partition_implILS5_6ELb0ES3_mNS7_12zip_iteratorINS8_INS7_6detail15normal_iteratorINS7_10device_ptrItEEEESJ_S9_S9_S9_S9_S9_S9_S9_S9_EEEEPSB_SM_NS0_5tupleIJNSE_INS8_ISJ_NS7_16discard_iteratorINS7_11use_defaultEEES9_S9_S9_S9_S9_S9_S9_S9_EEEESB_EEENSN_IJSM_SM_EEESB_PlJNSF_9not_fun_tINSF_14equal_to_valueISA_EEEEEEE10hipError_tPvRmT3_T4_T5_T6_T7_T9_mT8_P12ihipStream_tbDpT10_ENKUlT_T0_E_clISt17integral_constantIbLb1EES1I_IbLb0EEEEDaS1E_S1F_EUlS1E_E_NS1_11comp_targetILNS1_3genE3ELNS1_11target_archE908ELNS1_3gpuE7ELNS1_3repE0EEENS1_30default_config_static_selectorELNS0_4arch9wavefront6targetE0EEEvT1_.num_agpr, 0
	.set _ZN7rocprim17ROCPRIM_400000_NS6detail17trampoline_kernelINS0_14default_configENS1_25partition_config_selectorILNS1_17partition_subalgoE6EN6thrust23THRUST_200600_302600_NS5tupleIttNS7_9null_typeES9_S9_S9_S9_S9_S9_S9_EENS0_10empty_typeEbEEZZNS1_14partition_implILS5_6ELb0ES3_mNS7_12zip_iteratorINS8_INS7_6detail15normal_iteratorINS7_10device_ptrItEEEESJ_S9_S9_S9_S9_S9_S9_S9_S9_EEEEPSB_SM_NS0_5tupleIJNSE_INS8_ISJ_NS7_16discard_iteratorINS7_11use_defaultEEES9_S9_S9_S9_S9_S9_S9_S9_EEEESB_EEENSN_IJSM_SM_EEESB_PlJNSF_9not_fun_tINSF_14equal_to_valueISA_EEEEEEE10hipError_tPvRmT3_T4_T5_T6_T7_T9_mT8_P12ihipStream_tbDpT10_ENKUlT_T0_E_clISt17integral_constantIbLb1EES1I_IbLb0EEEEDaS1E_S1F_EUlS1E_E_NS1_11comp_targetILNS1_3genE3ELNS1_11target_archE908ELNS1_3gpuE7ELNS1_3repE0EEENS1_30default_config_static_selectorELNS0_4arch9wavefront6targetE0EEEvT1_.numbered_sgpr, 0
	.set _ZN7rocprim17ROCPRIM_400000_NS6detail17trampoline_kernelINS0_14default_configENS1_25partition_config_selectorILNS1_17partition_subalgoE6EN6thrust23THRUST_200600_302600_NS5tupleIttNS7_9null_typeES9_S9_S9_S9_S9_S9_S9_EENS0_10empty_typeEbEEZZNS1_14partition_implILS5_6ELb0ES3_mNS7_12zip_iteratorINS8_INS7_6detail15normal_iteratorINS7_10device_ptrItEEEESJ_S9_S9_S9_S9_S9_S9_S9_S9_EEEEPSB_SM_NS0_5tupleIJNSE_INS8_ISJ_NS7_16discard_iteratorINS7_11use_defaultEEES9_S9_S9_S9_S9_S9_S9_S9_EEEESB_EEENSN_IJSM_SM_EEESB_PlJNSF_9not_fun_tINSF_14equal_to_valueISA_EEEEEEE10hipError_tPvRmT3_T4_T5_T6_T7_T9_mT8_P12ihipStream_tbDpT10_ENKUlT_T0_E_clISt17integral_constantIbLb1EES1I_IbLb0EEEEDaS1E_S1F_EUlS1E_E_NS1_11comp_targetILNS1_3genE3ELNS1_11target_archE908ELNS1_3gpuE7ELNS1_3repE0EEENS1_30default_config_static_selectorELNS0_4arch9wavefront6targetE0EEEvT1_.num_named_barrier, 0
	.set _ZN7rocprim17ROCPRIM_400000_NS6detail17trampoline_kernelINS0_14default_configENS1_25partition_config_selectorILNS1_17partition_subalgoE6EN6thrust23THRUST_200600_302600_NS5tupleIttNS7_9null_typeES9_S9_S9_S9_S9_S9_S9_EENS0_10empty_typeEbEEZZNS1_14partition_implILS5_6ELb0ES3_mNS7_12zip_iteratorINS8_INS7_6detail15normal_iteratorINS7_10device_ptrItEEEESJ_S9_S9_S9_S9_S9_S9_S9_S9_EEEEPSB_SM_NS0_5tupleIJNSE_INS8_ISJ_NS7_16discard_iteratorINS7_11use_defaultEEES9_S9_S9_S9_S9_S9_S9_S9_EEEESB_EEENSN_IJSM_SM_EEESB_PlJNSF_9not_fun_tINSF_14equal_to_valueISA_EEEEEEE10hipError_tPvRmT3_T4_T5_T6_T7_T9_mT8_P12ihipStream_tbDpT10_ENKUlT_T0_E_clISt17integral_constantIbLb1EES1I_IbLb0EEEEDaS1E_S1F_EUlS1E_E_NS1_11comp_targetILNS1_3genE3ELNS1_11target_archE908ELNS1_3gpuE7ELNS1_3repE0EEENS1_30default_config_static_selectorELNS0_4arch9wavefront6targetE0EEEvT1_.private_seg_size, 0
	.set _ZN7rocprim17ROCPRIM_400000_NS6detail17trampoline_kernelINS0_14default_configENS1_25partition_config_selectorILNS1_17partition_subalgoE6EN6thrust23THRUST_200600_302600_NS5tupleIttNS7_9null_typeES9_S9_S9_S9_S9_S9_S9_EENS0_10empty_typeEbEEZZNS1_14partition_implILS5_6ELb0ES3_mNS7_12zip_iteratorINS8_INS7_6detail15normal_iteratorINS7_10device_ptrItEEEESJ_S9_S9_S9_S9_S9_S9_S9_S9_EEEEPSB_SM_NS0_5tupleIJNSE_INS8_ISJ_NS7_16discard_iteratorINS7_11use_defaultEEES9_S9_S9_S9_S9_S9_S9_S9_EEEESB_EEENSN_IJSM_SM_EEESB_PlJNSF_9not_fun_tINSF_14equal_to_valueISA_EEEEEEE10hipError_tPvRmT3_T4_T5_T6_T7_T9_mT8_P12ihipStream_tbDpT10_ENKUlT_T0_E_clISt17integral_constantIbLb1EES1I_IbLb0EEEEDaS1E_S1F_EUlS1E_E_NS1_11comp_targetILNS1_3genE3ELNS1_11target_archE908ELNS1_3gpuE7ELNS1_3repE0EEENS1_30default_config_static_selectorELNS0_4arch9wavefront6targetE0EEEvT1_.uses_vcc, 0
	.set _ZN7rocprim17ROCPRIM_400000_NS6detail17trampoline_kernelINS0_14default_configENS1_25partition_config_selectorILNS1_17partition_subalgoE6EN6thrust23THRUST_200600_302600_NS5tupleIttNS7_9null_typeES9_S9_S9_S9_S9_S9_S9_EENS0_10empty_typeEbEEZZNS1_14partition_implILS5_6ELb0ES3_mNS7_12zip_iteratorINS8_INS7_6detail15normal_iteratorINS7_10device_ptrItEEEESJ_S9_S9_S9_S9_S9_S9_S9_S9_EEEEPSB_SM_NS0_5tupleIJNSE_INS8_ISJ_NS7_16discard_iteratorINS7_11use_defaultEEES9_S9_S9_S9_S9_S9_S9_S9_EEEESB_EEENSN_IJSM_SM_EEESB_PlJNSF_9not_fun_tINSF_14equal_to_valueISA_EEEEEEE10hipError_tPvRmT3_T4_T5_T6_T7_T9_mT8_P12ihipStream_tbDpT10_ENKUlT_T0_E_clISt17integral_constantIbLb1EES1I_IbLb0EEEEDaS1E_S1F_EUlS1E_E_NS1_11comp_targetILNS1_3genE3ELNS1_11target_archE908ELNS1_3gpuE7ELNS1_3repE0EEENS1_30default_config_static_selectorELNS0_4arch9wavefront6targetE0EEEvT1_.uses_flat_scratch, 0
	.set _ZN7rocprim17ROCPRIM_400000_NS6detail17trampoline_kernelINS0_14default_configENS1_25partition_config_selectorILNS1_17partition_subalgoE6EN6thrust23THRUST_200600_302600_NS5tupleIttNS7_9null_typeES9_S9_S9_S9_S9_S9_S9_EENS0_10empty_typeEbEEZZNS1_14partition_implILS5_6ELb0ES3_mNS7_12zip_iteratorINS8_INS7_6detail15normal_iteratorINS7_10device_ptrItEEEESJ_S9_S9_S9_S9_S9_S9_S9_S9_EEEEPSB_SM_NS0_5tupleIJNSE_INS8_ISJ_NS7_16discard_iteratorINS7_11use_defaultEEES9_S9_S9_S9_S9_S9_S9_S9_EEEESB_EEENSN_IJSM_SM_EEESB_PlJNSF_9not_fun_tINSF_14equal_to_valueISA_EEEEEEE10hipError_tPvRmT3_T4_T5_T6_T7_T9_mT8_P12ihipStream_tbDpT10_ENKUlT_T0_E_clISt17integral_constantIbLb1EES1I_IbLb0EEEEDaS1E_S1F_EUlS1E_E_NS1_11comp_targetILNS1_3genE3ELNS1_11target_archE908ELNS1_3gpuE7ELNS1_3repE0EEENS1_30default_config_static_selectorELNS0_4arch9wavefront6targetE0EEEvT1_.has_dyn_sized_stack, 0
	.set _ZN7rocprim17ROCPRIM_400000_NS6detail17trampoline_kernelINS0_14default_configENS1_25partition_config_selectorILNS1_17partition_subalgoE6EN6thrust23THRUST_200600_302600_NS5tupleIttNS7_9null_typeES9_S9_S9_S9_S9_S9_S9_EENS0_10empty_typeEbEEZZNS1_14partition_implILS5_6ELb0ES3_mNS7_12zip_iteratorINS8_INS7_6detail15normal_iteratorINS7_10device_ptrItEEEESJ_S9_S9_S9_S9_S9_S9_S9_S9_EEEEPSB_SM_NS0_5tupleIJNSE_INS8_ISJ_NS7_16discard_iteratorINS7_11use_defaultEEES9_S9_S9_S9_S9_S9_S9_S9_EEEESB_EEENSN_IJSM_SM_EEESB_PlJNSF_9not_fun_tINSF_14equal_to_valueISA_EEEEEEE10hipError_tPvRmT3_T4_T5_T6_T7_T9_mT8_P12ihipStream_tbDpT10_ENKUlT_T0_E_clISt17integral_constantIbLb1EES1I_IbLb0EEEEDaS1E_S1F_EUlS1E_E_NS1_11comp_targetILNS1_3genE3ELNS1_11target_archE908ELNS1_3gpuE7ELNS1_3repE0EEENS1_30default_config_static_selectorELNS0_4arch9wavefront6targetE0EEEvT1_.has_recursion, 0
	.set _ZN7rocprim17ROCPRIM_400000_NS6detail17trampoline_kernelINS0_14default_configENS1_25partition_config_selectorILNS1_17partition_subalgoE6EN6thrust23THRUST_200600_302600_NS5tupleIttNS7_9null_typeES9_S9_S9_S9_S9_S9_S9_EENS0_10empty_typeEbEEZZNS1_14partition_implILS5_6ELb0ES3_mNS7_12zip_iteratorINS8_INS7_6detail15normal_iteratorINS7_10device_ptrItEEEESJ_S9_S9_S9_S9_S9_S9_S9_S9_EEEEPSB_SM_NS0_5tupleIJNSE_INS8_ISJ_NS7_16discard_iteratorINS7_11use_defaultEEES9_S9_S9_S9_S9_S9_S9_S9_EEEESB_EEENSN_IJSM_SM_EEESB_PlJNSF_9not_fun_tINSF_14equal_to_valueISA_EEEEEEE10hipError_tPvRmT3_T4_T5_T6_T7_T9_mT8_P12ihipStream_tbDpT10_ENKUlT_T0_E_clISt17integral_constantIbLb1EES1I_IbLb0EEEEDaS1E_S1F_EUlS1E_E_NS1_11comp_targetILNS1_3genE3ELNS1_11target_archE908ELNS1_3gpuE7ELNS1_3repE0EEENS1_30default_config_static_selectorELNS0_4arch9wavefront6targetE0EEEvT1_.has_indirect_call, 0
	.section	.AMDGPU.csdata,"",@progbits
; Kernel info:
; codeLenInByte = 0
; TotalNumSgprs: 0
; NumVgprs: 0
; ScratchSize: 0
; MemoryBound: 0
; FloatMode: 240
; IeeeMode: 1
; LDSByteSize: 0 bytes/workgroup (compile time only)
; SGPRBlocks: 0
; VGPRBlocks: 0
; NumSGPRsForWavesPerEU: 1
; NumVGPRsForWavesPerEU: 1
; Occupancy: 16
; WaveLimiterHint : 0
; COMPUTE_PGM_RSRC2:SCRATCH_EN: 0
; COMPUTE_PGM_RSRC2:USER_SGPR: 2
; COMPUTE_PGM_RSRC2:TRAP_HANDLER: 0
; COMPUTE_PGM_RSRC2:TGID_X_EN: 1
; COMPUTE_PGM_RSRC2:TGID_Y_EN: 0
; COMPUTE_PGM_RSRC2:TGID_Z_EN: 0
; COMPUTE_PGM_RSRC2:TIDIG_COMP_CNT: 0
	.section	.text._ZN7rocprim17ROCPRIM_400000_NS6detail17trampoline_kernelINS0_14default_configENS1_25partition_config_selectorILNS1_17partition_subalgoE6EN6thrust23THRUST_200600_302600_NS5tupleIttNS7_9null_typeES9_S9_S9_S9_S9_S9_S9_EENS0_10empty_typeEbEEZZNS1_14partition_implILS5_6ELb0ES3_mNS7_12zip_iteratorINS8_INS7_6detail15normal_iteratorINS7_10device_ptrItEEEESJ_S9_S9_S9_S9_S9_S9_S9_S9_EEEEPSB_SM_NS0_5tupleIJNSE_INS8_ISJ_NS7_16discard_iteratorINS7_11use_defaultEEES9_S9_S9_S9_S9_S9_S9_S9_EEEESB_EEENSN_IJSM_SM_EEESB_PlJNSF_9not_fun_tINSF_14equal_to_valueISA_EEEEEEE10hipError_tPvRmT3_T4_T5_T6_T7_T9_mT8_P12ihipStream_tbDpT10_ENKUlT_T0_E_clISt17integral_constantIbLb1EES1I_IbLb0EEEEDaS1E_S1F_EUlS1E_E_NS1_11comp_targetILNS1_3genE2ELNS1_11target_archE906ELNS1_3gpuE6ELNS1_3repE0EEENS1_30default_config_static_selectorELNS0_4arch9wavefront6targetE0EEEvT1_,"axG",@progbits,_ZN7rocprim17ROCPRIM_400000_NS6detail17trampoline_kernelINS0_14default_configENS1_25partition_config_selectorILNS1_17partition_subalgoE6EN6thrust23THRUST_200600_302600_NS5tupleIttNS7_9null_typeES9_S9_S9_S9_S9_S9_S9_EENS0_10empty_typeEbEEZZNS1_14partition_implILS5_6ELb0ES3_mNS7_12zip_iteratorINS8_INS7_6detail15normal_iteratorINS7_10device_ptrItEEEESJ_S9_S9_S9_S9_S9_S9_S9_S9_EEEEPSB_SM_NS0_5tupleIJNSE_INS8_ISJ_NS7_16discard_iteratorINS7_11use_defaultEEES9_S9_S9_S9_S9_S9_S9_S9_EEEESB_EEENSN_IJSM_SM_EEESB_PlJNSF_9not_fun_tINSF_14equal_to_valueISA_EEEEEEE10hipError_tPvRmT3_T4_T5_T6_T7_T9_mT8_P12ihipStream_tbDpT10_ENKUlT_T0_E_clISt17integral_constantIbLb1EES1I_IbLb0EEEEDaS1E_S1F_EUlS1E_E_NS1_11comp_targetILNS1_3genE2ELNS1_11target_archE906ELNS1_3gpuE6ELNS1_3repE0EEENS1_30default_config_static_selectorELNS0_4arch9wavefront6targetE0EEEvT1_,comdat
	.protected	_ZN7rocprim17ROCPRIM_400000_NS6detail17trampoline_kernelINS0_14default_configENS1_25partition_config_selectorILNS1_17partition_subalgoE6EN6thrust23THRUST_200600_302600_NS5tupleIttNS7_9null_typeES9_S9_S9_S9_S9_S9_S9_EENS0_10empty_typeEbEEZZNS1_14partition_implILS5_6ELb0ES3_mNS7_12zip_iteratorINS8_INS7_6detail15normal_iteratorINS7_10device_ptrItEEEESJ_S9_S9_S9_S9_S9_S9_S9_S9_EEEEPSB_SM_NS0_5tupleIJNSE_INS8_ISJ_NS7_16discard_iteratorINS7_11use_defaultEEES9_S9_S9_S9_S9_S9_S9_S9_EEEESB_EEENSN_IJSM_SM_EEESB_PlJNSF_9not_fun_tINSF_14equal_to_valueISA_EEEEEEE10hipError_tPvRmT3_T4_T5_T6_T7_T9_mT8_P12ihipStream_tbDpT10_ENKUlT_T0_E_clISt17integral_constantIbLb1EES1I_IbLb0EEEEDaS1E_S1F_EUlS1E_E_NS1_11comp_targetILNS1_3genE2ELNS1_11target_archE906ELNS1_3gpuE6ELNS1_3repE0EEENS1_30default_config_static_selectorELNS0_4arch9wavefront6targetE0EEEvT1_ ; -- Begin function _ZN7rocprim17ROCPRIM_400000_NS6detail17trampoline_kernelINS0_14default_configENS1_25partition_config_selectorILNS1_17partition_subalgoE6EN6thrust23THRUST_200600_302600_NS5tupleIttNS7_9null_typeES9_S9_S9_S9_S9_S9_S9_EENS0_10empty_typeEbEEZZNS1_14partition_implILS5_6ELb0ES3_mNS7_12zip_iteratorINS8_INS7_6detail15normal_iteratorINS7_10device_ptrItEEEESJ_S9_S9_S9_S9_S9_S9_S9_S9_EEEEPSB_SM_NS0_5tupleIJNSE_INS8_ISJ_NS7_16discard_iteratorINS7_11use_defaultEEES9_S9_S9_S9_S9_S9_S9_S9_EEEESB_EEENSN_IJSM_SM_EEESB_PlJNSF_9not_fun_tINSF_14equal_to_valueISA_EEEEEEE10hipError_tPvRmT3_T4_T5_T6_T7_T9_mT8_P12ihipStream_tbDpT10_ENKUlT_T0_E_clISt17integral_constantIbLb1EES1I_IbLb0EEEEDaS1E_S1F_EUlS1E_E_NS1_11comp_targetILNS1_3genE2ELNS1_11target_archE906ELNS1_3gpuE6ELNS1_3repE0EEENS1_30default_config_static_selectorELNS0_4arch9wavefront6targetE0EEEvT1_
	.globl	_ZN7rocprim17ROCPRIM_400000_NS6detail17trampoline_kernelINS0_14default_configENS1_25partition_config_selectorILNS1_17partition_subalgoE6EN6thrust23THRUST_200600_302600_NS5tupleIttNS7_9null_typeES9_S9_S9_S9_S9_S9_S9_EENS0_10empty_typeEbEEZZNS1_14partition_implILS5_6ELb0ES3_mNS7_12zip_iteratorINS8_INS7_6detail15normal_iteratorINS7_10device_ptrItEEEESJ_S9_S9_S9_S9_S9_S9_S9_S9_EEEEPSB_SM_NS0_5tupleIJNSE_INS8_ISJ_NS7_16discard_iteratorINS7_11use_defaultEEES9_S9_S9_S9_S9_S9_S9_S9_EEEESB_EEENSN_IJSM_SM_EEESB_PlJNSF_9not_fun_tINSF_14equal_to_valueISA_EEEEEEE10hipError_tPvRmT3_T4_T5_T6_T7_T9_mT8_P12ihipStream_tbDpT10_ENKUlT_T0_E_clISt17integral_constantIbLb1EES1I_IbLb0EEEEDaS1E_S1F_EUlS1E_E_NS1_11comp_targetILNS1_3genE2ELNS1_11target_archE906ELNS1_3gpuE6ELNS1_3repE0EEENS1_30default_config_static_selectorELNS0_4arch9wavefront6targetE0EEEvT1_
	.p2align	8
	.type	_ZN7rocprim17ROCPRIM_400000_NS6detail17trampoline_kernelINS0_14default_configENS1_25partition_config_selectorILNS1_17partition_subalgoE6EN6thrust23THRUST_200600_302600_NS5tupleIttNS7_9null_typeES9_S9_S9_S9_S9_S9_S9_EENS0_10empty_typeEbEEZZNS1_14partition_implILS5_6ELb0ES3_mNS7_12zip_iteratorINS8_INS7_6detail15normal_iteratorINS7_10device_ptrItEEEESJ_S9_S9_S9_S9_S9_S9_S9_S9_EEEEPSB_SM_NS0_5tupleIJNSE_INS8_ISJ_NS7_16discard_iteratorINS7_11use_defaultEEES9_S9_S9_S9_S9_S9_S9_S9_EEEESB_EEENSN_IJSM_SM_EEESB_PlJNSF_9not_fun_tINSF_14equal_to_valueISA_EEEEEEE10hipError_tPvRmT3_T4_T5_T6_T7_T9_mT8_P12ihipStream_tbDpT10_ENKUlT_T0_E_clISt17integral_constantIbLb1EES1I_IbLb0EEEEDaS1E_S1F_EUlS1E_E_NS1_11comp_targetILNS1_3genE2ELNS1_11target_archE906ELNS1_3gpuE6ELNS1_3repE0EEENS1_30default_config_static_selectorELNS0_4arch9wavefront6targetE0EEEvT1_,@function
_ZN7rocprim17ROCPRIM_400000_NS6detail17trampoline_kernelINS0_14default_configENS1_25partition_config_selectorILNS1_17partition_subalgoE6EN6thrust23THRUST_200600_302600_NS5tupleIttNS7_9null_typeES9_S9_S9_S9_S9_S9_S9_EENS0_10empty_typeEbEEZZNS1_14partition_implILS5_6ELb0ES3_mNS7_12zip_iteratorINS8_INS7_6detail15normal_iteratorINS7_10device_ptrItEEEESJ_S9_S9_S9_S9_S9_S9_S9_S9_EEEEPSB_SM_NS0_5tupleIJNSE_INS8_ISJ_NS7_16discard_iteratorINS7_11use_defaultEEES9_S9_S9_S9_S9_S9_S9_S9_EEEESB_EEENSN_IJSM_SM_EEESB_PlJNSF_9not_fun_tINSF_14equal_to_valueISA_EEEEEEE10hipError_tPvRmT3_T4_T5_T6_T7_T9_mT8_P12ihipStream_tbDpT10_ENKUlT_T0_E_clISt17integral_constantIbLb1EES1I_IbLb0EEEEDaS1E_S1F_EUlS1E_E_NS1_11comp_targetILNS1_3genE2ELNS1_11target_archE906ELNS1_3gpuE6ELNS1_3repE0EEENS1_30default_config_static_selectorELNS0_4arch9wavefront6targetE0EEEvT1_: ; @_ZN7rocprim17ROCPRIM_400000_NS6detail17trampoline_kernelINS0_14default_configENS1_25partition_config_selectorILNS1_17partition_subalgoE6EN6thrust23THRUST_200600_302600_NS5tupleIttNS7_9null_typeES9_S9_S9_S9_S9_S9_S9_EENS0_10empty_typeEbEEZZNS1_14partition_implILS5_6ELb0ES3_mNS7_12zip_iteratorINS8_INS7_6detail15normal_iteratorINS7_10device_ptrItEEEESJ_S9_S9_S9_S9_S9_S9_S9_S9_EEEEPSB_SM_NS0_5tupleIJNSE_INS8_ISJ_NS7_16discard_iteratorINS7_11use_defaultEEES9_S9_S9_S9_S9_S9_S9_S9_EEEESB_EEENSN_IJSM_SM_EEESB_PlJNSF_9not_fun_tINSF_14equal_to_valueISA_EEEEEEE10hipError_tPvRmT3_T4_T5_T6_T7_T9_mT8_P12ihipStream_tbDpT10_ENKUlT_T0_E_clISt17integral_constantIbLb1EES1I_IbLb0EEEEDaS1E_S1F_EUlS1E_E_NS1_11comp_targetILNS1_3genE2ELNS1_11target_archE906ELNS1_3gpuE6ELNS1_3repE0EEENS1_30default_config_static_selectorELNS0_4arch9wavefront6targetE0EEEvT1_
; %bb.0:
	.section	.rodata,"a",@progbits
	.p2align	6, 0x0
	.amdhsa_kernel _ZN7rocprim17ROCPRIM_400000_NS6detail17trampoline_kernelINS0_14default_configENS1_25partition_config_selectorILNS1_17partition_subalgoE6EN6thrust23THRUST_200600_302600_NS5tupleIttNS7_9null_typeES9_S9_S9_S9_S9_S9_S9_EENS0_10empty_typeEbEEZZNS1_14partition_implILS5_6ELb0ES3_mNS7_12zip_iteratorINS8_INS7_6detail15normal_iteratorINS7_10device_ptrItEEEESJ_S9_S9_S9_S9_S9_S9_S9_S9_EEEEPSB_SM_NS0_5tupleIJNSE_INS8_ISJ_NS7_16discard_iteratorINS7_11use_defaultEEES9_S9_S9_S9_S9_S9_S9_S9_EEEESB_EEENSN_IJSM_SM_EEESB_PlJNSF_9not_fun_tINSF_14equal_to_valueISA_EEEEEEE10hipError_tPvRmT3_T4_T5_T6_T7_T9_mT8_P12ihipStream_tbDpT10_ENKUlT_T0_E_clISt17integral_constantIbLb1EES1I_IbLb0EEEEDaS1E_S1F_EUlS1E_E_NS1_11comp_targetILNS1_3genE2ELNS1_11target_archE906ELNS1_3gpuE6ELNS1_3repE0EEENS1_30default_config_static_selectorELNS0_4arch9wavefront6targetE0EEEvT1_
		.amdhsa_group_segment_fixed_size 0
		.amdhsa_private_segment_fixed_size 0
		.amdhsa_kernarg_size 144
		.amdhsa_user_sgpr_count 2
		.amdhsa_user_sgpr_dispatch_ptr 0
		.amdhsa_user_sgpr_queue_ptr 0
		.amdhsa_user_sgpr_kernarg_segment_ptr 1
		.amdhsa_user_sgpr_dispatch_id 0
		.amdhsa_user_sgpr_private_segment_size 0
		.amdhsa_wavefront_size32 1
		.amdhsa_uses_dynamic_stack 0
		.amdhsa_enable_private_segment 0
		.amdhsa_system_sgpr_workgroup_id_x 1
		.amdhsa_system_sgpr_workgroup_id_y 0
		.amdhsa_system_sgpr_workgroup_id_z 0
		.amdhsa_system_sgpr_workgroup_info 0
		.amdhsa_system_vgpr_workitem_id 0
		.amdhsa_next_free_vgpr 1
		.amdhsa_next_free_sgpr 1
		.amdhsa_reserve_vcc 0
		.amdhsa_float_round_mode_32 0
		.amdhsa_float_round_mode_16_64 0
		.amdhsa_float_denorm_mode_32 3
		.amdhsa_float_denorm_mode_16_64 3
		.amdhsa_fp16_overflow 0
		.amdhsa_workgroup_processor_mode 1
		.amdhsa_memory_ordered 1
		.amdhsa_forward_progress 1
		.amdhsa_inst_pref_size 0
		.amdhsa_round_robin_scheduling 0
		.amdhsa_exception_fp_ieee_invalid_op 0
		.amdhsa_exception_fp_denorm_src 0
		.amdhsa_exception_fp_ieee_div_zero 0
		.amdhsa_exception_fp_ieee_overflow 0
		.amdhsa_exception_fp_ieee_underflow 0
		.amdhsa_exception_fp_ieee_inexact 0
		.amdhsa_exception_int_div_zero 0
	.end_amdhsa_kernel
	.section	.text._ZN7rocprim17ROCPRIM_400000_NS6detail17trampoline_kernelINS0_14default_configENS1_25partition_config_selectorILNS1_17partition_subalgoE6EN6thrust23THRUST_200600_302600_NS5tupleIttNS7_9null_typeES9_S9_S9_S9_S9_S9_S9_EENS0_10empty_typeEbEEZZNS1_14partition_implILS5_6ELb0ES3_mNS7_12zip_iteratorINS8_INS7_6detail15normal_iteratorINS7_10device_ptrItEEEESJ_S9_S9_S9_S9_S9_S9_S9_S9_EEEEPSB_SM_NS0_5tupleIJNSE_INS8_ISJ_NS7_16discard_iteratorINS7_11use_defaultEEES9_S9_S9_S9_S9_S9_S9_S9_EEEESB_EEENSN_IJSM_SM_EEESB_PlJNSF_9not_fun_tINSF_14equal_to_valueISA_EEEEEEE10hipError_tPvRmT3_T4_T5_T6_T7_T9_mT8_P12ihipStream_tbDpT10_ENKUlT_T0_E_clISt17integral_constantIbLb1EES1I_IbLb0EEEEDaS1E_S1F_EUlS1E_E_NS1_11comp_targetILNS1_3genE2ELNS1_11target_archE906ELNS1_3gpuE6ELNS1_3repE0EEENS1_30default_config_static_selectorELNS0_4arch9wavefront6targetE0EEEvT1_,"axG",@progbits,_ZN7rocprim17ROCPRIM_400000_NS6detail17trampoline_kernelINS0_14default_configENS1_25partition_config_selectorILNS1_17partition_subalgoE6EN6thrust23THRUST_200600_302600_NS5tupleIttNS7_9null_typeES9_S9_S9_S9_S9_S9_S9_EENS0_10empty_typeEbEEZZNS1_14partition_implILS5_6ELb0ES3_mNS7_12zip_iteratorINS8_INS7_6detail15normal_iteratorINS7_10device_ptrItEEEESJ_S9_S9_S9_S9_S9_S9_S9_S9_EEEEPSB_SM_NS0_5tupleIJNSE_INS8_ISJ_NS7_16discard_iteratorINS7_11use_defaultEEES9_S9_S9_S9_S9_S9_S9_S9_EEEESB_EEENSN_IJSM_SM_EEESB_PlJNSF_9not_fun_tINSF_14equal_to_valueISA_EEEEEEE10hipError_tPvRmT3_T4_T5_T6_T7_T9_mT8_P12ihipStream_tbDpT10_ENKUlT_T0_E_clISt17integral_constantIbLb1EES1I_IbLb0EEEEDaS1E_S1F_EUlS1E_E_NS1_11comp_targetILNS1_3genE2ELNS1_11target_archE906ELNS1_3gpuE6ELNS1_3repE0EEENS1_30default_config_static_selectorELNS0_4arch9wavefront6targetE0EEEvT1_,comdat
.Lfunc_end1969:
	.size	_ZN7rocprim17ROCPRIM_400000_NS6detail17trampoline_kernelINS0_14default_configENS1_25partition_config_selectorILNS1_17partition_subalgoE6EN6thrust23THRUST_200600_302600_NS5tupleIttNS7_9null_typeES9_S9_S9_S9_S9_S9_S9_EENS0_10empty_typeEbEEZZNS1_14partition_implILS5_6ELb0ES3_mNS7_12zip_iteratorINS8_INS7_6detail15normal_iteratorINS7_10device_ptrItEEEESJ_S9_S9_S9_S9_S9_S9_S9_S9_EEEEPSB_SM_NS0_5tupleIJNSE_INS8_ISJ_NS7_16discard_iteratorINS7_11use_defaultEEES9_S9_S9_S9_S9_S9_S9_S9_EEEESB_EEENSN_IJSM_SM_EEESB_PlJNSF_9not_fun_tINSF_14equal_to_valueISA_EEEEEEE10hipError_tPvRmT3_T4_T5_T6_T7_T9_mT8_P12ihipStream_tbDpT10_ENKUlT_T0_E_clISt17integral_constantIbLb1EES1I_IbLb0EEEEDaS1E_S1F_EUlS1E_E_NS1_11comp_targetILNS1_3genE2ELNS1_11target_archE906ELNS1_3gpuE6ELNS1_3repE0EEENS1_30default_config_static_selectorELNS0_4arch9wavefront6targetE0EEEvT1_, .Lfunc_end1969-_ZN7rocprim17ROCPRIM_400000_NS6detail17trampoline_kernelINS0_14default_configENS1_25partition_config_selectorILNS1_17partition_subalgoE6EN6thrust23THRUST_200600_302600_NS5tupleIttNS7_9null_typeES9_S9_S9_S9_S9_S9_S9_EENS0_10empty_typeEbEEZZNS1_14partition_implILS5_6ELb0ES3_mNS7_12zip_iteratorINS8_INS7_6detail15normal_iteratorINS7_10device_ptrItEEEESJ_S9_S9_S9_S9_S9_S9_S9_S9_EEEEPSB_SM_NS0_5tupleIJNSE_INS8_ISJ_NS7_16discard_iteratorINS7_11use_defaultEEES9_S9_S9_S9_S9_S9_S9_S9_EEEESB_EEENSN_IJSM_SM_EEESB_PlJNSF_9not_fun_tINSF_14equal_to_valueISA_EEEEEEE10hipError_tPvRmT3_T4_T5_T6_T7_T9_mT8_P12ihipStream_tbDpT10_ENKUlT_T0_E_clISt17integral_constantIbLb1EES1I_IbLb0EEEEDaS1E_S1F_EUlS1E_E_NS1_11comp_targetILNS1_3genE2ELNS1_11target_archE906ELNS1_3gpuE6ELNS1_3repE0EEENS1_30default_config_static_selectorELNS0_4arch9wavefront6targetE0EEEvT1_
                                        ; -- End function
	.set _ZN7rocprim17ROCPRIM_400000_NS6detail17trampoline_kernelINS0_14default_configENS1_25partition_config_selectorILNS1_17partition_subalgoE6EN6thrust23THRUST_200600_302600_NS5tupleIttNS7_9null_typeES9_S9_S9_S9_S9_S9_S9_EENS0_10empty_typeEbEEZZNS1_14partition_implILS5_6ELb0ES3_mNS7_12zip_iteratorINS8_INS7_6detail15normal_iteratorINS7_10device_ptrItEEEESJ_S9_S9_S9_S9_S9_S9_S9_S9_EEEEPSB_SM_NS0_5tupleIJNSE_INS8_ISJ_NS7_16discard_iteratorINS7_11use_defaultEEES9_S9_S9_S9_S9_S9_S9_S9_EEEESB_EEENSN_IJSM_SM_EEESB_PlJNSF_9not_fun_tINSF_14equal_to_valueISA_EEEEEEE10hipError_tPvRmT3_T4_T5_T6_T7_T9_mT8_P12ihipStream_tbDpT10_ENKUlT_T0_E_clISt17integral_constantIbLb1EES1I_IbLb0EEEEDaS1E_S1F_EUlS1E_E_NS1_11comp_targetILNS1_3genE2ELNS1_11target_archE906ELNS1_3gpuE6ELNS1_3repE0EEENS1_30default_config_static_selectorELNS0_4arch9wavefront6targetE0EEEvT1_.num_vgpr, 0
	.set _ZN7rocprim17ROCPRIM_400000_NS6detail17trampoline_kernelINS0_14default_configENS1_25partition_config_selectorILNS1_17partition_subalgoE6EN6thrust23THRUST_200600_302600_NS5tupleIttNS7_9null_typeES9_S9_S9_S9_S9_S9_S9_EENS0_10empty_typeEbEEZZNS1_14partition_implILS5_6ELb0ES3_mNS7_12zip_iteratorINS8_INS7_6detail15normal_iteratorINS7_10device_ptrItEEEESJ_S9_S9_S9_S9_S9_S9_S9_S9_EEEEPSB_SM_NS0_5tupleIJNSE_INS8_ISJ_NS7_16discard_iteratorINS7_11use_defaultEEES9_S9_S9_S9_S9_S9_S9_S9_EEEESB_EEENSN_IJSM_SM_EEESB_PlJNSF_9not_fun_tINSF_14equal_to_valueISA_EEEEEEE10hipError_tPvRmT3_T4_T5_T6_T7_T9_mT8_P12ihipStream_tbDpT10_ENKUlT_T0_E_clISt17integral_constantIbLb1EES1I_IbLb0EEEEDaS1E_S1F_EUlS1E_E_NS1_11comp_targetILNS1_3genE2ELNS1_11target_archE906ELNS1_3gpuE6ELNS1_3repE0EEENS1_30default_config_static_selectorELNS0_4arch9wavefront6targetE0EEEvT1_.num_agpr, 0
	.set _ZN7rocprim17ROCPRIM_400000_NS6detail17trampoline_kernelINS0_14default_configENS1_25partition_config_selectorILNS1_17partition_subalgoE6EN6thrust23THRUST_200600_302600_NS5tupleIttNS7_9null_typeES9_S9_S9_S9_S9_S9_S9_EENS0_10empty_typeEbEEZZNS1_14partition_implILS5_6ELb0ES3_mNS7_12zip_iteratorINS8_INS7_6detail15normal_iteratorINS7_10device_ptrItEEEESJ_S9_S9_S9_S9_S9_S9_S9_S9_EEEEPSB_SM_NS0_5tupleIJNSE_INS8_ISJ_NS7_16discard_iteratorINS7_11use_defaultEEES9_S9_S9_S9_S9_S9_S9_S9_EEEESB_EEENSN_IJSM_SM_EEESB_PlJNSF_9not_fun_tINSF_14equal_to_valueISA_EEEEEEE10hipError_tPvRmT3_T4_T5_T6_T7_T9_mT8_P12ihipStream_tbDpT10_ENKUlT_T0_E_clISt17integral_constantIbLb1EES1I_IbLb0EEEEDaS1E_S1F_EUlS1E_E_NS1_11comp_targetILNS1_3genE2ELNS1_11target_archE906ELNS1_3gpuE6ELNS1_3repE0EEENS1_30default_config_static_selectorELNS0_4arch9wavefront6targetE0EEEvT1_.numbered_sgpr, 0
	.set _ZN7rocprim17ROCPRIM_400000_NS6detail17trampoline_kernelINS0_14default_configENS1_25partition_config_selectorILNS1_17partition_subalgoE6EN6thrust23THRUST_200600_302600_NS5tupleIttNS7_9null_typeES9_S9_S9_S9_S9_S9_S9_EENS0_10empty_typeEbEEZZNS1_14partition_implILS5_6ELb0ES3_mNS7_12zip_iteratorINS8_INS7_6detail15normal_iteratorINS7_10device_ptrItEEEESJ_S9_S9_S9_S9_S9_S9_S9_S9_EEEEPSB_SM_NS0_5tupleIJNSE_INS8_ISJ_NS7_16discard_iteratorINS7_11use_defaultEEES9_S9_S9_S9_S9_S9_S9_S9_EEEESB_EEENSN_IJSM_SM_EEESB_PlJNSF_9not_fun_tINSF_14equal_to_valueISA_EEEEEEE10hipError_tPvRmT3_T4_T5_T6_T7_T9_mT8_P12ihipStream_tbDpT10_ENKUlT_T0_E_clISt17integral_constantIbLb1EES1I_IbLb0EEEEDaS1E_S1F_EUlS1E_E_NS1_11comp_targetILNS1_3genE2ELNS1_11target_archE906ELNS1_3gpuE6ELNS1_3repE0EEENS1_30default_config_static_selectorELNS0_4arch9wavefront6targetE0EEEvT1_.num_named_barrier, 0
	.set _ZN7rocprim17ROCPRIM_400000_NS6detail17trampoline_kernelINS0_14default_configENS1_25partition_config_selectorILNS1_17partition_subalgoE6EN6thrust23THRUST_200600_302600_NS5tupleIttNS7_9null_typeES9_S9_S9_S9_S9_S9_S9_EENS0_10empty_typeEbEEZZNS1_14partition_implILS5_6ELb0ES3_mNS7_12zip_iteratorINS8_INS7_6detail15normal_iteratorINS7_10device_ptrItEEEESJ_S9_S9_S9_S9_S9_S9_S9_S9_EEEEPSB_SM_NS0_5tupleIJNSE_INS8_ISJ_NS7_16discard_iteratorINS7_11use_defaultEEES9_S9_S9_S9_S9_S9_S9_S9_EEEESB_EEENSN_IJSM_SM_EEESB_PlJNSF_9not_fun_tINSF_14equal_to_valueISA_EEEEEEE10hipError_tPvRmT3_T4_T5_T6_T7_T9_mT8_P12ihipStream_tbDpT10_ENKUlT_T0_E_clISt17integral_constantIbLb1EES1I_IbLb0EEEEDaS1E_S1F_EUlS1E_E_NS1_11comp_targetILNS1_3genE2ELNS1_11target_archE906ELNS1_3gpuE6ELNS1_3repE0EEENS1_30default_config_static_selectorELNS0_4arch9wavefront6targetE0EEEvT1_.private_seg_size, 0
	.set _ZN7rocprim17ROCPRIM_400000_NS6detail17trampoline_kernelINS0_14default_configENS1_25partition_config_selectorILNS1_17partition_subalgoE6EN6thrust23THRUST_200600_302600_NS5tupleIttNS7_9null_typeES9_S9_S9_S9_S9_S9_S9_EENS0_10empty_typeEbEEZZNS1_14partition_implILS5_6ELb0ES3_mNS7_12zip_iteratorINS8_INS7_6detail15normal_iteratorINS7_10device_ptrItEEEESJ_S9_S9_S9_S9_S9_S9_S9_S9_EEEEPSB_SM_NS0_5tupleIJNSE_INS8_ISJ_NS7_16discard_iteratorINS7_11use_defaultEEES9_S9_S9_S9_S9_S9_S9_S9_EEEESB_EEENSN_IJSM_SM_EEESB_PlJNSF_9not_fun_tINSF_14equal_to_valueISA_EEEEEEE10hipError_tPvRmT3_T4_T5_T6_T7_T9_mT8_P12ihipStream_tbDpT10_ENKUlT_T0_E_clISt17integral_constantIbLb1EES1I_IbLb0EEEEDaS1E_S1F_EUlS1E_E_NS1_11comp_targetILNS1_3genE2ELNS1_11target_archE906ELNS1_3gpuE6ELNS1_3repE0EEENS1_30default_config_static_selectorELNS0_4arch9wavefront6targetE0EEEvT1_.uses_vcc, 0
	.set _ZN7rocprim17ROCPRIM_400000_NS6detail17trampoline_kernelINS0_14default_configENS1_25partition_config_selectorILNS1_17partition_subalgoE6EN6thrust23THRUST_200600_302600_NS5tupleIttNS7_9null_typeES9_S9_S9_S9_S9_S9_S9_EENS0_10empty_typeEbEEZZNS1_14partition_implILS5_6ELb0ES3_mNS7_12zip_iteratorINS8_INS7_6detail15normal_iteratorINS7_10device_ptrItEEEESJ_S9_S9_S9_S9_S9_S9_S9_S9_EEEEPSB_SM_NS0_5tupleIJNSE_INS8_ISJ_NS7_16discard_iteratorINS7_11use_defaultEEES9_S9_S9_S9_S9_S9_S9_S9_EEEESB_EEENSN_IJSM_SM_EEESB_PlJNSF_9not_fun_tINSF_14equal_to_valueISA_EEEEEEE10hipError_tPvRmT3_T4_T5_T6_T7_T9_mT8_P12ihipStream_tbDpT10_ENKUlT_T0_E_clISt17integral_constantIbLb1EES1I_IbLb0EEEEDaS1E_S1F_EUlS1E_E_NS1_11comp_targetILNS1_3genE2ELNS1_11target_archE906ELNS1_3gpuE6ELNS1_3repE0EEENS1_30default_config_static_selectorELNS0_4arch9wavefront6targetE0EEEvT1_.uses_flat_scratch, 0
	.set _ZN7rocprim17ROCPRIM_400000_NS6detail17trampoline_kernelINS0_14default_configENS1_25partition_config_selectorILNS1_17partition_subalgoE6EN6thrust23THRUST_200600_302600_NS5tupleIttNS7_9null_typeES9_S9_S9_S9_S9_S9_S9_EENS0_10empty_typeEbEEZZNS1_14partition_implILS5_6ELb0ES3_mNS7_12zip_iteratorINS8_INS7_6detail15normal_iteratorINS7_10device_ptrItEEEESJ_S9_S9_S9_S9_S9_S9_S9_S9_EEEEPSB_SM_NS0_5tupleIJNSE_INS8_ISJ_NS7_16discard_iteratorINS7_11use_defaultEEES9_S9_S9_S9_S9_S9_S9_S9_EEEESB_EEENSN_IJSM_SM_EEESB_PlJNSF_9not_fun_tINSF_14equal_to_valueISA_EEEEEEE10hipError_tPvRmT3_T4_T5_T6_T7_T9_mT8_P12ihipStream_tbDpT10_ENKUlT_T0_E_clISt17integral_constantIbLb1EES1I_IbLb0EEEEDaS1E_S1F_EUlS1E_E_NS1_11comp_targetILNS1_3genE2ELNS1_11target_archE906ELNS1_3gpuE6ELNS1_3repE0EEENS1_30default_config_static_selectorELNS0_4arch9wavefront6targetE0EEEvT1_.has_dyn_sized_stack, 0
	.set _ZN7rocprim17ROCPRIM_400000_NS6detail17trampoline_kernelINS0_14default_configENS1_25partition_config_selectorILNS1_17partition_subalgoE6EN6thrust23THRUST_200600_302600_NS5tupleIttNS7_9null_typeES9_S9_S9_S9_S9_S9_S9_EENS0_10empty_typeEbEEZZNS1_14partition_implILS5_6ELb0ES3_mNS7_12zip_iteratorINS8_INS7_6detail15normal_iteratorINS7_10device_ptrItEEEESJ_S9_S9_S9_S9_S9_S9_S9_S9_EEEEPSB_SM_NS0_5tupleIJNSE_INS8_ISJ_NS7_16discard_iteratorINS7_11use_defaultEEES9_S9_S9_S9_S9_S9_S9_S9_EEEESB_EEENSN_IJSM_SM_EEESB_PlJNSF_9not_fun_tINSF_14equal_to_valueISA_EEEEEEE10hipError_tPvRmT3_T4_T5_T6_T7_T9_mT8_P12ihipStream_tbDpT10_ENKUlT_T0_E_clISt17integral_constantIbLb1EES1I_IbLb0EEEEDaS1E_S1F_EUlS1E_E_NS1_11comp_targetILNS1_3genE2ELNS1_11target_archE906ELNS1_3gpuE6ELNS1_3repE0EEENS1_30default_config_static_selectorELNS0_4arch9wavefront6targetE0EEEvT1_.has_recursion, 0
	.set _ZN7rocprim17ROCPRIM_400000_NS6detail17trampoline_kernelINS0_14default_configENS1_25partition_config_selectorILNS1_17partition_subalgoE6EN6thrust23THRUST_200600_302600_NS5tupleIttNS7_9null_typeES9_S9_S9_S9_S9_S9_S9_EENS0_10empty_typeEbEEZZNS1_14partition_implILS5_6ELb0ES3_mNS7_12zip_iteratorINS8_INS7_6detail15normal_iteratorINS7_10device_ptrItEEEESJ_S9_S9_S9_S9_S9_S9_S9_S9_EEEEPSB_SM_NS0_5tupleIJNSE_INS8_ISJ_NS7_16discard_iteratorINS7_11use_defaultEEES9_S9_S9_S9_S9_S9_S9_S9_EEEESB_EEENSN_IJSM_SM_EEESB_PlJNSF_9not_fun_tINSF_14equal_to_valueISA_EEEEEEE10hipError_tPvRmT3_T4_T5_T6_T7_T9_mT8_P12ihipStream_tbDpT10_ENKUlT_T0_E_clISt17integral_constantIbLb1EES1I_IbLb0EEEEDaS1E_S1F_EUlS1E_E_NS1_11comp_targetILNS1_3genE2ELNS1_11target_archE906ELNS1_3gpuE6ELNS1_3repE0EEENS1_30default_config_static_selectorELNS0_4arch9wavefront6targetE0EEEvT1_.has_indirect_call, 0
	.section	.AMDGPU.csdata,"",@progbits
; Kernel info:
; codeLenInByte = 0
; TotalNumSgprs: 0
; NumVgprs: 0
; ScratchSize: 0
; MemoryBound: 0
; FloatMode: 240
; IeeeMode: 1
; LDSByteSize: 0 bytes/workgroup (compile time only)
; SGPRBlocks: 0
; VGPRBlocks: 0
; NumSGPRsForWavesPerEU: 1
; NumVGPRsForWavesPerEU: 1
; Occupancy: 16
; WaveLimiterHint : 0
; COMPUTE_PGM_RSRC2:SCRATCH_EN: 0
; COMPUTE_PGM_RSRC2:USER_SGPR: 2
; COMPUTE_PGM_RSRC2:TRAP_HANDLER: 0
; COMPUTE_PGM_RSRC2:TGID_X_EN: 1
; COMPUTE_PGM_RSRC2:TGID_Y_EN: 0
; COMPUTE_PGM_RSRC2:TGID_Z_EN: 0
; COMPUTE_PGM_RSRC2:TIDIG_COMP_CNT: 0
	.section	.text._ZN7rocprim17ROCPRIM_400000_NS6detail17trampoline_kernelINS0_14default_configENS1_25partition_config_selectorILNS1_17partition_subalgoE6EN6thrust23THRUST_200600_302600_NS5tupleIttNS7_9null_typeES9_S9_S9_S9_S9_S9_S9_EENS0_10empty_typeEbEEZZNS1_14partition_implILS5_6ELb0ES3_mNS7_12zip_iteratorINS8_INS7_6detail15normal_iteratorINS7_10device_ptrItEEEESJ_S9_S9_S9_S9_S9_S9_S9_S9_EEEEPSB_SM_NS0_5tupleIJNSE_INS8_ISJ_NS7_16discard_iteratorINS7_11use_defaultEEES9_S9_S9_S9_S9_S9_S9_S9_EEEESB_EEENSN_IJSM_SM_EEESB_PlJNSF_9not_fun_tINSF_14equal_to_valueISA_EEEEEEE10hipError_tPvRmT3_T4_T5_T6_T7_T9_mT8_P12ihipStream_tbDpT10_ENKUlT_T0_E_clISt17integral_constantIbLb1EES1I_IbLb0EEEEDaS1E_S1F_EUlS1E_E_NS1_11comp_targetILNS1_3genE10ELNS1_11target_archE1200ELNS1_3gpuE4ELNS1_3repE0EEENS1_30default_config_static_selectorELNS0_4arch9wavefront6targetE0EEEvT1_,"axG",@progbits,_ZN7rocprim17ROCPRIM_400000_NS6detail17trampoline_kernelINS0_14default_configENS1_25partition_config_selectorILNS1_17partition_subalgoE6EN6thrust23THRUST_200600_302600_NS5tupleIttNS7_9null_typeES9_S9_S9_S9_S9_S9_S9_EENS0_10empty_typeEbEEZZNS1_14partition_implILS5_6ELb0ES3_mNS7_12zip_iteratorINS8_INS7_6detail15normal_iteratorINS7_10device_ptrItEEEESJ_S9_S9_S9_S9_S9_S9_S9_S9_EEEEPSB_SM_NS0_5tupleIJNSE_INS8_ISJ_NS7_16discard_iteratorINS7_11use_defaultEEES9_S9_S9_S9_S9_S9_S9_S9_EEEESB_EEENSN_IJSM_SM_EEESB_PlJNSF_9not_fun_tINSF_14equal_to_valueISA_EEEEEEE10hipError_tPvRmT3_T4_T5_T6_T7_T9_mT8_P12ihipStream_tbDpT10_ENKUlT_T0_E_clISt17integral_constantIbLb1EES1I_IbLb0EEEEDaS1E_S1F_EUlS1E_E_NS1_11comp_targetILNS1_3genE10ELNS1_11target_archE1200ELNS1_3gpuE4ELNS1_3repE0EEENS1_30default_config_static_selectorELNS0_4arch9wavefront6targetE0EEEvT1_,comdat
	.protected	_ZN7rocprim17ROCPRIM_400000_NS6detail17trampoline_kernelINS0_14default_configENS1_25partition_config_selectorILNS1_17partition_subalgoE6EN6thrust23THRUST_200600_302600_NS5tupleIttNS7_9null_typeES9_S9_S9_S9_S9_S9_S9_EENS0_10empty_typeEbEEZZNS1_14partition_implILS5_6ELb0ES3_mNS7_12zip_iteratorINS8_INS7_6detail15normal_iteratorINS7_10device_ptrItEEEESJ_S9_S9_S9_S9_S9_S9_S9_S9_EEEEPSB_SM_NS0_5tupleIJNSE_INS8_ISJ_NS7_16discard_iteratorINS7_11use_defaultEEES9_S9_S9_S9_S9_S9_S9_S9_EEEESB_EEENSN_IJSM_SM_EEESB_PlJNSF_9not_fun_tINSF_14equal_to_valueISA_EEEEEEE10hipError_tPvRmT3_T4_T5_T6_T7_T9_mT8_P12ihipStream_tbDpT10_ENKUlT_T0_E_clISt17integral_constantIbLb1EES1I_IbLb0EEEEDaS1E_S1F_EUlS1E_E_NS1_11comp_targetILNS1_3genE10ELNS1_11target_archE1200ELNS1_3gpuE4ELNS1_3repE0EEENS1_30default_config_static_selectorELNS0_4arch9wavefront6targetE0EEEvT1_ ; -- Begin function _ZN7rocprim17ROCPRIM_400000_NS6detail17trampoline_kernelINS0_14default_configENS1_25partition_config_selectorILNS1_17partition_subalgoE6EN6thrust23THRUST_200600_302600_NS5tupleIttNS7_9null_typeES9_S9_S9_S9_S9_S9_S9_EENS0_10empty_typeEbEEZZNS1_14partition_implILS5_6ELb0ES3_mNS7_12zip_iteratorINS8_INS7_6detail15normal_iteratorINS7_10device_ptrItEEEESJ_S9_S9_S9_S9_S9_S9_S9_S9_EEEEPSB_SM_NS0_5tupleIJNSE_INS8_ISJ_NS7_16discard_iteratorINS7_11use_defaultEEES9_S9_S9_S9_S9_S9_S9_S9_EEEESB_EEENSN_IJSM_SM_EEESB_PlJNSF_9not_fun_tINSF_14equal_to_valueISA_EEEEEEE10hipError_tPvRmT3_T4_T5_T6_T7_T9_mT8_P12ihipStream_tbDpT10_ENKUlT_T0_E_clISt17integral_constantIbLb1EES1I_IbLb0EEEEDaS1E_S1F_EUlS1E_E_NS1_11comp_targetILNS1_3genE10ELNS1_11target_archE1200ELNS1_3gpuE4ELNS1_3repE0EEENS1_30default_config_static_selectorELNS0_4arch9wavefront6targetE0EEEvT1_
	.globl	_ZN7rocprim17ROCPRIM_400000_NS6detail17trampoline_kernelINS0_14default_configENS1_25partition_config_selectorILNS1_17partition_subalgoE6EN6thrust23THRUST_200600_302600_NS5tupleIttNS7_9null_typeES9_S9_S9_S9_S9_S9_S9_EENS0_10empty_typeEbEEZZNS1_14partition_implILS5_6ELb0ES3_mNS7_12zip_iteratorINS8_INS7_6detail15normal_iteratorINS7_10device_ptrItEEEESJ_S9_S9_S9_S9_S9_S9_S9_S9_EEEEPSB_SM_NS0_5tupleIJNSE_INS8_ISJ_NS7_16discard_iteratorINS7_11use_defaultEEES9_S9_S9_S9_S9_S9_S9_S9_EEEESB_EEENSN_IJSM_SM_EEESB_PlJNSF_9not_fun_tINSF_14equal_to_valueISA_EEEEEEE10hipError_tPvRmT3_T4_T5_T6_T7_T9_mT8_P12ihipStream_tbDpT10_ENKUlT_T0_E_clISt17integral_constantIbLb1EES1I_IbLb0EEEEDaS1E_S1F_EUlS1E_E_NS1_11comp_targetILNS1_3genE10ELNS1_11target_archE1200ELNS1_3gpuE4ELNS1_3repE0EEENS1_30default_config_static_selectorELNS0_4arch9wavefront6targetE0EEEvT1_
	.p2align	8
	.type	_ZN7rocprim17ROCPRIM_400000_NS6detail17trampoline_kernelINS0_14default_configENS1_25partition_config_selectorILNS1_17partition_subalgoE6EN6thrust23THRUST_200600_302600_NS5tupleIttNS7_9null_typeES9_S9_S9_S9_S9_S9_S9_EENS0_10empty_typeEbEEZZNS1_14partition_implILS5_6ELb0ES3_mNS7_12zip_iteratorINS8_INS7_6detail15normal_iteratorINS7_10device_ptrItEEEESJ_S9_S9_S9_S9_S9_S9_S9_S9_EEEEPSB_SM_NS0_5tupleIJNSE_INS8_ISJ_NS7_16discard_iteratorINS7_11use_defaultEEES9_S9_S9_S9_S9_S9_S9_S9_EEEESB_EEENSN_IJSM_SM_EEESB_PlJNSF_9not_fun_tINSF_14equal_to_valueISA_EEEEEEE10hipError_tPvRmT3_T4_T5_T6_T7_T9_mT8_P12ihipStream_tbDpT10_ENKUlT_T0_E_clISt17integral_constantIbLb1EES1I_IbLb0EEEEDaS1E_S1F_EUlS1E_E_NS1_11comp_targetILNS1_3genE10ELNS1_11target_archE1200ELNS1_3gpuE4ELNS1_3repE0EEENS1_30default_config_static_selectorELNS0_4arch9wavefront6targetE0EEEvT1_,@function
_ZN7rocprim17ROCPRIM_400000_NS6detail17trampoline_kernelINS0_14default_configENS1_25partition_config_selectorILNS1_17partition_subalgoE6EN6thrust23THRUST_200600_302600_NS5tupleIttNS7_9null_typeES9_S9_S9_S9_S9_S9_S9_EENS0_10empty_typeEbEEZZNS1_14partition_implILS5_6ELb0ES3_mNS7_12zip_iteratorINS8_INS7_6detail15normal_iteratorINS7_10device_ptrItEEEESJ_S9_S9_S9_S9_S9_S9_S9_S9_EEEEPSB_SM_NS0_5tupleIJNSE_INS8_ISJ_NS7_16discard_iteratorINS7_11use_defaultEEES9_S9_S9_S9_S9_S9_S9_S9_EEEESB_EEENSN_IJSM_SM_EEESB_PlJNSF_9not_fun_tINSF_14equal_to_valueISA_EEEEEEE10hipError_tPvRmT3_T4_T5_T6_T7_T9_mT8_P12ihipStream_tbDpT10_ENKUlT_T0_E_clISt17integral_constantIbLb1EES1I_IbLb0EEEEDaS1E_S1F_EUlS1E_E_NS1_11comp_targetILNS1_3genE10ELNS1_11target_archE1200ELNS1_3gpuE4ELNS1_3repE0EEENS1_30default_config_static_selectorELNS0_4arch9wavefront6targetE0EEEvT1_: ; @_ZN7rocprim17ROCPRIM_400000_NS6detail17trampoline_kernelINS0_14default_configENS1_25partition_config_selectorILNS1_17partition_subalgoE6EN6thrust23THRUST_200600_302600_NS5tupleIttNS7_9null_typeES9_S9_S9_S9_S9_S9_S9_EENS0_10empty_typeEbEEZZNS1_14partition_implILS5_6ELb0ES3_mNS7_12zip_iteratorINS8_INS7_6detail15normal_iteratorINS7_10device_ptrItEEEESJ_S9_S9_S9_S9_S9_S9_S9_S9_EEEEPSB_SM_NS0_5tupleIJNSE_INS8_ISJ_NS7_16discard_iteratorINS7_11use_defaultEEES9_S9_S9_S9_S9_S9_S9_S9_EEEESB_EEENSN_IJSM_SM_EEESB_PlJNSF_9not_fun_tINSF_14equal_to_valueISA_EEEEEEE10hipError_tPvRmT3_T4_T5_T6_T7_T9_mT8_P12ihipStream_tbDpT10_ENKUlT_T0_E_clISt17integral_constantIbLb1EES1I_IbLb0EEEEDaS1E_S1F_EUlS1E_E_NS1_11comp_targetILNS1_3genE10ELNS1_11target_archE1200ELNS1_3gpuE4ELNS1_3repE0EEENS1_30default_config_static_selectorELNS0_4arch9wavefront6targetE0EEEvT1_
; %bb.0:
	s_endpgm
	.section	.rodata,"a",@progbits
	.p2align	6, 0x0
	.amdhsa_kernel _ZN7rocprim17ROCPRIM_400000_NS6detail17trampoline_kernelINS0_14default_configENS1_25partition_config_selectorILNS1_17partition_subalgoE6EN6thrust23THRUST_200600_302600_NS5tupleIttNS7_9null_typeES9_S9_S9_S9_S9_S9_S9_EENS0_10empty_typeEbEEZZNS1_14partition_implILS5_6ELb0ES3_mNS7_12zip_iteratorINS8_INS7_6detail15normal_iteratorINS7_10device_ptrItEEEESJ_S9_S9_S9_S9_S9_S9_S9_S9_EEEEPSB_SM_NS0_5tupleIJNSE_INS8_ISJ_NS7_16discard_iteratorINS7_11use_defaultEEES9_S9_S9_S9_S9_S9_S9_S9_EEEESB_EEENSN_IJSM_SM_EEESB_PlJNSF_9not_fun_tINSF_14equal_to_valueISA_EEEEEEE10hipError_tPvRmT3_T4_T5_T6_T7_T9_mT8_P12ihipStream_tbDpT10_ENKUlT_T0_E_clISt17integral_constantIbLb1EES1I_IbLb0EEEEDaS1E_S1F_EUlS1E_E_NS1_11comp_targetILNS1_3genE10ELNS1_11target_archE1200ELNS1_3gpuE4ELNS1_3repE0EEENS1_30default_config_static_selectorELNS0_4arch9wavefront6targetE0EEEvT1_
		.amdhsa_group_segment_fixed_size 0
		.amdhsa_private_segment_fixed_size 0
		.amdhsa_kernarg_size 144
		.amdhsa_user_sgpr_count 2
		.amdhsa_user_sgpr_dispatch_ptr 0
		.amdhsa_user_sgpr_queue_ptr 0
		.amdhsa_user_sgpr_kernarg_segment_ptr 1
		.amdhsa_user_sgpr_dispatch_id 0
		.amdhsa_user_sgpr_private_segment_size 0
		.amdhsa_wavefront_size32 1
		.amdhsa_uses_dynamic_stack 0
		.amdhsa_enable_private_segment 0
		.amdhsa_system_sgpr_workgroup_id_x 1
		.amdhsa_system_sgpr_workgroup_id_y 0
		.amdhsa_system_sgpr_workgroup_id_z 0
		.amdhsa_system_sgpr_workgroup_info 0
		.amdhsa_system_vgpr_workitem_id 0
		.amdhsa_next_free_vgpr 1
		.amdhsa_next_free_sgpr 1
		.amdhsa_reserve_vcc 0
		.amdhsa_float_round_mode_32 0
		.amdhsa_float_round_mode_16_64 0
		.amdhsa_float_denorm_mode_32 3
		.amdhsa_float_denorm_mode_16_64 3
		.amdhsa_fp16_overflow 0
		.amdhsa_workgroup_processor_mode 1
		.amdhsa_memory_ordered 1
		.amdhsa_forward_progress 1
		.amdhsa_inst_pref_size 1
		.amdhsa_round_robin_scheduling 0
		.amdhsa_exception_fp_ieee_invalid_op 0
		.amdhsa_exception_fp_denorm_src 0
		.amdhsa_exception_fp_ieee_div_zero 0
		.amdhsa_exception_fp_ieee_overflow 0
		.amdhsa_exception_fp_ieee_underflow 0
		.amdhsa_exception_fp_ieee_inexact 0
		.amdhsa_exception_int_div_zero 0
	.end_amdhsa_kernel
	.section	.text._ZN7rocprim17ROCPRIM_400000_NS6detail17trampoline_kernelINS0_14default_configENS1_25partition_config_selectorILNS1_17partition_subalgoE6EN6thrust23THRUST_200600_302600_NS5tupleIttNS7_9null_typeES9_S9_S9_S9_S9_S9_S9_EENS0_10empty_typeEbEEZZNS1_14partition_implILS5_6ELb0ES3_mNS7_12zip_iteratorINS8_INS7_6detail15normal_iteratorINS7_10device_ptrItEEEESJ_S9_S9_S9_S9_S9_S9_S9_S9_EEEEPSB_SM_NS0_5tupleIJNSE_INS8_ISJ_NS7_16discard_iteratorINS7_11use_defaultEEES9_S9_S9_S9_S9_S9_S9_S9_EEEESB_EEENSN_IJSM_SM_EEESB_PlJNSF_9not_fun_tINSF_14equal_to_valueISA_EEEEEEE10hipError_tPvRmT3_T4_T5_T6_T7_T9_mT8_P12ihipStream_tbDpT10_ENKUlT_T0_E_clISt17integral_constantIbLb1EES1I_IbLb0EEEEDaS1E_S1F_EUlS1E_E_NS1_11comp_targetILNS1_3genE10ELNS1_11target_archE1200ELNS1_3gpuE4ELNS1_3repE0EEENS1_30default_config_static_selectorELNS0_4arch9wavefront6targetE0EEEvT1_,"axG",@progbits,_ZN7rocprim17ROCPRIM_400000_NS6detail17trampoline_kernelINS0_14default_configENS1_25partition_config_selectorILNS1_17partition_subalgoE6EN6thrust23THRUST_200600_302600_NS5tupleIttNS7_9null_typeES9_S9_S9_S9_S9_S9_S9_EENS0_10empty_typeEbEEZZNS1_14partition_implILS5_6ELb0ES3_mNS7_12zip_iteratorINS8_INS7_6detail15normal_iteratorINS7_10device_ptrItEEEESJ_S9_S9_S9_S9_S9_S9_S9_S9_EEEEPSB_SM_NS0_5tupleIJNSE_INS8_ISJ_NS7_16discard_iteratorINS7_11use_defaultEEES9_S9_S9_S9_S9_S9_S9_S9_EEEESB_EEENSN_IJSM_SM_EEESB_PlJNSF_9not_fun_tINSF_14equal_to_valueISA_EEEEEEE10hipError_tPvRmT3_T4_T5_T6_T7_T9_mT8_P12ihipStream_tbDpT10_ENKUlT_T0_E_clISt17integral_constantIbLb1EES1I_IbLb0EEEEDaS1E_S1F_EUlS1E_E_NS1_11comp_targetILNS1_3genE10ELNS1_11target_archE1200ELNS1_3gpuE4ELNS1_3repE0EEENS1_30default_config_static_selectorELNS0_4arch9wavefront6targetE0EEEvT1_,comdat
.Lfunc_end1970:
	.size	_ZN7rocprim17ROCPRIM_400000_NS6detail17trampoline_kernelINS0_14default_configENS1_25partition_config_selectorILNS1_17partition_subalgoE6EN6thrust23THRUST_200600_302600_NS5tupleIttNS7_9null_typeES9_S9_S9_S9_S9_S9_S9_EENS0_10empty_typeEbEEZZNS1_14partition_implILS5_6ELb0ES3_mNS7_12zip_iteratorINS8_INS7_6detail15normal_iteratorINS7_10device_ptrItEEEESJ_S9_S9_S9_S9_S9_S9_S9_S9_EEEEPSB_SM_NS0_5tupleIJNSE_INS8_ISJ_NS7_16discard_iteratorINS7_11use_defaultEEES9_S9_S9_S9_S9_S9_S9_S9_EEEESB_EEENSN_IJSM_SM_EEESB_PlJNSF_9not_fun_tINSF_14equal_to_valueISA_EEEEEEE10hipError_tPvRmT3_T4_T5_T6_T7_T9_mT8_P12ihipStream_tbDpT10_ENKUlT_T0_E_clISt17integral_constantIbLb1EES1I_IbLb0EEEEDaS1E_S1F_EUlS1E_E_NS1_11comp_targetILNS1_3genE10ELNS1_11target_archE1200ELNS1_3gpuE4ELNS1_3repE0EEENS1_30default_config_static_selectorELNS0_4arch9wavefront6targetE0EEEvT1_, .Lfunc_end1970-_ZN7rocprim17ROCPRIM_400000_NS6detail17trampoline_kernelINS0_14default_configENS1_25partition_config_selectorILNS1_17partition_subalgoE6EN6thrust23THRUST_200600_302600_NS5tupleIttNS7_9null_typeES9_S9_S9_S9_S9_S9_S9_EENS0_10empty_typeEbEEZZNS1_14partition_implILS5_6ELb0ES3_mNS7_12zip_iteratorINS8_INS7_6detail15normal_iteratorINS7_10device_ptrItEEEESJ_S9_S9_S9_S9_S9_S9_S9_S9_EEEEPSB_SM_NS0_5tupleIJNSE_INS8_ISJ_NS7_16discard_iteratorINS7_11use_defaultEEES9_S9_S9_S9_S9_S9_S9_S9_EEEESB_EEENSN_IJSM_SM_EEESB_PlJNSF_9not_fun_tINSF_14equal_to_valueISA_EEEEEEE10hipError_tPvRmT3_T4_T5_T6_T7_T9_mT8_P12ihipStream_tbDpT10_ENKUlT_T0_E_clISt17integral_constantIbLb1EES1I_IbLb0EEEEDaS1E_S1F_EUlS1E_E_NS1_11comp_targetILNS1_3genE10ELNS1_11target_archE1200ELNS1_3gpuE4ELNS1_3repE0EEENS1_30default_config_static_selectorELNS0_4arch9wavefront6targetE0EEEvT1_
                                        ; -- End function
	.set _ZN7rocprim17ROCPRIM_400000_NS6detail17trampoline_kernelINS0_14default_configENS1_25partition_config_selectorILNS1_17partition_subalgoE6EN6thrust23THRUST_200600_302600_NS5tupleIttNS7_9null_typeES9_S9_S9_S9_S9_S9_S9_EENS0_10empty_typeEbEEZZNS1_14partition_implILS5_6ELb0ES3_mNS7_12zip_iteratorINS8_INS7_6detail15normal_iteratorINS7_10device_ptrItEEEESJ_S9_S9_S9_S9_S9_S9_S9_S9_EEEEPSB_SM_NS0_5tupleIJNSE_INS8_ISJ_NS7_16discard_iteratorINS7_11use_defaultEEES9_S9_S9_S9_S9_S9_S9_S9_EEEESB_EEENSN_IJSM_SM_EEESB_PlJNSF_9not_fun_tINSF_14equal_to_valueISA_EEEEEEE10hipError_tPvRmT3_T4_T5_T6_T7_T9_mT8_P12ihipStream_tbDpT10_ENKUlT_T0_E_clISt17integral_constantIbLb1EES1I_IbLb0EEEEDaS1E_S1F_EUlS1E_E_NS1_11comp_targetILNS1_3genE10ELNS1_11target_archE1200ELNS1_3gpuE4ELNS1_3repE0EEENS1_30default_config_static_selectorELNS0_4arch9wavefront6targetE0EEEvT1_.num_vgpr, 0
	.set _ZN7rocprim17ROCPRIM_400000_NS6detail17trampoline_kernelINS0_14default_configENS1_25partition_config_selectorILNS1_17partition_subalgoE6EN6thrust23THRUST_200600_302600_NS5tupleIttNS7_9null_typeES9_S9_S9_S9_S9_S9_S9_EENS0_10empty_typeEbEEZZNS1_14partition_implILS5_6ELb0ES3_mNS7_12zip_iteratorINS8_INS7_6detail15normal_iteratorINS7_10device_ptrItEEEESJ_S9_S9_S9_S9_S9_S9_S9_S9_EEEEPSB_SM_NS0_5tupleIJNSE_INS8_ISJ_NS7_16discard_iteratorINS7_11use_defaultEEES9_S9_S9_S9_S9_S9_S9_S9_EEEESB_EEENSN_IJSM_SM_EEESB_PlJNSF_9not_fun_tINSF_14equal_to_valueISA_EEEEEEE10hipError_tPvRmT3_T4_T5_T6_T7_T9_mT8_P12ihipStream_tbDpT10_ENKUlT_T0_E_clISt17integral_constantIbLb1EES1I_IbLb0EEEEDaS1E_S1F_EUlS1E_E_NS1_11comp_targetILNS1_3genE10ELNS1_11target_archE1200ELNS1_3gpuE4ELNS1_3repE0EEENS1_30default_config_static_selectorELNS0_4arch9wavefront6targetE0EEEvT1_.num_agpr, 0
	.set _ZN7rocprim17ROCPRIM_400000_NS6detail17trampoline_kernelINS0_14default_configENS1_25partition_config_selectorILNS1_17partition_subalgoE6EN6thrust23THRUST_200600_302600_NS5tupleIttNS7_9null_typeES9_S9_S9_S9_S9_S9_S9_EENS0_10empty_typeEbEEZZNS1_14partition_implILS5_6ELb0ES3_mNS7_12zip_iteratorINS8_INS7_6detail15normal_iteratorINS7_10device_ptrItEEEESJ_S9_S9_S9_S9_S9_S9_S9_S9_EEEEPSB_SM_NS0_5tupleIJNSE_INS8_ISJ_NS7_16discard_iteratorINS7_11use_defaultEEES9_S9_S9_S9_S9_S9_S9_S9_EEEESB_EEENSN_IJSM_SM_EEESB_PlJNSF_9not_fun_tINSF_14equal_to_valueISA_EEEEEEE10hipError_tPvRmT3_T4_T5_T6_T7_T9_mT8_P12ihipStream_tbDpT10_ENKUlT_T0_E_clISt17integral_constantIbLb1EES1I_IbLb0EEEEDaS1E_S1F_EUlS1E_E_NS1_11comp_targetILNS1_3genE10ELNS1_11target_archE1200ELNS1_3gpuE4ELNS1_3repE0EEENS1_30default_config_static_selectorELNS0_4arch9wavefront6targetE0EEEvT1_.numbered_sgpr, 0
	.set _ZN7rocprim17ROCPRIM_400000_NS6detail17trampoline_kernelINS0_14default_configENS1_25partition_config_selectorILNS1_17partition_subalgoE6EN6thrust23THRUST_200600_302600_NS5tupleIttNS7_9null_typeES9_S9_S9_S9_S9_S9_S9_EENS0_10empty_typeEbEEZZNS1_14partition_implILS5_6ELb0ES3_mNS7_12zip_iteratorINS8_INS7_6detail15normal_iteratorINS7_10device_ptrItEEEESJ_S9_S9_S9_S9_S9_S9_S9_S9_EEEEPSB_SM_NS0_5tupleIJNSE_INS8_ISJ_NS7_16discard_iteratorINS7_11use_defaultEEES9_S9_S9_S9_S9_S9_S9_S9_EEEESB_EEENSN_IJSM_SM_EEESB_PlJNSF_9not_fun_tINSF_14equal_to_valueISA_EEEEEEE10hipError_tPvRmT3_T4_T5_T6_T7_T9_mT8_P12ihipStream_tbDpT10_ENKUlT_T0_E_clISt17integral_constantIbLb1EES1I_IbLb0EEEEDaS1E_S1F_EUlS1E_E_NS1_11comp_targetILNS1_3genE10ELNS1_11target_archE1200ELNS1_3gpuE4ELNS1_3repE0EEENS1_30default_config_static_selectorELNS0_4arch9wavefront6targetE0EEEvT1_.num_named_barrier, 0
	.set _ZN7rocprim17ROCPRIM_400000_NS6detail17trampoline_kernelINS0_14default_configENS1_25partition_config_selectorILNS1_17partition_subalgoE6EN6thrust23THRUST_200600_302600_NS5tupleIttNS7_9null_typeES9_S9_S9_S9_S9_S9_S9_EENS0_10empty_typeEbEEZZNS1_14partition_implILS5_6ELb0ES3_mNS7_12zip_iteratorINS8_INS7_6detail15normal_iteratorINS7_10device_ptrItEEEESJ_S9_S9_S9_S9_S9_S9_S9_S9_EEEEPSB_SM_NS0_5tupleIJNSE_INS8_ISJ_NS7_16discard_iteratorINS7_11use_defaultEEES9_S9_S9_S9_S9_S9_S9_S9_EEEESB_EEENSN_IJSM_SM_EEESB_PlJNSF_9not_fun_tINSF_14equal_to_valueISA_EEEEEEE10hipError_tPvRmT3_T4_T5_T6_T7_T9_mT8_P12ihipStream_tbDpT10_ENKUlT_T0_E_clISt17integral_constantIbLb1EES1I_IbLb0EEEEDaS1E_S1F_EUlS1E_E_NS1_11comp_targetILNS1_3genE10ELNS1_11target_archE1200ELNS1_3gpuE4ELNS1_3repE0EEENS1_30default_config_static_selectorELNS0_4arch9wavefront6targetE0EEEvT1_.private_seg_size, 0
	.set _ZN7rocprim17ROCPRIM_400000_NS6detail17trampoline_kernelINS0_14default_configENS1_25partition_config_selectorILNS1_17partition_subalgoE6EN6thrust23THRUST_200600_302600_NS5tupleIttNS7_9null_typeES9_S9_S9_S9_S9_S9_S9_EENS0_10empty_typeEbEEZZNS1_14partition_implILS5_6ELb0ES3_mNS7_12zip_iteratorINS8_INS7_6detail15normal_iteratorINS7_10device_ptrItEEEESJ_S9_S9_S9_S9_S9_S9_S9_S9_EEEEPSB_SM_NS0_5tupleIJNSE_INS8_ISJ_NS7_16discard_iteratorINS7_11use_defaultEEES9_S9_S9_S9_S9_S9_S9_S9_EEEESB_EEENSN_IJSM_SM_EEESB_PlJNSF_9not_fun_tINSF_14equal_to_valueISA_EEEEEEE10hipError_tPvRmT3_T4_T5_T6_T7_T9_mT8_P12ihipStream_tbDpT10_ENKUlT_T0_E_clISt17integral_constantIbLb1EES1I_IbLb0EEEEDaS1E_S1F_EUlS1E_E_NS1_11comp_targetILNS1_3genE10ELNS1_11target_archE1200ELNS1_3gpuE4ELNS1_3repE0EEENS1_30default_config_static_selectorELNS0_4arch9wavefront6targetE0EEEvT1_.uses_vcc, 0
	.set _ZN7rocprim17ROCPRIM_400000_NS6detail17trampoline_kernelINS0_14default_configENS1_25partition_config_selectorILNS1_17partition_subalgoE6EN6thrust23THRUST_200600_302600_NS5tupleIttNS7_9null_typeES9_S9_S9_S9_S9_S9_S9_EENS0_10empty_typeEbEEZZNS1_14partition_implILS5_6ELb0ES3_mNS7_12zip_iteratorINS8_INS7_6detail15normal_iteratorINS7_10device_ptrItEEEESJ_S9_S9_S9_S9_S9_S9_S9_S9_EEEEPSB_SM_NS0_5tupleIJNSE_INS8_ISJ_NS7_16discard_iteratorINS7_11use_defaultEEES9_S9_S9_S9_S9_S9_S9_S9_EEEESB_EEENSN_IJSM_SM_EEESB_PlJNSF_9not_fun_tINSF_14equal_to_valueISA_EEEEEEE10hipError_tPvRmT3_T4_T5_T6_T7_T9_mT8_P12ihipStream_tbDpT10_ENKUlT_T0_E_clISt17integral_constantIbLb1EES1I_IbLb0EEEEDaS1E_S1F_EUlS1E_E_NS1_11comp_targetILNS1_3genE10ELNS1_11target_archE1200ELNS1_3gpuE4ELNS1_3repE0EEENS1_30default_config_static_selectorELNS0_4arch9wavefront6targetE0EEEvT1_.uses_flat_scratch, 0
	.set _ZN7rocprim17ROCPRIM_400000_NS6detail17trampoline_kernelINS0_14default_configENS1_25partition_config_selectorILNS1_17partition_subalgoE6EN6thrust23THRUST_200600_302600_NS5tupleIttNS7_9null_typeES9_S9_S9_S9_S9_S9_S9_EENS0_10empty_typeEbEEZZNS1_14partition_implILS5_6ELb0ES3_mNS7_12zip_iteratorINS8_INS7_6detail15normal_iteratorINS7_10device_ptrItEEEESJ_S9_S9_S9_S9_S9_S9_S9_S9_EEEEPSB_SM_NS0_5tupleIJNSE_INS8_ISJ_NS7_16discard_iteratorINS7_11use_defaultEEES9_S9_S9_S9_S9_S9_S9_S9_EEEESB_EEENSN_IJSM_SM_EEESB_PlJNSF_9not_fun_tINSF_14equal_to_valueISA_EEEEEEE10hipError_tPvRmT3_T4_T5_T6_T7_T9_mT8_P12ihipStream_tbDpT10_ENKUlT_T0_E_clISt17integral_constantIbLb1EES1I_IbLb0EEEEDaS1E_S1F_EUlS1E_E_NS1_11comp_targetILNS1_3genE10ELNS1_11target_archE1200ELNS1_3gpuE4ELNS1_3repE0EEENS1_30default_config_static_selectorELNS0_4arch9wavefront6targetE0EEEvT1_.has_dyn_sized_stack, 0
	.set _ZN7rocprim17ROCPRIM_400000_NS6detail17trampoline_kernelINS0_14default_configENS1_25partition_config_selectorILNS1_17partition_subalgoE6EN6thrust23THRUST_200600_302600_NS5tupleIttNS7_9null_typeES9_S9_S9_S9_S9_S9_S9_EENS0_10empty_typeEbEEZZNS1_14partition_implILS5_6ELb0ES3_mNS7_12zip_iteratorINS8_INS7_6detail15normal_iteratorINS7_10device_ptrItEEEESJ_S9_S9_S9_S9_S9_S9_S9_S9_EEEEPSB_SM_NS0_5tupleIJNSE_INS8_ISJ_NS7_16discard_iteratorINS7_11use_defaultEEES9_S9_S9_S9_S9_S9_S9_S9_EEEESB_EEENSN_IJSM_SM_EEESB_PlJNSF_9not_fun_tINSF_14equal_to_valueISA_EEEEEEE10hipError_tPvRmT3_T4_T5_T6_T7_T9_mT8_P12ihipStream_tbDpT10_ENKUlT_T0_E_clISt17integral_constantIbLb1EES1I_IbLb0EEEEDaS1E_S1F_EUlS1E_E_NS1_11comp_targetILNS1_3genE10ELNS1_11target_archE1200ELNS1_3gpuE4ELNS1_3repE0EEENS1_30default_config_static_selectorELNS0_4arch9wavefront6targetE0EEEvT1_.has_recursion, 0
	.set _ZN7rocprim17ROCPRIM_400000_NS6detail17trampoline_kernelINS0_14default_configENS1_25partition_config_selectorILNS1_17partition_subalgoE6EN6thrust23THRUST_200600_302600_NS5tupleIttNS7_9null_typeES9_S9_S9_S9_S9_S9_S9_EENS0_10empty_typeEbEEZZNS1_14partition_implILS5_6ELb0ES3_mNS7_12zip_iteratorINS8_INS7_6detail15normal_iteratorINS7_10device_ptrItEEEESJ_S9_S9_S9_S9_S9_S9_S9_S9_EEEEPSB_SM_NS0_5tupleIJNSE_INS8_ISJ_NS7_16discard_iteratorINS7_11use_defaultEEES9_S9_S9_S9_S9_S9_S9_S9_EEEESB_EEENSN_IJSM_SM_EEESB_PlJNSF_9not_fun_tINSF_14equal_to_valueISA_EEEEEEE10hipError_tPvRmT3_T4_T5_T6_T7_T9_mT8_P12ihipStream_tbDpT10_ENKUlT_T0_E_clISt17integral_constantIbLb1EES1I_IbLb0EEEEDaS1E_S1F_EUlS1E_E_NS1_11comp_targetILNS1_3genE10ELNS1_11target_archE1200ELNS1_3gpuE4ELNS1_3repE0EEENS1_30default_config_static_selectorELNS0_4arch9wavefront6targetE0EEEvT1_.has_indirect_call, 0
	.section	.AMDGPU.csdata,"",@progbits
; Kernel info:
; codeLenInByte = 4
; TotalNumSgprs: 0
; NumVgprs: 0
; ScratchSize: 0
; MemoryBound: 0
; FloatMode: 240
; IeeeMode: 1
; LDSByteSize: 0 bytes/workgroup (compile time only)
; SGPRBlocks: 0
; VGPRBlocks: 0
; NumSGPRsForWavesPerEU: 1
; NumVGPRsForWavesPerEU: 1
; Occupancy: 16
; WaveLimiterHint : 0
; COMPUTE_PGM_RSRC2:SCRATCH_EN: 0
; COMPUTE_PGM_RSRC2:USER_SGPR: 2
; COMPUTE_PGM_RSRC2:TRAP_HANDLER: 0
; COMPUTE_PGM_RSRC2:TGID_X_EN: 1
; COMPUTE_PGM_RSRC2:TGID_Y_EN: 0
; COMPUTE_PGM_RSRC2:TGID_Z_EN: 0
; COMPUTE_PGM_RSRC2:TIDIG_COMP_CNT: 0
	.section	.text._ZN7rocprim17ROCPRIM_400000_NS6detail17trampoline_kernelINS0_14default_configENS1_25partition_config_selectorILNS1_17partition_subalgoE6EN6thrust23THRUST_200600_302600_NS5tupleIttNS7_9null_typeES9_S9_S9_S9_S9_S9_S9_EENS0_10empty_typeEbEEZZNS1_14partition_implILS5_6ELb0ES3_mNS7_12zip_iteratorINS8_INS7_6detail15normal_iteratorINS7_10device_ptrItEEEESJ_S9_S9_S9_S9_S9_S9_S9_S9_EEEEPSB_SM_NS0_5tupleIJNSE_INS8_ISJ_NS7_16discard_iteratorINS7_11use_defaultEEES9_S9_S9_S9_S9_S9_S9_S9_EEEESB_EEENSN_IJSM_SM_EEESB_PlJNSF_9not_fun_tINSF_14equal_to_valueISA_EEEEEEE10hipError_tPvRmT3_T4_T5_T6_T7_T9_mT8_P12ihipStream_tbDpT10_ENKUlT_T0_E_clISt17integral_constantIbLb1EES1I_IbLb0EEEEDaS1E_S1F_EUlS1E_E_NS1_11comp_targetILNS1_3genE9ELNS1_11target_archE1100ELNS1_3gpuE3ELNS1_3repE0EEENS1_30default_config_static_selectorELNS0_4arch9wavefront6targetE0EEEvT1_,"axG",@progbits,_ZN7rocprim17ROCPRIM_400000_NS6detail17trampoline_kernelINS0_14default_configENS1_25partition_config_selectorILNS1_17partition_subalgoE6EN6thrust23THRUST_200600_302600_NS5tupleIttNS7_9null_typeES9_S9_S9_S9_S9_S9_S9_EENS0_10empty_typeEbEEZZNS1_14partition_implILS5_6ELb0ES3_mNS7_12zip_iteratorINS8_INS7_6detail15normal_iteratorINS7_10device_ptrItEEEESJ_S9_S9_S9_S9_S9_S9_S9_S9_EEEEPSB_SM_NS0_5tupleIJNSE_INS8_ISJ_NS7_16discard_iteratorINS7_11use_defaultEEES9_S9_S9_S9_S9_S9_S9_S9_EEEESB_EEENSN_IJSM_SM_EEESB_PlJNSF_9not_fun_tINSF_14equal_to_valueISA_EEEEEEE10hipError_tPvRmT3_T4_T5_T6_T7_T9_mT8_P12ihipStream_tbDpT10_ENKUlT_T0_E_clISt17integral_constantIbLb1EES1I_IbLb0EEEEDaS1E_S1F_EUlS1E_E_NS1_11comp_targetILNS1_3genE9ELNS1_11target_archE1100ELNS1_3gpuE3ELNS1_3repE0EEENS1_30default_config_static_selectorELNS0_4arch9wavefront6targetE0EEEvT1_,comdat
	.protected	_ZN7rocprim17ROCPRIM_400000_NS6detail17trampoline_kernelINS0_14default_configENS1_25partition_config_selectorILNS1_17partition_subalgoE6EN6thrust23THRUST_200600_302600_NS5tupleIttNS7_9null_typeES9_S9_S9_S9_S9_S9_S9_EENS0_10empty_typeEbEEZZNS1_14partition_implILS5_6ELb0ES3_mNS7_12zip_iteratorINS8_INS7_6detail15normal_iteratorINS7_10device_ptrItEEEESJ_S9_S9_S9_S9_S9_S9_S9_S9_EEEEPSB_SM_NS0_5tupleIJNSE_INS8_ISJ_NS7_16discard_iteratorINS7_11use_defaultEEES9_S9_S9_S9_S9_S9_S9_S9_EEEESB_EEENSN_IJSM_SM_EEESB_PlJNSF_9not_fun_tINSF_14equal_to_valueISA_EEEEEEE10hipError_tPvRmT3_T4_T5_T6_T7_T9_mT8_P12ihipStream_tbDpT10_ENKUlT_T0_E_clISt17integral_constantIbLb1EES1I_IbLb0EEEEDaS1E_S1F_EUlS1E_E_NS1_11comp_targetILNS1_3genE9ELNS1_11target_archE1100ELNS1_3gpuE3ELNS1_3repE0EEENS1_30default_config_static_selectorELNS0_4arch9wavefront6targetE0EEEvT1_ ; -- Begin function _ZN7rocprim17ROCPRIM_400000_NS6detail17trampoline_kernelINS0_14default_configENS1_25partition_config_selectorILNS1_17partition_subalgoE6EN6thrust23THRUST_200600_302600_NS5tupleIttNS7_9null_typeES9_S9_S9_S9_S9_S9_S9_EENS0_10empty_typeEbEEZZNS1_14partition_implILS5_6ELb0ES3_mNS7_12zip_iteratorINS8_INS7_6detail15normal_iteratorINS7_10device_ptrItEEEESJ_S9_S9_S9_S9_S9_S9_S9_S9_EEEEPSB_SM_NS0_5tupleIJNSE_INS8_ISJ_NS7_16discard_iteratorINS7_11use_defaultEEES9_S9_S9_S9_S9_S9_S9_S9_EEEESB_EEENSN_IJSM_SM_EEESB_PlJNSF_9not_fun_tINSF_14equal_to_valueISA_EEEEEEE10hipError_tPvRmT3_T4_T5_T6_T7_T9_mT8_P12ihipStream_tbDpT10_ENKUlT_T0_E_clISt17integral_constantIbLb1EES1I_IbLb0EEEEDaS1E_S1F_EUlS1E_E_NS1_11comp_targetILNS1_3genE9ELNS1_11target_archE1100ELNS1_3gpuE3ELNS1_3repE0EEENS1_30default_config_static_selectorELNS0_4arch9wavefront6targetE0EEEvT1_
	.globl	_ZN7rocprim17ROCPRIM_400000_NS6detail17trampoline_kernelINS0_14default_configENS1_25partition_config_selectorILNS1_17partition_subalgoE6EN6thrust23THRUST_200600_302600_NS5tupleIttNS7_9null_typeES9_S9_S9_S9_S9_S9_S9_EENS0_10empty_typeEbEEZZNS1_14partition_implILS5_6ELb0ES3_mNS7_12zip_iteratorINS8_INS7_6detail15normal_iteratorINS7_10device_ptrItEEEESJ_S9_S9_S9_S9_S9_S9_S9_S9_EEEEPSB_SM_NS0_5tupleIJNSE_INS8_ISJ_NS7_16discard_iteratorINS7_11use_defaultEEES9_S9_S9_S9_S9_S9_S9_S9_EEEESB_EEENSN_IJSM_SM_EEESB_PlJNSF_9not_fun_tINSF_14equal_to_valueISA_EEEEEEE10hipError_tPvRmT3_T4_T5_T6_T7_T9_mT8_P12ihipStream_tbDpT10_ENKUlT_T0_E_clISt17integral_constantIbLb1EES1I_IbLb0EEEEDaS1E_S1F_EUlS1E_E_NS1_11comp_targetILNS1_3genE9ELNS1_11target_archE1100ELNS1_3gpuE3ELNS1_3repE0EEENS1_30default_config_static_selectorELNS0_4arch9wavefront6targetE0EEEvT1_
	.p2align	8
	.type	_ZN7rocprim17ROCPRIM_400000_NS6detail17trampoline_kernelINS0_14default_configENS1_25partition_config_selectorILNS1_17partition_subalgoE6EN6thrust23THRUST_200600_302600_NS5tupleIttNS7_9null_typeES9_S9_S9_S9_S9_S9_S9_EENS0_10empty_typeEbEEZZNS1_14partition_implILS5_6ELb0ES3_mNS7_12zip_iteratorINS8_INS7_6detail15normal_iteratorINS7_10device_ptrItEEEESJ_S9_S9_S9_S9_S9_S9_S9_S9_EEEEPSB_SM_NS0_5tupleIJNSE_INS8_ISJ_NS7_16discard_iteratorINS7_11use_defaultEEES9_S9_S9_S9_S9_S9_S9_S9_EEEESB_EEENSN_IJSM_SM_EEESB_PlJNSF_9not_fun_tINSF_14equal_to_valueISA_EEEEEEE10hipError_tPvRmT3_T4_T5_T6_T7_T9_mT8_P12ihipStream_tbDpT10_ENKUlT_T0_E_clISt17integral_constantIbLb1EES1I_IbLb0EEEEDaS1E_S1F_EUlS1E_E_NS1_11comp_targetILNS1_3genE9ELNS1_11target_archE1100ELNS1_3gpuE3ELNS1_3repE0EEENS1_30default_config_static_selectorELNS0_4arch9wavefront6targetE0EEEvT1_,@function
_ZN7rocprim17ROCPRIM_400000_NS6detail17trampoline_kernelINS0_14default_configENS1_25partition_config_selectorILNS1_17partition_subalgoE6EN6thrust23THRUST_200600_302600_NS5tupleIttNS7_9null_typeES9_S9_S9_S9_S9_S9_S9_EENS0_10empty_typeEbEEZZNS1_14partition_implILS5_6ELb0ES3_mNS7_12zip_iteratorINS8_INS7_6detail15normal_iteratorINS7_10device_ptrItEEEESJ_S9_S9_S9_S9_S9_S9_S9_S9_EEEEPSB_SM_NS0_5tupleIJNSE_INS8_ISJ_NS7_16discard_iteratorINS7_11use_defaultEEES9_S9_S9_S9_S9_S9_S9_S9_EEEESB_EEENSN_IJSM_SM_EEESB_PlJNSF_9not_fun_tINSF_14equal_to_valueISA_EEEEEEE10hipError_tPvRmT3_T4_T5_T6_T7_T9_mT8_P12ihipStream_tbDpT10_ENKUlT_T0_E_clISt17integral_constantIbLb1EES1I_IbLb0EEEEDaS1E_S1F_EUlS1E_E_NS1_11comp_targetILNS1_3genE9ELNS1_11target_archE1100ELNS1_3gpuE3ELNS1_3repE0EEENS1_30default_config_static_selectorELNS0_4arch9wavefront6targetE0EEEvT1_: ; @_ZN7rocprim17ROCPRIM_400000_NS6detail17trampoline_kernelINS0_14default_configENS1_25partition_config_selectorILNS1_17partition_subalgoE6EN6thrust23THRUST_200600_302600_NS5tupleIttNS7_9null_typeES9_S9_S9_S9_S9_S9_S9_EENS0_10empty_typeEbEEZZNS1_14partition_implILS5_6ELb0ES3_mNS7_12zip_iteratorINS8_INS7_6detail15normal_iteratorINS7_10device_ptrItEEEESJ_S9_S9_S9_S9_S9_S9_S9_S9_EEEEPSB_SM_NS0_5tupleIJNSE_INS8_ISJ_NS7_16discard_iteratorINS7_11use_defaultEEES9_S9_S9_S9_S9_S9_S9_S9_EEEESB_EEENSN_IJSM_SM_EEESB_PlJNSF_9not_fun_tINSF_14equal_to_valueISA_EEEEEEE10hipError_tPvRmT3_T4_T5_T6_T7_T9_mT8_P12ihipStream_tbDpT10_ENKUlT_T0_E_clISt17integral_constantIbLb1EES1I_IbLb0EEEEDaS1E_S1F_EUlS1E_E_NS1_11comp_targetILNS1_3genE9ELNS1_11target_archE1100ELNS1_3gpuE3ELNS1_3repE0EEENS1_30default_config_static_selectorELNS0_4arch9wavefront6targetE0EEEvT1_
; %bb.0:
	.section	.rodata,"a",@progbits
	.p2align	6, 0x0
	.amdhsa_kernel _ZN7rocprim17ROCPRIM_400000_NS6detail17trampoline_kernelINS0_14default_configENS1_25partition_config_selectorILNS1_17partition_subalgoE6EN6thrust23THRUST_200600_302600_NS5tupleIttNS7_9null_typeES9_S9_S9_S9_S9_S9_S9_EENS0_10empty_typeEbEEZZNS1_14partition_implILS5_6ELb0ES3_mNS7_12zip_iteratorINS8_INS7_6detail15normal_iteratorINS7_10device_ptrItEEEESJ_S9_S9_S9_S9_S9_S9_S9_S9_EEEEPSB_SM_NS0_5tupleIJNSE_INS8_ISJ_NS7_16discard_iteratorINS7_11use_defaultEEES9_S9_S9_S9_S9_S9_S9_S9_EEEESB_EEENSN_IJSM_SM_EEESB_PlJNSF_9not_fun_tINSF_14equal_to_valueISA_EEEEEEE10hipError_tPvRmT3_T4_T5_T6_T7_T9_mT8_P12ihipStream_tbDpT10_ENKUlT_T0_E_clISt17integral_constantIbLb1EES1I_IbLb0EEEEDaS1E_S1F_EUlS1E_E_NS1_11comp_targetILNS1_3genE9ELNS1_11target_archE1100ELNS1_3gpuE3ELNS1_3repE0EEENS1_30default_config_static_selectorELNS0_4arch9wavefront6targetE0EEEvT1_
		.amdhsa_group_segment_fixed_size 0
		.amdhsa_private_segment_fixed_size 0
		.amdhsa_kernarg_size 144
		.amdhsa_user_sgpr_count 2
		.amdhsa_user_sgpr_dispatch_ptr 0
		.amdhsa_user_sgpr_queue_ptr 0
		.amdhsa_user_sgpr_kernarg_segment_ptr 1
		.amdhsa_user_sgpr_dispatch_id 0
		.amdhsa_user_sgpr_private_segment_size 0
		.amdhsa_wavefront_size32 1
		.amdhsa_uses_dynamic_stack 0
		.amdhsa_enable_private_segment 0
		.amdhsa_system_sgpr_workgroup_id_x 1
		.amdhsa_system_sgpr_workgroup_id_y 0
		.amdhsa_system_sgpr_workgroup_id_z 0
		.amdhsa_system_sgpr_workgroup_info 0
		.amdhsa_system_vgpr_workitem_id 0
		.amdhsa_next_free_vgpr 1
		.amdhsa_next_free_sgpr 1
		.amdhsa_reserve_vcc 0
		.amdhsa_float_round_mode_32 0
		.amdhsa_float_round_mode_16_64 0
		.amdhsa_float_denorm_mode_32 3
		.amdhsa_float_denorm_mode_16_64 3
		.amdhsa_fp16_overflow 0
		.amdhsa_workgroup_processor_mode 1
		.amdhsa_memory_ordered 1
		.amdhsa_forward_progress 1
		.amdhsa_inst_pref_size 0
		.amdhsa_round_robin_scheduling 0
		.amdhsa_exception_fp_ieee_invalid_op 0
		.amdhsa_exception_fp_denorm_src 0
		.amdhsa_exception_fp_ieee_div_zero 0
		.amdhsa_exception_fp_ieee_overflow 0
		.amdhsa_exception_fp_ieee_underflow 0
		.amdhsa_exception_fp_ieee_inexact 0
		.amdhsa_exception_int_div_zero 0
	.end_amdhsa_kernel
	.section	.text._ZN7rocprim17ROCPRIM_400000_NS6detail17trampoline_kernelINS0_14default_configENS1_25partition_config_selectorILNS1_17partition_subalgoE6EN6thrust23THRUST_200600_302600_NS5tupleIttNS7_9null_typeES9_S9_S9_S9_S9_S9_S9_EENS0_10empty_typeEbEEZZNS1_14partition_implILS5_6ELb0ES3_mNS7_12zip_iteratorINS8_INS7_6detail15normal_iteratorINS7_10device_ptrItEEEESJ_S9_S9_S9_S9_S9_S9_S9_S9_EEEEPSB_SM_NS0_5tupleIJNSE_INS8_ISJ_NS7_16discard_iteratorINS7_11use_defaultEEES9_S9_S9_S9_S9_S9_S9_S9_EEEESB_EEENSN_IJSM_SM_EEESB_PlJNSF_9not_fun_tINSF_14equal_to_valueISA_EEEEEEE10hipError_tPvRmT3_T4_T5_T6_T7_T9_mT8_P12ihipStream_tbDpT10_ENKUlT_T0_E_clISt17integral_constantIbLb1EES1I_IbLb0EEEEDaS1E_S1F_EUlS1E_E_NS1_11comp_targetILNS1_3genE9ELNS1_11target_archE1100ELNS1_3gpuE3ELNS1_3repE0EEENS1_30default_config_static_selectorELNS0_4arch9wavefront6targetE0EEEvT1_,"axG",@progbits,_ZN7rocprim17ROCPRIM_400000_NS6detail17trampoline_kernelINS0_14default_configENS1_25partition_config_selectorILNS1_17partition_subalgoE6EN6thrust23THRUST_200600_302600_NS5tupleIttNS7_9null_typeES9_S9_S9_S9_S9_S9_S9_EENS0_10empty_typeEbEEZZNS1_14partition_implILS5_6ELb0ES3_mNS7_12zip_iteratorINS8_INS7_6detail15normal_iteratorINS7_10device_ptrItEEEESJ_S9_S9_S9_S9_S9_S9_S9_S9_EEEEPSB_SM_NS0_5tupleIJNSE_INS8_ISJ_NS7_16discard_iteratorINS7_11use_defaultEEES9_S9_S9_S9_S9_S9_S9_S9_EEEESB_EEENSN_IJSM_SM_EEESB_PlJNSF_9not_fun_tINSF_14equal_to_valueISA_EEEEEEE10hipError_tPvRmT3_T4_T5_T6_T7_T9_mT8_P12ihipStream_tbDpT10_ENKUlT_T0_E_clISt17integral_constantIbLb1EES1I_IbLb0EEEEDaS1E_S1F_EUlS1E_E_NS1_11comp_targetILNS1_3genE9ELNS1_11target_archE1100ELNS1_3gpuE3ELNS1_3repE0EEENS1_30default_config_static_selectorELNS0_4arch9wavefront6targetE0EEEvT1_,comdat
.Lfunc_end1971:
	.size	_ZN7rocprim17ROCPRIM_400000_NS6detail17trampoline_kernelINS0_14default_configENS1_25partition_config_selectorILNS1_17partition_subalgoE6EN6thrust23THRUST_200600_302600_NS5tupleIttNS7_9null_typeES9_S9_S9_S9_S9_S9_S9_EENS0_10empty_typeEbEEZZNS1_14partition_implILS5_6ELb0ES3_mNS7_12zip_iteratorINS8_INS7_6detail15normal_iteratorINS7_10device_ptrItEEEESJ_S9_S9_S9_S9_S9_S9_S9_S9_EEEEPSB_SM_NS0_5tupleIJNSE_INS8_ISJ_NS7_16discard_iteratorINS7_11use_defaultEEES9_S9_S9_S9_S9_S9_S9_S9_EEEESB_EEENSN_IJSM_SM_EEESB_PlJNSF_9not_fun_tINSF_14equal_to_valueISA_EEEEEEE10hipError_tPvRmT3_T4_T5_T6_T7_T9_mT8_P12ihipStream_tbDpT10_ENKUlT_T0_E_clISt17integral_constantIbLb1EES1I_IbLb0EEEEDaS1E_S1F_EUlS1E_E_NS1_11comp_targetILNS1_3genE9ELNS1_11target_archE1100ELNS1_3gpuE3ELNS1_3repE0EEENS1_30default_config_static_selectorELNS0_4arch9wavefront6targetE0EEEvT1_, .Lfunc_end1971-_ZN7rocprim17ROCPRIM_400000_NS6detail17trampoline_kernelINS0_14default_configENS1_25partition_config_selectorILNS1_17partition_subalgoE6EN6thrust23THRUST_200600_302600_NS5tupleIttNS7_9null_typeES9_S9_S9_S9_S9_S9_S9_EENS0_10empty_typeEbEEZZNS1_14partition_implILS5_6ELb0ES3_mNS7_12zip_iteratorINS8_INS7_6detail15normal_iteratorINS7_10device_ptrItEEEESJ_S9_S9_S9_S9_S9_S9_S9_S9_EEEEPSB_SM_NS0_5tupleIJNSE_INS8_ISJ_NS7_16discard_iteratorINS7_11use_defaultEEES9_S9_S9_S9_S9_S9_S9_S9_EEEESB_EEENSN_IJSM_SM_EEESB_PlJNSF_9not_fun_tINSF_14equal_to_valueISA_EEEEEEE10hipError_tPvRmT3_T4_T5_T6_T7_T9_mT8_P12ihipStream_tbDpT10_ENKUlT_T0_E_clISt17integral_constantIbLb1EES1I_IbLb0EEEEDaS1E_S1F_EUlS1E_E_NS1_11comp_targetILNS1_3genE9ELNS1_11target_archE1100ELNS1_3gpuE3ELNS1_3repE0EEENS1_30default_config_static_selectorELNS0_4arch9wavefront6targetE0EEEvT1_
                                        ; -- End function
	.set _ZN7rocprim17ROCPRIM_400000_NS6detail17trampoline_kernelINS0_14default_configENS1_25partition_config_selectorILNS1_17partition_subalgoE6EN6thrust23THRUST_200600_302600_NS5tupleIttNS7_9null_typeES9_S9_S9_S9_S9_S9_S9_EENS0_10empty_typeEbEEZZNS1_14partition_implILS5_6ELb0ES3_mNS7_12zip_iteratorINS8_INS7_6detail15normal_iteratorINS7_10device_ptrItEEEESJ_S9_S9_S9_S9_S9_S9_S9_S9_EEEEPSB_SM_NS0_5tupleIJNSE_INS8_ISJ_NS7_16discard_iteratorINS7_11use_defaultEEES9_S9_S9_S9_S9_S9_S9_S9_EEEESB_EEENSN_IJSM_SM_EEESB_PlJNSF_9not_fun_tINSF_14equal_to_valueISA_EEEEEEE10hipError_tPvRmT3_T4_T5_T6_T7_T9_mT8_P12ihipStream_tbDpT10_ENKUlT_T0_E_clISt17integral_constantIbLb1EES1I_IbLb0EEEEDaS1E_S1F_EUlS1E_E_NS1_11comp_targetILNS1_3genE9ELNS1_11target_archE1100ELNS1_3gpuE3ELNS1_3repE0EEENS1_30default_config_static_selectorELNS0_4arch9wavefront6targetE0EEEvT1_.num_vgpr, 0
	.set _ZN7rocprim17ROCPRIM_400000_NS6detail17trampoline_kernelINS0_14default_configENS1_25partition_config_selectorILNS1_17partition_subalgoE6EN6thrust23THRUST_200600_302600_NS5tupleIttNS7_9null_typeES9_S9_S9_S9_S9_S9_S9_EENS0_10empty_typeEbEEZZNS1_14partition_implILS5_6ELb0ES3_mNS7_12zip_iteratorINS8_INS7_6detail15normal_iteratorINS7_10device_ptrItEEEESJ_S9_S9_S9_S9_S9_S9_S9_S9_EEEEPSB_SM_NS0_5tupleIJNSE_INS8_ISJ_NS7_16discard_iteratorINS7_11use_defaultEEES9_S9_S9_S9_S9_S9_S9_S9_EEEESB_EEENSN_IJSM_SM_EEESB_PlJNSF_9not_fun_tINSF_14equal_to_valueISA_EEEEEEE10hipError_tPvRmT3_T4_T5_T6_T7_T9_mT8_P12ihipStream_tbDpT10_ENKUlT_T0_E_clISt17integral_constantIbLb1EES1I_IbLb0EEEEDaS1E_S1F_EUlS1E_E_NS1_11comp_targetILNS1_3genE9ELNS1_11target_archE1100ELNS1_3gpuE3ELNS1_3repE0EEENS1_30default_config_static_selectorELNS0_4arch9wavefront6targetE0EEEvT1_.num_agpr, 0
	.set _ZN7rocprim17ROCPRIM_400000_NS6detail17trampoline_kernelINS0_14default_configENS1_25partition_config_selectorILNS1_17partition_subalgoE6EN6thrust23THRUST_200600_302600_NS5tupleIttNS7_9null_typeES9_S9_S9_S9_S9_S9_S9_EENS0_10empty_typeEbEEZZNS1_14partition_implILS5_6ELb0ES3_mNS7_12zip_iteratorINS8_INS7_6detail15normal_iteratorINS7_10device_ptrItEEEESJ_S9_S9_S9_S9_S9_S9_S9_S9_EEEEPSB_SM_NS0_5tupleIJNSE_INS8_ISJ_NS7_16discard_iteratorINS7_11use_defaultEEES9_S9_S9_S9_S9_S9_S9_S9_EEEESB_EEENSN_IJSM_SM_EEESB_PlJNSF_9not_fun_tINSF_14equal_to_valueISA_EEEEEEE10hipError_tPvRmT3_T4_T5_T6_T7_T9_mT8_P12ihipStream_tbDpT10_ENKUlT_T0_E_clISt17integral_constantIbLb1EES1I_IbLb0EEEEDaS1E_S1F_EUlS1E_E_NS1_11comp_targetILNS1_3genE9ELNS1_11target_archE1100ELNS1_3gpuE3ELNS1_3repE0EEENS1_30default_config_static_selectorELNS0_4arch9wavefront6targetE0EEEvT1_.numbered_sgpr, 0
	.set _ZN7rocprim17ROCPRIM_400000_NS6detail17trampoline_kernelINS0_14default_configENS1_25partition_config_selectorILNS1_17partition_subalgoE6EN6thrust23THRUST_200600_302600_NS5tupleIttNS7_9null_typeES9_S9_S9_S9_S9_S9_S9_EENS0_10empty_typeEbEEZZNS1_14partition_implILS5_6ELb0ES3_mNS7_12zip_iteratorINS8_INS7_6detail15normal_iteratorINS7_10device_ptrItEEEESJ_S9_S9_S9_S9_S9_S9_S9_S9_EEEEPSB_SM_NS0_5tupleIJNSE_INS8_ISJ_NS7_16discard_iteratorINS7_11use_defaultEEES9_S9_S9_S9_S9_S9_S9_S9_EEEESB_EEENSN_IJSM_SM_EEESB_PlJNSF_9not_fun_tINSF_14equal_to_valueISA_EEEEEEE10hipError_tPvRmT3_T4_T5_T6_T7_T9_mT8_P12ihipStream_tbDpT10_ENKUlT_T0_E_clISt17integral_constantIbLb1EES1I_IbLb0EEEEDaS1E_S1F_EUlS1E_E_NS1_11comp_targetILNS1_3genE9ELNS1_11target_archE1100ELNS1_3gpuE3ELNS1_3repE0EEENS1_30default_config_static_selectorELNS0_4arch9wavefront6targetE0EEEvT1_.num_named_barrier, 0
	.set _ZN7rocprim17ROCPRIM_400000_NS6detail17trampoline_kernelINS0_14default_configENS1_25partition_config_selectorILNS1_17partition_subalgoE6EN6thrust23THRUST_200600_302600_NS5tupleIttNS7_9null_typeES9_S9_S9_S9_S9_S9_S9_EENS0_10empty_typeEbEEZZNS1_14partition_implILS5_6ELb0ES3_mNS7_12zip_iteratorINS8_INS7_6detail15normal_iteratorINS7_10device_ptrItEEEESJ_S9_S9_S9_S9_S9_S9_S9_S9_EEEEPSB_SM_NS0_5tupleIJNSE_INS8_ISJ_NS7_16discard_iteratorINS7_11use_defaultEEES9_S9_S9_S9_S9_S9_S9_S9_EEEESB_EEENSN_IJSM_SM_EEESB_PlJNSF_9not_fun_tINSF_14equal_to_valueISA_EEEEEEE10hipError_tPvRmT3_T4_T5_T6_T7_T9_mT8_P12ihipStream_tbDpT10_ENKUlT_T0_E_clISt17integral_constantIbLb1EES1I_IbLb0EEEEDaS1E_S1F_EUlS1E_E_NS1_11comp_targetILNS1_3genE9ELNS1_11target_archE1100ELNS1_3gpuE3ELNS1_3repE0EEENS1_30default_config_static_selectorELNS0_4arch9wavefront6targetE0EEEvT1_.private_seg_size, 0
	.set _ZN7rocprim17ROCPRIM_400000_NS6detail17trampoline_kernelINS0_14default_configENS1_25partition_config_selectorILNS1_17partition_subalgoE6EN6thrust23THRUST_200600_302600_NS5tupleIttNS7_9null_typeES9_S9_S9_S9_S9_S9_S9_EENS0_10empty_typeEbEEZZNS1_14partition_implILS5_6ELb0ES3_mNS7_12zip_iteratorINS8_INS7_6detail15normal_iteratorINS7_10device_ptrItEEEESJ_S9_S9_S9_S9_S9_S9_S9_S9_EEEEPSB_SM_NS0_5tupleIJNSE_INS8_ISJ_NS7_16discard_iteratorINS7_11use_defaultEEES9_S9_S9_S9_S9_S9_S9_S9_EEEESB_EEENSN_IJSM_SM_EEESB_PlJNSF_9not_fun_tINSF_14equal_to_valueISA_EEEEEEE10hipError_tPvRmT3_T4_T5_T6_T7_T9_mT8_P12ihipStream_tbDpT10_ENKUlT_T0_E_clISt17integral_constantIbLb1EES1I_IbLb0EEEEDaS1E_S1F_EUlS1E_E_NS1_11comp_targetILNS1_3genE9ELNS1_11target_archE1100ELNS1_3gpuE3ELNS1_3repE0EEENS1_30default_config_static_selectorELNS0_4arch9wavefront6targetE0EEEvT1_.uses_vcc, 0
	.set _ZN7rocprim17ROCPRIM_400000_NS6detail17trampoline_kernelINS0_14default_configENS1_25partition_config_selectorILNS1_17partition_subalgoE6EN6thrust23THRUST_200600_302600_NS5tupleIttNS7_9null_typeES9_S9_S9_S9_S9_S9_S9_EENS0_10empty_typeEbEEZZNS1_14partition_implILS5_6ELb0ES3_mNS7_12zip_iteratorINS8_INS7_6detail15normal_iteratorINS7_10device_ptrItEEEESJ_S9_S9_S9_S9_S9_S9_S9_S9_EEEEPSB_SM_NS0_5tupleIJNSE_INS8_ISJ_NS7_16discard_iteratorINS7_11use_defaultEEES9_S9_S9_S9_S9_S9_S9_S9_EEEESB_EEENSN_IJSM_SM_EEESB_PlJNSF_9not_fun_tINSF_14equal_to_valueISA_EEEEEEE10hipError_tPvRmT3_T4_T5_T6_T7_T9_mT8_P12ihipStream_tbDpT10_ENKUlT_T0_E_clISt17integral_constantIbLb1EES1I_IbLb0EEEEDaS1E_S1F_EUlS1E_E_NS1_11comp_targetILNS1_3genE9ELNS1_11target_archE1100ELNS1_3gpuE3ELNS1_3repE0EEENS1_30default_config_static_selectorELNS0_4arch9wavefront6targetE0EEEvT1_.uses_flat_scratch, 0
	.set _ZN7rocprim17ROCPRIM_400000_NS6detail17trampoline_kernelINS0_14default_configENS1_25partition_config_selectorILNS1_17partition_subalgoE6EN6thrust23THRUST_200600_302600_NS5tupleIttNS7_9null_typeES9_S9_S9_S9_S9_S9_S9_EENS0_10empty_typeEbEEZZNS1_14partition_implILS5_6ELb0ES3_mNS7_12zip_iteratorINS8_INS7_6detail15normal_iteratorINS7_10device_ptrItEEEESJ_S9_S9_S9_S9_S9_S9_S9_S9_EEEEPSB_SM_NS0_5tupleIJNSE_INS8_ISJ_NS7_16discard_iteratorINS7_11use_defaultEEES9_S9_S9_S9_S9_S9_S9_S9_EEEESB_EEENSN_IJSM_SM_EEESB_PlJNSF_9not_fun_tINSF_14equal_to_valueISA_EEEEEEE10hipError_tPvRmT3_T4_T5_T6_T7_T9_mT8_P12ihipStream_tbDpT10_ENKUlT_T0_E_clISt17integral_constantIbLb1EES1I_IbLb0EEEEDaS1E_S1F_EUlS1E_E_NS1_11comp_targetILNS1_3genE9ELNS1_11target_archE1100ELNS1_3gpuE3ELNS1_3repE0EEENS1_30default_config_static_selectorELNS0_4arch9wavefront6targetE0EEEvT1_.has_dyn_sized_stack, 0
	.set _ZN7rocprim17ROCPRIM_400000_NS6detail17trampoline_kernelINS0_14default_configENS1_25partition_config_selectorILNS1_17partition_subalgoE6EN6thrust23THRUST_200600_302600_NS5tupleIttNS7_9null_typeES9_S9_S9_S9_S9_S9_S9_EENS0_10empty_typeEbEEZZNS1_14partition_implILS5_6ELb0ES3_mNS7_12zip_iteratorINS8_INS7_6detail15normal_iteratorINS7_10device_ptrItEEEESJ_S9_S9_S9_S9_S9_S9_S9_S9_EEEEPSB_SM_NS0_5tupleIJNSE_INS8_ISJ_NS7_16discard_iteratorINS7_11use_defaultEEES9_S9_S9_S9_S9_S9_S9_S9_EEEESB_EEENSN_IJSM_SM_EEESB_PlJNSF_9not_fun_tINSF_14equal_to_valueISA_EEEEEEE10hipError_tPvRmT3_T4_T5_T6_T7_T9_mT8_P12ihipStream_tbDpT10_ENKUlT_T0_E_clISt17integral_constantIbLb1EES1I_IbLb0EEEEDaS1E_S1F_EUlS1E_E_NS1_11comp_targetILNS1_3genE9ELNS1_11target_archE1100ELNS1_3gpuE3ELNS1_3repE0EEENS1_30default_config_static_selectorELNS0_4arch9wavefront6targetE0EEEvT1_.has_recursion, 0
	.set _ZN7rocprim17ROCPRIM_400000_NS6detail17trampoline_kernelINS0_14default_configENS1_25partition_config_selectorILNS1_17partition_subalgoE6EN6thrust23THRUST_200600_302600_NS5tupleIttNS7_9null_typeES9_S9_S9_S9_S9_S9_S9_EENS0_10empty_typeEbEEZZNS1_14partition_implILS5_6ELb0ES3_mNS7_12zip_iteratorINS8_INS7_6detail15normal_iteratorINS7_10device_ptrItEEEESJ_S9_S9_S9_S9_S9_S9_S9_S9_EEEEPSB_SM_NS0_5tupleIJNSE_INS8_ISJ_NS7_16discard_iteratorINS7_11use_defaultEEES9_S9_S9_S9_S9_S9_S9_S9_EEEESB_EEENSN_IJSM_SM_EEESB_PlJNSF_9not_fun_tINSF_14equal_to_valueISA_EEEEEEE10hipError_tPvRmT3_T4_T5_T6_T7_T9_mT8_P12ihipStream_tbDpT10_ENKUlT_T0_E_clISt17integral_constantIbLb1EES1I_IbLb0EEEEDaS1E_S1F_EUlS1E_E_NS1_11comp_targetILNS1_3genE9ELNS1_11target_archE1100ELNS1_3gpuE3ELNS1_3repE0EEENS1_30default_config_static_selectorELNS0_4arch9wavefront6targetE0EEEvT1_.has_indirect_call, 0
	.section	.AMDGPU.csdata,"",@progbits
; Kernel info:
; codeLenInByte = 0
; TotalNumSgprs: 0
; NumVgprs: 0
; ScratchSize: 0
; MemoryBound: 0
; FloatMode: 240
; IeeeMode: 1
; LDSByteSize: 0 bytes/workgroup (compile time only)
; SGPRBlocks: 0
; VGPRBlocks: 0
; NumSGPRsForWavesPerEU: 1
; NumVGPRsForWavesPerEU: 1
; Occupancy: 16
; WaveLimiterHint : 0
; COMPUTE_PGM_RSRC2:SCRATCH_EN: 0
; COMPUTE_PGM_RSRC2:USER_SGPR: 2
; COMPUTE_PGM_RSRC2:TRAP_HANDLER: 0
; COMPUTE_PGM_RSRC2:TGID_X_EN: 1
; COMPUTE_PGM_RSRC2:TGID_Y_EN: 0
; COMPUTE_PGM_RSRC2:TGID_Z_EN: 0
; COMPUTE_PGM_RSRC2:TIDIG_COMP_CNT: 0
	.section	.text._ZN7rocprim17ROCPRIM_400000_NS6detail17trampoline_kernelINS0_14default_configENS1_25partition_config_selectorILNS1_17partition_subalgoE6EN6thrust23THRUST_200600_302600_NS5tupleIttNS7_9null_typeES9_S9_S9_S9_S9_S9_S9_EENS0_10empty_typeEbEEZZNS1_14partition_implILS5_6ELb0ES3_mNS7_12zip_iteratorINS8_INS7_6detail15normal_iteratorINS7_10device_ptrItEEEESJ_S9_S9_S9_S9_S9_S9_S9_S9_EEEEPSB_SM_NS0_5tupleIJNSE_INS8_ISJ_NS7_16discard_iteratorINS7_11use_defaultEEES9_S9_S9_S9_S9_S9_S9_S9_EEEESB_EEENSN_IJSM_SM_EEESB_PlJNSF_9not_fun_tINSF_14equal_to_valueISA_EEEEEEE10hipError_tPvRmT3_T4_T5_T6_T7_T9_mT8_P12ihipStream_tbDpT10_ENKUlT_T0_E_clISt17integral_constantIbLb1EES1I_IbLb0EEEEDaS1E_S1F_EUlS1E_E_NS1_11comp_targetILNS1_3genE8ELNS1_11target_archE1030ELNS1_3gpuE2ELNS1_3repE0EEENS1_30default_config_static_selectorELNS0_4arch9wavefront6targetE0EEEvT1_,"axG",@progbits,_ZN7rocprim17ROCPRIM_400000_NS6detail17trampoline_kernelINS0_14default_configENS1_25partition_config_selectorILNS1_17partition_subalgoE6EN6thrust23THRUST_200600_302600_NS5tupleIttNS7_9null_typeES9_S9_S9_S9_S9_S9_S9_EENS0_10empty_typeEbEEZZNS1_14partition_implILS5_6ELb0ES3_mNS7_12zip_iteratorINS8_INS7_6detail15normal_iteratorINS7_10device_ptrItEEEESJ_S9_S9_S9_S9_S9_S9_S9_S9_EEEEPSB_SM_NS0_5tupleIJNSE_INS8_ISJ_NS7_16discard_iteratorINS7_11use_defaultEEES9_S9_S9_S9_S9_S9_S9_S9_EEEESB_EEENSN_IJSM_SM_EEESB_PlJNSF_9not_fun_tINSF_14equal_to_valueISA_EEEEEEE10hipError_tPvRmT3_T4_T5_T6_T7_T9_mT8_P12ihipStream_tbDpT10_ENKUlT_T0_E_clISt17integral_constantIbLb1EES1I_IbLb0EEEEDaS1E_S1F_EUlS1E_E_NS1_11comp_targetILNS1_3genE8ELNS1_11target_archE1030ELNS1_3gpuE2ELNS1_3repE0EEENS1_30default_config_static_selectorELNS0_4arch9wavefront6targetE0EEEvT1_,comdat
	.protected	_ZN7rocprim17ROCPRIM_400000_NS6detail17trampoline_kernelINS0_14default_configENS1_25partition_config_selectorILNS1_17partition_subalgoE6EN6thrust23THRUST_200600_302600_NS5tupleIttNS7_9null_typeES9_S9_S9_S9_S9_S9_S9_EENS0_10empty_typeEbEEZZNS1_14partition_implILS5_6ELb0ES3_mNS7_12zip_iteratorINS8_INS7_6detail15normal_iteratorINS7_10device_ptrItEEEESJ_S9_S9_S9_S9_S9_S9_S9_S9_EEEEPSB_SM_NS0_5tupleIJNSE_INS8_ISJ_NS7_16discard_iteratorINS7_11use_defaultEEES9_S9_S9_S9_S9_S9_S9_S9_EEEESB_EEENSN_IJSM_SM_EEESB_PlJNSF_9not_fun_tINSF_14equal_to_valueISA_EEEEEEE10hipError_tPvRmT3_T4_T5_T6_T7_T9_mT8_P12ihipStream_tbDpT10_ENKUlT_T0_E_clISt17integral_constantIbLb1EES1I_IbLb0EEEEDaS1E_S1F_EUlS1E_E_NS1_11comp_targetILNS1_3genE8ELNS1_11target_archE1030ELNS1_3gpuE2ELNS1_3repE0EEENS1_30default_config_static_selectorELNS0_4arch9wavefront6targetE0EEEvT1_ ; -- Begin function _ZN7rocprim17ROCPRIM_400000_NS6detail17trampoline_kernelINS0_14default_configENS1_25partition_config_selectorILNS1_17partition_subalgoE6EN6thrust23THRUST_200600_302600_NS5tupleIttNS7_9null_typeES9_S9_S9_S9_S9_S9_S9_EENS0_10empty_typeEbEEZZNS1_14partition_implILS5_6ELb0ES3_mNS7_12zip_iteratorINS8_INS7_6detail15normal_iteratorINS7_10device_ptrItEEEESJ_S9_S9_S9_S9_S9_S9_S9_S9_EEEEPSB_SM_NS0_5tupleIJNSE_INS8_ISJ_NS7_16discard_iteratorINS7_11use_defaultEEES9_S9_S9_S9_S9_S9_S9_S9_EEEESB_EEENSN_IJSM_SM_EEESB_PlJNSF_9not_fun_tINSF_14equal_to_valueISA_EEEEEEE10hipError_tPvRmT3_T4_T5_T6_T7_T9_mT8_P12ihipStream_tbDpT10_ENKUlT_T0_E_clISt17integral_constantIbLb1EES1I_IbLb0EEEEDaS1E_S1F_EUlS1E_E_NS1_11comp_targetILNS1_3genE8ELNS1_11target_archE1030ELNS1_3gpuE2ELNS1_3repE0EEENS1_30default_config_static_selectorELNS0_4arch9wavefront6targetE0EEEvT1_
	.globl	_ZN7rocprim17ROCPRIM_400000_NS6detail17trampoline_kernelINS0_14default_configENS1_25partition_config_selectorILNS1_17partition_subalgoE6EN6thrust23THRUST_200600_302600_NS5tupleIttNS7_9null_typeES9_S9_S9_S9_S9_S9_S9_EENS0_10empty_typeEbEEZZNS1_14partition_implILS5_6ELb0ES3_mNS7_12zip_iteratorINS8_INS7_6detail15normal_iteratorINS7_10device_ptrItEEEESJ_S9_S9_S9_S9_S9_S9_S9_S9_EEEEPSB_SM_NS0_5tupleIJNSE_INS8_ISJ_NS7_16discard_iteratorINS7_11use_defaultEEES9_S9_S9_S9_S9_S9_S9_S9_EEEESB_EEENSN_IJSM_SM_EEESB_PlJNSF_9not_fun_tINSF_14equal_to_valueISA_EEEEEEE10hipError_tPvRmT3_T4_T5_T6_T7_T9_mT8_P12ihipStream_tbDpT10_ENKUlT_T0_E_clISt17integral_constantIbLb1EES1I_IbLb0EEEEDaS1E_S1F_EUlS1E_E_NS1_11comp_targetILNS1_3genE8ELNS1_11target_archE1030ELNS1_3gpuE2ELNS1_3repE0EEENS1_30default_config_static_selectorELNS0_4arch9wavefront6targetE0EEEvT1_
	.p2align	8
	.type	_ZN7rocprim17ROCPRIM_400000_NS6detail17trampoline_kernelINS0_14default_configENS1_25partition_config_selectorILNS1_17partition_subalgoE6EN6thrust23THRUST_200600_302600_NS5tupleIttNS7_9null_typeES9_S9_S9_S9_S9_S9_S9_EENS0_10empty_typeEbEEZZNS1_14partition_implILS5_6ELb0ES3_mNS7_12zip_iteratorINS8_INS7_6detail15normal_iteratorINS7_10device_ptrItEEEESJ_S9_S9_S9_S9_S9_S9_S9_S9_EEEEPSB_SM_NS0_5tupleIJNSE_INS8_ISJ_NS7_16discard_iteratorINS7_11use_defaultEEES9_S9_S9_S9_S9_S9_S9_S9_EEEESB_EEENSN_IJSM_SM_EEESB_PlJNSF_9not_fun_tINSF_14equal_to_valueISA_EEEEEEE10hipError_tPvRmT3_T4_T5_T6_T7_T9_mT8_P12ihipStream_tbDpT10_ENKUlT_T0_E_clISt17integral_constantIbLb1EES1I_IbLb0EEEEDaS1E_S1F_EUlS1E_E_NS1_11comp_targetILNS1_3genE8ELNS1_11target_archE1030ELNS1_3gpuE2ELNS1_3repE0EEENS1_30default_config_static_selectorELNS0_4arch9wavefront6targetE0EEEvT1_,@function
_ZN7rocprim17ROCPRIM_400000_NS6detail17trampoline_kernelINS0_14default_configENS1_25partition_config_selectorILNS1_17partition_subalgoE6EN6thrust23THRUST_200600_302600_NS5tupleIttNS7_9null_typeES9_S9_S9_S9_S9_S9_S9_EENS0_10empty_typeEbEEZZNS1_14partition_implILS5_6ELb0ES3_mNS7_12zip_iteratorINS8_INS7_6detail15normal_iteratorINS7_10device_ptrItEEEESJ_S9_S9_S9_S9_S9_S9_S9_S9_EEEEPSB_SM_NS0_5tupleIJNSE_INS8_ISJ_NS7_16discard_iteratorINS7_11use_defaultEEES9_S9_S9_S9_S9_S9_S9_S9_EEEESB_EEENSN_IJSM_SM_EEESB_PlJNSF_9not_fun_tINSF_14equal_to_valueISA_EEEEEEE10hipError_tPvRmT3_T4_T5_T6_T7_T9_mT8_P12ihipStream_tbDpT10_ENKUlT_T0_E_clISt17integral_constantIbLb1EES1I_IbLb0EEEEDaS1E_S1F_EUlS1E_E_NS1_11comp_targetILNS1_3genE8ELNS1_11target_archE1030ELNS1_3gpuE2ELNS1_3repE0EEENS1_30default_config_static_selectorELNS0_4arch9wavefront6targetE0EEEvT1_: ; @_ZN7rocprim17ROCPRIM_400000_NS6detail17trampoline_kernelINS0_14default_configENS1_25partition_config_selectorILNS1_17partition_subalgoE6EN6thrust23THRUST_200600_302600_NS5tupleIttNS7_9null_typeES9_S9_S9_S9_S9_S9_S9_EENS0_10empty_typeEbEEZZNS1_14partition_implILS5_6ELb0ES3_mNS7_12zip_iteratorINS8_INS7_6detail15normal_iteratorINS7_10device_ptrItEEEESJ_S9_S9_S9_S9_S9_S9_S9_S9_EEEEPSB_SM_NS0_5tupleIJNSE_INS8_ISJ_NS7_16discard_iteratorINS7_11use_defaultEEES9_S9_S9_S9_S9_S9_S9_S9_EEEESB_EEENSN_IJSM_SM_EEESB_PlJNSF_9not_fun_tINSF_14equal_to_valueISA_EEEEEEE10hipError_tPvRmT3_T4_T5_T6_T7_T9_mT8_P12ihipStream_tbDpT10_ENKUlT_T0_E_clISt17integral_constantIbLb1EES1I_IbLb0EEEEDaS1E_S1F_EUlS1E_E_NS1_11comp_targetILNS1_3genE8ELNS1_11target_archE1030ELNS1_3gpuE2ELNS1_3repE0EEENS1_30default_config_static_selectorELNS0_4arch9wavefront6targetE0EEEvT1_
; %bb.0:
	.section	.rodata,"a",@progbits
	.p2align	6, 0x0
	.amdhsa_kernel _ZN7rocprim17ROCPRIM_400000_NS6detail17trampoline_kernelINS0_14default_configENS1_25partition_config_selectorILNS1_17partition_subalgoE6EN6thrust23THRUST_200600_302600_NS5tupleIttNS7_9null_typeES9_S9_S9_S9_S9_S9_S9_EENS0_10empty_typeEbEEZZNS1_14partition_implILS5_6ELb0ES3_mNS7_12zip_iteratorINS8_INS7_6detail15normal_iteratorINS7_10device_ptrItEEEESJ_S9_S9_S9_S9_S9_S9_S9_S9_EEEEPSB_SM_NS0_5tupleIJNSE_INS8_ISJ_NS7_16discard_iteratorINS7_11use_defaultEEES9_S9_S9_S9_S9_S9_S9_S9_EEEESB_EEENSN_IJSM_SM_EEESB_PlJNSF_9not_fun_tINSF_14equal_to_valueISA_EEEEEEE10hipError_tPvRmT3_T4_T5_T6_T7_T9_mT8_P12ihipStream_tbDpT10_ENKUlT_T0_E_clISt17integral_constantIbLb1EES1I_IbLb0EEEEDaS1E_S1F_EUlS1E_E_NS1_11comp_targetILNS1_3genE8ELNS1_11target_archE1030ELNS1_3gpuE2ELNS1_3repE0EEENS1_30default_config_static_selectorELNS0_4arch9wavefront6targetE0EEEvT1_
		.amdhsa_group_segment_fixed_size 0
		.amdhsa_private_segment_fixed_size 0
		.amdhsa_kernarg_size 144
		.amdhsa_user_sgpr_count 2
		.amdhsa_user_sgpr_dispatch_ptr 0
		.amdhsa_user_sgpr_queue_ptr 0
		.amdhsa_user_sgpr_kernarg_segment_ptr 1
		.amdhsa_user_sgpr_dispatch_id 0
		.amdhsa_user_sgpr_private_segment_size 0
		.amdhsa_wavefront_size32 1
		.amdhsa_uses_dynamic_stack 0
		.amdhsa_enable_private_segment 0
		.amdhsa_system_sgpr_workgroup_id_x 1
		.amdhsa_system_sgpr_workgroup_id_y 0
		.amdhsa_system_sgpr_workgroup_id_z 0
		.amdhsa_system_sgpr_workgroup_info 0
		.amdhsa_system_vgpr_workitem_id 0
		.amdhsa_next_free_vgpr 1
		.amdhsa_next_free_sgpr 1
		.amdhsa_reserve_vcc 0
		.amdhsa_float_round_mode_32 0
		.amdhsa_float_round_mode_16_64 0
		.amdhsa_float_denorm_mode_32 3
		.amdhsa_float_denorm_mode_16_64 3
		.amdhsa_fp16_overflow 0
		.amdhsa_workgroup_processor_mode 1
		.amdhsa_memory_ordered 1
		.amdhsa_forward_progress 1
		.amdhsa_inst_pref_size 0
		.amdhsa_round_robin_scheduling 0
		.amdhsa_exception_fp_ieee_invalid_op 0
		.amdhsa_exception_fp_denorm_src 0
		.amdhsa_exception_fp_ieee_div_zero 0
		.amdhsa_exception_fp_ieee_overflow 0
		.amdhsa_exception_fp_ieee_underflow 0
		.amdhsa_exception_fp_ieee_inexact 0
		.amdhsa_exception_int_div_zero 0
	.end_amdhsa_kernel
	.section	.text._ZN7rocprim17ROCPRIM_400000_NS6detail17trampoline_kernelINS0_14default_configENS1_25partition_config_selectorILNS1_17partition_subalgoE6EN6thrust23THRUST_200600_302600_NS5tupleIttNS7_9null_typeES9_S9_S9_S9_S9_S9_S9_EENS0_10empty_typeEbEEZZNS1_14partition_implILS5_6ELb0ES3_mNS7_12zip_iteratorINS8_INS7_6detail15normal_iteratorINS7_10device_ptrItEEEESJ_S9_S9_S9_S9_S9_S9_S9_S9_EEEEPSB_SM_NS0_5tupleIJNSE_INS8_ISJ_NS7_16discard_iteratorINS7_11use_defaultEEES9_S9_S9_S9_S9_S9_S9_S9_EEEESB_EEENSN_IJSM_SM_EEESB_PlJNSF_9not_fun_tINSF_14equal_to_valueISA_EEEEEEE10hipError_tPvRmT3_T4_T5_T6_T7_T9_mT8_P12ihipStream_tbDpT10_ENKUlT_T0_E_clISt17integral_constantIbLb1EES1I_IbLb0EEEEDaS1E_S1F_EUlS1E_E_NS1_11comp_targetILNS1_3genE8ELNS1_11target_archE1030ELNS1_3gpuE2ELNS1_3repE0EEENS1_30default_config_static_selectorELNS0_4arch9wavefront6targetE0EEEvT1_,"axG",@progbits,_ZN7rocprim17ROCPRIM_400000_NS6detail17trampoline_kernelINS0_14default_configENS1_25partition_config_selectorILNS1_17partition_subalgoE6EN6thrust23THRUST_200600_302600_NS5tupleIttNS7_9null_typeES9_S9_S9_S9_S9_S9_S9_EENS0_10empty_typeEbEEZZNS1_14partition_implILS5_6ELb0ES3_mNS7_12zip_iteratorINS8_INS7_6detail15normal_iteratorINS7_10device_ptrItEEEESJ_S9_S9_S9_S9_S9_S9_S9_S9_EEEEPSB_SM_NS0_5tupleIJNSE_INS8_ISJ_NS7_16discard_iteratorINS7_11use_defaultEEES9_S9_S9_S9_S9_S9_S9_S9_EEEESB_EEENSN_IJSM_SM_EEESB_PlJNSF_9not_fun_tINSF_14equal_to_valueISA_EEEEEEE10hipError_tPvRmT3_T4_T5_T6_T7_T9_mT8_P12ihipStream_tbDpT10_ENKUlT_T0_E_clISt17integral_constantIbLb1EES1I_IbLb0EEEEDaS1E_S1F_EUlS1E_E_NS1_11comp_targetILNS1_3genE8ELNS1_11target_archE1030ELNS1_3gpuE2ELNS1_3repE0EEENS1_30default_config_static_selectorELNS0_4arch9wavefront6targetE0EEEvT1_,comdat
.Lfunc_end1972:
	.size	_ZN7rocprim17ROCPRIM_400000_NS6detail17trampoline_kernelINS0_14default_configENS1_25partition_config_selectorILNS1_17partition_subalgoE6EN6thrust23THRUST_200600_302600_NS5tupleIttNS7_9null_typeES9_S9_S9_S9_S9_S9_S9_EENS0_10empty_typeEbEEZZNS1_14partition_implILS5_6ELb0ES3_mNS7_12zip_iteratorINS8_INS7_6detail15normal_iteratorINS7_10device_ptrItEEEESJ_S9_S9_S9_S9_S9_S9_S9_S9_EEEEPSB_SM_NS0_5tupleIJNSE_INS8_ISJ_NS7_16discard_iteratorINS7_11use_defaultEEES9_S9_S9_S9_S9_S9_S9_S9_EEEESB_EEENSN_IJSM_SM_EEESB_PlJNSF_9not_fun_tINSF_14equal_to_valueISA_EEEEEEE10hipError_tPvRmT3_T4_T5_T6_T7_T9_mT8_P12ihipStream_tbDpT10_ENKUlT_T0_E_clISt17integral_constantIbLb1EES1I_IbLb0EEEEDaS1E_S1F_EUlS1E_E_NS1_11comp_targetILNS1_3genE8ELNS1_11target_archE1030ELNS1_3gpuE2ELNS1_3repE0EEENS1_30default_config_static_selectorELNS0_4arch9wavefront6targetE0EEEvT1_, .Lfunc_end1972-_ZN7rocprim17ROCPRIM_400000_NS6detail17trampoline_kernelINS0_14default_configENS1_25partition_config_selectorILNS1_17partition_subalgoE6EN6thrust23THRUST_200600_302600_NS5tupleIttNS7_9null_typeES9_S9_S9_S9_S9_S9_S9_EENS0_10empty_typeEbEEZZNS1_14partition_implILS5_6ELb0ES3_mNS7_12zip_iteratorINS8_INS7_6detail15normal_iteratorINS7_10device_ptrItEEEESJ_S9_S9_S9_S9_S9_S9_S9_S9_EEEEPSB_SM_NS0_5tupleIJNSE_INS8_ISJ_NS7_16discard_iteratorINS7_11use_defaultEEES9_S9_S9_S9_S9_S9_S9_S9_EEEESB_EEENSN_IJSM_SM_EEESB_PlJNSF_9not_fun_tINSF_14equal_to_valueISA_EEEEEEE10hipError_tPvRmT3_T4_T5_T6_T7_T9_mT8_P12ihipStream_tbDpT10_ENKUlT_T0_E_clISt17integral_constantIbLb1EES1I_IbLb0EEEEDaS1E_S1F_EUlS1E_E_NS1_11comp_targetILNS1_3genE8ELNS1_11target_archE1030ELNS1_3gpuE2ELNS1_3repE0EEENS1_30default_config_static_selectorELNS0_4arch9wavefront6targetE0EEEvT1_
                                        ; -- End function
	.set _ZN7rocprim17ROCPRIM_400000_NS6detail17trampoline_kernelINS0_14default_configENS1_25partition_config_selectorILNS1_17partition_subalgoE6EN6thrust23THRUST_200600_302600_NS5tupleIttNS7_9null_typeES9_S9_S9_S9_S9_S9_S9_EENS0_10empty_typeEbEEZZNS1_14partition_implILS5_6ELb0ES3_mNS7_12zip_iteratorINS8_INS7_6detail15normal_iteratorINS7_10device_ptrItEEEESJ_S9_S9_S9_S9_S9_S9_S9_S9_EEEEPSB_SM_NS0_5tupleIJNSE_INS8_ISJ_NS7_16discard_iteratorINS7_11use_defaultEEES9_S9_S9_S9_S9_S9_S9_S9_EEEESB_EEENSN_IJSM_SM_EEESB_PlJNSF_9not_fun_tINSF_14equal_to_valueISA_EEEEEEE10hipError_tPvRmT3_T4_T5_T6_T7_T9_mT8_P12ihipStream_tbDpT10_ENKUlT_T0_E_clISt17integral_constantIbLb1EES1I_IbLb0EEEEDaS1E_S1F_EUlS1E_E_NS1_11comp_targetILNS1_3genE8ELNS1_11target_archE1030ELNS1_3gpuE2ELNS1_3repE0EEENS1_30default_config_static_selectorELNS0_4arch9wavefront6targetE0EEEvT1_.num_vgpr, 0
	.set _ZN7rocprim17ROCPRIM_400000_NS6detail17trampoline_kernelINS0_14default_configENS1_25partition_config_selectorILNS1_17partition_subalgoE6EN6thrust23THRUST_200600_302600_NS5tupleIttNS7_9null_typeES9_S9_S9_S9_S9_S9_S9_EENS0_10empty_typeEbEEZZNS1_14partition_implILS5_6ELb0ES3_mNS7_12zip_iteratorINS8_INS7_6detail15normal_iteratorINS7_10device_ptrItEEEESJ_S9_S9_S9_S9_S9_S9_S9_S9_EEEEPSB_SM_NS0_5tupleIJNSE_INS8_ISJ_NS7_16discard_iteratorINS7_11use_defaultEEES9_S9_S9_S9_S9_S9_S9_S9_EEEESB_EEENSN_IJSM_SM_EEESB_PlJNSF_9not_fun_tINSF_14equal_to_valueISA_EEEEEEE10hipError_tPvRmT3_T4_T5_T6_T7_T9_mT8_P12ihipStream_tbDpT10_ENKUlT_T0_E_clISt17integral_constantIbLb1EES1I_IbLb0EEEEDaS1E_S1F_EUlS1E_E_NS1_11comp_targetILNS1_3genE8ELNS1_11target_archE1030ELNS1_3gpuE2ELNS1_3repE0EEENS1_30default_config_static_selectorELNS0_4arch9wavefront6targetE0EEEvT1_.num_agpr, 0
	.set _ZN7rocprim17ROCPRIM_400000_NS6detail17trampoline_kernelINS0_14default_configENS1_25partition_config_selectorILNS1_17partition_subalgoE6EN6thrust23THRUST_200600_302600_NS5tupleIttNS7_9null_typeES9_S9_S9_S9_S9_S9_S9_EENS0_10empty_typeEbEEZZNS1_14partition_implILS5_6ELb0ES3_mNS7_12zip_iteratorINS8_INS7_6detail15normal_iteratorINS7_10device_ptrItEEEESJ_S9_S9_S9_S9_S9_S9_S9_S9_EEEEPSB_SM_NS0_5tupleIJNSE_INS8_ISJ_NS7_16discard_iteratorINS7_11use_defaultEEES9_S9_S9_S9_S9_S9_S9_S9_EEEESB_EEENSN_IJSM_SM_EEESB_PlJNSF_9not_fun_tINSF_14equal_to_valueISA_EEEEEEE10hipError_tPvRmT3_T4_T5_T6_T7_T9_mT8_P12ihipStream_tbDpT10_ENKUlT_T0_E_clISt17integral_constantIbLb1EES1I_IbLb0EEEEDaS1E_S1F_EUlS1E_E_NS1_11comp_targetILNS1_3genE8ELNS1_11target_archE1030ELNS1_3gpuE2ELNS1_3repE0EEENS1_30default_config_static_selectorELNS0_4arch9wavefront6targetE0EEEvT1_.numbered_sgpr, 0
	.set _ZN7rocprim17ROCPRIM_400000_NS6detail17trampoline_kernelINS0_14default_configENS1_25partition_config_selectorILNS1_17partition_subalgoE6EN6thrust23THRUST_200600_302600_NS5tupleIttNS7_9null_typeES9_S9_S9_S9_S9_S9_S9_EENS0_10empty_typeEbEEZZNS1_14partition_implILS5_6ELb0ES3_mNS7_12zip_iteratorINS8_INS7_6detail15normal_iteratorINS7_10device_ptrItEEEESJ_S9_S9_S9_S9_S9_S9_S9_S9_EEEEPSB_SM_NS0_5tupleIJNSE_INS8_ISJ_NS7_16discard_iteratorINS7_11use_defaultEEES9_S9_S9_S9_S9_S9_S9_S9_EEEESB_EEENSN_IJSM_SM_EEESB_PlJNSF_9not_fun_tINSF_14equal_to_valueISA_EEEEEEE10hipError_tPvRmT3_T4_T5_T6_T7_T9_mT8_P12ihipStream_tbDpT10_ENKUlT_T0_E_clISt17integral_constantIbLb1EES1I_IbLb0EEEEDaS1E_S1F_EUlS1E_E_NS1_11comp_targetILNS1_3genE8ELNS1_11target_archE1030ELNS1_3gpuE2ELNS1_3repE0EEENS1_30default_config_static_selectorELNS0_4arch9wavefront6targetE0EEEvT1_.num_named_barrier, 0
	.set _ZN7rocprim17ROCPRIM_400000_NS6detail17trampoline_kernelINS0_14default_configENS1_25partition_config_selectorILNS1_17partition_subalgoE6EN6thrust23THRUST_200600_302600_NS5tupleIttNS7_9null_typeES9_S9_S9_S9_S9_S9_S9_EENS0_10empty_typeEbEEZZNS1_14partition_implILS5_6ELb0ES3_mNS7_12zip_iteratorINS8_INS7_6detail15normal_iteratorINS7_10device_ptrItEEEESJ_S9_S9_S9_S9_S9_S9_S9_S9_EEEEPSB_SM_NS0_5tupleIJNSE_INS8_ISJ_NS7_16discard_iteratorINS7_11use_defaultEEES9_S9_S9_S9_S9_S9_S9_S9_EEEESB_EEENSN_IJSM_SM_EEESB_PlJNSF_9not_fun_tINSF_14equal_to_valueISA_EEEEEEE10hipError_tPvRmT3_T4_T5_T6_T7_T9_mT8_P12ihipStream_tbDpT10_ENKUlT_T0_E_clISt17integral_constantIbLb1EES1I_IbLb0EEEEDaS1E_S1F_EUlS1E_E_NS1_11comp_targetILNS1_3genE8ELNS1_11target_archE1030ELNS1_3gpuE2ELNS1_3repE0EEENS1_30default_config_static_selectorELNS0_4arch9wavefront6targetE0EEEvT1_.private_seg_size, 0
	.set _ZN7rocprim17ROCPRIM_400000_NS6detail17trampoline_kernelINS0_14default_configENS1_25partition_config_selectorILNS1_17partition_subalgoE6EN6thrust23THRUST_200600_302600_NS5tupleIttNS7_9null_typeES9_S9_S9_S9_S9_S9_S9_EENS0_10empty_typeEbEEZZNS1_14partition_implILS5_6ELb0ES3_mNS7_12zip_iteratorINS8_INS7_6detail15normal_iteratorINS7_10device_ptrItEEEESJ_S9_S9_S9_S9_S9_S9_S9_S9_EEEEPSB_SM_NS0_5tupleIJNSE_INS8_ISJ_NS7_16discard_iteratorINS7_11use_defaultEEES9_S9_S9_S9_S9_S9_S9_S9_EEEESB_EEENSN_IJSM_SM_EEESB_PlJNSF_9not_fun_tINSF_14equal_to_valueISA_EEEEEEE10hipError_tPvRmT3_T4_T5_T6_T7_T9_mT8_P12ihipStream_tbDpT10_ENKUlT_T0_E_clISt17integral_constantIbLb1EES1I_IbLb0EEEEDaS1E_S1F_EUlS1E_E_NS1_11comp_targetILNS1_3genE8ELNS1_11target_archE1030ELNS1_3gpuE2ELNS1_3repE0EEENS1_30default_config_static_selectorELNS0_4arch9wavefront6targetE0EEEvT1_.uses_vcc, 0
	.set _ZN7rocprim17ROCPRIM_400000_NS6detail17trampoline_kernelINS0_14default_configENS1_25partition_config_selectorILNS1_17partition_subalgoE6EN6thrust23THRUST_200600_302600_NS5tupleIttNS7_9null_typeES9_S9_S9_S9_S9_S9_S9_EENS0_10empty_typeEbEEZZNS1_14partition_implILS5_6ELb0ES3_mNS7_12zip_iteratorINS8_INS7_6detail15normal_iteratorINS7_10device_ptrItEEEESJ_S9_S9_S9_S9_S9_S9_S9_S9_EEEEPSB_SM_NS0_5tupleIJNSE_INS8_ISJ_NS7_16discard_iteratorINS7_11use_defaultEEES9_S9_S9_S9_S9_S9_S9_S9_EEEESB_EEENSN_IJSM_SM_EEESB_PlJNSF_9not_fun_tINSF_14equal_to_valueISA_EEEEEEE10hipError_tPvRmT3_T4_T5_T6_T7_T9_mT8_P12ihipStream_tbDpT10_ENKUlT_T0_E_clISt17integral_constantIbLb1EES1I_IbLb0EEEEDaS1E_S1F_EUlS1E_E_NS1_11comp_targetILNS1_3genE8ELNS1_11target_archE1030ELNS1_3gpuE2ELNS1_3repE0EEENS1_30default_config_static_selectorELNS0_4arch9wavefront6targetE0EEEvT1_.uses_flat_scratch, 0
	.set _ZN7rocprim17ROCPRIM_400000_NS6detail17trampoline_kernelINS0_14default_configENS1_25partition_config_selectorILNS1_17partition_subalgoE6EN6thrust23THRUST_200600_302600_NS5tupleIttNS7_9null_typeES9_S9_S9_S9_S9_S9_S9_EENS0_10empty_typeEbEEZZNS1_14partition_implILS5_6ELb0ES3_mNS7_12zip_iteratorINS8_INS7_6detail15normal_iteratorINS7_10device_ptrItEEEESJ_S9_S9_S9_S9_S9_S9_S9_S9_EEEEPSB_SM_NS0_5tupleIJNSE_INS8_ISJ_NS7_16discard_iteratorINS7_11use_defaultEEES9_S9_S9_S9_S9_S9_S9_S9_EEEESB_EEENSN_IJSM_SM_EEESB_PlJNSF_9not_fun_tINSF_14equal_to_valueISA_EEEEEEE10hipError_tPvRmT3_T4_T5_T6_T7_T9_mT8_P12ihipStream_tbDpT10_ENKUlT_T0_E_clISt17integral_constantIbLb1EES1I_IbLb0EEEEDaS1E_S1F_EUlS1E_E_NS1_11comp_targetILNS1_3genE8ELNS1_11target_archE1030ELNS1_3gpuE2ELNS1_3repE0EEENS1_30default_config_static_selectorELNS0_4arch9wavefront6targetE0EEEvT1_.has_dyn_sized_stack, 0
	.set _ZN7rocprim17ROCPRIM_400000_NS6detail17trampoline_kernelINS0_14default_configENS1_25partition_config_selectorILNS1_17partition_subalgoE6EN6thrust23THRUST_200600_302600_NS5tupleIttNS7_9null_typeES9_S9_S9_S9_S9_S9_S9_EENS0_10empty_typeEbEEZZNS1_14partition_implILS5_6ELb0ES3_mNS7_12zip_iteratorINS8_INS7_6detail15normal_iteratorINS7_10device_ptrItEEEESJ_S9_S9_S9_S9_S9_S9_S9_S9_EEEEPSB_SM_NS0_5tupleIJNSE_INS8_ISJ_NS7_16discard_iteratorINS7_11use_defaultEEES9_S9_S9_S9_S9_S9_S9_S9_EEEESB_EEENSN_IJSM_SM_EEESB_PlJNSF_9not_fun_tINSF_14equal_to_valueISA_EEEEEEE10hipError_tPvRmT3_T4_T5_T6_T7_T9_mT8_P12ihipStream_tbDpT10_ENKUlT_T0_E_clISt17integral_constantIbLb1EES1I_IbLb0EEEEDaS1E_S1F_EUlS1E_E_NS1_11comp_targetILNS1_3genE8ELNS1_11target_archE1030ELNS1_3gpuE2ELNS1_3repE0EEENS1_30default_config_static_selectorELNS0_4arch9wavefront6targetE0EEEvT1_.has_recursion, 0
	.set _ZN7rocprim17ROCPRIM_400000_NS6detail17trampoline_kernelINS0_14default_configENS1_25partition_config_selectorILNS1_17partition_subalgoE6EN6thrust23THRUST_200600_302600_NS5tupleIttNS7_9null_typeES9_S9_S9_S9_S9_S9_S9_EENS0_10empty_typeEbEEZZNS1_14partition_implILS5_6ELb0ES3_mNS7_12zip_iteratorINS8_INS7_6detail15normal_iteratorINS7_10device_ptrItEEEESJ_S9_S9_S9_S9_S9_S9_S9_S9_EEEEPSB_SM_NS0_5tupleIJNSE_INS8_ISJ_NS7_16discard_iteratorINS7_11use_defaultEEES9_S9_S9_S9_S9_S9_S9_S9_EEEESB_EEENSN_IJSM_SM_EEESB_PlJNSF_9not_fun_tINSF_14equal_to_valueISA_EEEEEEE10hipError_tPvRmT3_T4_T5_T6_T7_T9_mT8_P12ihipStream_tbDpT10_ENKUlT_T0_E_clISt17integral_constantIbLb1EES1I_IbLb0EEEEDaS1E_S1F_EUlS1E_E_NS1_11comp_targetILNS1_3genE8ELNS1_11target_archE1030ELNS1_3gpuE2ELNS1_3repE0EEENS1_30default_config_static_selectorELNS0_4arch9wavefront6targetE0EEEvT1_.has_indirect_call, 0
	.section	.AMDGPU.csdata,"",@progbits
; Kernel info:
; codeLenInByte = 0
; TotalNumSgprs: 0
; NumVgprs: 0
; ScratchSize: 0
; MemoryBound: 0
; FloatMode: 240
; IeeeMode: 1
; LDSByteSize: 0 bytes/workgroup (compile time only)
; SGPRBlocks: 0
; VGPRBlocks: 0
; NumSGPRsForWavesPerEU: 1
; NumVGPRsForWavesPerEU: 1
; Occupancy: 16
; WaveLimiterHint : 0
; COMPUTE_PGM_RSRC2:SCRATCH_EN: 0
; COMPUTE_PGM_RSRC2:USER_SGPR: 2
; COMPUTE_PGM_RSRC2:TRAP_HANDLER: 0
; COMPUTE_PGM_RSRC2:TGID_X_EN: 1
; COMPUTE_PGM_RSRC2:TGID_Y_EN: 0
; COMPUTE_PGM_RSRC2:TGID_Z_EN: 0
; COMPUTE_PGM_RSRC2:TIDIG_COMP_CNT: 0
	.section	.text._ZN7rocprim17ROCPRIM_400000_NS6detail17trampoline_kernelINS0_14default_configENS1_25partition_config_selectorILNS1_17partition_subalgoE6EN6thrust23THRUST_200600_302600_NS5tupleIttNS7_9null_typeES9_S9_S9_S9_S9_S9_S9_EENS0_10empty_typeEbEEZZNS1_14partition_implILS5_6ELb0ES3_mNS7_12zip_iteratorINS8_INS7_6detail15normal_iteratorINS7_10device_ptrItEEEESJ_S9_S9_S9_S9_S9_S9_S9_S9_EEEEPSB_SM_NS0_5tupleIJNSE_INS8_ISJ_NS7_16discard_iteratorINS7_11use_defaultEEES9_S9_S9_S9_S9_S9_S9_S9_EEEESB_EEENSN_IJSM_SM_EEESB_PlJNSF_9not_fun_tINSF_14equal_to_valueISA_EEEEEEE10hipError_tPvRmT3_T4_T5_T6_T7_T9_mT8_P12ihipStream_tbDpT10_ENKUlT_T0_E_clISt17integral_constantIbLb0EES1I_IbLb1EEEEDaS1E_S1F_EUlS1E_E_NS1_11comp_targetILNS1_3genE0ELNS1_11target_archE4294967295ELNS1_3gpuE0ELNS1_3repE0EEENS1_30default_config_static_selectorELNS0_4arch9wavefront6targetE0EEEvT1_,"axG",@progbits,_ZN7rocprim17ROCPRIM_400000_NS6detail17trampoline_kernelINS0_14default_configENS1_25partition_config_selectorILNS1_17partition_subalgoE6EN6thrust23THRUST_200600_302600_NS5tupleIttNS7_9null_typeES9_S9_S9_S9_S9_S9_S9_EENS0_10empty_typeEbEEZZNS1_14partition_implILS5_6ELb0ES3_mNS7_12zip_iteratorINS8_INS7_6detail15normal_iteratorINS7_10device_ptrItEEEESJ_S9_S9_S9_S9_S9_S9_S9_S9_EEEEPSB_SM_NS0_5tupleIJNSE_INS8_ISJ_NS7_16discard_iteratorINS7_11use_defaultEEES9_S9_S9_S9_S9_S9_S9_S9_EEEESB_EEENSN_IJSM_SM_EEESB_PlJNSF_9not_fun_tINSF_14equal_to_valueISA_EEEEEEE10hipError_tPvRmT3_T4_T5_T6_T7_T9_mT8_P12ihipStream_tbDpT10_ENKUlT_T0_E_clISt17integral_constantIbLb0EES1I_IbLb1EEEEDaS1E_S1F_EUlS1E_E_NS1_11comp_targetILNS1_3genE0ELNS1_11target_archE4294967295ELNS1_3gpuE0ELNS1_3repE0EEENS1_30default_config_static_selectorELNS0_4arch9wavefront6targetE0EEEvT1_,comdat
	.protected	_ZN7rocprim17ROCPRIM_400000_NS6detail17trampoline_kernelINS0_14default_configENS1_25partition_config_selectorILNS1_17partition_subalgoE6EN6thrust23THRUST_200600_302600_NS5tupleIttNS7_9null_typeES9_S9_S9_S9_S9_S9_S9_EENS0_10empty_typeEbEEZZNS1_14partition_implILS5_6ELb0ES3_mNS7_12zip_iteratorINS8_INS7_6detail15normal_iteratorINS7_10device_ptrItEEEESJ_S9_S9_S9_S9_S9_S9_S9_S9_EEEEPSB_SM_NS0_5tupleIJNSE_INS8_ISJ_NS7_16discard_iteratorINS7_11use_defaultEEES9_S9_S9_S9_S9_S9_S9_S9_EEEESB_EEENSN_IJSM_SM_EEESB_PlJNSF_9not_fun_tINSF_14equal_to_valueISA_EEEEEEE10hipError_tPvRmT3_T4_T5_T6_T7_T9_mT8_P12ihipStream_tbDpT10_ENKUlT_T0_E_clISt17integral_constantIbLb0EES1I_IbLb1EEEEDaS1E_S1F_EUlS1E_E_NS1_11comp_targetILNS1_3genE0ELNS1_11target_archE4294967295ELNS1_3gpuE0ELNS1_3repE0EEENS1_30default_config_static_selectorELNS0_4arch9wavefront6targetE0EEEvT1_ ; -- Begin function _ZN7rocprim17ROCPRIM_400000_NS6detail17trampoline_kernelINS0_14default_configENS1_25partition_config_selectorILNS1_17partition_subalgoE6EN6thrust23THRUST_200600_302600_NS5tupleIttNS7_9null_typeES9_S9_S9_S9_S9_S9_S9_EENS0_10empty_typeEbEEZZNS1_14partition_implILS5_6ELb0ES3_mNS7_12zip_iteratorINS8_INS7_6detail15normal_iteratorINS7_10device_ptrItEEEESJ_S9_S9_S9_S9_S9_S9_S9_S9_EEEEPSB_SM_NS0_5tupleIJNSE_INS8_ISJ_NS7_16discard_iteratorINS7_11use_defaultEEES9_S9_S9_S9_S9_S9_S9_S9_EEEESB_EEENSN_IJSM_SM_EEESB_PlJNSF_9not_fun_tINSF_14equal_to_valueISA_EEEEEEE10hipError_tPvRmT3_T4_T5_T6_T7_T9_mT8_P12ihipStream_tbDpT10_ENKUlT_T0_E_clISt17integral_constantIbLb0EES1I_IbLb1EEEEDaS1E_S1F_EUlS1E_E_NS1_11comp_targetILNS1_3genE0ELNS1_11target_archE4294967295ELNS1_3gpuE0ELNS1_3repE0EEENS1_30default_config_static_selectorELNS0_4arch9wavefront6targetE0EEEvT1_
	.globl	_ZN7rocprim17ROCPRIM_400000_NS6detail17trampoline_kernelINS0_14default_configENS1_25partition_config_selectorILNS1_17partition_subalgoE6EN6thrust23THRUST_200600_302600_NS5tupleIttNS7_9null_typeES9_S9_S9_S9_S9_S9_S9_EENS0_10empty_typeEbEEZZNS1_14partition_implILS5_6ELb0ES3_mNS7_12zip_iteratorINS8_INS7_6detail15normal_iteratorINS7_10device_ptrItEEEESJ_S9_S9_S9_S9_S9_S9_S9_S9_EEEEPSB_SM_NS0_5tupleIJNSE_INS8_ISJ_NS7_16discard_iteratorINS7_11use_defaultEEES9_S9_S9_S9_S9_S9_S9_S9_EEEESB_EEENSN_IJSM_SM_EEESB_PlJNSF_9not_fun_tINSF_14equal_to_valueISA_EEEEEEE10hipError_tPvRmT3_T4_T5_T6_T7_T9_mT8_P12ihipStream_tbDpT10_ENKUlT_T0_E_clISt17integral_constantIbLb0EES1I_IbLb1EEEEDaS1E_S1F_EUlS1E_E_NS1_11comp_targetILNS1_3genE0ELNS1_11target_archE4294967295ELNS1_3gpuE0ELNS1_3repE0EEENS1_30default_config_static_selectorELNS0_4arch9wavefront6targetE0EEEvT1_
	.p2align	8
	.type	_ZN7rocprim17ROCPRIM_400000_NS6detail17trampoline_kernelINS0_14default_configENS1_25partition_config_selectorILNS1_17partition_subalgoE6EN6thrust23THRUST_200600_302600_NS5tupleIttNS7_9null_typeES9_S9_S9_S9_S9_S9_S9_EENS0_10empty_typeEbEEZZNS1_14partition_implILS5_6ELb0ES3_mNS7_12zip_iteratorINS8_INS7_6detail15normal_iteratorINS7_10device_ptrItEEEESJ_S9_S9_S9_S9_S9_S9_S9_S9_EEEEPSB_SM_NS0_5tupleIJNSE_INS8_ISJ_NS7_16discard_iteratorINS7_11use_defaultEEES9_S9_S9_S9_S9_S9_S9_S9_EEEESB_EEENSN_IJSM_SM_EEESB_PlJNSF_9not_fun_tINSF_14equal_to_valueISA_EEEEEEE10hipError_tPvRmT3_T4_T5_T6_T7_T9_mT8_P12ihipStream_tbDpT10_ENKUlT_T0_E_clISt17integral_constantIbLb0EES1I_IbLb1EEEEDaS1E_S1F_EUlS1E_E_NS1_11comp_targetILNS1_3genE0ELNS1_11target_archE4294967295ELNS1_3gpuE0ELNS1_3repE0EEENS1_30default_config_static_selectorELNS0_4arch9wavefront6targetE0EEEvT1_,@function
_ZN7rocprim17ROCPRIM_400000_NS6detail17trampoline_kernelINS0_14default_configENS1_25partition_config_selectorILNS1_17partition_subalgoE6EN6thrust23THRUST_200600_302600_NS5tupleIttNS7_9null_typeES9_S9_S9_S9_S9_S9_S9_EENS0_10empty_typeEbEEZZNS1_14partition_implILS5_6ELb0ES3_mNS7_12zip_iteratorINS8_INS7_6detail15normal_iteratorINS7_10device_ptrItEEEESJ_S9_S9_S9_S9_S9_S9_S9_S9_EEEEPSB_SM_NS0_5tupleIJNSE_INS8_ISJ_NS7_16discard_iteratorINS7_11use_defaultEEES9_S9_S9_S9_S9_S9_S9_S9_EEEESB_EEENSN_IJSM_SM_EEESB_PlJNSF_9not_fun_tINSF_14equal_to_valueISA_EEEEEEE10hipError_tPvRmT3_T4_T5_T6_T7_T9_mT8_P12ihipStream_tbDpT10_ENKUlT_T0_E_clISt17integral_constantIbLb0EES1I_IbLb1EEEEDaS1E_S1F_EUlS1E_E_NS1_11comp_targetILNS1_3genE0ELNS1_11target_archE4294967295ELNS1_3gpuE0ELNS1_3repE0EEENS1_30default_config_static_selectorELNS0_4arch9wavefront6targetE0EEEvT1_: ; @_ZN7rocprim17ROCPRIM_400000_NS6detail17trampoline_kernelINS0_14default_configENS1_25partition_config_selectorILNS1_17partition_subalgoE6EN6thrust23THRUST_200600_302600_NS5tupleIttNS7_9null_typeES9_S9_S9_S9_S9_S9_S9_EENS0_10empty_typeEbEEZZNS1_14partition_implILS5_6ELb0ES3_mNS7_12zip_iteratorINS8_INS7_6detail15normal_iteratorINS7_10device_ptrItEEEESJ_S9_S9_S9_S9_S9_S9_S9_S9_EEEEPSB_SM_NS0_5tupleIJNSE_INS8_ISJ_NS7_16discard_iteratorINS7_11use_defaultEEES9_S9_S9_S9_S9_S9_S9_S9_EEEESB_EEENSN_IJSM_SM_EEESB_PlJNSF_9not_fun_tINSF_14equal_to_valueISA_EEEEEEE10hipError_tPvRmT3_T4_T5_T6_T7_T9_mT8_P12ihipStream_tbDpT10_ENKUlT_T0_E_clISt17integral_constantIbLb0EES1I_IbLb1EEEEDaS1E_S1F_EUlS1E_E_NS1_11comp_targetILNS1_3genE0ELNS1_11target_archE4294967295ELNS1_3gpuE0ELNS1_3repE0EEENS1_30default_config_static_selectorELNS0_4arch9wavefront6targetE0EEEvT1_
; %bb.0:
	.section	.rodata,"a",@progbits
	.p2align	6, 0x0
	.amdhsa_kernel _ZN7rocprim17ROCPRIM_400000_NS6detail17trampoline_kernelINS0_14default_configENS1_25partition_config_selectorILNS1_17partition_subalgoE6EN6thrust23THRUST_200600_302600_NS5tupleIttNS7_9null_typeES9_S9_S9_S9_S9_S9_S9_EENS0_10empty_typeEbEEZZNS1_14partition_implILS5_6ELb0ES3_mNS7_12zip_iteratorINS8_INS7_6detail15normal_iteratorINS7_10device_ptrItEEEESJ_S9_S9_S9_S9_S9_S9_S9_S9_EEEEPSB_SM_NS0_5tupleIJNSE_INS8_ISJ_NS7_16discard_iteratorINS7_11use_defaultEEES9_S9_S9_S9_S9_S9_S9_S9_EEEESB_EEENSN_IJSM_SM_EEESB_PlJNSF_9not_fun_tINSF_14equal_to_valueISA_EEEEEEE10hipError_tPvRmT3_T4_T5_T6_T7_T9_mT8_P12ihipStream_tbDpT10_ENKUlT_T0_E_clISt17integral_constantIbLb0EES1I_IbLb1EEEEDaS1E_S1F_EUlS1E_E_NS1_11comp_targetILNS1_3genE0ELNS1_11target_archE4294967295ELNS1_3gpuE0ELNS1_3repE0EEENS1_30default_config_static_selectorELNS0_4arch9wavefront6targetE0EEEvT1_
		.amdhsa_group_segment_fixed_size 0
		.amdhsa_private_segment_fixed_size 0
		.amdhsa_kernarg_size 152
		.amdhsa_user_sgpr_count 2
		.amdhsa_user_sgpr_dispatch_ptr 0
		.amdhsa_user_sgpr_queue_ptr 0
		.amdhsa_user_sgpr_kernarg_segment_ptr 1
		.amdhsa_user_sgpr_dispatch_id 0
		.amdhsa_user_sgpr_private_segment_size 0
		.amdhsa_wavefront_size32 1
		.amdhsa_uses_dynamic_stack 0
		.amdhsa_enable_private_segment 0
		.amdhsa_system_sgpr_workgroup_id_x 1
		.amdhsa_system_sgpr_workgroup_id_y 0
		.amdhsa_system_sgpr_workgroup_id_z 0
		.amdhsa_system_sgpr_workgroup_info 0
		.amdhsa_system_vgpr_workitem_id 0
		.amdhsa_next_free_vgpr 1
		.amdhsa_next_free_sgpr 1
		.amdhsa_reserve_vcc 0
		.amdhsa_float_round_mode_32 0
		.amdhsa_float_round_mode_16_64 0
		.amdhsa_float_denorm_mode_32 3
		.amdhsa_float_denorm_mode_16_64 3
		.amdhsa_fp16_overflow 0
		.amdhsa_workgroup_processor_mode 1
		.amdhsa_memory_ordered 1
		.amdhsa_forward_progress 1
		.amdhsa_inst_pref_size 0
		.amdhsa_round_robin_scheduling 0
		.amdhsa_exception_fp_ieee_invalid_op 0
		.amdhsa_exception_fp_denorm_src 0
		.amdhsa_exception_fp_ieee_div_zero 0
		.amdhsa_exception_fp_ieee_overflow 0
		.amdhsa_exception_fp_ieee_underflow 0
		.amdhsa_exception_fp_ieee_inexact 0
		.amdhsa_exception_int_div_zero 0
	.end_amdhsa_kernel
	.section	.text._ZN7rocprim17ROCPRIM_400000_NS6detail17trampoline_kernelINS0_14default_configENS1_25partition_config_selectorILNS1_17partition_subalgoE6EN6thrust23THRUST_200600_302600_NS5tupleIttNS7_9null_typeES9_S9_S9_S9_S9_S9_S9_EENS0_10empty_typeEbEEZZNS1_14partition_implILS5_6ELb0ES3_mNS7_12zip_iteratorINS8_INS7_6detail15normal_iteratorINS7_10device_ptrItEEEESJ_S9_S9_S9_S9_S9_S9_S9_S9_EEEEPSB_SM_NS0_5tupleIJNSE_INS8_ISJ_NS7_16discard_iteratorINS7_11use_defaultEEES9_S9_S9_S9_S9_S9_S9_S9_EEEESB_EEENSN_IJSM_SM_EEESB_PlJNSF_9not_fun_tINSF_14equal_to_valueISA_EEEEEEE10hipError_tPvRmT3_T4_T5_T6_T7_T9_mT8_P12ihipStream_tbDpT10_ENKUlT_T0_E_clISt17integral_constantIbLb0EES1I_IbLb1EEEEDaS1E_S1F_EUlS1E_E_NS1_11comp_targetILNS1_3genE0ELNS1_11target_archE4294967295ELNS1_3gpuE0ELNS1_3repE0EEENS1_30default_config_static_selectorELNS0_4arch9wavefront6targetE0EEEvT1_,"axG",@progbits,_ZN7rocprim17ROCPRIM_400000_NS6detail17trampoline_kernelINS0_14default_configENS1_25partition_config_selectorILNS1_17partition_subalgoE6EN6thrust23THRUST_200600_302600_NS5tupleIttNS7_9null_typeES9_S9_S9_S9_S9_S9_S9_EENS0_10empty_typeEbEEZZNS1_14partition_implILS5_6ELb0ES3_mNS7_12zip_iteratorINS8_INS7_6detail15normal_iteratorINS7_10device_ptrItEEEESJ_S9_S9_S9_S9_S9_S9_S9_S9_EEEEPSB_SM_NS0_5tupleIJNSE_INS8_ISJ_NS7_16discard_iteratorINS7_11use_defaultEEES9_S9_S9_S9_S9_S9_S9_S9_EEEESB_EEENSN_IJSM_SM_EEESB_PlJNSF_9not_fun_tINSF_14equal_to_valueISA_EEEEEEE10hipError_tPvRmT3_T4_T5_T6_T7_T9_mT8_P12ihipStream_tbDpT10_ENKUlT_T0_E_clISt17integral_constantIbLb0EES1I_IbLb1EEEEDaS1E_S1F_EUlS1E_E_NS1_11comp_targetILNS1_3genE0ELNS1_11target_archE4294967295ELNS1_3gpuE0ELNS1_3repE0EEENS1_30default_config_static_selectorELNS0_4arch9wavefront6targetE0EEEvT1_,comdat
.Lfunc_end1973:
	.size	_ZN7rocprim17ROCPRIM_400000_NS6detail17trampoline_kernelINS0_14default_configENS1_25partition_config_selectorILNS1_17partition_subalgoE6EN6thrust23THRUST_200600_302600_NS5tupleIttNS7_9null_typeES9_S9_S9_S9_S9_S9_S9_EENS0_10empty_typeEbEEZZNS1_14partition_implILS5_6ELb0ES3_mNS7_12zip_iteratorINS8_INS7_6detail15normal_iteratorINS7_10device_ptrItEEEESJ_S9_S9_S9_S9_S9_S9_S9_S9_EEEEPSB_SM_NS0_5tupleIJNSE_INS8_ISJ_NS7_16discard_iteratorINS7_11use_defaultEEES9_S9_S9_S9_S9_S9_S9_S9_EEEESB_EEENSN_IJSM_SM_EEESB_PlJNSF_9not_fun_tINSF_14equal_to_valueISA_EEEEEEE10hipError_tPvRmT3_T4_T5_T6_T7_T9_mT8_P12ihipStream_tbDpT10_ENKUlT_T0_E_clISt17integral_constantIbLb0EES1I_IbLb1EEEEDaS1E_S1F_EUlS1E_E_NS1_11comp_targetILNS1_3genE0ELNS1_11target_archE4294967295ELNS1_3gpuE0ELNS1_3repE0EEENS1_30default_config_static_selectorELNS0_4arch9wavefront6targetE0EEEvT1_, .Lfunc_end1973-_ZN7rocprim17ROCPRIM_400000_NS6detail17trampoline_kernelINS0_14default_configENS1_25partition_config_selectorILNS1_17partition_subalgoE6EN6thrust23THRUST_200600_302600_NS5tupleIttNS7_9null_typeES9_S9_S9_S9_S9_S9_S9_EENS0_10empty_typeEbEEZZNS1_14partition_implILS5_6ELb0ES3_mNS7_12zip_iteratorINS8_INS7_6detail15normal_iteratorINS7_10device_ptrItEEEESJ_S9_S9_S9_S9_S9_S9_S9_S9_EEEEPSB_SM_NS0_5tupleIJNSE_INS8_ISJ_NS7_16discard_iteratorINS7_11use_defaultEEES9_S9_S9_S9_S9_S9_S9_S9_EEEESB_EEENSN_IJSM_SM_EEESB_PlJNSF_9not_fun_tINSF_14equal_to_valueISA_EEEEEEE10hipError_tPvRmT3_T4_T5_T6_T7_T9_mT8_P12ihipStream_tbDpT10_ENKUlT_T0_E_clISt17integral_constantIbLb0EES1I_IbLb1EEEEDaS1E_S1F_EUlS1E_E_NS1_11comp_targetILNS1_3genE0ELNS1_11target_archE4294967295ELNS1_3gpuE0ELNS1_3repE0EEENS1_30default_config_static_selectorELNS0_4arch9wavefront6targetE0EEEvT1_
                                        ; -- End function
	.set _ZN7rocprim17ROCPRIM_400000_NS6detail17trampoline_kernelINS0_14default_configENS1_25partition_config_selectorILNS1_17partition_subalgoE6EN6thrust23THRUST_200600_302600_NS5tupleIttNS7_9null_typeES9_S9_S9_S9_S9_S9_S9_EENS0_10empty_typeEbEEZZNS1_14partition_implILS5_6ELb0ES3_mNS7_12zip_iteratorINS8_INS7_6detail15normal_iteratorINS7_10device_ptrItEEEESJ_S9_S9_S9_S9_S9_S9_S9_S9_EEEEPSB_SM_NS0_5tupleIJNSE_INS8_ISJ_NS7_16discard_iteratorINS7_11use_defaultEEES9_S9_S9_S9_S9_S9_S9_S9_EEEESB_EEENSN_IJSM_SM_EEESB_PlJNSF_9not_fun_tINSF_14equal_to_valueISA_EEEEEEE10hipError_tPvRmT3_T4_T5_T6_T7_T9_mT8_P12ihipStream_tbDpT10_ENKUlT_T0_E_clISt17integral_constantIbLb0EES1I_IbLb1EEEEDaS1E_S1F_EUlS1E_E_NS1_11comp_targetILNS1_3genE0ELNS1_11target_archE4294967295ELNS1_3gpuE0ELNS1_3repE0EEENS1_30default_config_static_selectorELNS0_4arch9wavefront6targetE0EEEvT1_.num_vgpr, 0
	.set _ZN7rocprim17ROCPRIM_400000_NS6detail17trampoline_kernelINS0_14default_configENS1_25partition_config_selectorILNS1_17partition_subalgoE6EN6thrust23THRUST_200600_302600_NS5tupleIttNS7_9null_typeES9_S9_S9_S9_S9_S9_S9_EENS0_10empty_typeEbEEZZNS1_14partition_implILS5_6ELb0ES3_mNS7_12zip_iteratorINS8_INS7_6detail15normal_iteratorINS7_10device_ptrItEEEESJ_S9_S9_S9_S9_S9_S9_S9_S9_EEEEPSB_SM_NS0_5tupleIJNSE_INS8_ISJ_NS7_16discard_iteratorINS7_11use_defaultEEES9_S9_S9_S9_S9_S9_S9_S9_EEEESB_EEENSN_IJSM_SM_EEESB_PlJNSF_9not_fun_tINSF_14equal_to_valueISA_EEEEEEE10hipError_tPvRmT3_T4_T5_T6_T7_T9_mT8_P12ihipStream_tbDpT10_ENKUlT_T0_E_clISt17integral_constantIbLb0EES1I_IbLb1EEEEDaS1E_S1F_EUlS1E_E_NS1_11comp_targetILNS1_3genE0ELNS1_11target_archE4294967295ELNS1_3gpuE0ELNS1_3repE0EEENS1_30default_config_static_selectorELNS0_4arch9wavefront6targetE0EEEvT1_.num_agpr, 0
	.set _ZN7rocprim17ROCPRIM_400000_NS6detail17trampoline_kernelINS0_14default_configENS1_25partition_config_selectorILNS1_17partition_subalgoE6EN6thrust23THRUST_200600_302600_NS5tupleIttNS7_9null_typeES9_S9_S9_S9_S9_S9_S9_EENS0_10empty_typeEbEEZZNS1_14partition_implILS5_6ELb0ES3_mNS7_12zip_iteratorINS8_INS7_6detail15normal_iteratorINS7_10device_ptrItEEEESJ_S9_S9_S9_S9_S9_S9_S9_S9_EEEEPSB_SM_NS0_5tupleIJNSE_INS8_ISJ_NS7_16discard_iteratorINS7_11use_defaultEEES9_S9_S9_S9_S9_S9_S9_S9_EEEESB_EEENSN_IJSM_SM_EEESB_PlJNSF_9not_fun_tINSF_14equal_to_valueISA_EEEEEEE10hipError_tPvRmT3_T4_T5_T6_T7_T9_mT8_P12ihipStream_tbDpT10_ENKUlT_T0_E_clISt17integral_constantIbLb0EES1I_IbLb1EEEEDaS1E_S1F_EUlS1E_E_NS1_11comp_targetILNS1_3genE0ELNS1_11target_archE4294967295ELNS1_3gpuE0ELNS1_3repE0EEENS1_30default_config_static_selectorELNS0_4arch9wavefront6targetE0EEEvT1_.numbered_sgpr, 0
	.set _ZN7rocprim17ROCPRIM_400000_NS6detail17trampoline_kernelINS0_14default_configENS1_25partition_config_selectorILNS1_17partition_subalgoE6EN6thrust23THRUST_200600_302600_NS5tupleIttNS7_9null_typeES9_S9_S9_S9_S9_S9_S9_EENS0_10empty_typeEbEEZZNS1_14partition_implILS5_6ELb0ES3_mNS7_12zip_iteratorINS8_INS7_6detail15normal_iteratorINS7_10device_ptrItEEEESJ_S9_S9_S9_S9_S9_S9_S9_S9_EEEEPSB_SM_NS0_5tupleIJNSE_INS8_ISJ_NS7_16discard_iteratorINS7_11use_defaultEEES9_S9_S9_S9_S9_S9_S9_S9_EEEESB_EEENSN_IJSM_SM_EEESB_PlJNSF_9not_fun_tINSF_14equal_to_valueISA_EEEEEEE10hipError_tPvRmT3_T4_T5_T6_T7_T9_mT8_P12ihipStream_tbDpT10_ENKUlT_T0_E_clISt17integral_constantIbLb0EES1I_IbLb1EEEEDaS1E_S1F_EUlS1E_E_NS1_11comp_targetILNS1_3genE0ELNS1_11target_archE4294967295ELNS1_3gpuE0ELNS1_3repE0EEENS1_30default_config_static_selectorELNS0_4arch9wavefront6targetE0EEEvT1_.num_named_barrier, 0
	.set _ZN7rocprim17ROCPRIM_400000_NS6detail17trampoline_kernelINS0_14default_configENS1_25partition_config_selectorILNS1_17partition_subalgoE6EN6thrust23THRUST_200600_302600_NS5tupleIttNS7_9null_typeES9_S9_S9_S9_S9_S9_S9_EENS0_10empty_typeEbEEZZNS1_14partition_implILS5_6ELb0ES3_mNS7_12zip_iteratorINS8_INS7_6detail15normal_iteratorINS7_10device_ptrItEEEESJ_S9_S9_S9_S9_S9_S9_S9_S9_EEEEPSB_SM_NS0_5tupleIJNSE_INS8_ISJ_NS7_16discard_iteratorINS7_11use_defaultEEES9_S9_S9_S9_S9_S9_S9_S9_EEEESB_EEENSN_IJSM_SM_EEESB_PlJNSF_9not_fun_tINSF_14equal_to_valueISA_EEEEEEE10hipError_tPvRmT3_T4_T5_T6_T7_T9_mT8_P12ihipStream_tbDpT10_ENKUlT_T0_E_clISt17integral_constantIbLb0EES1I_IbLb1EEEEDaS1E_S1F_EUlS1E_E_NS1_11comp_targetILNS1_3genE0ELNS1_11target_archE4294967295ELNS1_3gpuE0ELNS1_3repE0EEENS1_30default_config_static_selectorELNS0_4arch9wavefront6targetE0EEEvT1_.private_seg_size, 0
	.set _ZN7rocprim17ROCPRIM_400000_NS6detail17trampoline_kernelINS0_14default_configENS1_25partition_config_selectorILNS1_17partition_subalgoE6EN6thrust23THRUST_200600_302600_NS5tupleIttNS7_9null_typeES9_S9_S9_S9_S9_S9_S9_EENS0_10empty_typeEbEEZZNS1_14partition_implILS5_6ELb0ES3_mNS7_12zip_iteratorINS8_INS7_6detail15normal_iteratorINS7_10device_ptrItEEEESJ_S9_S9_S9_S9_S9_S9_S9_S9_EEEEPSB_SM_NS0_5tupleIJNSE_INS8_ISJ_NS7_16discard_iteratorINS7_11use_defaultEEES9_S9_S9_S9_S9_S9_S9_S9_EEEESB_EEENSN_IJSM_SM_EEESB_PlJNSF_9not_fun_tINSF_14equal_to_valueISA_EEEEEEE10hipError_tPvRmT3_T4_T5_T6_T7_T9_mT8_P12ihipStream_tbDpT10_ENKUlT_T0_E_clISt17integral_constantIbLb0EES1I_IbLb1EEEEDaS1E_S1F_EUlS1E_E_NS1_11comp_targetILNS1_3genE0ELNS1_11target_archE4294967295ELNS1_3gpuE0ELNS1_3repE0EEENS1_30default_config_static_selectorELNS0_4arch9wavefront6targetE0EEEvT1_.uses_vcc, 0
	.set _ZN7rocprim17ROCPRIM_400000_NS6detail17trampoline_kernelINS0_14default_configENS1_25partition_config_selectorILNS1_17partition_subalgoE6EN6thrust23THRUST_200600_302600_NS5tupleIttNS7_9null_typeES9_S9_S9_S9_S9_S9_S9_EENS0_10empty_typeEbEEZZNS1_14partition_implILS5_6ELb0ES3_mNS7_12zip_iteratorINS8_INS7_6detail15normal_iteratorINS7_10device_ptrItEEEESJ_S9_S9_S9_S9_S9_S9_S9_S9_EEEEPSB_SM_NS0_5tupleIJNSE_INS8_ISJ_NS7_16discard_iteratorINS7_11use_defaultEEES9_S9_S9_S9_S9_S9_S9_S9_EEEESB_EEENSN_IJSM_SM_EEESB_PlJNSF_9not_fun_tINSF_14equal_to_valueISA_EEEEEEE10hipError_tPvRmT3_T4_T5_T6_T7_T9_mT8_P12ihipStream_tbDpT10_ENKUlT_T0_E_clISt17integral_constantIbLb0EES1I_IbLb1EEEEDaS1E_S1F_EUlS1E_E_NS1_11comp_targetILNS1_3genE0ELNS1_11target_archE4294967295ELNS1_3gpuE0ELNS1_3repE0EEENS1_30default_config_static_selectorELNS0_4arch9wavefront6targetE0EEEvT1_.uses_flat_scratch, 0
	.set _ZN7rocprim17ROCPRIM_400000_NS6detail17trampoline_kernelINS0_14default_configENS1_25partition_config_selectorILNS1_17partition_subalgoE6EN6thrust23THRUST_200600_302600_NS5tupleIttNS7_9null_typeES9_S9_S9_S9_S9_S9_S9_EENS0_10empty_typeEbEEZZNS1_14partition_implILS5_6ELb0ES3_mNS7_12zip_iteratorINS8_INS7_6detail15normal_iteratorINS7_10device_ptrItEEEESJ_S9_S9_S9_S9_S9_S9_S9_S9_EEEEPSB_SM_NS0_5tupleIJNSE_INS8_ISJ_NS7_16discard_iteratorINS7_11use_defaultEEES9_S9_S9_S9_S9_S9_S9_S9_EEEESB_EEENSN_IJSM_SM_EEESB_PlJNSF_9not_fun_tINSF_14equal_to_valueISA_EEEEEEE10hipError_tPvRmT3_T4_T5_T6_T7_T9_mT8_P12ihipStream_tbDpT10_ENKUlT_T0_E_clISt17integral_constantIbLb0EES1I_IbLb1EEEEDaS1E_S1F_EUlS1E_E_NS1_11comp_targetILNS1_3genE0ELNS1_11target_archE4294967295ELNS1_3gpuE0ELNS1_3repE0EEENS1_30default_config_static_selectorELNS0_4arch9wavefront6targetE0EEEvT1_.has_dyn_sized_stack, 0
	.set _ZN7rocprim17ROCPRIM_400000_NS6detail17trampoline_kernelINS0_14default_configENS1_25partition_config_selectorILNS1_17partition_subalgoE6EN6thrust23THRUST_200600_302600_NS5tupleIttNS7_9null_typeES9_S9_S9_S9_S9_S9_S9_EENS0_10empty_typeEbEEZZNS1_14partition_implILS5_6ELb0ES3_mNS7_12zip_iteratorINS8_INS7_6detail15normal_iteratorINS7_10device_ptrItEEEESJ_S9_S9_S9_S9_S9_S9_S9_S9_EEEEPSB_SM_NS0_5tupleIJNSE_INS8_ISJ_NS7_16discard_iteratorINS7_11use_defaultEEES9_S9_S9_S9_S9_S9_S9_S9_EEEESB_EEENSN_IJSM_SM_EEESB_PlJNSF_9not_fun_tINSF_14equal_to_valueISA_EEEEEEE10hipError_tPvRmT3_T4_T5_T6_T7_T9_mT8_P12ihipStream_tbDpT10_ENKUlT_T0_E_clISt17integral_constantIbLb0EES1I_IbLb1EEEEDaS1E_S1F_EUlS1E_E_NS1_11comp_targetILNS1_3genE0ELNS1_11target_archE4294967295ELNS1_3gpuE0ELNS1_3repE0EEENS1_30default_config_static_selectorELNS0_4arch9wavefront6targetE0EEEvT1_.has_recursion, 0
	.set _ZN7rocprim17ROCPRIM_400000_NS6detail17trampoline_kernelINS0_14default_configENS1_25partition_config_selectorILNS1_17partition_subalgoE6EN6thrust23THRUST_200600_302600_NS5tupleIttNS7_9null_typeES9_S9_S9_S9_S9_S9_S9_EENS0_10empty_typeEbEEZZNS1_14partition_implILS5_6ELb0ES3_mNS7_12zip_iteratorINS8_INS7_6detail15normal_iteratorINS7_10device_ptrItEEEESJ_S9_S9_S9_S9_S9_S9_S9_S9_EEEEPSB_SM_NS0_5tupleIJNSE_INS8_ISJ_NS7_16discard_iteratorINS7_11use_defaultEEES9_S9_S9_S9_S9_S9_S9_S9_EEEESB_EEENSN_IJSM_SM_EEESB_PlJNSF_9not_fun_tINSF_14equal_to_valueISA_EEEEEEE10hipError_tPvRmT3_T4_T5_T6_T7_T9_mT8_P12ihipStream_tbDpT10_ENKUlT_T0_E_clISt17integral_constantIbLb0EES1I_IbLb1EEEEDaS1E_S1F_EUlS1E_E_NS1_11comp_targetILNS1_3genE0ELNS1_11target_archE4294967295ELNS1_3gpuE0ELNS1_3repE0EEENS1_30default_config_static_selectorELNS0_4arch9wavefront6targetE0EEEvT1_.has_indirect_call, 0
	.section	.AMDGPU.csdata,"",@progbits
; Kernel info:
; codeLenInByte = 0
; TotalNumSgprs: 0
; NumVgprs: 0
; ScratchSize: 0
; MemoryBound: 0
; FloatMode: 240
; IeeeMode: 1
; LDSByteSize: 0 bytes/workgroup (compile time only)
; SGPRBlocks: 0
; VGPRBlocks: 0
; NumSGPRsForWavesPerEU: 1
; NumVGPRsForWavesPerEU: 1
; Occupancy: 16
; WaveLimiterHint : 0
; COMPUTE_PGM_RSRC2:SCRATCH_EN: 0
; COMPUTE_PGM_RSRC2:USER_SGPR: 2
; COMPUTE_PGM_RSRC2:TRAP_HANDLER: 0
; COMPUTE_PGM_RSRC2:TGID_X_EN: 1
; COMPUTE_PGM_RSRC2:TGID_Y_EN: 0
; COMPUTE_PGM_RSRC2:TGID_Z_EN: 0
; COMPUTE_PGM_RSRC2:TIDIG_COMP_CNT: 0
	.section	.text._ZN7rocprim17ROCPRIM_400000_NS6detail17trampoline_kernelINS0_14default_configENS1_25partition_config_selectorILNS1_17partition_subalgoE6EN6thrust23THRUST_200600_302600_NS5tupleIttNS7_9null_typeES9_S9_S9_S9_S9_S9_S9_EENS0_10empty_typeEbEEZZNS1_14partition_implILS5_6ELb0ES3_mNS7_12zip_iteratorINS8_INS7_6detail15normal_iteratorINS7_10device_ptrItEEEESJ_S9_S9_S9_S9_S9_S9_S9_S9_EEEEPSB_SM_NS0_5tupleIJNSE_INS8_ISJ_NS7_16discard_iteratorINS7_11use_defaultEEES9_S9_S9_S9_S9_S9_S9_S9_EEEESB_EEENSN_IJSM_SM_EEESB_PlJNSF_9not_fun_tINSF_14equal_to_valueISA_EEEEEEE10hipError_tPvRmT3_T4_T5_T6_T7_T9_mT8_P12ihipStream_tbDpT10_ENKUlT_T0_E_clISt17integral_constantIbLb0EES1I_IbLb1EEEEDaS1E_S1F_EUlS1E_E_NS1_11comp_targetILNS1_3genE5ELNS1_11target_archE942ELNS1_3gpuE9ELNS1_3repE0EEENS1_30default_config_static_selectorELNS0_4arch9wavefront6targetE0EEEvT1_,"axG",@progbits,_ZN7rocprim17ROCPRIM_400000_NS6detail17trampoline_kernelINS0_14default_configENS1_25partition_config_selectorILNS1_17partition_subalgoE6EN6thrust23THRUST_200600_302600_NS5tupleIttNS7_9null_typeES9_S9_S9_S9_S9_S9_S9_EENS0_10empty_typeEbEEZZNS1_14partition_implILS5_6ELb0ES3_mNS7_12zip_iteratorINS8_INS7_6detail15normal_iteratorINS7_10device_ptrItEEEESJ_S9_S9_S9_S9_S9_S9_S9_S9_EEEEPSB_SM_NS0_5tupleIJNSE_INS8_ISJ_NS7_16discard_iteratorINS7_11use_defaultEEES9_S9_S9_S9_S9_S9_S9_S9_EEEESB_EEENSN_IJSM_SM_EEESB_PlJNSF_9not_fun_tINSF_14equal_to_valueISA_EEEEEEE10hipError_tPvRmT3_T4_T5_T6_T7_T9_mT8_P12ihipStream_tbDpT10_ENKUlT_T0_E_clISt17integral_constantIbLb0EES1I_IbLb1EEEEDaS1E_S1F_EUlS1E_E_NS1_11comp_targetILNS1_3genE5ELNS1_11target_archE942ELNS1_3gpuE9ELNS1_3repE0EEENS1_30default_config_static_selectorELNS0_4arch9wavefront6targetE0EEEvT1_,comdat
	.protected	_ZN7rocprim17ROCPRIM_400000_NS6detail17trampoline_kernelINS0_14default_configENS1_25partition_config_selectorILNS1_17partition_subalgoE6EN6thrust23THRUST_200600_302600_NS5tupleIttNS7_9null_typeES9_S9_S9_S9_S9_S9_S9_EENS0_10empty_typeEbEEZZNS1_14partition_implILS5_6ELb0ES3_mNS7_12zip_iteratorINS8_INS7_6detail15normal_iteratorINS7_10device_ptrItEEEESJ_S9_S9_S9_S9_S9_S9_S9_S9_EEEEPSB_SM_NS0_5tupleIJNSE_INS8_ISJ_NS7_16discard_iteratorINS7_11use_defaultEEES9_S9_S9_S9_S9_S9_S9_S9_EEEESB_EEENSN_IJSM_SM_EEESB_PlJNSF_9not_fun_tINSF_14equal_to_valueISA_EEEEEEE10hipError_tPvRmT3_T4_T5_T6_T7_T9_mT8_P12ihipStream_tbDpT10_ENKUlT_T0_E_clISt17integral_constantIbLb0EES1I_IbLb1EEEEDaS1E_S1F_EUlS1E_E_NS1_11comp_targetILNS1_3genE5ELNS1_11target_archE942ELNS1_3gpuE9ELNS1_3repE0EEENS1_30default_config_static_selectorELNS0_4arch9wavefront6targetE0EEEvT1_ ; -- Begin function _ZN7rocprim17ROCPRIM_400000_NS6detail17trampoline_kernelINS0_14default_configENS1_25partition_config_selectorILNS1_17partition_subalgoE6EN6thrust23THRUST_200600_302600_NS5tupleIttNS7_9null_typeES9_S9_S9_S9_S9_S9_S9_EENS0_10empty_typeEbEEZZNS1_14partition_implILS5_6ELb0ES3_mNS7_12zip_iteratorINS8_INS7_6detail15normal_iteratorINS7_10device_ptrItEEEESJ_S9_S9_S9_S9_S9_S9_S9_S9_EEEEPSB_SM_NS0_5tupleIJNSE_INS8_ISJ_NS7_16discard_iteratorINS7_11use_defaultEEES9_S9_S9_S9_S9_S9_S9_S9_EEEESB_EEENSN_IJSM_SM_EEESB_PlJNSF_9not_fun_tINSF_14equal_to_valueISA_EEEEEEE10hipError_tPvRmT3_T4_T5_T6_T7_T9_mT8_P12ihipStream_tbDpT10_ENKUlT_T0_E_clISt17integral_constantIbLb0EES1I_IbLb1EEEEDaS1E_S1F_EUlS1E_E_NS1_11comp_targetILNS1_3genE5ELNS1_11target_archE942ELNS1_3gpuE9ELNS1_3repE0EEENS1_30default_config_static_selectorELNS0_4arch9wavefront6targetE0EEEvT1_
	.globl	_ZN7rocprim17ROCPRIM_400000_NS6detail17trampoline_kernelINS0_14default_configENS1_25partition_config_selectorILNS1_17partition_subalgoE6EN6thrust23THRUST_200600_302600_NS5tupleIttNS7_9null_typeES9_S9_S9_S9_S9_S9_S9_EENS0_10empty_typeEbEEZZNS1_14partition_implILS5_6ELb0ES3_mNS7_12zip_iteratorINS8_INS7_6detail15normal_iteratorINS7_10device_ptrItEEEESJ_S9_S9_S9_S9_S9_S9_S9_S9_EEEEPSB_SM_NS0_5tupleIJNSE_INS8_ISJ_NS7_16discard_iteratorINS7_11use_defaultEEES9_S9_S9_S9_S9_S9_S9_S9_EEEESB_EEENSN_IJSM_SM_EEESB_PlJNSF_9not_fun_tINSF_14equal_to_valueISA_EEEEEEE10hipError_tPvRmT3_T4_T5_T6_T7_T9_mT8_P12ihipStream_tbDpT10_ENKUlT_T0_E_clISt17integral_constantIbLb0EES1I_IbLb1EEEEDaS1E_S1F_EUlS1E_E_NS1_11comp_targetILNS1_3genE5ELNS1_11target_archE942ELNS1_3gpuE9ELNS1_3repE0EEENS1_30default_config_static_selectorELNS0_4arch9wavefront6targetE0EEEvT1_
	.p2align	8
	.type	_ZN7rocprim17ROCPRIM_400000_NS6detail17trampoline_kernelINS0_14default_configENS1_25partition_config_selectorILNS1_17partition_subalgoE6EN6thrust23THRUST_200600_302600_NS5tupleIttNS7_9null_typeES9_S9_S9_S9_S9_S9_S9_EENS0_10empty_typeEbEEZZNS1_14partition_implILS5_6ELb0ES3_mNS7_12zip_iteratorINS8_INS7_6detail15normal_iteratorINS7_10device_ptrItEEEESJ_S9_S9_S9_S9_S9_S9_S9_S9_EEEEPSB_SM_NS0_5tupleIJNSE_INS8_ISJ_NS7_16discard_iteratorINS7_11use_defaultEEES9_S9_S9_S9_S9_S9_S9_S9_EEEESB_EEENSN_IJSM_SM_EEESB_PlJNSF_9not_fun_tINSF_14equal_to_valueISA_EEEEEEE10hipError_tPvRmT3_T4_T5_T6_T7_T9_mT8_P12ihipStream_tbDpT10_ENKUlT_T0_E_clISt17integral_constantIbLb0EES1I_IbLb1EEEEDaS1E_S1F_EUlS1E_E_NS1_11comp_targetILNS1_3genE5ELNS1_11target_archE942ELNS1_3gpuE9ELNS1_3repE0EEENS1_30default_config_static_selectorELNS0_4arch9wavefront6targetE0EEEvT1_,@function
_ZN7rocprim17ROCPRIM_400000_NS6detail17trampoline_kernelINS0_14default_configENS1_25partition_config_selectorILNS1_17partition_subalgoE6EN6thrust23THRUST_200600_302600_NS5tupleIttNS7_9null_typeES9_S9_S9_S9_S9_S9_S9_EENS0_10empty_typeEbEEZZNS1_14partition_implILS5_6ELb0ES3_mNS7_12zip_iteratorINS8_INS7_6detail15normal_iteratorINS7_10device_ptrItEEEESJ_S9_S9_S9_S9_S9_S9_S9_S9_EEEEPSB_SM_NS0_5tupleIJNSE_INS8_ISJ_NS7_16discard_iteratorINS7_11use_defaultEEES9_S9_S9_S9_S9_S9_S9_S9_EEEESB_EEENSN_IJSM_SM_EEESB_PlJNSF_9not_fun_tINSF_14equal_to_valueISA_EEEEEEE10hipError_tPvRmT3_T4_T5_T6_T7_T9_mT8_P12ihipStream_tbDpT10_ENKUlT_T0_E_clISt17integral_constantIbLb0EES1I_IbLb1EEEEDaS1E_S1F_EUlS1E_E_NS1_11comp_targetILNS1_3genE5ELNS1_11target_archE942ELNS1_3gpuE9ELNS1_3repE0EEENS1_30default_config_static_selectorELNS0_4arch9wavefront6targetE0EEEvT1_: ; @_ZN7rocprim17ROCPRIM_400000_NS6detail17trampoline_kernelINS0_14default_configENS1_25partition_config_selectorILNS1_17partition_subalgoE6EN6thrust23THRUST_200600_302600_NS5tupleIttNS7_9null_typeES9_S9_S9_S9_S9_S9_S9_EENS0_10empty_typeEbEEZZNS1_14partition_implILS5_6ELb0ES3_mNS7_12zip_iteratorINS8_INS7_6detail15normal_iteratorINS7_10device_ptrItEEEESJ_S9_S9_S9_S9_S9_S9_S9_S9_EEEEPSB_SM_NS0_5tupleIJNSE_INS8_ISJ_NS7_16discard_iteratorINS7_11use_defaultEEES9_S9_S9_S9_S9_S9_S9_S9_EEEESB_EEENSN_IJSM_SM_EEESB_PlJNSF_9not_fun_tINSF_14equal_to_valueISA_EEEEEEE10hipError_tPvRmT3_T4_T5_T6_T7_T9_mT8_P12ihipStream_tbDpT10_ENKUlT_T0_E_clISt17integral_constantIbLb0EES1I_IbLb1EEEEDaS1E_S1F_EUlS1E_E_NS1_11comp_targetILNS1_3genE5ELNS1_11target_archE942ELNS1_3gpuE9ELNS1_3repE0EEENS1_30default_config_static_selectorELNS0_4arch9wavefront6targetE0EEEvT1_
; %bb.0:
	.section	.rodata,"a",@progbits
	.p2align	6, 0x0
	.amdhsa_kernel _ZN7rocprim17ROCPRIM_400000_NS6detail17trampoline_kernelINS0_14default_configENS1_25partition_config_selectorILNS1_17partition_subalgoE6EN6thrust23THRUST_200600_302600_NS5tupleIttNS7_9null_typeES9_S9_S9_S9_S9_S9_S9_EENS0_10empty_typeEbEEZZNS1_14partition_implILS5_6ELb0ES3_mNS7_12zip_iteratorINS8_INS7_6detail15normal_iteratorINS7_10device_ptrItEEEESJ_S9_S9_S9_S9_S9_S9_S9_S9_EEEEPSB_SM_NS0_5tupleIJNSE_INS8_ISJ_NS7_16discard_iteratorINS7_11use_defaultEEES9_S9_S9_S9_S9_S9_S9_S9_EEEESB_EEENSN_IJSM_SM_EEESB_PlJNSF_9not_fun_tINSF_14equal_to_valueISA_EEEEEEE10hipError_tPvRmT3_T4_T5_T6_T7_T9_mT8_P12ihipStream_tbDpT10_ENKUlT_T0_E_clISt17integral_constantIbLb0EES1I_IbLb1EEEEDaS1E_S1F_EUlS1E_E_NS1_11comp_targetILNS1_3genE5ELNS1_11target_archE942ELNS1_3gpuE9ELNS1_3repE0EEENS1_30default_config_static_selectorELNS0_4arch9wavefront6targetE0EEEvT1_
		.amdhsa_group_segment_fixed_size 0
		.amdhsa_private_segment_fixed_size 0
		.amdhsa_kernarg_size 152
		.amdhsa_user_sgpr_count 2
		.amdhsa_user_sgpr_dispatch_ptr 0
		.amdhsa_user_sgpr_queue_ptr 0
		.amdhsa_user_sgpr_kernarg_segment_ptr 1
		.amdhsa_user_sgpr_dispatch_id 0
		.amdhsa_user_sgpr_private_segment_size 0
		.amdhsa_wavefront_size32 1
		.amdhsa_uses_dynamic_stack 0
		.amdhsa_enable_private_segment 0
		.amdhsa_system_sgpr_workgroup_id_x 1
		.amdhsa_system_sgpr_workgroup_id_y 0
		.amdhsa_system_sgpr_workgroup_id_z 0
		.amdhsa_system_sgpr_workgroup_info 0
		.amdhsa_system_vgpr_workitem_id 0
		.amdhsa_next_free_vgpr 1
		.amdhsa_next_free_sgpr 1
		.amdhsa_reserve_vcc 0
		.amdhsa_float_round_mode_32 0
		.amdhsa_float_round_mode_16_64 0
		.amdhsa_float_denorm_mode_32 3
		.amdhsa_float_denorm_mode_16_64 3
		.amdhsa_fp16_overflow 0
		.amdhsa_workgroup_processor_mode 1
		.amdhsa_memory_ordered 1
		.amdhsa_forward_progress 1
		.amdhsa_inst_pref_size 0
		.amdhsa_round_robin_scheduling 0
		.amdhsa_exception_fp_ieee_invalid_op 0
		.amdhsa_exception_fp_denorm_src 0
		.amdhsa_exception_fp_ieee_div_zero 0
		.amdhsa_exception_fp_ieee_overflow 0
		.amdhsa_exception_fp_ieee_underflow 0
		.amdhsa_exception_fp_ieee_inexact 0
		.amdhsa_exception_int_div_zero 0
	.end_amdhsa_kernel
	.section	.text._ZN7rocprim17ROCPRIM_400000_NS6detail17trampoline_kernelINS0_14default_configENS1_25partition_config_selectorILNS1_17partition_subalgoE6EN6thrust23THRUST_200600_302600_NS5tupleIttNS7_9null_typeES9_S9_S9_S9_S9_S9_S9_EENS0_10empty_typeEbEEZZNS1_14partition_implILS5_6ELb0ES3_mNS7_12zip_iteratorINS8_INS7_6detail15normal_iteratorINS7_10device_ptrItEEEESJ_S9_S9_S9_S9_S9_S9_S9_S9_EEEEPSB_SM_NS0_5tupleIJNSE_INS8_ISJ_NS7_16discard_iteratorINS7_11use_defaultEEES9_S9_S9_S9_S9_S9_S9_S9_EEEESB_EEENSN_IJSM_SM_EEESB_PlJNSF_9not_fun_tINSF_14equal_to_valueISA_EEEEEEE10hipError_tPvRmT3_T4_T5_T6_T7_T9_mT8_P12ihipStream_tbDpT10_ENKUlT_T0_E_clISt17integral_constantIbLb0EES1I_IbLb1EEEEDaS1E_S1F_EUlS1E_E_NS1_11comp_targetILNS1_3genE5ELNS1_11target_archE942ELNS1_3gpuE9ELNS1_3repE0EEENS1_30default_config_static_selectorELNS0_4arch9wavefront6targetE0EEEvT1_,"axG",@progbits,_ZN7rocprim17ROCPRIM_400000_NS6detail17trampoline_kernelINS0_14default_configENS1_25partition_config_selectorILNS1_17partition_subalgoE6EN6thrust23THRUST_200600_302600_NS5tupleIttNS7_9null_typeES9_S9_S9_S9_S9_S9_S9_EENS0_10empty_typeEbEEZZNS1_14partition_implILS5_6ELb0ES3_mNS7_12zip_iteratorINS8_INS7_6detail15normal_iteratorINS7_10device_ptrItEEEESJ_S9_S9_S9_S9_S9_S9_S9_S9_EEEEPSB_SM_NS0_5tupleIJNSE_INS8_ISJ_NS7_16discard_iteratorINS7_11use_defaultEEES9_S9_S9_S9_S9_S9_S9_S9_EEEESB_EEENSN_IJSM_SM_EEESB_PlJNSF_9not_fun_tINSF_14equal_to_valueISA_EEEEEEE10hipError_tPvRmT3_T4_T5_T6_T7_T9_mT8_P12ihipStream_tbDpT10_ENKUlT_T0_E_clISt17integral_constantIbLb0EES1I_IbLb1EEEEDaS1E_S1F_EUlS1E_E_NS1_11comp_targetILNS1_3genE5ELNS1_11target_archE942ELNS1_3gpuE9ELNS1_3repE0EEENS1_30default_config_static_selectorELNS0_4arch9wavefront6targetE0EEEvT1_,comdat
.Lfunc_end1974:
	.size	_ZN7rocprim17ROCPRIM_400000_NS6detail17trampoline_kernelINS0_14default_configENS1_25partition_config_selectorILNS1_17partition_subalgoE6EN6thrust23THRUST_200600_302600_NS5tupleIttNS7_9null_typeES9_S9_S9_S9_S9_S9_S9_EENS0_10empty_typeEbEEZZNS1_14partition_implILS5_6ELb0ES3_mNS7_12zip_iteratorINS8_INS7_6detail15normal_iteratorINS7_10device_ptrItEEEESJ_S9_S9_S9_S9_S9_S9_S9_S9_EEEEPSB_SM_NS0_5tupleIJNSE_INS8_ISJ_NS7_16discard_iteratorINS7_11use_defaultEEES9_S9_S9_S9_S9_S9_S9_S9_EEEESB_EEENSN_IJSM_SM_EEESB_PlJNSF_9not_fun_tINSF_14equal_to_valueISA_EEEEEEE10hipError_tPvRmT3_T4_T5_T6_T7_T9_mT8_P12ihipStream_tbDpT10_ENKUlT_T0_E_clISt17integral_constantIbLb0EES1I_IbLb1EEEEDaS1E_S1F_EUlS1E_E_NS1_11comp_targetILNS1_3genE5ELNS1_11target_archE942ELNS1_3gpuE9ELNS1_3repE0EEENS1_30default_config_static_selectorELNS0_4arch9wavefront6targetE0EEEvT1_, .Lfunc_end1974-_ZN7rocprim17ROCPRIM_400000_NS6detail17trampoline_kernelINS0_14default_configENS1_25partition_config_selectorILNS1_17partition_subalgoE6EN6thrust23THRUST_200600_302600_NS5tupleIttNS7_9null_typeES9_S9_S9_S9_S9_S9_S9_EENS0_10empty_typeEbEEZZNS1_14partition_implILS5_6ELb0ES3_mNS7_12zip_iteratorINS8_INS7_6detail15normal_iteratorINS7_10device_ptrItEEEESJ_S9_S9_S9_S9_S9_S9_S9_S9_EEEEPSB_SM_NS0_5tupleIJNSE_INS8_ISJ_NS7_16discard_iteratorINS7_11use_defaultEEES9_S9_S9_S9_S9_S9_S9_S9_EEEESB_EEENSN_IJSM_SM_EEESB_PlJNSF_9not_fun_tINSF_14equal_to_valueISA_EEEEEEE10hipError_tPvRmT3_T4_T5_T6_T7_T9_mT8_P12ihipStream_tbDpT10_ENKUlT_T0_E_clISt17integral_constantIbLb0EES1I_IbLb1EEEEDaS1E_S1F_EUlS1E_E_NS1_11comp_targetILNS1_3genE5ELNS1_11target_archE942ELNS1_3gpuE9ELNS1_3repE0EEENS1_30default_config_static_selectorELNS0_4arch9wavefront6targetE0EEEvT1_
                                        ; -- End function
	.set _ZN7rocprim17ROCPRIM_400000_NS6detail17trampoline_kernelINS0_14default_configENS1_25partition_config_selectorILNS1_17partition_subalgoE6EN6thrust23THRUST_200600_302600_NS5tupleIttNS7_9null_typeES9_S9_S9_S9_S9_S9_S9_EENS0_10empty_typeEbEEZZNS1_14partition_implILS5_6ELb0ES3_mNS7_12zip_iteratorINS8_INS7_6detail15normal_iteratorINS7_10device_ptrItEEEESJ_S9_S9_S9_S9_S9_S9_S9_S9_EEEEPSB_SM_NS0_5tupleIJNSE_INS8_ISJ_NS7_16discard_iteratorINS7_11use_defaultEEES9_S9_S9_S9_S9_S9_S9_S9_EEEESB_EEENSN_IJSM_SM_EEESB_PlJNSF_9not_fun_tINSF_14equal_to_valueISA_EEEEEEE10hipError_tPvRmT3_T4_T5_T6_T7_T9_mT8_P12ihipStream_tbDpT10_ENKUlT_T0_E_clISt17integral_constantIbLb0EES1I_IbLb1EEEEDaS1E_S1F_EUlS1E_E_NS1_11comp_targetILNS1_3genE5ELNS1_11target_archE942ELNS1_3gpuE9ELNS1_3repE0EEENS1_30default_config_static_selectorELNS0_4arch9wavefront6targetE0EEEvT1_.num_vgpr, 0
	.set _ZN7rocprim17ROCPRIM_400000_NS6detail17trampoline_kernelINS0_14default_configENS1_25partition_config_selectorILNS1_17partition_subalgoE6EN6thrust23THRUST_200600_302600_NS5tupleIttNS7_9null_typeES9_S9_S9_S9_S9_S9_S9_EENS0_10empty_typeEbEEZZNS1_14partition_implILS5_6ELb0ES3_mNS7_12zip_iteratorINS8_INS7_6detail15normal_iteratorINS7_10device_ptrItEEEESJ_S9_S9_S9_S9_S9_S9_S9_S9_EEEEPSB_SM_NS0_5tupleIJNSE_INS8_ISJ_NS7_16discard_iteratorINS7_11use_defaultEEES9_S9_S9_S9_S9_S9_S9_S9_EEEESB_EEENSN_IJSM_SM_EEESB_PlJNSF_9not_fun_tINSF_14equal_to_valueISA_EEEEEEE10hipError_tPvRmT3_T4_T5_T6_T7_T9_mT8_P12ihipStream_tbDpT10_ENKUlT_T0_E_clISt17integral_constantIbLb0EES1I_IbLb1EEEEDaS1E_S1F_EUlS1E_E_NS1_11comp_targetILNS1_3genE5ELNS1_11target_archE942ELNS1_3gpuE9ELNS1_3repE0EEENS1_30default_config_static_selectorELNS0_4arch9wavefront6targetE0EEEvT1_.num_agpr, 0
	.set _ZN7rocprim17ROCPRIM_400000_NS6detail17trampoline_kernelINS0_14default_configENS1_25partition_config_selectorILNS1_17partition_subalgoE6EN6thrust23THRUST_200600_302600_NS5tupleIttNS7_9null_typeES9_S9_S9_S9_S9_S9_S9_EENS0_10empty_typeEbEEZZNS1_14partition_implILS5_6ELb0ES3_mNS7_12zip_iteratorINS8_INS7_6detail15normal_iteratorINS7_10device_ptrItEEEESJ_S9_S9_S9_S9_S9_S9_S9_S9_EEEEPSB_SM_NS0_5tupleIJNSE_INS8_ISJ_NS7_16discard_iteratorINS7_11use_defaultEEES9_S9_S9_S9_S9_S9_S9_S9_EEEESB_EEENSN_IJSM_SM_EEESB_PlJNSF_9not_fun_tINSF_14equal_to_valueISA_EEEEEEE10hipError_tPvRmT3_T4_T5_T6_T7_T9_mT8_P12ihipStream_tbDpT10_ENKUlT_T0_E_clISt17integral_constantIbLb0EES1I_IbLb1EEEEDaS1E_S1F_EUlS1E_E_NS1_11comp_targetILNS1_3genE5ELNS1_11target_archE942ELNS1_3gpuE9ELNS1_3repE0EEENS1_30default_config_static_selectorELNS0_4arch9wavefront6targetE0EEEvT1_.numbered_sgpr, 0
	.set _ZN7rocprim17ROCPRIM_400000_NS6detail17trampoline_kernelINS0_14default_configENS1_25partition_config_selectorILNS1_17partition_subalgoE6EN6thrust23THRUST_200600_302600_NS5tupleIttNS7_9null_typeES9_S9_S9_S9_S9_S9_S9_EENS0_10empty_typeEbEEZZNS1_14partition_implILS5_6ELb0ES3_mNS7_12zip_iteratorINS8_INS7_6detail15normal_iteratorINS7_10device_ptrItEEEESJ_S9_S9_S9_S9_S9_S9_S9_S9_EEEEPSB_SM_NS0_5tupleIJNSE_INS8_ISJ_NS7_16discard_iteratorINS7_11use_defaultEEES9_S9_S9_S9_S9_S9_S9_S9_EEEESB_EEENSN_IJSM_SM_EEESB_PlJNSF_9not_fun_tINSF_14equal_to_valueISA_EEEEEEE10hipError_tPvRmT3_T4_T5_T6_T7_T9_mT8_P12ihipStream_tbDpT10_ENKUlT_T0_E_clISt17integral_constantIbLb0EES1I_IbLb1EEEEDaS1E_S1F_EUlS1E_E_NS1_11comp_targetILNS1_3genE5ELNS1_11target_archE942ELNS1_3gpuE9ELNS1_3repE0EEENS1_30default_config_static_selectorELNS0_4arch9wavefront6targetE0EEEvT1_.num_named_barrier, 0
	.set _ZN7rocprim17ROCPRIM_400000_NS6detail17trampoline_kernelINS0_14default_configENS1_25partition_config_selectorILNS1_17partition_subalgoE6EN6thrust23THRUST_200600_302600_NS5tupleIttNS7_9null_typeES9_S9_S9_S9_S9_S9_S9_EENS0_10empty_typeEbEEZZNS1_14partition_implILS5_6ELb0ES3_mNS7_12zip_iteratorINS8_INS7_6detail15normal_iteratorINS7_10device_ptrItEEEESJ_S9_S9_S9_S9_S9_S9_S9_S9_EEEEPSB_SM_NS0_5tupleIJNSE_INS8_ISJ_NS7_16discard_iteratorINS7_11use_defaultEEES9_S9_S9_S9_S9_S9_S9_S9_EEEESB_EEENSN_IJSM_SM_EEESB_PlJNSF_9not_fun_tINSF_14equal_to_valueISA_EEEEEEE10hipError_tPvRmT3_T4_T5_T6_T7_T9_mT8_P12ihipStream_tbDpT10_ENKUlT_T0_E_clISt17integral_constantIbLb0EES1I_IbLb1EEEEDaS1E_S1F_EUlS1E_E_NS1_11comp_targetILNS1_3genE5ELNS1_11target_archE942ELNS1_3gpuE9ELNS1_3repE0EEENS1_30default_config_static_selectorELNS0_4arch9wavefront6targetE0EEEvT1_.private_seg_size, 0
	.set _ZN7rocprim17ROCPRIM_400000_NS6detail17trampoline_kernelINS0_14default_configENS1_25partition_config_selectorILNS1_17partition_subalgoE6EN6thrust23THRUST_200600_302600_NS5tupleIttNS7_9null_typeES9_S9_S9_S9_S9_S9_S9_EENS0_10empty_typeEbEEZZNS1_14partition_implILS5_6ELb0ES3_mNS7_12zip_iteratorINS8_INS7_6detail15normal_iteratorINS7_10device_ptrItEEEESJ_S9_S9_S9_S9_S9_S9_S9_S9_EEEEPSB_SM_NS0_5tupleIJNSE_INS8_ISJ_NS7_16discard_iteratorINS7_11use_defaultEEES9_S9_S9_S9_S9_S9_S9_S9_EEEESB_EEENSN_IJSM_SM_EEESB_PlJNSF_9not_fun_tINSF_14equal_to_valueISA_EEEEEEE10hipError_tPvRmT3_T4_T5_T6_T7_T9_mT8_P12ihipStream_tbDpT10_ENKUlT_T0_E_clISt17integral_constantIbLb0EES1I_IbLb1EEEEDaS1E_S1F_EUlS1E_E_NS1_11comp_targetILNS1_3genE5ELNS1_11target_archE942ELNS1_3gpuE9ELNS1_3repE0EEENS1_30default_config_static_selectorELNS0_4arch9wavefront6targetE0EEEvT1_.uses_vcc, 0
	.set _ZN7rocprim17ROCPRIM_400000_NS6detail17trampoline_kernelINS0_14default_configENS1_25partition_config_selectorILNS1_17partition_subalgoE6EN6thrust23THRUST_200600_302600_NS5tupleIttNS7_9null_typeES9_S9_S9_S9_S9_S9_S9_EENS0_10empty_typeEbEEZZNS1_14partition_implILS5_6ELb0ES3_mNS7_12zip_iteratorINS8_INS7_6detail15normal_iteratorINS7_10device_ptrItEEEESJ_S9_S9_S9_S9_S9_S9_S9_S9_EEEEPSB_SM_NS0_5tupleIJNSE_INS8_ISJ_NS7_16discard_iteratorINS7_11use_defaultEEES9_S9_S9_S9_S9_S9_S9_S9_EEEESB_EEENSN_IJSM_SM_EEESB_PlJNSF_9not_fun_tINSF_14equal_to_valueISA_EEEEEEE10hipError_tPvRmT3_T4_T5_T6_T7_T9_mT8_P12ihipStream_tbDpT10_ENKUlT_T0_E_clISt17integral_constantIbLb0EES1I_IbLb1EEEEDaS1E_S1F_EUlS1E_E_NS1_11comp_targetILNS1_3genE5ELNS1_11target_archE942ELNS1_3gpuE9ELNS1_3repE0EEENS1_30default_config_static_selectorELNS0_4arch9wavefront6targetE0EEEvT1_.uses_flat_scratch, 0
	.set _ZN7rocprim17ROCPRIM_400000_NS6detail17trampoline_kernelINS0_14default_configENS1_25partition_config_selectorILNS1_17partition_subalgoE6EN6thrust23THRUST_200600_302600_NS5tupleIttNS7_9null_typeES9_S9_S9_S9_S9_S9_S9_EENS0_10empty_typeEbEEZZNS1_14partition_implILS5_6ELb0ES3_mNS7_12zip_iteratorINS8_INS7_6detail15normal_iteratorINS7_10device_ptrItEEEESJ_S9_S9_S9_S9_S9_S9_S9_S9_EEEEPSB_SM_NS0_5tupleIJNSE_INS8_ISJ_NS7_16discard_iteratorINS7_11use_defaultEEES9_S9_S9_S9_S9_S9_S9_S9_EEEESB_EEENSN_IJSM_SM_EEESB_PlJNSF_9not_fun_tINSF_14equal_to_valueISA_EEEEEEE10hipError_tPvRmT3_T4_T5_T6_T7_T9_mT8_P12ihipStream_tbDpT10_ENKUlT_T0_E_clISt17integral_constantIbLb0EES1I_IbLb1EEEEDaS1E_S1F_EUlS1E_E_NS1_11comp_targetILNS1_3genE5ELNS1_11target_archE942ELNS1_3gpuE9ELNS1_3repE0EEENS1_30default_config_static_selectorELNS0_4arch9wavefront6targetE0EEEvT1_.has_dyn_sized_stack, 0
	.set _ZN7rocprim17ROCPRIM_400000_NS6detail17trampoline_kernelINS0_14default_configENS1_25partition_config_selectorILNS1_17partition_subalgoE6EN6thrust23THRUST_200600_302600_NS5tupleIttNS7_9null_typeES9_S9_S9_S9_S9_S9_S9_EENS0_10empty_typeEbEEZZNS1_14partition_implILS5_6ELb0ES3_mNS7_12zip_iteratorINS8_INS7_6detail15normal_iteratorINS7_10device_ptrItEEEESJ_S9_S9_S9_S9_S9_S9_S9_S9_EEEEPSB_SM_NS0_5tupleIJNSE_INS8_ISJ_NS7_16discard_iteratorINS7_11use_defaultEEES9_S9_S9_S9_S9_S9_S9_S9_EEEESB_EEENSN_IJSM_SM_EEESB_PlJNSF_9not_fun_tINSF_14equal_to_valueISA_EEEEEEE10hipError_tPvRmT3_T4_T5_T6_T7_T9_mT8_P12ihipStream_tbDpT10_ENKUlT_T0_E_clISt17integral_constantIbLb0EES1I_IbLb1EEEEDaS1E_S1F_EUlS1E_E_NS1_11comp_targetILNS1_3genE5ELNS1_11target_archE942ELNS1_3gpuE9ELNS1_3repE0EEENS1_30default_config_static_selectorELNS0_4arch9wavefront6targetE0EEEvT1_.has_recursion, 0
	.set _ZN7rocprim17ROCPRIM_400000_NS6detail17trampoline_kernelINS0_14default_configENS1_25partition_config_selectorILNS1_17partition_subalgoE6EN6thrust23THRUST_200600_302600_NS5tupleIttNS7_9null_typeES9_S9_S9_S9_S9_S9_S9_EENS0_10empty_typeEbEEZZNS1_14partition_implILS5_6ELb0ES3_mNS7_12zip_iteratorINS8_INS7_6detail15normal_iteratorINS7_10device_ptrItEEEESJ_S9_S9_S9_S9_S9_S9_S9_S9_EEEEPSB_SM_NS0_5tupleIJNSE_INS8_ISJ_NS7_16discard_iteratorINS7_11use_defaultEEES9_S9_S9_S9_S9_S9_S9_S9_EEEESB_EEENSN_IJSM_SM_EEESB_PlJNSF_9not_fun_tINSF_14equal_to_valueISA_EEEEEEE10hipError_tPvRmT3_T4_T5_T6_T7_T9_mT8_P12ihipStream_tbDpT10_ENKUlT_T0_E_clISt17integral_constantIbLb0EES1I_IbLb1EEEEDaS1E_S1F_EUlS1E_E_NS1_11comp_targetILNS1_3genE5ELNS1_11target_archE942ELNS1_3gpuE9ELNS1_3repE0EEENS1_30default_config_static_selectorELNS0_4arch9wavefront6targetE0EEEvT1_.has_indirect_call, 0
	.section	.AMDGPU.csdata,"",@progbits
; Kernel info:
; codeLenInByte = 0
; TotalNumSgprs: 0
; NumVgprs: 0
; ScratchSize: 0
; MemoryBound: 0
; FloatMode: 240
; IeeeMode: 1
; LDSByteSize: 0 bytes/workgroup (compile time only)
; SGPRBlocks: 0
; VGPRBlocks: 0
; NumSGPRsForWavesPerEU: 1
; NumVGPRsForWavesPerEU: 1
; Occupancy: 16
; WaveLimiterHint : 0
; COMPUTE_PGM_RSRC2:SCRATCH_EN: 0
; COMPUTE_PGM_RSRC2:USER_SGPR: 2
; COMPUTE_PGM_RSRC2:TRAP_HANDLER: 0
; COMPUTE_PGM_RSRC2:TGID_X_EN: 1
; COMPUTE_PGM_RSRC2:TGID_Y_EN: 0
; COMPUTE_PGM_RSRC2:TGID_Z_EN: 0
; COMPUTE_PGM_RSRC2:TIDIG_COMP_CNT: 0
	.section	.text._ZN7rocprim17ROCPRIM_400000_NS6detail17trampoline_kernelINS0_14default_configENS1_25partition_config_selectorILNS1_17partition_subalgoE6EN6thrust23THRUST_200600_302600_NS5tupleIttNS7_9null_typeES9_S9_S9_S9_S9_S9_S9_EENS0_10empty_typeEbEEZZNS1_14partition_implILS5_6ELb0ES3_mNS7_12zip_iteratorINS8_INS7_6detail15normal_iteratorINS7_10device_ptrItEEEESJ_S9_S9_S9_S9_S9_S9_S9_S9_EEEEPSB_SM_NS0_5tupleIJNSE_INS8_ISJ_NS7_16discard_iteratorINS7_11use_defaultEEES9_S9_S9_S9_S9_S9_S9_S9_EEEESB_EEENSN_IJSM_SM_EEESB_PlJNSF_9not_fun_tINSF_14equal_to_valueISA_EEEEEEE10hipError_tPvRmT3_T4_T5_T6_T7_T9_mT8_P12ihipStream_tbDpT10_ENKUlT_T0_E_clISt17integral_constantIbLb0EES1I_IbLb1EEEEDaS1E_S1F_EUlS1E_E_NS1_11comp_targetILNS1_3genE4ELNS1_11target_archE910ELNS1_3gpuE8ELNS1_3repE0EEENS1_30default_config_static_selectorELNS0_4arch9wavefront6targetE0EEEvT1_,"axG",@progbits,_ZN7rocprim17ROCPRIM_400000_NS6detail17trampoline_kernelINS0_14default_configENS1_25partition_config_selectorILNS1_17partition_subalgoE6EN6thrust23THRUST_200600_302600_NS5tupleIttNS7_9null_typeES9_S9_S9_S9_S9_S9_S9_EENS0_10empty_typeEbEEZZNS1_14partition_implILS5_6ELb0ES3_mNS7_12zip_iteratorINS8_INS7_6detail15normal_iteratorINS7_10device_ptrItEEEESJ_S9_S9_S9_S9_S9_S9_S9_S9_EEEEPSB_SM_NS0_5tupleIJNSE_INS8_ISJ_NS7_16discard_iteratorINS7_11use_defaultEEES9_S9_S9_S9_S9_S9_S9_S9_EEEESB_EEENSN_IJSM_SM_EEESB_PlJNSF_9not_fun_tINSF_14equal_to_valueISA_EEEEEEE10hipError_tPvRmT3_T4_T5_T6_T7_T9_mT8_P12ihipStream_tbDpT10_ENKUlT_T0_E_clISt17integral_constantIbLb0EES1I_IbLb1EEEEDaS1E_S1F_EUlS1E_E_NS1_11comp_targetILNS1_3genE4ELNS1_11target_archE910ELNS1_3gpuE8ELNS1_3repE0EEENS1_30default_config_static_selectorELNS0_4arch9wavefront6targetE0EEEvT1_,comdat
	.protected	_ZN7rocprim17ROCPRIM_400000_NS6detail17trampoline_kernelINS0_14default_configENS1_25partition_config_selectorILNS1_17partition_subalgoE6EN6thrust23THRUST_200600_302600_NS5tupleIttNS7_9null_typeES9_S9_S9_S9_S9_S9_S9_EENS0_10empty_typeEbEEZZNS1_14partition_implILS5_6ELb0ES3_mNS7_12zip_iteratorINS8_INS7_6detail15normal_iteratorINS7_10device_ptrItEEEESJ_S9_S9_S9_S9_S9_S9_S9_S9_EEEEPSB_SM_NS0_5tupleIJNSE_INS8_ISJ_NS7_16discard_iteratorINS7_11use_defaultEEES9_S9_S9_S9_S9_S9_S9_S9_EEEESB_EEENSN_IJSM_SM_EEESB_PlJNSF_9not_fun_tINSF_14equal_to_valueISA_EEEEEEE10hipError_tPvRmT3_T4_T5_T6_T7_T9_mT8_P12ihipStream_tbDpT10_ENKUlT_T0_E_clISt17integral_constantIbLb0EES1I_IbLb1EEEEDaS1E_S1F_EUlS1E_E_NS1_11comp_targetILNS1_3genE4ELNS1_11target_archE910ELNS1_3gpuE8ELNS1_3repE0EEENS1_30default_config_static_selectorELNS0_4arch9wavefront6targetE0EEEvT1_ ; -- Begin function _ZN7rocprim17ROCPRIM_400000_NS6detail17trampoline_kernelINS0_14default_configENS1_25partition_config_selectorILNS1_17partition_subalgoE6EN6thrust23THRUST_200600_302600_NS5tupleIttNS7_9null_typeES9_S9_S9_S9_S9_S9_S9_EENS0_10empty_typeEbEEZZNS1_14partition_implILS5_6ELb0ES3_mNS7_12zip_iteratorINS8_INS7_6detail15normal_iteratorINS7_10device_ptrItEEEESJ_S9_S9_S9_S9_S9_S9_S9_S9_EEEEPSB_SM_NS0_5tupleIJNSE_INS8_ISJ_NS7_16discard_iteratorINS7_11use_defaultEEES9_S9_S9_S9_S9_S9_S9_S9_EEEESB_EEENSN_IJSM_SM_EEESB_PlJNSF_9not_fun_tINSF_14equal_to_valueISA_EEEEEEE10hipError_tPvRmT3_T4_T5_T6_T7_T9_mT8_P12ihipStream_tbDpT10_ENKUlT_T0_E_clISt17integral_constantIbLb0EES1I_IbLb1EEEEDaS1E_S1F_EUlS1E_E_NS1_11comp_targetILNS1_3genE4ELNS1_11target_archE910ELNS1_3gpuE8ELNS1_3repE0EEENS1_30default_config_static_selectorELNS0_4arch9wavefront6targetE0EEEvT1_
	.globl	_ZN7rocprim17ROCPRIM_400000_NS6detail17trampoline_kernelINS0_14default_configENS1_25partition_config_selectorILNS1_17partition_subalgoE6EN6thrust23THRUST_200600_302600_NS5tupleIttNS7_9null_typeES9_S9_S9_S9_S9_S9_S9_EENS0_10empty_typeEbEEZZNS1_14partition_implILS5_6ELb0ES3_mNS7_12zip_iteratorINS8_INS7_6detail15normal_iteratorINS7_10device_ptrItEEEESJ_S9_S9_S9_S9_S9_S9_S9_S9_EEEEPSB_SM_NS0_5tupleIJNSE_INS8_ISJ_NS7_16discard_iteratorINS7_11use_defaultEEES9_S9_S9_S9_S9_S9_S9_S9_EEEESB_EEENSN_IJSM_SM_EEESB_PlJNSF_9not_fun_tINSF_14equal_to_valueISA_EEEEEEE10hipError_tPvRmT3_T4_T5_T6_T7_T9_mT8_P12ihipStream_tbDpT10_ENKUlT_T0_E_clISt17integral_constantIbLb0EES1I_IbLb1EEEEDaS1E_S1F_EUlS1E_E_NS1_11comp_targetILNS1_3genE4ELNS1_11target_archE910ELNS1_3gpuE8ELNS1_3repE0EEENS1_30default_config_static_selectorELNS0_4arch9wavefront6targetE0EEEvT1_
	.p2align	8
	.type	_ZN7rocprim17ROCPRIM_400000_NS6detail17trampoline_kernelINS0_14default_configENS1_25partition_config_selectorILNS1_17partition_subalgoE6EN6thrust23THRUST_200600_302600_NS5tupleIttNS7_9null_typeES9_S9_S9_S9_S9_S9_S9_EENS0_10empty_typeEbEEZZNS1_14partition_implILS5_6ELb0ES3_mNS7_12zip_iteratorINS8_INS7_6detail15normal_iteratorINS7_10device_ptrItEEEESJ_S9_S9_S9_S9_S9_S9_S9_S9_EEEEPSB_SM_NS0_5tupleIJNSE_INS8_ISJ_NS7_16discard_iteratorINS7_11use_defaultEEES9_S9_S9_S9_S9_S9_S9_S9_EEEESB_EEENSN_IJSM_SM_EEESB_PlJNSF_9not_fun_tINSF_14equal_to_valueISA_EEEEEEE10hipError_tPvRmT3_T4_T5_T6_T7_T9_mT8_P12ihipStream_tbDpT10_ENKUlT_T0_E_clISt17integral_constantIbLb0EES1I_IbLb1EEEEDaS1E_S1F_EUlS1E_E_NS1_11comp_targetILNS1_3genE4ELNS1_11target_archE910ELNS1_3gpuE8ELNS1_3repE0EEENS1_30default_config_static_selectorELNS0_4arch9wavefront6targetE0EEEvT1_,@function
_ZN7rocprim17ROCPRIM_400000_NS6detail17trampoline_kernelINS0_14default_configENS1_25partition_config_selectorILNS1_17partition_subalgoE6EN6thrust23THRUST_200600_302600_NS5tupleIttNS7_9null_typeES9_S9_S9_S9_S9_S9_S9_EENS0_10empty_typeEbEEZZNS1_14partition_implILS5_6ELb0ES3_mNS7_12zip_iteratorINS8_INS7_6detail15normal_iteratorINS7_10device_ptrItEEEESJ_S9_S9_S9_S9_S9_S9_S9_S9_EEEEPSB_SM_NS0_5tupleIJNSE_INS8_ISJ_NS7_16discard_iteratorINS7_11use_defaultEEES9_S9_S9_S9_S9_S9_S9_S9_EEEESB_EEENSN_IJSM_SM_EEESB_PlJNSF_9not_fun_tINSF_14equal_to_valueISA_EEEEEEE10hipError_tPvRmT3_T4_T5_T6_T7_T9_mT8_P12ihipStream_tbDpT10_ENKUlT_T0_E_clISt17integral_constantIbLb0EES1I_IbLb1EEEEDaS1E_S1F_EUlS1E_E_NS1_11comp_targetILNS1_3genE4ELNS1_11target_archE910ELNS1_3gpuE8ELNS1_3repE0EEENS1_30default_config_static_selectorELNS0_4arch9wavefront6targetE0EEEvT1_: ; @_ZN7rocprim17ROCPRIM_400000_NS6detail17trampoline_kernelINS0_14default_configENS1_25partition_config_selectorILNS1_17partition_subalgoE6EN6thrust23THRUST_200600_302600_NS5tupleIttNS7_9null_typeES9_S9_S9_S9_S9_S9_S9_EENS0_10empty_typeEbEEZZNS1_14partition_implILS5_6ELb0ES3_mNS7_12zip_iteratorINS8_INS7_6detail15normal_iteratorINS7_10device_ptrItEEEESJ_S9_S9_S9_S9_S9_S9_S9_S9_EEEEPSB_SM_NS0_5tupleIJNSE_INS8_ISJ_NS7_16discard_iteratorINS7_11use_defaultEEES9_S9_S9_S9_S9_S9_S9_S9_EEEESB_EEENSN_IJSM_SM_EEESB_PlJNSF_9not_fun_tINSF_14equal_to_valueISA_EEEEEEE10hipError_tPvRmT3_T4_T5_T6_T7_T9_mT8_P12ihipStream_tbDpT10_ENKUlT_T0_E_clISt17integral_constantIbLb0EES1I_IbLb1EEEEDaS1E_S1F_EUlS1E_E_NS1_11comp_targetILNS1_3genE4ELNS1_11target_archE910ELNS1_3gpuE8ELNS1_3repE0EEENS1_30default_config_static_selectorELNS0_4arch9wavefront6targetE0EEEvT1_
; %bb.0:
	.section	.rodata,"a",@progbits
	.p2align	6, 0x0
	.amdhsa_kernel _ZN7rocprim17ROCPRIM_400000_NS6detail17trampoline_kernelINS0_14default_configENS1_25partition_config_selectorILNS1_17partition_subalgoE6EN6thrust23THRUST_200600_302600_NS5tupleIttNS7_9null_typeES9_S9_S9_S9_S9_S9_S9_EENS0_10empty_typeEbEEZZNS1_14partition_implILS5_6ELb0ES3_mNS7_12zip_iteratorINS8_INS7_6detail15normal_iteratorINS7_10device_ptrItEEEESJ_S9_S9_S9_S9_S9_S9_S9_S9_EEEEPSB_SM_NS0_5tupleIJNSE_INS8_ISJ_NS7_16discard_iteratorINS7_11use_defaultEEES9_S9_S9_S9_S9_S9_S9_S9_EEEESB_EEENSN_IJSM_SM_EEESB_PlJNSF_9not_fun_tINSF_14equal_to_valueISA_EEEEEEE10hipError_tPvRmT3_T4_T5_T6_T7_T9_mT8_P12ihipStream_tbDpT10_ENKUlT_T0_E_clISt17integral_constantIbLb0EES1I_IbLb1EEEEDaS1E_S1F_EUlS1E_E_NS1_11comp_targetILNS1_3genE4ELNS1_11target_archE910ELNS1_3gpuE8ELNS1_3repE0EEENS1_30default_config_static_selectorELNS0_4arch9wavefront6targetE0EEEvT1_
		.amdhsa_group_segment_fixed_size 0
		.amdhsa_private_segment_fixed_size 0
		.amdhsa_kernarg_size 152
		.amdhsa_user_sgpr_count 2
		.amdhsa_user_sgpr_dispatch_ptr 0
		.amdhsa_user_sgpr_queue_ptr 0
		.amdhsa_user_sgpr_kernarg_segment_ptr 1
		.amdhsa_user_sgpr_dispatch_id 0
		.amdhsa_user_sgpr_private_segment_size 0
		.amdhsa_wavefront_size32 1
		.amdhsa_uses_dynamic_stack 0
		.amdhsa_enable_private_segment 0
		.amdhsa_system_sgpr_workgroup_id_x 1
		.amdhsa_system_sgpr_workgroup_id_y 0
		.amdhsa_system_sgpr_workgroup_id_z 0
		.amdhsa_system_sgpr_workgroup_info 0
		.amdhsa_system_vgpr_workitem_id 0
		.amdhsa_next_free_vgpr 1
		.amdhsa_next_free_sgpr 1
		.amdhsa_reserve_vcc 0
		.amdhsa_float_round_mode_32 0
		.amdhsa_float_round_mode_16_64 0
		.amdhsa_float_denorm_mode_32 3
		.amdhsa_float_denorm_mode_16_64 3
		.amdhsa_fp16_overflow 0
		.amdhsa_workgroup_processor_mode 1
		.amdhsa_memory_ordered 1
		.amdhsa_forward_progress 1
		.amdhsa_inst_pref_size 0
		.amdhsa_round_robin_scheduling 0
		.amdhsa_exception_fp_ieee_invalid_op 0
		.amdhsa_exception_fp_denorm_src 0
		.amdhsa_exception_fp_ieee_div_zero 0
		.amdhsa_exception_fp_ieee_overflow 0
		.amdhsa_exception_fp_ieee_underflow 0
		.amdhsa_exception_fp_ieee_inexact 0
		.amdhsa_exception_int_div_zero 0
	.end_amdhsa_kernel
	.section	.text._ZN7rocprim17ROCPRIM_400000_NS6detail17trampoline_kernelINS0_14default_configENS1_25partition_config_selectorILNS1_17partition_subalgoE6EN6thrust23THRUST_200600_302600_NS5tupleIttNS7_9null_typeES9_S9_S9_S9_S9_S9_S9_EENS0_10empty_typeEbEEZZNS1_14partition_implILS5_6ELb0ES3_mNS7_12zip_iteratorINS8_INS7_6detail15normal_iteratorINS7_10device_ptrItEEEESJ_S9_S9_S9_S9_S9_S9_S9_S9_EEEEPSB_SM_NS0_5tupleIJNSE_INS8_ISJ_NS7_16discard_iteratorINS7_11use_defaultEEES9_S9_S9_S9_S9_S9_S9_S9_EEEESB_EEENSN_IJSM_SM_EEESB_PlJNSF_9not_fun_tINSF_14equal_to_valueISA_EEEEEEE10hipError_tPvRmT3_T4_T5_T6_T7_T9_mT8_P12ihipStream_tbDpT10_ENKUlT_T0_E_clISt17integral_constantIbLb0EES1I_IbLb1EEEEDaS1E_S1F_EUlS1E_E_NS1_11comp_targetILNS1_3genE4ELNS1_11target_archE910ELNS1_3gpuE8ELNS1_3repE0EEENS1_30default_config_static_selectorELNS0_4arch9wavefront6targetE0EEEvT1_,"axG",@progbits,_ZN7rocprim17ROCPRIM_400000_NS6detail17trampoline_kernelINS0_14default_configENS1_25partition_config_selectorILNS1_17partition_subalgoE6EN6thrust23THRUST_200600_302600_NS5tupleIttNS7_9null_typeES9_S9_S9_S9_S9_S9_S9_EENS0_10empty_typeEbEEZZNS1_14partition_implILS5_6ELb0ES3_mNS7_12zip_iteratorINS8_INS7_6detail15normal_iteratorINS7_10device_ptrItEEEESJ_S9_S9_S9_S9_S9_S9_S9_S9_EEEEPSB_SM_NS0_5tupleIJNSE_INS8_ISJ_NS7_16discard_iteratorINS7_11use_defaultEEES9_S9_S9_S9_S9_S9_S9_S9_EEEESB_EEENSN_IJSM_SM_EEESB_PlJNSF_9not_fun_tINSF_14equal_to_valueISA_EEEEEEE10hipError_tPvRmT3_T4_T5_T6_T7_T9_mT8_P12ihipStream_tbDpT10_ENKUlT_T0_E_clISt17integral_constantIbLb0EES1I_IbLb1EEEEDaS1E_S1F_EUlS1E_E_NS1_11comp_targetILNS1_3genE4ELNS1_11target_archE910ELNS1_3gpuE8ELNS1_3repE0EEENS1_30default_config_static_selectorELNS0_4arch9wavefront6targetE0EEEvT1_,comdat
.Lfunc_end1975:
	.size	_ZN7rocprim17ROCPRIM_400000_NS6detail17trampoline_kernelINS0_14default_configENS1_25partition_config_selectorILNS1_17partition_subalgoE6EN6thrust23THRUST_200600_302600_NS5tupleIttNS7_9null_typeES9_S9_S9_S9_S9_S9_S9_EENS0_10empty_typeEbEEZZNS1_14partition_implILS5_6ELb0ES3_mNS7_12zip_iteratorINS8_INS7_6detail15normal_iteratorINS7_10device_ptrItEEEESJ_S9_S9_S9_S9_S9_S9_S9_S9_EEEEPSB_SM_NS0_5tupleIJNSE_INS8_ISJ_NS7_16discard_iteratorINS7_11use_defaultEEES9_S9_S9_S9_S9_S9_S9_S9_EEEESB_EEENSN_IJSM_SM_EEESB_PlJNSF_9not_fun_tINSF_14equal_to_valueISA_EEEEEEE10hipError_tPvRmT3_T4_T5_T6_T7_T9_mT8_P12ihipStream_tbDpT10_ENKUlT_T0_E_clISt17integral_constantIbLb0EES1I_IbLb1EEEEDaS1E_S1F_EUlS1E_E_NS1_11comp_targetILNS1_3genE4ELNS1_11target_archE910ELNS1_3gpuE8ELNS1_3repE0EEENS1_30default_config_static_selectorELNS0_4arch9wavefront6targetE0EEEvT1_, .Lfunc_end1975-_ZN7rocprim17ROCPRIM_400000_NS6detail17trampoline_kernelINS0_14default_configENS1_25partition_config_selectorILNS1_17partition_subalgoE6EN6thrust23THRUST_200600_302600_NS5tupleIttNS7_9null_typeES9_S9_S9_S9_S9_S9_S9_EENS0_10empty_typeEbEEZZNS1_14partition_implILS5_6ELb0ES3_mNS7_12zip_iteratorINS8_INS7_6detail15normal_iteratorINS7_10device_ptrItEEEESJ_S9_S9_S9_S9_S9_S9_S9_S9_EEEEPSB_SM_NS0_5tupleIJNSE_INS8_ISJ_NS7_16discard_iteratorINS7_11use_defaultEEES9_S9_S9_S9_S9_S9_S9_S9_EEEESB_EEENSN_IJSM_SM_EEESB_PlJNSF_9not_fun_tINSF_14equal_to_valueISA_EEEEEEE10hipError_tPvRmT3_T4_T5_T6_T7_T9_mT8_P12ihipStream_tbDpT10_ENKUlT_T0_E_clISt17integral_constantIbLb0EES1I_IbLb1EEEEDaS1E_S1F_EUlS1E_E_NS1_11comp_targetILNS1_3genE4ELNS1_11target_archE910ELNS1_3gpuE8ELNS1_3repE0EEENS1_30default_config_static_selectorELNS0_4arch9wavefront6targetE0EEEvT1_
                                        ; -- End function
	.set _ZN7rocprim17ROCPRIM_400000_NS6detail17trampoline_kernelINS0_14default_configENS1_25partition_config_selectorILNS1_17partition_subalgoE6EN6thrust23THRUST_200600_302600_NS5tupleIttNS7_9null_typeES9_S9_S9_S9_S9_S9_S9_EENS0_10empty_typeEbEEZZNS1_14partition_implILS5_6ELb0ES3_mNS7_12zip_iteratorINS8_INS7_6detail15normal_iteratorINS7_10device_ptrItEEEESJ_S9_S9_S9_S9_S9_S9_S9_S9_EEEEPSB_SM_NS0_5tupleIJNSE_INS8_ISJ_NS7_16discard_iteratorINS7_11use_defaultEEES9_S9_S9_S9_S9_S9_S9_S9_EEEESB_EEENSN_IJSM_SM_EEESB_PlJNSF_9not_fun_tINSF_14equal_to_valueISA_EEEEEEE10hipError_tPvRmT3_T4_T5_T6_T7_T9_mT8_P12ihipStream_tbDpT10_ENKUlT_T0_E_clISt17integral_constantIbLb0EES1I_IbLb1EEEEDaS1E_S1F_EUlS1E_E_NS1_11comp_targetILNS1_3genE4ELNS1_11target_archE910ELNS1_3gpuE8ELNS1_3repE0EEENS1_30default_config_static_selectorELNS0_4arch9wavefront6targetE0EEEvT1_.num_vgpr, 0
	.set _ZN7rocprim17ROCPRIM_400000_NS6detail17trampoline_kernelINS0_14default_configENS1_25partition_config_selectorILNS1_17partition_subalgoE6EN6thrust23THRUST_200600_302600_NS5tupleIttNS7_9null_typeES9_S9_S9_S9_S9_S9_S9_EENS0_10empty_typeEbEEZZNS1_14partition_implILS5_6ELb0ES3_mNS7_12zip_iteratorINS8_INS7_6detail15normal_iteratorINS7_10device_ptrItEEEESJ_S9_S9_S9_S9_S9_S9_S9_S9_EEEEPSB_SM_NS0_5tupleIJNSE_INS8_ISJ_NS7_16discard_iteratorINS7_11use_defaultEEES9_S9_S9_S9_S9_S9_S9_S9_EEEESB_EEENSN_IJSM_SM_EEESB_PlJNSF_9not_fun_tINSF_14equal_to_valueISA_EEEEEEE10hipError_tPvRmT3_T4_T5_T6_T7_T9_mT8_P12ihipStream_tbDpT10_ENKUlT_T0_E_clISt17integral_constantIbLb0EES1I_IbLb1EEEEDaS1E_S1F_EUlS1E_E_NS1_11comp_targetILNS1_3genE4ELNS1_11target_archE910ELNS1_3gpuE8ELNS1_3repE0EEENS1_30default_config_static_selectorELNS0_4arch9wavefront6targetE0EEEvT1_.num_agpr, 0
	.set _ZN7rocprim17ROCPRIM_400000_NS6detail17trampoline_kernelINS0_14default_configENS1_25partition_config_selectorILNS1_17partition_subalgoE6EN6thrust23THRUST_200600_302600_NS5tupleIttNS7_9null_typeES9_S9_S9_S9_S9_S9_S9_EENS0_10empty_typeEbEEZZNS1_14partition_implILS5_6ELb0ES3_mNS7_12zip_iteratorINS8_INS7_6detail15normal_iteratorINS7_10device_ptrItEEEESJ_S9_S9_S9_S9_S9_S9_S9_S9_EEEEPSB_SM_NS0_5tupleIJNSE_INS8_ISJ_NS7_16discard_iteratorINS7_11use_defaultEEES9_S9_S9_S9_S9_S9_S9_S9_EEEESB_EEENSN_IJSM_SM_EEESB_PlJNSF_9not_fun_tINSF_14equal_to_valueISA_EEEEEEE10hipError_tPvRmT3_T4_T5_T6_T7_T9_mT8_P12ihipStream_tbDpT10_ENKUlT_T0_E_clISt17integral_constantIbLb0EES1I_IbLb1EEEEDaS1E_S1F_EUlS1E_E_NS1_11comp_targetILNS1_3genE4ELNS1_11target_archE910ELNS1_3gpuE8ELNS1_3repE0EEENS1_30default_config_static_selectorELNS0_4arch9wavefront6targetE0EEEvT1_.numbered_sgpr, 0
	.set _ZN7rocprim17ROCPRIM_400000_NS6detail17trampoline_kernelINS0_14default_configENS1_25partition_config_selectorILNS1_17partition_subalgoE6EN6thrust23THRUST_200600_302600_NS5tupleIttNS7_9null_typeES9_S9_S9_S9_S9_S9_S9_EENS0_10empty_typeEbEEZZNS1_14partition_implILS5_6ELb0ES3_mNS7_12zip_iteratorINS8_INS7_6detail15normal_iteratorINS7_10device_ptrItEEEESJ_S9_S9_S9_S9_S9_S9_S9_S9_EEEEPSB_SM_NS0_5tupleIJNSE_INS8_ISJ_NS7_16discard_iteratorINS7_11use_defaultEEES9_S9_S9_S9_S9_S9_S9_S9_EEEESB_EEENSN_IJSM_SM_EEESB_PlJNSF_9not_fun_tINSF_14equal_to_valueISA_EEEEEEE10hipError_tPvRmT3_T4_T5_T6_T7_T9_mT8_P12ihipStream_tbDpT10_ENKUlT_T0_E_clISt17integral_constantIbLb0EES1I_IbLb1EEEEDaS1E_S1F_EUlS1E_E_NS1_11comp_targetILNS1_3genE4ELNS1_11target_archE910ELNS1_3gpuE8ELNS1_3repE0EEENS1_30default_config_static_selectorELNS0_4arch9wavefront6targetE0EEEvT1_.num_named_barrier, 0
	.set _ZN7rocprim17ROCPRIM_400000_NS6detail17trampoline_kernelINS0_14default_configENS1_25partition_config_selectorILNS1_17partition_subalgoE6EN6thrust23THRUST_200600_302600_NS5tupleIttNS7_9null_typeES9_S9_S9_S9_S9_S9_S9_EENS0_10empty_typeEbEEZZNS1_14partition_implILS5_6ELb0ES3_mNS7_12zip_iteratorINS8_INS7_6detail15normal_iteratorINS7_10device_ptrItEEEESJ_S9_S9_S9_S9_S9_S9_S9_S9_EEEEPSB_SM_NS0_5tupleIJNSE_INS8_ISJ_NS7_16discard_iteratorINS7_11use_defaultEEES9_S9_S9_S9_S9_S9_S9_S9_EEEESB_EEENSN_IJSM_SM_EEESB_PlJNSF_9not_fun_tINSF_14equal_to_valueISA_EEEEEEE10hipError_tPvRmT3_T4_T5_T6_T7_T9_mT8_P12ihipStream_tbDpT10_ENKUlT_T0_E_clISt17integral_constantIbLb0EES1I_IbLb1EEEEDaS1E_S1F_EUlS1E_E_NS1_11comp_targetILNS1_3genE4ELNS1_11target_archE910ELNS1_3gpuE8ELNS1_3repE0EEENS1_30default_config_static_selectorELNS0_4arch9wavefront6targetE0EEEvT1_.private_seg_size, 0
	.set _ZN7rocprim17ROCPRIM_400000_NS6detail17trampoline_kernelINS0_14default_configENS1_25partition_config_selectorILNS1_17partition_subalgoE6EN6thrust23THRUST_200600_302600_NS5tupleIttNS7_9null_typeES9_S9_S9_S9_S9_S9_S9_EENS0_10empty_typeEbEEZZNS1_14partition_implILS5_6ELb0ES3_mNS7_12zip_iteratorINS8_INS7_6detail15normal_iteratorINS7_10device_ptrItEEEESJ_S9_S9_S9_S9_S9_S9_S9_S9_EEEEPSB_SM_NS0_5tupleIJNSE_INS8_ISJ_NS7_16discard_iteratorINS7_11use_defaultEEES9_S9_S9_S9_S9_S9_S9_S9_EEEESB_EEENSN_IJSM_SM_EEESB_PlJNSF_9not_fun_tINSF_14equal_to_valueISA_EEEEEEE10hipError_tPvRmT3_T4_T5_T6_T7_T9_mT8_P12ihipStream_tbDpT10_ENKUlT_T0_E_clISt17integral_constantIbLb0EES1I_IbLb1EEEEDaS1E_S1F_EUlS1E_E_NS1_11comp_targetILNS1_3genE4ELNS1_11target_archE910ELNS1_3gpuE8ELNS1_3repE0EEENS1_30default_config_static_selectorELNS0_4arch9wavefront6targetE0EEEvT1_.uses_vcc, 0
	.set _ZN7rocprim17ROCPRIM_400000_NS6detail17trampoline_kernelINS0_14default_configENS1_25partition_config_selectorILNS1_17partition_subalgoE6EN6thrust23THRUST_200600_302600_NS5tupleIttNS7_9null_typeES9_S9_S9_S9_S9_S9_S9_EENS0_10empty_typeEbEEZZNS1_14partition_implILS5_6ELb0ES3_mNS7_12zip_iteratorINS8_INS7_6detail15normal_iteratorINS7_10device_ptrItEEEESJ_S9_S9_S9_S9_S9_S9_S9_S9_EEEEPSB_SM_NS0_5tupleIJNSE_INS8_ISJ_NS7_16discard_iteratorINS7_11use_defaultEEES9_S9_S9_S9_S9_S9_S9_S9_EEEESB_EEENSN_IJSM_SM_EEESB_PlJNSF_9not_fun_tINSF_14equal_to_valueISA_EEEEEEE10hipError_tPvRmT3_T4_T5_T6_T7_T9_mT8_P12ihipStream_tbDpT10_ENKUlT_T0_E_clISt17integral_constantIbLb0EES1I_IbLb1EEEEDaS1E_S1F_EUlS1E_E_NS1_11comp_targetILNS1_3genE4ELNS1_11target_archE910ELNS1_3gpuE8ELNS1_3repE0EEENS1_30default_config_static_selectorELNS0_4arch9wavefront6targetE0EEEvT1_.uses_flat_scratch, 0
	.set _ZN7rocprim17ROCPRIM_400000_NS6detail17trampoline_kernelINS0_14default_configENS1_25partition_config_selectorILNS1_17partition_subalgoE6EN6thrust23THRUST_200600_302600_NS5tupleIttNS7_9null_typeES9_S9_S9_S9_S9_S9_S9_EENS0_10empty_typeEbEEZZNS1_14partition_implILS5_6ELb0ES3_mNS7_12zip_iteratorINS8_INS7_6detail15normal_iteratorINS7_10device_ptrItEEEESJ_S9_S9_S9_S9_S9_S9_S9_S9_EEEEPSB_SM_NS0_5tupleIJNSE_INS8_ISJ_NS7_16discard_iteratorINS7_11use_defaultEEES9_S9_S9_S9_S9_S9_S9_S9_EEEESB_EEENSN_IJSM_SM_EEESB_PlJNSF_9not_fun_tINSF_14equal_to_valueISA_EEEEEEE10hipError_tPvRmT3_T4_T5_T6_T7_T9_mT8_P12ihipStream_tbDpT10_ENKUlT_T0_E_clISt17integral_constantIbLb0EES1I_IbLb1EEEEDaS1E_S1F_EUlS1E_E_NS1_11comp_targetILNS1_3genE4ELNS1_11target_archE910ELNS1_3gpuE8ELNS1_3repE0EEENS1_30default_config_static_selectorELNS0_4arch9wavefront6targetE0EEEvT1_.has_dyn_sized_stack, 0
	.set _ZN7rocprim17ROCPRIM_400000_NS6detail17trampoline_kernelINS0_14default_configENS1_25partition_config_selectorILNS1_17partition_subalgoE6EN6thrust23THRUST_200600_302600_NS5tupleIttNS7_9null_typeES9_S9_S9_S9_S9_S9_S9_EENS0_10empty_typeEbEEZZNS1_14partition_implILS5_6ELb0ES3_mNS7_12zip_iteratorINS8_INS7_6detail15normal_iteratorINS7_10device_ptrItEEEESJ_S9_S9_S9_S9_S9_S9_S9_S9_EEEEPSB_SM_NS0_5tupleIJNSE_INS8_ISJ_NS7_16discard_iteratorINS7_11use_defaultEEES9_S9_S9_S9_S9_S9_S9_S9_EEEESB_EEENSN_IJSM_SM_EEESB_PlJNSF_9not_fun_tINSF_14equal_to_valueISA_EEEEEEE10hipError_tPvRmT3_T4_T5_T6_T7_T9_mT8_P12ihipStream_tbDpT10_ENKUlT_T0_E_clISt17integral_constantIbLb0EES1I_IbLb1EEEEDaS1E_S1F_EUlS1E_E_NS1_11comp_targetILNS1_3genE4ELNS1_11target_archE910ELNS1_3gpuE8ELNS1_3repE0EEENS1_30default_config_static_selectorELNS0_4arch9wavefront6targetE0EEEvT1_.has_recursion, 0
	.set _ZN7rocprim17ROCPRIM_400000_NS6detail17trampoline_kernelINS0_14default_configENS1_25partition_config_selectorILNS1_17partition_subalgoE6EN6thrust23THRUST_200600_302600_NS5tupleIttNS7_9null_typeES9_S9_S9_S9_S9_S9_S9_EENS0_10empty_typeEbEEZZNS1_14partition_implILS5_6ELb0ES3_mNS7_12zip_iteratorINS8_INS7_6detail15normal_iteratorINS7_10device_ptrItEEEESJ_S9_S9_S9_S9_S9_S9_S9_S9_EEEEPSB_SM_NS0_5tupleIJNSE_INS8_ISJ_NS7_16discard_iteratorINS7_11use_defaultEEES9_S9_S9_S9_S9_S9_S9_S9_EEEESB_EEENSN_IJSM_SM_EEESB_PlJNSF_9not_fun_tINSF_14equal_to_valueISA_EEEEEEE10hipError_tPvRmT3_T4_T5_T6_T7_T9_mT8_P12ihipStream_tbDpT10_ENKUlT_T0_E_clISt17integral_constantIbLb0EES1I_IbLb1EEEEDaS1E_S1F_EUlS1E_E_NS1_11comp_targetILNS1_3genE4ELNS1_11target_archE910ELNS1_3gpuE8ELNS1_3repE0EEENS1_30default_config_static_selectorELNS0_4arch9wavefront6targetE0EEEvT1_.has_indirect_call, 0
	.section	.AMDGPU.csdata,"",@progbits
; Kernel info:
; codeLenInByte = 0
; TotalNumSgprs: 0
; NumVgprs: 0
; ScratchSize: 0
; MemoryBound: 0
; FloatMode: 240
; IeeeMode: 1
; LDSByteSize: 0 bytes/workgroup (compile time only)
; SGPRBlocks: 0
; VGPRBlocks: 0
; NumSGPRsForWavesPerEU: 1
; NumVGPRsForWavesPerEU: 1
; Occupancy: 16
; WaveLimiterHint : 0
; COMPUTE_PGM_RSRC2:SCRATCH_EN: 0
; COMPUTE_PGM_RSRC2:USER_SGPR: 2
; COMPUTE_PGM_RSRC2:TRAP_HANDLER: 0
; COMPUTE_PGM_RSRC2:TGID_X_EN: 1
; COMPUTE_PGM_RSRC2:TGID_Y_EN: 0
; COMPUTE_PGM_RSRC2:TGID_Z_EN: 0
; COMPUTE_PGM_RSRC2:TIDIG_COMP_CNT: 0
	.section	.text._ZN7rocprim17ROCPRIM_400000_NS6detail17trampoline_kernelINS0_14default_configENS1_25partition_config_selectorILNS1_17partition_subalgoE6EN6thrust23THRUST_200600_302600_NS5tupleIttNS7_9null_typeES9_S9_S9_S9_S9_S9_S9_EENS0_10empty_typeEbEEZZNS1_14partition_implILS5_6ELb0ES3_mNS7_12zip_iteratorINS8_INS7_6detail15normal_iteratorINS7_10device_ptrItEEEESJ_S9_S9_S9_S9_S9_S9_S9_S9_EEEEPSB_SM_NS0_5tupleIJNSE_INS8_ISJ_NS7_16discard_iteratorINS7_11use_defaultEEES9_S9_S9_S9_S9_S9_S9_S9_EEEESB_EEENSN_IJSM_SM_EEESB_PlJNSF_9not_fun_tINSF_14equal_to_valueISA_EEEEEEE10hipError_tPvRmT3_T4_T5_T6_T7_T9_mT8_P12ihipStream_tbDpT10_ENKUlT_T0_E_clISt17integral_constantIbLb0EES1I_IbLb1EEEEDaS1E_S1F_EUlS1E_E_NS1_11comp_targetILNS1_3genE3ELNS1_11target_archE908ELNS1_3gpuE7ELNS1_3repE0EEENS1_30default_config_static_selectorELNS0_4arch9wavefront6targetE0EEEvT1_,"axG",@progbits,_ZN7rocprim17ROCPRIM_400000_NS6detail17trampoline_kernelINS0_14default_configENS1_25partition_config_selectorILNS1_17partition_subalgoE6EN6thrust23THRUST_200600_302600_NS5tupleIttNS7_9null_typeES9_S9_S9_S9_S9_S9_S9_EENS0_10empty_typeEbEEZZNS1_14partition_implILS5_6ELb0ES3_mNS7_12zip_iteratorINS8_INS7_6detail15normal_iteratorINS7_10device_ptrItEEEESJ_S9_S9_S9_S9_S9_S9_S9_S9_EEEEPSB_SM_NS0_5tupleIJNSE_INS8_ISJ_NS7_16discard_iteratorINS7_11use_defaultEEES9_S9_S9_S9_S9_S9_S9_S9_EEEESB_EEENSN_IJSM_SM_EEESB_PlJNSF_9not_fun_tINSF_14equal_to_valueISA_EEEEEEE10hipError_tPvRmT3_T4_T5_T6_T7_T9_mT8_P12ihipStream_tbDpT10_ENKUlT_T0_E_clISt17integral_constantIbLb0EES1I_IbLb1EEEEDaS1E_S1F_EUlS1E_E_NS1_11comp_targetILNS1_3genE3ELNS1_11target_archE908ELNS1_3gpuE7ELNS1_3repE0EEENS1_30default_config_static_selectorELNS0_4arch9wavefront6targetE0EEEvT1_,comdat
	.protected	_ZN7rocprim17ROCPRIM_400000_NS6detail17trampoline_kernelINS0_14default_configENS1_25partition_config_selectorILNS1_17partition_subalgoE6EN6thrust23THRUST_200600_302600_NS5tupleIttNS7_9null_typeES9_S9_S9_S9_S9_S9_S9_EENS0_10empty_typeEbEEZZNS1_14partition_implILS5_6ELb0ES3_mNS7_12zip_iteratorINS8_INS7_6detail15normal_iteratorINS7_10device_ptrItEEEESJ_S9_S9_S9_S9_S9_S9_S9_S9_EEEEPSB_SM_NS0_5tupleIJNSE_INS8_ISJ_NS7_16discard_iteratorINS7_11use_defaultEEES9_S9_S9_S9_S9_S9_S9_S9_EEEESB_EEENSN_IJSM_SM_EEESB_PlJNSF_9not_fun_tINSF_14equal_to_valueISA_EEEEEEE10hipError_tPvRmT3_T4_T5_T6_T7_T9_mT8_P12ihipStream_tbDpT10_ENKUlT_T0_E_clISt17integral_constantIbLb0EES1I_IbLb1EEEEDaS1E_S1F_EUlS1E_E_NS1_11comp_targetILNS1_3genE3ELNS1_11target_archE908ELNS1_3gpuE7ELNS1_3repE0EEENS1_30default_config_static_selectorELNS0_4arch9wavefront6targetE0EEEvT1_ ; -- Begin function _ZN7rocprim17ROCPRIM_400000_NS6detail17trampoline_kernelINS0_14default_configENS1_25partition_config_selectorILNS1_17partition_subalgoE6EN6thrust23THRUST_200600_302600_NS5tupleIttNS7_9null_typeES9_S9_S9_S9_S9_S9_S9_EENS0_10empty_typeEbEEZZNS1_14partition_implILS5_6ELb0ES3_mNS7_12zip_iteratorINS8_INS7_6detail15normal_iteratorINS7_10device_ptrItEEEESJ_S9_S9_S9_S9_S9_S9_S9_S9_EEEEPSB_SM_NS0_5tupleIJNSE_INS8_ISJ_NS7_16discard_iteratorINS7_11use_defaultEEES9_S9_S9_S9_S9_S9_S9_S9_EEEESB_EEENSN_IJSM_SM_EEESB_PlJNSF_9not_fun_tINSF_14equal_to_valueISA_EEEEEEE10hipError_tPvRmT3_T4_T5_T6_T7_T9_mT8_P12ihipStream_tbDpT10_ENKUlT_T0_E_clISt17integral_constantIbLb0EES1I_IbLb1EEEEDaS1E_S1F_EUlS1E_E_NS1_11comp_targetILNS1_3genE3ELNS1_11target_archE908ELNS1_3gpuE7ELNS1_3repE0EEENS1_30default_config_static_selectorELNS0_4arch9wavefront6targetE0EEEvT1_
	.globl	_ZN7rocprim17ROCPRIM_400000_NS6detail17trampoline_kernelINS0_14default_configENS1_25partition_config_selectorILNS1_17partition_subalgoE6EN6thrust23THRUST_200600_302600_NS5tupleIttNS7_9null_typeES9_S9_S9_S9_S9_S9_S9_EENS0_10empty_typeEbEEZZNS1_14partition_implILS5_6ELb0ES3_mNS7_12zip_iteratorINS8_INS7_6detail15normal_iteratorINS7_10device_ptrItEEEESJ_S9_S9_S9_S9_S9_S9_S9_S9_EEEEPSB_SM_NS0_5tupleIJNSE_INS8_ISJ_NS7_16discard_iteratorINS7_11use_defaultEEES9_S9_S9_S9_S9_S9_S9_S9_EEEESB_EEENSN_IJSM_SM_EEESB_PlJNSF_9not_fun_tINSF_14equal_to_valueISA_EEEEEEE10hipError_tPvRmT3_T4_T5_T6_T7_T9_mT8_P12ihipStream_tbDpT10_ENKUlT_T0_E_clISt17integral_constantIbLb0EES1I_IbLb1EEEEDaS1E_S1F_EUlS1E_E_NS1_11comp_targetILNS1_3genE3ELNS1_11target_archE908ELNS1_3gpuE7ELNS1_3repE0EEENS1_30default_config_static_selectorELNS0_4arch9wavefront6targetE0EEEvT1_
	.p2align	8
	.type	_ZN7rocprim17ROCPRIM_400000_NS6detail17trampoline_kernelINS0_14default_configENS1_25partition_config_selectorILNS1_17partition_subalgoE6EN6thrust23THRUST_200600_302600_NS5tupleIttNS7_9null_typeES9_S9_S9_S9_S9_S9_S9_EENS0_10empty_typeEbEEZZNS1_14partition_implILS5_6ELb0ES3_mNS7_12zip_iteratorINS8_INS7_6detail15normal_iteratorINS7_10device_ptrItEEEESJ_S9_S9_S9_S9_S9_S9_S9_S9_EEEEPSB_SM_NS0_5tupleIJNSE_INS8_ISJ_NS7_16discard_iteratorINS7_11use_defaultEEES9_S9_S9_S9_S9_S9_S9_S9_EEEESB_EEENSN_IJSM_SM_EEESB_PlJNSF_9not_fun_tINSF_14equal_to_valueISA_EEEEEEE10hipError_tPvRmT3_T4_T5_T6_T7_T9_mT8_P12ihipStream_tbDpT10_ENKUlT_T0_E_clISt17integral_constantIbLb0EES1I_IbLb1EEEEDaS1E_S1F_EUlS1E_E_NS1_11comp_targetILNS1_3genE3ELNS1_11target_archE908ELNS1_3gpuE7ELNS1_3repE0EEENS1_30default_config_static_selectorELNS0_4arch9wavefront6targetE0EEEvT1_,@function
_ZN7rocprim17ROCPRIM_400000_NS6detail17trampoline_kernelINS0_14default_configENS1_25partition_config_selectorILNS1_17partition_subalgoE6EN6thrust23THRUST_200600_302600_NS5tupleIttNS7_9null_typeES9_S9_S9_S9_S9_S9_S9_EENS0_10empty_typeEbEEZZNS1_14partition_implILS5_6ELb0ES3_mNS7_12zip_iteratorINS8_INS7_6detail15normal_iteratorINS7_10device_ptrItEEEESJ_S9_S9_S9_S9_S9_S9_S9_S9_EEEEPSB_SM_NS0_5tupleIJNSE_INS8_ISJ_NS7_16discard_iteratorINS7_11use_defaultEEES9_S9_S9_S9_S9_S9_S9_S9_EEEESB_EEENSN_IJSM_SM_EEESB_PlJNSF_9not_fun_tINSF_14equal_to_valueISA_EEEEEEE10hipError_tPvRmT3_T4_T5_T6_T7_T9_mT8_P12ihipStream_tbDpT10_ENKUlT_T0_E_clISt17integral_constantIbLb0EES1I_IbLb1EEEEDaS1E_S1F_EUlS1E_E_NS1_11comp_targetILNS1_3genE3ELNS1_11target_archE908ELNS1_3gpuE7ELNS1_3repE0EEENS1_30default_config_static_selectorELNS0_4arch9wavefront6targetE0EEEvT1_: ; @_ZN7rocprim17ROCPRIM_400000_NS6detail17trampoline_kernelINS0_14default_configENS1_25partition_config_selectorILNS1_17partition_subalgoE6EN6thrust23THRUST_200600_302600_NS5tupleIttNS7_9null_typeES9_S9_S9_S9_S9_S9_S9_EENS0_10empty_typeEbEEZZNS1_14partition_implILS5_6ELb0ES3_mNS7_12zip_iteratorINS8_INS7_6detail15normal_iteratorINS7_10device_ptrItEEEESJ_S9_S9_S9_S9_S9_S9_S9_S9_EEEEPSB_SM_NS0_5tupleIJNSE_INS8_ISJ_NS7_16discard_iteratorINS7_11use_defaultEEES9_S9_S9_S9_S9_S9_S9_S9_EEEESB_EEENSN_IJSM_SM_EEESB_PlJNSF_9not_fun_tINSF_14equal_to_valueISA_EEEEEEE10hipError_tPvRmT3_T4_T5_T6_T7_T9_mT8_P12ihipStream_tbDpT10_ENKUlT_T0_E_clISt17integral_constantIbLb0EES1I_IbLb1EEEEDaS1E_S1F_EUlS1E_E_NS1_11comp_targetILNS1_3genE3ELNS1_11target_archE908ELNS1_3gpuE7ELNS1_3repE0EEENS1_30default_config_static_selectorELNS0_4arch9wavefront6targetE0EEEvT1_
; %bb.0:
	.section	.rodata,"a",@progbits
	.p2align	6, 0x0
	.amdhsa_kernel _ZN7rocprim17ROCPRIM_400000_NS6detail17trampoline_kernelINS0_14default_configENS1_25partition_config_selectorILNS1_17partition_subalgoE6EN6thrust23THRUST_200600_302600_NS5tupleIttNS7_9null_typeES9_S9_S9_S9_S9_S9_S9_EENS0_10empty_typeEbEEZZNS1_14partition_implILS5_6ELb0ES3_mNS7_12zip_iteratorINS8_INS7_6detail15normal_iteratorINS7_10device_ptrItEEEESJ_S9_S9_S9_S9_S9_S9_S9_S9_EEEEPSB_SM_NS0_5tupleIJNSE_INS8_ISJ_NS7_16discard_iteratorINS7_11use_defaultEEES9_S9_S9_S9_S9_S9_S9_S9_EEEESB_EEENSN_IJSM_SM_EEESB_PlJNSF_9not_fun_tINSF_14equal_to_valueISA_EEEEEEE10hipError_tPvRmT3_T4_T5_T6_T7_T9_mT8_P12ihipStream_tbDpT10_ENKUlT_T0_E_clISt17integral_constantIbLb0EES1I_IbLb1EEEEDaS1E_S1F_EUlS1E_E_NS1_11comp_targetILNS1_3genE3ELNS1_11target_archE908ELNS1_3gpuE7ELNS1_3repE0EEENS1_30default_config_static_selectorELNS0_4arch9wavefront6targetE0EEEvT1_
		.amdhsa_group_segment_fixed_size 0
		.amdhsa_private_segment_fixed_size 0
		.amdhsa_kernarg_size 152
		.amdhsa_user_sgpr_count 2
		.amdhsa_user_sgpr_dispatch_ptr 0
		.amdhsa_user_sgpr_queue_ptr 0
		.amdhsa_user_sgpr_kernarg_segment_ptr 1
		.amdhsa_user_sgpr_dispatch_id 0
		.amdhsa_user_sgpr_private_segment_size 0
		.amdhsa_wavefront_size32 1
		.amdhsa_uses_dynamic_stack 0
		.amdhsa_enable_private_segment 0
		.amdhsa_system_sgpr_workgroup_id_x 1
		.amdhsa_system_sgpr_workgroup_id_y 0
		.amdhsa_system_sgpr_workgroup_id_z 0
		.amdhsa_system_sgpr_workgroup_info 0
		.amdhsa_system_vgpr_workitem_id 0
		.amdhsa_next_free_vgpr 1
		.amdhsa_next_free_sgpr 1
		.amdhsa_reserve_vcc 0
		.amdhsa_float_round_mode_32 0
		.amdhsa_float_round_mode_16_64 0
		.amdhsa_float_denorm_mode_32 3
		.amdhsa_float_denorm_mode_16_64 3
		.amdhsa_fp16_overflow 0
		.amdhsa_workgroup_processor_mode 1
		.amdhsa_memory_ordered 1
		.amdhsa_forward_progress 1
		.amdhsa_inst_pref_size 0
		.amdhsa_round_robin_scheduling 0
		.amdhsa_exception_fp_ieee_invalid_op 0
		.amdhsa_exception_fp_denorm_src 0
		.amdhsa_exception_fp_ieee_div_zero 0
		.amdhsa_exception_fp_ieee_overflow 0
		.amdhsa_exception_fp_ieee_underflow 0
		.amdhsa_exception_fp_ieee_inexact 0
		.amdhsa_exception_int_div_zero 0
	.end_amdhsa_kernel
	.section	.text._ZN7rocprim17ROCPRIM_400000_NS6detail17trampoline_kernelINS0_14default_configENS1_25partition_config_selectorILNS1_17partition_subalgoE6EN6thrust23THRUST_200600_302600_NS5tupleIttNS7_9null_typeES9_S9_S9_S9_S9_S9_S9_EENS0_10empty_typeEbEEZZNS1_14partition_implILS5_6ELb0ES3_mNS7_12zip_iteratorINS8_INS7_6detail15normal_iteratorINS7_10device_ptrItEEEESJ_S9_S9_S9_S9_S9_S9_S9_S9_EEEEPSB_SM_NS0_5tupleIJNSE_INS8_ISJ_NS7_16discard_iteratorINS7_11use_defaultEEES9_S9_S9_S9_S9_S9_S9_S9_EEEESB_EEENSN_IJSM_SM_EEESB_PlJNSF_9not_fun_tINSF_14equal_to_valueISA_EEEEEEE10hipError_tPvRmT3_T4_T5_T6_T7_T9_mT8_P12ihipStream_tbDpT10_ENKUlT_T0_E_clISt17integral_constantIbLb0EES1I_IbLb1EEEEDaS1E_S1F_EUlS1E_E_NS1_11comp_targetILNS1_3genE3ELNS1_11target_archE908ELNS1_3gpuE7ELNS1_3repE0EEENS1_30default_config_static_selectorELNS0_4arch9wavefront6targetE0EEEvT1_,"axG",@progbits,_ZN7rocprim17ROCPRIM_400000_NS6detail17trampoline_kernelINS0_14default_configENS1_25partition_config_selectorILNS1_17partition_subalgoE6EN6thrust23THRUST_200600_302600_NS5tupleIttNS7_9null_typeES9_S9_S9_S9_S9_S9_S9_EENS0_10empty_typeEbEEZZNS1_14partition_implILS5_6ELb0ES3_mNS7_12zip_iteratorINS8_INS7_6detail15normal_iteratorINS7_10device_ptrItEEEESJ_S9_S9_S9_S9_S9_S9_S9_S9_EEEEPSB_SM_NS0_5tupleIJNSE_INS8_ISJ_NS7_16discard_iteratorINS7_11use_defaultEEES9_S9_S9_S9_S9_S9_S9_S9_EEEESB_EEENSN_IJSM_SM_EEESB_PlJNSF_9not_fun_tINSF_14equal_to_valueISA_EEEEEEE10hipError_tPvRmT3_T4_T5_T6_T7_T9_mT8_P12ihipStream_tbDpT10_ENKUlT_T0_E_clISt17integral_constantIbLb0EES1I_IbLb1EEEEDaS1E_S1F_EUlS1E_E_NS1_11comp_targetILNS1_3genE3ELNS1_11target_archE908ELNS1_3gpuE7ELNS1_3repE0EEENS1_30default_config_static_selectorELNS0_4arch9wavefront6targetE0EEEvT1_,comdat
.Lfunc_end1976:
	.size	_ZN7rocprim17ROCPRIM_400000_NS6detail17trampoline_kernelINS0_14default_configENS1_25partition_config_selectorILNS1_17partition_subalgoE6EN6thrust23THRUST_200600_302600_NS5tupleIttNS7_9null_typeES9_S9_S9_S9_S9_S9_S9_EENS0_10empty_typeEbEEZZNS1_14partition_implILS5_6ELb0ES3_mNS7_12zip_iteratorINS8_INS7_6detail15normal_iteratorINS7_10device_ptrItEEEESJ_S9_S9_S9_S9_S9_S9_S9_S9_EEEEPSB_SM_NS0_5tupleIJNSE_INS8_ISJ_NS7_16discard_iteratorINS7_11use_defaultEEES9_S9_S9_S9_S9_S9_S9_S9_EEEESB_EEENSN_IJSM_SM_EEESB_PlJNSF_9not_fun_tINSF_14equal_to_valueISA_EEEEEEE10hipError_tPvRmT3_T4_T5_T6_T7_T9_mT8_P12ihipStream_tbDpT10_ENKUlT_T0_E_clISt17integral_constantIbLb0EES1I_IbLb1EEEEDaS1E_S1F_EUlS1E_E_NS1_11comp_targetILNS1_3genE3ELNS1_11target_archE908ELNS1_3gpuE7ELNS1_3repE0EEENS1_30default_config_static_selectorELNS0_4arch9wavefront6targetE0EEEvT1_, .Lfunc_end1976-_ZN7rocprim17ROCPRIM_400000_NS6detail17trampoline_kernelINS0_14default_configENS1_25partition_config_selectorILNS1_17partition_subalgoE6EN6thrust23THRUST_200600_302600_NS5tupleIttNS7_9null_typeES9_S9_S9_S9_S9_S9_S9_EENS0_10empty_typeEbEEZZNS1_14partition_implILS5_6ELb0ES3_mNS7_12zip_iteratorINS8_INS7_6detail15normal_iteratorINS7_10device_ptrItEEEESJ_S9_S9_S9_S9_S9_S9_S9_S9_EEEEPSB_SM_NS0_5tupleIJNSE_INS8_ISJ_NS7_16discard_iteratorINS7_11use_defaultEEES9_S9_S9_S9_S9_S9_S9_S9_EEEESB_EEENSN_IJSM_SM_EEESB_PlJNSF_9not_fun_tINSF_14equal_to_valueISA_EEEEEEE10hipError_tPvRmT3_T4_T5_T6_T7_T9_mT8_P12ihipStream_tbDpT10_ENKUlT_T0_E_clISt17integral_constantIbLb0EES1I_IbLb1EEEEDaS1E_S1F_EUlS1E_E_NS1_11comp_targetILNS1_3genE3ELNS1_11target_archE908ELNS1_3gpuE7ELNS1_3repE0EEENS1_30default_config_static_selectorELNS0_4arch9wavefront6targetE0EEEvT1_
                                        ; -- End function
	.set _ZN7rocprim17ROCPRIM_400000_NS6detail17trampoline_kernelINS0_14default_configENS1_25partition_config_selectorILNS1_17partition_subalgoE6EN6thrust23THRUST_200600_302600_NS5tupleIttNS7_9null_typeES9_S9_S9_S9_S9_S9_S9_EENS0_10empty_typeEbEEZZNS1_14partition_implILS5_6ELb0ES3_mNS7_12zip_iteratorINS8_INS7_6detail15normal_iteratorINS7_10device_ptrItEEEESJ_S9_S9_S9_S9_S9_S9_S9_S9_EEEEPSB_SM_NS0_5tupleIJNSE_INS8_ISJ_NS7_16discard_iteratorINS7_11use_defaultEEES9_S9_S9_S9_S9_S9_S9_S9_EEEESB_EEENSN_IJSM_SM_EEESB_PlJNSF_9not_fun_tINSF_14equal_to_valueISA_EEEEEEE10hipError_tPvRmT3_T4_T5_T6_T7_T9_mT8_P12ihipStream_tbDpT10_ENKUlT_T0_E_clISt17integral_constantIbLb0EES1I_IbLb1EEEEDaS1E_S1F_EUlS1E_E_NS1_11comp_targetILNS1_3genE3ELNS1_11target_archE908ELNS1_3gpuE7ELNS1_3repE0EEENS1_30default_config_static_selectorELNS0_4arch9wavefront6targetE0EEEvT1_.num_vgpr, 0
	.set _ZN7rocprim17ROCPRIM_400000_NS6detail17trampoline_kernelINS0_14default_configENS1_25partition_config_selectorILNS1_17partition_subalgoE6EN6thrust23THRUST_200600_302600_NS5tupleIttNS7_9null_typeES9_S9_S9_S9_S9_S9_S9_EENS0_10empty_typeEbEEZZNS1_14partition_implILS5_6ELb0ES3_mNS7_12zip_iteratorINS8_INS7_6detail15normal_iteratorINS7_10device_ptrItEEEESJ_S9_S9_S9_S9_S9_S9_S9_S9_EEEEPSB_SM_NS0_5tupleIJNSE_INS8_ISJ_NS7_16discard_iteratorINS7_11use_defaultEEES9_S9_S9_S9_S9_S9_S9_S9_EEEESB_EEENSN_IJSM_SM_EEESB_PlJNSF_9not_fun_tINSF_14equal_to_valueISA_EEEEEEE10hipError_tPvRmT3_T4_T5_T6_T7_T9_mT8_P12ihipStream_tbDpT10_ENKUlT_T0_E_clISt17integral_constantIbLb0EES1I_IbLb1EEEEDaS1E_S1F_EUlS1E_E_NS1_11comp_targetILNS1_3genE3ELNS1_11target_archE908ELNS1_3gpuE7ELNS1_3repE0EEENS1_30default_config_static_selectorELNS0_4arch9wavefront6targetE0EEEvT1_.num_agpr, 0
	.set _ZN7rocprim17ROCPRIM_400000_NS6detail17trampoline_kernelINS0_14default_configENS1_25partition_config_selectorILNS1_17partition_subalgoE6EN6thrust23THRUST_200600_302600_NS5tupleIttNS7_9null_typeES9_S9_S9_S9_S9_S9_S9_EENS0_10empty_typeEbEEZZNS1_14partition_implILS5_6ELb0ES3_mNS7_12zip_iteratorINS8_INS7_6detail15normal_iteratorINS7_10device_ptrItEEEESJ_S9_S9_S9_S9_S9_S9_S9_S9_EEEEPSB_SM_NS0_5tupleIJNSE_INS8_ISJ_NS7_16discard_iteratorINS7_11use_defaultEEES9_S9_S9_S9_S9_S9_S9_S9_EEEESB_EEENSN_IJSM_SM_EEESB_PlJNSF_9not_fun_tINSF_14equal_to_valueISA_EEEEEEE10hipError_tPvRmT3_T4_T5_T6_T7_T9_mT8_P12ihipStream_tbDpT10_ENKUlT_T0_E_clISt17integral_constantIbLb0EES1I_IbLb1EEEEDaS1E_S1F_EUlS1E_E_NS1_11comp_targetILNS1_3genE3ELNS1_11target_archE908ELNS1_3gpuE7ELNS1_3repE0EEENS1_30default_config_static_selectorELNS0_4arch9wavefront6targetE0EEEvT1_.numbered_sgpr, 0
	.set _ZN7rocprim17ROCPRIM_400000_NS6detail17trampoline_kernelINS0_14default_configENS1_25partition_config_selectorILNS1_17partition_subalgoE6EN6thrust23THRUST_200600_302600_NS5tupleIttNS7_9null_typeES9_S9_S9_S9_S9_S9_S9_EENS0_10empty_typeEbEEZZNS1_14partition_implILS5_6ELb0ES3_mNS7_12zip_iteratorINS8_INS7_6detail15normal_iteratorINS7_10device_ptrItEEEESJ_S9_S9_S9_S9_S9_S9_S9_S9_EEEEPSB_SM_NS0_5tupleIJNSE_INS8_ISJ_NS7_16discard_iteratorINS7_11use_defaultEEES9_S9_S9_S9_S9_S9_S9_S9_EEEESB_EEENSN_IJSM_SM_EEESB_PlJNSF_9not_fun_tINSF_14equal_to_valueISA_EEEEEEE10hipError_tPvRmT3_T4_T5_T6_T7_T9_mT8_P12ihipStream_tbDpT10_ENKUlT_T0_E_clISt17integral_constantIbLb0EES1I_IbLb1EEEEDaS1E_S1F_EUlS1E_E_NS1_11comp_targetILNS1_3genE3ELNS1_11target_archE908ELNS1_3gpuE7ELNS1_3repE0EEENS1_30default_config_static_selectorELNS0_4arch9wavefront6targetE0EEEvT1_.num_named_barrier, 0
	.set _ZN7rocprim17ROCPRIM_400000_NS6detail17trampoline_kernelINS0_14default_configENS1_25partition_config_selectorILNS1_17partition_subalgoE6EN6thrust23THRUST_200600_302600_NS5tupleIttNS7_9null_typeES9_S9_S9_S9_S9_S9_S9_EENS0_10empty_typeEbEEZZNS1_14partition_implILS5_6ELb0ES3_mNS7_12zip_iteratorINS8_INS7_6detail15normal_iteratorINS7_10device_ptrItEEEESJ_S9_S9_S9_S9_S9_S9_S9_S9_EEEEPSB_SM_NS0_5tupleIJNSE_INS8_ISJ_NS7_16discard_iteratorINS7_11use_defaultEEES9_S9_S9_S9_S9_S9_S9_S9_EEEESB_EEENSN_IJSM_SM_EEESB_PlJNSF_9not_fun_tINSF_14equal_to_valueISA_EEEEEEE10hipError_tPvRmT3_T4_T5_T6_T7_T9_mT8_P12ihipStream_tbDpT10_ENKUlT_T0_E_clISt17integral_constantIbLb0EES1I_IbLb1EEEEDaS1E_S1F_EUlS1E_E_NS1_11comp_targetILNS1_3genE3ELNS1_11target_archE908ELNS1_3gpuE7ELNS1_3repE0EEENS1_30default_config_static_selectorELNS0_4arch9wavefront6targetE0EEEvT1_.private_seg_size, 0
	.set _ZN7rocprim17ROCPRIM_400000_NS6detail17trampoline_kernelINS0_14default_configENS1_25partition_config_selectorILNS1_17partition_subalgoE6EN6thrust23THRUST_200600_302600_NS5tupleIttNS7_9null_typeES9_S9_S9_S9_S9_S9_S9_EENS0_10empty_typeEbEEZZNS1_14partition_implILS5_6ELb0ES3_mNS7_12zip_iteratorINS8_INS7_6detail15normal_iteratorINS7_10device_ptrItEEEESJ_S9_S9_S9_S9_S9_S9_S9_S9_EEEEPSB_SM_NS0_5tupleIJNSE_INS8_ISJ_NS7_16discard_iteratorINS7_11use_defaultEEES9_S9_S9_S9_S9_S9_S9_S9_EEEESB_EEENSN_IJSM_SM_EEESB_PlJNSF_9not_fun_tINSF_14equal_to_valueISA_EEEEEEE10hipError_tPvRmT3_T4_T5_T6_T7_T9_mT8_P12ihipStream_tbDpT10_ENKUlT_T0_E_clISt17integral_constantIbLb0EES1I_IbLb1EEEEDaS1E_S1F_EUlS1E_E_NS1_11comp_targetILNS1_3genE3ELNS1_11target_archE908ELNS1_3gpuE7ELNS1_3repE0EEENS1_30default_config_static_selectorELNS0_4arch9wavefront6targetE0EEEvT1_.uses_vcc, 0
	.set _ZN7rocprim17ROCPRIM_400000_NS6detail17trampoline_kernelINS0_14default_configENS1_25partition_config_selectorILNS1_17partition_subalgoE6EN6thrust23THRUST_200600_302600_NS5tupleIttNS7_9null_typeES9_S9_S9_S9_S9_S9_S9_EENS0_10empty_typeEbEEZZNS1_14partition_implILS5_6ELb0ES3_mNS7_12zip_iteratorINS8_INS7_6detail15normal_iteratorINS7_10device_ptrItEEEESJ_S9_S9_S9_S9_S9_S9_S9_S9_EEEEPSB_SM_NS0_5tupleIJNSE_INS8_ISJ_NS7_16discard_iteratorINS7_11use_defaultEEES9_S9_S9_S9_S9_S9_S9_S9_EEEESB_EEENSN_IJSM_SM_EEESB_PlJNSF_9not_fun_tINSF_14equal_to_valueISA_EEEEEEE10hipError_tPvRmT3_T4_T5_T6_T7_T9_mT8_P12ihipStream_tbDpT10_ENKUlT_T0_E_clISt17integral_constantIbLb0EES1I_IbLb1EEEEDaS1E_S1F_EUlS1E_E_NS1_11comp_targetILNS1_3genE3ELNS1_11target_archE908ELNS1_3gpuE7ELNS1_3repE0EEENS1_30default_config_static_selectorELNS0_4arch9wavefront6targetE0EEEvT1_.uses_flat_scratch, 0
	.set _ZN7rocprim17ROCPRIM_400000_NS6detail17trampoline_kernelINS0_14default_configENS1_25partition_config_selectorILNS1_17partition_subalgoE6EN6thrust23THRUST_200600_302600_NS5tupleIttNS7_9null_typeES9_S9_S9_S9_S9_S9_S9_EENS0_10empty_typeEbEEZZNS1_14partition_implILS5_6ELb0ES3_mNS7_12zip_iteratorINS8_INS7_6detail15normal_iteratorINS7_10device_ptrItEEEESJ_S9_S9_S9_S9_S9_S9_S9_S9_EEEEPSB_SM_NS0_5tupleIJNSE_INS8_ISJ_NS7_16discard_iteratorINS7_11use_defaultEEES9_S9_S9_S9_S9_S9_S9_S9_EEEESB_EEENSN_IJSM_SM_EEESB_PlJNSF_9not_fun_tINSF_14equal_to_valueISA_EEEEEEE10hipError_tPvRmT3_T4_T5_T6_T7_T9_mT8_P12ihipStream_tbDpT10_ENKUlT_T0_E_clISt17integral_constantIbLb0EES1I_IbLb1EEEEDaS1E_S1F_EUlS1E_E_NS1_11comp_targetILNS1_3genE3ELNS1_11target_archE908ELNS1_3gpuE7ELNS1_3repE0EEENS1_30default_config_static_selectorELNS0_4arch9wavefront6targetE0EEEvT1_.has_dyn_sized_stack, 0
	.set _ZN7rocprim17ROCPRIM_400000_NS6detail17trampoline_kernelINS0_14default_configENS1_25partition_config_selectorILNS1_17partition_subalgoE6EN6thrust23THRUST_200600_302600_NS5tupleIttNS7_9null_typeES9_S9_S9_S9_S9_S9_S9_EENS0_10empty_typeEbEEZZNS1_14partition_implILS5_6ELb0ES3_mNS7_12zip_iteratorINS8_INS7_6detail15normal_iteratorINS7_10device_ptrItEEEESJ_S9_S9_S9_S9_S9_S9_S9_S9_EEEEPSB_SM_NS0_5tupleIJNSE_INS8_ISJ_NS7_16discard_iteratorINS7_11use_defaultEEES9_S9_S9_S9_S9_S9_S9_S9_EEEESB_EEENSN_IJSM_SM_EEESB_PlJNSF_9not_fun_tINSF_14equal_to_valueISA_EEEEEEE10hipError_tPvRmT3_T4_T5_T6_T7_T9_mT8_P12ihipStream_tbDpT10_ENKUlT_T0_E_clISt17integral_constantIbLb0EES1I_IbLb1EEEEDaS1E_S1F_EUlS1E_E_NS1_11comp_targetILNS1_3genE3ELNS1_11target_archE908ELNS1_3gpuE7ELNS1_3repE0EEENS1_30default_config_static_selectorELNS0_4arch9wavefront6targetE0EEEvT1_.has_recursion, 0
	.set _ZN7rocprim17ROCPRIM_400000_NS6detail17trampoline_kernelINS0_14default_configENS1_25partition_config_selectorILNS1_17partition_subalgoE6EN6thrust23THRUST_200600_302600_NS5tupleIttNS7_9null_typeES9_S9_S9_S9_S9_S9_S9_EENS0_10empty_typeEbEEZZNS1_14partition_implILS5_6ELb0ES3_mNS7_12zip_iteratorINS8_INS7_6detail15normal_iteratorINS7_10device_ptrItEEEESJ_S9_S9_S9_S9_S9_S9_S9_S9_EEEEPSB_SM_NS0_5tupleIJNSE_INS8_ISJ_NS7_16discard_iteratorINS7_11use_defaultEEES9_S9_S9_S9_S9_S9_S9_S9_EEEESB_EEENSN_IJSM_SM_EEESB_PlJNSF_9not_fun_tINSF_14equal_to_valueISA_EEEEEEE10hipError_tPvRmT3_T4_T5_T6_T7_T9_mT8_P12ihipStream_tbDpT10_ENKUlT_T0_E_clISt17integral_constantIbLb0EES1I_IbLb1EEEEDaS1E_S1F_EUlS1E_E_NS1_11comp_targetILNS1_3genE3ELNS1_11target_archE908ELNS1_3gpuE7ELNS1_3repE0EEENS1_30default_config_static_selectorELNS0_4arch9wavefront6targetE0EEEvT1_.has_indirect_call, 0
	.section	.AMDGPU.csdata,"",@progbits
; Kernel info:
; codeLenInByte = 0
; TotalNumSgprs: 0
; NumVgprs: 0
; ScratchSize: 0
; MemoryBound: 0
; FloatMode: 240
; IeeeMode: 1
; LDSByteSize: 0 bytes/workgroup (compile time only)
; SGPRBlocks: 0
; VGPRBlocks: 0
; NumSGPRsForWavesPerEU: 1
; NumVGPRsForWavesPerEU: 1
; Occupancy: 16
; WaveLimiterHint : 0
; COMPUTE_PGM_RSRC2:SCRATCH_EN: 0
; COMPUTE_PGM_RSRC2:USER_SGPR: 2
; COMPUTE_PGM_RSRC2:TRAP_HANDLER: 0
; COMPUTE_PGM_RSRC2:TGID_X_EN: 1
; COMPUTE_PGM_RSRC2:TGID_Y_EN: 0
; COMPUTE_PGM_RSRC2:TGID_Z_EN: 0
; COMPUTE_PGM_RSRC2:TIDIG_COMP_CNT: 0
	.section	.text._ZN7rocprim17ROCPRIM_400000_NS6detail17trampoline_kernelINS0_14default_configENS1_25partition_config_selectorILNS1_17partition_subalgoE6EN6thrust23THRUST_200600_302600_NS5tupleIttNS7_9null_typeES9_S9_S9_S9_S9_S9_S9_EENS0_10empty_typeEbEEZZNS1_14partition_implILS5_6ELb0ES3_mNS7_12zip_iteratorINS8_INS7_6detail15normal_iteratorINS7_10device_ptrItEEEESJ_S9_S9_S9_S9_S9_S9_S9_S9_EEEEPSB_SM_NS0_5tupleIJNSE_INS8_ISJ_NS7_16discard_iteratorINS7_11use_defaultEEES9_S9_S9_S9_S9_S9_S9_S9_EEEESB_EEENSN_IJSM_SM_EEESB_PlJNSF_9not_fun_tINSF_14equal_to_valueISA_EEEEEEE10hipError_tPvRmT3_T4_T5_T6_T7_T9_mT8_P12ihipStream_tbDpT10_ENKUlT_T0_E_clISt17integral_constantIbLb0EES1I_IbLb1EEEEDaS1E_S1F_EUlS1E_E_NS1_11comp_targetILNS1_3genE2ELNS1_11target_archE906ELNS1_3gpuE6ELNS1_3repE0EEENS1_30default_config_static_selectorELNS0_4arch9wavefront6targetE0EEEvT1_,"axG",@progbits,_ZN7rocprim17ROCPRIM_400000_NS6detail17trampoline_kernelINS0_14default_configENS1_25partition_config_selectorILNS1_17partition_subalgoE6EN6thrust23THRUST_200600_302600_NS5tupleIttNS7_9null_typeES9_S9_S9_S9_S9_S9_S9_EENS0_10empty_typeEbEEZZNS1_14partition_implILS5_6ELb0ES3_mNS7_12zip_iteratorINS8_INS7_6detail15normal_iteratorINS7_10device_ptrItEEEESJ_S9_S9_S9_S9_S9_S9_S9_S9_EEEEPSB_SM_NS0_5tupleIJNSE_INS8_ISJ_NS7_16discard_iteratorINS7_11use_defaultEEES9_S9_S9_S9_S9_S9_S9_S9_EEEESB_EEENSN_IJSM_SM_EEESB_PlJNSF_9not_fun_tINSF_14equal_to_valueISA_EEEEEEE10hipError_tPvRmT3_T4_T5_T6_T7_T9_mT8_P12ihipStream_tbDpT10_ENKUlT_T0_E_clISt17integral_constantIbLb0EES1I_IbLb1EEEEDaS1E_S1F_EUlS1E_E_NS1_11comp_targetILNS1_3genE2ELNS1_11target_archE906ELNS1_3gpuE6ELNS1_3repE0EEENS1_30default_config_static_selectorELNS0_4arch9wavefront6targetE0EEEvT1_,comdat
	.protected	_ZN7rocprim17ROCPRIM_400000_NS6detail17trampoline_kernelINS0_14default_configENS1_25partition_config_selectorILNS1_17partition_subalgoE6EN6thrust23THRUST_200600_302600_NS5tupleIttNS7_9null_typeES9_S9_S9_S9_S9_S9_S9_EENS0_10empty_typeEbEEZZNS1_14partition_implILS5_6ELb0ES3_mNS7_12zip_iteratorINS8_INS7_6detail15normal_iteratorINS7_10device_ptrItEEEESJ_S9_S9_S9_S9_S9_S9_S9_S9_EEEEPSB_SM_NS0_5tupleIJNSE_INS8_ISJ_NS7_16discard_iteratorINS7_11use_defaultEEES9_S9_S9_S9_S9_S9_S9_S9_EEEESB_EEENSN_IJSM_SM_EEESB_PlJNSF_9not_fun_tINSF_14equal_to_valueISA_EEEEEEE10hipError_tPvRmT3_T4_T5_T6_T7_T9_mT8_P12ihipStream_tbDpT10_ENKUlT_T0_E_clISt17integral_constantIbLb0EES1I_IbLb1EEEEDaS1E_S1F_EUlS1E_E_NS1_11comp_targetILNS1_3genE2ELNS1_11target_archE906ELNS1_3gpuE6ELNS1_3repE0EEENS1_30default_config_static_selectorELNS0_4arch9wavefront6targetE0EEEvT1_ ; -- Begin function _ZN7rocprim17ROCPRIM_400000_NS6detail17trampoline_kernelINS0_14default_configENS1_25partition_config_selectorILNS1_17partition_subalgoE6EN6thrust23THRUST_200600_302600_NS5tupleIttNS7_9null_typeES9_S9_S9_S9_S9_S9_S9_EENS0_10empty_typeEbEEZZNS1_14partition_implILS5_6ELb0ES3_mNS7_12zip_iteratorINS8_INS7_6detail15normal_iteratorINS7_10device_ptrItEEEESJ_S9_S9_S9_S9_S9_S9_S9_S9_EEEEPSB_SM_NS0_5tupleIJNSE_INS8_ISJ_NS7_16discard_iteratorINS7_11use_defaultEEES9_S9_S9_S9_S9_S9_S9_S9_EEEESB_EEENSN_IJSM_SM_EEESB_PlJNSF_9not_fun_tINSF_14equal_to_valueISA_EEEEEEE10hipError_tPvRmT3_T4_T5_T6_T7_T9_mT8_P12ihipStream_tbDpT10_ENKUlT_T0_E_clISt17integral_constantIbLb0EES1I_IbLb1EEEEDaS1E_S1F_EUlS1E_E_NS1_11comp_targetILNS1_3genE2ELNS1_11target_archE906ELNS1_3gpuE6ELNS1_3repE0EEENS1_30default_config_static_selectorELNS0_4arch9wavefront6targetE0EEEvT1_
	.globl	_ZN7rocprim17ROCPRIM_400000_NS6detail17trampoline_kernelINS0_14default_configENS1_25partition_config_selectorILNS1_17partition_subalgoE6EN6thrust23THRUST_200600_302600_NS5tupleIttNS7_9null_typeES9_S9_S9_S9_S9_S9_S9_EENS0_10empty_typeEbEEZZNS1_14partition_implILS5_6ELb0ES3_mNS7_12zip_iteratorINS8_INS7_6detail15normal_iteratorINS7_10device_ptrItEEEESJ_S9_S9_S9_S9_S9_S9_S9_S9_EEEEPSB_SM_NS0_5tupleIJNSE_INS8_ISJ_NS7_16discard_iteratorINS7_11use_defaultEEES9_S9_S9_S9_S9_S9_S9_S9_EEEESB_EEENSN_IJSM_SM_EEESB_PlJNSF_9not_fun_tINSF_14equal_to_valueISA_EEEEEEE10hipError_tPvRmT3_T4_T5_T6_T7_T9_mT8_P12ihipStream_tbDpT10_ENKUlT_T0_E_clISt17integral_constantIbLb0EES1I_IbLb1EEEEDaS1E_S1F_EUlS1E_E_NS1_11comp_targetILNS1_3genE2ELNS1_11target_archE906ELNS1_3gpuE6ELNS1_3repE0EEENS1_30default_config_static_selectorELNS0_4arch9wavefront6targetE0EEEvT1_
	.p2align	8
	.type	_ZN7rocprim17ROCPRIM_400000_NS6detail17trampoline_kernelINS0_14default_configENS1_25partition_config_selectorILNS1_17partition_subalgoE6EN6thrust23THRUST_200600_302600_NS5tupleIttNS7_9null_typeES9_S9_S9_S9_S9_S9_S9_EENS0_10empty_typeEbEEZZNS1_14partition_implILS5_6ELb0ES3_mNS7_12zip_iteratorINS8_INS7_6detail15normal_iteratorINS7_10device_ptrItEEEESJ_S9_S9_S9_S9_S9_S9_S9_S9_EEEEPSB_SM_NS0_5tupleIJNSE_INS8_ISJ_NS7_16discard_iteratorINS7_11use_defaultEEES9_S9_S9_S9_S9_S9_S9_S9_EEEESB_EEENSN_IJSM_SM_EEESB_PlJNSF_9not_fun_tINSF_14equal_to_valueISA_EEEEEEE10hipError_tPvRmT3_T4_T5_T6_T7_T9_mT8_P12ihipStream_tbDpT10_ENKUlT_T0_E_clISt17integral_constantIbLb0EES1I_IbLb1EEEEDaS1E_S1F_EUlS1E_E_NS1_11comp_targetILNS1_3genE2ELNS1_11target_archE906ELNS1_3gpuE6ELNS1_3repE0EEENS1_30default_config_static_selectorELNS0_4arch9wavefront6targetE0EEEvT1_,@function
_ZN7rocprim17ROCPRIM_400000_NS6detail17trampoline_kernelINS0_14default_configENS1_25partition_config_selectorILNS1_17partition_subalgoE6EN6thrust23THRUST_200600_302600_NS5tupleIttNS7_9null_typeES9_S9_S9_S9_S9_S9_S9_EENS0_10empty_typeEbEEZZNS1_14partition_implILS5_6ELb0ES3_mNS7_12zip_iteratorINS8_INS7_6detail15normal_iteratorINS7_10device_ptrItEEEESJ_S9_S9_S9_S9_S9_S9_S9_S9_EEEEPSB_SM_NS0_5tupleIJNSE_INS8_ISJ_NS7_16discard_iteratorINS7_11use_defaultEEES9_S9_S9_S9_S9_S9_S9_S9_EEEESB_EEENSN_IJSM_SM_EEESB_PlJNSF_9not_fun_tINSF_14equal_to_valueISA_EEEEEEE10hipError_tPvRmT3_T4_T5_T6_T7_T9_mT8_P12ihipStream_tbDpT10_ENKUlT_T0_E_clISt17integral_constantIbLb0EES1I_IbLb1EEEEDaS1E_S1F_EUlS1E_E_NS1_11comp_targetILNS1_3genE2ELNS1_11target_archE906ELNS1_3gpuE6ELNS1_3repE0EEENS1_30default_config_static_selectorELNS0_4arch9wavefront6targetE0EEEvT1_: ; @_ZN7rocprim17ROCPRIM_400000_NS6detail17trampoline_kernelINS0_14default_configENS1_25partition_config_selectorILNS1_17partition_subalgoE6EN6thrust23THRUST_200600_302600_NS5tupleIttNS7_9null_typeES9_S9_S9_S9_S9_S9_S9_EENS0_10empty_typeEbEEZZNS1_14partition_implILS5_6ELb0ES3_mNS7_12zip_iteratorINS8_INS7_6detail15normal_iteratorINS7_10device_ptrItEEEESJ_S9_S9_S9_S9_S9_S9_S9_S9_EEEEPSB_SM_NS0_5tupleIJNSE_INS8_ISJ_NS7_16discard_iteratorINS7_11use_defaultEEES9_S9_S9_S9_S9_S9_S9_S9_EEEESB_EEENSN_IJSM_SM_EEESB_PlJNSF_9not_fun_tINSF_14equal_to_valueISA_EEEEEEE10hipError_tPvRmT3_T4_T5_T6_T7_T9_mT8_P12ihipStream_tbDpT10_ENKUlT_T0_E_clISt17integral_constantIbLb0EES1I_IbLb1EEEEDaS1E_S1F_EUlS1E_E_NS1_11comp_targetILNS1_3genE2ELNS1_11target_archE906ELNS1_3gpuE6ELNS1_3repE0EEENS1_30default_config_static_selectorELNS0_4arch9wavefront6targetE0EEEvT1_
; %bb.0:
	.section	.rodata,"a",@progbits
	.p2align	6, 0x0
	.amdhsa_kernel _ZN7rocprim17ROCPRIM_400000_NS6detail17trampoline_kernelINS0_14default_configENS1_25partition_config_selectorILNS1_17partition_subalgoE6EN6thrust23THRUST_200600_302600_NS5tupleIttNS7_9null_typeES9_S9_S9_S9_S9_S9_S9_EENS0_10empty_typeEbEEZZNS1_14partition_implILS5_6ELb0ES3_mNS7_12zip_iteratorINS8_INS7_6detail15normal_iteratorINS7_10device_ptrItEEEESJ_S9_S9_S9_S9_S9_S9_S9_S9_EEEEPSB_SM_NS0_5tupleIJNSE_INS8_ISJ_NS7_16discard_iteratorINS7_11use_defaultEEES9_S9_S9_S9_S9_S9_S9_S9_EEEESB_EEENSN_IJSM_SM_EEESB_PlJNSF_9not_fun_tINSF_14equal_to_valueISA_EEEEEEE10hipError_tPvRmT3_T4_T5_T6_T7_T9_mT8_P12ihipStream_tbDpT10_ENKUlT_T0_E_clISt17integral_constantIbLb0EES1I_IbLb1EEEEDaS1E_S1F_EUlS1E_E_NS1_11comp_targetILNS1_3genE2ELNS1_11target_archE906ELNS1_3gpuE6ELNS1_3repE0EEENS1_30default_config_static_selectorELNS0_4arch9wavefront6targetE0EEEvT1_
		.amdhsa_group_segment_fixed_size 0
		.amdhsa_private_segment_fixed_size 0
		.amdhsa_kernarg_size 152
		.amdhsa_user_sgpr_count 2
		.amdhsa_user_sgpr_dispatch_ptr 0
		.amdhsa_user_sgpr_queue_ptr 0
		.amdhsa_user_sgpr_kernarg_segment_ptr 1
		.amdhsa_user_sgpr_dispatch_id 0
		.amdhsa_user_sgpr_private_segment_size 0
		.amdhsa_wavefront_size32 1
		.amdhsa_uses_dynamic_stack 0
		.amdhsa_enable_private_segment 0
		.amdhsa_system_sgpr_workgroup_id_x 1
		.amdhsa_system_sgpr_workgroup_id_y 0
		.amdhsa_system_sgpr_workgroup_id_z 0
		.amdhsa_system_sgpr_workgroup_info 0
		.amdhsa_system_vgpr_workitem_id 0
		.amdhsa_next_free_vgpr 1
		.amdhsa_next_free_sgpr 1
		.amdhsa_reserve_vcc 0
		.amdhsa_float_round_mode_32 0
		.amdhsa_float_round_mode_16_64 0
		.amdhsa_float_denorm_mode_32 3
		.amdhsa_float_denorm_mode_16_64 3
		.amdhsa_fp16_overflow 0
		.amdhsa_workgroup_processor_mode 1
		.amdhsa_memory_ordered 1
		.amdhsa_forward_progress 1
		.amdhsa_inst_pref_size 0
		.amdhsa_round_robin_scheduling 0
		.amdhsa_exception_fp_ieee_invalid_op 0
		.amdhsa_exception_fp_denorm_src 0
		.amdhsa_exception_fp_ieee_div_zero 0
		.amdhsa_exception_fp_ieee_overflow 0
		.amdhsa_exception_fp_ieee_underflow 0
		.amdhsa_exception_fp_ieee_inexact 0
		.amdhsa_exception_int_div_zero 0
	.end_amdhsa_kernel
	.section	.text._ZN7rocprim17ROCPRIM_400000_NS6detail17trampoline_kernelINS0_14default_configENS1_25partition_config_selectorILNS1_17partition_subalgoE6EN6thrust23THRUST_200600_302600_NS5tupleIttNS7_9null_typeES9_S9_S9_S9_S9_S9_S9_EENS0_10empty_typeEbEEZZNS1_14partition_implILS5_6ELb0ES3_mNS7_12zip_iteratorINS8_INS7_6detail15normal_iteratorINS7_10device_ptrItEEEESJ_S9_S9_S9_S9_S9_S9_S9_S9_EEEEPSB_SM_NS0_5tupleIJNSE_INS8_ISJ_NS7_16discard_iteratorINS7_11use_defaultEEES9_S9_S9_S9_S9_S9_S9_S9_EEEESB_EEENSN_IJSM_SM_EEESB_PlJNSF_9not_fun_tINSF_14equal_to_valueISA_EEEEEEE10hipError_tPvRmT3_T4_T5_T6_T7_T9_mT8_P12ihipStream_tbDpT10_ENKUlT_T0_E_clISt17integral_constantIbLb0EES1I_IbLb1EEEEDaS1E_S1F_EUlS1E_E_NS1_11comp_targetILNS1_3genE2ELNS1_11target_archE906ELNS1_3gpuE6ELNS1_3repE0EEENS1_30default_config_static_selectorELNS0_4arch9wavefront6targetE0EEEvT1_,"axG",@progbits,_ZN7rocprim17ROCPRIM_400000_NS6detail17trampoline_kernelINS0_14default_configENS1_25partition_config_selectorILNS1_17partition_subalgoE6EN6thrust23THRUST_200600_302600_NS5tupleIttNS7_9null_typeES9_S9_S9_S9_S9_S9_S9_EENS0_10empty_typeEbEEZZNS1_14partition_implILS5_6ELb0ES3_mNS7_12zip_iteratorINS8_INS7_6detail15normal_iteratorINS7_10device_ptrItEEEESJ_S9_S9_S9_S9_S9_S9_S9_S9_EEEEPSB_SM_NS0_5tupleIJNSE_INS8_ISJ_NS7_16discard_iteratorINS7_11use_defaultEEES9_S9_S9_S9_S9_S9_S9_S9_EEEESB_EEENSN_IJSM_SM_EEESB_PlJNSF_9not_fun_tINSF_14equal_to_valueISA_EEEEEEE10hipError_tPvRmT3_T4_T5_T6_T7_T9_mT8_P12ihipStream_tbDpT10_ENKUlT_T0_E_clISt17integral_constantIbLb0EES1I_IbLb1EEEEDaS1E_S1F_EUlS1E_E_NS1_11comp_targetILNS1_3genE2ELNS1_11target_archE906ELNS1_3gpuE6ELNS1_3repE0EEENS1_30default_config_static_selectorELNS0_4arch9wavefront6targetE0EEEvT1_,comdat
.Lfunc_end1977:
	.size	_ZN7rocprim17ROCPRIM_400000_NS6detail17trampoline_kernelINS0_14default_configENS1_25partition_config_selectorILNS1_17partition_subalgoE6EN6thrust23THRUST_200600_302600_NS5tupleIttNS7_9null_typeES9_S9_S9_S9_S9_S9_S9_EENS0_10empty_typeEbEEZZNS1_14partition_implILS5_6ELb0ES3_mNS7_12zip_iteratorINS8_INS7_6detail15normal_iteratorINS7_10device_ptrItEEEESJ_S9_S9_S9_S9_S9_S9_S9_S9_EEEEPSB_SM_NS0_5tupleIJNSE_INS8_ISJ_NS7_16discard_iteratorINS7_11use_defaultEEES9_S9_S9_S9_S9_S9_S9_S9_EEEESB_EEENSN_IJSM_SM_EEESB_PlJNSF_9not_fun_tINSF_14equal_to_valueISA_EEEEEEE10hipError_tPvRmT3_T4_T5_T6_T7_T9_mT8_P12ihipStream_tbDpT10_ENKUlT_T0_E_clISt17integral_constantIbLb0EES1I_IbLb1EEEEDaS1E_S1F_EUlS1E_E_NS1_11comp_targetILNS1_3genE2ELNS1_11target_archE906ELNS1_3gpuE6ELNS1_3repE0EEENS1_30default_config_static_selectorELNS0_4arch9wavefront6targetE0EEEvT1_, .Lfunc_end1977-_ZN7rocprim17ROCPRIM_400000_NS6detail17trampoline_kernelINS0_14default_configENS1_25partition_config_selectorILNS1_17partition_subalgoE6EN6thrust23THRUST_200600_302600_NS5tupleIttNS7_9null_typeES9_S9_S9_S9_S9_S9_S9_EENS0_10empty_typeEbEEZZNS1_14partition_implILS5_6ELb0ES3_mNS7_12zip_iteratorINS8_INS7_6detail15normal_iteratorINS7_10device_ptrItEEEESJ_S9_S9_S9_S9_S9_S9_S9_S9_EEEEPSB_SM_NS0_5tupleIJNSE_INS8_ISJ_NS7_16discard_iteratorINS7_11use_defaultEEES9_S9_S9_S9_S9_S9_S9_S9_EEEESB_EEENSN_IJSM_SM_EEESB_PlJNSF_9not_fun_tINSF_14equal_to_valueISA_EEEEEEE10hipError_tPvRmT3_T4_T5_T6_T7_T9_mT8_P12ihipStream_tbDpT10_ENKUlT_T0_E_clISt17integral_constantIbLb0EES1I_IbLb1EEEEDaS1E_S1F_EUlS1E_E_NS1_11comp_targetILNS1_3genE2ELNS1_11target_archE906ELNS1_3gpuE6ELNS1_3repE0EEENS1_30default_config_static_selectorELNS0_4arch9wavefront6targetE0EEEvT1_
                                        ; -- End function
	.set _ZN7rocprim17ROCPRIM_400000_NS6detail17trampoline_kernelINS0_14default_configENS1_25partition_config_selectorILNS1_17partition_subalgoE6EN6thrust23THRUST_200600_302600_NS5tupleIttNS7_9null_typeES9_S9_S9_S9_S9_S9_S9_EENS0_10empty_typeEbEEZZNS1_14partition_implILS5_6ELb0ES3_mNS7_12zip_iteratorINS8_INS7_6detail15normal_iteratorINS7_10device_ptrItEEEESJ_S9_S9_S9_S9_S9_S9_S9_S9_EEEEPSB_SM_NS0_5tupleIJNSE_INS8_ISJ_NS7_16discard_iteratorINS7_11use_defaultEEES9_S9_S9_S9_S9_S9_S9_S9_EEEESB_EEENSN_IJSM_SM_EEESB_PlJNSF_9not_fun_tINSF_14equal_to_valueISA_EEEEEEE10hipError_tPvRmT3_T4_T5_T6_T7_T9_mT8_P12ihipStream_tbDpT10_ENKUlT_T0_E_clISt17integral_constantIbLb0EES1I_IbLb1EEEEDaS1E_S1F_EUlS1E_E_NS1_11comp_targetILNS1_3genE2ELNS1_11target_archE906ELNS1_3gpuE6ELNS1_3repE0EEENS1_30default_config_static_selectorELNS0_4arch9wavefront6targetE0EEEvT1_.num_vgpr, 0
	.set _ZN7rocprim17ROCPRIM_400000_NS6detail17trampoline_kernelINS0_14default_configENS1_25partition_config_selectorILNS1_17partition_subalgoE6EN6thrust23THRUST_200600_302600_NS5tupleIttNS7_9null_typeES9_S9_S9_S9_S9_S9_S9_EENS0_10empty_typeEbEEZZNS1_14partition_implILS5_6ELb0ES3_mNS7_12zip_iteratorINS8_INS7_6detail15normal_iteratorINS7_10device_ptrItEEEESJ_S9_S9_S9_S9_S9_S9_S9_S9_EEEEPSB_SM_NS0_5tupleIJNSE_INS8_ISJ_NS7_16discard_iteratorINS7_11use_defaultEEES9_S9_S9_S9_S9_S9_S9_S9_EEEESB_EEENSN_IJSM_SM_EEESB_PlJNSF_9not_fun_tINSF_14equal_to_valueISA_EEEEEEE10hipError_tPvRmT3_T4_T5_T6_T7_T9_mT8_P12ihipStream_tbDpT10_ENKUlT_T0_E_clISt17integral_constantIbLb0EES1I_IbLb1EEEEDaS1E_S1F_EUlS1E_E_NS1_11comp_targetILNS1_3genE2ELNS1_11target_archE906ELNS1_3gpuE6ELNS1_3repE0EEENS1_30default_config_static_selectorELNS0_4arch9wavefront6targetE0EEEvT1_.num_agpr, 0
	.set _ZN7rocprim17ROCPRIM_400000_NS6detail17trampoline_kernelINS0_14default_configENS1_25partition_config_selectorILNS1_17partition_subalgoE6EN6thrust23THRUST_200600_302600_NS5tupleIttNS7_9null_typeES9_S9_S9_S9_S9_S9_S9_EENS0_10empty_typeEbEEZZNS1_14partition_implILS5_6ELb0ES3_mNS7_12zip_iteratorINS8_INS7_6detail15normal_iteratorINS7_10device_ptrItEEEESJ_S9_S9_S9_S9_S9_S9_S9_S9_EEEEPSB_SM_NS0_5tupleIJNSE_INS8_ISJ_NS7_16discard_iteratorINS7_11use_defaultEEES9_S9_S9_S9_S9_S9_S9_S9_EEEESB_EEENSN_IJSM_SM_EEESB_PlJNSF_9not_fun_tINSF_14equal_to_valueISA_EEEEEEE10hipError_tPvRmT3_T4_T5_T6_T7_T9_mT8_P12ihipStream_tbDpT10_ENKUlT_T0_E_clISt17integral_constantIbLb0EES1I_IbLb1EEEEDaS1E_S1F_EUlS1E_E_NS1_11comp_targetILNS1_3genE2ELNS1_11target_archE906ELNS1_3gpuE6ELNS1_3repE0EEENS1_30default_config_static_selectorELNS0_4arch9wavefront6targetE0EEEvT1_.numbered_sgpr, 0
	.set _ZN7rocprim17ROCPRIM_400000_NS6detail17trampoline_kernelINS0_14default_configENS1_25partition_config_selectorILNS1_17partition_subalgoE6EN6thrust23THRUST_200600_302600_NS5tupleIttNS7_9null_typeES9_S9_S9_S9_S9_S9_S9_EENS0_10empty_typeEbEEZZNS1_14partition_implILS5_6ELb0ES3_mNS7_12zip_iteratorINS8_INS7_6detail15normal_iteratorINS7_10device_ptrItEEEESJ_S9_S9_S9_S9_S9_S9_S9_S9_EEEEPSB_SM_NS0_5tupleIJNSE_INS8_ISJ_NS7_16discard_iteratorINS7_11use_defaultEEES9_S9_S9_S9_S9_S9_S9_S9_EEEESB_EEENSN_IJSM_SM_EEESB_PlJNSF_9not_fun_tINSF_14equal_to_valueISA_EEEEEEE10hipError_tPvRmT3_T4_T5_T6_T7_T9_mT8_P12ihipStream_tbDpT10_ENKUlT_T0_E_clISt17integral_constantIbLb0EES1I_IbLb1EEEEDaS1E_S1F_EUlS1E_E_NS1_11comp_targetILNS1_3genE2ELNS1_11target_archE906ELNS1_3gpuE6ELNS1_3repE0EEENS1_30default_config_static_selectorELNS0_4arch9wavefront6targetE0EEEvT1_.num_named_barrier, 0
	.set _ZN7rocprim17ROCPRIM_400000_NS6detail17trampoline_kernelINS0_14default_configENS1_25partition_config_selectorILNS1_17partition_subalgoE6EN6thrust23THRUST_200600_302600_NS5tupleIttNS7_9null_typeES9_S9_S9_S9_S9_S9_S9_EENS0_10empty_typeEbEEZZNS1_14partition_implILS5_6ELb0ES3_mNS7_12zip_iteratorINS8_INS7_6detail15normal_iteratorINS7_10device_ptrItEEEESJ_S9_S9_S9_S9_S9_S9_S9_S9_EEEEPSB_SM_NS0_5tupleIJNSE_INS8_ISJ_NS7_16discard_iteratorINS7_11use_defaultEEES9_S9_S9_S9_S9_S9_S9_S9_EEEESB_EEENSN_IJSM_SM_EEESB_PlJNSF_9not_fun_tINSF_14equal_to_valueISA_EEEEEEE10hipError_tPvRmT3_T4_T5_T6_T7_T9_mT8_P12ihipStream_tbDpT10_ENKUlT_T0_E_clISt17integral_constantIbLb0EES1I_IbLb1EEEEDaS1E_S1F_EUlS1E_E_NS1_11comp_targetILNS1_3genE2ELNS1_11target_archE906ELNS1_3gpuE6ELNS1_3repE0EEENS1_30default_config_static_selectorELNS0_4arch9wavefront6targetE0EEEvT1_.private_seg_size, 0
	.set _ZN7rocprim17ROCPRIM_400000_NS6detail17trampoline_kernelINS0_14default_configENS1_25partition_config_selectorILNS1_17partition_subalgoE6EN6thrust23THRUST_200600_302600_NS5tupleIttNS7_9null_typeES9_S9_S9_S9_S9_S9_S9_EENS0_10empty_typeEbEEZZNS1_14partition_implILS5_6ELb0ES3_mNS7_12zip_iteratorINS8_INS7_6detail15normal_iteratorINS7_10device_ptrItEEEESJ_S9_S9_S9_S9_S9_S9_S9_S9_EEEEPSB_SM_NS0_5tupleIJNSE_INS8_ISJ_NS7_16discard_iteratorINS7_11use_defaultEEES9_S9_S9_S9_S9_S9_S9_S9_EEEESB_EEENSN_IJSM_SM_EEESB_PlJNSF_9not_fun_tINSF_14equal_to_valueISA_EEEEEEE10hipError_tPvRmT3_T4_T5_T6_T7_T9_mT8_P12ihipStream_tbDpT10_ENKUlT_T0_E_clISt17integral_constantIbLb0EES1I_IbLb1EEEEDaS1E_S1F_EUlS1E_E_NS1_11comp_targetILNS1_3genE2ELNS1_11target_archE906ELNS1_3gpuE6ELNS1_3repE0EEENS1_30default_config_static_selectorELNS0_4arch9wavefront6targetE0EEEvT1_.uses_vcc, 0
	.set _ZN7rocprim17ROCPRIM_400000_NS6detail17trampoline_kernelINS0_14default_configENS1_25partition_config_selectorILNS1_17partition_subalgoE6EN6thrust23THRUST_200600_302600_NS5tupleIttNS7_9null_typeES9_S9_S9_S9_S9_S9_S9_EENS0_10empty_typeEbEEZZNS1_14partition_implILS5_6ELb0ES3_mNS7_12zip_iteratorINS8_INS7_6detail15normal_iteratorINS7_10device_ptrItEEEESJ_S9_S9_S9_S9_S9_S9_S9_S9_EEEEPSB_SM_NS0_5tupleIJNSE_INS8_ISJ_NS7_16discard_iteratorINS7_11use_defaultEEES9_S9_S9_S9_S9_S9_S9_S9_EEEESB_EEENSN_IJSM_SM_EEESB_PlJNSF_9not_fun_tINSF_14equal_to_valueISA_EEEEEEE10hipError_tPvRmT3_T4_T5_T6_T7_T9_mT8_P12ihipStream_tbDpT10_ENKUlT_T0_E_clISt17integral_constantIbLb0EES1I_IbLb1EEEEDaS1E_S1F_EUlS1E_E_NS1_11comp_targetILNS1_3genE2ELNS1_11target_archE906ELNS1_3gpuE6ELNS1_3repE0EEENS1_30default_config_static_selectorELNS0_4arch9wavefront6targetE0EEEvT1_.uses_flat_scratch, 0
	.set _ZN7rocprim17ROCPRIM_400000_NS6detail17trampoline_kernelINS0_14default_configENS1_25partition_config_selectorILNS1_17partition_subalgoE6EN6thrust23THRUST_200600_302600_NS5tupleIttNS7_9null_typeES9_S9_S9_S9_S9_S9_S9_EENS0_10empty_typeEbEEZZNS1_14partition_implILS5_6ELb0ES3_mNS7_12zip_iteratorINS8_INS7_6detail15normal_iteratorINS7_10device_ptrItEEEESJ_S9_S9_S9_S9_S9_S9_S9_S9_EEEEPSB_SM_NS0_5tupleIJNSE_INS8_ISJ_NS7_16discard_iteratorINS7_11use_defaultEEES9_S9_S9_S9_S9_S9_S9_S9_EEEESB_EEENSN_IJSM_SM_EEESB_PlJNSF_9not_fun_tINSF_14equal_to_valueISA_EEEEEEE10hipError_tPvRmT3_T4_T5_T6_T7_T9_mT8_P12ihipStream_tbDpT10_ENKUlT_T0_E_clISt17integral_constantIbLb0EES1I_IbLb1EEEEDaS1E_S1F_EUlS1E_E_NS1_11comp_targetILNS1_3genE2ELNS1_11target_archE906ELNS1_3gpuE6ELNS1_3repE0EEENS1_30default_config_static_selectorELNS0_4arch9wavefront6targetE0EEEvT1_.has_dyn_sized_stack, 0
	.set _ZN7rocprim17ROCPRIM_400000_NS6detail17trampoline_kernelINS0_14default_configENS1_25partition_config_selectorILNS1_17partition_subalgoE6EN6thrust23THRUST_200600_302600_NS5tupleIttNS7_9null_typeES9_S9_S9_S9_S9_S9_S9_EENS0_10empty_typeEbEEZZNS1_14partition_implILS5_6ELb0ES3_mNS7_12zip_iteratorINS8_INS7_6detail15normal_iteratorINS7_10device_ptrItEEEESJ_S9_S9_S9_S9_S9_S9_S9_S9_EEEEPSB_SM_NS0_5tupleIJNSE_INS8_ISJ_NS7_16discard_iteratorINS7_11use_defaultEEES9_S9_S9_S9_S9_S9_S9_S9_EEEESB_EEENSN_IJSM_SM_EEESB_PlJNSF_9not_fun_tINSF_14equal_to_valueISA_EEEEEEE10hipError_tPvRmT3_T4_T5_T6_T7_T9_mT8_P12ihipStream_tbDpT10_ENKUlT_T0_E_clISt17integral_constantIbLb0EES1I_IbLb1EEEEDaS1E_S1F_EUlS1E_E_NS1_11comp_targetILNS1_3genE2ELNS1_11target_archE906ELNS1_3gpuE6ELNS1_3repE0EEENS1_30default_config_static_selectorELNS0_4arch9wavefront6targetE0EEEvT1_.has_recursion, 0
	.set _ZN7rocprim17ROCPRIM_400000_NS6detail17trampoline_kernelINS0_14default_configENS1_25partition_config_selectorILNS1_17partition_subalgoE6EN6thrust23THRUST_200600_302600_NS5tupleIttNS7_9null_typeES9_S9_S9_S9_S9_S9_S9_EENS0_10empty_typeEbEEZZNS1_14partition_implILS5_6ELb0ES3_mNS7_12zip_iteratorINS8_INS7_6detail15normal_iteratorINS7_10device_ptrItEEEESJ_S9_S9_S9_S9_S9_S9_S9_S9_EEEEPSB_SM_NS0_5tupleIJNSE_INS8_ISJ_NS7_16discard_iteratorINS7_11use_defaultEEES9_S9_S9_S9_S9_S9_S9_S9_EEEESB_EEENSN_IJSM_SM_EEESB_PlJNSF_9not_fun_tINSF_14equal_to_valueISA_EEEEEEE10hipError_tPvRmT3_T4_T5_T6_T7_T9_mT8_P12ihipStream_tbDpT10_ENKUlT_T0_E_clISt17integral_constantIbLb0EES1I_IbLb1EEEEDaS1E_S1F_EUlS1E_E_NS1_11comp_targetILNS1_3genE2ELNS1_11target_archE906ELNS1_3gpuE6ELNS1_3repE0EEENS1_30default_config_static_selectorELNS0_4arch9wavefront6targetE0EEEvT1_.has_indirect_call, 0
	.section	.AMDGPU.csdata,"",@progbits
; Kernel info:
; codeLenInByte = 0
; TotalNumSgprs: 0
; NumVgprs: 0
; ScratchSize: 0
; MemoryBound: 0
; FloatMode: 240
; IeeeMode: 1
; LDSByteSize: 0 bytes/workgroup (compile time only)
; SGPRBlocks: 0
; VGPRBlocks: 0
; NumSGPRsForWavesPerEU: 1
; NumVGPRsForWavesPerEU: 1
; Occupancy: 16
; WaveLimiterHint : 0
; COMPUTE_PGM_RSRC2:SCRATCH_EN: 0
; COMPUTE_PGM_RSRC2:USER_SGPR: 2
; COMPUTE_PGM_RSRC2:TRAP_HANDLER: 0
; COMPUTE_PGM_RSRC2:TGID_X_EN: 1
; COMPUTE_PGM_RSRC2:TGID_Y_EN: 0
; COMPUTE_PGM_RSRC2:TGID_Z_EN: 0
; COMPUTE_PGM_RSRC2:TIDIG_COMP_CNT: 0
	.section	.text._ZN7rocprim17ROCPRIM_400000_NS6detail17trampoline_kernelINS0_14default_configENS1_25partition_config_selectorILNS1_17partition_subalgoE6EN6thrust23THRUST_200600_302600_NS5tupleIttNS7_9null_typeES9_S9_S9_S9_S9_S9_S9_EENS0_10empty_typeEbEEZZNS1_14partition_implILS5_6ELb0ES3_mNS7_12zip_iteratorINS8_INS7_6detail15normal_iteratorINS7_10device_ptrItEEEESJ_S9_S9_S9_S9_S9_S9_S9_S9_EEEEPSB_SM_NS0_5tupleIJNSE_INS8_ISJ_NS7_16discard_iteratorINS7_11use_defaultEEES9_S9_S9_S9_S9_S9_S9_S9_EEEESB_EEENSN_IJSM_SM_EEESB_PlJNSF_9not_fun_tINSF_14equal_to_valueISA_EEEEEEE10hipError_tPvRmT3_T4_T5_T6_T7_T9_mT8_P12ihipStream_tbDpT10_ENKUlT_T0_E_clISt17integral_constantIbLb0EES1I_IbLb1EEEEDaS1E_S1F_EUlS1E_E_NS1_11comp_targetILNS1_3genE10ELNS1_11target_archE1200ELNS1_3gpuE4ELNS1_3repE0EEENS1_30default_config_static_selectorELNS0_4arch9wavefront6targetE0EEEvT1_,"axG",@progbits,_ZN7rocprim17ROCPRIM_400000_NS6detail17trampoline_kernelINS0_14default_configENS1_25partition_config_selectorILNS1_17partition_subalgoE6EN6thrust23THRUST_200600_302600_NS5tupleIttNS7_9null_typeES9_S9_S9_S9_S9_S9_S9_EENS0_10empty_typeEbEEZZNS1_14partition_implILS5_6ELb0ES3_mNS7_12zip_iteratorINS8_INS7_6detail15normal_iteratorINS7_10device_ptrItEEEESJ_S9_S9_S9_S9_S9_S9_S9_S9_EEEEPSB_SM_NS0_5tupleIJNSE_INS8_ISJ_NS7_16discard_iteratorINS7_11use_defaultEEES9_S9_S9_S9_S9_S9_S9_S9_EEEESB_EEENSN_IJSM_SM_EEESB_PlJNSF_9not_fun_tINSF_14equal_to_valueISA_EEEEEEE10hipError_tPvRmT3_T4_T5_T6_T7_T9_mT8_P12ihipStream_tbDpT10_ENKUlT_T0_E_clISt17integral_constantIbLb0EES1I_IbLb1EEEEDaS1E_S1F_EUlS1E_E_NS1_11comp_targetILNS1_3genE10ELNS1_11target_archE1200ELNS1_3gpuE4ELNS1_3repE0EEENS1_30default_config_static_selectorELNS0_4arch9wavefront6targetE0EEEvT1_,comdat
	.protected	_ZN7rocprim17ROCPRIM_400000_NS6detail17trampoline_kernelINS0_14default_configENS1_25partition_config_selectorILNS1_17partition_subalgoE6EN6thrust23THRUST_200600_302600_NS5tupleIttNS7_9null_typeES9_S9_S9_S9_S9_S9_S9_EENS0_10empty_typeEbEEZZNS1_14partition_implILS5_6ELb0ES3_mNS7_12zip_iteratorINS8_INS7_6detail15normal_iteratorINS7_10device_ptrItEEEESJ_S9_S9_S9_S9_S9_S9_S9_S9_EEEEPSB_SM_NS0_5tupleIJNSE_INS8_ISJ_NS7_16discard_iteratorINS7_11use_defaultEEES9_S9_S9_S9_S9_S9_S9_S9_EEEESB_EEENSN_IJSM_SM_EEESB_PlJNSF_9not_fun_tINSF_14equal_to_valueISA_EEEEEEE10hipError_tPvRmT3_T4_T5_T6_T7_T9_mT8_P12ihipStream_tbDpT10_ENKUlT_T0_E_clISt17integral_constantIbLb0EES1I_IbLb1EEEEDaS1E_S1F_EUlS1E_E_NS1_11comp_targetILNS1_3genE10ELNS1_11target_archE1200ELNS1_3gpuE4ELNS1_3repE0EEENS1_30default_config_static_selectorELNS0_4arch9wavefront6targetE0EEEvT1_ ; -- Begin function _ZN7rocprim17ROCPRIM_400000_NS6detail17trampoline_kernelINS0_14default_configENS1_25partition_config_selectorILNS1_17partition_subalgoE6EN6thrust23THRUST_200600_302600_NS5tupleIttNS7_9null_typeES9_S9_S9_S9_S9_S9_S9_EENS0_10empty_typeEbEEZZNS1_14partition_implILS5_6ELb0ES3_mNS7_12zip_iteratorINS8_INS7_6detail15normal_iteratorINS7_10device_ptrItEEEESJ_S9_S9_S9_S9_S9_S9_S9_S9_EEEEPSB_SM_NS0_5tupleIJNSE_INS8_ISJ_NS7_16discard_iteratorINS7_11use_defaultEEES9_S9_S9_S9_S9_S9_S9_S9_EEEESB_EEENSN_IJSM_SM_EEESB_PlJNSF_9not_fun_tINSF_14equal_to_valueISA_EEEEEEE10hipError_tPvRmT3_T4_T5_T6_T7_T9_mT8_P12ihipStream_tbDpT10_ENKUlT_T0_E_clISt17integral_constantIbLb0EES1I_IbLb1EEEEDaS1E_S1F_EUlS1E_E_NS1_11comp_targetILNS1_3genE10ELNS1_11target_archE1200ELNS1_3gpuE4ELNS1_3repE0EEENS1_30default_config_static_selectorELNS0_4arch9wavefront6targetE0EEEvT1_
	.globl	_ZN7rocprim17ROCPRIM_400000_NS6detail17trampoline_kernelINS0_14default_configENS1_25partition_config_selectorILNS1_17partition_subalgoE6EN6thrust23THRUST_200600_302600_NS5tupleIttNS7_9null_typeES9_S9_S9_S9_S9_S9_S9_EENS0_10empty_typeEbEEZZNS1_14partition_implILS5_6ELb0ES3_mNS7_12zip_iteratorINS8_INS7_6detail15normal_iteratorINS7_10device_ptrItEEEESJ_S9_S9_S9_S9_S9_S9_S9_S9_EEEEPSB_SM_NS0_5tupleIJNSE_INS8_ISJ_NS7_16discard_iteratorINS7_11use_defaultEEES9_S9_S9_S9_S9_S9_S9_S9_EEEESB_EEENSN_IJSM_SM_EEESB_PlJNSF_9not_fun_tINSF_14equal_to_valueISA_EEEEEEE10hipError_tPvRmT3_T4_T5_T6_T7_T9_mT8_P12ihipStream_tbDpT10_ENKUlT_T0_E_clISt17integral_constantIbLb0EES1I_IbLb1EEEEDaS1E_S1F_EUlS1E_E_NS1_11comp_targetILNS1_3genE10ELNS1_11target_archE1200ELNS1_3gpuE4ELNS1_3repE0EEENS1_30default_config_static_selectorELNS0_4arch9wavefront6targetE0EEEvT1_
	.p2align	8
	.type	_ZN7rocprim17ROCPRIM_400000_NS6detail17trampoline_kernelINS0_14default_configENS1_25partition_config_selectorILNS1_17partition_subalgoE6EN6thrust23THRUST_200600_302600_NS5tupleIttNS7_9null_typeES9_S9_S9_S9_S9_S9_S9_EENS0_10empty_typeEbEEZZNS1_14partition_implILS5_6ELb0ES3_mNS7_12zip_iteratorINS8_INS7_6detail15normal_iteratorINS7_10device_ptrItEEEESJ_S9_S9_S9_S9_S9_S9_S9_S9_EEEEPSB_SM_NS0_5tupleIJNSE_INS8_ISJ_NS7_16discard_iteratorINS7_11use_defaultEEES9_S9_S9_S9_S9_S9_S9_S9_EEEESB_EEENSN_IJSM_SM_EEESB_PlJNSF_9not_fun_tINSF_14equal_to_valueISA_EEEEEEE10hipError_tPvRmT3_T4_T5_T6_T7_T9_mT8_P12ihipStream_tbDpT10_ENKUlT_T0_E_clISt17integral_constantIbLb0EES1I_IbLb1EEEEDaS1E_S1F_EUlS1E_E_NS1_11comp_targetILNS1_3genE10ELNS1_11target_archE1200ELNS1_3gpuE4ELNS1_3repE0EEENS1_30default_config_static_selectorELNS0_4arch9wavefront6targetE0EEEvT1_,@function
_ZN7rocprim17ROCPRIM_400000_NS6detail17trampoline_kernelINS0_14default_configENS1_25partition_config_selectorILNS1_17partition_subalgoE6EN6thrust23THRUST_200600_302600_NS5tupleIttNS7_9null_typeES9_S9_S9_S9_S9_S9_S9_EENS0_10empty_typeEbEEZZNS1_14partition_implILS5_6ELb0ES3_mNS7_12zip_iteratorINS8_INS7_6detail15normal_iteratorINS7_10device_ptrItEEEESJ_S9_S9_S9_S9_S9_S9_S9_S9_EEEEPSB_SM_NS0_5tupleIJNSE_INS8_ISJ_NS7_16discard_iteratorINS7_11use_defaultEEES9_S9_S9_S9_S9_S9_S9_S9_EEEESB_EEENSN_IJSM_SM_EEESB_PlJNSF_9not_fun_tINSF_14equal_to_valueISA_EEEEEEE10hipError_tPvRmT3_T4_T5_T6_T7_T9_mT8_P12ihipStream_tbDpT10_ENKUlT_T0_E_clISt17integral_constantIbLb0EES1I_IbLb1EEEEDaS1E_S1F_EUlS1E_E_NS1_11comp_targetILNS1_3genE10ELNS1_11target_archE1200ELNS1_3gpuE4ELNS1_3repE0EEENS1_30default_config_static_selectorELNS0_4arch9wavefront6targetE0EEEvT1_: ; @_ZN7rocprim17ROCPRIM_400000_NS6detail17trampoline_kernelINS0_14default_configENS1_25partition_config_selectorILNS1_17partition_subalgoE6EN6thrust23THRUST_200600_302600_NS5tupleIttNS7_9null_typeES9_S9_S9_S9_S9_S9_S9_EENS0_10empty_typeEbEEZZNS1_14partition_implILS5_6ELb0ES3_mNS7_12zip_iteratorINS8_INS7_6detail15normal_iteratorINS7_10device_ptrItEEEESJ_S9_S9_S9_S9_S9_S9_S9_S9_EEEEPSB_SM_NS0_5tupleIJNSE_INS8_ISJ_NS7_16discard_iteratorINS7_11use_defaultEEES9_S9_S9_S9_S9_S9_S9_S9_EEEESB_EEENSN_IJSM_SM_EEESB_PlJNSF_9not_fun_tINSF_14equal_to_valueISA_EEEEEEE10hipError_tPvRmT3_T4_T5_T6_T7_T9_mT8_P12ihipStream_tbDpT10_ENKUlT_T0_E_clISt17integral_constantIbLb0EES1I_IbLb1EEEEDaS1E_S1F_EUlS1E_E_NS1_11comp_targetILNS1_3genE10ELNS1_11target_archE1200ELNS1_3gpuE4ELNS1_3repE0EEENS1_30default_config_static_selectorELNS0_4arch9wavefront6targetE0EEEvT1_
; %bb.0:
	s_clause 0x6
	s_load_b128 s[4:7], s[0:1], 0x8
	s_load_b64 s[18:19], s[0:1], 0x18
	s_load_b64 s[10:11], s[0:1], 0x30
	s_load_b128 s[12:15], s[0:1], 0x58
	s_load_b64 s[8:9], s[0:1], 0x68
	s_load_b64 s[16:17], s[0:1], 0x78
	s_load_b32 s21, s[0:1], 0x90
	v_cmp_eq_u32_e64 s2, 0, v0
	s_and_saveexec_b32 s3, s2
	s_cbranch_execz .LBB1978_4
; %bb.1:
	s_mov_b32 s22, exec_lo
	s_mov_b32 s20, exec_lo
	v_mbcnt_lo_u32_b32 v1, s22, 0
                                        ; implicit-def: $vgpr2
	s_delay_alu instid0(VALU_DEP_1)
	v_cmpx_eq_u32_e32 0, v1
	s_cbranch_execz .LBB1978_3
; %bb.2:
	s_load_b64 s[24:25], s[0:1], 0x88
	s_bcnt1_i32_b32 s22, s22
	s_wait_alu 0xfffe
	v_dual_mov_b32 v2, 0 :: v_dual_mov_b32 v3, s22
	s_wait_kmcnt 0x0
	global_atomic_add_u32 v2, v2, v3, s[24:25] th:TH_ATOMIC_RETURN scope:SCOPE_DEV
.LBB1978_3:
	s_or_b32 exec_lo, exec_lo, s20
	s_wait_loadcnt 0x0
	v_readfirstlane_b32 s20, v2
	s_delay_alu instid0(VALU_DEP_1)
	v_dual_mov_b32 v2, 0 :: v_dual_add_nc_u32 v1, s20, v1
	ds_store_b32 v2, v1
.LBB1978_4:
	s_or_b32 exec_lo, exec_lo, s3
	v_mov_b32_e32 v1, 0
	s_wait_dscnt 0x0
	s_barrier_signal -1
	s_barrier_wait -1
	global_inv scope:SCOPE_SE
	ds_load_b32 v2, v1
	s_wait_loadcnt_dscnt 0x0
	s_barrier_signal -1
	s_barrier_wait -1
	global_inv scope:SCOPE_SE
	s_load_b32 s0, s[0:1], 0x80
	s_mov_b32 s23, 0
	v_readfirstlane_b32 s20, v2
	v_lshlrev_b32_e32 v2, 1, v0
	s_wait_kmcnt 0x0
	global_load_b64 v[9:10], v1, s[14:15]
	s_lshl_b64 s[14:15], s[18:19], 1
	v_lshlrev_b32_e32 v1, 2, v0
	s_mul_i32 s22, s0, 0xa80
	s_add_co_i32 s3, s0, -1
	s_wait_alu 0xfffe
	s_add_nc_u64 s[0:1], s[18:19], s[22:23]
	s_add_nc_u64 s[4:5], s[4:5], s[14:15]
	;; [unrolled: 1-line block ×3, first 2 shown]
	s_add_co_i32 s14, s22, s18
	v_cmp_le_u64_e64 s0, s[8:9], s[0:1]
	s_sub_co_i32 s18, s8, s14
	s_cmp_eq_u32 s20, s3
	s_mul_i32 s22, s20, 0xa80
	s_cselect_b32 s14, -1, 0
	s_wait_alu 0xfffe
	s_lshl_b64 s[8:9], s[22:23], 1
	s_and_b32 s0, s0, s14
	s_mov_b32 s3, -1
	s_wait_alu 0xfffe
	s_xor_b32 s15, s0, -1
	s_add_nc_u64 s[0:1], s[4:5], s[8:9]
	s_and_b32 vcc_lo, exec_lo, s15
	s_add_nc_u64 s[4:5], s[6:7], s[8:9]
	s_cbranch_vccz .LBB1978_6
; %bb.5:
	s_clause 0xd
	global_load_u16 v3, v2, s[0:1]
	global_load_u16 v4, v2, s[4:5]
	global_load_u16 v5, v2, s[0:1] offset:768
	global_load_u16 v6, v2, s[0:1] offset:1536
	;; [unrolled: 1-line block ×12, first 2 shown]
	s_mov_b32 s3, 0
	s_wait_loadcnt 0xc
	v_lshl_or_b32 v3, v4, 16, v3
	s_wait_loadcnt 0x5
	v_lshl_or_b32 v4, v13, 16, v5
	;; [unrolled: 2-line block ×7, first 2 shown]
	ds_store_2addr_stride64_b32 v1, v3, v4 offset1:6
	ds_store_2addr_stride64_b32 v1, v5, v6 offset0:12 offset1:18
	ds_store_2addr_stride64_b32 v1, v7, v8 offset0:24 offset1:30
	ds_store_b32 v1, v11 offset:9216
	s_wait_dscnt 0x0
	s_barrier_signal -1
	s_barrier_wait -1
.LBB1978_6:
	s_and_not1_b32 vcc_lo, exec_lo, s3
	s_addk_co_i32 s18, 0xa80
	s_cbranch_vccnz .LBB1978_22
; %bb.7:
	v_dual_mov_b32 v3, 0 :: v_dual_mov_b32 v4, 0
	s_mov_b32 s3, exec_lo
	v_cmpx_gt_u32_e64 s18, v0
	s_cbranch_execz .LBB1978_9
; %bb.8:
	s_clause 0x1
	global_load_u16 v4, v2, s[0:1]
	global_load_u16 v5, v2, s[4:5]
	s_wait_loadcnt 0x0
	v_lshl_or_b32 v4, v5, 16, v4
.LBB1978_9:
	s_or_b32 exec_lo, exec_lo, s3
	v_add_nc_u32_e32 v5, 0x180, v0
	s_mov_b32 s3, exec_lo
	s_delay_alu instid0(VALU_DEP_1)
	v_cmpx_gt_u32_e64 s18, v5
	s_cbranch_execz .LBB1978_11
; %bb.10:
	s_clause 0x1
	global_load_u16 v3, v2, s[0:1] offset:768
	global_load_u16 v5, v2, s[4:5] offset:768
	s_wait_loadcnt 0x0
	v_lshl_or_b32 v3, v5, 16, v3
.LBB1978_11:
	s_or_b32 exec_lo, exec_lo, s3
	v_dual_mov_b32 v5, 0 :: v_dual_add_nc_u32 v6, 0x300, v0
	s_delay_alu instid0(VALU_DEP_1)
	v_cmp_gt_u32_e32 vcc_lo, s18, v6
	v_mov_b32_e32 v6, 0
	s_and_saveexec_b32 s3, vcc_lo
	s_cbranch_execz .LBB1978_13
; %bb.12:
	s_clause 0x1
	global_load_u16 v6, v2, s[0:1] offset:1536
	global_load_u16 v7, v2, s[4:5] offset:1536
	s_wait_loadcnt 0x0
	v_lshl_or_b32 v6, v7, 16, v6
.LBB1978_13:
	s_or_b32 exec_lo, exec_lo, s3
	v_add_nc_u32_e32 v7, 0x480, v0
	s_mov_b32 s3, exec_lo
	s_delay_alu instid0(VALU_DEP_1)
	v_cmpx_gt_u32_e64 s18, v7
	s_cbranch_execz .LBB1978_15
; %bb.14:
	s_clause 0x1
	global_load_u16 v5, v2, s[0:1] offset:2304
	global_load_u16 v7, v2, s[4:5] offset:2304
	s_wait_loadcnt 0x0
	v_lshl_or_b32 v5, v7, 16, v5
.LBB1978_15:
	s_or_b32 exec_lo, exec_lo, s3
	v_or_b32_e32 v8, 0x600, v0
	v_mov_b32_e32 v7, 0
	s_delay_alu instid0(VALU_DEP_2)
	v_cmp_gt_u32_e32 vcc_lo, s18, v8
	v_mov_b32_e32 v8, 0
	s_and_saveexec_b32 s3, vcc_lo
	s_cbranch_execz .LBB1978_17
; %bb.16:
	s_clause 0x1
	global_load_u16 v8, v2, s[0:1] offset:3072
	global_load_u16 v11, v2, s[4:5] offset:3072
	s_wait_loadcnt 0x0
	v_lshl_or_b32 v8, v11, 16, v8
.LBB1978_17:
	s_or_b32 exec_lo, exec_lo, s3
	v_add_nc_u32_e32 v11, 0x780, v0
	s_mov_b32 s3, exec_lo
	s_delay_alu instid0(VALU_DEP_1)
	v_cmpx_gt_u32_e64 s18, v11
	s_cbranch_execz .LBB1978_19
; %bb.18:
	s_clause 0x1
	global_load_u16 v7, v2, s[0:1] offset:3840
	global_load_u16 v11, v2, s[4:5] offset:3840
	s_wait_loadcnt 0x0
	v_lshl_or_b32 v7, v11, 16, v7
.LBB1978_19:
	s_or_b32 exec_lo, exec_lo, s3
	v_add_nc_u32_e32 v11, 0x900, v0
	s_delay_alu instid0(VALU_DEP_1)
	v_cmp_gt_u32_e32 vcc_lo, s18, v11
	v_mov_b32_e32 v11, 0
	s_and_saveexec_b32 s3, vcc_lo
	s_cbranch_execz .LBB1978_21
; %bb.20:
	s_clause 0x1
	global_load_u16 v11, v2, s[0:1] offset:4608
	global_load_u16 v2, v2, s[4:5] offset:4608
	s_wait_loadcnt 0x0
	v_lshl_or_b32 v11, v2, 16, v11
.LBB1978_21:
	s_or_b32 exec_lo, exec_lo, s3
	ds_store_2addr_stride64_b32 v1, v4, v3 offset1:6
	ds_store_2addr_stride64_b32 v1, v6, v5 offset0:12 offset1:18
	ds_store_2addr_stride64_b32 v1, v8, v7 offset0:24 offset1:30
	ds_store_b32 v1, v11 offset:9216
	s_wait_loadcnt_dscnt 0x0
	s_barrier_signal -1
	s_barrier_wait -1
.LBB1978_22:
	v_mul_u32_u24_e32 v1, 7, v0
	s_wait_loadcnt 0x0
	global_inv scope:SCOPE_SE
	s_lshr_b32 s19, s21, 16
	s_and_not1_b32 vcc_lo, exec_lo, s15
	v_lshlrev_b32_e32 v31, 2, v1
	ds_load_b32 v33, v31 offset:24
	ds_load_2addr_b32 v[15:16], v31 offset1:1
	ds_load_2addr_b32 v[13:14], v31 offset0:2 offset1:3
	ds_load_2addr_b32 v[11:12], v31 offset0:4 offset1:5
	s_wait_loadcnt_dscnt 0x0
	s_barrier_signal -1
	s_barrier_wait -1
	global_inv scope:SCOPE_SE
	v_lshrrev_b32_e32 v2, 16, v33
	v_lshrrev_b32_e32 v8, 16, v15
	;; [unrolled: 1-line block ×3, first 2 shown]
	v_cmp_ne_u16_e64 s7, s21, v16
	v_cmp_ne_u16_e64 s5, s21, v15
	v_lshrrev_b32_e32 v6, 16, v13
	v_lshrrev_b32_e32 v5, 16, v14
	v_cmp_ne_u16_e64 s8, s21, v14
	v_cmp_ne_u16_e64 s6, s21, v13
	v_lshrrev_b32_e32 v4, 16, v11
	v_lshrrev_b32_e32 v3, 16, v12
	v_cmp_ne_u16_e64 s4, s21, v12
	v_cmp_ne_u16_e64 s3, s21, v11
	;; [unrolled: 1-line block ×3, first 2 shown]
	s_wait_alu 0xfffe
	v_cmp_ne_u32_e64 s1, s19, v2
	s_cbranch_vccnz .LBB1978_24
; %bb.23:
	v_cmp_ne_u32_e32 vcc_lo, s19, v7
	v_cmp_ne_u32_e64 s9, s19, v5
	s_or_b32 s7, s7, vcc_lo
	v_cmp_ne_u32_e32 vcc_lo, s19, v8
	v_cndmask_b32_e64 v17, 0, 1, s7
	s_or_b32 s7, s8, s9
	v_cmp_ne_u32_e64 s8, s19, v3
	s_wait_alu 0xfffe
	v_cndmask_b32_e64 v18, 0, 1, s7
	v_cmp_ne_u32_e64 s7, s19, v6
	v_lshlrev_b16 v17, 8, v17
	s_or_b32 s5, s5, vcc_lo
	v_cmp_ne_u32_e32 vcc_lo, s19, v4
	v_lshlrev_b16 v18, 8, v18
	v_cndmask_b32_e64 v19, 0, 1, s5
	v_lshrrev_b32_e32 v17, 8, v17
	s_or_b32 s5, s6, s7
	s_or_b32 s4, s4, s8
	v_lshrrev_b32_e32 v18, 8, v18
	s_wait_alu 0xfffe
	v_cndmask_b32_e64 v20, 0, 1, s5
	v_lshlrev_b16 v17, 8, v17
	v_cndmask_b32_e64 v35, 0, 1, s4
	s_or_b32 s3, s3, vcc_lo
	v_lshlrev_b16 v18, 8, v18
	s_or_b32 s5, s0, s1
	v_or_b32_e32 v17, v19, v17
	v_cndmask_b32_e64 v19, 0, 1, s3
	s_delay_alu instid0(VALU_DEP_3) | instskip(SKIP_1) | instid1(VALU_DEP_4)
	v_or_b32_e32 v18, v20, v18
	v_lshlrev_b16 v20, 8, v35
	v_and_b32_e32 v17, 0xffff, v17
	s_delay_alu instid0(VALU_DEP_3) | instskip(NEXT) | instid1(VALU_DEP_3)
	v_lshlrev_b32_e32 v18, 16, v18
	v_or_b32_e32 v34, v19, v20
	s_delay_alu instid0(VALU_DEP_2)
	v_or_b32_e32 v32, v17, v18
	s_cbranch_execz .LBB1978_25
	s_branch .LBB1978_26
.LBB1978_24:
                                        ; implicit-def: $sgpr5
                                        ; implicit-def: $vgpr35
                                        ; implicit-def: $vgpr34
                                        ; implicit-def: $vgpr32
.LBB1978_25:
	v_cmp_ne_u16_e32 vcc_lo, s21, v15
	v_cmp_ne_u32_e64 s0, s19, v8
	v_add_nc_u32_e32 v8, 1, v1
	v_cmp_ne_u16_e64 s1, s21, v16
	v_cmp_ne_u32_e64 s3, s19, v7
	v_add_nc_u32_e32 v7, 2, v1
	s_or_b32 s6, vcc_lo, s0
	v_cmp_gt_u32_e32 vcc_lo, s18, v8
	v_cmp_gt_u32_e64 s4, s18, v1
	s_or_b32 s3, s1, s3
	v_cmp_ne_u16_e64 s0, s21, v13
	v_cmp_ne_u32_e64 s1, s19, v6
	s_wait_alu 0xfffe
	s_and_b32 s3, vcc_lo, s3
	v_cmp_gt_u32_e32 vcc_lo, s18, v7
	v_add_nc_u32_e32 v7, 3, v1
	s_and_b32 s4, s4, s6
	s_or_b32 s6, s0, s1
	v_cmp_ne_u16_e64 s0, s21, v14
	v_cmp_ne_u32_e64 s1, s19, v5
	s_wait_alu 0xfffe
	s_and_b32 s6, vcc_lo, s6
	v_cmp_gt_u32_e32 vcc_lo, s18, v7
	v_add_nc_u32_e32 v5, 4, v1
	v_cndmask_b32_e64 v6, 0, 1, s4
	s_or_b32 s1, s0, s1
	v_cndmask_b32_e64 v8, 0, 1, s3
	s_wait_alu 0xfffe
	s_and_b32 s1, vcc_lo, s1
	v_cmp_ne_u16_e64 s3, s21, v11
	v_cmp_ne_u32_e64 s4, s19, v4
	v_cmp_gt_u32_e64 s0, s18, v5
	v_add_nc_u32_e32 v5, 5, v1
	s_wait_alu 0xfffe
	v_cndmask_b32_e64 v7, 0, 1, s1
	v_cndmask_b32_e64 v4, 0, 1, s6
	s_or_b32 s3, s3, s4
	v_cmp_ne_u32_e64 s1, s19, v3
	v_cmp_gt_u32_e32 vcc_lo, s18, v5
	v_lshlrev_b16 v5, 8, v8
	v_lshlrev_b16 v7, 8, v7
	s_wait_alu 0xfffe
	s_and_b32 s0, s0, s3
	v_add_nc_u32_e32 v1, 6, v1
	s_wait_alu 0xfffe
	v_cndmask_b32_e64 v34, 0, 1, s0
	v_cmp_ne_u16_e64 s0, s21, v12
	v_or_b32_e32 v3, v6, v5
	v_or_b32_e32 v4, v4, v7
	v_cmp_ne_u16_e64 s3, s21, v33
	v_cmp_ne_u32_e64 s4, s19, v2
	s_or_b32 s1, s0, s1
	v_cmp_gt_u32_e64 s0, s18, v1
	v_and_b32_e32 v1, 0xffff, v3
	v_lshlrev_b32_e32 v2, 16, v4
	s_or_b32 s3, s3, s4
	s_wait_alu 0xfffe
	s_and_b32 s1, vcc_lo, s1
	s_and_b32 s0, s0, s3
	s_wait_alu 0xfffe
	v_cndmask_b32_e64 v35, 0, 1, s1
	v_or_b32_e32 v32, v1, v2
	s_and_not1_b32 s1, s5, exec_lo
	s_and_b32 s0, s0, exec_lo
	s_wait_alu 0xfffe
	s_or_b32 s5, s1, s0
.LBB1978_26:
	s_delay_alu instid0(VALU_DEP_1)
	v_dual_mov_b32 v2, 0 :: v_dual_and_b32 v39, 0xff, v32
	v_bfe_u32 v38, v32, 8, 8
	s_wait_alu 0xfffe
	v_cndmask_b32_e64 v1, 0, 1, s5
	v_bfe_u32 v41, v32, 16, 8
	v_lshrrev_b32_e32 v36, 24, v32
	v_and_b32_e32 v40, 0xff, v34
	v_mbcnt_lo_u32_b32 v42, -1, 0
	v_add3_u32 v1, v39, v1, v38
	v_and_b32_e32 v37, 0xff, v35
	s_cmp_lg_u32 s20, 0
	s_mov_b32 s1, -1
	v_and_b32_e32 v43, 15, v42
	v_add_co_u32 v1, s0, v1, v41
	s_wait_alu 0xf1ff
	v_add_co_ci_u32_e64 v3, null, 0, 0, s0
	s_delay_alu instid0(VALU_DEP_3) | instskip(NEXT) | instid1(VALU_DEP_3)
	v_cmp_ne_u32_e64 s0, 0, v43
	v_add_co_u32 v1, vcc_lo, v1, v36
	s_delay_alu instid0(VALU_DEP_1) | instskip(NEXT) | instid1(VALU_DEP_2)
	v_add_co_ci_u32_e64 v3, null, 0, v3, vcc_lo
	v_add_co_u32 v1, vcc_lo, v1, v40
	s_wait_alu 0xfffd
	s_delay_alu instid0(VALU_DEP_2) | instskip(NEXT) | instid1(VALU_DEP_2)
	v_add_co_ci_u32_e64 v3, null, 0, v3, vcc_lo
	v_add_co_u32 v17, vcc_lo, v1, v37
	s_wait_alu 0xfffd
	s_delay_alu instid0(VALU_DEP_2)
	v_add_co_ci_u32_e64 v18, null, 0, v3, vcc_lo
	s_cbranch_scc0 .LBB1978_85
; %bb.27:
	v_mov_b32_e32 v3, v17
	v_mov_b32_dpp v1, v17 row_shr:1 row_mask:0xf bank_mask:0xf
	v_mov_b32_dpp v6, v2 row_shr:1 row_mask:0xf bank_mask:0xf
	v_dual_mov_b32 v5, v17 :: v_dual_mov_b32 v4, v18
	s_and_saveexec_b32 s1, s0
; %bb.28:
	s_delay_alu instid0(VALU_DEP_3) | instskip(SKIP_2) | instid1(VALU_DEP_2)
	v_add_co_u32 v5, vcc_lo, v17, v1
	s_wait_alu 0xfffd
	v_add_co_ci_u32_e64 v2, null, 0, v18, vcc_lo
	v_add_co_u32 v1, vcc_lo, 0, v5
	s_wait_alu 0xfffd
	s_delay_alu instid0(VALU_DEP_2) | instskip(NEXT) | instid1(VALU_DEP_1)
	v_add_co_ci_u32_e64 v2, null, v6, v2, vcc_lo
	v_dual_mov_b32 v4, v2 :: v_dual_mov_b32 v3, v1
; %bb.29:
	s_wait_alu 0xfffe
	s_or_b32 exec_lo, exec_lo, s1
	v_mov_b32_dpp v1, v5 row_shr:2 row_mask:0xf bank_mask:0xf
	v_mov_b32_dpp v6, v2 row_shr:2 row_mask:0xf bank_mask:0xf
	v_cmp_lt_u32_e32 vcc_lo, 1, v43
	s_and_saveexec_b32 s3, vcc_lo
; %bb.30:
	s_delay_alu instid0(VALU_DEP_3) | instskip(SKIP_2) | instid1(VALU_DEP_2)
	v_add_co_u32 v5, s1, v3, v1
	s_wait_alu 0xf1ff
	v_add_co_ci_u32_e64 v2, null, 0, v4, s1
	v_add_co_u32 v1, s1, 0, v5
	s_wait_alu 0xf1ff
	s_delay_alu instid0(VALU_DEP_2) | instskip(NEXT) | instid1(VALU_DEP_1)
	v_add_co_ci_u32_e64 v2, null, v6, v2, s1
	v_dual_mov_b32 v4, v2 :: v_dual_mov_b32 v3, v1
; %bb.31:
	s_wait_alu 0xfffe
	s_or_b32 exec_lo, exec_lo, s3
	v_mov_b32_dpp v1, v5 row_shr:4 row_mask:0xf bank_mask:0xf
	v_mov_b32_dpp v6, v2 row_shr:4 row_mask:0xf bank_mask:0xf
	v_cmp_lt_u32_e64 s1, 3, v43
	s_and_saveexec_b32 s4, s1
; %bb.32:
	v_add_co_u32 v5, s3, v3, v1
	s_wait_alu 0xf1ff
	v_add_co_ci_u32_e64 v2, null, 0, v4, s3
	s_delay_alu instid0(VALU_DEP_2) | instskip(SKIP_1) | instid1(VALU_DEP_2)
	v_add_co_u32 v1, s3, 0, v5
	s_wait_alu 0xf1ff
	v_add_co_ci_u32_e64 v2, null, v6, v2, s3
	s_delay_alu instid0(VALU_DEP_1)
	v_dual_mov_b32 v4, v2 :: v_dual_mov_b32 v3, v1
; %bb.33:
	s_wait_alu 0xfffe
	s_or_b32 exec_lo, exec_lo, s4
	v_mov_b32_dpp v6, v5 row_shr:8 row_mask:0xf bank_mask:0xf
	v_mov_b32_dpp v1, v2 row_shr:8 row_mask:0xf bank_mask:0xf
	v_cmp_lt_u32_e64 s3, 7, v43
	s_and_saveexec_b32 s6, s3
; %bb.34:
	v_add_co_u32 v5, s4, v3, v6
	s_wait_alu 0xf1ff
	v_add_co_ci_u32_e64 v2, null, 0, v4, s4
	s_delay_alu instid0(VALU_DEP_2) | instskip(SKIP_1) | instid1(VALU_DEP_2)
	v_add_co_u32 v3, s4, 0, v5
	s_wait_alu 0xf1ff
	v_add_co_ci_u32_e64 v4, null, v1, v2, s4
	s_delay_alu instid0(VALU_DEP_1)
	v_mov_b32_e32 v2, v4
; %bb.35:
	s_wait_alu 0xfffe
	s_or_b32 exec_lo, exec_lo, s6
	ds_swizzle_b32 v1, v5 offset:swizzle(BROADCAST,32,15)
	ds_swizzle_b32 v6, v2 offset:swizzle(BROADCAST,32,15)
	v_and_b32_e32 v7, 16, v42
	s_mov_b32 s6, exec_lo
	s_delay_alu instid0(VALU_DEP_1)
	v_cmpx_ne_u32_e32 0, v7
	s_cbranch_execz .LBB1978_37
; %bb.36:
	s_wait_dscnt 0x1
	v_add_co_u32 v5, s4, v3, v1
	s_wait_alu 0xf1ff
	v_add_co_ci_u32_e64 v2, null, 0, v4, s4
	s_delay_alu instid0(VALU_DEP_2) | instskip(SKIP_2) | instid1(VALU_DEP_2)
	v_add_co_u32 v1, s4, 0, v5
	s_wait_dscnt 0x0
	s_wait_alu 0xf1ff
	v_add_co_ci_u32_e64 v2, null, v6, v2, s4
	s_delay_alu instid0(VALU_DEP_1)
	v_dual_mov_b32 v4, v2 :: v_dual_mov_b32 v3, v1
.LBB1978_37:
	s_wait_alu 0xfffe
	s_or_b32 exec_lo, exec_lo, s6
	s_wait_dscnt 0x1
	v_and_b32_e32 v1, 0x1e0, v0
	s_mov_b32 s6, exec_lo
	s_delay_alu instid0(VALU_DEP_1) | instskip(SKIP_1) | instid1(VALU_DEP_1)
	v_min_u32_e32 v1, 0x160, v1
	s_wait_dscnt 0x0
	v_or_b32_e32 v6, 31, v1
	v_lshrrev_b32_e32 v1, 5, v0
	s_delay_alu instid0(VALU_DEP_2)
	v_cmpx_eq_u32_e64 v0, v6
; %bb.38:
	s_delay_alu instid0(VALU_DEP_2)
	v_lshlrev_b32_e32 v6, 3, v1
	ds_store_b64 v6, v[3:4]
; %bb.39:
	s_wait_alu 0xfffe
	s_or_b32 exec_lo, exec_lo, s6
	s_delay_alu instid0(SALU_CYCLE_1)
	s_mov_b32 s6, exec_lo
	s_wait_loadcnt_dscnt 0x0
	s_barrier_signal -1
	s_barrier_wait -1
	global_inv scope:SCOPE_SE
	v_cmpx_gt_u32_e32 12, v0
	s_cbranch_execz .LBB1978_49
; %bb.40:
	v_lshlrev_b32_e32 v6, 3, v0
	ds_load_b64 v[3:4], v6
	s_wait_dscnt 0x0
	v_mov_b32_dpp v19, v3 row_shr:1 row_mask:0xf bank_mask:0xf
	v_mov_b32_dpp v8, v4 row_shr:1 row_mask:0xf bank_mask:0xf
	v_mov_b32_e32 v7, v3
	s_and_saveexec_b32 s7, s0
; %bb.41:
	s_delay_alu instid0(VALU_DEP_3) | instskip(SKIP_2) | instid1(VALU_DEP_2)
	v_add_co_u32 v7, s4, v3, v19
	s_wait_alu 0xf1ff
	v_add_co_ci_u32_e64 v4, null, 0, v4, s4
	v_add_co_u32 v3, s4, 0, v7
	s_wait_alu 0xf1ff
	s_delay_alu instid0(VALU_DEP_2)
	v_add_co_ci_u32_e64 v4, null, v8, v4, s4
; %bb.42:
	s_wait_alu 0xfffe
	s_or_b32 exec_lo, exec_lo, s7
	v_mov_b32_dpp v19, v7 row_shr:2 row_mask:0xf bank_mask:0xf
	s_delay_alu instid0(VALU_DEP_2)
	v_mov_b32_dpp v8, v4 row_shr:2 row_mask:0xf bank_mask:0xf
	s_and_saveexec_b32 s4, vcc_lo
; %bb.43:
	s_delay_alu instid0(VALU_DEP_2) | instskip(SKIP_2) | instid1(VALU_DEP_2)
	v_add_co_u32 v7, vcc_lo, v3, v19
	s_wait_alu 0xfffd
	v_add_co_ci_u32_e64 v4, null, 0, v4, vcc_lo
	v_add_co_u32 v3, vcc_lo, 0, v7
	s_wait_alu 0xfffd
	s_delay_alu instid0(VALU_DEP_2)
	v_add_co_ci_u32_e64 v4, null, v8, v4, vcc_lo
; %bb.44:
	s_wait_alu 0xfffe
	s_or_b32 exec_lo, exec_lo, s4
	v_mov_b32_dpp v19, v7 row_shr:4 row_mask:0xf bank_mask:0xf
	s_delay_alu instid0(VALU_DEP_2)
	v_mov_b32_dpp v8, v4 row_shr:4 row_mask:0xf bank_mask:0xf
	s_and_saveexec_b32 s4, s1
; %bb.45:
	s_delay_alu instid0(VALU_DEP_2) | instskip(SKIP_2) | instid1(VALU_DEP_2)
	v_add_co_u32 v7, vcc_lo, v3, v19
	s_wait_alu 0xfffd
	v_add_co_ci_u32_e64 v4, null, 0, v4, vcc_lo
	v_add_co_u32 v3, vcc_lo, 0, v7
	s_wait_alu 0xfffd
	s_delay_alu instid0(VALU_DEP_2)
	v_add_co_ci_u32_e64 v4, null, v8, v4, vcc_lo
; %bb.46:
	s_wait_alu 0xfffe
	s_or_b32 exec_lo, exec_lo, s4
	v_mov_b32_dpp v8, v7 row_shr:8 row_mask:0xf bank_mask:0xf
	s_delay_alu instid0(VALU_DEP_2)
	v_mov_b32_dpp v7, v4 row_shr:8 row_mask:0xf bank_mask:0xf
	s_and_saveexec_b32 s1, s3
; %bb.47:
	s_delay_alu instid0(VALU_DEP_2) | instskip(SKIP_2) | instid1(VALU_DEP_2)
	v_add_co_u32 v3, vcc_lo, v3, v8
	s_wait_alu 0xfffd
	v_add_co_ci_u32_e64 v4, null, 0, v4, vcc_lo
	v_add_co_u32 v3, vcc_lo, v3, 0
	s_wait_alu 0xfffd
	s_delay_alu instid0(VALU_DEP_2)
	v_add_co_ci_u32_e64 v4, null, v4, v7, vcc_lo
; %bb.48:
	s_wait_alu 0xfffe
	s_or_b32 exec_lo, exec_lo, s1
	ds_store_b64 v6, v[3:4]
.LBB1978_49:
	s_wait_alu 0xfffe
	s_or_b32 exec_lo, exec_lo, s6
	s_delay_alu instid0(SALU_CYCLE_1)
	s_mov_b32 s3, exec_lo
	v_cmp_gt_u32_e32 vcc_lo, 32, v0
	s_wait_loadcnt_dscnt 0x0
	s_barrier_signal -1
	s_barrier_wait -1
	global_inv scope:SCOPE_SE
                                        ; implicit-def: $vgpr19_vgpr20
	v_cmpx_lt_u32_e32 31, v0
	s_cbranch_execz .LBB1978_51
; %bb.50:
	v_lshl_add_u32 v1, v1, 3, -8
	ds_load_b64 v[19:20], v1
	s_wait_dscnt 0x0
	v_add_co_u32 v5, s1, v5, v19
	s_wait_alu 0xf1ff
	v_add_co_ci_u32_e64 v2, null, v2, v20, s1
.LBB1978_51:
	s_wait_alu 0xfffe
	s_or_b32 exec_lo, exec_lo, s3
	v_sub_co_u32 v1, s1, v42, 1
	s_delay_alu instid0(VALU_DEP_1) | instskip(SKIP_1) | instid1(VALU_DEP_1)
	v_cmp_gt_i32_e64 s3, 0, v1
	s_wait_alu 0xf1ff
	v_cndmask_b32_e64 v1, v1, v42, s3
	s_delay_alu instid0(VALU_DEP_1)
	v_lshlrev_b32_e32 v1, 2, v1
	ds_bpermute_b32 v25, v1, v5
	ds_bpermute_b32 v26, v1, v2
	s_and_saveexec_b32 s3, vcc_lo
	s_cbranch_execz .LBB1978_90
; %bb.52:
	v_mov_b32_e32 v4, 0
	ds_load_b64 v[1:2], v4 offset:88
	s_and_saveexec_b32 s4, s1
	s_cbranch_execz .LBB1978_54
; %bb.53:
	s_add_co_i32 s6, s20, 32
	s_mov_b32 s7, 0
	s_wait_alu 0xfffe
	s_lshl_b64 s[6:7], s[6:7], 4
	s_wait_alu 0xfffe
	s_add_nc_u64 s[6:7], s[16:17], s[6:7]
	v_mov_b32_e32 v3, 1
	s_wait_alu 0xfffe
	v_dual_mov_b32 v5, s6 :: v_dual_mov_b32 v6, s7
	s_wait_dscnt 0x0
	;;#ASMSTART
	global_store_b128 v[5:6], v[1:4] off scope:SCOPE_DEV	
s_wait_storecnt 0x0
	;;#ASMEND
.LBB1978_54:
	s_wait_alu 0xfffe
	s_or_b32 exec_lo, exec_lo, s4
	v_xad_u32 v21, v42, -1, s20
	s_mov_b32 s6, 0
	s_mov_b32 s4, exec_lo
	s_delay_alu instid0(VALU_DEP_1) | instskip(NEXT) | instid1(VALU_DEP_1)
	v_add_nc_u32_e32 v3, 32, v21
	v_lshlrev_b64_e32 v[3:4], 4, v[3:4]
	s_delay_alu instid0(VALU_DEP_1) | instskip(SKIP_1) | instid1(VALU_DEP_2)
	v_add_co_u32 v3, vcc_lo, s16, v3
	s_wait_alu 0xfffd
	v_add_co_ci_u32_e64 v4, null, s17, v4, vcc_lo
	;;#ASMSTART
	global_load_b128 v[5:8], v[3:4] off scope:SCOPE_DEV	
s_wait_loadcnt 0x0
	;;#ASMEND
	v_and_b32_e32 v8, 0xff, v7
	s_delay_alu instid0(VALU_DEP_1)
	v_cmpx_eq_u16_e32 0, v8
	s_cbranch_execz .LBB1978_57
.LBB1978_55:                            ; =>This Inner Loop Header: Depth=1
	;;#ASMSTART
	global_load_b128 v[5:8], v[3:4] off scope:SCOPE_DEV	
s_wait_loadcnt 0x0
	;;#ASMEND
	v_and_b32_e32 v8, 0xff, v7
	s_delay_alu instid0(VALU_DEP_1)
	v_cmp_ne_u16_e32 vcc_lo, 0, v8
	s_wait_alu 0xfffe
	s_or_b32 s6, vcc_lo, s6
	s_wait_alu 0xfffe
	s_and_not1_b32 exec_lo, exec_lo, s6
	s_cbranch_execnz .LBB1978_55
; %bb.56:
	s_or_b32 exec_lo, exec_lo, s6
.LBB1978_57:
	s_wait_alu 0xfffe
	s_or_b32 exec_lo, exec_lo, s4
	v_cmp_ne_u32_e32 vcc_lo, 31, v42
	v_and_b32_e32 v4, 0xff, v7
	v_lshlrev_b32_e64 v28, v42, -1
	s_mov_b32 s4, exec_lo
	s_wait_alu 0xfffd
	v_add_co_ci_u32_e64 v3, null, 0, v42, vcc_lo
	v_cmp_eq_u16_e32 vcc_lo, 2, v4
	s_delay_alu instid0(VALU_DEP_2)
	v_dual_mov_b32 v4, v5 :: v_dual_lshlrev_b32 v27, 2, v3
	s_wait_alu 0xfffd
	v_and_or_b32 v3, vcc_lo, v28, 0x80000000
	ds_bpermute_b32 v22, v27, v5
	ds_bpermute_b32 v8, v27, v6
	v_ctz_i32_b32_e32 v3, v3
	s_delay_alu instid0(VALU_DEP_1)
	v_cmpx_lt_u32_e64 v42, v3
	s_cbranch_execz .LBB1978_59
; %bb.58:
	s_wait_dscnt 0x1
	v_add_co_u32 v4, vcc_lo, v5, v22
	s_wait_alu 0xfffd
	v_add_co_ci_u32_e64 v6, null, 0, v6, vcc_lo
	s_delay_alu instid0(VALU_DEP_2) | instskip(SKIP_2) | instid1(VALU_DEP_2)
	v_add_co_u32 v5, vcc_lo, 0, v4
	s_wait_dscnt 0x0
	s_wait_alu 0xfffd
	v_add_co_ci_u32_e64 v6, null, v8, v6, vcc_lo
.LBB1978_59:
	s_wait_alu 0xfffe
	s_or_b32 exec_lo, exec_lo, s4
	v_cmp_gt_u32_e32 vcc_lo, 30, v42
	v_add_nc_u32_e32 v30, 2, v42
	s_mov_b32 s4, exec_lo
	s_wait_dscnt 0x0
	s_wait_alu 0xfffd
	v_cndmask_b32_e64 v8, 0, 2, vcc_lo
	s_delay_alu instid0(VALU_DEP_1)
	v_add_lshl_u32 v29, v8, v42, 2
	ds_bpermute_b32 v22, v29, v4
	ds_bpermute_b32 v8, v29, v6
	v_cmpx_le_u32_e64 v30, v3
	s_cbranch_execz .LBB1978_61
; %bb.60:
	s_wait_dscnt 0x1
	v_add_co_u32 v4, vcc_lo, v5, v22
	s_wait_alu 0xfffd
	v_add_co_ci_u32_e64 v6, null, 0, v6, vcc_lo
	s_delay_alu instid0(VALU_DEP_2) | instskip(SKIP_2) | instid1(VALU_DEP_2)
	v_add_co_u32 v5, vcc_lo, 0, v4
	s_wait_dscnt 0x0
	s_wait_alu 0xfffd
	v_add_co_ci_u32_e64 v6, null, v8, v6, vcc_lo
.LBB1978_61:
	s_wait_alu 0xfffe
	s_or_b32 exec_lo, exec_lo, s4
	v_cmp_gt_u32_e32 vcc_lo, 28, v42
	v_add_nc_u32_e32 v45, 4, v42
	s_mov_b32 s4, exec_lo
	s_wait_dscnt 0x0
	s_wait_alu 0xfffd
	v_cndmask_b32_e64 v8, 0, 4, vcc_lo
	s_delay_alu instid0(VALU_DEP_1)
	v_add_lshl_u32 v44, v8, v42, 2
	ds_bpermute_b32 v22, v44, v4
	ds_bpermute_b32 v8, v44, v6
	v_cmpx_le_u32_e64 v45, v3
	;; [unrolled: 25-line block ×3, first 2 shown]
	s_cbranch_execz .LBB1978_65
; %bb.64:
	s_wait_dscnt 0x1
	v_add_co_u32 v4, vcc_lo, v5, v22
	s_wait_alu 0xfffd
	v_add_co_ci_u32_e64 v6, null, 0, v6, vcc_lo
	s_delay_alu instid0(VALU_DEP_2) | instskip(SKIP_2) | instid1(VALU_DEP_2)
	v_add_co_u32 v5, vcc_lo, 0, v4
	s_wait_dscnt 0x0
	s_wait_alu 0xfffd
	v_add_co_ci_u32_e64 v6, null, v8, v6, vcc_lo
.LBB1978_65:
	s_wait_alu 0xfffe
	s_or_b32 exec_lo, exec_lo, s4
	v_lshl_or_b32 v48, v42, 2, 64
	v_add_nc_u32_e32 v49, 16, v42
	s_mov_b32 s4, exec_lo
	s_wait_dscnt 0x0
	ds_bpermute_b32 v8, v48, v4
	ds_bpermute_b32 v4, v48, v6
	v_cmpx_le_u32_e64 v49, v3
	s_cbranch_execz .LBB1978_67
; %bb.66:
	s_wait_dscnt 0x1
	v_add_co_u32 v3, vcc_lo, v5, v8
	s_wait_alu 0xfffd
	v_add_co_ci_u32_e64 v6, null, 0, v6, vcc_lo
	s_delay_alu instid0(VALU_DEP_2) | instskip(SKIP_2) | instid1(VALU_DEP_2)
	v_add_co_u32 v5, vcc_lo, v3, 0
	s_wait_dscnt 0x0
	s_wait_alu 0xfffd
	v_add_co_ci_u32_e64 v6, null, v6, v4, vcc_lo
.LBB1978_67:
	s_wait_alu 0xfffe
	s_or_b32 exec_lo, exec_lo, s4
	v_mov_b32_e32 v22, 0
	s_branch .LBB1978_70
.LBB1978_68:                            ;   in Loop: Header=BB1978_70 Depth=1
	s_wait_alu 0xfffe
	s_or_b32 exec_lo, exec_lo, s4
	v_add_co_u32 v5, vcc_lo, v5, v3
	v_subrev_nc_u32_e32 v21, 32, v21
	s_wait_alu 0xfffd
	v_add_co_ci_u32_e64 v6, null, v6, v4, vcc_lo
	s_mov_b32 s4, 0
.LBB1978_69:                            ;   in Loop: Header=BB1978_70 Depth=1
	s_wait_alu 0xfffe
	s_and_b32 vcc_lo, exec_lo, s4
	s_wait_alu 0xfffe
	s_cbranch_vccnz .LBB1978_86
.LBB1978_70:                            ; =>This Loop Header: Depth=1
                                        ;     Child Loop BB1978_73 Depth 2
	v_and_b32_e32 v3, 0xff, v7
	s_mov_b32 s4, -1
	s_delay_alu instid0(VALU_DEP_1)
	v_cmp_ne_u16_e32 vcc_lo, 2, v3
	s_wait_dscnt 0x0
	v_dual_mov_b32 v3, v5 :: v_dual_mov_b32 v4, v6
                                        ; implicit-def: $vgpr5_vgpr6
	s_cmp_lg_u32 vcc_lo, exec_lo
	s_cbranch_scc1 .LBB1978_69
; %bb.71:                               ;   in Loop: Header=BB1978_70 Depth=1
	v_lshlrev_b64_e32 v[5:6], 4, v[21:22]
	s_mov_b32 s4, exec_lo
	s_delay_alu instid0(VALU_DEP_1) | instskip(SKIP_1) | instid1(VALU_DEP_2)
	v_add_co_u32 v23, vcc_lo, s16, v5
	s_wait_alu 0xfffd
	v_add_co_ci_u32_e64 v24, null, s17, v6, vcc_lo
	;;#ASMSTART
	global_load_b128 v[5:8], v[23:24] off scope:SCOPE_DEV	
s_wait_loadcnt 0x0
	;;#ASMEND
	v_and_b32_e32 v8, 0xff, v7
	s_delay_alu instid0(VALU_DEP_1)
	v_cmpx_eq_u16_e32 0, v8
	s_cbranch_execz .LBB1978_75
; %bb.72:                               ;   in Loop: Header=BB1978_70 Depth=1
	s_mov_b32 s6, 0
.LBB1978_73:                            ;   Parent Loop BB1978_70 Depth=1
                                        ; =>  This Inner Loop Header: Depth=2
	;;#ASMSTART
	global_load_b128 v[5:8], v[23:24] off scope:SCOPE_DEV	
s_wait_loadcnt 0x0
	;;#ASMEND
	v_and_b32_e32 v8, 0xff, v7
	s_delay_alu instid0(VALU_DEP_1)
	v_cmp_ne_u16_e32 vcc_lo, 0, v8
	s_wait_alu 0xfffe
	s_or_b32 s6, vcc_lo, s6
	s_wait_alu 0xfffe
	s_and_not1_b32 exec_lo, exec_lo, s6
	s_cbranch_execnz .LBB1978_73
; %bb.74:                               ;   in Loop: Header=BB1978_70 Depth=1
	s_or_b32 exec_lo, exec_lo, s6
.LBB1978_75:                            ;   in Loop: Header=BB1978_70 Depth=1
	s_wait_alu 0xfffe
	s_or_b32 exec_lo, exec_lo, s4
	v_dual_mov_b32 v23, v5 :: v_dual_and_b32 v8, 0xff, v7
	ds_bpermute_b32 v50, v27, v5
	ds_bpermute_b32 v24, v27, v6
	s_mov_b32 s4, exec_lo
	v_cmp_eq_u16_e32 vcc_lo, 2, v8
	s_wait_alu 0xfffd
	v_and_or_b32 v8, vcc_lo, v28, 0x80000000
	s_delay_alu instid0(VALU_DEP_1) | instskip(NEXT) | instid1(VALU_DEP_1)
	v_ctz_i32_b32_e32 v8, v8
	v_cmpx_lt_u32_e64 v42, v8
	s_cbranch_execz .LBB1978_77
; %bb.76:                               ;   in Loop: Header=BB1978_70 Depth=1
	s_wait_dscnt 0x1
	v_add_co_u32 v23, vcc_lo, v5, v50
	s_wait_alu 0xfffd
	v_add_co_ci_u32_e64 v6, null, 0, v6, vcc_lo
	s_delay_alu instid0(VALU_DEP_2) | instskip(SKIP_2) | instid1(VALU_DEP_2)
	v_add_co_u32 v5, vcc_lo, 0, v23
	s_wait_dscnt 0x0
	s_wait_alu 0xfffd
	v_add_co_ci_u32_e64 v6, null, v24, v6, vcc_lo
.LBB1978_77:                            ;   in Loop: Header=BB1978_70 Depth=1
	s_wait_alu 0xfffe
	s_or_b32 exec_lo, exec_lo, s4
	s_wait_dscnt 0x1
	ds_bpermute_b32 v50, v29, v23
	s_wait_dscnt 0x1
	ds_bpermute_b32 v24, v29, v6
	s_mov_b32 s4, exec_lo
	v_cmpx_le_u32_e64 v30, v8
	s_cbranch_execz .LBB1978_79
; %bb.78:                               ;   in Loop: Header=BB1978_70 Depth=1
	s_wait_dscnt 0x1
	v_add_co_u32 v23, vcc_lo, v5, v50
	s_wait_alu 0xfffd
	v_add_co_ci_u32_e64 v6, null, 0, v6, vcc_lo
	s_delay_alu instid0(VALU_DEP_2) | instskip(SKIP_2) | instid1(VALU_DEP_2)
	v_add_co_u32 v5, vcc_lo, 0, v23
	s_wait_dscnt 0x0
	s_wait_alu 0xfffd
	v_add_co_ci_u32_e64 v6, null, v24, v6, vcc_lo
.LBB1978_79:                            ;   in Loop: Header=BB1978_70 Depth=1
	s_wait_alu 0xfffe
	s_or_b32 exec_lo, exec_lo, s4
	s_wait_dscnt 0x1
	ds_bpermute_b32 v50, v44, v23
	s_wait_dscnt 0x1
	ds_bpermute_b32 v24, v44, v6
	s_mov_b32 s4, exec_lo
	v_cmpx_le_u32_e64 v45, v8
	;; [unrolled: 20-line block ×3, first 2 shown]
	s_cbranch_execz .LBB1978_83
; %bb.82:                               ;   in Loop: Header=BB1978_70 Depth=1
	s_wait_dscnt 0x1
	v_add_co_u32 v23, vcc_lo, v5, v50
	s_wait_alu 0xfffd
	v_add_co_ci_u32_e64 v6, null, 0, v6, vcc_lo
	s_delay_alu instid0(VALU_DEP_2) | instskip(SKIP_2) | instid1(VALU_DEP_2)
	v_add_co_u32 v5, vcc_lo, 0, v23
	s_wait_dscnt 0x0
	s_wait_alu 0xfffd
	v_add_co_ci_u32_e64 v6, null, v24, v6, vcc_lo
.LBB1978_83:                            ;   in Loop: Header=BB1978_70 Depth=1
	s_wait_alu 0xfffe
	s_or_b32 exec_lo, exec_lo, s4
	s_wait_dscnt 0x0
	ds_bpermute_b32 v24, v48, v23
	ds_bpermute_b32 v23, v48, v6
	s_mov_b32 s4, exec_lo
	v_cmpx_le_u32_e64 v49, v8
	s_cbranch_execz .LBB1978_68
; %bb.84:                               ;   in Loop: Header=BB1978_70 Depth=1
	s_wait_dscnt 0x1
	v_add_co_u32 v5, vcc_lo, v5, v24
	s_wait_alu 0xfffd
	v_add_co_ci_u32_e64 v6, null, 0, v6, vcc_lo
	s_delay_alu instid0(VALU_DEP_2) | instskip(SKIP_2) | instid1(VALU_DEP_2)
	v_add_co_u32 v5, vcc_lo, v5, 0
	s_wait_dscnt 0x0
	s_wait_alu 0xfffd
	v_add_co_ci_u32_e64 v6, null, v6, v23, vcc_lo
	s_branch .LBB1978_68
.LBB1978_85:
                                        ; implicit-def: $vgpr19_vgpr20
                                        ; implicit-def: $vgpr6_vgpr7
                                        ; implicit-def: $vgpr21_vgpr22
                                        ; implicit-def: $vgpr23_vgpr24
                                        ; implicit-def: $vgpr25_vgpr26
                                        ; implicit-def: $vgpr27_vgpr28
                                        ; implicit-def: $vgpr29_vgpr30
                                        ; implicit-def: $vgpr4_vgpr5
	s_wait_alu 0xfffe
	s_and_b32 vcc_lo, exec_lo, s1
	s_wait_alu 0xfffe
	s_cbranch_vccnz .LBB1978_91
	s_branch .LBB1978_118
.LBB1978_86:
	s_and_saveexec_b32 s4, s1
	s_cbranch_execz .LBB1978_88
; %bb.87:
	s_add_co_i32 s6, s20, 32
	s_mov_b32 s7, 0
	v_add_co_u32 v5, vcc_lo, v3, v1
	s_wait_alu 0xfffe
	s_lshl_b64 s[6:7], s[6:7], 4
	v_dual_mov_b32 v7, 2 :: v_dual_mov_b32 v8, 0
	s_wait_alu 0xfffe
	s_add_nc_u64 s[6:7], s[16:17], s[6:7]
	s_wait_alu 0xfffd
	v_add_co_ci_u32_e64 v6, null, v4, v2, vcc_lo
	s_wait_alu 0xfffe
	v_dual_mov_b32 v22, s7 :: v_dual_mov_b32 v21, s6
	;;#ASMSTART
	global_store_b128 v[21:22], v[5:8] off scope:SCOPE_DEV	
s_wait_storecnt 0x0
	;;#ASMEND
	ds_store_b128 v8, v[1:4] offset:10752
.LBB1978_88:
	s_wait_alu 0xfffe
	s_or_b32 exec_lo, exec_lo, s4
	s_delay_alu instid0(SALU_CYCLE_1)
	s_and_b32 exec_lo, exec_lo, s2
; %bb.89:
	v_mov_b32_e32 v1, 0
	ds_store_b64 v1, v[3:4] offset:88
.LBB1978_90:
	s_wait_alu 0xfffe
	s_or_b32 exec_lo, exec_lo, s3
	v_mov_b32_e32 v3, 0
	s_wait_loadcnt_dscnt 0x0
	s_barrier_signal -1
	s_barrier_wait -1
	global_inv scope:SCOPE_SE
	ds_load_b64 v[1:2], v3 offset:88
	v_cndmask_b32_e64 v4, v25, v19, s1
	v_cndmask_b32_e64 v5, v26, v20, s1
	s_wait_loadcnt_dscnt 0x0
	s_barrier_signal -1
	s_barrier_wait -1
	v_cndmask_b32_e64 v4, v4, 0, s2
	v_cndmask_b32_e64 v5, v5, 0, s2
	global_inv scope:SCOPE_SE
	v_add_co_u32 v29, vcc_lo, v1, v4
	s_wait_alu 0xfffd
	v_add_co_ci_u32_e64 v30, null, v2, v5, vcc_lo
	ds_load_b128 v[2:5], v3 offset:10752
	v_add_co_u32 v27, vcc_lo, v29, v39
	s_wait_alu 0xfffd
	v_add_co_ci_u32_e64 v28, null, 0, v30, vcc_lo
	s_delay_alu instid0(VALU_DEP_2) | instskip(SKIP_1) | instid1(VALU_DEP_2)
	v_add_co_u32 v25, vcc_lo, v27, v38
	s_wait_alu 0xfffd
	v_add_co_ci_u32_e64 v26, null, 0, v28, vcc_lo
	s_delay_alu instid0(VALU_DEP_2) | instskip(SKIP_1) | instid1(VALU_DEP_2)
	;; [unrolled: 4-line block ×5, first 2 shown]
	v_add_co_u32 v19, vcc_lo, v6, v37
	s_wait_alu 0xfffd
	v_add_co_ci_u32_e64 v20, null, 0, v7, vcc_lo
	s_branch .LBB1978_118
.LBB1978_91:
	s_wait_dscnt 0x0
	v_dual_mov_b32 v2, 0 :: v_dual_mov_b32 v3, v17
	v_mov_b32_dpp v4, v17 row_shr:1 row_mask:0xf bank_mask:0xf
	s_delay_alu instid0(VALU_DEP_2)
	v_mov_b32_dpp v1, v2 row_shr:1 row_mask:0xf bank_mask:0xf
	s_and_saveexec_b32 s1, s0
; %bb.92:
	s_delay_alu instid0(VALU_DEP_2) | instskip(SKIP_2) | instid1(VALU_DEP_2)
	v_add_co_u32 v3, vcc_lo, v17, v4
	s_wait_alu 0xfffd
	v_add_co_ci_u32_e64 v2, null, 0, v18, vcc_lo
	v_add_co_u32 v17, vcc_lo, 0, v3
	s_wait_alu 0xfffd
	s_delay_alu instid0(VALU_DEP_2) | instskip(NEXT) | instid1(VALU_DEP_1)
	v_add_co_ci_u32_e64 v18, null, v1, v2, vcc_lo
	v_mov_b32_e32 v2, v18
; %bb.93:
	s_wait_alu 0xfffe
	s_or_b32 exec_lo, exec_lo, s1
	v_mov_b32_dpp v1, v3 row_shr:2 row_mask:0xf bank_mask:0xf
	s_delay_alu instid0(VALU_DEP_2)
	v_mov_b32_dpp v4, v2 row_shr:2 row_mask:0xf bank_mask:0xf
	v_cmp_lt_u32_e32 vcc_lo, 1, v43
	s_and_saveexec_b32 s3, vcc_lo
; %bb.94:
	s_delay_alu instid0(VALU_DEP_3) | instskip(SKIP_2) | instid1(VALU_DEP_2)
	v_add_co_u32 v3, s1, v17, v1
	s_wait_alu 0xf1ff
	v_add_co_ci_u32_e64 v2, null, 0, v18, s1
	v_add_co_u32 v1, s1, 0, v3
	s_wait_alu 0xf1ff
	s_delay_alu instid0(VALU_DEP_2) | instskip(NEXT) | instid1(VALU_DEP_1)
	v_add_co_ci_u32_e64 v2, null, v4, v2, s1
	v_dual_mov_b32 v18, v2 :: v_dual_mov_b32 v17, v1
; %bb.95:
	s_wait_alu 0xfffe
	s_or_b32 exec_lo, exec_lo, s3
	v_mov_b32_dpp v1, v3 row_shr:4 row_mask:0xf bank_mask:0xf
	v_mov_b32_dpp v4, v2 row_shr:4 row_mask:0xf bank_mask:0xf
	v_cmp_lt_u32_e64 s1, 3, v43
	s_and_saveexec_b32 s4, s1
; %bb.96:
	v_add_co_u32 v3, s3, v17, v1
	s_wait_alu 0xf1ff
	v_add_co_ci_u32_e64 v2, null, 0, v18, s3
	s_delay_alu instid0(VALU_DEP_2) | instskip(SKIP_1) | instid1(VALU_DEP_2)
	v_add_co_u32 v1, s3, 0, v3
	s_wait_alu 0xf1ff
	v_add_co_ci_u32_e64 v2, null, v4, v2, s3
	s_delay_alu instid0(VALU_DEP_1)
	v_dual_mov_b32 v18, v2 :: v_dual_mov_b32 v17, v1
; %bb.97:
	s_wait_alu 0xfffe
	s_or_b32 exec_lo, exec_lo, s4
	v_mov_b32_dpp v4, v3 row_shr:8 row_mask:0xf bank_mask:0xf
	v_mov_b32_dpp v1, v2 row_shr:8 row_mask:0xf bank_mask:0xf
	v_cmp_lt_u32_e64 s3, 7, v43
	s_and_saveexec_b32 s6, s3
; %bb.98:
	v_add_co_u32 v3, s4, v17, v4
	s_wait_alu 0xf1ff
	v_add_co_ci_u32_e64 v2, null, 0, v18, s4
	s_delay_alu instid0(VALU_DEP_2) | instskip(SKIP_1) | instid1(VALU_DEP_2)
	v_add_co_u32 v17, s4, 0, v3
	s_wait_alu 0xf1ff
	v_add_co_ci_u32_e64 v18, null, v1, v2, s4
	s_delay_alu instid0(VALU_DEP_1)
	v_mov_b32_e32 v2, v18
; %bb.99:
	s_wait_alu 0xfffe
	s_or_b32 exec_lo, exec_lo, s6
	ds_swizzle_b32 v3, v3 offset:swizzle(BROADCAST,32,15)
	ds_swizzle_b32 v1, v2 offset:swizzle(BROADCAST,32,15)
	v_and_b32_e32 v2, 16, v42
	s_mov_b32 s6, exec_lo
	s_delay_alu instid0(VALU_DEP_1)
	v_cmpx_ne_u32_e32 0, v2
	s_cbranch_execz .LBB1978_101
; %bb.100:
	s_wait_dscnt 0x1
	v_add_co_u32 v2, s4, v17, v3
	s_wait_alu 0xf1ff
	v_add_co_ci_u32_e64 v3, null, 0, v18, s4
	s_delay_alu instid0(VALU_DEP_2) | instskip(SKIP_2) | instid1(VALU_DEP_2)
	v_add_co_u32 v17, s4, v2, 0
	s_wait_dscnt 0x0
	s_wait_alu 0xf1ff
	v_add_co_ci_u32_e64 v18, null, v3, v1, s4
.LBB1978_101:
	s_wait_alu 0xfffe
	s_or_b32 exec_lo, exec_lo, s6
	s_wait_dscnt 0x0
	v_and_b32_e32 v1, 0x1e0, v0
	v_lshrrev_b32_e32 v3, 5, v0
	s_mov_b32 s6, exec_lo
	s_delay_alu instid0(VALU_DEP_2) | instskip(NEXT) | instid1(VALU_DEP_1)
	v_min_u32_e32 v1, 0x160, v1
	v_or_b32_e32 v1, 31, v1
	s_delay_alu instid0(VALU_DEP_1)
	v_cmpx_eq_u32_e64 v0, v1
; %bb.102:
	v_lshlrev_b32_e32 v1, 3, v3
	ds_store_b64 v1, v[17:18]
; %bb.103:
	s_wait_alu 0xfffe
	s_or_b32 exec_lo, exec_lo, s6
	s_delay_alu instid0(SALU_CYCLE_1)
	s_mov_b32 s6, exec_lo
	s_wait_loadcnt_dscnt 0x0
	s_barrier_signal -1
	s_barrier_wait -1
	global_inv scope:SCOPE_SE
	v_cmpx_gt_u32_e32 12, v0
	s_cbranch_execz .LBB1978_113
; %bb.104:
	v_mad_i32_i24 v1, 0xffffffec, v0, v31
	ds_load_b64 v[1:2], v1
	s_wait_dscnt 0x0
	v_mov_b32_dpp v6, v1 row_shr:1 row_mask:0xf bank_mask:0xf
	v_mov_b32_dpp v5, v2 row_shr:1 row_mask:0xf bank_mask:0xf
	v_mov_b32_e32 v4, v1
	s_and_saveexec_b32 s4, s0
; %bb.105:
	s_delay_alu instid0(VALU_DEP_3) | instskip(SKIP_2) | instid1(VALU_DEP_2)
	v_add_co_u32 v4, s0, v1, v6
	s_wait_alu 0xf1ff
	v_add_co_ci_u32_e64 v2, null, 0, v2, s0
	v_add_co_u32 v1, s0, 0, v4
	s_wait_alu 0xf1ff
	s_delay_alu instid0(VALU_DEP_2)
	v_add_co_ci_u32_e64 v2, null, v5, v2, s0
; %bb.106:
	s_wait_alu 0xfffe
	s_or_b32 exec_lo, exec_lo, s4
	v_mov_b32_dpp v6, v4 row_shr:2 row_mask:0xf bank_mask:0xf
	s_delay_alu instid0(VALU_DEP_2)
	v_mov_b32_dpp v5, v2 row_shr:2 row_mask:0xf bank_mask:0xf
	s_and_saveexec_b32 s0, vcc_lo
; %bb.107:
	s_delay_alu instid0(VALU_DEP_2) | instskip(SKIP_2) | instid1(VALU_DEP_2)
	v_add_co_u32 v4, vcc_lo, v1, v6
	s_wait_alu 0xfffd
	v_add_co_ci_u32_e64 v2, null, 0, v2, vcc_lo
	v_add_co_u32 v1, vcc_lo, 0, v4
	s_wait_alu 0xfffd
	s_delay_alu instid0(VALU_DEP_2)
	v_add_co_ci_u32_e64 v2, null, v5, v2, vcc_lo
; %bb.108:
	s_wait_alu 0xfffe
	s_or_b32 exec_lo, exec_lo, s0
	v_mov_b32_dpp v6, v4 row_shr:4 row_mask:0xf bank_mask:0xf
	s_delay_alu instid0(VALU_DEP_2)
	v_mov_b32_dpp v5, v2 row_shr:4 row_mask:0xf bank_mask:0xf
	s_and_saveexec_b32 s0, s1
; %bb.109:
	s_delay_alu instid0(VALU_DEP_2) | instskip(SKIP_2) | instid1(VALU_DEP_2)
	v_add_co_u32 v4, vcc_lo, v1, v6
	s_wait_alu 0xfffd
	v_add_co_ci_u32_e64 v2, null, 0, v2, vcc_lo
	v_add_co_u32 v1, vcc_lo, 0, v4
	s_wait_alu 0xfffd
	s_delay_alu instid0(VALU_DEP_2)
	v_add_co_ci_u32_e64 v2, null, v5, v2, vcc_lo
; %bb.110:
	s_wait_alu 0xfffe
	s_or_b32 exec_lo, exec_lo, s0
	v_mul_i32_i24_e32 v5, 0xffffffec, v0
	v_mov_b32_dpp v6, v4 row_shr:8 row_mask:0xf bank_mask:0xf
	v_mov_b32_dpp v4, v2 row_shr:8 row_mask:0xf bank_mask:0xf
	s_and_saveexec_b32 s0, s3
; %bb.111:
	s_delay_alu instid0(VALU_DEP_2) | instskip(SKIP_2) | instid1(VALU_DEP_2)
	v_add_co_u32 v1, vcc_lo, v1, v6
	s_wait_alu 0xfffd
	v_add_co_ci_u32_e64 v2, null, 0, v2, vcc_lo
	v_add_co_u32 v1, vcc_lo, v1, 0
	s_wait_alu 0xfffd
	s_delay_alu instid0(VALU_DEP_2)
	v_add_co_ci_u32_e64 v2, null, v2, v4, vcc_lo
; %bb.112:
	s_wait_alu 0xfffe
	s_or_b32 exec_lo, exec_lo, s0
	v_add_nc_u32_e32 v4, v31, v5
	ds_store_b64 v4, v[1:2]
.LBB1978_113:
	s_wait_alu 0xfffe
	s_or_b32 exec_lo, exec_lo, s6
	v_mov_b32_e32 v6, 0
	v_mov_b32_e32 v7, 0
	s_mov_b32 s0, exec_lo
	s_wait_loadcnt_dscnt 0x0
	s_barrier_signal -1
	s_barrier_wait -1
	global_inv scope:SCOPE_SE
	v_cmpx_lt_u32_e32 31, v0
; %bb.114:
	v_lshl_add_u32 v1, v3, 3, -8
	ds_load_b64 v[6:7], v1
; %bb.115:
	s_wait_alu 0xfffe
	s_or_b32 exec_lo, exec_lo, s0
	v_sub_co_u32 v1, vcc_lo, v42, 1
	v_mov_b32_e32 v5, 0
	s_delay_alu instid0(VALU_DEP_2) | instskip(SKIP_1) | instid1(VALU_DEP_1)
	v_cmp_gt_i32_e64 s0, 0, v1
	s_wait_alu 0xf1ff
	v_cndmask_b32_e64 v1, v1, v42, s0
	s_delay_alu instid0(VALU_DEP_1)
	v_lshlrev_b32_e32 v2, 2, v1
	s_wait_dscnt 0x0
	v_add_co_u32 v1, s0, v6, v17
	s_wait_alu 0xf1ff
	v_add_co_ci_u32_e64 v3, null, v7, v18, s0
	ds_bpermute_b32 v1, v2, v1
	ds_bpermute_b32 v8, v2, v3
	ds_load_b64 v[2:3], v5 offset:88
	s_and_saveexec_b32 s0, s2
	s_cbranch_execz .LBB1978_117
; %bb.116:
	s_add_nc_u64 s[6:7], s[16:17], 0x200
	v_mov_b32_e32 v4, 2
	s_wait_alu 0xfffe
	v_dual_mov_b32 v18, s7 :: v_dual_mov_b32 v17, s6
	s_wait_dscnt 0x0
	;;#ASMSTART
	global_store_b128 v[17:18], v[2:5] off scope:SCOPE_DEV	
s_wait_storecnt 0x0
	;;#ASMEND
.LBB1978_117:
	s_wait_alu 0xfffe
	s_or_b32 exec_lo, exec_lo, s0
	s_wait_dscnt 0x1
	s_wait_alu 0xfffd
	v_dual_cndmask_b32 v1, v1, v6 :: v_dual_cndmask_b32 v4, v8, v7
	s_wait_loadcnt_dscnt 0x0
	s_barrier_signal -1
	s_barrier_wait -1
	s_delay_alu instid0(VALU_DEP_1)
	v_cndmask_b32_e64 v29, v1, 0, s2
	v_cndmask_b32_e64 v30, v4, 0, s2
	v_mov_b32_e32 v4, 0
	v_mov_b32_e32 v5, 0
	global_inv scope:SCOPE_SE
	v_add_co_u32 v27, vcc_lo, v29, v39
	s_wait_alu 0xfffd
	v_add_co_ci_u32_e64 v28, null, 0, v30, vcc_lo
	s_delay_alu instid0(VALU_DEP_2) | instskip(SKIP_1) | instid1(VALU_DEP_2)
	v_add_co_u32 v25, vcc_lo, v27, v38
	s_wait_alu 0xfffd
	v_add_co_ci_u32_e64 v26, null, 0, v28, vcc_lo
	s_delay_alu instid0(VALU_DEP_2) | instskip(SKIP_1) | instid1(VALU_DEP_2)
	;; [unrolled: 4-line block ×5, first 2 shown]
	v_add_co_u32 v19, vcc_lo, v6, v37
	s_wait_alu 0xfffd
	v_add_co_ci_u32_e64 v20, null, 0, v7, vcc_lo
.LBB1978_118:
	v_and_b32_e32 v37, 1, v32
	s_wait_dscnt 0x0
	v_cmp_gt_u64_e32 vcc_lo, 0x181, v[2:3]
	v_lshlrev_b64_e32 v[17:18], 1, v[9:10]
	v_lshrrev_b32_e32 v8, 8, v32
	v_lshrrev_b32_e32 v1, 16, v32
	v_cmp_eq_u32_e64 s0, 1, v37
	s_mov_b32 s1, -1
	s_cbranch_vccnz .LBB1978_122
; %bb.119:
	s_wait_alu 0xfffe
	s_and_b32 vcc_lo, exec_lo, s1
	s_wait_alu 0xfffe
	s_cbranch_vccnz .LBB1978_137
.LBB1978_120:
	s_and_b32 s0, s2, s14
	s_wait_alu 0xfffe
	s_and_saveexec_b32 s1, s0
	s_cbranch_execnz .LBB1978_154
.LBB1978_121:
	s_endpgm
.LBB1978_122:
	v_add_co_u32 v31, vcc_lo, v4, v2
	s_wait_alu 0xfffd
	v_add_co_ci_u32_e64 v32, null, v5, v3, vcc_lo
	v_add_co_u32 v38, s1, s10, v17
	s_wait_alu 0xf1fe
	v_add_co_ci_u32_e64 v39, null, s11, v18, s1
	s_delay_alu instid0(VALU_DEP_3)
	v_cmp_lt_u64_e32 vcc_lo, v[29:30], v[31:32]
	s_or_b32 s1, s15, vcc_lo
	s_wait_alu 0xfffe
	s_and_b32 s1, s1, s0
	s_wait_alu 0xfffe
	s_and_saveexec_b32 s0, s1
	s_cbranch_execz .LBB1978_124
; %bb.123:
	v_lshlrev_b64_e32 v[40:41], 1, v[29:30]
	s_delay_alu instid0(VALU_DEP_1) | instskip(SKIP_1) | instid1(VALU_DEP_2)
	v_add_co_u32 v40, vcc_lo, v38, v40
	s_wait_alu 0xfffd
	v_add_co_ci_u32_e64 v41, null, v39, v41, vcc_lo
	global_store_b16 v[40:41], v15, off
.LBB1978_124:
	s_wait_alu 0xfffe
	s_or_b32 exec_lo, exec_lo, s0
	v_and_b32_e32 v30, 1, v8
	v_cmp_lt_u64_e32 vcc_lo, v[27:28], v[31:32]
	s_delay_alu instid0(VALU_DEP_2)
	v_cmp_eq_u32_e64 s0, 1, v30
	s_or_b32 s1, s15, vcc_lo
	s_wait_alu 0xfffe
	s_and_b32 s1, s1, s0
	s_wait_alu 0xfffe
	s_and_saveexec_b32 s0, s1
	s_cbranch_execz .LBB1978_126
; %bb.125:
	v_lshlrev_b64_e32 v[40:41], 1, v[27:28]
	s_delay_alu instid0(VALU_DEP_1) | instskip(SKIP_1) | instid1(VALU_DEP_2)
	v_add_co_u32 v40, vcc_lo, v38, v40
	s_wait_alu 0xfffd
	v_add_co_ci_u32_e64 v41, null, v39, v41, vcc_lo
	global_store_b16 v[40:41], v16, off
.LBB1978_126:
	s_wait_alu 0xfffe
	s_or_b32 exec_lo, exec_lo, s0
	v_and_b32_e32 v28, 1, v1
	v_cmp_lt_u64_e32 vcc_lo, v[25:26], v[31:32]
	s_delay_alu instid0(VALU_DEP_2)
	v_cmp_eq_u32_e64 s0, 1, v28
	;; [unrolled: 20-line block ×5, first 2 shown]
	s_or_b32 s1, s15, vcc_lo
	s_wait_alu 0xfffe
	s_and_b32 s1, s1, s0
	s_wait_alu 0xfffe
	s_and_saveexec_b32 s0, s1
	s_cbranch_execz .LBB1978_134
; %bb.133:
	v_lshlrev_b64_e32 v[40:41], 1, v[6:7]
	s_delay_alu instid0(VALU_DEP_1) | instskip(SKIP_1) | instid1(VALU_DEP_2)
	v_add_co_u32 v40, vcc_lo, v38, v40
	s_wait_alu 0xfffd
	v_add_co_ci_u32_e64 v41, null, v39, v41, vcc_lo
	global_store_b16 v[40:41], v12, off
.LBB1978_134:
	s_wait_alu 0xfffe
	s_or_b32 exec_lo, exec_lo, s0
	v_cmp_lt_u64_e32 vcc_lo, v[19:20], v[31:32]
	s_or_b32 s0, s15, vcc_lo
	s_wait_alu 0xfffe
	s_and_b32 s1, s0, s5
	s_wait_alu 0xfffe
	s_and_saveexec_b32 s0, s1
	s_cbranch_execz .LBB1978_136
; %bb.135:
	v_lshlrev_b64_e32 v[30:31], 1, v[19:20]
	s_delay_alu instid0(VALU_DEP_1) | instskip(SKIP_1) | instid1(VALU_DEP_2)
	v_add_co_u32 v30, vcc_lo, v38, v30
	s_wait_alu 0xfffd
	v_add_co_ci_u32_e64 v31, null, v39, v31, vcc_lo
	global_store_b16 v[30:31], v33, off
.LBB1978_136:
	s_wait_alu 0xfffe
	s_or_b32 exec_lo, exec_lo, s0
	s_branch .LBB1978_120
.LBB1978_137:
	s_mov_b32 s0, exec_lo
	v_cmpx_eq_u32_e32 1, v37
; %bb.138:
	v_sub_nc_u32_e32 v7, v29, v4
	s_delay_alu instid0(VALU_DEP_1)
	v_lshlrev_b32_e32 v7, 2, v7
	ds_store_b32 v7, v15
; %bb.139:
	s_wait_alu 0xfffe
	s_or_b32 exec_lo, exec_lo, s0
	v_and_b32_e32 v7, 1, v8
	s_mov_b32 s0, exec_lo
	s_delay_alu instid0(VALU_DEP_1)
	v_cmpx_eq_u32_e32 1, v7
; %bb.140:
	v_sub_nc_u32_e32 v7, v27, v4
	s_delay_alu instid0(VALU_DEP_1)
	v_lshlrev_b32_e32 v7, 2, v7
	ds_store_b32 v7, v16
; %bb.141:
	s_wait_alu 0xfffe
	s_or_b32 exec_lo, exec_lo, s0
	v_and_b32_e32 v1, 1, v1
	s_mov_b32 s0, exec_lo
	s_delay_alu instid0(VALU_DEP_1)
	;; [unrolled: 12-line block ×5, first 2 shown]
	v_cmpx_eq_u32_e32 1, v1
; %bb.148:
	v_sub_nc_u32_e32 v1, v6, v4
	s_delay_alu instid0(VALU_DEP_1)
	v_lshlrev_b32_e32 v1, 2, v1
	ds_store_b32 v1, v12
; %bb.149:
	s_wait_alu 0xfffe
	s_or_b32 exec_lo, exec_lo, s0
	s_and_saveexec_b32 s0, s5
; %bb.150:
	v_sub_nc_u32_e32 v1, v19, v4
	s_delay_alu instid0(VALU_DEP_1)
	v_lshlrev_b32_e32 v1, 2, v1
	ds_store_b32 v1, v33
; %bb.151:
	s_wait_alu 0xfffe
	s_or_b32 exec_lo, exec_lo, s0
	v_lshlrev_b64_e32 v[11:12], 1, v[4:5]
	v_add_co_u32 v8, vcc_lo, s10, v17
	v_mov_b32_e32 v1, 0
	s_wait_alu 0xfffd
	v_add_co_ci_u32_e64 v13, null, s11, v18, vcc_lo
	s_delay_alu instid0(VALU_DEP_3) | instskip(NEXT) | instid1(VALU_DEP_3)
	v_add_co_u32 v8, vcc_lo, v8, v11
	v_dual_mov_b32 v7, v1 :: v_dual_mov_b32 v6, v0
	s_wait_alu 0xfffd
	s_delay_alu instid0(VALU_DEP_3)
	v_add_co_ci_u32_e64 v11, null, v13, v12, vcc_lo
	v_add_nc_u32_e32 v0, 0x180, v0
	s_mov_b32 s1, 0
	s_wait_storecnt 0x0
	s_wait_loadcnt_dscnt 0x0
	s_barrier_signal -1
	s_barrier_wait -1
	global_inv scope:SCOPE_SE
.LBB1978_152:                           ; =>This Inner Loop Header: Depth=1
	v_lshlrev_b32_e32 v12, 2, v6
	v_cmp_le_u64_e32 vcc_lo, v[2:3], v[0:1]
	ds_load_u16 v14, v12
	v_lshlrev_b64_e32 v[12:13], 1, v[6:7]
	v_dual_mov_b32 v7, v1 :: v_dual_mov_b32 v6, v0
	v_add_nc_u32_e32 v0, 0x180, v0
	s_wait_alu 0xfffe
	s_or_b32 s1, vcc_lo, s1
	s_delay_alu instid0(VALU_DEP_3)
	v_add_co_u32 v12, s0, v8, v12
	s_wait_alu 0xf1ff
	v_add_co_ci_u32_e64 v13, null, v11, v13, s0
	s_wait_dscnt 0x0
	global_store_b16 v[12:13], v14, off
	s_wait_alu 0xfffe
	s_and_not1_b32 exec_lo, exec_lo, s1
	s_cbranch_execnz .LBB1978_152
; %bb.153:
	s_or_b32 exec_lo, exec_lo, s1
	s_and_b32 s0, s2, s14
	s_wait_alu 0xfffe
	s_and_saveexec_b32 s1, s0
	s_cbranch_execz .LBB1978_121
.LBB1978_154:
	v_add_co_u32 v0, vcc_lo, v4, v2
	s_wait_alu 0xfffd
	v_add_co_ci_u32_e64 v1, null, v5, v3, vcc_lo
	v_mov_b32_e32 v2, 0
	s_delay_alu instid0(VALU_DEP_3) | instskip(SKIP_1) | instid1(VALU_DEP_3)
	v_add_co_u32 v0, vcc_lo, v0, v9
	s_wait_alu 0xfffd
	v_add_co_ci_u32_e64 v1, null, v1, v10, vcc_lo
	global_store_b64 v2, v[0:1], s[12:13]
	s_endpgm
	.section	.rodata,"a",@progbits
	.p2align	6, 0x0
	.amdhsa_kernel _ZN7rocprim17ROCPRIM_400000_NS6detail17trampoline_kernelINS0_14default_configENS1_25partition_config_selectorILNS1_17partition_subalgoE6EN6thrust23THRUST_200600_302600_NS5tupleIttNS7_9null_typeES9_S9_S9_S9_S9_S9_S9_EENS0_10empty_typeEbEEZZNS1_14partition_implILS5_6ELb0ES3_mNS7_12zip_iteratorINS8_INS7_6detail15normal_iteratorINS7_10device_ptrItEEEESJ_S9_S9_S9_S9_S9_S9_S9_S9_EEEEPSB_SM_NS0_5tupleIJNSE_INS8_ISJ_NS7_16discard_iteratorINS7_11use_defaultEEES9_S9_S9_S9_S9_S9_S9_S9_EEEESB_EEENSN_IJSM_SM_EEESB_PlJNSF_9not_fun_tINSF_14equal_to_valueISA_EEEEEEE10hipError_tPvRmT3_T4_T5_T6_T7_T9_mT8_P12ihipStream_tbDpT10_ENKUlT_T0_E_clISt17integral_constantIbLb0EES1I_IbLb1EEEEDaS1E_S1F_EUlS1E_E_NS1_11comp_targetILNS1_3genE10ELNS1_11target_archE1200ELNS1_3gpuE4ELNS1_3repE0EEENS1_30default_config_static_selectorELNS0_4arch9wavefront6targetE0EEEvT1_
		.amdhsa_group_segment_fixed_size 10768
		.amdhsa_private_segment_fixed_size 0
		.amdhsa_kernarg_size 152
		.amdhsa_user_sgpr_count 2
		.amdhsa_user_sgpr_dispatch_ptr 0
		.amdhsa_user_sgpr_queue_ptr 0
		.amdhsa_user_sgpr_kernarg_segment_ptr 1
		.amdhsa_user_sgpr_dispatch_id 0
		.amdhsa_user_sgpr_private_segment_size 0
		.amdhsa_wavefront_size32 1
		.amdhsa_uses_dynamic_stack 0
		.amdhsa_enable_private_segment 0
		.amdhsa_system_sgpr_workgroup_id_x 1
		.amdhsa_system_sgpr_workgroup_id_y 0
		.amdhsa_system_sgpr_workgroup_id_z 0
		.amdhsa_system_sgpr_workgroup_info 0
		.amdhsa_system_vgpr_workitem_id 0
		.amdhsa_next_free_vgpr 51
		.amdhsa_next_free_sgpr 26
		.amdhsa_reserve_vcc 1
		.amdhsa_float_round_mode_32 0
		.amdhsa_float_round_mode_16_64 0
		.amdhsa_float_denorm_mode_32 3
		.amdhsa_float_denorm_mode_16_64 3
		.amdhsa_fp16_overflow 0
		.amdhsa_workgroup_processor_mode 1
		.amdhsa_memory_ordered 1
		.amdhsa_forward_progress 1
		.amdhsa_inst_pref_size 63
		.amdhsa_round_robin_scheduling 0
		.amdhsa_exception_fp_ieee_invalid_op 0
		.amdhsa_exception_fp_denorm_src 0
		.amdhsa_exception_fp_ieee_div_zero 0
		.amdhsa_exception_fp_ieee_overflow 0
		.amdhsa_exception_fp_ieee_underflow 0
		.amdhsa_exception_fp_ieee_inexact 0
		.amdhsa_exception_int_div_zero 0
	.end_amdhsa_kernel
	.section	.text._ZN7rocprim17ROCPRIM_400000_NS6detail17trampoline_kernelINS0_14default_configENS1_25partition_config_selectorILNS1_17partition_subalgoE6EN6thrust23THRUST_200600_302600_NS5tupleIttNS7_9null_typeES9_S9_S9_S9_S9_S9_S9_EENS0_10empty_typeEbEEZZNS1_14partition_implILS5_6ELb0ES3_mNS7_12zip_iteratorINS8_INS7_6detail15normal_iteratorINS7_10device_ptrItEEEESJ_S9_S9_S9_S9_S9_S9_S9_S9_EEEEPSB_SM_NS0_5tupleIJNSE_INS8_ISJ_NS7_16discard_iteratorINS7_11use_defaultEEES9_S9_S9_S9_S9_S9_S9_S9_EEEESB_EEENSN_IJSM_SM_EEESB_PlJNSF_9not_fun_tINSF_14equal_to_valueISA_EEEEEEE10hipError_tPvRmT3_T4_T5_T6_T7_T9_mT8_P12ihipStream_tbDpT10_ENKUlT_T0_E_clISt17integral_constantIbLb0EES1I_IbLb1EEEEDaS1E_S1F_EUlS1E_E_NS1_11comp_targetILNS1_3genE10ELNS1_11target_archE1200ELNS1_3gpuE4ELNS1_3repE0EEENS1_30default_config_static_selectorELNS0_4arch9wavefront6targetE0EEEvT1_,"axG",@progbits,_ZN7rocprim17ROCPRIM_400000_NS6detail17trampoline_kernelINS0_14default_configENS1_25partition_config_selectorILNS1_17partition_subalgoE6EN6thrust23THRUST_200600_302600_NS5tupleIttNS7_9null_typeES9_S9_S9_S9_S9_S9_S9_EENS0_10empty_typeEbEEZZNS1_14partition_implILS5_6ELb0ES3_mNS7_12zip_iteratorINS8_INS7_6detail15normal_iteratorINS7_10device_ptrItEEEESJ_S9_S9_S9_S9_S9_S9_S9_S9_EEEEPSB_SM_NS0_5tupleIJNSE_INS8_ISJ_NS7_16discard_iteratorINS7_11use_defaultEEES9_S9_S9_S9_S9_S9_S9_S9_EEEESB_EEENSN_IJSM_SM_EEESB_PlJNSF_9not_fun_tINSF_14equal_to_valueISA_EEEEEEE10hipError_tPvRmT3_T4_T5_T6_T7_T9_mT8_P12ihipStream_tbDpT10_ENKUlT_T0_E_clISt17integral_constantIbLb0EES1I_IbLb1EEEEDaS1E_S1F_EUlS1E_E_NS1_11comp_targetILNS1_3genE10ELNS1_11target_archE1200ELNS1_3gpuE4ELNS1_3repE0EEENS1_30default_config_static_selectorELNS0_4arch9wavefront6targetE0EEEvT1_,comdat
.Lfunc_end1978:
	.size	_ZN7rocprim17ROCPRIM_400000_NS6detail17trampoline_kernelINS0_14default_configENS1_25partition_config_selectorILNS1_17partition_subalgoE6EN6thrust23THRUST_200600_302600_NS5tupleIttNS7_9null_typeES9_S9_S9_S9_S9_S9_S9_EENS0_10empty_typeEbEEZZNS1_14partition_implILS5_6ELb0ES3_mNS7_12zip_iteratorINS8_INS7_6detail15normal_iteratorINS7_10device_ptrItEEEESJ_S9_S9_S9_S9_S9_S9_S9_S9_EEEEPSB_SM_NS0_5tupleIJNSE_INS8_ISJ_NS7_16discard_iteratorINS7_11use_defaultEEES9_S9_S9_S9_S9_S9_S9_S9_EEEESB_EEENSN_IJSM_SM_EEESB_PlJNSF_9not_fun_tINSF_14equal_to_valueISA_EEEEEEE10hipError_tPvRmT3_T4_T5_T6_T7_T9_mT8_P12ihipStream_tbDpT10_ENKUlT_T0_E_clISt17integral_constantIbLb0EES1I_IbLb1EEEEDaS1E_S1F_EUlS1E_E_NS1_11comp_targetILNS1_3genE10ELNS1_11target_archE1200ELNS1_3gpuE4ELNS1_3repE0EEENS1_30default_config_static_selectorELNS0_4arch9wavefront6targetE0EEEvT1_, .Lfunc_end1978-_ZN7rocprim17ROCPRIM_400000_NS6detail17trampoline_kernelINS0_14default_configENS1_25partition_config_selectorILNS1_17partition_subalgoE6EN6thrust23THRUST_200600_302600_NS5tupleIttNS7_9null_typeES9_S9_S9_S9_S9_S9_S9_EENS0_10empty_typeEbEEZZNS1_14partition_implILS5_6ELb0ES3_mNS7_12zip_iteratorINS8_INS7_6detail15normal_iteratorINS7_10device_ptrItEEEESJ_S9_S9_S9_S9_S9_S9_S9_S9_EEEEPSB_SM_NS0_5tupleIJNSE_INS8_ISJ_NS7_16discard_iteratorINS7_11use_defaultEEES9_S9_S9_S9_S9_S9_S9_S9_EEEESB_EEENSN_IJSM_SM_EEESB_PlJNSF_9not_fun_tINSF_14equal_to_valueISA_EEEEEEE10hipError_tPvRmT3_T4_T5_T6_T7_T9_mT8_P12ihipStream_tbDpT10_ENKUlT_T0_E_clISt17integral_constantIbLb0EES1I_IbLb1EEEEDaS1E_S1F_EUlS1E_E_NS1_11comp_targetILNS1_3genE10ELNS1_11target_archE1200ELNS1_3gpuE4ELNS1_3repE0EEENS1_30default_config_static_selectorELNS0_4arch9wavefront6targetE0EEEvT1_
                                        ; -- End function
	.set _ZN7rocprim17ROCPRIM_400000_NS6detail17trampoline_kernelINS0_14default_configENS1_25partition_config_selectorILNS1_17partition_subalgoE6EN6thrust23THRUST_200600_302600_NS5tupleIttNS7_9null_typeES9_S9_S9_S9_S9_S9_S9_EENS0_10empty_typeEbEEZZNS1_14partition_implILS5_6ELb0ES3_mNS7_12zip_iteratorINS8_INS7_6detail15normal_iteratorINS7_10device_ptrItEEEESJ_S9_S9_S9_S9_S9_S9_S9_S9_EEEEPSB_SM_NS0_5tupleIJNSE_INS8_ISJ_NS7_16discard_iteratorINS7_11use_defaultEEES9_S9_S9_S9_S9_S9_S9_S9_EEEESB_EEENSN_IJSM_SM_EEESB_PlJNSF_9not_fun_tINSF_14equal_to_valueISA_EEEEEEE10hipError_tPvRmT3_T4_T5_T6_T7_T9_mT8_P12ihipStream_tbDpT10_ENKUlT_T0_E_clISt17integral_constantIbLb0EES1I_IbLb1EEEEDaS1E_S1F_EUlS1E_E_NS1_11comp_targetILNS1_3genE10ELNS1_11target_archE1200ELNS1_3gpuE4ELNS1_3repE0EEENS1_30default_config_static_selectorELNS0_4arch9wavefront6targetE0EEEvT1_.num_vgpr, 51
	.set _ZN7rocprim17ROCPRIM_400000_NS6detail17trampoline_kernelINS0_14default_configENS1_25partition_config_selectorILNS1_17partition_subalgoE6EN6thrust23THRUST_200600_302600_NS5tupleIttNS7_9null_typeES9_S9_S9_S9_S9_S9_S9_EENS0_10empty_typeEbEEZZNS1_14partition_implILS5_6ELb0ES3_mNS7_12zip_iteratorINS8_INS7_6detail15normal_iteratorINS7_10device_ptrItEEEESJ_S9_S9_S9_S9_S9_S9_S9_S9_EEEEPSB_SM_NS0_5tupleIJNSE_INS8_ISJ_NS7_16discard_iteratorINS7_11use_defaultEEES9_S9_S9_S9_S9_S9_S9_S9_EEEESB_EEENSN_IJSM_SM_EEESB_PlJNSF_9not_fun_tINSF_14equal_to_valueISA_EEEEEEE10hipError_tPvRmT3_T4_T5_T6_T7_T9_mT8_P12ihipStream_tbDpT10_ENKUlT_T0_E_clISt17integral_constantIbLb0EES1I_IbLb1EEEEDaS1E_S1F_EUlS1E_E_NS1_11comp_targetILNS1_3genE10ELNS1_11target_archE1200ELNS1_3gpuE4ELNS1_3repE0EEENS1_30default_config_static_selectorELNS0_4arch9wavefront6targetE0EEEvT1_.num_agpr, 0
	.set _ZN7rocprim17ROCPRIM_400000_NS6detail17trampoline_kernelINS0_14default_configENS1_25partition_config_selectorILNS1_17partition_subalgoE6EN6thrust23THRUST_200600_302600_NS5tupleIttNS7_9null_typeES9_S9_S9_S9_S9_S9_S9_EENS0_10empty_typeEbEEZZNS1_14partition_implILS5_6ELb0ES3_mNS7_12zip_iteratorINS8_INS7_6detail15normal_iteratorINS7_10device_ptrItEEEESJ_S9_S9_S9_S9_S9_S9_S9_S9_EEEEPSB_SM_NS0_5tupleIJNSE_INS8_ISJ_NS7_16discard_iteratorINS7_11use_defaultEEES9_S9_S9_S9_S9_S9_S9_S9_EEEESB_EEENSN_IJSM_SM_EEESB_PlJNSF_9not_fun_tINSF_14equal_to_valueISA_EEEEEEE10hipError_tPvRmT3_T4_T5_T6_T7_T9_mT8_P12ihipStream_tbDpT10_ENKUlT_T0_E_clISt17integral_constantIbLb0EES1I_IbLb1EEEEDaS1E_S1F_EUlS1E_E_NS1_11comp_targetILNS1_3genE10ELNS1_11target_archE1200ELNS1_3gpuE4ELNS1_3repE0EEENS1_30default_config_static_selectorELNS0_4arch9wavefront6targetE0EEEvT1_.numbered_sgpr, 26
	.set _ZN7rocprim17ROCPRIM_400000_NS6detail17trampoline_kernelINS0_14default_configENS1_25partition_config_selectorILNS1_17partition_subalgoE6EN6thrust23THRUST_200600_302600_NS5tupleIttNS7_9null_typeES9_S9_S9_S9_S9_S9_S9_EENS0_10empty_typeEbEEZZNS1_14partition_implILS5_6ELb0ES3_mNS7_12zip_iteratorINS8_INS7_6detail15normal_iteratorINS7_10device_ptrItEEEESJ_S9_S9_S9_S9_S9_S9_S9_S9_EEEEPSB_SM_NS0_5tupleIJNSE_INS8_ISJ_NS7_16discard_iteratorINS7_11use_defaultEEES9_S9_S9_S9_S9_S9_S9_S9_EEEESB_EEENSN_IJSM_SM_EEESB_PlJNSF_9not_fun_tINSF_14equal_to_valueISA_EEEEEEE10hipError_tPvRmT3_T4_T5_T6_T7_T9_mT8_P12ihipStream_tbDpT10_ENKUlT_T0_E_clISt17integral_constantIbLb0EES1I_IbLb1EEEEDaS1E_S1F_EUlS1E_E_NS1_11comp_targetILNS1_3genE10ELNS1_11target_archE1200ELNS1_3gpuE4ELNS1_3repE0EEENS1_30default_config_static_selectorELNS0_4arch9wavefront6targetE0EEEvT1_.num_named_barrier, 0
	.set _ZN7rocprim17ROCPRIM_400000_NS6detail17trampoline_kernelINS0_14default_configENS1_25partition_config_selectorILNS1_17partition_subalgoE6EN6thrust23THRUST_200600_302600_NS5tupleIttNS7_9null_typeES9_S9_S9_S9_S9_S9_S9_EENS0_10empty_typeEbEEZZNS1_14partition_implILS5_6ELb0ES3_mNS7_12zip_iteratorINS8_INS7_6detail15normal_iteratorINS7_10device_ptrItEEEESJ_S9_S9_S9_S9_S9_S9_S9_S9_EEEEPSB_SM_NS0_5tupleIJNSE_INS8_ISJ_NS7_16discard_iteratorINS7_11use_defaultEEES9_S9_S9_S9_S9_S9_S9_S9_EEEESB_EEENSN_IJSM_SM_EEESB_PlJNSF_9not_fun_tINSF_14equal_to_valueISA_EEEEEEE10hipError_tPvRmT3_T4_T5_T6_T7_T9_mT8_P12ihipStream_tbDpT10_ENKUlT_T0_E_clISt17integral_constantIbLb0EES1I_IbLb1EEEEDaS1E_S1F_EUlS1E_E_NS1_11comp_targetILNS1_3genE10ELNS1_11target_archE1200ELNS1_3gpuE4ELNS1_3repE0EEENS1_30default_config_static_selectorELNS0_4arch9wavefront6targetE0EEEvT1_.private_seg_size, 0
	.set _ZN7rocprim17ROCPRIM_400000_NS6detail17trampoline_kernelINS0_14default_configENS1_25partition_config_selectorILNS1_17partition_subalgoE6EN6thrust23THRUST_200600_302600_NS5tupleIttNS7_9null_typeES9_S9_S9_S9_S9_S9_S9_EENS0_10empty_typeEbEEZZNS1_14partition_implILS5_6ELb0ES3_mNS7_12zip_iteratorINS8_INS7_6detail15normal_iteratorINS7_10device_ptrItEEEESJ_S9_S9_S9_S9_S9_S9_S9_S9_EEEEPSB_SM_NS0_5tupleIJNSE_INS8_ISJ_NS7_16discard_iteratorINS7_11use_defaultEEES9_S9_S9_S9_S9_S9_S9_S9_EEEESB_EEENSN_IJSM_SM_EEESB_PlJNSF_9not_fun_tINSF_14equal_to_valueISA_EEEEEEE10hipError_tPvRmT3_T4_T5_T6_T7_T9_mT8_P12ihipStream_tbDpT10_ENKUlT_T0_E_clISt17integral_constantIbLb0EES1I_IbLb1EEEEDaS1E_S1F_EUlS1E_E_NS1_11comp_targetILNS1_3genE10ELNS1_11target_archE1200ELNS1_3gpuE4ELNS1_3repE0EEENS1_30default_config_static_selectorELNS0_4arch9wavefront6targetE0EEEvT1_.uses_vcc, 1
	.set _ZN7rocprim17ROCPRIM_400000_NS6detail17trampoline_kernelINS0_14default_configENS1_25partition_config_selectorILNS1_17partition_subalgoE6EN6thrust23THRUST_200600_302600_NS5tupleIttNS7_9null_typeES9_S9_S9_S9_S9_S9_S9_EENS0_10empty_typeEbEEZZNS1_14partition_implILS5_6ELb0ES3_mNS7_12zip_iteratorINS8_INS7_6detail15normal_iteratorINS7_10device_ptrItEEEESJ_S9_S9_S9_S9_S9_S9_S9_S9_EEEEPSB_SM_NS0_5tupleIJNSE_INS8_ISJ_NS7_16discard_iteratorINS7_11use_defaultEEES9_S9_S9_S9_S9_S9_S9_S9_EEEESB_EEENSN_IJSM_SM_EEESB_PlJNSF_9not_fun_tINSF_14equal_to_valueISA_EEEEEEE10hipError_tPvRmT3_T4_T5_T6_T7_T9_mT8_P12ihipStream_tbDpT10_ENKUlT_T0_E_clISt17integral_constantIbLb0EES1I_IbLb1EEEEDaS1E_S1F_EUlS1E_E_NS1_11comp_targetILNS1_3genE10ELNS1_11target_archE1200ELNS1_3gpuE4ELNS1_3repE0EEENS1_30default_config_static_selectorELNS0_4arch9wavefront6targetE0EEEvT1_.uses_flat_scratch, 0
	.set _ZN7rocprim17ROCPRIM_400000_NS6detail17trampoline_kernelINS0_14default_configENS1_25partition_config_selectorILNS1_17partition_subalgoE6EN6thrust23THRUST_200600_302600_NS5tupleIttNS7_9null_typeES9_S9_S9_S9_S9_S9_S9_EENS0_10empty_typeEbEEZZNS1_14partition_implILS5_6ELb0ES3_mNS7_12zip_iteratorINS8_INS7_6detail15normal_iteratorINS7_10device_ptrItEEEESJ_S9_S9_S9_S9_S9_S9_S9_S9_EEEEPSB_SM_NS0_5tupleIJNSE_INS8_ISJ_NS7_16discard_iteratorINS7_11use_defaultEEES9_S9_S9_S9_S9_S9_S9_S9_EEEESB_EEENSN_IJSM_SM_EEESB_PlJNSF_9not_fun_tINSF_14equal_to_valueISA_EEEEEEE10hipError_tPvRmT3_T4_T5_T6_T7_T9_mT8_P12ihipStream_tbDpT10_ENKUlT_T0_E_clISt17integral_constantIbLb0EES1I_IbLb1EEEEDaS1E_S1F_EUlS1E_E_NS1_11comp_targetILNS1_3genE10ELNS1_11target_archE1200ELNS1_3gpuE4ELNS1_3repE0EEENS1_30default_config_static_selectorELNS0_4arch9wavefront6targetE0EEEvT1_.has_dyn_sized_stack, 0
	.set _ZN7rocprim17ROCPRIM_400000_NS6detail17trampoline_kernelINS0_14default_configENS1_25partition_config_selectorILNS1_17partition_subalgoE6EN6thrust23THRUST_200600_302600_NS5tupleIttNS7_9null_typeES9_S9_S9_S9_S9_S9_S9_EENS0_10empty_typeEbEEZZNS1_14partition_implILS5_6ELb0ES3_mNS7_12zip_iteratorINS8_INS7_6detail15normal_iteratorINS7_10device_ptrItEEEESJ_S9_S9_S9_S9_S9_S9_S9_S9_EEEEPSB_SM_NS0_5tupleIJNSE_INS8_ISJ_NS7_16discard_iteratorINS7_11use_defaultEEES9_S9_S9_S9_S9_S9_S9_S9_EEEESB_EEENSN_IJSM_SM_EEESB_PlJNSF_9not_fun_tINSF_14equal_to_valueISA_EEEEEEE10hipError_tPvRmT3_T4_T5_T6_T7_T9_mT8_P12ihipStream_tbDpT10_ENKUlT_T0_E_clISt17integral_constantIbLb0EES1I_IbLb1EEEEDaS1E_S1F_EUlS1E_E_NS1_11comp_targetILNS1_3genE10ELNS1_11target_archE1200ELNS1_3gpuE4ELNS1_3repE0EEENS1_30default_config_static_selectorELNS0_4arch9wavefront6targetE0EEEvT1_.has_recursion, 0
	.set _ZN7rocprim17ROCPRIM_400000_NS6detail17trampoline_kernelINS0_14default_configENS1_25partition_config_selectorILNS1_17partition_subalgoE6EN6thrust23THRUST_200600_302600_NS5tupleIttNS7_9null_typeES9_S9_S9_S9_S9_S9_S9_EENS0_10empty_typeEbEEZZNS1_14partition_implILS5_6ELb0ES3_mNS7_12zip_iteratorINS8_INS7_6detail15normal_iteratorINS7_10device_ptrItEEEESJ_S9_S9_S9_S9_S9_S9_S9_S9_EEEEPSB_SM_NS0_5tupleIJNSE_INS8_ISJ_NS7_16discard_iteratorINS7_11use_defaultEEES9_S9_S9_S9_S9_S9_S9_S9_EEEESB_EEENSN_IJSM_SM_EEESB_PlJNSF_9not_fun_tINSF_14equal_to_valueISA_EEEEEEE10hipError_tPvRmT3_T4_T5_T6_T7_T9_mT8_P12ihipStream_tbDpT10_ENKUlT_T0_E_clISt17integral_constantIbLb0EES1I_IbLb1EEEEDaS1E_S1F_EUlS1E_E_NS1_11comp_targetILNS1_3genE10ELNS1_11target_archE1200ELNS1_3gpuE4ELNS1_3repE0EEENS1_30default_config_static_selectorELNS0_4arch9wavefront6targetE0EEEvT1_.has_indirect_call, 0
	.section	.AMDGPU.csdata,"",@progbits
; Kernel info:
; codeLenInByte = 7948
; TotalNumSgprs: 28
; NumVgprs: 51
; ScratchSize: 0
; MemoryBound: 0
; FloatMode: 240
; IeeeMode: 1
; LDSByteSize: 10768 bytes/workgroup (compile time only)
; SGPRBlocks: 0
; VGPRBlocks: 6
; NumSGPRsForWavesPerEU: 28
; NumVGPRsForWavesPerEU: 51
; Occupancy: 15
; WaveLimiterHint : 1
; COMPUTE_PGM_RSRC2:SCRATCH_EN: 0
; COMPUTE_PGM_RSRC2:USER_SGPR: 2
; COMPUTE_PGM_RSRC2:TRAP_HANDLER: 0
; COMPUTE_PGM_RSRC2:TGID_X_EN: 1
; COMPUTE_PGM_RSRC2:TGID_Y_EN: 0
; COMPUTE_PGM_RSRC2:TGID_Z_EN: 0
; COMPUTE_PGM_RSRC2:TIDIG_COMP_CNT: 0
	.section	.text._ZN7rocprim17ROCPRIM_400000_NS6detail17trampoline_kernelINS0_14default_configENS1_25partition_config_selectorILNS1_17partition_subalgoE6EN6thrust23THRUST_200600_302600_NS5tupleIttNS7_9null_typeES9_S9_S9_S9_S9_S9_S9_EENS0_10empty_typeEbEEZZNS1_14partition_implILS5_6ELb0ES3_mNS7_12zip_iteratorINS8_INS7_6detail15normal_iteratorINS7_10device_ptrItEEEESJ_S9_S9_S9_S9_S9_S9_S9_S9_EEEEPSB_SM_NS0_5tupleIJNSE_INS8_ISJ_NS7_16discard_iteratorINS7_11use_defaultEEES9_S9_S9_S9_S9_S9_S9_S9_EEEESB_EEENSN_IJSM_SM_EEESB_PlJNSF_9not_fun_tINSF_14equal_to_valueISA_EEEEEEE10hipError_tPvRmT3_T4_T5_T6_T7_T9_mT8_P12ihipStream_tbDpT10_ENKUlT_T0_E_clISt17integral_constantIbLb0EES1I_IbLb1EEEEDaS1E_S1F_EUlS1E_E_NS1_11comp_targetILNS1_3genE9ELNS1_11target_archE1100ELNS1_3gpuE3ELNS1_3repE0EEENS1_30default_config_static_selectorELNS0_4arch9wavefront6targetE0EEEvT1_,"axG",@progbits,_ZN7rocprim17ROCPRIM_400000_NS6detail17trampoline_kernelINS0_14default_configENS1_25partition_config_selectorILNS1_17partition_subalgoE6EN6thrust23THRUST_200600_302600_NS5tupleIttNS7_9null_typeES9_S9_S9_S9_S9_S9_S9_EENS0_10empty_typeEbEEZZNS1_14partition_implILS5_6ELb0ES3_mNS7_12zip_iteratorINS8_INS7_6detail15normal_iteratorINS7_10device_ptrItEEEESJ_S9_S9_S9_S9_S9_S9_S9_S9_EEEEPSB_SM_NS0_5tupleIJNSE_INS8_ISJ_NS7_16discard_iteratorINS7_11use_defaultEEES9_S9_S9_S9_S9_S9_S9_S9_EEEESB_EEENSN_IJSM_SM_EEESB_PlJNSF_9not_fun_tINSF_14equal_to_valueISA_EEEEEEE10hipError_tPvRmT3_T4_T5_T6_T7_T9_mT8_P12ihipStream_tbDpT10_ENKUlT_T0_E_clISt17integral_constantIbLb0EES1I_IbLb1EEEEDaS1E_S1F_EUlS1E_E_NS1_11comp_targetILNS1_3genE9ELNS1_11target_archE1100ELNS1_3gpuE3ELNS1_3repE0EEENS1_30default_config_static_selectorELNS0_4arch9wavefront6targetE0EEEvT1_,comdat
	.protected	_ZN7rocprim17ROCPRIM_400000_NS6detail17trampoline_kernelINS0_14default_configENS1_25partition_config_selectorILNS1_17partition_subalgoE6EN6thrust23THRUST_200600_302600_NS5tupleIttNS7_9null_typeES9_S9_S9_S9_S9_S9_S9_EENS0_10empty_typeEbEEZZNS1_14partition_implILS5_6ELb0ES3_mNS7_12zip_iteratorINS8_INS7_6detail15normal_iteratorINS7_10device_ptrItEEEESJ_S9_S9_S9_S9_S9_S9_S9_S9_EEEEPSB_SM_NS0_5tupleIJNSE_INS8_ISJ_NS7_16discard_iteratorINS7_11use_defaultEEES9_S9_S9_S9_S9_S9_S9_S9_EEEESB_EEENSN_IJSM_SM_EEESB_PlJNSF_9not_fun_tINSF_14equal_to_valueISA_EEEEEEE10hipError_tPvRmT3_T4_T5_T6_T7_T9_mT8_P12ihipStream_tbDpT10_ENKUlT_T0_E_clISt17integral_constantIbLb0EES1I_IbLb1EEEEDaS1E_S1F_EUlS1E_E_NS1_11comp_targetILNS1_3genE9ELNS1_11target_archE1100ELNS1_3gpuE3ELNS1_3repE0EEENS1_30default_config_static_selectorELNS0_4arch9wavefront6targetE0EEEvT1_ ; -- Begin function _ZN7rocprim17ROCPRIM_400000_NS6detail17trampoline_kernelINS0_14default_configENS1_25partition_config_selectorILNS1_17partition_subalgoE6EN6thrust23THRUST_200600_302600_NS5tupleIttNS7_9null_typeES9_S9_S9_S9_S9_S9_S9_EENS0_10empty_typeEbEEZZNS1_14partition_implILS5_6ELb0ES3_mNS7_12zip_iteratorINS8_INS7_6detail15normal_iteratorINS7_10device_ptrItEEEESJ_S9_S9_S9_S9_S9_S9_S9_S9_EEEEPSB_SM_NS0_5tupleIJNSE_INS8_ISJ_NS7_16discard_iteratorINS7_11use_defaultEEES9_S9_S9_S9_S9_S9_S9_S9_EEEESB_EEENSN_IJSM_SM_EEESB_PlJNSF_9not_fun_tINSF_14equal_to_valueISA_EEEEEEE10hipError_tPvRmT3_T4_T5_T6_T7_T9_mT8_P12ihipStream_tbDpT10_ENKUlT_T0_E_clISt17integral_constantIbLb0EES1I_IbLb1EEEEDaS1E_S1F_EUlS1E_E_NS1_11comp_targetILNS1_3genE9ELNS1_11target_archE1100ELNS1_3gpuE3ELNS1_3repE0EEENS1_30default_config_static_selectorELNS0_4arch9wavefront6targetE0EEEvT1_
	.globl	_ZN7rocprim17ROCPRIM_400000_NS6detail17trampoline_kernelINS0_14default_configENS1_25partition_config_selectorILNS1_17partition_subalgoE6EN6thrust23THRUST_200600_302600_NS5tupleIttNS7_9null_typeES9_S9_S9_S9_S9_S9_S9_EENS0_10empty_typeEbEEZZNS1_14partition_implILS5_6ELb0ES3_mNS7_12zip_iteratorINS8_INS7_6detail15normal_iteratorINS7_10device_ptrItEEEESJ_S9_S9_S9_S9_S9_S9_S9_S9_EEEEPSB_SM_NS0_5tupleIJNSE_INS8_ISJ_NS7_16discard_iteratorINS7_11use_defaultEEES9_S9_S9_S9_S9_S9_S9_S9_EEEESB_EEENSN_IJSM_SM_EEESB_PlJNSF_9not_fun_tINSF_14equal_to_valueISA_EEEEEEE10hipError_tPvRmT3_T4_T5_T6_T7_T9_mT8_P12ihipStream_tbDpT10_ENKUlT_T0_E_clISt17integral_constantIbLb0EES1I_IbLb1EEEEDaS1E_S1F_EUlS1E_E_NS1_11comp_targetILNS1_3genE9ELNS1_11target_archE1100ELNS1_3gpuE3ELNS1_3repE0EEENS1_30default_config_static_selectorELNS0_4arch9wavefront6targetE0EEEvT1_
	.p2align	8
	.type	_ZN7rocprim17ROCPRIM_400000_NS6detail17trampoline_kernelINS0_14default_configENS1_25partition_config_selectorILNS1_17partition_subalgoE6EN6thrust23THRUST_200600_302600_NS5tupleIttNS7_9null_typeES9_S9_S9_S9_S9_S9_S9_EENS0_10empty_typeEbEEZZNS1_14partition_implILS5_6ELb0ES3_mNS7_12zip_iteratorINS8_INS7_6detail15normal_iteratorINS7_10device_ptrItEEEESJ_S9_S9_S9_S9_S9_S9_S9_S9_EEEEPSB_SM_NS0_5tupleIJNSE_INS8_ISJ_NS7_16discard_iteratorINS7_11use_defaultEEES9_S9_S9_S9_S9_S9_S9_S9_EEEESB_EEENSN_IJSM_SM_EEESB_PlJNSF_9not_fun_tINSF_14equal_to_valueISA_EEEEEEE10hipError_tPvRmT3_T4_T5_T6_T7_T9_mT8_P12ihipStream_tbDpT10_ENKUlT_T0_E_clISt17integral_constantIbLb0EES1I_IbLb1EEEEDaS1E_S1F_EUlS1E_E_NS1_11comp_targetILNS1_3genE9ELNS1_11target_archE1100ELNS1_3gpuE3ELNS1_3repE0EEENS1_30default_config_static_selectorELNS0_4arch9wavefront6targetE0EEEvT1_,@function
_ZN7rocprim17ROCPRIM_400000_NS6detail17trampoline_kernelINS0_14default_configENS1_25partition_config_selectorILNS1_17partition_subalgoE6EN6thrust23THRUST_200600_302600_NS5tupleIttNS7_9null_typeES9_S9_S9_S9_S9_S9_S9_EENS0_10empty_typeEbEEZZNS1_14partition_implILS5_6ELb0ES3_mNS7_12zip_iteratorINS8_INS7_6detail15normal_iteratorINS7_10device_ptrItEEEESJ_S9_S9_S9_S9_S9_S9_S9_S9_EEEEPSB_SM_NS0_5tupleIJNSE_INS8_ISJ_NS7_16discard_iteratorINS7_11use_defaultEEES9_S9_S9_S9_S9_S9_S9_S9_EEEESB_EEENSN_IJSM_SM_EEESB_PlJNSF_9not_fun_tINSF_14equal_to_valueISA_EEEEEEE10hipError_tPvRmT3_T4_T5_T6_T7_T9_mT8_P12ihipStream_tbDpT10_ENKUlT_T0_E_clISt17integral_constantIbLb0EES1I_IbLb1EEEEDaS1E_S1F_EUlS1E_E_NS1_11comp_targetILNS1_3genE9ELNS1_11target_archE1100ELNS1_3gpuE3ELNS1_3repE0EEENS1_30default_config_static_selectorELNS0_4arch9wavefront6targetE0EEEvT1_: ; @_ZN7rocprim17ROCPRIM_400000_NS6detail17trampoline_kernelINS0_14default_configENS1_25partition_config_selectorILNS1_17partition_subalgoE6EN6thrust23THRUST_200600_302600_NS5tupleIttNS7_9null_typeES9_S9_S9_S9_S9_S9_S9_EENS0_10empty_typeEbEEZZNS1_14partition_implILS5_6ELb0ES3_mNS7_12zip_iteratorINS8_INS7_6detail15normal_iteratorINS7_10device_ptrItEEEESJ_S9_S9_S9_S9_S9_S9_S9_S9_EEEEPSB_SM_NS0_5tupleIJNSE_INS8_ISJ_NS7_16discard_iteratorINS7_11use_defaultEEES9_S9_S9_S9_S9_S9_S9_S9_EEEESB_EEENSN_IJSM_SM_EEESB_PlJNSF_9not_fun_tINSF_14equal_to_valueISA_EEEEEEE10hipError_tPvRmT3_T4_T5_T6_T7_T9_mT8_P12ihipStream_tbDpT10_ENKUlT_T0_E_clISt17integral_constantIbLb0EES1I_IbLb1EEEEDaS1E_S1F_EUlS1E_E_NS1_11comp_targetILNS1_3genE9ELNS1_11target_archE1100ELNS1_3gpuE3ELNS1_3repE0EEENS1_30default_config_static_selectorELNS0_4arch9wavefront6targetE0EEEvT1_
; %bb.0:
	.section	.rodata,"a",@progbits
	.p2align	6, 0x0
	.amdhsa_kernel _ZN7rocprim17ROCPRIM_400000_NS6detail17trampoline_kernelINS0_14default_configENS1_25partition_config_selectorILNS1_17partition_subalgoE6EN6thrust23THRUST_200600_302600_NS5tupleIttNS7_9null_typeES9_S9_S9_S9_S9_S9_S9_EENS0_10empty_typeEbEEZZNS1_14partition_implILS5_6ELb0ES3_mNS7_12zip_iteratorINS8_INS7_6detail15normal_iteratorINS7_10device_ptrItEEEESJ_S9_S9_S9_S9_S9_S9_S9_S9_EEEEPSB_SM_NS0_5tupleIJNSE_INS8_ISJ_NS7_16discard_iteratorINS7_11use_defaultEEES9_S9_S9_S9_S9_S9_S9_S9_EEEESB_EEENSN_IJSM_SM_EEESB_PlJNSF_9not_fun_tINSF_14equal_to_valueISA_EEEEEEE10hipError_tPvRmT3_T4_T5_T6_T7_T9_mT8_P12ihipStream_tbDpT10_ENKUlT_T0_E_clISt17integral_constantIbLb0EES1I_IbLb1EEEEDaS1E_S1F_EUlS1E_E_NS1_11comp_targetILNS1_3genE9ELNS1_11target_archE1100ELNS1_3gpuE3ELNS1_3repE0EEENS1_30default_config_static_selectorELNS0_4arch9wavefront6targetE0EEEvT1_
		.amdhsa_group_segment_fixed_size 0
		.amdhsa_private_segment_fixed_size 0
		.amdhsa_kernarg_size 152
		.amdhsa_user_sgpr_count 2
		.amdhsa_user_sgpr_dispatch_ptr 0
		.amdhsa_user_sgpr_queue_ptr 0
		.amdhsa_user_sgpr_kernarg_segment_ptr 1
		.amdhsa_user_sgpr_dispatch_id 0
		.amdhsa_user_sgpr_private_segment_size 0
		.amdhsa_wavefront_size32 1
		.amdhsa_uses_dynamic_stack 0
		.amdhsa_enable_private_segment 0
		.amdhsa_system_sgpr_workgroup_id_x 1
		.amdhsa_system_sgpr_workgroup_id_y 0
		.amdhsa_system_sgpr_workgroup_id_z 0
		.amdhsa_system_sgpr_workgroup_info 0
		.amdhsa_system_vgpr_workitem_id 0
		.amdhsa_next_free_vgpr 1
		.amdhsa_next_free_sgpr 1
		.amdhsa_reserve_vcc 0
		.amdhsa_float_round_mode_32 0
		.amdhsa_float_round_mode_16_64 0
		.amdhsa_float_denorm_mode_32 3
		.amdhsa_float_denorm_mode_16_64 3
		.amdhsa_fp16_overflow 0
		.amdhsa_workgroup_processor_mode 1
		.amdhsa_memory_ordered 1
		.amdhsa_forward_progress 1
		.amdhsa_inst_pref_size 0
		.amdhsa_round_robin_scheduling 0
		.amdhsa_exception_fp_ieee_invalid_op 0
		.amdhsa_exception_fp_denorm_src 0
		.amdhsa_exception_fp_ieee_div_zero 0
		.amdhsa_exception_fp_ieee_overflow 0
		.amdhsa_exception_fp_ieee_underflow 0
		.amdhsa_exception_fp_ieee_inexact 0
		.amdhsa_exception_int_div_zero 0
	.end_amdhsa_kernel
	.section	.text._ZN7rocprim17ROCPRIM_400000_NS6detail17trampoline_kernelINS0_14default_configENS1_25partition_config_selectorILNS1_17partition_subalgoE6EN6thrust23THRUST_200600_302600_NS5tupleIttNS7_9null_typeES9_S9_S9_S9_S9_S9_S9_EENS0_10empty_typeEbEEZZNS1_14partition_implILS5_6ELb0ES3_mNS7_12zip_iteratorINS8_INS7_6detail15normal_iteratorINS7_10device_ptrItEEEESJ_S9_S9_S9_S9_S9_S9_S9_S9_EEEEPSB_SM_NS0_5tupleIJNSE_INS8_ISJ_NS7_16discard_iteratorINS7_11use_defaultEEES9_S9_S9_S9_S9_S9_S9_S9_EEEESB_EEENSN_IJSM_SM_EEESB_PlJNSF_9not_fun_tINSF_14equal_to_valueISA_EEEEEEE10hipError_tPvRmT3_T4_T5_T6_T7_T9_mT8_P12ihipStream_tbDpT10_ENKUlT_T0_E_clISt17integral_constantIbLb0EES1I_IbLb1EEEEDaS1E_S1F_EUlS1E_E_NS1_11comp_targetILNS1_3genE9ELNS1_11target_archE1100ELNS1_3gpuE3ELNS1_3repE0EEENS1_30default_config_static_selectorELNS0_4arch9wavefront6targetE0EEEvT1_,"axG",@progbits,_ZN7rocprim17ROCPRIM_400000_NS6detail17trampoline_kernelINS0_14default_configENS1_25partition_config_selectorILNS1_17partition_subalgoE6EN6thrust23THRUST_200600_302600_NS5tupleIttNS7_9null_typeES9_S9_S9_S9_S9_S9_S9_EENS0_10empty_typeEbEEZZNS1_14partition_implILS5_6ELb0ES3_mNS7_12zip_iteratorINS8_INS7_6detail15normal_iteratorINS7_10device_ptrItEEEESJ_S9_S9_S9_S9_S9_S9_S9_S9_EEEEPSB_SM_NS0_5tupleIJNSE_INS8_ISJ_NS7_16discard_iteratorINS7_11use_defaultEEES9_S9_S9_S9_S9_S9_S9_S9_EEEESB_EEENSN_IJSM_SM_EEESB_PlJNSF_9not_fun_tINSF_14equal_to_valueISA_EEEEEEE10hipError_tPvRmT3_T4_T5_T6_T7_T9_mT8_P12ihipStream_tbDpT10_ENKUlT_T0_E_clISt17integral_constantIbLb0EES1I_IbLb1EEEEDaS1E_S1F_EUlS1E_E_NS1_11comp_targetILNS1_3genE9ELNS1_11target_archE1100ELNS1_3gpuE3ELNS1_3repE0EEENS1_30default_config_static_selectorELNS0_4arch9wavefront6targetE0EEEvT1_,comdat
.Lfunc_end1979:
	.size	_ZN7rocprim17ROCPRIM_400000_NS6detail17trampoline_kernelINS0_14default_configENS1_25partition_config_selectorILNS1_17partition_subalgoE6EN6thrust23THRUST_200600_302600_NS5tupleIttNS7_9null_typeES9_S9_S9_S9_S9_S9_S9_EENS0_10empty_typeEbEEZZNS1_14partition_implILS5_6ELb0ES3_mNS7_12zip_iteratorINS8_INS7_6detail15normal_iteratorINS7_10device_ptrItEEEESJ_S9_S9_S9_S9_S9_S9_S9_S9_EEEEPSB_SM_NS0_5tupleIJNSE_INS8_ISJ_NS7_16discard_iteratorINS7_11use_defaultEEES9_S9_S9_S9_S9_S9_S9_S9_EEEESB_EEENSN_IJSM_SM_EEESB_PlJNSF_9not_fun_tINSF_14equal_to_valueISA_EEEEEEE10hipError_tPvRmT3_T4_T5_T6_T7_T9_mT8_P12ihipStream_tbDpT10_ENKUlT_T0_E_clISt17integral_constantIbLb0EES1I_IbLb1EEEEDaS1E_S1F_EUlS1E_E_NS1_11comp_targetILNS1_3genE9ELNS1_11target_archE1100ELNS1_3gpuE3ELNS1_3repE0EEENS1_30default_config_static_selectorELNS0_4arch9wavefront6targetE0EEEvT1_, .Lfunc_end1979-_ZN7rocprim17ROCPRIM_400000_NS6detail17trampoline_kernelINS0_14default_configENS1_25partition_config_selectorILNS1_17partition_subalgoE6EN6thrust23THRUST_200600_302600_NS5tupleIttNS7_9null_typeES9_S9_S9_S9_S9_S9_S9_EENS0_10empty_typeEbEEZZNS1_14partition_implILS5_6ELb0ES3_mNS7_12zip_iteratorINS8_INS7_6detail15normal_iteratorINS7_10device_ptrItEEEESJ_S9_S9_S9_S9_S9_S9_S9_S9_EEEEPSB_SM_NS0_5tupleIJNSE_INS8_ISJ_NS7_16discard_iteratorINS7_11use_defaultEEES9_S9_S9_S9_S9_S9_S9_S9_EEEESB_EEENSN_IJSM_SM_EEESB_PlJNSF_9not_fun_tINSF_14equal_to_valueISA_EEEEEEE10hipError_tPvRmT3_T4_T5_T6_T7_T9_mT8_P12ihipStream_tbDpT10_ENKUlT_T0_E_clISt17integral_constantIbLb0EES1I_IbLb1EEEEDaS1E_S1F_EUlS1E_E_NS1_11comp_targetILNS1_3genE9ELNS1_11target_archE1100ELNS1_3gpuE3ELNS1_3repE0EEENS1_30default_config_static_selectorELNS0_4arch9wavefront6targetE0EEEvT1_
                                        ; -- End function
	.set _ZN7rocprim17ROCPRIM_400000_NS6detail17trampoline_kernelINS0_14default_configENS1_25partition_config_selectorILNS1_17partition_subalgoE6EN6thrust23THRUST_200600_302600_NS5tupleIttNS7_9null_typeES9_S9_S9_S9_S9_S9_S9_EENS0_10empty_typeEbEEZZNS1_14partition_implILS5_6ELb0ES3_mNS7_12zip_iteratorINS8_INS7_6detail15normal_iteratorINS7_10device_ptrItEEEESJ_S9_S9_S9_S9_S9_S9_S9_S9_EEEEPSB_SM_NS0_5tupleIJNSE_INS8_ISJ_NS7_16discard_iteratorINS7_11use_defaultEEES9_S9_S9_S9_S9_S9_S9_S9_EEEESB_EEENSN_IJSM_SM_EEESB_PlJNSF_9not_fun_tINSF_14equal_to_valueISA_EEEEEEE10hipError_tPvRmT3_T4_T5_T6_T7_T9_mT8_P12ihipStream_tbDpT10_ENKUlT_T0_E_clISt17integral_constantIbLb0EES1I_IbLb1EEEEDaS1E_S1F_EUlS1E_E_NS1_11comp_targetILNS1_3genE9ELNS1_11target_archE1100ELNS1_3gpuE3ELNS1_3repE0EEENS1_30default_config_static_selectorELNS0_4arch9wavefront6targetE0EEEvT1_.num_vgpr, 0
	.set _ZN7rocprim17ROCPRIM_400000_NS6detail17trampoline_kernelINS0_14default_configENS1_25partition_config_selectorILNS1_17partition_subalgoE6EN6thrust23THRUST_200600_302600_NS5tupleIttNS7_9null_typeES9_S9_S9_S9_S9_S9_S9_EENS0_10empty_typeEbEEZZNS1_14partition_implILS5_6ELb0ES3_mNS7_12zip_iteratorINS8_INS7_6detail15normal_iteratorINS7_10device_ptrItEEEESJ_S9_S9_S9_S9_S9_S9_S9_S9_EEEEPSB_SM_NS0_5tupleIJNSE_INS8_ISJ_NS7_16discard_iteratorINS7_11use_defaultEEES9_S9_S9_S9_S9_S9_S9_S9_EEEESB_EEENSN_IJSM_SM_EEESB_PlJNSF_9not_fun_tINSF_14equal_to_valueISA_EEEEEEE10hipError_tPvRmT3_T4_T5_T6_T7_T9_mT8_P12ihipStream_tbDpT10_ENKUlT_T0_E_clISt17integral_constantIbLb0EES1I_IbLb1EEEEDaS1E_S1F_EUlS1E_E_NS1_11comp_targetILNS1_3genE9ELNS1_11target_archE1100ELNS1_3gpuE3ELNS1_3repE0EEENS1_30default_config_static_selectorELNS0_4arch9wavefront6targetE0EEEvT1_.num_agpr, 0
	.set _ZN7rocprim17ROCPRIM_400000_NS6detail17trampoline_kernelINS0_14default_configENS1_25partition_config_selectorILNS1_17partition_subalgoE6EN6thrust23THRUST_200600_302600_NS5tupleIttNS7_9null_typeES9_S9_S9_S9_S9_S9_S9_EENS0_10empty_typeEbEEZZNS1_14partition_implILS5_6ELb0ES3_mNS7_12zip_iteratorINS8_INS7_6detail15normal_iteratorINS7_10device_ptrItEEEESJ_S9_S9_S9_S9_S9_S9_S9_S9_EEEEPSB_SM_NS0_5tupleIJNSE_INS8_ISJ_NS7_16discard_iteratorINS7_11use_defaultEEES9_S9_S9_S9_S9_S9_S9_S9_EEEESB_EEENSN_IJSM_SM_EEESB_PlJNSF_9not_fun_tINSF_14equal_to_valueISA_EEEEEEE10hipError_tPvRmT3_T4_T5_T6_T7_T9_mT8_P12ihipStream_tbDpT10_ENKUlT_T0_E_clISt17integral_constantIbLb0EES1I_IbLb1EEEEDaS1E_S1F_EUlS1E_E_NS1_11comp_targetILNS1_3genE9ELNS1_11target_archE1100ELNS1_3gpuE3ELNS1_3repE0EEENS1_30default_config_static_selectorELNS0_4arch9wavefront6targetE0EEEvT1_.numbered_sgpr, 0
	.set _ZN7rocprim17ROCPRIM_400000_NS6detail17trampoline_kernelINS0_14default_configENS1_25partition_config_selectorILNS1_17partition_subalgoE6EN6thrust23THRUST_200600_302600_NS5tupleIttNS7_9null_typeES9_S9_S9_S9_S9_S9_S9_EENS0_10empty_typeEbEEZZNS1_14partition_implILS5_6ELb0ES3_mNS7_12zip_iteratorINS8_INS7_6detail15normal_iteratorINS7_10device_ptrItEEEESJ_S9_S9_S9_S9_S9_S9_S9_S9_EEEEPSB_SM_NS0_5tupleIJNSE_INS8_ISJ_NS7_16discard_iteratorINS7_11use_defaultEEES9_S9_S9_S9_S9_S9_S9_S9_EEEESB_EEENSN_IJSM_SM_EEESB_PlJNSF_9not_fun_tINSF_14equal_to_valueISA_EEEEEEE10hipError_tPvRmT3_T4_T5_T6_T7_T9_mT8_P12ihipStream_tbDpT10_ENKUlT_T0_E_clISt17integral_constantIbLb0EES1I_IbLb1EEEEDaS1E_S1F_EUlS1E_E_NS1_11comp_targetILNS1_3genE9ELNS1_11target_archE1100ELNS1_3gpuE3ELNS1_3repE0EEENS1_30default_config_static_selectorELNS0_4arch9wavefront6targetE0EEEvT1_.num_named_barrier, 0
	.set _ZN7rocprim17ROCPRIM_400000_NS6detail17trampoline_kernelINS0_14default_configENS1_25partition_config_selectorILNS1_17partition_subalgoE6EN6thrust23THRUST_200600_302600_NS5tupleIttNS7_9null_typeES9_S9_S9_S9_S9_S9_S9_EENS0_10empty_typeEbEEZZNS1_14partition_implILS5_6ELb0ES3_mNS7_12zip_iteratorINS8_INS7_6detail15normal_iteratorINS7_10device_ptrItEEEESJ_S9_S9_S9_S9_S9_S9_S9_S9_EEEEPSB_SM_NS0_5tupleIJNSE_INS8_ISJ_NS7_16discard_iteratorINS7_11use_defaultEEES9_S9_S9_S9_S9_S9_S9_S9_EEEESB_EEENSN_IJSM_SM_EEESB_PlJNSF_9not_fun_tINSF_14equal_to_valueISA_EEEEEEE10hipError_tPvRmT3_T4_T5_T6_T7_T9_mT8_P12ihipStream_tbDpT10_ENKUlT_T0_E_clISt17integral_constantIbLb0EES1I_IbLb1EEEEDaS1E_S1F_EUlS1E_E_NS1_11comp_targetILNS1_3genE9ELNS1_11target_archE1100ELNS1_3gpuE3ELNS1_3repE0EEENS1_30default_config_static_selectorELNS0_4arch9wavefront6targetE0EEEvT1_.private_seg_size, 0
	.set _ZN7rocprim17ROCPRIM_400000_NS6detail17trampoline_kernelINS0_14default_configENS1_25partition_config_selectorILNS1_17partition_subalgoE6EN6thrust23THRUST_200600_302600_NS5tupleIttNS7_9null_typeES9_S9_S9_S9_S9_S9_S9_EENS0_10empty_typeEbEEZZNS1_14partition_implILS5_6ELb0ES3_mNS7_12zip_iteratorINS8_INS7_6detail15normal_iteratorINS7_10device_ptrItEEEESJ_S9_S9_S9_S9_S9_S9_S9_S9_EEEEPSB_SM_NS0_5tupleIJNSE_INS8_ISJ_NS7_16discard_iteratorINS7_11use_defaultEEES9_S9_S9_S9_S9_S9_S9_S9_EEEESB_EEENSN_IJSM_SM_EEESB_PlJNSF_9not_fun_tINSF_14equal_to_valueISA_EEEEEEE10hipError_tPvRmT3_T4_T5_T6_T7_T9_mT8_P12ihipStream_tbDpT10_ENKUlT_T0_E_clISt17integral_constantIbLb0EES1I_IbLb1EEEEDaS1E_S1F_EUlS1E_E_NS1_11comp_targetILNS1_3genE9ELNS1_11target_archE1100ELNS1_3gpuE3ELNS1_3repE0EEENS1_30default_config_static_selectorELNS0_4arch9wavefront6targetE0EEEvT1_.uses_vcc, 0
	.set _ZN7rocprim17ROCPRIM_400000_NS6detail17trampoline_kernelINS0_14default_configENS1_25partition_config_selectorILNS1_17partition_subalgoE6EN6thrust23THRUST_200600_302600_NS5tupleIttNS7_9null_typeES9_S9_S9_S9_S9_S9_S9_EENS0_10empty_typeEbEEZZNS1_14partition_implILS5_6ELb0ES3_mNS7_12zip_iteratorINS8_INS7_6detail15normal_iteratorINS7_10device_ptrItEEEESJ_S9_S9_S9_S9_S9_S9_S9_S9_EEEEPSB_SM_NS0_5tupleIJNSE_INS8_ISJ_NS7_16discard_iteratorINS7_11use_defaultEEES9_S9_S9_S9_S9_S9_S9_S9_EEEESB_EEENSN_IJSM_SM_EEESB_PlJNSF_9not_fun_tINSF_14equal_to_valueISA_EEEEEEE10hipError_tPvRmT3_T4_T5_T6_T7_T9_mT8_P12ihipStream_tbDpT10_ENKUlT_T0_E_clISt17integral_constantIbLb0EES1I_IbLb1EEEEDaS1E_S1F_EUlS1E_E_NS1_11comp_targetILNS1_3genE9ELNS1_11target_archE1100ELNS1_3gpuE3ELNS1_3repE0EEENS1_30default_config_static_selectorELNS0_4arch9wavefront6targetE0EEEvT1_.uses_flat_scratch, 0
	.set _ZN7rocprim17ROCPRIM_400000_NS6detail17trampoline_kernelINS0_14default_configENS1_25partition_config_selectorILNS1_17partition_subalgoE6EN6thrust23THRUST_200600_302600_NS5tupleIttNS7_9null_typeES9_S9_S9_S9_S9_S9_S9_EENS0_10empty_typeEbEEZZNS1_14partition_implILS5_6ELb0ES3_mNS7_12zip_iteratorINS8_INS7_6detail15normal_iteratorINS7_10device_ptrItEEEESJ_S9_S9_S9_S9_S9_S9_S9_S9_EEEEPSB_SM_NS0_5tupleIJNSE_INS8_ISJ_NS7_16discard_iteratorINS7_11use_defaultEEES9_S9_S9_S9_S9_S9_S9_S9_EEEESB_EEENSN_IJSM_SM_EEESB_PlJNSF_9not_fun_tINSF_14equal_to_valueISA_EEEEEEE10hipError_tPvRmT3_T4_T5_T6_T7_T9_mT8_P12ihipStream_tbDpT10_ENKUlT_T0_E_clISt17integral_constantIbLb0EES1I_IbLb1EEEEDaS1E_S1F_EUlS1E_E_NS1_11comp_targetILNS1_3genE9ELNS1_11target_archE1100ELNS1_3gpuE3ELNS1_3repE0EEENS1_30default_config_static_selectorELNS0_4arch9wavefront6targetE0EEEvT1_.has_dyn_sized_stack, 0
	.set _ZN7rocprim17ROCPRIM_400000_NS6detail17trampoline_kernelINS0_14default_configENS1_25partition_config_selectorILNS1_17partition_subalgoE6EN6thrust23THRUST_200600_302600_NS5tupleIttNS7_9null_typeES9_S9_S9_S9_S9_S9_S9_EENS0_10empty_typeEbEEZZNS1_14partition_implILS5_6ELb0ES3_mNS7_12zip_iteratorINS8_INS7_6detail15normal_iteratorINS7_10device_ptrItEEEESJ_S9_S9_S9_S9_S9_S9_S9_S9_EEEEPSB_SM_NS0_5tupleIJNSE_INS8_ISJ_NS7_16discard_iteratorINS7_11use_defaultEEES9_S9_S9_S9_S9_S9_S9_S9_EEEESB_EEENSN_IJSM_SM_EEESB_PlJNSF_9not_fun_tINSF_14equal_to_valueISA_EEEEEEE10hipError_tPvRmT3_T4_T5_T6_T7_T9_mT8_P12ihipStream_tbDpT10_ENKUlT_T0_E_clISt17integral_constantIbLb0EES1I_IbLb1EEEEDaS1E_S1F_EUlS1E_E_NS1_11comp_targetILNS1_3genE9ELNS1_11target_archE1100ELNS1_3gpuE3ELNS1_3repE0EEENS1_30default_config_static_selectorELNS0_4arch9wavefront6targetE0EEEvT1_.has_recursion, 0
	.set _ZN7rocprim17ROCPRIM_400000_NS6detail17trampoline_kernelINS0_14default_configENS1_25partition_config_selectorILNS1_17partition_subalgoE6EN6thrust23THRUST_200600_302600_NS5tupleIttNS7_9null_typeES9_S9_S9_S9_S9_S9_S9_EENS0_10empty_typeEbEEZZNS1_14partition_implILS5_6ELb0ES3_mNS7_12zip_iteratorINS8_INS7_6detail15normal_iteratorINS7_10device_ptrItEEEESJ_S9_S9_S9_S9_S9_S9_S9_S9_EEEEPSB_SM_NS0_5tupleIJNSE_INS8_ISJ_NS7_16discard_iteratorINS7_11use_defaultEEES9_S9_S9_S9_S9_S9_S9_S9_EEEESB_EEENSN_IJSM_SM_EEESB_PlJNSF_9not_fun_tINSF_14equal_to_valueISA_EEEEEEE10hipError_tPvRmT3_T4_T5_T6_T7_T9_mT8_P12ihipStream_tbDpT10_ENKUlT_T0_E_clISt17integral_constantIbLb0EES1I_IbLb1EEEEDaS1E_S1F_EUlS1E_E_NS1_11comp_targetILNS1_3genE9ELNS1_11target_archE1100ELNS1_3gpuE3ELNS1_3repE0EEENS1_30default_config_static_selectorELNS0_4arch9wavefront6targetE0EEEvT1_.has_indirect_call, 0
	.section	.AMDGPU.csdata,"",@progbits
; Kernel info:
; codeLenInByte = 0
; TotalNumSgprs: 0
; NumVgprs: 0
; ScratchSize: 0
; MemoryBound: 0
; FloatMode: 240
; IeeeMode: 1
; LDSByteSize: 0 bytes/workgroup (compile time only)
; SGPRBlocks: 0
; VGPRBlocks: 0
; NumSGPRsForWavesPerEU: 1
; NumVGPRsForWavesPerEU: 1
; Occupancy: 16
; WaveLimiterHint : 0
; COMPUTE_PGM_RSRC2:SCRATCH_EN: 0
; COMPUTE_PGM_RSRC2:USER_SGPR: 2
; COMPUTE_PGM_RSRC2:TRAP_HANDLER: 0
; COMPUTE_PGM_RSRC2:TGID_X_EN: 1
; COMPUTE_PGM_RSRC2:TGID_Y_EN: 0
; COMPUTE_PGM_RSRC2:TGID_Z_EN: 0
; COMPUTE_PGM_RSRC2:TIDIG_COMP_CNT: 0
	.section	.text._ZN7rocprim17ROCPRIM_400000_NS6detail17trampoline_kernelINS0_14default_configENS1_25partition_config_selectorILNS1_17partition_subalgoE6EN6thrust23THRUST_200600_302600_NS5tupleIttNS7_9null_typeES9_S9_S9_S9_S9_S9_S9_EENS0_10empty_typeEbEEZZNS1_14partition_implILS5_6ELb0ES3_mNS7_12zip_iteratorINS8_INS7_6detail15normal_iteratorINS7_10device_ptrItEEEESJ_S9_S9_S9_S9_S9_S9_S9_S9_EEEEPSB_SM_NS0_5tupleIJNSE_INS8_ISJ_NS7_16discard_iteratorINS7_11use_defaultEEES9_S9_S9_S9_S9_S9_S9_S9_EEEESB_EEENSN_IJSM_SM_EEESB_PlJNSF_9not_fun_tINSF_14equal_to_valueISA_EEEEEEE10hipError_tPvRmT3_T4_T5_T6_T7_T9_mT8_P12ihipStream_tbDpT10_ENKUlT_T0_E_clISt17integral_constantIbLb0EES1I_IbLb1EEEEDaS1E_S1F_EUlS1E_E_NS1_11comp_targetILNS1_3genE8ELNS1_11target_archE1030ELNS1_3gpuE2ELNS1_3repE0EEENS1_30default_config_static_selectorELNS0_4arch9wavefront6targetE0EEEvT1_,"axG",@progbits,_ZN7rocprim17ROCPRIM_400000_NS6detail17trampoline_kernelINS0_14default_configENS1_25partition_config_selectorILNS1_17partition_subalgoE6EN6thrust23THRUST_200600_302600_NS5tupleIttNS7_9null_typeES9_S9_S9_S9_S9_S9_S9_EENS0_10empty_typeEbEEZZNS1_14partition_implILS5_6ELb0ES3_mNS7_12zip_iteratorINS8_INS7_6detail15normal_iteratorINS7_10device_ptrItEEEESJ_S9_S9_S9_S9_S9_S9_S9_S9_EEEEPSB_SM_NS0_5tupleIJNSE_INS8_ISJ_NS7_16discard_iteratorINS7_11use_defaultEEES9_S9_S9_S9_S9_S9_S9_S9_EEEESB_EEENSN_IJSM_SM_EEESB_PlJNSF_9not_fun_tINSF_14equal_to_valueISA_EEEEEEE10hipError_tPvRmT3_T4_T5_T6_T7_T9_mT8_P12ihipStream_tbDpT10_ENKUlT_T0_E_clISt17integral_constantIbLb0EES1I_IbLb1EEEEDaS1E_S1F_EUlS1E_E_NS1_11comp_targetILNS1_3genE8ELNS1_11target_archE1030ELNS1_3gpuE2ELNS1_3repE0EEENS1_30default_config_static_selectorELNS0_4arch9wavefront6targetE0EEEvT1_,comdat
	.protected	_ZN7rocprim17ROCPRIM_400000_NS6detail17trampoline_kernelINS0_14default_configENS1_25partition_config_selectorILNS1_17partition_subalgoE6EN6thrust23THRUST_200600_302600_NS5tupleIttNS7_9null_typeES9_S9_S9_S9_S9_S9_S9_EENS0_10empty_typeEbEEZZNS1_14partition_implILS5_6ELb0ES3_mNS7_12zip_iteratorINS8_INS7_6detail15normal_iteratorINS7_10device_ptrItEEEESJ_S9_S9_S9_S9_S9_S9_S9_S9_EEEEPSB_SM_NS0_5tupleIJNSE_INS8_ISJ_NS7_16discard_iteratorINS7_11use_defaultEEES9_S9_S9_S9_S9_S9_S9_S9_EEEESB_EEENSN_IJSM_SM_EEESB_PlJNSF_9not_fun_tINSF_14equal_to_valueISA_EEEEEEE10hipError_tPvRmT3_T4_T5_T6_T7_T9_mT8_P12ihipStream_tbDpT10_ENKUlT_T0_E_clISt17integral_constantIbLb0EES1I_IbLb1EEEEDaS1E_S1F_EUlS1E_E_NS1_11comp_targetILNS1_3genE8ELNS1_11target_archE1030ELNS1_3gpuE2ELNS1_3repE0EEENS1_30default_config_static_selectorELNS0_4arch9wavefront6targetE0EEEvT1_ ; -- Begin function _ZN7rocprim17ROCPRIM_400000_NS6detail17trampoline_kernelINS0_14default_configENS1_25partition_config_selectorILNS1_17partition_subalgoE6EN6thrust23THRUST_200600_302600_NS5tupleIttNS7_9null_typeES9_S9_S9_S9_S9_S9_S9_EENS0_10empty_typeEbEEZZNS1_14partition_implILS5_6ELb0ES3_mNS7_12zip_iteratorINS8_INS7_6detail15normal_iteratorINS7_10device_ptrItEEEESJ_S9_S9_S9_S9_S9_S9_S9_S9_EEEEPSB_SM_NS0_5tupleIJNSE_INS8_ISJ_NS7_16discard_iteratorINS7_11use_defaultEEES9_S9_S9_S9_S9_S9_S9_S9_EEEESB_EEENSN_IJSM_SM_EEESB_PlJNSF_9not_fun_tINSF_14equal_to_valueISA_EEEEEEE10hipError_tPvRmT3_T4_T5_T6_T7_T9_mT8_P12ihipStream_tbDpT10_ENKUlT_T0_E_clISt17integral_constantIbLb0EES1I_IbLb1EEEEDaS1E_S1F_EUlS1E_E_NS1_11comp_targetILNS1_3genE8ELNS1_11target_archE1030ELNS1_3gpuE2ELNS1_3repE0EEENS1_30default_config_static_selectorELNS0_4arch9wavefront6targetE0EEEvT1_
	.globl	_ZN7rocprim17ROCPRIM_400000_NS6detail17trampoline_kernelINS0_14default_configENS1_25partition_config_selectorILNS1_17partition_subalgoE6EN6thrust23THRUST_200600_302600_NS5tupleIttNS7_9null_typeES9_S9_S9_S9_S9_S9_S9_EENS0_10empty_typeEbEEZZNS1_14partition_implILS5_6ELb0ES3_mNS7_12zip_iteratorINS8_INS7_6detail15normal_iteratorINS7_10device_ptrItEEEESJ_S9_S9_S9_S9_S9_S9_S9_S9_EEEEPSB_SM_NS0_5tupleIJNSE_INS8_ISJ_NS7_16discard_iteratorINS7_11use_defaultEEES9_S9_S9_S9_S9_S9_S9_S9_EEEESB_EEENSN_IJSM_SM_EEESB_PlJNSF_9not_fun_tINSF_14equal_to_valueISA_EEEEEEE10hipError_tPvRmT3_T4_T5_T6_T7_T9_mT8_P12ihipStream_tbDpT10_ENKUlT_T0_E_clISt17integral_constantIbLb0EES1I_IbLb1EEEEDaS1E_S1F_EUlS1E_E_NS1_11comp_targetILNS1_3genE8ELNS1_11target_archE1030ELNS1_3gpuE2ELNS1_3repE0EEENS1_30default_config_static_selectorELNS0_4arch9wavefront6targetE0EEEvT1_
	.p2align	8
	.type	_ZN7rocprim17ROCPRIM_400000_NS6detail17trampoline_kernelINS0_14default_configENS1_25partition_config_selectorILNS1_17partition_subalgoE6EN6thrust23THRUST_200600_302600_NS5tupleIttNS7_9null_typeES9_S9_S9_S9_S9_S9_S9_EENS0_10empty_typeEbEEZZNS1_14partition_implILS5_6ELb0ES3_mNS7_12zip_iteratorINS8_INS7_6detail15normal_iteratorINS7_10device_ptrItEEEESJ_S9_S9_S9_S9_S9_S9_S9_S9_EEEEPSB_SM_NS0_5tupleIJNSE_INS8_ISJ_NS7_16discard_iteratorINS7_11use_defaultEEES9_S9_S9_S9_S9_S9_S9_S9_EEEESB_EEENSN_IJSM_SM_EEESB_PlJNSF_9not_fun_tINSF_14equal_to_valueISA_EEEEEEE10hipError_tPvRmT3_T4_T5_T6_T7_T9_mT8_P12ihipStream_tbDpT10_ENKUlT_T0_E_clISt17integral_constantIbLb0EES1I_IbLb1EEEEDaS1E_S1F_EUlS1E_E_NS1_11comp_targetILNS1_3genE8ELNS1_11target_archE1030ELNS1_3gpuE2ELNS1_3repE0EEENS1_30default_config_static_selectorELNS0_4arch9wavefront6targetE0EEEvT1_,@function
_ZN7rocprim17ROCPRIM_400000_NS6detail17trampoline_kernelINS0_14default_configENS1_25partition_config_selectorILNS1_17partition_subalgoE6EN6thrust23THRUST_200600_302600_NS5tupleIttNS7_9null_typeES9_S9_S9_S9_S9_S9_S9_EENS0_10empty_typeEbEEZZNS1_14partition_implILS5_6ELb0ES3_mNS7_12zip_iteratorINS8_INS7_6detail15normal_iteratorINS7_10device_ptrItEEEESJ_S9_S9_S9_S9_S9_S9_S9_S9_EEEEPSB_SM_NS0_5tupleIJNSE_INS8_ISJ_NS7_16discard_iteratorINS7_11use_defaultEEES9_S9_S9_S9_S9_S9_S9_S9_EEEESB_EEENSN_IJSM_SM_EEESB_PlJNSF_9not_fun_tINSF_14equal_to_valueISA_EEEEEEE10hipError_tPvRmT3_T4_T5_T6_T7_T9_mT8_P12ihipStream_tbDpT10_ENKUlT_T0_E_clISt17integral_constantIbLb0EES1I_IbLb1EEEEDaS1E_S1F_EUlS1E_E_NS1_11comp_targetILNS1_3genE8ELNS1_11target_archE1030ELNS1_3gpuE2ELNS1_3repE0EEENS1_30default_config_static_selectorELNS0_4arch9wavefront6targetE0EEEvT1_: ; @_ZN7rocprim17ROCPRIM_400000_NS6detail17trampoline_kernelINS0_14default_configENS1_25partition_config_selectorILNS1_17partition_subalgoE6EN6thrust23THRUST_200600_302600_NS5tupleIttNS7_9null_typeES9_S9_S9_S9_S9_S9_S9_EENS0_10empty_typeEbEEZZNS1_14partition_implILS5_6ELb0ES3_mNS7_12zip_iteratorINS8_INS7_6detail15normal_iteratorINS7_10device_ptrItEEEESJ_S9_S9_S9_S9_S9_S9_S9_S9_EEEEPSB_SM_NS0_5tupleIJNSE_INS8_ISJ_NS7_16discard_iteratorINS7_11use_defaultEEES9_S9_S9_S9_S9_S9_S9_S9_EEEESB_EEENSN_IJSM_SM_EEESB_PlJNSF_9not_fun_tINSF_14equal_to_valueISA_EEEEEEE10hipError_tPvRmT3_T4_T5_T6_T7_T9_mT8_P12ihipStream_tbDpT10_ENKUlT_T0_E_clISt17integral_constantIbLb0EES1I_IbLb1EEEEDaS1E_S1F_EUlS1E_E_NS1_11comp_targetILNS1_3genE8ELNS1_11target_archE1030ELNS1_3gpuE2ELNS1_3repE0EEENS1_30default_config_static_selectorELNS0_4arch9wavefront6targetE0EEEvT1_
; %bb.0:
	.section	.rodata,"a",@progbits
	.p2align	6, 0x0
	.amdhsa_kernel _ZN7rocprim17ROCPRIM_400000_NS6detail17trampoline_kernelINS0_14default_configENS1_25partition_config_selectorILNS1_17partition_subalgoE6EN6thrust23THRUST_200600_302600_NS5tupleIttNS7_9null_typeES9_S9_S9_S9_S9_S9_S9_EENS0_10empty_typeEbEEZZNS1_14partition_implILS5_6ELb0ES3_mNS7_12zip_iteratorINS8_INS7_6detail15normal_iteratorINS7_10device_ptrItEEEESJ_S9_S9_S9_S9_S9_S9_S9_S9_EEEEPSB_SM_NS0_5tupleIJNSE_INS8_ISJ_NS7_16discard_iteratorINS7_11use_defaultEEES9_S9_S9_S9_S9_S9_S9_S9_EEEESB_EEENSN_IJSM_SM_EEESB_PlJNSF_9not_fun_tINSF_14equal_to_valueISA_EEEEEEE10hipError_tPvRmT3_T4_T5_T6_T7_T9_mT8_P12ihipStream_tbDpT10_ENKUlT_T0_E_clISt17integral_constantIbLb0EES1I_IbLb1EEEEDaS1E_S1F_EUlS1E_E_NS1_11comp_targetILNS1_3genE8ELNS1_11target_archE1030ELNS1_3gpuE2ELNS1_3repE0EEENS1_30default_config_static_selectorELNS0_4arch9wavefront6targetE0EEEvT1_
		.amdhsa_group_segment_fixed_size 0
		.amdhsa_private_segment_fixed_size 0
		.amdhsa_kernarg_size 152
		.amdhsa_user_sgpr_count 2
		.amdhsa_user_sgpr_dispatch_ptr 0
		.amdhsa_user_sgpr_queue_ptr 0
		.amdhsa_user_sgpr_kernarg_segment_ptr 1
		.amdhsa_user_sgpr_dispatch_id 0
		.amdhsa_user_sgpr_private_segment_size 0
		.amdhsa_wavefront_size32 1
		.amdhsa_uses_dynamic_stack 0
		.amdhsa_enable_private_segment 0
		.amdhsa_system_sgpr_workgroup_id_x 1
		.amdhsa_system_sgpr_workgroup_id_y 0
		.amdhsa_system_sgpr_workgroup_id_z 0
		.amdhsa_system_sgpr_workgroup_info 0
		.amdhsa_system_vgpr_workitem_id 0
		.amdhsa_next_free_vgpr 1
		.amdhsa_next_free_sgpr 1
		.amdhsa_reserve_vcc 0
		.amdhsa_float_round_mode_32 0
		.amdhsa_float_round_mode_16_64 0
		.amdhsa_float_denorm_mode_32 3
		.amdhsa_float_denorm_mode_16_64 3
		.amdhsa_fp16_overflow 0
		.amdhsa_workgroup_processor_mode 1
		.amdhsa_memory_ordered 1
		.amdhsa_forward_progress 1
		.amdhsa_inst_pref_size 0
		.amdhsa_round_robin_scheduling 0
		.amdhsa_exception_fp_ieee_invalid_op 0
		.amdhsa_exception_fp_denorm_src 0
		.amdhsa_exception_fp_ieee_div_zero 0
		.amdhsa_exception_fp_ieee_overflow 0
		.amdhsa_exception_fp_ieee_underflow 0
		.amdhsa_exception_fp_ieee_inexact 0
		.amdhsa_exception_int_div_zero 0
	.end_amdhsa_kernel
	.section	.text._ZN7rocprim17ROCPRIM_400000_NS6detail17trampoline_kernelINS0_14default_configENS1_25partition_config_selectorILNS1_17partition_subalgoE6EN6thrust23THRUST_200600_302600_NS5tupleIttNS7_9null_typeES9_S9_S9_S9_S9_S9_S9_EENS0_10empty_typeEbEEZZNS1_14partition_implILS5_6ELb0ES3_mNS7_12zip_iteratorINS8_INS7_6detail15normal_iteratorINS7_10device_ptrItEEEESJ_S9_S9_S9_S9_S9_S9_S9_S9_EEEEPSB_SM_NS0_5tupleIJNSE_INS8_ISJ_NS7_16discard_iteratorINS7_11use_defaultEEES9_S9_S9_S9_S9_S9_S9_S9_EEEESB_EEENSN_IJSM_SM_EEESB_PlJNSF_9not_fun_tINSF_14equal_to_valueISA_EEEEEEE10hipError_tPvRmT3_T4_T5_T6_T7_T9_mT8_P12ihipStream_tbDpT10_ENKUlT_T0_E_clISt17integral_constantIbLb0EES1I_IbLb1EEEEDaS1E_S1F_EUlS1E_E_NS1_11comp_targetILNS1_3genE8ELNS1_11target_archE1030ELNS1_3gpuE2ELNS1_3repE0EEENS1_30default_config_static_selectorELNS0_4arch9wavefront6targetE0EEEvT1_,"axG",@progbits,_ZN7rocprim17ROCPRIM_400000_NS6detail17trampoline_kernelINS0_14default_configENS1_25partition_config_selectorILNS1_17partition_subalgoE6EN6thrust23THRUST_200600_302600_NS5tupleIttNS7_9null_typeES9_S9_S9_S9_S9_S9_S9_EENS0_10empty_typeEbEEZZNS1_14partition_implILS5_6ELb0ES3_mNS7_12zip_iteratorINS8_INS7_6detail15normal_iteratorINS7_10device_ptrItEEEESJ_S9_S9_S9_S9_S9_S9_S9_S9_EEEEPSB_SM_NS0_5tupleIJNSE_INS8_ISJ_NS7_16discard_iteratorINS7_11use_defaultEEES9_S9_S9_S9_S9_S9_S9_S9_EEEESB_EEENSN_IJSM_SM_EEESB_PlJNSF_9not_fun_tINSF_14equal_to_valueISA_EEEEEEE10hipError_tPvRmT3_T4_T5_T6_T7_T9_mT8_P12ihipStream_tbDpT10_ENKUlT_T0_E_clISt17integral_constantIbLb0EES1I_IbLb1EEEEDaS1E_S1F_EUlS1E_E_NS1_11comp_targetILNS1_3genE8ELNS1_11target_archE1030ELNS1_3gpuE2ELNS1_3repE0EEENS1_30default_config_static_selectorELNS0_4arch9wavefront6targetE0EEEvT1_,comdat
.Lfunc_end1980:
	.size	_ZN7rocprim17ROCPRIM_400000_NS6detail17trampoline_kernelINS0_14default_configENS1_25partition_config_selectorILNS1_17partition_subalgoE6EN6thrust23THRUST_200600_302600_NS5tupleIttNS7_9null_typeES9_S9_S9_S9_S9_S9_S9_EENS0_10empty_typeEbEEZZNS1_14partition_implILS5_6ELb0ES3_mNS7_12zip_iteratorINS8_INS7_6detail15normal_iteratorINS7_10device_ptrItEEEESJ_S9_S9_S9_S9_S9_S9_S9_S9_EEEEPSB_SM_NS0_5tupleIJNSE_INS8_ISJ_NS7_16discard_iteratorINS7_11use_defaultEEES9_S9_S9_S9_S9_S9_S9_S9_EEEESB_EEENSN_IJSM_SM_EEESB_PlJNSF_9not_fun_tINSF_14equal_to_valueISA_EEEEEEE10hipError_tPvRmT3_T4_T5_T6_T7_T9_mT8_P12ihipStream_tbDpT10_ENKUlT_T0_E_clISt17integral_constantIbLb0EES1I_IbLb1EEEEDaS1E_S1F_EUlS1E_E_NS1_11comp_targetILNS1_3genE8ELNS1_11target_archE1030ELNS1_3gpuE2ELNS1_3repE0EEENS1_30default_config_static_selectorELNS0_4arch9wavefront6targetE0EEEvT1_, .Lfunc_end1980-_ZN7rocprim17ROCPRIM_400000_NS6detail17trampoline_kernelINS0_14default_configENS1_25partition_config_selectorILNS1_17partition_subalgoE6EN6thrust23THRUST_200600_302600_NS5tupleIttNS7_9null_typeES9_S9_S9_S9_S9_S9_S9_EENS0_10empty_typeEbEEZZNS1_14partition_implILS5_6ELb0ES3_mNS7_12zip_iteratorINS8_INS7_6detail15normal_iteratorINS7_10device_ptrItEEEESJ_S9_S9_S9_S9_S9_S9_S9_S9_EEEEPSB_SM_NS0_5tupleIJNSE_INS8_ISJ_NS7_16discard_iteratorINS7_11use_defaultEEES9_S9_S9_S9_S9_S9_S9_S9_EEEESB_EEENSN_IJSM_SM_EEESB_PlJNSF_9not_fun_tINSF_14equal_to_valueISA_EEEEEEE10hipError_tPvRmT3_T4_T5_T6_T7_T9_mT8_P12ihipStream_tbDpT10_ENKUlT_T0_E_clISt17integral_constantIbLb0EES1I_IbLb1EEEEDaS1E_S1F_EUlS1E_E_NS1_11comp_targetILNS1_3genE8ELNS1_11target_archE1030ELNS1_3gpuE2ELNS1_3repE0EEENS1_30default_config_static_selectorELNS0_4arch9wavefront6targetE0EEEvT1_
                                        ; -- End function
	.set _ZN7rocprim17ROCPRIM_400000_NS6detail17trampoline_kernelINS0_14default_configENS1_25partition_config_selectorILNS1_17partition_subalgoE6EN6thrust23THRUST_200600_302600_NS5tupleIttNS7_9null_typeES9_S9_S9_S9_S9_S9_S9_EENS0_10empty_typeEbEEZZNS1_14partition_implILS5_6ELb0ES3_mNS7_12zip_iteratorINS8_INS7_6detail15normal_iteratorINS7_10device_ptrItEEEESJ_S9_S9_S9_S9_S9_S9_S9_S9_EEEEPSB_SM_NS0_5tupleIJNSE_INS8_ISJ_NS7_16discard_iteratorINS7_11use_defaultEEES9_S9_S9_S9_S9_S9_S9_S9_EEEESB_EEENSN_IJSM_SM_EEESB_PlJNSF_9not_fun_tINSF_14equal_to_valueISA_EEEEEEE10hipError_tPvRmT3_T4_T5_T6_T7_T9_mT8_P12ihipStream_tbDpT10_ENKUlT_T0_E_clISt17integral_constantIbLb0EES1I_IbLb1EEEEDaS1E_S1F_EUlS1E_E_NS1_11comp_targetILNS1_3genE8ELNS1_11target_archE1030ELNS1_3gpuE2ELNS1_3repE0EEENS1_30default_config_static_selectorELNS0_4arch9wavefront6targetE0EEEvT1_.num_vgpr, 0
	.set _ZN7rocprim17ROCPRIM_400000_NS6detail17trampoline_kernelINS0_14default_configENS1_25partition_config_selectorILNS1_17partition_subalgoE6EN6thrust23THRUST_200600_302600_NS5tupleIttNS7_9null_typeES9_S9_S9_S9_S9_S9_S9_EENS0_10empty_typeEbEEZZNS1_14partition_implILS5_6ELb0ES3_mNS7_12zip_iteratorINS8_INS7_6detail15normal_iteratorINS7_10device_ptrItEEEESJ_S9_S9_S9_S9_S9_S9_S9_S9_EEEEPSB_SM_NS0_5tupleIJNSE_INS8_ISJ_NS7_16discard_iteratorINS7_11use_defaultEEES9_S9_S9_S9_S9_S9_S9_S9_EEEESB_EEENSN_IJSM_SM_EEESB_PlJNSF_9not_fun_tINSF_14equal_to_valueISA_EEEEEEE10hipError_tPvRmT3_T4_T5_T6_T7_T9_mT8_P12ihipStream_tbDpT10_ENKUlT_T0_E_clISt17integral_constantIbLb0EES1I_IbLb1EEEEDaS1E_S1F_EUlS1E_E_NS1_11comp_targetILNS1_3genE8ELNS1_11target_archE1030ELNS1_3gpuE2ELNS1_3repE0EEENS1_30default_config_static_selectorELNS0_4arch9wavefront6targetE0EEEvT1_.num_agpr, 0
	.set _ZN7rocprim17ROCPRIM_400000_NS6detail17trampoline_kernelINS0_14default_configENS1_25partition_config_selectorILNS1_17partition_subalgoE6EN6thrust23THRUST_200600_302600_NS5tupleIttNS7_9null_typeES9_S9_S9_S9_S9_S9_S9_EENS0_10empty_typeEbEEZZNS1_14partition_implILS5_6ELb0ES3_mNS7_12zip_iteratorINS8_INS7_6detail15normal_iteratorINS7_10device_ptrItEEEESJ_S9_S9_S9_S9_S9_S9_S9_S9_EEEEPSB_SM_NS0_5tupleIJNSE_INS8_ISJ_NS7_16discard_iteratorINS7_11use_defaultEEES9_S9_S9_S9_S9_S9_S9_S9_EEEESB_EEENSN_IJSM_SM_EEESB_PlJNSF_9not_fun_tINSF_14equal_to_valueISA_EEEEEEE10hipError_tPvRmT3_T4_T5_T6_T7_T9_mT8_P12ihipStream_tbDpT10_ENKUlT_T0_E_clISt17integral_constantIbLb0EES1I_IbLb1EEEEDaS1E_S1F_EUlS1E_E_NS1_11comp_targetILNS1_3genE8ELNS1_11target_archE1030ELNS1_3gpuE2ELNS1_3repE0EEENS1_30default_config_static_selectorELNS0_4arch9wavefront6targetE0EEEvT1_.numbered_sgpr, 0
	.set _ZN7rocprim17ROCPRIM_400000_NS6detail17trampoline_kernelINS0_14default_configENS1_25partition_config_selectorILNS1_17partition_subalgoE6EN6thrust23THRUST_200600_302600_NS5tupleIttNS7_9null_typeES9_S9_S9_S9_S9_S9_S9_EENS0_10empty_typeEbEEZZNS1_14partition_implILS5_6ELb0ES3_mNS7_12zip_iteratorINS8_INS7_6detail15normal_iteratorINS7_10device_ptrItEEEESJ_S9_S9_S9_S9_S9_S9_S9_S9_EEEEPSB_SM_NS0_5tupleIJNSE_INS8_ISJ_NS7_16discard_iteratorINS7_11use_defaultEEES9_S9_S9_S9_S9_S9_S9_S9_EEEESB_EEENSN_IJSM_SM_EEESB_PlJNSF_9not_fun_tINSF_14equal_to_valueISA_EEEEEEE10hipError_tPvRmT3_T4_T5_T6_T7_T9_mT8_P12ihipStream_tbDpT10_ENKUlT_T0_E_clISt17integral_constantIbLb0EES1I_IbLb1EEEEDaS1E_S1F_EUlS1E_E_NS1_11comp_targetILNS1_3genE8ELNS1_11target_archE1030ELNS1_3gpuE2ELNS1_3repE0EEENS1_30default_config_static_selectorELNS0_4arch9wavefront6targetE0EEEvT1_.num_named_barrier, 0
	.set _ZN7rocprim17ROCPRIM_400000_NS6detail17trampoline_kernelINS0_14default_configENS1_25partition_config_selectorILNS1_17partition_subalgoE6EN6thrust23THRUST_200600_302600_NS5tupleIttNS7_9null_typeES9_S9_S9_S9_S9_S9_S9_EENS0_10empty_typeEbEEZZNS1_14partition_implILS5_6ELb0ES3_mNS7_12zip_iteratorINS8_INS7_6detail15normal_iteratorINS7_10device_ptrItEEEESJ_S9_S9_S9_S9_S9_S9_S9_S9_EEEEPSB_SM_NS0_5tupleIJNSE_INS8_ISJ_NS7_16discard_iteratorINS7_11use_defaultEEES9_S9_S9_S9_S9_S9_S9_S9_EEEESB_EEENSN_IJSM_SM_EEESB_PlJNSF_9not_fun_tINSF_14equal_to_valueISA_EEEEEEE10hipError_tPvRmT3_T4_T5_T6_T7_T9_mT8_P12ihipStream_tbDpT10_ENKUlT_T0_E_clISt17integral_constantIbLb0EES1I_IbLb1EEEEDaS1E_S1F_EUlS1E_E_NS1_11comp_targetILNS1_3genE8ELNS1_11target_archE1030ELNS1_3gpuE2ELNS1_3repE0EEENS1_30default_config_static_selectorELNS0_4arch9wavefront6targetE0EEEvT1_.private_seg_size, 0
	.set _ZN7rocprim17ROCPRIM_400000_NS6detail17trampoline_kernelINS0_14default_configENS1_25partition_config_selectorILNS1_17partition_subalgoE6EN6thrust23THRUST_200600_302600_NS5tupleIttNS7_9null_typeES9_S9_S9_S9_S9_S9_S9_EENS0_10empty_typeEbEEZZNS1_14partition_implILS5_6ELb0ES3_mNS7_12zip_iteratorINS8_INS7_6detail15normal_iteratorINS7_10device_ptrItEEEESJ_S9_S9_S9_S9_S9_S9_S9_S9_EEEEPSB_SM_NS0_5tupleIJNSE_INS8_ISJ_NS7_16discard_iteratorINS7_11use_defaultEEES9_S9_S9_S9_S9_S9_S9_S9_EEEESB_EEENSN_IJSM_SM_EEESB_PlJNSF_9not_fun_tINSF_14equal_to_valueISA_EEEEEEE10hipError_tPvRmT3_T4_T5_T6_T7_T9_mT8_P12ihipStream_tbDpT10_ENKUlT_T0_E_clISt17integral_constantIbLb0EES1I_IbLb1EEEEDaS1E_S1F_EUlS1E_E_NS1_11comp_targetILNS1_3genE8ELNS1_11target_archE1030ELNS1_3gpuE2ELNS1_3repE0EEENS1_30default_config_static_selectorELNS0_4arch9wavefront6targetE0EEEvT1_.uses_vcc, 0
	.set _ZN7rocprim17ROCPRIM_400000_NS6detail17trampoline_kernelINS0_14default_configENS1_25partition_config_selectorILNS1_17partition_subalgoE6EN6thrust23THRUST_200600_302600_NS5tupleIttNS7_9null_typeES9_S9_S9_S9_S9_S9_S9_EENS0_10empty_typeEbEEZZNS1_14partition_implILS5_6ELb0ES3_mNS7_12zip_iteratorINS8_INS7_6detail15normal_iteratorINS7_10device_ptrItEEEESJ_S9_S9_S9_S9_S9_S9_S9_S9_EEEEPSB_SM_NS0_5tupleIJNSE_INS8_ISJ_NS7_16discard_iteratorINS7_11use_defaultEEES9_S9_S9_S9_S9_S9_S9_S9_EEEESB_EEENSN_IJSM_SM_EEESB_PlJNSF_9not_fun_tINSF_14equal_to_valueISA_EEEEEEE10hipError_tPvRmT3_T4_T5_T6_T7_T9_mT8_P12ihipStream_tbDpT10_ENKUlT_T0_E_clISt17integral_constantIbLb0EES1I_IbLb1EEEEDaS1E_S1F_EUlS1E_E_NS1_11comp_targetILNS1_3genE8ELNS1_11target_archE1030ELNS1_3gpuE2ELNS1_3repE0EEENS1_30default_config_static_selectorELNS0_4arch9wavefront6targetE0EEEvT1_.uses_flat_scratch, 0
	.set _ZN7rocprim17ROCPRIM_400000_NS6detail17trampoline_kernelINS0_14default_configENS1_25partition_config_selectorILNS1_17partition_subalgoE6EN6thrust23THRUST_200600_302600_NS5tupleIttNS7_9null_typeES9_S9_S9_S9_S9_S9_S9_EENS0_10empty_typeEbEEZZNS1_14partition_implILS5_6ELb0ES3_mNS7_12zip_iteratorINS8_INS7_6detail15normal_iteratorINS7_10device_ptrItEEEESJ_S9_S9_S9_S9_S9_S9_S9_S9_EEEEPSB_SM_NS0_5tupleIJNSE_INS8_ISJ_NS7_16discard_iteratorINS7_11use_defaultEEES9_S9_S9_S9_S9_S9_S9_S9_EEEESB_EEENSN_IJSM_SM_EEESB_PlJNSF_9not_fun_tINSF_14equal_to_valueISA_EEEEEEE10hipError_tPvRmT3_T4_T5_T6_T7_T9_mT8_P12ihipStream_tbDpT10_ENKUlT_T0_E_clISt17integral_constantIbLb0EES1I_IbLb1EEEEDaS1E_S1F_EUlS1E_E_NS1_11comp_targetILNS1_3genE8ELNS1_11target_archE1030ELNS1_3gpuE2ELNS1_3repE0EEENS1_30default_config_static_selectorELNS0_4arch9wavefront6targetE0EEEvT1_.has_dyn_sized_stack, 0
	.set _ZN7rocprim17ROCPRIM_400000_NS6detail17trampoline_kernelINS0_14default_configENS1_25partition_config_selectorILNS1_17partition_subalgoE6EN6thrust23THRUST_200600_302600_NS5tupleIttNS7_9null_typeES9_S9_S9_S9_S9_S9_S9_EENS0_10empty_typeEbEEZZNS1_14partition_implILS5_6ELb0ES3_mNS7_12zip_iteratorINS8_INS7_6detail15normal_iteratorINS7_10device_ptrItEEEESJ_S9_S9_S9_S9_S9_S9_S9_S9_EEEEPSB_SM_NS0_5tupleIJNSE_INS8_ISJ_NS7_16discard_iteratorINS7_11use_defaultEEES9_S9_S9_S9_S9_S9_S9_S9_EEEESB_EEENSN_IJSM_SM_EEESB_PlJNSF_9not_fun_tINSF_14equal_to_valueISA_EEEEEEE10hipError_tPvRmT3_T4_T5_T6_T7_T9_mT8_P12ihipStream_tbDpT10_ENKUlT_T0_E_clISt17integral_constantIbLb0EES1I_IbLb1EEEEDaS1E_S1F_EUlS1E_E_NS1_11comp_targetILNS1_3genE8ELNS1_11target_archE1030ELNS1_3gpuE2ELNS1_3repE0EEENS1_30default_config_static_selectorELNS0_4arch9wavefront6targetE0EEEvT1_.has_recursion, 0
	.set _ZN7rocprim17ROCPRIM_400000_NS6detail17trampoline_kernelINS0_14default_configENS1_25partition_config_selectorILNS1_17partition_subalgoE6EN6thrust23THRUST_200600_302600_NS5tupleIttNS7_9null_typeES9_S9_S9_S9_S9_S9_S9_EENS0_10empty_typeEbEEZZNS1_14partition_implILS5_6ELb0ES3_mNS7_12zip_iteratorINS8_INS7_6detail15normal_iteratorINS7_10device_ptrItEEEESJ_S9_S9_S9_S9_S9_S9_S9_S9_EEEEPSB_SM_NS0_5tupleIJNSE_INS8_ISJ_NS7_16discard_iteratorINS7_11use_defaultEEES9_S9_S9_S9_S9_S9_S9_S9_EEEESB_EEENSN_IJSM_SM_EEESB_PlJNSF_9not_fun_tINSF_14equal_to_valueISA_EEEEEEE10hipError_tPvRmT3_T4_T5_T6_T7_T9_mT8_P12ihipStream_tbDpT10_ENKUlT_T0_E_clISt17integral_constantIbLb0EES1I_IbLb1EEEEDaS1E_S1F_EUlS1E_E_NS1_11comp_targetILNS1_3genE8ELNS1_11target_archE1030ELNS1_3gpuE2ELNS1_3repE0EEENS1_30default_config_static_selectorELNS0_4arch9wavefront6targetE0EEEvT1_.has_indirect_call, 0
	.section	.AMDGPU.csdata,"",@progbits
; Kernel info:
; codeLenInByte = 0
; TotalNumSgprs: 0
; NumVgprs: 0
; ScratchSize: 0
; MemoryBound: 0
; FloatMode: 240
; IeeeMode: 1
; LDSByteSize: 0 bytes/workgroup (compile time only)
; SGPRBlocks: 0
; VGPRBlocks: 0
; NumSGPRsForWavesPerEU: 1
; NumVGPRsForWavesPerEU: 1
; Occupancy: 16
; WaveLimiterHint : 0
; COMPUTE_PGM_RSRC2:SCRATCH_EN: 0
; COMPUTE_PGM_RSRC2:USER_SGPR: 2
; COMPUTE_PGM_RSRC2:TRAP_HANDLER: 0
; COMPUTE_PGM_RSRC2:TGID_X_EN: 1
; COMPUTE_PGM_RSRC2:TGID_Y_EN: 0
; COMPUTE_PGM_RSRC2:TGID_Z_EN: 0
; COMPUTE_PGM_RSRC2:TIDIG_COMP_CNT: 0
	.section	.text._ZN7rocprim17ROCPRIM_400000_NS6detail17trampoline_kernelINS0_14default_configENS1_25partition_config_selectorILNS1_17partition_subalgoE6EN6thrust23THRUST_200600_302600_NS5tupleIxxNS7_9null_typeES9_S9_S9_S9_S9_S9_S9_EENS0_10empty_typeEbEEZZNS1_14partition_implILS5_6ELb0ES3_mNS7_12zip_iteratorINS8_INS7_6detail15normal_iteratorINS7_10device_ptrIxEEEESJ_S9_S9_S9_S9_S9_S9_S9_S9_EEEEPSB_SM_NS0_5tupleIJNSE_INS8_ISJ_NS7_16discard_iteratorINS7_11use_defaultEEES9_S9_S9_S9_S9_S9_S9_S9_EEEESB_EEENSN_IJSM_SM_EEESB_PlJNSF_9not_fun_tINSF_14equal_to_valueISA_EEEEEEE10hipError_tPvRmT3_T4_T5_T6_T7_T9_mT8_P12ihipStream_tbDpT10_ENKUlT_T0_E_clISt17integral_constantIbLb0EES1J_EEDaS1E_S1F_EUlS1E_E_NS1_11comp_targetILNS1_3genE0ELNS1_11target_archE4294967295ELNS1_3gpuE0ELNS1_3repE0EEENS1_30default_config_static_selectorELNS0_4arch9wavefront6targetE0EEEvT1_,"axG",@progbits,_ZN7rocprim17ROCPRIM_400000_NS6detail17trampoline_kernelINS0_14default_configENS1_25partition_config_selectorILNS1_17partition_subalgoE6EN6thrust23THRUST_200600_302600_NS5tupleIxxNS7_9null_typeES9_S9_S9_S9_S9_S9_S9_EENS0_10empty_typeEbEEZZNS1_14partition_implILS5_6ELb0ES3_mNS7_12zip_iteratorINS8_INS7_6detail15normal_iteratorINS7_10device_ptrIxEEEESJ_S9_S9_S9_S9_S9_S9_S9_S9_EEEEPSB_SM_NS0_5tupleIJNSE_INS8_ISJ_NS7_16discard_iteratorINS7_11use_defaultEEES9_S9_S9_S9_S9_S9_S9_S9_EEEESB_EEENSN_IJSM_SM_EEESB_PlJNSF_9not_fun_tINSF_14equal_to_valueISA_EEEEEEE10hipError_tPvRmT3_T4_T5_T6_T7_T9_mT8_P12ihipStream_tbDpT10_ENKUlT_T0_E_clISt17integral_constantIbLb0EES1J_EEDaS1E_S1F_EUlS1E_E_NS1_11comp_targetILNS1_3genE0ELNS1_11target_archE4294967295ELNS1_3gpuE0ELNS1_3repE0EEENS1_30default_config_static_selectorELNS0_4arch9wavefront6targetE0EEEvT1_,comdat
	.protected	_ZN7rocprim17ROCPRIM_400000_NS6detail17trampoline_kernelINS0_14default_configENS1_25partition_config_selectorILNS1_17partition_subalgoE6EN6thrust23THRUST_200600_302600_NS5tupleIxxNS7_9null_typeES9_S9_S9_S9_S9_S9_S9_EENS0_10empty_typeEbEEZZNS1_14partition_implILS5_6ELb0ES3_mNS7_12zip_iteratorINS8_INS7_6detail15normal_iteratorINS7_10device_ptrIxEEEESJ_S9_S9_S9_S9_S9_S9_S9_S9_EEEEPSB_SM_NS0_5tupleIJNSE_INS8_ISJ_NS7_16discard_iteratorINS7_11use_defaultEEES9_S9_S9_S9_S9_S9_S9_S9_EEEESB_EEENSN_IJSM_SM_EEESB_PlJNSF_9not_fun_tINSF_14equal_to_valueISA_EEEEEEE10hipError_tPvRmT3_T4_T5_T6_T7_T9_mT8_P12ihipStream_tbDpT10_ENKUlT_T0_E_clISt17integral_constantIbLb0EES1J_EEDaS1E_S1F_EUlS1E_E_NS1_11comp_targetILNS1_3genE0ELNS1_11target_archE4294967295ELNS1_3gpuE0ELNS1_3repE0EEENS1_30default_config_static_selectorELNS0_4arch9wavefront6targetE0EEEvT1_ ; -- Begin function _ZN7rocprim17ROCPRIM_400000_NS6detail17trampoline_kernelINS0_14default_configENS1_25partition_config_selectorILNS1_17partition_subalgoE6EN6thrust23THRUST_200600_302600_NS5tupleIxxNS7_9null_typeES9_S9_S9_S9_S9_S9_S9_EENS0_10empty_typeEbEEZZNS1_14partition_implILS5_6ELb0ES3_mNS7_12zip_iteratorINS8_INS7_6detail15normal_iteratorINS7_10device_ptrIxEEEESJ_S9_S9_S9_S9_S9_S9_S9_S9_EEEEPSB_SM_NS0_5tupleIJNSE_INS8_ISJ_NS7_16discard_iteratorINS7_11use_defaultEEES9_S9_S9_S9_S9_S9_S9_S9_EEEESB_EEENSN_IJSM_SM_EEESB_PlJNSF_9not_fun_tINSF_14equal_to_valueISA_EEEEEEE10hipError_tPvRmT3_T4_T5_T6_T7_T9_mT8_P12ihipStream_tbDpT10_ENKUlT_T0_E_clISt17integral_constantIbLb0EES1J_EEDaS1E_S1F_EUlS1E_E_NS1_11comp_targetILNS1_3genE0ELNS1_11target_archE4294967295ELNS1_3gpuE0ELNS1_3repE0EEENS1_30default_config_static_selectorELNS0_4arch9wavefront6targetE0EEEvT1_
	.globl	_ZN7rocprim17ROCPRIM_400000_NS6detail17trampoline_kernelINS0_14default_configENS1_25partition_config_selectorILNS1_17partition_subalgoE6EN6thrust23THRUST_200600_302600_NS5tupleIxxNS7_9null_typeES9_S9_S9_S9_S9_S9_S9_EENS0_10empty_typeEbEEZZNS1_14partition_implILS5_6ELb0ES3_mNS7_12zip_iteratorINS8_INS7_6detail15normal_iteratorINS7_10device_ptrIxEEEESJ_S9_S9_S9_S9_S9_S9_S9_S9_EEEEPSB_SM_NS0_5tupleIJNSE_INS8_ISJ_NS7_16discard_iteratorINS7_11use_defaultEEES9_S9_S9_S9_S9_S9_S9_S9_EEEESB_EEENSN_IJSM_SM_EEESB_PlJNSF_9not_fun_tINSF_14equal_to_valueISA_EEEEEEE10hipError_tPvRmT3_T4_T5_T6_T7_T9_mT8_P12ihipStream_tbDpT10_ENKUlT_T0_E_clISt17integral_constantIbLb0EES1J_EEDaS1E_S1F_EUlS1E_E_NS1_11comp_targetILNS1_3genE0ELNS1_11target_archE4294967295ELNS1_3gpuE0ELNS1_3repE0EEENS1_30default_config_static_selectorELNS0_4arch9wavefront6targetE0EEEvT1_
	.p2align	8
	.type	_ZN7rocprim17ROCPRIM_400000_NS6detail17trampoline_kernelINS0_14default_configENS1_25partition_config_selectorILNS1_17partition_subalgoE6EN6thrust23THRUST_200600_302600_NS5tupleIxxNS7_9null_typeES9_S9_S9_S9_S9_S9_S9_EENS0_10empty_typeEbEEZZNS1_14partition_implILS5_6ELb0ES3_mNS7_12zip_iteratorINS8_INS7_6detail15normal_iteratorINS7_10device_ptrIxEEEESJ_S9_S9_S9_S9_S9_S9_S9_S9_EEEEPSB_SM_NS0_5tupleIJNSE_INS8_ISJ_NS7_16discard_iteratorINS7_11use_defaultEEES9_S9_S9_S9_S9_S9_S9_S9_EEEESB_EEENSN_IJSM_SM_EEESB_PlJNSF_9not_fun_tINSF_14equal_to_valueISA_EEEEEEE10hipError_tPvRmT3_T4_T5_T6_T7_T9_mT8_P12ihipStream_tbDpT10_ENKUlT_T0_E_clISt17integral_constantIbLb0EES1J_EEDaS1E_S1F_EUlS1E_E_NS1_11comp_targetILNS1_3genE0ELNS1_11target_archE4294967295ELNS1_3gpuE0ELNS1_3repE0EEENS1_30default_config_static_selectorELNS0_4arch9wavefront6targetE0EEEvT1_,@function
_ZN7rocprim17ROCPRIM_400000_NS6detail17trampoline_kernelINS0_14default_configENS1_25partition_config_selectorILNS1_17partition_subalgoE6EN6thrust23THRUST_200600_302600_NS5tupleIxxNS7_9null_typeES9_S9_S9_S9_S9_S9_S9_EENS0_10empty_typeEbEEZZNS1_14partition_implILS5_6ELb0ES3_mNS7_12zip_iteratorINS8_INS7_6detail15normal_iteratorINS7_10device_ptrIxEEEESJ_S9_S9_S9_S9_S9_S9_S9_S9_EEEEPSB_SM_NS0_5tupleIJNSE_INS8_ISJ_NS7_16discard_iteratorINS7_11use_defaultEEES9_S9_S9_S9_S9_S9_S9_S9_EEEESB_EEENSN_IJSM_SM_EEESB_PlJNSF_9not_fun_tINSF_14equal_to_valueISA_EEEEEEE10hipError_tPvRmT3_T4_T5_T6_T7_T9_mT8_P12ihipStream_tbDpT10_ENKUlT_T0_E_clISt17integral_constantIbLb0EES1J_EEDaS1E_S1F_EUlS1E_E_NS1_11comp_targetILNS1_3genE0ELNS1_11target_archE4294967295ELNS1_3gpuE0ELNS1_3repE0EEENS1_30default_config_static_selectorELNS0_4arch9wavefront6targetE0EEEvT1_: ; @_ZN7rocprim17ROCPRIM_400000_NS6detail17trampoline_kernelINS0_14default_configENS1_25partition_config_selectorILNS1_17partition_subalgoE6EN6thrust23THRUST_200600_302600_NS5tupleIxxNS7_9null_typeES9_S9_S9_S9_S9_S9_S9_EENS0_10empty_typeEbEEZZNS1_14partition_implILS5_6ELb0ES3_mNS7_12zip_iteratorINS8_INS7_6detail15normal_iteratorINS7_10device_ptrIxEEEESJ_S9_S9_S9_S9_S9_S9_S9_S9_EEEEPSB_SM_NS0_5tupleIJNSE_INS8_ISJ_NS7_16discard_iteratorINS7_11use_defaultEEES9_S9_S9_S9_S9_S9_S9_S9_EEEESB_EEENSN_IJSM_SM_EEESB_PlJNSF_9not_fun_tINSF_14equal_to_valueISA_EEEEEEE10hipError_tPvRmT3_T4_T5_T6_T7_T9_mT8_P12ihipStream_tbDpT10_ENKUlT_T0_E_clISt17integral_constantIbLb0EES1J_EEDaS1E_S1F_EUlS1E_E_NS1_11comp_targetILNS1_3genE0ELNS1_11target_archE4294967295ELNS1_3gpuE0ELNS1_3repE0EEENS1_30default_config_static_selectorELNS0_4arch9wavefront6targetE0EEEvT1_
; %bb.0:
	.section	.rodata,"a",@progbits
	.p2align	6, 0x0
	.amdhsa_kernel _ZN7rocprim17ROCPRIM_400000_NS6detail17trampoline_kernelINS0_14default_configENS1_25partition_config_selectorILNS1_17partition_subalgoE6EN6thrust23THRUST_200600_302600_NS5tupleIxxNS7_9null_typeES9_S9_S9_S9_S9_S9_S9_EENS0_10empty_typeEbEEZZNS1_14partition_implILS5_6ELb0ES3_mNS7_12zip_iteratorINS8_INS7_6detail15normal_iteratorINS7_10device_ptrIxEEEESJ_S9_S9_S9_S9_S9_S9_S9_S9_EEEEPSB_SM_NS0_5tupleIJNSE_INS8_ISJ_NS7_16discard_iteratorINS7_11use_defaultEEES9_S9_S9_S9_S9_S9_S9_S9_EEEESB_EEENSN_IJSM_SM_EEESB_PlJNSF_9not_fun_tINSF_14equal_to_valueISA_EEEEEEE10hipError_tPvRmT3_T4_T5_T6_T7_T9_mT8_P12ihipStream_tbDpT10_ENKUlT_T0_E_clISt17integral_constantIbLb0EES1J_EEDaS1E_S1F_EUlS1E_E_NS1_11comp_targetILNS1_3genE0ELNS1_11target_archE4294967295ELNS1_3gpuE0ELNS1_3repE0EEENS1_30default_config_static_selectorELNS0_4arch9wavefront6targetE0EEEvT1_
		.amdhsa_group_segment_fixed_size 0
		.amdhsa_private_segment_fixed_size 0
		.amdhsa_kernarg_size 152
		.amdhsa_user_sgpr_count 2
		.amdhsa_user_sgpr_dispatch_ptr 0
		.amdhsa_user_sgpr_queue_ptr 0
		.amdhsa_user_sgpr_kernarg_segment_ptr 1
		.amdhsa_user_sgpr_dispatch_id 0
		.amdhsa_user_sgpr_private_segment_size 0
		.amdhsa_wavefront_size32 1
		.amdhsa_uses_dynamic_stack 0
		.amdhsa_enable_private_segment 0
		.amdhsa_system_sgpr_workgroup_id_x 1
		.amdhsa_system_sgpr_workgroup_id_y 0
		.amdhsa_system_sgpr_workgroup_id_z 0
		.amdhsa_system_sgpr_workgroup_info 0
		.amdhsa_system_vgpr_workitem_id 0
		.amdhsa_next_free_vgpr 1
		.amdhsa_next_free_sgpr 1
		.amdhsa_reserve_vcc 0
		.amdhsa_float_round_mode_32 0
		.amdhsa_float_round_mode_16_64 0
		.amdhsa_float_denorm_mode_32 3
		.amdhsa_float_denorm_mode_16_64 3
		.amdhsa_fp16_overflow 0
		.amdhsa_workgroup_processor_mode 1
		.amdhsa_memory_ordered 1
		.amdhsa_forward_progress 1
		.amdhsa_inst_pref_size 0
		.amdhsa_round_robin_scheduling 0
		.amdhsa_exception_fp_ieee_invalid_op 0
		.amdhsa_exception_fp_denorm_src 0
		.amdhsa_exception_fp_ieee_div_zero 0
		.amdhsa_exception_fp_ieee_overflow 0
		.amdhsa_exception_fp_ieee_underflow 0
		.amdhsa_exception_fp_ieee_inexact 0
		.amdhsa_exception_int_div_zero 0
	.end_amdhsa_kernel
	.section	.text._ZN7rocprim17ROCPRIM_400000_NS6detail17trampoline_kernelINS0_14default_configENS1_25partition_config_selectorILNS1_17partition_subalgoE6EN6thrust23THRUST_200600_302600_NS5tupleIxxNS7_9null_typeES9_S9_S9_S9_S9_S9_S9_EENS0_10empty_typeEbEEZZNS1_14partition_implILS5_6ELb0ES3_mNS7_12zip_iteratorINS8_INS7_6detail15normal_iteratorINS7_10device_ptrIxEEEESJ_S9_S9_S9_S9_S9_S9_S9_S9_EEEEPSB_SM_NS0_5tupleIJNSE_INS8_ISJ_NS7_16discard_iteratorINS7_11use_defaultEEES9_S9_S9_S9_S9_S9_S9_S9_EEEESB_EEENSN_IJSM_SM_EEESB_PlJNSF_9not_fun_tINSF_14equal_to_valueISA_EEEEEEE10hipError_tPvRmT3_T4_T5_T6_T7_T9_mT8_P12ihipStream_tbDpT10_ENKUlT_T0_E_clISt17integral_constantIbLb0EES1J_EEDaS1E_S1F_EUlS1E_E_NS1_11comp_targetILNS1_3genE0ELNS1_11target_archE4294967295ELNS1_3gpuE0ELNS1_3repE0EEENS1_30default_config_static_selectorELNS0_4arch9wavefront6targetE0EEEvT1_,"axG",@progbits,_ZN7rocprim17ROCPRIM_400000_NS6detail17trampoline_kernelINS0_14default_configENS1_25partition_config_selectorILNS1_17partition_subalgoE6EN6thrust23THRUST_200600_302600_NS5tupleIxxNS7_9null_typeES9_S9_S9_S9_S9_S9_S9_EENS0_10empty_typeEbEEZZNS1_14partition_implILS5_6ELb0ES3_mNS7_12zip_iteratorINS8_INS7_6detail15normal_iteratorINS7_10device_ptrIxEEEESJ_S9_S9_S9_S9_S9_S9_S9_S9_EEEEPSB_SM_NS0_5tupleIJNSE_INS8_ISJ_NS7_16discard_iteratorINS7_11use_defaultEEES9_S9_S9_S9_S9_S9_S9_S9_EEEESB_EEENSN_IJSM_SM_EEESB_PlJNSF_9not_fun_tINSF_14equal_to_valueISA_EEEEEEE10hipError_tPvRmT3_T4_T5_T6_T7_T9_mT8_P12ihipStream_tbDpT10_ENKUlT_T0_E_clISt17integral_constantIbLb0EES1J_EEDaS1E_S1F_EUlS1E_E_NS1_11comp_targetILNS1_3genE0ELNS1_11target_archE4294967295ELNS1_3gpuE0ELNS1_3repE0EEENS1_30default_config_static_selectorELNS0_4arch9wavefront6targetE0EEEvT1_,comdat
.Lfunc_end1981:
	.size	_ZN7rocprim17ROCPRIM_400000_NS6detail17trampoline_kernelINS0_14default_configENS1_25partition_config_selectorILNS1_17partition_subalgoE6EN6thrust23THRUST_200600_302600_NS5tupleIxxNS7_9null_typeES9_S9_S9_S9_S9_S9_S9_EENS0_10empty_typeEbEEZZNS1_14partition_implILS5_6ELb0ES3_mNS7_12zip_iteratorINS8_INS7_6detail15normal_iteratorINS7_10device_ptrIxEEEESJ_S9_S9_S9_S9_S9_S9_S9_S9_EEEEPSB_SM_NS0_5tupleIJNSE_INS8_ISJ_NS7_16discard_iteratorINS7_11use_defaultEEES9_S9_S9_S9_S9_S9_S9_S9_EEEESB_EEENSN_IJSM_SM_EEESB_PlJNSF_9not_fun_tINSF_14equal_to_valueISA_EEEEEEE10hipError_tPvRmT3_T4_T5_T6_T7_T9_mT8_P12ihipStream_tbDpT10_ENKUlT_T0_E_clISt17integral_constantIbLb0EES1J_EEDaS1E_S1F_EUlS1E_E_NS1_11comp_targetILNS1_3genE0ELNS1_11target_archE4294967295ELNS1_3gpuE0ELNS1_3repE0EEENS1_30default_config_static_selectorELNS0_4arch9wavefront6targetE0EEEvT1_, .Lfunc_end1981-_ZN7rocprim17ROCPRIM_400000_NS6detail17trampoline_kernelINS0_14default_configENS1_25partition_config_selectorILNS1_17partition_subalgoE6EN6thrust23THRUST_200600_302600_NS5tupleIxxNS7_9null_typeES9_S9_S9_S9_S9_S9_S9_EENS0_10empty_typeEbEEZZNS1_14partition_implILS5_6ELb0ES3_mNS7_12zip_iteratorINS8_INS7_6detail15normal_iteratorINS7_10device_ptrIxEEEESJ_S9_S9_S9_S9_S9_S9_S9_S9_EEEEPSB_SM_NS0_5tupleIJNSE_INS8_ISJ_NS7_16discard_iteratorINS7_11use_defaultEEES9_S9_S9_S9_S9_S9_S9_S9_EEEESB_EEENSN_IJSM_SM_EEESB_PlJNSF_9not_fun_tINSF_14equal_to_valueISA_EEEEEEE10hipError_tPvRmT3_T4_T5_T6_T7_T9_mT8_P12ihipStream_tbDpT10_ENKUlT_T0_E_clISt17integral_constantIbLb0EES1J_EEDaS1E_S1F_EUlS1E_E_NS1_11comp_targetILNS1_3genE0ELNS1_11target_archE4294967295ELNS1_3gpuE0ELNS1_3repE0EEENS1_30default_config_static_selectorELNS0_4arch9wavefront6targetE0EEEvT1_
                                        ; -- End function
	.set _ZN7rocprim17ROCPRIM_400000_NS6detail17trampoline_kernelINS0_14default_configENS1_25partition_config_selectorILNS1_17partition_subalgoE6EN6thrust23THRUST_200600_302600_NS5tupleIxxNS7_9null_typeES9_S9_S9_S9_S9_S9_S9_EENS0_10empty_typeEbEEZZNS1_14partition_implILS5_6ELb0ES3_mNS7_12zip_iteratorINS8_INS7_6detail15normal_iteratorINS7_10device_ptrIxEEEESJ_S9_S9_S9_S9_S9_S9_S9_S9_EEEEPSB_SM_NS0_5tupleIJNSE_INS8_ISJ_NS7_16discard_iteratorINS7_11use_defaultEEES9_S9_S9_S9_S9_S9_S9_S9_EEEESB_EEENSN_IJSM_SM_EEESB_PlJNSF_9not_fun_tINSF_14equal_to_valueISA_EEEEEEE10hipError_tPvRmT3_T4_T5_T6_T7_T9_mT8_P12ihipStream_tbDpT10_ENKUlT_T0_E_clISt17integral_constantIbLb0EES1J_EEDaS1E_S1F_EUlS1E_E_NS1_11comp_targetILNS1_3genE0ELNS1_11target_archE4294967295ELNS1_3gpuE0ELNS1_3repE0EEENS1_30default_config_static_selectorELNS0_4arch9wavefront6targetE0EEEvT1_.num_vgpr, 0
	.set _ZN7rocprim17ROCPRIM_400000_NS6detail17trampoline_kernelINS0_14default_configENS1_25partition_config_selectorILNS1_17partition_subalgoE6EN6thrust23THRUST_200600_302600_NS5tupleIxxNS7_9null_typeES9_S9_S9_S9_S9_S9_S9_EENS0_10empty_typeEbEEZZNS1_14partition_implILS5_6ELb0ES3_mNS7_12zip_iteratorINS8_INS7_6detail15normal_iteratorINS7_10device_ptrIxEEEESJ_S9_S9_S9_S9_S9_S9_S9_S9_EEEEPSB_SM_NS0_5tupleIJNSE_INS8_ISJ_NS7_16discard_iteratorINS7_11use_defaultEEES9_S9_S9_S9_S9_S9_S9_S9_EEEESB_EEENSN_IJSM_SM_EEESB_PlJNSF_9not_fun_tINSF_14equal_to_valueISA_EEEEEEE10hipError_tPvRmT3_T4_T5_T6_T7_T9_mT8_P12ihipStream_tbDpT10_ENKUlT_T0_E_clISt17integral_constantIbLb0EES1J_EEDaS1E_S1F_EUlS1E_E_NS1_11comp_targetILNS1_3genE0ELNS1_11target_archE4294967295ELNS1_3gpuE0ELNS1_3repE0EEENS1_30default_config_static_selectorELNS0_4arch9wavefront6targetE0EEEvT1_.num_agpr, 0
	.set _ZN7rocprim17ROCPRIM_400000_NS6detail17trampoline_kernelINS0_14default_configENS1_25partition_config_selectorILNS1_17partition_subalgoE6EN6thrust23THRUST_200600_302600_NS5tupleIxxNS7_9null_typeES9_S9_S9_S9_S9_S9_S9_EENS0_10empty_typeEbEEZZNS1_14partition_implILS5_6ELb0ES3_mNS7_12zip_iteratorINS8_INS7_6detail15normal_iteratorINS7_10device_ptrIxEEEESJ_S9_S9_S9_S9_S9_S9_S9_S9_EEEEPSB_SM_NS0_5tupleIJNSE_INS8_ISJ_NS7_16discard_iteratorINS7_11use_defaultEEES9_S9_S9_S9_S9_S9_S9_S9_EEEESB_EEENSN_IJSM_SM_EEESB_PlJNSF_9not_fun_tINSF_14equal_to_valueISA_EEEEEEE10hipError_tPvRmT3_T4_T5_T6_T7_T9_mT8_P12ihipStream_tbDpT10_ENKUlT_T0_E_clISt17integral_constantIbLb0EES1J_EEDaS1E_S1F_EUlS1E_E_NS1_11comp_targetILNS1_3genE0ELNS1_11target_archE4294967295ELNS1_3gpuE0ELNS1_3repE0EEENS1_30default_config_static_selectorELNS0_4arch9wavefront6targetE0EEEvT1_.numbered_sgpr, 0
	.set _ZN7rocprim17ROCPRIM_400000_NS6detail17trampoline_kernelINS0_14default_configENS1_25partition_config_selectorILNS1_17partition_subalgoE6EN6thrust23THRUST_200600_302600_NS5tupleIxxNS7_9null_typeES9_S9_S9_S9_S9_S9_S9_EENS0_10empty_typeEbEEZZNS1_14partition_implILS5_6ELb0ES3_mNS7_12zip_iteratorINS8_INS7_6detail15normal_iteratorINS7_10device_ptrIxEEEESJ_S9_S9_S9_S9_S9_S9_S9_S9_EEEEPSB_SM_NS0_5tupleIJNSE_INS8_ISJ_NS7_16discard_iteratorINS7_11use_defaultEEES9_S9_S9_S9_S9_S9_S9_S9_EEEESB_EEENSN_IJSM_SM_EEESB_PlJNSF_9not_fun_tINSF_14equal_to_valueISA_EEEEEEE10hipError_tPvRmT3_T4_T5_T6_T7_T9_mT8_P12ihipStream_tbDpT10_ENKUlT_T0_E_clISt17integral_constantIbLb0EES1J_EEDaS1E_S1F_EUlS1E_E_NS1_11comp_targetILNS1_3genE0ELNS1_11target_archE4294967295ELNS1_3gpuE0ELNS1_3repE0EEENS1_30default_config_static_selectorELNS0_4arch9wavefront6targetE0EEEvT1_.num_named_barrier, 0
	.set _ZN7rocprim17ROCPRIM_400000_NS6detail17trampoline_kernelINS0_14default_configENS1_25partition_config_selectorILNS1_17partition_subalgoE6EN6thrust23THRUST_200600_302600_NS5tupleIxxNS7_9null_typeES9_S9_S9_S9_S9_S9_S9_EENS0_10empty_typeEbEEZZNS1_14partition_implILS5_6ELb0ES3_mNS7_12zip_iteratorINS8_INS7_6detail15normal_iteratorINS7_10device_ptrIxEEEESJ_S9_S9_S9_S9_S9_S9_S9_S9_EEEEPSB_SM_NS0_5tupleIJNSE_INS8_ISJ_NS7_16discard_iteratorINS7_11use_defaultEEES9_S9_S9_S9_S9_S9_S9_S9_EEEESB_EEENSN_IJSM_SM_EEESB_PlJNSF_9not_fun_tINSF_14equal_to_valueISA_EEEEEEE10hipError_tPvRmT3_T4_T5_T6_T7_T9_mT8_P12ihipStream_tbDpT10_ENKUlT_T0_E_clISt17integral_constantIbLb0EES1J_EEDaS1E_S1F_EUlS1E_E_NS1_11comp_targetILNS1_3genE0ELNS1_11target_archE4294967295ELNS1_3gpuE0ELNS1_3repE0EEENS1_30default_config_static_selectorELNS0_4arch9wavefront6targetE0EEEvT1_.private_seg_size, 0
	.set _ZN7rocprim17ROCPRIM_400000_NS6detail17trampoline_kernelINS0_14default_configENS1_25partition_config_selectorILNS1_17partition_subalgoE6EN6thrust23THRUST_200600_302600_NS5tupleIxxNS7_9null_typeES9_S9_S9_S9_S9_S9_S9_EENS0_10empty_typeEbEEZZNS1_14partition_implILS5_6ELb0ES3_mNS7_12zip_iteratorINS8_INS7_6detail15normal_iteratorINS7_10device_ptrIxEEEESJ_S9_S9_S9_S9_S9_S9_S9_S9_EEEEPSB_SM_NS0_5tupleIJNSE_INS8_ISJ_NS7_16discard_iteratorINS7_11use_defaultEEES9_S9_S9_S9_S9_S9_S9_S9_EEEESB_EEENSN_IJSM_SM_EEESB_PlJNSF_9not_fun_tINSF_14equal_to_valueISA_EEEEEEE10hipError_tPvRmT3_T4_T5_T6_T7_T9_mT8_P12ihipStream_tbDpT10_ENKUlT_T0_E_clISt17integral_constantIbLb0EES1J_EEDaS1E_S1F_EUlS1E_E_NS1_11comp_targetILNS1_3genE0ELNS1_11target_archE4294967295ELNS1_3gpuE0ELNS1_3repE0EEENS1_30default_config_static_selectorELNS0_4arch9wavefront6targetE0EEEvT1_.uses_vcc, 0
	.set _ZN7rocprim17ROCPRIM_400000_NS6detail17trampoline_kernelINS0_14default_configENS1_25partition_config_selectorILNS1_17partition_subalgoE6EN6thrust23THRUST_200600_302600_NS5tupleIxxNS7_9null_typeES9_S9_S9_S9_S9_S9_S9_EENS0_10empty_typeEbEEZZNS1_14partition_implILS5_6ELb0ES3_mNS7_12zip_iteratorINS8_INS7_6detail15normal_iteratorINS7_10device_ptrIxEEEESJ_S9_S9_S9_S9_S9_S9_S9_S9_EEEEPSB_SM_NS0_5tupleIJNSE_INS8_ISJ_NS7_16discard_iteratorINS7_11use_defaultEEES9_S9_S9_S9_S9_S9_S9_S9_EEEESB_EEENSN_IJSM_SM_EEESB_PlJNSF_9not_fun_tINSF_14equal_to_valueISA_EEEEEEE10hipError_tPvRmT3_T4_T5_T6_T7_T9_mT8_P12ihipStream_tbDpT10_ENKUlT_T0_E_clISt17integral_constantIbLb0EES1J_EEDaS1E_S1F_EUlS1E_E_NS1_11comp_targetILNS1_3genE0ELNS1_11target_archE4294967295ELNS1_3gpuE0ELNS1_3repE0EEENS1_30default_config_static_selectorELNS0_4arch9wavefront6targetE0EEEvT1_.uses_flat_scratch, 0
	.set _ZN7rocprim17ROCPRIM_400000_NS6detail17trampoline_kernelINS0_14default_configENS1_25partition_config_selectorILNS1_17partition_subalgoE6EN6thrust23THRUST_200600_302600_NS5tupleIxxNS7_9null_typeES9_S9_S9_S9_S9_S9_S9_EENS0_10empty_typeEbEEZZNS1_14partition_implILS5_6ELb0ES3_mNS7_12zip_iteratorINS8_INS7_6detail15normal_iteratorINS7_10device_ptrIxEEEESJ_S9_S9_S9_S9_S9_S9_S9_S9_EEEEPSB_SM_NS0_5tupleIJNSE_INS8_ISJ_NS7_16discard_iteratorINS7_11use_defaultEEES9_S9_S9_S9_S9_S9_S9_S9_EEEESB_EEENSN_IJSM_SM_EEESB_PlJNSF_9not_fun_tINSF_14equal_to_valueISA_EEEEEEE10hipError_tPvRmT3_T4_T5_T6_T7_T9_mT8_P12ihipStream_tbDpT10_ENKUlT_T0_E_clISt17integral_constantIbLb0EES1J_EEDaS1E_S1F_EUlS1E_E_NS1_11comp_targetILNS1_3genE0ELNS1_11target_archE4294967295ELNS1_3gpuE0ELNS1_3repE0EEENS1_30default_config_static_selectorELNS0_4arch9wavefront6targetE0EEEvT1_.has_dyn_sized_stack, 0
	.set _ZN7rocprim17ROCPRIM_400000_NS6detail17trampoline_kernelINS0_14default_configENS1_25partition_config_selectorILNS1_17partition_subalgoE6EN6thrust23THRUST_200600_302600_NS5tupleIxxNS7_9null_typeES9_S9_S9_S9_S9_S9_S9_EENS0_10empty_typeEbEEZZNS1_14partition_implILS5_6ELb0ES3_mNS7_12zip_iteratorINS8_INS7_6detail15normal_iteratorINS7_10device_ptrIxEEEESJ_S9_S9_S9_S9_S9_S9_S9_S9_EEEEPSB_SM_NS0_5tupleIJNSE_INS8_ISJ_NS7_16discard_iteratorINS7_11use_defaultEEES9_S9_S9_S9_S9_S9_S9_S9_EEEESB_EEENSN_IJSM_SM_EEESB_PlJNSF_9not_fun_tINSF_14equal_to_valueISA_EEEEEEE10hipError_tPvRmT3_T4_T5_T6_T7_T9_mT8_P12ihipStream_tbDpT10_ENKUlT_T0_E_clISt17integral_constantIbLb0EES1J_EEDaS1E_S1F_EUlS1E_E_NS1_11comp_targetILNS1_3genE0ELNS1_11target_archE4294967295ELNS1_3gpuE0ELNS1_3repE0EEENS1_30default_config_static_selectorELNS0_4arch9wavefront6targetE0EEEvT1_.has_recursion, 0
	.set _ZN7rocprim17ROCPRIM_400000_NS6detail17trampoline_kernelINS0_14default_configENS1_25partition_config_selectorILNS1_17partition_subalgoE6EN6thrust23THRUST_200600_302600_NS5tupleIxxNS7_9null_typeES9_S9_S9_S9_S9_S9_S9_EENS0_10empty_typeEbEEZZNS1_14partition_implILS5_6ELb0ES3_mNS7_12zip_iteratorINS8_INS7_6detail15normal_iteratorINS7_10device_ptrIxEEEESJ_S9_S9_S9_S9_S9_S9_S9_S9_EEEEPSB_SM_NS0_5tupleIJNSE_INS8_ISJ_NS7_16discard_iteratorINS7_11use_defaultEEES9_S9_S9_S9_S9_S9_S9_S9_EEEESB_EEENSN_IJSM_SM_EEESB_PlJNSF_9not_fun_tINSF_14equal_to_valueISA_EEEEEEE10hipError_tPvRmT3_T4_T5_T6_T7_T9_mT8_P12ihipStream_tbDpT10_ENKUlT_T0_E_clISt17integral_constantIbLb0EES1J_EEDaS1E_S1F_EUlS1E_E_NS1_11comp_targetILNS1_3genE0ELNS1_11target_archE4294967295ELNS1_3gpuE0ELNS1_3repE0EEENS1_30default_config_static_selectorELNS0_4arch9wavefront6targetE0EEEvT1_.has_indirect_call, 0
	.section	.AMDGPU.csdata,"",@progbits
; Kernel info:
; codeLenInByte = 0
; TotalNumSgprs: 0
; NumVgprs: 0
; ScratchSize: 0
; MemoryBound: 0
; FloatMode: 240
; IeeeMode: 1
; LDSByteSize: 0 bytes/workgroup (compile time only)
; SGPRBlocks: 0
; VGPRBlocks: 0
; NumSGPRsForWavesPerEU: 1
; NumVGPRsForWavesPerEU: 1
; Occupancy: 16
; WaveLimiterHint : 0
; COMPUTE_PGM_RSRC2:SCRATCH_EN: 0
; COMPUTE_PGM_RSRC2:USER_SGPR: 2
; COMPUTE_PGM_RSRC2:TRAP_HANDLER: 0
; COMPUTE_PGM_RSRC2:TGID_X_EN: 1
; COMPUTE_PGM_RSRC2:TGID_Y_EN: 0
; COMPUTE_PGM_RSRC2:TGID_Z_EN: 0
; COMPUTE_PGM_RSRC2:TIDIG_COMP_CNT: 0
	.section	.text._ZN7rocprim17ROCPRIM_400000_NS6detail17trampoline_kernelINS0_14default_configENS1_25partition_config_selectorILNS1_17partition_subalgoE6EN6thrust23THRUST_200600_302600_NS5tupleIxxNS7_9null_typeES9_S9_S9_S9_S9_S9_S9_EENS0_10empty_typeEbEEZZNS1_14partition_implILS5_6ELb0ES3_mNS7_12zip_iteratorINS8_INS7_6detail15normal_iteratorINS7_10device_ptrIxEEEESJ_S9_S9_S9_S9_S9_S9_S9_S9_EEEEPSB_SM_NS0_5tupleIJNSE_INS8_ISJ_NS7_16discard_iteratorINS7_11use_defaultEEES9_S9_S9_S9_S9_S9_S9_S9_EEEESB_EEENSN_IJSM_SM_EEESB_PlJNSF_9not_fun_tINSF_14equal_to_valueISA_EEEEEEE10hipError_tPvRmT3_T4_T5_T6_T7_T9_mT8_P12ihipStream_tbDpT10_ENKUlT_T0_E_clISt17integral_constantIbLb0EES1J_EEDaS1E_S1F_EUlS1E_E_NS1_11comp_targetILNS1_3genE5ELNS1_11target_archE942ELNS1_3gpuE9ELNS1_3repE0EEENS1_30default_config_static_selectorELNS0_4arch9wavefront6targetE0EEEvT1_,"axG",@progbits,_ZN7rocprim17ROCPRIM_400000_NS6detail17trampoline_kernelINS0_14default_configENS1_25partition_config_selectorILNS1_17partition_subalgoE6EN6thrust23THRUST_200600_302600_NS5tupleIxxNS7_9null_typeES9_S9_S9_S9_S9_S9_S9_EENS0_10empty_typeEbEEZZNS1_14partition_implILS5_6ELb0ES3_mNS7_12zip_iteratorINS8_INS7_6detail15normal_iteratorINS7_10device_ptrIxEEEESJ_S9_S9_S9_S9_S9_S9_S9_S9_EEEEPSB_SM_NS0_5tupleIJNSE_INS8_ISJ_NS7_16discard_iteratorINS7_11use_defaultEEES9_S9_S9_S9_S9_S9_S9_S9_EEEESB_EEENSN_IJSM_SM_EEESB_PlJNSF_9not_fun_tINSF_14equal_to_valueISA_EEEEEEE10hipError_tPvRmT3_T4_T5_T6_T7_T9_mT8_P12ihipStream_tbDpT10_ENKUlT_T0_E_clISt17integral_constantIbLb0EES1J_EEDaS1E_S1F_EUlS1E_E_NS1_11comp_targetILNS1_3genE5ELNS1_11target_archE942ELNS1_3gpuE9ELNS1_3repE0EEENS1_30default_config_static_selectorELNS0_4arch9wavefront6targetE0EEEvT1_,comdat
	.protected	_ZN7rocprim17ROCPRIM_400000_NS6detail17trampoline_kernelINS0_14default_configENS1_25partition_config_selectorILNS1_17partition_subalgoE6EN6thrust23THRUST_200600_302600_NS5tupleIxxNS7_9null_typeES9_S9_S9_S9_S9_S9_S9_EENS0_10empty_typeEbEEZZNS1_14partition_implILS5_6ELb0ES3_mNS7_12zip_iteratorINS8_INS7_6detail15normal_iteratorINS7_10device_ptrIxEEEESJ_S9_S9_S9_S9_S9_S9_S9_S9_EEEEPSB_SM_NS0_5tupleIJNSE_INS8_ISJ_NS7_16discard_iteratorINS7_11use_defaultEEES9_S9_S9_S9_S9_S9_S9_S9_EEEESB_EEENSN_IJSM_SM_EEESB_PlJNSF_9not_fun_tINSF_14equal_to_valueISA_EEEEEEE10hipError_tPvRmT3_T4_T5_T6_T7_T9_mT8_P12ihipStream_tbDpT10_ENKUlT_T0_E_clISt17integral_constantIbLb0EES1J_EEDaS1E_S1F_EUlS1E_E_NS1_11comp_targetILNS1_3genE5ELNS1_11target_archE942ELNS1_3gpuE9ELNS1_3repE0EEENS1_30default_config_static_selectorELNS0_4arch9wavefront6targetE0EEEvT1_ ; -- Begin function _ZN7rocprim17ROCPRIM_400000_NS6detail17trampoline_kernelINS0_14default_configENS1_25partition_config_selectorILNS1_17partition_subalgoE6EN6thrust23THRUST_200600_302600_NS5tupleIxxNS7_9null_typeES9_S9_S9_S9_S9_S9_S9_EENS0_10empty_typeEbEEZZNS1_14partition_implILS5_6ELb0ES3_mNS7_12zip_iteratorINS8_INS7_6detail15normal_iteratorINS7_10device_ptrIxEEEESJ_S9_S9_S9_S9_S9_S9_S9_S9_EEEEPSB_SM_NS0_5tupleIJNSE_INS8_ISJ_NS7_16discard_iteratorINS7_11use_defaultEEES9_S9_S9_S9_S9_S9_S9_S9_EEEESB_EEENSN_IJSM_SM_EEESB_PlJNSF_9not_fun_tINSF_14equal_to_valueISA_EEEEEEE10hipError_tPvRmT3_T4_T5_T6_T7_T9_mT8_P12ihipStream_tbDpT10_ENKUlT_T0_E_clISt17integral_constantIbLb0EES1J_EEDaS1E_S1F_EUlS1E_E_NS1_11comp_targetILNS1_3genE5ELNS1_11target_archE942ELNS1_3gpuE9ELNS1_3repE0EEENS1_30default_config_static_selectorELNS0_4arch9wavefront6targetE0EEEvT1_
	.globl	_ZN7rocprim17ROCPRIM_400000_NS6detail17trampoline_kernelINS0_14default_configENS1_25partition_config_selectorILNS1_17partition_subalgoE6EN6thrust23THRUST_200600_302600_NS5tupleIxxNS7_9null_typeES9_S9_S9_S9_S9_S9_S9_EENS0_10empty_typeEbEEZZNS1_14partition_implILS5_6ELb0ES3_mNS7_12zip_iteratorINS8_INS7_6detail15normal_iteratorINS7_10device_ptrIxEEEESJ_S9_S9_S9_S9_S9_S9_S9_S9_EEEEPSB_SM_NS0_5tupleIJNSE_INS8_ISJ_NS7_16discard_iteratorINS7_11use_defaultEEES9_S9_S9_S9_S9_S9_S9_S9_EEEESB_EEENSN_IJSM_SM_EEESB_PlJNSF_9not_fun_tINSF_14equal_to_valueISA_EEEEEEE10hipError_tPvRmT3_T4_T5_T6_T7_T9_mT8_P12ihipStream_tbDpT10_ENKUlT_T0_E_clISt17integral_constantIbLb0EES1J_EEDaS1E_S1F_EUlS1E_E_NS1_11comp_targetILNS1_3genE5ELNS1_11target_archE942ELNS1_3gpuE9ELNS1_3repE0EEENS1_30default_config_static_selectorELNS0_4arch9wavefront6targetE0EEEvT1_
	.p2align	8
	.type	_ZN7rocprim17ROCPRIM_400000_NS6detail17trampoline_kernelINS0_14default_configENS1_25partition_config_selectorILNS1_17partition_subalgoE6EN6thrust23THRUST_200600_302600_NS5tupleIxxNS7_9null_typeES9_S9_S9_S9_S9_S9_S9_EENS0_10empty_typeEbEEZZNS1_14partition_implILS5_6ELb0ES3_mNS7_12zip_iteratorINS8_INS7_6detail15normal_iteratorINS7_10device_ptrIxEEEESJ_S9_S9_S9_S9_S9_S9_S9_S9_EEEEPSB_SM_NS0_5tupleIJNSE_INS8_ISJ_NS7_16discard_iteratorINS7_11use_defaultEEES9_S9_S9_S9_S9_S9_S9_S9_EEEESB_EEENSN_IJSM_SM_EEESB_PlJNSF_9not_fun_tINSF_14equal_to_valueISA_EEEEEEE10hipError_tPvRmT3_T4_T5_T6_T7_T9_mT8_P12ihipStream_tbDpT10_ENKUlT_T0_E_clISt17integral_constantIbLb0EES1J_EEDaS1E_S1F_EUlS1E_E_NS1_11comp_targetILNS1_3genE5ELNS1_11target_archE942ELNS1_3gpuE9ELNS1_3repE0EEENS1_30default_config_static_selectorELNS0_4arch9wavefront6targetE0EEEvT1_,@function
_ZN7rocprim17ROCPRIM_400000_NS6detail17trampoline_kernelINS0_14default_configENS1_25partition_config_selectorILNS1_17partition_subalgoE6EN6thrust23THRUST_200600_302600_NS5tupleIxxNS7_9null_typeES9_S9_S9_S9_S9_S9_S9_EENS0_10empty_typeEbEEZZNS1_14partition_implILS5_6ELb0ES3_mNS7_12zip_iteratorINS8_INS7_6detail15normal_iteratorINS7_10device_ptrIxEEEESJ_S9_S9_S9_S9_S9_S9_S9_S9_EEEEPSB_SM_NS0_5tupleIJNSE_INS8_ISJ_NS7_16discard_iteratorINS7_11use_defaultEEES9_S9_S9_S9_S9_S9_S9_S9_EEEESB_EEENSN_IJSM_SM_EEESB_PlJNSF_9not_fun_tINSF_14equal_to_valueISA_EEEEEEE10hipError_tPvRmT3_T4_T5_T6_T7_T9_mT8_P12ihipStream_tbDpT10_ENKUlT_T0_E_clISt17integral_constantIbLb0EES1J_EEDaS1E_S1F_EUlS1E_E_NS1_11comp_targetILNS1_3genE5ELNS1_11target_archE942ELNS1_3gpuE9ELNS1_3repE0EEENS1_30default_config_static_selectorELNS0_4arch9wavefront6targetE0EEEvT1_: ; @_ZN7rocprim17ROCPRIM_400000_NS6detail17trampoline_kernelINS0_14default_configENS1_25partition_config_selectorILNS1_17partition_subalgoE6EN6thrust23THRUST_200600_302600_NS5tupleIxxNS7_9null_typeES9_S9_S9_S9_S9_S9_S9_EENS0_10empty_typeEbEEZZNS1_14partition_implILS5_6ELb0ES3_mNS7_12zip_iteratorINS8_INS7_6detail15normal_iteratorINS7_10device_ptrIxEEEESJ_S9_S9_S9_S9_S9_S9_S9_S9_EEEEPSB_SM_NS0_5tupleIJNSE_INS8_ISJ_NS7_16discard_iteratorINS7_11use_defaultEEES9_S9_S9_S9_S9_S9_S9_S9_EEEESB_EEENSN_IJSM_SM_EEESB_PlJNSF_9not_fun_tINSF_14equal_to_valueISA_EEEEEEE10hipError_tPvRmT3_T4_T5_T6_T7_T9_mT8_P12ihipStream_tbDpT10_ENKUlT_T0_E_clISt17integral_constantIbLb0EES1J_EEDaS1E_S1F_EUlS1E_E_NS1_11comp_targetILNS1_3genE5ELNS1_11target_archE942ELNS1_3gpuE9ELNS1_3repE0EEENS1_30default_config_static_selectorELNS0_4arch9wavefront6targetE0EEEvT1_
; %bb.0:
	.section	.rodata,"a",@progbits
	.p2align	6, 0x0
	.amdhsa_kernel _ZN7rocprim17ROCPRIM_400000_NS6detail17trampoline_kernelINS0_14default_configENS1_25partition_config_selectorILNS1_17partition_subalgoE6EN6thrust23THRUST_200600_302600_NS5tupleIxxNS7_9null_typeES9_S9_S9_S9_S9_S9_S9_EENS0_10empty_typeEbEEZZNS1_14partition_implILS5_6ELb0ES3_mNS7_12zip_iteratorINS8_INS7_6detail15normal_iteratorINS7_10device_ptrIxEEEESJ_S9_S9_S9_S9_S9_S9_S9_S9_EEEEPSB_SM_NS0_5tupleIJNSE_INS8_ISJ_NS7_16discard_iteratorINS7_11use_defaultEEES9_S9_S9_S9_S9_S9_S9_S9_EEEESB_EEENSN_IJSM_SM_EEESB_PlJNSF_9not_fun_tINSF_14equal_to_valueISA_EEEEEEE10hipError_tPvRmT3_T4_T5_T6_T7_T9_mT8_P12ihipStream_tbDpT10_ENKUlT_T0_E_clISt17integral_constantIbLb0EES1J_EEDaS1E_S1F_EUlS1E_E_NS1_11comp_targetILNS1_3genE5ELNS1_11target_archE942ELNS1_3gpuE9ELNS1_3repE0EEENS1_30default_config_static_selectorELNS0_4arch9wavefront6targetE0EEEvT1_
		.amdhsa_group_segment_fixed_size 0
		.amdhsa_private_segment_fixed_size 0
		.amdhsa_kernarg_size 152
		.amdhsa_user_sgpr_count 2
		.amdhsa_user_sgpr_dispatch_ptr 0
		.amdhsa_user_sgpr_queue_ptr 0
		.amdhsa_user_sgpr_kernarg_segment_ptr 1
		.amdhsa_user_sgpr_dispatch_id 0
		.amdhsa_user_sgpr_private_segment_size 0
		.amdhsa_wavefront_size32 1
		.amdhsa_uses_dynamic_stack 0
		.amdhsa_enable_private_segment 0
		.amdhsa_system_sgpr_workgroup_id_x 1
		.amdhsa_system_sgpr_workgroup_id_y 0
		.amdhsa_system_sgpr_workgroup_id_z 0
		.amdhsa_system_sgpr_workgroup_info 0
		.amdhsa_system_vgpr_workitem_id 0
		.amdhsa_next_free_vgpr 1
		.amdhsa_next_free_sgpr 1
		.amdhsa_reserve_vcc 0
		.amdhsa_float_round_mode_32 0
		.amdhsa_float_round_mode_16_64 0
		.amdhsa_float_denorm_mode_32 3
		.amdhsa_float_denorm_mode_16_64 3
		.amdhsa_fp16_overflow 0
		.amdhsa_workgroup_processor_mode 1
		.amdhsa_memory_ordered 1
		.amdhsa_forward_progress 1
		.amdhsa_inst_pref_size 0
		.amdhsa_round_robin_scheduling 0
		.amdhsa_exception_fp_ieee_invalid_op 0
		.amdhsa_exception_fp_denorm_src 0
		.amdhsa_exception_fp_ieee_div_zero 0
		.amdhsa_exception_fp_ieee_overflow 0
		.amdhsa_exception_fp_ieee_underflow 0
		.amdhsa_exception_fp_ieee_inexact 0
		.amdhsa_exception_int_div_zero 0
	.end_amdhsa_kernel
	.section	.text._ZN7rocprim17ROCPRIM_400000_NS6detail17trampoline_kernelINS0_14default_configENS1_25partition_config_selectorILNS1_17partition_subalgoE6EN6thrust23THRUST_200600_302600_NS5tupleIxxNS7_9null_typeES9_S9_S9_S9_S9_S9_S9_EENS0_10empty_typeEbEEZZNS1_14partition_implILS5_6ELb0ES3_mNS7_12zip_iteratorINS8_INS7_6detail15normal_iteratorINS7_10device_ptrIxEEEESJ_S9_S9_S9_S9_S9_S9_S9_S9_EEEEPSB_SM_NS0_5tupleIJNSE_INS8_ISJ_NS7_16discard_iteratorINS7_11use_defaultEEES9_S9_S9_S9_S9_S9_S9_S9_EEEESB_EEENSN_IJSM_SM_EEESB_PlJNSF_9not_fun_tINSF_14equal_to_valueISA_EEEEEEE10hipError_tPvRmT3_T4_T5_T6_T7_T9_mT8_P12ihipStream_tbDpT10_ENKUlT_T0_E_clISt17integral_constantIbLb0EES1J_EEDaS1E_S1F_EUlS1E_E_NS1_11comp_targetILNS1_3genE5ELNS1_11target_archE942ELNS1_3gpuE9ELNS1_3repE0EEENS1_30default_config_static_selectorELNS0_4arch9wavefront6targetE0EEEvT1_,"axG",@progbits,_ZN7rocprim17ROCPRIM_400000_NS6detail17trampoline_kernelINS0_14default_configENS1_25partition_config_selectorILNS1_17partition_subalgoE6EN6thrust23THRUST_200600_302600_NS5tupleIxxNS7_9null_typeES9_S9_S9_S9_S9_S9_S9_EENS0_10empty_typeEbEEZZNS1_14partition_implILS5_6ELb0ES3_mNS7_12zip_iteratorINS8_INS7_6detail15normal_iteratorINS7_10device_ptrIxEEEESJ_S9_S9_S9_S9_S9_S9_S9_S9_EEEEPSB_SM_NS0_5tupleIJNSE_INS8_ISJ_NS7_16discard_iteratorINS7_11use_defaultEEES9_S9_S9_S9_S9_S9_S9_S9_EEEESB_EEENSN_IJSM_SM_EEESB_PlJNSF_9not_fun_tINSF_14equal_to_valueISA_EEEEEEE10hipError_tPvRmT3_T4_T5_T6_T7_T9_mT8_P12ihipStream_tbDpT10_ENKUlT_T0_E_clISt17integral_constantIbLb0EES1J_EEDaS1E_S1F_EUlS1E_E_NS1_11comp_targetILNS1_3genE5ELNS1_11target_archE942ELNS1_3gpuE9ELNS1_3repE0EEENS1_30default_config_static_selectorELNS0_4arch9wavefront6targetE0EEEvT1_,comdat
.Lfunc_end1982:
	.size	_ZN7rocprim17ROCPRIM_400000_NS6detail17trampoline_kernelINS0_14default_configENS1_25partition_config_selectorILNS1_17partition_subalgoE6EN6thrust23THRUST_200600_302600_NS5tupleIxxNS7_9null_typeES9_S9_S9_S9_S9_S9_S9_EENS0_10empty_typeEbEEZZNS1_14partition_implILS5_6ELb0ES3_mNS7_12zip_iteratorINS8_INS7_6detail15normal_iteratorINS7_10device_ptrIxEEEESJ_S9_S9_S9_S9_S9_S9_S9_S9_EEEEPSB_SM_NS0_5tupleIJNSE_INS8_ISJ_NS7_16discard_iteratorINS7_11use_defaultEEES9_S9_S9_S9_S9_S9_S9_S9_EEEESB_EEENSN_IJSM_SM_EEESB_PlJNSF_9not_fun_tINSF_14equal_to_valueISA_EEEEEEE10hipError_tPvRmT3_T4_T5_T6_T7_T9_mT8_P12ihipStream_tbDpT10_ENKUlT_T0_E_clISt17integral_constantIbLb0EES1J_EEDaS1E_S1F_EUlS1E_E_NS1_11comp_targetILNS1_3genE5ELNS1_11target_archE942ELNS1_3gpuE9ELNS1_3repE0EEENS1_30default_config_static_selectorELNS0_4arch9wavefront6targetE0EEEvT1_, .Lfunc_end1982-_ZN7rocprim17ROCPRIM_400000_NS6detail17trampoline_kernelINS0_14default_configENS1_25partition_config_selectorILNS1_17partition_subalgoE6EN6thrust23THRUST_200600_302600_NS5tupleIxxNS7_9null_typeES9_S9_S9_S9_S9_S9_S9_EENS0_10empty_typeEbEEZZNS1_14partition_implILS5_6ELb0ES3_mNS7_12zip_iteratorINS8_INS7_6detail15normal_iteratorINS7_10device_ptrIxEEEESJ_S9_S9_S9_S9_S9_S9_S9_S9_EEEEPSB_SM_NS0_5tupleIJNSE_INS8_ISJ_NS7_16discard_iteratorINS7_11use_defaultEEES9_S9_S9_S9_S9_S9_S9_S9_EEEESB_EEENSN_IJSM_SM_EEESB_PlJNSF_9not_fun_tINSF_14equal_to_valueISA_EEEEEEE10hipError_tPvRmT3_T4_T5_T6_T7_T9_mT8_P12ihipStream_tbDpT10_ENKUlT_T0_E_clISt17integral_constantIbLb0EES1J_EEDaS1E_S1F_EUlS1E_E_NS1_11comp_targetILNS1_3genE5ELNS1_11target_archE942ELNS1_3gpuE9ELNS1_3repE0EEENS1_30default_config_static_selectorELNS0_4arch9wavefront6targetE0EEEvT1_
                                        ; -- End function
	.set _ZN7rocprim17ROCPRIM_400000_NS6detail17trampoline_kernelINS0_14default_configENS1_25partition_config_selectorILNS1_17partition_subalgoE6EN6thrust23THRUST_200600_302600_NS5tupleIxxNS7_9null_typeES9_S9_S9_S9_S9_S9_S9_EENS0_10empty_typeEbEEZZNS1_14partition_implILS5_6ELb0ES3_mNS7_12zip_iteratorINS8_INS7_6detail15normal_iteratorINS7_10device_ptrIxEEEESJ_S9_S9_S9_S9_S9_S9_S9_S9_EEEEPSB_SM_NS0_5tupleIJNSE_INS8_ISJ_NS7_16discard_iteratorINS7_11use_defaultEEES9_S9_S9_S9_S9_S9_S9_S9_EEEESB_EEENSN_IJSM_SM_EEESB_PlJNSF_9not_fun_tINSF_14equal_to_valueISA_EEEEEEE10hipError_tPvRmT3_T4_T5_T6_T7_T9_mT8_P12ihipStream_tbDpT10_ENKUlT_T0_E_clISt17integral_constantIbLb0EES1J_EEDaS1E_S1F_EUlS1E_E_NS1_11comp_targetILNS1_3genE5ELNS1_11target_archE942ELNS1_3gpuE9ELNS1_3repE0EEENS1_30default_config_static_selectorELNS0_4arch9wavefront6targetE0EEEvT1_.num_vgpr, 0
	.set _ZN7rocprim17ROCPRIM_400000_NS6detail17trampoline_kernelINS0_14default_configENS1_25partition_config_selectorILNS1_17partition_subalgoE6EN6thrust23THRUST_200600_302600_NS5tupleIxxNS7_9null_typeES9_S9_S9_S9_S9_S9_S9_EENS0_10empty_typeEbEEZZNS1_14partition_implILS5_6ELb0ES3_mNS7_12zip_iteratorINS8_INS7_6detail15normal_iteratorINS7_10device_ptrIxEEEESJ_S9_S9_S9_S9_S9_S9_S9_S9_EEEEPSB_SM_NS0_5tupleIJNSE_INS8_ISJ_NS7_16discard_iteratorINS7_11use_defaultEEES9_S9_S9_S9_S9_S9_S9_S9_EEEESB_EEENSN_IJSM_SM_EEESB_PlJNSF_9not_fun_tINSF_14equal_to_valueISA_EEEEEEE10hipError_tPvRmT3_T4_T5_T6_T7_T9_mT8_P12ihipStream_tbDpT10_ENKUlT_T0_E_clISt17integral_constantIbLb0EES1J_EEDaS1E_S1F_EUlS1E_E_NS1_11comp_targetILNS1_3genE5ELNS1_11target_archE942ELNS1_3gpuE9ELNS1_3repE0EEENS1_30default_config_static_selectorELNS0_4arch9wavefront6targetE0EEEvT1_.num_agpr, 0
	.set _ZN7rocprim17ROCPRIM_400000_NS6detail17trampoline_kernelINS0_14default_configENS1_25partition_config_selectorILNS1_17partition_subalgoE6EN6thrust23THRUST_200600_302600_NS5tupleIxxNS7_9null_typeES9_S9_S9_S9_S9_S9_S9_EENS0_10empty_typeEbEEZZNS1_14partition_implILS5_6ELb0ES3_mNS7_12zip_iteratorINS8_INS7_6detail15normal_iteratorINS7_10device_ptrIxEEEESJ_S9_S9_S9_S9_S9_S9_S9_S9_EEEEPSB_SM_NS0_5tupleIJNSE_INS8_ISJ_NS7_16discard_iteratorINS7_11use_defaultEEES9_S9_S9_S9_S9_S9_S9_S9_EEEESB_EEENSN_IJSM_SM_EEESB_PlJNSF_9not_fun_tINSF_14equal_to_valueISA_EEEEEEE10hipError_tPvRmT3_T4_T5_T6_T7_T9_mT8_P12ihipStream_tbDpT10_ENKUlT_T0_E_clISt17integral_constantIbLb0EES1J_EEDaS1E_S1F_EUlS1E_E_NS1_11comp_targetILNS1_3genE5ELNS1_11target_archE942ELNS1_3gpuE9ELNS1_3repE0EEENS1_30default_config_static_selectorELNS0_4arch9wavefront6targetE0EEEvT1_.numbered_sgpr, 0
	.set _ZN7rocprim17ROCPRIM_400000_NS6detail17trampoline_kernelINS0_14default_configENS1_25partition_config_selectorILNS1_17partition_subalgoE6EN6thrust23THRUST_200600_302600_NS5tupleIxxNS7_9null_typeES9_S9_S9_S9_S9_S9_S9_EENS0_10empty_typeEbEEZZNS1_14partition_implILS5_6ELb0ES3_mNS7_12zip_iteratorINS8_INS7_6detail15normal_iteratorINS7_10device_ptrIxEEEESJ_S9_S9_S9_S9_S9_S9_S9_S9_EEEEPSB_SM_NS0_5tupleIJNSE_INS8_ISJ_NS7_16discard_iteratorINS7_11use_defaultEEES9_S9_S9_S9_S9_S9_S9_S9_EEEESB_EEENSN_IJSM_SM_EEESB_PlJNSF_9not_fun_tINSF_14equal_to_valueISA_EEEEEEE10hipError_tPvRmT3_T4_T5_T6_T7_T9_mT8_P12ihipStream_tbDpT10_ENKUlT_T0_E_clISt17integral_constantIbLb0EES1J_EEDaS1E_S1F_EUlS1E_E_NS1_11comp_targetILNS1_3genE5ELNS1_11target_archE942ELNS1_3gpuE9ELNS1_3repE0EEENS1_30default_config_static_selectorELNS0_4arch9wavefront6targetE0EEEvT1_.num_named_barrier, 0
	.set _ZN7rocprim17ROCPRIM_400000_NS6detail17trampoline_kernelINS0_14default_configENS1_25partition_config_selectorILNS1_17partition_subalgoE6EN6thrust23THRUST_200600_302600_NS5tupleIxxNS7_9null_typeES9_S9_S9_S9_S9_S9_S9_EENS0_10empty_typeEbEEZZNS1_14partition_implILS5_6ELb0ES3_mNS7_12zip_iteratorINS8_INS7_6detail15normal_iteratorINS7_10device_ptrIxEEEESJ_S9_S9_S9_S9_S9_S9_S9_S9_EEEEPSB_SM_NS0_5tupleIJNSE_INS8_ISJ_NS7_16discard_iteratorINS7_11use_defaultEEES9_S9_S9_S9_S9_S9_S9_S9_EEEESB_EEENSN_IJSM_SM_EEESB_PlJNSF_9not_fun_tINSF_14equal_to_valueISA_EEEEEEE10hipError_tPvRmT3_T4_T5_T6_T7_T9_mT8_P12ihipStream_tbDpT10_ENKUlT_T0_E_clISt17integral_constantIbLb0EES1J_EEDaS1E_S1F_EUlS1E_E_NS1_11comp_targetILNS1_3genE5ELNS1_11target_archE942ELNS1_3gpuE9ELNS1_3repE0EEENS1_30default_config_static_selectorELNS0_4arch9wavefront6targetE0EEEvT1_.private_seg_size, 0
	.set _ZN7rocprim17ROCPRIM_400000_NS6detail17trampoline_kernelINS0_14default_configENS1_25partition_config_selectorILNS1_17partition_subalgoE6EN6thrust23THRUST_200600_302600_NS5tupleIxxNS7_9null_typeES9_S9_S9_S9_S9_S9_S9_EENS0_10empty_typeEbEEZZNS1_14partition_implILS5_6ELb0ES3_mNS7_12zip_iteratorINS8_INS7_6detail15normal_iteratorINS7_10device_ptrIxEEEESJ_S9_S9_S9_S9_S9_S9_S9_S9_EEEEPSB_SM_NS0_5tupleIJNSE_INS8_ISJ_NS7_16discard_iteratorINS7_11use_defaultEEES9_S9_S9_S9_S9_S9_S9_S9_EEEESB_EEENSN_IJSM_SM_EEESB_PlJNSF_9not_fun_tINSF_14equal_to_valueISA_EEEEEEE10hipError_tPvRmT3_T4_T5_T6_T7_T9_mT8_P12ihipStream_tbDpT10_ENKUlT_T0_E_clISt17integral_constantIbLb0EES1J_EEDaS1E_S1F_EUlS1E_E_NS1_11comp_targetILNS1_3genE5ELNS1_11target_archE942ELNS1_3gpuE9ELNS1_3repE0EEENS1_30default_config_static_selectorELNS0_4arch9wavefront6targetE0EEEvT1_.uses_vcc, 0
	.set _ZN7rocprim17ROCPRIM_400000_NS6detail17trampoline_kernelINS0_14default_configENS1_25partition_config_selectorILNS1_17partition_subalgoE6EN6thrust23THRUST_200600_302600_NS5tupleIxxNS7_9null_typeES9_S9_S9_S9_S9_S9_S9_EENS0_10empty_typeEbEEZZNS1_14partition_implILS5_6ELb0ES3_mNS7_12zip_iteratorINS8_INS7_6detail15normal_iteratorINS7_10device_ptrIxEEEESJ_S9_S9_S9_S9_S9_S9_S9_S9_EEEEPSB_SM_NS0_5tupleIJNSE_INS8_ISJ_NS7_16discard_iteratorINS7_11use_defaultEEES9_S9_S9_S9_S9_S9_S9_S9_EEEESB_EEENSN_IJSM_SM_EEESB_PlJNSF_9not_fun_tINSF_14equal_to_valueISA_EEEEEEE10hipError_tPvRmT3_T4_T5_T6_T7_T9_mT8_P12ihipStream_tbDpT10_ENKUlT_T0_E_clISt17integral_constantIbLb0EES1J_EEDaS1E_S1F_EUlS1E_E_NS1_11comp_targetILNS1_3genE5ELNS1_11target_archE942ELNS1_3gpuE9ELNS1_3repE0EEENS1_30default_config_static_selectorELNS0_4arch9wavefront6targetE0EEEvT1_.uses_flat_scratch, 0
	.set _ZN7rocprim17ROCPRIM_400000_NS6detail17trampoline_kernelINS0_14default_configENS1_25partition_config_selectorILNS1_17partition_subalgoE6EN6thrust23THRUST_200600_302600_NS5tupleIxxNS7_9null_typeES9_S9_S9_S9_S9_S9_S9_EENS0_10empty_typeEbEEZZNS1_14partition_implILS5_6ELb0ES3_mNS7_12zip_iteratorINS8_INS7_6detail15normal_iteratorINS7_10device_ptrIxEEEESJ_S9_S9_S9_S9_S9_S9_S9_S9_EEEEPSB_SM_NS0_5tupleIJNSE_INS8_ISJ_NS7_16discard_iteratorINS7_11use_defaultEEES9_S9_S9_S9_S9_S9_S9_S9_EEEESB_EEENSN_IJSM_SM_EEESB_PlJNSF_9not_fun_tINSF_14equal_to_valueISA_EEEEEEE10hipError_tPvRmT3_T4_T5_T6_T7_T9_mT8_P12ihipStream_tbDpT10_ENKUlT_T0_E_clISt17integral_constantIbLb0EES1J_EEDaS1E_S1F_EUlS1E_E_NS1_11comp_targetILNS1_3genE5ELNS1_11target_archE942ELNS1_3gpuE9ELNS1_3repE0EEENS1_30default_config_static_selectorELNS0_4arch9wavefront6targetE0EEEvT1_.has_dyn_sized_stack, 0
	.set _ZN7rocprim17ROCPRIM_400000_NS6detail17trampoline_kernelINS0_14default_configENS1_25partition_config_selectorILNS1_17partition_subalgoE6EN6thrust23THRUST_200600_302600_NS5tupleIxxNS7_9null_typeES9_S9_S9_S9_S9_S9_S9_EENS0_10empty_typeEbEEZZNS1_14partition_implILS5_6ELb0ES3_mNS7_12zip_iteratorINS8_INS7_6detail15normal_iteratorINS7_10device_ptrIxEEEESJ_S9_S9_S9_S9_S9_S9_S9_S9_EEEEPSB_SM_NS0_5tupleIJNSE_INS8_ISJ_NS7_16discard_iteratorINS7_11use_defaultEEES9_S9_S9_S9_S9_S9_S9_S9_EEEESB_EEENSN_IJSM_SM_EEESB_PlJNSF_9not_fun_tINSF_14equal_to_valueISA_EEEEEEE10hipError_tPvRmT3_T4_T5_T6_T7_T9_mT8_P12ihipStream_tbDpT10_ENKUlT_T0_E_clISt17integral_constantIbLb0EES1J_EEDaS1E_S1F_EUlS1E_E_NS1_11comp_targetILNS1_3genE5ELNS1_11target_archE942ELNS1_3gpuE9ELNS1_3repE0EEENS1_30default_config_static_selectorELNS0_4arch9wavefront6targetE0EEEvT1_.has_recursion, 0
	.set _ZN7rocprim17ROCPRIM_400000_NS6detail17trampoline_kernelINS0_14default_configENS1_25partition_config_selectorILNS1_17partition_subalgoE6EN6thrust23THRUST_200600_302600_NS5tupleIxxNS7_9null_typeES9_S9_S9_S9_S9_S9_S9_EENS0_10empty_typeEbEEZZNS1_14partition_implILS5_6ELb0ES3_mNS7_12zip_iteratorINS8_INS7_6detail15normal_iteratorINS7_10device_ptrIxEEEESJ_S9_S9_S9_S9_S9_S9_S9_S9_EEEEPSB_SM_NS0_5tupleIJNSE_INS8_ISJ_NS7_16discard_iteratorINS7_11use_defaultEEES9_S9_S9_S9_S9_S9_S9_S9_EEEESB_EEENSN_IJSM_SM_EEESB_PlJNSF_9not_fun_tINSF_14equal_to_valueISA_EEEEEEE10hipError_tPvRmT3_T4_T5_T6_T7_T9_mT8_P12ihipStream_tbDpT10_ENKUlT_T0_E_clISt17integral_constantIbLb0EES1J_EEDaS1E_S1F_EUlS1E_E_NS1_11comp_targetILNS1_3genE5ELNS1_11target_archE942ELNS1_3gpuE9ELNS1_3repE0EEENS1_30default_config_static_selectorELNS0_4arch9wavefront6targetE0EEEvT1_.has_indirect_call, 0
	.section	.AMDGPU.csdata,"",@progbits
; Kernel info:
; codeLenInByte = 0
; TotalNumSgprs: 0
; NumVgprs: 0
; ScratchSize: 0
; MemoryBound: 0
; FloatMode: 240
; IeeeMode: 1
; LDSByteSize: 0 bytes/workgroup (compile time only)
; SGPRBlocks: 0
; VGPRBlocks: 0
; NumSGPRsForWavesPerEU: 1
; NumVGPRsForWavesPerEU: 1
; Occupancy: 16
; WaveLimiterHint : 0
; COMPUTE_PGM_RSRC2:SCRATCH_EN: 0
; COMPUTE_PGM_RSRC2:USER_SGPR: 2
; COMPUTE_PGM_RSRC2:TRAP_HANDLER: 0
; COMPUTE_PGM_RSRC2:TGID_X_EN: 1
; COMPUTE_PGM_RSRC2:TGID_Y_EN: 0
; COMPUTE_PGM_RSRC2:TGID_Z_EN: 0
; COMPUTE_PGM_RSRC2:TIDIG_COMP_CNT: 0
	.section	.text._ZN7rocprim17ROCPRIM_400000_NS6detail17trampoline_kernelINS0_14default_configENS1_25partition_config_selectorILNS1_17partition_subalgoE6EN6thrust23THRUST_200600_302600_NS5tupleIxxNS7_9null_typeES9_S9_S9_S9_S9_S9_S9_EENS0_10empty_typeEbEEZZNS1_14partition_implILS5_6ELb0ES3_mNS7_12zip_iteratorINS8_INS7_6detail15normal_iteratorINS7_10device_ptrIxEEEESJ_S9_S9_S9_S9_S9_S9_S9_S9_EEEEPSB_SM_NS0_5tupleIJNSE_INS8_ISJ_NS7_16discard_iteratorINS7_11use_defaultEEES9_S9_S9_S9_S9_S9_S9_S9_EEEESB_EEENSN_IJSM_SM_EEESB_PlJNSF_9not_fun_tINSF_14equal_to_valueISA_EEEEEEE10hipError_tPvRmT3_T4_T5_T6_T7_T9_mT8_P12ihipStream_tbDpT10_ENKUlT_T0_E_clISt17integral_constantIbLb0EES1J_EEDaS1E_S1F_EUlS1E_E_NS1_11comp_targetILNS1_3genE4ELNS1_11target_archE910ELNS1_3gpuE8ELNS1_3repE0EEENS1_30default_config_static_selectorELNS0_4arch9wavefront6targetE0EEEvT1_,"axG",@progbits,_ZN7rocprim17ROCPRIM_400000_NS6detail17trampoline_kernelINS0_14default_configENS1_25partition_config_selectorILNS1_17partition_subalgoE6EN6thrust23THRUST_200600_302600_NS5tupleIxxNS7_9null_typeES9_S9_S9_S9_S9_S9_S9_EENS0_10empty_typeEbEEZZNS1_14partition_implILS5_6ELb0ES3_mNS7_12zip_iteratorINS8_INS7_6detail15normal_iteratorINS7_10device_ptrIxEEEESJ_S9_S9_S9_S9_S9_S9_S9_S9_EEEEPSB_SM_NS0_5tupleIJNSE_INS8_ISJ_NS7_16discard_iteratorINS7_11use_defaultEEES9_S9_S9_S9_S9_S9_S9_S9_EEEESB_EEENSN_IJSM_SM_EEESB_PlJNSF_9not_fun_tINSF_14equal_to_valueISA_EEEEEEE10hipError_tPvRmT3_T4_T5_T6_T7_T9_mT8_P12ihipStream_tbDpT10_ENKUlT_T0_E_clISt17integral_constantIbLb0EES1J_EEDaS1E_S1F_EUlS1E_E_NS1_11comp_targetILNS1_3genE4ELNS1_11target_archE910ELNS1_3gpuE8ELNS1_3repE0EEENS1_30default_config_static_selectorELNS0_4arch9wavefront6targetE0EEEvT1_,comdat
	.protected	_ZN7rocprim17ROCPRIM_400000_NS6detail17trampoline_kernelINS0_14default_configENS1_25partition_config_selectorILNS1_17partition_subalgoE6EN6thrust23THRUST_200600_302600_NS5tupleIxxNS7_9null_typeES9_S9_S9_S9_S9_S9_S9_EENS0_10empty_typeEbEEZZNS1_14partition_implILS5_6ELb0ES3_mNS7_12zip_iteratorINS8_INS7_6detail15normal_iteratorINS7_10device_ptrIxEEEESJ_S9_S9_S9_S9_S9_S9_S9_S9_EEEEPSB_SM_NS0_5tupleIJNSE_INS8_ISJ_NS7_16discard_iteratorINS7_11use_defaultEEES9_S9_S9_S9_S9_S9_S9_S9_EEEESB_EEENSN_IJSM_SM_EEESB_PlJNSF_9not_fun_tINSF_14equal_to_valueISA_EEEEEEE10hipError_tPvRmT3_T4_T5_T6_T7_T9_mT8_P12ihipStream_tbDpT10_ENKUlT_T0_E_clISt17integral_constantIbLb0EES1J_EEDaS1E_S1F_EUlS1E_E_NS1_11comp_targetILNS1_3genE4ELNS1_11target_archE910ELNS1_3gpuE8ELNS1_3repE0EEENS1_30default_config_static_selectorELNS0_4arch9wavefront6targetE0EEEvT1_ ; -- Begin function _ZN7rocprim17ROCPRIM_400000_NS6detail17trampoline_kernelINS0_14default_configENS1_25partition_config_selectorILNS1_17partition_subalgoE6EN6thrust23THRUST_200600_302600_NS5tupleIxxNS7_9null_typeES9_S9_S9_S9_S9_S9_S9_EENS0_10empty_typeEbEEZZNS1_14partition_implILS5_6ELb0ES3_mNS7_12zip_iteratorINS8_INS7_6detail15normal_iteratorINS7_10device_ptrIxEEEESJ_S9_S9_S9_S9_S9_S9_S9_S9_EEEEPSB_SM_NS0_5tupleIJNSE_INS8_ISJ_NS7_16discard_iteratorINS7_11use_defaultEEES9_S9_S9_S9_S9_S9_S9_S9_EEEESB_EEENSN_IJSM_SM_EEESB_PlJNSF_9not_fun_tINSF_14equal_to_valueISA_EEEEEEE10hipError_tPvRmT3_T4_T5_T6_T7_T9_mT8_P12ihipStream_tbDpT10_ENKUlT_T0_E_clISt17integral_constantIbLb0EES1J_EEDaS1E_S1F_EUlS1E_E_NS1_11comp_targetILNS1_3genE4ELNS1_11target_archE910ELNS1_3gpuE8ELNS1_3repE0EEENS1_30default_config_static_selectorELNS0_4arch9wavefront6targetE0EEEvT1_
	.globl	_ZN7rocprim17ROCPRIM_400000_NS6detail17trampoline_kernelINS0_14default_configENS1_25partition_config_selectorILNS1_17partition_subalgoE6EN6thrust23THRUST_200600_302600_NS5tupleIxxNS7_9null_typeES9_S9_S9_S9_S9_S9_S9_EENS0_10empty_typeEbEEZZNS1_14partition_implILS5_6ELb0ES3_mNS7_12zip_iteratorINS8_INS7_6detail15normal_iteratorINS7_10device_ptrIxEEEESJ_S9_S9_S9_S9_S9_S9_S9_S9_EEEEPSB_SM_NS0_5tupleIJNSE_INS8_ISJ_NS7_16discard_iteratorINS7_11use_defaultEEES9_S9_S9_S9_S9_S9_S9_S9_EEEESB_EEENSN_IJSM_SM_EEESB_PlJNSF_9not_fun_tINSF_14equal_to_valueISA_EEEEEEE10hipError_tPvRmT3_T4_T5_T6_T7_T9_mT8_P12ihipStream_tbDpT10_ENKUlT_T0_E_clISt17integral_constantIbLb0EES1J_EEDaS1E_S1F_EUlS1E_E_NS1_11comp_targetILNS1_3genE4ELNS1_11target_archE910ELNS1_3gpuE8ELNS1_3repE0EEENS1_30default_config_static_selectorELNS0_4arch9wavefront6targetE0EEEvT1_
	.p2align	8
	.type	_ZN7rocprim17ROCPRIM_400000_NS6detail17trampoline_kernelINS0_14default_configENS1_25partition_config_selectorILNS1_17partition_subalgoE6EN6thrust23THRUST_200600_302600_NS5tupleIxxNS7_9null_typeES9_S9_S9_S9_S9_S9_S9_EENS0_10empty_typeEbEEZZNS1_14partition_implILS5_6ELb0ES3_mNS7_12zip_iteratorINS8_INS7_6detail15normal_iteratorINS7_10device_ptrIxEEEESJ_S9_S9_S9_S9_S9_S9_S9_S9_EEEEPSB_SM_NS0_5tupleIJNSE_INS8_ISJ_NS7_16discard_iteratorINS7_11use_defaultEEES9_S9_S9_S9_S9_S9_S9_S9_EEEESB_EEENSN_IJSM_SM_EEESB_PlJNSF_9not_fun_tINSF_14equal_to_valueISA_EEEEEEE10hipError_tPvRmT3_T4_T5_T6_T7_T9_mT8_P12ihipStream_tbDpT10_ENKUlT_T0_E_clISt17integral_constantIbLb0EES1J_EEDaS1E_S1F_EUlS1E_E_NS1_11comp_targetILNS1_3genE4ELNS1_11target_archE910ELNS1_3gpuE8ELNS1_3repE0EEENS1_30default_config_static_selectorELNS0_4arch9wavefront6targetE0EEEvT1_,@function
_ZN7rocprim17ROCPRIM_400000_NS6detail17trampoline_kernelINS0_14default_configENS1_25partition_config_selectorILNS1_17partition_subalgoE6EN6thrust23THRUST_200600_302600_NS5tupleIxxNS7_9null_typeES9_S9_S9_S9_S9_S9_S9_EENS0_10empty_typeEbEEZZNS1_14partition_implILS5_6ELb0ES3_mNS7_12zip_iteratorINS8_INS7_6detail15normal_iteratorINS7_10device_ptrIxEEEESJ_S9_S9_S9_S9_S9_S9_S9_S9_EEEEPSB_SM_NS0_5tupleIJNSE_INS8_ISJ_NS7_16discard_iteratorINS7_11use_defaultEEES9_S9_S9_S9_S9_S9_S9_S9_EEEESB_EEENSN_IJSM_SM_EEESB_PlJNSF_9not_fun_tINSF_14equal_to_valueISA_EEEEEEE10hipError_tPvRmT3_T4_T5_T6_T7_T9_mT8_P12ihipStream_tbDpT10_ENKUlT_T0_E_clISt17integral_constantIbLb0EES1J_EEDaS1E_S1F_EUlS1E_E_NS1_11comp_targetILNS1_3genE4ELNS1_11target_archE910ELNS1_3gpuE8ELNS1_3repE0EEENS1_30default_config_static_selectorELNS0_4arch9wavefront6targetE0EEEvT1_: ; @_ZN7rocprim17ROCPRIM_400000_NS6detail17trampoline_kernelINS0_14default_configENS1_25partition_config_selectorILNS1_17partition_subalgoE6EN6thrust23THRUST_200600_302600_NS5tupleIxxNS7_9null_typeES9_S9_S9_S9_S9_S9_S9_EENS0_10empty_typeEbEEZZNS1_14partition_implILS5_6ELb0ES3_mNS7_12zip_iteratorINS8_INS7_6detail15normal_iteratorINS7_10device_ptrIxEEEESJ_S9_S9_S9_S9_S9_S9_S9_S9_EEEEPSB_SM_NS0_5tupleIJNSE_INS8_ISJ_NS7_16discard_iteratorINS7_11use_defaultEEES9_S9_S9_S9_S9_S9_S9_S9_EEEESB_EEENSN_IJSM_SM_EEESB_PlJNSF_9not_fun_tINSF_14equal_to_valueISA_EEEEEEE10hipError_tPvRmT3_T4_T5_T6_T7_T9_mT8_P12ihipStream_tbDpT10_ENKUlT_T0_E_clISt17integral_constantIbLb0EES1J_EEDaS1E_S1F_EUlS1E_E_NS1_11comp_targetILNS1_3genE4ELNS1_11target_archE910ELNS1_3gpuE8ELNS1_3repE0EEENS1_30default_config_static_selectorELNS0_4arch9wavefront6targetE0EEEvT1_
; %bb.0:
	.section	.rodata,"a",@progbits
	.p2align	6, 0x0
	.amdhsa_kernel _ZN7rocprim17ROCPRIM_400000_NS6detail17trampoline_kernelINS0_14default_configENS1_25partition_config_selectorILNS1_17partition_subalgoE6EN6thrust23THRUST_200600_302600_NS5tupleIxxNS7_9null_typeES9_S9_S9_S9_S9_S9_S9_EENS0_10empty_typeEbEEZZNS1_14partition_implILS5_6ELb0ES3_mNS7_12zip_iteratorINS8_INS7_6detail15normal_iteratorINS7_10device_ptrIxEEEESJ_S9_S9_S9_S9_S9_S9_S9_S9_EEEEPSB_SM_NS0_5tupleIJNSE_INS8_ISJ_NS7_16discard_iteratorINS7_11use_defaultEEES9_S9_S9_S9_S9_S9_S9_S9_EEEESB_EEENSN_IJSM_SM_EEESB_PlJNSF_9not_fun_tINSF_14equal_to_valueISA_EEEEEEE10hipError_tPvRmT3_T4_T5_T6_T7_T9_mT8_P12ihipStream_tbDpT10_ENKUlT_T0_E_clISt17integral_constantIbLb0EES1J_EEDaS1E_S1F_EUlS1E_E_NS1_11comp_targetILNS1_3genE4ELNS1_11target_archE910ELNS1_3gpuE8ELNS1_3repE0EEENS1_30default_config_static_selectorELNS0_4arch9wavefront6targetE0EEEvT1_
		.amdhsa_group_segment_fixed_size 0
		.amdhsa_private_segment_fixed_size 0
		.amdhsa_kernarg_size 152
		.amdhsa_user_sgpr_count 2
		.amdhsa_user_sgpr_dispatch_ptr 0
		.amdhsa_user_sgpr_queue_ptr 0
		.amdhsa_user_sgpr_kernarg_segment_ptr 1
		.amdhsa_user_sgpr_dispatch_id 0
		.amdhsa_user_sgpr_private_segment_size 0
		.amdhsa_wavefront_size32 1
		.amdhsa_uses_dynamic_stack 0
		.amdhsa_enable_private_segment 0
		.amdhsa_system_sgpr_workgroup_id_x 1
		.amdhsa_system_sgpr_workgroup_id_y 0
		.amdhsa_system_sgpr_workgroup_id_z 0
		.amdhsa_system_sgpr_workgroup_info 0
		.amdhsa_system_vgpr_workitem_id 0
		.amdhsa_next_free_vgpr 1
		.amdhsa_next_free_sgpr 1
		.amdhsa_reserve_vcc 0
		.amdhsa_float_round_mode_32 0
		.amdhsa_float_round_mode_16_64 0
		.amdhsa_float_denorm_mode_32 3
		.amdhsa_float_denorm_mode_16_64 3
		.amdhsa_fp16_overflow 0
		.amdhsa_workgroup_processor_mode 1
		.amdhsa_memory_ordered 1
		.amdhsa_forward_progress 1
		.amdhsa_inst_pref_size 0
		.amdhsa_round_robin_scheduling 0
		.amdhsa_exception_fp_ieee_invalid_op 0
		.amdhsa_exception_fp_denorm_src 0
		.amdhsa_exception_fp_ieee_div_zero 0
		.amdhsa_exception_fp_ieee_overflow 0
		.amdhsa_exception_fp_ieee_underflow 0
		.amdhsa_exception_fp_ieee_inexact 0
		.amdhsa_exception_int_div_zero 0
	.end_amdhsa_kernel
	.section	.text._ZN7rocprim17ROCPRIM_400000_NS6detail17trampoline_kernelINS0_14default_configENS1_25partition_config_selectorILNS1_17partition_subalgoE6EN6thrust23THRUST_200600_302600_NS5tupleIxxNS7_9null_typeES9_S9_S9_S9_S9_S9_S9_EENS0_10empty_typeEbEEZZNS1_14partition_implILS5_6ELb0ES3_mNS7_12zip_iteratorINS8_INS7_6detail15normal_iteratorINS7_10device_ptrIxEEEESJ_S9_S9_S9_S9_S9_S9_S9_S9_EEEEPSB_SM_NS0_5tupleIJNSE_INS8_ISJ_NS7_16discard_iteratorINS7_11use_defaultEEES9_S9_S9_S9_S9_S9_S9_S9_EEEESB_EEENSN_IJSM_SM_EEESB_PlJNSF_9not_fun_tINSF_14equal_to_valueISA_EEEEEEE10hipError_tPvRmT3_T4_T5_T6_T7_T9_mT8_P12ihipStream_tbDpT10_ENKUlT_T0_E_clISt17integral_constantIbLb0EES1J_EEDaS1E_S1F_EUlS1E_E_NS1_11comp_targetILNS1_3genE4ELNS1_11target_archE910ELNS1_3gpuE8ELNS1_3repE0EEENS1_30default_config_static_selectorELNS0_4arch9wavefront6targetE0EEEvT1_,"axG",@progbits,_ZN7rocprim17ROCPRIM_400000_NS6detail17trampoline_kernelINS0_14default_configENS1_25partition_config_selectorILNS1_17partition_subalgoE6EN6thrust23THRUST_200600_302600_NS5tupleIxxNS7_9null_typeES9_S9_S9_S9_S9_S9_S9_EENS0_10empty_typeEbEEZZNS1_14partition_implILS5_6ELb0ES3_mNS7_12zip_iteratorINS8_INS7_6detail15normal_iteratorINS7_10device_ptrIxEEEESJ_S9_S9_S9_S9_S9_S9_S9_S9_EEEEPSB_SM_NS0_5tupleIJNSE_INS8_ISJ_NS7_16discard_iteratorINS7_11use_defaultEEES9_S9_S9_S9_S9_S9_S9_S9_EEEESB_EEENSN_IJSM_SM_EEESB_PlJNSF_9not_fun_tINSF_14equal_to_valueISA_EEEEEEE10hipError_tPvRmT3_T4_T5_T6_T7_T9_mT8_P12ihipStream_tbDpT10_ENKUlT_T0_E_clISt17integral_constantIbLb0EES1J_EEDaS1E_S1F_EUlS1E_E_NS1_11comp_targetILNS1_3genE4ELNS1_11target_archE910ELNS1_3gpuE8ELNS1_3repE0EEENS1_30default_config_static_selectorELNS0_4arch9wavefront6targetE0EEEvT1_,comdat
.Lfunc_end1983:
	.size	_ZN7rocprim17ROCPRIM_400000_NS6detail17trampoline_kernelINS0_14default_configENS1_25partition_config_selectorILNS1_17partition_subalgoE6EN6thrust23THRUST_200600_302600_NS5tupleIxxNS7_9null_typeES9_S9_S9_S9_S9_S9_S9_EENS0_10empty_typeEbEEZZNS1_14partition_implILS5_6ELb0ES3_mNS7_12zip_iteratorINS8_INS7_6detail15normal_iteratorINS7_10device_ptrIxEEEESJ_S9_S9_S9_S9_S9_S9_S9_S9_EEEEPSB_SM_NS0_5tupleIJNSE_INS8_ISJ_NS7_16discard_iteratorINS7_11use_defaultEEES9_S9_S9_S9_S9_S9_S9_S9_EEEESB_EEENSN_IJSM_SM_EEESB_PlJNSF_9not_fun_tINSF_14equal_to_valueISA_EEEEEEE10hipError_tPvRmT3_T4_T5_T6_T7_T9_mT8_P12ihipStream_tbDpT10_ENKUlT_T0_E_clISt17integral_constantIbLb0EES1J_EEDaS1E_S1F_EUlS1E_E_NS1_11comp_targetILNS1_3genE4ELNS1_11target_archE910ELNS1_3gpuE8ELNS1_3repE0EEENS1_30default_config_static_selectorELNS0_4arch9wavefront6targetE0EEEvT1_, .Lfunc_end1983-_ZN7rocprim17ROCPRIM_400000_NS6detail17trampoline_kernelINS0_14default_configENS1_25partition_config_selectorILNS1_17partition_subalgoE6EN6thrust23THRUST_200600_302600_NS5tupleIxxNS7_9null_typeES9_S9_S9_S9_S9_S9_S9_EENS0_10empty_typeEbEEZZNS1_14partition_implILS5_6ELb0ES3_mNS7_12zip_iteratorINS8_INS7_6detail15normal_iteratorINS7_10device_ptrIxEEEESJ_S9_S9_S9_S9_S9_S9_S9_S9_EEEEPSB_SM_NS0_5tupleIJNSE_INS8_ISJ_NS7_16discard_iteratorINS7_11use_defaultEEES9_S9_S9_S9_S9_S9_S9_S9_EEEESB_EEENSN_IJSM_SM_EEESB_PlJNSF_9not_fun_tINSF_14equal_to_valueISA_EEEEEEE10hipError_tPvRmT3_T4_T5_T6_T7_T9_mT8_P12ihipStream_tbDpT10_ENKUlT_T0_E_clISt17integral_constantIbLb0EES1J_EEDaS1E_S1F_EUlS1E_E_NS1_11comp_targetILNS1_3genE4ELNS1_11target_archE910ELNS1_3gpuE8ELNS1_3repE0EEENS1_30default_config_static_selectorELNS0_4arch9wavefront6targetE0EEEvT1_
                                        ; -- End function
	.set _ZN7rocprim17ROCPRIM_400000_NS6detail17trampoline_kernelINS0_14default_configENS1_25partition_config_selectorILNS1_17partition_subalgoE6EN6thrust23THRUST_200600_302600_NS5tupleIxxNS7_9null_typeES9_S9_S9_S9_S9_S9_S9_EENS0_10empty_typeEbEEZZNS1_14partition_implILS5_6ELb0ES3_mNS7_12zip_iteratorINS8_INS7_6detail15normal_iteratorINS7_10device_ptrIxEEEESJ_S9_S9_S9_S9_S9_S9_S9_S9_EEEEPSB_SM_NS0_5tupleIJNSE_INS8_ISJ_NS7_16discard_iteratorINS7_11use_defaultEEES9_S9_S9_S9_S9_S9_S9_S9_EEEESB_EEENSN_IJSM_SM_EEESB_PlJNSF_9not_fun_tINSF_14equal_to_valueISA_EEEEEEE10hipError_tPvRmT3_T4_T5_T6_T7_T9_mT8_P12ihipStream_tbDpT10_ENKUlT_T0_E_clISt17integral_constantIbLb0EES1J_EEDaS1E_S1F_EUlS1E_E_NS1_11comp_targetILNS1_3genE4ELNS1_11target_archE910ELNS1_3gpuE8ELNS1_3repE0EEENS1_30default_config_static_selectorELNS0_4arch9wavefront6targetE0EEEvT1_.num_vgpr, 0
	.set _ZN7rocprim17ROCPRIM_400000_NS6detail17trampoline_kernelINS0_14default_configENS1_25partition_config_selectorILNS1_17partition_subalgoE6EN6thrust23THRUST_200600_302600_NS5tupleIxxNS7_9null_typeES9_S9_S9_S9_S9_S9_S9_EENS0_10empty_typeEbEEZZNS1_14partition_implILS5_6ELb0ES3_mNS7_12zip_iteratorINS8_INS7_6detail15normal_iteratorINS7_10device_ptrIxEEEESJ_S9_S9_S9_S9_S9_S9_S9_S9_EEEEPSB_SM_NS0_5tupleIJNSE_INS8_ISJ_NS7_16discard_iteratorINS7_11use_defaultEEES9_S9_S9_S9_S9_S9_S9_S9_EEEESB_EEENSN_IJSM_SM_EEESB_PlJNSF_9not_fun_tINSF_14equal_to_valueISA_EEEEEEE10hipError_tPvRmT3_T4_T5_T6_T7_T9_mT8_P12ihipStream_tbDpT10_ENKUlT_T0_E_clISt17integral_constantIbLb0EES1J_EEDaS1E_S1F_EUlS1E_E_NS1_11comp_targetILNS1_3genE4ELNS1_11target_archE910ELNS1_3gpuE8ELNS1_3repE0EEENS1_30default_config_static_selectorELNS0_4arch9wavefront6targetE0EEEvT1_.num_agpr, 0
	.set _ZN7rocprim17ROCPRIM_400000_NS6detail17trampoline_kernelINS0_14default_configENS1_25partition_config_selectorILNS1_17partition_subalgoE6EN6thrust23THRUST_200600_302600_NS5tupleIxxNS7_9null_typeES9_S9_S9_S9_S9_S9_S9_EENS0_10empty_typeEbEEZZNS1_14partition_implILS5_6ELb0ES3_mNS7_12zip_iteratorINS8_INS7_6detail15normal_iteratorINS7_10device_ptrIxEEEESJ_S9_S9_S9_S9_S9_S9_S9_S9_EEEEPSB_SM_NS0_5tupleIJNSE_INS8_ISJ_NS7_16discard_iteratorINS7_11use_defaultEEES9_S9_S9_S9_S9_S9_S9_S9_EEEESB_EEENSN_IJSM_SM_EEESB_PlJNSF_9not_fun_tINSF_14equal_to_valueISA_EEEEEEE10hipError_tPvRmT3_T4_T5_T6_T7_T9_mT8_P12ihipStream_tbDpT10_ENKUlT_T0_E_clISt17integral_constantIbLb0EES1J_EEDaS1E_S1F_EUlS1E_E_NS1_11comp_targetILNS1_3genE4ELNS1_11target_archE910ELNS1_3gpuE8ELNS1_3repE0EEENS1_30default_config_static_selectorELNS0_4arch9wavefront6targetE0EEEvT1_.numbered_sgpr, 0
	.set _ZN7rocprim17ROCPRIM_400000_NS6detail17trampoline_kernelINS0_14default_configENS1_25partition_config_selectorILNS1_17partition_subalgoE6EN6thrust23THRUST_200600_302600_NS5tupleIxxNS7_9null_typeES9_S9_S9_S9_S9_S9_S9_EENS0_10empty_typeEbEEZZNS1_14partition_implILS5_6ELb0ES3_mNS7_12zip_iteratorINS8_INS7_6detail15normal_iteratorINS7_10device_ptrIxEEEESJ_S9_S9_S9_S9_S9_S9_S9_S9_EEEEPSB_SM_NS0_5tupleIJNSE_INS8_ISJ_NS7_16discard_iteratorINS7_11use_defaultEEES9_S9_S9_S9_S9_S9_S9_S9_EEEESB_EEENSN_IJSM_SM_EEESB_PlJNSF_9not_fun_tINSF_14equal_to_valueISA_EEEEEEE10hipError_tPvRmT3_T4_T5_T6_T7_T9_mT8_P12ihipStream_tbDpT10_ENKUlT_T0_E_clISt17integral_constantIbLb0EES1J_EEDaS1E_S1F_EUlS1E_E_NS1_11comp_targetILNS1_3genE4ELNS1_11target_archE910ELNS1_3gpuE8ELNS1_3repE0EEENS1_30default_config_static_selectorELNS0_4arch9wavefront6targetE0EEEvT1_.num_named_barrier, 0
	.set _ZN7rocprim17ROCPRIM_400000_NS6detail17trampoline_kernelINS0_14default_configENS1_25partition_config_selectorILNS1_17partition_subalgoE6EN6thrust23THRUST_200600_302600_NS5tupleIxxNS7_9null_typeES9_S9_S9_S9_S9_S9_S9_EENS0_10empty_typeEbEEZZNS1_14partition_implILS5_6ELb0ES3_mNS7_12zip_iteratorINS8_INS7_6detail15normal_iteratorINS7_10device_ptrIxEEEESJ_S9_S9_S9_S9_S9_S9_S9_S9_EEEEPSB_SM_NS0_5tupleIJNSE_INS8_ISJ_NS7_16discard_iteratorINS7_11use_defaultEEES9_S9_S9_S9_S9_S9_S9_S9_EEEESB_EEENSN_IJSM_SM_EEESB_PlJNSF_9not_fun_tINSF_14equal_to_valueISA_EEEEEEE10hipError_tPvRmT3_T4_T5_T6_T7_T9_mT8_P12ihipStream_tbDpT10_ENKUlT_T0_E_clISt17integral_constantIbLb0EES1J_EEDaS1E_S1F_EUlS1E_E_NS1_11comp_targetILNS1_3genE4ELNS1_11target_archE910ELNS1_3gpuE8ELNS1_3repE0EEENS1_30default_config_static_selectorELNS0_4arch9wavefront6targetE0EEEvT1_.private_seg_size, 0
	.set _ZN7rocprim17ROCPRIM_400000_NS6detail17trampoline_kernelINS0_14default_configENS1_25partition_config_selectorILNS1_17partition_subalgoE6EN6thrust23THRUST_200600_302600_NS5tupleIxxNS7_9null_typeES9_S9_S9_S9_S9_S9_S9_EENS0_10empty_typeEbEEZZNS1_14partition_implILS5_6ELb0ES3_mNS7_12zip_iteratorINS8_INS7_6detail15normal_iteratorINS7_10device_ptrIxEEEESJ_S9_S9_S9_S9_S9_S9_S9_S9_EEEEPSB_SM_NS0_5tupleIJNSE_INS8_ISJ_NS7_16discard_iteratorINS7_11use_defaultEEES9_S9_S9_S9_S9_S9_S9_S9_EEEESB_EEENSN_IJSM_SM_EEESB_PlJNSF_9not_fun_tINSF_14equal_to_valueISA_EEEEEEE10hipError_tPvRmT3_T4_T5_T6_T7_T9_mT8_P12ihipStream_tbDpT10_ENKUlT_T0_E_clISt17integral_constantIbLb0EES1J_EEDaS1E_S1F_EUlS1E_E_NS1_11comp_targetILNS1_3genE4ELNS1_11target_archE910ELNS1_3gpuE8ELNS1_3repE0EEENS1_30default_config_static_selectorELNS0_4arch9wavefront6targetE0EEEvT1_.uses_vcc, 0
	.set _ZN7rocprim17ROCPRIM_400000_NS6detail17trampoline_kernelINS0_14default_configENS1_25partition_config_selectorILNS1_17partition_subalgoE6EN6thrust23THRUST_200600_302600_NS5tupleIxxNS7_9null_typeES9_S9_S9_S9_S9_S9_S9_EENS0_10empty_typeEbEEZZNS1_14partition_implILS5_6ELb0ES3_mNS7_12zip_iteratorINS8_INS7_6detail15normal_iteratorINS7_10device_ptrIxEEEESJ_S9_S9_S9_S9_S9_S9_S9_S9_EEEEPSB_SM_NS0_5tupleIJNSE_INS8_ISJ_NS7_16discard_iteratorINS7_11use_defaultEEES9_S9_S9_S9_S9_S9_S9_S9_EEEESB_EEENSN_IJSM_SM_EEESB_PlJNSF_9not_fun_tINSF_14equal_to_valueISA_EEEEEEE10hipError_tPvRmT3_T4_T5_T6_T7_T9_mT8_P12ihipStream_tbDpT10_ENKUlT_T0_E_clISt17integral_constantIbLb0EES1J_EEDaS1E_S1F_EUlS1E_E_NS1_11comp_targetILNS1_3genE4ELNS1_11target_archE910ELNS1_3gpuE8ELNS1_3repE0EEENS1_30default_config_static_selectorELNS0_4arch9wavefront6targetE0EEEvT1_.uses_flat_scratch, 0
	.set _ZN7rocprim17ROCPRIM_400000_NS6detail17trampoline_kernelINS0_14default_configENS1_25partition_config_selectorILNS1_17partition_subalgoE6EN6thrust23THRUST_200600_302600_NS5tupleIxxNS7_9null_typeES9_S9_S9_S9_S9_S9_S9_EENS0_10empty_typeEbEEZZNS1_14partition_implILS5_6ELb0ES3_mNS7_12zip_iteratorINS8_INS7_6detail15normal_iteratorINS7_10device_ptrIxEEEESJ_S9_S9_S9_S9_S9_S9_S9_S9_EEEEPSB_SM_NS0_5tupleIJNSE_INS8_ISJ_NS7_16discard_iteratorINS7_11use_defaultEEES9_S9_S9_S9_S9_S9_S9_S9_EEEESB_EEENSN_IJSM_SM_EEESB_PlJNSF_9not_fun_tINSF_14equal_to_valueISA_EEEEEEE10hipError_tPvRmT3_T4_T5_T6_T7_T9_mT8_P12ihipStream_tbDpT10_ENKUlT_T0_E_clISt17integral_constantIbLb0EES1J_EEDaS1E_S1F_EUlS1E_E_NS1_11comp_targetILNS1_3genE4ELNS1_11target_archE910ELNS1_3gpuE8ELNS1_3repE0EEENS1_30default_config_static_selectorELNS0_4arch9wavefront6targetE0EEEvT1_.has_dyn_sized_stack, 0
	.set _ZN7rocprim17ROCPRIM_400000_NS6detail17trampoline_kernelINS0_14default_configENS1_25partition_config_selectorILNS1_17partition_subalgoE6EN6thrust23THRUST_200600_302600_NS5tupleIxxNS7_9null_typeES9_S9_S9_S9_S9_S9_S9_EENS0_10empty_typeEbEEZZNS1_14partition_implILS5_6ELb0ES3_mNS7_12zip_iteratorINS8_INS7_6detail15normal_iteratorINS7_10device_ptrIxEEEESJ_S9_S9_S9_S9_S9_S9_S9_S9_EEEEPSB_SM_NS0_5tupleIJNSE_INS8_ISJ_NS7_16discard_iteratorINS7_11use_defaultEEES9_S9_S9_S9_S9_S9_S9_S9_EEEESB_EEENSN_IJSM_SM_EEESB_PlJNSF_9not_fun_tINSF_14equal_to_valueISA_EEEEEEE10hipError_tPvRmT3_T4_T5_T6_T7_T9_mT8_P12ihipStream_tbDpT10_ENKUlT_T0_E_clISt17integral_constantIbLb0EES1J_EEDaS1E_S1F_EUlS1E_E_NS1_11comp_targetILNS1_3genE4ELNS1_11target_archE910ELNS1_3gpuE8ELNS1_3repE0EEENS1_30default_config_static_selectorELNS0_4arch9wavefront6targetE0EEEvT1_.has_recursion, 0
	.set _ZN7rocprim17ROCPRIM_400000_NS6detail17trampoline_kernelINS0_14default_configENS1_25partition_config_selectorILNS1_17partition_subalgoE6EN6thrust23THRUST_200600_302600_NS5tupleIxxNS7_9null_typeES9_S9_S9_S9_S9_S9_S9_EENS0_10empty_typeEbEEZZNS1_14partition_implILS5_6ELb0ES3_mNS7_12zip_iteratorINS8_INS7_6detail15normal_iteratorINS7_10device_ptrIxEEEESJ_S9_S9_S9_S9_S9_S9_S9_S9_EEEEPSB_SM_NS0_5tupleIJNSE_INS8_ISJ_NS7_16discard_iteratorINS7_11use_defaultEEES9_S9_S9_S9_S9_S9_S9_S9_EEEESB_EEENSN_IJSM_SM_EEESB_PlJNSF_9not_fun_tINSF_14equal_to_valueISA_EEEEEEE10hipError_tPvRmT3_T4_T5_T6_T7_T9_mT8_P12ihipStream_tbDpT10_ENKUlT_T0_E_clISt17integral_constantIbLb0EES1J_EEDaS1E_S1F_EUlS1E_E_NS1_11comp_targetILNS1_3genE4ELNS1_11target_archE910ELNS1_3gpuE8ELNS1_3repE0EEENS1_30default_config_static_selectorELNS0_4arch9wavefront6targetE0EEEvT1_.has_indirect_call, 0
	.section	.AMDGPU.csdata,"",@progbits
; Kernel info:
; codeLenInByte = 0
; TotalNumSgprs: 0
; NumVgprs: 0
; ScratchSize: 0
; MemoryBound: 0
; FloatMode: 240
; IeeeMode: 1
; LDSByteSize: 0 bytes/workgroup (compile time only)
; SGPRBlocks: 0
; VGPRBlocks: 0
; NumSGPRsForWavesPerEU: 1
; NumVGPRsForWavesPerEU: 1
; Occupancy: 16
; WaveLimiterHint : 0
; COMPUTE_PGM_RSRC2:SCRATCH_EN: 0
; COMPUTE_PGM_RSRC2:USER_SGPR: 2
; COMPUTE_PGM_RSRC2:TRAP_HANDLER: 0
; COMPUTE_PGM_RSRC2:TGID_X_EN: 1
; COMPUTE_PGM_RSRC2:TGID_Y_EN: 0
; COMPUTE_PGM_RSRC2:TGID_Z_EN: 0
; COMPUTE_PGM_RSRC2:TIDIG_COMP_CNT: 0
	.section	.text._ZN7rocprim17ROCPRIM_400000_NS6detail17trampoline_kernelINS0_14default_configENS1_25partition_config_selectorILNS1_17partition_subalgoE6EN6thrust23THRUST_200600_302600_NS5tupleIxxNS7_9null_typeES9_S9_S9_S9_S9_S9_S9_EENS0_10empty_typeEbEEZZNS1_14partition_implILS5_6ELb0ES3_mNS7_12zip_iteratorINS8_INS7_6detail15normal_iteratorINS7_10device_ptrIxEEEESJ_S9_S9_S9_S9_S9_S9_S9_S9_EEEEPSB_SM_NS0_5tupleIJNSE_INS8_ISJ_NS7_16discard_iteratorINS7_11use_defaultEEES9_S9_S9_S9_S9_S9_S9_S9_EEEESB_EEENSN_IJSM_SM_EEESB_PlJNSF_9not_fun_tINSF_14equal_to_valueISA_EEEEEEE10hipError_tPvRmT3_T4_T5_T6_T7_T9_mT8_P12ihipStream_tbDpT10_ENKUlT_T0_E_clISt17integral_constantIbLb0EES1J_EEDaS1E_S1F_EUlS1E_E_NS1_11comp_targetILNS1_3genE3ELNS1_11target_archE908ELNS1_3gpuE7ELNS1_3repE0EEENS1_30default_config_static_selectorELNS0_4arch9wavefront6targetE0EEEvT1_,"axG",@progbits,_ZN7rocprim17ROCPRIM_400000_NS6detail17trampoline_kernelINS0_14default_configENS1_25partition_config_selectorILNS1_17partition_subalgoE6EN6thrust23THRUST_200600_302600_NS5tupleIxxNS7_9null_typeES9_S9_S9_S9_S9_S9_S9_EENS0_10empty_typeEbEEZZNS1_14partition_implILS5_6ELb0ES3_mNS7_12zip_iteratorINS8_INS7_6detail15normal_iteratorINS7_10device_ptrIxEEEESJ_S9_S9_S9_S9_S9_S9_S9_S9_EEEEPSB_SM_NS0_5tupleIJNSE_INS8_ISJ_NS7_16discard_iteratorINS7_11use_defaultEEES9_S9_S9_S9_S9_S9_S9_S9_EEEESB_EEENSN_IJSM_SM_EEESB_PlJNSF_9not_fun_tINSF_14equal_to_valueISA_EEEEEEE10hipError_tPvRmT3_T4_T5_T6_T7_T9_mT8_P12ihipStream_tbDpT10_ENKUlT_T0_E_clISt17integral_constantIbLb0EES1J_EEDaS1E_S1F_EUlS1E_E_NS1_11comp_targetILNS1_3genE3ELNS1_11target_archE908ELNS1_3gpuE7ELNS1_3repE0EEENS1_30default_config_static_selectorELNS0_4arch9wavefront6targetE0EEEvT1_,comdat
	.protected	_ZN7rocprim17ROCPRIM_400000_NS6detail17trampoline_kernelINS0_14default_configENS1_25partition_config_selectorILNS1_17partition_subalgoE6EN6thrust23THRUST_200600_302600_NS5tupleIxxNS7_9null_typeES9_S9_S9_S9_S9_S9_S9_EENS0_10empty_typeEbEEZZNS1_14partition_implILS5_6ELb0ES3_mNS7_12zip_iteratorINS8_INS7_6detail15normal_iteratorINS7_10device_ptrIxEEEESJ_S9_S9_S9_S9_S9_S9_S9_S9_EEEEPSB_SM_NS0_5tupleIJNSE_INS8_ISJ_NS7_16discard_iteratorINS7_11use_defaultEEES9_S9_S9_S9_S9_S9_S9_S9_EEEESB_EEENSN_IJSM_SM_EEESB_PlJNSF_9not_fun_tINSF_14equal_to_valueISA_EEEEEEE10hipError_tPvRmT3_T4_T5_T6_T7_T9_mT8_P12ihipStream_tbDpT10_ENKUlT_T0_E_clISt17integral_constantIbLb0EES1J_EEDaS1E_S1F_EUlS1E_E_NS1_11comp_targetILNS1_3genE3ELNS1_11target_archE908ELNS1_3gpuE7ELNS1_3repE0EEENS1_30default_config_static_selectorELNS0_4arch9wavefront6targetE0EEEvT1_ ; -- Begin function _ZN7rocprim17ROCPRIM_400000_NS6detail17trampoline_kernelINS0_14default_configENS1_25partition_config_selectorILNS1_17partition_subalgoE6EN6thrust23THRUST_200600_302600_NS5tupleIxxNS7_9null_typeES9_S9_S9_S9_S9_S9_S9_EENS0_10empty_typeEbEEZZNS1_14partition_implILS5_6ELb0ES3_mNS7_12zip_iteratorINS8_INS7_6detail15normal_iteratorINS7_10device_ptrIxEEEESJ_S9_S9_S9_S9_S9_S9_S9_S9_EEEEPSB_SM_NS0_5tupleIJNSE_INS8_ISJ_NS7_16discard_iteratorINS7_11use_defaultEEES9_S9_S9_S9_S9_S9_S9_S9_EEEESB_EEENSN_IJSM_SM_EEESB_PlJNSF_9not_fun_tINSF_14equal_to_valueISA_EEEEEEE10hipError_tPvRmT3_T4_T5_T6_T7_T9_mT8_P12ihipStream_tbDpT10_ENKUlT_T0_E_clISt17integral_constantIbLb0EES1J_EEDaS1E_S1F_EUlS1E_E_NS1_11comp_targetILNS1_3genE3ELNS1_11target_archE908ELNS1_3gpuE7ELNS1_3repE0EEENS1_30default_config_static_selectorELNS0_4arch9wavefront6targetE0EEEvT1_
	.globl	_ZN7rocprim17ROCPRIM_400000_NS6detail17trampoline_kernelINS0_14default_configENS1_25partition_config_selectorILNS1_17partition_subalgoE6EN6thrust23THRUST_200600_302600_NS5tupleIxxNS7_9null_typeES9_S9_S9_S9_S9_S9_S9_EENS0_10empty_typeEbEEZZNS1_14partition_implILS5_6ELb0ES3_mNS7_12zip_iteratorINS8_INS7_6detail15normal_iteratorINS7_10device_ptrIxEEEESJ_S9_S9_S9_S9_S9_S9_S9_S9_EEEEPSB_SM_NS0_5tupleIJNSE_INS8_ISJ_NS7_16discard_iteratorINS7_11use_defaultEEES9_S9_S9_S9_S9_S9_S9_S9_EEEESB_EEENSN_IJSM_SM_EEESB_PlJNSF_9not_fun_tINSF_14equal_to_valueISA_EEEEEEE10hipError_tPvRmT3_T4_T5_T6_T7_T9_mT8_P12ihipStream_tbDpT10_ENKUlT_T0_E_clISt17integral_constantIbLb0EES1J_EEDaS1E_S1F_EUlS1E_E_NS1_11comp_targetILNS1_3genE3ELNS1_11target_archE908ELNS1_3gpuE7ELNS1_3repE0EEENS1_30default_config_static_selectorELNS0_4arch9wavefront6targetE0EEEvT1_
	.p2align	8
	.type	_ZN7rocprim17ROCPRIM_400000_NS6detail17trampoline_kernelINS0_14default_configENS1_25partition_config_selectorILNS1_17partition_subalgoE6EN6thrust23THRUST_200600_302600_NS5tupleIxxNS7_9null_typeES9_S9_S9_S9_S9_S9_S9_EENS0_10empty_typeEbEEZZNS1_14partition_implILS5_6ELb0ES3_mNS7_12zip_iteratorINS8_INS7_6detail15normal_iteratorINS7_10device_ptrIxEEEESJ_S9_S9_S9_S9_S9_S9_S9_S9_EEEEPSB_SM_NS0_5tupleIJNSE_INS8_ISJ_NS7_16discard_iteratorINS7_11use_defaultEEES9_S9_S9_S9_S9_S9_S9_S9_EEEESB_EEENSN_IJSM_SM_EEESB_PlJNSF_9not_fun_tINSF_14equal_to_valueISA_EEEEEEE10hipError_tPvRmT3_T4_T5_T6_T7_T9_mT8_P12ihipStream_tbDpT10_ENKUlT_T0_E_clISt17integral_constantIbLb0EES1J_EEDaS1E_S1F_EUlS1E_E_NS1_11comp_targetILNS1_3genE3ELNS1_11target_archE908ELNS1_3gpuE7ELNS1_3repE0EEENS1_30default_config_static_selectorELNS0_4arch9wavefront6targetE0EEEvT1_,@function
_ZN7rocprim17ROCPRIM_400000_NS6detail17trampoline_kernelINS0_14default_configENS1_25partition_config_selectorILNS1_17partition_subalgoE6EN6thrust23THRUST_200600_302600_NS5tupleIxxNS7_9null_typeES9_S9_S9_S9_S9_S9_S9_EENS0_10empty_typeEbEEZZNS1_14partition_implILS5_6ELb0ES3_mNS7_12zip_iteratorINS8_INS7_6detail15normal_iteratorINS7_10device_ptrIxEEEESJ_S9_S9_S9_S9_S9_S9_S9_S9_EEEEPSB_SM_NS0_5tupleIJNSE_INS8_ISJ_NS7_16discard_iteratorINS7_11use_defaultEEES9_S9_S9_S9_S9_S9_S9_S9_EEEESB_EEENSN_IJSM_SM_EEESB_PlJNSF_9not_fun_tINSF_14equal_to_valueISA_EEEEEEE10hipError_tPvRmT3_T4_T5_T6_T7_T9_mT8_P12ihipStream_tbDpT10_ENKUlT_T0_E_clISt17integral_constantIbLb0EES1J_EEDaS1E_S1F_EUlS1E_E_NS1_11comp_targetILNS1_3genE3ELNS1_11target_archE908ELNS1_3gpuE7ELNS1_3repE0EEENS1_30default_config_static_selectorELNS0_4arch9wavefront6targetE0EEEvT1_: ; @_ZN7rocprim17ROCPRIM_400000_NS6detail17trampoline_kernelINS0_14default_configENS1_25partition_config_selectorILNS1_17partition_subalgoE6EN6thrust23THRUST_200600_302600_NS5tupleIxxNS7_9null_typeES9_S9_S9_S9_S9_S9_S9_EENS0_10empty_typeEbEEZZNS1_14partition_implILS5_6ELb0ES3_mNS7_12zip_iteratorINS8_INS7_6detail15normal_iteratorINS7_10device_ptrIxEEEESJ_S9_S9_S9_S9_S9_S9_S9_S9_EEEEPSB_SM_NS0_5tupleIJNSE_INS8_ISJ_NS7_16discard_iteratorINS7_11use_defaultEEES9_S9_S9_S9_S9_S9_S9_S9_EEEESB_EEENSN_IJSM_SM_EEESB_PlJNSF_9not_fun_tINSF_14equal_to_valueISA_EEEEEEE10hipError_tPvRmT3_T4_T5_T6_T7_T9_mT8_P12ihipStream_tbDpT10_ENKUlT_T0_E_clISt17integral_constantIbLb0EES1J_EEDaS1E_S1F_EUlS1E_E_NS1_11comp_targetILNS1_3genE3ELNS1_11target_archE908ELNS1_3gpuE7ELNS1_3repE0EEENS1_30default_config_static_selectorELNS0_4arch9wavefront6targetE0EEEvT1_
; %bb.0:
	.section	.rodata,"a",@progbits
	.p2align	6, 0x0
	.amdhsa_kernel _ZN7rocprim17ROCPRIM_400000_NS6detail17trampoline_kernelINS0_14default_configENS1_25partition_config_selectorILNS1_17partition_subalgoE6EN6thrust23THRUST_200600_302600_NS5tupleIxxNS7_9null_typeES9_S9_S9_S9_S9_S9_S9_EENS0_10empty_typeEbEEZZNS1_14partition_implILS5_6ELb0ES3_mNS7_12zip_iteratorINS8_INS7_6detail15normal_iteratorINS7_10device_ptrIxEEEESJ_S9_S9_S9_S9_S9_S9_S9_S9_EEEEPSB_SM_NS0_5tupleIJNSE_INS8_ISJ_NS7_16discard_iteratorINS7_11use_defaultEEES9_S9_S9_S9_S9_S9_S9_S9_EEEESB_EEENSN_IJSM_SM_EEESB_PlJNSF_9not_fun_tINSF_14equal_to_valueISA_EEEEEEE10hipError_tPvRmT3_T4_T5_T6_T7_T9_mT8_P12ihipStream_tbDpT10_ENKUlT_T0_E_clISt17integral_constantIbLb0EES1J_EEDaS1E_S1F_EUlS1E_E_NS1_11comp_targetILNS1_3genE3ELNS1_11target_archE908ELNS1_3gpuE7ELNS1_3repE0EEENS1_30default_config_static_selectorELNS0_4arch9wavefront6targetE0EEEvT1_
		.amdhsa_group_segment_fixed_size 0
		.amdhsa_private_segment_fixed_size 0
		.amdhsa_kernarg_size 152
		.amdhsa_user_sgpr_count 2
		.amdhsa_user_sgpr_dispatch_ptr 0
		.amdhsa_user_sgpr_queue_ptr 0
		.amdhsa_user_sgpr_kernarg_segment_ptr 1
		.amdhsa_user_sgpr_dispatch_id 0
		.amdhsa_user_sgpr_private_segment_size 0
		.amdhsa_wavefront_size32 1
		.amdhsa_uses_dynamic_stack 0
		.amdhsa_enable_private_segment 0
		.amdhsa_system_sgpr_workgroup_id_x 1
		.amdhsa_system_sgpr_workgroup_id_y 0
		.amdhsa_system_sgpr_workgroup_id_z 0
		.amdhsa_system_sgpr_workgroup_info 0
		.amdhsa_system_vgpr_workitem_id 0
		.amdhsa_next_free_vgpr 1
		.amdhsa_next_free_sgpr 1
		.amdhsa_reserve_vcc 0
		.amdhsa_float_round_mode_32 0
		.amdhsa_float_round_mode_16_64 0
		.amdhsa_float_denorm_mode_32 3
		.amdhsa_float_denorm_mode_16_64 3
		.amdhsa_fp16_overflow 0
		.amdhsa_workgroup_processor_mode 1
		.amdhsa_memory_ordered 1
		.amdhsa_forward_progress 1
		.amdhsa_inst_pref_size 0
		.amdhsa_round_robin_scheduling 0
		.amdhsa_exception_fp_ieee_invalid_op 0
		.amdhsa_exception_fp_denorm_src 0
		.amdhsa_exception_fp_ieee_div_zero 0
		.amdhsa_exception_fp_ieee_overflow 0
		.amdhsa_exception_fp_ieee_underflow 0
		.amdhsa_exception_fp_ieee_inexact 0
		.amdhsa_exception_int_div_zero 0
	.end_amdhsa_kernel
	.section	.text._ZN7rocprim17ROCPRIM_400000_NS6detail17trampoline_kernelINS0_14default_configENS1_25partition_config_selectorILNS1_17partition_subalgoE6EN6thrust23THRUST_200600_302600_NS5tupleIxxNS7_9null_typeES9_S9_S9_S9_S9_S9_S9_EENS0_10empty_typeEbEEZZNS1_14partition_implILS5_6ELb0ES3_mNS7_12zip_iteratorINS8_INS7_6detail15normal_iteratorINS7_10device_ptrIxEEEESJ_S9_S9_S9_S9_S9_S9_S9_S9_EEEEPSB_SM_NS0_5tupleIJNSE_INS8_ISJ_NS7_16discard_iteratorINS7_11use_defaultEEES9_S9_S9_S9_S9_S9_S9_S9_EEEESB_EEENSN_IJSM_SM_EEESB_PlJNSF_9not_fun_tINSF_14equal_to_valueISA_EEEEEEE10hipError_tPvRmT3_T4_T5_T6_T7_T9_mT8_P12ihipStream_tbDpT10_ENKUlT_T0_E_clISt17integral_constantIbLb0EES1J_EEDaS1E_S1F_EUlS1E_E_NS1_11comp_targetILNS1_3genE3ELNS1_11target_archE908ELNS1_3gpuE7ELNS1_3repE0EEENS1_30default_config_static_selectorELNS0_4arch9wavefront6targetE0EEEvT1_,"axG",@progbits,_ZN7rocprim17ROCPRIM_400000_NS6detail17trampoline_kernelINS0_14default_configENS1_25partition_config_selectorILNS1_17partition_subalgoE6EN6thrust23THRUST_200600_302600_NS5tupleIxxNS7_9null_typeES9_S9_S9_S9_S9_S9_S9_EENS0_10empty_typeEbEEZZNS1_14partition_implILS5_6ELb0ES3_mNS7_12zip_iteratorINS8_INS7_6detail15normal_iteratorINS7_10device_ptrIxEEEESJ_S9_S9_S9_S9_S9_S9_S9_S9_EEEEPSB_SM_NS0_5tupleIJNSE_INS8_ISJ_NS7_16discard_iteratorINS7_11use_defaultEEES9_S9_S9_S9_S9_S9_S9_S9_EEEESB_EEENSN_IJSM_SM_EEESB_PlJNSF_9not_fun_tINSF_14equal_to_valueISA_EEEEEEE10hipError_tPvRmT3_T4_T5_T6_T7_T9_mT8_P12ihipStream_tbDpT10_ENKUlT_T0_E_clISt17integral_constantIbLb0EES1J_EEDaS1E_S1F_EUlS1E_E_NS1_11comp_targetILNS1_3genE3ELNS1_11target_archE908ELNS1_3gpuE7ELNS1_3repE0EEENS1_30default_config_static_selectorELNS0_4arch9wavefront6targetE0EEEvT1_,comdat
.Lfunc_end1984:
	.size	_ZN7rocprim17ROCPRIM_400000_NS6detail17trampoline_kernelINS0_14default_configENS1_25partition_config_selectorILNS1_17partition_subalgoE6EN6thrust23THRUST_200600_302600_NS5tupleIxxNS7_9null_typeES9_S9_S9_S9_S9_S9_S9_EENS0_10empty_typeEbEEZZNS1_14partition_implILS5_6ELb0ES3_mNS7_12zip_iteratorINS8_INS7_6detail15normal_iteratorINS7_10device_ptrIxEEEESJ_S9_S9_S9_S9_S9_S9_S9_S9_EEEEPSB_SM_NS0_5tupleIJNSE_INS8_ISJ_NS7_16discard_iteratorINS7_11use_defaultEEES9_S9_S9_S9_S9_S9_S9_S9_EEEESB_EEENSN_IJSM_SM_EEESB_PlJNSF_9not_fun_tINSF_14equal_to_valueISA_EEEEEEE10hipError_tPvRmT3_T4_T5_T6_T7_T9_mT8_P12ihipStream_tbDpT10_ENKUlT_T0_E_clISt17integral_constantIbLb0EES1J_EEDaS1E_S1F_EUlS1E_E_NS1_11comp_targetILNS1_3genE3ELNS1_11target_archE908ELNS1_3gpuE7ELNS1_3repE0EEENS1_30default_config_static_selectorELNS0_4arch9wavefront6targetE0EEEvT1_, .Lfunc_end1984-_ZN7rocprim17ROCPRIM_400000_NS6detail17trampoline_kernelINS0_14default_configENS1_25partition_config_selectorILNS1_17partition_subalgoE6EN6thrust23THRUST_200600_302600_NS5tupleIxxNS7_9null_typeES9_S9_S9_S9_S9_S9_S9_EENS0_10empty_typeEbEEZZNS1_14partition_implILS5_6ELb0ES3_mNS7_12zip_iteratorINS8_INS7_6detail15normal_iteratorINS7_10device_ptrIxEEEESJ_S9_S9_S9_S9_S9_S9_S9_S9_EEEEPSB_SM_NS0_5tupleIJNSE_INS8_ISJ_NS7_16discard_iteratorINS7_11use_defaultEEES9_S9_S9_S9_S9_S9_S9_S9_EEEESB_EEENSN_IJSM_SM_EEESB_PlJNSF_9not_fun_tINSF_14equal_to_valueISA_EEEEEEE10hipError_tPvRmT3_T4_T5_T6_T7_T9_mT8_P12ihipStream_tbDpT10_ENKUlT_T0_E_clISt17integral_constantIbLb0EES1J_EEDaS1E_S1F_EUlS1E_E_NS1_11comp_targetILNS1_3genE3ELNS1_11target_archE908ELNS1_3gpuE7ELNS1_3repE0EEENS1_30default_config_static_selectorELNS0_4arch9wavefront6targetE0EEEvT1_
                                        ; -- End function
	.set _ZN7rocprim17ROCPRIM_400000_NS6detail17trampoline_kernelINS0_14default_configENS1_25partition_config_selectorILNS1_17partition_subalgoE6EN6thrust23THRUST_200600_302600_NS5tupleIxxNS7_9null_typeES9_S9_S9_S9_S9_S9_S9_EENS0_10empty_typeEbEEZZNS1_14partition_implILS5_6ELb0ES3_mNS7_12zip_iteratorINS8_INS7_6detail15normal_iteratorINS7_10device_ptrIxEEEESJ_S9_S9_S9_S9_S9_S9_S9_S9_EEEEPSB_SM_NS0_5tupleIJNSE_INS8_ISJ_NS7_16discard_iteratorINS7_11use_defaultEEES9_S9_S9_S9_S9_S9_S9_S9_EEEESB_EEENSN_IJSM_SM_EEESB_PlJNSF_9not_fun_tINSF_14equal_to_valueISA_EEEEEEE10hipError_tPvRmT3_T4_T5_T6_T7_T9_mT8_P12ihipStream_tbDpT10_ENKUlT_T0_E_clISt17integral_constantIbLb0EES1J_EEDaS1E_S1F_EUlS1E_E_NS1_11comp_targetILNS1_3genE3ELNS1_11target_archE908ELNS1_3gpuE7ELNS1_3repE0EEENS1_30default_config_static_selectorELNS0_4arch9wavefront6targetE0EEEvT1_.num_vgpr, 0
	.set _ZN7rocprim17ROCPRIM_400000_NS6detail17trampoline_kernelINS0_14default_configENS1_25partition_config_selectorILNS1_17partition_subalgoE6EN6thrust23THRUST_200600_302600_NS5tupleIxxNS7_9null_typeES9_S9_S9_S9_S9_S9_S9_EENS0_10empty_typeEbEEZZNS1_14partition_implILS5_6ELb0ES3_mNS7_12zip_iteratorINS8_INS7_6detail15normal_iteratorINS7_10device_ptrIxEEEESJ_S9_S9_S9_S9_S9_S9_S9_S9_EEEEPSB_SM_NS0_5tupleIJNSE_INS8_ISJ_NS7_16discard_iteratorINS7_11use_defaultEEES9_S9_S9_S9_S9_S9_S9_S9_EEEESB_EEENSN_IJSM_SM_EEESB_PlJNSF_9not_fun_tINSF_14equal_to_valueISA_EEEEEEE10hipError_tPvRmT3_T4_T5_T6_T7_T9_mT8_P12ihipStream_tbDpT10_ENKUlT_T0_E_clISt17integral_constantIbLb0EES1J_EEDaS1E_S1F_EUlS1E_E_NS1_11comp_targetILNS1_3genE3ELNS1_11target_archE908ELNS1_3gpuE7ELNS1_3repE0EEENS1_30default_config_static_selectorELNS0_4arch9wavefront6targetE0EEEvT1_.num_agpr, 0
	.set _ZN7rocprim17ROCPRIM_400000_NS6detail17trampoline_kernelINS0_14default_configENS1_25partition_config_selectorILNS1_17partition_subalgoE6EN6thrust23THRUST_200600_302600_NS5tupleIxxNS7_9null_typeES9_S9_S9_S9_S9_S9_S9_EENS0_10empty_typeEbEEZZNS1_14partition_implILS5_6ELb0ES3_mNS7_12zip_iteratorINS8_INS7_6detail15normal_iteratorINS7_10device_ptrIxEEEESJ_S9_S9_S9_S9_S9_S9_S9_S9_EEEEPSB_SM_NS0_5tupleIJNSE_INS8_ISJ_NS7_16discard_iteratorINS7_11use_defaultEEES9_S9_S9_S9_S9_S9_S9_S9_EEEESB_EEENSN_IJSM_SM_EEESB_PlJNSF_9not_fun_tINSF_14equal_to_valueISA_EEEEEEE10hipError_tPvRmT3_T4_T5_T6_T7_T9_mT8_P12ihipStream_tbDpT10_ENKUlT_T0_E_clISt17integral_constantIbLb0EES1J_EEDaS1E_S1F_EUlS1E_E_NS1_11comp_targetILNS1_3genE3ELNS1_11target_archE908ELNS1_3gpuE7ELNS1_3repE0EEENS1_30default_config_static_selectorELNS0_4arch9wavefront6targetE0EEEvT1_.numbered_sgpr, 0
	.set _ZN7rocprim17ROCPRIM_400000_NS6detail17trampoline_kernelINS0_14default_configENS1_25partition_config_selectorILNS1_17partition_subalgoE6EN6thrust23THRUST_200600_302600_NS5tupleIxxNS7_9null_typeES9_S9_S9_S9_S9_S9_S9_EENS0_10empty_typeEbEEZZNS1_14partition_implILS5_6ELb0ES3_mNS7_12zip_iteratorINS8_INS7_6detail15normal_iteratorINS7_10device_ptrIxEEEESJ_S9_S9_S9_S9_S9_S9_S9_S9_EEEEPSB_SM_NS0_5tupleIJNSE_INS8_ISJ_NS7_16discard_iteratorINS7_11use_defaultEEES9_S9_S9_S9_S9_S9_S9_S9_EEEESB_EEENSN_IJSM_SM_EEESB_PlJNSF_9not_fun_tINSF_14equal_to_valueISA_EEEEEEE10hipError_tPvRmT3_T4_T5_T6_T7_T9_mT8_P12ihipStream_tbDpT10_ENKUlT_T0_E_clISt17integral_constantIbLb0EES1J_EEDaS1E_S1F_EUlS1E_E_NS1_11comp_targetILNS1_3genE3ELNS1_11target_archE908ELNS1_3gpuE7ELNS1_3repE0EEENS1_30default_config_static_selectorELNS0_4arch9wavefront6targetE0EEEvT1_.num_named_barrier, 0
	.set _ZN7rocprim17ROCPRIM_400000_NS6detail17trampoline_kernelINS0_14default_configENS1_25partition_config_selectorILNS1_17partition_subalgoE6EN6thrust23THRUST_200600_302600_NS5tupleIxxNS7_9null_typeES9_S9_S9_S9_S9_S9_S9_EENS0_10empty_typeEbEEZZNS1_14partition_implILS5_6ELb0ES3_mNS7_12zip_iteratorINS8_INS7_6detail15normal_iteratorINS7_10device_ptrIxEEEESJ_S9_S9_S9_S9_S9_S9_S9_S9_EEEEPSB_SM_NS0_5tupleIJNSE_INS8_ISJ_NS7_16discard_iteratorINS7_11use_defaultEEES9_S9_S9_S9_S9_S9_S9_S9_EEEESB_EEENSN_IJSM_SM_EEESB_PlJNSF_9not_fun_tINSF_14equal_to_valueISA_EEEEEEE10hipError_tPvRmT3_T4_T5_T6_T7_T9_mT8_P12ihipStream_tbDpT10_ENKUlT_T0_E_clISt17integral_constantIbLb0EES1J_EEDaS1E_S1F_EUlS1E_E_NS1_11comp_targetILNS1_3genE3ELNS1_11target_archE908ELNS1_3gpuE7ELNS1_3repE0EEENS1_30default_config_static_selectorELNS0_4arch9wavefront6targetE0EEEvT1_.private_seg_size, 0
	.set _ZN7rocprim17ROCPRIM_400000_NS6detail17trampoline_kernelINS0_14default_configENS1_25partition_config_selectorILNS1_17partition_subalgoE6EN6thrust23THRUST_200600_302600_NS5tupleIxxNS7_9null_typeES9_S9_S9_S9_S9_S9_S9_EENS0_10empty_typeEbEEZZNS1_14partition_implILS5_6ELb0ES3_mNS7_12zip_iteratorINS8_INS7_6detail15normal_iteratorINS7_10device_ptrIxEEEESJ_S9_S9_S9_S9_S9_S9_S9_S9_EEEEPSB_SM_NS0_5tupleIJNSE_INS8_ISJ_NS7_16discard_iteratorINS7_11use_defaultEEES9_S9_S9_S9_S9_S9_S9_S9_EEEESB_EEENSN_IJSM_SM_EEESB_PlJNSF_9not_fun_tINSF_14equal_to_valueISA_EEEEEEE10hipError_tPvRmT3_T4_T5_T6_T7_T9_mT8_P12ihipStream_tbDpT10_ENKUlT_T0_E_clISt17integral_constantIbLb0EES1J_EEDaS1E_S1F_EUlS1E_E_NS1_11comp_targetILNS1_3genE3ELNS1_11target_archE908ELNS1_3gpuE7ELNS1_3repE0EEENS1_30default_config_static_selectorELNS0_4arch9wavefront6targetE0EEEvT1_.uses_vcc, 0
	.set _ZN7rocprim17ROCPRIM_400000_NS6detail17trampoline_kernelINS0_14default_configENS1_25partition_config_selectorILNS1_17partition_subalgoE6EN6thrust23THRUST_200600_302600_NS5tupleIxxNS7_9null_typeES9_S9_S9_S9_S9_S9_S9_EENS0_10empty_typeEbEEZZNS1_14partition_implILS5_6ELb0ES3_mNS7_12zip_iteratorINS8_INS7_6detail15normal_iteratorINS7_10device_ptrIxEEEESJ_S9_S9_S9_S9_S9_S9_S9_S9_EEEEPSB_SM_NS0_5tupleIJNSE_INS8_ISJ_NS7_16discard_iteratorINS7_11use_defaultEEES9_S9_S9_S9_S9_S9_S9_S9_EEEESB_EEENSN_IJSM_SM_EEESB_PlJNSF_9not_fun_tINSF_14equal_to_valueISA_EEEEEEE10hipError_tPvRmT3_T4_T5_T6_T7_T9_mT8_P12ihipStream_tbDpT10_ENKUlT_T0_E_clISt17integral_constantIbLb0EES1J_EEDaS1E_S1F_EUlS1E_E_NS1_11comp_targetILNS1_3genE3ELNS1_11target_archE908ELNS1_3gpuE7ELNS1_3repE0EEENS1_30default_config_static_selectorELNS0_4arch9wavefront6targetE0EEEvT1_.uses_flat_scratch, 0
	.set _ZN7rocprim17ROCPRIM_400000_NS6detail17trampoline_kernelINS0_14default_configENS1_25partition_config_selectorILNS1_17partition_subalgoE6EN6thrust23THRUST_200600_302600_NS5tupleIxxNS7_9null_typeES9_S9_S9_S9_S9_S9_S9_EENS0_10empty_typeEbEEZZNS1_14partition_implILS5_6ELb0ES3_mNS7_12zip_iteratorINS8_INS7_6detail15normal_iteratorINS7_10device_ptrIxEEEESJ_S9_S9_S9_S9_S9_S9_S9_S9_EEEEPSB_SM_NS0_5tupleIJNSE_INS8_ISJ_NS7_16discard_iteratorINS7_11use_defaultEEES9_S9_S9_S9_S9_S9_S9_S9_EEEESB_EEENSN_IJSM_SM_EEESB_PlJNSF_9not_fun_tINSF_14equal_to_valueISA_EEEEEEE10hipError_tPvRmT3_T4_T5_T6_T7_T9_mT8_P12ihipStream_tbDpT10_ENKUlT_T0_E_clISt17integral_constantIbLb0EES1J_EEDaS1E_S1F_EUlS1E_E_NS1_11comp_targetILNS1_3genE3ELNS1_11target_archE908ELNS1_3gpuE7ELNS1_3repE0EEENS1_30default_config_static_selectorELNS0_4arch9wavefront6targetE0EEEvT1_.has_dyn_sized_stack, 0
	.set _ZN7rocprim17ROCPRIM_400000_NS6detail17trampoline_kernelINS0_14default_configENS1_25partition_config_selectorILNS1_17partition_subalgoE6EN6thrust23THRUST_200600_302600_NS5tupleIxxNS7_9null_typeES9_S9_S9_S9_S9_S9_S9_EENS0_10empty_typeEbEEZZNS1_14partition_implILS5_6ELb0ES3_mNS7_12zip_iteratorINS8_INS7_6detail15normal_iteratorINS7_10device_ptrIxEEEESJ_S9_S9_S9_S9_S9_S9_S9_S9_EEEEPSB_SM_NS0_5tupleIJNSE_INS8_ISJ_NS7_16discard_iteratorINS7_11use_defaultEEES9_S9_S9_S9_S9_S9_S9_S9_EEEESB_EEENSN_IJSM_SM_EEESB_PlJNSF_9not_fun_tINSF_14equal_to_valueISA_EEEEEEE10hipError_tPvRmT3_T4_T5_T6_T7_T9_mT8_P12ihipStream_tbDpT10_ENKUlT_T0_E_clISt17integral_constantIbLb0EES1J_EEDaS1E_S1F_EUlS1E_E_NS1_11comp_targetILNS1_3genE3ELNS1_11target_archE908ELNS1_3gpuE7ELNS1_3repE0EEENS1_30default_config_static_selectorELNS0_4arch9wavefront6targetE0EEEvT1_.has_recursion, 0
	.set _ZN7rocprim17ROCPRIM_400000_NS6detail17trampoline_kernelINS0_14default_configENS1_25partition_config_selectorILNS1_17partition_subalgoE6EN6thrust23THRUST_200600_302600_NS5tupleIxxNS7_9null_typeES9_S9_S9_S9_S9_S9_S9_EENS0_10empty_typeEbEEZZNS1_14partition_implILS5_6ELb0ES3_mNS7_12zip_iteratorINS8_INS7_6detail15normal_iteratorINS7_10device_ptrIxEEEESJ_S9_S9_S9_S9_S9_S9_S9_S9_EEEEPSB_SM_NS0_5tupleIJNSE_INS8_ISJ_NS7_16discard_iteratorINS7_11use_defaultEEES9_S9_S9_S9_S9_S9_S9_S9_EEEESB_EEENSN_IJSM_SM_EEESB_PlJNSF_9not_fun_tINSF_14equal_to_valueISA_EEEEEEE10hipError_tPvRmT3_T4_T5_T6_T7_T9_mT8_P12ihipStream_tbDpT10_ENKUlT_T0_E_clISt17integral_constantIbLb0EES1J_EEDaS1E_S1F_EUlS1E_E_NS1_11comp_targetILNS1_3genE3ELNS1_11target_archE908ELNS1_3gpuE7ELNS1_3repE0EEENS1_30default_config_static_selectorELNS0_4arch9wavefront6targetE0EEEvT1_.has_indirect_call, 0
	.section	.AMDGPU.csdata,"",@progbits
; Kernel info:
; codeLenInByte = 0
; TotalNumSgprs: 0
; NumVgprs: 0
; ScratchSize: 0
; MemoryBound: 0
; FloatMode: 240
; IeeeMode: 1
; LDSByteSize: 0 bytes/workgroup (compile time only)
; SGPRBlocks: 0
; VGPRBlocks: 0
; NumSGPRsForWavesPerEU: 1
; NumVGPRsForWavesPerEU: 1
; Occupancy: 16
; WaveLimiterHint : 0
; COMPUTE_PGM_RSRC2:SCRATCH_EN: 0
; COMPUTE_PGM_RSRC2:USER_SGPR: 2
; COMPUTE_PGM_RSRC2:TRAP_HANDLER: 0
; COMPUTE_PGM_RSRC2:TGID_X_EN: 1
; COMPUTE_PGM_RSRC2:TGID_Y_EN: 0
; COMPUTE_PGM_RSRC2:TGID_Z_EN: 0
; COMPUTE_PGM_RSRC2:TIDIG_COMP_CNT: 0
	.section	.text._ZN7rocprim17ROCPRIM_400000_NS6detail17trampoline_kernelINS0_14default_configENS1_25partition_config_selectorILNS1_17partition_subalgoE6EN6thrust23THRUST_200600_302600_NS5tupleIxxNS7_9null_typeES9_S9_S9_S9_S9_S9_S9_EENS0_10empty_typeEbEEZZNS1_14partition_implILS5_6ELb0ES3_mNS7_12zip_iteratorINS8_INS7_6detail15normal_iteratorINS7_10device_ptrIxEEEESJ_S9_S9_S9_S9_S9_S9_S9_S9_EEEEPSB_SM_NS0_5tupleIJNSE_INS8_ISJ_NS7_16discard_iteratorINS7_11use_defaultEEES9_S9_S9_S9_S9_S9_S9_S9_EEEESB_EEENSN_IJSM_SM_EEESB_PlJNSF_9not_fun_tINSF_14equal_to_valueISA_EEEEEEE10hipError_tPvRmT3_T4_T5_T6_T7_T9_mT8_P12ihipStream_tbDpT10_ENKUlT_T0_E_clISt17integral_constantIbLb0EES1J_EEDaS1E_S1F_EUlS1E_E_NS1_11comp_targetILNS1_3genE2ELNS1_11target_archE906ELNS1_3gpuE6ELNS1_3repE0EEENS1_30default_config_static_selectorELNS0_4arch9wavefront6targetE0EEEvT1_,"axG",@progbits,_ZN7rocprim17ROCPRIM_400000_NS6detail17trampoline_kernelINS0_14default_configENS1_25partition_config_selectorILNS1_17partition_subalgoE6EN6thrust23THRUST_200600_302600_NS5tupleIxxNS7_9null_typeES9_S9_S9_S9_S9_S9_S9_EENS0_10empty_typeEbEEZZNS1_14partition_implILS5_6ELb0ES3_mNS7_12zip_iteratorINS8_INS7_6detail15normal_iteratorINS7_10device_ptrIxEEEESJ_S9_S9_S9_S9_S9_S9_S9_S9_EEEEPSB_SM_NS0_5tupleIJNSE_INS8_ISJ_NS7_16discard_iteratorINS7_11use_defaultEEES9_S9_S9_S9_S9_S9_S9_S9_EEEESB_EEENSN_IJSM_SM_EEESB_PlJNSF_9not_fun_tINSF_14equal_to_valueISA_EEEEEEE10hipError_tPvRmT3_T4_T5_T6_T7_T9_mT8_P12ihipStream_tbDpT10_ENKUlT_T0_E_clISt17integral_constantIbLb0EES1J_EEDaS1E_S1F_EUlS1E_E_NS1_11comp_targetILNS1_3genE2ELNS1_11target_archE906ELNS1_3gpuE6ELNS1_3repE0EEENS1_30default_config_static_selectorELNS0_4arch9wavefront6targetE0EEEvT1_,comdat
	.protected	_ZN7rocprim17ROCPRIM_400000_NS6detail17trampoline_kernelINS0_14default_configENS1_25partition_config_selectorILNS1_17partition_subalgoE6EN6thrust23THRUST_200600_302600_NS5tupleIxxNS7_9null_typeES9_S9_S9_S9_S9_S9_S9_EENS0_10empty_typeEbEEZZNS1_14partition_implILS5_6ELb0ES3_mNS7_12zip_iteratorINS8_INS7_6detail15normal_iteratorINS7_10device_ptrIxEEEESJ_S9_S9_S9_S9_S9_S9_S9_S9_EEEEPSB_SM_NS0_5tupleIJNSE_INS8_ISJ_NS7_16discard_iteratorINS7_11use_defaultEEES9_S9_S9_S9_S9_S9_S9_S9_EEEESB_EEENSN_IJSM_SM_EEESB_PlJNSF_9not_fun_tINSF_14equal_to_valueISA_EEEEEEE10hipError_tPvRmT3_T4_T5_T6_T7_T9_mT8_P12ihipStream_tbDpT10_ENKUlT_T0_E_clISt17integral_constantIbLb0EES1J_EEDaS1E_S1F_EUlS1E_E_NS1_11comp_targetILNS1_3genE2ELNS1_11target_archE906ELNS1_3gpuE6ELNS1_3repE0EEENS1_30default_config_static_selectorELNS0_4arch9wavefront6targetE0EEEvT1_ ; -- Begin function _ZN7rocprim17ROCPRIM_400000_NS6detail17trampoline_kernelINS0_14default_configENS1_25partition_config_selectorILNS1_17partition_subalgoE6EN6thrust23THRUST_200600_302600_NS5tupleIxxNS7_9null_typeES9_S9_S9_S9_S9_S9_S9_EENS0_10empty_typeEbEEZZNS1_14partition_implILS5_6ELb0ES3_mNS7_12zip_iteratorINS8_INS7_6detail15normal_iteratorINS7_10device_ptrIxEEEESJ_S9_S9_S9_S9_S9_S9_S9_S9_EEEEPSB_SM_NS0_5tupleIJNSE_INS8_ISJ_NS7_16discard_iteratorINS7_11use_defaultEEES9_S9_S9_S9_S9_S9_S9_S9_EEEESB_EEENSN_IJSM_SM_EEESB_PlJNSF_9not_fun_tINSF_14equal_to_valueISA_EEEEEEE10hipError_tPvRmT3_T4_T5_T6_T7_T9_mT8_P12ihipStream_tbDpT10_ENKUlT_T0_E_clISt17integral_constantIbLb0EES1J_EEDaS1E_S1F_EUlS1E_E_NS1_11comp_targetILNS1_3genE2ELNS1_11target_archE906ELNS1_3gpuE6ELNS1_3repE0EEENS1_30default_config_static_selectorELNS0_4arch9wavefront6targetE0EEEvT1_
	.globl	_ZN7rocprim17ROCPRIM_400000_NS6detail17trampoline_kernelINS0_14default_configENS1_25partition_config_selectorILNS1_17partition_subalgoE6EN6thrust23THRUST_200600_302600_NS5tupleIxxNS7_9null_typeES9_S9_S9_S9_S9_S9_S9_EENS0_10empty_typeEbEEZZNS1_14partition_implILS5_6ELb0ES3_mNS7_12zip_iteratorINS8_INS7_6detail15normal_iteratorINS7_10device_ptrIxEEEESJ_S9_S9_S9_S9_S9_S9_S9_S9_EEEEPSB_SM_NS0_5tupleIJNSE_INS8_ISJ_NS7_16discard_iteratorINS7_11use_defaultEEES9_S9_S9_S9_S9_S9_S9_S9_EEEESB_EEENSN_IJSM_SM_EEESB_PlJNSF_9not_fun_tINSF_14equal_to_valueISA_EEEEEEE10hipError_tPvRmT3_T4_T5_T6_T7_T9_mT8_P12ihipStream_tbDpT10_ENKUlT_T0_E_clISt17integral_constantIbLb0EES1J_EEDaS1E_S1F_EUlS1E_E_NS1_11comp_targetILNS1_3genE2ELNS1_11target_archE906ELNS1_3gpuE6ELNS1_3repE0EEENS1_30default_config_static_selectorELNS0_4arch9wavefront6targetE0EEEvT1_
	.p2align	8
	.type	_ZN7rocprim17ROCPRIM_400000_NS6detail17trampoline_kernelINS0_14default_configENS1_25partition_config_selectorILNS1_17partition_subalgoE6EN6thrust23THRUST_200600_302600_NS5tupleIxxNS7_9null_typeES9_S9_S9_S9_S9_S9_S9_EENS0_10empty_typeEbEEZZNS1_14partition_implILS5_6ELb0ES3_mNS7_12zip_iteratorINS8_INS7_6detail15normal_iteratorINS7_10device_ptrIxEEEESJ_S9_S9_S9_S9_S9_S9_S9_S9_EEEEPSB_SM_NS0_5tupleIJNSE_INS8_ISJ_NS7_16discard_iteratorINS7_11use_defaultEEES9_S9_S9_S9_S9_S9_S9_S9_EEEESB_EEENSN_IJSM_SM_EEESB_PlJNSF_9not_fun_tINSF_14equal_to_valueISA_EEEEEEE10hipError_tPvRmT3_T4_T5_T6_T7_T9_mT8_P12ihipStream_tbDpT10_ENKUlT_T0_E_clISt17integral_constantIbLb0EES1J_EEDaS1E_S1F_EUlS1E_E_NS1_11comp_targetILNS1_3genE2ELNS1_11target_archE906ELNS1_3gpuE6ELNS1_3repE0EEENS1_30default_config_static_selectorELNS0_4arch9wavefront6targetE0EEEvT1_,@function
_ZN7rocprim17ROCPRIM_400000_NS6detail17trampoline_kernelINS0_14default_configENS1_25partition_config_selectorILNS1_17partition_subalgoE6EN6thrust23THRUST_200600_302600_NS5tupleIxxNS7_9null_typeES9_S9_S9_S9_S9_S9_S9_EENS0_10empty_typeEbEEZZNS1_14partition_implILS5_6ELb0ES3_mNS7_12zip_iteratorINS8_INS7_6detail15normal_iteratorINS7_10device_ptrIxEEEESJ_S9_S9_S9_S9_S9_S9_S9_S9_EEEEPSB_SM_NS0_5tupleIJNSE_INS8_ISJ_NS7_16discard_iteratorINS7_11use_defaultEEES9_S9_S9_S9_S9_S9_S9_S9_EEEESB_EEENSN_IJSM_SM_EEESB_PlJNSF_9not_fun_tINSF_14equal_to_valueISA_EEEEEEE10hipError_tPvRmT3_T4_T5_T6_T7_T9_mT8_P12ihipStream_tbDpT10_ENKUlT_T0_E_clISt17integral_constantIbLb0EES1J_EEDaS1E_S1F_EUlS1E_E_NS1_11comp_targetILNS1_3genE2ELNS1_11target_archE906ELNS1_3gpuE6ELNS1_3repE0EEENS1_30default_config_static_selectorELNS0_4arch9wavefront6targetE0EEEvT1_: ; @_ZN7rocprim17ROCPRIM_400000_NS6detail17trampoline_kernelINS0_14default_configENS1_25partition_config_selectorILNS1_17partition_subalgoE6EN6thrust23THRUST_200600_302600_NS5tupleIxxNS7_9null_typeES9_S9_S9_S9_S9_S9_S9_EENS0_10empty_typeEbEEZZNS1_14partition_implILS5_6ELb0ES3_mNS7_12zip_iteratorINS8_INS7_6detail15normal_iteratorINS7_10device_ptrIxEEEESJ_S9_S9_S9_S9_S9_S9_S9_S9_EEEEPSB_SM_NS0_5tupleIJNSE_INS8_ISJ_NS7_16discard_iteratorINS7_11use_defaultEEES9_S9_S9_S9_S9_S9_S9_S9_EEEESB_EEENSN_IJSM_SM_EEESB_PlJNSF_9not_fun_tINSF_14equal_to_valueISA_EEEEEEE10hipError_tPvRmT3_T4_T5_T6_T7_T9_mT8_P12ihipStream_tbDpT10_ENKUlT_T0_E_clISt17integral_constantIbLb0EES1J_EEDaS1E_S1F_EUlS1E_E_NS1_11comp_targetILNS1_3genE2ELNS1_11target_archE906ELNS1_3gpuE6ELNS1_3repE0EEENS1_30default_config_static_selectorELNS0_4arch9wavefront6targetE0EEEvT1_
; %bb.0:
	.section	.rodata,"a",@progbits
	.p2align	6, 0x0
	.amdhsa_kernel _ZN7rocprim17ROCPRIM_400000_NS6detail17trampoline_kernelINS0_14default_configENS1_25partition_config_selectorILNS1_17partition_subalgoE6EN6thrust23THRUST_200600_302600_NS5tupleIxxNS7_9null_typeES9_S9_S9_S9_S9_S9_S9_EENS0_10empty_typeEbEEZZNS1_14partition_implILS5_6ELb0ES3_mNS7_12zip_iteratorINS8_INS7_6detail15normal_iteratorINS7_10device_ptrIxEEEESJ_S9_S9_S9_S9_S9_S9_S9_S9_EEEEPSB_SM_NS0_5tupleIJNSE_INS8_ISJ_NS7_16discard_iteratorINS7_11use_defaultEEES9_S9_S9_S9_S9_S9_S9_S9_EEEESB_EEENSN_IJSM_SM_EEESB_PlJNSF_9not_fun_tINSF_14equal_to_valueISA_EEEEEEE10hipError_tPvRmT3_T4_T5_T6_T7_T9_mT8_P12ihipStream_tbDpT10_ENKUlT_T0_E_clISt17integral_constantIbLb0EES1J_EEDaS1E_S1F_EUlS1E_E_NS1_11comp_targetILNS1_3genE2ELNS1_11target_archE906ELNS1_3gpuE6ELNS1_3repE0EEENS1_30default_config_static_selectorELNS0_4arch9wavefront6targetE0EEEvT1_
		.amdhsa_group_segment_fixed_size 0
		.amdhsa_private_segment_fixed_size 0
		.amdhsa_kernarg_size 152
		.amdhsa_user_sgpr_count 2
		.amdhsa_user_sgpr_dispatch_ptr 0
		.amdhsa_user_sgpr_queue_ptr 0
		.amdhsa_user_sgpr_kernarg_segment_ptr 1
		.amdhsa_user_sgpr_dispatch_id 0
		.amdhsa_user_sgpr_private_segment_size 0
		.amdhsa_wavefront_size32 1
		.amdhsa_uses_dynamic_stack 0
		.amdhsa_enable_private_segment 0
		.amdhsa_system_sgpr_workgroup_id_x 1
		.amdhsa_system_sgpr_workgroup_id_y 0
		.amdhsa_system_sgpr_workgroup_id_z 0
		.amdhsa_system_sgpr_workgroup_info 0
		.amdhsa_system_vgpr_workitem_id 0
		.amdhsa_next_free_vgpr 1
		.amdhsa_next_free_sgpr 1
		.amdhsa_reserve_vcc 0
		.amdhsa_float_round_mode_32 0
		.amdhsa_float_round_mode_16_64 0
		.amdhsa_float_denorm_mode_32 3
		.amdhsa_float_denorm_mode_16_64 3
		.amdhsa_fp16_overflow 0
		.amdhsa_workgroup_processor_mode 1
		.amdhsa_memory_ordered 1
		.amdhsa_forward_progress 1
		.amdhsa_inst_pref_size 0
		.amdhsa_round_robin_scheduling 0
		.amdhsa_exception_fp_ieee_invalid_op 0
		.amdhsa_exception_fp_denorm_src 0
		.amdhsa_exception_fp_ieee_div_zero 0
		.amdhsa_exception_fp_ieee_overflow 0
		.amdhsa_exception_fp_ieee_underflow 0
		.amdhsa_exception_fp_ieee_inexact 0
		.amdhsa_exception_int_div_zero 0
	.end_amdhsa_kernel
	.section	.text._ZN7rocprim17ROCPRIM_400000_NS6detail17trampoline_kernelINS0_14default_configENS1_25partition_config_selectorILNS1_17partition_subalgoE6EN6thrust23THRUST_200600_302600_NS5tupleIxxNS7_9null_typeES9_S9_S9_S9_S9_S9_S9_EENS0_10empty_typeEbEEZZNS1_14partition_implILS5_6ELb0ES3_mNS7_12zip_iteratorINS8_INS7_6detail15normal_iteratorINS7_10device_ptrIxEEEESJ_S9_S9_S9_S9_S9_S9_S9_S9_EEEEPSB_SM_NS0_5tupleIJNSE_INS8_ISJ_NS7_16discard_iteratorINS7_11use_defaultEEES9_S9_S9_S9_S9_S9_S9_S9_EEEESB_EEENSN_IJSM_SM_EEESB_PlJNSF_9not_fun_tINSF_14equal_to_valueISA_EEEEEEE10hipError_tPvRmT3_T4_T5_T6_T7_T9_mT8_P12ihipStream_tbDpT10_ENKUlT_T0_E_clISt17integral_constantIbLb0EES1J_EEDaS1E_S1F_EUlS1E_E_NS1_11comp_targetILNS1_3genE2ELNS1_11target_archE906ELNS1_3gpuE6ELNS1_3repE0EEENS1_30default_config_static_selectorELNS0_4arch9wavefront6targetE0EEEvT1_,"axG",@progbits,_ZN7rocprim17ROCPRIM_400000_NS6detail17trampoline_kernelINS0_14default_configENS1_25partition_config_selectorILNS1_17partition_subalgoE6EN6thrust23THRUST_200600_302600_NS5tupleIxxNS7_9null_typeES9_S9_S9_S9_S9_S9_S9_EENS0_10empty_typeEbEEZZNS1_14partition_implILS5_6ELb0ES3_mNS7_12zip_iteratorINS8_INS7_6detail15normal_iteratorINS7_10device_ptrIxEEEESJ_S9_S9_S9_S9_S9_S9_S9_S9_EEEEPSB_SM_NS0_5tupleIJNSE_INS8_ISJ_NS7_16discard_iteratorINS7_11use_defaultEEES9_S9_S9_S9_S9_S9_S9_S9_EEEESB_EEENSN_IJSM_SM_EEESB_PlJNSF_9not_fun_tINSF_14equal_to_valueISA_EEEEEEE10hipError_tPvRmT3_T4_T5_T6_T7_T9_mT8_P12ihipStream_tbDpT10_ENKUlT_T0_E_clISt17integral_constantIbLb0EES1J_EEDaS1E_S1F_EUlS1E_E_NS1_11comp_targetILNS1_3genE2ELNS1_11target_archE906ELNS1_3gpuE6ELNS1_3repE0EEENS1_30default_config_static_selectorELNS0_4arch9wavefront6targetE0EEEvT1_,comdat
.Lfunc_end1985:
	.size	_ZN7rocprim17ROCPRIM_400000_NS6detail17trampoline_kernelINS0_14default_configENS1_25partition_config_selectorILNS1_17partition_subalgoE6EN6thrust23THRUST_200600_302600_NS5tupleIxxNS7_9null_typeES9_S9_S9_S9_S9_S9_S9_EENS0_10empty_typeEbEEZZNS1_14partition_implILS5_6ELb0ES3_mNS7_12zip_iteratorINS8_INS7_6detail15normal_iteratorINS7_10device_ptrIxEEEESJ_S9_S9_S9_S9_S9_S9_S9_S9_EEEEPSB_SM_NS0_5tupleIJNSE_INS8_ISJ_NS7_16discard_iteratorINS7_11use_defaultEEES9_S9_S9_S9_S9_S9_S9_S9_EEEESB_EEENSN_IJSM_SM_EEESB_PlJNSF_9not_fun_tINSF_14equal_to_valueISA_EEEEEEE10hipError_tPvRmT3_T4_T5_T6_T7_T9_mT8_P12ihipStream_tbDpT10_ENKUlT_T0_E_clISt17integral_constantIbLb0EES1J_EEDaS1E_S1F_EUlS1E_E_NS1_11comp_targetILNS1_3genE2ELNS1_11target_archE906ELNS1_3gpuE6ELNS1_3repE0EEENS1_30default_config_static_selectorELNS0_4arch9wavefront6targetE0EEEvT1_, .Lfunc_end1985-_ZN7rocprim17ROCPRIM_400000_NS6detail17trampoline_kernelINS0_14default_configENS1_25partition_config_selectorILNS1_17partition_subalgoE6EN6thrust23THRUST_200600_302600_NS5tupleIxxNS7_9null_typeES9_S9_S9_S9_S9_S9_S9_EENS0_10empty_typeEbEEZZNS1_14partition_implILS5_6ELb0ES3_mNS7_12zip_iteratorINS8_INS7_6detail15normal_iteratorINS7_10device_ptrIxEEEESJ_S9_S9_S9_S9_S9_S9_S9_S9_EEEEPSB_SM_NS0_5tupleIJNSE_INS8_ISJ_NS7_16discard_iteratorINS7_11use_defaultEEES9_S9_S9_S9_S9_S9_S9_S9_EEEESB_EEENSN_IJSM_SM_EEESB_PlJNSF_9not_fun_tINSF_14equal_to_valueISA_EEEEEEE10hipError_tPvRmT3_T4_T5_T6_T7_T9_mT8_P12ihipStream_tbDpT10_ENKUlT_T0_E_clISt17integral_constantIbLb0EES1J_EEDaS1E_S1F_EUlS1E_E_NS1_11comp_targetILNS1_3genE2ELNS1_11target_archE906ELNS1_3gpuE6ELNS1_3repE0EEENS1_30default_config_static_selectorELNS0_4arch9wavefront6targetE0EEEvT1_
                                        ; -- End function
	.set _ZN7rocprim17ROCPRIM_400000_NS6detail17trampoline_kernelINS0_14default_configENS1_25partition_config_selectorILNS1_17partition_subalgoE6EN6thrust23THRUST_200600_302600_NS5tupleIxxNS7_9null_typeES9_S9_S9_S9_S9_S9_S9_EENS0_10empty_typeEbEEZZNS1_14partition_implILS5_6ELb0ES3_mNS7_12zip_iteratorINS8_INS7_6detail15normal_iteratorINS7_10device_ptrIxEEEESJ_S9_S9_S9_S9_S9_S9_S9_S9_EEEEPSB_SM_NS0_5tupleIJNSE_INS8_ISJ_NS7_16discard_iteratorINS7_11use_defaultEEES9_S9_S9_S9_S9_S9_S9_S9_EEEESB_EEENSN_IJSM_SM_EEESB_PlJNSF_9not_fun_tINSF_14equal_to_valueISA_EEEEEEE10hipError_tPvRmT3_T4_T5_T6_T7_T9_mT8_P12ihipStream_tbDpT10_ENKUlT_T0_E_clISt17integral_constantIbLb0EES1J_EEDaS1E_S1F_EUlS1E_E_NS1_11comp_targetILNS1_3genE2ELNS1_11target_archE906ELNS1_3gpuE6ELNS1_3repE0EEENS1_30default_config_static_selectorELNS0_4arch9wavefront6targetE0EEEvT1_.num_vgpr, 0
	.set _ZN7rocprim17ROCPRIM_400000_NS6detail17trampoline_kernelINS0_14default_configENS1_25partition_config_selectorILNS1_17partition_subalgoE6EN6thrust23THRUST_200600_302600_NS5tupleIxxNS7_9null_typeES9_S9_S9_S9_S9_S9_S9_EENS0_10empty_typeEbEEZZNS1_14partition_implILS5_6ELb0ES3_mNS7_12zip_iteratorINS8_INS7_6detail15normal_iteratorINS7_10device_ptrIxEEEESJ_S9_S9_S9_S9_S9_S9_S9_S9_EEEEPSB_SM_NS0_5tupleIJNSE_INS8_ISJ_NS7_16discard_iteratorINS7_11use_defaultEEES9_S9_S9_S9_S9_S9_S9_S9_EEEESB_EEENSN_IJSM_SM_EEESB_PlJNSF_9not_fun_tINSF_14equal_to_valueISA_EEEEEEE10hipError_tPvRmT3_T4_T5_T6_T7_T9_mT8_P12ihipStream_tbDpT10_ENKUlT_T0_E_clISt17integral_constantIbLb0EES1J_EEDaS1E_S1F_EUlS1E_E_NS1_11comp_targetILNS1_3genE2ELNS1_11target_archE906ELNS1_3gpuE6ELNS1_3repE0EEENS1_30default_config_static_selectorELNS0_4arch9wavefront6targetE0EEEvT1_.num_agpr, 0
	.set _ZN7rocprim17ROCPRIM_400000_NS6detail17trampoline_kernelINS0_14default_configENS1_25partition_config_selectorILNS1_17partition_subalgoE6EN6thrust23THRUST_200600_302600_NS5tupleIxxNS7_9null_typeES9_S9_S9_S9_S9_S9_S9_EENS0_10empty_typeEbEEZZNS1_14partition_implILS5_6ELb0ES3_mNS7_12zip_iteratorINS8_INS7_6detail15normal_iteratorINS7_10device_ptrIxEEEESJ_S9_S9_S9_S9_S9_S9_S9_S9_EEEEPSB_SM_NS0_5tupleIJNSE_INS8_ISJ_NS7_16discard_iteratorINS7_11use_defaultEEES9_S9_S9_S9_S9_S9_S9_S9_EEEESB_EEENSN_IJSM_SM_EEESB_PlJNSF_9not_fun_tINSF_14equal_to_valueISA_EEEEEEE10hipError_tPvRmT3_T4_T5_T6_T7_T9_mT8_P12ihipStream_tbDpT10_ENKUlT_T0_E_clISt17integral_constantIbLb0EES1J_EEDaS1E_S1F_EUlS1E_E_NS1_11comp_targetILNS1_3genE2ELNS1_11target_archE906ELNS1_3gpuE6ELNS1_3repE0EEENS1_30default_config_static_selectorELNS0_4arch9wavefront6targetE0EEEvT1_.numbered_sgpr, 0
	.set _ZN7rocprim17ROCPRIM_400000_NS6detail17trampoline_kernelINS0_14default_configENS1_25partition_config_selectorILNS1_17partition_subalgoE6EN6thrust23THRUST_200600_302600_NS5tupleIxxNS7_9null_typeES9_S9_S9_S9_S9_S9_S9_EENS0_10empty_typeEbEEZZNS1_14partition_implILS5_6ELb0ES3_mNS7_12zip_iteratorINS8_INS7_6detail15normal_iteratorINS7_10device_ptrIxEEEESJ_S9_S9_S9_S9_S9_S9_S9_S9_EEEEPSB_SM_NS0_5tupleIJNSE_INS8_ISJ_NS7_16discard_iteratorINS7_11use_defaultEEES9_S9_S9_S9_S9_S9_S9_S9_EEEESB_EEENSN_IJSM_SM_EEESB_PlJNSF_9not_fun_tINSF_14equal_to_valueISA_EEEEEEE10hipError_tPvRmT3_T4_T5_T6_T7_T9_mT8_P12ihipStream_tbDpT10_ENKUlT_T0_E_clISt17integral_constantIbLb0EES1J_EEDaS1E_S1F_EUlS1E_E_NS1_11comp_targetILNS1_3genE2ELNS1_11target_archE906ELNS1_3gpuE6ELNS1_3repE0EEENS1_30default_config_static_selectorELNS0_4arch9wavefront6targetE0EEEvT1_.num_named_barrier, 0
	.set _ZN7rocprim17ROCPRIM_400000_NS6detail17trampoline_kernelINS0_14default_configENS1_25partition_config_selectorILNS1_17partition_subalgoE6EN6thrust23THRUST_200600_302600_NS5tupleIxxNS7_9null_typeES9_S9_S9_S9_S9_S9_S9_EENS0_10empty_typeEbEEZZNS1_14partition_implILS5_6ELb0ES3_mNS7_12zip_iteratorINS8_INS7_6detail15normal_iteratorINS7_10device_ptrIxEEEESJ_S9_S9_S9_S9_S9_S9_S9_S9_EEEEPSB_SM_NS0_5tupleIJNSE_INS8_ISJ_NS7_16discard_iteratorINS7_11use_defaultEEES9_S9_S9_S9_S9_S9_S9_S9_EEEESB_EEENSN_IJSM_SM_EEESB_PlJNSF_9not_fun_tINSF_14equal_to_valueISA_EEEEEEE10hipError_tPvRmT3_T4_T5_T6_T7_T9_mT8_P12ihipStream_tbDpT10_ENKUlT_T0_E_clISt17integral_constantIbLb0EES1J_EEDaS1E_S1F_EUlS1E_E_NS1_11comp_targetILNS1_3genE2ELNS1_11target_archE906ELNS1_3gpuE6ELNS1_3repE0EEENS1_30default_config_static_selectorELNS0_4arch9wavefront6targetE0EEEvT1_.private_seg_size, 0
	.set _ZN7rocprim17ROCPRIM_400000_NS6detail17trampoline_kernelINS0_14default_configENS1_25partition_config_selectorILNS1_17partition_subalgoE6EN6thrust23THRUST_200600_302600_NS5tupleIxxNS7_9null_typeES9_S9_S9_S9_S9_S9_S9_EENS0_10empty_typeEbEEZZNS1_14partition_implILS5_6ELb0ES3_mNS7_12zip_iteratorINS8_INS7_6detail15normal_iteratorINS7_10device_ptrIxEEEESJ_S9_S9_S9_S9_S9_S9_S9_S9_EEEEPSB_SM_NS0_5tupleIJNSE_INS8_ISJ_NS7_16discard_iteratorINS7_11use_defaultEEES9_S9_S9_S9_S9_S9_S9_S9_EEEESB_EEENSN_IJSM_SM_EEESB_PlJNSF_9not_fun_tINSF_14equal_to_valueISA_EEEEEEE10hipError_tPvRmT3_T4_T5_T6_T7_T9_mT8_P12ihipStream_tbDpT10_ENKUlT_T0_E_clISt17integral_constantIbLb0EES1J_EEDaS1E_S1F_EUlS1E_E_NS1_11comp_targetILNS1_3genE2ELNS1_11target_archE906ELNS1_3gpuE6ELNS1_3repE0EEENS1_30default_config_static_selectorELNS0_4arch9wavefront6targetE0EEEvT1_.uses_vcc, 0
	.set _ZN7rocprim17ROCPRIM_400000_NS6detail17trampoline_kernelINS0_14default_configENS1_25partition_config_selectorILNS1_17partition_subalgoE6EN6thrust23THRUST_200600_302600_NS5tupleIxxNS7_9null_typeES9_S9_S9_S9_S9_S9_S9_EENS0_10empty_typeEbEEZZNS1_14partition_implILS5_6ELb0ES3_mNS7_12zip_iteratorINS8_INS7_6detail15normal_iteratorINS7_10device_ptrIxEEEESJ_S9_S9_S9_S9_S9_S9_S9_S9_EEEEPSB_SM_NS0_5tupleIJNSE_INS8_ISJ_NS7_16discard_iteratorINS7_11use_defaultEEES9_S9_S9_S9_S9_S9_S9_S9_EEEESB_EEENSN_IJSM_SM_EEESB_PlJNSF_9not_fun_tINSF_14equal_to_valueISA_EEEEEEE10hipError_tPvRmT3_T4_T5_T6_T7_T9_mT8_P12ihipStream_tbDpT10_ENKUlT_T0_E_clISt17integral_constantIbLb0EES1J_EEDaS1E_S1F_EUlS1E_E_NS1_11comp_targetILNS1_3genE2ELNS1_11target_archE906ELNS1_3gpuE6ELNS1_3repE0EEENS1_30default_config_static_selectorELNS0_4arch9wavefront6targetE0EEEvT1_.uses_flat_scratch, 0
	.set _ZN7rocprim17ROCPRIM_400000_NS6detail17trampoline_kernelINS0_14default_configENS1_25partition_config_selectorILNS1_17partition_subalgoE6EN6thrust23THRUST_200600_302600_NS5tupleIxxNS7_9null_typeES9_S9_S9_S9_S9_S9_S9_EENS0_10empty_typeEbEEZZNS1_14partition_implILS5_6ELb0ES3_mNS7_12zip_iteratorINS8_INS7_6detail15normal_iteratorINS7_10device_ptrIxEEEESJ_S9_S9_S9_S9_S9_S9_S9_S9_EEEEPSB_SM_NS0_5tupleIJNSE_INS8_ISJ_NS7_16discard_iteratorINS7_11use_defaultEEES9_S9_S9_S9_S9_S9_S9_S9_EEEESB_EEENSN_IJSM_SM_EEESB_PlJNSF_9not_fun_tINSF_14equal_to_valueISA_EEEEEEE10hipError_tPvRmT3_T4_T5_T6_T7_T9_mT8_P12ihipStream_tbDpT10_ENKUlT_T0_E_clISt17integral_constantIbLb0EES1J_EEDaS1E_S1F_EUlS1E_E_NS1_11comp_targetILNS1_3genE2ELNS1_11target_archE906ELNS1_3gpuE6ELNS1_3repE0EEENS1_30default_config_static_selectorELNS0_4arch9wavefront6targetE0EEEvT1_.has_dyn_sized_stack, 0
	.set _ZN7rocprim17ROCPRIM_400000_NS6detail17trampoline_kernelINS0_14default_configENS1_25partition_config_selectorILNS1_17partition_subalgoE6EN6thrust23THRUST_200600_302600_NS5tupleIxxNS7_9null_typeES9_S9_S9_S9_S9_S9_S9_EENS0_10empty_typeEbEEZZNS1_14partition_implILS5_6ELb0ES3_mNS7_12zip_iteratorINS8_INS7_6detail15normal_iteratorINS7_10device_ptrIxEEEESJ_S9_S9_S9_S9_S9_S9_S9_S9_EEEEPSB_SM_NS0_5tupleIJNSE_INS8_ISJ_NS7_16discard_iteratorINS7_11use_defaultEEES9_S9_S9_S9_S9_S9_S9_S9_EEEESB_EEENSN_IJSM_SM_EEESB_PlJNSF_9not_fun_tINSF_14equal_to_valueISA_EEEEEEE10hipError_tPvRmT3_T4_T5_T6_T7_T9_mT8_P12ihipStream_tbDpT10_ENKUlT_T0_E_clISt17integral_constantIbLb0EES1J_EEDaS1E_S1F_EUlS1E_E_NS1_11comp_targetILNS1_3genE2ELNS1_11target_archE906ELNS1_3gpuE6ELNS1_3repE0EEENS1_30default_config_static_selectorELNS0_4arch9wavefront6targetE0EEEvT1_.has_recursion, 0
	.set _ZN7rocprim17ROCPRIM_400000_NS6detail17trampoline_kernelINS0_14default_configENS1_25partition_config_selectorILNS1_17partition_subalgoE6EN6thrust23THRUST_200600_302600_NS5tupleIxxNS7_9null_typeES9_S9_S9_S9_S9_S9_S9_EENS0_10empty_typeEbEEZZNS1_14partition_implILS5_6ELb0ES3_mNS7_12zip_iteratorINS8_INS7_6detail15normal_iteratorINS7_10device_ptrIxEEEESJ_S9_S9_S9_S9_S9_S9_S9_S9_EEEEPSB_SM_NS0_5tupleIJNSE_INS8_ISJ_NS7_16discard_iteratorINS7_11use_defaultEEES9_S9_S9_S9_S9_S9_S9_S9_EEEESB_EEENSN_IJSM_SM_EEESB_PlJNSF_9not_fun_tINSF_14equal_to_valueISA_EEEEEEE10hipError_tPvRmT3_T4_T5_T6_T7_T9_mT8_P12ihipStream_tbDpT10_ENKUlT_T0_E_clISt17integral_constantIbLb0EES1J_EEDaS1E_S1F_EUlS1E_E_NS1_11comp_targetILNS1_3genE2ELNS1_11target_archE906ELNS1_3gpuE6ELNS1_3repE0EEENS1_30default_config_static_selectorELNS0_4arch9wavefront6targetE0EEEvT1_.has_indirect_call, 0
	.section	.AMDGPU.csdata,"",@progbits
; Kernel info:
; codeLenInByte = 0
; TotalNumSgprs: 0
; NumVgprs: 0
; ScratchSize: 0
; MemoryBound: 0
; FloatMode: 240
; IeeeMode: 1
; LDSByteSize: 0 bytes/workgroup (compile time only)
; SGPRBlocks: 0
; VGPRBlocks: 0
; NumSGPRsForWavesPerEU: 1
; NumVGPRsForWavesPerEU: 1
; Occupancy: 16
; WaveLimiterHint : 0
; COMPUTE_PGM_RSRC2:SCRATCH_EN: 0
; COMPUTE_PGM_RSRC2:USER_SGPR: 2
; COMPUTE_PGM_RSRC2:TRAP_HANDLER: 0
; COMPUTE_PGM_RSRC2:TGID_X_EN: 1
; COMPUTE_PGM_RSRC2:TGID_Y_EN: 0
; COMPUTE_PGM_RSRC2:TGID_Z_EN: 0
; COMPUTE_PGM_RSRC2:TIDIG_COMP_CNT: 0
	.section	.text._ZN7rocprim17ROCPRIM_400000_NS6detail17trampoline_kernelINS0_14default_configENS1_25partition_config_selectorILNS1_17partition_subalgoE6EN6thrust23THRUST_200600_302600_NS5tupleIxxNS7_9null_typeES9_S9_S9_S9_S9_S9_S9_EENS0_10empty_typeEbEEZZNS1_14partition_implILS5_6ELb0ES3_mNS7_12zip_iteratorINS8_INS7_6detail15normal_iteratorINS7_10device_ptrIxEEEESJ_S9_S9_S9_S9_S9_S9_S9_S9_EEEEPSB_SM_NS0_5tupleIJNSE_INS8_ISJ_NS7_16discard_iteratorINS7_11use_defaultEEES9_S9_S9_S9_S9_S9_S9_S9_EEEESB_EEENSN_IJSM_SM_EEESB_PlJNSF_9not_fun_tINSF_14equal_to_valueISA_EEEEEEE10hipError_tPvRmT3_T4_T5_T6_T7_T9_mT8_P12ihipStream_tbDpT10_ENKUlT_T0_E_clISt17integral_constantIbLb0EES1J_EEDaS1E_S1F_EUlS1E_E_NS1_11comp_targetILNS1_3genE10ELNS1_11target_archE1200ELNS1_3gpuE4ELNS1_3repE0EEENS1_30default_config_static_selectorELNS0_4arch9wavefront6targetE0EEEvT1_,"axG",@progbits,_ZN7rocprim17ROCPRIM_400000_NS6detail17trampoline_kernelINS0_14default_configENS1_25partition_config_selectorILNS1_17partition_subalgoE6EN6thrust23THRUST_200600_302600_NS5tupleIxxNS7_9null_typeES9_S9_S9_S9_S9_S9_S9_EENS0_10empty_typeEbEEZZNS1_14partition_implILS5_6ELb0ES3_mNS7_12zip_iteratorINS8_INS7_6detail15normal_iteratorINS7_10device_ptrIxEEEESJ_S9_S9_S9_S9_S9_S9_S9_S9_EEEEPSB_SM_NS0_5tupleIJNSE_INS8_ISJ_NS7_16discard_iteratorINS7_11use_defaultEEES9_S9_S9_S9_S9_S9_S9_S9_EEEESB_EEENSN_IJSM_SM_EEESB_PlJNSF_9not_fun_tINSF_14equal_to_valueISA_EEEEEEE10hipError_tPvRmT3_T4_T5_T6_T7_T9_mT8_P12ihipStream_tbDpT10_ENKUlT_T0_E_clISt17integral_constantIbLb0EES1J_EEDaS1E_S1F_EUlS1E_E_NS1_11comp_targetILNS1_3genE10ELNS1_11target_archE1200ELNS1_3gpuE4ELNS1_3repE0EEENS1_30default_config_static_selectorELNS0_4arch9wavefront6targetE0EEEvT1_,comdat
	.protected	_ZN7rocprim17ROCPRIM_400000_NS6detail17trampoline_kernelINS0_14default_configENS1_25partition_config_selectorILNS1_17partition_subalgoE6EN6thrust23THRUST_200600_302600_NS5tupleIxxNS7_9null_typeES9_S9_S9_S9_S9_S9_S9_EENS0_10empty_typeEbEEZZNS1_14partition_implILS5_6ELb0ES3_mNS7_12zip_iteratorINS8_INS7_6detail15normal_iteratorINS7_10device_ptrIxEEEESJ_S9_S9_S9_S9_S9_S9_S9_S9_EEEEPSB_SM_NS0_5tupleIJNSE_INS8_ISJ_NS7_16discard_iteratorINS7_11use_defaultEEES9_S9_S9_S9_S9_S9_S9_S9_EEEESB_EEENSN_IJSM_SM_EEESB_PlJNSF_9not_fun_tINSF_14equal_to_valueISA_EEEEEEE10hipError_tPvRmT3_T4_T5_T6_T7_T9_mT8_P12ihipStream_tbDpT10_ENKUlT_T0_E_clISt17integral_constantIbLb0EES1J_EEDaS1E_S1F_EUlS1E_E_NS1_11comp_targetILNS1_3genE10ELNS1_11target_archE1200ELNS1_3gpuE4ELNS1_3repE0EEENS1_30default_config_static_selectorELNS0_4arch9wavefront6targetE0EEEvT1_ ; -- Begin function _ZN7rocprim17ROCPRIM_400000_NS6detail17trampoline_kernelINS0_14default_configENS1_25partition_config_selectorILNS1_17partition_subalgoE6EN6thrust23THRUST_200600_302600_NS5tupleIxxNS7_9null_typeES9_S9_S9_S9_S9_S9_S9_EENS0_10empty_typeEbEEZZNS1_14partition_implILS5_6ELb0ES3_mNS7_12zip_iteratorINS8_INS7_6detail15normal_iteratorINS7_10device_ptrIxEEEESJ_S9_S9_S9_S9_S9_S9_S9_S9_EEEEPSB_SM_NS0_5tupleIJNSE_INS8_ISJ_NS7_16discard_iteratorINS7_11use_defaultEEES9_S9_S9_S9_S9_S9_S9_S9_EEEESB_EEENSN_IJSM_SM_EEESB_PlJNSF_9not_fun_tINSF_14equal_to_valueISA_EEEEEEE10hipError_tPvRmT3_T4_T5_T6_T7_T9_mT8_P12ihipStream_tbDpT10_ENKUlT_T0_E_clISt17integral_constantIbLb0EES1J_EEDaS1E_S1F_EUlS1E_E_NS1_11comp_targetILNS1_3genE10ELNS1_11target_archE1200ELNS1_3gpuE4ELNS1_3repE0EEENS1_30default_config_static_selectorELNS0_4arch9wavefront6targetE0EEEvT1_
	.globl	_ZN7rocprim17ROCPRIM_400000_NS6detail17trampoline_kernelINS0_14default_configENS1_25partition_config_selectorILNS1_17partition_subalgoE6EN6thrust23THRUST_200600_302600_NS5tupleIxxNS7_9null_typeES9_S9_S9_S9_S9_S9_S9_EENS0_10empty_typeEbEEZZNS1_14partition_implILS5_6ELb0ES3_mNS7_12zip_iteratorINS8_INS7_6detail15normal_iteratorINS7_10device_ptrIxEEEESJ_S9_S9_S9_S9_S9_S9_S9_S9_EEEEPSB_SM_NS0_5tupleIJNSE_INS8_ISJ_NS7_16discard_iteratorINS7_11use_defaultEEES9_S9_S9_S9_S9_S9_S9_S9_EEEESB_EEENSN_IJSM_SM_EEESB_PlJNSF_9not_fun_tINSF_14equal_to_valueISA_EEEEEEE10hipError_tPvRmT3_T4_T5_T6_T7_T9_mT8_P12ihipStream_tbDpT10_ENKUlT_T0_E_clISt17integral_constantIbLb0EES1J_EEDaS1E_S1F_EUlS1E_E_NS1_11comp_targetILNS1_3genE10ELNS1_11target_archE1200ELNS1_3gpuE4ELNS1_3repE0EEENS1_30default_config_static_selectorELNS0_4arch9wavefront6targetE0EEEvT1_
	.p2align	8
	.type	_ZN7rocprim17ROCPRIM_400000_NS6detail17trampoline_kernelINS0_14default_configENS1_25partition_config_selectorILNS1_17partition_subalgoE6EN6thrust23THRUST_200600_302600_NS5tupleIxxNS7_9null_typeES9_S9_S9_S9_S9_S9_S9_EENS0_10empty_typeEbEEZZNS1_14partition_implILS5_6ELb0ES3_mNS7_12zip_iteratorINS8_INS7_6detail15normal_iteratorINS7_10device_ptrIxEEEESJ_S9_S9_S9_S9_S9_S9_S9_S9_EEEEPSB_SM_NS0_5tupleIJNSE_INS8_ISJ_NS7_16discard_iteratorINS7_11use_defaultEEES9_S9_S9_S9_S9_S9_S9_S9_EEEESB_EEENSN_IJSM_SM_EEESB_PlJNSF_9not_fun_tINSF_14equal_to_valueISA_EEEEEEE10hipError_tPvRmT3_T4_T5_T6_T7_T9_mT8_P12ihipStream_tbDpT10_ENKUlT_T0_E_clISt17integral_constantIbLb0EES1J_EEDaS1E_S1F_EUlS1E_E_NS1_11comp_targetILNS1_3genE10ELNS1_11target_archE1200ELNS1_3gpuE4ELNS1_3repE0EEENS1_30default_config_static_selectorELNS0_4arch9wavefront6targetE0EEEvT1_,@function
_ZN7rocprim17ROCPRIM_400000_NS6detail17trampoline_kernelINS0_14default_configENS1_25partition_config_selectorILNS1_17partition_subalgoE6EN6thrust23THRUST_200600_302600_NS5tupleIxxNS7_9null_typeES9_S9_S9_S9_S9_S9_S9_EENS0_10empty_typeEbEEZZNS1_14partition_implILS5_6ELb0ES3_mNS7_12zip_iteratorINS8_INS7_6detail15normal_iteratorINS7_10device_ptrIxEEEESJ_S9_S9_S9_S9_S9_S9_S9_S9_EEEEPSB_SM_NS0_5tupleIJNSE_INS8_ISJ_NS7_16discard_iteratorINS7_11use_defaultEEES9_S9_S9_S9_S9_S9_S9_S9_EEEESB_EEENSN_IJSM_SM_EEESB_PlJNSF_9not_fun_tINSF_14equal_to_valueISA_EEEEEEE10hipError_tPvRmT3_T4_T5_T6_T7_T9_mT8_P12ihipStream_tbDpT10_ENKUlT_T0_E_clISt17integral_constantIbLb0EES1J_EEDaS1E_S1F_EUlS1E_E_NS1_11comp_targetILNS1_3genE10ELNS1_11target_archE1200ELNS1_3gpuE4ELNS1_3repE0EEENS1_30default_config_static_selectorELNS0_4arch9wavefront6targetE0EEEvT1_: ; @_ZN7rocprim17ROCPRIM_400000_NS6detail17trampoline_kernelINS0_14default_configENS1_25partition_config_selectorILNS1_17partition_subalgoE6EN6thrust23THRUST_200600_302600_NS5tupleIxxNS7_9null_typeES9_S9_S9_S9_S9_S9_S9_EENS0_10empty_typeEbEEZZNS1_14partition_implILS5_6ELb0ES3_mNS7_12zip_iteratorINS8_INS7_6detail15normal_iteratorINS7_10device_ptrIxEEEESJ_S9_S9_S9_S9_S9_S9_S9_S9_EEEEPSB_SM_NS0_5tupleIJNSE_INS8_ISJ_NS7_16discard_iteratorINS7_11use_defaultEEES9_S9_S9_S9_S9_S9_S9_S9_EEEESB_EEENSN_IJSM_SM_EEESB_PlJNSF_9not_fun_tINSF_14equal_to_valueISA_EEEEEEE10hipError_tPvRmT3_T4_T5_T6_T7_T9_mT8_P12ihipStream_tbDpT10_ENKUlT_T0_E_clISt17integral_constantIbLb0EES1J_EEDaS1E_S1F_EUlS1E_E_NS1_11comp_targetILNS1_3genE10ELNS1_11target_archE1200ELNS1_3gpuE4ELNS1_3repE0EEENS1_30default_config_static_selectorELNS0_4arch9wavefront6targetE0EEEvT1_
; %bb.0:
	s_clause 0x4
	s_load_b64 s[2:3], s[0:1], 0x18
	s_load_b128 s[8:11], s[0:1], 0x58
	s_load_b32 s14, s[0:1], 0x80
	s_load_b128 s[4:7], s[0:1], 0x8
	s_load_b64 s[12:13], s[0:1], 0x68
	s_mov_b32 s15, 0
	v_lshlrev_b32_e32 v13, 4, v0
	s_wait_kmcnt 0x0
	s_lshl_b64 s[16:17], s[2:3], 3
	s_load_b64 s[10:11], s[10:11], 0x0
	s_add_co_i32 s20, s14, -1
	s_mulk_i32 s14, 0x300
	s_add_nc_u64 s[18:19], s[6:7], s[16:17]
	s_add_nc_u64 s[6:7], s[2:3], s[14:15]
	s_add_co_i32 s2, s14, s2
	v_cmp_le_u64_e64 s3, s[12:13], s[6:7]
	s_sub_co_i32 s7, s12, s2
	s_cmp_eq_u32 ttmp9, s20
	s_add_nc_u64 s[4:5], s[4:5], s[16:17]
	s_cselect_b32 s16, -1, 0
	s_mul_i32 s14, ttmp9, 0x300
	s_and_b32 s2, s16, s3
	s_lshl_b64 s[12:13], s[14:15], 3
	s_xor_b32 s17, s2, -1
	s_mov_b32 s6, -1
	s_wait_alu 0xfffe
	s_add_nc_u64 s[2:3], s[4:5], s[12:13]
	s_and_b32 vcc_lo, exec_lo, s17
	s_add_nc_u64 s[4:5], s[18:19], s[12:13]
	s_cbranch_vccz .LBB1986_2
; %bb.1:
	v_lshlrev_b32_e32 v11, 3, v0
	s_mov_b32 s6, 0
	s_clause 0x5
	global_load_b64 v[1:2], v11, s[2:3]
	global_load_b64 v[3:4], v11, s[4:5]
	global_load_b64 v[5:6], v11, s[2:3] offset:2048
	global_load_b64 v[9:10], v11, s[2:3] offset:4096
	;; [unrolled: 1-line block ×4, first 2 shown]
	s_wait_loadcnt 0x4
	ds_store_b128 v13, v[1:4]
	s_wait_loadcnt 0x1
	ds_store_b128 v13, v[5:8] offset:4096
	s_wait_loadcnt 0x0
	ds_store_b128 v13, v[9:12] offset:8192
	s_wait_dscnt 0x0
	s_barrier_signal -1
	s_barrier_wait -1
.LBB1986_2:
	s_load_b128 s[12:15], s[0:1], 0x88
	s_and_not1_b32 vcc_lo, exec_lo, s6
	s_addk_co_i32 s7, 0x300
	s_cbranch_vccnz .LBB1986_10
; %bb.3:
	v_mov_b32_e32 v3, 0
	v_dual_mov_b32 v4, 0 :: v_dual_mov_b32 v7, 0
	v_dual_mov_b32 v5, 0 :: v_dual_mov_b32 v8, 0
	v_mov_b32_e32 v6, 0
	s_mov_b32 s6, exec_lo
	s_wait_alu 0xfffe
	v_cmpx_gt_u32_e64 s7, v0
	s_cbranch_execz .LBB1986_5
; %bb.4:
	v_lshlrev_b32_e32 v1, 3, v0
	s_clause 0x1
	global_load_b64 v[5:6], v1, s[2:3]
	global_load_b64 v[7:8], v1, s[4:5]
.LBB1986_5:
	s_or_b32 exec_lo, exec_lo, s6
	v_mov_b32_e32 v1, 0
	v_or_b32_e32 v9, 0x100, v0
	v_mov_b32_e32 v2, 0
	s_mov_b32 s6, exec_lo
	s_delay_alu instid0(VALU_DEP_2)
	v_cmpx_gt_u32_e64 s7, v9
	s_cbranch_execz .LBB1986_7
; %bb.6:
	v_lshlrev_b32_e32 v3, 3, v0
	s_clause 0x1
	global_load_b64 v[1:2], v3, s[2:3] offset:2048
	global_load_b64 v[3:4], v3, s[4:5] offset:2048
.LBB1986_7:
	s_wait_alu 0xfffe
	s_or_b32 exec_lo, exec_lo, s6
	v_mov_b32_e32 v11, 0
	v_dual_mov_b32 v12, 0 :: v_dual_mov_b32 v9, 0
	v_or_b32_e32 v14, 0x200, v0
	v_mov_b32_e32 v10, 0
	s_mov_b32 s6, exec_lo
	s_delay_alu instid0(VALU_DEP_2)
	v_cmpx_gt_u32_e64 s7, v14
	s_cbranch_execz .LBB1986_9
; %bb.8:
	v_lshlrev_b32_e32 v11, 3, v0
	s_clause 0x1
	global_load_b64 v[9:10], v11, s[2:3] offset:4096
	global_load_b64 v[11:12], v11, s[4:5] offset:4096
.LBB1986_9:
	s_wait_alu 0xfffe
	s_or_b32 exec_lo, exec_lo, s6
	s_wait_loadcnt 0x0
	ds_store_b128 v13, v[5:8]
	ds_store_b128 v13, v[1:4] offset:4096
	ds_store_b128 v13, v[9:12] offset:8192
	s_wait_dscnt 0x0
	s_barrier_signal -1
	s_barrier_wait -1
.LBB1986_10:
	v_mul_u32_u24_e32 v13, 3, v0
	global_inv scope:SCOPE_SE
	s_and_not1_b32 vcc_lo, exec_lo, s17
	v_lshlrev_b32_e32 v31, 4, v13
	ds_load_b128 v[1:4], v31 offset:32
	ds_load_b128 v[9:12], v31
	ds_load_b128 v[5:8], v31 offset:16
	s_wait_loadcnt_dscnt 0x0
	s_barrier_signal -1
	s_barrier_wait -1
	global_inv scope:SCOPE_SE
	s_wait_kmcnt 0x0
	v_cmp_ne_u64_e64 s2, s[12:13], v[1:2]
	v_cmp_ne_u64_e64 s3, s[14:15], v[3:4]
	s_cbranch_vccnz .LBB1986_12
; %bb.11:
	v_cmp_ne_u64_e32 vcc_lo, s[12:13], v[5:6]
	v_cmp_ne_u64_e64 s4, s[14:15], v[7:8]
	v_cmp_ne_u64_e64 s5, s[12:13], v[9:10]
	;; [unrolled: 1-line block ×3, first 2 shown]
	s_or_b32 s18, s2, s3
	s_or_b32 s4, vcc_lo, s4
	s_delay_alu instid0(SALU_CYCLE_1)
	v_cndmask_b32_e64 v29, 0, 1, s4
	s_or_b32 s4, s5, s6
	s_wait_alu 0xfffe
	v_cndmask_b32_e64 v30, 0, 1, s4
	s_cbranch_execz .LBB1986_13
	s_branch .LBB1986_14
.LBB1986_12:
                                        ; implicit-def: $sgpr18
                                        ; implicit-def: $vgpr30
                                        ; implicit-def: $vgpr29
.LBB1986_13:
	v_add_nc_u32_e32 v14, 1, v13
	v_cmp_ne_u64_e32 vcc_lo, s[12:13], v[5:6]
	v_cmp_ne_u64_e64 s2, s[14:15], v[7:8]
	v_cmp_ne_u64_e64 s3, s[12:13], v[9:10]
	;; [unrolled: 1-line block ×3, first 2 shown]
	s_wait_alu 0xfffe
	v_cmp_gt_u32_e64 s4, s7, v14
	v_cmp_gt_u32_e64 s6, s7, v13
	v_add_nc_u32_e32 v13, 2, v13
	s_or_b32 s2, vcc_lo, s2
	v_cmp_ne_u64_e32 vcc_lo, s[12:13], v[1:2]
	s_and_b32 s2, s4, s2
	s_or_b32 s3, s3, s5
	v_cndmask_b32_e64 v29, 0, 1, s2
	v_cmp_ne_u64_e64 s2, s[14:15], v[3:4]
	s_and_b32 s3, s6, s3
	v_cmp_gt_u32_e64 s4, s7, v13
	s_wait_alu 0xfffe
	v_cndmask_b32_e64 v14, 0, 1, s3
	v_lshlrev_b16 v13, 8, v29
	s_and_not1_b32 s3, s18, exec_lo
	s_or_b32 s2, vcc_lo, s2
	s_wait_alu 0xfffe
	s_and_b32 s2, s4, s2
	v_or_b32_e32 v30, v14, v13
	s_wait_alu 0xfffe
	s_and_b32 s2, s2, exec_lo
	s_wait_alu 0xfffe
	s_or_b32 s18, s3, s2
.LBB1986_14:
	s_load_b64 s[6:7], s[0:1], 0x78
	v_mbcnt_lo_u32_b32 v34, -1, 0
	v_dual_mov_b32 v22, 0 :: v_dual_and_b32 v33, 0xff, v30
	v_and_b32_e32 v32, 0xff, v29
	v_cndmask_b32_e64 v13, 0, 1, s18
	s_delay_alu instid0(VALU_DEP_4) | instskip(SKIP_2) | instid1(VALU_DEP_2)
	v_and_b32_e32 v35, 15, v34
	s_cmp_lg_u32 ttmp9, 0
	s_mov_b32 s3, -1
	v_add3_u32 v21, v33, v13, v32
	s_delay_alu instid0(VALU_DEP_2)
	v_cmp_ne_u32_e64 s2, 0, v35
	s_cbranch_scc0 .LBB1986_71
; %bb.15:
	v_mov_b32_dpp v13, v21 row_shr:1 row_mask:0xf bank_mask:0xf
	v_mov_b32_dpp v18, v22 row_shr:1 row_mask:0xf bank_mask:0xf
	v_dual_mov_b32 v17, v21 :: v_dual_mov_b32 v14, v22
	v_dual_mov_b32 v15, v21 :: v_dual_mov_b32 v16, v22
	s_and_saveexec_b32 s3, s2
; %bb.16:
	v_add_co_u32 v17, s4, v21, v13
	s_wait_alu 0xf1ff
	v_add_co_ci_u32_e64 v14, null, 0, 0, s4
	s_delay_alu instid0(VALU_DEP_2) | instskip(NEXT) | instid1(VALU_DEP_1)
	v_add_co_u32 v13, vcc_lo, 0, v17
	v_add_co_ci_u32_e64 v14, null, v18, v14, vcc_lo
	s_delay_alu instid0(VALU_DEP_1)
	v_dual_mov_b32 v16, v14 :: v_dual_mov_b32 v15, v13
; %bb.17:
	s_wait_alu 0xfffe
	s_or_b32 exec_lo, exec_lo, s3
	v_mov_b32_dpp v13, v17 row_shr:2 row_mask:0xf bank_mask:0xf
	v_mov_b32_dpp v18, v14 row_shr:2 row_mask:0xf bank_mask:0xf
	s_mov_b32 s3, exec_lo
	v_cmpx_lt_u32_e32 1, v35
; %bb.18:
	s_delay_alu instid0(VALU_DEP_3) | instskip(SKIP_2) | instid1(VALU_DEP_2)
	v_add_co_u32 v17, vcc_lo, v15, v13
	s_wait_alu 0xfffd
	v_add_co_ci_u32_e64 v14, null, 0, v16, vcc_lo
	v_add_co_u32 v13, vcc_lo, 0, v17
	s_wait_alu 0xfffd
	s_delay_alu instid0(VALU_DEP_2) | instskip(NEXT) | instid1(VALU_DEP_1)
	v_add_co_ci_u32_e64 v14, null, v18, v14, vcc_lo
	v_dual_mov_b32 v16, v14 :: v_dual_mov_b32 v15, v13
; %bb.19:
	s_wait_alu 0xfffe
	s_or_b32 exec_lo, exec_lo, s3
	v_mov_b32_dpp v13, v17 row_shr:4 row_mask:0xf bank_mask:0xf
	v_mov_b32_dpp v18, v14 row_shr:4 row_mask:0xf bank_mask:0xf
	s_mov_b32 s3, exec_lo
	v_cmpx_lt_u32_e32 3, v35
; %bb.20:
	s_delay_alu instid0(VALU_DEP_3) | instskip(SKIP_2) | instid1(VALU_DEP_2)
	v_add_co_u32 v17, vcc_lo, v15, v13
	s_wait_alu 0xfffd
	v_add_co_ci_u32_e64 v14, null, 0, v16, vcc_lo
	v_add_co_u32 v13, vcc_lo, 0, v17
	s_wait_alu 0xfffd
	s_delay_alu instid0(VALU_DEP_2) | instskip(NEXT) | instid1(VALU_DEP_1)
	v_add_co_ci_u32_e64 v14, null, v18, v14, vcc_lo
	;; [unrolled: 17-line block ×3, first 2 shown]
	v_mov_b32_e32 v14, v16
; %bb.23:
	s_wait_alu 0xfffe
	s_or_b32 exec_lo, exec_lo, s3
	ds_swizzle_b32 v13, v17 offset:swizzle(BROADCAST,32,15)
	ds_swizzle_b32 v18, v14 offset:swizzle(BROADCAST,32,15)
	v_and_b32_e32 v19, 16, v34
	s_mov_b32 s3, exec_lo
	s_delay_alu instid0(VALU_DEP_1)
	v_cmpx_ne_u32_e32 0, v19
	s_cbranch_execz .LBB1986_25
; %bb.24:
	s_wait_dscnt 0x1
	v_add_co_u32 v17, vcc_lo, v15, v13
	s_wait_alu 0xfffd
	v_add_co_ci_u32_e64 v14, null, 0, v16, vcc_lo
	s_delay_alu instid0(VALU_DEP_2) | instskip(SKIP_2) | instid1(VALU_DEP_2)
	v_add_co_u32 v13, vcc_lo, 0, v17
	s_wait_dscnt 0x0
	s_wait_alu 0xfffd
	v_add_co_ci_u32_e64 v14, null, v18, v14, vcc_lo
	s_delay_alu instid0(VALU_DEP_1)
	v_dual_mov_b32 v16, v14 :: v_dual_mov_b32 v15, v13
.LBB1986_25:
	s_wait_alu 0xfffe
	s_or_b32 exec_lo, exec_lo, s3
	s_wait_dscnt 0x0
	v_or_b32_e32 v18, 31, v0
	v_lshrrev_b32_e32 v13, 5, v0
	s_mov_b32 s3, exec_lo
	s_delay_alu instid0(VALU_DEP_2)
	v_cmpx_eq_u32_e64 v0, v18
; %bb.26:
	s_delay_alu instid0(VALU_DEP_2)
	v_lshlrev_b32_e32 v18, 3, v13
	ds_store_b64 v18, v[15:16]
; %bb.27:
	s_wait_alu 0xfffe
	s_or_b32 exec_lo, exec_lo, s3
	s_delay_alu instid0(SALU_CYCLE_1)
	s_mov_b32 s3, exec_lo
	s_wait_loadcnt_dscnt 0x0
	s_barrier_signal -1
	s_barrier_wait -1
	global_inv scope:SCOPE_SE
	v_cmpx_gt_u32_e32 8, v0
	s_cbranch_execz .LBB1986_35
; %bb.28:
	v_lshlrev_b32_e32 v18, 3, v0
	s_mov_b32 s4, exec_lo
	ds_load_b64 v[15:16], v18
	s_wait_dscnt 0x0
	v_dual_mov_b32 v20, v15 :: v_dual_and_b32 v19, 7, v34
	v_mov_b32_dpp v24, v15 row_shr:1 row_mask:0xf bank_mask:0xf
	v_mov_b32_dpp v23, v16 row_shr:1 row_mask:0xf bank_mask:0xf
	s_delay_alu instid0(VALU_DEP_3)
	v_cmpx_ne_u32_e32 0, v19
; %bb.29:
	s_delay_alu instid0(VALU_DEP_3) | instskip(SKIP_2) | instid1(VALU_DEP_2)
	v_add_co_u32 v20, vcc_lo, v15, v24
	s_wait_alu 0xfffd
	v_add_co_ci_u32_e64 v16, null, 0, v16, vcc_lo
	v_add_co_u32 v15, vcc_lo, 0, v20
	s_wait_alu 0xfffd
	s_delay_alu instid0(VALU_DEP_2)
	v_add_co_ci_u32_e64 v16, null, v23, v16, vcc_lo
; %bb.30:
	s_wait_alu 0xfffe
	s_or_b32 exec_lo, exec_lo, s4
	v_mov_b32_dpp v24, v20 row_shr:2 row_mask:0xf bank_mask:0xf
	s_delay_alu instid0(VALU_DEP_2)
	v_mov_b32_dpp v23, v16 row_shr:2 row_mask:0xf bank_mask:0xf
	s_mov_b32 s4, exec_lo
	v_cmpx_lt_u32_e32 1, v19
; %bb.31:
	s_delay_alu instid0(VALU_DEP_3) | instskip(SKIP_2) | instid1(VALU_DEP_2)
	v_add_co_u32 v20, vcc_lo, v15, v24
	s_wait_alu 0xfffd
	v_add_co_ci_u32_e64 v16, null, 0, v16, vcc_lo
	v_add_co_u32 v15, vcc_lo, 0, v20
	s_wait_alu 0xfffd
	s_delay_alu instid0(VALU_DEP_2)
	v_add_co_ci_u32_e64 v16, null, v23, v16, vcc_lo
; %bb.32:
	s_wait_alu 0xfffe
	s_or_b32 exec_lo, exec_lo, s4
	v_mov_b32_dpp v23, v20 row_shr:4 row_mask:0xf bank_mask:0xf
	s_delay_alu instid0(VALU_DEP_2)
	v_mov_b32_dpp v20, v16 row_shr:4 row_mask:0xf bank_mask:0xf
	s_mov_b32 s4, exec_lo
	v_cmpx_lt_u32_e32 3, v19
; %bb.33:
	s_delay_alu instid0(VALU_DEP_3) | instskip(SKIP_2) | instid1(VALU_DEP_2)
	v_add_co_u32 v15, vcc_lo, v15, v23
	s_wait_alu 0xfffd
	v_add_co_ci_u32_e64 v16, null, 0, v16, vcc_lo
	v_add_co_u32 v15, vcc_lo, v15, 0
	s_wait_alu 0xfffd
	s_delay_alu instid0(VALU_DEP_2)
	v_add_co_ci_u32_e64 v16, null, v16, v20, vcc_lo
; %bb.34:
	s_wait_alu 0xfffe
	s_or_b32 exec_lo, exec_lo, s4
	ds_store_b64 v18, v[15:16]
.LBB1986_35:
	s_wait_alu 0xfffe
	s_or_b32 exec_lo, exec_lo, s3
	s_delay_alu instid0(SALU_CYCLE_1)
	s_mov_b32 s4, exec_lo
	v_cmp_gt_u32_e32 vcc_lo, 32, v0
	s_wait_loadcnt_dscnt 0x0
	s_barrier_signal -1
	s_barrier_wait -1
	global_inv scope:SCOPE_SE
                                        ; implicit-def: $vgpr23_vgpr24
	v_cmpx_lt_u32_e32 31, v0
	s_cbranch_execz .LBB1986_37
; %bb.36:
	v_lshl_add_u32 v13, v13, 3, -8
	ds_load_b64 v[23:24], v13
	s_wait_dscnt 0x0
	v_add_co_u32 v17, s3, v17, v23
	s_wait_alu 0xf1ff
	v_add_co_ci_u32_e64 v14, null, v14, v24, s3
.LBB1986_37:
	s_wait_alu 0xfffe
	s_or_b32 exec_lo, exec_lo, s4
	v_sub_co_u32 v13, s3, v34, 1
	s_delay_alu instid0(VALU_DEP_1) | instskip(SKIP_1) | instid1(VALU_DEP_1)
	v_cmp_gt_i32_e64 s4, 0, v13
	s_wait_alu 0xf1ff
	v_cndmask_b32_e64 v13, v13, v34, s4
	s_delay_alu instid0(VALU_DEP_1)
	v_lshlrev_b32_e32 v13, 2, v13
	ds_bpermute_b32 v36, v13, v17
	ds_bpermute_b32 v37, v13, v14
	s_and_saveexec_b32 s4, vcc_lo
	s_cbranch_execz .LBB1986_76
; %bb.38:
	v_mov_b32_e32 v16, 0
	ds_load_b64 v[13:14], v16 offset:56
	s_and_saveexec_b32 s5, s3
	s_cbranch_execz .LBB1986_40
; %bb.39:
	s_add_co_i32 s12, ttmp9, 32
	s_mov_b32 s13, 0
	s_wait_alu 0xfffe
	s_lshl_b64 s[12:13], s[12:13], 4
	s_wait_kmcnt 0x0
	s_wait_alu 0xfffe
	s_add_nc_u64 s[12:13], s[6:7], s[12:13]
	s_wait_alu 0xfffe
	v_dual_mov_b32 v15, 1 :: v_dual_mov_b32 v18, s13
	v_mov_b32_e32 v17, s12
	s_wait_dscnt 0x0
	;;#ASMSTART
	global_store_b128 v[17:18], v[13:16] off scope:SCOPE_DEV	
s_wait_storecnt 0x0
	;;#ASMEND
.LBB1986_40:
	s_wait_alu 0xfffe
	s_or_b32 exec_lo, exec_lo, s5
	v_xad_u32 v25, v34, -1, ttmp9
	s_mov_b32 s12, 0
	s_mov_b32 s5, exec_lo
	s_delay_alu instid0(VALU_DEP_1) | instskip(NEXT) | instid1(VALU_DEP_1)
	v_add_nc_u32_e32 v15, 32, v25
	v_lshlrev_b64_e32 v[15:16], 4, v[15:16]
	s_wait_kmcnt 0x0
	s_delay_alu instid0(VALU_DEP_1) | instskip(SKIP_1) | instid1(VALU_DEP_2)
	v_add_co_u32 v15, vcc_lo, s6, v15
	s_wait_alu 0xfffd
	v_add_co_ci_u32_e64 v16, null, s7, v16, vcc_lo
	;;#ASMSTART
	global_load_b128 v[17:20], v[15:16] off scope:SCOPE_DEV	
s_wait_loadcnt 0x0
	;;#ASMEND
	v_and_b32_e32 v20, 0xff, v19
	s_delay_alu instid0(VALU_DEP_1)
	v_cmpx_eq_u16_e32 0, v20
	s_cbranch_execz .LBB1986_43
.LBB1986_41:                            ; =>This Inner Loop Header: Depth=1
	;;#ASMSTART
	global_load_b128 v[17:20], v[15:16] off scope:SCOPE_DEV	
s_wait_loadcnt 0x0
	;;#ASMEND
	v_and_b32_e32 v20, 0xff, v19
	s_delay_alu instid0(VALU_DEP_1)
	v_cmp_ne_u16_e32 vcc_lo, 0, v20
	s_wait_alu 0xfffe
	s_or_b32 s12, vcc_lo, s12
	s_wait_alu 0xfffe
	s_and_not1_b32 exec_lo, exec_lo, s12
	s_cbranch_execnz .LBB1986_41
; %bb.42:
	s_or_b32 exec_lo, exec_lo, s12
.LBB1986_43:
	s_wait_alu 0xfffe
	s_or_b32 exec_lo, exec_lo, s5
	v_cmp_ne_u32_e32 vcc_lo, 31, v34
	v_and_b32_e32 v16, 0xff, v19
	v_lshlrev_b32_e64 v39, v34, -1
	s_mov_b32 s5, exec_lo
	s_wait_alu 0xfffd
	v_add_co_ci_u32_e64 v15, null, 0, v34, vcc_lo
	v_cmp_eq_u16_e32 vcc_lo, 2, v16
	v_mov_b32_e32 v16, v17
	s_delay_alu instid0(VALU_DEP_3)
	v_lshlrev_b32_e32 v38, 2, v15
	s_wait_alu 0xfffd
	v_and_or_b32 v15, vcc_lo, v39, 0x80000000
	ds_bpermute_b32 v26, v38, v17
	ds_bpermute_b32 v20, v38, v18
	v_ctz_i32_b32_e32 v15, v15
	s_delay_alu instid0(VALU_DEP_1)
	v_cmpx_lt_u32_e64 v34, v15
	s_cbranch_execz .LBB1986_45
; %bb.44:
	s_wait_dscnt 0x1
	v_add_co_u32 v16, vcc_lo, v17, v26
	s_wait_alu 0xfffd
	v_add_co_ci_u32_e64 v18, null, 0, v18, vcc_lo
	s_delay_alu instid0(VALU_DEP_2) | instskip(SKIP_2) | instid1(VALU_DEP_2)
	v_add_co_u32 v17, vcc_lo, 0, v16
	s_wait_dscnt 0x0
	s_wait_alu 0xfffd
	v_add_co_ci_u32_e64 v18, null, v20, v18, vcc_lo
.LBB1986_45:
	s_wait_alu 0xfffe
	s_or_b32 exec_lo, exec_lo, s5
	v_cmp_gt_u32_e32 vcc_lo, 30, v34
	v_add_nc_u32_e32 v41, 2, v34
	s_mov_b32 s5, exec_lo
	s_wait_dscnt 0x0
	s_wait_alu 0xfffd
	v_cndmask_b32_e64 v20, 0, 2, vcc_lo
	s_delay_alu instid0(VALU_DEP_1)
	v_add_lshl_u32 v40, v20, v34, 2
	ds_bpermute_b32 v26, v40, v16
	ds_bpermute_b32 v20, v40, v18
	v_cmpx_le_u32_e64 v41, v15
	s_cbranch_execz .LBB1986_47
; %bb.46:
	s_wait_dscnt 0x1
	v_add_co_u32 v16, vcc_lo, v17, v26
	s_wait_alu 0xfffd
	v_add_co_ci_u32_e64 v18, null, 0, v18, vcc_lo
	s_delay_alu instid0(VALU_DEP_2) | instskip(SKIP_2) | instid1(VALU_DEP_2)
	v_add_co_u32 v17, vcc_lo, 0, v16
	s_wait_dscnt 0x0
	s_wait_alu 0xfffd
	v_add_co_ci_u32_e64 v18, null, v20, v18, vcc_lo
.LBB1986_47:
	s_wait_alu 0xfffe
	s_or_b32 exec_lo, exec_lo, s5
	v_cmp_gt_u32_e32 vcc_lo, 28, v34
	v_add_nc_u32_e32 v43, 4, v34
	s_mov_b32 s5, exec_lo
	s_wait_dscnt 0x0
	s_wait_alu 0xfffd
	v_cndmask_b32_e64 v20, 0, 4, vcc_lo
	s_delay_alu instid0(VALU_DEP_1)
	v_add_lshl_u32 v42, v20, v34, 2
	ds_bpermute_b32 v26, v42, v16
	ds_bpermute_b32 v20, v42, v18
	v_cmpx_le_u32_e64 v43, v15
	;; [unrolled: 25-line block ×3, first 2 shown]
	s_cbranch_execz .LBB1986_51
; %bb.50:
	s_wait_dscnt 0x1
	v_add_co_u32 v16, vcc_lo, v17, v26
	s_wait_alu 0xfffd
	v_add_co_ci_u32_e64 v18, null, 0, v18, vcc_lo
	s_delay_alu instid0(VALU_DEP_2) | instskip(SKIP_2) | instid1(VALU_DEP_2)
	v_add_co_u32 v17, vcc_lo, 0, v16
	s_wait_dscnt 0x0
	s_wait_alu 0xfffd
	v_add_co_ci_u32_e64 v18, null, v20, v18, vcc_lo
.LBB1986_51:
	s_wait_alu 0xfffe
	s_or_b32 exec_lo, exec_lo, s5
	v_lshl_or_b32 v46, v34, 2, 64
	v_add_nc_u32_e32 v47, 16, v34
	s_mov_b32 s5, exec_lo
	s_wait_dscnt 0x0
	ds_bpermute_b32 v20, v46, v16
	ds_bpermute_b32 v16, v46, v18
	v_cmpx_le_u32_e64 v47, v15
	s_cbranch_execz .LBB1986_53
; %bb.52:
	s_wait_dscnt 0x1
	v_add_co_u32 v15, vcc_lo, v17, v20
	s_wait_alu 0xfffd
	v_add_co_ci_u32_e64 v18, null, 0, v18, vcc_lo
	s_delay_alu instid0(VALU_DEP_2) | instskip(SKIP_2) | instid1(VALU_DEP_2)
	v_add_co_u32 v17, vcc_lo, v15, 0
	s_wait_dscnt 0x0
	s_wait_alu 0xfffd
	v_add_co_ci_u32_e64 v18, null, v18, v16, vcc_lo
.LBB1986_53:
	s_wait_alu 0xfffe
	s_or_b32 exec_lo, exec_lo, s5
	v_mov_b32_e32 v26, 0
	s_branch .LBB1986_56
.LBB1986_54:                            ;   in Loop: Header=BB1986_56 Depth=1
	s_wait_alu 0xfffe
	s_or_b32 exec_lo, exec_lo, s5
	v_add_co_u32 v17, vcc_lo, v17, v15
	v_subrev_nc_u32_e32 v25, 32, v25
	s_wait_alu 0xfffd
	v_add_co_ci_u32_e64 v18, null, v18, v16, vcc_lo
	s_mov_b32 s5, 0
.LBB1986_55:                            ;   in Loop: Header=BB1986_56 Depth=1
	s_wait_alu 0xfffe
	s_and_b32 vcc_lo, exec_lo, s5
	s_wait_alu 0xfffe
	s_cbranch_vccnz .LBB1986_72
.LBB1986_56:                            ; =>This Loop Header: Depth=1
                                        ;     Child Loop BB1986_59 Depth 2
	v_and_b32_e32 v15, 0xff, v19
	s_mov_b32 s5, -1
	s_delay_alu instid0(VALU_DEP_1)
	v_cmp_ne_u16_e32 vcc_lo, 2, v15
	s_wait_dscnt 0x0
	v_dual_mov_b32 v15, v17 :: v_dual_mov_b32 v16, v18
                                        ; implicit-def: $vgpr17_vgpr18
	s_cmp_lg_u32 vcc_lo, exec_lo
	s_cbranch_scc1 .LBB1986_55
; %bb.57:                               ;   in Loop: Header=BB1986_56 Depth=1
	v_lshlrev_b64_e32 v[17:18], 4, v[25:26]
	s_mov_b32 s5, exec_lo
	s_delay_alu instid0(VALU_DEP_1) | instskip(SKIP_1) | instid1(VALU_DEP_2)
	v_add_co_u32 v27, vcc_lo, s6, v17
	s_wait_alu 0xfffd
	v_add_co_ci_u32_e64 v28, null, s7, v18, vcc_lo
	;;#ASMSTART
	global_load_b128 v[17:20], v[27:28] off scope:SCOPE_DEV	
s_wait_loadcnt 0x0
	;;#ASMEND
	v_and_b32_e32 v20, 0xff, v19
	s_delay_alu instid0(VALU_DEP_1)
	v_cmpx_eq_u16_e32 0, v20
	s_cbranch_execz .LBB1986_61
; %bb.58:                               ;   in Loop: Header=BB1986_56 Depth=1
	s_mov_b32 s12, 0
.LBB1986_59:                            ;   Parent Loop BB1986_56 Depth=1
                                        ; =>  This Inner Loop Header: Depth=2
	;;#ASMSTART
	global_load_b128 v[17:20], v[27:28] off scope:SCOPE_DEV	
s_wait_loadcnt 0x0
	;;#ASMEND
	v_and_b32_e32 v20, 0xff, v19
	s_delay_alu instid0(VALU_DEP_1)
	v_cmp_ne_u16_e32 vcc_lo, 0, v20
	s_wait_alu 0xfffe
	s_or_b32 s12, vcc_lo, s12
	s_wait_alu 0xfffe
	s_and_not1_b32 exec_lo, exec_lo, s12
	s_cbranch_execnz .LBB1986_59
; %bb.60:                               ;   in Loop: Header=BB1986_56 Depth=1
	s_or_b32 exec_lo, exec_lo, s12
.LBB1986_61:                            ;   in Loop: Header=BB1986_56 Depth=1
	s_wait_alu 0xfffe
	s_or_b32 exec_lo, exec_lo, s5
	v_dual_mov_b32 v27, v17 :: v_dual_and_b32 v20, 0xff, v19
	ds_bpermute_b32 v48, v38, v17
	ds_bpermute_b32 v28, v38, v18
	s_mov_b32 s5, exec_lo
	v_cmp_eq_u16_e32 vcc_lo, 2, v20
	s_wait_alu 0xfffd
	v_and_or_b32 v20, vcc_lo, v39, 0x80000000
	s_delay_alu instid0(VALU_DEP_1) | instskip(NEXT) | instid1(VALU_DEP_1)
	v_ctz_i32_b32_e32 v20, v20
	v_cmpx_lt_u32_e64 v34, v20
	s_cbranch_execz .LBB1986_63
; %bb.62:                               ;   in Loop: Header=BB1986_56 Depth=1
	s_wait_dscnt 0x1
	v_add_co_u32 v27, vcc_lo, v17, v48
	s_wait_alu 0xfffd
	v_add_co_ci_u32_e64 v18, null, 0, v18, vcc_lo
	s_delay_alu instid0(VALU_DEP_2) | instskip(SKIP_2) | instid1(VALU_DEP_2)
	v_add_co_u32 v17, vcc_lo, 0, v27
	s_wait_dscnt 0x0
	s_wait_alu 0xfffd
	v_add_co_ci_u32_e64 v18, null, v28, v18, vcc_lo
.LBB1986_63:                            ;   in Loop: Header=BB1986_56 Depth=1
	s_wait_alu 0xfffe
	s_or_b32 exec_lo, exec_lo, s5
	s_wait_dscnt 0x1
	ds_bpermute_b32 v48, v40, v27
	s_wait_dscnt 0x1
	ds_bpermute_b32 v28, v40, v18
	s_mov_b32 s5, exec_lo
	v_cmpx_le_u32_e64 v41, v20
	s_cbranch_execz .LBB1986_65
; %bb.64:                               ;   in Loop: Header=BB1986_56 Depth=1
	s_wait_dscnt 0x1
	v_add_co_u32 v27, vcc_lo, v17, v48
	s_wait_alu 0xfffd
	v_add_co_ci_u32_e64 v18, null, 0, v18, vcc_lo
	s_delay_alu instid0(VALU_DEP_2) | instskip(SKIP_2) | instid1(VALU_DEP_2)
	v_add_co_u32 v17, vcc_lo, 0, v27
	s_wait_dscnt 0x0
	s_wait_alu 0xfffd
	v_add_co_ci_u32_e64 v18, null, v28, v18, vcc_lo
.LBB1986_65:                            ;   in Loop: Header=BB1986_56 Depth=1
	s_wait_alu 0xfffe
	s_or_b32 exec_lo, exec_lo, s5
	s_wait_dscnt 0x1
	ds_bpermute_b32 v48, v42, v27
	s_wait_dscnt 0x1
	ds_bpermute_b32 v28, v42, v18
	s_mov_b32 s5, exec_lo
	v_cmpx_le_u32_e64 v43, v20
	;; [unrolled: 20-line block ×3, first 2 shown]
	s_cbranch_execz .LBB1986_69
; %bb.68:                               ;   in Loop: Header=BB1986_56 Depth=1
	s_wait_dscnt 0x1
	v_add_co_u32 v27, vcc_lo, v17, v48
	s_wait_alu 0xfffd
	v_add_co_ci_u32_e64 v18, null, 0, v18, vcc_lo
	s_delay_alu instid0(VALU_DEP_2) | instskip(SKIP_2) | instid1(VALU_DEP_2)
	v_add_co_u32 v17, vcc_lo, 0, v27
	s_wait_dscnt 0x0
	s_wait_alu 0xfffd
	v_add_co_ci_u32_e64 v18, null, v28, v18, vcc_lo
.LBB1986_69:                            ;   in Loop: Header=BB1986_56 Depth=1
	s_wait_alu 0xfffe
	s_or_b32 exec_lo, exec_lo, s5
	s_wait_dscnt 0x0
	ds_bpermute_b32 v28, v46, v27
	ds_bpermute_b32 v27, v46, v18
	s_mov_b32 s5, exec_lo
	v_cmpx_le_u32_e64 v47, v20
	s_cbranch_execz .LBB1986_54
; %bb.70:                               ;   in Loop: Header=BB1986_56 Depth=1
	s_wait_dscnt 0x1
	v_add_co_u32 v17, vcc_lo, v17, v28
	s_wait_alu 0xfffd
	v_add_co_ci_u32_e64 v18, null, 0, v18, vcc_lo
	s_delay_alu instid0(VALU_DEP_2) | instskip(SKIP_2) | instid1(VALU_DEP_2)
	v_add_co_u32 v17, vcc_lo, v17, 0
	s_wait_dscnt 0x0
	s_wait_alu 0xfffd
	v_add_co_ci_u32_e64 v18, null, v18, v27, vcc_lo
	s_branch .LBB1986_54
.LBB1986_71:
                                        ; implicit-def: $vgpr17_vgpr18
                                        ; implicit-def: $vgpr19_vgpr20
                                        ; implicit-def: $vgpr23_vgpr24
                                        ; implicit-def: $vgpr15_vgpr16
	s_wait_alu 0xfffe
	s_and_b32 vcc_lo, exec_lo, s3
	s_cbranch_vccnz .LBB1986_77
	s_branch .LBB1986_102
.LBB1986_72:
	s_and_saveexec_b32 s5, s3
	s_cbranch_execz .LBB1986_74
; %bb.73:
	s_add_co_i32 s12, ttmp9, 32
	s_mov_b32 s13, 0
	v_add_co_u32 v17, vcc_lo, v15, v13
	s_wait_alu 0xfffe
	s_lshl_b64 s[12:13], s[12:13], 4
	v_dual_mov_b32 v19, 2 :: v_dual_mov_b32 v20, 0
	s_wait_alu 0xfffe
	s_add_nc_u64 s[12:13], s[6:7], s[12:13]
	s_wait_alu 0xfffd
	v_add_co_ci_u32_e64 v18, null, v16, v14, vcc_lo
	s_wait_alu 0xfffe
	v_dual_mov_b32 v26, s13 :: v_dual_mov_b32 v25, s12
	;;#ASMSTART
	global_store_b128 v[25:26], v[17:20] off scope:SCOPE_DEV	
s_wait_storecnt 0x0
	;;#ASMEND
	ds_store_b128 v20, v[13:16] offset:12288
.LBB1986_74:
	s_wait_alu 0xfffe
	s_or_b32 exec_lo, exec_lo, s5
	v_cmp_eq_u32_e32 vcc_lo, 0, v0
	s_and_b32 exec_lo, exec_lo, vcc_lo
; %bb.75:
	v_mov_b32_e32 v13, 0
	ds_store_b64 v13, v[15:16] offset:56
.LBB1986_76:
	s_wait_alu 0xfffe
	s_or_b32 exec_lo, exec_lo, s4
	s_wait_dscnt 0x1
	v_cndmask_b32_e64 v14, v36, v23, s3
	v_cmp_ne_u32_e32 vcc_lo, 0, v0
	v_mov_b32_e32 v13, 0
	s_wait_loadcnt_dscnt 0x0
	s_barrier_signal -1
	s_barrier_wait -1
	global_inv scope:SCOPE_SE
	s_wait_alu 0xfffd
	v_cndmask_b32_e32 v20, 0, v14, vcc_lo
	ds_load_b64 v[17:18], v13 offset:56
	v_cndmask_b32_e64 v15, v37, v24, s3
	s_wait_loadcnt_dscnt 0x0
	s_barrier_signal -1
	s_barrier_wait -1
	global_inv scope:SCOPE_SE
	v_cndmask_b32_e32 v19, 0, v15, vcc_lo
	ds_load_b128 v[13:16], v13 offset:12288
	v_add_co_u32 v23, vcc_lo, v17, v20
	s_wait_alu 0xfffd
	v_add_co_ci_u32_e64 v24, null, v18, v19, vcc_lo
	s_delay_alu instid0(VALU_DEP_2) | instskip(SKIP_1) | instid1(VALU_DEP_2)
	v_add_co_u32 v19, vcc_lo, v23, v33
	s_wait_alu 0xfffd
	v_add_co_ci_u32_e64 v20, null, 0, v24, vcc_lo
	s_delay_alu instid0(VALU_DEP_2) | instskip(SKIP_1) | instid1(VALU_DEP_2)
	v_add_co_u32 v17, vcc_lo, v19, v32
	s_wait_alu 0xfffd
	v_add_co_ci_u32_e64 v18, null, 0, v20, vcc_lo
	s_branch .LBB1986_102
.LBB1986_77:
	s_wait_dscnt 0x0
	v_dual_mov_b32 v14, 0 :: v_dual_mov_b32 v15, v21
	v_mov_b32_dpp v16, v21 row_shr:1 row_mask:0xf bank_mask:0xf
	s_delay_alu instid0(VALU_DEP_2)
	v_mov_b32_dpp v13, v14 row_shr:1 row_mask:0xf bank_mask:0xf
	s_and_saveexec_b32 s3, s2
; %bb.78:
	s_delay_alu instid0(VALU_DEP_2) | instskip(SKIP_2) | instid1(VALU_DEP_2)
	v_add_co_u32 v15, s2, v21, v16
	s_wait_alu 0xf1ff
	v_add_co_ci_u32_e64 v14, null, 0, 0, s2
	v_add_co_u32 v21, vcc_lo, 0, v15
	s_delay_alu instid0(VALU_DEP_1) | instskip(NEXT) | instid1(VALU_DEP_1)
	v_add_co_ci_u32_e64 v22, null, v13, v14, vcc_lo
	v_mov_b32_e32 v14, v22
; %bb.79:
	s_wait_alu 0xfffe
	s_or_b32 exec_lo, exec_lo, s3
	v_mov_b32_dpp v13, v15 row_shr:2 row_mask:0xf bank_mask:0xf
	s_delay_alu instid0(VALU_DEP_2)
	v_mov_b32_dpp v16, v14 row_shr:2 row_mask:0xf bank_mask:0xf
	s_mov_b32 s2, exec_lo
	v_cmpx_lt_u32_e32 1, v35
; %bb.80:
	s_delay_alu instid0(VALU_DEP_3) | instskip(SKIP_2) | instid1(VALU_DEP_2)
	v_add_co_u32 v15, vcc_lo, v21, v13
	s_wait_alu 0xfffd
	v_add_co_ci_u32_e64 v14, null, 0, v22, vcc_lo
	v_add_co_u32 v13, vcc_lo, 0, v15
	s_wait_alu 0xfffd
	s_delay_alu instid0(VALU_DEP_2) | instskip(NEXT) | instid1(VALU_DEP_1)
	v_add_co_ci_u32_e64 v14, null, v16, v14, vcc_lo
	v_dual_mov_b32 v22, v14 :: v_dual_mov_b32 v21, v13
; %bb.81:
	s_wait_alu 0xfffe
	s_or_b32 exec_lo, exec_lo, s2
	v_mov_b32_dpp v13, v15 row_shr:4 row_mask:0xf bank_mask:0xf
	v_mov_b32_dpp v16, v14 row_shr:4 row_mask:0xf bank_mask:0xf
	s_mov_b32 s2, exec_lo
	v_cmpx_lt_u32_e32 3, v35
; %bb.82:
	s_delay_alu instid0(VALU_DEP_3) | instskip(SKIP_2) | instid1(VALU_DEP_2)
	v_add_co_u32 v15, vcc_lo, v21, v13
	s_wait_alu 0xfffd
	v_add_co_ci_u32_e64 v14, null, 0, v22, vcc_lo
	v_add_co_u32 v13, vcc_lo, 0, v15
	s_wait_alu 0xfffd
	s_delay_alu instid0(VALU_DEP_2) | instskip(NEXT) | instid1(VALU_DEP_1)
	v_add_co_ci_u32_e64 v14, null, v16, v14, vcc_lo
	v_dual_mov_b32 v22, v14 :: v_dual_mov_b32 v21, v13
; %bb.83:
	s_wait_alu 0xfffe
	s_or_b32 exec_lo, exec_lo, s2
	v_mov_b32_dpp v16, v15 row_shr:8 row_mask:0xf bank_mask:0xf
	v_mov_b32_dpp v13, v14 row_shr:8 row_mask:0xf bank_mask:0xf
	s_mov_b32 s2, exec_lo
	v_cmpx_lt_u32_e32 7, v35
; %bb.84:
	s_delay_alu instid0(VALU_DEP_3) | instskip(SKIP_2) | instid1(VALU_DEP_2)
	v_add_co_u32 v15, vcc_lo, v21, v16
	s_wait_alu 0xfffd
	v_add_co_ci_u32_e64 v14, null, 0, v22, vcc_lo
	v_add_co_u32 v21, vcc_lo, 0, v15
	s_wait_alu 0xfffd
	s_delay_alu instid0(VALU_DEP_2) | instskip(NEXT) | instid1(VALU_DEP_1)
	v_add_co_ci_u32_e64 v22, null, v13, v14, vcc_lo
	v_mov_b32_e32 v14, v22
; %bb.85:
	s_wait_alu 0xfffe
	s_or_b32 exec_lo, exec_lo, s2
	ds_swizzle_b32 v15, v15 offset:swizzle(BROADCAST,32,15)
	ds_swizzle_b32 v13, v14 offset:swizzle(BROADCAST,32,15)
	v_and_b32_e32 v14, 16, v34
	s_mov_b32 s2, exec_lo
	s_delay_alu instid0(VALU_DEP_1)
	v_cmpx_ne_u32_e32 0, v14
	s_cbranch_execz .LBB1986_87
; %bb.86:
	s_wait_dscnt 0x1
	v_add_co_u32 v14, vcc_lo, v21, v15
	s_wait_alu 0xfffd
	v_add_co_ci_u32_e64 v15, null, 0, v22, vcc_lo
	s_delay_alu instid0(VALU_DEP_2) | instskip(SKIP_2) | instid1(VALU_DEP_2)
	v_add_co_u32 v21, vcc_lo, v14, 0
	s_wait_dscnt 0x0
	s_wait_alu 0xfffd
	v_add_co_ci_u32_e64 v22, null, v15, v13, vcc_lo
.LBB1986_87:
	s_wait_alu 0xfffe
	s_or_b32 exec_lo, exec_lo, s2
	s_wait_dscnt 0x0
	v_or_b32_e32 v13, 31, v0
	v_lshrrev_b32_e32 v15, 5, v0
	s_mov_b32 s2, exec_lo
	s_delay_alu instid0(VALU_DEP_2)
	v_cmpx_eq_u32_e64 v0, v13
; %bb.88:
	s_delay_alu instid0(VALU_DEP_2)
	v_lshlrev_b32_e32 v13, 3, v15
	ds_store_b64 v13, v[21:22]
; %bb.89:
	s_wait_alu 0xfffe
	s_or_b32 exec_lo, exec_lo, s2
	s_delay_alu instid0(SALU_CYCLE_1)
	s_mov_b32 s2, exec_lo
	s_wait_loadcnt_dscnt 0x0
	s_barrier_signal -1
	s_barrier_wait -1
	global_inv scope:SCOPE_SE
	v_cmpx_gt_u32_e32 8, v0
	s_cbranch_execz .LBB1986_97
; %bb.90:
	v_mad_i32_i24 v13, 0xffffffd8, v0, v31
	s_mov_b32 s3, exec_lo
	ds_load_b64 v[13:14], v13
	s_wait_dscnt 0x0
	v_dual_mov_b32 v17, v13 :: v_dual_and_b32 v16, 7, v34
	v_mov_b32_dpp v19, v13 row_shr:1 row_mask:0xf bank_mask:0xf
	v_mov_b32_dpp v18, v14 row_shr:1 row_mask:0xf bank_mask:0xf
	s_delay_alu instid0(VALU_DEP_3)
	v_cmpx_ne_u32_e32 0, v16
; %bb.91:
	s_delay_alu instid0(VALU_DEP_3) | instskip(SKIP_2) | instid1(VALU_DEP_2)
	v_add_co_u32 v17, vcc_lo, v13, v19
	s_wait_alu 0xfffd
	v_add_co_ci_u32_e64 v14, null, 0, v14, vcc_lo
	v_add_co_u32 v13, vcc_lo, 0, v17
	s_wait_alu 0xfffd
	s_delay_alu instid0(VALU_DEP_2)
	v_add_co_ci_u32_e64 v14, null, v18, v14, vcc_lo
; %bb.92:
	s_wait_alu 0xfffe
	s_or_b32 exec_lo, exec_lo, s3
	v_mov_b32_dpp v19, v17 row_shr:2 row_mask:0xf bank_mask:0xf
	s_delay_alu instid0(VALU_DEP_2)
	v_mov_b32_dpp v18, v14 row_shr:2 row_mask:0xf bank_mask:0xf
	s_mov_b32 s3, exec_lo
	v_cmpx_lt_u32_e32 1, v16
; %bb.93:
	s_delay_alu instid0(VALU_DEP_3) | instskip(SKIP_2) | instid1(VALU_DEP_2)
	v_add_co_u32 v17, vcc_lo, v13, v19
	s_wait_alu 0xfffd
	v_add_co_ci_u32_e64 v14, null, 0, v14, vcc_lo
	v_add_co_u32 v13, vcc_lo, 0, v17
	s_wait_alu 0xfffd
	s_delay_alu instid0(VALU_DEP_2)
	v_add_co_ci_u32_e64 v14, null, v18, v14, vcc_lo
; %bb.94:
	s_wait_alu 0xfffe
	s_or_b32 exec_lo, exec_lo, s3
	v_mul_i32_i24_e32 v18, 0xffffffd8, v0
	v_mov_b32_dpp v19, v17 row_shr:4 row_mask:0xf bank_mask:0xf
	v_mov_b32_dpp v17, v14 row_shr:4 row_mask:0xf bank_mask:0xf
	s_mov_b32 s3, exec_lo
	v_cmpx_lt_u32_e32 3, v16
; %bb.95:
	s_delay_alu instid0(VALU_DEP_3) | instskip(SKIP_2) | instid1(VALU_DEP_2)
	v_add_co_u32 v13, vcc_lo, v13, v19
	s_wait_alu 0xfffd
	v_add_co_ci_u32_e64 v14, null, 0, v14, vcc_lo
	v_add_co_u32 v13, vcc_lo, v13, 0
	s_wait_alu 0xfffd
	s_delay_alu instid0(VALU_DEP_2)
	v_add_co_ci_u32_e64 v14, null, v14, v17, vcc_lo
; %bb.96:
	s_wait_alu 0xfffe
	s_or_b32 exec_lo, exec_lo, s3
	v_add_nc_u32_e32 v16, v31, v18
	ds_store_b64 v16, v[13:14]
.LBB1986_97:
	s_wait_alu 0xfffe
	s_or_b32 exec_lo, exec_lo, s2
	v_mov_b32_e32 v17, 0
	v_mov_b32_e32 v18, 0
	s_mov_b32 s2, exec_lo
	s_wait_loadcnt_dscnt 0x0
	s_barrier_signal -1
	s_barrier_wait -1
	global_inv scope:SCOPE_SE
	v_cmpx_lt_u32_e32 31, v0
; %bb.98:
	v_lshl_add_u32 v13, v15, 3, -8
	ds_load_b64 v[17:18], v13
; %bb.99:
	s_wait_alu 0xfffe
	s_or_b32 exec_lo, exec_lo, s2
	v_sub_co_u32 v13, vcc_lo, v34, 1
	v_mov_b32_e32 v16, 0
	s_delay_alu instid0(VALU_DEP_2) | instskip(SKIP_1) | instid1(VALU_DEP_1)
	v_cmp_gt_i32_e64 s2, 0, v13
	s_wait_alu 0xf1ff
	v_cndmask_b32_e64 v13, v13, v34, s2
	s_wait_dscnt 0x0
	v_add_co_u32 v14, s2, v17, v21
	s_wait_alu 0xf1ff
	v_add_co_ci_u32_e64 v15, null, v18, v22, s2
	v_lshlrev_b32_e32 v13, 2, v13
	v_cmp_eq_u32_e64 s2, 0, v0
	ds_bpermute_b32 v19, v13, v14
	ds_bpermute_b32 v20, v13, v15
	ds_load_b64 v[13:14], v16 offset:56
	s_and_saveexec_b32 s3, s2
	s_cbranch_execz .LBB1986_101
; %bb.100:
	s_wait_kmcnt 0x0
	s_add_nc_u64 s[4:5], s[6:7], 0x200
	s_wait_alu 0xfffe
	v_dual_mov_b32 v15, 2 :: v_dual_mov_b32 v22, s5
	v_mov_b32_e32 v21, s4
	s_wait_dscnt 0x0
	;;#ASMSTART
	global_store_b128 v[21:22], v[13:16] off scope:SCOPE_DEV	
s_wait_storecnt 0x0
	;;#ASMEND
.LBB1986_101:
	s_wait_alu 0xfffe
	s_or_b32 exec_lo, exec_lo, s3
	s_wait_dscnt 0x1
	s_wait_alu 0xfffd
	v_dual_cndmask_b32 v15, v19, v17 :: v_dual_cndmask_b32 v16, v20, v18
	s_wait_loadcnt_dscnt 0x0
	s_barrier_signal -1
	s_barrier_wait -1
	s_delay_alu instid0(VALU_DEP_1)
	v_cndmask_b32_e64 v23, v15, 0, s2
	v_cndmask_b32_e64 v24, v16, 0, s2
	v_mov_b32_e32 v15, 0
	v_mov_b32_e32 v16, 0
	global_inv scope:SCOPE_SE
	v_add_co_u32 v19, vcc_lo, v23, v33
	s_wait_alu 0xfffd
	v_add_co_ci_u32_e64 v20, null, 0, v24, vcc_lo
	s_delay_alu instid0(VALU_DEP_2) | instskip(SKIP_1) | instid1(VALU_DEP_2)
	v_add_co_u32 v17, vcc_lo, v19, v32
	s_wait_alu 0xfffd
	v_add_co_ci_u32_e64 v18, null, 0, v20, vcc_lo
.LBB1986_102:
	s_load_b64 s[2:3], s[0:1], 0x30
	v_and_b32_e32 v25, 1, v30
	s_wait_dscnt 0x0
	v_cmp_gt_u64_e32 vcc_lo, 0x101, v[13:14]
	s_mov_b32 s1, -1
	s_delay_alu instid0(VALU_DEP_2)
	v_cmp_eq_u32_e64 s0, 1, v25
	s_cbranch_vccnz .LBB1986_106
; %bb.103:
	s_wait_alu 0xfffe
	s_and_b32 vcc_lo, exec_lo, s1
	s_wait_alu 0xfffe
	s_cbranch_vccnz .LBB1986_113
.LBB1986_104:
	v_cmp_eq_u32_e32 vcc_lo, 0, v0
	s_and_b32 s0, vcc_lo, s16
	s_wait_alu 0xfffe
	s_and_saveexec_b32 s1, s0
	s_cbranch_execnz .LBB1986_122
.LBB1986_105:
	s_endpgm
.LBB1986_106:
	v_add_co_u32 v21, vcc_lo, v15, v13
	s_wait_alu 0xfffd
	v_add_co_ci_u32_e64 v22, null, v16, v14, vcc_lo
	s_lshl_b64 s[4:5], s[10:11], 3
	s_wait_kmcnt 0x0
	s_wait_alu 0xfffe
	s_add_nc_u64 s[4:5], s[2:3], s[4:5]
	v_cmp_lt_u64_e32 vcc_lo, v[23:24], v[21:22]
	s_or_b32 s1, s17, vcc_lo
	s_wait_alu 0xfffe
	s_and_b32 s1, s1, s0
	s_wait_alu 0xfffe
	s_and_saveexec_b32 s0, s1
	s_cbranch_execz .LBB1986_108
; %bb.107:
	v_lshlrev_b64_e32 v[26:27], 3, v[23:24]
	s_delay_alu instid0(VALU_DEP_1) | instskip(SKIP_1) | instid1(VALU_DEP_2)
	v_add_co_u32 v26, vcc_lo, s4, v26
	s_wait_alu 0xfffd
	v_add_co_ci_u32_e64 v27, null, s5, v27, vcc_lo
	global_store_b64 v[26:27], v[9:10], off
.LBB1986_108:
	s_wait_alu 0xfffe
	s_or_b32 exec_lo, exec_lo, s0
	v_and_b32_e32 v24, 1, v29
	v_cmp_lt_u64_e32 vcc_lo, v[19:20], v[21:22]
	s_delay_alu instid0(VALU_DEP_2)
	v_cmp_eq_u32_e64 s0, 1, v24
	s_or_b32 s1, s17, vcc_lo
	s_wait_alu 0xfffe
	s_and_b32 s1, s1, s0
	s_wait_alu 0xfffe
	s_and_saveexec_b32 s0, s1
	s_cbranch_execz .LBB1986_110
; %bb.109:
	v_lshlrev_b64_e32 v[26:27], 3, v[19:20]
	s_delay_alu instid0(VALU_DEP_1) | instskip(SKIP_1) | instid1(VALU_DEP_2)
	v_add_co_u32 v26, vcc_lo, s4, v26
	s_wait_alu 0xfffd
	v_add_co_ci_u32_e64 v27, null, s5, v27, vcc_lo
	global_store_b64 v[26:27], v[5:6], off
.LBB1986_110:
	s_wait_alu 0xfffe
	s_or_b32 exec_lo, exec_lo, s0
	v_cmp_lt_u64_e32 vcc_lo, v[17:18], v[21:22]
	s_or_b32 s0, s17, vcc_lo
	s_wait_alu 0xfffe
	s_and_b32 s1, s0, s18
	s_wait_alu 0xfffe
	s_and_saveexec_b32 s0, s1
	s_cbranch_execz .LBB1986_112
; %bb.111:
	v_lshlrev_b64_e32 v[20:21], 3, v[17:18]
	s_delay_alu instid0(VALU_DEP_1) | instskip(SKIP_1) | instid1(VALU_DEP_2)
	v_add_co_u32 v20, vcc_lo, s4, v20
	s_wait_alu 0xfffd
	v_add_co_ci_u32_e64 v21, null, s5, v21, vcc_lo
	global_store_b64 v[20:21], v[1:2], off
.LBB1986_112:
	s_wait_alu 0xfffe
	s_or_b32 exec_lo, exec_lo, s0
	s_branch .LBB1986_104
.LBB1986_113:
	s_mov_b32 s0, exec_lo
	v_cmpx_eq_u32_e32 1, v25
; %bb.114:
	v_sub_nc_u32_e32 v18, v23, v15
	s_delay_alu instid0(VALU_DEP_1)
	v_lshlrev_b32_e32 v18, 4, v18
	ds_store_b128 v18, v[9:12]
; %bb.115:
	s_wait_alu 0xfffe
	s_or_b32 exec_lo, exec_lo, s0
	v_and_b32_e32 v9, 1, v29
	s_mov_b32 s0, exec_lo
	s_delay_alu instid0(VALU_DEP_1)
	v_cmpx_eq_u32_e32 1, v9
; %bb.116:
	v_sub_nc_u32_e32 v9, v19, v15
	s_delay_alu instid0(VALU_DEP_1)
	v_lshlrev_b32_e32 v9, 4, v9
	ds_store_b128 v9, v[5:8]
; %bb.117:
	s_wait_alu 0xfffe
	s_or_b32 exec_lo, exec_lo, s0
	s_and_saveexec_b32 s0, s18
; %bb.118:
	v_sub_nc_u32_e32 v5, v17, v15
	s_delay_alu instid0(VALU_DEP_1)
	v_lshlrev_b32_e32 v5, 4, v5
	ds_store_b128 v5, v[1:4]
; %bb.119:
	s_wait_alu 0xfffe
	s_or_b32 exec_lo, exec_lo, s0
	v_mov_b32_e32 v3, 0
	v_lshlrev_b64_e32 v[4:5], 3, v[15:16]
	s_lshl_b64 s[0:1], s[10:11], 3
	v_or_b32_e32 v2, 0x100, v0
	s_wait_kmcnt 0x0
	s_wait_alu 0xfffe
	s_add_nc_u64 s[0:1], s[2:3], s[0:1]
	v_mov_b32_e32 v1, v3
	s_wait_storecnt 0x0
	s_wait_loadcnt_dscnt 0x0
	s_wait_alu 0xfffe
	v_add_co_u32 v6, vcc_lo, s0, v4
	s_wait_alu 0xfffd
	v_add_co_ci_u32_e64 v7, null, s1, v5, vcc_lo
	v_dual_mov_b32 v5, v1 :: v_dual_mov_b32 v4, v0
	s_mov_b32 s1, 0
	s_barrier_signal -1
	s_barrier_wait -1
	global_inv scope:SCOPE_SE
.LBB1986_120:                           ; =>This Inner Loop Header: Depth=1
	v_lshlrev_b32_e32 v1, 4, v4
	v_lshlrev_b64_e32 v[10:11], 3, v[4:5]
	v_dual_mov_b32 v5, v3 :: v_dual_mov_b32 v4, v2
	v_cmp_le_u64_e32 vcc_lo, v[13:14], v[2:3]
	ds_load_b64 v[8:9], v1
	v_add_nc_u32_e32 v2, 0x100, v2
	v_add_co_u32 v10, s0, v6, v10
	s_wait_alu 0xf1ff
	v_add_co_ci_u32_e64 v11, null, v7, v11, s0
	s_wait_alu 0xfffe
	s_or_b32 s1, vcc_lo, s1
	s_wait_dscnt 0x0
	global_store_b64 v[10:11], v[8:9], off
	s_wait_alu 0xfffe
	s_and_not1_b32 exec_lo, exec_lo, s1
	s_cbranch_execnz .LBB1986_120
; %bb.121:
	s_or_b32 exec_lo, exec_lo, s1
	v_cmp_eq_u32_e32 vcc_lo, 0, v0
	s_and_b32 s0, vcc_lo, s16
	s_wait_alu 0xfffe
	s_and_saveexec_b32 s1, s0
	s_cbranch_execz .LBB1986_105
.LBB1986_122:
	v_add_co_u32 v0, vcc_lo, v15, v13
	s_wait_alu 0xfffd
	v_add_co_ci_u32_e64 v1, null, v16, v14, vcc_lo
	v_mov_b32_e32 v2, 0
	s_delay_alu instid0(VALU_DEP_3) | instskip(SKIP_1) | instid1(VALU_DEP_3)
	v_add_co_u32 v0, vcc_lo, v0, s10
	s_wait_alu 0xfffd
	v_add_co_ci_u32_e64 v1, null, s11, v1, vcc_lo
	global_store_b64 v2, v[0:1], s[8:9]
	s_endpgm
	.section	.rodata,"a",@progbits
	.p2align	6, 0x0
	.amdhsa_kernel _ZN7rocprim17ROCPRIM_400000_NS6detail17trampoline_kernelINS0_14default_configENS1_25partition_config_selectorILNS1_17partition_subalgoE6EN6thrust23THRUST_200600_302600_NS5tupleIxxNS7_9null_typeES9_S9_S9_S9_S9_S9_S9_EENS0_10empty_typeEbEEZZNS1_14partition_implILS5_6ELb0ES3_mNS7_12zip_iteratorINS8_INS7_6detail15normal_iteratorINS7_10device_ptrIxEEEESJ_S9_S9_S9_S9_S9_S9_S9_S9_EEEEPSB_SM_NS0_5tupleIJNSE_INS8_ISJ_NS7_16discard_iteratorINS7_11use_defaultEEES9_S9_S9_S9_S9_S9_S9_S9_EEEESB_EEENSN_IJSM_SM_EEESB_PlJNSF_9not_fun_tINSF_14equal_to_valueISA_EEEEEEE10hipError_tPvRmT3_T4_T5_T6_T7_T9_mT8_P12ihipStream_tbDpT10_ENKUlT_T0_E_clISt17integral_constantIbLb0EES1J_EEDaS1E_S1F_EUlS1E_E_NS1_11comp_targetILNS1_3genE10ELNS1_11target_archE1200ELNS1_3gpuE4ELNS1_3repE0EEENS1_30default_config_static_selectorELNS0_4arch9wavefront6targetE0EEEvT1_
		.amdhsa_group_segment_fixed_size 12304
		.amdhsa_private_segment_fixed_size 0
		.amdhsa_kernarg_size 152
		.amdhsa_user_sgpr_count 2
		.amdhsa_user_sgpr_dispatch_ptr 0
		.amdhsa_user_sgpr_queue_ptr 0
		.amdhsa_user_sgpr_kernarg_segment_ptr 1
		.amdhsa_user_sgpr_dispatch_id 0
		.amdhsa_user_sgpr_private_segment_size 0
		.amdhsa_wavefront_size32 1
		.amdhsa_uses_dynamic_stack 0
		.amdhsa_enable_private_segment 0
		.amdhsa_system_sgpr_workgroup_id_x 1
		.amdhsa_system_sgpr_workgroup_id_y 0
		.amdhsa_system_sgpr_workgroup_id_z 0
		.amdhsa_system_sgpr_workgroup_info 0
		.amdhsa_system_vgpr_workitem_id 0
		.amdhsa_next_free_vgpr 49
		.amdhsa_next_free_sgpr 21
		.amdhsa_reserve_vcc 1
		.amdhsa_float_round_mode_32 0
		.amdhsa_float_round_mode_16_64 0
		.amdhsa_float_denorm_mode_32 3
		.amdhsa_float_denorm_mode_16_64 3
		.amdhsa_fp16_overflow 0
		.amdhsa_workgroup_processor_mode 1
		.amdhsa_memory_ordered 1
		.amdhsa_forward_progress 1
		.amdhsa_inst_pref_size 46
		.amdhsa_round_robin_scheduling 0
		.amdhsa_exception_fp_ieee_invalid_op 0
		.amdhsa_exception_fp_denorm_src 0
		.amdhsa_exception_fp_ieee_div_zero 0
		.amdhsa_exception_fp_ieee_overflow 0
		.amdhsa_exception_fp_ieee_underflow 0
		.amdhsa_exception_fp_ieee_inexact 0
		.amdhsa_exception_int_div_zero 0
	.end_amdhsa_kernel
	.section	.text._ZN7rocprim17ROCPRIM_400000_NS6detail17trampoline_kernelINS0_14default_configENS1_25partition_config_selectorILNS1_17partition_subalgoE6EN6thrust23THRUST_200600_302600_NS5tupleIxxNS7_9null_typeES9_S9_S9_S9_S9_S9_S9_EENS0_10empty_typeEbEEZZNS1_14partition_implILS5_6ELb0ES3_mNS7_12zip_iteratorINS8_INS7_6detail15normal_iteratorINS7_10device_ptrIxEEEESJ_S9_S9_S9_S9_S9_S9_S9_S9_EEEEPSB_SM_NS0_5tupleIJNSE_INS8_ISJ_NS7_16discard_iteratorINS7_11use_defaultEEES9_S9_S9_S9_S9_S9_S9_S9_EEEESB_EEENSN_IJSM_SM_EEESB_PlJNSF_9not_fun_tINSF_14equal_to_valueISA_EEEEEEE10hipError_tPvRmT3_T4_T5_T6_T7_T9_mT8_P12ihipStream_tbDpT10_ENKUlT_T0_E_clISt17integral_constantIbLb0EES1J_EEDaS1E_S1F_EUlS1E_E_NS1_11comp_targetILNS1_3genE10ELNS1_11target_archE1200ELNS1_3gpuE4ELNS1_3repE0EEENS1_30default_config_static_selectorELNS0_4arch9wavefront6targetE0EEEvT1_,"axG",@progbits,_ZN7rocprim17ROCPRIM_400000_NS6detail17trampoline_kernelINS0_14default_configENS1_25partition_config_selectorILNS1_17partition_subalgoE6EN6thrust23THRUST_200600_302600_NS5tupleIxxNS7_9null_typeES9_S9_S9_S9_S9_S9_S9_EENS0_10empty_typeEbEEZZNS1_14partition_implILS5_6ELb0ES3_mNS7_12zip_iteratorINS8_INS7_6detail15normal_iteratorINS7_10device_ptrIxEEEESJ_S9_S9_S9_S9_S9_S9_S9_S9_EEEEPSB_SM_NS0_5tupleIJNSE_INS8_ISJ_NS7_16discard_iteratorINS7_11use_defaultEEES9_S9_S9_S9_S9_S9_S9_S9_EEEESB_EEENSN_IJSM_SM_EEESB_PlJNSF_9not_fun_tINSF_14equal_to_valueISA_EEEEEEE10hipError_tPvRmT3_T4_T5_T6_T7_T9_mT8_P12ihipStream_tbDpT10_ENKUlT_T0_E_clISt17integral_constantIbLb0EES1J_EEDaS1E_S1F_EUlS1E_E_NS1_11comp_targetILNS1_3genE10ELNS1_11target_archE1200ELNS1_3gpuE4ELNS1_3repE0EEENS1_30default_config_static_selectorELNS0_4arch9wavefront6targetE0EEEvT1_,comdat
.Lfunc_end1986:
	.size	_ZN7rocprim17ROCPRIM_400000_NS6detail17trampoline_kernelINS0_14default_configENS1_25partition_config_selectorILNS1_17partition_subalgoE6EN6thrust23THRUST_200600_302600_NS5tupleIxxNS7_9null_typeES9_S9_S9_S9_S9_S9_S9_EENS0_10empty_typeEbEEZZNS1_14partition_implILS5_6ELb0ES3_mNS7_12zip_iteratorINS8_INS7_6detail15normal_iteratorINS7_10device_ptrIxEEEESJ_S9_S9_S9_S9_S9_S9_S9_S9_EEEEPSB_SM_NS0_5tupleIJNSE_INS8_ISJ_NS7_16discard_iteratorINS7_11use_defaultEEES9_S9_S9_S9_S9_S9_S9_S9_EEEESB_EEENSN_IJSM_SM_EEESB_PlJNSF_9not_fun_tINSF_14equal_to_valueISA_EEEEEEE10hipError_tPvRmT3_T4_T5_T6_T7_T9_mT8_P12ihipStream_tbDpT10_ENKUlT_T0_E_clISt17integral_constantIbLb0EES1J_EEDaS1E_S1F_EUlS1E_E_NS1_11comp_targetILNS1_3genE10ELNS1_11target_archE1200ELNS1_3gpuE4ELNS1_3repE0EEENS1_30default_config_static_selectorELNS0_4arch9wavefront6targetE0EEEvT1_, .Lfunc_end1986-_ZN7rocprim17ROCPRIM_400000_NS6detail17trampoline_kernelINS0_14default_configENS1_25partition_config_selectorILNS1_17partition_subalgoE6EN6thrust23THRUST_200600_302600_NS5tupleIxxNS7_9null_typeES9_S9_S9_S9_S9_S9_S9_EENS0_10empty_typeEbEEZZNS1_14partition_implILS5_6ELb0ES3_mNS7_12zip_iteratorINS8_INS7_6detail15normal_iteratorINS7_10device_ptrIxEEEESJ_S9_S9_S9_S9_S9_S9_S9_S9_EEEEPSB_SM_NS0_5tupleIJNSE_INS8_ISJ_NS7_16discard_iteratorINS7_11use_defaultEEES9_S9_S9_S9_S9_S9_S9_S9_EEEESB_EEENSN_IJSM_SM_EEESB_PlJNSF_9not_fun_tINSF_14equal_to_valueISA_EEEEEEE10hipError_tPvRmT3_T4_T5_T6_T7_T9_mT8_P12ihipStream_tbDpT10_ENKUlT_T0_E_clISt17integral_constantIbLb0EES1J_EEDaS1E_S1F_EUlS1E_E_NS1_11comp_targetILNS1_3genE10ELNS1_11target_archE1200ELNS1_3gpuE4ELNS1_3repE0EEENS1_30default_config_static_selectorELNS0_4arch9wavefront6targetE0EEEvT1_
                                        ; -- End function
	.set _ZN7rocprim17ROCPRIM_400000_NS6detail17trampoline_kernelINS0_14default_configENS1_25partition_config_selectorILNS1_17partition_subalgoE6EN6thrust23THRUST_200600_302600_NS5tupleIxxNS7_9null_typeES9_S9_S9_S9_S9_S9_S9_EENS0_10empty_typeEbEEZZNS1_14partition_implILS5_6ELb0ES3_mNS7_12zip_iteratorINS8_INS7_6detail15normal_iteratorINS7_10device_ptrIxEEEESJ_S9_S9_S9_S9_S9_S9_S9_S9_EEEEPSB_SM_NS0_5tupleIJNSE_INS8_ISJ_NS7_16discard_iteratorINS7_11use_defaultEEES9_S9_S9_S9_S9_S9_S9_S9_EEEESB_EEENSN_IJSM_SM_EEESB_PlJNSF_9not_fun_tINSF_14equal_to_valueISA_EEEEEEE10hipError_tPvRmT3_T4_T5_T6_T7_T9_mT8_P12ihipStream_tbDpT10_ENKUlT_T0_E_clISt17integral_constantIbLb0EES1J_EEDaS1E_S1F_EUlS1E_E_NS1_11comp_targetILNS1_3genE10ELNS1_11target_archE1200ELNS1_3gpuE4ELNS1_3repE0EEENS1_30default_config_static_selectorELNS0_4arch9wavefront6targetE0EEEvT1_.num_vgpr, 49
	.set _ZN7rocprim17ROCPRIM_400000_NS6detail17trampoline_kernelINS0_14default_configENS1_25partition_config_selectorILNS1_17partition_subalgoE6EN6thrust23THRUST_200600_302600_NS5tupleIxxNS7_9null_typeES9_S9_S9_S9_S9_S9_S9_EENS0_10empty_typeEbEEZZNS1_14partition_implILS5_6ELb0ES3_mNS7_12zip_iteratorINS8_INS7_6detail15normal_iteratorINS7_10device_ptrIxEEEESJ_S9_S9_S9_S9_S9_S9_S9_S9_EEEEPSB_SM_NS0_5tupleIJNSE_INS8_ISJ_NS7_16discard_iteratorINS7_11use_defaultEEES9_S9_S9_S9_S9_S9_S9_S9_EEEESB_EEENSN_IJSM_SM_EEESB_PlJNSF_9not_fun_tINSF_14equal_to_valueISA_EEEEEEE10hipError_tPvRmT3_T4_T5_T6_T7_T9_mT8_P12ihipStream_tbDpT10_ENKUlT_T0_E_clISt17integral_constantIbLb0EES1J_EEDaS1E_S1F_EUlS1E_E_NS1_11comp_targetILNS1_3genE10ELNS1_11target_archE1200ELNS1_3gpuE4ELNS1_3repE0EEENS1_30default_config_static_selectorELNS0_4arch9wavefront6targetE0EEEvT1_.num_agpr, 0
	.set _ZN7rocprim17ROCPRIM_400000_NS6detail17trampoline_kernelINS0_14default_configENS1_25partition_config_selectorILNS1_17partition_subalgoE6EN6thrust23THRUST_200600_302600_NS5tupleIxxNS7_9null_typeES9_S9_S9_S9_S9_S9_S9_EENS0_10empty_typeEbEEZZNS1_14partition_implILS5_6ELb0ES3_mNS7_12zip_iteratorINS8_INS7_6detail15normal_iteratorINS7_10device_ptrIxEEEESJ_S9_S9_S9_S9_S9_S9_S9_S9_EEEEPSB_SM_NS0_5tupleIJNSE_INS8_ISJ_NS7_16discard_iteratorINS7_11use_defaultEEES9_S9_S9_S9_S9_S9_S9_S9_EEEESB_EEENSN_IJSM_SM_EEESB_PlJNSF_9not_fun_tINSF_14equal_to_valueISA_EEEEEEE10hipError_tPvRmT3_T4_T5_T6_T7_T9_mT8_P12ihipStream_tbDpT10_ENKUlT_T0_E_clISt17integral_constantIbLb0EES1J_EEDaS1E_S1F_EUlS1E_E_NS1_11comp_targetILNS1_3genE10ELNS1_11target_archE1200ELNS1_3gpuE4ELNS1_3repE0EEENS1_30default_config_static_selectorELNS0_4arch9wavefront6targetE0EEEvT1_.numbered_sgpr, 21
	.set _ZN7rocprim17ROCPRIM_400000_NS6detail17trampoline_kernelINS0_14default_configENS1_25partition_config_selectorILNS1_17partition_subalgoE6EN6thrust23THRUST_200600_302600_NS5tupleIxxNS7_9null_typeES9_S9_S9_S9_S9_S9_S9_EENS0_10empty_typeEbEEZZNS1_14partition_implILS5_6ELb0ES3_mNS7_12zip_iteratorINS8_INS7_6detail15normal_iteratorINS7_10device_ptrIxEEEESJ_S9_S9_S9_S9_S9_S9_S9_S9_EEEEPSB_SM_NS0_5tupleIJNSE_INS8_ISJ_NS7_16discard_iteratorINS7_11use_defaultEEES9_S9_S9_S9_S9_S9_S9_S9_EEEESB_EEENSN_IJSM_SM_EEESB_PlJNSF_9not_fun_tINSF_14equal_to_valueISA_EEEEEEE10hipError_tPvRmT3_T4_T5_T6_T7_T9_mT8_P12ihipStream_tbDpT10_ENKUlT_T0_E_clISt17integral_constantIbLb0EES1J_EEDaS1E_S1F_EUlS1E_E_NS1_11comp_targetILNS1_3genE10ELNS1_11target_archE1200ELNS1_3gpuE4ELNS1_3repE0EEENS1_30default_config_static_selectorELNS0_4arch9wavefront6targetE0EEEvT1_.num_named_barrier, 0
	.set _ZN7rocprim17ROCPRIM_400000_NS6detail17trampoline_kernelINS0_14default_configENS1_25partition_config_selectorILNS1_17partition_subalgoE6EN6thrust23THRUST_200600_302600_NS5tupleIxxNS7_9null_typeES9_S9_S9_S9_S9_S9_S9_EENS0_10empty_typeEbEEZZNS1_14partition_implILS5_6ELb0ES3_mNS7_12zip_iteratorINS8_INS7_6detail15normal_iteratorINS7_10device_ptrIxEEEESJ_S9_S9_S9_S9_S9_S9_S9_S9_EEEEPSB_SM_NS0_5tupleIJNSE_INS8_ISJ_NS7_16discard_iteratorINS7_11use_defaultEEES9_S9_S9_S9_S9_S9_S9_S9_EEEESB_EEENSN_IJSM_SM_EEESB_PlJNSF_9not_fun_tINSF_14equal_to_valueISA_EEEEEEE10hipError_tPvRmT3_T4_T5_T6_T7_T9_mT8_P12ihipStream_tbDpT10_ENKUlT_T0_E_clISt17integral_constantIbLb0EES1J_EEDaS1E_S1F_EUlS1E_E_NS1_11comp_targetILNS1_3genE10ELNS1_11target_archE1200ELNS1_3gpuE4ELNS1_3repE0EEENS1_30default_config_static_selectorELNS0_4arch9wavefront6targetE0EEEvT1_.private_seg_size, 0
	.set _ZN7rocprim17ROCPRIM_400000_NS6detail17trampoline_kernelINS0_14default_configENS1_25partition_config_selectorILNS1_17partition_subalgoE6EN6thrust23THRUST_200600_302600_NS5tupleIxxNS7_9null_typeES9_S9_S9_S9_S9_S9_S9_EENS0_10empty_typeEbEEZZNS1_14partition_implILS5_6ELb0ES3_mNS7_12zip_iteratorINS8_INS7_6detail15normal_iteratorINS7_10device_ptrIxEEEESJ_S9_S9_S9_S9_S9_S9_S9_S9_EEEEPSB_SM_NS0_5tupleIJNSE_INS8_ISJ_NS7_16discard_iteratorINS7_11use_defaultEEES9_S9_S9_S9_S9_S9_S9_S9_EEEESB_EEENSN_IJSM_SM_EEESB_PlJNSF_9not_fun_tINSF_14equal_to_valueISA_EEEEEEE10hipError_tPvRmT3_T4_T5_T6_T7_T9_mT8_P12ihipStream_tbDpT10_ENKUlT_T0_E_clISt17integral_constantIbLb0EES1J_EEDaS1E_S1F_EUlS1E_E_NS1_11comp_targetILNS1_3genE10ELNS1_11target_archE1200ELNS1_3gpuE4ELNS1_3repE0EEENS1_30default_config_static_selectorELNS0_4arch9wavefront6targetE0EEEvT1_.uses_vcc, 1
	.set _ZN7rocprim17ROCPRIM_400000_NS6detail17trampoline_kernelINS0_14default_configENS1_25partition_config_selectorILNS1_17partition_subalgoE6EN6thrust23THRUST_200600_302600_NS5tupleIxxNS7_9null_typeES9_S9_S9_S9_S9_S9_S9_EENS0_10empty_typeEbEEZZNS1_14partition_implILS5_6ELb0ES3_mNS7_12zip_iteratorINS8_INS7_6detail15normal_iteratorINS7_10device_ptrIxEEEESJ_S9_S9_S9_S9_S9_S9_S9_S9_EEEEPSB_SM_NS0_5tupleIJNSE_INS8_ISJ_NS7_16discard_iteratorINS7_11use_defaultEEES9_S9_S9_S9_S9_S9_S9_S9_EEEESB_EEENSN_IJSM_SM_EEESB_PlJNSF_9not_fun_tINSF_14equal_to_valueISA_EEEEEEE10hipError_tPvRmT3_T4_T5_T6_T7_T9_mT8_P12ihipStream_tbDpT10_ENKUlT_T0_E_clISt17integral_constantIbLb0EES1J_EEDaS1E_S1F_EUlS1E_E_NS1_11comp_targetILNS1_3genE10ELNS1_11target_archE1200ELNS1_3gpuE4ELNS1_3repE0EEENS1_30default_config_static_selectorELNS0_4arch9wavefront6targetE0EEEvT1_.uses_flat_scratch, 0
	.set _ZN7rocprim17ROCPRIM_400000_NS6detail17trampoline_kernelINS0_14default_configENS1_25partition_config_selectorILNS1_17partition_subalgoE6EN6thrust23THRUST_200600_302600_NS5tupleIxxNS7_9null_typeES9_S9_S9_S9_S9_S9_S9_EENS0_10empty_typeEbEEZZNS1_14partition_implILS5_6ELb0ES3_mNS7_12zip_iteratorINS8_INS7_6detail15normal_iteratorINS7_10device_ptrIxEEEESJ_S9_S9_S9_S9_S9_S9_S9_S9_EEEEPSB_SM_NS0_5tupleIJNSE_INS8_ISJ_NS7_16discard_iteratorINS7_11use_defaultEEES9_S9_S9_S9_S9_S9_S9_S9_EEEESB_EEENSN_IJSM_SM_EEESB_PlJNSF_9not_fun_tINSF_14equal_to_valueISA_EEEEEEE10hipError_tPvRmT3_T4_T5_T6_T7_T9_mT8_P12ihipStream_tbDpT10_ENKUlT_T0_E_clISt17integral_constantIbLb0EES1J_EEDaS1E_S1F_EUlS1E_E_NS1_11comp_targetILNS1_3genE10ELNS1_11target_archE1200ELNS1_3gpuE4ELNS1_3repE0EEENS1_30default_config_static_selectorELNS0_4arch9wavefront6targetE0EEEvT1_.has_dyn_sized_stack, 0
	.set _ZN7rocprim17ROCPRIM_400000_NS6detail17trampoline_kernelINS0_14default_configENS1_25partition_config_selectorILNS1_17partition_subalgoE6EN6thrust23THRUST_200600_302600_NS5tupleIxxNS7_9null_typeES9_S9_S9_S9_S9_S9_S9_EENS0_10empty_typeEbEEZZNS1_14partition_implILS5_6ELb0ES3_mNS7_12zip_iteratorINS8_INS7_6detail15normal_iteratorINS7_10device_ptrIxEEEESJ_S9_S9_S9_S9_S9_S9_S9_S9_EEEEPSB_SM_NS0_5tupleIJNSE_INS8_ISJ_NS7_16discard_iteratorINS7_11use_defaultEEES9_S9_S9_S9_S9_S9_S9_S9_EEEESB_EEENSN_IJSM_SM_EEESB_PlJNSF_9not_fun_tINSF_14equal_to_valueISA_EEEEEEE10hipError_tPvRmT3_T4_T5_T6_T7_T9_mT8_P12ihipStream_tbDpT10_ENKUlT_T0_E_clISt17integral_constantIbLb0EES1J_EEDaS1E_S1F_EUlS1E_E_NS1_11comp_targetILNS1_3genE10ELNS1_11target_archE1200ELNS1_3gpuE4ELNS1_3repE0EEENS1_30default_config_static_selectorELNS0_4arch9wavefront6targetE0EEEvT1_.has_recursion, 0
	.set _ZN7rocprim17ROCPRIM_400000_NS6detail17trampoline_kernelINS0_14default_configENS1_25partition_config_selectorILNS1_17partition_subalgoE6EN6thrust23THRUST_200600_302600_NS5tupleIxxNS7_9null_typeES9_S9_S9_S9_S9_S9_S9_EENS0_10empty_typeEbEEZZNS1_14partition_implILS5_6ELb0ES3_mNS7_12zip_iteratorINS8_INS7_6detail15normal_iteratorINS7_10device_ptrIxEEEESJ_S9_S9_S9_S9_S9_S9_S9_S9_EEEEPSB_SM_NS0_5tupleIJNSE_INS8_ISJ_NS7_16discard_iteratorINS7_11use_defaultEEES9_S9_S9_S9_S9_S9_S9_S9_EEEESB_EEENSN_IJSM_SM_EEESB_PlJNSF_9not_fun_tINSF_14equal_to_valueISA_EEEEEEE10hipError_tPvRmT3_T4_T5_T6_T7_T9_mT8_P12ihipStream_tbDpT10_ENKUlT_T0_E_clISt17integral_constantIbLb0EES1J_EEDaS1E_S1F_EUlS1E_E_NS1_11comp_targetILNS1_3genE10ELNS1_11target_archE1200ELNS1_3gpuE4ELNS1_3repE0EEENS1_30default_config_static_selectorELNS0_4arch9wavefront6targetE0EEEvT1_.has_indirect_call, 0
	.section	.AMDGPU.csdata,"",@progbits
; Kernel info:
; codeLenInByte = 5824
; TotalNumSgprs: 23
; NumVgprs: 49
; ScratchSize: 0
; MemoryBound: 0
; FloatMode: 240
; IeeeMode: 1
; LDSByteSize: 12304 bytes/workgroup (compile time only)
; SGPRBlocks: 0
; VGPRBlocks: 6
; NumSGPRsForWavesPerEU: 23
; NumVGPRsForWavesPerEU: 49
; Occupancy: 16
; WaveLimiterHint : 1
; COMPUTE_PGM_RSRC2:SCRATCH_EN: 0
; COMPUTE_PGM_RSRC2:USER_SGPR: 2
; COMPUTE_PGM_RSRC2:TRAP_HANDLER: 0
; COMPUTE_PGM_RSRC2:TGID_X_EN: 1
; COMPUTE_PGM_RSRC2:TGID_Y_EN: 0
; COMPUTE_PGM_RSRC2:TGID_Z_EN: 0
; COMPUTE_PGM_RSRC2:TIDIG_COMP_CNT: 0
	.section	.text._ZN7rocprim17ROCPRIM_400000_NS6detail17trampoline_kernelINS0_14default_configENS1_25partition_config_selectorILNS1_17partition_subalgoE6EN6thrust23THRUST_200600_302600_NS5tupleIxxNS7_9null_typeES9_S9_S9_S9_S9_S9_S9_EENS0_10empty_typeEbEEZZNS1_14partition_implILS5_6ELb0ES3_mNS7_12zip_iteratorINS8_INS7_6detail15normal_iteratorINS7_10device_ptrIxEEEESJ_S9_S9_S9_S9_S9_S9_S9_S9_EEEEPSB_SM_NS0_5tupleIJNSE_INS8_ISJ_NS7_16discard_iteratorINS7_11use_defaultEEES9_S9_S9_S9_S9_S9_S9_S9_EEEESB_EEENSN_IJSM_SM_EEESB_PlJNSF_9not_fun_tINSF_14equal_to_valueISA_EEEEEEE10hipError_tPvRmT3_T4_T5_T6_T7_T9_mT8_P12ihipStream_tbDpT10_ENKUlT_T0_E_clISt17integral_constantIbLb0EES1J_EEDaS1E_S1F_EUlS1E_E_NS1_11comp_targetILNS1_3genE9ELNS1_11target_archE1100ELNS1_3gpuE3ELNS1_3repE0EEENS1_30default_config_static_selectorELNS0_4arch9wavefront6targetE0EEEvT1_,"axG",@progbits,_ZN7rocprim17ROCPRIM_400000_NS6detail17trampoline_kernelINS0_14default_configENS1_25partition_config_selectorILNS1_17partition_subalgoE6EN6thrust23THRUST_200600_302600_NS5tupleIxxNS7_9null_typeES9_S9_S9_S9_S9_S9_S9_EENS0_10empty_typeEbEEZZNS1_14partition_implILS5_6ELb0ES3_mNS7_12zip_iteratorINS8_INS7_6detail15normal_iteratorINS7_10device_ptrIxEEEESJ_S9_S9_S9_S9_S9_S9_S9_S9_EEEEPSB_SM_NS0_5tupleIJNSE_INS8_ISJ_NS7_16discard_iteratorINS7_11use_defaultEEES9_S9_S9_S9_S9_S9_S9_S9_EEEESB_EEENSN_IJSM_SM_EEESB_PlJNSF_9not_fun_tINSF_14equal_to_valueISA_EEEEEEE10hipError_tPvRmT3_T4_T5_T6_T7_T9_mT8_P12ihipStream_tbDpT10_ENKUlT_T0_E_clISt17integral_constantIbLb0EES1J_EEDaS1E_S1F_EUlS1E_E_NS1_11comp_targetILNS1_3genE9ELNS1_11target_archE1100ELNS1_3gpuE3ELNS1_3repE0EEENS1_30default_config_static_selectorELNS0_4arch9wavefront6targetE0EEEvT1_,comdat
	.protected	_ZN7rocprim17ROCPRIM_400000_NS6detail17trampoline_kernelINS0_14default_configENS1_25partition_config_selectorILNS1_17partition_subalgoE6EN6thrust23THRUST_200600_302600_NS5tupleIxxNS7_9null_typeES9_S9_S9_S9_S9_S9_S9_EENS0_10empty_typeEbEEZZNS1_14partition_implILS5_6ELb0ES3_mNS7_12zip_iteratorINS8_INS7_6detail15normal_iteratorINS7_10device_ptrIxEEEESJ_S9_S9_S9_S9_S9_S9_S9_S9_EEEEPSB_SM_NS0_5tupleIJNSE_INS8_ISJ_NS7_16discard_iteratorINS7_11use_defaultEEES9_S9_S9_S9_S9_S9_S9_S9_EEEESB_EEENSN_IJSM_SM_EEESB_PlJNSF_9not_fun_tINSF_14equal_to_valueISA_EEEEEEE10hipError_tPvRmT3_T4_T5_T6_T7_T9_mT8_P12ihipStream_tbDpT10_ENKUlT_T0_E_clISt17integral_constantIbLb0EES1J_EEDaS1E_S1F_EUlS1E_E_NS1_11comp_targetILNS1_3genE9ELNS1_11target_archE1100ELNS1_3gpuE3ELNS1_3repE0EEENS1_30default_config_static_selectorELNS0_4arch9wavefront6targetE0EEEvT1_ ; -- Begin function _ZN7rocprim17ROCPRIM_400000_NS6detail17trampoline_kernelINS0_14default_configENS1_25partition_config_selectorILNS1_17partition_subalgoE6EN6thrust23THRUST_200600_302600_NS5tupleIxxNS7_9null_typeES9_S9_S9_S9_S9_S9_S9_EENS0_10empty_typeEbEEZZNS1_14partition_implILS5_6ELb0ES3_mNS7_12zip_iteratorINS8_INS7_6detail15normal_iteratorINS7_10device_ptrIxEEEESJ_S9_S9_S9_S9_S9_S9_S9_S9_EEEEPSB_SM_NS0_5tupleIJNSE_INS8_ISJ_NS7_16discard_iteratorINS7_11use_defaultEEES9_S9_S9_S9_S9_S9_S9_S9_EEEESB_EEENSN_IJSM_SM_EEESB_PlJNSF_9not_fun_tINSF_14equal_to_valueISA_EEEEEEE10hipError_tPvRmT3_T4_T5_T6_T7_T9_mT8_P12ihipStream_tbDpT10_ENKUlT_T0_E_clISt17integral_constantIbLb0EES1J_EEDaS1E_S1F_EUlS1E_E_NS1_11comp_targetILNS1_3genE9ELNS1_11target_archE1100ELNS1_3gpuE3ELNS1_3repE0EEENS1_30default_config_static_selectorELNS0_4arch9wavefront6targetE0EEEvT1_
	.globl	_ZN7rocprim17ROCPRIM_400000_NS6detail17trampoline_kernelINS0_14default_configENS1_25partition_config_selectorILNS1_17partition_subalgoE6EN6thrust23THRUST_200600_302600_NS5tupleIxxNS7_9null_typeES9_S9_S9_S9_S9_S9_S9_EENS0_10empty_typeEbEEZZNS1_14partition_implILS5_6ELb0ES3_mNS7_12zip_iteratorINS8_INS7_6detail15normal_iteratorINS7_10device_ptrIxEEEESJ_S9_S9_S9_S9_S9_S9_S9_S9_EEEEPSB_SM_NS0_5tupleIJNSE_INS8_ISJ_NS7_16discard_iteratorINS7_11use_defaultEEES9_S9_S9_S9_S9_S9_S9_S9_EEEESB_EEENSN_IJSM_SM_EEESB_PlJNSF_9not_fun_tINSF_14equal_to_valueISA_EEEEEEE10hipError_tPvRmT3_T4_T5_T6_T7_T9_mT8_P12ihipStream_tbDpT10_ENKUlT_T0_E_clISt17integral_constantIbLb0EES1J_EEDaS1E_S1F_EUlS1E_E_NS1_11comp_targetILNS1_3genE9ELNS1_11target_archE1100ELNS1_3gpuE3ELNS1_3repE0EEENS1_30default_config_static_selectorELNS0_4arch9wavefront6targetE0EEEvT1_
	.p2align	8
	.type	_ZN7rocprim17ROCPRIM_400000_NS6detail17trampoline_kernelINS0_14default_configENS1_25partition_config_selectorILNS1_17partition_subalgoE6EN6thrust23THRUST_200600_302600_NS5tupleIxxNS7_9null_typeES9_S9_S9_S9_S9_S9_S9_EENS0_10empty_typeEbEEZZNS1_14partition_implILS5_6ELb0ES3_mNS7_12zip_iteratorINS8_INS7_6detail15normal_iteratorINS7_10device_ptrIxEEEESJ_S9_S9_S9_S9_S9_S9_S9_S9_EEEEPSB_SM_NS0_5tupleIJNSE_INS8_ISJ_NS7_16discard_iteratorINS7_11use_defaultEEES9_S9_S9_S9_S9_S9_S9_S9_EEEESB_EEENSN_IJSM_SM_EEESB_PlJNSF_9not_fun_tINSF_14equal_to_valueISA_EEEEEEE10hipError_tPvRmT3_T4_T5_T6_T7_T9_mT8_P12ihipStream_tbDpT10_ENKUlT_T0_E_clISt17integral_constantIbLb0EES1J_EEDaS1E_S1F_EUlS1E_E_NS1_11comp_targetILNS1_3genE9ELNS1_11target_archE1100ELNS1_3gpuE3ELNS1_3repE0EEENS1_30default_config_static_selectorELNS0_4arch9wavefront6targetE0EEEvT1_,@function
_ZN7rocprim17ROCPRIM_400000_NS6detail17trampoline_kernelINS0_14default_configENS1_25partition_config_selectorILNS1_17partition_subalgoE6EN6thrust23THRUST_200600_302600_NS5tupleIxxNS7_9null_typeES9_S9_S9_S9_S9_S9_S9_EENS0_10empty_typeEbEEZZNS1_14partition_implILS5_6ELb0ES3_mNS7_12zip_iteratorINS8_INS7_6detail15normal_iteratorINS7_10device_ptrIxEEEESJ_S9_S9_S9_S9_S9_S9_S9_S9_EEEEPSB_SM_NS0_5tupleIJNSE_INS8_ISJ_NS7_16discard_iteratorINS7_11use_defaultEEES9_S9_S9_S9_S9_S9_S9_S9_EEEESB_EEENSN_IJSM_SM_EEESB_PlJNSF_9not_fun_tINSF_14equal_to_valueISA_EEEEEEE10hipError_tPvRmT3_T4_T5_T6_T7_T9_mT8_P12ihipStream_tbDpT10_ENKUlT_T0_E_clISt17integral_constantIbLb0EES1J_EEDaS1E_S1F_EUlS1E_E_NS1_11comp_targetILNS1_3genE9ELNS1_11target_archE1100ELNS1_3gpuE3ELNS1_3repE0EEENS1_30default_config_static_selectorELNS0_4arch9wavefront6targetE0EEEvT1_: ; @_ZN7rocprim17ROCPRIM_400000_NS6detail17trampoline_kernelINS0_14default_configENS1_25partition_config_selectorILNS1_17partition_subalgoE6EN6thrust23THRUST_200600_302600_NS5tupleIxxNS7_9null_typeES9_S9_S9_S9_S9_S9_S9_EENS0_10empty_typeEbEEZZNS1_14partition_implILS5_6ELb0ES3_mNS7_12zip_iteratorINS8_INS7_6detail15normal_iteratorINS7_10device_ptrIxEEEESJ_S9_S9_S9_S9_S9_S9_S9_S9_EEEEPSB_SM_NS0_5tupleIJNSE_INS8_ISJ_NS7_16discard_iteratorINS7_11use_defaultEEES9_S9_S9_S9_S9_S9_S9_S9_EEEESB_EEENSN_IJSM_SM_EEESB_PlJNSF_9not_fun_tINSF_14equal_to_valueISA_EEEEEEE10hipError_tPvRmT3_T4_T5_T6_T7_T9_mT8_P12ihipStream_tbDpT10_ENKUlT_T0_E_clISt17integral_constantIbLb0EES1J_EEDaS1E_S1F_EUlS1E_E_NS1_11comp_targetILNS1_3genE9ELNS1_11target_archE1100ELNS1_3gpuE3ELNS1_3repE0EEENS1_30default_config_static_selectorELNS0_4arch9wavefront6targetE0EEEvT1_
; %bb.0:
	.section	.rodata,"a",@progbits
	.p2align	6, 0x0
	.amdhsa_kernel _ZN7rocprim17ROCPRIM_400000_NS6detail17trampoline_kernelINS0_14default_configENS1_25partition_config_selectorILNS1_17partition_subalgoE6EN6thrust23THRUST_200600_302600_NS5tupleIxxNS7_9null_typeES9_S9_S9_S9_S9_S9_S9_EENS0_10empty_typeEbEEZZNS1_14partition_implILS5_6ELb0ES3_mNS7_12zip_iteratorINS8_INS7_6detail15normal_iteratorINS7_10device_ptrIxEEEESJ_S9_S9_S9_S9_S9_S9_S9_S9_EEEEPSB_SM_NS0_5tupleIJNSE_INS8_ISJ_NS7_16discard_iteratorINS7_11use_defaultEEES9_S9_S9_S9_S9_S9_S9_S9_EEEESB_EEENSN_IJSM_SM_EEESB_PlJNSF_9not_fun_tINSF_14equal_to_valueISA_EEEEEEE10hipError_tPvRmT3_T4_T5_T6_T7_T9_mT8_P12ihipStream_tbDpT10_ENKUlT_T0_E_clISt17integral_constantIbLb0EES1J_EEDaS1E_S1F_EUlS1E_E_NS1_11comp_targetILNS1_3genE9ELNS1_11target_archE1100ELNS1_3gpuE3ELNS1_3repE0EEENS1_30default_config_static_selectorELNS0_4arch9wavefront6targetE0EEEvT1_
		.amdhsa_group_segment_fixed_size 0
		.amdhsa_private_segment_fixed_size 0
		.amdhsa_kernarg_size 152
		.amdhsa_user_sgpr_count 2
		.amdhsa_user_sgpr_dispatch_ptr 0
		.amdhsa_user_sgpr_queue_ptr 0
		.amdhsa_user_sgpr_kernarg_segment_ptr 1
		.amdhsa_user_sgpr_dispatch_id 0
		.amdhsa_user_sgpr_private_segment_size 0
		.amdhsa_wavefront_size32 1
		.amdhsa_uses_dynamic_stack 0
		.amdhsa_enable_private_segment 0
		.amdhsa_system_sgpr_workgroup_id_x 1
		.amdhsa_system_sgpr_workgroup_id_y 0
		.amdhsa_system_sgpr_workgroup_id_z 0
		.amdhsa_system_sgpr_workgroup_info 0
		.amdhsa_system_vgpr_workitem_id 0
		.amdhsa_next_free_vgpr 1
		.amdhsa_next_free_sgpr 1
		.amdhsa_reserve_vcc 0
		.amdhsa_float_round_mode_32 0
		.amdhsa_float_round_mode_16_64 0
		.amdhsa_float_denorm_mode_32 3
		.amdhsa_float_denorm_mode_16_64 3
		.amdhsa_fp16_overflow 0
		.amdhsa_workgroup_processor_mode 1
		.amdhsa_memory_ordered 1
		.amdhsa_forward_progress 1
		.amdhsa_inst_pref_size 0
		.amdhsa_round_robin_scheduling 0
		.amdhsa_exception_fp_ieee_invalid_op 0
		.amdhsa_exception_fp_denorm_src 0
		.amdhsa_exception_fp_ieee_div_zero 0
		.amdhsa_exception_fp_ieee_overflow 0
		.amdhsa_exception_fp_ieee_underflow 0
		.amdhsa_exception_fp_ieee_inexact 0
		.amdhsa_exception_int_div_zero 0
	.end_amdhsa_kernel
	.section	.text._ZN7rocprim17ROCPRIM_400000_NS6detail17trampoline_kernelINS0_14default_configENS1_25partition_config_selectorILNS1_17partition_subalgoE6EN6thrust23THRUST_200600_302600_NS5tupleIxxNS7_9null_typeES9_S9_S9_S9_S9_S9_S9_EENS0_10empty_typeEbEEZZNS1_14partition_implILS5_6ELb0ES3_mNS7_12zip_iteratorINS8_INS7_6detail15normal_iteratorINS7_10device_ptrIxEEEESJ_S9_S9_S9_S9_S9_S9_S9_S9_EEEEPSB_SM_NS0_5tupleIJNSE_INS8_ISJ_NS7_16discard_iteratorINS7_11use_defaultEEES9_S9_S9_S9_S9_S9_S9_S9_EEEESB_EEENSN_IJSM_SM_EEESB_PlJNSF_9not_fun_tINSF_14equal_to_valueISA_EEEEEEE10hipError_tPvRmT3_T4_T5_T6_T7_T9_mT8_P12ihipStream_tbDpT10_ENKUlT_T0_E_clISt17integral_constantIbLb0EES1J_EEDaS1E_S1F_EUlS1E_E_NS1_11comp_targetILNS1_3genE9ELNS1_11target_archE1100ELNS1_3gpuE3ELNS1_3repE0EEENS1_30default_config_static_selectorELNS0_4arch9wavefront6targetE0EEEvT1_,"axG",@progbits,_ZN7rocprim17ROCPRIM_400000_NS6detail17trampoline_kernelINS0_14default_configENS1_25partition_config_selectorILNS1_17partition_subalgoE6EN6thrust23THRUST_200600_302600_NS5tupleIxxNS7_9null_typeES9_S9_S9_S9_S9_S9_S9_EENS0_10empty_typeEbEEZZNS1_14partition_implILS5_6ELb0ES3_mNS7_12zip_iteratorINS8_INS7_6detail15normal_iteratorINS7_10device_ptrIxEEEESJ_S9_S9_S9_S9_S9_S9_S9_S9_EEEEPSB_SM_NS0_5tupleIJNSE_INS8_ISJ_NS7_16discard_iteratorINS7_11use_defaultEEES9_S9_S9_S9_S9_S9_S9_S9_EEEESB_EEENSN_IJSM_SM_EEESB_PlJNSF_9not_fun_tINSF_14equal_to_valueISA_EEEEEEE10hipError_tPvRmT3_T4_T5_T6_T7_T9_mT8_P12ihipStream_tbDpT10_ENKUlT_T0_E_clISt17integral_constantIbLb0EES1J_EEDaS1E_S1F_EUlS1E_E_NS1_11comp_targetILNS1_3genE9ELNS1_11target_archE1100ELNS1_3gpuE3ELNS1_3repE0EEENS1_30default_config_static_selectorELNS0_4arch9wavefront6targetE0EEEvT1_,comdat
.Lfunc_end1987:
	.size	_ZN7rocprim17ROCPRIM_400000_NS6detail17trampoline_kernelINS0_14default_configENS1_25partition_config_selectorILNS1_17partition_subalgoE6EN6thrust23THRUST_200600_302600_NS5tupleIxxNS7_9null_typeES9_S9_S9_S9_S9_S9_S9_EENS0_10empty_typeEbEEZZNS1_14partition_implILS5_6ELb0ES3_mNS7_12zip_iteratorINS8_INS7_6detail15normal_iteratorINS7_10device_ptrIxEEEESJ_S9_S9_S9_S9_S9_S9_S9_S9_EEEEPSB_SM_NS0_5tupleIJNSE_INS8_ISJ_NS7_16discard_iteratorINS7_11use_defaultEEES9_S9_S9_S9_S9_S9_S9_S9_EEEESB_EEENSN_IJSM_SM_EEESB_PlJNSF_9not_fun_tINSF_14equal_to_valueISA_EEEEEEE10hipError_tPvRmT3_T4_T5_T6_T7_T9_mT8_P12ihipStream_tbDpT10_ENKUlT_T0_E_clISt17integral_constantIbLb0EES1J_EEDaS1E_S1F_EUlS1E_E_NS1_11comp_targetILNS1_3genE9ELNS1_11target_archE1100ELNS1_3gpuE3ELNS1_3repE0EEENS1_30default_config_static_selectorELNS0_4arch9wavefront6targetE0EEEvT1_, .Lfunc_end1987-_ZN7rocprim17ROCPRIM_400000_NS6detail17trampoline_kernelINS0_14default_configENS1_25partition_config_selectorILNS1_17partition_subalgoE6EN6thrust23THRUST_200600_302600_NS5tupleIxxNS7_9null_typeES9_S9_S9_S9_S9_S9_S9_EENS0_10empty_typeEbEEZZNS1_14partition_implILS5_6ELb0ES3_mNS7_12zip_iteratorINS8_INS7_6detail15normal_iteratorINS7_10device_ptrIxEEEESJ_S9_S9_S9_S9_S9_S9_S9_S9_EEEEPSB_SM_NS0_5tupleIJNSE_INS8_ISJ_NS7_16discard_iteratorINS7_11use_defaultEEES9_S9_S9_S9_S9_S9_S9_S9_EEEESB_EEENSN_IJSM_SM_EEESB_PlJNSF_9not_fun_tINSF_14equal_to_valueISA_EEEEEEE10hipError_tPvRmT3_T4_T5_T6_T7_T9_mT8_P12ihipStream_tbDpT10_ENKUlT_T0_E_clISt17integral_constantIbLb0EES1J_EEDaS1E_S1F_EUlS1E_E_NS1_11comp_targetILNS1_3genE9ELNS1_11target_archE1100ELNS1_3gpuE3ELNS1_3repE0EEENS1_30default_config_static_selectorELNS0_4arch9wavefront6targetE0EEEvT1_
                                        ; -- End function
	.set _ZN7rocprim17ROCPRIM_400000_NS6detail17trampoline_kernelINS0_14default_configENS1_25partition_config_selectorILNS1_17partition_subalgoE6EN6thrust23THRUST_200600_302600_NS5tupleIxxNS7_9null_typeES9_S9_S9_S9_S9_S9_S9_EENS0_10empty_typeEbEEZZNS1_14partition_implILS5_6ELb0ES3_mNS7_12zip_iteratorINS8_INS7_6detail15normal_iteratorINS7_10device_ptrIxEEEESJ_S9_S9_S9_S9_S9_S9_S9_S9_EEEEPSB_SM_NS0_5tupleIJNSE_INS8_ISJ_NS7_16discard_iteratorINS7_11use_defaultEEES9_S9_S9_S9_S9_S9_S9_S9_EEEESB_EEENSN_IJSM_SM_EEESB_PlJNSF_9not_fun_tINSF_14equal_to_valueISA_EEEEEEE10hipError_tPvRmT3_T4_T5_T6_T7_T9_mT8_P12ihipStream_tbDpT10_ENKUlT_T0_E_clISt17integral_constantIbLb0EES1J_EEDaS1E_S1F_EUlS1E_E_NS1_11comp_targetILNS1_3genE9ELNS1_11target_archE1100ELNS1_3gpuE3ELNS1_3repE0EEENS1_30default_config_static_selectorELNS0_4arch9wavefront6targetE0EEEvT1_.num_vgpr, 0
	.set _ZN7rocprim17ROCPRIM_400000_NS6detail17trampoline_kernelINS0_14default_configENS1_25partition_config_selectorILNS1_17partition_subalgoE6EN6thrust23THRUST_200600_302600_NS5tupleIxxNS7_9null_typeES9_S9_S9_S9_S9_S9_S9_EENS0_10empty_typeEbEEZZNS1_14partition_implILS5_6ELb0ES3_mNS7_12zip_iteratorINS8_INS7_6detail15normal_iteratorINS7_10device_ptrIxEEEESJ_S9_S9_S9_S9_S9_S9_S9_S9_EEEEPSB_SM_NS0_5tupleIJNSE_INS8_ISJ_NS7_16discard_iteratorINS7_11use_defaultEEES9_S9_S9_S9_S9_S9_S9_S9_EEEESB_EEENSN_IJSM_SM_EEESB_PlJNSF_9not_fun_tINSF_14equal_to_valueISA_EEEEEEE10hipError_tPvRmT3_T4_T5_T6_T7_T9_mT8_P12ihipStream_tbDpT10_ENKUlT_T0_E_clISt17integral_constantIbLb0EES1J_EEDaS1E_S1F_EUlS1E_E_NS1_11comp_targetILNS1_3genE9ELNS1_11target_archE1100ELNS1_3gpuE3ELNS1_3repE0EEENS1_30default_config_static_selectorELNS0_4arch9wavefront6targetE0EEEvT1_.num_agpr, 0
	.set _ZN7rocprim17ROCPRIM_400000_NS6detail17trampoline_kernelINS0_14default_configENS1_25partition_config_selectorILNS1_17partition_subalgoE6EN6thrust23THRUST_200600_302600_NS5tupleIxxNS7_9null_typeES9_S9_S9_S9_S9_S9_S9_EENS0_10empty_typeEbEEZZNS1_14partition_implILS5_6ELb0ES3_mNS7_12zip_iteratorINS8_INS7_6detail15normal_iteratorINS7_10device_ptrIxEEEESJ_S9_S9_S9_S9_S9_S9_S9_S9_EEEEPSB_SM_NS0_5tupleIJNSE_INS8_ISJ_NS7_16discard_iteratorINS7_11use_defaultEEES9_S9_S9_S9_S9_S9_S9_S9_EEEESB_EEENSN_IJSM_SM_EEESB_PlJNSF_9not_fun_tINSF_14equal_to_valueISA_EEEEEEE10hipError_tPvRmT3_T4_T5_T6_T7_T9_mT8_P12ihipStream_tbDpT10_ENKUlT_T0_E_clISt17integral_constantIbLb0EES1J_EEDaS1E_S1F_EUlS1E_E_NS1_11comp_targetILNS1_3genE9ELNS1_11target_archE1100ELNS1_3gpuE3ELNS1_3repE0EEENS1_30default_config_static_selectorELNS0_4arch9wavefront6targetE0EEEvT1_.numbered_sgpr, 0
	.set _ZN7rocprim17ROCPRIM_400000_NS6detail17trampoline_kernelINS0_14default_configENS1_25partition_config_selectorILNS1_17partition_subalgoE6EN6thrust23THRUST_200600_302600_NS5tupleIxxNS7_9null_typeES9_S9_S9_S9_S9_S9_S9_EENS0_10empty_typeEbEEZZNS1_14partition_implILS5_6ELb0ES3_mNS7_12zip_iteratorINS8_INS7_6detail15normal_iteratorINS7_10device_ptrIxEEEESJ_S9_S9_S9_S9_S9_S9_S9_S9_EEEEPSB_SM_NS0_5tupleIJNSE_INS8_ISJ_NS7_16discard_iteratorINS7_11use_defaultEEES9_S9_S9_S9_S9_S9_S9_S9_EEEESB_EEENSN_IJSM_SM_EEESB_PlJNSF_9not_fun_tINSF_14equal_to_valueISA_EEEEEEE10hipError_tPvRmT3_T4_T5_T6_T7_T9_mT8_P12ihipStream_tbDpT10_ENKUlT_T0_E_clISt17integral_constantIbLb0EES1J_EEDaS1E_S1F_EUlS1E_E_NS1_11comp_targetILNS1_3genE9ELNS1_11target_archE1100ELNS1_3gpuE3ELNS1_3repE0EEENS1_30default_config_static_selectorELNS0_4arch9wavefront6targetE0EEEvT1_.num_named_barrier, 0
	.set _ZN7rocprim17ROCPRIM_400000_NS6detail17trampoline_kernelINS0_14default_configENS1_25partition_config_selectorILNS1_17partition_subalgoE6EN6thrust23THRUST_200600_302600_NS5tupleIxxNS7_9null_typeES9_S9_S9_S9_S9_S9_S9_EENS0_10empty_typeEbEEZZNS1_14partition_implILS5_6ELb0ES3_mNS7_12zip_iteratorINS8_INS7_6detail15normal_iteratorINS7_10device_ptrIxEEEESJ_S9_S9_S9_S9_S9_S9_S9_S9_EEEEPSB_SM_NS0_5tupleIJNSE_INS8_ISJ_NS7_16discard_iteratorINS7_11use_defaultEEES9_S9_S9_S9_S9_S9_S9_S9_EEEESB_EEENSN_IJSM_SM_EEESB_PlJNSF_9not_fun_tINSF_14equal_to_valueISA_EEEEEEE10hipError_tPvRmT3_T4_T5_T6_T7_T9_mT8_P12ihipStream_tbDpT10_ENKUlT_T0_E_clISt17integral_constantIbLb0EES1J_EEDaS1E_S1F_EUlS1E_E_NS1_11comp_targetILNS1_3genE9ELNS1_11target_archE1100ELNS1_3gpuE3ELNS1_3repE0EEENS1_30default_config_static_selectorELNS0_4arch9wavefront6targetE0EEEvT1_.private_seg_size, 0
	.set _ZN7rocprim17ROCPRIM_400000_NS6detail17trampoline_kernelINS0_14default_configENS1_25partition_config_selectorILNS1_17partition_subalgoE6EN6thrust23THRUST_200600_302600_NS5tupleIxxNS7_9null_typeES9_S9_S9_S9_S9_S9_S9_EENS0_10empty_typeEbEEZZNS1_14partition_implILS5_6ELb0ES3_mNS7_12zip_iteratorINS8_INS7_6detail15normal_iteratorINS7_10device_ptrIxEEEESJ_S9_S9_S9_S9_S9_S9_S9_S9_EEEEPSB_SM_NS0_5tupleIJNSE_INS8_ISJ_NS7_16discard_iteratorINS7_11use_defaultEEES9_S9_S9_S9_S9_S9_S9_S9_EEEESB_EEENSN_IJSM_SM_EEESB_PlJNSF_9not_fun_tINSF_14equal_to_valueISA_EEEEEEE10hipError_tPvRmT3_T4_T5_T6_T7_T9_mT8_P12ihipStream_tbDpT10_ENKUlT_T0_E_clISt17integral_constantIbLb0EES1J_EEDaS1E_S1F_EUlS1E_E_NS1_11comp_targetILNS1_3genE9ELNS1_11target_archE1100ELNS1_3gpuE3ELNS1_3repE0EEENS1_30default_config_static_selectorELNS0_4arch9wavefront6targetE0EEEvT1_.uses_vcc, 0
	.set _ZN7rocprim17ROCPRIM_400000_NS6detail17trampoline_kernelINS0_14default_configENS1_25partition_config_selectorILNS1_17partition_subalgoE6EN6thrust23THRUST_200600_302600_NS5tupleIxxNS7_9null_typeES9_S9_S9_S9_S9_S9_S9_EENS0_10empty_typeEbEEZZNS1_14partition_implILS5_6ELb0ES3_mNS7_12zip_iteratorINS8_INS7_6detail15normal_iteratorINS7_10device_ptrIxEEEESJ_S9_S9_S9_S9_S9_S9_S9_S9_EEEEPSB_SM_NS0_5tupleIJNSE_INS8_ISJ_NS7_16discard_iteratorINS7_11use_defaultEEES9_S9_S9_S9_S9_S9_S9_S9_EEEESB_EEENSN_IJSM_SM_EEESB_PlJNSF_9not_fun_tINSF_14equal_to_valueISA_EEEEEEE10hipError_tPvRmT3_T4_T5_T6_T7_T9_mT8_P12ihipStream_tbDpT10_ENKUlT_T0_E_clISt17integral_constantIbLb0EES1J_EEDaS1E_S1F_EUlS1E_E_NS1_11comp_targetILNS1_3genE9ELNS1_11target_archE1100ELNS1_3gpuE3ELNS1_3repE0EEENS1_30default_config_static_selectorELNS0_4arch9wavefront6targetE0EEEvT1_.uses_flat_scratch, 0
	.set _ZN7rocprim17ROCPRIM_400000_NS6detail17trampoline_kernelINS0_14default_configENS1_25partition_config_selectorILNS1_17partition_subalgoE6EN6thrust23THRUST_200600_302600_NS5tupleIxxNS7_9null_typeES9_S9_S9_S9_S9_S9_S9_EENS0_10empty_typeEbEEZZNS1_14partition_implILS5_6ELb0ES3_mNS7_12zip_iteratorINS8_INS7_6detail15normal_iteratorINS7_10device_ptrIxEEEESJ_S9_S9_S9_S9_S9_S9_S9_S9_EEEEPSB_SM_NS0_5tupleIJNSE_INS8_ISJ_NS7_16discard_iteratorINS7_11use_defaultEEES9_S9_S9_S9_S9_S9_S9_S9_EEEESB_EEENSN_IJSM_SM_EEESB_PlJNSF_9not_fun_tINSF_14equal_to_valueISA_EEEEEEE10hipError_tPvRmT3_T4_T5_T6_T7_T9_mT8_P12ihipStream_tbDpT10_ENKUlT_T0_E_clISt17integral_constantIbLb0EES1J_EEDaS1E_S1F_EUlS1E_E_NS1_11comp_targetILNS1_3genE9ELNS1_11target_archE1100ELNS1_3gpuE3ELNS1_3repE0EEENS1_30default_config_static_selectorELNS0_4arch9wavefront6targetE0EEEvT1_.has_dyn_sized_stack, 0
	.set _ZN7rocprim17ROCPRIM_400000_NS6detail17trampoline_kernelINS0_14default_configENS1_25partition_config_selectorILNS1_17partition_subalgoE6EN6thrust23THRUST_200600_302600_NS5tupleIxxNS7_9null_typeES9_S9_S9_S9_S9_S9_S9_EENS0_10empty_typeEbEEZZNS1_14partition_implILS5_6ELb0ES3_mNS7_12zip_iteratorINS8_INS7_6detail15normal_iteratorINS7_10device_ptrIxEEEESJ_S9_S9_S9_S9_S9_S9_S9_S9_EEEEPSB_SM_NS0_5tupleIJNSE_INS8_ISJ_NS7_16discard_iteratorINS7_11use_defaultEEES9_S9_S9_S9_S9_S9_S9_S9_EEEESB_EEENSN_IJSM_SM_EEESB_PlJNSF_9not_fun_tINSF_14equal_to_valueISA_EEEEEEE10hipError_tPvRmT3_T4_T5_T6_T7_T9_mT8_P12ihipStream_tbDpT10_ENKUlT_T0_E_clISt17integral_constantIbLb0EES1J_EEDaS1E_S1F_EUlS1E_E_NS1_11comp_targetILNS1_3genE9ELNS1_11target_archE1100ELNS1_3gpuE3ELNS1_3repE0EEENS1_30default_config_static_selectorELNS0_4arch9wavefront6targetE0EEEvT1_.has_recursion, 0
	.set _ZN7rocprim17ROCPRIM_400000_NS6detail17trampoline_kernelINS0_14default_configENS1_25partition_config_selectorILNS1_17partition_subalgoE6EN6thrust23THRUST_200600_302600_NS5tupleIxxNS7_9null_typeES9_S9_S9_S9_S9_S9_S9_EENS0_10empty_typeEbEEZZNS1_14partition_implILS5_6ELb0ES3_mNS7_12zip_iteratorINS8_INS7_6detail15normal_iteratorINS7_10device_ptrIxEEEESJ_S9_S9_S9_S9_S9_S9_S9_S9_EEEEPSB_SM_NS0_5tupleIJNSE_INS8_ISJ_NS7_16discard_iteratorINS7_11use_defaultEEES9_S9_S9_S9_S9_S9_S9_S9_EEEESB_EEENSN_IJSM_SM_EEESB_PlJNSF_9not_fun_tINSF_14equal_to_valueISA_EEEEEEE10hipError_tPvRmT3_T4_T5_T6_T7_T9_mT8_P12ihipStream_tbDpT10_ENKUlT_T0_E_clISt17integral_constantIbLb0EES1J_EEDaS1E_S1F_EUlS1E_E_NS1_11comp_targetILNS1_3genE9ELNS1_11target_archE1100ELNS1_3gpuE3ELNS1_3repE0EEENS1_30default_config_static_selectorELNS0_4arch9wavefront6targetE0EEEvT1_.has_indirect_call, 0
	.section	.AMDGPU.csdata,"",@progbits
; Kernel info:
; codeLenInByte = 0
; TotalNumSgprs: 0
; NumVgprs: 0
; ScratchSize: 0
; MemoryBound: 0
; FloatMode: 240
; IeeeMode: 1
; LDSByteSize: 0 bytes/workgroup (compile time only)
; SGPRBlocks: 0
; VGPRBlocks: 0
; NumSGPRsForWavesPerEU: 1
; NumVGPRsForWavesPerEU: 1
; Occupancy: 16
; WaveLimiterHint : 0
; COMPUTE_PGM_RSRC2:SCRATCH_EN: 0
; COMPUTE_PGM_RSRC2:USER_SGPR: 2
; COMPUTE_PGM_RSRC2:TRAP_HANDLER: 0
; COMPUTE_PGM_RSRC2:TGID_X_EN: 1
; COMPUTE_PGM_RSRC2:TGID_Y_EN: 0
; COMPUTE_PGM_RSRC2:TGID_Z_EN: 0
; COMPUTE_PGM_RSRC2:TIDIG_COMP_CNT: 0
	.section	.text._ZN7rocprim17ROCPRIM_400000_NS6detail17trampoline_kernelINS0_14default_configENS1_25partition_config_selectorILNS1_17partition_subalgoE6EN6thrust23THRUST_200600_302600_NS5tupleIxxNS7_9null_typeES9_S9_S9_S9_S9_S9_S9_EENS0_10empty_typeEbEEZZNS1_14partition_implILS5_6ELb0ES3_mNS7_12zip_iteratorINS8_INS7_6detail15normal_iteratorINS7_10device_ptrIxEEEESJ_S9_S9_S9_S9_S9_S9_S9_S9_EEEEPSB_SM_NS0_5tupleIJNSE_INS8_ISJ_NS7_16discard_iteratorINS7_11use_defaultEEES9_S9_S9_S9_S9_S9_S9_S9_EEEESB_EEENSN_IJSM_SM_EEESB_PlJNSF_9not_fun_tINSF_14equal_to_valueISA_EEEEEEE10hipError_tPvRmT3_T4_T5_T6_T7_T9_mT8_P12ihipStream_tbDpT10_ENKUlT_T0_E_clISt17integral_constantIbLb0EES1J_EEDaS1E_S1F_EUlS1E_E_NS1_11comp_targetILNS1_3genE8ELNS1_11target_archE1030ELNS1_3gpuE2ELNS1_3repE0EEENS1_30default_config_static_selectorELNS0_4arch9wavefront6targetE0EEEvT1_,"axG",@progbits,_ZN7rocprim17ROCPRIM_400000_NS6detail17trampoline_kernelINS0_14default_configENS1_25partition_config_selectorILNS1_17partition_subalgoE6EN6thrust23THRUST_200600_302600_NS5tupleIxxNS7_9null_typeES9_S9_S9_S9_S9_S9_S9_EENS0_10empty_typeEbEEZZNS1_14partition_implILS5_6ELb0ES3_mNS7_12zip_iteratorINS8_INS7_6detail15normal_iteratorINS7_10device_ptrIxEEEESJ_S9_S9_S9_S9_S9_S9_S9_S9_EEEEPSB_SM_NS0_5tupleIJNSE_INS8_ISJ_NS7_16discard_iteratorINS7_11use_defaultEEES9_S9_S9_S9_S9_S9_S9_S9_EEEESB_EEENSN_IJSM_SM_EEESB_PlJNSF_9not_fun_tINSF_14equal_to_valueISA_EEEEEEE10hipError_tPvRmT3_T4_T5_T6_T7_T9_mT8_P12ihipStream_tbDpT10_ENKUlT_T0_E_clISt17integral_constantIbLb0EES1J_EEDaS1E_S1F_EUlS1E_E_NS1_11comp_targetILNS1_3genE8ELNS1_11target_archE1030ELNS1_3gpuE2ELNS1_3repE0EEENS1_30default_config_static_selectorELNS0_4arch9wavefront6targetE0EEEvT1_,comdat
	.protected	_ZN7rocprim17ROCPRIM_400000_NS6detail17trampoline_kernelINS0_14default_configENS1_25partition_config_selectorILNS1_17partition_subalgoE6EN6thrust23THRUST_200600_302600_NS5tupleIxxNS7_9null_typeES9_S9_S9_S9_S9_S9_S9_EENS0_10empty_typeEbEEZZNS1_14partition_implILS5_6ELb0ES3_mNS7_12zip_iteratorINS8_INS7_6detail15normal_iteratorINS7_10device_ptrIxEEEESJ_S9_S9_S9_S9_S9_S9_S9_S9_EEEEPSB_SM_NS0_5tupleIJNSE_INS8_ISJ_NS7_16discard_iteratorINS7_11use_defaultEEES9_S9_S9_S9_S9_S9_S9_S9_EEEESB_EEENSN_IJSM_SM_EEESB_PlJNSF_9not_fun_tINSF_14equal_to_valueISA_EEEEEEE10hipError_tPvRmT3_T4_T5_T6_T7_T9_mT8_P12ihipStream_tbDpT10_ENKUlT_T0_E_clISt17integral_constantIbLb0EES1J_EEDaS1E_S1F_EUlS1E_E_NS1_11comp_targetILNS1_3genE8ELNS1_11target_archE1030ELNS1_3gpuE2ELNS1_3repE0EEENS1_30default_config_static_selectorELNS0_4arch9wavefront6targetE0EEEvT1_ ; -- Begin function _ZN7rocprim17ROCPRIM_400000_NS6detail17trampoline_kernelINS0_14default_configENS1_25partition_config_selectorILNS1_17partition_subalgoE6EN6thrust23THRUST_200600_302600_NS5tupleIxxNS7_9null_typeES9_S9_S9_S9_S9_S9_S9_EENS0_10empty_typeEbEEZZNS1_14partition_implILS5_6ELb0ES3_mNS7_12zip_iteratorINS8_INS7_6detail15normal_iteratorINS7_10device_ptrIxEEEESJ_S9_S9_S9_S9_S9_S9_S9_S9_EEEEPSB_SM_NS0_5tupleIJNSE_INS8_ISJ_NS7_16discard_iteratorINS7_11use_defaultEEES9_S9_S9_S9_S9_S9_S9_S9_EEEESB_EEENSN_IJSM_SM_EEESB_PlJNSF_9not_fun_tINSF_14equal_to_valueISA_EEEEEEE10hipError_tPvRmT3_T4_T5_T6_T7_T9_mT8_P12ihipStream_tbDpT10_ENKUlT_T0_E_clISt17integral_constantIbLb0EES1J_EEDaS1E_S1F_EUlS1E_E_NS1_11comp_targetILNS1_3genE8ELNS1_11target_archE1030ELNS1_3gpuE2ELNS1_3repE0EEENS1_30default_config_static_selectorELNS0_4arch9wavefront6targetE0EEEvT1_
	.globl	_ZN7rocprim17ROCPRIM_400000_NS6detail17trampoline_kernelINS0_14default_configENS1_25partition_config_selectorILNS1_17partition_subalgoE6EN6thrust23THRUST_200600_302600_NS5tupleIxxNS7_9null_typeES9_S9_S9_S9_S9_S9_S9_EENS0_10empty_typeEbEEZZNS1_14partition_implILS5_6ELb0ES3_mNS7_12zip_iteratorINS8_INS7_6detail15normal_iteratorINS7_10device_ptrIxEEEESJ_S9_S9_S9_S9_S9_S9_S9_S9_EEEEPSB_SM_NS0_5tupleIJNSE_INS8_ISJ_NS7_16discard_iteratorINS7_11use_defaultEEES9_S9_S9_S9_S9_S9_S9_S9_EEEESB_EEENSN_IJSM_SM_EEESB_PlJNSF_9not_fun_tINSF_14equal_to_valueISA_EEEEEEE10hipError_tPvRmT3_T4_T5_T6_T7_T9_mT8_P12ihipStream_tbDpT10_ENKUlT_T0_E_clISt17integral_constantIbLb0EES1J_EEDaS1E_S1F_EUlS1E_E_NS1_11comp_targetILNS1_3genE8ELNS1_11target_archE1030ELNS1_3gpuE2ELNS1_3repE0EEENS1_30default_config_static_selectorELNS0_4arch9wavefront6targetE0EEEvT1_
	.p2align	8
	.type	_ZN7rocprim17ROCPRIM_400000_NS6detail17trampoline_kernelINS0_14default_configENS1_25partition_config_selectorILNS1_17partition_subalgoE6EN6thrust23THRUST_200600_302600_NS5tupleIxxNS7_9null_typeES9_S9_S9_S9_S9_S9_S9_EENS0_10empty_typeEbEEZZNS1_14partition_implILS5_6ELb0ES3_mNS7_12zip_iteratorINS8_INS7_6detail15normal_iteratorINS7_10device_ptrIxEEEESJ_S9_S9_S9_S9_S9_S9_S9_S9_EEEEPSB_SM_NS0_5tupleIJNSE_INS8_ISJ_NS7_16discard_iteratorINS7_11use_defaultEEES9_S9_S9_S9_S9_S9_S9_S9_EEEESB_EEENSN_IJSM_SM_EEESB_PlJNSF_9not_fun_tINSF_14equal_to_valueISA_EEEEEEE10hipError_tPvRmT3_T4_T5_T6_T7_T9_mT8_P12ihipStream_tbDpT10_ENKUlT_T0_E_clISt17integral_constantIbLb0EES1J_EEDaS1E_S1F_EUlS1E_E_NS1_11comp_targetILNS1_3genE8ELNS1_11target_archE1030ELNS1_3gpuE2ELNS1_3repE0EEENS1_30default_config_static_selectorELNS0_4arch9wavefront6targetE0EEEvT1_,@function
_ZN7rocprim17ROCPRIM_400000_NS6detail17trampoline_kernelINS0_14default_configENS1_25partition_config_selectorILNS1_17partition_subalgoE6EN6thrust23THRUST_200600_302600_NS5tupleIxxNS7_9null_typeES9_S9_S9_S9_S9_S9_S9_EENS0_10empty_typeEbEEZZNS1_14partition_implILS5_6ELb0ES3_mNS7_12zip_iteratorINS8_INS7_6detail15normal_iteratorINS7_10device_ptrIxEEEESJ_S9_S9_S9_S9_S9_S9_S9_S9_EEEEPSB_SM_NS0_5tupleIJNSE_INS8_ISJ_NS7_16discard_iteratorINS7_11use_defaultEEES9_S9_S9_S9_S9_S9_S9_S9_EEEESB_EEENSN_IJSM_SM_EEESB_PlJNSF_9not_fun_tINSF_14equal_to_valueISA_EEEEEEE10hipError_tPvRmT3_T4_T5_T6_T7_T9_mT8_P12ihipStream_tbDpT10_ENKUlT_T0_E_clISt17integral_constantIbLb0EES1J_EEDaS1E_S1F_EUlS1E_E_NS1_11comp_targetILNS1_3genE8ELNS1_11target_archE1030ELNS1_3gpuE2ELNS1_3repE0EEENS1_30default_config_static_selectorELNS0_4arch9wavefront6targetE0EEEvT1_: ; @_ZN7rocprim17ROCPRIM_400000_NS6detail17trampoline_kernelINS0_14default_configENS1_25partition_config_selectorILNS1_17partition_subalgoE6EN6thrust23THRUST_200600_302600_NS5tupleIxxNS7_9null_typeES9_S9_S9_S9_S9_S9_S9_EENS0_10empty_typeEbEEZZNS1_14partition_implILS5_6ELb0ES3_mNS7_12zip_iteratorINS8_INS7_6detail15normal_iteratorINS7_10device_ptrIxEEEESJ_S9_S9_S9_S9_S9_S9_S9_S9_EEEEPSB_SM_NS0_5tupleIJNSE_INS8_ISJ_NS7_16discard_iteratorINS7_11use_defaultEEES9_S9_S9_S9_S9_S9_S9_S9_EEEESB_EEENSN_IJSM_SM_EEESB_PlJNSF_9not_fun_tINSF_14equal_to_valueISA_EEEEEEE10hipError_tPvRmT3_T4_T5_T6_T7_T9_mT8_P12ihipStream_tbDpT10_ENKUlT_T0_E_clISt17integral_constantIbLb0EES1J_EEDaS1E_S1F_EUlS1E_E_NS1_11comp_targetILNS1_3genE8ELNS1_11target_archE1030ELNS1_3gpuE2ELNS1_3repE0EEENS1_30default_config_static_selectorELNS0_4arch9wavefront6targetE0EEEvT1_
; %bb.0:
	.section	.rodata,"a",@progbits
	.p2align	6, 0x0
	.amdhsa_kernel _ZN7rocprim17ROCPRIM_400000_NS6detail17trampoline_kernelINS0_14default_configENS1_25partition_config_selectorILNS1_17partition_subalgoE6EN6thrust23THRUST_200600_302600_NS5tupleIxxNS7_9null_typeES9_S9_S9_S9_S9_S9_S9_EENS0_10empty_typeEbEEZZNS1_14partition_implILS5_6ELb0ES3_mNS7_12zip_iteratorINS8_INS7_6detail15normal_iteratorINS7_10device_ptrIxEEEESJ_S9_S9_S9_S9_S9_S9_S9_S9_EEEEPSB_SM_NS0_5tupleIJNSE_INS8_ISJ_NS7_16discard_iteratorINS7_11use_defaultEEES9_S9_S9_S9_S9_S9_S9_S9_EEEESB_EEENSN_IJSM_SM_EEESB_PlJNSF_9not_fun_tINSF_14equal_to_valueISA_EEEEEEE10hipError_tPvRmT3_T4_T5_T6_T7_T9_mT8_P12ihipStream_tbDpT10_ENKUlT_T0_E_clISt17integral_constantIbLb0EES1J_EEDaS1E_S1F_EUlS1E_E_NS1_11comp_targetILNS1_3genE8ELNS1_11target_archE1030ELNS1_3gpuE2ELNS1_3repE0EEENS1_30default_config_static_selectorELNS0_4arch9wavefront6targetE0EEEvT1_
		.amdhsa_group_segment_fixed_size 0
		.amdhsa_private_segment_fixed_size 0
		.amdhsa_kernarg_size 152
		.amdhsa_user_sgpr_count 2
		.amdhsa_user_sgpr_dispatch_ptr 0
		.amdhsa_user_sgpr_queue_ptr 0
		.amdhsa_user_sgpr_kernarg_segment_ptr 1
		.amdhsa_user_sgpr_dispatch_id 0
		.amdhsa_user_sgpr_private_segment_size 0
		.amdhsa_wavefront_size32 1
		.amdhsa_uses_dynamic_stack 0
		.amdhsa_enable_private_segment 0
		.amdhsa_system_sgpr_workgroup_id_x 1
		.amdhsa_system_sgpr_workgroup_id_y 0
		.amdhsa_system_sgpr_workgroup_id_z 0
		.amdhsa_system_sgpr_workgroup_info 0
		.amdhsa_system_vgpr_workitem_id 0
		.amdhsa_next_free_vgpr 1
		.amdhsa_next_free_sgpr 1
		.amdhsa_reserve_vcc 0
		.amdhsa_float_round_mode_32 0
		.amdhsa_float_round_mode_16_64 0
		.amdhsa_float_denorm_mode_32 3
		.amdhsa_float_denorm_mode_16_64 3
		.amdhsa_fp16_overflow 0
		.amdhsa_workgroup_processor_mode 1
		.amdhsa_memory_ordered 1
		.amdhsa_forward_progress 1
		.amdhsa_inst_pref_size 0
		.amdhsa_round_robin_scheduling 0
		.amdhsa_exception_fp_ieee_invalid_op 0
		.amdhsa_exception_fp_denorm_src 0
		.amdhsa_exception_fp_ieee_div_zero 0
		.amdhsa_exception_fp_ieee_overflow 0
		.amdhsa_exception_fp_ieee_underflow 0
		.amdhsa_exception_fp_ieee_inexact 0
		.amdhsa_exception_int_div_zero 0
	.end_amdhsa_kernel
	.section	.text._ZN7rocprim17ROCPRIM_400000_NS6detail17trampoline_kernelINS0_14default_configENS1_25partition_config_selectorILNS1_17partition_subalgoE6EN6thrust23THRUST_200600_302600_NS5tupleIxxNS7_9null_typeES9_S9_S9_S9_S9_S9_S9_EENS0_10empty_typeEbEEZZNS1_14partition_implILS5_6ELb0ES3_mNS7_12zip_iteratorINS8_INS7_6detail15normal_iteratorINS7_10device_ptrIxEEEESJ_S9_S9_S9_S9_S9_S9_S9_S9_EEEEPSB_SM_NS0_5tupleIJNSE_INS8_ISJ_NS7_16discard_iteratorINS7_11use_defaultEEES9_S9_S9_S9_S9_S9_S9_S9_EEEESB_EEENSN_IJSM_SM_EEESB_PlJNSF_9not_fun_tINSF_14equal_to_valueISA_EEEEEEE10hipError_tPvRmT3_T4_T5_T6_T7_T9_mT8_P12ihipStream_tbDpT10_ENKUlT_T0_E_clISt17integral_constantIbLb0EES1J_EEDaS1E_S1F_EUlS1E_E_NS1_11comp_targetILNS1_3genE8ELNS1_11target_archE1030ELNS1_3gpuE2ELNS1_3repE0EEENS1_30default_config_static_selectorELNS0_4arch9wavefront6targetE0EEEvT1_,"axG",@progbits,_ZN7rocprim17ROCPRIM_400000_NS6detail17trampoline_kernelINS0_14default_configENS1_25partition_config_selectorILNS1_17partition_subalgoE6EN6thrust23THRUST_200600_302600_NS5tupleIxxNS7_9null_typeES9_S9_S9_S9_S9_S9_S9_EENS0_10empty_typeEbEEZZNS1_14partition_implILS5_6ELb0ES3_mNS7_12zip_iteratorINS8_INS7_6detail15normal_iteratorINS7_10device_ptrIxEEEESJ_S9_S9_S9_S9_S9_S9_S9_S9_EEEEPSB_SM_NS0_5tupleIJNSE_INS8_ISJ_NS7_16discard_iteratorINS7_11use_defaultEEES9_S9_S9_S9_S9_S9_S9_S9_EEEESB_EEENSN_IJSM_SM_EEESB_PlJNSF_9not_fun_tINSF_14equal_to_valueISA_EEEEEEE10hipError_tPvRmT3_T4_T5_T6_T7_T9_mT8_P12ihipStream_tbDpT10_ENKUlT_T0_E_clISt17integral_constantIbLb0EES1J_EEDaS1E_S1F_EUlS1E_E_NS1_11comp_targetILNS1_3genE8ELNS1_11target_archE1030ELNS1_3gpuE2ELNS1_3repE0EEENS1_30default_config_static_selectorELNS0_4arch9wavefront6targetE0EEEvT1_,comdat
.Lfunc_end1988:
	.size	_ZN7rocprim17ROCPRIM_400000_NS6detail17trampoline_kernelINS0_14default_configENS1_25partition_config_selectorILNS1_17partition_subalgoE6EN6thrust23THRUST_200600_302600_NS5tupleIxxNS7_9null_typeES9_S9_S9_S9_S9_S9_S9_EENS0_10empty_typeEbEEZZNS1_14partition_implILS5_6ELb0ES3_mNS7_12zip_iteratorINS8_INS7_6detail15normal_iteratorINS7_10device_ptrIxEEEESJ_S9_S9_S9_S9_S9_S9_S9_S9_EEEEPSB_SM_NS0_5tupleIJNSE_INS8_ISJ_NS7_16discard_iteratorINS7_11use_defaultEEES9_S9_S9_S9_S9_S9_S9_S9_EEEESB_EEENSN_IJSM_SM_EEESB_PlJNSF_9not_fun_tINSF_14equal_to_valueISA_EEEEEEE10hipError_tPvRmT3_T4_T5_T6_T7_T9_mT8_P12ihipStream_tbDpT10_ENKUlT_T0_E_clISt17integral_constantIbLb0EES1J_EEDaS1E_S1F_EUlS1E_E_NS1_11comp_targetILNS1_3genE8ELNS1_11target_archE1030ELNS1_3gpuE2ELNS1_3repE0EEENS1_30default_config_static_selectorELNS0_4arch9wavefront6targetE0EEEvT1_, .Lfunc_end1988-_ZN7rocprim17ROCPRIM_400000_NS6detail17trampoline_kernelINS0_14default_configENS1_25partition_config_selectorILNS1_17partition_subalgoE6EN6thrust23THRUST_200600_302600_NS5tupleIxxNS7_9null_typeES9_S9_S9_S9_S9_S9_S9_EENS0_10empty_typeEbEEZZNS1_14partition_implILS5_6ELb0ES3_mNS7_12zip_iteratorINS8_INS7_6detail15normal_iteratorINS7_10device_ptrIxEEEESJ_S9_S9_S9_S9_S9_S9_S9_S9_EEEEPSB_SM_NS0_5tupleIJNSE_INS8_ISJ_NS7_16discard_iteratorINS7_11use_defaultEEES9_S9_S9_S9_S9_S9_S9_S9_EEEESB_EEENSN_IJSM_SM_EEESB_PlJNSF_9not_fun_tINSF_14equal_to_valueISA_EEEEEEE10hipError_tPvRmT3_T4_T5_T6_T7_T9_mT8_P12ihipStream_tbDpT10_ENKUlT_T0_E_clISt17integral_constantIbLb0EES1J_EEDaS1E_S1F_EUlS1E_E_NS1_11comp_targetILNS1_3genE8ELNS1_11target_archE1030ELNS1_3gpuE2ELNS1_3repE0EEENS1_30default_config_static_selectorELNS0_4arch9wavefront6targetE0EEEvT1_
                                        ; -- End function
	.set _ZN7rocprim17ROCPRIM_400000_NS6detail17trampoline_kernelINS0_14default_configENS1_25partition_config_selectorILNS1_17partition_subalgoE6EN6thrust23THRUST_200600_302600_NS5tupleIxxNS7_9null_typeES9_S9_S9_S9_S9_S9_S9_EENS0_10empty_typeEbEEZZNS1_14partition_implILS5_6ELb0ES3_mNS7_12zip_iteratorINS8_INS7_6detail15normal_iteratorINS7_10device_ptrIxEEEESJ_S9_S9_S9_S9_S9_S9_S9_S9_EEEEPSB_SM_NS0_5tupleIJNSE_INS8_ISJ_NS7_16discard_iteratorINS7_11use_defaultEEES9_S9_S9_S9_S9_S9_S9_S9_EEEESB_EEENSN_IJSM_SM_EEESB_PlJNSF_9not_fun_tINSF_14equal_to_valueISA_EEEEEEE10hipError_tPvRmT3_T4_T5_T6_T7_T9_mT8_P12ihipStream_tbDpT10_ENKUlT_T0_E_clISt17integral_constantIbLb0EES1J_EEDaS1E_S1F_EUlS1E_E_NS1_11comp_targetILNS1_3genE8ELNS1_11target_archE1030ELNS1_3gpuE2ELNS1_3repE0EEENS1_30default_config_static_selectorELNS0_4arch9wavefront6targetE0EEEvT1_.num_vgpr, 0
	.set _ZN7rocprim17ROCPRIM_400000_NS6detail17trampoline_kernelINS0_14default_configENS1_25partition_config_selectorILNS1_17partition_subalgoE6EN6thrust23THRUST_200600_302600_NS5tupleIxxNS7_9null_typeES9_S9_S9_S9_S9_S9_S9_EENS0_10empty_typeEbEEZZNS1_14partition_implILS5_6ELb0ES3_mNS7_12zip_iteratorINS8_INS7_6detail15normal_iteratorINS7_10device_ptrIxEEEESJ_S9_S9_S9_S9_S9_S9_S9_S9_EEEEPSB_SM_NS0_5tupleIJNSE_INS8_ISJ_NS7_16discard_iteratorINS7_11use_defaultEEES9_S9_S9_S9_S9_S9_S9_S9_EEEESB_EEENSN_IJSM_SM_EEESB_PlJNSF_9not_fun_tINSF_14equal_to_valueISA_EEEEEEE10hipError_tPvRmT3_T4_T5_T6_T7_T9_mT8_P12ihipStream_tbDpT10_ENKUlT_T0_E_clISt17integral_constantIbLb0EES1J_EEDaS1E_S1F_EUlS1E_E_NS1_11comp_targetILNS1_3genE8ELNS1_11target_archE1030ELNS1_3gpuE2ELNS1_3repE0EEENS1_30default_config_static_selectorELNS0_4arch9wavefront6targetE0EEEvT1_.num_agpr, 0
	.set _ZN7rocprim17ROCPRIM_400000_NS6detail17trampoline_kernelINS0_14default_configENS1_25partition_config_selectorILNS1_17partition_subalgoE6EN6thrust23THRUST_200600_302600_NS5tupleIxxNS7_9null_typeES9_S9_S9_S9_S9_S9_S9_EENS0_10empty_typeEbEEZZNS1_14partition_implILS5_6ELb0ES3_mNS7_12zip_iteratorINS8_INS7_6detail15normal_iteratorINS7_10device_ptrIxEEEESJ_S9_S9_S9_S9_S9_S9_S9_S9_EEEEPSB_SM_NS0_5tupleIJNSE_INS8_ISJ_NS7_16discard_iteratorINS7_11use_defaultEEES9_S9_S9_S9_S9_S9_S9_S9_EEEESB_EEENSN_IJSM_SM_EEESB_PlJNSF_9not_fun_tINSF_14equal_to_valueISA_EEEEEEE10hipError_tPvRmT3_T4_T5_T6_T7_T9_mT8_P12ihipStream_tbDpT10_ENKUlT_T0_E_clISt17integral_constantIbLb0EES1J_EEDaS1E_S1F_EUlS1E_E_NS1_11comp_targetILNS1_3genE8ELNS1_11target_archE1030ELNS1_3gpuE2ELNS1_3repE0EEENS1_30default_config_static_selectorELNS0_4arch9wavefront6targetE0EEEvT1_.numbered_sgpr, 0
	.set _ZN7rocprim17ROCPRIM_400000_NS6detail17trampoline_kernelINS0_14default_configENS1_25partition_config_selectorILNS1_17partition_subalgoE6EN6thrust23THRUST_200600_302600_NS5tupleIxxNS7_9null_typeES9_S9_S9_S9_S9_S9_S9_EENS0_10empty_typeEbEEZZNS1_14partition_implILS5_6ELb0ES3_mNS7_12zip_iteratorINS8_INS7_6detail15normal_iteratorINS7_10device_ptrIxEEEESJ_S9_S9_S9_S9_S9_S9_S9_S9_EEEEPSB_SM_NS0_5tupleIJNSE_INS8_ISJ_NS7_16discard_iteratorINS7_11use_defaultEEES9_S9_S9_S9_S9_S9_S9_S9_EEEESB_EEENSN_IJSM_SM_EEESB_PlJNSF_9not_fun_tINSF_14equal_to_valueISA_EEEEEEE10hipError_tPvRmT3_T4_T5_T6_T7_T9_mT8_P12ihipStream_tbDpT10_ENKUlT_T0_E_clISt17integral_constantIbLb0EES1J_EEDaS1E_S1F_EUlS1E_E_NS1_11comp_targetILNS1_3genE8ELNS1_11target_archE1030ELNS1_3gpuE2ELNS1_3repE0EEENS1_30default_config_static_selectorELNS0_4arch9wavefront6targetE0EEEvT1_.num_named_barrier, 0
	.set _ZN7rocprim17ROCPRIM_400000_NS6detail17trampoline_kernelINS0_14default_configENS1_25partition_config_selectorILNS1_17partition_subalgoE6EN6thrust23THRUST_200600_302600_NS5tupleIxxNS7_9null_typeES9_S9_S9_S9_S9_S9_S9_EENS0_10empty_typeEbEEZZNS1_14partition_implILS5_6ELb0ES3_mNS7_12zip_iteratorINS8_INS7_6detail15normal_iteratorINS7_10device_ptrIxEEEESJ_S9_S9_S9_S9_S9_S9_S9_S9_EEEEPSB_SM_NS0_5tupleIJNSE_INS8_ISJ_NS7_16discard_iteratorINS7_11use_defaultEEES9_S9_S9_S9_S9_S9_S9_S9_EEEESB_EEENSN_IJSM_SM_EEESB_PlJNSF_9not_fun_tINSF_14equal_to_valueISA_EEEEEEE10hipError_tPvRmT3_T4_T5_T6_T7_T9_mT8_P12ihipStream_tbDpT10_ENKUlT_T0_E_clISt17integral_constantIbLb0EES1J_EEDaS1E_S1F_EUlS1E_E_NS1_11comp_targetILNS1_3genE8ELNS1_11target_archE1030ELNS1_3gpuE2ELNS1_3repE0EEENS1_30default_config_static_selectorELNS0_4arch9wavefront6targetE0EEEvT1_.private_seg_size, 0
	.set _ZN7rocprim17ROCPRIM_400000_NS6detail17trampoline_kernelINS0_14default_configENS1_25partition_config_selectorILNS1_17partition_subalgoE6EN6thrust23THRUST_200600_302600_NS5tupleIxxNS7_9null_typeES9_S9_S9_S9_S9_S9_S9_EENS0_10empty_typeEbEEZZNS1_14partition_implILS5_6ELb0ES3_mNS7_12zip_iteratorINS8_INS7_6detail15normal_iteratorINS7_10device_ptrIxEEEESJ_S9_S9_S9_S9_S9_S9_S9_S9_EEEEPSB_SM_NS0_5tupleIJNSE_INS8_ISJ_NS7_16discard_iteratorINS7_11use_defaultEEES9_S9_S9_S9_S9_S9_S9_S9_EEEESB_EEENSN_IJSM_SM_EEESB_PlJNSF_9not_fun_tINSF_14equal_to_valueISA_EEEEEEE10hipError_tPvRmT3_T4_T5_T6_T7_T9_mT8_P12ihipStream_tbDpT10_ENKUlT_T0_E_clISt17integral_constantIbLb0EES1J_EEDaS1E_S1F_EUlS1E_E_NS1_11comp_targetILNS1_3genE8ELNS1_11target_archE1030ELNS1_3gpuE2ELNS1_3repE0EEENS1_30default_config_static_selectorELNS0_4arch9wavefront6targetE0EEEvT1_.uses_vcc, 0
	.set _ZN7rocprim17ROCPRIM_400000_NS6detail17trampoline_kernelINS0_14default_configENS1_25partition_config_selectorILNS1_17partition_subalgoE6EN6thrust23THRUST_200600_302600_NS5tupleIxxNS7_9null_typeES9_S9_S9_S9_S9_S9_S9_EENS0_10empty_typeEbEEZZNS1_14partition_implILS5_6ELb0ES3_mNS7_12zip_iteratorINS8_INS7_6detail15normal_iteratorINS7_10device_ptrIxEEEESJ_S9_S9_S9_S9_S9_S9_S9_S9_EEEEPSB_SM_NS0_5tupleIJNSE_INS8_ISJ_NS7_16discard_iteratorINS7_11use_defaultEEES9_S9_S9_S9_S9_S9_S9_S9_EEEESB_EEENSN_IJSM_SM_EEESB_PlJNSF_9not_fun_tINSF_14equal_to_valueISA_EEEEEEE10hipError_tPvRmT3_T4_T5_T6_T7_T9_mT8_P12ihipStream_tbDpT10_ENKUlT_T0_E_clISt17integral_constantIbLb0EES1J_EEDaS1E_S1F_EUlS1E_E_NS1_11comp_targetILNS1_3genE8ELNS1_11target_archE1030ELNS1_3gpuE2ELNS1_3repE0EEENS1_30default_config_static_selectorELNS0_4arch9wavefront6targetE0EEEvT1_.uses_flat_scratch, 0
	.set _ZN7rocprim17ROCPRIM_400000_NS6detail17trampoline_kernelINS0_14default_configENS1_25partition_config_selectorILNS1_17partition_subalgoE6EN6thrust23THRUST_200600_302600_NS5tupleIxxNS7_9null_typeES9_S9_S9_S9_S9_S9_S9_EENS0_10empty_typeEbEEZZNS1_14partition_implILS5_6ELb0ES3_mNS7_12zip_iteratorINS8_INS7_6detail15normal_iteratorINS7_10device_ptrIxEEEESJ_S9_S9_S9_S9_S9_S9_S9_S9_EEEEPSB_SM_NS0_5tupleIJNSE_INS8_ISJ_NS7_16discard_iteratorINS7_11use_defaultEEES9_S9_S9_S9_S9_S9_S9_S9_EEEESB_EEENSN_IJSM_SM_EEESB_PlJNSF_9not_fun_tINSF_14equal_to_valueISA_EEEEEEE10hipError_tPvRmT3_T4_T5_T6_T7_T9_mT8_P12ihipStream_tbDpT10_ENKUlT_T0_E_clISt17integral_constantIbLb0EES1J_EEDaS1E_S1F_EUlS1E_E_NS1_11comp_targetILNS1_3genE8ELNS1_11target_archE1030ELNS1_3gpuE2ELNS1_3repE0EEENS1_30default_config_static_selectorELNS0_4arch9wavefront6targetE0EEEvT1_.has_dyn_sized_stack, 0
	.set _ZN7rocprim17ROCPRIM_400000_NS6detail17trampoline_kernelINS0_14default_configENS1_25partition_config_selectorILNS1_17partition_subalgoE6EN6thrust23THRUST_200600_302600_NS5tupleIxxNS7_9null_typeES9_S9_S9_S9_S9_S9_S9_EENS0_10empty_typeEbEEZZNS1_14partition_implILS5_6ELb0ES3_mNS7_12zip_iteratorINS8_INS7_6detail15normal_iteratorINS7_10device_ptrIxEEEESJ_S9_S9_S9_S9_S9_S9_S9_S9_EEEEPSB_SM_NS0_5tupleIJNSE_INS8_ISJ_NS7_16discard_iteratorINS7_11use_defaultEEES9_S9_S9_S9_S9_S9_S9_S9_EEEESB_EEENSN_IJSM_SM_EEESB_PlJNSF_9not_fun_tINSF_14equal_to_valueISA_EEEEEEE10hipError_tPvRmT3_T4_T5_T6_T7_T9_mT8_P12ihipStream_tbDpT10_ENKUlT_T0_E_clISt17integral_constantIbLb0EES1J_EEDaS1E_S1F_EUlS1E_E_NS1_11comp_targetILNS1_3genE8ELNS1_11target_archE1030ELNS1_3gpuE2ELNS1_3repE0EEENS1_30default_config_static_selectorELNS0_4arch9wavefront6targetE0EEEvT1_.has_recursion, 0
	.set _ZN7rocprim17ROCPRIM_400000_NS6detail17trampoline_kernelINS0_14default_configENS1_25partition_config_selectorILNS1_17partition_subalgoE6EN6thrust23THRUST_200600_302600_NS5tupleIxxNS7_9null_typeES9_S9_S9_S9_S9_S9_S9_EENS0_10empty_typeEbEEZZNS1_14partition_implILS5_6ELb0ES3_mNS7_12zip_iteratorINS8_INS7_6detail15normal_iteratorINS7_10device_ptrIxEEEESJ_S9_S9_S9_S9_S9_S9_S9_S9_EEEEPSB_SM_NS0_5tupleIJNSE_INS8_ISJ_NS7_16discard_iteratorINS7_11use_defaultEEES9_S9_S9_S9_S9_S9_S9_S9_EEEESB_EEENSN_IJSM_SM_EEESB_PlJNSF_9not_fun_tINSF_14equal_to_valueISA_EEEEEEE10hipError_tPvRmT3_T4_T5_T6_T7_T9_mT8_P12ihipStream_tbDpT10_ENKUlT_T0_E_clISt17integral_constantIbLb0EES1J_EEDaS1E_S1F_EUlS1E_E_NS1_11comp_targetILNS1_3genE8ELNS1_11target_archE1030ELNS1_3gpuE2ELNS1_3repE0EEENS1_30default_config_static_selectorELNS0_4arch9wavefront6targetE0EEEvT1_.has_indirect_call, 0
	.section	.AMDGPU.csdata,"",@progbits
; Kernel info:
; codeLenInByte = 0
; TotalNumSgprs: 0
; NumVgprs: 0
; ScratchSize: 0
; MemoryBound: 0
; FloatMode: 240
; IeeeMode: 1
; LDSByteSize: 0 bytes/workgroup (compile time only)
; SGPRBlocks: 0
; VGPRBlocks: 0
; NumSGPRsForWavesPerEU: 1
; NumVGPRsForWavesPerEU: 1
; Occupancy: 16
; WaveLimiterHint : 0
; COMPUTE_PGM_RSRC2:SCRATCH_EN: 0
; COMPUTE_PGM_RSRC2:USER_SGPR: 2
; COMPUTE_PGM_RSRC2:TRAP_HANDLER: 0
; COMPUTE_PGM_RSRC2:TGID_X_EN: 1
; COMPUTE_PGM_RSRC2:TGID_Y_EN: 0
; COMPUTE_PGM_RSRC2:TGID_Z_EN: 0
; COMPUTE_PGM_RSRC2:TIDIG_COMP_CNT: 0
	.section	.text._ZN7rocprim17ROCPRIM_400000_NS6detail17trampoline_kernelINS0_14default_configENS1_25partition_config_selectorILNS1_17partition_subalgoE6EN6thrust23THRUST_200600_302600_NS5tupleIxxNS7_9null_typeES9_S9_S9_S9_S9_S9_S9_EENS0_10empty_typeEbEEZZNS1_14partition_implILS5_6ELb0ES3_mNS7_12zip_iteratorINS8_INS7_6detail15normal_iteratorINS7_10device_ptrIxEEEESJ_S9_S9_S9_S9_S9_S9_S9_S9_EEEEPSB_SM_NS0_5tupleIJNSE_INS8_ISJ_NS7_16discard_iteratorINS7_11use_defaultEEES9_S9_S9_S9_S9_S9_S9_S9_EEEESB_EEENSN_IJSM_SM_EEESB_PlJNSF_9not_fun_tINSF_14equal_to_valueISA_EEEEEEE10hipError_tPvRmT3_T4_T5_T6_T7_T9_mT8_P12ihipStream_tbDpT10_ENKUlT_T0_E_clISt17integral_constantIbLb1EES1J_EEDaS1E_S1F_EUlS1E_E_NS1_11comp_targetILNS1_3genE0ELNS1_11target_archE4294967295ELNS1_3gpuE0ELNS1_3repE0EEENS1_30default_config_static_selectorELNS0_4arch9wavefront6targetE0EEEvT1_,"axG",@progbits,_ZN7rocprim17ROCPRIM_400000_NS6detail17trampoline_kernelINS0_14default_configENS1_25partition_config_selectorILNS1_17partition_subalgoE6EN6thrust23THRUST_200600_302600_NS5tupleIxxNS7_9null_typeES9_S9_S9_S9_S9_S9_S9_EENS0_10empty_typeEbEEZZNS1_14partition_implILS5_6ELb0ES3_mNS7_12zip_iteratorINS8_INS7_6detail15normal_iteratorINS7_10device_ptrIxEEEESJ_S9_S9_S9_S9_S9_S9_S9_S9_EEEEPSB_SM_NS0_5tupleIJNSE_INS8_ISJ_NS7_16discard_iteratorINS7_11use_defaultEEES9_S9_S9_S9_S9_S9_S9_S9_EEEESB_EEENSN_IJSM_SM_EEESB_PlJNSF_9not_fun_tINSF_14equal_to_valueISA_EEEEEEE10hipError_tPvRmT3_T4_T5_T6_T7_T9_mT8_P12ihipStream_tbDpT10_ENKUlT_T0_E_clISt17integral_constantIbLb1EES1J_EEDaS1E_S1F_EUlS1E_E_NS1_11comp_targetILNS1_3genE0ELNS1_11target_archE4294967295ELNS1_3gpuE0ELNS1_3repE0EEENS1_30default_config_static_selectorELNS0_4arch9wavefront6targetE0EEEvT1_,comdat
	.protected	_ZN7rocprim17ROCPRIM_400000_NS6detail17trampoline_kernelINS0_14default_configENS1_25partition_config_selectorILNS1_17partition_subalgoE6EN6thrust23THRUST_200600_302600_NS5tupleIxxNS7_9null_typeES9_S9_S9_S9_S9_S9_S9_EENS0_10empty_typeEbEEZZNS1_14partition_implILS5_6ELb0ES3_mNS7_12zip_iteratorINS8_INS7_6detail15normal_iteratorINS7_10device_ptrIxEEEESJ_S9_S9_S9_S9_S9_S9_S9_S9_EEEEPSB_SM_NS0_5tupleIJNSE_INS8_ISJ_NS7_16discard_iteratorINS7_11use_defaultEEES9_S9_S9_S9_S9_S9_S9_S9_EEEESB_EEENSN_IJSM_SM_EEESB_PlJNSF_9not_fun_tINSF_14equal_to_valueISA_EEEEEEE10hipError_tPvRmT3_T4_T5_T6_T7_T9_mT8_P12ihipStream_tbDpT10_ENKUlT_T0_E_clISt17integral_constantIbLb1EES1J_EEDaS1E_S1F_EUlS1E_E_NS1_11comp_targetILNS1_3genE0ELNS1_11target_archE4294967295ELNS1_3gpuE0ELNS1_3repE0EEENS1_30default_config_static_selectorELNS0_4arch9wavefront6targetE0EEEvT1_ ; -- Begin function _ZN7rocprim17ROCPRIM_400000_NS6detail17trampoline_kernelINS0_14default_configENS1_25partition_config_selectorILNS1_17partition_subalgoE6EN6thrust23THRUST_200600_302600_NS5tupleIxxNS7_9null_typeES9_S9_S9_S9_S9_S9_S9_EENS0_10empty_typeEbEEZZNS1_14partition_implILS5_6ELb0ES3_mNS7_12zip_iteratorINS8_INS7_6detail15normal_iteratorINS7_10device_ptrIxEEEESJ_S9_S9_S9_S9_S9_S9_S9_S9_EEEEPSB_SM_NS0_5tupleIJNSE_INS8_ISJ_NS7_16discard_iteratorINS7_11use_defaultEEES9_S9_S9_S9_S9_S9_S9_S9_EEEESB_EEENSN_IJSM_SM_EEESB_PlJNSF_9not_fun_tINSF_14equal_to_valueISA_EEEEEEE10hipError_tPvRmT3_T4_T5_T6_T7_T9_mT8_P12ihipStream_tbDpT10_ENKUlT_T0_E_clISt17integral_constantIbLb1EES1J_EEDaS1E_S1F_EUlS1E_E_NS1_11comp_targetILNS1_3genE0ELNS1_11target_archE4294967295ELNS1_3gpuE0ELNS1_3repE0EEENS1_30default_config_static_selectorELNS0_4arch9wavefront6targetE0EEEvT1_
	.globl	_ZN7rocprim17ROCPRIM_400000_NS6detail17trampoline_kernelINS0_14default_configENS1_25partition_config_selectorILNS1_17partition_subalgoE6EN6thrust23THRUST_200600_302600_NS5tupleIxxNS7_9null_typeES9_S9_S9_S9_S9_S9_S9_EENS0_10empty_typeEbEEZZNS1_14partition_implILS5_6ELb0ES3_mNS7_12zip_iteratorINS8_INS7_6detail15normal_iteratorINS7_10device_ptrIxEEEESJ_S9_S9_S9_S9_S9_S9_S9_S9_EEEEPSB_SM_NS0_5tupleIJNSE_INS8_ISJ_NS7_16discard_iteratorINS7_11use_defaultEEES9_S9_S9_S9_S9_S9_S9_S9_EEEESB_EEENSN_IJSM_SM_EEESB_PlJNSF_9not_fun_tINSF_14equal_to_valueISA_EEEEEEE10hipError_tPvRmT3_T4_T5_T6_T7_T9_mT8_P12ihipStream_tbDpT10_ENKUlT_T0_E_clISt17integral_constantIbLb1EES1J_EEDaS1E_S1F_EUlS1E_E_NS1_11comp_targetILNS1_3genE0ELNS1_11target_archE4294967295ELNS1_3gpuE0ELNS1_3repE0EEENS1_30default_config_static_selectorELNS0_4arch9wavefront6targetE0EEEvT1_
	.p2align	8
	.type	_ZN7rocprim17ROCPRIM_400000_NS6detail17trampoline_kernelINS0_14default_configENS1_25partition_config_selectorILNS1_17partition_subalgoE6EN6thrust23THRUST_200600_302600_NS5tupleIxxNS7_9null_typeES9_S9_S9_S9_S9_S9_S9_EENS0_10empty_typeEbEEZZNS1_14partition_implILS5_6ELb0ES3_mNS7_12zip_iteratorINS8_INS7_6detail15normal_iteratorINS7_10device_ptrIxEEEESJ_S9_S9_S9_S9_S9_S9_S9_S9_EEEEPSB_SM_NS0_5tupleIJNSE_INS8_ISJ_NS7_16discard_iteratorINS7_11use_defaultEEES9_S9_S9_S9_S9_S9_S9_S9_EEEESB_EEENSN_IJSM_SM_EEESB_PlJNSF_9not_fun_tINSF_14equal_to_valueISA_EEEEEEE10hipError_tPvRmT3_T4_T5_T6_T7_T9_mT8_P12ihipStream_tbDpT10_ENKUlT_T0_E_clISt17integral_constantIbLb1EES1J_EEDaS1E_S1F_EUlS1E_E_NS1_11comp_targetILNS1_3genE0ELNS1_11target_archE4294967295ELNS1_3gpuE0ELNS1_3repE0EEENS1_30default_config_static_selectorELNS0_4arch9wavefront6targetE0EEEvT1_,@function
_ZN7rocprim17ROCPRIM_400000_NS6detail17trampoline_kernelINS0_14default_configENS1_25partition_config_selectorILNS1_17partition_subalgoE6EN6thrust23THRUST_200600_302600_NS5tupleIxxNS7_9null_typeES9_S9_S9_S9_S9_S9_S9_EENS0_10empty_typeEbEEZZNS1_14partition_implILS5_6ELb0ES3_mNS7_12zip_iteratorINS8_INS7_6detail15normal_iteratorINS7_10device_ptrIxEEEESJ_S9_S9_S9_S9_S9_S9_S9_S9_EEEEPSB_SM_NS0_5tupleIJNSE_INS8_ISJ_NS7_16discard_iteratorINS7_11use_defaultEEES9_S9_S9_S9_S9_S9_S9_S9_EEEESB_EEENSN_IJSM_SM_EEESB_PlJNSF_9not_fun_tINSF_14equal_to_valueISA_EEEEEEE10hipError_tPvRmT3_T4_T5_T6_T7_T9_mT8_P12ihipStream_tbDpT10_ENKUlT_T0_E_clISt17integral_constantIbLb1EES1J_EEDaS1E_S1F_EUlS1E_E_NS1_11comp_targetILNS1_3genE0ELNS1_11target_archE4294967295ELNS1_3gpuE0ELNS1_3repE0EEENS1_30default_config_static_selectorELNS0_4arch9wavefront6targetE0EEEvT1_: ; @_ZN7rocprim17ROCPRIM_400000_NS6detail17trampoline_kernelINS0_14default_configENS1_25partition_config_selectorILNS1_17partition_subalgoE6EN6thrust23THRUST_200600_302600_NS5tupleIxxNS7_9null_typeES9_S9_S9_S9_S9_S9_S9_EENS0_10empty_typeEbEEZZNS1_14partition_implILS5_6ELb0ES3_mNS7_12zip_iteratorINS8_INS7_6detail15normal_iteratorINS7_10device_ptrIxEEEESJ_S9_S9_S9_S9_S9_S9_S9_S9_EEEEPSB_SM_NS0_5tupleIJNSE_INS8_ISJ_NS7_16discard_iteratorINS7_11use_defaultEEES9_S9_S9_S9_S9_S9_S9_S9_EEEESB_EEENSN_IJSM_SM_EEESB_PlJNSF_9not_fun_tINSF_14equal_to_valueISA_EEEEEEE10hipError_tPvRmT3_T4_T5_T6_T7_T9_mT8_P12ihipStream_tbDpT10_ENKUlT_T0_E_clISt17integral_constantIbLb1EES1J_EEDaS1E_S1F_EUlS1E_E_NS1_11comp_targetILNS1_3genE0ELNS1_11target_archE4294967295ELNS1_3gpuE0ELNS1_3repE0EEENS1_30default_config_static_selectorELNS0_4arch9wavefront6targetE0EEEvT1_
; %bb.0:
	.section	.rodata,"a",@progbits
	.p2align	6, 0x0
	.amdhsa_kernel _ZN7rocprim17ROCPRIM_400000_NS6detail17trampoline_kernelINS0_14default_configENS1_25partition_config_selectorILNS1_17partition_subalgoE6EN6thrust23THRUST_200600_302600_NS5tupleIxxNS7_9null_typeES9_S9_S9_S9_S9_S9_S9_EENS0_10empty_typeEbEEZZNS1_14partition_implILS5_6ELb0ES3_mNS7_12zip_iteratorINS8_INS7_6detail15normal_iteratorINS7_10device_ptrIxEEEESJ_S9_S9_S9_S9_S9_S9_S9_S9_EEEEPSB_SM_NS0_5tupleIJNSE_INS8_ISJ_NS7_16discard_iteratorINS7_11use_defaultEEES9_S9_S9_S9_S9_S9_S9_S9_EEEESB_EEENSN_IJSM_SM_EEESB_PlJNSF_9not_fun_tINSF_14equal_to_valueISA_EEEEEEE10hipError_tPvRmT3_T4_T5_T6_T7_T9_mT8_P12ihipStream_tbDpT10_ENKUlT_T0_E_clISt17integral_constantIbLb1EES1J_EEDaS1E_S1F_EUlS1E_E_NS1_11comp_targetILNS1_3genE0ELNS1_11target_archE4294967295ELNS1_3gpuE0ELNS1_3repE0EEENS1_30default_config_static_selectorELNS0_4arch9wavefront6targetE0EEEvT1_
		.amdhsa_group_segment_fixed_size 0
		.amdhsa_private_segment_fixed_size 0
		.amdhsa_kernarg_size 160
		.amdhsa_user_sgpr_count 2
		.amdhsa_user_sgpr_dispatch_ptr 0
		.amdhsa_user_sgpr_queue_ptr 0
		.amdhsa_user_sgpr_kernarg_segment_ptr 1
		.amdhsa_user_sgpr_dispatch_id 0
		.amdhsa_user_sgpr_private_segment_size 0
		.amdhsa_wavefront_size32 1
		.amdhsa_uses_dynamic_stack 0
		.amdhsa_enable_private_segment 0
		.amdhsa_system_sgpr_workgroup_id_x 1
		.amdhsa_system_sgpr_workgroup_id_y 0
		.amdhsa_system_sgpr_workgroup_id_z 0
		.amdhsa_system_sgpr_workgroup_info 0
		.amdhsa_system_vgpr_workitem_id 0
		.amdhsa_next_free_vgpr 1
		.amdhsa_next_free_sgpr 1
		.amdhsa_reserve_vcc 0
		.amdhsa_float_round_mode_32 0
		.amdhsa_float_round_mode_16_64 0
		.amdhsa_float_denorm_mode_32 3
		.amdhsa_float_denorm_mode_16_64 3
		.amdhsa_fp16_overflow 0
		.amdhsa_workgroup_processor_mode 1
		.amdhsa_memory_ordered 1
		.amdhsa_forward_progress 1
		.amdhsa_inst_pref_size 0
		.amdhsa_round_robin_scheduling 0
		.amdhsa_exception_fp_ieee_invalid_op 0
		.amdhsa_exception_fp_denorm_src 0
		.amdhsa_exception_fp_ieee_div_zero 0
		.amdhsa_exception_fp_ieee_overflow 0
		.amdhsa_exception_fp_ieee_underflow 0
		.amdhsa_exception_fp_ieee_inexact 0
		.amdhsa_exception_int_div_zero 0
	.end_amdhsa_kernel
	.section	.text._ZN7rocprim17ROCPRIM_400000_NS6detail17trampoline_kernelINS0_14default_configENS1_25partition_config_selectorILNS1_17partition_subalgoE6EN6thrust23THRUST_200600_302600_NS5tupleIxxNS7_9null_typeES9_S9_S9_S9_S9_S9_S9_EENS0_10empty_typeEbEEZZNS1_14partition_implILS5_6ELb0ES3_mNS7_12zip_iteratorINS8_INS7_6detail15normal_iteratorINS7_10device_ptrIxEEEESJ_S9_S9_S9_S9_S9_S9_S9_S9_EEEEPSB_SM_NS0_5tupleIJNSE_INS8_ISJ_NS7_16discard_iteratorINS7_11use_defaultEEES9_S9_S9_S9_S9_S9_S9_S9_EEEESB_EEENSN_IJSM_SM_EEESB_PlJNSF_9not_fun_tINSF_14equal_to_valueISA_EEEEEEE10hipError_tPvRmT3_T4_T5_T6_T7_T9_mT8_P12ihipStream_tbDpT10_ENKUlT_T0_E_clISt17integral_constantIbLb1EES1J_EEDaS1E_S1F_EUlS1E_E_NS1_11comp_targetILNS1_3genE0ELNS1_11target_archE4294967295ELNS1_3gpuE0ELNS1_3repE0EEENS1_30default_config_static_selectorELNS0_4arch9wavefront6targetE0EEEvT1_,"axG",@progbits,_ZN7rocprim17ROCPRIM_400000_NS6detail17trampoline_kernelINS0_14default_configENS1_25partition_config_selectorILNS1_17partition_subalgoE6EN6thrust23THRUST_200600_302600_NS5tupleIxxNS7_9null_typeES9_S9_S9_S9_S9_S9_S9_EENS0_10empty_typeEbEEZZNS1_14partition_implILS5_6ELb0ES3_mNS7_12zip_iteratorINS8_INS7_6detail15normal_iteratorINS7_10device_ptrIxEEEESJ_S9_S9_S9_S9_S9_S9_S9_S9_EEEEPSB_SM_NS0_5tupleIJNSE_INS8_ISJ_NS7_16discard_iteratorINS7_11use_defaultEEES9_S9_S9_S9_S9_S9_S9_S9_EEEESB_EEENSN_IJSM_SM_EEESB_PlJNSF_9not_fun_tINSF_14equal_to_valueISA_EEEEEEE10hipError_tPvRmT3_T4_T5_T6_T7_T9_mT8_P12ihipStream_tbDpT10_ENKUlT_T0_E_clISt17integral_constantIbLb1EES1J_EEDaS1E_S1F_EUlS1E_E_NS1_11comp_targetILNS1_3genE0ELNS1_11target_archE4294967295ELNS1_3gpuE0ELNS1_3repE0EEENS1_30default_config_static_selectorELNS0_4arch9wavefront6targetE0EEEvT1_,comdat
.Lfunc_end1989:
	.size	_ZN7rocprim17ROCPRIM_400000_NS6detail17trampoline_kernelINS0_14default_configENS1_25partition_config_selectorILNS1_17partition_subalgoE6EN6thrust23THRUST_200600_302600_NS5tupleIxxNS7_9null_typeES9_S9_S9_S9_S9_S9_S9_EENS0_10empty_typeEbEEZZNS1_14partition_implILS5_6ELb0ES3_mNS7_12zip_iteratorINS8_INS7_6detail15normal_iteratorINS7_10device_ptrIxEEEESJ_S9_S9_S9_S9_S9_S9_S9_S9_EEEEPSB_SM_NS0_5tupleIJNSE_INS8_ISJ_NS7_16discard_iteratorINS7_11use_defaultEEES9_S9_S9_S9_S9_S9_S9_S9_EEEESB_EEENSN_IJSM_SM_EEESB_PlJNSF_9not_fun_tINSF_14equal_to_valueISA_EEEEEEE10hipError_tPvRmT3_T4_T5_T6_T7_T9_mT8_P12ihipStream_tbDpT10_ENKUlT_T0_E_clISt17integral_constantIbLb1EES1J_EEDaS1E_S1F_EUlS1E_E_NS1_11comp_targetILNS1_3genE0ELNS1_11target_archE4294967295ELNS1_3gpuE0ELNS1_3repE0EEENS1_30default_config_static_selectorELNS0_4arch9wavefront6targetE0EEEvT1_, .Lfunc_end1989-_ZN7rocprim17ROCPRIM_400000_NS6detail17trampoline_kernelINS0_14default_configENS1_25partition_config_selectorILNS1_17partition_subalgoE6EN6thrust23THRUST_200600_302600_NS5tupleIxxNS7_9null_typeES9_S9_S9_S9_S9_S9_S9_EENS0_10empty_typeEbEEZZNS1_14partition_implILS5_6ELb0ES3_mNS7_12zip_iteratorINS8_INS7_6detail15normal_iteratorINS7_10device_ptrIxEEEESJ_S9_S9_S9_S9_S9_S9_S9_S9_EEEEPSB_SM_NS0_5tupleIJNSE_INS8_ISJ_NS7_16discard_iteratorINS7_11use_defaultEEES9_S9_S9_S9_S9_S9_S9_S9_EEEESB_EEENSN_IJSM_SM_EEESB_PlJNSF_9not_fun_tINSF_14equal_to_valueISA_EEEEEEE10hipError_tPvRmT3_T4_T5_T6_T7_T9_mT8_P12ihipStream_tbDpT10_ENKUlT_T0_E_clISt17integral_constantIbLb1EES1J_EEDaS1E_S1F_EUlS1E_E_NS1_11comp_targetILNS1_3genE0ELNS1_11target_archE4294967295ELNS1_3gpuE0ELNS1_3repE0EEENS1_30default_config_static_selectorELNS0_4arch9wavefront6targetE0EEEvT1_
                                        ; -- End function
	.set _ZN7rocprim17ROCPRIM_400000_NS6detail17trampoline_kernelINS0_14default_configENS1_25partition_config_selectorILNS1_17partition_subalgoE6EN6thrust23THRUST_200600_302600_NS5tupleIxxNS7_9null_typeES9_S9_S9_S9_S9_S9_S9_EENS0_10empty_typeEbEEZZNS1_14partition_implILS5_6ELb0ES3_mNS7_12zip_iteratorINS8_INS7_6detail15normal_iteratorINS7_10device_ptrIxEEEESJ_S9_S9_S9_S9_S9_S9_S9_S9_EEEEPSB_SM_NS0_5tupleIJNSE_INS8_ISJ_NS7_16discard_iteratorINS7_11use_defaultEEES9_S9_S9_S9_S9_S9_S9_S9_EEEESB_EEENSN_IJSM_SM_EEESB_PlJNSF_9not_fun_tINSF_14equal_to_valueISA_EEEEEEE10hipError_tPvRmT3_T4_T5_T6_T7_T9_mT8_P12ihipStream_tbDpT10_ENKUlT_T0_E_clISt17integral_constantIbLb1EES1J_EEDaS1E_S1F_EUlS1E_E_NS1_11comp_targetILNS1_3genE0ELNS1_11target_archE4294967295ELNS1_3gpuE0ELNS1_3repE0EEENS1_30default_config_static_selectorELNS0_4arch9wavefront6targetE0EEEvT1_.num_vgpr, 0
	.set _ZN7rocprim17ROCPRIM_400000_NS6detail17trampoline_kernelINS0_14default_configENS1_25partition_config_selectorILNS1_17partition_subalgoE6EN6thrust23THRUST_200600_302600_NS5tupleIxxNS7_9null_typeES9_S9_S9_S9_S9_S9_S9_EENS0_10empty_typeEbEEZZNS1_14partition_implILS5_6ELb0ES3_mNS7_12zip_iteratorINS8_INS7_6detail15normal_iteratorINS7_10device_ptrIxEEEESJ_S9_S9_S9_S9_S9_S9_S9_S9_EEEEPSB_SM_NS0_5tupleIJNSE_INS8_ISJ_NS7_16discard_iteratorINS7_11use_defaultEEES9_S9_S9_S9_S9_S9_S9_S9_EEEESB_EEENSN_IJSM_SM_EEESB_PlJNSF_9not_fun_tINSF_14equal_to_valueISA_EEEEEEE10hipError_tPvRmT3_T4_T5_T6_T7_T9_mT8_P12ihipStream_tbDpT10_ENKUlT_T0_E_clISt17integral_constantIbLb1EES1J_EEDaS1E_S1F_EUlS1E_E_NS1_11comp_targetILNS1_3genE0ELNS1_11target_archE4294967295ELNS1_3gpuE0ELNS1_3repE0EEENS1_30default_config_static_selectorELNS0_4arch9wavefront6targetE0EEEvT1_.num_agpr, 0
	.set _ZN7rocprim17ROCPRIM_400000_NS6detail17trampoline_kernelINS0_14default_configENS1_25partition_config_selectorILNS1_17partition_subalgoE6EN6thrust23THRUST_200600_302600_NS5tupleIxxNS7_9null_typeES9_S9_S9_S9_S9_S9_S9_EENS0_10empty_typeEbEEZZNS1_14partition_implILS5_6ELb0ES3_mNS7_12zip_iteratorINS8_INS7_6detail15normal_iteratorINS7_10device_ptrIxEEEESJ_S9_S9_S9_S9_S9_S9_S9_S9_EEEEPSB_SM_NS0_5tupleIJNSE_INS8_ISJ_NS7_16discard_iteratorINS7_11use_defaultEEES9_S9_S9_S9_S9_S9_S9_S9_EEEESB_EEENSN_IJSM_SM_EEESB_PlJNSF_9not_fun_tINSF_14equal_to_valueISA_EEEEEEE10hipError_tPvRmT3_T4_T5_T6_T7_T9_mT8_P12ihipStream_tbDpT10_ENKUlT_T0_E_clISt17integral_constantIbLb1EES1J_EEDaS1E_S1F_EUlS1E_E_NS1_11comp_targetILNS1_3genE0ELNS1_11target_archE4294967295ELNS1_3gpuE0ELNS1_3repE0EEENS1_30default_config_static_selectorELNS0_4arch9wavefront6targetE0EEEvT1_.numbered_sgpr, 0
	.set _ZN7rocprim17ROCPRIM_400000_NS6detail17trampoline_kernelINS0_14default_configENS1_25partition_config_selectorILNS1_17partition_subalgoE6EN6thrust23THRUST_200600_302600_NS5tupleIxxNS7_9null_typeES9_S9_S9_S9_S9_S9_S9_EENS0_10empty_typeEbEEZZNS1_14partition_implILS5_6ELb0ES3_mNS7_12zip_iteratorINS8_INS7_6detail15normal_iteratorINS7_10device_ptrIxEEEESJ_S9_S9_S9_S9_S9_S9_S9_S9_EEEEPSB_SM_NS0_5tupleIJNSE_INS8_ISJ_NS7_16discard_iteratorINS7_11use_defaultEEES9_S9_S9_S9_S9_S9_S9_S9_EEEESB_EEENSN_IJSM_SM_EEESB_PlJNSF_9not_fun_tINSF_14equal_to_valueISA_EEEEEEE10hipError_tPvRmT3_T4_T5_T6_T7_T9_mT8_P12ihipStream_tbDpT10_ENKUlT_T0_E_clISt17integral_constantIbLb1EES1J_EEDaS1E_S1F_EUlS1E_E_NS1_11comp_targetILNS1_3genE0ELNS1_11target_archE4294967295ELNS1_3gpuE0ELNS1_3repE0EEENS1_30default_config_static_selectorELNS0_4arch9wavefront6targetE0EEEvT1_.num_named_barrier, 0
	.set _ZN7rocprim17ROCPRIM_400000_NS6detail17trampoline_kernelINS0_14default_configENS1_25partition_config_selectorILNS1_17partition_subalgoE6EN6thrust23THRUST_200600_302600_NS5tupleIxxNS7_9null_typeES9_S9_S9_S9_S9_S9_S9_EENS0_10empty_typeEbEEZZNS1_14partition_implILS5_6ELb0ES3_mNS7_12zip_iteratorINS8_INS7_6detail15normal_iteratorINS7_10device_ptrIxEEEESJ_S9_S9_S9_S9_S9_S9_S9_S9_EEEEPSB_SM_NS0_5tupleIJNSE_INS8_ISJ_NS7_16discard_iteratorINS7_11use_defaultEEES9_S9_S9_S9_S9_S9_S9_S9_EEEESB_EEENSN_IJSM_SM_EEESB_PlJNSF_9not_fun_tINSF_14equal_to_valueISA_EEEEEEE10hipError_tPvRmT3_T4_T5_T6_T7_T9_mT8_P12ihipStream_tbDpT10_ENKUlT_T0_E_clISt17integral_constantIbLb1EES1J_EEDaS1E_S1F_EUlS1E_E_NS1_11comp_targetILNS1_3genE0ELNS1_11target_archE4294967295ELNS1_3gpuE0ELNS1_3repE0EEENS1_30default_config_static_selectorELNS0_4arch9wavefront6targetE0EEEvT1_.private_seg_size, 0
	.set _ZN7rocprim17ROCPRIM_400000_NS6detail17trampoline_kernelINS0_14default_configENS1_25partition_config_selectorILNS1_17partition_subalgoE6EN6thrust23THRUST_200600_302600_NS5tupleIxxNS7_9null_typeES9_S9_S9_S9_S9_S9_S9_EENS0_10empty_typeEbEEZZNS1_14partition_implILS5_6ELb0ES3_mNS7_12zip_iteratorINS8_INS7_6detail15normal_iteratorINS7_10device_ptrIxEEEESJ_S9_S9_S9_S9_S9_S9_S9_S9_EEEEPSB_SM_NS0_5tupleIJNSE_INS8_ISJ_NS7_16discard_iteratorINS7_11use_defaultEEES9_S9_S9_S9_S9_S9_S9_S9_EEEESB_EEENSN_IJSM_SM_EEESB_PlJNSF_9not_fun_tINSF_14equal_to_valueISA_EEEEEEE10hipError_tPvRmT3_T4_T5_T6_T7_T9_mT8_P12ihipStream_tbDpT10_ENKUlT_T0_E_clISt17integral_constantIbLb1EES1J_EEDaS1E_S1F_EUlS1E_E_NS1_11comp_targetILNS1_3genE0ELNS1_11target_archE4294967295ELNS1_3gpuE0ELNS1_3repE0EEENS1_30default_config_static_selectorELNS0_4arch9wavefront6targetE0EEEvT1_.uses_vcc, 0
	.set _ZN7rocprim17ROCPRIM_400000_NS6detail17trampoline_kernelINS0_14default_configENS1_25partition_config_selectorILNS1_17partition_subalgoE6EN6thrust23THRUST_200600_302600_NS5tupleIxxNS7_9null_typeES9_S9_S9_S9_S9_S9_S9_EENS0_10empty_typeEbEEZZNS1_14partition_implILS5_6ELb0ES3_mNS7_12zip_iteratorINS8_INS7_6detail15normal_iteratorINS7_10device_ptrIxEEEESJ_S9_S9_S9_S9_S9_S9_S9_S9_EEEEPSB_SM_NS0_5tupleIJNSE_INS8_ISJ_NS7_16discard_iteratorINS7_11use_defaultEEES9_S9_S9_S9_S9_S9_S9_S9_EEEESB_EEENSN_IJSM_SM_EEESB_PlJNSF_9not_fun_tINSF_14equal_to_valueISA_EEEEEEE10hipError_tPvRmT3_T4_T5_T6_T7_T9_mT8_P12ihipStream_tbDpT10_ENKUlT_T0_E_clISt17integral_constantIbLb1EES1J_EEDaS1E_S1F_EUlS1E_E_NS1_11comp_targetILNS1_3genE0ELNS1_11target_archE4294967295ELNS1_3gpuE0ELNS1_3repE0EEENS1_30default_config_static_selectorELNS0_4arch9wavefront6targetE0EEEvT1_.uses_flat_scratch, 0
	.set _ZN7rocprim17ROCPRIM_400000_NS6detail17trampoline_kernelINS0_14default_configENS1_25partition_config_selectorILNS1_17partition_subalgoE6EN6thrust23THRUST_200600_302600_NS5tupleIxxNS7_9null_typeES9_S9_S9_S9_S9_S9_S9_EENS0_10empty_typeEbEEZZNS1_14partition_implILS5_6ELb0ES3_mNS7_12zip_iteratorINS8_INS7_6detail15normal_iteratorINS7_10device_ptrIxEEEESJ_S9_S9_S9_S9_S9_S9_S9_S9_EEEEPSB_SM_NS0_5tupleIJNSE_INS8_ISJ_NS7_16discard_iteratorINS7_11use_defaultEEES9_S9_S9_S9_S9_S9_S9_S9_EEEESB_EEENSN_IJSM_SM_EEESB_PlJNSF_9not_fun_tINSF_14equal_to_valueISA_EEEEEEE10hipError_tPvRmT3_T4_T5_T6_T7_T9_mT8_P12ihipStream_tbDpT10_ENKUlT_T0_E_clISt17integral_constantIbLb1EES1J_EEDaS1E_S1F_EUlS1E_E_NS1_11comp_targetILNS1_3genE0ELNS1_11target_archE4294967295ELNS1_3gpuE0ELNS1_3repE0EEENS1_30default_config_static_selectorELNS0_4arch9wavefront6targetE0EEEvT1_.has_dyn_sized_stack, 0
	.set _ZN7rocprim17ROCPRIM_400000_NS6detail17trampoline_kernelINS0_14default_configENS1_25partition_config_selectorILNS1_17partition_subalgoE6EN6thrust23THRUST_200600_302600_NS5tupleIxxNS7_9null_typeES9_S9_S9_S9_S9_S9_S9_EENS0_10empty_typeEbEEZZNS1_14partition_implILS5_6ELb0ES3_mNS7_12zip_iteratorINS8_INS7_6detail15normal_iteratorINS7_10device_ptrIxEEEESJ_S9_S9_S9_S9_S9_S9_S9_S9_EEEEPSB_SM_NS0_5tupleIJNSE_INS8_ISJ_NS7_16discard_iteratorINS7_11use_defaultEEES9_S9_S9_S9_S9_S9_S9_S9_EEEESB_EEENSN_IJSM_SM_EEESB_PlJNSF_9not_fun_tINSF_14equal_to_valueISA_EEEEEEE10hipError_tPvRmT3_T4_T5_T6_T7_T9_mT8_P12ihipStream_tbDpT10_ENKUlT_T0_E_clISt17integral_constantIbLb1EES1J_EEDaS1E_S1F_EUlS1E_E_NS1_11comp_targetILNS1_3genE0ELNS1_11target_archE4294967295ELNS1_3gpuE0ELNS1_3repE0EEENS1_30default_config_static_selectorELNS0_4arch9wavefront6targetE0EEEvT1_.has_recursion, 0
	.set _ZN7rocprim17ROCPRIM_400000_NS6detail17trampoline_kernelINS0_14default_configENS1_25partition_config_selectorILNS1_17partition_subalgoE6EN6thrust23THRUST_200600_302600_NS5tupleIxxNS7_9null_typeES9_S9_S9_S9_S9_S9_S9_EENS0_10empty_typeEbEEZZNS1_14partition_implILS5_6ELb0ES3_mNS7_12zip_iteratorINS8_INS7_6detail15normal_iteratorINS7_10device_ptrIxEEEESJ_S9_S9_S9_S9_S9_S9_S9_S9_EEEEPSB_SM_NS0_5tupleIJNSE_INS8_ISJ_NS7_16discard_iteratorINS7_11use_defaultEEES9_S9_S9_S9_S9_S9_S9_S9_EEEESB_EEENSN_IJSM_SM_EEESB_PlJNSF_9not_fun_tINSF_14equal_to_valueISA_EEEEEEE10hipError_tPvRmT3_T4_T5_T6_T7_T9_mT8_P12ihipStream_tbDpT10_ENKUlT_T0_E_clISt17integral_constantIbLb1EES1J_EEDaS1E_S1F_EUlS1E_E_NS1_11comp_targetILNS1_3genE0ELNS1_11target_archE4294967295ELNS1_3gpuE0ELNS1_3repE0EEENS1_30default_config_static_selectorELNS0_4arch9wavefront6targetE0EEEvT1_.has_indirect_call, 0
	.section	.AMDGPU.csdata,"",@progbits
; Kernel info:
; codeLenInByte = 0
; TotalNumSgprs: 0
; NumVgprs: 0
; ScratchSize: 0
; MemoryBound: 0
; FloatMode: 240
; IeeeMode: 1
; LDSByteSize: 0 bytes/workgroup (compile time only)
; SGPRBlocks: 0
; VGPRBlocks: 0
; NumSGPRsForWavesPerEU: 1
; NumVGPRsForWavesPerEU: 1
; Occupancy: 16
; WaveLimiterHint : 0
; COMPUTE_PGM_RSRC2:SCRATCH_EN: 0
; COMPUTE_PGM_RSRC2:USER_SGPR: 2
; COMPUTE_PGM_RSRC2:TRAP_HANDLER: 0
; COMPUTE_PGM_RSRC2:TGID_X_EN: 1
; COMPUTE_PGM_RSRC2:TGID_Y_EN: 0
; COMPUTE_PGM_RSRC2:TGID_Z_EN: 0
; COMPUTE_PGM_RSRC2:TIDIG_COMP_CNT: 0
	.section	.text._ZN7rocprim17ROCPRIM_400000_NS6detail17trampoline_kernelINS0_14default_configENS1_25partition_config_selectorILNS1_17partition_subalgoE6EN6thrust23THRUST_200600_302600_NS5tupleIxxNS7_9null_typeES9_S9_S9_S9_S9_S9_S9_EENS0_10empty_typeEbEEZZNS1_14partition_implILS5_6ELb0ES3_mNS7_12zip_iteratorINS8_INS7_6detail15normal_iteratorINS7_10device_ptrIxEEEESJ_S9_S9_S9_S9_S9_S9_S9_S9_EEEEPSB_SM_NS0_5tupleIJNSE_INS8_ISJ_NS7_16discard_iteratorINS7_11use_defaultEEES9_S9_S9_S9_S9_S9_S9_S9_EEEESB_EEENSN_IJSM_SM_EEESB_PlJNSF_9not_fun_tINSF_14equal_to_valueISA_EEEEEEE10hipError_tPvRmT3_T4_T5_T6_T7_T9_mT8_P12ihipStream_tbDpT10_ENKUlT_T0_E_clISt17integral_constantIbLb1EES1J_EEDaS1E_S1F_EUlS1E_E_NS1_11comp_targetILNS1_3genE5ELNS1_11target_archE942ELNS1_3gpuE9ELNS1_3repE0EEENS1_30default_config_static_selectorELNS0_4arch9wavefront6targetE0EEEvT1_,"axG",@progbits,_ZN7rocprim17ROCPRIM_400000_NS6detail17trampoline_kernelINS0_14default_configENS1_25partition_config_selectorILNS1_17partition_subalgoE6EN6thrust23THRUST_200600_302600_NS5tupleIxxNS7_9null_typeES9_S9_S9_S9_S9_S9_S9_EENS0_10empty_typeEbEEZZNS1_14partition_implILS5_6ELb0ES3_mNS7_12zip_iteratorINS8_INS7_6detail15normal_iteratorINS7_10device_ptrIxEEEESJ_S9_S9_S9_S9_S9_S9_S9_S9_EEEEPSB_SM_NS0_5tupleIJNSE_INS8_ISJ_NS7_16discard_iteratorINS7_11use_defaultEEES9_S9_S9_S9_S9_S9_S9_S9_EEEESB_EEENSN_IJSM_SM_EEESB_PlJNSF_9not_fun_tINSF_14equal_to_valueISA_EEEEEEE10hipError_tPvRmT3_T4_T5_T6_T7_T9_mT8_P12ihipStream_tbDpT10_ENKUlT_T0_E_clISt17integral_constantIbLb1EES1J_EEDaS1E_S1F_EUlS1E_E_NS1_11comp_targetILNS1_3genE5ELNS1_11target_archE942ELNS1_3gpuE9ELNS1_3repE0EEENS1_30default_config_static_selectorELNS0_4arch9wavefront6targetE0EEEvT1_,comdat
	.protected	_ZN7rocprim17ROCPRIM_400000_NS6detail17trampoline_kernelINS0_14default_configENS1_25partition_config_selectorILNS1_17partition_subalgoE6EN6thrust23THRUST_200600_302600_NS5tupleIxxNS7_9null_typeES9_S9_S9_S9_S9_S9_S9_EENS0_10empty_typeEbEEZZNS1_14partition_implILS5_6ELb0ES3_mNS7_12zip_iteratorINS8_INS7_6detail15normal_iteratorINS7_10device_ptrIxEEEESJ_S9_S9_S9_S9_S9_S9_S9_S9_EEEEPSB_SM_NS0_5tupleIJNSE_INS8_ISJ_NS7_16discard_iteratorINS7_11use_defaultEEES9_S9_S9_S9_S9_S9_S9_S9_EEEESB_EEENSN_IJSM_SM_EEESB_PlJNSF_9not_fun_tINSF_14equal_to_valueISA_EEEEEEE10hipError_tPvRmT3_T4_T5_T6_T7_T9_mT8_P12ihipStream_tbDpT10_ENKUlT_T0_E_clISt17integral_constantIbLb1EES1J_EEDaS1E_S1F_EUlS1E_E_NS1_11comp_targetILNS1_3genE5ELNS1_11target_archE942ELNS1_3gpuE9ELNS1_3repE0EEENS1_30default_config_static_selectorELNS0_4arch9wavefront6targetE0EEEvT1_ ; -- Begin function _ZN7rocprim17ROCPRIM_400000_NS6detail17trampoline_kernelINS0_14default_configENS1_25partition_config_selectorILNS1_17partition_subalgoE6EN6thrust23THRUST_200600_302600_NS5tupleIxxNS7_9null_typeES9_S9_S9_S9_S9_S9_S9_EENS0_10empty_typeEbEEZZNS1_14partition_implILS5_6ELb0ES3_mNS7_12zip_iteratorINS8_INS7_6detail15normal_iteratorINS7_10device_ptrIxEEEESJ_S9_S9_S9_S9_S9_S9_S9_S9_EEEEPSB_SM_NS0_5tupleIJNSE_INS8_ISJ_NS7_16discard_iteratorINS7_11use_defaultEEES9_S9_S9_S9_S9_S9_S9_S9_EEEESB_EEENSN_IJSM_SM_EEESB_PlJNSF_9not_fun_tINSF_14equal_to_valueISA_EEEEEEE10hipError_tPvRmT3_T4_T5_T6_T7_T9_mT8_P12ihipStream_tbDpT10_ENKUlT_T0_E_clISt17integral_constantIbLb1EES1J_EEDaS1E_S1F_EUlS1E_E_NS1_11comp_targetILNS1_3genE5ELNS1_11target_archE942ELNS1_3gpuE9ELNS1_3repE0EEENS1_30default_config_static_selectorELNS0_4arch9wavefront6targetE0EEEvT1_
	.globl	_ZN7rocprim17ROCPRIM_400000_NS6detail17trampoline_kernelINS0_14default_configENS1_25partition_config_selectorILNS1_17partition_subalgoE6EN6thrust23THRUST_200600_302600_NS5tupleIxxNS7_9null_typeES9_S9_S9_S9_S9_S9_S9_EENS0_10empty_typeEbEEZZNS1_14partition_implILS5_6ELb0ES3_mNS7_12zip_iteratorINS8_INS7_6detail15normal_iteratorINS7_10device_ptrIxEEEESJ_S9_S9_S9_S9_S9_S9_S9_S9_EEEEPSB_SM_NS0_5tupleIJNSE_INS8_ISJ_NS7_16discard_iteratorINS7_11use_defaultEEES9_S9_S9_S9_S9_S9_S9_S9_EEEESB_EEENSN_IJSM_SM_EEESB_PlJNSF_9not_fun_tINSF_14equal_to_valueISA_EEEEEEE10hipError_tPvRmT3_T4_T5_T6_T7_T9_mT8_P12ihipStream_tbDpT10_ENKUlT_T0_E_clISt17integral_constantIbLb1EES1J_EEDaS1E_S1F_EUlS1E_E_NS1_11comp_targetILNS1_3genE5ELNS1_11target_archE942ELNS1_3gpuE9ELNS1_3repE0EEENS1_30default_config_static_selectorELNS0_4arch9wavefront6targetE0EEEvT1_
	.p2align	8
	.type	_ZN7rocprim17ROCPRIM_400000_NS6detail17trampoline_kernelINS0_14default_configENS1_25partition_config_selectorILNS1_17partition_subalgoE6EN6thrust23THRUST_200600_302600_NS5tupleIxxNS7_9null_typeES9_S9_S9_S9_S9_S9_S9_EENS0_10empty_typeEbEEZZNS1_14partition_implILS5_6ELb0ES3_mNS7_12zip_iteratorINS8_INS7_6detail15normal_iteratorINS7_10device_ptrIxEEEESJ_S9_S9_S9_S9_S9_S9_S9_S9_EEEEPSB_SM_NS0_5tupleIJNSE_INS8_ISJ_NS7_16discard_iteratorINS7_11use_defaultEEES9_S9_S9_S9_S9_S9_S9_S9_EEEESB_EEENSN_IJSM_SM_EEESB_PlJNSF_9not_fun_tINSF_14equal_to_valueISA_EEEEEEE10hipError_tPvRmT3_T4_T5_T6_T7_T9_mT8_P12ihipStream_tbDpT10_ENKUlT_T0_E_clISt17integral_constantIbLb1EES1J_EEDaS1E_S1F_EUlS1E_E_NS1_11comp_targetILNS1_3genE5ELNS1_11target_archE942ELNS1_3gpuE9ELNS1_3repE0EEENS1_30default_config_static_selectorELNS0_4arch9wavefront6targetE0EEEvT1_,@function
_ZN7rocprim17ROCPRIM_400000_NS6detail17trampoline_kernelINS0_14default_configENS1_25partition_config_selectorILNS1_17partition_subalgoE6EN6thrust23THRUST_200600_302600_NS5tupleIxxNS7_9null_typeES9_S9_S9_S9_S9_S9_S9_EENS0_10empty_typeEbEEZZNS1_14partition_implILS5_6ELb0ES3_mNS7_12zip_iteratorINS8_INS7_6detail15normal_iteratorINS7_10device_ptrIxEEEESJ_S9_S9_S9_S9_S9_S9_S9_S9_EEEEPSB_SM_NS0_5tupleIJNSE_INS8_ISJ_NS7_16discard_iteratorINS7_11use_defaultEEES9_S9_S9_S9_S9_S9_S9_S9_EEEESB_EEENSN_IJSM_SM_EEESB_PlJNSF_9not_fun_tINSF_14equal_to_valueISA_EEEEEEE10hipError_tPvRmT3_T4_T5_T6_T7_T9_mT8_P12ihipStream_tbDpT10_ENKUlT_T0_E_clISt17integral_constantIbLb1EES1J_EEDaS1E_S1F_EUlS1E_E_NS1_11comp_targetILNS1_3genE5ELNS1_11target_archE942ELNS1_3gpuE9ELNS1_3repE0EEENS1_30default_config_static_selectorELNS0_4arch9wavefront6targetE0EEEvT1_: ; @_ZN7rocprim17ROCPRIM_400000_NS6detail17trampoline_kernelINS0_14default_configENS1_25partition_config_selectorILNS1_17partition_subalgoE6EN6thrust23THRUST_200600_302600_NS5tupleIxxNS7_9null_typeES9_S9_S9_S9_S9_S9_S9_EENS0_10empty_typeEbEEZZNS1_14partition_implILS5_6ELb0ES3_mNS7_12zip_iteratorINS8_INS7_6detail15normal_iteratorINS7_10device_ptrIxEEEESJ_S9_S9_S9_S9_S9_S9_S9_S9_EEEEPSB_SM_NS0_5tupleIJNSE_INS8_ISJ_NS7_16discard_iteratorINS7_11use_defaultEEES9_S9_S9_S9_S9_S9_S9_S9_EEEESB_EEENSN_IJSM_SM_EEESB_PlJNSF_9not_fun_tINSF_14equal_to_valueISA_EEEEEEE10hipError_tPvRmT3_T4_T5_T6_T7_T9_mT8_P12ihipStream_tbDpT10_ENKUlT_T0_E_clISt17integral_constantIbLb1EES1J_EEDaS1E_S1F_EUlS1E_E_NS1_11comp_targetILNS1_3genE5ELNS1_11target_archE942ELNS1_3gpuE9ELNS1_3repE0EEENS1_30default_config_static_selectorELNS0_4arch9wavefront6targetE0EEEvT1_
; %bb.0:
	.section	.rodata,"a",@progbits
	.p2align	6, 0x0
	.amdhsa_kernel _ZN7rocprim17ROCPRIM_400000_NS6detail17trampoline_kernelINS0_14default_configENS1_25partition_config_selectorILNS1_17partition_subalgoE6EN6thrust23THRUST_200600_302600_NS5tupleIxxNS7_9null_typeES9_S9_S9_S9_S9_S9_S9_EENS0_10empty_typeEbEEZZNS1_14partition_implILS5_6ELb0ES3_mNS7_12zip_iteratorINS8_INS7_6detail15normal_iteratorINS7_10device_ptrIxEEEESJ_S9_S9_S9_S9_S9_S9_S9_S9_EEEEPSB_SM_NS0_5tupleIJNSE_INS8_ISJ_NS7_16discard_iteratorINS7_11use_defaultEEES9_S9_S9_S9_S9_S9_S9_S9_EEEESB_EEENSN_IJSM_SM_EEESB_PlJNSF_9not_fun_tINSF_14equal_to_valueISA_EEEEEEE10hipError_tPvRmT3_T4_T5_T6_T7_T9_mT8_P12ihipStream_tbDpT10_ENKUlT_T0_E_clISt17integral_constantIbLb1EES1J_EEDaS1E_S1F_EUlS1E_E_NS1_11comp_targetILNS1_3genE5ELNS1_11target_archE942ELNS1_3gpuE9ELNS1_3repE0EEENS1_30default_config_static_selectorELNS0_4arch9wavefront6targetE0EEEvT1_
		.amdhsa_group_segment_fixed_size 0
		.amdhsa_private_segment_fixed_size 0
		.amdhsa_kernarg_size 160
		.amdhsa_user_sgpr_count 2
		.amdhsa_user_sgpr_dispatch_ptr 0
		.amdhsa_user_sgpr_queue_ptr 0
		.amdhsa_user_sgpr_kernarg_segment_ptr 1
		.amdhsa_user_sgpr_dispatch_id 0
		.amdhsa_user_sgpr_private_segment_size 0
		.amdhsa_wavefront_size32 1
		.amdhsa_uses_dynamic_stack 0
		.amdhsa_enable_private_segment 0
		.amdhsa_system_sgpr_workgroup_id_x 1
		.amdhsa_system_sgpr_workgroup_id_y 0
		.amdhsa_system_sgpr_workgroup_id_z 0
		.amdhsa_system_sgpr_workgroup_info 0
		.amdhsa_system_vgpr_workitem_id 0
		.amdhsa_next_free_vgpr 1
		.amdhsa_next_free_sgpr 1
		.amdhsa_reserve_vcc 0
		.amdhsa_float_round_mode_32 0
		.amdhsa_float_round_mode_16_64 0
		.amdhsa_float_denorm_mode_32 3
		.amdhsa_float_denorm_mode_16_64 3
		.amdhsa_fp16_overflow 0
		.amdhsa_workgroup_processor_mode 1
		.amdhsa_memory_ordered 1
		.amdhsa_forward_progress 1
		.amdhsa_inst_pref_size 0
		.amdhsa_round_robin_scheduling 0
		.amdhsa_exception_fp_ieee_invalid_op 0
		.amdhsa_exception_fp_denorm_src 0
		.amdhsa_exception_fp_ieee_div_zero 0
		.amdhsa_exception_fp_ieee_overflow 0
		.amdhsa_exception_fp_ieee_underflow 0
		.amdhsa_exception_fp_ieee_inexact 0
		.amdhsa_exception_int_div_zero 0
	.end_amdhsa_kernel
	.section	.text._ZN7rocprim17ROCPRIM_400000_NS6detail17trampoline_kernelINS0_14default_configENS1_25partition_config_selectorILNS1_17partition_subalgoE6EN6thrust23THRUST_200600_302600_NS5tupleIxxNS7_9null_typeES9_S9_S9_S9_S9_S9_S9_EENS0_10empty_typeEbEEZZNS1_14partition_implILS5_6ELb0ES3_mNS7_12zip_iteratorINS8_INS7_6detail15normal_iteratorINS7_10device_ptrIxEEEESJ_S9_S9_S9_S9_S9_S9_S9_S9_EEEEPSB_SM_NS0_5tupleIJNSE_INS8_ISJ_NS7_16discard_iteratorINS7_11use_defaultEEES9_S9_S9_S9_S9_S9_S9_S9_EEEESB_EEENSN_IJSM_SM_EEESB_PlJNSF_9not_fun_tINSF_14equal_to_valueISA_EEEEEEE10hipError_tPvRmT3_T4_T5_T6_T7_T9_mT8_P12ihipStream_tbDpT10_ENKUlT_T0_E_clISt17integral_constantIbLb1EES1J_EEDaS1E_S1F_EUlS1E_E_NS1_11comp_targetILNS1_3genE5ELNS1_11target_archE942ELNS1_3gpuE9ELNS1_3repE0EEENS1_30default_config_static_selectorELNS0_4arch9wavefront6targetE0EEEvT1_,"axG",@progbits,_ZN7rocprim17ROCPRIM_400000_NS6detail17trampoline_kernelINS0_14default_configENS1_25partition_config_selectorILNS1_17partition_subalgoE6EN6thrust23THRUST_200600_302600_NS5tupleIxxNS7_9null_typeES9_S9_S9_S9_S9_S9_S9_EENS0_10empty_typeEbEEZZNS1_14partition_implILS5_6ELb0ES3_mNS7_12zip_iteratorINS8_INS7_6detail15normal_iteratorINS7_10device_ptrIxEEEESJ_S9_S9_S9_S9_S9_S9_S9_S9_EEEEPSB_SM_NS0_5tupleIJNSE_INS8_ISJ_NS7_16discard_iteratorINS7_11use_defaultEEES9_S9_S9_S9_S9_S9_S9_S9_EEEESB_EEENSN_IJSM_SM_EEESB_PlJNSF_9not_fun_tINSF_14equal_to_valueISA_EEEEEEE10hipError_tPvRmT3_T4_T5_T6_T7_T9_mT8_P12ihipStream_tbDpT10_ENKUlT_T0_E_clISt17integral_constantIbLb1EES1J_EEDaS1E_S1F_EUlS1E_E_NS1_11comp_targetILNS1_3genE5ELNS1_11target_archE942ELNS1_3gpuE9ELNS1_3repE0EEENS1_30default_config_static_selectorELNS0_4arch9wavefront6targetE0EEEvT1_,comdat
.Lfunc_end1990:
	.size	_ZN7rocprim17ROCPRIM_400000_NS6detail17trampoline_kernelINS0_14default_configENS1_25partition_config_selectorILNS1_17partition_subalgoE6EN6thrust23THRUST_200600_302600_NS5tupleIxxNS7_9null_typeES9_S9_S9_S9_S9_S9_S9_EENS0_10empty_typeEbEEZZNS1_14partition_implILS5_6ELb0ES3_mNS7_12zip_iteratorINS8_INS7_6detail15normal_iteratorINS7_10device_ptrIxEEEESJ_S9_S9_S9_S9_S9_S9_S9_S9_EEEEPSB_SM_NS0_5tupleIJNSE_INS8_ISJ_NS7_16discard_iteratorINS7_11use_defaultEEES9_S9_S9_S9_S9_S9_S9_S9_EEEESB_EEENSN_IJSM_SM_EEESB_PlJNSF_9not_fun_tINSF_14equal_to_valueISA_EEEEEEE10hipError_tPvRmT3_T4_T5_T6_T7_T9_mT8_P12ihipStream_tbDpT10_ENKUlT_T0_E_clISt17integral_constantIbLb1EES1J_EEDaS1E_S1F_EUlS1E_E_NS1_11comp_targetILNS1_3genE5ELNS1_11target_archE942ELNS1_3gpuE9ELNS1_3repE0EEENS1_30default_config_static_selectorELNS0_4arch9wavefront6targetE0EEEvT1_, .Lfunc_end1990-_ZN7rocprim17ROCPRIM_400000_NS6detail17trampoline_kernelINS0_14default_configENS1_25partition_config_selectorILNS1_17partition_subalgoE6EN6thrust23THRUST_200600_302600_NS5tupleIxxNS7_9null_typeES9_S9_S9_S9_S9_S9_S9_EENS0_10empty_typeEbEEZZNS1_14partition_implILS5_6ELb0ES3_mNS7_12zip_iteratorINS8_INS7_6detail15normal_iteratorINS7_10device_ptrIxEEEESJ_S9_S9_S9_S9_S9_S9_S9_S9_EEEEPSB_SM_NS0_5tupleIJNSE_INS8_ISJ_NS7_16discard_iteratorINS7_11use_defaultEEES9_S9_S9_S9_S9_S9_S9_S9_EEEESB_EEENSN_IJSM_SM_EEESB_PlJNSF_9not_fun_tINSF_14equal_to_valueISA_EEEEEEE10hipError_tPvRmT3_T4_T5_T6_T7_T9_mT8_P12ihipStream_tbDpT10_ENKUlT_T0_E_clISt17integral_constantIbLb1EES1J_EEDaS1E_S1F_EUlS1E_E_NS1_11comp_targetILNS1_3genE5ELNS1_11target_archE942ELNS1_3gpuE9ELNS1_3repE0EEENS1_30default_config_static_selectorELNS0_4arch9wavefront6targetE0EEEvT1_
                                        ; -- End function
	.set _ZN7rocprim17ROCPRIM_400000_NS6detail17trampoline_kernelINS0_14default_configENS1_25partition_config_selectorILNS1_17partition_subalgoE6EN6thrust23THRUST_200600_302600_NS5tupleIxxNS7_9null_typeES9_S9_S9_S9_S9_S9_S9_EENS0_10empty_typeEbEEZZNS1_14partition_implILS5_6ELb0ES3_mNS7_12zip_iteratorINS8_INS7_6detail15normal_iteratorINS7_10device_ptrIxEEEESJ_S9_S9_S9_S9_S9_S9_S9_S9_EEEEPSB_SM_NS0_5tupleIJNSE_INS8_ISJ_NS7_16discard_iteratorINS7_11use_defaultEEES9_S9_S9_S9_S9_S9_S9_S9_EEEESB_EEENSN_IJSM_SM_EEESB_PlJNSF_9not_fun_tINSF_14equal_to_valueISA_EEEEEEE10hipError_tPvRmT3_T4_T5_T6_T7_T9_mT8_P12ihipStream_tbDpT10_ENKUlT_T0_E_clISt17integral_constantIbLb1EES1J_EEDaS1E_S1F_EUlS1E_E_NS1_11comp_targetILNS1_3genE5ELNS1_11target_archE942ELNS1_3gpuE9ELNS1_3repE0EEENS1_30default_config_static_selectorELNS0_4arch9wavefront6targetE0EEEvT1_.num_vgpr, 0
	.set _ZN7rocprim17ROCPRIM_400000_NS6detail17trampoline_kernelINS0_14default_configENS1_25partition_config_selectorILNS1_17partition_subalgoE6EN6thrust23THRUST_200600_302600_NS5tupleIxxNS7_9null_typeES9_S9_S9_S9_S9_S9_S9_EENS0_10empty_typeEbEEZZNS1_14partition_implILS5_6ELb0ES3_mNS7_12zip_iteratorINS8_INS7_6detail15normal_iteratorINS7_10device_ptrIxEEEESJ_S9_S9_S9_S9_S9_S9_S9_S9_EEEEPSB_SM_NS0_5tupleIJNSE_INS8_ISJ_NS7_16discard_iteratorINS7_11use_defaultEEES9_S9_S9_S9_S9_S9_S9_S9_EEEESB_EEENSN_IJSM_SM_EEESB_PlJNSF_9not_fun_tINSF_14equal_to_valueISA_EEEEEEE10hipError_tPvRmT3_T4_T5_T6_T7_T9_mT8_P12ihipStream_tbDpT10_ENKUlT_T0_E_clISt17integral_constantIbLb1EES1J_EEDaS1E_S1F_EUlS1E_E_NS1_11comp_targetILNS1_3genE5ELNS1_11target_archE942ELNS1_3gpuE9ELNS1_3repE0EEENS1_30default_config_static_selectorELNS0_4arch9wavefront6targetE0EEEvT1_.num_agpr, 0
	.set _ZN7rocprim17ROCPRIM_400000_NS6detail17trampoline_kernelINS0_14default_configENS1_25partition_config_selectorILNS1_17partition_subalgoE6EN6thrust23THRUST_200600_302600_NS5tupleIxxNS7_9null_typeES9_S9_S9_S9_S9_S9_S9_EENS0_10empty_typeEbEEZZNS1_14partition_implILS5_6ELb0ES3_mNS7_12zip_iteratorINS8_INS7_6detail15normal_iteratorINS7_10device_ptrIxEEEESJ_S9_S9_S9_S9_S9_S9_S9_S9_EEEEPSB_SM_NS0_5tupleIJNSE_INS8_ISJ_NS7_16discard_iteratorINS7_11use_defaultEEES9_S9_S9_S9_S9_S9_S9_S9_EEEESB_EEENSN_IJSM_SM_EEESB_PlJNSF_9not_fun_tINSF_14equal_to_valueISA_EEEEEEE10hipError_tPvRmT3_T4_T5_T6_T7_T9_mT8_P12ihipStream_tbDpT10_ENKUlT_T0_E_clISt17integral_constantIbLb1EES1J_EEDaS1E_S1F_EUlS1E_E_NS1_11comp_targetILNS1_3genE5ELNS1_11target_archE942ELNS1_3gpuE9ELNS1_3repE0EEENS1_30default_config_static_selectorELNS0_4arch9wavefront6targetE0EEEvT1_.numbered_sgpr, 0
	.set _ZN7rocprim17ROCPRIM_400000_NS6detail17trampoline_kernelINS0_14default_configENS1_25partition_config_selectorILNS1_17partition_subalgoE6EN6thrust23THRUST_200600_302600_NS5tupleIxxNS7_9null_typeES9_S9_S9_S9_S9_S9_S9_EENS0_10empty_typeEbEEZZNS1_14partition_implILS5_6ELb0ES3_mNS7_12zip_iteratorINS8_INS7_6detail15normal_iteratorINS7_10device_ptrIxEEEESJ_S9_S9_S9_S9_S9_S9_S9_S9_EEEEPSB_SM_NS0_5tupleIJNSE_INS8_ISJ_NS7_16discard_iteratorINS7_11use_defaultEEES9_S9_S9_S9_S9_S9_S9_S9_EEEESB_EEENSN_IJSM_SM_EEESB_PlJNSF_9not_fun_tINSF_14equal_to_valueISA_EEEEEEE10hipError_tPvRmT3_T4_T5_T6_T7_T9_mT8_P12ihipStream_tbDpT10_ENKUlT_T0_E_clISt17integral_constantIbLb1EES1J_EEDaS1E_S1F_EUlS1E_E_NS1_11comp_targetILNS1_3genE5ELNS1_11target_archE942ELNS1_3gpuE9ELNS1_3repE0EEENS1_30default_config_static_selectorELNS0_4arch9wavefront6targetE0EEEvT1_.num_named_barrier, 0
	.set _ZN7rocprim17ROCPRIM_400000_NS6detail17trampoline_kernelINS0_14default_configENS1_25partition_config_selectorILNS1_17partition_subalgoE6EN6thrust23THRUST_200600_302600_NS5tupleIxxNS7_9null_typeES9_S9_S9_S9_S9_S9_S9_EENS0_10empty_typeEbEEZZNS1_14partition_implILS5_6ELb0ES3_mNS7_12zip_iteratorINS8_INS7_6detail15normal_iteratorINS7_10device_ptrIxEEEESJ_S9_S9_S9_S9_S9_S9_S9_S9_EEEEPSB_SM_NS0_5tupleIJNSE_INS8_ISJ_NS7_16discard_iteratorINS7_11use_defaultEEES9_S9_S9_S9_S9_S9_S9_S9_EEEESB_EEENSN_IJSM_SM_EEESB_PlJNSF_9not_fun_tINSF_14equal_to_valueISA_EEEEEEE10hipError_tPvRmT3_T4_T5_T6_T7_T9_mT8_P12ihipStream_tbDpT10_ENKUlT_T0_E_clISt17integral_constantIbLb1EES1J_EEDaS1E_S1F_EUlS1E_E_NS1_11comp_targetILNS1_3genE5ELNS1_11target_archE942ELNS1_3gpuE9ELNS1_3repE0EEENS1_30default_config_static_selectorELNS0_4arch9wavefront6targetE0EEEvT1_.private_seg_size, 0
	.set _ZN7rocprim17ROCPRIM_400000_NS6detail17trampoline_kernelINS0_14default_configENS1_25partition_config_selectorILNS1_17partition_subalgoE6EN6thrust23THRUST_200600_302600_NS5tupleIxxNS7_9null_typeES9_S9_S9_S9_S9_S9_S9_EENS0_10empty_typeEbEEZZNS1_14partition_implILS5_6ELb0ES3_mNS7_12zip_iteratorINS8_INS7_6detail15normal_iteratorINS7_10device_ptrIxEEEESJ_S9_S9_S9_S9_S9_S9_S9_S9_EEEEPSB_SM_NS0_5tupleIJNSE_INS8_ISJ_NS7_16discard_iteratorINS7_11use_defaultEEES9_S9_S9_S9_S9_S9_S9_S9_EEEESB_EEENSN_IJSM_SM_EEESB_PlJNSF_9not_fun_tINSF_14equal_to_valueISA_EEEEEEE10hipError_tPvRmT3_T4_T5_T6_T7_T9_mT8_P12ihipStream_tbDpT10_ENKUlT_T0_E_clISt17integral_constantIbLb1EES1J_EEDaS1E_S1F_EUlS1E_E_NS1_11comp_targetILNS1_3genE5ELNS1_11target_archE942ELNS1_3gpuE9ELNS1_3repE0EEENS1_30default_config_static_selectorELNS0_4arch9wavefront6targetE0EEEvT1_.uses_vcc, 0
	.set _ZN7rocprim17ROCPRIM_400000_NS6detail17trampoline_kernelINS0_14default_configENS1_25partition_config_selectorILNS1_17partition_subalgoE6EN6thrust23THRUST_200600_302600_NS5tupleIxxNS7_9null_typeES9_S9_S9_S9_S9_S9_S9_EENS0_10empty_typeEbEEZZNS1_14partition_implILS5_6ELb0ES3_mNS7_12zip_iteratorINS8_INS7_6detail15normal_iteratorINS7_10device_ptrIxEEEESJ_S9_S9_S9_S9_S9_S9_S9_S9_EEEEPSB_SM_NS0_5tupleIJNSE_INS8_ISJ_NS7_16discard_iteratorINS7_11use_defaultEEES9_S9_S9_S9_S9_S9_S9_S9_EEEESB_EEENSN_IJSM_SM_EEESB_PlJNSF_9not_fun_tINSF_14equal_to_valueISA_EEEEEEE10hipError_tPvRmT3_T4_T5_T6_T7_T9_mT8_P12ihipStream_tbDpT10_ENKUlT_T0_E_clISt17integral_constantIbLb1EES1J_EEDaS1E_S1F_EUlS1E_E_NS1_11comp_targetILNS1_3genE5ELNS1_11target_archE942ELNS1_3gpuE9ELNS1_3repE0EEENS1_30default_config_static_selectorELNS0_4arch9wavefront6targetE0EEEvT1_.uses_flat_scratch, 0
	.set _ZN7rocprim17ROCPRIM_400000_NS6detail17trampoline_kernelINS0_14default_configENS1_25partition_config_selectorILNS1_17partition_subalgoE6EN6thrust23THRUST_200600_302600_NS5tupleIxxNS7_9null_typeES9_S9_S9_S9_S9_S9_S9_EENS0_10empty_typeEbEEZZNS1_14partition_implILS5_6ELb0ES3_mNS7_12zip_iteratorINS8_INS7_6detail15normal_iteratorINS7_10device_ptrIxEEEESJ_S9_S9_S9_S9_S9_S9_S9_S9_EEEEPSB_SM_NS0_5tupleIJNSE_INS8_ISJ_NS7_16discard_iteratorINS7_11use_defaultEEES9_S9_S9_S9_S9_S9_S9_S9_EEEESB_EEENSN_IJSM_SM_EEESB_PlJNSF_9not_fun_tINSF_14equal_to_valueISA_EEEEEEE10hipError_tPvRmT3_T4_T5_T6_T7_T9_mT8_P12ihipStream_tbDpT10_ENKUlT_T0_E_clISt17integral_constantIbLb1EES1J_EEDaS1E_S1F_EUlS1E_E_NS1_11comp_targetILNS1_3genE5ELNS1_11target_archE942ELNS1_3gpuE9ELNS1_3repE0EEENS1_30default_config_static_selectorELNS0_4arch9wavefront6targetE0EEEvT1_.has_dyn_sized_stack, 0
	.set _ZN7rocprim17ROCPRIM_400000_NS6detail17trampoline_kernelINS0_14default_configENS1_25partition_config_selectorILNS1_17partition_subalgoE6EN6thrust23THRUST_200600_302600_NS5tupleIxxNS7_9null_typeES9_S9_S9_S9_S9_S9_S9_EENS0_10empty_typeEbEEZZNS1_14partition_implILS5_6ELb0ES3_mNS7_12zip_iteratorINS8_INS7_6detail15normal_iteratorINS7_10device_ptrIxEEEESJ_S9_S9_S9_S9_S9_S9_S9_S9_EEEEPSB_SM_NS0_5tupleIJNSE_INS8_ISJ_NS7_16discard_iteratorINS7_11use_defaultEEES9_S9_S9_S9_S9_S9_S9_S9_EEEESB_EEENSN_IJSM_SM_EEESB_PlJNSF_9not_fun_tINSF_14equal_to_valueISA_EEEEEEE10hipError_tPvRmT3_T4_T5_T6_T7_T9_mT8_P12ihipStream_tbDpT10_ENKUlT_T0_E_clISt17integral_constantIbLb1EES1J_EEDaS1E_S1F_EUlS1E_E_NS1_11comp_targetILNS1_3genE5ELNS1_11target_archE942ELNS1_3gpuE9ELNS1_3repE0EEENS1_30default_config_static_selectorELNS0_4arch9wavefront6targetE0EEEvT1_.has_recursion, 0
	.set _ZN7rocprim17ROCPRIM_400000_NS6detail17trampoline_kernelINS0_14default_configENS1_25partition_config_selectorILNS1_17partition_subalgoE6EN6thrust23THRUST_200600_302600_NS5tupleIxxNS7_9null_typeES9_S9_S9_S9_S9_S9_S9_EENS0_10empty_typeEbEEZZNS1_14partition_implILS5_6ELb0ES3_mNS7_12zip_iteratorINS8_INS7_6detail15normal_iteratorINS7_10device_ptrIxEEEESJ_S9_S9_S9_S9_S9_S9_S9_S9_EEEEPSB_SM_NS0_5tupleIJNSE_INS8_ISJ_NS7_16discard_iteratorINS7_11use_defaultEEES9_S9_S9_S9_S9_S9_S9_S9_EEEESB_EEENSN_IJSM_SM_EEESB_PlJNSF_9not_fun_tINSF_14equal_to_valueISA_EEEEEEE10hipError_tPvRmT3_T4_T5_T6_T7_T9_mT8_P12ihipStream_tbDpT10_ENKUlT_T0_E_clISt17integral_constantIbLb1EES1J_EEDaS1E_S1F_EUlS1E_E_NS1_11comp_targetILNS1_3genE5ELNS1_11target_archE942ELNS1_3gpuE9ELNS1_3repE0EEENS1_30default_config_static_selectorELNS0_4arch9wavefront6targetE0EEEvT1_.has_indirect_call, 0
	.section	.AMDGPU.csdata,"",@progbits
; Kernel info:
; codeLenInByte = 0
; TotalNumSgprs: 0
; NumVgprs: 0
; ScratchSize: 0
; MemoryBound: 0
; FloatMode: 240
; IeeeMode: 1
; LDSByteSize: 0 bytes/workgroup (compile time only)
; SGPRBlocks: 0
; VGPRBlocks: 0
; NumSGPRsForWavesPerEU: 1
; NumVGPRsForWavesPerEU: 1
; Occupancy: 16
; WaveLimiterHint : 0
; COMPUTE_PGM_RSRC2:SCRATCH_EN: 0
; COMPUTE_PGM_RSRC2:USER_SGPR: 2
; COMPUTE_PGM_RSRC2:TRAP_HANDLER: 0
; COMPUTE_PGM_RSRC2:TGID_X_EN: 1
; COMPUTE_PGM_RSRC2:TGID_Y_EN: 0
; COMPUTE_PGM_RSRC2:TGID_Z_EN: 0
; COMPUTE_PGM_RSRC2:TIDIG_COMP_CNT: 0
	.section	.text._ZN7rocprim17ROCPRIM_400000_NS6detail17trampoline_kernelINS0_14default_configENS1_25partition_config_selectorILNS1_17partition_subalgoE6EN6thrust23THRUST_200600_302600_NS5tupleIxxNS7_9null_typeES9_S9_S9_S9_S9_S9_S9_EENS0_10empty_typeEbEEZZNS1_14partition_implILS5_6ELb0ES3_mNS7_12zip_iteratorINS8_INS7_6detail15normal_iteratorINS7_10device_ptrIxEEEESJ_S9_S9_S9_S9_S9_S9_S9_S9_EEEEPSB_SM_NS0_5tupleIJNSE_INS8_ISJ_NS7_16discard_iteratorINS7_11use_defaultEEES9_S9_S9_S9_S9_S9_S9_S9_EEEESB_EEENSN_IJSM_SM_EEESB_PlJNSF_9not_fun_tINSF_14equal_to_valueISA_EEEEEEE10hipError_tPvRmT3_T4_T5_T6_T7_T9_mT8_P12ihipStream_tbDpT10_ENKUlT_T0_E_clISt17integral_constantIbLb1EES1J_EEDaS1E_S1F_EUlS1E_E_NS1_11comp_targetILNS1_3genE4ELNS1_11target_archE910ELNS1_3gpuE8ELNS1_3repE0EEENS1_30default_config_static_selectorELNS0_4arch9wavefront6targetE0EEEvT1_,"axG",@progbits,_ZN7rocprim17ROCPRIM_400000_NS6detail17trampoline_kernelINS0_14default_configENS1_25partition_config_selectorILNS1_17partition_subalgoE6EN6thrust23THRUST_200600_302600_NS5tupleIxxNS7_9null_typeES9_S9_S9_S9_S9_S9_S9_EENS0_10empty_typeEbEEZZNS1_14partition_implILS5_6ELb0ES3_mNS7_12zip_iteratorINS8_INS7_6detail15normal_iteratorINS7_10device_ptrIxEEEESJ_S9_S9_S9_S9_S9_S9_S9_S9_EEEEPSB_SM_NS0_5tupleIJNSE_INS8_ISJ_NS7_16discard_iteratorINS7_11use_defaultEEES9_S9_S9_S9_S9_S9_S9_S9_EEEESB_EEENSN_IJSM_SM_EEESB_PlJNSF_9not_fun_tINSF_14equal_to_valueISA_EEEEEEE10hipError_tPvRmT3_T4_T5_T6_T7_T9_mT8_P12ihipStream_tbDpT10_ENKUlT_T0_E_clISt17integral_constantIbLb1EES1J_EEDaS1E_S1F_EUlS1E_E_NS1_11comp_targetILNS1_3genE4ELNS1_11target_archE910ELNS1_3gpuE8ELNS1_3repE0EEENS1_30default_config_static_selectorELNS0_4arch9wavefront6targetE0EEEvT1_,comdat
	.protected	_ZN7rocprim17ROCPRIM_400000_NS6detail17trampoline_kernelINS0_14default_configENS1_25partition_config_selectorILNS1_17partition_subalgoE6EN6thrust23THRUST_200600_302600_NS5tupleIxxNS7_9null_typeES9_S9_S9_S9_S9_S9_S9_EENS0_10empty_typeEbEEZZNS1_14partition_implILS5_6ELb0ES3_mNS7_12zip_iteratorINS8_INS7_6detail15normal_iteratorINS7_10device_ptrIxEEEESJ_S9_S9_S9_S9_S9_S9_S9_S9_EEEEPSB_SM_NS0_5tupleIJNSE_INS8_ISJ_NS7_16discard_iteratorINS7_11use_defaultEEES9_S9_S9_S9_S9_S9_S9_S9_EEEESB_EEENSN_IJSM_SM_EEESB_PlJNSF_9not_fun_tINSF_14equal_to_valueISA_EEEEEEE10hipError_tPvRmT3_T4_T5_T6_T7_T9_mT8_P12ihipStream_tbDpT10_ENKUlT_T0_E_clISt17integral_constantIbLb1EES1J_EEDaS1E_S1F_EUlS1E_E_NS1_11comp_targetILNS1_3genE4ELNS1_11target_archE910ELNS1_3gpuE8ELNS1_3repE0EEENS1_30default_config_static_selectorELNS0_4arch9wavefront6targetE0EEEvT1_ ; -- Begin function _ZN7rocprim17ROCPRIM_400000_NS6detail17trampoline_kernelINS0_14default_configENS1_25partition_config_selectorILNS1_17partition_subalgoE6EN6thrust23THRUST_200600_302600_NS5tupleIxxNS7_9null_typeES9_S9_S9_S9_S9_S9_S9_EENS0_10empty_typeEbEEZZNS1_14partition_implILS5_6ELb0ES3_mNS7_12zip_iteratorINS8_INS7_6detail15normal_iteratorINS7_10device_ptrIxEEEESJ_S9_S9_S9_S9_S9_S9_S9_S9_EEEEPSB_SM_NS0_5tupleIJNSE_INS8_ISJ_NS7_16discard_iteratorINS7_11use_defaultEEES9_S9_S9_S9_S9_S9_S9_S9_EEEESB_EEENSN_IJSM_SM_EEESB_PlJNSF_9not_fun_tINSF_14equal_to_valueISA_EEEEEEE10hipError_tPvRmT3_T4_T5_T6_T7_T9_mT8_P12ihipStream_tbDpT10_ENKUlT_T0_E_clISt17integral_constantIbLb1EES1J_EEDaS1E_S1F_EUlS1E_E_NS1_11comp_targetILNS1_3genE4ELNS1_11target_archE910ELNS1_3gpuE8ELNS1_3repE0EEENS1_30default_config_static_selectorELNS0_4arch9wavefront6targetE0EEEvT1_
	.globl	_ZN7rocprim17ROCPRIM_400000_NS6detail17trampoline_kernelINS0_14default_configENS1_25partition_config_selectorILNS1_17partition_subalgoE6EN6thrust23THRUST_200600_302600_NS5tupleIxxNS7_9null_typeES9_S9_S9_S9_S9_S9_S9_EENS0_10empty_typeEbEEZZNS1_14partition_implILS5_6ELb0ES3_mNS7_12zip_iteratorINS8_INS7_6detail15normal_iteratorINS7_10device_ptrIxEEEESJ_S9_S9_S9_S9_S9_S9_S9_S9_EEEEPSB_SM_NS0_5tupleIJNSE_INS8_ISJ_NS7_16discard_iteratorINS7_11use_defaultEEES9_S9_S9_S9_S9_S9_S9_S9_EEEESB_EEENSN_IJSM_SM_EEESB_PlJNSF_9not_fun_tINSF_14equal_to_valueISA_EEEEEEE10hipError_tPvRmT3_T4_T5_T6_T7_T9_mT8_P12ihipStream_tbDpT10_ENKUlT_T0_E_clISt17integral_constantIbLb1EES1J_EEDaS1E_S1F_EUlS1E_E_NS1_11comp_targetILNS1_3genE4ELNS1_11target_archE910ELNS1_3gpuE8ELNS1_3repE0EEENS1_30default_config_static_selectorELNS0_4arch9wavefront6targetE0EEEvT1_
	.p2align	8
	.type	_ZN7rocprim17ROCPRIM_400000_NS6detail17trampoline_kernelINS0_14default_configENS1_25partition_config_selectorILNS1_17partition_subalgoE6EN6thrust23THRUST_200600_302600_NS5tupleIxxNS7_9null_typeES9_S9_S9_S9_S9_S9_S9_EENS0_10empty_typeEbEEZZNS1_14partition_implILS5_6ELb0ES3_mNS7_12zip_iteratorINS8_INS7_6detail15normal_iteratorINS7_10device_ptrIxEEEESJ_S9_S9_S9_S9_S9_S9_S9_S9_EEEEPSB_SM_NS0_5tupleIJNSE_INS8_ISJ_NS7_16discard_iteratorINS7_11use_defaultEEES9_S9_S9_S9_S9_S9_S9_S9_EEEESB_EEENSN_IJSM_SM_EEESB_PlJNSF_9not_fun_tINSF_14equal_to_valueISA_EEEEEEE10hipError_tPvRmT3_T4_T5_T6_T7_T9_mT8_P12ihipStream_tbDpT10_ENKUlT_T0_E_clISt17integral_constantIbLb1EES1J_EEDaS1E_S1F_EUlS1E_E_NS1_11comp_targetILNS1_3genE4ELNS1_11target_archE910ELNS1_3gpuE8ELNS1_3repE0EEENS1_30default_config_static_selectorELNS0_4arch9wavefront6targetE0EEEvT1_,@function
_ZN7rocprim17ROCPRIM_400000_NS6detail17trampoline_kernelINS0_14default_configENS1_25partition_config_selectorILNS1_17partition_subalgoE6EN6thrust23THRUST_200600_302600_NS5tupleIxxNS7_9null_typeES9_S9_S9_S9_S9_S9_S9_EENS0_10empty_typeEbEEZZNS1_14partition_implILS5_6ELb0ES3_mNS7_12zip_iteratorINS8_INS7_6detail15normal_iteratorINS7_10device_ptrIxEEEESJ_S9_S9_S9_S9_S9_S9_S9_S9_EEEEPSB_SM_NS0_5tupleIJNSE_INS8_ISJ_NS7_16discard_iteratorINS7_11use_defaultEEES9_S9_S9_S9_S9_S9_S9_S9_EEEESB_EEENSN_IJSM_SM_EEESB_PlJNSF_9not_fun_tINSF_14equal_to_valueISA_EEEEEEE10hipError_tPvRmT3_T4_T5_T6_T7_T9_mT8_P12ihipStream_tbDpT10_ENKUlT_T0_E_clISt17integral_constantIbLb1EES1J_EEDaS1E_S1F_EUlS1E_E_NS1_11comp_targetILNS1_3genE4ELNS1_11target_archE910ELNS1_3gpuE8ELNS1_3repE0EEENS1_30default_config_static_selectorELNS0_4arch9wavefront6targetE0EEEvT1_: ; @_ZN7rocprim17ROCPRIM_400000_NS6detail17trampoline_kernelINS0_14default_configENS1_25partition_config_selectorILNS1_17partition_subalgoE6EN6thrust23THRUST_200600_302600_NS5tupleIxxNS7_9null_typeES9_S9_S9_S9_S9_S9_S9_EENS0_10empty_typeEbEEZZNS1_14partition_implILS5_6ELb0ES3_mNS7_12zip_iteratorINS8_INS7_6detail15normal_iteratorINS7_10device_ptrIxEEEESJ_S9_S9_S9_S9_S9_S9_S9_S9_EEEEPSB_SM_NS0_5tupleIJNSE_INS8_ISJ_NS7_16discard_iteratorINS7_11use_defaultEEES9_S9_S9_S9_S9_S9_S9_S9_EEEESB_EEENSN_IJSM_SM_EEESB_PlJNSF_9not_fun_tINSF_14equal_to_valueISA_EEEEEEE10hipError_tPvRmT3_T4_T5_T6_T7_T9_mT8_P12ihipStream_tbDpT10_ENKUlT_T0_E_clISt17integral_constantIbLb1EES1J_EEDaS1E_S1F_EUlS1E_E_NS1_11comp_targetILNS1_3genE4ELNS1_11target_archE910ELNS1_3gpuE8ELNS1_3repE0EEENS1_30default_config_static_selectorELNS0_4arch9wavefront6targetE0EEEvT1_
; %bb.0:
	.section	.rodata,"a",@progbits
	.p2align	6, 0x0
	.amdhsa_kernel _ZN7rocprim17ROCPRIM_400000_NS6detail17trampoline_kernelINS0_14default_configENS1_25partition_config_selectorILNS1_17partition_subalgoE6EN6thrust23THRUST_200600_302600_NS5tupleIxxNS7_9null_typeES9_S9_S9_S9_S9_S9_S9_EENS0_10empty_typeEbEEZZNS1_14partition_implILS5_6ELb0ES3_mNS7_12zip_iteratorINS8_INS7_6detail15normal_iteratorINS7_10device_ptrIxEEEESJ_S9_S9_S9_S9_S9_S9_S9_S9_EEEEPSB_SM_NS0_5tupleIJNSE_INS8_ISJ_NS7_16discard_iteratorINS7_11use_defaultEEES9_S9_S9_S9_S9_S9_S9_S9_EEEESB_EEENSN_IJSM_SM_EEESB_PlJNSF_9not_fun_tINSF_14equal_to_valueISA_EEEEEEE10hipError_tPvRmT3_T4_T5_T6_T7_T9_mT8_P12ihipStream_tbDpT10_ENKUlT_T0_E_clISt17integral_constantIbLb1EES1J_EEDaS1E_S1F_EUlS1E_E_NS1_11comp_targetILNS1_3genE4ELNS1_11target_archE910ELNS1_3gpuE8ELNS1_3repE0EEENS1_30default_config_static_selectorELNS0_4arch9wavefront6targetE0EEEvT1_
		.amdhsa_group_segment_fixed_size 0
		.amdhsa_private_segment_fixed_size 0
		.amdhsa_kernarg_size 160
		.amdhsa_user_sgpr_count 2
		.amdhsa_user_sgpr_dispatch_ptr 0
		.amdhsa_user_sgpr_queue_ptr 0
		.amdhsa_user_sgpr_kernarg_segment_ptr 1
		.amdhsa_user_sgpr_dispatch_id 0
		.amdhsa_user_sgpr_private_segment_size 0
		.amdhsa_wavefront_size32 1
		.amdhsa_uses_dynamic_stack 0
		.amdhsa_enable_private_segment 0
		.amdhsa_system_sgpr_workgroup_id_x 1
		.amdhsa_system_sgpr_workgroup_id_y 0
		.amdhsa_system_sgpr_workgroup_id_z 0
		.amdhsa_system_sgpr_workgroup_info 0
		.amdhsa_system_vgpr_workitem_id 0
		.amdhsa_next_free_vgpr 1
		.amdhsa_next_free_sgpr 1
		.amdhsa_reserve_vcc 0
		.amdhsa_float_round_mode_32 0
		.amdhsa_float_round_mode_16_64 0
		.amdhsa_float_denorm_mode_32 3
		.amdhsa_float_denorm_mode_16_64 3
		.amdhsa_fp16_overflow 0
		.amdhsa_workgroup_processor_mode 1
		.amdhsa_memory_ordered 1
		.amdhsa_forward_progress 1
		.amdhsa_inst_pref_size 0
		.amdhsa_round_robin_scheduling 0
		.amdhsa_exception_fp_ieee_invalid_op 0
		.amdhsa_exception_fp_denorm_src 0
		.amdhsa_exception_fp_ieee_div_zero 0
		.amdhsa_exception_fp_ieee_overflow 0
		.amdhsa_exception_fp_ieee_underflow 0
		.amdhsa_exception_fp_ieee_inexact 0
		.amdhsa_exception_int_div_zero 0
	.end_amdhsa_kernel
	.section	.text._ZN7rocprim17ROCPRIM_400000_NS6detail17trampoline_kernelINS0_14default_configENS1_25partition_config_selectorILNS1_17partition_subalgoE6EN6thrust23THRUST_200600_302600_NS5tupleIxxNS7_9null_typeES9_S9_S9_S9_S9_S9_S9_EENS0_10empty_typeEbEEZZNS1_14partition_implILS5_6ELb0ES3_mNS7_12zip_iteratorINS8_INS7_6detail15normal_iteratorINS7_10device_ptrIxEEEESJ_S9_S9_S9_S9_S9_S9_S9_S9_EEEEPSB_SM_NS0_5tupleIJNSE_INS8_ISJ_NS7_16discard_iteratorINS7_11use_defaultEEES9_S9_S9_S9_S9_S9_S9_S9_EEEESB_EEENSN_IJSM_SM_EEESB_PlJNSF_9not_fun_tINSF_14equal_to_valueISA_EEEEEEE10hipError_tPvRmT3_T4_T5_T6_T7_T9_mT8_P12ihipStream_tbDpT10_ENKUlT_T0_E_clISt17integral_constantIbLb1EES1J_EEDaS1E_S1F_EUlS1E_E_NS1_11comp_targetILNS1_3genE4ELNS1_11target_archE910ELNS1_3gpuE8ELNS1_3repE0EEENS1_30default_config_static_selectorELNS0_4arch9wavefront6targetE0EEEvT1_,"axG",@progbits,_ZN7rocprim17ROCPRIM_400000_NS6detail17trampoline_kernelINS0_14default_configENS1_25partition_config_selectorILNS1_17partition_subalgoE6EN6thrust23THRUST_200600_302600_NS5tupleIxxNS7_9null_typeES9_S9_S9_S9_S9_S9_S9_EENS0_10empty_typeEbEEZZNS1_14partition_implILS5_6ELb0ES3_mNS7_12zip_iteratorINS8_INS7_6detail15normal_iteratorINS7_10device_ptrIxEEEESJ_S9_S9_S9_S9_S9_S9_S9_S9_EEEEPSB_SM_NS0_5tupleIJNSE_INS8_ISJ_NS7_16discard_iteratorINS7_11use_defaultEEES9_S9_S9_S9_S9_S9_S9_S9_EEEESB_EEENSN_IJSM_SM_EEESB_PlJNSF_9not_fun_tINSF_14equal_to_valueISA_EEEEEEE10hipError_tPvRmT3_T4_T5_T6_T7_T9_mT8_P12ihipStream_tbDpT10_ENKUlT_T0_E_clISt17integral_constantIbLb1EES1J_EEDaS1E_S1F_EUlS1E_E_NS1_11comp_targetILNS1_3genE4ELNS1_11target_archE910ELNS1_3gpuE8ELNS1_3repE0EEENS1_30default_config_static_selectorELNS0_4arch9wavefront6targetE0EEEvT1_,comdat
.Lfunc_end1991:
	.size	_ZN7rocprim17ROCPRIM_400000_NS6detail17trampoline_kernelINS0_14default_configENS1_25partition_config_selectorILNS1_17partition_subalgoE6EN6thrust23THRUST_200600_302600_NS5tupleIxxNS7_9null_typeES9_S9_S9_S9_S9_S9_S9_EENS0_10empty_typeEbEEZZNS1_14partition_implILS5_6ELb0ES3_mNS7_12zip_iteratorINS8_INS7_6detail15normal_iteratorINS7_10device_ptrIxEEEESJ_S9_S9_S9_S9_S9_S9_S9_S9_EEEEPSB_SM_NS0_5tupleIJNSE_INS8_ISJ_NS7_16discard_iteratorINS7_11use_defaultEEES9_S9_S9_S9_S9_S9_S9_S9_EEEESB_EEENSN_IJSM_SM_EEESB_PlJNSF_9not_fun_tINSF_14equal_to_valueISA_EEEEEEE10hipError_tPvRmT3_T4_T5_T6_T7_T9_mT8_P12ihipStream_tbDpT10_ENKUlT_T0_E_clISt17integral_constantIbLb1EES1J_EEDaS1E_S1F_EUlS1E_E_NS1_11comp_targetILNS1_3genE4ELNS1_11target_archE910ELNS1_3gpuE8ELNS1_3repE0EEENS1_30default_config_static_selectorELNS0_4arch9wavefront6targetE0EEEvT1_, .Lfunc_end1991-_ZN7rocprim17ROCPRIM_400000_NS6detail17trampoline_kernelINS0_14default_configENS1_25partition_config_selectorILNS1_17partition_subalgoE6EN6thrust23THRUST_200600_302600_NS5tupleIxxNS7_9null_typeES9_S9_S9_S9_S9_S9_S9_EENS0_10empty_typeEbEEZZNS1_14partition_implILS5_6ELb0ES3_mNS7_12zip_iteratorINS8_INS7_6detail15normal_iteratorINS7_10device_ptrIxEEEESJ_S9_S9_S9_S9_S9_S9_S9_S9_EEEEPSB_SM_NS0_5tupleIJNSE_INS8_ISJ_NS7_16discard_iteratorINS7_11use_defaultEEES9_S9_S9_S9_S9_S9_S9_S9_EEEESB_EEENSN_IJSM_SM_EEESB_PlJNSF_9not_fun_tINSF_14equal_to_valueISA_EEEEEEE10hipError_tPvRmT3_T4_T5_T6_T7_T9_mT8_P12ihipStream_tbDpT10_ENKUlT_T0_E_clISt17integral_constantIbLb1EES1J_EEDaS1E_S1F_EUlS1E_E_NS1_11comp_targetILNS1_3genE4ELNS1_11target_archE910ELNS1_3gpuE8ELNS1_3repE0EEENS1_30default_config_static_selectorELNS0_4arch9wavefront6targetE0EEEvT1_
                                        ; -- End function
	.set _ZN7rocprim17ROCPRIM_400000_NS6detail17trampoline_kernelINS0_14default_configENS1_25partition_config_selectorILNS1_17partition_subalgoE6EN6thrust23THRUST_200600_302600_NS5tupleIxxNS7_9null_typeES9_S9_S9_S9_S9_S9_S9_EENS0_10empty_typeEbEEZZNS1_14partition_implILS5_6ELb0ES3_mNS7_12zip_iteratorINS8_INS7_6detail15normal_iteratorINS7_10device_ptrIxEEEESJ_S9_S9_S9_S9_S9_S9_S9_S9_EEEEPSB_SM_NS0_5tupleIJNSE_INS8_ISJ_NS7_16discard_iteratorINS7_11use_defaultEEES9_S9_S9_S9_S9_S9_S9_S9_EEEESB_EEENSN_IJSM_SM_EEESB_PlJNSF_9not_fun_tINSF_14equal_to_valueISA_EEEEEEE10hipError_tPvRmT3_T4_T5_T6_T7_T9_mT8_P12ihipStream_tbDpT10_ENKUlT_T0_E_clISt17integral_constantIbLb1EES1J_EEDaS1E_S1F_EUlS1E_E_NS1_11comp_targetILNS1_3genE4ELNS1_11target_archE910ELNS1_3gpuE8ELNS1_3repE0EEENS1_30default_config_static_selectorELNS0_4arch9wavefront6targetE0EEEvT1_.num_vgpr, 0
	.set _ZN7rocprim17ROCPRIM_400000_NS6detail17trampoline_kernelINS0_14default_configENS1_25partition_config_selectorILNS1_17partition_subalgoE6EN6thrust23THRUST_200600_302600_NS5tupleIxxNS7_9null_typeES9_S9_S9_S9_S9_S9_S9_EENS0_10empty_typeEbEEZZNS1_14partition_implILS5_6ELb0ES3_mNS7_12zip_iteratorINS8_INS7_6detail15normal_iteratorINS7_10device_ptrIxEEEESJ_S9_S9_S9_S9_S9_S9_S9_S9_EEEEPSB_SM_NS0_5tupleIJNSE_INS8_ISJ_NS7_16discard_iteratorINS7_11use_defaultEEES9_S9_S9_S9_S9_S9_S9_S9_EEEESB_EEENSN_IJSM_SM_EEESB_PlJNSF_9not_fun_tINSF_14equal_to_valueISA_EEEEEEE10hipError_tPvRmT3_T4_T5_T6_T7_T9_mT8_P12ihipStream_tbDpT10_ENKUlT_T0_E_clISt17integral_constantIbLb1EES1J_EEDaS1E_S1F_EUlS1E_E_NS1_11comp_targetILNS1_3genE4ELNS1_11target_archE910ELNS1_3gpuE8ELNS1_3repE0EEENS1_30default_config_static_selectorELNS0_4arch9wavefront6targetE0EEEvT1_.num_agpr, 0
	.set _ZN7rocprim17ROCPRIM_400000_NS6detail17trampoline_kernelINS0_14default_configENS1_25partition_config_selectorILNS1_17partition_subalgoE6EN6thrust23THRUST_200600_302600_NS5tupleIxxNS7_9null_typeES9_S9_S9_S9_S9_S9_S9_EENS0_10empty_typeEbEEZZNS1_14partition_implILS5_6ELb0ES3_mNS7_12zip_iteratorINS8_INS7_6detail15normal_iteratorINS7_10device_ptrIxEEEESJ_S9_S9_S9_S9_S9_S9_S9_S9_EEEEPSB_SM_NS0_5tupleIJNSE_INS8_ISJ_NS7_16discard_iteratorINS7_11use_defaultEEES9_S9_S9_S9_S9_S9_S9_S9_EEEESB_EEENSN_IJSM_SM_EEESB_PlJNSF_9not_fun_tINSF_14equal_to_valueISA_EEEEEEE10hipError_tPvRmT3_T4_T5_T6_T7_T9_mT8_P12ihipStream_tbDpT10_ENKUlT_T0_E_clISt17integral_constantIbLb1EES1J_EEDaS1E_S1F_EUlS1E_E_NS1_11comp_targetILNS1_3genE4ELNS1_11target_archE910ELNS1_3gpuE8ELNS1_3repE0EEENS1_30default_config_static_selectorELNS0_4arch9wavefront6targetE0EEEvT1_.numbered_sgpr, 0
	.set _ZN7rocprim17ROCPRIM_400000_NS6detail17trampoline_kernelINS0_14default_configENS1_25partition_config_selectorILNS1_17partition_subalgoE6EN6thrust23THRUST_200600_302600_NS5tupleIxxNS7_9null_typeES9_S9_S9_S9_S9_S9_S9_EENS0_10empty_typeEbEEZZNS1_14partition_implILS5_6ELb0ES3_mNS7_12zip_iteratorINS8_INS7_6detail15normal_iteratorINS7_10device_ptrIxEEEESJ_S9_S9_S9_S9_S9_S9_S9_S9_EEEEPSB_SM_NS0_5tupleIJNSE_INS8_ISJ_NS7_16discard_iteratorINS7_11use_defaultEEES9_S9_S9_S9_S9_S9_S9_S9_EEEESB_EEENSN_IJSM_SM_EEESB_PlJNSF_9not_fun_tINSF_14equal_to_valueISA_EEEEEEE10hipError_tPvRmT3_T4_T5_T6_T7_T9_mT8_P12ihipStream_tbDpT10_ENKUlT_T0_E_clISt17integral_constantIbLb1EES1J_EEDaS1E_S1F_EUlS1E_E_NS1_11comp_targetILNS1_3genE4ELNS1_11target_archE910ELNS1_3gpuE8ELNS1_3repE0EEENS1_30default_config_static_selectorELNS0_4arch9wavefront6targetE0EEEvT1_.num_named_barrier, 0
	.set _ZN7rocprim17ROCPRIM_400000_NS6detail17trampoline_kernelINS0_14default_configENS1_25partition_config_selectorILNS1_17partition_subalgoE6EN6thrust23THRUST_200600_302600_NS5tupleIxxNS7_9null_typeES9_S9_S9_S9_S9_S9_S9_EENS0_10empty_typeEbEEZZNS1_14partition_implILS5_6ELb0ES3_mNS7_12zip_iteratorINS8_INS7_6detail15normal_iteratorINS7_10device_ptrIxEEEESJ_S9_S9_S9_S9_S9_S9_S9_S9_EEEEPSB_SM_NS0_5tupleIJNSE_INS8_ISJ_NS7_16discard_iteratorINS7_11use_defaultEEES9_S9_S9_S9_S9_S9_S9_S9_EEEESB_EEENSN_IJSM_SM_EEESB_PlJNSF_9not_fun_tINSF_14equal_to_valueISA_EEEEEEE10hipError_tPvRmT3_T4_T5_T6_T7_T9_mT8_P12ihipStream_tbDpT10_ENKUlT_T0_E_clISt17integral_constantIbLb1EES1J_EEDaS1E_S1F_EUlS1E_E_NS1_11comp_targetILNS1_3genE4ELNS1_11target_archE910ELNS1_3gpuE8ELNS1_3repE0EEENS1_30default_config_static_selectorELNS0_4arch9wavefront6targetE0EEEvT1_.private_seg_size, 0
	.set _ZN7rocprim17ROCPRIM_400000_NS6detail17trampoline_kernelINS0_14default_configENS1_25partition_config_selectorILNS1_17partition_subalgoE6EN6thrust23THRUST_200600_302600_NS5tupleIxxNS7_9null_typeES9_S9_S9_S9_S9_S9_S9_EENS0_10empty_typeEbEEZZNS1_14partition_implILS5_6ELb0ES3_mNS7_12zip_iteratorINS8_INS7_6detail15normal_iteratorINS7_10device_ptrIxEEEESJ_S9_S9_S9_S9_S9_S9_S9_S9_EEEEPSB_SM_NS0_5tupleIJNSE_INS8_ISJ_NS7_16discard_iteratorINS7_11use_defaultEEES9_S9_S9_S9_S9_S9_S9_S9_EEEESB_EEENSN_IJSM_SM_EEESB_PlJNSF_9not_fun_tINSF_14equal_to_valueISA_EEEEEEE10hipError_tPvRmT3_T4_T5_T6_T7_T9_mT8_P12ihipStream_tbDpT10_ENKUlT_T0_E_clISt17integral_constantIbLb1EES1J_EEDaS1E_S1F_EUlS1E_E_NS1_11comp_targetILNS1_3genE4ELNS1_11target_archE910ELNS1_3gpuE8ELNS1_3repE0EEENS1_30default_config_static_selectorELNS0_4arch9wavefront6targetE0EEEvT1_.uses_vcc, 0
	.set _ZN7rocprim17ROCPRIM_400000_NS6detail17trampoline_kernelINS0_14default_configENS1_25partition_config_selectorILNS1_17partition_subalgoE6EN6thrust23THRUST_200600_302600_NS5tupleIxxNS7_9null_typeES9_S9_S9_S9_S9_S9_S9_EENS0_10empty_typeEbEEZZNS1_14partition_implILS5_6ELb0ES3_mNS7_12zip_iteratorINS8_INS7_6detail15normal_iteratorINS7_10device_ptrIxEEEESJ_S9_S9_S9_S9_S9_S9_S9_S9_EEEEPSB_SM_NS0_5tupleIJNSE_INS8_ISJ_NS7_16discard_iteratorINS7_11use_defaultEEES9_S9_S9_S9_S9_S9_S9_S9_EEEESB_EEENSN_IJSM_SM_EEESB_PlJNSF_9not_fun_tINSF_14equal_to_valueISA_EEEEEEE10hipError_tPvRmT3_T4_T5_T6_T7_T9_mT8_P12ihipStream_tbDpT10_ENKUlT_T0_E_clISt17integral_constantIbLb1EES1J_EEDaS1E_S1F_EUlS1E_E_NS1_11comp_targetILNS1_3genE4ELNS1_11target_archE910ELNS1_3gpuE8ELNS1_3repE0EEENS1_30default_config_static_selectorELNS0_4arch9wavefront6targetE0EEEvT1_.uses_flat_scratch, 0
	.set _ZN7rocprim17ROCPRIM_400000_NS6detail17trampoline_kernelINS0_14default_configENS1_25partition_config_selectorILNS1_17partition_subalgoE6EN6thrust23THRUST_200600_302600_NS5tupleIxxNS7_9null_typeES9_S9_S9_S9_S9_S9_S9_EENS0_10empty_typeEbEEZZNS1_14partition_implILS5_6ELb0ES3_mNS7_12zip_iteratorINS8_INS7_6detail15normal_iteratorINS7_10device_ptrIxEEEESJ_S9_S9_S9_S9_S9_S9_S9_S9_EEEEPSB_SM_NS0_5tupleIJNSE_INS8_ISJ_NS7_16discard_iteratorINS7_11use_defaultEEES9_S9_S9_S9_S9_S9_S9_S9_EEEESB_EEENSN_IJSM_SM_EEESB_PlJNSF_9not_fun_tINSF_14equal_to_valueISA_EEEEEEE10hipError_tPvRmT3_T4_T5_T6_T7_T9_mT8_P12ihipStream_tbDpT10_ENKUlT_T0_E_clISt17integral_constantIbLb1EES1J_EEDaS1E_S1F_EUlS1E_E_NS1_11comp_targetILNS1_3genE4ELNS1_11target_archE910ELNS1_3gpuE8ELNS1_3repE0EEENS1_30default_config_static_selectorELNS0_4arch9wavefront6targetE0EEEvT1_.has_dyn_sized_stack, 0
	.set _ZN7rocprim17ROCPRIM_400000_NS6detail17trampoline_kernelINS0_14default_configENS1_25partition_config_selectorILNS1_17partition_subalgoE6EN6thrust23THRUST_200600_302600_NS5tupleIxxNS7_9null_typeES9_S9_S9_S9_S9_S9_S9_EENS0_10empty_typeEbEEZZNS1_14partition_implILS5_6ELb0ES3_mNS7_12zip_iteratorINS8_INS7_6detail15normal_iteratorINS7_10device_ptrIxEEEESJ_S9_S9_S9_S9_S9_S9_S9_S9_EEEEPSB_SM_NS0_5tupleIJNSE_INS8_ISJ_NS7_16discard_iteratorINS7_11use_defaultEEES9_S9_S9_S9_S9_S9_S9_S9_EEEESB_EEENSN_IJSM_SM_EEESB_PlJNSF_9not_fun_tINSF_14equal_to_valueISA_EEEEEEE10hipError_tPvRmT3_T4_T5_T6_T7_T9_mT8_P12ihipStream_tbDpT10_ENKUlT_T0_E_clISt17integral_constantIbLb1EES1J_EEDaS1E_S1F_EUlS1E_E_NS1_11comp_targetILNS1_3genE4ELNS1_11target_archE910ELNS1_3gpuE8ELNS1_3repE0EEENS1_30default_config_static_selectorELNS0_4arch9wavefront6targetE0EEEvT1_.has_recursion, 0
	.set _ZN7rocprim17ROCPRIM_400000_NS6detail17trampoline_kernelINS0_14default_configENS1_25partition_config_selectorILNS1_17partition_subalgoE6EN6thrust23THRUST_200600_302600_NS5tupleIxxNS7_9null_typeES9_S9_S9_S9_S9_S9_S9_EENS0_10empty_typeEbEEZZNS1_14partition_implILS5_6ELb0ES3_mNS7_12zip_iteratorINS8_INS7_6detail15normal_iteratorINS7_10device_ptrIxEEEESJ_S9_S9_S9_S9_S9_S9_S9_S9_EEEEPSB_SM_NS0_5tupleIJNSE_INS8_ISJ_NS7_16discard_iteratorINS7_11use_defaultEEES9_S9_S9_S9_S9_S9_S9_S9_EEEESB_EEENSN_IJSM_SM_EEESB_PlJNSF_9not_fun_tINSF_14equal_to_valueISA_EEEEEEE10hipError_tPvRmT3_T4_T5_T6_T7_T9_mT8_P12ihipStream_tbDpT10_ENKUlT_T0_E_clISt17integral_constantIbLb1EES1J_EEDaS1E_S1F_EUlS1E_E_NS1_11comp_targetILNS1_3genE4ELNS1_11target_archE910ELNS1_3gpuE8ELNS1_3repE0EEENS1_30default_config_static_selectorELNS0_4arch9wavefront6targetE0EEEvT1_.has_indirect_call, 0
	.section	.AMDGPU.csdata,"",@progbits
; Kernel info:
; codeLenInByte = 0
; TotalNumSgprs: 0
; NumVgprs: 0
; ScratchSize: 0
; MemoryBound: 0
; FloatMode: 240
; IeeeMode: 1
; LDSByteSize: 0 bytes/workgroup (compile time only)
; SGPRBlocks: 0
; VGPRBlocks: 0
; NumSGPRsForWavesPerEU: 1
; NumVGPRsForWavesPerEU: 1
; Occupancy: 16
; WaveLimiterHint : 0
; COMPUTE_PGM_RSRC2:SCRATCH_EN: 0
; COMPUTE_PGM_RSRC2:USER_SGPR: 2
; COMPUTE_PGM_RSRC2:TRAP_HANDLER: 0
; COMPUTE_PGM_RSRC2:TGID_X_EN: 1
; COMPUTE_PGM_RSRC2:TGID_Y_EN: 0
; COMPUTE_PGM_RSRC2:TGID_Z_EN: 0
; COMPUTE_PGM_RSRC2:TIDIG_COMP_CNT: 0
	.section	.text._ZN7rocprim17ROCPRIM_400000_NS6detail17trampoline_kernelINS0_14default_configENS1_25partition_config_selectorILNS1_17partition_subalgoE6EN6thrust23THRUST_200600_302600_NS5tupleIxxNS7_9null_typeES9_S9_S9_S9_S9_S9_S9_EENS0_10empty_typeEbEEZZNS1_14partition_implILS5_6ELb0ES3_mNS7_12zip_iteratorINS8_INS7_6detail15normal_iteratorINS7_10device_ptrIxEEEESJ_S9_S9_S9_S9_S9_S9_S9_S9_EEEEPSB_SM_NS0_5tupleIJNSE_INS8_ISJ_NS7_16discard_iteratorINS7_11use_defaultEEES9_S9_S9_S9_S9_S9_S9_S9_EEEESB_EEENSN_IJSM_SM_EEESB_PlJNSF_9not_fun_tINSF_14equal_to_valueISA_EEEEEEE10hipError_tPvRmT3_T4_T5_T6_T7_T9_mT8_P12ihipStream_tbDpT10_ENKUlT_T0_E_clISt17integral_constantIbLb1EES1J_EEDaS1E_S1F_EUlS1E_E_NS1_11comp_targetILNS1_3genE3ELNS1_11target_archE908ELNS1_3gpuE7ELNS1_3repE0EEENS1_30default_config_static_selectorELNS0_4arch9wavefront6targetE0EEEvT1_,"axG",@progbits,_ZN7rocprim17ROCPRIM_400000_NS6detail17trampoline_kernelINS0_14default_configENS1_25partition_config_selectorILNS1_17partition_subalgoE6EN6thrust23THRUST_200600_302600_NS5tupleIxxNS7_9null_typeES9_S9_S9_S9_S9_S9_S9_EENS0_10empty_typeEbEEZZNS1_14partition_implILS5_6ELb0ES3_mNS7_12zip_iteratorINS8_INS7_6detail15normal_iteratorINS7_10device_ptrIxEEEESJ_S9_S9_S9_S9_S9_S9_S9_S9_EEEEPSB_SM_NS0_5tupleIJNSE_INS8_ISJ_NS7_16discard_iteratorINS7_11use_defaultEEES9_S9_S9_S9_S9_S9_S9_S9_EEEESB_EEENSN_IJSM_SM_EEESB_PlJNSF_9not_fun_tINSF_14equal_to_valueISA_EEEEEEE10hipError_tPvRmT3_T4_T5_T6_T7_T9_mT8_P12ihipStream_tbDpT10_ENKUlT_T0_E_clISt17integral_constantIbLb1EES1J_EEDaS1E_S1F_EUlS1E_E_NS1_11comp_targetILNS1_3genE3ELNS1_11target_archE908ELNS1_3gpuE7ELNS1_3repE0EEENS1_30default_config_static_selectorELNS0_4arch9wavefront6targetE0EEEvT1_,comdat
	.protected	_ZN7rocprim17ROCPRIM_400000_NS6detail17trampoline_kernelINS0_14default_configENS1_25partition_config_selectorILNS1_17partition_subalgoE6EN6thrust23THRUST_200600_302600_NS5tupleIxxNS7_9null_typeES9_S9_S9_S9_S9_S9_S9_EENS0_10empty_typeEbEEZZNS1_14partition_implILS5_6ELb0ES3_mNS7_12zip_iteratorINS8_INS7_6detail15normal_iteratorINS7_10device_ptrIxEEEESJ_S9_S9_S9_S9_S9_S9_S9_S9_EEEEPSB_SM_NS0_5tupleIJNSE_INS8_ISJ_NS7_16discard_iteratorINS7_11use_defaultEEES9_S9_S9_S9_S9_S9_S9_S9_EEEESB_EEENSN_IJSM_SM_EEESB_PlJNSF_9not_fun_tINSF_14equal_to_valueISA_EEEEEEE10hipError_tPvRmT3_T4_T5_T6_T7_T9_mT8_P12ihipStream_tbDpT10_ENKUlT_T0_E_clISt17integral_constantIbLb1EES1J_EEDaS1E_S1F_EUlS1E_E_NS1_11comp_targetILNS1_3genE3ELNS1_11target_archE908ELNS1_3gpuE7ELNS1_3repE0EEENS1_30default_config_static_selectorELNS0_4arch9wavefront6targetE0EEEvT1_ ; -- Begin function _ZN7rocprim17ROCPRIM_400000_NS6detail17trampoline_kernelINS0_14default_configENS1_25partition_config_selectorILNS1_17partition_subalgoE6EN6thrust23THRUST_200600_302600_NS5tupleIxxNS7_9null_typeES9_S9_S9_S9_S9_S9_S9_EENS0_10empty_typeEbEEZZNS1_14partition_implILS5_6ELb0ES3_mNS7_12zip_iteratorINS8_INS7_6detail15normal_iteratorINS7_10device_ptrIxEEEESJ_S9_S9_S9_S9_S9_S9_S9_S9_EEEEPSB_SM_NS0_5tupleIJNSE_INS8_ISJ_NS7_16discard_iteratorINS7_11use_defaultEEES9_S9_S9_S9_S9_S9_S9_S9_EEEESB_EEENSN_IJSM_SM_EEESB_PlJNSF_9not_fun_tINSF_14equal_to_valueISA_EEEEEEE10hipError_tPvRmT3_T4_T5_T6_T7_T9_mT8_P12ihipStream_tbDpT10_ENKUlT_T0_E_clISt17integral_constantIbLb1EES1J_EEDaS1E_S1F_EUlS1E_E_NS1_11comp_targetILNS1_3genE3ELNS1_11target_archE908ELNS1_3gpuE7ELNS1_3repE0EEENS1_30default_config_static_selectorELNS0_4arch9wavefront6targetE0EEEvT1_
	.globl	_ZN7rocprim17ROCPRIM_400000_NS6detail17trampoline_kernelINS0_14default_configENS1_25partition_config_selectorILNS1_17partition_subalgoE6EN6thrust23THRUST_200600_302600_NS5tupleIxxNS7_9null_typeES9_S9_S9_S9_S9_S9_S9_EENS0_10empty_typeEbEEZZNS1_14partition_implILS5_6ELb0ES3_mNS7_12zip_iteratorINS8_INS7_6detail15normal_iteratorINS7_10device_ptrIxEEEESJ_S9_S9_S9_S9_S9_S9_S9_S9_EEEEPSB_SM_NS0_5tupleIJNSE_INS8_ISJ_NS7_16discard_iteratorINS7_11use_defaultEEES9_S9_S9_S9_S9_S9_S9_S9_EEEESB_EEENSN_IJSM_SM_EEESB_PlJNSF_9not_fun_tINSF_14equal_to_valueISA_EEEEEEE10hipError_tPvRmT3_T4_T5_T6_T7_T9_mT8_P12ihipStream_tbDpT10_ENKUlT_T0_E_clISt17integral_constantIbLb1EES1J_EEDaS1E_S1F_EUlS1E_E_NS1_11comp_targetILNS1_3genE3ELNS1_11target_archE908ELNS1_3gpuE7ELNS1_3repE0EEENS1_30default_config_static_selectorELNS0_4arch9wavefront6targetE0EEEvT1_
	.p2align	8
	.type	_ZN7rocprim17ROCPRIM_400000_NS6detail17trampoline_kernelINS0_14default_configENS1_25partition_config_selectorILNS1_17partition_subalgoE6EN6thrust23THRUST_200600_302600_NS5tupleIxxNS7_9null_typeES9_S9_S9_S9_S9_S9_S9_EENS0_10empty_typeEbEEZZNS1_14partition_implILS5_6ELb0ES3_mNS7_12zip_iteratorINS8_INS7_6detail15normal_iteratorINS7_10device_ptrIxEEEESJ_S9_S9_S9_S9_S9_S9_S9_S9_EEEEPSB_SM_NS0_5tupleIJNSE_INS8_ISJ_NS7_16discard_iteratorINS7_11use_defaultEEES9_S9_S9_S9_S9_S9_S9_S9_EEEESB_EEENSN_IJSM_SM_EEESB_PlJNSF_9not_fun_tINSF_14equal_to_valueISA_EEEEEEE10hipError_tPvRmT3_T4_T5_T6_T7_T9_mT8_P12ihipStream_tbDpT10_ENKUlT_T0_E_clISt17integral_constantIbLb1EES1J_EEDaS1E_S1F_EUlS1E_E_NS1_11comp_targetILNS1_3genE3ELNS1_11target_archE908ELNS1_3gpuE7ELNS1_3repE0EEENS1_30default_config_static_selectorELNS0_4arch9wavefront6targetE0EEEvT1_,@function
_ZN7rocprim17ROCPRIM_400000_NS6detail17trampoline_kernelINS0_14default_configENS1_25partition_config_selectorILNS1_17partition_subalgoE6EN6thrust23THRUST_200600_302600_NS5tupleIxxNS7_9null_typeES9_S9_S9_S9_S9_S9_S9_EENS0_10empty_typeEbEEZZNS1_14partition_implILS5_6ELb0ES3_mNS7_12zip_iteratorINS8_INS7_6detail15normal_iteratorINS7_10device_ptrIxEEEESJ_S9_S9_S9_S9_S9_S9_S9_S9_EEEEPSB_SM_NS0_5tupleIJNSE_INS8_ISJ_NS7_16discard_iteratorINS7_11use_defaultEEES9_S9_S9_S9_S9_S9_S9_S9_EEEESB_EEENSN_IJSM_SM_EEESB_PlJNSF_9not_fun_tINSF_14equal_to_valueISA_EEEEEEE10hipError_tPvRmT3_T4_T5_T6_T7_T9_mT8_P12ihipStream_tbDpT10_ENKUlT_T0_E_clISt17integral_constantIbLb1EES1J_EEDaS1E_S1F_EUlS1E_E_NS1_11comp_targetILNS1_3genE3ELNS1_11target_archE908ELNS1_3gpuE7ELNS1_3repE0EEENS1_30default_config_static_selectorELNS0_4arch9wavefront6targetE0EEEvT1_: ; @_ZN7rocprim17ROCPRIM_400000_NS6detail17trampoline_kernelINS0_14default_configENS1_25partition_config_selectorILNS1_17partition_subalgoE6EN6thrust23THRUST_200600_302600_NS5tupleIxxNS7_9null_typeES9_S9_S9_S9_S9_S9_S9_EENS0_10empty_typeEbEEZZNS1_14partition_implILS5_6ELb0ES3_mNS7_12zip_iteratorINS8_INS7_6detail15normal_iteratorINS7_10device_ptrIxEEEESJ_S9_S9_S9_S9_S9_S9_S9_S9_EEEEPSB_SM_NS0_5tupleIJNSE_INS8_ISJ_NS7_16discard_iteratorINS7_11use_defaultEEES9_S9_S9_S9_S9_S9_S9_S9_EEEESB_EEENSN_IJSM_SM_EEESB_PlJNSF_9not_fun_tINSF_14equal_to_valueISA_EEEEEEE10hipError_tPvRmT3_T4_T5_T6_T7_T9_mT8_P12ihipStream_tbDpT10_ENKUlT_T0_E_clISt17integral_constantIbLb1EES1J_EEDaS1E_S1F_EUlS1E_E_NS1_11comp_targetILNS1_3genE3ELNS1_11target_archE908ELNS1_3gpuE7ELNS1_3repE0EEENS1_30default_config_static_selectorELNS0_4arch9wavefront6targetE0EEEvT1_
; %bb.0:
	.section	.rodata,"a",@progbits
	.p2align	6, 0x0
	.amdhsa_kernel _ZN7rocprim17ROCPRIM_400000_NS6detail17trampoline_kernelINS0_14default_configENS1_25partition_config_selectorILNS1_17partition_subalgoE6EN6thrust23THRUST_200600_302600_NS5tupleIxxNS7_9null_typeES9_S9_S9_S9_S9_S9_S9_EENS0_10empty_typeEbEEZZNS1_14partition_implILS5_6ELb0ES3_mNS7_12zip_iteratorINS8_INS7_6detail15normal_iteratorINS7_10device_ptrIxEEEESJ_S9_S9_S9_S9_S9_S9_S9_S9_EEEEPSB_SM_NS0_5tupleIJNSE_INS8_ISJ_NS7_16discard_iteratorINS7_11use_defaultEEES9_S9_S9_S9_S9_S9_S9_S9_EEEESB_EEENSN_IJSM_SM_EEESB_PlJNSF_9not_fun_tINSF_14equal_to_valueISA_EEEEEEE10hipError_tPvRmT3_T4_T5_T6_T7_T9_mT8_P12ihipStream_tbDpT10_ENKUlT_T0_E_clISt17integral_constantIbLb1EES1J_EEDaS1E_S1F_EUlS1E_E_NS1_11comp_targetILNS1_3genE3ELNS1_11target_archE908ELNS1_3gpuE7ELNS1_3repE0EEENS1_30default_config_static_selectorELNS0_4arch9wavefront6targetE0EEEvT1_
		.amdhsa_group_segment_fixed_size 0
		.amdhsa_private_segment_fixed_size 0
		.amdhsa_kernarg_size 160
		.amdhsa_user_sgpr_count 2
		.amdhsa_user_sgpr_dispatch_ptr 0
		.amdhsa_user_sgpr_queue_ptr 0
		.amdhsa_user_sgpr_kernarg_segment_ptr 1
		.amdhsa_user_sgpr_dispatch_id 0
		.amdhsa_user_sgpr_private_segment_size 0
		.amdhsa_wavefront_size32 1
		.amdhsa_uses_dynamic_stack 0
		.amdhsa_enable_private_segment 0
		.amdhsa_system_sgpr_workgroup_id_x 1
		.amdhsa_system_sgpr_workgroup_id_y 0
		.amdhsa_system_sgpr_workgroup_id_z 0
		.amdhsa_system_sgpr_workgroup_info 0
		.amdhsa_system_vgpr_workitem_id 0
		.amdhsa_next_free_vgpr 1
		.amdhsa_next_free_sgpr 1
		.amdhsa_reserve_vcc 0
		.amdhsa_float_round_mode_32 0
		.amdhsa_float_round_mode_16_64 0
		.amdhsa_float_denorm_mode_32 3
		.amdhsa_float_denorm_mode_16_64 3
		.amdhsa_fp16_overflow 0
		.amdhsa_workgroup_processor_mode 1
		.amdhsa_memory_ordered 1
		.amdhsa_forward_progress 1
		.amdhsa_inst_pref_size 0
		.amdhsa_round_robin_scheduling 0
		.amdhsa_exception_fp_ieee_invalid_op 0
		.amdhsa_exception_fp_denorm_src 0
		.amdhsa_exception_fp_ieee_div_zero 0
		.amdhsa_exception_fp_ieee_overflow 0
		.amdhsa_exception_fp_ieee_underflow 0
		.amdhsa_exception_fp_ieee_inexact 0
		.amdhsa_exception_int_div_zero 0
	.end_amdhsa_kernel
	.section	.text._ZN7rocprim17ROCPRIM_400000_NS6detail17trampoline_kernelINS0_14default_configENS1_25partition_config_selectorILNS1_17partition_subalgoE6EN6thrust23THRUST_200600_302600_NS5tupleIxxNS7_9null_typeES9_S9_S9_S9_S9_S9_S9_EENS0_10empty_typeEbEEZZNS1_14partition_implILS5_6ELb0ES3_mNS7_12zip_iteratorINS8_INS7_6detail15normal_iteratorINS7_10device_ptrIxEEEESJ_S9_S9_S9_S9_S9_S9_S9_S9_EEEEPSB_SM_NS0_5tupleIJNSE_INS8_ISJ_NS7_16discard_iteratorINS7_11use_defaultEEES9_S9_S9_S9_S9_S9_S9_S9_EEEESB_EEENSN_IJSM_SM_EEESB_PlJNSF_9not_fun_tINSF_14equal_to_valueISA_EEEEEEE10hipError_tPvRmT3_T4_T5_T6_T7_T9_mT8_P12ihipStream_tbDpT10_ENKUlT_T0_E_clISt17integral_constantIbLb1EES1J_EEDaS1E_S1F_EUlS1E_E_NS1_11comp_targetILNS1_3genE3ELNS1_11target_archE908ELNS1_3gpuE7ELNS1_3repE0EEENS1_30default_config_static_selectorELNS0_4arch9wavefront6targetE0EEEvT1_,"axG",@progbits,_ZN7rocprim17ROCPRIM_400000_NS6detail17trampoline_kernelINS0_14default_configENS1_25partition_config_selectorILNS1_17partition_subalgoE6EN6thrust23THRUST_200600_302600_NS5tupleIxxNS7_9null_typeES9_S9_S9_S9_S9_S9_S9_EENS0_10empty_typeEbEEZZNS1_14partition_implILS5_6ELb0ES3_mNS7_12zip_iteratorINS8_INS7_6detail15normal_iteratorINS7_10device_ptrIxEEEESJ_S9_S9_S9_S9_S9_S9_S9_S9_EEEEPSB_SM_NS0_5tupleIJNSE_INS8_ISJ_NS7_16discard_iteratorINS7_11use_defaultEEES9_S9_S9_S9_S9_S9_S9_S9_EEEESB_EEENSN_IJSM_SM_EEESB_PlJNSF_9not_fun_tINSF_14equal_to_valueISA_EEEEEEE10hipError_tPvRmT3_T4_T5_T6_T7_T9_mT8_P12ihipStream_tbDpT10_ENKUlT_T0_E_clISt17integral_constantIbLb1EES1J_EEDaS1E_S1F_EUlS1E_E_NS1_11comp_targetILNS1_3genE3ELNS1_11target_archE908ELNS1_3gpuE7ELNS1_3repE0EEENS1_30default_config_static_selectorELNS0_4arch9wavefront6targetE0EEEvT1_,comdat
.Lfunc_end1992:
	.size	_ZN7rocprim17ROCPRIM_400000_NS6detail17trampoline_kernelINS0_14default_configENS1_25partition_config_selectorILNS1_17partition_subalgoE6EN6thrust23THRUST_200600_302600_NS5tupleIxxNS7_9null_typeES9_S9_S9_S9_S9_S9_S9_EENS0_10empty_typeEbEEZZNS1_14partition_implILS5_6ELb0ES3_mNS7_12zip_iteratorINS8_INS7_6detail15normal_iteratorINS7_10device_ptrIxEEEESJ_S9_S9_S9_S9_S9_S9_S9_S9_EEEEPSB_SM_NS0_5tupleIJNSE_INS8_ISJ_NS7_16discard_iteratorINS7_11use_defaultEEES9_S9_S9_S9_S9_S9_S9_S9_EEEESB_EEENSN_IJSM_SM_EEESB_PlJNSF_9not_fun_tINSF_14equal_to_valueISA_EEEEEEE10hipError_tPvRmT3_T4_T5_T6_T7_T9_mT8_P12ihipStream_tbDpT10_ENKUlT_T0_E_clISt17integral_constantIbLb1EES1J_EEDaS1E_S1F_EUlS1E_E_NS1_11comp_targetILNS1_3genE3ELNS1_11target_archE908ELNS1_3gpuE7ELNS1_3repE0EEENS1_30default_config_static_selectorELNS0_4arch9wavefront6targetE0EEEvT1_, .Lfunc_end1992-_ZN7rocprim17ROCPRIM_400000_NS6detail17trampoline_kernelINS0_14default_configENS1_25partition_config_selectorILNS1_17partition_subalgoE6EN6thrust23THRUST_200600_302600_NS5tupleIxxNS7_9null_typeES9_S9_S9_S9_S9_S9_S9_EENS0_10empty_typeEbEEZZNS1_14partition_implILS5_6ELb0ES3_mNS7_12zip_iteratorINS8_INS7_6detail15normal_iteratorINS7_10device_ptrIxEEEESJ_S9_S9_S9_S9_S9_S9_S9_S9_EEEEPSB_SM_NS0_5tupleIJNSE_INS8_ISJ_NS7_16discard_iteratorINS7_11use_defaultEEES9_S9_S9_S9_S9_S9_S9_S9_EEEESB_EEENSN_IJSM_SM_EEESB_PlJNSF_9not_fun_tINSF_14equal_to_valueISA_EEEEEEE10hipError_tPvRmT3_T4_T5_T6_T7_T9_mT8_P12ihipStream_tbDpT10_ENKUlT_T0_E_clISt17integral_constantIbLb1EES1J_EEDaS1E_S1F_EUlS1E_E_NS1_11comp_targetILNS1_3genE3ELNS1_11target_archE908ELNS1_3gpuE7ELNS1_3repE0EEENS1_30default_config_static_selectorELNS0_4arch9wavefront6targetE0EEEvT1_
                                        ; -- End function
	.set _ZN7rocprim17ROCPRIM_400000_NS6detail17trampoline_kernelINS0_14default_configENS1_25partition_config_selectorILNS1_17partition_subalgoE6EN6thrust23THRUST_200600_302600_NS5tupleIxxNS7_9null_typeES9_S9_S9_S9_S9_S9_S9_EENS0_10empty_typeEbEEZZNS1_14partition_implILS5_6ELb0ES3_mNS7_12zip_iteratorINS8_INS7_6detail15normal_iteratorINS7_10device_ptrIxEEEESJ_S9_S9_S9_S9_S9_S9_S9_S9_EEEEPSB_SM_NS0_5tupleIJNSE_INS8_ISJ_NS7_16discard_iteratorINS7_11use_defaultEEES9_S9_S9_S9_S9_S9_S9_S9_EEEESB_EEENSN_IJSM_SM_EEESB_PlJNSF_9not_fun_tINSF_14equal_to_valueISA_EEEEEEE10hipError_tPvRmT3_T4_T5_T6_T7_T9_mT8_P12ihipStream_tbDpT10_ENKUlT_T0_E_clISt17integral_constantIbLb1EES1J_EEDaS1E_S1F_EUlS1E_E_NS1_11comp_targetILNS1_3genE3ELNS1_11target_archE908ELNS1_3gpuE7ELNS1_3repE0EEENS1_30default_config_static_selectorELNS0_4arch9wavefront6targetE0EEEvT1_.num_vgpr, 0
	.set _ZN7rocprim17ROCPRIM_400000_NS6detail17trampoline_kernelINS0_14default_configENS1_25partition_config_selectorILNS1_17partition_subalgoE6EN6thrust23THRUST_200600_302600_NS5tupleIxxNS7_9null_typeES9_S9_S9_S9_S9_S9_S9_EENS0_10empty_typeEbEEZZNS1_14partition_implILS5_6ELb0ES3_mNS7_12zip_iteratorINS8_INS7_6detail15normal_iteratorINS7_10device_ptrIxEEEESJ_S9_S9_S9_S9_S9_S9_S9_S9_EEEEPSB_SM_NS0_5tupleIJNSE_INS8_ISJ_NS7_16discard_iteratorINS7_11use_defaultEEES9_S9_S9_S9_S9_S9_S9_S9_EEEESB_EEENSN_IJSM_SM_EEESB_PlJNSF_9not_fun_tINSF_14equal_to_valueISA_EEEEEEE10hipError_tPvRmT3_T4_T5_T6_T7_T9_mT8_P12ihipStream_tbDpT10_ENKUlT_T0_E_clISt17integral_constantIbLb1EES1J_EEDaS1E_S1F_EUlS1E_E_NS1_11comp_targetILNS1_3genE3ELNS1_11target_archE908ELNS1_3gpuE7ELNS1_3repE0EEENS1_30default_config_static_selectorELNS0_4arch9wavefront6targetE0EEEvT1_.num_agpr, 0
	.set _ZN7rocprim17ROCPRIM_400000_NS6detail17trampoline_kernelINS0_14default_configENS1_25partition_config_selectorILNS1_17partition_subalgoE6EN6thrust23THRUST_200600_302600_NS5tupleIxxNS7_9null_typeES9_S9_S9_S9_S9_S9_S9_EENS0_10empty_typeEbEEZZNS1_14partition_implILS5_6ELb0ES3_mNS7_12zip_iteratorINS8_INS7_6detail15normal_iteratorINS7_10device_ptrIxEEEESJ_S9_S9_S9_S9_S9_S9_S9_S9_EEEEPSB_SM_NS0_5tupleIJNSE_INS8_ISJ_NS7_16discard_iteratorINS7_11use_defaultEEES9_S9_S9_S9_S9_S9_S9_S9_EEEESB_EEENSN_IJSM_SM_EEESB_PlJNSF_9not_fun_tINSF_14equal_to_valueISA_EEEEEEE10hipError_tPvRmT3_T4_T5_T6_T7_T9_mT8_P12ihipStream_tbDpT10_ENKUlT_T0_E_clISt17integral_constantIbLb1EES1J_EEDaS1E_S1F_EUlS1E_E_NS1_11comp_targetILNS1_3genE3ELNS1_11target_archE908ELNS1_3gpuE7ELNS1_3repE0EEENS1_30default_config_static_selectorELNS0_4arch9wavefront6targetE0EEEvT1_.numbered_sgpr, 0
	.set _ZN7rocprim17ROCPRIM_400000_NS6detail17trampoline_kernelINS0_14default_configENS1_25partition_config_selectorILNS1_17partition_subalgoE6EN6thrust23THRUST_200600_302600_NS5tupleIxxNS7_9null_typeES9_S9_S9_S9_S9_S9_S9_EENS0_10empty_typeEbEEZZNS1_14partition_implILS5_6ELb0ES3_mNS7_12zip_iteratorINS8_INS7_6detail15normal_iteratorINS7_10device_ptrIxEEEESJ_S9_S9_S9_S9_S9_S9_S9_S9_EEEEPSB_SM_NS0_5tupleIJNSE_INS8_ISJ_NS7_16discard_iteratorINS7_11use_defaultEEES9_S9_S9_S9_S9_S9_S9_S9_EEEESB_EEENSN_IJSM_SM_EEESB_PlJNSF_9not_fun_tINSF_14equal_to_valueISA_EEEEEEE10hipError_tPvRmT3_T4_T5_T6_T7_T9_mT8_P12ihipStream_tbDpT10_ENKUlT_T0_E_clISt17integral_constantIbLb1EES1J_EEDaS1E_S1F_EUlS1E_E_NS1_11comp_targetILNS1_3genE3ELNS1_11target_archE908ELNS1_3gpuE7ELNS1_3repE0EEENS1_30default_config_static_selectorELNS0_4arch9wavefront6targetE0EEEvT1_.num_named_barrier, 0
	.set _ZN7rocprim17ROCPRIM_400000_NS6detail17trampoline_kernelINS0_14default_configENS1_25partition_config_selectorILNS1_17partition_subalgoE6EN6thrust23THRUST_200600_302600_NS5tupleIxxNS7_9null_typeES9_S9_S9_S9_S9_S9_S9_EENS0_10empty_typeEbEEZZNS1_14partition_implILS5_6ELb0ES3_mNS7_12zip_iteratorINS8_INS7_6detail15normal_iteratorINS7_10device_ptrIxEEEESJ_S9_S9_S9_S9_S9_S9_S9_S9_EEEEPSB_SM_NS0_5tupleIJNSE_INS8_ISJ_NS7_16discard_iteratorINS7_11use_defaultEEES9_S9_S9_S9_S9_S9_S9_S9_EEEESB_EEENSN_IJSM_SM_EEESB_PlJNSF_9not_fun_tINSF_14equal_to_valueISA_EEEEEEE10hipError_tPvRmT3_T4_T5_T6_T7_T9_mT8_P12ihipStream_tbDpT10_ENKUlT_T0_E_clISt17integral_constantIbLb1EES1J_EEDaS1E_S1F_EUlS1E_E_NS1_11comp_targetILNS1_3genE3ELNS1_11target_archE908ELNS1_3gpuE7ELNS1_3repE0EEENS1_30default_config_static_selectorELNS0_4arch9wavefront6targetE0EEEvT1_.private_seg_size, 0
	.set _ZN7rocprim17ROCPRIM_400000_NS6detail17trampoline_kernelINS0_14default_configENS1_25partition_config_selectorILNS1_17partition_subalgoE6EN6thrust23THRUST_200600_302600_NS5tupleIxxNS7_9null_typeES9_S9_S9_S9_S9_S9_S9_EENS0_10empty_typeEbEEZZNS1_14partition_implILS5_6ELb0ES3_mNS7_12zip_iteratorINS8_INS7_6detail15normal_iteratorINS7_10device_ptrIxEEEESJ_S9_S9_S9_S9_S9_S9_S9_S9_EEEEPSB_SM_NS0_5tupleIJNSE_INS8_ISJ_NS7_16discard_iteratorINS7_11use_defaultEEES9_S9_S9_S9_S9_S9_S9_S9_EEEESB_EEENSN_IJSM_SM_EEESB_PlJNSF_9not_fun_tINSF_14equal_to_valueISA_EEEEEEE10hipError_tPvRmT3_T4_T5_T6_T7_T9_mT8_P12ihipStream_tbDpT10_ENKUlT_T0_E_clISt17integral_constantIbLb1EES1J_EEDaS1E_S1F_EUlS1E_E_NS1_11comp_targetILNS1_3genE3ELNS1_11target_archE908ELNS1_3gpuE7ELNS1_3repE0EEENS1_30default_config_static_selectorELNS0_4arch9wavefront6targetE0EEEvT1_.uses_vcc, 0
	.set _ZN7rocprim17ROCPRIM_400000_NS6detail17trampoline_kernelINS0_14default_configENS1_25partition_config_selectorILNS1_17partition_subalgoE6EN6thrust23THRUST_200600_302600_NS5tupleIxxNS7_9null_typeES9_S9_S9_S9_S9_S9_S9_EENS0_10empty_typeEbEEZZNS1_14partition_implILS5_6ELb0ES3_mNS7_12zip_iteratorINS8_INS7_6detail15normal_iteratorINS7_10device_ptrIxEEEESJ_S9_S9_S9_S9_S9_S9_S9_S9_EEEEPSB_SM_NS0_5tupleIJNSE_INS8_ISJ_NS7_16discard_iteratorINS7_11use_defaultEEES9_S9_S9_S9_S9_S9_S9_S9_EEEESB_EEENSN_IJSM_SM_EEESB_PlJNSF_9not_fun_tINSF_14equal_to_valueISA_EEEEEEE10hipError_tPvRmT3_T4_T5_T6_T7_T9_mT8_P12ihipStream_tbDpT10_ENKUlT_T0_E_clISt17integral_constantIbLb1EES1J_EEDaS1E_S1F_EUlS1E_E_NS1_11comp_targetILNS1_3genE3ELNS1_11target_archE908ELNS1_3gpuE7ELNS1_3repE0EEENS1_30default_config_static_selectorELNS0_4arch9wavefront6targetE0EEEvT1_.uses_flat_scratch, 0
	.set _ZN7rocprim17ROCPRIM_400000_NS6detail17trampoline_kernelINS0_14default_configENS1_25partition_config_selectorILNS1_17partition_subalgoE6EN6thrust23THRUST_200600_302600_NS5tupleIxxNS7_9null_typeES9_S9_S9_S9_S9_S9_S9_EENS0_10empty_typeEbEEZZNS1_14partition_implILS5_6ELb0ES3_mNS7_12zip_iteratorINS8_INS7_6detail15normal_iteratorINS7_10device_ptrIxEEEESJ_S9_S9_S9_S9_S9_S9_S9_S9_EEEEPSB_SM_NS0_5tupleIJNSE_INS8_ISJ_NS7_16discard_iteratorINS7_11use_defaultEEES9_S9_S9_S9_S9_S9_S9_S9_EEEESB_EEENSN_IJSM_SM_EEESB_PlJNSF_9not_fun_tINSF_14equal_to_valueISA_EEEEEEE10hipError_tPvRmT3_T4_T5_T6_T7_T9_mT8_P12ihipStream_tbDpT10_ENKUlT_T0_E_clISt17integral_constantIbLb1EES1J_EEDaS1E_S1F_EUlS1E_E_NS1_11comp_targetILNS1_3genE3ELNS1_11target_archE908ELNS1_3gpuE7ELNS1_3repE0EEENS1_30default_config_static_selectorELNS0_4arch9wavefront6targetE0EEEvT1_.has_dyn_sized_stack, 0
	.set _ZN7rocprim17ROCPRIM_400000_NS6detail17trampoline_kernelINS0_14default_configENS1_25partition_config_selectorILNS1_17partition_subalgoE6EN6thrust23THRUST_200600_302600_NS5tupleIxxNS7_9null_typeES9_S9_S9_S9_S9_S9_S9_EENS0_10empty_typeEbEEZZNS1_14partition_implILS5_6ELb0ES3_mNS7_12zip_iteratorINS8_INS7_6detail15normal_iteratorINS7_10device_ptrIxEEEESJ_S9_S9_S9_S9_S9_S9_S9_S9_EEEEPSB_SM_NS0_5tupleIJNSE_INS8_ISJ_NS7_16discard_iteratorINS7_11use_defaultEEES9_S9_S9_S9_S9_S9_S9_S9_EEEESB_EEENSN_IJSM_SM_EEESB_PlJNSF_9not_fun_tINSF_14equal_to_valueISA_EEEEEEE10hipError_tPvRmT3_T4_T5_T6_T7_T9_mT8_P12ihipStream_tbDpT10_ENKUlT_T0_E_clISt17integral_constantIbLb1EES1J_EEDaS1E_S1F_EUlS1E_E_NS1_11comp_targetILNS1_3genE3ELNS1_11target_archE908ELNS1_3gpuE7ELNS1_3repE0EEENS1_30default_config_static_selectorELNS0_4arch9wavefront6targetE0EEEvT1_.has_recursion, 0
	.set _ZN7rocprim17ROCPRIM_400000_NS6detail17trampoline_kernelINS0_14default_configENS1_25partition_config_selectorILNS1_17partition_subalgoE6EN6thrust23THRUST_200600_302600_NS5tupleIxxNS7_9null_typeES9_S9_S9_S9_S9_S9_S9_EENS0_10empty_typeEbEEZZNS1_14partition_implILS5_6ELb0ES3_mNS7_12zip_iteratorINS8_INS7_6detail15normal_iteratorINS7_10device_ptrIxEEEESJ_S9_S9_S9_S9_S9_S9_S9_S9_EEEEPSB_SM_NS0_5tupleIJNSE_INS8_ISJ_NS7_16discard_iteratorINS7_11use_defaultEEES9_S9_S9_S9_S9_S9_S9_S9_EEEESB_EEENSN_IJSM_SM_EEESB_PlJNSF_9not_fun_tINSF_14equal_to_valueISA_EEEEEEE10hipError_tPvRmT3_T4_T5_T6_T7_T9_mT8_P12ihipStream_tbDpT10_ENKUlT_T0_E_clISt17integral_constantIbLb1EES1J_EEDaS1E_S1F_EUlS1E_E_NS1_11comp_targetILNS1_3genE3ELNS1_11target_archE908ELNS1_3gpuE7ELNS1_3repE0EEENS1_30default_config_static_selectorELNS0_4arch9wavefront6targetE0EEEvT1_.has_indirect_call, 0
	.section	.AMDGPU.csdata,"",@progbits
; Kernel info:
; codeLenInByte = 0
; TotalNumSgprs: 0
; NumVgprs: 0
; ScratchSize: 0
; MemoryBound: 0
; FloatMode: 240
; IeeeMode: 1
; LDSByteSize: 0 bytes/workgroup (compile time only)
; SGPRBlocks: 0
; VGPRBlocks: 0
; NumSGPRsForWavesPerEU: 1
; NumVGPRsForWavesPerEU: 1
; Occupancy: 16
; WaveLimiterHint : 0
; COMPUTE_PGM_RSRC2:SCRATCH_EN: 0
; COMPUTE_PGM_RSRC2:USER_SGPR: 2
; COMPUTE_PGM_RSRC2:TRAP_HANDLER: 0
; COMPUTE_PGM_RSRC2:TGID_X_EN: 1
; COMPUTE_PGM_RSRC2:TGID_Y_EN: 0
; COMPUTE_PGM_RSRC2:TGID_Z_EN: 0
; COMPUTE_PGM_RSRC2:TIDIG_COMP_CNT: 0
	.section	.text._ZN7rocprim17ROCPRIM_400000_NS6detail17trampoline_kernelINS0_14default_configENS1_25partition_config_selectorILNS1_17partition_subalgoE6EN6thrust23THRUST_200600_302600_NS5tupleIxxNS7_9null_typeES9_S9_S9_S9_S9_S9_S9_EENS0_10empty_typeEbEEZZNS1_14partition_implILS5_6ELb0ES3_mNS7_12zip_iteratorINS8_INS7_6detail15normal_iteratorINS7_10device_ptrIxEEEESJ_S9_S9_S9_S9_S9_S9_S9_S9_EEEEPSB_SM_NS0_5tupleIJNSE_INS8_ISJ_NS7_16discard_iteratorINS7_11use_defaultEEES9_S9_S9_S9_S9_S9_S9_S9_EEEESB_EEENSN_IJSM_SM_EEESB_PlJNSF_9not_fun_tINSF_14equal_to_valueISA_EEEEEEE10hipError_tPvRmT3_T4_T5_T6_T7_T9_mT8_P12ihipStream_tbDpT10_ENKUlT_T0_E_clISt17integral_constantIbLb1EES1J_EEDaS1E_S1F_EUlS1E_E_NS1_11comp_targetILNS1_3genE2ELNS1_11target_archE906ELNS1_3gpuE6ELNS1_3repE0EEENS1_30default_config_static_selectorELNS0_4arch9wavefront6targetE0EEEvT1_,"axG",@progbits,_ZN7rocprim17ROCPRIM_400000_NS6detail17trampoline_kernelINS0_14default_configENS1_25partition_config_selectorILNS1_17partition_subalgoE6EN6thrust23THRUST_200600_302600_NS5tupleIxxNS7_9null_typeES9_S9_S9_S9_S9_S9_S9_EENS0_10empty_typeEbEEZZNS1_14partition_implILS5_6ELb0ES3_mNS7_12zip_iteratorINS8_INS7_6detail15normal_iteratorINS7_10device_ptrIxEEEESJ_S9_S9_S9_S9_S9_S9_S9_S9_EEEEPSB_SM_NS0_5tupleIJNSE_INS8_ISJ_NS7_16discard_iteratorINS7_11use_defaultEEES9_S9_S9_S9_S9_S9_S9_S9_EEEESB_EEENSN_IJSM_SM_EEESB_PlJNSF_9not_fun_tINSF_14equal_to_valueISA_EEEEEEE10hipError_tPvRmT3_T4_T5_T6_T7_T9_mT8_P12ihipStream_tbDpT10_ENKUlT_T0_E_clISt17integral_constantIbLb1EES1J_EEDaS1E_S1F_EUlS1E_E_NS1_11comp_targetILNS1_3genE2ELNS1_11target_archE906ELNS1_3gpuE6ELNS1_3repE0EEENS1_30default_config_static_selectorELNS0_4arch9wavefront6targetE0EEEvT1_,comdat
	.protected	_ZN7rocprim17ROCPRIM_400000_NS6detail17trampoline_kernelINS0_14default_configENS1_25partition_config_selectorILNS1_17partition_subalgoE6EN6thrust23THRUST_200600_302600_NS5tupleIxxNS7_9null_typeES9_S9_S9_S9_S9_S9_S9_EENS0_10empty_typeEbEEZZNS1_14partition_implILS5_6ELb0ES3_mNS7_12zip_iteratorINS8_INS7_6detail15normal_iteratorINS7_10device_ptrIxEEEESJ_S9_S9_S9_S9_S9_S9_S9_S9_EEEEPSB_SM_NS0_5tupleIJNSE_INS8_ISJ_NS7_16discard_iteratorINS7_11use_defaultEEES9_S9_S9_S9_S9_S9_S9_S9_EEEESB_EEENSN_IJSM_SM_EEESB_PlJNSF_9not_fun_tINSF_14equal_to_valueISA_EEEEEEE10hipError_tPvRmT3_T4_T5_T6_T7_T9_mT8_P12ihipStream_tbDpT10_ENKUlT_T0_E_clISt17integral_constantIbLb1EES1J_EEDaS1E_S1F_EUlS1E_E_NS1_11comp_targetILNS1_3genE2ELNS1_11target_archE906ELNS1_3gpuE6ELNS1_3repE0EEENS1_30default_config_static_selectorELNS0_4arch9wavefront6targetE0EEEvT1_ ; -- Begin function _ZN7rocprim17ROCPRIM_400000_NS6detail17trampoline_kernelINS0_14default_configENS1_25partition_config_selectorILNS1_17partition_subalgoE6EN6thrust23THRUST_200600_302600_NS5tupleIxxNS7_9null_typeES9_S9_S9_S9_S9_S9_S9_EENS0_10empty_typeEbEEZZNS1_14partition_implILS5_6ELb0ES3_mNS7_12zip_iteratorINS8_INS7_6detail15normal_iteratorINS7_10device_ptrIxEEEESJ_S9_S9_S9_S9_S9_S9_S9_S9_EEEEPSB_SM_NS0_5tupleIJNSE_INS8_ISJ_NS7_16discard_iteratorINS7_11use_defaultEEES9_S9_S9_S9_S9_S9_S9_S9_EEEESB_EEENSN_IJSM_SM_EEESB_PlJNSF_9not_fun_tINSF_14equal_to_valueISA_EEEEEEE10hipError_tPvRmT3_T4_T5_T6_T7_T9_mT8_P12ihipStream_tbDpT10_ENKUlT_T0_E_clISt17integral_constantIbLb1EES1J_EEDaS1E_S1F_EUlS1E_E_NS1_11comp_targetILNS1_3genE2ELNS1_11target_archE906ELNS1_3gpuE6ELNS1_3repE0EEENS1_30default_config_static_selectorELNS0_4arch9wavefront6targetE0EEEvT1_
	.globl	_ZN7rocprim17ROCPRIM_400000_NS6detail17trampoline_kernelINS0_14default_configENS1_25partition_config_selectorILNS1_17partition_subalgoE6EN6thrust23THRUST_200600_302600_NS5tupleIxxNS7_9null_typeES9_S9_S9_S9_S9_S9_S9_EENS0_10empty_typeEbEEZZNS1_14partition_implILS5_6ELb0ES3_mNS7_12zip_iteratorINS8_INS7_6detail15normal_iteratorINS7_10device_ptrIxEEEESJ_S9_S9_S9_S9_S9_S9_S9_S9_EEEEPSB_SM_NS0_5tupleIJNSE_INS8_ISJ_NS7_16discard_iteratorINS7_11use_defaultEEES9_S9_S9_S9_S9_S9_S9_S9_EEEESB_EEENSN_IJSM_SM_EEESB_PlJNSF_9not_fun_tINSF_14equal_to_valueISA_EEEEEEE10hipError_tPvRmT3_T4_T5_T6_T7_T9_mT8_P12ihipStream_tbDpT10_ENKUlT_T0_E_clISt17integral_constantIbLb1EES1J_EEDaS1E_S1F_EUlS1E_E_NS1_11comp_targetILNS1_3genE2ELNS1_11target_archE906ELNS1_3gpuE6ELNS1_3repE0EEENS1_30default_config_static_selectorELNS0_4arch9wavefront6targetE0EEEvT1_
	.p2align	8
	.type	_ZN7rocprim17ROCPRIM_400000_NS6detail17trampoline_kernelINS0_14default_configENS1_25partition_config_selectorILNS1_17partition_subalgoE6EN6thrust23THRUST_200600_302600_NS5tupleIxxNS7_9null_typeES9_S9_S9_S9_S9_S9_S9_EENS0_10empty_typeEbEEZZNS1_14partition_implILS5_6ELb0ES3_mNS7_12zip_iteratorINS8_INS7_6detail15normal_iteratorINS7_10device_ptrIxEEEESJ_S9_S9_S9_S9_S9_S9_S9_S9_EEEEPSB_SM_NS0_5tupleIJNSE_INS8_ISJ_NS7_16discard_iteratorINS7_11use_defaultEEES9_S9_S9_S9_S9_S9_S9_S9_EEEESB_EEENSN_IJSM_SM_EEESB_PlJNSF_9not_fun_tINSF_14equal_to_valueISA_EEEEEEE10hipError_tPvRmT3_T4_T5_T6_T7_T9_mT8_P12ihipStream_tbDpT10_ENKUlT_T0_E_clISt17integral_constantIbLb1EES1J_EEDaS1E_S1F_EUlS1E_E_NS1_11comp_targetILNS1_3genE2ELNS1_11target_archE906ELNS1_3gpuE6ELNS1_3repE0EEENS1_30default_config_static_selectorELNS0_4arch9wavefront6targetE0EEEvT1_,@function
_ZN7rocprim17ROCPRIM_400000_NS6detail17trampoline_kernelINS0_14default_configENS1_25partition_config_selectorILNS1_17partition_subalgoE6EN6thrust23THRUST_200600_302600_NS5tupleIxxNS7_9null_typeES9_S9_S9_S9_S9_S9_S9_EENS0_10empty_typeEbEEZZNS1_14partition_implILS5_6ELb0ES3_mNS7_12zip_iteratorINS8_INS7_6detail15normal_iteratorINS7_10device_ptrIxEEEESJ_S9_S9_S9_S9_S9_S9_S9_S9_EEEEPSB_SM_NS0_5tupleIJNSE_INS8_ISJ_NS7_16discard_iteratorINS7_11use_defaultEEES9_S9_S9_S9_S9_S9_S9_S9_EEEESB_EEENSN_IJSM_SM_EEESB_PlJNSF_9not_fun_tINSF_14equal_to_valueISA_EEEEEEE10hipError_tPvRmT3_T4_T5_T6_T7_T9_mT8_P12ihipStream_tbDpT10_ENKUlT_T0_E_clISt17integral_constantIbLb1EES1J_EEDaS1E_S1F_EUlS1E_E_NS1_11comp_targetILNS1_3genE2ELNS1_11target_archE906ELNS1_3gpuE6ELNS1_3repE0EEENS1_30default_config_static_selectorELNS0_4arch9wavefront6targetE0EEEvT1_: ; @_ZN7rocprim17ROCPRIM_400000_NS6detail17trampoline_kernelINS0_14default_configENS1_25partition_config_selectorILNS1_17partition_subalgoE6EN6thrust23THRUST_200600_302600_NS5tupleIxxNS7_9null_typeES9_S9_S9_S9_S9_S9_S9_EENS0_10empty_typeEbEEZZNS1_14partition_implILS5_6ELb0ES3_mNS7_12zip_iteratorINS8_INS7_6detail15normal_iteratorINS7_10device_ptrIxEEEESJ_S9_S9_S9_S9_S9_S9_S9_S9_EEEEPSB_SM_NS0_5tupleIJNSE_INS8_ISJ_NS7_16discard_iteratorINS7_11use_defaultEEES9_S9_S9_S9_S9_S9_S9_S9_EEEESB_EEENSN_IJSM_SM_EEESB_PlJNSF_9not_fun_tINSF_14equal_to_valueISA_EEEEEEE10hipError_tPvRmT3_T4_T5_T6_T7_T9_mT8_P12ihipStream_tbDpT10_ENKUlT_T0_E_clISt17integral_constantIbLb1EES1J_EEDaS1E_S1F_EUlS1E_E_NS1_11comp_targetILNS1_3genE2ELNS1_11target_archE906ELNS1_3gpuE6ELNS1_3repE0EEENS1_30default_config_static_selectorELNS0_4arch9wavefront6targetE0EEEvT1_
; %bb.0:
	.section	.rodata,"a",@progbits
	.p2align	6, 0x0
	.amdhsa_kernel _ZN7rocprim17ROCPRIM_400000_NS6detail17trampoline_kernelINS0_14default_configENS1_25partition_config_selectorILNS1_17partition_subalgoE6EN6thrust23THRUST_200600_302600_NS5tupleIxxNS7_9null_typeES9_S9_S9_S9_S9_S9_S9_EENS0_10empty_typeEbEEZZNS1_14partition_implILS5_6ELb0ES3_mNS7_12zip_iteratorINS8_INS7_6detail15normal_iteratorINS7_10device_ptrIxEEEESJ_S9_S9_S9_S9_S9_S9_S9_S9_EEEEPSB_SM_NS0_5tupleIJNSE_INS8_ISJ_NS7_16discard_iteratorINS7_11use_defaultEEES9_S9_S9_S9_S9_S9_S9_S9_EEEESB_EEENSN_IJSM_SM_EEESB_PlJNSF_9not_fun_tINSF_14equal_to_valueISA_EEEEEEE10hipError_tPvRmT3_T4_T5_T6_T7_T9_mT8_P12ihipStream_tbDpT10_ENKUlT_T0_E_clISt17integral_constantIbLb1EES1J_EEDaS1E_S1F_EUlS1E_E_NS1_11comp_targetILNS1_3genE2ELNS1_11target_archE906ELNS1_3gpuE6ELNS1_3repE0EEENS1_30default_config_static_selectorELNS0_4arch9wavefront6targetE0EEEvT1_
		.amdhsa_group_segment_fixed_size 0
		.amdhsa_private_segment_fixed_size 0
		.amdhsa_kernarg_size 160
		.amdhsa_user_sgpr_count 2
		.amdhsa_user_sgpr_dispatch_ptr 0
		.amdhsa_user_sgpr_queue_ptr 0
		.amdhsa_user_sgpr_kernarg_segment_ptr 1
		.amdhsa_user_sgpr_dispatch_id 0
		.amdhsa_user_sgpr_private_segment_size 0
		.amdhsa_wavefront_size32 1
		.amdhsa_uses_dynamic_stack 0
		.amdhsa_enable_private_segment 0
		.amdhsa_system_sgpr_workgroup_id_x 1
		.amdhsa_system_sgpr_workgroup_id_y 0
		.amdhsa_system_sgpr_workgroup_id_z 0
		.amdhsa_system_sgpr_workgroup_info 0
		.amdhsa_system_vgpr_workitem_id 0
		.amdhsa_next_free_vgpr 1
		.amdhsa_next_free_sgpr 1
		.amdhsa_reserve_vcc 0
		.amdhsa_float_round_mode_32 0
		.amdhsa_float_round_mode_16_64 0
		.amdhsa_float_denorm_mode_32 3
		.amdhsa_float_denorm_mode_16_64 3
		.amdhsa_fp16_overflow 0
		.amdhsa_workgroup_processor_mode 1
		.amdhsa_memory_ordered 1
		.amdhsa_forward_progress 1
		.amdhsa_inst_pref_size 0
		.amdhsa_round_robin_scheduling 0
		.amdhsa_exception_fp_ieee_invalid_op 0
		.amdhsa_exception_fp_denorm_src 0
		.amdhsa_exception_fp_ieee_div_zero 0
		.amdhsa_exception_fp_ieee_overflow 0
		.amdhsa_exception_fp_ieee_underflow 0
		.amdhsa_exception_fp_ieee_inexact 0
		.amdhsa_exception_int_div_zero 0
	.end_amdhsa_kernel
	.section	.text._ZN7rocprim17ROCPRIM_400000_NS6detail17trampoline_kernelINS0_14default_configENS1_25partition_config_selectorILNS1_17partition_subalgoE6EN6thrust23THRUST_200600_302600_NS5tupleIxxNS7_9null_typeES9_S9_S9_S9_S9_S9_S9_EENS0_10empty_typeEbEEZZNS1_14partition_implILS5_6ELb0ES3_mNS7_12zip_iteratorINS8_INS7_6detail15normal_iteratorINS7_10device_ptrIxEEEESJ_S9_S9_S9_S9_S9_S9_S9_S9_EEEEPSB_SM_NS0_5tupleIJNSE_INS8_ISJ_NS7_16discard_iteratorINS7_11use_defaultEEES9_S9_S9_S9_S9_S9_S9_S9_EEEESB_EEENSN_IJSM_SM_EEESB_PlJNSF_9not_fun_tINSF_14equal_to_valueISA_EEEEEEE10hipError_tPvRmT3_T4_T5_T6_T7_T9_mT8_P12ihipStream_tbDpT10_ENKUlT_T0_E_clISt17integral_constantIbLb1EES1J_EEDaS1E_S1F_EUlS1E_E_NS1_11comp_targetILNS1_3genE2ELNS1_11target_archE906ELNS1_3gpuE6ELNS1_3repE0EEENS1_30default_config_static_selectorELNS0_4arch9wavefront6targetE0EEEvT1_,"axG",@progbits,_ZN7rocprim17ROCPRIM_400000_NS6detail17trampoline_kernelINS0_14default_configENS1_25partition_config_selectorILNS1_17partition_subalgoE6EN6thrust23THRUST_200600_302600_NS5tupleIxxNS7_9null_typeES9_S9_S9_S9_S9_S9_S9_EENS0_10empty_typeEbEEZZNS1_14partition_implILS5_6ELb0ES3_mNS7_12zip_iteratorINS8_INS7_6detail15normal_iteratorINS7_10device_ptrIxEEEESJ_S9_S9_S9_S9_S9_S9_S9_S9_EEEEPSB_SM_NS0_5tupleIJNSE_INS8_ISJ_NS7_16discard_iteratorINS7_11use_defaultEEES9_S9_S9_S9_S9_S9_S9_S9_EEEESB_EEENSN_IJSM_SM_EEESB_PlJNSF_9not_fun_tINSF_14equal_to_valueISA_EEEEEEE10hipError_tPvRmT3_T4_T5_T6_T7_T9_mT8_P12ihipStream_tbDpT10_ENKUlT_T0_E_clISt17integral_constantIbLb1EES1J_EEDaS1E_S1F_EUlS1E_E_NS1_11comp_targetILNS1_3genE2ELNS1_11target_archE906ELNS1_3gpuE6ELNS1_3repE0EEENS1_30default_config_static_selectorELNS0_4arch9wavefront6targetE0EEEvT1_,comdat
.Lfunc_end1993:
	.size	_ZN7rocprim17ROCPRIM_400000_NS6detail17trampoline_kernelINS0_14default_configENS1_25partition_config_selectorILNS1_17partition_subalgoE6EN6thrust23THRUST_200600_302600_NS5tupleIxxNS7_9null_typeES9_S9_S9_S9_S9_S9_S9_EENS0_10empty_typeEbEEZZNS1_14partition_implILS5_6ELb0ES3_mNS7_12zip_iteratorINS8_INS7_6detail15normal_iteratorINS7_10device_ptrIxEEEESJ_S9_S9_S9_S9_S9_S9_S9_S9_EEEEPSB_SM_NS0_5tupleIJNSE_INS8_ISJ_NS7_16discard_iteratorINS7_11use_defaultEEES9_S9_S9_S9_S9_S9_S9_S9_EEEESB_EEENSN_IJSM_SM_EEESB_PlJNSF_9not_fun_tINSF_14equal_to_valueISA_EEEEEEE10hipError_tPvRmT3_T4_T5_T6_T7_T9_mT8_P12ihipStream_tbDpT10_ENKUlT_T0_E_clISt17integral_constantIbLb1EES1J_EEDaS1E_S1F_EUlS1E_E_NS1_11comp_targetILNS1_3genE2ELNS1_11target_archE906ELNS1_3gpuE6ELNS1_3repE0EEENS1_30default_config_static_selectorELNS0_4arch9wavefront6targetE0EEEvT1_, .Lfunc_end1993-_ZN7rocprim17ROCPRIM_400000_NS6detail17trampoline_kernelINS0_14default_configENS1_25partition_config_selectorILNS1_17partition_subalgoE6EN6thrust23THRUST_200600_302600_NS5tupleIxxNS7_9null_typeES9_S9_S9_S9_S9_S9_S9_EENS0_10empty_typeEbEEZZNS1_14partition_implILS5_6ELb0ES3_mNS7_12zip_iteratorINS8_INS7_6detail15normal_iteratorINS7_10device_ptrIxEEEESJ_S9_S9_S9_S9_S9_S9_S9_S9_EEEEPSB_SM_NS0_5tupleIJNSE_INS8_ISJ_NS7_16discard_iteratorINS7_11use_defaultEEES9_S9_S9_S9_S9_S9_S9_S9_EEEESB_EEENSN_IJSM_SM_EEESB_PlJNSF_9not_fun_tINSF_14equal_to_valueISA_EEEEEEE10hipError_tPvRmT3_T4_T5_T6_T7_T9_mT8_P12ihipStream_tbDpT10_ENKUlT_T0_E_clISt17integral_constantIbLb1EES1J_EEDaS1E_S1F_EUlS1E_E_NS1_11comp_targetILNS1_3genE2ELNS1_11target_archE906ELNS1_3gpuE6ELNS1_3repE0EEENS1_30default_config_static_selectorELNS0_4arch9wavefront6targetE0EEEvT1_
                                        ; -- End function
	.set _ZN7rocprim17ROCPRIM_400000_NS6detail17trampoline_kernelINS0_14default_configENS1_25partition_config_selectorILNS1_17partition_subalgoE6EN6thrust23THRUST_200600_302600_NS5tupleIxxNS7_9null_typeES9_S9_S9_S9_S9_S9_S9_EENS0_10empty_typeEbEEZZNS1_14partition_implILS5_6ELb0ES3_mNS7_12zip_iteratorINS8_INS7_6detail15normal_iteratorINS7_10device_ptrIxEEEESJ_S9_S9_S9_S9_S9_S9_S9_S9_EEEEPSB_SM_NS0_5tupleIJNSE_INS8_ISJ_NS7_16discard_iteratorINS7_11use_defaultEEES9_S9_S9_S9_S9_S9_S9_S9_EEEESB_EEENSN_IJSM_SM_EEESB_PlJNSF_9not_fun_tINSF_14equal_to_valueISA_EEEEEEE10hipError_tPvRmT3_T4_T5_T6_T7_T9_mT8_P12ihipStream_tbDpT10_ENKUlT_T0_E_clISt17integral_constantIbLb1EES1J_EEDaS1E_S1F_EUlS1E_E_NS1_11comp_targetILNS1_3genE2ELNS1_11target_archE906ELNS1_3gpuE6ELNS1_3repE0EEENS1_30default_config_static_selectorELNS0_4arch9wavefront6targetE0EEEvT1_.num_vgpr, 0
	.set _ZN7rocprim17ROCPRIM_400000_NS6detail17trampoline_kernelINS0_14default_configENS1_25partition_config_selectorILNS1_17partition_subalgoE6EN6thrust23THRUST_200600_302600_NS5tupleIxxNS7_9null_typeES9_S9_S9_S9_S9_S9_S9_EENS0_10empty_typeEbEEZZNS1_14partition_implILS5_6ELb0ES3_mNS7_12zip_iteratorINS8_INS7_6detail15normal_iteratorINS7_10device_ptrIxEEEESJ_S9_S9_S9_S9_S9_S9_S9_S9_EEEEPSB_SM_NS0_5tupleIJNSE_INS8_ISJ_NS7_16discard_iteratorINS7_11use_defaultEEES9_S9_S9_S9_S9_S9_S9_S9_EEEESB_EEENSN_IJSM_SM_EEESB_PlJNSF_9not_fun_tINSF_14equal_to_valueISA_EEEEEEE10hipError_tPvRmT3_T4_T5_T6_T7_T9_mT8_P12ihipStream_tbDpT10_ENKUlT_T0_E_clISt17integral_constantIbLb1EES1J_EEDaS1E_S1F_EUlS1E_E_NS1_11comp_targetILNS1_3genE2ELNS1_11target_archE906ELNS1_3gpuE6ELNS1_3repE0EEENS1_30default_config_static_selectorELNS0_4arch9wavefront6targetE0EEEvT1_.num_agpr, 0
	.set _ZN7rocprim17ROCPRIM_400000_NS6detail17trampoline_kernelINS0_14default_configENS1_25partition_config_selectorILNS1_17partition_subalgoE6EN6thrust23THRUST_200600_302600_NS5tupleIxxNS7_9null_typeES9_S9_S9_S9_S9_S9_S9_EENS0_10empty_typeEbEEZZNS1_14partition_implILS5_6ELb0ES3_mNS7_12zip_iteratorINS8_INS7_6detail15normal_iteratorINS7_10device_ptrIxEEEESJ_S9_S9_S9_S9_S9_S9_S9_S9_EEEEPSB_SM_NS0_5tupleIJNSE_INS8_ISJ_NS7_16discard_iteratorINS7_11use_defaultEEES9_S9_S9_S9_S9_S9_S9_S9_EEEESB_EEENSN_IJSM_SM_EEESB_PlJNSF_9not_fun_tINSF_14equal_to_valueISA_EEEEEEE10hipError_tPvRmT3_T4_T5_T6_T7_T9_mT8_P12ihipStream_tbDpT10_ENKUlT_T0_E_clISt17integral_constantIbLb1EES1J_EEDaS1E_S1F_EUlS1E_E_NS1_11comp_targetILNS1_3genE2ELNS1_11target_archE906ELNS1_3gpuE6ELNS1_3repE0EEENS1_30default_config_static_selectorELNS0_4arch9wavefront6targetE0EEEvT1_.numbered_sgpr, 0
	.set _ZN7rocprim17ROCPRIM_400000_NS6detail17trampoline_kernelINS0_14default_configENS1_25partition_config_selectorILNS1_17partition_subalgoE6EN6thrust23THRUST_200600_302600_NS5tupleIxxNS7_9null_typeES9_S9_S9_S9_S9_S9_S9_EENS0_10empty_typeEbEEZZNS1_14partition_implILS5_6ELb0ES3_mNS7_12zip_iteratorINS8_INS7_6detail15normal_iteratorINS7_10device_ptrIxEEEESJ_S9_S9_S9_S9_S9_S9_S9_S9_EEEEPSB_SM_NS0_5tupleIJNSE_INS8_ISJ_NS7_16discard_iteratorINS7_11use_defaultEEES9_S9_S9_S9_S9_S9_S9_S9_EEEESB_EEENSN_IJSM_SM_EEESB_PlJNSF_9not_fun_tINSF_14equal_to_valueISA_EEEEEEE10hipError_tPvRmT3_T4_T5_T6_T7_T9_mT8_P12ihipStream_tbDpT10_ENKUlT_T0_E_clISt17integral_constantIbLb1EES1J_EEDaS1E_S1F_EUlS1E_E_NS1_11comp_targetILNS1_3genE2ELNS1_11target_archE906ELNS1_3gpuE6ELNS1_3repE0EEENS1_30default_config_static_selectorELNS0_4arch9wavefront6targetE0EEEvT1_.num_named_barrier, 0
	.set _ZN7rocprim17ROCPRIM_400000_NS6detail17trampoline_kernelINS0_14default_configENS1_25partition_config_selectorILNS1_17partition_subalgoE6EN6thrust23THRUST_200600_302600_NS5tupleIxxNS7_9null_typeES9_S9_S9_S9_S9_S9_S9_EENS0_10empty_typeEbEEZZNS1_14partition_implILS5_6ELb0ES3_mNS7_12zip_iteratorINS8_INS7_6detail15normal_iteratorINS7_10device_ptrIxEEEESJ_S9_S9_S9_S9_S9_S9_S9_S9_EEEEPSB_SM_NS0_5tupleIJNSE_INS8_ISJ_NS7_16discard_iteratorINS7_11use_defaultEEES9_S9_S9_S9_S9_S9_S9_S9_EEEESB_EEENSN_IJSM_SM_EEESB_PlJNSF_9not_fun_tINSF_14equal_to_valueISA_EEEEEEE10hipError_tPvRmT3_T4_T5_T6_T7_T9_mT8_P12ihipStream_tbDpT10_ENKUlT_T0_E_clISt17integral_constantIbLb1EES1J_EEDaS1E_S1F_EUlS1E_E_NS1_11comp_targetILNS1_3genE2ELNS1_11target_archE906ELNS1_3gpuE6ELNS1_3repE0EEENS1_30default_config_static_selectorELNS0_4arch9wavefront6targetE0EEEvT1_.private_seg_size, 0
	.set _ZN7rocprim17ROCPRIM_400000_NS6detail17trampoline_kernelINS0_14default_configENS1_25partition_config_selectorILNS1_17partition_subalgoE6EN6thrust23THRUST_200600_302600_NS5tupleIxxNS7_9null_typeES9_S9_S9_S9_S9_S9_S9_EENS0_10empty_typeEbEEZZNS1_14partition_implILS5_6ELb0ES3_mNS7_12zip_iteratorINS8_INS7_6detail15normal_iteratorINS7_10device_ptrIxEEEESJ_S9_S9_S9_S9_S9_S9_S9_S9_EEEEPSB_SM_NS0_5tupleIJNSE_INS8_ISJ_NS7_16discard_iteratorINS7_11use_defaultEEES9_S9_S9_S9_S9_S9_S9_S9_EEEESB_EEENSN_IJSM_SM_EEESB_PlJNSF_9not_fun_tINSF_14equal_to_valueISA_EEEEEEE10hipError_tPvRmT3_T4_T5_T6_T7_T9_mT8_P12ihipStream_tbDpT10_ENKUlT_T0_E_clISt17integral_constantIbLb1EES1J_EEDaS1E_S1F_EUlS1E_E_NS1_11comp_targetILNS1_3genE2ELNS1_11target_archE906ELNS1_3gpuE6ELNS1_3repE0EEENS1_30default_config_static_selectorELNS0_4arch9wavefront6targetE0EEEvT1_.uses_vcc, 0
	.set _ZN7rocprim17ROCPRIM_400000_NS6detail17trampoline_kernelINS0_14default_configENS1_25partition_config_selectorILNS1_17partition_subalgoE6EN6thrust23THRUST_200600_302600_NS5tupleIxxNS7_9null_typeES9_S9_S9_S9_S9_S9_S9_EENS0_10empty_typeEbEEZZNS1_14partition_implILS5_6ELb0ES3_mNS7_12zip_iteratorINS8_INS7_6detail15normal_iteratorINS7_10device_ptrIxEEEESJ_S9_S9_S9_S9_S9_S9_S9_S9_EEEEPSB_SM_NS0_5tupleIJNSE_INS8_ISJ_NS7_16discard_iteratorINS7_11use_defaultEEES9_S9_S9_S9_S9_S9_S9_S9_EEEESB_EEENSN_IJSM_SM_EEESB_PlJNSF_9not_fun_tINSF_14equal_to_valueISA_EEEEEEE10hipError_tPvRmT3_T4_T5_T6_T7_T9_mT8_P12ihipStream_tbDpT10_ENKUlT_T0_E_clISt17integral_constantIbLb1EES1J_EEDaS1E_S1F_EUlS1E_E_NS1_11comp_targetILNS1_3genE2ELNS1_11target_archE906ELNS1_3gpuE6ELNS1_3repE0EEENS1_30default_config_static_selectorELNS0_4arch9wavefront6targetE0EEEvT1_.uses_flat_scratch, 0
	.set _ZN7rocprim17ROCPRIM_400000_NS6detail17trampoline_kernelINS0_14default_configENS1_25partition_config_selectorILNS1_17partition_subalgoE6EN6thrust23THRUST_200600_302600_NS5tupleIxxNS7_9null_typeES9_S9_S9_S9_S9_S9_S9_EENS0_10empty_typeEbEEZZNS1_14partition_implILS5_6ELb0ES3_mNS7_12zip_iteratorINS8_INS7_6detail15normal_iteratorINS7_10device_ptrIxEEEESJ_S9_S9_S9_S9_S9_S9_S9_S9_EEEEPSB_SM_NS0_5tupleIJNSE_INS8_ISJ_NS7_16discard_iteratorINS7_11use_defaultEEES9_S9_S9_S9_S9_S9_S9_S9_EEEESB_EEENSN_IJSM_SM_EEESB_PlJNSF_9not_fun_tINSF_14equal_to_valueISA_EEEEEEE10hipError_tPvRmT3_T4_T5_T6_T7_T9_mT8_P12ihipStream_tbDpT10_ENKUlT_T0_E_clISt17integral_constantIbLb1EES1J_EEDaS1E_S1F_EUlS1E_E_NS1_11comp_targetILNS1_3genE2ELNS1_11target_archE906ELNS1_3gpuE6ELNS1_3repE0EEENS1_30default_config_static_selectorELNS0_4arch9wavefront6targetE0EEEvT1_.has_dyn_sized_stack, 0
	.set _ZN7rocprim17ROCPRIM_400000_NS6detail17trampoline_kernelINS0_14default_configENS1_25partition_config_selectorILNS1_17partition_subalgoE6EN6thrust23THRUST_200600_302600_NS5tupleIxxNS7_9null_typeES9_S9_S9_S9_S9_S9_S9_EENS0_10empty_typeEbEEZZNS1_14partition_implILS5_6ELb0ES3_mNS7_12zip_iteratorINS8_INS7_6detail15normal_iteratorINS7_10device_ptrIxEEEESJ_S9_S9_S9_S9_S9_S9_S9_S9_EEEEPSB_SM_NS0_5tupleIJNSE_INS8_ISJ_NS7_16discard_iteratorINS7_11use_defaultEEES9_S9_S9_S9_S9_S9_S9_S9_EEEESB_EEENSN_IJSM_SM_EEESB_PlJNSF_9not_fun_tINSF_14equal_to_valueISA_EEEEEEE10hipError_tPvRmT3_T4_T5_T6_T7_T9_mT8_P12ihipStream_tbDpT10_ENKUlT_T0_E_clISt17integral_constantIbLb1EES1J_EEDaS1E_S1F_EUlS1E_E_NS1_11comp_targetILNS1_3genE2ELNS1_11target_archE906ELNS1_3gpuE6ELNS1_3repE0EEENS1_30default_config_static_selectorELNS0_4arch9wavefront6targetE0EEEvT1_.has_recursion, 0
	.set _ZN7rocprim17ROCPRIM_400000_NS6detail17trampoline_kernelINS0_14default_configENS1_25partition_config_selectorILNS1_17partition_subalgoE6EN6thrust23THRUST_200600_302600_NS5tupleIxxNS7_9null_typeES9_S9_S9_S9_S9_S9_S9_EENS0_10empty_typeEbEEZZNS1_14partition_implILS5_6ELb0ES3_mNS7_12zip_iteratorINS8_INS7_6detail15normal_iteratorINS7_10device_ptrIxEEEESJ_S9_S9_S9_S9_S9_S9_S9_S9_EEEEPSB_SM_NS0_5tupleIJNSE_INS8_ISJ_NS7_16discard_iteratorINS7_11use_defaultEEES9_S9_S9_S9_S9_S9_S9_S9_EEEESB_EEENSN_IJSM_SM_EEESB_PlJNSF_9not_fun_tINSF_14equal_to_valueISA_EEEEEEE10hipError_tPvRmT3_T4_T5_T6_T7_T9_mT8_P12ihipStream_tbDpT10_ENKUlT_T0_E_clISt17integral_constantIbLb1EES1J_EEDaS1E_S1F_EUlS1E_E_NS1_11comp_targetILNS1_3genE2ELNS1_11target_archE906ELNS1_3gpuE6ELNS1_3repE0EEENS1_30default_config_static_selectorELNS0_4arch9wavefront6targetE0EEEvT1_.has_indirect_call, 0
	.section	.AMDGPU.csdata,"",@progbits
; Kernel info:
; codeLenInByte = 0
; TotalNumSgprs: 0
; NumVgprs: 0
; ScratchSize: 0
; MemoryBound: 0
; FloatMode: 240
; IeeeMode: 1
; LDSByteSize: 0 bytes/workgroup (compile time only)
; SGPRBlocks: 0
; VGPRBlocks: 0
; NumSGPRsForWavesPerEU: 1
; NumVGPRsForWavesPerEU: 1
; Occupancy: 16
; WaveLimiterHint : 0
; COMPUTE_PGM_RSRC2:SCRATCH_EN: 0
; COMPUTE_PGM_RSRC2:USER_SGPR: 2
; COMPUTE_PGM_RSRC2:TRAP_HANDLER: 0
; COMPUTE_PGM_RSRC2:TGID_X_EN: 1
; COMPUTE_PGM_RSRC2:TGID_Y_EN: 0
; COMPUTE_PGM_RSRC2:TGID_Z_EN: 0
; COMPUTE_PGM_RSRC2:TIDIG_COMP_CNT: 0
	.section	.text._ZN7rocprim17ROCPRIM_400000_NS6detail17trampoline_kernelINS0_14default_configENS1_25partition_config_selectorILNS1_17partition_subalgoE6EN6thrust23THRUST_200600_302600_NS5tupleIxxNS7_9null_typeES9_S9_S9_S9_S9_S9_S9_EENS0_10empty_typeEbEEZZNS1_14partition_implILS5_6ELb0ES3_mNS7_12zip_iteratorINS8_INS7_6detail15normal_iteratorINS7_10device_ptrIxEEEESJ_S9_S9_S9_S9_S9_S9_S9_S9_EEEEPSB_SM_NS0_5tupleIJNSE_INS8_ISJ_NS7_16discard_iteratorINS7_11use_defaultEEES9_S9_S9_S9_S9_S9_S9_S9_EEEESB_EEENSN_IJSM_SM_EEESB_PlJNSF_9not_fun_tINSF_14equal_to_valueISA_EEEEEEE10hipError_tPvRmT3_T4_T5_T6_T7_T9_mT8_P12ihipStream_tbDpT10_ENKUlT_T0_E_clISt17integral_constantIbLb1EES1J_EEDaS1E_S1F_EUlS1E_E_NS1_11comp_targetILNS1_3genE10ELNS1_11target_archE1200ELNS1_3gpuE4ELNS1_3repE0EEENS1_30default_config_static_selectorELNS0_4arch9wavefront6targetE0EEEvT1_,"axG",@progbits,_ZN7rocprim17ROCPRIM_400000_NS6detail17trampoline_kernelINS0_14default_configENS1_25partition_config_selectorILNS1_17partition_subalgoE6EN6thrust23THRUST_200600_302600_NS5tupleIxxNS7_9null_typeES9_S9_S9_S9_S9_S9_S9_EENS0_10empty_typeEbEEZZNS1_14partition_implILS5_6ELb0ES3_mNS7_12zip_iteratorINS8_INS7_6detail15normal_iteratorINS7_10device_ptrIxEEEESJ_S9_S9_S9_S9_S9_S9_S9_S9_EEEEPSB_SM_NS0_5tupleIJNSE_INS8_ISJ_NS7_16discard_iteratorINS7_11use_defaultEEES9_S9_S9_S9_S9_S9_S9_S9_EEEESB_EEENSN_IJSM_SM_EEESB_PlJNSF_9not_fun_tINSF_14equal_to_valueISA_EEEEEEE10hipError_tPvRmT3_T4_T5_T6_T7_T9_mT8_P12ihipStream_tbDpT10_ENKUlT_T0_E_clISt17integral_constantIbLb1EES1J_EEDaS1E_S1F_EUlS1E_E_NS1_11comp_targetILNS1_3genE10ELNS1_11target_archE1200ELNS1_3gpuE4ELNS1_3repE0EEENS1_30default_config_static_selectorELNS0_4arch9wavefront6targetE0EEEvT1_,comdat
	.protected	_ZN7rocprim17ROCPRIM_400000_NS6detail17trampoline_kernelINS0_14default_configENS1_25partition_config_selectorILNS1_17partition_subalgoE6EN6thrust23THRUST_200600_302600_NS5tupleIxxNS7_9null_typeES9_S9_S9_S9_S9_S9_S9_EENS0_10empty_typeEbEEZZNS1_14partition_implILS5_6ELb0ES3_mNS7_12zip_iteratorINS8_INS7_6detail15normal_iteratorINS7_10device_ptrIxEEEESJ_S9_S9_S9_S9_S9_S9_S9_S9_EEEEPSB_SM_NS0_5tupleIJNSE_INS8_ISJ_NS7_16discard_iteratorINS7_11use_defaultEEES9_S9_S9_S9_S9_S9_S9_S9_EEEESB_EEENSN_IJSM_SM_EEESB_PlJNSF_9not_fun_tINSF_14equal_to_valueISA_EEEEEEE10hipError_tPvRmT3_T4_T5_T6_T7_T9_mT8_P12ihipStream_tbDpT10_ENKUlT_T0_E_clISt17integral_constantIbLb1EES1J_EEDaS1E_S1F_EUlS1E_E_NS1_11comp_targetILNS1_3genE10ELNS1_11target_archE1200ELNS1_3gpuE4ELNS1_3repE0EEENS1_30default_config_static_selectorELNS0_4arch9wavefront6targetE0EEEvT1_ ; -- Begin function _ZN7rocprim17ROCPRIM_400000_NS6detail17trampoline_kernelINS0_14default_configENS1_25partition_config_selectorILNS1_17partition_subalgoE6EN6thrust23THRUST_200600_302600_NS5tupleIxxNS7_9null_typeES9_S9_S9_S9_S9_S9_S9_EENS0_10empty_typeEbEEZZNS1_14partition_implILS5_6ELb0ES3_mNS7_12zip_iteratorINS8_INS7_6detail15normal_iteratorINS7_10device_ptrIxEEEESJ_S9_S9_S9_S9_S9_S9_S9_S9_EEEEPSB_SM_NS0_5tupleIJNSE_INS8_ISJ_NS7_16discard_iteratorINS7_11use_defaultEEES9_S9_S9_S9_S9_S9_S9_S9_EEEESB_EEENSN_IJSM_SM_EEESB_PlJNSF_9not_fun_tINSF_14equal_to_valueISA_EEEEEEE10hipError_tPvRmT3_T4_T5_T6_T7_T9_mT8_P12ihipStream_tbDpT10_ENKUlT_T0_E_clISt17integral_constantIbLb1EES1J_EEDaS1E_S1F_EUlS1E_E_NS1_11comp_targetILNS1_3genE10ELNS1_11target_archE1200ELNS1_3gpuE4ELNS1_3repE0EEENS1_30default_config_static_selectorELNS0_4arch9wavefront6targetE0EEEvT1_
	.globl	_ZN7rocprim17ROCPRIM_400000_NS6detail17trampoline_kernelINS0_14default_configENS1_25partition_config_selectorILNS1_17partition_subalgoE6EN6thrust23THRUST_200600_302600_NS5tupleIxxNS7_9null_typeES9_S9_S9_S9_S9_S9_S9_EENS0_10empty_typeEbEEZZNS1_14partition_implILS5_6ELb0ES3_mNS7_12zip_iteratorINS8_INS7_6detail15normal_iteratorINS7_10device_ptrIxEEEESJ_S9_S9_S9_S9_S9_S9_S9_S9_EEEEPSB_SM_NS0_5tupleIJNSE_INS8_ISJ_NS7_16discard_iteratorINS7_11use_defaultEEES9_S9_S9_S9_S9_S9_S9_S9_EEEESB_EEENSN_IJSM_SM_EEESB_PlJNSF_9not_fun_tINSF_14equal_to_valueISA_EEEEEEE10hipError_tPvRmT3_T4_T5_T6_T7_T9_mT8_P12ihipStream_tbDpT10_ENKUlT_T0_E_clISt17integral_constantIbLb1EES1J_EEDaS1E_S1F_EUlS1E_E_NS1_11comp_targetILNS1_3genE10ELNS1_11target_archE1200ELNS1_3gpuE4ELNS1_3repE0EEENS1_30default_config_static_selectorELNS0_4arch9wavefront6targetE0EEEvT1_
	.p2align	8
	.type	_ZN7rocprim17ROCPRIM_400000_NS6detail17trampoline_kernelINS0_14default_configENS1_25partition_config_selectorILNS1_17partition_subalgoE6EN6thrust23THRUST_200600_302600_NS5tupleIxxNS7_9null_typeES9_S9_S9_S9_S9_S9_S9_EENS0_10empty_typeEbEEZZNS1_14partition_implILS5_6ELb0ES3_mNS7_12zip_iteratorINS8_INS7_6detail15normal_iteratorINS7_10device_ptrIxEEEESJ_S9_S9_S9_S9_S9_S9_S9_S9_EEEEPSB_SM_NS0_5tupleIJNSE_INS8_ISJ_NS7_16discard_iteratorINS7_11use_defaultEEES9_S9_S9_S9_S9_S9_S9_S9_EEEESB_EEENSN_IJSM_SM_EEESB_PlJNSF_9not_fun_tINSF_14equal_to_valueISA_EEEEEEE10hipError_tPvRmT3_T4_T5_T6_T7_T9_mT8_P12ihipStream_tbDpT10_ENKUlT_T0_E_clISt17integral_constantIbLb1EES1J_EEDaS1E_S1F_EUlS1E_E_NS1_11comp_targetILNS1_3genE10ELNS1_11target_archE1200ELNS1_3gpuE4ELNS1_3repE0EEENS1_30default_config_static_selectorELNS0_4arch9wavefront6targetE0EEEvT1_,@function
_ZN7rocprim17ROCPRIM_400000_NS6detail17trampoline_kernelINS0_14default_configENS1_25partition_config_selectorILNS1_17partition_subalgoE6EN6thrust23THRUST_200600_302600_NS5tupleIxxNS7_9null_typeES9_S9_S9_S9_S9_S9_S9_EENS0_10empty_typeEbEEZZNS1_14partition_implILS5_6ELb0ES3_mNS7_12zip_iteratorINS8_INS7_6detail15normal_iteratorINS7_10device_ptrIxEEEESJ_S9_S9_S9_S9_S9_S9_S9_S9_EEEEPSB_SM_NS0_5tupleIJNSE_INS8_ISJ_NS7_16discard_iteratorINS7_11use_defaultEEES9_S9_S9_S9_S9_S9_S9_S9_EEEESB_EEENSN_IJSM_SM_EEESB_PlJNSF_9not_fun_tINSF_14equal_to_valueISA_EEEEEEE10hipError_tPvRmT3_T4_T5_T6_T7_T9_mT8_P12ihipStream_tbDpT10_ENKUlT_T0_E_clISt17integral_constantIbLb1EES1J_EEDaS1E_S1F_EUlS1E_E_NS1_11comp_targetILNS1_3genE10ELNS1_11target_archE1200ELNS1_3gpuE4ELNS1_3repE0EEENS1_30default_config_static_selectorELNS0_4arch9wavefront6targetE0EEEvT1_: ; @_ZN7rocprim17ROCPRIM_400000_NS6detail17trampoline_kernelINS0_14default_configENS1_25partition_config_selectorILNS1_17partition_subalgoE6EN6thrust23THRUST_200600_302600_NS5tupleIxxNS7_9null_typeES9_S9_S9_S9_S9_S9_S9_EENS0_10empty_typeEbEEZZNS1_14partition_implILS5_6ELb0ES3_mNS7_12zip_iteratorINS8_INS7_6detail15normal_iteratorINS7_10device_ptrIxEEEESJ_S9_S9_S9_S9_S9_S9_S9_S9_EEEEPSB_SM_NS0_5tupleIJNSE_INS8_ISJ_NS7_16discard_iteratorINS7_11use_defaultEEES9_S9_S9_S9_S9_S9_S9_S9_EEEESB_EEENSN_IJSM_SM_EEESB_PlJNSF_9not_fun_tINSF_14equal_to_valueISA_EEEEEEE10hipError_tPvRmT3_T4_T5_T6_T7_T9_mT8_P12ihipStream_tbDpT10_ENKUlT_T0_E_clISt17integral_constantIbLb1EES1J_EEDaS1E_S1F_EUlS1E_E_NS1_11comp_targetILNS1_3genE10ELNS1_11target_archE1200ELNS1_3gpuE4ELNS1_3repE0EEENS1_30default_config_static_selectorELNS0_4arch9wavefront6targetE0EEEvT1_
; %bb.0:
	s_endpgm
	.section	.rodata,"a",@progbits
	.p2align	6, 0x0
	.amdhsa_kernel _ZN7rocprim17ROCPRIM_400000_NS6detail17trampoline_kernelINS0_14default_configENS1_25partition_config_selectorILNS1_17partition_subalgoE6EN6thrust23THRUST_200600_302600_NS5tupleIxxNS7_9null_typeES9_S9_S9_S9_S9_S9_S9_EENS0_10empty_typeEbEEZZNS1_14partition_implILS5_6ELb0ES3_mNS7_12zip_iteratorINS8_INS7_6detail15normal_iteratorINS7_10device_ptrIxEEEESJ_S9_S9_S9_S9_S9_S9_S9_S9_EEEEPSB_SM_NS0_5tupleIJNSE_INS8_ISJ_NS7_16discard_iteratorINS7_11use_defaultEEES9_S9_S9_S9_S9_S9_S9_S9_EEEESB_EEENSN_IJSM_SM_EEESB_PlJNSF_9not_fun_tINSF_14equal_to_valueISA_EEEEEEE10hipError_tPvRmT3_T4_T5_T6_T7_T9_mT8_P12ihipStream_tbDpT10_ENKUlT_T0_E_clISt17integral_constantIbLb1EES1J_EEDaS1E_S1F_EUlS1E_E_NS1_11comp_targetILNS1_3genE10ELNS1_11target_archE1200ELNS1_3gpuE4ELNS1_3repE0EEENS1_30default_config_static_selectorELNS0_4arch9wavefront6targetE0EEEvT1_
		.amdhsa_group_segment_fixed_size 0
		.amdhsa_private_segment_fixed_size 0
		.amdhsa_kernarg_size 160
		.amdhsa_user_sgpr_count 2
		.amdhsa_user_sgpr_dispatch_ptr 0
		.amdhsa_user_sgpr_queue_ptr 0
		.amdhsa_user_sgpr_kernarg_segment_ptr 1
		.amdhsa_user_sgpr_dispatch_id 0
		.amdhsa_user_sgpr_private_segment_size 0
		.amdhsa_wavefront_size32 1
		.amdhsa_uses_dynamic_stack 0
		.amdhsa_enable_private_segment 0
		.amdhsa_system_sgpr_workgroup_id_x 1
		.amdhsa_system_sgpr_workgroup_id_y 0
		.amdhsa_system_sgpr_workgroup_id_z 0
		.amdhsa_system_sgpr_workgroup_info 0
		.amdhsa_system_vgpr_workitem_id 0
		.amdhsa_next_free_vgpr 1
		.amdhsa_next_free_sgpr 1
		.amdhsa_reserve_vcc 0
		.amdhsa_float_round_mode_32 0
		.amdhsa_float_round_mode_16_64 0
		.amdhsa_float_denorm_mode_32 3
		.amdhsa_float_denorm_mode_16_64 3
		.amdhsa_fp16_overflow 0
		.amdhsa_workgroup_processor_mode 1
		.amdhsa_memory_ordered 1
		.amdhsa_forward_progress 1
		.amdhsa_inst_pref_size 1
		.amdhsa_round_robin_scheduling 0
		.amdhsa_exception_fp_ieee_invalid_op 0
		.amdhsa_exception_fp_denorm_src 0
		.amdhsa_exception_fp_ieee_div_zero 0
		.amdhsa_exception_fp_ieee_overflow 0
		.amdhsa_exception_fp_ieee_underflow 0
		.amdhsa_exception_fp_ieee_inexact 0
		.amdhsa_exception_int_div_zero 0
	.end_amdhsa_kernel
	.section	.text._ZN7rocprim17ROCPRIM_400000_NS6detail17trampoline_kernelINS0_14default_configENS1_25partition_config_selectorILNS1_17partition_subalgoE6EN6thrust23THRUST_200600_302600_NS5tupleIxxNS7_9null_typeES9_S9_S9_S9_S9_S9_S9_EENS0_10empty_typeEbEEZZNS1_14partition_implILS5_6ELb0ES3_mNS7_12zip_iteratorINS8_INS7_6detail15normal_iteratorINS7_10device_ptrIxEEEESJ_S9_S9_S9_S9_S9_S9_S9_S9_EEEEPSB_SM_NS0_5tupleIJNSE_INS8_ISJ_NS7_16discard_iteratorINS7_11use_defaultEEES9_S9_S9_S9_S9_S9_S9_S9_EEEESB_EEENSN_IJSM_SM_EEESB_PlJNSF_9not_fun_tINSF_14equal_to_valueISA_EEEEEEE10hipError_tPvRmT3_T4_T5_T6_T7_T9_mT8_P12ihipStream_tbDpT10_ENKUlT_T0_E_clISt17integral_constantIbLb1EES1J_EEDaS1E_S1F_EUlS1E_E_NS1_11comp_targetILNS1_3genE10ELNS1_11target_archE1200ELNS1_3gpuE4ELNS1_3repE0EEENS1_30default_config_static_selectorELNS0_4arch9wavefront6targetE0EEEvT1_,"axG",@progbits,_ZN7rocprim17ROCPRIM_400000_NS6detail17trampoline_kernelINS0_14default_configENS1_25partition_config_selectorILNS1_17partition_subalgoE6EN6thrust23THRUST_200600_302600_NS5tupleIxxNS7_9null_typeES9_S9_S9_S9_S9_S9_S9_EENS0_10empty_typeEbEEZZNS1_14partition_implILS5_6ELb0ES3_mNS7_12zip_iteratorINS8_INS7_6detail15normal_iteratorINS7_10device_ptrIxEEEESJ_S9_S9_S9_S9_S9_S9_S9_S9_EEEEPSB_SM_NS0_5tupleIJNSE_INS8_ISJ_NS7_16discard_iteratorINS7_11use_defaultEEES9_S9_S9_S9_S9_S9_S9_S9_EEEESB_EEENSN_IJSM_SM_EEESB_PlJNSF_9not_fun_tINSF_14equal_to_valueISA_EEEEEEE10hipError_tPvRmT3_T4_T5_T6_T7_T9_mT8_P12ihipStream_tbDpT10_ENKUlT_T0_E_clISt17integral_constantIbLb1EES1J_EEDaS1E_S1F_EUlS1E_E_NS1_11comp_targetILNS1_3genE10ELNS1_11target_archE1200ELNS1_3gpuE4ELNS1_3repE0EEENS1_30default_config_static_selectorELNS0_4arch9wavefront6targetE0EEEvT1_,comdat
.Lfunc_end1994:
	.size	_ZN7rocprim17ROCPRIM_400000_NS6detail17trampoline_kernelINS0_14default_configENS1_25partition_config_selectorILNS1_17partition_subalgoE6EN6thrust23THRUST_200600_302600_NS5tupleIxxNS7_9null_typeES9_S9_S9_S9_S9_S9_S9_EENS0_10empty_typeEbEEZZNS1_14partition_implILS5_6ELb0ES3_mNS7_12zip_iteratorINS8_INS7_6detail15normal_iteratorINS7_10device_ptrIxEEEESJ_S9_S9_S9_S9_S9_S9_S9_S9_EEEEPSB_SM_NS0_5tupleIJNSE_INS8_ISJ_NS7_16discard_iteratorINS7_11use_defaultEEES9_S9_S9_S9_S9_S9_S9_S9_EEEESB_EEENSN_IJSM_SM_EEESB_PlJNSF_9not_fun_tINSF_14equal_to_valueISA_EEEEEEE10hipError_tPvRmT3_T4_T5_T6_T7_T9_mT8_P12ihipStream_tbDpT10_ENKUlT_T0_E_clISt17integral_constantIbLb1EES1J_EEDaS1E_S1F_EUlS1E_E_NS1_11comp_targetILNS1_3genE10ELNS1_11target_archE1200ELNS1_3gpuE4ELNS1_3repE0EEENS1_30default_config_static_selectorELNS0_4arch9wavefront6targetE0EEEvT1_, .Lfunc_end1994-_ZN7rocprim17ROCPRIM_400000_NS6detail17trampoline_kernelINS0_14default_configENS1_25partition_config_selectorILNS1_17partition_subalgoE6EN6thrust23THRUST_200600_302600_NS5tupleIxxNS7_9null_typeES9_S9_S9_S9_S9_S9_S9_EENS0_10empty_typeEbEEZZNS1_14partition_implILS5_6ELb0ES3_mNS7_12zip_iteratorINS8_INS7_6detail15normal_iteratorINS7_10device_ptrIxEEEESJ_S9_S9_S9_S9_S9_S9_S9_S9_EEEEPSB_SM_NS0_5tupleIJNSE_INS8_ISJ_NS7_16discard_iteratorINS7_11use_defaultEEES9_S9_S9_S9_S9_S9_S9_S9_EEEESB_EEENSN_IJSM_SM_EEESB_PlJNSF_9not_fun_tINSF_14equal_to_valueISA_EEEEEEE10hipError_tPvRmT3_T4_T5_T6_T7_T9_mT8_P12ihipStream_tbDpT10_ENKUlT_T0_E_clISt17integral_constantIbLb1EES1J_EEDaS1E_S1F_EUlS1E_E_NS1_11comp_targetILNS1_3genE10ELNS1_11target_archE1200ELNS1_3gpuE4ELNS1_3repE0EEENS1_30default_config_static_selectorELNS0_4arch9wavefront6targetE0EEEvT1_
                                        ; -- End function
	.set _ZN7rocprim17ROCPRIM_400000_NS6detail17trampoline_kernelINS0_14default_configENS1_25partition_config_selectorILNS1_17partition_subalgoE6EN6thrust23THRUST_200600_302600_NS5tupleIxxNS7_9null_typeES9_S9_S9_S9_S9_S9_S9_EENS0_10empty_typeEbEEZZNS1_14partition_implILS5_6ELb0ES3_mNS7_12zip_iteratorINS8_INS7_6detail15normal_iteratorINS7_10device_ptrIxEEEESJ_S9_S9_S9_S9_S9_S9_S9_S9_EEEEPSB_SM_NS0_5tupleIJNSE_INS8_ISJ_NS7_16discard_iteratorINS7_11use_defaultEEES9_S9_S9_S9_S9_S9_S9_S9_EEEESB_EEENSN_IJSM_SM_EEESB_PlJNSF_9not_fun_tINSF_14equal_to_valueISA_EEEEEEE10hipError_tPvRmT3_T4_T5_T6_T7_T9_mT8_P12ihipStream_tbDpT10_ENKUlT_T0_E_clISt17integral_constantIbLb1EES1J_EEDaS1E_S1F_EUlS1E_E_NS1_11comp_targetILNS1_3genE10ELNS1_11target_archE1200ELNS1_3gpuE4ELNS1_3repE0EEENS1_30default_config_static_selectorELNS0_4arch9wavefront6targetE0EEEvT1_.num_vgpr, 0
	.set _ZN7rocprim17ROCPRIM_400000_NS6detail17trampoline_kernelINS0_14default_configENS1_25partition_config_selectorILNS1_17partition_subalgoE6EN6thrust23THRUST_200600_302600_NS5tupleIxxNS7_9null_typeES9_S9_S9_S9_S9_S9_S9_EENS0_10empty_typeEbEEZZNS1_14partition_implILS5_6ELb0ES3_mNS7_12zip_iteratorINS8_INS7_6detail15normal_iteratorINS7_10device_ptrIxEEEESJ_S9_S9_S9_S9_S9_S9_S9_S9_EEEEPSB_SM_NS0_5tupleIJNSE_INS8_ISJ_NS7_16discard_iteratorINS7_11use_defaultEEES9_S9_S9_S9_S9_S9_S9_S9_EEEESB_EEENSN_IJSM_SM_EEESB_PlJNSF_9not_fun_tINSF_14equal_to_valueISA_EEEEEEE10hipError_tPvRmT3_T4_T5_T6_T7_T9_mT8_P12ihipStream_tbDpT10_ENKUlT_T0_E_clISt17integral_constantIbLb1EES1J_EEDaS1E_S1F_EUlS1E_E_NS1_11comp_targetILNS1_3genE10ELNS1_11target_archE1200ELNS1_3gpuE4ELNS1_3repE0EEENS1_30default_config_static_selectorELNS0_4arch9wavefront6targetE0EEEvT1_.num_agpr, 0
	.set _ZN7rocprim17ROCPRIM_400000_NS6detail17trampoline_kernelINS0_14default_configENS1_25partition_config_selectorILNS1_17partition_subalgoE6EN6thrust23THRUST_200600_302600_NS5tupleIxxNS7_9null_typeES9_S9_S9_S9_S9_S9_S9_EENS0_10empty_typeEbEEZZNS1_14partition_implILS5_6ELb0ES3_mNS7_12zip_iteratorINS8_INS7_6detail15normal_iteratorINS7_10device_ptrIxEEEESJ_S9_S9_S9_S9_S9_S9_S9_S9_EEEEPSB_SM_NS0_5tupleIJNSE_INS8_ISJ_NS7_16discard_iteratorINS7_11use_defaultEEES9_S9_S9_S9_S9_S9_S9_S9_EEEESB_EEENSN_IJSM_SM_EEESB_PlJNSF_9not_fun_tINSF_14equal_to_valueISA_EEEEEEE10hipError_tPvRmT3_T4_T5_T6_T7_T9_mT8_P12ihipStream_tbDpT10_ENKUlT_T0_E_clISt17integral_constantIbLb1EES1J_EEDaS1E_S1F_EUlS1E_E_NS1_11comp_targetILNS1_3genE10ELNS1_11target_archE1200ELNS1_3gpuE4ELNS1_3repE0EEENS1_30default_config_static_selectorELNS0_4arch9wavefront6targetE0EEEvT1_.numbered_sgpr, 0
	.set _ZN7rocprim17ROCPRIM_400000_NS6detail17trampoline_kernelINS0_14default_configENS1_25partition_config_selectorILNS1_17partition_subalgoE6EN6thrust23THRUST_200600_302600_NS5tupleIxxNS7_9null_typeES9_S9_S9_S9_S9_S9_S9_EENS0_10empty_typeEbEEZZNS1_14partition_implILS5_6ELb0ES3_mNS7_12zip_iteratorINS8_INS7_6detail15normal_iteratorINS7_10device_ptrIxEEEESJ_S9_S9_S9_S9_S9_S9_S9_S9_EEEEPSB_SM_NS0_5tupleIJNSE_INS8_ISJ_NS7_16discard_iteratorINS7_11use_defaultEEES9_S9_S9_S9_S9_S9_S9_S9_EEEESB_EEENSN_IJSM_SM_EEESB_PlJNSF_9not_fun_tINSF_14equal_to_valueISA_EEEEEEE10hipError_tPvRmT3_T4_T5_T6_T7_T9_mT8_P12ihipStream_tbDpT10_ENKUlT_T0_E_clISt17integral_constantIbLb1EES1J_EEDaS1E_S1F_EUlS1E_E_NS1_11comp_targetILNS1_3genE10ELNS1_11target_archE1200ELNS1_3gpuE4ELNS1_3repE0EEENS1_30default_config_static_selectorELNS0_4arch9wavefront6targetE0EEEvT1_.num_named_barrier, 0
	.set _ZN7rocprim17ROCPRIM_400000_NS6detail17trampoline_kernelINS0_14default_configENS1_25partition_config_selectorILNS1_17partition_subalgoE6EN6thrust23THRUST_200600_302600_NS5tupleIxxNS7_9null_typeES9_S9_S9_S9_S9_S9_S9_EENS0_10empty_typeEbEEZZNS1_14partition_implILS5_6ELb0ES3_mNS7_12zip_iteratorINS8_INS7_6detail15normal_iteratorINS7_10device_ptrIxEEEESJ_S9_S9_S9_S9_S9_S9_S9_S9_EEEEPSB_SM_NS0_5tupleIJNSE_INS8_ISJ_NS7_16discard_iteratorINS7_11use_defaultEEES9_S9_S9_S9_S9_S9_S9_S9_EEEESB_EEENSN_IJSM_SM_EEESB_PlJNSF_9not_fun_tINSF_14equal_to_valueISA_EEEEEEE10hipError_tPvRmT3_T4_T5_T6_T7_T9_mT8_P12ihipStream_tbDpT10_ENKUlT_T0_E_clISt17integral_constantIbLb1EES1J_EEDaS1E_S1F_EUlS1E_E_NS1_11comp_targetILNS1_3genE10ELNS1_11target_archE1200ELNS1_3gpuE4ELNS1_3repE0EEENS1_30default_config_static_selectorELNS0_4arch9wavefront6targetE0EEEvT1_.private_seg_size, 0
	.set _ZN7rocprim17ROCPRIM_400000_NS6detail17trampoline_kernelINS0_14default_configENS1_25partition_config_selectorILNS1_17partition_subalgoE6EN6thrust23THRUST_200600_302600_NS5tupleIxxNS7_9null_typeES9_S9_S9_S9_S9_S9_S9_EENS0_10empty_typeEbEEZZNS1_14partition_implILS5_6ELb0ES3_mNS7_12zip_iteratorINS8_INS7_6detail15normal_iteratorINS7_10device_ptrIxEEEESJ_S9_S9_S9_S9_S9_S9_S9_S9_EEEEPSB_SM_NS0_5tupleIJNSE_INS8_ISJ_NS7_16discard_iteratorINS7_11use_defaultEEES9_S9_S9_S9_S9_S9_S9_S9_EEEESB_EEENSN_IJSM_SM_EEESB_PlJNSF_9not_fun_tINSF_14equal_to_valueISA_EEEEEEE10hipError_tPvRmT3_T4_T5_T6_T7_T9_mT8_P12ihipStream_tbDpT10_ENKUlT_T0_E_clISt17integral_constantIbLb1EES1J_EEDaS1E_S1F_EUlS1E_E_NS1_11comp_targetILNS1_3genE10ELNS1_11target_archE1200ELNS1_3gpuE4ELNS1_3repE0EEENS1_30default_config_static_selectorELNS0_4arch9wavefront6targetE0EEEvT1_.uses_vcc, 0
	.set _ZN7rocprim17ROCPRIM_400000_NS6detail17trampoline_kernelINS0_14default_configENS1_25partition_config_selectorILNS1_17partition_subalgoE6EN6thrust23THRUST_200600_302600_NS5tupleIxxNS7_9null_typeES9_S9_S9_S9_S9_S9_S9_EENS0_10empty_typeEbEEZZNS1_14partition_implILS5_6ELb0ES3_mNS7_12zip_iteratorINS8_INS7_6detail15normal_iteratorINS7_10device_ptrIxEEEESJ_S9_S9_S9_S9_S9_S9_S9_S9_EEEEPSB_SM_NS0_5tupleIJNSE_INS8_ISJ_NS7_16discard_iteratorINS7_11use_defaultEEES9_S9_S9_S9_S9_S9_S9_S9_EEEESB_EEENSN_IJSM_SM_EEESB_PlJNSF_9not_fun_tINSF_14equal_to_valueISA_EEEEEEE10hipError_tPvRmT3_T4_T5_T6_T7_T9_mT8_P12ihipStream_tbDpT10_ENKUlT_T0_E_clISt17integral_constantIbLb1EES1J_EEDaS1E_S1F_EUlS1E_E_NS1_11comp_targetILNS1_3genE10ELNS1_11target_archE1200ELNS1_3gpuE4ELNS1_3repE0EEENS1_30default_config_static_selectorELNS0_4arch9wavefront6targetE0EEEvT1_.uses_flat_scratch, 0
	.set _ZN7rocprim17ROCPRIM_400000_NS6detail17trampoline_kernelINS0_14default_configENS1_25partition_config_selectorILNS1_17partition_subalgoE6EN6thrust23THRUST_200600_302600_NS5tupleIxxNS7_9null_typeES9_S9_S9_S9_S9_S9_S9_EENS0_10empty_typeEbEEZZNS1_14partition_implILS5_6ELb0ES3_mNS7_12zip_iteratorINS8_INS7_6detail15normal_iteratorINS7_10device_ptrIxEEEESJ_S9_S9_S9_S9_S9_S9_S9_S9_EEEEPSB_SM_NS0_5tupleIJNSE_INS8_ISJ_NS7_16discard_iteratorINS7_11use_defaultEEES9_S9_S9_S9_S9_S9_S9_S9_EEEESB_EEENSN_IJSM_SM_EEESB_PlJNSF_9not_fun_tINSF_14equal_to_valueISA_EEEEEEE10hipError_tPvRmT3_T4_T5_T6_T7_T9_mT8_P12ihipStream_tbDpT10_ENKUlT_T0_E_clISt17integral_constantIbLb1EES1J_EEDaS1E_S1F_EUlS1E_E_NS1_11comp_targetILNS1_3genE10ELNS1_11target_archE1200ELNS1_3gpuE4ELNS1_3repE0EEENS1_30default_config_static_selectorELNS0_4arch9wavefront6targetE0EEEvT1_.has_dyn_sized_stack, 0
	.set _ZN7rocprim17ROCPRIM_400000_NS6detail17trampoline_kernelINS0_14default_configENS1_25partition_config_selectorILNS1_17partition_subalgoE6EN6thrust23THRUST_200600_302600_NS5tupleIxxNS7_9null_typeES9_S9_S9_S9_S9_S9_S9_EENS0_10empty_typeEbEEZZNS1_14partition_implILS5_6ELb0ES3_mNS7_12zip_iteratorINS8_INS7_6detail15normal_iteratorINS7_10device_ptrIxEEEESJ_S9_S9_S9_S9_S9_S9_S9_S9_EEEEPSB_SM_NS0_5tupleIJNSE_INS8_ISJ_NS7_16discard_iteratorINS7_11use_defaultEEES9_S9_S9_S9_S9_S9_S9_S9_EEEESB_EEENSN_IJSM_SM_EEESB_PlJNSF_9not_fun_tINSF_14equal_to_valueISA_EEEEEEE10hipError_tPvRmT3_T4_T5_T6_T7_T9_mT8_P12ihipStream_tbDpT10_ENKUlT_T0_E_clISt17integral_constantIbLb1EES1J_EEDaS1E_S1F_EUlS1E_E_NS1_11comp_targetILNS1_3genE10ELNS1_11target_archE1200ELNS1_3gpuE4ELNS1_3repE0EEENS1_30default_config_static_selectorELNS0_4arch9wavefront6targetE0EEEvT1_.has_recursion, 0
	.set _ZN7rocprim17ROCPRIM_400000_NS6detail17trampoline_kernelINS0_14default_configENS1_25partition_config_selectorILNS1_17partition_subalgoE6EN6thrust23THRUST_200600_302600_NS5tupleIxxNS7_9null_typeES9_S9_S9_S9_S9_S9_S9_EENS0_10empty_typeEbEEZZNS1_14partition_implILS5_6ELb0ES3_mNS7_12zip_iteratorINS8_INS7_6detail15normal_iteratorINS7_10device_ptrIxEEEESJ_S9_S9_S9_S9_S9_S9_S9_S9_EEEEPSB_SM_NS0_5tupleIJNSE_INS8_ISJ_NS7_16discard_iteratorINS7_11use_defaultEEES9_S9_S9_S9_S9_S9_S9_S9_EEEESB_EEENSN_IJSM_SM_EEESB_PlJNSF_9not_fun_tINSF_14equal_to_valueISA_EEEEEEE10hipError_tPvRmT3_T4_T5_T6_T7_T9_mT8_P12ihipStream_tbDpT10_ENKUlT_T0_E_clISt17integral_constantIbLb1EES1J_EEDaS1E_S1F_EUlS1E_E_NS1_11comp_targetILNS1_3genE10ELNS1_11target_archE1200ELNS1_3gpuE4ELNS1_3repE0EEENS1_30default_config_static_selectorELNS0_4arch9wavefront6targetE0EEEvT1_.has_indirect_call, 0
	.section	.AMDGPU.csdata,"",@progbits
; Kernel info:
; codeLenInByte = 4
; TotalNumSgprs: 0
; NumVgprs: 0
; ScratchSize: 0
; MemoryBound: 0
; FloatMode: 240
; IeeeMode: 1
; LDSByteSize: 0 bytes/workgroup (compile time only)
; SGPRBlocks: 0
; VGPRBlocks: 0
; NumSGPRsForWavesPerEU: 1
; NumVGPRsForWavesPerEU: 1
; Occupancy: 16
; WaveLimiterHint : 0
; COMPUTE_PGM_RSRC2:SCRATCH_EN: 0
; COMPUTE_PGM_RSRC2:USER_SGPR: 2
; COMPUTE_PGM_RSRC2:TRAP_HANDLER: 0
; COMPUTE_PGM_RSRC2:TGID_X_EN: 1
; COMPUTE_PGM_RSRC2:TGID_Y_EN: 0
; COMPUTE_PGM_RSRC2:TGID_Z_EN: 0
; COMPUTE_PGM_RSRC2:TIDIG_COMP_CNT: 0
	.section	.text._ZN7rocprim17ROCPRIM_400000_NS6detail17trampoline_kernelINS0_14default_configENS1_25partition_config_selectorILNS1_17partition_subalgoE6EN6thrust23THRUST_200600_302600_NS5tupleIxxNS7_9null_typeES9_S9_S9_S9_S9_S9_S9_EENS0_10empty_typeEbEEZZNS1_14partition_implILS5_6ELb0ES3_mNS7_12zip_iteratorINS8_INS7_6detail15normal_iteratorINS7_10device_ptrIxEEEESJ_S9_S9_S9_S9_S9_S9_S9_S9_EEEEPSB_SM_NS0_5tupleIJNSE_INS8_ISJ_NS7_16discard_iteratorINS7_11use_defaultEEES9_S9_S9_S9_S9_S9_S9_S9_EEEESB_EEENSN_IJSM_SM_EEESB_PlJNSF_9not_fun_tINSF_14equal_to_valueISA_EEEEEEE10hipError_tPvRmT3_T4_T5_T6_T7_T9_mT8_P12ihipStream_tbDpT10_ENKUlT_T0_E_clISt17integral_constantIbLb1EES1J_EEDaS1E_S1F_EUlS1E_E_NS1_11comp_targetILNS1_3genE9ELNS1_11target_archE1100ELNS1_3gpuE3ELNS1_3repE0EEENS1_30default_config_static_selectorELNS0_4arch9wavefront6targetE0EEEvT1_,"axG",@progbits,_ZN7rocprim17ROCPRIM_400000_NS6detail17trampoline_kernelINS0_14default_configENS1_25partition_config_selectorILNS1_17partition_subalgoE6EN6thrust23THRUST_200600_302600_NS5tupleIxxNS7_9null_typeES9_S9_S9_S9_S9_S9_S9_EENS0_10empty_typeEbEEZZNS1_14partition_implILS5_6ELb0ES3_mNS7_12zip_iteratorINS8_INS7_6detail15normal_iteratorINS7_10device_ptrIxEEEESJ_S9_S9_S9_S9_S9_S9_S9_S9_EEEEPSB_SM_NS0_5tupleIJNSE_INS8_ISJ_NS7_16discard_iteratorINS7_11use_defaultEEES9_S9_S9_S9_S9_S9_S9_S9_EEEESB_EEENSN_IJSM_SM_EEESB_PlJNSF_9not_fun_tINSF_14equal_to_valueISA_EEEEEEE10hipError_tPvRmT3_T4_T5_T6_T7_T9_mT8_P12ihipStream_tbDpT10_ENKUlT_T0_E_clISt17integral_constantIbLb1EES1J_EEDaS1E_S1F_EUlS1E_E_NS1_11comp_targetILNS1_3genE9ELNS1_11target_archE1100ELNS1_3gpuE3ELNS1_3repE0EEENS1_30default_config_static_selectorELNS0_4arch9wavefront6targetE0EEEvT1_,comdat
	.protected	_ZN7rocprim17ROCPRIM_400000_NS6detail17trampoline_kernelINS0_14default_configENS1_25partition_config_selectorILNS1_17partition_subalgoE6EN6thrust23THRUST_200600_302600_NS5tupleIxxNS7_9null_typeES9_S9_S9_S9_S9_S9_S9_EENS0_10empty_typeEbEEZZNS1_14partition_implILS5_6ELb0ES3_mNS7_12zip_iteratorINS8_INS7_6detail15normal_iteratorINS7_10device_ptrIxEEEESJ_S9_S9_S9_S9_S9_S9_S9_S9_EEEEPSB_SM_NS0_5tupleIJNSE_INS8_ISJ_NS7_16discard_iteratorINS7_11use_defaultEEES9_S9_S9_S9_S9_S9_S9_S9_EEEESB_EEENSN_IJSM_SM_EEESB_PlJNSF_9not_fun_tINSF_14equal_to_valueISA_EEEEEEE10hipError_tPvRmT3_T4_T5_T6_T7_T9_mT8_P12ihipStream_tbDpT10_ENKUlT_T0_E_clISt17integral_constantIbLb1EES1J_EEDaS1E_S1F_EUlS1E_E_NS1_11comp_targetILNS1_3genE9ELNS1_11target_archE1100ELNS1_3gpuE3ELNS1_3repE0EEENS1_30default_config_static_selectorELNS0_4arch9wavefront6targetE0EEEvT1_ ; -- Begin function _ZN7rocprim17ROCPRIM_400000_NS6detail17trampoline_kernelINS0_14default_configENS1_25partition_config_selectorILNS1_17partition_subalgoE6EN6thrust23THRUST_200600_302600_NS5tupleIxxNS7_9null_typeES9_S9_S9_S9_S9_S9_S9_EENS0_10empty_typeEbEEZZNS1_14partition_implILS5_6ELb0ES3_mNS7_12zip_iteratorINS8_INS7_6detail15normal_iteratorINS7_10device_ptrIxEEEESJ_S9_S9_S9_S9_S9_S9_S9_S9_EEEEPSB_SM_NS0_5tupleIJNSE_INS8_ISJ_NS7_16discard_iteratorINS7_11use_defaultEEES9_S9_S9_S9_S9_S9_S9_S9_EEEESB_EEENSN_IJSM_SM_EEESB_PlJNSF_9not_fun_tINSF_14equal_to_valueISA_EEEEEEE10hipError_tPvRmT3_T4_T5_T6_T7_T9_mT8_P12ihipStream_tbDpT10_ENKUlT_T0_E_clISt17integral_constantIbLb1EES1J_EEDaS1E_S1F_EUlS1E_E_NS1_11comp_targetILNS1_3genE9ELNS1_11target_archE1100ELNS1_3gpuE3ELNS1_3repE0EEENS1_30default_config_static_selectorELNS0_4arch9wavefront6targetE0EEEvT1_
	.globl	_ZN7rocprim17ROCPRIM_400000_NS6detail17trampoline_kernelINS0_14default_configENS1_25partition_config_selectorILNS1_17partition_subalgoE6EN6thrust23THRUST_200600_302600_NS5tupleIxxNS7_9null_typeES9_S9_S9_S9_S9_S9_S9_EENS0_10empty_typeEbEEZZNS1_14partition_implILS5_6ELb0ES3_mNS7_12zip_iteratorINS8_INS7_6detail15normal_iteratorINS7_10device_ptrIxEEEESJ_S9_S9_S9_S9_S9_S9_S9_S9_EEEEPSB_SM_NS0_5tupleIJNSE_INS8_ISJ_NS7_16discard_iteratorINS7_11use_defaultEEES9_S9_S9_S9_S9_S9_S9_S9_EEEESB_EEENSN_IJSM_SM_EEESB_PlJNSF_9not_fun_tINSF_14equal_to_valueISA_EEEEEEE10hipError_tPvRmT3_T4_T5_T6_T7_T9_mT8_P12ihipStream_tbDpT10_ENKUlT_T0_E_clISt17integral_constantIbLb1EES1J_EEDaS1E_S1F_EUlS1E_E_NS1_11comp_targetILNS1_3genE9ELNS1_11target_archE1100ELNS1_3gpuE3ELNS1_3repE0EEENS1_30default_config_static_selectorELNS0_4arch9wavefront6targetE0EEEvT1_
	.p2align	8
	.type	_ZN7rocprim17ROCPRIM_400000_NS6detail17trampoline_kernelINS0_14default_configENS1_25partition_config_selectorILNS1_17partition_subalgoE6EN6thrust23THRUST_200600_302600_NS5tupleIxxNS7_9null_typeES9_S9_S9_S9_S9_S9_S9_EENS0_10empty_typeEbEEZZNS1_14partition_implILS5_6ELb0ES3_mNS7_12zip_iteratorINS8_INS7_6detail15normal_iteratorINS7_10device_ptrIxEEEESJ_S9_S9_S9_S9_S9_S9_S9_S9_EEEEPSB_SM_NS0_5tupleIJNSE_INS8_ISJ_NS7_16discard_iteratorINS7_11use_defaultEEES9_S9_S9_S9_S9_S9_S9_S9_EEEESB_EEENSN_IJSM_SM_EEESB_PlJNSF_9not_fun_tINSF_14equal_to_valueISA_EEEEEEE10hipError_tPvRmT3_T4_T5_T6_T7_T9_mT8_P12ihipStream_tbDpT10_ENKUlT_T0_E_clISt17integral_constantIbLb1EES1J_EEDaS1E_S1F_EUlS1E_E_NS1_11comp_targetILNS1_3genE9ELNS1_11target_archE1100ELNS1_3gpuE3ELNS1_3repE0EEENS1_30default_config_static_selectorELNS0_4arch9wavefront6targetE0EEEvT1_,@function
_ZN7rocprim17ROCPRIM_400000_NS6detail17trampoline_kernelINS0_14default_configENS1_25partition_config_selectorILNS1_17partition_subalgoE6EN6thrust23THRUST_200600_302600_NS5tupleIxxNS7_9null_typeES9_S9_S9_S9_S9_S9_S9_EENS0_10empty_typeEbEEZZNS1_14partition_implILS5_6ELb0ES3_mNS7_12zip_iteratorINS8_INS7_6detail15normal_iteratorINS7_10device_ptrIxEEEESJ_S9_S9_S9_S9_S9_S9_S9_S9_EEEEPSB_SM_NS0_5tupleIJNSE_INS8_ISJ_NS7_16discard_iteratorINS7_11use_defaultEEES9_S9_S9_S9_S9_S9_S9_S9_EEEESB_EEENSN_IJSM_SM_EEESB_PlJNSF_9not_fun_tINSF_14equal_to_valueISA_EEEEEEE10hipError_tPvRmT3_T4_T5_T6_T7_T9_mT8_P12ihipStream_tbDpT10_ENKUlT_T0_E_clISt17integral_constantIbLb1EES1J_EEDaS1E_S1F_EUlS1E_E_NS1_11comp_targetILNS1_3genE9ELNS1_11target_archE1100ELNS1_3gpuE3ELNS1_3repE0EEENS1_30default_config_static_selectorELNS0_4arch9wavefront6targetE0EEEvT1_: ; @_ZN7rocprim17ROCPRIM_400000_NS6detail17trampoline_kernelINS0_14default_configENS1_25partition_config_selectorILNS1_17partition_subalgoE6EN6thrust23THRUST_200600_302600_NS5tupleIxxNS7_9null_typeES9_S9_S9_S9_S9_S9_S9_EENS0_10empty_typeEbEEZZNS1_14partition_implILS5_6ELb0ES3_mNS7_12zip_iteratorINS8_INS7_6detail15normal_iteratorINS7_10device_ptrIxEEEESJ_S9_S9_S9_S9_S9_S9_S9_S9_EEEEPSB_SM_NS0_5tupleIJNSE_INS8_ISJ_NS7_16discard_iteratorINS7_11use_defaultEEES9_S9_S9_S9_S9_S9_S9_S9_EEEESB_EEENSN_IJSM_SM_EEESB_PlJNSF_9not_fun_tINSF_14equal_to_valueISA_EEEEEEE10hipError_tPvRmT3_T4_T5_T6_T7_T9_mT8_P12ihipStream_tbDpT10_ENKUlT_T0_E_clISt17integral_constantIbLb1EES1J_EEDaS1E_S1F_EUlS1E_E_NS1_11comp_targetILNS1_3genE9ELNS1_11target_archE1100ELNS1_3gpuE3ELNS1_3repE0EEENS1_30default_config_static_selectorELNS0_4arch9wavefront6targetE0EEEvT1_
; %bb.0:
	.section	.rodata,"a",@progbits
	.p2align	6, 0x0
	.amdhsa_kernel _ZN7rocprim17ROCPRIM_400000_NS6detail17trampoline_kernelINS0_14default_configENS1_25partition_config_selectorILNS1_17partition_subalgoE6EN6thrust23THRUST_200600_302600_NS5tupleIxxNS7_9null_typeES9_S9_S9_S9_S9_S9_S9_EENS0_10empty_typeEbEEZZNS1_14partition_implILS5_6ELb0ES3_mNS7_12zip_iteratorINS8_INS7_6detail15normal_iteratorINS7_10device_ptrIxEEEESJ_S9_S9_S9_S9_S9_S9_S9_S9_EEEEPSB_SM_NS0_5tupleIJNSE_INS8_ISJ_NS7_16discard_iteratorINS7_11use_defaultEEES9_S9_S9_S9_S9_S9_S9_S9_EEEESB_EEENSN_IJSM_SM_EEESB_PlJNSF_9not_fun_tINSF_14equal_to_valueISA_EEEEEEE10hipError_tPvRmT3_T4_T5_T6_T7_T9_mT8_P12ihipStream_tbDpT10_ENKUlT_T0_E_clISt17integral_constantIbLb1EES1J_EEDaS1E_S1F_EUlS1E_E_NS1_11comp_targetILNS1_3genE9ELNS1_11target_archE1100ELNS1_3gpuE3ELNS1_3repE0EEENS1_30default_config_static_selectorELNS0_4arch9wavefront6targetE0EEEvT1_
		.amdhsa_group_segment_fixed_size 0
		.amdhsa_private_segment_fixed_size 0
		.amdhsa_kernarg_size 160
		.amdhsa_user_sgpr_count 2
		.amdhsa_user_sgpr_dispatch_ptr 0
		.amdhsa_user_sgpr_queue_ptr 0
		.amdhsa_user_sgpr_kernarg_segment_ptr 1
		.amdhsa_user_sgpr_dispatch_id 0
		.amdhsa_user_sgpr_private_segment_size 0
		.amdhsa_wavefront_size32 1
		.amdhsa_uses_dynamic_stack 0
		.amdhsa_enable_private_segment 0
		.amdhsa_system_sgpr_workgroup_id_x 1
		.amdhsa_system_sgpr_workgroup_id_y 0
		.amdhsa_system_sgpr_workgroup_id_z 0
		.amdhsa_system_sgpr_workgroup_info 0
		.amdhsa_system_vgpr_workitem_id 0
		.amdhsa_next_free_vgpr 1
		.amdhsa_next_free_sgpr 1
		.amdhsa_reserve_vcc 0
		.amdhsa_float_round_mode_32 0
		.amdhsa_float_round_mode_16_64 0
		.amdhsa_float_denorm_mode_32 3
		.amdhsa_float_denorm_mode_16_64 3
		.amdhsa_fp16_overflow 0
		.amdhsa_workgroup_processor_mode 1
		.amdhsa_memory_ordered 1
		.amdhsa_forward_progress 1
		.amdhsa_inst_pref_size 0
		.amdhsa_round_robin_scheduling 0
		.amdhsa_exception_fp_ieee_invalid_op 0
		.amdhsa_exception_fp_denorm_src 0
		.amdhsa_exception_fp_ieee_div_zero 0
		.amdhsa_exception_fp_ieee_overflow 0
		.amdhsa_exception_fp_ieee_underflow 0
		.amdhsa_exception_fp_ieee_inexact 0
		.amdhsa_exception_int_div_zero 0
	.end_amdhsa_kernel
	.section	.text._ZN7rocprim17ROCPRIM_400000_NS6detail17trampoline_kernelINS0_14default_configENS1_25partition_config_selectorILNS1_17partition_subalgoE6EN6thrust23THRUST_200600_302600_NS5tupleIxxNS7_9null_typeES9_S9_S9_S9_S9_S9_S9_EENS0_10empty_typeEbEEZZNS1_14partition_implILS5_6ELb0ES3_mNS7_12zip_iteratorINS8_INS7_6detail15normal_iteratorINS7_10device_ptrIxEEEESJ_S9_S9_S9_S9_S9_S9_S9_S9_EEEEPSB_SM_NS0_5tupleIJNSE_INS8_ISJ_NS7_16discard_iteratorINS7_11use_defaultEEES9_S9_S9_S9_S9_S9_S9_S9_EEEESB_EEENSN_IJSM_SM_EEESB_PlJNSF_9not_fun_tINSF_14equal_to_valueISA_EEEEEEE10hipError_tPvRmT3_T4_T5_T6_T7_T9_mT8_P12ihipStream_tbDpT10_ENKUlT_T0_E_clISt17integral_constantIbLb1EES1J_EEDaS1E_S1F_EUlS1E_E_NS1_11comp_targetILNS1_3genE9ELNS1_11target_archE1100ELNS1_3gpuE3ELNS1_3repE0EEENS1_30default_config_static_selectorELNS0_4arch9wavefront6targetE0EEEvT1_,"axG",@progbits,_ZN7rocprim17ROCPRIM_400000_NS6detail17trampoline_kernelINS0_14default_configENS1_25partition_config_selectorILNS1_17partition_subalgoE6EN6thrust23THRUST_200600_302600_NS5tupleIxxNS7_9null_typeES9_S9_S9_S9_S9_S9_S9_EENS0_10empty_typeEbEEZZNS1_14partition_implILS5_6ELb0ES3_mNS7_12zip_iteratorINS8_INS7_6detail15normal_iteratorINS7_10device_ptrIxEEEESJ_S9_S9_S9_S9_S9_S9_S9_S9_EEEEPSB_SM_NS0_5tupleIJNSE_INS8_ISJ_NS7_16discard_iteratorINS7_11use_defaultEEES9_S9_S9_S9_S9_S9_S9_S9_EEEESB_EEENSN_IJSM_SM_EEESB_PlJNSF_9not_fun_tINSF_14equal_to_valueISA_EEEEEEE10hipError_tPvRmT3_T4_T5_T6_T7_T9_mT8_P12ihipStream_tbDpT10_ENKUlT_T0_E_clISt17integral_constantIbLb1EES1J_EEDaS1E_S1F_EUlS1E_E_NS1_11comp_targetILNS1_3genE9ELNS1_11target_archE1100ELNS1_3gpuE3ELNS1_3repE0EEENS1_30default_config_static_selectorELNS0_4arch9wavefront6targetE0EEEvT1_,comdat
.Lfunc_end1995:
	.size	_ZN7rocprim17ROCPRIM_400000_NS6detail17trampoline_kernelINS0_14default_configENS1_25partition_config_selectorILNS1_17partition_subalgoE6EN6thrust23THRUST_200600_302600_NS5tupleIxxNS7_9null_typeES9_S9_S9_S9_S9_S9_S9_EENS0_10empty_typeEbEEZZNS1_14partition_implILS5_6ELb0ES3_mNS7_12zip_iteratorINS8_INS7_6detail15normal_iteratorINS7_10device_ptrIxEEEESJ_S9_S9_S9_S9_S9_S9_S9_S9_EEEEPSB_SM_NS0_5tupleIJNSE_INS8_ISJ_NS7_16discard_iteratorINS7_11use_defaultEEES9_S9_S9_S9_S9_S9_S9_S9_EEEESB_EEENSN_IJSM_SM_EEESB_PlJNSF_9not_fun_tINSF_14equal_to_valueISA_EEEEEEE10hipError_tPvRmT3_T4_T5_T6_T7_T9_mT8_P12ihipStream_tbDpT10_ENKUlT_T0_E_clISt17integral_constantIbLb1EES1J_EEDaS1E_S1F_EUlS1E_E_NS1_11comp_targetILNS1_3genE9ELNS1_11target_archE1100ELNS1_3gpuE3ELNS1_3repE0EEENS1_30default_config_static_selectorELNS0_4arch9wavefront6targetE0EEEvT1_, .Lfunc_end1995-_ZN7rocprim17ROCPRIM_400000_NS6detail17trampoline_kernelINS0_14default_configENS1_25partition_config_selectorILNS1_17partition_subalgoE6EN6thrust23THRUST_200600_302600_NS5tupleIxxNS7_9null_typeES9_S9_S9_S9_S9_S9_S9_EENS0_10empty_typeEbEEZZNS1_14partition_implILS5_6ELb0ES3_mNS7_12zip_iteratorINS8_INS7_6detail15normal_iteratorINS7_10device_ptrIxEEEESJ_S9_S9_S9_S9_S9_S9_S9_S9_EEEEPSB_SM_NS0_5tupleIJNSE_INS8_ISJ_NS7_16discard_iteratorINS7_11use_defaultEEES9_S9_S9_S9_S9_S9_S9_S9_EEEESB_EEENSN_IJSM_SM_EEESB_PlJNSF_9not_fun_tINSF_14equal_to_valueISA_EEEEEEE10hipError_tPvRmT3_T4_T5_T6_T7_T9_mT8_P12ihipStream_tbDpT10_ENKUlT_T0_E_clISt17integral_constantIbLb1EES1J_EEDaS1E_S1F_EUlS1E_E_NS1_11comp_targetILNS1_3genE9ELNS1_11target_archE1100ELNS1_3gpuE3ELNS1_3repE0EEENS1_30default_config_static_selectorELNS0_4arch9wavefront6targetE0EEEvT1_
                                        ; -- End function
	.set _ZN7rocprim17ROCPRIM_400000_NS6detail17trampoline_kernelINS0_14default_configENS1_25partition_config_selectorILNS1_17partition_subalgoE6EN6thrust23THRUST_200600_302600_NS5tupleIxxNS7_9null_typeES9_S9_S9_S9_S9_S9_S9_EENS0_10empty_typeEbEEZZNS1_14partition_implILS5_6ELb0ES3_mNS7_12zip_iteratorINS8_INS7_6detail15normal_iteratorINS7_10device_ptrIxEEEESJ_S9_S9_S9_S9_S9_S9_S9_S9_EEEEPSB_SM_NS0_5tupleIJNSE_INS8_ISJ_NS7_16discard_iteratorINS7_11use_defaultEEES9_S9_S9_S9_S9_S9_S9_S9_EEEESB_EEENSN_IJSM_SM_EEESB_PlJNSF_9not_fun_tINSF_14equal_to_valueISA_EEEEEEE10hipError_tPvRmT3_T4_T5_T6_T7_T9_mT8_P12ihipStream_tbDpT10_ENKUlT_T0_E_clISt17integral_constantIbLb1EES1J_EEDaS1E_S1F_EUlS1E_E_NS1_11comp_targetILNS1_3genE9ELNS1_11target_archE1100ELNS1_3gpuE3ELNS1_3repE0EEENS1_30default_config_static_selectorELNS0_4arch9wavefront6targetE0EEEvT1_.num_vgpr, 0
	.set _ZN7rocprim17ROCPRIM_400000_NS6detail17trampoline_kernelINS0_14default_configENS1_25partition_config_selectorILNS1_17partition_subalgoE6EN6thrust23THRUST_200600_302600_NS5tupleIxxNS7_9null_typeES9_S9_S9_S9_S9_S9_S9_EENS0_10empty_typeEbEEZZNS1_14partition_implILS5_6ELb0ES3_mNS7_12zip_iteratorINS8_INS7_6detail15normal_iteratorINS7_10device_ptrIxEEEESJ_S9_S9_S9_S9_S9_S9_S9_S9_EEEEPSB_SM_NS0_5tupleIJNSE_INS8_ISJ_NS7_16discard_iteratorINS7_11use_defaultEEES9_S9_S9_S9_S9_S9_S9_S9_EEEESB_EEENSN_IJSM_SM_EEESB_PlJNSF_9not_fun_tINSF_14equal_to_valueISA_EEEEEEE10hipError_tPvRmT3_T4_T5_T6_T7_T9_mT8_P12ihipStream_tbDpT10_ENKUlT_T0_E_clISt17integral_constantIbLb1EES1J_EEDaS1E_S1F_EUlS1E_E_NS1_11comp_targetILNS1_3genE9ELNS1_11target_archE1100ELNS1_3gpuE3ELNS1_3repE0EEENS1_30default_config_static_selectorELNS0_4arch9wavefront6targetE0EEEvT1_.num_agpr, 0
	.set _ZN7rocprim17ROCPRIM_400000_NS6detail17trampoline_kernelINS0_14default_configENS1_25partition_config_selectorILNS1_17partition_subalgoE6EN6thrust23THRUST_200600_302600_NS5tupleIxxNS7_9null_typeES9_S9_S9_S9_S9_S9_S9_EENS0_10empty_typeEbEEZZNS1_14partition_implILS5_6ELb0ES3_mNS7_12zip_iteratorINS8_INS7_6detail15normal_iteratorINS7_10device_ptrIxEEEESJ_S9_S9_S9_S9_S9_S9_S9_S9_EEEEPSB_SM_NS0_5tupleIJNSE_INS8_ISJ_NS7_16discard_iteratorINS7_11use_defaultEEES9_S9_S9_S9_S9_S9_S9_S9_EEEESB_EEENSN_IJSM_SM_EEESB_PlJNSF_9not_fun_tINSF_14equal_to_valueISA_EEEEEEE10hipError_tPvRmT3_T4_T5_T6_T7_T9_mT8_P12ihipStream_tbDpT10_ENKUlT_T0_E_clISt17integral_constantIbLb1EES1J_EEDaS1E_S1F_EUlS1E_E_NS1_11comp_targetILNS1_3genE9ELNS1_11target_archE1100ELNS1_3gpuE3ELNS1_3repE0EEENS1_30default_config_static_selectorELNS0_4arch9wavefront6targetE0EEEvT1_.numbered_sgpr, 0
	.set _ZN7rocprim17ROCPRIM_400000_NS6detail17trampoline_kernelINS0_14default_configENS1_25partition_config_selectorILNS1_17partition_subalgoE6EN6thrust23THRUST_200600_302600_NS5tupleIxxNS7_9null_typeES9_S9_S9_S9_S9_S9_S9_EENS0_10empty_typeEbEEZZNS1_14partition_implILS5_6ELb0ES3_mNS7_12zip_iteratorINS8_INS7_6detail15normal_iteratorINS7_10device_ptrIxEEEESJ_S9_S9_S9_S9_S9_S9_S9_S9_EEEEPSB_SM_NS0_5tupleIJNSE_INS8_ISJ_NS7_16discard_iteratorINS7_11use_defaultEEES9_S9_S9_S9_S9_S9_S9_S9_EEEESB_EEENSN_IJSM_SM_EEESB_PlJNSF_9not_fun_tINSF_14equal_to_valueISA_EEEEEEE10hipError_tPvRmT3_T4_T5_T6_T7_T9_mT8_P12ihipStream_tbDpT10_ENKUlT_T0_E_clISt17integral_constantIbLb1EES1J_EEDaS1E_S1F_EUlS1E_E_NS1_11comp_targetILNS1_3genE9ELNS1_11target_archE1100ELNS1_3gpuE3ELNS1_3repE0EEENS1_30default_config_static_selectorELNS0_4arch9wavefront6targetE0EEEvT1_.num_named_barrier, 0
	.set _ZN7rocprim17ROCPRIM_400000_NS6detail17trampoline_kernelINS0_14default_configENS1_25partition_config_selectorILNS1_17partition_subalgoE6EN6thrust23THRUST_200600_302600_NS5tupleIxxNS7_9null_typeES9_S9_S9_S9_S9_S9_S9_EENS0_10empty_typeEbEEZZNS1_14partition_implILS5_6ELb0ES3_mNS7_12zip_iteratorINS8_INS7_6detail15normal_iteratorINS7_10device_ptrIxEEEESJ_S9_S9_S9_S9_S9_S9_S9_S9_EEEEPSB_SM_NS0_5tupleIJNSE_INS8_ISJ_NS7_16discard_iteratorINS7_11use_defaultEEES9_S9_S9_S9_S9_S9_S9_S9_EEEESB_EEENSN_IJSM_SM_EEESB_PlJNSF_9not_fun_tINSF_14equal_to_valueISA_EEEEEEE10hipError_tPvRmT3_T4_T5_T6_T7_T9_mT8_P12ihipStream_tbDpT10_ENKUlT_T0_E_clISt17integral_constantIbLb1EES1J_EEDaS1E_S1F_EUlS1E_E_NS1_11comp_targetILNS1_3genE9ELNS1_11target_archE1100ELNS1_3gpuE3ELNS1_3repE0EEENS1_30default_config_static_selectorELNS0_4arch9wavefront6targetE0EEEvT1_.private_seg_size, 0
	.set _ZN7rocprim17ROCPRIM_400000_NS6detail17trampoline_kernelINS0_14default_configENS1_25partition_config_selectorILNS1_17partition_subalgoE6EN6thrust23THRUST_200600_302600_NS5tupleIxxNS7_9null_typeES9_S9_S9_S9_S9_S9_S9_EENS0_10empty_typeEbEEZZNS1_14partition_implILS5_6ELb0ES3_mNS7_12zip_iteratorINS8_INS7_6detail15normal_iteratorINS7_10device_ptrIxEEEESJ_S9_S9_S9_S9_S9_S9_S9_S9_EEEEPSB_SM_NS0_5tupleIJNSE_INS8_ISJ_NS7_16discard_iteratorINS7_11use_defaultEEES9_S9_S9_S9_S9_S9_S9_S9_EEEESB_EEENSN_IJSM_SM_EEESB_PlJNSF_9not_fun_tINSF_14equal_to_valueISA_EEEEEEE10hipError_tPvRmT3_T4_T5_T6_T7_T9_mT8_P12ihipStream_tbDpT10_ENKUlT_T0_E_clISt17integral_constantIbLb1EES1J_EEDaS1E_S1F_EUlS1E_E_NS1_11comp_targetILNS1_3genE9ELNS1_11target_archE1100ELNS1_3gpuE3ELNS1_3repE0EEENS1_30default_config_static_selectorELNS0_4arch9wavefront6targetE0EEEvT1_.uses_vcc, 0
	.set _ZN7rocprim17ROCPRIM_400000_NS6detail17trampoline_kernelINS0_14default_configENS1_25partition_config_selectorILNS1_17partition_subalgoE6EN6thrust23THRUST_200600_302600_NS5tupleIxxNS7_9null_typeES9_S9_S9_S9_S9_S9_S9_EENS0_10empty_typeEbEEZZNS1_14partition_implILS5_6ELb0ES3_mNS7_12zip_iteratorINS8_INS7_6detail15normal_iteratorINS7_10device_ptrIxEEEESJ_S9_S9_S9_S9_S9_S9_S9_S9_EEEEPSB_SM_NS0_5tupleIJNSE_INS8_ISJ_NS7_16discard_iteratorINS7_11use_defaultEEES9_S9_S9_S9_S9_S9_S9_S9_EEEESB_EEENSN_IJSM_SM_EEESB_PlJNSF_9not_fun_tINSF_14equal_to_valueISA_EEEEEEE10hipError_tPvRmT3_T4_T5_T6_T7_T9_mT8_P12ihipStream_tbDpT10_ENKUlT_T0_E_clISt17integral_constantIbLb1EES1J_EEDaS1E_S1F_EUlS1E_E_NS1_11comp_targetILNS1_3genE9ELNS1_11target_archE1100ELNS1_3gpuE3ELNS1_3repE0EEENS1_30default_config_static_selectorELNS0_4arch9wavefront6targetE0EEEvT1_.uses_flat_scratch, 0
	.set _ZN7rocprim17ROCPRIM_400000_NS6detail17trampoline_kernelINS0_14default_configENS1_25partition_config_selectorILNS1_17partition_subalgoE6EN6thrust23THRUST_200600_302600_NS5tupleIxxNS7_9null_typeES9_S9_S9_S9_S9_S9_S9_EENS0_10empty_typeEbEEZZNS1_14partition_implILS5_6ELb0ES3_mNS7_12zip_iteratorINS8_INS7_6detail15normal_iteratorINS7_10device_ptrIxEEEESJ_S9_S9_S9_S9_S9_S9_S9_S9_EEEEPSB_SM_NS0_5tupleIJNSE_INS8_ISJ_NS7_16discard_iteratorINS7_11use_defaultEEES9_S9_S9_S9_S9_S9_S9_S9_EEEESB_EEENSN_IJSM_SM_EEESB_PlJNSF_9not_fun_tINSF_14equal_to_valueISA_EEEEEEE10hipError_tPvRmT3_T4_T5_T6_T7_T9_mT8_P12ihipStream_tbDpT10_ENKUlT_T0_E_clISt17integral_constantIbLb1EES1J_EEDaS1E_S1F_EUlS1E_E_NS1_11comp_targetILNS1_3genE9ELNS1_11target_archE1100ELNS1_3gpuE3ELNS1_3repE0EEENS1_30default_config_static_selectorELNS0_4arch9wavefront6targetE0EEEvT1_.has_dyn_sized_stack, 0
	.set _ZN7rocprim17ROCPRIM_400000_NS6detail17trampoline_kernelINS0_14default_configENS1_25partition_config_selectorILNS1_17partition_subalgoE6EN6thrust23THRUST_200600_302600_NS5tupleIxxNS7_9null_typeES9_S9_S9_S9_S9_S9_S9_EENS0_10empty_typeEbEEZZNS1_14partition_implILS5_6ELb0ES3_mNS7_12zip_iteratorINS8_INS7_6detail15normal_iteratorINS7_10device_ptrIxEEEESJ_S9_S9_S9_S9_S9_S9_S9_S9_EEEEPSB_SM_NS0_5tupleIJNSE_INS8_ISJ_NS7_16discard_iteratorINS7_11use_defaultEEES9_S9_S9_S9_S9_S9_S9_S9_EEEESB_EEENSN_IJSM_SM_EEESB_PlJNSF_9not_fun_tINSF_14equal_to_valueISA_EEEEEEE10hipError_tPvRmT3_T4_T5_T6_T7_T9_mT8_P12ihipStream_tbDpT10_ENKUlT_T0_E_clISt17integral_constantIbLb1EES1J_EEDaS1E_S1F_EUlS1E_E_NS1_11comp_targetILNS1_3genE9ELNS1_11target_archE1100ELNS1_3gpuE3ELNS1_3repE0EEENS1_30default_config_static_selectorELNS0_4arch9wavefront6targetE0EEEvT1_.has_recursion, 0
	.set _ZN7rocprim17ROCPRIM_400000_NS6detail17trampoline_kernelINS0_14default_configENS1_25partition_config_selectorILNS1_17partition_subalgoE6EN6thrust23THRUST_200600_302600_NS5tupleIxxNS7_9null_typeES9_S9_S9_S9_S9_S9_S9_EENS0_10empty_typeEbEEZZNS1_14partition_implILS5_6ELb0ES3_mNS7_12zip_iteratorINS8_INS7_6detail15normal_iteratorINS7_10device_ptrIxEEEESJ_S9_S9_S9_S9_S9_S9_S9_S9_EEEEPSB_SM_NS0_5tupleIJNSE_INS8_ISJ_NS7_16discard_iteratorINS7_11use_defaultEEES9_S9_S9_S9_S9_S9_S9_S9_EEEESB_EEENSN_IJSM_SM_EEESB_PlJNSF_9not_fun_tINSF_14equal_to_valueISA_EEEEEEE10hipError_tPvRmT3_T4_T5_T6_T7_T9_mT8_P12ihipStream_tbDpT10_ENKUlT_T0_E_clISt17integral_constantIbLb1EES1J_EEDaS1E_S1F_EUlS1E_E_NS1_11comp_targetILNS1_3genE9ELNS1_11target_archE1100ELNS1_3gpuE3ELNS1_3repE0EEENS1_30default_config_static_selectorELNS0_4arch9wavefront6targetE0EEEvT1_.has_indirect_call, 0
	.section	.AMDGPU.csdata,"",@progbits
; Kernel info:
; codeLenInByte = 0
; TotalNumSgprs: 0
; NumVgprs: 0
; ScratchSize: 0
; MemoryBound: 0
; FloatMode: 240
; IeeeMode: 1
; LDSByteSize: 0 bytes/workgroup (compile time only)
; SGPRBlocks: 0
; VGPRBlocks: 0
; NumSGPRsForWavesPerEU: 1
; NumVGPRsForWavesPerEU: 1
; Occupancy: 16
; WaveLimiterHint : 0
; COMPUTE_PGM_RSRC2:SCRATCH_EN: 0
; COMPUTE_PGM_RSRC2:USER_SGPR: 2
; COMPUTE_PGM_RSRC2:TRAP_HANDLER: 0
; COMPUTE_PGM_RSRC2:TGID_X_EN: 1
; COMPUTE_PGM_RSRC2:TGID_Y_EN: 0
; COMPUTE_PGM_RSRC2:TGID_Z_EN: 0
; COMPUTE_PGM_RSRC2:TIDIG_COMP_CNT: 0
	.section	.text._ZN7rocprim17ROCPRIM_400000_NS6detail17trampoline_kernelINS0_14default_configENS1_25partition_config_selectorILNS1_17partition_subalgoE6EN6thrust23THRUST_200600_302600_NS5tupleIxxNS7_9null_typeES9_S9_S9_S9_S9_S9_S9_EENS0_10empty_typeEbEEZZNS1_14partition_implILS5_6ELb0ES3_mNS7_12zip_iteratorINS8_INS7_6detail15normal_iteratorINS7_10device_ptrIxEEEESJ_S9_S9_S9_S9_S9_S9_S9_S9_EEEEPSB_SM_NS0_5tupleIJNSE_INS8_ISJ_NS7_16discard_iteratorINS7_11use_defaultEEES9_S9_S9_S9_S9_S9_S9_S9_EEEESB_EEENSN_IJSM_SM_EEESB_PlJNSF_9not_fun_tINSF_14equal_to_valueISA_EEEEEEE10hipError_tPvRmT3_T4_T5_T6_T7_T9_mT8_P12ihipStream_tbDpT10_ENKUlT_T0_E_clISt17integral_constantIbLb1EES1J_EEDaS1E_S1F_EUlS1E_E_NS1_11comp_targetILNS1_3genE8ELNS1_11target_archE1030ELNS1_3gpuE2ELNS1_3repE0EEENS1_30default_config_static_selectorELNS0_4arch9wavefront6targetE0EEEvT1_,"axG",@progbits,_ZN7rocprim17ROCPRIM_400000_NS6detail17trampoline_kernelINS0_14default_configENS1_25partition_config_selectorILNS1_17partition_subalgoE6EN6thrust23THRUST_200600_302600_NS5tupleIxxNS7_9null_typeES9_S9_S9_S9_S9_S9_S9_EENS0_10empty_typeEbEEZZNS1_14partition_implILS5_6ELb0ES3_mNS7_12zip_iteratorINS8_INS7_6detail15normal_iteratorINS7_10device_ptrIxEEEESJ_S9_S9_S9_S9_S9_S9_S9_S9_EEEEPSB_SM_NS0_5tupleIJNSE_INS8_ISJ_NS7_16discard_iteratorINS7_11use_defaultEEES9_S9_S9_S9_S9_S9_S9_S9_EEEESB_EEENSN_IJSM_SM_EEESB_PlJNSF_9not_fun_tINSF_14equal_to_valueISA_EEEEEEE10hipError_tPvRmT3_T4_T5_T6_T7_T9_mT8_P12ihipStream_tbDpT10_ENKUlT_T0_E_clISt17integral_constantIbLb1EES1J_EEDaS1E_S1F_EUlS1E_E_NS1_11comp_targetILNS1_3genE8ELNS1_11target_archE1030ELNS1_3gpuE2ELNS1_3repE0EEENS1_30default_config_static_selectorELNS0_4arch9wavefront6targetE0EEEvT1_,comdat
	.protected	_ZN7rocprim17ROCPRIM_400000_NS6detail17trampoline_kernelINS0_14default_configENS1_25partition_config_selectorILNS1_17partition_subalgoE6EN6thrust23THRUST_200600_302600_NS5tupleIxxNS7_9null_typeES9_S9_S9_S9_S9_S9_S9_EENS0_10empty_typeEbEEZZNS1_14partition_implILS5_6ELb0ES3_mNS7_12zip_iteratorINS8_INS7_6detail15normal_iteratorINS7_10device_ptrIxEEEESJ_S9_S9_S9_S9_S9_S9_S9_S9_EEEEPSB_SM_NS0_5tupleIJNSE_INS8_ISJ_NS7_16discard_iteratorINS7_11use_defaultEEES9_S9_S9_S9_S9_S9_S9_S9_EEEESB_EEENSN_IJSM_SM_EEESB_PlJNSF_9not_fun_tINSF_14equal_to_valueISA_EEEEEEE10hipError_tPvRmT3_T4_T5_T6_T7_T9_mT8_P12ihipStream_tbDpT10_ENKUlT_T0_E_clISt17integral_constantIbLb1EES1J_EEDaS1E_S1F_EUlS1E_E_NS1_11comp_targetILNS1_3genE8ELNS1_11target_archE1030ELNS1_3gpuE2ELNS1_3repE0EEENS1_30default_config_static_selectorELNS0_4arch9wavefront6targetE0EEEvT1_ ; -- Begin function _ZN7rocprim17ROCPRIM_400000_NS6detail17trampoline_kernelINS0_14default_configENS1_25partition_config_selectorILNS1_17partition_subalgoE6EN6thrust23THRUST_200600_302600_NS5tupleIxxNS7_9null_typeES9_S9_S9_S9_S9_S9_S9_EENS0_10empty_typeEbEEZZNS1_14partition_implILS5_6ELb0ES3_mNS7_12zip_iteratorINS8_INS7_6detail15normal_iteratorINS7_10device_ptrIxEEEESJ_S9_S9_S9_S9_S9_S9_S9_S9_EEEEPSB_SM_NS0_5tupleIJNSE_INS8_ISJ_NS7_16discard_iteratorINS7_11use_defaultEEES9_S9_S9_S9_S9_S9_S9_S9_EEEESB_EEENSN_IJSM_SM_EEESB_PlJNSF_9not_fun_tINSF_14equal_to_valueISA_EEEEEEE10hipError_tPvRmT3_T4_T5_T6_T7_T9_mT8_P12ihipStream_tbDpT10_ENKUlT_T0_E_clISt17integral_constantIbLb1EES1J_EEDaS1E_S1F_EUlS1E_E_NS1_11comp_targetILNS1_3genE8ELNS1_11target_archE1030ELNS1_3gpuE2ELNS1_3repE0EEENS1_30default_config_static_selectorELNS0_4arch9wavefront6targetE0EEEvT1_
	.globl	_ZN7rocprim17ROCPRIM_400000_NS6detail17trampoline_kernelINS0_14default_configENS1_25partition_config_selectorILNS1_17partition_subalgoE6EN6thrust23THRUST_200600_302600_NS5tupleIxxNS7_9null_typeES9_S9_S9_S9_S9_S9_S9_EENS0_10empty_typeEbEEZZNS1_14partition_implILS5_6ELb0ES3_mNS7_12zip_iteratorINS8_INS7_6detail15normal_iteratorINS7_10device_ptrIxEEEESJ_S9_S9_S9_S9_S9_S9_S9_S9_EEEEPSB_SM_NS0_5tupleIJNSE_INS8_ISJ_NS7_16discard_iteratorINS7_11use_defaultEEES9_S9_S9_S9_S9_S9_S9_S9_EEEESB_EEENSN_IJSM_SM_EEESB_PlJNSF_9not_fun_tINSF_14equal_to_valueISA_EEEEEEE10hipError_tPvRmT3_T4_T5_T6_T7_T9_mT8_P12ihipStream_tbDpT10_ENKUlT_T0_E_clISt17integral_constantIbLb1EES1J_EEDaS1E_S1F_EUlS1E_E_NS1_11comp_targetILNS1_3genE8ELNS1_11target_archE1030ELNS1_3gpuE2ELNS1_3repE0EEENS1_30default_config_static_selectorELNS0_4arch9wavefront6targetE0EEEvT1_
	.p2align	8
	.type	_ZN7rocprim17ROCPRIM_400000_NS6detail17trampoline_kernelINS0_14default_configENS1_25partition_config_selectorILNS1_17partition_subalgoE6EN6thrust23THRUST_200600_302600_NS5tupleIxxNS7_9null_typeES9_S9_S9_S9_S9_S9_S9_EENS0_10empty_typeEbEEZZNS1_14partition_implILS5_6ELb0ES3_mNS7_12zip_iteratorINS8_INS7_6detail15normal_iteratorINS7_10device_ptrIxEEEESJ_S9_S9_S9_S9_S9_S9_S9_S9_EEEEPSB_SM_NS0_5tupleIJNSE_INS8_ISJ_NS7_16discard_iteratorINS7_11use_defaultEEES9_S9_S9_S9_S9_S9_S9_S9_EEEESB_EEENSN_IJSM_SM_EEESB_PlJNSF_9not_fun_tINSF_14equal_to_valueISA_EEEEEEE10hipError_tPvRmT3_T4_T5_T6_T7_T9_mT8_P12ihipStream_tbDpT10_ENKUlT_T0_E_clISt17integral_constantIbLb1EES1J_EEDaS1E_S1F_EUlS1E_E_NS1_11comp_targetILNS1_3genE8ELNS1_11target_archE1030ELNS1_3gpuE2ELNS1_3repE0EEENS1_30default_config_static_selectorELNS0_4arch9wavefront6targetE0EEEvT1_,@function
_ZN7rocprim17ROCPRIM_400000_NS6detail17trampoline_kernelINS0_14default_configENS1_25partition_config_selectorILNS1_17partition_subalgoE6EN6thrust23THRUST_200600_302600_NS5tupleIxxNS7_9null_typeES9_S9_S9_S9_S9_S9_S9_EENS0_10empty_typeEbEEZZNS1_14partition_implILS5_6ELb0ES3_mNS7_12zip_iteratorINS8_INS7_6detail15normal_iteratorINS7_10device_ptrIxEEEESJ_S9_S9_S9_S9_S9_S9_S9_S9_EEEEPSB_SM_NS0_5tupleIJNSE_INS8_ISJ_NS7_16discard_iteratorINS7_11use_defaultEEES9_S9_S9_S9_S9_S9_S9_S9_EEEESB_EEENSN_IJSM_SM_EEESB_PlJNSF_9not_fun_tINSF_14equal_to_valueISA_EEEEEEE10hipError_tPvRmT3_T4_T5_T6_T7_T9_mT8_P12ihipStream_tbDpT10_ENKUlT_T0_E_clISt17integral_constantIbLb1EES1J_EEDaS1E_S1F_EUlS1E_E_NS1_11comp_targetILNS1_3genE8ELNS1_11target_archE1030ELNS1_3gpuE2ELNS1_3repE0EEENS1_30default_config_static_selectorELNS0_4arch9wavefront6targetE0EEEvT1_: ; @_ZN7rocprim17ROCPRIM_400000_NS6detail17trampoline_kernelINS0_14default_configENS1_25partition_config_selectorILNS1_17partition_subalgoE6EN6thrust23THRUST_200600_302600_NS5tupleIxxNS7_9null_typeES9_S9_S9_S9_S9_S9_S9_EENS0_10empty_typeEbEEZZNS1_14partition_implILS5_6ELb0ES3_mNS7_12zip_iteratorINS8_INS7_6detail15normal_iteratorINS7_10device_ptrIxEEEESJ_S9_S9_S9_S9_S9_S9_S9_S9_EEEEPSB_SM_NS0_5tupleIJNSE_INS8_ISJ_NS7_16discard_iteratorINS7_11use_defaultEEES9_S9_S9_S9_S9_S9_S9_S9_EEEESB_EEENSN_IJSM_SM_EEESB_PlJNSF_9not_fun_tINSF_14equal_to_valueISA_EEEEEEE10hipError_tPvRmT3_T4_T5_T6_T7_T9_mT8_P12ihipStream_tbDpT10_ENKUlT_T0_E_clISt17integral_constantIbLb1EES1J_EEDaS1E_S1F_EUlS1E_E_NS1_11comp_targetILNS1_3genE8ELNS1_11target_archE1030ELNS1_3gpuE2ELNS1_3repE0EEENS1_30default_config_static_selectorELNS0_4arch9wavefront6targetE0EEEvT1_
; %bb.0:
	.section	.rodata,"a",@progbits
	.p2align	6, 0x0
	.amdhsa_kernel _ZN7rocprim17ROCPRIM_400000_NS6detail17trampoline_kernelINS0_14default_configENS1_25partition_config_selectorILNS1_17partition_subalgoE6EN6thrust23THRUST_200600_302600_NS5tupleIxxNS7_9null_typeES9_S9_S9_S9_S9_S9_S9_EENS0_10empty_typeEbEEZZNS1_14partition_implILS5_6ELb0ES3_mNS7_12zip_iteratorINS8_INS7_6detail15normal_iteratorINS7_10device_ptrIxEEEESJ_S9_S9_S9_S9_S9_S9_S9_S9_EEEEPSB_SM_NS0_5tupleIJNSE_INS8_ISJ_NS7_16discard_iteratorINS7_11use_defaultEEES9_S9_S9_S9_S9_S9_S9_S9_EEEESB_EEENSN_IJSM_SM_EEESB_PlJNSF_9not_fun_tINSF_14equal_to_valueISA_EEEEEEE10hipError_tPvRmT3_T4_T5_T6_T7_T9_mT8_P12ihipStream_tbDpT10_ENKUlT_T0_E_clISt17integral_constantIbLb1EES1J_EEDaS1E_S1F_EUlS1E_E_NS1_11comp_targetILNS1_3genE8ELNS1_11target_archE1030ELNS1_3gpuE2ELNS1_3repE0EEENS1_30default_config_static_selectorELNS0_4arch9wavefront6targetE0EEEvT1_
		.amdhsa_group_segment_fixed_size 0
		.amdhsa_private_segment_fixed_size 0
		.amdhsa_kernarg_size 160
		.amdhsa_user_sgpr_count 2
		.amdhsa_user_sgpr_dispatch_ptr 0
		.amdhsa_user_sgpr_queue_ptr 0
		.amdhsa_user_sgpr_kernarg_segment_ptr 1
		.amdhsa_user_sgpr_dispatch_id 0
		.amdhsa_user_sgpr_private_segment_size 0
		.amdhsa_wavefront_size32 1
		.amdhsa_uses_dynamic_stack 0
		.amdhsa_enable_private_segment 0
		.amdhsa_system_sgpr_workgroup_id_x 1
		.amdhsa_system_sgpr_workgroup_id_y 0
		.amdhsa_system_sgpr_workgroup_id_z 0
		.amdhsa_system_sgpr_workgroup_info 0
		.amdhsa_system_vgpr_workitem_id 0
		.amdhsa_next_free_vgpr 1
		.amdhsa_next_free_sgpr 1
		.amdhsa_reserve_vcc 0
		.amdhsa_float_round_mode_32 0
		.amdhsa_float_round_mode_16_64 0
		.amdhsa_float_denorm_mode_32 3
		.amdhsa_float_denorm_mode_16_64 3
		.amdhsa_fp16_overflow 0
		.amdhsa_workgroup_processor_mode 1
		.amdhsa_memory_ordered 1
		.amdhsa_forward_progress 1
		.amdhsa_inst_pref_size 0
		.amdhsa_round_robin_scheduling 0
		.amdhsa_exception_fp_ieee_invalid_op 0
		.amdhsa_exception_fp_denorm_src 0
		.amdhsa_exception_fp_ieee_div_zero 0
		.amdhsa_exception_fp_ieee_overflow 0
		.amdhsa_exception_fp_ieee_underflow 0
		.amdhsa_exception_fp_ieee_inexact 0
		.amdhsa_exception_int_div_zero 0
	.end_amdhsa_kernel
	.section	.text._ZN7rocprim17ROCPRIM_400000_NS6detail17trampoline_kernelINS0_14default_configENS1_25partition_config_selectorILNS1_17partition_subalgoE6EN6thrust23THRUST_200600_302600_NS5tupleIxxNS7_9null_typeES9_S9_S9_S9_S9_S9_S9_EENS0_10empty_typeEbEEZZNS1_14partition_implILS5_6ELb0ES3_mNS7_12zip_iteratorINS8_INS7_6detail15normal_iteratorINS7_10device_ptrIxEEEESJ_S9_S9_S9_S9_S9_S9_S9_S9_EEEEPSB_SM_NS0_5tupleIJNSE_INS8_ISJ_NS7_16discard_iteratorINS7_11use_defaultEEES9_S9_S9_S9_S9_S9_S9_S9_EEEESB_EEENSN_IJSM_SM_EEESB_PlJNSF_9not_fun_tINSF_14equal_to_valueISA_EEEEEEE10hipError_tPvRmT3_T4_T5_T6_T7_T9_mT8_P12ihipStream_tbDpT10_ENKUlT_T0_E_clISt17integral_constantIbLb1EES1J_EEDaS1E_S1F_EUlS1E_E_NS1_11comp_targetILNS1_3genE8ELNS1_11target_archE1030ELNS1_3gpuE2ELNS1_3repE0EEENS1_30default_config_static_selectorELNS0_4arch9wavefront6targetE0EEEvT1_,"axG",@progbits,_ZN7rocprim17ROCPRIM_400000_NS6detail17trampoline_kernelINS0_14default_configENS1_25partition_config_selectorILNS1_17partition_subalgoE6EN6thrust23THRUST_200600_302600_NS5tupleIxxNS7_9null_typeES9_S9_S9_S9_S9_S9_S9_EENS0_10empty_typeEbEEZZNS1_14partition_implILS5_6ELb0ES3_mNS7_12zip_iteratorINS8_INS7_6detail15normal_iteratorINS7_10device_ptrIxEEEESJ_S9_S9_S9_S9_S9_S9_S9_S9_EEEEPSB_SM_NS0_5tupleIJNSE_INS8_ISJ_NS7_16discard_iteratorINS7_11use_defaultEEES9_S9_S9_S9_S9_S9_S9_S9_EEEESB_EEENSN_IJSM_SM_EEESB_PlJNSF_9not_fun_tINSF_14equal_to_valueISA_EEEEEEE10hipError_tPvRmT3_T4_T5_T6_T7_T9_mT8_P12ihipStream_tbDpT10_ENKUlT_T0_E_clISt17integral_constantIbLb1EES1J_EEDaS1E_S1F_EUlS1E_E_NS1_11comp_targetILNS1_3genE8ELNS1_11target_archE1030ELNS1_3gpuE2ELNS1_3repE0EEENS1_30default_config_static_selectorELNS0_4arch9wavefront6targetE0EEEvT1_,comdat
.Lfunc_end1996:
	.size	_ZN7rocprim17ROCPRIM_400000_NS6detail17trampoline_kernelINS0_14default_configENS1_25partition_config_selectorILNS1_17partition_subalgoE6EN6thrust23THRUST_200600_302600_NS5tupleIxxNS7_9null_typeES9_S9_S9_S9_S9_S9_S9_EENS0_10empty_typeEbEEZZNS1_14partition_implILS5_6ELb0ES3_mNS7_12zip_iteratorINS8_INS7_6detail15normal_iteratorINS7_10device_ptrIxEEEESJ_S9_S9_S9_S9_S9_S9_S9_S9_EEEEPSB_SM_NS0_5tupleIJNSE_INS8_ISJ_NS7_16discard_iteratorINS7_11use_defaultEEES9_S9_S9_S9_S9_S9_S9_S9_EEEESB_EEENSN_IJSM_SM_EEESB_PlJNSF_9not_fun_tINSF_14equal_to_valueISA_EEEEEEE10hipError_tPvRmT3_T4_T5_T6_T7_T9_mT8_P12ihipStream_tbDpT10_ENKUlT_T0_E_clISt17integral_constantIbLb1EES1J_EEDaS1E_S1F_EUlS1E_E_NS1_11comp_targetILNS1_3genE8ELNS1_11target_archE1030ELNS1_3gpuE2ELNS1_3repE0EEENS1_30default_config_static_selectorELNS0_4arch9wavefront6targetE0EEEvT1_, .Lfunc_end1996-_ZN7rocprim17ROCPRIM_400000_NS6detail17trampoline_kernelINS0_14default_configENS1_25partition_config_selectorILNS1_17partition_subalgoE6EN6thrust23THRUST_200600_302600_NS5tupleIxxNS7_9null_typeES9_S9_S9_S9_S9_S9_S9_EENS0_10empty_typeEbEEZZNS1_14partition_implILS5_6ELb0ES3_mNS7_12zip_iteratorINS8_INS7_6detail15normal_iteratorINS7_10device_ptrIxEEEESJ_S9_S9_S9_S9_S9_S9_S9_S9_EEEEPSB_SM_NS0_5tupleIJNSE_INS8_ISJ_NS7_16discard_iteratorINS7_11use_defaultEEES9_S9_S9_S9_S9_S9_S9_S9_EEEESB_EEENSN_IJSM_SM_EEESB_PlJNSF_9not_fun_tINSF_14equal_to_valueISA_EEEEEEE10hipError_tPvRmT3_T4_T5_T6_T7_T9_mT8_P12ihipStream_tbDpT10_ENKUlT_T0_E_clISt17integral_constantIbLb1EES1J_EEDaS1E_S1F_EUlS1E_E_NS1_11comp_targetILNS1_3genE8ELNS1_11target_archE1030ELNS1_3gpuE2ELNS1_3repE0EEENS1_30default_config_static_selectorELNS0_4arch9wavefront6targetE0EEEvT1_
                                        ; -- End function
	.set _ZN7rocprim17ROCPRIM_400000_NS6detail17trampoline_kernelINS0_14default_configENS1_25partition_config_selectorILNS1_17partition_subalgoE6EN6thrust23THRUST_200600_302600_NS5tupleIxxNS7_9null_typeES9_S9_S9_S9_S9_S9_S9_EENS0_10empty_typeEbEEZZNS1_14partition_implILS5_6ELb0ES3_mNS7_12zip_iteratorINS8_INS7_6detail15normal_iteratorINS7_10device_ptrIxEEEESJ_S9_S9_S9_S9_S9_S9_S9_S9_EEEEPSB_SM_NS0_5tupleIJNSE_INS8_ISJ_NS7_16discard_iteratorINS7_11use_defaultEEES9_S9_S9_S9_S9_S9_S9_S9_EEEESB_EEENSN_IJSM_SM_EEESB_PlJNSF_9not_fun_tINSF_14equal_to_valueISA_EEEEEEE10hipError_tPvRmT3_T4_T5_T6_T7_T9_mT8_P12ihipStream_tbDpT10_ENKUlT_T0_E_clISt17integral_constantIbLb1EES1J_EEDaS1E_S1F_EUlS1E_E_NS1_11comp_targetILNS1_3genE8ELNS1_11target_archE1030ELNS1_3gpuE2ELNS1_3repE0EEENS1_30default_config_static_selectorELNS0_4arch9wavefront6targetE0EEEvT1_.num_vgpr, 0
	.set _ZN7rocprim17ROCPRIM_400000_NS6detail17trampoline_kernelINS0_14default_configENS1_25partition_config_selectorILNS1_17partition_subalgoE6EN6thrust23THRUST_200600_302600_NS5tupleIxxNS7_9null_typeES9_S9_S9_S9_S9_S9_S9_EENS0_10empty_typeEbEEZZNS1_14partition_implILS5_6ELb0ES3_mNS7_12zip_iteratorINS8_INS7_6detail15normal_iteratorINS7_10device_ptrIxEEEESJ_S9_S9_S9_S9_S9_S9_S9_S9_EEEEPSB_SM_NS0_5tupleIJNSE_INS8_ISJ_NS7_16discard_iteratorINS7_11use_defaultEEES9_S9_S9_S9_S9_S9_S9_S9_EEEESB_EEENSN_IJSM_SM_EEESB_PlJNSF_9not_fun_tINSF_14equal_to_valueISA_EEEEEEE10hipError_tPvRmT3_T4_T5_T6_T7_T9_mT8_P12ihipStream_tbDpT10_ENKUlT_T0_E_clISt17integral_constantIbLb1EES1J_EEDaS1E_S1F_EUlS1E_E_NS1_11comp_targetILNS1_3genE8ELNS1_11target_archE1030ELNS1_3gpuE2ELNS1_3repE0EEENS1_30default_config_static_selectorELNS0_4arch9wavefront6targetE0EEEvT1_.num_agpr, 0
	.set _ZN7rocprim17ROCPRIM_400000_NS6detail17trampoline_kernelINS0_14default_configENS1_25partition_config_selectorILNS1_17partition_subalgoE6EN6thrust23THRUST_200600_302600_NS5tupleIxxNS7_9null_typeES9_S9_S9_S9_S9_S9_S9_EENS0_10empty_typeEbEEZZNS1_14partition_implILS5_6ELb0ES3_mNS7_12zip_iteratorINS8_INS7_6detail15normal_iteratorINS7_10device_ptrIxEEEESJ_S9_S9_S9_S9_S9_S9_S9_S9_EEEEPSB_SM_NS0_5tupleIJNSE_INS8_ISJ_NS7_16discard_iteratorINS7_11use_defaultEEES9_S9_S9_S9_S9_S9_S9_S9_EEEESB_EEENSN_IJSM_SM_EEESB_PlJNSF_9not_fun_tINSF_14equal_to_valueISA_EEEEEEE10hipError_tPvRmT3_T4_T5_T6_T7_T9_mT8_P12ihipStream_tbDpT10_ENKUlT_T0_E_clISt17integral_constantIbLb1EES1J_EEDaS1E_S1F_EUlS1E_E_NS1_11comp_targetILNS1_3genE8ELNS1_11target_archE1030ELNS1_3gpuE2ELNS1_3repE0EEENS1_30default_config_static_selectorELNS0_4arch9wavefront6targetE0EEEvT1_.numbered_sgpr, 0
	.set _ZN7rocprim17ROCPRIM_400000_NS6detail17trampoline_kernelINS0_14default_configENS1_25partition_config_selectorILNS1_17partition_subalgoE6EN6thrust23THRUST_200600_302600_NS5tupleIxxNS7_9null_typeES9_S9_S9_S9_S9_S9_S9_EENS0_10empty_typeEbEEZZNS1_14partition_implILS5_6ELb0ES3_mNS7_12zip_iteratorINS8_INS7_6detail15normal_iteratorINS7_10device_ptrIxEEEESJ_S9_S9_S9_S9_S9_S9_S9_S9_EEEEPSB_SM_NS0_5tupleIJNSE_INS8_ISJ_NS7_16discard_iteratorINS7_11use_defaultEEES9_S9_S9_S9_S9_S9_S9_S9_EEEESB_EEENSN_IJSM_SM_EEESB_PlJNSF_9not_fun_tINSF_14equal_to_valueISA_EEEEEEE10hipError_tPvRmT3_T4_T5_T6_T7_T9_mT8_P12ihipStream_tbDpT10_ENKUlT_T0_E_clISt17integral_constantIbLb1EES1J_EEDaS1E_S1F_EUlS1E_E_NS1_11comp_targetILNS1_3genE8ELNS1_11target_archE1030ELNS1_3gpuE2ELNS1_3repE0EEENS1_30default_config_static_selectorELNS0_4arch9wavefront6targetE0EEEvT1_.num_named_barrier, 0
	.set _ZN7rocprim17ROCPRIM_400000_NS6detail17trampoline_kernelINS0_14default_configENS1_25partition_config_selectorILNS1_17partition_subalgoE6EN6thrust23THRUST_200600_302600_NS5tupleIxxNS7_9null_typeES9_S9_S9_S9_S9_S9_S9_EENS0_10empty_typeEbEEZZNS1_14partition_implILS5_6ELb0ES3_mNS7_12zip_iteratorINS8_INS7_6detail15normal_iteratorINS7_10device_ptrIxEEEESJ_S9_S9_S9_S9_S9_S9_S9_S9_EEEEPSB_SM_NS0_5tupleIJNSE_INS8_ISJ_NS7_16discard_iteratorINS7_11use_defaultEEES9_S9_S9_S9_S9_S9_S9_S9_EEEESB_EEENSN_IJSM_SM_EEESB_PlJNSF_9not_fun_tINSF_14equal_to_valueISA_EEEEEEE10hipError_tPvRmT3_T4_T5_T6_T7_T9_mT8_P12ihipStream_tbDpT10_ENKUlT_T0_E_clISt17integral_constantIbLb1EES1J_EEDaS1E_S1F_EUlS1E_E_NS1_11comp_targetILNS1_3genE8ELNS1_11target_archE1030ELNS1_3gpuE2ELNS1_3repE0EEENS1_30default_config_static_selectorELNS0_4arch9wavefront6targetE0EEEvT1_.private_seg_size, 0
	.set _ZN7rocprim17ROCPRIM_400000_NS6detail17trampoline_kernelINS0_14default_configENS1_25partition_config_selectorILNS1_17partition_subalgoE6EN6thrust23THRUST_200600_302600_NS5tupleIxxNS7_9null_typeES9_S9_S9_S9_S9_S9_S9_EENS0_10empty_typeEbEEZZNS1_14partition_implILS5_6ELb0ES3_mNS7_12zip_iteratorINS8_INS7_6detail15normal_iteratorINS7_10device_ptrIxEEEESJ_S9_S9_S9_S9_S9_S9_S9_S9_EEEEPSB_SM_NS0_5tupleIJNSE_INS8_ISJ_NS7_16discard_iteratorINS7_11use_defaultEEES9_S9_S9_S9_S9_S9_S9_S9_EEEESB_EEENSN_IJSM_SM_EEESB_PlJNSF_9not_fun_tINSF_14equal_to_valueISA_EEEEEEE10hipError_tPvRmT3_T4_T5_T6_T7_T9_mT8_P12ihipStream_tbDpT10_ENKUlT_T0_E_clISt17integral_constantIbLb1EES1J_EEDaS1E_S1F_EUlS1E_E_NS1_11comp_targetILNS1_3genE8ELNS1_11target_archE1030ELNS1_3gpuE2ELNS1_3repE0EEENS1_30default_config_static_selectorELNS0_4arch9wavefront6targetE0EEEvT1_.uses_vcc, 0
	.set _ZN7rocprim17ROCPRIM_400000_NS6detail17trampoline_kernelINS0_14default_configENS1_25partition_config_selectorILNS1_17partition_subalgoE6EN6thrust23THRUST_200600_302600_NS5tupleIxxNS7_9null_typeES9_S9_S9_S9_S9_S9_S9_EENS0_10empty_typeEbEEZZNS1_14partition_implILS5_6ELb0ES3_mNS7_12zip_iteratorINS8_INS7_6detail15normal_iteratorINS7_10device_ptrIxEEEESJ_S9_S9_S9_S9_S9_S9_S9_S9_EEEEPSB_SM_NS0_5tupleIJNSE_INS8_ISJ_NS7_16discard_iteratorINS7_11use_defaultEEES9_S9_S9_S9_S9_S9_S9_S9_EEEESB_EEENSN_IJSM_SM_EEESB_PlJNSF_9not_fun_tINSF_14equal_to_valueISA_EEEEEEE10hipError_tPvRmT3_T4_T5_T6_T7_T9_mT8_P12ihipStream_tbDpT10_ENKUlT_T0_E_clISt17integral_constantIbLb1EES1J_EEDaS1E_S1F_EUlS1E_E_NS1_11comp_targetILNS1_3genE8ELNS1_11target_archE1030ELNS1_3gpuE2ELNS1_3repE0EEENS1_30default_config_static_selectorELNS0_4arch9wavefront6targetE0EEEvT1_.uses_flat_scratch, 0
	.set _ZN7rocprim17ROCPRIM_400000_NS6detail17trampoline_kernelINS0_14default_configENS1_25partition_config_selectorILNS1_17partition_subalgoE6EN6thrust23THRUST_200600_302600_NS5tupleIxxNS7_9null_typeES9_S9_S9_S9_S9_S9_S9_EENS0_10empty_typeEbEEZZNS1_14partition_implILS5_6ELb0ES3_mNS7_12zip_iteratorINS8_INS7_6detail15normal_iteratorINS7_10device_ptrIxEEEESJ_S9_S9_S9_S9_S9_S9_S9_S9_EEEEPSB_SM_NS0_5tupleIJNSE_INS8_ISJ_NS7_16discard_iteratorINS7_11use_defaultEEES9_S9_S9_S9_S9_S9_S9_S9_EEEESB_EEENSN_IJSM_SM_EEESB_PlJNSF_9not_fun_tINSF_14equal_to_valueISA_EEEEEEE10hipError_tPvRmT3_T4_T5_T6_T7_T9_mT8_P12ihipStream_tbDpT10_ENKUlT_T0_E_clISt17integral_constantIbLb1EES1J_EEDaS1E_S1F_EUlS1E_E_NS1_11comp_targetILNS1_3genE8ELNS1_11target_archE1030ELNS1_3gpuE2ELNS1_3repE0EEENS1_30default_config_static_selectorELNS0_4arch9wavefront6targetE0EEEvT1_.has_dyn_sized_stack, 0
	.set _ZN7rocprim17ROCPRIM_400000_NS6detail17trampoline_kernelINS0_14default_configENS1_25partition_config_selectorILNS1_17partition_subalgoE6EN6thrust23THRUST_200600_302600_NS5tupleIxxNS7_9null_typeES9_S9_S9_S9_S9_S9_S9_EENS0_10empty_typeEbEEZZNS1_14partition_implILS5_6ELb0ES3_mNS7_12zip_iteratorINS8_INS7_6detail15normal_iteratorINS7_10device_ptrIxEEEESJ_S9_S9_S9_S9_S9_S9_S9_S9_EEEEPSB_SM_NS0_5tupleIJNSE_INS8_ISJ_NS7_16discard_iteratorINS7_11use_defaultEEES9_S9_S9_S9_S9_S9_S9_S9_EEEESB_EEENSN_IJSM_SM_EEESB_PlJNSF_9not_fun_tINSF_14equal_to_valueISA_EEEEEEE10hipError_tPvRmT3_T4_T5_T6_T7_T9_mT8_P12ihipStream_tbDpT10_ENKUlT_T0_E_clISt17integral_constantIbLb1EES1J_EEDaS1E_S1F_EUlS1E_E_NS1_11comp_targetILNS1_3genE8ELNS1_11target_archE1030ELNS1_3gpuE2ELNS1_3repE0EEENS1_30default_config_static_selectorELNS0_4arch9wavefront6targetE0EEEvT1_.has_recursion, 0
	.set _ZN7rocprim17ROCPRIM_400000_NS6detail17trampoline_kernelINS0_14default_configENS1_25partition_config_selectorILNS1_17partition_subalgoE6EN6thrust23THRUST_200600_302600_NS5tupleIxxNS7_9null_typeES9_S9_S9_S9_S9_S9_S9_EENS0_10empty_typeEbEEZZNS1_14partition_implILS5_6ELb0ES3_mNS7_12zip_iteratorINS8_INS7_6detail15normal_iteratorINS7_10device_ptrIxEEEESJ_S9_S9_S9_S9_S9_S9_S9_S9_EEEEPSB_SM_NS0_5tupleIJNSE_INS8_ISJ_NS7_16discard_iteratorINS7_11use_defaultEEES9_S9_S9_S9_S9_S9_S9_S9_EEEESB_EEENSN_IJSM_SM_EEESB_PlJNSF_9not_fun_tINSF_14equal_to_valueISA_EEEEEEE10hipError_tPvRmT3_T4_T5_T6_T7_T9_mT8_P12ihipStream_tbDpT10_ENKUlT_T0_E_clISt17integral_constantIbLb1EES1J_EEDaS1E_S1F_EUlS1E_E_NS1_11comp_targetILNS1_3genE8ELNS1_11target_archE1030ELNS1_3gpuE2ELNS1_3repE0EEENS1_30default_config_static_selectorELNS0_4arch9wavefront6targetE0EEEvT1_.has_indirect_call, 0
	.section	.AMDGPU.csdata,"",@progbits
; Kernel info:
; codeLenInByte = 0
; TotalNumSgprs: 0
; NumVgprs: 0
; ScratchSize: 0
; MemoryBound: 0
; FloatMode: 240
; IeeeMode: 1
; LDSByteSize: 0 bytes/workgroup (compile time only)
; SGPRBlocks: 0
; VGPRBlocks: 0
; NumSGPRsForWavesPerEU: 1
; NumVGPRsForWavesPerEU: 1
; Occupancy: 16
; WaveLimiterHint : 0
; COMPUTE_PGM_RSRC2:SCRATCH_EN: 0
; COMPUTE_PGM_RSRC2:USER_SGPR: 2
; COMPUTE_PGM_RSRC2:TRAP_HANDLER: 0
; COMPUTE_PGM_RSRC2:TGID_X_EN: 1
; COMPUTE_PGM_RSRC2:TGID_Y_EN: 0
; COMPUTE_PGM_RSRC2:TGID_Z_EN: 0
; COMPUTE_PGM_RSRC2:TIDIG_COMP_CNT: 0
	.section	.text._ZN7rocprim17ROCPRIM_400000_NS6detail17trampoline_kernelINS0_14default_configENS1_25partition_config_selectorILNS1_17partition_subalgoE6EN6thrust23THRUST_200600_302600_NS5tupleIxxNS7_9null_typeES9_S9_S9_S9_S9_S9_S9_EENS0_10empty_typeEbEEZZNS1_14partition_implILS5_6ELb0ES3_mNS7_12zip_iteratorINS8_INS7_6detail15normal_iteratorINS7_10device_ptrIxEEEESJ_S9_S9_S9_S9_S9_S9_S9_S9_EEEEPSB_SM_NS0_5tupleIJNSE_INS8_ISJ_NS7_16discard_iteratorINS7_11use_defaultEEES9_S9_S9_S9_S9_S9_S9_S9_EEEESB_EEENSN_IJSM_SM_EEESB_PlJNSF_9not_fun_tINSF_14equal_to_valueISA_EEEEEEE10hipError_tPvRmT3_T4_T5_T6_T7_T9_mT8_P12ihipStream_tbDpT10_ENKUlT_T0_E_clISt17integral_constantIbLb1EES1I_IbLb0EEEEDaS1E_S1F_EUlS1E_E_NS1_11comp_targetILNS1_3genE0ELNS1_11target_archE4294967295ELNS1_3gpuE0ELNS1_3repE0EEENS1_30default_config_static_selectorELNS0_4arch9wavefront6targetE0EEEvT1_,"axG",@progbits,_ZN7rocprim17ROCPRIM_400000_NS6detail17trampoline_kernelINS0_14default_configENS1_25partition_config_selectorILNS1_17partition_subalgoE6EN6thrust23THRUST_200600_302600_NS5tupleIxxNS7_9null_typeES9_S9_S9_S9_S9_S9_S9_EENS0_10empty_typeEbEEZZNS1_14partition_implILS5_6ELb0ES3_mNS7_12zip_iteratorINS8_INS7_6detail15normal_iteratorINS7_10device_ptrIxEEEESJ_S9_S9_S9_S9_S9_S9_S9_S9_EEEEPSB_SM_NS0_5tupleIJNSE_INS8_ISJ_NS7_16discard_iteratorINS7_11use_defaultEEES9_S9_S9_S9_S9_S9_S9_S9_EEEESB_EEENSN_IJSM_SM_EEESB_PlJNSF_9not_fun_tINSF_14equal_to_valueISA_EEEEEEE10hipError_tPvRmT3_T4_T5_T6_T7_T9_mT8_P12ihipStream_tbDpT10_ENKUlT_T0_E_clISt17integral_constantIbLb1EES1I_IbLb0EEEEDaS1E_S1F_EUlS1E_E_NS1_11comp_targetILNS1_3genE0ELNS1_11target_archE4294967295ELNS1_3gpuE0ELNS1_3repE0EEENS1_30default_config_static_selectorELNS0_4arch9wavefront6targetE0EEEvT1_,comdat
	.protected	_ZN7rocprim17ROCPRIM_400000_NS6detail17trampoline_kernelINS0_14default_configENS1_25partition_config_selectorILNS1_17partition_subalgoE6EN6thrust23THRUST_200600_302600_NS5tupleIxxNS7_9null_typeES9_S9_S9_S9_S9_S9_S9_EENS0_10empty_typeEbEEZZNS1_14partition_implILS5_6ELb0ES3_mNS7_12zip_iteratorINS8_INS7_6detail15normal_iteratorINS7_10device_ptrIxEEEESJ_S9_S9_S9_S9_S9_S9_S9_S9_EEEEPSB_SM_NS0_5tupleIJNSE_INS8_ISJ_NS7_16discard_iteratorINS7_11use_defaultEEES9_S9_S9_S9_S9_S9_S9_S9_EEEESB_EEENSN_IJSM_SM_EEESB_PlJNSF_9not_fun_tINSF_14equal_to_valueISA_EEEEEEE10hipError_tPvRmT3_T4_T5_T6_T7_T9_mT8_P12ihipStream_tbDpT10_ENKUlT_T0_E_clISt17integral_constantIbLb1EES1I_IbLb0EEEEDaS1E_S1F_EUlS1E_E_NS1_11comp_targetILNS1_3genE0ELNS1_11target_archE4294967295ELNS1_3gpuE0ELNS1_3repE0EEENS1_30default_config_static_selectorELNS0_4arch9wavefront6targetE0EEEvT1_ ; -- Begin function _ZN7rocprim17ROCPRIM_400000_NS6detail17trampoline_kernelINS0_14default_configENS1_25partition_config_selectorILNS1_17partition_subalgoE6EN6thrust23THRUST_200600_302600_NS5tupleIxxNS7_9null_typeES9_S9_S9_S9_S9_S9_S9_EENS0_10empty_typeEbEEZZNS1_14partition_implILS5_6ELb0ES3_mNS7_12zip_iteratorINS8_INS7_6detail15normal_iteratorINS7_10device_ptrIxEEEESJ_S9_S9_S9_S9_S9_S9_S9_S9_EEEEPSB_SM_NS0_5tupleIJNSE_INS8_ISJ_NS7_16discard_iteratorINS7_11use_defaultEEES9_S9_S9_S9_S9_S9_S9_S9_EEEESB_EEENSN_IJSM_SM_EEESB_PlJNSF_9not_fun_tINSF_14equal_to_valueISA_EEEEEEE10hipError_tPvRmT3_T4_T5_T6_T7_T9_mT8_P12ihipStream_tbDpT10_ENKUlT_T0_E_clISt17integral_constantIbLb1EES1I_IbLb0EEEEDaS1E_S1F_EUlS1E_E_NS1_11comp_targetILNS1_3genE0ELNS1_11target_archE4294967295ELNS1_3gpuE0ELNS1_3repE0EEENS1_30default_config_static_selectorELNS0_4arch9wavefront6targetE0EEEvT1_
	.globl	_ZN7rocprim17ROCPRIM_400000_NS6detail17trampoline_kernelINS0_14default_configENS1_25partition_config_selectorILNS1_17partition_subalgoE6EN6thrust23THRUST_200600_302600_NS5tupleIxxNS7_9null_typeES9_S9_S9_S9_S9_S9_S9_EENS0_10empty_typeEbEEZZNS1_14partition_implILS5_6ELb0ES3_mNS7_12zip_iteratorINS8_INS7_6detail15normal_iteratorINS7_10device_ptrIxEEEESJ_S9_S9_S9_S9_S9_S9_S9_S9_EEEEPSB_SM_NS0_5tupleIJNSE_INS8_ISJ_NS7_16discard_iteratorINS7_11use_defaultEEES9_S9_S9_S9_S9_S9_S9_S9_EEEESB_EEENSN_IJSM_SM_EEESB_PlJNSF_9not_fun_tINSF_14equal_to_valueISA_EEEEEEE10hipError_tPvRmT3_T4_T5_T6_T7_T9_mT8_P12ihipStream_tbDpT10_ENKUlT_T0_E_clISt17integral_constantIbLb1EES1I_IbLb0EEEEDaS1E_S1F_EUlS1E_E_NS1_11comp_targetILNS1_3genE0ELNS1_11target_archE4294967295ELNS1_3gpuE0ELNS1_3repE0EEENS1_30default_config_static_selectorELNS0_4arch9wavefront6targetE0EEEvT1_
	.p2align	8
	.type	_ZN7rocprim17ROCPRIM_400000_NS6detail17trampoline_kernelINS0_14default_configENS1_25partition_config_selectorILNS1_17partition_subalgoE6EN6thrust23THRUST_200600_302600_NS5tupleIxxNS7_9null_typeES9_S9_S9_S9_S9_S9_S9_EENS0_10empty_typeEbEEZZNS1_14partition_implILS5_6ELb0ES3_mNS7_12zip_iteratorINS8_INS7_6detail15normal_iteratorINS7_10device_ptrIxEEEESJ_S9_S9_S9_S9_S9_S9_S9_S9_EEEEPSB_SM_NS0_5tupleIJNSE_INS8_ISJ_NS7_16discard_iteratorINS7_11use_defaultEEES9_S9_S9_S9_S9_S9_S9_S9_EEEESB_EEENSN_IJSM_SM_EEESB_PlJNSF_9not_fun_tINSF_14equal_to_valueISA_EEEEEEE10hipError_tPvRmT3_T4_T5_T6_T7_T9_mT8_P12ihipStream_tbDpT10_ENKUlT_T0_E_clISt17integral_constantIbLb1EES1I_IbLb0EEEEDaS1E_S1F_EUlS1E_E_NS1_11comp_targetILNS1_3genE0ELNS1_11target_archE4294967295ELNS1_3gpuE0ELNS1_3repE0EEENS1_30default_config_static_selectorELNS0_4arch9wavefront6targetE0EEEvT1_,@function
_ZN7rocprim17ROCPRIM_400000_NS6detail17trampoline_kernelINS0_14default_configENS1_25partition_config_selectorILNS1_17partition_subalgoE6EN6thrust23THRUST_200600_302600_NS5tupleIxxNS7_9null_typeES9_S9_S9_S9_S9_S9_S9_EENS0_10empty_typeEbEEZZNS1_14partition_implILS5_6ELb0ES3_mNS7_12zip_iteratorINS8_INS7_6detail15normal_iteratorINS7_10device_ptrIxEEEESJ_S9_S9_S9_S9_S9_S9_S9_S9_EEEEPSB_SM_NS0_5tupleIJNSE_INS8_ISJ_NS7_16discard_iteratorINS7_11use_defaultEEES9_S9_S9_S9_S9_S9_S9_S9_EEEESB_EEENSN_IJSM_SM_EEESB_PlJNSF_9not_fun_tINSF_14equal_to_valueISA_EEEEEEE10hipError_tPvRmT3_T4_T5_T6_T7_T9_mT8_P12ihipStream_tbDpT10_ENKUlT_T0_E_clISt17integral_constantIbLb1EES1I_IbLb0EEEEDaS1E_S1F_EUlS1E_E_NS1_11comp_targetILNS1_3genE0ELNS1_11target_archE4294967295ELNS1_3gpuE0ELNS1_3repE0EEENS1_30default_config_static_selectorELNS0_4arch9wavefront6targetE0EEEvT1_: ; @_ZN7rocprim17ROCPRIM_400000_NS6detail17trampoline_kernelINS0_14default_configENS1_25partition_config_selectorILNS1_17partition_subalgoE6EN6thrust23THRUST_200600_302600_NS5tupleIxxNS7_9null_typeES9_S9_S9_S9_S9_S9_S9_EENS0_10empty_typeEbEEZZNS1_14partition_implILS5_6ELb0ES3_mNS7_12zip_iteratorINS8_INS7_6detail15normal_iteratorINS7_10device_ptrIxEEEESJ_S9_S9_S9_S9_S9_S9_S9_S9_EEEEPSB_SM_NS0_5tupleIJNSE_INS8_ISJ_NS7_16discard_iteratorINS7_11use_defaultEEES9_S9_S9_S9_S9_S9_S9_S9_EEEESB_EEENSN_IJSM_SM_EEESB_PlJNSF_9not_fun_tINSF_14equal_to_valueISA_EEEEEEE10hipError_tPvRmT3_T4_T5_T6_T7_T9_mT8_P12ihipStream_tbDpT10_ENKUlT_T0_E_clISt17integral_constantIbLb1EES1I_IbLb0EEEEDaS1E_S1F_EUlS1E_E_NS1_11comp_targetILNS1_3genE0ELNS1_11target_archE4294967295ELNS1_3gpuE0ELNS1_3repE0EEENS1_30default_config_static_selectorELNS0_4arch9wavefront6targetE0EEEvT1_
; %bb.0:
	.section	.rodata,"a",@progbits
	.p2align	6, 0x0
	.amdhsa_kernel _ZN7rocprim17ROCPRIM_400000_NS6detail17trampoline_kernelINS0_14default_configENS1_25partition_config_selectorILNS1_17partition_subalgoE6EN6thrust23THRUST_200600_302600_NS5tupleIxxNS7_9null_typeES9_S9_S9_S9_S9_S9_S9_EENS0_10empty_typeEbEEZZNS1_14partition_implILS5_6ELb0ES3_mNS7_12zip_iteratorINS8_INS7_6detail15normal_iteratorINS7_10device_ptrIxEEEESJ_S9_S9_S9_S9_S9_S9_S9_S9_EEEEPSB_SM_NS0_5tupleIJNSE_INS8_ISJ_NS7_16discard_iteratorINS7_11use_defaultEEES9_S9_S9_S9_S9_S9_S9_S9_EEEESB_EEENSN_IJSM_SM_EEESB_PlJNSF_9not_fun_tINSF_14equal_to_valueISA_EEEEEEE10hipError_tPvRmT3_T4_T5_T6_T7_T9_mT8_P12ihipStream_tbDpT10_ENKUlT_T0_E_clISt17integral_constantIbLb1EES1I_IbLb0EEEEDaS1E_S1F_EUlS1E_E_NS1_11comp_targetILNS1_3genE0ELNS1_11target_archE4294967295ELNS1_3gpuE0ELNS1_3repE0EEENS1_30default_config_static_selectorELNS0_4arch9wavefront6targetE0EEEvT1_
		.amdhsa_group_segment_fixed_size 0
		.amdhsa_private_segment_fixed_size 0
		.amdhsa_kernarg_size 152
		.amdhsa_user_sgpr_count 2
		.amdhsa_user_sgpr_dispatch_ptr 0
		.amdhsa_user_sgpr_queue_ptr 0
		.amdhsa_user_sgpr_kernarg_segment_ptr 1
		.amdhsa_user_sgpr_dispatch_id 0
		.amdhsa_user_sgpr_private_segment_size 0
		.amdhsa_wavefront_size32 1
		.amdhsa_uses_dynamic_stack 0
		.amdhsa_enable_private_segment 0
		.amdhsa_system_sgpr_workgroup_id_x 1
		.amdhsa_system_sgpr_workgroup_id_y 0
		.amdhsa_system_sgpr_workgroup_id_z 0
		.amdhsa_system_sgpr_workgroup_info 0
		.amdhsa_system_vgpr_workitem_id 0
		.amdhsa_next_free_vgpr 1
		.amdhsa_next_free_sgpr 1
		.amdhsa_reserve_vcc 0
		.amdhsa_float_round_mode_32 0
		.amdhsa_float_round_mode_16_64 0
		.amdhsa_float_denorm_mode_32 3
		.amdhsa_float_denorm_mode_16_64 3
		.amdhsa_fp16_overflow 0
		.amdhsa_workgroup_processor_mode 1
		.amdhsa_memory_ordered 1
		.amdhsa_forward_progress 1
		.amdhsa_inst_pref_size 0
		.amdhsa_round_robin_scheduling 0
		.amdhsa_exception_fp_ieee_invalid_op 0
		.amdhsa_exception_fp_denorm_src 0
		.amdhsa_exception_fp_ieee_div_zero 0
		.amdhsa_exception_fp_ieee_overflow 0
		.amdhsa_exception_fp_ieee_underflow 0
		.amdhsa_exception_fp_ieee_inexact 0
		.amdhsa_exception_int_div_zero 0
	.end_amdhsa_kernel
	.section	.text._ZN7rocprim17ROCPRIM_400000_NS6detail17trampoline_kernelINS0_14default_configENS1_25partition_config_selectorILNS1_17partition_subalgoE6EN6thrust23THRUST_200600_302600_NS5tupleIxxNS7_9null_typeES9_S9_S9_S9_S9_S9_S9_EENS0_10empty_typeEbEEZZNS1_14partition_implILS5_6ELb0ES3_mNS7_12zip_iteratorINS8_INS7_6detail15normal_iteratorINS7_10device_ptrIxEEEESJ_S9_S9_S9_S9_S9_S9_S9_S9_EEEEPSB_SM_NS0_5tupleIJNSE_INS8_ISJ_NS7_16discard_iteratorINS7_11use_defaultEEES9_S9_S9_S9_S9_S9_S9_S9_EEEESB_EEENSN_IJSM_SM_EEESB_PlJNSF_9not_fun_tINSF_14equal_to_valueISA_EEEEEEE10hipError_tPvRmT3_T4_T5_T6_T7_T9_mT8_P12ihipStream_tbDpT10_ENKUlT_T0_E_clISt17integral_constantIbLb1EES1I_IbLb0EEEEDaS1E_S1F_EUlS1E_E_NS1_11comp_targetILNS1_3genE0ELNS1_11target_archE4294967295ELNS1_3gpuE0ELNS1_3repE0EEENS1_30default_config_static_selectorELNS0_4arch9wavefront6targetE0EEEvT1_,"axG",@progbits,_ZN7rocprim17ROCPRIM_400000_NS6detail17trampoline_kernelINS0_14default_configENS1_25partition_config_selectorILNS1_17partition_subalgoE6EN6thrust23THRUST_200600_302600_NS5tupleIxxNS7_9null_typeES9_S9_S9_S9_S9_S9_S9_EENS0_10empty_typeEbEEZZNS1_14partition_implILS5_6ELb0ES3_mNS7_12zip_iteratorINS8_INS7_6detail15normal_iteratorINS7_10device_ptrIxEEEESJ_S9_S9_S9_S9_S9_S9_S9_S9_EEEEPSB_SM_NS0_5tupleIJNSE_INS8_ISJ_NS7_16discard_iteratorINS7_11use_defaultEEES9_S9_S9_S9_S9_S9_S9_S9_EEEESB_EEENSN_IJSM_SM_EEESB_PlJNSF_9not_fun_tINSF_14equal_to_valueISA_EEEEEEE10hipError_tPvRmT3_T4_T5_T6_T7_T9_mT8_P12ihipStream_tbDpT10_ENKUlT_T0_E_clISt17integral_constantIbLb1EES1I_IbLb0EEEEDaS1E_S1F_EUlS1E_E_NS1_11comp_targetILNS1_3genE0ELNS1_11target_archE4294967295ELNS1_3gpuE0ELNS1_3repE0EEENS1_30default_config_static_selectorELNS0_4arch9wavefront6targetE0EEEvT1_,comdat
.Lfunc_end1997:
	.size	_ZN7rocprim17ROCPRIM_400000_NS6detail17trampoline_kernelINS0_14default_configENS1_25partition_config_selectorILNS1_17partition_subalgoE6EN6thrust23THRUST_200600_302600_NS5tupleIxxNS7_9null_typeES9_S9_S9_S9_S9_S9_S9_EENS0_10empty_typeEbEEZZNS1_14partition_implILS5_6ELb0ES3_mNS7_12zip_iteratorINS8_INS7_6detail15normal_iteratorINS7_10device_ptrIxEEEESJ_S9_S9_S9_S9_S9_S9_S9_S9_EEEEPSB_SM_NS0_5tupleIJNSE_INS8_ISJ_NS7_16discard_iteratorINS7_11use_defaultEEES9_S9_S9_S9_S9_S9_S9_S9_EEEESB_EEENSN_IJSM_SM_EEESB_PlJNSF_9not_fun_tINSF_14equal_to_valueISA_EEEEEEE10hipError_tPvRmT3_T4_T5_T6_T7_T9_mT8_P12ihipStream_tbDpT10_ENKUlT_T0_E_clISt17integral_constantIbLb1EES1I_IbLb0EEEEDaS1E_S1F_EUlS1E_E_NS1_11comp_targetILNS1_3genE0ELNS1_11target_archE4294967295ELNS1_3gpuE0ELNS1_3repE0EEENS1_30default_config_static_selectorELNS0_4arch9wavefront6targetE0EEEvT1_, .Lfunc_end1997-_ZN7rocprim17ROCPRIM_400000_NS6detail17trampoline_kernelINS0_14default_configENS1_25partition_config_selectorILNS1_17partition_subalgoE6EN6thrust23THRUST_200600_302600_NS5tupleIxxNS7_9null_typeES9_S9_S9_S9_S9_S9_S9_EENS0_10empty_typeEbEEZZNS1_14partition_implILS5_6ELb0ES3_mNS7_12zip_iteratorINS8_INS7_6detail15normal_iteratorINS7_10device_ptrIxEEEESJ_S9_S9_S9_S9_S9_S9_S9_S9_EEEEPSB_SM_NS0_5tupleIJNSE_INS8_ISJ_NS7_16discard_iteratorINS7_11use_defaultEEES9_S9_S9_S9_S9_S9_S9_S9_EEEESB_EEENSN_IJSM_SM_EEESB_PlJNSF_9not_fun_tINSF_14equal_to_valueISA_EEEEEEE10hipError_tPvRmT3_T4_T5_T6_T7_T9_mT8_P12ihipStream_tbDpT10_ENKUlT_T0_E_clISt17integral_constantIbLb1EES1I_IbLb0EEEEDaS1E_S1F_EUlS1E_E_NS1_11comp_targetILNS1_3genE0ELNS1_11target_archE4294967295ELNS1_3gpuE0ELNS1_3repE0EEENS1_30default_config_static_selectorELNS0_4arch9wavefront6targetE0EEEvT1_
                                        ; -- End function
	.set _ZN7rocprim17ROCPRIM_400000_NS6detail17trampoline_kernelINS0_14default_configENS1_25partition_config_selectorILNS1_17partition_subalgoE6EN6thrust23THRUST_200600_302600_NS5tupleIxxNS7_9null_typeES9_S9_S9_S9_S9_S9_S9_EENS0_10empty_typeEbEEZZNS1_14partition_implILS5_6ELb0ES3_mNS7_12zip_iteratorINS8_INS7_6detail15normal_iteratorINS7_10device_ptrIxEEEESJ_S9_S9_S9_S9_S9_S9_S9_S9_EEEEPSB_SM_NS0_5tupleIJNSE_INS8_ISJ_NS7_16discard_iteratorINS7_11use_defaultEEES9_S9_S9_S9_S9_S9_S9_S9_EEEESB_EEENSN_IJSM_SM_EEESB_PlJNSF_9not_fun_tINSF_14equal_to_valueISA_EEEEEEE10hipError_tPvRmT3_T4_T5_T6_T7_T9_mT8_P12ihipStream_tbDpT10_ENKUlT_T0_E_clISt17integral_constantIbLb1EES1I_IbLb0EEEEDaS1E_S1F_EUlS1E_E_NS1_11comp_targetILNS1_3genE0ELNS1_11target_archE4294967295ELNS1_3gpuE0ELNS1_3repE0EEENS1_30default_config_static_selectorELNS0_4arch9wavefront6targetE0EEEvT1_.num_vgpr, 0
	.set _ZN7rocprim17ROCPRIM_400000_NS6detail17trampoline_kernelINS0_14default_configENS1_25partition_config_selectorILNS1_17partition_subalgoE6EN6thrust23THRUST_200600_302600_NS5tupleIxxNS7_9null_typeES9_S9_S9_S9_S9_S9_S9_EENS0_10empty_typeEbEEZZNS1_14partition_implILS5_6ELb0ES3_mNS7_12zip_iteratorINS8_INS7_6detail15normal_iteratorINS7_10device_ptrIxEEEESJ_S9_S9_S9_S9_S9_S9_S9_S9_EEEEPSB_SM_NS0_5tupleIJNSE_INS8_ISJ_NS7_16discard_iteratorINS7_11use_defaultEEES9_S9_S9_S9_S9_S9_S9_S9_EEEESB_EEENSN_IJSM_SM_EEESB_PlJNSF_9not_fun_tINSF_14equal_to_valueISA_EEEEEEE10hipError_tPvRmT3_T4_T5_T6_T7_T9_mT8_P12ihipStream_tbDpT10_ENKUlT_T0_E_clISt17integral_constantIbLb1EES1I_IbLb0EEEEDaS1E_S1F_EUlS1E_E_NS1_11comp_targetILNS1_3genE0ELNS1_11target_archE4294967295ELNS1_3gpuE0ELNS1_3repE0EEENS1_30default_config_static_selectorELNS0_4arch9wavefront6targetE0EEEvT1_.num_agpr, 0
	.set _ZN7rocprim17ROCPRIM_400000_NS6detail17trampoline_kernelINS0_14default_configENS1_25partition_config_selectorILNS1_17partition_subalgoE6EN6thrust23THRUST_200600_302600_NS5tupleIxxNS7_9null_typeES9_S9_S9_S9_S9_S9_S9_EENS0_10empty_typeEbEEZZNS1_14partition_implILS5_6ELb0ES3_mNS7_12zip_iteratorINS8_INS7_6detail15normal_iteratorINS7_10device_ptrIxEEEESJ_S9_S9_S9_S9_S9_S9_S9_S9_EEEEPSB_SM_NS0_5tupleIJNSE_INS8_ISJ_NS7_16discard_iteratorINS7_11use_defaultEEES9_S9_S9_S9_S9_S9_S9_S9_EEEESB_EEENSN_IJSM_SM_EEESB_PlJNSF_9not_fun_tINSF_14equal_to_valueISA_EEEEEEE10hipError_tPvRmT3_T4_T5_T6_T7_T9_mT8_P12ihipStream_tbDpT10_ENKUlT_T0_E_clISt17integral_constantIbLb1EES1I_IbLb0EEEEDaS1E_S1F_EUlS1E_E_NS1_11comp_targetILNS1_3genE0ELNS1_11target_archE4294967295ELNS1_3gpuE0ELNS1_3repE0EEENS1_30default_config_static_selectorELNS0_4arch9wavefront6targetE0EEEvT1_.numbered_sgpr, 0
	.set _ZN7rocprim17ROCPRIM_400000_NS6detail17trampoline_kernelINS0_14default_configENS1_25partition_config_selectorILNS1_17partition_subalgoE6EN6thrust23THRUST_200600_302600_NS5tupleIxxNS7_9null_typeES9_S9_S9_S9_S9_S9_S9_EENS0_10empty_typeEbEEZZNS1_14partition_implILS5_6ELb0ES3_mNS7_12zip_iteratorINS8_INS7_6detail15normal_iteratorINS7_10device_ptrIxEEEESJ_S9_S9_S9_S9_S9_S9_S9_S9_EEEEPSB_SM_NS0_5tupleIJNSE_INS8_ISJ_NS7_16discard_iteratorINS7_11use_defaultEEES9_S9_S9_S9_S9_S9_S9_S9_EEEESB_EEENSN_IJSM_SM_EEESB_PlJNSF_9not_fun_tINSF_14equal_to_valueISA_EEEEEEE10hipError_tPvRmT3_T4_T5_T6_T7_T9_mT8_P12ihipStream_tbDpT10_ENKUlT_T0_E_clISt17integral_constantIbLb1EES1I_IbLb0EEEEDaS1E_S1F_EUlS1E_E_NS1_11comp_targetILNS1_3genE0ELNS1_11target_archE4294967295ELNS1_3gpuE0ELNS1_3repE0EEENS1_30default_config_static_selectorELNS0_4arch9wavefront6targetE0EEEvT1_.num_named_barrier, 0
	.set _ZN7rocprim17ROCPRIM_400000_NS6detail17trampoline_kernelINS0_14default_configENS1_25partition_config_selectorILNS1_17partition_subalgoE6EN6thrust23THRUST_200600_302600_NS5tupleIxxNS7_9null_typeES9_S9_S9_S9_S9_S9_S9_EENS0_10empty_typeEbEEZZNS1_14partition_implILS5_6ELb0ES3_mNS7_12zip_iteratorINS8_INS7_6detail15normal_iteratorINS7_10device_ptrIxEEEESJ_S9_S9_S9_S9_S9_S9_S9_S9_EEEEPSB_SM_NS0_5tupleIJNSE_INS8_ISJ_NS7_16discard_iteratorINS7_11use_defaultEEES9_S9_S9_S9_S9_S9_S9_S9_EEEESB_EEENSN_IJSM_SM_EEESB_PlJNSF_9not_fun_tINSF_14equal_to_valueISA_EEEEEEE10hipError_tPvRmT3_T4_T5_T6_T7_T9_mT8_P12ihipStream_tbDpT10_ENKUlT_T0_E_clISt17integral_constantIbLb1EES1I_IbLb0EEEEDaS1E_S1F_EUlS1E_E_NS1_11comp_targetILNS1_3genE0ELNS1_11target_archE4294967295ELNS1_3gpuE0ELNS1_3repE0EEENS1_30default_config_static_selectorELNS0_4arch9wavefront6targetE0EEEvT1_.private_seg_size, 0
	.set _ZN7rocprim17ROCPRIM_400000_NS6detail17trampoline_kernelINS0_14default_configENS1_25partition_config_selectorILNS1_17partition_subalgoE6EN6thrust23THRUST_200600_302600_NS5tupleIxxNS7_9null_typeES9_S9_S9_S9_S9_S9_S9_EENS0_10empty_typeEbEEZZNS1_14partition_implILS5_6ELb0ES3_mNS7_12zip_iteratorINS8_INS7_6detail15normal_iteratorINS7_10device_ptrIxEEEESJ_S9_S9_S9_S9_S9_S9_S9_S9_EEEEPSB_SM_NS0_5tupleIJNSE_INS8_ISJ_NS7_16discard_iteratorINS7_11use_defaultEEES9_S9_S9_S9_S9_S9_S9_S9_EEEESB_EEENSN_IJSM_SM_EEESB_PlJNSF_9not_fun_tINSF_14equal_to_valueISA_EEEEEEE10hipError_tPvRmT3_T4_T5_T6_T7_T9_mT8_P12ihipStream_tbDpT10_ENKUlT_T0_E_clISt17integral_constantIbLb1EES1I_IbLb0EEEEDaS1E_S1F_EUlS1E_E_NS1_11comp_targetILNS1_3genE0ELNS1_11target_archE4294967295ELNS1_3gpuE0ELNS1_3repE0EEENS1_30default_config_static_selectorELNS0_4arch9wavefront6targetE0EEEvT1_.uses_vcc, 0
	.set _ZN7rocprim17ROCPRIM_400000_NS6detail17trampoline_kernelINS0_14default_configENS1_25partition_config_selectorILNS1_17partition_subalgoE6EN6thrust23THRUST_200600_302600_NS5tupleIxxNS7_9null_typeES9_S9_S9_S9_S9_S9_S9_EENS0_10empty_typeEbEEZZNS1_14partition_implILS5_6ELb0ES3_mNS7_12zip_iteratorINS8_INS7_6detail15normal_iteratorINS7_10device_ptrIxEEEESJ_S9_S9_S9_S9_S9_S9_S9_S9_EEEEPSB_SM_NS0_5tupleIJNSE_INS8_ISJ_NS7_16discard_iteratorINS7_11use_defaultEEES9_S9_S9_S9_S9_S9_S9_S9_EEEESB_EEENSN_IJSM_SM_EEESB_PlJNSF_9not_fun_tINSF_14equal_to_valueISA_EEEEEEE10hipError_tPvRmT3_T4_T5_T6_T7_T9_mT8_P12ihipStream_tbDpT10_ENKUlT_T0_E_clISt17integral_constantIbLb1EES1I_IbLb0EEEEDaS1E_S1F_EUlS1E_E_NS1_11comp_targetILNS1_3genE0ELNS1_11target_archE4294967295ELNS1_3gpuE0ELNS1_3repE0EEENS1_30default_config_static_selectorELNS0_4arch9wavefront6targetE0EEEvT1_.uses_flat_scratch, 0
	.set _ZN7rocprim17ROCPRIM_400000_NS6detail17trampoline_kernelINS0_14default_configENS1_25partition_config_selectorILNS1_17partition_subalgoE6EN6thrust23THRUST_200600_302600_NS5tupleIxxNS7_9null_typeES9_S9_S9_S9_S9_S9_S9_EENS0_10empty_typeEbEEZZNS1_14partition_implILS5_6ELb0ES3_mNS7_12zip_iteratorINS8_INS7_6detail15normal_iteratorINS7_10device_ptrIxEEEESJ_S9_S9_S9_S9_S9_S9_S9_S9_EEEEPSB_SM_NS0_5tupleIJNSE_INS8_ISJ_NS7_16discard_iteratorINS7_11use_defaultEEES9_S9_S9_S9_S9_S9_S9_S9_EEEESB_EEENSN_IJSM_SM_EEESB_PlJNSF_9not_fun_tINSF_14equal_to_valueISA_EEEEEEE10hipError_tPvRmT3_T4_T5_T6_T7_T9_mT8_P12ihipStream_tbDpT10_ENKUlT_T0_E_clISt17integral_constantIbLb1EES1I_IbLb0EEEEDaS1E_S1F_EUlS1E_E_NS1_11comp_targetILNS1_3genE0ELNS1_11target_archE4294967295ELNS1_3gpuE0ELNS1_3repE0EEENS1_30default_config_static_selectorELNS0_4arch9wavefront6targetE0EEEvT1_.has_dyn_sized_stack, 0
	.set _ZN7rocprim17ROCPRIM_400000_NS6detail17trampoline_kernelINS0_14default_configENS1_25partition_config_selectorILNS1_17partition_subalgoE6EN6thrust23THRUST_200600_302600_NS5tupleIxxNS7_9null_typeES9_S9_S9_S9_S9_S9_S9_EENS0_10empty_typeEbEEZZNS1_14partition_implILS5_6ELb0ES3_mNS7_12zip_iteratorINS8_INS7_6detail15normal_iteratorINS7_10device_ptrIxEEEESJ_S9_S9_S9_S9_S9_S9_S9_S9_EEEEPSB_SM_NS0_5tupleIJNSE_INS8_ISJ_NS7_16discard_iteratorINS7_11use_defaultEEES9_S9_S9_S9_S9_S9_S9_S9_EEEESB_EEENSN_IJSM_SM_EEESB_PlJNSF_9not_fun_tINSF_14equal_to_valueISA_EEEEEEE10hipError_tPvRmT3_T4_T5_T6_T7_T9_mT8_P12ihipStream_tbDpT10_ENKUlT_T0_E_clISt17integral_constantIbLb1EES1I_IbLb0EEEEDaS1E_S1F_EUlS1E_E_NS1_11comp_targetILNS1_3genE0ELNS1_11target_archE4294967295ELNS1_3gpuE0ELNS1_3repE0EEENS1_30default_config_static_selectorELNS0_4arch9wavefront6targetE0EEEvT1_.has_recursion, 0
	.set _ZN7rocprim17ROCPRIM_400000_NS6detail17trampoline_kernelINS0_14default_configENS1_25partition_config_selectorILNS1_17partition_subalgoE6EN6thrust23THRUST_200600_302600_NS5tupleIxxNS7_9null_typeES9_S9_S9_S9_S9_S9_S9_EENS0_10empty_typeEbEEZZNS1_14partition_implILS5_6ELb0ES3_mNS7_12zip_iteratorINS8_INS7_6detail15normal_iteratorINS7_10device_ptrIxEEEESJ_S9_S9_S9_S9_S9_S9_S9_S9_EEEEPSB_SM_NS0_5tupleIJNSE_INS8_ISJ_NS7_16discard_iteratorINS7_11use_defaultEEES9_S9_S9_S9_S9_S9_S9_S9_EEEESB_EEENSN_IJSM_SM_EEESB_PlJNSF_9not_fun_tINSF_14equal_to_valueISA_EEEEEEE10hipError_tPvRmT3_T4_T5_T6_T7_T9_mT8_P12ihipStream_tbDpT10_ENKUlT_T0_E_clISt17integral_constantIbLb1EES1I_IbLb0EEEEDaS1E_S1F_EUlS1E_E_NS1_11comp_targetILNS1_3genE0ELNS1_11target_archE4294967295ELNS1_3gpuE0ELNS1_3repE0EEENS1_30default_config_static_selectorELNS0_4arch9wavefront6targetE0EEEvT1_.has_indirect_call, 0
	.section	.AMDGPU.csdata,"",@progbits
; Kernel info:
; codeLenInByte = 0
; TotalNumSgprs: 0
; NumVgprs: 0
; ScratchSize: 0
; MemoryBound: 0
; FloatMode: 240
; IeeeMode: 1
; LDSByteSize: 0 bytes/workgroup (compile time only)
; SGPRBlocks: 0
; VGPRBlocks: 0
; NumSGPRsForWavesPerEU: 1
; NumVGPRsForWavesPerEU: 1
; Occupancy: 16
; WaveLimiterHint : 0
; COMPUTE_PGM_RSRC2:SCRATCH_EN: 0
; COMPUTE_PGM_RSRC2:USER_SGPR: 2
; COMPUTE_PGM_RSRC2:TRAP_HANDLER: 0
; COMPUTE_PGM_RSRC2:TGID_X_EN: 1
; COMPUTE_PGM_RSRC2:TGID_Y_EN: 0
; COMPUTE_PGM_RSRC2:TGID_Z_EN: 0
; COMPUTE_PGM_RSRC2:TIDIG_COMP_CNT: 0
	.section	.text._ZN7rocprim17ROCPRIM_400000_NS6detail17trampoline_kernelINS0_14default_configENS1_25partition_config_selectorILNS1_17partition_subalgoE6EN6thrust23THRUST_200600_302600_NS5tupleIxxNS7_9null_typeES9_S9_S9_S9_S9_S9_S9_EENS0_10empty_typeEbEEZZNS1_14partition_implILS5_6ELb0ES3_mNS7_12zip_iteratorINS8_INS7_6detail15normal_iteratorINS7_10device_ptrIxEEEESJ_S9_S9_S9_S9_S9_S9_S9_S9_EEEEPSB_SM_NS0_5tupleIJNSE_INS8_ISJ_NS7_16discard_iteratorINS7_11use_defaultEEES9_S9_S9_S9_S9_S9_S9_S9_EEEESB_EEENSN_IJSM_SM_EEESB_PlJNSF_9not_fun_tINSF_14equal_to_valueISA_EEEEEEE10hipError_tPvRmT3_T4_T5_T6_T7_T9_mT8_P12ihipStream_tbDpT10_ENKUlT_T0_E_clISt17integral_constantIbLb1EES1I_IbLb0EEEEDaS1E_S1F_EUlS1E_E_NS1_11comp_targetILNS1_3genE5ELNS1_11target_archE942ELNS1_3gpuE9ELNS1_3repE0EEENS1_30default_config_static_selectorELNS0_4arch9wavefront6targetE0EEEvT1_,"axG",@progbits,_ZN7rocprim17ROCPRIM_400000_NS6detail17trampoline_kernelINS0_14default_configENS1_25partition_config_selectorILNS1_17partition_subalgoE6EN6thrust23THRUST_200600_302600_NS5tupleIxxNS7_9null_typeES9_S9_S9_S9_S9_S9_S9_EENS0_10empty_typeEbEEZZNS1_14partition_implILS5_6ELb0ES3_mNS7_12zip_iteratorINS8_INS7_6detail15normal_iteratorINS7_10device_ptrIxEEEESJ_S9_S9_S9_S9_S9_S9_S9_S9_EEEEPSB_SM_NS0_5tupleIJNSE_INS8_ISJ_NS7_16discard_iteratorINS7_11use_defaultEEES9_S9_S9_S9_S9_S9_S9_S9_EEEESB_EEENSN_IJSM_SM_EEESB_PlJNSF_9not_fun_tINSF_14equal_to_valueISA_EEEEEEE10hipError_tPvRmT3_T4_T5_T6_T7_T9_mT8_P12ihipStream_tbDpT10_ENKUlT_T0_E_clISt17integral_constantIbLb1EES1I_IbLb0EEEEDaS1E_S1F_EUlS1E_E_NS1_11comp_targetILNS1_3genE5ELNS1_11target_archE942ELNS1_3gpuE9ELNS1_3repE0EEENS1_30default_config_static_selectorELNS0_4arch9wavefront6targetE0EEEvT1_,comdat
	.protected	_ZN7rocprim17ROCPRIM_400000_NS6detail17trampoline_kernelINS0_14default_configENS1_25partition_config_selectorILNS1_17partition_subalgoE6EN6thrust23THRUST_200600_302600_NS5tupleIxxNS7_9null_typeES9_S9_S9_S9_S9_S9_S9_EENS0_10empty_typeEbEEZZNS1_14partition_implILS5_6ELb0ES3_mNS7_12zip_iteratorINS8_INS7_6detail15normal_iteratorINS7_10device_ptrIxEEEESJ_S9_S9_S9_S9_S9_S9_S9_S9_EEEEPSB_SM_NS0_5tupleIJNSE_INS8_ISJ_NS7_16discard_iteratorINS7_11use_defaultEEES9_S9_S9_S9_S9_S9_S9_S9_EEEESB_EEENSN_IJSM_SM_EEESB_PlJNSF_9not_fun_tINSF_14equal_to_valueISA_EEEEEEE10hipError_tPvRmT3_T4_T5_T6_T7_T9_mT8_P12ihipStream_tbDpT10_ENKUlT_T0_E_clISt17integral_constantIbLb1EES1I_IbLb0EEEEDaS1E_S1F_EUlS1E_E_NS1_11comp_targetILNS1_3genE5ELNS1_11target_archE942ELNS1_3gpuE9ELNS1_3repE0EEENS1_30default_config_static_selectorELNS0_4arch9wavefront6targetE0EEEvT1_ ; -- Begin function _ZN7rocprim17ROCPRIM_400000_NS6detail17trampoline_kernelINS0_14default_configENS1_25partition_config_selectorILNS1_17partition_subalgoE6EN6thrust23THRUST_200600_302600_NS5tupleIxxNS7_9null_typeES9_S9_S9_S9_S9_S9_S9_EENS0_10empty_typeEbEEZZNS1_14partition_implILS5_6ELb0ES3_mNS7_12zip_iteratorINS8_INS7_6detail15normal_iteratorINS7_10device_ptrIxEEEESJ_S9_S9_S9_S9_S9_S9_S9_S9_EEEEPSB_SM_NS0_5tupleIJNSE_INS8_ISJ_NS7_16discard_iteratorINS7_11use_defaultEEES9_S9_S9_S9_S9_S9_S9_S9_EEEESB_EEENSN_IJSM_SM_EEESB_PlJNSF_9not_fun_tINSF_14equal_to_valueISA_EEEEEEE10hipError_tPvRmT3_T4_T5_T6_T7_T9_mT8_P12ihipStream_tbDpT10_ENKUlT_T0_E_clISt17integral_constantIbLb1EES1I_IbLb0EEEEDaS1E_S1F_EUlS1E_E_NS1_11comp_targetILNS1_3genE5ELNS1_11target_archE942ELNS1_3gpuE9ELNS1_3repE0EEENS1_30default_config_static_selectorELNS0_4arch9wavefront6targetE0EEEvT1_
	.globl	_ZN7rocprim17ROCPRIM_400000_NS6detail17trampoline_kernelINS0_14default_configENS1_25partition_config_selectorILNS1_17partition_subalgoE6EN6thrust23THRUST_200600_302600_NS5tupleIxxNS7_9null_typeES9_S9_S9_S9_S9_S9_S9_EENS0_10empty_typeEbEEZZNS1_14partition_implILS5_6ELb0ES3_mNS7_12zip_iteratorINS8_INS7_6detail15normal_iteratorINS7_10device_ptrIxEEEESJ_S9_S9_S9_S9_S9_S9_S9_S9_EEEEPSB_SM_NS0_5tupleIJNSE_INS8_ISJ_NS7_16discard_iteratorINS7_11use_defaultEEES9_S9_S9_S9_S9_S9_S9_S9_EEEESB_EEENSN_IJSM_SM_EEESB_PlJNSF_9not_fun_tINSF_14equal_to_valueISA_EEEEEEE10hipError_tPvRmT3_T4_T5_T6_T7_T9_mT8_P12ihipStream_tbDpT10_ENKUlT_T0_E_clISt17integral_constantIbLb1EES1I_IbLb0EEEEDaS1E_S1F_EUlS1E_E_NS1_11comp_targetILNS1_3genE5ELNS1_11target_archE942ELNS1_3gpuE9ELNS1_3repE0EEENS1_30default_config_static_selectorELNS0_4arch9wavefront6targetE0EEEvT1_
	.p2align	8
	.type	_ZN7rocprim17ROCPRIM_400000_NS6detail17trampoline_kernelINS0_14default_configENS1_25partition_config_selectorILNS1_17partition_subalgoE6EN6thrust23THRUST_200600_302600_NS5tupleIxxNS7_9null_typeES9_S9_S9_S9_S9_S9_S9_EENS0_10empty_typeEbEEZZNS1_14partition_implILS5_6ELb0ES3_mNS7_12zip_iteratorINS8_INS7_6detail15normal_iteratorINS7_10device_ptrIxEEEESJ_S9_S9_S9_S9_S9_S9_S9_S9_EEEEPSB_SM_NS0_5tupleIJNSE_INS8_ISJ_NS7_16discard_iteratorINS7_11use_defaultEEES9_S9_S9_S9_S9_S9_S9_S9_EEEESB_EEENSN_IJSM_SM_EEESB_PlJNSF_9not_fun_tINSF_14equal_to_valueISA_EEEEEEE10hipError_tPvRmT3_T4_T5_T6_T7_T9_mT8_P12ihipStream_tbDpT10_ENKUlT_T0_E_clISt17integral_constantIbLb1EES1I_IbLb0EEEEDaS1E_S1F_EUlS1E_E_NS1_11comp_targetILNS1_3genE5ELNS1_11target_archE942ELNS1_3gpuE9ELNS1_3repE0EEENS1_30default_config_static_selectorELNS0_4arch9wavefront6targetE0EEEvT1_,@function
_ZN7rocprim17ROCPRIM_400000_NS6detail17trampoline_kernelINS0_14default_configENS1_25partition_config_selectorILNS1_17partition_subalgoE6EN6thrust23THRUST_200600_302600_NS5tupleIxxNS7_9null_typeES9_S9_S9_S9_S9_S9_S9_EENS0_10empty_typeEbEEZZNS1_14partition_implILS5_6ELb0ES3_mNS7_12zip_iteratorINS8_INS7_6detail15normal_iteratorINS7_10device_ptrIxEEEESJ_S9_S9_S9_S9_S9_S9_S9_S9_EEEEPSB_SM_NS0_5tupleIJNSE_INS8_ISJ_NS7_16discard_iteratorINS7_11use_defaultEEES9_S9_S9_S9_S9_S9_S9_S9_EEEESB_EEENSN_IJSM_SM_EEESB_PlJNSF_9not_fun_tINSF_14equal_to_valueISA_EEEEEEE10hipError_tPvRmT3_T4_T5_T6_T7_T9_mT8_P12ihipStream_tbDpT10_ENKUlT_T0_E_clISt17integral_constantIbLb1EES1I_IbLb0EEEEDaS1E_S1F_EUlS1E_E_NS1_11comp_targetILNS1_3genE5ELNS1_11target_archE942ELNS1_3gpuE9ELNS1_3repE0EEENS1_30default_config_static_selectorELNS0_4arch9wavefront6targetE0EEEvT1_: ; @_ZN7rocprim17ROCPRIM_400000_NS6detail17trampoline_kernelINS0_14default_configENS1_25partition_config_selectorILNS1_17partition_subalgoE6EN6thrust23THRUST_200600_302600_NS5tupleIxxNS7_9null_typeES9_S9_S9_S9_S9_S9_S9_EENS0_10empty_typeEbEEZZNS1_14partition_implILS5_6ELb0ES3_mNS7_12zip_iteratorINS8_INS7_6detail15normal_iteratorINS7_10device_ptrIxEEEESJ_S9_S9_S9_S9_S9_S9_S9_S9_EEEEPSB_SM_NS0_5tupleIJNSE_INS8_ISJ_NS7_16discard_iteratorINS7_11use_defaultEEES9_S9_S9_S9_S9_S9_S9_S9_EEEESB_EEENSN_IJSM_SM_EEESB_PlJNSF_9not_fun_tINSF_14equal_to_valueISA_EEEEEEE10hipError_tPvRmT3_T4_T5_T6_T7_T9_mT8_P12ihipStream_tbDpT10_ENKUlT_T0_E_clISt17integral_constantIbLb1EES1I_IbLb0EEEEDaS1E_S1F_EUlS1E_E_NS1_11comp_targetILNS1_3genE5ELNS1_11target_archE942ELNS1_3gpuE9ELNS1_3repE0EEENS1_30default_config_static_selectorELNS0_4arch9wavefront6targetE0EEEvT1_
; %bb.0:
	.section	.rodata,"a",@progbits
	.p2align	6, 0x0
	.amdhsa_kernel _ZN7rocprim17ROCPRIM_400000_NS6detail17trampoline_kernelINS0_14default_configENS1_25partition_config_selectorILNS1_17partition_subalgoE6EN6thrust23THRUST_200600_302600_NS5tupleIxxNS7_9null_typeES9_S9_S9_S9_S9_S9_S9_EENS0_10empty_typeEbEEZZNS1_14partition_implILS5_6ELb0ES3_mNS7_12zip_iteratorINS8_INS7_6detail15normal_iteratorINS7_10device_ptrIxEEEESJ_S9_S9_S9_S9_S9_S9_S9_S9_EEEEPSB_SM_NS0_5tupleIJNSE_INS8_ISJ_NS7_16discard_iteratorINS7_11use_defaultEEES9_S9_S9_S9_S9_S9_S9_S9_EEEESB_EEENSN_IJSM_SM_EEESB_PlJNSF_9not_fun_tINSF_14equal_to_valueISA_EEEEEEE10hipError_tPvRmT3_T4_T5_T6_T7_T9_mT8_P12ihipStream_tbDpT10_ENKUlT_T0_E_clISt17integral_constantIbLb1EES1I_IbLb0EEEEDaS1E_S1F_EUlS1E_E_NS1_11comp_targetILNS1_3genE5ELNS1_11target_archE942ELNS1_3gpuE9ELNS1_3repE0EEENS1_30default_config_static_selectorELNS0_4arch9wavefront6targetE0EEEvT1_
		.amdhsa_group_segment_fixed_size 0
		.amdhsa_private_segment_fixed_size 0
		.amdhsa_kernarg_size 152
		.amdhsa_user_sgpr_count 2
		.amdhsa_user_sgpr_dispatch_ptr 0
		.amdhsa_user_sgpr_queue_ptr 0
		.amdhsa_user_sgpr_kernarg_segment_ptr 1
		.amdhsa_user_sgpr_dispatch_id 0
		.amdhsa_user_sgpr_private_segment_size 0
		.amdhsa_wavefront_size32 1
		.amdhsa_uses_dynamic_stack 0
		.amdhsa_enable_private_segment 0
		.amdhsa_system_sgpr_workgroup_id_x 1
		.amdhsa_system_sgpr_workgroup_id_y 0
		.amdhsa_system_sgpr_workgroup_id_z 0
		.amdhsa_system_sgpr_workgroup_info 0
		.amdhsa_system_vgpr_workitem_id 0
		.amdhsa_next_free_vgpr 1
		.amdhsa_next_free_sgpr 1
		.amdhsa_reserve_vcc 0
		.amdhsa_float_round_mode_32 0
		.amdhsa_float_round_mode_16_64 0
		.amdhsa_float_denorm_mode_32 3
		.amdhsa_float_denorm_mode_16_64 3
		.amdhsa_fp16_overflow 0
		.amdhsa_workgroup_processor_mode 1
		.amdhsa_memory_ordered 1
		.amdhsa_forward_progress 1
		.amdhsa_inst_pref_size 0
		.amdhsa_round_robin_scheduling 0
		.amdhsa_exception_fp_ieee_invalid_op 0
		.amdhsa_exception_fp_denorm_src 0
		.amdhsa_exception_fp_ieee_div_zero 0
		.amdhsa_exception_fp_ieee_overflow 0
		.amdhsa_exception_fp_ieee_underflow 0
		.amdhsa_exception_fp_ieee_inexact 0
		.amdhsa_exception_int_div_zero 0
	.end_amdhsa_kernel
	.section	.text._ZN7rocprim17ROCPRIM_400000_NS6detail17trampoline_kernelINS0_14default_configENS1_25partition_config_selectorILNS1_17partition_subalgoE6EN6thrust23THRUST_200600_302600_NS5tupleIxxNS7_9null_typeES9_S9_S9_S9_S9_S9_S9_EENS0_10empty_typeEbEEZZNS1_14partition_implILS5_6ELb0ES3_mNS7_12zip_iteratorINS8_INS7_6detail15normal_iteratorINS7_10device_ptrIxEEEESJ_S9_S9_S9_S9_S9_S9_S9_S9_EEEEPSB_SM_NS0_5tupleIJNSE_INS8_ISJ_NS7_16discard_iteratorINS7_11use_defaultEEES9_S9_S9_S9_S9_S9_S9_S9_EEEESB_EEENSN_IJSM_SM_EEESB_PlJNSF_9not_fun_tINSF_14equal_to_valueISA_EEEEEEE10hipError_tPvRmT3_T4_T5_T6_T7_T9_mT8_P12ihipStream_tbDpT10_ENKUlT_T0_E_clISt17integral_constantIbLb1EES1I_IbLb0EEEEDaS1E_S1F_EUlS1E_E_NS1_11comp_targetILNS1_3genE5ELNS1_11target_archE942ELNS1_3gpuE9ELNS1_3repE0EEENS1_30default_config_static_selectorELNS0_4arch9wavefront6targetE0EEEvT1_,"axG",@progbits,_ZN7rocprim17ROCPRIM_400000_NS6detail17trampoline_kernelINS0_14default_configENS1_25partition_config_selectorILNS1_17partition_subalgoE6EN6thrust23THRUST_200600_302600_NS5tupleIxxNS7_9null_typeES9_S9_S9_S9_S9_S9_S9_EENS0_10empty_typeEbEEZZNS1_14partition_implILS5_6ELb0ES3_mNS7_12zip_iteratorINS8_INS7_6detail15normal_iteratorINS7_10device_ptrIxEEEESJ_S9_S9_S9_S9_S9_S9_S9_S9_EEEEPSB_SM_NS0_5tupleIJNSE_INS8_ISJ_NS7_16discard_iteratorINS7_11use_defaultEEES9_S9_S9_S9_S9_S9_S9_S9_EEEESB_EEENSN_IJSM_SM_EEESB_PlJNSF_9not_fun_tINSF_14equal_to_valueISA_EEEEEEE10hipError_tPvRmT3_T4_T5_T6_T7_T9_mT8_P12ihipStream_tbDpT10_ENKUlT_T0_E_clISt17integral_constantIbLb1EES1I_IbLb0EEEEDaS1E_S1F_EUlS1E_E_NS1_11comp_targetILNS1_3genE5ELNS1_11target_archE942ELNS1_3gpuE9ELNS1_3repE0EEENS1_30default_config_static_selectorELNS0_4arch9wavefront6targetE0EEEvT1_,comdat
.Lfunc_end1998:
	.size	_ZN7rocprim17ROCPRIM_400000_NS6detail17trampoline_kernelINS0_14default_configENS1_25partition_config_selectorILNS1_17partition_subalgoE6EN6thrust23THRUST_200600_302600_NS5tupleIxxNS7_9null_typeES9_S9_S9_S9_S9_S9_S9_EENS0_10empty_typeEbEEZZNS1_14partition_implILS5_6ELb0ES3_mNS7_12zip_iteratorINS8_INS7_6detail15normal_iteratorINS7_10device_ptrIxEEEESJ_S9_S9_S9_S9_S9_S9_S9_S9_EEEEPSB_SM_NS0_5tupleIJNSE_INS8_ISJ_NS7_16discard_iteratorINS7_11use_defaultEEES9_S9_S9_S9_S9_S9_S9_S9_EEEESB_EEENSN_IJSM_SM_EEESB_PlJNSF_9not_fun_tINSF_14equal_to_valueISA_EEEEEEE10hipError_tPvRmT3_T4_T5_T6_T7_T9_mT8_P12ihipStream_tbDpT10_ENKUlT_T0_E_clISt17integral_constantIbLb1EES1I_IbLb0EEEEDaS1E_S1F_EUlS1E_E_NS1_11comp_targetILNS1_3genE5ELNS1_11target_archE942ELNS1_3gpuE9ELNS1_3repE0EEENS1_30default_config_static_selectorELNS0_4arch9wavefront6targetE0EEEvT1_, .Lfunc_end1998-_ZN7rocprim17ROCPRIM_400000_NS6detail17trampoline_kernelINS0_14default_configENS1_25partition_config_selectorILNS1_17partition_subalgoE6EN6thrust23THRUST_200600_302600_NS5tupleIxxNS7_9null_typeES9_S9_S9_S9_S9_S9_S9_EENS0_10empty_typeEbEEZZNS1_14partition_implILS5_6ELb0ES3_mNS7_12zip_iteratorINS8_INS7_6detail15normal_iteratorINS7_10device_ptrIxEEEESJ_S9_S9_S9_S9_S9_S9_S9_S9_EEEEPSB_SM_NS0_5tupleIJNSE_INS8_ISJ_NS7_16discard_iteratorINS7_11use_defaultEEES9_S9_S9_S9_S9_S9_S9_S9_EEEESB_EEENSN_IJSM_SM_EEESB_PlJNSF_9not_fun_tINSF_14equal_to_valueISA_EEEEEEE10hipError_tPvRmT3_T4_T5_T6_T7_T9_mT8_P12ihipStream_tbDpT10_ENKUlT_T0_E_clISt17integral_constantIbLb1EES1I_IbLb0EEEEDaS1E_S1F_EUlS1E_E_NS1_11comp_targetILNS1_3genE5ELNS1_11target_archE942ELNS1_3gpuE9ELNS1_3repE0EEENS1_30default_config_static_selectorELNS0_4arch9wavefront6targetE0EEEvT1_
                                        ; -- End function
	.set _ZN7rocprim17ROCPRIM_400000_NS6detail17trampoline_kernelINS0_14default_configENS1_25partition_config_selectorILNS1_17partition_subalgoE6EN6thrust23THRUST_200600_302600_NS5tupleIxxNS7_9null_typeES9_S9_S9_S9_S9_S9_S9_EENS0_10empty_typeEbEEZZNS1_14partition_implILS5_6ELb0ES3_mNS7_12zip_iteratorINS8_INS7_6detail15normal_iteratorINS7_10device_ptrIxEEEESJ_S9_S9_S9_S9_S9_S9_S9_S9_EEEEPSB_SM_NS0_5tupleIJNSE_INS8_ISJ_NS7_16discard_iteratorINS7_11use_defaultEEES9_S9_S9_S9_S9_S9_S9_S9_EEEESB_EEENSN_IJSM_SM_EEESB_PlJNSF_9not_fun_tINSF_14equal_to_valueISA_EEEEEEE10hipError_tPvRmT3_T4_T5_T6_T7_T9_mT8_P12ihipStream_tbDpT10_ENKUlT_T0_E_clISt17integral_constantIbLb1EES1I_IbLb0EEEEDaS1E_S1F_EUlS1E_E_NS1_11comp_targetILNS1_3genE5ELNS1_11target_archE942ELNS1_3gpuE9ELNS1_3repE0EEENS1_30default_config_static_selectorELNS0_4arch9wavefront6targetE0EEEvT1_.num_vgpr, 0
	.set _ZN7rocprim17ROCPRIM_400000_NS6detail17trampoline_kernelINS0_14default_configENS1_25partition_config_selectorILNS1_17partition_subalgoE6EN6thrust23THRUST_200600_302600_NS5tupleIxxNS7_9null_typeES9_S9_S9_S9_S9_S9_S9_EENS0_10empty_typeEbEEZZNS1_14partition_implILS5_6ELb0ES3_mNS7_12zip_iteratorINS8_INS7_6detail15normal_iteratorINS7_10device_ptrIxEEEESJ_S9_S9_S9_S9_S9_S9_S9_S9_EEEEPSB_SM_NS0_5tupleIJNSE_INS8_ISJ_NS7_16discard_iteratorINS7_11use_defaultEEES9_S9_S9_S9_S9_S9_S9_S9_EEEESB_EEENSN_IJSM_SM_EEESB_PlJNSF_9not_fun_tINSF_14equal_to_valueISA_EEEEEEE10hipError_tPvRmT3_T4_T5_T6_T7_T9_mT8_P12ihipStream_tbDpT10_ENKUlT_T0_E_clISt17integral_constantIbLb1EES1I_IbLb0EEEEDaS1E_S1F_EUlS1E_E_NS1_11comp_targetILNS1_3genE5ELNS1_11target_archE942ELNS1_3gpuE9ELNS1_3repE0EEENS1_30default_config_static_selectorELNS0_4arch9wavefront6targetE0EEEvT1_.num_agpr, 0
	.set _ZN7rocprim17ROCPRIM_400000_NS6detail17trampoline_kernelINS0_14default_configENS1_25partition_config_selectorILNS1_17partition_subalgoE6EN6thrust23THRUST_200600_302600_NS5tupleIxxNS7_9null_typeES9_S9_S9_S9_S9_S9_S9_EENS0_10empty_typeEbEEZZNS1_14partition_implILS5_6ELb0ES3_mNS7_12zip_iteratorINS8_INS7_6detail15normal_iteratorINS7_10device_ptrIxEEEESJ_S9_S9_S9_S9_S9_S9_S9_S9_EEEEPSB_SM_NS0_5tupleIJNSE_INS8_ISJ_NS7_16discard_iteratorINS7_11use_defaultEEES9_S9_S9_S9_S9_S9_S9_S9_EEEESB_EEENSN_IJSM_SM_EEESB_PlJNSF_9not_fun_tINSF_14equal_to_valueISA_EEEEEEE10hipError_tPvRmT3_T4_T5_T6_T7_T9_mT8_P12ihipStream_tbDpT10_ENKUlT_T0_E_clISt17integral_constantIbLb1EES1I_IbLb0EEEEDaS1E_S1F_EUlS1E_E_NS1_11comp_targetILNS1_3genE5ELNS1_11target_archE942ELNS1_3gpuE9ELNS1_3repE0EEENS1_30default_config_static_selectorELNS0_4arch9wavefront6targetE0EEEvT1_.numbered_sgpr, 0
	.set _ZN7rocprim17ROCPRIM_400000_NS6detail17trampoline_kernelINS0_14default_configENS1_25partition_config_selectorILNS1_17partition_subalgoE6EN6thrust23THRUST_200600_302600_NS5tupleIxxNS7_9null_typeES9_S9_S9_S9_S9_S9_S9_EENS0_10empty_typeEbEEZZNS1_14partition_implILS5_6ELb0ES3_mNS7_12zip_iteratorINS8_INS7_6detail15normal_iteratorINS7_10device_ptrIxEEEESJ_S9_S9_S9_S9_S9_S9_S9_S9_EEEEPSB_SM_NS0_5tupleIJNSE_INS8_ISJ_NS7_16discard_iteratorINS7_11use_defaultEEES9_S9_S9_S9_S9_S9_S9_S9_EEEESB_EEENSN_IJSM_SM_EEESB_PlJNSF_9not_fun_tINSF_14equal_to_valueISA_EEEEEEE10hipError_tPvRmT3_T4_T5_T6_T7_T9_mT8_P12ihipStream_tbDpT10_ENKUlT_T0_E_clISt17integral_constantIbLb1EES1I_IbLb0EEEEDaS1E_S1F_EUlS1E_E_NS1_11comp_targetILNS1_3genE5ELNS1_11target_archE942ELNS1_3gpuE9ELNS1_3repE0EEENS1_30default_config_static_selectorELNS0_4arch9wavefront6targetE0EEEvT1_.num_named_barrier, 0
	.set _ZN7rocprim17ROCPRIM_400000_NS6detail17trampoline_kernelINS0_14default_configENS1_25partition_config_selectorILNS1_17partition_subalgoE6EN6thrust23THRUST_200600_302600_NS5tupleIxxNS7_9null_typeES9_S9_S9_S9_S9_S9_S9_EENS0_10empty_typeEbEEZZNS1_14partition_implILS5_6ELb0ES3_mNS7_12zip_iteratorINS8_INS7_6detail15normal_iteratorINS7_10device_ptrIxEEEESJ_S9_S9_S9_S9_S9_S9_S9_S9_EEEEPSB_SM_NS0_5tupleIJNSE_INS8_ISJ_NS7_16discard_iteratorINS7_11use_defaultEEES9_S9_S9_S9_S9_S9_S9_S9_EEEESB_EEENSN_IJSM_SM_EEESB_PlJNSF_9not_fun_tINSF_14equal_to_valueISA_EEEEEEE10hipError_tPvRmT3_T4_T5_T6_T7_T9_mT8_P12ihipStream_tbDpT10_ENKUlT_T0_E_clISt17integral_constantIbLb1EES1I_IbLb0EEEEDaS1E_S1F_EUlS1E_E_NS1_11comp_targetILNS1_3genE5ELNS1_11target_archE942ELNS1_3gpuE9ELNS1_3repE0EEENS1_30default_config_static_selectorELNS0_4arch9wavefront6targetE0EEEvT1_.private_seg_size, 0
	.set _ZN7rocprim17ROCPRIM_400000_NS6detail17trampoline_kernelINS0_14default_configENS1_25partition_config_selectorILNS1_17partition_subalgoE6EN6thrust23THRUST_200600_302600_NS5tupleIxxNS7_9null_typeES9_S9_S9_S9_S9_S9_S9_EENS0_10empty_typeEbEEZZNS1_14partition_implILS5_6ELb0ES3_mNS7_12zip_iteratorINS8_INS7_6detail15normal_iteratorINS7_10device_ptrIxEEEESJ_S9_S9_S9_S9_S9_S9_S9_S9_EEEEPSB_SM_NS0_5tupleIJNSE_INS8_ISJ_NS7_16discard_iteratorINS7_11use_defaultEEES9_S9_S9_S9_S9_S9_S9_S9_EEEESB_EEENSN_IJSM_SM_EEESB_PlJNSF_9not_fun_tINSF_14equal_to_valueISA_EEEEEEE10hipError_tPvRmT3_T4_T5_T6_T7_T9_mT8_P12ihipStream_tbDpT10_ENKUlT_T0_E_clISt17integral_constantIbLb1EES1I_IbLb0EEEEDaS1E_S1F_EUlS1E_E_NS1_11comp_targetILNS1_3genE5ELNS1_11target_archE942ELNS1_3gpuE9ELNS1_3repE0EEENS1_30default_config_static_selectorELNS0_4arch9wavefront6targetE0EEEvT1_.uses_vcc, 0
	.set _ZN7rocprim17ROCPRIM_400000_NS6detail17trampoline_kernelINS0_14default_configENS1_25partition_config_selectorILNS1_17partition_subalgoE6EN6thrust23THRUST_200600_302600_NS5tupleIxxNS7_9null_typeES9_S9_S9_S9_S9_S9_S9_EENS0_10empty_typeEbEEZZNS1_14partition_implILS5_6ELb0ES3_mNS7_12zip_iteratorINS8_INS7_6detail15normal_iteratorINS7_10device_ptrIxEEEESJ_S9_S9_S9_S9_S9_S9_S9_S9_EEEEPSB_SM_NS0_5tupleIJNSE_INS8_ISJ_NS7_16discard_iteratorINS7_11use_defaultEEES9_S9_S9_S9_S9_S9_S9_S9_EEEESB_EEENSN_IJSM_SM_EEESB_PlJNSF_9not_fun_tINSF_14equal_to_valueISA_EEEEEEE10hipError_tPvRmT3_T4_T5_T6_T7_T9_mT8_P12ihipStream_tbDpT10_ENKUlT_T0_E_clISt17integral_constantIbLb1EES1I_IbLb0EEEEDaS1E_S1F_EUlS1E_E_NS1_11comp_targetILNS1_3genE5ELNS1_11target_archE942ELNS1_3gpuE9ELNS1_3repE0EEENS1_30default_config_static_selectorELNS0_4arch9wavefront6targetE0EEEvT1_.uses_flat_scratch, 0
	.set _ZN7rocprim17ROCPRIM_400000_NS6detail17trampoline_kernelINS0_14default_configENS1_25partition_config_selectorILNS1_17partition_subalgoE6EN6thrust23THRUST_200600_302600_NS5tupleIxxNS7_9null_typeES9_S9_S9_S9_S9_S9_S9_EENS0_10empty_typeEbEEZZNS1_14partition_implILS5_6ELb0ES3_mNS7_12zip_iteratorINS8_INS7_6detail15normal_iteratorINS7_10device_ptrIxEEEESJ_S9_S9_S9_S9_S9_S9_S9_S9_EEEEPSB_SM_NS0_5tupleIJNSE_INS8_ISJ_NS7_16discard_iteratorINS7_11use_defaultEEES9_S9_S9_S9_S9_S9_S9_S9_EEEESB_EEENSN_IJSM_SM_EEESB_PlJNSF_9not_fun_tINSF_14equal_to_valueISA_EEEEEEE10hipError_tPvRmT3_T4_T5_T6_T7_T9_mT8_P12ihipStream_tbDpT10_ENKUlT_T0_E_clISt17integral_constantIbLb1EES1I_IbLb0EEEEDaS1E_S1F_EUlS1E_E_NS1_11comp_targetILNS1_3genE5ELNS1_11target_archE942ELNS1_3gpuE9ELNS1_3repE0EEENS1_30default_config_static_selectorELNS0_4arch9wavefront6targetE0EEEvT1_.has_dyn_sized_stack, 0
	.set _ZN7rocprim17ROCPRIM_400000_NS6detail17trampoline_kernelINS0_14default_configENS1_25partition_config_selectorILNS1_17partition_subalgoE6EN6thrust23THRUST_200600_302600_NS5tupleIxxNS7_9null_typeES9_S9_S9_S9_S9_S9_S9_EENS0_10empty_typeEbEEZZNS1_14partition_implILS5_6ELb0ES3_mNS7_12zip_iteratorINS8_INS7_6detail15normal_iteratorINS7_10device_ptrIxEEEESJ_S9_S9_S9_S9_S9_S9_S9_S9_EEEEPSB_SM_NS0_5tupleIJNSE_INS8_ISJ_NS7_16discard_iteratorINS7_11use_defaultEEES9_S9_S9_S9_S9_S9_S9_S9_EEEESB_EEENSN_IJSM_SM_EEESB_PlJNSF_9not_fun_tINSF_14equal_to_valueISA_EEEEEEE10hipError_tPvRmT3_T4_T5_T6_T7_T9_mT8_P12ihipStream_tbDpT10_ENKUlT_T0_E_clISt17integral_constantIbLb1EES1I_IbLb0EEEEDaS1E_S1F_EUlS1E_E_NS1_11comp_targetILNS1_3genE5ELNS1_11target_archE942ELNS1_3gpuE9ELNS1_3repE0EEENS1_30default_config_static_selectorELNS0_4arch9wavefront6targetE0EEEvT1_.has_recursion, 0
	.set _ZN7rocprim17ROCPRIM_400000_NS6detail17trampoline_kernelINS0_14default_configENS1_25partition_config_selectorILNS1_17partition_subalgoE6EN6thrust23THRUST_200600_302600_NS5tupleIxxNS7_9null_typeES9_S9_S9_S9_S9_S9_S9_EENS0_10empty_typeEbEEZZNS1_14partition_implILS5_6ELb0ES3_mNS7_12zip_iteratorINS8_INS7_6detail15normal_iteratorINS7_10device_ptrIxEEEESJ_S9_S9_S9_S9_S9_S9_S9_S9_EEEEPSB_SM_NS0_5tupleIJNSE_INS8_ISJ_NS7_16discard_iteratorINS7_11use_defaultEEES9_S9_S9_S9_S9_S9_S9_S9_EEEESB_EEENSN_IJSM_SM_EEESB_PlJNSF_9not_fun_tINSF_14equal_to_valueISA_EEEEEEE10hipError_tPvRmT3_T4_T5_T6_T7_T9_mT8_P12ihipStream_tbDpT10_ENKUlT_T0_E_clISt17integral_constantIbLb1EES1I_IbLb0EEEEDaS1E_S1F_EUlS1E_E_NS1_11comp_targetILNS1_3genE5ELNS1_11target_archE942ELNS1_3gpuE9ELNS1_3repE0EEENS1_30default_config_static_selectorELNS0_4arch9wavefront6targetE0EEEvT1_.has_indirect_call, 0
	.section	.AMDGPU.csdata,"",@progbits
; Kernel info:
; codeLenInByte = 0
; TotalNumSgprs: 0
; NumVgprs: 0
; ScratchSize: 0
; MemoryBound: 0
; FloatMode: 240
; IeeeMode: 1
; LDSByteSize: 0 bytes/workgroup (compile time only)
; SGPRBlocks: 0
; VGPRBlocks: 0
; NumSGPRsForWavesPerEU: 1
; NumVGPRsForWavesPerEU: 1
; Occupancy: 16
; WaveLimiterHint : 0
; COMPUTE_PGM_RSRC2:SCRATCH_EN: 0
; COMPUTE_PGM_RSRC2:USER_SGPR: 2
; COMPUTE_PGM_RSRC2:TRAP_HANDLER: 0
; COMPUTE_PGM_RSRC2:TGID_X_EN: 1
; COMPUTE_PGM_RSRC2:TGID_Y_EN: 0
; COMPUTE_PGM_RSRC2:TGID_Z_EN: 0
; COMPUTE_PGM_RSRC2:TIDIG_COMP_CNT: 0
	.section	.text._ZN7rocprim17ROCPRIM_400000_NS6detail17trampoline_kernelINS0_14default_configENS1_25partition_config_selectorILNS1_17partition_subalgoE6EN6thrust23THRUST_200600_302600_NS5tupleIxxNS7_9null_typeES9_S9_S9_S9_S9_S9_S9_EENS0_10empty_typeEbEEZZNS1_14partition_implILS5_6ELb0ES3_mNS7_12zip_iteratorINS8_INS7_6detail15normal_iteratorINS7_10device_ptrIxEEEESJ_S9_S9_S9_S9_S9_S9_S9_S9_EEEEPSB_SM_NS0_5tupleIJNSE_INS8_ISJ_NS7_16discard_iteratorINS7_11use_defaultEEES9_S9_S9_S9_S9_S9_S9_S9_EEEESB_EEENSN_IJSM_SM_EEESB_PlJNSF_9not_fun_tINSF_14equal_to_valueISA_EEEEEEE10hipError_tPvRmT3_T4_T5_T6_T7_T9_mT8_P12ihipStream_tbDpT10_ENKUlT_T0_E_clISt17integral_constantIbLb1EES1I_IbLb0EEEEDaS1E_S1F_EUlS1E_E_NS1_11comp_targetILNS1_3genE4ELNS1_11target_archE910ELNS1_3gpuE8ELNS1_3repE0EEENS1_30default_config_static_selectorELNS0_4arch9wavefront6targetE0EEEvT1_,"axG",@progbits,_ZN7rocprim17ROCPRIM_400000_NS6detail17trampoline_kernelINS0_14default_configENS1_25partition_config_selectorILNS1_17partition_subalgoE6EN6thrust23THRUST_200600_302600_NS5tupleIxxNS7_9null_typeES9_S9_S9_S9_S9_S9_S9_EENS0_10empty_typeEbEEZZNS1_14partition_implILS5_6ELb0ES3_mNS7_12zip_iteratorINS8_INS7_6detail15normal_iteratorINS7_10device_ptrIxEEEESJ_S9_S9_S9_S9_S9_S9_S9_S9_EEEEPSB_SM_NS0_5tupleIJNSE_INS8_ISJ_NS7_16discard_iteratorINS7_11use_defaultEEES9_S9_S9_S9_S9_S9_S9_S9_EEEESB_EEENSN_IJSM_SM_EEESB_PlJNSF_9not_fun_tINSF_14equal_to_valueISA_EEEEEEE10hipError_tPvRmT3_T4_T5_T6_T7_T9_mT8_P12ihipStream_tbDpT10_ENKUlT_T0_E_clISt17integral_constantIbLb1EES1I_IbLb0EEEEDaS1E_S1F_EUlS1E_E_NS1_11comp_targetILNS1_3genE4ELNS1_11target_archE910ELNS1_3gpuE8ELNS1_3repE0EEENS1_30default_config_static_selectorELNS0_4arch9wavefront6targetE0EEEvT1_,comdat
	.protected	_ZN7rocprim17ROCPRIM_400000_NS6detail17trampoline_kernelINS0_14default_configENS1_25partition_config_selectorILNS1_17partition_subalgoE6EN6thrust23THRUST_200600_302600_NS5tupleIxxNS7_9null_typeES9_S9_S9_S9_S9_S9_S9_EENS0_10empty_typeEbEEZZNS1_14partition_implILS5_6ELb0ES3_mNS7_12zip_iteratorINS8_INS7_6detail15normal_iteratorINS7_10device_ptrIxEEEESJ_S9_S9_S9_S9_S9_S9_S9_S9_EEEEPSB_SM_NS0_5tupleIJNSE_INS8_ISJ_NS7_16discard_iteratorINS7_11use_defaultEEES9_S9_S9_S9_S9_S9_S9_S9_EEEESB_EEENSN_IJSM_SM_EEESB_PlJNSF_9not_fun_tINSF_14equal_to_valueISA_EEEEEEE10hipError_tPvRmT3_T4_T5_T6_T7_T9_mT8_P12ihipStream_tbDpT10_ENKUlT_T0_E_clISt17integral_constantIbLb1EES1I_IbLb0EEEEDaS1E_S1F_EUlS1E_E_NS1_11comp_targetILNS1_3genE4ELNS1_11target_archE910ELNS1_3gpuE8ELNS1_3repE0EEENS1_30default_config_static_selectorELNS0_4arch9wavefront6targetE0EEEvT1_ ; -- Begin function _ZN7rocprim17ROCPRIM_400000_NS6detail17trampoline_kernelINS0_14default_configENS1_25partition_config_selectorILNS1_17partition_subalgoE6EN6thrust23THRUST_200600_302600_NS5tupleIxxNS7_9null_typeES9_S9_S9_S9_S9_S9_S9_EENS0_10empty_typeEbEEZZNS1_14partition_implILS5_6ELb0ES3_mNS7_12zip_iteratorINS8_INS7_6detail15normal_iteratorINS7_10device_ptrIxEEEESJ_S9_S9_S9_S9_S9_S9_S9_S9_EEEEPSB_SM_NS0_5tupleIJNSE_INS8_ISJ_NS7_16discard_iteratorINS7_11use_defaultEEES9_S9_S9_S9_S9_S9_S9_S9_EEEESB_EEENSN_IJSM_SM_EEESB_PlJNSF_9not_fun_tINSF_14equal_to_valueISA_EEEEEEE10hipError_tPvRmT3_T4_T5_T6_T7_T9_mT8_P12ihipStream_tbDpT10_ENKUlT_T0_E_clISt17integral_constantIbLb1EES1I_IbLb0EEEEDaS1E_S1F_EUlS1E_E_NS1_11comp_targetILNS1_3genE4ELNS1_11target_archE910ELNS1_3gpuE8ELNS1_3repE0EEENS1_30default_config_static_selectorELNS0_4arch9wavefront6targetE0EEEvT1_
	.globl	_ZN7rocprim17ROCPRIM_400000_NS6detail17trampoline_kernelINS0_14default_configENS1_25partition_config_selectorILNS1_17partition_subalgoE6EN6thrust23THRUST_200600_302600_NS5tupleIxxNS7_9null_typeES9_S9_S9_S9_S9_S9_S9_EENS0_10empty_typeEbEEZZNS1_14partition_implILS5_6ELb0ES3_mNS7_12zip_iteratorINS8_INS7_6detail15normal_iteratorINS7_10device_ptrIxEEEESJ_S9_S9_S9_S9_S9_S9_S9_S9_EEEEPSB_SM_NS0_5tupleIJNSE_INS8_ISJ_NS7_16discard_iteratorINS7_11use_defaultEEES9_S9_S9_S9_S9_S9_S9_S9_EEEESB_EEENSN_IJSM_SM_EEESB_PlJNSF_9not_fun_tINSF_14equal_to_valueISA_EEEEEEE10hipError_tPvRmT3_T4_T5_T6_T7_T9_mT8_P12ihipStream_tbDpT10_ENKUlT_T0_E_clISt17integral_constantIbLb1EES1I_IbLb0EEEEDaS1E_S1F_EUlS1E_E_NS1_11comp_targetILNS1_3genE4ELNS1_11target_archE910ELNS1_3gpuE8ELNS1_3repE0EEENS1_30default_config_static_selectorELNS0_4arch9wavefront6targetE0EEEvT1_
	.p2align	8
	.type	_ZN7rocprim17ROCPRIM_400000_NS6detail17trampoline_kernelINS0_14default_configENS1_25partition_config_selectorILNS1_17partition_subalgoE6EN6thrust23THRUST_200600_302600_NS5tupleIxxNS7_9null_typeES9_S9_S9_S9_S9_S9_S9_EENS0_10empty_typeEbEEZZNS1_14partition_implILS5_6ELb0ES3_mNS7_12zip_iteratorINS8_INS7_6detail15normal_iteratorINS7_10device_ptrIxEEEESJ_S9_S9_S9_S9_S9_S9_S9_S9_EEEEPSB_SM_NS0_5tupleIJNSE_INS8_ISJ_NS7_16discard_iteratorINS7_11use_defaultEEES9_S9_S9_S9_S9_S9_S9_S9_EEEESB_EEENSN_IJSM_SM_EEESB_PlJNSF_9not_fun_tINSF_14equal_to_valueISA_EEEEEEE10hipError_tPvRmT3_T4_T5_T6_T7_T9_mT8_P12ihipStream_tbDpT10_ENKUlT_T0_E_clISt17integral_constantIbLb1EES1I_IbLb0EEEEDaS1E_S1F_EUlS1E_E_NS1_11comp_targetILNS1_3genE4ELNS1_11target_archE910ELNS1_3gpuE8ELNS1_3repE0EEENS1_30default_config_static_selectorELNS0_4arch9wavefront6targetE0EEEvT1_,@function
_ZN7rocprim17ROCPRIM_400000_NS6detail17trampoline_kernelINS0_14default_configENS1_25partition_config_selectorILNS1_17partition_subalgoE6EN6thrust23THRUST_200600_302600_NS5tupleIxxNS7_9null_typeES9_S9_S9_S9_S9_S9_S9_EENS0_10empty_typeEbEEZZNS1_14partition_implILS5_6ELb0ES3_mNS7_12zip_iteratorINS8_INS7_6detail15normal_iteratorINS7_10device_ptrIxEEEESJ_S9_S9_S9_S9_S9_S9_S9_S9_EEEEPSB_SM_NS0_5tupleIJNSE_INS8_ISJ_NS7_16discard_iteratorINS7_11use_defaultEEES9_S9_S9_S9_S9_S9_S9_S9_EEEESB_EEENSN_IJSM_SM_EEESB_PlJNSF_9not_fun_tINSF_14equal_to_valueISA_EEEEEEE10hipError_tPvRmT3_T4_T5_T6_T7_T9_mT8_P12ihipStream_tbDpT10_ENKUlT_T0_E_clISt17integral_constantIbLb1EES1I_IbLb0EEEEDaS1E_S1F_EUlS1E_E_NS1_11comp_targetILNS1_3genE4ELNS1_11target_archE910ELNS1_3gpuE8ELNS1_3repE0EEENS1_30default_config_static_selectorELNS0_4arch9wavefront6targetE0EEEvT1_: ; @_ZN7rocprim17ROCPRIM_400000_NS6detail17trampoline_kernelINS0_14default_configENS1_25partition_config_selectorILNS1_17partition_subalgoE6EN6thrust23THRUST_200600_302600_NS5tupleIxxNS7_9null_typeES9_S9_S9_S9_S9_S9_S9_EENS0_10empty_typeEbEEZZNS1_14partition_implILS5_6ELb0ES3_mNS7_12zip_iteratorINS8_INS7_6detail15normal_iteratorINS7_10device_ptrIxEEEESJ_S9_S9_S9_S9_S9_S9_S9_S9_EEEEPSB_SM_NS0_5tupleIJNSE_INS8_ISJ_NS7_16discard_iteratorINS7_11use_defaultEEES9_S9_S9_S9_S9_S9_S9_S9_EEEESB_EEENSN_IJSM_SM_EEESB_PlJNSF_9not_fun_tINSF_14equal_to_valueISA_EEEEEEE10hipError_tPvRmT3_T4_T5_T6_T7_T9_mT8_P12ihipStream_tbDpT10_ENKUlT_T0_E_clISt17integral_constantIbLb1EES1I_IbLb0EEEEDaS1E_S1F_EUlS1E_E_NS1_11comp_targetILNS1_3genE4ELNS1_11target_archE910ELNS1_3gpuE8ELNS1_3repE0EEENS1_30default_config_static_selectorELNS0_4arch9wavefront6targetE0EEEvT1_
; %bb.0:
	.section	.rodata,"a",@progbits
	.p2align	6, 0x0
	.amdhsa_kernel _ZN7rocprim17ROCPRIM_400000_NS6detail17trampoline_kernelINS0_14default_configENS1_25partition_config_selectorILNS1_17partition_subalgoE6EN6thrust23THRUST_200600_302600_NS5tupleIxxNS7_9null_typeES9_S9_S9_S9_S9_S9_S9_EENS0_10empty_typeEbEEZZNS1_14partition_implILS5_6ELb0ES3_mNS7_12zip_iteratorINS8_INS7_6detail15normal_iteratorINS7_10device_ptrIxEEEESJ_S9_S9_S9_S9_S9_S9_S9_S9_EEEEPSB_SM_NS0_5tupleIJNSE_INS8_ISJ_NS7_16discard_iteratorINS7_11use_defaultEEES9_S9_S9_S9_S9_S9_S9_S9_EEEESB_EEENSN_IJSM_SM_EEESB_PlJNSF_9not_fun_tINSF_14equal_to_valueISA_EEEEEEE10hipError_tPvRmT3_T4_T5_T6_T7_T9_mT8_P12ihipStream_tbDpT10_ENKUlT_T0_E_clISt17integral_constantIbLb1EES1I_IbLb0EEEEDaS1E_S1F_EUlS1E_E_NS1_11comp_targetILNS1_3genE4ELNS1_11target_archE910ELNS1_3gpuE8ELNS1_3repE0EEENS1_30default_config_static_selectorELNS0_4arch9wavefront6targetE0EEEvT1_
		.amdhsa_group_segment_fixed_size 0
		.amdhsa_private_segment_fixed_size 0
		.amdhsa_kernarg_size 152
		.amdhsa_user_sgpr_count 2
		.amdhsa_user_sgpr_dispatch_ptr 0
		.amdhsa_user_sgpr_queue_ptr 0
		.amdhsa_user_sgpr_kernarg_segment_ptr 1
		.amdhsa_user_sgpr_dispatch_id 0
		.amdhsa_user_sgpr_private_segment_size 0
		.amdhsa_wavefront_size32 1
		.amdhsa_uses_dynamic_stack 0
		.amdhsa_enable_private_segment 0
		.amdhsa_system_sgpr_workgroup_id_x 1
		.amdhsa_system_sgpr_workgroup_id_y 0
		.amdhsa_system_sgpr_workgroup_id_z 0
		.amdhsa_system_sgpr_workgroup_info 0
		.amdhsa_system_vgpr_workitem_id 0
		.amdhsa_next_free_vgpr 1
		.amdhsa_next_free_sgpr 1
		.amdhsa_reserve_vcc 0
		.amdhsa_float_round_mode_32 0
		.amdhsa_float_round_mode_16_64 0
		.amdhsa_float_denorm_mode_32 3
		.amdhsa_float_denorm_mode_16_64 3
		.amdhsa_fp16_overflow 0
		.amdhsa_workgroup_processor_mode 1
		.amdhsa_memory_ordered 1
		.amdhsa_forward_progress 1
		.amdhsa_inst_pref_size 0
		.amdhsa_round_robin_scheduling 0
		.amdhsa_exception_fp_ieee_invalid_op 0
		.amdhsa_exception_fp_denorm_src 0
		.amdhsa_exception_fp_ieee_div_zero 0
		.amdhsa_exception_fp_ieee_overflow 0
		.amdhsa_exception_fp_ieee_underflow 0
		.amdhsa_exception_fp_ieee_inexact 0
		.amdhsa_exception_int_div_zero 0
	.end_amdhsa_kernel
	.section	.text._ZN7rocprim17ROCPRIM_400000_NS6detail17trampoline_kernelINS0_14default_configENS1_25partition_config_selectorILNS1_17partition_subalgoE6EN6thrust23THRUST_200600_302600_NS5tupleIxxNS7_9null_typeES9_S9_S9_S9_S9_S9_S9_EENS0_10empty_typeEbEEZZNS1_14partition_implILS5_6ELb0ES3_mNS7_12zip_iteratorINS8_INS7_6detail15normal_iteratorINS7_10device_ptrIxEEEESJ_S9_S9_S9_S9_S9_S9_S9_S9_EEEEPSB_SM_NS0_5tupleIJNSE_INS8_ISJ_NS7_16discard_iteratorINS7_11use_defaultEEES9_S9_S9_S9_S9_S9_S9_S9_EEEESB_EEENSN_IJSM_SM_EEESB_PlJNSF_9not_fun_tINSF_14equal_to_valueISA_EEEEEEE10hipError_tPvRmT3_T4_T5_T6_T7_T9_mT8_P12ihipStream_tbDpT10_ENKUlT_T0_E_clISt17integral_constantIbLb1EES1I_IbLb0EEEEDaS1E_S1F_EUlS1E_E_NS1_11comp_targetILNS1_3genE4ELNS1_11target_archE910ELNS1_3gpuE8ELNS1_3repE0EEENS1_30default_config_static_selectorELNS0_4arch9wavefront6targetE0EEEvT1_,"axG",@progbits,_ZN7rocprim17ROCPRIM_400000_NS6detail17trampoline_kernelINS0_14default_configENS1_25partition_config_selectorILNS1_17partition_subalgoE6EN6thrust23THRUST_200600_302600_NS5tupleIxxNS7_9null_typeES9_S9_S9_S9_S9_S9_S9_EENS0_10empty_typeEbEEZZNS1_14partition_implILS5_6ELb0ES3_mNS7_12zip_iteratorINS8_INS7_6detail15normal_iteratorINS7_10device_ptrIxEEEESJ_S9_S9_S9_S9_S9_S9_S9_S9_EEEEPSB_SM_NS0_5tupleIJNSE_INS8_ISJ_NS7_16discard_iteratorINS7_11use_defaultEEES9_S9_S9_S9_S9_S9_S9_S9_EEEESB_EEENSN_IJSM_SM_EEESB_PlJNSF_9not_fun_tINSF_14equal_to_valueISA_EEEEEEE10hipError_tPvRmT3_T4_T5_T6_T7_T9_mT8_P12ihipStream_tbDpT10_ENKUlT_T0_E_clISt17integral_constantIbLb1EES1I_IbLb0EEEEDaS1E_S1F_EUlS1E_E_NS1_11comp_targetILNS1_3genE4ELNS1_11target_archE910ELNS1_3gpuE8ELNS1_3repE0EEENS1_30default_config_static_selectorELNS0_4arch9wavefront6targetE0EEEvT1_,comdat
.Lfunc_end1999:
	.size	_ZN7rocprim17ROCPRIM_400000_NS6detail17trampoline_kernelINS0_14default_configENS1_25partition_config_selectorILNS1_17partition_subalgoE6EN6thrust23THRUST_200600_302600_NS5tupleIxxNS7_9null_typeES9_S9_S9_S9_S9_S9_S9_EENS0_10empty_typeEbEEZZNS1_14partition_implILS5_6ELb0ES3_mNS7_12zip_iteratorINS8_INS7_6detail15normal_iteratorINS7_10device_ptrIxEEEESJ_S9_S9_S9_S9_S9_S9_S9_S9_EEEEPSB_SM_NS0_5tupleIJNSE_INS8_ISJ_NS7_16discard_iteratorINS7_11use_defaultEEES9_S9_S9_S9_S9_S9_S9_S9_EEEESB_EEENSN_IJSM_SM_EEESB_PlJNSF_9not_fun_tINSF_14equal_to_valueISA_EEEEEEE10hipError_tPvRmT3_T4_T5_T6_T7_T9_mT8_P12ihipStream_tbDpT10_ENKUlT_T0_E_clISt17integral_constantIbLb1EES1I_IbLb0EEEEDaS1E_S1F_EUlS1E_E_NS1_11comp_targetILNS1_3genE4ELNS1_11target_archE910ELNS1_3gpuE8ELNS1_3repE0EEENS1_30default_config_static_selectorELNS0_4arch9wavefront6targetE0EEEvT1_, .Lfunc_end1999-_ZN7rocprim17ROCPRIM_400000_NS6detail17trampoline_kernelINS0_14default_configENS1_25partition_config_selectorILNS1_17partition_subalgoE6EN6thrust23THRUST_200600_302600_NS5tupleIxxNS7_9null_typeES9_S9_S9_S9_S9_S9_S9_EENS0_10empty_typeEbEEZZNS1_14partition_implILS5_6ELb0ES3_mNS7_12zip_iteratorINS8_INS7_6detail15normal_iteratorINS7_10device_ptrIxEEEESJ_S9_S9_S9_S9_S9_S9_S9_S9_EEEEPSB_SM_NS0_5tupleIJNSE_INS8_ISJ_NS7_16discard_iteratorINS7_11use_defaultEEES9_S9_S9_S9_S9_S9_S9_S9_EEEESB_EEENSN_IJSM_SM_EEESB_PlJNSF_9not_fun_tINSF_14equal_to_valueISA_EEEEEEE10hipError_tPvRmT3_T4_T5_T6_T7_T9_mT8_P12ihipStream_tbDpT10_ENKUlT_T0_E_clISt17integral_constantIbLb1EES1I_IbLb0EEEEDaS1E_S1F_EUlS1E_E_NS1_11comp_targetILNS1_3genE4ELNS1_11target_archE910ELNS1_3gpuE8ELNS1_3repE0EEENS1_30default_config_static_selectorELNS0_4arch9wavefront6targetE0EEEvT1_
                                        ; -- End function
	.set _ZN7rocprim17ROCPRIM_400000_NS6detail17trampoline_kernelINS0_14default_configENS1_25partition_config_selectorILNS1_17partition_subalgoE6EN6thrust23THRUST_200600_302600_NS5tupleIxxNS7_9null_typeES9_S9_S9_S9_S9_S9_S9_EENS0_10empty_typeEbEEZZNS1_14partition_implILS5_6ELb0ES3_mNS7_12zip_iteratorINS8_INS7_6detail15normal_iteratorINS7_10device_ptrIxEEEESJ_S9_S9_S9_S9_S9_S9_S9_S9_EEEEPSB_SM_NS0_5tupleIJNSE_INS8_ISJ_NS7_16discard_iteratorINS7_11use_defaultEEES9_S9_S9_S9_S9_S9_S9_S9_EEEESB_EEENSN_IJSM_SM_EEESB_PlJNSF_9not_fun_tINSF_14equal_to_valueISA_EEEEEEE10hipError_tPvRmT3_T4_T5_T6_T7_T9_mT8_P12ihipStream_tbDpT10_ENKUlT_T0_E_clISt17integral_constantIbLb1EES1I_IbLb0EEEEDaS1E_S1F_EUlS1E_E_NS1_11comp_targetILNS1_3genE4ELNS1_11target_archE910ELNS1_3gpuE8ELNS1_3repE0EEENS1_30default_config_static_selectorELNS0_4arch9wavefront6targetE0EEEvT1_.num_vgpr, 0
	.set _ZN7rocprim17ROCPRIM_400000_NS6detail17trampoline_kernelINS0_14default_configENS1_25partition_config_selectorILNS1_17partition_subalgoE6EN6thrust23THRUST_200600_302600_NS5tupleIxxNS7_9null_typeES9_S9_S9_S9_S9_S9_S9_EENS0_10empty_typeEbEEZZNS1_14partition_implILS5_6ELb0ES3_mNS7_12zip_iteratorINS8_INS7_6detail15normal_iteratorINS7_10device_ptrIxEEEESJ_S9_S9_S9_S9_S9_S9_S9_S9_EEEEPSB_SM_NS0_5tupleIJNSE_INS8_ISJ_NS7_16discard_iteratorINS7_11use_defaultEEES9_S9_S9_S9_S9_S9_S9_S9_EEEESB_EEENSN_IJSM_SM_EEESB_PlJNSF_9not_fun_tINSF_14equal_to_valueISA_EEEEEEE10hipError_tPvRmT3_T4_T5_T6_T7_T9_mT8_P12ihipStream_tbDpT10_ENKUlT_T0_E_clISt17integral_constantIbLb1EES1I_IbLb0EEEEDaS1E_S1F_EUlS1E_E_NS1_11comp_targetILNS1_3genE4ELNS1_11target_archE910ELNS1_3gpuE8ELNS1_3repE0EEENS1_30default_config_static_selectorELNS0_4arch9wavefront6targetE0EEEvT1_.num_agpr, 0
	.set _ZN7rocprim17ROCPRIM_400000_NS6detail17trampoline_kernelINS0_14default_configENS1_25partition_config_selectorILNS1_17partition_subalgoE6EN6thrust23THRUST_200600_302600_NS5tupleIxxNS7_9null_typeES9_S9_S9_S9_S9_S9_S9_EENS0_10empty_typeEbEEZZNS1_14partition_implILS5_6ELb0ES3_mNS7_12zip_iteratorINS8_INS7_6detail15normal_iteratorINS7_10device_ptrIxEEEESJ_S9_S9_S9_S9_S9_S9_S9_S9_EEEEPSB_SM_NS0_5tupleIJNSE_INS8_ISJ_NS7_16discard_iteratorINS7_11use_defaultEEES9_S9_S9_S9_S9_S9_S9_S9_EEEESB_EEENSN_IJSM_SM_EEESB_PlJNSF_9not_fun_tINSF_14equal_to_valueISA_EEEEEEE10hipError_tPvRmT3_T4_T5_T6_T7_T9_mT8_P12ihipStream_tbDpT10_ENKUlT_T0_E_clISt17integral_constantIbLb1EES1I_IbLb0EEEEDaS1E_S1F_EUlS1E_E_NS1_11comp_targetILNS1_3genE4ELNS1_11target_archE910ELNS1_3gpuE8ELNS1_3repE0EEENS1_30default_config_static_selectorELNS0_4arch9wavefront6targetE0EEEvT1_.numbered_sgpr, 0
	.set _ZN7rocprim17ROCPRIM_400000_NS6detail17trampoline_kernelINS0_14default_configENS1_25partition_config_selectorILNS1_17partition_subalgoE6EN6thrust23THRUST_200600_302600_NS5tupleIxxNS7_9null_typeES9_S9_S9_S9_S9_S9_S9_EENS0_10empty_typeEbEEZZNS1_14partition_implILS5_6ELb0ES3_mNS7_12zip_iteratorINS8_INS7_6detail15normal_iteratorINS7_10device_ptrIxEEEESJ_S9_S9_S9_S9_S9_S9_S9_S9_EEEEPSB_SM_NS0_5tupleIJNSE_INS8_ISJ_NS7_16discard_iteratorINS7_11use_defaultEEES9_S9_S9_S9_S9_S9_S9_S9_EEEESB_EEENSN_IJSM_SM_EEESB_PlJNSF_9not_fun_tINSF_14equal_to_valueISA_EEEEEEE10hipError_tPvRmT3_T4_T5_T6_T7_T9_mT8_P12ihipStream_tbDpT10_ENKUlT_T0_E_clISt17integral_constantIbLb1EES1I_IbLb0EEEEDaS1E_S1F_EUlS1E_E_NS1_11comp_targetILNS1_3genE4ELNS1_11target_archE910ELNS1_3gpuE8ELNS1_3repE0EEENS1_30default_config_static_selectorELNS0_4arch9wavefront6targetE0EEEvT1_.num_named_barrier, 0
	.set _ZN7rocprim17ROCPRIM_400000_NS6detail17trampoline_kernelINS0_14default_configENS1_25partition_config_selectorILNS1_17partition_subalgoE6EN6thrust23THRUST_200600_302600_NS5tupleIxxNS7_9null_typeES9_S9_S9_S9_S9_S9_S9_EENS0_10empty_typeEbEEZZNS1_14partition_implILS5_6ELb0ES3_mNS7_12zip_iteratorINS8_INS7_6detail15normal_iteratorINS7_10device_ptrIxEEEESJ_S9_S9_S9_S9_S9_S9_S9_S9_EEEEPSB_SM_NS0_5tupleIJNSE_INS8_ISJ_NS7_16discard_iteratorINS7_11use_defaultEEES9_S9_S9_S9_S9_S9_S9_S9_EEEESB_EEENSN_IJSM_SM_EEESB_PlJNSF_9not_fun_tINSF_14equal_to_valueISA_EEEEEEE10hipError_tPvRmT3_T4_T5_T6_T7_T9_mT8_P12ihipStream_tbDpT10_ENKUlT_T0_E_clISt17integral_constantIbLb1EES1I_IbLb0EEEEDaS1E_S1F_EUlS1E_E_NS1_11comp_targetILNS1_3genE4ELNS1_11target_archE910ELNS1_3gpuE8ELNS1_3repE0EEENS1_30default_config_static_selectorELNS0_4arch9wavefront6targetE0EEEvT1_.private_seg_size, 0
	.set _ZN7rocprim17ROCPRIM_400000_NS6detail17trampoline_kernelINS0_14default_configENS1_25partition_config_selectorILNS1_17partition_subalgoE6EN6thrust23THRUST_200600_302600_NS5tupleIxxNS7_9null_typeES9_S9_S9_S9_S9_S9_S9_EENS0_10empty_typeEbEEZZNS1_14partition_implILS5_6ELb0ES3_mNS7_12zip_iteratorINS8_INS7_6detail15normal_iteratorINS7_10device_ptrIxEEEESJ_S9_S9_S9_S9_S9_S9_S9_S9_EEEEPSB_SM_NS0_5tupleIJNSE_INS8_ISJ_NS7_16discard_iteratorINS7_11use_defaultEEES9_S9_S9_S9_S9_S9_S9_S9_EEEESB_EEENSN_IJSM_SM_EEESB_PlJNSF_9not_fun_tINSF_14equal_to_valueISA_EEEEEEE10hipError_tPvRmT3_T4_T5_T6_T7_T9_mT8_P12ihipStream_tbDpT10_ENKUlT_T0_E_clISt17integral_constantIbLb1EES1I_IbLb0EEEEDaS1E_S1F_EUlS1E_E_NS1_11comp_targetILNS1_3genE4ELNS1_11target_archE910ELNS1_3gpuE8ELNS1_3repE0EEENS1_30default_config_static_selectorELNS0_4arch9wavefront6targetE0EEEvT1_.uses_vcc, 0
	.set _ZN7rocprim17ROCPRIM_400000_NS6detail17trampoline_kernelINS0_14default_configENS1_25partition_config_selectorILNS1_17partition_subalgoE6EN6thrust23THRUST_200600_302600_NS5tupleIxxNS7_9null_typeES9_S9_S9_S9_S9_S9_S9_EENS0_10empty_typeEbEEZZNS1_14partition_implILS5_6ELb0ES3_mNS7_12zip_iteratorINS8_INS7_6detail15normal_iteratorINS7_10device_ptrIxEEEESJ_S9_S9_S9_S9_S9_S9_S9_S9_EEEEPSB_SM_NS0_5tupleIJNSE_INS8_ISJ_NS7_16discard_iteratorINS7_11use_defaultEEES9_S9_S9_S9_S9_S9_S9_S9_EEEESB_EEENSN_IJSM_SM_EEESB_PlJNSF_9not_fun_tINSF_14equal_to_valueISA_EEEEEEE10hipError_tPvRmT3_T4_T5_T6_T7_T9_mT8_P12ihipStream_tbDpT10_ENKUlT_T0_E_clISt17integral_constantIbLb1EES1I_IbLb0EEEEDaS1E_S1F_EUlS1E_E_NS1_11comp_targetILNS1_3genE4ELNS1_11target_archE910ELNS1_3gpuE8ELNS1_3repE0EEENS1_30default_config_static_selectorELNS0_4arch9wavefront6targetE0EEEvT1_.uses_flat_scratch, 0
	.set _ZN7rocprim17ROCPRIM_400000_NS6detail17trampoline_kernelINS0_14default_configENS1_25partition_config_selectorILNS1_17partition_subalgoE6EN6thrust23THRUST_200600_302600_NS5tupleIxxNS7_9null_typeES9_S9_S9_S9_S9_S9_S9_EENS0_10empty_typeEbEEZZNS1_14partition_implILS5_6ELb0ES3_mNS7_12zip_iteratorINS8_INS7_6detail15normal_iteratorINS7_10device_ptrIxEEEESJ_S9_S9_S9_S9_S9_S9_S9_S9_EEEEPSB_SM_NS0_5tupleIJNSE_INS8_ISJ_NS7_16discard_iteratorINS7_11use_defaultEEES9_S9_S9_S9_S9_S9_S9_S9_EEEESB_EEENSN_IJSM_SM_EEESB_PlJNSF_9not_fun_tINSF_14equal_to_valueISA_EEEEEEE10hipError_tPvRmT3_T4_T5_T6_T7_T9_mT8_P12ihipStream_tbDpT10_ENKUlT_T0_E_clISt17integral_constantIbLb1EES1I_IbLb0EEEEDaS1E_S1F_EUlS1E_E_NS1_11comp_targetILNS1_3genE4ELNS1_11target_archE910ELNS1_3gpuE8ELNS1_3repE0EEENS1_30default_config_static_selectorELNS0_4arch9wavefront6targetE0EEEvT1_.has_dyn_sized_stack, 0
	.set _ZN7rocprim17ROCPRIM_400000_NS6detail17trampoline_kernelINS0_14default_configENS1_25partition_config_selectorILNS1_17partition_subalgoE6EN6thrust23THRUST_200600_302600_NS5tupleIxxNS7_9null_typeES9_S9_S9_S9_S9_S9_S9_EENS0_10empty_typeEbEEZZNS1_14partition_implILS5_6ELb0ES3_mNS7_12zip_iteratorINS8_INS7_6detail15normal_iteratorINS7_10device_ptrIxEEEESJ_S9_S9_S9_S9_S9_S9_S9_S9_EEEEPSB_SM_NS0_5tupleIJNSE_INS8_ISJ_NS7_16discard_iteratorINS7_11use_defaultEEES9_S9_S9_S9_S9_S9_S9_S9_EEEESB_EEENSN_IJSM_SM_EEESB_PlJNSF_9not_fun_tINSF_14equal_to_valueISA_EEEEEEE10hipError_tPvRmT3_T4_T5_T6_T7_T9_mT8_P12ihipStream_tbDpT10_ENKUlT_T0_E_clISt17integral_constantIbLb1EES1I_IbLb0EEEEDaS1E_S1F_EUlS1E_E_NS1_11comp_targetILNS1_3genE4ELNS1_11target_archE910ELNS1_3gpuE8ELNS1_3repE0EEENS1_30default_config_static_selectorELNS0_4arch9wavefront6targetE0EEEvT1_.has_recursion, 0
	.set _ZN7rocprim17ROCPRIM_400000_NS6detail17trampoline_kernelINS0_14default_configENS1_25partition_config_selectorILNS1_17partition_subalgoE6EN6thrust23THRUST_200600_302600_NS5tupleIxxNS7_9null_typeES9_S9_S9_S9_S9_S9_S9_EENS0_10empty_typeEbEEZZNS1_14partition_implILS5_6ELb0ES3_mNS7_12zip_iteratorINS8_INS7_6detail15normal_iteratorINS7_10device_ptrIxEEEESJ_S9_S9_S9_S9_S9_S9_S9_S9_EEEEPSB_SM_NS0_5tupleIJNSE_INS8_ISJ_NS7_16discard_iteratorINS7_11use_defaultEEES9_S9_S9_S9_S9_S9_S9_S9_EEEESB_EEENSN_IJSM_SM_EEESB_PlJNSF_9not_fun_tINSF_14equal_to_valueISA_EEEEEEE10hipError_tPvRmT3_T4_T5_T6_T7_T9_mT8_P12ihipStream_tbDpT10_ENKUlT_T0_E_clISt17integral_constantIbLb1EES1I_IbLb0EEEEDaS1E_S1F_EUlS1E_E_NS1_11comp_targetILNS1_3genE4ELNS1_11target_archE910ELNS1_3gpuE8ELNS1_3repE0EEENS1_30default_config_static_selectorELNS0_4arch9wavefront6targetE0EEEvT1_.has_indirect_call, 0
	.section	.AMDGPU.csdata,"",@progbits
; Kernel info:
; codeLenInByte = 0
; TotalNumSgprs: 0
; NumVgprs: 0
; ScratchSize: 0
; MemoryBound: 0
; FloatMode: 240
; IeeeMode: 1
; LDSByteSize: 0 bytes/workgroup (compile time only)
; SGPRBlocks: 0
; VGPRBlocks: 0
; NumSGPRsForWavesPerEU: 1
; NumVGPRsForWavesPerEU: 1
; Occupancy: 16
; WaveLimiterHint : 0
; COMPUTE_PGM_RSRC2:SCRATCH_EN: 0
; COMPUTE_PGM_RSRC2:USER_SGPR: 2
; COMPUTE_PGM_RSRC2:TRAP_HANDLER: 0
; COMPUTE_PGM_RSRC2:TGID_X_EN: 1
; COMPUTE_PGM_RSRC2:TGID_Y_EN: 0
; COMPUTE_PGM_RSRC2:TGID_Z_EN: 0
; COMPUTE_PGM_RSRC2:TIDIG_COMP_CNT: 0
	.section	.text._ZN7rocprim17ROCPRIM_400000_NS6detail17trampoline_kernelINS0_14default_configENS1_25partition_config_selectorILNS1_17partition_subalgoE6EN6thrust23THRUST_200600_302600_NS5tupleIxxNS7_9null_typeES9_S9_S9_S9_S9_S9_S9_EENS0_10empty_typeEbEEZZNS1_14partition_implILS5_6ELb0ES3_mNS7_12zip_iteratorINS8_INS7_6detail15normal_iteratorINS7_10device_ptrIxEEEESJ_S9_S9_S9_S9_S9_S9_S9_S9_EEEEPSB_SM_NS0_5tupleIJNSE_INS8_ISJ_NS7_16discard_iteratorINS7_11use_defaultEEES9_S9_S9_S9_S9_S9_S9_S9_EEEESB_EEENSN_IJSM_SM_EEESB_PlJNSF_9not_fun_tINSF_14equal_to_valueISA_EEEEEEE10hipError_tPvRmT3_T4_T5_T6_T7_T9_mT8_P12ihipStream_tbDpT10_ENKUlT_T0_E_clISt17integral_constantIbLb1EES1I_IbLb0EEEEDaS1E_S1F_EUlS1E_E_NS1_11comp_targetILNS1_3genE3ELNS1_11target_archE908ELNS1_3gpuE7ELNS1_3repE0EEENS1_30default_config_static_selectorELNS0_4arch9wavefront6targetE0EEEvT1_,"axG",@progbits,_ZN7rocprim17ROCPRIM_400000_NS6detail17trampoline_kernelINS0_14default_configENS1_25partition_config_selectorILNS1_17partition_subalgoE6EN6thrust23THRUST_200600_302600_NS5tupleIxxNS7_9null_typeES9_S9_S9_S9_S9_S9_S9_EENS0_10empty_typeEbEEZZNS1_14partition_implILS5_6ELb0ES3_mNS7_12zip_iteratorINS8_INS7_6detail15normal_iteratorINS7_10device_ptrIxEEEESJ_S9_S9_S9_S9_S9_S9_S9_S9_EEEEPSB_SM_NS0_5tupleIJNSE_INS8_ISJ_NS7_16discard_iteratorINS7_11use_defaultEEES9_S9_S9_S9_S9_S9_S9_S9_EEEESB_EEENSN_IJSM_SM_EEESB_PlJNSF_9not_fun_tINSF_14equal_to_valueISA_EEEEEEE10hipError_tPvRmT3_T4_T5_T6_T7_T9_mT8_P12ihipStream_tbDpT10_ENKUlT_T0_E_clISt17integral_constantIbLb1EES1I_IbLb0EEEEDaS1E_S1F_EUlS1E_E_NS1_11comp_targetILNS1_3genE3ELNS1_11target_archE908ELNS1_3gpuE7ELNS1_3repE0EEENS1_30default_config_static_selectorELNS0_4arch9wavefront6targetE0EEEvT1_,comdat
	.protected	_ZN7rocprim17ROCPRIM_400000_NS6detail17trampoline_kernelINS0_14default_configENS1_25partition_config_selectorILNS1_17partition_subalgoE6EN6thrust23THRUST_200600_302600_NS5tupleIxxNS7_9null_typeES9_S9_S9_S9_S9_S9_S9_EENS0_10empty_typeEbEEZZNS1_14partition_implILS5_6ELb0ES3_mNS7_12zip_iteratorINS8_INS7_6detail15normal_iteratorINS7_10device_ptrIxEEEESJ_S9_S9_S9_S9_S9_S9_S9_S9_EEEEPSB_SM_NS0_5tupleIJNSE_INS8_ISJ_NS7_16discard_iteratorINS7_11use_defaultEEES9_S9_S9_S9_S9_S9_S9_S9_EEEESB_EEENSN_IJSM_SM_EEESB_PlJNSF_9not_fun_tINSF_14equal_to_valueISA_EEEEEEE10hipError_tPvRmT3_T4_T5_T6_T7_T9_mT8_P12ihipStream_tbDpT10_ENKUlT_T0_E_clISt17integral_constantIbLb1EES1I_IbLb0EEEEDaS1E_S1F_EUlS1E_E_NS1_11comp_targetILNS1_3genE3ELNS1_11target_archE908ELNS1_3gpuE7ELNS1_3repE0EEENS1_30default_config_static_selectorELNS0_4arch9wavefront6targetE0EEEvT1_ ; -- Begin function _ZN7rocprim17ROCPRIM_400000_NS6detail17trampoline_kernelINS0_14default_configENS1_25partition_config_selectorILNS1_17partition_subalgoE6EN6thrust23THRUST_200600_302600_NS5tupleIxxNS7_9null_typeES9_S9_S9_S9_S9_S9_S9_EENS0_10empty_typeEbEEZZNS1_14partition_implILS5_6ELb0ES3_mNS7_12zip_iteratorINS8_INS7_6detail15normal_iteratorINS7_10device_ptrIxEEEESJ_S9_S9_S9_S9_S9_S9_S9_S9_EEEEPSB_SM_NS0_5tupleIJNSE_INS8_ISJ_NS7_16discard_iteratorINS7_11use_defaultEEES9_S9_S9_S9_S9_S9_S9_S9_EEEESB_EEENSN_IJSM_SM_EEESB_PlJNSF_9not_fun_tINSF_14equal_to_valueISA_EEEEEEE10hipError_tPvRmT3_T4_T5_T6_T7_T9_mT8_P12ihipStream_tbDpT10_ENKUlT_T0_E_clISt17integral_constantIbLb1EES1I_IbLb0EEEEDaS1E_S1F_EUlS1E_E_NS1_11comp_targetILNS1_3genE3ELNS1_11target_archE908ELNS1_3gpuE7ELNS1_3repE0EEENS1_30default_config_static_selectorELNS0_4arch9wavefront6targetE0EEEvT1_
	.globl	_ZN7rocprim17ROCPRIM_400000_NS6detail17trampoline_kernelINS0_14default_configENS1_25partition_config_selectorILNS1_17partition_subalgoE6EN6thrust23THRUST_200600_302600_NS5tupleIxxNS7_9null_typeES9_S9_S9_S9_S9_S9_S9_EENS0_10empty_typeEbEEZZNS1_14partition_implILS5_6ELb0ES3_mNS7_12zip_iteratorINS8_INS7_6detail15normal_iteratorINS7_10device_ptrIxEEEESJ_S9_S9_S9_S9_S9_S9_S9_S9_EEEEPSB_SM_NS0_5tupleIJNSE_INS8_ISJ_NS7_16discard_iteratorINS7_11use_defaultEEES9_S9_S9_S9_S9_S9_S9_S9_EEEESB_EEENSN_IJSM_SM_EEESB_PlJNSF_9not_fun_tINSF_14equal_to_valueISA_EEEEEEE10hipError_tPvRmT3_T4_T5_T6_T7_T9_mT8_P12ihipStream_tbDpT10_ENKUlT_T0_E_clISt17integral_constantIbLb1EES1I_IbLb0EEEEDaS1E_S1F_EUlS1E_E_NS1_11comp_targetILNS1_3genE3ELNS1_11target_archE908ELNS1_3gpuE7ELNS1_3repE0EEENS1_30default_config_static_selectorELNS0_4arch9wavefront6targetE0EEEvT1_
	.p2align	8
	.type	_ZN7rocprim17ROCPRIM_400000_NS6detail17trampoline_kernelINS0_14default_configENS1_25partition_config_selectorILNS1_17partition_subalgoE6EN6thrust23THRUST_200600_302600_NS5tupleIxxNS7_9null_typeES9_S9_S9_S9_S9_S9_S9_EENS0_10empty_typeEbEEZZNS1_14partition_implILS5_6ELb0ES3_mNS7_12zip_iteratorINS8_INS7_6detail15normal_iteratorINS7_10device_ptrIxEEEESJ_S9_S9_S9_S9_S9_S9_S9_S9_EEEEPSB_SM_NS0_5tupleIJNSE_INS8_ISJ_NS7_16discard_iteratorINS7_11use_defaultEEES9_S9_S9_S9_S9_S9_S9_S9_EEEESB_EEENSN_IJSM_SM_EEESB_PlJNSF_9not_fun_tINSF_14equal_to_valueISA_EEEEEEE10hipError_tPvRmT3_T4_T5_T6_T7_T9_mT8_P12ihipStream_tbDpT10_ENKUlT_T0_E_clISt17integral_constantIbLb1EES1I_IbLb0EEEEDaS1E_S1F_EUlS1E_E_NS1_11comp_targetILNS1_3genE3ELNS1_11target_archE908ELNS1_3gpuE7ELNS1_3repE0EEENS1_30default_config_static_selectorELNS0_4arch9wavefront6targetE0EEEvT1_,@function
_ZN7rocprim17ROCPRIM_400000_NS6detail17trampoline_kernelINS0_14default_configENS1_25partition_config_selectorILNS1_17partition_subalgoE6EN6thrust23THRUST_200600_302600_NS5tupleIxxNS7_9null_typeES9_S9_S9_S9_S9_S9_S9_EENS0_10empty_typeEbEEZZNS1_14partition_implILS5_6ELb0ES3_mNS7_12zip_iteratorINS8_INS7_6detail15normal_iteratorINS7_10device_ptrIxEEEESJ_S9_S9_S9_S9_S9_S9_S9_S9_EEEEPSB_SM_NS0_5tupleIJNSE_INS8_ISJ_NS7_16discard_iteratorINS7_11use_defaultEEES9_S9_S9_S9_S9_S9_S9_S9_EEEESB_EEENSN_IJSM_SM_EEESB_PlJNSF_9not_fun_tINSF_14equal_to_valueISA_EEEEEEE10hipError_tPvRmT3_T4_T5_T6_T7_T9_mT8_P12ihipStream_tbDpT10_ENKUlT_T0_E_clISt17integral_constantIbLb1EES1I_IbLb0EEEEDaS1E_S1F_EUlS1E_E_NS1_11comp_targetILNS1_3genE3ELNS1_11target_archE908ELNS1_3gpuE7ELNS1_3repE0EEENS1_30default_config_static_selectorELNS0_4arch9wavefront6targetE0EEEvT1_: ; @_ZN7rocprim17ROCPRIM_400000_NS6detail17trampoline_kernelINS0_14default_configENS1_25partition_config_selectorILNS1_17partition_subalgoE6EN6thrust23THRUST_200600_302600_NS5tupleIxxNS7_9null_typeES9_S9_S9_S9_S9_S9_S9_EENS0_10empty_typeEbEEZZNS1_14partition_implILS5_6ELb0ES3_mNS7_12zip_iteratorINS8_INS7_6detail15normal_iteratorINS7_10device_ptrIxEEEESJ_S9_S9_S9_S9_S9_S9_S9_S9_EEEEPSB_SM_NS0_5tupleIJNSE_INS8_ISJ_NS7_16discard_iteratorINS7_11use_defaultEEES9_S9_S9_S9_S9_S9_S9_S9_EEEESB_EEENSN_IJSM_SM_EEESB_PlJNSF_9not_fun_tINSF_14equal_to_valueISA_EEEEEEE10hipError_tPvRmT3_T4_T5_T6_T7_T9_mT8_P12ihipStream_tbDpT10_ENKUlT_T0_E_clISt17integral_constantIbLb1EES1I_IbLb0EEEEDaS1E_S1F_EUlS1E_E_NS1_11comp_targetILNS1_3genE3ELNS1_11target_archE908ELNS1_3gpuE7ELNS1_3repE0EEENS1_30default_config_static_selectorELNS0_4arch9wavefront6targetE0EEEvT1_
; %bb.0:
	.section	.rodata,"a",@progbits
	.p2align	6, 0x0
	.amdhsa_kernel _ZN7rocprim17ROCPRIM_400000_NS6detail17trampoline_kernelINS0_14default_configENS1_25partition_config_selectorILNS1_17partition_subalgoE6EN6thrust23THRUST_200600_302600_NS5tupleIxxNS7_9null_typeES9_S9_S9_S9_S9_S9_S9_EENS0_10empty_typeEbEEZZNS1_14partition_implILS5_6ELb0ES3_mNS7_12zip_iteratorINS8_INS7_6detail15normal_iteratorINS7_10device_ptrIxEEEESJ_S9_S9_S9_S9_S9_S9_S9_S9_EEEEPSB_SM_NS0_5tupleIJNSE_INS8_ISJ_NS7_16discard_iteratorINS7_11use_defaultEEES9_S9_S9_S9_S9_S9_S9_S9_EEEESB_EEENSN_IJSM_SM_EEESB_PlJNSF_9not_fun_tINSF_14equal_to_valueISA_EEEEEEE10hipError_tPvRmT3_T4_T5_T6_T7_T9_mT8_P12ihipStream_tbDpT10_ENKUlT_T0_E_clISt17integral_constantIbLb1EES1I_IbLb0EEEEDaS1E_S1F_EUlS1E_E_NS1_11comp_targetILNS1_3genE3ELNS1_11target_archE908ELNS1_3gpuE7ELNS1_3repE0EEENS1_30default_config_static_selectorELNS0_4arch9wavefront6targetE0EEEvT1_
		.amdhsa_group_segment_fixed_size 0
		.amdhsa_private_segment_fixed_size 0
		.amdhsa_kernarg_size 152
		.amdhsa_user_sgpr_count 2
		.amdhsa_user_sgpr_dispatch_ptr 0
		.amdhsa_user_sgpr_queue_ptr 0
		.amdhsa_user_sgpr_kernarg_segment_ptr 1
		.amdhsa_user_sgpr_dispatch_id 0
		.amdhsa_user_sgpr_private_segment_size 0
		.amdhsa_wavefront_size32 1
		.amdhsa_uses_dynamic_stack 0
		.amdhsa_enable_private_segment 0
		.amdhsa_system_sgpr_workgroup_id_x 1
		.amdhsa_system_sgpr_workgroup_id_y 0
		.amdhsa_system_sgpr_workgroup_id_z 0
		.amdhsa_system_sgpr_workgroup_info 0
		.amdhsa_system_vgpr_workitem_id 0
		.amdhsa_next_free_vgpr 1
		.amdhsa_next_free_sgpr 1
		.amdhsa_reserve_vcc 0
		.amdhsa_float_round_mode_32 0
		.amdhsa_float_round_mode_16_64 0
		.amdhsa_float_denorm_mode_32 3
		.amdhsa_float_denorm_mode_16_64 3
		.amdhsa_fp16_overflow 0
		.amdhsa_workgroup_processor_mode 1
		.amdhsa_memory_ordered 1
		.amdhsa_forward_progress 1
		.amdhsa_inst_pref_size 0
		.amdhsa_round_robin_scheduling 0
		.amdhsa_exception_fp_ieee_invalid_op 0
		.amdhsa_exception_fp_denorm_src 0
		.amdhsa_exception_fp_ieee_div_zero 0
		.amdhsa_exception_fp_ieee_overflow 0
		.amdhsa_exception_fp_ieee_underflow 0
		.amdhsa_exception_fp_ieee_inexact 0
		.amdhsa_exception_int_div_zero 0
	.end_amdhsa_kernel
	.section	.text._ZN7rocprim17ROCPRIM_400000_NS6detail17trampoline_kernelINS0_14default_configENS1_25partition_config_selectorILNS1_17partition_subalgoE6EN6thrust23THRUST_200600_302600_NS5tupleIxxNS7_9null_typeES9_S9_S9_S9_S9_S9_S9_EENS0_10empty_typeEbEEZZNS1_14partition_implILS5_6ELb0ES3_mNS7_12zip_iteratorINS8_INS7_6detail15normal_iteratorINS7_10device_ptrIxEEEESJ_S9_S9_S9_S9_S9_S9_S9_S9_EEEEPSB_SM_NS0_5tupleIJNSE_INS8_ISJ_NS7_16discard_iteratorINS7_11use_defaultEEES9_S9_S9_S9_S9_S9_S9_S9_EEEESB_EEENSN_IJSM_SM_EEESB_PlJNSF_9not_fun_tINSF_14equal_to_valueISA_EEEEEEE10hipError_tPvRmT3_T4_T5_T6_T7_T9_mT8_P12ihipStream_tbDpT10_ENKUlT_T0_E_clISt17integral_constantIbLb1EES1I_IbLb0EEEEDaS1E_S1F_EUlS1E_E_NS1_11comp_targetILNS1_3genE3ELNS1_11target_archE908ELNS1_3gpuE7ELNS1_3repE0EEENS1_30default_config_static_selectorELNS0_4arch9wavefront6targetE0EEEvT1_,"axG",@progbits,_ZN7rocprim17ROCPRIM_400000_NS6detail17trampoline_kernelINS0_14default_configENS1_25partition_config_selectorILNS1_17partition_subalgoE6EN6thrust23THRUST_200600_302600_NS5tupleIxxNS7_9null_typeES9_S9_S9_S9_S9_S9_S9_EENS0_10empty_typeEbEEZZNS1_14partition_implILS5_6ELb0ES3_mNS7_12zip_iteratorINS8_INS7_6detail15normal_iteratorINS7_10device_ptrIxEEEESJ_S9_S9_S9_S9_S9_S9_S9_S9_EEEEPSB_SM_NS0_5tupleIJNSE_INS8_ISJ_NS7_16discard_iteratorINS7_11use_defaultEEES9_S9_S9_S9_S9_S9_S9_S9_EEEESB_EEENSN_IJSM_SM_EEESB_PlJNSF_9not_fun_tINSF_14equal_to_valueISA_EEEEEEE10hipError_tPvRmT3_T4_T5_T6_T7_T9_mT8_P12ihipStream_tbDpT10_ENKUlT_T0_E_clISt17integral_constantIbLb1EES1I_IbLb0EEEEDaS1E_S1F_EUlS1E_E_NS1_11comp_targetILNS1_3genE3ELNS1_11target_archE908ELNS1_3gpuE7ELNS1_3repE0EEENS1_30default_config_static_selectorELNS0_4arch9wavefront6targetE0EEEvT1_,comdat
.Lfunc_end2000:
	.size	_ZN7rocprim17ROCPRIM_400000_NS6detail17trampoline_kernelINS0_14default_configENS1_25partition_config_selectorILNS1_17partition_subalgoE6EN6thrust23THRUST_200600_302600_NS5tupleIxxNS7_9null_typeES9_S9_S9_S9_S9_S9_S9_EENS0_10empty_typeEbEEZZNS1_14partition_implILS5_6ELb0ES3_mNS7_12zip_iteratorINS8_INS7_6detail15normal_iteratorINS7_10device_ptrIxEEEESJ_S9_S9_S9_S9_S9_S9_S9_S9_EEEEPSB_SM_NS0_5tupleIJNSE_INS8_ISJ_NS7_16discard_iteratorINS7_11use_defaultEEES9_S9_S9_S9_S9_S9_S9_S9_EEEESB_EEENSN_IJSM_SM_EEESB_PlJNSF_9not_fun_tINSF_14equal_to_valueISA_EEEEEEE10hipError_tPvRmT3_T4_T5_T6_T7_T9_mT8_P12ihipStream_tbDpT10_ENKUlT_T0_E_clISt17integral_constantIbLb1EES1I_IbLb0EEEEDaS1E_S1F_EUlS1E_E_NS1_11comp_targetILNS1_3genE3ELNS1_11target_archE908ELNS1_3gpuE7ELNS1_3repE0EEENS1_30default_config_static_selectorELNS0_4arch9wavefront6targetE0EEEvT1_, .Lfunc_end2000-_ZN7rocprim17ROCPRIM_400000_NS6detail17trampoline_kernelINS0_14default_configENS1_25partition_config_selectorILNS1_17partition_subalgoE6EN6thrust23THRUST_200600_302600_NS5tupleIxxNS7_9null_typeES9_S9_S9_S9_S9_S9_S9_EENS0_10empty_typeEbEEZZNS1_14partition_implILS5_6ELb0ES3_mNS7_12zip_iteratorINS8_INS7_6detail15normal_iteratorINS7_10device_ptrIxEEEESJ_S9_S9_S9_S9_S9_S9_S9_S9_EEEEPSB_SM_NS0_5tupleIJNSE_INS8_ISJ_NS7_16discard_iteratorINS7_11use_defaultEEES9_S9_S9_S9_S9_S9_S9_S9_EEEESB_EEENSN_IJSM_SM_EEESB_PlJNSF_9not_fun_tINSF_14equal_to_valueISA_EEEEEEE10hipError_tPvRmT3_T4_T5_T6_T7_T9_mT8_P12ihipStream_tbDpT10_ENKUlT_T0_E_clISt17integral_constantIbLb1EES1I_IbLb0EEEEDaS1E_S1F_EUlS1E_E_NS1_11comp_targetILNS1_3genE3ELNS1_11target_archE908ELNS1_3gpuE7ELNS1_3repE0EEENS1_30default_config_static_selectorELNS0_4arch9wavefront6targetE0EEEvT1_
                                        ; -- End function
	.set _ZN7rocprim17ROCPRIM_400000_NS6detail17trampoline_kernelINS0_14default_configENS1_25partition_config_selectorILNS1_17partition_subalgoE6EN6thrust23THRUST_200600_302600_NS5tupleIxxNS7_9null_typeES9_S9_S9_S9_S9_S9_S9_EENS0_10empty_typeEbEEZZNS1_14partition_implILS5_6ELb0ES3_mNS7_12zip_iteratorINS8_INS7_6detail15normal_iteratorINS7_10device_ptrIxEEEESJ_S9_S9_S9_S9_S9_S9_S9_S9_EEEEPSB_SM_NS0_5tupleIJNSE_INS8_ISJ_NS7_16discard_iteratorINS7_11use_defaultEEES9_S9_S9_S9_S9_S9_S9_S9_EEEESB_EEENSN_IJSM_SM_EEESB_PlJNSF_9not_fun_tINSF_14equal_to_valueISA_EEEEEEE10hipError_tPvRmT3_T4_T5_T6_T7_T9_mT8_P12ihipStream_tbDpT10_ENKUlT_T0_E_clISt17integral_constantIbLb1EES1I_IbLb0EEEEDaS1E_S1F_EUlS1E_E_NS1_11comp_targetILNS1_3genE3ELNS1_11target_archE908ELNS1_3gpuE7ELNS1_3repE0EEENS1_30default_config_static_selectorELNS0_4arch9wavefront6targetE0EEEvT1_.num_vgpr, 0
	.set _ZN7rocprim17ROCPRIM_400000_NS6detail17trampoline_kernelINS0_14default_configENS1_25partition_config_selectorILNS1_17partition_subalgoE6EN6thrust23THRUST_200600_302600_NS5tupleIxxNS7_9null_typeES9_S9_S9_S9_S9_S9_S9_EENS0_10empty_typeEbEEZZNS1_14partition_implILS5_6ELb0ES3_mNS7_12zip_iteratorINS8_INS7_6detail15normal_iteratorINS7_10device_ptrIxEEEESJ_S9_S9_S9_S9_S9_S9_S9_S9_EEEEPSB_SM_NS0_5tupleIJNSE_INS8_ISJ_NS7_16discard_iteratorINS7_11use_defaultEEES9_S9_S9_S9_S9_S9_S9_S9_EEEESB_EEENSN_IJSM_SM_EEESB_PlJNSF_9not_fun_tINSF_14equal_to_valueISA_EEEEEEE10hipError_tPvRmT3_T4_T5_T6_T7_T9_mT8_P12ihipStream_tbDpT10_ENKUlT_T0_E_clISt17integral_constantIbLb1EES1I_IbLb0EEEEDaS1E_S1F_EUlS1E_E_NS1_11comp_targetILNS1_3genE3ELNS1_11target_archE908ELNS1_3gpuE7ELNS1_3repE0EEENS1_30default_config_static_selectorELNS0_4arch9wavefront6targetE0EEEvT1_.num_agpr, 0
	.set _ZN7rocprim17ROCPRIM_400000_NS6detail17trampoline_kernelINS0_14default_configENS1_25partition_config_selectorILNS1_17partition_subalgoE6EN6thrust23THRUST_200600_302600_NS5tupleIxxNS7_9null_typeES9_S9_S9_S9_S9_S9_S9_EENS0_10empty_typeEbEEZZNS1_14partition_implILS5_6ELb0ES3_mNS7_12zip_iteratorINS8_INS7_6detail15normal_iteratorINS7_10device_ptrIxEEEESJ_S9_S9_S9_S9_S9_S9_S9_S9_EEEEPSB_SM_NS0_5tupleIJNSE_INS8_ISJ_NS7_16discard_iteratorINS7_11use_defaultEEES9_S9_S9_S9_S9_S9_S9_S9_EEEESB_EEENSN_IJSM_SM_EEESB_PlJNSF_9not_fun_tINSF_14equal_to_valueISA_EEEEEEE10hipError_tPvRmT3_T4_T5_T6_T7_T9_mT8_P12ihipStream_tbDpT10_ENKUlT_T0_E_clISt17integral_constantIbLb1EES1I_IbLb0EEEEDaS1E_S1F_EUlS1E_E_NS1_11comp_targetILNS1_3genE3ELNS1_11target_archE908ELNS1_3gpuE7ELNS1_3repE0EEENS1_30default_config_static_selectorELNS0_4arch9wavefront6targetE0EEEvT1_.numbered_sgpr, 0
	.set _ZN7rocprim17ROCPRIM_400000_NS6detail17trampoline_kernelINS0_14default_configENS1_25partition_config_selectorILNS1_17partition_subalgoE6EN6thrust23THRUST_200600_302600_NS5tupleIxxNS7_9null_typeES9_S9_S9_S9_S9_S9_S9_EENS0_10empty_typeEbEEZZNS1_14partition_implILS5_6ELb0ES3_mNS7_12zip_iteratorINS8_INS7_6detail15normal_iteratorINS7_10device_ptrIxEEEESJ_S9_S9_S9_S9_S9_S9_S9_S9_EEEEPSB_SM_NS0_5tupleIJNSE_INS8_ISJ_NS7_16discard_iteratorINS7_11use_defaultEEES9_S9_S9_S9_S9_S9_S9_S9_EEEESB_EEENSN_IJSM_SM_EEESB_PlJNSF_9not_fun_tINSF_14equal_to_valueISA_EEEEEEE10hipError_tPvRmT3_T4_T5_T6_T7_T9_mT8_P12ihipStream_tbDpT10_ENKUlT_T0_E_clISt17integral_constantIbLb1EES1I_IbLb0EEEEDaS1E_S1F_EUlS1E_E_NS1_11comp_targetILNS1_3genE3ELNS1_11target_archE908ELNS1_3gpuE7ELNS1_3repE0EEENS1_30default_config_static_selectorELNS0_4arch9wavefront6targetE0EEEvT1_.num_named_barrier, 0
	.set _ZN7rocprim17ROCPRIM_400000_NS6detail17trampoline_kernelINS0_14default_configENS1_25partition_config_selectorILNS1_17partition_subalgoE6EN6thrust23THRUST_200600_302600_NS5tupleIxxNS7_9null_typeES9_S9_S9_S9_S9_S9_S9_EENS0_10empty_typeEbEEZZNS1_14partition_implILS5_6ELb0ES3_mNS7_12zip_iteratorINS8_INS7_6detail15normal_iteratorINS7_10device_ptrIxEEEESJ_S9_S9_S9_S9_S9_S9_S9_S9_EEEEPSB_SM_NS0_5tupleIJNSE_INS8_ISJ_NS7_16discard_iteratorINS7_11use_defaultEEES9_S9_S9_S9_S9_S9_S9_S9_EEEESB_EEENSN_IJSM_SM_EEESB_PlJNSF_9not_fun_tINSF_14equal_to_valueISA_EEEEEEE10hipError_tPvRmT3_T4_T5_T6_T7_T9_mT8_P12ihipStream_tbDpT10_ENKUlT_T0_E_clISt17integral_constantIbLb1EES1I_IbLb0EEEEDaS1E_S1F_EUlS1E_E_NS1_11comp_targetILNS1_3genE3ELNS1_11target_archE908ELNS1_3gpuE7ELNS1_3repE0EEENS1_30default_config_static_selectorELNS0_4arch9wavefront6targetE0EEEvT1_.private_seg_size, 0
	.set _ZN7rocprim17ROCPRIM_400000_NS6detail17trampoline_kernelINS0_14default_configENS1_25partition_config_selectorILNS1_17partition_subalgoE6EN6thrust23THRUST_200600_302600_NS5tupleIxxNS7_9null_typeES9_S9_S9_S9_S9_S9_S9_EENS0_10empty_typeEbEEZZNS1_14partition_implILS5_6ELb0ES3_mNS7_12zip_iteratorINS8_INS7_6detail15normal_iteratorINS7_10device_ptrIxEEEESJ_S9_S9_S9_S9_S9_S9_S9_S9_EEEEPSB_SM_NS0_5tupleIJNSE_INS8_ISJ_NS7_16discard_iteratorINS7_11use_defaultEEES9_S9_S9_S9_S9_S9_S9_S9_EEEESB_EEENSN_IJSM_SM_EEESB_PlJNSF_9not_fun_tINSF_14equal_to_valueISA_EEEEEEE10hipError_tPvRmT3_T4_T5_T6_T7_T9_mT8_P12ihipStream_tbDpT10_ENKUlT_T0_E_clISt17integral_constantIbLb1EES1I_IbLb0EEEEDaS1E_S1F_EUlS1E_E_NS1_11comp_targetILNS1_3genE3ELNS1_11target_archE908ELNS1_3gpuE7ELNS1_3repE0EEENS1_30default_config_static_selectorELNS0_4arch9wavefront6targetE0EEEvT1_.uses_vcc, 0
	.set _ZN7rocprim17ROCPRIM_400000_NS6detail17trampoline_kernelINS0_14default_configENS1_25partition_config_selectorILNS1_17partition_subalgoE6EN6thrust23THRUST_200600_302600_NS5tupleIxxNS7_9null_typeES9_S9_S9_S9_S9_S9_S9_EENS0_10empty_typeEbEEZZNS1_14partition_implILS5_6ELb0ES3_mNS7_12zip_iteratorINS8_INS7_6detail15normal_iteratorINS7_10device_ptrIxEEEESJ_S9_S9_S9_S9_S9_S9_S9_S9_EEEEPSB_SM_NS0_5tupleIJNSE_INS8_ISJ_NS7_16discard_iteratorINS7_11use_defaultEEES9_S9_S9_S9_S9_S9_S9_S9_EEEESB_EEENSN_IJSM_SM_EEESB_PlJNSF_9not_fun_tINSF_14equal_to_valueISA_EEEEEEE10hipError_tPvRmT3_T4_T5_T6_T7_T9_mT8_P12ihipStream_tbDpT10_ENKUlT_T0_E_clISt17integral_constantIbLb1EES1I_IbLb0EEEEDaS1E_S1F_EUlS1E_E_NS1_11comp_targetILNS1_3genE3ELNS1_11target_archE908ELNS1_3gpuE7ELNS1_3repE0EEENS1_30default_config_static_selectorELNS0_4arch9wavefront6targetE0EEEvT1_.uses_flat_scratch, 0
	.set _ZN7rocprim17ROCPRIM_400000_NS6detail17trampoline_kernelINS0_14default_configENS1_25partition_config_selectorILNS1_17partition_subalgoE6EN6thrust23THRUST_200600_302600_NS5tupleIxxNS7_9null_typeES9_S9_S9_S9_S9_S9_S9_EENS0_10empty_typeEbEEZZNS1_14partition_implILS5_6ELb0ES3_mNS7_12zip_iteratorINS8_INS7_6detail15normal_iteratorINS7_10device_ptrIxEEEESJ_S9_S9_S9_S9_S9_S9_S9_S9_EEEEPSB_SM_NS0_5tupleIJNSE_INS8_ISJ_NS7_16discard_iteratorINS7_11use_defaultEEES9_S9_S9_S9_S9_S9_S9_S9_EEEESB_EEENSN_IJSM_SM_EEESB_PlJNSF_9not_fun_tINSF_14equal_to_valueISA_EEEEEEE10hipError_tPvRmT3_T4_T5_T6_T7_T9_mT8_P12ihipStream_tbDpT10_ENKUlT_T0_E_clISt17integral_constantIbLb1EES1I_IbLb0EEEEDaS1E_S1F_EUlS1E_E_NS1_11comp_targetILNS1_3genE3ELNS1_11target_archE908ELNS1_3gpuE7ELNS1_3repE0EEENS1_30default_config_static_selectorELNS0_4arch9wavefront6targetE0EEEvT1_.has_dyn_sized_stack, 0
	.set _ZN7rocprim17ROCPRIM_400000_NS6detail17trampoline_kernelINS0_14default_configENS1_25partition_config_selectorILNS1_17partition_subalgoE6EN6thrust23THRUST_200600_302600_NS5tupleIxxNS7_9null_typeES9_S9_S9_S9_S9_S9_S9_EENS0_10empty_typeEbEEZZNS1_14partition_implILS5_6ELb0ES3_mNS7_12zip_iteratorINS8_INS7_6detail15normal_iteratorINS7_10device_ptrIxEEEESJ_S9_S9_S9_S9_S9_S9_S9_S9_EEEEPSB_SM_NS0_5tupleIJNSE_INS8_ISJ_NS7_16discard_iteratorINS7_11use_defaultEEES9_S9_S9_S9_S9_S9_S9_S9_EEEESB_EEENSN_IJSM_SM_EEESB_PlJNSF_9not_fun_tINSF_14equal_to_valueISA_EEEEEEE10hipError_tPvRmT3_T4_T5_T6_T7_T9_mT8_P12ihipStream_tbDpT10_ENKUlT_T0_E_clISt17integral_constantIbLb1EES1I_IbLb0EEEEDaS1E_S1F_EUlS1E_E_NS1_11comp_targetILNS1_3genE3ELNS1_11target_archE908ELNS1_3gpuE7ELNS1_3repE0EEENS1_30default_config_static_selectorELNS0_4arch9wavefront6targetE0EEEvT1_.has_recursion, 0
	.set _ZN7rocprim17ROCPRIM_400000_NS6detail17trampoline_kernelINS0_14default_configENS1_25partition_config_selectorILNS1_17partition_subalgoE6EN6thrust23THRUST_200600_302600_NS5tupleIxxNS7_9null_typeES9_S9_S9_S9_S9_S9_S9_EENS0_10empty_typeEbEEZZNS1_14partition_implILS5_6ELb0ES3_mNS7_12zip_iteratorINS8_INS7_6detail15normal_iteratorINS7_10device_ptrIxEEEESJ_S9_S9_S9_S9_S9_S9_S9_S9_EEEEPSB_SM_NS0_5tupleIJNSE_INS8_ISJ_NS7_16discard_iteratorINS7_11use_defaultEEES9_S9_S9_S9_S9_S9_S9_S9_EEEESB_EEENSN_IJSM_SM_EEESB_PlJNSF_9not_fun_tINSF_14equal_to_valueISA_EEEEEEE10hipError_tPvRmT3_T4_T5_T6_T7_T9_mT8_P12ihipStream_tbDpT10_ENKUlT_T0_E_clISt17integral_constantIbLb1EES1I_IbLb0EEEEDaS1E_S1F_EUlS1E_E_NS1_11comp_targetILNS1_3genE3ELNS1_11target_archE908ELNS1_3gpuE7ELNS1_3repE0EEENS1_30default_config_static_selectorELNS0_4arch9wavefront6targetE0EEEvT1_.has_indirect_call, 0
	.section	.AMDGPU.csdata,"",@progbits
; Kernel info:
; codeLenInByte = 0
; TotalNumSgprs: 0
; NumVgprs: 0
; ScratchSize: 0
; MemoryBound: 0
; FloatMode: 240
; IeeeMode: 1
; LDSByteSize: 0 bytes/workgroup (compile time only)
; SGPRBlocks: 0
; VGPRBlocks: 0
; NumSGPRsForWavesPerEU: 1
; NumVGPRsForWavesPerEU: 1
; Occupancy: 16
; WaveLimiterHint : 0
; COMPUTE_PGM_RSRC2:SCRATCH_EN: 0
; COMPUTE_PGM_RSRC2:USER_SGPR: 2
; COMPUTE_PGM_RSRC2:TRAP_HANDLER: 0
; COMPUTE_PGM_RSRC2:TGID_X_EN: 1
; COMPUTE_PGM_RSRC2:TGID_Y_EN: 0
; COMPUTE_PGM_RSRC2:TGID_Z_EN: 0
; COMPUTE_PGM_RSRC2:TIDIG_COMP_CNT: 0
	.section	.text._ZN7rocprim17ROCPRIM_400000_NS6detail17trampoline_kernelINS0_14default_configENS1_25partition_config_selectorILNS1_17partition_subalgoE6EN6thrust23THRUST_200600_302600_NS5tupleIxxNS7_9null_typeES9_S9_S9_S9_S9_S9_S9_EENS0_10empty_typeEbEEZZNS1_14partition_implILS5_6ELb0ES3_mNS7_12zip_iteratorINS8_INS7_6detail15normal_iteratorINS7_10device_ptrIxEEEESJ_S9_S9_S9_S9_S9_S9_S9_S9_EEEEPSB_SM_NS0_5tupleIJNSE_INS8_ISJ_NS7_16discard_iteratorINS7_11use_defaultEEES9_S9_S9_S9_S9_S9_S9_S9_EEEESB_EEENSN_IJSM_SM_EEESB_PlJNSF_9not_fun_tINSF_14equal_to_valueISA_EEEEEEE10hipError_tPvRmT3_T4_T5_T6_T7_T9_mT8_P12ihipStream_tbDpT10_ENKUlT_T0_E_clISt17integral_constantIbLb1EES1I_IbLb0EEEEDaS1E_S1F_EUlS1E_E_NS1_11comp_targetILNS1_3genE2ELNS1_11target_archE906ELNS1_3gpuE6ELNS1_3repE0EEENS1_30default_config_static_selectorELNS0_4arch9wavefront6targetE0EEEvT1_,"axG",@progbits,_ZN7rocprim17ROCPRIM_400000_NS6detail17trampoline_kernelINS0_14default_configENS1_25partition_config_selectorILNS1_17partition_subalgoE6EN6thrust23THRUST_200600_302600_NS5tupleIxxNS7_9null_typeES9_S9_S9_S9_S9_S9_S9_EENS0_10empty_typeEbEEZZNS1_14partition_implILS5_6ELb0ES3_mNS7_12zip_iteratorINS8_INS7_6detail15normal_iteratorINS7_10device_ptrIxEEEESJ_S9_S9_S9_S9_S9_S9_S9_S9_EEEEPSB_SM_NS0_5tupleIJNSE_INS8_ISJ_NS7_16discard_iteratorINS7_11use_defaultEEES9_S9_S9_S9_S9_S9_S9_S9_EEEESB_EEENSN_IJSM_SM_EEESB_PlJNSF_9not_fun_tINSF_14equal_to_valueISA_EEEEEEE10hipError_tPvRmT3_T4_T5_T6_T7_T9_mT8_P12ihipStream_tbDpT10_ENKUlT_T0_E_clISt17integral_constantIbLb1EES1I_IbLb0EEEEDaS1E_S1F_EUlS1E_E_NS1_11comp_targetILNS1_3genE2ELNS1_11target_archE906ELNS1_3gpuE6ELNS1_3repE0EEENS1_30default_config_static_selectorELNS0_4arch9wavefront6targetE0EEEvT1_,comdat
	.protected	_ZN7rocprim17ROCPRIM_400000_NS6detail17trampoline_kernelINS0_14default_configENS1_25partition_config_selectorILNS1_17partition_subalgoE6EN6thrust23THRUST_200600_302600_NS5tupleIxxNS7_9null_typeES9_S9_S9_S9_S9_S9_S9_EENS0_10empty_typeEbEEZZNS1_14partition_implILS5_6ELb0ES3_mNS7_12zip_iteratorINS8_INS7_6detail15normal_iteratorINS7_10device_ptrIxEEEESJ_S9_S9_S9_S9_S9_S9_S9_S9_EEEEPSB_SM_NS0_5tupleIJNSE_INS8_ISJ_NS7_16discard_iteratorINS7_11use_defaultEEES9_S9_S9_S9_S9_S9_S9_S9_EEEESB_EEENSN_IJSM_SM_EEESB_PlJNSF_9not_fun_tINSF_14equal_to_valueISA_EEEEEEE10hipError_tPvRmT3_T4_T5_T6_T7_T9_mT8_P12ihipStream_tbDpT10_ENKUlT_T0_E_clISt17integral_constantIbLb1EES1I_IbLb0EEEEDaS1E_S1F_EUlS1E_E_NS1_11comp_targetILNS1_3genE2ELNS1_11target_archE906ELNS1_3gpuE6ELNS1_3repE0EEENS1_30default_config_static_selectorELNS0_4arch9wavefront6targetE0EEEvT1_ ; -- Begin function _ZN7rocprim17ROCPRIM_400000_NS6detail17trampoline_kernelINS0_14default_configENS1_25partition_config_selectorILNS1_17partition_subalgoE6EN6thrust23THRUST_200600_302600_NS5tupleIxxNS7_9null_typeES9_S9_S9_S9_S9_S9_S9_EENS0_10empty_typeEbEEZZNS1_14partition_implILS5_6ELb0ES3_mNS7_12zip_iteratorINS8_INS7_6detail15normal_iteratorINS7_10device_ptrIxEEEESJ_S9_S9_S9_S9_S9_S9_S9_S9_EEEEPSB_SM_NS0_5tupleIJNSE_INS8_ISJ_NS7_16discard_iteratorINS7_11use_defaultEEES9_S9_S9_S9_S9_S9_S9_S9_EEEESB_EEENSN_IJSM_SM_EEESB_PlJNSF_9not_fun_tINSF_14equal_to_valueISA_EEEEEEE10hipError_tPvRmT3_T4_T5_T6_T7_T9_mT8_P12ihipStream_tbDpT10_ENKUlT_T0_E_clISt17integral_constantIbLb1EES1I_IbLb0EEEEDaS1E_S1F_EUlS1E_E_NS1_11comp_targetILNS1_3genE2ELNS1_11target_archE906ELNS1_3gpuE6ELNS1_3repE0EEENS1_30default_config_static_selectorELNS0_4arch9wavefront6targetE0EEEvT1_
	.globl	_ZN7rocprim17ROCPRIM_400000_NS6detail17trampoline_kernelINS0_14default_configENS1_25partition_config_selectorILNS1_17partition_subalgoE6EN6thrust23THRUST_200600_302600_NS5tupleIxxNS7_9null_typeES9_S9_S9_S9_S9_S9_S9_EENS0_10empty_typeEbEEZZNS1_14partition_implILS5_6ELb0ES3_mNS7_12zip_iteratorINS8_INS7_6detail15normal_iteratorINS7_10device_ptrIxEEEESJ_S9_S9_S9_S9_S9_S9_S9_S9_EEEEPSB_SM_NS0_5tupleIJNSE_INS8_ISJ_NS7_16discard_iteratorINS7_11use_defaultEEES9_S9_S9_S9_S9_S9_S9_S9_EEEESB_EEENSN_IJSM_SM_EEESB_PlJNSF_9not_fun_tINSF_14equal_to_valueISA_EEEEEEE10hipError_tPvRmT3_T4_T5_T6_T7_T9_mT8_P12ihipStream_tbDpT10_ENKUlT_T0_E_clISt17integral_constantIbLb1EES1I_IbLb0EEEEDaS1E_S1F_EUlS1E_E_NS1_11comp_targetILNS1_3genE2ELNS1_11target_archE906ELNS1_3gpuE6ELNS1_3repE0EEENS1_30default_config_static_selectorELNS0_4arch9wavefront6targetE0EEEvT1_
	.p2align	8
	.type	_ZN7rocprim17ROCPRIM_400000_NS6detail17trampoline_kernelINS0_14default_configENS1_25partition_config_selectorILNS1_17partition_subalgoE6EN6thrust23THRUST_200600_302600_NS5tupleIxxNS7_9null_typeES9_S9_S9_S9_S9_S9_S9_EENS0_10empty_typeEbEEZZNS1_14partition_implILS5_6ELb0ES3_mNS7_12zip_iteratorINS8_INS7_6detail15normal_iteratorINS7_10device_ptrIxEEEESJ_S9_S9_S9_S9_S9_S9_S9_S9_EEEEPSB_SM_NS0_5tupleIJNSE_INS8_ISJ_NS7_16discard_iteratorINS7_11use_defaultEEES9_S9_S9_S9_S9_S9_S9_S9_EEEESB_EEENSN_IJSM_SM_EEESB_PlJNSF_9not_fun_tINSF_14equal_to_valueISA_EEEEEEE10hipError_tPvRmT3_T4_T5_T6_T7_T9_mT8_P12ihipStream_tbDpT10_ENKUlT_T0_E_clISt17integral_constantIbLb1EES1I_IbLb0EEEEDaS1E_S1F_EUlS1E_E_NS1_11comp_targetILNS1_3genE2ELNS1_11target_archE906ELNS1_3gpuE6ELNS1_3repE0EEENS1_30default_config_static_selectorELNS0_4arch9wavefront6targetE0EEEvT1_,@function
_ZN7rocprim17ROCPRIM_400000_NS6detail17trampoline_kernelINS0_14default_configENS1_25partition_config_selectorILNS1_17partition_subalgoE6EN6thrust23THRUST_200600_302600_NS5tupleIxxNS7_9null_typeES9_S9_S9_S9_S9_S9_S9_EENS0_10empty_typeEbEEZZNS1_14partition_implILS5_6ELb0ES3_mNS7_12zip_iteratorINS8_INS7_6detail15normal_iteratorINS7_10device_ptrIxEEEESJ_S9_S9_S9_S9_S9_S9_S9_S9_EEEEPSB_SM_NS0_5tupleIJNSE_INS8_ISJ_NS7_16discard_iteratorINS7_11use_defaultEEES9_S9_S9_S9_S9_S9_S9_S9_EEEESB_EEENSN_IJSM_SM_EEESB_PlJNSF_9not_fun_tINSF_14equal_to_valueISA_EEEEEEE10hipError_tPvRmT3_T4_T5_T6_T7_T9_mT8_P12ihipStream_tbDpT10_ENKUlT_T0_E_clISt17integral_constantIbLb1EES1I_IbLb0EEEEDaS1E_S1F_EUlS1E_E_NS1_11comp_targetILNS1_3genE2ELNS1_11target_archE906ELNS1_3gpuE6ELNS1_3repE0EEENS1_30default_config_static_selectorELNS0_4arch9wavefront6targetE0EEEvT1_: ; @_ZN7rocprim17ROCPRIM_400000_NS6detail17trampoline_kernelINS0_14default_configENS1_25partition_config_selectorILNS1_17partition_subalgoE6EN6thrust23THRUST_200600_302600_NS5tupleIxxNS7_9null_typeES9_S9_S9_S9_S9_S9_S9_EENS0_10empty_typeEbEEZZNS1_14partition_implILS5_6ELb0ES3_mNS7_12zip_iteratorINS8_INS7_6detail15normal_iteratorINS7_10device_ptrIxEEEESJ_S9_S9_S9_S9_S9_S9_S9_S9_EEEEPSB_SM_NS0_5tupleIJNSE_INS8_ISJ_NS7_16discard_iteratorINS7_11use_defaultEEES9_S9_S9_S9_S9_S9_S9_S9_EEEESB_EEENSN_IJSM_SM_EEESB_PlJNSF_9not_fun_tINSF_14equal_to_valueISA_EEEEEEE10hipError_tPvRmT3_T4_T5_T6_T7_T9_mT8_P12ihipStream_tbDpT10_ENKUlT_T0_E_clISt17integral_constantIbLb1EES1I_IbLb0EEEEDaS1E_S1F_EUlS1E_E_NS1_11comp_targetILNS1_3genE2ELNS1_11target_archE906ELNS1_3gpuE6ELNS1_3repE0EEENS1_30default_config_static_selectorELNS0_4arch9wavefront6targetE0EEEvT1_
; %bb.0:
	.section	.rodata,"a",@progbits
	.p2align	6, 0x0
	.amdhsa_kernel _ZN7rocprim17ROCPRIM_400000_NS6detail17trampoline_kernelINS0_14default_configENS1_25partition_config_selectorILNS1_17partition_subalgoE6EN6thrust23THRUST_200600_302600_NS5tupleIxxNS7_9null_typeES9_S9_S9_S9_S9_S9_S9_EENS0_10empty_typeEbEEZZNS1_14partition_implILS5_6ELb0ES3_mNS7_12zip_iteratorINS8_INS7_6detail15normal_iteratorINS7_10device_ptrIxEEEESJ_S9_S9_S9_S9_S9_S9_S9_S9_EEEEPSB_SM_NS0_5tupleIJNSE_INS8_ISJ_NS7_16discard_iteratorINS7_11use_defaultEEES9_S9_S9_S9_S9_S9_S9_S9_EEEESB_EEENSN_IJSM_SM_EEESB_PlJNSF_9not_fun_tINSF_14equal_to_valueISA_EEEEEEE10hipError_tPvRmT3_T4_T5_T6_T7_T9_mT8_P12ihipStream_tbDpT10_ENKUlT_T0_E_clISt17integral_constantIbLb1EES1I_IbLb0EEEEDaS1E_S1F_EUlS1E_E_NS1_11comp_targetILNS1_3genE2ELNS1_11target_archE906ELNS1_3gpuE6ELNS1_3repE0EEENS1_30default_config_static_selectorELNS0_4arch9wavefront6targetE0EEEvT1_
		.amdhsa_group_segment_fixed_size 0
		.amdhsa_private_segment_fixed_size 0
		.amdhsa_kernarg_size 152
		.amdhsa_user_sgpr_count 2
		.amdhsa_user_sgpr_dispatch_ptr 0
		.amdhsa_user_sgpr_queue_ptr 0
		.amdhsa_user_sgpr_kernarg_segment_ptr 1
		.amdhsa_user_sgpr_dispatch_id 0
		.amdhsa_user_sgpr_private_segment_size 0
		.amdhsa_wavefront_size32 1
		.amdhsa_uses_dynamic_stack 0
		.amdhsa_enable_private_segment 0
		.amdhsa_system_sgpr_workgroup_id_x 1
		.amdhsa_system_sgpr_workgroup_id_y 0
		.amdhsa_system_sgpr_workgroup_id_z 0
		.amdhsa_system_sgpr_workgroup_info 0
		.amdhsa_system_vgpr_workitem_id 0
		.amdhsa_next_free_vgpr 1
		.amdhsa_next_free_sgpr 1
		.amdhsa_reserve_vcc 0
		.amdhsa_float_round_mode_32 0
		.amdhsa_float_round_mode_16_64 0
		.amdhsa_float_denorm_mode_32 3
		.amdhsa_float_denorm_mode_16_64 3
		.amdhsa_fp16_overflow 0
		.amdhsa_workgroup_processor_mode 1
		.amdhsa_memory_ordered 1
		.amdhsa_forward_progress 1
		.amdhsa_inst_pref_size 0
		.amdhsa_round_robin_scheduling 0
		.amdhsa_exception_fp_ieee_invalid_op 0
		.amdhsa_exception_fp_denorm_src 0
		.amdhsa_exception_fp_ieee_div_zero 0
		.amdhsa_exception_fp_ieee_overflow 0
		.amdhsa_exception_fp_ieee_underflow 0
		.amdhsa_exception_fp_ieee_inexact 0
		.amdhsa_exception_int_div_zero 0
	.end_amdhsa_kernel
	.section	.text._ZN7rocprim17ROCPRIM_400000_NS6detail17trampoline_kernelINS0_14default_configENS1_25partition_config_selectorILNS1_17partition_subalgoE6EN6thrust23THRUST_200600_302600_NS5tupleIxxNS7_9null_typeES9_S9_S9_S9_S9_S9_S9_EENS0_10empty_typeEbEEZZNS1_14partition_implILS5_6ELb0ES3_mNS7_12zip_iteratorINS8_INS7_6detail15normal_iteratorINS7_10device_ptrIxEEEESJ_S9_S9_S9_S9_S9_S9_S9_S9_EEEEPSB_SM_NS0_5tupleIJNSE_INS8_ISJ_NS7_16discard_iteratorINS7_11use_defaultEEES9_S9_S9_S9_S9_S9_S9_S9_EEEESB_EEENSN_IJSM_SM_EEESB_PlJNSF_9not_fun_tINSF_14equal_to_valueISA_EEEEEEE10hipError_tPvRmT3_T4_T5_T6_T7_T9_mT8_P12ihipStream_tbDpT10_ENKUlT_T0_E_clISt17integral_constantIbLb1EES1I_IbLb0EEEEDaS1E_S1F_EUlS1E_E_NS1_11comp_targetILNS1_3genE2ELNS1_11target_archE906ELNS1_3gpuE6ELNS1_3repE0EEENS1_30default_config_static_selectorELNS0_4arch9wavefront6targetE0EEEvT1_,"axG",@progbits,_ZN7rocprim17ROCPRIM_400000_NS6detail17trampoline_kernelINS0_14default_configENS1_25partition_config_selectorILNS1_17partition_subalgoE6EN6thrust23THRUST_200600_302600_NS5tupleIxxNS7_9null_typeES9_S9_S9_S9_S9_S9_S9_EENS0_10empty_typeEbEEZZNS1_14partition_implILS5_6ELb0ES3_mNS7_12zip_iteratorINS8_INS7_6detail15normal_iteratorINS7_10device_ptrIxEEEESJ_S9_S9_S9_S9_S9_S9_S9_S9_EEEEPSB_SM_NS0_5tupleIJNSE_INS8_ISJ_NS7_16discard_iteratorINS7_11use_defaultEEES9_S9_S9_S9_S9_S9_S9_S9_EEEESB_EEENSN_IJSM_SM_EEESB_PlJNSF_9not_fun_tINSF_14equal_to_valueISA_EEEEEEE10hipError_tPvRmT3_T4_T5_T6_T7_T9_mT8_P12ihipStream_tbDpT10_ENKUlT_T0_E_clISt17integral_constantIbLb1EES1I_IbLb0EEEEDaS1E_S1F_EUlS1E_E_NS1_11comp_targetILNS1_3genE2ELNS1_11target_archE906ELNS1_3gpuE6ELNS1_3repE0EEENS1_30default_config_static_selectorELNS0_4arch9wavefront6targetE0EEEvT1_,comdat
.Lfunc_end2001:
	.size	_ZN7rocprim17ROCPRIM_400000_NS6detail17trampoline_kernelINS0_14default_configENS1_25partition_config_selectorILNS1_17partition_subalgoE6EN6thrust23THRUST_200600_302600_NS5tupleIxxNS7_9null_typeES9_S9_S9_S9_S9_S9_S9_EENS0_10empty_typeEbEEZZNS1_14partition_implILS5_6ELb0ES3_mNS7_12zip_iteratorINS8_INS7_6detail15normal_iteratorINS7_10device_ptrIxEEEESJ_S9_S9_S9_S9_S9_S9_S9_S9_EEEEPSB_SM_NS0_5tupleIJNSE_INS8_ISJ_NS7_16discard_iteratorINS7_11use_defaultEEES9_S9_S9_S9_S9_S9_S9_S9_EEEESB_EEENSN_IJSM_SM_EEESB_PlJNSF_9not_fun_tINSF_14equal_to_valueISA_EEEEEEE10hipError_tPvRmT3_T4_T5_T6_T7_T9_mT8_P12ihipStream_tbDpT10_ENKUlT_T0_E_clISt17integral_constantIbLb1EES1I_IbLb0EEEEDaS1E_S1F_EUlS1E_E_NS1_11comp_targetILNS1_3genE2ELNS1_11target_archE906ELNS1_3gpuE6ELNS1_3repE0EEENS1_30default_config_static_selectorELNS0_4arch9wavefront6targetE0EEEvT1_, .Lfunc_end2001-_ZN7rocprim17ROCPRIM_400000_NS6detail17trampoline_kernelINS0_14default_configENS1_25partition_config_selectorILNS1_17partition_subalgoE6EN6thrust23THRUST_200600_302600_NS5tupleIxxNS7_9null_typeES9_S9_S9_S9_S9_S9_S9_EENS0_10empty_typeEbEEZZNS1_14partition_implILS5_6ELb0ES3_mNS7_12zip_iteratorINS8_INS7_6detail15normal_iteratorINS7_10device_ptrIxEEEESJ_S9_S9_S9_S9_S9_S9_S9_S9_EEEEPSB_SM_NS0_5tupleIJNSE_INS8_ISJ_NS7_16discard_iteratorINS7_11use_defaultEEES9_S9_S9_S9_S9_S9_S9_S9_EEEESB_EEENSN_IJSM_SM_EEESB_PlJNSF_9not_fun_tINSF_14equal_to_valueISA_EEEEEEE10hipError_tPvRmT3_T4_T5_T6_T7_T9_mT8_P12ihipStream_tbDpT10_ENKUlT_T0_E_clISt17integral_constantIbLb1EES1I_IbLb0EEEEDaS1E_S1F_EUlS1E_E_NS1_11comp_targetILNS1_3genE2ELNS1_11target_archE906ELNS1_3gpuE6ELNS1_3repE0EEENS1_30default_config_static_selectorELNS0_4arch9wavefront6targetE0EEEvT1_
                                        ; -- End function
	.set _ZN7rocprim17ROCPRIM_400000_NS6detail17trampoline_kernelINS0_14default_configENS1_25partition_config_selectorILNS1_17partition_subalgoE6EN6thrust23THRUST_200600_302600_NS5tupleIxxNS7_9null_typeES9_S9_S9_S9_S9_S9_S9_EENS0_10empty_typeEbEEZZNS1_14partition_implILS5_6ELb0ES3_mNS7_12zip_iteratorINS8_INS7_6detail15normal_iteratorINS7_10device_ptrIxEEEESJ_S9_S9_S9_S9_S9_S9_S9_S9_EEEEPSB_SM_NS0_5tupleIJNSE_INS8_ISJ_NS7_16discard_iteratorINS7_11use_defaultEEES9_S9_S9_S9_S9_S9_S9_S9_EEEESB_EEENSN_IJSM_SM_EEESB_PlJNSF_9not_fun_tINSF_14equal_to_valueISA_EEEEEEE10hipError_tPvRmT3_T4_T5_T6_T7_T9_mT8_P12ihipStream_tbDpT10_ENKUlT_T0_E_clISt17integral_constantIbLb1EES1I_IbLb0EEEEDaS1E_S1F_EUlS1E_E_NS1_11comp_targetILNS1_3genE2ELNS1_11target_archE906ELNS1_3gpuE6ELNS1_3repE0EEENS1_30default_config_static_selectorELNS0_4arch9wavefront6targetE0EEEvT1_.num_vgpr, 0
	.set _ZN7rocprim17ROCPRIM_400000_NS6detail17trampoline_kernelINS0_14default_configENS1_25partition_config_selectorILNS1_17partition_subalgoE6EN6thrust23THRUST_200600_302600_NS5tupleIxxNS7_9null_typeES9_S9_S9_S9_S9_S9_S9_EENS0_10empty_typeEbEEZZNS1_14partition_implILS5_6ELb0ES3_mNS7_12zip_iteratorINS8_INS7_6detail15normal_iteratorINS7_10device_ptrIxEEEESJ_S9_S9_S9_S9_S9_S9_S9_S9_EEEEPSB_SM_NS0_5tupleIJNSE_INS8_ISJ_NS7_16discard_iteratorINS7_11use_defaultEEES9_S9_S9_S9_S9_S9_S9_S9_EEEESB_EEENSN_IJSM_SM_EEESB_PlJNSF_9not_fun_tINSF_14equal_to_valueISA_EEEEEEE10hipError_tPvRmT3_T4_T5_T6_T7_T9_mT8_P12ihipStream_tbDpT10_ENKUlT_T0_E_clISt17integral_constantIbLb1EES1I_IbLb0EEEEDaS1E_S1F_EUlS1E_E_NS1_11comp_targetILNS1_3genE2ELNS1_11target_archE906ELNS1_3gpuE6ELNS1_3repE0EEENS1_30default_config_static_selectorELNS0_4arch9wavefront6targetE0EEEvT1_.num_agpr, 0
	.set _ZN7rocprim17ROCPRIM_400000_NS6detail17trampoline_kernelINS0_14default_configENS1_25partition_config_selectorILNS1_17partition_subalgoE6EN6thrust23THRUST_200600_302600_NS5tupleIxxNS7_9null_typeES9_S9_S9_S9_S9_S9_S9_EENS0_10empty_typeEbEEZZNS1_14partition_implILS5_6ELb0ES3_mNS7_12zip_iteratorINS8_INS7_6detail15normal_iteratorINS7_10device_ptrIxEEEESJ_S9_S9_S9_S9_S9_S9_S9_S9_EEEEPSB_SM_NS0_5tupleIJNSE_INS8_ISJ_NS7_16discard_iteratorINS7_11use_defaultEEES9_S9_S9_S9_S9_S9_S9_S9_EEEESB_EEENSN_IJSM_SM_EEESB_PlJNSF_9not_fun_tINSF_14equal_to_valueISA_EEEEEEE10hipError_tPvRmT3_T4_T5_T6_T7_T9_mT8_P12ihipStream_tbDpT10_ENKUlT_T0_E_clISt17integral_constantIbLb1EES1I_IbLb0EEEEDaS1E_S1F_EUlS1E_E_NS1_11comp_targetILNS1_3genE2ELNS1_11target_archE906ELNS1_3gpuE6ELNS1_3repE0EEENS1_30default_config_static_selectorELNS0_4arch9wavefront6targetE0EEEvT1_.numbered_sgpr, 0
	.set _ZN7rocprim17ROCPRIM_400000_NS6detail17trampoline_kernelINS0_14default_configENS1_25partition_config_selectorILNS1_17partition_subalgoE6EN6thrust23THRUST_200600_302600_NS5tupleIxxNS7_9null_typeES9_S9_S9_S9_S9_S9_S9_EENS0_10empty_typeEbEEZZNS1_14partition_implILS5_6ELb0ES3_mNS7_12zip_iteratorINS8_INS7_6detail15normal_iteratorINS7_10device_ptrIxEEEESJ_S9_S9_S9_S9_S9_S9_S9_S9_EEEEPSB_SM_NS0_5tupleIJNSE_INS8_ISJ_NS7_16discard_iteratorINS7_11use_defaultEEES9_S9_S9_S9_S9_S9_S9_S9_EEEESB_EEENSN_IJSM_SM_EEESB_PlJNSF_9not_fun_tINSF_14equal_to_valueISA_EEEEEEE10hipError_tPvRmT3_T4_T5_T6_T7_T9_mT8_P12ihipStream_tbDpT10_ENKUlT_T0_E_clISt17integral_constantIbLb1EES1I_IbLb0EEEEDaS1E_S1F_EUlS1E_E_NS1_11comp_targetILNS1_3genE2ELNS1_11target_archE906ELNS1_3gpuE6ELNS1_3repE0EEENS1_30default_config_static_selectorELNS0_4arch9wavefront6targetE0EEEvT1_.num_named_barrier, 0
	.set _ZN7rocprim17ROCPRIM_400000_NS6detail17trampoline_kernelINS0_14default_configENS1_25partition_config_selectorILNS1_17partition_subalgoE6EN6thrust23THRUST_200600_302600_NS5tupleIxxNS7_9null_typeES9_S9_S9_S9_S9_S9_S9_EENS0_10empty_typeEbEEZZNS1_14partition_implILS5_6ELb0ES3_mNS7_12zip_iteratorINS8_INS7_6detail15normal_iteratorINS7_10device_ptrIxEEEESJ_S9_S9_S9_S9_S9_S9_S9_S9_EEEEPSB_SM_NS0_5tupleIJNSE_INS8_ISJ_NS7_16discard_iteratorINS7_11use_defaultEEES9_S9_S9_S9_S9_S9_S9_S9_EEEESB_EEENSN_IJSM_SM_EEESB_PlJNSF_9not_fun_tINSF_14equal_to_valueISA_EEEEEEE10hipError_tPvRmT3_T4_T5_T6_T7_T9_mT8_P12ihipStream_tbDpT10_ENKUlT_T0_E_clISt17integral_constantIbLb1EES1I_IbLb0EEEEDaS1E_S1F_EUlS1E_E_NS1_11comp_targetILNS1_3genE2ELNS1_11target_archE906ELNS1_3gpuE6ELNS1_3repE0EEENS1_30default_config_static_selectorELNS0_4arch9wavefront6targetE0EEEvT1_.private_seg_size, 0
	.set _ZN7rocprim17ROCPRIM_400000_NS6detail17trampoline_kernelINS0_14default_configENS1_25partition_config_selectorILNS1_17partition_subalgoE6EN6thrust23THRUST_200600_302600_NS5tupleIxxNS7_9null_typeES9_S9_S9_S9_S9_S9_S9_EENS0_10empty_typeEbEEZZNS1_14partition_implILS5_6ELb0ES3_mNS7_12zip_iteratorINS8_INS7_6detail15normal_iteratorINS7_10device_ptrIxEEEESJ_S9_S9_S9_S9_S9_S9_S9_S9_EEEEPSB_SM_NS0_5tupleIJNSE_INS8_ISJ_NS7_16discard_iteratorINS7_11use_defaultEEES9_S9_S9_S9_S9_S9_S9_S9_EEEESB_EEENSN_IJSM_SM_EEESB_PlJNSF_9not_fun_tINSF_14equal_to_valueISA_EEEEEEE10hipError_tPvRmT3_T4_T5_T6_T7_T9_mT8_P12ihipStream_tbDpT10_ENKUlT_T0_E_clISt17integral_constantIbLb1EES1I_IbLb0EEEEDaS1E_S1F_EUlS1E_E_NS1_11comp_targetILNS1_3genE2ELNS1_11target_archE906ELNS1_3gpuE6ELNS1_3repE0EEENS1_30default_config_static_selectorELNS0_4arch9wavefront6targetE0EEEvT1_.uses_vcc, 0
	.set _ZN7rocprim17ROCPRIM_400000_NS6detail17trampoline_kernelINS0_14default_configENS1_25partition_config_selectorILNS1_17partition_subalgoE6EN6thrust23THRUST_200600_302600_NS5tupleIxxNS7_9null_typeES9_S9_S9_S9_S9_S9_S9_EENS0_10empty_typeEbEEZZNS1_14partition_implILS5_6ELb0ES3_mNS7_12zip_iteratorINS8_INS7_6detail15normal_iteratorINS7_10device_ptrIxEEEESJ_S9_S9_S9_S9_S9_S9_S9_S9_EEEEPSB_SM_NS0_5tupleIJNSE_INS8_ISJ_NS7_16discard_iteratorINS7_11use_defaultEEES9_S9_S9_S9_S9_S9_S9_S9_EEEESB_EEENSN_IJSM_SM_EEESB_PlJNSF_9not_fun_tINSF_14equal_to_valueISA_EEEEEEE10hipError_tPvRmT3_T4_T5_T6_T7_T9_mT8_P12ihipStream_tbDpT10_ENKUlT_T0_E_clISt17integral_constantIbLb1EES1I_IbLb0EEEEDaS1E_S1F_EUlS1E_E_NS1_11comp_targetILNS1_3genE2ELNS1_11target_archE906ELNS1_3gpuE6ELNS1_3repE0EEENS1_30default_config_static_selectorELNS0_4arch9wavefront6targetE0EEEvT1_.uses_flat_scratch, 0
	.set _ZN7rocprim17ROCPRIM_400000_NS6detail17trampoline_kernelINS0_14default_configENS1_25partition_config_selectorILNS1_17partition_subalgoE6EN6thrust23THRUST_200600_302600_NS5tupleIxxNS7_9null_typeES9_S9_S9_S9_S9_S9_S9_EENS0_10empty_typeEbEEZZNS1_14partition_implILS5_6ELb0ES3_mNS7_12zip_iteratorINS8_INS7_6detail15normal_iteratorINS7_10device_ptrIxEEEESJ_S9_S9_S9_S9_S9_S9_S9_S9_EEEEPSB_SM_NS0_5tupleIJNSE_INS8_ISJ_NS7_16discard_iteratorINS7_11use_defaultEEES9_S9_S9_S9_S9_S9_S9_S9_EEEESB_EEENSN_IJSM_SM_EEESB_PlJNSF_9not_fun_tINSF_14equal_to_valueISA_EEEEEEE10hipError_tPvRmT3_T4_T5_T6_T7_T9_mT8_P12ihipStream_tbDpT10_ENKUlT_T0_E_clISt17integral_constantIbLb1EES1I_IbLb0EEEEDaS1E_S1F_EUlS1E_E_NS1_11comp_targetILNS1_3genE2ELNS1_11target_archE906ELNS1_3gpuE6ELNS1_3repE0EEENS1_30default_config_static_selectorELNS0_4arch9wavefront6targetE0EEEvT1_.has_dyn_sized_stack, 0
	.set _ZN7rocprim17ROCPRIM_400000_NS6detail17trampoline_kernelINS0_14default_configENS1_25partition_config_selectorILNS1_17partition_subalgoE6EN6thrust23THRUST_200600_302600_NS5tupleIxxNS7_9null_typeES9_S9_S9_S9_S9_S9_S9_EENS0_10empty_typeEbEEZZNS1_14partition_implILS5_6ELb0ES3_mNS7_12zip_iteratorINS8_INS7_6detail15normal_iteratorINS7_10device_ptrIxEEEESJ_S9_S9_S9_S9_S9_S9_S9_S9_EEEEPSB_SM_NS0_5tupleIJNSE_INS8_ISJ_NS7_16discard_iteratorINS7_11use_defaultEEES9_S9_S9_S9_S9_S9_S9_S9_EEEESB_EEENSN_IJSM_SM_EEESB_PlJNSF_9not_fun_tINSF_14equal_to_valueISA_EEEEEEE10hipError_tPvRmT3_T4_T5_T6_T7_T9_mT8_P12ihipStream_tbDpT10_ENKUlT_T0_E_clISt17integral_constantIbLb1EES1I_IbLb0EEEEDaS1E_S1F_EUlS1E_E_NS1_11comp_targetILNS1_3genE2ELNS1_11target_archE906ELNS1_3gpuE6ELNS1_3repE0EEENS1_30default_config_static_selectorELNS0_4arch9wavefront6targetE0EEEvT1_.has_recursion, 0
	.set _ZN7rocprim17ROCPRIM_400000_NS6detail17trampoline_kernelINS0_14default_configENS1_25partition_config_selectorILNS1_17partition_subalgoE6EN6thrust23THRUST_200600_302600_NS5tupleIxxNS7_9null_typeES9_S9_S9_S9_S9_S9_S9_EENS0_10empty_typeEbEEZZNS1_14partition_implILS5_6ELb0ES3_mNS7_12zip_iteratorINS8_INS7_6detail15normal_iteratorINS7_10device_ptrIxEEEESJ_S9_S9_S9_S9_S9_S9_S9_S9_EEEEPSB_SM_NS0_5tupleIJNSE_INS8_ISJ_NS7_16discard_iteratorINS7_11use_defaultEEES9_S9_S9_S9_S9_S9_S9_S9_EEEESB_EEENSN_IJSM_SM_EEESB_PlJNSF_9not_fun_tINSF_14equal_to_valueISA_EEEEEEE10hipError_tPvRmT3_T4_T5_T6_T7_T9_mT8_P12ihipStream_tbDpT10_ENKUlT_T0_E_clISt17integral_constantIbLb1EES1I_IbLb0EEEEDaS1E_S1F_EUlS1E_E_NS1_11comp_targetILNS1_3genE2ELNS1_11target_archE906ELNS1_3gpuE6ELNS1_3repE0EEENS1_30default_config_static_selectorELNS0_4arch9wavefront6targetE0EEEvT1_.has_indirect_call, 0
	.section	.AMDGPU.csdata,"",@progbits
; Kernel info:
; codeLenInByte = 0
; TotalNumSgprs: 0
; NumVgprs: 0
; ScratchSize: 0
; MemoryBound: 0
; FloatMode: 240
; IeeeMode: 1
; LDSByteSize: 0 bytes/workgroup (compile time only)
; SGPRBlocks: 0
; VGPRBlocks: 0
; NumSGPRsForWavesPerEU: 1
; NumVGPRsForWavesPerEU: 1
; Occupancy: 16
; WaveLimiterHint : 0
; COMPUTE_PGM_RSRC2:SCRATCH_EN: 0
; COMPUTE_PGM_RSRC2:USER_SGPR: 2
; COMPUTE_PGM_RSRC2:TRAP_HANDLER: 0
; COMPUTE_PGM_RSRC2:TGID_X_EN: 1
; COMPUTE_PGM_RSRC2:TGID_Y_EN: 0
; COMPUTE_PGM_RSRC2:TGID_Z_EN: 0
; COMPUTE_PGM_RSRC2:TIDIG_COMP_CNT: 0
	.section	.text._ZN7rocprim17ROCPRIM_400000_NS6detail17trampoline_kernelINS0_14default_configENS1_25partition_config_selectorILNS1_17partition_subalgoE6EN6thrust23THRUST_200600_302600_NS5tupleIxxNS7_9null_typeES9_S9_S9_S9_S9_S9_S9_EENS0_10empty_typeEbEEZZNS1_14partition_implILS5_6ELb0ES3_mNS7_12zip_iteratorINS8_INS7_6detail15normal_iteratorINS7_10device_ptrIxEEEESJ_S9_S9_S9_S9_S9_S9_S9_S9_EEEEPSB_SM_NS0_5tupleIJNSE_INS8_ISJ_NS7_16discard_iteratorINS7_11use_defaultEEES9_S9_S9_S9_S9_S9_S9_S9_EEEESB_EEENSN_IJSM_SM_EEESB_PlJNSF_9not_fun_tINSF_14equal_to_valueISA_EEEEEEE10hipError_tPvRmT3_T4_T5_T6_T7_T9_mT8_P12ihipStream_tbDpT10_ENKUlT_T0_E_clISt17integral_constantIbLb1EES1I_IbLb0EEEEDaS1E_S1F_EUlS1E_E_NS1_11comp_targetILNS1_3genE10ELNS1_11target_archE1200ELNS1_3gpuE4ELNS1_3repE0EEENS1_30default_config_static_selectorELNS0_4arch9wavefront6targetE0EEEvT1_,"axG",@progbits,_ZN7rocprim17ROCPRIM_400000_NS6detail17trampoline_kernelINS0_14default_configENS1_25partition_config_selectorILNS1_17partition_subalgoE6EN6thrust23THRUST_200600_302600_NS5tupleIxxNS7_9null_typeES9_S9_S9_S9_S9_S9_S9_EENS0_10empty_typeEbEEZZNS1_14partition_implILS5_6ELb0ES3_mNS7_12zip_iteratorINS8_INS7_6detail15normal_iteratorINS7_10device_ptrIxEEEESJ_S9_S9_S9_S9_S9_S9_S9_S9_EEEEPSB_SM_NS0_5tupleIJNSE_INS8_ISJ_NS7_16discard_iteratorINS7_11use_defaultEEES9_S9_S9_S9_S9_S9_S9_S9_EEEESB_EEENSN_IJSM_SM_EEESB_PlJNSF_9not_fun_tINSF_14equal_to_valueISA_EEEEEEE10hipError_tPvRmT3_T4_T5_T6_T7_T9_mT8_P12ihipStream_tbDpT10_ENKUlT_T0_E_clISt17integral_constantIbLb1EES1I_IbLb0EEEEDaS1E_S1F_EUlS1E_E_NS1_11comp_targetILNS1_3genE10ELNS1_11target_archE1200ELNS1_3gpuE4ELNS1_3repE0EEENS1_30default_config_static_selectorELNS0_4arch9wavefront6targetE0EEEvT1_,comdat
	.protected	_ZN7rocprim17ROCPRIM_400000_NS6detail17trampoline_kernelINS0_14default_configENS1_25partition_config_selectorILNS1_17partition_subalgoE6EN6thrust23THRUST_200600_302600_NS5tupleIxxNS7_9null_typeES9_S9_S9_S9_S9_S9_S9_EENS0_10empty_typeEbEEZZNS1_14partition_implILS5_6ELb0ES3_mNS7_12zip_iteratorINS8_INS7_6detail15normal_iteratorINS7_10device_ptrIxEEEESJ_S9_S9_S9_S9_S9_S9_S9_S9_EEEEPSB_SM_NS0_5tupleIJNSE_INS8_ISJ_NS7_16discard_iteratorINS7_11use_defaultEEES9_S9_S9_S9_S9_S9_S9_S9_EEEESB_EEENSN_IJSM_SM_EEESB_PlJNSF_9not_fun_tINSF_14equal_to_valueISA_EEEEEEE10hipError_tPvRmT3_T4_T5_T6_T7_T9_mT8_P12ihipStream_tbDpT10_ENKUlT_T0_E_clISt17integral_constantIbLb1EES1I_IbLb0EEEEDaS1E_S1F_EUlS1E_E_NS1_11comp_targetILNS1_3genE10ELNS1_11target_archE1200ELNS1_3gpuE4ELNS1_3repE0EEENS1_30default_config_static_selectorELNS0_4arch9wavefront6targetE0EEEvT1_ ; -- Begin function _ZN7rocprim17ROCPRIM_400000_NS6detail17trampoline_kernelINS0_14default_configENS1_25partition_config_selectorILNS1_17partition_subalgoE6EN6thrust23THRUST_200600_302600_NS5tupleIxxNS7_9null_typeES9_S9_S9_S9_S9_S9_S9_EENS0_10empty_typeEbEEZZNS1_14partition_implILS5_6ELb0ES3_mNS7_12zip_iteratorINS8_INS7_6detail15normal_iteratorINS7_10device_ptrIxEEEESJ_S9_S9_S9_S9_S9_S9_S9_S9_EEEEPSB_SM_NS0_5tupleIJNSE_INS8_ISJ_NS7_16discard_iteratorINS7_11use_defaultEEES9_S9_S9_S9_S9_S9_S9_S9_EEEESB_EEENSN_IJSM_SM_EEESB_PlJNSF_9not_fun_tINSF_14equal_to_valueISA_EEEEEEE10hipError_tPvRmT3_T4_T5_T6_T7_T9_mT8_P12ihipStream_tbDpT10_ENKUlT_T0_E_clISt17integral_constantIbLb1EES1I_IbLb0EEEEDaS1E_S1F_EUlS1E_E_NS1_11comp_targetILNS1_3genE10ELNS1_11target_archE1200ELNS1_3gpuE4ELNS1_3repE0EEENS1_30default_config_static_selectorELNS0_4arch9wavefront6targetE0EEEvT1_
	.globl	_ZN7rocprim17ROCPRIM_400000_NS6detail17trampoline_kernelINS0_14default_configENS1_25partition_config_selectorILNS1_17partition_subalgoE6EN6thrust23THRUST_200600_302600_NS5tupleIxxNS7_9null_typeES9_S9_S9_S9_S9_S9_S9_EENS0_10empty_typeEbEEZZNS1_14partition_implILS5_6ELb0ES3_mNS7_12zip_iteratorINS8_INS7_6detail15normal_iteratorINS7_10device_ptrIxEEEESJ_S9_S9_S9_S9_S9_S9_S9_S9_EEEEPSB_SM_NS0_5tupleIJNSE_INS8_ISJ_NS7_16discard_iteratorINS7_11use_defaultEEES9_S9_S9_S9_S9_S9_S9_S9_EEEESB_EEENSN_IJSM_SM_EEESB_PlJNSF_9not_fun_tINSF_14equal_to_valueISA_EEEEEEE10hipError_tPvRmT3_T4_T5_T6_T7_T9_mT8_P12ihipStream_tbDpT10_ENKUlT_T0_E_clISt17integral_constantIbLb1EES1I_IbLb0EEEEDaS1E_S1F_EUlS1E_E_NS1_11comp_targetILNS1_3genE10ELNS1_11target_archE1200ELNS1_3gpuE4ELNS1_3repE0EEENS1_30default_config_static_selectorELNS0_4arch9wavefront6targetE0EEEvT1_
	.p2align	8
	.type	_ZN7rocprim17ROCPRIM_400000_NS6detail17trampoline_kernelINS0_14default_configENS1_25partition_config_selectorILNS1_17partition_subalgoE6EN6thrust23THRUST_200600_302600_NS5tupleIxxNS7_9null_typeES9_S9_S9_S9_S9_S9_S9_EENS0_10empty_typeEbEEZZNS1_14partition_implILS5_6ELb0ES3_mNS7_12zip_iteratorINS8_INS7_6detail15normal_iteratorINS7_10device_ptrIxEEEESJ_S9_S9_S9_S9_S9_S9_S9_S9_EEEEPSB_SM_NS0_5tupleIJNSE_INS8_ISJ_NS7_16discard_iteratorINS7_11use_defaultEEES9_S9_S9_S9_S9_S9_S9_S9_EEEESB_EEENSN_IJSM_SM_EEESB_PlJNSF_9not_fun_tINSF_14equal_to_valueISA_EEEEEEE10hipError_tPvRmT3_T4_T5_T6_T7_T9_mT8_P12ihipStream_tbDpT10_ENKUlT_T0_E_clISt17integral_constantIbLb1EES1I_IbLb0EEEEDaS1E_S1F_EUlS1E_E_NS1_11comp_targetILNS1_3genE10ELNS1_11target_archE1200ELNS1_3gpuE4ELNS1_3repE0EEENS1_30default_config_static_selectorELNS0_4arch9wavefront6targetE0EEEvT1_,@function
_ZN7rocprim17ROCPRIM_400000_NS6detail17trampoline_kernelINS0_14default_configENS1_25partition_config_selectorILNS1_17partition_subalgoE6EN6thrust23THRUST_200600_302600_NS5tupleIxxNS7_9null_typeES9_S9_S9_S9_S9_S9_S9_EENS0_10empty_typeEbEEZZNS1_14partition_implILS5_6ELb0ES3_mNS7_12zip_iteratorINS8_INS7_6detail15normal_iteratorINS7_10device_ptrIxEEEESJ_S9_S9_S9_S9_S9_S9_S9_S9_EEEEPSB_SM_NS0_5tupleIJNSE_INS8_ISJ_NS7_16discard_iteratorINS7_11use_defaultEEES9_S9_S9_S9_S9_S9_S9_S9_EEEESB_EEENSN_IJSM_SM_EEESB_PlJNSF_9not_fun_tINSF_14equal_to_valueISA_EEEEEEE10hipError_tPvRmT3_T4_T5_T6_T7_T9_mT8_P12ihipStream_tbDpT10_ENKUlT_T0_E_clISt17integral_constantIbLb1EES1I_IbLb0EEEEDaS1E_S1F_EUlS1E_E_NS1_11comp_targetILNS1_3genE10ELNS1_11target_archE1200ELNS1_3gpuE4ELNS1_3repE0EEENS1_30default_config_static_selectorELNS0_4arch9wavefront6targetE0EEEvT1_: ; @_ZN7rocprim17ROCPRIM_400000_NS6detail17trampoline_kernelINS0_14default_configENS1_25partition_config_selectorILNS1_17partition_subalgoE6EN6thrust23THRUST_200600_302600_NS5tupleIxxNS7_9null_typeES9_S9_S9_S9_S9_S9_S9_EENS0_10empty_typeEbEEZZNS1_14partition_implILS5_6ELb0ES3_mNS7_12zip_iteratorINS8_INS7_6detail15normal_iteratorINS7_10device_ptrIxEEEESJ_S9_S9_S9_S9_S9_S9_S9_S9_EEEEPSB_SM_NS0_5tupleIJNSE_INS8_ISJ_NS7_16discard_iteratorINS7_11use_defaultEEES9_S9_S9_S9_S9_S9_S9_S9_EEEESB_EEENSN_IJSM_SM_EEESB_PlJNSF_9not_fun_tINSF_14equal_to_valueISA_EEEEEEE10hipError_tPvRmT3_T4_T5_T6_T7_T9_mT8_P12ihipStream_tbDpT10_ENKUlT_T0_E_clISt17integral_constantIbLb1EES1I_IbLb0EEEEDaS1E_S1F_EUlS1E_E_NS1_11comp_targetILNS1_3genE10ELNS1_11target_archE1200ELNS1_3gpuE4ELNS1_3repE0EEENS1_30default_config_static_selectorELNS0_4arch9wavefront6targetE0EEEvT1_
; %bb.0:
	s_endpgm
	.section	.rodata,"a",@progbits
	.p2align	6, 0x0
	.amdhsa_kernel _ZN7rocprim17ROCPRIM_400000_NS6detail17trampoline_kernelINS0_14default_configENS1_25partition_config_selectorILNS1_17partition_subalgoE6EN6thrust23THRUST_200600_302600_NS5tupleIxxNS7_9null_typeES9_S9_S9_S9_S9_S9_S9_EENS0_10empty_typeEbEEZZNS1_14partition_implILS5_6ELb0ES3_mNS7_12zip_iteratorINS8_INS7_6detail15normal_iteratorINS7_10device_ptrIxEEEESJ_S9_S9_S9_S9_S9_S9_S9_S9_EEEEPSB_SM_NS0_5tupleIJNSE_INS8_ISJ_NS7_16discard_iteratorINS7_11use_defaultEEES9_S9_S9_S9_S9_S9_S9_S9_EEEESB_EEENSN_IJSM_SM_EEESB_PlJNSF_9not_fun_tINSF_14equal_to_valueISA_EEEEEEE10hipError_tPvRmT3_T4_T5_T6_T7_T9_mT8_P12ihipStream_tbDpT10_ENKUlT_T0_E_clISt17integral_constantIbLb1EES1I_IbLb0EEEEDaS1E_S1F_EUlS1E_E_NS1_11comp_targetILNS1_3genE10ELNS1_11target_archE1200ELNS1_3gpuE4ELNS1_3repE0EEENS1_30default_config_static_selectorELNS0_4arch9wavefront6targetE0EEEvT1_
		.amdhsa_group_segment_fixed_size 0
		.amdhsa_private_segment_fixed_size 0
		.amdhsa_kernarg_size 152
		.amdhsa_user_sgpr_count 2
		.amdhsa_user_sgpr_dispatch_ptr 0
		.amdhsa_user_sgpr_queue_ptr 0
		.amdhsa_user_sgpr_kernarg_segment_ptr 1
		.amdhsa_user_sgpr_dispatch_id 0
		.amdhsa_user_sgpr_private_segment_size 0
		.amdhsa_wavefront_size32 1
		.amdhsa_uses_dynamic_stack 0
		.amdhsa_enable_private_segment 0
		.amdhsa_system_sgpr_workgroup_id_x 1
		.amdhsa_system_sgpr_workgroup_id_y 0
		.amdhsa_system_sgpr_workgroup_id_z 0
		.amdhsa_system_sgpr_workgroup_info 0
		.amdhsa_system_vgpr_workitem_id 0
		.amdhsa_next_free_vgpr 1
		.amdhsa_next_free_sgpr 1
		.amdhsa_reserve_vcc 0
		.amdhsa_float_round_mode_32 0
		.amdhsa_float_round_mode_16_64 0
		.amdhsa_float_denorm_mode_32 3
		.amdhsa_float_denorm_mode_16_64 3
		.amdhsa_fp16_overflow 0
		.amdhsa_workgroup_processor_mode 1
		.amdhsa_memory_ordered 1
		.amdhsa_forward_progress 1
		.amdhsa_inst_pref_size 1
		.amdhsa_round_robin_scheduling 0
		.amdhsa_exception_fp_ieee_invalid_op 0
		.amdhsa_exception_fp_denorm_src 0
		.amdhsa_exception_fp_ieee_div_zero 0
		.amdhsa_exception_fp_ieee_overflow 0
		.amdhsa_exception_fp_ieee_underflow 0
		.amdhsa_exception_fp_ieee_inexact 0
		.amdhsa_exception_int_div_zero 0
	.end_amdhsa_kernel
	.section	.text._ZN7rocprim17ROCPRIM_400000_NS6detail17trampoline_kernelINS0_14default_configENS1_25partition_config_selectorILNS1_17partition_subalgoE6EN6thrust23THRUST_200600_302600_NS5tupleIxxNS7_9null_typeES9_S9_S9_S9_S9_S9_S9_EENS0_10empty_typeEbEEZZNS1_14partition_implILS5_6ELb0ES3_mNS7_12zip_iteratorINS8_INS7_6detail15normal_iteratorINS7_10device_ptrIxEEEESJ_S9_S9_S9_S9_S9_S9_S9_S9_EEEEPSB_SM_NS0_5tupleIJNSE_INS8_ISJ_NS7_16discard_iteratorINS7_11use_defaultEEES9_S9_S9_S9_S9_S9_S9_S9_EEEESB_EEENSN_IJSM_SM_EEESB_PlJNSF_9not_fun_tINSF_14equal_to_valueISA_EEEEEEE10hipError_tPvRmT3_T4_T5_T6_T7_T9_mT8_P12ihipStream_tbDpT10_ENKUlT_T0_E_clISt17integral_constantIbLb1EES1I_IbLb0EEEEDaS1E_S1F_EUlS1E_E_NS1_11comp_targetILNS1_3genE10ELNS1_11target_archE1200ELNS1_3gpuE4ELNS1_3repE0EEENS1_30default_config_static_selectorELNS0_4arch9wavefront6targetE0EEEvT1_,"axG",@progbits,_ZN7rocprim17ROCPRIM_400000_NS6detail17trampoline_kernelINS0_14default_configENS1_25partition_config_selectorILNS1_17partition_subalgoE6EN6thrust23THRUST_200600_302600_NS5tupleIxxNS7_9null_typeES9_S9_S9_S9_S9_S9_S9_EENS0_10empty_typeEbEEZZNS1_14partition_implILS5_6ELb0ES3_mNS7_12zip_iteratorINS8_INS7_6detail15normal_iteratorINS7_10device_ptrIxEEEESJ_S9_S9_S9_S9_S9_S9_S9_S9_EEEEPSB_SM_NS0_5tupleIJNSE_INS8_ISJ_NS7_16discard_iteratorINS7_11use_defaultEEES9_S9_S9_S9_S9_S9_S9_S9_EEEESB_EEENSN_IJSM_SM_EEESB_PlJNSF_9not_fun_tINSF_14equal_to_valueISA_EEEEEEE10hipError_tPvRmT3_T4_T5_T6_T7_T9_mT8_P12ihipStream_tbDpT10_ENKUlT_T0_E_clISt17integral_constantIbLb1EES1I_IbLb0EEEEDaS1E_S1F_EUlS1E_E_NS1_11comp_targetILNS1_3genE10ELNS1_11target_archE1200ELNS1_3gpuE4ELNS1_3repE0EEENS1_30default_config_static_selectorELNS0_4arch9wavefront6targetE0EEEvT1_,comdat
.Lfunc_end2002:
	.size	_ZN7rocprim17ROCPRIM_400000_NS6detail17trampoline_kernelINS0_14default_configENS1_25partition_config_selectorILNS1_17partition_subalgoE6EN6thrust23THRUST_200600_302600_NS5tupleIxxNS7_9null_typeES9_S9_S9_S9_S9_S9_S9_EENS0_10empty_typeEbEEZZNS1_14partition_implILS5_6ELb0ES3_mNS7_12zip_iteratorINS8_INS7_6detail15normal_iteratorINS7_10device_ptrIxEEEESJ_S9_S9_S9_S9_S9_S9_S9_S9_EEEEPSB_SM_NS0_5tupleIJNSE_INS8_ISJ_NS7_16discard_iteratorINS7_11use_defaultEEES9_S9_S9_S9_S9_S9_S9_S9_EEEESB_EEENSN_IJSM_SM_EEESB_PlJNSF_9not_fun_tINSF_14equal_to_valueISA_EEEEEEE10hipError_tPvRmT3_T4_T5_T6_T7_T9_mT8_P12ihipStream_tbDpT10_ENKUlT_T0_E_clISt17integral_constantIbLb1EES1I_IbLb0EEEEDaS1E_S1F_EUlS1E_E_NS1_11comp_targetILNS1_3genE10ELNS1_11target_archE1200ELNS1_3gpuE4ELNS1_3repE0EEENS1_30default_config_static_selectorELNS0_4arch9wavefront6targetE0EEEvT1_, .Lfunc_end2002-_ZN7rocprim17ROCPRIM_400000_NS6detail17trampoline_kernelINS0_14default_configENS1_25partition_config_selectorILNS1_17partition_subalgoE6EN6thrust23THRUST_200600_302600_NS5tupleIxxNS7_9null_typeES9_S9_S9_S9_S9_S9_S9_EENS0_10empty_typeEbEEZZNS1_14partition_implILS5_6ELb0ES3_mNS7_12zip_iteratorINS8_INS7_6detail15normal_iteratorINS7_10device_ptrIxEEEESJ_S9_S9_S9_S9_S9_S9_S9_S9_EEEEPSB_SM_NS0_5tupleIJNSE_INS8_ISJ_NS7_16discard_iteratorINS7_11use_defaultEEES9_S9_S9_S9_S9_S9_S9_S9_EEEESB_EEENSN_IJSM_SM_EEESB_PlJNSF_9not_fun_tINSF_14equal_to_valueISA_EEEEEEE10hipError_tPvRmT3_T4_T5_T6_T7_T9_mT8_P12ihipStream_tbDpT10_ENKUlT_T0_E_clISt17integral_constantIbLb1EES1I_IbLb0EEEEDaS1E_S1F_EUlS1E_E_NS1_11comp_targetILNS1_3genE10ELNS1_11target_archE1200ELNS1_3gpuE4ELNS1_3repE0EEENS1_30default_config_static_selectorELNS0_4arch9wavefront6targetE0EEEvT1_
                                        ; -- End function
	.set _ZN7rocprim17ROCPRIM_400000_NS6detail17trampoline_kernelINS0_14default_configENS1_25partition_config_selectorILNS1_17partition_subalgoE6EN6thrust23THRUST_200600_302600_NS5tupleIxxNS7_9null_typeES9_S9_S9_S9_S9_S9_S9_EENS0_10empty_typeEbEEZZNS1_14partition_implILS5_6ELb0ES3_mNS7_12zip_iteratorINS8_INS7_6detail15normal_iteratorINS7_10device_ptrIxEEEESJ_S9_S9_S9_S9_S9_S9_S9_S9_EEEEPSB_SM_NS0_5tupleIJNSE_INS8_ISJ_NS7_16discard_iteratorINS7_11use_defaultEEES9_S9_S9_S9_S9_S9_S9_S9_EEEESB_EEENSN_IJSM_SM_EEESB_PlJNSF_9not_fun_tINSF_14equal_to_valueISA_EEEEEEE10hipError_tPvRmT3_T4_T5_T6_T7_T9_mT8_P12ihipStream_tbDpT10_ENKUlT_T0_E_clISt17integral_constantIbLb1EES1I_IbLb0EEEEDaS1E_S1F_EUlS1E_E_NS1_11comp_targetILNS1_3genE10ELNS1_11target_archE1200ELNS1_3gpuE4ELNS1_3repE0EEENS1_30default_config_static_selectorELNS0_4arch9wavefront6targetE0EEEvT1_.num_vgpr, 0
	.set _ZN7rocprim17ROCPRIM_400000_NS6detail17trampoline_kernelINS0_14default_configENS1_25partition_config_selectorILNS1_17partition_subalgoE6EN6thrust23THRUST_200600_302600_NS5tupleIxxNS7_9null_typeES9_S9_S9_S9_S9_S9_S9_EENS0_10empty_typeEbEEZZNS1_14partition_implILS5_6ELb0ES3_mNS7_12zip_iteratorINS8_INS7_6detail15normal_iteratorINS7_10device_ptrIxEEEESJ_S9_S9_S9_S9_S9_S9_S9_S9_EEEEPSB_SM_NS0_5tupleIJNSE_INS8_ISJ_NS7_16discard_iteratorINS7_11use_defaultEEES9_S9_S9_S9_S9_S9_S9_S9_EEEESB_EEENSN_IJSM_SM_EEESB_PlJNSF_9not_fun_tINSF_14equal_to_valueISA_EEEEEEE10hipError_tPvRmT3_T4_T5_T6_T7_T9_mT8_P12ihipStream_tbDpT10_ENKUlT_T0_E_clISt17integral_constantIbLb1EES1I_IbLb0EEEEDaS1E_S1F_EUlS1E_E_NS1_11comp_targetILNS1_3genE10ELNS1_11target_archE1200ELNS1_3gpuE4ELNS1_3repE0EEENS1_30default_config_static_selectorELNS0_4arch9wavefront6targetE0EEEvT1_.num_agpr, 0
	.set _ZN7rocprim17ROCPRIM_400000_NS6detail17trampoline_kernelINS0_14default_configENS1_25partition_config_selectorILNS1_17partition_subalgoE6EN6thrust23THRUST_200600_302600_NS5tupleIxxNS7_9null_typeES9_S9_S9_S9_S9_S9_S9_EENS0_10empty_typeEbEEZZNS1_14partition_implILS5_6ELb0ES3_mNS7_12zip_iteratorINS8_INS7_6detail15normal_iteratorINS7_10device_ptrIxEEEESJ_S9_S9_S9_S9_S9_S9_S9_S9_EEEEPSB_SM_NS0_5tupleIJNSE_INS8_ISJ_NS7_16discard_iteratorINS7_11use_defaultEEES9_S9_S9_S9_S9_S9_S9_S9_EEEESB_EEENSN_IJSM_SM_EEESB_PlJNSF_9not_fun_tINSF_14equal_to_valueISA_EEEEEEE10hipError_tPvRmT3_T4_T5_T6_T7_T9_mT8_P12ihipStream_tbDpT10_ENKUlT_T0_E_clISt17integral_constantIbLb1EES1I_IbLb0EEEEDaS1E_S1F_EUlS1E_E_NS1_11comp_targetILNS1_3genE10ELNS1_11target_archE1200ELNS1_3gpuE4ELNS1_3repE0EEENS1_30default_config_static_selectorELNS0_4arch9wavefront6targetE0EEEvT1_.numbered_sgpr, 0
	.set _ZN7rocprim17ROCPRIM_400000_NS6detail17trampoline_kernelINS0_14default_configENS1_25partition_config_selectorILNS1_17partition_subalgoE6EN6thrust23THRUST_200600_302600_NS5tupleIxxNS7_9null_typeES9_S9_S9_S9_S9_S9_S9_EENS0_10empty_typeEbEEZZNS1_14partition_implILS5_6ELb0ES3_mNS7_12zip_iteratorINS8_INS7_6detail15normal_iteratorINS7_10device_ptrIxEEEESJ_S9_S9_S9_S9_S9_S9_S9_S9_EEEEPSB_SM_NS0_5tupleIJNSE_INS8_ISJ_NS7_16discard_iteratorINS7_11use_defaultEEES9_S9_S9_S9_S9_S9_S9_S9_EEEESB_EEENSN_IJSM_SM_EEESB_PlJNSF_9not_fun_tINSF_14equal_to_valueISA_EEEEEEE10hipError_tPvRmT3_T4_T5_T6_T7_T9_mT8_P12ihipStream_tbDpT10_ENKUlT_T0_E_clISt17integral_constantIbLb1EES1I_IbLb0EEEEDaS1E_S1F_EUlS1E_E_NS1_11comp_targetILNS1_3genE10ELNS1_11target_archE1200ELNS1_3gpuE4ELNS1_3repE0EEENS1_30default_config_static_selectorELNS0_4arch9wavefront6targetE0EEEvT1_.num_named_barrier, 0
	.set _ZN7rocprim17ROCPRIM_400000_NS6detail17trampoline_kernelINS0_14default_configENS1_25partition_config_selectorILNS1_17partition_subalgoE6EN6thrust23THRUST_200600_302600_NS5tupleIxxNS7_9null_typeES9_S9_S9_S9_S9_S9_S9_EENS0_10empty_typeEbEEZZNS1_14partition_implILS5_6ELb0ES3_mNS7_12zip_iteratorINS8_INS7_6detail15normal_iteratorINS7_10device_ptrIxEEEESJ_S9_S9_S9_S9_S9_S9_S9_S9_EEEEPSB_SM_NS0_5tupleIJNSE_INS8_ISJ_NS7_16discard_iteratorINS7_11use_defaultEEES9_S9_S9_S9_S9_S9_S9_S9_EEEESB_EEENSN_IJSM_SM_EEESB_PlJNSF_9not_fun_tINSF_14equal_to_valueISA_EEEEEEE10hipError_tPvRmT3_T4_T5_T6_T7_T9_mT8_P12ihipStream_tbDpT10_ENKUlT_T0_E_clISt17integral_constantIbLb1EES1I_IbLb0EEEEDaS1E_S1F_EUlS1E_E_NS1_11comp_targetILNS1_3genE10ELNS1_11target_archE1200ELNS1_3gpuE4ELNS1_3repE0EEENS1_30default_config_static_selectorELNS0_4arch9wavefront6targetE0EEEvT1_.private_seg_size, 0
	.set _ZN7rocprim17ROCPRIM_400000_NS6detail17trampoline_kernelINS0_14default_configENS1_25partition_config_selectorILNS1_17partition_subalgoE6EN6thrust23THRUST_200600_302600_NS5tupleIxxNS7_9null_typeES9_S9_S9_S9_S9_S9_S9_EENS0_10empty_typeEbEEZZNS1_14partition_implILS5_6ELb0ES3_mNS7_12zip_iteratorINS8_INS7_6detail15normal_iteratorINS7_10device_ptrIxEEEESJ_S9_S9_S9_S9_S9_S9_S9_S9_EEEEPSB_SM_NS0_5tupleIJNSE_INS8_ISJ_NS7_16discard_iteratorINS7_11use_defaultEEES9_S9_S9_S9_S9_S9_S9_S9_EEEESB_EEENSN_IJSM_SM_EEESB_PlJNSF_9not_fun_tINSF_14equal_to_valueISA_EEEEEEE10hipError_tPvRmT3_T4_T5_T6_T7_T9_mT8_P12ihipStream_tbDpT10_ENKUlT_T0_E_clISt17integral_constantIbLb1EES1I_IbLb0EEEEDaS1E_S1F_EUlS1E_E_NS1_11comp_targetILNS1_3genE10ELNS1_11target_archE1200ELNS1_3gpuE4ELNS1_3repE0EEENS1_30default_config_static_selectorELNS0_4arch9wavefront6targetE0EEEvT1_.uses_vcc, 0
	.set _ZN7rocprim17ROCPRIM_400000_NS6detail17trampoline_kernelINS0_14default_configENS1_25partition_config_selectorILNS1_17partition_subalgoE6EN6thrust23THRUST_200600_302600_NS5tupleIxxNS7_9null_typeES9_S9_S9_S9_S9_S9_S9_EENS0_10empty_typeEbEEZZNS1_14partition_implILS5_6ELb0ES3_mNS7_12zip_iteratorINS8_INS7_6detail15normal_iteratorINS7_10device_ptrIxEEEESJ_S9_S9_S9_S9_S9_S9_S9_S9_EEEEPSB_SM_NS0_5tupleIJNSE_INS8_ISJ_NS7_16discard_iteratorINS7_11use_defaultEEES9_S9_S9_S9_S9_S9_S9_S9_EEEESB_EEENSN_IJSM_SM_EEESB_PlJNSF_9not_fun_tINSF_14equal_to_valueISA_EEEEEEE10hipError_tPvRmT3_T4_T5_T6_T7_T9_mT8_P12ihipStream_tbDpT10_ENKUlT_T0_E_clISt17integral_constantIbLb1EES1I_IbLb0EEEEDaS1E_S1F_EUlS1E_E_NS1_11comp_targetILNS1_3genE10ELNS1_11target_archE1200ELNS1_3gpuE4ELNS1_3repE0EEENS1_30default_config_static_selectorELNS0_4arch9wavefront6targetE0EEEvT1_.uses_flat_scratch, 0
	.set _ZN7rocprim17ROCPRIM_400000_NS6detail17trampoline_kernelINS0_14default_configENS1_25partition_config_selectorILNS1_17partition_subalgoE6EN6thrust23THRUST_200600_302600_NS5tupleIxxNS7_9null_typeES9_S9_S9_S9_S9_S9_S9_EENS0_10empty_typeEbEEZZNS1_14partition_implILS5_6ELb0ES3_mNS7_12zip_iteratorINS8_INS7_6detail15normal_iteratorINS7_10device_ptrIxEEEESJ_S9_S9_S9_S9_S9_S9_S9_S9_EEEEPSB_SM_NS0_5tupleIJNSE_INS8_ISJ_NS7_16discard_iteratorINS7_11use_defaultEEES9_S9_S9_S9_S9_S9_S9_S9_EEEESB_EEENSN_IJSM_SM_EEESB_PlJNSF_9not_fun_tINSF_14equal_to_valueISA_EEEEEEE10hipError_tPvRmT3_T4_T5_T6_T7_T9_mT8_P12ihipStream_tbDpT10_ENKUlT_T0_E_clISt17integral_constantIbLb1EES1I_IbLb0EEEEDaS1E_S1F_EUlS1E_E_NS1_11comp_targetILNS1_3genE10ELNS1_11target_archE1200ELNS1_3gpuE4ELNS1_3repE0EEENS1_30default_config_static_selectorELNS0_4arch9wavefront6targetE0EEEvT1_.has_dyn_sized_stack, 0
	.set _ZN7rocprim17ROCPRIM_400000_NS6detail17trampoline_kernelINS0_14default_configENS1_25partition_config_selectorILNS1_17partition_subalgoE6EN6thrust23THRUST_200600_302600_NS5tupleIxxNS7_9null_typeES9_S9_S9_S9_S9_S9_S9_EENS0_10empty_typeEbEEZZNS1_14partition_implILS5_6ELb0ES3_mNS7_12zip_iteratorINS8_INS7_6detail15normal_iteratorINS7_10device_ptrIxEEEESJ_S9_S9_S9_S9_S9_S9_S9_S9_EEEEPSB_SM_NS0_5tupleIJNSE_INS8_ISJ_NS7_16discard_iteratorINS7_11use_defaultEEES9_S9_S9_S9_S9_S9_S9_S9_EEEESB_EEENSN_IJSM_SM_EEESB_PlJNSF_9not_fun_tINSF_14equal_to_valueISA_EEEEEEE10hipError_tPvRmT3_T4_T5_T6_T7_T9_mT8_P12ihipStream_tbDpT10_ENKUlT_T0_E_clISt17integral_constantIbLb1EES1I_IbLb0EEEEDaS1E_S1F_EUlS1E_E_NS1_11comp_targetILNS1_3genE10ELNS1_11target_archE1200ELNS1_3gpuE4ELNS1_3repE0EEENS1_30default_config_static_selectorELNS0_4arch9wavefront6targetE0EEEvT1_.has_recursion, 0
	.set _ZN7rocprim17ROCPRIM_400000_NS6detail17trampoline_kernelINS0_14default_configENS1_25partition_config_selectorILNS1_17partition_subalgoE6EN6thrust23THRUST_200600_302600_NS5tupleIxxNS7_9null_typeES9_S9_S9_S9_S9_S9_S9_EENS0_10empty_typeEbEEZZNS1_14partition_implILS5_6ELb0ES3_mNS7_12zip_iteratorINS8_INS7_6detail15normal_iteratorINS7_10device_ptrIxEEEESJ_S9_S9_S9_S9_S9_S9_S9_S9_EEEEPSB_SM_NS0_5tupleIJNSE_INS8_ISJ_NS7_16discard_iteratorINS7_11use_defaultEEES9_S9_S9_S9_S9_S9_S9_S9_EEEESB_EEENSN_IJSM_SM_EEESB_PlJNSF_9not_fun_tINSF_14equal_to_valueISA_EEEEEEE10hipError_tPvRmT3_T4_T5_T6_T7_T9_mT8_P12ihipStream_tbDpT10_ENKUlT_T0_E_clISt17integral_constantIbLb1EES1I_IbLb0EEEEDaS1E_S1F_EUlS1E_E_NS1_11comp_targetILNS1_3genE10ELNS1_11target_archE1200ELNS1_3gpuE4ELNS1_3repE0EEENS1_30default_config_static_selectorELNS0_4arch9wavefront6targetE0EEEvT1_.has_indirect_call, 0
	.section	.AMDGPU.csdata,"",@progbits
; Kernel info:
; codeLenInByte = 4
; TotalNumSgprs: 0
; NumVgprs: 0
; ScratchSize: 0
; MemoryBound: 0
; FloatMode: 240
; IeeeMode: 1
; LDSByteSize: 0 bytes/workgroup (compile time only)
; SGPRBlocks: 0
; VGPRBlocks: 0
; NumSGPRsForWavesPerEU: 1
; NumVGPRsForWavesPerEU: 1
; Occupancy: 16
; WaveLimiterHint : 0
; COMPUTE_PGM_RSRC2:SCRATCH_EN: 0
; COMPUTE_PGM_RSRC2:USER_SGPR: 2
; COMPUTE_PGM_RSRC2:TRAP_HANDLER: 0
; COMPUTE_PGM_RSRC2:TGID_X_EN: 1
; COMPUTE_PGM_RSRC2:TGID_Y_EN: 0
; COMPUTE_PGM_RSRC2:TGID_Z_EN: 0
; COMPUTE_PGM_RSRC2:TIDIG_COMP_CNT: 0
	.section	.text._ZN7rocprim17ROCPRIM_400000_NS6detail17trampoline_kernelINS0_14default_configENS1_25partition_config_selectorILNS1_17partition_subalgoE6EN6thrust23THRUST_200600_302600_NS5tupleIxxNS7_9null_typeES9_S9_S9_S9_S9_S9_S9_EENS0_10empty_typeEbEEZZNS1_14partition_implILS5_6ELb0ES3_mNS7_12zip_iteratorINS8_INS7_6detail15normal_iteratorINS7_10device_ptrIxEEEESJ_S9_S9_S9_S9_S9_S9_S9_S9_EEEEPSB_SM_NS0_5tupleIJNSE_INS8_ISJ_NS7_16discard_iteratorINS7_11use_defaultEEES9_S9_S9_S9_S9_S9_S9_S9_EEEESB_EEENSN_IJSM_SM_EEESB_PlJNSF_9not_fun_tINSF_14equal_to_valueISA_EEEEEEE10hipError_tPvRmT3_T4_T5_T6_T7_T9_mT8_P12ihipStream_tbDpT10_ENKUlT_T0_E_clISt17integral_constantIbLb1EES1I_IbLb0EEEEDaS1E_S1F_EUlS1E_E_NS1_11comp_targetILNS1_3genE9ELNS1_11target_archE1100ELNS1_3gpuE3ELNS1_3repE0EEENS1_30default_config_static_selectorELNS0_4arch9wavefront6targetE0EEEvT1_,"axG",@progbits,_ZN7rocprim17ROCPRIM_400000_NS6detail17trampoline_kernelINS0_14default_configENS1_25partition_config_selectorILNS1_17partition_subalgoE6EN6thrust23THRUST_200600_302600_NS5tupleIxxNS7_9null_typeES9_S9_S9_S9_S9_S9_S9_EENS0_10empty_typeEbEEZZNS1_14partition_implILS5_6ELb0ES3_mNS7_12zip_iteratorINS8_INS7_6detail15normal_iteratorINS7_10device_ptrIxEEEESJ_S9_S9_S9_S9_S9_S9_S9_S9_EEEEPSB_SM_NS0_5tupleIJNSE_INS8_ISJ_NS7_16discard_iteratorINS7_11use_defaultEEES9_S9_S9_S9_S9_S9_S9_S9_EEEESB_EEENSN_IJSM_SM_EEESB_PlJNSF_9not_fun_tINSF_14equal_to_valueISA_EEEEEEE10hipError_tPvRmT3_T4_T5_T6_T7_T9_mT8_P12ihipStream_tbDpT10_ENKUlT_T0_E_clISt17integral_constantIbLb1EES1I_IbLb0EEEEDaS1E_S1F_EUlS1E_E_NS1_11comp_targetILNS1_3genE9ELNS1_11target_archE1100ELNS1_3gpuE3ELNS1_3repE0EEENS1_30default_config_static_selectorELNS0_4arch9wavefront6targetE0EEEvT1_,comdat
	.protected	_ZN7rocprim17ROCPRIM_400000_NS6detail17trampoline_kernelINS0_14default_configENS1_25partition_config_selectorILNS1_17partition_subalgoE6EN6thrust23THRUST_200600_302600_NS5tupleIxxNS7_9null_typeES9_S9_S9_S9_S9_S9_S9_EENS0_10empty_typeEbEEZZNS1_14partition_implILS5_6ELb0ES3_mNS7_12zip_iteratorINS8_INS7_6detail15normal_iteratorINS7_10device_ptrIxEEEESJ_S9_S9_S9_S9_S9_S9_S9_S9_EEEEPSB_SM_NS0_5tupleIJNSE_INS8_ISJ_NS7_16discard_iteratorINS7_11use_defaultEEES9_S9_S9_S9_S9_S9_S9_S9_EEEESB_EEENSN_IJSM_SM_EEESB_PlJNSF_9not_fun_tINSF_14equal_to_valueISA_EEEEEEE10hipError_tPvRmT3_T4_T5_T6_T7_T9_mT8_P12ihipStream_tbDpT10_ENKUlT_T0_E_clISt17integral_constantIbLb1EES1I_IbLb0EEEEDaS1E_S1F_EUlS1E_E_NS1_11comp_targetILNS1_3genE9ELNS1_11target_archE1100ELNS1_3gpuE3ELNS1_3repE0EEENS1_30default_config_static_selectorELNS0_4arch9wavefront6targetE0EEEvT1_ ; -- Begin function _ZN7rocprim17ROCPRIM_400000_NS6detail17trampoline_kernelINS0_14default_configENS1_25partition_config_selectorILNS1_17partition_subalgoE6EN6thrust23THRUST_200600_302600_NS5tupleIxxNS7_9null_typeES9_S9_S9_S9_S9_S9_S9_EENS0_10empty_typeEbEEZZNS1_14partition_implILS5_6ELb0ES3_mNS7_12zip_iteratorINS8_INS7_6detail15normal_iteratorINS7_10device_ptrIxEEEESJ_S9_S9_S9_S9_S9_S9_S9_S9_EEEEPSB_SM_NS0_5tupleIJNSE_INS8_ISJ_NS7_16discard_iteratorINS7_11use_defaultEEES9_S9_S9_S9_S9_S9_S9_S9_EEEESB_EEENSN_IJSM_SM_EEESB_PlJNSF_9not_fun_tINSF_14equal_to_valueISA_EEEEEEE10hipError_tPvRmT3_T4_T5_T6_T7_T9_mT8_P12ihipStream_tbDpT10_ENKUlT_T0_E_clISt17integral_constantIbLb1EES1I_IbLb0EEEEDaS1E_S1F_EUlS1E_E_NS1_11comp_targetILNS1_3genE9ELNS1_11target_archE1100ELNS1_3gpuE3ELNS1_3repE0EEENS1_30default_config_static_selectorELNS0_4arch9wavefront6targetE0EEEvT1_
	.globl	_ZN7rocprim17ROCPRIM_400000_NS6detail17trampoline_kernelINS0_14default_configENS1_25partition_config_selectorILNS1_17partition_subalgoE6EN6thrust23THRUST_200600_302600_NS5tupleIxxNS7_9null_typeES9_S9_S9_S9_S9_S9_S9_EENS0_10empty_typeEbEEZZNS1_14partition_implILS5_6ELb0ES3_mNS7_12zip_iteratorINS8_INS7_6detail15normal_iteratorINS7_10device_ptrIxEEEESJ_S9_S9_S9_S9_S9_S9_S9_S9_EEEEPSB_SM_NS0_5tupleIJNSE_INS8_ISJ_NS7_16discard_iteratorINS7_11use_defaultEEES9_S9_S9_S9_S9_S9_S9_S9_EEEESB_EEENSN_IJSM_SM_EEESB_PlJNSF_9not_fun_tINSF_14equal_to_valueISA_EEEEEEE10hipError_tPvRmT3_T4_T5_T6_T7_T9_mT8_P12ihipStream_tbDpT10_ENKUlT_T0_E_clISt17integral_constantIbLb1EES1I_IbLb0EEEEDaS1E_S1F_EUlS1E_E_NS1_11comp_targetILNS1_3genE9ELNS1_11target_archE1100ELNS1_3gpuE3ELNS1_3repE0EEENS1_30default_config_static_selectorELNS0_4arch9wavefront6targetE0EEEvT1_
	.p2align	8
	.type	_ZN7rocprim17ROCPRIM_400000_NS6detail17trampoline_kernelINS0_14default_configENS1_25partition_config_selectorILNS1_17partition_subalgoE6EN6thrust23THRUST_200600_302600_NS5tupleIxxNS7_9null_typeES9_S9_S9_S9_S9_S9_S9_EENS0_10empty_typeEbEEZZNS1_14partition_implILS5_6ELb0ES3_mNS7_12zip_iteratorINS8_INS7_6detail15normal_iteratorINS7_10device_ptrIxEEEESJ_S9_S9_S9_S9_S9_S9_S9_S9_EEEEPSB_SM_NS0_5tupleIJNSE_INS8_ISJ_NS7_16discard_iteratorINS7_11use_defaultEEES9_S9_S9_S9_S9_S9_S9_S9_EEEESB_EEENSN_IJSM_SM_EEESB_PlJNSF_9not_fun_tINSF_14equal_to_valueISA_EEEEEEE10hipError_tPvRmT3_T4_T5_T6_T7_T9_mT8_P12ihipStream_tbDpT10_ENKUlT_T0_E_clISt17integral_constantIbLb1EES1I_IbLb0EEEEDaS1E_S1F_EUlS1E_E_NS1_11comp_targetILNS1_3genE9ELNS1_11target_archE1100ELNS1_3gpuE3ELNS1_3repE0EEENS1_30default_config_static_selectorELNS0_4arch9wavefront6targetE0EEEvT1_,@function
_ZN7rocprim17ROCPRIM_400000_NS6detail17trampoline_kernelINS0_14default_configENS1_25partition_config_selectorILNS1_17partition_subalgoE6EN6thrust23THRUST_200600_302600_NS5tupleIxxNS7_9null_typeES9_S9_S9_S9_S9_S9_S9_EENS0_10empty_typeEbEEZZNS1_14partition_implILS5_6ELb0ES3_mNS7_12zip_iteratorINS8_INS7_6detail15normal_iteratorINS7_10device_ptrIxEEEESJ_S9_S9_S9_S9_S9_S9_S9_S9_EEEEPSB_SM_NS0_5tupleIJNSE_INS8_ISJ_NS7_16discard_iteratorINS7_11use_defaultEEES9_S9_S9_S9_S9_S9_S9_S9_EEEESB_EEENSN_IJSM_SM_EEESB_PlJNSF_9not_fun_tINSF_14equal_to_valueISA_EEEEEEE10hipError_tPvRmT3_T4_T5_T6_T7_T9_mT8_P12ihipStream_tbDpT10_ENKUlT_T0_E_clISt17integral_constantIbLb1EES1I_IbLb0EEEEDaS1E_S1F_EUlS1E_E_NS1_11comp_targetILNS1_3genE9ELNS1_11target_archE1100ELNS1_3gpuE3ELNS1_3repE0EEENS1_30default_config_static_selectorELNS0_4arch9wavefront6targetE0EEEvT1_: ; @_ZN7rocprim17ROCPRIM_400000_NS6detail17trampoline_kernelINS0_14default_configENS1_25partition_config_selectorILNS1_17partition_subalgoE6EN6thrust23THRUST_200600_302600_NS5tupleIxxNS7_9null_typeES9_S9_S9_S9_S9_S9_S9_EENS0_10empty_typeEbEEZZNS1_14partition_implILS5_6ELb0ES3_mNS7_12zip_iteratorINS8_INS7_6detail15normal_iteratorINS7_10device_ptrIxEEEESJ_S9_S9_S9_S9_S9_S9_S9_S9_EEEEPSB_SM_NS0_5tupleIJNSE_INS8_ISJ_NS7_16discard_iteratorINS7_11use_defaultEEES9_S9_S9_S9_S9_S9_S9_S9_EEEESB_EEENSN_IJSM_SM_EEESB_PlJNSF_9not_fun_tINSF_14equal_to_valueISA_EEEEEEE10hipError_tPvRmT3_T4_T5_T6_T7_T9_mT8_P12ihipStream_tbDpT10_ENKUlT_T0_E_clISt17integral_constantIbLb1EES1I_IbLb0EEEEDaS1E_S1F_EUlS1E_E_NS1_11comp_targetILNS1_3genE9ELNS1_11target_archE1100ELNS1_3gpuE3ELNS1_3repE0EEENS1_30default_config_static_selectorELNS0_4arch9wavefront6targetE0EEEvT1_
; %bb.0:
	.section	.rodata,"a",@progbits
	.p2align	6, 0x0
	.amdhsa_kernel _ZN7rocprim17ROCPRIM_400000_NS6detail17trampoline_kernelINS0_14default_configENS1_25partition_config_selectorILNS1_17partition_subalgoE6EN6thrust23THRUST_200600_302600_NS5tupleIxxNS7_9null_typeES9_S9_S9_S9_S9_S9_S9_EENS0_10empty_typeEbEEZZNS1_14partition_implILS5_6ELb0ES3_mNS7_12zip_iteratorINS8_INS7_6detail15normal_iteratorINS7_10device_ptrIxEEEESJ_S9_S9_S9_S9_S9_S9_S9_S9_EEEEPSB_SM_NS0_5tupleIJNSE_INS8_ISJ_NS7_16discard_iteratorINS7_11use_defaultEEES9_S9_S9_S9_S9_S9_S9_S9_EEEESB_EEENSN_IJSM_SM_EEESB_PlJNSF_9not_fun_tINSF_14equal_to_valueISA_EEEEEEE10hipError_tPvRmT3_T4_T5_T6_T7_T9_mT8_P12ihipStream_tbDpT10_ENKUlT_T0_E_clISt17integral_constantIbLb1EES1I_IbLb0EEEEDaS1E_S1F_EUlS1E_E_NS1_11comp_targetILNS1_3genE9ELNS1_11target_archE1100ELNS1_3gpuE3ELNS1_3repE0EEENS1_30default_config_static_selectorELNS0_4arch9wavefront6targetE0EEEvT1_
		.amdhsa_group_segment_fixed_size 0
		.amdhsa_private_segment_fixed_size 0
		.amdhsa_kernarg_size 152
		.amdhsa_user_sgpr_count 2
		.amdhsa_user_sgpr_dispatch_ptr 0
		.amdhsa_user_sgpr_queue_ptr 0
		.amdhsa_user_sgpr_kernarg_segment_ptr 1
		.amdhsa_user_sgpr_dispatch_id 0
		.amdhsa_user_sgpr_private_segment_size 0
		.amdhsa_wavefront_size32 1
		.amdhsa_uses_dynamic_stack 0
		.amdhsa_enable_private_segment 0
		.amdhsa_system_sgpr_workgroup_id_x 1
		.amdhsa_system_sgpr_workgroup_id_y 0
		.amdhsa_system_sgpr_workgroup_id_z 0
		.amdhsa_system_sgpr_workgroup_info 0
		.amdhsa_system_vgpr_workitem_id 0
		.amdhsa_next_free_vgpr 1
		.amdhsa_next_free_sgpr 1
		.amdhsa_reserve_vcc 0
		.amdhsa_float_round_mode_32 0
		.amdhsa_float_round_mode_16_64 0
		.amdhsa_float_denorm_mode_32 3
		.amdhsa_float_denorm_mode_16_64 3
		.amdhsa_fp16_overflow 0
		.amdhsa_workgroup_processor_mode 1
		.amdhsa_memory_ordered 1
		.amdhsa_forward_progress 1
		.amdhsa_inst_pref_size 0
		.amdhsa_round_robin_scheduling 0
		.amdhsa_exception_fp_ieee_invalid_op 0
		.amdhsa_exception_fp_denorm_src 0
		.amdhsa_exception_fp_ieee_div_zero 0
		.amdhsa_exception_fp_ieee_overflow 0
		.amdhsa_exception_fp_ieee_underflow 0
		.amdhsa_exception_fp_ieee_inexact 0
		.amdhsa_exception_int_div_zero 0
	.end_amdhsa_kernel
	.section	.text._ZN7rocprim17ROCPRIM_400000_NS6detail17trampoline_kernelINS0_14default_configENS1_25partition_config_selectorILNS1_17partition_subalgoE6EN6thrust23THRUST_200600_302600_NS5tupleIxxNS7_9null_typeES9_S9_S9_S9_S9_S9_S9_EENS0_10empty_typeEbEEZZNS1_14partition_implILS5_6ELb0ES3_mNS7_12zip_iteratorINS8_INS7_6detail15normal_iteratorINS7_10device_ptrIxEEEESJ_S9_S9_S9_S9_S9_S9_S9_S9_EEEEPSB_SM_NS0_5tupleIJNSE_INS8_ISJ_NS7_16discard_iteratorINS7_11use_defaultEEES9_S9_S9_S9_S9_S9_S9_S9_EEEESB_EEENSN_IJSM_SM_EEESB_PlJNSF_9not_fun_tINSF_14equal_to_valueISA_EEEEEEE10hipError_tPvRmT3_T4_T5_T6_T7_T9_mT8_P12ihipStream_tbDpT10_ENKUlT_T0_E_clISt17integral_constantIbLb1EES1I_IbLb0EEEEDaS1E_S1F_EUlS1E_E_NS1_11comp_targetILNS1_3genE9ELNS1_11target_archE1100ELNS1_3gpuE3ELNS1_3repE0EEENS1_30default_config_static_selectorELNS0_4arch9wavefront6targetE0EEEvT1_,"axG",@progbits,_ZN7rocprim17ROCPRIM_400000_NS6detail17trampoline_kernelINS0_14default_configENS1_25partition_config_selectorILNS1_17partition_subalgoE6EN6thrust23THRUST_200600_302600_NS5tupleIxxNS7_9null_typeES9_S9_S9_S9_S9_S9_S9_EENS0_10empty_typeEbEEZZNS1_14partition_implILS5_6ELb0ES3_mNS7_12zip_iteratorINS8_INS7_6detail15normal_iteratorINS7_10device_ptrIxEEEESJ_S9_S9_S9_S9_S9_S9_S9_S9_EEEEPSB_SM_NS0_5tupleIJNSE_INS8_ISJ_NS7_16discard_iteratorINS7_11use_defaultEEES9_S9_S9_S9_S9_S9_S9_S9_EEEESB_EEENSN_IJSM_SM_EEESB_PlJNSF_9not_fun_tINSF_14equal_to_valueISA_EEEEEEE10hipError_tPvRmT3_T4_T5_T6_T7_T9_mT8_P12ihipStream_tbDpT10_ENKUlT_T0_E_clISt17integral_constantIbLb1EES1I_IbLb0EEEEDaS1E_S1F_EUlS1E_E_NS1_11comp_targetILNS1_3genE9ELNS1_11target_archE1100ELNS1_3gpuE3ELNS1_3repE0EEENS1_30default_config_static_selectorELNS0_4arch9wavefront6targetE0EEEvT1_,comdat
.Lfunc_end2003:
	.size	_ZN7rocprim17ROCPRIM_400000_NS6detail17trampoline_kernelINS0_14default_configENS1_25partition_config_selectorILNS1_17partition_subalgoE6EN6thrust23THRUST_200600_302600_NS5tupleIxxNS7_9null_typeES9_S9_S9_S9_S9_S9_S9_EENS0_10empty_typeEbEEZZNS1_14partition_implILS5_6ELb0ES3_mNS7_12zip_iteratorINS8_INS7_6detail15normal_iteratorINS7_10device_ptrIxEEEESJ_S9_S9_S9_S9_S9_S9_S9_S9_EEEEPSB_SM_NS0_5tupleIJNSE_INS8_ISJ_NS7_16discard_iteratorINS7_11use_defaultEEES9_S9_S9_S9_S9_S9_S9_S9_EEEESB_EEENSN_IJSM_SM_EEESB_PlJNSF_9not_fun_tINSF_14equal_to_valueISA_EEEEEEE10hipError_tPvRmT3_T4_T5_T6_T7_T9_mT8_P12ihipStream_tbDpT10_ENKUlT_T0_E_clISt17integral_constantIbLb1EES1I_IbLb0EEEEDaS1E_S1F_EUlS1E_E_NS1_11comp_targetILNS1_3genE9ELNS1_11target_archE1100ELNS1_3gpuE3ELNS1_3repE0EEENS1_30default_config_static_selectorELNS0_4arch9wavefront6targetE0EEEvT1_, .Lfunc_end2003-_ZN7rocprim17ROCPRIM_400000_NS6detail17trampoline_kernelINS0_14default_configENS1_25partition_config_selectorILNS1_17partition_subalgoE6EN6thrust23THRUST_200600_302600_NS5tupleIxxNS7_9null_typeES9_S9_S9_S9_S9_S9_S9_EENS0_10empty_typeEbEEZZNS1_14partition_implILS5_6ELb0ES3_mNS7_12zip_iteratorINS8_INS7_6detail15normal_iteratorINS7_10device_ptrIxEEEESJ_S9_S9_S9_S9_S9_S9_S9_S9_EEEEPSB_SM_NS0_5tupleIJNSE_INS8_ISJ_NS7_16discard_iteratorINS7_11use_defaultEEES9_S9_S9_S9_S9_S9_S9_S9_EEEESB_EEENSN_IJSM_SM_EEESB_PlJNSF_9not_fun_tINSF_14equal_to_valueISA_EEEEEEE10hipError_tPvRmT3_T4_T5_T6_T7_T9_mT8_P12ihipStream_tbDpT10_ENKUlT_T0_E_clISt17integral_constantIbLb1EES1I_IbLb0EEEEDaS1E_S1F_EUlS1E_E_NS1_11comp_targetILNS1_3genE9ELNS1_11target_archE1100ELNS1_3gpuE3ELNS1_3repE0EEENS1_30default_config_static_selectorELNS0_4arch9wavefront6targetE0EEEvT1_
                                        ; -- End function
	.set _ZN7rocprim17ROCPRIM_400000_NS6detail17trampoline_kernelINS0_14default_configENS1_25partition_config_selectorILNS1_17partition_subalgoE6EN6thrust23THRUST_200600_302600_NS5tupleIxxNS7_9null_typeES9_S9_S9_S9_S9_S9_S9_EENS0_10empty_typeEbEEZZNS1_14partition_implILS5_6ELb0ES3_mNS7_12zip_iteratorINS8_INS7_6detail15normal_iteratorINS7_10device_ptrIxEEEESJ_S9_S9_S9_S9_S9_S9_S9_S9_EEEEPSB_SM_NS0_5tupleIJNSE_INS8_ISJ_NS7_16discard_iteratorINS7_11use_defaultEEES9_S9_S9_S9_S9_S9_S9_S9_EEEESB_EEENSN_IJSM_SM_EEESB_PlJNSF_9not_fun_tINSF_14equal_to_valueISA_EEEEEEE10hipError_tPvRmT3_T4_T5_T6_T7_T9_mT8_P12ihipStream_tbDpT10_ENKUlT_T0_E_clISt17integral_constantIbLb1EES1I_IbLb0EEEEDaS1E_S1F_EUlS1E_E_NS1_11comp_targetILNS1_3genE9ELNS1_11target_archE1100ELNS1_3gpuE3ELNS1_3repE0EEENS1_30default_config_static_selectorELNS0_4arch9wavefront6targetE0EEEvT1_.num_vgpr, 0
	.set _ZN7rocprim17ROCPRIM_400000_NS6detail17trampoline_kernelINS0_14default_configENS1_25partition_config_selectorILNS1_17partition_subalgoE6EN6thrust23THRUST_200600_302600_NS5tupleIxxNS7_9null_typeES9_S9_S9_S9_S9_S9_S9_EENS0_10empty_typeEbEEZZNS1_14partition_implILS5_6ELb0ES3_mNS7_12zip_iteratorINS8_INS7_6detail15normal_iteratorINS7_10device_ptrIxEEEESJ_S9_S9_S9_S9_S9_S9_S9_S9_EEEEPSB_SM_NS0_5tupleIJNSE_INS8_ISJ_NS7_16discard_iteratorINS7_11use_defaultEEES9_S9_S9_S9_S9_S9_S9_S9_EEEESB_EEENSN_IJSM_SM_EEESB_PlJNSF_9not_fun_tINSF_14equal_to_valueISA_EEEEEEE10hipError_tPvRmT3_T4_T5_T6_T7_T9_mT8_P12ihipStream_tbDpT10_ENKUlT_T0_E_clISt17integral_constantIbLb1EES1I_IbLb0EEEEDaS1E_S1F_EUlS1E_E_NS1_11comp_targetILNS1_3genE9ELNS1_11target_archE1100ELNS1_3gpuE3ELNS1_3repE0EEENS1_30default_config_static_selectorELNS0_4arch9wavefront6targetE0EEEvT1_.num_agpr, 0
	.set _ZN7rocprim17ROCPRIM_400000_NS6detail17trampoline_kernelINS0_14default_configENS1_25partition_config_selectorILNS1_17partition_subalgoE6EN6thrust23THRUST_200600_302600_NS5tupleIxxNS7_9null_typeES9_S9_S9_S9_S9_S9_S9_EENS0_10empty_typeEbEEZZNS1_14partition_implILS5_6ELb0ES3_mNS7_12zip_iteratorINS8_INS7_6detail15normal_iteratorINS7_10device_ptrIxEEEESJ_S9_S9_S9_S9_S9_S9_S9_S9_EEEEPSB_SM_NS0_5tupleIJNSE_INS8_ISJ_NS7_16discard_iteratorINS7_11use_defaultEEES9_S9_S9_S9_S9_S9_S9_S9_EEEESB_EEENSN_IJSM_SM_EEESB_PlJNSF_9not_fun_tINSF_14equal_to_valueISA_EEEEEEE10hipError_tPvRmT3_T4_T5_T6_T7_T9_mT8_P12ihipStream_tbDpT10_ENKUlT_T0_E_clISt17integral_constantIbLb1EES1I_IbLb0EEEEDaS1E_S1F_EUlS1E_E_NS1_11comp_targetILNS1_3genE9ELNS1_11target_archE1100ELNS1_3gpuE3ELNS1_3repE0EEENS1_30default_config_static_selectorELNS0_4arch9wavefront6targetE0EEEvT1_.numbered_sgpr, 0
	.set _ZN7rocprim17ROCPRIM_400000_NS6detail17trampoline_kernelINS0_14default_configENS1_25partition_config_selectorILNS1_17partition_subalgoE6EN6thrust23THRUST_200600_302600_NS5tupleIxxNS7_9null_typeES9_S9_S9_S9_S9_S9_S9_EENS0_10empty_typeEbEEZZNS1_14partition_implILS5_6ELb0ES3_mNS7_12zip_iteratorINS8_INS7_6detail15normal_iteratorINS7_10device_ptrIxEEEESJ_S9_S9_S9_S9_S9_S9_S9_S9_EEEEPSB_SM_NS0_5tupleIJNSE_INS8_ISJ_NS7_16discard_iteratorINS7_11use_defaultEEES9_S9_S9_S9_S9_S9_S9_S9_EEEESB_EEENSN_IJSM_SM_EEESB_PlJNSF_9not_fun_tINSF_14equal_to_valueISA_EEEEEEE10hipError_tPvRmT3_T4_T5_T6_T7_T9_mT8_P12ihipStream_tbDpT10_ENKUlT_T0_E_clISt17integral_constantIbLb1EES1I_IbLb0EEEEDaS1E_S1F_EUlS1E_E_NS1_11comp_targetILNS1_3genE9ELNS1_11target_archE1100ELNS1_3gpuE3ELNS1_3repE0EEENS1_30default_config_static_selectorELNS0_4arch9wavefront6targetE0EEEvT1_.num_named_barrier, 0
	.set _ZN7rocprim17ROCPRIM_400000_NS6detail17trampoline_kernelINS0_14default_configENS1_25partition_config_selectorILNS1_17partition_subalgoE6EN6thrust23THRUST_200600_302600_NS5tupleIxxNS7_9null_typeES9_S9_S9_S9_S9_S9_S9_EENS0_10empty_typeEbEEZZNS1_14partition_implILS5_6ELb0ES3_mNS7_12zip_iteratorINS8_INS7_6detail15normal_iteratorINS7_10device_ptrIxEEEESJ_S9_S9_S9_S9_S9_S9_S9_S9_EEEEPSB_SM_NS0_5tupleIJNSE_INS8_ISJ_NS7_16discard_iteratorINS7_11use_defaultEEES9_S9_S9_S9_S9_S9_S9_S9_EEEESB_EEENSN_IJSM_SM_EEESB_PlJNSF_9not_fun_tINSF_14equal_to_valueISA_EEEEEEE10hipError_tPvRmT3_T4_T5_T6_T7_T9_mT8_P12ihipStream_tbDpT10_ENKUlT_T0_E_clISt17integral_constantIbLb1EES1I_IbLb0EEEEDaS1E_S1F_EUlS1E_E_NS1_11comp_targetILNS1_3genE9ELNS1_11target_archE1100ELNS1_3gpuE3ELNS1_3repE0EEENS1_30default_config_static_selectorELNS0_4arch9wavefront6targetE0EEEvT1_.private_seg_size, 0
	.set _ZN7rocprim17ROCPRIM_400000_NS6detail17trampoline_kernelINS0_14default_configENS1_25partition_config_selectorILNS1_17partition_subalgoE6EN6thrust23THRUST_200600_302600_NS5tupleIxxNS7_9null_typeES9_S9_S9_S9_S9_S9_S9_EENS0_10empty_typeEbEEZZNS1_14partition_implILS5_6ELb0ES3_mNS7_12zip_iteratorINS8_INS7_6detail15normal_iteratorINS7_10device_ptrIxEEEESJ_S9_S9_S9_S9_S9_S9_S9_S9_EEEEPSB_SM_NS0_5tupleIJNSE_INS8_ISJ_NS7_16discard_iteratorINS7_11use_defaultEEES9_S9_S9_S9_S9_S9_S9_S9_EEEESB_EEENSN_IJSM_SM_EEESB_PlJNSF_9not_fun_tINSF_14equal_to_valueISA_EEEEEEE10hipError_tPvRmT3_T4_T5_T6_T7_T9_mT8_P12ihipStream_tbDpT10_ENKUlT_T0_E_clISt17integral_constantIbLb1EES1I_IbLb0EEEEDaS1E_S1F_EUlS1E_E_NS1_11comp_targetILNS1_3genE9ELNS1_11target_archE1100ELNS1_3gpuE3ELNS1_3repE0EEENS1_30default_config_static_selectorELNS0_4arch9wavefront6targetE0EEEvT1_.uses_vcc, 0
	.set _ZN7rocprim17ROCPRIM_400000_NS6detail17trampoline_kernelINS0_14default_configENS1_25partition_config_selectorILNS1_17partition_subalgoE6EN6thrust23THRUST_200600_302600_NS5tupleIxxNS7_9null_typeES9_S9_S9_S9_S9_S9_S9_EENS0_10empty_typeEbEEZZNS1_14partition_implILS5_6ELb0ES3_mNS7_12zip_iteratorINS8_INS7_6detail15normal_iteratorINS7_10device_ptrIxEEEESJ_S9_S9_S9_S9_S9_S9_S9_S9_EEEEPSB_SM_NS0_5tupleIJNSE_INS8_ISJ_NS7_16discard_iteratorINS7_11use_defaultEEES9_S9_S9_S9_S9_S9_S9_S9_EEEESB_EEENSN_IJSM_SM_EEESB_PlJNSF_9not_fun_tINSF_14equal_to_valueISA_EEEEEEE10hipError_tPvRmT3_T4_T5_T6_T7_T9_mT8_P12ihipStream_tbDpT10_ENKUlT_T0_E_clISt17integral_constantIbLb1EES1I_IbLb0EEEEDaS1E_S1F_EUlS1E_E_NS1_11comp_targetILNS1_3genE9ELNS1_11target_archE1100ELNS1_3gpuE3ELNS1_3repE0EEENS1_30default_config_static_selectorELNS0_4arch9wavefront6targetE0EEEvT1_.uses_flat_scratch, 0
	.set _ZN7rocprim17ROCPRIM_400000_NS6detail17trampoline_kernelINS0_14default_configENS1_25partition_config_selectorILNS1_17partition_subalgoE6EN6thrust23THRUST_200600_302600_NS5tupleIxxNS7_9null_typeES9_S9_S9_S9_S9_S9_S9_EENS0_10empty_typeEbEEZZNS1_14partition_implILS5_6ELb0ES3_mNS7_12zip_iteratorINS8_INS7_6detail15normal_iteratorINS7_10device_ptrIxEEEESJ_S9_S9_S9_S9_S9_S9_S9_S9_EEEEPSB_SM_NS0_5tupleIJNSE_INS8_ISJ_NS7_16discard_iteratorINS7_11use_defaultEEES9_S9_S9_S9_S9_S9_S9_S9_EEEESB_EEENSN_IJSM_SM_EEESB_PlJNSF_9not_fun_tINSF_14equal_to_valueISA_EEEEEEE10hipError_tPvRmT3_T4_T5_T6_T7_T9_mT8_P12ihipStream_tbDpT10_ENKUlT_T0_E_clISt17integral_constantIbLb1EES1I_IbLb0EEEEDaS1E_S1F_EUlS1E_E_NS1_11comp_targetILNS1_3genE9ELNS1_11target_archE1100ELNS1_3gpuE3ELNS1_3repE0EEENS1_30default_config_static_selectorELNS0_4arch9wavefront6targetE0EEEvT1_.has_dyn_sized_stack, 0
	.set _ZN7rocprim17ROCPRIM_400000_NS6detail17trampoline_kernelINS0_14default_configENS1_25partition_config_selectorILNS1_17partition_subalgoE6EN6thrust23THRUST_200600_302600_NS5tupleIxxNS7_9null_typeES9_S9_S9_S9_S9_S9_S9_EENS0_10empty_typeEbEEZZNS1_14partition_implILS5_6ELb0ES3_mNS7_12zip_iteratorINS8_INS7_6detail15normal_iteratorINS7_10device_ptrIxEEEESJ_S9_S9_S9_S9_S9_S9_S9_S9_EEEEPSB_SM_NS0_5tupleIJNSE_INS8_ISJ_NS7_16discard_iteratorINS7_11use_defaultEEES9_S9_S9_S9_S9_S9_S9_S9_EEEESB_EEENSN_IJSM_SM_EEESB_PlJNSF_9not_fun_tINSF_14equal_to_valueISA_EEEEEEE10hipError_tPvRmT3_T4_T5_T6_T7_T9_mT8_P12ihipStream_tbDpT10_ENKUlT_T0_E_clISt17integral_constantIbLb1EES1I_IbLb0EEEEDaS1E_S1F_EUlS1E_E_NS1_11comp_targetILNS1_3genE9ELNS1_11target_archE1100ELNS1_3gpuE3ELNS1_3repE0EEENS1_30default_config_static_selectorELNS0_4arch9wavefront6targetE0EEEvT1_.has_recursion, 0
	.set _ZN7rocprim17ROCPRIM_400000_NS6detail17trampoline_kernelINS0_14default_configENS1_25partition_config_selectorILNS1_17partition_subalgoE6EN6thrust23THRUST_200600_302600_NS5tupleIxxNS7_9null_typeES9_S9_S9_S9_S9_S9_S9_EENS0_10empty_typeEbEEZZNS1_14partition_implILS5_6ELb0ES3_mNS7_12zip_iteratorINS8_INS7_6detail15normal_iteratorINS7_10device_ptrIxEEEESJ_S9_S9_S9_S9_S9_S9_S9_S9_EEEEPSB_SM_NS0_5tupleIJNSE_INS8_ISJ_NS7_16discard_iteratorINS7_11use_defaultEEES9_S9_S9_S9_S9_S9_S9_S9_EEEESB_EEENSN_IJSM_SM_EEESB_PlJNSF_9not_fun_tINSF_14equal_to_valueISA_EEEEEEE10hipError_tPvRmT3_T4_T5_T6_T7_T9_mT8_P12ihipStream_tbDpT10_ENKUlT_T0_E_clISt17integral_constantIbLb1EES1I_IbLb0EEEEDaS1E_S1F_EUlS1E_E_NS1_11comp_targetILNS1_3genE9ELNS1_11target_archE1100ELNS1_3gpuE3ELNS1_3repE0EEENS1_30default_config_static_selectorELNS0_4arch9wavefront6targetE0EEEvT1_.has_indirect_call, 0
	.section	.AMDGPU.csdata,"",@progbits
; Kernel info:
; codeLenInByte = 0
; TotalNumSgprs: 0
; NumVgprs: 0
; ScratchSize: 0
; MemoryBound: 0
; FloatMode: 240
; IeeeMode: 1
; LDSByteSize: 0 bytes/workgroup (compile time only)
; SGPRBlocks: 0
; VGPRBlocks: 0
; NumSGPRsForWavesPerEU: 1
; NumVGPRsForWavesPerEU: 1
; Occupancy: 16
; WaveLimiterHint : 0
; COMPUTE_PGM_RSRC2:SCRATCH_EN: 0
; COMPUTE_PGM_RSRC2:USER_SGPR: 2
; COMPUTE_PGM_RSRC2:TRAP_HANDLER: 0
; COMPUTE_PGM_RSRC2:TGID_X_EN: 1
; COMPUTE_PGM_RSRC2:TGID_Y_EN: 0
; COMPUTE_PGM_RSRC2:TGID_Z_EN: 0
; COMPUTE_PGM_RSRC2:TIDIG_COMP_CNT: 0
	.section	.text._ZN7rocprim17ROCPRIM_400000_NS6detail17trampoline_kernelINS0_14default_configENS1_25partition_config_selectorILNS1_17partition_subalgoE6EN6thrust23THRUST_200600_302600_NS5tupleIxxNS7_9null_typeES9_S9_S9_S9_S9_S9_S9_EENS0_10empty_typeEbEEZZNS1_14partition_implILS5_6ELb0ES3_mNS7_12zip_iteratorINS8_INS7_6detail15normal_iteratorINS7_10device_ptrIxEEEESJ_S9_S9_S9_S9_S9_S9_S9_S9_EEEEPSB_SM_NS0_5tupleIJNSE_INS8_ISJ_NS7_16discard_iteratorINS7_11use_defaultEEES9_S9_S9_S9_S9_S9_S9_S9_EEEESB_EEENSN_IJSM_SM_EEESB_PlJNSF_9not_fun_tINSF_14equal_to_valueISA_EEEEEEE10hipError_tPvRmT3_T4_T5_T6_T7_T9_mT8_P12ihipStream_tbDpT10_ENKUlT_T0_E_clISt17integral_constantIbLb1EES1I_IbLb0EEEEDaS1E_S1F_EUlS1E_E_NS1_11comp_targetILNS1_3genE8ELNS1_11target_archE1030ELNS1_3gpuE2ELNS1_3repE0EEENS1_30default_config_static_selectorELNS0_4arch9wavefront6targetE0EEEvT1_,"axG",@progbits,_ZN7rocprim17ROCPRIM_400000_NS6detail17trampoline_kernelINS0_14default_configENS1_25partition_config_selectorILNS1_17partition_subalgoE6EN6thrust23THRUST_200600_302600_NS5tupleIxxNS7_9null_typeES9_S9_S9_S9_S9_S9_S9_EENS0_10empty_typeEbEEZZNS1_14partition_implILS5_6ELb0ES3_mNS7_12zip_iteratorINS8_INS7_6detail15normal_iteratorINS7_10device_ptrIxEEEESJ_S9_S9_S9_S9_S9_S9_S9_S9_EEEEPSB_SM_NS0_5tupleIJNSE_INS8_ISJ_NS7_16discard_iteratorINS7_11use_defaultEEES9_S9_S9_S9_S9_S9_S9_S9_EEEESB_EEENSN_IJSM_SM_EEESB_PlJNSF_9not_fun_tINSF_14equal_to_valueISA_EEEEEEE10hipError_tPvRmT3_T4_T5_T6_T7_T9_mT8_P12ihipStream_tbDpT10_ENKUlT_T0_E_clISt17integral_constantIbLb1EES1I_IbLb0EEEEDaS1E_S1F_EUlS1E_E_NS1_11comp_targetILNS1_3genE8ELNS1_11target_archE1030ELNS1_3gpuE2ELNS1_3repE0EEENS1_30default_config_static_selectorELNS0_4arch9wavefront6targetE0EEEvT1_,comdat
	.protected	_ZN7rocprim17ROCPRIM_400000_NS6detail17trampoline_kernelINS0_14default_configENS1_25partition_config_selectorILNS1_17partition_subalgoE6EN6thrust23THRUST_200600_302600_NS5tupleIxxNS7_9null_typeES9_S9_S9_S9_S9_S9_S9_EENS0_10empty_typeEbEEZZNS1_14partition_implILS5_6ELb0ES3_mNS7_12zip_iteratorINS8_INS7_6detail15normal_iteratorINS7_10device_ptrIxEEEESJ_S9_S9_S9_S9_S9_S9_S9_S9_EEEEPSB_SM_NS0_5tupleIJNSE_INS8_ISJ_NS7_16discard_iteratorINS7_11use_defaultEEES9_S9_S9_S9_S9_S9_S9_S9_EEEESB_EEENSN_IJSM_SM_EEESB_PlJNSF_9not_fun_tINSF_14equal_to_valueISA_EEEEEEE10hipError_tPvRmT3_T4_T5_T6_T7_T9_mT8_P12ihipStream_tbDpT10_ENKUlT_T0_E_clISt17integral_constantIbLb1EES1I_IbLb0EEEEDaS1E_S1F_EUlS1E_E_NS1_11comp_targetILNS1_3genE8ELNS1_11target_archE1030ELNS1_3gpuE2ELNS1_3repE0EEENS1_30default_config_static_selectorELNS0_4arch9wavefront6targetE0EEEvT1_ ; -- Begin function _ZN7rocprim17ROCPRIM_400000_NS6detail17trampoline_kernelINS0_14default_configENS1_25partition_config_selectorILNS1_17partition_subalgoE6EN6thrust23THRUST_200600_302600_NS5tupleIxxNS7_9null_typeES9_S9_S9_S9_S9_S9_S9_EENS0_10empty_typeEbEEZZNS1_14partition_implILS5_6ELb0ES3_mNS7_12zip_iteratorINS8_INS7_6detail15normal_iteratorINS7_10device_ptrIxEEEESJ_S9_S9_S9_S9_S9_S9_S9_S9_EEEEPSB_SM_NS0_5tupleIJNSE_INS8_ISJ_NS7_16discard_iteratorINS7_11use_defaultEEES9_S9_S9_S9_S9_S9_S9_S9_EEEESB_EEENSN_IJSM_SM_EEESB_PlJNSF_9not_fun_tINSF_14equal_to_valueISA_EEEEEEE10hipError_tPvRmT3_T4_T5_T6_T7_T9_mT8_P12ihipStream_tbDpT10_ENKUlT_T0_E_clISt17integral_constantIbLb1EES1I_IbLb0EEEEDaS1E_S1F_EUlS1E_E_NS1_11comp_targetILNS1_3genE8ELNS1_11target_archE1030ELNS1_3gpuE2ELNS1_3repE0EEENS1_30default_config_static_selectorELNS0_4arch9wavefront6targetE0EEEvT1_
	.globl	_ZN7rocprim17ROCPRIM_400000_NS6detail17trampoline_kernelINS0_14default_configENS1_25partition_config_selectorILNS1_17partition_subalgoE6EN6thrust23THRUST_200600_302600_NS5tupleIxxNS7_9null_typeES9_S9_S9_S9_S9_S9_S9_EENS0_10empty_typeEbEEZZNS1_14partition_implILS5_6ELb0ES3_mNS7_12zip_iteratorINS8_INS7_6detail15normal_iteratorINS7_10device_ptrIxEEEESJ_S9_S9_S9_S9_S9_S9_S9_S9_EEEEPSB_SM_NS0_5tupleIJNSE_INS8_ISJ_NS7_16discard_iteratorINS7_11use_defaultEEES9_S9_S9_S9_S9_S9_S9_S9_EEEESB_EEENSN_IJSM_SM_EEESB_PlJNSF_9not_fun_tINSF_14equal_to_valueISA_EEEEEEE10hipError_tPvRmT3_T4_T5_T6_T7_T9_mT8_P12ihipStream_tbDpT10_ENKUlT_T0_E_clISt17integral_constantIbLb1EES1I_IbLb0EEEEDaS1E_S1F_EUlS1E_E_NS1_11comp_targetILNS1_3genE8ELNS1_11target_archE1030ELNS1_3gpuE2ELNS1_3repE0EEENS1_30default_config_static_selectorELNS0_4arch9wavefront6targetE0EEEvT1_
	.p2align	8
	.type	_ZN7rocprim17ROCPRIM_400000_NS6detail17trampoline_kernelINS0_14default_configENS1_25partition_config_selectorILNS1_17partition_subalgoE6EN6thrust23THRUST_200600_302600_NS5tupleIxxNS7_9null_typeES9_S9_S9_S9_S9_S9_S9_EENS0_10empty_typeEbEEZZNS1_14partition_implILS5_6ELb0ES3_mNS7_12zip_iteratorINS8_INS7_6detail15normal_iteratorINS7_10device_ptrIxEEEESJ_S9_S9_S9_S9_S9_S9_S9_S9_EEEEPSB_SM_NS0_5tupleIJNSE_INS8_ISJ_NS7_16discard_iteratorINS7_11use_defaultEEES9_S9_S9_S9_S9_S9_S9_S9_EEEESB_EEENSN_IJSM_SM_EEESB_PlJNSF_9not_fun_tINSF_14equal_to_valueISA_EEEEEEE10hipError_tPvRmT3_T4_T5_T6_T7_T9_mT8_P12ihipStream_tbDpT10_ENKUlT_T0_E_clISt17integral_constantIbLb1EES1I_IbLb0EEEEDaS1E_S1F_EUlS1E_E_NS1_11comp_targetILNS1_3genE8ELNS1_11target_archE1030ELNS1_3gpuE2ELNS1_3repE0EEENS1_30default_config_static_selectorELNS0_4arch9wavefront6targetE0EEEvT1_,@function
_ZN7rocprim17ROCPRIM_400000_NS6detail17trampoline_kernelINS0_14default_configENS1_25partition_config_selectorILNS1_17partition_subalgoE6EN6thrust23THRUST_200600_302600_NS5tupleIxxNS7_9null_typeES9_S9_S9_S9_S9_S9_S9_EENS0_10empty_typeEbEEZZNS1_14partition_implILS5_6ELb0ES3_mNS7_12zip_iteratorINS8_INS7_6detail15normal_iteratorINS7_10device_ptrIxEEEESJ_S9_S9_S9_S9_S9_S9_S9_S9_EEEEPSB_SM_NS0_5tupleIJNSE_INS8_ISJ_NS7_16discard_iteratorINS7_11use_defaultEEES9_S9_S9_S9_S9_S9_S9_S9_EEEESB_EEENSN_IJSM_SM_EEESB_PlJNSF_9not_fun_tINSF_14equal_to_valueISA_EEEEEEE10hipError_tPvRmT3_T4_T5_T6_T7_T9_mT8_P12ihipStream_tbDpT10_ENKUlT_T0_E_clISt17integral_constantIbLb1EES1I_IbLb0EEEEDaS1E_S1F_EUlS1E_E_NS1_11comp_targetILNS1_3genE8ELNS1_11target_archE1030ELNS1_3gpuE2ELNS1_3repE0EEENS1_30default_config_static_selectorELNS0_4arch9wavefront6targetE0EEEvT1_: ; @_ZN7rocprim17ROCPRIM_400000_NS6detail17trampoline_kernelINS0_14default_configENS1_25partition_config_selectorILNS1_17partition_subalgoE6EN6thrust23THRUST_200600_302600_NS5tupleIxxNS7_9null_typeES9_S9_S9_S9_S9_S9_S9_EENS0_10empty_typeEbEEZZNS1_14partition_implILS5_6ELb0ES3_mNS7_12zip_iteratorINS8_INS7_6detail15normal_iteratorINS7_10device_ptrIxEEEESJ_S9_S9_S9_S9_S9_S9_S9_S9_EEEEPSB_SM_NS0_5tupleIJNSE_INS8_ISJ_NS7_16discard_iteratorINS7_11use_defaultEEES9_S9_S9_S9_S9_S9_S9_S9_EEEESB_EEENSN_IJSM_SM_EEESB_PlJNSF_9not_fun_tINSF_14equal_to_valueISA_EEEEEEE10hipError_tPvRmT3_T4_T5_T6_T7_T9_mT8_P12ihipStream_tbDpT10_ENKUlT_T0_E_clISt17integral_constantIbLb1EES1I_IbLb0EEEEDaS1E_S1F_EUlS1E_E_NS1_11comp_targetILNS1_3genE8ELNS1_11target_archE1030ELNS1_3gpuE2ELNS1_3repE0EEENS1_30default_config_static_selectorELNS0_4arch9wavefront6targetE0EEEvT1_
; %bb.0:
	.section	.rodata,"a",@progbits
	.p2align	6, 0x0
	.amdhsa_kernel _ZN7rocprim17ROCPRIM_400000_NS6detail17trampoline_kernelINS0_14default_configENS1_25partition_config_selectorILNS1_17partition_subalgoE6EN6thrust23THRUST_200600_302600_NS5tupleIxxNS7_9null_typeES9_S9_S9_S9_S9_S9_S9_EENS0_10empty_typeEbEEZZNS1_14partition_implILS5_6ELb0ES3_mNS7_12zip_iteratorINS8_INS7_6detail15normal_iteratorINS7_10device_ptrIxEEEESJ_S9_S9_S9_S9_S9_S9_S9_S9_EEEEPSB_SM_NS0_5tupleIJNSE_INS8_ISJ_NS7_16discard_iteratorINS7_11use_defaultEEES9_S9_S9_S9_S9_S9_S9_S9_EEEESB_EEENSN_IJSM_SM_EEESB_PlJNSF_9not_fun_tINSF_14equal_to_valueISA_EEEEEEE10hipError_tPvRmT3_T4_T5_T6_T7_T9_mT8_P12ihipStream_tbDpT10_ENKUlT_T0_E_clISt17integral_constantIbLb1EES1I_IbLb0EEEEDaS1E_S1F_EUlS1E_E_NS1_11comp_targetILNS1_3genE8ELNS1_11target_archE1030ELNS1_3gpuE2ELNS1_3repE0EEENS1_30default_config_static_selectorELNS0_4arch9wavefront6targetE0EEEvT1_
		.amdhsa_group_segment_fixed_size 0
		.amdhsa_private_segment_fixed_size 0
		.amdhsa_kernarg_size 152
		.amdhsa_user_sgpr_count 2
		.amdhsa_user_sgpr_dispatch_ptr 0
		.amdhsa_user_sgpr_queue_ptr 0
		.amdhsa_user_sgpr_kernarg_segment_ptr 1
		.amdhsa_user_sgpr_dispatch_id 0
		.amdhsa_user_sgpr_private_segment_size 0
		.amdhsa_wavefront_size32 1
		.amdhsa_uses_dynamic_stack 0
		.amdhsa_enable_private_segment 0
		.amdhsa_system_sgpr_workgroup_id_x 1
		.amdhsa_system_sgpr_workgroup_id_y 0
		.amdhsa_system_sgpr_workgroup_id_z 0
		.amdhsa_system_sgpr_workgroup_info 0
		.amdhsa_system_vgpr_workitem_id 0
		.amdhsa_next_free_vgpr 1
		.amdhsa_next_free_sgpr 1
		.amdhsa_reserve_vcc 0
		.amdhsa_float_round_mode_32 0
		.amdhsa_float_round_mode_16_64 0
		.amdhsa_float_denorm_mode_32 3
		.amdhsa_float_denorm_mode_16_64 3
		.amdhsa_fp16_overflow 0
		.amdhsa_workgroup_processor_mode 1
		.amdhsa_memory_ordered 1
		.amdhsa_forward_progress 1
		.amdhsa_inst_pref_size 0
		.amdhsa_round_robin_scheduling 0
		.amdhsa_exception_fp_ieee_invalid_op 0
		.amdhsa_exception_fp_denorm_src 0
		.amdhsa_exception_fp_ieee_div_zero 0
		.amdhsa_exception_fp_ieee_overflow 0
		.amdhsa_exception_fp_ieee_underflow 0
		.amdhsa_exception_fp_ieee_inexact 0
		.amdhsa_exception_int_div_zero 0
	.end_amdhsa_kernel
	.section	.text._ZN7rocprim17ROCPRIM_400000_NS6detail17trampoline_kernelINS0_14default_configENS1_25partition_config_selectorILNS1_17partition_subalgoE6EN6thrust23THRUST_200600_302600_NS5tupleIxxNS7_9null_typeES9_S9_S9_S9_S9_S9_S9_EENS0_10empty_typeEbEEZZNS1_14partition_implILS5_6ELb0ES3_mNS7_12zip_iteratorINS8_INS7_6detail15normal_iteratorINS7_10device_ptrIxEEEESJ_S9_S9_S9_S9_S9_S9_S9_S9_EEEEPSB_SM_NS0_5tupleIJNSE_INS8_ISJ_NS7_16discard_iteratorINS7_11use_defaultEEES9_S9_S9_S9_S9_S9_S9_S9_EEEESB_EEENSN_IJSM_SM_EEESB_PlJNSF_9not_fun_tINSF_14equal_to_valueISA_EEEEEEE10hipError_tPvRmT3_T4_T5_T6_T7_T9_mT8_P12ihipStream_tbDpT10_ENKUlT_T0_E_clISt17integral_constantIbLb1EES1I_IbLb0EEEEDaS1E_S1F_EUlS1E_E_NS1_11comp_targetILNS1_3genE8ELNS1_11target_archE1030ELNS1_3gpuE2ELNS1_3repE0EEENS1_30default_config_static_selectorELNS0_4arch9wavefront6targetE0EEEvT1_,"axG",@progbits,_ZN7rocprim17ROCPRIM_400000_NS6detail17trampoline_kernelINS0_14default_configENS1_25partition_config_selectorILNS1_17partition_subalgoE6EN6thrust23THRUST_200600_302600_NS5tupleIxxNS7_9null_typeES9_S9_S9_S9_S9_S9_S9_EENS0_10empty_typeEbEEZZNS1_14partition_implILS5_6ELb0ES3_mNS7_12zip_iteratorINS8_INS7_6detail15normal_iteratorINS7_10device_ptrIxEEEESJ_S9_S9_S9_S9_S9_S9_S9_S9_EEEEPSB_SM_NS0_5tupleIJNSE_INS8_ISJ_NS7_16discard_iteratorINS7_11use_defaultEEES9_S9_S9_S9_S9_S9_S9_S9_EEEESB_EEENSN_IJSM_SM_EEESB_PlJNSF_9not_fun_tINSF_14equal_to_valueISA_EEEEEEE10hipError_tPvRmT3_T4_T5_T6_T7_T9_mT8_P12ihipStream_tbDpT10_ENKUlT_T0_E_clISt17integral_constantIbLb1EES1I_IbLb0EEEEDaS1E_S1F_EUlS1E_E_NS1_11comp_targetILNS1_3genE8ELNS1_11target_archE1030ELNS1_3gpuE2ELNS1_3repE0EEENS1_30default_config_static_selectorELNS0_4arch9wavefront6targetE0EEEvT1_,comdat
.Lfunc_end2004:
	.size	_ZN7rocprim17ROCPRIM_400000_NS6detail17trampoline_kernelINS0_14default_configENS1_25partition_config_selectorILNS1_17partition_subalgoE6EN6thrust23THRUST_200600_302600_NS5tupleIxxNS7_9null_typeES9_S9_S9_S9_S9_S9_S9_EENS0_10empty_typeEbEEZZNS1_14partition_implILS5_6ELb0ES3_mNS7_12zip_iteratorINS8_INS7_6detail15normal_iteratorINS7_10device_ptrIxEEEESJ_S9_S9_S9_S9_S9_S9_S9_S9_EEEEPSB_SM_NS0_5tupleIJNSE_INS8_ISJ_NS7_16discard_iteratorINS7_11use_defaultEEES9_S9_S9_S9_S9_S9_S9_S9_EEEESB_EEENSN_IJSM_SM_EEESB_PlJNSF_9not_fun_tINSF_14equal_to_valueISA_EEEEEEE10hipError_tPvRmT3_T4_T5_T6_T7_T9_mT8_P12ihipStream_tbDpT10_ENKUlT_T0_E_clISt17integral_constantIbLb1EES1I_IbLb0EEEEDaS1E_S1F_EUlS1E_E_NS1_11comp_targetILNS1_3genE8ELNS1_11target_archE1030ELNS1_3gpuE2ELNS1_3repE0EEENS1_30default_config_static_selectorELNS0_4arch9wavefront6targetE0EEEvT1_, .Lfunc_end2004-_ZN7rocprim17ROCPRIM_400000_NS6detail17trampoline_kernelINS0_14default_configENS1_25partition_config_selectorILNS1_17partition_subalgoE6EN6thrust23THRUST_200600_302600_NS5tupleIxxNS7_9null_typeES9_S9_S9_S9_S9_S9_S9_EENS0_10empty_typeEbEEZZNS1_14partition_implILS5_6ELb0ES3_mNS7_12zip_iteratorINS8_INS7_6detail15normal_iteratorINS7_10device_ptrIxEEEESJ_S9_S9_S9_S9_S9_S9_S9_S9_EEEEPSB_SM_NS0_5tupleIJNSE_INS8_ISJ_NS7_16discard_iteratorINS7_11use_defaultEEES9_S9_S9_S9_S9_S9_S9_S9_EEEESB_EEENSN_IJSM_SM_EEESB_PlJNSF_9not_fun_tINSF_14equal_to_valueISA_EEEEEEE10hipError_tPvRmT3_T4_T5_T6_T7_T9_mT8_P12ihipStream_tbDpT10_ENKUlT_T0_E_clISt17integral_constantIbLb1EES1I_IbLb0EEEEDaS1E_S1F_EUlS1E_E_NS1_11comp_targetILNS1_3genE8ELNS1_11target_archE1030ELNS1_3gpuE2ELNS1_3repE0EEENS1_30default_config_static_selectorELNS0_4arch9wavefront6targetE0EEEvT1_
                                        ; -- End function
	.set _ZN7rocprim17ROCPRIM_400000_NS6detail17trampoline_kernelINS0_14default_configENS1_25partition_config_selectorILNS1_17partition_subalgoE6EN6thrust23THRUST_200600_302600_NS5tupleIxxNS7_9null_typeES9_S9_S9_S9_S9_S9_S9_EENS0_10empty_typeEbEEZZNS1_14partition_implILS5_6ELb0ES3_mNS7_12zip_iteratorINS8_INS7_6detail15normal_iteratorINS7_10device_ptrIxEEEESJ_S9_S9_S9_S9_S9_S9_S9_S9_EEEEPSB_SM_NS0_5tupleIJNSE_INS8_ISJ_NS7_16discard_iteratorINS7_11use_defaultEEES9_S9_S9_S9_S9_S9_S9_S9_EEEESB_EEENSN_IJSM_SM_EEESB_PlJNSF_9not_fun_tINSF_14equal_to_valueISA_EEEEEEE10hipError_tPvRmT3_T4_T5_T6_T7_T9_mT8_P12ihipStream_tbDpT10_ENKUlT_T0_E_clISt17integral_constantIbLb1EES1I_IbLb0EEEEDaS1E_S1F_EUlS1E_E_NS1_11comp_targetILNS1_3genE8ELNS1_11target_archE1030ELNS1_3gpuE2ELNS1_3repE0EEENS1_30default_config_static_selectorELNS0_4arch9wavefront6targetE0EEEvT1_.num_vgpr, 0
	.set _ZN7rocprim17ROCPRIM_400000_NS6detail17trampoline_kernelINS0_14default_configENS1_25partition_config_selectorILNS1_17partition_subalgoE6EN6thrust23THRUST_200600_302600_NS5tupleIxxNS7_9null_typeES9_S9_S9_S9_S9_S9_S9_EENS0_10empty_typeEbEEZZNS1_14partition_implILS5_6ELb0ES3_mNS7_12zip_iteratorINS8_INS7_6detail15normal_iteratorINS7_10device_ptrIxEEEESJ_S9_S9_S9_S9_S9_S9_S9_S9_EEEEPSB_SM_NS0_5tupleIJNSE_INS8_ISJ_NS7_16discard_iteratorINS7_11use_defaultEEES9_S9_S9_S9_S9_S9_S9_S9_EEEESB_EEENSN_IJSM_SM_EEESB_PlJNSF_9not_fun_tINSF_14equal_to_valueISA_EEEEEEE10hipError_tPvRmT3_T4_T5_T6_T7_T9_mT8_P12ihipStream_tbDpT10_ENKUlT_T0_E_clISt17integral_constantIbLb1EES1I_IbLb0EEEEDaS1E_S1F_EUlS1E_E_NS1_11comp_targetILNS1_3genE8ELNS1_11target_archE1030ELNS1_3gpuE2ELNS1_3repE0EEENS1_30default_config_static_selectorELNS0_4arch9wavefront6targetE0EEEvT1_.num_agpr, 0
	.set _ZN7rocprim17ROCPRIM_400000_NS6detail17trampoline_kernelINS0_14default_configENS1_25partition_config_selectorILNS1_17partition_subalgoE6EN6thrust23THRUST_200600_302600_NS5tupleIxxNS7_9null_typeES9_S9_S9_S9_S9_S9_S9_EENS0_10empty_typeEbEEZZNS1_14partition_implILS5_6ELb0ES3_mNS7_12zip_iteratorINS8_INS7_6detail15normal_iteratorINS7_10device_ptrIxEEEESJ_S9_S9_S9_S9_S9_S9_S9_S9_EEEEPSB_SM_NS0_5tupleIJNSE_INS8_ISJ_NS7_16discard_iteratorINS7_11use_defaultEEES9_S9_S9_S9_S9_S9_S9_S9_EEEESB_EEENSN_IJSM_SM_EEESB_PlJNSF_9not_fun_tINSF_14equal_to_valueISA_EEEEEEE10hipError_tPvRmT3_T4_T5_T6_T7_T9_mT8_P12ihipStream_tbDpT10_ENKUlT_T0_E_clISt17integral_constantIbLb1EES1I_IbLb0EEEEDaS1E_S1F_EUlS1E_E_NS1_11comp_targetILNS1_3genE8ELNS1_11target_archE1030ELNS1_3gpuE2ELNS1_3repE0EEENS1_30default_config_static_selectorELNS0_4arch9wavefront6targetE0EEEvT1_.numbered_sgpr, 0
	.set _ZN7rocprim17ROCPRIM_400000_NS6detail17trampoline_kernelINS0_14default_configENS1_25partition_config_selectorILNS1_17partition_subalgoE6EN6thrust23THRUST_200600_302600_NS5tupleIxxNS7_9null_typeES9_S9_S9_S9_S9_S9_S9_EENS0_10empty_typeEbEEZZNS1_14partition_implILS5_6ELb0ES3_mNS7_12zip_iteratorINS8_INS7_6detail15normal_iteratorINS7_10device_ptrIxEEEESJ_S9_S9_S9_S9_S9_S9_S9_S9_EEEEPSB_SM_NS0_5tupleIJNSE_INS8_ISJ_NS7_16discard_iteratorINS7_11use_defaultEEES9_S9_S9_S9_S9_S9_S9_S9_EEEESB_EEENSN_IJSM_SM_EEESB_PlJNSF_9not_fun_tINSF_14equal_to_valueISA_EEEEEEE10hipError_tPvRmT3_T4_T5_T6_T7_T9_mT8_P12ihipStream_tbDpT10_ENKUlT_T0_E_clISt17integral_constantIbLb1EES1I_IbLb0EEEEDaS1E_S1F_EUlS1E_E_NS1_11comp_targetILNS1_3genE8ELNS1_11target_archE1030ELNS1_3gpuE2ELNS1_3repE0EEENS1_30default_config_static_selectorELNS0_4arch9wavefront6targetE0EEEvT1_.num_named_barrier, 0
	.set _ZN7rocprim17ROCPRIM_400000_NS6detail17trampoline_kernelINS0_14default_configENS1_25partition_config_selectorILNS1_17partition_subalgoE6EN6thrust23THRUST_200600_302600_NS5tupleIxxNS7_9null_typeES9_S9_S9_S9_S9_S9_S9_EENS0_10empty_typeEbEEZZNS1_14partition_implILS5_6ELb0ES3_mNS7_12zip_iteratorINS8_INS7_6detail15normal_iteratorINS7_10device_ptrIxEEEESJ_S9_S9_S9_S9_S9_S9_S9_S9_EEEEPSB_SM_NS0_5tupleIJNSE_INS8_ISJ_NS7_16discard_iteratorINS7_11use_defaultEEES9_S9_S9_S9_S9_S9_S9_S9_EEEESB_EEENSN_IJSM_SM_EEESB_PlJNSF_9not_fun_tINSF_14equal_to_valueISA_EEEEEEE10hipError_tPvRmT3_T4_T5_T6_T7_T9_mT8_P12ihipStream_tbDpT10_ENKUlT_T0_E_clISt17integral_constantIbLb1EES1I_IbLb0EEEEDaS1E_S1F_EUlS1E_E_NS1_11comp_targetILNS1_3genE8ELNS1_11target_archE1030ELNS1_3gpuE2ELNS1_3repE0EEENS1_30default_config_static_selectorELNS0_4arch9wavefront6targetE0EEEvT1_.private_seg_size, 0
	.set _ZN7rocprim17ROCPRIM_400000_NS6detail17trampoline_kernelINS0_14default_configENS1_25partition_config_selectorILNS1_17partition_subalgoE6EN6thrust23THRUST_200600_302600_NS5tupleIxxNS7_9null_typeES9_S9_S9_S9_S9_S9_S9_EENS0_10empty_typeEbEEZZNS1_14partition_implILS5_6ELb0ES3_mNS7_12zip_iteratorINS8_INS7_6detail15normal_iteratorINS7_10device_ptrIxEEEESJ_S9_S9_S9_S9_S9_S9_S9_S9_EEEEPSB_SM_NS0_5tupleIJNSE_INS8_ISJ_NS7_16discard_iteratorINS7_11use_defaultEEES9_S9_S9_S9_S9_S9_S9_S9_EEEESB_EEENSN_IJSM_SM_EEESB_PlJNSF_9not_fun_tINSF_14equal_to_valueISA_EEEEEEE10hipError_tPvRmT3_T4_T5_T6_T7_T9_mT8_P12ihipStream_tbDpT10_ENKUlT_T0_E_clISt17integral_constantIbLb1EES1I_IbLb0EEEEDaS1E_S1F_EUlS1E_E_NS1_11comp_targetILNS1_3genE8ELNS1_11target_archE1030ELNS1_3gpuE2ELNS1_3repE0EEENS1_30default_config_static_selectorELNS0_4arch9wavefront6targetE0EEEvT1_.uses_vcc, 0
	.set _ZN7rocprim17ROCPRIM_400000_NS6detail17trampoline_kernelINS0_14default_configENS1_25partition_config_selectorILNS1_17partition_subalgoE6EN6thrust23THRUST_200600_302600_NS5tupleIxxNS7_9null_typeES9_S9_S9_S9_S9_S9_S9_EENS0_10empty_typeEbEEZZNS1_14partition_implILS5_6ELb0ES3_mNS7_12zip_iteratorINS8_INS7_6detail15normal_iteratorINS7_10device_ptrIxEEEESJ_S9_S9_S9_S9_S9_S9_S9_S9_EEEEPSB_SM_NS0_5tupleIJNSE_INS8_ISJ_NS7_16discard_iteratorINS7_11use_defaultEEES9_S9_S9_S9_S9_S9_S9_S9_EEEESB_EEENSN_IJSM_SM_EEESB_PlJNSF_9not_fun_tINSF_14equal_to_valueISA_EEEEEEE10hipError_tPvRmT3_T4_T5_T6_T7_T9_mT8_P12ihipStream_tbDpT10_ENKUlT_T0_E_clISt17integral_constantIbLb1EES1I_IbLb0EEEEDaS1E_S1F_EUlS1E_E_NS1_11comp_targetILNS1_3genE8ELNS1_11target_archE1030ELNS1_3gpuE2ELNS1_3repE0EEENS1_30default_config_static_selectorELNS0_4arch9wavefront6targetE0EEEvT1_.uses_flat_scratch, 0
	.set _ZN7rocprim17ROCPRIM_400000_NS6detail17trampoline_kernelINS0_14default_configENS1_25partition_config_selectorILNS1_17partition_subalgoE6EN6thrust23THRUST_200600_302600_NS5tupleIxxNS7_9null_typeES9_S9_S9_S9_S9_S9_S9_EENS0_10empty_typeEbEEZZNS1_14partition_implILS5_6ELb0ES3_mNS7_12zip_iteratorINS8_INS7_6detail15normal_iteratorINS7_10device_ptrIxEEEESJ_S9_S9_S9_S9_S9_S9_S9_S9_EEEEPSB_SM_NS0_5tupleIJNSE_INS8_ISJ_NS7_16discard_iteratorINS7_11use_defaultEEES9_S9_S9_S9_S9_S9_S9_S9_EEEESB_EEENSN_IJSM_SM_EEESB_PlJNSF_9not_fun_tINSF_14equal_to_valueISA_EEEEEEE10hipError_tPvRmT3_T4_T5_T6_T7_T9_mT8_P12ihipStream_tbDpT10_ENKUlT_T0_E_clISt17integral_constantIbLb1EES1I_IbLb0EEEEDaS1E_S1F_EUlS1E_E_NS1_11comp_targetILNS1_3genE8ELNS1_11target_archE1030ELNS1_3gpuE2ELNS1_3repE0EEENS1_30default_config_static_selectorELNS0_4arch9wavefront6targetE0EEEvT1_.has_dyn_sized_stack, 0
	.set _ZN7rocprim17ROCPRIM_400000_NS6detail17trampoline_kernelINS0_14default_configENS1_25partition_config_selectorILNS1_17partition_subalgoE6EN6thrust23THRUST_200600_302600_NS5tupleIxxNS7_9null_typeES9_S9_S9_S9_S9_S9_S9_EENS0_10empty_typeEbEEZZNS1_14partition_implILS5_6ELb0ES3_mNS7_12zip_iteratorINS8_INS7_6detail15normal_iteratorINS7_10device_ptrIxEEEESJ_S9_S9_S9_S9_S9_S9_S9_S9_EEEEPSB_SM_NS0_5tupleIJNSE_INS8_ISJ_NS7_16discard_iteratorINS7_11use_defaultEEES9_S9_S9_S9_S9_S9_S9_S9_EEEESB_EEENSN_IJSM_SM_EEESB_PlJNSF_9not_fun_tINSF_14equal_to_valueISA_EEEEEEE10hipError_tPvRmT3_T4_T5_T6_T7_T9_mT8_P12ihipStream_tbDpT10_ENKUlT_T0_E_clISt17integral_constantIbLb1EES1I_IbLb0EEEEDaS1E_S1F_EUlS1E_E_NS1_11comp_targetILNS1_3genE8ELNS1_11target_archE1030ELNS1_3gpuE2ELNS1_3repE0EEENS1_30default_config_static_selectorELNS0_4arch9wavefront6targetE0EEEvT1_.has_recursion, 0
	.set _ZN7rocprim17ROCPRIM_400000_NS6detail17trampoline_kernelINS0_14default_configENS1_25partition_config_selectorILNS1_17partition_subalgoE6EN6thrust23THRUST_200600_302600_NS5tupleIxxNS7_9null_typeES9_S9_S9_S9_S9_S9_S9_EENS0_10empty_typeEbEEZZNS1_14partition_implILS5_6ELb0ES3_mNS7_12zip_iteratorINS8_INS7_6detail15normal_iteratorINS7_10device_ptrIxEEEESJ_S9_S9_S9_S9_S9_S9_S9_S9_EEEEPSB_SM_NS0_5tupleIJNSE_INS8_ISJ_NS7_16discard_iteratorINS7_11use_defaultEEES9_S9_S9_S9_S9_S9_S9_S9_EEEESB_EEENSN_IJSM_SM_EEESB_PlJNSF_9not_fun_tINSF_14equal_to_valueISA_EEEEEEE10hipError_tPvRmT3_T4_T5_T6_T7_T9_mT8_P12ihipStream_tbDpT10_ENKUlT_T0_E_clISt17integral_constantIbLb1EES1I_IbLb0EEEEDaS1E_S1F_EUlS1E_E_NS1_11comp_targetILNS1_3genE8ELNS1_11target_archE1030ELNS1_3gpuE2ELNS1_3repE0EEENS1_30default_config_static_selectorELNS0_4arch9wavefront6targetE0EEEvT1_.has_indirect_call, 0
	.section	.AMDGPU.csdata,"",@progbits
; Kernel info:
; codeLenInByte = 0
; TotalNumSgprs: 0
; NumVgprs: 0
; ScratchSize: 0
; MemoryBound: 0
; FloatMode: 240
; IeeeMode: 1
; LDSByteSize: 0 bytes/workgroup (compile time only)
; SGPRBlocks: 0
; VGPRBlocks: 0
; NumSGPRsForWavesPerEU: 1
; NumVGPRsForWavesPerEU: 1
; Occupancy: 16
; WaveLimiterHint : 0
; COMPUTE_PGM_RSRC2:SCRATCH_EN: 0
; COMPUTE_PGM_RSRC2:USER_SGPR: 2
; COMPUTE_PGM_RSRC2:TRAP_HANDLER: 0
; COMPUTE_PGM_RSRC2:TGID_X_EN: 1
; COMPUTE_PGM_RSRC2:TGID_Y_EN: 0
; COMPUTE_PGM_RSRC2:TGID_Z_EN: 0
; COMPUTE_PGM_RSRC2:TIDIG_COMP_CNT: 0
	.section	.text._ZN7rocprim17ROCPRIM_400000_NS6detail17trampoline_kernelINS0_14default_configENS1_25partition_config_selectorILNS1_17partition_subalgoE6EN6thrust23THRUST_200600_302600_NS5tupleIxxNS7_9null_typeES9_S9_S9_S9_S9_S9_S9_EENS0_10empty_typeEbEEZZNS1_14partition_implILS5_6ELb0ES3_mNS7_12zip_iteratorINS8_INS7_6detail15normal_iteratorINS7_10device_ptrIxEEEESJ_S9_S9_S9_S9_S9_S9_S9_S9_EEEEPSB_SM_NS0_5tupleIJNSE_INS8_ISJ_NS7_16discard_iteratorINS7_11use_defaultEEES9_S9_S9_S9_S9_S9_S9_S9_EEEESB_EEENSN_IJSM_SM_EEESB_PlJNSF_9not_fun_tINSF_14equal_to_valueISA_EEEEEEE10hipError_tPvRmT3_T4_T5_T6_T7_T9_mT8_P12ihipStream_tbDpT10_ENKUlT_T0_E_clISt17integral_constantIbLb0EES1I_IbLb1EEEEDaS1E_S1F_EUlS1E_E_NS1_11comp_targetILNS1_3genE0ELNS1_11target_archE4294967295ELNS1_3gpuE0ELNS1_3repE0EEENS1_30default_config_static_selectorELNS0_4arch9wavefront6targetE0EEEvT1_,"axG",@progbits,_ZN7rocprim17ROCPRIM_400000_NS6detail17trampoline_kernelINS0_14default_configENS1_25partition_config_selectorILNS1_17partition_subalgoE6EN6thrust23THRUST_200600_302600_NS5tupleIxxNS7_9null_typeES9_S9_S9_S9_S9_S9_S9_EENS0_10empty_typeEbEEZZNS1_14partition_implILS5_6ELb0ES3_mNS7_12zip_iteratorINS8_INS7_6detail15normal_iteratorINS7_10device_ptrIxEEEESJ_S9_S9_S9_S9_S9_S9_S9_S9_EEEEPSB_SM_NS0_5tupleIJNSE_INS8_ISJ_NS7_16discard_iteratorINS7_11use_defaultEEES9_S9_S9_S9_S9_S9_S9_S9_EEEESB_EEENSN_IJSM_SM_EEESB_PlJNSF_9not_fun_tINSF_14equal_to_valueISA_EEEEEEE10hipError_tPvRmT3_T4_T5_T6_T7_T9_mT8_P12ihipStream_tbDpT10_ENKUlT_T0_E_clISt17integral_constantIbLb0EES1I_IbLb1EEEEDaS1E_S1F_EUlS1E_E_NS1_11comp_targetILNS1_3genE0ELNS1_11target_archE4294967295ELNS1_3gpuE0ELNS1_3repE0EEENS1_30default_config_static_selectorELNS0_4arch9wavefront6targetE0EEEvT1_,comdat
	.protected	_ZN7rocprim17ROCPRIM_400000_NS6detail17trampoline_kernelINS0_14default_configENS1_25partition_config_selectorILNS1_17partition_subalgoE6EN6thrust23THRUST_200600_302600_NS5tupleIxxNS7_9null_typeES9_S9_S9_S9_S9_S9_S9_EENS0_10empty_typeEbEEZZNS1_14partition_implILS5_6ELb0ES3_mNS7_12zip_iteratorINS8_INS7_6detail15normal_iteratorINS7_10device_ptrIxEEEESJ_S9_S9_S9_S9_S9_S9_S9_S9_EEEEPSB_SM_NS0_5tupleIJNSE_INS8_ISJ_NS7_16discard_iteratorINS7_11use_defaultEEES9_S9_S9_S9_S9_S9_S9_S9_EEEESB_EEENSN_IJSM_SM_EEESB_PlJNSF_9not_fun_tINSF_14equal_to_valueISA_EEEEEEE10hipError_tPvRmT3_T4_T5_T6_T7_T9_mT8_P12ihipStream_tbDpT10_ENKUlT_T0_E_clISt17integral_constantIbLb0EES1I_IbLb1EEEEDaS1E_S1F_EUlS1E_E_NS1_11comp_targetILNS1_3genE0ELNS1_11target_archE4294967295ELNS1_3gpuE0ELNS1_3repE0EEENS1_30default_config_static_selectorELNS0_4arch9wavefront6targetE0EEEvT1_ ; -- Begin function _ZN7rocprim17ROCPRIM_400000_NS6detail17trampoline_kernelINS0_14default_configENS1_25partition_config_selectorILNS1_17partition_subalgoE6EN6thrust23THRUST_200600_302600_NS5tupleIxxNS7_9null_typeES9_S9_S9_S9_S9_S9_S9_EENS0_10empty_typeEbEEZZNS1_14partition_implILS5_6ELb0ES3_mNS7_12zip_iteratorINS8_INS7_6detail15normal_iteratorINS7_10device_ptrIxEEEESJ_S9_S9_S9_S9_S9_S9_S9_S9_EEEEPSB_SM_NS0_5tupleIJNSE_INS8_ISJ_NS7_16discard_iteratorINS7_11use_defaultEEES9_S9_S9_S9_S9_S9_S9_S9_EEEESB_EEENSN_IJSM_SM_EEESB_PlJNSF_9not_fun_tINSF_14equal_to_valueISA_EEEEEEE10hipError_tPvRmT3_T4_T5_T6_T7_T9_mT8_P12ihipStream_tbDpT10_ENKUlT_T0_E_clISt17integral_constantIbLb0EES1I_IbLb1EEEEDaS1E_S1F_EUlS1E_E_NS1_11comp_targetILNS1_3genE0ELNS1_11target_archE4294967295ELNS1_3gpuE0ELNS1_3repE0EEENS1_30default_config_static_selectorELNS0_4arch9wavefront6targetE0EEEvT1_
	.globl	_ZN7rocprim17ROCPRIM_400000_NS6detail17trampoline_kernelINS0_14default_configENS1_25partition_config_selectorILNS1_17partition_subalgoE6EN6thrust23THRUST_200600_302600_NS5tupleIxxNS7_9null_typeES9_S9_S9_S9_S9_S9_S9_EENS0_10empty_typeEbEEZZNS1_14partition_implILS5_6ELb0ES3_mNS7_12zip_iteratorINS8_INS7_6detail15normal_iteratorINS7_10device_ptrIxEEEESJ_S9_S9_S9_S9_S9_S9_S9_S9_EEEEPSB_SM_NS0_5tupleIJNSE_INS8_ISJ_NS7_16discard_iteratorINS7_11use_defaultEEES9_S9_S9_S9_S9_S9_S9_S9_EEEESB_EEENSN_IJSM_SM_EEESB_PlJNSF_9not_fun_tINSF_14equal_to_valueISA_EEEEEEE10hipError_tPvRmT3_T4_T5_T6_T7_T9_mT8_P12ihipStream_tbDpT10_ENKUlT_T0_E_clISt17integral_constantIbLb0EES1I_IbLb1EEEEDaS1E_S1F_EUlS1E_E_NS1_11comp_targetILNS1_3genE0ELNS1_11target_archE4294967295ELNS1_3gpuE0ELNS1_3repE0EEENS1_30default_config_static_selectorELNS0_4arch9wavefront6targetE0EEEvT1_
	.p2align	8
	.type	_ZN7rocprim17ROCPRIM_400000_NS6detail17trampoline_kernelINS0_14default_configENS1_25partition_config_selectorILNS1_17partition_subalgoE6EN6thrust23THRUST_200600_302600_NS5tupleIxxNS7_9null_typeES9_S9_S9_S9_S9_S9_S9_EENS0_10empty_typeEbEEZZNS1_14partition_implILS5_6ELb0ES3_mNS7_12zip_iteratorINS8_INS7_6detail15normal_iteratorINS7_10device_ptrIxEEEESJ_S9_S9_S9_S9_S9_S9_S9_S9_EEEEPSB_SM_NS0_5tupleIJNSE_INS8_ISJ_NS7_16discard_iteratorINS7_11use_defaultEEES9_S9_S9_S9_S9_S9_S9_S9_EEEESB_EEENSN_IJSM_SM_EEESB_PlJNSF_9not_fun_tINSF_14equal_to_valueISA_EEEEEEE10hipError_tPvRmT3_T4_T5_T6_T7_T9_mT8_P12ihipStream_tbDpT10_ENKUlT_T0_E_clISt17integral_constantIbLb0EES1I_IbLb1EEEEDaS1E_S1F_EUlS1E_E_NS1_11comp_targetILNS1_3genE0ELNS1_11target_archE4294967295ELNS1_3gpuE0ELNS1_3repE0EEENS1_30default_config_static_selectorELNS0_4arch9wavefront6targetE0EEEvT1_,@function
_ZN7rocprim17ROCPRIM_400000_NS6detail17trampoline_kernelINS0_14default_configENS1_25partition_config_selectorILNS1_17partition_subalgoE6EN6thrust23THRUST_200600_302600_NS5tupleIxxNS7_9null_typeES9_S9_S9_S9_S9_S9_S9_EENS0_10empty_typeEbEEZZNS1_14partition_implILS5_6ELb0ES3_mNS7_12zip_iteratorINS8_INS7_6detail15normal_iteratorINS7_10device_ptrIxEEEESJ_S9_S9_S9_S9_S9_S9_S9_S9_EEEEPSB_SM_NS0_5tupleIJNSE_INS8_ISJ_NS7_16discard_iteratorINS7_11use_defaultEEES9_S9_S9_S9_S9_S9_S9_S9_EEEESB_EEENSN_IJSM_SM_EEESB_PlJNSF_9not_fun_tINSF_14equal_to_valueISA_EEEEEEE10hipError_tPvRmT3_T4_T5_T6_T7_T9_mT8_P12ihipStream_tbDpT10_ENKUlT_T0_E_clISt17integral_constantIbLb0EES1I_IbLb1EEEEDaS1E_S1F_EUlS1E_E_NS1_11comp_targetILNS1_3genE0ELNS1_11target_archE4294967295ELNS1_3gpuE0ELNS1_3repE0EEENS1_30default_config_static_selectorELNS0_4arch9wavefront6targetE0EEEvT1_: ; @_ZN7rocprim17ROCPRIM_400000_NS6detail17trampoline_kernelINS0_14default_configENS1_25partition_config_selectorILNS1_17partition_subalgoE6EN6thrust23THRUST_200600_302600_NS5tupleIxxNS7_9null_typeES9_S9_S9_S9_S9_S9_S9_EENS0_10empty_typeEbEEZZNS1_14partition_implILS5_6ELb0ES3_mNS7_12zip_iteratorINS8_INS7_6detail15normal_iteratorINS7_10device_ptrIxEEEESJ_S9_S9_S9_S9_S9_S9_S9_S9_EEEEPSB_SM_NS0_5tupleIJNSE_INS8_ISJ_NS7_16discard_iteratorINS7_11use_defaultEEES9_S9_S9_S9_S9_S9_S9_S9_EEEESB_EEENSN_IJSM_SM_EEESB_PlJNSF_9not_fun_tINSF_14equal_to_valueISA_EEEEEEE10hipError_tPvRmT3_T4_T5_T6_T7_T9_mT8_P12ihipStream_tbDpT10_ENKUlT_T0_E_clISt17integral_constantIbLb0EES1I_IbLb1EEEEDaS1E_S1F_EUlS1E_E_NS1_11comp_targetILNS1_3genE0ELNS1_11target_archE4294967295ELNS1_3gpuE0ELNS1_3repE0EEENS1_30default_config_static_selectorELNS0_4arch9wavefront6targetE0EEEvT1_
; %bb.0:
	.section	.rodata,"a",@progbits
	.p2align	6, 0x0
	.amdhsa_kernel _ZN7rocprim17ROCPRIM_400000_NS6detail17trampoline_kernelINS0_14default_configENS1_25partition_config_selectorILNS1_17partition_subalgoE6EN6thrust23THRUST_200600_302600_NS5tupleIxxNS7_9null_typeES9_S9_S9_S9_S9_S9_S9_EENS0_10empty_typeEbEEZZNS1_14partition_implILS5_6ELb0ES3_mNS7_12zip_iteratorINS8_INS7_6detail15normal_iteratorINS7_10device_ptrIxEEEESJ_S9_S9_S9_S9_S9_S9_S9_S9_EEEEPSB_SM_NS0_5tupleIJNSE_INS8_ISJ_NS7_16discard_iteratorINS7_11use_defaultEEES9_S9_S9_S9_S9_S9_S9_S9_EEEESB_EEENSN_IJSM_SM_EEESB_PlJNSF_9not_fun_tINSF_14equal_to_valueISA_EEEEEEE10hipError_tPvRmT3_T4_T5_T6_T7_T9_mT8_P12ihipStream_tbDpT10_ENKUlT_T0_E_clISt17integral_constantIbLb0EES1I_IbLb1EEEEDaS1E_S1F_EUlS1E_E_NS1_11comp_targetILNS1_3genE0ELNS1_11target_archE4294967295ELNS1_3gpuE0ELNS1_3repE0EEENS1_30default_config_static_selectorELNS0_4arch9wavefront6targetE0EEEvT1_
		.amdhsa_group_segment_fixed_size 0
		.amdhsa_private_segment_fixed_size 0
		.amdhsa_kernarg_size 160
		.amdhsa_user_sgpr_count 2
		.amdhsa_user_sgpr_dispatch_ptr 0
		.amdhsa_user_sgpr_queue_ptr 0
		.amdhsa_user_sgpr_kernarg_segment_ptr 1
		.amdhsa_user_sgpr_dispatch_id 0
		.amdhsa_user_sgpr_private_segment_size 0
		.amdhsa_wavefront_size32 1
		.amdhsa_uses_dynamic_stack 0
		.amdhsa_enable_private_segment 0
		.amdhsa_system_sgpr_workgroup_id_x 1
		.amdhsa_system_sgpr_workgroup_id_y 0
		.amdhsa_system_sgpr_workgroup_id_z 0
		.amdhsa_system_sgpr_workgroup_info 0
		.amdhsa_system_vgpr_workitem_id 0
		.amdhsa_next_free_vgpr 1
		.amdhsa_next_free_sgpr 1
		.amdhsa_reserve_vcc 0
		.amdhsa_float_round_mode_32 0
		.amdhsa_float_round_mode_16_64 0
		.amdhsa_float_denorm_mode_32 3
		.amdhsa_float_denorm_mode_16_64 3
		.amdhsa_fp16_overflow 0
		.amdhsa_workgroup_processor_mode 1
		.amdhsa_memory_ordered 1
		.amdhsa_forward_progress 1
		.amdhsa_inst_pref_size 0
		.amdhsa_round_robin_scheduling 0
		.amdhsa_exception_fp_ieee_invalid_op 0
		.amdhsa_exception_fp_denorm_src 0
		.amdhsa_exception_fp_ieee_div_zero 0
		.amdhsa_exception_fp_ieee_overflow 0
		.amdhsa_exception_fp_ieee_underflow 0
		.amdhsa_exception_fp_ieee_inexact 0
		.amdhsa_exception_int_div_zero 0
	.end_amdhsa_kernel
	.section	.text._ZN7rocprim17ROCPRIM_400000_NS6detail17trampoline_kernelINS0_14default_configENS1_25partition_config_selectorILNS1_17partition_subalgoE6EN6thrust23THRUST_200600_302600_NS5tupleIxxNS7_9null_typeES9_S9_S9_S9_S9_S9_S9_EENS0_10empty_typeEbEEZZNS1_14partition_implILS5_6ELb0ES3_mNS7_12zip_iteratorINS8_INS7_6detail15normal_iteratorINS7_10device_ptrIxEEEESJ_S9_S9_S9_S9_S9_S9_S9_S9_EEEEPSB_SM_NS0_5tupleIJNSE_INS8_ISJ_NS7_16discard_iteratorINS7_11use_defaultEEES9_S9_S9_S9_S9_S9_S9_S9_EEEESB_EEENSN_IJSM_SM_EEESB_PlJNSF_9not_fun_tINSF_14equal_to_valueISA_EEEEEEE10hipError_tPvRmT3_T4_T5_T6_T7_T9_mT8_P12ihipStream_tbDpT10_ENKUlT_T0_E_clISt17integral_constantIbLb0EES1I_IbLb1EEEEDaS1E_S1F_EUlS1E_E_NS1_11comp_targetILNS1_3genE0ELNS1_11target_archE4294967295ELNS1_3gpuE0ELNS1_3repE0EEENS1_30default_config_static_selectorELNS0_4arch9wavefront6targetE0EEEvT1_,"axG",@progbits,_ZN7rocprim17ROCPRIM_400000_NS6detail17trampoline_kernelINS0_14default_configENS1_25partition_config_selectorILNS1_17partition_subalgoE6EN6thrust23THRUST_200600_302600_NS5tupleIxxNS7_9null_typeES9_S9_S9_S9_S9_S9_S9_EENS0_10empty_typeEbEEZZNS1_14partition_implILS5_6ELb0ES3_mNS7_12zip_iteratorINS8_INS7_6detail15normal_iteratorINS7_10device_ptrIxEEEESJ_S9_S9_S9_S9_S9_S9_S9_S9_EEEEPSB_SM_NS0_5tupleIJNSE_INS8_ISJ_NS7_16discard_iteratorINS7_11use_defaultEEES9_S9_S9_S9_S9_S9_S9_S9_EEEESB_EEENSN_IJSM_SM_EEESB_PlJNSF_9not_fun_tINSF_14equal_to_valueISA_EEEEEEE10hipError_tPvRmT3_T4_T5_T6_T7_T9_mT8_P12ihipStream_tbDpT10_ENKUlT_T0_E_clISt17integral_constantIbLb0EES1I_IbLb1EEEEDaS1E_S1F_EUlS1E_E_NS1_11comp_targetILNS1_3genE0ELNS1_11target_archE4294967295ELNS1_3gpuE0ELNS1_3repE0EEENS1_30default_config_static_selectorELNS0_4arch9wavefront6targetE0EEEvT1_,comdat
.Lfunc_end2005:
	.size	_ZN7rocprim17ROCPRIM_400000_NS6detail17trampoline_kernelINS0_14default_configENS1_25partition_config_selectorILNS1_17partition_subalgoE6EN6thrust23THRUST_200600_302600_NS5tupleIxxNS7_9null_typeES9_S9_S9_S9_S9_S9_S9_EENS0_10empty_typeEbEEZZNS1_14partition_implILS5_6ELb0ES3_mNS7_12zip_iteratorINS8_INS7_6detail15normal_iteratorINS7_10device_ptrIxEEEESJ_S9_S9_S9_S9_S9_S9_S9_S9_EEEEPSB_SM_NS0_5tupleIJNSE_INS8_ISJ_NS7_16discard_iteratorINS7_11use_defaultEEES9_S9_S9_S9_S9_S9_S9_S9_EEEESB_EEENSN_IJSM_SM_EEESB_PlJNSF_9not_fun_tINSF_14equal_to_valueISA_EEEEEEE10hipError_tPvRmT3_T4_T5_T6_T7_T9_mT8_P12ihipStream_tbDpT10_ENKUlT_T0_E_clISt17integral_constantIbLb0EES1I_IbLb1EEEEDaS1E_S1F_EUlS1E_E_NS1_11comp_targetILNS1_3genE0ELNS1_11target_archE4294967295ELNS1_3gpuE0ELNS1_3repE0EEENS1_30default_config_static_selectorELNS0_4arch9wavefront6targetE0EEEvT1_, .Lfunc_end2005-_ZN7rocprim17ROCPRIM_400000_NS6detail17trampoline_kernelINS0_14default_configENS1_25partition_config_selectorILNS1_17partition_subalgoE6EN6thrust23THRUST_200600_302600_NS5tupleIxxNS7_9null_typeES9_S9_S9_S9_S9_S9_S9_EENS0_10empty_typeEbEEZZNS1_14partition_implILS5_6ELb0ES3_mNS7_12zip_iteratorINS8_INS7_6detail15normal_iteratorINS7_10device_ptrIxEEEESJ_S9_S9_S9_S9_S9_S9_S9_S9_EEEEPSB_SM_NS0_5tupleIJNSE_INS8_ISJ_NS7_16discard_iteratorINS7_11use_defaultEEES9_S9_S9_S9_S9_S9_S9_S9_EEEESB_EEENSN_IJSM_SM_EEESB_PlJNSF_9not_fun_tINSF_14equal_to_valueISA_EEEEEEE10hipError_tPvRmT3_T4_T5_T6_T7_T9_mT8_P12ihipStream_tbDpT10_ENKUlT_T0_E_clISt17integral_constantIbLb0EES1I_IbLb1EEEEDaS1E_S1F_EUlS1E_E_NS1_11comp_targetILNS1_3genE0ELNS1_11target_archE4294967295ELNS1_3gpuE0ELNS1_3repE0EEENS1_30default_config_static_selectorELNS0_4arch9wavefront6targetE0EEEvT1_
                                        ; -- End function
	.set _ZN7rocprim17ROCPRIM_400000_NS6detail17trampoline_kernelINS0_14default_configENS1_25partition_config_selectorILNS1_17partition_subalgoE6EN6thrust23THRUST_200600_302600_NS5tupleIxxNS7_9null_typeES9_S9_S9_S9_S9_S9_S9_EENS0_10empty_typeEbEEZZNS1_14partition_implILS5_6ELb0ES3_mNS7_12zip_iteratorINS8_INS7_6detail15normal_iteratorINS7_10device_ptrIxEEEESJ_S9_S9_S9_S9_S9_S9_S9_S9_EEEEPSB_SM_NS0_5tupleIJNSE_INS8_ISJ_NS7_16discard_iteratorINS7_11use_defaultEEES9_S9_S9_S9_S9_S9_S9_S9_EEEESB_EEENSN_IJSM_SM_EEESB_PlJNSF_9not_fun_tINSF_14equal_to_valueISA_EEEEEEE10hipError_tPvRmT3_T4_T5_T6_T7_T9_mT8_P12ihipStream_tbDpT10_ENKUlT_T0_E_clISt17integral_constantIbLb0EES1I_IbLb1EEEEDaS1E_S1F_EUlS1E_E_NS1_11comp_targetILNS1_3genE0ELNS1_11target_archE4294967295ELNS1_3gpuE0ELNS1_3repE0EEENS1_30default_config_static_selectorELNS0_4arch9wavefront6targetE0EEEvT1_.num_vgpr, 0
	.set _ZN7rocprim17ROCPRIM_400000_NS6detail17trampoline_kernelINS0_14default_configENS1_25partition_config_selectorILNS1_17partition_subalgoE6EN6thrust23THRUST_200600_302600_NS5tupleIxxNS7_9null_typeES9_S9_S9_S9_S9_S9_S9_EENS0_10empty_typeEbEEZZNS1_14partition_implILS5_6ELb0ES3_mNS7_12zip_iteratorINS8_INS7_6detail15normal_iteratorINS7_10device_ptrIxEEEESJ_S9_S9_S9_S9_S9_S9_S9_S9_EEEEPSB_SM_NS0_5tupleIJNSE_INS8_ISJ_NS7_16discard_iteratorINS7_11use_defaultEEES9_S9_S9_S9_S9_S9_S9_S9_EEEESB_EEENSN_IJSM_SM_EEESB_PlJNSF_9not_fun_tINSF_14equal_to_valueISA_EEEEEEE10hipError_tPvRmT3_T4_T5_T6_T7_T9_mT8_P12ihipStream_tbDpT10_ENKUlT_T0_E_clISt17integral_constantIbLb0EES1I_IbLb1EEEEDaS1E_S1F_EUlS1E_E_NS1_11comp_targetILNS1_3genE0ELNS1_11target_archE4294967295ELNS1_3gpuE0ELNS1_3repE0EEENS1_30default_config_static_selectorELNS0_4arch9wavefront6targetE0EEEvT1_.num_agpr, 0
	.set _ZN7rocprim17ROCPRIM_400000_NS6detail17trampoline_kernelINS0_14default_configENS1_25partition_config_selectorILNS1_17partition_subalgoE6EN6thrust23THRUST_200600_302600_NS5tupleIxxNS7_9null_typeES9_S9_S9_S9_S9_S9_S9_EENS0_10empty_typeEbEEZZNS1_14partition_implILS5_6ELb0ES3_mNS7_12zip_iteratorINS8_INS7_6detail15normal_iteratorINS7_10device_ptrIxEEEESJ_S9_S9_S9_S9_S9_S9_S9_S9_EEEEPSB_SM_NS0_5tupleIJNSE_INS8_ISJ_NS7_16discard_iteratorINS7_11use_defaultEEES9_S9_S9_S9_S9_S9_S9_S9_EEEESB_EEENSN_IJSM_SM_EEESB_PlJNSF_9not_fun_tINSF_14equal_to_valueISA_EEEEEEE10hipError_tPvRmT3_T4_T5_T6_T7_T9_mT8_P12ihipStream_tbDpT10_ENKUlT_T0_E_clISt17integral_constantIbLb0EES1I_IbLb1EEEEDaS1E_S1F_EUlS1E_E_NS1_11comp_targetILNS1_3genE0ELNS1_11target_archE4294967295ELNS1_3gpuE0ELNS1_3repE0EEENS1_30default_config_static_selectorELNS0_4arch9wavefront6targetE0EEEvT1_.numbered_sgpr, 0
	.set _ZN7rocprim17ROCPRIM_400000_NS6detail17trampoline_kernelINS0_14default_configENS1_25partition_config_selectorILNS1_17partition_subalgoE6EN6thrust23THRUST_200600_302600_NS5tupleIxxNS7_9null_typeES9_S9_S9_S9_S9_S9_S9_EENS0_10empty_typeEbEEZZNS1_14partition_implILS5_6ELb0ES3_mNS7_12zip_iteratorINS8_INS7_6detail15normal_iteratorINS7_10device_ptrIxEEEESJ_S9_S9_S9_S9_S9_S9_S9_S9_EEEEPSB_SM_NS0_5tupleIJNSE_INS8_ISJ_NS7_16discard_iteratorINS7_11use_defaultEEES9_S9_S9_S9_S9_S9_S9_S9_EEEESB_EEENSN_IJSM_SM_EEESB_PlJNSF_9not_fun_tINSF_14equal_to_valueISA_EEEEEEE10hipError_tPvRmT3_T4_T5_T6_T7_T9_mT8_P12ihipStream_tbDpT10_ENKUlT_T0_E_clISt17integral_constantIbLb0EES1I_IbLb1EEEEDaS1E_S1F_EUlS1E_E_NS1_11comp_targetILNS1_3genE0ELNS1_11target_archE4294967295ELNS1_3gpuE0ELNS1_3repE0EEENS1_30default_config_static_selectorELNS0_4arch9wavefront6targetE0EEEvT1_.num_named_barrier, 0
	.set _ZN7rocprim17ROCPRIM_400000_NS6detail17trampoline_kernelINS0_14default_configENS1_25partition_config_selectorILNS1_17partition_subalgoE6EN6thrust23THRUST_200600_302600_NS5tupleIxxNS7_9null_typeES9_S9_S9_S9_S9_S9_S9_EENS0_10empty_typeEbEEZZNS1_14partition_implILS5_6ELb0ES3_mNS7_12zip_iteratorINS8_INS7_6detail15normal_iteratorINS7_10device_ptrIxEEEESJ_S9_S9_S9_S9_S9_S9_S9_S9_EEEEPSB_SM_NS0_5tupleIJNSE_INS8_ISJ_NS7_16discard_iteratorINS7_11use_defaultEEES9_S9_S9_S9_S9_S9_S9_S9_EEEESB_EEENSN_IJSM_SM_EEESB_PlJNSF_9not_fun_tINSF_14equal_to_valueISA_EEEEEEE10hipError_tPvRmT3_T4_T5_T6_T7_T9_mT8_P12ihipStream_tbDpT10_ENKUlT_T0_E_clISt17integral_constantIbLb0EES1I_IbLb1EEEEDaS1E_S1F_EUlS1E_E_NS1_11comp_targetILNS1_3genE0ELNS1_11target_archE4294967295ELNS1_3gpuE0ELNS1_3repE0EEENS1_30default_config_static_selectorELNS0_4arch9wavefront6targetE0EEEvT1_.private_seg_size, 0
	.set _ZN7rocprim17ROCPRIM_400000_NS6detail17trampoline_kernelINS0_14default_configENS1_25partition_config_selectorILNS1_17partition_subalgoE6EN6thrust23THRUST_200600_302600_NS5tupleIxxNS7_9null_typeES9_S9_S9_S9_S9_S9_S9_EENS0_10empty_typeEbEEZZNS1_14partition_implILS5_6ELb0ES3_mNS7_12zip_iteratorINS8_INS7_6detail15normal_iteratorINS7_10device_ptrIxEEEESJ_S9_S9_S9_S9_S9_S9_S9_S9_EEEEPSB_SM_NS0_5tupleIJNSE_INS8_ISJ_NS7_16discard_iteratorINS7_11use_defaultEEES9_S9_S9_S9_S9_S9_S9_S9_EEEESB_EEENSN_IJSM_SM_EEESB_PlJNSF_9not_fun_tINSF_14equal_to_valueISA_EEEEEEE10hipError_tPvRmT3_T4_T5_T6_T7_T9_mT8_P12ihipStream_tbDpT10_ENKUlT_T0_E_clISt17integral_constantIbLb0EES1I_IbLb1EEEEDaS1E_S1F_EUlS1E_E_NS1_11comp_targetILNS1_3genE0ELNS1_11target_archE4294967295ELNS1_3gpuE0ELNS1_3repE0EEENS1_30default_config_static_selectorELNS0_4arch9wavefront6targetE0EEEvT1_.uses_vcc, 0
	.set _ZN7rocprim17ROCPRIM_400000_NS6detail17trampoline_kernelINS0_14default_configENS1_25partition_config_selectorILNS1_17partition_subalgoE6EN6thrust23THRUST_200600_302600_NS5tupleIxxNS7_9null_typeES9_S9_S9_S9_S9_S9_S9_EENS0_10empty_typeEbEEZZNS1_14partition_implILS5_6ELb0ES3_mNS7_12zip_iteratorINS8_INS7_6detail15normal_iteratorINS7_10device_ptrIxEEEESJ_S9_S9_S9_S9_S9_S9_S9_S9_EEEEPSB_SM_NS0_5tupleIJNSE_INS8_ISJ_NS7_16discard_iteratorINS7_11use_defaultEEES9_S9_S9_S9_S9_S9_S9_S9_EEEESB_EEENSN_IJSM_SM_EEESB_PlJNSF_9not_fun_tINSF_14equal_to_valueISA_EEEEEEE10hipError_tPvRmT3_T4_T5_T6_T7_T9_mT8_P12ihipStream_tbDpT10_ENKUlT_T0_E_clISt17integral_constantIbLb0EES1I_IbLb1EEEEDaS1E_S1F_EUlS1E_E_NS1_11comp_targetILNS1_3genE0ELNS1_11target_archE4294967295ELNS1_3gpuE0ELNS1_3repE0EEENS1_30default_config_static_selectorELNS0_4arch9wavefront6targetE0EEEvT1_.uses_flat_scratch, 0
	.set _ZN7rocprim17ROCPRIM_400000_NS6detail17trampoline_kernelINS0_14default_configENS1_25partition_config_selectorILNS1_17partition_subalgoE6EN6thrust23THRUST_200600_302600_NS5tupleIxxNS7_9null_typeES9_S9_S9_S9_S9_S9_S9_EENS0_10empty_typeEbEEZZNS1_14partition_implILS5_6ELb0ES3_mNS7_12zip_iteratorINS8_INS7_6detail15normal_iteratorINS7_10device_ptrIxEEEESJ_S9_S9_S9_S9_S9_S9_S9_S9_EEEEPSB_SM_NS0_5tupleIJNSE_INS8_ISJ_NS7_16discard_iteratorINS7_11use_defaultEEES9_S9_S9_S9_S9_S9_S9_S9_EEEESB_EEENSN_IJSM_SM_EEESB_PlJNSF_9not_fun_tINSF_14equal_to_valueISA_EEEEEEE10hipError_tPvRmT3_T4_T5_T6_T7_T9_mT8_P12ihipStream_tbDpT10_ENKUlT_T0_E_clISt17integral_constantIbLb0EES1I_IbLb1EEEEDaS1E_S1F_EUlS1E_E_NS1_11comp_targetILNS1_3genE0ELNS1_11target_archE4294967295ELNS1_3gpuE0ELNS1_3repE0EEENS1_30default_config_static_selectorELNS0_4arch9wavefront6targetE0EEEvT1_.has_dyn_sized_stack, 0
	.set _ZN7rocprim17ROCPRIM_400000_NS6detail17trampoline_kernelINS0_14default_configENS1_25partition_config_selectorILNS1_17partition_subalgoE6EN6thrust23THRUST_200600_302600_NS5tupleIxxNS7_9null_typeES9_S9_S9_S9_S9_S9_S9_EENS0_10empty_typeEbEEZZNS1_14partition_implILS5_6ELb0ES3_mNS7_12zip_iteratorINS8_INS7_6detail15normal_iteratorINS7_10device_ptrIxEEEESJ_S9_S9_S9_S9_S9_S9_S9_S9_EEEEPSB_SM_NS0_5tupleIJNSE_INS8_ISJ_NS7_16discard_iteratorINS7_11use_defaultEEES9_S9_S9_S9_S9_S9_S9_S9_EEEESB_EEENSN_IJSM_SM_EEESB_PlJNSF_9not_fun_tINSF_14equal_to_valueISA_EEEEEEE10hipError_tPvRmT3_T4_T5_T6_T7_T9_mT8_P12ihipStream_tbDpT10_ENKUlT_T0_E_clISt17integral_constantIbLb0EES1I_IbLb1EEEEDaS1E_S1F_EUlS1E_E_NS1_11comp_targetILNS1_3genE0ELNS1_11target_archE4294967295ELNS1_3gpuE0ELNS1_3repE0EEENS1_30default_config_static_selectorELNS0_4arch9wavefront6targetE0EEEvT1_.has_recursion, 0
	.set _ZN7rocprim17ROCPRIM_400000_NS6detail17trampoline_kernelINS0_14default_configENS1_25partition_config_selectorILNS1_17partition_subalgoE6EN6thrust23THRUST_200600_302600_NS5tupleIxxNS7_9null_typeES9_S9_S9_S9_S9_S9_S9_EENS0_10empty_typeEbEEZZNS1_14partition_implILS5_6ELb0ES3_mNS7_12zip_iteratorINS8_INS7_6detail15normal_iteratorINS7_10device_ptrIxEEEESJ_S9_S9_S9_S9_S9_S9_S9_S9_EEEEPSB_SM_NS0_5tupleIJNSE_INS8_ISJ_NS7_16discard_iteratorINS7_11use_defaultEEES9_S9_S9_S9_S9_S9_S9_S9_EEEESB_EEENSN_IJSM_SM_EEESB_PlJNSF_9not_fun_tINSF_14equal_to_valueISA_EEEEEEE10hipError_tPvRmT3_T4_T5_T6_T7_T9_mT8_P12ihipStream_tbDpT10_ENKUlT_T0_E_clISt17integral_constantIbLb0EES1I_IbLb1EEEEDaS1E_S1F_EUlS1E_E_NS1_11comp_targetILNS1_3genE0ELNS1_11target_archE4294967295ELNS1_3gpuE0ELNS1_3repE0EEENS1_30default_config_static_selectorELNS0_4arch9wavefront6targetE0EEEvT1_.has_indirect_call, 0
	.section	.AMDGPU.csdata,"",@progbits
; Kernel info:
; codeLenInByte = 0
; TotalNumSgprs: 0
; NumVgprs: 0
; ScratchSize: 0
; MemoryBound: 0
; FloatMode: 240
; IeeeMode: 1
; LDSByteSize: 0 bytes/workgroup (compile time only)
; SGPRBlocks: 0
; VGPRBlocks: 0
; NumSGPRsForWavesPerEU: 1
; NumVGPRsForWavesPerEU: 1
; Occupancy: 16
; WaveLimiterHint : 0
; COMPUTE_PGM_RSRC2:SCRATCH_EN: 0
; COMPUTE_PGM_RSRC2:USER_SGPR: 2
; COMPUTE_PGM_RSRC2:TRAP_HANDLER: 0
; COMPUTE_PGM_RSRC2:TGID_X_EN: 1
; COMPUTE_PGM_RSRC2:TGID_Y_EN: 0
; COMPUTE_PGM_RSRC2:TGID_Z_EN: 0
; COMPUTE_PGM_RSRC2:TIDIG_COMP_CNT: 0
	.section	.text._ZN7rocprim17ROCPRIM_400000_NS6detail17trampoline_kernelINS0_14default_configENS1_25partition_config_selectorILNS1_17partition_subalgoE6EN6thrust23THRUST_200600_302600_NS5tupleIxxNS7_9null_typeES9_S9_S9_S9_S9_S9_S9_EENS0_10empty_typeEbEEZZNS1_14partition_implILS5_6ELb0ES3_mNS7_12zip_iteratorINS8_INS7_6detail15normal_iteratorINS7_10device_ptrIxEEEESJ_S9_S9_S9_S9_S9_S9_S9_S9_EEEEPSB_SM_NS0_5tupleIJNSE_INS8_ISJ_NS7_16discard_iteratorINS7_11use_defaultEEES9_S9_S9_S9_S9_S9_S9_S9_EEEESB_EEENSN_IJSM_SM_EEESB_PlJNSF_9not_fun_tINSF_14equal_to_valueISA_EEEEEEE10hipError_tPvRmT3_T4_T5_T6_T7_T9_mT8_P12ihipStream_tbDpT10_ENKUlT_T0_E_clISt17integral_constantIbLb0EES1I_IbLb1EEEEDaS1E_S1F_EUlS1E_E_NS1_11comp_targetILNS1_3genE5ELNS1_11target_archE942ELNS1_3gpuE9ELNS1_3repE0EEENS1_30default_config_static_selectorELNS0_4arch9wavefront6targetE0EEEvT1_,"axG",@progbits,_ZN7rocprim17ROCPRIM_400000_NS6detail17trampoline_kernelINS0_14default_configENS1_25partition_config_selectorILNS1_17partition_subalgoE6EN6thrust23THRUST_200600_302600_NS5tupleIxxNS7_9null_typeES9_S9_S9_S9_S9_S9_S9_EENS0_10empty_typeEbEEZZNS1_14partition_implILS5_6ELb0ES3_mNS7_12zip_iteratorINS8_INS7_6detail15normal_iteratorINS7_10device_ptrIxEEEESJ_S9_S9_S9_S9_S9_S9_S9_S9_EEEEPSB_SM_NS0_5tupleIJNSE_INS8_ISJ_NS7_16discard_iteratorINS7_11use_defaultEEES9_S9_S9_S9_S9_S9_S9_S9_EEEESB_EEENSN_IJSM_SM_EEESB_PlJNSF_9not_fun_tINSF_14equal_to_valueISA_EEEEEEE10hipError_tPvRmT3_T4_T5_T6_T7_T9_mT8_P12ihipStream_tbDpT10_ENKUlT_T0_E_clISt17integral_constantIbLb0EES1I_IbLb1EEEEDaS1E_S1F_EUlS1E_E_NS1_11comp_targetILNS1_3genE5ELNS1_11target_archE942ELNS1_3gpuE9ELNS1_3repE0EEENS1_30default_config_static_selectorELNS0_4arch9wavefront6targetE0EEEvT1_,comdat
	.protected	_ZN7rocprim17ROCPRIM_400000_NS6detail17trampoline_kernelINS0_14default_configENS1_25partition_config_selectorILNS1_17partition_subalgoE6EN6thrust23THRUST_200600_302600_NS5tupleIxxNS7_9null_typeES9_S9_S9_S9_S9_S9_S9_EENS0_10empty_typeEbEEZZNS1_14partition_implILS5_6ELb0ES3_mNS7_12zip_iteratorINS8_INS7_6detail15normal_iteratorINS7_10device_ptrIxEEEESJ_S9_S9_S9_S9_S9_S9_S9_S9_EEEEPSB_SM_NS0_5tupleIJNSE_INS8_ISJ_NS7_16discard_iteratorINS7_11use_defaultEEES9_S9_S9_S9_S9_S9_S9_S9_EEEESB_EEENSN_IJSM_SM_EEESB_PlJNSF_9not_fun_tINSF_14equal_to_valueISA_EEEEEEE10hipError_tPvRmT3_T4_T5_T6_T7_T9_mT8_P12ihipStream_tbDpT10_ENKUlT_T0_E_clISt17integral_constantIbLb0EES1I_IbLb1EEEEDaS1E_S1F_EUlS1E_E_NS1_11comp_targetILNS1_3genE5ELNS1_11target_archE942ELNS1_3gpuE9ELNS1_3repE0EEENS1_30default_config_static_selectorELNS0_4arch9wavefront6targetE0EEEvT1_ ; -- Begin function _ZN7rocprim17ROCPRIM_400000_NS6detail17trampoline_kernelINS0_14default_configENS1_25partition_config_selectorILNS1_17partition_subalgoE6EN6thrust23THRUST_200600_302600_NS5tupleIxxNS7_9null_typeES9_S9_S9_S9_S9_S9_S9_EENS0_10empty_typeEbEEZZNS1_14partition_implILS5_6ELb0ES3_mNS7_12zip_iteratorINS8_INS7_6detail15normal_iteratorINS7_10device_ptrIxEEEESJ_S9_S9_S9_S9_S9_S9_S9_S9_EEEEPSB_SM_NS0_5tupleIJNSE_INS8_ISJ_NS7_16discard_iteratorINS7_11use_defaultEEES9_S9_S9_S9_S9_S9_S9_S9_EEEESB_EEENSN_IJSM_SM_EEESB_PlJNSF_9not_fun_tINSF_14equal_to_valueISA_EEEEEEE10hipError_tPvRmT3_T4_T5_T6_T7_T9_mT8_P12ihipStream_tbDpT10_ENKUlT_T0_E_clISt17integral_constantIbLb0EES1I_IbLb1EEEEDaS1E_S1F_EUlS1E_E_NS1_11comp_targetILNS1_3genE5ELNS1_11target_archE942ELNS1_3gpuE9ELNS1_3repE0EEENS1_30default_config_static_selectorELNS0_4arch9wavefront6targetE0EEEvT1_
	.globl	_ZN7rocprim17ROCPRIM_400000_NS6detail17trampoline_kernelINS0_14default_configENS1_25partition_config_selectorILNS1_17partition_subalgoE6EN6thrust23THRUST_200600_302600_NS5tupleIxxNS7_9null_typeES9_S9_S9_S9_S9_S9_S9_EENS0_10empty_typeEbEEZZNS1_14partition_implILS5_6ELb0ES3_mNS7_12zip_iteratorINS8_INS7_6detail15normal_iteratorINS7_10device_ptrIxEEEESJ_S9_S9_S9_S9_S9_S9_S9_S9_EEEEPSB_SM_NS0_5tupleIJNSE_INS8_ISJ_NS7_16discard_iteratorINS7_11use_defaultEEES9_S9_S9_S9_S9_S9_S9_S9_EEEESB_EEENSN_IJSM_SM_EEESB_PlJNSF_9not_fun_tINSF_14equal_to_valueISA_EEEEEEE10hipError_tPvRmT3_T4_T5_T6_T7_T9_mT8_P12ihipStream_tbDpT10_ENKUlT_T0_E_clISt17integral_constantIbLb0EES1I_IbLb1EEEEDaS1E_S1F_EUlS1E_E_NS1_11comp_targetILNS1_3genE5ELNS1_11target_archE942ELNS1_3gpuE9ELNS1_3repE0EEENS1_30default_config_static_selectorELNS0_4arch9wavefront6targetE0EEEvT1_
	.p2align	8
	.type	_ZN7rocprim17ROCPRIM_400000_NS6detail17trampoline_kernelINS0_14default_configENS1_25partition_config_selectorILNS1_17partition_subalgoE6EN6thrust23THRUST_200600_302600_NS5tupleIxxNS7_9null_typeES9_S9_S9_S9_S9_S9_S9_EENS0_10empty_typeEbEEZZNS1_14partition_implILS5_6ELb0ES3_mNS7_12zip_iteratorINS8_INS7_6detail15normal_iteratorINS7_10device_ptrIxEEEESJ_S9_S9_S9_S9_S9_S9_S9_S9_EEEEPSB_SM_NS0_5tupleIJNSE_INS8_ISJ_NS7_16discard_iteratorINS7_11use_defaultEEES9_S9_S9_S9_S9_S9_S9_S9_EEEESB_EEENSN_IJSM_SM_EEESB_PlJNSF_9not_fun_tINSF_14equal_to_valueISA_EEEEEEE10hipError_tPvRmT3_T4_T5_T6_T7_T9_mT8_P12ihipStream_tbDpT10_ENKUlT_T0_E_clISt17integral_constantIbLb0EES1I_IbLb1EEEEDaS1E_S1F_EUlS1E_E_NS1_11comp_targetILNS1_3genE5ELNS1_11target_archE942ELNS1_3gpuE9ELNS1_3repE0EEENS1_30default_config_static_selectorELNS0_4arch9wavefront6targetE0EEEvT1_,@function
_ZN7rocprim17ROCPRIM_400000_NS6detail17trampoline_kernelINS0_14default_configENS1_25partition_config_selectorILNS1_17partition_subalgoE6EN6thrust23THRUST_200600_302600_NS5tupleIxxNS7_9null_typeES9_S9_S9_S9_S9_S9_S9_EENS0_10empty_typeEbEEZZNS1_14partition_implILS5_6ELb0ES3_mNS7_12zip_iteratorINS8_INS7_6detail15normal_iteratorINS7_10device_ptrIxEEEESJ_S9_S9_S9_S9_S9_S9_S9_S9_EEEEPSB_SM_NS0_5tupleIJNSE_INS8_ISJ_NS7_16discard_iteratorINS7_11use_defaultEEES9_S9_S9_S9_S9_S9_S9_S9_EEEESB_EEENSN_IJSM_SM_EEESB_PlJNSF_9not_fun_tINSF_14equal_to_valueISA_EEEEEEE10hipError_tPvRmT3_T4_T5_T6_T7_T9_mT8_P12ihipStream_tbDpT10_ENKUlT_T0_E_clISt17integral_constantIbLb0EES1I_IbLb1EEEEDaS1E_S1F_EUlS1E_E_NS1_11comp_targetILNS1_3genE5ELNS1_11target_archE942ELNS1_3gpuE9ELNS1_3repE0EEENS1_30default_config_static_selectorELNS0_4arch9wavefront6targetE0EEEvT1_: ; @_ZN7rocprim17ROCPRIM_400000_NS6detail17trampoline_kernelINS0_14default_configENS1_25partition_config_selectorILNS1_17partition_subalgoE6EN6thrust23THRUST_200600_302600_NS5tupleIxxNS7_9null_typeES9_S9_S9_S9_S9_S9_S9_EENS0_10empty_typeEbEEZZNS1_14partition_implILS5_6ELb0ES3_mNS7_12zip_iteratorINS8_INS7_6detail15normal_iteratorINS7_10device_ptrIxEEEESJ_S9_S9_S9_S9_S9_S9_S9_S9_EEEEPSB_SM_NS0_5tupleIJNSE_INS8_ISJ_NS7_16discard_iteratorINS7_11use_defaultEEES9_S9_S9_S9_S9_S9_S9_S9_EEEESB_EEENSN_IJSM_SM_EEESB_PlJNSF_9not_fun_tINSF_14equal_to_valueISA_EEEEEEE10hipError_tPvRmT3_T4_T5_T6_T7_T9_mT8_P12ihipStream_tbDpT10_ENKUlT_T0_E_clISt17integral_constantIbLb0EES1I_IbLb1EEEEDaS1E_S1F_EUlS1E_E_NS1_11comp_targetILNS1_3genE5ELNS1_11target_archE942ELNS1_3gpuE9ELNS1_3repE0EEENS1_30default_config_static_selectorELNS0_4arch9wavefront6targetE0EEEvT1_
; %bb.0:
	.section	.rodata,"a",@progbits
	.p2align	6, 0x0
	.amdhsa_kernel _ZN7rocprim17ROCPRIM_400000_NS6detail17trampoline_kernelINS0_14default_configENS1_25partition_config_selectorILNS1_17partition_subalgoE6EN6thrust23THRUST_200600_302600_NS5tupleIxxNS7_9null_typeES9_S9_S9_S9_S9_S9_S9_EENS0_10empty_typeEbEEZZNS1_14partition_implILS5_6ELb0ES3_mNS7_12zip_iteratorINS8_INS7_6detail15normal_iteratorINS7_10device_ptrIxEEEESJ_S9_S9_S9_S9_S9_S9_S9_S9_EEEEPSB_SM_NS0_5tupleIJNSE_INS8_ISJ_NS7_16discard_iteratorINS7_11use_defaultEEES9_S9_S9_S9_S9_S9_S9_S9_EEEESB_EEENSN_IJSM_SM_EEESB_PlJNSF_9not_fun_tINSF_14equal_to_valueISA_EEEEEEE10hipError_tPvRmT3_T4_T5_T6_T7_T9_mT8_P12ihipStream_tbDpT10_ENKUlT_T0_E_clISt17integral_constantIbLb0EES1I_IbLb1EEEEDaS1E_S1F_EUlS1E_E_NS1_11comp_targetILNS1_3genE5ELNS1_11target_archE942ELNS1_3gpuE9ELNS1_3repE0EEENS1_30default_config_static_selectorELNS0_4arch9wavefront6targetE0EEEvT1_
		.amdhsa_group_segment_fixed_size 0
		.amdhsa_private_segment_fixed_size 0
		.amdhsa_kernarg_size 160
		.amdhsa_user_sgpr_count 2
		.amdhsa_user_sgpr_dispatch_ptr 0
		.amdhsa_user_sgpr_queue_ptr 0
		.amdhsa_user_sgpr_kernarg_segment_ptr 1
		.amdhsa_user_sgpr_dispatch_id 0
		.amdhsa_user_sgpr_private_segment_size 0
		.amdhsa_wavefront_size32 1
		.amdhsa_uses_dynamic_stack 0
		.amdhsa_enable_private_segment 0
		.amdhsa_system_sgpr_workgroup_id_x 1
		.amdhsa_system_sgpr_workgroup_id_y 0
		.amdhsa_system_sgpr_workgroup_id_z 0
		.amdhsa_system_sgpr_workgroup_info 0
		.amdhsa_system_vgpr_workitem_id 0
		.amdhsa_next_free_vgpr 1
		.amdhsa_next_free_sgpr 1
		.amdhsa_reserve_vcc 0
		.amdhsa_float_round_mode_32 0
		.amdhsa_float_round_mode_16_64 0
		.amdhsa_float_denorm_mode_32 3
		.amdhsa_float_denorm_mode_16_64 3
		.amdhsa_fp16_overflow 0
		.amdhsa_workgroup_processor_mode 1
		.amdhsa_memory_ordered 1
		.amdhsa_forward_progress 1
		.amdhsa_inst_pref_size 0
		.amdhsa_round_robin_scheduling 0
		.amdhsa_exception_fp_ieee_invalid_op 0
		.amdhsa_exception_fp_denorm_src 0
		.amdhsa_exception_fp_ieee_div_zero 0
		.amdhsa_exception_fp_ieee_overflow 0
		.amdhsa_exception_fp_ieee_underflow 0
		.amdhsa_exception_fp_ieee_inexact 0
		.amdhsa_exception_int_div_zero 0
	.end_amdhsa_kernel
	.section	.text._ZN7rocprim17ROCPRIM_400000_NS6detail17trampoline_kernelINS0_14default_configENS1_25partition_config_selectorILNS1_17partition_subalgoE6EN6thrust23THRUST_200600_302600_NS5tupleIxxNS7_9null_typeES9_S9_S9_S9_S9_S9_S9_EENS0_10empty_typeEbEEZZNS1_14partition_implILS5_6ELb0ES3_mNS7_12zip_iteratorINS8_INS7_6detail15normal_iteratorINS7_10device_ptrIxEEEESJ_S9_S9_S9_S9_S9_S9_S9_S9_EEEEPSB_SM_NS0_5tupleIJNSE_INS8_ISJ_NS7_16discard_iteratorINS7_11use_defaultEEES9_S9_S9_S9_S9_S9_S9_S9_EEEESB_EEENSN_IJSM_SM_EEESB_PlJNSF_9not_fun_tINSF_14equal_to_valueISA_EEEEEEE10hipError_tPvRmT3_T4_T5_T6_T7_T9_mT8_P12ihipStream_tbDpT10_ENKUlT_T0_E_clISt17integral_constantIbLb0EES1I_IbLb1EEEEDaS1E_S1F_EUlS1E_E_NS1_11comp_targetILNS1_3genE5ELNS1_11target_archE942ELNS1_3gpuE9ELNS1_3repE0EEENS1_30default_config_static_selectorELNS0_4arch9wavefront6targetE0EEEvT1_,"axG",@progbits,_ZN7rocprim17ROCPRIM_400000_NS6detail17trampoline_kernelINS0_14default_configENS1_25partition_config_selectorILNS1_17partition_subalgoE6EN6thrust23THRUST_200600_302600_NS5tupleIxxNS7_9null_typeES9_S9_S9_S9_S9_S9_S9_EENS0_10empty_typeEbEEZZNS1_14partition_implILS5_6ELb0ES3_mNS7_12zip_iteratorINS8_INS7_6detail15normal_iteratorINS7_10device_ptrIxEEEESJ_S9_S9_S9_S9_S9_S9_S9_S9_EEEEPSB_SM_NS0_5tupleIJNSE_INS8_ISJ_NS7_16discard_iteratorINS7_11use_defaultEEES9_S9_S9_S9_S9_S9_S9_S9_EEEESB_EEENSN_IJSM_SM_EEESB_PlJNSF_9not_fun_tINSF_14equal_to_valueISA_EEEEEEE10hipError_tPvRmT3_T4_T5_T6_T7_T9_mT8_P12ihipStream_tbDpT10_ENKUlT_T0_E_clISt17integral_constantIbLb0EES1I_IbLb1EEEEDaS1E_S1F_EUlS1E_E_NS1_11comp_targetILNS1_3genE5ELNS1_11target_archE942ELNS1_3gpuE9ELNS1_3repE0EEENS1_30default_config_static_selectorELNS0_4arch9wavefront6targetE0EEEvT1_,comdat
.Lfunc_end2006:
	.size	_ZN7rocprim17ROCPRIM_400000_NS6detail17trampoline_kernelINS0_14default_configENS1_25partition_config_selectorILNS1_17partition_subalgoE6EN6thrust23THRUST_200600_302600_NS5tupleIxxNS7_9null_typeES9_S9_S9_S9_S9_S9_S9_EENS0_10empty_typeEbEEZZNS1_14partition_implILS5_6ELb0ES3_mNS7_12zip_iteratorINS8_INS7_6detail15normal_iteratorINS7_10device_ptrIxEEEESJ_S9_S9_S9_S9_S9_S9_S9_S9_EEEEPSB_SM_NS0_5tupleIJNSE_INS8_ISJ_NS7_16discard_iteratorINS7_11use_defaultEEES9_S9_S9_S9_S9_S9_S9_S9_EEEESB_EEENSN_IJSM_SM_EEESB_PlJNSF_9not_fun_tINSF_14equal_to_valueISA_EEEEEEE10hipError_tPvRmT3_T4_T5_T6_T7_T9_mT8_P12ihipStream_tbDpT10_ENKUlT_T0_E_clISt17integral_constantIbLb0EES1I_IbLb1EEEEDaS1E_S1F_EUlS1E_E_NS1_11comp_targetILNS1_3genE5ELNS1_11target_archE942ELNS1_3gpuE9ELNS1_3repE0EEENS1_30default_config_static_selectorELNS0_4arch9wavefront6targetE0EEEvT1_, .Lfunc_end2006-_ZN7rocprim17ROCPRIM_400000_NS6detail17trampoline_kernelINS0_14default_configENS1_25partition_config_selectorILNS1_17partition_subalgoE6EN6thrust23THRUST_200600_302600_NS5tupleIxxNS7_9null_typeES9_S9_S9_S9_S9_S9_S9_EENS0_10empty_typeEbEEZZNS1_14partition_implILS5_6ELb0ES3_mNS7_12zip_iteratorINS8_INS7_6detail15normal_iteratorINS7_10device_ptrIxEEEESJ_S9_S9_S9_S9_S9_S9_S9_S9_EEEEPSB_SM_NS0_5tupleIJNSE_INS8_ISJ_NS7_16discard_iteratorINS7_11use_defaultEEES9_S9_S9_S9_S9_S9_S9_S9_EEEESB_EEENSN_IJSM_SM_EEESB_PlJNSF_9not_fun_tINSF_14equal_to_valueISA_EEEEEEE10hipError_tPvRmT3_T4_T5_T6_T7_T9_mT8_P12ihipStream_tbDpT10_ENKUlT_T0_E_clISt17integral_constantIbLb0EES1I_IbLb1EEEEDaS1E_S1F_EUlS1E_E_NS1_11comp_targetILNS1_3genE5ELNS1_11target_archE942ELNS1_3gpuE9ELNS1_3repE0EEENS1_30default_config_static_selectorELNS0_4arch9wavefront6targetE0EEEvT1_
                                        ; -- End function
	.set _ZN7rocprim17ROCPRIM_400000_NS6detail17trampoline_kernelINS0_14default_configENS1_25partition_config_selectorILNS1_17partition_subalgoE6EN6thrust23THRUST_200600_302600_NS5tupleIxxNS7_9null_typeES9_S9_S9_S9_S9_S9_S9_EENS0_10empty_typeEbEEZZNS1_14partition_implILS5_6ELb0ES3_mNS7_12zip_iteratorINS8_INS7_6detail15normal_iteratorINS7_10device_ptrIxEEEESJ_S9_S9_S9_S9_S9_S9_S9_S9_EEEEPSB_SM_NS0_5tupleIJNSE_INS8_ISJ_NS7_16discard_iteratorINS7_11use_defaultEEES9_S9_S9_S9_S9_S9_S9_S9_EEEESB_EEENSN_IJSM_SM_EEESB_PlJNSF_9not_fun_tINSF_14equal_to_valueISA_EEEEEEE10hipError_tPvRmT3_T4_T5_T6_T7_T9_mT8_P12ihipStream_tbDpT10_ENKUlT_T0_E_clISt17integral_constantIbLb0EES1I_IbLb1EEEEDaS1E_S1F_EUlS1E_E_NS1_11comp_targetILNS1_3genE5ELNS1_11target_archE942ELNS1_3gpuE9ELNS1_3repE0EEENS1_30default_config_static_selectorELNS0_4arch9wavefront6targetE0EEEvT1_.num_vgpr, 0
	.set _ZN7rocprim17ROCPRIM_400000_NS6detail17trampoline_kernelINS0_14default_configENS1_25partition_config_selectorILNS1_17partition_subalgoE6EN6thrust23THRUST_200600_302600_NS5tupleIxxNS7_9null_typeES9_S9_S9_S9_S9_S9_S9_EENS0_10empty_typeEbEEZZNS1_14partition_implILS5_6ELb0ES3_mNS7_12zip_iteratorINS8_INS7_6detail15normal_iteratorINS7_10device_ptrIxEEEESJ_S9_S9_S9_S9_S9_S9_S9_S9_EEEEPSB_SM_NS0_5tupleIJNSE_INS8_ISJ_NS7_16discard_iteratorINS7_11use_defaultEEES9_S9_S9_S9_S9_S9_S9_S9_EEEESB_EEENSN_IJSM_SM_EEESB_PlJNSF_9not_fun_tINSF_14equal_to_valueISA_EEEEEEE10hipError_tPvRmT3_T4_T5_T6_T7_T9_mT8_P12ihipStream_tbDpT10_ENKUlT_T0_E_clISt17integral_constantIbLb0EES1I_IbLb1EEEEDaS1E_S1F_EUlS1E_E_NS1_11comp_targetILNS1_3genE5ELNS1_11target_archE942ELNS1_3gpuE9ELNS1_3repE0EEENS1_30default_config_static_selectorELNS0_4arch9wavefront6targetE0EEEvT1_.num_agpr, 0
	.set _ZN7rocprim17ROCPRIM_400000_NS6detail17trampoline_kernelINS0_14default_configENS1_25partition_config_selectorILNS1_17partition_subalgoE6EN6thrust23THRUST_200600_302600_NS5tupleIxxNS7_9null_typeES9_S9_S9_S9_S9_S9_S9_EENS0_10empty_typeEbEEZZNS1_14partition_implILS5_6ELb0ES3_mNS7_12zip_iteratorINS8_INS7_6detail15normal_iteratorINS7_10device_ptrIxEEEESJ_S9_S9_S9_S9_S9_S9_S9_S9_EEEEPSB_SM_NS0_5tupleIJNSE_INS8_ISJ_NS7_16discard_iteratorINS7_11use_defaultEEES9_S9_S9_S9_S9_S9_S9_S9_EEEESB_EEENSN_IJSM_SM_EEESB_PlJNSF_9not_fun_tINSF_14equal_to_valueISA_EEEEEEE10hipError_tPvRmT3_T4_T5_T6_T7_T9_mT8_P12ihipStream_tbDpT10_ENKUlT_T0_E_clISt17integral_constantIbLb0EES1I_IbLb1EEEEDaS1E_S1F_EUlS1E_E_NS1_11comp_targetILNS1_3genE5ELNS1_11target_archE942ELNS1_3gpuE9ELNS1_3repE0EEENS1_30default_config_static_selectorELNS0_4arch9wavefront6targetE0EEEvT1_.numbered_sgpr, 0
	.set _ZN7rocprim17ROCPRIM_400000_NS6detail17trampoline_kernelINS0_14default_configENS1_25partition_config_selectorILNS1_17partition_subalgoE6EN6thrust23THRUST_200600_302600_NS5tupleIxxNS7_9null_typeES9_S9_S9_S9_S9_S9_S9_EENS0_10empty_typeEbEEZZNS1_14partition_implILS5_6ELb0ES3_mNS7_12zip_iteratorINS8_INS7_6detail15normal_iteratorINS7_10device_ptrIxEEEESJ_S9_S9_S9_S9_S9_S9_S9_S9_EEEEPSB_SM_NS0_5tupleIJNSE_INS8_ISJ_NS7_16discard_iteratorINS7_11use_defaultEEES9_S9_S9_S9_S9_S9_S9_S9_EEEESB_EEENSN_IJSM_SM_EEESB_PlJNSF_9not_fun_tINSF_14equal_to_valueISA_EEEEEEE10hipError_tPvRmT3_T4_T5_T6_T7_T9_mT8_P12ihipStream_tbDpT10_ENKUlT_T0_E_clISt17integral_constantIbLb0EES1I_IbLb1EEEEDaS1E_S1F_EUlS1E_E_NS1_11comp_targetILNS1_3genE5ELNS1_11target_archE942ELNS1_3gpuE9ELNS1_3repE0EEENS1_30default_config_static_selectorELNS0_4arch9wavefront6targetE0EEEvT1_.num_named_barrier, 0
	.set _ZN7rocprim17ROCPRIM_400000_NS6detail17trampoline_kernelINS0_14default_configENS1_25partition_config_selectorILNS1_17partition_subalgoE6EN6thrust23THRUST_200600_302600_NS5tupleIxxNS7_9null_typeES9_S9_S9_S9_S9_S9_S9_EENS0_10empty_typeEbEEZZNS1_14partition_implILS5_6ELb0ES3_mNS7_12zip_iteratorINS8_INS7_6detail15normal_iteratorINS7_10device_ptrIxEEEESJ_S9_S9_S9_S9_S9_S9_S9_S9_EEEEPSB_SM_NS0_5tupleIJNSE_INS8_ISJ_NS7_16discard_iteratorINS7_11use_defaultEEES9_S9_S9_S9_S9_S9_S9_S9_EEEESB_EEENSN_IJSM_SM_EEESB_PlJNSF_9not_fun_tINSF_14equal_to_valueISA_EEEEEEE10hipError_tPvRmT3_T4_T5_T6_T7_T9_mT8_P12ihipStream_tbDpT10_ENKUlT_T0_E_clISt17integral_constantIbLb0EES1I_IbLb1EEEEDaS1E_S1F_EUlS1E_E_NS1_11comp_targetILNS1_3genE5ELNS1_11target_archE942ELNS1_3gpuE9ELNS1_3repE0EEENS1_30default_config_static_selectorELNS0_4arch9wavefront6targetE0EEEvT1_.private_seg_size, 0
	.set _ZN7rocprim17ROCPRIM_400000_NS6detail17trampoline_kernelINS0_14default_configENS1_25partition_config_selectorILNS1_17partition_subalgoE6EN6thrust23THRUST_200600_302600_NS5tupleIxxNS7_9null_typeES9_S9_S9_S9_S9_S9_S9_EENS0_10empty_typeEbEEZZNS1_14partition_implILS5_6ELb0ES3_mNS7_12zip_iteratorINS8_INS7_6detail15normal_iteratorINS7_10device_ptrIxEEEESJ_S9_S9_S9_S9_S9_S9_S9_S9_EEEEPSB_SM_NS0_5tupleIJNSE_INS8_ISJ_NS7_16discard_iteratorINS7_11use_defaultEEES9_S9_S9_S9_S9_S9_S9_S9_EEEESB_EEENSN_IJSM_SM_EEESB_PlJNSF_9not_fun_tINSF_14equal_to_valueISA_EEEEEEE10hipError_tPvRmT3_T4_T5_T6_T7_T9_mT8_P12ihipStream_tbDpT10_ENKUlT_T0_E_clISt17integral_constantIbLb0EES1I_IbLb1EEEEDaS1E_S1F_EUlS1E_E_NS1_11comp_targetILNS1_3genE5ELNS1_11target_archE942ELNS1_3gpuE9ELNS1_3repE0EEENS1_30default_config_static_selectorELNS0_4arch9wavefront6targetE0EEEvT1_.uses_vcc, 0
	.set _ZN7rocprim17ROCPRIM_400000_NS6detail17trampoline_kernelINS0_14default_configENS1_25partition_config_selectorILNS1_17partition_subalgoE6EN6thrust23THRUST_200600_302600_NS5tupleIxxNS7_9null_typeES9_S9_S9_S9_S9_S9_S9_EENS0_10empty_typeEbEEZZNS1_14partition_implILS5_6ELb0ES3_mNS7_12zip_iteratorINS8_INS7_6detail15normal_iteratorINS7_10device_ptrIxEEEESJ_S9_S9_S9_S9_S9_S9_S9_S9_EEEEPSB_SM_NS0_5tupleIJNSE_INS8_ISJ_NS7_16discard_iteratorINS7_11use_defaultEEES9_S9_S9_S9_S9_S9_S9_S9_EEEESB_EEENSN_IJSM_SM_EEESB_PlJNSF_9not_fun_tINSF_14equal_to_valueISA_EEEEEEE10hipError_tPvRmT3_T4_T5_T6_T7_T9_mT8_P12ihipStream_tbDpT10_ENKUlT_T0_E_clISt17integral_constantIbLb0EES1I_IbLb1EEEEDaS1E_S1F_EUlS1E_E_NS1_11comp_targetILNS1_3genE5ELNS1_11target_archE942ELNS1_3gpuE9ELNS1_3repE0EEENS1_30default_config_static_selectorELNS0_4arch9wavefront6targetE0EEEvT1_.uses_flat_scratch, 0
	.set _ZN7rocprim17ROCPRIM_400000_NS6detail17trampoline_kernelINS0_14default_configENS1_25partition_config_selectorILNS1_17partition_subalgoE6EN6thrust23THRUST_200600_302600_NS5tupleIxxNS7_9null_typeES9_S9_S9_S9_S9_S9_S9_EENS0_10empty_typeEbEEZZNS1_14partition_implILS5_6ELb0ES3_mNS7_12zip_iteratorINS8_INS7_6detail15normal_iteratorINS7_10device_ptrIxEEEESJ_S9_S9_S9_S9_S9_S9_S9_S9_EEEEPSB_SM_NS0_5tupleIJNSE_INS8_ISJ_NS7_16discard_iteratorINS7_11use_defaultEEES9_S9_S9_S9_S9_S9_S9_S9_EEEESB_EEENSN_IJSM_SM_EEESB_PlJNSF_9not_fun_tINSF_14equal_to_valueISA_EEEEEEE10hipError_tPvRmT3_T4_T5_T6_T7_T9_mT8_P12ihipStream_tbDpT10_ENKUlT_T0_E_clISt17integral_constantIbLb0EES1I_IbLb1EEEEDaS1E_S1F_EUlS1E_E_NS1_11comp_targetILNS1_3genE5ELNS1_11target_archE942ELNS1_3gpuE9ELNS1_3repE0EEENS1_30default_config_static_selectorELNS0_4arch9wavefront6targetE0EEEvT1_.has_dyn_sized_stack, 0
	.set _ZN7rocprim17ROCPRIM_400000_NS6detail17trampoline_kernelINS0_14default_configENS1_25partition_config_selectorILNS1_17partition_subalgoE6EN6thrust23THRUST_200600_302600_NS5tupleIxxNS7_9null_typeES9_S9_S9_S9_S9_S9_S9_EENS0_10empty_typeEbEEZZNS1_14partition_implILS5_6ELb0ES3_mNS7_12zip_iteratorINS8_INS7_6detail15normal_iteratorINS7_10device_ptrIxEEEESJ_S9_S9_S9_S9_S9_S9_S9_S9_EEEEPSB_SM_NS0_5tupleIJNSE_INS8_ISJ_NS7_16discard_iteratorINS7_11use_defaultEEES9_S9_S9_S9_S9_S9_S9_S9_EEEESB_EEENSN_IJSM_SM_EEESB_PlJNSF_9not_fun_tINSF_14equal_to_valueISA_EEEEEEE10hipError_tPvRmT3_T4_T5_T6_T7_T9_mT8_P12ihipStream_tbDpT10_ENKUlT_T0_E_clISt17integral_constantIbLb0EES1I_IbLb1EEEEDaS1E_S1F_EUlS1E_E_NS1_11comp_targetILNS1_3genE5ELNS1_11target_archE942ELNS1_3gpuE9ELNS1_3repE0EEENS1_30default_config_static_selectorELNS0_4arch9wavefront6targetE0EEEvT1_.has_recursion, 0
	.set _ZN7rocprim17ROCPRIM_400000_NS6detail17trampoline_kernelINS0_14default_configENS1_25partition_config_selectorILNS1_17partition_subalgoE6EN6thrust23THRUST_200600_302600_NS5tupleIxxNS7_9null_typeES9_S9_S9_S9_S9_S9_S9_EENS0_10empty_typeEbEEZZNS1_14partition_implILS5_6ELb0ES3_mNS7_12zip_iteratorINS8_INS7_6detail15normal_iteratorINS7_10device_ptrIxEEEESJ_S9_S9_S9_S9_S9_S9_S9_S9_EEEEPSB_SM_NS0_5tupleIJNSE_INS8_ISJ_NS7_16discard_iteratorINS7_11use_defaultEEES9_S9_S9_S9_S9_S9_S9_S9_EEEESB_EEENSN_IJSM_SM_EEESB_PlJNSF_9not_fun_tINSF_14equal_to_valueISA_EEEEEEE10hipError_tPvRmT3_T4_T5_T6_T7_T9_mT8_P12ihipStream_tbDpT10_ENKUlT_T0_E_clISt17integral_constantIbLb0EES1I_IbLb1EEEEDaS1E_S1F_EUlS1E_E_NS1_11comp_targetILNS1_3genE5ELNS1_11target_archE942ELNS1_3gpuE9ELNS1_3repE0EEENS1_30default_config_static_selectorELNS0_4arch9wavefront6targetE0EEEvT1_.has_indirect_call, 0
	.section	.AMDGPU.csdata,"",@progbits
; Kernel info:
; codeLenInByte = 0
; TotalNumSgprs: 0
; NumVgprs: 0
; ScratchSize: 0
; MemoryBound: 0
; FloatMode: 240
; IeeeMode: 1
; LDSByteSize: 0 bytes/workgroup (compile time only)
; SGPRBlocks: 0
; VGPRBlocks: 0
; NumSGPRsForWavesPerEU: 1
; NumVGPRsForWavesPerEU: 1
; Occupancy: 16
; WaveLimiterHint : 0
; COMPUTE_PGM_RSRC2:SCRATCH_EN: 0
; COMPUTE_PGM_RSRC2:USER_SGPR: 2
; COMPUTE_PGM_RSRC2:TRAP_HANDLER: 0
; COMPUTE_PGM_RSRC2:TGID_X_EN: 1
; COMPUTE_PGM_RSRC2:TGID_Y_EN: 0
; COMPUTE_PGM_RSRC2:TGID_Z_EN: 0
; COMPUTE_PGM_RSRC2:TIDIG_COMP_CNT: 0
	.section	.text._ZN7rocprim17ROCPRIM_400000_NS6detail17trampoline_kernelINS0_14default_configENS1_25partition_config_selectorILNS1_17partition_subalgoE6EN6thrust23THRUST_200600_302600_NS5tupleIxxNS7_9null_typeES9_S9_S9_S9_S9_S9_S9_EENS0_10empty_typeEbEEZZNS1_14partition_implILS5_6ELb0ES3_mNS7_12zip_iteratorINS8_INS7_6detail15normal_iteratorINS7_10device_ptrIxEEEESJ_S9_S9_S9_S9_S9_S9_S9_S9_EEEEPSB_SM_NS0_5tupleIJNSE_INS8_ISJ_NS7_16discard_iteratorINS7_11use_defaultEEES9_S9_S9_S9_S9_S9_S9_S9_EEEESB_EEENSN_IJSM_SM_EEESB_PlJNSF_9not_fun_tINSF_14equal_to_valueISA_EEEEEEE10hipError_tPvRmT3_T4_T5_T6_T7_T9_mT8_P12ihipStream_tbDpT10_ENKUlT_T0_E_clISt17integral_constantIbLb0EES1I_IbLb1EEEEDaS1E_S1F_EUlS1E_E_NS1_11comp_targetILNS1_3genE4ELNS1_11target_archE910ELNS1_3gpuE8ELNS1_3repE0EEENS1_30default_config_static_selectorELNS0_4arch9wavefront6targetE0EEEvT1_,"axG",@progbits,_ZN7rocprim17ROCPRIM_400000_NS6detail17trampoline_kernelINS0_14default_configENS1_25partition_config_selectorILNS1_17partition_subalgoE6EN6thrust23THRUST_200600_302600_NS5tupleIxxNS7_9null_typeES9_S9_S9_S9_S9_S9_S9_EENS0_10empty_typeEbEEZZNS1_14partition_implILS5_6ELb0ES3_mNS7_12zip_iteratorINS8_INS7_6detail15normal_iteratorINS7_10device_ptrIxEEEESJ_S9_S9_S9_S9_S9_S9_S9_S9_EEEEPSB_SM_NS0_5tupleIJNSE_INS8_ISJ_NS7_16discard_iteratorINS7_11use_defaultEEES9_S9_S9_S9_S9_S9_S9_S9_EEEESB_EEENSN_IJSM_SM_EEESB_PlJNSF_9not_fun_tINSF_14equal_to_valueISA_EEEEEEE10hipError_tPvRmT3_T4_T5_T6_T7_T9_mT8_P12ihipStream_tbDpT10_ENKUlT_T0_E_clISt17integral_constantIbLb0EES1I_IbLb1EEEEDaS1E_S1F_EUlS1E_E_NS1_11comp_targetILNS1_3genE4ELNS1_11target_archE910ELNS1_3gpuE8ELNS1_3repE0EEENS1_30default_config_static_selectorELNS0_4arch9wavefront6targetE0EEEvT1_,comdat
	.protected	_ZN7rocprim17ROCPRIM_400000_NS6detail17trampoline_kernelINS0_14default_configENS1_25partition_config_selectorILNS1_17partition_subalgoE6EN6thrust23THRUST_200600_302600_NS5tupleIxxNS7_9null_typeES9_S9_S9_S9_S9_S9_S9_EENS0_10empty_typeEbEEZZNS1_14partition_implILS5_6ELb0ES3_mNS7_12zip_iteratorINS8_INS7_6detail15normal_iteratorINS7_10device_ptrIxEEEESJ_S9_S9_S9_S9_S9_S9_S9_S9_EEEEPSB_SM_NS0_5tupleIJNSE_INS8_ISJ_NS7_16discard_iteratorINS7_11use_defaultEEES9_S9_S9_S9_S9_S9_S9_S9_EEEESB_EEENSN_IJSM_SM_EEESB_PlJNSF_9not_fun_tINSF_14equal_to_valueISA_EEEEEEE10hipError_tPvRmT3_T4_T5_T6_T7_T9_mT8_P12ihipStream_tbDpT10_ENKUlT_T0_E_clISt17integral_constantIbLb0EES1I_IbLb1EEEEDaS1E_S1F_EUlS1E_E_NS1_11comp_targetILNS1_3genE4ELNS1_11target_archE910ELNS1_3gpuE8ELNS1_3repE0EEENS1_30default_config_static_selectorELNS0_4arch9wavefront6targetE0EEEvT1_ ; -- Begin function _ZN7rocprim17ROCPRIM_400000_NS6detail17trampoline_kernelINS0_14default_configENS1_25partition_config_selectorILNS1_17partition_subalgoE6EN6thrust23THRUST_200600_302600_NS5tupleIxxNS7_9null_typeES9_S9_S9_S9_S9_S9_S9_EENS0_10empty_typeEbEEZZNS1_14partition_implILS5_6ELb0ES3_mNS7_12zip_iteratorINS8_INS7_6detail15normal_iteratorINS7_10device_ptrIxEEEESJ_S9_S9_S9_S9_S9_S9_S9_S9_EEEEPSB_SM_NS0_5tupleIJNSE_INS8_ISJ_NS7_16discard_iteratorINS7_11use_defaultEEES9_S9_S9_S9_S9_S9_S9_S9_EEEESB_EEENSN_IJSM_SM_EEESB_PlJNSF_9not_fun_tINSF_14equal_to_valueISA_EEEEEEE10hipError_tPvRmT3_T4_T5_T6_T7_T9_mT8_P12ihipStream_tbDpT10_ENKUlT_T0_E_clISt17integral_constantIbLb0EES1I_IbLb1EEEEDaS1E_S1F_EUlS1E_E_NS1_11comp_targetILNS1_3genE4ELNS1_11target_archE910ELNS1_3gpuE8ELNS1_3repE0EEENS1_30default_config_static_selectorELNS0_4arch9wavefront6targetE0EEEvT1_
	.globl	_ZN7rocprim17ROCPRIM_400000_NS6detail17trampoline_kernelINS0_14default_configENS1_25partition_config_selectorILNS1_17partition_subalgoE6EN6thrust23THRUST_200600_302600_NS5tupleIxxNS7_9null_typeES9_S9_S9_S9_S9_S9_S9_EENS0_10empty_typeEbEEZZNS1_14partition_implILS5_6ELb0ES3_mNS7_12zip_iteratorINS8_INS7_6detail15normal_iteratorINS7_10device_ptrIxEEEESJ_S9_S9_S9_S9_S9_S9_S9_S9_EEEEPSB_SM_NS0_5tupleIJNSE_INS8_ISJ_NS7_16discard_iteratorINS7_11use_defaultEEES9_S9_S9_S9_S9_S9_S9_S9_EEEESB_EEENSN_IJSM_SM_EEESB_PlJNSF_9not_fun_tINSF_14equal_to_valueISA_EEEEEEE10hipError_tPvRmT3_T4_T5_T6_T7_T9_mT8_P12ihipStream_tbDpT10_ENKUlT_T0_E_clISt17integral_constantIbLb0EES1I_IbLb1EEEEDaS1E_S1F_EUlS1E_E_NS1_11comp_targetILNS1_3genE4ELNS1_11target_archE910ELNS1_3gpuE8ELNS1_3repE0EEENS1_30default_config_static_selectorELNS0_4arch9wavefront6targetE0EEEvT1_
	.p2align	8
	.type	_ZN7rocprim17ROCPRIM_400000_NS6detail17trampoline_kernelINS0_14default_configENS1_25partition_config_selectorILNS1_17partition_subalgoE6EN6thrust23THRUST_200600_302600_NS5tupleIxxNS7_9null_typeES9_S9_S9_S9_S9_S9_S9_EENS0_10empty_typeEbEEZZNS1_14partition_implILS5_6ELb0ES3_mNS7_12zip_iteratorINS8_INS7_6detail15normal_iteratorINS7_10device_ptrIxEEEESJ_S9_S9_S9_S9_S9_S9_S9_S9_EEEEPSB_SM_NS0_5tupleIJNSE_INS8_ISJ_NS7_16discard_iteratorINS7_11use_defaultEEES9_S9_S9_S9_S9_S9_S9_S9_EEEESB_EEENSN_IJSM_SM_EEESB_PlJNSF_9not_fun_tINSF_14equal_to_valueISA_EEEEEEE10hipError_tPvRmT3_T4_T5_T6_T7_T9_mT8_P12ihipStream_tbDpT10_ENKUlT_T0_E_clISt17integral_constantIbLb0EES1I_IbLb1EEEEDaS1E_S1F_EUlS1E_E_NS1_11comp_targetILNS1_3genE4ELNS1_11target_archE910ELNS1_3gpuE8ELNS1_3repE0EEENS1_30default_config_static_selectorELNS0_4arch9wavefront6targetE0EEEvT1_,@function
_ZN7rocprim17ROCPRIM_400000_NS6detail17trampoline_kernelINS0_14default_configENS1_25partition_config_selectorILNS1_17partition_subalgoE6EN6thrust23THRUST_200600_302600_NS5tupleIxxNS7_9null_typeES9_S9_S9_S9_S9_S9_S9_EENS0_10empty_typeEbEEZZNS1_14partition_implILS5_6ELb0ES3_mNS7_12zip_iteratorINS8_INS7_6detail15normal_iteratorINS7_10device_ptrIxEEEESJ_S9_S9_S9_S9_S9_S9_S9_S9_EEEEPSB_SM_NS0_5tupleIJNSE_INS8_ISJ_NS7_16discard_iteratorINS7_11use_defaultEEES9_S9_S9_S9_S9_S9_S9_S9_EEEESB_EEENSN_IJSM_SM_EEESB_PlJNSF_9not_fun_tINSF_14equal_to_valueISA_EEEEEEE10hipError_tPvRmT3_T4_T5_T6_T7_T9_mT8_P12ihipStream_tbDpT10_ENKUlT_T0_E_clISt17integral_constantIbLb0EES1I_IbLb1EEEEDaS1E_S1F_EUlS1E_E_NS1_11comp_targetILNS1_3genE4ELNS1_11target_archE910ELNS1_3gpuE8ELNS1_3repE0EEENS1_30default_config_static_selectorELNS0_4arch9wavefront6targetE0EEEvT1_: ; @_ZN7rocprim17ROCPRIM_400000_NS6detail17trampoline_kernelINS0_14default_configENS1_25partition_config_selectorILNS1_17partition_subalgoE6EN6thrust23THRUST_200600_302600_NS5tupleIxxNS7_9null_typeES9_S9_S9_S9_S9_S9_S9_EENS0_10empty_typeEbEEZZNS1_14partition_implILS5_6ELb0ES3_mNS7_12zip_iteratorINS8_INS7_6detail15normal_iteratorINS7_10device_ptrIxEEEESJ_S9_S9_S9_S9_S9_S9_S9_S9_EEEEPSB_SM_NS0_5tupleIJNSE_INS8_ISJ_NS7_16discard_iteratorINS7_11use_defaultEEES9_S9_S9_S9_S9_S9_S9_S9_EEEESB_EEENSN_IJSM_SM_EEESB_PlJNSF_9not_fun_tINSF_14equal_to_valueISA_EEEEEEE10hipError_tPvRmT3_T4_T5_T6_T7_T9_mT8_P12ihipStream_tbDpT10_ENKUlT_T0_E_clISt17integral_constantIbLb0EES1I_IbLb1EEEEDaS1E_S1F_EUlS1E_E_NS1_11comp_targetILNS1_3genE4ELNS1_11target_archE910ELNS1_3gpuE8ELNS1_3repE0EEENS1_30default_config_static_selectorELNS0_4arch9wavefront6targetE0EEEvT1_
; %bb.0:
	.section	.rodata,"a",@progbits
	.p2align	6, 0x0
	.amdhsa_kernel _ZN7rocprim17ROCPRIM_400000_NS6detail17trampoline_kernelINS0_14default_configENS1_25partition_config_selectorILNS1_17partition_subalgoE6EN6thrust23THRUST_200600_302600_NS5tupleIxxNS7_9null_typeES9_S9_S9_S9_S9_S9_S9_EENS0_10empty_typeEbEEZZNS1_14partition_implILS5_6ELb0ES3_mNS7_12zip_iteratorINS8_INS7_6detail15normal_iteratorINS7_10device_ptrIxEEEESJ_S9_S9_S9_S9_S9_S9_S9_S9_EEEEPSB_SM_NS0_5tupleIJNSE_INS8_ISJ_NS7_16discard_iteratorINS7_11use_defaultEEES9_S9_S9_S9_S9_S9_S9_S9_EEEESB_EEENSN_IJSM_SM_EEESB_PlJNSF_9not_fun_tINSF_14equal_to_valueISA_EEEEEEE10hipError_tPvRmT3_T4_T5_T6_T7_T9_mT8_P12ihipStream_tbDpT10_ENKUlT_T0_E_clISt17integral_constantIbLb0EES1I_IbLb1EEEEDaS1E_S1F_EUlS1E_E_NS1_11comp_targetILNS1_3genE4ELNS1_11target_archE910ELNS1_3gpuE8ELNS1_3repE0EEENS1_30default_config_static_selectorELNS0_4arch9wavefront6targetE0EEEvT1_
		.amdhsa_group_segment_fixed_size 0
		.amdhsa_private_segment_fixed_size 0
		.amdhsa_kernarg_size 160
		.amdhsa_user_sgpr_count 2
		.amdhsa_user_sgpr_dispatch_ptr 0
		.amdhsa_user_sgpr_queue_ptr 0
		.amdhsa_user_sgpr_kernarg_segment_ptr 1
		.amdhsa_user_sgpr_dispatch_id 0
		.amdhsa_user_sgpr_private_segment_size 0
		.amdhsa_wavefront_size32 1
		.amdhsa_uses_dynamic_stack 0
		.amdhsa_enable_private_segment 0
		.amdhsa_system_sgpr_workgroup_id_x 1
		.amdhsa_system_sgpr_workgroup_id_y 0
		.amdhsa_system_sgpr_workgroup_id_z 0
		.amdhsa_system_sgpr_workgroup_info 0
		.amdhsa_system_vgpr_workitem_id 0
		.amdhsa_next_free_vgpr 1
		.amdhsa_next_free_sgpr 1
		.amdhsa_reserve_vcc 0
		.amdhsa_float_round_mode_32 0
		.amdhsa_float_round_mode_16_64 0
		.amdhsa_float_denorm_mode_32 3
		.amdhsa_float_denorm_mode_16_64 3
		.amdhsa_fp16_overflow 0
		.amdhsa_workgroup_processor_mode 1
		.amdhsa_memory_ordered 1
		.amdhsa_forward_progress 1
		.amdhsa_inst_pref_size 0
		.amdhsa_round_robin_scheduling 0
		.amdhsa_exception_fp_ieee_invalid_op 0
		.amdhsa_exception_fp_denorm_src 0
		.amdhsa_exception_fp_ieee_div_zero 0
		.amdhsa_exception_fp_ieee_overflow 0
		.amdhsa_exception_fp_ieee_underflow 0
		.amdhsa_exception_fp_ieee_inexact 0
		.amdhsa_exception_int_div_zero 0
	.end_amdhsa_kernel
	.section	.text._ZN7rocprim17ROCPRIM_400000_NS6detail17trampoline_kernelINS0_14default_configENS1_25partition_config_selectorILNS1_17partition_subalgoE6EN6thrust23THRUST_200600_302600_NS5tupleIxxNS7_9null_typeES9_S9_S9_S9_S9_S9_S9_EENS0_10empty_typeEbEEZZNS1_14partition_implILS5_6ELb0ES3_mNS7_12zip_iteratorINS8_INS7_6detail15normal_iteratorINS7_10device_ptrIxEEEESJ_S9_S9_S9_S9_S9_S9_S9_S9_EEEEPSB_SM_NS0_5tupleIJNSE_INS8_ISJ_NS7_16discard_iteratorINS7_11use_defaultEEES9_S9_S9_S9_S9_S9_S9_S9_EEEESB_EEENSN_IJSM_SM_EEESB_PlJNSF_9not_fun_tINSF_14equal_to_valueISA_EEEEEEE10hipError_tPvRmT3_T4_T5_T6_T7_T9_mT8_P12ihipStream_tbDpT10_ENKUlT_T0_E_clISt17integral_constantIbLb0EES1I_IbLb1EEEEDaS1E_S1F_EUlS1E_E_NS1_11comp_targetILNS1_3genE4ELNS1_11target_archE910ELNS1_3gpuE8ELNS1_3repE0EEENS1_30default_config_static_selectorELNS0_4arch9wavefront6targetE0EEEvT1_,"axG",@progbits,_ZN7rocprim17ROCPRIM_400000_NS6detail17trampoline_kernelINS0_14default_configENS1_25partition_config_selectorILNS1_17partition_subalgoE6EN6thrust23THRUST_200600_302600_NS5tupleIxxNS7_9null_typeES9_S9_S9_S9_S9_S9_S9_EENS0_10empty_typeEbEEZZNS1_14partition_implILS5_6ELb0ES3_mNS7_12zip_iteratorINS8_INS7_6detail15normal_iteratorINS7_10device_ptrIxEEEESJ_S9_S9_S9_S9_S9_S9_S9_S9_EEEEPSB_SM_NS0_5tupleIJNSE_INS8_ISJ_NS7_16discard_iteratorINS7_11use_defaultEEES9_S9_S9_S9_S9_S9_S9_S9_EEEESB_EEENSN_IJSM_SM_EEESB_PlJNSF_9not_fun_tINSF_14equal_to_valueISA_EEEEEEE10hipError_tPvRmT3_T4_T5_T6_T7_T9_mT8_P12ihipStream_tbDpT10_ENKUlT_T0_E_clISt17integral_constantIbLb0EES1I_IbLb1EEEEDaS1E_S1F_EUlS1E_E_NS1_11comp_targetILNS1_3genE4ELNS1_11target_archE910ELNS1_3gpuE8ELNS1_3repE0EEENS1_30default_config_static_selectorELNS0_4arch9wavefront6targetE0EEEvT1_,comdat
.Lfunc_end2007:
	.size	_ZN7rocprim17ROCPRIM_400000_NS6detail17trampoline_kernelINS0_14default_configENS1_25partition_config_selectorILNS1_17partition_subalgoE6EN6thrust23THRUST_200600_302600_NS5tupleIxxNS7_9null_typeES9_S9_S9_S9_S9_S9_S9_EENS0_10empty_typeEbEEZZNS1_14partition_implILS5_6ELb0ES3_mNS7_12zip_iteratorINS8_INS7_6detail15normal_iteratorINS7_10device_ptrIxEEEESJ_S9_S9_S9_S9_S9_S9_S9_S9_EEEEPSB_SM_NS0_5tupleIJNSE_INS8_ISJ_NS7_16discard_iteratorINS7_11use_defaultEEES9_S9_S9_S9_S9_S9_S9_S9_EEEESB_EEENSN_IJSM_SM_EEESB_PlJNSF_9not_fun_tINSF_14equal_to_valueISA_EEEEEEE10hipError_tPvRmT3_T4_T5_T6_T7_T9_mT8_P12ihipStream_tbDpT10_ENKUlT_T0_E_clISt17integral_constantIbLb0EES1I_IbLb1EEEEDaS1E_S1F_EUlS1E_E_NS1_11comp_targetILNS1_3genE4ELNS1_11target_archE910ELNS1_3gpuE8ELNS1_3repE0EEENS1_30default_config_static_selectorELNS0_4arch9wavefront6targetE0EEEvT1_, .Lfunc_end2007-_ZN7rocprim17ROCPRIM_400000_NS6detail17trampoline_kernelINS0_14default_configENS1_25partition_config_selectorILNS1_17partition_subalgoE6EN6thrust23THRUST_200600_302600_NS5tupleIxxNS7_9null_typeES9_S9_S9_S9_S9_S9_S9_EENS0_10empty_typeEbEEZZNS1_14partition_implILS5_6ELb0ES3_mNS7_12zip_iteratorINS8_INS7_6detail15normal_iteratorINS7_10device_ptrIxEEEESJ_S9_S9_S9_S9_S9_S9_S9_S9_EEEEPSB_SM_NS0_5tupleIJNSE_INS8_ISJ_NS7_16discard_iteratorINS7_11use_defaultEEES9_S9_S9_S9_S9_S9_S9_S9_EEEESB_EEENSN_IJSM_SM_EEESB_PlJNSF_9not_fun_tINSF_14equal_to_valueISA_EEEEEEE10hipError_tPvRmT3_T4_T5_T6_T7_T9_mT8_P12ihipStream_tbDpT10_ENKUlT_T0_E_clISt17integral_constantIbLb0EES1I_IbLb1EEEEDaS1E_S1F_EUlS1E_E_NS1_11comp_targetILNS1_3genE4ELNS1_11target_archE910ELNS1_3gpuE8ELNS1_3repE0EEENS1_30default_config_static_selectorELNS0_4arch9wavefront6targetE0EEEvT1_
                                        ; -- End function
	.set _ZN7rocprim17ROCPRIM_400000_NS6detail17trampoline_kernelINS0_14default_configENS1_25partition_config_selectorILNS1_17partition_subalgoE6EN6thrust23THRUST_200600_302600_NS5tupleIxxNS7_9null_typeES9_S9_S9_S9_S9_S9_S9_EENS0_10empty_typeEbEEZZNS1_14partition_implILS5_6ELb0ES3_mNS7_12zip_iteratorINS8_INS7_6detail15normal_iteratorINS7_10device_ptrIxEEEESJ_S9_S9_S9_S9_S9_S9_S9_S9_EEEEPSB_SM_NS0_5tupleIJNSE_INS8_ISJ_NS7_16discard_iteratorINS7_11use_defaultEEES9_S9_S9_S9_S9_S9_S9_S9_EEEESB_EEENSN_IJSM_SM_EEESB_PlJNSF_9not_fun_tINSF_14equal_to_valueISA_EEEEEEE10hipError_tPvRmT3_T4_T5_T6_T7_T9_mT8_P12ihipStream_tbDpT10_ENKUlT_T0_E_clISt17integral_constantIbLb0EES1I_IbLb1EEEEDaS1E_S1F_EUlS1E_E_NS1_11comp_targetILNS1_3genE4ELNS1_11target_archE910ELNS1_3gpuE8ELNS1_3repE0EEENS1_30default_config_static_selectorELNS0_4arch9wavefront6targetE0EEEvT1_.num_vgpr, 0
	.set _ZN7rocprim17ROCPRIM_400000_NS6detail17trampoline_kernelINS0_14default_configENS1_25partition_config_selectorILNS1_17partition_subalgoE6EN6thrust23THRUST_200600_302600_NS5tupleIxxNS7_9null_typeES9_S9_S9_S9_S9_S9_S9_EENS0_10empty_typeEbEEZZNS1_14partition_implILS5_6ELb0ES3_mNS7_12zip_iteratorINS8_INS7_6detail15normal_iteratorINS7_10device_ptrIxEEEESJ_S9_S9_S9_S9_S9_S9_S9_S9_EEEEPSB_SM_NS0_5tupleIJNSE_INS8_ISJ_NS7_16discard_iteratorINS7_11use_defaultEEES9_S9_S9_S9_S9_S9_S9_S9_EEEESB_EEENSN_IJSM_SM_EEESB_PlJNSF_9not_fun_tINSF_14equal_to_valueISA_EEEEEEE10hipError_tPvRmT3_T4_T5_T6_T7_T9_mT8_P12ihipStream_tbDpT10_ENKUlT_T0_E_clISt17integral_constantIbLb0EES1I_IbLb1EEEEDaS1E_S1F_EUlS1E_E_NS1_11comp_targetILNS1_3genE4ELNS1_11target_archE910ELNS1_3gpuE8ELNS1_3repE0EEENS1_30default_config_static_selectorELNS0_4arch9wavefront6targetE0EEEvT1_.num_agpr, 0
	.set _ZN7rocprim17ROCPRIM_400000_NS6detail17trampoline_kernelINS0_14default_configENS1_25partition_config_selectorILNS1_17partition_subalgoE6EN6thrust23THRUST_200600_302600_NS5tupleIxxNS7_9null_typeES9_S9_S9_S9_S9_S9_S9_EENS0_10empty_typeEbEEZZNS1_14partition_implILS5_6ELb0ES3_mNS7_12zip_iteratorINS8_INS7_6detail15normal_iteratorINS7_10device_ptrIxEEEESJ_S9_S9_S9_S9_S9_S9_S9_S9_EEEEPSB_SM_NS0_5tupleIJNSE_INS8_ISJ_NS7_16discard_iteratorINS7_11use_defaultEEES9_S9_S9_S9_S9_S9_S9_S9_EEEESB_EEENSN_IJSM_SM_EEESB_PlJNSF_9not_fun_tINSF_14equal_to_valueISA_EEEEEEE10hipError_tPvRmT3_T4_T5_T6_T7_T9_mT8_P12ihipStream_tbDpT10_ENKUlT_T0_E_clISt17integral_constantIbLb0EES1I_IbLb1EEEEDaS1E_S1F_EUlS1E_E_NS1_11comp_targetILNS1_3genE4ELNS1_11target_archE910ELNS1_3gpuE8ELNS1_3repE0EEENS1_30default_config_static_selectorELNS0_4arch9wavefront6targetE0EEEvT1_.numbered_sgpr, 0
	.set _ZN7rocprim17ROCPRIM_400000_NS6detail17trampoline_kernelINS0_14default_configENS1_25partition_config_selectorILNS1_17partition_subalgoE6EN6thrust23THRUST_200600_302600_NS5tupleIxxNS7_9null_typeES9_S9_S9_S9_S9_S9_S9_EENS0_10empty_typeEbEEZZNS1_14partition_implILS5_6ELb0ES3_mNS7_12zip_iteratorINS8_INS7_6detail15normal_iteratorINS7_10device_ptrIxEEEESJ_S9_S9_S9_S9_S9_S9_S9_S9_EEEEPSB_SM_NS0_5tupleIJNSE_INS8_ISJ_NS7_16discard_iteratorINS7_11use_defaultEEES9_S9_S9_S9_S9_S9_S9_S9_EEEESB_EEENSN_IJSM_SM_EEESB_PlJNSF_9not_fun_tINSF_14equal_to_valueISA_EEEEEEE10hipError_tPvRmT3_T4_T5_T6_T7_T9_mT8_P12ihipStream_tbDpT10_ENKUlT_T0_E_clISt17integral_constantIbLb0EES1I_IbLb1EEEEDaS1E_S1F_EUlS1E_E_NS1_11comp_targetILNS1_3genE4ELNS1_11target_archE910ELNS1_3gpuE8ELNS1_3repE0EEENS1_30default_config_static_selectorELNS0_4arch9wavefront6targetE0EEEvT1_.num_named_barrier, 0
	.set _ZN7rocprim17ROCPRIM_400000_NS6detail17trampoline_kernelINS0_14default_configENS1_25partition_config_selectorILNS1_17partition_subalgoE6EN6thrust23THRUST_200600_302600_NS5tupleIxxNS7_9null_typeES9_S9_S9_S9_S9_S9_S9_EENS0_10empty_typeEbEEZZNS1_14partition_implILS5_6ELb0ES3_mNS7_12zip_iteratorINS8_INS7_6detail15normal_iteratorINS7_10device_ptrIxEEEESJ_S9_S9_S9_S9_S9_S9_S9_S9_EEEEPSB_SM_NS0_5tupleIJNSE_INS8_ISJ_NS7_16discard_iteratorINS7_11use_defaultEEES9_S9_S9_S9_S9_S9_S9_S9_EEEESB_EEENSN_IJSM_SM_EEESB_PlJNSF_9not_fun_tINSF_14equal_to_valueISA_EEEEEEE10hipError_tPvRmT3_T4_T5_T6_T7_T9_mT8_P12ihipStream_tbDpT10_ENKUlT_T0_E_clISt17integral_constantIbLb0EES1I_IbLb1EEEEDaS1E_S1F_EUlS1E_E_NS1_11comp_targetILNS1_3genE4ELNS1_11target_archE910ELNS1_3gpuE8ELNS1_3repE0EEENS1_30default_config_static_selectorELNS0_4arch9wavefront6targetE0EEEvT1_.private_seg_size, 0
	.set _ZN7rocprim17ROCPRIM_400000_NS6detail17trampoline_kernelINS0_14default_configENS1_25partition_config_selectorILNS1_17partition_subalgoE6EN6thrust23THRUST_200600_302600_NS5tupleIxxNS7_9null_typeES9_S9_S9_S9_S9_S9_S9_EENS0_10empty_typeEbEEZZNS1_14partition_implILS5_6ELb0ES3_mNS7_12zip_iteratorINS8_INS7_6detail15normal_iteratorINS7_10device_ptrIxEEEESJ_S9_S9_S9_S9_S9_S9_S9_S9_EEEEPSB_SM_NS0_5tupleIJNSE_INS8_ISJ_NS7_16discard_iteratorINS7_11use_defaultEEES9_S9_S9_S9_S9_S9_S9_S9_EEEESB_EEENSN_IJSM_SM_EEESB_PlJNSF_9not_fun_tINSF_14equal_to_valueISA_EEEEEEE10hipError_tPvRmT3_T4_T5_T6_T7_T9_mT8_P12ihipStream_tbDpT10_ENKUlT_T0_E_clISt17integral_constantIbLb0EES1I_IbLb1EEEEDaS1E_S1F_EUlS1E_E_NS1_11comp_targetILNS1_3genE4ELNS1_11target_archE910ELNS1_3gpuE8ELNS1_3repE0EEENS1_30default_config_static_selectorELNS0_4arch9wavefront6targetE0EEEvT1_.uses_vcc, 0
	.set _ZN7rocprim17ROCPRIM_400000_NS6detail17trampoline_kernelINS0_14default_configENS1_25partition_config_selectorILNS1_17partition_subalgoE6EN6thrust23THRUST_200600_302600_NS5tupleIxxNS7_9null_typeES9_S9_S9_S9_S9_S9_S9_EENS0_10empty_typeEbEEZZNS1_14partition_implILS5_6ELb0ES3_mNS7_12zip_iteratorINS8_INS7_6detail15normal_iteratorINS7_10device_ptrIxEEEESJ_S9_S9_S9_S9_S9_S9_S9_S9_EEEEPSB_SM_NS0_5tupleIJNSE_INS8_ISJ_NS7_16discard_iteratorINS7_11use_defaultEEES9_S9_S9_S9_S9_S9_S9_S9_EEEESB_EEENSN_IJSM_SM_EEESB_PlJNSF_9not_fun_tINSF_14equal_to_valueISA_EEEEEEE10hipError_tPvRmT3_T4_T5_T6_T7_T9_mT8_P12ihipStream_tbDpT10_ENKUlT_T0_E_clISt17integral_constantIbLb0EES1I_IbLb1EEEEDaS1E_S1F_EUlS1E_E_NS1_11comp_targetILNS1_3genE4ELNS1_11target_archE910ELNS1_3gpuE8ELNS1_3repE0EEENS1_30default_config_static_selectorELNS0_4arch9wavefront6targetE0EEEvT1_.uses_flat_scratch, 0
	.set _ZN7rocprim17ROCPRIM_400000_NS6detail17trampoline_kernelINS0_14default_configENS1_25partition_config_selectorILNS1_17partition_subalgoE6EN6thrust23THRUST_200600_302600_NS5tupleIxxNS7_9null_typeES9_S9_S9_S9_S9_S9_S9_EENS0_10empty_typeEbEEZZNS1_14partition_implILS5_6ELb0ES3_mNS7_12zip_iteratorINS8_INS7_6detail15normal_iteratorINS7_10device_ptrIxEEEESJ_S9_S9_S9_S9_S9_S9_S9_S9_EEEEPSB_SM_NS0_5tupleIJNSE_INS8_ISJ_NS7_16discard_iteratorINS7_11use_defaultEEES9_S9_S9_S9_S9_S9_S9_S9_EEEESB_EEENSN_IJSM_SM_EEESB_PlJNSF_9not_fun_tINSF_14equal_to_valueISA_EEEEEEE10hipError_tPvRmT3_T4_T5_T6_T7_T9_mT8_P12ihipStream_tbDpT10_ENKUlT_T0_E_clISt17integral_constantIbLb0EES1I_IbLb1EEEEDaS1E_S1F_EUlS1E_E_NS1_11comp_targetILNS1_3genE4ELNS1_11target_archE910ELNS1_3gpuE8ELNS1_3repE0EEENS1_30default_config_static_selectorELNS0_4arch9wavefront6targetE0EEEvT1_.has_dyn_sized_stack, 0
	.set _ZN7rocprim17ROCPRIM_400000_NS6detail17trampoline_kernelINS0_14default_configENS1_25partition_config_selectorILNS1_17partition_subalgoE6EN6thrust23THRUST_200600_302600_NS5tupleIxxNS7_9null_typeES9_S9_S9_S9_S9_S9_S9_EENS0_10empty_typeEbEEZZNS1_14partition_implILS5_6ELb0ES3_mNS7_12zip_iteratorINS8_INS7_6detail15normal_iteratorINS7_10device_ptrIxEEEESJ_S9_S9_S9_S9_S9_S9_S9_S9_EEEEPSB_SM_NS0_5tupleIJNSE_INS8_ISJ_NS7_16discard_iteratorINS7_11use_defaultEEES9_S9_S9_S9_S9_S9_S9_S9_EEEESB_EEENSN_IJSM_SM_EEESB_PlJNSF_9not_fun_tINSF_14equal_to_valueISA_EEEEEEE10hipError_tPvRmT3_T4_T5_T6_T7_T9_mT8_P12ihipStream_tbDpT10_ENKUlT_T0_E_clISt17integral_constantIbLb0EES1I_IbLb1EEEEDaS1E_S1F_EUlS1E_E_NS1_11comp_targetILNS1_3genE4ELNS1_11target_archE910ELNS1_3gpuE8ELNS1_3repE0EEENS1_30default_config_static_selectorELNS0_4arch9wavefront6targetE0EEEvT1_.has_recursion, 0
	.set _ZN7rocprim17ROCPRIM_400000_NS6detail17trampoline_kernelINS0_14default_configENS1_25partition_config_selectorILNS1_17partition_subalgoE6EN6thrust23THRUST_200600_302600_NS5tupleIxxNS7_9null_typeES9_S9_S9_S9_S9_S9_S9_EENS0_10empty_typeEbEEZZNS1_14partition_implILS5_6ELb0ES3_mNS7_12zip_iteratorINS8_INS7_6detail15normal_iteratorINS7_10device_ptrIxEEEESJ_S9_S9_S9_S9_S9_S9_S9_S9_EEEEPSB_SM_NS0_5tupleIJNSE_INS8_ISJ_NS7_16discard_iteratorINS7_11use_defaultEEES9_S9_S9_S9_S9_S9_S9_S9_EEEESB_EEENSN_IJSM_SM_EEESB_PlJNSF_9not_fun_tINSF_14equal_to_valueISA_EEEEEEE10hipError_tPvRmT3_T4_T5_T6_T7_T9_mT8_P12ihipStream_tbDpT10_ENKUlT_T0_E_clISt17integral_constantIbLb0EES1I_IbLb1EEEEDaS1E_S1F_EUlS1E_E_NS1_11comp_targetILNS1_3genE4ELNS1_11target_archE910ELNS1_3gpuE8ELNS1_3repE0EEENS1_30default_config_static_selectorELNS0_4arch9wavefront6targetE0EEEvT1_.has_indirect_call, 0
	.section	.AMDGPU.csdata,"",@progbits
; Kernel info:
; codeLenInByte = 0
; TotalNumSgprs: 0
; NumVgprs: 0
; ScratchSize: 0
; MemoryBound: 0
; FloatMode: 240
; IeeeMode: 1
; LDSByteSize: 0 bytes/workgroup (compile time only)
; SGPRBlocks: 0
; VGPRBlocks: 0
; NumSGPRsForWavesPerEU: 1
; NumVGPRsForWavesPerEU: 1
; Occupancy: 16
; WaveLimiterHint : 0
; COMPUTE_PGM_RSRC2:SCRATCH_EN: 0
; COMPUTE_PGM_RSRC2:USER_SGPR: 2
; COMPUTE_PGM_RSRC2:TRAP_HANDLER: 0
; COMPUTE_PGM_RSRC2:TGID_X_EN: 1
; COMPUTE_PGM_RSRC2:TGID_Y_EN: 0
; COMPUTE_PGM_RSRC2:TGID_Z_EN: 0
; COMPUTE_PGM_RSRC2:TIDIG_COMP_CNT: 0
	.section	.text._ZN7rocprim17ROCPRIM_400000_NS6detail17trampoline_kernelINS0_14default_configENS1_25partition_config_selectorILNS1_17partition_subalgoE6EN6thrust23THRUST_200600_302600_NS5tupleIxxNS7_9null_typeES9_S9_S9_S9_S9_S9_S9_EENS0_10empty_typeEbEEZZNS1_14partition_implILS5_6ELb0ES3_mNS7_12zip_iteratorINS8_INS7_6detail15normal_iteratorINS7_10device_ptrIxEEEESJ_S9_S9_S9_S9_S9_S9_S9_S9_EEEEPSB_SM_NS0_5tupleIJNSE_INS8_ISJ_NS7_16discard_iteratorINS7_11use_defaultEEES9_S9_S9_S9_S9_S9_S9_S9_EEEESB_EEENSN_IJSM_SM_EEESB_PlJNSF_9not_fun_tINSF_14equal_to_valueISA_EEEEEEE10hipError_tPvRmT3_T4_T5_T6_T7_T9_mT8_P12ihipStream_tbDpT10_ENKUlT_T0_E_clISt17integral_constantIbLb0EES1I_IbLb1EEEEDaS1E_S1F_EUlS1E_E_NS1_11comp_targetILNS1_3genE3ELNS1_11target_archE908ELNS1_3gpuE7ELNS1_3repE0EEENS1_30default_config_static_selectorELNS0_4arch9wavefront6targetE0EEEvT1_,"axG",@progbits,_ZN7rocprim17ROCPRIM_400000_NS6detail17trampoline_kernelINS0_14default_configENS1_25partition_config_selectorILNS1_17partition_subalgoE6EN6thrust23THRUST_200600_302600_NS5tupleIxxNS7_9null_typeES9_S9_S9_S9_S9_S9_S9_EENS0_10empty_typeEbEEZZNS1_14partition_implILS5_6ELb0ES3_mNS7_12zip_iteratorINS8_INS7_6detail15normal_iteratorINS7_10device_ptrIxEEEESJ_S9_S9_S9_S9_S9_S9_S9_S9_EEEEPSB_SM_NS0_5tupleIJNSE_INS8_ISJ_NS7_16discard_iteratorINS7_11use_defaultEEES9_S9_S9_S9_S9_S9_S9_S9_EEEESB_EEENSN_IJSM_SM_EEESB_PlJNSF_9not_fun_tINSF_14equal_to_valueISA_EEEEEEE10hipError_tPvRmT3_T4_T5_T6_T7_T9_mT8_P12ihipStream_tbDpT10_ENKUlT_T0_E_clISt17integral_constantIbLb0EES1I_IbLb1EEEEDaS1E_S1F_EUlS1E_E_NS1_11comp_targetILNS1_3genE3ELNS1_11target_archE908ELNS1_3gpuE7ELNS1_3repE0EEENS1_30default_config_static_selectorELNS0_4arch9wavefront6targetE0EEEvT1_,comdat
	.protected	_ZN7rocprim17ROCPRIM_400000_NS6detail17trampoline_kernelINS0_14default_configENS1_25partition_config_selectorILNS1_17partition_subalgoE6EN6thrust23THRUST_200600_302600_NS5tupleIxxNS7_9null_typeES9_S9_S9_S9_S9_S9_S9_EENS0_10empty_typeEbEEZZNS1_14partition_implILS5_6ELb0ES3_mNS7_12zip_iteratorINS8_INS7_6detail15normal_iteratorINS7_10device_ptrIxEEEESJ_S9_S9_S9_S9_S9_S9_S9_S9_EEEEPSB_SM_NS0_5tupleIJNSE_INS8_ISJ_NS7_16discard_iteratorINS7_11use_defaultEEES9_S9_S9_S9_S9_S9_S9_S9_EEEESB_EEENSN_IJSM_SM_EEESB_PlJNSF_9not_fun_tINSF_14equal_to_valueISA_EEEEEEE10hipError_tPvRmT3_T4_T5_T6_T7_T9_mT8_P12ihipStream_tbDpT10_ENKUlT_T0_E_clISt17integral_constantIbLb0EES1I_IbLb1EEEEDaS1E_S1F_EUlS1E_E_NS1_11comp_targetILNS1_3genE3ELNS1_11target_archE908ELNS1_3gpuE7ELNS1_3repE0EEENS1_30default_config_static_selectorELNS0_4arch9wavefront6targetE0EEEvT1_ ; -- Begin function _ZN7rocprim17ROCPRIM_400000_NS6detail17trampoline_kernelINS0_14default_configENS1_25partition_config_selectorILNS1_17partition_subalgoE6EN6thrust23THRUST_200600_302600_NS5tupleIxxNS7_9null_typeES9_S9_S9_S9_S9_S9_S9_EENS0_10empty_typeEbEEZZNS1_14partition_implILS5_6ELb0ES3_mNS7_12zip_iteratorINS8_INS7_6detail15normal_iteratorINS7_10device_ptrIxEEEESJ_S9_S9_S9_S9_S9_S9_S9_S9_EEEEPSB_SM_NS0_5tupleIJNSE_INS8_ISJ_NS7_16discard_iteratorINS7_11use_defaultEEES9_S9_S9_S9_S9_S9_S9_S9_EEEESB_EEENSN_IJSM_SM_EEESB_PlJNSF_9not_fun_tINSF_14equal_to_valueISA_EEEEEEE10hipError_tPvRmT3_T4_T5_T6_T7_T9_mT8_P12ihipStream_tbDpT10_ENKUlT_T0_E_clISt17integral_constantIbLb0EES1I_IbLb1EEEEDaS1E_S1F_EUlS1E_E_NS1_11comp_targetILNS1_3genE3ELNS1_11target_archE908ELNS1_3gpuE7ELNS1_3repE0EEENS1_30default_config_static_selectorELNS0_4arch9wavefront6targetE0EEEvT1_
	.globl	_ZN7rocprim17ROCPRIM_400000_NS6detail17trampoline_kernelINS0_14default_configENS1_25partition_config_selectorILNS1_17partition_subalgoE6EN6thrust23THRUST_200600_302600_NS5tupleIxxNS7_9null_typeES9_S9_S9_S9_S9_S9_S9_EENS0_10empty_typeEbEEZZNS1_14partition_implILS5_6ELb0ES3_mNS7_12zip_iteratorINS8_INS7_6detail15normal_iteratorINS7_10device_ptrIxEEEESJ_S9_S9_S9_S9_S9_S9_S9_S9_EEEEPSB_SM_NS0_5tupleIJNSE_INS8_ISJ_NS7_16discard_iteratorINS7_11use_defaultEEES9_S9_S9_S9_S9_S9_S9_S9_EEEESB_EEENSN_IJSM_SM_EEESB_PlJNSF_9not_fun_tINSF_14equal_to_valueISA_EEEEEEE10hipError_tPvRmT3_T4_T5_T6_T7_T9_mT8_P12ihipStream_tbDpT10_ENKUlT_T0_E_clISt17integral_constantIbLb0EES1I_IbLb1EEEEDaS1E_S1F_EUlS1E_E_NS1_11comp_targetILNS1_3genE3ELNS1_11target_archE908ELNS1_3gpuE7ELNS1_3repE0EEENS1_30default_config_static_selectorELNS0_4arch9wavefront6targetE0EEEvT1_
	.p2align	8
	.type	_ZN7rocprim17ROCPRIM_400000_NS6detail17trampoline_kernelINS0_14default_configENS1_25partition_config_selectorILNS1_17partition_subalgoE6EN6thrust23THRUST_200600_302600_NS5tupleIxxNS7_9null_typeES9_S9_S9_S9_S9_S9_S9_EENS0_10empty_typeEbEEZZNS1_14partition_implILS5_6ELb0ES3_mNS7_12zip_iteratorINS8_INS7_6detail15normal_iteratorINS7_10device_ptrIxEEEESJ_S9_S9_S9_S9_S9_S9_S9_S9_EEEEPSB_SM_NS0_5tupleIJNSE_INS8_ISJ_NS7_16discard_iteratorINS7_11use_defaultEEES9_S9_S9_S9_S9_S9_S9_S9_EEEESB_EEENSN_IJSM_SM_EEESB_PlJNSF_9not_fun_tINSF_14equal_to_valueISA_EEEEEEE10hipError_tPvRmT3_T4_T5_T6_T7_T9_mT8_P12ihipStream_tbDpT10_ENKUlT_T0_E_clISt17integral_constantIbLb0EES1I_IbLb1EEEEDaS1E_S1F_EUlS1E_E_NS1_11comp_targetILNS1_3genE3ELNS1_11target_archE908ELNS1_3gpuE7ELNS1_3repE0EEENS1_30default_config_static_selectorELNS0_4arch9wavefront6targetE0EEEvT1_,@function
_ZN7rocprim17ROCPRIM_400000_NS6detail17trampoline_kernelINS0_14default_configENS1_25partition_config_selectorILNS1_17partition_subalgoE6EN6thrust23THRUST_200600_302600_NS5tupleIxxNS7_9null_typeES9_S9_S9_S9_S9_S9_S9_EENS0_10empty_typeEbEEZZNS1_14partition_implILS5_6ELb0ES3_mNS7_12zip_iteratorINS8_INS7_6detail15normal_iteratorINS7_10device_ptrIxEEEESJ_S9_S9_S9_S9_S9_S9_S9_S9_EEEEPSB_SM_NS0_5tupleIJNSE_INS8_ISJ_NS7_16discard_iteratorINS7_11use_defaultEEES9_S9_S9_S9_S9_S9_S9_S9_EEEESB_EEENSN_IJSM_SM_EEESB_PlJNSF_9not_fun_tINSF_14equal_to_valueISA_EEEEEEE10hipError_tPvRmT3_T4_T5_T6_T7_T9_mT8_P12ihipStream_tbDpT10_ENKUlT_T0_E_clISt17integral_constantIbLb0EES1I_IbLb1EEEEDaS1E_S1F_EUlS1E_E_NS1_11comp_targetILNS1_3genE3ELNS1_11target_archE908ELNS1_3gpuE7ELNS1_3repE0EEENS1_30default_config_static_selectorELNS0_4arch9wavefront6targetE0EEEvT1_: ; @_ZN7rocprim17ROCPRIM_400000_NS6detail17trampoline_kernelINS0_14default_configENS1_25partition_config_selectorILNS1_17partition_subalgoE6EN6thrust23THRUST_200600_302600_NS5tupleIxxNS7_9null_typeES9_S9_S9_S9_S9_S9_S9_EENS0_10empty_typeEbEEZZNS1_14partition_implILS5_6ELb0ES3_mNS7_12zip_iteratorINS8_INS7_6detail15normal_iteratorINS7_10device_ptrIxEEEESJ_S9_S9_S9_S9_S9_S9_S9_S9_EEEEPSB_SM_NS0_5tupleIJNSE_INS8_ISJ_NS7_16discard_iteratorINS7_11use_defaultEEES9_S9_S9_S9_S9_S9_S9_S9_EEEESB_EEENSN_IJSM_SM_EEESB_PlJNSF_9not_fun_tINSF_14equal_to_valueISA_EEEEEEE10hipError_tPvRmT3_T4_T5_T6_T7_T9_mT8_P12ihipStream_tbDpT10_ENKUlT_T0_E_clISt17integral_constantIbLb0EES1I_IbLb1EEEEDaS1E_S1F_EUlS1E_E_NS1_11comp_targetILNS1_3genE3ELNS1_11target_archE908ELNS1_3gpuE7ELNS1_3repE0EEENS1_30default_config_static_selectorELNS0_4arch9wavefront6targetE0EEEvT1_
; %bb.0:
	.section	.rodata,"a",@progbits
	.p2align	6, 0x0
	.amdhsa_kernel _ZN7rocprim17ROCPRIM_400000_NS6detail17trampoline_kernelINS0_14default_configENS1_25partition_config_selectorILNS1_17partition_subalgoE6EN6thrust23THRUST_200600_302600_NS5tupleIxxNS7_9null_typeES9_S9_S9_S9_S9_S9_S9_EENS0_10empty_typeEbEEZZNS1_14partition_implILS5_6ELb0ES3_mNS7_12zip_iteratorINS8_INS7_6detail15normal_iteratorINS7_10device_ptrIxEEEESJ_S9_S9_S9_S9_S9_S9_S9_S9_EEEEPSB_SM_NS0_5tupleIJNSE_INS8_ISJ_NS7_16discard_iteratorINS7_11use_defaultEEES9_S9_S9_S9_S9_S9_S9_S9_EEEESB_EEENSN_IJSM_SM_EEESB_PlJNSF_9not_fun_tINSF_14equal_to_valueISA_EEEEEEE10hipError_tPvRmT3_T4_T5_T6_T7_T9_mT8_P12ihipStream_tbDpT10_ENKUlT_T0_E_clISt17integral_constantIbLb0EES1I_IbLb1EEEEDaS1E_S1F_EUlS1E_E_NS1_11comp_targetILNS1_3genE3ELNS1_11target_archE908ELNS1_3gpuE7ELNS1_3repE0EEENS1_30default_config_static_selectorELNS0_4arch9wavefront6targetE0EEEvT1_
		.amdhsa_group_segment_fixed_size 0
		.amdhsa_private_segment_fixed_size 0
		.amdhsa_kernarg_size 160
		.amdhsa_user_sgpr_count 2
		.amdhsa_user_sgpr_dispatch_ptr 0
		.amdhsa_user_sgpr_queue_ptr 0
		.amdhsa_user_sgpr_kernarg_segment_ptr 1
		.amdhsa_user_sgpr_dispatch_id 0
		.amdhsa_user_sgpr_private_segment_size 0
		.amdhsa_wavefront_size32 1
		.amdhsa_uses_dynamic_stack 0
		.amdhsa_enable_private_segment 0
		.amdhsa_system_sgpr_workgroup_id_x 1
		.amdhsa_system_sgpr_workgroup_id_y 0
		.amdhsa_system_sgpr_workgroup_id_z 0
		.amdhsa_system_sgpr_workgroup_info 0
		.amdhsa_system_vgpr_workitem_id 0
		.amdhsa_next_free_vgpr 1
		.amdhsa_next_free_sgpr 1
		.amdhsa_reserve_vcc 0
		.amdhsa_float_round_mode_32 0
		.amdhsa_float_round_mode_16_64 0
		.amdhsa_float_denorm_mode_32 3
		.amdhsa_float_denorm_mode_16_64 3
		.amdhsa_fp16_overflow 0
		.amdhsa_workgroup_processor_mode 1
		.amdhsa_memory_ordered 1
		.amdhsa_forward_progress 1
		.amdhsa_inst_pref_size 0
		.amdhsa_round_robin_scheduling 0
		.amdhsa_exception_fp_ieee_invalid_op 0
		.amdhsa_exception_fp_denorm_src 0
		.amdhsa_exception_fp_ieee_div_zero 0
		.amdhsa_exception_fp_ieee_overflow 0
		.amdhsa_exception_fp_ieee_underflow 0
		.amdhsa_exception_fp_ieee_inexact 0
		.amdhsa_exception_int_div_zero 0
	.end_amdhsa_kernel
	.section	.text._ZN7rocprim17ROCPRIM_400000_NS6detail17trampoline_kernelINS0_14default_configENS1_25partition_config_selectorILNS1_17partition_subalgoE6EN6thrust23THRUST_200600_302600_NS5tupleIxxNS7_9null_typeES9_S9_S9_S9_S9_S9_S9_EENS0_10empty_typeEbEEZZNS1_14partition_implILS5_6ELb0ES3_mNS7_12zip_iteratorINS8_INS7_6detail15normal_iteratorINS7_10device_ptrIxEEEESJ_S9_S9_S9_S9_S9_S9_S9_S9_EEEEPSB_SM_NS0_5tupleIJNSE_INS8_ISJ_NS7_16discard_iteratorINS7_11use_defaultEEES9_S9_S9_S9_S9_S9_S9_S9_EEEESB_EEENSN_IJSM_SM_EEESB_PlJNSF_9not_fun_tINSF_14equal_to_valueISA_EEEEEEE10hipError_tPvRmT3_T4_T5_T6_T7_T9_mT8_P12ihipStream_tbDpT10_ENKUlT_T0_E_clISt17integral_constantIbLb0EES1I_IbLb1EEEEDaS1E_S1F_EUlS1E_E_NS1_11comp_targetILNS1_3genE3ELNS1_11target_archE908ELNS1_3gpuE7ELNS1_3repE0EEENS1_30default_config_static_selectorELNS0_4arch9wavefront6targetE0EEEvT1_,"axG",@progbits,_ZN7rocprim17ROCPRIM_400000_NS6detail17trampoline_kernelINS0_14default_configENS1_25partition_config_selectorILNS1_17partition_subalgoE6EN6thrust23THRUST_200600_302600_NS5tupleIxxNS7_9null_typeES9_S9_S9_S9_S9_S9_S9_EENS0_10empty_typeEbEEZZNS1_14partition_implILS5_6ELb0ES3_mNS7_12zip_iteratorINS8_INS7_6detail15normal_iteratorINS7_10device_ptrIxEEEESJ_S9_S9_S9_S9_S9_S9_S9_S9_EEEEPSB_SM_NS0_5tupleIJNSE_INS8_ISJ_NS7_16discard_iteratorINS7_11use_defaultEEES9_S9_S9_S9_S9_S9_S9_S9_EEEESB_EEENSN_IJSM_SM_EEESB_PlJNSF_9not_fun_tINSF_14equal_to_valueISA_EEEEEEE10hipError_tPvRmT3_T4_T5_T6_T7_T9_mT8_P12ihipStream_tbDpT10_ENKUlT_T0_E_clISt17integral_constantIbLb0EES1I_IbLb1EEEEDaS1E_S1F_EUlS1E_E_NS1_11comp_targetILNS1_3genE3ELNS1_11target_archE908ELNS1_3gpuE7ELNS1_3repE0EEENS1_30default_config_static_selectorELNS0_4arch9wavefront6targetE0EEEvT1_,comdat
.Lfunc_end2008:
	.size	_ZN7rocprim17ROCPRIM_400000_NS6detail17trampoline_kernelINS0_14default_configENS1_25partition_config_selectorILNS1_17partition_subalgoE6EN6thrust23THRUST_200600_302600_NS5tupleIxxNS7_9null_typeES9_S9_S9_S9_S9_S9_S9_EENS0_10empty_typeEbEEZZNS1_14partition_implILS5_6ELb0ES3_mNS7_12zip_iteratorINS8_INS7_6detail15normal_iteratorINS7_10device_ptrIxEEEESJ_S9_S9_S9_S9_S9_S9_S9_S9_EEEEPSB_SM_NS0_5tupleIJNSE_INS8_ISJ_NS7_16discard_iteratorINS7_11use_defaultEEES9_S9_S9_S9_S9_S9_S9_S9_EEEESB_EEENSN_IJSM_SM_EEESB_PlJNSF_9not_fun_tINSF_14equal_to_valueISA_EEEEEEE10hipError_tPvRmT3_T4_T5_T6_T7_T9_mT8_P12ihipStream_tbDpT10_ENKUlT_T0_E_clISt17integral_constantIbLb0EES1I_IbLb1EEEEDaS1E_S1F_EUlS1E_E_NS1_11comp_targetILNS1_3genE3ELNS1_11target_archE908ELNS1_3gpuE7ELNS1_3repE0EEENS1_30default_config_static_selectorELNS0_4arch9wavefront6targetE0EEEvT1_, .Lfunc_end2008-_ZN7rocprim17ROCPRIM_400000_NS6detail17trampoline_kernelINS0_14default_configENS1_25partition_config_selectorILNS1_17partition_subalgoE6EN6thrust23THRUST_200600_302600_NS5tupleIxxNS7_9null_typeES9_S9_S9_S9_S9_S9_S9_EENS0_10empty_typeEbEEZZNS1_14partition_implILS5_6ELb0ES3_mNS7_12zip_iteratorINS8_INS7_6detail15normal_iteratorINS7_10device_ptrIxEEEESJ_S9_S9_S9_S9_S9_S9_S9_S9_EEEEPSB_SM_NS0_5tupleIJNSE_INS8_ISJ_NS7_16discard_iteratorINS7_11use_defaultEEES9_S9_S9_S9_S9_S9_S9_S9_EEEESB_EEENSN_IJSM_SM_EEESB_PlJNSF_9not_fun_tINSF_14equal_to_valueISA_EEEEEEE10hipError_tPvRmT3_T4_T5_T6_T7_T9_mT8_P12ihipStream_tbDpT10_ENKUlT_T0_E_clISt17integral_constantIbLb0EES1I_IbLb1EEEEDaS1E_S1F_EUlS1E_E_NS1_11comp_targetILNS1_3genE3ELNS1_11target_archE908ELNS1_3gpuE7ELNS1_3repE0EEENS1_30default_config_static_selectorELNS0_4arch9wavefront6targetE0EEEvT1_
                                        ; -- End function
	.set _ZN7rocprim17ROCPRIM_400000_NS6detail17trampoline_kernelINS0_14default_configENS1_25partition_config_selectorILNS1_17partition_subalgoE6EN6thrust23THRUST_200600_302600_NS5tupleIxxNS7_9null_typeES9_S9_S9_S9_S9_S9_S9_EENS0_10empty_typeEbEEZZNS1_14partition_implILS5_6ELb0ES3_mNS7_12zip_iteratorINS8_INS7_6detail15normal_iteratorINS7_10device_ptrIxEEEESJ_S9_S9_S9_S9_S9_S9_S9_S9_EEEEPSB_SM_NS0_5tupleIJNSE_INS8_ISJ_NS7_16discard_iteratorINS7_11use_defaultEEES9_S9_S9_S9_S9_S9_S9_S9_EEEESB_EEENSN_IJSM_SM_EEESB_PlJNSF_9not_fun_tINSF_14equal_to_valueISA_EEEEEEE10hipError_tPvRmT3_T4_T5_T6_T7_T9_mT8_P12ihipStream_tbDpT10_ENKUlT_T0_E_clISt17integral_constantIbLb0EES1I_IbLb1EEEEDaS1E_S1F_EUlS1E_E_NS1_11comp_targetILNS1_3genE3ELNS1_11target_archE908ELNS1_3gpuE7ELNS1_3repE0EEENS1_30default_config_static_selectorELNS0_4arch9wavefront6targetE0EEEvT1_.num_vgpr, 0
	.set _ZN7rocprim17ROCPRIM_400000_NS6detail17trampoline_kernelINS0_14default_configENS1_25partition_config_selectorILNS1_17partition_subalgoE6EN6thrust23THRUST_200600_302600_NS5tupleIxxNS7_9null_typeES9_S9_S9_S9_S9_S9_S9_EENS0_10empty_typeEbEEZZNS1_14partition_implILS5_6ELb0ES3_mNS7_12zip_iteratorINS8_INS7_6detail15normal_iteratorINS7_10device_ptrIxEEEESJ_S9_S9_S9_S9_S9_S9_S9_S9_EEEEPSB_SM_NS0_5tupleIJNSE_INS8_ISJ_NS7_16discard_iteratorINS7_11use_defaultEEES9_S9_S9_S9_S9_S9_S9_S9_EEEESB_EEENSN_IJSM_SM_EEESB_PlJNSF_9not_fun_tINSF_14equal_to_valueISA_EEEEEEE10hipError_tPvRmT3_T4_T5_T6_T7_T9_mT8_P12ihipStream_tbDpT10_ENKUlT_T0_E_clISt17integral_constantIbLb0EES1I_IbLb1EEEEDaS1E_S1F_EUlS1E_E_NS1_11comp_targetILNS1_3genE3ELNS1_11target_archE908ELNS1_3gpuE7ELNS1_3repE0EEENS1_30default_config_static_selectorELNS0_4arch9wavefront6targetE0EEEvT1_.num_agpr, 0
	.set _ZN7rocprim17ROCPRIM_400000_NS6detail17trampoline_kernelINS0_14default_configENS1_25partition_config_selectorILNS1_17partition_subalgoE6EN6thrust23THRUST_200600_302600_NS5tupleIxxNS7_9null_typeES9_S9_S9_S9_S9_S9_S9_EENS0_10empty_typeEbEEZZNS1_14partition_implILS5_6ELb0ES3_mNS7_12zip_iteratorINS8_INS7_6detail15normal_iteratorINS7_10device_ptrIxEEEESJ_S9_S9_S9_S9_S9_S9_S9_S9_EEEEPSB_SM_NS0_5tupleIJNSE_INS8_ISJ_NS7_16discard_iteratorINS7_11use_defaultEEES9_S9_S9_S9_S9_S9_S9_S9_EEEESB_EEENSN_IJSM_SM_EEESB_PlJNSF_9not_fun_tINSF_14equal_to_valueISA_EEEEEEE10hipError_tPvRmT3_T4_T5_T6_T7_T9_mT8_P12ihipStream_tbDpT10_ENKUlT_T0_E_clISt17integral_constantIbLb0EES1I_IbLb1EEEEDaS1E_S1F_EUlS1E_E_NS1_11comp_targetILNS1_3genE3ELNS1_11target_archE908ELNS1_3gpuE7ELNS1_3repE0EEENS1_30default_config_static_selectorELNS0_4arch9wavefront6targetE0EEEvT1_.numbered_sgpr, 0
	.set _ZN7rocprim17ROCPRIM_400000_NS6detail17trampoline_kernelINS0_14default_configENS1_25partition_config_selectorILNS1_17partition_subalgoE6EN6thrust23THRUST_200600_302600_NS5tupleIxxNS7_9null_typeES9_S9_S9_S9_S9_S9_S9_EENS0_10empty_typeEbEEZZNS1_14partition_implILS5_6ELb0ES3_mNS7_12zip_iteratorINS8_INS7_6detail15normal_iteratorINS7_10device_ptrIxEEEESJ_S9_S9_S9_S9_S9_S9_S9_S9_EEEEPSB_SM_NS0_5tupleIJNSE_INS8_ISJ_NS7_16discard_iteratorINS7_11use_defaultEEES9_S9_S9_S9_S9_S9_S9_S9_EEEESB_EEENSN_IJSM_SM_EEESB_PlJNSF_9not_fun_tINSF_14equal_to_valueISA_EEEEEEE10hipError_tPvRmT3_T4_T5_T6_T7_T9_mT8_P12ihipStream_tbDpT10_ENKUlT_T0_E_clISt17integral_constantIbLb0EES1I_IbLb1EEEEDaS1E_S1F_EUlS1E_E_NS1_11comp_targetILNS1_3genE3ELNS1_11target_archE908ELNS1_3gpuE7ELNS1_3repE0EEENS1_30default_config_static_selectorELNS0_4arch9wavefront6targetE0EEEvT1_.num_named_barrier, 0
	.set _ZN7rocprim17ROCPRIM_400000_NS6detail17trampoline_kernelINS0_14default_configENS1_25partition_config_selectorILNS1_17partition_subalgoE6EN6thrust23THRUST_200600_302600_NS5tupleIxxNS7_9null_typeES9_S9_S9_S9_S9_S9_S9_EENS0_10empty_typeEbEEZZNS1_14partition_implILS5_6ELb0ES3_mNS7_12zip_iteratorINS8_INS7_6detail15normal_iteratorINS7_10device_ptrIxEEEESJ_S9_S9_S9_S9_S9_S9_S9_S9_EEEEPSB_SM_NS0_5tupleIJNSE_INS8_ISJ_NS7_16discard_iteratorINS7_11use_defaultEEES9_S9_S9_S9_S9_S9_S9_S9_EEEESB_EEENSN_IJSM_SM_EEESB_PlJNSF_9not_fun_tINSF_14equal_to_valueISA_EEEEEEE10hipError_tPvRmT3_T4_T5_T6_T7_T9_mT8_P12ihipStream_tbDpT10_ENKUlT_T0_E_clISt17integral_constantIbLb0EES1I_IbLb1EEEEDaS1E_S1F_EUlS1E_E_NS1_11comp_targetILNS1_3genE3ELNS1_11target_archE908ELNS1_3gpuE7ELNS1_3repE0EEENS1_30default_config_static_selectorELNS0_4arch9wavefront6targetE0EEEvT1_.private_seg_size, 0
	.set _ZN7rocprim17ROCPRIM_400000_NS6detail17trampoline_kernelINS0_14default_configENS1_25partition_config_selectorILNS1_17partition_subalgoE6EN6thrust23THRUST_200600_302600_NS5tupleIxxNS7_9null_typeES9_S9_S9_S9_S9_S9_S9_EENS0_10empty_typeEbEEZZNS1_14partition_implILS5_6ELb0ES3_mNS7_12zip_iteratorINS8_INS7_6detail15normal_iteratorINS7_10device_ptrIxEEEESJ_S9_S9_S9_S9_S9_S9_S9_S9_EEEEPSB_SM_NS0_5tupleIJNSE_INS8_ISJ_NS7_16discard_iteratorINS7_11use_defaultEEES9_S9_S9_S9_S9_S9_S9_S9_EEEESB_EEENSN_IJSM_SM_EEESB_PlJNSF_9not_fun_tINSF_14equal_to_valueISA_EEEEEEE10hipError_tPvRmT3_T4_T5_T6_T7_T9_mT8_P12ihipStream_tbDpT10_ENKUlT_T0_E_clISt17integral_constantIbLb0EES1I_IbLb1EEEEDaS1E_S1F_EUlS1E_E_NS1_11comp_targetILNS1_3genE3ELNS1_11target_archE908ELNS1_3gpuE7ELNS1_3repE0EEENS1_30default_config_static_selectorELNS0_4arch9wavefront6targetE0EEEvT1_.uses_vcc, 0
	.set _ZN7rocprim17ROCPRIM_400000_NS6detail17trampoline_kernelINS0_14default_configENS1_25partition_config_selectorILNS1_17partition_subalgoE6EN6thrust23THRUST_200600_302600_NS5tupleIxxNS7_9null_typeES9_S9_S9_S9_S9_S9_S9_EENS0_10empty_typeEbEEZZNS1_14partition_implILS5_6ELb0ES3_mNS7_12zip_iteratorINS8_INS7_6detail15normal_iteratorINS7_10device_ptrIxEEEESJ_S9_S9_S9_S9_S9_S9_S9_S9_EEEEPSB_SM_NS0_5tupleIJNSE_INS8_ISJ_NS7_16discard_iteratorINS7_11use_defaultEEES9_S9_S9_S9_S9_S9_S9_S9_EEEESB_EEENSN_IJSM_SM_EEESB_PlJNSF_9not_fun_tINSF_14equal_to_valueISA_EEEEEEE10hipError_tPvRmT3_T4_T5_T6_T7_T9_mT8_P12ihipStream_tbDpT10_ENKUlT_T0_E_clISt17integral_constantIbLb0EES1I_IbLb1EEEEDaS1E_S1F_EUlS1E_E_NS1_11comp_targetILNS1_3genE3ELNS1_11target_archE908ELNS1_3gpuE7ELNS1_3repE0EEENS1_30default_config_static_selectorELNS0_4arch9wavefront6targetE0EEEvT1_.uses_flat_scratch, 0
	.set _ZN7rocprim17ROCPRIM_400000_NS6detail17trampoline_kernelINS0_14default_configENS1_25partition_config_selectorILNS1_17partition_subalgoE6EN6thrust23THRUST_200600_302600_NS5tupleIxxNS7_9null_typeES9_S9_S9_S9_S9_S9_S9_EENS0_10empty_typeEbEEZZNS1_14partition_implILS5_6ELb0ES3_mNS7_12zip_iteratorINS8_INS7_6detail15normal_iteratorINS7_10device_ptrIxEEEESJ_S9_S9_S9_S9_S9_S9_S9_S9_EEEEPSB_SM_NS0_5tupleIJNSE_INS8_ISJ_NS7_16discard_iteratorINS7_11use_defaultEEES9_S9_S9_S9_S9_S9_S9_S9_EEEESB_EEENSN_IJSM_SM_EEESB_PlJNSF_9not_fun_tINSF_14equal_to_valueISA_EEEEEEE10hipError_tPvRmT3_T4_T5_T6_T7_T9_mT8_P12ihipStream_tbDpT10_ENKUlT_T0_E_clISt17integral_constantIbLb0EES1I_IbLb1EEEEDaS1E_S1F_EUlS1E_E_NS1_11comp_targetILNS1_3genE3ELNS1_11target_archE908ELNS1_3gpuE7ELNS1_3repE0EEENS1_30default_config_static_selectorELNS0_4arch9wavefront6targetE0EEEvT1_.has_dyn_sized_stack, 0
	.set _ZN7rocprim17ROCPRIM_400000_NS6detail17trampoline_kernelINS0_14default_configENS1_25partition_config_selectorILNS1_17partition_subalgoE6EN6thrust23THRUST_200600_302600_NS5tupleIxxNS7_9null_typeES9_S9_S9_S9_S9_S9_S9_EENS0_10empty_typeEbEEZZNS1_14partition_implILS5_6ELb0ES3_mNS7_12zip_iteratorINS8_INS7_6detail15normal_iteratorINS7_10device_ptrIxEEEESJ_S9_S9_S9_S9_S9_S9_S9_S9_EEEEPSB_SM_NS0_5tupleIJNSE_INS8_ISJ_NS7_16discard_iteratorINS7_11use_defaultEEES9_S9_S9_S9_S9_S9_S9_S9_EEEESB_EEENSN_IJSM_SM_EEESB_PlJNSF_9not_fun_tINSF_14equal_to_valueISA_EEEEEEE10hipError_tPvRmT3_T4_T5_T6_T7_T9_mT8_P12ihipStream_tbDpT10_ENKUlT_T0_E_clISt17integral_constantIbLb0EES1I_IbLb1EEEEDaS1E_S1F_EUlS1E_E_NS1_11comp_targetILNS1_3genE3ELNS1_11target_archE908ELNS1_3gpuE7ELNS1_3repE0EEENS1_30default_config_static_selectorELNS0_4arch9wavefront6targetE0EEEvT1_.has_recursion, 0
	.set _ZN7rocprim17ROCPRIM_400000_NS6detail17trampoline_kernelINS0_14default_configENS1_25partition_config_selectorILNS1_17partition_subalgoE6EN6thrust23THRUST_200600_302600_NS5tupleIxxNS7_9null_typeES9_S9_S9_S9_S9_S9_S9_EENS0_10empty_typeEbEEZZNS1_14partition_implILS5_6ELb0ES3_mNS7_12zip_iteratorINS8_INS7_6detail15normal_iteratorINS7_10device_ptrIxEEEESJ_S9_S9_S9_S9_S9_S9_S9_S9_EEEEPSB_SM_NS0_5tupleIJNSE_INS8_ISJ_NS7_16discard_iteratorINS7_11use_defaultEEES9_S9_S9_S9_S9_S9_S9_S9_EEEESB_EEENSN_IJSM_SM_EEESB_PlJNSF_9not_fun_tINSF_14equal_to_valueISA_EEEEEEE10hipError_tPvRmT3_T4_T5_T6_T7_T9_mT8_P12ihipStream_tbDpT10_ENKUlT_T0_E_clISt17integral_constantIbLb0EES1I_IbLb1EEEEDaS1E_S1F_EUlS1E_E_NS1_11comp_targetILNS1_3genE3ELNS1_11target_archE908ELNS1_3gpuE7ELNS1_3repE0EEENS1_30default_config_static_selectorELNS0_4arch9wavefront6targetE0EEEvT1_.has_indirect_call, 0
	.section	.AMDGPU.csdata,"",@progbits
; Kernel info:
; codeLenInByte = 0
; TotalNumSgprs: 0
; NumVgprs: 0
; ScratchSize: 0
; MemoryBound: 0
; FloatMode: 240
; IeeeMode: 1
; LDSByteSize: 0 bytes/workgroup (compile time only)
; SGPRBlocks: 0
; VGPRBlocks: 0
; NumSGPRsForWavesPerEU: 1
; NumVGPRsForWavesPerEU: 1
; Occupancy: 16
; WaveLimiterHint : 0
; COMPUTE_PGM_RSRC2:SCRATCH_EN: 0
; COMPUTE_PGM_RSRC2:USER_SGPR: 2
; COMPUTE_PGM_RSRC2:TRAP_HANDLER: 0
; COMPUTE_PGM_RSRC2:TGID_X_EN: 1
; COMPUTE_PGM_RSRC2:TGID_Y_EN: 0
; COMPUTE_PGM_RSRC2:TGID_Z_EN: 0
; COMPUTE_PGM_RSRC2:TIDIG_COMP_CNT: 0
	.section	.text._ZN7rocprim17ROCPRIM_400000_NS6detail17trampoline_kernelINS0_14default_configENS1_25partition_config_selectorILNS1_17partition_subalgoE6EN6thrust23THRUST_200600_302600_NS5tupleIxxNS7_9null_typeES9_S9_S9_S9_S9_S9_S9_EENS0_10empty_typeEbEEZZNS1_14partition_implILS5_6ELb0ES3_mNS7_12zip_iteratorINS8_INS7_6detail15normal_iteratorINS7_10device_ptrIxEEEESJ_S9_S9_S9_S9_S9_S9_S9_S9_EEEEPSB_SM_NS0_5tupleIJNSE_INS8_ISJ_NS7_16discard_iteratorINS7_11use_defaultEEES9_S9_S9_S9_S9_S9_S9_S9_EEEESB_EEENSN_IJSM_SM_EEESB_PlJNSF_9not_fun_tINSF_14equal_to_valueISA_EEEEEEE10hipError_tPvRmT3_T4_T5_T6_T7_T9_mT8_P12ihipStream_tbDpT10_ENKUlT_T0_E_clISt17integral_constantIbLb0EES1I_IbLb1EEEEDaS1E_S1F_EUlS1E_E_NS1_11comp_targetILNS1_3genE2ELNS1_11target_archE906ELNS1_3gpuE6ELNS1_3repE0EEENS1_30default_config_static_selectorELNS0_4arch9wavefront6targetE0EEEvT1_,"axG",@progbits,_ZN7rocprim17ROCPRIM_400000_NS6detail17trampoline_kernelINS0_14default_configENS1_25partition_config_selectorILNS1_17partition_subalgoE6EN6thrust23THRUST_200600_302600_NS5tupleIxxNS7_9null_typeES9_S9_S9_S9_S9_S9_S9_EENS0_10empty_typeEbEEZZNS1_14partition_implILS5_6ELb0ES3_mNS7_12zip_iteratorINS8_INS7_6detail15normal_iteratorINS7_10device_ptrIxEEEESJ_S9_S9_S9_S9_S9_S9_S9_S9_EEEEPSB_SM_NS0_5tupleIJNSE_INS8_ISJ_NS7_16discard_iteratorINS7_11use_defaultEEES9_S9_S9_S9_S9_S9_S9_S9_EEEESB_EEENSN_IJSM_SM_EEESB_PlJNSF_9not_fun_tINSF_14equal_to_valueISA_EEEEEEE10hipError_tPvRmT3_T4_T5_T6_T7_T9_mT8_P12ihipStream_tbDpT10_ENKUlT_T0_E_clISt17integral_constantIbLb0EES1I_IbLb1EEEEDaS1E_S1F_EUlS1E_E_NS1_11comp_targetILNS1_3genE2ELNS1_11target_archE906ELNS1_3gpuE6ELNS1_3repE0EEENS1_30default_config_static_selectorELNS0_4arch9wavefront6targetE0EEEvT1_,comdat
	.protected	_ZN7rocprim17ROCPRIM_400000_NS6detail17trampoline_kernelINS0_14default_configENS1_25partition_config_selectorILNS1_17partition_subalgoE6EN6thrust23THRUST_200600_302600_NS5tupleIxxNS7_9null_typeES9_S9_S9_S9_S9_S9_S9_EENS0_10empty_typeEbEEZZNS1_14partition_implILS5_6ELb0ES3_mNS7_12zip_iteratorINS8_INS7_6detail15normal_iteratorINS7_10device_ptrIxEEEESJ_S9_S9_S9_S9_S9_S9_S9_S9_EEEEPSB_SM_NS0_5tupleIJNSE_INS8_ISJ_NS7_16discard_iteratorINS7_11use_defaultEEES9_S9_S9_S9_S9_S9_S9_S9_EEEESB_EEENSN_IJSM_SM_EEESB_PlJNSF_9not_fun_tINSF_14equal_to_valueISA_EEEEEEE10hipError_tPvRmT3_T4_T5_T6_T7_T9_mT8_P12ihipStream_tbDpT10_ENKUlT_T0_E_clISt17integral_constantIbLb0EES1I_IbLb1EEEEDaS1E_S1F_EUlS1E_E_NS1_11comp_targetILNS1_3genE2ELNS1_11target_archE906ELNS1_3gpuE6ELNS1_3repE0EEENS1_30default_config_static_selectorELNS0_4arch9wavefront6targetE0EEEvT1_ ; -- Begin function _ZN7rocprim17ROCPRIM_400000_NS6detail17trampoline_kernelINS0_14default_configENS1_25partition_config_selectorILNS1_17partition_subalgoE6EN6thrust23THRUST_200600_302600_NS5tupleIxxNS7_9null_typeES9_S9_S9_S9_S9_S9_S9_EENS0_10empty_typeEbEEZZNS1_14partition_implILS5_6ELb0ES3_mNS7_12zip_iteratorINS8_INS7_6detail15normal_iteratorINS7_10device_ptrIxEEEESJ_S9_S9_S9_S9_S9_S9_S9_S9_EEEEPSB_SM_NS0_5tupleIJNSE_INS8_ISJ_NS7_16discard_iteratorINS7_11use_defaultEEES9_S9_S9_S9_S9_S9_S9_S9_EEEESB_EEENSN_IJSM_SM_EEESB_PlJNSF_9not_fun_tINSF_14equal_to_valueISA_EEEEEEE10hipError_tPvRmT3_T4_T5_T6_T7_T9_mT8_P12ihipStream_tbDpT10_ENKUlT_T0_E_clISt17integral_constantIbLb0EES1I_IbLb1EEEEDaS1E_S1F_EUlS1E_E_NS1_11comp_targetILNS1_3genE2ELNS1_11target_archE906ELNS1_3gpuE6ELNS1_3repE0EEENS1_30default_config_static_selectorELNS0_4arch9wavefront6targetE0EEEvT1_
	.globl	_ZN7rocprim17ROCPRIM_400000_NS6detail17trampoline_kernelINS0_14default_configENS1_25partition_config_selectorILNS1_17partition_subalgoE6EN6thrust23THRUST_200600_302600_NS5tupleIxxNS7_9null_typeES9_S9_S9_S9_S9_S9_S9_EENS0_10empty_typeEbEEZZNS1_14partition_implILS5_6ELb0ES3_mNS7_12zip_iteratorINS8_INS7_6detail15normal_iteratorINS7_10device_ptrIxEEEESJ_S9_S9_S9_S9_S9_S9_S9_S9_EEEEPSB_SM_NS0_5tupleIJNSE_INS8_ISJ_NS7_16discard_iteratorINS7_11use_defaultEEES9_S9_S9_S9_S9_S9_S9_S9_EEEESB_EEENSN_IJSM_SM_EEESB_PlJNSF_9not_fun_tINSF_14equal_to_valueISA_EEEEEEE10hipError_tPvRmT3_T4_T5_T6_T7_T9_mT8_P12ihipStream_tbDpT10_ENKUlT_T0_E_clISt17integral_constantIbLb0EES1I_IbLb1EEEEDaS1E_S1F_EUlS1E_E_NS1_11comp_targetILNS1_3genE2ELNS1_11target_archE906ELNS1_3gpuE6ELNS1_3repE0EEENS1_30default_config_static_selectorELNS0_4arch9wavefront6targetE0EEEvT1_
	.p2align	8
	.type	_ZN7rocprim17ROCPRIM_400000_NS6detail17trampoline_kernelINS0_14default_configENS1_25partition_config_selectorILNS1_17partition_subalgoE6EN6thrust23THRUST_200600_302600_NS5tupleIxxNS7_9null_typeES9_S9_S9_S9_S9_S9_S9_EENS0_10empty_typeEbEEZZNS1_14partition_implILS5_6ELb0ES3_mNS7_12zip_iteratorINS8_INS7_6detail15normal_iteratorINS7_10device_ptrIxEEEESJ_S9_S9_S9_S9_S9_S9_S9_S9_EEEEPSB_SM_NS0_5tupleIJNSE_INS8_ISJ_NS7_16discard_iteratorINS7_11use_defaultEEES9_S9_S9_S9_S9_S9_S9_S9_EEEESB_EEENSN_IJSM_SM_EEESB_PlJNSF_9not_fun_tINSF_14equal_to_valueISA_EEEEEEE10hipError_tPvRmT3_T4_T5_T6_T7_T9_mT8_P12ihipStream_tbDpT10_ENKUlT_T0_E_clISt17integral_constantIbLb0EES1I_IbLb1EEEEDaS1E_S1F_EUlS1E_E_NS1_11comp_targetILNS1_3genE2ELNS1_11target_archE906ELNS1_3gpuE6ELNS1_3repE0EEENS1_30default_config_static_selectorELNS0_4arch9wavefront6targetE0EEEvT1_,@function
_ZN7rocprim17ROCPRIM_400000_NS6detail17trampoline_kernelINS0_14default_configENS1_25partition_config_selectorILNS1_17partition_subalgoE6EN6thrust23THRUST_200600_302600_NS5tupleIxxNS7_9null_typeES9_S9_S9_S9_S9_S9_S9_EENS0_10empty_typeEbEEZZNS1_14partition_implILS5_6ELb0ES3_mNS7_12zip_iteratorINS8_INS7_6detail15normal_iteratorINS7_10device_ptrIxEEEESJ_S9_S9_S9_S9_S9_S9_S9_S9_EEEEPSB_SM_NS0_5tupleIJNSE_INS8_ISJ_NS7_16discard_iteratorINS7_11use_defaultEEES9_S9_S9_S9_S9_S9_S9_S9_EEEESB_EEENSN_IJSM_SM_EEESB_PlJNSF_9not_fun_tINSF_14equal_to_valueISA_EEEEEEE10hipError_tPvRmT3_T4_T5_T6_T7_T9_mT8_P12ihipStream_tbDpT10_ENKUlT_T0_E_clISt17integral_constantIbLb0EES1I_IbLb1EEEEDaS1E_S1F_EUlS1E_E_NS1_11comp_targetILNS1_3genE2ELNS1_11target_archE906ELNS1_3gpuE6ELNS1_3repE0EEENS1_30default_config_static_selectorELNS0_4arch9wavefront6targetE0EEEvT1_: ; @_ZN7rocprim17ROCPRIM_400000_NS6detail17trampoline_kernelINS0_14default_configENS1_25partition_config_selectorILNS1_17partition_subalgoE6EN6thrust23THRUST_200600_302600_NS5tupleIxxNS7_9null_typeES9_S9_S9_S9_S9_S9_S9_EENS0_10empty_typeEbEEZZNS1_14partition_implILS5_6ELb0ES3_mNS7_12zip_iteratorINS8_INS7_6detail15normal_iteratorINS7_10device_ptrIxEEEESJ_S9_S9_S9_S9_S9_S9_S9_S9_EEEEPSB_SM_NS0_5tupleIJNSE_INS8_ISJ_NS7_16discard_iteratorINS7_11use_defaultEEES9_S9_S9_S9_S9_S9_S9_S9_EEEESB_EEENSN_IJSM_SM_EEESB_PlJNSF_9not_fun_tINSF_14equal_to_valueISA_EEEEEEE10hipError_tPvRmT3_T4_T5_T6_T7_T9_mT8_P12ihipStream_tbDpT10_ENKUlT_T0_E_clISt17integral_constantIbLb0EES1I_IbLb1EEEEDaS1E_S1F_EUlS1E_E_NS1_11comp_targetILNS1_3genE2ELNS1_11target_archE906ELNS1_3gpuE6ELNS1_3repE0EEENS1_30default_config_static_selectorELNS0_4arch9wavefront6targetE0EEEvT1_
; %bb.0:
	.section	.rodata,"a",@progbits
	.p2align	6, 0x0
	.amdhsa_kernel _ZN7rocprim17ROCPRIM_400000_NS6detail17trampoline_kernelINS0_14default_configENS1_25partition_config_selectorILNS1_17partition_subalgoE6EN6thrust23THRUST_200600_302600_NS5tupleIxxNS7_9null_typeES9_S9_S9_S9_S9_S9_S9_EENS0_10empty_typeEbEEZZNS1_14partition_implILS5_6ELb0ES3_mNS7_12zip_iteratorINS8_INS7_6detail15normal_iteratorINS7_10device_ptrIxEEEESJ_S9_S9_S9_S9_S9_S9_S9_S9_EEEEPSB_SM_NS0_5tupleIJNSE_INS8_ISJ_NS7_16discard_iteratorINS7_11use_defaultEEES9_S9_S9_S9_S9_S9_S9_S9_EEEESB_EEENSN_IJSM_SM_EEESB_PlJNSF_9not_fun_tINSF_14equal_to_valueISA_EEEEEEE10hipError_tPvRmT3_T4_T5_T6_T7_T9_mT8_P12ihipStream_tbDpT10_ENKUlT_T0_E_clISt17integral_constantIbLb0EES1I_IbLb1EEEEDaS1E_S1F_EUlS1E_E_NS1_11comp_targetILNS1_3genE2ELNS1_11target_archE906ELNS1_3gpuE6ELNS1_3repE0EEENS1_30default_config_static_selectorELNS0_4arch9wavefront6targetE0EEEvT1_
		.amdhsa_group_segment_fixed_size 0
		.amdhsa_private_segment_fixed_size 0
		.amdhsa_kernarg_size 160
		.amdhsa_user_sgpr_count 2
		.amdhsa_user_sgpr_dispatch_ptr 0
		.amdhsa_user_sgpr_queue_ptr 0
		.amdhsa_user_sgpr_kernarg_segment_ptr 1
		.amdhsa_user_sgpr_dispatch_id 0
		.amdhsa_user_sgpr_private_segment_size 0
		.amdhsa_wavefront_size32 1
		.amdhsa_uses_dynamic_stack 0
		.amdhsa_enable_private_segment 0
		.amdhsa_system_sgpr_workgroup_id_x 1
		.amdhsa_system_sgpr_workgroup_id_y 0
		.amdhsa_system_sgpr_workgroup_id_z 0
		.amdhsa_system_sgpr_workgroup_info 0
		.amdhsa_system_vgpr_workitem_id 0
		.amdhsa_next_free_vgpr 1
		.amdhsa_next_free_sgpr 1
		.amdhsa_reserve_vcc 0
		.amdhsa_float_round_mode_32 0
		.amdhsa_float_round_mode_16_64 0
		.amdhsa_float_denorm_mode_32 3
		.amdhsa_float_denorm_mode_16_64 3
		.amdhsa_fp16_overflow 0
		.amdhsa_workgroup_processor_mode 1
		.amdhsa_memory_ordered 1
		.amdhsa_forward_progress 1
		.amdhsa_inst_pref_size 0
		.amdhsa_round_robin_scheduling 0
		.amdhsa_exception_fp_ieee_invalid_op 0
		.amdhsa_exception_fp_denorm_src 0
		.amdhsa_exception_fp_ieee_div_zero 0
		.amdhsa_exception_fp_ieee_overflow 0
		.amdhsa_exception_fp_ieee_underflow 0
		.amdhsa_exception_fp_ieee_inexact 0
		.amdhsa_exception_int_div_zero 0
	.end_amdhsa_kernel
	.section	.text._ZN7rocprim17ROCPRIM_400000_NS6detail17trampoline_kernelINS0_14default_configENS1_25partition_config_selectorILNS1_17partition_subalgoE6EN6thrust23THRUST_200600_302600_NS5tupleIxxNS7_9null_typeES9_S9_S9_S9_S9_S9_S9_EENS0_10empty_typeEbEEZZNS1_14partition_implILS5_6ELb0ES3_mNS7_12zip_iteratorINS8_INS7_6detail15normal_iteratorINS7_10device_ptrIxEEEESJ_S9_S9_S9_S9_S9_S9_S9_S9_EEEEPSB_SM_NS0_5tupleIJNSE_INS8_ISJ_NS7_16discard_iteratorINS7_11use_defaultEEES9_S9_S9_S9_S9_S9_S9_S9_EEEESB_EEENSN_IJSM_SM_EEESB_PlJNSF_9not_fun_tINSF_14equal_to_valueISA_EEEEEEE10hipError_tPvRmT3_T4_T5_T6_T7_T9_mT8_P12ihipStream_tbDpT10_ENKUlT_T0_E_clISt17integral_constantIbLb0EES1I_IbLb1EEEEDaS1E_S1F_EUlS1E_E_NS1_11comp_targetILNS1_3genE2ELNS1_11target_archE906ELNS1_3gpuE6ELNS1_3repE0EEENS1_30default_config_static_selectorELNS0_4arch9wavefront6targetE0EEEvT1_,"axG",@progbits,_ZN7rocprim17ROCPRIM_400000_NS6detail17trampoline_kernelINS0_14default_configENS1_25partition_config_selectorILNS1_17partition_subalgoE6EN6thrust23THRUST_200600_302600_NS5tupleIxxNS7_9null_typeES9_S9_S9_S9_S9_S9_S9_EENS0_10empty_typeEbEEZZNS1_14partition_implILS5_6ELb0ES3_mNS7_12zip_iteratorINS8_INS7_6detail15normal_iteratorINS7_10device_ptrIxEEEESJ_S9_S9_S9_S9_S9_S9_S9_S9_EEEEPSB_SM_NS0_5tupleIJNSE_INS8_ISJ_NS7_16discard_iteratorINS7_11use_defaultEEES9_S9_S9_S9_S9_S9_S9_S9_EEEESB_EEENSN_IJSM_SM_EEESB_PlJNSF_9not_fun_tINSF_14equal_to_valueISA_EEEEEEE10hipError_tPvRmT3_T4_T5_T6_T7_T9_mT8_P12ihipStream_tbDpT10_ENKUlT_T0_E_clISt17integral_constantIbLb0EES1I_IbLb1EEEEDaS1E_S1F_EUlS1E_E_NS1_11comp_targetILNS1_3genE2ELNS1_11target_archE906ELNS1_3gpuE6ELNS1_3repE0EEENS1_30default_config_static_selectorELNS0_4arch9wavefront6targetE0EEEvT1_,comdat
.Lfunc_end2009:
	.size	_ZN7rocprim17ROCPRIM_400000_NS6detail17trampoline_kernelINS0_14default_configENS1_25partition_config_selectorILNS1_17partition_subalgoE6EN6thrust23THRUST_200600_302600_NS5tupleIxxNS7_9null_typeES9_S9_S9_S9_S9_S9_S9_EENS0_10empty_typeEbEEZZNS1_14partition_implILS5_6ELb0ES3_mNS7_12zip_iteratorINS8_INS7_6detail15normal_iteratorINS7_10device_ptrIxEEEESJ_S9_S9_S9_S9_S9_S9_S9_S9_EEEEPSB_SM_NS0_5tupleIJNSE_INS8_ISJ_NS7_16discard_iteratorINS7_11use_defaultEEES9_S9_S9_S9_S9_S9_S9_S9_EEEESB_EEENSN_IJSM_SM_EEESB_PlJNSF_9not_fun_tINSF_14equal_to_valueISA_EEEEEEE10hipError_tPvRmT3_T4_T5_T6_T7_T9_mT8_P12ihipStream_tbDpT10_ENKUlT_T0_E_clISt17integral_constantIbLb0EES1I_IbLb1EEEEDaS1E_S1F_EUlS1E_E_NS1_11comp_targetILNS1_3genE2ELNS1_11target_archE906ELNS1_3gpuE6ELNS1_3repE0EEENS1_30default_config_static_selectorELNS0_4arch9wavefront6targetE0EEEvT1_, .Lfunc_end2009-_ZN7rocprim17ROCPRIM_400000_NS6detail17trampoline_kernelINS0_14default_configENS1_25partition_config_selectorILNS1_17partition_subalgoE6EN6thrust23THRUST_200600_302600_NS5tupleIxxNS7_9null_typeES9_S9_S9_S9_S9_S9_S9_EENS0_10empty_typeEbEEZZNS1_14partition_implILS5_6ELb0ES3_mNS7_12zip_iteratorINS8_INS7_6detail15normal_iteratorINS7_10device_ptrIxEEEESJ_S9_S9_S9_S9_S9_S9_S9_S9_EEEEPSB_SM_NS0_5tupleIJNSE_INS8_ISJ_NS7_16discard_iteratorINS7_11use_defaultEEES9_S9_S9_S9_S9_S9_S9_S9_EEEESB_EEENSN_IJSM_SM_EEESB_PlJNSF_9not_fun_tINSF_14equal_to_valueISA_EEEEEEE10hipError_tPvRmT3_T4_T5_T6_T7_T9_mT8_P12ihipStream_tbDpT10_ENKUlT_T0_E_clISt17integral_constantIbLb0EES1I_IbLb1EEEEDaS1E_S1F_EUlS1E_E_NS1_11comp_targetILNS1_3genE2ELNS1_11target_archE906ELNS1_3gpuE6ELNS1_3repE0EEENS1_30default_config_static_selectorELNS0_4arch9wavefront6targetE0EEEvT1_
                                        ; -- End function
	.set _ZN7rocprim17ROCPRIM_400000_NS6detail17trampoline_kernelINS0_14default_configENS1_25partition_config_selectorILNS1_17partition_subalgoE6EN6thrust23THRUST_200600_302600_NS5tupleIxxNS7_9null_typeES9_S9_S9_S9_S9_S9_S9_EENS0_10empty_typeEbEEZZNS1_14partition_implILS5_6ELb0ES3_mNS7_12zip_iteratorINS8_INS7_6detail15normal_iteratorINS7_10device_ptrIxEEEESJ_S9_S9_S9_S9_S9_S9_S9_S9_EEEEPSB_SM_NS0_5tupleIJNSE_INS8_ISJ_NS7_16discard_iteratorINS7_11use_defaultEEES9_S9_S9_S9_S9_S9_S9_S9_EEEESB_EEENSN_IJSM_SM_EEESB_PlJNSF_9not_fun_tINSF_14equal_to_valueISA_EEEEEEE10hipError_tPvRmT3_T4_T5_T6_T7_T9_mT8_P12ihipStream_tbDpT10_ENKUlT_T0_E_clISt17integral_constantIbLb0EES1I_IbLb1EEEEDaS1E_S1F_EUlS1E_E_NS1_11comp_targetILNS1_3genE2ELNS1_11target_archE906ELNS1_3gpuE6ELNS1_3repE0EEENS1_30default_config_static_selectorELNS0_4arch9wavefront6targetE0EEEvT1_.num_vgpr, 0
	.set _ZN7rocprim17ROCPRIM_400000_NS6detail17trampoline_kernelINS0_14default_configENS1_25partition_config_selectorILNS1_17partition_subalgoE6EN6thrust23THRUST_200600_302600_NS5tupleIxxNS7_9null_typeES9_S9_S9_S9_S9_S9_S9_EENS0_10empty_typeEbEEZZNS1_14partition_implILS5_6ELb0ES3_mNS7_12zip_iteratorINS8_INS7_6detail15normal_iteratorINS7_10device_ptrIxEEEESJ_S9_S9_S9_S9_S9_S9_S9_S9_EEEEPSB_SM_NS0_5tupleIJNSE_INS8_ISJ_NS7_16discard_iteratorINS7_11use_defaultEEES9_S9_S9_S9_S9_S9_S9_S9_EEEESB_EEENSN_IJSM_SM_EEESB_PlJNSF_9not_fun_tINSF_14equal_to_valueISA_EEEEEEE10hipError_tPvRmT3_T4_T5_T6_T7_T9_mT8_P12ihipStream_tbDpT10_ENKUlT_T0_E_clISt17integral_constantIbLb0EES1I_IbLb1EEEEDaS1E_S1F_EUlS1E_E_NS1_11comp_targetILNS1_3genE2ELNS1_11target_archE906ELNS1_3gpuE6ELNS1_3repE0EEENS1_30default_config_static_selectorELNS0_4arch9wavefront6targetE0EEEvT1_.num_agpr, 0
	.set _ZN7rocprim17ROCPRIM_400000_NS6detail17trampoline_kernelINS0_14default_configENS1_25partition_config_selectorILNS1_17partition_subalgoE6EN6thrust23THRUST_200600_302600_NS5tupleIxxNS7_9null_typeES9_S9_S9_S9_S9_S9_S9_EENS0_10empty_typeEbEEZZNS1_14partition_implILS5_6ELb0ES3_mNS7_12zip_iteratorINS8_INS7_6detail15normal_iteratorINS7_10device_ptrIxEEEESJ_S9_S9_S9_S9_S9_S9_S9_S9_EEEEPSB_SM_NS0_5tupleIJNSE_INS8_ISJ_NS7_16discard_iteratorINS7_11use_defaultEEES9_S9_S9_S9_S9_S9_S9_S9_EEEESB_EEENSN_IJSM_SM_EEESB_PlJNSF_9not_fun_tINSF_14equal_to_valueISA_EEEEEEE10hipError_tPvRmT3_T4_T5_T6_T7_T9_mT8_P12ihipStream_tbDpT10_ENKUlT_T0_E_clISt17integral_constantIbLb0EES1I_IbLb1EEEEDaS1E_S1F_EUlS1E_E_NS1_11comp_targetILNS1_3genE2ELNS1_11target_archE906ELNS1_3gpuE6ELNS1_3repE0EEENS1_30default_config_static_selectorELNS0_4arch9wavefront6targetE0EEEvT1_.numbered_sgpr, 0
	.set _ZN7rocprim17ROCPRIM_400000_NS6detail17trampoline_kernelINS0_14default_configENS1_25partition_config_selectorILNS1_17partition_subalgoE6EN6thrust23THRUST_200600_302600_NS5tupleIxxNS7_9null_typeES9_S9_S9_S9_S9_S9_S9_EENS0_10empty_typeEbEEZZNS1_14partition_implILS5_6ELb0ES3_mNS7_12zip_iteratorINS8_INS7_6detail15normal_iteratorINS7_10device_ptrIxEEEESJ_S9_S9_S9_S9_S9_S9_S9_S9_EEEEPSB_SM_NS0_5tupleIJNSE_INS8_ISJ_NS7_16discard_iteratorINS7_11use_defaultEEES9_S9_S9_S9_S9_S9_S9_S9_EEEESB_EEENSN_IJSM_SM_EEESB_PlJNSF_9not_fun_tINSF_14equal_to_valueISA_EEEEEEE10hipError_tPvRmT3_T4_T5_T6_T7_T9_mT8_P12ihipStream_tbDpT10_ENKUlT_T0_E_clISt17integral_constantIbLb0EES1I_IbLb1EEEEDaS1E_S1F_EUlS1E_E_NS1_11comp_targetILNS1_3genE2ELNS1_11target_archE906ELNS1_3gpuE6ELNS1_3repE0EEENS1_30default_config_static_selectorELNS0_4arch9wavefront6targetE0EEEvT1_.num_named_barrier, 0
	.set _ZN7rocprim17ROCPRIM_400000_NS6detail17trampoline_kernelINS0_14default_configENS1_25partition_config_selectorILNS1_17partition_subalgoE6EN6thrust23THRUST_200600_302600_NS5tupleIxxNS7_9null_typeES9_S9_S9_S9_S9_S9_S9_EENS0_10empty_typeEbEEZZNS1_14partition_implILS5_6ELb0ES3_mNS7_12zip_iteratorINS8_INS7_6detail15normal_iteratorINS7_10device_ptrIxEEEESJ_S9_S9_S9_S9_S9_S9_S9_S9_EEEEPSB_SM_NS0_5tupleIJNSE_INS8_ISJ_NS7_16discard_iteratorINS7_11use_defaultEEES9_S9_S9_S9_S9_S9_S9_S9_EEEESB_EEENSN_IJSM_SM_EEESB_PlJNSF_9not_fun_tINSF_14equal_to_valueISA_EEEEEEE10hipError_tPvRmT3_T4_T5_T6_T7_T9_mT8_P12ihipStream_tbDpT10_ENKUlT_T0_E_clISt17integral_constantIbLb0EES1I_IbLb1EEEEDaS1E_S1F_EUlS1E_E_NS1_11comp_targetILNS1_3genE2ELNS1_11target_archE906ELNS1_3gpuE6ELNS1_3repE0EEENS1_30default_config_static_selectorELNS0_4arch9wavefront6targetE0EEEvT1_.private_seg_size, 0
	.set _ZN7rocprim17ROCPRIM_400000_NS6detail17trampoline_kernelINS0_14default_configENS1_25partition_config_selectorILNS1_17partition_subalgoE6EN6thrust23THRUST_200600_302600_NS5tupleIxxNS7_9null_typeES9_S9_S9_S9_S9_S9_S9_EENS0_10empty_typeEbEEZZNS1_14partition_implILS5_6ELb0ES3_mNS7_12zip_iteratorINS8_INS7_6detail15normal_iteratorINS7_10device_ptrIxEEEESJ_S9_S9_S9_S9_S9_S9_S9_S9_EEEEPSB_SM_NS0_5tupleIJNSE_INS8_ISJ_NS7_16discard_iteratorINS7_11use_defaultEEES9_S9_S9_S9_S9_S9_S9_S9_EEEESB_EEENSN_IJSM_SM_EEESB_PlJNSF_9not_fun_tINSF_14equal_to_valueISA_EEEEEEE10hipError_tPvRmT3_T4_T5_T6_T7_T9_mT8_P12ihipStream_tbDpT10_ENKUlT_T0_E_clISt17integral_constantIbLb0EES1I_IbLb1EEEEDaS1E_S1F_EUlS1E_E_NS1_11comp_targetILNS1_3genE2ELNS1_11target_archE906ELNS1_3gpuE6ELNS1_3repE0EEENS1_30default_config_static_selectorELNS0_4arch9wavefront6targetE0EEEvT1_.uses_vcc, 0
	.set _ZN7rocprim17ROCPRIM_400000_NS6detail17trampoline_kernelINS0_14default_configENS1_25partition_config_selectorILNS1_17partition_subalgoE6EN6thrust23THRUST_200600_302600_NS5tupleIxxNS7_9null_typeES9_S9_S9_S9_S9_S9_S9_EENS0_10empty_typeEbEEZZNS1_14partition_implILS5_6ELb0ES3_mNS7_12zip_iteratorINS8_INS7_6detail15normal_iteratorINS7_10device_ptrIxEEEESJ_S9_S9_S9_S9_S9_S9_S9_S9_EEEEPSB_SM_NS0_5tupleIJNSE_INS8_ISJ_NS7_16discard_iteratorINS7_11use_defaultEEES9_S9_S9_S9_S9_S9_S9_S9_EEEESB_EEENSN_IJSM_SM_EEESB_PlJNSF_9not_fun_tINSF_14equal_to_valueISA_EEEEEEE10hipError_tPvRmT3_T4_T5_T6_T7_T9_mT8_P12ihipStream_tbDpT10_ENKUlT_T0_E_clISt17integral_constantIbLb0EES1I_IbLb1EEEEDaS1E_S1F_EUlS1E_E_NS1_11comp_targetILNS1_3genE2ELNS1_11target_archE906ELNS1_3gpuE6ELNS1_3repE0EEENS1_30default_config_static_selectorELNS0_4arch9wavefront6targetE0EEEvT1_.uses_flat_scratch, 0
	.set _ZN7rocprim17ROCPRIM_400000_NS6detail17trampoline_kernelINS0_14default_configENS1_25partition_config_selectorILNS1_17partition_subalgoE6EN6thrust23THRUST_200600_302600_NS5tupleIxxNS7_9null_typeES9_S9_S9_S9_S9_S9_S9_EENS0_10empty_typeEbEEZZNS1_14partition_implILS5_6ELb0ES3_mNS7_12zip_iteratorINS8_INS7_6detail15normal_iteratorINS7_10device_ptrIxEEEESJ_S9_S9_S9_S9_S9_S9_S9_S9_EEEEPSB_SM_NS0_5tupleIJNSE_INS8_ISJ_NS7_16discard_iteratorINS7_11use_defaultEEES9_S9_S9_S9_S9_S9_S9_S9_EEEESB_EEENSN_IJSM_SM_EEESB_PlJNSF_9not_fun_tINSF_14equal_to_valueISA_EEEEEEE10hipError_tPvRmT3_T4_T5_T6_T7_T9_mT8_P12ihipStream_tbDpT10_ENKUlT_T0_E_clISt17integral_constantIbLb0EES1I_IbLb1EEEEDaS1E_S1F_EUlS1E_E_NS1_11comp_targetILNS1_3genE2ELNS1_11target_archE906ELNS1_3gpuE6ELNS1_3repE0EEENS1_30default_config_static_selectorELNS0_4arch9wavefront6targetE0EEEvT1_.has_dyn_sized_stack, 0
	.set _ZN7rocprim17ROCPRIM_400000_NS6detail17trampoline_kernelINS0_14default_configENS1_25partition_config_selectorILNS1_17partition_subalgoE6EN6thrust23THRUST_200600_302600_NS5tupleIxxNS7_9null_typeES9_S9_S9_S9_S9_S9_S9_EENS0_10empty_typeEbEEZZNS1_14partition_implILS5_6ELb0ES3_mNS7_12zip_iteratorINS8_INS7_6detail15normal_iteratorINS7_10device_ptrIxEEEESJ_S9_S9_S9_S9_S9_S9_S9_S9_EEEEPSB_SM_NS0_5tupleIJNSE_INS8_ISJ_NS7_16discard_iteratorINS7_11use_defaultEEES9_S9_S9_S9_S9_S9_S9_S9_EEEESB_EEENSN_IJSM_SM_EEESB_PlJNSF_9not_fun_tINSF_14equal_to_valueISA_EEEEEEE10hipError_tPvRmT3_T4_T5_T6_T7_T9_mT8_P12ihipStream_tbDpT10_ENKUlT_T0_E_clISt17integral_constantIbLb0EES1I_IbLb1EEEEDaS1E_S1F_EUlS1E_E_NS1_11comp_targetILNS1_3genE2ELNS1_11target_archE906ELNS1_3gpuE6ELNS1_3repE0EEENS1_30default_config_static_selectorELNS0_4arch9wavefront6targetE0EEEvT1_.has_recursion, 0
	.set _ZN7rocprim17ROCPRIM_400000_NS6detail17trampoline_kernelINS0_14default_configENS1_25partition_config_selectorILNS1_17partition_subalgoE6EN6thrust23THRUST_200600_302600_NS5tupleIxxNS7_9null_typeES9_S9_S9_S9_S9_S9_S9_EENS0_10empty_typeEbEEZZNS1_14partition_implILS5_6ELb0ES3_mNS7_12zip_iteratorINS8_INS7_6detail15normal_iteratorINS7_10device_ptrIxEEEESJ_S9_S9_S9_S9_S9_S9_S9_S9_EEEEPSB_SM_NS0_5tupleIJNSE_INS8_ISJ_NS7_16discard_iteratorINS7_11use_defaultEEES9_S9_S9_S9_S9_S9_S9_S9_EEEESB_EEENSN_IJSM_SM_EEESB_PlJNSF_9not_fun_tINSF_14equal_to_valueISA_EEEEEEE10hipError_tPvRmT3_T4_T5_T6_T7_T9_mT8_P12ihipStream_tbDpT10_ENKUlT_T0_E_clISt17integral_constantIbLb0EES1I_IbLb1EEEEDaS1E_S1F_EUlS1E_E_NS1_11comp_targetILNS1_3genE2ELNS1_11target_archE906ELNS1_3gpuE6ELNS1_3repE0EEENS1_30default_config_static_selectorELNS0_4arch9wavefront6targetE0EEEvT1_.has_indirect_call, 0
	.section	.AMDGPU.csdata,"",@progbits
; Kernel info:
; codeLenInByte = 0
; TotalNumSgprs: 0
; NumVgprs: 0
; ScratchSize: 0
; MemoryBound: 0
; FloatMode: 240
; IeeeMode: 1
; LDSByteSize: 0 bytes/workgroup (compile time only)
; SGPRBlocks: 0
; VGPRBlocks: 0
; NumSGPRsForWavesPerEU: 1
; NumVGPRsForWavesPerEU: 1
; Occupancy: 16
; WaveLimiterHint : 0
; COMPUTE_PGM_RSRC2:SCRATCH_EN: 0
; COMPUTE_PGM_RSRC2:USER_SGPR: 2
; COMPUTE_PGM_RSRC2:TRAP_HANDLER: 0
; COMPUTE_PGM_RSRC2:TGID_X_EN: 1
; COMPUTE_PGM_RSRC2:TGID_Y_EN: 0
; COMPUTE_PGM_RSRC2:TGID_Z_EN: 0
; COMPUTE_PGM_RSRC2:TIDIG_COMP_CNT: 0
	.section	.text._ZN7rocprim17ROCPRIM_400000_NS6detail17trampoline_kernelINS0_14default_configENS1_25partition_config_selectorILNS1_17partition_subalgoE6EN6thrust23THRUST_200600_302600_NS5tupleIxxNS7_9null_typeES9_S9_S9_S9_S9_S9_S9_EENS0_10empty_typeEbEEZZNS1_14partition_implILS5_6ELb0ES3_mNS7_12zip_iteratorINS8_INS7_6detail15normal_iteratorINS7_10device_ptrIxEEEESJ_S9_S9_S9_S9_S9_S9_S9_S9_EEEEPSB_SM_NS0_5tupleIJNSE_INS8_ISJ_NS7_16discard_iteratorINS7_11use_defaultEEES9_S9_S9_S9_S9_S9_S9_S9_EEEESB_EEENSN_IJSM_SM_EEESB_PlJNSF_9not_fun_tINSF_14equal_to_valueISA_EEEEEEE10hipError_tPvRmT3_T4_T5_T6_T7_T9_mT8_P12ihipStream_tbDpT10_ENKUlT_T0_E_clISt17integral_constantIbLb0EES1I_IbLb1EEEEDaS1E_S1F_EUlS1E_E_NS1_11comp_targetILNS1_3genE10ELNS1_11target_archE1200ELNS1_3gpuE4ELNS1_3repE0EEENS1_30default_config_static_selectorELNS0_4arch9wavefront6targetE0EEEvT1_,"axG",@progbits,_ZN7rocprim17ROCPRIM_400000_NS6detail17trampoline_kernelINS0_14default_configENS1_25partition_config_selectorILNS1_17partition_subalgoE6EN6thrust23THRUST_200600_302600_NS5tupleIxxNS7_9null_typeES9_S9_S9_S9_S9_S9_S9_EENS0_10empty_typeEbEEZZNS1_14partition_implILS5_6ELb0ES3_mNS7_12zip_iteratorINS8_INS7_6detail15normal_iteratorINS7_10device_ptrIxEEEESJ_S9_S9_S9_S9_S9_S9_S9_S9_EEEEPSB_SM_NS0_5tupleIJNSE_INS8_ISJ_NS7_16discard_iteratorINS7_11use_defaultEEES9_S9_S9_S9_S9_S9_S9_S9_EEEESB_EEENSN_IJSM_SM_EEESB_PlJNSF_9not_fun_tINSF_14equal_to_valueISA_EEEEEEE10hipError_tPvRmT3_T4_T5_T6_T7_T9_mT8_P12ihipStream_tbDpT10_ENKUlT_T0_E_clISt17integral_constantIbLb0EES1I_IbLb1EEEEDaS1E_S1F_EUlS1E_E_NS1_11comp_targetILNS1_3genE10ELNS1_11target_archE1200ELNS1_3gpuE4ELNS1_3repE0EEENS1_30default_config_static_selectorELNS0_4arch9wavefront6targetE0EEEvT1_,comdat
	.protected	_ZN7rocprim17ROCPRIM_400000_NS6detail17trampoline_kernelINS0_14default_configENS1_25partition_config_selectorILNS1_17partition_subalgoE6EN6thrust23THRUST_200600_302600_NS5tupleIxxNS7_9null_typeES9_S9_S9_S9_S9_S9_S9_EENS0_10empty_typeEbEEZZNS1_14partition_implILS5_6ELb0ES3_mNS7_12zip_iteratorINS8_INS7_6detail15normal_iteratorINS7_10device_ptrIxEEEESJ_S9_S9_S9_S9_S9_S9_S9_S9_EEEEPSB_SM_NS0_5tupleIJNSE_INS8_ISJ_NS7_16discard_iteratorINS7_11use_defaultEEES9_S9_S9_S9_S9_S9_S9_S9_EEEESB_EEENSN_IJSM_SM_EEESB_PlJNSF_9not_fun_tINSF_14equal_to_valueISA_EEEEEEE10hipError_tPvRmT3_T4_T5_T6_T7_T9_mT8_P12ihipStream_tbDpT10_ENKUlT_T0_E_clISt17integral_constantIbLb0EES1I_IbLb1EEEEDaS1E_S1F_EUlS1E_E_NS1_11comp_targetILNS1_3genE10ELNS1_11target_archE1200ELNS1_3gpuE4ELNS1_3repE0EEENS1_30default_config_static_selectorELNS0_4arch9wavefront6targetE0EEEvT1_ ; -- Begin function _ZN7rocprim17ROCPRIM_400000_NS6detail17trampoline_kernelINS0_14default_configENS1_25partition_config_selectorILNS1_17partition_subalgoE6EN6thrust23THRUST_200600_302600_NS5tupleIxxNS7_9null_typeES9_S9_S9_S9_S9_S9_S9_EENS0_10empty_typeEbEEZZNS1_14partition_implILS5_6ELb0ES3_mNS7_12zip_iteratorINS8_INS7_6detail15normal_iteratorINS7_10device_ptrIxEEEESJ_S9_S9_S9_S9_S9_S9_S9_S9_EEEEPSB_SM_NS0_5tupleIJNSE_INS8_ISJ_NS7_16discard_iteratorINS7_11use_defaultEEES9_S9_S9_S9_S9_S9_S9_S9_EEEESB_EEENSN_IJSM_SM_EEESB_PlJNSF_9not_fun_tINSF_14equal_to_valueISA_EEEEEEE10hipError_tPvRmT3_T4_T5_T6_T7_T9_mT8_P12ihipStream_tbDpT10_ENKUlT_T0_E_clISt17integral_constantIbLb0EES1I_IbLb1EEEEDaS1E_S1F_EUlS1E_E_NS1_11comp_targetILNS1_3genE10ELNS1_11target_archE1200ELNS1_3gpuE4ELNS1_3repE0EEENS1_30default_config_static_selectorELNS0_4arch9wavefront6targetE0EEEvT1_
	.globl	_ZN7rocprim17ROCPRIM_400000_NS6detail17trampoline_kernelINS0_14default_configENS1_25partition_config_selectorILNS1_17partition_subalgoE6EN6thrust23THRUST_200600_302600_NS5tupleIxxNS7_9null_typeES9_S9_S9_S9_S9_S9_S9_EENS0_10empty_typeEbEEZZNS1_14partition_implILS5_6ELb0ES3_mNS7_12zip_iteratorINS8_INS7_6detail15normal_iteratorINS7_10device_ptrIxEEEESJ_S9_S9_S9_S9_S9_S9_S9_S9_EEEEPSB_SM_NS0_5tupleIJNSE_INS8_ISJ_NS7_16discard_iteratorINS7_11use_defaultEEES9_S9_S9_S9_S9_S9_S9_S9_EEEESB_EEENSN_IJSM_SM_EEESB_PlJNSF_9not_fun_tINSF_14equal_to_valueISA_EEEEEEE10hipError_tPvRmT3_T4_T5_T6_T7_T9_mT8_P12ihipStream_tbDpT10_ENKUlT_T0_E_clISt17integral_constantIbLb0EES1I_IbLb1EEEEDaS1E_S1F_EUlS1E_E_NS1_11comp_targetILNS1_3genE10ELNS1_11target_archE1200ELNS1_3gpuE4ELNS1_3repE0EEENS1_30default_config_static_selectorELNS0_4arch9wavefront6targetE0EEEvT1_
	.p2align	8
	.type	_ZN7rocprim17ROCPRIM_400000_NS6detail17trampoline_kernelINS0_14default_configENS1_25partition_config_selectorILNS1_17partition_subalgoE6EN6thrust23THRUST_200600_302600_NS5tupleIxxNS7_9null_typeES9_S9_S9_S9_S9_S9_S9_EENS0_10empty_typeEbEEZZNS1_14partition_implILS5_6ELb0ES3_mNS7_12zip_iteratorINS8_INS7_6detail15normal_iteratorINS7_10device_ptrIxEEEESJ_S9_S9_S9_S9_S9_S9_S9_S9_EEEEPSB_SM_NS0_5tupleIJNSE_INS8_ISJ_NS7_16discard_iteratorINS7_11use_defaultEEES9_S9_S9_S9_S9_S9_S9_S9_EEEESB_EEENSN_IJSM_SM_EEESB_PlJNSF_9not_fun_tINSF_14equal_to_valueISA_EEEEEEE10hipError_tPvRmT3_T4_T5_T6_T7_T9_mT8_P12ihipStream_tbDpT10_ENKUlT_T0_E_clISt17integral_constantIbLb0EES1I_IbLb1EEEEDaS1E_S1F_EUlS1E_E_NS1_11comp_targetILNS1_3genE10ELNS1_11target_archE1200ELNS1_3gpuE4ELNS1_3repE0EEENS1_30default_config_static_selectorELNS0_4arch9wavefront6targetE0EEEvT1_,@function
_ZN7rocprim17ROCPRIM_400000_NS6detail17trampoline_kernelINS0_14default_configENS1_25partition_config_selectorILNS1_17partition_subalgoE6EN6thrust23THRUST_200600_302600_NS5tupleIxxNS7_9null_typeES9_S9_S9_S9_S9_S9_S9_EENS0_10empty_typeEbEEZZNS1_14partition_implILS5_6ELb0ES3_mNS7_12zip_iteratorINS8_INS7_6detail15normal_iteratorINS7_10device_ptrIxEEEESJ_S9_S9_S9_S9_S9_S9_S9_S9_EEEEPSB_SM_NS0_5tupleIJNSE_INS8_ISJ_NS7_16discard_iteratorINS7_11use_defaultEEES9_S9_S9_S9_S9_S9_S9_S9_EEEESB_EEENSN_IJSM_SM_EEESB_PlJNSF_9not_fun_tINSF_14equal_to_valueISA_EEEEEEE10hipError_tPvRmT3_T4_T5_T6_T7_T9_mT8_P12ihipStream_tbDpT10_ENKUlT_T0_E_clISt17integral_constantIbLb0EES1I_IbLb1EEEEDaS1E_S1F_EUlS1E_E_NS1_11comp_targetILNS1_3genE10ELNS1_11target_archE1200ELNS1_3gpuE4ELNS1_3repE0EEENS1_30default_config_static_selectorELNS0_4arch9wavefront6targetE0EEEvT1_: ; @_ZN7rocprim17ROCPRIM_400000_NS6detail17trampoline_kernelINS0_14default_configENS1_25partition_config_selectorILNS1_17partition_subalgoE6EN6thrust23THRUST_200600_302600_NS5tupleIxxNS7_9null_typeES9_S9_S9_S9_S9_S9_S9_EENS0_10empty_typeEbEEZZNS1_14partition_implILS5_6ELb0ES3_mNS7_12zip_iteratorINS8_INS7_6detail15normal_iteratorINS7_10device_ptrIxEEEESJ_S9_S9_S9_S9_S9_S9_S9_S9_EEEEPSB_SM_NS0_5tupleIJNSE_INS8_ISJ_NS7_16discard_iteratorINS7_11use_defaultEEES9_S9_S9_S9_S9_S9_S9_S9_EEEESB_EEENSN_IJSM_SM_EEESB_PlJNSF_9not_fun_tINSF_14equal_to_valueISA_EEEEEEE10hipError_tPvRmT3_T4_T5_T6_T7_T9_mT8_P12ihipStream_tbDpT10_ENKUlT_T0_E_clISt17integral_constantIbLb0EES1I_IbLb1EEEEDaS1E_S1F_EUlS1E_E_NS1_11comp_targetILNS1_3genE10ELNS1_11target_archE1200ELNS1_3gpuE4ELNS1_3repE0EEENS1_30default_config_static_selectorELNS0_4arch9wavefront6targetE0EEEvT1_
; %bb.0:
	s_clause 0x5
	s_load_b128 s[4:7], s[0:1], 0x8
	s_load_b64 s[22:23], s[0:1], 0x18
	s_load_b64 s[16:17], s[0:1], 0x30
	s_load_b128 s[8:11], s[0:1], 0x58
	s_load_b64 s[20:21], s[0:1], 0x68
	s_load_b64 s[18:19], s[0:1], 0x78
	v_cmp_eq_u32_e64 s2, 0, v0
	s_and_saveexec_b32 s3, s2
	s_cbranch_execz .LBB2010_4
; %bb.1:
	s_mov_b32 s13, exec_lo
	s_mov_b32 s12, exec_lo
	v_mbcnt_lo_u32_b32 v1, s13, 0
                                        ; implicit-def: $vgpr2
	s_delay_alu instid0(VALU_DEP_1)
	v_cmpx_eq_u32_e32 0, v1
	s_cbranch_execz .LBB2010_3
; %bb.2:
	s_load_b64 s[14:15], s[0:1], 0x88
	s_bcnt1_i32_b32 s13, s13
	s_wait_alu 0xfffe
	v_dual_mov_b32 v2, 0 :: v_dual_mov_b32 v3, s13
	s_wait_kmcnt 0x0
	global_atomic_add_u32 v2, v2, v3, s[14:15] th:TH_ATOMIC_RETURN scope:SCOPE_DEV
.LBB2010_3:
	s_or_b32 exec_lo, exec_lo, s12
	s_wait_loadcnt 0x0
	v_readfirstlane_b32 s12, v2
	s_wait_alu 0xf1ff
	s_delay_alu instid0(VALU_DEP_1)
	v_dual_mov_b32 v2, 0 :: v_dual_add_nc_u32 v1, s12, v1
	ds_store_b32 v2, v1
.LBB2010_4:
	s_or_b32 exec_lo, exec_lo, s3
	v_mov_b32_e32 v1, 0
	s_clause 0x1
	s_load_b32 s3, s[0:1], 0x80
	s_load_b128 s[12:15], s[0:1], 0x90
	s_wait_dscnt 0x0
	s_barrier_signal -1
	s_barrier_wait -1
	global_inv scope:SCOPE_SE
	ds_load_b32 v2, v1
	s_wait_loadcnt_dscnt 0x0
	s_barrier_signal -1
	s_barrier_wait -1
	global_inv scope:SCOPE_SE
	s_wait_kmcnt 0x0
	global_load_b64 v[21:22], v1, s[10:11]
	s_lshl_b64 s[0:1], s[22:23], 3
	v_lshlrev_b32_e32 v13, 4, v0
	s_add_nc_u64 s[4:5], s[4:5], s[0:1]
	s_add_nc_u64 s[24:25], s[6:7], s[0:1]
	s_mov_b32 s1, 0
	s_mul_i32 s0, s3, 0x300
	s_add_co_i32 s3, s3, -1
	s_add_nc_u64 s[6:7], s[22:23], s[0:1]
	s_add_co_i32 s0, s0, s22
	v_cmp_le_u64_e64 s7, s[20:21], s[6:7]
	s_sub_co_i32 s20, s20, s0
	v_readfirstlane_b32 s11, v2
	s_cmp_eq_u32 s11, s3
	s_mul_i32 s0, s11, 0x300
	s_cselect_b32 s6, -1, 0
	s_lshl_b64 s[22:23], s[0:1], 3
	s_wait_alu 0xfffe
	s_and_b32 s7, s7, s6
	s_mov_b32 s3, -1
	s_wait_alu 0xfffe
	s_xor_b32 s7, s7, -1
	s_add_nc_u64 s[0:1], s[4:5], s[22:23]
	s_wait_alu 0xfffe
	s_and_b32 vcc_lo, exec_lo, s7
	s_add_nc_u64 s[4:5], s[24:25], s[22:23]
	s_cbranch_vccz .LBB2010_6
; %bb.5:
	v_lshlrev_b32_e32 v11, 3, v0
	s_mov_b32 s3, 0
	s_clause 0x5
	global_load_b64 v[1:2], v11, s[0:1]
	global_load_b64 v[3:4], v11, s[4:5]
	global_load_b64 v[5:6], v11, s[0:1] offset:2048
	global_load_b64 v[9:10], v11, s[0:1] offset:4096
	;; [unrolled: 1-line block ×4, first 2 shown]
	s_wait_loadcnt 0x4
	ds_store_b128 v13, v[1:4]
	s_wait_loadcnt 0x1
	ds_store_b128 v13, v[5:8] offset:4096
	s_wait_loadcnt 0x0
	ds_store_b128 v13, v[9:12] offset:8192
	s_wait_dscnt 0x0
	s_barrier_signal -1
	s_barrier_wait -1
.LBB2010_6:
	s_and_not1_b32 vcc_lo, exec_lo, s3
	s_addk_co_i32 s20, 0x300
	s_cbranch_vccnz .LBB2010_14
; %bb.7:
	v_mov_b32_e32 v3, 0
	v_dual_mov_b32 v4, 0 :: v_dual_mov_b32 v7, 0
	v_dual_mov_b32 v5, 0 :: v_dual_mov_b32 v8, 0
	v_mov_b32_e32 v6, 0
	s_mov_b32 s3, exec_lo
	s_wait_alu 0xfffe
	v_cmpx_gt_u32_e64 s20, v0
	s_cbranch_execz .LBB2010_9
; %bb.8:
	v_lshlrev_b32_e32 v1, 3, v0
	s_clause 0x1
	global_load_b64 v[5:6], v1, s[0:1]
	global_load_b64 v[7:8], v1, s[4:5]
.LBB2010_9:
	s_or_b32 exec_lo, exec_lo, s3
	v_mov_b32_e32 v1, 0
	v_or_b32_e32 v9, 0x100, v0
	v_mov_b32_e32 v2, 0
	s_mov_b32 s3, exec_lo
	s_delay_alu instid0(VALU_DEP_2)
	v_cmpx_gt_u32_e64 s20, v9
	s_cbranch_execz .LBB2010_11
; %bb.10:
	v_lshlrev_b32_e32 v3, 3, v0
	s_clause 0x1
	global_load_b64 v[1:2], v3, s[0:1] offset:2048
	global_load_b64 v[3:4], v3, s[4:5] offset:2048
.LBB2010_11:
	s_or_b32 exec_lo, exec_lo, s3
	v_mov_b32_e32 v11, 0
	v_dual_mov_b32 v12, 0 :: v_dual_mov_b32 v9, 0
	v_or_b32_e32 v14, 0x200, v0
	v_mov_b32_e32 v10, 0
	s_mov_b32 s3, exec_lo
	s_delay_alu instid0(VALU_DEP_2)
	v_cmpx_gt_u32_e64 s20, v14
	s_cbranch_execz .LBB2010_13
; %bb.12:
	v_lshlrev_b32_e32 v11, 3, v0
	s_clause 0x1
	global_load_b64 v[9:10], v11, s[0:1] offset:4096
	global_load_b64 v[11:12], v11, s[4:5] offset:4096
.LBB2010_13:
	s_or_b32 exec_lo, exec_lo, s3
	s_wait_loadcnt 0x0
	ds_store_b128 v13, v[5:8]
	ds_store_b128 v13, v[1:4] offset:4096
	ds_store_b128 v13, v[9:12] offset:8192
	s_wait_dscnt 0x0
	s_barrier_signal -1
	s_barrier_wait -1
.LBB2010_14:
	v_mul_u32_u24_e32 v13, 3, v0
	s_wait_loadcnt 0x0
	global_inv scope:SCOPE_SE
	s_and_not1_b32 vcc_lo, exec_lo, s7
	v_lshlrev_b32_e32 v33, 4, v13
	ds_load_b128 v[1:4], v33 offset:32
	ds_load_b128 v[9:12], v33
	ds_load_b128 v[5:8], v33 offset:16
	s_wait_loadcnt_dscnt 0x0
	s_barrier_signal -1
	s_barrier_wait -1
	global_inv scope:SCOPE_SE
	v_cmp_ne_u64_e64 s0, s[12:13], v[1:2]
	v_cmp_ne_u64_e64 s1, s[14:15], v[3:4]
	s_cbranch_vccnz .LBB2010_16
; %bb.15:
	v_cmp_ne_u64_e32 vcc_lo, s[12:13], v[5:6]
	v_cmp_ne_u64_e64 s3, s[14:15], v[7:8]
	v_cmp_ne_u64_e64 s4, s[12:13], v[9:10]
	;; [unrolled: 1-line block ×3, first 2 shown]
	s_or_b32 s10, s0, s1
	s_or_b32 s3, vcc_lo, s3
	s_delay_alu instid0(SALU_CYCLE_1)
	v_cndmask_b32_e64 v31, 0, 1, s3
	s_or_b32 s3, s4, s5
	s_wait_alu 0xfffe
	v_cndmask_b32_e64 v32, 0, 1, s3
	s_cbranch_execz .LBB2010_17
	s_branch .LBB2010_18
.LBB2010_16:
                                        ; implicit-def: $sgpr10
                                        ; implicit-def: $vgpr32
                                        ; implicit-def: $vgpr31
.LBB2010_17:
	v_add_nc_u32_e32 v14, 1, v13
	v_cmp_ne_u64_e32 vcc_lo, s[12:13], v[5:6]
	v_cmp_ne_u64_e64 s0, s[14:15], v[7:8]
	v_cmp_ne_u64_e64 s1, s[12:13], v[9:10]
	v_cmp_ne_u64_e64 s4, s[14:15], v[11:12]
	s_wait_alu 0xfffe
	v_cmp_gt_u32_e64 s3, s20, v14
	v_cmp_gt_u32_e64 s5, s20, v13
	v_add_nc_u32_e32 v13, 2, v13
	s_or_b32 s0, vcc_lo, s0
	v_cmp_ne_u64_e32 vcc_lo, s[12:13], v[1:2]
	s_and_b32 s0, s3, s0
	s_or_b32 s1, s1, s4
	v_cndmask_b32_e64 v31, 0, 1, s0
	v_cmp_ne_u64_e64 s0, s[14:15], v[3:4]
	s_and_b32 s1, s5, s1
	v_cmp_gt_u32_e64 s3, s20, v13
	s_wait_alu 0xfffe
	v_cndmask_b32_e64 v14, 0, 1, s1
	v_lshlrev_b16 v13, 8, v31
	s_and_not1_b32 s1, s10, exec_lo
	s_or_b32 s0, vcc_lo, s0
	s_wait_alu 0xfffe
	s_and_b32 s0, s3, s0
	v_or_b32_e32 v32, v14, v13
	s_wait_alu 0xfffe
	s_and_b32 s0, s0, exec_lo
	s_wait_alu 0xfffe
	s_or_b32 s10, s1, s0
.LBB2010_18:
	v_mbcnt_lo_u32_b32 v36, -1, 0
	s_delay_alu instid0(VALU_DEP_2) | instskip(SKIP_2) | instid1(VALU_DEP_4)
	v_dual_mov_b32 v24, 0 :: v_dual_and_b32 v35, 0xff, v32
	v_and_b32_e32 v34, 0xff, v31
	v_cndmask_b32_e64 v13, 0, 1, s10
	v_and_b32_e32 v37, 15, v36
	s_cmp_lg_u32 s11, 0
	s_mov_b32 s1, -1
	s_delay_alu instid0(VALU_DEP_2) | instskip(NEXT) | instid1(VALU_DEP_2)
	v_add3_u32 v23, v35, v13, v34
	v_cmp_ne_u32_e64 s0, 0, v37
	s_cbranch_scc0 .LBB2010_75
; %bb.19:
	v_mov_b32_dpp v13, v23 row_shr:1 row_mask:0xf bank_mask:0xf
	v_mov_b32_dpp v18, v24 row_shr:1 row_mask:0xf bank_mask:0xf
	v_dual_mov_b32 v17, v23 :: v_dual_mov_b32 v14, v24
	v_dual_mov_b32 v15, v23 :: v_dual_mov_b32 v16, v24
	s_and_saveexec_b32 s1, s0
; %bb.20:
	v_add_co_u32 v17, s3, v23, v13
	s_wait_alu 0xf1ff
	v_add_co_ci_u32_e64 v14, null, 0, 0, s3
	s_delay_alu instid0(VALU_DEP_2) | instskip(NEXT) | instid1(VALU_DEP_1)
	v_add_co_u32 v13, vcc_lo, 0, v17
	v_add_co_ci_u32_e64 v14, null, v18, v14, vcc_lo
	s_delay_alu instid0(VALU_DEP_1)
	v_dual_mov_b32 v16, v14 :: v_dual_mov_b32 v15, v13
; %bb.21:
	s_wait_alu 0xfffe
	s_or_b32 exec_lo, exec_lo, s1
	v_mov_b32_dpp v13, v17 row_shr:2 row_mask:0xf bank_mask:0xf
	v_mov_b32_dpp v18, v14 row_shr:2 row_mask:0xf bank_mask:0xf
	s_mov_b32 s1, exec_lo
	v_cmpx_lt_u32_e32 1, v37
; %bb.22:
	s_delay_alu instid0(VALU_DEP_3) | instskip(SKIP_2) | instid1(VALU_DEP_2)
	v_add_co_u32 v17, vcc_lo, v15, v13
	s_wait_alu 0xfffd
	v_add_co_ci_u32_e64 v14, null, 0, v16, vcc_lo
	v_add_co_u32 v13, vcc_lo, 0, v17
	s_wait_alu 0xfffd
	s_delay_alu instid0(VALU_DEP_2) | instskip(NEXT) | instid1(VALU_DEP_1)
	v_add_co_ci_u32_e64 v14, null, v18, v14, vcc_lo
	v_dual_mov_b32 v16, v14 :: v_dual_mov_b32 v15, v13
; %bb.23:
	s_wait_alu 0xfffe
	s_or_b32 exec_lo, exec_lo, s1
	v_mov_b32_dpp v13, v17 row_shr:4 row_mask:0xf bank_mask:0xf
	v_mov_b32_dpp v18, v14 row_shr:4 row_mask:0xf bank_mask:0xf
	s_mov_b32 s1, exec_lo
	v_cmpx_lt_u32_e32 3, v37
; %bb.24:
	s_delay_alu instid0(VALU_DEP_3) | instskip(SKIP_2) | instid1(VALU_DEP_2)
	v_add_co_u32 v17, vcc_lo, v15, v13
	s_wait_alu 0xfffd
	v_add_co_ci_u32_e64 v14, null, 0, v16, vcc_lo
	v_add_co_u32 v13, vcc_lo, 0, v17
	s_wait_alu 0xfffd
	s_delay_alu instid0(VALU_DEP_2) | instskip(NEXT) | instid1(VALU_DEP_1)
	v_add_co_ci_u32_e64 v14, null, v18, v14, vcc_lo
	;; [unrolled: 17-line block ×3, first 2 shown]
	v_mov_b32_e32 v14, v16
; %bb.27:
	s_wait_alu 0xfffe
	s_or_b32 exec_lo, exec_lo, s1
	ds_swizzle_b32 v13, v17 offset:swizzle(BROADCAST,32,15)
	ds_swizzle_b32 v18, v14 offset:swizzle(BROADCAST,32,15)
	v_and_b32_e32 v19, 16, v36
	s_mov_b32 s1, exec_lo
	s_delay_alu instid0(VALU_DEP_1)
	v_cmpx_ne_u32_e32 0, v19
	s_cbranch_execz .LBB2010_29
; %bb.28:
	s_wait_dscnt 0x1
	v_add_co_u32 v17, vcc_lo, v15, v13
	s_wait_alu 0xfffd
	v_add_co_ci_u32_e64 v14, null, 0, v16, vcc_lo
	s_delay_alu instid0(VALU_DEP_2) | instskip(SKIP_2) | instid1(VALU_DEP_2)
	v_add_co_u32 v13, vcc_lo, 0, v17
	s_wait_dscnt 0x0
	s_wait_alu 0xfffd
	v_add_co_ci_u32_e64 v14, null, v18, v14, vcc_lo
	s_delay_alu instid0(VALU_DEP_1)
	v_dual_mov_b32 v16, v14 :: v_dual_mov_b32 v15, v13
.LBB2010_29:
	s_wait_alu 0xfffe
	s_or_b32 exec_lo, exec_lo, s1
	s_wait_dscnt 0x0
	v_or_b32_e32 v18, 31, v0
	v_lshrrev_b32_e32 v13, 5, v0
	s_mov_b32 s1, exec_lo
	s_delay_alu instid0(VALU_DEP_2)
	v_cmpx_eq_u32_e64 v0, v18
; %bb.30:
	s_delay_alu instid0(VALU_DEP_2)
	v_lshlrev_b32_e32 v18, 3, v13
	ds_store_b64 v18, v[15:16]
; %bb.31:
	s_wait_alu 0xfffe
	s_or_b32 exec_lo, exec_lo, s1
	s_delay_alu instid0(SALU_CYCLE_1)
	s_mov_b32 s1, exec_lo
	s_wait_loadcnt_dscnt 0x0
	s_barrier_signal -1
	s_barrier_wait -1
	global_inv scope:SCOPE_SE
	v_cmpx_gt_u32_e32 8, v0
	s_cbranch_execz .LBB2010_39
; %bb.32:
	v_lshlrev_b32_e32 v18, 3, v0
	s_mov_b32 s3, exec_lo
	ds_load_b64 v[15:16], v18
	s_wait_dscnt 0x0
	v_dual_mov_b32 v20, v15 :: v_dual_and_b32 v19, 7, v36
	v_mov_b32_dpp v26, v15 row_shr:1 row_mask:0xf bank_mask:0xf
	v_mov_b32_dpp v25, v16 row_shr:1 row_mask:0xf bank_mask:0xf
	s_delay_alu instid0(VALU_DEP_3)
	v_cmpx_ne_u32_e32 0, v19
; %bb.33:
	s_delay_alu instid0(VALU_DEP_3) | instskip(SKIP_2) | instid1(VALU_DEP_2)
	v_add_co_u32 v20, vcc_lo, v15, v26
	s_wait_alu 0xfffd
	v_add_co_ci_u32_e64 v16, null, 0, v16, vcc_lo
	v_add_co_u32 v15, vcc_lo, 0, v20
	s_wait_alu 0xfffd
	s_delay_alu instid0(VALU_DEP_2)
	v_add_co_ci_u32_e64 v16, null, v25, v16, vcc_lo
; %bb.34:
	s_wait_alu 0xfffe
	s_or_b32 exec_lo, exec_lo, s3
	v_mov_b32_dpp v26, v20 row_shr:2 row_mask:0xf bank_mask:0xf
	s_delay_alu instid0(VALU_DEP_2)
	v_mov_b32_dpp v25, v16 row_shr:2 row_mask:0xf bank_mask:0xf
	s_mov_b32 s3, exec_lo
	v_cmpx_lt_u32_e32 1, v19
; %bb.35:
	s_delay_alu instid0(VALU_DEP_3) | instskip(SKIP_2) | instid1(VALU_DEP_2)
	v_add_co_u32 v20, vcc_lo, v15, v26
	s_wait_alu 0xfffd
	v_add_co_ci_u32_e64 v16, null, 0, v16, vcc_lo
	v_add_co_u32 v15, vcc_lo, 0, v20
	s_wait_alu 0xfffd
	s_delay_alu instid0(VALU_DEP_2)
	v_add_co_ci_u32_e64 v16, null, v25, v16, vcc_lo
; %bb.36:
	s_wait_alu 0xfffe
	s_or_b32 exec_lo, exec_lo, s3
	v_mov_b32_dpp v25, v20 row_shr:4 row_mask:0xf bank_mask:0xf
	s_delay_alu instid0(VALU_DEP_2)
	v_mov_b32_dpp v20, v16 row_shr:4 row_mask:0xf bank_mask:0xf
	s_mov_b32 s3, exec_lo
	v_cmpx_lt_u32_e32 3, v19
; %bb.37:
	s_delay_alu instid0(VALU_DEP_3) | instskip(SKIP_2) | instid1(VALU_DEP_2)
	v_add_co_u32 v15, vcc_lo, v15, v25
	s_wait_alu 0xfffd
	v_add_co_ci_u32_e64 v16, null, 0, v16, vcc_lo
	v_add_co_u32 v15, vcc_lo, v15, 0
	s_wait_alu 0xfffd
	s_delay_alu instid0(VALU_DEP_2)
	v_add_co_ci_u32_e64 v16, null, v16, v20, vcc_lo
; %bb.38:
	s_wait_alu 0xfffe
	s_or_b32 exec_lo, exec_lo, s3
	ds_store_b64 v18, v[15:16]
.LBB2010_39:
	s_wait_alu 0xfffe
	s_or_b32 exec_lo, exec_lo, s1
	s_delay_alu instid0(SALU_CYCLE_1)
	s_mov_b32 s3, exec_lo
	v_cmp_gt_u32_e32 vcc_lo, 32, v0
	s_wait_loadcnt_dscnt 0x0
	s_barrier_signal -1
	s_barrier_wait -1
	global_inv scope:SCOPE_SE
                                        ; implicit-def: $vgpr25_vgpr26
	v_cmpx_lt_u32_e32 31, v0
	s_cbranch_execz .LBB2010_41
; %bb.40:
	v_lshl_add_u32 v13, v13, 3, -8
	ds_load_b64 v[25:26], v13
	s_wait_dscnt 0x0
	v_add_co_u32 v17, s1, v17, v25
	s_wait_alu 0xf1ff
	v_add_co_ci_u32_e64 v14, null, v14, v26, s1
.LBB2010_41:
	s_wait_alu 0xfffe
	s_or_b32 exec_lo, exec_lo, s3
	v_sub_co_u32 v13, s1, v36, 1
	s_delay_alu instid0(VALU_DEP_1) | instskip(SKIP_1) | instid1(VALU_DEP_1)
	v_cmp_gt_i32_e64 s3, 0, v13
	s_wait_alu 0xf1ff
	v_cndmask_b32_e64 v13, v13, v36, s3
	s_delay_alu instid0(VALU_DEP_1)
	v_lshlrev_b32_e32 v13, 2, v13
	ds_bpermute_b32 v38, v13, v17
	ds_bpermute_b32 v39, v13, v14
	s_and_saveexec_b32 s3, vcc_lo
	s_cbranch_execz .LBB2010_80
; %bb.42:
	v_mov_b32_e32 v16, 0
	ds_load_b64 v[13:14], v16 offset:56
	s_and_saveexec_b32 s4, s1
	s_cbranch_execz .LBB2010_44
; %bb.43:
	s_add_co_i32 s12, s11, 32
	s_mov_b32 s13, 0
	s_wait_alu 0xfffe
	s_lshl_b64 s[12:13], s[12:13], 4
	s_wait_alu 0xfffe
	s_add_nc_u64 s[12:13], s[18:19], s[12:13]
	s_wait_alu 0xfffe
	v_dual_mov_b32 v15, 1 :: v_dual_mov_b32 v18, s13
	v_mov_b32_e32 v17, s12
	s_wait_dscnt 0x0
	;;#ASMSTART
	global_store_b128 v[17:18], v[13:16] off scope:SCOPE_DEV	
s_wait_storecnt 0x0
	;;#ASMEND
.LBB2010_44:
	s_or_b32 exec_lo, exec_lo, s4
	v_xad_u32 v27, v36, -1, s11
	s_mov_b32 s5, 0
	s_mov_b32 s4, exec_lo
	s_delay_alu instid0(VALU_DEP_1) | instskip(NEXT) | instid1(VALU_DEP_1)
	v_add_nc_u32_e32 v15, 32, v27
	v_lshlrev_b64_e32 v[15:16], 4, v[15:16]
	s_delay_alu instid0(VALU_DEP_1) | instskip(SKIP_1) | instid1(VALU_DEP_2)
	v_add_co_u32 v15, vcc_lo, s18, v15
	s_wait_alu 0xfffd
	v_add_co_ci_u32_e64 v16, null, s19, v16, vcc_lo
	;;#ASMSTART
	global_load_b128 v[17:20], v[15:16] off scope:SCOPE_DEV	
s_wait_loadcnt 0x0
	;;#ASMEND
	v_and_b32_e32 v20, 0xff, v19
	s_delay_alu instid0(VALU_DEP_1)
	v_cmpx_eq_u16_e32 0, v20
	s_cbranch_execz .LBB2010_47
.LBB2010_45:                            ; =>This Inner Loop Header: Depth=1
	;;#ASMSTART
	global_load_b128 v[17:20], v[15:16] off scope:SCOPE_DEV	
s_wait_loadcnt 0x0
	;;#ASMEND
	v_and_b32_e32 v20, 0xff, v19
	s_delay_alu instid0(VALU_DEP_1) | instskip(SKIP_1) | instid1(SALU_CYCLE_1)
	v_cmp_ne_u16_e32 vcc_lo, 0, v20
	s_or_b32 s5, vcc_lo, s5
	s_and_not1_b32 exec_lo, exec_lo, s5
	s_cbranch_execnz .LBB2010_45
; %bb.46:
	s_or_b32 exec_lo, exec_lo, s5
.LBB2010_47:
	s_delay_alu instid0(SALU_CYCLE_1)
	s_or_b32 exec_lo, exec_lo, s4
	v_cmp_ne_u32_e32 vcc_lo, 31, v36
	v_and_b32_e32 v16, 0xff, v19
	v_lshlrev_b32_e64 v41, v36, -1
	s_mov_b32 s4, exec_lo
	s_wait_alu 0xfffd
	v_add_co_ci_u32_e64 v15, null, 0, v36, vcc_lo
	v_cmp_eq_u16_e32 vcc_lo, 2, v16
	v_mov_b32_e32 v16, v17
	s_delay_alu instid0(VALU_DEP_3)
	v_lshlrev_b32_e32 v40, 2, v15
	s_wait_alu 0xfffd
	v_and_or_b32 v15, vcc_lo, v41, 0x80000000
	ds_bpermute_b32 v28, v40, v17
	ds_bpermute_b32 v20, v40, v18
	v_ctz_i32_b32_e32 v15, v15
	s_delay_alu instid0(VALU_DEP_1)
	v_cmpx_lt_u32_e64 v36, v15
	s_cbranch_execz .LBB2010_49
; %bb.48:
	s_wait_dscnt 0x1
	v_add_co_u32 v16, vcc_lo, v17, v28
	s_wait_alu 0xfffd
	v_add_co_ci_u32_e64 v18, null, 0, v18, vcc_lo
	s_delay_alu instid0(VALU_DEP_2) | instskip(SKIP_2) | instid1(VALU_DEP_2)
	v_add_co_u32 v17, vcc_lo, 0, v16
	s_wait_dscnt 0x0
	s_wait_alu 0xfffd
	v_add_co_ci_u32_e64 v18, null, v20, v18, vcc_lo
.LBB2010_49:
	s_or_b32 exec_lo, exec_lo, s4
	v_cmp_gt_u32_e32 vcc_lo, 30, v36
	v_add_nc_u32_e32 v43, 2, v36
	s_mov_b32 s4, exec_lo
	s_wait_dscnt 0x0
	s_wait_alu 0xfffd
	v_cndmask_b32_e64 v20, 0, 2, vcc_lo
	s_delay_alu instid0(VALU_DEP_1)
	v_add_lshl_u32 v42, v20, v36, 2
	ds_bpermute_b32 v28, v42, v16
	ds_bpermute_b32 v20, v42, v18
	v_cmpx_le_u32_e64 v43, v15
	s_cbranch_execz .LBB2010_51
; %bb.50:
	s_wait_dscnt 0x1
	v_add_co_u32 v16, vcc_lo, v17, v28
	s_wait_alu 0xfffd
	v_add_co_ci_u32_e64 v18, null, 0, v18, vcc_lo
	s_delay_alu instid0(VALU_DEP_2) | instskip(SKIP_2) | instid1(VALU_DEP_2)
	v_add_co_u32 v17, vcc_lo, 0, v16
	s_wait_dscnt 0x0
	s_wait_alu 0xfffd
	v_add_co_ci_u32_e64 v18, null, v20, v18, vcc_lo
.LBB2010_51:
	s_or_b32 exec_lo, exec_lo, s4
	v_cmp_gt_u32_e32 vcc_lo, 28, v36
	v_add_nc_u32_e32 v45, 4, v36
	s_mov_b32 s4, exec_lo
	s_wait_dscnt 0x0
	s_wait_alu 0xfffd
	v_cndmask_b32_e64 v20, 0, 4, vcc_lo
	s_delay_alu instid0(VALU_DEP_1)
	v_add_lshl_u32 v44, v20, v36, 2
	ds_bpermute_b32 v28, v44, v16
	ds_bpermute_b32 v20, v44, v18
	v_cmpx_le_u32_e64 v45, v15
	;; [unrolled: 24-line block ×3, first 2 shown]
	s_cbranch_execz .LBB2010_55
; %bb.54:
	s_wait_dscnt 0x1
	v_add_co_u32 v16, vcc_lo, v17, v28
	s_wait_alu 0xfffd
	v_add_co_ci_u32_e64 v18, null, 0, v18, vcc_lo
	s_delay_alu instid0(VALU_DEP_2) | instskip(SKIP_2) | instid1(VALU_DEP_2)
	v_add_co_u32 v17, vcc_lo, 0, v16
	s_wait_dscnt 0x0
	s_wait_alu 0xfffd
	v_add_co_ci_u32_e64 v18, null, v20, v18, vcc_lo
.LBB2010_55:
	s_or_b32 exec_lo, exec_lo, s4
	v_lshl_or_b32 v48, v36, 2, 64
	v_add_nc_u32_e32 v49, 16, v36
	s_mov_b32 s4, exec_lo
	s_wait_dscnt 0x0
	ds_bpermute_b32 v20, v48, v16
	ds_bpermute_b32 v16, v48, v18
	v_cmpx_le_u32_e64 v49, v15
	s_cbranch_execz .LBB2010_57
; %bb.56:
	s_wait_dscnt 0x1
	v_add_co_u32 v15, vcc_lo, v17, v20
	s_wait_alu 0xfffd
	v_add_co_ci_u32_e64 v18, null, 0, v18, vcc_lo
	s_delay_alu instid0(VALU_DEP_2) | instskip(SKIP_2) | instid1(VALU_DEP_2)
	v_add_co_u32 v17, vcc_lo, v15, 0
	s_wait_dscnt 0x0
	s_wait_alu 0xfffd
	v_add_co_ci_u32_e64 v18, null, v18, v16, vcc_lo
.LBB2010_57:
	s_or_b32 exec_lo, exec_lo, s4
	v_mov_b32_e32 v28, 0
	s_branch .LBB2010_60
.LBB2010_58:                            ;   in Loop: Header=BB2010_60 Depth=1
	s_or_b32 exec_lo, exec_lo, s4
	v_add_co_u32 v17, vcc_lo, v17, v15
	v_subrev_nc_u32_e32 v27, 32, v27
	s_wait_alu 0xfffd
	v_add_co_ci_u32_e64 v18, null, v18, v16, vcc_lo
	s_mov_b32 s4, 0
.LBB2010_59:                            ;   in Loop: Header=BB2010_60 Depth=1
	s_delay_alu instid0(SALU_CYCLE_1)
	s_and_b32 vcc_lo, exec_lo, s4
	s_wait_alu 0xfffe
	s_cbranch_vccnz .LBB2010_76
.LBB2010_60:                            ; =>This Loop Header: Depth=1
                                        ;     Child Loop BB2010_63 Depth 2
	v_and_b32_e32 v15, 0xff, v19
	s_mov_b32 s4, -1
	s_delay_alu instid0(VALU_DEP_1)
	v_cmp_ne_u16_e32 vcc_lo, 2, v15
	s_wait_dscnt 0x0
	v_dual_mov_b32 v15, v17 :: v_dual_mov_b32 v16, v18
                                        ; implicit-def: $vgpr17_vgpr18
	s_cmp_lg_u32 vcc_lo, exec_lo
	s_cbranch_scc1 .LBB2010_59
; %bb.61:                               ;   in Loop: Header=BB2010_60 Depth=1
	v_lshlrev_b64_e32 v[17:18], 4, v[27:28]
	s_mov_b32 s4, exec_lo
	s_delay_alu instid0(VALU_DEP_1) | instskip(SKIP_1) | instid1(VALU_DEP_2)
	v_add_co_u32 v29, vcc_lo, s18, v17
	s_wait_alu 0xfffd
	v_add_co_ci_u32_e64 v30, null, s19, v18, vcc_lo
	;;#ASMSTART
	global_load_b128 v[17:20], v[29:30] off scope:SCOPE_DEV	
s_wait_loadcnt 0x0
	;;#ASMEND
	v_and_b32_e32 v20, 0xff, v19
	s_delay_alu instid0(VALU_DEP_1)
	v_cmpx_eq_u16_e32 0, v20
	s_cbranch_execz .LBB2010_65
; %bb.62:                               ;   in Loop: Header=BB2010_60 Depth=1
	s_mov_b32 s5, 0
.LBB2010_63:                            ;   Parent Loop BB2010_60 Depth=1
                                        ; =>  This Inner Loop Header: Depth=2
	;;#ASMSTART
	global_load_b128 v[17:20], v[29:30] off scope:SCOPE_DEV	
s_wait_loadcnt 0x0
	;;#ASMEND
	v_and_b32_e32 v20, 0xff, v19
	s_delay_alu instid0(VALU_DEP_1) | instskip(SKIP_1) | instid1(SALU_CYCLE_1)
	v_cmp_ne_u16_e32 vcc_lo, 0, v20
	s_or_b32 s5, vcc_lo, s5
	s_and_not1_b32 exec_lo, exec_lo, s5
	s_cbranch_execnz .LBB2010_63
; %bb.64:                               ;   in Loop: Header=BB2010_60 Depth=1
	s_or_b32 exec_lo, exec_lo, s5
.LBB2010_65:                            ;   in Loop: Header=BB2010_60 Depth=1
	s_delay_alu instid0(SALU_CYCLE_1)
	s_or_b32 exec_lo, exec_lo, s4
	v_dual_mov_b32 v29, v17 :: v_dual_and_b32 v20, 0xff, v19
	ds_bpermute_b32 v50, v40, v17
	ds_bpermute_b32 v30, v40, v18
	s_mov_b32 s4, exec_lo
	v_cmp_eq_u16_e32 vcc_lo, 2, v20
	s_wait_alu 0xfffd
	v_and_or_b32 v20, vcc_lo, v41, 0x80000000
	s_delay_alu instid0(VALU_DEP_1) | instskip(NEXT) | instid1(VALU_DEP_1)
	v_ctz_i32_b32_e32 v20, v20
	v_cmpx_lt_u32_e64 v36, v20
	s_cbranch_execz .LBB2010_67
; %bb.66:                               ;   in Loop: Header=BB2010_60 Depth=1
	s_wait_dscnt 0x1
	v_add_co_u32 v29, vcc_lo, v17, v50
	s_wait_alu 0xfffd
	v_add_co_ci_u32_e64 v18, null, 0, v18, vcc_lo
	s_delay_alu instid0(VALU_DEP_2) | instskip(SKIP_2) | instid1(VALU_DEP_2)
	v_add_co_u32 v17, vcc_lo, 0, v29
	s_wait_dscnt 0x0
	s_wait_alu 0xfffd
	v_add_co_ci_u32_e64 v18, null, v30, v18, vcc_lo
.LBB2010_67:                            ;   in Loop: Header=BB2010_60 Depth=1
	s_or_b32 exec_lo, exec_lo, s4
	s_wait_dscnt 0x1
	ds_bpermute_b32 v50, v42, v29
	s_wait_dscnt 0x1
	ds_bpermute_b32 v30, v42, v18
	s_mov_b32 s4, exec_lo
	v_cmpx_le_u32_e64 v43, v20
	s_cbranch_execz .LBB2010_69
; %bb.68:                               ;   in Loop: Header=BB2010_60 Depth=1
	s_wait_dscnt 0x1
	v_add_co_u32 v29, vcc_lo, v17, v50
	s_wait_alu 0xfffd
	v_add_co_ci_u32_e64 v18, null, 0, v18, vcc_lo
	s_delay_alu instid0(VALU_DEP_2) | instskip(SKIP_2) | instid1(VALU_DEP_2)
	v_add_co_u32 v17, vcc_lo, 0, v29
	s_wait_dscnt 0x0
	s_wait_alu 0xfffd
	v_add_co_ci_u32_e64 v18, null, v30, v18, vcc_lo
.LBB2010_69:                            ;   in Loop: Header=BB2010_60 Depth=1
	s_or_b32 exec_lo, exec_lo, s4
	s_wait_dscnt 0x1
	ds_bpermute_b32 v50, v44, v29
	s_wait_dscnt 0x1
	ds_bpermute_b32 v30, v44, v18
	s_mov_b32 s4, exec_lo
	v_cmpx_le_u32_e64 v45, v20
	;; [unrolled: 19-line block ×3, first 2 shown]
	s_cbranch_execz .LBB2010_73
; %bb.72:                               ;   in Loop: Header=BB2010_60 Depth=1
	s_wait_dscnt 0x1
	v_add_co_u32 v29, vcc_lo, v17, v50
	s_wait_alu 0xfffd
	v_add_co_ci_u32_e64 v18, null, 0, v18, vcc_lo
	s_delay_alu instid0(VALU_DEP_2) | instskip(SKIP_2) | instid1(VALU_DEP_2)
	v_add_co_u32 v17, vcc_lo, 0, v29
	s_wait_dscnt 0x0
	s_wait_alu 0xfffd
	v_add_co_ci_u32_e64 v18, null, v30, v18, vcc_lo
.LBB2010_73:                            ;   in Loop: Header=BB2010_60 Depth=1
	s_or_b32 exec_lo, exec_lo, s4
	s_wait_dscnt 0x0
	ds_bpermute_b32 v30, v48, v29
	ds_bpermute_b32 v29, v48, v18
	s_mov_b32 s4, exec_lo
	v_cmpx_le_u32_e64 v49, v20
	s_cbranch_execz .LBB2010_58
; %bb.74:                               ;   in Loop: Header=BB2010_60 Depth=1
	s_wait_dscnt 0x1
	v_add_co_u32 v17, vcc_lo, v17, v30
	s_wait_alu 0xfffd
	v_add_co_ci_u32_e64 v18, null, 0, v18, vcc_lo
	s_delay_alu instid0(VALU_DEP_2) | instskip(SKIP_2) | instid1(VALU_DEP_2)
	v_add_co_u32 v17, vcc_lo, v17, 0
	s_wait_dscnt 0x0
	s_wait_alu 0xfffd
	v_add_co_ci_u32_e64 v18, null, v18, v29, vcc_lo
	s_branch .LBB2010_58
.LBB2010_75:
                                        ; implicit-def: $vgpr17_vgpr18
                                        ; implicit-def: $vgpr19_vgpr20
                                        ; implicit-def: $vgpr25_vgpr26
                                        ; implicit-def: $vgpr15_vgpr16
	s_wait_alu 0xfffe
	s_and_b32 vcc_lo, exec_lo, s1
	s_cbranch_vccnz .LBB2010_81
	s_branch .LBB2010_106
.LBB2010_76:
	s_and_saveexec_b32 s4, s1
	s_cbranch_execz .LBB2010_78
; %bb.77:
	s_add_co_i32 s12, s11, 32
	s_mov_b32 s13, 0
	v_add_co_u32 v17, vcc_lo, v15, v13
	s_wait_alu 0xfffe
	s_lshl_b64 s[12:13], s[12:13], 4
	v_dual_mov_b32 v19, 2 :: v_dual_mov_b32 v20, 0
	s_wait_alu 0xfffe
	s_add_nc_u64 s[12:13], s[18:19], s[12:13]
	s_wait_alu 0xfffd
	v_add_co_ci_u32_e64 v18, null, v16, v14, vcc_lo
	s_wait_alu 0xfffe
	v_dual_mov_b32 v28, s13 :: v_dual_mov_b32 v27, s12
	;;#ASMSTART
	global_store_b128 v[27:28], v[17:20] off scope:SCOPE_DEV	
s_wait_storecnt 0x0
	;;#ASMEND
	ds_store_b128 v20, v[13:16] offset:12288
.LBB2010_78:
	s_or_b32 exec_lo, exec_lo, s4
	s_delay_alu instid0(SALU_CYCLE_1)
	s_and_b32 exec_lo, exec_lo, s2
; %bb.79:
	v_mov_b32_e32 v13, 0
	ds_store_b64 v13, v[15:16] offset:56
.LBB2010_80:
	s_wait_alu 0xfffe
	s_or_b32 exec_lo, exec_lo, s3
	v_mov_b32_e32 v13, 0
	s_wait_loadcnt_dscnt 0x0
	s_barrier_signal -1
	s_barrier_wait -1
	global_inv scope:SCOPE_SE
	ds_load_b64 v[17:18], v13 offset:56
	v_cndmask_b32_e64 v14, v39, v26, s1
	v_cndmask_b32_e64 v15, v38, v25, s1
	s_wait_loadcnt_dscnt 0x0
	s_barrier_signal -1
	s_barrier_wait -1
	v_cndmask_b32_e64 v19, v14, 0, s2
	v_cndmask_b32_e64 v20, v15, 0, s2
	global_inv scope:SCOPE_SE
	ds_load_b128 v[13:16], v13 offset:12288
	v_add_co_u32 v25, vcc_lo, v17, v20
	s_wait_alu 0xfffd
	v_add_co_ci_u32_e64 v26, null, v18, v19, vcc_lo
	s_delay_alu instid0(VALU_DEP_2) | instskip(SKIP_1) | instid1(VALU_DEP_2)
	v_add_co_u32 v19, vcc_lo, v25, v35
	s_wait_alu 0xfffd
	v_add_co_ci_u32_e64 v20, null, 0, v26, vcc_lo
	s_delay_alu instid0(VALU_DEP_2) | instskip(SKIP_1) | instid1(VALU_DEP_2)
	v_add_co_u32 v17, vcc_lo, v19, v34
	s_wait_alu 0xfffd
	v_add_co_ci_u32_e64 v18, null, 0, v20, vcc_lo
	s_branch .LBB2010_106
.LBB2010_81:
	s_wait_dscnt 0x0
	v_dual_mov_b32 v14, 0 :: v_dual_mov_b32 v15, v23
	v_mov_b32_dpp v16, v23 row_shr:1 row_mask:0xf bank_mask:0xf
	s_delay_alu instid0(VALU_DEP_2)
	v_mov_b32_dpp v13, v14 row_shr:1 row_mask:0xf bank_mask:0xf
	s_and_saveexec_b32 s1, s0
; %bb.82:
	s_delay_alu instid0(VALU_DEP_2) | instskip(SKIP_2) | instid1(VALU_DEP_2)
	v_add_co_u32 v15, s0, v23, v16
	s_wait_alu 0xf1ff
	v_add_co_ci_u32_e64 v14, null, 0, 0, s0
	v_add_co_u32 v23, vcc_lo, 0, v15
	s_delay_alu instid0(VALU_DEP_1) | instskip(NEXT) | instid1(VALU_DEP_1)
	v_add_co_ci_u32_e64 v24, null, v13, v14, vcc_lo
	v_mov_b32_e32 v14, v24
; %bb.83:
	s_wait_alu 0xfffe
	s_or_b32 exec_lo, exec_lo, s1
	v_mov_b32_dpp v13, v15 row_shr:2 row_mask:0xf bank_mask:0xf
	s_delay_alu instid0(VALU_DEP_2)
	v_mov_b32_dpp v16, v14 row_shr:2 row_mask:0xf bank_mask:0xf
	s_mov_b32 s0, exec_lo
	v_cmpx_lt_u32_e32 1, v37
; %bb.84:
	s_delay_alu instid0(VALU_DEP_3) | instskip(SKIP_2) | instid1(VALU_DEP_2)
	v_add_co_u32 v15, vcc_lo, v23, v13
	s_wait_alu 0xfffd
	v_add_co_ci_u32_e64 v14, null, 0, v24, vcc_lo
	v_add_co_u32 v13, vcc_lo, 0, v15
	s_wait_alu 0xfffd
	s_delay_alu instid0(VALU_DEP_2) | instskip(NEXT) | instid1(VALU_DEP_1)
	v_add_co_ci_u32_e64 v14, null, v16, v14, vcc_lo
	v_dual_mov_b32 v24, v14 :: v_dual_mov_b32 v23, v13
; %bb.85:
	s_wait_alu 0xfffe
	s_or_b32 exec_lo, exec_lo, s0
	v_mov_b32_dpp v13, v15 row_shr:4 row_mask:0xf bank_mask:0xf
	v_mov_b32_dpp v16, v14 row_shr:4 row_mask:0xf bank_mask:0xf
	s_mov_b32 s0, exec_lo
	v_cmpx_lt_u32_e32 3, v37
; %bb.86:
	s_delay_alu instid0(VALU_DEP_3) | instskip(SKIP_2) | instid1(VALU_DEP_2)
	v_add_co_u32 v15, vcc_lo, v23, v13
	s_wait_alu 0xfffd
	v_add_co_ci_u32_e64 v14, null, 0, v24, vcc_lo
	v_add_co_u32 v13, vcc_lo, 0, v15
	s_wait_alu 0xfffd
	s_delay_alu instid0(VALU_DEP_2) | instskip(NEXT) | instid1(VALU_DEP_1)
	v_add_co_ci_u32_e64 v14, null, v16, v14, vcc_lo
	v_dual_mov_b32 v24, v14 :: v_dual_mov_b32 v23, v13
; %bb.87:
	s_wait_alu 0xfffe
	s_or_b32 exec_lo, exec_lo, s0
	v_mov_b32_dpp v16, v15 row_shr:8 row_mask:0xf bank_mask:0xf
	v_mov_b32_dpp v13, v14 row_shr:8 row_mask:0xf bank_mask:0xf
	s_mov_b32 s0, exec_lo
	v_cmpx_lt_u32_e32 7, v37
; %bb.88:
	s_delay_alu instid0(VALU_DEP_3) | instskip(SKIP_2) | instid1(VALU_DEP_2)
	v_add_co_u32 v15, vcc_lo, v23, v16
	s_wait_alu 0xfffd
	v_add_co_ci_u32_e64 v14, null, 0, v24, vcc_lo
	v_add_co_u32 v23, vcc_lo, 0, v15
	s_wait_alu 0xfffd
	s_delay_alu instid0(VALU_DEP_2) | instskip(NEXT) | instid1(VALU_DEP_1)
	v_add_co_ci_u32_e64 v24, null, v13, v14, vcc_lo
	v_mov_b32_e32 v14, v24
; %bb.89:
	s_wait_alu 0xfffe
	s_or_b32 exec_lo, exec_lo, s0
	ds_swizzle_b32 v15, v15 offset:swizzle(BROADCAST,32,15)
	ds_swizzle_b32 v13, v14 offset:swizzle(BROADCAST,32,15)
	v_and_b32_e32 v14, 16, v36
	s_mov_b32 s0, exec_lo
	s_delay_alu instid0(VALU_DEP_1)
	v_cmpx_ne_u32_e32 0, v14
	s_cbranch_execz .LBB2010_91
; %bb.90:
	s_wait_dscnt 0x1
	v_add_co_u32 v14, vcc_lo, v23, v15
	s_wait_alu 0xfffd
	v_add_co_ci_u32_e64 v15, null, 0, v24, vcc_lo
	s_delay_alu instid0(VALU_DEP_2) | instskip(SKIP_2) | instid1(VALU_DEP_2)
	v_add_co_u32 v23, vcc_lo, v14, 0
	s_wait_dscnt 0x0
	s_wait_alu 0xfffd
	v_add_co_ci_u32_e64 v24, null, v15, v13, vcc_lo
.LBB2010_91:
	s_wait_alu 0xfffe
	s_or_b32 exec_lo, exec_lo, s0
	s_wait_dscnt 0x0
	v_or_b32_e32 v13, 31, v0
	v_lshrrev_b32_e32 v15, 5, v0
	s_mov_b32 s0, exec_lo
	s_delay_alu instid0(VALU_DEP_2)
	v_cmpx_eq_u32_e64 v0, v13
; %bb.92:
	s_delay_alu instid0(VALU_DEP_2)
	v_lshlrev_b32_e32 v13, 3, v15
	ds_store_b64 v13, v[23:24]
; %bb.93:
	s_wait_alu 0xfffe
	s_or_b32 exec_lo, exec_lo, s0
	s_delay_alu instid0(SALU_CYCLE_1)
	s_mov_b32 s0, exec_lo
	s_wait_loadcnt_dscnt 0x0
	s_barrier_signal -1
	s_barrier_wait -1
	global_inv scope:SCOPE_SE
	v_cmpx_gt_u32_e32 8, v0
	s_cbranch_execz .LBB2010_101
; %bb.94:
	v_mad_i32_i24 v13, 0xffffffd8, v0, v33
	s_mov_b32 s1, exec_lo
	ds_load_b64 v[13:14], v13
	s_wait_dscnt 0x0
	v_dual_mov_b32 v17, v13 :: v_dual_and_b32 v16, 7, v36
	v_mov_b32_dpp v19, v13 row_shr:1 row_mask:0xf bank_mask:0xf
	v_mov_b32_dpp v18, v14 row_shr:1 row_mask:0xf bank_mask:0xf
	s_delay_alu instid0(VALU_DEP_3)
	v_cmpx_ne_u32_e32 0, v16
; %bb.95:
	s_delay_alu instid0(VALU_DEP_3) | instskip(SKIP_2) | instid1(VALU_DEP_2)
	v_add_co_u32 v17, vcc_lo, v13, v19
	s_wait_alu 0xfffd
	v_add_co_ci_u32_e64 v14, null, 0, v14, vcc_lo
	v_add_co_u32 v13, vcc_lo, 0, v17
	s_wait_alu 0xfffd
	s_delay_alu instid0(VALU_DEP_2)
	v_add_co_ci_u32_e64 v14, null, v18, v14, vcc_lo
; %bb.96:
	s_wait_alu 0xfffe
	s_or_b32 exec_lo, exec_lo, s1
	v_mov_b32_dpp v19, v17 row_shr:2 row_mask:0xf bank_mask:0xf
	s_delay_alu instid0(VALU_DEP_2)
	v_mov_b32_dpp v18, v14 row_shr:2 row_mask:0xf bank_mask:0xf
	s_mov_b32 s1, exec_lo
	v_cmpx_lt_u32_e32 1, v16
; %bb.97:
	s_delay_alu instid0(VALU_DEP_3) | instskip(SKIP_2) | instid1(VALU_DEP_2)
	v_add_co_u32 v17, vcc_lo, v13, v19
	s_wait_alu 0xfffd
	v_add_co_ci_u32_e64 v14, null, 0, v14, vcc_lo
	v_add_co_u32 v13, vcc_lo, 0, v17
	s_wait_alu 0xfffd
	s_delay_alu instid0(VALU_DEP_2)
	v_add_co_ci_u32_e64 v14, null, v18, v14, vcc_lo
; %bb.98:
	s_wait_alu 0xfffe
	s_or_b32 exec_lo, exec_lo, s1
	v_mul_i32_i24_e32 v18, 0xffffffd8, v0
	v_mov_b32_dpp v19, v17 row_shr:4 row_mask:0xf bank_mask:0xf
	v_mov_b32_dpp v17, v14 row_shr:4 row_mask:0xf bank_mask:0xf
	s_mov_b32 s1, exec_lo
	v_cmpx_lt_u32_e32 3, v16
; %bb.99:
	s_delay_alu instid0(VALU_DEP_3) | instskip(SKIP_2) | instid1(VALU_DEP_2)
	v_add_co_u32 v13, vcc_lo, v13, v19
	s_wait_alu 0xfffd
	v_add_co_ci_u32_e64 v14, null, 0, v14, vcc_lo
	v_add_co_u32 v13, vcc_lo, v13, 0
	s_wait_alu 0xfffd
	s_delay_alu instid0(VALU_DEP_2)
	v_add_co_ci_u32_e64 v14, null, v14, v17, vcc_lo
; %bb.100:
	s_wait_alu 0xfffe
	s_or_b32 exec_lo, exec_lo, s1
	v_add_nc_u32_e32 v16, v33, v18
	ds_store_b64 v16, v[13:14]
.LBB2010_101:
	s_wait_alu 0xfffe
	s_or_b32 exec_lo, exec_lo, s0
	v_mov_b32_e32 v17, 0
	v_mov_b32_e32 v18, 0
	s_mov_b32 s0, exec_lo
	s_wait_loadcnt_dscnt 0x0
	s_barrier_signal -1
	s_barrier_wait -1
	global_inv scope:SCOPE_SE
	v_cmpx_lt_u32_e32 31, v0
; %bb.102:
	v_lshl_add_u32 v13, v15, 3, -8
	ds_load_b64 v[17:18], v13
; %bb.103:
	s_wait_alu 0xfffe
	s_or_b32 exec_lo, exec_lo, s0
	v_sub_co_u32 v13, vcc_lo, v36, 1
	v_mov_b32_e32 v16, 0
	s_delay_alu instid0(VALU_DEP_2) | instskip(SKIP_1) | instid1(VALU_DEP_1)
	v_cmp_gt_i32_e64 s0, 0, v13
	s_wait_alu 0xf1ff
	v_cndmask_b32_e64 v13, v13, v36, s0
	s_wait_dscnt 0x0
	v_add_co_u32 v14, s0, v17, v23
	s_wait_alu 0xf1ff
	v_add_co_ci_u32_e64 v15, null, v18, v24, s0
	v_lshlrev_b32_e32 v13, 2, v13
	ds_bpermute_b32 v19, v13, v14
	ds_bpermute_b32 v20, v13, v15
	ds_load_b64 v[13:14], v16 offset:56
	s_and_saveexec_b32 s0, s2
	s_cbranch_execz .LBB2010_105
; %bb.104:
	s_add_nc_u64 s[4:5], s[18:19], 0x200
	s_delay_alu instid0(SALU_CYCLE_1)
	v_dual_mov_b32 v15, 2 :: v_dual_mov_b32 v24, s5
	v_mov_b32_e32 v23, s4
	s_wait_dscnt 0x0
	;;#ASMSTART
	global_store_b128 v[23:24], v[13:16] off scope:SCOPE_DEV	
s_wait_storecnt 0x0
	;;#ASMEND
.LBB2010_105:
	s_wait_alu 0xfffe
	s_or_b32 exec_lo, exec_lo, s0
	s_wait_dscnt 0x1
	s_wait_alu 0xfffd
	v_dual_cndmask_b32 v15, v19, v17 :: v_dual_cndmask_b32 v16, v20, v18
	s_wait_loadcnt_dscnt 0x0
	s_barrier_signal -1
	s_barrier_wait -1
	s_delay_alu instid0(VALU_DEP_1)
	v_cndmask_b32_e64 v25, v15, 0, s2
	v_cndmask_b32_e64 v26, v16, 0, s2
	v_mov_b32_e32 v15, 0
	v_mov_b32_e32 v16, 0
	global_inv scope:SCOPE_SE
	v_add_co_u32 v19, vcc_lo, v25, v35
	s_wait_alu 0xfffd
	v_add_co_ci_u32_e64 v20, null, 0, v26, vcc_lo
	s_delay_alu instid0(VALU_DEP_2) | instskip(SKIP_1) | instid1(VALU_DEP_2)
	v_add_co_u32 v17, vcc_lo, v19, v34
	s_wait_alu 0xfffd
	v_add_co_ci_u32_e64 v18, null, 0, v20, vcc_lo
.LBB2010_106:
	v_and_b32_e32 v29, 1, v32
	s_wait_dscnt 0x0
	v_cmp_gt_u64_e32 vcc_lo, 0x101, v[13:14]
	v_lshlrev_b64_e32 v[23:24], 3, v[21:22]
	s_mov_b32 s1, -1
	v_cmp_eq_u32_e64 s0, 1, v29
	s_cbranch_vccnz .LBB2010_110
; %bb.107:
	s_wait_alu 0xfffe
	s_and_b32 vcc_lo, exec_lo, s1
	s_wait_alu 0xfffe
	s_cbranch_vccnz .LBB2010_117
.LBB2010_108:
	s_and_b32 s0, s2, s6
	s_wait_alu 0xfffe
	s_and_saveexec_b32 s1, s0
	s_cbranch_execnz .LBB2010_126
.LBB2010_109:
	s_endpgm
.LBB2010_110:
	v_add_co_u32 v27, vcc_lo, v15, v13
	s_wait_alu 0xfffd
	v_add_co_ci_u32_e64 v28, null, v16, v14, vcc_lo
	v_add_co_u32 v30, s1, s16, v23
	s_wait_alu 0xf1fe
	v_add_co_ci_u32_e64 v32, null, s17, v24, s1
	s_delay_alu instid0(VALU_DEP_3)
	v_cmp_lt_u64_e32 vcc_lo, v[25:26], v[27:28]
	s_or_b32 s1, s7, vcc_lo
	s_wait_alu 0xfffe
	s_and_b32 s1, s1, s0
	s_wait_alu 0xfffe
	s_and_saveexec_b32 s0, s1
	s_cbranch_execz .LBB2010_112
; %bb.111:
	v_lshlrev_b64_e32 v[33:34], 3, v[25:26]
	s_delay_alu instid0(VALU_DEP_1) | instskip(SKIP_1) | instid1(VALU_DEP_2)
	v_add_co_u32 v33, vcc_lo, v30, v33
	s_wait_alu 0xfffd
	v_add_co_ci_u32_e64 v34, null, v32, v34, vcc_lo
	global_store_b64 v[33:34], v[9:10], off
.LBB2010_112:
	s_wait_alu 0xfffe
	s_or_b32 exec_lo, exec_lo, s0
	v_and_b32_e32 v26, 1, v31
	v_cmp_lt_u64_e32 vcc_lo, v[19:20], v[27:28]
	s_delay_alu instid0(VALU_DEP_2)
	v_cmp_eq_u32_e64 s0, 1, v26
	s_or_b32 s1, s7, vcc_lo
	s_wait_alu 0xfffe
	s_and_b32 s1, s1, s0
	s_wait_alu 0xfffe
	s_and_saveexec_b32 s0, s1
	s_cbranch_execz .LBB2010_114
; %bb.113:
	v_lshlrev_b64_e32 v[33:34], 3, v[19:20]
	s_delay_alu instid0(VALU_DEP_1) | instskip(SKIP_1) | instid1(VALU_DEP_2)
	v_add_co_u32 v33, vcc_lo, v30, v33
	s_wait_alu 0xfffd
	v_add_co_ci_u32_e64 v34, null, v32, v34, vcc_lo
	global_store_b64 v[33:34], v[5:6], off
.LBB2010_114:
	s_wait_alu 0xfffe
	s_or_b32 exec_lo, exec_lo, s0
	v_cmp_lt_u64_e32 vcc_lo, v[17:18], v[27:28]
	s_or_b32 s0, s7, vcc_lo
	s_wait_alu 0xfffe
	s_and_b32 s1, s0, s10
	s_wait_alu 0xfffe
	s_and_saveexec_b32 s0, s1
	s_cbranch_execz .LBB2010_116
; %bb.115:
	v_lshlrev_b64_e32 v[26:27], 3, v[17:18]
	s_delay_alu instid0(VALU_DEP_1) | instskip(SKIP_1) | instid1(VALU_DEP_2)
	v_add_co_u32 v26, vcc_lo, v30, v26
	s_wait_alu 0xfffd
	v_add_co_ci_u32_e64 v27, null, v32, v27, vcc_lo
	global_store_b64 v[26:27], v[1:2], off
.LBB2010_116:
	s_wait_alu 0xfffe
	s_or_b32 exec_lo, exec_lo, s0
	s_branch .LBB2010_108
.LBB2010_117:
	s_mov_b32 s0, exec_lo
	v_cmpx_eq_u32_e32 1, v29
; %bb.118:
	v_sub_nc_u32_e32 v18, v25, v15
	s_delay_alu instid0(VALU_DEP_1)
	v_lshlrev_b32_e32 v18, 4, v18
	ds_store_b128 v18, v[9:12]
; %bb.119:
	s_wait_alu 0xfffe
	s_or_b32 exec_lo, exec_lo, s0
	v_and_b32_e32 v9, 1, v31
	s_mov_b32 s0, exec_lo
	s_delay_alu instid0(VALU_DEP_1)
	v_cmpx_eq_u32_e32 1, v9
; %bb.120:
	v_sub_nc_u32_e32 v9, v19, v15
	s_delay_alu instid0(VALU_DEP_1)
	v_lshlrev_b32_e32 v9, 4, v9
	ds_store_b128 v9, v[5:8]
; %bb.121:
	s_wait_alu 0xfffe
	s_or_b32 exec_lo, exec_lo, s0
	s_and_saveexec_b32 s0, s10
; %bb.122:
	v_sub_nc_u32_e32 v5, v17, v15
	s_delay_alu instid0(VALU_DEP_1)
	v_lshlrev_b32_e32 v5, 4, v5
	ds_store_b128 v5, v[1:4]
; %bb.123:
	s_wait_alu 0xfffe
	s_or_b32 exec_lo, exec_lo, s0
	v_lshlrev_b64_e32 v[4:5], 3, v[15:16]
	v_add_co_u32 v6, vcc_lo, s16, v23
	v_mov_b32_e32 v1, 0
	s_wait_alu 0xfffd
	v_add_co_ci_u32_e64 v7, null, s17, v24, vcc_lo
	s_delay_alu instid0(VALU_DEP_3) | instskip(NEXT) | instid1(VALU_DEP_3)
	v_add_co_u32 v4, vcc_lo, v6, v4
	v_dual_mov_b32 v3, v1 :: v_dual_mov_b32 v2, v0
	s_wait_alu 0xfffd
	s_delay_alu instid0(VALU_DEP_3)
	v_add_co_ci_u32_e64 v5, null, v7, v5, vcc_lo
	v_or_b32_e32 v0, 0x100, v0
	s_mov_b32 s1, 0
	s_wait_storecnt 0x0
	s_wait_loadcnt_dscnt 0x0
	s_barrier_signal -1
	s_barrier_wait -1
	global_inv scope:SCOPE_SE
.LBB2010_124:                           ; =>This Inner Loop Header: Depth=1
	v_lshlrev_b32_e32 v6, 4, v2
	v_lshlrev_b64_e32 v[8:9], 3, v[2:3]
	v_mov_b32_e32 v3, v1
	v_cmp_le_u64_e32 vcc_lo, v[13:14], v[0:1]
	v_mov_b32_e32 v2, v0
	ds_load_b64 v[6:7], v6
	v_add_nc_u32_e32 v0, 0x100, v0
	v_add_co_u32 v8, s0, v4, v8
	s_wait_alu 0xf1ff
	v_add_co_ci_u32_e64 v9, null, v5, v9, s0
	s_wait_alu 0xfffe
	s_or_b32 s1, vcc_lo, s1
	s_wait_dscnt 0x0
	global_store_b64 v[8:9], v[6:7], off
	s_wait_alu 0xfffe
	s_and_not1_b32 exec_lo, exec_lo, s1
	s_cbranch_execnz .LBB2010_124
; %bb.125:
	s_or_b32 exec_lo, exec_lo, s1
	s_and_b32 s0, s2, s6
	s_wait_alu 0xfffe
	s_and_saveexec_b32 s1, s0
	s_cbranch_execz .LBB2010_109
.LBB2010_126:
	v_add_co_u32 v0, vcc_lo, v15, v13
	s_wait_alu 0xfffd
	v_add_co_ci_u32_e64 v1, null, v16, v14, vcc_lo
	v_mov_b32_e32 v2, 0
	s_delay_alu instid0(VALU_DEP_3) | instskip(SKIP_1) | instid1(VALU_DEP_3)
	v_add_co_u32 v0, vcc_lo, v0, v21
	s_wait_alu 0xfffd
	v_add_co_ci_u32_e64 v1, null, v1, v22, vcc_lo
	global_store_b64 v2, v[0:1], s[8:9]
	s_endpgm
	.section	.rodata,"a",@progbits
	.p2align	6, 0x0
	.amdhsa_kernel _ZN7rocprim17ROCPRIM_400000_NS6detail17trampoline_kernelINS0_14default_configENS1_25partition_config_selectorILNS1_17partition_subalgoE6EN6thrust23THRUST_200600_302600_NS5tupleIxxNS7_9null_typeES9_S9_S9_S9_S9_S9_S9_EENS0_10empty_typeEbEEZZNS1_14partition_implILS5_6ELb0ES3_mNS7_12zip_iteratorINS8_INS7_6detail15normal_iteratorINS7_10device_ptrIxEEEESJ_S9_S9_S9_S9_S9_S9_S9_S9_EEEEPSB_SM_NS0_5tupleIJNSE_INS8_ISJ_NS7_16discard_iteratorINS7_11use_defaultEEES9_S9_S9_S9_S9_S9_S9_S9_EEEESB_EEENSN_IJSM_SM_EEESB_PlJNSF_9not_fun_tINSF_14equal_to_valueISA_EEEEEEE10hipError_tPvRmT3_T4_T5_T6_T7_T9_mT8_P12ihipStream_tbDpT10_ENKUlT_T0_E_clISt17integral_constantIbLb0EES1I_IbLb1EEEEDaS1E_S1F_EUlS1E_E_NS1_11comp_targetILNS1_3genE10ELNS1_11target_archE1200ELNS1_3gpuE4ELNS1_3repE0EEENS1_30default_config_static_selectorELNS0_4arch9wavefront6targetE0EEEvT1_
		.amdhsa_group_segment_fixed_size 12304
		.amdhsa_private_segment_fixed_size 0
		.amdhsa_kernarg_size 160
		.amdhsa_user_sgpr_count 2
		.amdhsa_user_sgpr_dispatch_ptr 0
		.amdhsa_user_sgpr_queue_ptr 0
		.amdhsa_user_sgpr_kernarg_segment_ptr 1
		.amdhsa_user_sgpr_dispatch_id 0
		.amdhsa_user_sgpr_private_segment_size 0
		.amdhsa_wavefront_size32 1
		.amdhsa_uses_dynamic_stack 0
		.amdhsa_enable_private_segment 0
		.amdhsa_system_sgpr_workgroup_id_x 1
		.amdhsa_system_sgpr_workgroup_id_y 0
		.amdhsa_system_sgpr_workgroup_id_z 0
		.amdhsa_system_sgpr_workgroup_info 0
		.amdhsa_system_vgpr_workitem_id 0
		.amdhsa_next_free_vgpr 51
		.amdhsa_next_free_sgpr 26
		.amdhsa_reserve_vcc 1
		.amdhsa_float_round_mode_32 0
		.amdhsa_float_round_mode_16_64 0
		.amdhsa_float_denorm_mode_32 3
		.amdhsa_float_denorm_mode_16_64 3
		.amdhsa_fp16_overflow 0
		.amdhsa_workgroup_processor_mode 1
		.amdhsa_memory_ordered 1
		.amdhsa_forward_progress 1
		.amdhsa_inst_pref_size 47
		.amdhsa_round_robin_scheduling 0
		.amdhsa_exception_fp_ieee_invalid_op 0
		.amdhsa_exception_fp_denorm_src 0
		.amdhsa_exception_fp_ieee_div_zero 0
		.amdhsa_exception_fp_ieee_overflow 0
		.amdhsa_exception_fp_ieee_underflow 0
		.amdhsa_exception_fp_ieee_inexact 0
		.amdhsa_exception_int_div_zero 0
	.end_amdhsa_kernel
	.section	.text._ZN7rocprim17ROCPRIM_400000_NS6detail17trampoline_kernelINS0_14default_configENS1_25partition_config_selectorILNS1_17partition_subalgoE6EN6thrust23THRUST_200600_302600_NS5tupleIxxNS7_9null_typeES9_S9_S9_S9_S9_S9_S9_EENS0_10empty_typeEbEEZZNS1_14partition_implILS5_6ELb0ES3_mNS7_12zip_iteratorINS8_INS7_6detail15normal_iteratorINS7_10device_ptrIxEEEESJ_S9_S9_S9_S9_S9_S9_S9_S9_EEEEPSB_SM_NS0_5tupleIJNSE_INS8_ISJ_NS7_16discard_iteratorINS7_11use_defaultEEES9_S9_S9_S9_S9_S9_S9_S9_EEEESB_EEENSN_IJSM_SM_EEESB_PlJNSF_9not_fun_tINSF_14equal_to_valueISA_EEEEEEE10hipError_tPvRmT3_T4_T5_T6_T7_T9_mT8_P12ihipStream_tbDpT10_ENKUlT_T0_E_clISt17integral_constantIbLb0EES1I_IbLb1EEEEDaS1E_S1F_EUlS1E_E_NS1_11comp_targetILNS1_3genE10ELNS1_11target_archE1200ELNS1_3gpuE4ELNS1_3repE0EEENS1_30default_config_static_selectorELNS0_4arch9wavefront6targetE0EEEvT1_,"axG",@progbits,_ZN7rocprim17ROCPRIM_400000_NS6detail17trampoline_kernelINS0_14default_configENS1_25partition_config_selectorILNS1_17partition_subalgoE6EN6thrust23THRUST_200600_302600_NS5tupleIxxNS7_9null_typeES9_S9_S9_S9_S9_S9_S9_EENS0_10empty_typeEbEEZZNS1_14partition_implILS5_6ELb0ES3_mNS7_12zip_iteratorINS8_INS7_6detail15normal_iteratorINS7_10device_ptrIxEEEESJ_S9_S9_S9_S9_S9_S9_S9_S9_EEEEPSB_SM_NS0_5tupleIJNSE_INS8_ISJ_NS7_16discard_iteratorINS7_11use_defaultEEES9_S9_S9_S9_S9_S9_S9_S9_EEEESB_EEENSN_IJSM_SM_EEESB_PlJNSF_9not_fun_tINSF_14equal_to_valueISA_EEEEEEE10hipError_tPvRmT3_T4_T5_T6_T7_T9_mT8_P12ihipStream_tbDpT10_ENKUlT_T0_E_clISt17integral_constantIbLb0EES1I_IbLb1EEEEDaS1E_S1F_EUlS1E_E_NS1_11comp_targetILNS1_3genE10ELNS1_11target_archE1200ELNS1_3gpuE4ELNS1_3repE0EEENS1_30default_config_static_selectorELNS0_4arch9wavefront6targetE0EEEvT1_,comdat
.Lfunc_end2010:
	.size	_ZN7rocprim17ROCPRIM_400000_NS6detail17trampoline_kernelINS0_14default_configENS1_25partition_config_selectorILNS1_17partition_subalgoE6EN6thrust23THRUST_200600_302600_NS5tupleIxxNS7_9null_typeES9_S9_S9_S9_S9_S9_S9_EENS0_10empty_typeEbEEZZNS1_14partition_implILS5_6ELb0ES3_mNS7_12zip_iteratorINS8_INS7_6detail15normal_iteratorINS7_10device_ptrIxEEEESJ_S9_S9_S9_S9_S9_S9_S9_S9_EEEEPSB_SM_NS0_5tupleIJNSE_INS8_ISJ_NS7_16discard_iteratorINS7_11use_defaultEEES9_S9_S9_S9_S9_S9_S9_S9_EEEESB_EEENSN_IJSM_SM_EEESB_PlJNSF_9not_fun_tINSF_14equal_to_valueISA_EEEEEEE10hipError_tPvRmT3_T4_T5_T6_T7_T9_mT8_P12ihipStream_tbDpT10_ENKUlT_T0_E_clISt17integral_constantIbLb0EES1I_IbLb1EEEEDaS1E_S1F_EUlS1E_E_NS1_11comp_targetILNS1_3genE10ELNS1_11target_archE1200ELNS1_3gpuE4ELNS1_3repE0EEENS1_30default_config_static_selectorELNS0_4arch9wavefront6targetE0EEEvT1_, .Lfunc_end2010-_ZN7rocprim17ROCPRIM_400000_NS6detail17trampoline_kernelINS0_14default_configENS1_25partition_config_selectorILNS1_17partition_subalgoE6EN6thrust23THRUST_200600_302600_NS5tupleIxxNS7_9null_typeES9_S9_S9_S9_S9_S9_S9_EENS0_10empty_typeEbEEZZNS1_14partition_implILS5_6ELb0ES3_mNS7_12zip_iteratorINS8_INS7_6detail15normal_iteratorINS7_10device_ptrIxEEEESJ_S9_S9_S9_S9_S9_S9_S9_S9_EEEEPSB_SM_NS0_5tupleIJNSE_INS8_ISJ_NS7_16discard_iteratorINS7_11use_defaultEEES9_S9_S9_S9_S9_S9_S9_S9_EEEESB_EEENSN_IJSM_SM_EEESB_PlJNSF_9not_fun_tINSF_14equal_to_valueISA_EEEEEEE10hipError_tPvRmT3_T4_T5_T6_T7_T9_mT8_P12ihipStream_tbDpT10_ENKUlT_T0_E_clISt17integral_constantIbLb0EES1I_IbLb1EEEEDaS1E_S1F_EUlS1E_E_NS1_11comp_targetILNS1_3genE10ELNS1_11target_archE1200ELNS1_3gpuE4ELNS1_3repE0EEENS1_30default_config_static_selectorELNS0_4arch9wavefront6targetE0EEEvT1_
                                        ; -- End function
	.set _ZN7rocprim17ROCPRIM_400000_NS6detail17trampoline_kernelINS0_14default_configENS1_25partition_config_selectorILNS1_17partition_subalgoE6EN6thrust23THRUST_200600_302600_NS5tupleIxxNS7_9null_typeES9_S9_S9_S9_S9_S9_S9_EENS0_10empty_typeEbEEZZNS1_14partition_implILS5_6ELb0ES3_mNS7_12zip_iteratorINS8_INS7_6detail15normal_iteratorINS7_10device_ptrIxEEEESJ_S9_S9_S9_S9_S9_S9_S9_S9_EEEEPSB_SM_NS0_5tupleIJNSE_INS8_ISJ_NS7_16discard_iteratorINS7_11use_defaultEEES9_S9_S9_S9_S9_S9_S9_S9_EEEESB_EEENSN_IJSM_SM_EEESB_PlJNSF_9not_fun_tINSF_14equal_to_valueISA_EEEEEEE10hipError_tPvRmT3_T4_T5_T6_T7_T9_mT8_P12ihipStream_tbDpT10_ENKUlT_T0_E_clISt17integral_constantIbLb0EES1I_IbLb1EEEEDaS1E_S1F_EUlS1E_E_NS1_11comp_targetILNS1_3genE10ELNS1_11target_archE1200ELNS1_3gpuE4ELNS1_3repE0EEENS1_30default_config_static_selectorELNS0_4arch9wavefront6targetE0EEEvT1_.num_vgpr, 51
	.set _ZN7rocprim17ROCPRIM_400000_NS6detail17trampoline_kernelINS0_14default_configENS1_25partition_config_selectorILNS1_17partition_subalgoE6EN6thrust23THRUST_200600_302600_NS5tupleIxxNS7_9null_typeES9_S9_S9_S9_S9_S9_S9_EENS0_10empty_typeEbEEZZNS1_14partition_implILS5_6ELb0ES3_mNS7_12zip_iteratorINS8_INS7_6detail15normal_iteratorINS7_10device_ptrIxEEEESJ_S9_S9_S9_S9_S9_S9_S9_S9_EEEEPSB_SM_NS0_5tupleIJNSE_INS8_ISJ_NS7_16discard_iteratorINS7_11use_defaultEEES9_S9_S9_S9_S9_S9_S9_S9_EEEESB_EEENSN_IJSM_SM_EEESB_PlJNSF_9not_fun_tINSF_14equal_to_valueISA_EEEEEEE10hipError_tPvRmT3_T4_T5_T6_T7_T9_mT8_P12ihipStream_tbDpT10_ENKUlT_T0_E_clISt17integral_constantIbLb0EES1I_IbLb1EEEEDaS1E_S1F_EUlS1E_E_NS1_11comp_targetILNS1_3genE10ELNS1_11target_archE1200ELNS1_3gpuE4ELNS1_3repE0EEENS1_30default_config_static_selectorELNS0_4arch9wavefront6targetE0EEEvT1_.num_agpr, 0
	.set _ZN7rocprim17ROCPRIM_400000_NS6detail17trampoline_kernelINS0_14default_configENS1_25partition_config_selectorILNS1_17partition_subalgoE6EN6thrust23THRUST_200600_302600_NS5tupleIxxNS7_9null_typeES9_S9_S9_S9_S9_S9_S9_EENS0_10empty_typeEbEEZZNS1_14partition_implILS5_6ELb0ES3_mNS7_12zip_iteratorINS8_INS7_6detail15normal_iteratorINS7_10device_ptrIxEEEESJ_S9_S9_S9_S9_S9_S9_S9_S9_EEEEPSB_SM_NS0_5tupleIJNSE_INS8_ISJ_NS7_16discard_iteratorINS7_11use_defaultEEES9_S9_S9_S9_S9_S9_S9_S9_EEEESB_EEENSN_IJSM_SM_EEESB_PlJNSF_9not_fun_tINSF_14equal_to_valueISA_EEEEEEE10hipError_tPvRmT3_T4_T5_T6_T7_T9_mT8_P12ihipStream_tbDpT10_ENKUlT_T0_E_clISt17integral_constantIbLb0EES1I_IbLb1EEEEDaS1E_S1F_EUlS1E_E_NS1_11comp_targetILNS1_3genE10ELNS1_11target_archE1200ELNS1_3gpuE4ELNS1_3repE0EEENS1_30default_config_static_selectorELNS0_4arch9wavefront6targetE0EEEvT1_.numbered_sgpr, 26
	.set _ZN7rocprim17ROCPRIM_400000_NS6detail17trampoline_kernelINS0_14default_configENS1_25partition_config_selectorILNS1_17partition_subalgoE6EN6thrust23THRUST_200600_302600_NS5tupleIxxNS7_9null_typeES9_S9_S9_S9_S9_S9_S9_EENS0_10empty_typeEbEEZZNS1_14partition_implILS5_6ELb0ES3_mNS7_12zip_iteratorINS8_INS7_6detail15normal_iteratorINS7_10device_ptrIxEEEESJ_S9_S9_S9_S9_S9_S9_S9_S9_EEEEPSB_SM_NS0_5tupleIJNSE_INS8_ISJ_NS7_16discard_iteratorINS7_11use_defaultEEES9_S9_S9_S9_S9_S9_S9_S9_EEEESB_EEENSN_IJSM_SM_EEESB_PlJNSF_9not_fun_tINSF_14equal_to_valueISA_EEEEEEE10hipError_tPvRmT3_T4_T5_T6_T7_T9_mT8_P12ihipStream_tbDpT10_ENKUlT_T0_E_clISt17integral_constantIbLb0EES1I_IbLb1EEEEDaS1E_S1F_EUlS1E_E_NS1_11comp_targetILNS1_3genE10ELNS1_11target_archE1200ELNS1_3gpuE4ELNS1_3repE0EEENS1_30default_config_static_selectorELNS0_4arch9wavefront6targetE0EEEvT1_.num_named_barrier, 0
	.set _ZN7rocprim17ROCPRIM_400000_NS6detail17trampoline_kernelINS0_14default_configENS1_25partition_config_selectorILNS1_17partition_subalgoE6EN6thrust23THRUST_200600_302600_NS5tupleIxxNS7_9null_typeES9_S9_S9_S9_S9_S9_S9_EENS0_10empty_typeEbEEZZNS1_14partition_implILS5_6ELb0ES3_mNS7_12zip_iteratorINS8_INS7_6detail15normal_iteratorINS7_10device_ptrIxEEEESJ_S9_S9_S9_S9_S9_S9_S9_S9_EEEEPSB_SM_NS0_5tupleIJNSE_INS8_ISJ_NS7_16discard_iteratorINS7_11use_defaultEEES9_S9_S9_S9_S9_S9_S9_S9_EEEESB_EEENSN_IJSM_SM_EEESB_PlJNSF_9not_fun_tINSF_14equal_to_valueISA_EEEEEEE10hipError_tPvRmT3_T4_T5_T6_T7_T9_mT8_P12ihipStream_tbDpT10_ENKUlT_T0_E_clISt17integral_constantIbLb0EES1I_IbLb1EEEEDaS1E_S1F_EUlS1E_E_NS1_11comp_targetILNS1_3genE10ELNS1_11target_archE1200ELNS1_3gpuE4ELNS1_3repE0EEENS1_30default_config_static_selectorELNS0_4arch9wavefront6targetE0EEEvT1_.private_seg_size, 0
	.set _ZN7rocprim17ROCPRIM_400000_NS6detail17trampoline_kernelINS0_14default_configENS1_25partition_config_selectorILNS1_17partition_subalgoE6EN6thrust23THRUST_200600_302600_NS5tupleIxxNS7_9null_typeES9_S9_S9_S9_S9_S9_S9_EENS0_10empty_typeEbEEZZNS1_14partition_implILS5_6ELb0ES3_mNS7_12zip_iteratorINS8_INS7_6detail15normal_iteratorINS7_10device_ptrIxEEEESJ_S9_S9_S9_S9_S9_S9_S9_S9_EEEEPSB_SM_NS0_5tupleIJNSE_INS8_ISJ_NS7_16discard_iteratorINS7_11use_defaultEEES9_S9_S9_S9_S9_S9_S9_S9_EEEESB_EEENSN_IJSM_SM_EEESB_PlJNSF_9not_fun_tINSF_14equal_to_valueISA_EEEEEEE10hipError_tPvRmT3_T4_T5_T6_T7_T9_mT8_P12ihipStream_tbDpT10_ENKUlT_T0_E_clISt17integral_constantIbLb0EES1I_IbLb1EEEEDaS1E_S1F_EUlS1E_E_NS1_11comp_targetILNS1_3genE10ELNS1_11target_archE1200ELNS1_3gpuE4ELNS1_3repE0EEENS1_30default_config_static_selectorELNS0_4arch9wavefront6targetE0EEEvT1_.uses_vcc, 1
	.set _ZN7rocprim17ROCPRIM_400000_NS6detail17trampoline_kernelINS0_14default_configENS1_25partition_config_selectorILNS1_17partition_subalgoE6EN6thrust23THRUST_200600_302600_NS5tupleIxxNS7_9null_typeES9_S9_S9_S9_S9_S9_S9_EENS0_10empty_typeEbEEZZNS1_14partition_implILS5_6ELb0ES3_mNS7_12zip_iteratorINS8_INS7_6detail15normal_iteratorINS7_10device_ptrIxEEEESJ_S9_S9_S9_S9_S9_S9_S9_S9_EEEEPSB_SM_NS0_5tupleIJNSE_INS8_ISJ_NS7_16discard_iteratorINS7_11use_defaultEEES9_S9_S9_S9_S9_S9_S9_S9_EEEESB_EEENSN_IJSM_SM_EEESB_PlJNSF_9not_fun_tINSF_14equal_to_valueISA_EEEEEEE10hipError_tPvRmT3_T4_T5_T6_T7_T9_mT8_P12ihipStream_tbDpT10_ENKUlT_T0_E_clISt17integral_constantIbLb0EES1I_IbLb1EEEEDaS1E_S1F_EUlS1E_E_NS1_11comp_targetILNS1_3genE10ELNS1_11target_archE1200ELNS1_3gpuE4ELNS1_3repE0EEENS1_30default_config_static_selectorELNS0_4arch9wavefront6targetE0EEEvT1_.uses_flat_scratch, 0
	.set _ZN7rocprim17ROCPRIM_400000_NS6detail17trampoline_kernelINS0_14default_configENS1_25partition_config_selectorILNS1_17partition_subalgoE6EN6thrust23THRUST_200600_302600_NS5tupleIxxNS7_9null_typeES9_S9_S9_S9_S9_S9_S9_EENS0_10empty_typeEbEEZZNS1_14partition_implILS5_6ELb0ES3_mNS7_12zip_iteratorINS8_INS7_6detail15normal_iteratorINS7_10device_ptrIxEEEESJ_S9_S9_S9_S9_S9_S9_S9_S9_EEEEPSB_SM_NS0_5tupleIJNSE_INS8_ISJ_NS7_16discard_iteratorINS7_11use_defaultEEES9_S9_S9_S9_S9_S9_S9_S9_EEEESB_EEENSN_IJSM_SM_EEESB_PlJNSF_9not_fun_tINSF_14equal_to_valueISA_EEEEEEE10hipError_tPvRmT3_T4_T5_T6_T7_T9_mT8_P12ihipStream_tbDpT10_ENKUlT_T0_E_clISt17integral_constantIbLb0EES1I_IbLb1EEEEDaS1E_S1F_EUlS1E_E_NS1_11comp_targetILNS1_3genE10ELNS1_11target_archE1200ELNS1_3gpuE4ELNS1_3repE0EEENS1_30default_config_static_selectorELNS0_4arch9wavefront6targetE0EEEvT1_.has_dyn_sized_stack, 0
	.set _ZN7rocprim17ROCPRIM_400000_NS6detail17trampoline_kernelINS0_14default_configENS1_25partition_config_selectorILNS1_17partition_subalgoE6EN6thrust23THRUST_200600_302600_NS5tupleIxxNS7_9null_typeES9_S9_S9_S9_S9_S9_S9_EENS0_10empty_typeEbEEZZNS1_14partition_implILS5_6ELb0ES3_mNS7_12zip_iteratorINS8_INS7_6detail15normal_iteratorINS7_10device_ptrIxEEEESJ_S9_S9_S9_S9_S9_S9_S9_S9_EEEEPSB_SM_NS0_5tupleIJNSE_INS8_ISJ_NS7_16discard_iteratorINS7_11use_defaultEEES9_S9_S9_S9_S9_S9_S9_S9_EEEESB_EEENSN_IJSM_SM_EEESB_PlJNSF_9not_fun_tINSF_14equal_to_valueISA_EEEEEEE10hipError_tPvRmT3_T4_T5_T6_T7_T9_mT8_P12ihipStream_tbDpT10_ENKUlT_T0_E_clISt17integral_constantIbLb0EES1I_IbLb1EEEEDaS1E_S1F_EUlS1E_E_NS1_11comp_targetILNS1_3genE10ELNS1_11target_archE1200ELNS1_3gpuE4ELNS1_3repE0EEENS1_30default_config_static_selectorELNS0_4arch9wavefront6targetE0EEEvT1_.has_recursion, 0
	.set _ZN7rocprim17ROCPRIM_400000_NS6detail17trampoline_kernelINS0_14default_configENS1_25partition_config_selectorILNS1_17partition_subalgoE6EN6thrust23THRUST_200600_302600_NS5tupleIxxNS7_9null_typeES9_S9_S9_S9_S9_S9_S9_EENS0_10empty_typeEbEEZZNS1_14partition_implILS5_6ELb0ES3_mNS7_12zip_iteratorINS8_INS7_6detail15normal_iteratorINS7_10device_ptrIxEEEESJ_S9_S9_S9_S9_S9_S9_S9_S9_EEEEPSB_SM_NS0_5tupleIJNSE_INS8_ISJ_NS7_16discard_iteratorINS7_11use_defaultEEES9_S9_S9_S9_S9_S9_S9_S9_EEEESB_EEENSN_IJSM_SM_EEESB_PlJNSF_9not_fun_tINSF_14equal_to_valueISA_EEEEEEE10hipError_tPvRmT3_T4_T5_T6_T7_T9_mT8_P12ihipStream_tbDpT10_ENKUlT_T0_E_clISt17integral_constantIbLb0EES1I_IbLb1EEEEDaS1E_S1F_EUlS1E_E_NS1_11comp_targetILNS1_3genE10ELNS1_11target_archE1200ELNS1_3gpuE4ELNS1_3repE0EEENS1_30default_config_static_selectorELNS0_4arch9wavefront6targetE0EEEvT1_.has_indirect_call, 0
	.section	.AMDGPU.csdata,"",@progbits
; Kernel info:
; codeLenInByte = 5940
; TotalNumSgprs: 28
; NumVgprs: 51
; ScratchSize: 0
; MemoryBound: 0
; FloatMode: 240
; IeeeMode: 1
; LDSByteSize: 12304 bytes/workgroup (compile time only)
; SGPRBlocks: 0
; VGPRBlocks: 6
; NumSGPRsForWavesPerEU: 28
; NumVGPRsForWavesPerEU: 51
; Occupancy: 16
; WaveLimiterHint : 1
; COMPUTE_PGM_RSRC2:SCRATCH_EN: 0
; COMPUTE_PGM_RSRC2:USER_SGPR: 2
; COMPUTE_PGM_RSRC2:TRAP_HANDLER: 0
; COMPUTE_PGM_RSRC2:TGID_X_EN: 1
; COMPUTE_PGM_RSRC2:TGID_Y_EN: 0
; COMPUTE_PGM_RSRC2:TGID_Z_EN: 0
; COMPUTE_PGM_RSRC2:TIDIG_COMP_CNT: 0
	.section	.text._ZN7rocprim17ROCPRIM_400000_NS6detail17trampoline_kernelINS0_14default_configENS1_25partition_config_selectorILNS1_17partition_subalgoE6EN6thrust23THRUST_200600_302600_NS5tupleIxxNS7_9null_typeES9_S9_S9_S9_S9_S9_S9_EENS0_10empty_typeEbEEZZNS1_14partition_implILS5_6ELb0ES3_mNS7_12zip_iteratorINS8_INS7_6detail15normal_iteratorINS7_10device_ptrIxEEEESJ_S9_S9_S9_S9_S9_S9_S9_S9_EEEEPSB_SM_NS0_5tupleIJNSE_INS8_ISJ_NS7_16discard_iteratorINS7_11use_defaultEEES9_S9_S9_S9_S9_S9_S9_S9_EEEESB_EEENSN_IJSM_SM_EEESB_PlJNSF_9not_fun_tINSF_14equal_to_valueISA_EEEEEEE10hipError_tPvRmT3_T4_T5_T6_T7_T9_mT8_P12ihipStream_tbDpT10_ENKUlT_T0_E_clISt17integral_constantIbLb0EES1I_IbLb1EEEEDaS1E_S1F_EUlS1E_E_NS1_11comp_targetILNS1_3genE9ELNS1_11target_archE1100ELNS1_3gpuE3ELNS1_3repE0EEENS1_30default_config_static_selectorELNS0_4arch9wavefront6targetE0EEEvT1_,"axG",@progbits,_ZN7rocprim17ROCPRIM_400000_NS6detail17trampoline_kernelINS0_14default_configENS1_25partition_config_selectorILNS1_17partition_subalgoE6EN6thrust23THRUST_200600_302600_NS5tupleIxxNS7_9null_typeES9_S9_S9_S9_S9_S9_S9_EENS0_10empty_typeEbEEZZNS1_14partition_implILS5_6ELb0ES3_mNS7_12zip_iteratorINS8_INS7_6detail15normal_iteratorINS7_10device_ptrIxEEEESJ_S9_S9_S9_S9_S9_S9_S9_S9_EEEEPSB_SM_NS0_5tupleIJNSE_INS8_ISJ_NS7_16discard_iteratorINS7_11use_defaultEEES9_S9_S9_S9_S9_S9_S9_S9_EEEESB_EEENSN_IJSM_SM_EEESB_PlJNSF_9not_fun_tINSF_14equal_to_valueISA_EEEEEEE10hipError_tPvRmT3_T4_T5_T6_T7_T9_mT8_P12ihipStream_tbDpT10_ENKUlT_T0_E_clISt17integral_constantIbLb0EES1I_IbLb1EEEEDaS1E_S1F_EUlS1E_E_NS1_11comp_targetILNS1_3genE9ELNS1_11target_archE1100ELNS1_3gpuE3ELNS1_3repE0EEENS1_30default_config_static_selectorELNS0_4arch9wavefront6targetE0EEEvT1_,comdat
	.protected	_ZN7rocprim17ROCPRIM_400000_NS6detail17trampoline_kernelINS0_14default_configENS1_25partition_config_selectorILNS1_17partition_subalgoE6EN6thrust23THRUST_200600_302600_NS5tupleIxxNS7_9null_typeES9_S9_S9_S9_S9_S9_S9_EENS0_10empty_typeEbEEZZNS1_14partition_implILS5_6ELb0ES3_mNS7_12zip_iteratorINS8_INS7_6detail15normal_iteratorINS7_10device_ptrIxEEEESJ_S9_S9_S9_S9_S9_S9_S9_S9_EEEEPSB_SM_NS0_5tupleIJNSE_INS8_ISJ_NS7_16discard_iteratorINS7_11use_defaultEEES9_S9_S9_S9_S9_S9_S9_S9_EEEESB_EEENSN_IJSM_SM_EEESB_PlJNSF_9not_fun_tINSF_14equal_to_valueISA_EEEEEEE10hipError_tPvRmT3_T4_T5_T6_T7_T9_mT8_P12ihipStream_tbDpT10_ENKUlT_T0_E_clISt17integral_constantIbLb0EES1I_IbLb1EEEEDaS1E_S1F_EUlS1E_E_NS1_11comp_targetILNS1_3genE9ELNS1_11target_archE1100ELNS1_3gpuE3ELNS1_3repE0EEENS1_30default_config_static_selectorELNS0_4arch9wavefront6targetE0EEEvT1_ ; -- Begin function _ZN7rocprim17ROCPRIM_400000_NS6detail17trampoline_kernelINS0_14default_configENS1_25partition_config_selectorILNS1_17partition_subalgoE6EN6thrust23THRUST_200600_302600_NS5tupleIxxNS7_9null_typeES9_S9_S9_S9_S9_S9_S9_EENS0_10empty_typeEbEEZZNS1_14partition_implILS5_6ELb0ES3_mNS7_12zip_iteratorINS8_INS7_6detail15normal_iteratorINS7_10device_ptrIxEEEESJ_S9_S9_S9_S9_S9_S9_S9_S9_EEEEPSB_SM_NS0_5tupleIJNSE_INS8_ISJ_NS7_16discard_iteratorINS7_11use_defaultEEES9_S9_S9_S9_S9_S9_S9_S9_EEEESB_EEENSN_IJSM_SM_EEESB_PlJNSF_9not_fun_tINSF_14equal_to_valueISA_EEEEEEE10hipError_tPvRmT3_T4_T5_T6_T7_T9_mT8_P12ihipStream_tbDpT10_ENKUlT_T0_E_clISt17integral_constantIbLb0EES1I_IbLb1EEEEDaS1E_S1F_EUlS1E_E_NS1_11comp_targetILNS1_3genE9ELNS1_11target_archE1100ELNS1_3gpuE3ELNS1_3repE0EEENS1_30default_config_static_selectorELNS0_4arch9wavefront6targetE0EEEvT1_
	.globl	_ZN7rocprim17ROCPRIM_400000_NS6detail17trampoline_kernelINS0_14default_configENS1_25partition_config_selectorILNS1_17partition_subalgoE6EN6thrust23THRUST_200600_302600_NS5tupleIxxNS7_9null_typeES9_S9_S9_S9_S9_S9_S9_EENS0_10empty_typeEbEEZZNS1_14partition_implILS5_6ELb0ES3_mNS7_12zip_iteratorINS8_INS7_6detail15normal_iteratorINS7_10device_ptrIxEEEESJ_S9_S9_S9_S9_S9_S9_S9_S9_EEEEPSB_SM_NS0_5tupleIJNSE_INS8_ISJ_NS7_16discard_iteratorINS7_11use_defaultEEES9_S9_S9_S9_S9_S9_S9_S9_EEEESB_EEENSN_IJSM_SM_EEESB_PlJNSF_9not_fun_tINSF_14equal_to_valueISA_EEEEEEE10hipError_tPvRmT3_T4_T5_T6_T7_T9_mT8_P12ihipStream_tbDpT10_ENKUlT_T0_E_clISt17integral_constantIbLb0EES1I_IbLb1EEEEDaS1E_S1F_EUlS1E_E_NS1_11comp_targetILNS1_3genE9ELNS1_11target_archE1100ELNS1_3gpuE3ELNS1_3repE0EEENS1_30default_config_static_selectorELNS0_4arch9wavefront6targetE0EEEvT1_
	.p2align	8
	.type	_ZN7rocprim17ROCPRIM_400000_NS6detail17trampoline_kernelINS0_14default_configENS1_25partition_config_selectorILNS1_17partition_subalgoE6EN6thrust23THRUST_200600_302600_NS5tupleIxxNS7_9null_typeES9_S9_S9_S9_S9_S9_S9_EENS0_10empty_typeEbEEZZNS1_14partition_implILS5_6ELb0ES3_mNS7_12zip_iteratorINS8_INS7_6detail15normal_iteratorINS7_10device_ptrIxEEEESJ_S9_S9_S9_S9_S9_S9_S9_S9_EEEEPSB_SM_NS0_5tupleIJNSE_INS8_ISJ_NS7_16discard_iteratorINS7_11use_defaultEEES9_S9_S9_S9_S9_S9_S9_S9_EEEESB_EEENSN_IJSM_SM_EEESB_PlJNSF_9not_fun_tINSF_14equal_to_valueISA_EEEEEEE10hipError_tPvRmT3_T4_T5_T6_T7_T9_mT8_P12ihipStream_tbDpT10_ENKUlT_T0_E_clISt17integral_constantIbLb0EES1I_IbLb1EEEEDaS1E_S1F_EUlS1E_E_NS1_11comp_targetILNS1_3genE9ELNS1_11target_archE1100ELNS1_3gpuE3ELNS1_3repE0EEENS1_30default_config_static_selectorELNS0_4arch9wavefront6targetE0EEEvT1_,@function
_ZN7rocprim17ROCPRIM_400000_NS6detail17trampoline_kernelINS0_14default_configENS1_25partition_config_selectorILNS1_17partition_subalgoE6EN6thrust23THRUST_200600_302600_NS5tupleIxxNS7_9null_typeES9_S9_S9_S9_S9_S9_S9_EENS0_10empty_typeEbEEZZNS1_14partition_implILS5_6ELb0ES3_mNS7_12zip_iteratorINS8_INS7_6detail15normal_iteratorINS7_10device_ptrIxEEEESJ_S9_S9_S9_S9_S9_S9_S9_S9_EEEEPSB_SM_NS0_5tupleIJNSE_INS8_ISJ_NS7_16discard_iteratorINS7_11use_defaultEEES9_S9_S9_S9_S9_S9_S9_S9_EEEESB_EEENSN_IJSM_SM_EEESB_PlJNSF_9not_fun_tINSF_14equal_to_valueISA_EEEEEEE10hipError_tPvRmT3_T4_T5_T6_T7_T9_mT8_P12ihipStream_tbDpT10_ENKUlT_T0_E_clISt17integral_constantIbLb0EES1I_IbLb1EEEEDaS1E_S1F_EUlS1E_E_NS1_11comp_targetILNS1_3genE9ELNS1_11target_archE1100ELNS1_3gpuE3ELNS1_3repE0EEENS1_30default_config_static_selectorELNS0_4arch9wavefront6targetE0EEEvT1_: ; @_ZN7rocprim17ROCPRIM_400000_NS6detail17trampoline_kernelINS0_14default_configENS1_25partition_config_selectorILNS1_17partition_subalgoE6EN6thrust23THRUST_200600_302600_NS5tupleIxxNS7_9null_typeES9_S9_S9_S9_S9_S9_S9_EENS0_10empty_typeEbEEZZNS1_14partition_implILS5_6ELb0ES3_mNS7_12zip_iteratorINS8_INS7_6detail15normal_iteratorINS7_10device_ptrIxEEEESJ_S9_S9_S9_S9_S9_S9_S9_S9_EEEEPSB_SM_NS0_5tupleIJNSE_INS8_ISJ_NS7_16discard_iteratorINS7_11use_defaultEEES9_S9_S9_S9_S9_S9_S9_S9_EEEESB_EEENSN_IJSM_SM_EEESB_PlJNSF_9not_fun_tINSF_14equal_to_valueISA_EEEEEEE10hipError_tPvRmT3_T4_T5_T6_T7_T9_mT8_P12ihipStream_tbDpT10_ENKUlT_T0_E_clISt17integral_constantIbLb0EES1I_IbLb1EEEEDaS1E_S1F_EUlS1E_E_NS1_11comp_targetILNS1_3genE9ELNS1_11target_archE1100ELNS1_3gpuE3ELNS1_3repE0EEENS1_30default_config_static_selectorELNS0_4arch9wavefront6targetE0EEEvT1_
; %bb.0:
	.section	.rodata,"a",@progbits
	.p2align	6, 0x0
	.amdhsa_kernel _ZN7rocprim17ROCPRIM_400000_NS6detail17trampoline_kernelINS0_14default_configENS1_25partition_config_selectorILNS1_17partition_subalgoE6EN6thrust23THRUST_200600_302600_NS5tupleIxxNS7_9null_typeES9_S9_S9_S9_S9_S9_S9_EENS0_10empty_typeEbEEZZNS1_14partition_implILS5_6ELb0ES3_mNS7_12zip_iteratorINS8_INS7_6detail15normal_iteratorINS7_10device_ptrIxEEEESJ_S9_S9_S9_S9_S9_S9_S9_S9_EEEEPSB_SM_NS0_5tupleIJNSE_INS8_ISJ_NS7_16discard_iteratorINS7_11use_defaultEEES9_S9_S9_S9_S9_S9_S9_S9_EEEESB_EEENSN_IJSM_SM_EEESB_PlJNSF_9not_fun_tINSF_14equal_to_valueISA_EEEEEEE10hipError_tPvRmT3_T4_T5_T6_T7_T9_mT8_P12ihipStream_tbDpT10_ENKUlT_T0_E_clISt17integral_constantIbLb0EES1I_IbLb1EEEEDaS1E_S1F_EUlS1E_E_NS1_11comp_targetILNS1_3genE9ELNS1_11target_archE1100ELNS1_3gpuE3ELNS1_3repE0EEENS1_30default_config_static_selectorELNS0_4arch9wavefront6targetE0EEEvT1_
		.amdhsa_group_segment_fixed_size 0
		.amdhsa_private_segment_fixed_size 0
		.amdhsa_kernarg_size 160
		.amdhsa_user_sgpr_count 2
		.amdhsa_user_sgpr_dispatch_ptr 0
		.amdhsa_user_sgpr_queue_ptr 0
		.amdhsa_user_sgpr_kernarg_segment_ptr 1
		.amdhsa_user_sgpr_dispatch_id 0
		.amdhsa_user_sgpr_private_segment_size 0
		.amdhsa_wavefront_size32 1
		.amdhsa_uses_dynamic_stack 0
		.amdhsa_enable_private_segment 0
		.amdhsa_system_sgpr_workgroup_id_x 1
		.amdhsa_system_sgpr_workgroup_id_y 0
		.amdhsa_system_sgpr_workgroup_id_z 0
		.amdhsa_system_sgpr_workgroup_info 0
		.amdhsa_system_vgpr_workitem_id 0
		.amdhsa_next_free_vgpr 1
		.amdhsa_next_free_sgpr 1
		.amdhsa_reserve_vcc 0
		.amdhsa_float_round_mode_32 0
		.amdhsa_float_round_mode_16_64 0
		.amdhsa_float_denorm_mode_32 3
		.amdhsa_float_denorm_mode_16_64 3
		.amdhsa_fp16_overflow 0
		.amdhsa_workgroup_processor_mode 1
		.amdhsa_memory_ordered 1
		.amdhsa_forward_progress 1
		.amdhsa_inst_pref_size 0
		.amdhsa_round_robin_scheduling 0
		.amdhsa_exception_fp_ieee_invalid_op 0
		.amdhsa_exception_fp_denorm_src 0
		.amdhsa_exception_fp_ieee_div_zero 0
		.amdhsa_exception_fp_ieee_overflow 0
		.amdhsa_exception_fp_ieee_underflow 0
		.amdhsa_exception_fp_ieee_inexact 0
		.amdhsa_exception_int_div_zero 0
	.end_amdhsa_kernel
	.section	.text._ZN7rocprim17ROCPRIM_400000_NS6detail17trampoline_kernelINS0_14default_configENS1_25partition_config_selectorILNS1_17partition_subalgoE6EN6thrust23THRUST_200600_302600_NS5tupleIxxNS7_9null_typeES9_S9_S9_S9_S9_S9_S9_EENS0_10empty_typeEbEEZZNS1_14partition_implILS5_6ELb0ES3_mNS7_12zip_iteratorINS8_INS7_6detail15normal_iteratorINS7_10device_ptrIxEEEESJ_S9_S9_S9_S9_S9_S9_S9_S9_EEEEPSB_SM_NS0_5tupleIJNSE_INS8_ISJ_NS7_16discard_iteratorINS7_11use_defaultEEES9_S9_S9_S9_S9_S9_S9_S9_EEEESB_EEENSN_IJSM_SM_EEESB_PlJNSF_9not_fun_tINSF_14equal_to_valueISA_EEEEEEE10hipError_tPvRmT3_T4_T5_T6_T7_T9_mT8_P12ihipStream_tbDpT10_ENKUlT_T0_E_clISt17integral_constantIbLb0EES1I_IbLb1EEEEDaS1E_S1F_EUlS1E_E_NS1_11comp_targetILNS1_3genE9ELNS1_11target_archE1100ELNS1_3gpuE3ELNS1_3repE0EEENS1_30default_config_static_selectorELNS0_4arch9wavefront6targetE0EEEvT1_,"axG",@progbits,_ZN7rocprim17ROCPRIM_400000_NS6detail17trampoline_kernelINS0_14default_configENS1_25partition_config_selectorILNS1_17partition_subalgoE6EN6thrust23THRUST_200600_302600_NS5tupleIxxNS7_9null_typeES9_S9_S9_S9_S9_S9_S9_EENS0_10empty_typeEbEEZZNS1_14partition_implILS5_6ELb0ES3_mNS7_12zip_iteratorINS8_INS7_6detail15normal_iteratorINS7_10device_ptrIxEEEESJ_S9_S9_S9_S9_S9_S9_S9_S9_EEEEPSB_SM_NS0_5tupleIJNSE_INS8_ISJ_NS7_16discard_iteratorINS7_11use_defaultEEES9_S9_S9_S9_S9_S9_S9_S9_EEEESB_EEENSN_IJSM_SM_EEESB_PlJNSF_9not_fun_tINSF_14equal_to_valueISA_EEEEEEE10hipError_tPvRmT3_T4_T5_T6_T7_T9_mT8_P12ihipStream_tbDpT10_ENKUlT_T0_E_clISt17integral_constantIbLb0EES1I_IbLb1EEEEDaS1E_S1F_EUlS1E_E_NS1_11comp_targetILNS1_3genE9ELNS1_11target_archE1100ELNS1_3gpuE3ELNS1_3repE0EEENS1_30default_config_static_selectorELNS0_4arch9wavefront6targetE0EEEvT1_,comdat
.Lfunc_end2011:
	.size	_ZN7rocprim17ROCPRIM_400000_NS6detail17trampoline_kernelINS0_14default_configENS1_25partition_config_selectorILNS1_17partition_subalgoE6EN6thrust23THRUST_200600_302600_NS5tupleIxxNS7_9null_typeES9_S9_S9_S9_S9_S9_S9_EENS0_10empty_typeEbEEZZNS1_14partition_implILS5_6ELb0ES3_mNS7_12zip_iteratorINS8_INS7_6detail15normal_iteratorINS7_10device_ptrIxEEEESJ_S9_S9_S9_S9_S9_S9_S9_S9_EEEEPSB_SM_NS0_5tupleIJNSE_INS8_ISJ_NS7_16discard_iteratorINS7_11use_defaultEEES9_S9_S9_S9_S9_S9_S9_S9_EEEESB_EEENSN_IJSM_SM_EEESB_PlJNSF_9not_fun_tINSF_14equal_to_valueISA_EEEEEEE10hipError_tPvRmT3_T4_T5_T6_T7_T9_mT8_P12ihipStream_tbDpT10_ENKUlT_T0_E_clISt17integral_constantIbLb0EES1I_IbLb1EEEEDaS1E_S1F_EUlS1E_E_NS1_11comp_targetILNS1_3genE9ELNS1_11target_archE1100ELNS1_3gpuE3ELNS1_3repE0EEENS1_30default_config_static_selectorELNS0_4arch9wavefront6targetE0EEEvT1_, .Lfunc_end2011-_ZN7rocprim17ROCPRIM_400000_NS6detail17trampoline_kernelINS0_14default_configENS1_25partition_config_selectorILNS1_17partition_subalgoE6EN6thrust23THRUST_200600_302600_NS5tupleIxxNS7_9null_typeES9_S9_S9_S9_S9_S9_S9_EENS0_10empty_typeEbEEZZNS1_14partition_implILS5_6ELb0ES3_mNS7_12zip_iteratorINS8_INS7_6detail15normal_iteratorINS7_10device_ptrIxEEEESJ_S9_S9_S9_S9_S9_S9_S9_S9_EEEEPSB_SM_NS0_5tupleIJNSE_INS8_ISJ_NS7_16discard_iteratorINS7_11use_defaultEEES9_S9_S9_S9_S9_S9_S9_S9_EEEESB_EEENSN_IJSM_SM_EEESB_PlJNSF_9not_fun_tINSF_14equal_to_valueISA_EEEEEEE10hipError_tPvRmT3_T4_T5_T6_T7_T9_mT8_P12ihipStream_tbDpT10_ENKUlT_T0_E_clISt17integral_constantIbLb0EES1I_IbLb1EEEEDaS1E_S1F_EUlS1E_E_NS1_11comp_targetILNS1_3genE9ELNS1_11target_archE1100ELNS1_3gpuE3ELNS1_3repE0EEENS1_30default_config_static_selectorELNS0_4arch9wavefront6targetE0EEEvT1_
                                        ; -- End function
	.set _ZN7rocprim17ROCPRIM_400000_NS6detail17trampoline_kernelINS0_14default_configENS1_25partition_config_selectorILNS1_17partition_subalgoE6EN6thrust23THRUST_200600_302600_NS5tupleIxxNS7_9null_typeES9_S9_S9_S9_S9_S9_S9_EENS0_10empty_typeEbEEZZNS1_14partition_implILS5_6ELb0ES3_mNS7_12zip_iteratorINS8_INS7_6detail15normal_iteratorINS7_10device_ptrIxEEEESJ_S9_S9_S9_S9_S9_S9_S9_S9_EEEEPSB_SM_NS0_5tupleIJNSE_INS8_ISJ_NS7_16discard_iteratorINS7_11use_defaultEEES9_S9_S9_S9_S9_S9_S9_S9_EEEESB_EEENSN_IJSM_SM_EEESB_PlJNSF_9not_fun_tINSF_14equal_to_valueISA_EEEEEEE10hipError_tPvRmT3_T4_T5_T6_T7_T9_mT8_P12ihipStream_tbDpT10_ENKUlT_T0_E_clISt17integral_constantIbLb0EES1I_IbLb1EEEEDaS1E_S1F_EUlS1E_E_NS1_11comp_targetILNS1_3genE9ELNS1_11target_archE1100ELNS1_3gpuE3ELNS1_3repE0EEENS1_30default_config_static_selectorELNS0_4arch9wavefront6targetE0EEEvT1_.num_vgpr, 0
	.set _ZN7rocprim17ROCPRIM_400000_NS6detail17trampoline_kernelINS0_14default_configENS1_25partition_config_selectorILNS1_17partition_subalgoE6EN6thrust23THRUST_200600_302600_NS5tupleIxxNS7_9null_typeES9_S9_S9_S9_S9_S9_S9_EENS0_10empty_typeEbEEZZNS1_14partition_implILS5_6ELb0ES3_mNS7_12zip_iteratorINS8_INS7_6detail15normal_iteratorINS7_10device_ptrIxEEEESJ_S9_S9_S9_S9_S9_S9_S9_S9_EEEEPSB_SM_NS0_5tupleIJNSE_INS8_ISJ_NS7_16discard_iteratorINS7_11use_defaultEEES9_S9_S9_S9_S9_S9_S9_S9_EEEESB_EEENSN_IJSM_SM_EEESB_PlJNSF_9not_fun_tINSF_14equal_to_valueISA_EEEEEEE10hipError_tPvRmT3_T4_T5_T6_T7_T9_mT8_P12ihipStream_tbDpT10_ENKUlT_T0_E_clISt17integral_constantIbLb0EES1I_IbLb1EEEEDaS1E_S1F_EUlS1E_E_NS1_11comp_targetILNS1_3genE9ELNS1_11target_archE1100ELNS1_3gpuE3ELNS1_3repE0EEENS1_30default_config_static_selectorELNS0_4arch9wavefront6targetE0EEEvT1_.num_agpr, 0
	.set _ZN7rocprim17ROCPRIM_400000_NS6detail17trampoline_kernelINS0_14default_configENS1_25partition_config_selectorILNS1_17partition_subalgoE6EN6thrust23THRUST_200600_302600_NS5tupleIxxNS7_9null_typeES9_S9_S9_S9_S9_S9_S9_EENS0_10empty_typeEbEEZZNS1_14partition_implILS5_6ELb0ES3_mNS7_12zip_iteratorINS8_INS7_6detail15normal_iteratorINS7_10device_ptrIxEEEESJ_S9_S9_S9_S9_S9_S9_S9_S9_EEEEPSB_SM_NS0_5tupleIJNSE_INS8_ISJ_NS7_16discard_iteratorINS7_11use_defaultEEES9_S9_S9_S9_S9_S9_S9_S9_EEEESB_EEENSN_IJSM_SM_EEESB_PlJNSF_9not_fun_tINSF_14equal_to_valueISA_EEEEEEE10hipError_tPvRmT3_T4_T5_T6_T7_T9_mT8_P12ihipStream_tbDpT10_ENKUlT_T0_E_clISt17integral_constantIbLb0EES1I_IbLb1EEEEDaS1E_S1F_EUlS1E_E_NS1_11comp_targetILNS1_3genE9ELNS1_11target_archE1100ELNS1_3gpuE3ELNS1_3repE0EEENS1_30default_config_static_selectorELNS0_4arch9wavefront6targetE0EEEvT1_.numbered_sgpr, 0
	.set _ZN7rocprim17ROCPRIM_400000_NS6detail17trampoline_kernelINS0_14default_configENS1_25partition_config_selectorILNS1_17partition_subalgoE6EN6thrust23THRUST_200600_302600_NS5tupleIxxNS7_9null_typeES9_S9_S9_S9_S9_S9_S9_EENS0_10empty_typeEbEEZZNS1_14partition_implILS5_6ELb0ES3_mNS7_12zip_iteratorINS8_INS7_6detail15normal_iteratorINS7_10device_ptrIxEEEESJ_S9_S9_S9_S9_S9_S9_S9_S9_EEEEPSB_SM_NS0_5tupleIJNSE_INS8_ISJ_NS7_16discard_iteratorINS7_11use_defaultEEES9_S9_S9_S9_S9_S9_S9_S9_EEEESB_EEENSN_IJSM_SM_EEESB_PlJNSF_9not_fun_tINSF_14equal_to_valueISA_EEEEEEE10hipError_tPvRmT3_T4_T5_T6_T7_T9_mT8_P12ihipStream_tbDpT10_ENKUlT_T0_E_clISt17integral_constantIbLb0EES1I_IbLb1EEEEDaS1E_S1F_EUlS1E_E_NS1_11comp_targetILNS1_3genE9ELNS1_11target_archE1100ELNS1_3gpuE3ELNS1_3repE0EEENS1_30default_config_static_selectorELNS0_4arch9wavefront6targetE0EEEvT1_.num_named_barrier, 0
	.set _ZN7rocprim17ROCPRIM_400000_NS6detail17trampoline_kernelINS0_14default_configENS1_25partition_config_selectorILNS1_17partition_subalgoE6EN6thrust23THRUST_200600_302600_NS5tupleIxxNS7_9null_typeES9_S9_S9_S9_S9_S9_S9_EENS0_10empty_typeEbEEZZNS1_14partition_implILS5_6ELb0ES3_mNS7_12zip_iteratorINS8_INS7_6detail15normal_iteratorINS7_10device_ptrIxEEEESJ_S9_S9_S9_S9_S9_S9_S9_S9_EEEEPSB_SM_NS0_5tupleIJNSE_INS8_ISJ_NS7_16discard_iteratorINS7_11use_defaultEEES9_S9_S9_S9_S9_S9_S9_S9_EEEESB_EEENSN_IJSM_SM_EEESB_PlJNSF_9not_fun_tINSF_14equal_to_valueISA_EEEEEEE10hipError_tPvRmT3_T4_T5_T6_T7_T9_mT8_P12ihipStream_tbDpT10_ENKUlT_T0_E_clISt17integral_constantIbLb0EES1I_IbLb1EEEEDaS1E_S1F_EUlS1E_E_NS1_11comp_targetILNS1_3genE9ELNS1_11target_archE1100ELNS1_3gpuE3ELNS1_3repE0EEENS1_30default_config_static_selectorELNS0_4arch9wavefront6targetE0EEEvT1_.private_seg_size, 0
	.set _ZN7rocprim17ROCPRIM_400000_NS6detail17trampoline_kernelINS0_14default_configENS1_25partition_config_selectorILNS1_17partition_subalgoE6EN6thrust23THRUST_200600_302600_NS5tupleIxxNS7_9null_typeES9_S9_S9_S9_S9_S9_S9_EENS0_10empty_typeEbEEZZNS1_14partition_implILS5_6ELb0ES3_mNS7_12zip_iteratorINS8_INS7_6detail15normal_iteratorINS7_10device_ptrIxEEEESJ_S9_S9_S9_S9_S9_S9_S9_S9_EEEEPSB_SM_NS0_5tupleIJNSE_INS8_ISJ_NS7_16discard_iteratorINS7_11use_defaultEEES9_S9_S9_S9_S9_S9_S9_S9_EEEESB_EEENSN_IJSM_SM_EEESB_PlJNSF_9not_fun_tINSF_14equal_to_valueISA_EEEEEEE10hipError_tPvRmT3_T4_T5_T6_T7_T9_mT8_P12ihipStream_tbDpT10_ENKUlT_T0_E_clISt17integral_constantIbLb0EES1I_IbLb1EEEEDaS1E_S1F_EUlS1E_E_NS1_11comp_targetILNS1_3genE9ELNS1_11target_archE1100ELNS1_3gpuE3ELNS1_3repE0EEENS1_30default_config_static_selectorELNS0_4arch9wavefront6targetE0EEEvT1_.uses_vcc, 0
	.set _ZN7rocprim17ROCPRIM_400000_NS6detail17trampoline_kernelINS0_14default_configENS1_25partition_config_selectorILNS1_17partition_subalgoE6EN6thrust23THRUST_200600_302600_NS5tupleIxxNS7_9null_typeES9_S9_S9_S9_S9_S9_S9_EENS0_10empty_typeEbEEZZNS1_14partition_implILS5_6ELb0ES3_mNS7_12zip_iteratorINS8_INS7_6detail15normal_iteratorINS7_10device_ptrIxEEEESJ_S9_S9_S9_S9_S9_S9_S9_S9_EEEEPSB_SM_NS0_5tupleIJNSE_INS8_ISJ_NS7_16discard_iteratorINS7_11use_defaultEEES9_S9_S9_S9_S9_S9_S9_S9_EEEESB_EEENSN_IJSM_SM_EEESB_PlJNSF_9not_fun_tINSF_14equal_to_valueISA_EEEEEEE10hipError_tPvRmT3_T4_T5_T6_T7_T9_mT8_P12ihipStream_tbDpT10_ENKUlT_T0_E_clISt17integral_constantIbLb0EES1I_IbLb1EEEEDaS1E_S1F_EUlS1E_E_NS1_11comp_targetILNS1_3genE9ELNS1_11target_archE1100ELNS1_3gpuE3ELNS1_3repE0EEENS1_30default_config_static_selectorELNS0_4arch9wavefront6targetE0EEEvT1_.uses_flat_scratch, 0
	.set _ZN7rocprim17ROCPRIM_400000_NS6detail17trampoline_kernelINS0_14default_configENS1_25partition_config_selectorILNS1_17partition_subalgoE6EN6thrust23THRUST_200600_302600_NS5tupleIxxNS7_9null_typeES9_S9_S9_S9_S9_S9_S9_EENS0_10empty_typeEbEEZZNS1_14partition_implILS5_6ELb0ES3_mNS7_12zip_iteratorINS8_INS7_6detail15normal_iteratorINS7_10device_ptrIxEEEESJ_S9_S9_S9_S9_S9_S9_S9_S9_EEEEPSB_SM_NS0_5tupleIJNSE_INS8_ISJ_NS7_16discard_iteratorINS7_11use_defaultEEES9_S9_S9_S9_S9_S9_S9_S9_EEEESB_EEENSN_IJSM_SM_EEESB_PlJNSF_9not_fun_tINSF_14equal_to_valueISA_EEEEEEE10hipError_tPvRmT3_T4_T5_T6_T7_T9_mT8_P12ihipStream_tbDpT10_ENKUlT_T0_E_clISt17integral_constantIbLb0EES1I_IbLb1EEEEDaS1E_S1F_EUlS1E_E_NS1_11comp_targetILNS1_3genE9ELNS1_11target_archE1100ELNS1_3gpuE3ELNS1_3repE0EEENS1_30default_config_static_selectorELNS0_4arch9wavefront6targetE0EEEvT1_.has_dyn_sized_stack, 0
	.set _ZN7rocprim17ROCPRIM_400000_NS6detail17trampoline_kernelINS0_14default_configENS1_25partition_config_selectorILNS1_17partition_subalgoE6EN6thrust23THRUST_200600_302600_NS5tupleIxxNS7_9null_typeES9_S9_S9_S9_S9_S9_S9_EENS0_10empty_typeEbEEZZNS1_14partition_implILS5_6ELb0ES3_mNS7_12zip_iteratorINS8_INS7_6detail15normal_iteratorINS7_10device_ptrIxEEEESJ_S9_S9_S9_S9_S9_S9_S9_S9_EEEEPSB_SM_NS0_5tupleIJNSE_INS8_ISJ_NS7_16discard_iteratorINS7_11use_defaultEEES9_S9_S9_S9_S9_S9_S9_S9_EEEESB_EEENSN_IJSM_SM_EEESB_PlJNSF_9not_fun_tINSF_14equal_to_valueISA_EEEEEEE10hipError_tPvRmT3_T4_T5_T6_T7_T9_mT8_P12ihipStream_tbDpT10_ENKUlT_T0_E_clISt17integral_constantIbLb0EES1I_IbLb1EEEEDaS1E_S1F_EUlS1E_E_NS1_11comp_targetILNS1_3genE9ELNS1_11target_archE1100ELNS1_3gpuE3ELNS1_3repE0EEENS1_30default_config_static_selectorELNS0_4arch9wavefront6targetE0EEEvT1_.has_recursion, 0
	.set _ZN7rocprim17ROCPRIM_400000_NS6detail17trampoline_kernelINS0_14default_configENS1_25partition_config_selectorILNS1_17partition_subalgoE6EN6thrust23THRUST_200600_302600_NS5tupleIxxNS7_9null_typeES9_S9_S9_S9_S9_S9_S9_EENS0_10empty_typeEbEEZZNS1_14partition_implILS5_6ELb0ES3_mNS7_12zip_iteratorINS8_INS7_6detail15normal_iteratorINS7_10device_ptrIxEEEESJ_S9_S9_S9_S9_S9_S9_S9_S9_EEEEPSB_SM_NS0_5tupleIJNSE_INS8_ISJ_NS7_16discard_iteratorINS7_11use_defaultEEES9_S9_S9_S9_S9_S9_S9_S9_EEEESB_EEENSN_IJSM_SM_EEESB_PlJNSF_9not_fun_tINSF_14equal_to_valueISA_EEEEEEE10hipError_tPvRmT3_T4_T5_T6_T7_T9_mT8_P12ihipStream_tbDpT10_ENKUlT_T0_E_clISt17integral_constantIbLb0EES1I_IbLb1EEEEDaS1E_S1F_EUlS1E_E_NS1_11comp_targetILNS1_3genE9ELNS1_11target_archE1100ELNS1_3gpuE3ELNS1_3repE0EEENS1_30default_config_static_selectorELNS0_4arch9wavefront6targetE0EEEvT1_.has_indirect_call, 0
	.section	.AMDGPU.csdata,"",@progbits
; Kernel info:
; codeLenInByte = 0
; TotalNumSgprs: 0
; NumVgprs: 0
; ScratchSize: 0
; MemoryBound: 0
; FloatMode: 240
; IeeeMode: 1
; LDSByteSize: 0 bytes/workgroup (compile time only)
; SGPRBlocks: 0
; VGPRBlocks: 0
; NumSGPRsForWavesPerEU: 1
; NumVGPRsForWavesPerEU: 1
; Occupancy: 16
; WaveLimiterHint : 0
; COMPUTE_PGM_RSRC2:SCRATCH_EN: 0
; COMPUTE_PGM_RSRC2:USER_SGPR: 2
; COMPUTE_PGM_RSRC2:TRAP_HANDLER: 0
; COMPUTE_PGM_RSRC2:TGID_X_EN: 1
; COMPUTE_PGM_RSRC2:TGID_Y_EN: 0
; COMPUTE_PGM_RSRC2:TGID_Z_EN: 0
; COMPUTE_PGM_RSRC2:TIDIG_COMP_CNT: 0
	.section	.text._ZN7rocprim17ROCPRIM_400000_NS6detail17trampoline_kernelINS0_14default_configENS1_25partition_config_selectorILNS1_17partition_subalgoE6EN6thrust23THRUST_200600_302600_NS5tupleIxxNS7_9null_typeES9_S9_S9_S9_S9_S9_S9_EENS0_10empty_typeEbEEZZNS1_14partition_implILS5_6ELb0ES3_mNS7_12zip_iteratorINS8_INS7_6detail15normal_iteratorINS7_10device_ptrIxEEEESJ_S9_S9_S9_S9_S9_S9_S9_S9_EEEEPSB_SM_NS0_5tupleIJNSE_INS8_ISJ_NS7_16discard_iteratorINS7_11use_defaultEEES9_S9_S9_S9_S9_S9_S9_S9_EEEESB_EEENSN_IJSM_SM_EEESB_PlJNSF_9not_fun_tINSF_14equal_to_valueISA_EEEEEEE10hipError_tPvRmT3_T4_T5_T6_T7_T9_mT8_P12ihipStream_tbDpT10_ENKUlT_T0_E_clISt17integral_constantIbLb0EES1I_IbLb1EEEEDaS1E_S1F_EUlS1E_E_NS1_11comp_targetILNS1_3genE8ELNS1_11target_archE1030ELNS1_3gpuE2ELNS1_3repE0EEENS1_30default_config_static_selectorELNS0_4arch9wavefront6targetE0EEEvT1_,"axG",@progbits,_ZN7rocprim17ROCPRIM_400000_NS6detail17trampoline_kernelINS0_14default_configENS1_25partition_config_selectorILNS1_17partition_subalgoE6EN6thrust23THRUST_200600_302600_NS5tupleIxxNS7_9null_typeES9_S9_S9_S9_S9_S9_S9_EENS0_10empty_typeEbEEZZNS1_14partition_implILS5_6ELb0ES3_mNS7_12zip_iteratorINS8_INS7_6detail15normal_iteratorINS7_10device_ptrIxEEEESJ_S9_S9_S9_S9_S9_S9_S9_S9_EEEEPSB_SM_NS0_5tupleIJNSE_INS8_ISJ_NS7_16discard_iteratorINS7_11use_defaultEEES9_S9_S9_S9_S9_S9_S9_S9_EEEESB_EEENSN_IJSM_SM_EEESB_PlJNSF_9not_fun_tINSF_14equal_to_valueISA_EEEEEEE10hipError_tPvRmT3_T4_T5_T6_T7_T9_mT8_P12ihipStream_tbDpT10_ENKUlT_T0_E_clISt17integral_constantIbLb0EES1I_IbLb1EEEEDaS1E_S1F_EUlS1E_E_NS1_11comp_targetILNS1_3genE8ELNS1_11target_archE1030ELNS1_3gpuE2ELNS1_3repE0EEENS1_30default_config_static_selectorELNS0_4arch9wavefront6targetE0EEEvT1_,comdat
	.protected	_ZN7rocprim17ROCPRIM_400000_NS6detail17trampoline_kernelINS0_14default_configENS1_25partition_config_selectorILNS1_17partition_subalgoE6EN6thrust23THRUST_200600_302600_NS5tupleIxxNS7_9null_typeES9_S9_S9_S9_S9_S9_S9_EENS0_10empty_typeEbEEZZNS1_14partition_implILS5_6ELb0ES3_mNS7_12zip_iteratorINS8_INS7_6detail15normal_iteratorINS7_10device_ptrIxEEEESJ_S9_S9_S9_S9_S9_S9_S9_S9_EEEEPSB_SM_NS0_5tupleIJNSE_INS8_ISJ_NS7_16discard_iteratorINS7_11use_defaultEEES9_S9_S9_S9_S9_S9_S9_S9_EEEESB_EEENSN_IJSM_SM_EEESB_PlJNSF_9not_fun_tINSF_14equal_to_valueISA_EEEEEEE10hipError_tPvRmT3_T4_T5_T6_T7_T9_mT8_P12ihipStream_tbDpT10_ENKUlT_T0_E_clISt17integral_constantIbLb0EES1I_IbLb1EEEEDaS1E_S1F_EUlS1E_E_NS1_11comp_targetILNS1_3genE8ELNS1_11target_archE1030ELNS1_3gpuE2ELNS1_3repE0EEENS1_30default_config_static_selectorELNS0_4arch9wavefront6targetE0EEEvT1_ ; -- Begin function _ZN7rocprim17ROCPRIM_400000_NS6detail17trampoline_kernelINS0_14default_configENS1_25partition_config_selectorILNS1_17partition_subalgoE6EN6thrust23THRUST_200600_302600_NS5tupleIxxNS7_9null_typeES9_S9_S9_S9_S9_S9_S9_EENS0_10empty_typeEbEEZZNS1_14partition_implILS5_6ELb0ES3_mNS7_12zip_iteratorINS8_INS7_6detail15normal_iteratorINS7_10device_ptrIxEEEESJ_S9_S9_S9_S9_S9_S9_S9_S9_EEEEPSB_SM_NS0_5tupleIJNSE_INS8_ISJ_NS7_16discard_iteratorINS7_11use_defaultEEES9_S9_S9_S9_S9_S9_S9_S9_EEEESB_EEENSN_IJSM_SM_EEESB_PlJNSF_9not_fun_tINSF_14equal_to_valueISA_EEEEEEE10hipError_tPvRmT3_T4_T5_T6_T7_T9_mT8_P12ihipStream_tbDpT10_ENKUlT_T0_E_clISt17integral_constantIbLb0EES1I_IbLb1EEEEDaS1E_S1F_EUlS1E_E_NS1_11comp_targetILNS1_3genE8ELNS1_11target_archE1030ELNS1_3gpuE2ELNS1_3repE0EEENS1_30default_config_static_selectorELNS0_4arch9wavefront6targetE0EEEvT1_
	.globl	_ZN7rocprim17ROCPRIM_400000_NS6detail17trampoline_kernelINS0_14default_configENS1_25partition_config_selectorILNS1_17partition_subalgoE6EN6thrust23THRUST_200600_302600_NS5tupleIxxNS7_9null_typeES9_S9_S9_S9_S9_S9_S9_EENS0_10empty_typeEbEEZZNS1_14partition_implILS5_6ELb0ES3_mNS7_12zip_iteratorINS8_INS7_6detail15normal_iteratorINS7_10device_ptrIxEEEESJ_S9_S9_S9_S9_S9_S9_S9_S9_EEEEPSB_SM_NS0_5tupleIJNSE_INS8_ISJ_NS7_16discard_iteratorINS7_11use_defaultEEES9_S9_S9_S9_S9_S9_S9_S9_EEEESB_EEENSN_IJSM_SM_EEESB_PlJNSF_9not_fun_tINSF_14equal_to_valueISA_EEEEEEE10hipError_tPvRmT3_T4_T5_T6_T7_T9_mT8_P12ihipStream_tbDpT10_ENKUlT_T0_E_clISt17integral_constantIbLb0EES1I_IbLb1EEEEDaS1E_S1F_EUlS1E_E_NS1_11comp_targetILNS1_3genE8ELNS1_11target_archE1030ELNS1_3gpuE2ELNS1_3repE0EEENS1_30default_config_static_selectorELNS0_4arch9wavefront6targetE0EEEvT1_
	.p2align	8
	.type	_ZN7rocprim17ROCPRIM_400000_NS6detail17trampoline_kernelINS0_14default_configENS1_25partition_config_selectorILNS1_17partition_subalgoE6EN6thrust23THRUST_200600_302600_NS5tupleIxxNS7_9null_typeES9_S9_S9_S9_S9_S9_S9_EENS0_10empty_typeEbEEZZNS1_14partition_implILS5_6ELb0ES3_mNS7_12zip_iteratorINS8_INS7_6detail15normal_iteratorINS7_10device_ptrIxEEEESJ_S9_S9_S9_S9_S9_S9_S9_S9_EEEEPSB_SM_NS0_5tupleIJNSE_INS8_ISJ_NS7_16discard_iteratorINS7_11use_defaultEEES9_S9_S9_S9_S9_S9_S9_S9_EEEESB_EEENSN_IJSM_SM_EEESB_PlJNSF_9not_fun_tINSF_14equal_to_valueISA_EEEEEEE10hipError_tPvRmT3_T4_T5_T6_T7_T9_mT8_P12ihipStream_tbDpT10_ENKUlT_T0_E_clISt17integral_constantIbLb0EES1I_IbLb1EEEEDaS1E_S1F_EUlS1E_E_NS1_11comp_targetILNS1_3genE8ELNS1_11target_archE1030ELNS1_3gpuE2ELNS1_3repE0EEENS1_30default_config_static_selectorELNS0_4arch9wavefront6targetE0EEEvT1_,@function
_ZN7rocprim17ROCPRIM_400000_NS6detail17trampoline_kernelINS0_14default_configENS1_25partition_config_selectorILNS1_17partition_subalgoE6EN6thrust23THRUST_200600_302600_NS5tupleIxxNS7_9null_typeES9_S9_S9_S9_S9_S9_S9_EENS0_10empty_typeEbEEZZNS1_14partition_implILS5_6ELb0ES3_mNS7_12zip_iteratorINS8_INS7_6detail15normal_iteratorINS7_10device_ptrIxEEEESJ_S9_S9_S9_S9_S9_S9_S9_S9_EEEEPSB_SM_NS0_5tupleIJNSE_INS8_ISJ_NS7_16discard_iteratorINS7_11use_defaultEEES9_S9_S9_S9_S9_S9_S9_S9_EEEESB_EEENSN_IJSM_SM_EEESB_PlJNSF_9not_fun_tINSF_14equal_to_valueISA_EEEEEEE10hipError_tPvRmT3_T4_T5_T6_T7_T9_mT8_P12ihipStream_tbDpT10_ENKUlT_T0_E_clISt17integral_constantIbLb0EES1I_IbLb1EEEEDaS1E_S1F_EUlS1E_E_NS1_11comp_targetILNS1_3genE8ELNS1_11target_archE1030ELNS1_3gpuE2ELNS1_3repE0EEENS1_30default_config_static_selectorELNS0_4arch9wavefront6targetE0EEEvT1_: ; @_ZN7rocprim17ROCPRIM_400000_NS6detail17trampoline_kernelINS0_14default_configENS1_25partition_config_selectorILNS1_17partition_subalgoE6EN6thrust23THRUST_200600_302600_NS5tupleIxxNS7_9null_typeES9_S9_S9_S9_S9_S9_S9_EENS0_10empty_typeEbEEZZNS1_14partition_implILS5_6ELb0ES3_mNS7_12zip_iteratorINS8_INS7_6detail15normal_iteratorINS7_10device_ptrIxEEEESJ_S9_S9_S9_S9_S9_S9_S9_S9_EEEEPSB_SM_NS0_5tupleIJNSE_INS8_ISJ_NS7_16discard_iteratorINS7_11use_defaultEEES9_S9_S9_S9_S9_S9_S9_S9_EEEESB_EEENSN_IJSM_SM_EEESB_PlJNSF_9not_fun_tINSF_14equal_to_valueISA_EEEEEEE10hipError_tPvRmT3_T4_T5_T6_T7_T9_mT8_P12ihipStream_tbDpT10_ENKUlT_T0_E_clISt17integral_constantIbLb0EES1I_IbLb1EEEEDaS1E_S1F_EUlS1E_E_NS1_11comp_targetILNS1_3genE8ELNS1_11target_archE1030ELNS1_3gpuE2ELNS1_3repE0EEENS1_30default_config_static_selectorELNS0_4arch9wavefront6targetE0EEEvT1_
; %bb.0:
	.section	.rodata,"a",@progbits
	.p2align	6, 0x0
	.amdhsa_kernel _ZN7rocprim17ROCPRIM_400000_NS6detail17trampoline_kernelINS0_14default_configENS1_25partition_config_selectorILNS1_17partition_subalgoE6EN6thrust23THRUST_200600_302600_NS5tupleIxxNS7_9null_typeES9_S9_S9_S9_S9_S9_S9_EENS0_10empty_typeEbEEZZNS1_14partition_implILS5_6ELb0ES3_mNS7_12zip_iteratorINS8_INS7_6detail15normal_iteratorINS7_10device_ptrIxEEEESJ_S9_S9_S9_S9_S9_S9_S9_S9_EEEEPSB_SM_NS0_5tupleIJNSE_INS8_ISJ_NS7_16discard_iteratorINS7_11use_defaultEEES9_S9_S9_S9_S9_S9_S9_S9_EEEESB_EEENSN_IJSM_SM_EEESB_PlJNSF_9not_fun_tINSF_14equal_to_valueISA_EEEEEEE10hipError_tPvRmT3_T4_T5_T6_T7_T9_mT8_P12ihipStream_tbDpT10_ENKUlT_T0_E_clISt17integral_constantIbLb0EES1I_IbLb1EEEEDaS1E_S1F_EUlS1E_E_NS1_11comp_targetILNS1_3genE8ELNS1_11target_archE1030ELNS1_3gpuE2ELNS1_3repE0EEENS1_30default_config_static_selectorELNS0_4arch9wavefront6targetE0EEEvT1_
		.amdhsa_group_segment_fixed_size 0
		.amdhsa_private_segment_fixed_size 0
		.amdhsa_kernarg_size 160
		.amdhsa_user_sgpr_count 2
		.amdhsa_user_sgpr_dispatch_ptr 0
		.amdhsa_user_sgpr_queue_ptr 0
		.amdhsa_user_sgpr_kernarg_segment_ptr 1
		.amdhsa_user_sgpr_dispatch_id 0
		.amdhsa_user_sgpr_private_segment_size 0
		.amdhsa_wavefront_size32 1
		.amdhsa_uses_dynamic_stack 0
		.amdhsa_enable_private_segment 0
		.amdhsa_system_sgpr_workgroup_id_x 1
		.amdhsa_system_sgpr_workgroup_id_y 0
		.amdhsa_system_sgpr_workgroup_id_z 0
		.amdhsa_system_sgpr_workgroup_info 0
		.amdhsa_system_vgpr_workitem_id 0
		.amdhsa_next_free_vgpr 1
		.amdhsa_next_free_sgpr 1
		.amdhsa_reserve_vcc 0
		.amdhsa_float_round_mode_32 0
		.amdhsa_float_round_mode_16_64 0
		.amdhsa_float_denorm_mode_32 3
		.amdhsa_float_denorm_mode_16_64 3
		.amdhsa_fp16_overflow 0
		.amdhsa_workgroup_processor_mode 1
		.amdhsa_memory_ordered 1
		.amdhsa_forward_progress 1
		.amdhsa_inst_pref_size 0
		.amdhsa_round_robin_scheduling 0
		.amdhsa_exception_fp_ieee_invalid_op 0
		.amdhsa_exception_fp_denorm_src 0
		.amdhsa_exception_fp_ieee_div_zero 0
		.amdhsa_exception_fp_ieee_overflow 0
		.amdhsa_exception_fp_ieee_underflow 0
		.amdhsa_exception_fp_ieee_inexact 0
		.amdhsa_exception_int_div_zero 0
	.end_amdhsa_kernel
	.section	.text._ZN7rocprim17ROCPRIM_400000_NS6detail17trampoline_kernelINS0_14default_configENS1_25partition_config_selectorILNS1_17partition_subalgoE6EN6thrust23THRUST_200600_302600_NS5tupleIxxNS7_9null_typeES9_S9_S9_S9_S9_S9_S9_EENS0_10empty_typeEbEEZZNS1_14partition_implILS5_6ELb0ES3_mNS7_12zip_iteratorINS8_INS7_6detail15normal_iteratorINS7_10device_ptrIxEEEESJ_S9_S9_S9_S9_S9_S9_S9_S9_EEEEPSB_SM_NS0_5tupleIJNSE_INS8_ISJ_NS7_16discard_iteratorINS7_11use_defaultEEES9_S9_S9_S9_S9_S9_S9_S9_EEEESB_EEENSN_IJSM_SM_EEESB_PlJNSF_9not_fun_tINSF_14equal_to_valueISA_EEEEEEE10hipError_tPvRmT3_T4_T5_T6_T7_T9_mT8_P12ihipStream_tbDpT10_ENKUlT_T0_E_clISt17integral_constantIbLb0EES1I_IbLb1EEEEDaS1E_S1F_EUlS1E_E_NS1_11comp_targetILNS1_3genE8ELNS1_11target_archE1030ELNS1_3gpuE2ELNS1_3repE0EEENS1_30default_config_static_selectorELNS0_4arch9wavefront6targetE0EEEvT1_,"axG",@progbits,_ZN7rocprim17ROCPRIM_400000_NS6detail17trampoline_kernelINS0_14default_configENS1_25partition_config_selectorILNS1_17partition_subalgoE6EN6thrust23THRUST_200600_302600_NS5tupleIxxNS7_9null_typeES9_S9_S9_S9_S9_S9_S9_EENS0_10empty_typeEbEEZZNS1_14partition_implILS5_6ELb0ES3_mNS7_12zip_iteratorINS8_INS7_6detail15normal_iteratorINS7_10device_ptrIxEEEESJ_S9_S9_S9_S9_S9_S9_S9_S9_EEEEPSB_SM_NS0_5tupleIJNSE_INS8_ISJ_NS7_16discard_iteratorINS7_11use_defaultEEES9_S9_S9_S9_S9_S9_S9_S9_EEEESB_EEENSN_IJSM_SM_EEESB_PlJNSF_9not_fun_tINSF_14equal_to_valueISA_EEEEEEE10hipError_tPvRmT3_T4_T5_T6_T7_T9_mT8_P12ihipStream_tbDpT10_ENKUlT_T0_E_clISt17integral_constantIbLb0EES1I_IbLb1EEEEDaS1E_S1F_EUlS1E_E_NS1_11comp_targetILNS1_3genE8ELNS1_11target_archE1030ELNS1_3gpuE2ELNS1_3repE0EEENS1_30default_config_static_selectorELNS0_4arch9wavefront6targetE0EEEvT1_,comdat
.Lfunc_end2012:
	.size	_ZN7rocprim17ROCPRIM_400000_NS6detail17trampoline_kernelINS0_14default_configENS1_25partition_config_selectorILNS1_17partition_subalgoE6EN6thrust23THRUST_200600_302600_NS5tupleIxxNS7_9null_typeES9_S9_S9_S9_S9_S9_S9_EENS0_10empty_typeEbEEZZNS1_14partition_implILS5_6ELb0ES3_mNS7_12zip_iteratorINS8_INS7_6detail15normal_iteratorINS7_10device_ptrIxEEEESJ_S9_S9_S9_S9_S9_S9_S9_S9_EEEEPSB_SM_NS0_5tupleIJNSE_INS8_ISJ_NS7_16discard_iteratorINS7_11use_defaultEEES9_S9_S9_S9_S9_S9_S9_S9_EEEESB_EEENSN_IJSM_SM_EEESB_PlJNSF_9not_fun_tINSF_14equal_to_valueISA_EEEEEEE10hipError_tPvRmT3_T4_T5_T6_T7_T9_mT8_P12ihipStream_tbDpT10_ENKUlT_T0_E_clISt17integral_constantIbLb0EES1I_IbLb1EEEEDaS1E_S1F_EUlS1E_E_NS1_11comp_targetILNS1_3genE8ELNS1_11target_archE1030ELNS1_3gpuE2ELNS1_3repE0EEENS1_30default_config_static_selectorELNS0_4arch9wavefront6targetE0EEEvT1_, .Lfunc_end2012-_ZN7rocprim17ROCPRIM_400000_NS6detail17trampoline_kernelINS0_14default_configENS1_25partition_config_selectorILNS1_17partition_subalgoE6EN6thrust23THRUST_200600_302600_NS5tupleIxxNS7_9null_typeES9_S9_S9_S9_S9_S9_S9_EENS0_10empty_typeEbEEZZNS1_14partition_implILS5_6ELb0ES3_mNS7_12zip_iteratorINS8_INS7_6detail15normal_iteratorINS7_10device_ptrIxEEEESJ_S9_S9_S9_S9_S9_S9_S9_S9_EEEEPSB_SM_NS0_5tupleIJNSE_INS8_ISJ_NS7_16discard_iteratorINS7_11use_defaultEEES9_S9_S9_S9_S9_S9_S9_S9_EEEESB_EEENSN_IJSM_SM_EEESB_PlJNSF_9not_fun_tINSF_14equal_to_valueISA_EEEEEEE10hipError_tPvRmT3_T4_T5_T6_T7_T9_mT8_P12ihipStream_tbDpT10_ENKUlT_T0_E_clISt17integral_constantIbLb0EES1I_IbLb1EEEEDaS1E_S1F_EUlS1E_E_NS1_11comp_targetILNS1_3genE8ELNS1_11target_archE1030ELNS1_3gpuE2ELNS1_3repE0EEENS1_30default_config_static_selectorELNS0_4arch9wavefront6targetE0EEEvT1_
                                        ; -- End function
	.set _ZN7rocprim17ROCPRIM_400000_NS6detail17trampoline_kernelINS0_14default_configENS1_25partition_config_selectorILNS1_17partition_subalgoE6EN6thrust23THRUST_200600_302600_NS5tupleIxxNS7_9null_typeES9_S9_S9_S9_S9_S9_S9_EENS0_10empty_typeEbEEZZNS1_14partition_implILS5_6ELb0ES3_mNS7_12zip_iteratorINS8_INS7_6detail15normal_iteratorINS7_10device_ptrIxEEEESJ_S9_S9_S9_S9_S9_S9_S9_S9_EEEEPSB_SM_NS0_5tupleIJNSE_INS8_ISJ_NS7_16discard_iteratorINS7_11use_defaultEEES9_S9_S9_S9_S9_S9_S9_S9_EEEESB_EEENSN_IJSM_SM_EEESB_PlJNSF_9not_fun_tINSF_14equal_to_valueISA_EEEEEEE10hipError_tPvRmT3_T4_T5_T6_T7_T9_mT8_P12ihipStream_tbDpT10_ENKUlT_T0_E_clISt17integral_constantIbLb0EES1I_IbLb1EEEEDaS1E_S1F_EUlS1E_E_NS1_11comp_targetILNS1_3genE8ELNS1_11target_archE1030ELNS1_3gpuE2ELNS1_3repE0EEENS1_30default_config_static_selectorELNS0_4arch9wavefront6targetE0EEEvT1_.num_vgpr, 0
	.set _ZN7rocprim17ROCPRIM_400000_NS6detail17trampoline_kernelINS0_14default_configENS1_25partition_config_selectorILNS1_17partition_subalgoE6EN6thrust23THRUST_200600_302600_NS5tupleIxxNS7_9null_typeES9_S9_S9_S9_S9_S9_S9_EENS0_10empty_typeEbEEZZNS1_14partition_implILS5_6ELb0ES3_mNS7_12zip_iteratorINS8_INS7_6detail15normal_iteratorINS7_10device_ptrIxEEEESJ_S9_S9_S9_S9_S9_S9_S9_S9_EEEEPSB_SM_NS0_5tupleIJNSE_INS8_ISJ_NS7_16discard_iteratorINS7_11use_defaultEEES9_S9_S9_S9_S9_S9_S9_S9_EEEESB_EEENSN_IJSM_SM_EEESB_PlJNSF_9not_fun_tINSF_14equal_to_valueISA_EEEEEEE10hipError_tPvRmT3_T4_T5_T6_T7_T9_mT8_P12ihipStream_tbDpT10_ENKUlT_T0_E_clISt17integral_constantIbLb0EES1I_IbLb1EEEEDaS1E_S1F_EUlS1E_E_NS1_11comp_targetILNS1_3genE8ELNS1_11target_archE1030ELNS1_3gpuE2ELNS1_3repE0EEENS1_30default_config_static_selectorELNS0_4arch9wavefront6targetE0EEEvT1_.num_agpr, 0
	.set _ZN7rocprim17ROCPRIM_400000_NS6detail17trampoline_kernelINS0_14default_configENS1_25partition_config_selectorILNS1_17partition_subalgoE6EN6thrust23THRUST_200600_302600_NS5tupleIxxNS7_9null_typeES9_S9_S9_S9_S9_S9_S9_EENS0_10empty_typeEbEEZZNS1_14partition_implILS5_6ELb0ES3_mNS7_12zip_iteratorINS8_INS7_6detail15normal_iteratorINS7_10device_ptrIxEEEESJ_S9_S9_S9_S9_S9_S9_S9_S9_EEEEPSB_SM_NS0_5tupleIJNSE_INS8_ISJ_NS7_16discard_iteratorINS7_11use_defaultEEES9_S9_S9_S9_S9_S9_S9_S9_EEEESB_EEENSN_IJSM_SM_EEESB_PlJNSF_9not_fun_tINSF_14equal_to_valueISA_EEEEEEE10hipError_tPvRmT3_T4_T5_T6_T7_T9_mT8_P12ihipStream_tbDpT10_ENKUlT_T0_E_clISt17integral_constantIbLb0EES1I_IbLb1EEEEDaS1E_S1F_EUlS1E_E_NS1_11comp_targetILNS1_3genE8ELNS1_11target_archE1030ELNS1_3gpuE2ELNS1_3repE0EEENS1_30default_config_static_selectorELNS0_4arch9wavefront6targetE0EEEvT1_.numbered_sgpr, 0
	.set _ZN7rocprim17ROCPRIM_400000_NS6detail17trampoline_kernelINS0_14default_configENS1_25partition_config_selectorILNS1_17partition_subalgoE6EN6thrust23THRUST_200600_302600_NS5tupleIxxNS7_9null_typeES9_S9_S9_S9_S9_S9_S9_EENS0_10empty_typeEbEEZZNS1_14partition_implILS5_6ELb0ES3_mNS7_12zip_iteratorINS8_INS7_6detail15normal_iteratorINS7_10device_ptrIxEEEESJ_S9_S9_S9_S9_S9_S9_S9_S9_EEEEPSB_SM_NS0_5tupleIJNSE_INS8_ISJ_NS7_16discard_iteratorINS7_11use_defaultEEES9_S9_S9_S9_S9_S9_S9_S9_EEEESB_EEENSN_IJSM_SM_EEESB_PlJNSF_9not_fun_tINSF_14equal_to_valueISA_EEEEEEE10hipError_tPvRmT3_T4_T5_T6_T7_T9_mT8_P12ihipStream_tbDpT10_ENKUlT_T0_E_clISt17integral_constantIbLb0EES1I_IbLb1EEEEDaS1E_S1F_EUlS1E_E_NS1_11comp_targetILNS1_3genE8ELNS1_11target_archE1030ELNS1_3gpuE2ELNS1_3repE0EEENS1_30default_config_static_selectorELNS0_4arch9wavefront6targetE0EEEvT1_.num_named_barrier, 0
	.set _ZN7rocprim17ROCPRIM_400000_NS6detail17trampoline_kernelINS0_14default_configENS1_25partition_config_selectorILNS1_17partition_subalgoE6EN6thrust23THRUST_200600_302600_NS5tupleIxxNS7_9null_typeES9_S9_S9_S9_S9_S9_S9_EENS0_10empty_typeEbEEZZNS1_14partition_implILS5_6ELb0ES3_mNS7_12zip_iteratorINS8_INS7_6detail15normal_iteratorINS7_10device_ptrIxEEEESJ_S9_S9_S9_S9_S9_S9_S9_S9_EEEEPSB_SM_NS0_5tupleIJNSE_INS8_ISJ_NS7_16discard_iteratorINS7_11use_defaultEEES9_S9_S9_S9_S9_S9_S9_S9_EEEESB_EEENSN_IJSM_SM_EEESB_PlJNSF_9not_fun_tINSF_14equal_to_valueISA_EEEEEEE10hipError_tPvRmT3_T4_T5_T6_T7_T9_mT8_P12ihipStream_tbDpT10_ENKUlT_T0_E_clISt17integral_constantIbLb0EES1I_IbLb1EEEEDaS1E_S1F_EUlS1E_E_NS1_11comp_targetILNS1_3genE8ELNS1_11target_archE1030ELNS1_3gpuE2ELNS1_3repE0EEENS1_30default_config_static_selectorELNS0_4arch9wavefront6targetE0EEEvT1_.private_seg_size, 0
	.set _ZN7rocprim17ROCPRIM_400000_NS6detail17trampoline_kernelINS0_14default_configENS1_25partition_config_selectorILNS1_17partition_subalgoE6EN6thrust23THRUST_200600_302600_NS5tupleIxxNS7_9null_typeES9_S9_S9_S9_S9_S9_S9_EENS0_10empty_typeEbEEZZNS1_14partition_implILS5_6ELb0ES3_mNS7_12zip_iteratorINS8_INS7_6detail15normal_iteratorINS7_10device_ptrIxEEEESJ_S9_S9_S9_S9_S9_S9_S9_S9_EEEEPSB_SM_NS0_5tupleIJNSE_INS8_ISJ_NS7_16discard_iteratorINS7_11use_defaultEEES9_S9_S9_S9_S9_S9_S9_S9_EEEESB_EEENSN_IJSM_SM_EEESB_PlJNSF_9not_fun_tINSF_14equal_to_valueISA_EEEEEEE10hipError_tPvRmT3_T4_T5_T6_T7_T9_mT8_P12ihipStream_tbDpT10_ENKUlT_T0_E_clISt17integral_constantIbLb0EES1I_IbLb1EEEEDaS1E_S1F_EUlS1E_E_NS1_11comp_targetILNS1_3genE8ELNS1_11target_archE1030ELNS1_3gpuE2ELNS1_3repE0EEENS1_30default_config_static_selectorELNS0_4arch9wavefront6targetE0EEEvT1_.uses_vcc, 0
	.set _ZN7rocprim17ROCPRIM_400000_NS6detail17trampoline_kernelINS0_14default_configENS1_25partition_config_selectorILNS1_17partition_subalgoE6EN6thrust23THRUST_200600_302600_NS5tupleIxxNS7_9null_typeES9_S9_S9_S9_S9_S9_S9_EENS0_10empty_typeEbEEZZNS1_14partition_implILS5_6ELb0ES3_mNS7_12zip_iteratorINS8_INS7_6detail15normal_iteratorINS7_10device_ptrIxEEEESJ_S9_S9_S9_S9_S9_S9_S9_S9_EEEEPSB_SM_NS0_5tupleIJNSE_INS8_ISJ_NS7_16discard_iteratorINS7_11use_defaultEEES9_S9_S9_S9_S9_S9_S9_S9_EEEESB_EEENSN_IJSM_SM_EEESB_PlJNSF_9not_fun_tINSF_14equal_to_valueISA_EEEEEEE10hipError_tPvRmT3_T4_T5_T6_T7_T9_mT8_P12ihipStream_tbDpT10_ENKUlT_T0_E_clISt17integral_constantIbLb0EES1I_IbLb1EEEEDaS1E_S1F_EUlS1E_E_NS1_11comp_targetILNS1_3genE8ELNS1_11target_archE1030ELNS1_3gpuE2ELNS1_3repE0EEENS1_30default_config_static_selectorELNS0_4arch9wavefront6targetE0EEEvT1_.uses_flat_scratch, 0
	.set _ZN7rocprim17ROCPRIM_400000_NS6detail17trampoline_kernelINS0_14default_configENS1_25partition_config_selectorILNS1_17partition_subalgoE6EN6thrust23THRUST_200600_302600_NS5tupleIxxNS7_9null_typeES9_S9_S9_S9_S9_S9_S9_EENS0_10empty_typeEbEEZZNS1_14partition_implILS5_6ELb0ES3_mNS7_12zip_iteratorINS8_INS7_6detail15normal_iteratorINS7_10device_ptrIxEEEESJ_S9_S9_S9_S9_S9_S9_S9_S9_EEEEPSB_SM_NS0_5tupleIJNSE_INS8_ISJ_NS7_16discard_iteratorINS7_11use_defaultEEES9_S9_S9_S9_S9_S9_S9_S9_EEEESB_EEENSN_IJSM_SM_EEESB_PlJNSF_9not_fun_tINSF_14equal_to_valueISA_EEEEEEE10hipError_tPvRmT3_T4_T5_T6_T7_T9_mT8_P12ihipStream_tbDpT10_ENKUlT_T0_E_clISt17integral_constantIbLb0EES1I_IbLb1EEEEDaS1E_S1F_EUlS1E_E_NS1_11comp_targetILNS1_3genE8ELNS1_11target_archE1030ELNS1_3gpuE2ELNS1_3repE0EEENS1_30default_config_static_selectorELNS0_4arch9wavefront6targetE0EEEvT1_.has_dyn_sized_stack, 0
	.set _ZN7rocprim17ROCPRIM_400000_NS6detail17trampoline_kernelINS0_14default_configENS1_25partition_config_selectorILNS1_17partition_subalgoE6EN6thrust23THRUST_200600_302600_NS5tupleIxxNS7_9null_typeES9_S9_S9_S9_S9_S9_S9_EENS0_10empty_typeEbEEZZNS1_14partition_implILS5_6ELb0ES3_mNS7_12zip_iteratorINS8_INS7_6detail15normal_iteratorINS7_10device_ptrIxEEEESJ_S9_S9_S9_S9_S9_S9_S9_S9_EEEEPSB_SM_NS0_5tupleIJNSE_INS8_ISJ_NS7_16discard_iteratorINS7_11use_defaultEEES9_S9_S9_S9_S9_S9_S9_S9_EEEESB_EEENSN_IJSM_SM_EEESB_PlJNSF_9not_fun_tINSF_14equal_to_valueISA_EEEEEEE10hipError_tPvRmT3_T4_T5_T6_T7_T9_mT8_P12ihipStream_tbDpT10_ENKUlT_T0_E_clISt17integral_constantIbLb0EES1I_IbLb1EEEEDaS1E_S1F_EUlS1E_E_NS1_11comp_targetILNS1_3genE8ELNS1_11target_archE1030ELNS1_3gpuE2ELNS1_3repE0EEENS1_30default_config_static_selectorELNS0_4arch9wavefront6targetE0EEEvT1_.has_recursion, 0
	.set _ZN7rocprim17ROCPRIM_400000_NS6detail17trampoline_kernelINS0_14default_configENS1_25partition_config_selectorILNS1_17partition_subalgoE6EN6thrust23THRUST_200600_302600_NS5tupleIxxNS7_9null_typeES9_S9_S9_S9_S9_S9_S9_EENS0_10empty_typeEbEEZZNS1_14partition_implILS5_6ELb0ES3_mNS7_12zip_iteratorINS8_INS7_6detail15normal_iteratorINS7_10device_ptrIxEEEESJ_S9_S9_S9_S9_S9_S9_S9_S9_EEEEPSB_SM_NS0_5tupleIJNSE_INS8_ISJ_NS7_16discard_iteratorINS7_11use_defaultEEES9_S9_S9_S9_S9_S9_S9_S9_EEEESB_EEENSN_IJSM_SM_EEESB_PlJNSF_9not_fun_tINSF_14equal_to_valueISA_EEEEEEE10hipError_tPvRmT3_T4_T5_T6_T7_T9_mT8_P12ihipStream_tbDpT10_ENKUlT_T0_E_clISt17integral_constantIbLb0EES1I_IbLb1EEEEDaS1E_S1F_EUlS1E_E_NS1_11comp_targetILNS1_3genE8ELNS1_11target_archE1030ELNS1_3gpuE2ELNS1_3repE0EEENS1_30default_config_static_selectorELNS0_4arch9wavefront6targetE0EEEvT1_.has_indirect_call, 0
	.section	.AMDGPU.csdata,"",@progbits
; Kernel info:
; codeLenInByte = 0
; TotalNumSgprs: 0
; NumVgprs: 0
; ScratchSize: 0
; MemoryBound: 0
; FloatMode: 240
; IeeeMode: 1
; LDSByteSize: 0 bytes/workgroup (compile time only)
; SGPRBlocks: 0
; VGPRBlocks: 0
; NumSGPRsForWavesPerEU: 1
; NumVGPRsForWavesPerEU: 1
; Occupancy: 16
; WaveLimiterHint : 0
; COMPUTE_PGM_RSRC2:SCRATCH_EN: 0
; COMPUTE_PGM_RSRC2:USER_SGPR: 2
; COMPUTE_PGM_RSRC2:TRAP_HANDLER: 0
; COMPUTE_PGM_RSRC2:TGID_X_EN: 1
; COMPUTE_PGM_RSRC2:TGID_Y_EN: 0
; COMPUTE_PGM_RSRC2:TGID_Z_EN: 0
; COMPUTE_PGM_RSRC2:TIDIG_COMP_CNT: 0
	.section	.text._ZN7rocprim17ROCPRIM_400000_NS6detail17trampoline_kernelINS0_14default_configENS1_25partition_config_selectorILNS1_17partition_subalgoE6EN6thrust23THRUST_200600_302600_NS5tupleIiiNS7_9null_typeES9_S9_S9_S9_S9_S9_S9_EENS0_10empty_typeEbEEZZNS1_14partition_implILS5_6ELb0ES3_mNS7_12zip_iteratorINS8_INS7_6detail15normal_iteratorINS7_10device_ptrIiEEEESJ_S9_S9_S9_S9_S9_S9_S9_S9_EEEEPSB_SM_NS0_5tupleIJNSE_INS8_ISJ_NS7_16discard_iteratorINS7_11use_defaultEEES9_S9_S9_S9_S9_S9_S9_S9_EEEESB_EEENSN_IJSM_SM_EEESB_PlJNSF_9not_fun_tINSF_14equal_to_valueISA_EEEEEEE10hipError_tPvRmT3_T4_T5_T6_T7_T9_mT8_P12ihipStream_tbDpT10_ENKUlT_T0_E_clISt17integral_constantIbLb0EES1J_EEDaS1E_S1F_EUlS1E_E_NS1_11comp_targetILNS1_3genE0ELNS1_11target_archE4294967295ELNS1_3gpuE0ELNS1_3repE0EEENS1_30default_config_static_selectorELNS0_4arch9wavefront6targetE0EEEvT1_,"axG",@progbits,_ZN7rocprim17ROCPRIM_400000_NS6detail17trampoline_kernelINS0_14default_configENS1_25partition_config_selectorILNS1_17partition_subalgoE6EN6thrust23THRUST_200600_302600_NS5tupleIiiNS7_9null_typeES9_S9_S9_S9_S9_S9_S9_EENS0_10empty_typeEbEEZZNS1_14partition_implILS5_6ELb0ES3_mNS7_12zip_iteratorINS8_INS7_6detail15normal_iteratorINS7_10device_ptrIiEEEESJ_S9_S9_S9_S9_S9_S9_S9_S9_EEEEPSB_SM_NS0_5tupleIJNSE_INS8_ISJ_NS7_16discard_iteratorINS7_11use_defaultEEES9_S9_S9_S9_S9_S9_S9_S9_EEEESB_EEENSN_IJSM_SM_EEESB_PlJNSF_9not_fun_tINSF_14equal_to_valueISA_EEEEEEE10hipError_tPvRmT3_T4_T5_T6_T7_T9_mT8_P12ihipStream_tbDpT10_ENKUlT_T0_E_clISt17integral_constantIbLb0EES1J_EEDaS1E_S1F_EUlS1E_E_NS1_11comp_targetILNS1_3genE0ELNS1_11target_archE4294967295ELNS1_3gpuE0ELNS1_3repE0EEENS1_30default_config_static_selectorELNS0_4arch9wavefront6targetE0EEEvT1_,comdat
	.protected	_ZN7rocprim17ROCPRIM_400000_NS6detail17trampoline_kernelINS0_14default_configENS1_25partition_config_selectorILNS1_17partition_subalgoE6EN6thrust23THRUST_200600_302600_NS5tupleIiiNS7_9null_typeES9_S9_S9_S9_S9_S9_S9_EENS0_10empty_typeEbEEZZNS1_14partition_implILS5_6ELb0ES3_mNS7_12zip_iteratorINS8_INS7_6detail15normal_iteratorINS7_10device_ptrIiEEEESJ_S9_S9_S9_S9_S9_S9_S9_S9_EEEEPSB_SM_NS0_5tupleIJNSE_INS8_ISJ_NS7_16discard_iteratorINS7_11use_defaultEEES9_S9_S9_S9_S9_S9_S9_S9_EEEESB_EEENSN_IJSM_SM_EEESB_PlJNSF_9not_fun_tINSF_14equal_to_valueISA_EEEEEEE10hipError_tPvRmT3_T4_T5_T6_T7_T9_mT8_P12ihipStream_tbDpT10_ENKUlT_T0_E_clISt17integral_constantIbLb0EES1J_EEDaS1E_S1F_EUlS1E_E_NS1_11comp_targetILNS1_3genE0ELNS1_11target_archE4294967295ELNS1_3gpuE0ELNS1_3repE0EEENS1_30default_config_static_selectorELNS0_4arch9wavefront6targetE0EEEvT1_ ; -- Begin function _ZN7rocprim17ROCPRIM_400000_NS6detail17trampoline_kernelINS0_14default_configENS1_25partition_config_selectorILNS1_17partition_subalgoE6EN6thrust23THRUST_200600_302600_NS5tupleIiiNS7_9null_typeES9_S9_S9_S9_S9_S9_S9_EENS0_10empty_typeEbEEZZNS1_14partition_implILS5_6ELb0ES3_mNS7_12zip_iteratorINS8_INS7_6detail15normal_iteratorINS7_10device_ptrIiEEEESJ_S9_S9_S9_S9_S9_S9_S9_S9_EEEEPSB_SM_NS0_5tupleIJNSE_INS8_ISJ_NS7_16discard_iteratorINS7_11use_defaultEEES9_S9_S9_S9_S9_S9_S9_S9_EEEESB_EEENSN_IJSM_SM_EEESB_PlJNSF_9not_fun_tINSF_14equal_to_valueISA_EEEEEEE10hipError_tPvRmT3_T4_T5_T6_T7_T9_mT8_P12ihipStream_tbDpT10_ENKUlT_T0_E_clISt17integral_constantIbLb0EES1J_EEDaS1E_S1F_EUlS1E_E_NS1_11comp_targetILNS1_3genE0ELNS1_11target_archE4294967295ELNS1_3gpuE0ELNS1_3repE0EEENS1_30default_config_static_selectorELNS0_4arch9wavefront6targetE0EEEvT1_
	.globl	_ZN7rocprim17ROCPRIM_400000_NS6detail17trampoline_kernelINS0_14default_configENS1_25partition_config_selectorILNS1_17partition_subalgoE6EN6thrust23THRUST_200600_302600_NS5tupleIiiNS7_9null_typeES9_S9_S9_S9_S9_S9_S9_EENS0_10empty_typeEbEEZZNS1_14partition_implILS5_6ELb0ES3_mNS7_12zip_iteratorINS8_INS7_6detail15normal_iteratorINS7_10device_ptrIiEEEESJ_S9_S9_S9_S9_S9_S9_S9_S9_EEEEPSB_SM_NS0_5tupleIJNSE_INS8_ISJ_NS7_16discard_iteratorINS7_11use_defaultEEES9_S9_S9_S9_S9_S9_S9_S9_EEEESB_EEENSN_IJSM_SM_EEESB_PlJNSF_9not_fun_tINSF_14equal_to_valueISA_EEEEEEE10hipError_tPvRmT3_T4_T5_T6_T7_T9_mT8_P12ihipStream_tbDpT10_ENKUlT_T0_E_clISt17integral_constantIbLb0EES1J_EEDaS1E_S1F_EUlS1E_E_NS1_11comp_targetILNS1_3genE0ELNS1_11target_archE4294967295ELNS1_3gpuE0ELNS1_3repE0EEENS1_30default_config_static_selectorELNS0_4arch9wavefront6targetE0EEEvT1_
	.p2align	8
	.type	_ZN7rocprim17ROCPRIM_400000_NS6detail17trampoline_kernelINS0_14default_configENS1_25partition_config_selectorILNS1_17partition_subalgoE6EN6thrust23THRUST_200600_302600_NS5tupleIiiNS7_9null_typeES9_S9_S9_S9_S9_S9_S9_EENS0_10empty_typeEbEEZZNS1_14partition_implILS5_6ELb0ES3_mNS7_12zip_iteratorINS8_INS7_6detail15normal_iteratorINS7_10device_ptrIiEEEESJ_S9_S9_S9_S9_S9_S9_S9_S9_EEEEPSB_SM_NS0_5tupleIJNSE_INS8_ISJ_NS7_16discard_iteratorINS7_11use_defaultEEES9_S9_S9_S9_S9_S9_S9_S9_EEEESB_EEENSN_IJSM_SM_EEESB_PlJNSF_9not_fun_tINSF_14equal_to_valueISA_EEEEEEE10hipError_tPvRmT3_T4_T5_T6_T7_T9_mT8_P12ihipStream_tbDpT10_ENKUlT_T0_E_clISt17integral_constantIbLb0EES1J_EEDaS1E_S1F_EUlS1E_E_NS1_11comp_targetILNS1_3genE0ELNS1_11target_archE4294967295ELNS1_3gpuE0ELNS1_3repE0EEENS1_30default_config_static_selectorELNS0_4arch9wavefront6targetE0EEEvT1_,@function
_ZN7rocprim17ROCPRIM_400000_NS6detail17trampoline_kernelINS0_14default_configENS1_25partition_config_selectorILNS1_17partition_subalgoE6EN6thrust23THRUST_200600_302600_NS5tupleIiiNS7_9null_typeES9_S9_S9_S9_S9_S9_S9_EENS0_10empty_typeEbEEZZNS1_14partition_implILS5_6ELb0ES3_mNS7_12zip_iteratorINS8_INS7_6detail15normal_iteratorINS7_10device_ptrIiEEEESJ_S9_S9_S9_S9_S9_S9_S9_S9_EEEEPSB_SM_NS0_5tupleIJNSE_INS8_ISJ_NS7_16discard_iteratorINS7_11use_defaultEEES9_S9_S9_S9_S9_S9_S9_S9_EEEESB_EEENSN_IJSM_SM_EEESB_PlJNSF_9not_fun_tINSF_14equal_to_valueISA_EEEEEEE10hipError_tPvRmT3_T4_T5_T6_T7_T9_mT8_P12ihipStream_tbDpT10_ENKUlT_T0_E_clISt17integral_constantIbLb0EES1J_EEDaS1E_S1F_EUlS1E_E_NS1_11comp_targetILNS1_3genE0ELNS1_11target_archE4294967295ELNS1_3gpuE0ELNS1_3repE0EEENS1_30default_config_static_selectorELNS0_4arch9wavefront6targetE0EEEvT1_: ; @_ZN7rocprim17ROCPRIM_400000_NS6detail17trampoline_kernelINS0_14default_configENS1_25partition_config_selectorILNS1_17partition_subalgoE6EN6thrust23THRUST_200600_302600_NS5tupleIiiNS7_9null_typeES9_S9_S9_S9_S9_S9_S9_EENS0_10empty_typeEbEEZZNS1_14partition_implILS5_6ELb0ES3_mNS7_12zip_iteratorINS8_INS7_6detail15normal_iteratorINS7_10device_ptrIiEEEESJ_S9_S9_S9_S9_S9_S9_S9_S9_EEEEPSB_SM_NS0_5tupleIJNSE_INS8_ISJ_NS7_16discard_iteratorINS7_11use_defaultEEES9_S9_S9_S9_S9_S9_S9_S9_EEEESB_EEENSN_IJSM_SM_EEESB_PlJNSF_9not_fun_tINSF_14equal_to_valueISA_EEEEEEE10hipError_tPvRmT3_T4_T5_T6_T7_T9_mT8_P12ihipStream_tbDpT10_ENKUlT_T0_E_clISt17integral_constantIbLb0EES1J_EEDaS1E_S1F_EUlS1E_E_NS1_11comp_targetILNS1_3genE0ELNS1_11target_archE4294967295ELNS1_3gpuE0ELNS1_3repE0EEENS1_30default_config_static_selectorELNS0_4arch9wavefront6targetE0EEEvT1_
; %bb.0:
	.section	.rodata,"a",@progbits
	.p2align	6, 0x0
	.amdhsa_kernel _ZN7rocprim17ROCPRIM_400000_NS6detail17trampoline_kernelINS0_14default_configENS1_25partition_config_selectorILNS1_17partition_subalgoE6EN6thrust23THRUST_200600_302600_NS5tupleIiiNS7_9null_typeES9_S9_S9_S9_S9_S9_S9_EENS0_10empty_typeEbEEZZNS1_14partition_implILS5_6ELb0ES3_mNS7_12zip_iteratorINS8_INS7_6detail15normal_iteratorINS7_10device_ptrIiEEEESJ_S9_S9_S9_S9_S9_S9_S9_S9_EEEEPSB_SM_NS0_5tupleIJNSE_INS8_ISJ_NS7_16discard_iteratorINS7_11use_defaultEEES9_S9_S9_S9_S9_S9_S9_S9_EEEESB_EEENSN_IJSM_SM_EEESB_PlJNSF_9not_fun_tINSF_14equal_to_valueISA_EEEEEEE10hipError_tPvRmT3_T4_T5_T6_T7_T9_mT8_P12ihipStream_tbDpT10_ENKUlT_T0_E_clISt17integral_constantIbLb0EES1J_EEDaS1E_S1F_EUlS1E_E_NS1_11comp_targetILNS1_3genE0ELNS1_11target_archE4294967295ELNS1_3gpuE0ELNS1_3repE0EEENS1_30default_config_static_selectorELNS0_4arch9wavefront6targetE0EEEvT1_
		.amdhsa_group_segment_fixed_size 0
		.amdhsa_private_segment_fixed_size 0
		.amdhsa_kernarg_size 144
		.amdhsa_user_sgpr_count 2
		.amdhsa_user_sgpr_dispatch_ptr 0
		.amdhsa_user_sgpr_queue_ptr 0
		.amdhsa_user_sgpr_kernarg_segment_ptr 1
		.amdhsa_user_sgpr_dispatch_id 0
		.amdhsa_user_sgpr_private_segment_size 0
		.amdhsa_wavefront_size32 1
		.amdhsa_uses_dynamic_stack 0
		.amdhsa_enable_private_segment 0
		.amdhsa_system_sgpr_workgroup_id_x 1
		.amdhsa_system_sgpr_workgroup_id_y 0
		.amdhsa_system_sgpr_workgroup_id_z 0
		.amdhsa_system_sgpr_workgroup_info 0
		.amdhsa_system_vgpr_workitem_id 0
		.amdhsa_next_free_vgpr 1
		.amdhsa_next_free_sgpr 1
		.amdhsa_reserve_vcc 0
		.amdhsa_float_round_mode_32 0
		.amdhsa_float_round_mode_16_64 0
		.amdhsa_float_denorm_mode_32 3
		.amdhsa_float_denorm_mode_16_64 3
		.amdhsa_fp16_overflow 0
		.amdhsa_workgroup_processor_mode 1
		.amdhsa_memory_ordered 1
		.amdhsa_forward_progress 1
		.amdhsa_inst_pref_size 0
		.amdhsa_round_robin_scheduling 0
		.amdhsa_exception_fp_ieee_invalid_op 0
		.amdhsa_exception_fp_denorm_src 0
		.amdhsa_exception_fp_ieee_div_zero 0
		.amdhsa_exception_fp_ieee_overflow 0
		.amdhsa_exception_fp_ieee_underflow 0
		.amdhsa_exception_fp_ieee_inexact 0
		.amdhsa_exception_int_div_zero 0
	.end_amdhsa_kernel
	.section	.text._ZN7rocprim17ROCPRIM_400000_NS6detail17trampoline_kernelINS0_14default_configENS1_25partition_config_selectorILNS1_17partition_subalgoE6EN6thrust23THRUST_200600_302600_NS5tupleIiiNS7_9null_typeES9_S9_S9_S9_S9_S9_S9_EENS0_10empty_typeEbEEZZNS1_14partition_implILS5_6ELb0ES3_mNS7_12zip_iteratorINS8_INS7_6detail15normal_iteratorINS7_10device_ptrIiEEEESJ_S9_S9_S9_S9_S9_S9_S9_S9_EEEEPSB_SM_NS0_5tupleIJNSE_INS8_ISJ_NS7_16discard_iteratorINS7_11use_defaultEEES9_S9_S9_S9_S9_S9_S9_S9_EEEESB_EEENSN_IJSM_SM_EEESB_PlJNSF_9not_fun_tINSF_14equal_to_valueISA_EEEEEEE10hipError_tPvRmT3_T4_T5_T6_T7_T9_mT8_P12ihipStream_tbDpT10_ENKUlT_T0_E_clISt17integral_constantIbLb0EES1J_EEDaS1E_S1F_EUlS1E_E_NS1_11comp_targetILNS1_3genE0ELNS1_11target_archE4294967295ELNS1_3gpuE0ELNS1_3repE0EEENS1_30default_config_static_selectorELNS0_4arch9wavefront6targetE0EEEvT1_,"axG",@progbits,_ZN7rocprim17ROCPRIM_400000_NS6detail17trampoline_kernelINS0_14default_configENS1_25partition_config_selectorILNS1_17partition_subalgoE6EN6thrust23THRUST_200600_302600_NS5tupleIiiNS7_9null_typeES9_S9_S9_S9_S9_S9_S9_EENS0_10empty_typeEbEEZZNS1_14partition_implILS5_6ELb0ES3_mNS7_12zip_iteratorINS8_INS7_6detail15normal_iteratorINS7_10device_ptrIiEEEESJ_S9_S9_S9_S9_S9_S9_S9_S9_EEEEPSB_SM_NS0_5tupleIJNSE_INS8_ISJ_NS7_16discard_iteratorINS7_11use_defaultEEES9_S9_S9_S9_S9_S9_S9_S9_EEEESB_EEENSN_IJSM_SM_EEESB_PlJNSF_9not_fun_tINSF_14equal_to_valueISA_EEEEEEE10hipError_tPvRmT3_T4_T5_T6_T7_T9_mT8_P12ihipStream_tbDpT10_ENKUlT_T0_E_clISt17integral_constantIbLb0EES1J_EEDaS1E_S1F_EUlS1E_E_NS1_11comp_targetILNS1_3genE0ELNS1_11target_archE4294967295ELNS1_3gpuE0ELNS1_3repE0EEENS1_30default_config_static_selectorELNS0_4arch9wavefront6targetE0EEEvT1_,comdat
.Lfunc_end2013:
	.size	_ZN7rocprim17ROCPRIM_400000_NS6detail17trampoline_kernelINS0_14default_configENS1_25partition_config_selectorILNS1_17partition_subalgoE6EN6thrust23THRUST_200600_302600_NS5tupleIiiNS7_9null_typeES9_S9_S9_S9_S9_S9_S9_EENS0_10empty_typeEbEEZZNS1_14partition_implILS5_6ELb0ES3_mNS7_12zip_iteratorINS8_INS7_6detail15normal_iteratorINS7_10device_ptrIiEEEESJ_S9_S9_S9_S9_S9_S9_S9_S9_EEEEPSB_SM_NS0_5tupleIJNSE_INS8_ISJ_NS7_16discard_iteratorINS7_11use_defaultEEES9_S9_S9_S9_S9_S9_S9_S9_EEEESB_EEENSN_IJSM_SM_EEESB_PlJNSF_9not_fun_tINSF_14equal_to_valueISA_EEEEEEE10hipError_tPvRmT3_T4_T5_T6_T7_T9_mT8_P12ihipStream_tbDpT10_ENKUlT_T0_E_clISt17integral_constantIbLb0EES1J_EEDaS1E_S1F_EUlS1E_E_NS1_11comp_targetILNS1_3genE0ELNS1_11target_archE4294967295ELNS1_3gpuE0ELNS1_3repE0EEENS1_30default_config_static_selectorELNS0_4arch9wavefront6targetE0EEEvT1_, .Lfunc_end2013-_ZN7rocprim17ROCPRIM_400000_NS6detail17trampoline_kernelINS0_14default_configENS1_25partition_config_selectorILNS1_17partition_subalgoE6EN6thrust23THRUST_200600_302600_NS5tupleIiiNS7_9null_typeES9_S9_S9_S9_S9_S9_S9_EENS0_10empty_typeEbEEZZNS1_14partition_implILS5_6ELb0ES3_mNS7_12zip_iteratorINS8_INS7_6detail15normal_iteratorINS7_10device_ptrIiEEEESJ_S9_S9_S9_S9_S9_S9_S9_S9_EEEEPSB_SM_NS0_5tupleIJNSE_INS8_ISJ_NS7_16discard_iteratorINS7_11use_defaultEEES9_S9_S9_S9_S9_S9_S9_S9_EEEESB_EEENSN_IJSM_SM_EEESB_PlJNSF_9not_fun_tINSF_14equal_to_valueISA_EEEEEEE10hipError_tPvRmT3_T4_T5_T6_T7_T9_mT8_P12ihipStream_tbDpT10_ENKUlT_T0_E_clISt17integral_constantIbLb0EES1J_EEDaS1E_S1F_EUlS1E_E_NS1_11comp_targetILNS1_3genE0ELNS1_11target_archE4294967295ELNS1_3gpuE0ELNS1_3repE0EEENS1_30default_config_static_selectorELNS0_4arch9wavefront6targetE0EEEvT1_
                                        ; -- End function
	.set _ZN7rocprim17ROCPRIM_400000_NS6detail17trampoline_kernelINS0_14default_configENS1_25partition_config_selectorILNS1_17partition_subalgoE6EN6thrust23THRUST_200600_302600_NS5tupleIiiNS7_9null_typeES9_S9_S9_S9_S9_S9_S9_EENS0_10empty_typeEbEEZZNS1_14partition_implILS5_6ELb0ES3_mNS7_12zip_iteratorINS8_INS7_6detail15normal_iteratorINS7_10device_ptrIiEEEESJ_S9_S9_S9_S9_S9_S9_S9_S9_EEEEPSB_SM_NS0_5tupleIJNSE_INS8_ISJ_NS7_16discard_iteratorINS7_11use_defaultEEES9_S9_S9_S9_S9_S9_S9_S9_EEEESB_EEENSN_IJSM_SM_EEESB_PlJNSF_9not_fun_tINSF_14equal_to_valueISA_EEEEEEE10hipError_tPvRmT3_T4_T5_T6_T7_T9_mT8_P12ihipStream_tbDpT10_ENKUlT_T0_E_clISt17integral_constantIbLb0EES1J_EEDaS1E_S1F_EUlS1E_E_NS1_11comp_targetILNS1_3genE0ELNS1_11target_archE4294967295ELNS1_3gpuE0ELNS1_3repE0EEENS1_30default_config_static_selectorELNS0_4arch9wavefront6targetE0EEEvT1_.num_vgpr, 0
	.set _ZN7rocprim17ROCPRIM_400000_NS6detail17trampoline_kernelINS0_14default_configENS1_25partition_config_selectorILNS1_17partition_subalgoE6EN6thrust23THRUST_200600_302600_NS5tupleIiiNS7_9null_typeES9_S9_S9_S9_S9_S9_S9_EENS0_10empty_typeEbEEZZNS1_14partition_implILS5_6ELb0ES3_mNS7_12zip_iteratorINS8_INS7_6detail15normal_iteratorINS7_10device_ptrIiEEEESJ_S9_S9_S9_S9_S9_S9_S9_S9_EEEEPSB_SM_NS0_5tupleIJNSE_INS8_ISJ_NS7_16discard_iteratorINS7_11use_defaultEEES9_S9_S9_S9_S9_S9_S9_S9_EEEESB_EEENSN_IJSM_SM_EEESB_PlJNSF_9not_fun_tINSF_14equal_to_valueISA_EEEEEEE10hipError_tPvRmT3_T4_T5_T6_T7_T9_mT8_P12ihipStream_tbDpT10_ENKUlT_T0_E_clISt17integral_constantIbLb0EES1J_EEDaS1E_S1F_EUlS1E_E_NS1_11comp_targetILNS1_3genE0ELNS1_11target_archE4294967295ELNS1_3gpuE0ELNS1_3repE0EEENS1_30default_config_static_selectorELNS0_4arch9wavefront6targetE0EEEvT1_.num_agpr, 0
	.set _ZN7rocprim17ROCPRIM_400000_NS6detail17trampoline_kernelINS0_14default_configENS1_25partition_config_selectorILNS1_17partition_subalgoE6EN6thrust23THRUST_200600_302600_NS5tupleIiiNS7_9null_typeES9_S9_S9_S9_S9_S9_S9_EENS0_10empty_typeEbEEZZNS1_14partition_implILS5_6ELb0ES3_mNS7_12zip_iteratorINS8_INS7_6detail15normal_iteratorINS7_10device_ptrIiEEEESJ_S9_S9_S9_S9_S9_S9_S9_S9_EEEEPSB_SM_NS0_5tupleIJNSE_INS8_ISJ_NS7_16discard_iteratorINS7_11use_defaultEEES9_S9_S9_S9_S9_S9_S9_S9_EEEESB_EEENSN_IJSM_SM_EEESB_PlJNSF_9not_fun_tINSF_14equal_to_valueISA_EEEEEEE10hipError_tPvRmT3_T4_T5_T6_T7_T9_mT8_P12ihipStream_tbDpT10_ENKUlT_T0_E_clISt17integral_constantIbLb0EES1J_EEDaS1E_S1F_EUlS1E_E_NS1_11comp_targetILNS1_3genE0ELNS1_11target_archE4294967295ELNS1_3gpuE0ELNS1_3repE0EEENS1_30default_config_static_selectorELNS0_4arch9wavefront6targetE0EEEvT1_.numbered_sgpr, 0
	.set _ZN7rocprim17ROCPRIM_400000_NS6detail17trampoline_kernelINS0_14default_configENS1_25partition_config_selectorILNS1_17partition_subalgoE6EN6thrust23THRUST_200600_302600_NS5tupleIiiNS7_9null_typeES9_S9_S9_S9_S9_S9_S9_EENS0_10empty_typeEbEEZZNS1_14partition_implILS5_6ELb0ES3_mNS7_12zip_iteratorINS8_INS7_6detail15normal_iteratorINS7_10device_ptrIiEEEESJ_S9_S9_S9_S9_S9_S9_S9_S9_EEEEPSB_SM_NS0_5tupleIJNSE_INS8_ISJ_NS7_16discard_iteratorINS7_11use_defaultEEES9_S9_S9_S9_S9_S9_S9_S9_EEEESB_EEENSN_IJSM_SM_EEESB_PlJNSF_9not_fun_tINSF_14equal_to_valueISA_EEEEEEE10hipError_tPvRmT3_T4_T5_T6_T7_T9_mT8_P12ihipStream_tbDpT10_ENKUlT_T0_E_clISt17integral_constantIbLb0EES1J_EEDaS1E_S1F_EUlS1E_E_NS1_11comp_targetILNS1_3genE0ELNS1_11target_archE4294967295ELNS1_3gpuE0ELNS1_3repE0EEENS1_30default_config_static_selectorELNS0_4arch9wavefront6targetE0EEEvT1_.num_named_barrier, 0
	.set _ZN7rocprim17ROCPRIM_400000_NS6detail17trampoline_kernelINS0_14default_configENS1_25partition_config_selectorILNS1_17partition_subalgoE6EN6thrust23THRUST_200600_302600_NS5tupleIiiNS7_9null_typeES9_S9_S9_S9_S9_S9_S9_EENS0_10empty_typeEbEEZZNS1_14partition_implILS5_6ELb0ES3_mNS7_12zip_iteratorINS8_INS7_6detail15normal_iteratorINS7_10device_ptrIiEEEESJ_S9_S9_S9_S9_S9_S9_S9_S9_EEEEPSB_SM_NS0_5tupleIJNSE_INS8_ISJ_NS7_16discard_iteratorINS7_11use_defaultEEES9_S9_S9_S9_S9_S9_S9_S9_EEEESB_EEENSN_IJSM_SM_EEESB_PlJNSF_9not_fun_tINSF_14equal_to_valueISA_EEEEEEE10hipError_tPvRmT3_T4_T5_T6_T7_T9_mT8_P12ihipStream_tbDpT10_ENKUlT_T0_E_clISt17integral_constantIbLb0EES1J_EEDaS1E_S1F_EUlS1E_E_NS1_11comp_targetILNS1_3genE0ELNS1_11target_archE4294967295ELNS1_3gpuE0ELNS1_3repE0EEENS1_30default_config_static_selectorELNS0_4arch9wavefront6targetE0EEEvT1_.private_seg_size, 0
	.set _ZN7rocprim17ROCPRIM_400000_NS6detail17trampoline_kernelINS0_14default_configENS1_25partition_config_selectorILNS1_17partition_subalgoE6EN6thrust23THRUST_200600_302600_NS5tupleIiiNS7_9null_typeES9_S9_S9_S9_S9_S9_S9_EENS0_10empty_typeEbEEZZNS1_14partition_implILS5_6ELb0ES3_mNS7_12zip_iteratorINS8_INS7_6detail15normal_iteratorINS7_10device_ptrIiEEEESJ_S9_S9_S9_S9_S9_S9_S9_S9_EEEEPSB_SM_NS0_5tupleIJNSE_INS8_ISJ_NS7_16discard_iteratorINS7_11use_defaultEEES9_S9_S9_S9_S9_S9_S9_S9_EEEESB_EEENSN_IJSM_SM_EEESB_PlJNSF_9not_fun_tINSF_14equal_to_valueISA_EEEEEEE10hipError_tPvRmT3_T4_T5_T6_T7_T9_mT8_P12ihipStream_tbDpT10_ENKUlT_T0_E_clISt17integral_constantIbLb0EES1J_EEDaS1E_S1F_EUlS1E_E_NS1_11comp_targetILNS1_3genE0ELNS1_11target_archE4294967295ELNS1_3gpuE0ELNS1_3repE0EEENS1_30default_config_static_selectorELNS0_4arch9wavefront6targetE0EEEvT1_.uses_vcc, 0
	.set _ZN7rocprim17ROCPRIM_400000_NS6detail17trampoline_kernelINS0_14default_configENS1_25partition_config_selectorILNS1_17partition_subalgoE6EN6thrust23THRUST_200600_302600_NS5tupleIiiNS7_9null_typeES9_S9_S9_S9_S9_S9_S9_EENS0_10empty_typeEbEEZZNS1_14partition_implILS5_6ELb0ES3_mNS7_12zip_iteratorINS8_INS7_6detail15normal_iteratorINS7_10device_ptrIiEEEESJ_S9_S9_S9_S9_S9_S9_S9_S9_EEEEPSB_SM_NS0_5tupleIJNSE_INS8_ISJ_NS7_16discard_iteratorINS7_11use_defaultEEES9_S9_S9_S9_S9_S9_S9_S9_EEEESB_EEENSN_IJSM_SM_EEESB_PlJNSF_9not_fun_tINSF_14equal_to_valueISA_EEEEEEE10hipError_tPvRmT3_T4_T5_T6_T7_T9_mT8_P12ihipStream_tbDpT10_ENKUlT_T0_E_clISt17integral_constantIbLb0EES1J_EEDaS1E_S1F_EUlS1E_E_NS1_11comp_targetILNS1_3genE0ELNS1_11target_archE4294967295ELNS1_3gpuE0ELNS1_3repE0EEENS1_30default_config_static_selectorELNS0_4arch9wavefront6targetE0EEEvT1_.uses_flat_scratch, 0
	.set _ZN7rocprim17ROCPRIM_400000_NS6detail17trampoline_kernelINS0_14default_configENS1_25partition_config_selectorILNS1_17partition_subalgoE6EN6thrust23THRUST_200600_302600_NS5tupleIiiNS7_9null_typeES9_S9_S9_S9_S9_S9_S9_EENS0_10empty_typeEbEEZZNS1_14partition_implILS5_6ELb0ES3_mNS7_12zip_iteratorINS8_INS7_6detail15normal_iteratorINS7_10device_ptrIiEEEESJ_S9_S9_S9_S9_S9_S9_S9_S9_EEEEPSB_SM_NS0_5tupleIJNSE_INS8_ISJ_NS7_16discard_iteratorINS7_11use_defaultEEES9_S9_S9_S9_S9_S9_S9_S9_EEEESB_EEENSN_IJSM_SM_EEESB_PlJNSF_9not_fun_tINSF_14equal_to_valueISA_EEEEEEE10hipError_tPvRmT3_T4_T5_T6_T7_T9_mT8_P12ihipStream_tbDpT10_ENKUlT_T0_E_clISt17integral_constantIbLb0EES1J_EEDaS1E_S1F_EUlS1E_E_NS1_11comp_targetILNS1_3genE0ELNS1_11target_archE4294967295ELNS1_3gpuE0ELNS1_3repE0EEENS1_30default_config_static_selectorELNS0_4arch9wavefront6targetE0EEEvT1_.has_dyn_sized_stack, 0
	.set _ZN7rocprim17ROCPRIM_400000_NS6detail17trampoline_kernelINS0_14default_configENS1_25partition_config_selectorILNS1_17partition_subalgoE6EN6thrust23THRUST_200600_302600_NS5tupleIiiNS7_9null_typeES9_S9_S9_S9_S9_S9_S9_EENS0_10empty_typeEbEEZZNS1_14partition_implILS5_6ELb0ES3_mNS7_12zip_iteratorINS8_INS7_6detail15normal_iteratorINS7_10device_ptrIiEEEESJ_S9_S9_S9_S9_S9_S9_S9_S9_EEEEPSB_SM_NS0_5tupleIJNSE_INS8_ISJ_NS7_16discard_iteratorINS7_11use_defaultEEES9_S9_S9_S9_S9_S9_S9_S9_EEEESB_EEENSN_IJSM_SM_EEESB_PlJNSF_9not_fun_tINSF_14equal_to_valueISA_EEEEEEE10hipError_tPvRmT3_T4_T5_T6_T7_T9_mT8_P12ihipStream_tbDpT10_ENKUlT_T0_E_clISt17integral_constantIbLb0EES1J_EEDaS1E_S1F_EUlS1E_E_NS1_11comp_targetILNS1_3genE0ELNS1_11target_archE4294967295ELNS1_3gpuE0ELNS1_3repE0EEENS1_30default_config_static_selectorELNS0_4arch9wavefront6targetE0EEEvT1_.has_recursion, 0
	.set _ZN7rocprim17ROCPRIM_400000_NS6detail17trampoline_kernelINS0_14default_configENS1_25partition_config_selectorILNS1_17partition_subalgoE6EN6thrust23THRUST_200600_302600_NS5tupleIiiNS7_9null_typeES9_S9_S9_S9_S9_S9_S9_EENS0_10empty_typeEbEEZZNS1_14partition_implILS5_6ELb0ES3_mNS7_12zip_iteratorINS8_INS7_6detail15normal_iteratorINS7_10device_ptrIiEEEESJ_S9_S9_S9_S9_S9_S9_S9_S9_EEEEPSB_SM_NS0_5tupleIJNSE_INS8_ISJ_NS7_16discard_iteratorINS7_11use_defaultEEES9_S9_S9_S9_S9_S9_S9_S9_EEEESB_EEENSN_IJSM_SM_EEESB_PlJNSF_9not_fun_tINSF_14equal_to_valueISA_EEEEEEE10hipError_tPvRmT3_T4_T5_T6_T7_T9_mT8_P12ihipStream_tbDpT10_ENKUlT_T0_E_clISt17integral_constantIbLb0EES1J_EEDaS1E_S1F_EUlS1E_E_NS1_11comp_targetILNS1_3genE0ELNS1_11target_archE4294967295ELNS1_3gpuE0ELNS1_3repE0EEENS1_30default_config_static_selectorELNS0_4arch9wavefront6targetE0EEEvT1_.has_indirect_call, 0
	.section	.AMDGPU.csdata,"",@progbits
; Kernel info:
; codeLenInByte = 0
; TotalNumSgprs: 0
; NumVgprs: 0
; ScratchSize: 0
; MemoryBound: 0
; FloatMode: 240
; IeeeMode: 1
; LDSByteSize: 0 bytes/workgroup (compile time only)
; SGPRBlocks: 0
; VGPRBlocks: 0
; NumSGPRsForWavesPerEU: 1
; NumVGPRsForWavesPerEU: 1
; Occupancy: 16
; WaveLimiterHint : 0
; COMPUTE_PGM_RSRC2:SCRATCH_EN: 0
; COMPUTE_PGM_RSRC2:USER_SGPR: 2
; COMPUTE_PGM_RSRC2:TRAP_HANDLER: 0
; COMPUTE_PGM_RSRC2:TGID_X_EN: 1
; COMPUTE_PGM_RSRC2:TGID_Y_EN: 0
; COMPUTE_PGM_RSRC2:TGID_Z_EN: 0
; COMPUTE_PGM_RSRC2:TIDIG_COMP_CNT: 0
	.section	.text._ZN7rocprim17ROCPRIM_400000_NS6detail17trampoline_kernelINS0_14default_configENS1_25partition_config_selectorILNS1_17partition_subalgoE6EN6thrust23THRUST_200600_302600_NS5tupleIiiNS7_9null_typeES9_S9_S9_S9_S9_S9_S9_EENS0_10empty_typeEbEEZZNS1_14partition_implILS5_6ELb0ES3_mNS7_12zip_iteratorINS8_INS7_6detail15normal_iteratorINS7_10device_ptrIiEEEESJ_S9_S9_S9_S9_S9_S9_S9_S9_EEEEPSB_SM_NS0_5tupleIJNSE_INS8_ISJ_NS7_16discard_iteratorINS7_11use_defaultEEES9_S9_S9_S9_S9_S9_S9_S9_EEEESB_EEENSN_IJSM_SM_EEESB_PlJNSF_9not_fun_tINSF_14equal_to_valueISA_EEEEEEE10hipError_tPvRmT3_T4_T5_T6_T7_T9_mT8_P12ihipStream_tbDpT10_ENKUlT_T0_E_clISt17integral_constantIbLb0EES1J_EEDaS1E_S1F_EUlS1E_E_NS1_11comp_targetILNS1_3genE5ELNS1_11target_archE942ELNS1_3gpuE9ELNS1_3repE0EEENS1_30default_config_static_selectorELNS0_4arch9wavefront6targetE0EEEvT1_,"axG",@progbits,_ZN7rocprim17ROCPRIM_400000_NS6detail17trampoline_kernelINS0_14default_configENS1_25partition_config_selectorILNS1_17partition_subalgoE6EN6thrust23THRUST_200600_302600_NS5tupleIiiNS7_9null_typeES9_S9_S9_S9_S9_S9_S9_EENS0_10empty_typeEbEEZZNS1_14partition_implILS5_6ELb0ES3_mNS7_12zip_iteratorINS8_INS7_6detail15normal_iteratorINS7_10device_ptrIiEEEESJ_S9_S9_S9_S9_S9_S9_S9_S9_EEEEPSB_SM_NS0_5tupleIJNSE_INS8_ISJ_NS7_16discard_iteratorINS7_11use_defaultEEES9_S9_S9_S9_S9_S9_S9_S9_EEEESB_EEENSN_IJSM_SM_EEESB_PlJNSF_9not_fun_tINSF_14equal_to_valueISA_EEEEEEE10hipError_tPvRmT3_T4_T5_T6_T7_T9_mT8_P12ihipStream_tbDpT10_ENKUlT_T0_E_clISt17integral_constantIbLb0EES1J_EEDaS1E_S1F_EUlS1E_E_NS1_11comp_targetILNS1_3genE5ELNS1_11target_archE942ELNS1_3gpuE9ELNS1_3repE0EEENS1_30default_config_static_selectorELNS0_4arch9wavefront6targetE0EEEvT1_,comdat
	.protected	_ZN7rocprim17ROCPRIM_400000_NS6detail17trampoline_kernelINS0_14default_configENS1_25partition_config_selectorILNS1_17partition_subalgoE6EN6thrust23THRUST_200600_302600_NS5tupleIiiNS7_9null_typeES9_S9_S9_S9_S9_S9_S9_EENS0_10empty_typeEbEEZZNS1_14partition_implILS5_6ELb0ES3_mNS7_12zip_iteratorINS8_INS7_6detail15normal_iteratorINS7_10device_ptrIiEEEESJ_S9_S9_S9_S9_S9_S9_S9_S9_EEEEPSB_SM_NS0_5tupleIJNSE_INS8_ISJ_NS7_16discard_iteratorINS7_11use_defaultEEES9_S9_S9_S9_S9_S9_S9_S9_EEEESB_EEENSN_IJSM_SM_EEESB_PlJNSF_9not_fun_tINSF_14equal_to_valueISA_EEEEEEE10hipError_tPvRmT3_T4_T5_T6_T7_T9_mT8_P12ihipStream_tbDpT10_ENKUlT_T0_E_clISt17integral_constantIbLb0EES1J_EEDaS1E_S1F_EUlS1E_E_NS1_11comp_targetILNS1_3genE5ELNS1_11target_archE942ELNS1_3gpuE9ELNS1_3repE0EEENS1_30default_config_static_selectorELNS0_4arch9wavefront6targetE0EEEvT1_ ; -- Begin function _ZN7rocprim17ROCPRIM_400000_NS6detail17trampoline_kernelINS0_14default_configENS1_25partition_config_selectorILNS1_17partition_subalgoE6EN6thrust23THRUST_200600_302600_NS5tupleIiiNS7_9null_typeES9_S9_S9_S9_S9_S9_S9_EENS0_10empty_typeEbEEZZNS1_14partition_implILS5_6ELb0ES3_mNS7_12zip_iteratorINS8_INS7_6detail15normal_iteratorINS7_10device_ptrIiEEEESJ_S9_S9_S9_S9_S9_S9_S9_S9_EEEEPSB_SM_NS0_5tupleIJNSE_INS8_ISJ_NS7_16discard_iteratorINS7_11use_defaultEEES9_S9_S9_S9_S9_S9_S9_S9_EEEESB_EEENSN_IJSM_SM_EEESB_PlJNSF_9not_fun_tINSF_14equal_to_valueISA_EEEEEEE10hipError_tPvRmT3_T4_T5_T6_T7_T9_mT8_P12ihipStream_tbDpT10_ENKUlT_T0_E_clISt17integral_constantIbLb0EES1J_EEDaS1E_S1F_EUlS1E_E_NS1_11comp_targetILNS1_3genE5ELNS1_11target_archE942ELNS1_3gpuE9ELNS1_3repE0EEENS1_30default_config_static_selectorELNS0_4arch9wavefront6targetE0EEEvT1_
	.globl	_ZN7rocprim17ROCPRIM_400000_NS6detail17trampoline_kernelINS0_14default_configENS1_25partition_config_selectorILNS1_17partition_subalgoE6EN6thrust23THRUST_200600_302600_NS5tupleIiiNS7_9null_typeES9_S9_S9_S9_S9_S9_S9_EENS0_10empty_typeEbEEZZNS1_14partition_implILS5_6ELb0ES3_mNS7_12zip_iteratorINS8_INS7_6detail15normal_iteratorINS7_10device_ptrIiEEEESJ_S9_S9_S9_S9_S9_S9_S9_S9_EEEEPSB_SM_NS0_5tupleIJNSE_INS8_ISJ_NS7_16discard_iteratorINS7_11use_defaultEEES9_S9_S9_S9_S9_S9_S9_S9_EEEESB_EEENSN_IJSM_SM_EEESB_PlJNSF_9not_fun_tINSF_14equal_to_valueISA_EEEEEEE10hipError_tPvRmT3_T4_T5_T6_T7_T9_mT8_P12ihipStream_tbDpT10_ENKUlT_T0_E_clISt17integral_constantIbLb0EES1J_EEDaS1E_S1F_EUlS1E_E_NS1_11comp_targetILNS1_3genE5ELNS1_11target_archE942ELNS1_3gpuE9ELNS1_3repE0EEENS1_30default_config_static_selectorELNS0_4arch9wavefront6targetE0EEEvT1_
	.p2align	8
	.type	_ZN7rocprim17ROCPRIM_400000_NS6detail17trampoline_kernelINS0_14default_configENS1_25partition_config_selectorILNS1_17partition_subalgoE6EN6thrust23THRUST_200600_302600_NS5tupleIiiNS7_9null_typeES9_S9_S9_S9_S9_S9_S9_EENS0_10empty_typeEbEEZZNS1_14partition_implILS5_6ELb0ES3_mNS7_12zip_iteratorINS8_INS7_6detail15normal_iteratorINS7_10device_ptrIiEEEESJ_S9_S9_S9_S9_S9_S9_S9_S9_EEEEPSB_SM_NS0_5tupleIJNSE_INS8_ISJ_NS7_16discard_iteratorINS7_11use_defaultEEES9_S9_S9_S9_S9_S9_S9_S9_EEEESB_EEENSN_IJSM_SM_EEESB_PlJNSF_9not_fun_tINSF_14equal_to_valueISA_EEEEEEE10hipError_tPvRmT3_T4_T5_T6_T7_T9_mT8_P12ihipStream_tbDpT10_ENKUlT_T0_E_clISt17integral_constantIbLb0EES1J_EEDaS1E_S1F_EUlS1E_E_NS1_11comp_targetILNS1_3genE5ELNS1_11target_archE942ELNS1_3gpuE9ELNS1_3repE0EEENS1_30default_config_static_selectorELNS0_4arch9wavefront6targetE0EEEvT1_,@function
_ZN7rocprim17ROCPRIM_400000_NS6detail17trampoline_kernelINS0_14default_configENS1_25partition_config_selectorILNS1_17partition_subalgoE6EN6thrust23THRUST_200600_302600_NS5tupleIiiNS7_9null_typeES9_S9_S9_S9_S9_S9_S9_EENS0_10empty_typeEbEEZZNS1_14partition_implILS5_6ELb0ES3_mNS7_12zip_iteratorINS8_INS7_6detail15normal_iteratorINS7_10device_ptrIiEEEESJ_S9_S9_S9_S9_S9_S9_S9_S9_EEEEPSB_SM_NS0_5tupleIJNSE_INS8_ISJ_NS7_16discard_iteratorINS7_11use_defaultEEES9_S9_S9_S9_S9_S9_S9_S9_EEEESB_EEENSN_IJSM_SM_EEESB_PlJNSF_9not_fun_tINSF_14equal_to_valueISA_EEEEEEE10hipError_tPvRmT3_T4_T5_T6_T7_T9_mT8_P12ihipStream_tbDpT10_ENKUlT_T0_E_clISt17integral_constantIbLb0EES1J_EEDaS1E_S1F_EUlS1E_E_NS1_11comp_targetILNS1_3genE5ELNS1_11target_archE942ELNS1_3gpuE9ELNS1_3repE0EEENS1_30default_config_static_selectorELNS0_4arch9wavefront6targetE0EEEvT1_: ; @_ZN7rocprim17ROCPRIM_400000_NS6detail17trampoline_kernelINS0_14default_configENS1_25partition_config_selectorILNS1_17partition_subalgoE6EN6thrust23THRUST_200600_302600_NS5tupleIiiNS7_9null_typeES9_S9_S9_S9_S9_S9_S9_EENS0_10empty_typeEbEEZZNS1_14partition_implILS5_6ELb0ES3_mNS7_12zip_iteratorINS8_INS7_6detail15normal_iteratorINS7_10device_ptrIiEEEESJ_S9_S9_S9_S9_S9_S9_S9_S9_EEEEPSB_SM_NS0_5tupleIJNSE_INS8_ISJ_NS7_16discard_iteratorINS7_11use_defaultEEES9_S9_S9_S9_S9_S9_S9_S9_EEEESB_EEENSN_IJSM_SM_EEESB_PlJNSF_9not_fun_tINSF_14equal_to_valueISA_EEEEEEE10hipError_tPvRmT3_T4_T5_T6_T7_T9_mT8_P12ihipStream_tbDpT10_ENKUlT_T0_E_clISt17integral_constantIbLb0EES1J_EEDaS1E_S1F_EUlS1E_E_NS1_11comp_targetILNS1_3genE5ELNS1_11target_archE942ELNS1_3gpuE9ELNS1_3repE0EEENS1_30default_config_static_selectorELNS0_4arch9wavefront6targetE0EEEvT1_
; %bb.0:
	.section	.rodata,"a",@progbits
	.p2align	6, 0x0
	.amdhsa_kernel _ZN7rocprim17ROCPRIM_400000_NS6detail17trampoline_kernelINS0_14default_configENS1_25partition_config_selectorILNS1_17partition_subalgoE6EN6thrust23THRUST_200600_302600_NS5tupleIiiNS7_9null_typeES9_S9_S9_S9_S9_S9_S9_EENS0_10empty_typeEbEEZZNS1_14partition_implILS5_6ELb0ES3_mNS7_12zip_iteratorINS8_INS7_6detail15normal_iteratorINS7_10device_ptrIiEEEESJ_S9_S9_S9_S9_S9_S9_S9_S9_EEEEPSB_SM_NS0_5tupleIJNSE_INS8_ISJ_NS7_16discard_iteratorINS7_11use_defaultEEES9_S9_S9_S9_S9_S9_S9_S9_EEEESB_EEENSN_IJSM_SM_EEESB_PlJNSF_9not_fun_tINSF_14equal_to_valueISA_EEEEEEE10hipError_tPvRmT3_T4_T5_T6_T7_T9_mT8_P12ihipStream_tbDpT10_ENKUlT_T0_E_clISt17integral_constantIbLb0EES1J_EEDaS1E_S1F_EUlS1E_E_NS1_11comp_targetILNS1_3genE5ELNS1_11target_archE942ELNS1_3gpuE9ELNS1_3repE0EEENS1_30default_config_static_selectorELNS0_4arch9wavefront6targetE0EEEvT1_
		.amdhsa_group_segment_fixed_size 0
		.amdhsa_private_segment_fixed_size 0
		.amdhsa_kernarg_size 144
		.amdhsa_user_sgpr_count 2
		.amdhsa_user_sgpr_dispatch_ptr 0
		.amdhsa_user_sgpr_queue_ptr 0
		.amdhsa_user_sgpr_kernarg_segment_ptr 1
		.amdhsa_user_sgpr_dispatch_id 0
		.amdhsa_user_sgpr_private_segment_size 0
		.amdhsa_wavefront_size32 1
		.amdhsa_uses_dynamic_stack 0
		.amdhsa_enable_private_segment 0
		.amdhsa_system_sgpr_workgroup_id_x 1
		.amdhsa_system_sgpr_workgroup_id_y 0
		.amdhsa_system_sgpr_workgroup_id_z 0
		.amdhsa_system_sgpr_workgroup_info 0
		.amdhsa_system_vgpr_workitem_id 0
		.amdhsa_next_free_vgpr 1
		.amdhsa_next_free_sgpr 1
		.amdhsa_reserve_vcc 0
		.amdhsa_float_round_mode_32 0
		.amdhsa_float_round_mode_16_64 0
		.amdhsa_float_denorm_mode_32 3
		.amdhsa_float_denorm_mode_16_64 3
		.amdhsa_fp16_overflow 0
		.amdhsa_workgroup_processor_mode 1
		.amdhsa_memory_ordered 1
		.amdhsa_forward_progress 1
		.amdhsa_inst_pref_size 0
		.amdhsa_round_robin_scheduling 0
		.amdhsa_exception_fp_ieee_invalid_op 0
		.amdhsa_exception_fp_denorm_src 0
		.amdhsa_exception_fp_ieee_div_zero 0
		.amdhsa_exception_fp_ieee_overflow 0
		.amdhsa_exception_fp_ieee_underflow 0
		.amdhsa_exception_fp_ieee_inexact 0
		.amdhsa_exception_int_div_zero 0
	.end_amdhsa_kernel
	.section	.text._ZN7rocprim17ROCPRIM_400000_NS6detail17trampoline_kernelINS0_14default_configENS1_25partition_config_selectorILNS1_17partition_subalgoE6EN6thrust23THRUST_200600_302600_NS5tupleIiiNS7_9null_typeES9_S9_S9_S9_S9_S9_S9_EENS0_10empty_typeEbEEZZNS1_14partition_implILS5_6ELb0ES3_mNS7_12zip_iteratorINS8_INS7_6detail15normal_iteratorINS7_10device_ptrIiEEEESJ_S9_S9_S9_S9_S9_S9_S9_S9_EEEEPSB_SM_NS0_5tupleIJNSE_INS8_ISJ_NS7_16discard_iteratorINS7_11use_defaultEEES9_S9_S9_S9_S9_S9_S9_S9_EEEESB_EEENSN_IJSM_SM_EEESB_PlJNSF_9not_fun_tINSF_14equal_to_valueISA_EEEEEEE10hipError_tPvRmT3_T4_T5_T6_T7_T9_mT8_P12ihipStream_tbDpT10_ENKUlT_T0_E_clISt17integral_constantIbLb0EES1J_EEDaS1E_S1F_EUlS1E_E_NS1_11comp_targetILNS1_3genE5ELNS1_11target_archE942ELNS1_3gpuE9ELNS1_3repE0EEENS1_30default_config_static_selectorELNS0_4arch9wavefront6targetE0EEEvT1_,"axG",@progbits,_ZN7rocprim17ROCPRIM_400000_NS6detail17trampoline_kernelINS0_14default_configENS1_25partition_config_selectorILNS1_17partition_subalgoE6EN6thrust23THRUST_200600_302600_NS5tupleIiiNS7_9null_typeES9_S9_S9_S9_S9_S9_S9_EENS0_10empty_typeEbEEZZNS1_14partition_implILS5_6ELb0ES3_mNS7_12zip_iteratorINS8_INS7_6detail15normal_iteratorINS7_10device_ptrIiEEEESJ_S9_S9_S9_S9_S9_S9_S9_S9_EEEEPSB_SM_NS0_5tupleIJNSE_INS8_ISJ_NS7_16discard_iteratorINS7_11use_defaultEEES9_S9_S9_S9_S9_S9_S9_S9_EEEESB_EEENSN_IJSM_SM_EEESB_PlJNSF_9not_fun_tINSF_14equal_to_valueISA_EEEEEEE10hipError_tPvRmT3_T4_T5_T6_T7_T9_mT8_P12ihipStream_tbDpT10_ENKUlT_T0_E_clISt17integral_constantIbLb0EES1J_EEDaS1E_S1F_EUlS1E_E_NS1_11comp_targetILNS1_3genE5ELNS1_11target_archE942ELNS1_3gpuE9ELNS1_3repE0EEENS1_30default_config_static_selectorELNS0_4arch9wavefront6targetE0EEEvT1_,comdat
.Lfunc_end2014:
	.size	_ZN7rocprim17ROCPRIM_400000_NS6detail17trampoline_kernelINS0_14default_configENS1_25partition_config_selectorILNS1_17partition_subalgoE6EN6thrust23THRUST_200600_302600_NS5tupleIiiNS7_9null_typeES9_S9_S9_S9_S9_S9_S9_EENS0_10empty_typeEbEEZZNS1_14partition_implILS5_6ELb0ES3_mNS7_12zip_iteratorINS8_INS7_6detail15normal_iteratorINS7_10device_ptrIiEEEESJ_S9_S9_S9_S9_S9_S9_S9_S9_EEEEPSB_SM_NS0_5tupleIJNSE_INS8_ISJ_NS7_16discard_iteratorINS7_11use_defaultEEES9_S9_S9_S9_S9_S9_S9_S9_EEEESB_EEENSN_IJSM_SM_EEESB_PlJNSF_9not_fun_tINSF_14equal_to_valueISA_EEEEEEE10hipError_tPvRmT3_T4_T5_T6_T7_T9_mT8_P12ihipStream_tbDpT10_ENKUlT_T0_E_clISt17integral_constantIbLb0EES1J_EEDaS1E_S1F_EUlS1E_E_NS1_11comp_targetILNS1_3genE5ELNS1_11target_archE942ELNS1_3gpuE9ELNS1_3repE0EEENS1_30default_config_static_selectorELNS0_4arch9wavefront6targetE0EEEvT1_, .Lfunc_end2014-_ZN7rocprim17ROCPRIM_400000_NS6detail17trampoline_kernelINS0_14default_configENS1_25partition_config_selectorILNS1_17partition_subalgoE6EN6thrust23THRUST_200600_302600_NS5tupleIiiNS7_9null_typeES9_S9_S9_S9_S9_S9_S9_EENS0_10empty_typeEbEEZZNS1_14partition_implILS5_6ELb0ES3_mNS7_12zip_iteratorINS8_INS7_6detail15normal_iteratorINS7_10device_ptrIiEEEESJ_S9_S9_S9_S9_S9_S9_S9_S9_EEEEPSB_SM_NS0_5tupleIJNSE_INS8_ISJ_NS7_16discard_iteratorINS7_11use_defaultEEES9_S9_S9_S9_S9_S9_S9_S9_EEEESB_EEENSN_IJSM_SM_EEESB_PlJNSF_9not_fun_tINSF_14equal_to_valueISA_EEEEEEE10hipError_tPvRmT3_T4_T5_T6_T7_T9_mT8_P12ihipStream_tbDpT10_ENKUlT_T0_E_clISt17integral_constantIbLb0EES1J_EEDaS1E_S1F_EUlS1E_E_NS1_11comp_targetILNS1_3genE5ELNS1_11target_archE942ELNS1_3gpuE9ELNS1_3repE0EEENS1_30default_config_static_selectorELNS0_4arch9wavefront6targetE0EEEvT1_
                                        ; -- End function
	.set _ZN7rocprim17ROCPRIM_400000_NS6detail17trampoline_kernelINS0_14default_configENS1_25partition_config_selectorILNS1_17partition_subalgoE6EN6thrust23THRUST_200600_302600_NS5tupleIiiNS7_9null_typeES9_S9_S9_S9_S9_S9_S9_EENS0_10empty_typeEbEEZZNS1_14partition_implILS5_6ELb0ES3_mNS7_12zip_iteratorINS8_INS7_6detail15normal_iteratorINS7_10device_ptrIiEEEESJ_S9_S9_S9_S9_S9_S9_S9_S9_EEEEPSB_SM_NS0_5tupleIJNSE_INS8_ISJ_NS7_16discard_iteratorINS7_11use_defaultEEES9_S9_S9_S9_S9_S9_S9_S9_EEEESB_EEENSN_IJSM_SM_EEESB_PlJNSF_9not_fun_tINSF_14equal_to_valueISA_EEEEEEE10hipError_tPvRmT3_T4_T5_T6_T7_T9_mT8_P12ihipStream_tbDpT10_ENKUlT_T0_E_clISt17integral_constantIbLb0EES1J_EEDaS1E_S1F_EUlS1E_E_NS1_11comp_targetILNS1_3genE5ELNS1_11target_archE942ELNS1_3gpuE9ELNS1_3repE0EEENS1_30default_config_static_selectorELNS0_4arch9wavefront6targetE0EEEvT1_.num_vgpr, 0
	.set _ZN7rocprim17ROCPRIM_400000_NS6detail17trampoline_kernelINS0_14default_configENS1_25partition_config_selectorILNS1_17partition_subalgoE6EN6thrust23THRUST_200600_302600_NS5tupleIiiNS7_9null_typeES9_S9_S9_S9_S9_S9_S9_EENS0_10empty_typeEbEEZZNS1_14partition_implILS5_6ELb0ES3_mNS7_12zip_iteratorINS8_INS7_6detail15normal_iteratorINS7_10device_ptrIiEEEESJ_S9_S9_S9_S9_S9_S9_S9_S9_EEEEPSB_SM_NS0_5tupleIJNSE_INS8_ISJ_NS7_16discard_iteratorINS7_11use_defaultEEES9_S9_S9_S9_S9_S9_S9_S9_EEEESB_EEENSN_IJSM_SM_EEESB_PlJNSF_9not_fun_tINSF_14equal_to_valueISA_EEEEEEE10hipError_tPvRmT3_T4_T5_T6_T7_T9_mT8_P12ihipStream_tbDpT10_ENKUlT_T0_E_clISt17integral_constantIbLb0EES1J_EEDaS1E_S1F_EUlS1E_E_NS1_11comp_targetILNS1_3genE5ELNS1_11target_archE942ELNS1_3gpuE9ELNS1_3repE0EEENS1_30default_config_static_selectorELNS0_4arch9wavefront6targetE0EEEvT1_.num_agpr, 0
	.set _ZN7rocprim17ROCPRIM_400000_NS6detail17trampoline_kernelINS0_14default_configENS1_25partition_config_selectorILNS1_17partition_subalgoE6EN6thrust23THRUST_200600_302600_NS5tupleIiiNS7_9null_typeES9_S9_S9_S9_S9_S9_S9_EENS0_10empty_typeEbEEZZNS1_14partition_implILS5_6ELb0ES3_mNS7_12zip_iteratorINS8_INS7_6detail15normal_iteratorINS7_10device_ptrIiEEEESJ_S9_S9_S9_S9_S9_S9_S9_S9_EEEEPSB_SM_NS0_5tupleIJNSE_INS8_ISJ_NS7_16discard_iteratorINS7_11use_defaultEEES9_S9_S9_S9_S9_S9_S9_S9_EEEESB_EEENSN_IJSM_SM_EEESB_PlJNSF_9not_fun_tINSF_14equal_to_valueISA_EEEEEEE10hipError_tPvRmT3_T4_T5_T6_T7_T9_mT8_P12ihipStream_tbDpT10_ENKUlT_T0_E_clISt17integral_constantIbLb0EES1J_EEDaS1E_S1F_EUlS1E_E_NS1_11comp_targetILNS1_3genE5ELNS1_11target_archE942ELNS1_3gpuE9ELNS1_3repE0EEENS1_30default_config_static_selectorELNS0_4arch9wavefront6targetE0EEEvT1_.numbered_sgpr, 0
	.set _ZN7rocprim17ROCPRIM_400000_NS6detail17trampoline_kernelINS0_14default_configENS1_25partition_config_selectorILNS1_17partition_subalgoE6EN6thrust23THRUST_200600_302600_NS5tupleIiiNS7_9null_typeES9_S9_S9_S9_S9_S9_S9_EENS0_10empty_typeEbEEZZNS1_14partition_implILS5_6ELb0ES3_mNS7_12zip_iteratorINS8_INS7_6detail15normal_iteratorINS7_10device_ptrIiEEEESJ_S9_S9_S9_S9_S9_S9_S9_S9_EEEEPSB_SM_NS0_5tupleIJNSE_INS8_ISJ_NS7_16discard_iteratorINS7_11use_defaultEEES9_S9_S9_S9_S9_S9_S9_S9_EEEESB_EEENSN_IJSM_SM_EEESB_PlJNSF_9not_fun_tINSF_14equal_to_valueISA_EEEEEEE10hipError_tPvRmT3_T4_T5_T6_T7_T9_mT8_P12ihipStream_tbDpT10_ENKUlT_T0_E_clISt17integral_constantIbLb0EES1J_EEDaS1E_S1F_EUlS1E_E_NS1_11comp_targetILNS1_3genE5ELNS1_11target_archE942ELNS1_3gpuE9ELNS1_3repE0EEENS1_30default_config_static_selectorELNS0_4arch9wavefront6targetE0EEEvT1_.num_named_barrier, 0
	.set _ZN7rocprim17ROCPRIM_400000_NS6detail17trampoline_kernelINS0_14default_configENS1_25partition_config_selectorILNS1_17partition_subalgoE6EN6thrust23THRUST_200600_302600_NS5tupleIiiNS7_9null_typeES9_S9_S9_S9_S9_S9_S9_EENS0_10empty_typeEbEEZZNS1_14partition_implILS5_6ELb0ES3_mNS7_12zip_iteratorINS8_INS7_6detail15normal_iteratorINS7_10device_ptrIiEEEESJ_S9_S9_S9_S9_S9_S9_S9_S9_EEEEPSB_SM_NS0_5tupleIJNSE_INS8_ISJ_NS7_16discard_iteratorINS7_11use_defaultEEES9_S9_S9_S9_S9_S9_S9_S9_EEEESB_EEENSN_IJSM_SM_EEESB_PlJNSF_9not_fun_tINSF_14equal_to_valueISA_EEEEEEE10hipError_tPvRmT3_T4_T5_T6_T7_T9_mT8_P12ihipStream_tbDpT10_ENKUlT_T0_E_clISt17integral_constantIbLb0EES1J_EEDaS1E_S1F_EUlS1E_E_NS1_11comp_targetILNS1_3genE5ELNS1_11target_archE942ELNS1_3gpuE9ELNS1_3repE0EEENS1_30default_config_static_selectorELNS0_4arch9wavefront6targetE0EEEvT1_.private_seg_size, 0
	.set _ZN7rocprim17ROCPRIM_400000_NS6detail17trampoline_kernelINS0_14default_configENS1_25partition_config_selectorILNS1_17partition_subalgoE6EN6thrust23THRUST_200600_302600_NS5tupleIiiNS7_9null_typeES9_S9_S9_S9_S9_S9_S9_EENS0_10empty_typeEbEEZZNS1_14partition_implILS5_6ELb0ES3_mNS7_12zip_iteratorINS8_INS7_6detail15normal_iteratorINS7_10device_ptrIiEEEESJ_S9_S9_S9_S9_S9_S9_S9_S9_EEEEPSB_SM_NS0_5tupleIJNSE_INS8_ISJ_NS7_16discard_iteratorINS7_11use_defaultEEES9_S9_S9_S9_S9_S9_S9_S9_EEEESB_EEENSN_IJSM_SM_EEESB_PlJNSF_9not_fun_tINSF_14equal_to_valueISA_EEEEEEE10hipError_tPvRmT3_T4_T5_T6_T7_T9_mT8_P12ihipStream_tbDpT10_ENKUlT_T0_E_clISt17integral_constantIbLb0EES1J_EEDaS1E_S1F_EUlS1E_E_NS1_11comp_targetILNS1_3genE5ELNS1_11target_archE942ELNS1_3gpuE9ELNS1_3repE0EEENS1_30default_config_static_selectorELNS0_4arch9wavefront6targetE0EEEvT1_.uses_vcc, 0
	.set _ZN7rocprim17ROCPRIM_400000_NS6detail17trampoline_kernelINS0_14default_configENS1_25partition_config_selectorILNS1_17partition_subalgoE6EN6thrust23THRUST_200600_302600_NS5tupleIiiNS7_9null_typeES9_S9_S9_S9_S9_S9_S9_EENS0_10empty_typeEbEEZZNS1_14partition_implILS5_6ELb0ES3_mNS7_12zip_iteratorINS8_INS7_6detail15normal_iteratorINS7_10device_ptrIiEEEESJ_S9_S9_S9_S9_S9_S9_S9_S9_EEEEPSB_SM_NS0_5tupleIJNSE_INS8_ISJ_NS7_16discard_iteratorINS7_11use_defaultEEES9_S9_S9_S9_S9_S9_S9_S9_EEEESB_EEENSN_IJSM_SM_EEESB_PlJNSF_9not_fun_tINSF_14equal_to_valueISA_EEEEEEE10hipError_tPvRmT3_T4_T5_T6_T7_T9_mT8_P12ihipStream_tbDpT10_ENKUlT_T0_E_clISt17integral_constantIbLb0EES1J_EEDaS1E_S1F_EUlS1E_E_NS1_11comp_targetILNS1_3genE5ELNS1_11target_archE942ELNS1_3gpuE9ELNS1_3repE0EEENS1_30default_config_static_selectorELNS0_4arch9wavefront6targetE0EEEvT1_.uses_flat_scratch, 0
	.set _ZN7rocprim17ROCPRIM_400000_NS6detail17trampoline_kernelINS0_14default_configENS1_25partition_config_selectorILNS1_17partition_subalgoE6EN6thrust23THRUST_200600_302600_NS5tupleIiiNS7_9null_typeES9_S9_S9_S9_S9_S9_S9_EENS0_10empty_typeEbEEZZNS1_14partition_implILS5_6ELb0ES3_mNS7_12zip_iteratorINS8_INS7_6detail15normal_iteratorINS7_10device_ptrIiEEEESJ_S9_S9_S9_S9_S9_S9_S9_S9_EEEEPSB_SM_NS0_5tupleIJNSE_INS8_ISJ_NS7_16discard_iteratorINS7_11use_defaultEEES9_S9_S9_S9_S9_S9_S9_S9_EEEESB_EEENSN_IJSM_SM_EEESB_PlJNSF_9not_fun_tINSF_14equal_to_valueISA_EEEEEEE10hipError_tPvRmT3_T4_T5_T6_T7_T9_mT8_P12ihipStream_tbDpT10_ENKUlT_T0_E_clISt17integral_constantIbLb0EES1J_EEDaS1E_S1F_EUlS1E_E_NS1_11comp_targetILNS1_3genE5ELNS1_11target_archE942ELNS1_3gpuE9ELNS1_3repE0EEENS1_30default_config_static_selectorELNS0_4arch9wavefront6targetE0EEEvT1_.has_dyn_sized_stack, 0
	.set _ZN7rocprim17ROCPRIM_400000_NS6detail17trampoline_kernelINS0_14default_configENS1_25partition_config_selectorILNS1_17partition_subalgoE6EN6thrust23THRUST_200600_302600_NS5tupleIiiNS7_9null_typeES9_S9_S9_S9_S9_S9_S9_EENS0_10empty_typeEbEEZZNS1_14partition_implILS5_6ELb0ES3_mNS7_12zip_iteratorINS8_INS7_6detail15normal_iteratorINS7_10device_ptrIiEEEESJ_S9_S9_S9_S9_S9_S9_S9_S9_EEEEPSB_SM_NS0_5tupleIJNSE_INS8_ISJ_NS7_16discard_iteratorINS7_11use_defaultEEES9_S9_S9_S9_S9_S9_S9_S9_EEEESB_EEENSN_IJSM_SM_EEESB_PlJNSF_9not_fun_tINSF_14equal_to_valueISA_EEEEEEE10hipError_tPvRmT3_T4_T5_T6_T7_T9_mT8_P12ihipStream_tbDpT10_ENKUlT_T0_E_clISt17integral_constantIbLb0EES1J_EEDaS1E_S1F_EUlS1E_E_NS1_11comp_targetILNS1_3genE5ELNS1_11target_archE942ELNS1_3gpuE9ELNS1_3repE0EEENS1_30default_config_static_selectorELNS0_4arch9wavefront6targetE0EEEvT1_.has_recursion, 0
	.set _ZN7rocprim17ROCPRIM_400000_NS6detail17trampoline_kernelINS0_14default_configENS1_25partition_config_selectorILNS1_17partition_subalgoE6EN6thrust23THRUST_200600_302600_NS5tupleIiiNS7_9null_typeES9_S9_S9_S9_S9_S9_S9_EENS0_10empty_typeEbEEZZNS1_14partition_implILS5_6ELb0ES3_mNS7_12zip_iteratorINS8_INS7_6detail15normal_iteratorINS7_10device_ptrIiEEEESJ_S9_S9_S9_S9_S9_S9_S9_S9_EEEEPSB_SM_NS0_5tupleIJNSE_INS8_ISJ_NS7_16discard_iteratorINS7_11use_defaultEEES9_S9_S9_S9_S9_S9_S9_S9_EEEESB_EEENSN_IJSM_SM_EEESB_PlJNSF_9not_fun_tINSF_14equal_to_valueISA_EEEEEEE10hipError_tPvRmT3_T4_T5_T6_T7_T9_mT8_P12ihipStream_tbDpT10_ENKUlT_T0_E_clISt17integral_constantIbLb0EES1J_EEDaS1E_S1F_EUlS1E_E_NS1_11comp_targetILNS1_3genE5ELNS1_11target_archE942ELNS1_3gpuE9ELNS1_3repE0EEENS1_30default_config_static_selectorELNS0_4arch9wavefront6targetE0EEEvT1_.has_indirect_call, 0
	.section	.AMDGPU.csdata,"",@progbits
; Kernel info:
; codeLenInByte = 0
; TotalNumSgprs: 0
; NumVgprs: 0
; ScratchSize: 0
; MemoryBound: 0
; FloatMode: 240
; IeeeMode: 1
; LDSByteSize: 0 bytes/workgroup (compile time only)
; SGPRBlocks: 0
; VGPRBlocks: 0
; NumSGPRsForWavesPerEU: 1
; NumVGPRsForWavesPerEU: 1
; Occupancy: 16
; WaveLimiterHint : 0
; COMPUTE_PGM_RSRC2:SCRATCH_EN: 0
; COMPUTE_PGM_RSRC2:USER_SGPR: 2
; COMPUTE_PGM_RSRC2:TRAP_HANDLER: 0
; COMPUTE_PGM_RSRC2:TGID_X_EN: 1
; COMPUTE_PGM_RSRC2:TGID_Y_EN: 0
; COMPUTE_PGM_RSRC2:TGID_Z_EN: 0
; COMPUTE_PGM_RSRC2:TIDIG_COMP_CNT: 0
	.section	.text._ZN7rocprim17ROCPRIM_400000_NS6detail17trampoline_kernelINS0_14default_configENS1_25partition_config_selectorILNS1_17partition_subalgoE6EN6thrust23THRUST_200600_302600_NS5tupleIiiNS7_9null_typeES9_S9_S9_S9_S9_S9_S9_EENS0_10empty_typeEbEEZZNS1_14partition_implILS5_6ELb0ES3_mNS7_12zip_iteratorINS8_INS7_6detail15normal_iteratorINS7_10device_ptrIiEEEESJ_S9_S9_S9_S9_S9_S9_S9_S9_EEEEPSB_SM_NS0_5tupleIJNSE_INS8_ISJ_NS7_16discard_iteratorINS7_11use_defaultEEES9_S9_S9_S9_S9_S9_S9_S9_EEEESB_EEENSN_IJSM_SM_EEESB_PlJNSF_9not_fun_tINSF_14equal_to_valueISA_EEEEEEE10hipError_tPvRmT3_T4_T5_T6_T7_T9_mT8_P12ihipStream_tbDpT10_ENKUlT_T0_E_clISt17integral_constantIbLb0EES1J_EEDaS1E_S1F_EUlS1E_E_NS1_11comp_targetILNS1_3genE4ELNS1_11target_archE910ELNS1_3gpuE8ELNS1_3repE0EEENS1_30default_config_static_selectorELNS0_4arch9wavefront6targetE0EEEvT1_,"axG",@progbits,_ZN7rocprim17ROCPRIM_400000_NS6detail17trampoline_kernelINS0_14default_configENS1_25partition_config_selectorILNS1_17partition_subalgoE6EN6thrust23THRUST_200600_302600_NS5tupleIiiNS7_9null_typeES9_S9_S9_S9_S9_S9_S9_EENS0_10empty_typeEbEEZZNS1_14partition_implILS5_6ELb0ES3_mNS7_12zip_iteratorINS8_INS7_6detail15normal_iteratorINS7_10device_ptrIiEEEESJ_S9_S9_S9_S9_S9_S9_S9_S9_EEEEPSB_SM_NS0_5tupleIJNSE_INS8_ISJ_NS7_16discard_iteratorINS7_11use_defaultEEES9_S9_S9_S9_S9_S9_S9_S9_EEEESB_EEENSN_IJSM_SM_EEESB_PlJNSF_9not_fun_tINSF_14equal_to_valueISA_EEEEEEE10hipError_tPvRmT3_T4_T5_T6_T7_T9_mT8_P12ihipStream_tbDpT10_ENKUlT_T0_E_clISt17integral_constantIbLb0EES1J_EEDaS1E_S1F_EUlS1E_E_NS1_11comp_targetILNS1_3genE4ELNS1_11target_archE910ELNS1_3gpuE8ELNS1_3repE0EEENS1_30default_config_static_selectorELNS0_4arch9wavefront6targetE0EEEvT1_,comdat
	.protected	_ZN7rocprim17ROCPRIM_400000_NS6detail17trampoline_kernelINS0_14default_configENS1_25partition_config_selectorILNS1_17partition_subalgoE6EN6thrust23THRUST_200600_302600_NS5tupleIiiNS7_9null_typeES9_S9_S9_S9_S9_S9_S9_EENS0_10empty_typeEbEEZZNS1_14partition_implILS5_6ELb0ES3_mNS7_12zip_iteratorINS8_INS7_6detail15normal_iteratorINS7_10device_ptrIiEEEESJ_S9_S9_S9_S9_S9_S9_S9_S9_EEEEPSB_SM_NS0_5tupleIJNSE_INS8_ISJ_NS7_16discard_iteratorINS7_11use_defaultEEES9_S9_S9_S9_S9_S9_S9_S9_EEEESB_EEENSN_IJSM_SM_EEESB_PlJNSF_9not_fun_tINSF_14equal_to_valueISA_EEEEEEE10hipError_tPvRmT3_T4_T5_T6_T7_T9_mT8_P12ihipStream_tbDpT10_ENKUlT_T0_E_clISt17integral_constantIbLb0EES1J_EEDaS1E_S1F_EUlS1E_E_NS1_11comp_targetILNS1_3genE4ELNS1_11target_archE910ELNS1_3gpuE8ELNS1_3repE0EEENS1_30default_config_static_selectorELNS0_4arch9wavefront6targetE0EEEvT1_ ; -- Begin function _ZN7rocprim17ROCPRIM_400000_NS6detail17trampoline_kernelINS0_14default_configENS1_25partition_config_selectorILNS1_17partition_subalgoE6EN6thrust23THRUST_200600_302600_NS5tupleIiiNS7_9null_typeES9_S9_S9_S9_S9_S9_S9_EENS0_10empty_typeEbEEZZNS1_14partition_implILS5_6ELb0ES3_mNS7_12zip_iteratorINS8_INS7_6detail15normal_iteratorINS7_10device_ptrIiEEEESJ_S9_S9_S9_S9_S9_S9_S9_S9_EEEEPSB_SM_NS0_5tupleIJNSE_INS8_ISJ_NS7_16discard_iteratorINS7_11use_defaultEEES9_S9_S9_S9_S9_S9_S9_S9_EEEESB_EEENSN_IJSM_SM_EEESB_PlJNSF_9not_fun_tINSF_14equal_to_valueISA_EEEEEEE10hipError_tPvRmT3_T4_T5_T6_T7_T9_mT8_P12ihipStream_tbDpT10_ENKUlT_T0_E_clISt17integral_constantIbLb0EES1J_EEDaS1E_S1F_EUlS1E_E_NS1_11comp_targetILNS1_3genE4ELNS1_11target_archE910ELNS1_3gpuE8ELNS1_3repE0EEENS1_30default_config_static_selectorELNS0_4arch9wavefront6targetE0EEEvT1_
	.globl	_ZN7rocprim17ROCPRIM_400000_NS6detail17trampoline_kernelINS0_14default_configENS1_25partition_config_selectorILNS1_17partition_subalgoE6EN6thrust23THRUST_200600_302600_NS5tupleIiiNS7_9null_typeES9_S9_S9_S9_S9_S9_S9_EENS0_10empty_typeEbEEZZNS1_14partition_implILS5_6ELb0ES3_mNS7_12zip_iteratorINS8_INS7_6detail15normal_iteratorINS7_10device_ptrIiEEEESJ_S9_S9_S9_S9_S9_S9_S9_S9_EEEEPSB_SM_NS0_5tupleIJNSE_INS8_ISJ_NS7_16discard_iteratorINS7_11use_defaultEEES9_S9_S9_S9_S9_S9_S9_S9_EEEESB_EEENSN_IJSM_SM_EEESB_PlJNSF_9not_fun_tINSF_14equal_to_valueISA_EEEEEEE10hipError_tPvRmT3_T4_T5_T6_T7_T9_mT8_P12ihipStream_tbDpT10_ENKUlT_T0_E_clISt17integral_constantIbLb0EES1J_EEDaS1E_S1F_EUlS1E_E_NS1_11comp_targetILNS1_3genE4ELNS1_11target_archE910ELNS1_3gpuE8ELNS1_3repE0EEENS1_30default_config_static_selectorELNS0_4arch9wavefront6targetE0EEEvT1_
	.p2align	8
	.type	_ZN7rocprim17ROCPRIM_400000_NS6detail17trampoline_kernelINS0_14default_configENS1_25partition_config_selectorILNS1_17partition_subalgoE6EN6thrust23THRUST_200600_302600_NS5tupleIiiNS7_9null_typeES9_S9_S9_S9_S9_S9_S9_EENS0_10empty_typeEbEEZZNS1_14partition_implILS5_6ELb0ES3_mNS7_12zip_iteratorINS8_INS7_6detail15normal_iteratorINS7_10device_ptrIiEEEESJ_S9_S9_S9_S9_S9_S9_S9_S9_EEEEPSB_SM_NS0_5tupleIJNSE_INS8_ISJ_NS7_16discard_iteratorINS7_11use_defaultEEES9_S9_S9_S9_S9_S9_S9_S9_EEEESB_EEENSN_IJSM_SM_EEESB_PlJNSF_9not_fun_tINSF_14equal_to_valueISA_EEEEEEE10hipError_tPvRmT3_T4_T5_T6_T7_T9_mT8_P12ihipStream_tbDpT10_ENKUlT_T0_E_clISt17integral_constantIbLb0EES1J_EEDaS1E_S1F_EUlS1E_E_NS1_11comp_targetILNS1_3genE4ELNS1_11target_archE910ELNS1_3gpuE8ELNS1_3repE0EEENS1_30default_config_static_selectorELNS0_4arch9wavefront6targetE0EEEvT1_,@function
_ZN7rocprim17ROCPRIM_400000_NS6detail17trampoline_kernelINS0_14default_configENS1_25partition_config_selectorILNS1_17partition_subalgoE6EN6thrust23THRUST_200600_302600_NS5tupleIiiNS7_9null_typeES9_S9_S9_S9_S9_S9_S9_EENS0_10empty_typeEbEEZZNS1_14partition_implILS5_6ELb0ES3_mNS7_12zip_iteratorINS8_INS7_6detail15normal_iteratorINS7_10device_ptrIiEEEESJ_S9_S9_S9_S9_S9_S9_S9_S9_EEEEPSB_SM_NS0_5tupleIJNSE_INS8_ISJ_NS7_16discard_iteratorINS7_11use_defaultEEES9_S9_S9_S9_S9_S9_S9_S9_EEEESB_EEENSN_IJSM_SM_EEESB_PlJNSF_9not_fun_tINSF_14equal_to_valueISA_EEEEEEE10hipError_tPvRmT3_T4_T5_T6_T7_T9_mT8_P12ihipStream_tbDpT10_ENKUlT_T0_E_clISt17integral_constantIbLb0EES1J_EEDaS1E_S1F_EUlS1E_E_NS1_11comp_targetILNS1_3genE4ELNS1_11target_archE910ELNS1_3gpuE8ELNS1_3repE0EEENS1_30default_config_static_selectorELNS0_4arch9wavefront6targetE0EEEvT1_: ; @_ZN7rocprim17ROCPRIM_400000_NS6detail17trampoline_kernelINS0_14default_configENS1_25partition_config_selectorILNS1_17partition_subalgoE6EN6thrust23THRUST_200600_302600_NS5tupleIiiNS7_9null_typeES9_S9_S9_S9_S9_S9_S9_EENS0_10empty_typeEbEEZZNS1_14partition_implILS5_6ELb0ES3_mNS7_12zip_iteratorINS8_INS7_6detail15normal_iteratorINS7_10device_ptrIiEEEESJ_S9_S9_S9_S9_S9_S9_S9_S9_EEEEPSB_SM_NS0_5tupleIJNSE_INS8_ISJ_NS7_16discard_iteratorINS7_11use_defaultEEES9_S9_S9_S9_S9_S9_S9_S9_EEEESB_EEENSN_IJSM_SM_EEESB_PlJNSF_9not_fun_tINSF_14equal_to_valueISA_EEEEEEE10hipError_tPvRmT3_T4_T5_T6_T7_T9_mT8_P12ihipStream_tbDpT10_ENKUlT_T0_E_clISt17integral_constantIbLb0EES1J_EEDaS1E_S1F_EUlS1E_E_NS1_11comp_targetILNS1_3genE4ELNS1_11target_archE910ELNS1_3gpuE8ELNS1_3repE0EEENS1_30default_config_static_selectorELNS0_4arch9wavefront6targetE0EEEvT1_
; %bb.0:
	.section	.rodata,"a",@progbits
	.p2align	6, 0x0
	.amdhsa_kernel _ZN7rocprim17ROCPRIM_400000_NS6detail17trampoline_kernelINS0_14default_configENS1_25partition_config_selectorILNS1_17partition_subalgoE6EN6thrust23THRUST_200600_302600_NS5tupleIiiNS7_9null_typeES9_S9_S9_S9_S9_S9_S9_EENS0_10empty_typeEbEEZZNS1_14partition_implILS5_6ELb0ES3_mNS7_12zip_iteratorINS8_INS7_6detail15normal_iteratorINS7_10device_ptrIiEEEESJ_S9_S9_S9_S9_S9_S9_S9_S9_EEEEPSB_SM_NS0_5tupleIJNSE_INS8_ISJ_NS7_16discard_iteratorINS7_11use_defaultEEES9_S9_S9_S9_S9_S9_S9_S9_EEEESB_EEENSN_IJSM_SM_EEESB_PlJNSF_9not_fun_tINSF_14equal_to_valueISA_EEEEEEE10hipError_tPvRmT3_T4_T5_T6_T7_T9_mT8_P12ihipStream_tbDpT10_ENKUlT_T0_E_clISt17integral_constantIbLb0EES1J_EEDaS1E_S1F_EUlS1E_E_NS1_11comp_targetILNS1_3genE4ELNS1_11target_archE910ELNS1_3gpuE8ELNS1_3repE0EEENS1_30default_config_static_selectorELNS0_4arch9wavefront6targetE0EEEvT1_
		.amdhsa_group_segment_fixed_size 0
		.amdhsa_private_segment_fixed_size 0
		.amdhsa_kernarg_size 144
		.amdhsa_user_sgpr_count 2
		.amdhsa_user_sgpr_dispatch_ptr 0
		.amdhsa_user_sgpr_queue_ptr 0
		.amdhsa_user_sgpr_kernarg_segment_ptr 1
		.amdhsa_user_sgpr_dispatch_id 0
		.amdhsa_user_sgpr_private_segment_size 0
		.amdhsa_wavefront_size32 1
		.amdhsa_uses_dynamic_stack 0
		.amdhsa_enable_private_segment 0
		.amdhsa_system_sgpr_workgroup_id_x 1
		.amdhsa_system_sgpr_workgroup_id_y 0
		.amdhsa_system_sgpr_workgroup_id_z 0
		.amdhsa_system_sgpr_workgroup_info 0
		.amdhsa_system_vgpr_workitem_id 0
		.amdhsa_next_free_vgpr 1
		.amdhsa_next_free_sgpr 1
		.amdhsa_reserve_vcc 0
		.amdhsa_float_round_mode_32 0
		.amdhsa_float_round_mode_16_64 0
		.amdhsa_float_denorm_mode_32 3
		.amdhsa_float_denorm_mode_16_64 3
		.amdhsa_fp16_overflow 0
		.amdhsa_workgroup_processor_mode 1
		.amdhsa_memory_ordered 1
		.amdhsa_forward_progress 1
		.amdhsa_inst_pref_size 0
		.amdhsa_round_robin_scheduling 0
		.amdhsa_exception_fp_ieee_invalid_op 0
		.amdhsa_exception_fp_denorm_src 0
		.amdhsa_exception_fp_ieee_div_zero 0
		.amdhsa_exception_fp_ieee_overflow 0
		.amdhsa_exception_fp_ieee_underflow 0
		.amdhsa_exception_fp_ieee_inexact 0
		.amdhsa_exception_int_div_zero 0
	.end_amdhsa_kernel
	.section	.text._ZN7rocprim17ROCPRIM_400000_NS6detail17trampoline_kernelINS0_14default_configENS1_25partition_config_selectorILNS1_17partition_subalgoE6EN6thrust23THRUST_200600_302600_NS5tupleIiiNS7_9null_typeES9_S9_S9_S9_S9_S9_S9_EENS0_10empty_typeEbEEZZNS1_14partition_implILS5_6ELb0ES3_mNS7_12zip_iteratorINS8_INS7_6detail15normal_iteratorINS7_10device_ptrIiEEEESJ_S9_S9_S9_S9_S9_S9_S9_S9_EEEEPSB_SM_NS0_5tupleIJNSE_INS8_ISJ_NS7_16discard_iteratorINS7_11use_defaultEEES9_S9_S9_S9_S9_S9_S9_S9_EEEESB_EEENSN_IJSM_SM_EEESB_PlJNSF_9not_fun_tINSF_14equal_to_valueISA_EEEEEEE10hipError_tPvRmT3_T4_T5_T6_T7_T9_mT8_P12ihipStream_tbDpT10_ENKUlT_T0_E_clISt17integral_constantIbLb0EES1J_EEDaS1E_S1F_EUlS1E_E_NS1_11comp_targetILNS1_3genE4ELNS1_11target_archE910ELNS1_3gpuE8ELNS1_3repE0EEENS1_30default_config_static_selectorELNS0_4arch9wavefront6targetE0EEEvT1_,"axG",@progbits,_ZN7rocprim17ROCPRIM_400000_NS6detail17trampoline_kernelINS0_14default_configENS1_25partition_config_selectorILNS1_17partition_subalgoE6EN6thrust23THRUST_200600_302600_NS5tupleIiiNS7_9null_typeES9_S9_S9_S9_S9_S9_S9_EENS0_10empty_typeEbEEZZNS1_14partition_implILS5_6ELb0ES3_mNS7_12zip_iteratorINS8_INS7_6detail15normal_iteratorINS7_10device_ptrIiEEEESJ_S9_S9_S9_S9_S9_S9_S9_S9_EEEEPSB_SM_NS0_5tupleIJNSE_INS8_ISJ_NS7_16discard_iteratorINS7_11use_defaultEEES9_S9_S9_S9_S9_S9_S9_S9_EEEESB_EEENSN_IJSM_SM_EEESB_PlJNSF_9not_fun_tINSF_14equal_to_valueISA_EEEEEEE10hipError_tPvRmT3_T4_T5_T6_T7_T9_mT8_P12ihipStream_tbDpT10_ENKUlT_T0_E_clISt17integral_constantIbLb0EES1J_EEDaS1E_S1F_EUlS1E_E_NS1_11comp_targetILNS1_3genE4ELNS1_11target_archE910ELNS1_3gpuE8ELNS1_3repE0EEENS1_30default_config_static_selectorELNS0_4arch9wavefront6targetE0EEEvT1_,comdat
.Lfunc_end2015:
	.size	_ZN7rocprim17ROCPRIM_400000_NS6detail17trampoline_kernelINS0_14default_configENS1_25partition_config_selectorILNS1_17partition_subalgoE6EN6thrust23THRUST_200600_302600_NS5tupleIiiNS7_9null_typeES9_S9_S9_S9_S9_S9_S9_EENS0_10empty_typeEbEEZZNS1_14partition_implILS5_6ELb0ES3_mNS7_12zip_iteratorINS8_INS7_6detail15normal_iteratorINS7_10device_ptrIiEEEESJ_S9_S9_S9_S9_S9_S9_S9_S9_EEEEPSB_SM_NS0_5tupleIJNSE_INS8_ISJ_NS7_16discard_iteratorINS7_11use_defaultEEES9_S9_S9_S9_S9_S9_S9_S9_EEEESB_EEENSN_IJSM_SM_EEESB_PlJNSF_9not_fun_tINSF_14equal_to_valueISA_EEEEEEE10hipError_tPvRmT3_T4_T5_T6_T7_T9_mT8_P12ihipStream_tbDpT10_ENKUlT_T0_E_clISt17integral_constantIbLb0EES1J_EEDaS1E_S1F_EUlS1E_E_NS1_11comp_targetILNS1_3genE4ELNS1_11target_archE910ELNS1_3gpuE8ELNS1_3repE0EEENS1_30default_config_static_selectorELNS0_4arch9wavefront6targetE0EEEvT1_, .Lfunc_end2015-_ZN7rocprim17ROCPRIM_400000_NS6detail17trampoline_kernelINS0_14default_configENS1_25partition_config_selectorILNS1_17partition_subalgoE6EN6thrust23THRUST_200600_302600_NS5tupleIiiNS7_9null_typeES9_S9_S9_S9_S9_S9_S9_EENS0_10empty_typeEbEEZZNS1_14partition_implILS5_6ELb0ES3_mNS7_12zip_iteratorINS8_INS7_6detail15normal_iteratorINS7_10device_ptrIiEEEESJ_S9_S9_S9_S9_S9_S9_S9_S9_EEEEPSB_SM_NS0_5tupleIJNSE_INS8_ISJ_NS7_16discard_iteratorINS7_11use_defaultEEES9_S9_S9_S9_S9_S9_S9_S9_EEEESB_EEENSN_IJSM_SM_EEESB_PlJNSF_9not_fun_tINSF_14equal_to_valueISA_EEEEEEE10hipError_tPvRmT3_T4_T5_T6_T7_T9_mT8_P12ihipStream_tbDpT10_ENKUlT_T0_E_clISt17integral_constantIbLb0EES1J_EEDaS1E_S1F_EUlS1E_E_NS1_11comp_targetILNS1_3genE4ELNS1_11target_archE910ELNS1_3gpuE8ELNS1_3repE0EEENS1_30default_config_static_selectorELNS0_4arch9wavefront6targetE0EEEvT1_
                                        ; -- End function
	.set _ZN7rocprim17ROCPRIM_400000_NS6detail17trampoline_kernelINS0_14default_configENS1_25partition_config_selectorILNS1_17partition_subalgoE6EN6thrust23THRUST_200600_302600_NS5tupleIiiNS7_9null_typeES9_S9_S9_S9_S9_S9_S9_EENS0_10empty_typeEbEEZZNS1_14partition_implILS5_6ELb0ES3_mNS7_12zip_iteratorINS8_INS7_6detail15normal_iteratorINS7_10device_ptrIiEEEESJ_S9_S9_S9_S9_S9_S9_S9_S9_EEEEPSB_SM_NS0_5tupleIJNSE_INS8_ISJ_NS7_16discard_iteratorINS7_11use_defaultEEES9_S9_S9_S9_S9_S9_S9_S9_EEEESB_EEENSN_IJSM_SM_EEESB_PlJNSF_9not_fun_tINSF_14equal_to_valueISA_EEEEEEE10hipError_tPvRmT3_T4_T5_T6_T7_T9_mT8_P12ihipStream_tbDpT10_ENKUlT_T0_E_clISt17integral_constantIbLb0EES1J_EEDaS1E_S1F_EUlS1E_E_NS1_11comp_targetILNS1_3genE4ELNS1_11target_archE910ELNS1_3gpuE8ELNS1_3repE0EEENS1_30default_config_static_selectorELNS0_4arch9wavefront6targetE0EEEvT1_.num_vgpr, 0
	.set _ZN7rocprim17ROCPRIM_400000_NS6detail17trampoline_kernelINS0_14default_configENS1_25partition_config_selectorILNS1_17partition_subalgoE6EN6thrust23THRUST_200600_302600_NS5tupleIiiNS7_9null_typeES9_S9_S9_S9_S9_S9_S9_EENS0_10empty_typeEbEEZZNS1_14partition_implILS5_6ELb0ES3_mNS7_12zip_iteratorINS8_INS7_6detail15normal_iteratorINS7_10device_ptrIiEEEESJ_S9_S9_S9_S9_S9_S9_S9_S9_EEEEPSB_SM_NS0_5tupleIJNSE_INS8_ISJ_NS7_16discard_iteratorINS7_11use_defaultEEES9_S9_S9_S9_S9_S9_S9_S9_EEEESB_EEENSN_IJSM_SM_EEESB_PlJNSF_9not_fun_tINSF_14equal_to_valueISA_EEEEEEE10hipError_tPvRmT3_T4_T5_T6_T7_T9_mT8_P12ihipStream_tbDpT10_ENKUlT_T0_E_clISt17integral_constantIbLb0EES1J_EEDaS1E_S1F_EUlS1E_E_NS1_11comp_targetILNS1_3genE4ELNS1_11target_archE910ELNS1_3gpuE8ELNS1_3repE0EEENS1_30default_config_static_selectorELNS0_4arch9wavefront6targetE0EEEvT1_.num_agpr, 0
	.set _ZN7rocprim17ROCPRIM_400000_NS6detail17trampoline_kernelINS0_14default_configENS1_25partition_config_selectorILNS1_17partition_subalgoE6EN6thrust23THRUST_200600_302600_NS5tupleIiiNS7_9null_typeES9_S9_S9_S9_S9_S9_S9_EENS0_10empty_typeEbEEZZNS1_14partition_implILS5_6ELb0ES3_mNS7_12zip_iteratorINS8_INS7_6detail15normal_iteratorINS7_10device_ptrIiEEEESJ_S9_S9_S9_S9_S9_S9_S9_S9_EEEEPSB_SM_NS0_5tupleIJNSE_INS8_ISJ_NS7_16discard_iteratorINS7_11use_defaultEEES9_S9_S9_S9_S9_S9_S9_S9_EEEESB_EEENSN_IJSM_SM_EEESB_PlJNSF_9not_fun_tINSF_14equal_to_valueISA_EEEEEEE10hipError_tPvRmT3_T4_T5_T6_T7_T9_mT8_P12ihipStream_tbDpT10_ENKUlT_T0_E_clISt17integral_constantIbLb0EES1J_EEDaS1E_S1F_EUlS1E_E_NS1_11comp_targetILNS1_3genE4ELNS1_11target_archE910ELNS1_3gpuE8ELNS1_3repE0EEENS1_30default_config_static_selectorELNS0_4arch9wavefront6targetE0EEEvT1_.numbered_sgpr, 0
	.set _ZN7rocprim17ROCPRIM_400000_NS6detail17trampoline_kernelINS0_14default_configENS1_25partition_config_selectorILNS1_17partition_subalgoE6EN6thrust23THRUST_200600_302600_NS5tupleIiiNS7_9null_typeES9_S9_S9_S9_S9_S9_S9_EENS0_10empty_typeEbEEZZNS1_14partition_implILS5_6ELb0ES3_mNS7_12zip_iteratorINS8_INS7_6detail15normal_iteratorINS7_10device_ptrIiEEEESJ_S9_S9_S9_S9_S9_S9_S9_S9_EEEEPSB_SM_NS0_5tupleIJNSE_INS8_ISJ_NS7_16discard_iteratorINS7_11use_defaultEEES9_S9_S9_S9_S9_S9_S9_S9_EEEESB_EEENSN_IJSM_SM_EEESB_PlJNSF_9not_fun_tINSF_14equal_to_valueISA_EEEEEEE10hipError_tPvRmT3_T4_T5_T6_T7_T9_mT8_P12ihipStream_tbDpT10_ENKUlT_T0_E_clISt17integral_constantIbLb0EES1J_EEDaS1E_S1F_EUlS1E_E_NS1_11comp_targetILNS1_3genE4ELNS1_11target_archE910ELNS1_3gpuE8ELNS1_3repE0EEENS1_30default_config_static_selectorELNS0_4arch9wavefront6targetE0EEEvT1_.num_named_barrier, 0
	.set _ZN7rocprim17ROCPRIM_400000_NS6detail17trampoline_kernelINS0_14default_configENS1_25partition_config_selectorILNS1_17partition_subalgoE6EN6thrust23THRUST_200600_302600_NS5tupleIiiNS7_9null_typeES9_S9_S9_S9_S9_S9_S9_EENS0_10empty_typeEbEEZZNS1_14partition_implILS5_6ELb0ES3_mNS7_12zip_iteratorINS8_INS7_6detail15normal_iteratorINS7_10device_ptrIiEEEESJ_S9_S9_S9_S9_S9_S9_S9_S9_EEEEPSB_SM_NS0_5tupleIJNSE_INS8_ISJ_NS7_16discard_iteratorINS7_11use_defaultEEES9_S9_S9_S9_S9_S9_S9_S9_EEEESB_EEENSN_IJSM_SM_EEESB_PlJNSF_9not_fun_tINSF_14equal_to_valueISA_EEEEEEE10hipError_tPvRmT3_T4_T5_T6_T7_T9_mT8_P12ihipStream_tbDpT10_ENKUlT_T0_E_clISt17integral_constantIbLb0EES1J_EEDaS1E_S1F_EUlS1E_E_NS1_11comp_targetILNS1_3genE4ELNS1_11target_archE910ELNS1_3gpuE8ELNS1_3repE0EEENS1_30default_config_static_selectorELNS0_4arch9wavefront6targetE0EEEvT1_.private_seg_size, 0
	.set _ZN7rocprim17ROCPRIM_400000_NS6detail17trampoline_kernelINS0_14default_configENS1_25partition_config_selectorILNS1_17partition_subalgoE6EN6thrust23THRUST_200600_302600_NS5tupleIiiNS7_9null_typeES9_S9_S9_S9_S9_S9_S9_EENS0_10empty_typeEbEEZZNS1_14partition_implILS5_6ELb0ES3_mNS7_12zip_iteratorINS8_INS7_6detail15normal_iteratorINS7_10device_ptrIiEEEESJ_S9_S9_S9_S9_S9_S9_S9_S9_EEEEPSB_SM_NS0_5tupleIJNSE_INS8_ISJ_NS7_16discard_iteratorINS7_11use_defaultEEES9_S9_S9_S9_S9_S9_S9_S9_EEEESB_EEENSN_IJSM_SM_EEESB_PlJNSF_9not_fun_tINSF_14equal_to_valueISA_EEEEEEE10hipError_tPvRmT3_T4_T5_T6_T7_T9_mT8_P12ihipStream_tbDpT10_ENKUlT_T0_E_clISt17integral_constantIbLb0EES1J_EEDaS1E_S1F_EUlS1E_E_NS1_11comp_targetILNS1_3genE4ELNS1_11target_archE910ELNS1_3gpuE8ELNS1_3repE0EEENS1_30default_config_static_selectorELNS0_4arch9wavefront6targetE0EEEvT1_.uses_vcc, 0
	.set _ZN7rocprim17ROCPRIM_400000_NS6detail17trampoline_kernelINS0_14default_configENS1_25partition_config_selectorILNS1_17partition_subalgoE6EN6thrust23THRUST_200600_302600_NS5tupleIiiNS7_9null_typeES9_S9_S9_S9_S9_S9_S9_EENS0_10empty_typeEbEEZZNS1_14partition_implILS5_6ELb0ES3_mNS7_12zip_iteratorINS8_INS7_6detail15normal_iteratorINS7_10device_ptrIiEEEESJ_S9_S9_S9_S9_S9_S9_S9_S9_EEEEPSB_SM_NS0_5tupleIJNSE_INS8_ISJ_NS7_16discard_iteratorINS7_11use_defaultEEES9_S9_S9_S9_S9_S9_S9_S9_EEEESB_EEENSN_IJSM_SM_EEESB_PlJNSF_9not_fun_tINSF_14equal_to_valueISA_EEEEEEE10hipError_tPvRmT3_T4_T5_T6_T7_T9_mT8_P12ihipStream_tbDpT10_ENKUlT_T0_E_clISt17integral_constantIbLb0EES1J_EEDaS1E_S1F_EUlS1E_E_NS1_11comp_targetILNS1_3genE4ELNS1_11target_archE910ELNS1_3gpuE8ELNS1_3repE0EEENS1_30default_config_static_selectorELNS0_4arch9wavefront6targetE0EEEvT1_.uses_flat_scratch, 0
	.set _ZN7rocprim17ROCPRIM_400000_NS6detail17trampoline_kernelINS0_14default_configENS1_25partition_config_selectorILNS1_17partition_subalgoE6EN6thrust23THRUST_200600_302600_NS5tupleIiiNS7_9null_typeES9_S9_S9_S9_S9_S9_S9_EENS0_10empty_typeEbEEZZNS1_14partition_implILS5_6ELb0ES3_mNS7_12zip_iteratorINS8_INS7_6detail15normal_iteratorINS7_10device_ptrIiEEEESJ_S9_S9_S9_S9_S9_S9_S9_S9_EEEEPSB_SM_NS0_5tupleIJNSE_INS8_ISJ_NS7_16discard_iteratorINS7_11use_defaultEEES9_S9_S9_S9_S9_S9_S9_S9_EEEESB_EEENSN_IJSM_SM_EEESB_PlJNSF_9not_fun_tINSF_14equal_to_valueISA_EEEEEEE10hipError_tPvRmT3_T4_T5_T6_T7_T9_mT8_P12ihipStream_tbDpT10_ENKUlT_T0_E_clISt17integral_constantIbLb0EES1J_EEDaS1E_S1F_EUlS1E_E_NS1_11comp_targetILNS1_3genE4ELNS1_11target_archE910ELNS1_3gpuE8ELNS1_3repE0EEENS1_30default_config_static_selectorELNS0_4arch9wavefront6targetE0EEEvT1_.has_dyn_sized_stack, 0
	.set _ZN7rocprim17ROCPRIM_400000_NS6detail17trampoline_kernelINS0_14default_configENS1_25partition_config_selectorILNS1_17partition_subalgoE6EN6thrust23THRUST_200600_302600_NS5tupleIiiNS7_9null_typeES9_S9_S9_S9_S9_S9_S9_EENS0_10empty_typeEbEEZZNS1_14partition_implILS5_6ELb0ES3_mNS7_12zip_iteratorINS8_INS7_6detail15normal_iteratorINS7_10device_ptrIiEEEESJ_S9_S9_S9_S9_S9_S9_S9_S9_EEEEPSB_SM_NS0_5tupleIJNSE_INS8_ISJ_NS7_16discard_iteratorINS7_11use_defaultEEES9_S9_S9_S9_S9_S9_S9_S9_EEEESB_EEENSN_IJSM_SM_EEESB_PlJNSF_9not_fun_tINSF_14equal_to_valueISA_EEEEEEE10hipError_tPvRmT3_T4_T5_T6_T7_T9_mT8_P12ihipStream_tbDpT10_ENKUlT_T0_E_clISt17integral_constantIbLb0EES1J_EEDaS1E_S1F_EUlS1E_E_NS1_11comp_targetILNS1_3genE4ELNS1_11target_archE910ELNS1_3gpuE8ELNS1_3repE0EEENS1_30default_config_static_selectorELNS0_4arch9wavefront6targetE0EEEvT1_.has_recursion, 0
	.set _ZN7rocprim17ROCPRIM_400000_NS6detail17trampoline_kernelINS0_14default_configENS1_25partition_config_selectorILNS1_17partition_subalgoE6EN6thrust23THRUST_200600_302600_NS5tupleIiiNS7_9null_typeES9_S9_S9_S9_S9_S9_S9_EENS0_10empty_typeEbEEZZNS1_14partition_implILS5_6ELb0ES3_mNS7_12zip_iteratorINS8_INS7_6detail15normal_iteratorINS7_10device_ptrIiEEEESJ_S9_S9_S9_S9_S9_S9_S9_S9_EEEEPSB_SM_NS0_5tupleIJNSE_INS8_ISJ_NS7_16discard_iteratorINS7_11use_defaultEEES9_S9_S9_S9_S9_S9_S9_S9_EEEESB_EEENSN_IJSM_SM_EEESB_PlJNSF_9not_fun_tINSF_14equal_to_valueISA_EEEEEEE10hipError_tPvRmT3_T4_T5_T6_T7_T9_mT8_P12ihipStream_tbDpT10_ENKUlT_T0_E_clISt17integral_constantIbLb0EES1J_EEDaS1E_S1F_EUlS1E_E_NS1_11comp_targetILNS1_3genE4ELNS1_11target_archE910ELNS1_3gpuE8ELNS1_3repE0EEENS1_30default_config_static_selectorELNS0_4arch9wavefront6targetE0EEEvT1_.has_indirect_call, 0
	.section	.AMDGPU.csdata,"",@progbits
; Kernel info:
; codeLenInByte = 0
; TotalNumSgprs: 0
; NumVgprs: 0
; ScratchSize: 0
; MemoryBound: 0
; FloatMode: 240
; IeeeMode: 1
; LDSByteSize: 0 bytes/workgroup (compile time only)
; SGPRBlocks: 0
; VGPRBlocks: 0
; NumSGPRsForWavesPerEU: 1
; NumVGPRsForWavesPerEU: 1
; Occupancy: 16
; WaveLimiterHint : 0
; COMPUTE_PGM_RSRC2:SCRATCH_EN: 0
; COMPUTE_PGM_RSRC2:USER_SGPR: 2
; COMPUTE_PGM_RSRC2:TRAP_HANDLER: 0
; COMPUTE_PGM_RSRC2:TGID_X_EN: 1
; COMPUTE_PGM_RSRC2:TGID_Y_EN: 0
; COMPUTE_PGM_RSRC2:TGID_Z_EN: 0
; COMPUTE_PGM_RSRC2:TIDIG_COMP_CNT: 0
	.section	.text._ZN7rocprim17ROCPRIM_400000_NS6detail17trampoline_kernelINS0_14default_configENS1_25partition_config_selectorILNS1_17partition_subalgoE6EN6thrust23THRUST_200600_302600_NS5tupleIiiNS7_9null_typeES9_S9_S9_S9_S9_S9_S9_EENS0_10empty_typeEbEEZZNS1_14partition_implILS5_6ELb0ES3_mNS7_12zip_iteratorINS8_INS7_6detail15normal_iteratorINS7_10device_ptrIiEEEESJ_S9_S9_S9_S9_S9_S9_S9_S9_EEEEPSB_SM_NS0_5tupleIJNSE_INS8_ISJ_NS7_16discard_iteratorINS7_11use_defaultEEES9_S9_S9_S9_S9_S9_S9_S9_EEEESB_EEENSN_IJSM_SM_EEESB_PlJNSF_9not_fun_tINSF_14equal_to_valueISA_EEEEEEE10hipError_tPvRmT3_T4_T5_T6_T7_T9_mT8_P12ihipStream_tbDpT10_ENKUlT_T0_E_clISt17integral_constantIbLb0EES1J_EEDaS1E_S1F_EUlS1E_E_NS1_11comp_targetILNS1_3genE3ELNS1_11target_archE908ELNS1_3gpuE7ELNS1_3repE0EEENS1_30default_config_static_selectorELNS0_4arch9wavefront6targetE0EEEvT1_,"axG",@progbits,_ZN7rocprim17ROCPRIM_400000_NS6detail17trampoline_kernelINS0_14default_configENS1_25partition_config_selectorILNS1_17partition_subalgoE6EN6thrust23THRUST_200600_302600_NS5tupleIiiNS7_9null_typeES9_S9_S9_S9_S9_S9_S9_EENS0_10empty_typeEbEEZZNS1_14partition_implILS5_6ELb0ES3_mNS7_12zip_iteratorINS8_INS7_6detail15normal_iteratorINS7_10device_ptrIiEEEESJ_S9_S9_S9_S9_S9_S9_S9_S9_EEEEPSB_SM_NS0_5tupleIJNSE_INS8_ISJ_NS7_16discard_iteratorINS7_11use_defaultEEES9_S9_S9_S9_S9_S9_S9_S9_EEEESB_EEENSN_IJSM_SM_EEESB_PlJNSF_9not_fun_tINSF_14equal_to_valueISA_EEEEEEE10hipError_tPvRmT3_T4_T5_T6_T7_T9_mT8_P12ihipStream_tbDpT10_ENKUlT_T0_E_clISt17integral_constantIbLb0EES1J_EEDaS1E_S1F_EUlS1E_E_NS1_11comp_targetILNS1_3genE3ELNS1_11target_archE908ELNS1_3gpuE7ELNS1_3repE0EEENS1_30default_config_static_selectorELNS0_4arch9wavefront6targetE0EEEvT1_,comdat
	.protected	_ZN7rocprim17ROCPRIM_400000_NS6detail17trampoline_kernelINS0_14default_configENS1_25partition_config_selectorILNS1_17partition_subalgoE6EN6thrust23THRUST_200600_302600_NS5tupleIiiNS7_9null_typeES9_S9_S9_S9_S9_S9_S9_EENS0_10empty_typeEbEEZZNS1_14partition_implILS5_6ELb0ES3_mNS7_12zip_iteratorINS8_INS7_6detail15normal_iteratorINS7_10device_ptrIiEEEESJ_S9_S9_S9_S9_S9_S9_S9_S9_EEEEPSB_SM_NS0_5tupleIJNSE_INS8_ISJ_NS7_16discard_iteratorINS7_11use_defaultEEES9_S9_S9_S9_S9_S9_S9_S9_EEEESB_EEENSN_IJSM_SM_EEESB_PlJNSF_9not_fun_tINSF_14equal_to_valueISA_EEEEEEE10hipError_tPvRmT3_T4_T5_T6_T7_T9_mT8_P12ihipStream_tbDpT10_ENKUlT_T0_E_clISt17integral_constantIbLb0EES1J_EEDaS1E_S1F_EUlS1E_E_NS1_11comp_targetILNS1_3genE3ELNS1_11target_archE908ELNS1_3gpuE7ELNS1_3repE0EEENS1_30default_config_static_selectorELNS0_4arch9wavefront6targetE0EEEvT1_ ; -- Begin function _ZN7rocprim17ROCPRIM_400000_NS6detail17trampoline_kernelINS0_14default_configENS1_25partition_config_selectorILNS1_17partition_subalgoE6EN6thrust23THRUST_200600_302600_NS5tupleIiiNS7_9null_typeES9_S9_S9_S9_S9_S9_S9_EENS0_10empty_typeEbEEZZNS1_14partition_implILS5_6ELb0ES3_mNS7_12zip_iteratorINS8_INS7_6detail15normal_iteratorINS7_10device_ptrIiEEEESJ_S9_S9_S9_S9_S9_S9_S9_S9_EEEEPSB_SM_NS0_5tupleIJNSE_INS8_ISJ_NS7_16discard_iteratorINS7_11use_defaultEEES9_S9_S9_S9_S9_S9_S9_S9_EEEESB_EEENSN_IJSM_SM_EEESB_PlJNSF_9not_fun_tINSF_14equal_to_valueISA_EEEEEEE10hipError_tPvRmT3_T4_T5_T6_T7_T9_mT8_P12ihipStream_tbDpT10_ENKUlT_T0_E_clISt17integral_constantIbLb0EES1J_EEDaS1E_S1F_EUlS1E_E_NS1_11comp_targetILNS1_3genE3ELNS1_11target_archE908ELNS1_3gpuE7ELNS1_3repE0EEENS1_30default_config_static_selectorELNS0_4arch9wavefront6targetE0EEEvT1_
	.globl	_ZN7rocprim17ROCPRIM_400000_NS6detail17trampoline_kernelINS0_14default_configENS1_25partition_config_selectorILNS1_17partition_subalgoE6EN6thrust23THRUST_200600_302600_NS5tupleIiiNS7_9null_typeES9_S9_S9_S9_S9_S9_S9_EENS0_10empty_typeEbEEZZNS1_14partition_implILS5_6ELb0ES3_mNS7_12zip_iteratorINS8_INS7_6detail15normal_iteratorINS7_10device_ptrIiEEEESJ_S9_S9_S9_S9_S9_S9_S9_S9_EEEEPSB_SM_NS0_5tupleIJNSE_INS8_ISJ_NS7_16discard_iteratorINS7_11use_defaultEEES9_S9_S9_S9_S9_S9_S9_S9_EEEESB_EEENSN_IJSM_SM_EEESB_PlJNSF_9not_fun_tINSF_14equal_to_valueISA_EEEEEEE10hipError_tPvRmT3_T4_T5_T6_T7_T9_mT8_P12ihipStream_tbDpT10_ENKUlT_T0_E_clISt17integral_constantIbLb0EES1J_EEDaS1E_S1F_EUlS1E_E_NS1_11comp_targetILNS1_3genE3ELNS1_11target_archE908ELNS1_3gpuE7ELNS1_3repE0EEENS1_30default_config_static_selectorELNS0_4arch9wavefront6targetE0EEEvT1_
	.p2align	8
	.type	_ZN7rocprim17ROCPRIM_400000_NS6detail17trampoline_kernelINS0_14default_configENS1_25partition_config_selectorILNS1_17partition_subalgoE6EN6thrust23THRUST_200600_302600_NS5tupleIiiNS7_9null_typeES9_S9_S9_S9_S9_S9_S9_EENS0_10empty_typeEbEEZZNS1_14partition_implILS5_6ELb0ES3_mNS7_12zip_iteratorINS8_INS7_6detail15normal_iteratorINS7_10device_ptrIiEEEESJ_S9_S9_S9_S9_S9_S9_S9_S9_EEEEPSB_SM_NS0_5tupleIJNSE_INS8_ISJ_NS7_16discard_iteratorINS7_11use_defaultEEES9_S9_S9_S9_S9_S9_S9_S9_EEEESB_EEENSN_IJSM_SM_EEESB_PlJNSF_9not_fun_tINSF_14equal_to_valueISA_EEEEEEE10hipError_tPvRmT3_T4_T5_T6_T7_T9_mT8_P12ihipStream_tbDpT10_ENKUlT_T0_E_clISt17integral_constantIbLb0EES1J_EEDaS1E_S1F_EUlS1E_E_NS1_11comp_targetILNS1_3genE3ELNS1_11target_archE908ELNS1_3gpuE7ELNS1_3repE0EEENS1_30default_config_static_selectorELNS0_4arch9wavefront6targetE0EEEvT1_,@function
_ZN7rocprim17ROCPRIM_400000_NS6detail17trampoline_kernelINS0_14default_configENS1_25partition_config_selectorILNS1_17partition_subalgoE6EN6thrust23THRUST_200600_302600_NS5tupleIiiNS7_9null_typeES9_S9_S9_S9_S9_S9_S9_EENS0_10empty_typeEbEEZZNS1_14partition_implILS5_6ELb0ES3_mNS7_12zip_iteratorINS8_INS7_6detail15normal_iteratorINS7_10device_ptrIiEEEESJ_S9_S9_S9_S9_S9_S9_S9_S9_EEEEPSB_SM_NS0_5tupleIJNSE_INS8_ISJ_NS7_16discard_iteratorINS7_11use_defaultEEES9_S9_S9_S9_S9_S9_S9_S9_EEEESB_EEENSN_IJSM_SM_EEESB_PlJNSF_9not_fun_tINSF_14equal_to_valueISA_EEEEEEE10hipError_tPvRmT3_T4_T5_T6_T7_T9_mT8_P12ihipStream_tbDpT10_ENKUlT_T0_E_clISt17integral_constantIbLb0EES1J_EEDaS1E_S1F_EUlS1E_E_NS1_11comp_targetILNS1_3genE3ELNS1_11target_archE908ELNS1_3gpuE7ELNS1_3repE0EEENS1_30default_config_static_selectorELNS0_4arch9wavefront6targetE0EEEvT1_: ; @_ZN7rocprim17ROCPRIM_400000_NS6detail17trampoline_kernelINS0_14default_configENS1_25partition_config_selectorILNS1_17partition_subalgoE6EN6thrust23THRUST_200600_302600_NS5tupleIiiNS7_9null_typeES9_S9_S9_S9_S9_S9_S9_EENS0_10empty_typeEbEEZZNS1_14partition_implILS5_6ELb0ES3_mNS7_12zip_iteratorINS8_INS7_6detail15normal_iteratorINS7_10device_ptrIiEEEESJ_S9_S9_S9_S9_S9_S9_S9_S9_EEEEPSB_SM_NS0_5tupleIJNSE_INS8_ISJ_NS7_16discard_iteratorINS7_11use_defaultEEES9_S9_S9_S9_S9_S9_S9_S9_EEEESB_EEENSN_IJSM_SM_EEESB_PlJNSF_9not_fun_tINSF_14equal_to_valueISA_EEEEEEE10hipError_tPvRmT3_T4_T5_T6_T7_T9_mT8_P12ihipStream_tbDpT10_ENKUlT_T0_E_clISt17integral_constantIbLb0EES1J_EEDaS1E_S1F_EUlS1E_E_NS1_11comp_targetILNS1_3genE3ELNS1_11target_archE908ELNS1_3gpuE7ELNS1_3repE0EEENS1_30default_config_static_selectorELNS0_4arch9wavefront6targetE0EEEvT1_
; %bb.0:
	.section	.rodata,"a",@progbits
	.p2align	6, 0x0
	.amdhsa_kernel _ZN7rocprim17ROCPRIM_400000_NS6detail17trampoline_kernelINS0_14default_configENS1_25partition_config_selectorILNS1_17partition_subalgoE6EN6thrust23THRUST_200600_302600_NS5tupleIiiNS7_9null_typeES9_S9_S9_S9_S9_S9_S9_EENS0_10empty_typeEbEEZZNS1_14partition_implILS5_6ELb0ES3_mNS7_12zip_iteratorINS8_INS7_6detail15normal_iteratorINS7_10device_ptrIiEEEESJ_S9_S9_S9_S9_S9_S9_S9_S9_EEEEPSB_SM_NS0_5tupleIJNSE_INS8_ISJ_NS7_16discard_iteratorINS7_11use_defaultEEES9_S9_S9_S9_S9_S9_S9_S9_EEEESB_EEENSN_IJSM_SM_EEESB_PlJNSF_9not_fun_tINSF_14equal_to_valueISA_EEEEEEE10hipError_tPvRmT3_T4_T5_T6_T7_T9_mT8_P12ihipStream_tbDpT10_ENKUlT_T0_E_clISt17integral_constantIbLb0EES1J_EEDaS1E_S1F_EUlS1E_E_NS1_11comp_targetILNS1_3genE3ELNS1_11target_archE908ELNS1_3gpuE7ELNS1_3repE0EEENS1_30default_config_static_selectorELNS0_4arch9wavefront6targetE0EEEvT1_
		.amdhsa_group_segment_fixed_size 0
		.amdhsa_private_segment_fixed_size 0
		.amdhsa_kernarg_size 144
		.amdhsa_user_sgpr_count 2
		.amdhsa_user_sgpr_dispatch_ptr 0
		.amdhsa_user_sgpr_queue_ptr 0
		.amdhsa_user_sgpr_kernarg_segment_ptr 1
		.amdhsa_user_sgpr_dispatch_id 0
		.amdhsa_user_sgpr_private_segment_size 0
		.amdhsa_wavefront_size32 1
		.amdhsa_uses_dynamic_stack 0
		.amdhsa_enable_private_segment 0
		.amdhsa_system_sgpr_workgroup_id_x 1
		.amdhsa_system_sgpr_workgroup_id_y 0
		.amdhsa_system_sgpr_workgroup_id_z 0
		.amdhsa_system_sgpr_workgroup_info 0
		.amdhsa_system_vgpr_workitem_id 0
		.amdhsa_next_free_vgpr 1
		.amdhsa_next_free_sgpr 1
		.amdhsa_reserve_vcc 0
		.amdhsa_float_round_mode_32 0
		.amdhsa_float_round_mode_16_64 0
		.amdhsa_float_denorm_mode_32 3
		.amdhsa_float_denorm_mode_16_64 3
		.amdhsa_fp16_overflow 0
		.amdhsa_workgroup_processor_mode 1
		.amdhsa_memory_ordered 1
		.amdhsa_forward_progress 1
		.amdhsa_inst_pref_size 0
		.amdhsa_round_robin_scheduling 0
		.amdhsa_exception_fp_ieee_invalid_op 0
		.amdhsa_exception_fp_denorm_src 0
		.amdhsa_exception_fp_ieee_div_zero 0
		.amdhsa_exception_fp_ieee_overflow 0
		.amdhsa_exception_fp_ieee_underflow 0
		.amdhsa_exception_fp_ieee_inexact 0
		.amdhsa_exception_int_div_zero 0
	.end_amdhsa_kernel
	.section	.text._ZN7rocprim17ROCPRIM_400000_NS6detail17trampoline_kernelINS0_14default_configENS1_25partition_config_selectorILNS1_17partition_subalgoE6EN6thrust23THRUST_200600_302600_NS5tupleIiiNS7_9null_typeES9_S9_S9_S9_S9_S9_S9_EENS0_10empty_typeEbEEZZNS1_14partition_implILS5_6ELb0ES3_mNS7_12zip_iteratorINS8_INS7_6detail15normal_iteratorINS7_10device_ptrIiEEEESJ_S9_S9_S9_S9_S9_S9_S9_S9_EEEEPSB_SM_NS0_5tupleIJNSE_INS8_ISJ_NS7_16discard_iteratorINS7_11use_defaultEEES9_S9_S9_S9_S9_S9_S9_S9_EEEESB_EEENSN_IJSM_SM_EEESB_PlJNSF_9not_fun_tINSF_14equal_to_valueISA_EEEEEEE10hipError_tPvRmT3_T4_T5_T6_T7_T9_mT8_P12ihipStream_tbDpT10_ENKUlT_T0_E_clISt17integral_constantIbLb0EES1J_EEDaS1E_S1F_EUlS1E_E_NS1_11comp_targetILNS1_3genE3ELNS1_11target_archE908ELNS1_3gpuE7ELNS1_3repE0EEENS1_30default_config_static_selectorELNS0_4arch9wavefront6targetE0EEEvT1_,"axG",@progbits,_ZN7rocprim17ROCPRIM_400000_NS6detail17trampoline_kernelINS0_14default_configENS1_25partition_config_selectorILNS1_17partition_subalgoE6EN6thrust23THRUST_200600_302600_NS5tupleIiiNS7_9null_typeES9_S9_S9_S9_S9_S9_S9_EENS0_10empty_typeEbEEZZNS1_14partition_implILS5_6ELb0ES3_mNS7_12zip_iteratorINS8_INS7_6detail15normal_iteratorINS7_10device_ptrIiEEEESJ_S9_S9_S9_S9_S9_S9_S9_S9_EEEEPSB_SM_NS0_5tupleIJNSE_INS8_ISJ_NS7_16discard_iteratorINS7_11use_defaultEEES9_S9_S9_S9_S9_S9_S9_S9_EEEESB_EEENSN_IJSM_SM_EEESB_PlJNSF_9not_fun_tINSF_14equal_to_valueISA_EEEEEEE10hipError_tPvRmT3_T4_T5_T6_T7_T9_mT8_P12ihipStream_tbDpT10_ENKUlT_T0_E_clISt17integral_constantIbLb0EES1J_EEDaS1E_S1F_EUlS1E_E_NS1_11comp_targetILNS1_3genE3ELNS1_11target_archE908ELNS1_3gpuE7ELNS1_3repE0EEENS1_30default_config_static_selectorELNS0_4arch9wavefront6targetE0EEEvT1_,comdat
.Lfunc_end2016:
	.size	_ZN7rocprim17ROCPRIM_400000_NS6detail17trampoline_kernelINS0_14default_configENS1_25partition_config_selectorILNS1_17partition_subalgoE6EN6thrust23THRUST_200600_302600_NS5tupleIiiNS7_9null_typeES9_S9_S9_S9_S9_S9_S9_EENS0_10empty_typeEbEEZZNS1_14partition_implILS5_6ELb0ES3_mNS7_12zip_iteratorINS8_INS7_6detail15normal_iteratorINS7_10device_ptrIiEEEESJ_S9_S9_S9_S9_S9_S9_S9_S9_EEEEPSB_SM_NS0_5tupleIJNSE_INS8_ISJ_NS7_16discard_iteratorINS7_11use_defaultEEES9_S9_S9_S9_S9_S9_S9_S9_EEEESB_EEENSN_IJSM_SM_EEESB_PlJNSF_9not_fun_tINSF_14equal_to_valueISA_EEEEEEE10hipError_tPvRmT3_T4_T5_T6_T7_T9_mT8_P12ihipStream_tbDpT10_ENKUlT_T0_E_clISt17integral_constantIbLb0EES1J_EEDaS1E_S1F_EUlS1E_E_NS1_11comp_targetILNS1_3genE3ELNS1_11target_archE908ELNS1_3gpuE7ELNS1_3repE0EEENS1_30default_config_static_selectorELNS0_4arch9wavefront6targetE0EEEvT1_, .Lfunc_end2016-_ZN7rocprim17ROCPRIM_400000_NS6detail17trampoline_kernelINS0_14default_configENS1_25partition_config_selectorILNS1_17partition_subalgoE6EN6thrust23THRUST_200600_302600_NS5tupleIiiNS7_9null_typeES9_S9_S9_S9_S9_S9_S9_EENS0_10empty_typeEbEEZZNS1_14partition_implILS5_6ELb0ES3_mNS7_12zip_iteratorINS8_INS7_6detail15normal_iteratorINS7_10device_ptrIiEEEESJ_S9_S9_S9_S9_S9_S9_S9_S9_EEEEPSB_SM_NS0_5tupleIJNSE_INS8_ISJ_NS7_16discard_iteratorINS7_11use_defaultEEES9_S9_S9_S9_S9_S9_S9_S9_EEEESB_EEENSN_IJSM_SM_EEESB_PlJNSF_9not_fun_tINSF_14equal_to_valueISA_EEEEEEE10hipError_tPvRmT3_T4_T5_T6_T7_T9_mT8_P12ihipStream_tbDpT10_ENKUlT_T0_E_clISt17integral_constantIbLb0EES1J_EEDaS1E_S1F_EUlS1E_E_NS1_11comp_targetILNS1_3genE3ELNS1_11target_archE908ELNS1_3gpuE7ELNS1_3repE0EEENS1_30default_config_static_selectorELNS0_4arch9wavefront6targetE0EEEvT1_
                                        ; -- End function
	.set _ZN7rocprim17ROCPRIM_400000_NS6detail17trampoline_kernelINS0_14default_configENS1_25partition_config_selectorILNS1_17partition_subalgoE6EN6thrust23THRUST_200600_302600_NS5tupleIiiNS7_9null_typeES9_S9_S9_S9_S9_S9_S9_EENS0_10empty_typeEbEEZZNS1_14partition_implILS5_6ELb0ES3_mNS7_12zip_iteratorINS8_INS7_6detail15normal_iteratorINS7_10device_ptrIiEEEESJ_S9_S9_S9_S9_S9_S9_S9_S9_EEEEPSB_SM_NS0_5tupleIJNSE_INS8_ISJ_NS7_16discard_iteratorINS7_11use_defaultEEES9_S9_S9_S9_S9_S9_S9_S9_EEEESB_EEENSN_IJSM_SM_EEESB_PlJNSF_9not_fun_tINSF_14equal_to_valueISA_EEEEEEE10hipError_tPvRmT3_T4_T5_T6_T7_T9_mT8_P12ihipStream_tbDpT10_ENKUlT_T0_E_clISt17integral_constantIbLb0EES1J_EEDaS1E_S1F_EUlS1E_E_NS1_11comp_targetILNS1_3genE3ELNS1_11target_archE908ELNS1_3gpuE7ELNS1_3repE0EEENS1_30default_config_static_selectorELNS0_4arch9wavefront6targetE0EEEvT1_.num_vgpr, 0
	.set _ZN7rocprim17ROCPRIM_400000_NS6detail17trampoline_kernelINS0_14default_configENS1_25partition_config_selectorILNS1_17partition_subalgoE6EN6thrust23THRUST_200600_302600_NS5tupleIiiNS7_9null_typeES9_S9_S9_S9_S9_S9_S9_EENS0_10empty_typeEbEEZZNS1_14partition_implILS5_6ELb0ES3_mNS7_12zip_iteratorINS8_INS7_6detail15normal_iteratorINS7_10device_ptrIiEEEESJ_S9_S9_S9_S9_S9_S9_S9_S9_EEEEPSB_SM_NS0_5tupleIJNSE_INS8_ISJ_NS7_16discard_iteratorINS7_11use_defaultEEES9_S9_S9_S9_S9_S9_S9_S9_EEEESB_EEENSN_IJSM_SM_EEESB_PlJNSF_9not_fun_tINSF_14equal_to_valueISA_EEEEEEE10hipError_tPvRmT3_T4_T5_T6_T7_T9_mT8_P12ihipStream_tbDpT10_ENKUlT_T0_E_clISt17integral_constantIbLb0EES1J_EEDaS1E_S1F_EUlS1E_E_NS1_11comp_targetILNS1_3genE3ELNS1_11target_archE908ELNS1_3gpuE7ELNS1_3repE0EEENS1_30default_config_static_selectorELNS0_4arch9wavefront6targetE0EEEvT1_.num_agpr, 0
	.set _ZN7rocprim17ROCPRIM_400000_NS6detail17trampoline_kernelINS0_14default_configENS1_25partition_config_selectorILNS1_17partition_subalgoE6EN6thrust23THRUST_200600_302600_NS5tupleIiiNS7_9null_typeES9_S9_S9_S9_S9_S9_S9_EENS0_10empty_typeEbEEZZNS1_14partition_implILS5_6ELb0ES3_mNS7_12zip_iteratorINS8_INS7_6detail15normal_iteratorINS7_10device_ptrIiEEEESJ_S9_S9_S9_S9_S9_S9_S9_S9_EEEEPSB_SM_NS0_5tupleIJNSE_INS8_ISJ_NS7_16discard_iteratorINS7_11use_defaultEEES9_S9_S9_S9_S9_S9_S9_S9_EEEESB_EEENSN_IJSM_SM_EEESB_PlJNSF_9not_fun_tINSF_14equal_to_valueISA_EEEEEEE10hipError_tPvRmT3_T4_T5_T6_T7_T9_mT8_P12ihipStream_tbDpT10_ENKUlT_T0_E_clISt17integral_constantIbLb0EES1J_EEDaS1E_S1F_EUlS1E_E_NS1_11comp_targetILNS1_3genE3ELNS1_11target_archE908ELNS1_3gpuE7ELNS1_3repE0EEENS1_30default_config_static_selectorELNS0_4arch9wavefront6targetE0EEEvT1_.numbered_sgpr, 0
	.set _ZN7rocprim17ROCPRIM_400000_NS6detail17trampoline_kernelINS0_14default_configENS1_25partition_config_selectorILNS1_17partition_subalgoE6EN6thrust23THRUST_200600_302600_NS5tupleIiiNS7_9null_typeES9_S9_S9_S9_S9_S9_S9_EENS0_10empty_typeEbEEZZNS1_14partition_implILS5_6ELb0ES3_mNS7_12zip_iteratorINS8_INS7_6detail15normal_iteratorINS7_10device_ptrIiEEEESJ_S9_S9_S9_S9_S9_S9_S9_S9_EEEEPSB_SM_NS0_5tupleIJNSE_INS8_ISJ_NS7_16discard_iteratorINS7_11use_defaultEEES9_S9_S9_S9_S9_S9_S9_S9_EEEESB_EEENSN_IJSM_SM_EEESB_PlJNSF_9not_fun_tINSF_14equal_to_valueISA_EEEEEEE10hipError_tPvRmT3_T4_T5_T6_T7_T9_mT8_P12ihipStream_tbDpT10_ENKUlT_T0_E_clISt17integral_constantIbLb0EES1J_EEDaS1E_S1F_EUlS1E_E_NS1_11comp_targetILNS1_3genE3ELNS1_11target_archE908ELNS1_3gpuE7ELNS1_3repE0EEENS1_30default_config_static_selectorELNS0_4arch9wavefront6targetE0EEEvT1_.num_named_barrier, 0
	.set _ZN7rocprim17ROCPRIM_400000_NS6detail17trampoline_kernelINS0_14default_configENS1_25partition_config_selectorILNS1_17partition_subalgoE6EN6thrust23THRUST_200600_302600_NS5tupleIiiNS7_9null_typeES9_S9_S9_S9_S9_S9_S9_EENS0_10empty_typeEbEEZZNS1_14partition_implILS5_6ELb0ES3_mNS7_12zip_iteratorINS8_INS7_6detail15normal_iteratorINS7_10device_ptrIiEEEESJ_S9_S9_S9_S9_S9_S9_S9_S9_EEEEPSB_SM_NS0_5tupleIJNSE_INS8_ISJ_NS7_16discard_iteratorINS7_11use_defaultEEES9_S9_S9_S9_S9_S9_S9_S9_EEEESB_EEENSN_IJSM_SM_EEESB_PlJNSF_9not_fun_tINSF_14equal_to_valueISA_EEEEEEE10hipError_tPvRmT3_T4_T5_T6_T7_T9_mT8_P12ihipStream_tbDpT10_ENKUlT_T0_E_clISt17integral_constantIbLb0EES1J_EEDaS1E_S1F_EUlS1E_E_NS1_11comp_targetILNS1_3genE3ELNS1_11target_archE908ELNS1_3gpuE7ELNS1_3repE0EEENS1_30default_config_static_selectorELNS0_4arch9wavefront6targetE0EEEvT1_.private_seg_size, 0
	.set _ZN7rocprim17ROCPRIM_400000_NS6detail17trampoline_kernelINS0_14default_configENS1_25partition_config_selectorILNS1_17partition_subalgoE6EN6thrust23THRUST_200600_302600_NS5tupleIiiNS7_9null_typeES9_S9_S9_S9_S9_S9_S9_EENS0_10empty_typeEbEEZZNS1_14partition_implILS5_6ELb0ES3_mNS7_12zip_iteratorINS8_INS7_6detail15normal_iteratorINS7_10device_ptrIiEEEESJ_S9_S9_S9_S9_S9_S9_S9_S9_EEEEPSB_SM_NS0_5tupleIJNSE_INS8_ISJ_NS7_16discard_iteratorINS7_11use_defaultEEES9_S9_S9_S9_S9_S9_S9_S9_EEEESB_EEENSN_IJSM_SM_EEESB_PlJNSF_9not_fun_tINSF_14equal_to_valueISA_EEEEEEE10hipError_tPvRmT3_T4_T5_T6_T7_T9_mT8_P12ihipStream_tbDpT10_ENKUlT_T0_E_clISt17integral_constantIbLb0EES1J_EEDaS1E_S1F_EUlS1E_E_NS1_11comp_targetILNS1_3genE3ELNS1_11target_archE908ELNS1_3gpuE7ELNS1_3repE0EEENS1_30default_config_static_selectorELNS0_4arch9wavefront6targetE0EEEvT1_.uses_vcc, 0
	.set _ZN7rocprim17ROCPRIM_400000_NS6detail17trampoline_kernelINS0_14default_configENS1_25partition_config_selectorILNS1_17partition_subalgoE6EN6thrust23THRUST_200600_302600_NS5tupleIiiNS7_9null_typeES9_S9_S9_S9_S9_S9_S9_EENS0_10empty_typeEbEEZZNS1_14partition_implILS5_6ELb0ES3_mNS7_12zip_iteratorINS8_INS7_6detail15normal_iteratorINS7_10device_ptrIiEEEESJ_S9_S9_S9_S9_S9_S9_S9_S9_EEEEPSB_SM_NS0_5tupleIJNSE_INS8_ISJ_NS7_16discard_iteratorINS7_11use_defaultEEES9_S9_S9_S9_S9_S9_S9_S9_EEEESB_EEENSN_IJSM_SM_EEESB_PlJNSF_9not_fun_tINSF_14equal_to_valueISA_EEEEEEE10hipError_tPvRmT3_T4_T5_T6_T7_T9_mT8_P12ihipStream_tbDpT10_ENKUlT_T0_E_clISt17integral_constantIbLb0EES1J_EEDaS1E_S1F_EUlS1E_E_NS1_11comp_targetILNS1_3genE3ELNS1_11target_archE908ELNS1_3gpuE7ELNS1_3repE0EEENS1_30default_config_static_selectorELNS0_4arch9wavefront6targetE0EEEvT1_.uses_flat_scratch, 0
	.set _ZN7rocprim17ROCPRIM_400000_NS6detail17trampoline_kernelINS0_14default_configENS1_25partition_config_selectorILNS1_17partition_subalgoE6EN6thrust23THRUST_200600_302600_NS5tupleIiiNS7_9null_typeES9_S9_S9_S9_S9_S9_S9_EENS0_10empty_typeEbEEZZNS1_14partition_implILS5_6ELb0ES3_mNS7_12zip_iteratorINS8_INS7_6detail15normal_iteratorINS7_10device_ptrIiEEEESJ_S9_S9_S9_S9_S9_S9_S9_S9_EEEEPSB_SM_NS0_5tupleIJNSE_INS8_ISJ_NS7_16discard_iteratorINS7_11use_defaultEEES9_S9_S9_S9_S9_S9_S9_S9_EEEESB_EEENSN_IJSM_SM_EEESB_PlJNSF_9not_fun_tINSF_14equal_to_valueISA_EEEEEEE10hipError_tPvRmT3_T4_T5_T6_T7_T9_mT8_P12ihipStream_tbDpT10_ENKUlT_T0_E_clISt17integral_constantIbLb0EES1J_EEDaS1E_S1F_EUlS1E_E_NS1_11comp_targetILNS1_3genE3ELNS1_11target_archE908ELNS1_3gpuE7ELNS1_3repE0EEENS1_30default_config_static_selectorELNS0_4arch9wavefront6targetE0EEEvT1_.has_dyn_sized_stack, 0
	.set _ZN7rocprim17ROCPRIM_400000_NS6detail17trampoline_kernelINS0_14default_configENS1_25partition_config_selectorILNS1_17partition_subalgoE6EN6thrust23THRUST_200600_302600_NS5tupleIiiNS7_9null_typeES9_S9_S9_S9_S9_S9_S9_EENS0_10empty_typeEbEEZZNS1_14partition_implILS5_6ELb0ES3_mNS7_12zip_iteratorINS8_INS7_6detail15normal_iteratorINS7_10device_ptrIiEEEESJ_S9_S9_S9_S9_S9_S9_S9_S9_EEEEPSB_SM_NS0_5tupleIJNSE_INS8_ISJ_NS7_16discard_iteratorINS7_11use_defaultEEES9_S9_S9_S9_S9_S9_S9_S9_EEEESB_EEENSN_IJSM_SM_EEESB_PlJNSF_9not_fun_tINSF_14equal_to_valueISA_EEEEEEE10hipError_tPvRmT3_T4_T5_T6_T7_T9_mT8_P12ihipStream_tbDpT10_ENKUlT_T0_E_clISt17integral_constantIbLb0EES1J_EEDaS1E_S1F_EUlS1E_E_NS1_11comp_targetILNS1_3genE3ELNS1_11target_archE908ELNS1_3gpuE7ELNS1_3repE0EEENS1_30default_config_static_selectorELNS0_4arch9wavefront6targetE0EEEvT1_.has_recursion, 0
	.set _ZN7rocprim17ROCPRIM_400000_NS6detail17trampoline_kernelINS0_14default_configENS1_25partition_config_selectorILNS1_17partition_subalgoE6EN6thrust23THRUST_200600_302600_NS5tupleIiiNS7_9null_typeES9_S9_S9_S9_S9_S9_S9_EENS0_10empty_typeEbEEZZNS1_14partition_implILS5_6ELb0ES3_mNS7_12zip_iteratorINS8_INS7_6detail15normal_iteratorINS7_10device_ptrIiEEEESJ_S9_S9_S9_S9_S9_S9_S9_S9_EEEEPSB_SM_NS0_5tupleIJNSE_INS8_ISJ_NS7_16discard_iteratorINS7_11use_defaultEEES9_S9_S9_S9_S9_S9_S9_S9_EEEESB_EEENSN_IJSM_SM_EEESB_PlJNSF_9not_fun_tINSF_14equal_to_valueISA_EEEEEEE10hipError_tPvRmT3_T4_T5_T6_T7_T9_mT8_P12ihipStream_tbDpT10_ENKUlT_T0_E_clISt17integral_constantIbLb0EES1J_EEDaS1E_S1F_EUlS1E_E_NS1_11comp_targetILNS1_3genE3ELNS1_11target_archE908ELNS1_3gpuE7ELNS1_3repE0EEENS1_30default_config_static_selectorELNS0_4arch9wavefront6targetE0EEEvT1_.has_indirect_call, 0
	.section	.AMDGPU.csdata,"",@progbits
; Kernel info:
; codeLenInByte = 0
; TotalNumSgprs: 0
; NumVgprs: 0
; ScratchSize: 0
; MemoryBound: 0
; FloatMode: 240
; IeeeMode: 1
; LDSByteSize: 0 bytes/workgroup (compile time only)
; SGPRBlocks: 0
; VGPRBlocks: 0
; NumSGPRsForWavesPerEU: 1
; NumVGPRsForWavesPerEU: 1
; Occupancy: 16
; WaveLimiterHint : 0
; COMPUTE_PGM_RSRC2:SCRATCH_EN: 0
; COMPUTE_PGM_RSRC2:USER_SGPR: 2
; COMPUTE_PGM_RSRC2:TRAP_HANDLER: 0
; COMPUTE_PGM_RSRC2:TGID_X_EN: 1
; COMPUTE_PGM_RSRC2:TGID_Y_EN: 0
; COMPUTE_PGM_RSRC2:TGID_Z_EN: 0
; COMPUTE_PGM_RSRC2:TIDIG_COMP_CNT: 0
	.section	.text._ZN7rocprim17ROCPRIM_400000_NS6detail17trampoline_kernelINS0_14default_configENS1_25partition_config_selectorILNS1_17partition_subalgoE6EN6thrust23THRUST_200600_302600_NS5tupleIiiNS7_9null_typeES9_S9_S9_S9_S9_S9_S9_EENS0_10empty_typeEbEEZZNS1_14partition_implILS5_6ELb0ES3_mNS7_12zip_iteratorINS8_INS7_6detail15normal_iteratorINS7_10device_ptrIiEEEESJ_S9_S9_S9_S9_S9_S9_S9_S9_EEEEPSB_SM_NS0_5tupleIJNSE_INS8_ISJ_NS7_16discard_iteratorINS7_11use_defaultEEES9_S9_S9_S9_S9_S9_S9_S9_EEEESB_EEENSN_IJSM_SM_EEESB_PlJNSF_9not_fun_tINSF_14equal_to_valueISA_EEEEEEE10hipError_tPvRmT3_T4_T5_T6_T7_T9_mT8_P12ihipStream_tbDpT10_ENKUlT_T0_E_clISt17integral_constantIbLb0EES1J_EEDaS1E_S1F_EUlS1E_E_NS1_11comp_targetILNS1_3genE2ELNS1_11target_archE906ELNS1_3gpuE6ELNS1_3repE0EEENS1_30default_config_static_selectorELNS0_4arch9wavefront6targetE0EEEvT1_,"axG",@progbits,_ZN7rocprim17ROCPRIM_400000_NS6detail17trampoline_kernelINS0_14default_configENS1_25partition_config_selectorILNS1_17partition_subalgoE6EN6thrust23THRUST_200600_302600_NS5tupleIiiNS7_9null_typeES9_S9_S9_S9_S9_S9_S9_EENS0_10empty_typeEbEEZZNS1_14partition_implILS5_6ELb0ES3_mNS7_12zip_iteratorINS8_INS7_6detail15normal_iteratorINS7_10device_ptrIiEEEESJ_S9_S9_S9_S9_S9_S9_S9_S9_EEEEPSB_SM_NS0_5tupleIJNSE_INS8_ISJ_NS7_16discard_iteratorINS7_11use_defaultEEES9_S9_S9_S9_S9_S9_S9_S9_EEEESB_EEENSN_IJSM_SM_EEESB_PlJNSF_9not_fun_tINSF_14equal_to_valueISA_EEEEEEE10hipError_tPvRmT3_T4_T5_T6_T7_T9_mT8_P12ihipStream_tbDpT10_ENKUlT_T0_E_clISt17integral_constantIbLb0EES1J_EEDaS1E_S1F_EUlS1E_E_NS1_11comp_targetILNS1_3genE2ELNS1_11target_archE906ELNS1_3gpuE6ELNS1_3repE0EEENS1_30default_config_static_selectorELNS0_4arch9wavefront6targetE0EEEvT1_,comdat
	.protected	_ZN7rocprim17ROCPRIM_400000_NS6detail17trampoline_kernelINS0_14default_configENS1_25partition_config_selectorILNS1_17partition_subalgoE6EN6thrust23THRUST_200600_302600_NS5tupleIiiNS7_9null_typeES9_S9_S9_S9_S9_S9_S9_EENS0_10empty_typeEbEEZZNS1_14partition_implILS5_6ELb0ES3_mNS7_12zip_iteratorINS8_INS7_6detail15normal_iteratorINS7_10device_ptrIiEEEESJ_S9_S9_S9_S9_S9_S9_S9_S9_EEEEPSB_SM_NS0_5tupleIJNSE_INS8_ISJ_NS7_16discard_iteratorINS7_11use_defaultEEES9_S9_S9_S9_S9_S9_S9_S9_EEEESB_EEENSN_IJSM_SM_EEESB_PlJNSF_9not_fun_tINSF_14equal_to_valueISA_EEEEEEE10hipError_tPvRmT3_T4_T5_T6_T7_T9_mT8_P12ihipStream_tbDpT10_ENKUlT_T0_E_clISt17integral_constantIbLb0EES1J_EEDaS1E_S1F_EUlS1E_E_NS1_11comp_targetILNS1_3genE2ELNS1_11target_archE906ELNS1_3gpuE6ELNS1_3repE0EEENS1_30default_config_static_selectorELNS0_4arch9wavefront6targetE0EEEvT1_ ; -- Begin function _ZN7rocprim17ROCPRIM_400000_NS6detail17trampoline_kernelINS0_14default_configENS1_25partition_config_selectorILNS1_17partition_subalgoE6EN6thrust23THRUST_200600_302600_NS5tupleIiiNS7_9null_typeES9_S9_S9_S9_S9_S9_S9_EENS0_10empty_typeEbEEZZNS1_14partition_implILS5_6ELb0ES3_mNS7_12zip_iteratorINS8_INS7_6detail15normal_iteratorINS7_10device_ptrIiEEEESJ_S9_S9_S9_S9_S9_S9_S9_S9_EEEEPSB_SM_NS0_5tupleIJNSE_INS8_ISJ_NS7_16discard_iteratorINS7_11use_defaultEEES9_S9_S9_S9_S9_S9_S9_S9_EEEESB_EEENSN_IJSM_SM_EEESB_PlJNSF_9not_fun_tINSF_14equal_to_valueISA_EEEEEEE10hipError_tPvRmT3_T4_T5_T6_T7_T9_mT8_P12ihipStream_tbDpT10_ENKUlT_T0_E_clISt17integral_constantIbLb0EES1J_EEDaS1E_S1F_EUlS1E_E_NS1_11comp_targetILNS1_3genE2ELNS1_11target_archE906ELNS1_3gpuE6ELNS1_3repE0EEENS1_30default_config_static_selectorELNS0_4arch9wavefront6targetE0EEEvT1_
	.globl	_ZN7rocprim17ROCPRIM_400000_NS6detail17trampoline_kernelINS0_14default_configENS1_25partition_config_selectorILNS1_17partition_subalgoE6EN6thrust23THRUST_200600_302600_NS5tupleIiiNS7_9null_typeES9_S9_S9_S9_S9_S9_S9_EENS0_10empty_typeEbEEZZNS1_14partition_implILS5_6ELb0ES3_mNS7_12zip_iteratorINS8_INS7_6detail15normal_iteratorINS7_10device_ptrIiEEEESJ_S9_S9_S9_S9_S9_S9_S9_S9_EEEEPSB_SM_NS0_5tupleIJNSE_INS8_ISJ_NS7_16discard_iteratorINS7_11use_defaultEEES9_S9_S9_S9_S9_S9_S9_S9_EEEESB_EEENSN_IJSM_SM_EEESB_PlJNSF_9not_fun_tINSF_14equal_to_valueISA_EEEEEEE10hipError_tPvRmT3_T4_T5_T6_T7_T9_mT8_P12ihipStream_tbDpT10_ENKUlT_T0_E_clISt17integral_constantIbLb0EES1J_EEDaS1E_S1F_EUlS1E_E_NS1_11comp_targetILNS1_3genE2ELNS1_11target_archE906ELNS1_3gpuE6ELNS1_3repE0EEENS1_30default_config_static_selectorELNS0_4arch9wavefront6targetE0EEEvT1_
	.p2align	8
	.type	_ZN7rocprim17ROCPRIM_400000_NS6detail17trampoline_kernelINS0_14default_configENS1_25partition_config_selectorILNS1_17partition_subalgoE6EN6thrust23THRUST_200600_302600_NS5tupleIiiNS7_9null_typeES9_S9_S9_S9_S9_S9_S9_EENS0_10empty_typeEbEEZZNS1_14partition_implILS5_6ELb0ES3_mNS7_12zip_iteratorINS8_INS7_6detail15normal_iteratorINS7_10device_ptrIiEEEESJ_S9_S9_S9_S9_S9_S9_S9_S9_EEEEPSB_SM_NS0_5tupleIJNSE_INS8_ISJ_NS7_16discard_iteratorINS7_11use_defaultEEES9_S9_S9_S9_S9_S9_S9_S9_EEEESB_EEENSN_IJSM_SM_EEESB_PlJNSF_9not_fun_tINSF_14equal_to_valueISA_EEEEEEE10hipError_tPvRmT3_T4_T5_T6_T7_T9_mT8_P12ihipStream_tbDpT10_ENKUlT_T0_E_clISt17integral_constantIbLb0EES1J_EEDaS1E_S1F_EUlS1E_E_NS1_11comp_targetILNS1_3genE2ELNS1_11target_archE906ELNS1_3gpuE6ELNS1_3repE0EEENS1_30default_config_static_selectorELNS0_4arch9wavefront6targetE0EEEvT1_,@function
_ZN7rocprim17ROCPRIM_400000_NS6detail17trampoline_kernelINS0_14default_configENS1_25partition_config_selectorILNS1_17partition_subalgoE6EN6thrust23THRUST_200600_302600_NS5tupleIiiNS7_9null_typeES9_S9_S9_S9_S9_S9_S9_EENS0_10empty_typeEbEEZZNS1_14partition_implILS5_6ELb0ES3_mNS7_12zip_iteratorINS8_INS7_6detail15normal_iteratorINS7_10device_ptrIiEEEESJ_S9_S9_S9_S9_S9_S9_S9_S9_EEEEPSB_SM_NS0_5tupleIJNSE_INS8_ISJ_NS7_16discard_iteratorINS7_11use_defaultEEES9_S9_S9_S9_S9_S9_S9_S9_EEEESB_EEENSN_IJSM_SM_EEESB_PlJNSF_9not_fun_tINSF_14equal_to_valueISA_EEEEEEE10hipError_tPvRmT3_T4_T5_T6_T7_T9_mT8_P12ihipStream_tbDpT10_ENKUlT_T0_E_clISt17integral_constantIbLb0EES1J_EEDaS1E_S1F_EUlS1E_E_NS1_11comp_targetILNS1_3genE2ELNS1_11target_archE906ELNS1_3gpuE6ELNS1_3repE0EEENS1_30default_config_static_selectorELNS0_4arch9wavefront6targetE0EEEvT1_: ; @_ZN7rocprim17ROCPRIM_400000_NS6detail17trampoline_kernelINS0_14default_configENS1_25partition_config_selectorILNS1_17partition_subalgoE6EN6thrust23THRUST_200600_302600_NS5tupleIiiNS7_9null_typeES9_S9_S9_S9_S9_S9_S9_EENS0_10empty_typeEbEEZZNS1_14partition_implILS5_6ELb0ES3_mNS7_12zip_iteratorINS8_INS7_6detail15normal_iteratorINS7_10device_ptrIiEEEESJ_S9_S9_S9_S9_S9_S9_S9_S9_EEEEPSB_SM_NS0_5tupleIJNSE_INS8_ISJ_NS7_16discard_iteratorINS7_11use_defaultEEES9_S9_S9_S9_S9_S9_S9_S9_EEEESB_EEENSN_IJSM_SM_EEESB_PlJNSF_9not_fun_tINSF_14equal_to_valueISA_EEEEEEE10hipError_tPvRmT3_T4_T5_T6_T7_T9_mT8_P12ihipStream_tbDpT10_ENKUlT_T0_E_clISt17integral_constantIbLb0EES1J_EEDaS1E_S1F_EUlS1E_E_NS1_11comp_targetILNS1_3genE2ELNS1_11target_archE906ELNS1_3gpuE6ELNS1_3repE0EEENS1_30default_config_static_selectorELNS0_4arch9wavefront6targetE0EEEvT1_
; %bb.0:
	.section	.rodata,"a",@progbits
	.p2align	6, 0x0
	.amdhsa_kernel _ZN7rocprim17ROCPRIM_400000_NS6detail17trampoline_kernelINS0_14default_configENS1_25partition_config_selectorILNS1_17partition_subalgoE6EN6thrust23THRUST_200600_302600_NS5tupleIiiNS7_9null_typeES9_S9_S9_S9_S9_S9_S9_EENS0_10empty_typeEbEEZZNS1_14partition_implILS5_6ELb0ES3_mNS7_12zip_iteratorINS8_INS7_6detail15normal_iteratorINS7_10device_ptrIiEEEESJ_S9_S9_S9_S9_S9_S9_S9_S9_EEEEPSB_SM_NS0_5tupleIJNSE_INS8_ISJ_NS7_16discard_iteratorINS7_11use_defaultEEES9_S9_S9_S9_S9_S9_S9_S9_EEEESB_EEENSN_IJSM_SM_EEESB_PlJNSF_9not_fun_tINSF_14equal_to_valueISA_EEEEEEE10hipError_tPvRmT3_T4_T5_T6_T7_T9_mT8_P12ihipStream_tbDpT10_ENKUlT_T0_E_clISt17integral_constantIbLb0EES1J_EEDaS1E_S1F_EUlS1E_E_NS1_11comp_targetILNS1_3genE2ELNS1_11target_archE906ELNS1_3gpuE6ELNS1_3repE0EEENS1_30default_config_static_selectorELNS0_4arch9wavefront6targetE0EEEvT1_
		.amdhsa_group_segment_fixed_size 0
		.amdhsa_private_segment_fixed_size 0
		.amdhsa_kernarg_size 144
		.amdhsa_user_sgpr_count 2
		.amdhsa_user_sgpr_dispatch_ptr 0
		.amdhsa_user_sgpr_queue_ptr 0
		.amdhsa_user_sgpr_kernarg_segment_ptr 1
		.amdhsa_user_sgpr_dispatch_id 0
		.amdhsa_user_sgpr_private_segment_size 0
		.amdhsa_wavefront_size32 1
		.amdhsa_uses_dynamic_stack 0
		.amdhsa_enable_private_segment 0
		.amdhsa_system_sgpr_workgroup_id_x 1
		.amdhsa_system_sgpr_workgroup_id_y 0
		.amdhsa_system_sgpr_workgroup_id_z 0
		.amdhsa_system_sgpr_workgroup_info 0
		.amdhsa_system_vgpr_workitem_id 0
		.amdhsa_next_free_vgpr 1
		.amdhsa_next_free_sgpr 1
		.amdhsa_reserve_vcc 0
		.amdhsa_float_round_mode_32 0
		.amdhsa_float_round_mode_16_64 0
		.amdhsa_float_denorm_mode_32 3
		.amdhsa_float_denorm_mode_16_64 3
		.amdhsa_fp16_overflow 0
		.amdhsa_workgroup_processor_mode 1
		.amdhsa_memory_ordered 1
		.amdhsa_forward_progress 1
		.amdhsa_inst_pref_size 0
		.amdhsa_round_robin_scheduling 0
		.amdhsa_exception_fp_ieee_invalid_op 0
		.amdhsa_exception_fp_denorm_src 0
		.amdhsa_exception_fp_ieee_div_zero 0
		.amdhsa_exception_fp_ieee_overflow 0
		.amdhsa_exception_fp_ieee_underflow 0
		.amdhsa_exception_fp_ieee_inexact 0
		.amdhsa_exception_int_div_zero 0
	.end_amdhsa_kernel
	.section	.text._ZN7rocprim17ROCPRIM_400000_NS6detail17trampoline_kernelINS0_14default_configENS1_25partition_config_selectorILNS1_17partition_subalgoE6EN6thrust23THRUST_200600_302600_NS5tupleIiiNS7_9null_typeES9_S9_S9_S9_S9_S9_S9_EENS0_10empty_typeEbEEZZNS1_14partition_implILS5_6ELb0ES3_mNS7_12zip_iteratorINS8_INS7_6detail15normal_iteratorINS7_10device_ptrIiEEEESJ_S9_S9_S9_S9_S9_S9_S9_S9_EEEEPSB_SM_NS0_5tupleIJNSE_INS8_ISJ_NS7_16discard_iteratorINS7_11use_defaultEEES9_S9_S9_S9_S9_S9_S9_S9_EEEESB_EEENSN_IJSM_SM_EEESB_PlJNSF_9not_fun_tINSF_14equal_to_valueISA_EEEEEEE10hipError_tPvRmT3_T4_T5_T6_T7_T9_mT8_P12ihipStream_tbDpT10_ENKUlT_T0_E_clISt17integral_constantIbLb0EES1J_EEDaS1E_S1F_EUlS1E_E_NS1_11comp_targetILNS1_3genE2ELNS1_11target_archE906ELNS1_3gpuE6ELNS1_3repE0EEENS1_30default_config_static_selectorELNS0_4arch9wavefront6targetE0EEEvT1_,"axG",@progbits,_ZN7rocprim17ROCPRIM_400000_NS6detail17trampoline_kernelINS0_14default_configENS1_25partition_config_selectorILNS1_17partition_subalgoE6EN6thrust23THRUST_200600_302600_NS5tupleIiiNS7_9null_typeES9_S9_S9_S9_S9_S9_S9_EENS0_10empty_typeEbEEZZNS1_14partition_implILS5_6ELb0ES3_mNS7_12zip_iteratorINS8_INS7_6detail15normal_iteratorINS7_10device_ptrIiEEEESJ_S9_S9_S9_S9_S9_S9_S9_S9_EEEEPSB_SM_NS0_5tupleIJNSE_INS8_ISJ_NS7_16discard_iteratorINS7_11use_defaultEEES9_S9_S9_S9_S9_S9_S9_S9_EEEESB_EEENSN_IJSM_SM_EEESB_PlJNSF_9not_fun_tINSF_14equal_to_valueISA_EEEEEEE10hipError_tPvRmT3_T4_T5_T6_T7_T9_mT8_P12ihipStream_tbDpT10_ENKUlT_T0_E_clISt17integral_constantIbLb0EES1J_EEDaS1E_S1F_EUlS1E_E_NS1_11comp_targetILNS1_3genE2ELNS1_11target_archE906ELNS1_3gpuE6ELNS1_3repE0EEENS1_30default_config_static_selectorELNS0_4arch9wavefront6targetE0EEEvT1_,comdat
.Lfunc_end2017:
	.size	_ZN7rocprim17ROCPRIM_400000_NS6detail17trampoline_kernelINS0_14default_configENS1_25partition_config_selectorILNS1_17partition_subalgoE6EN6thrust23THRUST_200600_302600_NS5tupleIiiNS7_9null_typeES9_S9_S9_S9_S9_S9_S9_EENS0_10empty_typeEbEEZZNS1_14partition_implILS5_6ELb0ES3_mNS7_12zip_iteratorINS8_INS7_6detail15normal_iteratorINS7_10device_ptrIiEEEESJ_S9_S9_S9_S9_S9_S9_S9_S9_EEEEPSB_SM_NS0_5tupleIJNSE_INS8_ISJ_NS7_16discard_iteratorINS7_11use_defaultEEES9_S9_S9_S9_S9_S9_S9_S9_EEEESB_EEENSN_IJSM_SM_EEESB_PlJNSF_9not_fun_tINSF_14equal_to_valueISA_EEEEEEE10hipError_tPvRmT3_T4_T5_T6_T7_T9_mT8_P12ihipStream_tbDpT10_ENKUlT_T0_E_clISt17integral_constantIbLb0EES1J_EEDaS1E_S1F_EUlS1E_E_NS1_11comp_targetILNS1_3genE2ELNS1_11target_archE906ELNS1_3gpuE6ELNS1_3repE0EEENS1_30default_config_static_selectorELNS0_4arch9wavefront6targetE0EEEvT1_, .Lfunc_end2017-_ZN7rocprim17ROCPRIM_400000_NS6detail17trampoline_kernelINS0_14default_configENS1_25partition_config_selectorILNS1_17partition_subalgoE6EN6thrust23THRUST_200600_302600_NS5tupleIiiNS7_9null_typeES9_S9_S9_S9_S9_S9_S9_EENS0_10empty_typeEbEEZZNS1_14partition_implILS5_6ELb0ES3_mNS7_12zip_iteratorINS8_INS7_6detail15normal_iteratorINS7_10device_ptrIiEEEESJ_S9_S9_S9_S9_S9_S9_S9_S9_EEEEPSB_SM_NS0_5tupleIJNSE_INS8_ISJ_NS7_16discard_iteratorINS7_11use_defaultEEES9_S9_S9_S9_S9_S9_S9_S9_EEEESB_EEENSN_IJSM_SM_EEESB_PlJNSF_9not_fun_tINSF_14equal_to_valueISA_EEEEEEE10hipError_tPvRmT3_T4_T5_T6_T7_T9_mT8_P12ihipStream_tbDpT10_ENKUlT_T0_E_clISt17integral_constantIbLb0EES1J_EEDaS1E_S1F_EUlS1E_E_NS1_11comp_targetILNS1_3genE2ELNS1_11target_archE906ELNS1_3gpuE6ELNS1_3repE0EEENS1_30default_config_static_selectorELNS0_4arch9wavefront6targetE0EEEvT1_
                                        ; -- End function
	.set _ZN7rocprim17ROCPRIM_400000_NS6detail17trampoline_kernelINS0_14default_configENS1_25partition_config_selectorILNS1_17partition_subalgoE6EN6thrust23THRUST_200600_302600_NS5tupleIiiNS7_9null_typeES9_S9_S9_S9_S9_S9_S9_EENS0_10empty_typeEbEEZZNS1_14partition_implILS5_6ELb0ES3_mNS7_12zip_iteratorINS8_INS7_6detail15normal_iteratorINS7_10device_ptrIiEEEESJ_S9_S9_S9_S9_S9_S9_S9_S9_EEEEPSB_SM_NS0_5tupleIJNSE_INS8_ISJ_NS7_16discard_iteratorINS7_11use_defaultEEES9_S9_S9_S9_S9_S9_S9_S9_EEEESB_EEENSN_IJSM_SM_EEESB_PlJNSF_9not_fun_tINSF_14equal_to_valueISA_EEEEEEE10hipError_tPvRmT3_T4_T5_T6_T7_T9_mT8_P12ihipStream_tbDpT10_ENKUlT_T0_E_clISt17integral_constantIbLb0EES1J_EEDaS1E_S1F_EUlS1E_E_NS1_11comp_targetILNS1_3genE2ELNS1_11target_archE906ELNS1_3gpuE6ELNS1_3repE0EEENS1_30default_config_static_selectorELNS0_4arch9wavefront6targetE0EEEvT1_.num_vgpr, 0
	.set _ZN7rocprim17ROCPRIM_400000_NS6detail17trampoline_kernelINS0_14default_configENS1_25partition_config_selectorILNS1_17partition_subalgoE6EN6thrust23THRUST_200600_302600_NS5tupleIiiNS7_9null_typeES9_S9_S9_S9_S9_S9_S9_EENS0_10empty_typeEbEEZZNS1_14partition_implILS5_6ELb0ES3_mNS7_12zip_iteratorINS8_INS7_6detail15normal_iteratorINS7_10device_ptrIiEEEESJ_S9_S9_S9_S9_S9_S9_S9_S9_EEEEPSB_SM_NS0_5tupleIJNSE_INS8_ISJ_NS7_16discard_iteratorINS7_11use_defaultEEES9_S9_S9_S9_S9_S9_S9_S9_EEEESB_EEENSN_IJSM_SM_EEESB_PlJNSF_9not_fun_tINSF_14equal_to_valueISA_EEEEEEE10hipError_tPvRmT3_T4_T5_T6_T7_T9_mT8_P12ihipStream_tbDpT10_ENKUlT_T0_E_clISt17integral_constantIbLb0EES1J_EEDaS1E_S1F_EUlS1E_E_NS1_11comp_targetILNS1_3genE2ELNS1_11target_archE906ELNS1_3gpuE6ELNS1_3repE0EEENS1_30default_config_static_selectorELNS0_4arch9wavefront6targetE0EEEvT1_.num_agpr, 0
	.set _ZN7rocprim17ROCPRIM_400000_NS6detail17trampoline_kernelINS0_14default_configENS1_25partition_config_selectorILNS1_17partition_subalgoE6EN6thrust23THRUST_200600_302600_NS5tupleIiiNS7_9null_typeES9_S9_S9_S9_S9_S9_S9_EENS0_10empty_typeEbEEZZNS1_14partition_implILS5_6ELb0ES3_mNS7_12zip_iteratorINS8_INS7_6detail15normal_iteratorINS7_10device_ptrIiEEEESJ_S9_S9_S9_S9_S9_S9_S9_S9_EEEEPSB_SM_NS0_5tupleIJNSE_INS8_ISJ_NS7_16discard_iteratorINS7_11use_defaultEEES9_S9_S9_S9_S9_S9_S9_S9_EEEESB_EEENSN_IJSM_SM_EEESB_PlJNSF_9not_fun_tINSF_14equal_to_valueISA_EEEEEEE10hipError_tPvRmT3_T4_T5_T6_T7_T9_mT8_P12ihipStream_tbDpT10_ENKUlT_T0_E_clISt17integral_constantIbLb0EES1J_EEDaS1E_S1F_EUlS1E_E_NS1_11comp_targetILNS1_3genE2ELNS1_11target_archE906ELNS1_3gpuE6ELNS1_3repE0EEENS1_30default_config_static_selectorELNS0_4arch9wavefront6targetE0EEEvT1_.numbered_sgpr, 0
	.set _ZN7rocprim17ROCPRIM_400000_NS6detail17trampoline_kernelINS0_14default_configENS1_25partition_config_selectorILNS1_17partition_subalgoE6EN6thrust23THRUST_200600_302600_NS5tupleIiiNS7_9null_typeES9_S9_S9_S9_S9_S9_S9_EENS0_10empty_typeEbEEZZNS1_14partition_implILS5_6ELb0ES3_mNS7_12zip_iteratorINS8_INS7_6detail15normal_iteratorINS7_10device_ptrIiEEEESJ_S9_S9_S9_S9_S9_S9_S9_S9_EEEEPSB_SM_NS0_5tupleIJNSE_INS8_ISJ_NS7_16discard_iteratorINS7_11use_defaultEEES9_S9_S9_S9_S9_S9_S9_S9_EEEESB_EEENSN_IJSM_SM_EEESB_PlJNSF_9not_fun_tINSF_14equal_to_valueISA_EEEEEEE10hipError_tPvRmT3_T4_T5_T6_T7_T9_mT8_P12ihipStream_tbDpT10_ENKUlT_T0_E_clISt17integral_constantIbLb0EES1J_EEDaS1E_S1F_EUlS1E_E_NS1_11comp_targetILNS1_3genE2ELNS1_11target_archE906ELNS1_3gpuE6ELNS1_3repE0EEENS1_30default_config_static_selectorELNS0_4arch9wavefront6targetE0EEEvT1_.num_named_barrier, 0
	.set _ZN7rocprim17ROCPRIM_400000_NS6detail17trampoline_kernelINS0_14default_configENS1_25partition_config_selectorILNS1_17partition_subalgoE6EN6thrust23THRUST_200600_302600_NS5tupleIiiNS7_9null_typeES9_S9_S9_S9_S9_S9_S9_EENS0_10empty_typeEbEEZZNS1_14partition_implILS5_6ELb0ES3_mNS7_12zip_iteratorINS8_INS7_6detail15normal_iteratorINS7_10device_ptrIiEEEESJ_S9_S9_S9_S9_S9_S9_S9_S9_EEEEPSB_SM_NS0_5tupleIJNSE_INS8_ISJ_NS7_16discard_iteratorINS7_11use_defaultEEES9_S9_S9_S9_S9_S9_S9_S9_EEEESB_EEENSN_IJSM_SM_EEESB_PlJNSF_9not_fun_tINSF_14equal_to_valueISA_EEEEEEE10hipError_tPvRmT3_T4_T5_T6_T7_T9_mT8_P12ihipStream_tbDpT10_ENKUlT_T0_E_clISt17integral_constantIbLb0EES1J_EEDaS1E_S1F_EUlS1E_E_NS1_11comp_targetILNS1_3genE2ELNS1_11target_archE906ELNS1_3gpuE6ELNS1_3repE0EEENS1_30default_config_static_selectorELNS0_4arch9wavefront6targetE0EEEvT1_.private_seg_size, 0
	.set _ZN7rocprim17ROCPRIM_400000_NS6detail17trampoline_kernelINS0_14default_configENS1_25partition_config_selectorILNS1_17partition_subalgoE6EN6thrust23THRUST_200600_302600_NS5tupleIiiNS7_9null_typeES9_S9_S9_S9_S9_S9_S9_EENS0_10empty_typeEbEEZZNS1_14partition_implILS5_6ELb0ES3_mNS7_12zip_iteratorINS8_INS7_6detail15normal_iteratorINS7_10device_ptrIiEEEESJ_S9_S9_S9_S9_S9_S9_S9_S9_EEEEPSB_SM_NS0_5tupleIJNSE_INS8_ISJ_NS7_16discard_iteratorINS7_11use_defaultEEES9_S9_S9_S9_S9_S9_S9_S9_EEEESB_EEENSN_IJSM_SM_EEESB_PlJNSF_9not_fun_tINSF_14equal_to_valueISA_EEEEEEE10hipError_tPvRmT3_T4_T5_T6_T7_T9_mT8_P12ihipStream_tbDpT10_ENKUlT_T0_E_clISt17integral_constantIbLb0EES1J_EEDaS1E_S1F_EUlS1E_E_NS1_11comp_targetILNS1_3genE2ELNS1_11target_archE906ELNS1_3gpuE6ELNS1_3repE0EEENS1_30default_config_static_selectorELNS0_4arch9wavefront6targetE0EEEvT1_.uses_vcc, 0
	.set _ZN7rocprim17ROCPRIM_400000_NS6detail17trampoline_kernelINS0_14default_configENS1_25partition_config_selectorILNS1_17partition_subalgoE6EN6thrust23THRUST_200600_302600_NS5tupleIiiNS7_9null_typeES9_S9_S9_S9_S9_S9_S9_EENS0_10empty_typeEbEEZZNS1_14partition_implILS5_6ELb0ES3_mNS7_12zip_iteratorINS8_INS7_6detail15normal_iteratorINS7_10device_ptrIiEEEESJ_S9_S9_S9_S9_S9_S9_S9_S9_EEEEPSB_SM_NS0_5tupleIJNSE_INS8_ISJ_NS7_16discard_iteratorINS7_11use_defaultEEES9_S9_S9_S9_S9_S9_S9_S9_EEEESB_EEENSN_IJSM_SM_EEESB_PlJNSF_9not_fun_tINSF_14equal_to_valueISA_EEEEEEE10hipError_tPvRmT3_T4_T5_T6_T7_T9_mT8_P12ihipStream_tbDpT10_ENKUlT_T0_E_clISt17integral_constantIbLb0EES1J_EEDaS1E_S1F_EUlS1E_E_NS1_11comp_targetILNS1_3genE2ELNS1_11target_archE906ELNS1_3gpuE6ELNS1_3repE0EEENS1_30default_config_static_selectorELNS0_4arch9wavefront6targetE0EEEvT1_.uses_flat_scratch, 0
	.set _ZN7rocprim17ROCPRIM_400000_NS6detail17trampoline_kernelINS0_14default_configENS1_25partition_config_selectorILNS1_17partition_subalgoE6EN6thrust23THRUST_200600_302600_NS5tupleIiiNS7_9null_typeES9_S9_S9_S9_S9_S9_S9_EENS0_10empty_typeEbEEZZNS1_14partition_implILS5_6ELb0ES3_mNS7_12zip_iteratorINS8_INS7_6detail15normal_iteratorINS7_10device_ptrIiEEEESJ_S9_S9_S9_S9_S9_S9_S9_S9_EEEEPSB_SM_NS0_5tupleIJNSE_INS8_ISJ_NS7_16discard_iteratorINS7_11use_defaultEEES9_S9_S9_S9_S9_S9_S9_S9_EEEESB_EEENSN_IJSM_SM_EEESB_PlJNSF_9not_fun_tINSF_14equal_to_valueISA_EEEEEEE10hipError_tPvRmT3_T4_T5_T6_T7_T9_mT8_P12ihipStream_tbDpT10_ENKUlT_T0_E_clISt17integral_constantIbLb0EES1J_EEDaS1E_S1F_EUlS1E_E_NS1_11comp_targetILNS1_3genE2ELNS1_11target_archE906ELNS1_3gpuE6ELNS1_3repE0EEENS1_30default_config_static_selectorELNS0_4arch9wavefront6targetE0EEEvT1_.has_dyn_sized_stack, 0
	.set _ZN7rocprim17ROCPRIM_400000_NS6detail17trampoline_kernelINS0_14default_configENS1_25partition_config_selectorILNS1_17partition_subalgoE6EN6thrust23THRUST_200600_302600_NS5tupleIiiNS7_9null_typeES9_S9_S9_S9_S9_S9_S9_EENS0_10empty_typeEbEEZZNS1_14partition_implILS5_6ELb0ES3_mNS7_12zip_iteratorINS8_INS7_6detail15normal_iteratorINS7_10device_ptrIiEEEESJ_S9_S9_S9_S9_S9_S9_S9_S9_EEEEPSB_SM_NS0_5tupleIJNSE_INS8_ISJ_NS7_16discard_iteratorINS7_11use_defaultEEES9_S9_S9_S9_S9_S9_S9_S9_EEEESB_EEENSN_IJSM_SM_EEESB_PlJNSF_9not_fun_tINSF_14equal_to_valueISA_EEEEEEE10hipError_tPvRmT3_T4_T5_T6_T7_T9_mT8_P12ihipStream_tbDpT10_ENKUlT_T0_E_clISt17integral_constantIbLb0EES1J_EEDaS1E_S1F_EUlS1E_E_NS1_11comp_targetILNS1_3genE2ELNS1_11target_archE906ELNS1_3gpuE6ELNS1_3repE0EEENS1_30default_config_static_selectorELNS0_4arch9wavefront6targetE0EEEvT1_.has_recursion, 0
	.set _ZN7rocprim17ROCPRIM_400000_NS6detail17trampoline_kernelINS0_14default_configENS1_25partition_config_selectorILNS1_17partition_subalgoE6EN6thrust23THRUST_200600_302600_NS5tupleIiiNS7_9null_typeES9_S9_S9_S9_S9_S9_S9_EENS0_10empty_typeEbEEZZNS1_14partition_implILS5_6ELb0ES3_mNS7_12zip_iteratorINS8_INS7_6detail15normal_iteratorINS7_10device_ptrIiEEEESJ_S9_S9_S9_S9_S9_S9_S9_S9_EEEEPSB_SM_NS0_5tupleIJNSE_INS8_ISJ_NS7_16discard_iteratorINS7_11use_defaultEEES9_S9_S9_S9_S9_S9_S9_S9_EEEESB_EEENSN_IJSM_SM_EEESB_PlJNSF_9not_fun_tINSF_14equal_to_valueISA_EEEEEEE10hipError_tPvRmT3_T4_T5_T6_T7_T9_mT8_P12ihipStream_tbDpT10_ENKUlT_T0_E_clISt17integral_constantIbLb0EES1J_EEDaS1E_S1F_EUlS1E_E_NS1_11comp_targetILNS1_3genE2ELNS1_11target_archE906ELNS1_3gpuE6ELNS1_3repE0EEENS1_30default_config_static_selectorELNS0_4arch9wavefront6targetE0EEEvT1_.has_indirect_call, 0
	.section	.AMDGPU.csdata,"",@progbits
; Kernel info:
; codeLenInByte = 0
; TotalNumSgprs: 0
; NumVgprs: 0
; ScratchSize: 0
; MemoryBound: 0
; FloatMode: 240
; IeeeMode: 1
; LDSByteSize: 0 bytes/workgroup (compile time only)
; SGPRBlocks: 0
; VGPRBlocks: 0
; NumSGPRsForWavesPerEU: 1
; NumVGPRsForWavesPerEU: 1
; Occupancy: 16
; WaveLimiterHint : 0
; COMPUTE_PGM_RSRC2:SCRATCH_EN: 0
; COMPUTE_PGM_RSRC2:USER_SGPR: 2
; COMPUTE_PGM_RSRC2:TRAP_HANDLER: 0
; COMPUTE_PGM_RSRC2:TGID_X_EN: 1
; COMPUTE_PGM_RSRC2:TGID_Y_EN: 0
; COMPUTE_PGM_RSRC2:TGID_Z_EN: 0
; COMPUTE_PGM_RSRC2:TIDIG_COMP_CNT: 0
	.section	.text._ZN7rocprim17ROCPRIM_400000_NS6detail17trampoline_kernelINS0_14default_configENS1_25partition_config_selectorILNS1_17partition_subalgoE6EN6thrust23THRUST_200600_302600_NS5tupleIiiNS7_9null_typeES9_S9_S9_S9_S9_S9_S9_EENS0_10empty_typeEbEEZZNS1_14partition_implILS5_6ELb0ES3_mNS7_12zip_iteratorINS8_INS7_6detail15normal_iteratorINS7_10device_ptrIiEEEESJ_S9_S9_S9_S9_S9_S9_S9_S9_EEEEPSB_SM_NS0_5tupleIJNSE_INS8_ISJ_NS7_16discard_iteratorINS7_11use_defaultEEES9_S9_S9_S9_S9_S9_S9_S9_EEEESB_EEENSN_IJSM_SM_EEESB_PlJNSF_9not_fun_tINSF_14equal_to_valueISA_EEEEEEE10hipError_tPvRmT3_T4_T5_T6_T7_T9_mT8_P12ihipStream_tbDpT10_ENKUlT_T0_E_clISt17integral_constantIbLb0EES1J_EEDaS1E_S1F_EUlS1E_E_NS1_11comp_targetILNS1_3genE10ELNS1_11target_archE1200ELNS1_3gpuE4ELNS1_3repE0EEENS1_30default_config_static_selectorELNS0_4arch9wavefront6targetE0EEEvT1_,"axG",@progbits,_ZN7rocprim17ROCPRIM_400000_NS6detail17trampoline_kernelINS0_14default_configENS1_25partition_config_selectorILNS1_17partition_subalgoE6EN6thrust23THRUST_200600_302600_NS5tupleIiiNS7_9null_typeES9_S9_S9_S9_S9_S9_S9_EENS0_10empty_typeEbEEZZNS1_14partition_implILS5_6ELb0ES3_mNS7_12zip_iteratorINS8_INS7_6detail15normal_iteratorINS7_10device_ptrIiEEEESJ_S9_S9_S9_S9_S9_S9_S9_S9_EEEEPSB_SM_NS0_5tupleIJNSE_INS8_ISJ_NS7_16discard_iteratorINS7_11use_defaultEEES9_S9_S9_S9_S9_S9_S9_S9_EEEESB_EEENSN_IJSM_SM_EEESB_PlJNSF_9not_fun_tINSF_14equal_to_valueISA_EEEEEEE10hipError_tPvRmT3_T4_T5_T6_T7_T9_mT8_P12ihipStream_tbDpT10_ENKUlT_T0_E_clISt17integral_constantIbLb0EES1J_EEDaS1E_S1F_EUlS1E_E_NS1_11comp_targetILNS1_3genE10ELNS1_11target_archE1200ELNS1_3gpuE4ELNS1_3repE0EEENS1_30default_config_static_selectorELNS0_4arch9wavefront6targetE0EEEvT1_,comdat
	.protected	_ZN7rocprim17ROCPRIM_400000_NS6detail17trampoline_kernelINS0_14default_configENS1_25partition_config_selectorILNS1_17partition_subalgoE6EN6thrust23THRUST_200600_302600_NS5tupleIiiNS7_9null_typeES9_S9_S9_S9_S9_S9_S9_EENS0_10empty_typeEbEEZZNS1_14partition_implILS5_6ELb0ES3_mNS7_12zip_iteratorINS8_INS7_6detail15normal_iteratorINS7_10device_ptrIiEEEESJ_S9_S9_S9_S9_S9_S9_S9_S9_EEEEPSB_SM_NS0_5tupleIJNSE_INS8_ISJ_NS7_16discard_iteratorINS7_11use_defaultEEES9_S9_S9_S9_S9_S9_S9_S9_EEEESB_EEENSN_IJSM_SM_EEESB_PlJNSF_9not_fun_tINSF_14equal_to_valueISA_EEEEEEE10hipError_tPvRmT3_T4_T5_T6_T7_T9_mT8_P12ihipStream_tbDpT10_ENKUlT_T0_E_clISt17integral_constantIbLb0EES1J_EEDaS1E_S1F_EUlS1E_E_NS1_11comp_targetILNS1_3genE10ELNS1_11target_archE1200ELNS1_3gpuE4ELNS1_3repE0EEENS1_30default_config_static_selectorELNS0_4arch9wavefront6targetE0EEEvT1_ ; -- Begin function _ZN7rocprim17ROCPRIM_400000_NS6detail17trampoline_kernelINS0_14default_configENS1_25partition_config_selectorILNS1_17partition_subalgoE6EN6thrust23THRUST_200600_302600_NS5tupleIiiNS7_9null_typeES9_S9_S9_S9_S9_S9_S9_EENS0_10empty_typeEbEEZZNS1_14partition_implILS5_6ELb0ES3_mNS7_12zip_iteratorINS8_INS7_6detail15normal_iteratorINS7_10device_ptrIiEEEESJ_S9_S9_S9_S9_S9_S9_S9_S9_EEEEPSB_SM_NS0_5tupleIJNSE_INS8_ISJ_NS7_16discard_iteratorINS7_11use_defaultEEES9_S9_S9_S9_S9_S9_S9_S9_EEEESB_EEENSN_IJSM_SM_EEESB_PlJNSF_9not_fun_tINSF_14equal_to_valueISA_EEEEEEE10hipError_tPvRmT3_T4_T5_T6_T7_T9_mT8_P12ihipStream_tbDpT10_ENKUlT_T0_E_clISt17integral_constantIbLb0EES1J_EEDaS1E_S1F_EUlS1E_E_NS1_11comp_targetILNS1_3genE10ELNS1_11target_archE1200ELNS1_3gpuE4ELNS1_3repE0EEENS1_30default_config_static_selectorELNS0_4arch9wavefront6targetE0EEEvT1_
	.globl	_ZN7rocprim17ROCPRIM_400000_NS6detail17trampoline_kernelINS0_14default_configENS1_25partition_config_selectorILNS1_17partition_subalgoE6EN6thrust23THRUST_200600_302600_NS5tupleIiiNS7_9null_typeES9_S9_S9_S9_S9_S9_S9_EENS0_10empty_typeEbEEZZNS1_14partition_implILS5_6ELb0ES3_mNS7_12zip_iteratorINS8_INS7_6detail15normal_iteratorINS7_10device_ptrIiEEEESJ_S9_S9_S9_S9_S9_S9_S9_S9_EEEEPSB_SM_NS0_5tupleIJNSE_INS8_ISJ_NS7_16discard_iteratorINS7_11use_defaultEEES9_S9_S9_S9_S9_S9_S9_S9_EEEESB_EEENSN_IJSM_SM_EEESB_PlJNSF_9not_fun_tINSF_14equal_to_valueISA_EEEEEEE10hipError_tPvRmT3_T4_T5_T6_T7_T9_mT8_P12ihipStream_tbDpT10_ENKUlT_T0_E_clISt17integral_constantIbLb0EES1J_EEDaS1E_S1F_EUlS1E_E_NS1_11comp_targetILNS1_3genE10ELNS1_11target_archE1200ELNS1_3gpuE4ELNS1_3repE0EEENS1_30default_config_static_selectorELNS0_4arch9wavefront6targetE0EEEvT1_
	.p2align	8
	.type	_ZN7rocprim17ROCPRIM_400000_NS6detail17trampoline_kernelINS0_14default_configENS1_25partition_config_selectorILNS1_17partition_subalgoE6EN6thrust23THRUST_200600_302600_NS5tupleIiiNS7_9null_typeES9_S9_S9_S9_S9_S9_S9_EENS0_10empty_typeEbEEZZNS1_14partition_implILS5_6ELb0ES3_mNS7_12zip_iteratorINS8_INS7_6detail15normal_iteratorINS7_10device_ptrIiEEEESJ_S9_S9_S9_S9_S9_S9_S9_S9_EEEEPSB_SM_NS0_5tupleIJNSE_INS8_ISJ_NS7_16discard_iteratorINS7_11use_defaultEEES9_S9_S9_S9_S9_S9_S9_S9_EEEESB_EEENSN_IJSM_SM_EEESB_PlJNSF_9not_fun_tINSF_14equal_to_valueISA_EEEEEEE10hipError_tPvRmT3_T4_T5_T6_T7_T9_mT8_P12ihipStream_tbDpT10_ENKUlT_T0_E_clISt17integral_constantIbLb0EES1J_EEDaS1E_S1F_EUlS1E_E_NS1_11comp_targetILNS1_3genE10ELNS1_11target_archE1200ELNS1_3gpuE4ELNS1_3repE0EEENS1_30default_config_static_selectorELNS0_4arch9wavefront6targetE0EEEvT1_,@function
_ZN7rocprim17ROCPRIM_400000_NS6detail17trampoline_kernelINS0_14default_configENS1_25partition_config_selectorILNS1_17partition_subalgoE6EN6thrust23THRUST_200600_302600_NS5tupleIiiNS7_9null_typeES9_S9_S9_S9_S9_S9_S9_EENS0_10empty_typeEbEEZZNS1_14partition_implILS5_6ELb0ES3_mNS7_12zip_iteratorINS8_INS7_6detail15normal_iteratorINS7_10device_ptrIiEEEESJ_S9_S9_S9_S9_S9_S9_S9_S9_EEEEPSB_SM_NS0_5tupleIJNSE_INS8_ISJ_NS7_16discard_iteratorINS7_11use_defaultEEES9_S9_S9_S9_S9_S9_S9_S9_EEEESB_EEENSN_IJSM_SM_EEESB_PlJNSF_9not_fun_tINSF_14equal_to_valueISA_EEEEEEE10hipError_tPvRmT3_T4_T5_T6_T7_T9_mT8_P12ihipStream_tbDpT10_ENKUlT_T0_E_clISt17integral_constantIbLb0EES1J_EEDaS1E_S1F_EUlS1E_E_NS1_11comp_targetILNS1_3genE10ELNS1_11target_archE1200ELNS1_3gpuE4ELNS1_3repE0EEENS1_30default_config_static_selectorELNS0_4arch9wavefront6targetE0EEEvT1_: ; @_ZN7rocprim17ROCPRIM_400000_NS6detail17trampoline_kernelINS0_14default_configENS1_25partition_config_selectorILNS1_17partition_subalgoE6EN6thrust23THRUST_200600_302600_NS5tupleIiiNS7_9null_typeES9_S9_S9_S9_S9_S9_S9_EENS0_10empty_typeEbEEZZNS1_14partition_implILS5_6ELb0ES3_mNS7_12zip_iteratorINS8_INS7_6detail15normal_iteratorINS7_10device_ptrIiEEEESJ_S9_S9_S9_S9_S9_S9_S9_S9_EEEEPSB_SM_NS0_5tupleIJNSE_INS8_ISJ_NS7_16discard_iteratorINS7_11use_defaultEEES9_S9_S9_S9_S9_S9_S9_S9_EEEESB_EEENSN_IJSM_SM_EEESB_PlJNSF_9not_fun_tINSF_14equal_to_valueISA_EEEEEEE10hipError_tPvRmT3_T4_T5_T6_T7_T9_mT8_P12ihipStream_tbDpT10_ENKUlT_T0_E_clISt17integral_constantIbLb0EES1J_EEDaS1E_S1F_EUlS1E_E_NS1_11comp_targetILNS1_3genE10ELNS1_11target_archE1200ELNS1_3gpuE4ELNS1_3repE0EEENS1_30default_config_static_selectorELNS0_4arch9wavefront6targetE0EEEvT1_
; %bb.0:
	s_clause 0x5
	s_load_b64 s[2:3], s[0:1], 0x18
	s_load_b128 s[12:15], s[0:1], 0x58
	s_load_b32 s4, s[0:1], 0x80
	s_load_b128 s[20:23], s[0:1], 0x8
	s_load_b64 s[6:7], s[0:1], 0x68
	s_load_b64 s[16:17], s[0:1], 0x88
	s_mov_b32 s5, 0
	v_lshlrev_b32_e32 v9, 2, v0
	v_lshrrev_b32_e32 v10, 2, v0
	v_or_b32_e32 v12, 0x200, v0
	v_or_b32_e32 v11, 0x300, v0
	s_mov_b32 s8, -1
	s_wait_kmcnt 0x0
	s_lshl_b64 s[18:19], s[2:3], 2
	s_load_b64 s[10:11], s[14:15], 0x0
	s_add_co_i32 s9, s4, -1
	s_lshl_b32 s4, s4, 10
	s_add_nc_u64 s[20:21], s[20:21], s[18:19]
	s_add_nc_u64 s[14:15], s[2:3], s[4:5]
	s_lshl_b32 s3, s9, 10
	v_cmp_le_u64_e64 s15, s[6:7], s[14:15]
	s_add_co_i32 s7, s2, s3
	s_cmp_eq_u32 ttmp9, s9
	s_add_nc_u64 s[18:19], s[22:23], s[18:19]
	s_cselect_b32 s14, -1, 0
	s_lshl_b32 s4, ttmp9, 10
	s_wait_alu 0xfffe
	s_and_b32 s2, s14, s15
	s_lshl_b64 s[4:5], s[4:5], 2
	s_xor_b32 s15, s2, -1
	s_add_nc_u64 s[2:3], s[20:21], s[4:5]
	s_wait_alu 0xfffe
	s_and_b32 vcc_lo, exec_lo, s15
	s_add_nc_u64 s[4:5], s[18:19], s[4:5]
	s_cbranch_vccz .LBB2018_2
; %bb.1:
	s_clause 0x7
	global_load_b32 v1, v9, s[2:3]
	global_load_b32 v2, v9, s[4:5]
	global_load_b32 v3, v9, s[2:3] offset:1024
	global_load_b32 v4, v9, s[4:5] offset:1024
	;; [unrolled: 1-line block ×6, first 2 shown]
	v_or_b32_e32 v13, 0x100, v0
	v_lshrrev_b32_e32 v14, 2, v12
	v_lshrrev_b32_e32 v15, 2, v11
	v_and_b32_e32 v16, 56, v10
	v_lshlrev_b32_e32 v17, 3, v0
	v_lshrrev_b32_e32 v13, 2, v13
	v_and_b32_e32 v14, 0xb8, v14
	v_and_b32_e32 v15, 0xf8, v15
	s_mov_b32 s8, 0
	v_add_nc_u32_e32 v16, v16, v17
	v_and_b32_e32 v13, 0x78, v13
	v_add_nc_u32_e32 v14, v14, v17
	v_add_nc_u32_e32 v15, v15, v17
	s_delay_alu instid0(VALU_DEP_3)
	v_add_nc_u32_e32 v13, v13, v17
	s_wait_loadcnt 0x6
	ds_store_b64 v16, v[1:2]
	s_wait_loadcnt 0x4
	ds_store_b64 v13, v[3:4] offset:2048
	s_wait_loadcnt 0x2
	ds_store_b64 v14, v[5:6] offset:4096
	;; [unrolled: 2-line block ×3, first 2 shown]
	s_wait_dscnt 0x0
	s_barrier_signal -1
	s_barrier_wait -1
.LBB2018_2:
	s_and_not1_b32 vcc_lo, exec_lo, s8
	s_sub_co_i32 s18, s6, s7
	s_cbranch_vccnz .LBB2018_12
; %bb.3:
	v_mov_b32_e32 v1, 0
	v_dual_mov_b32 v2, 0 :: v_dual_mov_b32 v3, 0
	v_mov_b32_e32 v4, 0
	s_mov_b32 s6, exec_lo
	v_cmpx_gt_u32_e64 s18, v0
	s_cbranch_execz .LBB2018_5
; %bb.4:
	s_clause 0x1
	global_load_b32 v3, v9, s[2:3]
	global_load_b32 v4, v9, s[4:5]
.LBB2018_5:
	s_wait_alu 0xfffe
	s_or_b32 exec_lo, exec_lo, s6
	v_or_b32_e32 v13, 0x100, v0
	s_mov_b32 s6, exec_lo
	s_delay_alu instid0(VALU_DEP_1)
	v_cmpx_gt_u32_e64 s18, v13
	s_cbranch_execz .LBB2018_7
; %bb.6:
	s_clause 0x1
	global_load_b32 v1, v9, s[2:3] offset:1024
	global_load_b32 v2, v9, s[4:5] offset:1024
.LBB2018_7:
	s_wait_alu 0xfffe
	s_or_b32 exec_lo, exec_lo, s6
	v_mov_b32_e32 v5, 0
	v_dual_mov_b32 v6, 0 :: v_dual_mov_b32 v7, 0
	v_mov_b32_e32 v8, 0
	s_mov_b32 s6, exec_lo
	v_cmpx_gt_u32_e64 s18, v12
	s_cbranch_execz .LBB2018_9
; %bb.8:
	s_clause 0x1
	global_load_b32 v7, v9, s[2:3] offset:2048
	global_load_b32 v8, v9, s[4:5] offset:2048
.LBB2018_9:
	s_wait_alu 0xfffe
	s_or_b32 exec_lo, exec_lo, s6
	s_delay_alu instid0(SALU_CYCLE_1)
	s_mov_b32 s6, exec_lo
	v_cmpx_gt_u32_e64 s18, v11
	s_cbranch_execz .LBB2018_11
; %bb.10:
	s_clause 0x1
	global_load_b32 v5, v9, s[2:3] offset:3072
	global_load_b32 v6, v9, s[4:5] offset:3072
.LBB2018_11:
	s_wait_alu 0xfffe
	s_or_b32 exec_lo, exec_lo, s6
	v_lshrrev_b32_e32 v13, 2, v13
	v_lshrrev_b32_e32 v12, 2, v12
	;; [unrolled: 1-line block ×3, first 2 shown]
	v_and_b32_e32 v10, 56, v10
	v_lshlrev_b32_e32 v14, 3, v0
	v_and_b32_e32 v13, 0x78, v13
	v_and_b32_e32 v12, 0xf8, v12
	;; [unrolled: 1-line block ×3, first 2 shown]
	s_delay_alu instid0(VALU_DEP_4) | instskip(NEXT) | instid1(VALU_DEP_4)
	v_add_nc_u32_e32 v10, v10, v14
	v_add_nc_u32_e32 v13, v13, v14
	s_delay_alu instid0(VALU_DEP_4) | instskip(NEXT) | instid1(VALU_DEP_4)
	v_add_nc_u32_e32 v12, v12, v14
	v_add_nc_u32_e32 v11, v11, v14
	s_wait_loadcnt 0x0
	ds_store_b64 v10, v[3:4]
	ds_store_b64 v13, v[1:2] offset:2048
	ds_store_b64 v12, v[7:8] offset:4096
	;; [unrolled: 1-line block ×3, first 2 shown]
	s_wait_dscnt 0x0
	s_barrier_signal -1
	s_barrier_wait -1
.LBB2018_12:
	v_and_b32_e32 v1, 0xf8, v0
	global_inv scope:SCOPE_SE
	s_and_not1_b32 vcc_lo, exec_lo, s15
	v_lshl_add_u32 v5, v0, 5, v1
	ds_load_2addr_b64 v[1:4], v5 offset1:3
	ds_load_2addr_b64 v[5:8], v5 offset0:1 offset1:2
	s_wait_loadcnt_dscnt 0x0
	s_barrier_signal -1
	s_barrier_wait -1
	global_inv scope:SCOPE_SE
	v_cmp_ne_u32_e64 s2, s16, v1
	v_cmp_ne_u32_e64 s4, s17, v2
	;; [unrolled: 1-line block ×8, first 2 shown]
	s_cbranch_vccnz .LBB2018_14
; %bb.13:
	s_or_b32 s7, s7, s9
	s_or_b32 s6, s6, s8
	s_wait_alu 0xfffe
	v_cndmask_b32_e64 v25, 0, 1, s7
	v_cndmask_b32_e64 v10, 0, 1, s6
	s_or_b32 s2, s2, s4
	s_or_b32 s8, s3, s5
	v_cndmask_b32_e64 v27, 0, 1, s2
	v_lshlrev_b16 v11, 8, v25
	s_delay_alu instid0(VALU_DEP_1)
	v_or_b32_e32 v26, v10, v11
	s_cbranch_execz .LBB2018_15
	s_branch .LBB2018_16
.LBB2018_14:
                                        ; implicit-def: $sgpr8
                                        ; implicit-def: $vgpr27
                                        ; implicit-def: $vgpr26
                                        ; implicit-def: $vgpr25
.LBB2018_15:
	v_or_b32_e32 v10, 2, v9
	v_cmp_ne_u32_e32 vcc_lo, s16, v7
	v_cmp_ne_u32_e64 s2, s17, v8
	v_cmp_ne_u32_e64 s4, s16, v5
	;; [unrolled: 1-line block ×3, first 2 shown]
	v_cmp_gt_u32_e64 s3, s18, v10
	v_or_b32_e32 v10, 1, v9
	s_or_b32 s2, vcc_lo, s2
	v_cmp_ne_u32_e32 vcc_lo, s17, v6
	v_or_b32_e32 v12, 3, v9
	s_wait_alu 0xfffe
	s_and_b32 s2, s3, s2
	v_cmp_ne_u32_e64 s3, s16, v1
	s_wait_alu 0xfffe
	v_cndmask_b32_e64 v25, 0, 1, s2
	v_cmp_gt_u32_e64 s2, s18, v10
	s_or_b32 s4, s4, vcc_lo
	v_cmp_ne_u32_e32 vcc_lo, s16, v3
	s_or_b32 s5, s3, s5
	v_cmp_gt_u32_e64 s3, s18, v12
	s_and_b32 s2, s2, s4
	v_cmp_gt_u32_e64 s4, s18, v9
	s_wait_alu 0xfffe
	v_cndmask_b32_e64 v11, 0, 1, s2
	v_cmp_ne_u32_e64 s2, s17, v4
	v_lshlrev_b16 v10, 8, v25
	s_and_b32 s4, s4, s5
	s_or_b32 s2, vcc_lo, s2
	s_delay_alu instid0(VALU_DEP_1)
	v_or_b32_e32 v26, v11, v10
	s_wait_alu 0xfffe
	s_and_b32 s2, s3, s2
	v_cndmask_b32_e64 v27, 0, 1, s4
	s_and_not1_b32 s3, s8, exec_lo
	s_wait_alu 0xfffe
	s_and_b32 s2, s2, exec_lo
	s_wait_alu 0xfffe
	s_or_b32 s8, s3, s2
.LBB2018_16:
	s_load_b64 s[6:7], s[0:1], 0x78
	v_and_b32_e32 v30, 0xff, v27
	v_dual_mov_b32 v10, 0 :: v_dual_and_b32 v29, 0xff, v26
	v_cndmask_b32_e64 v9, 0, 1, s8
	v_mbcnt_lo_u32_b32 v31, -1, 0
	v_and_b32_e32 v28, 0xff, v25
	s_cmp_lg_u32 ttmp9, 0
	s_mov_b32 s3, -1
	v_add3_u32 v9, v30, v9, v29
	v_and_b32_e32 v32, 15, v31
	s_delay_alu instid0(VALU_DEP_2) | instskip(SKIP_2) | instid1(VALU_DEP_3)
	v_add_co_u32 v17, s2, v9, v28
	s_wait_alu 0xf1ff
	v_add_co_ci_u32_e64 v18, null, 0, 0, s2
	v_cmp_ne_u32_e64 s2, 0, v32
	s_cbranch_scc0 .LBB2018_73
; %bb.17:
	v_mov_b32_e32 v11, v17
	v_mov_b32_dpp v9, v17 row_shr:1 row_mask:0xf bank_mask:0xf
	v_mov_b32_dpp v14, v10 row_shr:1 row_mask:0xf bank_mask:0xf
	v_dual_mov_b32 v13, v17 :: v_dual_mov_b32 v12, v18
	s_and_saveexec_b32 s3, s2
; %bb.18:
	s_delay_alu instid0(VALU_DEP_3) | instskip(NEXT) | instid1(VALU_DEP_1)
	v_add_co_u32 v13, vcc_lo, v17, v9
	v_add_co_ci_u32_e64 v10, null, 0, v18, vcc_lo
	s_delay_alu instid0(VALU_DEP_2) | instskip(SKIP_1) | instid1(VALU_DEP_2)
	v_add_co_u32 v9, vcc_lo, 0, v13
	s_wait_alu 0xfffd
	v_add_co_ci_u32_e64 v10, null, v14, v10, vcc_lo
	s_delay_alu instid0(VALU_DEP_1)
	v_dual_mov_b32 v12, v10 :: v_dual_mov_b32 v11, v9
; %bb.19:
	s_wait_alu 0xfffe
	s_or_b32 exec_lo, exec_lo, s3
	v_mov_b32_dpp v9, v13 row_shr:2 row_mask:0xf bank_mask:0xf
	v_mov_b32_dpp v14, v10 row_shr:2 row_mask:0xf bank_mask:0xf
	s_mov_b32 s3, exec_lo
	v_cmpx_lt_u32_e32 1, v32
; %bb.20:
	s_delay_alu instid0(VALU_DEP_3) | instskip(SKIP_2) | instid1(VALU_DEP_2)
	v_add_co_u32 v13, vcc_lo, v11, v9
	s_wait_alu 0xfffd
	v_add_co_ci_u32_e64 v10, null, 0, v12, vcc_lo
	v_add_co_u32 v9, vcc_lo, 0, v13
	s_wait_alu 0xfffd
	s_delay_alu instid0(VALU_DEP_2) | instskip(NEXT) | instid1(VALU_DEP_1)
	v_add_co_ci_u32_e64 v10, null, v14, v10, vcc_lo
	v_dual_mov_b32 v12, v10 :: v_dual_mov_b32 v11, v9
; %bb.21:
	s_wait_alu 0xfffe
	s_or_b32 exec_lo, exec_lo, s3
	v_mov_b32_dpp v9, v13 row_shr:4 row_mask:0xf bank_mask:0xf
	v_mov_b32_dpp v14, v10 row_shr:4 row_mask:0xf bank_mask:0xf
	s_mov_b32 s3, exec_lo
	v_cmpx_lt_u32_e32 3, v32
; %bb.22:
	s_delay_alu instid0(VALU_DEP_3) | instskip(SKIP_2) | instid1(VALU_DEP_2)
	v_add_co_u32 v13, vcc_lo, v11, v9
	s_wait_alu 0xfffd
	v_add_co_ci_u32_e64 v10, null, 0, v12, vcc_lo
	v_add_co_u32 v9, vcc_lo, 0, v13
	s_wait_alu 0xfffd
	s_delay_alu instid0(VALU_DEP_2) | instskip(NEXT) | instid1(VALU_DEP_1)
	v_add_co_ci_u32_e64 v10, null, v14, v10, vcc_lo
	;; [unrolled: 17-line block ×3, first 2 shown]
	v_mov_b32_e32 v10, v12
; %bb.25:
	s_wait_alu 0xfffe
	s_or_b32 exec_lo, exec_lo, s3
	ds_swizzle_b32 v9, v13 offset:swizzle(BROADCAST,32,15)
	ds_swizzle_b32 v14, v10 offset:swizzle(BROADCAST,32,15)
	v_and_b32_e32 v15, 16, v31
	s_mov_b32 s3, exec_lo
	s_delay_alu instid0(VALU_DEP_1)
	v_cmpx_ne_u32_e32 0, v15
	s_cbranch_execz .LBB2018_27
; %bb.26:
	s_wait_dscnt 0x1
	v_add_co_u32 v13, vcc_lo, v11, v9
	s_wait_alu 0xfffd
	v_add_co_ci_u32_e64 v10, null, 0, v12, vcc_lo
	s_delay_alu instid0(VALU_DEP_2) | instskip(SKIP_2) | instid1(VALU_DEP_2)
	v_add_co_u32 v9, vcc_lo, 0, v13
	s_wait_dscnt 0x0
	s_wait_alu 0xfffd
	v_add_co_ci_u32_e64 v10, null, v14, v10, vcc_lo
	s_delay_alu instid0(VALU_DEP_1)
	v_dual_mov_b32 v12, v10 :: v_dual_mov_b32 v11, v9
.LBB2018_27:
	s_wait_alu 0xfffe
	s_or_b32 exec_lo, exec_lo, s3
	s_wait_dscnt 0x0
	v_or_b32_e32 v14, 31, v0
	v_lshrrev_b32_e32 v9, 5, v0
	s_mov_b32 s3, exec_lo
	s_delay_alu instid0(VALU_DEP_2)
	v_cmpx_eq_u32_e64 v0, v14
; %bb.28:
	s_delay_alu instid0(VALU_DEP_2)
	v_lshlrev_b32_e32 v14, 3, v9
	ds_store_b64 v14, v[11:12]
; %bb.29:
	s_wait_alu 0xfffe
	s_or_b32 exec_lo, exec_lo, s3
	s_delay_alu instid0(SALU_CYCLE_1)
	s_mov_b32 s3, exec_lo
	s_wait_loadcnt_dscnt 0x0
	s_barrier_signal -1
	s_barrier_wait -1
	global_inv scope:SCOPE_SE
	v_cmpx_gt_u32_e32 8, v0
	s_cbranch_execz .LBB2018_37
; %bb.30:
	v_lshlrev_b32_e32 v14, 3, v0
	s_mov_b32 s4, exec_lo
	ds_load_b64 v[11:12], v14
	s_wait_dscnt 0x0
	v_dual_mov_b32 v16, v11 :: v_dual_and_b32 v15, 7, v31
	v_mov_b32_dpp v20, v11 row_shr:1 row_mask:0xf bank_mask:0xf
	v_mov_b32_dpp v19, v12 row_shr:1 row_mask:0xf bank_mask:0xf
	s_delay_alu instid0(VALU_DEP_3)
	v_cmpx_ne_u32_e32 0, v15
; %bb.31:
	s_delay_alu instid0(VALU_DEP_3) | instskip(SKIP_2) | instid1(VALU_DEP_2)
	v_add_co_u32 v16, vcc_lo, v11, v20
	s_wait_alu 0xfffd
	v_add_co_ci_u32_e64 v12, null, 0, v12, vcc_lo
	v_add_co_u32 v11, vcc_lo, 0, v16
	s_wait_alu 0xfffd
	s_delay_alu instid0(VALU_DEP_2)
	v_add_co_ci_u32_e64 v12, null, v19, v12, vcc_lo
; %bb.32:
	s_wait_alu 0xfffe
	s_or_b32 exec_lo, exec_lo, s4
	v_mov_b32_dpp v20, v16 row_shr:2 row_mask:0xf bank_mask:0xf
	s_delay_alu instid0(VALU_DEP_2)
	v_mov_b32_dpp v19, v12 row_shr:2 row_mask:0xf bank_mask:0xf
	s_mov_b32 s4, exec_lo
	v_cmpx_lt_u32_e32 1, v15
; %bb.33:
	s_delay_alu instid0(VALU_DEP_3) | instskip(SKIP_2) | instid1(VALU_DEP_2)
	v_add_co_u32 v16, vcc_lo, v11, v20
	s_wait_alu 0xfffd
	v_add_co_ci_u32_e64 v12, null, 0, v12, vcc_lo
	v_add_co_u32 v11, vcc_lo, 0, v16
	s_wait_alu 0xfffd
	s_delay_alu instid0(VALU_DEP_2)
	v_add_co_ci_u32_e64 v12, null, v19, v12, vcc_lo
; %bb.34:
	s_wait_alu 0xfffe
	s_or_b32 exec_lo, exec_lo, s4
	v_mov_b32_dpp v19, v16 row_shr:4 row_mask:0xf bank_mask:0xf
	s_delay_alu instid0(VALU_DEP_2)
	v_mov_b32_dpp v16, v12 row_shr:4 row_mask:0xf bank_mask:0xf
	s_mov_b32 s4, exec_lo
	v_cmpx_lt_u32_e32 3, v15
; %bb.35:
	s_delay_alu instid0(VALU_DEP_3) | instskip(SKIP_2) | instid1(VALU_DEP_2)
	v_add_co_u32 v11, vcc_lo, v11, v19
	s_wait_alu 0xfffd
	v_add_co_ci_u32_e64 v12, null, 0, v12, vcc_lo
	v_add_co_u32 v11, vcc_lo, v11, 0
	s_wait_alu 0xfffd
	s_delay_alu instid0(VALU_DEP_2)
	v_add_co_ci_u32_e64 v12, null, v12, v16, vcc_lo
; %bb.36:
	s_wait_alu 0xfffe
	s_or_b32 exec_lo, exec_lo, s4
	ds_store_b64 v14, v[11:12]
.LBB2018_37:
	s_wait_alu 0xfffe
	s_or_b32 exec_lo, exec_lo, s3
	s_delay_alu instid0(SALU_CYCLE_1)
	s_mov_b32 s4, exec_lo
	v_cmp_gt_u32_e32 vcc_lo, 32, v0
	s_wait_loadcnt_dscnt 0x0
	s_barrier_signal -1
	s_barrier_wait -1
	global_inv scope:SCOPE_SE
                                        ; implicit-def: $vgpr19_vgpr20
	v_cmpx_lt_u32_e32 31, v0
	s_cbranch_execz .LBB2018_39
; %bb.38:
	v_lshl_add_u32 v9, v9, 3, -8
	ds_load_b64 v[19:20], v9
	s_wait_dscnt 0x0
	v_add_co_u32 v13, s3, v13, v19
	s_wait_alu 0xf1ff
	v_add_co_ci_u32_e64 v10, null, v10, v20, s3
.LBB2018_39:
	s_wait_alu 0xfffe
	s_or_b32 exec_lo, exec_lo, s4
	v_sub_co_u32 v9, s3, v31, 1
	s_delay_alu instid0(VALU_DEP_1) | instskip(SKIP_1) | instid1(VALU_DEP_1)
	v_cmp_gt_i32_e64 s4, 0, v9
	s_wait_alu 0xf1ff
	v_cndmask_b32_e64 v9, v9, v31, s4
	s_delay_alu instid0(VALU_DEP_1)
	v_lshlrev_b32_e32 v9, 2, v9
	ds_bpermute_b32 v33, v9, v13
	ds_bpermute_b32 v34, v9, v10
	s_and_saveexec_b32 s4, vcc_lo
	s_cbranch_execz .LBB2018_78
; %bb.40:
	v_mov_b32_e32 v12, 0
	ds_load_b64 v[9:10], v12 offset:56
	s_and_saveexec_b32 s5, s3
	s_cbranch_execz .LBB2018_42
; %bb.41:
	s_add_co_i32 s16, ttmp9, 32
	s_mov_b32 s17, 0
	s_wait_alu 0xfffe
	s_lshl_b64 s[16:17], s[16:17], 4
	s_wait_kmcnt 0x0
	s_wait_alu 0xfffe
	s_add_nc_u64 s[16:17], s[6:7], s[16:17]
	v_mov_b32_e32 v11, 1
	s_wait_alu 0xfffe
	v_dual_mov_b32 v13, s16 :: v_dual_mov_b32 v14, s17
	s_wait_dscnt 0x0
	;;#ASMSTART
	global_store_b128 v[13:14], v[9:12] off scope:SCOPE_DEV	
s_wait_storecnt 0x0
	;;#ASMEND
.LBB2018_42:
	s_wait_alu 0xfffe
	s_or_b32 exec_lo, exec_lo, s5
	v_xad_u32 v21, v31, -1, ttmp9
	s_mov_b32 s9, 0
	s_mov_b32 s5, exec_lo
	s_delay_alu instid0(VALU_DEP_1) | instskip(NEXT) | instid1(VALU_DEP_1)
	v_add_nc_u32_e32 v11, 32, v21
	v_lshlrev_b64_e32 v[11:12], 4, v[11:12]
	s_wait_kmcnt 0x0
	s_delay_alu instid0(VALU_DEP_1) | instskip(SKIP_1) | instid1(VALU_DEP_2)
	v_add_co_u32 v11, vcc_lo, s6, v11
	s_wait_alu 0xfffd
	v_add_co_ci_u32_e64 v12, null, s7, v12, vcc_lo
	;;#ASMSTART
	global_load_b128 v[13:16], v[11:12] off scope:SCOPE_DEV	
s_wait_loadcnt 0x0
	;;#ASMEND
	v_and_b32_e32 v16, 0xff, v15
	s_delay_alu instid0(VALU_DEP_1)
	v_cmpx_eq_u16_e32 0, v16
	s_cbranch_execz .LBB2018_45
.LBB2018_43:                            ; =>This Inner Loop Header: Depth=1
	;;#ASMSTART
	global_load_b128 v[13:16], v[11:12] off scope:SCOPE_DEV	
s_wait_loadcnt 0x0
	;;#ASMEND
	v_and_b32_e32 v16, 0xff, v15
	s_delay_alu instid0(VALU_DEP_1)
	v_cmp_ne_u16_e32 vcc_lo, 0, v16
	s_wait_alu 0xfffe
	s_or_b32 s9, vcc_lo, s9
	s_wait_alu 0xfffe
	s_and_not1_b32 exec_lo, exec_lo, s9
	s_cbranch_execnz .LBB2018_43
; %bb.44:
	s_or_b32 exec_lo, exec_lo, s9
.LBB2018_45:
	s_wait_alu 0xfffe
	s_or_b32 exec_lo, exec_lo, s5
	v_cmp_ne_u32_e32 vcc_lo, 31, v31
	v_and_b32_e32 v12, 0xff, v15
	v_lshlrev_b32_e64 v36, v31, -1
	s_mov_b32 s5, exec_lo
	s_wait_alu 0xfffd
	v_add_co_ci_u32_e64 v11, null, 0, v31, vcc_lo
	v_cmp_eq_u16_e32 vcc_lo, 2, v12
	s_delay_alu instid0(VALU_DEP_2)
	v_dual_mov_b32 v12, v13 :: v_dual_lshlrev_b32 v35, 2, v11
	s_wait_alu 0xfffd
	v_and_or_b32 v11, vcc_lo, v36, 0x80000000
	ds_bpermute_b32 v22, v35, v13
	ds_bpermute_b32 v16, v35, v14
	v_ctz_i32_b32_e32 v11, v11
	s_delay_alu instid0(VALU_DEP_1)
	v_cmpx_lt_u32_e64 v31, v11
	s_cbranch_execz .LBB2018_47
; %bb.46:
	s_wait_dscnt 0x1
	v_add_co_u32 v12, vcc_lo, v13, v22
	s_wait_alu 0xfffd
	v_add_co_ci_u32_e64 v14, null, 0, v14, vcc_lo
	s_delay_alu instid0(VALU_DEP_2) | instskip(SKIP_2) | instid1(VALU_DEP_2)
	v_add_co_u32 v13, vcc_lo, 0, v12
	s_wait_dscnt 0x0
	s_wait_alu 0xfffd
	v_add_co_ci_u32_e64 v14, null, v16, v14, vcc_lo
.LBB2018_47:
	s_wait_alu 0xfffe
	s_or_b32 exec_lo, exec_lo, s5
	v_cmp_gt_u32_e32 vcc_lo, 30, v31
	v_add_nc_u32_e32 v38, 2, v31
	s_mov_b32 s5, exec_lo
	s_wait_dscnt 0x0
	s_wait_alu 0xfffd
	v_cndmask_b32_e64 v16, 0, 2, vcc_lo
	s_delay_alu instid0(VALU_DEP_1)
	v_add_lshl_u32 v37, v16, v31, 2
	ds_bpermute_b32 v22, v37, v12
	ds_bpermute_b32 v16, v37, v14
	v_cmpx_le_u32_e64 v38, v11
	s_cbranch_execz .LBB2018_49
; %bb.48:
	s_wait_dscnt 0x1
	v_add_co_u32 v12, vcc_lo, v13, v22
	s_wait_alu 0xfffd
	v_add_co_ci_u32_e64 v14, null, 0, v14, vcc_lo
	s_delay_alu instid0(VALU_DEP_2) | instskip(SKIP_2) | instid1(VALU_DEP_2)
	v_add_co_u32 v13, vcc_lo, 0, v12
	s_wait_dscnt 0x0
	s_wait_alu 0xfffd
	v_add_co_ci_u32_e64 v14, null, v16, v14, vcc_lo
.LBB2018_49:
	s_wait_alu 0xfffe
	s_or_b32 exec_lo, exec_lo, s5
	v_cmp_gt_u32_e32 vcc_lo, 28, v31
	v_add_nc_u32_e32 v40, 4, v31
	s_mov_b32 s5, exec_lo
	s_wait_dscnt 0x0
	s_wait_alu 0xfffd
	v_cndmask_b32_e64 v16, 0, 4, vcc_lo
	s_delay_alu instid0(VALU_DEP_1)
	v_add_lshl_u32 v39, v16, v31, 2
	ds_bpermute_b32 v22, v39, v12
	ds_bpermute_b32 v16, v39, v14
	v_cmpx_le_u32_e64 v40, v11
	;; [unrolled: 25-line block ×3, first 2 shown]
	s_cbranch_execz .LBB2018_53
; %bb.52:
	s_wait_dscnt 0x1
	v_add_co_u32 v12, vcc_lo, v13, v22
	s_wait_alu 0xfffd
	v_add_co_ci_u32_e64 v14, null, 0, v14, vcc_lo
	s_delay_alu instid0(VALU_DEP_2) | instskip(SKIP_2) | instid1(VALU_DEP_2)
	v_add_co_u32 v13, vcc_lo, 0, v12
	s_wait_dscnt 0x0
	s_wait_alu 0xfffd
	v_add_co_ci_u32_e64 v14, null, v16, v14, vcc_lo
.LBB2018_53:
	s_wait_alu 0xfffe
	s_or_b32 exec_lo, exec_lo, s5
	v_lshl_or_b32 v43, v31, 2, 64
	v_add_nc_u32_e32 v44, 16, v31
	s_mov_b32 s5, exec_lo
	s_wait_dscnt 0x0
	ds_bpermute_b32 v16, v43, v12
	ds_bpermute_b32 v12, v43, v14
	v_cmpx_le_u32_e64 v44, v11
	s_cbranch_execz .LBB2018_55
; %bb.54:
	s_wait_dscnt 0x1
	v_add_co_u32 v11, vcc_lo, v13, v16
	s_wait_alu 0xfffd
	v_add_co_ci_u32_e64 v14, null, 0, v14, vcc_lo
	s_delay_alu instid0(VALU_DEP_2) | instskip(SKIP_2) | instid1(VALU_DEP_2)
	v_add_co_u32 v13, vcc_lo, v11, 0
	s_wait_dscnt 0x0
	s_wait_alu 0xfffd
	v_add_co_ci_u32_e64 v14, null, v14, v12, vcc_lo
.LBB2018_55:
	s_wait_alu 0xfffe
	s_or_b32 exec_lo, exec_lo, s5
	v_mov_b32_e32 v22, 0
	s_branch .LBB2018_58
.LBB2018_56:                            ;   in Loop: Header=BB2018_58 Depth=1
	s_wait_alu 0xfffe
	s_or_b32 exec_lo, exec_lo, s5
	v_add_co_u32 v13, vcc_lo, v13, v11
	v_subrev_nc_u32_e32 v21, 32, v21
	s_wait_alu 0xfffd
	v_add_co_ci_u32_e64 v14, null, v14, v12, vcc_lo
	s_mov_b32 s5, 0
.LBB2018_57:                            ;   in Loop: Header=BB2018_58 Depth=1
	s_wait_alu 0xfffe
	s_and_b32 vcc_lo, exec_lo, s5
	s_wait_alu 0xfffe
	s_cbranch_vccnz .LBB2018_74
.LBB2018_58:                            ; =>This Loop Header: Depth=1
                                        ;     Child Loop BB2018_61 Depth 2
	v_and_b32_e32 v11, 0xff, v15
	s_mov_b32 s5, -1
	s_delay_alu instid0(VALU_DEP_1)
	v_cmp_ne_u16_e32 vcc_lo, 2, v11
	s_wait_dscnt 0x0
	v_dual_mov_b32 v11, v13 :: v_dual_mov_b32 v12, v14
                                        ; implicit-def: $vgpr13_vgpr14
	s_cmp_lg_u32 vcc_lo, exec_lo
	s_cbranch_scc1 .LBB2018_57
; %bb.59:                               ;   in Loop: Header=BB2018_58 Depth=1
	v_lshlrev_b64_e32 v[13:14], 4, v[21:22]
	s_mov_b32 s5, exec_lo
	s_delay_alu instid0(VALU_DEP_1) | instskip(SKIP_1) | instid1(VALU_DEP_2)
	v_add_co_u32 v23, vcc_lo, s6, v13
	s_wait_alu 0xfffd
	v_add_co_ci_u32_e64 v24, null, s7, v14, vcc_lo
	;;#ASMSTART
	global_load_b128 v[13:16], v[23:24] off scope:SCOPE_DEV	
s_wait_loadcnt 0x0
	;;#ASMEND
	v_and_b32_e32 v16, 0xff, v15
	s_delay_alu instid0(VALU_DEP_1)
	v_cmpx_eq_u16_e32 0, v16
	s_cbranch_execz .LBB2018_63
; %bb.60:                               ;   in Loop: Header=BB2018_58 Depth=1
	s_mov_b32 s9, 0
.LBB2018_61:                            ;   Parent Loop BB2018_58 Depth=1
                                        ; =>  This Inner Loop Header: Depth=2
	;;#ASMSTART
	global_load_b128 v[13:16], v[23:24] off scope:SCOPE_DEV	
s_wait_loadcnt 0x0
	;;#ASMEND
	v_and_b32_e32 v16, 0xff, v15
	s_delay_alu instid0(VALU_DEP_1)
	v_cmp_ne_u16_e32 vcc_lo, 0, v16
	s_wait_alu 0xfffe
	s_or_b32 s9, vcc_lo, s9
	s_wait_alu 0xfffe
	s_and_not1_b32 exec_lo, exec_lo, s9
	s_cbranch_execnz .LBB2018_61
; %bb.62:                               ;   in Loop: Header=BB2018_58 Depth=1
	s_or_b32 exec_lo, exec_lo, s9
.LBB2018_63:                            ;   in Loop: Header=BB2018_58 Depth=1
	s_wait_alu 0xfffe
	s_or_b32 exec_lo, exec_lo, s5
	v_dual_mov_b32 v23, v13 :: v_dual_and_b32 v16, 0xff, v15
	ds_bpermute_b32 v45, v35, v13
	ds_bpermute_b32 v24, v35, v14
	s_mov_b32 s5, exec_lo
	v_cmp_eq_u16_e32 vcc_lo, 2, v16
	s_wait_alu 0xfffd
	v_and_or_b32 v16, vcc_lo, v36, 0x80000000
	s_delay_alu instid0(VALU_DEP_1) | instskip(NEXT) | instid1(VALU_DEP_1)
	v_ctz_i32_b32_e32 v16, v16
	v_cmpx_lt_u32_e64 v31, v16
	s_cbranch_execz .LBB2018_65
; %bb.64:                               ;   in Loop: Header=BB2018_58 Depth=1
	s_wait_dscnt 0x1
	v_add_co_u32 v23, vcc_lo, v13, v45
	s_wait_alu 0xfffd
	v_add_co_ci_u32_e64 v14, null, 0, v14, vcc_lo
	s_delay_alu instid0(VALU_DEP_2) | instskip(SKIP_2) | instid1(VALU_DEP_2)
	v_add_co_u32 v13, vcc_lo, 0, v23
	s_wait_dscnt 0x0
	s_wait_alu 0xfffd
	v_add_co_ci_u32_e64 v14, null, v24, v14, vcc_lo
.LBB2018_65:                            ;   in Loop: Header=BB2018_58 Depth=1
	s_wait_alu 0xfffe
	s_or_b32 exec_lo, exec_lo, s5
	s_wait_dscnt 0x1
	ds_bpermute_b32 v45, v37, v23
	s_wait_dscnt 0x1
	ds_bpermute_b32 v24, v37, v14
	s_mov_b32 s5, exec_lo
	v_cmpx_le_u32_e64 v38, v16
	s_cbranch_execz .LBB2018_67
; %bb.66:                               ;   in Loop: Header=BB2018_58 Depth=1
	s_wait_dscnt 0x1
	v_add_co_u32 v23, vcc_lo, v13, v45
	s_wait_alu 0xfffd
	v_add_co_ci_u32_e64 v14, null, 0, v14, vcc_lo
	s_delay_alu instid0(VALU_DEP_2) | instskip(SKIP_2) | instid1(VALU_DEP_2)
	v_add_co_u32 v13, vcc_lo, 0, v23
	s_wait_dscnt 0x0
	s_wait_alu 0xfffd
	v_add_co_ci_u32_e64 v14, null, v24, v14, vcc_lo
.LBB2018_67:                            ;   in Loop: Header=BB2018_58 Depth=1
	s_wait_alu 0xfffe
	s_or_b32 exec_lo, exec_lo, s5
	s_wait_dscnt 0x1
	ds_bpermute_b32 v45, v39, v23
	s_wait_dscnt 0x1
	ds_bpermute_b32 v24, v39, v14
	s_mov_b32 s5, exec_lo
	v_cmpx_le_u32_e64 v40, v16
	;; [unrolled: 20-line block ×3, first 2 shown]
	s_cbranch_execz .LBB2018_71
; %bb.70:                               ;   in Loop: Header=BB2018_58 Depth=1
	s_wait_dscnt 0x1
	v_add_co_u32 v23, vcc_lo, v13, v45
	s_wait_alu 0xfffd
	v_add_co_ci_u32_e64 v14, null, 0, v14, vcc_lo
	s_delay_alu instid0(VALU_DEP_2) | instskip(SKIP_2) | instid1(VALU_DEP_2)
	v_add_co_u32 v13, vcc_lo, 0, v23
	s_wait_dscnt 0x0
	s_wait_alu 0xfffd
	v_add_co_ci_u32_e64 v14, null, v24, v14, vcc_lo
.LBB2018_71:                            ;   in Loop: Header=BB2018_58 Depth=1
	s_wait_alu 0xfffe
	s_or_b32 exec_lo, exec_lo, s5
	s_wait_dscnt 0x0
	ds_bpermute_b32 v24, v43, v23
	ds_bpermute_b32 v23, v43, v14
	s_mov_b32 s5, exec_lo
	v_cmpx_le_u32_e64 v44, v16
	s_cbranch_execz .LBB2018_56
; %bb.72:                               ;   in Loop: Header=BB2018_58 Depth=1
	s_wait_dscnt 0x1
	v_add_co_u32 v13, vcc_lo, v13, v24
	s_wait_alu 0xfffd
	v_add_co_ci_u32_e64 v14, null, 0, v14, vcc_lo
	s_delay_alu instid0(VALU_DEP_2) | instskip(SKIP_2) | instid1(VALU_DEP_2)
	v_add_co_u32 v13, vcc_lo, v13, 0
	s_wait_dscnt 0x0
	s_wait_alu 0xfffd
	v_add_co_ci_u32_e64 v14, null, v14, v23, vcc_lo
	s_branch .LBB2018_56
.LBB2018_73:
                                        ; implicit-def: $vgpr15_vgpr16
                                        ; implicit-def: $vgpr13_vgpr14
                                        ; implicit-def: $vgpr19_vgpr20
                                        ; implicit-def: $vgpr21_vgpr22
                                        ; implicit-def: $vgpr11_vgpr12
	s_wait_alu 0xfffe
	s_and_b32 vcc_lo, exec_lo, s3
	s_cbranch_vccnz .LBB2018_79
	s_branch .LBB2018_104
.LBB2018_74:
	s_and_saveexec_b32 s5, s3
	s_cbranch_execz .LBB2018_76
; %bb.75:
	s_add_co_i32 s16, ttmp9, 32
	s_mov_b32 s17, 0
	v_add_co_u32 v13, vcc_lo, v11, v9
	s_wait_alu 0xfffe
	s_lshl_b64 s[16:17], s[16:17], 4
	v_dual_mov_b32 v15, 2 :: v_dual_mov_b32 v16, 0
	s_wait_alu 0xfffe
	s_add_nc_u64 s[16:17], s[6:7], s[16:17]
	s_wait_alu 0xfffd
	v_add_co_ci_u32_e64 v14, null, v12, v10, vcc_lo
	s_wait_alu 0xfffe
	v_dual_mov_b32 v22, s17 :: v_dual_mov_b32 v21, s16
	;;#ASMSTART
	global_store_b128 v[21:22], v[13:16] off scope:SCOPE_DEV	
s_wait_storecnt 0x0
	;;#ASMEND
	ds_store_b128 v16, v[9:12] offset:8448
.LBB2018_76:
	s_wait_alu 0xfffe
	s_or_b32 exec_lo, exec_lo, s5
	v_cmp_eq_u32_e32 vcc_lo, 0, v0
	s_and_b32 exec_lo, exec_lo, vcc_lo
; %bb.77:
	v_mov_b32_e32 v9, 0
	ds_store_b64 v9, v[11:12] offset:56
.LBB2018_78:
	s_wait_alu 0xfffe
	s_or_b32 exec_lo, exec_lo, s4
	s_wait_dscnt 0x1
	v_cndmask_b32_e64 v10, v33, v19, s3
	v_cmp_ne_u32_e32 vcc_lo, 0, v0
	v_mov_b32_e32 v9, 0
	s_wait_loadcnt_dscnt 0x0
	s_barrier_signal -1
	s_barrier_wait -1
	global_inv scope:SCOPE_SE
	s_wait_alu 0xfffd
	v_cndmask_b32_e32 v16, 0, v10, vcc_lo
	ds_load_b64 v[13:14], v9 offset:56
	v_cndmask_b32_e64 v11, v34, v20, s3
	s_wait_loadcnt_dscnt 0x0
	s_barrier_signal -1
	s_barrier_wait -1
	global_inv scope:SCOPE_SE
	v_cndmask_b32_e32 v15, 0, v11, vcc_lo
	ds_load_b128 v[9:12], v9 offset:8448
	v_add_co_u32 v21, vcc_lo, v13, v16
	s_wait_alu 0xfffd
	v_add_co_ci_u32_e64 v22, null, v14, v15, vcc_lo
	s_delay_alu instid0(VALU_DEP_2) | instskip(SKIP_1) | instid1(VALU_DEP_2)
	v_add_co_u32 v19, vcc_lo, v21, v30
	s_wait_alu 0xfffd
	v_add_co_ci_u32_e64 v20, null, 0, v22, vcc_lo
	s_delay_alu instid0(VALU_DEP_2) | instskip(SKIP_1) | instid1(VALU_DEP_2)
	;; [unrolled: 4-line block ×3, first 2 shown]
	v_add_co_u32 v15, vcc_lo, v13, v28
	s_wait_alu 0xfffd
	v_add_co_ci_u32_e64 v16, null, 0, v14, vcc_lo
	s_branch .LBB2018_104
.LBB2018_79:
	s_wait_dscnt 0x0
	v_dual_mov_b32 v10, 0 :: v_dual_mov_b32 v11, v17
	v_mov_b32_dpp v12, v17 row_shr:1 row_mask:0xf bank_mask:0xf
	s_delay_alu instid0(VALU_DEP_2)
	v_mov_b32_dpp v9, v10 row_shr:1 row_mask:0xf bank_mask:0xf
	s_and_saveexec_b32 s3, s2
; %bb.80:
	s_delay_alu instid0(VALU_DEP_2) | instskip(NEXT) | instid1(VALU_DEP_1)
	v_add_co_u32 v11, vcc_lo, v17, v12
	v_add_co_ci_u32_e64 v10, null, 0, v18, vcc_lo
	s_delay_alu instid0(VALU_DEP_2) | instskip(SKIP_1) | instid1(VALU_DEP_2)
	v_add_co_u32 v17, vcc_lo, 0, v11
	s_wait_alu 0xfffd
	v_add_co_ci_u32_e64 v18, null, v9, v10, vcc_lo
	s_delay_alu instid0(VALU_DEP_1)
	v_mov_b32_e32 v10, v18
; %bb.81:
	s_wait_alu 0xfffe
	s_or_b32 exec_lo, exec_lo, s3
	v_mov_b32_dpp v9, v11 row_shr:2 row_mask:0xf bank_mask:0xf
	s_delay_alu instid0(VALU_DEP_2)
	v_mov_b32_dpp v12, v10 row_shr:2 row_mask:0xf bank_mask:0xf
	s_mov_b32 s2, exec_lo
	v_cmpx_lt_u32_e32 1, v32
; %bb.82:
	s_delay_alu instid0(VALU_DEP_3) | instskip(SKIP_2) | instid1(VALU_DEP_2)
	v_add_co_u32 v11, vcc_lo, v17, v9
	s_wait_alu 0xfffd
	v_add_co_ci_u32_e64 v10, null, 0, v18, vcc_lo
	v_add_co_u32 v9, vcc_lo, 0, v11
	s_wait_alu 0xfffd
	s_delay_alu instid0(VALU_DEP_2) | instskip(NEXT) | instid1(VALU_DEP_1)
	v_add_co_ci_u32_e64 v10, null, v12, v10, vcc_lo
	v_dual_mov_b32 v18, v10 :: v_dual_mov_b32 v17, v9
; %bb.83:
	s_wait_alu 0xfffe
	s_or_b32 exec_lo, exec_lo, s2
	v_mov_b32_dpp v9, v11 row_shr:4 row_mask:0xf bank_mask:0xf
	v_mov_b32_dpp v12, v10 row_shr:4 row_mask:0xf bank_mask:0xf
	s_mov_b32 s2, exec_lo
	v_cmpx_lt_u32_e32 3, v32
; %bb.84:
	s_delay_alu instid0(VALU_DEP_3) | instskip(SKIP_2) | instid1(VALU_DEP_2)
	v_add_co_u32 v11, vcc_lo, v17, v9
	s_wait_alu 0xfffd
	v_add_co_ci_u32_e64 v10, null, 0, v18, vcc_lo
	v_add_co_u32 v9, vcc_lo, 0, v11
	s_wait_alu 0xfffd
	s_delay_alu instid0(VALU_DEP_2) | instskip(NEXT) | instid1(VALU_DEP_1)
	v_add_co_ci_u32_e64 v10, null, v12, v10, vcc_lo
	v_dual_mov_b32 v18, v10 :: v_dual_mov_b32 v17, v9
; %bb.85:
	s_wait_alu 0xfffe
	s_or_b32 exec_lo, exec_lo, s2
	v_mov_b32_dpp v12, v11 row_shr:8 row_mask:0xf bank_mask:0xf
	v_mov_b32_dpp v9, v10 row_shr:8 row_mask:0xf bank_mask:0xf
	s_mov_b32 s2, exec_lo
	v_cmpx_lt_u32_e32 7, v32
; %bb.86:
	s_delay_alu instid0(VALU_DEP_3) | instskip(SKIP_2) | instid1(VALU_DEP_2)
	v_add_co_u32 v11, vcc_lo, v17, v12
	s_wait_alu 0xfffd
	v_add_co_ci_u32_e64 v10, null, 0, v18, vcc_lo
	v_add_co_u32 v17, vcc_lo, 0, v11
	s_wait_alu 0xfffd
	s_delay_alu instid0(VALU_DEP_2) | instskip(NEXT) | instid1(VALU_DEP_1)
	v_add_co_ci_u32_e64 v18, null, v9, v10, vcc_lo
	v_mov_b32_e32 v10, v18
; %bb.87:
	s_wait_alu 0xfffe
	s_or_b32 exec_lo, exec_lo, s2
	ds_swizzle_b32 v11, v11 offset:swizzle(BROADCAST,32,15)
	ds_swizzle_b32 v9, v10 offset:swizzle(BROADCAST,32,15)
	v_and_b32_e32 v10, 16, v31
	s_mov_b32 s2, exec_lo
	s_delay_alu instid0(VALU_DEP_1)
	v_cmpx_ne_u32_e32 0, v10
	s_cbranch_execz .LBB2018_89
; %bb.88:
	s_wait_dscnt 0x1
	v_add_co_u32 v10, vcc_lo, v17, v11
	s_wait_alu 0xfffd
	v_add_co_ci_u32_e64 v11, null, 0, v18, vcc_lo
	s_delay_alu instid0(VALU_DEP_2) | instskip(SKIP_2) | instid1(VALU_DEP_2)
	v_add_co_u32 v17, vcc_lo, v10, 0
	s_wait_dscnt 0x0
	s_wait_alu 0xfffd
	v_add_co_ci_u32_e64 v18, null, v11, v9, vcc_lo
.LBB2018_89:
	s_wait_alu 0xfffe
	s_or_b32 exec_lo, exec_lo, s2
	s_wait_dscnt 0x0
	v_or_b32_e32 v9, 31, v0
	v_lshrrev_b32_e32 v11, 5, v0
	s_mov_b32 s2, exec_lo
	s_delay_alu instid0(VALU_DEP_2)
	v_cmpx_eq_u32_e64 v0, v9
; %bb.90:
	s_delay_alu instid0(VALU_DEP_2)
	v_lshlrev_b32_e32 v9, 3, v11
	ds_store_b64 v9, v[17:18]
; %bb.91:
	s_wait_alu 0xfffe
	s_or_b32 exec_lo, exec_lo, s2
	s_delay_alu instid0(SALU_CYCLE_1)
	s_mov_b32 s2, exec_lo
	s_wait_loadcnt_dscnt 0x0
	s_barrier_signal -1
	s_barrier_wait -1
	global_inv scope:SCOPE_SE
	v_cmpx_gt_u32_e32 8, v0
	s_cbranch_execz .LBB2018_99
; %bb.92:
	v_lshlrev_b32_e32 v12, 3, v0
	s_mov_b32 s3, exec_lo
	ds_load_b64 v[9:10], v12
	s_wait_dscnt 0x0
	v_dual_mov_b32 v14, v9 :: v_dual_and_b32 v13, 7, v31
	v_mov_b32_dpp v16, v9 row_shr:1 row_mask:0xf bank_mask:0xf
	v_mov_b32_dpp v15, v10 row_shr:1 row_mask:0xf bank_mask:0xf
	s_delay_alu instid0(VALU_DEP_3)
	v_cmpx_ne_u32_e32 0, v13
; %bb.93:
	s_delay_alu instid0(VALU_DEP_3) | instskip(SKIP_2) | instid1(VALU_DEP_2)
	v_add_co_u32 v14, vcc_lo, v9, v16
	s_wait_alu 0xfffd
	v_add_co_ci_u32_e64 v10, null, 0, v10, vcc_lo
	v_add_co_u32 v9, vcc_lo, 0, v14
	s_wait_alu 0xfffd
	s_delay_alu instid0(VALU_DEP_2)
	v_add_co_ci_u32_e64 v10, null, v15, v10, vcc_lo
; %bb.94:
	s_wait_alu 0xfffe
	s_or_b32 exec_lo, exec_lo, s3
	v_mov_b32_dpp v16, v14 row_shr:2 row_mask:0xf bank_mask:0xf
	s_delay_alu instid0(VALU_DEP_2)
	v_mov_b32_dpp v15, v10 row_shr:2 row_mask:0xf bank_mask:0xf
	s_mov_b32 s3, exec_lo
	v_cmpx_lt_u32_e32 1, v13
; %bb.95:
	s_delay_alu instid0(VALU_DEP_3) | instskip(SKIP_2) | instid1(VALU_DEP_2)
	v_add_co_u32 v14, vcc_lo, v9, v16
	s_wait_alu 0xfffd
	v_add_co_ci_u32_e64 v10, null, 0, v10, vcc_lo
	v_add_co_u32 v9, vcc_lo, 0, v14
	s_wait_alu 0xfffd
	s_delay_alu instid0(VALU_DEP_2)
	v_add_co_ci_u32_e64 v10, null, v15, v10, vcc_lo
; %bb.96:
	s_wait_alu 0xfffe
	s_or_b32 exec_lo, exec_lo, s3
	v_mov_b32_dpp v15, v14 row_shr:4 row_mask:0xf bank_mask:0xf
	s_delay_alu instid0(VALU_DEP_2)
	v_mov_b32_dpp v14, v10 row_shr:4 row_mask:0xf bank_mask:0xf
	s_mov_b32 s3, exec_lo
	v_cmpx_lt_u32_e32 3, v13
; %bb.97:
	s_delay_alu instid0(VALU_DEP_3) | instskip(SKIP_2) | instid1(VALU_DEP_2)
	v_add_co_u32 v9, vcc_lo, v9, v15
	s_wait_alu 0xfffd
	v_add_co_ci_u32_e64 v10, null, 0, v10, vcc_lo
	v_add_co_u32 v9, vcc_lo, v9, 0
	s_wait_alu 0xfffd
	s_delay_alu instid0(VALU_DEP_2)
	v_add_co_ci_u32_e64 v10, null, v10, v14, vcc_lo
; %bb.98:
	s_wait_alu 0xfffe
	s_or_b32 exec_lo, exec_lo, s3
	ds_store_b64 v12, v[9:10]
.LBB2018_99:
	s_wait_alu 0xfffe
	s_or_b32 exec_lo, exec_lo, s2
	v_mov_b32_e32 v13, 0
	v_mov_b32_e32 v14, 0
	s_mov_b32 s2, exec_lo
	s_wait_loadcnt_dscnt 0x0
	s_barrier_signal -1
	s_barrier_wait -1
	global_inv scope:SCOPE_SE
	v_cmpx_lt_u32_e32 31, v0
; %bb.100:
	v_lshl_add_u32 v9, v11, 3, -8
	ds_load_b64 v[13:14], v9
; %bb.101:
	s_wait_alu 0xfffe
	s_or_b32 exec_lo, exec_lo, s2
	v_sub_co_u32 v9, vcc_lo, v31, 1
	v_mov_b32_e32 v12, 0
	s_delay_alu instid0(VALU_DEP_2) | instskip(SKIP_1) | instid1(VALU_DEP_1)
	v_cmp_gt_i32_e64 s2, 0, v9
	s_wait_alu 0xf1ff
	v_cndmask_b32_e64 v9, v9, v31, s2
	s_wait_dscnt 0x0
	v_add_co_u32 v10, s2, v13, v17
	s_wait_alu 0xf1ff
	v_add_co_ci_u32_e64 v11, null, v14, v18, s2
	v_lshlrev_b32_e32 v9, 2, v9
	v_cmp_eq_u32_e64 s2, 0, v0
	ds_bpermute_b32 v15, v9, v10
	ds_bpermute_b32 v16, v9, v11
	ds_load_b64 v[9:10], v12 offset:56
	s_and_saveexec_b32 s3, s2
	s_cbranch_execz .LBB2018_103
; %bb.102:
	s_wait_kmcnt 0x0
	s_add_nc_u64 s[4:5], s[6:7], 0x200
	s_wait_alu 0xfffe
	v_dual_mov_b32 v11, 2 :: v_dual_mov_b32 v18, s5
	v_mov_b32_e32 v17, s4
	s_wait_dscnt 0x0
	;;#ASMSTART
	global_store_b128 v[17:18], v[9:12] off scope:SCOPE_DEV	
s_wait_storecnt 0x0
	;;#ASMEND
.LBB2018_103:
	s_wait_alu 0xfffe
	s_or_b32 exec_lo, exec_lo, s3
	s_wait_dscnt 0x1
	s_wait_alu 0xfffd
	v_dual_cndmask_b32 v11, v15, v13 :: v_dual_cndmask_b32 v12, v16, v14
	s_wait_loadcnt_dscnt 0x0
	s_barrier_signal -1
	s_barrier_wait -1
	s_delay_alu instid0(VALU_DEP_1)
	v_cndmask_b32_e64 v21, v11, 0, s2
	v_cndmask_b32_e64 v22, v12, 0, s2
	v_mov_b32_e32 v11, 0
	v_mov_b32_e32 v12, 0
	global_inv scope:SCOPE_SE
	v_add_co_u32 v19, vcc_lo, v21, v30
	s_wait_alu 0xfffd
	v_add_co_ci_u32_e64 v20, null, 0, v22, vcc_lo
	s_delay_alu instid0(VALU_DEP_2) | instskip(SKIP_1) | instid1(VALU_DEP_2)
	v_add_co_u32 v13, vcc_lo, v19, v29
	s_wait_alu 0xfffd
	v_add_co_ci_u32_e64 v14, null, 0, v20, vcc_lo
	s_delay_alu instid0(VALU_DEP_2) | instskip(SKIP_1) | instid1(VALU_DEP_2)
	v_add_co_u32 v15, vcc_lo, v13, v28
	s_wait_alu 0xfffd
	v_add_co_ci_u32_e64 v16, null, 0, v14, vcc_lo
.LBB2018_104:
	s_load_b64 s[2:3], s[0:1], 0x30
	v_and_b32_e32 v23, 1, v27
	s_wait_dscnt 0x0
	v_cmp_gt_u64_e32 vcc_lo, 0x101, v[9:10]
	s_mov_b32 s1, -1
	s_delay_alu instid0(VALU_DEP_2)
	v_cmp_eq_u32_e64 s0, 1, v23
	s_cbranch_vccnz .LBB2018_108
; %bb.105:
	s_wait_alu 0xfffe
	s_and_b32 vcc_lo, exec_lo, s1
	s_wait_alu 0xfffe
	s_cbranch_vccnz .LBB2018_117
.LBB2018_106:
	v_cmp_eq_u32_e32 vcc_lo, 0, v0
	s_and_b32 s0, vcc_lo, s14
	s_wait_alu 0xfffe
	s_and_saveexec_b32 s1, s0
	s_cbranch_execnz .LBB2018_129
.LBB2018_107:
	s_endpgm
.LBB2018_108:
	v_add_co_u32 v17, vcc_lo, v11, v9
	s_wait_alu 0xfffd
	v_add_co_ci_u32_e64 v18, null, v12, v10, vcc_lo
	s_wait_kmcnt 0x0
	s_lshl_b64 s[4:5], s[10:11], 2
	s_wait_alu 0xfffe
	s_add_nc_u64 s[4:5], s[2:3], s[4:5]
	v_cmp_lt_u64_e32 vcc_lo, v[21:22], v[17:18]
	s_or_b32 s1, s15, vcc_lo
	s_wait_alu 0xfffe
	s_and_b32 s1, s1, s0
	s_wait_alu 0xfffe
	s_and_saveexec_b32 s0, s1
	s_cbranch_execz .LBB2018_110
; %bb.109:
	v_lshlrev_b64_e32 v[27:28], 2, v[21:22]
	s_delay_alu instid0(VALU_DEP_1) | instskip(SKIP_1) | instid1(VALU_DEP_2)
	v_add_co_u32 v27, vcc_lo, s4, v27
	s_wait_alu 0xfffd
	v_add_co_ci_u32_e64 v28, null, s5, v28, vcc_lo
	global_store_b32 v[27:28], v1, off
.LBB2018_110:
	s_wait_alu 0xfffe
	s_or_b32 exec_lo, exec_lo, s0
	v_and_b32_e32 v22, 1, v26
	v_cmp_lt_u64_e32 vcc_lo, v[19:20], v[17:18]
	s_delay_alu instid0(VALU_DEP_2)
	v_cmp_eq_u32_e64 s0, 1, v22
	s_or_b32 s1, s15, vcc_lo
	s_wait_alu 0xfffe
	s_and_b32 s1, s1, s0
	s_wait_alu 0xfffe
	s_and_saveexec_b32 s0, s1
	s_cbranch_execz .LBB2018_112
; %bb.111:
	v_lshlrev_b64_e32 v[27:28], 2, v[19:20]
	s_delay_alu instid0(VALU_DEP_1) | instskip(SKIP_1) | instid1(VALU_DEP_2)
	v_add_co_u32 v27, vcc_lo, s4, v27
	s_wait_alu 0xfffd
	v_add_co_ci_u32_e64 v28, null, s5, v28, vcc_lo
	global_store_b32 v[27:28], v5, off
.LBB2018_112:
	s_wait_alu 0xfffe
	s_or_b32 exec_lo, exec_lo, s0
	v_and_b32_e32 v20, 1, v25
	v_cmp_lt_u64_e32 vcc_lo, v[13:14], v[17:18]
	s_delay_alu instid0(VALU_DEP_2)
	v_cmp_eq_u32_e64 s0, 1, v20
	s_or_b32 s1, s15, vcc_lo
	s_wait_alu 0xfffe
	s_and_b32 s1, s1, s0
	s_wait_alu 0xfffe
	s_and_saveexec_b32 s0, s1
	s_cbranch_execz .LBB2018_114
; %bb.113:
	v_lshlrev_b64_e32 v[27:28], 2, v[13:14]
	s_delay_alu instid0(VALU_DEP_1) | instskip(SKIP_1) | instid1(VALU_DEP_2)
	v_add_co_u32 v27, vcc_lo, s4, v27
	s_wait_alu 0xfffd
	v_add_co_ci_u32_e64 v28, null, s5, v28, vcc_lo
	global_store_b32 v[27:28], v7, off
.LBB2018_114:
	s_wait_alu 0xfffe
	s_or_b32 exec_lo, exec_lo, s0
	v_cmp_lt_u64_e32 vcc_lo, v[15:16], v[17:18]
	s_or_b32 s0, s15, vcc_lo
	s_wait_alu 0xfffe
	s_and_b32 s1, s0, s8
	s_wait_alu 0xfffe
	s_and_saveexec_b32 s0, s1
	s_cbranch_execz .LBB2018_116
; %bb.115:
	v_lshlrev_b64_e32 v[16:17], 2, v[15:16]
	s_delay_alu instid0(VALU_DEP_1) | instskip(SKIP_1) | instid1(VALU_DEP_2)
	v_add_co_u32 v16, vcc_lo, s4, v16
	s_wait_alu 0xfffd
	v_add_co_ci_u32_e64 v17, null, s5, v17, vcc_lo
	global_store_b32 v[16:17], v3, off
.LBB2018_116:
	s_wait_alu 0xfffe
	s_or_b32 exec_lo, exec_lo, s0
	s_branch .LBB2018_106
.LBB2018_117:
	s_mov_b32 s0, exec_lo
	v_cmpx_eq_u32_e32 1, v23
; %bb.118:
	v_sub_nc_u32_e32 v14, v21, v11
	s_delay_alu instid0(VALU_DEP_1)
	v_lshlrev_b32_e32 v14, 3, v14
	ds_store_b64 v14, v[1:2]
; %bb.119:
	s_wait_alu 0xfffe
	s_or_b32 exec_lo, exec_lo, s0
	v_and_b32_e32 v1, 1, v26
	s_mov_b32 s0, exec_lo
	s_delay_alu instid0(VALU_DEP_1)
	v_cmpx_eq_u32_e32 1, v1
; %bb.120:
	v_sub_nc_u32_e32 v1, v19, v11
	s_delay_alu instid0(VALU_DEP_1)
	v_lshlrev_b32_e32 v1, 3, v1
	ds_store_b64 v1, v[5:6]
; %bb.121:
	s_wait_alu 0xfffe
	s_or_b32 exec_lo, exec_lo, s0
	v_and_b32_e32 v1, 1, v25
	s_mov_b32 s0, exec_lo
	s_delay_alu instid0(VALU_DEP_1)
	v_cmpx_eq_u32_e32 1, v1
; %bb.122:
	v_sub_nc_u32_e32 v1, v13, v11
	s_delay_alu instid0(VALU_DEP_1)
	v_lshlrev_b32_e32 v1, 3, v1
	ds_store_b64 v1, v[7:8]
; %bb.123:
	s_wait_alu 0xfffe
	s_or_b32 exec_lo, exec_lo, s0
	s_and_saveexec_b32 s0, s8
; %bb.124:
	v_sub_nc_u32_e32 v1, v15, v11
	s_delay_alu instid0(VALU_DEP_1)
	v_lshlrev_b32_e32 v1, 3, v1
	ds_store_b64 v1, v[3:4]
; %bb.125:
	s_wait_alu 0xfffe
	s_or_b32 exec_lo, exec_lo, s0
	v_mov_b32_e32 v3, 0
	s_mov_b32 s1, exec_lo
	s_wait_storecnt 0x0
	s_wait_loadcnt_dscnt 0x0
	s_barrier_signal -1
	s_barrier_wait -1
	v_mov_b32_e32 v1, v3
	global_inv scope:SCOPE_SE
	v_cmpx_gt_u64_e64 v[9:10], v[0:1]
	s_cbranch_execz .LBB2018_128
; %bb.126:
	v_lshlrev_b64_e32 v[4:5], 2, v[11:12]
	s_wait_kmcnt 0x0
	s_lshl_b64 s[4:5], s[10:11], 2
	v_or_b32_e32 v2, 0x100, v0
	s_wait_alu 0xfffe
	s_add_nc_u64 s[2:3], s[2:3], s[4:5]
	s_wait_alu 0xfffe
	v_add_co_u32 v6, vcc_lo, s2, v4
	s_wait_alu 0xfffd
	v_add_co_ci_u32_e64 v7, null, s3, v5, vcc_lo
	v_dual_mov_b32 v5, v1 :: v_dual_mov_b32 v4, v0
	s_mov_b32 s2, 0
.LBB2018_127:                           ; =>This Inner Loop Header: Depth=1
	s_delay_alu instid0(VALU_DEP_1) | instskip(NEXT) | instid1(VALU_DEP_2)
	v_lshlrev_b32_e32 v1, 3, v4
	v_lshlrev_b64_e32 v[13:14], 2, v[4:5]
	v_dual_mov_b32 v5, v3 :: v_dual_mov_b32 v4, v2
	v_cmp_le_u64_e32 vcc_lo, v[9:10], v[2:3]
	ds_load_b32 v1, v1
	v_add_nc_u32_e32 v2, 0x100, v2
	v_add_co_u32 v13, s0, v6, v13
	s_wait_alu 0xf1ff
	v_add_co_ci_u32_e64 v14, null, v7, v14, s0
	s_wait_alu 0xfffe
	s_or_b32 s2, vcc_lo, s2
	s_wait_dscnt 0x0
	global_store_b32 v[13:14], v1, off
	s_wait_alu 0xfffe
	s_and_not1_b32 exec_lo, exec_lo, s2
	s_cbranch_execnz .LBB2018_127
.LBB2018_128:
	s_wait_alu 0xfffe
	s_or_b32 exec_lo, exec_lo, s1
	v_cmp_eq_u32_e32 vcc_lo, 0, v0
	s_and_b32 s0, vcc_lo, s14
	s_wait_alu 0xfffe
	s_and_saveexec_b32 s1, s0
	s_cbranch_execz .LBB2018_107
.LBB2018_129:
	v_add_co_u32 v0, vcc_lo, v11, v9
	s_wait_alu 0xfffd
	v_add_co_ci_u32_e64 v1, null, v12, v10, vcc_lo
	v_mov_b32_e32 v2, 0
	s_wait_kmcnt 0x0
	v_add_co_u32 v0, vcc_lo, v0, s10
	s_wait_alu 0xfffd
	v_add_co_ci_u32_e64 v1, null, s11, v1, vcc_lo
	global_store_b64 v2, v[0:1], s[12:13]
	s_endpgm
	.section	.rodata,"a",@progbits
	.p2align	6, 0x0
	.amdhsa_kernel _ZN7rocprim17ROCPRIM_400000_NS6detail17trampoline_kernelINS0_14default_configENS1_25partition_config_selectorILNS1_17partition_subalgoE6EN6thrust23THRUST_200600_302600_NS5tupleIiiNS7_9null_typeES9_S9_S9_S9_S9_S9_S9_EENS0_10empty_typeEbEEZZNS1_14partition_implILS5_6ELb0ES3_mNS7_12zip_iteratorINS8_INS7_6detail15normal_iteratorINS7_10device_ptrIiEEEESJ_S9_S9_S9_S9_S9_S9_S9_S9_EEEEPSB_SM_NS0_5tupleIJNSE_INS8_ISJ_NS7_16discard_iteratorINS7_11use_defaultEEES9_S9_S9_S9_S9_S9_S9_S9_EEEESB_EEENSN_IJSM_SM_EEESB_PlJNSF_9not_fun_tINSF_14equal_to_valueISA_EEEEEEE10hipError_tPvRmT3_T4_T5_T6_T7_T9_mT8_P12ihipStream_tbDpT10_ENKUlT_T0_E_clISt17integral_constantIbLb0EES1J_EEDaS1E_S1F_EUlS1E_E_NS1_11comp_targetILNS1_3genE10ELNS1_11target_archE1200ELNS1_3gpuE4ELNS1_3repE0EEENS1_30default_config_static_selectorELNS0_4arch9wavefront6targetE0EEEvT1_
		.amdhsa_group_segment_fixed_size 8464
		.amdhsa_private_segment_fixed_size 0
		.amdhsa_kernarg_size 144
		.amdhsa_user_sgpr_count 2
		.amdhsa_user_sgpr_dispatch_ptr 0
		.amdhsa_user_sgpr_queue_ptr 0
		.amdhsa_user_sgpr_kernarg_segment_ptr 1
		.amdhsa_user_sgpr_dispatch_id 0
		.amdhsa_user_sgpr_private_segment_size 0
		.amdhsa_wavefront_size32 1
		.amdhsa_uses_dynamic_stack 0
		.amdhsa_enable_private_segment 0
		.amdhsa_system_sgpr_workgroup_id_x 1
		.amdhsa_system_sgpr_workgroup_id_y 0
		.amdhsa_system_sgpr_workgroup_id_z 0
		.amdhsa_system_sgpr_workgroup_info 0
		.amdhsa_system_vgpr_workitem_id 0
		.amdhsa_next_free_vgpr 46
		.amdhsa_next_free_sgpr 24
		.amdhsa_reserve_vcc 1
		.amdhsa_float_round_mode_32 0
		.amdhsa_float_round_mode_16_64 0
		.amdhsa_float_denorm_mode_32 3
		.amdhsa_float_denorm_mode_16_64 3
		.amdhsa_fp16_overflow 0
		.amdhsa_workgroup_processor_mode 1
		.amdhsa_memory_ordered 1
		.amdhsa_forward_progress 1
		.amdhsa_inst_pref_size 50
		.amdhsa_round_robin_scheduling 0
		.amdhsa_exception_fp_ieee_invalid_op 0
		.amdhsa_exception_fp_denorm_src 0
		.amdhsa_exception_fp_ieee_div_zero 0
		.amdhsa_exception_fp_ieee_overflow 0
		.amdhsa_exception_fp_ieee_underflow 0
		.amdhsa_exception_fp_ieee_inexact 0
		.amdhsa_exception_int_div_zero 0
	.end_amdhsa_kernel
	.section	.text._ZN7rocprim17ROCPRIM_400000_NS6detail17trampoline_kernelINS0_14default_configENS1_25partition_config_selectorILNS1_17partition_subalgoE6EN6thrust23THRUST_200600_302600_NS5tupleIiiNS7_9null_typeES9_S9_S9_S9_S9_S9_S9_EENS0_10empty_typeEbEEZZNS1_14partition_implILS5_6ELb0ES3_mNS7_12zip_iteratorINS8_INS7_6detail15normal_iteratorINS7_10device_ptrIiEEEESJ_S9_S9_S9_S9_S9_S9_S9_S9_EEEEPSB_SM_NS0_5tupleIJNSE_INS8_ISJ_NS7_16discard_iteratorINS7_11use_defaultEEES9_S9_S9_S9_S9_S9_S9_S9_EEEESB_EEENSN_IJSM_SM_EEESB_PlJNSF_9not_fun_tINSF_14equal_to_valueISA_EEEEEEE10hipError_tPvRmT3_T4_T5_T6_T7_T9_mT8_P12ihipStream_tbDpT10_ENKUlT_T0_E_clISt17integral_constantIbLb0EES1J_EEDaS1E_S1F_EUlS1E_E_NS1_11comp_targetILNS1_3genE10ELNS1_11target_archE1200ELNS1_3gpuE4ELNS1_3repE0EEENS1_30default_config_static_selectorELNS0_4arch9wavefront6targetE0EEEvT1_,"axG",@progbits,_ZN7rocprim17ROCPRIM_400000_NS6detail17trampoline_kernelINS0_14default_configENS1_25partition_config_selectorILNS1_17partition_subalgoE6EN6thrust23THRUST_200600_302600_NS5tupleIiiNS7_9null_typeES9_S9_S9_S9_S9_S9_S9_EENS0_10empty_typeEbEEZZNS1_14partition_implILS5_6ELb0ES3_mNS7_12zip_iteratorINS8_INS7_6detail15normal_iteratorINS7_10device_ptrIiEEEESJ_S9_S9_S9_S9_S9_S9_S9_S9_EEEEPSB_SM_NS0_5tupleIJNSE_INS8_ISJ_NS7_16discard_iteratorINS7_11use_defaultEEES9_S9_S9_S9_S9_S9_S9_S9_EEEESB_EEENSN_IJSM_SM_EEESB_PlJNSF_9not_fun_tINSF_14equal_to_valueISA_EEEEEEE10hipError_tPvRmT3_T4_T5_T6_T7_T9_mT8_P12ihipStream_tbDpT10_ENKUlT_T0_E_clISt17integral_constantIbLb0EES1J_EEDaS1E_S1F_EUlS1E_E_NS1_11comp_targetILNS1_3genE10ELNS1_11target_archE1200ELNS1_3gpuE4ELNS1_3repE0EEENS1_30default_config_static_selectorELNS0_4arch9wavefront6targetE0EEEvT1_,comdat
.Lfunc_end2018:
	.size	_ZN7rocprim17ROCPRIM_400000_NS6detail17trampoline_kernelINS0_14default_configENS1_25partition_config_selectorILNS1_17partition_subalgoE6EN6thrust23THRUST_200600_302600_NS5tupleIiiNS7_9null_typeES9_S9_S9_S9_S9_S9_S9_EENS0_10empty_typeEbEEZZNS1_14partition_implILS5_6ELb0ES3_mNS7_12zip_iteratorINS8_INS7_6detail15normal_iteratorINS7_10device_ptrIiEEEESJ_S9_S9_S9_S9_S9_S9_S9_S9_EEEEPSB_SM_NS0_5tupleIJNSE_INS8_ISJ_NS7_16discard_iteratorINS7_11use_defaultEEES9_S9_S9_S9_S9_S9_S9_S9_EEEESB_EEENSN_IJSM_SM_EEESB_PlJNSF_9not_fun_tINSF_14equal_to_valueISA_EEEEEEE10hipError_tPvRmT3_T4_T5_T6_T7_T9_mT8_P12ihipStream_tbDpT10_ENKUlT_T0_E_clISt17integral_constantIbLb0EES1J_EEDaS1E_S1F_EUlS1E_E_NS1_11comp_targetILNS1_3genE10ELNS1_11target_archE1200ELNS1_3gpuE4ELNS1_3repE0EEENS1_30default_config_static_selectorELNS0_4arch9wavefront6targetE0EEEvT1_, .Lfunc_end2018-_ZN7rocprim17ROCPRIM_400000_NS6detail17trampoline_kernelINS0_14default_configENS1_25partition_config_selectorILNS1_17partition_subalgoE6EN6thrust23THRUST_200600_302600_NS5tupleIiiNS7_9null_typeES9_S9_S9_S9_S9_S9_S9_EENS0_10empty_typeEbEEZZNS1_14partition_implILS5_6ELb0ES3_mNS7_12zip_iteratorINS8_INS7_6detail15normal_iteratorINS7_10device_ptrIiEEEESJ_S9_S9_S9_S9_S9_S9_S9_S9_EEEEPSB_SM_NS0_5tupleIJNSE_INS8_ISJ_NS7_16discard_iteratorINS7_11use_defaultEEES9_S9_S9_S9_S9_S9_S9_S9_EEEESB_EEENSN_IJSM_SM_EEESB_PlJNSF_9not_fun_tINSF_14equal_to_valueISA_EEEEEEE10hipError_tPvRmT3_T4_T5_T6_T7_T9_mT8_P12ihipStream_tbDpT10_ENKUlT_T0_E_clISt17integral_constantIbLb0EES1J_EEDaS1E_S1F_EUlS1E_E_NS1_11comp_targetILNS1_3genE10ELNS1_11target_archE1200ELNS1_3gpuE4ELNS1_3repE0EEENS1_30default_config_static_selectorELNS0_4arch9wavefront6targetE0EEEvT1_
                                        ; -- End function
	.set _ZN7rocprim17ROCPRIM_400000_NS6detail17trampoline_kernelINS0_14default_configENS1_25partition_config_selectorILNS1_17partition_subalgoE6EN6thrust23THRUST_200600_302600_NS5tupleIiiNS7_9null_typeES9_S9_S9_S9_S9_S9_S9_EENS0_10empty_typeEbEEZZNS1_14partition_implILS5_6ELb0ES3_mNS7_12zip_iteratorINS8_INS7_6detail15normal_iteratorINS7_10device_ptrIiEEEESJ_S9_S9_S9_S9_S9_S9_S9_S9_EEEEPSB_SM_NS0_5tupleIJNSE_INS8_ISJ_NS7_16discard_iteratorINS7_11use_defaultEEES9_S9_S9_S9_S9_S9_S9_S9_EEEESB_EEENSN_IJSM_SM_EEESB_PlJNSF_9not_fun_tINSF_14equal_to_valueISA_EEEEEEE10hipError_tPvRmT3_T4_T5_T6_T7_T9_mT8_P12ihipStream_tbDpT10_ENKUlT_T0_E_clISt17integral_constantIbLb0EES1J_EEDaS1E_S1F_EUlS1E_E_NS1_11comp_targetILNS1_3genE10ELNS1_11target_archE1200ELNS1_3gpuE4ELNS1_3repE0EEENS1_30default_config_static_selectorELNS0_4arch9wavefront6targetE0EEEvT1_.num_vgpr, 46
	.set _ZN7rocprim17ROCPRIM_400000_NS6detail17trampoline_kernelINS0_14default_configENS1_25partition_config_selectorILNS1_17partition_subalgoE6EN6thrust23THRUST_200600_302600_NS5tupleIiiNS7_9null_typeES9_S9_S9_S9_S9_S9_S9_EENS0_10empty_typeEbEEZZNS1_14partition_implILS5_6ELb0ES3_mNS7_12zip_iteratorINS8_INS7_6detail15normal_iteratorINS7_10device_ptrIiEEEESJ_S9_S9_S9_S9_S9_S9_S9_S9_EEEEPSB_SM_NS0_5tupleIJNSE_INS8_ISJ_NS7_16discard_iteratorINS7_11use_defaultEEES9_S9_S9_S9_S9_S9_S9_S9_EEEESB_EEENSN_IJSM_SM_EEESB_PlJNSF_9not_fun_tINSF_14equal_to_valueISA_EEEEEEE10hipError_tPvRmT3_T4_T5_T6_T7_T9_mT8_P12ihipStream_tbDpT10_ENKUlT_T0_E_clISt17integral_constantIbLb0EES1J_EEDaS1E_S1F_EUlS1E_E_NS1_11comp_targetILNS1_3genE10ELNS1_11target_archE1200ELNS1_3gpuE4ELNS1_3repE0EEENS1_30default_config_static_selectorELNS0_4arch9wavefront6targetE0EEEvT1_.num_agpr, 0
	.set _ZN7rocprim17ROCPRIM_400000_NS6detail17trampoline_kernelINS0_14default_configENS1_25partition_config_selectorILNS1_17partition_subalgoE6EN6thrust23THRUST_200600_302600_NS5tupleIiiNS7_9null_typeES9_S9_S9_S9_S9_S9_S9_EENS0_10empty_typeEbEEZZNS1_14partition_implILS5_6ELb0ES3_mNS7_12zip_iteratorINS8_INS7_6detail15normal_iteratorINS7_10device_ptrIiEEEESJ_S9_S9_S9_S9_S9_S9_S9_S9_EEEEPSB_SM_NS0_5tupleIJNSE_INS8_ISJ_NS7_16discard_iteratorINS7_11use_defaultEEES9_S9_S9_S9_S9_S9_S9_S9_EEEESB_EEENSN_IJSM_SM_EEESB_PlJNSF_9not_fun_tINSF_14equal_to_valueISA_EEEEEEE10hipError_tPvRmT3_T4_T5_T6_T7_T9_mT8_P12ihipStream_tbDpT10_ENKUlT_T0_E_clISt17integral_constantIbLb0EES1J_EEDaS1E_S1F_EUlS1E_E_NS1_11comp_targetILNS1_3genE10ELNS1_11target_archE1200ELNS1_3gpuE4ELNS1_3repE0EEENS1_30default_config_static_selectorELNS0_4arch9wavefront6targetE0EEEvT1_.numbered_sgpr, 24
	.set _ZN7rocprim17ROCPRIM_400000_NS6detail17trampoline_kernelINS0_14default_configENS1_25partition_config_selectorILNS1_17partition_subalgoE6EN6thrust23THRUST_200600_302600_NS5tupleIiiNS7_9null_typeES9_S9_S9_S9_S9_S9_S9_EENS0_10empty_typeEbEEZZNS1_14partition_implILS5_6ELb0ES3_mNS7_12zip_iteratorINS8_INS7_6detail15normal_iteratorINS7_10device_ptrIiEEEESJ_S9_S9_S9_S9_S9_S9_S9_S9_EEEEPSB_SM_NS0_5tupleIJNSE_INS8_ISJ_NS7_16discard_iteratorINS7_11use_defaultEEES9_S9_S9_S9_S9_S9_S9_S9_EEEESB_EEENSN_IJSM_SM_EEESB_PlJNSF_9not_fun_tINSF_14equal_to_valueISA_EEEEEEE10hipError_tPvRmT3_T4_T5_T6_T7_T9_mT8_P12ihipStream_tbDpT10_ENKUlT_T0_E_clISt17integral_constantIbLb0EES1J_EEDaS1E_S1F_EUlS1E_E_NS1_11comp_targetILNS1_3genE10ELNS1_11target_archE1200ELNS1_3gpuE4ELNS1_3repE0EEENS1_30default_config_static_selectorELNS0_4arch9wavefront6targetE0EEEvT1_.num_named_barrier, 0
	.set _ZN7rocprim17ROCPRIM_400000_NS6detail17trampoline_kernelINS0_14default_configENS1_25partition_config_selectorILNS1_17partition_subalgoE6EN6thrust23THRUST_200600_302600_NS5tupleIiiNS7_9null_typeES9_S9_S9_S9_S9_S9_S9_EENS0_10empty_typeEbEEZZNS1_14partition_implILS5_6ELb0ES3_mNS7_12zip_iteratorINS8_INS7_6detail15normal_iteratorINS7_10device_ptrIiEEEESJ_S9_S9_S9_S9_S9_S9_S9_S9_EEEEPSB_SM_NS0_5tupleIJNSE_INS8_ISJ_NS7_16discard_iteratorINS7_11use_defaultEEES9_S9_S9_S9_S9_S9_S9_S9_EEEESB_EEENSN_IJSM_SM_EEESB_PlJNSF_9not_fun_tINSF_14equal_to_valueISA_EEEEEEE10hipError_tPvRmT3_T4_T5_T6_T7_T9_mT8_P12ihipStream_tbDpT10_ENKUlT_T0_E_clISt17integral_constantIbLb0EES1J_EEDaS1E_S1F_EUlS1E_E_NS1_11comp_targetILNS1_3genE10ELNS1_11target_archE1200ELNS1_3gpuE4ELNS1_3repE0EEENS1_30default_config_static_selectorELNS0_4arch9wavefront6targetE0EEEvT1_.private_seg_size, 0
	.set _ZN7rocprim17ROCPRIM_400000_NS6detail17trampoline_kernelINS0_14default_configENS1_25partition_config_selectorILNS1_17partition_subalgoE6EN6thrust23THRUST_200600_302600_NS5tupleIiiNS7_9null_typeES9_S9_S9_S9_S9_S9_S9_EENS0_10empty_typeEbEEZZNS1_14partition_implILS5_6ELb0ES3_mNS7_12zip_iteratorINS8_INS7_6detail15normal_iteratorINS7_10device_ptrIiEEEESJ_S9_S9_S9_S9_S9_S9_S9_S9_EEEEPSB_SM_NS0_5tupleIJNSE_INS8_ISJ_NS7_16discard_iteratorINS7_11use_defaultEEES9_S9_S9_S9_S9_S9_S9_S9_EEEESB_EEENSN_IJSM_SM_EEESB_PlJNSF_9not_fun_tINSF_14equal_to_valueISA_EEEEEEE10hipError_tPvRmT3_T4_T5_T6_T7_T9_mT8_P12ihipStream_tbDpT10_ENKUlT_T0_E_clISt17integral_constantIbLb0EES1J_EEDaS1E_S1F_EUlS1E_E_NS1_11comp_targetILNS1_3genE10ELNS1_11target_archE1200ELNS1_3gpuE4ELNS1_3repE0EEENS1_30default_config_static_selectorELNS0_4arch9wavefront6targetE0EEEvT1_.uses_vcc, 1
	.set _ZN7rocprim17ROCPRIM_400000_NS6detail17trampoline_kernelINS0_14default_configENS1_25partition_config_selectorILNS1_17partition_subalgoE6EN6thrust23THRUST_200600_302600_NS5tupleIiiNS7_9null_typeES9_S9_S9_S9_S9_S9_S9_EENS0_10empty_typeEbEEZZNS1_14partition_implILS5_6ELb0ES3_mNS7_12zip_iteratorINS8_INS7_6detail15normal_iteratorINS7_10device_ptrIiEEEESJ_S9_S9_S9_S9_S9_S9_S9_S9_EEEEPSB_SM_NS0_5tupleIJNSE_INS8_ISJ_NS7_16discard_iteratorINS7_11use_defaultEEES9_S9_S9_S9_S9_S9_S9_S9_EEEESB_EEENSN_IJSM_SM_EEESB_PlJNSF_9not_fun_tINSF_14equal_to_valueISA_EEEEEEE10hipError_tPvRmT3_T4_T5_T6_T7_T9_mT8_P12ihipStream_tbDpT10_ENKUlT_T0_E_clISt17integral_constantIbLb0EES1J_EEDaS1E_S1F_EUlS1E_E_NS1_11comp_targetILNS1_3genE10ELNS1_11target_archE1200ELNS1_3gpuE4ELNS1_3repE0EEENS1_30default_config_static_selectorELNS0_4arch9wavefront6targetE0EEEvT1_.uses_flat_scratch, 0
	.set _ZN7rocprim17ROCPRIM_400000_NS6detail17trampoline_kernelINS0_14default_configENS1_25partition_config_selectorILNS1_17partition_subalgoE6EN6thrust23THRUST_200600_302600_NS5tupleIiiNS7_9null_typeES9_S9_S9_S9_S9_S9_S9_EENS0_10empty_typeEbEEZZNS1_14partition_implILS5_6ELb0ES3_mNS7_12zip_iteratorINS8_INS7_6detail15normal_iteratorINS7_10device_ptrIiEEEESJ_S9_S9_S9_S9_S9_S9_S9_S9_EEEEPSB_SM_NS0_5tupleIJNSE_INS8_ISJ_NS7_16discard_iteratorINS7_11use_defaultEEES9_S9_S9_S9_S9_S9_S9_S9_EEEESB_EEENSN_IJSM_SM_EEESB_PlJNSF_9not_fun_tINSF_14equal_to_valueISA_EEEEEEE10hipError_tPvRmT3_T4_T5_T6_T7_T9_mT8_P12ihipStream_tbDpT10_ENKUlT_T0_E_clISt17integral_constantIbLb0EES1J_EEDaS1E_S1F_EUlS1E_E_NS1_11comp_targetILNS1_3genE10ELNS1_11target_archE1200ELNS1_3gpuE4ELNS1_3repE0EEENS1_30default_config_static_selectorELNS0_4arch9wavefront6targetE0EEEvT1_.has_dyn_sized_stack, 0
	.set _ZN7rocprim17ROCPRIM_400000_NS6detail17trampoline_kernelINS0_14default_configENS1_25partition_config_selectorILNS1_17partition_subalgoE6EN6thrust23THRUST_200600_302600_NS5tupleIiiNS7_9null_typeES9_S9_S9_S9_S9_S9_S9_EENS0_10empty_typeEbEEZZNS1_14partition_implILS5_6ELb0ES3_mNS7_12zip_iteratorINS8_INS7_6detail15normal_iteratorINS7_10device_ptrIiEEEESJ_S9_S9_S9_S9_S9_S9_S9_S9_EEEEPSB_SM_NS0_5tupleIJNSE_INS8_ISJ_NS7_16discard_iteratorINS7_11use_defaultEEES9_S9_S9_S9_S9_S9_S9_S9_EEEESB_EEENSN_IJSM_SM_EEESB_PlJNSF_9not_fun_tINSF_14equal_to_valueISA_EEEEEEE10hipError_tPvRmT3_T4_T5_T6_T7_T9_mT8_P12ihipStream_tbDpT10_ENKUlT_T0_E_clISt17integral_constantIbLb0EES1J_EEDaS1E_S1F_EUlS1E_E_NS1_11comp_targetILNS1_3genE10ELNS1_11target_archE1200ELNS1_3gpuE4ELNS1_3repE0EEENS1_30default_config_static_selectorELNS0_4arch9wavefront6targetE0EEEvT1_.has_recursion, 0
	.set _ZN7rocprim17ROCPRIM_400000_NS6detail17trampoline_kernelINS0_14default_configENS1_25partition_config_selectorILNS1_17partition_subalgoE6EN6thrust23THRUST_200600_302600_NS5tupleIiiNS7_9null_typeES9_S9_S9_S9_S9_S9_S9_EENS0_10empty_typeEbEEZZNS1_14partition_implILS5_6ELb0ES3_mNS7_12zip_iteratorINS8_INS7_6detail15normal_iteratorINS7_10device_ptrIiEEEESJ_S9_S9_S9_S9_S9_S9_S9_S9_EEEEPSB_SM_NS0_5tupleIJNSE_INS8_ISJ_NS7_16discard_iteratorINS7_11use_defaultEEES9_S9_S9_S9_S9_S9_S9_S9_EEEESB_EEENSN_IJSM_SM_EEESB_PlJNSF_9not_fun_tINSF_14equal_to_valueISA_EEEEEEE10hipError_tPvRmT3_T4_T5_T6_T7_T9_mT8_P12ihipStream_tbDpT10_ENKUlT_T0_E_clISt17integral_constantIbLb0EES1J_EEDaS1E_S1F_EUlS1E_E_NS1_11comp_targetILNS1_3genE10ELNS1_11target_archE1200ELNS1_3gpuE4ELNS1_3repE0EEENS1_30default_config_static_selectorELNS0_4arch9wavefront6targetE0EEEvT1_.has_indirect_call, 0
	.section	.AMDGPU.csdata,"",@progbits
; Kernel info:
; codeLenInByte = 6348
; TotalNumSgprs: 26
; NumVgprs: 46
; ScratchSize: 0
; MemoryBound: 0
; FloatMode: 240
; IeeeMode: 1
; LDSByteSize: 8464 bytes/workgroup (compile time only)
; SGPRBlocks: 0
; VGPRBlocks: 5
; NumSGPRsForWavesPerEU: 26
; NumVGPRsForWavesPerEU: 46
; Occupancy: 16
; WaveLimiterHint : 1
; COMPUTE_PGM_RSRC2:SCRATCH_EN: 0
; COMPUTE_PGM_RSRC2:USER_SGPR: 2
; COMPUTE_PGM_RSRC2:TRAP_HANDLER: 0
; COMPUTE_PGM_RSRC2:TGID_X_EN: 1
; COMPUTE_PGM_RSRC2:TGID_Y_EN: 0
; COMPUTE_PGM_RSRC2:TGID_Z_EN: 0
; COMPUTE_PGM_RSRC2:TIDIG_COMP_CNT: 0
	.section	.text._ZN7rocprim17ROCPRIM_400000_NS6detail17trampoline_kernelINS0_14default_configENS1_25partition_config_selectorILNS1_17partition_subalgoE6EN6thrust23THRUST_200600_302600_NS5tupleIiiNS7_9null_typeES9_S9_S9_S9_S9_S9_S9_EENS0_10empty_typeEbEEZZNS1_14partition_implILS5_6ELb0ES3_mNS7_12zip_iteratorINS8_INS7_6detail15normal_iteratorINS7_10device_ptrIiEEEESJ_S9_S9_S9_S9_S9_S9_S9_S9_EEEEPSB_SM_NS0_5tupleIJNSE_INS8_ISJ_NS7_16discard_iteratorINS7_11use_defaultEEES9_S9_S9_S9_S9_S9_S9_S9_EEEESB_EEENSN_IJSM_SM_EEESB_PlJNSF_9not_fun_tINSF_14equal_to_valueISA_EEEEEEE10hipError_tPvRmT3_T4_T5_T6_T7_T9_mT8_P12ihipStream_tbDpT10_ENKUlT_T0_E_clISt17integral_constantIbLb0EES1J_EEDaS1E_S1F_EUlS1E_E_NS1_11comp_targetILNS1_3genE9ELNS1_11target_archE1100ELNS1_3gpuE3ELNS1_3repE0EEENS1_30default_config_static_selectorELNS0_4arch9wavefront6targetE0EEEvT1_,"axG",@progbits,_ZN7rocprim17ROCPRIM_400000_NS6detail17trampoline_kernelINS0_14default_configENS1_25partition_config_selectorILNS1_17partition_subalgoE6EN6thrust23THRUST_200600_302600_NS5tupleIiiNS7_9null_typeES9_S9_S9_S9_S9_S9_S9_EENS0_10empty_typeEbEEZZNS1_14partition_implILS5_6ELb0ES3_mNS7_12zip_iteratorINS8_INS7_6detail15normal_iteratorINS7_10device_ptrIiEEEESJ_S9_S9_S9_S9_S9_S9_S9_S9_EEEEPSB_SM_NS0_5tupleIJNSE_INS8_ISJ_NS7_16discard_iteratorINS7_11use_defaultEEES9_S9_S9_S9_S9_S9_S9_S9_EEEESB_EEENSN_IJSM_SM_EEESB_PlJNSF_9not_fun_tINSF_14equal_to_valueISA_EEEEEEE10hipError_tPvRmT3_T4_T5_T6_T7_T9_mT8_P12ihipStream_tbDpT10_ENKUlT_T0_E_clISt17integral_constantIbLb0EES1J_EEDaS1E_S1F_EUlS1E_E_NS1_11comp_targetILNS1_3genE9ELNS1_11target_archE1100ELNS1_3gpuE3ELNS1_3repE0EEENS1_30default_config_static_selectorELNS0_4arch9wavefront6targetE0EEEvT1_,comdat
	.protected	_ZN7rocprim17ROCPRIM_400000_NS6detail17trampoline_kernelINS0_14default_configENS1_25partition_config_selectorILNS1_17partition_subalgoE6EN6thrust23THRUST_200600_302600_NS5tupleIiiNS7_9null_typeES9_S9_S9_S9_S9_S9_S9_EENS0_10empty_typeEbEEZZNS1_14partition_implILS5_6ELb0ES3_mNS7_12zip_iteratorINS8_INS7_6detail15normal_iteratorINS7_10device_ptrIiEEEESJ_S9_S9_S9_S9_S9_S9_S9_S9_EEEEPSB_SM_NS0_5tupleIJNSE_INS8_ISJ_NS7_16discard_iteratorINS7_11use_defaultEEES9_S9_S9_S9_S9_S9_S9_S9_EEEESB_EEENSN_IJSM_SM_EEESB_PlJNSF_9not_fun_tINSF_14equal_to_valueISA_EEEEEEE10hipError_tPvRmT3_T4_T5_T6_T7_T9_mT8_P12ihipStream_tbDpT10_ENKUlT_T0_E_clISt17integral_constantIbLb0EES1J_EEDaS1E_S1F_EUlS1E_E_NS1_11comp_targetILNS1_3genE9ELNS1_11target_archE1100ELNS1_3gpuE3ELNS1_3repE0EEENS1_30default_config_static_selectorELNS0_4arch9wavefront6targetE0EEEvT1_ ; -- Begin function _ZN7rocprim17ROCPRIM_400000_NS6detail17trampoline_kernelINS0_14default_configENS1_25partition_config_selectorILNS1_17partition_subalgoE6EN6thrust23THRUST_200600_302600_NS5tupleIiiNS7_9null_typeES9_S9_S9_S9_S9_S9_S9_EENS0_10empty_typeEbEEZZNS1_14partition_implILS5_6ELb0ES3_mNS7_12zip_iteratorINS8_INS7_6detail15normal_iteratorINS7_10device_ptrIiEEEESJ_S9_S9_S9_S9_S9_S9_S9_S9_EEEEPSB_SM_NS0_5tupleIJNSE_INS8_ISJ_NS7_16discard_iteratorINS7_11use_defaultEEES9_S9_S9_S9_S9_S9_S9_S9_EEEESB_EEENSN_IJSM_SM_EEESB_PlJNSF_9not_fun_tINSF_14equal_to_valueISA_EEEEEEE10hipError_tPvRmT3_T4_T5_T6_T7_T9_mT8_P12ihipStream_tbDpT10_ENKUlT_T0_E_clISt17integral_constantIbLb0EES1J_EEDaS1E_S1F_EUlS1E_E_NS1_11comp_targetILNS1_3genE9ELNS1_11target_archE1100ELNS1_3gpuE3ELNS1_3repE0EEENS1_30default_config_static_selectorELNS0_4arch9wavefront6targetE0EEEvT1_
	.globl	_ZN7rocprim17ROCPRIM_400000_NS6detail17trampoline_kernelINS0_14default_configENS1_25partition_config_selectorILNS1_17partition_subalgoE6EN6thrust23THRUST_200600_302600_NS5tupleIiiNS7_9null_typeES9_S9_S9_S9_S9_S9_S9_EENS0_10empty_typeEbEEZZNS1_14partition_implILS5_6ELb0ES3_mNS7_12zip_iteratorINS8_INS7_6detail15normal_iteratorINS7_10device_ptrIiEEEESJ_S9_S9_S9_S9_S9_S9_S9_S9_EEEEPSB_SM_NS0_5tupleIJNSE_INS8_ISJ_NS7_16discard_iteratorINS7_11use_defaultEEES9_S9_S9_S9_S9_S9_S9_S9_EEEESB_EEENSN_IJSM_SM_EEESB_PlJNSF_9not_fun_tINSF_14equal_to_valueISA_EEEEEEE10hipError_tPvRmT3_T4_T5_T6_T7_T9_mT8_P12ihipStream_tbDpT10_ENKUlT_T0_E_clISt17integral_constantIbLb0EES1J_EEDaS1E_S1F_EUlS1E_E_NS1_11comp_targetILNS1_3genE9ELNS1_11target_archE1100ELNS1_3gpuE3ELNS1_3repE0EEENS1_30default_config_static_selectorELNS0_4arch9wavefront6targetE0EEEvT1_
	.p2align	8
	.type	_ZN7rocprim17ROCPRIM_400000_NS6detail17trampoline_kernelINS0_14default_configENS1_25partition_config_selectorILNS1_17partition_subalgoE6EN6thrust23THRUST_200600_302600_NS5tupleIiiNS7_9null_typeES9_S9_S9_S9_S9_S9_S9_EENS0_10empty_typeEbEEZZNS1_14partition_implILS5_6ELb0ES3_mNS7_12zip_iteratorINS8_INS7_6detail15normal_iteratorINS7_10device_ptrIiEEEESJ_S9_S9_S9_S9_S9_S9_S9_S9_EEEEPSB_SM_NS0_5tupleIJNSE_INS8_ISJ_NS7_16discard_iteratorINS7_11use_defaultEEES9_S9_S9_S9_S9_S9_S9_S9_EEEESB_EEENSN_IJSM_SM_EEESB_PlJNSF_9not_fun_tINSF_14equal_to_valueISA_EEEEEEE10hipError_tPvRmT3_T4_T5_T6_T7_T9_mT8_P12ihipStream_tbDpT10_ENKUlT_T0_E_clISt17integral_constantIbLb0EES1J_EEDaS1E_S1F_EUlS1E_E_NS1_11comp_targetILNS1_3genE9ELNS1_11target_archE1100ELNS1_3gpuE3ELNS1_3repE0EEENS1_30default_config_static_selectorELNS0_4arch9wavefront6targetE0EEEvT1_,@function
_ZN7rocprim17ROCPRIM_400000_NS6detail17trampoline_kernelINS0_14default_configENS1_25partition_config_selectorILNS1_17partition_subalgoE6EN6thrust23THRUST_200600_302600_NS5tupleIiiNS7_9null_typeES9_S9_S9_S9_S9_S9_S9_EENS0_10empty_typeEbEEZZNS1_14partition_implILS5_6ELb0ES3_mNS7_12zip_iteratorINS8_INS7_6detail15normal_iteratorINS7_10device_ptrIiEEEESJ_S9_S9_S9_S9_S9_S9_S9_S9_EEEEPSB_SM_NS0_5tupleIJNSE_INS8_ISJ_NS7_16discard_iteratorINS7_11use_defaultEEES9_S9_S9_S9_S9_S9_S9_S9_EEEESB_EEENSN_IJSM_SM_EEESB_PlJNSF_9not_fun_tINSF_14equal_to_valueISA_EEEEEEE10hipError_tPvRmT3_T4_T5_T6_T7_T9_mT8_P12ihipStream_tbDpT10_ENKUlT_T0_E_clISt17integral_constantIbLb0EES1J_EEDaS1E_S1F_EUlS1E_E_NS1_11comp_targetILNS1_3genE9ELNS1_11target_archE1100ELNS1_3gpuE3ELNS1_3repE0EEENS1_30default_config_static_selectorELNS0_4arch9wavefront6targetE0EEEvT1_: ; @_ZN7rocprim17ROCPRIM_400000_NS6detail17trampoline_kernelINS0_14default_configENS1_25partition_config_selectorILNS1_17partition_subalgoE6EN6thrust23THRUST_200600_302600_NS5tupleIiiNS7_9null_typeES9_S9_S9_S9_S9_S9_S9_EENS0_10empty_typeEbEEZZNS1_14partition_implILS5_6ELb0ES3_mNS7_12zip_iteratorINS8_INS7_6detail15normal_iteratorINS7_10device_ptrIiEEEESJ_S9_S9_S9_S9_S9_S9_S9_S9_EEEEPSB_SM_NS0_5tupleIJNSE_INS8_ISJ_NS7_16discard_iteratorINS7_11use_defaultEEES9_S9_S9_S9_S9_S9_S9_S9_EEEESB_EEENSN_IJSM_SM_EEESB_PlJNSF_9not_fun_tINSF_14equal_to_valueISA_EEEEEEE10hipError_tPvRmT3_T4_T5_T6_T7_T9_mT8_P12ihipStream_tbDpT10_ENKUlT_T0_E_clISt17integral_constantIbLb0EES1J_EEDaS1E_S1F_EUlS1E_E_NS1_11comp_targetILNS1_3genE9ELNS1_11target_archE1100ELNS1_3gpuE3ELNS1_3repE0EEENS1_30default_config_static_selectorELNS0_4arch9wavefront6targetE0EEEvT1_
; %bb.0:
	.section	.rodata,"a",@progbits
	.p2align	6, 0x0
	.amdhsa_kernel _ZN7rocprim17ROCPRIM_400000_NS6detail17trampoline_kernelINS0_14default_configENS1_25partition_config_selectorILNS1_17partition_subalgoE6EN6thrust23THRUST_200600_302600_NS5tupleIiiNS7_9null_typeES9_S9_S9_S9_S9_S9_S9_EENS0_10empty_typeEbEEZZNS1_14partition_implILS5_6ELb0ES3_mNS7_12zip_iteratorINS8_INS7_6detail15normal_iteratorINS7_10device_ptrIiEEEESJ_S9_S9_S9_S9_S9_S9_S9_S9_EEEEPSB_SM_NS0_5tupleIJNSE_INS8_ISJ_NS7_16discard_iteratorINS7_11use_defaultEEES9_S9_S9_S9_S9_S9_S9_S9_EEEESB_EEENSN_IJSM_SM_EEESB_PlJNSF_9not_fun_tINSF_14equal_to_valueISA_EEEEEEE10hipError_tPvRmT3_T4_T5_T6_T7_T9_mT8_P12ihipStream_tbDpT10_ENKUlT_T0_E_clISt17integral_constantIbLb0EES1J_EEDaS1E_S1F_EUlS1E_E_NS1_11comp_targetILNS1_3genE9ELNS1_11target_archE1100ELNS1_3gpuE3ELNS1_3repE0EEENS1_30default_config_static_selectorELNS0_4arch9wavefront6targetE0EEEvT1_
		.amdhsa_group_segment_fixed_size 0
		.amdhsa_private_segment_fixed_size 0
		.amdhsa_kernarg_size 144
		.amdhsa_user_sgpr_count 2
		.amdhsa_user_sgpr_dispatch_ptr 0
		.amdhsa_user_sgpr_queue_ptr 0
		.amdhsa_user_sgpr_kernarg_segment_ptr 1
		.amdhsa_user_sgpr_dispatch_id 0
		.amdhsa_user_sgpr_private_segment_size 0
		.amdhsa_wavefront_size32 1
		.amdhsa_uses_dynamic_stack 0
		.amdhsa_enable_private_segment 0
		.amdhsa_system_sgpr_workgroup_id_x 1
		.amdhsa_system_sgpr_workgroup_id_y 0
		.amdhsa_system_sgpr_workgroup_id_z 0
		.amdhsa_system_sgpr_workgroup_info 0
		.amdhsa_system_vgpr_workitem_id 0
		.amdhsa_next_free_vgpr 1
		.amdhsa_next_free_sgpr 1
		.amdhsa_reserve_vcc 0
		.amdhsa_float_round_mode_32 0
		.amdhsa_float_round_mode_16_64 0
		.amdhsa_float_denorm_mode_32 3
		.amdhsa_float_denorm_mode_16_64 3
		.amdhsa_fp16_overflow 0
		.amdhsa_workgroup_processor_mode 1
		.amdhsa_memory_ordered 1
		.amdhsa_forward_progress 1
		.amdhsa_inst_pref_size 0
		.amdhsa_round_robin_scheduling 0
		.amdhsa_exception_fp_ieee_invalid_op 0
		.amdhsa_exception_fp_denorm_src 0
		.amdhsa_exception_fp_ieee_div_zero 0
		.amdhsa_exception_fp_ieee_overflow 0
		.amdhsa_exception_fp_ieee_underflow 0
		.amdhsa_exception_fp_ieee_inexact 0
		.amdhsa_exception_int_div_zero 0
	.end_amdhsa_kernel
	.section	.text._ZN7rocprim17ROCPRIM_400000_NS6detail17trampoline_kernelINS0_14default_configENS1_25partition_config_selectorILNS1_17partition_subalgoE6EN6thrust23THRUST_200600_302600_NS5tupleIiiNS7_9null_typeES9_S9_S9_S9_S9_S9_S9_EENS0_10empty_typeEbEEZZNS1_14partition_implILS5_6ELb0ES3_mNS7_12zip_iteratorINS8_INS7_6detail15normal_iteratorINS7_10device_ptrIiEEEESJ_S9_S9_S9_S9_S9_S9_S9_S9_EEEEPSB_SM_NS0_5tupleIJNSE_INS8_ISJ_NS7_16discard_iteratorINS7_11use_defaultEEES9_S9_S9_S9_S9_S9_S9_S9_EEEESB_EEENSN_IJSM_SM_EEESB_PlJNSF_9not_fun_tINSF_14equal_to_valueISA_EEEEEEE10hipError_tPvRmT3_T4_T5_T6_T7_T9_mT8_P12ihipStream_tbDpT10_ENKUlT_T0_E_clISt17integral_constantIbLb0EES1J_EEDaS1E_S1F_EUlS1E_E_NS1_11comp_targetILNS1_3genE9ELNS1_11target_archE1100ELNS1_3gpuE3ELNS1_3repE0EEENS1_30default_config_static_selectorELNS0_4arch9wavefront6targetE0EEEvT1_,"axG",@progbits,_ZN7rocprim17ROCPRIM_400000_NS6detail17trampoline_kernelINS0_14default_configENS1_25partition_config_selectorILNS1_17partition_subalgoE6EN6thrust23THRUST_200600_302600_NS5tupleIiiNS7_9null_typeES9_S9_S9_S9_S9_S9_S9_EENS0_10empty_typeEbEEZZNS1_14partition_implILS5_6ELb0ES3_mNS7_12zip_iteratorINS8_INS7_6detail15normal_iteratorINS7_10device_ptrIiEEEESJ_S9_S9_S9_S9_S9_S9_S9_S9_EEEEPSB_SM_NS0_5tupleIJNSE_INS8_ISJ_NS7_16discard_iteratorINS7_11use_defaultEEES9_S9_S9_S9_S9_S9_S9_S9_EEEESB_EEENSN_IJSM_SM_EEESB_PlJNSF_9not_fun_tINSF_14equal_to_valueISA_EEEEEEE10hipError_tPvRmT3_T4_T5_T6_T7_T9_mT8_P12ihipStream_tbDpT10_ENKUlT_T0_E_clISt17integral_constantIbLb0EES1J_EEDaS1E_S1F_EUlS1E_E_NS1_11comp_targetILNS1_3genE9ELNS1_11target_archE1100ELNS1_3gpuE3ELNS1_3repE0EEENS1_30default_config_static_selectorELNS0_4arch9wavefront6targetE0EEEvT1_,comdat
.Lfunc_end2019:
	.size	_ZN7rocprim17ROCPRIM_400000_NS6detail17trampoline_kernelINS0_14default_configENS1_25partition_config_selectorILNS1_17partition_subalgoE6EN6thrust23THRUST_200600_302600_NS5tupleIiiNS7_9null_typeES9_S9_S9_S9_S9_S9_S9_EENS0_10empty_typeEbEEZZNS1_14partition_implILS5_6ELb0ES3_mNS7_12zip_iteratorINS8_INS7_6detail15normal_iteratorINS7_10device_ptrIiEEEESJ_S9_S9_S9_S9_S9_S9_S9_S9_EEEEPSB_SM_NS0_5tupleIJNSE_INS8_ISJ_NS7_16discard_iteratorINS7_11use_defaultEEES9_S9_S9_S9_S9_S9_S9_S9_EEEESB_EEENSN_IJSM_SM_EEESB_PlJNSF_9not_fun_tINSF_14equal_to_valueISA_EEEEEEE10hipError_tPvRmT3_T4_T5_T6_T7_T9_mT8_P12ihipStream_tbDpT10_ENKUlT_T0_E_clISt17integral_constantIbLb0EES1J_EEDaS1E_S1F_EUlS1E_E_NS1_11comp_targetILNS1_3genE9ELNS1_11target_archE1100ELNS1_3gpuE3ELNS1_3repE0EEENS1_30default_config_static_selectorELNS0_4arch9wavefront6targetE0EEEvT1_, .Lfunc_end2019-_ZN7rocprim17ROCPRIM_400000_NS6detail17trampoline_kernelINS0_14default_configENS1_25partition_config_selectorILNS1_17partition_subalgoE6EN6thrust23THRUST_200600_302600_NS5tupleIiiNS7_9null_typeES9_S9_S9_S9_S9_S9_S9_EENS0_10empty_typeEbEEZZNS1_14partition_implILS5_6ELb0ES3_mNS7_12zip_iteratorINS8_INS7_6detail15normal_iteratorINS7_10device_ptrIiEEEESJ_S9_S9_S9_S9_S9_S9_S9_S9_EEEEPSB_SM_NS0_5tupleIJNSE_INS8_ISJ_NS7_16discard_iteratorINS7_11use_defaultEEES9_S9_S9_S9_S9_S9_S9_S9_EEEESB_EEENSN_IJSM_SM_EEESB_PlJNSF_9not_fun_tINSF_14equal_to_valueISA_EEEEEEE10hipError_tPvRmT3_T4_T5_T6_T7_T9_mT8_P12ihipStream_tbDpT10_ENKUlT_T0_E_clISt17integral_constantIbLb0EES1J_EEDaS1E_S1F_EUlS1E_E_NS1_11comp_targetILNS1_3genE9ELNS1_11target_archE1100ELNS1_3gpuE3ELNS1_3repE0EEENS1_30default_config_static_selectorELNS0_4arch9wavefront6targetE0EEEvT1_
                                        ; -- End function
	.set _ZN7rocprim17ROCPRIM_400000_NS6detail17trampoline_kernelINS0_14default_configENS1_25partition_config_selectorILNS1_17partition_subalgoE6EN6thrust23THRUST_200600_302600_NS5tupleIiiNS7_9null_typeES9_S9_S9_S9_S9_S9_S9_EENS0_10empty_typeEbEEZZNS1_14partition_implILS5_6ELb0ES3_mNS7_12zip_iteratorINS8_INS7_6detail15normal_iteratorINS7_10device_ptrIiEEEESJ_S9_S9_S9_S9_S9_S9_S9_S9_EEEEPSB_SM_NS0_5tupleIJNSE_INS8_ISJ_NS7_16discard_iteratorINS7_11use_defaultEEES9_S9_S9_S9_S9_S9_S9_S9_EEEESB_EEENSN_IJSM_SM_EEESB_PlJNSF_9not_fun_tINSF_14equal_to_valueISA_EEEEEEE10hipError_tPvRmT3_T4_T5_T6_T7_T9_mT8_P12ihipStream_tbDpT10_ENKUlT_T0_E_clISt17integral_constantIbLb0EES1J_EEDaS1E_S1F_EUlS1E_E_NS1_11comp_targetILNS1_3genE9ELNS1_11target_archE1100ELNS1_3gpuE3ELNS1_3repE0EEENS1_30default_config_static_selectorELNS0_4arch9wavefront6targetE0EEEvT1_.num_vgpr, 0
	.set _ZN7rocprim17ROCPRIM_400000_NS6detail17trampoline_kernelINS0_14default_configENS1_25partition_config_selectorILNS1_17partition_subalgoE6EN6thrust23THRUST_200600_302600_NS5tupleIiiNS7_9null_typeES9_S9_S9_S9_S9_S9_S9_EENS0_10empty_typeEbEEZZNS1_14partition_implILS5_6ELb0ES3_mNS7_12zip_iteratorINS8_INS7_6detail15normal_iteratorINS7_10device_ptrIiEEEESJ_S9_S9_S9_S9_S9_S9_S9_S9_EEEEPSB_SM_NS0_5tupleIJNSE_INS8_ISJ_NS7_16discard_iteratorINS7_11use_defaultEEES9_S9_S9_S9_S9_S9_S9_S9_EEEESB_EEENSN_IJSM_SM_EEESB_PlJNSF_9not_fun_tINSF_14equal_to_valueISA_EEEEEEE10hipError_tPvRmT3_T4_T5_T6_T7_T9_mT8_P12ihipStream_tbDpT10_ENKUlT_T0_E_clISt17integral_constantIbLb0EES1J_EEDaS1E_S1F_EUlS1E_E_NS1_11comp_targetILNS1_3genE9ELNS1_11target_archE1100ELNS1_3gpuE3ELNS1_3repE0EEENS1_30default_config_static_selectorELNS0_4arch9wavefront6targetE0EEEvT1_.num_agpr, 0
	.set _ZN7rocprim17ROCPRIM_400000_NS6detail17trampoline_kernelINS0_14default_configENS1_25partition_config_selectorILNS1_17partition_subalgoE6EN6thrust23THRUST_200600_302600_NS5tupleIiiNS7_9null_typeES9_S9_S9_S9_S9_S9_S9_EENS0_10empty_typeEbEEZZNS1_14partition_implILS5_6ELb0ES3_mNS7_12zip_iteratorINS8_INS7_6detail15normal_iteratorINS7_10device_ptrIiEEEESJ_S9_S9_S9_S9_S9_S9_S9_S9_EEEEPSB_SM_NS0_5tupleIJNSE_INS8_ISJ_NS7_16discard_iteratorINS7_11use_defaultEEES9_S9_S9_S9_S9_S9_S9_S9_EEEESB_EEENSN_IJSM_SM_EEESB_PlJNSF_9not_fun_tINSF_14equal_to_valueISA_EEEEEEE10hipError_tPvRmT3_T4_T5_T6_T7_T9_mT8_P12ihipStream_tbDpT10_ENKUlT_T0_E_clISt17integral_constantIbLb0EES1J_EEDaS1E_S1F_EUlS1E_E_NS1_11comp_targetILNS1_3genE9ELNS1_11target_archE1100ELNS1_3gpuE3ELNS1_3repE0EEENS1_30default_config_static_selectorELNS0_4arch9wavefront6targetE0EEEvT1_.numbered_sgpr, 0
	.set _ZN7rocprim17ROCPRIM_400000_NS6detail17trampoline_kernelINS0_14default_configENS1_25partition_config_selectorILNS1_17partition_subalgoE6EN6thrust23THRUST_200600_302600_NS5tupleIiiNS7_9null_typeES9_S9_S9_S9_S9_S9_S9_EENS0_10empty_typeEbEEZZNS1_14partition_implILS5_6ELb0ES3_mNS7_12zip_iteratorINS8_INS7_6detail15normal_iteratorINS7_10device_ptrIiEEEESJ_S9_S9_S9_S9_S9_S9_S9_S9_EEEEPSB_SM_NS0_5tupleIJNSE_INS8_ISJ_NS7_16discard_iteratorINS7_11use_defaultEEES9_S9_S9_S9_S9_S9_S9_S9_EEEESB_EEENSN_IJSM_SM_EEESB_PlJNSF_9not_fun_tINSF_14equal_to_valueISA_EEEEEEE10hipError_tPvRmT3_T4_T5_T6_T7_T9_mT8_P12ihipStream_tbDpT10_ENKUlT_T0_E_clISt17integral_constantIbLb0EES1J_EEDaS1E_S1F_EUlS1E_E_NS1_11comp_targetILNS1_3genE9ELNS1_11target_archE1100ELNS1_3gpuE3ELNS1_3repE0EEENS1_30default_config_static_selectorELNS0_4arch9wavefront6targetE0EEEvT1_.num_named_barrier, 0
	.set _ZN7rocprim17ROCPRIM_400000_NS6detail17trampoline_kernelINS0_14default_configENS1_25partition_config_selectorILNS1_17partition_subalgoE6EN6thrust23THRUST_200600_302600_NS5tupleIiiNS7_9null_typeES9_S9_S9_S9_S9_S9_S9_EENS0_10empty_typeEbEEZZNS1_14partition_implILS5_6ELb0ES3_mNS7_12zip_iteratorINS8_INS7_6detail15normal_iteratorINS7_10device_ptrIiEEEESJ_S9_S9_S9_S9_S9_S9_S9_S9_EEEEPSB_SM_NS0_5tupleIJNSE_INS8_ISJ_NS7_16discard_iteratorINS7_11use_defaultEEES9_S9_S9_S9_S9_S9_S9_S9_EEEESB_EEENSN_IJSM_SM_EEESB_PlJNSF_9not_fun_tINSF_14equal_to_valueISA_EEEEEEE10hipError_tPvRmT3_T4_T5_T6_T7_T9_mT8_P12ihipStream_tbDpT10_ENKUlT_T0_E_clISt17integral_constantIbLb0EES1J_EEDaS1E_S1F_EUlS1E_E_NS1_11comp_targetILNS1_3genE9ELNS1_11target_archE1100ELNS1_3gpuE3ELNS1_3repE0EEENS1_30default_config_static_selectorELNS0_4arch9wavefront6targetE0EEEvT1_.private_seg_size, 0
	.set _ZN7rocprim17ROCPRIM_400000_NS6detail17trampoline_kernelINS0_14default_configENS1_25partition_config_selectorILNS1_17partition_subalgoE6EN6thrust23THRUST_200600_302600_NS5tupleIiiNS7_9null_typeES9_S9_S9_S9_S9_S9_S9_EENS0_10empty_typeEbEEZZNS1_14partition_implILS5_6ELb0ES3_mNS7_12zip_iteratorINS8_INS7_6detail15normal_iteratorINS7_10device_ptrIiEEEESJ_S9_S9_S9_S9_S9_S9_S9_S9_EEEEPSB_SM_NS0_5tupleIJNSE_INS8_ISJ_NS7_16discard_iteratorINS7_11use_defaultEEES9_S9_S9_S9_S9_S9_S9_S9_EEEESB_EEENSN_IJSM_SM_EEESB_PlJNSF_9not_fun_tINSF_14equal_to_valueISA_EEEEEEE10hipError_tPvRmT3_T4_T5_T6_T7_T9_mT8_P12ihipStream_tbDpT10_ENKUlT_T0_E_clISt17integral_constantIbLb0EES1J_EEDaS1E_S1F_EUlS1E_E_NS1_11comp_targetILNS1_3genE9ELNS1_11target_archE1100ELNS1_3gpuE3ELNS1_3repE0EEENS1_30default_config_static_selectorELNS0_4arch9wavefront6targetE0EEEvT1_.uses_vcc, 0
	.set _ZN7rocprim17ROCPRIM_400000_NS6detail17trampoline_kernelINS0_14default_configENS1_25partition_config_selectorILNS1_17partition_subalgoE6EN6thrust23THRUST_200600_302600_NS5tupleIiiNS7_9null_typeES9_S9_S9_S9_S9_S9_S9_EENS0_10empty_typeEbEEZZNS1_14partition_implILS5_6ELb0ES3_mNS7_12zip_iteratorINS8_INS7_6detail15normal_iteratorINS7_10device_ptrIiEEEESJ_S9_S9_S9_S9_S9_S9_S9_S9_EEEEPSB_SM_NS0_5tupleIJNSE_INS8_ISJ_NS7_16discard_iteratorINS7_11use_defaultEEES9_S9_S9_S9_S9_S9_S9_S9_EEEESB_EEENSN_IJSM_SM_EEESB_PlJNSF_9not_fun_tINSF_14equal_to_valueISA_EEEEEEE10hipError_tPvRmT3_T4_T5_T6_T7_T9_mT8_P12ihipStream_tbDpT10_ENKUlT_T0_E_clISt17integral_constantIbLb0EES1J_EEDaS1E_S1F_EUlS1E_E_NS1_11comp_targetILNS1_3genE9ELNS1_11target_archE1100ELNS1_3gpuE3ELNS1_3repE0EEENS1_30default_config_static_selectorELNS0_4arch9wavefront6targetE0EEEvT1_.uses_flat_scratch, 0
	.set _ZN7rocprim17ROCPRIM_400000_NS6detail17trampoline_kernelINS0_14default_configENS1_25partition_config_selectorILNS1_17partition_subalgoE6EN6thrust23THRUST_200600_302600_NS5tupleIiiNS7_9null_typeES9_S9_S9_S9_S9_S9_S9_EENS0_10empty_typeEbEEZZNS1_14partition_implILS5_6ELb0ES3_mNS7_12zip_iteratorINS8_INS7_6detail15normal_iteratorINS7_10device_ptrIiEEEESJ_S9_S9_S9_S9_S9_S9_S9_S9_EEEEPSB_SM_NS0_5tupleIJNSE_INS8_ISJ_NS7_16discard_iteratorINS7_11use_defaultEEES9_S9_S9_S9_S9_S9_S9_S9_EEEESB_EEENSN_IJSM_SM_EEESB_PlJNSF_9not_fun_tINSF_14equal_to_valueISA_EEEEEEE10hipError_tPvRmT3_T4_T5_T6_T7_T9_mT8_P12ihipStream_tbDpT10_ENKUlT_T0_E_clISt17integral_constantIbLb0EES1J_EEDaS1E_S1F_EUlS1E_E_NS1_11comp_targetILNS1_3genE9ELNS1_11target_archE1100ELNS1_3gpuE3ELNS1_3repE0EEENS1_30default_config_static_selectorELNS0_4arch9wavefront6targetE0EEEvT1_.has_dyn_sized_stack, 0
	.set _ZN7rocprim17ROCPRIM_400000_NS6detail17trampoline_kernelINS0_14default_configENS1_25partition_config_selectorILNS1_17partition_subalgoE6EN6thrust23THRUST_200600_302600_NS5tupleIiiNS7_9null_typeES9_S9_S9_S9_S9_S9_S9_EENS0_10empty_typeEbEEZZNS1_14partition_implILS5_6ELb0ES3_mNS7_12zip_iteratorINS8_INS7_6detail15normal_iteratorINS7_10device_ptrIiEEEESJ_S9_S9_S9_S9_S9_S9_S9_S9_EEEEPSB_SM_NS0_5tupleIJNSE_INS8_ISJ_NS7_16discard_iteratorINS7_11use_defaultEEES9_S9_S9_S9_S9_S9_S9_S9_EEEESB_EEENSN_IJSM_SM_EEESB_PlJNSF_9not_fun_tINSF_14equal_to_valueISA_EEEEEEE10hipError_tPvRmT3_T4_T5_T6_T7_T9_mT8_P12ihipStream_tbDpT10_ENKUlT_T0_E_clISt17integral_constantIbLb0EES1J_EEDaS1E_S1F_EUlS1E_E_NS1_11comp_targetILNS1_3genE9ELNS1_11target_archE1100ELNS1_3gpuE3ELNS1_3repE0EEENS1_30default_config_static_selectorELNS0_4arch9wavefront6targetE0EEEvT1_.has_recursion, 0
	.set _ZN7rocprim17ROCPRIM_400000_NS6detail17trampoline_kernelINS0_14default_configENS1_25partition_config_selectorILNS1_17partition_subalgoE6EN6thrust23THRUST_200600_302600_NS5tupleIiiNS7_9null_typeES9_S9_S9_S9_S9_S9_S9_EENS0_10empty_typeEbEEZZNS1_14partition_implILS5_6ELb0ES3_mNS7_12zip_iteratorINS8_INS7_6detail15normal_iteratorINS7_10device_ptrIiEEEESJ_S9_S9_S9_S9_S9_S9_S9_S9_EEEEPSB_SM_NS0_5tupleIJNSE_INS8_ISJ_NS7_16discard_iteratorINS7_11use_defaultEEES9_S9_S9_S9_S9_S9_S9_S9_EEEESB_EEENSN_IJSM_SM_EEESB_PlJNSF_9not_fun_tINSF_14equal_to_valueISA_EEEEEEE10hipError_tPvRmT3_T4_T5_T6_T7_T9_mT8_P12ihipStream_tbDpT10_ENKUlT_T0_E_clISt17integral_constantIbLb0EES1J_EEDaS1E_S1F_EUlS1E_E_NS1_11comp_targetILNS1_3genE9ELNS1_11target_archE1100ELNS1_3gpuE3ELNS1_3repE0EEENS1_30default_config_static_selectorELNS0_4arch9wavefront6targetE0EEEvT1_.has_indirect_call, 0
	.section	.AMDGPU.csdata,"",@progbits
; Kernel info:
; codeLenInByte = 0
; TotalNumSgprs: 0
; NumVgprs: 0
; ScratchSize: 0
; MemoryBound: 0
; FloatMode: 240
; IeeeMode: 1
; LDSByteSize: 0 bytes/workgroup (compile time only)
; SGPRBlocks: 0
; VGPRBlocks: 0
; NumSGPRsForWavesPerEU: 1
; NumVGPRsForWavesPerEU: 1
; Occupancy: 16
; WaveLimiterHint : 0
; COMPUTE_PGM_RSRC2:SCRATCH_EN: 0
; COMPUTE_PGM_RSRC2:USER_SGPR: 2
; COMPUTE_PGM_RSRC2:TRAP_HANDLER: 0
; COMPUTE_PGM_RSRC2:TGID_X_EN: 1
; COMPUTE_PGM_RSRC2:TGID_Y_EN: 0
; COMPUTE_PGM_RSRC2:TGID_Z_EN: 0
; COMPUTE_PGM_RSRC2:TIDIG_COMP_CNT: 0
	.section	.text._ZN7rocprim17ROCPRIM_400000_NS6detail17trampoline_kernelINS0_14default_configENS1_25partition_config_selectorILNS1_17partition_subalgoE6EN6thrust23THRUST_200600_302600_NS5tupleIiiNS7_9null_typeES9_S9_S9_S9_S9_S9_S9_EENS0_10empty_typeEbEEZZNS1_14partition_implILS5_6ELb0ES3_mNS7_12zip_iteratorINS8_INS7_6detail15normal_iteratorINS7_10device_ptrIiEEEESJ_S9_S9_S9_S9_S9_S9_S9_S9_EEEEPSB_SM_NS0_5tupleIJNSE_INS8_ISJ_NS7_16discard_iteratorINS7_11use_defaultEEES9_S9_S9_S9_S9_S9_S9_S9_EEEESB_EEENSN_IJSM_SM_EEESB_PlJNSF_9not_fun_tINSF_14equal_to_valueISA_EEEEEEE10hipError_tPvRmT3_T4_T5_T6_T7_T9_mT8_P12ihipStream_tbDpT10_ENKUlT_T0_E_clISt17integral_constantIbLb0EES1J_EEDaS1E_S1F_EUlS1E_E_NS1_11comp_targetILNS1_3genE8ELNS1_11target_archE1030ELNS1_3gpuE2ELNS1_3repE0EEENS1_30default_config_static_selectorELNS0_4arch9wavefront6targetE0EEEvT1_,"axG",@progbits,_ZN7rocprim17ROCPRIM_400000_NS6detail17trampoline_kernelINS0_14default_configENS1_25partition_config_selectorILNS1_17partition_subalgoE6EN6thrust23THRUST_200600_302600_NS5tupleIiiNS7_9null_typeES9_S9_S9_S9_S9_S9_S9_EENS0_10empty_typeEbEEZZNS1_14partition_implILS5_6ELb0ES3_mNS7_12zip_iteratorINS8_INS7_6detail15normal_iteratorINS7_10device_ptrIiEEEESJ_S9_S9_S9_S9_S9_S9_S9_S9_EEEEPSB_SM_NS0_5tupleIJNSE_INS8_ISJ_NS7_16discard_iteratorINS7_11use_defaultEEES9_S9_S9_S9_S9_S9_S9_S9_EEEESB_EEENSN_IJSM_SM_EEESB_PlJNSF_9not_fun_tINSF_14equal_to_valueISA_EEEEEEE10hipError_tPvRmT3_T4_T5_T6_T7_T9_mT8_P12ihipStream_tbDpT10_ENKUlT_T0_E_clISt17integral_constantIbLb0EES1J_EEDaS1E_S1F_EUlS1E_E_NS1_11comp_targetILNS1_3genE8ELNS1_11target_archE1030ELNS1_3gpuE2ELNS1_3repE0EEENS1_30default_config_static_selectorELNS0_4arch9wavefront6targetE0EEEvT1_,comdat
	.protected	_ZN7rocprim17ROCPRIM_400000_NS6detail17trampoline_kernelINS0_14default_configENS1_25partition_config_selectorILNS1_17partition_subalgoE6EN6thrust23THRUST_200600_302600_NS5tupleIiiNS7_9null_typeES9_S9_S9_S9_S9_S9_S9_EENS0_10empty_typeEbEEZZNS1_14partition_implILS5_6ELb0ES3_mNS7_12zip_iteratorINS8_INS7_6detail15normal_iteratorINS7_10device_ptrIiEEEESJ_S9_S9_S9_S9_S9_S9_S9_S9_EEEEPSB_SM_NS0_5tupleIJNSE_INS8_ISJ_NS7_16discard_iteratorINS7_11use_defaultEEES9_S9_S9_S9_S9_S9_S9_S9_EEEESB_EEENSN_IJSM_SM_EEESB_PlJNSF_9not_fun_tINSF_14equal_to_valueISA_EEEEEEE10hipError_tPvRmT3_T4_T5_T6_T7_T9_mT8_P12ihipStream_tbDpT10_ENKUlT_T0_E_clISt17integral_constantIbLb0EES1J_EEDaS1E_S1F_EUlS1E_E_NS1_11comp_targetILNS1_3genE8ELNS1_11target_archE1030ELNS1_3gpuE2ELNS1_3repE0EEENS1_30default_config_static_selectorELNS0_4arch9wavefront6targetE0EEEvT1_ ; -- Begin function _ZN7rocprim17ROCPRIM_400000_NS6detail17trampoline_kernelINS0_14default_configENS1_25partition_config_selectorILNS1_17partition_subalgoE6EN6thrust23THRUST_200600_302600_NS5tupleIiiNS7_9null_typeES9_S9_S9_S9_S9_S9_S9_EENS0_10empty_typeEbEEZZNS1_14partition_implILS5_6ELb0ES3_mNS7_12zip_iteratorINS8_INS7_6detail15normal_iteratorINS7_10device_ptrIiEEEESJ_S9_S9_S9_S9_S9_S9_S9_S9_EEEEPSB_SM_NS0_5tupleIJNSE_INS8_ISJ_NS7_16discard_iteratorINS7_11use_defaultEEES9_S9_S9_S9_S9_S9_S9_S9_EEEESB_EEENSN_IJSM_SM_EEESB_PlJNSF_9not_fun_tINSF_14equal_to_valueISA_EEEEEEE10hipError_tPvRmT3_T4_T5_T6_T7_T9_mT8_P12ihipStream_tbDpT10_ENKUlT_T0_E_clISt17integral_constantIbLb0EES1J_EEDaS1E_S1F_EUlS1E_E_NS1_11comp_targetILNS1_3genE8ELNS1_11target_archE1030ELNS1_3gpuE2ELNS1_3repE0EEENS1_30default_config_static_selectorELNS0_4arch9wavefront6targetE0EEEvT1_
	.globl	_ZN7rocprim17ROCPRIM_400000_NS6detail17trampoline_kernelINS0_14default_configENS1_25partition_config_selectorILNS1_17partition_subalgoE6EN6thrust23THRUST_200600_302600_NS5tupleIiiNS7_9null_typeES9_S9_S9_S9_S9_S9_S9_EENS0_10empty_typeEbEEZZNS1_14partition_implILS5_6ELb0ES3_mNS7_12zip_iteratorINS8_INS7_6detail15normal_iteratorINS7_10device_ptrIiEEEESJ_S9_S9_S9_S9_S9_S9_S9_S9_EEEEPSB_SM_NS0_5tupleIJNSE_INS8_ISJ_NS7_16discard_iteratorINS7_11use_defaultEEES9_S9_S9_S9_S9_S9_S9_S9_EEEESB_EEENSN_IJSM_SM_EEESB_PlJNSF_9not_fun_tINSF_14equal_to_valueISA_EEEEEEE10hipError_tPvRmT3_T4_T5_T6_T7_T9_mT8_P12ihipStream_tbDpT10_ENKUlT_T0_E_clISt17integral_constantIbLb0EES1J_EEDaS1E_S1F_EUlS1E_E_NS1_11comp_targetILNS1_3genE8ELNS1_11target_archE1030ELNS1_3gpuE2ELNS1_3repE0EEENS1_30default_config_static_selectorELNS0_4arch9wavefront6targetE0EEEvT1_
	.p2align	8
	.type	_ZN7rocprim17ROCPRIM_400000_NS6detail17trampoline_kernelINS0_14default_configENS1_25partition_config_selectorILNS1_17partition_subalgoE6EN6thrust23THRUST_200600_302600_NS5tupleIiiNS7_9null_typeES9_S9_S9_S9_S9_S9_S9_EENS0_10empty_typeEbEEZZNS1_14partition_implILS5_6ELb0ES3_mNS7_12zip_iteratorINS8_INS7_6detail15normal_iteratorINS7_10device_ptrIiEEEESJ_S9_S9_S9_S9_S9_S9_S9_S9_EEEEPSB_SM_NS0_5tupleIJNSE_INS8_ISJ_NS7_16discard_iteratorINS7_11use_defaultEEES9_S9_S9_S9_S9_S9_S9_S9_EEEESB_EEENSN_IJSM_SM_EEESB_PlJNSF_9not_fun_tINSF_14equal_to_valueISA_EEEEEEE10hipError_tPvRmT3_T4_T5_T6_T7_T9_mT8_P12ihipStream_tbDpT10_ENKUlT_T0_E_clISt17integral_constantIbLb0EES1J_EEDaS1E_S1F_EUlS1E_E_NS1_11comp_targetILNS1_3genE8ELNS1_11target_archE1030ELNS1_3gpuE2ELNS1_3repE0EEENS1_30default_config_static_selectorELNS0_4arch9wavefront6targetE0EEEvT1_,@function
_ZN7rocprim17ROCPRIM_400000_NS6detail17trampoline_kernelINS0_14default_configENS1_25partition_config_selectorILNS1_17partition_subalgoE6EN6thrust23THRUST_200600_302600_NS5tupleIiiNS7_9null_typeES9_S9_S9_S9_S9_S9_S9_EENS0_10empty_typeEbEEZZNS1_14partition_implILS5_6ELb0ES3_mNS7_12zip_iteratorINS8_INS7_6detail15normal_iteratorINS7_10device_ptrIiEEEESJ_S9_S9_S9_S9_S9_S9_S9_S9_EEEEPSB_SM_NS0_5tupleIJNSE_INS8_ISJ_NS7_16discard_iteratorINS7_11use_defaultEEES9_S9_S9_S9_S9_S9_S9_S9_EEEESB_EEENSN_IJSM_SM_EEESB_PlJNSF_9not_fun_tINSF_14equal_to_valueISA_EEEEEEE10hipError_tPvRmT3_T4_T5_T6_T7_T9_mT8_P12ihipStream_tbDpT10_ENKUlT_T0_E_clISt17integral_constantIbLb0EES1J_EEDaS1E_S1F_EUlS1E_E_NS1_11comp_targetILNS1_3genE8ELNS1_11target_archE1030ELNS1_3gpuE2ELNS1_3repE0EEENS1_30default_config_static_selectorELNS0_4arch9wavefront6targetE0EEEvT1_: ; @_ZN7rocprim17ROCPRIM_400000_NS6detail17trampoline_kernelINS0_14default_configENS1_25partition_config_selectorILNS1_17partition_subalgoE6EN6thrust23THRUST_200600_302600_NS5tupleIiiNS7_9null_typeES9_S9_S9_S9_S9_S9_S9_EENS0_10empty_typeEbEEZZNS1_14partition_implILS5_6ELb0ES3_mNS7_12zip_iteratorINS8_INS7_6detail15normal_iteratorINS7_10device_ptrIiEEEESJ_S9_S9_S9_S9_S9_S9_S9_S9_EEEEPSB_SM_NS0_5tupleIJNSE_INS8_ISJ_NS7_16discard_iteratorINS7_11use_defaultEEES9_S9_S9_S9_S9_S9_S9_S9_EEEESB_EEENSN_IJSM_SM_EEESB_PlJNSF_9not_fun_tINSF_14equal_to_valueISA_EEEEEEE10hipError_tPvRmT3_T4_T5_T6_T7_T9_mT8_P12ihipStream_tbDpT10_ENKUlT_T0_E_clISt17integral_constantIbLb0EES1J_EEDaS1E_S1F_EUlS1E_E_NS1_11comp_targetILNS1_3genE8ELNS1_11target_archE1030ELNS1_3gpuE2ELNS1_3repE0EEENS1_30default_config_static_selectorELNS0_4arch9wavefront6targetE0EEEvT1_
; %bb.0:
	.section	.rodata,"a",@progbits
	.p2align	6, 0x0
	.amdhsa_kernel _ZN7rocprim17ROCPRIM_400000_NS6detail17trampoline_kernelINS0_14default_configENS1_25partition_config_selectorILNS1_17partition_subalgoE6EN6thrust23THRUST_200600_302600_NS5tupleIiiNS7_9null_typeES9_S9_S9_S9_S9_S9_S9_EENS0_10empty_typeEbEEZZNS1_14partition_implILS5_6ELb0ES3_mNS7_12zip_iteratorINS8_INS7_6detail15normal_iteratorINS7_10device_ptrIiEEEESJ_S9_S9_S9_S9_S9_S9_S9_S9_EEEEPSB_SM_NS0_5tupleIJNSE_INS8_ISJ_NS7_16discard_iteratorINS7_11use_defaultEEES9_S9_S9_S9_S9_S9_S9_S9_EEEESB_EEENSN_IJSM_SM_EEESB_PlJNSF_9not_fun_tINSF_14equal_to_valueISA_EEEEEEE10hipError_tPvRmT3_T4_T5_T6_T7_T9_mT8_P12ihipStream_tbDpT10_ENKUlT_T0_E_clISt17integral_constantIbLb0EES1J_EEDaS1E_S1F_EUlS1E_E_NS1_11comp_targetILNS1_3genE8ELNS1_11target_archE1030ELNS1_3gpuE2ELNS1_3repE0EEENS1_30default_config_static_selectorELNS0_4arch9wavefront6targetE0EEEvT1_
		.amdhsa_group_segment_fixed_size 0
		.amdhsa_private_segment_fixed_size 0
		.amdhsa_kernarg_size 144
		.amdhsa_user_sgpr_count 2
		.amdhsa_user_sgpr_dispatch_ptr 0
		.amdhsa_user_sgpr_queue_ptr 0
		.amdhsa_user_sgpr_kernarg_segment_ptr 1
		.amdhsa_user_sgpr_dispatch_id 0
		.amdhsa_user_sgpr_private_segment_size 0
		.amdhsa_wavefront_size32 1
		.amdhsa_uses_dynamic_stack 0
		.amdhsa_enable_private_segment 0
		.amdhsa_system_sgpr_workgroup_id_x 1
		.amdhsa_system_sgpr_workgroup_id_y 0
		.amdhsa_system_sgpr_workgroup_id_z 0
		.amdhsa_system_sgpr_workgroup_info 0
		.amdhsa_system_vgpr_workitem_id 0
		.amdhsa_next_free_vgpr 1
		.amdhsa_next_free_sgpr 1
		.amdhsa_reserve_vcc 0
		.amdhsa_float_round_mode_32 0
		.amdhsa_float_round_mode_16_64 0
		.amdhsa_float_denorm_mode_32 3
		.amdhsa_float_denorm_mode_16_64 3
		.amdhsa_fp16_overflow 0
		.amdhsa_workgroup_processor_mode 1
		.amdhsa_memory_ordered 1
		.amdhsa_forward_progress 1
		.amdhsa_inst_pref_size 0
		.amdhsa_round_robin_scheduling 0
		.amdhsa_exception_fp_ieee_invalid_op 0
		.amdhsa_exception_fp_denorm_src 0
		.amdhsa_exception_fp_ieee_div_zero 0
		.amdhsa_exception_fp_ieee_overflow 0
		.amdhsa_exception_fp_ieee_underflow 0
		.amdhsa_exception_fp_ieee_inexact 0
		.amdhsa_exception_int_div_zero 0
	.end_amdhsa_kernel
	.section	.text._ZN7rocprim17ROCPRIM_400000_NS6detail17trampoline_kernelINS0_14default_configENS1_25partition_config_selectorILNS1_17partition_subalgoE6EN6thrust23THRUST_200600_302600_NS5tupleIiiNS7_9null_typeES9_S9_S9_S9_S9_S9_S9_EENS0_10empty_typeEbEEZZNS1_14partition_implILS5_6ELb0ES3_mNS7_12zip_iteratorINS8_INS7_6detail15normal_iteratorINS7_10device_ptrIiEEEESJ_S9_S9_S9_S9_S9_S9_S9_S9_EEEEPSB_SM_NS0_5tupleIJNSE_INS8_ISJ_NS7_16discard_iteratorINS7_11use_defaultEEES9_S9_S9_S9_S9_S9_S9_S9_EEEESB_EEENSN_IJSM_SM_EEESB_PlJNSF_9not_fun_tINSF_14equal_to_valueISA_EEEEEEE10hipError_tPvRmT3_T4_T5_T6_T7_T9_mT8_P12ihipStream_tbDpT10_ENKUlT_T0_E_clISt17integral_constantIbLb0EES1J_EEDaS1E_S1F_EUlS1E_E_NS1_11comp_targetILNS1_3genE8ELNS1_11target_archE1030ELNS1_3gpuE2ELNS1_3repE0EEENS1_30default_config_static_selectorELNS0_4arch9wavefront6targetE0EEEvT1_,"axG",@progbits,_ZN7rocprim17ROCPRIM_400000_NS6detail17trampoline_kernelINS0_14default_configENS1_25partition_config_selectorILNS1_17partition_subalgoE6EN6thrust23THRUST_200600_302600_NS5tupleIiiNS7_9null_typeES9_S9_S9_S9_S9_S9_S9_EENS0_10empty_typeEbEEZZNS1_14partition_implILS5_6ELb0ES3_mNS7_12zip_iteratorINS8_INS7_6detail15normal_iteratorINS7_10device_ptrIiEEEESJ_S9_S9_S9_S9_S9_S9_S9_S9_EEEEPSB_SM_NS0_5tupleIJNSE_INS8_ISJ_NS7_16discard_iteratorINS7_11use_defaultEEES9_S9_S9_S9_S9_S9_S9_S9_EEEESB_EEENSN_IJSM_SM_EEESB_PlJNSF_9not_fun_tINSF_14equal_to_valueISA_EEEEEEE10hipError_tPvRmT3_T4_T5_T6_T7_T9_mT8_P12ihipStream_tbDpT10_ENKUlT_T0_E_clISt17integral_constantIbLb0EES1J_EEDaS1E_S1F_EUlS1E_E_NS1_11comp_targetILNS1_3genE8ELNS1_11target_archE1030ELNS1_3gpuE2ELNS1_3repE0EEENS1_30default_config_static_selectorELNS0_4arch9wavefront6targetE0EEEvT1_,comdat
.Lfunc_end2020:
	.size	_ZN7rocprim17ROCPRIM_400000_NS6detail17trampoline_kernelINS0_14default_configENS1_25partition_config_selectorILNS1_17partition_subalgoE6EN6thrust23THRUST_200600_302600_NS5tupleIiiNS7_9null_typeES9_S9_S9_S9_S9_S9_S9_EENS0_10empty_typeEbEEZZNS1_14partition_implILS5_6ELb0ES3_mNS7_12zip_iteratorINS8_INS7_6detail15normal_iteratorINS7_10device_ptrIiEEEESJ_S9_S9_S9_S9_S9_S9_S9_S9_EEEEPSB_SM_NS0_5tupleIJNSE_INS8_ISJ_NS7_16discard_iteratorINS7_11use_defaultEEES9_S9_S9_S9_S9_S9_S9_S9_EEEESB_EEENSN_IJSM_SM_EEESB_PlJNSF_9not_fun_tINSF_14equal_to_valueISA_EEEEEEE10hipError_tPvRmT3_T4_T5_T6_T7_T9_mT8_P12ihipStream_tbDpT10_ENKUlT_T0_E_clISt17integral_constantIbLb0EES1J_EEDaS1E_S1F_EUlS1E_E_NS1_11comp_targetILNS1_3genE8ELNS1_11target_archE1030ELNS1_3gpuE2ELNS1_3repE0EEENS1_30default_config_static_selectorELNS0_4arch9wavefront6targetE0EEEvT1_, .Lfunc_end2020-_ZN7rocprim17ROCPRIM_400000_NS6detail17trampoline_kernelINS0_14default_configENS1_25partition_config_selectorILNS1_17partition_subalgoE6EN6thrust23THRUST_200600_302600_NS5tupleIiiNS7_9null_typeES9_S9_S9_S9_S9_S9_S9_EENS0_10empty_typeEbEEZZNS1_14partition_implILS5_6ELb0ES3_mNS7_12zip_iteratorINS8_INS7_6detail15normal_iteratorINS7_10device_ptrIiEEEESJ_S9_S9_S9_S9_S9_S9_S9_S9_EEEEPSB_SM_NS0_5tupleIJNSE_INS8_ISJ_NS7_16discard_iteratorINS7_11use_defaultEEES9_S9_S9_S9_S9_S9_S9_S9_EEEESB_EEENSN_IJSM_SM_EEESB_PlJNSF_9not_fun_tINSF_14equal_to_valueISA_EEEEEEE10hipError_tPvRmT3_T4_T5_T6_T7_T9_mT8_P12ihipStream_tbDpT10_ENKUlT_T0_E_clISt17integral_constantIbLb0EES1J_EEDaS1E_S1F_EUlS1E_E_NS1_11comp_targetILNS1_3genE8ELNS1_11target_archE1030ELNS1_3gpuE2ELNS1_3repE0EEENS1_30default_config_static_selectorELNS0_4arch9wavefront6targetE0EEEvT1_
                                        ; -- End function
	.set _ZN7rocprim17ROCPRIM_400000_NS6detail17trampoline_kernelINS0_14default_configENS1_25partition_config_selectorILNS1_17partition_subalgoE6EN6thrust23THRUST_200600_302600_NS5tupleIiiNS7_9null_typeES9_S9_S9_S9_S9_S9_S9_EENS0_10empty_typeEbEEZZNS1_14partition_implILS5_6ELb0ES3_mNS7_12zip_iteratorINS8_INS7_6detail15normal_iteratorINS7_10device_ptrIiEEEESJ_S9_S9_S9_S9_S9_S9_S9_S9_EEEEPSB_SM_NS0_5tupleIJNSE_INS8_ISJ_NS7_16discard_iteratorINS7_11use_defaultEEES9_S9_S9_S9_S9_S9_S9_S9_EEEESB_EEENSN_IJSM_SM_EEESB_PlJNSF_9not_fun_tINSF_14equal_to_valueISA_EEEEEEE10hipError_tPvRmT3_T4_T5_T6_T7_T9_mT8_P12ihipStream_tbDpT10_ENKUlT_T0_E_clISt17integral_constantIbLb0EES1J_EEDaS1E_S1F_EUlS1E_E_NS1_11comp_targetILNS1_3genE8ELNS1_11target_archE1030ELNS1_3gpuE2ELNS1_3repE0EEENS1_30default_config_static_selectorELNS0_4arch9wavefront6targetE0EEEvT1_.num_vgpr, 0
	.set _ZN7rocprim17ROCPRIM_400000_NS6detail17trampoline_kernelINS0_14default_configENS1_25partition_config_selectorILNS1_17partition_subalgoE6EN6thrust23THRUST_200600_302600_NS5tupleIiiNS7_9null_typeES9_S9_S9_S9_S9_S9_S9_EENS0_10empty_typeEbEEZZNS1_14partition_implILS5_6ELb0ES3_mNS7_12zip_iteratorINS8_INS7_6detail15normal_iteratorINS7_10device_ptrIiEEEESJ_S9_S9_S9_S9_S9_S9_S9_S9_EEEEPSB_SM_NS0_5tupleIJNSE_INS8_ISJ_NS7_16discard_iteratorINS7_11use_defaultEEES9_S9_S9_S9_S9_S9_S9_S9_EEEESB_EEENSN_IJSM_SM_EEESB_PlJNSF_9not_fun_tINSF_14equal_to_valueISA_EEEEEEE10hipError_tPvRmT3_T4_T5_T6_T7_T9_mT8_P12ihipStream_tbDpT10_ENKUlT_T0_E_clISt17integral_constantIbLb0EES1J_EEDaS1E_S1F_EUlS1E_E_NS1_11comp_targetILNS1_3genE8ELNS1_11target_archE1030ELNS1_3gpuE2ELNS1_3repE0EEENS1_30default_config_static_selectorELNS0_4arch9wavefront6targetE0EEEvT1_.num_agpr, 0
	.set _ZN7rocprim17ROCPRIM_400000_NS6detail17trampoline_kernelINS0_14default_configENS1_25partition_config_selectorILNS1_17partition_subalgoE6EN6thrust23THRUST_200600_302600_NS5tupleIiiNS7_9null_typeES9_S9_S9_S9_S9_S9_S9_EENS0_10empty_typeEbEEZZNS1_14partition_implILS5_6ELb0ES3_mNS7_12zip_iteratorINS8_INS7_6detail15normal_iteratorINS7_10device_ptrIiEEEESJ_S9_S9_S9_S9_S9_S9_S9_S9_EEEEPSB_SM_NS0_5tupleIJNSE_INS8_ISJ_NS7_16discard_iteratorINS7_11use_defaultEEES9_S9_S9_S9_S9_S9_S9_S9_EEEESB_EEENSN_IJSM_SM_EEESB_PlJNSF_9not_fun_tINSF_14equal_to_valueISA_EEEEEEE10hipError_tPvRmT3_T4_T5_T6_T7_T9_mT8_P12ihipStream_tbDpT10_ENKUlT_T0_E_clISt17integral_constantIbLb0EES1J_EEDaS1E_S1F_EUlS1E_E_NS1_11comp_targetILNS1_3genE8ELNS1_11target_archE1030ELNS1_3gpuE2ELNS1_3repE0EEENS1_30default_config_static_selectorELNS0_4arch9wavefront6targetE0EEEvT1_.numbered_sgpr, 0
	.set _ZN7rocprim17ROCPRIM_400000_NS6detail17trampoline_kernelINS0_14default_configENS1_25partition_config_selectorILNS1_17partition_subalgoE6EN6thrust23THRUST_200600_302600_NS5tupleIiiNS7_9null_typeES9_S9_S9_S9_S9_S9_S9_EENS0_10empty_typeEbEEZZNS1_14partition_implILS5_6ELb0ES3_mNS7_12zip_iteratorINS8_INS7_6detail15normal_iteratorINS7_10device_ptrIiEEEESJ_S9_S9_S9_S9_S9_S9_S9_S9_EEEEPSB_SM_NS0_5tupleIJNSE_INS8_ISJ_NS7_16discard_iteratorINS7_11use_defaultEEES9_S9_S9_S9_S9_S9_S9_S9_EEEESB_EEENSN_IJSM_SM_EEESB_PlJNSF_9not_fun_tINSF_14equal_to_valueISA_EEEEEEE10hipError_tPvRmT3_T4_T5_T6_T7_T9_mT8_P12ihipStream_tbDpT10_ENKUlT_T0_E_clISt17integral_constantIbLb0EES1J_EEDaS1E_S1F_EUlS1E_E_NS1_11comp_targetILNS1_3genE8ELNS1_11target_archE1030ELNS1_3gpuE2ELNS1_3repE0EEENS1_30default_config_static_selectorELNS0_4arch9wavefront6targetE0EEEvT1_.num_named_barrier, 0
	.set _ZN7rocprim17ROCPRIM_400000_NS6detail17trampoline_kernelINS0_14default_configENS1_25partition_config_selectorILNS1_17partition_subalgoE6EN6thrust23THRUST_200600_302600_NS5tupleIiiNS7_9null_typeES9_S9_S9_S9_S9_S9_S9_EENS0_10empty_typeEbEEZZNS1_14partition_implILS5_6ELb0ES3_mNS7_12zip_iteratorINS8_INS7_6detail15normal_iteratorINS7_10device_ptrIiEEEESJ_S9_S9_S9_S9_S9_S9_S9_S9_EEEEPSB_SM_NS0_5tupleIJNSE_INS8_ISJ_NS7_16discard_iteratorINS7_11use_defaultEEES9_S9_S9_S9_S9_S9_S9_S9_EEEESB_EEENSN_IJSM_SM_EEESB_PlJNSF_9not_fun_tINSF_14equal_to_valueISA_EEEEEEE10hipError_tPvRmT3_T4_T5_T6_T7_T9_mT8_P12ihipStream_tbDpT10_ENKUlT_T0_E_clISt17integral_constantIbLb0EES1J_EEDaS1E_S1F_EUlS1E_E_NS1_11comp_targetILNS1_3genE8ELNS1_11target_archE1030ELNS1_3gpuE2ELNS1_3repE0EEENS1_30default_config_static_selectorELNS0_4arch9wavefront6targetE0EEEvT1_.private_seg_size, 0
	.set _ZN7rocprim17ROCPRIM_400000_NS6detail17trampoline_kernelINS0_14default_configENS1_25partition_config_selectorILNS1_17partition_subalgoE6EN6thrust23THRUST_200600_302600_NS5tupleIiiNS7_9null_typeES9_S9_S9_S9_S9_S9_S9_EENS0_10empty_typeEbEEZZNS1_14partition_implILS5_6ELb0ES3_mNS7_12zip_iteratorINS8_INS7_6detail15normal_iteratorINS7_10device_ptrIiEEEESJ_S9_S9_S9_S9_S9_S9_S9_S9_EEEEPSB_SM_NS0_5tupleIJNSE_INS8_ISJ_NS7_16discard_iteratorINS7_11use_defaultEEES9_S9_S9_S9_S9_S9_S9_S9_EEEESB_EEENSN_IJSM_SM_EEESB_PlJNSF_9not_fun_tINSF_14equal_to_valueISA_EEEEEEE10hipError_tPvRmT3_T4_T5_T6_T7_T9_mT8_P12ihipStream_tbDpT10_ENKUlT_T0_E_clISt17integral_constantIbLb0EES1J_EEDaS1E_S1F_EUlS1E_E_NS1_11comp_targetILNS1_3genE8ELNS1_11target_archE1030ELNS1_3gpuE2ELNS1_3repE0EEENS1_30default_config_static_selectorELNS0_4arch9wavefront6targetE0EEEvT1_.uses_vcc, 0
	.set _ZN7rocprim17ROCPRIM_400000_NS6detail17trampoline_kernelINS0_14default_configENS1_25partition_config_selectorILNS1_17partition_subalgoE6EN6thrust23THRUST_200600_302600_NS5tupleIiiNS7_9null_typeES9_S9_S9_S9_S9_S9_S9_EENS0_10empty_typeEbEEZZNS1_14partition_implILS5_6ELb0ES3_mNS7_12zip_iteratorINS8_INS7_6detail15normal_iteratorINS7_10device_ptrIiEEEESJ_S9_S9_S9_S9_S9_S9_S9_S9_EEEEPSB_SM_NS0_5tupleIJNSE_INS8_ISJ_NS7_16discard_iteratorINS7_11use_defaultEEES9_S9_S9_S9_S9_S9_S9_S9_EEEESB_EEENSN_IJSM_SM_EEESB_PlJNSF_9not_fun_tINSF_14equal_to_valueISA_EEEEEEE10hipError_tPvRmT3_T4_T5_T6_T7_T9_mT8_P12ihipStream_tbDpT10_ENKUlT_T0_E_clISt17integral_constantIbLb0EES1J_EEDaS1E_S1F_EUlS1E_E_NS1_11comp_targetILNS1_3genE8ELNS1_11target_archE1030ELNS1_3gpuE2ELNS1_3repE0EEENS1_30default_config_static_selectorELNS0_4arch9wavefront6targetE0EEEvT1_.uses_flat_scratch, 0
	.set _ZN7rocprim17ROCPRIM_400000_NS6detail17trampoline_kernelINS0_14default_configENS1_25partition_config_selectorILNS1_17partition_subalgoE6EN6thrust23THRUST_200600_302600_NS5tupleIiiNS7_9null_typeES9_S9_S9_S9_S9_S9_S9_EENS0_10empty_typeEbEEZZNS1_14partition_implILS5_6ELb0ES3_mNS7_12zip_iteratorINS8_INS7_6detail15normal_iteratorINS7_10device_ptrIiEEEESJ_S9_S9_S9_S9_S9_S9_S9_S9_EEEEPSB_SM_NS0_5tupleIJNSE_INS8_ISJ_NS7_16discard_iteratorINS7_11use_defaultEEES9_S9_S9_S9_S9_S9_S9_S9_EEEESB_EEENSN_IJSM_SM_EEESB_PlJNSF_9not_fun_tINSF_14equal_to_valueISA_EEEEEEE10hipError_tPvRmT3_T4_T5_T6_T7_T9_mT8_P12ihipStream_tbDpT10_ENKUlT_T0_E_clISt17integral_constantIbLb0EES1J_EEDaS1E_S1F_EUlS1E_E_NS1_11comp_targetILNS1_3genE8ELNS1_11target_archE1030ELNS1_3gpuE2ELNS1_3repE0EEENS1_30default_config_static_selectorELNS0_4arch9wavefront6targetE0EEEvT1_.has_dyn_sized_stack, 0
	.set _ZN7rocprim17ROCPRIM_400000_NS6detail17trampoline_kernelINS0_14default_configENS1_25partition_config_selectorILNS1_17partition_subalgoE6EN6thrust23THRUST_200600_302600_NS5tupleIiiNS7_9null_typeES9_S9_S9_S9_S9_S9_S9_EENS0_10empty_typeEbEEZZNS1_14partition_implILS5_6ELb0ES3_mNS7_12zip_iteratorINS8_INS7_6detail15normal_iteratorINS7_10device_ptrIiEEEESJ_S9_S9_S9_S9_S9_S9_S9_S9_EEEEPSB_SM_NS0_5tupleIJNSE_INS8_ISJ_NS7_16discard_iteratorINS7_11use_defaultEEES9_S9_S9_S9_S9_S9_S9_S9_EEEESB_EEENSN_IJSM_SM_EEESB_PlJNSF_9not_fun_tINSF_14equal_to_valueISA_EEEEEEE10hipError_tPvRmT3_T4_T5_T6_T7_T9_mT8_P12ihipStream_tbDpT10_ENKUlT_T0_E_clISt17integral_constantIbLb0EES1J_EEDaS1E_S1F_EUlS1E_E_NS1_11comp_targetILNS1_3genE8ELNS1_11target_archE1030ELNS1_3gpuE2ELNS1_3repE0EEENS1_30default_config_static_selectorELNS0_4arch9wavefront6targetE0EEEvT1_.has_recursion, 0
	.set _ZN7rocprim17ROCPRIM_400000_NS6detail17trampoline_kernelINS0_14default_configENS1_25partition_config_selectorILNS1_17partition_subalgoE6EN6thrust23THRUST_200600_302600_NS5tupleIiiNS7_9null_typeES9_S9_S9_S9_S9_S9_S9_EENS0_10empty_typeEbEEZZNS1_14partition_implILS5_6ELb0ES3_mNS7_12zip_iteratorINS8_INS7_6detail15normal_iteratorINS7_10device_ptrIiEEEESJ_S9_S9_S9_S9_S9_S9_S9_S9_EEEEPSB_SM_NS0_5tupleIJNSE_INS8_ISJ_NS7_16discard_iteratorINS7_11use_defaultEEES9_S9_S9_S9_S9_S9_S9_S9_EEEESB_EEENSN_IJSM_SM_EEESB_PlJNSF_9not_fun_tINSF_14equal_to_valueISA_EEEEEEE10hipError_tPvRmT3_T4_T5_T6_T7_T9_mT8_P12ihipStream_tbDpT10_ENKUlT_T0_E_clISt17integral_constantIbLb0EES1J_EEDaS1E_S1F_EUlS1E_E_NS1_11comp_targetILNS1_3genE8ELNS1_11target_archE1030ELNS1_3gpuE2ELNS1_3repE0EEENS1_30default_config_static_selectorELNS0_4arch9wavefront6targetE0EEEvT1_.has_indirect_call, 0
	.section	.AMDGPU.csdata,"",@progbits
; Kernel info:
; codeLenInByte = 0
; TotalNumSgprs: 0
; NumVgprs: 0
; ScratchSize: 0
; MemoryBound: 0
; FloatMode: 240
; IeeeMode: 1
; LDSByteSize: 0 bytes/workgroup (compile time only)
; SGPRBlocks: 0
; VGPRBlocks: 0
; NumSGPRsForWavesPerEU: 1
; NumVGPRsForWavesPerEU: 1
; Occupancy: 16
; WaveLimiterHint : 0
; COMPUTE_PGM_RSRC2:SCRATCH_EN: 0
; COMPUTE_PGM_RSRC2:USER_SGPR: 2
; COMPUTE_PGM_RSRC2:TRAP_HANDLER: 0
; COMPUTE_PGM_RSRC2:TGID_X_EN: 1
; COMPUTE_PGM_RSRC2:TGID_Y_EN: 0
; COMPUTE_PGM_RSRC2:TGID_Z_EN: 0
; COMPUTE_PGM_RSRC2:TIDIG_COMP_CNT: 0
	.section	.text._ZN7rocprim17ROCPRIM_400000_NS6detail17trampoline_kernelINS0_14default_configENS1_25partition_config_selectorILNS1_17partition_subalgoE6EN6thrust23THRUST_200600_302600_NS5tupleIiiNS7_9null_typeES9_S9_S9_S9_S9_S9_S9_EENS0_10empty_typeEbEEZZNS1_14partition_implILS5_6ELb0ES3_mNS7_12zip_iteratorINS8_INS7_6detail15normal_iteratorINS7_10device_ptrIiEEEESJ_S9_S9_S9_S9_S9_S9_S9_S9_EEEEPSB_SM_NS0_5tupleIJNSE_INS8_ISJ_NS7_16discard_iteratorINS7_11use_defaultEEES9_S9_S9_S9_S9_S9_S9_S9_EEEESB_EEENSN_IJSM_SM_EEESB_PlJNSF_9not_fun_tINSF_14equal_to_valueISA_EEEEEEE10hipError_tPvRmT3_T4_T5_T6_T7_T9_mT8_P12ihipStream_tbDpT10_ENKUlT_T0_E_clISt17integral_constantIbLb1EES1J_EEDaS1E_S1F_EUlS1E_E_NS1_11comp_targetILNS1_3genE0ELNS1_11target_archE4294967295ELNS1_3gpuE0ELNS1_3repE0EEENS1_30default_config_static_selectorELNS0_4arch9wavefront6targetE0EEEvT1_,"axG",@progbits,_ZN7rocprim17ROCPRIM_400000_NS6detail17trampoline_kernelINS0_14default_configENS1_25partition_config_selectorILNS1_17partition_subalgoE6EN6thrust23THRUST_200600_302600_NS5tupleIiiNS7_9null_typeES9_S9_S9_S9_S9_S9_S9_EENS0_10empty_typeEbEEZZNS1_14partition_implILS5_6ELb0ES3_mNS7_12zip_iteratorINS8_INS7_6detail15normal_iteratorINS7_10device_ptrIiEEEESJ_S9_S9_S9_S9_S9_S9_S9_S9_EEEEPSB_SM_NS0_5tupleIJNSE_INS8_ISJ_NS7_16discard_iteratorINS7_11use_defaultEEES9_S9_S9_S9_S9_S9_S9_S9_EEEESB_EEENSN_IJSM_SM_EEESB_PlJNSF_9not_fun_tINSF_14equal_to_valueISA_EEEEEEE10hipError_tPvRmT3_T4_T5_T6_T7_T9_mT8_P12ihipStream_tbDpT10_ENKUlT_T0_E_clISt17integral_constantIbLb1EES1J_EEDaS1E_S1F_EUlS1E_E_NS1_11comp_targetILNS1_3genE0ELNS1_11target_archE4294967295ELNS1_3gpuE0ELNS1_3repE0EEENS1_30default_config_static_selectorELNS0_4arch9wavefront6targetE0EEEvT1_,comdat
	.protected	_ZN7rocprim17ROCPRIM_400000_NS6detail17trampoline_kernelINS0_14default_configENS1_25partition_config_selectorILNS1_17partition_subalgoE6EN6thrust23THRUST_200600_302600_NS5tupleIiiNS7_9null_typeES9_S9_S9_S9_S9_S9_S9_EENS0_10empty_typeEbEEZZNS1_14partition_implILS5_6ELb0ES3_mNS7_12zip_iteratorINS8_INS7_6detail15normal_iteratorINS7_10device_ptrIiEEEESJ_S9_S9_S9_S9_S9_S9_S9_S9_EEEEPSB_SM_NS0_5tupleIJNSE_INS8_ISJ_NS7_16discard_iteratorINS7_11use_defaultEEES9_S9_S9_S9_S9_S9_S9_S9_EEEESB_EEENSN_IJSM_SM_EEESB_PlJNSF_9not_fun_tINSF_14equal_to_valueISA_EEEEEEE10hipError_tPvRmT3_T4_T5_T6_T7_T9_mT8_P12ihipStream_tbDpT10_ENKUlT_T0_E_clISt17integral_constantIbLb1EES1J_EEDaS1E_S1F_EUlS1E_E_NS1_11comp_targetILNS1_3genE0ELNS1_11target_archE4294967295ELNS1_3gpuE0ELNS1_3repE0EEENS1_30default_config_static_selectorELNS0_4arch9wavefront6targetE0EEEvT1_ ; -- Begin function _ZN7rocprim17ROCPRIM_400000_NS6detail17trampoline_kernelINS0_14default_configENS1_25partition_config_selectorILNS1_17partition_subalgoE6EN6thrust23THRUST_200600_302600_NS5tupleIiiNS7_9null_typeES9_S9_S9_S9_S9_S9_S9_EENS0_10empty_typeEbEEZZNS1_14partition_implILS5_6ELb0ES3_mNS7_12zip_iteratorINS8_INS7_6detail15normal_iteratorINS7_10device_ptrIiEEEESJ_S9_S9_S9_S9_S9_S9_S9_S9_EEEEPSB_SM_NS0_5tupleIJNSE_INS8_ISJ_NS7_16discard_iteratorINS7_11use_defaultEEES9_S9_S9_S9_S9_S9_S9_S9_EEEESB_EEENSN_IJSM_SM_EEESB_PlJNSF_9not_fun_tINSF_14equal_to_valueISA_EEEEEEE10hipError_tPvRmT3_T4_T5_T6_T7_T9_mT8_P12ihipStream_tbDpT10_ENKUlT_T0_E_clISt17integral_constantIbLb1EES1J_EEDaS1E_S1F_EUlS1E_E_NS1_11comp_targetILNS1_3genE0ELNS1_11target_archE4294967295ELNS1_3gpuE0ELNS1_3repE0EEENS1_30default_config_static_selectorELNS0_4arch9wavefront6targetE0EEEvT1_
	.globl	_ZN7rocprim17ROCPRIM_400000_NS6detail17trampoline_kernelINS0_14default_configENS1_25partition_config_selectorILNS1_17partition_subalgoE6EN6thrust23THRUST_200600_302600_NS5tupleIiiNS7_9null_typeES9_S9_S9_S9_S9_S9_S9_EENS0_10empty_typeEbEEZZNS1_14partition_implILS5_6ELb0ES3_mNS7_12zip_iteratorINS8_INS7_6detail15normal_iteratorINS7_10device_ptrIiEEEESJ_S9_S9_S9_S9_S9_S9_S9_S9_EEEEPSB_SM_NS0_5tupleIJNSE_INS8_ISJ_NS7_16discard_iteratorINS7_11use_defaultEEES9_S9_S9_S9_S9_S9_S9_S9_EEEESB_EEENSN_IJSM_SM_EEESB_PlJNSF_9not_fun_tINSF_14equal_to_valueISA_EEEEEEE10hipError_tPvRmT3_T4_T5_T6_T7_T9_mT8_P12ihipStream_tbDpT10_ENKUlT_T0_E_clISt17integral_constantIbLb1EES1J_EEDaS1E_S1F_EUlS1E_E_NS1_11comp_targetILNS1_3genE0ELNS1_11target_archE4294967295ELNS1_3gpuE0ELNS1_3repE0EEENS1_30default_config_static_selectorELNS0_4arch9wavefront6targetE0EEEvT1_
	.p2align	8
	.type	_ZN7rocprim17ROCPRIM_400000_NS6detail17trampoline_kernelINS0_14default_configENS1_25partition_config_selectorILNS1_17partition_subalgoE6EN6thrust23THRUST_200600_302600_NS5tupleIiiNS7_9null_typeES9_S9_S9_S9_S9_S9_S9_EENS0_10empty_typeEbEEZZNS1_14partition_implILS5_6ELb0ES3_mNS7_12zip_iteratorINS8_INS7_6detail15normal_iteratorINS7_10device_ptrIiEEEESJ_S9_S9_S9_S9_S9_S9_S9_S9_EEEEPSB_SM_NS0_5tupleIJNSE_INS8_ISJ_NS7_16discard_iteratorINS7_11use_defaultEEES9_S9_S9_S9_S9_S9_S9_S9_EEEESB_EEENSN_IJSM_SM_EEESB_PlJNSF_9not_fun_tINSF_14equal_to_valueISA_EEEEEEE10hipError_tPvRmT3_T4_T5_T6_T7_T9_mT8_P12ihipStream_tbDpT10_ENKUlT_T0_E_clISt17integral_constantIbLb1EES1J_EEDaS1E_S1F_EUlS1E_E_NS1_11comp_targetILNS1_3genE0ELNS1_11target_archE4294967295ELNS1_3gpuE0ELNS1_3repE0EEENS1_30default_config_static_selectorELNS0_4arch9wavefront6targetE0EEEvT1_,@function
_ZN7rocprim17ROCPRIM_400000_NS6detail17trampoline_kernelINS0_14default_configENS1_25partition_config_selectorILNS1_17partition_subalgoE6EN6thrust23THRUST_200600_302600_NS5tupleIiiNS7_9null_typeES9_S9_S9_S9_S9_S9_S9_EENS0_10empty_typeEbEEZZNS1_14partition_implILS5_6ELb0ES3_mNS7_12zip_iteratorINS8_INS7_6detail15normal_iteratorINS7_10device_ptrIiEEEESJ_S9_S9_S9_S9_S9_S9_S9_S9_EEEEPSB_SM_NS0_5tupleIJNSE_INS8_ISJ_NS7_16discard_iteratorINS7_11use_defaultEEES9_S9_S9_S9_S9_S9_S9_S9_EEEESB_EEENSN_IJSM_SM_EEESB_PlJNSF_9not_fun_tINSF_14equal_to_valueISA_EEEEEEE10hipError_tPvRmT3_T4_T5_T6_T7_T9_mT8_P12ihipStream_tbDpT10_ENKUlT_T0_E_clISt17integral_constantIbLb1EES1J_EEDaS1E_S1F_EUlS1E_E_NS1_11comp_targetILNS1_3genE0ELNS1_11target_archE4294967295ELNS1_3gpuE0ELNS1_3repE0EEENS1_30default_config_static_selectorELNS0_4arch9wavefront6targetE0EEEvT1_: ; @_ZN7rocprim17ROCPRIM_400000_NS6detail17trampoline_kernelINS0_14default_configENS1_25partition_config_selectorILNS1_17partition_subalgoE6EN6thrust23THRUST_200600_302600_NS5tupleIiiNS7_9null_typeES9_S9_S9_S9_S9_S9_S9_EENS0_10empty_typeEbEEZZNS1_14partition_implILS5_6ELb0ES3_mNS7_12zip_iteratorINS8_INS7_6detail15normal_iteratorINS7_10device_ptrIiEEEESJ_S9_S9_S9_S9_S9_S9_S9_S9_EEEEPSB_SM_NS0_5tupleIJNSE_INS8_ISJ_NS7_16discard_iteratorINS7_11use_defaultEEES9_S9_S9_S9_S9_S9_S9_S9_EEEESB_EEENSN_IJSM_SM_EEESB_PlJNSF_9not_fun_tINSF_14equal_to_valueISA_EEEEEEE10hipError_tPvRmT3_T4_T5_T6_T7_T9_mT8_P12ihipStream_tbDpT10_ENKUlT_T0_E_clISt17integral_constantIbLb1EES1J_EEDaS1E_S1F_EUlS1E_E_NS1_11comp_targetILNS1_3genE0ELNS1_11target_archE4294967295ELNS1_3gpuE0ELNS1_3repE0EEENS1_30default_config_static_selectorELNS0_4arch9wavefront6targetE0EEEvT1_
; %bb.0:
	.section	.rodata,"a",@progbits
	.p2align	6, 0x0
	.amdhsa_kernel _ZN7rocprim17ROCPRIM_400000_NS6detail17trampoline_kernelINS0_14default_configENS1_25partition_config_selectorILNS1_17partition_subalgoE6EN6thrust23THRUST_200600_302600_NS5tupleIiiNS7_9null_typeES9_S9_S9_S9_S9_S9_S9_EENS0_10empty_typeEbEEZZNS1_14partition_implILS5_6ELb0ES3_mNS7_12zip_iteratorINS8_INS7_6detail15normal_iteratorINS7_10device_ptrIiEEEESJ_S9_S9_S9_S9_S9_S9_S9_S9_EEEEPSB_SM_NS0_5tupleIJNSE_INS8_ISJ_NS7_16discard_iteratorINS7_11use_defaultEEES9_S9_S9_S9_S9_S9_S9_S9_EEEESB_EEENSN_IJSM_SM_EEESB_PlJNSF_9not_fun_tINSF_14equal_to_valueISA_EEEEEEE10hipError_tPvRmT3_T4_T5_T6_T7_T9_mT8_P12ihipStream_tbDpT10_ENKUlT_T0_E_clISt17integral_constantIbLb1EES1J_EEDaS1E_S1F_EUlS1E_E_NS1_11comp_targetILNS1_3genE0ELNS1_11target_archE4294967295ELNS1_3gpuE0ELNS1_3repE0EEENS1_30default_config_static_selectorELNS0_4arch9wavefront6targetE0EEEvT1_
		.amdhsa_group_segment_fixed_size 0
		.amdhsa_private_segment_fixed_size 0
		.amdhsa_kernarg_size 152
		.amdhsa_user_sgpr_count 2
		.amdhsa_user_sgpr_dispatch_ptr 0
		.amdhsa_user_sgpr_queue_ptr 0
		.amdhsa_user_sgpr_kernarg_segment_ptr 1
		.amdhsa_user_sgpr_dispatch_id 0
		.amdhsa_user_sgpr_private_segment_size 0
		.amdhsa_wavefront_size32 1
		.amdhsa_uses_dynamic_stack 0
		.amdhsa_enable_private_segment 0
		.amdhsa_system_sgpr_workgroup_id_x 1
		.amdhsa_system_sgpr_workgroup_id_y 0
		.amdhsa_system_sgpr_workgroup_id_z 0
		.amdhsa_system_sgpr_workgroup_info 0
		.amdhsa_system_vgpr_workitem_id 0
		.amdhsa_next_free_vgpr 1
		.amdhsa_next_free_sgpr 1
		.amdhsa_reserve_vcc 0
		.amdhsa_float_round_mode_32 0
		.amdhsa_float_round_mode_16_64 0
		.amdhsa_float_denorm_mode_32 3
		.amdhsa_float_denorm_mode_16_64 3
		.amdhsa_fp16_overflow 0
		.amdhsa_workgroup_processor_mode 1
		.amdhsa_memory_ordered 1
		.amdhsa_forward_progress 1
		.amdhsa_inst_pref_size 0
		.amdhsa_round_robin_scheduling 0
		.amdhsa_exception_fp_ieee_invalid_op 0
		.amdhsa_exception_fp_denorm_src 0
		.amdhsa_exception_fp_ieee_div_zero 0
		.amdhsa_exception_fp_ieee_overflow 0
		.amdhsa_exception_fp_ieee_underflow 0
		.amdhsa_exception_fp_ieee_inexact 0
		.amdhsa_exception_int_div_zero 0
	.end_amdhsa_kernel
	.section	.text._ZN7rocprim17ROCPRIM_400000_NS6detail17trampoline_kernelINS0_14default_configENS1_25partition_config_selectorILNS1_17partition_subalgoE6EN6thrust23THRUST_200600_302600_NS5tupleIiiNS7_9null_typeES9_S9_S9_S9_S9_S9_S9_EENS0_10empty_typeEbEEZZNS1_14partition_implILS5_6ELb0ES3_mNS7_12zip_iteratorINS8_INS7_6detail15normal_iteratorINS7_10device_ptrIiEEEESJ_S9_S9_S9_S9_S9_S9_S9_S9_EEEEPSB_SM_NS0_5tupleIJNSE_INS8_ISJ_NS7_16discard_iteratorINS7_11use_defaultEEES9_S9_S9_S9_S9_S9_S9_S9_EEEESB_EEENSN_IJSM_SM_EEESB_PlJNSF_9not_fun_tINSF_14equal_to_valueISA_EEEEEEE10hipError_tPvRmT3_T4_T5_T6_T7_T9_mT8_P12ihipStream_tbDpT10_ENKUlT_T0_E_clISt17integral_constantIbLb1EES1J_EEDaS1E_S1F_EUlS1E_E_NS1_11comp_targetILNS1_3genE0ELNS1_11target_archE4294967295ELNS1_3gpuE0ELNS1_3repE0EEENS1_30default_config_static_selectorELNS0_4arch9wavefront6targetE0EEEvT1_,"axG",@progbits,_ZN7rocprim17ROCPRIM_400000_NS6detail17trampoline_kernelINS0_14default_configENS1_25partition_config_selectorILNS1_17partition_subalgoE6EN6thrust23THRUST_200600_302600_NS5tupleIiiNS7_9null_typeES9_S9_S9_S9_S9_S9_S9_EENS0_10empty_typeEbEEZZNS1_14partition_implILS5_6ELb0ES3_mNS7_12zip_iteratorINS8_INS7_6detail15normal_iteratorINS7_10device_ptrIiEEEESJ_S9_S9_S9_S9_S9_S9_S9_S9_EEEEPSB_SM_NS0_5tupleIJNSE_INS8_ISJ_NS7_16discard_iteratorINS7_11use_defaultEEES9_S9_S9_S9_S9_S9_S9_S9_EEEESB_EEENSN_IJSM_SM_EEESB_PlJNSF_9not_fun_tINSF_14equal_to_valueISA_EEEEEEE10hipError_tPvRmT3_T4_T5_T6_T7_T9_mT8_P12ihipStream_tbDpT10_ENKUlT_T0_E_clISt17integral_constantIbLb1EES1J_EEDaS1E_S1F_EUlS1E_E_NS1_11comp_targetILNS1_3genE0ELNS1_11target_archE4294967295ELNS1_3gpuE0ELNS1_3repE0EEENS1_30default_config_static_selectorELNS0_4arch9wavefront6targetE0EEEvT1_,comdat
.Lfunc_end2021:
	.size	_ZN7rocprim17ROCPRIM_400000_NS6detail17trampoline_kernelINS0_14default_configENS1_25partition_config_selectorILNS1_17partition_subalgoE6EN6thrust23THRUST_200600_302600_NS5tupleIiiNS7_9null_typeES9_S9_S9_S9_S9_S9_S9_EENS0_10empty_typeEbEEZZNS1_14partition_implILS5_6ELb0ES3_mNS7_12zip_iteratorINS8_INS7_6detail15normal_iteratorINS7_10device_ptrIiEEEESJ_S9_S9_S9_S9_S9_S9_S9_S9_EEEEPSB_SM_NS0_5tupleIJNSE_INS8_ISJ_NS7_16discard_iteratorINS7_11use_defaultEEES9_S9_S9_S9_S9_S9_S9_S9_EEEESB_EEENSN_IJSM_SM_EEESB_PlJNSF_9not_fun_tINSF_14equal_to_valueISA_EEEEEEE10hipError_tPvRmT3_T4_T5_T6_T7_T9_mT8_P12ihipStream_tbDpT10_ENKUlT_T0_E_clISt17integral_constantIbLb1EES1J_EEDaS1E_S1F_EUlS1E_E_NS1_11comp_targetILNS1_3genE0ELNS1_11target_archE4294967295ELNS1_3gpuE0ELNS1_3repE0EEENS1_30default_config_static_selectorELNS0_4arch9wavefront6targetE0EEEvT1_, .Lfunc_end2021-_ZN7rocprim17ROCPRIM_400000_NS6detail17trampoline_kernelINS0_14default_configENS1_25partition_config_selectorILNS1_17partition_subalgoE6EN6thrust23THRUST_200600_302600_NS5tupleIiiNS7_9null_typeES9_S9_S9_S9_S9_S9_S9_EENS0_10empty_typeEbEEZZNS1_14partition_implILS5_6ELb0ES3_mNS7_12zip_iteratorINS8_INS7_6detail15normal_iteratorINS7_10device_ptrIiEEEESJ_S9_S9_S9_S9_S9_S9_S9_S9_EEEEPSB_SM_NS0_5tupleIJNSE_INS8_ISJ_NS7_16discard_iteratorINS7_11use_defaultEEES9_S9_S9_S9_S9_S9_S9_S9_EEEESB_EEENSN_IJSM_SM_EEESB_PlJNSF_9not_fun_tINSF_14equal_to_valueISA_EEEEEEE10hipError_tPvRmT3_T4_T5_T6_T7_T9_mT8_P12ihipStream_tbDpT10_ENKUlT_T0_E_clISt17integral_constantIbLb1EES1J_EEDaS1E_S1F_EUlS1E_E_NS1_11comp_targetILNS1_3genE0ELNS1_11target_archE4294967295ELNS1_3gpuE0ELNS1_3repE0EEENS1_30default_config_static_selectorELNS0_4arch9wavefront6targetE0EEEvT1_
                                        ; -- End function
	.set _ZN7rocprim17ROCPRIM_400000_NS6detail17trampoline_kernelINS0_14default_configENS1_25partition_config_selectorILNS1_17partition_subalgoE6EN6thrust23THRUST_200600_302600_NS5tupleIiiNS7_9null_typeES9_S9_S9_S9_S9_S9_S9_EENS0_10empty_typeEbEEZZNS1_14partition_implILS5_6ELb0ES3_mNS7_12zip_iteratorINS8_INS7_6detail15normal_iteratorINS7_10device_ptrIiEEEESJ_S9_S9_S9_S9_S9_S9_S9_S9_EEEEPSB_SM_NS0_5tupleIJNSE_INS8_ISJ_NS7_16discard_iteratorINS7_11use_defaultEEES9_S9_S9_S9_S9_S9_S9_S9_EEEESB_EEENSN_IJSM_SM_EEESB_PlJNSF_9not_fun_tINSF_14equal_to_valueISA_EEEEEEE10hipError_tPvRmT3_T4_T5_T6_T7_T9_mT8_P12ihipStream_tbDpT10_ENKUlT_T0_E_clISt17integral_constantIbLb1EES1J_EEDaS1E_S1F_EUlS1E_E_NS1_11comp_targetILNS1_3genE0ELNS1_11target_archE4294967295ELNS1_3gpuE0ELNS1_3repE0EEENS1_30default_config_static_selectorELNS0_4arch9wavefront6targetE0EEEvT1_.num_vgpr, 0
	.set _ZN7rocprim17ROCPRIM_400000_NS6detail17trampoline_kernelINS0_14default_configENS1_25partition_config_selectorILNS1_17partition_subalgoE6EN6thrust23THRUST_200600_302600_NS5tupleIiiNS7_9null_typeES9_S9_S9_S9_S9_S9_S9_EENS0_10empty_typeEbEEZZNS1_14partition_implILS5_6ELb0ES3_mNS7_12zip_iteratorINS8_INS7_6detail15normal_iteratorINS7_10device_ptrIiEEEESJ_S9_S9_S9_S9_S9_S9_S9_S9_EEEEPSB_SM_NS0_5tupleIJNSE_INS8_ISJ_NS7_16discard_iteratorINS7_11use_defaultEEES9_S9_S9_S9_S9_S9_S9_S9_EEEESB_EEENSN_IJSM_SM_EEESB_PlJNSF_9not_fun_tINSF_14equal_to_valueISA_EEEEEEE10hipError_tPvRmT3_T4_T5_T6_T7_T9_mT8_P12ihipStream_tbDpT10_ENKUlT_T0_E_clISt17integral_constantIbLb1EES1J_EEDaS1E_S1F_EUlS1E_E_NS1_11comp_targetILNS1_3genE0ELNS1_11target_archE4294967295ELNS1_3gpuE0ELNS1_3repE0EEENS1_30default_config_static_selectorELNS0_4arch9wavefront6targetE0EEEvT1_.num_agpr, 0
	.set _ZN7rocprim17ROCPRIM_400000_NS6detail17trampoline_kernelINS0_14default_configENS1_25partition_config_selectorILNS1_17partition_subalgoE6EN6thrust23THRUST_200600_302600_NS5tupleIiiNS7_9null_typeES9_S9_S9_S9_S9_S9_S9_EENS0_10empty_typeEbEEZZNS1_14partition_implILS5_6ELb0ES3_mNS7_12zip_iteratorINS8_INS7_6detail15normal_iteratorINS7_10device_ptrIiEEEESJ_S9_S9_S9_S9_S9_S9_S9_S9_EEEEPSB_SM_NS0_5tupleIJNSE_INS8_ISJ_NS7_16discard_iteratorINS7_11use_defaultEEES9_S9_S9_S9_S9_S9_S9_S9_EEEESB_EEENSN_IJSM_SM_EEESB_PlJNSF_9not_fun_tINSF_14equal_to_valueISA_EEEEEEE10hipError_tPvRmT3_T4_T5_T6_T7_T9_mT8_P12ihipStream_tbDpT10_ENKUlT_T0_E_clISt17integral_constantIbLb1EES1J_EEDaS1E_S1F_EUlS1E_E_NS1_11comp_targetILNS1_3genE0ELNS1_11target_archE4294967295ELNS1_3gpuE0ELNS1_3repE0EEENS1_30default_config_static_selectorELNS0_4arch9wavefront6targetE0EEEvT1_.numbered_sgpr, 0
	.set _ZN7rocprim17ROCPRIM_400000_NS6detail17trampoline_kernelINS0_14default_configENS1_25partition_config_selectorILNS1_17partition_subalgoE6EN6thrust23THRUST_200600_302600_NS5tupleIiiNS7_9null_typeES9_S9_S9_S9_S9_S9_S9_EENS0_10empty_typeEbEEZZNS1_14partition_implILS5_6ELb0ES3_mNS7_12zip_iteratorINS8_INS7_6detail15normal_iteratorINS7_10device_ptrIiEEEESJ_S9_S9_S9_S9_S9_S9_S9_S9_EEEEPSB_SM_NS0_5tupleIJNSE_INS8_ISJ_NS7_16discard_iteratorINS7_11use_defaultEEES9_S9_S9_S9_S9_S9_S9_S9_EEEESB_EEENSN_IJSM_SM_EEESB_PlJNSF_9not_fun_tINSF_14equal_to_valueISA_EEEEEEE10hipError_tPvRmT3_T4_T5_T6_T7_T9_mT8_P12ihipStream_tbDpT10_ENKUlT_T0_E_clISt17integral_constantIbLb1EES1J_EEDaS1E_S1F_EUlS1E_E_NS1_11comp_targetILNS1_3genE0ELNS1_11target_archE4294967295ELNS1_3gpuE0ELNS1_3repE0EEENS1_30default_config_static_selectorELNS0_4arch9wavefront6targetE0EEEvT1_.num_named_barrier, 0
	.set _ZN7rocprim17ROCPRIM_400000_NS6detail17trampoline_kernelINS0_14default_configENS1_25partition_config_selectorILNS1_17partition_subalgoE6EN6thrust23THRUST_200600_302600_NS5tupleIiiNS7_9null_typeES9_S9_S9_S9_S9_S9_S9_EENS0_10empty_typeEbEEZZNS1_14partition_implILS5_6ELb0ES3_mNS7_12zip_iteratorINS8_INS7_6detail15normal_iteratorINS7_10device_ptrIiEEEESJ_S9_S9_S9_S9_S9_S9_S9_S9_EEEEPSB_SM_NS0_5tupleIJNSE_INS8_ISJ_NS7_16discard_iteratorINS7_11use_defaultEEES9_S9_S9_S9_S9_S9_S9_S9_EEEESB_EEENSN_IJSM_SM_EEESB_PlJNSF_9not_fun_tINSF_14equal_to_valueISA_EEEEEEE10hipError_tPvRmT3_T4_T5_T6_T7_T9_mT8_P12ihipStream_tbDpT10_ENKUlT_T0_E_clISt17integral_constantIbLb1EES1J_EEDaS1E_S1F_EUlS1E_E_NS1_11comp_targetILNS1_3genE0ELNS1_11target_archE4294967295ELNS1_3gpuE0ELNS1_3repE0EEENS1_30default_config_static_selectorELNS0_4arch9wavefront6targetE0EEEvT1_.private_seg_size, 0
	.set _ZN7rocprim17ROCPRIM_400000_NS6detail17trampoline_kernelINS0_14default_configENS1_25partition_config_selectorILNS1_17partition_subalgoE6EN6thrust23THRUST_200600_302600_NS5tupleIiiNS7_9null_typeES9_S9_S9_S9_S9_S9_S9_EENS0_10empty_typeEbEEZZNS1_14partition_implILS5_6ELb0ES3_mNS7_12zip_iteratorINS8_INS7_6detail15normal_iteratorINS7_10device_ptrIiEEEESJ_S9_S9_S9_S9_S9_S9_S9_S9_EEEEPSB_SM_NS0_5tupleIJNSE_INS8_ISJ_NS7_16discard_iteratorINS7_11use_defaultEEES9_S9_S9_S9_S9_S9_S9_S9_EEEESB_EEENSN_IJSM_SM_EEESB_PlJNSF_9not_fun_tINSF_14equal_to_valueISA_EEEEEEE10hipError_tPvRmT3_T4_T5_T6_T7_T9_mT8_P12ihipStream_tbDpT10_ENKUlT_T0_E_clISt17integral_constantIbLb1EES1J_EEDaS1E_S1F_EUlS1E_E_NS1_11comp_targetILNS1_3genE0ELNS1_11target_archE4294967295ELNS1_3gpuE0ELNS1_3repE0EEENS1_30default_config_static_selectorELNS0_4arch9wavefront6targetE0EEEvT1_.uses_vcc, 0
	.set _ZN7rocprim17ROCPRIM_400000_NS6detail17trampoline_kernelINS0_14default_configENS1_25partition_config_selectorILNS1_17partition_subalgoE6EN6thrust23THRUST_200600_302600_NS5tupleIiiNS7_9null_typeES9_S9_S9_S9_S9_S9_S9_EENS0_10empty_typeEbEEZZNS1_14partition_implILS5_6ELb0ES3_mNS7_12zip_iteratorINS8_INS7_6detail15normal_iteratorINS7_10device_ptrIiEEEESJ_S9_S9_S9_S9_S9_S9_S9_S9_EEEEPSB_SM_NS0_5tupleIJNSE_INS8_ISJ_NS7_16discard_iteratorINS7_11use_defaultEEES9_S9_S9_S9_S9_S9_S9_S9_EEEESB_EEENSN_IJSM_SM_EEESB_PlJNSF_9not_fun_tINSF_14equal_to_valueISA_EEEEEEE10hipError_tPvRmT3_T4_T5_T6_T7_T9_mT8_P12ihipStream_tbDpT10_ENKUlT_T0_E_clISt17integral_constantIbLb1EES1J_EEDaS1E_S1F_EUlS1E_E_NS1_11comp_targetILNS1_3genE0ELNS1_11target_archE4294967295ELNS1_3gpuE0ELNS1_3repE0EEENS1_30default_config_static_selectorELNS0_4arch9wavefront6targetE0EEEvT1_.uses_flat_scratch, 0
	.set _ZN7rocprim17ROCPRIM_400000_NS6detail17trampoline_kernelINS0_14default_configENS1_25partition_config_selectorILNS1_17partition_subalgoE6EN6thrust23THRUST_200600_302600_NS5tupleIiiNS7_9null_typeES9_S9_S9_S9_S9_S9_S9_EENS0_10empty_typeEbEEZZNS1_14partition_implILS5_6ELb0ES3_mNS7_12zip_iteratorINS8_INS7_6detail15normal_iteratorINS7_10device_ptrIiEEEESJ_S9_S9_S9_S9_S9_S9_S9_S9_EEEEPSB_SM_NS0_5tupleIJNSE_INS8_ISJ_NS7_16discard_iteratorINS7_11use_defaultEEES9_S9_S9_S9_S9_S9_S9_S9_EEEESB_EEENSN_IJSM_SM_EEESB_PlJNSF_9not_fun_tINSF_14equal_to_valueISA_EEEEEEE10hipError_tPvRmT3_T4_T5_T6_T7_T9_mT8_P12ihipStream_tbDpT10_ENKUlT_T0_E_clISt17integral_constantIbLb1EES1J_EEDaS1E_S1F_EUlS1E_E_NS1_11comp_targetILNS1_3genE0ELNS1_11target_archE4294967295ELNS1_3gpuE0ELNS1_3repE0EEENS1_30default_config_static_selectorELNS0_4arch9wavefront6targetE0EEEvT1_.has_dyn_sized_stack, 0
	.set _ZN7rocprim17ROCPRIM_400000_NS6detail17trampoline_kernelINS0_14default_configENS1_25partition_config_selectorILNS1_17partition_subalgoE6EN6thrust23THRUST_200600_302600_NS5tupleIiiNS7_9null_typeES9_S9_S9_S9_S9_S9_S9_EENS0_10empty_typeEbEEZZNS1_14partition_implILS5_6ELb0ES3_mNS7_12zip_iteratorINS8_INS7_6detail15normal_iteratorINS7_10device_ptrIiEEEESJ_S9_S9_S9_S9_S9_S9_S9_S9_EEEEPSB_SM_NS0_5tupleIJNSE_INS8_ISJ_NS7_16discard_iteratorINS7_11use_defaultEEES9_S9_S9_S9_S9_S9_S9_S9_EEEESB_EEENSN_IJSM_SM_EEESB_PlJNSF_9not_fun_tINSF_14equal_to_valueISA_EEEEEEE10hipError_tPvRmT3_T4_T5_T6_T7_T9_mT8_P12ihipStream_tbDpT10_ENKUlT_T0_E_clISt17integral_constantIbLb1EES1J_EEDaS1E_S1F_EUlS1E_E_NS1_11comp_targetILNS1_3genE0ELNS1_11target_archE4294967295ELNS1_3gpuE0ELNS1_3repE0EEENS1_30default_config_static_selectorELNS0_4arch9wavefront6targetE0EEEvT1_.has_recursion, 0
	.set _ZN7rocprim17ROCPRIM_400000_NS6detail17trampoline_kernelINS0_14default_configENS1_25partition_config_selectorILNS1_17partition_subalgoE6EN6thrust23THRUST_200600_302600_NS5tupleIiiNS7_9null_typeES9_S9_S9_S9_S9_S9_S9_EENS0_10empty_typeEbEEZZNS1_14partition_implILS5_6ELb0ES3_mNS7_12zip_iteratorINS8_INS7_6detail15normal_iteratorINS7_10device_ptrIiEEEESJ_S9_S9_S9_S9_S9_S9_S9_S9_EEEEPSB_SM_NS0_5tupleIJNSE_INS8_ISJ_NS7_16discard_iteratorINS7_11use_defaultEEES9_S9_S9_S9_S9_S9_S9_S9_EEEESB_EEENSN_IJSM_SM_EEESB_PlJNSF_9not_fun_tINSF_14equal_to_valueISA_EEEEEEE10hipError_tPvRmT3_T4_T5_T6_T7_T9_mT8_P12ihipStream_tbDpT10_ENKUlT_T0_E_clISt17integral_constantIbLb1EES1J_EEDaS1E_S1F_EUlS1E_E_NS1_11comp_targetILNS1_3genE0ELNS1_11target_archE4294967295ELNS1_3gpuE0ELNS1_3repE0EEENS1_30default_config_static_selectorELNS0_4arch9wavefront6targetE0EEEvT1_.has_indirect_call, 0
	.section	.AMDGPU.csdata,"",@progbits
; Kernel info:
; codeLenInByte = 0
; TotalNumSgprs: 0
; NumVgprs: 0
; ScratchSize: 0
; MemoryBound: 0
; FloatMode: 240
; IeeeMode: 1
; LDSByteSize: 0 bytes/workgroup (compile time only)
; SGPRBlocks: 0
; VGPRBlocks: 0
; NumSGPRsForWavesPerEU: 1
; NumVGPRsForWavesPerEU: 1
; Occupancy: 16
; WaveLimiterHint : 0
; COMPUTE_PGM_RSRC2:SCRATCH_EN: 0
; COMPUTE_PGM_RSRC2:USER_SGPR: 2
; COMPUTE_PGM_RSRC2:TRAP_HANDLER: 0
; COMPUTE_PGM_RSRC2:TGID_X_EN: 1
; COMPUTE_PGM_RSRC2:TGID_Y_EN: 0
; COMPUTE_PGM_RSRC2:TGID_Z_EN: 0
; COMPUTE_PGM_RSRC2:TIDIG_COMP_CNT: 0
	.section	.text._ZN7rocprim17ROCPRIM_400000_NS6detail17trampoline_kernelINS0_14default_configENS1_25partition_config_selectorILNS1_17partition_subalgoE6EN6thrust23THRUST_200600_302600_NS5tupleIiiNS7_9null_typeES9_S9_S9_S9_S9_S9_S9_EENS0_10empty_typeEbEEZZNS1_14partition_implILS5_6ELb0ES3_mNS7_12zip_iteratorINS8_INS7_6detail15normal_iteratorINS7_10device_ptrIiEEEESJ_S9_S9_S9_S9_S9_S9_S9_S9_EEEEPSB_SM_NS0_5tupleIJNSE_INS8_ISJ_NS7_16discard_iteratorINS7_11use_defaultEEES9_S9_S9_S9_S9_S9_S9_S9_EEEESB_EEENSN_IJSM_SM_EEESB_PlJNSF_9not_fun_tINSF_14equal_to_valueISA_EEEEEEE10hipError_tPvRmT3_T4_T5_T6_T7_T9_mT8_P12ihipStream_tbDpT10_ENKUlT_T0_E_clISt17integral_constantIbLb1EES1J_EEDaS1E_S1F_EUlS1E_E_NS1_11comp_targetILNS1_3genE5ELNS1_11target_archE942ELNS1_3gpuE9ELNS1_3repE0EEENS1_30default_config_static_selectorELNS0_4arch9wavefront6targetE0EEEvT1_,"axG",@progbits,_ZN7rocprim17ROCPRIM_400000_NS6detail17trampoline_kernelINS0_14default_configENS1_25partition_config_selectorILNS1_17partition_subalgoE6EN6thrust23THRUST_200600_302600_NS5tupleIiiNS7_9null_typeES9_S9_S9_S9_S9_S9_S9_EENS0_10empty_typeEbEEZZNS1_14partition_implILS5_6ELb0ES3_mNS7_12zip_iteratorINS8_INS7_6detail15normal_iteratorINS7_10device_ptrIiEEEESJ_S9_S9_S9_S9_S9_S9_S9_S9_EEEEPSB_SM_NS0_5tupleIJNSE_INS8_ISJ_NS7_16discard_iteratorINS7_11use_defaultEEES9_S9_S9_S9_S9_S9_S9_S9_EEEESB_EEENSN_IJSM_SM_EEESB_PlJNSF_9not_fun_tINSF_14equal_to_valueISA_EEEEEEE10hipError_tPvRmT3_T4_T5_T6_T7_T9_mT8_P12ihipStream_tbDpT10_ENKUlT_T0_E_clISt17integral_constantIbLb1EES1J_EEDaS1E_S1F_EUlS1E_E_NS1_11comp_targetILNS1_3genE5ELNS1_11target_archE942ELNS1_3gpuE9ELNS1_3repE0EEENS1_30default_config_static_selectorELNS0_4arch9wavefront6targetE0EEEvT1_,comdat
	.protected	_ZN7rocprim17ROCPRIM_400000_NS6detail17trampoline_kernelINS0_14default_configENS1_25partition_config_selectorILNS1_17partition_subalgoE6EN6thrust23THRUST_200600_302600_NS5tupleIiiNS7_9null_typeES9_S9_S9_S9_S9_S9_S9_EENS0_10empty_typeEbEEZZNS1_14partition_implILS5_6ELb0ES3_mNS7_12zip_iteratorINS8_INS7_6detail15normal_iteratorINS7_10device_ptrIiEEEESJ_S9_S9_S9_S9_S9_S9_S9_S9_EEEEPSB_SM_NS0_5tupleIJNSE_INS8_ISJ_NS7_16discard_iteratorINS7_11use_defaultEEES9_S9_S9_S9_S9_S9_S9_S9_EEEESB_EEENSN_IJSM_SM_EEESB_PlJNSF_9not_fun_tINSF_14equal_to_valueISA_EEEEEEE10hipError_tPvRmT3_T4_T5_T6_T7_T9_mT8_P12ihipStream_tbDpT10_ENKUlT_T0_E_clISt17integral_constantIbLb1EES1J_EEDaS1E_S1F_EUlS1E_E_NS1_11comp_targetILNS1_3genE5ELNS1_11target_archE942ELNS1_3gpuE9ELNS1_3repE0EEENS1_30default_config_static_selectorELNS0_4arch9wavefront6targetE0EEEvT1_ ; -- Begin function _ZN7rocprim17ROCPRIM_400000_NS6detail17trampoline_kernelINS0_14default_configENS1_25partition_config_selectorILNS1_17partition_subalgoE6EN6thrust23THRUST_200600_302600_NS5tupleIiiNS7_9null_typeES9_S9_S9_S9_S9_S9_S9_EENS0_10empty_typeEbEEZZNS1_14partition_implILS5_6ELb0ES3_mNS7_12zip_iteratorINS8_INS7_6detail15normal_iteratorINS7_10device_ptrIiEEEESJ_S9_S9_S9_S9_S9_S9_S9_S9_EEEEPSB_SM_NS0_5tupleIJNSE_INS8_ISJ_NS7_16discard_iteratorINS7_11use_defaultEEES9_S9_S9_S9_S9_S9_S9_S9_EEEESB_EEENSN_IJSM_SM_EEESB_PlJNSF_9not_fun_tINSF_14equal_to_valueISA_EEEEEEE10hipError_tPvRmT3_T4_T5_T6_T7_T9_mT8_P12ihipStream_tbDpT10_ENKUlT_T0_E_clISt17integral_constantIbLb1EES1J_EEDaS1E_S1F_EUlS1E_E_NS1_11comp_targetILNS1_3genE5ELNS1_11target_archE942ELNS1_3gpuE9ELNS1_3repE0EEENS1_30default_config_static_selectorELNS0_4arch9wavefront6targetE0EEEvT1_
	.globl	_ZN7rocprim17ROCPRIM_400000_NS6detail17trampoline_kernelINS0_14default_configENS1_25partition_config_selectorILNS1_17partition_subalgoE6EN6thrust23THRUST_200600_302600_NS5tupleIiiNS7_9null_typeES9_S9_S9_S9_S9_S9_S9_EENS0_10empty_typeEbEEZZNS1_14partition_implILS5_6ELb0ES3_mNS7_12zip_iteratorINS8_INS7_6detail15normal_iteratorINS7_10device_ptrIiEEEESJ_S9_S9_S9_S9_S9_S9_S9_S9_EEEEPSB_SM_NS0_5tupleIJNSE_INS8_ISJ_NS7_16discard_iteratorINS7_11use_defaultEEES9_S9_S9_S9_S9_S9_S9_S9_EEEESB_EEENSN_IJSM_SM_EEESB_PlJNSF_9not_fun_tINSF_14equal_to_valueISA_EEEEEEE10hipError_tPvRmT3_T4_T5_T6_T7_T9_mT8_P12ihipStream_tbDpT10_ENKUlT_T0_E_clISt17integral_constantIbLb1EES1J_EEDaS1E_S1F_EUlS1E_E_NS1_11comp_targetILNS1_3genE5ELNS1_11target_archE942ELNS1_3gpuE9ELNS1_3repE0EEENS1_30default_config_static_selectorELNS0_4arch9wavefront6targetE0EEEvT1_
	.p2align	8
	.type	_ZN7rocprim17ROCPRIM_400000_NS6detail17trampoline_kernelINS0_14default_configENS1_25partition_config_selectorILNS1_17partition_subalgoE6EN6thrust23THRUST_200600_302600_NS5tupleIiiNS7_9null_typeES9_S9_S9_S9_S9_S9_S9_EENS0_10empty_typeEbEEZZNS1_14partition_implILS5_6ELb0ES3_mNS7_12zip_iteratorINS8_INS7_6detail15normal_iteratorINS7_10device_ptrIiEEEESJ_S9_S9_S9_S9_S9_S9_S9_S9_EEEEPSB_SM_NS0_5tupleIJNSE_INS8_ISJ_NS7_16discard_iteratorINS7_11use_defaultEEES9_S9_S9_S9_S9_S9_S9_S9_EEEESB_EEENSN_IJSM_SM_EEESB_PlJNSF_9not_fun_tINSF_14equal_to_valueISA_EEEEEEE10hipError_tPvRmT3_T4_T5_T6_T7_T9_mT8_P12ihipStream_tbDpT10_ENKUlT_T0_E_clISt17integral_constantIbLb1EES1J_EEDaS1E_S1F_EUlS1E_E_NS1_11comp_targetILNS1_3genE5ELNS1_11target_archE942ELNS1_3gpuE9ELNS1_3repE0EEENS1_30default_config_static_selectorELNS0_4arch9wavefront6targetE0EEEvT1_,@function
_ZN7rocprim17ROCPRIM_400000_NS6detail17trampoline_kernelINS0_14default_configENS1_25partition_config_selectorILNS1_17partition_subalgoE6EN6thrust23THRUST_200600_302600_NS5tupleIiiNS7_9null_typeES9_S9_S9_S9_S9_S9_S9_EENS0_10empty_typeEbEEZZNS1_14partition_implILS5_6ELb0ES3_mNS7_12zip_iteratorINS8_INS7_6detail15normal_iteratorINS7_10device_ptrIiEEEESJ_S9_S9_S9_S9_S9_S9_S9_S9_EEEEPSB_SM_NS0_5tupleIJNSE_INS8_ISJ_NS7_16discard_iteratorINS7_11use_defaultEEES9_S9_S9_S9_S9_S9_S9_S9_EEEESB_EEENSN_IJSM_SM_EEESB_PlJNSF_9not_fun_tINSF_14equal_to_valueISA_EEEEEEE10hipError_tPvRmT3_T4_T5_T6_T7_T9_mT8_P12ihipStream_tbDpT10_ENKUlT_T0_E_clISt17integral_constantIbLb1EES1J_EEDaS1E_S1F_EUlS1E_E_NS1_11comp_targetILNS1_3genE5ELNS1_11target_archE942ELNS1_3gpuE9ELNS1_3repE0EEENS1_30default_config_static_selectorELNS0_4arch9wavefront6targetE0EEEvT1_: ; @_ZN7rocprim17ROCPRIM_400000_NS6detail17trampoline_kernelINS0_14default_configENS1_25partition_config_selectorILNS1_17partition_subalgoE6EN6thrust23THRUST_200600_302600_NS5tupleIiiNS7_9null_typeES9_S9_S9_S9_S9_S9_S9_EENS0_10empty_typeEbEEZZNS1_14partition_implILS5_6ELb0ES3_mNS7_12zip_iteratorINS8_INS7_6detail15normal_iteratorINS7_10device_ptrIiEEEESJ_S9_S9_S9_S9_S9_S9_S9_S9_EEEEPSB_SM_NS0_5tupleIJNSE_INS8_ISJ_NS7_16discard_iteratorINS7_11use_defaultEEES9_S9_S9_S9_S9_S9_S9_S9_EEEESB_EEENSN_IJSM_SM_EEESB_PlJNSF_9not_fun_tINSF_14equal_to_valueISA_EEEEEEE10hipError_tPvRmT3_T4_T5_T6_T7_T9_mT8_P12ihipStream_tbDpT10_ENKUlT_T0_E_clISt17integral_constantIbLb1EES1J_EEDaS1E_S1F_EUlS1E_E_NS1_11comp_targetILNS1_3genE5ELNS1_11target_archE942ELNS1_3gpuE9ELNS1_3repE0EEENS1_30default_config_static_selectorELNS0_4arch9wavefront6targetE0EEEvT1_
; %bb.0:
	.section	.rodata,"a",@progbits
	.p2align	6, 0x0
	.amdhsa_kernel _ZN7rocprim17ROCPRIM_400000_NS6detail17trampoline_kernelINS0_14default_configENS1_25partition_config_selectorILNS1_17partition_subalgoE6EN6thrust23THRUST_200600_302600_NS5tupleIiiNS7_9null_typeES9_S9_S9_S9_S9_S9_S9_EENS0_10empty_typeEbEEZZNS1_14partition_implILS5_6ELb0ES3_mNS7_12zip_iteratorINS8_INS7_6detail15normal_iteratorINS7_10device_ptrIiEEEESJ_S9_S9_S9_S9_S9_S9_S9_S9_EEEEPSB_SM_NS0_5tupleIJNSE_INS8_ISJ_NS7_16discard_iteratorINS7_11use_defaultEEES9_S9_S9_S9_S9_S9_S9_S9_EEEESB_EEENSN_IJSM_SM_EEESB_PlJNSF_9not_fun_tINSF_14equal_to_valueISA_EEEEEEE10hipError_tPvRmT3_T4_T5_T6_T7_T9_mT8_P12ihipStream_tbDpT10_ENKUlT_T0_E_clISt17integral_constantIbLb1EES1J_EEDaS1E_S1F_EUlS1E_E_NS1_11comp_targetILNS1_3genE5ELNS1_11target_archE942ELNS1_3gpuE9ELNS1_3repE0EEENS1_30default_config_static_selectorELNS0_4arch9wavefront6targetE0EEEvT1_
		.amdhsa_group_segment_fixed_size 0
		.amdhsa_private_segment_fixed_size 0
		.amdhsa_kernarg_size 152
		.amdhsa_user_sgpr_count 2
		.amdhsa_user_sgpr_dispatch_ptr 0
		.amdhsa_user_sgpr_queue_ptr 0
		.amdhsa_user_sgpr_kernarg_segment_ptr 1
		.amdhsa_user_sgpr_dispatch_id 0
		.amdhsa_user_sgpr_private_segment_size 0
		.amdhsa_wavefront_size32 1
		.amdhsa_uses_dynamic_stack 0
		.amdhsa_enable_private_segment 0
		.amdhsa_system_sgpr_workgroup_id_x 1
		.amdhsa_system_sgpr_workgroup_id_y 0
		.amdhsa_system_sgpr_workgroup_id_z 0
		.amdhsa_system_sgpr_workgroup_info 0
		.amdhsa_system_vgpr_workitem_id 0
		.amdhsa_next_free_vgpr 1
		.amdhsa_next_free_sgpr 1
		.amdhsa_reserve_vcc 0
		.amdhsa_float_round_mode_32 0
		.amdhsa_float_round_mode_16_64 0
		.amdhsa_float_denorm_mode_32 3
		.amdhsa_float_denorm_mode_16_64 3
		.amdhsa_fp16_overflow 0
		.amdhsa_workgroup_processor_mode 1
		.amdhsa_memory_ordered 1
		.amdhsa_forward_progress 1
		.amdhsa_inst_pref_size 0
		.amdhsa_round_robin_scheduling 0
		.amdhsa_exception_fp_ieee_invalid_op 0
		.amdhsa_exception_fp_denorm_src 0
		.amdhsa_exception_fp_ieee_div_zero 0
		.amdhsa_exception_fp_ieee_overflow 0
		.amdhsa_exception_fp_ieee_underflow 0
		.amdhsa_exception_fp_ieee_inexact 0
		.amdhsa_exception_int_div_zero 0
	.end_amdhsa_kernel
	.section	.text._ZN7rocprim17ROCPRIM_400000_NS6detail17trampoline_kernelINS0_14default_configENS1_25partition_config_selectorILNS1_17partition_subalgoE6EN6thrust23THRUST_200600_302600_NS5tupleIiiNS7_9null_typeES9_S9_S9_S9_S9_S9_S9_EENS0_10empty_typeEbEEZZNS1_14partition_implILS5_6ELb0ES3_mNS7_12zip_iteratorINS8_INS7_6detail15normal_iteratorINS7_10device_ptrIiEEEESJ_S9_S9_S9_S9_S9_S9_S9_S9_EEEEPSB_SM_NS0_5tupleIJNSE_INS8_ISJ_NS7_16discard_iteratorINS7_11use_defaultEEES9_S9_S9_S9_S9_S9_S9_S9_EEEESB_EEENSN_IJSM_SM_EEESB_PlJNSF_9not_fun_tINSF_14equal_to_valueISA_EEEEEEE10hipError_tPvRmT3_T4_T5_T6_T7_T9_mT8_P12ihipStream_tbDpT10_ENKUlT_T0_E_clISt17integral_constantIbLb1EES1J_EEDaS1E_S1F_EUlS1E_E_NS1_11comp_targetILNS1_3genE5ELNS1_11target_archE942ELNS1_3gpuE9ELNS1_3repE0EEENS1_30default_config_static_selectorELNS0_4arch9wavefront6targetE0EEEvT1_,"axG",@progbits,_ZN7rocprim17ROCPRIM_400000_NS6detail17trampoline_kernelINS0_14default_configENS1_25partition_config_selectorILNS1_17partition_subalgoE6EN6thrust23THRUST_200600_302600_NS5tupleIiiNS7_9null_typeES9_S9_S9_S9_S9_S9_S9_EENS0_10empty_typeEbEEZZNS1_14partition_implILS5_6ELb0ES3_mNS7_12zip_iteratorINS8_INS7_6detail15normal_iteratorINS7_10device_ptrIiEEEESJ_S9_S9_S9_S9_S9_S9_S9_S9_EEEEPSB_SM_NS0_5tupleIJNSE_INS8_ISJ_NS7_16discard_iteratorINS7_11use_defaultEEES9_S9_S9_S9_S9_S9_S9_S9_EEEESB_EEENSN_IJSM_SM_EEESB_PlJNSF_9not_fun_tINSF_14equal_to_valueISA_EEEEEEE10hipError_tPvRmT3_T4_T5_T6_T7_T9_mT8_P12ihipStream_tbDpT10_ENKUlT_T0_E_clISt17integral_constantIbLb1EES1J_EEDaS1E_S1F_EUlS1E_E_NS1_11comp_targetILNS1_3genE5ELNS1_11target_archE942ELNS1_3gpuE9ELNS1_3repE0EEENS1_30default_config_static_selectorELNS0_4arch9wavefront6targetE0EEEvT1_,comdat
.Lfunc_end2022:
	.size	_ZN7rocprim17ROCPRIM_400000_NS6detail17trampoline_kernelINS0_14default_configENS1_25partition_config_selectorILNS1_17partition_subalgoE6EN6thrust23THRUST_200600_302600_NS5tupleIiiNS7_9null_typeES9_S9_S9_S9_S9_S9_S9_EENS0_10empty_typeEbEEZZNS1_14partition_implILS5_6ELb0ES3_mNS7_12zip_iteratorINS8_INS7_6detail15normal_iteratorINS7_10device_ptrIiEEEESJ_S9_S9_S9_S9_S9_S9_S9_S9_EEEEPSB_SM_NS0_5tupleIJNSE_INS8_ISJ_NS7_16discard_iteratorINS7_11use_defaultEEES9_S9_S9_S9_S9_S9_S9_S9_EEEESB_EEENSN_IJSM_SM_EEESB_PlJNSF_9not_fun_tINSF_14equal_to_valueISA_EEEEEEE10hipError_tPvRmT3_T4_T5_T6_T7_T9_mT8_P12ihipStream_tbDpT10_ENKUlT_T0_E_clISt17integral_constantIbLb1EES1J_EEDaS1E_S1F_EUlS1E_E_NS1_11comp_targetILNS1_3genE5ELNS1_11target_archE942ELNS1_3gpuE9ELNS1_3repE0EEENS1_30default_config_static_selectorELNS0_4arch9wavefront6targetE0EEEvT1_, .Lfunc_end2022-_ZN7rocprim17ROCPRIM_400000_NS6detail17trampoline_kernelINS0_14default_configENS1_25partition_config_selectorILNS1_17partition_subalgoE6EN6thrust23THRUST_200600_302600_NS5tupleIiiNS7_9null_typeES9_S9_S9_S9_S9_S9_S9_EENS0_10empty_typeEbEEZZNS1_14partition_implILS5_6ELb0ES3_mNS7_12zip_iteratorINS8_INS7_6detail15normal_iteratorINS7_10device_ptrIiEEEESJ_S9_S9_S9_S9_S9_S9_S9_S9_EEEEPSB_SM_NS0_5tupleIJNSE_INS8_ISJ_NS7_16discard_iteratorINS7_11use_defaultEEES9_S9_S9_S9_S9_S9_S9_S9_EEEESB_EEENSN_IJSM_SM_EEESB_PlJNSF_9not_fun_tINSF_14equal_to_valueISA_EEEEEEE10hipError_tPvRmT3_T4_T5_T6_T7_T9_mT8_P12ihipStream_tbDpT10_ENKUlT_T0_E_clISt17integral_constantIbLb1EES1J_EEDaS1E_S1F_EUlS1E_E_NS1_11comp_targetILNS1_3genE5ELNS1_11target_archE942ELNS1_3gpuE9ELNS1_3repE0EEENS1_30default_config_static_selectorELNS0_4arch9wavefront6targetE0EEEvT1_
                                        ; -- End function
	.set _ZN7rocprim17ROCPRIM_400000_NS6detail17trampoline_kernelINS0_14default_configENS1_25partition_config_selectorILNS1_17partition_subalgoE6EN6thrust23THRUST_200600_302600_NS5tupleIiiNS7_9null_typeES9_S9_S9_S9_S9_S9_S9_EENS0_10empty_typeEbEEZZNS1_14partition_implILS5_6ELb0ES3_mNS7_12zip_iteratorINS8_INS7_6detail15normal_iteratorINS7_10device_ptrIiEEEESJ_S9_S9_S9_S9_S9_S9_S9_S9_EEEEPSB_SM_NS0_5tupleIJNSE_INS8_ISJ_NS7_16discard_iteratorINS7_11use_defaultEEES9_S9_S9_S9_S9_S9_S9_S9_EEEESB_EEENSN_IJSM_SM_EEESB_PlJNSF_9not_fun_tINSF_14equal_to_valueISA_EEEEEEE10hipError_tPvRmT3_T4_T5_T6_T7_T9_mT8_P12ihipStream_tbDpT10_ENKUlT_T0_E_clISt17integral_constantIbLb1EES1J_EEDaS1E_S1F_EUlS1E_E_NS1_11comp_targetILNS1_3genE5ELNS1_11target_archE942ELNS1_3gpuE9ELNS1_3repE0EEENS1_30default_config_static_selectorELNS0_4arch9wavefront6targetE0EEEvT1_.num_vgpr, 0
	.set _ZN7rocprim17ROCPRIM_400000_NS6detail17trampoline_kernelINS0_14default_configENS1_25partition_config_selectorILNS1_17partition_subalgoE6EN6thrust23THRUST_200600_302600_NS5tupleIiiNS7_9null_typeES9_S9_S9_S9_S9_S9_S9_EENS0_10empty_typeEbEEZZNS1_14partition_implILS5_6ELb0ES3_mNS7_12zip_iteratorINS8_INS7_6detail15normal_iteratorINS7_10device_ptrIiEEEESJ_S9_S9_S9_S9_S9_S9_S9_S9_EEEEPSB_SM_NS0_5tupleIJNSE_INS8_ISJ_NS7_16discard_iteratorINS7_11use_defaultEEES9_S9_S9_S9_S9_S9_S9_S9_EEEESB_EEENSN_IJSM_SM_EEESB_PlJNSF_9not_fun_tINSF_14equal_to_valueISA_EEEEEEE10hipError_tPvRmT3_T4_T5_T6_T7_T9_mT8_P12ihipStream_tbDpT10_ENKUlT_T0_E_clISt17integral_constantIbLb1EES1J_EEDaS1E_S1F_EUlS1E_E_NS1_11comp_targetILNS1_3genE5ELNS1_11target_archE942ELNS1_3gpuE9ELNS1_3repE0EEENS1_30default_config_static_selectorELNS0_4arch9wavefront6targetE0EEEvT1_.num_agpr, 0
	.set _ZN7rocprim17ROCPRIM_400000_NS6detail17trampoline_kernelINS0_14default_configENS1_25partition_config_selectorILNS1_17partition_subalgoE6EN6thrust23THRUST_200600_302600_NS5tupleIiiNS7_9null_typeES9_S9_S9_S9_S9_S9_S9_EENS0_10empty_typeEbEEZZNS1_14partition_implILS5_6ELb0ES3_mNS7_12zip_iteratorINS8_INS7_6detail15normal_iteratorINS7_10device_ptrIiEEEESJ_S9_S9_S9_S9_S9_S9_S9_S9_EEEEPSB_SM_NS0_5tupleIJNSE_INS8_ISJ_NS7_16discard_iteratorINS7_11use_defaultEEES9_S9_S9_S9_S9_S9_S9_S9_EEEESB_EEENSN_IJSM_SM_EEESB_PlJNSF_9not_fun_tINSF_14equal_to_valueISA_EEEEEEE10hipError_tPvRmT3_T4_T5_T6_T7_T9_mT8_P12ihipStream_tbDpT10_ENKUlT_T0_E_clISt17integral_constantIbLb1EES1J_EEDaS1E_S1F_EUlS1E_E_NS1_11comp_targetILNS1_3genE5ELNS1_11target_archE942ELNS1_3gpuE9ELNS1_3repE0EEENS1_30default_config_static_selectorELNS0_4arch9wavefront6targetE0EEEvT1_.numbered_sgpr, 0
	.set _ZN7rocprim17ROCPRIM_400000_NS6detail17trampoline_kernelINS0_14default_configENS1_25partition_config_selectorILNS1_17partition_subalgoE6EN6thrust23THRUST_200600_302600_NS5tupleIiiNS7_9null_typeES9_S9_S9_S9_S9_S9_S9_EENS0_10empty_typeEbEEZZNS1_14partition_implILS5_6ELb0ES3_mNS7_12zip_iteratorINS8_INS7_6detail15normal_iteratorINS7_10device_ptrIiEEEESJ_S9_S9_S9_S9_S9_S9_S9_S9_EEEEPSB_SM_NS0_5tupleIJNSE_INS8_ISJ_NS7_16discard_iteratorINS7_11use_defaultEEES9_S9_S9_S9_S9_S9_S9_S9_EEEESB_EEENSN_IJSM_SM_EEESB_PlJNSF_9not_fun_tINSF_14equal_to_valueISA_EEEEEEE10hipError_tPvRmT3_T4_T5_T6_T7_T9_mT8_P12ihipStream_tbDpT10_ENKUlT_T0_E_clISt17integral_constantIbLb1EES1J_EEDaS1E_S1F_EUlS1E_E_NS1_11comp_targetILNS1_3genE5ELNS1_11target_archE942ELNS1_3gpuE9ELNS1_3repE0EEENS1_30default_config_static_selectorELNS0_4arch9wavefront6targetE0EEEvT1_.num_named_barrier, 0
	.set _ZN7rocprim17ROCPRIM_400000_NS6detail17trampoline_kernelINS0_14default_configENS1_25partition_config_selectorILNS1_17partition_subalgoE6EN6thrust23THRUST_200600_302600_NS5tupleIiiNS7_9null_typeES9_S9_S9_S9_S9_S9_S9_EENS0_10empty_typeEbEEZZNS1_14partition_implILS5_6ELb0ES3_mNS7_12zip_iteratorINS8_INS7_6detail15normal_iteratorINS7_10device_ptrIiEEEESJ_S9_S9_S9_S9_S9_S9_S9_S9_EEEEPSB_SM_NS0_5tupleIJNSE_INS8_ISJ_NS7_16discard_iteratorINS7_11use_defaultEEES9_S9_S9_S9_S9_S9_S9_S9_EEEESB_EEENSN_IJSM_SM_EEESB_PlJNSF_9not_fun_tINSF_14equal_to_valueISA_EEEEEEE10hipError_tPvRmT3_T4_T5_T6_T7_T9_mT8_P12ihipStream_tbDpT10_ENKUlT_T0_E_clISt17integral_constantIbLb1EES1J_EEDaS1E_S1F_EUlS1E_E_NS1_11comp_targetILNS1_3genE5ELNS1_11target_archE942ELNS1_3gpuE9ELNS1_3repE0EEENS1_30default_config_static_selectorELNS0_4arch9wavefront6targetE0EEEvT1_.private_seg_size, 0
	.set _ZN7rocprim17ROCPRIM_400000_NS6detail17trampoline_kernelINS0_14default_configENS1_25partition_config_selectorILNS1_17partition_subalgoE6EN6thrust23THRUST_200600_302600_NS5tupleIiiNS7_9null_typeES9_S9_S9_S9_S9_S9_S9_EENS0_10empty_typeEbEEZZNS1_14partition_implILS5_6ELb0ES3_mNS7_12zip_iteratorINS8_INS7_6detail15normal_iteratorINS7_10device_ptrIiEEEESJ_S9_S9_S9_S9_S9_S9_S9_S9_EEEEPSB_SM_NS0_5tupleIJNSE_INS8_ISJ_NS7_16discard_iteratorINS7_11use_defaultEEES9_S9_S9_S9_S9_S9_S9_S9_EEEESB_EEENSN_IJSM_SM_EEESB_PlJNSF_9not_fun_tINSF_14equal_to_valueISA_EEEEEEE10hipError_tPvRmT3_T4_T5_T6_T7_T9_mT8_P12ihipStream_tbDpT10_ENKUlT_T0_E_clISt17integral_constantIbLb1EES1J_EEDaS1E_S1F_EUlS1E_E_NS1_11comp_targetILNS1_3genE5ELNS1_11target_archE942ELNS1_3gpuE9ELNS1_3repE0EEENS1_30default_config_static_selectorELNS0_4arch9wavefront6targetE0EEEvT1_.uses_vcc, 0
	.set _ZN7rocprim17ROCPRIM_400000_NS6detail17trampoline_kernelINS0_14default_configENS1_25partition_config_selectorILNS1_17partition_subalgoE6EN6thrust23THRUST_200600_302600_NS5tupleIiiNS7_9null_typeES9_S9_S9_S9_S9_S9_S9_EENS0_10empty_typeEbEEZZNS1_14partition_implILS5_6ELb0ES3_mNS7_12zip_iteratorINS8_INS7_6detail15normal_iteratorINS7_10device_ptrIiEEEESJ_S9_S9_S9_S9_S9_S9_S9_S9_EEEEPSB_SM_NS0_5tupleIJNSE_INS8_ISJ_NS7_16discard_iteratorINS7_11use_defaultEEES9_S9_S9_S9_S9_S9_S9_S9_EEEESB_EEENSN_IJSM_SM_EEESB_PlJNSF_9not_fun_tINSF_14equal_to_valueISA_EEEEEEE10hipError_tPvRmT3_T4_T5_T6_T7_T9_mT8_P12ihipStream_tbDpT10_ENKUlT_T0_E_clISt17integral_constantIbLb1EES1J_EEDaS1E_S1F_EUlS1E_E_NS1_11comp_targetILNS1_3genE5ELNS1_11target_archE942ELNS1_3gpuE9ELNS1_3repE0EEENS1_30default_config_static_selectorELNS0_4arch9wavefront6targetE0EEEvT1_.uses_flat_scratch, 0
	.set _ZN7rocprim17ROCPRIM_400000_NS6detail17trampoline_kernelINS0_14default_configENS1_25partition_config_selectorILNS1_17partition_subalgoE6EN6thrust23THRUST_200600_302600_NS5tupleIiiNS7_9null_typeES9_S9_S9_S9_S9_S9_S9_EENS0_10empty_typeEbEEZZNS1_14partition_implILS5_6ELb0ES3_mNS7_12zip_iteratorINS8_INS7_6detail15normal_iteratorINS7_10device_ptrIiEEEESJ_S9_S9_S9_S9_S9_S9_S9_S9_EEEEPSB_SM_NS0_5tupleIJNSE_INS8_ISJ_NS7_16discard_iteratorINS7_11use_defaultEEES9_S9_S9_S9_S9_S9_S9_S9_EEEESB_EEENSN_IJSM_SM_EEESB_PlJNSF_9not_fun_tINSF_14equal_to_valueISA_EEEEEEE10hipError_tPvRmT3_T4_T5_T6_T7_T9_mT8_P12ihipStream_tbDpT10_ENKUlT_T0_E_clISt17integral_constantIbLb1EES1J_EEDaS1E_S1F_EUlS1E_E_NS1_11comp_targetILNS1_3genE5ELNS1_11target_archE942ELNS1_3gpuE9ELNS1_3repE0EEENS1_30default_config_static_selectorELNS0_4arch9wavefront6targetE0EEEvT1_.has_dyn_sized_stack, 0
	.set _ZN7rocprim17ROCPRIM_400000_NS6detail17trampoline_kernelINS0_14default_configENS1_25partition_config_selectorILNS1_17partition_subalgoE6EN6thrust23THRUST_200600_302600_NS5tupleIiiNS7_9null_typeES9_S9_S9_S9_S9_S9_S9_EENS0_10empty_typeEbEEZZNS1_14partition_implILS5_6ELb0ES3_mNS7_12zip_iteratorINS8_INS7_6detail15normal_iteratorINS7_10device_ptrIiEEEESJ_S9_S9_S9_S9_S9_S9_S9_S9_EEEEPSB_SM_NS0_5tupleIJNSE_INS8_ISJ_NS7_16discard_iteratorINS7_11use_defaultEEES9_S9_S9_S9_S9_S9_S9_S9_EEEESB_EEENSN_IJSM_SM_EEESB_PlJNSF_9not_fun_tINSF_14equal_to_valueISA_EEEEEEE10hipError_tPvRmT3_T4_T5_T6_T7_T9_mT8_P12ihipStream_tbDpT10_ENKUlT_T0_E_clISt17integral_constantIbLb1EES1J_EEDaS1E_S1F_EUlS1E_E_NS1_11comp_targetILNS1_3genE5ELNS1_11target_archE942ELNS1_3gpuE9ELNS1_3repE0EEENS1_30default_config_static_selectorELNS0_4arch9wavefront6targetE0EEEvT1_.has_recursion, 0
	.set _ZN7rocprim17ROCPRIM_400000_NS6detail17trampoline_kernelINS0_14default_configENS1_25partition_config_selectorILNS1_17partition_subalgoE6EN6thrust23THRUST_200600_302600_NS5tupleIiiNS7_9null_typeES9_S9_S9_S9_S9_S9_S9_EENS0_10empty_typeEbEEZZNS1_14partition_implILS5_6ELb0ES3_mNS7_12zip_iteratorINS8_INS7_6detail15normal_iteratorINS7_10device_ptrIiEEEESJ_S9_S9_S9_S9_S9_S9_S9_S9_EEEEPSB_SM_NS0_5tupleIJNSE_INS8_ISJ_NS7_16discard_iteratorINS7_11use_defaultEEES9_S9_S9_S9_S9_S9_S9_S9_EEEESB_EEENSN_IJSM_SM_EEESB_PlJNSF_9not_fun_tINSF_14equal_to_valueISA_EEEEEEE10hipError_tPvRmT3_T4_T5_T6_T7_T9_mT8_P12ihipStream_tbDpT10_ENKUlT_T0_E_clISt17integral_constantIbLb1EES1J_EEDaS1E_S1F_EUlS1E_E_NS1_11comp_targetILNS1_3genE5ELNS1_11target_archE942ELNS1_3gpuE9ELNS1_3repE0EEENS1_30default_config_static_selectorELNS0_4arch9wavefront6targetE0EEEvT1_.has_indirect_call, 0
	.section	.AMDGPU.csdata,"",@progbits
; Kernel info:
; codeLenInByte = 0
; TotalNumSgprs: 0
; NumVgprs: 0
; ScratchSize: 0
; MemoryBound: 0
; FloatMode: 240
; IeeeMode: 1
; LDSByteSize: 0 bytes/workgroup (compile time only)
; SGPRBlocks: 0
; VGPRBlocks: 0
; NumSGPRsForWavesPerEU: 1
; NumVGPRsForWavesPerEU: 1
; Occupancy: 16
; WaveLimiterHint : 0
; COMPUTE_PGM_RSRC2:SCRATCH_EN: 0
; COMPUTE_PGM_RSRC2:USER_SGPR: 2
; COMPUTE_PGM_RSRC2:TRAP_HANDLER: 0
; COMPUTE_PGM_RSRC2:TGID_X_EN: 1
; COMPUTE_PGM_RSRC2:TGID_Y_EN: 0
; COMPUTE_PGM_RSRC2:TGID_Z_EN: 0
; COMPUTE_PGM_RSRC2:TIDIG_COMP_CNT: 0
	.section	.text._ZN7rocprim17ROCPRIM_400000_NS6detail17trampoline_kernelINS0_14default_configENS1_25partition_config_selectorILNS1_17partition_subalgoE6EN6thrust23THRUST_200600_302600_NS5tupleIiiNS7_9null_typeES9_S9_S9_S9_S9_S9_S9_EENS0_10empty_typeEbEEZZNS1_14partition_implILS5_6ELb0ES3_mNS7_12zip_iteratorINS8_INS7_6detail15normal_iteratorINS7_10device_ptrIiEEEESJ_S9_S9_S9_S9_S9_S9_S9_S9_EEEEPSB_SM_NS0_5tupleIJNSE_INS8_ISJ_NS7_16discard_iteratorINS7_11use_defaultEEES9_S9_S9_S9_S9_S9_S9_S9_EEEESB_EEENSN_IJSM_SM_EEESB_PlJNSF_9not_fun_tINSF_14equal_to_valueISA_EEEEEEE10hipError_tPvRmT3_T4_T5_T6_T7_T9_mT8_P12ihipStream_tbDpT10_ENKUlT_T0_E_clISt17integral_constantIbLb1EES1J_EEDaS1E_S1F_EUlS1E_E_NS1_11comp_targetILNS1_3genE4ELNS1_11target_archE910ELNS1_3gpuE8ELNS1_3repE0EEENS1_30default_config_static_selectorELNS0_4arch9wavefront6targetE0EEEvT1_,"axG",@progbits,_ZN7rocprim17ROCPRIM_400000_NS6detail17trampoline_kernelINS0_14default_configENS1_25partition_config_selectorILNS1_17partition_subalgoE6EN6thrust23THRUST_200600_302600_NS5tupleIiiNS7_9null_typeES9_S9_S9_S9_S9_S9_S9_EENS0_10empty_typeEbEEZZNS1_14partition_implILS5_6ELb0ES3_mNS7_12zip_iteratorINS8_INS7_6detail15normal_iteratorINS7_10device_ptrIiEEEESJ_S9_S9_S9_S9_S9_S9_S9_S9_EEEEPSB_SM_NS0_5tupleIJNSE_INS8_ISJ_NS7_16discard_iteratorINS7_11use_defaultEEES9_S9_S9_S9_S9_S9_S9_S9_EEEESB_EEENSN_IJSM_SM_EEESB_PlJNSF_9not_fun_tINSF_14equal_to_valueISA_EEEEEEE10hipError_tPvRmT3_T4_T5_T6_T7_T9_mT8_P12ihipStream_tbDpT10_ENKUlT_T0_E_clISt17integral_constantIbLb1EES1J_EEDaS1E_S1F_EUlS1E_E_NS1_11comp_targetILNS1_3genE4ELNS1_11target_archE910ELNS1_3gpuE8ELNS1_3repE0EEENS1_30default_config_static_selectorELNS0_4arch9wavefront6targetE0EEEvT1_,comdat
	.protected	_ZN7rocprim17ROCPRIM_400000_NS6detail17trampoline_kernelINS0_14default_configENS1_25partition_config_selectorILNS1_17partition_subalgoE6EN6thrust23THRUST_200600_302600_NS5tupleIiiNS7_9null_typeES9_S9_S9_S9_S9_S9_S9_EENS0_10empty_typeEbEEZZNS1_14partition_implILS5_6ELb0ES3_mNS7_12zip_iteratorINS8_INS7_6detail15normal_iteratorINS7_10device_ptrIiEEEESJ_S9_S9_S9_S9_S9_S9_S9_S9_EEEEPSB_SM_NS0_5tupleIJNSE_INS8_ISJ_NS7_16discard_iteratorINS7_11use_defaultEEES9_S9_S9_S9_S9_S9_S9_S9_EEEESB_EEENSN_IJSM_SM_EEESB_PlJNSF_9not_fun_tINSF_14equal_to_valueISA_EEEEEEE10hipError_tPvRmT3_T4_T5_T6_T7_T9_mT8_P12ihipStream_tbDpT10_ENKUlT_T0_E_clISt17integral_constantIbLb1EES1J_EEDaS1E_S1F_EUlS1E_E_NS1_11comp_targetILNS1_3genE4ELNS1_11target_archE910ELNS1_3gpuE8ELNS1_3repE0EEENS1_30default_config_static_selectorELNS0_4arch9wavefront6targetE0EEEvT1_ ; -- Begin function _ZN7rocprim17ROCPRIM_400000_NS6detail17trampoline_kernelINS0_14default_configENS1_25partition_config_selectorILNS1_17partition_subalgoE6EN6thrust23THRUST_200600_302600_NS5tupleIiiNS7_9null_typeES9_S9_S9_S9_S9_S9_S9_EENS0_10empty_typeEbEEZZNS1_14partition_implILS5_6ELb0ES3_mNS7_12zip_iteratorINS8_INS7_6detail15normal_iteratorINS7_10device_ptrIiEEEESJ_S9_S9_S9_S9_S9_S9_S9_S9_EEEEPSB_SM_NS0_5tupleIJNSE_INS8_ISJ_NS7_16discard_iteratorINS7_11use_defaultEEES9_S9_S9_S9_S9_S9_S9_S9_EEEESB_EEENSN_IJSM_SM_EEESB_PlJNSF_9not_fun_tINSF_14equal_to_valueISA_EEEEEEE10hipError_tPvRmT3_T4_T5_T6_T7_T9_mT8_P12ihipStream_tbDpT10_ENKUlT_T0_E_clISt17integral_constantIbLb1EES1J_EEDaS1E_S1F_EUlS1E_E_NS1_11comp_targetILNS1_3genE4ELNS1_11target_archE910ELNS1_3gpuE8ELNS1_3repE0EEENS1_30default_config_static_selectorELNS0_4arch9wavefront6targetE0EEEvT1_
	.globl	_ZN7rocprim17ROCPRIM_400000_NS6detail17trampoline_kernelINS0_14default_configENS1_25partition_config_selectorILNS1_17partition_subalgoE6EN6thrust23THRUST_200600_302600_NS5tupleIiiNS7_9null_typeES9_S9_S9_S9_S9_S9_S9_EENS0_10empty_typeEbEEZZNS1_14partition_implILS5_6ELb0ES3_mNS7_12zip_iteratorINS8_INS7_6detail15normal_iteratorINS7_10device_ptrIiEEEESJ_S9_S9_S9_S9_S9_S9_S9_S9_EEEEPSB_SM_NS0_5tupleIJNSE_INS8_ISJ_NS7_16discard_iteratorINS7_11use_defaultEEES9_S9_S9_S9_S9_S9_S9_S9_EEEESB_EEENSN_IJSM_SM_EEESB_PlJNSF_9not_fun_tINSF_14equal_to_valueISA_EEEEEEE10hipError_tPvRmT3_T4_T5_T6_T7_T9_mT8_P12ihipStream_tbDpT10_ENKUlT_T0_E_clISt17integral_constantIbLb1EES1J_EEDaS1E_S1F_EUlS1E_E_NS1_11comp_targetILNS1_3genE4ELNS1_11target_archE910ELNS1_3gpuE8ELNS1_3repE0EEENS1_30default_config_static_selectorELNS0_4arch9wavefront6targetE0EEEvT1_
	.p2align	8
	.type	_ZN7rocprim17ROCPRIM_400000_NS6detail17trampoline_kernelINS0_14default_configENS1_25partition_config_selectorILNS1_17partition_subalgoE6EN6thrust23THRUST_200600_302600_NS5tupleIiiNS7_9null_typeES9_S9_S9_S9_S9_S9_S9_EENS0_10empty_typeEbEEZZNS1_14partition_implILS5_6ELb0ES3_mNS7_12zip_iteratorINS8_INS7_6detail15normal_iteratorINS7_10device_ptrIiEEEESJ_S9_S9_S9_S9_S9_S9_S9_S9_EEEEPSB_SM_NS0_5tupleIJNSE_INS8_ISJ_NS7_16discard_iteratorINS7_11use_defaultEEES9_S9_S9_S9_S9_S9_S9_S9_EEEESB_EEENSN_IJSM_SM_EEESB_PlJNSF_9not_fun_tINSF_14equal_to_valueISA_EEEEEEE10hipError_tPvRmT3_T4_T5_T6_T7_T9_mT8_P12ihipStream_tbDpT10_ENKUlT_T0_E_clISt17integral_constantIbLb1EES1J_EEDaS1E_S1F_EUlS1E_E_NS1_11comp_targetILNS1_3genE4ELNS1_11target_archE910ELNS1_3gpuE8ELNS1_3repE0EEENS1_30default_config_static_selectorELNS0_4arch9wavefront6targetE0EEEvT1_,@function
_ZN7rocprim17ROCPRIM_400000_NS6detail17trampoline_kernelINS0_14default_configENS1_25partition_config_selectorILNS1_17partition_subalgoE6EN6thrust23THRUST_200600_302600_NS5tupleIiiNS7_9null_typeES9_S9_S9_S9_S9_S9_S9_EENS0_10empty_typeEbEEZZNS1_14partition_implILS5_6ELb0ES3_mNS7_12zip_iteratorINS8_INS7_6detail15normal_iteratorINS7_10device_ptrIiEEEESJ_S9_S9_S9_S9_S9_S9_S9_S9_EEEEPSB_SM_NS0_5tupleIJNSE_INS8_ISJ_NS7_16discard_iteratorINS7_11use_defaultEEES9_S9_S9_S9_S9_S9_S9_S9_EEEESB_EEENSN_IJSM_SM_EEESB_PlJNSF_9not_fun_tINSF_14equal_to_valueISA_EEEEEEE10hipError_tPvRmT3_T4_T5_T6_T7_T9_mT8_P12ihipStream_tbDpT10_ENKUlT_T0_E_clISt17integral_constantIbLb1EES1J_EEDaS1E_S1F_EUlS1E_E_NS1_11comp_targetILNS1_3genE4ELNS1_11target_archE910ELNS1_3gpuE8ELNS1_3repE0EEENS1_30default_config_static_selectorELNS0_4arch9wavefront6targetE0EEEvT1_: ; @_ZN7rocprim17ROCPRIM_400000_NS6detail17trampoline_kernelINS0_14default_configENS1_25partition_config_selectorILNS1_17partition_subalgoE6EN6thrust23THRUST_200600_302600_NS5tupleIiiNS7_9null_typeES9_S9_S9_S9_S9_S9_S9_EENS0_10empty_typeEbEEZZNS1_14partition_implILS5_6ELb0ES3_mNS7_12zip_iteratorINS8_INS7_6detail15normal_iteratorINS7_10device_ptrIiEEEESJ_S9_S9_S9_S9_S9_S9_S9_S9_EEEEPSB_SM_NS0_5tupleIJNSE_INS8_ISJ_NS7_16discard_iteratorINS7_11use_defaultEEES9_S9_S9_S9_S9_S9_S9_S9_EEEESB_EEENSN_IJSM_SM_EEESB_PlJNSF_9not_fun_tINSF_14equal_to_valueISA_EEEEEEE10hipError_tPvRmT3_T4_T5_T6_T7_T9_mT8_P12ihipStream_tbDpT10_ENKUlT_T0_E_clISt17integral_constantIbLb1EES1J_EEDaS1E_S1F_EUlS1E_E_NS1_11comp_targetILNS1_3genE4ELNS1_11target_archE910ELNS1_3gpuE8ELNS1_3repE0EEENS1_30default_config_static_selectorELNS0_4arch9wavefront6targetE0EEEvT1_
; %bb.0:
	.section	.rodata,"a",@progbits
	.p2align	6, 0x0
	.amdhsa_kernel _ZN7rocprim17ROCPRIM_400000_NS6detail17trampoline_kernelINS0_14default_configENS1_25partition_config_selectorILNS1_17partition_subalgoE6EN6thrust23THRUST_200600_302600_NS5tupleIiiNS7_9null_typeES9_S9_S9_S9_S9_S9_S9_EENS0_10empty_typeEbEEZZNS1_14partition_implILS5_6ELb0ES3_mNS7_12zip_iteratorINS8_INS7_6detail15normal_iteratorINS7_10device_ptrIiEEEESJ_S9_S9_S9_S9_S9_S9_S9_S9_EEEEPSB_SM_NS0_5tupleIJNSE_INS8_ISJ_NS7_16discard_iteratorINS7_11use_defaultEEES9_S9_S9_S9_S9_S9_S9_S9_EEEESB_EEENSN_IJSM_SM_EEESB_PlJNSF_9not_fun_tINSF_14equal_to_valueISA_EEEEEEE10hipError_tPvRmT3_T4_T5_T6_T7_T9_mT8_P12ihipStream_tbDpT10_ENKUlT_T0_E_clISt17integral_constantIbLb1EES1J_EEDaS1E_S1F_EUlS1E_E_NS1_11comp_targetILNS1_3genE4ELNS1_11target_archE910ELNS1_3gpuE8ELNS1_3repE0EEENS1_30default_config_static_selectorELNS0_4arch9wavefront6targetE0EEEvT1_
		.amdhsa_group_segment_fixed_size 0
		.amdhsa_private_segment_fixed_size 0
		.amdhsa_kernarg_size 152
		.amdhsa_user_sgpr_count 2
		.amdhsa_user_sgpr_dispatch_ptr 0
		.amdhsa_user_sgpr_queue_ptr 0
		.amdhsa_user_sgpr_kernarg_segment_ptr 1
		.amdhsa_user_sgpr_dispatch_id 0
		.amdhsa_user_sgpr_private_segment_size 0
		.amdhsa_wavefront_size32 1
		.amdhsa_uses_dynamic_stack 0
		.amdhsa_enable_private_segment 0
		.amdhsa_system_sgpr_workgroup_id_x 1
		.amdhsa_system_sgpr_workgroup_id_y 0
		.amdhsa_system_sgpr_workgroup_id_z 0
		.amdhsa_system_sgpr_workgroup_info 0
		.amdhsa_system_vgpr_workitem_id 0
		.amdhsa_next_free_vgpr 1
		.amdhsa_next_free_sgpr 1
		.amdhsa_reserve_vcc 0
		.amdhsa_float_round_mode_32 0
		.amdhsa_float_round_mode_16_64 0
		.amdhsa_float_denorm_mode_32 3
		.amdhsa_float_denorm_mode_16_64 3
		.amdhsa_fp16_overflow 0
		.amdhsa_workgroup_processor_mode 1
		.amdhsa_memory_ordered 1
		.amdhsa_forward_progress 1
		.amdhsa_inst_pref_size 0
		.amdhsa_round_robin_scheduling 0
		.amdhsa_exception_fp_ieee_invalid_op 0
		.amdhsa_exception_fp_denorm_src 0
		.amdhsa_exception_fp_ieee_div_zero 0
		.amdhsa_exception_fp_ieee_overflow 0
		.amdhsa_exception_fp_ieee_underflow 0
		.amdhsa_exception_fp_ieee_inexact 0
		.amdhsa_exception_int_div_zero 0
	.end_amdhsa_kernel
	.section	.text._ZN7rocprim17ROCPRIM_400000_NS6detail17trampoline_kernelINS0_14default_configENS1_25partition_config_selectorILNS1_17partition_subalgoE6EN6thrust23THRUST_200600_302600_NS5tupleIiiNS7_9null_typeES9_S9_S9_S9_S9_S9_S9_EENS0_10empty_typeEbEEZZNS1_14partition_implILS5_6ELb0ES3_mNS7_12zip_iteratorINS8_INS7_6detail15normal_iteratorINS7_10device_ptrIiEEEESJ_S9_S9_S9_S9_S9_S9_S9_S9_EEEEPSB_SM_NS0_5tupleIJNSE_INS8_ISJ_NS7_16discard_iteratorINS7_11use_defaultEEES9_S9_S9_S9_S9_S9_S9_S9_EEEESB_EEENSN_IJSM_SM_EEESB_PlJNSF_9not_fun_tINSF_14equal_to_valueISA_EEEEEEE10hipError_tPvRmT3_T4_T5_T6_T7_T9_mT8_P12ihipStream_tbDpT10_ENKUlT_T0_E_clISt17integral_constantIbLb1EES1J_EEDaS1E_S1F_EUlS1E_E_NS1_11comp_targetILNS1_3genE4ELNS1_11target_archE910ELNS1_3gpuE8ELNS1_3repE0EEENS1_30default_config_static_selectorELNS0_4arch9wavefront6targetE0EEEvT1_,"axG",@progbits,_ZN7rocprim17ROCPRIM_400000_NS6detail17trampoline_kernelINS0_14default_configENS1_25partition_config_selectorILNS1_17partition_subalgoE6EN6thrust23THRUST_200600_302600_NS5tupleIiiNS7_9null_typeES9_S9_S9_S9_S9_S9_S9_EENS0_10empty_typeEbEEZZNS1_14partition_implILS5_6ELb0ES3_mNS7_12zip_iteratorINS8_INS7_6detail15normal_iteratorINS7_10device_ptrIiEEEESJ_S9_S9_S9_S9_S9_S9_S9_S9_EEEEPSB_SM_NS0_5tupleIJNSE_INS8_ISJ_NS7_16discard_iteratorINS7_11use_defaultEEES9_S9_S9_S9_S9_S9_S9_S9_EEEESB_EEENSN_IJSM_SM_EEESB_PlJNSF_9not_fun_tINSF_14equal_to_valueISA_EEEEEEE10hipError_tPvRmT3_T4_T5_T6_T7_T9_mT8_P12ihipStream_tbDpT10_ENKUlT_T0_E_clISt17integral_constantIbLb1EES1J_EEDaS1E_S1F_EUlS1E_E_NS1_11comp_targetILNS1_3genE4ELNS1_11target_archE910ELNS1_3gpuE8ELNS1_3repE0EEENS1_30default_config_static_selectorELNS0_4arch9wavefront6targetE0EEEvT1_,comdat
.Lfunc_end2023:
	.size	_ZN7rocprim17ROCPRIM_400000_NS6detail17trampoline_kernelINS0_14default_configENS1_25partition_config_selectorILNS1_17partition_subalgoE6EN6thrust23THRUST_200600_302600_NS5tupleIiiNS7_9null_typeES9_S9_S9_S9_S9_S9_S9_EENS0_10empty_typeEbEEZZNS1_14partition_implILS5_6ELb0ES3_mNS7_12zip_iteratorINS8_INS7_6detail15normal_iteratorINS7_10device_ptrIiEEEESJ_S9_S9_S9_S9_S9_S9_S9_S9_EEEEPSB_SM_NS0_5tupleIJNSE_INS8_ISJ_NS7_16discard_iteratorINS7_11use_defaultEEES9_S9_S9_S9_S9_S9_S9_S9_EEEESB_EEENSN_IJSM_SM_EEESB_PlJNSF_9not_fun_tINSF_14equal_to_valueISA_EEEEEEE10hipError_tPvRmT3_T4_T5_T6_T7_T9_mT8_P12ihipStream_tbDpT10_ENKUlT_T0_E_clISt17integral_constantIbLb1EES1J_EEDaS1E_S1F_EUlS1E_E_NS1_11comp_targetILNS1_3genE4ELNS1_11target_archE910ELNS1_3gpuE8ELNS1_3repE0EEENS1_30default_config_static_selectorELNS0_4arch9wavefront6targetE0EEEvT1_, .Lfunc_end2023-_ZN7rocprim17ROCPRIM_400000_NS6detail17trampoline_kernelINS0_14default_configENS1_25partition_config_selectorILNS1_17partition_subalgoE6EN6thrust23THRUST_200600_302600_NS5tupleIiiNS7_9null_typeES9_S9_S9_S9_S9_S9_S9_EENS0_10empty_typeEbEEZZNS1_14partition_implILS5_6ELb0ES3_mNS7_12zip_iteratorINS8_INS7_6detail15normal_iteratorINS7_10device_ptrIiEEEESJ_S9_S9_S9_S9_S9_S9_S9_S9_EEEEPSB_SM_NS0_5tupleIJNSE_INS8_ISJ_NS7_16discard_iteratorINS7_11use_defaultEEES9_S9_S9_S9_S9_S9_S9_S9_EEEESB_EEENSN_IJSM_SM_EEESB_PlJNSF_9not_fun_tINSF_14equal_to_valueISA_EEEEEEE10hipError_tPvRmT3_T4_T5_T6_T7_T9_mT8_P12ihipStream_tbDpT10_ENKUlT_T0_E_clISt17integral_constantIbLb1EES1J_EEDaS1E_S1F_EUlS1E_E_NS1_11comp_targetILNS1_3genE4ELNS1_11target_archE910ELNS1_3gpuE8ELNS1_3repE0EEENS1_30default_config_static_selectorELNS0_4arch9wavefront6targetE0EEEvT1_
                                        ; -- End function
	.set _ZN7rocprim17ROCPRIM_400000_NS6detail17trampoline_kernelINS0_14default_configENS1_25partition_config_selectorILNS1_17partition_subalgoE6EN6thrust23THRUST_200600_302600_NS5tupleIiiNS7_9null_typeES9_S9_S9_S9_S9_S9_S9_EENS0_10empty_typeEbEEZZNS1_14partition_implILS5_6ELb0ES3_mNS7_12zip_iteratorINS8_INS7_6detail15normal_iteratorINS7_10device_ptrIiEEEESJ_S9_S9_S9_S9_S9_S9_S9_S9_EEEEPSB_SM_NS0_5tupleIJNSE_INS8_ISJ_NS7_16discard_iteratorINS7_11use_defaultEEES9_S9_S9_S9_S9_S9_S9_S9_EEEESB_EEENSN_IJSM_SM_EEESB_PlJNSF_9not_fun_tINSF_14equal_to_valueISA_EEEEEEE10hipError_tPvRmT3_T4_T5_T6_T7_T9_mT8_P12ihipStream_tbDpT10_ENKUlT_T0_E_clISt17integral_constantIbLb1EES1J_EEDaS1E_S1F_EUlS1E_E_NS1_11comp_targetILNS1_3genE4ELNS1_11target_archE910ELNS1_3gpuE8ELNS1_3repE0EEENS1_30default_config_static_selectorELNS0_4arch9wavefront6targetE0EEEvT1_.num_vgpr, 0
	.set _ZN7rocprim17ROCPRIM_400000_NS6detail17trampoline_kernelINS0_14default_configENS1_25partition_config_selectorILNS1_17partition_subalgoE6EN6thrust23THRUST_200600_302600_NS5tupleIiiNS7_9null_typeES9_S9_S9_S9_S9_S9_S9_EENS0_10empty_typeEbEEZZNS1_14partition_implILS5_6ELb0ES3_mNS7_12zip_iteratorINS8_INS7_6detail15normal_iteratorINS7_10device_ptrIiEEEESJ_S9_S9_S9_S9_S9_S9_S9_S9_EEEEPSB_SM_NS0_5tupleIJNSE_INS8_ISJ_NS7_16discard_iteratorINS7_11use_defaultEEES9_S9_S9_S9_S9_S9_S9_S9_EEEESB_EEENSN_IJSM_SM_EEESB_PlJNSF_9not_fun_tINSF_14equal_to_valueISA_EEEEEEE10hipError_tPvRmT3_T4_T5_T6_T7_T9_mT8_P12ihipStream_tbDpT10_ENKUlT_T0_E_clISt17integral_constantIbLb1EES1J_EEDaS1E_S1F_EUlS1E_E_NS1_11comp_targetILNS1_3genE4ELNS1_11target_archE910ELNS1_3gpuE8ELNS1_3repE0EEENS1_30default_config_static_selectorELNS0_4arch9wavefront6targetE0EEEvT1_.num_agpr, 0
	.set _ZN7rocprim17ROCPRIM_400000_NS6detail17trampoline_kernelINS0_14default_configENS1_25partition_config_selectorILNS1_17partition_subalgoE6EN6thrust23THRUST_200600_302600_NS5tupleIiiNS7_9null_typeES9_S9_S9_S9_S9_S9_S9_EENS0_10empty_typeEbEEZZNS1_14partition_implILS5_6ELb0ES3_mNS7_12zip_iteratorINS8_INS7_6detail15normal_iteratorINS7_10device_ptrIiEEEESJ_S9_S9_S9_S9_S9_S9_S9_S9_EEEEPSB_SM_NS0_5tupleIJNSE_INS8_ISJ_NS7_16discard_iteratorINS7_11use_defaultEEES9_S9_S9_S9_S9_S9_S9_S9_EEEESB_EEENSN_IJSM_SM_EEESB_PlJNSF_9not_fun_tINSF_14equal_to_valueISA_EEEEEEE10hipError_tPvRmT3_T4_T5_T6_T7_T9_mT8_P12ihipStream_tbDpT10_ENKUlT_T0_E_clISt17integral_constantIbLb1EES1J_EEDaS1E_S1F_EUlS1E_E_NS1_11comp_targetILNS1_3genE4ELNS1_11target_archE910ELNS1_3gpuE8ELNS1_3repE0EEENS1_30default_config_static_selectorELNS0_4arch9wavefront6targetE0EEEvT1_.numbered_sgpr, 0
	.set _ZN7rocprim17ROCPRIM_400000_NS6detail17trampoline_kernelINS0_14default_configENS1_25partition_config_selectorILNS1_17partition_subalgoE6EN6thrust23THRUST_200600_302600_NS5tupleIiiNS7_9null_typeES9_S9_S9_S9_S9_S9_S9_EENS0_10empty_typeEbEEZZNS1_14partition_implILS5_6ELb0ES3_mNS7_12zip_iteratorINS8_INS7_6detail15normal_iteratorINS7_10device_ptrIiEEEESJ_S9_S9_S9_S9_S9_S9_S9_S9_EEEEPSB_SM_NS0_5tupleIJNSE_INS8_ISJ_NS7_16discard_iteratorINS7_11use_defaultEEES9_S9_S9_S9_S9_S9_S9_S9_EEEESB_EEENSN_IJSM_SM_EEESB_PlJNSF_9not_fun_tINSF_14equal_to_valueISA_EEEEEEE10hipError_tPvRmT3_T4_T5_T6_T7_T9_mT8_P12ihipStream_tbDpT10_ENKUlT_T0_E_clISt17integral_constantIbLb1EES1J_EEDaS1E_S1F_EUlS1E_E_NS1_11comp_targetILNS1_3genE4ELNS1_11target_archE910ELNS1_3gpuE8ELNS1_3repE0EEENS1_30default_config_static_selectorELNS0_4arch9wavefront6targetE0EEEvT1_.num_named_barrier, 0
	.set _ZN7rocprim17ROCPRIM_400000_NS6detail17trampoline_kernelINS0_14default_configENS1_25partition_config_selectorILNS1_17partition_subalgoE6EN6thrust23THRUST_200600_302600_NS5tupleIiiNS7_9null_typeES9_S9_S9_S9_S9_S9_S9_EENS0_10empty_typeEbEEZZNS1_14partition_implILS5_6ELb0ES3_mNS7_12zip_iteratorINS8_INS7_6detail15normal_iteratorINS7_10device_ptrIiEEEESJ_S9_S9_S9_S9_S9_S9_S9_S9_EEEEPSB_SM_NS0_5tupleIJNSE_INS8_ISJ_NS7_16discard_iteratorINS7_11use_defaultEEES9_S9_S9_S9_S9_S9_S9_S9_EEEESB_EEENSN_IJSM_SM_EEESB_PlJNSF_9not_fun_tINSF_14equal_to_valueISA_EEEEEEE10hipError_tPvRmT3_T4_T5_T6_T7_T9_mT8_P12ihipStream_tbDpT10_ENKUlT_T0_E_clISt17integral_constantIbLb1EES1J_EEDaS1E_S1F_EUlS1E_E_NS1_11comp_targetILNS1_3genE4ELNS1_11target_archE910ELNS1_3gpuE8ELNS1_3repE0EEENS1_30default_config_static_selectorELNS0_4arch9wavefront6targetE0EEEvT1_.private_seg_size, 0
	.set _ZN7rocprim17ROCPRIM_400000_NS6detail17trampoline_kernelINS0_14default_configENS1_25partition_config_selectorILNS1_17partition_subalgoE6EN6thrust23THRUST_200600_302600_NS5tupleIiiNS7_9null_typeES9_S9_S9_S9_S9_S9_S9_EENS0_10empty_typeEbEEZZNS1_14partition_implILS5_6ELb0ES3_mNS7_12zip_iteratorINS8_INS7_6detail15normal_iteratorINS7_10device_ptrIiEEEESJ_S9_S9_S9_S9_S9_S9_S9_S9_EEEEPSB_SM_NS0_5tupleIJNSE_INS8_ISJ_NS7_16discard_iteratorINS7_11use_defaultEEES9_S9_S9_S9_S9_S9_S9_S9_EEEESB_EEENSN_IJSM_SM_EEESB_PlJNSF_9not_fun_tINSF_14equal_to_valueISA_EEEEEEE10hipError_tPvRmT3_T4_T5_T6_T7_T9_mT8_P12ihipStream_tbDpT10_ENKUlT_T0_E_clISt17integral_constantIbLb1EES1J_EEDaS1E_S1F_EUlS1E_E_NS1_11comp_targetILNS1_3genE4ELNS1_11target_archE910ELNS1_3gpuE8ELNS1_3repE0EEENS1_30default_config_static_selectorELNS0_4arch9wavefront6targetE0EEEvT1_.uses_vcc, 0
	.set _ZN7rocprim17ROCPRIM_400000_NS6detail17trampoline_kernelINS0_14default_configENS1_25partition_config_selectorILNS1_17partition_subalgoE6EN6thrust23THRUST_200600_302600_NS5tupleIiiNS7_9null_typeES9_S9_S9_S9_S9_S9_S9_EENS0_10empty_typeEbEEZZNS1_14partition_implILS5_6ELb0ES3_mNS7_12zip_iteratorINS8_INS7_6detail15normal_iteratorINS7_10device_ptrIiEEEESJ_S9_S9_S9_S9_S9_S9_S9_S9_EEEEPSB_SM_NS0_5tupleIJNSE_INS8_ISJ_NS7_16discard_iteratorINS7_11use_defaultEEES9_S9_S9_S9_S9_S9_S9_S9_EEEESB_EEENSN_IJSM_SM_EEESB_PlJNSF_9not_fun_tINSF_14equal_to_valueISA_EEEEEEE10hipError_tPvRmT3_T4_T5_T6_T7_T9_mT8_P12ihipStream_tbDpT10_ENKUlT_T0_E_clISt17integral_constantIbLb1EES1J_EEDaS1E_S1F_EUlS1E_E_NS1_11comp_targetILNS1_3genE4ELNS1_11target_archE910ELNS1_3gpuE8ELNS1_3repE0EEENS1_30default_config_static_selectorELNS0_4arch9wavefront6targetE0EEEvT1_.uses_flat_scratch, 0
	.set _ZN7rocprim17ROCPRIM_400000_NS6detail17trampoline_kernelINS0_14default_configENS1_25partition_config_selectorILNS1_17partition_subalgoE6EN6thrust23THRUST_200600_302600_NS5tupleIiiNS7_9null_typeES9_S9_S9_S9_S9_S9_S9_EENS0_10empty_typeEbEEZZNS1_14partition_implILS5_6ELb0ES3_mNS7_12zip_iteratorINS8_INS7_6detail15normal_iteratorINS7_10device_ptrIiEEEESJ_S9_S9_S9_S9_S9_S9_S9_S9_EEEEPSB_SM_NS0_5tupleIJNSE_INS8_ISJ_NS7_16discard_iteratorINS7_11use_defaultEEES9_S9_S9_S9_S9_S9_S9_S9_EEEESB_EEENSN_IJSM_SM_EEESB_PlJNSF_9not_fun_tINSF_14equal_to_valueISA_EEEEEEE10hipError_tPvRmT3_T4_T5_T6_T7_T9_mT8_P12ihipStream_tbDpT10_ENKUlT_T0_E_clISt17integral_constantIbLb1EES1J_EEDaS1E_S1F_EUlS1E_E_NS1_11comp_targetILNS1_3genE4ELNS1_11target_archE910ELNS1_3gpuE8ELNS1_3repE0EEENS1_30default_config_static_selectorELNS0_4arch9wavefront6targetE0EEEvT1_.has_dyn_sized_stack, 0
	.set _ZN7rocprim17ROCPRIM_400000_NS6detail17trampoline_kernelINS0_14default_configENS1_25partition_config_selectorILNS1_17partition_subalgoE6EN6thrust23THRUST_200600_302600_NS5tupleIiiNS7_9null_typeES9_S9_S9_S9_S9_S9_S9_EENS0_10empty_typeEbEEZZNS1_14partition_implILS5_6ELb0ES3_mNS7_12zip_iteratorINS8_INS7_6detail15normal_iteratorINS7_10device_ptrIiEEEESJ_S9_S9_S9_S9_S9_S9_S9_S9_EEEEPSB_SM_NS0_5tupleIJNSE_INS8_ISJ_NS7_16discard_iteratorINS7_11use_defaultEEES9_S9_S9_S9_S9_S9_S9_S9_EEEESB_EEENSN_IJSM_SM_EEESB_PlJNSF_9not_fun_tINSF_14equal_to_valueISA_EEEEEEE10hipError_tPvRmT3_T4_T5_T6_T7_T9_mT8_P12ihipStream_tbDpT10_ENKUlT_T0_E_clISt17integral_constantIbLb1EES1J_EEDaS1E_S1F_EUlS1E_E_NS1_11comp_targetILNS1_3genE4ELNS1_11target_archE910ELNS1_3gpuE8ELNS1_3repE0EEENS1_30default_config_static_selectorELNS0_4arch9wavefront6targetE0EEEvT1_.has_recursion, 0
	.set _ZN7rocprim17ROCPRIM_400000_NS6detail17trampoline_kernelINS0_14default_configENS1_25partition_config_selectorILNS1_17partition_subalgoE6EN6thrust23THRUST_200600_302600_NS5tupleIiiNS7_9null_typeES9_S9_S9_S9_S9_S9_S9_EENS0_10empty_typeEbEEZZNS1_14partition_implILS5_6ELb0ES3_mNS7_12zip_iteratorINS8_INS7_6detail15normal_iteratorINS7_10device_ptrIiEEEESJ_S9_S9_S9_S9_S9_S9_S9_S9_EEEEPSB_SM_NS0_5tupleIJNSE_INS8_ISJ_NS7_16discard_iteratorINS7_11use_defaultEEES9_S9_S9_S9_S9_S9_S9_S9_EEEESB_EEENSN_IJSM_SM_EEESB_PlJNSF_9not_fun_tINSF_14equal_to_valueISA_EEEEEEE10hipError_tPvRmT3_T4_T5_T6_T7_T9_mT8_P12ihipStream_tbDpT10_ENKUlT_T0_E_clISt17integral_constantIbLb1EES1J_EEDaS1E_S1F_EUlS1E_E_NS1_11comp_targetILNS1_3genE4ELNS1_11target_archE910ELNS1_3gpuE8ELNS1_3repE0EEENS1_30default_config_static_selectorELNS0_4arch9wavefront6targetE0EEEvT1_.has_indirect_call, 0
	.section	.AMDGPU.csdata,"",@progbits
; Kernel info:
; codeLenInByte = 0
; TotalNumSgprs: 0
; NumVgprs: 0
; ScratchSize: 0
; MemoryBound: 0
; FloatMode: 240
; IeeeMode: 1
; LDSByteSize: 0 bytes/workgroup (compile time only)
; SGPRBlocks: 0
; VGPRBlocks: 0
; NumSGPRsForWavesPerEU: 1
; NumVGPRsForWavesPerEU: 1
; Occupancy: 16
; WaveLimiterHint : 0
; COMPUTE_PGM_RSRC2:SCRATCH_EN: 0
; COMPUTE_PGM_RSRC2:USER_SGPR: 2
; COMPUTE_PGM_RSRC2:TRAP_HANDLER: 0
; COMPUTE_PGM_RSRC2:TGID_X_EN: 1
; COMPUTE_PGM_RSRC2:TGID_Y_EN: 0
; COMPUTE_PGM_RSRC2:TGID_Z_EN: 0
; COMPUTE_PGM_RSRC2:TIDIG_COMP_CNT: 0
	.section	.text._ZN7rocprim17ROCPRIM_400000_NS6detail17trampoline_kernelINS0_14default_configENS1_25partition_config_selectorILNS1_17partition_subalgoE6EN6thrust23THRUST_200600_302600_NS5tupleIiiNS7_9null_typeES9_S9_S9_S9_S9_S9_S9_EENS0_10empty_typeEbEEZZNS1_14partition_implILS5_6ELb0ES3_mNS7_12zip_iteratorINS8_INS7_6detail15normal_iteratorINS7_10device_ptrIiEEEESJ_S9_S9_S9_S9_S9_S9_S9_S9_EEEEPSB_SM_NS0_5tupleIJNSE_INS8_ISJ_NS7_16discard_iteratorINS7_11use_defaultEEES9_S9_S9_S9_S9_S9_S9_S9_EEEESB_EEENSN_IJSM_SM_EEESB_PlJNSF_9not_fun_tINSF_14equal_to_valueISA_EEEEEEE10hipError_tPvRmT3_T4_T5_T6_T7_T9_mT8_P12ihipStream_tbDpT10_ENKUlT_T0_E_clISt17integral_constantIbLb1EES1J_EEDaS1E_S1F_EUlS1E_E_NS1_11comp_targetILNS1_3genE3ELNS1_11target_archE908ELNS1_3gpuE7ELNS1_3repE0EEENS1_30default_config_static_selectorELNS0_4arch9wavefront6targetE0EEEvT1_,"axG",@progbits,_ZN7rocprim17ROCPRIM_400000_NS6detail17trampoline_kernelINS0_14default_configENS1_25partition_config_selectorILNS1_17partition_subalgoE6EN6thrust23THRUST_200600_302600_NS5tupleIiiNS7_9null_typeES9_S9_S9_S9_S9_S9_S9_EENS0_10empty_typeEbEEZZNS1_14partition_implILS5_6ELb0ES3_mNS7_12zip_iteratorINS8_INS7_6detail15normal_iteratorINS7_10device_ptrIiEEEESJ_S9_S9_S9_S9_S9_S9_S9_S9_EEEEPSB_SM_NS0_5tupleIJNSE_INS8_ISJ_NS7_16discard_iteratorINS7_11use_defaultEEES9_S9_S9_S9_S9_S9_S9_S9_EEEESB_EEENSN_IJSM_SM_EEESB_PlJNSF_9not_fun_tINSF_14equal_to_valueISA_EEEEEEE10hipError_tPvRmT3_T4_T5_T6_T7_T9_mT8_P12ihipStream_tbDpT10_ENKUlT_T0_E_clISt17integral_constantIbLb1EES1J_EEDaS1E_S1F_EUlS1E_E_NS1_11comp_targetILNS1_3genE3ELNS1_11target_archE908ELNS1_3gpuE7ELNS1_3repE0EEENS1_30default_config_static_selectorELNS0_4arch9wavefront6targetE0EEEvT1_,comdat
	.protected	_ZN7rocprim17ROCPRIM_400000_NS6detail17trampoline_kernelINS0_14default_configENS1_25partition_config_selectorILNS1_17partition_subalgoE6EN6thrust23THRUST_200600_302600_NS5tupleIiiNS7_9null_typeES9_S9_S9_S9_S9_S9_S9_EENS0_10empty_typeEbEEZZNS1_14partition_implILS5_6ELb0ES3_mNS7_12zip_iteratorINS8_INS7_6detail15normal_iteratorINS7_10device_ptrIiEEEESJ_S9_S9_S9_S9_S9_S9_S9_S9_EEEEPSB_SM_NS0_5tupleIJNSE_INS8_ISJ_NS7_16discard_iteratorINS7_11use_defaultEEES9_S9_S9_S9_S9_S9_S9_S9_EEEESB_EEENSN_IJSM_SM_EEESB_PlJNSF_9not_fun_tINSF_14equal_to_valueISA_EEEEEEE10hipError_tPvRmT3_T4_T5_T6_T7_T9_mT8_P12ihipStream_tbDpT10_ENKUlT_T0_E_clISt17integral_constantIbLb1EES1J_EEDaS1E_S1F_EUlS1E_E_NS1_11comp_targetILNS1_3genE3ELNS1_11target_archE908ELNS1_3gpuE7ELNS1_3repE0EEENS1_30default_config_static_selectorELNS0_4arch9wavefront6targetE0EEEvT1_ ; -- Begin function _ZN7rocprim17ROCPRIM_400000_NS6detail17trampoline_kernelINS0_14default_configENS1_25partition_config_selectorILNS1_17partition_subalgoE6EN6thrust23THRUST_200600_302600_NS5tupleIiiNS7_9null_typeES9_S9_S9_S9_S9_S9_S9_EENS0_10empty_typeEbEEZZNS1_14partition_implILS5_6ELb0ES3_mNS7_12zip_iteratorINS8_INS7_6detail15normal_iteratorINS7_10device_ptrIiEEEESJ_S9_S9_S9_S9_S9_S9_S9_S9_EEEEPSB_SM_NS0_5tupleIJNSE_INS8_ISJ_NS7_16discard_iteratorINS7_11use_defaultEEES9_S9_S9_S9_S9_S9_S9_S9_EEEESB_EEENSN_IJSM_SM_EEESB_PlJNSF_9not_fun_tINSF_14equal_to_valueISA_EEEEEEE10hipError_tPvRmT3_T4_T5_T6_T7_T9_mT8_P12ihipStream_tbDpT10_ENKUlT_T0_E_clISt17integral_constantIbLb1EES1J_EEDaS1E_S1F_EUlS1E_E_NS1_11comp_targetILNS1_3genE3ELNS1_11target_archE908ELNS1_3gpuE7ELNS1_3repE0EEENS1_30default_config_static_selectorELNS0_4arch9wavefront6targetE0EEEvT1_
	.globl	_ZN7rocprim17ROCPRIM_400000_NS6detail17trampoline_kernelINS0_14default_configENS1_25partition_config_selectorILNS1_17partition_subalgoE6EN6thrust23THRUST_200600_302600_NS5tupleIiiNS7_9null_typeES9_S9_S9_S9_S9_S9_S9_EENS0_10empty_typeEbEEZZNS1_14partition_implILS5_6ELb0ES3_mNS7_12zip_iteratorINS8_INS7_6detail15normal_iteratorINS7_10device_ptrIiEEEESJ_S9_S9_S9_S9_S9_S9_S9_S9_EEEEPSB_SM_NS0_5tupleIJNSE_INS8_ISJ_NS7_16discard_iteratorINS7_11use_defaultEEES9_S9_S9_S9_S9_S9_S9_S9_EEEESB_EEENSN_IJSM_SM_EEESB_PlJNSF_9not_fun_tINSF_14equal_to_valueISA_EEEEEEE10hipError_tPvRmT3_T4_T5_T6_T7_T9_mT8_P12ihipStream_tbDpT10_ENKUlT_T0_E_clISt17integral_constantIbLb1EES1J_EEDaS1E_S1F_EUlS1E_E_NS1_11comp_targetILNS1_3genE3ELNS1_11target_archE908ELNS1_3gpuE7ELNS1_3repE0EEENS1_30default_config_static_selectorELNS0_4arch9wavefront6targetE0EEEvT1_
	.p2align	8
	.type	_ZN7rocprim17ROCPRIM_400000_NS6detail17trampoline_kernelINS0_14default_configENS1_25partition_config_selectorILNS1_17partition_subalgoE6EN6thrust23THRUST_200600_302600_NS5tupleIiiNS7_9null_typeES9_S9_S9_S9_S9_S9_S9_EENS0_10empty_typeEbEEZZNS1_14partition_implILS5_6ELb0ES3_mNS7_12zip_iteratorINS8_INS7_6detail15normal_iteratorINS7_10device_ptrIiEEEESJ_S9_S9_S9_S9_S9_S9_S9_S9_EEEEPSB_SM_NS0_5tupleIJNSE_INS8_ISJ_NS7_16discard_iteratorINS7_11use_defaultEEES9_S9_S9_S9_S9_S9_S9_S9_EEEESB_EEENSN_IJSM_SM_EEESB_PlJNSF_9not_fun_tINSF_14equal_to_valueISA_EEEEEEE10hipError_tPvRmT3_T4_T5_T6_T7_T9_mT8_P12ihipStream_tbDpT10_ENKUlT_T0_E_clISt17integral_constantIbLb1EES1J_EEDaS1E_S1F_EUlS1E_E_NS1_11comp_targetILNS1_3genE3ELNS1_11target_archE908ELNS1_3gpuE7ELNS1_3repE0EEENS1_30default_config_static_selectorELNS0_4arch9wavefront6targetE0EEEvT1_,@function
_ZN7rocprim17ROCPRIM_400000_NS6detail17trampoline_kernelINS0_14default_configENS1_25partition_config_selectorILNS1_17partition_subalgoE6EN6thrust23THRUST_200600_302600_NS5tupleIiiNS7_9null_typeES9_S9_S9_S9_S9_S9_S9_EENS0_10empty_typeEbEEZZNS1_14partition_implILS5_6ELb0ES3_mNS7_12zip_iteratorINS8_INS7_6detail15normal_iteratorINS7_10device_ptrIiEEEESJ_S9_S9_S9_S9_S9_S9_S9_S9_EEEEPSB_SM_NS0_5tupleIJNSE_INS8_ISJ_NS7_16discard_iteratorINS7_11use_defaultEEES9_S9_S9_S9_S9_S9_S9_S9_EEEESB_EEENSN_IJSM_SM_EEESB_PlJNSF_9not_fun_tINSF_14equal_to_valueISA_EEEEEEE10hipError_tPvRmT3_T4_T5_T6_T7_T9_mT8_P12ihipStream_tbDpT10_ENKUlT_T0_E_clISt17integral_constantIbLb1EES1J_EEDaS1E_S1F_EUlS1E_E_NS1_11comp_targetILNS1_3genE3ELNS1_11target_archE908ELNS1_3gpuE7ELNS1_3repE0EEENS1_30default_config_static_selectorELNS0_4arch9wavefront6targetE0EEEvT1_: ; @_ZN7rocprim17ROCPRIM_400000_NS6detail17trampoline_kernelINS0_14default_configENS1_25partition_config_selectorILNS1_17partition_subalgoE6EN6thrust23THRUST_200600_302600_NS5tupleIiiNS7_9null_typeES9_S9_S9_S9_S9_S9_S9_EENS0_10empty_typeEbEEZZNS1_14partition_implILS5_6ELb0ES3_mNS7_12zip_iteratorINS8_INS7_6detail15normal_iteratorINS7_10device_ptrIiEEEESJ_S9_S9_S9_S9_S9_S9_S9_S9_EEEEPSB_SM_NS0_5tupleIJNSE_INS8_ISJ_NS7_16discard_iteratorINS7_11use_defaultEEES9_S9_S9_S9_S9_S9_S9_S9_EEEESB_EEENSN_IJSM_SM_EEESB_PlJNSF_9not_fun_tINSF_14equal_to_valueISA_EEEEEEE10hipError_tPvRmT3_T4_T5_T6_T7_T9_mT8_P12ihipStream_tbDpT10_ENKUlT_T0_E_clISt17integral_constantIbLb1EES1J_EEDaS1E_S1F_EUlS1E_E_NS1_11comp_targetILNS1_3genE3ELNS1_11target_archE908ELNS1_3gpuE7ELNS1_3repE0EEENS1_30default_config_static_selectorELNS0_4arch9wavefront6targetE0EEEvT1_
; %bb.0:
	.section	.rodata,"a",@progbits
	.p2align	6, 0x0
	.amdhsa_kernel _ZN7rocprim17ROCPRIM_400000_NS6detail17trampoline_kernelINS0_14default_configENS1_25partition_config_selectorILNS1_17partition_subalgoE6EN6thrust23THRUST_200600_302600_NS5tupleIiiNS7_9null_typeES9_S9_S9_S9_S9_S9_S9_EENS0_10empty_typeEbEEZZNS1_14partition_implILS5_6ELb0ES3_mNS7_12zip_iteratorINS8_INS7_6detail15normal_iteratorINS7_10device_ptrIiEEEESJ_S9_S9_S9_S9_S9_S9_S9_S9_EEEEPSB_SM_NS0_5tupleIJNSE_INS8_ISJ_NS7_16discard_iteratorINS7_11use_defaultEEES9_S9_S9_S9_S9_S9_S9_S9_EEEESB_EEENSN_IJSM_SM_EEESB_PlJNSF_9not_fun_tINSF_14equal_to_valueISA_EEEEEEE10hipError_tPvRmT3_T4_T5_T6_T7_T9_mT8_P12ihipStream_tbDpT10_ENKUlT_T0_E_clISt17integral_constantIbLb1EES1J_EEDaS1E_S1F_EUlS1E_E_NS1_11comp_targetILNS1_3genE3ELNS1_11target_archE908ELNS1_3gpuE7ELNS1_3repE0EEENS1_30default_config_static_selectorELNS0_4arch9wavefront6targetE0EEEvT1_
		.amdhsa_group_segment_fixed_size 0
		.amdhsa_private_segment_fixed_size 0
		.amdhsa_kernarg_size 152
		.amdhsa_user_sgpr_count 2
		.amdhsa_user_sgpr_dispatch_ptr 0
		.amdhsa_user_sgpr_queue_ptr 0
		.amdhsa_user_sgpr_kernarg_segment_ptr 1
		.amdhsa_user_sgpr_dispatch_id 0
		.amdhsa_user_sgpr_private_segment_size 0
		.amdhsa_wavefront_size32 1
		.amdhsa_uses_dynamic_stack 0
		.amdhsa_enable_private_segment 0
		.amdhsa_system_sgpr_workgroup_id_x 1
		.amdhsa_system_sgpr_workgroup_id_y 0
		.amdhsa_system_sgpr_workgroup_id_z 0
		.amdhsa_system_sgpr_workgroup_info 0
		.amdhsa_system_vgpr_workitem_id 0
		.amdhsa_next_free_vgpr 1
		.amdhsa_next_free_sgpr 1
		.amdhsa_reserve_vcc 0
		.amdhsa_float_round_mode_32 0
		.amdhsa_float_round_mode_16_64 0
		.amdhsa_float_denorm_mode_32 3
		.amdhsa_float_denorm_mode_16_64 3
		.amdhsa_fp16_overflow 0
		.amdhsa_workgroup_processor_mode 1
		.amdhsa_memory_ordered 1
		.amdhsa_forward_progress 1
		.amdhsa_inst_pref_size 0
		.amdhsa_round_robin_scheduling 0
		.amdhsa_exception_fp_ieee_invalid_op 0
		.amdhsa_exception_fp_denorm_src 0
		.amdhsa_exception_fp_ieee_div_zero 0
		.amdhsa_exception_fp_ieee_overflow 0
		.amdhsa_exception_fp_ieee_underflow 0
		.amdhsa_exception_fp_ieee_inexact 0
		.amdhsa_exception_int_div_zero 0
	.end_amdhsa_kernel
	.section	.text._ZN7rocprim17ROCPRIM_400000_NS6detail17trampoline_kernelINS0_14default_configENS1_25partition_config_selectorILNS1_17partition_subalgoE6EN6thrust23THRUST_200600_302600_NS5tupleIiiNS7_9null_typeES9_S9_S9_S9_S9_S9_S9_EENS0_10empty_typeEbEEZZNS1_14partition_implILS5_6ELb0ES3_mNS7_12zip_iteratorINS8_INS7_6detail15normal_iteratorINS7_10device_ptrIiEEEESJ_S9_S9_S9_S9_S9_S9_S9_S9_EEEEPSB_SM_NS0_5tupleIJNSE_INS8_ISJ_NS7_16discard_iteratorINS7_11use_defaultEEES9_S9_S9_S9_S9_S9_S9_S9_EEEESB_EEENSN_IJSM_SM_EEESB_PlJNSF_9not_fun_tINSF_14equal_to_valueISA_EEEEEEE10hipError_tPvRmT3_T4_T5_T6_T7_T9_mT8_P12ihipStream_tbDpT10_ENKUlT_T0_E_clISt17integral_constantIbLb1EES1J_EEDaS1E_S1F_EUlS1E_E_NS1_11comp_targetILNS1_3genE3ELNS1_11target_archE908ELNS1_3gpuE7ELNS1_3repE0EEENS1_30default_config_static_selectorELNS0_4arch9wavefront6targetE0EEEvT1_,"axG",@progbits,_ZN7rocprim17ROCPRIM_400000_NS6detail17trampoline_kernelINS0_14default_configENS1_25partition_config_selectorILNS1_17partition_subalgoE6EN6thrust23THRUST_200600_302600_NS5tupleIiiNS7_9null_typeES9_S9_S9_S9_S9_S9_S9_EENS0_10empty_typeEbEEZZNS1_14partition_implILS5_6ELb0ES3_mNS7_12zip_iteratorINS8_INS7_6detail15normal_iteratorINS7_10device_ptrIiEEEESJ_S9_S9_S9_S9_S9_S9_S9_S9_EEEEPSB_SM_NS0_5tupleIJNSE_INS8_ISJ_NS7_16discard_iteratorINS7_11use_defaultEEES9_S9_S9_S9_S9_S9_S9_S9_EEEESB_EEENSN_IJSM_SM_EEESB_PlJNSF_9not_fun_tINSF_14equal_to_valueISA_EEEEEEE10hipError_tPvRmT3_T4_T5_T6_T7_T9_mT8_P12ihipStream_tbDpT10_ENKUlT_T0_E_clISt17integral_constantIbLb1EES1J_EEDaS1E_S1F_EUlS1E_E_NS1_11comp_targetILNS1_3genE3ELNS1_11target_archE908ELNS1_3gpuE7ELNS1_3repE0EEENS1_30default_config_static_selectorELNS0_4arch9wavefront6targetE0EEEvT1_,comdat
.Lfunc_end2024:
	.size	_ZN7rocprim17ROCPRIM_400000_NS6detail17trampoline_kernelINS0_14default_configENS1_25partition_config_selectorILNS1_17partition_subalgoE6EN6thrust23THRUST_200600_302600_NS5tupleIiiNS7_9null_typeES9_S9_S9_S9_S9_S9_S9_EENS0_10empty_typeEbEEZZNS1_14partition_implILS5_6ELb0ES3_mNS7_12zip_iteratorINS8_INS7_6detail15normal_iteratorINS7_10device_ptrIiEEEESJ_S9_S9_S9_S9_S9_S9_S9_S9_EEEEPSB_SM_NS0_5tupleIJNSE_INS8_ISJ_NS7_16discard_iteratorINS7_11use_defaultEEES9_S9_S9_S9_S9_S9_S9_S9_EEEESB_EEENSN_IJSM_SM_EEESB_PlJNSF_9not_fun_tINSF_14equal_to_valueISA_EEEEEEE10hipError_tPvRmT3_T4_T5_T6_T7_T9_mT8_P12ihipStream_tbDpT10_ENKUlT_T0_E_clISt17integral_constantIbLb1EES1J_EEDaS1E_S1F_EUlS1E_E_NS1_11comp_targetILNS1_3genE3ELNS1_11target_archE908ELNS1_3gpuE7ELNS1_3repE0EEENS1_30default_config_static_selectorELNS0_4arch9wavefront6targetE0EEEvT1_, .Lfunc_end2024-_ZN7rocprim17ROCPRIM_400000_NS6detail17trampoline_kernelINS0_14default_configENS1_25partition_config_selectorILNS1_17partition_subalgoE6EN6thrust23THRUST_200600_302600_NS5tupleIiiNS7_9null_typeES9_S9_S9_S9_S9_S9_S9_EENS0_10empty_typeEbEEZZNS1_14partition_implILS5_6ELb0ES3_mNS7_12zip_iteratorINS8_INS7_6detail15normal_iteratorINS7_10device_ptrIiEEEESJ_S9_S9_S9_S9_S9_S9_S9_S9_EEEEPSB_SM_NS0_5tupleIJNSE_INS8_ISJ_NS7_16discard_iteratorINS7_11use_defaultEEES9_S9_S9_S9_S9_S9_S9_S9_EEEESB_EEENSN_IJSM_SM_EEESB_PlJNSF_9not_fun_tINSF_14equal_to_valueISA_EEEEEEE10hipError_tPvRmT3_T4_T5_T6_T7_T9_mT8_P12ihipStream_tbDpT10_ENKUlT_T0_E_clISt17integral_constantIbLb1EES1J_EEDaS1E_S1F_EUlS1E_E_NS1_11comp_targetILNS1_3genE3ELNS1_11target_archE908ELNS1_3gpuE7ELNS1_3repE0EEENS1_30default_config_static_selectorELNS0_4arch9wavefront6targetE0EEEvT1_
                                        ; -- End function
	.set _ZN7rocprim17ROCPRIM_400000_NS6detail17trampoline_kernelINS0_14default_configENS1_25partition_config_selectorILNS1_17partition_subalgoE6EN6thrust23THRUST_200600_302600_NS5tupleIiiNS7_9null_typeES9_S9_S9_S9_S9_S9_S9_EENS0_10empty_typeEbEEZZNS1_14partition_implILS5_6ELb0ES3_mNS7_12zip_iteratorINS8_INS7_6detail15normal_iteratorINS7_10device_ptrIiEEEESJ_S9_S9_S9_S9_S9_S9_S9_S9_EEEEPSB_SM_NS0_5tupleIJNSE_INS8_ISJ_NS7_16discard_iteratorINS7_11use_defaultEEES9_S9_S9_S9_S9_S9_S9_S9_EEEESB_EEENSN_IJSM_SM_EEESB_PlJNSF_9not_fun_tINSF_14equal_to_valueISA_EEEEEEE10hipError_tPvRmT3_T4_T5_T6_T7_T9_mT8_P12ihipStream_tbDpT10_ENKUlT_T0_E_clISt17integral_constantIbLb1EES1J_EEDaS1E_S1F_EUlS1E_E_NS1_11comp_targetILNS1_3genE3ELNS1_11target_archE908ELNS1_3gpuE7ELNS1_3repE0EEENS1_30default_config_static_selectorELNS0_4arch9wavefront6targetE0EEEvT1_.num_vgpr, 0
	.set _ZN7rocprim17ROCPRIM_400000_NS6detail17trampoline_kernelINS0_14default_configENS1_25partition_config_selectorILNS1_17partition_subalgoE6EN6thrust23THRUST_200600_302600_NS5tupleIiiNS7_9null_typeES9_S9_S9_S9_S9_S9_S9_EENS0_10empty_typeEbEEZZNS1_14partition_implILS5_6ELb0ES3_mNS7_12zip_iteratorINS8_INS7_6detail15normal_iteratorINS7_10device_ptrIiEEEESJ_S9_S9_S9_S9_S9_S9_S9_S9_EEEEPSB_SM_NS0_5tupleIJNSE_INS8_ISJ_NS7_16discard_iteratorINS7_11use_defaultEEES9_S9_S9_S9_S9_S9_S9_S9_EEEESB_EEENSN_IJSM_SM_EEESB_PlJNSF_9not_fun_tINSF_14equal_to_valueISA_EEEEEEE10hipError_tPvRmT3_T4_T5_T6_T7_T9_mT8_P12ihipStream_tbDpT10_ENKUlT_T0_E_clISt17integral_constantIbLb1EES1J_EEDaS1E_S1F_EUlS1E_E_NS1_11comp_targetILNS1_3genE3ELNS1_11target_archE908ELNS1_3gpuE7ELNS1_3repE0EEENS1_30default_config_static_selectorELNS0_4arch9wavefront6targetE0EEEvT1_.num_agpr, 0
	.set _ZN7rocprim17ROCPRIM_400000_NS6detail17trampoline_kernelINS0_14default_configENS1_25partition_config_selectorILNS1_17partition_subalgoE6EN6thrust23THRUST_200600_302600_NS5tupleIiiNS7_9null_typeES9_S9_S9_S9_S9_S9_S9_EENS0_10empty_typeEbEEZZNS1_14partition_implILS5_6ELb0ES3_mNS7_12zip_iteratorINS8_INS7_6detail15normal_iteratorINS7_10device_ptrIiEEEESJ_S9_S9_S9_S9_S9_S9_S9_S9_EEEEPSB_SM_NS0_5tupleIJNSE_INS8_ISJ_NS7_16discard_iteratorINS7_11use_defaultEEES9_S9_S9_S9_S9_S9_S9_S9_EEEESB_EEENSN_IJSM_SM_EEESB_PlJNSF_9not_fun_tINSF_14equal_to_valueISA_EEEEEEE10hipError_tPvRmT3_T4_T5_T6_T7_T9_mT8_P12ihipStream_tbDpT10_ENKUlT_T0_E_clISt17integral_constantIbLb1EES1J_EEDaS1E_S1F_EUlS1E_E_NS1_11comp_targetILNS1_3genE3ELNS1_11target_archE908ELNS1_3gpuE7ELNS1_3repE0EEENS1_30default_config_static_selectorELNS0_4arch9wavefront6targetE0EEEvT1_.numbered_sgpr, 0
	.set _ZN7rocprim17ROCPRIM_400000_NS6detail17trampoline_kernelINS0_14default_configENS1_25partition_config_selectorILNS1_17partition_subalgoE6EN6thrust23THRUST_200600_302600_NS5tupleIiiNS7_9null_typeES9_S9_S9_S9_S9_S9_S9_EENS0_10empty_typeEbEEZZNS1_14partition_implILS5_6ELb0ES3_mNS7_12zip_iteratorINS8_INS7_6detail15normal_iteratorINS7_10device_ptrIiEEEESJ_S9_S9_S9_S9_S9_S9_S9_S9_EEEEPSB_SM_NS0_5tupleIJNSE_INS8_ISJ_NS7_16discard_iteratorINS7_11use_defaultEEES9_S9_S9_S9_S9_S9_S9_S9_EEEESB_EEENSN_IJSM_SM_EEESB_PlJNSF_9not_fun_tINSF_14equal_to_valueISA_EEEEEEE10hipError_tPvRmT3_T4_T5_T6_T7_T9_mT8_P12ihipStream_tbDpT10_ENKUlT_T0_E_clISt17integral_constantIbLb1EES1J_EEDaS1E_S1F_EUlS1E_E_NS1_11comp_targetILNS1_3genE3ELNS1_11target_archE908ELNS1_3gpuE7ELNS1_3repE0EEENS1_30default_config_static_selectorELNS0_4arch9wavefront6targetE0EEEvT1_.num_named_barrier, 0
	.set _ZN7rocprim17ROCPRIM_400000_NS6detail17trampoline_kernelINS0_14default_configENS1_25partition_config_selectorILNS1_17partition_subalgoE6EN6thrust23THRUST_200600_302600_NS5tupleIiiNS7_9null_typeES9_S9_S9_S9_S9_S9_S9_EENS0_10empty_typeEbEEZZNS1_14partition_implILS5_6ELb0ES3_mNS7_12zip_iteratorINS8_INS7_6detail15normal_iteratorINS7_10device_ptrIiEEEESJ_S9_S9_S9_S9_S9_S9_S9_S9_EEEEPSB_SM_NS0_5tupleIJNSE_INS8_ISJ_NS7_16discard_iteratorINS7_11use_defaultEEES9_S9_S9_S9_S9_S9_S9_S9_EEEESB_EEENSN_IJSM_SM_EEESB_PlJNSF_9not_fun_tINSF_14equal_to_valueISA_EEEEEEE10hipError_tPvRmT3_T4_T5_T6_T7_T9_mT8_P12ihipStream_tbDpT10_ENKUlT_T0_E_clISt17integral_constantIbLb1EES1J_EEDaS1E_S1F_EUlS1E_E_NS1_11comp_targetILNS1_3genE3ELNS1_11target_archE908ELNS1_3gpuE7ELNS1_3repE0EEENS1_30default_config_static_selectorELNS0_4arch9wavefront6targetE0EEEvT1_.private_seg_size, 0
	.set _ZN7rocprim17ROCPRIM_400000_NS6detail17trampoline_kernelINS0_14default_configENS1_25partition_config_selectorILNS1_17partition_subalgoE6EN6thrust23THRUST_200600_302600_NS5tupleIiiNS7_9null_typeES9_S9_S9_S9_S9_S9_S9_EENS0_10empty_typeEbEEZZNS1_14partition_implILS5_6ELb0ES3_mNS7_12zip_iteratorINS8_INS7_6detail15normal_iteratorINS7_10device_ptrIiEEEESJ_S9_S9_S9_S9_S9_S9_S9_S9_EEEEPSB_SM_NS0_5tupleIJNSE_INS8_ISJ_NS7_16discard_iteratorINS7_11use_defaultEEES9_S9_S9_S9_S9_S9_S9_S9_EEEESB_EEENSN_IJSM_SM_EEESB_PlJNSF_9not_fun_tINSF_14equal_to_valueISA_EEEEEEE10hipError_tPvRmT3_T4_T5_T6_T7_T9_mT8_P12ihipStream_tbDpT10_ENKUlT_T0_E_clISt17integral_constantIbLb1EES1J_EEDaS1E_S1F_EUlS1E_E_NS1_11comp_targetILNS1_3genE3ELNS1_11target_archE908ELNS1_3gpuE7ELNS1_3repE0EEENS1_30default_config_static_selectorELNS0_4arch9wavefront6targetE0EEEvT1_.uses_vcc, 0
	.set _ZN7rocprim17ROCPRIM_400000_NS6detail17trampoline_kernelINS0_14default_configENS1_25partition_config_selectorILNS1_17partition_subalgoE6EN6thrust23THRUST_200600_302600_NS5tupleIiiNS7_9null_typeES9_S9_S9_S9_S9_S9_S9_EENS0_10empty_typeEbEEZZNS1_14partition_implILS5_6ELb0ES3_mNS7_12zip_iteratorINS8_INS7_6detail15normal_iteratorINS7_10device_ptrIiEEEESJ_S9_S9_S9_S9_S9_S9_S9_S9_EEEEPSB_SM_NS0_5tupleIJNSE_INS8_ISJ_NS7_16discard_iteratorINS7_11use_defaultEEES9_S9_S9_S9_S9_S9_S9_S9_EEEESB_EEENSN_IJSM_SM_EEESB_PlJNSF_9not_fun_tINSF_14equal_to_valueISA_EEEEEEE10hipError_tPvRmT3_T4_T5_T6_T7_T9_mT8_P12ihipStream_tbDpT10_ENKUlT_T0_E_clISt17integral_constantIbLb1EES1J_EEDaS1E_S1F_EUlS1E_E_NS1_11comp_targetILNS1_3genE3ELNS1_11target_archE908ELNS1_3gpuE7ELNS1_3repE0EEENS1_30default_config_static_selectorELNS0_4arch9wavefront6targetE0EEEvT1_.uses_flat_scratch, 0
	.set _ZN7rocprim17ROCPRIM_400000_NS6detail17trampoline_kernelINS0_14default_configENS1_25partition_config_selectorILNS1_17partition_subalgoE6EN6thrust23THRUST_200600_302600_NS5tupleIiiNS7_9null_typeES9_S9_S9_S9_S9_S9_S9_EENS0_10empty_typeEbEEZZNS1_14partition_implILS5_6ELb0ES3_mNS7_12zip_iteratorINS8_INS7_6detail15normal_iteratorINS7_10device_ptrIiEEEESJ_S9_S9_S9_S9_S9_S9_S9_S9_EEEEPSB_SM_NS0_5tupleIJNSE_INS8_ISJ_NS7_16discard_iteratorINS7_11use_defaultEEES9_S9_S9_S9_S9_S9_S9_S9_EEEESB_EEENSN_IJSM_SM_EEESB_PlJNSF_9not_fun_tINSF_14equal_to_valueISA_EEEEEEE10hipError_tPvRmT3_T4_T5_T6_T7_T9_mT8_P12ihipStream_tbDpT10_ENKUlT_T0_E_clISt17integral_constantIbLb1EES1J_EEDaS1E_S1F_EUlS1E_E_NS1_11comp_targetILNS1_3genE3ELNS1_11target_archE908ELNS1_3gpuE7ELNS1_3repE0EEENS1_30default_config_static_selectorELNS0_4arch9wavefront6targetE0EEEvT1_.has_dyn_sized_stack, 0
	.set _ZN7rocprim17ROCPRIM_400000_NS6detail17trampoline_kernelINS0_14default_configENS1_25partition_config_selectorILNS1_17partition_subalgoE6EN6thrust23THRUST_200600_302600_NS5tupleIiiNS7_9null_typeES9_S9_S9_S9_S9_S9_S9_EENS0_10empty_typeEbEEZZNS1_14partition_implILS5_6ELb0ES3_mNS7_12zip_iteratorINS8_INS7_6detail15normal_iteratorINS7_10device_ptrIiEEEESJ_S9_S9_S9_S9_S9_S9_S9_S9_EEEEPSB_SM_NS0_5tupleIJNSE_INS8_ISJ_NS7_16discard_iteratorINS7_11use_defaultEEES9_S9_S9_S9_S9_S9_S9_S9_EEEESB_EEENSN_IJSM_SM_EEESB_PlJNSF_9not_fun_tINSF_14equal_to_valueISA_EEEEEEE10hipError_tPvRmT3_T4_T5_T6_T7_T9_mT8_P12ihipStream_tbDpT10_ENKUlT_T0_E_clISt17integral_constantIbLb1EES1J_EEDaS1E_S1F_EUlS1E_E_NS1_11comp_targetILNS1_3genE3ELNS1_11target_archE908ELNS1_3gpuE7ELNS1_3repE0EEENS1_30default_config_static_selectorELNS0_4arch9wavefront6targetE0EEEvT1_.has_recursion, 0
	.set _ZN7rocprim17ROCPRIM_400000_NS6detail17trampoline_kernelINS0_14default_configENS1_25partition_config_selectorILNS1_17partition_subalgoE6EN6thrust23THRUST_200600_302600_NS5tupleIiiNS7_9null_typeES9_S9_S9_S9_S9_S9_S9_EENS0_10empty_typeEbEEZZNS1_14partition_implILS5_6ELb0ES3_mNS7_12zip_iteratorINS8_INS7_6detail15normal_iteratorINS7_10device_ptrIiEEEESJ_S9_S9_S9_S9_S9_S9_S9_S9_EEEEPSB_SM_NS0_5tupleIJNSE_INS8_ISJ_NS7_16discard_iteratorINS7_11use_defaultEEES9_S9_S9_S9_S9_S9_S9_S9_EEEESB_EEENSN_IJSM_SM_EEESB_PlJNSF_9not_fun_tINSF_14equal_to_valueISA_EEEEEEE10hipError_tPvRmT3_T4_T5_T6_T7_T9_mT8_P12ihipStream_tbDpT10_ENKUlT_T0_E_clISt17integral_constantIbLb1EES1J_EEDaS1E_S1F_EUlS1E_E_NS1_11comp_targetILNS1_3genE3ELNS1_11target_archE908ELNS1_3gpuE7ELNS1_3repE0EEENS1_30default_config_static_selectorELNS0_4arch9wavefront6targetE0EEEvT1_.has_indirect_call, 0
	.section	.AMDGPU.csdata,"",@progbits
; Kernel info:
; codeLenInByte = 0
; TotalNumSgprs: 0
; NumVgprs: 0
; ScratchSize: 0
; MemoryBound: 0
; FloatMode: 240
; IeeeMode: 1
; LDSByteSize: 0 bytes/workgroup (compile time only)
; SGPRBlocks: 0
; VGPRBlocks: 0
; NumSGPRsForWavesPerEU: 1
; NumVGPRsForWavesPerEU: 1
; Occupancy: 16
; WaveLimiterHint : 0
; COMPUTE_PGM_RSRC2:SCRATCH_EN: 0
; COMPUTE_PGM_RSRC2:USER_SGPR: 2
; COMPUTE_PGM_RSRC2:TRAP_HANDLER: 0
; COMPUTE_PGM_RSRC2:TGID_X_EN: 1
; COMPUTE_PGM_RSRC2:TGID_Y_EN: 0
; COMPUTE_PGM_RSRC2:TGID_Z_EN: 0
; COMPUTE_PGM_RSRC2:TIDIG_COMP_CNT: 0
	.section	.text._ZN7rocprim17ROCPRIM_400000_NS6detail17trampoline_kernelINS0_14default_configENS1_25partition_config_selectorILNS1_17partition_subalgoE6EN6thrust23THRUST_200600_302600_NS5tupleIiiNS7_9null_typeES9_S9_S9_S9_S9_S9_S9_EENS0_10empty_typeEbEEZZNS1_14partition_implILS5_6ELb0ES3_mNS7_12zip_iteratorINS8_INS7_6detail15normal_iteratorINS7_10device_ptrIiEEEESJ_S9_S9_S9_S9_S9_S9_S9_S9_EEEEPSB_SM_NS0_5tupleIJNSE_INS8_ISJ_NS7_16discard_iteratorINS7_11use_defaultEEES9_S9_S9_S9_S9_S9_S9_S9_EEEESB_EEENSN_IJSM_SM_EEESB_PlJNSF_9not_fun_tINSF_14equal_to_valueISA_EEEEEEE10hipError_tPvRmT3_T4_T5_T6_T7_T9_mT8_P12ihipStream_tbDpT10_ENKUlT_T0_E_clISt17integral_constantIbLb1EES1J_EEDaS1E_S1F_EUlS1E_E_NS1_11comp_targetILNS1_3genE2ELNS1_11target_archE906ELNS1_3gpuE6ELNS1_3repE0EEENS1_30default_config_static_selectorELNS0_4arch9wavefront6targetE0EEEvT1_,"axG",@progbits,_ZN7rocprim17ROCPRIM_400000_NS6detail17trampoline_kernelINS0_14default_configENS1_25partition_config_selectorILNS1_17partition_subalgoE6EN6thrust23THRUST_200600_302600_NS5tupleIiiNS7_9null_typeES9_S9_S9_S9_S9_S9_S9_EENS0_10empty_typeEbEEZZNS1_14partition_implILS5_6ELb0ES3_mNS7_12zip_iteratorINS8_INS7_6detail15normal_iteratorINS7_10device_ptrIiEEEESJ_S9_S9_S9_S9_S9_S9_S9_S9_EEEEPSB_SM_NS0_5tupleIJNSE_INS8_ISJ_NS7_16discard_iteratorINS7_11use_defaultEEES9_S9_S9_S9_S9_S9_S9_S9_EEEESB_EEENSN_IJSM_SM_EEESB_PlJNSF_9not_fun_tINSF_14equal_to_valueISA_EEEEEEE10hipError_tPvRmT3_T4_T5_T6_T7_T9_mT8_P12ihipStream_tbDpT10_ENKUlT_T0_E_clISt17integral_constantIbLb1EES1J_EEDaS1E_S1F_EUlS1E_E_NS1_11comp_targetILNS1_3genE2ELNS1_11target_archE906ELNS1_3gpuE6ELNS1_3repE0EEENS1_30default_config_static_selectorELNS0_4arch9wavefront6targetE0EEEvT1_,comdat
	.protected	_ZN7rocprim17ROCPRIM_400000_NS6detail17trampoline_kernelINS0_14default_configENS1_25partition_config_selectorILNS1_17partition_subalgoE6EN6thrust23THRUST_200600_302600_NS5tupleIiiNS7_9null_typeES9_S9_S9_S9_S9_S9_S9_EENS0_10empty_typeEbEEZZNS1_14partition_implILS5_6ELb0ES3_mNS7_12zip_iteratorINS8_INS7_6detail15normal_iteratorINS7_10device_ptrIiEEEESJ_S9_S9_S9_S9_S9_S9_S9_S9_EEEEPSB_SM_NS0_5tupleIJNSE_INS8_ISJ_NS7_16discard_iteratorINS7_11use_defaultEEES9_S9_S9_S9_S9_S9_S9_S9_EEEESB_EEENSN_IJSM_SM_EEESB_PlJNSF_9not_fun_tINSF_14equal_to_valueISA_EEEEEEE10hipError_tPvRmT3_T4_T5_T6_T7_T9_mT8_P12ihipStream_tbDpT10_ENKUlT_T0_E_clISt17integral_constantIbLb1EES1J_EEDaS1E_S1F_EUlS1E_E_NS1_11comp_targetILNS1_3genE2ELNS1_11target_archE906ELNS1_3gpuE6ELNS1_3repE0EEENS1_30default_config_static_selectorELNS0_4arch9wavefront6targetE0EEEvT1_ ; -- Begin function _ZN7rocprim17ROCPRIM_400000_NS6detail17trampoline_kernelINS0_14default_configENS1_25partition_config_selectorILNS1_17partition_subalgoE6EN6thrust23THRUST_200600_302600_NS5tupleIiiNS7_9null_typeES9_S9_S9_S9_S9_S9_S9_EENS0_10empty_typeEbEEZZNS1_14partition_implILS5_6ELb0ES3_mNS7_12zip_iteratorINS8_INS7_6detail15normal_iteratorINS7_10device_ptrIiEEEESJ_S9_S9_S9_S9_S9_S9_S9_S9_EEEEPSB_SM_NS0_5tupleIJNSE_INS8_ISJ_NS7_16discard_iteratorINS7_11use_defaultEEES9_S9_S9_S9_S9_S9_S9_S9_EEEESB_EEENSN_IJSM_SM_EEESB_PlJNSF_9not_fun_tINSF_14equal_to_valueISA_EEEEEEE10hipError_tPvRmT3_T4_T5_T6_T7_T9_mT8_P12ihipStream_tbDpT10_ENKUlT_T0_E_clISt17integral_constantIbLb1EES1J_EEDaS1E_S1F_EUlS1E_E_NS1_11comp_targetILNS1_3genE2ELNS1_11target_archE906ELNS1_3gpuE6ELNS1_3repE0EEENS1_30default_config_static_selectorELNS0_4arch9wavefront6targetE0EEEvT1_
	.globl	_ZN7rocprim17ROCPRIM_400000_NS6detail17trampoline_kernelINS0_14default_configENS1_25partition_config_selectorILNS1_17partition_subalgoE6EN6thrust23THRUST_200600_302600_NS5tupleIiiNS7_9null_typeES9_S9_S9_S9_S9_S9_S9_EENS0_10empty_typeEbEEZZNS1_14partition_implILS5_6ELb0ES3_mNS7_12zip_iteratorINS8_INS7_6detail15normal_iteratorINS7_10device_ptrIiEEEESJ_S9_S9_S9_S9_S9_S9_S9_S9_EEEEPSB_SM_NS0_5tupleIJNSE_INS8_ISJ_NS7_16discard_iteratorINS7_11use_defaultEEES9_S9_S9_S9_S9_S9_S9_S9_EEEESB_EEENSN_IJSM_SM_EEESB_PlJNSF_9not_fun_tINSF_14equal_to_valueISA_EEEEEEE10hipError_tPvRmT3_T4_T5_T6_T7_T9_mT8_P12ihipStream_tbDpT10_ENKUlT_T0_E_clISt17integral_constantIbLb1EES1J_EEDaS1E_S1F_EUlS1E_E_NS1_11comp_targetILNS1_3genE2ELNS1_11target_archE906ELNS1_3gpuE6ELNS1_3repE0EEENS1_30default_config_static_selectorELNS0_4arch9wavefront6targetE0EEEvT1_
	.p2align	8
	.type	_ZN7rocprim17ROCPRIM_400000_NS6detail17trampoline_kernelINS0_14default_configENS1_25partition_config_selectorILNS1_17partition_subalgoE6EN6thrust23THRUST_200600_302600_NS5tupleIiiNS7_9null_typeES9_S9_S9_S9_S9_S9_S9_EENS0_10empty_typeEbEEZZNS1_14partition_implILS5_6ELb0ES3_mNS7_12zip_iteratorINS8_INS7_6detail15normal_iteratorINS7_10device_ptrIiEEEESJ_S9_S9_S9_S9_S9_S9_S9_S9_EEEEPSB_SM_NS0_5tupleIJNSE_INS8_ISJ_NS7_16discard_iteratorINS7_11use_defaultEEES9_S9_S9_S9_S9_S9_S9_S9_EEEESB_EEENSN_IJSM_SM_EEESB_PlJNSF_9not_fun_tINSF_14equal_to_valueISA_EEEEEEE10hipError_tPvRmT3_T4_T5_T6_T7_T9_mT8_P12ihipStream_tbDpT10_ENKUlT_T0_E_clISt17integral_constantIbLb1EES1J_EEDaS1E_S1F_EUlS1E_E_NS1_11comp_targetILNS1_3genE2ELNS1_11target_archE906ELNS1_3gpuE6ELNS1_3repE0EEENS1_30default_config_static_selectorELNS0_4arch9wavefront6targetE0EEEvT1_,@function
_ZN7rocprim17ROCPRIM_400000_NS6detail17trampoline_kernelINS0_14default_configENS1_25partition_config_selectorILNS1_17partition_subalgoE6EN6thrust23THRUST_200600_302600_NS5tupleIiiNS7_9null_typeES9_S9_S9_S9_S9_S9_S9_EENS0_10empty_typeEbEEZZNS1_14partition_implILS5_6ELb0ES3_mNS7_12zip_iteratorINS8_INS7_6detail15normal_iteratorINS7_10device_ptrIiEEEESJ_S9_S9_S9_S9_S9_S9_S9_S9_EEEEPSB_SM_NS0_5tupleIJNSE_INS8_ISJ_NS7_16discard_iteratorINS7_11use_defaultEEES9_S9_S9_S9_S9_S9_S9_S9_EEEESB_EEENSN_IJSM_SM_EEESB_PlJNSF_9not_fun_tINSF_14equal_to_valueISA_EEEEEEE10hipError_tPvRmT3_T4_T5_T6_T7_T9_mT8_P12ihipStream_tbDpT10_ENKUlT_T0_E_clISt17integral_constantIbLb1EES1J_EEDaS1E_S1F_EUlS1E_E_NS1_11comp_targetILNS1_3genE2ELNS1_11target_archE906ELNS1_3gpuE6ELNS1_3repE0EEENS1_30default_config_static_selectorELNS0_4arch9wavefront6targetE0EEEvT1_: ; @_ZN7rocprim17ROCPRIM_400000_NS6detail17trampoline_kernelINS0_14default_configENS1_25partition_config_selectorILNS1_17partition_subalgoE6EN6thrust23THRUST_200600_302600_NS5tupleIiiNS7_9null_typeES9_S9_S9_S9_S9_S9_S9_EENS0_10empty_typeEbEEZZNS1_14partition_implILS5_6ELb0ES3_mNS7_12zip_iteratorINS8_INS7_6detail15normal_iteratorINS7_10device_ptrIiEEEESJ_S9_S9_S9_S9_S9_S9_S9_S9_EEEEPSB_SM_NS0_5tupleIJNSE_INS8_ISJ_NS7_16discard_iteratorINS7_11use_defaultEEES9_S9_S9_S9_S9_S9_S9_S9_EEEESB_EEENSN_IJSM_SM_EEESB_PlJNSF_9not_fun_tINSF_14equal_to_valueISA_EEEEEEE10hipError_tPvRmT3_T4_T5_T6_T7_T9_mT8_P12ihipStream_tbDpT10_ENKUlT_T0_E_clISt17integral_constantIbLb1EES1J_EEDaS1E_S1F_EUlS1E_E_NS1_11comp_targetILNS1_3genE2ELNS1_11target_archE906ELNS1_3gpuE6ELNS1_3repE0EEENS1_30default_config_static_selectorELNS0_4arch9wavefront6targetE0EEEvT1_
; %bb.0:
	.section	.rodata,"a",@progbits
	.p2align	6, 0x0
	.amdhsa_kernel _ZN7rocprim17ROCPRIM_400000_NS6detail17trampoline_kernelINS0_14default_configENS1_25partition_config_selectorILNS1_17partition_subalgoE6EN6thrust23THRUST_200600_302600_NS5tupleIiiNS7_9null_typeES9_S9_S9_S9_S9_S9_S9_EENS0_10empty_typeEbEEZZNS1_14partition_implILS5_6ELb0ES3_mNS7_12zip_iteratorINS8_INS7_6detail15normal_iteratorINS7_10device_ptrIiEEEESJ_S9_S9_S9_S9_S9_S9_S9_S9_EEEEPSB_SM_NS0_5tupleIJNSE_INS8_ISJ_NS7_16discard_iteratorINS7_11use_defaultEEES9_S9_S9_S9_S9_S9_S9_S9_EEEESB_EEENSN_IJSM_SM_EEESB_PlJNSF_9not_fun_tINSF_14equal_to_valueISA_EEEEEEE10hipError_tPvRmT3_T4_T5_T6_T7_T9_mT8_P12ihipStream_tbDpT10_ENKUlT_T0_E_clISt17integral_constantIbLb1EES1J_EEDaS1E_S1F_EUlS1E_E_NS1_11comp_targetILNS1_3genE2ELNS1_11target_archE906ELNS1_3gpuE6ELNS1_3repE0EEENS1_30default_config_static_selectorELNS0_4arch9wavefront6targetE0EEEvT1_
		.amdhsa_group_segment_fixed_size 0
		.amdhsa_private_segment_fixed_size 0
		.amdhsa_kernarg_size 152
		.amdhsa_user_sgpr_count 2
		.amdhsa_user_sgpr_dispatch_ptr 0
		.amdhsa_user_sgpr_queue_ptr 0
		.amdhsa_user_sgpr_kernarg_segment_ptr 1
		.amdhsa_user_sgpr_dispatch_id 0
		.amdhsa_user_sgpr_private_segment_size 0
		.amdhsa_wavefront_size32 1
		.amdhsa_uses_dynamic_stack 0
		.amdhsa_enable_private_segment 0
		.amdhsa_system_sgpr_workgroup_id_x 1
		.amdhsa_system_sgpr_workgroup_id_y 0
		.amdhsa_system_sgpr_workgroup_id_z 0
		.amdhsa_system_sgpr_workgroup_info 0
		.amdhsa_system_vgpr_workitem_id 0
		.amdhsa_next_free_vgpr 1
		.amdhsa_next_free_sgpr 1
		.amdhsa_reserve_vcc 0
		.amdhsa_float_round_mode_32 0
		.amdhsa_float_round_mode_16_64 0
		.amdhsa_float_denorm_mode_32 3
		.amdhsa_float_denorm_mode_16_64 3
		.amdhsa_fp16_overflow 0
		.amdhsa_workgroup_processor_mode 1
		.amdhsa_memory_ordered 1
		.amdhsa_forward_progress 1
		.amdhsa_inst_pref_size 0
		.amdhsa_round_robin_scheduling 0
		.amdhsa_exception_fp_ieee_invalid_op 0
		.amdhsa_exception_fp_denorm_src 0
		.amdhsa_exception_fp_ieee_div_zero 0
		.amdhsa_exception_fp_ieee_overflow 0
		.amdhsa_exception_fp_ieee_underflow 0
		.amdhsa_exception_fp_ieee_inexact 0
		.amdhsa_exception_int_div_zero 0
	.end_amdhsa_kernel
	.section	.text._ZN7rocprim17ROCPRIM_400000_NS6detail17trampoline_kernelINS0_14default_configENS1_25partition_config_selectorILNS1_17partition_subalgoE6EN6thrust23THRUST_200600_302600_NS5tupleIiiNS7_9null_typeES9_S9_S9_S9_S9_S9_S9_EENS0_10empty_typeEbEEZZNS1_14partition_implILS5_6ELb0ES3_mNS7_12zip_iteratorINS8_INS7_6detail15normal_iteratorINS7_10device_ptrIiEEEESJ_S9_S9_S9_S9_S9_S9_S9_S9_EEEEPSB_SM_NS0_5tupleIJNSE_INS8_ISJ_NS7_16discard_iteratorINS7_11use_defaultEEES9_S9_S9_S9_S9_S9_S9_S9_EEEESB_EEENSN_IJSM_SM_EEESB_PlJNSF_9not_fun_tINSF_14equal_to_valueISA_EEEEEEE10hipError_tPvRmT3_T4_T5_T6_T7_T9_mT8_P12ihipStream_tbDpT10_ENKUlT_T0_E_clISt17integral_constantIbLb1EES1J_EEDaS1E_S1F_EUlS1E_E_NS1_11comp_targetILNS1_3genE2ELNS1_11target_archE906ELNS1_3gpuE6ELNS1_3repE0EEENS1_30default_config_static_selectorELNS0_4arch9wavefront6targetE0EEEvT1_,"axG",@progbits,_ZN7rocprim17ROCPRIM_400000_NS6detail17trampoline_kernelINS0_14default_configENS1_25partition_config_selectorILNS1_17partition_subalgoE6EN6thrust23THRUST_200600_302600_NS5tupleIiiNS7_9null_typeES9_S9_S9_S9_S9_S9_S9_EENS0_10empty_typeEbEEZZNS1_14partition_implILS5_6ELb0ES3_mNS7_12zip_iteratorINS8_INS7_6detail15normal_iteratorINS7_10device_ptrIiEEEESJ_S9_S9_S9_S9_S9_S9_S9_S9_EEEEPSB_SM_NS0_5tupleIJNSE_INS8_ISJ_NS7_16discard_iteratorINS7_11use_defaultEEES9_S9_S9_S9_S9_S9_S9_S9_EEEESB_EEENSN_IJSM_SM_EEESB_PlJNSF_9not_fun_tINSF_14equal_to_valueISA_EEEEEEE10hipError_tPvRmT3_T4_T5_T6_T7_T9_mT8_P12ihipStream_tbDpT10_ENKUlT_T0_E_clISt17integral_constantIbLb1EES1J_EEDaS1E_S1F_EUlS1E_E_NS1_11comp_targetILNS1_3genE2ELNS1_11target_archE906ELNS1_3gpuE6ELNS1_3repE0EEENS1_30default_config_static_selectorELNS0_4arch9wavefront6targetE0EEEvT1_,comdat
.Lfunc_end2025:
	.size	_ZN7rocprim17ROCPRIM_400000_NS6detail17trampoline_kernelINS0_14default_configENS1_25partition_config_selectorILNS1_17partition_subalgoE6EN6thrust23THRUST_200600_302600_NS5tupleIiiNS7_9null_typeES9_S9_S9_S9_S9_S9_S9_EENS0_10empty_typeEbEEZZNS1_14partition_implILS5_6ELb0ES3_mNS7_12zip_iteratorINS8_INS7_6detail15normal_iteratorINS7_10device_ptrIiEEEESJ_S9_S9_S9_S9_S9_S9_S9_S9_EEEEPSB_SM_NS0_5tupleIJNSE_INS8_ISJ_NS7_16discard_iteratorINS7_11use_defaultEEES9_S9_S9_S9_S9_S9_S9_S9_EEEESB_EEENSN_IJSM_SM_EEESB_PlJNSF_9not_fun_tINSF_14equal_to_valueISA_EEEEEEE10hipError_tPvRmT3_T4_T5_T6_T7_T9_mT8_P12ihipStream_tbDpT10_ENKUlT_T0_E_clISt17integral_constantIbLb1EES1J_EEDaS1E_S1F_EUlS1E_E_NS1_11comp_targetILNS1_3genE2ELNS1_11target_archE906ELNS1_3gpuE6ELNS1_3repE0EEENS1_30default_config_static_selectorELNS0_4arch9wavefront6targetE0EEEvT1_, .Lfunc_end2025-_ZN7rocprim17ROCPRIM_400000_NS6detail17trampoline_kernelINS0_14default_configENS1_25partition_config_selectorILNS1_17partition_subalgoE6EN6thrust23THRUST_200600_302600_NS5tupleIiiNS7_9null_typeES9_S9_S9_S9_S9_S9_S9_EENS0_10empty_typeEbEEZZNS1_14partition_implILS5_6ELb0ES3_mNS7_12zip_iteratorINS8_INS7_6detail15normal_iteratorINS7_10device_ptrIiEEEESJ_S9_S9_S9_S9_S9_S9_S9_S9_EEEEPSB_SM_NS0_5tupleIJNSE_INS8_ISJ_NS7_16discard_iteratorINS7_11use_defaultEEES9_S9_S9_S9_S9_S9_S9_S9_EEEESB_EEENSN_IJSM_SM_EEESB_PlJNSF_9not_fun_tINSF_14equal_to_valueISA_EEEEEEE10hipError_tPvRmT3_T4_T5_T6_T7_T9_mT8_P12ihipStream_tbDpT10_ENKUlT_T0_E_clISt17integral_constantIbLb1EES1J_EEDaS1E_S1F_EUlS1E_E_NS1_11comp_targetILNS1_3genE2ELNS1_11target_archE906ELNS1_3gpuE6ELNS1_3repE0EEENS1_30default_config_static_selectorELNS0_4arch9wavefront6targetE0EEEvT1_
                                        ; -- End function
	.set _ZN7rocprim17ROCPRIM_400000_NS6detail17trampoline_kernelINS0_14default_configENS1_25partition_config_selectorILNS1_17partition_subalgoE6EN6thrust23THRUST_200600_302600_NS5tupleIiiNS7_9null_typeES9_S9_S9_S9_S9_S9_S9_EENS0_10empty_typeEbEEZZNS1_14partition_implILS5_6ELb0ES3_mNS7_12zip_iteratorINS8_INS7_6detail15normal_iteratorINS7_10device_ptrIiEEEESJ_S9_S9_S9_S9_S9_S9_S9_S9_EEEEPSB_SM_NS0_5tupleIJNSE_INS8_ISJ_NS7_16discard_iteratorINS7_11use_defaultEEES9_S9_S9_S9_S9_S9_S9_S9_EEEESB_EEENSN_IJSM_SM_EEESB_PlJNSF_9not_fun_tINSF_14equal_to_valueISA_EEEEEEE10hipError_tPvRmT3_T4_T5_T6_T7_T9_mT8_P12ihipStream_tbDpT10_ENKUlT_T0_E_clISt17integral_constantIbLb1EES1J_EEDaS1E_S1F_EUlS1E_E_NS1_11comp_targetILNS1_3genE2ELNS1_11target_archE906ELNS1_3gpuE6ELNS1_3repE0EEENS1_30default_config_static_selectorELNS0_4arch9wavefront6targetE0EEEvT1_.num_vgpr, 0
	.set _ZN7rocprim17ROCPRIM_400000_NS6detail17trampoline_kernelINS0_14default_configENS1_25partition_config_selectorILNS1_17partition_subalgoE6EN6thrust23THRUST_200600_302600_NS5tupleIiiNS7_9null_typeES9_S9_S9_S9_S9_S9_S9_EENS0_10empty_typeEbEEZZNS1_14partition_implILS5_6ELb0ES3_mNS7_12zip_iteratorINS8_INS7_6detail15normal_iteratorINS7_10device_ptrIiEEEESJ_S9_S9_S9_S9_S9_S9_S9_S9_EEEEPSB_SM_NS0_5tupleIJNSE_INS8_ISJ_NS7_16discard_iteratorINS7_11use_defaultEEES9_S9_S9_S9_S9_S9_S9_S9_EEEESB_EEENSN_IJSM_SM_EEESB_PlJNSF_9not_fun_tINSF_14equal_to_valueISA_EEEEEEE10hipError_tPvRmT3_T4_T5_T6_T7_T9_mT8_P12ihipStream_tbDpT10_ENKUlT_T0_E_clISt17integral_constantIbLb1EES1J_EEDaS1E_S1F_EUlS1E_E_NS1_11comp_targetILNS1_3genE2ELNS1_11target_archE906ELNS1_3gpuE6ELNS1_3repE0EEENS1_30default_config_static_selectorELNS0_4arch9wavefront6targetE0EEEvT1_.num_agpr, 0
	.set _ZN7rocprim17ROCPRIM_400000_NS6detail17trampoline_kernelINS0_14default_configENS1_25partition_config_selectorILNS1_17partition_subalgoE6EN6thrust23THRUST_200600_302600_NS5tupleIiiNS7_9null_typeES9_S9_S9_S9_S9_S9_S9_EENS0_10empty_typeEbEEZZNS1_14partition_implILS5_6ELb0ES3_mNS7_12zip_iteratorINS8_INS7_6detail15normal_iteratorINS7_10device_ptrIiEEEESJ_S9_S9_S9_S9_S9_S9_S9_S9_EEEEPSB_SM_NS0_5tupleIJNSE_INS8_ISJ_NS7_16discard_iteratorINS7_11use_defaultEEES9_S9_S9_S9_S9_S9_S9_S9_EEEESB_EEENSN_IJSM_SM_EEESB_PlJNSF_9not_fun_tINSF_14equal_to_valueISA_EEEEEEE10hipError_tPvRmT3_T4_T5_T6_T7_T9_mT8_P12ihipStream_tbDpT10_ENKUlT_T0_E_clISt17integral_constantIbLb1EES1J_EEDaS1E_S1F_EUlS1E_E_NS1_11comp_targetILNS1_3genE2ELNS1_11target_archE906ELNS1_3gpuE6ELNS1_3repE0EEENS1_30default_config_static_selectorELNS0_4arch9wavefront6targetE0EEEvT1_.numbered_sgpr, 0
	.set _ZN7rocprim17ROCPRIM_400000_NS6detail17trampoline_kernelINS0_14default_configENS1_25partition_config_selectorILNS1_17partition_subalgoE6EN6thrust23THRUST_200600_302600_NS5tupleIiiNS7_9null_typeES9_S9_S9_S9_S9_S9_S9_EENS0_10empty_typeEbEEZZNS1_14partition_implILS5_6ELb0ES3_mNS7_12zip_iteratorINS8_INS7_6detail15normal_iteratorINS7_10device_ptrIiEEEESJ_S9_S9_S9_S9_S9_S9_S9_S9_EEEEPSB_SM_NS0_5tupleIJNSE_INS8_ISJ_NS7_16discard_iteratorINS7_11use_defaultEEES9_S9_S9_S9_S9_S9_S9_S9_EEEESB_EEENSN_IJSM_SM_EEESB_PlJNSF_9not_fun_tINSF_14equal_to_valueISA_EEEEEEE10hipError_tPvRmT3_T4_T5_T6_T7_T9_mT8_P12ihipStream_tbDpT10_ENKUlT_T0_E_clISt17integral_constantIbLb1EES1J_EEDaS1E_S1F_EUlS1E_E_NS1_11comp_targetILNS1_3genE2ELNS1_11target_archE906ELNS1_3gpuE6ELNS1_3repE0EEENS1_30default_config_static_selectorELNS0_4arch9wavefront6targetE0EEEvT1_.num_named_barrier, 0
	.set _ZN7rocprim17ROCPRIM_400000_NS6detail17trampoline_kernelINS0_14default_configENS1_25partition_config_selectorILNS1_17partition_subalgoE6EN6thrust23THRUST_200600_302600_NS5tupleIiiNS7_9null_typeES9_S9_S9_S9_S9_S9_S9_EENS0_10empty_typeEbEEZZNS1_14partition_implILS5_6ELb0ES3_mNS7_12zip_iteratorINS8_INS7_6detail15normal_iteratorINS7_10device_ptrIiEEEESJ_S9_S9_S9_S9_S9_S9_S9_S9_EEEEPSB_SM_NS0_5tupleIJNSE_INS8_ISJ_NS7_16discard_iteratorINS7_11use_defaultEEES9_S9_S9_S9_S9_S9_S9_S9_EEEESB_EEENSN_IJSM_SM_EEESB_PlJNSF_9not_fun_tINSF_14equal_to_valueISA_EEEEEEE10hipError_tPvRmT3_T4_T5_T6_T7_T9_mT8_P12ihipStream_tbDpT10_ENKUlT_T0_E_clISt17integral_constantIbLb1EES1J_EEDaS1E_S1F_EUlS1E_E_NS1_11comp_targetILNS1_3genE2ELNS1_11target_archE906ELNS1_3gpuE6ELNS1_3repE0EEENS1_30default_config_static_selectorELNS0_4arch9wavefront6targetE0EEEvT1_.private_seg_size, 0
	.set _ZN7rocprim17ROCPRIM_400000_NS6detail17trampoline_kernelINS0_14default_configENS1_25partition_config_selectorILNS1_17partition_subalgoE6EN6thrust23THRUST_200600_302600_NS5tupleIiiNS7_9null_typeES9_S9_S9_S9_S9_S9_S9_EENS0_10empty_typeEbEEZZNS1_14partition_implILS5_6ELb0ES3_mNS7_12zip_iteratorINS8_INS7_6detail15normal_iteratorINS7_10device_ptrIiEEEESJ_S9_S9_S9_S9_S9_S9_S9_S9_EEEEPSB_SM_NS0_5tupleIJNSE_INS8_ISJ_NS7_16discard_iteratorINS7_11use_defaultEEES9_S9_S9_S9_S9_S9_S9_S9_EEEESB_EEENSN_IJSM_SM_EEESB_PlJNSF_9not_fun_tINSF_14equal_to_valueISA_EEEEEEE10hipError_tPvRmT3_T4_T5_T6_T7_T9_mT8_P12ihipStream_tbDpT10_ENKUlT_T0_E_clISt17integral_constantIbLb1EES1J_EEDaS1E_S1F_EUlS1E_E_NS1_11comp_targetILNS1_3genE2ELNS1_11target_archE906ELNS1_3gpuE6ELNS1_3repE0EEENS1_30default_config_static_selectorELNS0_4arch9wavefront6targetE0EEEvT1_.uses_vcc, 0
	.set _ZN7rocprim17ROCPRIM_400000_NS6detail17trampoline_kernelINS0_14default_configENS1_25partition_config_selectorILNS1_17partition_subalgoE6EN6thrust23THRUST_200600_302600_NS5tupleIiiNS7_9null_typeES9_S9_S9_S9_S9_S9_S9_EENS0_10empty_typeEbEEZZNS1_14partition_implILS5_6ELb0ES3_mNS7_12zip_iteratorINS8_INS7_6detail15normal_iteratorINS7_10device_ptrIiEEEESJ_S9_S9_S9_S9_S9_S9_S9_S9_EEEEPSB_SM_NS0_5tupleIJNSE_INS8_ISJ_NS7_16discard_iteratorINS7_11use_defaultEEES9_S9_S9_S9_S9_S9_S9_S9_EEEESB_EEENSN_IJSM_SM_EEESB_PlJNSF_9not_fun_tINSF_14equal_to_valueISA_EEEEEEE10hipError_tPvRmT3_T4_T5_T6_T7_T9_mT8_P12ihipStream_tbDpT10_ENKUlT_T0_E_clISt17integral_constantIbLb1EES1J_EEDaS1E_S1F_EUlS1E_E_NS1_11comp_targetILNS1_3genE2ELNS1_11target_archE906ELNS1_3gpuE6ELNS1_3repE0EEENS1_30default_config_static_selectorELNS0_4arch9wavefront6targetE0EEEvT1_.uses_flat_scratch, 0
	.set _ZN7rocprim17ROCPRIM_400000_NS6detail17trampoline_kernelINS0_14default_configENS1_25partition_config_selectorILNS1_17partition_subalgoE6EN6thrust23THRUST_200600_302600_NS5tupleIiiNS7_9null_typeES9_S9_S9_S9_S9_S9_S9_EENS0_10empty_typeEbEEZZNS1_14partition_implILS5_6ELb0ES3_mNS7_12zip_iteratorINS8_INS7_6detail15normal_iteratorINS7_10device_ptrIiEEEESJ_S9_S9_S9_S9_S9_S9_S9_S9_EEEEPSB_SM_NS0_5tupleIJNSE_INS8_ISJ_NS7_16discard_iteratorINS7_11use_defaultEEES9_S9_S9_S9_S9_S9_S9_S9_EEEESB_EEENSN_IJSM_SM_EEESB_PlJNSF_9not_fun_tINSF_14equal_to_valueISA_EEEEEEE10hipError_tPvRmT3_T4_T5_T6_T7_T9_mT8_P12ihipStream_tbDpT10_ENKUlT_T0_E_clISt17integral_constantIbLb1EES1J_EEDaS1E_S1F_EUlS1E_E_NS1_11comp_targetILNS1_3genE2ELNS1_11target_archE906ELNS1_3gpuE6ELNS1_3repE0EEENS1_30default_config_static_selectorELNS0_4arch9wavefront6targetE0EEEvT1_.has_dyn_sized_stack, 0
	.set _ZN7rocprim17ROCPRIM_400000_NS6detail17trampoline_kernelINS0_14default_configENS1_25partition_config_selectorILNS1_17partition_subalgoE6EN6thrust23THRUST_200600_302600_NS5tupleIiiNS7_9null_typeES9_S9_S9_S9_S9_S9_S9_EENS0_10empty_typeEbEEZZNS1_14partition_implILS5_6ELb0ES3_mNS7_12zip_iteratorINS8_INS7_6detail15normal_iteratorINS7_10device_ptrIiEEEESJ_S9_S9_S9_S9_S9_S9_S9_S9_EEEEPSB_SM_NS0_5tupleIJNSE_INS8_ISJ_NS7_16discard_iteratorINS7_11use_defaultEEES9_S9_S9_S9_S9_S9_S9_S9_EEEESB_EEENSN_IJSM_SM_EEESB_PlJNSF_9not_fun_tINSF_14equal_to_valueISA_EEEEEEE10hipError_tPvRmT3_T4_T5_T6_T7_T9_mT8_P12ihipStream_tbDpT10_ENKUlT_T0_E_clISt17integral_constantIbLb1EES1J_EEDaS1E_S1F_EUlS1E_E_NS1_11comp_targetILNS1_3genE2ELNS1_11target_archE906ELNS1_3gpuE6ELNS1_3repE0EEENS1_30default_config_static_selectorELNS0_4arch9wavefront6targetE0EEEvT1_.has_recursion, 0
	.set _ZN7rocprim17ROCPRIM_400000_NS6detail17trampoline_kernelINS0_14default_configENS1_25partition_config_selectorILNS1_17partition_subalgoE6EN6thrust23THRUST_200600_302600_NS5tupleIiiNS7_9null_typeES9_S9_S9_S9_S9_S9_S9_EENS0_10empty_typeEbEEZZNS1_14partition_implILS5_6ELb0ES3_mNS7_12zip_iteratorINS8_INS7_6detail15normal_iteratorINS7_10device_ptrIiEEEESJ_S9_S9_S9_S9_S9_S9_S9_S9_EEEEPSB_SM_NS0_5tupleIJNSE_INS8_ISJ_NS7_16discard_iteratorINS7_11use_defaultEEES9_S9_S9_S9_S9_S9_S9_S9_EEEESB_EEENSN_IJSM_SM_EEESB_PlJNSF_9not_fun_tINSF_14equal_to_valueISA_EEEEEEE10hipError_tPvRmT3_T4_T5_T6_T7_T9_mT8_P12ihipStream_tbDpT10_ENKUlT_T0_E_clISt17integral_constantIbLb1EES1J_EEDaS1E_S1F_EUlS1E_E_NS1_11comp_targetILNS1_3genE2ELNS1_11target_archE906ELNS1_3gpuE6ELNS1_3repE0EEENS1_30default_config_static_selectorELNS0_4arch9wavefront6targetE0EEEvT1_.has_indirect_call, 0
	.section	.AMDGPU.csdata,"",@progbits
; Kernel info:
; codeLenInByte = 0
; TotalNumSgprs: 0
; NumVgprs: 0
; ScratchSize: 0
; MemoryBound: 0
; FloatMode: 240
; IeeeMode: 1
; LDSByteSize: 0 bytes/workgroup (compile time only)
; SGPRBlocks: 0
; VGPRBlocks: 0
; NumSGPRsForWavesPerEU: 1
; NumVGPRsForWavesPerEU: 1
; Occupancy: 16
; WaveLimiterHint : 0
; COMPUTE_PGM_RSRC2:SCRATCH_EN: 0
; COMPUTE_PGM_RSRC2:USER_SGPR: 2
; COMPUTE_PGM_RSRC2:TRAP_HANDLER: 0
; COMPUTE_PGM_RSRC2:TGID_X_EN: 1
; COMPUTE_PGM_RSRC2:TGID_Y_EN: 0
; COMPUTE_PGM_RSRC2:TGID_Z_EN: 0
; COMPUTE_PGM_RSRC2:TIDIG_COMP_CNT: 0
	.section	.text._ZN7rocprim17ROCPRIM_400000_NS6detail17trampoline_kernelINS0_14default_configENS1_25partition_config_selectorILNS1_17partition_subalgoE6EN6thrust23THRUST_200600_302600_NS5tupleIiiNS7_9null_typeES9_S9_S9_S9_S9_S9_S9_EENS0_10empty_typeEbEEZZNS1_14partition_implILS5_6ELb0ES3_mNS7_12zip_iteratorINS8_INS7_6detail15normal_iteratorINS7_10device_ptrIiEEEESJ_S9_S9_S9_S9_S9_S9_S9_S9_EEEEPSB_SM_NS0_5tupleIJNSE_INS8_ISJ_NS7_16discard_iteratorINS7_11use_defaultEEES9_S9_S9_S9_S9_S9_S9_S9_EEEESB_EEENSN_IJSM_SM_EEESB_PlJNSF_9not_fun_tINSF_14equal_to_valueISA_EEEEEEE10hipError_tPvRmT3_T4_T5_T6_T7_T9_mT8_P12ihipStream_tbDpT10_ENKUlT_T0_E_clISt17integral_constantIbLb1EES1J_EEDaS1E_S1F_EUlS1E_E_NS1_11comp_targetILNS1_3genE10ELNS1_11target_archE1200ELNS1_3gpuE4ELNS1_3repE0EEENS1_30default_config_static_selectorELNS0_4arch9wavefront6targetE0EEEvT1_,"axG",@progbits,_ZN7rocprim17ROCPRIM_400000_NS6detail17trampoline_kernelINS0_14default_configENS1_25partition_config_selectorILNS1_17partition_subalgoE6EN6thrust23THRUST_200600_302600_NS5tupleIiiNS7_9null_typeES9_S9_S9_S9_S9_S9_S9_EENS0_10empty_typeEbEEZZNS1_14partition_implILS5_6ELb0ES3_mNS7_12zip_iteratorINS8_INS7_6detail15normal_iteratorINS7_10device_ptrIiEEEESJ_S9_S9_S9_S9_S9_S9_S9_S9_EEEEPSB_SM_NS0_5tupleIJNSE_INS8_ISJ_NS7_16discard_iteratorINS7_11use_defaultEEES9_S9_S9_S9_S9_S9_S9_S9_EEEESB_EEENSN_IJSM_SM_EEESB_PlJNSF_9not_fun_tINSF_14equal_to_valueISA_EEEEEEE10hipError_tPvRmT3_T4_T5_T6_T7_T9_mT8_P12ihipStream_tbDpT10_ENKUlT_T0_E_clISt17integral_constantIbLb1EES1J_EEDaS1E_S1F_EUlS1E_E_NS1_11comp_targetILNS1_3genE10ELNS1_11target_archE1200ELNS1_3gpuE4ELNS1_3repE0EEENS1_30default_config_static_selectorELNS0_4arch9wavefront6targetE0EEEvT1_,comdat
	.protected	_ZN7rocprim17ROCPRIM_400000_NS6detail17trampoline_kernelINS0_14default_configENS1_25partition_config_selectorILNS1_17partition_subalgoE6EN6thrust23THRUST_200600_302600_NS5tupleIiiNS7_9null_typeES9_S9_S9_S9_S9_S9_S9_EENS0_10empty_typeEbEEZZNS1_14partition_implILS5_6ELb0ES3_mNS7_12zip_iteratorINS8_INS7_6detail15normal_iteratorINS7_10device_ptrIiEEEESJ_S9_S9_S9_S9_S9_S9_S9_S9_EEEEPSB_SM_NS0_5tupleIJNSE_INS8_ISJ_NS7_16discard_iteratorINS7_11use_defaultEEES9_S9_S9_S9_S9_S9_S9_S9_EEEESB_EEENSN_IJSM_SM_EEESB_PlJNSF_9not_fun_tINSF_14equal_to_valueISA_EEEEEEE10hipError_tPvRmT3_T4_T5_T6_T7_T9_mT8_P12ihipStream_tbDpT10_ENKUlT_T0_E_clISt17integral_constantIbLb1EES1J_EEDaS1E_S1F_EUlS1E_E_NS1_11comp_targetILNS1_3genE10ELNS1_11target_archE1200ELNS1_3gpuE4ELNS1_3repE0EEENS1_30default_config_static_selectorELNS0_4arch9wavefront6targetE0EEEvT1_ ; -- Begin function _ZN7rocprim17ROCPRIM_400000_NS6detail17trampoline_kernelINS0_14default_configENS1_25partition_config_selectorILNS1_17partition_subalgoE6EN6thrust23THRUST_200600_302600_NS5tupleIiiNS7_9null_typeES9_S9_S9_S9_S9_S9_S9_EENS0_10empty_typeEbEEZZNS1_14partition_implILS5_6ELb0ES3_mNS7_12zip_iteratorINS8_INS7_6detail15normal_iteratorINS7_10device_ptrIiEEEESJ_S9_S9_S9_S9_S9_S9_S9_S9_EEEEPSB_SM_NS0_5tupleIJNSE_INS8_ISJ_NS7_16discard_iteratorINS7_11use_defaultEEES9_S9_S9_S9_S9_S9_S9_S9_EEEESB_EEENSN_IJSM_SM_EEESB_PlJNSF_9not_fun_tINSF_14equal_to_valueISA_EEEEEEE10hipError_tPvRmT3_T4_T5_T6_T7_T9_mT8_P12ihipStream_tbDpT10_ENKUlT_T0_E_clISt17integral_constantIbLb1EES1J_EEDaS1E_S1F_EUlS1E_E_NS1_11comp_targetILNS1_3genE10ELNS1_11target_archE1200ELNS1_3gpuE4ELNS1_3repE0EEENS1_30default_config_static_selectorELNS0_4arch9wavefront6targetE0EEEvT1_
	.globl	_ZN7rocprim17ROCPRIM_400000_NS6detail17trampoline_kernelINS0_14default_configENS1_25partition_config_selectorILNS1_17partition_subalgoE6EN6thrust23THRUST_200600_302600_NS5tupleIiiNS7_9null_typeES9_S9_S9_S9_S9_S9_S9_EENS0_10empty_typeEbEEZZNS1_14partition_implILS5_6ELb0ES3_mNS7_12zip_iteratorINS8_INS7_6detail15normal_iteratorINS7_10device_ptrIiEEEESJ_S9_S9_S9_S9_S9_S9_S9_S9_EEEEPSB_SM_NS0_5tupleIJNSE_INS8_ISJ_NS7_16discard_iteratorINS7_11use_defaultEEES9_S9_S9_S9_S9_S9_S9_S9_EEEESB_EEENSN_IJSM_SM_EEESB_PlJNSF_9not_fun_tINSF_14equal_to_valueISA_EEEEEEE10hipError_tPvRmT3_T4_T5_T6_T7_T9_mT8_P12ihipStream_tbDpT10_ENKUlT_T0_E_clISt17integral_constantIbLb1EES1J_EEDaS1E_S1F_EUlS1E_E_NS1_11comp_targetILNS1_3genE10ELNS1_11target_archE1200ELNS1_3gpuE4ELNS1_3repE0EEENS1_30default_config_static_selectorELNS0_4arch9wavefront6targetE0EEEvT1_
	.p2align	8
	.type	_ZN7rocprim17ROCPRIM_400000_NS6detail17trampoline_kernelINS0_14default_configENS1_25partition_config_selectorILNS1_17partition_subalgoE6EN6thrust23THRUST_200600_302600_NS5tupleIiiNS7_9null_typeES9_S9_S9_S9_S9_S9_S9_EENS0_10empty_typeEbEEZZNS1_14partition_implILS5_6ELb0ES3_mNS7_12zip_iteratorINS8_INS7_6detail15normal_iteratorINS7_10device_ptrIiEEEESJ_S9_S9_S9_S9_S9_S9_S9_S9_EEEEPSB_SM_NS0_5tupleIJNSE_INS8_ISJ_NS7_16discard_iteratorINS7_11use_defaultEEES9_S9_S9_S9_S9_S9_S9_S9_EEEESB_EEENSN_IJSM_SM_EEESB_PlJNSF_9not_fun_tINSF_14equal_to_valueISA_EEEEEEE10hipError_tPvRmT3_T4_T5_T6_T7_T9_mT8_P12ihipStream_tbDpT10_ENKUlT_T0_E_clISt17integral_constantIbLb1EES1J_EEDaS1E_S1F_EUlS1E_E_NS1_11comp_targetILNS1_3genE10ELNS1_11target_archE1200ELNS1_3gpuE4ELNS1_3repE0EEENS1_30default_config_static_selectorELNS0_4arch9wavefront6targetE0EEEvT1_,@function
_ZN7rocprim17ROCPRIM_400000_NS6detail17trampoline_kernelINS0_14default_configENS1_25partition_config_selectorILNS1_17partition_subalgoE6EN6thrust23THRUST_200600_302600_NS5tupleIiiNS7_9null_typeES9_S9_S9_S9_S9_S9_S9_EENS0_10empty_typeEbEEZZNS1_14partition_implILS5_6ELb0ES3_mNS7_12zip_iteratorINS8_INS7_6detail15normal_iteratorINS7_10device_ptrIiEEEESJ_S9_S9_S9_S9_S9_S9_S9_S9_EEEEPSB_SM_NS0_5tupleIJNSE_INS8_ISJ_NS7_16discard_iteratorINS7_11use_defaultEEES9_S9_S9_S9_S9_S9_S9_S9_EEEESB_EEENSN_IJSM_SM_EEESB_PlJNSF_9not_fun_tINSF_14equal_to_valueISA_EEEEEEE10hipError_tPvRmT3_T4_T5_T6_T7_T9_mT8_P12ihipStream_tbDpT10_ENKUlT_T0_E_clISt17integral_constantIbLb1EES1J_EEDaS1E_S1F_EUlS1E_E_NS1_11comp_targetILNS1_3genE10ELNS1_11target_archE1200ELNS1_3gpuE4ELNS1_3repE0EEENS1_30default_config_static_selectorELNS0_4arch9wavefront6targetE0EEEvT1_: ; @_ZN7rocprim17ROCPRIM_400000_NS6detail17trampoline_kernelINS0_14default_configENS1_25partition_config_selectorILNS1_17partition_subalgoE6EN6thrust23THRUST_200600_302600_NS5tupleIiiNS7_9null_typeES9_S9_S9_S9_S9_S9_S9_EENS0_10empty_typeEbEEZZNS1_14partition_implILS5_6ELb0ES3_mNS7_12zip_iteratorINS8_INS7_6detail15normal_iteratorINS7_10device_ptrIiEEEESJ_S9_S9_S9_S9_S9_S9_S9_S9_EEEEPSB_SM_NS0_5tupleIJNSE_INS8_ISJ_NS7_16discard_iteratorINS7_11use_defaultEEES9_S9_S9_S9_S9_S9_S9_S9_EEEESB_EEENSN_IJSM_SM_EEESB_PlJNSF_9not_fun_tINSF_14equal_to_valueISA_EEEEEEE10hipError_tPvRmT3_T4_T5_T6_T7_T9_mT8_P12ihipStream_tbDpT10_ENKUlT_T0_E_clISt17integral_constantIbLb1EES1J_EEDaS1E_S1F_EUlS1E_E_NS1_11comp_targetILNS1_3genE10ELNS1_11target_archE1200ELNS1_3gpuE4ELNS1_3repE0EEENS1_30default_config_static_selectorELNS0_4arch9wavefront6targetE0EEEvT1_
; %bb.0:
	s_endpgm
	.section	.rodata,"a",@progbits
	.p2align	6, 0x0
	.amdhsa_kernel _ZN7rocprim17ROCPRIM_400000_NS6detail17trampoline_kernelINS0_14default_configENS1_25partition_config_selectorILNS1_17partition_subalgoE6EN6thrust23THRUST_200600_302600_NS5tupleIiiNS7_9null_typeES9_S9_S9_S9_S9_S9_S9_EENS0_10empty_typeEbEEZZNS1_14partition_implILS5_6ELb0ES3_mNS7_12zip_iteratorINS8_INS7_6detail15normal_iteratorINS7_10device_ptrIiEEEESJ_S9_S9_S9_S9_S9_S9_S9_S9_EEEEPSB_SM_NS0_5tupleIJNSE_INS8_ISJ_NS7_16discard_iteratorINS7_11use_defaultEEES9_S9_S9_S9_S9_S9_S9_S9_EEEESB_EEENSN_IJSM_SM_EEESB_PlJNSF_9not_fun_tINSF_14equal_to_valueISA_EEEEEEE10hipError_tPvRmT3_T4_T5_T6_T7_T9_mT8_P12ihipStream_tbDpT10_ENKUlT_T0_E_clISt17integral_constantIbLb1EES1J_EEDaS1E_S1F_EUlS1E_E_NS1_11comp_targetILNS1_3genE10ELNS1_11target_archE1200ELNS1_3gpuE4ELNS1_3repE0EEENS1_30default_config_static_selectorELNS0_4arch9wavefront6targetE0EEEvT1_
		.amdhsa_group_segment_fixed_size 0
		.amdhsa_private_segment_fixed_size 0
		.amdhsa_kernarg_size 152
		.amdhsa_user_sgpr_count 2
		.amdhsa_user_sgpr_dispatch_ptr 0
		.amdhsa_user_sgpr_queue_ptr 0
		.amdhsa_user_sgpr_kernarg_segment_ptr 1
		.amdhsa_user_sgpr_dispatch_id 0
		.amdhsa_user_sgpr_private_segment_size 0
		.amdhsa_wavefront_size32 1
		.amdhsa_uses_dynamic_stack 0
		.amdhsa_enable_private_segment 0
		.amdhsa_system_sgpr_workgroup_id_x 1
		.amdhsa_system_sgpr_workgroup_id_y 0
		.amdhsa_system_sgpr_workgroup_id_z 0
		.amdhsa_system_sgpr_workgroup_info 0
		.amdhsa_system_vgpr_workitem_id 0
		.amdhsa_next_free_vgpr 1
		.amdhsa_next_free_sgpr 1
		.amdhsa_reserve_vcc 0
		.amdhsa_float_round_mode_32 0
		.amdhsa_float_round_mode_16_64 0
		.amdhsa_float_denorm_mode_32 3
		.amdhsa_float_denorm_mode_16_64 3
		.amdhsa_fp16_overflow 0
		.amdhsa_workgroup_processor_mode 1
		.amdhsa_memory_ordered 1
		.amdhsa_forward_progress 1
		.amdhsa_inst_pref_size 1
		.amdhsa_round_robin_scheduling 0
		.amdhsa_exception_fp_ieee_invalid_op 0
		.amdhsa_exception_fp_denorm_src 0
		.amdhsa_exception_fp_ieee_div_zero 0
		.amdhsa_exception_fp_ieee_overflow 0
		.amdhsa_exception_fp_ieee_underflow 0
		.amdhsa_exception_fp_ieee_inexact 0
		.amdhsa_exception_int_div_zero 0
	.end_amdhsa_kernel
	.section	.text._ZN7rocprim17ROCPRIM_400000_NS6detail17trampoline_kernelINS0_14default_configENS1_25partition_config_selectorILNS1_17partition_subalgoE6EN6thrust23THRUST_200600_302600_NS5tupleIiiNS7_9null_typeES9_S9_S9_S9_S9_S9_S9_EENS0_10empty_typeEbEEZZNS1_14partition_implILS5_6ELb0ES3_mNS7_12zip_iteratorINS8_INS7_6detail15normal_iteratorINS7_10device_ptrIiEEEESJ_S9_S9_S9_S9_S9_S9_S9_S9_EEEEPSB_SM_NS0_5tupleIJNSE_INS8_ISJ_NS7_16discard_iteratorINS7_11use_defaultEEES9_S9_S9_S9_S9_S9_S9_S9_EEEESB_EEENSN_IJSM_SM_EEESB_PlJNSF_9not_fun_tINSF_14equal_to_valueISA_EEEEEEE10hipError_tPvRmT3_T4_T5_T6_T7_T9_mT8_P12ihipStream_tbDpT10_ENKUlT_T0_E_clISt17integral_constantIbLb1EES1J_EEDaS1E_S1F_EUlS1E_E_NS1_11comp_targetILNS1_3genE10ELNS1_11target_archE1200ELNS1_3gpuE4ELNS1_3repE0EEENS1_30default_config_static_selectorELNS0_4arch9wavefront6targetE0EEEvT1_,"axG",@progbits,_ZN7rocprim17ROCPRIM_400000_NS6detail17trampoline_kernelINS0_14default_configENS1_25partition_config_selectorILNS1_17partition_subalgoE6EN6thrust23THRUST_200600_302600_NS5tupleIiiNS7_9null_typeES9_S9_S9_S9_S9_S9_S9_EENS0_10empty_typeEbEEZZNS1_14partition_implILS5_6ELb0ES3_mNS7_12zip_iteratorINS8_INS7_6detail15normal_iteratorINS7_10device_ptrIiEEEESJ_S9_S9_S9_S9_S9_S9_S9_S9_EEEEPSB_SM_NS0_5tupleIJNSE_INS8_ISJ_NS7_16discard_iteratorINS7_11use_defaultEEES9_S9_S9_S9_S9_S9_S9_S9_EEEESB_EEENSN_IJSM_SM_EEESB_PlJNSF_9not_fun_tINSF_14equal_to_valueISA_EEEEEEE10hipError_tPvRmT3_T4_T5_T6_T7_T9_mT8_P12ihipStream_tbDpT10_ENKUlT_T0_E_clISt17integral_constantIbLb1EES1J_EEDaS1E_S1F_EUlS1E_E_NS1_11comp_targetILNS1_3genE10ELNS1_11target_archE1200ELNS1_3gpuE4ELNS1_3repE0EEENS1_30default_config_static_selectorELNS0_4arch9wavefront6targetE0EEEvT1_,comdat
.Lfunc_end2026:
	.size	_ZN7rocprim17ROCPRIM_400000_NS6detail17trampoline_kernelINS0_14default_configENS1_25partition_config_selectorILNS1_17partition_subalgoE6EN6thrust23THRUST_200600_302600_NS5tupleIiiNS7_9null_typeES9_S9_S9_S9_S9_S9_S9_EENS0_10empty_typeEbEEZZNS1_14partition_implILS5_6ELb0ES3_mNS7_12zip_iteratorINS8_INS7_6detail15normal_iteratorINS7_10device_ptrIiEEEESJ_S9_S9_S9_S9_S9_S9_S9_S9_EEEEPSB_SM_NS0_5tupleIJNSE_INS8_ISJ_NS7_16discard_iteratorINS7_11use_defaultEEES9_S9_S9_S9_S9_S9_S9_S9_EEEESB_EEENSN_IJSM_SM_EEESB_PlJNSF_9not_fun_tINSF_14equal_to_valueISA_EEEEEEE10hipError_tPvRmT3_T4_T5_T6_T7_T9_mT8_P12ihipStream_tbDpT10_ENKUlT_T0_E_clISt17integral_constantIbLb1EES1J_EEDaS1E_S1F_EUlS1E_E_NS1_11comp_targetILNS1_3genE10ELNS1_11target_archE1200ELNS1_3gpuE4ELNS1_3repE0EEENS1_30default_config_static_selectorELNS0_4arch9wavefront6targetE0EEEvT1_, .Lfunc_end2026-_ZN7rocprim17ROCPRIM_400000_NS6detail17trampoline_kernelINS0_14default_configENS1_25partition_config_selectorILNS1_17partition_subalgoE6EN6thrust23THRUST_200600_302600_NS5tupleIiiNS7_9null_typeES9_S9_S9_S9_S9_S9_S9_EENS0_10empty_typeEbEEZZNS1_14partition_implILS5_6ELb0ES3_mNS7_12zip_iteratorINS8_INS7_6detail15normal_iteratorINS7_10device_ptrIiEEEESJ_S9_S9_S9_S9_S9_S9_S9_S9_EEEEPSB_SM_NS0_5tupleIJNSE_INS8_ISJ_NS7_16discard_iteratorINS7_11use_defaultEEES9_S9_S9_S9_S9_S9_S9_S9_EEEESB_EEENSN_IJSM_SM_EEESB_PlJNSF_9not_fun_tINSF_14equal_to_valueISA_EEEEEEE10hipError_tPvRmT3_T4_T5_T6_T7_T9_mT8_P12ihipStream_tbDpT10_ENKUlT_T0_E_clISt17integral_constantIbLb1EES1J_EEDaS1E_S1F_EUlS1E_E_NS1_11comp_targetILNS1_3genE10ELNS1_11target_archE1200ELNS1_3gpuE4ELNS1_3repE0EEENS1_30default_config_static_selectorELNS0_4arch9wavefront6targetE0EEEvT1_
                                        ; -- End function
	.set _ZN7rocprim17ROCPRIM_400000_NS6detail17trampoline_kernelINS0_14default_configENS1_25partition_config_selectorILNS1_17partition_subalgoE6EN6thrust23THRUST_200600_302600_NS5tupleIiiNS7_9null_typeES9_S9_S9_S9_S9_S9_S9_EENS0_10empty_typeEbEEZZNS1_14partition_implILS5_6ELb0ES3_mNS7_12zip_iteratorINS8_INS7_6detail15normal_iteratorINS7_10device_ptrIiEEEESJ_S9_S9_S9_S9_S9_S9_S9_S9_EEEEPSB_SM_NS0_5tupleIJNSE_INS8_ISJ_NS7_16discard_iteratorINS7_11use_defaultEEES9_S9_S9_S9_S9_S9_S9_S9_EEEESB_EEENSN_IJSM_SM_EEESB_PlJNSF_9not_fun_tINSF_14equal_to_valueISA_EEEEEEE10hipError_tPvRmT3_T4_T5_T6_T7_T9_mT8_P12ihipStream_tbDpT10_ENKUlT_T0_E_clISt17integral_constantIbLb1EES1J_EEDaS1E_S1F_EUlS1E_E_NS1_11comp_targetILNS1_3genE10ELNS1_11target_archE1200ELNS1_3gpuE4ELNS1_3repE0EEENS1_30default_config_static_selectorELNS0_4arch9wavefront6targetE0EEEvT1_.num_vgpr, 0
	.set _ZN7rocprim17ROCPRIM_400000_NS6detail17trampoline_kernelINS0_14default_configENS1_25partition_config_selectorILNS1_17partition_subalgoE6EN6thrust23THRUST_200600_302600_NS5tupleIiiNS7_9null_typeES9_S9_S9_S9_S9_S9_S9_EENS0_10empty_typeEbEEZZNS1_14partition_implILS5_6ELb0ES3_mNS7_12zip_iteratorINS8_INS7_6detail15normal_iteratorINS7_10device_ptrIiEEEESJ_S9_S9_S9_S9_S9_S9_S9_S9_EEEEPSB_SM_NS0_5tupleIJNSE_INS8_ISJ_NS7_16discard_iteratorINS7_11use_defaultEEES9_S9_S9_S9_S9_S9_S9_S9_EEEESB_EEENSN_IJSM_SM_EEESB_PlJNSF_9not_fun_tINSF_14equal_to_valueISA_EEEEEEE10hipError_tPvRmT3_T4_T5_T6_T7_T9_mT8_P12ihipStream_tbDpT10_ENKUlT_T0_E_clISt17integral_constantIbLb1EES1J_EEDaS1E_S1F_EUlS1E_E_NS1_11comp_targetILNS1_3genE10ELNS1_11target_archE1200ELNS1_3gpuE4ELNS1_3repE0EEENS1_30default_config_static_selectorELNS0_4arch9wavefront6targetE0EEEvT1_.num_agpr, 0
	.set _ZN7rocprim17ROCPRIM_400000_NS6detail17trampoline_kernelINS0_14default_configENS1_25partition_config_selectorILNS1_17partition_subalgoE6EN6thrust23THRUST_200600_302600_NS5tupleIiiNS7_9null_typeES9_S9_S9_S9_S9_S9_S9_EENS0_10empty_typeEbEEZZNS1_14partition_implILS5_6ELb0ES3_mNS7_12zip_iteratorINS8_INS7_6detail15normal_iteratorINS7_10device_ptrIiEEEESJ_S9_S9_S9_S9_S9_S9_S9_S9_EEEEPSB_SM_NS0_5tupleIJNSE_INS8_ISJ_NS7_16discard_iteratorINS7_11use_defaultEEES9_S9_S9_S9_S9_S9_S9_S9_EEEESB_EEENSN_IJSM_SM_EEESB_PlJNSF_9not_fun_tINSF_14equal_to_valueISA_EEEEEEE10hipError_tPvRmT3_T4_T5_T6_T7_T9_mT8_P12ihipStream_tbDpT10_ENKUlT_T0_E_clISt17integral_constantIbLb1EES1J_EEDaS1E_S1F_EUlS1E_E_NS1_11comp_targetILNS1_3genE10ELNS1_11target_archE1200ELNS1_3gpuE4ELNS1_3repE0EEENS1_30default_config_static_selectorELNS0_4arch9wavefront6targetE0EEEvT1_.numbered_sgpr, 0
	.set _ZN7rocprim17ROCPRIM_400000_NS6detail17trampoline_kernelINS0_14default_configENS1_25partition_config_selectorILNS1_17partition_subalgoE6EN6thrust23THRUST_200600_302600_NS5tupleIiiNS7_9null_typeES9_S9_S9_S9_S9_S9_S9_EENS0_10empty_typeEbEEZZNS1_14partition_implILS5_6ELb0ES3_mNS7_12zip_iteratorINS8_INS7_6detail15normal_iteratorINS7_10device_ptrIiEEEESJ_S9_S9_S9_S9_S9_S9_S9_S9_EEEEPSB_SM_NS0_5tupleIJNSE_INS8_ISJ_NS7_16discard_iteratorINS7_11use_defaultEEES9_S9_S9_S9_S9_S9_S9_S9_EEEESB_EEENSN_IJSM_SM_EEESB_PlJNSF_9not_fun_tINSF_14equal_to_valueISA_EEEEEEE10hipError_tPvRmT3_T4_T5_T6_T7_T9_mT8_P12ihipStream_tbDpT10_ENKUlT_T0_E_clISt17integral_constantIbLb1EES1J_EEDaS1E_S1F_EUlS1E_E_NS1_11comp_targetILNS1_3genE10ELNS1_11target_archE1200ELNS1_3gpuE4ELNS1_3repE0EEENS1_30default_config_static_selectorELNS0_4arch9wavefront6targetE0EEEvT1_.num_named_barrier, 0
	.set _ZN7rocprim17ROCPRIM_400000_NS6detail17trampoline_kernelINS0_14default_configENS1_25partition_config_selectorILNS1_17partition_subalgoE6EN6thrust23THRUST_200600_302600_NS5tupleIiiNS7_9null_typeES9_S9_S9_S9_S9_S9_S9_EENS0_10empty_typeEbEEZZNS1_14partition_implILS5_6ELb0ES3_mNS7_12zip_iteratorINS8_INS7_6detail15normal_iteratorINS7_10device_ptrIiEEEESJ_S9_S9_S9_S9_S9_S9_S9_S9_EEEEPSB_SM_NS0_5tupleIJNSE_INS8_ISJ_NS7_16discard_iteratorINS7_11use_defaultEEES9_S9_S9_S9_S9_S9_S9_S9_EEEESB_EEENSN_IJSM_SM_EEESB_PlJNSF_9not_fun_tINSF_14equal_to_valueISA_EEEEEEE10hipError_tPvRmT3_T4_T5_T6_T7_T9_mT8_P12ihipStream_tbDpT10_ENKUlT_T0_E_clISt17integral_constantIbLb1EES1J_EEDaS1E_S1F_EUlS1E_E_NS1_11comp_targetILNS1_3genE10ELNS1_11target_archE1200ELNS1_3gpuE4ELNS1_3repE0EEENS1_30default_config_static_selectorELNS0_4arch9wavefront6targetE0EEEvT1_.private_seg_size, 0
	.set _ZN7rocprim17ROCPRIM_400000_NS6detail17trampoline_kernelINS0_14default_configENS1_25partition_config_selectorILNS1_17partition_subalgoE6EN6thrust23THRUST_200600_302600_NS5tupleIiiNS7_9null_typeES9_S9_S9_S9_S9_S9_S9_EENS0_10empty_typeEbEEZZNS1_14partition_implILS5_6ELb0ES3_mNS7_12zip_iteratorINS8_INS7_6detail15normal_iteratorINS7_10device_ptrIiEEEESJ_S9_S9_S9_S9_S9_S9_S9_S9_EEEEPSB_SM_NS0_5tupleIJNSE_INS8_ISJ_NS7_16discard_iteratorINS7_11use_defaultEEES9_S9_S9_S9_S9_S9_S9_S9_EEEESB_EEENSN_IJSM_SM_EEESB_PlJNSF_9not_fun_tINSF_14equal_to_valueISA_EEEEEEE10hipError_tPvRmT3_T4_T5_T6_T7_T9_mT8_P12ihipStream_tbDpT10_ENKUlT_T0_E_clISt17integral_constantIbLb1EES1J_EEDaS1E_S1F_EUlS1E_E_NS1_11comp_targetILNS1_3genE10ELNS1_11target_archE1200ELNS1_3gpuE4ELNS1_3repE0EEENS1_30default_config_static_selectorELNS0_4arch9wavefront6targetE0EEEvT1_.uses_vcc, 0
	.set _ZN7rocprim17ROCPRIM_400000_NS6detail17trampoline_kernelINS0_14default_configENS1_25partition_config_selectorILNS1_17partition_subalgoE6EN6thrust23THRUST_200600_302600_NS5tupleIiiNS7_9null_typeES9_S9_S9_S9_S9_S9_S9_EENS0_10empty_typeEbEEZZNS1_14partition_implILS5_6ELb0ES3_mNS7_12zip_iteratorINS8_INS7_6detail15normal_iteratorINS7_10device_ptrIiEEEESJ_S9_S9_S9_S9_S9_S9_S9_S9_EEEEPSB_SM_NS0_5tupleIJNSE_INS8_ISJ_NS7_16discard_iteratorINS7_11use_defaultEEES9_S9_S9_S9_S9_S9_S9_S9_EEEESB_EEENSN_IJSM_SM_EEESB_PlJNSF_9not_fun_tINSF_14equal_to_valueISA_EEEEEEE10hipError_tPvRmT3_T4_T5_T6_T7_T9_mT8_P12ihipStream_tbDpT10_ENKUlT_T0_E_clISt17integral_constantIbLb1EES1J_EEDaS1E_S1F_EUlS1E_E_NS1_11comp_targetILNS1_3genE10ELNS1_11target_archE1200ELNS1_3gpuE4ELNS1_3repE0EEENS1_30default_config_static_selectorELNS0_4arch9wavefront6targetE0EEEvT1_.uses_flat_scratch, 0
	.set _ZN7rocprim17ROCPRIM_400000_NS6detail17trampoline_kernelINS0_14default_configENS1_25partition_config_selectorILNS1_17partition_subalgoE6EN6thrust23THRUST_200600_302600_NS5tupleIiiNS7_9null_typeES9_S9_S9_S9_S9_S9_S9_EENS0_10empty_typeEbEEZZNS1_14partition_implILS5_6ELb0ES3_mNS7_12zip_iteratorINS8_INS7_6detail15normal_iteratorINS7_10device_ptrIiEEEESJ_S9_S9_S9_S9_S9_S9_S9_S9_EEEEPSB_SM_NS0_5tupleIJNSE_INS8_ISJ_NS7_16discard_iteratorINS7_11use_defaultEEES9_S9_S9_S9_S9_S9_S9_S9_EEEESB_EEENSN_IJSM_SM_EEESB_PlJNSF_9not_fun_tINSF_14equal_to_valueISA_EEEEEEE10hipError_tPvRmT3_T4_T5_T6_T7_T9_mT8_P12ihipStream_tbDpT10_ENKUlT_T0_E_clISt17integral_constantIbLb1EES1J_EEDaS1E_S1F_EUlS1E_E_NS1_11comp_targetILNS1_3genE10ELNS1_11target_archE1200ELNS1_3gpuE4ELNS1_3repE0EEENS1_30default_config_static_selectorELNS0_4arch9wavefront6targetE0EEEvT1_.has_dyn_sized_stack, 0
	.set _ZN7rocprim17ROCPRIM_400000_NS6detail17trampoline_kernelINS0_14default_configENS1_25partition_config_selectorILNS1_17partition_subalgoE6EN6thrust23THRUST_200600_302600_NS5tupleIiiNS7_9null_typeES9_S9_S9_S9_S9_S9_S9_EENS0_10empty_typeEbEEZZNS1_14partition_implILS5_6ELb0ES3_mNS7_12zip_iteratorINS8_INS7_6detail15normal_iteratorINS7_10device_ptrIiEEEESJ_S9_S9_S9_S9_S9_S9_S9_S9_EEEEPSB_SM_NS0_5tupleIJNSE_INS8_ISJ_NS7_16discard_iteratorINS7_11use_defaultEEES9_S9_S9_S9_S9_S9_S9_S9_EEEESB_EEENSN_IJSM_SM_EEESB_PlJNSF_9not_fun_tINSF_14equal_to_valueISA_EEEEEEE10hipError_tPvRmT3_T4_T5_T6_T7_T9_mT8_P12ihipStream_tbDpT10_ENKUlT_T0_E_clISt17integral_constantIbLb1EES1J_EEDaS1E_S1F_EUlS1E_E_NS1_11comp_targetILNS1_3genE10ELNS1_11target_archE1200ELNS1_3gpuE4ELNS1_3repE0EEENS1_30default_config_static_selectorELNS0_4arch9wavefront6targetE0EEEvT1_.has_recursion, 0
	.set _ZN7rocprim17ROCPRIM_400000_NS6detail17trampoline_kernelINS0_14default_configENS1_25partition_config_selectorILNS1_17partition_subalgoE6EN6thrust23THRUST_200600_302600_NS5tupleIiiNS7_9null_typeES9_S9_S9_S9_S9_S9_S9_EENS0_10empty_typeEbEEZZNS1_14partition_implILS5_6ELb0ES3_mNS7_12zip_iteratorINS8_INS7_6detail15normal_iteratorINS7_10device_ptrIiEEEESJ_S9_S9_S9_S9_S9_S9_S9_S9_EEEEPSB_SM_NS0_5tupleIJNSE_INS8_ISJ_NS7_16discard_iteratorINS7_11use_defaultEEES9_S9_S9_S9_S9_S9_S9_S9_EEEESB_EEENSN_IJSM_SM_EEESB_PlJNSF_9not_fun_tINSF_14equal_to_valueISA_EEEEEEE10hipError_tPvRmT3_T4_T5_T6_T7_T9_mT8_P12ihipStream_tbDpT10_ENKUlT_T0_E_clISt17integral_constantIbLb1EES1J_EEDaS1E_S1F_EUlS1E_E_NS1_11comp_targetILNS1_3genE10ELNS1_11target_archE1200ELNS1_3gpuE4ELNS1_3repE0EEENS1_30default_config_static_selectorELNS0_4arch9wavefront6targetE0EEEvT1_.has_indirect_call, 0
	.section	.AMDGPU.csdata,"",@progbits
; Kernel info:
; codeLenInByte = 4
; TotalNumSgprs: 0
; NumVgprs: 0
; ScratchSize: 0
; MemoryBound: 0
; FloatMode: 240
; IeeeMode: 1
; LDSByteSize: 0 bytes/workgroup (compile time only)
; SGPRBlocks: 0
; VGPRBlocks: 0
; NumSGPRsForWavesPerEU: 1
; NumVGPRsForWavesPerEU: 1
; Occupancy: 16
; WaveLimiterHint : 0
; COMPUTE_PGM_RSRC2:SCRATCH_EN: 0
; COMPUTE_PGM_RSRC2:USER_SGPR: 2
; COMPUTE_PGM_RSRC2:TRAP_HANDLER: 0
; COMPUTE_PGM_RSRC2:TGID_X_EN: 1
; COMPUTE_PGM_RSRC2:TGID_Y_EN: 0
; COMPUTE_PGM_RSRC2:TGID_Z_EN: 0
; COMPUTE_PGM_RSRC2:TIDIG_COMP_CNT: 0
	.section	.text._ZN7rocprim17ROCPRIM_400000_NS6detail17trampoline_kernelINS0_14default_configENS1_25partition_config_selectorILNS1_17partition_subalgoE6EN6thrust23THRUST_200600_302600_NS5tupleIiiNS7_9null_typeES9_S9_S9_S9_S9_S9_S9_EENS0_10empty_typeEbEEZZNS1_14partition_implILS5_6ELb0ES3_mNS7_12zip_iteratorINS8_INS7_6detail15normal_iteratorINS7_10device_ptrIiEEEESJ_S9_S9_S9_S9_S9_S9_S9_S9_EEEEPSB_SM_NS0_5tupleIJNSE_INS8_ISJ_NS7_16discard_iteratorINS7_11use_defaultEEES9_S9_S9_S9_S9_S9_S9_S9_EEEESB_EEENSN_IJSM_SM_EEESB_PlJNSF_9not_fun_tINSF_14equal_to_valueISA_EEEEEEE10hipError_tPvRmT3_T4_T5_T6_T7_T9_mT8_P12ihipStream_tbDpT10_ENKUlT_T0_E_clISt17integral_constantIbLb1EES1J_EEDaS1E_S1F_EUlS1E_E_NS1_11comp_targetILNS1_3genE9ELNS1_11target_archE1100ELNS1_3gpuE3ELNS1_3repE0EEENS1_30default_config_static_selectorELNS0_4arch9wavefront6targetE0EEEvT1_,"axG",@progbits,_ZN7rocprim17ROCPRIM_400000_NS6detail17trampoline_kernelINS0_14default_configENS1_25partition_config_selectorILNS1_17partition_subalgoE6EN6thrust23THRUST_200600_302600_NS5tupleIiiNS7_9null_typeES9_S9_S9_S9_S9_S9_S9_EENS0_10empty_typeEbEEZZNS1_14partition_implILS5_6ELb0ES3_mNS7_12zip_iteratorINS8_INS7_6detail15normal_iteratorINS7_10device_ptrIiEEEESJ_S9_S9_S9_S9_S9_S9_S9_S9_EEEEPSB_SM_NS0_5tupleIJNSE_INS8_ISJ_NS7_16discard_iteratorINS7_11use_defaultEEES9_S9_S9_S9_S9_S9_S9_S9_EEEESB_EEENSN_IJSM_SM_EEESB_PlJNSF_9not_fun_tINSF_14equal_to_valueISA_EEEEEEE10hipError_tPvRmT3_T4_T5_T6_T7_T9_mT8_P12ihipStream_tbDpT10_ENKUlT_T0_E_clISt17integral_constantIbLb1EES1J_EEDaS1E_S1F_EUlS1E_E_NS1_11comp_targetILNS1_3genE9ELNS1_11target_archE1100ELNS1_3gpuE3ELNS1_3repE0EEENS1_30default_config_static_selectorELNS0_4arch9wavefront6targetE0EEEvT1_,comdat
	.protected	_ZN7rocprim17ROCPRIM_400000_NS6detail17trampoline_kernelINS0_14default_configENS1_25partition_config_selectorILNS1_17partition_subalgoE6EN6thrust23THRUST_200600_302600_NS5tupleIiiNS7_9null_typeES9_S9_S9_S9_S9_S9_S9_EENS0_10empty_typeEbEEZZNS1_14partition_implILS5_6ELb0ES3_mNS7_12zip_iteratorINS8_INS7_6detail15normal_iteratorINS7_10device_ptrIiEEEESJ_S9_S9_S9_S9_S9_S9_S9_S9_EEEEPSB_SM_NS0_5tupleIJNSE_INS8_ISJ_NS7_16discard_iteratorINS7_11use_defaultEEES9_S9_S9_S9_S9_S9_S9_S9_EEEESB_EEENSN_IJSM_SM_EEESB_PlJNSF_9not_fun_tINSF_14equal_to_valueISA_EEEEEEE10hipError_tPvRmT3_T4_T5_T6_T7_T9_mT8_P12ihipStream_tbDpT10_ENKUlT_T0_E_clISt17integral_constantIbLb1EES1J_EEDaS1E_S1F_EUlS1E_E_NS1_11comp_targetILNS1_3genE9ELNS1_11target_archE1100ELNS1_3gpuE3ELNS1_3repE0EEENS1_30default_config_static_selectorELNS0_4arch9wavefront6targetE0EEEvT1_ ; -- Begin function _ZN7rocprim17ROCPRIM_400000_NS6detail17trampoline_kernelINS0_14default_configENS1_25partition_config_selectorILNS1_17partition_subalgoE6EN6thrust23THRUST_200600_302600_NS5tupleIiiNS7_9null_typeES9_S9_S9_S9_S9_S9_S9_EENS0_10empty_typeEbEEZZNS1_14partition_implILS5_6ELb0ES3_mNS7_12zip_iteratorINS8_INS7_6detail15normal_iteratorINS7_10device_ptrIiEEEESJ_S9_S9_S9_S9_S9_S9_S9_S9_EEEEPSB_SM_NS0_5tupleIJNSE_INS8_ISJ_NS7_16discard_iteratorINS7_11use_defaultEEES9_S9_S9_S9_S9_S9_S9_S9_EEEESB_EEENSN_IJSM_SM_EEESB_PlJNSF_9not_fun_tINSF_14equal_to_valueISA_EEEEEEE10hipError_tPvRmT3_T4_T5_T6_T7_T9_mT8_P12ihipStream_tbDpT10_ENKUlT_T0_E_clISt17integral_constantIbLb1EES1J_EEDaS1E_S1F_EUlS1E_E_NS1_11comp_targetILNS1_3genE9ELNS1_11target_archE1100ELNS1_3gpuE3ELNS1_3repE0EEENS1_30default_config_static_selectorELNS0_4arch9wavefront6targetE0EEEvT1_
	.globl	_ZN7rocprim17ROCPRIM_400000_NS6detail17trampoline_kernelINS0_14default_configENS1_25partition_config_selectorILNS1_17partition_subalgoE6EN6thrust23THRUST_200600_302600_NS5tupleIiiNS7_9null_typeES9_S9_S9_S9_S9_S9_S9_EENS0_10empty_typeEbEEZZNS1_14partition_implILS5_6ELb0ES3_mNS7_12zip_iteratorINS8_INS7_6detail15normal_iteratorINS7_10device_ptrIiEEEESJ_S9_S9_S9_S9_S9_S9_S9_S9_EEEEPSB_SM_NS0_5tupleIJNSE_INS8_ISJ_NS7_16discard_iteratorINS7_11use_defaultEEES9_S9_S9_S9_S9_S9_S9_S9_EEEESB_EEENSN_IJSM_SM_EEESB_PlJNSF_9not_fun_tINSF_14equal_to_valueISA_EEEEEEE10hipError_tPvRmT3_T4_T5_T6_T7_T9_mT8_P12ihipStream_tbDpT10_ENKUlT_T0_E_clISt17integral_constantIbLb1EES1J_EEDaS1E_S1F_EUlS1E_E_NS1_11comp_targetILNS1_3genE9ELNS1_11target_archE1100ELNS1_3gpuE3ELNS1_3repE0EEENS1_30default_config_static_selectorELNS0_4arch9wavefront6targetE0EEEvT1_
	.p2align	8
	.type	_ZN7rocprim17ROCPRIM_400000_NS6detail17trampoline_kernelINS0_14default_configENS1_25partition_config_selectorILNS1_17partition_subalgoE6EN6thrust23THRUST_200600_302600_NS5tupleIiiNS7_9null_typeES9_S9_S9_S9_S9_S9_S9_EENS0_10empty_typeEbEEZZNS1_14partition_implILS5_6ELb0ES3_mNS7_12zip_iteratorINS8_INS7_6detail15normal_iteratorINS7_10device_ptrIiEEEESJ_S9_S9_S9_S9_S9_S9_S9_S9_EEEEPSB_SM_NS0_5tupleIJNSE_INS8_ISJ_NS7_16discard_iteratorINS7_11use_defaultEEES9_S9_S9_S9_S9_S9_S9_S9_EEEESB_EEENSN_IJSM_SM_EEESB_PlJNSF_9not_fun_tINSF_14equal_to_valueISA_EEEEEEE10hipError_tPvRmT3_T4_T5_T6_T7_T9_mT8_P12ihipStream_tbDpT10_ENKUlT_T0_E_clISt17integral_constantIbLb1EES1J_EEDaS1E_S1F_EUlS1E_E_NS1_11comp_targetILNS1_3genE9ELNS1_11target_archE1100ELNS1_3gpuE3ELNS1_3repE0EEENS1_30default_config_static_selectorELNS0_4arch9wavefront6targetE0EEEvT1_,@function
_ZN7rocprim17ROCPRIM_400000_NS6detail17trampoline_kernelINS0_14default_configENS1_25partition_config_selectorILNS1_17partition_subalgoE6EN6thrust23THRUST_200600_302600_NS5tupleIiiNS7_9null_typeES9_S9_S9_S9_S9_S9_S9_EENS0_10empty_typeEbEEZZNS1_14partition_implILS5_6ELb0ES3_mNS7_12zip_iteratorINS8_INS7_6detail15normal_iteratorINS7_10device_ptrIiEEEESJ_S9_S9_S9_S9_S9_S9_S9_S9_EEEEPSB_SM_NS0_5tupleIJNSE_INS8_ISJ_NS7_16discard_iteratorINS7_11use_defaultEEES9_S9_S9_S9_S9_S9_S9_S9_EEEESB_EEENSN_IJSM_SM_EEESB_PlJNSF_9not_fun_tINSF_14equal_to_valueISA_EEEEEEE10hipError_tPvRmT3_T4_T5_T6_T7_T9_mT8_P12ihipStream_tbDpT10_ENKUlT_T0_E_clISt17integral_constantIbLb1EES1J_EEDaS1E_S1F_EUlS1E_E_NS1_11comp_targetILNS1_3genE9ELNS1_11target_archE1100ELNS1_3gpuE3ELNS1_3repE0EEENS1_30default_config_static_selectorELNS0_4arch9wavefront6targetE0EEEvT1_: ; @_ZN7rocprim17ROCPRIM_400000_NS6detail17trampoline_kernelINS0_14default_configENS1_25partition_config_selectorILNS1_17partition_subalgoE6EN6thrust23THRUST_200600_302600_NS5tupleIiiNS7_9null_typeES9_S9_S9_S9_S9_S9_S9_EENS0_10empty_typeEbEEZZNS1_14partition_implILS5_6ELb0ES3_mNS7_12zip_iteratorINS8_INS7_6detail15normal_iteratorINS7_10device_ptrIiEEEESJ_S9_S9_S9_S9_S9_S9_S9_S9_EEEEPSB_SM_NS0_5tupleIJNSE_INS8_ISJ_NS7_16discard_iteratorINS7_11use_defaultEEES9_S9_S9_S9_S9_S9_S9_S9_EEEESB_EEENSN_IJSM_SM_EEESB_PlJNSF_9not_fun_tINSF_14equal_to_valueISA_EEEEEEE10hipError_tPvRmT3_T4_T5_T6_T7_T9_mT8_P12ihipStream_tbDpT10_ENKUlT_T0_E_clISt17integral_constantIbLb1EES1J_EEDaS1E_S1F_EUlS1E_E_NS1_11comp_targetILNS1_3genE9ELNS1_11target_archE1100ELNS1_3gpuE3ELNS1_3repE0EEENS1_30default_config_static_selectorELNS0_4arch9wavefront6targetE0EEEvT1_
; %bb.0:
	.section	.rodata,"a",@progbits
	.p2align	6, 0x0
	.amdhsa_kernel _ZN7rocprim17ROCPRIM_400000_NS6detail17trampoline_kernelINS0_14default_configENS1_25partition_config_selectorILNS1_17partition_subalgoE6EN6thrust23THRUST_200600_302600_NS5tupleIiiNS7_9null_typeES9_S9_S9_S9_S9_S9_S9_EENS0_10empty_typeEbEEZZNS1_14partition_implILS5_6ELb0ES3_mNS7_12zip_iteratorINS8_INS7_6detail15normal_iteratorINS7_10device_ptrIiEEEESJ_S9_S9_S9_S9_S9_S9_S9_S9_EEEEPSB_SM_NS0_5tupleIJNSE_INS8_ISJ_NS7_16discard_iteratorINS7_11use_defaultEEES9_S9_S9_S9_S9_S9_S9_S9_EEEESB_EEENSN_IJSM_SM_EEESB_PlJNSF_9not_fun_tINSF_14equal_to_valueISA_EEEEEEE10hipError_tPvRmT3_T4_T5_T6_T7_T9_mT8_P12ihipStream_tbDpT10_ENKUlT_T0_E_clISt17integral_constantIbLb1EES1J_EEDaS1E_S1F_EUlS1E_E_NS1_11comp_targetILNS1_3genE9ELNS1_11target_archE1100ELNS1_3gpuE3ELNS1_3repE0EEENS1_30default_config_static_selectorELNS0_4arch9wavefront6targetE0EEEvT1_
		.amdhsa_group_segment_fixed_size 0
		.amdhsa_private_segment_fixed_size 0
		.amdhsa_kernarg_size 152
		.amdhsa_user_sgpr_count 2
		.amdhsa_user_sgpr_dispatch_ptr 0
		.amdhsa_user_sgpr_queue_ptr 0
		.amdhsa_user_sgpr_kernarg_segment_ptr 1
		.amdhsa_user_sgpr_dispatch_id 0
		.amdhsa_user_sgpr_private_segment_size 0
		.amdhsa_wavefront_size32 1
		.amdhsa_uses_dynamic_stack 0
		.amdhsa_enable_private_segment 0
		.amdhsa_system_sgpr_workgroup_id_x 1
		.amdhsa_system_sgpr_workgroup_id_y 0
		.amdhsa_system_sgpr_workgroup_id_z 0
		.amdhsa_system_sgpr_workgroup_info 0
		.amdhsa_system_vgpr_workitem_id 0
		.amdhsa_next_free_vgpr 1
		.amdhsa_next_free_sgpr 1
		.amdhsa_reserve_vcc 0
		.amdhsa_float_round_mode_32 0
		.amdhsa_float_round_mode_16_64 0
		.amdhsa_float_denorm_mode_32 3
		.amdhsa_float_denorm_mode_16_64 3
		.amdhsa_fp16_overflow 0
		.amdhsa_workgroup_processor_mode 1
		.amdhsa_memory_ordered 1
		.amdhsa_forward_progress 1
		.amdhsa_inst_pref_size 0
		.amdhsa_round_robin_scheduling 0
		.amdhsa_exception_fp_ieee_invalid_op 0
		.amdhsa_exception_fp_denorm_src 0
		.amdhsa_exception_fp_ieee_div_zero 0
		.amdhsa_exception_fp_ieee_overflow 0
		.amdhsa_exception_fp_ieee_underflow 0
		.amdhsa_exception_fp_ieee_inexact 0
		.amdhsa_exception_int_div_zero 0
	.end_amdhsa_kernel
	.section	.text._ZN7rocprim17ROCPRIM_400000_NS6detail17trampoline_kernelINS0_14default_configENS1_25partition_config_selectorILNS1_17partition_subalgoE6EN6thrust23THRUST_200600_302600_NS5tupleIiiNS7_9null_typeES9_S9_S9_S9_S9_S9_S9_EENS0_10empty_typeEbEEZZNS1_14partition_implILS5_6ELb0ES3_mNS7_12zip_iteratorINS8_INS7_6detail15normal_iteratorINS7_10device_ptrIiEEEESJ_S9_S9_S9_S9_S9_S9_S9_S9_EEEEPSB_SM_NS0_5tupleIJNSE_INS8_ISJ_NS7_16discard_iteratorINS7_11use_defaultEEES9_S9_S9_S9_S9_S9_S9_S9_EEEESB_EEENSN_IJSM_SM_EEESB_PlJNSF_9not_fun_tINSF_14equal_to_valueISA_EEEEEEE10hipError_tPvRmT3_T4_T5_T6_T7_T9_mT8_P12ihipStream_tbDpT10_ENKUlT_T0_E_clISt17integral_constantIbLb1EES1J_EEDaS1E_S1F_EUlS1E_E_NS1_11comp_targetILNS1_3genE9ELNS1_11target_archE1100ELNS1_3gpuE3ELNS1_3repE0EEENS1_30default_config_static_selectorELNS0_4arch9wavefront6targetE0EEEvT1_,"axG",@progbits,_ZN7rocprim17ROCPRIM_400000_NS6detail17trampoline_kernelINS0_14default_configENS1_25partition_config_selectorILNS1_17partition_subalgoE6EN6thrust23THRUST_200600_302600_NS5tupleIiiNS7_9null_typeES9_S9_S9_S9_S9_S9_S9_EENS0_10empty_typeEbEEZZNS1_14partition_implILS5_6ELb0ES3_mNS7_12zip_iteratorINS8_INS7_6detail15normal_iteratorINS7_10device_ptrIiEEEESJ_S9_S9_S9_S9_S9_S9_S9_S9_EEEEPSB_SM_NS0_5tupleIJNSE_INS8_ISJ_NS7_16discard_iteratorINS7_11use_defaultEEES9_S9_S9_S9_S9_S9_S9_S9_EEEESB_EEENSN_IJSM_SM_EEESB_PlJNSF_9not_fun_tINSF_14equal_to_valueISA_EEEEEEE10hipError_tPvRmT3_T4_T5_T6_T7_T9_mT8_P12ihipStream_tbDpT10_ENKUlT_T0_E_clISt17integral_constantIbLb1EES1J_EEDaS1E_S1F_EUlS1E_E_NS1_11comp_targetILNS1_3genE9ELNS1_11target_archE1100ELNS1_3gpuE3ELNS1_3repE0EEENS1_30default_config_static_selectorELNS0_4arch9wavefront6targetE0EEEvT1_,comdat
.Lfunc_end2027:
	.size	_ZN7rocprim17ROCPRIM_400000_NS6detail17trampoline_kernelINS0_14default_configENS1_25partition_config_selectorILNS1_17partition_subalgoE6EN6thrust23THRUST_200600_302600_NS5tupleIiiNS7_9null_typeES9_S9_S9_S9_S9_S9_S9_EENS0_10empty_typeEbEEZZNS1_14partition_implILS5_6ELb0ES3_mNS7_12zip_iteratorINS8_INS7_6detail15normal_iteratorINS7_10device_ptrIiEEEESJ_S9_S9_S9_S9_S9_S9_S9_S9_EEEEPSB_SM_NS0_5tupleIJNSE_INS8_ISJ_NS7_16discard_iteratorINS7_11use_defaultEEES9_S9_S9_S9_S9_S9_S9_S9_EEEESB_EEENSN_IJSM_SM_EEESB_PlJNSF_9not_fun_tINSF_14equal_to_valueISA_EEEEEEE10hipError_tPvRmT3_T4_T5_T6_T7_T9_mT8_P12ihipStream_tbDpT10_ENKUlT_T0_E_clISt17integral_constantIbLb1EES1J_EEDaS1E_S1F_EUlS1E_E_NS1_11comp_targetILNS1_3genE9ELNS1_11target_archE1100ELNS1_3gpuE3ELNS1_3repE0EEENS1_30default_config_static_selectorELNS0_4arch9wavefront6targetE0EEEvT1_, .Lfunc_end2027-_ZN7rocprim17ROCPRIM_400000_NS6detail17trampoline_kernelINS0_14default_configENS1_25partition_config_selectorILNS1_17partition_subalgoE6EN6thrust23THRUST_200600_302600_NS5tupleIiiNS7_9null_typeES9_S9_S9_S9_S9_S9_S9_EENS0_10empty_typeEbEEZZNS1_14partition_implILS5_6ELb0ES3_mNS7_12zip_iteratorINS8_INS7_6detail15normal_iteratorINS7_10device_ptrIiEEEESJ_S9_S9_S9_S9_S9_S9_S9_S9_EEEEPSB_SM_NS0_5tupleIJNSE_INS8_ISJ_NS7_16discard_iteratorINS7_11use_defaultEEES9_S9_S9_S9_S9_S9_S9_S9_EEEESB_EEENSN_IJSM_SM_EEESB_PlJNSF_9not_fun_tINSF_14equal_to_valueISA_EEEEEEE10hipError_tPvRmT3_T4_T5_T6_T7_T9_mT8_P12ihipStream_tbDpT10_ENKUlT_T0_E_clISt17integral_constantIbLb1EES1J_EEDaS1E_S1F_EUlS1E_E_NS1_11comp_targetILNS1_3genE9ELNS1_11target_archE1100ELNS1_3gpuE3ELNS1_3repE0EEENS1_30default_config_static_selectorELNS0_4arch9wavefront6targetE0EEEvT1_
                                        ; -- End function
	.set _ZN7rocprim17ROCPRIM_400000_NS6detail17trampoline_kernelINS0_14default_configENS1_25partition_config_selectorILNS1_17partition_subalgoE6EN6thrust23THRUST_200600_302600_NS5tupleIiiNS7_9null_typeES9_S9_S9_S9_S9_S9_S9_EENS0_10empty_typeEbEEZZNS1_14partition_implILS5_6ELb0ES3_mNS7_12zip_iteratorINS8_INS7_6detail15normal_iteratorINS7_10device_ptrIiEEEESJ_S9_S9_S9_S9_S9_S9_S9_S9_EEEEPSB_SM_NS0_5tupleIJNSE_INS8_ISJ_NS7_16discard_iteratorINS7_11use_defaultEEES9_S9_S9_S9_S9_S9_S9_S9_EEEESB_EEENSN_IJSM_SM_EEESB_PlJNSF_9not_fun_tINSF_14equal_to_valueISA_EEEEEEE10hipError_tPvRmT3_T4_T5_T6_T7_T9_mT8_P12ihipStream_tbDpT10_ENKUlT_T0_E_clISt17integral_constantIbLb1EES1J_EEDaS1E_S1F_EUlS1E_E_NS1_11comp_targetILNS1_3genE9ELNS1_11target_archE1100ELNS1_3gpuE3ELNS1_3repE0EEENS1_30default_config_static_selectorELNS0_4arch9wavefront6targetE0EEEvT1_.num_vgpr, 0
	.set _ZN7rocprim17ROCPRIM_400000_NS6detail17trampoline_kernelINS0_14default_configENS1_25partition_config_selectorILNS1_17partition_subalgoE6EN6thrust23THRUST_200600_302600_NS5tupleIiiNS7_9null_typeES9_S9_S9_S9_S9_S9_S9_EENS0_10empty_typeEbEEZZNS1_14partition_implILS5_6ELb0ES3_mNS7_12zip_iteratorINS8_INS7_6detail15normal_iteratorINS7_10device_ptrIiEEEESJ_S9_S9_S9_S9_S9_S9_S9_S9_EEEEPSB_SM_NS0_5tupleIJNSE_INS8_ISJ_NS7_16discard_iteratorINS7_11use_defaultEEES9_S9_S9_S9_S9_S9_S9_S9_EEEESB_EEENSN_IJSM_SM_EEESB_PlJNSF_9not_fun_tINSF_14equal_to_valueISA_EEEEEEE10hipError_tPvRmT3_T4_T5_T6_T7_T9_mT8_P12ihipStream_tbDpT10_ENKUlT_T0_E_clISt17integral_constantIbLb1EES1J_EEDaS1E_S1F_EUlS1E_E_NS1_11comp_targetILNS1_3genE9ELNS1_11target_archE1100ELNS1_3gpuE3ELNS1_3repE0EEENS1_30default_config_static_selectorELNS0_4arch9wavefront6targetE0EEEvT1_.num_agpr, 0
	.set _ZN7rocprim17ROCPRIM_400000_NS6detail17trampoline_kernelINS0_14default_configENS1_25partition_config_selectorILNS1_17partition_subalgoE6EN6thrust23THRUST_200600_302600_NS5tupleIiiNS7_9null_typeES9_S9_S9_S9_S9_S9_S9_EENS0_10empty_typeEbEEZZNS1_14partition_implILS5_6ELb0ES3_mNS7_12zip_iteratorINS8_INS7_6detail15normal_iteratorINS7_10device_ptrIiEEEESJ_S9_S9_S9_S9_S9_S9_S9_S9_EEEEPSB_SM_NS0_5tupleIJNSE_INS8_ISJ_NS7_16discard_iteratorINS7_11use_defaultEEES9_S9_S9_S9_S9_S9_S9_S9_EEEESB_EEENSN_IJSM_SM_EEESB_PlJNSF_9not_fun_tINSF_14equal_to_valueISA_EEEEEEE10hipError_tPvRmT3_T4_T5_T6_T7_T9_mT8_P12ihipStream_tbDpT10_ENKUlT_T0_E_clISt17integral_constantIbLb1EES1J_EEDaS1E_S1F_EUlS1E_E_NS1_11comp_targetILNS1_3genE9ELNS1_11target_archE1100ELNS1_3gpuE3ELNS1_3repE0EEENS1_30default_config_static_selectorELNS0_4arch9wavefront6targetE0EEEvT1_.numbered_sgpr, 0
	.set _ZN7rocprim17ROCPRIM_400000_NS6detail17trampoline_kernelINS0_14default_configENS1_25partition_config_selectorILNS1_17partition_subalgoE6EN6thrust23THRUST_200600_302600_NS5tupleIiiNS7_9null_typeES9_S9_S9_S9_S9_S9_S9_EENS0_10empty_typeEbEEZZNS1_14partition_implILS5_6ELb0ES3_mNS7_12zip_iteratorINS8_INS7_6detail15normal_iteratorINS7_10device_ptrIiEEEESJ_S9_S9_S9_S9_S9_S9_S9_S9_EEEEPSB_SM_NS0_5tupleIJNSE_INS8_ISJ_NS7_16discard_iteratorINS7_11use_defaultEEES9_S9_S9_S9_S9_S9_S9_S9_EEEESB_EEENSN_IJSM_SM_EEESB_PlJNSF_9not_fun_tINSF_14equal_to_valueISA_EEEEEEE10hipError_tPvRmT3_T4_T5_T6_T7_T9_mT8_P12ihipStream_tbDpT10_ENKUlT_T0_E_clISt17integral_constantIbLb1EES1J_EEDaS1E_S1F_EUlS1E_E_NS1_11comp_targetILNS1_3genE9ELNS1_11target_archE1100ELNS1_3gpuE3ELNS1_3repE0EEENS1_30default_config_static_selectorELNS0_4arch9wavefront6targetE0EEEvT1_.num_named_barrier, 0
	.set _ZN7rocprim17ROCPRIM_400000_NS6detail17trampoline_kernelINS0_14default_configENS1_25partition_config_selectorILNS1_17partition_subalgoE6EN6thrust23THRUST_200600_302600_NS5tupleIiiNS7_9null_typeES9_S9_S9_S9_S9_S9_S9_EENS0_10empty_typeEbEEZZNS1_14partition_implILS5_6ELb0ES3_mNS7_12zip_iteratorINS8_INS7_6detail15normal_iteratorINS7_10device_ptrIiEEEESJ_S9_S9_S9_S9_S9_S9_S9_S9_EEEEPSB_SM_NS0_5tupleIJNSE_INS8_ISJ_NS7_16discard_iteratorINS7_11use_defaultEEES9_S9_S9_S9_S9_S9_S9_S9_EEEESB_EEENSN_IJSM_SM_EEESB_PlJNSF_9not_fun_tINSF_14equal_to_valueISA_EEEEEEE10hipError_tPvRmT3_T4_T5_T6_T7_T9_mT8_P12ihipStream_tbDpT10_ENKUlT_T0_E_clISt17integral_constantIbLb1EES1J_EEDaS1E_S1F_EUlS1E_E_NS1_11comp_targetILNS1_3genE9ELNS1_11target_archE1100ELNS1_3gpuE3ELNS1_3repE0EEENS1_30default_config_static_selectorELNS0_4arch9wavefront6targetE0EEEvT1_.private_seg_size, 0
	.set _ZN7rocprim17ROCPRIM_400000_NS6detail17trampoline_kernelINS0_14default_configENS1_25partition_config_selectorILNS1_17partition_subalgoE6EN6thrust23THRUST_200600_302600_NS5tupleIiiNS7_9null_typeES9_S9_S9_S9_S9_S9_S9_EENS0_10empty_typeEbEEZZNS1_14partition_implILS5_6ELb0ES3_mNS7_12zip_iteratorINS8_INS7_6detail15normal_iteratorINS7_10device_ptrIiEEEESJ_S9_S9_S9_S9_S9_S9_S9_S9_EEEEPSB_SM_NS0_5tupleIJNSE_INS8_ISJ_NS7_16discard_iteratorINS7_11use_defaultEEES9_S9_S9_S9_S9_S9_S9_S9_EEEESB_EEENSN_IJSM_SM_EEESB_PlJNSF_9not_fun_tINSF_14equal_to_valueISA_EEEEEEE10hipError_tPvRmT3_T4_T5_T6_T7_T9_mT8_P12ihipStream_tbDpT10_ENKUlT_T0_E_clISt17integral_constantIbLb1EES1J_EEDaS1E_S1F_EUlS1E_E_NS1_11comp_targetILNS1_3genE9ELNS1_11target_archE1100ELNS1_3gpuE3ELNS1_3repE0EEENS1_30default_config_static_selectorELNS0_4arch9wavefront6targetE0EEEvT1_.uses_vcc, 0
	.set _ZN7rocprim17ROCPRIM_400000_NS6detail17trampoline_kernelINS0_14default_configENS1_25partition_config_selectorILNS1_17partition_subalgoE6EN6thrust23THRUST_200600_302600_NS5tupleIiiNS7_9null_typeES9_S9_S9_S9_S9_S9_S9_EENS0_10empty_typeEbEEZZNS1_14partition_implILS5_6ELb0ES3_mNS7_12zip_iteratorINS8_INS7_6detail15normal_iteratorINS7_10device_ptrIiEEEESJ_S9_S9_S9_S9_S9_S9_S9_S9_EEEEPSB_SM_NS0_5tupleIJNSE_INS8_ISJ_NS7_16discard_iteratorINS7_11use_defaultEEES9_S9_S9_S9_S9_S9_S9_S9_EEEESB_EEENSN_IJSM_SM_EEESB_PlJNSF_9not_fun_tINSF_14equal_to_valueISA_EEEEEEE10hipError_tPvRmT3_T4_T5_T6_T7_T9_mT8_P12ihipStream_tbDpT10_ENKUlT_T0_E_clISt17integral_constantIbLb1EES1J_EEDaS1E_S1F_EUlS1E_E_NS1_11comp_targetILNS1_3genE9ELNS1_11target_archE1100ELNS1_3gpuE3ELNS1_3repE0EEENS1_30default_config_static_selectorELNS0_4arch9wavefront6targetE0EEEvT1_.uses_flat_scratch, 0
	.set _ZN7rocprim17ROCPRIM_400000_NS6detail17trampoline_kernelINS0_14default_configENS1_25partition_config_selectorILNS1_17partition_subalgoE6EN6thrust23THRUST_200600_302600_NS5tupleIiiNS7_9null_typeES9_S9_S9_S9_S9_S9_S9_EENS0_10empty_typeEbEEZZNS1_14partition_implILS5_6ELb0ES3_mNS7_12zip_iteratorINS8_INS7_6detail15normal_iteratorINS7_10device_ptrIiEEEESJ_S9_S9_S9_S9_S9_S9_S9_S9_EEEEPSB_SM_NS0_5tupleIJNSE_INS8_ISJ_NS7_16discard_iteratorINS7_11use_defaultEEES9_S9_S9_S9_S9_S9_S9_S9_EEEESB_EEENSN_IJSM_SM_EEESB_PlJNSF_9not_fun_tINSF_14equal_to_valueISA_EEEEEEE10hipError_tPvRmT3_T4_T5_T6_T7_T9_mT8_P12ihipStream_tbDpT10_ENKUlT_T0_E_clISt17integral_constantIbLb1EES1J_EEDaS1E_S1F_EUlS1E_E_NS1_11comp_targetILNS1_3genE9ELNS1_11target_archE1100ELNS1_3gpuE3ELNS1_3repE0EEENS1_30default_config_static_selectorELNS0_4arch9wavefront6targetE0EEEvT1_.has_dyn_sized_stack, 0
	.set _ZN7rocprim17ROCPRIM_400000_NS6detail17trampoline_kernelINS0_14default_configENS1_25partition_config_selectorILNS1_17partition_subalgoE6EN6thrust23THRUST_200600_302600_NS5tupleIiiNS7_9null_typeES9_S9_S9_S9_S9_S9_S9_EENS0_10empty_typeEbEEZZNS1_14partition_implILS5_6ELb0ES3_mNS7_12zip_iteratorINS8_INS7_6detail15normal_iteratorINS7_10device_ptrIiEEEESJ_S9_S9_S9_S9_S9_S9_S9_S9_EEEEPSB_SM_NS0_5tupleIJNSE_INS8_ISJ_NS7_16discard_iteratorINS7_11use_defaultEEES9_S9_S9_S9_S9_S9_S9_S9_EEEESB_EEENSN_IJSM_SM_EEESB_PlJNSF_9not_fun_tINSF_14equal_to_valueISA_EEEEEEE10hipError_tPvRmT3_T4_T5_T6_T7_T9_mT8_P12ihipStream_tbDpT10_ENKUlT_T0_E_clISt17integral_constantIbLb1EES1J_EEDaS1E_S1F_EUlS1E_E_NS1_11comp_targetILNS1_3genE9ELNS1_11target_archE1100ELNS1_3gpuE3ELNS1_3repE0EEENS1_30default_config_static_selectorELNS0_4arch9wavefront6targetE0EEEvT1_.has_recursion, 0
	.set _ZN7rocprim17ROCPRIM_400000_NS6detail17trampoline_kernelINS0_14default_configENS1_25partition_config_selectorILNS1_17partition_subalgoE6EN6thrust23THRUST_200600_302600_NS5tupleIiiNS7_9null_typeES9_S9_S9_S9_S9_S9_S9_EENS0_10empty_typeEbEEZZNS1_14partition_implILS5_6ELb0ES3_mNS7_12zip_iteratorINS8_INS7_6detail15normal_iteratorINS7_10device_ptrIiEEEESJ_S9_S9_S9_S9_S9_S9_S9_S9_EEEEPSB_SM_NS0_5tupleIJNSE_INS8_ISJ_NS7_16discard_iteratorINS7_11use_defaultEEES9_S9_S9_S9_S9_S9_S9_S9_EEEESB_EEENSN_IJSM_SM_EEESB_PlJNSF_9not_fun_tINSF_14equal_to_valueISA_EEEEEEE10hipError_tPvRmT3_T4_T5_T6_T7_T9_mT8_P12ihipStream_tbDpT10_ENKUlT_T0_E_clISt17integral_constantIbLb1EES1J_EEDaS1E_S1F_EUlS1E_E_NS1_11comp_targetILNS1_3genE9ELNS1_11target_archE1100ELNS1_3gpuE3ELNS1_3repE0EEENS1_30default_config_static_selectorELNS0_4arch9wavefront6targetE0EEEvT1_.has_indirect_call, 0
	.section	.AMDGPU.csdata,"",@progbits
; Kernel info:
; codeLenInByte = 0
; TotalNumSgprs: 0
; NumVgprs: 0
; ScratchSize: 0
; MemoryBound: 0
; FloatMode: 240
; IeeeMode: 1
; LDSByteSize: 0 bytes/workgroup (compile time only)
; SGPRBlocks: 0
; VGPRBlocks: 0
; NumSGPRsForWavesPerEU: 1
; NumVGPRsForWavesPerEU: 1
; Occupancy: 16
; WaveLimiterHint : 0
; COMPUTE_PGM_RSRC2:SCRATCH_EN: 0
; COMPUTE_PGM_RSRC2:USER_SGPR: 2
; COMPUTE_PGM_RSRC2:TRAP_HANDLER: 0
; COMPUTE_PGM_RSRC2:TGID_X_EN: 1
; COMPUTE_PGM_RSRC2:TGID_Y_EN: 0
; COMPUTE_PGM_RSRC2:TGID_Z_EN: 0
; COMPUTE_PGM_RSRC2:TIDIG_COMP_CNT: 0
	.section	.text._ZN7rocprim17ROCPRIM_400000_NS6detail17trampoline_kernelINS0_14default_configENS1_25partition_config_selectorILNS1_17partition_subalgoE6EN6thrust23THRUST_200600_302600_NS5tupleIiiNS7_9null_typeES9_S9_S9_S9_S9_S9_S9_EENS0_10empty_typeEbEEZZNS1_14partition_implILS5_6ELb0ES3_mNS7_12zip_iteratorINS8_INS7_6detail15normal_iteratorINS7_10device_ptrIiEEEESJ_S9_S9_S9_S9_S9_S9_S9_S9_EEEEPSB_SM_NS0_5tupleIJNSE_INS8_ISJ_NS7_16discard_iteratorINS7_11use_defaultEEES9_S9_S9_S9_S9_S9_S9_S9_EEEESB_EEENSN_IJSM_SM_EEESB_PlJNSF_9not_fun_tINSF_14equal_to_valueISA_EEEEEEE10hipError_tPvRmT3_T4_T5_T6_T7_T9_mT8_P12ihipStream_tbDpT10_ENKUlT_T0_E_clISt17integral_constantIbLb1EES1J_EEDaS1E_S1F_EUlS1E_E_NS1_11comp_targetILNS1_3genE8ELNS1_11target_archE1030ELNS1_3gpuE2ELNS1_3repE0EEENS1_30default_config_static_selectorELNS0_4arch9wavefront6targetE0EEEvT1_,"axG",@progbits,_ZN7rocprim17ROCPRIM_400000_NS6detail17trampoline_kernelINS0_14default_configENS1_25partition_config_selectorILNS1_17partition_subalgoE6EN6thrust23THRUST_200600_302600_NS5tupleIiiNS7_9null_typeES9_S9_S9_S9_S9_S9_S9_EENS0_10empty_typeEbEEZZNS1_14partition_implILS5_6ELb0ES3_mNS7_12zip_iteratorINS8_INS7_6detail15normal_iteratorINS7_10device_ptrIiEEEESJ_S9_S9_S9_S9_S9_S9_S9_S9_EEEEPSB_SM_NS0_5tupleIJNSE_INS8_ISJ_NS7_16discard_iteratorINS7_11use_defaultEEES9_S9_S9_S9_S9_S9_S9_S9_EEEESB_EEENSN_IJSM_SM_EEESB_PlJNSF_9not_fun_tINSF_14equal_to_valueISA_EEEEEEE10hipError_tPvRmT3_T4_T5_T6_T7_T9_mT8_P12ihipStream_tbDpT10_ENKUlT_T0_E_clISt17integral_constantIbLb1EES1J_EEDaS1E_S1F_EUlS1E_E_NS1_11comp_targetILNS1_3genE8ELNS1_11target_archE1030ELNS1_3gpuE2ELNS1_3repE0EEENS1_30default_config_static_selectorELNS0_4arch9wavefront6targetE0EEEvT1_,comdat
	.protected	_ZN7rocprim17ROCPRIM_400000_NS6detail17trampoline_kernelINS0_14default_configENS1_25partition_config_selectorILNS1_17partition_subalgoE6EN6thrust23THRUST_200600_302600_NS5tupleIiiNS7_9null_typeES9_S9_S9_S9_S9_S9_S9_EENS0_10empty_typeEbEEZZNS1_14partition_implILS5_6ELb0ES3_mNS7_12zip_iteratorINS8_INS7_6detail15normal_iteratorINS7_10device_ptrIiEEEESJ_S9_S9_S9_S9_S9_S9_S9_S9_EEEEPSB_SM_NS0_5tupleIJNSE_INS8_ISJ_NS7_16discard_iteratorINS7_11use_defaultEEES9_S9_S9_S9_S9_S9_S9_S9_EEEESB_EEENSN_IJSM_SM_EEESB_PlJNSF_9not_fun_tINSF_14equal_to_valueISA_EEEEEEE10hipError_tPvRmT3_T4_T5_T6_T7_T9_mT8_P12ihipStream_tbDpT10_ENKUlT_T0_E_clISt17integral_constantIbLb1EES1J_EEDaS1E_S1F_EUlS1E_E_NS1_11comp_targetILNS1_3genE8ELNS1_11target_archE1030ELNS1_3gpuE2ELNS1_3repE0EEENS1_30default_config_static_selectorELNS0_4arch9wavefront6targetE0EEEvT1_ ; -- Begin function _ZN7rocprim17ROCPRIM_400000_NS6detail17trampoline_kernelINS0_14default_configENS1_25partition_config_selectorILNS1_17partition_subalgoE6EN6thrust23THRUST_200600_302600_NS5tupleIiiNS7_9null_typeES9_S9_S9_S9_S9_S9_S9_EENS0_10empty_typeEbEEZZNS1_14partition_implILS5_6ELb0ES3_mNS7_12zip_iteratorINS8_INS7_6detail15normal_iteratorINS7_10device_ptrIiEEEESJ_S9_S9_S9_S9_S9_S9_S9_S9_EEEEPSB_SM_NS0_5tupleIJNSE_INS8_ISJ_NS7_16discard_iteratorINS7_11use_defaultEEES9_S9_S9_S9_S9_S9_S9_S9_EEEESB_EEENSN_IJSM_SM_EEESB_PlJNSF_9not_fun_tINSF_14equal_to_valueISA_EEEEEEE10hipError_tPvRmT3_T4_T5_T6_T7_T9_mT8_P12ihipStream_tbDpT10_ENKUlT_T0_E_clISt17integral_constantIbLb1EES1J_EEDaS1E_S1F_EUlS1E_E_NS1_11comp_targetILNS1_3genE8ELNS1_11target_archE1030ELNS1_3gpuE2ELNS1_3repE0EEENS1_30default_config_static_selectorELNS0_4arch9wavefront6targetE0EEEvT1_
	.globl	_ZN7rocprim17ROCPRIM_400000_NS6detail17trampoline_kernelINS0_14default_configENS1_25partition_config_selectorILNS1_17partition_subalgoE6EN6thrust23THRUST_200600_302600_NS5tupleIiiNS7_9null_typeES9_S9_S9_S9_S9_S9_S9_EENS0_10empty_typeEbEEZZNS1_14partition_implILS5_6ELb0ES3_mNS7_12zip_iteratorINS8_INS7_6detail15normal_iteratorINS7_10device_ptrIiEEEESJ_S9_S9_S9_S9_S9_S9_S9_S9_EEEEPSB_SM_NS0_5tupleIJNSE_INS8_ISJ_NS7_16discard_iteratorINS7_11use_defaultEEES9_S9_S9_S9_S9_S9_S9_S9_EEEESB_EEENSN_IJSM_SM_EEESB_PlJNSF_9not_fun_tINSF_14equal_to_valueISA_EEEEEEE10hipError_tPvRmT3_T4_T5_T6_T7_T9_mT8_P12ihipStream_tbDpT10_ENKUlT_T0_E_clISt17integral_constantIbLb1EES1J_EEDaS1E_S1F_EUlS1E_E_NS1_11comp_targetILNS1_3genE8ELNS1_11target_archE1030ELNS1_3gpuE2ELNS1_3repE0EEENS1_30default_config_static_selectorELNS0_4arch9wavefront6targetE0EEEvT1_
	.p2align	8
	.type	_ZN7rocprim17ROCPRIM_400000_NS6detail17trampoline_kernelINS0_14default_configENS1_25partition_config_selectorILNS1_17partition_subalgoE6EN6thrust23THRUST_200600_302600_NS5tupleIiiNS7_9null_typeES9_S9_S9_S9_S9_S9_S9_EENS0_10empty_typeEbEEZZNS1_14partition_implILS5_6ELb0ES3_mNS7_12zip_iteratorINS8_INS7_6detail15normal_iteratorINS7_10device_ptrIiEEEESJ_S9_S9_S9_S9_S9_S9_S9_S9_EEEEPSB_SM_NS0_5tupleIJNSE_INS8_ISJ_NS7_16discard_iteratorINS7_11use_defaultEEES9_S9_S9_S9_S9_S9_S9_S9_EEEESB_EEENSN_IJSM_SM_EEESB_PlJNSF_9not_fun_tINSF_14equal_to_valueISA_EEEEEEE10hipError_tPvRmT3_T4_T5_T6_T7_T9_mT8_P12ihipStream_tbDpT10_ENKUlT_T0_E_clISt17integral_constantIbLb1EES1J_EEDaS1E_S1F_EUlS1E_E_NS1_11comp_targetILNS1_3genE8ELNS1_11target_archE1030ELNS1_3gpuE2ELNS1_3repE0EEENS1_30default_config_static_selectorELNS0_4arch9wavefront6targetE0EEEvT1_,@function
_ZN7rocprim17ROCPRIM_400000_NS6detail17trampoline_kernelINS0_14default_configENS1_25partition_config_selectorILNS1_17partition_subalgoE6EN6thrust23THRUST_200600_302600_NS5tupleIiiNS7_9null_typeES9_S9_S9_S9_S9_S9_S9_EENS0_10empty_typeEbEEZZNS1_14partition_implILS5_6ELb0ES3_mNS7_12zip_iteratorINS8_INS7_6detail15normal_iteratorINS7_10device_ptrIiEEEESJ_S9_S9_S9_S9_S9_S9_S9_S9_EEEEPSB_SM_NS0_5tupleIJNSE_INS8_ISJ_NS7_16discard_iteratorINS7_11use_defaultEEES9_S9_S9_S9_S9_S9_S9_S9_EEEESB_EEENSN_IJSM_SM_EEESB_PlJNSF_9not_fun_tINSF_14equal_to_valueISA_EEEEEEE10hipError_tPvRmT3_T4_T5_T6_T7_T9_mT8_P12ihipStream_tbDpT10_ENKUlT_T0_E_clISt17integral_constantIbLb1EES1J_EEDaS1E_S1F_EUlS1E_E_NS1_11comp_targetILNS1_3genE8ELNS1_11target_archE1030ELNS1_3gpuE2ELNS1_3repE0EEENS1_30default_config_static_selectorELNS0_4arch9wavefront6targetE0EEEvT1_: ; @_ZN7rocprim17ROCPRIM_400000_NS6detail17trampoline_kernelINS0_14default_configENS1_25partition_config_selectorILNS1_17partition_subalgoE6EN6thrust23THRUST_200600_302600_NS5tupleIiiNS7_9null_typeES9_S9_S9_S9_S9_S9_S9_EENS0_10empty_typeEbEEZZNS1_14partition_implILS5_6ELb0ES3_mNS7_12zip_iteratorINS8_INS7_6detail15normal_iteratorINS7_10device_ptrIiEEEESJ_S9_S9_S9_S9_S9_S9_S9_S9_EEEEPSB_SM_NS0_5tupleIJNSE_INS8_ISJ_NS7_16discard_iteratorINS7_11use_defaultEEES9_S9_S9_S9_S9_S9_S9_S9_EEEESB_EEENSN_IJSM_SM_EEESB_PlJNSF_9not_fun_tINSF_14equal_to_valueISA_EEEEEEE10hipError_tPvRmT3_T4_T5_T6_T7_T9_mT8_P12ihipStream_tbDpT10_ENKUlT_T0_E_clISt17integral_constantIbLb1EES1J_EEDaS1E_S1F_EUlS1E_E_NS1_11comp_targetILNS1_3genE8ELNS1_11target_archE1030ELNS1_3gpuE2ELNS1_3repE0EEENS1_30default_config_static_selectorELNS0_4arch9wavefront6targetE0EEEvT1_
; %bb.0:
	.section	.rodata,"a",@progbits
	.p2align	6, 0x0
	.amdhsa_kernel _ZN7rocprim17ROCPRIM_400000_NS6detail17trampoline_kernelINS0_14default_configENS1_25partition_config_selectorILNS1_17partition_subalgoE6EN6thrust23THRUST_200600_302600_NS5tupleIiiNS7_9null_typeES9_S9_S9_S9_S9_S9_S9_EENS0_10empty_typeEbEEZZNS1_14partition_implILS5_6ELb0ES3_mNS7_12zip_iteratorINS8_INS7_6detail15normal_iteratorINS7_10device_ptrIiEEEESJ_S9_S9_S9_S9_S9_S9_S9_S9_EEEEPSB_SM_NS0_5tupleIJNSE_INS8_ISJ_NS7_16discard_iteratorINS7_11use_defaultEEES9_S9_S9_S9_S9_S9_S9_S9_EEEESB_EEENSN_IJSM_SM_EEESB_PlJNSF_9not_fun_tINSF_14equal_to_valueISA_EEEEEEE10hipError_tPvRmT3_T4_T5_T6_T7_T9_mT8_P12ihipStream_tbDpT10_ENKUlT_T0_E_clISt17integral_constantIbLb1EES1J_EEDaS1E_S1F_EUlS1E_E_NS1_11comp_targetILNS1_3genE8ELNS1_11target_archE1030ELNS1_3gpuE2ELNS1_3repE0EEENS1_30default_config_static_selectorELNS0_4arch9wavefront6targetE0EEEvT1_
		.amdhsa_group_segment_fixed_size 0
		.amdhsa_private_segment_fixed_size 0
		.amdhsa_kernarg_size 152
		.amdhsa_user_sgpr_count 2
		.amdhsa_user_sgpr_dispatch_ptr 0
		.amdhsa_user_sgpr_queue_ptr 0
		.amdhsa_user_sgpr_kernarg_segment_ptr 1
		.amdhsa_user_sgpr_dispatch_id 0
		.amdhsa_user_sgpr_private_segment_size 0
		.amdhsa_wavefront_size32 1
		.amdhsa_uses_dynamic_stack 0
		.amdhsa_enable_private_segment 0
		.amdhsa_system_sgpr_workgroup_id_x 1
		.amdhsa_system_sgpr_workgroup_id_y 0
		.amdhsa_system_sgpr_workgroup_id_z 0
		.amdhsa_system_sgpr_workgroup_info 0
		.amdhsa_system_vgpr_workitem_id 0
		.amdhsa_next_free_vgpr 1
		.amdhsa_next_free_sgpr 1
		.amdhsa_reserve_vcc 0
		.amdhsa_float_round_mode_32 0
		.amdhsa_float_round_mode_16_64 0
		.amdhsa_float_denorm_mode_32 3
		.amdhsa_float_denorm_mode_16_64 3
		.amdhsa_fp16_overflow 0
		.amdhsa_workgroup_processor_mode 1
		.amdhsa_memory_ordered 1
		.amdhsa_forward_progress 1
		.amdhsa_inst_pref_size 0
		.amdhsa_round_robin_scheduling 0
		.amdhsa_exception_fp_ieee_invalid_op 0
		.amdhsa_exception_fp_denorm_src 0
		.amdhsa_exception_fp_ieee_div_zero 0
		.amdhsa_exception_fp_ieee_overflow 0
		.amdhsa_exception_fp_ieee_underflow 0
		.amdhsa_exception_fp_ieee_inexact 0
		.amdhsa_exception_int_div_zero 0
	.end_amdhsa_kernel
	.section	.text._ZN7rocprim17ROCPRIM_400000_NS6detail17trampoline_kernelINS0_14default_configENS1_25partition_config_selectorILNS1_17partition_subalgoE6EN6thrust23THRUST_200600_302600_NS5tupleIiiNS7_9null_typeES9_S9_S9_S9_S9_S9_S9_EENS0_10empty_typeEbEEZZNS1_14partition_implILS5_6ELb0ES3_mNS7_12zip_iteratorINS8_INS7_6detail15normal_iteratorINS7_10device_ptrIiEEEESJ_S9_S9_S9_S9_S9_S9_S9_S9_EEEEPSB_SM_NS0_5tupleIJNSE_INS8_ISJ_NS7_16discard_iteratorINS7_11use_defaultEEES9_S9_S9_S9_S9_S9_S9_S9_EEEESB_EEENSN_IJSM_SM_EEESB_PlJNSF_9not_fun_tINSF_14equal_to_valueISA_EEEEEEE10hipError_tPvRmT3_T4_T5_T6_T7_T9_mT8_P12ihipStream_tbDpT10_ENKUlT_T0_E_clISt17integral_constantIbLb1EES1J_EEDaS1E_S1F_EUlS1E_E_NS1_11comp_targetILNS1_3genE8ELNS1_11target_archE1030ELNS1_3gpuE2ELNS1_3repE0EEENS1_30default_config_static_selectorELNS0_4arch9wavefront6targetE0EEEvT1_,"axG",@progbits,_ZN7rocprim17ROCPRIM_400000_NS6detail17trampoline_kernelINS0_14default_configENS1_25partition_config_selectorILNS1_17partition_subalgoE6EN6thrust23THRUST_200600_302600_NS5tupleIiiNS7_9null_typeES9_S9_S9_S9_S9_S9_S9_EENS0_10empty_typeEbEEZZNS1_14partition_implILS5_6ELb0ES3_mNS7_12zip_iteratorINS8_INS7_6detail15normal_iteratorINS7_10device_ptrIiEEEESJ_S9_S9_S9_S9_S9_S9_S9_S9_EEEEPSB_SM_NS0_5tupleIJNSE_INS8_ISJ_NS7_16discard_iteratorINS7_11use_defaultEEES9_S9_S9_S9_S9_S9_S9_S9_EEEESB_EEENSN_IJSM_SM_EEESB_PlJNSF_9not_fun_tINSF_14equal_to_valueISA_EEEEEEE10hipError_tPvRmT3_T4_T5_T6_T7_T9_mT8_P12ihipStream_tbDpT10_ENKUlT_T0_E_clISt17integral_constantIbLb1EES1J_EEDaS1E_S1F_EUlS1E_E_NS1_11comp_targetILNS1_3genE8ELNS1_11target_archE1030ELNS1_3gpuE2ELNS1_3repE0EEENS1_30default_config_static_selectorELNS0_4arch9wavefront6targetE0EEEvT1_,comdat
.Lfunc_end2028:
	.size	_ZN7rocprim17ROCPRIM_400000_NS6detail17trampoline_kernelINS0_14default_configENS1_25partition_config_selectorILNS1_17partition_subalgoE6EN6thrust23THRUST_200600_302600_NS5tupleIiiNS7_9null_typeES9_S9_S9_S9_S9_S9_S9_EENS0_10empty_typeEbEEZZNS1_14partition_implILS5_6ELb0ES3_mNS7_12zip_iteratorINS8_INS7_6detail15normal_iteratorINS7_10device_ptrIiEEEESJ_S9_S9_S9_S9_S9_S9_S9_S9_EEEEPSB_SM_NS0_5tupleIJNSE_INS8_ISJ_NS7_16discard_iteratorINS7_11use_defaultEEES9_S9_S9_S9_S9_S9_S9_S9_EEEESB_EEENSN_IJSM_SM_EEESB_PlJNSF_9not_fun_tINSF_14equal_to_valueISA_EEEEEEE10hipError_tPvRmT3_T4_T5_T6_T7_T9_mT8_P12ihipStream_tbDpT10_ENKUlT_T0_E_clISt17integral_constantIbLb1EES1J_EEDaS1E_S1F_EUlS1E_E_NS1_11comp_targetILNS1_3genE8ELNS1_11target_archE1030ELNS1_3gpuE2ELNS1_3repE0EEENS1_30default_config_static_selectorELNS0_4arch9wavefront6targetE0EEEvT1_, .Lfunc_end2028-_ZN7rocprim17ROCPRIM_400000_NS6detail17trampoline_kernelINS0_14default_configENS1_25partition_config_selectorILNS1_17partition_subalgoE6EN6thrust23THRUST_200600_302600_NS5tupleIiiNS7_9null_typeES9_S9_S9_S9_S9_S9_S9_EENS0_10empty_typeEbEEZZNS1_14partition_implILS5_6ELb0ES3_mNS7_12zip_iteratorINS8_INS7_6detail15normal_iteratorINS7_10device_ptrIiEEEESJ_S9_S9_S9_S9_S9_S9_S9_S9_EEEEPSB_SM_NS0_5tupleIJNSE_INS8_ISJ_NS7_16discard_iteratorINS7_11use_defaultEEES9_S9_S9_S9_S9_S9_S9_S9_EEEESB_EEENSN_IJSM_SM_EEESB_PlJNSF_9not_fun_tINSF_14equal_to_valueISA_EEEEEEE10hipError_tPvRmT3_T4_T5_T6_T7_T9_mT8_P12ihipStream_tbDpT10_ENKUlT_T0_E_clISt17integral_constantIbLb1EES1J_EEDaS1E_S1F_EUlS1E_E_NS1_11comp_targetILNS1_3genE8ELNS1_11target_archE1030ELNS1_3gpuE2ELNS1_3repE0EEENS1_30default_config_static_selectorELNS0_4arch9wavefront6targetE0EEEvT1_
                                        ; -- End function
	.set _ZN7rocprim17ROCPRIM_400000_NS6detail17trampoline_kernelINS0_14default_configENS1_25partition_config_selectorILNS1_17partition_subalgoE6EN6thrust23THRUST_200600_302600_NS5tupleIiiNS7_9null_typeES9_S9_S9_S9_S9_S9_S9_EENS0_10empty_typeEbEEZZNS1_14partition_implILS5_6ELb0ES3_mNS7_12zip_iteratorINS8_INS7_6detail15normal_iteratorINS7_10device_ptrIiEEEESJ_S9_S9_S9_S9_S9_S9_S9_S9_EEEEPSB_SM_NS0_5tupleIJNSE_INS8_ISJ_NS7_16discard_iteratorINS7_11use_defaultEEES9_S9_S9_S9_S9_S9_S9_S9_EEEESB_EEENSN_IJSM_SM_EEESB_PlJNSF_9not_fun_tINSF_14equal_to_valueISA_EEEEEEE10hipError_tPvRmT3_T4_T5_T6_T7_T9_mT8_P12ihipStream_tbDpT10_ENKUlT_T0_E_clISt17integral_constantIbLb1EES1J_EEDaS1E_S1F_EUlS1E_E_NS1_11comp_targetILNS1_3genE8ELNS1_11target_archE1030ELNS1_3gpuE2ELNS1_3repE0EEENS1_30default_config_static_selectorELNS0_4arch9wavefront6targetE0EEEvT1_.num_vgpr, 0
	.set _ZN7rocprim17ROCPRIM_400000_NS6detail17trampoline_kernelINS0_14default_configENS1_25partition_config_selectorILNS1_17partition_subalgoE6EN6thrust23THRUST_200600_302600_NS5tupleIiiNS7_9null_typeES9_S9_S9_S9_S9_S9_S9_EENS0_10empty_typeEbEEZZNS1_14partition_implILS5_6ELb0ES3_mNS7_12zip_iteratorINS8_INS7_6detail15normal_iteratorINS7_10device_ptrIiEEEESJ_S9_S9_S9_S9_S9_S9_S9_S9_EEEEPSB_SM_NS0_5tupleIJNSE_INS8_ISJ_NS7_16discard_iteratorINS7_11use_defaultEEES9_S9_S9_S9_S9_S9_S9_S9_EEEESB_EEENSN_IJSM_SM_EEESB_PlJNSF_9not_fun_tINSF_14equal_to_valueISA_EEEEEEE10hipError_tPvRmT3_T4_T5_T6_T7_T9_mT8_P12ihipStream_tbDpT10_ENKUlT_T0_E_clISt17integral_constantIbLb1EES1J_EEDaS1E_S1F_EUlS1E_E_NS1_11comp_targetILNS1_3genE8ELNS1_11target_archE1030ELNS1_3gpuE2ELNS1_3repE0EEENS1_30default_config_static_selectorELNS0_4arch9wavefront6targetE0EEEvT1_.num_agpr, 0
	.set _ZN7rocprim17ROCPRIM_400000_NS6detail17trampoline_kernelINS0_14default_configENS1_25partition_config_selectorILNS1_17partition_subalgoE6EN6thrust23THRUST_200600_302600_NS5tupleIiiNS7_9null_typeES9_S9_S9_S9_S9_S9_S9_EENS0_10empty_typeEbEEZZNS1_14partition_implILS5_6ELb0ES3_mNS7_12zip_iteratorINS8_INS7_6detail15normal_iteratorINS7_10device_ptrIiEEEESJ_S9_S9_S9_S9_S9_S9_S9_S9_EEEEPSB_SM_NS0_5tupleIJNSE_INS8_ISJ_NS7_16discard_iteratorINS7_11use_defaultEEES9_S9_S9_S9_S9_S9_S9_S9_EEEESB_EEENSN_IJSM_SM_EEESB_PlJNSF_9not_fun_tINSF_14equal_to_valueISA_EEEEEEE10hipError_tPvRmT3_T4_T5_T6_T7_T9_mT8_P12ihipStream_tbDpT10_ENKUlT_T0_E_clISt17integral_constantIbLb1EES1J_EEDaS1E_S1F_EUlS1E_E_NS1_11comp_targetILNS1_3genE8ELNS1_11target_archE1030ELNS1_3gpuE2ELNS1_3repE0EEENS1_30default_config_static_selectorELNS0_4arch9wavefront6targetE0EEEvT1_.numbered_sgpr, 0
	.set _ZN7rocprim17ROCPRIM_400000_NS6detail17trampoline_kernelINS0_14default_configENS1_25partition_config_selectorILNS1_17partition_subalgoE6EN6thrust23THRUST_200600_302600_NS5tupleIiiNS7_9null_typeES9_S9_S9_S9_S9_S9_S9_EENS0_10empty_typeEbEEZZNS1_14partition_implILS5_6ELb0ES3_mNS7_12zip_iteratorINS8_INS7_6detail15normal_iteratorINS7_10device_ptrIiEEEESJ_S9_S9_S9_S9_S9_S9_S9_S9_EEEEPSB_SM_NS0_5tupleIJNSE_INS8_ISJ_NS7_16discard_iteratorINS7_11use_defaultEEES9_S9_S9_S9_S9_S9_S9_S9_EEEESB_EEENSN_IJSM_SM_EEESB_PlJNSF_9not_fun_tINSF_14equal_to_valueISA_EEEEEEE10hipError_tPvRmT3_T4_T5_T6_T7_T9_mT8_P12ihipStream_tbDpT10_ENKUlT_T0_E_clISt17integral_constantIbLb1EES1J_EEDaS1E_S1F_EUlS1E_E_NS1_11comp_targetILNS1_3genE8ELNS1_11target_archE1030ELNS1_3gpuE2ELNS1_3repE0EEENS1_30default_config_static_selectorELNS0_4arch9wavefront6targetE0EEEvT1_.num_named_barrier, 0
	.set _ZN7rocprim17ROCPRIM_400000_NS6detail17trampoline_kernelINS0_14default_configENS1_25partition_config_selectorILNS1_17partition_subalgoE6EN6thrust23THRUST_200600_302600_NS5tupleIiiNS7_9null_typeES9_S9_S9_S9_S9_S9_S9_EENS0_10empty_typeEbEEZZNS1_14partition_implILS5_6ELb0ES3_mNS7_12zip_iteratorINS8_INS7_6detail15normal_iteratorINS7_10device_ptrIiEEEESJ_S9_S9_S9_S9_S9_S9_S9_S9_EEEEPSB_SM_NS0_5tupleIJNSE_INS8_ISJ_NS7_16discard_iteratorINS7_11use_defaultEEES9_S9_S9_S9_S9_S9_S9_S9_EEEESB_EEENSN_IJSM_SM_EEESB_PlJNSF_9not_fun_tINSF_14equal_to_valueISA_EEEEEEE10hipError_tPvRmT3_T4_T5_T6_T7_T9_mT8_P12ihipStream_tbDpT10_ENKUlT_T0_E_clISt17integral_constantIbLb1EES1J_EEDaS1E_S1F_EUlS1E_E_NS1_11comp_targetILNS1_3genE8ELNS1_11target_archE1030ELNS1_3gpuE2ELNS1_3repE0EEENS1_30default_config_static_selectorELNS0_4arch9wavefront6targetE0EEEvT1_.private_seg_size, 0
	.set _ZN7rocprim17ROCPRIM_400000_NS6detail17trampoline_kernelINS0_14default_configENS1_25partition_config_selectorILNS1_17partition_subalgoE6EN6thrust23THRUST_200600_302600_NS5tupleIiiNS7_9null_typeES9_S9_S9_S9_S9_S9_S9_EENS0_10empty_typeEbEEZZNS1_14partition_implILS5_6ELb0ES3_mNS7_12zip_iteratorINS8_INS7_6detail15normal_iteratorINS7_10device_ptrIiEEEESJ_S9_S9_S9_S9_S9_S9_S9_S9_EEEEPSB_SM_NS0_5tupleIJNSE_INS8_ISJ_NS7_16discard_iteratorINS7_11use_defaultEEES9_S9_S9_S9_S9_S9_S9_S9_EEEESB_EEENSN_IJSM_SM_EEESB_PlJNSF_9not_fun_tINSF_14equal_to_valueISA_EEEEEEE10hipError_tPvRmT3_T4_T5_T6_T7_T9_mT8_P12ihipStream_tbDpT10_ENKUlT_T0_E_clISt17integral_constantIbLb1EES1J_EEDaS1E_S1F_EUlS1E_E_NS1_11comp_targetILNS1_3genE8ELNS1_11target_archE1030ELNS1_3gpuE2ELNS1_3repE0EEENS1_30default_config_static_selectorELNS0_4arch9wavefront6targetE0EEEvT1_.uses_vcc, 0
	.set _ZN7rocprim17ROCPRIM_400000_NS6detail17trampoline_kernelINS0_14default_configENS1_25partition_config_selectorILNS1_17partition_subalgoE6EN6thrust23THRUST_200600_302600_NS5tupleIiiNS7_9null_typeES9_S9_S9_S9_S9_S9_S9_EENS0_10empty_typeEbEEZZNS1_14partition_implILS5_6ELb0ES3_mNS7_12zip_iteratorINS8_INS7_6detail15normal_iteratorINS7_10device_ptrIiEEEESJ_S9_S9_S9_S9_S9_S9_S9_S9_EEEEPSB_SM_NS0_5tupleIJNSE_INS8_ISJ_NS7_16discard_iteratorINS7_11use_defaultEEES9_S9_S9_S9_S9_S9_S9_S9_EEEESB_EEENSN_IJSM_SM_EEESB_PlJNSF_9not_fun_tINSF_14equal_to_valueISA_EEEEEEE10hipError_tPvRmT3_T4_T5_T6_T7_T9_mT8_P12ihipStream_tbDpT10_ENKUlT_T0_E_clISt17integral_constantIbLb1EES1J_EEDaS1E_S1F_EUlS1E_E_NS1_11comp_targetILNS1_3genE8ELNS1_11target_archE1030ELNS1_3gpuE2ELNS1_3repE0EEENS1_30default_config_static_selectorELNS0_4arch9wavefront6targetE0EEEvT1_.uses_flat_scratch, 0
	.set _ZN7rocprim17ROCPRIM_400000_NS6detail17trampoline_kernelINS0_14default_configENS1_25partition_config_selectorILNS1_17partition_subalgoE6EN6thrust23THRUST_200600_302600_NS5tupleIiiNS7_9null_typeES9_S9_S9_S9_S9_S9_S9_EENS0_10empty_typeEbEEZZNS1_14partition_implILS5_6ELb0ES3_mNS7_12zip_iteratorINS8_INS7_6detail15normal_iteratorINS7_10device_ptrIiEEEESJ_S9_S9_S9_S9_S9_S9_S9_S9_EEEEPSB_SM_NS0_5tupleIJNSE_INS8_ISJ_NS7_16discard_iteratorINS7_11use_defaultEEES9_S9_S9_S9_S9_S9_S9_S9_EEEESB_EEENSN_IJSM_SM_EEESB_PlJNSF_9not_fun_tINSF_14equal_to_valueISA_EEEEEEE10hipError_tPvRmT3_T4_T5_T6_T7_T9_mT8_P12ihipStream_tbDpT10_ENKUlT_T0_E_clISt17integral_constantIbLb1EES1J_EEDaS1E_S1F_EUlS1E_E_NS1_11comp_targetILNS1_3genE8ELNS1_11target_archE1030ELNS1_3gpuE2ELNS1_3repE0EEENS1_30default_config_static_selectorELNS0_4arch9wavefront6targetE0EEEvT1_.has_dyn_sized_stack, 0
	.set _ZN7rocprim17ROCPRIM_400000_NS6detail17trampoline_kernelINS0_14default_configENS1_25partition_config_selectorILNS1_17partition_subalgoE6EN6thrust23THRUST_200600_302600_NS5tupleIiiNS7_9null_typeES9_S9_S9_S9_S9_S9_S9_EENS0_10empty_typeEbEEZZNS1_14partition_implILS5_6ELb0ES3_mNS7_12zip_iteratorINS8_INS7_6detail15normal_iteratorINS7_10device_ptrIiEEEESJ_S9_S9_S9_S9_S9_S9_S9_S9_EEEEPSB_SM_NS0_5tupleIJNSE_INS8_ISJ_NS7_16discard_iteratorINS7_11use_defaultEEES9_S9_S9_S9_S9_S9_S9_S9_EEEESB_EEENSN_IJSM_SM_EEESB_PlJNSF_9not_fun_tINSF_14equal_to_valueISA_EEEEEEE10hipError_tPvRmT3_T4_T5_T6_T7_T9_mT8_P12ihipStream_tbDpT10_ENKUlT_T0_E_clISt17integral_constantIbLb1EES1J_EEDaS1E_S1F_EUlS1E_E_NS1_11comp_targetILNS1_3genE8ELNS1_11target_archE1030ELNS1_3gpuE2ELNS1_3repE0EEENS1_30default_config_static_selectorELNS0_4arch9wavefront6targetE0EEEvT1_.has_recursion, 0
	.set _ZN7rocprim17ROCPRIM_400000_NS6detail17trampoline_kernelINS0_14default_configENS1_25partition_config_selectorILNS1_17partition_subalgoE6EN6thrust23THRUST_200600_302600_NS5tupleIiiNS7_9null_typeES9_S9_S9_S9_S9_S9_S9_EENS0_10empty_typeEbEEZZNS1_14partition_implILS5_6ELb0ES3_mNS7_12zip_iteratorINS8_INS7_6detail15normal_iteratorINS7_10device_ptrIiEEEESJ_S9_S9_S9_S9_S9_S9_S9_S9_EEEEPSB_SM_NS0_5tupleIJNSE_INS8_ISJ_NS7_16discard_iteratorINS7_11use_defaultEEES9_S9_S9_S9_S9_S9_S9_S9_EEEESB_EEENSN_IJSM_SM_EEESB_PlJNSF_9not_fun_tINSF_14equal_to_valueISA_EEEEEEE10hipError_tPvRmT3_T4_T5_T6_T7_T9_mT8_P12ihipStream_tbDpT10_ENKUlT_T0_E_clISt17integral_constantIbLb1EES1J_EEDaS1E_S1F_EUlS1E_E_NS1_11comp_targetILNS1_3genE8ELNS1_11target_archE1030ELNS1_3gpuE2ELNS1_3repE0EEENS1_30default_config_static_selectorELNS0_4arch9wavefront6targetE0EEEvT1_.has_indirect_call, 0
	.section	.AMDGPU.csdata,"",@progbits
; Kernel info:
; codeLenInByte = 0
; TotalNumSgprs: 0
; NumVgprs: 0
; ScratchSize: 0
; MemoryBound: 0
; FloatMode: 240
; IeeeMode: 1
; LDSByteSize: 0 bytes/workgroup (compile time only)
; SGPRBlocks: 0
; VGPRBlocks: 0
; NumSGPRsForWavesPerEU: 1
; NumVGPRsForWavesPerEU: 1
; Occupancy: 16
; WaveLimiterHint : 0
; COMPUTE_PGM_RSRC2:SCRATCH_EN: 0
; COMPUTE_PGM_RSRC2:USER_SGPR: 2
; COMPUTE_PGM_RSRC2:TRAP_HANDLER: 0
; COMPUTE_PGM_RSRC2:TGID_X_EN: 1
; COMPUTE_PGM_RSRC2:TGID_Y_EN: 0
; COMPUTE_PGM_RSRC2:TGID_Z_EN: 0
; COMPUTE_PGM_RSRC2:TIDIG_COMP_CNT: 0
	.section	.text._ZN7rocprim17ROCPRIM_400000_NS6detail17trampoline_kernelINS0_14default_configENS1_25partition_config_selectorILNS1_17partition_subalgoE6EN6thrust23THRUST_200600_302600_NS5tupleIiiNS7_9null_typeES9_S9_S9_S9_S9_S9_S9_EENS0_10empty_typeEbEEZZNS1_14partition_implILS5_6ELb0ES3_mNS7_12zip_iteratorINS8_INS7_6detail15normal_iteratorINS7_10device_ptrIiEEEESJ_S9_S9_S9_S9_S9_S9_S9_S9_EEEEPSB_SM_NS0_5tupleIJNSE_INS8_ISJ_NS7_16discard_iteratorINS7_11use_defaultEEES9_S9_S9_S9_S9_S9_S9_S9_EEEESB_EEENSN_IJSM_SM_EEESB_PlJNSF_9not_fun_tINSF_14equal_to_valueISA_EEEEEEE10hipError_tPvRmT3_T4_T5_T6_T7_T9_mT8_P12ihipStream_tbDpT10_ENKUlT_T0_E_clISt17integral_constantIbLb1EES1I_IbLb0EEEEDaS1E_S1F_EUlS1E_E_NS1_11comp_targetILNS1_3genE0ELNS1_11target_archE4294967295ELNS1_3gpuE0ELNS1_3repE0EEENS1_30default_config_static_selectorELNS0_4arch9wavefront6targetE0EEEvT1_,"axG",@progbits,_ZN7rocprim17ROCPRIM_400000_NS6detail17trampoline_kernelINS0_14default_configENS1_25partition_config_selectorILNS1_17partition_subalgoE6EN6thrust23THRUST_200600_302600_NS5tupleIiiNS7_9null_typeES9_S9_S9_S9_S9_S9_S9_EENS0_10empty_typeEbEEZZNS1_14partition_implILS5_6ELb0ES3_mNS7_12zip_iteratorINS8_INS7_6detail15normal_iteratorINS7_10device_ptrIiEEEESJ_S9_S9_S9_S9_S9_S9_S9_S9_EEEEPSB_SM_NS0_5tupleIJNSE_INS8_ISJ_NS7_16discard_iteratorINS7_11use_defaultEEES9_S9_S9_S9_S9_S9_S9_S9_EEEESB_EEENSN_IJSM_SM_EEESB_PlJNSF_9not_fun_tINSF_14equal_to_valueISA_EEEEEEE10hipError_tPvRmT3_T4_T5_T6_T7_T9_mT8_P12ihipStream_tbDpT10_ENKUlT_T0_E_clISt17integral_constantIbLb1EES1I_IbLb0EEEEDaS1E_S1F_EUlS1E_E_NS1_11comp_targetILNS1_3genE0ELNS1_11target_archE4294967295ELNS1_3gpuE0ELNS1_3repE0EEENS1_30default_config_static_selectorELNS0_4arch9wavefront6targetE0EEEvT1_,comdat
	.protected	_ZN7rocprim17ROCPRIM_400000_NS6detail17trampoline_kernelINS0_14default_configENS1_25partition_config_selectorILNS1_17partition_subalgoE6EN6thrust23THRUST_200600_302600_NS5tupleIiiNS7_9null_typeES9_S9_S9_S9_S9_S9_S9_EENS0_10empty_typeEbEEZZNS1_14partition_implILS5_6ELb0ES3_mNS7_12zip_iteratorINS8_INS7_6detail15normal_iteratorINS7_10device_ptrIiEEEESJ_S9_S9_S9_S9_S9_S9_S9_S9_EEEEPSB_SM_NS0_5tupleIJNSE_INS8_ISJ_NS7_16discard_iteratorINS7_11use_defaultEEES9_S9_S9_S9_S9_S9_S9_S9_EEEESB_EEENSN_IJSM_SM_EEESB_PlJNSF_9not_fun_tINSF_14equal_to_valueISA_EEEEEEE10hipError_tPvRmT3_T4_T5_T6_T7_T9_mT8_P12ihipStream_tbDpT10_ENKUlT_T0_E_clISt17integral_constantIbLb1EES1I_IbLb0EEEEDaS1E_S1F_EUlS1E_E_NS1_11comp_targetILNS1_3genE0ELNS1_11target_archE4294967295ELNS1_3gpuE0ELNS1_3repE0EEENS1_30default_config_static_selectorELNS0_4arch9wavefront6targetE0EEEvT1_ ; -- Begin function _ZN7rocprim17ROCPRIM_400000_NS6detail17trampoline_kernelINS0_14default_configENS1_25partition_config_selectorILNS1_17partition_subalgoE6EN6thrust23THRUST_200600_302600_NS5tupleIiiNS7_9null_typeES9_S9_S9_S9_S9_S9_S9_EENS0_10empty_typeEbEEZZNS1_14partition_implILS5_6ELb0ES3_mNS7_12zip_iteratorINS8_INS7_6detail15normal_iteratorINS7_10device_ptrIiEEEESJ_S9_S9_S9_S9_S9_S9_S9_S9_EEEEPSB_SM_NS0_5tupleIJNSE_INS8_ISJ_NS7_16discard_iteratorINS7_11use_defaultEEES9_S9_S9_S9_S9_S9_S9_S9_EEEESB_EEENSN_IJSM_SM_EEESB_PlJNSF_9not_fun_tINSF_14equal_to_valueISA_EEEEEEE10hipError_tPvRmT3_T4_T5_T6_T7_T9_mT8_P12ihipStream_tbDpT10_ENKUlT_T0_E_clISt17integral_constantIbLb1EES1I_IbLb0EEEEDaS1E_S1F_EUlS1E_E_NS1_11comp_targetILNS1_3genE0ELNS1_11target_archE4294967295ELNS1_3gpuE0ELNS1_3repE0EEENS1_30default_config_static_selectorELNS0_4arch9wavefront6targetE0EEEvT1_
	.globl	_ZN7rocprim17ROCPRIM_400000_NS6detail17trampoline_kernelINS0_14default_configENS1_25partition_config_selectorILNS1_17partition_subalgoE6EN6thrust23THRUST_200600_302600_NS5tupleIiiNS7_9null_typeES9_S9_S9_S9_S9_S9_S9_EENS0_10empty_typeEbEEZZNS1_14partition_implILS5_6ELb0ES3_mNS7_12zip_iteratorINS8_INS7_6detail15normal_iteratorINS7_10device_ptrIiEEEESJ_S9_S9_S9_S9_S9_S9_S9_S9_EEEEPSB_SM_NS0_5tupleIJNSE_INS8_ISJ_NS7_16discard_iteratorINS7_11use_defaultEEES9_S9_S9_S9_S9_S9_S9_S9_EEEESB_EEENSN_IJSM_SM_EEESB_PlJNSF_9not_fun_tINSF_14equal_to_valueISA_EEEEEEE10hipError_tPvRmT3_T4_T5_T6_T7_T9_mT8_P12ihipStream_tbDpT10_ENKUlT_T0_E_clISt17integral_constantIbLb1EES1I_IbLb0EEEEDaS1E_S1F_EUlS1E_E_NS1_11comp_targetILNS1_3genE0ELNS1_11target_archE4294967295ELNS1_3gpuE0ELNS1_3repE0EEENS1_30default_config_static_selectorELNS0_4arch9wavefront6targetE0EEEvT1_
	.p2align	8
	.type	_ZN7rocprim17ROCPRIM_400000_NS6detail17trampoline_kernelINS0_14default_configENS1_25partition_config_selectorILNS1_17partition_subalgoE6EN6thrust23THRUST_200600_302600_NS5tupleIiiNS7_9null_typeES9_S9_S9_S9_S9_S9_S9_EENS0_10empty_typeEbEEZZNS1_14partition_implILS5_6ELb0ES3_mNS7_12zip_iteratorINS8_INS7_6detail15normal_iteratorINS7_10device_ptrIiEEEESJ_S9_S9_S9_S9_S9_S9_S9_S9_EEEEPSB_SM_NS0_5tupleIJNSE_INS8_ISJ_NS7_16discard_iteratorINS7_11use_defaultEEES9_S9_S9_S9_S9_S9_S9_S9_EEEESB_EEENSN_IJSM_SM_EEESB_PlJNSF_9not_fun_tINSF_14equal_to_valueISA_EEEEEEE10hipError_tPvRmT3_T4_T5_T6_T7_T9_mT8_P12ihipStream_tbDpT10_ENKUlT_T0_E_clISt17integral_constantIbLb1EES1I_IbLb0EEEEDaS1E_S1F_EUlS1E_E_NS1_11comp_targetILNS1_3genE0ELNS1_11target_archE4294967295ELNS1_3gpuE0ELNS1_3repE0EEENS1_30default_config_static_selectorELNS0_4arch9wavefront6targetE0EEEvT1_,@function
_ZN7rocprim17ROCPRIM_400000_NS6detail17trampoline_kernelINS0_14default_configENS1_25partition_config_selectorILNS1_17partition_subalgoE6EN6thrust23THRUST_200600_302600_NS5tupleIiiNS7_9null_typeES9_S9_S9_S9_S9_S9_S9_EENS0_10empty_typeEbEEZZNS1_14partition_implILS5_6ELb0ES3_mNS7_12zip_iteratorINS8_INS7_6detail15normal_iteratorINS7_10device_ptrIiEEEESJ_S9_S9_S9_S9_S9_S9_S9_S9_EEEEPSB_SM_NS0_5tupleIJNSE_INS8_ISJ_NS7_16discard_iteratorINS7_11use_defaultEEES9_S9_S9_S9_S9_S9_S9_S9_EEEESB_EEENSN_IJSM_SM_EEESB_PlJNSF_9not_fun_tINSF_14equal_to_valueISA_EEEEEEE10hipError_tPvRmT3_T4_T5_T6_T7_T9_mT8_P12ihipStream_tbDpT10_ENKUlT_T0_E_clISt17integral_constantIbLb1EES1I_IbLb0EEEEDaS1E_S1F_EUlS1E_E_NS1_11comp_targetILNS1_3genE0ELNS1_11target_archE4294967295ELNS1_3gpuE0ELNS1_3repE0EEENS1_30default_config_static_selectorELNS0_4arch9wavefront6targetE0EEEvT1_: ; @_ZN7rocprim17ROCPRIM_400000_NS6detail17trampoline_kernelINS0_14default_configENS1_25partition_config_selectorILNS1_17partition_subalgoE6EN6thrust23THRUST_200600_302600_NS5tupleIiiNS7_9null_typeES9_S9_S9_S9_S9_S9_S9_EENS0_10empty_typeEbEEZZNS1_14partition_implILS5_6ELb0ES3_mNS7_12zip_iteratorINS8_INS7_6detail15normal_iteratorINS7_10device_ptrIiEEEESJ_S9_S9_S9_S9_S9_S9_S9_S9_EEEEPSB_SM_NS0_5tupleIJNSE_INS8_ISJ_NS7_16discard_iteratorINS7_11use_defaultEEES9_S9_S9_S9_S9_S9_S9_S9_EEEESB_EEENSN_IJSM_SM_EEESB_PlJNSF_9not_fun_tINSF_14equal_to_valueISA_EEEEEEE10hipError_tPvRmT3_T4_T5_T6_T7_T9_mT8_P12ihipStream_tbDpT10_ENKUlT_T0_E_clISt17integral_constantIbLb1EES1I_IbLb0EEEEDaS1E_S1F_EUlS1E_E_NS1_11comp_targetILNS1_3genE0ELNS1_11target_archE4294967295ELNS1_3gpuE0ELNS1_3repE0EEENS1_30default_config_static_selectorELNS0_4arch9wavefront6targetE0EEEvT1_
; %bb.0:
	.section	.rodata,"a",@progbits
	.p2align	6, 0x0
	.amdhsa_kernel _ZN7rocprim17ROCPRIM_400000_NS6detail17trampoline_kernelINS0_14default_configENS1_25partition_config_selectorILNS1_17partition_subalgoE6EN6thrust23THRUST_200600_302600_NS5tupleIiiNS7_9null_typeES9_S9_S9_S9_S9_S9_S9_EENS0_10empty_typeEbEEZZNS1_14partition_implILS5_6ELb0ES3_mNS7_12zip_iteratorINS8_INS7_6detail15normal_iteratorINS7_10device_ptrIiEEEESJ_S9_S9_S9_S9_S9_S9_S9_S9_EEEEPSB_SM_NS0_5tupleIJNSE_INS8_ISJ_NS7_16discard_iteratorINS7_11use_defaultEEES9_S9_S9_S9_S9_S9_S9_S9_EEEESB_EEENSN_IJSM_SM_EEESB_PlJNSF_9not_fun_tINSF_14equal_to_valueISA_EEEEEEE10hipError_tPvRmT3_T4_T5_T6_T7_T9_mT8_P12ihipStream_tbDpT10_ENKUlT_T0_E_clISt17integral_constantIbLb1EES1I_IbLb0EEEEDaS1E_S1F_EUlS1E_E_NS1_11comp_targetILNS1_3genE0ELNS1_11target_archE4294967295ELNS1_3gpuE0ELNS1_3repE0EEENS1_30default_config_static_selectorELNS0_4arch9wavefront6targetE0EEEvT1_
		.amdhsa_group_segment_fixed_size 0
		.amdhsa_private_segment_fixed_size 0
		.amdhsa_kernarg_size 144
		.amdhsa_user_sgpr_count 2
		.amdhsa_user_sgpr_dispatch_ptr 0
		.amdhsa_user_sgpr_queue_ptr 0
		.amdhsa_user_sgpr_kernarg_segment_ptr 1
		.amdhsa_user_sgpr_dispatch_id 0
		.amdhsa_user_sgpr_private_segment_size 0
		.amdhsa_wavefront_size32 1
		.amdhsa_uses_dynamic_stack 0
		.amdhsa_enable_private_segment 0
		.amdhsa_system_sgpr_workgroup_id_x 1
		.amdhsa_system_sgpr_workgroup_id_y 0
		.amdhsa_system_sgpr_workgroup_id_z 0
		.amdhsa_system_sgpr_workgroup_info 0
		.amdhsa_system_vgpr_workitem_id 0
		.amdhsa_next_free_vgpr 1
		.amdhsa_next_free_sgpr 1
		.amdhsa_reserve_vcc 0
		.amdhsa_float_round_mode_32 0
		.amdhsa_float_round_mode_16_64 0
		.amdhsa_float_denorm_mode_32 3
		.amdhsa_float_denorm_mode_16_64 3
		.amdhsa_fp16_overflow 0
		.amdhsa_workgroup_processor_mode 1
		.amdhsa_memory_ordered 1
		.amdhsa_forward_progress 1
		.amdhsa_inst_pref_size 0
		.amdhsa_round_robin_scheduling 0
		.amdhsa_exception_fp_ieee_invalid_op 0
		.amdhsa_exception_fp_denorm_src 0
		.amdhsa_exception_fp_ieee_div_zero 0
		.amdhsa_exception_fp_ieee_overflow 0
		.amdhsa_exception_fp_ieee_underflow 0
		.amdhsa_exception_fp_ieee_inexact 0
		.amdhsa_exception_int_div_zero 0
	.end_amdhsa_kernel
	.section	.text._ZN7rocprim17ROCPRIM_400000_NS6detail17trampoline_kernelINS0_14default_configENS1_25partition_config_selectorILNS1_17partition_subalgoE6EN6thrust23THRUST_200600_302600_NS5tupleIiiNS7_9null_typeES9_S9_S9_S9_S9_S9_S9_EENS0_10empty_typeEbEEZZNS1_14partition_implILS5_6ELb0ES3_mNS7_12zip_iteratorINS8_INS7_6detail15normal_iteratorINS7_10device_ptrIiEEEESJ_S9_S9_S9_S9_S9_S9_S9_S9_EEEEPSB_SM_NS0_5tupleIJNSE_INS8_ISJ_NS7_16discard_iteratorINS7_11use_defaultEEES9_S9_S9_S9_S9_S9_S9_S9_EEEESB_EEENSN_IJSM_SM_EEESB_PlJNSF_9not_fun_tINSF_14equal_to_valueISA_EEEEEEE10hipError_tPvRmT3_T4_T5_T6_T7_T9_mT8_P12ihipStream_tbDpT10_ENKUlT_T0_E_clISt17integral_constantIbLb1EES1I_IbLb0EEEEDaS1E_S1F_EUlS1E_E_NS1_11comp_targetILNS1_3genE0ELNS1_11target_archE4294967295ELNS1_3gpuE0ELNS1_3repE0EEENS1_30default_config_static_selectorELNS0_4arch9wavefront6targetE0EEEvT1_,"axG",@progbits,_ZN7rocprim17ROCPRIM_400000_NS6detail17trampoline_kernelINS0_14default_configENS1_25partition_config_selectorILNS1_17partition_subalgoE6EN6thrust23THRUST_200600_302600_NS5tupleIiiNS7_9null_typeES9_S9_S9_S9_S9_S9_S9_EENS0_10empty_typeEbEEZZNS1_14partition_implILS5_6ELb0ES3_mNS7_12zip_iteratorINS8_INS7_6detail15normal_iteratorINS7_10device_ptrIiEEEESJ_S9_S9_S9_S9_S9_S9_S9_S9_EEEEPSB_SM_NS0_5tupleIJNSE_INS8_ISJ_NS7_16discard_iteratorINS7_11use_defaultEEES9_S9_S9_S9_S9_S9_S9_S9_EEEESB_EEENSN_IJSM_SM_EEESB_PlJNSF_9not_fun_tINSF_14equal_to_valueISA_EEEEEEE10hipError_tPvRmT3_T4_T5_T6_T7_T9_mT8_P12ihipStream_tbDpT10_ENKUlT_T0_E_clISt17integral_constantIbLb1EES1I_IbLb0EEEEDaS1E_S1F_EUlS1E_E_NS1_11comp_targetILNS1_3genE0ELNS1_11target_archE4294967295ELNS1_3gpuE0ELNS1_3repE0EEENS1_30default_config_static_selectorELNS0_4arch9wavefront6targetE0EEEvT1_,comdat
.Lfunc_end2029:
	.size	_ZN7rocprim17ROCPRIM_400000_NS6detail17trampoline_kernelINS0_14default_configENS1_25partition_config_selectorILNS1_17partition_subalgoE6EN6thrust23THRUST_200600_302600_NS5tupleIiiNS7_9null_typeES9_S9_S9_S9_S9_S9_S9_EENS0_10empty_typeEbEEZZNS1_14partition_implILS5_6ELb0ES3_mNS7_12zip_iteratorINS8_INS7_6detail15normal_iteratorINS7_10device_ptrIiEEEESJ_S9_S9_S9_S9_S9_S9_S9_S9_EEEEPSB_SM_NS0_5tupleIJNSE_INS8_ISJ_NS7_16discard_iteratorINS7_11use_defaultEEES9_S9_S9_S9_S9_S9_S9_S9_EEEESB_EEENSN_IJSM_SM_EEESB_PlJNSF_9not_fun_tINSF_14equal_to_valueISA_EEEEEEE10hipError_tPvRmT3_T4_T5_T6_T7_T9_mT8_P12ihipStream_tbDpT10_ENKUlT_T0_E_clISt17integral_constantIbLb1EES1I_IbLb0EEEEDaS1E_S1F_EUlS1E_E_NS1_11comp_targetILNS1_3genE0ELNS1_11target_archE4294967295ELNS1_3gpuE0ELNS1_3repE0EEENS1_30default_config_static_selectorELNS0_4arch9wavefront6targetE0EEEvT1_, .Lfunc_end2029-_ZN7rocprim17ROCPRIM_400000_NS6detail17trampoline_kernelINS0_14default_configENS1_25partition_config_selectorILNS1_17partition_subalgoE6EN6thrust23THRUST_200600_302600_NS5tupleIiiNS7_9null_typeES9_S9_S9_S9_S9_S9_S9_EENS0_10empty_typeEbEEZZNS1_14partition_implILS5_6ELb0ES3_mNS7_12zip_iteratorINS8_INS7_6detail15normal_iteratorINS7_10device_ptrIiEEEESJ_S9_S9_S9_S9_S9_S9_S9_S9_EEEEPSB_SM_NS0_5tupleIJNSE_INS8_ISJ_NS7_16discard_iteratorINS7_11use_defaultEEES9_S9_S9_S9_S9_S9_S9_S9_EEEESB_EEENSN_IJSM_SM_EEESB_PlJNSF_9not_fun_tINSF_14equal_to_valueISA_EEEEEEE10hipError_tPvRmT3_T4_T5_T6_T7_T9_mT8_P12ihipStream_tbDpT10_ENKUlT_T0_E_clISt17integral_constantIbLb1EES1I_IbLb0EEEEDaS1E_S1F_EUlS1E_E_NS1_11comp_targetILNS1_3genE0ELNS1_11target_archE4294967295ELNS1_3gpuE0ELNS1_3repE0EEENS1_30default_config_static_selectorELNS0_4arch9wavefront6targetE0EEEvT1_
                                        ; -- End function
	.set _ZN7rocprim17ROCPRIM_400000_NS6detail17trampoline_kernelINS0_14default_configENS1_25partition_config_selectorILNS1_17partition_subalgoE6EN6thrust23THRUST_200600_302600_NS5tupleIiiNS7_9null_typeES9_S9_S9_S9_S9_S9_S9_EENS0_10empty_typeEbEEZZNS1_14partition_implILS5_6ELb0ES3_mNS7_12zip_iteratorINS8_INS7_6detail15normal_iteratorINS7_10device_ptrIiEEEESJ_S9_S9_S9_S9_S9_S9_S9_S9_EEEEPSB_SM_NS0_5tupleIJNSE_INS8_ISJ_NS7_16discard_iteratorINS7_11use_defaultEEES9_S9_S9_S9_S9_S9_S9_S9_EEEESB_EEENSN_IJSM_SM_EEESB_PlJNSF_9not_fun_tINSF_14equal_to_valueISA_EEEEEEE10hipError_tPvRmT3_T4_T5_T6_T7_T9_mT8_P12ihipStream_tbDpT10_ENKUlT_T0_E_clISt17integral_constantIbLb1EES1I_IbLb0EEEEDaS1E_S1F_EUlS1E_E_NS1_11comp_targetILNS1_3genE0ELNS1_11target_archE4294967295ELNS1_3gpuE0ELNS1_3repE0EEENS1_30default_config_static_selectorELNS0_4arch9wavefront6targetE0EEEvT1_.num_vgpr, 0
	.set _ZN7rocprim17ROCPRIM_400000_NS6detail17trampoline_kernelINS0_14default_configENS1_25partition_config_selectorILNS1_17partition_subalgoE6EN6thrust23THRUST_200600_302600_NS5tupleIiiNS7_9null_typeES9_S9_S9_S9_S9_S9_S9_EENS0_10empty_typeEbEEZZNS1_14partition_implILS5_6ELb0ES3_mNS7_12zip_iteratorINS8_INS7_6detail15normal_iteratorINS7_10device_ptrIiEEEESJ_S9_S9_S9_S9_S9_S9_S9_S9_EEEEPSB_SM_NS0_5tupleIJNSE_INS8_ISJ_NS7_16discard_iteratorINS7_11use_defaultEEES9_S9_S9_S9_S9_S9_S9_S9_EEEESB_EEENSN_IJSM_SM_EEESB_PlJNSF_9not_fun_tINSF_14equal_to_valueISA_EEEEEEE10hipError_tPvRmT3_T4_T5_T6_T7_T9_mT8_P12ihipStream_tbDpT10_ENKUlT_T0_E_clISt17integral_constantIbLb1EES1I_IbLb0EEEEDaS1E_S1F_EUlS1E_E_NS1_11comp_targetILNS1_3genE0ELNS1_11target_archE4294967295ELNS1_3gpuE0ELNS1_3repE0EEENS1_30default_config_static_selectorELNS0_4arch9wavefront6targetE0EEEvT1_.num_agpr, 0
	.set _ZN7rocprim17ROCPRIM_400000_NS6detail17trampoline_kernelINS0_14default_configENS1_25partition_config_selectorILNS1_17partition_subalgoE6EN6thrust23THRUST_200600_302600_NS5tupleIiiNS7_9null_typeES9_S9_S9_S9_S9_S9_S9_EENS0_10empty_typeEbEEZZNS1_14partition_implILS5_6ELb0ES3_mNS7_12zip_iteratorINS8_INS7_6detail15normal_iteratorINS7_10device_ptrIiEEEESJ_S9_S9_S9_S9_S9_S9_S9_S9_EEEEPSB_SM_NS0_5tupleIJNSE_INS8_ISJ_NS7_16discard_iteratorINS7_11use_defaultEEES9_S9_S9_S9_S9_S9_S9_S9_EEEESB_EEENSN_IJSM_SM_EEESB_PlJNSF_9not_fun_tINSF_14equal_to_valueISA_EEEEEEE10hipError_tPvRmT3_T4_T5_T6_T7_T9_mT8_P12ihipStream_tbDpT10_ENKUlT_T0_E_clISt17integral_constantIbLb1EES1I_IbLb0EEEEDaS1E_S1F_EUlS1E_E_NS1_11comp_targetILNS1_3genE0ELNS1_11target_archE4294967295ELNS1_3gpuE0ELNS1_3repE0EEENS1_30default_config_static_selectorELNS0_4arch9wavefront6targetE0EEEvT1_.numbered_sgpr, 0
	.set _ZN7rocprim17ROCPRIM_400000_NS6detail17trampoline_kernelINS0_14default_configENS1_25partition_config_selectorILNS1_17partition_subalgoE6EN6thrust23THRUST_200600_302600_NS5tupleIiiNS7_9null_typeES9_S9_S9_S9_S9_S9_S9_EENS0_10empty_typeEbEEZZNS1_14partition_implILS5_6ELb0ES3_mNS7_12zip_iteratorINS8_INS7_6detail15normal_iteratorINS7_10device_ptrIiEEEESJ_S9_S9_S9_S9_S9_S9_S9_S9_EEEEPSB_SM_NS0_5tupleIJNSE_INS8_ISJ_NS7_16discard_iteratorINS7_11use_defaultEEES9_S9_S9_S9_S9_S9_S9_S9_EEEESB_EEENSN_IJSM_SM_EEESB_PlJNSF_9not_fun_tINSF_14equal_to_valueISA_EEEEEEE10hipError_tPvRmT3_T4_T5_T6_T7_T9_mT8_P12ihipStream_tbDpT10_ENKUlT_T0_E_clISt17integral_constantIbLb1EES1I_IbLb0EEEEDaS1E_S1F_EUlS1E_E_NS1_11comp_targetILNS1_3genE0ELNS1_11target_archE4294967295ELNS1_3gpuE0ELNS1_3repE0EEENS1_30default_config_static_selectorELNS0_4arch9wavefront6targetE0EEEvT1_.num_named_barrier, 0
	.set _ZN7rocprim17ROCPRIM_400000_NS6detail17trampoline_kernelINS0_14default_configENS1_25partition_config_selectorILNS1_17partition_subalgoE6EN6thrust23THRUST_200600_302600_NS5tupleIiiNS7_9null_typeES9_S9_S9_S9_S9_S9_S9_EENS0_10empty_typeEbEEZZNS1_14partition_implILS5_6ELb0ES3_mNS7_12zip_iteratorINS8_INS7_6detail15normal_iteratorINS7_10device_ptrIiEEEESJ_S9_S9_S9_S9_S9_S9_S9_S9_EEEEPSB_SM_NS0_5tupleIJNSE_INS8_ISJ_NS7_16discard_iteratorINS7_11use_defaultEEES9_S9_S9_S9_S9_S9_S9_S9_EEEESB_EEENSN_IJSM_SM_EEESB_PlJNSF_9not_fun_tINSF_14equal_to_valueISA_EEEEEEE10hipError_tPvRmT3_T4_T5_T6_T7_T9_mT8_P12ihipStream_tbDpT10_ENKUlT_T0_E_clISt17integral_constantIbLb1EES1I_IbLb0EEEEDaS1E_S1F_EUlS1E_E_NS1_11comp_targetILNS1_3genE0ELNS1_11target_archE4294967295ELNS1_3gpuE0ELNS1_3repE0EEENS1_30default_config_static_selectorELNS0_4arch9wavefront6targetE0EEEvT1_.private_seg_size, 0
	.set _ZN7rocprim17ROCPRIM_400000_NS6detail17trampoline_kernelINS0_14default_configENS1_25partition_config_selectorILNS1_17partition_subalgoE6EN6thrust23THRUST_200600_302600_NS5tupleIiiNS7_9null_typeES9_S9_S9_S9_S9_S9_S9_EENS0_10empty_typeEbEEZZNS1_14partition_implILS5_6ELb0ES3_mNS7_12zip_iteratorINS8_INS7_6detail15normal_iteratorINS7_10device_ptrIiEEEESJ_S9_S9_S9_S9_S9_S9_S9_S9_EEEEPSB_SM_NS0_5tupleIJNSE_INS8_ISJ_NS7_16discard_iteratorINS7_11use_defaultEEES9_S9_S9_S9_S9_S9_S9_S9_EEEESB_EEENSN_IJSM_SM_EEESB_PlJNSF_9not_fun_tINSF_14equal_to_valueISA_EEEEEEE10hipError_tPvRmT3_T4_T5_T6_T7_T9_mT8_P12ihipStream_tbDpT10_ENKUlT_T0_E_clISt17integral_constantIbLb1EES1I_IbLb0EEEEDaS1E_S1F_EUlS1E_E_NS1_11comp_targetILNS1_3genE0ELNS1_11target_archE4294967295ELNS1_3gpuE0ELNS1_3repE0EEENS1_30default_config_static_selectorELNS0_4arch9wavefront6targetE0EEEvT1_.uses_vcc, 0
	.set _ZN7rocprim17ROCPRIM_400000_NS6detail17trampoline_kernelINS0_14default_configENS1_25partition_config_selectorILNS1_17partition_subalgoE6EN6thrust23THRUST_200600_302600_NS5tupleIiiNS7_9null_typeES9_S9_S9_S9_S9_S9_S9_EENS0_10empty_typeEbEEZZNS1_14partition_implILS5_6ELb0ES3_mNS7_12zip_iteratorINS8_INS7_6detail15normal_iteratorINS7_10device_ptrIiEEEESJ_S9_S9_S9_S9_S9_S9_S9_S9_EEEEPSB_SM_NS0_5tupleIJNSE_INS8_ISJ_NS7_16discard_iteratorINS7_11use_defaultEEES9_S9_S9_S9_S9_S9_S9_S9_EEEESB_EEENSN_IJSM_SM_EEESB_PlJNSF_9not_fun_tINSF_14equal_to_valueISA_EEEEEEE10hipError_tPvRmT3_T4_T5_T6_T7_T9_mT8_P12ihipStream_tbDpT10_ENKUlT_T0_E_clISt17integral_constantIbLb1EES1I_IbLb0EEEEDaS1E_S1F_EUlS1E_E_NS1_11comp_targetILNS1_3genE0ELNS1_11target_archE4294967295ELNS1_3gpuE0ELNS1_3repE0EEENS1_30default_config_static_selectorELNS0_4arch9wavefront6targetE0EEEvT1_.uses_flat_scratch, 0
	.set _ZN7rocprim17ROCPRIM_400000_NS6detail17trampoline_kernelINS0_14default_configENS1_25partition_config_selectorILNS1_17partition_subalgoE6EN6thrust23THRUST_200600_302600_NS5tupleIiiNS7_9null_typeES9_S9_S9_S9_S9_S9_S9_EENS0_10empty_typeEbEEZZNS1_14partition_implILS5_6ELb0ES3_mNS7_12zip_iteratorINS8_INS7_6detail15normal_iteratorINS7_10device_ptrIiEEEESJ_S9_S9_S9_S9_S9_S9_S9_S9_EEEEPSB_SM_NS0_5tupleIJNSE_INS8_ISJ_NS7_16discard_iteratorINS7_11use_defaultEEES9_S9_S9_S9_S9_S9_S9_S9_EEEESB_EEENSN_IJSM_SM_EEESB_PlJNSF_9not_fun_tINSF_14equal_to_valueISA_EEEEEEE10hipError_tPvRmT3_T4_T5_T6_T7_T9_mT8_P12ihipStream_tbDpT10_ENKUlT_T0_E_clISt17integral_constantIbLb1EES1I_IbLb0EEEEDaS1E_S1F_EUlS1E_E_NS1_11comp_targetILNS1_3genE0ELNS1_11target_archE4294967295ELNS1_3gpuE0ELNS1_3repE0EEENS1_30default_config_static_selectorELNS0_4arch9wavefront6targetE0EEEvT1_.has_dyn_sized_stack, 0
	.set _ZN7rocprim17ROCPRIM_400000_NS6detail17trampoline_kernelINS0_14default_configENS1_25partition_config_selectorILNS1_17partition_subalgoE6EN6thrust23THRUST_200600_302600_NS5tupleIiiNS7_9null_typeES9_S9_S9_S9_S9_S9_S9_EENS0_10empty_typeEbEEZZNS1_14partition_implILS5_6ELb0ES3_mNS7_12zip_iteratorINS8_INS7_6detail15normal_iteratorINS7_10device_ptrIiEEEESJ_S9_S9_S9_S9_S9_S9_S9_S9_EEEEPSB_SM_NS0_5tupleIJNSE_INS8_ISJ_NS7_16discard_iteratorINS7_11use_defaultEEES9_S9_S9_S9_S9_S9_S9_S9_EEEESB_EEENSN_IJSM_SM_EEESB_PlJNSF_9not_fun_tINSF_14equal_to_valueISA_EEEEEEE10hipError_tPvRmT3_T4_T5_T6_T7_T9_mT8_P12ihipStream_tbDpT10_ENKUlT_T0_E_clISt17integral_constantIbLb1EES1I_IbLb0EEEEDaS1E_S1F_EUlS1E_E_NS1_11comp_targetILNS1_3genE0ELNS1_11target_archE4294967295ELNS1_3gpuE0ELNS1_3repE0EEENS1_30default_config_static_selectorELNS0_4arch9wavefront6targetE0EEEvT1_.has_recursion, 0
	.set _ZN7rocprim17ROCPRIM_400000_NS6detail17trampoline_kernelINS0_14default_configENS1_25partition_config_selectorILNS1_17partition_subalgoE6EN6thrust23THRUST_200600_302600_NS5tupleIiiNS7_9null_typeES9_S9_S9_S9_S9_S9_S9_EENS0_10empty_typeEbEEZZNS1_14partition_implILS5_6ELb0ES3_mNS7_12zip_iteratorINS8_INS7_6detail15normal_iteratorINS7_10device_ptrIiEEEESJ_S9_S9_S9_S9_S9_S9_S9_S9_EEEEPSB_SM_NS0_5tupleIJNSE_INS8_ISJ_NS7_16discard_iteratorINS7_11use_defaultEEES9_S9_S9_S9_S9_S9_S9_S9_EEEESB_EEENSN_IJSM_SM_EEESB_PlJNSF_9not_fun_tINSF_14equal_to_valueISA_EEEEEEE10hipError_tPvRmT3_T4_T5_T6_T7_T9_mT8_P12ihipStream_tbDpT10_ENKUlT_T0_E_clISt17integral_constantIbLb1EES1I_IbLb0EEEEDaS1E_S1F_EUlS1E_E_NS1_11comp_targetILNS1_3genE0ELNS1_11target_archE4294967295ELNS1_3gpuE0ELNS1_3repE0EEENS1_30default_config_static_selectorELNS0_4arch9wavefront6targetE0EEEvT1_.has_indirect_call, 0
	.section	.AMDGPU.csdata,"",@progbits
; Kernel info:
; codeLenInByte = 0
; TotalNumSgprs: 0
; NumVgprs: 0
; ScratchSize: 0
; MemoryBound: 0
; FloatMode: 240
; IeeeMode: 1
; LDSByteSize: 0 bytes/workgroup (compile time only)
; SGPRBlocks: 0
; VGPRBlocks: 0
; NumSGPRsForWavesPerEU: 1
; NumVGPRsForWavesPerEU: 1
; Occupancy: 16
; WaveLimiterHint : 0
; COMPUTE_PGM_RSRC2:SCRATCH_EN: 0
; COMPUTE_PGM_RSRC2:USER_SGPR: 2
; COMPUTE_PGM_RSRC2:TRAP_HANDLER: 0
; COMPUTE_PGM_RSRC2:TGID_X_EN: 1
; COMPUTE_PGM_RSRC2:TGID_Y_EN: 0
; COMPUTE_PGM_RSRC2:TGID_Z_EN: 0
; COMPUTE_PGM_RSRC2:TIDIG_COMP_CNT: 0
	.section	.text._ZN7rocprim17ROCPRIM_400000_NS6detail17trampoline_kernelINS0_14default_configENS1_25partition_config_selectorILNS1_17partition_subalgoE6EN6thrust23THRUST_200600_302600_NS5tupleIiiNS7_9null_typeES9_S9_S9_S9_S9_S9_S9_EENS0_10empty_typeEbEEZZNS1_14partition_implILS5_6ELb0ES3_mNS7_12zip_iteratorINS8_INS7_6detail15normal_iteratorINS7_10device_ptrIiEEEESJ_S9_S9_S9_S9_S9_S9_S9_S9_EEEEPSB_SM_NS0_5tupleIJNSE_INS8_ISJ_NS7_16discard_iteratorINS7_11use_defaultEEES9_S9_S9_S9_S9_S9_S9_S9_EEEESB_EEENSN_IJSM_SM_EEESB_PlJNSF_9not_fun_tINSF_14equal_to_valueISA_EEEEEEE10hipError_tPvRmT3_T4_T5_T6_T7_T9_mT8_P12ihipStream_tbDpT10_ENKUlT_T0_E_clISt17integral_constantIbLb1EES1I_IbLb0EEEEDaS1E_S1F_EUlS1E_E_NS1_11comp_targetILNS1_3genE5ELNS1_11target_archE942ELNS1_3gpuE9ELNS1_3repE0EEENS1_30default_config_static_selectorELNS0_4arch9wavefront6targetE0EEEvT1_,"axG",@progbits,_ZN7rocprim17ROCPRIM_400000_NS6detail17trampoline_kernelINS0_14default_configENS1_25partition_config_selectorILNS1_17partition_subalgoE6EN6thrust23THRUST_200600_302600_NS5tupleIiiNS7_9null_typeES9_S9_S9_S9_S9_S9_S9_EENS0_10empty_typeEbEEZZNS1_14partition_implILS5_6ELb0ES3_mNS7_12zip_iteratorINS8_INS7_6detail15normal_iteratorINS7_10device_ptrIiEEEESJ_S9_S9_S9_S9_S9_S9_S9_S9_EEEEPSB_SM_NS0_5tupleIJNSE_INS8_ISJ_NS7_16discard_iteratorINS7_11use_defaultEEES9_S9_S9_S9_S9_S9_S9_S9_EEEESB_EEENSN_IJSM_SM_EEESB_PlJNSF_9not_fun_tINSF_14equal_to_valueISA_EEEEEEE10hipError_tPvRmT3_T4_T5_T6_T7_T9_mT8_P12ihipStream_tbDpT10_ENKUlT_T0_E_clISt17integral_constantIbLb1EES1I_IbLb0EEEEDaS1E_S1F_EUlS1E_E_NS1_11comp_targetILNS1_3genE5ELNS1_11target_archE942ELNS1_3gpuE9ELNS1_3repE0EEENS1_30default_config_static_selectorELNS0_4arch9wavefront6targetE0EEEvT1_,comdat
	.protected	_ZN7rocprim17ROCPRIM_400000_NS6detail17trampoline_kernelINS0_14default_configENS1_25partition_config_selectorILNS1_17partition_subalgoE6EN6thrust23THRUST_200600_302600_NS5tupleIiiNS7_9null_typeES9_S9_S9_S9_S9_S9_S9_EENS0_10empty_typeEbEEZZNS1_14partition_implILS5_6ELb0ES3_mNS7_12zip_iteratorINS8_INS7_6detail15normal_iteratorINS7_10device_ptrIiEEEESJ_S9_S9_S9_S9_S9_S9_S9_S9_EEEEPSB_SM_NS0_5tupleIJNSE_INS8_ISJ_NS7_16discard_iteratorINS7_11use_defaultEEES9_S9_S9_S9_S9_S9_S9_S9_EEEESB_EEENSN_IJSM_SM_EEESB_PlJNSF_9not_fun_tINSF_14equal_to_valueISA_EEEEEEE10hipError_tPvRmT3_T4_T5_T6_T7_T9_mT8_P12ihipStream_tbDpT10_ENKUlT_T0_E_clISt17integral_constantIbLb1EES1I_IbLb0EEEEDaS1E_S1F_EUlS1E_E_NS1_11comp_targetILNS1_3genE5ELNS1_11target_archE942ELNS1_3gpuE9ELNS1_3repE0EEENS1_30default_config_static_selectorELNS0_4arch9wavefront6targetE0EEEvT1_ ; -- Begin function _ZN7rocprim17ROCPRIM_400000_NS6detail17trampoline_kernelINS0_14default_configENS1_25partition_config_selectorILNS1_17partition_subalgoE6EN6thrust23THRUST_200600_302600_NS5tupleIiiNS7_9null_typeES9_S9_S9_S9_S9_S9_S9_EENS0_10empty_typeEbEEZZNS1_14partition_implILS5_6ELb0ES3_mNS7_12zip_iteratorINS8_INS7_6detail15normal_iteratorINS7_10device_ptrIiEEEESJ_S9_S9_S9_S9_S9_S9_S9_S9_EEEEPSB_SM_NS0_5tupleIJNSE_INS8_ISJ_NS7_16discard_iteratorINS7_11use_defaultEEES9_S9_S9_S9_S9_S9_S9_S9_EEEESB_EEENSN_IJSM_SM_EEESB_PlJNSF_9not_fun_tINSF_14equal_to_valueISA_EEEEEEE10hipError_tPvRmT3_T4_T5_T6_T7_T9_mT8_P12ihipStream_tbDpT10_ENKUlT_T0_E_clISt17integral_constantIbLb1EES1I_IbLb0EEEEDaS1E_S1F_EUlS1E_E_NS1_11comp_targetILNS1_3genE5ELNS1_11target_archE942ELNS1_3gpuE9ELNS1_3repE0EEENS1_30default_config_static_selectorELNS0_4arch9wavefront6targetE0EEEvT1_
	.globl	_ZN7rocprim17ROCPRIM_400000_NS6detail17trampoline_kernelINS0_14default_configENS1_25partition_config_selectorILNS1_17partition_subalgoE6EN6thrust23THRUST_200600_302600_NS5tupleIiiNS7_9null_typeES9_S9_S9_S9_S9_S9_S9_EENS0_10empty_typeEbEEZZNS1_14partition_implILS5_6ELb0ES3_mNS7_12zip_iteratorINS8_INS7_6detail15normal_iteratorINS7_10device_ptrIiEEEESJ_S9_S9_S9_S9_S9_S9_S9_S9_EEEEPSB_SM_NS0_5tupleIJNSE_INS8_ISJ_NS7_16discard_iteratorINS7_11use_defaultEEES9_S9_S9_S9_S9_S9_S9_S9_EEEESB_EEENSN_IJSM_SM_EEESB_PlJNSF_9not_fun_tINSF_14equal_to_valueISA_EEEEEEE10hipError_tPvRmT3_T4_T5_T6_T7_T9_mT8_P12ihipStream_tbDpT10_ENKUlT_T0_E_clISt17integral_constantIbLb1EES1I_IbLb0EEEEDaS1E_S1F_EUlS1E_E_NS1_11comp_targetILNS1_3genE5ELNS1_11target_archE942ELNS1_3gpuE9ELNS1_3repE0EEENS1_30default_config_static_selectorELNS0_4arch9wavefront6targetE0EEEvT1_
	.p2align	8
	.type	_ZN7rocprim17ROCPRIM_400000_NS6detail17trampoline_kernelINS0_14default_configENS1_25partition_config_selectorILNS1_17partition_subalgoE6EN6thrust23THRUST_200600_302600_NS5tupleIiiNS7_9null_typeES9_S9_S9_S9_S9_S9_S9_EENS0_10empty_typeEbEEZZNS1_14partition_implILS5_6ELb0ES3_mNS7_12zip_iteratorINS8_INS7_6detail15normal_iteratorINS7_10device_ptrIiEEEESJ_S9_S9_S9_S9_S9_S9_S9_S9_EEEEPSB_SM_NS0_5tupleIJNSE_INS8_ISJ_NS7_16discard_iteratorINS7_11use_defaultEEES9_S9_S9_S9_S9_S9_S9_S9_EEEESB_EEENSN_IJSM_SM_EEESB_PlJNSF_9not_fun_tINSF_14equal_to_valueISA_EEEEEEE10hipError_tPvRmT3_T4_T5_T6_T7_T9_mT8_P12ihipStream_tbDpT10_ENKUlT_T0_E_clISt17integral_constantIbLb1EES1I_IbLb0EEEEDaS1E_S1F_EUlS1E_E_NS1_11comp_targetILNS1_3genE5ELNS1_11target_archE942ELNS1_3gpuE9ELNS1_3repE0EEENS1_30default_config_static_selectorELNS0_4arch9wavefront6targetE0EEEvT1_,@function
_ZN7rocprim17ROCPRIM_400000_NS6detail17trampoline_kernelINS0_14default_configENS1_25partition_config_selectorILNS1_17partition_subalgoE6EN6thrust23THRUST_200600_302600_NS5tupleIiiNS7_9null_typeES9_S9_S9_S9_S9_S9_S9_EENS0_10empty_typeEbEEZZNS1_14partition_implILS5_6ELb0ES3_mNS7_12zip_iteratorINS8_INS7_6detail15normal_iteratorINS7_10device_ptrIiEEEESJ_S9_S9_S9_S9_S9_S9_S9_S9_EEEEPSB_SM_NS0_5tupleIJNSE_INS8_ISJ_NS7_16discard_iteratorINS7_11use_defaultEEES9_S9_S9_S9_S9_S9_S9_S9_EEEESB_EEENSN_IJSM_SM_EEESB_PlJNSF_9not_fun_tINSF_14equal_to_valueISA_EEEEEEE10hipError_tPvRmT3_T4_T5_T6_T7_T9_mT8_P12ihipStream_tbDpT10_ENKUlT_T0_E_clISt17integral_constantIbLb1EES1I_IbLb0EEEEDaS1E_S1F_EUlS1E_E_NS1_11comp_targetILNS1_3genE5ELNS1_11target_archE942ELNS1_3gpuE9ELNS1_3repE0EEENS1_30default_config_static_selectorELNS0_4arch9wavefront6targetE0EEEvT1_: ; @_ZN7rocprim17ROCPRIM_400000_NS6detail17trampoline_kernelINS0_14default_configENS1_25partition_config_selectorILNS1_17partition_subalgoE6EN6thrust23THRUST_200600_302600_NS5tupleIiiNS7_9null_typeES9_S9_S9_S9_S9_S9_S9_EENS0_10empty_typeEbEEZZNS1_14partition_implILS5_6ELb0ES3_mNS7_12zip_iteratorINS8_INS7_6detail15normal_iteratorINS7_10device_ptrIiEEEESJ_S9_S9_S9_S9_S9_S9_S9_S9_EEEEPSB_SM_NS0_5tupleIJNSE_INS8_ISJ_NS7_16discard_iteratorINS7_11use_defaultEEES9_S9_S9_S9_S9_S9_S9_S9_EEEESB_EEENSN_IJSM_SM_EEESB_PlJNSF_9not_fun_tINSF_14equal_to_valueISA_EEEEEEE10hipError_tPvRmT3_T4_T5_T6_T7_T9_mT8_P12ihipStream_tbDpT10_ENKUlT_T0_E_clISt17integral_constantIbLb1EES1I_IbLb0EEEEDaS1E_S1F_EUlS1E_E_NS1_11comp_targetILNS1_3genE5ELNS1_11target_archE942ELNS1_3gpuE9ELNS1_3repE0EEENS1_30default_config_static_selectorELNS0_4arch9wavefront6targetE0EEEvT1_
; %bb.0:
	.section	.rodata,"a",@progbits
	.p2align	6, 0x0
	.amdhsa_kernel _ZN7rocprim17ROCPRIM_400000_NS6detail17trampoline_kernelINS0_14default_configENS1_25partition_config_selectorILNS1_17partition_subalgoE6EN6thrust23THRUST_200600_302600_NS5tupleIiiNS7_9null_typeES9_S9_S9_S9_S9_S9_S9_EENS0_10empty_typeEbEEZZNS1_14partition_implILS5_6ELb0ES3_mNS7_12zip_iteratorINS8_INS7_6detail15normal_iteratorINS7_10device_ptrIiEEEESJ_S9_S9_S9_S9_S9_S9_S9_S9_EEEEPSB_SM_NS0_5tupleIJNSE_INS8_ISJ_NS7_16discard_iteratorINS7_11use_defaultEEES9_S9_S9_S9_S9_S9_S9_S9_EEEESB_EEENSN_IJSM_SM_EEESB_PlJNSF_9not_fun_tINSF_14equal_to_valueISA_EEEEEEE10hipError_tPvRmT3_T4_T5_T6_T7_T9_mT8_P12ihipStream_tbDpT10_ENKUlT_T0_E_clISt17integral_constantIbLb1EES1I_IbLb0EEEEDaS1E_S1F_EUlS1E_E_NS1_11comp_targetILNS1_3genE5ELNS1_11target_archE942ELNS1_3gpuE9ELNS1_3repE0EEENS1_30default_config_static_selectorELNS0_4arch9wavefront6targetE0EEEvT1_
		.amdhsa_group_segment_fixed_size 0
		.amdhsa_private_segment_fixed_size 0
		.amdhsa_kernarg_size 144
		.amdhsa_user_sgpr_count 2
		.amdhsa_user_sgpr_dispatch_ptr 0
		.amdhsa_user_sgpr_queue_ptr 0
		.amdhsa_user_sgpr_kernarg_segment_ptr 1
		.amdhsa_user_sgpr_dispatch_id 0
		.amdhsa_user_sgpr_private_segment_size 0
		.amdhsa_wavefront_size32 1
		.amdhsa_uses_dynamic_stack 0
		.amdhsa_enable_private_segment 0
		.amdhsa_system_sgpr_workgroup_id_x 1
		.amdhsa_system_sgpr_workgroup_id_y 0
		.amdhsa_system_sgpr_workgroup_id_z 0
		.amdhsa_system_sgpr_workgroup_info 0
		.amdhsa_system_vgpr_workitem_id 0
		.amdhsa_next_free_vgpr 1
		.amdhsa_next_free_sgpr 1
		.amdhsa_reserve_vcc 0
		.amdhsa_float_round_mode_32 0
		.amdhsa_float_round_mode_16_64 0
		.amdhsa_float_denorm_mode_32 3
		.amdhsa_float_denorm_mode_16_64 3
		.amdhsa_fp16_overflow 0
		.amdhsa_workgroup_processor_mode 1
		.amdhsa_memory_ordered 1
		.amdhsa_forward_progress 1
		.amdhsa_inst_pref_size 0
		.amdhsa_round_robin_scheduling 0
		.amdhsa_exception_fp_ieee_invalid_op 0
		.amdhsa_exception_fp_denorm_src 0
		.amdhsa_exception_fp_ieee_div_zero 0
		.amdhsa_exception_fp_ieee_overflow 0
		.amdhsa_exception_fp_ieee_underflow 0
		.amdhsa_exception_fp_ieee_inexact 0
		.amdhsa_exception_int_div_zero 0
	.end_amdhsa_kernel
	.section	.text._ZN7rocprim17ROCPRIM_400000_NS6detail17trampoline_kernelINS0_14default_configENS1_25partition_config_selectorILNS1_17partition_subalgoE6EN6thrust23THRUST_200600_302600_NS5tupleIiiNS7_9null_typeES9_S9_S9_S9_S9_S9_S9_EENS0_10empty_typeEbEEZZNS1_14partition_implILS5_6ELb0ES3_mNS7_12zip_iteratorINS8_INS7_6detail15normal_iteratorINS7_10device_ptrIiEEEESJ_S9_S9_S9_S9_S9_S9_S9_S9_EEEEPSB_SM_NS0_5tupleIJNSE_INS8_ISJ_NS7_16discard_iteratorINS7_11use_defaultEEES9_S9_S9_S9_S9_S9_S9_S9_EEEESB_EEENSN_IJSM_SM_EEESB_PlJNSF_9not_fun_tINSF_14equal_to_valueISA_EEEEEEE10hipError_tPvRmT3_T4_T5_T6_T7_T9_mT8_P12ihipStream_tbDpT10_ENKUlT_T0_E_clISt17integral_constantIbLb1EES1I_IbLb0EEEEDaS1E_S1F_EUlS1E_E_NS1_11comp_targetILNS1_3genE5ELNS1_11target_archE942ELNS1_3gpuE9ELNS1_3repE0EEENS1_30default_config_static_selectorELNS0_4arch9wavefront6targetE0EEEvT1_,"axG",@progbits,_ZN7rocprim17ROCPRIM_400000_NS6detail17trampoline_kernelINS0_14default_configENS1_25partition_config_selectorILNS1_17partition_subalgoE6EN6thrust23THRUST_200600_302600_NS5tupleIiiNS7_9null_typeES9_S9_S9_S9_S9_S9_S9_EENS0_10empty_typeEbEEZZNS1_14partition_implILS5_6ELb0ES3_mNS7_12zip_iteratorINS8_INS7_6detail15normal_iteratorINS7_10device_ptrIiEEEESJ_S9_S9_S9_S9_S9_S9_S9_S9_EEEEPSB_SM_NS0_5tupleIJNSE_INS8_ISJ_NS7_16discard_iteratorINS7_11use_defaultEEES9_S9_S9_S9_S9_S9_S9_S9_EEEESB_EEENSN_IJSM_SM_EEESB_PlJNSF_9not_fun_tINSF_14equal_to_valueISA_EEEEEEE10hipError_tPvRmT3_T4_T5_T6_T7_T9_mT8_P12ihipStream_tbDpT10_ENKUlT_T0_E_clISt17integral_constantIbLb1EES1I_IbLb0EEEEDaS1E_S1F_EUlS1E_E_NS1_11comp_targetILNS1_3genE5ELNS1_11target_archE942ELNS1_3gpuE9ELNS1_3repE0EEENS1_30default_config_static_selectorELNS0_4arch9wavefront6targetE0EEEvT1_,comdat
.Lfunc_end2030:
	.size	_ZN7rocprim17ROCPRIM_400000_NS6detail17trampoline_kernelINS0_14default_configENS1_25partition_config_selectorILNS1_17partition_subalgoE6EN6thrust23THRUST_200600_302600_NS5tupleIiiNS7_9null_typeES9_S9_S9_S9_S9_S9_S9_EENS0_10empty_typeEbEEZZNS1_14partition_implILS5_6ELb0ES3_mNS7_12zip_iteratorINS8_INS7_6detail15normal_iteratorINS7_10device_ptrIiEEEESJ_S9_S9_S9_S9_S9_S9_S9_S9_EEEEPSB_SM_NS0_5tupleIJNSE_INS8_ISJ_NS7_16discard_iteratorINS7_11use_defaultEEES9_S9_S9_S9_S9_S9_S9_S9_EEEESB_EEENSN_IJSM_SM_EEESB_PlJNSF_9not_fun_tINSF_14equal_to_valueISA_EEEEEEE10hipError_tPvRmT3_T4_T5_T6_T7_T9_mT8_P12ihipStream_tbDpT10_ENKUlT_T0_E_clISt17integral_constantIbLb1EES1I_IbLb0EEEEDaS1E_S1F_EUlS1E_E_NS1_11comp_targetILNS1_3genE5ELNS1_11target_archE942ELNS1_3gpuE9ELNS1_3repE0EEENS1_30default_config_static_selectorELNS0_4arch9wavefront6targetE0EEEvT1_, .Lfunc_end2030-_ZN7rocprim17ROCPRIM_400000_NS6detail17trampoline_kernelINS0_14default_configENS1_25partition_config_selectorILNS1_17partition_subalgoE6EN6thrust23THRUST_200600_302600_NS5tupleIiiNS7_9null_typeES9_S9_S9_S9_S9_S9_S9_EENS0_10empty_typeEbEEZZNS1_14partition_implILS5_6ELb0ES3_mNS7_12zip_iteratorINS8_INS7_6detail15normal_iteratorINS7_10device_ptrIiEEEESJ_S9_S9_S9_S9_S9_S9_S9_S9_EEEEPSB_SM_NS0_5tupleIJNSE_INS8_ISJ_NS7_16discard_iteratorINS7_11use_defaultEEES9_S9_S9_S9_S9_S9_S9_S9_EEEESB_EEENSN_IJSM_SM_EEESB_PlJNSF_9not_fun_tINSF_14equal_to_valueISA_EEEEEEE10hipError_tPvRmT3_T4_T5_T6_T7_T9_mT8_P12ihipStream_tbDpT10_ENKUlT_T0_E_clISt17integral_constantIbLb1EES1I_IbLb0EEEEDaS1E_S1F_EUlS1E_E_NS1_11comp_targetILNS1_3genE5ELNS1_11target_archE942ELNS1_3gpuE9ELNS1_3repE0EEENS1_30default_config_static_selectorELNS0_4arch9wavefront6targetE0EEEvT1_
                                        ; -- End function
	.set _ZN7rocprim17ROCPRIM_400000_NS6detail17trampoline_kernelINS0_14default_configENS1_25partition_config_selectorILNS1_17partition_subalgoE6EN6thrust23THRUST_200600_302600_NS5tupleIiiNS7_9null_typeES9_S9_S9_S9_S9_S9_S9_EENS0_10empty_typeEbEEZZNS1_14partition_implILS5_6ELb0ES3_mNS7_12zip_iteratorINS8_INS7_6detail15normal_iteratorINS7_10device_ptrIiEEEESJ_S9_S9_S9_S9_S9_S9_S9_S9_EEEEPSB_SM_NS0_5tupleIJNSE_INS8_ISJ_NS7_16discard_iteratorINS7_11use_defaultEEES9_S9_S9_S9_S9_S9_S9_S9_EEEESB_EEENSN_IJSM_SM_EEESB_PlJNSF_9not_fun_tINSF_14equal_to_valueISA_EEEEEEE10hipError_tPvRmT3_T4_T5_T6_T7_T9_mT8_P12ihipStream_tbDpT10_ENKUlT_T0_E_clISt17integral_constantIbLb1EES1I_IbLb0EEEEDaS1E_S1F_EUlS1E_E_NS1_11comp_targetILNS1_3genE5ELNS1_11target_archE942ELNS1_3gpuE9ELNS1_3repE0EEENS1_30default_config_static_selectorELNS0_4arch9wavefront6targetE0EEEvT1_.num_vgpr, 0
	.set _ZN7rocprim17ROCPRIM_400000_NS6detail17trampoline_kernelINS0_14default_configENS1_25partition_config_selectorILNS1_17partition_subalgoE6EN6thrust23THRUST_200600_302600_NS5tupleIiiNS7_9null_typeES9_S9_S9_S9_S9_S9_S9_EENS0_10empty_typeEbEEZZNS1_14partition_implILS5_6ELb0ES3_mNS7_12zip_iteratorINS8_INS7_6detail15normal_iteratorINS7_10device_ptrIiEEEESJ_S9_S9_S9_S9_S9_S9_S9_S9_EEEEPSB_SM_NS0_5tupleIJNSE_INS8_ISJ_NS7_16discard_iteratorINS7_11use_defaultEEES9_S9_S9_S9_S9_S9_S9_S9_EEEESB_EEENSN_IJSM_SM_EEESB_PlJNSF_9not_fun_tINSF_14equal_to_valueISA_EEEEEEE10hipError_tPvRmT3_T4_T5_T6_T7_T9_mT8_P12ihipStream_tbDpT10_ENKUlT_T0_E_clISt17integral_constantIbLb1EES1I_IbLb0EEEEDaS1E_S1F_EUlS1E_E_NS1_11comp_targetILNS1_3genE5ELNS1_11target_archE942ELNS1_3gpuE9ELNS1_3repE0EEENS1_30default_config_static_selectorELNS0_4arch9wavefront6targetE0EEEvT1_.num_agpr, 0
	.set _ZN7rocprim17ROCPRIM_400000_NS6detail17trampoline_kernelINS0_14default_configENS1_25partition_config_selectorILNS1_17partition_subalgoE6EN6thrust23THRUST_200600_302600_NS5tupleIiiNS7_9null_typeES9_S9_S9_S9_S9_S9_S9_EENS0_10empty_typeEbEEZZNS1_14partition_implILS5_6ELb0ES3_mNS7_12zip_iteratorINS8_INS7_6detail15normal_iteratorINS7_10device_ptrIiEEEESJ_S9_S9_S9_S9_S9_S9_S9_S9_EEEEPSB_SM_NS0_5tupleIJNSE_INS8_ISJ_NS7_16discard_iteratorINS7_11use_defaultEEES9_S9_S9_S9_S9_S9_S9_S9_EEEESB_EEENSN_IJSM_SM_EEESB_PlJNSF_9not_fun_tINSF_14equal_to_valueISA_EEEEEEE10hipError_tPvRmT3_T4_T5_T6_T7_T9_mT8_P12ihipStream_tbDpT10_ENKUlT_T0_E_clISt17integral_constantIbLb1EES1I_IbLb0EEEEDaS1E_S1F_EUlS1E_E_NS1_11comp_targetILNS1_3genE5ELNS1_11target_archE942ELNS1_3gpuE9ELNS1_3repE0EEENS1_30default_config_static_selectorELNS0_4arch9wavefront6targetE0EEEvT1_.numbered_sgpr, 0
	.set _ZN7rocprim17ROCPRIM_400000_NS6detail17trampoline_kernelINS0_14default_configENS1_25partition_config_selectorILNS1_17partition_subalgoE6EN6thrust23THRUST_200600_302600_NS5tupleIiiNS7_9null_typeES9_S9_S9_S9_S9_S9_S9_EENS0_10empty_typeEbEEZZNS1_14partition_implILS5_6ELb0ES3_mNS7_12zip_iteratorINS8_INS7_6detail15normal_iteratorINS7_10device_ptrIiEEEESJ_S9_S9_S9_S9_S9_S9_S9_S9_EEEEPSB_SM_NS0_5tupleIJNSE_INS8_ISJ_NS7_16discard_iteratorINS7_11use_defaultEEES9_S9_S9_S9_S9_S9_S9_S9_EEEESB_EEENSN_IJSM_SM_EEESB_PlJNSF_9not_fun_tINSF_14equal_to_valueISA_EEEEEEE10hipError_tPvRmT3_T4_T5_T6_T7_T9_mT8_P12ihipStream_tbDpT10_ENKUlT_T0_E_clISt17integral_constantIbLb1EES1I_IbLb0EEEEDaS1E_S1F_EUlS1E_E_NS1_11comp_targetILNS1_3genE5ELNS1_11target_archE942ELNS1_3gpuE9ELNS1_3repE0EEENS1_30default_config_static_selectorELNS0_4arch9wavefront6targetE0EEEvT1_.num_named_barrier, 0
	.set _ZN7rocprim17ROCPRIM_400000_NS6detail17trampoline_kernelINS0_14default_configENS1_25partition_config_selectorILNS1_17partition_subalgoE6EN6thrust23THRUST_200600_302600_NS5tupleIiiNS7_9null_typeES9_S9_S9_S9_S9_S9_S9_EENS0_10empty_typeEbEEZZNS1_14partition_implILS5_6ELb0ES3_mNS7_12zip_iteratorINS8_INS7_6detail15normal_iteratorINS7_10device_ptrIiEEEESJ_S9_S9_S9_S9_S9_S9_S9_S9_EEEEPSB_SM_NS0_5tupleIJNSE_INS8_ISJ_NS7_16discard_iteratorINS7_11use_defaultEEES9_S9_S9_S9_S9_S9_S9_S9_EEEESB_EEENSN_IJSM_SM_EEESB_PlJNSF_9not_fun_tINSF_14equal_to_valueISA_EEEEEEE10hipError_tPvRmT3_T4_T5_T6_T7_T9_mT8_P12ihipStream_tbDpT10_ENKUlT_T0_E_clISt17integral_constantIbLb1EES1I_IbLb0EEEEDaS1E_S1F_EUlS1E_E_NS1_11comp_targetILNS1_3genE5ELNS1_11target_archE942ELNS1_3gpuE9ELNS1_3repE0EEENS1_30default_config_static_selectorELNS0_4arch9wavefront6targetE0EEEvT1_.private_seg_size, 0
	.set _ZN7rocprim17ROCPRIM_400000_NS6detail17trampoline_kernelINS0_14default_configENS1_25partition_config_selectorILNS1_17partition_subalgoE6EN6thrust23THRUST_200600_302600_NS5tupleIiiNS7_9null_typeES9_S9_S9_S9_S9_S9_S9_EENS0_10empty_typeEbEEZZNS1_14partition_implILS5_6ELb0ES3_mNS7_12zip_iteratorINS8_INS7_6detail15normal_iteratorINS7_10device_ptrIiEEEESJ_S9_S9_S9_S9_S9_S9_S9_S9_EEEEPSB_SM_NS0_5tupleIJNSE_INS8_ISJ_NS7_16discard_iteratorINS7_11use_defaultEEES9_S9_S9_S9_S9_S9_S9_S9_EEEESB_EEENSN_IJSM_SM_EEESB_PlJNSF_9not_fun_tINSF_14equal_to_valueISA_EEEEEEE10hipError_tPvRmT3_T4_T5_T6_T7_T9_mT8_P12ihipStream_tbDpT10_ENKUlT_T0_E_clISt17integral_constantIbLb1EES1I_IbLb0EEEEDaS1E_S1F_EUlS1E_E_NS1_11comp_targetILNS1_3genE5ELNS1_11target_archE942ELNS1_3gpuE9ELNS1_3repE0EEENS1_30default_config_static_selectorELNS0_4arch9wavefront6targetE0EEEvT1_.uses_vcc, 0
	.set _ZN7rocprim17ROCPRIM_400000_NS6detail17trampoline_kernelINS0_14default_configENS1_25partition_config_selectorILNS1_17partition_subalgoE6EN6thrust23THRUST_200600_302600_NS5tupleIiiNS7_9null_typeES9_S9_S9_S9_S9_S9_S9_EENS0_10empty_typeEbEEZZNS1_14partition_implILS5_6ELb0ES3_mNS7_12zip_iteratorINS8_INS7_6detail15normal_iteratorINS7_10device_ptrIiEEEESJ_S9_S9_S9_S9_S9_S9_S9_S9_EEEEPSB_SM_NS0_5tupleIJNSE_INS8_ISJ_NS7_16discard_iteratorINS7_11use_defaultEEES9_S9_S9_S9_S9_S9_S9_S9_EEEESB_EEENSN_IJSM_SM_EEESB_PlJNSF_9not_fun_tINSF_14equal_to_valueISA_EEEEEEE10hipError_tPvRmT3_T4_T5_T6_T7_T9_mT8_P12ihipStream_tbDpT10_ENKUlT_T0_E_clISt17integral_constantIbLb1EES1I_IbLb0EEEEDaS1E_S1F_EUlS1E_E_NS1_11comp_targetILNS1_3genE5ELNS1_11target_archE942ELNS1_3gpuE9ELNS1_3repE0EEENS1_30default_config_static_selectorELNS0_4arch9wavefront6targetE0EEEvT1_.uses_flat_scratch, 0
	.set _ZN7rocprim17ROCPRIM_400000_NS6detail17trampoline_kernelINS0_14default_configENS1_25partition_config_selectorILNS1_17partition_subalgoE6EN6thrust23THRUST_200600_302600_NS5tupleIiiNS7_9null_typeES9_S9_S9_S9_S9_S9_S9_EENS0_10empty_typeEbEEZZNS1_14partition_implILS5_6ELb0ES3_mNS7_12zip_iteratorINS8_INS7_6detail15normal_iteratorINS7_10device_ptrIiEEEESJ_S9_S9_S9_S9_S9_S9_S9_S9_EEEEPSB_SM_NS0_5tupleIJNSE_INS8_ISJ_NS7_16discard_iteratorINS7_11use_defaultEEES9_S9_S9_S9_S9_S9_S9_S9_EEEESB_EEENSN_IJSM_SM_EEESB_PlJNSF_9not_fun_tINSF_14equal_to_valueISA_EEEEEEE10hipError_tPvRmT3_T4_T5_T6_T7_T9_mT8_P12ihipStream_tbDpT10_ENKUlT_T0_E_clISt17integral_constantIbLb1EES1I_IbLb0EEEEDaS1E_S1F_EUlS1E_E_NS1_11comp_targetILNS1_3genE5ELNS1_11target_archE942ELNS1_3gpuE9ELNS1_3repE0EEENS1_30default_config_static_selectorELNS0_4arch9wavefront6targetE0EEEvT1_.has_dyn_sized_stack, 0
	.set _ZN7rocprim17ROCPRIM_400000_NS6detail17trampoline_kernelINS0_14default_configENS1_25partition_config_selectorILNS1_17partition_subalgoE6EN6thrust23THRUST_200600_302600_NS5tupleIiiNS7_9null_typeES9_S9_S9_S9_S9_S9_S9_EENS0_10empty_typeEbEEZZNS1_14partition_implILS5_6ELb0ES3_mNS7_12zip_iteratorINS8_INS7_6detail15normal_iteratorINS7_10device_ptrIiEEEESJ_S9_S9_S9_S9_S9_S9_S9_S9_EEEEPSB_SM_NS0_5tupleIJNSE_INS8_ISJ_NS7_16discard_iteratorINS7_11use_defaultEEES9_S9_S9_S9_S9_S9_S9_S9_EEEESB_EEENSN_IJSM_SM_EEESB_PlJNSF_9not_fun_tINSF_14equal_to_valueISA_EEEEEEE10hipError_tPvRmT3_T4_T5_T6_T7_T9_mT8_P12ihipStream_tbDpT10_ENKUlT_T0_E_clISt17integral_constantIbLb1EES1I_IbLb0EEEEDaS1E_S1F_EUlS1E_E_NS1_11comp_targetILNS1_3genE5ELNS1_11target_archE942ELNS1_3gpuE9ELNS1_3repE0EEENS1_30default_config_static_selectorELNS0_4arch9wavefront6targetE0EEEvT1_.has_recursion, 0
	.set _ZN7rocprim17ROCPRIM_400000_NS6detail17trampoline_kernelINS0_14default_configENS1_25partition_config_selectorILNS1_17partition_subalgoE6EN6thrust23THRUST_200600_302600_NS5tupleIiiNS7_9null_typeES9_S9_S9_S9_S9_S9_S9_EENS0_10empty_typeEbEEZZNS1_14partition_implILS5_6ELb0ES3_mNS7_12zip_iteratorINS8_INS7_6detail15normal_iteratorINS7_10device_ptrIiEEEESJ_S9_S9_S9_S9_S9_S9_S9_S9_EEEEPSB_SM_NS0_5tupleIJNSE_INS8_ISJ_NS7_16discard_iteratorINS7_11use_defaultEEES9_S9_S9_S9_S9_S9_S9_S9_EEEESB_EEENSN_IJSM_SM_EEESB_PlJNSF_9not_fun_tINSF_14equal_to_valueISA_EEEEEEE10hipError_tPvRmT3_T4_T5_T6_T7_T9_mT8_P12ihipStream_tbDpT10_ENKUlT_T0_E_clISt17integral_constantIbLb1EES1I_IbLb0EEEEDaS1E_S1F_EUlS1E_E_NS1_11comp_targetILNS1_3genE5ELNS1_11target_archE942ELNS1_3gpuE9ELNS1_3repE0EEENS1_30default_config_static_selectorELNS0_4arch9wavefront6targetE0EEEvT1_.has_indirect_call, 0
	.section	.AMDGPU.csdata,"",@progbits
; Kernel info:
; codeLenInByte = 0
; TotalNumSgprs: 0
; NumVgprs: 0
; ScratchSize: 0
; MemoryBound: 0
; FloatMode: 240
; IeeeMode: 1
; LDSByteSize: 0 bytes/workgroup (compile time only)
; SGPRBlocks: 0
; VGPRBlocks: 0
; NumSGPRsForWavesPerEU: 1
; NumVGPRsForWavesPerEU: 1
; Occupancy: 16
; WaveLimiterHint : 0
; COMPUTE_PGM_RSRC2:SCRATCH_EN: 0
; COMPUTE_PGM_RSRC2:USER_SGPR: 2
; COMPUTE_PGM_RSRC2:TRAP_HANDLER: 0
; COMPUTE_PGM_RSRC2:TGID_X_EN: 1
; COMPUTE_PGM_RSRC2:TGID_Y_EN: 0
; COMPUTE_PGM_RSRC2:TGID_Z_EN: 0
; COMPUTE_PGM_RSRC2:TIDIG_COMP_CNT: 0
	.section	.text._ZN7rocprim17ROCPRIM_400000_NS6detail17trampoline_kernelINS0_14default_configENS1_25partition_config_selectorILNS1_17partition_subalgoE6EN6thrust23THRUST_200600_302600_NS5tupleIiiNS7_9null_typeES9_S9_S9_S9_S9_S9_S9_EENS0_10empty_typeEbEEZZNS1_14partition_implILS5_6ELb0ES3_mNS7_12zip_iteratorINS8_INS7_6detail15normal_iteratorINS7_10device_ptrIiEEEESJ_S9_S9_S9_S9_S9_S9_S9_S9_EEEEPSB_SM_NS0_5tupleIJNSE_INS8_ISJ_NS7_16discard_iteratorINS7_11use_defaultEEES9_S9_S9_S9_S9_S9_S9_S9_EEEESB_EEENSN_IJSM_SM_EEESB_PlJNSF_9not_fun_tINSF_14equal_to_valueISA_EEEEEEE10hipError_tPvRmT3_T4_T5_T6_T7_T9_mT8_P12ihipStream_tbDpT10_ENKUlT_T0_E_clISt17integral_constantIbLb1EES1I_IbLb0EEEEDaS1E_S1F_EUlS1E_E_NS1_11comp_targetILNS1_3genE4ELNS1_11target_archE910ELNS1_3gpuE8ELNS1_3repE0EEENS1_30default_config_static_selectorELNS0_4arch9wavefront6targetE0EEEvT1_,"axG",@progbits,_ZN7rocprim17ROCPRIM_400000_NS6detail17trampoline_kernelINS0_14default_configENS1_25partition_config_selectorILNS1_17partition_subalgoE6EN6thrust23THRUST_200600_302600_NS5tupleIiiNS7_9null_typeES9_S9_S9_S9_S9_S9_S9_EENS0_10empty_typeEbEEZZNS1_14partition_implILS5_6ELb0ES3_mNS7_12zip_iteratorINS8_INS7_6detail15normal_iteratorINS7_10device_ptrIiEEEESJ_S9_S9_S9_S9_S9_S9_S9_S9_EEEEPSB_SM_NS0_5tupleIJNSE_INS8_ISJ_NS7_16discard_iteratorINS7_11use_defaultEEES9_S9_S9_S9_S9_S9_S9_S9_EEEESB_EEENSN_IJSM_SM_EEESB_PlJNSF_9not_fun_tINSF_14equal_to_valueISA_EEEEEEE10hipError_tPvRmT3_T4_T5_T6_T7_T9_mT8_P12ihipStream_tbDpT10_ENKUlT_T0_E_clISt17integral_constantIbLb1EES1I_IbLb0EEEEDaS1E_S1F_EUlS1E_E_NS1_11comp_targetILNS1_3genE4ELNS1_11target_archE910ELNS1_3gpuE8ELNS1_3repE0EEENS1_30default_config_static_selectorELNS0_4arch9wavefront6targetE0EEEvT1_,comdat
	.protected	_ZN7rocprim17ROCPRIM_400000_NS6detail17trampoline_kernelINS0_14default_configENS1_25partition_config_selectorILNS1_17partition_subalgoE6EN6thrust23THRUST_200600_302600_NS5tupleIiiNS7_9null_typeES9_S9_S9_S9_S9_S9_S9_EENS0_10empty_typeEbEEZZNS1_14partition_implILS5_6ELb0ES3_mNS7_12zip_iteratorINS8_INS7_6detail15normal_iteratorINS7_10device_ptrIiEEEESJ_S9_S9_S9_S9_S9_S9_S9_S9_EEEEPSB_SM_NS0_5tupleIJNSE_INS8_ISJ_NS7_16discard_iteratorINS7_11use_defaultEEES9_S9_S9_S9_S9_S9_S9_S9_EEEESB_EEENSN_IJSM_SM_EEESB_PlJNSF_9not_fun_tINSF_14equal_to_valueISA_EEEEEEE10hipError_tPvRmT3_T4_T5_T6_T7_T9_mT8_P12ihipStream_tbDpT10_ENKUlT_T0_E_clISt17integral_constantIbLb1EES1I_IbLb0EEEEDaS1E_S1F_EUlS1E_E_NS1_11comp_targetILNS1_3genE4ELNS1_11target_archE910ELNS1_3gpuE8ELNS1_3repE0EEENS1_30default_config_static_selectorELNS0_4arch9wavefront6targetE0EEEvT1_ ; -- Begin function _ZN7rocprim17ROCPRIM_400000_NS6detail17trampoline_kernelINS0_14default_configENS1_25partition_config_selectorILNS1_17partition_subalgoE6EN6thrust23THRUST_200600_302600_NS5tupleIiiNS7_9null_typeES9_S9_S9_S9_S9_S9_S9_EENS0_10empty_typeEbEEZZNS1_14partition_implILS5_6ELb0ES3_mNS7_12zip_iteratorINS8_INS7_6detail15normal_iteratorINS7_10device_ptrIiEEEESJ_S9_S9_S9_S9_S9_S9_S9_S9_EEEEPSB_SM_NS0_5tupleIJNSE_INS8_ISJ_NS7_16discard_iteratorINS7_11use_defaultEEES9_S9_S9_S9_S9_S9_S9_S9_EEEESB_EEENSN_IJSM_SM_EEESB_PlJNSF_9not_fun_tINSF_14equal_to_valueISA_EEEEEEE10hipError_tPvRmT3_T4_T5_T6_T7_T9_mT8_P12ihipStream_tbDpT10_ENKUlT_T0_E_clISt17integral_constantIbLb1EES1I_IbLb0EEEEDaS1E_S1F_EUlS1E_E_NS1_11comp_targetILNS1_3genE4ELNS1_11target_archE910ELNS1_3gpuE8ELNS1_3repE0EEENS1_30default_config_static_selectorELNS0_4arch9wavefront6targetE0EEEvT1_
	.globl	_ZN7rocprim17ROCPRIM_400000_NS6detail17trampoline_kernelINS0_14default_configENS1_25partition_config_selectorILNS1_17partition_subalgoE6EN6thrust23THRUST_200600_302600_NS5tupleIiiNS7_9null_typeES9_S9_S9_S9_S9_S9_S9_EENS0_10empty_typeEbEEZZNS1_14partition_implILS5_6ELb0ES3_mNS7_12zip_iteratorINS8_INS7_6detail15normal_iteratorINS7_10device_ptrIiEEEESJ_S9_S9_S9_S9_S9_S9_S9_S9_EEEEPSB_SM_NS0_5tupleIJNSE_INS8_ISJ_NS7_16discard_iteratorINS7_11use_defaultEEES9_S9_S9_S9_S9_S9_S9_S9_EEEESB_EEENSN_IJSM_SM_EEESB_PlJNSF_9not_fun_tINSF_14equal_to_valueISA_EEEEEEE10hipError_tPvRmT3_T4_T5_T6_T7_T9_mT8_P12ihipStream_tbDpT10_ENKUlT_T0_E_clISt17integral_constantIbLb1EES1I_IbLb0EEEEDaS1E_S1F_EUlS1E_E_NS1_11comp_targetILNS1_3genE4ELNS1_11target_archE910ELNS1_3gpuE8ELNS1_3repE0EEENS1_30default_config_static_selectorELNS0_4arch9wavefront6targetE0EEEvT1_
	.p2align	8
	.type	_ZN7rocprim17ROCPRIM_400000_NS6detail17trampoline_kernelINS0_14default_configENS1_25partition_config_selectorILNS1_17partition_subalgoE6EN6thrust23THRUST_200600_302600_NS5tupleIiiNS7_9null_typeES9_S9_S9_S9_S9_S9_S9_EENS0_10empty_typeEbEEZZNS1_14partition_implILS5_6ELb0ES3_mNS7_12zip_iteratorINS8_INS7_6detail15normal_iteratorINS7_10device_ptrIiEEEESJ_S9_S9_S9_S9_S9_S9_S9_S9_EEEEPSB_SM_NS0_5tupleIJNSE_INS8_ISJ_NS7_16discard_iteratorINS7_11use_defaultEEES9_S9_S9_S9_S9_S9_S9_S9_EEEESB_EEENSN_IJSM_SM_EEESB_PlJNSF_9not_fun_tINSF_14equal_to_valueISA_EEEEEEE10hipError_tPvRmT3_T4_T5_T6_T7_T9_mT8_P12ihipStream_tbDpT10_ENKUlT_T0_E_clISt17integral_constantIbLb1EES1I_IbLb0EEEEDaS1E_S1F_EUlS1E_E_NS1_11comp_targetILNS1_3genE4ELNS1_11target_archE910ELNS1_3gpuE8ELNS1_3repE0EEENS1_30default_config_static_selectorELNS0_4arch9wavefront6targetE0EEEvT1_,@function
_ZN7rocprim17ROCPRIM_400000_NS6detail17trampoline_kernelINS0_14default_configENS1_25partition_config_selectorILNS1_17partition_subalgoE6EN6thrust23THRUST_200600_302600_NS5tupleIiiNS7_9null_typeES9_S9_S9_S9_S9_S9_S9_EENS0_10empty_typeEbEEZZNS1_14partition_implILS5_6ELb0ES3_mNS7_12zip_iteratorINS8_INS7_6detail15normal_iteratorINS7_10device_ptrIiEEEESJ_S9_S9_S9_S9_S9_S9_S9_S9_EEEEPSB_SM_NS0_5tupleIJNSE_INS8_ISJ_NS7_16discard_iteratorINS7_11use_defaultEEES9_S9_S9_S9_S9_S9_S9_S9_EEEESB_EEENSN_IJSM_SM_EEESB_PlJNSF_9not_fun_tINSF_14equal_to_valueISA_EEEEEEE10hipError_tPvRmT3_T4_T5_T6_T7_T9_mT8_P12ihipStream_tbDpT10_ENKUlT_T0_E_clISt17integral_constantIbLb1EES1I_IbLb0EEEEDaS1E_S1F_EUlS1E_E_NS1_11comp_targetILNS1_3genE4ELNS1_11target_archE910ELNS1_3gpuE8ELNS1_3repE0EEENS1_30default_config_static_selectorELNS0_4arch9wavefront6targetE0EEEvT1_: ; @_ZN7rocprim17ROCPRIM_400000_NS6detail17trampoline_kernelINS0_14default_configENS1_25partition_config_selectorILNS1_17partition_subalgoE6EN6thrust23THRUST_200600_302600_NS5tupleIiiNS7_9null_typeES9_S9_S9_S9_S9_S9_S9_EENS0_10empty_typeEbEEZZNS1_14partition_implILS5_6ELb0ES3_mNS7_12zip_iteratorINS8_INS7_6detail15normal_iteratorINS7_10device_ptrIiEEEESJ_S9_S9_S9_S9_S9_S9_S9_S9_EEEEPSB_SM_NS0_5tupleIJNSE_INS8_ISJ_NS7_16discard_iteratorINS7_11use_defaultEEES9_S9_S9_S9_S9_S9_S9_S9_EEEESB_EEENSN_IJSM_SM_EEESB_PlJNSF_9not_fun_tINSF_14equal_to_valueISA_EEEEEEE10hipError_tPvRmT3_T4_T5_T6_T7_T9_mT8_P12ihipStream_tbDpT10_ENKUlT_T0_E_clISt17integral_constantIbLb1EES1I_IbLb0EEEEDaS1E_S1F_EUlS1E_E_NS1_11comp_targetILNS1_3genE4ELNS1_11target_archE910ELNS1_3gpuE8ELNS1_3repE0EEENS1_30default_config_static_selectorELNS0_4arch9wavefront6targetE0EEEvT1_
; %bb.0:
	.section	.rodata,"a",@progbits
	.p2align	6, 0x0
	.amdhsa_kernel _ZN7rocprim17ROCPRIM_400000_NS6detail17trampoline_kernelINS0_14default_configENS1_25partition_config_selectorILNS1_17partition_subalgoE6EN6thrust23THRUST_200600_302600_NS5tupleIiiNS7_9null_typeES9_S9_S9_S9_S9_S9_S9_EENS0_10empty_typeEbEEZZNS1_14partition_implILS5_6ELb0ES3_mNS7_12zip_iteratorINS8_INS7_6detail15normal_iteratorINS7_10device_ptrIiEEEESJ_S9_S9_S9_S9_S9_S9_S9_S9_EEEEPSB_SM_NS0_5tupleIJNSE_INS8_ISJ_NS7_16discard_iteratorINS7_11use_defaultEEES9_S9_S9_S9_S9_S9_S9_S9_EEEESB_EEENSN_IJSM_SM_EEESB_PlJNSF_9not_fun_tINSF_14equal_to_valueISA_EEEEEEE10hipError_tPvRmT3_T4_T5_T6_T7_T9_mT8_P12ihipStream_tbDpT10_ENKUlT_T0_E_clISt17integral_constantIbLb1EES1I_IbLb0EEEEDaS1E_S1F_EUlS1E_E_NS1_11comp_targetILNS1_3genE4ELNS1_11target_archE910ELNS1_3gpuE8ELNS1_3repE0EEENS1_30default_config_static_selectorELNS0_4arch9wavefront6targetE0EEEvT1_
		.amdhsa_group_segment_fixed_size 0
		.amdhsa_private_segment_fixed_size 0
		.amdhsa_kernarg_size 144
		.amdhsa_user_sgpr_count 2
		.amdhsa_user_sgpr_dispatch_ptr 0
		.amdhsa_user_sgpr_queue_ptr 0
		.amdhsa_user_sgpr_kernarg_segment_ptr 1
		.amdhsa_user_sgpr_dispatch_id 0
		.amdhsa_user_sgpr_private_segment_size 0
		.amdhsa_wavefront_size32 1
		.amdhsa_uses_dynamic_stack 0
		.amdhsa_enable_private_segment 0
		.amdhsa_system_sgpr_workgroup_id_x 1
		.amdhsa_system_sgpr_workgroup_id_y 0
		.amdhsa_system_sgpr_workgroup_id_z 0
		.amdhsa_system_sgpr_workgroup_info 0
		.amdhsa_system_vgpr_workitem_id 0
		.amdhsa_next_free_vgpr 1
		.amdhsa_next_free_sgpr 1
		.amdhsa_reserve_vcc 0
		.amdhsa_float_round_mode_32 0
		.amdhsa_float_round_mode_16_64 0
		.amdhsa_float_denorm_mode_32 3
		.amdhsa_float_denorm_mode_16_64 3
		.amdhsa_fp16_overflow 0
		.amdhsa_workgroup_processor_mode 1
		.amdhsa_memory_ordered 1
		.amdhsa_forward_progress 1
		.amdhsa_inst_pref_size 0
		.amdhsa_round_robin_scheduling 0
		.amdhsa_exception_fp_ieee_invalid_op 0
		.amdhsa_exception_fp_denorm_src 0
		.amdhsa_exception_fp_ieee_div_zero 0
		.amdhsa_exception_fp_ieee_overflow 0
		.amdhsa_exception_fp_ieee_underflow 0
		.amdhsa_exception_fp_ieee_inexact 0
		.amdhsa_exception_int_div_zero 0
	.end_amdhsa_kernel
	.section	.text._ZN7rocprim17ROCPRIM_400000_NS6detail17trampoline_kernelINS0_14default_configENS1_25partition_config_selectorILNS1_17partition_subalgoE6EN6thrust23THRUST_200600_302600_NS5tupleIiiNS7_9null_typeES9_S9_S9_S9_S9_S9_S9_EENS0_10empty_typeEbEEZZNS1_14partition_implILS5_6ELb0ES3_mNS7_12zip_iteratorINS8_INS7_6detail15normal_iteratorINS7_10device_ptrIiEEEESJ_S9_S9_S9_S9_S9_S9_S9_S9_EEEEPSB_SM_NS0_5tupleIJNSE_INS8_ISJ_NS7_16discard_iteratorINS7_11use_defaultEEES9_S9_S9_S9_S9_S9_S9_S9_EEEESB_EEENSN_IJSM_SM_EEESB_PlJNSF_9not_fun_tINSF_14equal_to_valueISA_EEEEEEE10hipError_tPvRmT3_T4_T5_T6_T7_T9_mT8_P12ihipStream_tbDpT10_ENKUlT_T0_E_clISt17integral_constantIbLb1EES1I_IbLb0EEEEDaS1E_S1F_EUlS1E_E_NS1_11comp_targetILNS1_3genE4ELNS1_11target_archE910ELNS1_3gpuE8ELNS1_3repE0EEENS1_30default_config_static_selectorELNS0_4arch9wavefront6targetE0EEEvT1_,"axG",@progbits,_ZN7rocprim17ROCPRIM_400000_NS6detail17trampoline_kernelINS0_14default_configENS1_25partition_config_selectorILNS1_17partition_subalgoE6EN6thrust23THRUST_200600_302600_NS5tupleIiiNS7_9null_typeES9_S9_S9_S9_S9_S9_S9_EENS0_10empty_typeEbEEZZNS1_14partition_implILS5_6ELb0ES3_mNS7_12zip_iteratorINS8_INS7_6detail15normal_iteratorINS7_10device_ptrIiEEEESJ_S9_S9_S9_S9_S9_S9_S9_S9_EEEEPSB_SM_NS0_5tupleIJNSE_INS8_ISJ_NS7_16discard_iteratorINS7_11use_defaultEEES9_S9_S9_S9_S9_S9_S9_S9_EEEESB_EEENSN_IJSM_SM_EEESB_PlJNSF_9not_fun_tINSF_14equal_to_valueISA_EEEEEEE10hipError_tPvRmT3_T4_T5_T6_T7_T9_mT8_P12ihipStream_tbDpT10_ENKUlT_T0_E_clISt17integral_constantIbLb1EES1I_IbLb0EEEEDaS1E_S1F_EUlS1E_E_NS1_11comp_targetILNS1_3genE4ELNS1_11target_archE910ELNS1_3gpuE8ELNS1_3repE0EEENS1_30default_config_static_selectorELNS0_4arch9wavefront6targetE0EEEvT1_,comdat
.Lfunc_end2031:
	.size	_ZN7rocprim17ROCPRIM_400000_NS6detail17trampoline_kernelINS0_14default_configENS1_25partition_config_selectorILNS1_17partition_subalgoE6EN6thrust23THRUST_200600_302600_NS5tupleIiiNS7_9null_typeES9_S9_S9_S9_S9_S9_S9_EENS0_10empty_typeEbEEZZNS1_14partition_implILS5_6ELb0ES3_mNS7_12zip_iteratorINS8_INS7_6detail15normal_iteratorINS7_10device_ptrIiEEEESJ_S9_S9_S9_S9_S9_S9_S9_S9_EEEEPSB_SM_NS0_5tupleIJNSE_INS8_ISJ_NS7_16discard_iteratorINS7_11use_defaultEEES9_S9_S9_S9_S9_S9_S9_S9_EEEESB_EEENSN_IJSM_SM_EEESB_PlJNSF_9not_fun_tINSF_14equal_to_valueISA_EEEEEEE10hipError_tPvRmT3_T4_T5_T6_T7_T9_mT8_P12ihipStream_tbDpT10_ENKUlT_T0_E_clISt17integral_constantIbLb1EES1I_IbLb0EEEEDaS1E_S1F_EUlS1E_E_NS1_11comp_targetILNS1_3genE4ELNS1_11target_archE910ELNS1_3gpuE8ELNS1_3repE0EEENS1_30default_config_static_selectorELNS0_4arch9wavefront6targetE0EEEvT1_, .Lfunc_end2031-_ZN7rocprim17ROCPRIM_400000_NS6detail17trampoline_kernelINS0_14default_configENS1_25partition_config_selectorILNS1_17partition_subalgoE6EN6thrust23THRUST_200600_302600_NS5tupleIiiNS7_9null_typeES9_S9_S9_S9_S9_S9_S9_EENS0_10empty_typeEbEEZZNS1_14partition_implILS5_6ELb0ES3_mNS7_12zip_iteratorINS8_INS7_6detail15normal_iteratorINS7_10device_ptrIiEEEESJ_S9_S9_S9_S9_S9_S9_S9_S9_EEEEPSB_SM_NS0_5tupleIJNSE_INS8_ISJ_NS7_16discard_iteratorINS7_11use_defaultEEES9_S9_S9_S9_S9_S9_S9_S9_EEEESB_EEENSN_IJSM_SM_EEESB_PlJNSF_9not_fun_tINSF_14equal_to_valueISA_EEEEEEE10hipError_tPvRmT3_T4_T5_T6_T7_T9_mT8_P12ihipStream_tbDpT10_ENKUlT_T0_E_clISt17integral_constantIbLb1EES1I_IbLb0EEEEDaS1E_S1F_EUlS1E_E_NS1_11comp_targetILNS1_3genE4ELNS1_11target_archE910ELNS1_3gpuE8ELNS1_3repE0EEENS1_30default_config_static_selectorELNS0_4arch9wavefront6targetE0EEEvT1_
                                        ; -- End function
	.set _ZN7rocprim17ROCPRIM_400000_NS6detail17trampoline_kernelINS0_14default_configENS1_25partition_config_selectorILNS1_17partition_subalgoE6EN6thrust23THRUST_200600_302600_NS5tupleIiiNS7_9null_typeES9_S9_S9_S9_S9_S9_S9_EENS0_10empty_typeEbEEZZNS1_14partition_implILS5_6ELb0ES3_mNS7_12zip_iteratorINS8_INS7_6detail15normal_iteratorINS7_10device_ptrIiEEEESJ_S9_S9_S9_S9_S9_S9_S9_S9_EEEEPSB_SM_NS0_5tupleIJNSE_INS8_ISJ_NS7_16discard_iteratorINS7_11use_defaultEEES9_S9_S9_S9_S9_S9_S9_S9_EEEESB_EEENSN_IJSM_SM_EEESB_PlJNSF_9not_fun_tINSF_14equal_to_valueISA_EEEEEEE10hipError_tPvRmT3_T4_T5_T6_T7_T9_mT8_P12ihipStream_tbDpT10_ENKUlT_T0_E_clISt17integral_constantIbLb1EES1I_IbLb0EEEEDaS1E_S1F_EUlS1E_E_NS1_11comp_targetILNS1_3genE4ELNS1_11target_archE910ELNS1_3gpuE8ELNS1_3repE0EEENS1_30default_config_static_selectorELNS0_4arch9wavefront6targetE0EEEvT1_.num_vgpr, 0
	.set _ZN7rocprim17ROCPRIM_400000_NS6detail17trampoline_kernelINS0_14default_configENS1_25partition_config_selectorILNS1_17partition_subalgoE6EN6thrust23THRUST_200600_302600_NS5tupleIiiNS7_9null_typeES9_S9_S9_S9_S9_S9_S9_EENS0_10empty_typeEbEEZZNS1_14partition_implILS5_6ELb0ES3_mNS7_12zip_iteratorINS8_INS7_6detail15normal_iteratorINS7_10device_ptrIiEEEESJ_S9_S9_S9_S9_S9_S9_S9_S9_EEEEPSB_SM_NS0_5tupleIJNSE_INS8_ISJ_NS7_16discard_iteratorINS7_11use_defaultEEES9_S9_S9_S9_S9_S9_S9_S9_EEEESB_EEENSN_IJSM_SM_EEESB_PlJNSF_9not_fun_tINSF_14equal_to_valueISA_EEEEEEE10hipError_tPvRmT3_T4_T5_T6_T7_T9_mT8_P12ihipStream_tbDpT10_ENKUlT_T0_E_clISt17integral_constantIbLb1EES1I_IbLb0EEEEDaS1E_S1F_EUlS1E_E_NS1_11comp_targetILNS1_3genE4ELNS1_11target_archE910ELNS1_3gpuE8ELNS1_3repE0EEENS1_30default_config_static_selectorELNS0_4arch9wavefront6targetE0EEEvT1_.num_agpr, 0
	.set _ZN7rocprim17ROCPRIM_400000_NS6detail17trampoline_kernelINS0_14default_configENS1_25partition_config_selectorILNS1_17partition_subalgoE6EN6thrust23THRUST_200600_302600_NS5tupleIiiNS7_9null_typeES9_S9_S9_S9_S9_S9_S9_EENS0_10empty_typeEbEEZZNS1_14partition_implILS5_6ELb0ES3_mNS7_12zip_iteratorINS8_INS7_6detail15normal_iteratorINS7_10device_ptrIiEEEESJ_S9_S9_S9_S9_S9_S9_S9_S9_EEEEPSB_SM_NS0_5tupleIJNSE_INS8_ISJ_NS7_16discard_iteratorINS7_11use_defaultEEES9_S9_S9_S9_S9_S9_S9_S9_EEEESB_EEENSN_IJSM_SM_EEESB_PlJNSF_9not_fun_tINSF_14equal_to_valueISA_EEEEEEE10hipError_tPvRmT3_T4_T5_T6_T7_T9_mT8_P12ihipStream_tbDpT10_ENKUlT_T0_E_clISt17integral_constantIbLb1EES1I_IbLb0EEEEDaS1E_S1F_EUlS1E_E_NS1_11comp_targetILNS1_3genE4ELNS1_11target_archE910ELNS1_3gpuE8ELNS1_3repE0EEENS1_30default_config_static_selectorELNS0_4arch9wavefront6targetE0EEEvT1_.numbered_sgpr, 0
	.set _ZN7rocprim17ROCPRIM_400000_NS6detail17trampoline_kernelINS0_14default_configENS1_25partition_config_selectorILNS1_17partition_subalgoE6EN6thrust23THRUST_200600_302600_NS5tupleIiiNS7_9null_typeES9_S9_S9_S9_S9_S9_S9_EENS0_10empty_typeEbEEZZNS1_14partition_implILS5_6ELb0ES3_mNS7_12zip_iteratorINS8_INS7_6detail15normal_iteratorINS7_10device_ptrIiEEEESJ_S9_S9_S9_S9_S9_S9_S9_S9_EEEEPSB_SM_NS0_5tupleIJNSE_INS8_ISJ_NS7_16discard_iteratorINS7_11use_defaultEEES9_S9_S9_S9_S9_S9_S9_S9_EEEESB_EEENSN_IJSM_SM_EEESB_PlJNSF_9not_fun_tINSF_14equal_to_valueISA_EEEEEEE10hipError_tPvRmT3_T4_T5_T6_T7_T9_mT8_P12ihipStream_tbDpT10_ENKUlT_T0_E_clISt17integral_constantIbLb1EES1I_IbLb0EEEEDaS1E_S1F_EUlS1E_E_NS1_11comp_targetILNS1_3genE4ELNS1_11target_archE910ELNS1_3gpuE8ELNS1_3repE0EEENS1_30default_config_static_selectorELNS0_4arch9wavefront6targetE0EEEvT1_.num_named_barrier, 0
	.set _ZN7rocprim17ROCPRIM_400000_NS6detail17trampoline_kernelINS0_14default_configENS1_25partition_config_selectorILNS1_17partition_subalgoE6EN6thrust23THRUST_200600_302600_NS5tupleIiiNS7_9null_typeES9_S9_S9_S9_S9_S9_S9_EENS0_10empty_typeEbEEZZNS1_14partition_implILS5_6ELb0ES3_mNS7_12zip_iteratorINS8_INS7_6detail15normal_iteratorINS7_10device_ptrIiEEEESJ_S9_S9_S9_S9_S9_S9_S9_S9_EEEEPSB_SM_NS0_5tupleIJNSE_INS8_ISJ_NS7_16discard_iteratorINS7_11use_defaultEEES9_S9_S9_S9_S9_S9_S9_S9_EEEESB_EEENSN_IJSM_SM_EEESB_PlJNSF_9not_fun_tINSF_14equal_to_valueISA_EEEEEEE10hipError_tPvRmT3_T4_T5_T6_T7_T9_mT8_P12ihipStream_tbDpT10_ENKUlT_T0_E_clISt17integral_constantIbLb1EES1I_IbLb0EEEEDaS1E_S1F_EUlS1E_E_NS1_11comp_targetILNS1_3genE4ELNS1_11target_archE910ELNS1_3gpuE8ELNS1_3repE0EEENS1_30default_config_static_selectorELNS0_4arch9wavefront6targetE0EEEvT1_.private_seg_size, 0
	.set _ZN7rocprim17ROCPRIM_400000_NS6detail17trampoline_kernelINS0_14default_configENS1_25partition_config_selectorILNS1_17partition_subalgoE6EN6thrust23THRUST_200600_302600_NS5tupleIiiNS7_9null_typeES9_S9_S9_S9_S9_S9_S9_EENS0_10empty_typeEbEEZZNS1_14partition_implILS5_6ELb0ES3_mNS7_12zip_iteratorINS8_INS7_6detail15normal_iteratorINS7_10device_ptrIiEEEESJ_S9_S9_S9_S9_S9_S9_S9_S9_EEEEPSB_SM_NS0_5tupleIJNSE_INS8_ISJ_NS7_16discard_iteratorINS7_11use_defaultEEES9_S9_S9_S9_S9_S9_S9_S9_EEEESB_EEENSN_IJSM_SM_EEESB_PlJNSF_9not_fun_tINSF_14equal_to_valueISA_EEEEEEE10hipError_tPvRmT3_T4_T5_T6_T7_T9_mT8_P12ihipStream_tbDpT10_ENKUlT_T0_E_clISt17integral_constantIbLb1EES1I_IbLb0EEEEDaS1E_S1F_EUlS1E_E_NS1_11comp_targetILNS1_3genE4ELNS1_11target_archE910ELNS1_3gpuE8ELNS1_3repE0EEENS1_30default_config_static_selectorELNS0_4arch9wavefront6targetE0EEEvT1_.uses_vcc, 0
	.set _ZN7rocprim17ROCPRIM_400000_NS6detail17trampoline_kernelINS0_14default_configENS1_25partition_config_selectorILNS1_17partition_subalgoE6EN6thrust23THRUST_200600_302600_NS5tupleIiiNS7_9null_typeES9_S9_S9_S9_S9_S9_S9_EENS0_10empty_typeEbEEZZNS1_14partition_implILS5_6ELb0ES3_mNS7_12zip_iteratorINS8_INS7_6detail15normal_iteratorINS7_10device_ptrIiEEEESJ_S9_S9_S9_S9_S9_S9_S9_S9_EEEEPSB_SM_NS0_5tupleIJNSE_INS8_ISJ_NS7_16discard_iteratorINS7_11use_defaultEEES9_S9_S9_S9_S9_S9_S9_S9_EEEESB_EEENSN_IJSM_SM_EEESB_PlJNSF_9not_fun_tINSF_14equal_to_valueISA_EEEEEEE10hipError_tPvRmT3_T4_T5_T6_T7_T9_mT8_P12ihipStream_tbDpT10_ENKUlT_T0_E_clISt17integral_constantIbLb1EES1I_IbLb0EEEEDaS1E_S1F_EUlS1E_E_NS1_11comp_targetILNS1_3genE4ELNS1_11target_archE910ELNS1_3gpuE8ELNS1_3repE0EEENS1_30default_config_static_selectorELNS0_4arch9wavefront6targetE0EEEvT1_.uses_flat_scratch, 0
	.set _ZN7rocprim17ROCPRIM_400000_NS6detail17trampoline_kernelINS0_14default_configENS1_25partition_config_selectorILNS1_17partition_subalgoE6EN6thrust23THRUST_200600_302600_NS5tupleIiiNS7_9null_typeES9_S9_S9_S9_S9_S9_S9_EENS0_10empty_typeEbEEZZNS1_14partition_implILS5_6ELb0ES3_mNS7_12zip_iteratorINS8_INS7_6detail15normal_iteratorINS7_10device_ptrIiEEEESJ_S9_S9_S9_S9_S9_S9_S9_S9_EEEEPSB_SM_NS0_5tupleIJNSE_INS8_ISJ_NS7_16discard_iteratorINS7_11use_defaultEEES9_S9_S9_S9_S9_S9_S9_S9_EEEESB_EEENSN_IJSM_SM_EEESB_PlJNSF_9not_fun_tINSF_14equal_to_valueISA_EEEEEEE10hipError_tPvRmT3_T4_T5_T6_T7_T9_mT8_P12ihipStream_tbDpT10_ENKUlT_T0_E_clISt17integral_constantIbLb1EES1I_IbLb0EEEEDaS1E_S1F_EUlS1E_E_NS1_11comp_targetILNS1_3genE4ELNS1_11target_archE910ELNS1_3gpuE8ELNS1_3repE0EEENS1_30default_config_static_selectorELNS0_4arch9wavefront6targetE0EEEvT1_.has_dyn_sized_stack, 0
	.set _ZN7rocprim17ROCPRIM_400000_NS6detail17trampoline_kernelINS0_14default_configENS1_25partition_config_selectorILNS1_17partition_subalgoE6EN6thrust23THRUST_200600_302600_NS5tupleIiiNS7_9null_typeES9_S9_S9_S9_S9_S9_S9_EENS0_10empty_typeEbEEZZNS1_14partition_implILS5_6ELb0ES3_mNS7_12zip_iteratorINS8_INS7_6detail15normal_iteratorINS7_10device_ptrIiEEEESJ_S9_S9_S9_S9_S9_S9_S9_S9_EEEEPSB_SM_NS0_5tupleIJNSE_INS8_ISJ_NS7_16discard_iteratorINS7_11use_defaultEEES9_S9_S9_S9_S9_S9_S9_S9_EEEESB_EEENSN_IJSM_SM_EEESB_PlJNSF_9not_fun_tINSF_14equal_to_valueISA_EEEEEEE10hipError_tPvRmT3_T4_T5_T6_T7_T9_mT8_P12ihipStream_tbDpT10_ENKUlT_T0_E_clISt17integral_constantIbLb1EES1I_IbLb0EEEEDaS1E_S1F_EUlS1E_E_NS1_11comp_targetILNS1_3genE4ELNS1_11target_archE910ELNS1_3gpuE8ELNS1_3repE0EEENS1_30default_config_static_selectorELNS0_4arch9wavefront6targetE0EEEvT1_.has_recursion, 0
	.set _ZN7rocprim17ROCPRIM_400000_NS6detail17trampoline_kernelINS0_14default_configENS1_25partition_config_selectorILNS1_17partition_subalgoE6EN6thrust23THRUST_200600_302600_NS5tupleIiiNS7_9null_typeES9_S9_S9_S9_S9_S9_S9_EENS0_10empty_typeEbEEZZNS1_14partition_implILS5_6ELb0ES3_mNS7_12zip_iteratorINS8_INS7_6detail15normal_iteratorINS7_10device_ptrIiEEEESJ_S9_S9_S9_S9_S9_S9_S9_S9_EEEEPSB_SM_NS0_5tupleIJNSE_INS8_ISJ_NS7_16discard_iteratorINS7_11use_defaultEEES9_S9_S9_S9_S9_S9_S9_S9_EEEESB_EEENSN_IJSM_SM_EEESB_PlJNSF_9not_fun_tINSF_14equal_to_valueISA_EEEEEEE10hipError_tPvRmT3_T4_T5_T6_T7_T9_mT8_P12ihipStream_tbDpT10_ENKUlT_T0_E_clISt17integral_constantIbLb1EES1I_IbLb0EEEEDaS1E_S1F_EUlS1E_E_NS1_11comp_targetILNS1_3genE4ELNS1_11target_archE910ELNS1_3gpuE8ELNS1_3repE0EEENS1_30default_config_static_selectorELNS0_4arch9wavefront6targetE0EEEvT1_.has_indirect_call, 0
	.section	.AMDGPU.csdata,"",@progbits
; Kernel info:
; codeLenInByte = 0
; TotalNumSgprs: 0
; NumVgprs: 0
; ScratchSize: 0
; MemoryBound: 0
; FloatMode: 240
; IeeeMode: 1
; LDSByteSize: 0 bytes/workgroup (compile time only)
; SGPRBlocks: 0
; VGPRBlocks: 0
; NumSGPRsForWavesPerEU: 1
; NumVGPRsForWavesPerEU: 1
; Occupancy: 16
; WaveLimiterHint : 0
; COMPUTE_PGM_RSRC2:SCRATCH_EN: 0
; COMPUTE_PGM_RSRC2:USER_SGPR: 2
; COMPUTE_PGM_RSRC2:TRAP_HANDLER: 0
; COMPUTE_PGM_RSRC2:TGID_X_EN: 1
; COMPUTE_PGM_RSRC2:TGID_Y_EN: 0
; COMPUTE_PGM_RSRC2:TGID_Z_EN: 0
; COMPUTE_PGM_RSRC2:TIDIG_COMP_CNT: 0
	.section	.text._ZN7rocprim17ROCPRIM_400000_NS6detail17trampoline_kernelINS0_14default_configENS1_25partition_config_selectorILNS1_17partition_subalgoE6EN6thrust23THRUST_200600_302600_NS5tupleIiiNS7_9null_typeES9_S9_S9_S9_S9_S9_S9_EENS0_10empty_typeEbEEZZNS1_14partition_implILS5_6ELb0ES3_mNS7_12zip_iteratorINS8_INS7_6detail15normal_iteratorINS7_10device_ptrIiEEEESJ_S9_S9_S9_S9_S9_S9_S9_S9_EEEEPSB_SM_NS0_5tupleIJNSE_INS8_ISJ_NS7_16discard_iteratorINS7_11use_defaultEEES9_S9_S9_S9_S9_S9_S9_S9_EEEESB_EEENSN_IJSM_SM_EEESB_PlJNSF_9not_fun_tINSF_14equal_to_valueISA_EEEEEEE10hipError_tPvRmT3_T4_T5_T6_T7_T9_mT8_P12ihipStream_tbDpT10_ENKUlT_T0_E_clISt17integral_constantIbLb1EES1I_IbLb0EEEEDaS1E_S1F_EUlS1E_E_NS1_11comp_targetILNS1_3genE3ELNS1_11target_archE908ELNS1_3gpuE7ELNS1_3repE0EEENS1_30default_config_static_selectorELNS0_4arch9wavefront6targetE0EEEvT1_,"axG",@progbits,_ZN7rocprim17ROCPRIM_400000_NS6detail17trampoline_kernelINS0_14default_configENS1_25partition_config_selectorILNS1_17partition_subalgoE6EN6thrust23THRUST_200600_302600_NS5tupleIiiNS7_9null_typeES9_S9_S9_S9_S9_S9_S9_EENS0_10empty_typeEbEEZZNS1_14partition_implILS5_6ELb0ES3_mNS7_12zip_iteratorINS8_INS7_6detail15normal_iteratorINS7_10device_ptrIiEEEESJ_S9_S9_S9_S9_S9_S9_S9_S9_EEEEPSB_SM_NS0_5tupleIJNSE_INS8_ISJ_NS7_16discard_iteratorINS7_11use_defaultEEES9_S9_S9_S9_S9_S9_S9_S9_EEEESB_EEENSN_IJSM_SM_EEESB_PlJNSF_9not_fun_tINSF_14equal_to_valueISA_EEEEEEE10hipError_tPvRmT3_T4_T5_T6_T7_T9_mT8_P12ihipStream_tbDpT10_ENKUlT_T0_E_clISt17integral_constantIbLb1EES1I_IbLb0EEEEDaS1E_S1F_EUlS1E_E_NS1_11comp_targetILNS1_3genE3ELNS1_11target_archE908ELNS1_3gpuE7ELNS1_3repE0EEENS1_30default_config_static_selectorELNS0_4arch9wavefront6targetE0EEEvT1_,comdat
	.protected	_ZN7rocprim17ROCPRIM_400000_NS6detail17trampoline_kernelINS0_14default_configENS1_25partition_config_selectorILNS1_17partition_subalgoE6EN6thrust23THRUST_200600_302600_NS5tupleIiiNS7_9null_typeES9_S9_S9_S9_S9_S9_S9_EENS0_10empty_typeEbEEZZNS1_14partition_implILS5_6ELb0ES3_mNS7_12zip_iteratorINS8_INS7_6detail15normal_iteratorINS7_10device_ptrIiEEEESJ_S9_S9_S9_S9_S9_S9_S9_S9_EEEEPSB_SM_NS0_5tupleIJNSE_INS8_ISJ_NS7_16discard_iteratorINS7_11use_defaultEEES9_S9_S9_S9_S9_S9_S9_S9_EEEESB_EEENSN_IJSM_SM_EEESB_PlJNSF_9not_fun_tINSF_14equal_to_valueISA_EEEEEEE10hipError_tPvRmT3_T4_T5_T6_T7_T9_mT8_P12ihipStream_tbDpT10_ENKUlT_T0_E_clISt17integral_constantIbLb1EES1I_IbLb0EEEEDaS1E_S1F_EUlS1E_E_NS1_11comp_targetILNS1_3genE3ELNS1_11target_archE908ELNS1_3gpuE7ELNS1_3repE0EEENS1_30default_config_static_selectorELNS0_4arch9wavefront6targetE0EEEvT1_ ; -- Begin function _ZN7rocprim17ROCPRIM_400000_NS6detail17trampoline_kernelINS0_14default_configENS1_25partition_config_selectorILNS1_17partition_subalgoE6EN6thrust23THRUST_200600_302600_NS5tupleIiiNS7_9null_typeES9_S9_S9_S9_S9_S9_S9_EENS0_10empty_typeEbEEZZNS1_14partition_implILS5_6ELb0ES3_mNS7_12zip_iteratorINS8_INS7_6detail15normal_iteratorINS7_10device_ptrIiEEEESJ_S9_S9_S9_S9_S9_S9_S9_S9_EEEEPSB_SM_NS0_5tupleIJNSE_INS8_ISJ_NS7_16discard_iteratorINS7_11use_defaultEEES9_S9_S9_S9_S9_S9_S9_S9_EEEESB_EEENSN_IJSM_SM_EEESB_PlJNSF_9not_fun_tINSF_14equal_to_valueISA_EEEEEEE10hipError_tPvRmT3_T4_T5_T6_T7_T9_mT8_P12ihipStream_tbDpT10_ENKUlT_T0_E_clISt17integral_constantIbLb1EES1I_IbLb0EEEEDaS1E_S1F_EUlS1E_E_NS1_11comp_targetILNS1_3genE3ELNS1_11target_archE908ELNS1_3gpuE7ELNS1_3repE0EEENS1_30default_config_static_selectorELNS0_4arch9wavefront6targetE0EEEvT1_
	.globl	_ZN7rocprim17ROCPRIM_400000_NS6detail17trampoline_kernelINS0_14default_configENS1_25partition_config_selectorILNS1_17partition_subalgoE6EN6thrust23THRUST_200600_302600_NS5tupleIiiNS7_9null_typeES9_S9_S9_S9_S9_S9_S9_EENS0_10empty_typeEbEEZZNS1_14partition_implILS5_6ELb0ES3_mNS7_12zip_iteratorINS8_INS7_6detail15normal_iteratorINS7_10device_ptrIiEEEESJ_S9_S9_S9_S9_S9_S9_S9_S9_EEEEPSB_SM_NS0_5tupleIJNSE_INS8_ISJ_NS7_16discard_iteratorINS7_11use_defaultEEES9_S9_S9_S9_S9_S9_S9_S9_EEEESB_EEENSN_IJSM_SM_EEESB_PlJNSF_9not_fun_tINSF_14equal_to_valueISA_EEEEEEE10hipError_tPvRmT3_T4_T5_T6_T7_T9_mT8_P12ihipStream_tbDpT10_ENKUlT_T0_E_clISt17integral_constantIbLb1EES1I_IbLb0EEEEDaS1E_S1F_EUlS1E_E_NS1_11comp_targetILNS1_3genE3ELNS1_11target_archE908ELNS1_3gpuE7ELNS1_3repE0EEENS1_30default_config_static_selectorELNS0_4arch9wavefront6targetE0EEEvT1_
	.p2align	8
	.type	_ZN7rocprim17ROCPRIM_400000_NS6detail17trampoline_kernelINS0_14default_configENS1_25partition_config_selectorILNS1_17partition_subalgoE6EN6thrust23THRUST_200600_302600_NS5tupleIiiNS7_9null_typeES9_S9_S9_S9_S9_S9_S9_EENS0_10empty_typeEbEEZZNS1_14partition_implILS5_6ELb0ES3_mNS7_12zip_iteratorINS8_INS7_6detail15normal_iteratorINS7_10device_ptrIiEEEESJ_S9_S9_S9_S9_S9_S9_S9_S9_EEEEPSB_SM_NS0_5tupleIJNSE_INS8_ISJ_NS7_16discard_iteratorINS7_11use_defaultEEES9_S9_S9_S9_S9_S9_S9_S9_EEEESB_EEENSN_IJSM_SM_EEESB_PlJNSF_9not_fun_tINSF_14equal_to_valueISA_EEEEEEE10hipError_tPvRmT3_T4_T5_T6_T7_T9_mT8_P12ihipStream_tbDpT10_ENKUlT_T0_E_clISt17integral_constantIbLb1EES1I_IbLb0EEEEDaS1E_S1F_EUlS1E_E_NS1_11comp_targetILNS1_3genE3ELNS1_11target_archE908ELNS1_3gpuE7ELNS1_3repE0EEENS1_30default_config_static_selectorELNS0_4arch9wavefront6targetE0EEEvT1_,@function
_ZN7rocprim17ROCPRIM_400000_NS6detail17trampoline_kernelINS0_14default_configENS1_25partition_config_selectorILNS1_17partition_subalgoE6EN6thrust23THRUST_200600_302600_NS5tupleIiiNS7_9null_typeES9_S9_S9_S9_S9_S9_S9_EENS0_10empty_typeEbEEZZNS1_14partition_implILS5_6ELb0ES3_mNS7_12zip_iteratorINS8_INS7_6detail15normal_iteratorINS7_10device_ptrIiEEEESJ_S9_S9_S9_S9_S9_S9_S9_S9_EEEEPSB_SM_NS0_5tupleIJNSE_INS8_ISJ_NS7_16discard_iteratorINS7_11use_defaultEEES9_S9_S9_S9_S9_S9_S9_S9_EEEESB_EEENSN_IJSM_SM_EEESB_PlJNSF_9not_fun_tINSF_14equal_to_valueISA_EEEEEEE10hipError_tPvRmT3_T4_T5_T6_T7_T9_mT8_P12ihipStream_tbDpT10_ENKUlT_T0_E_clISt17integral_constantIbLb1EES1I_IbLb0EEEEDaS1E_S1F_EUlS1E_E_NS1_11comp_targetILNS1_3genE3ELNS1_11target_archE908ELNS1_3gpuE7ELNS1_3repE0EEENS1_30default_config_static_selectorELNS0_4arch9wavefront6targetE0EEEvT1_: ; @_ZN7rocprim17ROCPRIM_400000_NS6detail17trampoline_kernelINS0_14default_configENS1_25partition_config_selectorILNS1_17partition_subalgoE6EN6thrust23THRUST_200600_302600_NS5tupleIiiNS7_9null_typeES9_S9_S9_S9_S9_S9_S9_EENS0_10empty_typeEbEEZZNS1_14partition_implILS5_6ELb0ES3_mNS7_12zip_iteratorINS8_INS7_6detail15normal_iteratorINS7_10device_ptrIiEEEESJ_S9_S9_S9_S9_S9_S9_S9_S9_EEEEPSB_SM_NS0_5tupleIJNSE_INS8_ISJ_NS7_16discard_iteratorINS7_11use_defaultEEES9_S9_S9_S9_S9_S9_S9_S9_EEEESB_EEENSN_IJSM_SM_EEESB_PlJNSF_9not_fun_tINSF_14equal_to_valueISA_EEEEEEE10hipError_tPvRmT3_T4_T5_T6_T7_T9_mT8_P12ihipStream_tbDpT10_ENKUlT_T0_E_clISt17integral_constantIbLb1EES1I_IbLb0EEEEDaS1E_S1F_EUlS1E_E_NS1_11comp_targetILNS1_3genE3ELNS1_11target_archE908ELNS1_3gpuE7ELNS1_3repE0EEENS1_30default_config_static_selectorELNS0_4arch9wavefront6targetE0EEEvT1_
; %bb.0:
	.section	.rodata,"a",@progbits
	.p2align	6, 0x0
	.amdhsa_kernel _ZN7rocprim17ROCPRIM_400000_NS6detail17trampoline_kernelINS0_14default_configENS1_25partition_config_selectorILNS1_17partition_subalgoE6EN6thrust23THRUST_200600_302600_NS5tupleIiiNS7_9null_typeES9_S9_S9_S9_S9_S9_S9_EENS0_10empty_typeEbEEZZNS1_14partition_implILS5_6ELb0ES3_mNS7_12zip_iteratorINS8_INS7_6detail15normal_iteratorINS7_10device_ptrIiEEEESJ_S9_S9_S9_S9_S9_S9_S9_S9_EEEEPSB_SM_NS0_5tupleIJNSE_INS8_ISJ_NS7_16discard_iteratorINS7_11use_defaultEEES9_S9_S9_S9_S9_S9_S9_S9_EEEESB_EEENSN_IJSM_SM_EEESB_PlJNSF_9not_fun_tINSF_14equal_to_valueISA_EEEEEEE10hipError_tPvRmT3_T4_T5_T6_T7_T9_mT8_P12ihipStream_tbDpT10_ENKUlT_T0_E_clISt17integral_constantIbLb1EES1I_IbLb0EEEEDaS1E_S1F_EUlS1E_E_NS1_11comp_targetILNS1_3genE3ELNS1_11target_archE908ELNS1_3gpuE7ELNS1_3repE0EEENS1_30default_config_static_selectorELNS0_4arch9wavefront6targetE0EEEvT1_
		.amdhsa_group_segment_fixed_size 0
		.amdhsa_private_segment_fixed_size 0
		.amdhsa_kernarg_size 144
		.amdhsa_user_sgpr_count 2
		.amdhsa_user_sgpr_dispatch_ptr 0
		.amdhsa_user_sgpr_queue_ptr 0
		.amdhsa_user_sgpr_kernarg_segment_ptr 1
		.amdhsa_user_sgpr_dispatch_id 0
		.amdhsa_user_sgpr_private_segment_size 0
		.amdhsa_wavefront_size32 1
		.amdhsa_uses_dynamic_stack 0
		.amdhsa_enable_private_segment 0
		.amdhsa_system_sgpr_workgroup_id_x 1
		.amdhsa_system_sgpr_workgroup_id_y 0
		.amdhsa_system_sgpr_workgroup_id_z 0
		.amdhsa_system_sgpr_workgroup_info 0
		.amdhsa_system_vgpr_workitem_id 0
		.amdhsa_next_free_vgpr 1
		.amdhsa_next_free_sgpr 1
		.amdhsa_reserve_vcc 0
		.amdhsa_float_round_mode_32 0
		.amdhsa_float_round_mode_16_64 0
		.amdhsa_float_denorm_mode_32 3
		.amdhsa_float_denorm_mode_16_64 3
		.amdhsa_fp16_overflow 0
		.amdhsa_workgroup_processor_mode 1
		.amdhsa_memory_ordered 1
		.amdhsa_forward_progress 1
		.amdhsa_inst_pref_size 0
		.amdhsa_round_robin_scheduling 0
		.amdhsa_exception_fp_ieee_invalid_op 0
		.amdhsa_exception_fp_denorm_src 0
		.amdhsa_exception_fp_ieee_div_zero 0
		.amdhsa_exception_fp_ieee_overflow 0
		.amdhsa_exception_fp_ieee_underflow 0
		.amdhsa_exception_fp_ieee_inexact 0
		.amdhsa_exception_int_div_zero 0
	.end_amdhsa_kernel
	.section	.text._ZN7rocprim17ROCPRIM_400000_NS6detail17trampoline_kernelINS0_14default_configENS1_25partition_config_selectorILNS1_17partition_subalgoE6EN6thrust23THRUST_200600_302600_NS5tupleIiiNS7_9null_typeES9_S9_S9_S9_S9_S9_S9_EENS0_10empty_typeEbEEZZNS1_14partition_implILS5_6ELb0ES3_mNS7_12zip_iteratorINS8_INS7_6detail15normal_iteratorINS7_10device_ptrIiEEEESJ_S9_S9_S9_S9_S9_S9_S9_S9_EEEEPSB_SM_NS0_5tupleIJNSE_INS8_ISJ_NS7_16discard_iteratorINS7_11use_defaultEEES9_S9_S9_S9_S9_S9_S9_S9_EEEESB_EEENSN_IJSM_SM_EEESB_PlJNSF_9not_fun_tINSF_14equal_to_valueISA_EEEEEEE10hipError_tPvRmT3_T4_T5_T6_T7_T9_mT8_P12ihipStream_tbDpT10_ENKUlT_T0_E_clISt17integral_constantIbLb1EES1I_IbLb0EEEEDaS1E_S1F_EUlS1E_E_NS1_11comp_targetILNS1_3genE3ELNS1_11target_archE908ELNS1_3gpuE7ELNS1_3repE0EEENS1_30default_config_static_selectorELNS0_4arch9wavefront6targetE0EEEvT1_,"axG",@progbits,_ZN7rocprim17ROCPRIM_400000_NS6detail17trampoline_kernelINS0_14default_configENS1_25partition_config_selectorILNS1_17partition_subalgoE6EN6thrust23THRUST_200600_302600_NS5tupleIiiNS7_9null_typeES9_S9_S9_S9_S9_S9_S9_EENS0_10empty_typeEbEEZZNS1_14partition_implILS5_6ELb0ES3_mNS7_12zip_iteratorINS8_INS7_6detail15normal_iteratorINS7_10device_ptrIiEEEESJ_S9_S9_S9_S9_S9_S9_S9_S9_EEEEPSB_SM_NS0_5tupleIJNSE_INS8_ISJ_NS7_16discard_iteratorINS7_11use_defaultEEES9_S9_S9_S9_S9_S9_S9_S9_EEEESB_EEENSN_IJSM_SM_EEESB_PlJNSF_9not_fun_tINSF_14equal_to_valueISA_EEEEEEE10hipError_tPvRmT3_T4_T5_T6_T7_T9_mT8_P12ihipStream_tbDpT10_ENKUlT_T0_E_clISt17integral_constantIbLb1EES1I_IbLb0EEEEDaS1E_S1F_EUlS1E_E_NS1_11comp_targetILNS1_3genE3ELNS1_11target_archE908ELNS1_3gpuE7ELNS1_3repE0EEENS1_30default_config_static_selectorELNS0_4arch9wavefront6targetE0EEEvT1_,comdat
.Lfunc_end2032:
	.size	_ZN7rocprim17ROCPRIM_400000_NS6detail17trampoline_kernelINS0_14default_configENS1_25partition_config_selectorILNS1_17partition_subalgoE6EN6thrust23THRUST_200600_302600_NS5tupleIiiNS7_9null_typeES9_S9_S9_S9_S9_S9_S9_EENS0_10empty_typeEbEEZZNS1_14partition_implILS5_6ELb0ES3_mNS7_12zip_iteratorINS8_INS7_6detail15normal_iteratorINS7_10device_ptrIiEEEESJ_S9_S9_S9_S9_S9_S9_S9_S9_EEEEPSB_SM_NS0_5tupleIJNSE_INS8_ISJ_NS7_16discard_iteratorINS7_11use_defaultEEES9_S9_S9_S9_S9_S9_S9_S9_EEEESB_EEENSN_IJSM_SM_EEESB_PlJNSF_9not_fun_tINSF_14equal_to_valueISA_EEEEEEE10hipError_tPvRmT3_T4_T5_T6_T7_T9_mT8_P12ihipStream_tbDpT10_ENKUlT_T0_E_clISt17integral_constantIbLb1EES1I_IbLb0EEEEDaS1E_S1F_EUlS1E_E_NS1_11comp_targetILNS1_3genE3ELNS1_11target_archE908ELNS1_3gpuE7ELNS1_3repE0EEENS1_30default_config_static_selectorELNS0_4arch9wavefront6targetE0EEEvT1_, .Lfunc_end2032-_ZN7rocprim17ROCPRIM_400000_NS6detail17trampoline_kernelINS0_14default_configENS1_25partition_config_selectorILNS1_17partition_subalgoE6EN6thrust23THRUST_200600_302600_NS5tupleIiiNS7_9null_typeES9_S9_S9_S9_S9_S9_S9_EENS0_10empty_typeEbEEZZNS1_14partition_implILS5_6ELb0ES3_mNS7_12zip_iteratorINS8_INS7_6detail15normal_iteratorINS7_10device_ptrIiEEEESJ_S9_S9_S9_S9_S9_S9_S9_S9_EEEEPSB_SM_NS0_5tupleIJNSE_INS8_ISJ_NS7_16discard_iteratorINS7_11use_defaultEEES9_S9_S9_S9_S9_S9_S9_S9_EEEESB_EEENSN_IJSM_SM_EEESB_PlJNSF_9not_fun_tINSF_14equal_to_valueISA_EEEEEEE10hipError_tPvRmT3_T4_T5_T6_T7_T9_mT8_P12ihipStream_tbDpT10_ENKUlT_T0_E_clISt17integral_constantIbLb1EES1I_IbLb0EEEEDaS1E_S1F_EUlS1E_E_NS1_11comp_targetILNS1_3genE3ELNS1_11target_archE908ELNS1_3gpuE7ELNS1_3repE0EEENS1_30default_config_static_selectorELNS0_4arch9wavefront6targetE0EEEvT1_
                                        ; -- End function
	.set _ZN7rocprim17ROCPRIM_400000_NS6detail17trampoline_kernelINS0_14default_configENS1_25partition_config_selectorILNS1_17partition_subalgoE6EN6thrust23THRUST_200600_302600_NS5tupleIiiNS7_9null_typeES9_S9_S9_S9_S9_S9_S9_EENS0_10empty_typeEbEEZZNS1_14partition_implILS5_6ELb0ES3_mNS7_12zip_iteratorINS8_INS7_6detail15normal_iteratorINS7_10device_ptrIiEEEESJ_S9_S9_S9_S9_S9_S9_S9_S9_EEEEPSB_SM_NS0_5tupleIJNSE_INS8_ISJ_NS7_16discard_iteratorINS7_11use_defaultEEES9_S9_S9_S9_S9_S9_S9_S9_EEEESB_EEENSN_IJSM_SM_EEESB_PlJNSF_9not_fun_tINSF_14equal_to_valueISA_EEEEEEE10hipError_tPvRmT3_T4_T5_T6_T7_T9_mT8_P12ihipStream_tbDpT10_ENKUlT_T0_E_clISt17integral_constantIbLb1EES1I_IbLb0EEEEDaS1E_S1F_EUlS1E_E_NS1_11comp_targetILNS1_3genE3ELNS1_11target_archE908ELNS1_3gpuE7ELNS1_3repE0EEENS1_30default_config_static_selectorELNS0_4arch9wavefront6targetE0EEEvT1_.num_vgpr, 0
	.set _ZN7rocprim17ROCPRIM_400000_NS6detail17trampoline_kernelINS0_14default_configENS1_25partition_config_selectorILNS1_17partition_subalgoE6EN6thrust23THRUST_200600_302600_NS5tupleIiiNS7_9null_typeES9_S9_S9_S9_S9_S9_S9_EENS0_10empty_typeEbEEZZNS1_14partition_implILS5_6ELb0ES3_mNS7_12zip_iteratorINS8_INS7_6detail15normal_iteratorINS7_10device_ptrIiEEEESJ_S9_S9_S9_S9_S9_S9_S9_S9_EEEEPSB_SM_NS0_5tupleIJNSE_INS8_ISJ_NS7_16discard_iteratorINS7_11use_defaultEEES9_S9_S9_S9_S9_S9_S9_S9_EEEESB_EEENSN_IJSM_SM_EEESB_PlJNSF_9not_fun_tINSF_14equal_to_valueISA_EEEEEEE10hipError_tPvRmT3_T4_T5_T6_T7_T9_mT8_P12ihipStream_tbDpT10_ENKUlT_T0_E_clISt17integral_constantIbLb1EES1I_IbLb0EEEEDaS1E_S1F_EUlS1E_E_NS1_11comp_targetILNS1_3genE3ELNS1_11target_archE908ELNS1_3gpuE7ELNS1_3repE0EEENS1_30default_config_static_selectorELNS0_4arch9wavefront6targetE0EEEvT1_.num_agpr, 0
	.set _ZN7rocprim17ROCPRIM_400000_NS6detail17trampoline_kernelINS0_14default_configENS1_25partition_config_selectorILNS1_17partition_subalgoE6EN6thrust23THRUST_200600_302600_NS5tupleIiiNS7_9null_typeES9_S9_S9_S9_S9_S9_S9_EENS0_10empty_typeEbEEZZNS1_14partition_implILS5_6ELb0ES3_mNS7_12zip_iteratorINS8_INS7_6detail15normal_iteratorINS7_10device_ptrIiEEEESJ_S9_S9_S9_S9_S9_S9_S9_S9_EEEEPSB_SM_NS0_5tupleIJNSE_INS8_ISJ_NS7_16discard_iteratorINS7_11use_defaultEEES9_S9_S9_S9_S9_S9_S9_S9_EEEESB_EEENSN_IJSM_SM_EEESB_PlJNSF_9not_fun_tINSF_14equal_to_valueISA_EEEEEEE10hipError_tPvRmT3_T4_T5_T6_T7_T9_mT8_P12ihipStream_tbDpT10_ENKUlT_T0_E_clISt17integral_constantIbLb1EES1I_IbLb0EEEEDaS1E_S1F_EUlS1E_E_NS1_11comp_targetILNS1_3genE3ELNS1_11target_archE908ELNS1_3gpuE7ELNS1_3repE0EEENS1_30default_config_static_selectorELNS0_4arch9wavefront6targetE0EEEvT1_.numbered_sgpr, 0
	.set _ZN7rocprim17ROCPRIM_400000_NS6detail17trampoline_kernelINS0_14default_configENS1_25partition_config_selectorILNS1_17partition_subalgoE6EN6thrust23THRUST_200600_302600_NS5tupleIiiNS7_9null_typeES9_S9_S9_S9_S9_S9_S9_EENS0_10empty_typeEbEEZZNS1_14partition_implILS5_6ELb0ES3_mNS7_12zip_iteratorINS8_INS7_6detail15normal_iteratorINS7_10device_ptrIiEEEESJ_S9_S9_S9_S9_S9_S9_S9_S9_EEEEPSB_SM_NS0_5tupleIJNSE_INS8_ISJ_NS7_16discard_iteratorINS7_11use_defaultEEES9_S9_S9_S9_S9_S9_S9_S9_EEEESB_EEENSN_IJSM_SM_EEESB_PlJNSF_9not_fun_tINSF_14equal_to_valueISA_EEEEEEE10hipError_tPvRmT3_T4_T5_T6_T7_T9_mT8_P12ihipStream_tbDpT10_ENKUlT_T0_E_clISt17integral_constantIbLb1EES1I_IbLb0EEEEDaS1E_S1F_EUlS1E_E_NS1_11comp_targetILNS1_3genE3ELNS1_11target_archE908ELNS1_3gpuE7ELNS1_3repE0EEENS1_30default_config_static_selectorELNS0_4arch9wavefront6targetE0EEEvT1_.num_named_barrier, 0
	.set _ZN7rocprim17ROCPRIM_400000_NS6detail17trampoline_kernelINS0_14default_configENS1_25partition_config_selectorILNS1_17partition_subalgoE6EN6thrust23THRUST_200600_302600_NS5tupleIiiNS7_9null_typeES9_S9_S9_S9_S9_S9_S9_EENS0_10empty_typeEbEEZZNS1_14partition_implILS5_6ELb0ES3_mNS7_12zip_iteratorINS8_INS7_6detail15normal_iteratorINS7_10device_ptrIiEEEESJ_S9_S9_S9_S9_S9_S9_S9_S9_EEEEPSB_SM_NS0_5tupleIJNSE_INS8_ISJ_NS7_16discard_iteratorINS7_11use_defaultEEES9_S9_S9_S9_S9_S9_S9_S9_EEEESB_EEENSN_IJSM_SM_EEESB_PlJNSF_9not_fun_tINSF_14equal_to_valueISA_EEEEEEE10hipError_tPvRmT3_T4_T5_T6_T7_T9_mT8_P12ihipStream_tbDpT10_ENKUlT_T0_E_clISt17integral_constantIbLb1EES1I_IbLb0EEEEDaS1E_S1F_EUlS1E_E_NS1_11comp_targetILNS1_3genE3ELNS1_11target_archE908ELNS1_3gpuE7ELNS1_3repE0EEENS1_30default_config_static_selectorELNS0_4arch9wavefront6targetE0EEEvT1_.private_seg_size, 0
	.set _ZN7rocprim17ROCPRIM_400000_NS6detail17trampoline_kernelINS0_14default_configENS1_25partition_config_selectorILNS1_17partition_subalgoE6EN6thrust23THRUST_200600_302600_NS5tupleIiiNS7_9null_typeES9_S9_S9_S9_S9_S9_S9_EENS0_10empty_typeEbEEZZNS1_14partition_implILS5_6ELb0ES3_mNS7_12zip_iteratorINS8_INS7_6detail15normal_iteratorINS7_10device_ptrIiEEEESJ_S9_S9_S9_S9_S9_S9_S9_S9_EEEEPSB_SM_NS0_5tupleIJNSE_INS8_ISJ_NS7_16discard_iteratorINS7_11use_defaultEEES9_S9_S9_S9_S9_S9_S9_S9_EEEESB_EEENSN_IJSM_SM_EEESB_PlJNSF_9not_fun_tINSF_14equal_to_valueISA_EEEEEEE10hipError_tPvRmT3_T4_T5_T6_T7_T9_mT8_P12ihipStream_tbDpT10_ENKUlT_T0_E_clISt17integral_constantIbLb1EES1I_IbLb0EEEEDaS1E_S1F_EUlS1E_E_NS1_11comp_targetILNS1_3genE3ELNS1_11target_archE908ELNS1_3gpuE7ELNS1_3repE0EEENS1_30default_config_static_selectorELNS0_4arch9wavefront6targetE0EEEvT1_.uses_vcc, 0
	.set _ZN7rocprim17ROCPRIM_400000_NS6detail17trampoline_kernelINS0_14default_configENS1_25partition_config_selectorILNS1_17partition_subalgoE6EN6thrust23THRUST_200600_302600_NS5tupleIiiNS7_9null_typeES9_S9_S9_S9_S9_S9_S9_EENS0_10empty_typeEbEEZZNS1_14partition_implILS5_6ELb0ES3_mNS7_12zip_iteratorINS8_INS7_6detail15normal_iteratorINS7_10device_ptrIiEEEESJ_S9_S9_S9_S9_S9_S9_S9_S9_EEEEPSB_SM_NS0_5tupleIJNSE_INS8_ISJ_NS7_16discard_iteratorINS7_11use_defaultEEES9_S9_S9_S9_S9_S9_S9_S9_EEEESB_EEENSN_IJSM_SM_EEESB_PlJNSF_9not_fun_tINSF_14equal_to_valueISA_EEEEEEE10hipError_tPvRmT3_T4_T5_T6_T7_T9_mT8_P12ihipStream_tbDpT10_ENKUlT_T0_E_clISt17integral_constantIbLb1EES1I_IbLb0EEEEDaS1E_S1F_EUlS1E_E_NS1_11comp_targetILNS1_3genE3ELNS1_11target_archE908ELNS1_3gpuE7ELNS1_3repE0EEENS1_30default_config_static_selectorELNS0_4arch9wavefront6targetE0EEEvT1_.uses_flat_scratch, 0
	.set _ZN7rocprim17ROCPRIM_400000_NS6detail17trampoline_kernelINS0_14default_configENS1_25partition_config_selectorILNS1_17partition_subalgoE6EN6thrust23THRUST_200600_302600_NS5tupleIiiNS7_9null_typeES9_S9_S9_S9_S9_S9_S9_EENS0_10empty_typeEbEEZZNS1_14partition_implILS5_6ELb0ES3_mNS7_12zip_iteratorINS8_INS7_6detail15normal_iteratorINS7_10device_ptrIiEEEESJ_S9_S9_S9_S9_S9_S9_S9_S9_EEEEPSB_SM_NS0_5tupleIJNSE_INS8_ISJ_NS7_16discard_iteratorINS7_11use_defaultEEES9_S9_S9_S9_S9_S9_S9_S9_EEEESB_EEENSN_IJSM_SM_EEESB_PlJNSF_9not_fun_tINSF_14equal_to_valueISA_EEEEEEE10hipError_tPvRmT3_T4_T5_T6_T7_T9_mT8_P12ihipStream_tbDpT10_ENKUlT_T0_E_clISt17integral_constantIbLb1EES1I_IbLb0EEEEDaS1E_S1F_EUlS1E_E_NS1_11comp_targetILNS1_3genE3ELNS1_11target_archE908ELNS1_3gpuE7ELNS1_3repE0EEENS1_30default_config_static_selectorELNS0_4arch9wavefront6targetE0EEEvT1_.has_dyn_sized_stack, 0
	.set _ZN7rocprim17ROCPRIM_400000_NS6detail17trampoline_kernelINS0_14default_configENS1_25partition_config_selectorILNS1_17partition_subalgoE6EN6thrust23THRUST_200600_302600_NS5tupleIiiNS7_9null_typeES9_S9_S9_S9_S9_S9_S9_EENS0_10empty_typeEbEEZZNS1_14partition_implILS5_6ELb0ES3_mNS7_12zip_iteratorINS8_INS7_6detail15normal_iteratorINS7_10device_ptrIiEEEESJ_S9_S9_S9_S9_S9_S9_S9_S9_EEEEPSB_SM_NS0_5tupleIJNSE_INS8_ISJ_NS7_16discard_iteratorINS7_11use_defaultEEES9_S9_S9_S9_S9_S9_S9_S9_EEEESB_EEENSN_IJSM_SM_EEESB_PlJNSF_9not_fun_tINSF_14equal_to_valueISA_EEEEEEE10hipError_tPvRmT3_T4_T5_T6_T7_T9_mT8_P12ihipStream_tbDpT10_ENKUlT_T0_E_clISt17integral_constantIbLb1EES1I_IbLb0EEEEDaS1E_S1F_EUlS1E_E_NS1_11comp_targetILNS1_3genE3ELNS1_11target_archE908ELNS1_3gpuE7ELNS1_3repE0EEENS1_30default_config_static_selectorELNS0_4arch9wavefront6targetE0EEEvT1_.has_recursion, 0
	.set _ZN7rocprim17ROCPRIM_400000_NS6detail17trampoline_kernelINS0_14default_configENS1_25partition_config_selectorILNS1_17partition_subalgoE6EN6thrust23THRUST_200600_302600_NS5tupleIiiNS7_9null_typeES9_S9_S9_S9_S9_S9_S9_EENS0_10empty_typeEbEEZZNS1_14partition_implILS5_6ELb0ES3_mNS7_12zip_iteratorINS8_INS7_6detail15normal_iteratorINS7_10device_ptrIiEEEESJ_S9_S9_S9_S9_S9_S9_S9_S9_EEEEPSB_SM_NS0_5tupleIJNSE_INS8_ISJ_NS7_16discard_iteratorINS7_11use_defaultEEES9_S9_S9_S9_S9_S9_S9_S9_EEEESB_EEENSN_IJSM_SM_EEESB_PlJNSF_9not_fun_tINSF_14equal_to_valueISA_EEEEEEE10hipError_tPvRmT3_T4_T5_T6_T7_T9_mT8_P12ihipStream_tbDpT10_ENKUlT_T0_E_clISt17integral_constantIbLb1EES1I_IbLb0EEEEDaS1E_S1F_EUlS1E_E_NS1_11comp_targetILNS1_3genE3ELNS1_11target_archE908ELNS1_3gpuE7ELNS1_3repE0EEENS1_30default_config_static_selectorELNS0_4arch9wavefront6targetE0EEEvT1_.has_indirect_call, 0
	.section	.AMDGPU.csdata,"",@progbits
; Kernel info:
; codeLenInByte = 0
; TotalNumSgprs: 0
; NumVgprs: 0
; ScratchSize: 0
; MemoryBound: 0
; FloatMode: 240
; IeeeMode: 1
; LDSByteSize: 0 bytes/workgroup (compile time only)
; SGPRBlocks: 0
; VGPRBlocks: 0
; NumSGPRsForWavesPerEU: 1
; NumVGPRsForWavesPerEU: 1
; Occupancy: 16
; WaveLimiterHint : 0
; COMPUTE_PGM_RSRC2:SCRATCH_EN: 0
; COMPUTE_PGM_RSRC2:USER_SGPR: 2
; COMPUTE_PGM_RSRC2:TRAP_HANDLER: 0
; COMPUTE_PGM_RSRC2:TGID_X_EN: 1
; COMPUTE_PGM_RSRC2:TGID_Y_EN: 0
; COMPUTE_PGM_RSRC2:TGID_Z_EN: 0
; COMPUTE_PGM_RSRC2:TIDIG_COMP_CNT: 0
	.section	.text._ZN7rocprim17ROCPRIM_400000_NS6detail17trampoline_kernelINS0_14default_configENS1_25partition_config_selectorILNS1_17partition_subalgoE6EN6thrust23THRUST_200600_302600_NS5tupleIiiNS7_9null_typeES9_S9_S9_S9_S9_S9_S9_EENS0_10empty_typeEbEEZZNS1_14partition_implILS5_6ELb0ES3_mNS7_12zip_iteratorINS8_INS7_6detail15normal_iteratorINS7_10device_ptrIiEEEESJ_S9_S9_S9_S9_S9_S9_S9_S9_EEEEPSB_SM_NS0_5tupleIJNSE_INS8_ISJ_NS7_16discard_iteratorINS7_11use_defaultEEES9_S9_S9_S9_S9_S9_S9_S9_EEEESB_EEENSN_IJSM_SM_EEESB_PlJNSF_9not_fun_tINSF_14equal_to_valueISA_EEEEEEE10hipError_tPvRmT3_T4_T5_T6_T7_T9_mT8_P12ihipStream_tbDpT10_ENKUlT_T0_E_clISt17integral_constantIbLb1EES1I_IbLb0EEEEDaS1E_S1F_EUlS1E_E_NS1_11comp_targetILNS1_3genE2ELNS1_11target_archE906ELNS1_3gpuE6ELNS1_3repE0EEENS1_30default_config_static_selectorELNS0_4arch9wavefront6targetE0EEEvT1_,"axG",@progbits,_ZN7rocprim17ROCPRIM_400000_NS6detail17trampoline_kernelINS0_14default_configENS1_25partition_config_selectorILNS1_17partition_subalgoE6EN6thrust23THRUST_200600_302600_NS5tupleIiiNS7_9null_typeES9_S9_S9_S9_S9_S9_S9_EENS0_10empty_typeEbEEZZNS1_14partition_implILS5_6ELb0ES3_mNS7_12zip_iteratorINS8_INS7_6detail15normal_iteratorINS7_10device_ptrIiEEEESJ_S9_S9_S9_S9_S9_S9_S9_S9_EEEEPSB_SM_NS0_5tupleIJNSE_INS8_ISJ_NS7_16discard_iteratorINS7_11use_defaultEEES9_S9_S9_S9_S9_S9_S9_S9_EEEESB_EEENSN_IJSM_SM_EEESB_PlJNSF_9not_fun_tINSF_14equal_to_valueISA_EEEEEEE10hipError_tPvRmT3_T4_T5_T6_T7_T9_mT8_P12ihipStream_tbDpT10_ENKUlT_T0_E_clISt17integral_constantIbLb1EES1I_IbLb0EEEEDaS1E_S1F_EUlS1E_E_NS1_11comp_targetILNS1_3genE2ELNS1_11target_archE906ELNS1_3gpuE6ELNS1_3repE0EEENS1_30default_config_static_selectorELNS0_4arch9wavefront6targetE0EEEvT1_,comdat
	.protected	_ZN7rocprim17ROCPRIM_400000_NS6detail17trampoline_kernelINS0_14default_configENS1_25partition_config_selectorILNS1_17partition_subalgoE6EN6thrust23THRUST_200600_302600_NS5tupleIiiNS7_9null_typeES9_S9_S9_S9_S9_S9_S9_EENS0_10empty_typeEbEEZZNS1_14partition_implILS5_6ELb0ES3_mNS7_12zip_iteratorINS8_INS7_6detail15normal_iteratorINS7_10device_ptrIiEEEESJ_S9_S9_S9_S9_S9_S9_S9_S9_EEEEPSB_SM_NS0_5tupleIJNSE_INS8_ISJ_NS7_16discard_iteratorINS7_11use_defaultEEES9_S9_S9_S9_S9_S9_S9_S9_EEEESB_EEENSN_IJSM_SM_EEESB_PlJNSF_9not_fun_tINSF_14equal_to_valueISA_EEEEEEE10hipError_tPvRmT3_T4_T5_T6_T7_T9_mT8_P12ihipStream_tbDpT10_ENKUlT_T0_E_clISt17integral_constantIbLb1EES1I_IbLb0EEEEDaS1E_S1F_EUlS1E_E_NS1_11comp_targetILNS1_3genE2ELNS1_11target_archE906ELNS1_3gpuE6ELNS1_3repE0EEENS1_30default_config_static_selectorELNS0_4arch9wavefront6targetE0EEEvT1_ ; -- Begin function _ZN7rocprim17ROCPRIM_400000_NS6detail17trampoline_kernelINS0_14default_configENS1_25partition_config_selectorILNS1_17partition_subalgoE6EN6thrust23THRUST_200600_302600_NS5tupleIiiNS7_9null_typeES9_S9_S9_S9_S9_S9_S9_EENS0_10empty_typeEbEEZZNS1_14partition_implILS5_6ELb0ES3_mNS7_12zip_iteratorINS8_INS7_6detail15normal_iteratorINS7_10device_ptrIiEEEESJ_S9_S9_S9_S9_S9_S9_S9_S9_EEEEPSB_SM_NS0_5tupleIJNSE_INS8_ISJ_NS7_16discard_iteratorINS7_11use_defaultEEES9_S9_S9_S9_S9_S9_S9_S9_EEEESB_EEENSN_IJSM_SM_EEESB_PlJNSF_9not_fun_tINSF_14equal_to_valueISA_EEEEEEE10hipError_tPvRmT3_T4_T5_T6_T7_T9_mT8_P12ihipStream_tbDpT10_ENKUlT_T0_E_clISt17integral_constantIbLb1EES1I_IbLb0EEEEDaS1E_S1F_EUlS1E_E_NS1_11comp_targetILNS1_3genE2ELNS1_11target_archE906ELNS1_3gpuE6ELNS1_3repE0EEENS1_30default_config_static_selectorELNS0_4arch9wavefront6targetE0EEEvT1_
	.globl	_ZN7rocprim17ROCPRIM_400000_NS6detail17trampoline_kernelINS0_14default_configENS1_25partition_config_selectorILNS1_17partition_subalgoE6EN6thrust23THRUST_200600_302600_NS5tupleIiiNS7_9null_typeES9_S9_S9_S9_S9_S9_S9_EENS0_10empty_typeEbEEZZNS1_14partition_implILS5_6ELb0ES3_mNS7_12zip_iteratorINS8_INS7_6detail15normal_iteratorINS7_10device_ptrIiEEEESJ_S9_S9_S9_S9_S9_S9_S9_S9_EEEEPSB_SM_NS0_5tupleIJNSE_INS8_ISJ_NS7_16discard_iteratorINS7_11use_defaultEEES9_S9_S9_S9_S9_S9_S9_S9_EEEESB_EEENSN_IJSM_SM_EEESB_PlJNSF_9not_fun_tINSF_14equal_to_valueISA_EEEEEEE10hipError_tPvRmT3_T4_T5_T6_T7_T9_mT8_P12ihipStream_tbDpT10_ENKUlT_T0_E_clISt17integral_constantIbLb1EES1I_IbLb0EEEEDaS1E_S1F_EUlS1E_E_NS1_11comp_targetILNS1_3genE2ELNS1_11target_archE906ELNS1_3gpuE6ELNS1_3repE0EEENS1_30default_config_static_selectorELNS0_4arch9wavefront6targetE0EEEvT1_
	.p2align	8
	.type	_ZN7rocprim17ROCPRIM_400000_NS6detail17trampoline_kernelINS0_14default_configENS1_25partition_config_selectorILNS1_17partition_subalgoE6EN6thrust23THRUST_200600_302600_NS5tupleIiiNS7_9null_typeES9_S9_S9_S9_S9_S9_S9_EENS0_10empty_typeEbEEZZNS1_14partition_implILS5_6ELb0ES3_mNS7_12zip_iteratorINS8_INS7_6detail15normal_iteratorINS7_10device_ptrIiEEEESJ_S9_S9_S9_S9_S9_S9_S9_S9_EEEEPSB_SM_NS0_5tupleIJNSE_INS8_ISJ_NS7_16discard_iteratorINS7_11use_defaultEEES9_S9_S9_S9_S9_S9_S9_S9_EEEESB_EEENSN_IJSM_SM_EEESB_PlJNSF_9not_fun_tINSF_14equal_to_valueISA_EEEEEEE10hipError_tPvRmT3_T4_T5_T6_T7_T9_mT8_P12ihipStream_tbDpT10_ENKUlT_T0_E_clISt17integral_constantIbLb1EES1I_IbLb0EEEEDaS1E_S1F_EUlS1E_E_NS1_11comp_targetILNS1_3genE2ELNS1_11target_archE906ELNS1_3gpuE6ELNS1_3repE0EEENS1_30default_config_static_selectorELNS0_4arch9wavefront6targetE0EEEvT1_,@function
_ZN7rocprim17ROCPRIM_400000_NS6detail17trampoline_kernelINS0_14default_configENS1_25partition_config_selectorILNS1_17partition_subalgoE6EN6thrust23THRUST_200600_302600_NS5tupleIiiNS7_9null_typeES9_S9_S9_S9_S9_S9_S9_EENS0_10empty_typeEbEEZZNS1_14partition_implILS5_6ELb0ES3_mNS7_12zip_iteratorINS8_INS7_6detail15normal_iteratorINS7_10device_ptrIiEEEESJ_S9_S9_S9_S9_S9_S9_S9_S9_EEEEPSB_SM_NS0_5tupleIJNSE_INS8_ISJ_NS7_16discard_iteratorINS7_11use_defaultEEES9_S9_S9_S9_S9_S9_S9_S9_EEEESB_EEENSN_IJSM_SM_EEESB_PlJNSF_9not_fun_tINSF_14equal_to_valueISA_EEEEEEE10hipError_tPvRmT3_T4_T5_T6_T7_T9_mT8_P12ihipStream_tbDpT10_ENKUlT_T0_E_clISt17integral_constantIbLb1EES1I_IbLb0EEEEDaS1E_S1F_EUlS1E_E_NS1_11comp_targetILNS1_3genE2ELNS1_11target_archE906ELNS1_3gpuE6ELNS1_3repE0EEENS1_30default_config_static_selectorELNS0_4arch9wavefront6targetE0EEEvT1_: ; @_ZN7rocprim17ROCPRIM_400000_NS6detail17trampoline_kernelINS0_14default_configENS1_25partition_config_selectorILNS1_17partition_subalgoE6EN6thrust23THRUST_200600_302600_NS5tupleIiiNS7_9null_typeES9_S9_S9_S9_S9_S9_S9_EENS0_10empty_typeEbEEZZNS1_14partition_implILS5_6ELb0ES3_mNS7_12zip_iteratorINS8_INS7_6detail15normal_iteratorINS7_10device_ptrIiEEEESJ_S9_S9_S9_S9_S9_S9_S9_S9_EEEEPSB_SM_NS0_5tupleIJNSE_INS8_ISJ_NS7_16discard_iteratorINS7_11use_defaultEEES9_S9_S9_S9_S9_S9_S9_S9_EEEESB_EEENSN_IJSM_SM_EEESB_PlJNSF_9not_fun_tINSF_14equal_to_valueISA_EEEEEEE10hipError_tPvRmT3_T4_T5_T6_T7_T9_mT8_P12ihipStream_tbDpT10_ENKUlT_T0_E_clISt17integral_constantIbLb1EES1I_IbLb0EEEEDaS1E_S1F_EUlS1E_E_NS1_11comp_targetILNS1_3genE2ELNS1_11target_archE906ELNS1_3gpuE6ELNS1_3repE0EEENS1_30default_config_static_selectorELNS0_4arch9wavefront6targetE0EEEvT1_
; %bb.0:
	.section	.rodata,"a",@progbits
	.p2align	6, 0x0
	.amdhsa_kernel _ZN7rocprim17ROCPRIM_400000_NS6detail17trampoline_kernelINS0_14default_configENS1_25partition_config_selectorILNS1_17partition_subalgoE6EN6thrust23THRUST_200600_302600_NS5tupleIiiNS7_9null_typeES9_S9_S9_S9_S9_S9_S9_EENS0_10empty_typeEbEEZZNS1_14partition_implILS5_6ELb0ES3_mNS7_12zip_iteratorINS8_INS7_6detail15normal_iteratorINS7_10device_ptrIiEEEESJ_S9_S9_S9_S9_S9_S9_S9_S9_EEEEPSB_SM_NS0_5tupleIJNSE_INS8_ISJ_NS7_16discard_iteratorINS7_11use_defaultEEES9_S9_S9_S9_S9_S9_S9_S9_EEEESB_EEENSN_IJSM_SM_EEESB_PlJNSF_9not_fun_tINSF_14equal_to_valueISA_EEEEEEE10hipError_tPvRmT3_T4_T5_T6_T7_T9_mT8_P12ihipStream_tbDpT10_ENKUlT_T0_E_clISt17integral_constantIbLb1EES1I_IbLb0EEEEDaS1E_S1F_EUlS1E_E_NS1_11comp_targetILNS1_3genE2ELNS1_11target_archE906ELNS1_3gpuE6ELNS1_3repE0EEENS1_30default_config_static_selectorELNS0_4arch9wavefront6targetE0EEEvT1_
		.amdhsa_group_segment_fixed_size 0
		.amdhsa_private_segment_fixed_size 0
		.amdhsa_kernarg_size 144
		.amdhsa_user_sgpr_count 2
		.amdhsa_user_sgpr_dispatch_ptr 0
		.amdhsa_user_sgpr_queue_ptr 0
		.amdhsa_user_sgpr_kernarg_segment_ptr 1
		.amdhsa_user_sgpr_dispatch_id 0
		.amdhsa_user_sgpr_private_segment_size 0
		.amdhsa_wavefront_size32 1
		.amdhsa_uses_dynamic_stack 0
		.amdhsa_enable_private_segment 0
		.amdhsa_system_sgpr_workgroup_id_x 1
		.amdhsa_system_sgpr_workgroup_id_y 0
		.amdhsa_system_sgpr_workgroup_id_z 0
		.amdhsa_system_sgpr_workgroup_info 0
		.amdhsa_system_vgpr_workitem_id 0
		.amdhsa_next_free_vgpr 1
		.amdhsa_next_free_sgpr 1
		.amdhsa_reserve_vcc 0
		.amdhsa_float_round_mode_32 0
		.amdhsa_float_round_mode_16_64 0
		.amdhsa_float_denorm_mode_32 3
		.amdhsa_float_denorm_mode_16_64 3
		.amdhsa_fp16_overflow 0
		.amdhsa_workgroup_processor_mode 1
		.amdhsa_memory_ordered 1
		.amdhsa_forward_progress 1
		.amdhsa_inst_pref_size 0
		.amdhsa_round_robin_scheduling 0
		.amdhsa_exception_fp_ieee_invalid_op 0
		.amdhsa_exception_fp_denorm_src 0
		.amdhsa_exception_fp_ieee_div_zero 0
		.amdhsa_exception_fp_ieee_overflow 0
		.amdhsa_exception_fp_ieee_underflow 0
		.amdhsa_exception_fp_ieee_inexact 0
		.amdhsa_exception_int_div_zero 0
	.end_amdhsa_kernel
	.section	.text._ZN7rocprim17ROCPRIM_400000_NS6detail17trampoline_kernelINS0_14default_configENS1_25partition_config_selectorILNS1_17partition_subalgoE6EN6thrust23THRUST_200600_302600_NS5tupleIiiNS7_9null_typeES9_S9_S9_S9_S9_S9_S9_EENS0_10empty_typeEbEEZZNS1_14partition_implILS5_6ELb0ES3_mNS7_12zip_iteratorINS8_INS7_6detail15normal_iteratorINS7_10device_ptrIiEEEESJ_S9_S9_S9_S9_S9_S9_S9_S9_EEEEPSB_SM_NS0_5tupleIJNSE_INS8_ISJ_NS7_16discard_iteratorINS7_11use_defaultEEES9_S9_S9_S9_S9_S9_S9_S9_EEEESB_EEENSN_IJSM_SM_EEESB_PlJNSF_9not_fun_tINSF_14equal_to_valueISA_EEEEEEE10hipError_tPvRmT3_T4_T5_T6_T7_T9_mT8_P12ihipStream_tbDpT10_ENKUlT_T0_E_clISt17integral_constantIbLb1EES1I_IbLb0EEEEDaS1E_S1F_EUlS1E_E_NS1_11comp_targetILNS1_3genE2ELNS1_11target_archE906ELNS1_3gpuE6ELNS1_3repE0EEENS1_30default_config_static_selectorELNS0_4arch9wavefront6targetE0EEEvT1_,"axG",@progbits,_ZN7rocprim17ROCPRIM_400000_NS6detail17trampoline_kernelINS0_14default_configENS1_25partition_config_selectorILNS1_17partition_subalgoE6EN6thrust23THRUST_200600_302600_NS5tupleIiiNS7_9null_typeES9_S9_S9_S9_S9_S9_S9_EENS0_10empty_typeEbEEZZNS1_14partition_implILS5_6ELb0ES3_mNS7_12zip_iteratorINS8_INS7_6detail15normal_iteratorINS7_10device_ptrIiEEEESJ_S9_S9_S9_S9_S9_S9_S9_S9_EEEEPSB_SM_NS0_5tupleIJNSE_INS8_ISJ_NS7_16discard_iteratorINS7_11use_defaultEEES9_S9_S9_S9_S9_S9_S9_S9_EEEESB_EEENSN_IJSM_SM_EEESB_PlJNSF_9not_fun_tINSF_14equal_to_valueISA_EEEEEEE10hipError_tPvRmT3_T4_T5_T6_T7_T9_mT8_P12ihipStream_tbDpT10_ENKUlT_T0_E_clISt17integral_constantIbLb1EES1I_IbLb0EEEEDaS1E_S1F_EUlS1E_E_NS1_11comp_targetILNS1_3genE2ELNS1_11target_archE906ELNS1_3gpuE6ELNS1_3repE0EEENS1_30default_config_static_selectorELNS0_4arch9wavefront6targetE0EEEvT1_,comdat
.Lfunc_end2033:
	.size	_ZN7rocprim17ROCPRIM_400000_NS6detail17trampoline_kernelINS0_14default_configENS1_25partition_config_selectorILNS1_17partition_subalgoE6EN6thrust23THRUST_200600_302600_NS5tupleIiiNS7_9null_typeES9_S9_S9_S9_S9_S9_S9_EENS0_10empty_typeEbEEZZNS1_14partition_implILS5_6ELb0ES3_mNS7_12zip_iteratorINS8_INS7_6detail15normal_iteratorINS7_10device_ptrIiEEEESJ_S9_S9_S9_S9_S9_S9_S9_S9_EEEEPSB_SM_NS0_5tupleIJNSE_INS8_ISJ_NS7_16discard_iteratorINS7_11use_defaultEEES9_S9_S9_S9_S9_S9_S9_S9_EEEESB_EEENSN_IJSM_SM_EEESB_PlJNSF_9not_fun_tINSF_14equal_to_valueISA_EEEEEEE10hipError_tPvRmT3_T4_T5_T6_T7_T9_mT8_P12ihipStream_tbDpT10_ENKUlT_T0_E_clISt17integral_constantIbLb1EES1I_IbLb0EEEEDaS1E_S1F_EUlS1E_E_NS1_11comp_targetILNS1_3genE2ELNS1_11target_archE906ELNS1_3gpuE6ELNS1_3repE0EEENS1_30default_config_static_selectorELNS0_4arch9wavefront6targetE0EEEvT1_, .Lfunc_end2033-_ZN7rocprim17ROCPRIM_400000_NS6detail17trampoline_kernelINS0_14default_configENS1_25partition_config_selectorILNS1_17partition_subalgoE6EN6thrust23THRUST_200600_302600_NS5tupleIiiNS7_9null_typeES9_S9_S9_S9_S9_S9_S9_EENS0_10empty_typeEbEEZZNS1_14partition_implILS5_6ELb0ES3_mNS7_12zip_iteratorINS8_INS7_6detail15normal_iteratorINS7_10device_ptrIiEEEESJ_S9_S9_S9_S9_S9_S9_S9_S9_EEEEPSB_SM_NS0_5tupleIJNSE_INS8_ISJ_NS7_16discard_iteratorINS7_11use_defaultEEES9_S9_S9_S9_S9_S9_S9_S9_EEEESB_EEENSN_IJSM_SM_EEESB_PlJNSF_9not_fun_tINSF_14equal_to_valueISA_EEEEEEE10hipError_tPvRmT3_T4_T5_T6_T7_T9_mT8_P12ihipStream_tbDpT10_ENKUlT_T0_E_clISt17integral_constantIbLb1EES1I_IbLb0EEEEDaS1E_S1F_EUlS1E_E_NS1_11comp_targetILNS1_3genE2ELNS1_11target_archE906ELNS1_3gpuE6ELNS1_3repE0EEENS1_30default_config_static_selectorELNS0_4arch9wavefront6targetE0EEEvT1_
                                        ; -- End function
	.set _ZN7rocprim17ROCPRIM_400000_NS6detail17trampoline_kernelINS0_14default_configENS1_25partition_config_selectorILNS1_17partition_subalgoE6EN6thrust23THRUST_200600_302600_NS5tupleIiiNS7_9null_typeES9_S9_S9_S9_S9_S9_S9_EENS0_10empty_typeEbEEZZNS1_14partition_implILS5_6ELb0ES3_mNS7_12zip_iteratorINS8_INS7_6detail15normal_iteratorINS7_10device_ptrIiEEEESJ_S9_S9_S9_S9_S9_S9_S9_S9_EEEEPSB_SM_NS0_5tupleIJNSE_INS8_ISJ_NS7_16discard_iteratorINS7_11use_defaultEEES9_S9_S9_S9_S9_S9_S9_S9_EEEESB_EEENSN_IJSM_SM_EEESB_PlJNSF_9not_fun_tINSF_14equal_to_valueISA_EEEEEEE10hipError_tPvRmT3_T4_T5_T6_T7_T9_mT8_P12ihipStream_tbDpT10_ENKUlT_T0_E_clISt17integral_constantIbLb1EES1I_IbLb0EEEEDaS1E_S1F_EUlS1E_E_NS1_11comp_targetILNS1_3genE2ELNS1_11target_archE906ELNS1_3gpuE6ELNS1_3repE0EEENS1_30default_config_static_selectorELNS0_4arch9wavefront6targetE0EEEvT1_.num_vgpr, 0
	.set _ZN7rocprim17ROCPRIM_400000_NS6detail17trampoline_kernelINS0_14default_configENS1_25partition_config_selectorILNS1_17partition_subalgoE6EN6thrust23THRUST_200600_302600_NS5tupleIiiNS7_9null_typeES9_S9_S9_S9_S9_S9_S9_EENS0_10empty_typeEbEEZZNS1_14partition_implILS5_6ELb0ES3_mNS7_12zip_iteratorINS8_INS7_6detail15normal_iteratorINS7_10device_ptrIiEEEESJ_S9_S9_S9_S9_S9_S9_S9_S9_EEEEPSB_SM_NS0_5tupleIJNSE_INS8_ISJ_NS7_16discard_iteratorINS7_11use_defaultEEES9_S9_S9_S9_S9_S9_S9_S9_EEEESB_EEENSN_IJSM_SM_EEESB_PlJNSF_9not_fun_tINSF_14equal_to_valueISA_EEEEEEE10hipError_tPvRmT3_T4_T5_T6_T7_T9_mT8_P12ihipStream_tbDpT10_ENKUlT_T0_E_clISt17integral_constantIbLb1EES1I_IbLb0EEEEDaS1E_S1F_EUlS1E_E_NS1_11comp_targetILNS1_3genE2ELNS1_11target_archE906ELNS1_3gpuE6ELNS1_3repE0EEENS1_30default_config_static_selectorELNS0_4arch9wavefront6targetE0EEEvT1_.num_agpr, 0
	.set _ZN7rocprim17ROCPRIM_400000_NS6detail17trampoline_kernelINS0_14default_configENS1_25partition_config_selectorILNS1_17partition_subalgoE6EN6thrust23THRUST_200600_302600_NS5tupleIiiNS7_9null_typeES9_S9_S9_S9_S9_S9_S9_EENS0_10empty_typeEbEEZZNS1_14partition_implILS5_6ELb0ES3_mNS7_12zip_iteratorINS8_INS7_6detail15normal_iteratorINS7_10device_ptrIiEEEESJ_S9_S9_S9_S9_S9_S9_S9_S9_EEEEPSB_SM_NS0_5tupleIJNSE_INS8_ISJ_NS7_16discard_iteratorINS7_11use_defaultEEES9_S9_S9_S9_S9_S9_S9_S9_EEEESB_EEENSN_IJSM_SM_EEESB_PlJNSF_9not_fun_tINSF_14equal_to_valueISA_EEEEEEE10hipError_tPvRmT3_T4_T5_T6_T7_T9_mT8_P12ihipStream_tbDpT10_ENKUlT_T0_E_clISt17integral_constantIbLb1EES1I_IbLb0EEEEDaS1E_S1F_EUlS1E_E_NS1_11comp_targetILNS1_3genE2ELNS1_11target_archE906ELNS1_3gpuE6ELNS1_3repE0EEENS1_30default_config_static_selectorELNS0_4arch9wavefront6targetE0EEEvT1_.numbered_sgpr, 0
	.set _ZN7rocprim17ROCPRIM_400000_NS6detail17trampoline_kernelINS0_14default_configENS1_25partition_config_selectorILNS1_17partition_subalgoE6EN6thrust23THRUST_200600_302600_NS5tupleIiiNS7_9null_typeES9_S9_S9_S9_S9_S9_S9_EENS0_10empty_typeEbEEZZNS1_14partition_implILS5_6ELb0ES3_mNS7_12zip_iteratorINS8_INS7_6detail15normal_iteratorINS7_10device_ptrIiEEEESJ_S9_S9_S9_S9_S9_S9_S9_S9_EEEEPSB_SM_NS0_5tupleIJNSE_INS8_ISJ_NS7_16discard_iteratorINS7_11use_defaultEEES9_S9_S9_S9_S9_S9_S9_S9_EEEESB_EEENSN_IJSM_SM_EEESB_PlJNSF_9not_fun_tINSF_14equal_to_valueISA_EEEEEEE10hipError_tPvRmT3_T4_T5_T6_T7_T9_mT8_P12ihipStream_tbDpT10_ENKUlT_T0_E_clISt17integral_constantIbLb1EES1I_IbLb0EEEEDaS1E_S1F_EUlS1E_E_NS1_11comp_targetILNS1_3genE2ELNS1_11target_archE906ELNS1_3gpuE6ELNS1_3repE0EEENS1_30default_config_static_selectorELNS0_4arch9wavefront6targetE0EEEvT1_.num_named_barrier, 0
	.set _ZN7rocprim17ROCPRIM_400000_NS6detail17trampoline_kernelINS0_14default_configENS1_25partition_config_selectorILNS1_17partition_subalgoE6EN6thrust23THRUST_200600_302600_NS5tupleIiiNS7_9null_typeES9_S9_S9_S9_S9_S9_S9_EENS0_10empty_typeEbEEZZNS1_14partition_implILS5_6ELb0ES3_mNS7_12zip_iteratorINS8_INS7_6detail15normal_iteratorINS7_10device_ptrIiEEEESJ_S9_S9_S9_S9_S9_S9_S9_S9_EEEEPSB_SM_NS0_5tupleIJNSE_INS8_ISJ_NS7_16discard_iteratorINS7_11use_defaultEEES9_S9_S9_S9_S9_S9_S9_S9_EEEESB_EEENSN_IJSM_SM_EEESB_PlJNSF_9not_fun_tINSF_14equal_to_valueISA_EEEEEEE10hipError_tPvRmT3_T4_T5_T6_T7_T9_mT8_P12ihipStream_tbDpT10_ENKUlT_T0_E_clISt17integral_constantIbLb1EES1I_IbLb0EEEEDaS1E_S1F_EUlS1E_E_NS1_11comp_targetILNS1_3genE2ELNS1_11target_archE906ELNS1_3gpuE6ELNS1_3repE0EEENS1_30default_config_static_selectorELNS0_4arch9wavefront6targetE0EEEvT1_.private_seg_size, 0
	.set _ZN7rocprim17ROCPRIM_400000_NS6detail17trampoline_kernelINS0_14default_configENS1_25partition_config_selectorILNS1_17partition_subalgoE6EN6thrust23THRUST_200600_302600_NS5tupleIiiNS7_9null_typeES9_S9_S9_S9_S9_S9_S9_EENS0_10empty_typeEbEEZZNS1_14partition_implILS5_6ELb0ES3_mNS7_12zip_iteratorINS8_INS7_6detail15normal_iteratorINS7_10device_ptrIiEEEESJ_S9_S9_S9_S9_S9_S9_S9_S9_EEEEPSB_SM_NS0_5tupleIJNSE_INS8_ISJ_NS7_16discard_iteratorINS7_11use_defaultEEES9_S9_S9_S9_S9_S9_S9_S9_EEEESB_EEENSN_IJSM_SM_EEESB_PlJNSF_9not_fun_tINSF_14equal_to_valueISA_EEEEEEE10hipError_tPvRmT3_T4_T5_T6_T7_T9_mT8_P12ihipStream_tbDpT10_ENKUlT_T0_E_clISt17integral_constantIbLb1EES1I_IbLb0EEEEDaS1E_S1F_EUlS1E_E_NS1_11comp_targetILNS1_3genE2ELNS1_11target_archE906ELNS1_3gpuE6ELNS1_3repE0EEENS1_30default_config_static_selectorELNS0_4arch9wavefront6targetE0EEEvT1_.uses_vcc, 0
	.set _ZN7rocprim17ROCPRIM_400000_NS6detail17trampoline_kernelINS0_14default_configENS1_25partition_config_selectorILNS1_17partition_subalgoE6EN6thrust23THRUST_200600_302600_NS5tupleIiiNS7_9null_typeES9_S9_S9_S9_S9_S9_S9_EENS0_10empty_typeEbEEZZNS1_14partition_implILS5_6ELb0ES3_mNS7_12zip_iteratorINS8_INS7_6detail15normal_iteratorINS7_10device_ptrIiEEEESJ_S9_S9_S9_S9_S9_S9_S9_S9_EEEEPSB_SM_NS0_5tupleIJNSE_INS8_ISJ_NS7_16discard_iteratorINS7_11use_defaultEEES9_S9_S9_S9_S9_S9_S9_S9_EEEESB_EEENSN_IJSM_SM_EEESB_PlJNSF_9not_fun_tINSF_14equal_to_valueISA_EEEEEEE10hipError_tPvRmT3_T4_T5_T6_T7_T9_mT8_P12ihipStream_tbDpT10_ENKUlT_T0_E_clISt17integral_constantIbLb1EES1I_IbLb0EEEEDaS1E_S1F_EUlS1E_E_NS1_11comp_targetILNS1_3genE2ELNS1_11target_archE906ELNS1_3gpuE6ELNS1_3repE0EEENS1_30default_config_static_selectorELNS0_4arch9wavefront6targetE0EEEvT1_.uses_flat_scratch, 0
	.set _ZN7rocprim17ROCPRIM_400000_NS6detail17trampoline_kernelINS0_14default_configENS1_25partition_config_selectorILNS1_17partition_subalgoE6EN6thrust23THRUST_200600_302600_NS5tupleIiiNS7_9null_typeES9_S9_S9_S9_S9_S9_S9_EENS0_10empty_typeEbEEZZNS1_14partition_implILS5_6ELb0ES3_mNS7_12zip_iteratorINS8_INS7_6detail15normal_iteratorINS7_10device_ptrIiEEEESJ_S9_S9_S9_S9_S9_S9_S9_S9_EEEEPSB_SM_NS0_5tupleIJNSE_INS8_ISJ_NS7_16discard_iteratorINS7_11use_defaultEEES9_S9_S9_S9_S9_S9_S9_S9_EEEESB_EEENSN_IJSM_SM_EEESB_PlJNSF_9not_fun_tINSF_14equal_to_valueISA_EEEEEEE10hipError_tPvRmT3_T4_T5_T6_T7_T9_mT8_P12ihipStream_tbDpT10_ENKUlT_T0_E_clISt17integral_constantIbLb1EES1I_IbLb0EEEEDaS1E_S1F_EUlS1E_E_NS1_11comp_targetILNS1_3genE2ELNS1_11target_archE906ELNS1_3gpuE6ELNS1_3repE0EEENS1_30default_config_static_selectorELNS0_4arch9wavefront6targetE0EEEvT1_.has_dyn_sized_stack, 0
	.set _ZN7rocprim17ROCPRIM_400000_NS6detail17trampoline_kernelINS0_14default_configENS1_25partition_config_selectorILNS1_17partition_subalgoE6EN6thrust23THRUST_200600_302600_NS5tupleIiiNS7_9null_typeES9_S9_S9_S9_S9_S9_S9_EENS0_10empty_typeEbEEZZNS1_14partition_implILS5_6ELb0ES3_mNS7_12zip_iteratorINS8_INS7_6detail15normal_iteratorINS7_10device_ptrIiEEEESJ_S9_S9_S9_S9_S9_S9_S9_S9_EEEEPSB_SM_NS0_5tupleIJNSE_INS8_ISJ_NS7_16discard_iteratorINS7_11use_defaultEEES9_S9_S9_S9_S9_S9_S9_S9_EEEESB_EEENSN_IJSM_SM_EEESB_PlJNSF_9not_fun_tINSF_14equal_to_valueISA_EEEEEEE10hipError_tPvRmT3_T4_T5_T6_T7_T9_mT8_P12ihipStream_tbDpT10_ENKUlT_T0_E_clISt17integral_constantIbLb1EES1I_IbLb0EEEEDaS1E_S1F_EUlS1E_E_NS1_11comp_targetILNS1_3genE2ELNS1_11target_archE906ELNS1_3gpuE6ELNS1_3repE0EEENS1_30default_config_static_selectorELNS0_4arch9wavefront6targetE0EEEvT1_.has_recursion, 0
	.set _ZN7rocprim17ROCPRIM_400000_NS6detail17trampoline_kernelINS0_14default_configENS1_25partition_config_selectorILNS1_17partition_subalgoE6EN6thrust23THRUST_200600_302600_NS5tupleIiiNS7_9null_typeES9_S9_S9_S9_S9_S9_S9_EENS0_10empty_typeEbEEZZNS1_14partition_implILS5_6ELb0ES3_mNS7_12zip_iteratorINS8_INS7_6detail15normal_iteratorINS7_10device_ptrIiEEEESJ_S9_S9_S9_S9_S9_S9_S9_S9_EEEEPSB_SM_NS0_5tupleIJNSE_INS8_ISJ_NS7_16discard_iteratorINS7_11use_defaultEEES9_S9_S9_S9_S9_S9_S9_S9_EEEESB_EEENSN_IJSM_SM_EEESB_PlJNSF_9not_fun_tINSF_14equal_to_valueISA_EEEEEEE10hipError_tPvRmT3_T4_T5_T6_T7_T9_mT8_P12ihipStream_tbDpT10_ENKUlT_T0_E_clISt17integral_constantIbLb1EES1I_IbLb0EEEEDaS1E_S1F_EUlS1E_E_NS1_11comp_targetILNS1_3genE2ELNS1_11target_archE906ELNS1_3gpuE6ELNS1_3repE0EEENS1_30default_config_static_selectorELNS0_4arch9wavefront6targetE0EEEvT1_.has_indirect_call, 0
	.section	.AMDGPU.csdata,"",@progbits
; Kernel info:
; codeLenInByte = 0
; TotalNumSgprs: 0
; NumVgprs: 0
; ScratchSize: 0
; MemoryBound: 0
; FloatMode: 240
; IeeeMode: 1
; LDSByteSize: 0 bytes/workgroup (compile time only)
; SGPRBlocks: 0
; VGPRBlocks: 0
; NumSGPRsForWavesPerEU: 1
; NumVGPRsForWavesPerEU: 1
; Occupancy: 16
; WaveLimiterHint : 0
; COMPUTE_PGM_RSRC2:SCRATCH_EN: 0
; COMPUTE_PGM_RSRC2:USER_SGPR: 2
; COMPUTE_PGM_RSRC2:TRAP_HANDLER: 0
; COMPUTE_PGM_RSRC2:TGID_X_EN: 1
; COMPUTE_PGM_RSRC2:TGID_Y_EN: 0
; COMPUTE_PGM_RSRC2:TGID_Z_EN: 0
; COMPUTE_PGM_RSRC2:TIDIG_COMP_CNT: 0
	.section	.text._ZN7rocprim17ROCPRIM_400000_NS6detail17trampoline_kernelINS0_14default_configENS1_25partition_config_selectorILNS1_17partition_subalgoE6EN6thrust23THRUST_200600_302600_NS5tupleIiiNS7_9null_typeES9_S9_S9_S9_S9_S9_S9_EENS0_10empty_typeEbEEZZNS1_14partition_implILS5_6ELb0ES3_mNS7_12zip_iteratorINS8_INS7_6detail15normal_iteratorINS7_10device_ptrIiEEEESJ_S9_S9_S9_S9_S9_S9_S9_S9_EEEEPSB_SM_NS0_5tupleIJNSE_INS8_ISJ_NS7_16discard_iteratorINS7_11use_defaultEEES9_S9_S9_S9_S9_S9_S9_S9_EEEESB_EEENSN_IJSM_SM_EEESB_PlJNSF_9not_fun_tINSF_14equal_to_valueISA_EEEEEEE10hipError_tPvRmT3_T4_T5_T6_T7_T9_mT8_P12ihipStream_tbDpT10_ENKUlT_T0_E_clISt17integral_constantIbLb1EES1I_IbLb0EEEEDaS1E_S1F_EUlS1E_E_NS1_11comp_targetILNS1_3genE10ELNS1_11target_archE1200ELNS1_3gpuE4ELNS1_3repE0EEENS1_30default_config_static_selectorELNS0_4arch9wavefront6targetE0EEEvT1_,"axG",@progbits,_ZN7rocprim17ROCPRIM_400000_NS6detail17trampoline_kernelINS0_14default_configENS1_25partition_config_selectorILNS1_17partition_subalgoE6EN6thrust23THRUST_200600_302600_NS5tupleIiiNS7_9null_typeES9_S9_S9_S9_S9_S9_S9_EENS0_10empty_typeEbEEZZNS1_14partition_implILS5_6ELb0ES3_mNS7_12zip_iteratorINS8_INS7_6detail15normal_iteratorINS7_10device_ptrIiEEEESJ_S9_S9_S9_S9_S9_S9_S9_S9_EEEEPSB_SM_NS0_5tupleIJNSE_INS8_ISJ_NS7_16discard_iteratorINS7_11use_defaultEEES9_S9_S9_S9_S9_S9_S9_S9_EEEESB_EEENSN_IJSM_SM_EEESB_PlJNSF_9not_fun_tINSF_14equal_to_valueISA_EEEEEEE10hipError_tPvRmT3_T4_T5_T6_T7_T9_mT8_P12ihipStream_tbDpT10_ENKUlT_T0_E_clISt17integral_constantIbLb1EES1I_IbLb0EEEEDaS1E_S1F_EUlS1E_E_NS1_11comp_targetILNS1_3genE10ELNS1_11target_archE1200ELNS1_3gpuE4ELNS1_3repE0EEENS1_30default_config_static_selectorELNS0_4arch9wavefront6targetE0EEEvT1_,comdat
	.protected	_ZN7rocprim17ROCPRIM_400000_NS6detail17trampoline_kernelINS0_14default_configENS1_25partition_config_selectorILNS1_17partition_subalgoE6EN6thrust23THRUST_200600_302600_NS5tupleIiiNS7_9null_typeES9_S9_S9_S9_S9_S9_S9_EENS0_10empty_typeEbEEZZNS1_14partition_implILS5_6ELb0ES3_mNS7_12zip_iteratorINS8_INS7_6detail15normal_iteratorINS7_10device_ptrIiEEEESJ_S9_S9_S9_S9_S9_S9_S9_S9_EEEEPSB_SM_NS0_5tupleIJNSE_INS8_ISJ_NS7_16discard_iteratorINS7_11use_defaultEEES9_S9_S9_S9_S9_S9_S9_S9_EEEESB_EEENSN_IJSM_SM_EEESB_PlJNSF_9not_fun_tINSF_14equal_to_valueISA_EEEEEEE10hipError_tPvRmT3_T4_T5_T6_T7_T9_mT8_P12ihipStream_tbDpT10_ENKUlT_T0_E_clISt17integral_constantIbLb1EES1I_IbLb0EEEEDaS1E_S1F_EUlS1E_E_NS1_11comp_targetILNS1_3genE10ELNS1_11target_archE1200ELNS1_3gpuE4ELNS1_3repE0EEENS1_30default_config_static_selectorELNS0_4arch9wavefront6targetE0EEEvT1_ ; -- Begin function _ZN7rocprim17ROCPRIM_400000_NS6detail17trampoline_kernelINS0_14default_configENS1_25partition_config_selectorILNS1_17partition_subalgoE6EN6thrust23THRUST_200600_302600_NS5tupleIiiNS7_9null_typeES9_S9_S9_S9_S9_S9_S9_EENS0_10empty_typeEbEEZZNS1_14partition_implILS5_6ELb0ES3_mNS7_12zip_iteratorINS8_INS7_6detail15normal_iteratorINS7_10device_ptrIiEEEESJ_S9_S9_S9_S9_S9_S9_S9_S9_EEEEPSB_SM_NS0_5tupleIJNSE_INS8_ISJ_NS7_16discard_iteratorINS7_11use_defaultEEES9_S9_S9_S9_S9_S9_S9_S9_EEEESB_EEENSN_IJSM_SM_EEESB_PlJNSF_9not_fun_tINSF_14equal_to_valueISA_EEEEEEE10hipError_tPvRmT3_T4_T5_T6_T7_T9_mT8_P12ihipStream_tbDpT10_ENKUlT_T0_E_clISt17integral_constantIbLb1EES1I_IbLb0EEEEDaS1E_S1F_EUlS1E_E_NS1_11comp_targetILNS1_3genE10ELNS1_11target_archE1200ELNS1_3gpuE4ELNS1_3repE0EEENS1_30default_config_static_selectorELNS0_4arch9wavefront6targetE0EEEvT1_
	.globl	_ZN7rocprim17ROCPRIM_400000_NS6detail17trampoline_kernelINS0_14default_configENS1_25partition_config_selectorILNS1_17partition_subalgoE6EN6thrust23THRUST_200600_302600_NS5tupleIiiNS7_9null_typeES9_S9_S9_S9_S9_S9_S9_EENS0_10empty_typeEbEEZZNS1_14partition_implILS5_6ELb0ES3_mNS7_12zip_iteratorINS8_INS7_6detail15normal_iteratorINS7_10device_ptrIiEEEESJ_S9_S9_S9_S9_S9_S9_S9_S9_EEEEPSB_SM_NS0_5tupleIJNSE_INS8_ISJ_NS7_16discard_iteratorINS7_11use_defaultEEES9_S9_S9_S9_S9_S9_S9_S9_EEEESB_EEENSN_IJSM_SM_EEESB_PlJNSF_9not_fun_tINSF_14equal_to_valueISA_EEEEEEE10hipError_tPvRmT3_T4_T5_T6_T7_T9_mT8_P12ihipStream_tbDpT10_ENKUlT_T0_E_clISt17integral_constantIbLb1EES1I_IbLb0EEEEDaS1E_S1F_EUlS1E_E_NS1_11comp_targetILNS1_3genE10ELNS1_11target_archE1200ELNS1_3gpuE4ELNS1_3repE0EEENS1_30default_config_static_selectorELNS0_4arch9wavefront6targetE0EEEvT1_
	.p2align	8
	.type	_ZN7rocprim17ROCPRIM_400000_NS6detail17trampoline_kernelINS0_14default_configENS1_25partition_config_selectorILNS1_17partition_subalgoE6EN6thrust23THRUST_200600_302600_NS5tupleIiiNS7_9null_typeES9_S9_S9_S9_S9_S9_S9_EENS0_10empty_typeEbEEZZNS1_14partition_implILS5_6ELb0ES3_mNS7_12zip_iteratorINS8_INS7_6detail15normal_iteratorINS7_10device_ptrIiEEEESJ_S9_S9_S9_S9_S9_S9_S9_S9_EEEEPSB_SM_NS0_5tupleIJNSE_INS8_ISJ_NS7_16discard_iteratorINS7_11use_defaultEEES9_S9_S9_S9_S9_S9_S9_S9_EEEESB_EEENSN_IJSM_SM_EEESB_PlJNSF_9not_fun_tINSF_14equal_to_valueISA_EEEEEEE10hipError_tPvRmT3_T4_T5_T6_T7_T9_mT8_P12ihipStream_tbDpT10_ENKUlT_T0_E_clISt17integral_constantIbLb1EES1I_IbLb0EEEEDaS1E_S1F_EUlS1E_E_NS1_11comp_targetILNS1_3genE10ELNS1_11target_archE1200ELNS1_3gpuE4ELNS1_3repE0EEENS1_30default_config_static_selectorELNS0_4arch9wavefront6targetE0EEEvT1_,@function
_ZN7rocprim17ROCPRIM_400000_NS6detail17trampoline_kernelINS0_14default_configENS1_25partition_config_selectorILNS1_17partition_subalgoE6EN6thrust23THRUST_200600_302600_NS5tupleIiiNS7_9null_typeES9_S9_S9_S9_S9_S9_S9_EENS0_10empty_typeEbEEZZNS1_14partition_implILS5_6ELb0ES3_mNS7_12zip_iteratorINS8_INS7_6detail15normal_iteratorINS7_10device_ptrIiEEEESJ_S9_S9_S9_S9_S9_S9_S9_S9_EEEEPSB_SM_NS0_5tupleIJNSE_INS8_ISJ_NS7_16discard_iteratorINS7_11use_defaultEEES9_S9_S9_S9_S9_S9_S9_S9_EEEESB_EEENSN_IJSM_SM_EEESB_PlJNSF_9not_fun_tINSF_14equal_to_valueISA_EEEEEEE10hipError_tPvRmT3_T4_T5_T6_T7_T9_mT8_P12ihipStream_tbDpT10_ENKUlT_T0_E_clISt17integral_constantIbLb1EES1I_IbLb0EEEEDaS1E_S1F_EUlS1E_E_NS1_11comp_targetILNS1_3genE10ELNS1_11target_archE1200ELNS1_3gpuE4ELNS1_3repE0EEENS1_30default_config_static_selectorELNS0_4arch9wavefront6targetE0EEEvT1_: ; @_ZN7rocprim17ROCPRIM_400000_NS6detail17trampoline_kernelINS0_14default_configENS1_25partition_config_selectorILNS1_17partition_subalgoE6EN6thrust23THRUST_200600_302600_NS5tupleIiiNS7_9null_typeES9_S9_S9_S9_S9_S9_S9_EENS0_10empty_typeEbEEZZNS1_14partition_implILS5_6ELb0ES3_mNS7_12zip_iteratorINS8_INS7_6detail15normal_iteratorINS7_10device_ptrIiEEEESJ_S9_S9_S9_S9_S9_S9_S9_S9_EEEEPSB_SM_NS0_5tupleIJNSE_INS8_ISJ_NS7_16discard_iteratorINS7_11use_defaultEEES9_S9_S9_S9_S9_S9_S9_S9_EEEESB_EEENSN_IJSM_SM_EEESB_PlJNSF_9not_fun_tINSF_14equal_to_valueISA_EEEEEEE10hipError_tPvRmT3_T4_T5_T6_T7_T9_mT8_P12ihipStream_tbDpT10_ENKUlT_T0_E_clISt17integral_constantIbLb1EES1I_IbLb0EEEEDaS1E_S1F_EUlS1E_E_NS1_11comp_targetILNS1_3genE10ELNS1_11target_archE1200ELNS1_3gpuE4ELNS1_3repE0EEENS1_30default_config_static_selectorELNS0_4arch9wavefront6targetE0EEEvT1_
; %bb.0:
	s_endpgm
	.section	.rodata,"a",@progbits
	.p2align	6, 0x0
	.amdhsa_kernel _ZN7rocprim17ROCPRIM_400000_NS6detail17trampoline_kernelINS0_14default_configENS1_25partition_config_selectorILNS1_17partition_subalgoE6EN6thrust23THRUST_200600_302600_NS5tupleIiiNS7_9null_typeES9_S9_S9_S9_S9_S9_S9_EENS0_10empty_typeEbEEZZNS1_14partition_implILS5_6ELb0ES3_mNS7_12zip_iteratorINS8_INS7_6detail15normal_iteratorINS7_10device_ptrIiEEEESJ_S9_S9_S9_S9_S9_S9_S9_S9_EEEEPSB_SM_NS0_5tupleIJNSE_INS8_ISJ_NS7_16discard_iteratorINS7_11use_defaultEEES9_S9_S9_S9_S9_S9_S9_S9_EEEESB_EEENSN_IJSM_SM_EEESB_PlJNSF_9not_fun_tINSF_14equal_to_valueISA_EEEEEEE10hipError_tPvRmT3_T4_T5_T6_T7_T9_mT8_P12ihipStream_tbDpT10_ENKUlT_T0_E_clISt17integral_constantIbLb1EES1I_IbLb0EEEEDaS1E_S1F_EUlS1E_E_NS1_11comp_targetILNS1_3genE10ELNS1_11target_archE1200ELNS1_3gpuE4ELNS1_3repE0EEENS1_30default_config_static_selectorELNS0_4arch9wavefront6targetE0EEEvT1_
		.amdhsa_group_segment_fixed_size 0
		.amdhsa_private_segment_fixed_size 0
		.amdhsa_kernarg_size 144
		.amdhsa_user_sgpr_count 2
		.amdhsa_user_sgpr_dispatch_ptr 0
		.amdhsa_user_sgpr_queue_ptr 0
		.amdhsa_user_sgpr_kernarg_segment_ptr 1
		.amdhsa_user_sgpr_dispatch_id 0
		.amdhsa_user_sgpr_private_segment_size 0
		.amdhsa_wavefront_size32 1
		.amdhsa_uses_dynamic_stack 0
		.amdhsa_enable_private_segment 0
		.amdhsa_system_sgpr_workgroup_id_x 1
		.amdhsa_system_sgpr_workgroup_id_y 0
		.amdhsa_system_sgpr_workgroup_id_z 0
		.amdhsa_system_sgpr_workgroup_info 0
		.amdhsa_system_vgpr_workitem_id 0
		.amdhsa_next_free_vgpr 1
		.amdhsa_next_free_sgpr 1
		.amdhsa_reserve_vcc 0
		.amdhsa_float_round_mode_32 0
		.amdhsa_float_round_mode_16_64 0
		.amdhsa_float_denorm_mode_32 3
		.amdhsa_float_denorm_mode_16_64 3
		.amdhsa_fp16_overflow 0
		.amdhsa_workgroup_processor_mode 1
		.amdhsa_memory_ordered 1
		.amdhsa_forward_progress 1
		.amdhsa_inst_pref_size 1
		.amdhsa_round_robin_scheduling 0
		.amdhsa_exception_fp_ieee_invalid_op 0
		.amdhsa_exception_fp_denorm_src 0
		.amdhsa_exception_fp_ieee_div_zero 0
		.amdhsa_exception_fp_ieee_overflow 0
		.amdhsa_exception_fp_ieee_underflow 0
		.amdhsa_exception_fp_ieee_inexact 0
		.amdhsa_exception_int_div_zero 0
	.end_amdhsa_kernel
	.section	.text._ZN7rocprim17ROCPRIM_400000_NS6detail17trampoline_kernelINS0_14default_configENS1_25partition_config_selectorILNS1_17partition_subalgoE6EN6thrust23THRUST_200600_302600_NS5tupleIiiNS7_9null_typeES9_S9_S9_S9_S9_S9_S9_EENS0_10empty_typeEbEEZZNS1_14partition_implILS5_6ELb0ES3_mNS7_12zip_iteratorINS8_INS7_6detail15normal_iteratorINS7_10device_ptrIiEEEESJ_S9_S9_S9_S9_S9_S9_S9_S9_EEEEPSB_SM_NS0_5tupleIJNSE_INS8_ISJ_NS7_16discard_iteratorINS7_11use_defaultEEES9_S9_S9_S9_S9_S9_S9_S9_EEEESB_EEENSN_IJSM_SM_EEESB_PlJNSF_9not_fun_tINSF_14equal_to_valueISA_EEEEEEE10hipError_tPvRmT3_T4_T5_T6_T7_T9_mT8_P12ihipStream_tbDpT10_ENKUlT_T0_E_clISt17integral_constantIbLb1EES1I_IbLb0EEEEDaS1E_S1F_EUlS1E_E_NS1_11comp_targetILNS1_3genE10ELNS1_11target_archE1200ELNS1_3gpuE4ELNS1_3repE0EEENS1_30default_config_static_selectorELNS0_4arch9wavefront6targetE0EEEvT1_,"axG",@progbits,_ZN7rocprim17ROCPRIM_400000_NS6detail17trampoline_kernelINS0_14default_configENS1_25partition_config_selectorILNS1_17partition_subalgoE6EN6thrust23THRUST_200600_302600_NS5tupleIiiNS7_9null_typeES9_S9_S9_S9_S9_S9_S9_EENS0_10empty_typeEbEEZZNS1_14partition_implILS5_6ELb0ES3_mNS7_12zip_iteratorINS8_INS7_6detail15normal_iteratorINS7_10device_ptrIiEEEESJ_S9_S9_S9_S9_S9_S9_S9_S9_EEEEPSB_SM_NS0_5tupleIJNSE_INS8_ISJ_NS7_16discard_iteratorINS7_11use_defaultEEES9_S9_S9_S9_S9_S9_S9_S9_EEEESB_EEENSN_IJSM_SM_EEESB_PlJNSF_9not_fun_tINSF_14equal_to_valueISA_EEEEEEE10hipError_tPvRmT3_T4_T5_T6_T7_T9_mT8_P12ihipStream_tbDpT10_ENKUlT_T0_E_clISt17integral_constantIbLb1EES1I_IbLb0EEEEDaS1E_S1F_EUlS1E_E_NS1_11comp_targetILNS1_3genE10ELNS1_11target_archE1200ELNS1_3gpuE4ELNS1_3repE0EEENS1_30default_config_static_selectorELNS0_4arch9wavefront6targetE0EEEvT1_,comdat
.Lfunc_end2034:
	.size	_ZN7rocprim17ROCPRIM_400000_NS6detail17trampoline_kernelINS0_14default_configENS1_25partition_config_selectorILNS1_17partition_subalgoE6EN6thrust23THRUST_200600_302600_NS5tupleIiiNS7_9null_typeES9_S9_S9_S9_S9_S9_S9_EENS0_10empty_typeEbEEZZNS1_14partition_implILS5_6ELb0ES3_mNS7_12zip_iteratorINS8_INS7_6detail15normal_iteratorINS7_10device_ptrIiEEEESJ_S9_S9_S9_S9_S9_S9_S9_S9_EEEEPSB_SM_NS0_5tupleIJNSE_INS8_ISJ_NS7_16discard_iteratorINS7_11use_defaultEEES9_S9_S9_S9_S9_S9_S9_S9_EEEESB_EEENSN_IJSM_SM_EEESB_PlJNSF_9not_fun_tINSF_14equal_to_valueISA_EEEEEEE10hipError_tPvRmT3_T4_T5_T6_T7_T9_mT8_P12ihipStream_tbDpT10_ENKUlT_T0_E_clISt17integral_constantIbLb1EES1I_IbLb0EEEEDaS1E_S1F_EUlS1E_E_NS1_11comp_targetILNS1_3genE10ELNS1_11target_archE1200ELNS1_3gpuE4ELNS1_3repE0EEENS1_30default_config_static_selectorELNS0_4arch9wavefront6targetE0EEEvT1_, .Lfunc_end2034-_ZN7rocprim17ROCPRIM_400000_NS6detail17trampoline_kernelINS0_14default_configENS1_25partition_config_selectorILNS1_17partition_subalgoE6EN6thrust23THRUST_200600_302600_NS5tupleIiiNS7_9null_typeES9_S9_S9_S9_S9_S9_S9_EENS0_10empty_typeEbEEZZNS1_14partition_implILS5_6ELb0ES3_mNS7_12zip_iteratorINS8_INS7_6detail15normal_iteratorINS7_10device_ptrIiEEEESJ_S9_S9_S9_S9_S9_S9_S9_S9_EEEEPSB_SM_NS0_5tupleIJNSE_INS8_ISJ_NS7_16discard_iteratorINS7_11use_defaultEEES9_S9_S9_S9_S9_S9_S9_S9_EEEESB_EEENSN_IJSM_SM_EEESB_PlJNSF_9not_fun_tINSF_14equal_to_valueISA_EEEEEEE10hipError_tPvRmT3_T4_T5_T6_T7_T9_mT8_P12ihipStream_tbDpT10_ENKUlT_T0_E_clISt17integral_constantIbLb1EES1I_IbLb0EEEEDaS1E_S1F_EUlS1E_E_NS1_11comp_targetILNS1_3genE10ELNS1_11target_archE1200ELNS1_3gpuE4ELNS1_3repE0EEENS1_30default_config_static_selectorELNS0_4arch9wavefront6targetE0EEEvT1_
                                        ; -- End function
	.set _ZN7rocprim17ROCPRIM_400000_NS6detail17trampoline_kernelINS0_14default_configENS1_25partition_config_selectorILNS1_17partition_subalgoE6EN6thrust23THRUST_200600_302600_NS5tupleIiiNS7_9null_typeES9_S9_S9_S9_S9_S9_S9_EENS0_10empty_typeEbEEZZNS1_14partition_implILS5_6ELb0ES3_mNS7_12zip_iteratorINS8_INS7_6detail15normal_iteratorINS7_10device_ptrIiEEEESJ_S9_S9_S9_S9_S9_S9_S9_S9_EEEEPSB_SM_NS0_5tupleIJNSE_INS8_ISJ_NS7_16discard_iteratorINS7_11use_defaultEEES9_S9_S9_S9_S9_S9_S9_S9_EEEESB_EEENSN_IJSM_SM_EEESB_PlJNSF_9not_fun_tINSF_14equal_to_valueISA_EEEEEEE10hipError_tPvRmT3_T4_T5_T6_T7_T9_mT8_P12ihipStream_tbDpT10_ENKUlT_T0_E_clISt17integral_constantIbLb1EES1I_IbLb0EEEEDaS1E_S1F_EUlS1E_E_NS1_11comp_targetILNS1_3genE10ELNS1_11target_archE1200ELNS1_3gpuE4ELNS1_3repE0EEENS1_30default_config_static_selectorELNS0_4arch9wavefront6targetE0EEEvT1_.num_vgpr, 0
	.set _ZN7rocprim17ROCPRIM_400000_NS6detail17trampoline_kernelINS0_14default_configENS1_25partition_config_selectorILNS1_17partition_subalgoE6EN6thrust23THRUST_200600_302600_NS5tupleIiiNS7_9null_typeES9_S9_S9_S9_S9_S9_S9_EENS0_10empty_typeEbEEZZNS1_14partition_implILS5_6ELb0ES3_mNS7_12zip_iteratorINS8_INS7_6detail15normal_iteratorINS7_10device_ptrIiEEEESJ_S9_S9_S9_S9_S9_S9_S9_S9_EEEEPSB_SM_NS0_5tupleIJNSE_INS8_ISJ_NS7_16discard_iteratorINS7_11use_defaultEEES9_S9_S9_S9_S9_S9_S9_S9_EEEESB_EEENSN_IJSM_SM_EEESB_PlJNSF_9not_fun_tINSF_14equal_to_valueISA_EEEEEEE10hipError_tPvRmT3_T4_T5_T6_T7_T9_mT8_P12ihipStream_tbDpT10_ENKUlT_T0_E_clISt17integral_constantIbLb1EES1I_IbLb0EEEEDaS1E_S1F_EUlS1E_E_NS1_11comp_targetILNS1_3genE10ELNS1_11target_archE1200ELNS1_3gpuE4ELNS1_3repE0EEENS1_30default_config_static_selectorELNS0_4arch9wavefront6targetE0EEEvT1_.num_agpr, 0
	.set _ZN7rocprim17ROCPRIM_400000_NS6detail17trampoline_kernelINS0_14default_configENS1_25partition_config_selectorILNS1_17partition_subalgoE6EN6thrust23THRUST_200600_302600_NS5tupleIiiNS7_9null_typeES9_S9_S9_S9_S9_S9_S9_EENS0_10empty_typeEbEEZZNS1_14partition_implILS5_6ELb0ES3_mNS7_12zip_iteratorINS8_INS7_6detail15normal_iteratorINS7_10device_ptrIiEEEESJ_S9_S9_S9_S9_S9_S9_S9_S9_EEEEPSB_SM_NS0_5tupleIJNSE_INS8_ISJ_NS7_16discard_iteratorINS7_11use_defaultEEES9_S9_S9_S9_S9_S9_S9_S9_EEEESB_EEENSN_IJSM_SM_EEESB_PlJNSF_9not_fun_tINSF_14equal_to_valueISA_EEEEEEE10hipError_tPvRmT3_T4_T5_T6_T7_T9_mT8_P12ihipStream_tbDpT10_ENKUlT_T0_E_clISt17integral_constantIbLb1EES1I_IbLb0EEEEDaS1E_S1F_EUlS1E_E_NS1_11comp_targetILNS1_3genE10ELNS1_11target_archE1200ELNS1_3gpuE4ELNS1_3repE0EEENS1_30default_config_static_selectorELNS0_4arch9wavefront6targetE0EEEvT1_.numbered_sgpr, 0
	.set _ZN7rocprim17ROCPRIM_400000_NS6detail17trampoline_kernelINS0_14default_configENS1_25partition_config_selectorILNS1_17partition_subalgoE6EN6thrust23THRUST_200600_302600_NS5tupleIiiNS7_9null_typeES9_S9_S9_S9_S9_S9_S9_EENS0_10empty_typeEbEEZZNS1_14partition_implILS5_6ELb0ES3_mNS7_12zip_iteratorINS8_INS7_6detail15normal_iteratorINS7_10device_ptrIiEEEESJ_S9_S9_S9_S9_S9_S9_S9_S9_EEEEPSB_SM_NS0_5tupleIJNSE_INS8_ISJ_NS7_16discard_iteratorINS7_11use_defaultEEES9_S9_S9_S9_S9_S9_S9_S9_EEEESB_EEENSN_IJSM_SM_EEESB_PlJNSF_9not_fun_tINSF_14equal_to_valueISA_EEEEEEE10hipError_tPvRmT3_T4_T5_T6_T7_T9_mT8_P12ihipStream_tbDpT10_ENKUlT_T0_E_clISt17integral_constantIbLb1EES1I_IbLb0EEEEDaS1E_S1F_EUlS1E_E_NS1_11comp_targetILNS1_3genE10ELNS1_11target_archE1200ELNS1_3gpuE4ELNS1_3repE0EEENS1_30default_config_static_selectorELNS0_4arch9wavefront6targetE0EEEvT1_.num_named_barrier, 0
	.set _ZN7rocprim17ROCPRIM_400000_NS6detail17trampoline_kernelINS0_14default_configENS1_25partition_config_selectorILNS1_17partition_subalgoE6EN6thrust23THRUST_200600_302600_NS5tupleIiiNS7_9null_typeES9_S9_S9_S9_S9_S9_S9_EENS0_10empty_typeEbEEZZNS1_14partition_implILS5_6ELb0ES3_mNS7_12zip_iteratorINS8_INS7_6detail15normal_iteratorINS7_10device_ptrIiEEEESJ_S9_S9_S9_S9_S9_S9_S9_S9_EEEEPSB_SM_NS0_5tupleIJNSE_INS8_ISJ_NS7_16discard_iteratorINS7_11use_defaultEEES9_S9_S9_S9_S9_S9_S9_S9_EEEESB_EEENSN_IJSM_SM_EEESB_PlJNSF_9not_fun_tINSF_14equal_to_valueISA_EEEEEEE10hipError_tPvRmT3_T4_T5_T6_T7_T9_mT8_P12ihipStream_tbDpT10_ENKUlT_T0_E_clISt17integral_constantIbLb1EES1I_IbLb0EEEEDaS1E_S1F_EUlS1E_E_NS1_11comp_targetILNS1_3genE10ELNS1_11target_archE1200ELNS1_3gpuE4ELNS1_3repE0EEENS1_30default_config_static_selectorELNS0_4arch9wavefront6targetE0EEEvT1_.private_seg_size, 0
	.set _ZN7rocprim17ROCPRIM_400000_NS6detail17trampoline_kernelINS0_14default_configENS1_25partition_config_selectorILNS1_17partition_subalgoE6EN6thrust23THRUST_200600_302600_NS5tupleIiiNS7_9null_typeES9_S9_S9_S9_S9_S9_S9_EENS0_10empty_typeEbEEZZNS1_14partition_implILS5_6ELb0ES3_mNS7_12zip_iteratorINS8_INS7_6detail15normal_iteratorINS7_10device_ptrIiEEEESJ_S9_S9_S9_S9_S9_S9_S9_S9_EEEEPSB_SM_NS0_5tupleIJNSE_INS8_ISJ_NS7_16discard_iteratorINS7_11use_defaultEEES9_S9_S9_S9_S9_S9_S9_S9_EEEESB_EEENSN_IJSM_SM_EEESB_PlJNSF_9not_fun_tINSF_14equal_to_valueISA_EEEEEEE10hipError_tPvRmT3_T4_T5_T6_T7_T9_mT8_P12ihipStream_tbDpT10_ENKUlT_T0_E_clISt17integral_constantIbLb1EES1I_IbLb0EEEEDaS1E_S1F_EUlS1E_E_NS1_11comp_targetILNS1_3genE10ELNS1_11target_archE1200ELNS1_3gpuE4ELNS1_3repE0EEENS1_30default_config_static_selectorELNS0_4arch9wavefront6targetE0EEEvT1_.uses_vcc, 0
	.set _ZN7rocprim17ROCPRIM_400000_NS6detail17trampoline_kernelINS0_14default_configENS1_25partition_config_selectorILNS1_17partition_subalgoE6EN6thrust23THRUST_200600_302600_NS5tupleIiiNS7_9null_typeES9_S9_S9_S9_S9_S9_S9_EENS0_10empty_typeEbEEZZNS1_14partition_implILS5_6ELb0ES3_mNS7_12zip_iteratorINS8_INS7_6detail15normal_iteratorINS7_10device_ptrIiEEEESJ_S9_S9_S9_S9_S9_S9_S9_S9_EEEEPSB_SM_NS0_5tupleIJNSE_INS8_ISJ_NS7_16discard_iteratorINS7_11use_defaultEEES9_S9_S9_S9_S9_S9_S9_S9_EEEESB_EEENSN_IJSM_SM_EEESB_PlJNSF_9not_fun_tINSF_14equal_to_valueISA_EEEEEEE10hipError_tPvRmT3_T4_T5_T6_T7_T9_mT8_P12ihipStream_tbDpT10_ENKUlT_T0_E_clISt17integral_constantIbLb1EES1I_IbLb0EEEEDaS1E_S1F_EUlS1E_E_NS1_11comp_targetILNS1_3genE10ELNS1_11target_archE1200ELNS1_3gpuE4ELNS1_3repE0EEENS1_30default_config_static_selectorELNS0_4arch9wavefront6targetE0EEEvT1_.uses_flat_scratch, 0
	.set _ZN7rocprim17ROCPRIM_400000_NS6detail17trampoline_kernelINS0_14default_configENS1_25partition_config_selectorILNS1_17partition_subalgoE6EN6thrust23THRUST_200600_302600_NS5tupleIiiNS7_9null_typeES9_S9_S9_S9_S9_S9_S9_EENS0_10empty_typeEbEEZZNS1_14partition_implILS5_6ELb0ES3_mNS7_12zip_iteratorINS8_INS7_6detail15normal_iteratorINS7_10device_ptrIiEEEESJ_S9_S9_S9_S9_S9_S9_S9_S9_EEEEPSB_SM_NS0_5tupleIJNSE_INS8_ISJ_NS7_16discard_iteratorINS7_11use_defaultEEES9_S9_S9_S9_S9_S9_S9_S9_EEEESB_EEENSN_IJSM_SM_EEESB_PlJNSF_9not_fun_tINSF_14equal_to_valueISA_EEEEEEE10hipError_tPvRmT3_T4_T5_T6_T7_T9_mT8_P12ihipStream_tbDpT10_ENKUlT_T0_E_clISt17integral_constantIbLb1EES1I_IbLb0EEEEDaS1E_S1F_EUlS1E_E_NS1_11comp_targetILNS1_3genE10ELNS1_11target_archE1200ELNS1_3gpuE4ELNS1_3repE0EEENS1_30default_config_static_selectorELNS0_4arch9wavefront6targetE0EEEvT1_.has_dyn_sized_stack, 0
	.set _ZN7rocprim17ROCPRIM_400000_NS6detail17trampoline_kernelINS0_14default_configENS1_25partition_config_selectorILNS1_17partition_subalgoE6EN6thrust23THRUST_200600_302600_NS5tupleIiiNS7_9null_typeES9_S9_S9_S9_S9_S9_S9_EENS0_10empty_typeEbEEZZNS1_14partition_implILS5_6ELb0ES3_mNS7_12zip_iteratorINS8_INS7_6detail15normal_iteratorINS7_10device_ptrIiEEEESJ_S9_S9_S9_S9_S9_S9_S9_S9_EEEEPSB_SM_NS0_5tupleIJNSE_INS8_ISJ_NS7_16discard_iteratorINS7_11use_defaultEEES9_S9_S9_S9_S9_S9_S9_S9_EEEESB_EEENSN_IJSM_SM_EEESB_PlJNSF_9not_fun_tINSF_14equal_to_valueISA_EEEEEEE10hipError_tPvRmT3_T4_T5_T6_T7_T9_mT8_P12ihipStream_tbDpT10_ENKUlT_T0_E_clISt17integral_constantIbLb1EES1I_IbLb0EEEEDaS1E_S1F_EUlS1E_E_NS1_11comp_targetILNS1_3genE10ELNS1_11target_archE1200ELNS1_3gpuE4ELNS1_3repE0EEENS1_30default_config_static_selectorELNS0_4arch9wavefront6targetE0EEEvT1_.has_recursion, 0
	.set _ZN7rocprim17ROCPRIM_400000_NS6detail17trampoline_kernelINS0_14default_configENS1_25partition_config_selectorILNS1_17partition_subalgoE6EN6thrust23THRUST_200600_302600_NS5tupleIiiNS7_9null_typeES9_S9_S9_S9_S9_S9_S9_EENS0_10empty_typeEbEEZZNS1_14partition_implILS5_6ELb0ES3_mNS7_12zip_iteratorINS8_INS7_6detail15normal_iteratorINS7_10device_ptrIiEEEESJ_S9_S9_S9_S9_S9_S9_S9_S9_EEEEPSB_SM_NS0_5tupleIJNSE_INS8_ISJ_NS7_16discard_iteratorINS7_11use_defaultEEES9_S9_S9_S9_S9_S9_S9_S9_EEEESB_EEENSN_IJSM_SM_EEESB_PlJNSF_9not_fun_tINSF_14equal_to_valueISA_EEEEEEE10hipError_tPvRmT3_T4_T5_T6_T7_T9_mT8_P12ihipStream_tbDpT10_ENKUlT_T0_E_clISt17integral_constantIbLb1EES1I_IbLb0EEEEDaS1E_S1F_EUlS1E_E_NS1_11comp_targetILNS1_3genE10ELNS1_11target_archE1200ELNS1_3gpuE4ELNS1_3repE0EEENS1_30default_config_static_selectorELNS0_4arch9wavefront6targetE0EEEvT1_.has_indirect_call, 0
	.section	.AMDGPU.csdata,"",@progbits
; Kernel info:
; codeLenInByte = 4
; TotalNumSgprs: 0
; NumVgprs: 0
; ScratchSize: 0
; MemoryBound: 0
; FloatMode: 240
; IeeeMode: 1
; LDSByteSize: 0 bytes/workgroup (compile time only)
; SGPRBlocks: 0
; VGPRBlocks: 0
; NumSGPRsForWavesPerEU: 1
; NumVGPRsForWavesPerEU: 1
; Occupancy: 16
; WaveLimiterHint : 0
; COMPUTE_PGM_RSRC2:SCRATCH_EN: 0
; COMPUTE_PGM_RSRC2:USER_SGPR: 2
; COMPUTE_PGM_RSRC2:TRAP_HANDLER: 0
; COMPUTE_PGM_RSRC2:TGID_X_EN: 1
; COMPUTE_PGM_RSRC2:TGID_Y_EN: 0
; COMPUTE_PGM_RSRC2:TGID_Z_EN: 0
; COMPUTE_PGM_RSRC2:TIDIG_COMP_CNT: 0
	.section	.text._ZN7rocprim17ROCPRIM_400000_NS6detail17trampoline_kernelINS0_14default_configENS1_25partition_config_selectorILNS1_17partition_subalgoE6EN6thrust23THRUST_200600_302600_NS5tupleIiiNS7_9null_typeES9_S9_S9_S9_S9_S9_S9_EENS0_10empty_typeEbEEZZNS1_14partition_implILS5_6ELb0ES3_mNS7_12zip_iteratorINS8_INS7_6detail15normal_iteratorINS7_10device_ptrIiEEEESJ_S9_S9_S9_S9_S9_S9_S9_S9_EEEEPSB_SM_NS0_5tupleIJNSE_INS8_ISJ_NS7_16discard_iteratorINS7_11use_defaultEEES9_S9_S9_S9_S9_S9_S9_S9_EEEESB_EEENSN_IJSM_SM_EEESB_PlJNSF_9not_fun_tINSF_14equal_to_valueISA_EEEEEEE10hipError_tPvRmT3_T4_T5_T6_T7_T9_mT8_P12ihipStream_tbDpT10_ENKUlT_T0_E_clISt17integral_constantIbLb1EES1I_IbLb0EEEEDaS1E_S1F_EUlS1E_E_NS1_11comp_targetILNS1_3genE9ELNS1_11target_archE1100ELNS1_3gpuE3ELNS1_3repE0EEENS1_30default_config_static_selectorELNS0_4arch9wavefront6targetE0EEEvT1_,"axG",@progbits,_ZN7rocprim17ROCPRIM_400000_NS6detail17trampoline_kernelINS0_14default_configENS1_25partition_config_selectorILNS1_17partition_subalgoE6EN6thrust23THRUST_200600_302600_NS5tupleIiiNS7_9null_typeES9_S9_S9_S9_S9_S9_S9_EENS0_10empty_typeEbEEZZNS1_14partition_implILS5_6ELb0ES3_mNS7_12zip_iteratorINS8_INS7_6detail15normal_iteratorINS7_10device_ptrIiEEEESJ_S9_S9_S9_S9_S9_S9_S9_S9_EEEEPSB_SM_NS0_5tupleIJNSE_INS8_ISJ_NS7_16discard_iteratorINS7_11use_defaultEEES9_S9_S9_S9_S9_S9_S9_S9_EEEESB_EEENSN_IJSM_SM_EEESB_PlJNSF_9not_fun_tINSF_14equal_to_valueISA_EEEEEEE10hipError_tPvRmT3_T4_T5_T6_T7_T9_mT8_P12ihipStream_tbDpT10_ENKUlT_T0_E_clISt17integral_constantIbLb1EES1I_IbLb0EEEEDaS1E_S1F_EUlS1E_E_NS1_11comp_targetILNS1_3genE9ELNS1_11target_archE1100ELNS1_3gpuE3ELNS1_3repE0EEENS1_30default_config_static_selectorELNS0_4arch9wavefront6targetE0EEEvT1_,comdat
	.protected	_ZN7rocprim17ROCPRIM_400000_NS6detail17trampoline_kernelINS0_14default_configENS1_25partition_config_selectorILNS1_17partition_subalgoE6EN6thrust23THRUST_200600_302600_NS5tupleIiiNS7_9null_typeES9_S9_S9_S9_S9_S9_S9_EENS0_10empty_typeEbEEZZNS1_14partition_implILS5_6ELb0ES3_mNS7_12zip_iteratorINS8_INS7_6detail15normal_iteratorINS7_10device_ptrIiEEEESJ_S9_S9_S9_S9_S9_S9_S9_S9_EEEEPSB_SM_NS0_5tupleIJNSE_INS8_ISJ_NS7_16discard_iteratorINS7_11use_defaultEEES9_S9_S9_S9_S9_S9_S9_S9_EEEESB_EEENSN_IJSM_SM_EEESB_PlJNSF_9not_fun_tINSF_14equal_to_valueISA_EEEEEEE10hipError_tPvRmT3_T4_T5_T6_T7_T9_mT8_P12ihipStream_tbDpT10_ENKUlT_T0_E_clISt17integral_constantIbLb1EES1I_IbLb0EEEEDaS1E_S1F_EUlS1E_E_NS1_11comp_targetILNS1_3genE9ELNS1_11target_archE1100ELNS1_3gpuE3ELNS1_3repE0EEENS1_30default_config_static_selectorELNS0_4arch9wavefront6targetE0EEEvT1_ ; -- Begin function _ZN7rocprim17ROCPRIM_400000_NS6detail17trampoline_kernelINS0_14default_configENS1_25partition_config_selectorILNS1_17partition_subalgoE6EN6thrust23THRUST_200600_302600_NS5tupleIiiNS7_9null_typeES9_S9_S9_S9_S9_S9_S9_EENS0_10empty_typeEbEEZZNS1_14partition_implILS5_6ELb0ES3_mNS7_12zip_iteratorINS8_INS7_6detail15normal_iteratorINS7_10device_ptrIiEEEESJ_S9_S9_S9_S9_S9_S9_S9_S9_EEEEPSB_SM_NS0_5tupleIJNSE_INS8_ISJ_NS7_16discard_iteratorINS7_11use_defaultEEES9_S9_S9_S9_S9_S9_S9_S9_EEEESB_EEENSN_IJSM_SM_EEESB_PlJNSF_9not_fun_tINSF_14equal_to_valueISA_EEEEEEE10hipError_tPvRmT3_T4_T5_T6_T7_T9_mT8_P12ihipStream_tbDpT10_ENKUlT_T0_E_clISt17integral_constantIbLb1EES1I_IbLb0EEEEDaS1E_S1F_EUlS1E_E_NS1_11comp_targetILNS1_3genE9ELNS1_11target_archE1100ELNS1_3gpuE3ELNS1_3repE0EEENS1_30default_config_static_selectorELNS0_4arch9wavefront6targetE0EEEvT1_
	.globl	_ZN7rocprim17ROCPRIM_400000_NS6detail17trampoline_kernelINS0_14default_configENS1_25partition_config_selectorILNS1_17partition_subalgoE6EN6thrust23THRUST_200600_302600_NS5tupleIiiNS7_9null_typeES9_S9_S9_S9_S9_S9_S9_EENS0_10empty_typeEbEEZZNS1_14partition_implILS5_6ELb0ES3_mNS7_12zip_iteratorINS8_INS7_6detail15normal_iteratorINS7_10device_ptrIiEEEESJ_S9_S9_S9_S9_S9_S9_S9_S9_EEEEPSB_SM_NS0_5tupleIJNSE_INS8_ISJ_NS7_16discard_iteratorINS7_11use_defaultEEES9_S9_S9_S9_S9_S9_S9_S9_EEEESB_EEENSN_IJSM_SM_EEESB_PlJNSF_9not_fun_tINSF_14equal_to_valueISA_EEEEEEE10hipError_tPvRmT3_T4_T5_T6_T7_T9_mT8_P12ihipStream_tbDpT10_ENKUlT_T0_E_clISt17integral_constantIbLb1EES1I_IbLb0EEEEDaS1E_S1F_EUlS1E_E_NS1_11comp_targetILNS1_3genE9ELNS1_11target_archE1100ELNS1_3gpuE3ELNS1_3repE0EEENS1_30default_config_static_selectorELNS0_4arch9wavefront6targetE0EEEvT1_
	.p2align	8
	.type	_ZN7rocprim17ROCPRIM_400000_NS6detail17trampoline_kernelINS0_14default_configENS1_25partition_config_selectorILNS1_17partition_subalgoE6EN6thrust23THRUST_200600_302600_NS5tupleIiiNS7_9null_typeES9_S9_S9_S9_S9_S9_S9_EENS0_10empty_typeEbEEZZNS1_14partition_implILS5_6ELb0ES3_mNS7_12zip_iteratorINS8_INS7_6detail15normal_iteratorINS7_10device_ptrIiEEEESJ_S9_S9_S9_S9_S9_S9_S9_S9_EEEEPSB_SM_NS0_5tupleIJNSE_INS8_ISJ_NS7_16discard_iteratorINS7_11use_defaultEEES9_S9_S9_S9_S9_S9_S9_S9_EEEESB_EEENSN_IJSM_SM_EEESB_PlJNSF_9not_fun_tINSF_14equal_to_valueISA_EEEEEEE10hipError_tPvRmT3_T4_T5_T6_T7_T9_mT8_P12ihipStream_tbDpT10_ENKUlT_T0_E_clISt17integral_constantIbLb1EES1I_IbLb0EEEEDaS1E_S1F_EUlS1E_E_NS1_11comp_targetILNS1_3genE9ELNS1_11target_archE1100ELNS1_3gpuE3ELNS1_3repE0EEENS1_30default_config_static_selectorELNS0_4arch9wavefront6targetE0EEEvT1_,@function
_ZN7rocprim17ROCPRIM_400000_NS6detail17trampoline_kernelINS0_14default_configENS1_25partition_config_selectorILNS1_17partition_subalgoE6EN6thrust23THRUST_200600_302600_NS5tupleIiiNS7_9null_typeES9_S9_S9_S9_S9_S9_S9_EENS0_10empty_typeEbEEZZNS1_14partition_implILS5_6ELb0ES3_mNS7_12zip_iteratorINS8_INS7_6detail15normal_iteratorINS7_10device_ptrIiEEEESJ_S9_S9_S9_S9_S9_S9_S9_S9_EEEEPSB_SM_NS0_5tupleIJNSE_INS8_ISJ_NS7_16discard_iteratorINS7_11use_defaultEEES9_S9_S9_S9_S9_S9_S9_S9_EEEESB_EEENSN_IJSM_SM_EEESB_PlJNSF_9not_fun_tINSF_14equal_to_valueISA_EEEEEEE10hipError_tPvRmT3_T4_T5_T6_T7_T9_mT8_P12ihipStream_tbDpT10_ENKUlT_T0_E_clISt17integral_constantIbLb1EES1I_IbLb0EEEEDaS1E_S1F_EUlS1E_E_NS1_11comp_targetILNS1_3genE9ELNS1_11target_archE1100ELNS1_3gpuE3ELNS1_3repE0EEENS1_30default_config_static_selectorELNS0_4arch9wavefront6targetE0EEEvT1_: ; @_ZN7rocprim17ROCPRIM_400000_NS6detail17trampoline_kernelINS0_14default_configENS1_25partition_config_selectorILNS1_17partition_subalgoE6EN6thrust23THRUST_200600_302600_NS5tupleIiiNS7_9null_typeES9_S9_S9_S9_S9_S9_S9_EENS0_10empty_typeEbEEZZNS1_14partition_implILS5_6ELb0ES3_mNS7_12zip_iteratorINS8_INS7_6detail15normal_iteratorINS7_10device_ptrIiEEEESJ_S9_S9_S9_S9_S9_S9_S9_S9_EEEEPSB_SM_NS0_5tupleIJNSE_INS8_ISJ_NS7_16discard_iteratorINS7_11use_defaultEEES9_S9_S9_S9_S9_S9_S9_S9_EEEESB_EEENSN_IJSM_SM_EEESB_PlJNSF_9not_fun_tINSF_14equal_to_valueISA_EEEEEEE10hipError_tPvRmT3_T4_T5_T6_T7_T9_mT8_P12ihipStream_tbDpT10_ENKUlT_T0_E_clISt17integral_constantIbLb1EES1I_IbLb0EEEEDaS1E_S1F_EUlS1E_E_NS1_11comp_targetILNS1_3genE9ELNS1_11target_archE1100ELNS1_3gpuE3ELNS1_3repE0EEENS1_30default_config_static_selectorELNS0_4arch9wavefront6targetE0EEEvT1_
; %bb.0:
	.section	.rodata,"a",@progbits
	.p2align	6, 0x0
	.amdhsa_kernel _ZN7rocprim17ROCPRIM_400000_NS6detail17trampoline_kernelINS0_14default_configENS1_25partition_config_selectorILNS1_17partition_subalgoE6EN6thrust23THRUST_200600_302600_NS5tupleIiiNS7_9null_typeES9_S9_S9_S9_S9_S9_S9_EENS0_10empty_typeEbEEZZNS1_14partition_implILS5_6ELb0ES3_mNS7_12zip_iteratorINS8_INS7_6detail15normal_iteratorINS7_10device_ptrIiEEEESJ_S9_S9_S9_S9_S9_S9_S9_S9_EEEEPSB_SM_NS0_5tupleIJNSE_INS8_ISJ_NS7_16discard_iteratorINS7_11use_defaultEEES9_S9_S9_S9_S9_S9_S9_S9_EEEESB_EEENSN_IJSM_SM_EEESB_PlJNSF_9not_fun_tINSF_14equal_to_valueISA_EEEEEEE10hipError_tPvRmT3_T4_T5_T6_T7_T9_mT8_P12ihipStream_tbDpT10_ENKUlT_T0_E_clISt17integral_constantIbLb1EES1I_IbLb0EEEEDaS1E_S1F_EUlS1E_E_NS1_11comp_targetILNS1_3genE9ELNS1_11target_archE1100ELNS1_3gpuE3ELNS1_3repE0EEENS1_30default_config_static_selectorELNS0_4arch9wavefront6targetE0EEEvT1_
		.amdhsa_group_segment_fixed_size 0
		.amdhsa_private_segment_fixed_size 0
		.amdhsa_kernarg_size 144
		.amdhsa_user_sgpr_count 2
		.amdhsa_user_sgpr_dispatch_ptr 0
		.amdhsa_user_sgpr_queue_ptr 0
		.amdhsa_user_sgpr_kernarg_segment_ptr 1
		.amdhsa_user_sgpr_dispatch_id 0
		.amdhsa_user_sgpr_private_segment_size 0
		.amdhsa_wavefront_size32 1
		.amdhsa_uses_dynamic_stack 0
		.amdhsa_enable_private_segment 0
		.amdhsa_system_sgpr_workgroup_id_x 1
		.amdhsa_system_sgpr_workgroup_id_y 0
		.amdhsa_system_sgpr_workgroup_id_z 0
		.amdhsa_system_sgpr_workgroup_info 0
		.amdhsa_system_vgpr_workitem_id 0
		.amdhsa_next_free_vgpr 1
		.amdhsa_next_free_sgpr 1
		.amdhsa_reserve_vcc 0
		.amdhsa_float_round_mode_32 0
		.amdhsa_float_round_mode_16_64 0
		.amdhsa_float_denorm_mode_32 3
		.amdhsa_float_denorm_mode_16_64 3
		.amdhsa_fp16_overflow 0
		.amdhsa_workgroup_processor_mode 1
		.amdhsa_memory_ordered 1
		.amdhsa_forward_progress 1
		.amdhsa_inst_pref_size 0
		.amdhsa_round_robin_scheduling 0
		.amdhsa_exception_fp_ieee_invalid_op 0
		.amdhsa_exception_fp_denorm_src 0
		.amdhsa_exception_fp_ieee_div_zero 0
		.amdhsa_exception_fp_ieee_overflow 0
		.amdhsa_exception_fp_ieee_underflow 0
		.amdhsa_exception_fp_ieee_inexact 0
		.amdhsa_exception_int_div_zero 0
	.end_amdhsa_kernel
	.section	.text._ZN7rocprim17ROCPRIM_400000_NS6detail17trampoline_kernelINS0_14default_configENS1_25partition_config_selectorILNS1_17partition_subalgoE6EN6thrust23THRUST_200600_302600_NS5tupleIiiNS7_9null_typeES9_S9_S9_S9_S9_S9_S9_EENS0_10empty_typeEbEEZZNS1_14partition_implILS5_6ELb0ES3_mNS7_12zip_iteratorINS8_INS7_6detail15normal_iteratorINS7_10device_ptrIiEEEESJ_S9_S9_S9_S9_S9_S9_S9_S9_EEEEPSB_SM_NS0_5tupleIJNSE_INS8_ISJ_NS7_16discard_iteratorINS7_11use_defaultEEES9_S9_S9_S9_S9_S9_S9_S9_EEEESB_EEENSN_IJSM_SM_EEESB_PlJNSF_9not_fun_tINSF_14equal_to_valueISA_EEEEEEE10hipError_tPvRmT3_T4_T5_T6_T7_T9_mT8_P12ihipStream_tbDpT10_ENKUlT_T0_E_clISt17integral_constantIbLb1EES1I_IbLb0EEEEDaS1E_S1F_EUlS1E_E_NS1_11comp_targetILNS1_3genE9ELNS1_11target_archE1100ELNS1_3gpuE3ELNS1_3repE0EEENS1_30default_config_static_selectorELNS0_4arch9wavefront6targetE0EEEvT1_,"axG",@progbits,_ZN7rocprim17ROCPRIM_400000_NS6detail17trampoline_kernelINS0_14default_configENS1_25partition_config_selectorILNS1_17partition_subalgoE6EN6thrust23THRUST_200600_302600_NS5tupleIiiNS7_9null_typeES9_S9_S9_S9_S9_S9_S9_EENS0_10empty_typeEbEEZZNS1_14partition_implILS5_6ELb0ES3_mNS7_12zip_iteratorINS8_INS7_6detail15normal_iteratorINS7_10device_ptrIiEEEESJ_S9_S9_S9_S9_S9_S9_S9_S9_EEEEPSB_SM_NS0_5tupleIJNSE_INS8_ISJ_NS7_16discard_iteratorINS7_11use_defaultEEES9_S9_S9_S9_S9_S9_S9_S9_EEEESB_EEENSN_IJSM_SM_EEESB_PlJNSF_9not_fun_tINSF_14equal_to_valueISA_EEEEEEE10hipError_tPvRmT3_T4_T5_T6_T7_T9_mT8_P12ihipStream_tbDpT10_ENKUlT_T0_E_clISt17integral_constantIbLb1EES1I_IbLb0EEEEDaS1E_S1F_EUlS1E_E_NS1_11comp_targetILNS1_3genE9ELNS1_11target_archE1100ELNS1_3gpuE3ELNS1_3repE0EEENS1_30default_config_static_selectorELNS0_4arch9wavefront6targetE0EEEvT1_,comdat
.Lfunc_end2035:
	.size	_ZN7rocprim17ROCPRIM_400000_NS6detail17trampoline_kernelINS0_14default_configENS1_25partition_config_selectorILNS1_17partition_subalgoE6EN6thrust23THRUST_200600_302600_NS5tupleIiiNS7_9null_typeES9_S9_S9_S9_S9_S9_S9_EENS0_10empty_typeEbEEZZNS1_14partition_implILS5_6ELb0ES3_mNS7_12zip_iteratorINS8_INS7_6detail15normal_iteratorINS7_10device_ptrIiEEEESJ_S9_S9_S9_S9_S9_S9_S9_S9_EEEEPSB_SM_NS0_5tupleIJNSE_INS8_ISJ_NS7_16discard_iteratorINS7_11use_defaultEEES9_S9_S9_S9_S9_S9_S9_S9_EEEESB_EEENSN_IJSM_SM_EEESB_PlJNSF_9not_fun_tINSF_14equal_to_valueISA_EEEEEEE10hipError_tPvRmT3_T4_T5_T6_T7_T9_mT8_P12ihipStream_tbDpT10_ENKUlT_T0_E_clISt17integral_constantIbLb1EES1I_IbLb0EEEEDaS1E_S1F_EUlS1E_E_NS1_11comp_targetILNS1_3genE9ELNS1_11target_archE1100ELNS1_3gpuE3ELNS1_3repE0EEENS1_30default_config_static_selectorELNS0_4arch9wavefront6targetE0EEEvT1_, .Lfunc_end2035-_ZN7rocprim17ROCPRIM_400000_NS6detail17trampoline_kernelINS0_14default_configENS1_25partition_config_selectorILNS1_17partition_subalgoE6EN6thrust23THRUST_200600_302600_NS5tupleIiiNS7_9null_typeES9_S9_S9_S9_S9_S9_S9_EENS0_10empty_typeEbEEZZNS1_14partition_implILS5_6ELb0ES3_mNS7_12zip_iteratorINS8_INS7_6detail15normal_iteratorINS7_10device_ptrIiEEEESJ_S9_S9_S9_S9_S9_S9_S9_S9_EEEEPSB_SM_NS0_5tupleIJNSE_INS8_ISJ_NS7_16discard_iteratorINS7_11use_defaultEEES9_S9_S9_S9_S9_S9_S9_S9_EEEESB_EEENSN_IJSM_SM_EEESB_PlJNSF_9not_fun_tINSF_14equal_to_valueISA_EEEEEEE10hipError_tPvRmT3_T4_T5_T6_T7_T9_mT8_P12ihipStream_tbDpT10_ENKUlT_T0_E_clISt17integral_constantIbLb1EES1I_IbLb0EEEEDaS1E_S1F_EUlS1E_E_NS1_11comp_targetILNS1_3genE9ELNS1_11target_archE1100ELNS1_3gpuE3ELNS1_3repE0EEENS1_30default_config_static_selectorELNS0_4arch9wavefront6targetE0EEEvT1_
                                        ; -- End function
	.set _ZN7rocprim17ROCPRIM_400000_NS6detail17trampoline_kernelINS0_14default_configENS1_25partition_config_selectorILNS1_17partition_subalgoE6EN6thrust23THRUST_200600_302600_NS5tupleIiiNS7_9null_typeES9_S9_S9_S9_S9_S9_S9_EENS0_10empty_typeEbEEZZNS1_14partition_implILS5_6ELb0ES3_mNS7_12zip_iteratorINS8_INS7_6detail15normal_iteratorINS7_10device_ptrIiEEEESJ_S9_S9_S9_S9_S9_S9_S9_S9_EEEEPSB_SM_NS0_5tupleIJNSE_INS8_ISJ_NS7_16discard_iteratorINS7_11use_defaultEEES9_S9_S9_S9_S9_S9_S9_S9_EEEESB_EEENSN_IJSM_SM_EEESB_PlJNSF_9not_fun_tINSF_14equal_to_valueISA_EEEEEEE10hipError_tPvRmT3_T4_T5_T6_T7_T9_mT8_P12ihipStream_tbDpT10_ENKUlT_T0_E_clISt17integral_constantIbLb1EES1I_IbLb0EEEEDaS1E_S1F_EUlS1E_E_NS1_11comp_targetILNS1_3genE9ELNS1_11target_archE1100ELNS1_3gpuE3ELNS1_3repE0EEENS1_30default_config_static_selectorELNS0_4arch9wavefront6targetE0EEEvT1_.num_vgpr, 0
	.set _ZN7rocprim17ROCPRIM_400000_NS6detail17trampoline_kernelINS0_14default_configENS1_25partition_config_selectorILNS1_17partition_subalgoE6EN6thrust23THRUST_200600_302600_NS5tupleIiiNS7_9null_typeES9_S9_S9_S9_S9_S9_S9_EENS0_10empty_typeEbEEZZNS1_14partition_implILS5_6ELb0ES3_mNS7_12zip_iteratorINS8_INS7_6detail15normal_iteratorINS7_10device_ptrIiEEEESJ_S9_S9_S9_S9_S9_S9_S9_S9_EEEEPSB_SM_NS0_5tupleIJNSE_INS8_ISJ_NS7_16discard_iteratorINS7_11use_defaultEEES9_S9_S9_S9_S9_S9_S9_S9_EEEESB_EEENSN_IJSM_SM_EEESB_PlJNSF_9not_fun_tINSF_14equal_to_valueISA_EEEEEEE10hipError_tPvRmT3_T4_T5_T6_T7_T9_mT8_P12ihipStream_tbDpT10_ENKUlT_T0_E_clISt17integral_constantIbLb1EES1I_IbLb0EEEEDaS1E_S1F_EUlS1E_E_NS1_11comp_targetILNS1_3genE9ELNS1_11target_archE1100ELNS1_3gpuE3ELNS1_3repE0EEENS1_30default_config_static_selectorELNS0_4arch9wavefront6targetE0EEEvT1_.num_agpr, 0
	.set _ZN7rocprim17ROCPRIM_400000_NS6detail17trampoline_kernelINS0_14default_configENS1_25partition_config_selectorILNS1_17partition_subalgoE6EN6thrust23THRUST_200600_302600_NS5tupleIiiNS7_9null_typeES9_S9_S9_S9_S9_S9_S9_EENS0_10empty_typeEbEEZZNS1_14partition_implILS5_6ELb0ES3_mNS7_12zip_iteratorINS8_INS7_6detail15normal_iteratorINS7_10device_ptrIiEEEESJ_S9_S9_S9_S9_S9_S9_S9_S9_EEEEPSB_SM_NS0_5tupleIJNSE_INS8_ISJ_NS7_16discard_iteratorINS7_11use_defaultEEES9_S9_S9_S9_S9_S9_S9_S9_EEEESB_EEENSN_IJSM_SM_EEESB_PlJNSF_9not_fun_tINSF_14equal_to_valueISA_EEEEEEE10hipError_tPvRmT3_T4_T5_T6_T7_T9_mT8_P12ihipStream_tbDpT10_ENKUlT_T0_E_clISt17integral_constantIbLb1EES1I_IbLb0EEEEDaS1E_S1F_EUlS1E_E_NS1_11comp_targetILNS1_3genE9ELNS1_11target_archE1100ELNS1_3gpuE3ELNS1_3repE0EEENS1_30default_config_static_selectorELNS0_4arch9wavefront6targetE0EEEvT1_.numbered_sgpr, 0
	.set _ZN7rocprim17ROCPRIM_400000_NS6detail17trampoline_kernelINS0_14default_configENS1_25partition_config_selectorILNS1_17partition_subalgoE6EN6thrust23THRUST_200600_302600_NS5tupleIiiNS7_9null_typeES9_S9_S9_S9_S9_S9_S9_EENS0_10empty_typeEbEEZZNS1_14partition_implILS5_6ELb0ES3_mNS7_12zip_iteratorINS8_INS7_6detail15normal_iteratorINS7_10device_ptrIiEEEESJ_S9_S9_S9_S9_S9_S9_S9_S9_EEEEPSB_SM_NS0_5tupleIJNSE_INS8_ISJ_NS7_16discard_iteratorINS7_11use_defaultEEES9_S9_S9_S9_S9_S9_S9_S9_EEEESB_EEENSN_IJSM_SM_EEESB_PlJNSF_9not_fun_tINSF_14equal_to_valueISA_EEEEEEE10hipError_tPvRmT3_T4_T5_T6_T7_T9_mT8_P12ihipStream_tbDpT10_ENKUlT_T0_E_clISt17integral_constantIbLb1EES1I_IbLb0EEEEDaS1E_S1F_EUlS1E_E_NS1_11comp_targetILNS1_3genE9ELNS1_11target_archE1100ELNS1_3gpuE3ELNS1_3repE0EEENS1_30default_config_static_selectorELNS0_4arch9wavefront6targetE0EEEvT1_.num_named_barrier, 0
	.set _ZN7rocprim17ROCPRIM_400000_NS6detail17trampoline_kernelINS0_14default_configENS1_25partition_config_selectorILNS1_17partition_subalgoE6EN6thrust23THRUST_200600_302600_NS5tupleIiiNS7_9null_typeES9_S9_S9_S9_S9_S9_S9_EENS0_10empty_typeEbEEZZNS1_14partition_implILS5_6ELb0ES3_mNS7_12zip_iteratorINS8_INS7_6detail15normal_iteratorINS7_10device_ptrIiEEEESJ_S9_S9_S9_S9_S9_S9_S9_S9_EEEEPSB_SM_NS0_5tupleIJNSE_INS8_ISJ_NS7_16discard_iteratorINS7_11use_defaultEEES9_S9_S9_S9_S9_S9_S9_S9_EEEESB_EEENSN_IJSM_SM_EEESB_PlJNSF_9not_fun_tINSF_14equal_to_valueISA_EEEEEEE10hipError_tPvRmT3_T4_T5_T6_T7_T9_mT8_P12ihipStream_tbDpT10_ENKUlT_T0_E_clISt17integral_constantIbLb1EES1I_IbLb0EEEEDaS1E_S1F_EUlS1E_E_NS1_11comp_targetILNS1_3genE9ELNS1_11target_archE1100ELNS1_3gpuE3ELNS1_3repE0EEENS1_30default_config_static_selectorELNS0_4arch9wavefront6targetE0EEEvT1_.private_seg_size, 0
	.set _ZN7rocprim17ROCPRIM_400000_NS6detail17trampoline_kernelINS0_14default_configENS1_25partition_config_selectorILNS1_17partition_subalgoE6EN6thrust23THRUST_200600_302600_NS5tupleIiiNS7_9null_typeES9_S9_S9_S9_S9_S9_S9_EENS0_10empty_typeEbEEZZNS1_14partition_implILS5_6ELb0ES3_mNS7_12zip_iteratorINS8_INS7_6detail15normal_iteratorINS7_10device_ptrIiEEEESJ_S9_S9_S9_S9_S9_S9_S9_S9_EEEEPSB_SM_NS0_5tupleIJNSE_INS8_ISJ_NS7_16discard_iteratorINS7_11use_defaultEEES9_S9_S9_S9_S9_S9_S9_S9_EEEESB_EEENSN_IJSM_SM_EEESB_PlJNSF_9not_fun_tINSF_14equal_to_valueISA_EEEEEEE10hipError_tPvRmT3_T4_T5_T6_T7_T9_mT8_P12ihipStream_tbDpT10_ENKUlT_T0_E_clISt17integral_constantIbLb1EES1I_IbLb0EEEEDaS1E_S1F_EUlS1E_E_NS1_11comp_targetILNS1_3genE9ELNS1_11target_archE1100ELNS1_3gpuE3ELNS1_3repE0EEENS1_30default_config_static_selectorELNS0_4arch9wavefront6targetE0EEEvT1_.uses_vcc, 0
	.set _ZN7rocprim17ROCPRIM_400000_NS6detail17trampoline_kernelINS0_14default_configENS1_25partition_config_selectorILNS1_17partition_subalgoE6EN6thrust23THRUST_200600_302600_NS5tupleIiiNS7_9null_typeES9_S9_S9_S9_S9_S9_S9_EENS0_10empty_typeEbEEZZNS1_14partition_implILS5_6ELb0ES3_mNS7_12zip_iteratorINS8_INS7_6detail15normal_iteratorINS7_10device_ptrIiEEEESJ_S9_S9_S9_S9_S9_S9_S9_S9_EEEEPSB_SM_NS0_5tupleIJNSE_INS8_ISJ_NS7_16discard_iteratorINS7_11use_defaultEEES9_S9_S9_S9_S9_S9_S9_S9_EEEESB_EEENSN_IJSM_SM_EEESB_PlJNSF_9not_fun_tINSF_14equal_to_valueISA_EEEEEEE10hipError_tPvRmT3_T4_T5_T6_T7_T9_mT8_P12ihipStream_tbDpT10_ENKUlT_T0_E_clISt17integral_constantIbLb1EES1I_IbLb0EEEEDaS1E_S1F_EUlS1E_E_NS1_11comp_targetILNS1_3genE9ELNS1_11target_archE1100ELNS1_3gpuE3ELNS1_3repE0EEENS1_30default_config_static_selectorELNS0_4arch9wavefront6targetE0EEEvT1_.uses_flat_scratch, 0
	.set _ZN7rocprim17ROCPRIM_400000_NS6detail17trampoline_kernelINS0_14default_configENS1_25partition_config_selectorILNS1_17partition_subalgoE6EN6thrust23THRUST_200600_302600_NS5tupleIiiNS7_9null_typeES9_S9_S9_S9_S9_S9_S9_EENS0_10empty_typeEbEEZZNS1_14partition_implILS5_6ELb0ES3_mNS7_12zip_iteratorINS8_INS7_6detail15normal_iteratorINS7_10device_ptrIiEEEESJ_S9_S9_S9_S9_S9_S9_S9_S9_EEEEPSB_SM_NS0_5tupleIJNSE_INS8_ISJ_NS7_16discard_iteratorINS7_11use_defaultEEES9_S9_S9_S9_S9_S9_S9_S9_EEEESB_EEENSN_IJSM_SM_EEESB_PlJNSF_9not_fun_tINSF_14equal_to_valueISA_EEEEEEE10hipError_tPvRmT3_T4_T5_T6_T7_T9_mT8_P12ihipStream_tbDpT10_ENKUlT_T0_E_clISt17integral_constantIbLb1EES1I_IbLb0EEEEDaS1E_S1F_EUlS1E_E_NS1_11comp_targetILNS1_3genE9ELNS1_11target_archE1100ELNS1_3gpuE3ELNS1_3repE0EEENS1_30default_config_static_selectorELNS0_4arch9wavefront6targetE0EEEvT1_.has_dyn_sized_stack, 0
	.set _ZN7rocprim17ROCPRIM_400000_NS6detail17trampoline_kernelINS0_14default_configENS1_25partition_config_selectorILNS1_17partition_subalgoE6EN6thrust23THRUST_200600_302600_NS5tupleIiiNS7_9null_typeES9_S9_S9_S9_S9_S9_S9_EENS0_10empty_typeEbEEZZNS1_14partition_implILS5_6ELb0ES3_mNS7_12zip_iteratorINS8_INS7_6detail15normal_iteratorINS7_10device_ptrIiEEEESJ_S9_S9_S9_S9_S9_S9_S9_S9_EEEEPSB_SM_NS0_5tupleIJNSE_INS8_ISJ_NS7_16discard_iteratorINS7_11use_defaultEEES9_S9_S9_S9_S9_S9_S9_S9_EEEESB_EEENSN_IJSM_SM_EEESB_PlJNSF_9not_fun_tINSF_14equal_to_valueISA_EEEEEEE10hipError_tPvRmT3_T4_T5_T6_T7_T9_mT8_P12ihipStream_tbDpT10_ENKUlT_T0_E_clISt17integral_constantIbLb1EES1I_IbLb0EEEEDaS1E_S1F_EUlS1E_E_NS1_11comp_targetILNS1_3genE9ELNS1_11target_archE1100ELNS1_3gpuE3ELNS1_3repE0EEENS1_30default_config_static_selectorELNS0_4arch9wavefront6targetE0EEEvT1_.has_recursion, 0
	.set _ZN7rocprim17ROCPRIM_400000_NS6detail17trampoline_kernelINS0_14default_configENS1_25partition_config_selectorILNS1_17partition_subalgoE6EN6thrust23THRUST_200600_302600_NS5tupleIiiNS7_9null_typeES9_S9_S9_S9_S9_S9_S9_EENS0_10empty_typeEbEEZZNS1_14partition_implILS5_6ELb0ES3_mNS7_12zip_iteratorINS8_INS7_6detail15normal_iteratorINS7_10device_ptrIiEEEESJ_S9_S9_S9_S9_S9_S9_S9_S9_EEEEPSB_SM_NS0_5tupleIJNSE_INS8_ISJ_NS7_16discard_iteratorINS7_11use_defaultEEES9_S9_S9_S9_S9_S9_S9_S9_EEEESB_EEENSN_IJSM_SM_EEESB_PlJNSF_9not_fun_tINSF_14equal_to_valueISA_EEEEEEE10hipError_tPvRmT3_T4_T5_T6_T7_T9_mT8_P12ihipStream_tbDpT10_ENKUlT_T0_E_clISt17integral_constantIbLb1EES1I_IbLb0EEEEDaS1E_S1F_EUlS1E_E_NS1_11comp_targetILNS1_3genE9ELNS1_11target_archE1100ELNS1_3gpuE3ELNS1_3repE0EEENS1_30default_config_static_selectorELNS0_4arch9wavefront6targetE0EEEvT1_.has_indirect_call, 0
	.section	.AMDGPU.csdata,"",@progbits
; Kernel info:
; codeLenInByte = 0
; TotalNumSgprs: 0
; NumVgprs: 0
; ScratchSize: 0
; MemoryBound: 0
; FloatMode: 240
; IeeeMode: 1
; LDSByteSize: 0 bytes/workgroup (compile time only)
; SGPRBlocks: 0
; VGPRBlocks: 0
; NumSGPRsForWavesPerEU: 1
; NumVGPRsForWavesPerEU: 1
; Occupancy: 16
; WaveLimiterHint : 0
; COMPUTE_PGM_RSRC2:SCRATCH_EN: 0
; COMPUTE_PGM_RSRC2:USER_SGPR: 2
; COMPUTE_PGM_RSRC2:TRAP_HANDLER: 0
; COMPUTE_PGM_RSRC2:TGID_X_EN: 1
; COMPUTE_PGM_RSRC2:TGID_Y_EN: 0
; COMPUTE_PGM_RSRC2:TGID_Z_EN: 0
; COMPUTE_PGM_RSRC2:TIDIG_COMP_CNT: 0
	.section	.text._ZN7rocprim17ROCPRIM_400000_NS6detail17trampoline_kernelINS0_14default_configENS1_25partition_config_selectorILNS1_17partition_subalgoE6EN6thrust23THRUST_200600_302600_NS5tupleIiiNS7_9null_typeES9_S9_S9_S9_S9_S9_S9_EENS0_10empty_typeEbEEZZNS1_14partition_implILS5_6ELb0ES3_mNS7_12zip_iteratorINS8_INS7_6detail15normal_iteratorINS7_10device_ptrIiEEEESJ_S9_S9_S9_S9_S9_S9_S9_S9_EEEEPSB_SM_NS0_5tupleIJNSE_INS8_ISJ_NS7_16discard_iteratorINS7_11use_defaultEEES9_S9_S9_S9_S9_S9_S9_S9_EEEESB_EEENSN_IJSM_SM_EEESB_PlJNSF_9not_fun_tINSF_14equal_to_valueISA_EEEEEEE10hipError_tPvRmT3_T4_T5_T6_T7_T9_mT8_P12ihipStream_tbDpT10_ENKUlT_T0_E_clISt17integral_constantIbLb1EES1I_IbLb0EEEEDaS1E_S1F_EUlS1E_E_NS1_11comp_targetILNS1_3genE8ELNS1_11target_archE1030ELNS1_3gpuE2ELNS1_3repE0EEENS1_30default_config_static_selectorELNS0_4arch9wavefront6targetE0EEEvT1_,"axG",@progbits,_ZN7rocprim17ROCPRIM_400000_NS6detail17trampoline_kernelINS0_14default_configENS1_25partition_config_selectorILNS1_17partition_subalgoE6EN6thrust23THRUST_200600_302600_NS5tupleIiiNS7_9null_typeES9_S9_S9_S9_S9_S9_S9_EENS0_10empty_typeEbEEZZNS1_14partition_implILS5_6ELb0ES3_mNS7_12zip_iteratorINS8_INS7_6detail15normal_iteratorINS7_10device_ptrIiEEEESJ_S9_S9_S9_S9_S9_S9_S9_S9_EEEEPSB_SM_NS0_5tupleIJNSE_INS8_ISJ_NS7_16discard_iteratorINS7_11use_defaultEEES9_S9_S9_S9_S9_S9_S9_S9_EEEESB_EEENSN_IJSM_SM_EEESB_PlJNSF_9not_fun_tINSF_14equal_to_valueISA_EEEEEEE10hipError_tPvRmT3_T4_T5_T6_T7_T9_mT8_P12ihipStream_tbDpT10_ENKUlT_T0_E_clISt17integral_constantIbLb1EES1I_IbLb0EEEEDaS1E_S1F_EUlS1E_E_NS1_11comp_targetILNS1_3genE8ELNS1_11target_archE1030ELNS1_3gpuE2ELNS1_3repE0EEENS1_30default_config_static_selectorELNS0_4arch9wavefront6targetE0EEEvT1_,comdat
	.protected	_ZN7rocprim17ROCPRIM_400000_NS6detail17trampoline_kernelINS0_14default_configENS1_25partition_config_selectorILNS1_17partition_subalgoE6EN6thrust23THRUST_200600_302600_NS5tupleIiiNS7_9null_typeES9_S9_S9_S9_S9_S9_S9_EENS0_10empty_typeEbEEZZNS1_14partition_implILS5_6ELb0ES3_mNS7_12zip_iteratorINS8_INS7_6detail15normal_iteratorINS7_10device_ptrIiEEEESJ_S9_S9_S9_S9_S9_S9_S9_S9_EEEEPSB_SM_NS0_5tupleIJNSE_INS8_ISJ_NS7_16discard_iteratorINS7_11use_defaultEEES9_S9_S9_S9_S9_S9_S9_S9_EEEESB_EEENSN_IJSM_SM_EEESB_PlJNSF_9not_fun_tINSF_14equal_to_valueISA_EEEEEEE10hipError_tPvRmT3_T4_T5_T6_T7_T9_mT8_P12ihipStream_tbDpT10_ENKUlT_T0_E_clISt17integral_constantIbLb1EES1I_IbLb0EEEEDaS1E_S1F_EUlS1E_E_NS1_11comp_targetILNS1_3genE8ELNS1_11target_archE1030ELNS1_3gpuE2ELNS1_3repE0EEENS1_30default_config_static_selectorELNS0_4arch9wavefront6targetE0EEEvT1_ ; -- Begin function _ZN7rocprim17ROCPRIM_400000_NS6detail17trampoline_kernelINS0_14default_configENS1_25partition_config_selectorILNS1_17partition_subalgoE6EN6thrust23THRUST_200600_302600_NS5tupleIiiNS7_9null_typeES9_S9_S9_S9_S9_S9_S9_EENS0_10empty_typeEbEEZZNS1_14partition_implILS5_6ELb0ES3_mNS7_12zip_iteratorINS8_INS7_6detail15normal_iteratorINS7_10device_ptrIiEEEESJ_S9_S9_S9_S9_S9_S9_S9_S9_EEEEPSB_SM_NS0_5tupleIJNSE_INS8_ISJ_NS7_16discard_iteratorINS7_11use_defaultEEES9_S9_S9_S9_S9_S9_S9_S9_EEEESB_EEENSN_IJSM_SM_EEESB_PlJNSF_9not_fun_tINSF_14equal_to_valueISA_EEEEEEE10hipError_tPvRmT3_T4_T5_T6_T7_T9_mT8_P12ihipStream_tbDpT10_ENKUlT_T0_E_clISt17integral_constantIbLb1EES1I_IbLb0EEEEDaS1E_S1F_EUlS1E_E_NS1_11comp_targetILNS1_3genE8ELNS1_11target_archE1030ELNS1_3gpuE2ELNS1_3repE0EEENS1_30default_config_static_selectorELNS0_4arch9wavefront6targetE0EEEvT1_
	.globl	_ZN7rocprim17ROCPRIM_400000_NS6detail17trampoline_kernelINS0_14default_configENS1_25partition_config_selectorILNS1_17partition_subalgoE6EN6thrust23THRUST_200600_302600_NS5tupleIiiNS7_9null_typeES9_S9_S9_S9_S9_S9_S9_EENS0_10empty_typeEbEEZZNS1_14partition_implILS5_6ELb0ES3_mNS7_12zip_iteratorINS8_INS7_6detail15normal_iteratorINS7_10device_ptrIiEEEESJ_S9_S9_S9_S9_S9_S9_S9_S9_EEEEPSB_SM_NS0_5tupleIJNSE_INS8_ISJ_NS7_16discard_iteratorINS7_11use_defaultEEES9_S9_S9_S9_S9_S9_S9_S9_EEEESB_EEENSN_IJSM_SM_EEESB_PlJNSF_9not_fun_tINSF_14equal_to_valueISA_EEEEEEE10hipError_tPvRmT3_T4_T5_T6_T7_T9_mT8_P12ihipStream_tbDpT10_ENKUlT_T0_E_clISt17integral_constantIbLb1EES1I_IbLb0EEEEDaS1E_S1F_EUlS1E_E_NS1_11comp_targetILNS1_3genE8ELNS1_11target_archE1030ELNS1_3gpuE2ELNS1_3repE0EEENS1_30default_config_static_selectorELNS0_4arch9wavefront6targetE0EEEvT1_
	.p2align	8
	.type	_ZN7rocprim17ROCPRIM_400000_NS6detail17trampoline_kernelINS0_14default_configENS1_25partition_config_selectorILNS1_17partition_subalgoE6EN6thrust23THRUST_200600_302600_NS5tupleIiiNS7_9null_typeES9_S9_S9_S9_S9_S9_S9_EENS0_10empty_typeEbEEZZNS1_14partition_implILS5_6ELb0ES3_mNS7_12zip_iteratorINS8_INS7_6detail15normal_iteratorINS7_10device_ptrIiEEEESJ_S9_S9_S9_S9_S9_S9_S9_S9_EEEEPSB_SM_NS0_5tupleIJNSE_INS8_ISJ_NS7_16discard_iteratorINS7_11use_defaultEEES9_S9_S9_S9_S9_S9_S9_S9_EEEESB_EEENSN_IJSM_SM_EEESB_PlJNSF_9not_fun_tINSF_14equal_to_valueISA_EEEEEEE10hipError_tPvRmT3_T4_T5_T6_T7_T9_mT8_P12ihipStream_tbDpT10_ENKUlT_T0_E_clISt17integral_constantIbLb1EES1I_IbLb0EEEEDaS1E_S1F_EUlS1E_E_NS1_11comp_targetILNS1_3genE8ELNS1_11target_archE1030ELNS1_3gpuE2ELNS1_3repE0EEENS1_30default_config_static_selectorELNS0_4arch9wavefront6targetE0EEEvT1_,@function
_ZN7rocprim17ROCPRIM_400000_NS6detail17trampoline_kernelINS0_14default_configENS1_25partition_config_selectorILNS1_17partition_subalgoE6EN6thrust23THRUST_200600_302600_NS5tupleIiiNS7_9null_typeES9_S9_S9_S9_S9_S9_S9_EENS0_10empty_typeEbEEZZNS1_14partition_implILS5_6ELb0ES3_mNS7_12zip_iteratorINS8_INS7_6detail15normal_iteratorINS7_10device_ptrIiEEEESJ_S9_S9_S9_S9_S9_S9_S9_S9_EEEEPSB_SM_NS0_5tupleIJNSE_INS8_ISJ_NS7_16discard_iteratorINS7_11use_defaultEEES9_S9_S9_S9_S9_S9_S9_S9_EEEESB_EEENSN_IJSM_SM_EEESB_PlJNSF_9not_fun_tINSF_14equal_to_valueISA_EEEEEEE10hipError_tPvRmT3_T4_T5_T6_T7_T9_mT8_P12ihipStream_tbDpT10_ENKUlT_T0_E_clISt17integral_constantIbLb1EES1I_IbLb0EEEEDaS1E_S1F_EUlS1E_E_NS1_11comp_targetILNS1_3genE8ELNS1_11target_archE1030ELNS1_3gpuE2ELNS1_3repE0EEENS1_30default_config_static_selectorELNS0_4arch9wavefront6targetE0EEEvT1_: ; @_ZN7rocprim17ROCPRIM_400000_NS6detail17trampoline_kernelINS0_14default_configENS1_25partition_config_selectorILNS1_17partition_subalgoE6EN6thrust23THRUST_200600_302600_NS5tupleIiiNS7_9null_typeES9_S9_S9_S9_S9_S9_S9_EENS0_10empty_typeEbEEZZNS1_14partition_implILS5_6ELb0ES3_mNS7_12zip_iteratorINS8_INS7_6detail15normal_iteratorINS7_10device_ptrIiEEEESJ_S9_S9_S9_S9_S9_S9_S9_S9_EEEEPSB_SM_NS0_5tupleIJNSE_INS8_ISJ_NS7_16discard_iteratorINS7_11use_defaultEEES9_S9_S9_S9_S9_S9_S9_S9_EEEESB_EEENSN_IJSM_SM_EEESB_PlJNSF_9not_fun_tINSF_14equal_to_valueISA_EEEEEEE10hipError_tPvRmT3_T4_T5_T6_T7_T9_mT8_P12ihipStream_tbDpT10_ENKUlT_T0_E_clISt17integral_constantIbLb1EES1I_IbLb0EEEEDaS1E_S1F_EUlS1E_E_NS1_11comp_targetILNS1_3genE8ELNS1_11target_archE1030ELNS1_3gpuE2ELNS1_3repE0EEENS1_30default_config_static_selectorELNS0_4arch9wavefront6targetE0EEEvT1_
; %bb.0:
	.section	.rodata,"a",@progbits
	.p2align	6, 0x0
	.amdhsa_kernel _ZN7rocprim17ROCPRIM_400000_NS6detail17trampoline_kernelINS0_14default_configENS1_25partition_config_selectorILNS1_17partition_subalgoE6EN6thrust23THRUST_200600_302600_NS5tupleIiiNS7_9null_typeES9_S9_S9_S9_S9_S9_S9_EENS0_10empty_typeEbEEZZNS1_14partition_implILS5_6ELb0ES3_mNS7_12zip_iteratorINS8_INS7_6detail15normal_iteratorINS7_10device_ptrIiEEEESJ_S9_S9_S9_S9_S9_S9_S9_S9_EEEEPSB_SM_NS0_5tupleIJNSE_INS8_ISJ_NS7_16discard_iteratorINS7_11use_defaultEEES9_S9_S9_S9_S9_S9_S9_S9_EEEESB_EEENSN_IJSM_SM_EEESB_PlJNSF_9not_fun_tINSF_14equal_to_valueISA_EEEEEEE10hipError_tPvRmT3_T4_T5_T6_T7_T9_mT8_P12ihipStream_tbDpT10_ENKUlT_T0_E_clISt17integral_constantIbLb1EES1I_IbLb0EEEEDaS1E_S1F_EUlS1E_E_NS1_11comp_targetILNS1_3genE8ELNS1_11target_archE1030ELNS1_3gpuE2ELNS1_3repE0EEENS1_30default_config_static_selectorELNS0_4arch9wavefront6targetE0EEEvT1_
		.amdhsa_group_segment_fixed_size 0
		.amdhsa_private_segment_fixed_size 0
		.amdhsa_kernarg_size 144
		.amdhsa_user_sgpr_count 2
		.amdhsa_user_sgpr_dispatch_ptr 0
		.amdhsa_user_sgpr_queue_ptr 0
		.amdhsa_user_sgpr_kernarg_segment_ptr 1
		.amdhsa_user_sgpr_dispatch_id 0
		.amdhsa_user_sgpr_private_segment_size 0
		.amdhsa_wavefront_size32 1
		.amdhsa_uses_dynamic_stack 0
		.amdhsa_enable_private_segment 0
		.amdhsa_system_sgpr_workgroup_id_x 1
		.amdhsa_system_sgpr_workgroup_id_y 0
		.amdhsa_system_sgpr_workgroup_id_z 0
		.amdhsa_system_sgpr_workgroup_info 0
		.amdhsa_system_vgpr_workitem_id 0
		.amdhsa_next_free_vgpr 1
		.amdhsa_next_free_sgpr 1
		.amdhsa_reserve_vcc 0
		.amdhsa_float_round_mode_32 0
		.amdhsa_float_round_mode_16_64 0
		.amdhsa_float_denorm_mode_32 3
		.amdhsa_float_denorm_mode_16_64 3
		.amdhsa_fp16_overflow 0
		.amdhsa_workgroup_processor_mode 1
		.amdhsa_memory_ordered 1
		.amdhsa_forward_progress 1
		.amdhsa_inst_pref_size 0
		.amdhsa_round_robin_scheduling 0
		.amdhsa_exception_fp_ieee_invalid_op 0
		.amdhsa_exception_fp_denorm_src 0
		.amdhsa_exception_fp_ieee_div_zero 0
		.amdhsa_exception_fp_ieee_overflow 0
		.amdhsa_exception_fp_ieee_underflow 0
		.amdhsa_exception_fp_ieee_inexact 0
		.amdhsa_exception_int_div_zero 0
	.end_amdhsa_kernel
	.section	.text._ZN7rocprim17ROCPRIM_400000_NS6detail17trampoline_kernelINS0_14default_configENS1_25partition_config_selectorILNS1_17partition_subalgoE6EN6thrust23THRUST_200600_302600_NS5tupleIiiNS7_9null_typeES9_S9_S9_S9_S9_S9_S9_EENS0_10empty_typeEbEEZZNS1_14partition_implILS5_6ELb0ES3_mNS7_12zip_iteratorINS8_INS7_6detail15normal_iteratorINS7_10device_ptrIiEEEESJ_S9_S9_S9_S9_S9_S9_S9_S9_EEEEPSB_SM_NS0_5tupleIJNSE_INS8_ISJ_NS7_16discard_iteratorINS7_11use_defaultEEES9_S9_S9_S9_S9_S9_S9_S9_EEEESB_EEENSN_IJSM_SM_EEESB_PlJNSF_9not_fun_tINSF_14equal_to_valueISA_EEEEEEE10hipError_tPvRmT3_T4_T5_T6_T7_T9_mT8_P12ihipStream_tbDpT10_ENKUlT_T0_E_clISt17integral_constantIbLb1EES1I_IbLb0EEEEDaS1E_S1F_EUlS1E_E_NS1_11comp_targetILNS1_3genE8ELNS1_11target_archE1030ELNS1_3gpuE2ELNS1_3repE0EEENS1_30default_config_static_selectorELNS0_4arch9wavefront6targetE0EEEvT1_,"axG",@progbits,_ZN7rocprim17ROCPRIM_400000_NS6detail17trampoline_kernelINS0_14default_configENS1_25partition_config_selectorILNS1_17partition_subalgoE6EN6thrust23THRUST_200600_302600_NS5tupleIiiNS7_9null_typeES9_S9_S9_S9_S9_S9_S9_EENS0_10empty_typeEbEEZZNS1_14partition_implILS5_6ELb0ES3_mNS7_12zip_iteratorINS8_INS7_6detail15normal_iteratorINS7_10device_ptrIiEEEESJ_S9_S9_S9_S9_S9_S9_S9_S9_EEEEPSB_SM_NS0_5tupleIJNSE_INS8_ISJ_NS7_16discard_iteratorINS7_11use_defaultEEES9_S9_S9_S9_S9_S9_S9_S9_EEEESB_EEENSN_IJSM_SM_EEESB_PlJNSF_9not_fun_tINSF_14equal_to_valueISA_EEEEEEE10hipError_tPvRmT3_T4_T5_T6_T7_T9_mT8_P12ihipStream_tbDpT10_ENKUlT_T0_E_clISt17integral_constantIbLb1EES1I_IbLb0EEEEDaS1E_S1F_EUlS1E_E_NS1_11comp_targetILNS1_3genE8ELNS1_11target_archE1030ELNS1_3gpuE2ELNS1_3repE0EEENS1_30default_config_static_selectorELNS0_4arch9wavefront6targetE0EEEvT1_,comdat
.Lfunc_end2036:
	.size	_ZN7rocprim17ROCPRIM_400000_NS6detail17trampoline_kernelINS0_14default_configENS1_25partition_config_selectorILNS1_17partition_subalgoE6EN6thrust23THRUST_200600_302600_NS5tupleIiiNS7_9null_typeES9_S9_S9_S9_S9_S9_S9_EENS0_10empty_typeEbEEZZNS1_14partition_implILS5_6ELb0ES3_mNS7_12zip_iteratorINS8_INS7_6detail15normal_iteratorINS7_10device_ptrIiEEEESJ_S9_S9_S9_S9_S9_S9_S9_S9_EEEEPSB_SM_NS0_5tupleIJNSE_INS8_ISJ_NS7_16discard_iteratorINS7_11use_defaultEEES9_S9_S9_S9_S9_S9_S9_S9_EEEESB_EEENSN_IJSM_SM_EEESB_PlJNSF_9not_fun_tINSF_14equal_to_valueISA_EEEEEEE10hipError_tPvRmT3_T4_T5_T6_T7_T9_mT8_P12ihipStream_tbDpT10_ENKUlT_T0_E_clISt17integral_constantIbLb1EES1I_IbLb0EEEEDaS1E_S1F_EUlS1E_E_NS1_11comp_targetILNS1_3genE8ELNS1_11target_archE1030ELNS1_3gpuE2ELNS1_3repE0EEENS1_30default_config_static_selectorELNS0_4arch9wavefront6targetE0EEEvT1_, .Lfunc_end2036-_ZN7rocprim17ROCPRIM_400000_NS6detail17trampoline_kernelINS0_14default_configENS1_25partition_config_selectorILNS1_17partition_subalgoE6EN6thrust23THRUST_200600_302600_NS5tupleIiiNS7_9null_typeES9_S9_S9_S9_S9_S9_S9_EENS0_10empty_typeEbEEZZNS1_14partition_implILS5_6ELb0ES3_mNS7_12zip_iteratorINS8_INS7_6detail15normal_iteratorINS7_10device_ptrIiEEEESJ_S9_S9_S9_S9_S9_S9_S9_S9_EEEEPSB_SM_NS0_5tupleIJNSE_INS8_ISJ_NS7_16discard_iteratorINS7_11use_defaultEEES9_S9_S9_S9_S9_S9_S9_S9_EEEESB_EEENSN_IJSM_SM_EEESB_PlJNSF_9not_fun_tINSF_14equal_to_valueISA_EEEEEEE10hipError_tPvRmT3_T4_T5_T6_T7_T9_mT8_P12ihipStream_tbDpT10_ENKUlT_T0_E_clISt17integral_constantIbLb1EES1I_IbLb0EEEEDaS1E_S1F_EUlS1E_E_NS1_11comp_targetILNS1_3genE8ELNS1_11target_archE1030ELNS1_3gpuE2ELNS1_3repE0EEENS1_30default_config_static_selectorELNS0_4arch9wavefront6targetE0EEEvT1_
                                        ; -- End function
	.set _ZN7rocprim17ROCPRIM_400000_NS6detail17trampoline_kernelINS0_14default_configENS1_25partition_config_selectorILNS1_17partition_subalgoE6EN6thrust23THRUST_200600_302600_NS5tupleIiiNS7_9null_typeES9_S9_S9_S9_S9_S9_S9_EENS0_10empty_typeEbEEZZNS1_14partition_implILS5_6ELb0ES3_mNS7_12zip_iteratorINS8_INS7_6detail15normal_iteratorINS7_10device_ptrIiEEEESJ_S9_S9_S9_S9_S9_S9_S9_S9_EEEEPSB_SM_NS0_5tupleIJNSE_INS8_ISJ_NS7_16discard_iteratorINS7_11use_defaultEEES9_S9_S9_S9_S9_S9_S9_S9_EEEESB_EEENSN_IJSM_SM_EEESB_PlJNSF_9not_fun_tINSF_14equal_to_valueISA_EEEEEEE10hipError_tPvRmT3_T4_T5_T6_T7_T9_mT8_P12ihipStream_tbDpT10_ENKUlT_T0_E_clISt17integral_constantIbLb1EES1I_IbLb0EEEEDaS1E_S1F_EUlS1E_E_NS1_11comp_targetILNS1_3genE8ELNS1_11target_archE1030ELNS1_3gpuE2ELNS1_3repE0EEENS1_30default_config_static_selectorELNS0_4arch9wavefront6targetE0EEEvT1_.num_vgpr, 0
	.set _ZN7rocprim17ROCPRIM_400000_NS6detail17trampoline_kernelINS0_14default_configENS1_25partition_config_selectorILNS1_17partition_subalgoE6EN6thrust23THRUST_200600_302600_NS5tupleIiiNS7_9null_typeES9_S9_S9_S9_S9_S9_S9_EENS0_10empty_typeEbEEZZNS1_14partition_implILS5_6ELb0ES3_mNS7_12zip_iteratorINS8_INS7_6detail15normal_iteratorINS7_10device_ptrIiEEEESJ_S9_S9_S9_S9_S9_S9_S9_S9_EEEEPSB_SM_NS0_5tupleIJNSE_INS8_ISJ_NS7_16discard_iteratorINS7_11use_defaultEEES9_S9_S9_S9_S9_S9_S9_S9_EEEESB_EEENSN_IJSM_SM_EEESB_PlJNSF_9not_fun_tINSF_14equal_to_valueISA_EEEEEEE10hipError_tPvRmT3_T4_T5_T6_T7_T9_mT8_P12ihipStream_tbDpT10_ENKUlT_T0_E_clISt17integral_constantIbLb1EES1I_IbLb0EEEEDaS1E_S1F_EUlS1E_E_NS1_11comp_targetILNS1_3genE8ELNS1_11target_archE1030ELNS1_3gpuE2ELNS1_3repE0EEENS1_30default_config_static_selectorELNS0_4arch9wavefront6targetE0EEEvT1_.num_agpr, 0
	.set _ZN7rocprim17ROCPRIM_400000_NS6detail17trampoline_kernelINS0_14default_configENS1_25partition_config_selectorILNS1_17partition_subalgoE6EN6thrust23THRUST_200600_302600_NS5tupleIiiNS7_9null_typeES9_S9_S9_S9_S9_S9_S9_EENS0_10empty_typeEbEEZZNS1_14partition_implILS5_6ELb0ES3_mNS7_12zip_iteratorINS8_INS7_6detail15normal_iteratorINS7_10device_ptrIiEEEESJ_S9_S9_S9_S9_S9_S9_S9_S9_EEEEPSB_SM_NS0_5tupleIJNSE_INS8_ISJ_NS7_16discard_iteratorINS7_11use_defaultEEES9_S9_S9_S9_S9_S9_S9_S9_EEEESB_EEENSN_IJSM_SM_EEESB_PlJNSF_9not_fun_tINSF_14equal_to_valueISA_EEEEEEE10hipError_tPvRmT3_T4_T5_T6_T7_T9_mT8_P12ihipStream_tbDpT10_ENKUlT_T0_E_clISt17integral_constantIbLb1EES1I_IbLb0EEEEDaS1E_S1F_EUlS1E_E_NS1_11comp_targetILNS1_3genE8ELNS1_11target_archE1030ELNS1_3gpuE2ELNS1_3repE0EEENS1_30default_config_static_selectorELNS0_4arch9wavefront6targetE0EEEvT1_.numbered_sgpr, 0
	.set _ZN7rocprim17ROCPRIM_400000_NS6detail17trampoline_kernelINS0_14default_configENS1_25partition_config_selectorILNS1_17partition_subalgoE6EN6thrust23THRUST_200600_302600_NS5tupleIiiNS7_9null_typeES9_S9_S9_S9_S9_S9_S9_EENS0_10empty_typeEbEEZZNS1_14partition_implILS5_6ELb0ES3_mNS7_12zip_iteratorINS8_INS7_6detail15normal_iteratorINS7_10device_ptrIiEEEESJ_S9_S9_S9_S9_S9_S9_S9_S9_EEEEPSB_SM_NS0_5tupleIJNSE_INS8_ISJ_NS7_16discard_iteratorINS7_11use_defaultEEES9_S9_S9_S9_S9_S9_S9_S9_EEEESB_EEENSN_IJSM_SM_EEESB_PlJNSF_9not_fun_tINSF_14equal_to_valueISA_EEEEEEE10hipError_tPvRmT3_T4_T5_T6_T7_T9_mT8_P12ihipStream_tbDpT10_ENKUlT_T0_E_clISt17integral_constantIbLb1EES1I_IbLb0EEEEDaS1E_S1F_EUlS1E_E_NS1_11comp_targetILNS1_3genE8ELNS1_11target_archE1030ELNS1_3gpuE2ELNS1_3repE0EEENS1_30default_config_static_selectorELNS0_4arch9wavefront6targetE0EEEvT1_.num_named_barrier, 0
	.set _ZN7rocprim17ROCPRIM_400000_NS6detail17trampoline_kernelINS0_14default_configENS1_25partition_config_selectorILNS1_17partition_subalgoE6EN6thrust23THRUST_200600_302600_NS5tupleIiiNS7_9null_typeES9_S9_S9_S9_S9_S9_S9_EENS0_10empty_typeEbEEZZNS1_14partition_implILS5_6ELb0ES3_mNS7_12zip_iteratorINS8_INS7_6detail15normal_iteratorINS7_10device_ptrIiEEEESJ_S9_S9_S9_S9_S9_S9_S9_S9_EEEEPSB_SM_NS0_5tupleIJNSE_INS8_ISJ_NS7_16discard_iteratorINS7_11use_defaultEEES9_S9_S9_S9_S9_S9_S9_S9_EEEESB_EEENSN_IJSM_SM_EEESB_PlJNSF_9not_fun_tINSF_14equal_to_valueISA_EEEEEEE10hipError_tPvRmT3_T4_T5_T6_T7_T9_mT8_P12ihipStream_tbDpT10_ENKUlT_T0_E_clISt17integral_constantIbLb1EES1I_IbLb0EEEEDaS1E_S1F_EUlS1E_E_NS1_11comp_targetILNS1_3genE8ELNS1_11target_archE1030ELNS1_3gpuE2ELNS1_3repE0EEENS1_30default_config_static_selectorELNS0_4arch9wavefront6targetE0EEEvT1_.private_seg_size, 0
	.set _ZN7rocprim17ROCPRIM_400000_NS6detail17trampoline_kernelINS0_14default_configENS1_25partition_config_selectorILNS1_17partition_subalgoE6EN6thrust23THRUST_200600_302600_NS5tupleIiiNS7_9null_typeES9_S9_S9_S9_S9_S9_S9_EENS0_10empty_typeEbEEZZNS1_14partition_implILS5_6ELb0ES3_mNS7_12zip_iteratorINS8_INS7_6detail15normal_iteratorINS7_10device_ptrIiEEEESJ_S9_S9_S9_S9_S9_S9_S9_S9_EEEEPSB_SM_NS0_5tupleIJNSE_INS8_ISJ_NS7_16discard_iteratorINS7_11use_defaultEEES9_S9_S9_S9_S9_S9_S9_S9_EEEESB_EEENSN_IJSM_SM_EEESB_PlJNSF_9not_fun_tINSF_14equal_to_valueISA_EEEEEEE10hipError_tPvRmT3_T4_T5_T6_T7_T9_mT8_P12ihipStream_tbDpT10_ENKUlT_T0_E_clISt17integral_constantIbLb1EES1I_IbLb0EEEEDaS1E_S1F_EUlS1E_E_NS1_11comp_targetILNS1_3genE8ELNS1_11target_archE1030ELNS1_3gpuE2ELNS1_3repE0EEENS1_30default_config_static_selectorELNS0_4arch9wavefront6targetE0EEEvT1_.uses_vcc, 0
	.set _ZN7rocprim17ROCPRIM_400000_NS6detail17trampoline_kernelINS0_14default_configENS1_25partition_config_selectorILNS1_17partition_subalgoE6EN6thrust23THRUST_200600_302600_NS5tupleIiiNS7_9null_typeES9_S9_S9_S9_S9_S9_S9_EENS0_10empty_typeEbEEZZNS1_14partition_implILS5_6ELb0ES3_mNS7_12zip_iteratorINS8_INS7_6detail15normal_iteratorINS7_10device_ptrIiEEEESJ_S9_S9_S9_S9_S9_S9_S9_S9_EEEEPSB_SM_NS0_5tupleIJNSE_INS8_ISJ_NS7_16discard_iteratorINS7_11use_defaultEEES9_S9_S9_S9_S9_S9_S9_S9_EEEESB_EEENSN_IJSM_SM_EEESB_PlJNSF_9not_fun_tINSF_14equal_to_valueISA_EEEEEEE10hipError_tPvRmT3_T4_T5_T6_T7_T9_mT8_P12ihipStream_tbDpT10_ENKUlT_T0_E_clISt17integral_constantIbLb1EES1I_IbLb0EEEEDaS1E_S1F_EUlS1E_E_NS1_11comp_targetILNS1_3genE8ELNS1_11target_archE1030ELNS1_3gpuE2ELNS1_3repE0EEENS1_30default_config_static_selectorELNS0_4arch9wavefront6targetE0EEEvT1_.uses_flat_scratch, 0
	.set _ZN7rocprim17ROCPRIM_400000_NS6detail17trampoline_kernelINS0_14default_configENS1_25partition_config_selectorILNS1_17partition_subalgoE6EN6thrust23THRUST_200600_302600_NS5tupleIiiNS7_9null_typeES9_S9_S9_S9_S9_S9_S9_EENS0_10empty_typeEbEEZZNS1_14partition_implILS5_6ELb0ES3_mNS7_12zip_iteratorINS8_INS7_6detail15normal_iteratorINS7_10device_ptrIiEEEESJ_S9_S9_S9_S9_S9_S9_S9_S9_EEEEPSB_SM_NS0_5tupleIJNSE_INS8_ISJ_NS7_16discard_iteratorINS7_11use_defaultEEES9_S9_S9_S9_S9_S9_S9_S9_EEEESB_EEENSN_IJSM_SM_EEESB_PlJNSF_9not_fun_tINSF_14equal_to_valueISA_EEEEEEE10hipError_tPvRmT3_T4_T5_T6_T7_T9_mT8_P12ihipStream_tbDpT10_ENKUlT_T0_E_clISt17integral_constantIbLb1EES1I_IbLb0EEEEDaS1E_S1F_EUlS1E_E_NS1_11comp_targetILNS1_3genE8ELNS1_11target_archE1030ELNS1_3gpuE2ELNS1_3repE0EEENS1_30default_config_static_selectorELNS0_4arch9wavefront6targetE0EEEvT1_.has_dyn_sized_stack, 0
	.set _ZN7rocprim17ROCPRIM_400000_NS6detail17trampoline_kernelINS0_14default_configENS1_25partition_config_selectorILNS1_17partition_subalgoE6EN6thrust23THRUST_200600_302600_NS5tupleIiiNS7_9null_typeES9_S9_S9_S9_S9_S9_S9_EENS0_10empty_typeEbEEZZNS1_14partition_implILS5_6ELb0ES3_mNS7_12zip_iteratorINS8_INS7_6detail15normal_iteratorINS7_10device_ptrIiEEEESJ_S9_S9_S9_S9_S9_S9_S9_S9_EEEEPSB_SM_NS0_5tupleIJNSE_INS8_ISJ_NS7_16discard_iteratorINS7_11use_defaultEEES9_S9_S9_S9_S9_S9_S9_S9_EEEESB_EEENSN_IJSM_SM_EEESB_PlJNSF_9not_fun_tINSF_14equal_to_valueISA_EEEEEEE10hipError_tPvRmT3_T4_T5_T6_T7_T9_mT8_P12ihipStream_tbDpT10_ENKUlT_T0_E_clISt17integral_constantIbLb1EES1I_IbLb0EEEEDaS1E_S1F_EUlS1E_E_NS1_11comp_targetILNS1_3genE8ELNS1_11target_archE1030ELNS1_3gpuE2ELNS1_3repE0EEENS1_30default_config_static_selectorELNS0_4arch9wavefront6targetE0EEEvT1_.has_recursion, 0
	.set _ZN7rocprim17ROCPRIM_400000_NS6detail17trampoline_kernelINS0_14default_configENS1_25partition_config_selectorILNS1_17partition_subalgoE6EN6thrust23THRUST_200600_302600_NS5tupleIiiNS7_9null_typeES9_S9_S9_S9_S9_S9_S9_EENS0_10empty_typeEbEEZZNS1_14partition_implILS5_6ELb0ES3_mNS7_12zip_iteratorINS8_INS7_6detail15normal_iteratorINS7_10device_ptrIiEEEESJ_S9_S9_S9_S9_S9_S9_S9_S9_EEEEPSB_SM_NS0_5tupleIJNSE_INS8_ISJ_NS7_16discard_iteratorINS7_11use_defaultEEES9_S9_S9_S9_S9_S9_S9_S9_EEEESB_EEENSN_IJSM_SM_EEESB_PlJNSF_9not_fun_tINSF_14equal_to_valueISA_EEEEEEE10hipError_tPvRmT3_T4_T5_T6_T7_T9_mT8_P12ihipStream_tbDpT10_ENKUlT_T0_E_clISt17integral_constantIbLb1EES1I_IbLb0EEEEDaS1E_S1F_EUlS1E_E_NS1_11comp_targetILNS1_3genE8ELNS1_11target_archE1030ELNS1_3gpuE2ELNS1_3repE0EEENS1_30default_config_static_selectorELNS0_4arch9wavefront6targetE0EEEvT1_.has_indirect_call, 0
	.section	.AMDGPU.csdata,"",@progbits
; Kernel info:
; codeLenInByte = 0
; TotalNumSgprs: 0
; NumVgprs: 0
; ScratchSize: 0
; MemoryBound: 0
; FloatMode: 240
; IeeeMode: 1
; LDSByteSize: 0 bytes/workgroup (compile time only)
; SGPRBlocks: 0
; VGPRBlocks: 0
; NumSGPRsForWavesPerEU: 1
; NumVGPRsForWavesPerEU: 1
; Occupancy: 16
; WaveLimiterHint : 0
; COMPUTE_PGM_RSRC2:SCRATCH_EN: 0
; COMPUTE_PGM_RSRC2:USER_SGPR: 2
; COMPUTE_PGM_RSRC2:TRAP_HANDLER: 0
; COMPUTE_PGM_RSRC2:TGID_X_EN: 1
; COMPUTE_PGM_RSRC2:TGID_Y_EN: 0
; COMPUTE_PGM_RSRC2:TGID_Z_EN: 0
; COMPUTE_PGM_RSRC2:TIDIG_COMP_CNT: 0
	.section	.text._ZN7rocprim17ROCPRIM_400000_NS6detail17trampoline_kernelINS0_14default_configENS1_25partition_config_selectorILNS1_17partition_subalgoE6EN6thrust23THRUST_200600_302600_NS5tupleIiiNS7_9null_typeES9_S9_S9_S9_S9_S9_S9_EENS0_10empty_typeEbEEZZNS1_14partition_implILS5_6ELb0ES3_mNS7_12zip_iteratorINS8_INS7_6detail15normal_iteratorINS7_10device_ptrIiEEEESJ_S9_S9_S9_S9_S9_S9_S9_S9_EEEEPSB_SM_NS0_5tupleIJNSE_INS8_ISJ_NS7_16discard_iteratorINS7_11use_defaultEEES9_S9_S9_S9_S9_S9_S9_S9_EEEESB_EEENSN_IJSM_SM_EEESB_PlJNSF_9not_fun_tINSF_14equal_to_valueISA_EEEEEEE10hipError_tPvRmT3_T4_T5_T6_T7_T9_mT8_P12ihipStream_tbDpT10_ENKUlT_T0_E_clISt17integral_constantIbLb0EES1I_IbLb1EEEEDaS1E_S1F_EUlS1E_E_NS1_11comp_targetILNS1_3genE0ELNS1_11target_archE4294967295ELNS1_3gpuE0ELNS1_3repE0EEENS1_30default_config_static_selectorELNS0_4arch9wavefront6targetE0EEEvT1_,"axG",@progbits,_ZN7rocprim17ROCPRIM_400000_NS6detail17trampoline_kernelINS0_14default_configENS1_25partition_config_selectorILNS1_17partition_subalgoE6EN6thrust23THRUST_200600_302600_NS5tupleIiiNS7_9null_typeES9_S9_S9_S9_S9_S9_S9_EENS0_10empty_typeEbEEZZNS1_14partition_implILS5_6ELb0ES3_mNS7_12zip_iteratorINS8_INS7_6detail15normal_iteratorINS7_10device_ptrIiEEEESJ_S9_S9_S9_S9_S9_S9_S9_S9_EEEEPSB_SM_NS0_5tupleIJNSE_INS8_ISJ_NS7_16discard_iteratorINS7_11use_defaultEEES9_S9_S9_S9_S9_S9_S9_S9_EEEESB_EEENSN_IJSM_SM_EEESB_PlJNSF_9not_fun_tINSF_14equal_to_valueISA_EEEEEEE10hipError_tPvRmT3_T4_T5_T6_T7_T9_mT8_P12ihipStream_tbDpT10_ENKUlT_T0_E_clISt17integral_constantIbLb0EES1I_IbLb1EEEEDaS1E_S1F_EUlS1E_E_NS1_11comp_targetILNS1_3genE0ELNS1_11target_archE4294967295ELNS1_3gpuE0ELNS1_3repE0EEENS1_30default_config_static_selectorELNS0_4arch9wavefront6targetE0EEEvT1_,comdat
	.protected	_ZN7rocprim17ROCPRIM_400000_NS6detail17trampoline_kernelINS0_14default_configENS1_25partition_config_selectorILNS1_17partition_subalgoE6EN6thrust23THRUST_200600_302600_NS5tupleIiiNS7_9null_typeES9_S9_S9_S9_S9_S9_S9_EENS0_10empty_typeEbEEZZNS1_14partition_implILS5_6ELb0ES3_mNS7_12zip_iteratorINS8_INS7_6detail15normal_iteratorINS7_10device_ptrIiEEEESJ_S9_S9_S9_S9_S9_S9_S9_S9_EEEEPSB_SM_NS0_5tupleIJNSE_INS8_ISJ_NS7_16discard_iteratorINS7_11use_defaultEEES9_S9_S9_S9_S9_S9_S9_S9_EEEESB_EEENSN_IJSM_SM_EEESB_PlJNSF_9not_fun_tINSF_14equal_to_valueISA_EEEEEEE10hipError_tPvRmT3_T4_T5_T6_T7_T9_mT8_P12ihipStream_tbDpT10_ENKUlT_T0_E_clISt17integral_constantIbLb0EES1I_IbLb1EEEEDaS1E_S1F_EUlS1E_E_NS1_11comp_targetILNS1_3genE0ELNS1_11target_archE4294967295ELNS1_3gpuE0ELNS1_3repE0EEENS1_30default_config_static_selectorELNS0_4arch9wavefront6targetE0EEEvT1_ ; -- Begin function _ZN7rocprim17ROCPRIM_400000_NS6detail17trampoline_kernelINS0_14default_configENS1_25partition_config_selectorILNS1_17partition_subalgoE6EN6thrust23THRUST_200600_302600_NS5tupleIiiNS7_9null_typeES9_S9_S9_S9_S9_S9_S9_EENS0_10empty_typeEbEEZZNS1_14partition_implILS5_6ELb0ES3_mNS7_12zip_iteratorINS8_INS7_6detail15normal_iteratorINS7_10device_ptrIiEEEESJ_S9_S9_S9_S9_S9_S9_S9_S9_EEEEPSB_SM_NS0_5tupleIJNSE_INS8_ISJ_NS7_16discard_iteratorINS7_11use_defaultEEES9_S9_S9_S9_S9_S9_S9_S9_EEEESB_EEENSN_IJSM_SM_EEESB_PlJNSF_9not_fun_tINSF_14equal_to_valueISA_EEEEEEE10hipError_tPvRmT3_T4_T5_T6_T7_T9_mT8_P12ihipStream_tbDpT10_ENKUlT_T0_E_clISt17integral_constantIbLb0EES1I_IbLb1EEEEDaS1E_S1F_EUlS1E_E_NS1_11comp_targetILNS1_3genE0ELNS1_11target_archE4294967295ELNS1_3gpuE0ELNS1_3repE0EEENS1_30default_config_static_selectorELNS0_4arch9wavefront6targetE0EEEvT1_
	.globl	_ZN7rocprim17ROCPRIM_400000_NS6detail17trampoline_kernelINS0_14default_configENS1_25partition_config_selectorILNS1_17partition_subalgoE6EN6thrust23THRUST_200600_302600_NS5tupleIiiNS7_9null_typeES9_S9_S9_S9_S9_S9_S9_EENS0_10empty_typeEbEEZZNS1_14partition_implILS5_6ELb0ES3_mNS7_12zip_iteratorINS8_INS7_6detail15normal_iteratorINS7_10device_ptrIiEEEESJ_S9_S9_S9_S9_S9_S9_S9_S9_EEEEPSB_SM_NS0_5tupleIJNSE_INS8_ISJ_NS7_16discard_iteratorINS7_11use_defaultEEES9_S9_S9_S9_S9_S9_S9_S9_EEEESB_EEENSN_IJSM_SM_EEESB_PlJNSF_9not_fun_tINSF_14equal_to_valueISA_EEEEEEE10hipError_tPvRmT3_T4_T5_T6_T7_T9_mT8_P12ihipStream_tbDpT10_ENKUlT_T0_E_clISt17integral_constantIbLb0EES1I_IbLb1EEEEDaS1E_S1F_EUlS1E_E_NS1_11comp_targetILNS1_3genE0ELNS1_11target_archE4294967295ELNS1_3gpuE0ELNS1_3repE0EEENS1_30default_config_static_selectorELNS0_4arch9wavefront6targetE0EEEvT1_
	.p2align	8
	.type	_ZN7rocprim17ROCPRIM_400000_NS6detail17trampoline_kernelINS0_14default_configENS1_25partition_config_selectorILNS1_17partition_subalgoE6EN6thrust23THRUST_200600_302600_NS5tupleIiiNS7_9null_typeES9_S9_S9_S9_S9_S9_S9_EENS0_10empty_typeEbEEZZNS1_14partition_implILS5_6ELb0ES3_mNS7_12zip_iteratorINS8_INS7_6detail15normal_iteratorINS7_10device_ptrIiEEEESJ_S9_S9_S9_S9_S9_S9_S9_S9_EEEEPSB_SM_NS0_5tupleIJNSE_INS8_ISJ_NS7_16discard_iteratorINS7_11use_defaultEEES9_S9_S9_S9_S9_S9_S9_S9_EEEESB_EEENSN_IJSM_SM_EEESB_PlJNSF_9not_fun_tINSF_14equal_to_valueISA_EEEEEEE10hipError_tPvRmT3_T4_T5_T6_T7_T9_mT8_P12ihipStream_tbDpT10_ENKUlT_T0_E_clISt17integral_constantIbLb0EES1I_IbLb1EEEEDaS1E_S1F_EUlS1E_E_NS1_11comp_targetILNS1_3genE0ELNS1_11target_archE4294967295ELNS1_3gpuE0ELNS1_3repE0EEENS1_30default_config_static_selectorELNS0_4arch9wavefront6targetE0EEEvT1_,@function
_ZN7rocprim17ROCPRIM_400000_NS6detail17trampoline_kernelINS0_14default_configENS1_25partition_config_selectorILNS1_17partition_subalgoE6EN6thrust23THRUST_200600_302600_NS5tupleIiiNS7_9null_typeES9_S9_S9_S9_S9_S9_S9_EENS0_10empty_typeEbEEZZNS1_14partition_implILS5_6ELb0ES3_mNS7_12zip_iteratorINS8_INS7_6detail15normal_iteratorINS7_10device_ptrIiEEEESJ_S9_S9_S9_S9_S9_S9_S9_S9_EEEEPSB_SM_NS0_5tupleIJNSE_INS8_ISJ_NS7_16discard_iteratorINS7_11use_defaultEEES9_S9_S9_S9_S9_S9_S9_S9_EEEESB_EEENSN_IJSM_SM_EEESB_PlJNSF_9not_fun_tINSF_14equal_to_valueISA_EEEEEEE10hipError_tPvRmT3_T4_T5_T6_T7_T9_mT8_P12ihipStream_tbDpT10_ENKUlT_T0_E_clISt17integral_constantIbLb0EES1I_IbLb1EEEEDaS1E_S1F_EUlS1E_E_NS1_11comp_targetILNS1_3genE0ELNS1_11target_archE4294967295ELNS1_3gpuE0ELNS1_3repE0EEENS1_30default_config_static_selectorELNS0_4arch9wavefront6targetE0EEEvT1_: ; @_ZN7rocprim17ROCPRIM_400000_NS6detail17trampoline_kernelINS0_14default_configENS1_25partition_config_selectorILNS1_17partition_subalgoE6EN6thrust23THRUST_200600_302600_NS5tupleIiiNS7_9null_typeES9_S9_S9_S9_S9_S9_S9_EENS0_10empty_typeEbEEZZNS1_14partition_implILS5_6ELb0ES3_mNS7_12zip_iteratorINS8_INS7_6detail15normal_iteratorINS7_10device_ptrIiEEEESJ_S9_S9_S9_S9_S9_S9_S9_S9_EEEEPSB_SM_NS0_5tupleIJNSE_INS8_ISJ_NS7_16discard_iteratorINS7_11use_defaultEEES9_S9_S9_S9_S9_S9_S9_S9_EEEESB_EEENSN_IJSM_SM_EEESB_PlJNSF_9not_fun_tINSF_14equal_to_valueISA_EEEEEEE10hipError_tPvRmT3_T4_T5_T6_T7_T9_mT8_P12ihipStream_tbDpT10_ENKUlT_T0_E_clISt17integral_constantIbLb0EES1I_IbLb1EEEEDaS1E_S1F_EUlS1E_E_NS1_11comp_targetILNS1_3genE0ELNS1_11target_archE4294967295ELNS1_3gpuE0ELNS1_3repE0EEENS1_30default_config_static_selectorELNS0_4arch9wavefront6targetE0EEEvT1_
; %bb.0:
	.section	.rodata,"a",@progbits
	.p2align	6, 0x0
	.amdhsa_kernel _ZN7rocprim17ROCPRIM_400000_NS6detail17trampoline_kernelINS0_14default_configENS1_25partition_config_selectorILNS1_17partition_subalgoE6EN6thrust23THRUST_200600_302600_NS5tupleIiiNS7_9null_typeES9_S9_S9_S9_S9_S9_S9_EENS0_10empty_typeEbEEZZNS1_14partition_implILS5_6ELb0ES3_mNS7_12zip_iteratorINS8_INS7_6detail15normal_iteratorINS7_10device_ptrIiEEEESJ_S9_S9_S9_S9_S9_S9_S9_S9_EEEEPSB_SM_NS0_5tupleIJNSE_INS8_ISJ_NS7_16discard_iteratorINS7_11use_defaultEEES9_S9_S9_S9_S9_S9_S9_S9_EEEESB_EEENSN_IJSM_SM_EEESB_PlJNSF_9not_fun_tINSF_14equal_to_valueISA_EEEEEEE10hipError_tPvRmT3_T4_T5_T6_T7_T9_mT8_P12ihipStream_tbDpT10_ENKUlT_T0_E_clISt17integral_constantIbLb0EES1I_IbLb1EEEEDaS1E_S1F_EUlS1E_E_NS1_11comp_targetILNS1_3genE0ELNS1_11target_archE4294967295ELNS1_3gpuE0ELNS1_3repE0EEENS1_30default_config_static_selectorELNS0_4arch9wavefront6targetE0EEEvT1_
		.amdhsa_group_segment_fixed_size 0
		.amdhsa_private_segment_fixed_size 0
		.amdhsa_kernarg_size 152
		.amdhsa_user_sgpr_count 2
		.amdhsa_user_sgpr_dispatch_ptr 0
		.amdhsa_user_sgpr_queue_ptr 0
		.amdhsa_user_sgpr_kernarg_segment_ptr 1
		.amdhsa_user_sgpr_dispatch_id 0
		.amdhsa_user_sgpr_private_segment_size 0
		.amdhsa_wavefront_size32 1
		.amdhsa_uses_dynamic_stack 0
		.amdhsa_enable_private_segment 0
		.amdhsa_system_sgpr_workgroup_id_x 1
		.amdhsa_system_sgpr_workgroup_id_y 0
		.amdhsa_system_sgpr_workgroup_id_z 0
		.amdhsa_system_sgpr_workgroup_info 0
		.amdhsa_system_vgpr_workitem_id 0
		.amdhsa_next_free_vgpr 1
		.amdhsa_next_free_sgpr 1
		.amdhsa_reserve_vcc 0
		.amdhsa_float_round_mode_32 0
		.amdhsa_float_round_mode_16_64 0
		.amdhsa_float_denorm_mode_32 3
		.amdhsa_float_denorm_mode_16_64 3
		.amdhsa_fp16_overflow 0
		.amdhsa_workgroup_processor_mode 1
		.amdhsa_memory_ordered 1
		.amdhsa_forward_progress 1
		.amdhsa_inst_pref_size 0
		.amdhsa_round_robin_scheduling 0
		.amdhsa_exception_fp_ieee_invalid_op 0
		.amdhsa_exception_fp_denorm_src 0
		.amdhsa_exception_fp_ieee_div_zero 0
		.amdhsa_exception_fp_ieee_overflow 0
		.amdhsa_exception_fp_ieee_underflow 0
		.amdhsa_exception_fp_ieee_inexact 0
		.amdhsa_exception_int_div_zero 0
	.end_amdhsa_kernel
	.section	.text._ZN7rocprim17ROCPRIM_400000_NS6detail17trampoline_kernelINS0_14default_configENS1_25partition_config_selectorILNS1_17partition_subalgoE6EN6thrust23THRUST_200600_302600_NS5tupleIiiNS7_9null_typeES9_S9_S9_S9_S9_S9_S9_EENS0_10empty_typeEbEEZZNS1_14partition_implILS5_6ELb0ES3_mNS7_12zip_iteratorINS8_INS7_6detail15normal_iteratorINS7_10device_ptrIiEEEESJ_S9_S9_S9_S9_S9_S9_S9_S9_EEEEPSB_SM_NS0_5tupleIJNSE_INS8_ISJ_NS7_16discard_iteratorINS7_11use_defaultEEES9_S9_S9_S9_S9_S9_S9_S9_EEEESB_EEENSN_IJSM_SM_EEESB_PlJNSF_9not_fun_tINSF_14equal_to_valueISA_EEEEEEE10hipError_tPvRmT3_T4_T5_T6_T7_T9_mT8_P12ihipStream_tbDpT10_ENKUlT_T0_E_clISt17integral_constantIbLb0EES1I_IbLb1EEEEDaS1E_S1F_EUlS1E_E_NS1_11comp_targetILNS1_3genE0ELNS1_11target_archE4294967295ELNS1_3gpuE0ELNS1_3repE0EEENS1_30default_config_static_selectorELNS0_4arch9wavefront6targetE0EEEvT1_,"axG",@progbits,_ZN7rocprim17ROCPRIM_400000_NS6detail17trampoline_kernelINS0_14default_configENS1_25partition_config_selectorILNS1_17partition_subalgoE6EN6thrust23THRUST_200600_302600_NS5tupleIiiNS7_9null_typeES9_S9_S9_S9_S9_S9_S9_EENS0_10empty_typeEbEEZZNS1_14partition_implILS5_6ELb0ES3_mNS7_12zip_iteratorINS8_INS7_6detail15normal_iteratorINS7_10device_ptrIiEEEESJ_S9_S9_S9_S9_S9_S9_S9_S9_EEEEPSB_SM_NS0_5tupleIJNSE_INS8_ISJ_NS7_16discard_iteratorINS7_11use_defaultEEES9_S9_S9_S9_S9_S9_S9_S9_EEEESB_EEENSN_IJSM_SM_EEESB_PlJNSF_9not_fun_tINSF_14equal_to_valueISA_EEEEEEE10hipError_tPvRmT3_T4_T5_T6_T7_T9_mT8_P12ihipStream_tbDpT10_ENKUlT_T0_E_clISt17integral_constantIbLb0EES1I_IbLb1EEEEDaS1E_S1F_EUlS1E_E_NS1_11comp_targetILNS1_3genE0ELNS1_11target_archE4294967295ELNS1_3gpuE0ELNS1_3repE0EEENS1_30default_config_static_selectorELNS0_4arch9wavefront6targetE0EEEvT1_,comdat
.Lfunc_end2037:
	.size	_ZN7rocprim17ROCPRIM_400000_NS6detail17trampoline_kernelINS0_14default_configENS1_25partition_config_selectorILNS1_17partition_subalgoE6EN6thrust23THRUST_200600_302600_NS5tupleIiiNS7_9null_typeES9_S9_S9_S9_S9_S9_S9_EENS0_10empty_typeEbEEZZNS1_14partition_implILS5_6ELb0ES3_mNS7_12zip_iteratorINS8_INS7_6detail15normal_iteratorINS7_10device_ptrIiEEEESJ_S9_S9_S9_S9_S9_S9_S9_S9_EEEEPSB_SM_NS0_5tupleIJNSE_INS8_ISJ_NS7_16discard_iteratorINS7_11use_defaultEEES9_S9_S9_S9_S9_S9_S9_S9_EEEESB_EEENSN_IJSM_SM_EEESB_PlJNSF_9not_fun_tINSF_14equal_to_valueISA_EEEEEEE10hipError_tPvRmT3_T4_T5_T6_T7_T9_mT8_P12ihipStream_tbDpT10_ENKUlT_T0_E_clISt17integral_constantIbLb0EES1I_IbLb1EEEEDaS1E_S1F_EUlS1E_E_NS1_11comp_targetILNS1_3genE0ELNS1_11target_archE4294967295ELNS1_3gpuE0ELNS1_3repE0EEENS1_30default_config_static_selectorELNS0_4arch9wavefront6targetE0EEEvT1_, .Lfunc_end2037-_ZN7rocprim17ROCPRIM_400000_NS6detail17trampoline_kernelINS0_14default_configENS1_25partition_config_selectorILNS1_17partition_subalgoE6EN6thrust23THRUST_200600_302600_NS5tupleIiiNS7_9null_typeES9_S9_S9_S9_S9_S9_S9_EENS0_10empty_typeEbEEZZNS1_14partition_implILS5_6ELb0ES3_mNS7_12zip_iteratorINS8_INS7_6detail15normal_iteratorINS7_10device_ptrIiEEEESJ_S9_S9_S9_S9_S9_S9_S9_S9_EEEEPSB_SM_NS0_5tupleIJNSE_INS8_ISJ_NS7_16discard_iteratorINS7_11use_defaultEEES9_S9_S9_S9_S9_S9_S9_S9_EEEESB_EEENSN_IJSM_SM_EEESB_PlJNSF_9not_fun_tINSF_14equal_to_valueISA_EEEEEEE10hipError_tPvRmT3_T4_T5_T6_T7_T9_mT8_P12ihipStream_tbDpT10_ENKUlT_T0_E_clISt17integral_constantIbLb0EES1I_IbLb1EEEEDaS1E_S1F_EUlS1E_E_NS1_11comp_targetILNS1_3genE0ELNS1_11target_archE4294967295ELNS1_3gpuE0ELNS1_3repE0EEENS1_30default_config_static_selectorELNS0_4arch9wavefront6targetE0EEEvT1_
                                        ; -- End function
	.set _ZN7rocprim17ROCPRIM_400000_NS6detail17trampoline_kernelINS0_14default_configENS1_25partition_config_selectorILNS1_17partition_subalgoE6EN6thrust23THRUST_200600_302600_NS5tupleIiiNS7_9null_typeES9_S9_S9_S9_S9_S9_S9_EENS0_10empty_typeEbEEZZNS1_14partition_implILS5_6ELb0ES3_mNS7_12zip_iteratorINS8_INS7_6detail15normal_iteratorINS7_10device_ptrIiEEEESJ_S9_S9_S9_S9_S9_S9_S9_S9_EEEEPSB_SM_NS0_5tupleIJNSE_INS8_ISJ_NS7_16discard_iteratorINS7_11use_defaultEEES9_S9_S9_S9_S9_S9_S9_S9_EEEESB_EEENSN_IJSM_SM_EEESB_PlJNSF_9not_fun_tINSF_14equal_to_valueISA_EEEEEEE10hipError_tPvRmT3_T4_T5_T6_T7_T9_mT8_P12ihipStream_tbDpT10_ENKUlT_T0_E_clISt17integral_constantIbLb0EES1I_IbLb1EEEEDaS1E_S1F_EUlS1E_E_NS1_11comp_targetILNS1_3genE0ELNS1_11target_archE4294967295ELNS1_3gpuE0ELNS1_3repE0EEENS1_30default_config_static_selectorELNS0_4arch9wavefront6targetE0EEEvT1_.num_vgpr, 0
	.set _ZN7rocprim17ROCPRIM_400000_NS6detail17trampoline_kernelINS0_14default_configENS1_25partition_config_selectorILNS1_17partition_subalgoE6EN6thrust23THRUST_200600_302600_NS5tupleIiiNS7_9null_typeES9_S9_S9_S9_S9_S9_S9_EENS0_10empty_typeEbEEZZNS1_14partition_implILS5_6ELb0ES3_mNS7_12zip_iteratorINS8_INS7_6detail15normal_iteratorINS7_10device_ptrIiEEEESJ_S9_S9_S9_S9_S9_S9_S9_S9_EEEEPSB_SM_NS0_5tupleIJNSE_INS8_ISJ_NS7_16discard_iteratorINS7_11use_defaultEEES9_S9_S9_S9_S9_S9_S9_S9_EEEESB_EEENSN_IJSM_SM_EEESB_PlJNSF_9not_fun_tINSF_14equal_to_valueISA_EEEEEEE10hipError_tPvRmT3_T4_T5_T6_T7_T9_mT8_P12ihipStream_tbDpT10_ENKUlT_T0_E_clISt17integral_constantIbLb0EES1I_IbLb1EEEEDaS1E_S1F_EUlS1E_E_NS1_11comp_targetILNS1_3genE0ELNS1_11target_archE4294967295ELNS1_3gpuE0ELNS1_3repE0EEENS1_30default_config_static_selectorELNS0_4arch9wavefront6targetE0EEEvT1_.num_agpr, 0
	.set _ZN7rocprim17ROCPRIM_400000_NS6detail17trampoline_kernelINS0_14default_configENS1_25partition_config_selectorILNS1_17partition_subalgoE6EN6thrust23THRUST_200600_302600_NS5tupleIiiNS7_9null_typeES9_S9_S9_S9_S9_S9_S9_EENS0_10empty_typeEbEEZZNS1_14partition_implILS5_6ELb0ES3_mNS7_12zip_iteratorINS8_INS7_6detail15normal_iteratorINS7_10device_ptrIiEEEESJ_S9_S9_S9_S9_S9_S9_S9_S9_EEEEPSB_SM_NS0_5tupleIJNSE_INS8_ISJ_NS7_16discard_iteratorINS7_11use_defaultEEES9_S9_S9_S9_S9_S9_S9_S9_EEEESB_EEENSN_IJSM_SM_EEESB_PlJNSF_9not_fun_tINSF_14equal_to_valueISA_EEEEEEE10hipError_tPvRmT3_T4_T5_T6_T7_T9_mT8_P12ihipStream_tbDpT10_ENKUlT_T0_E_clISt17integral_constantIbLb0EES1I_IbLb1EEEEDaS1E_S1F_EUlS1E_E_NS1_11comp_targetILNS1_3genE0ELNS1_11target_archE4294967295ELNS1_3gpuE0ELNS1_3repE0EEENS1_30default_config_static_selectorELNS0_4arch9wavefront6targetE0EEEvT1_.numbered_sgpr, 0
	.set _ZN7rocprim17ROCPRIM_400000_NS6detail17trampoline_kernelINS0_14default_configENS1_25partition_config_selectorILNS1_17partition_subalgoE6EN6thrust23THRUST_200600_302600_NS5tupleIiiNS7_9null_typeES9_S9_S9_S9_S9_S9_S9_EENS0_10empty_typeEbEEZZNS1_14partition_implILS5_6ELb0ES3_mNS7_12zip_iteratorINS8_INS7_6detail15normal_iteratorINS7_10device_ptrIiEEEESJ_S9_S9_S9_S9_S9_S9_S9_S9_EEEEPSB_SM_NS0_5tupleIJNSE_INS8_ISJ_NS7_16discard_iteratorINS7_11use_defaultEEES9_S9_S9_S9_S9_S9_S9_S9_EEEESB_EEENSN_IJSM_SM_EEESB_PlJNSF_9not_fun_tINSF_14equal_to_valueISA_EEEEEEE10hipError_tPvRmT3_T4_T5_T6_T7_T9_mT8_P12ihipStream_tbDpT10_ENKUlT_T0_E_clISt17integral_constantIbLb0EES1I_IbLb1EEEEDaS1E_S1F_EUlS1E_E_NS1_11comp_targetILNS1_3genE0ELNS1_11target_archE4294967295ELNS1_3gpuE0ELNS1_3repE0EEENS1_30default_config_static_selectorELNS0_4arch9wavefront6targetE0EEEvT1_.num_named_barrier, 0
	.set _ZN7rocprim17ROCPRIM_400000_NS6detail17trampoline_kernelINS0_14default_configENS1_25partition_config_selectorILNS1_17partition_subalgoE6EN6thrust23THRUST_200600_302600_NS5tupleIiiNS7_9null_typeES9_S9_S9_S9_S9_S9_S9_EENS0_10empty_typeEbEEZZNS1_14partition_implILS5_6ELb0ES3_mNS7_12zip_iteratorINS8_INS7_6detail15normal_iteratorINS7_10device_ptrIiEEEESJ_S9_S9_S9_S9_S9_S9_S9_S9_EEEEPSB_SM_NS0_5tupleIJNSE_INS8_ISJ_NS7_16discard_iteratorINS7_11use_defaultEEES9_S9_S9_S9_S9_S9_S9_S9_EEEESB_EEENSN_IJSM_SM_EEESB_PlJNSF_9not_fun_tINSF_14equal_to_valueISA_EEEEEEE10hipError_tPvRmT3_T4_T5_T6_T7_T9_mT8_P12ihipStream_tbDpT10_ENKUlT_T0_E_clISt17integral_constantIbLb0EES1I_IbLb1EEEEDaS1E_S1F_EUlS1E_E_NS1_11comp_targetILNS1_3genE0ELNS1_11target_archE4294967295ELNS1_3gpuE0ELNS1_3repE0EEENS1_30default_config_static_selectorELNS0_4arch9wavefront6targetE0EEEvT1_.private_seg_size, 0
	.set _ZN7rocprim17ROCPRIM_400000_NS6detail17trampoline_kernelINS0_14default_configENS1_25partition_config_selectorILNS1_17partition_subalgoE6EN6thrust23THRUST_200600_302600_NS5tupleIiiNS7_9null_typeES9_S9_S9_S9_S9_S9_S9_EENS0_10empty_typeEbEEZZNS1_14partition_implILS5_6ELb0ES3_mNS7_12zip_iteratorINS8_INS7_6detail15normal_iteratorINS7_10device_ptrIiEEEESJ_S9_S9_S9_S9_S9_S9_S9_S9_EEEEPSB_SM_NS0_5tupleIJNSE_INS8_ISJ_NS7_16discard_iteratorINS7_11use_defaultEEES9_S9_S9_S9_S9_S9_S9_S9_EEEESB_EEENSN_IJSM_SM_EEESB_PlJNSF_9not_fun_tINSF_14equal_to_valueISA_EEEEEEE10hipError_tPvRmT3_T4_T5_T6_T7_T9_mT8_P12ihipStream_tbDpT10_ENKUlT_T0_E_clISt17integral_constantIbLb0EES1I_IbLb1EEEEDaS1E_S1F_EUlS1E_E_NS1_11comp_targetILNS1_3genE0ELNS1_11target_archE4294967295ELNS1_3gpuE0ELNS1_3repE0EEENS1_30default_config_static_selectorELNS0_4arch9wavefront6targetE0EEEvT1_.uses_vcc, 0
	.set _ZN7rocprim17ROCPRIM_400000_NS6detail17trampoline_kernelINS0_14default_configENS1_25partition_config_selectorILNS1_17partition_subalgoE6EN6thrust23THRUST_200600_302600_NS5tupleIiiNS7_9null_typeES9_S9_S9_S9_S9_S9_S9_EENS0_10empty_typeEbEEZZNS1_14partition_implILS5_6ELb0ES3_mNS7_12zip_iteratorINS8_INS7_6detail15normal_iteratorINS7_10device_ptrIiEEEESJ_S9_S9_S9_S9_S9_S9_S9_S9_EEEEPSB_SM_NS0_5tupleIJNSE_INS8_ISJ_NS7_16discard_iteratorINS7_11use_defaultEEES9_S9_S9_S9_S9_S9_S9_S9_EEEESB_EEENSN_IJSM_SM_EEESB_PlJNSF_9not_fun_tINSF_14equal_to_valueISA_EEEEEEE10hipError_tPvRmT3_T4_T5_T6_T7_T9_mT8_P12ihipStream_tbDpT10_ENKUlT_T0_E_clISt17integral_constantIbLb0EES1I_IbLb1EEEEDaS1E_S1F_EUlS1E_E_NS1_11comp_targetILNS1_3genE0ELNS1_11target_archE4294967295ELNS1_3gpuE0ELNS1_3repE0EEENS1_30default_config_static_selectorELNS0_4arch9wavefront6targetE0EEEvT1_.uses_flat_scratch, 0
	.set _ZN7rocprim17ROCPRIM_400000_NS6detail17trampoline_kernelINS0_14default_configENS1_25partition_config_selectorILNS1_17partition_subalgoE6EN6thrust23THRUST_200600_302600_NS5tupleIiiNS7_9null_typeES9_S9_S9_S9_S9_S9_S9_EENS0_10empty_typeEbEEZZNS1_14partition_implILS5_6ELb0ES3_mNS7_12zip_iteratorINS8_INS7_6detail15normal_iteratorINS7_10device_ptrIiEEEESJ_S9_S9_S9_S9_S9_S9_S9_S9_EEEEPSB_SM_NS0_5tupleIJNSE_INS8_ISJ_NS7_16discard_iteratorINS7_11use_defaultEEES9_S9_S9_S9_S9_S9_S9_S9_EEEESB_EEENSN_IJSM_SM_EEESB_PlJNSF_9not_fun_tINSF_14equal_to_valueISA_EEEEEEE10hipError_tPvRmT3_T4_T5_T6_T7_T9_mT8_P12ihipStream_tbDpT10_ENKUlT_T0_E_clISt17integral_constantIbLb0EES1I_IbLb1EEEEDaS1E_S1F_EUlS1E_E_NS1_11comp_targetILNS1_3genE0ELNS1_11target_archE4294967295ELNS1_3gpuE0ELNS1_3repE0EEENS1_30default_config_static_selectorELNS0_4arch9wavefront6targetE0EEEvT1_.has_dyn_sized_stack, 0
	.set _ZN7rocprim17ROCPRIM_400000_NS6detail17trampoline_kernelINS0_14default_configENS1_25partition_config_selectorILNS1_17partition_subalgoE6EN6thrust23THRUST_200600_302600_NS5tupleIiiNS7_9null_typeES9_S9_S9_S9_S9_S9_S9_EENS0_10empty_typeEbEEZZNS1_14partition_implILS5_6ELb0ES3_mNS7_12zip_iteratorINS8_INS7_6detail15normal_iteratorINS7_10device_ptrIiEEEESJ_S9_S9_S9_S9_S9_S9_S9_S9_EEEEPSB_SM_NS0_5tupleIJNSE_INS8_ISJ_NS7_16discard_iteratorINS7_11use_defaultEEES9_S9_S9_S9_S9_S9_S9_S9_EEEESB_EEENSN_IJSM_SM_EEESB_PlJNSF_9not_fun_tINSF_14equal_to_valueISA_EEEEEEE10hipError_tPvRmT3_T4_T5_T6_T7_T9_mT8_P12ihipStream_tbDpT10_ENKUlT_T0_E_clISt17integral_constantIbLb0EES1I_IbLb1EEEEDaS1E_S1F_EUlS1E_E_NS1_11comp_targetILNS1_3genE0ELNS1_11target_archE4294967295ELNS1_3gpuE0ELNS1_3repE0EEENS1_30default_config_static_selectorELNS0_4arch9wavefront6targetE0EEEvT1_.has_recursion, 0
	.set _ZN7rocprim17ROCPRIM_400000_NS6detail17trampoline_kernelINS0_14default_configENS1_25partition_config_selectorILNS1_17partition_subalgoE6EN6thrust23THRUST_200600_302600_NS5tupleIiiNS7_9null_typeES9_S9_S9_S9_S9_S9_S9_EENS0_10empty_typeEbEEZZNS1_14partition_implILS5_6ELb0ES3_mNS7_12zip_iteratorINS8_INS7_6detail15normal_iteratorINS7_10device_ptrIiEEEESJ_S9_S9_S9_S9_S9_S9_S9_S9_EEEEPSB_SM_NS0_5tupleIJNSE_INS8_ISJ_NS7_16discard_iteratorINS7_11use_defaultEEES9_S9_S9_S9_S9_S9_S9_S9_EEEESB_EEENSN_IJSM_SM_EEESB_PlJNSF_9not_fun_tINSF_14equal_to_valueISA_EEEEEEE10hipError_tPvRmT3_T4_T5_T6_T7_T9_mT8_P12ihipStream_tbDpT10_ENKUlT_T0_E_clISt17integral_constantIbLb0EES1I_IbLb1EEEEDaS1E_S1F_EUlS1E_E_NS1_11comp_targetILNS1_3genE0ELNS1_11target_archE4294967295ELNS1_3gpuE0ELNS1_3repE0EEENS1_30default_config_static_selectorELNS0_4arch9wavefront6targetE0EEEvT1_.has_indirect_call, 0
	.section	.AMDGPU.csdata,"",@progbits
; Kernel info:
; codeLenInByte = 0
; TotalNumSgprs: 0
; NumVgprs: 0
; ScratchSize: 0
; MemoryBound: 0
; FloatMode: 240
; IeeeMode: 1
; LDSByteSize: 0 bytes/workgroup (compile time only)
; SGPRBlocks: 0
; VGPRBlocks: 0
; NumSGPRsForWavesPerEU: 1
; NumVGPRsForWavesPerEU: 1
; Occupancy: 16
; WaveLimiterHint : 0
; COMPUTE_PGM_RSRC2:SCRATCH_EN: 0
; COMPUTE_PGM_RSRC2:USER_SGPR: 2
; COMPUTE_PGM_RSRC2:TRAP_HANDLER: 0
; COMPUTE_PGM_RSRC2:TGID_X_EN: 1
; COMPUTE_PGM_RSRC2:TGID_Y_EN: 0
; COMPUTE_PGM_RSRC2:TGID_Z_EN: 0
; COMPUTE_PGM_RSRC2:TIDIG_COMP_CNT: 0
	.section	.text._ZN7rocprim17ROCPRIM_400000_NS6detail17trampoline_kernelINS0_14default_configENS1_25partition_config_selectorILNS1_17partition_subalgoE6EN6thrust23THRUST_200600_302600_NS5tupleIiiNS7_9null_typeES9_S9_S9_S9_S9_S9_S9_EENS0_10empty_typeEbEEZZNS1_14partition_implILS5_6ELb0ES3_mNS7_12zip_iteratorINS8_INS7_6detail15normal_iteratorINS7_10device_ptrIiEEEESJ_S9_S9_S9_S9_S9_S9_S9_S9_EEEEPSB_SM_NS0_5tupleIJNSE_INS8_ISJ_NS7_16discard_iteratorINS7_11use_defaultEEES9_S9_S9_S9_S9_S9_S9_S9_EEEESB_EEENSN_IJSM_SM_EEESB_PlJNSF_9not_fun_tINSF_14equal_to_valueISA_EEEEEEE10hipError_tPvRmT3_T4_T5_T6_T7_T9_mT8_P12ihipStream_tbDpT10_ENKUlT_T0_E_clISt17integral_constantIbLb0EES1I_IbLb1EEEEDaS1E_S1F_EUlS1E_E_NS1_11comp_targetILNS1_3genE5ELNS1_11target_archE942ELNS1_3gpuE9ELNS1_3repE0EEENS1_30default_config_static_selectorELNS0_4arch9wavefront6targetE0EEEvT1_,"axG",@progbits,_ZN7rocprim17ROCPRIM_400000_NS6detail17trampoline_kernelINS0_14default_configENS1_25partition_config_selectorILNS1_17partition_subalgoE6EN6thrust23THRUST_200600_302600_NS5tupleIiiNS7_9null_typeES9_S9_S9_S9_S9_S9_S9_EENS0_10empty_typeEbEEZZNS1_14partition_implILS5_6ELb0ES3_mNS7_12zip_iteratorINS8_INS7_6detail15normal_iteratorINS7_10device_ptrIiEEEESJ_S9_S9_S9_S9_S9_S9_S9_S9_EEEEPSB_SM_NS0_5tupleIJNSE_INS8_ISJ_NS7_16discard_iteratorINS7_11use_defaultEEES9_S9_S9_S9_S9_S9_S9_S9_EEEESB_EEENSN_IJSM_SM_EEESB_PlJNSF_9not_fun_tINSF_14equal_to_valueISA_EEEEEEE10hipError_tPvRmT3_T4_T5_T6_T7_T9_mT8_P12ihipStream_tbDpT10_ENKUlT_T0_E_clISt17integral_constantIbLb0EES1I_IbLb1EEEEDaS1E_S1F_EUlS1E_E_NS1_11comp_targetILNS1_3genE5ELNS1_11target_archE942ELNS1_3gpuE9ELNS1_3repE0EEENS1_30default_config_static_selectorELNS0_4arch9wavefront6targetE0EEEvT1_,comdat
	.protected	_ZN7rocprim17ROCPRIM_400000_NS6detail17trampoline_kernelINS0_14default_configENS1_25partition_config_selectorILNS1_17partition_subalgoE6EN6thrust23THRUST_200600_302600_NS5tupleIiiNS7_9null_typeES9_S9_S9_S9_S9_S9_S9_EENS0_10empty_typeEbEEZZNS1_14partition_implILS5_6ELb0ES3_mNS7_12zip_iteratorINS8_INS7_6detail15normal_iteratorINS7_10device_ptrIiEEEESJ_S9_S9_S9_S9_S9_S9_S9_S9_EEEEPSB_SM_NS0_5tupleIJNSE_INS8_ISJ_NS7_16discard_iteratorINS7_11use_defaultEEES9_S9_S9_S9_S9_S9_S9_S9_EEEESB_EEENSN_IJSM_SM_EEESB_PlJNSF_9not_fun_tINSF_14equal_to_valueISA_EEEEEEE10hipError_tPvRmT3_T4_T5_T6_T7_T9_mT8_P12ihipStream_tbDpT10_ENKUlT_T0_E_clISt17integral_constantIbLb0EES1I_IbLb1EEEEDaS1E_S1F_EUlS1E_E_NS1_11comp_targetILNS1_3genE5ELNS1_11target_archE942ELNS1_3gpuE9ELNS1_3repE0EEENS1_30default_config_static_selectorELNS0_4arch9wavefront6targetE0EEEvT1_ ; -- Begin function _ZN7rocprim17ROCPRIM_400000_NS6detail17trampoline_kernelINS0_14default_configENS1_25partition_config_selectorILNS1_17partition_subalgoE6EN6thrust23THRUST_200600_302600_NS5tupleIiiNS7_9null_typeES9_S9_S9_S9_S9_S9_S9_EENS0_10empty_typeEbEEZZNS1_14partition_implILS5_6ELb0ES3_mNS7_12zip_iteratorINS8_INS7_6detail15normal_iteratorINS7_10device_ptrIiEEEESJ_S9_S9_S9_S9_S9_S9_S9_S9_EEEEPSB_SM_NS0_5tupleIJNSE_INS8_ISJ_NS7_16discard_iteratorINS7_11use_defaultEEES9_S9_S9_S9_S9_S9_S9_S9_EEEESB_EEENSN_IJSM_SM_EEESB_PlJNSF_9not_fun_tINSF_14equal_to_valueISA_EEEEEEE10hipError_tPvRmT3_T4_T5_T6_T7_T9_mT8_P12ihipStream_tbDpT10_ENKUlT_T0_E_clISt17integral_constantIbLb0EES1I_IbLb1EEEEDaS1E_S1F_EUlS1E_E_NS1_11comp_targetILNS1_3genE5ELNS1_11target_archE942ELNS1_3gpuE9ELNS1_3repE0EEENS1_30default_config_static_selectorELNS0_4arch9wavefront6targetE0EEEvT1_
	.globl	_ZN7rocprim17ROCPRIM_400000_NS6detail17trampoline_kernelINS0_14default_configENS1_25partition_config_selectorILNS1_17partition_subalgoE6EN6thrust23THRUST_200600_302600_NS5tupleIiiNS7_9null_typeES9_S9_S9_S9_S9_S9_S9_EENS0_10empty_typeEbEEZZNS1_14partition_implILS5_6ELb0ES3_mNS7_12zip_iteratorINS8_INS7_6detail15normal_iteratorINS7_10device_ptrIiEEEESJ_S9_S9_S9_S9_S9_S9_S9_S9_EEEEPSB_SM_NS0_5tupleIJNSE_INS8_ISJ_NS7_16discard_iteratorINS7_11use_defaultEEES9_S9_S9_S9_S9_S9_S9_S9_EEEESB_EEENSN_IJSM_SM_EEESB_PlJNSF_9not_fun_tINSF_14equal_to_valueISA_EEEEEEE10hipError_tPvRmT3_T4_T5_T6_T7_T9_mT8_P12ihipStream_tbDpT10_ENKUlT_T0_E_clISt17integral_constantIbLb0EES1I_IbLb1EEEEDaS1E_S1F_EUlS1E_E_NS1_11comp_targetILNS1_3genE5ELNS1_11target_archE942ELNS1_3gpuE9ELNS1_3repE0EEENS1_30default_config_static_selectorELNS0_4arch9wavefront6targetE0EEEvT1_
	.p2align	8
	.type	_ZN7rocprim17ROCPRIM_400000_NS6detail17trampoline_kernelINS0_14default_configENS1_25partition_config_selectorILNS1_17partition_subalgoE6EN6thrust23THRUST_200600_302600_NS5tupleIiiNS7_9null_typeES9_S9_S9_S9_S9_S9_S9_EENS0_10empty_typeEbEEZZNS1_14partition_implILS5_6ELb0ES3_mNS7_12zip_iteratorINS8_INS7_6detail15normal_iteratorINS7_10device_ptrIiEEEESJ_S9_S9_S9_S9_S9_S9_S9_S9_EEEEPSB_SM_NS0_5tupleIJNSE_INS8_ISJ_NS7_16discard_iteratorINS7_11use_defaultEEES9_S9_S9_S9_S9_S9_S9_S9_EEEESB_EEENSN_IJSM_SM_EEESB_PlJNSF_9not_fun_tINSF_14equal_to_valueISA_EEEEEEE10hipError_tPvRmT3_T4_T5_T6_T7_T9_mT8_P12ihipStream_tbDpT10_ENKUlT_T0_E_clISt17integral_constantIbLb0EES1I_IbLb1EEEEDaS1E_S1F_EUlS1E_E_NS1_11comp_targetILNS1_3genE5ELNS1_11target_archE942ELNS1_3gpuE9ELNS1_3repE0EEENS1_30default_config_static_selectorELNS0_4arch9wavefront6targetE0EEEvT1_,@function
_ZN7rocprim17ROCPRIM_400000_NS6detail17trampoline_kernelINS0_14default_configENS1_25partition_config_selectorILNS1_17partition_subalgoE6EN6thrust23THRUST_200600_302600_NS5tupleIiiNS7_9null_typeES9_S9_S9_S9_S9_S9_S9_EENS0_10empty_typeEbEEZZNS1_14partition_implILS5_6ELb0ES3_mNS7_12zip_iteratorINS8_INS7_6detail15normal_iteratorINS7_10device_ptrIiEEEESJ_S9_S9_S9_S9_S9_S9_S9_S9_EEEEPSB_SM_NS0_5tupleIJNSE_INS8_ISJ_NS7_16discard_iteratorINS7_11use_defaultEEES9_S9_S9_S9_S9_S9_S9_S9_EEEESB_EEENSN_IJSM_SM_EEESB_PlJNSF_9not_fun_tINSF_14equal_to_valueISA_EEEEEEE10hipError_tPvRmT3_T4_T5_T6_T7_T9_mT8_P12ihipStream_tbDpT10_ENKUlT_T0_E_clISt17integral_constantIbLb0EES1I_IbLb1EEEEDaS1E_S1F_EUlS1E_E_NS1_11comp_targetILNS1_3genE5ELNS1_11target_archE942ELNS1_3gpuE9ELNS1_3repE0EEENS1_30default_config_static_selectorELNS0_4arch9wavefront6targetE0EEEvT1_: ; @_ZN7rocprim17ROCPRIM_400000_NS6detail17trampoline_kernelINS0_14default_configENS1_25partition_config_selectorILNS1_17partition_subalgoE6EN6thrust23THRUST_200600_302600_NS5tupleIiiNS7_9null_typeES9_S9_S9_S9_S9_S9_S9_EENS0_10empty_typeEbEEZZNS1_14partition_implILS5_6ELb0ES3_mNS7_12zip_iteratorINS8_INS7_6detail15normal_iteratorINS7_10device_ptrIiEEEESJ_S9_S9_S9_S9_S9_S9_S9_S9_EEEEPSB_SM_NS0_5tupleIJNSE_INS8_ISJ_NS7_16discard_iteratorINS7_11use_defaultEEES9_S9_S9_S9_S9_S9_S9_S9_EEEESB_EEENSN_IJSM_SM_EEESB_PlJNSF_9not_fun_tINSF_14equal_to_valueISA_EEEEEEE10hipError_tPvRmT3_T4_T5_T6_T7_T9_mT8_P12ihipStream_tbDpT10_ENKUlT_T0_E_clISt17integral_constantIbLb0EES1I_IbLb1EEEEDaS1E_S1F_EUlS1E_E_NS1_11comp_targetILNS1_3genE5ELNS1_11target_archE942ELNS1_3gpuE9ELNS1_3repE0EEENS1_30default_config_static_selectorELNS0_4arch9wavefront6targetE0EEEvT1_
; %bb.0:
	.section	.rodata,"a",@progbits
	.p2align	6, 0x0
	.amdhsa_kernel _ZN7rocprim17ROCPRIM_400000_NS6detail17trampoline_kernelINS0_14default_configENS1_25partition_config_selectorILNS1_17partition_subalgoE6EN6thrust23THRUST_200600_302600_NS5tupleIiiNS7_9null_typeES9_S9_S9_S9_S9_S9_S9_EENS0_10empty_typeEbEEZZNS1_14partition_implILS5_6ELb0ES3_mNS7_12zip_iteratorINS8_INS7_6detail15normal_iteratorINS7_10device_ptrIiEEEESJ_S9_S9_S9_S9_S9_S9_S9_S9_EEEEPSB_SM_NS0_5tupleIJNSE_INS8_ISJ_NS7_16discard_iteratorINS7_11use_defaultEEES9_S9_S9_S9_S9_S9_S9_S9_EEEESB_EEENSN_IJSM_SM_EEESB_PlJNSF_9not_fun_tINSF_14equal_to_valueISA_EEEEEEE10hipError_tPvRmT3_T4_T5_T6_T7_T9_mT8_P12ihipStream_tbDpT10_ENKUlT_T0_E_clISt17integral_constantIbLb0EES1I_IbLb1EEEEDaS1E_S1F_EUlS1E_E_NS1_11comp_targetILNS1_3genE5ELNS1_11target_archE942ELNS1_3gpuE9ELNS1_3repE0EEENS1_30default_config_static_selectorELNS0_4arch9wavefront6targetE0EEEvT1_
		.amdhsa_group_segment_fixed_size 0
		.amdhsa_private_segment_fixed_size 0
		.amdhsa_kernarg_size 152
		.amdhsa_user_sgpr_count 2
		.amdhsa_user_sgpr_dispatch_ptr 0
		.amdhsa_user_sgpr_queue_ptr 0
		.amdhsa_user_sgpr_kernarg_segment_ptr 1
		.amdhsa_user_sgpr_dispatch_id 0
		.amdhsa_user_sgpr_private_segment_size 0
		.amdhsa_wavefront_size32 1
		.amdhsa_uses_dynamic_stack 0
		.amdhsa_enable_private_segment 0
		.amdhsa_system_sgpr_workgroup_id_x 1
		.amdhsa_system_sgpr_workgroup_id_y 0
		.amdhsa_system_sgpr_workgroup_id_z 0
		.amdhsa_system_sgpr_workgroup_info 0
		.amdhsa_system_vgpr_workitem_id 0
		.amdhsa_next_free_vgpr 1
		.amdhsa_next_free_sgpr 1
		.amdhsa_reserve_vcc 0
		.amdhsa_float_round_mode_32 0
		.amdhsa_float_round_mode_16_64 0
		.amdhsa_float_denorm_mode_32 3
		.amdhsa_float_denorm_mode_16_64 3
		.amdhsa_fp16_overflow 0
		.amdhsa_workgroup_processor_mode 1
		.amdhsa_memory_ordered 1
		.amdhsa_forward_progress 1
		.amdhsa_inst_pref_size 0
		.amdhsa_round_robin_scheduling 0
		.amdhsa_exception_fp_ieee_invalid_op 0
		.amdhsa_exception_fp_denorm_src 0
		.amdhsa_exception_fp_ieee_div_zero 0
		.amdhsa_exception_fp_ieee_overflow 0
		.amdhsa_exception_fp_ieee_underflow 0
		.amdhsa_exception_fp_ieee_inexact 0
		.amdhsa_exception_int_div_zero 0
	.end_amdhsa_kernel
	.section	.text._ZN7rocprim17ROCPRIM_400000_NS6detail17trampoline_kernelINS0_14default_configENS1_25partition_config_selectorILNS1_17partition_subalgoE6EN6thrust23THRUST_200600_302600_NS5tupleIiiNS7_9null_typeES9_S9_S9_S9_S9_S9_S9_EENS0_10empty_typeEbEEZZNS1_14partition_implILS5_6ELb0ES3_mNS7_12zip_iteratorINS8_INS7_6detail15normal_iteratorINS7_10device_ptrIiEEEESJ_S9_S9_S9_S9_S9_S9_S9_S9_EEEEPSB_SM_NS0_5tupleIJNSE_INS8_ISJ_NS7_16discard_iteratorINS7_11use_defaultEEES9_S9_S9_S9_S9_S9_S9_S9_EEEESB_EEENSN_IJSM_SM_EEESB_PlJNSF_9not_fun_tINSF_14equal_to_valueISA_EEEEEEE10hipError_tPvRmT3_T4_T5_T6_T7_T9_mT8_P12ihipStream_tbDpT10_ENKUlT_T0_E_clISt17integral_constantIbLb0EES1I_IbLb1EEEEDaS1E_S1F_EUlS1E_E_NS1_11comp_targetILNS1_3genE5ELNS1_11target_archE942ELNS1_3gpuE9ELNS1_3repE0EEENS1_30default_config_static_selectorELNS0_4arch9wavefront6targetE0EEEvT1_,"axG",@progbits,_ZN7rocprim17ROCPRIM_400000_NS6detail17trampoline_kernelINS0_14default_configENS1_25partition_config_selectorILNS1_17partition_subalgoE6EN6thrust23THRUST_200600_302600_NS5tupleIiiNS7_9null_typeES9_S9_S9_S9_S9_S9_S9_EENS0_10empty_typeEbEEZZNS1_14partition_implILS5_6ELb0ES3_mNS7_12zip_iteratorINS8_INS7_6detail15normal_iteratorINS7_10device_ptrIiEEEESJ_S9_S9_S9_S9_S9_S9_S9_S9_EEEEPSB_SM_NS0_5tupleIJNSE_INS8_ISJ_NS7_16discard_iteratorINS7_11use_defaultEEES9_S9_S9_S9_S9_S9_S9_S9_EEEESB_EEENSN_IJSM_SM_EEESB_PlJNSF_9not_fun_tINSF_14equal_to_valueISA_EEEEEEE10hipError_tPvRmT3_T4_T5_T6_T7_T9_mT8_P12ihipStream_tbDpT10_ENKUlT_T0_E_clISt17integral_constantIbLb0EES1I_IbLb1EEEEDaS1E_S1F_EUlS1E_E_NS1_11comp_targetILNS1_3genE5ELNS1_11target_archE942ELNS1_3gpuE9ELNS1_3repE0EEENS1_30default_config_static_selectorELNS0_4arch9wavefront6targetE0EEEvT1_,comdat
.Lfunc_end2038:
	.size	_ZN7rocprim17ROCPRIM_400000_NS6detail17trampoline_kernelINS0_14default_configENS1_25partition_config_selectorILNS1_17partition_subalgoE6EN6thrust23THRUST_200600_302600_NS5tupleIiiNS7_9null_typeES9_S9_S9_S9_S9_S9_S9_EENS0_10empty_typeEbEEZZNS1_14partition_implILS5_6ELb0ES3_mNS7_12zip_iteratorINS8_INS7_6detail15normal_iteratorINS7_10device_ptrIiEEEESJ_S9_S9_S9_S9_S9_S9_S9_S9_EEEEPSB_SM_NS0_5tupleIJNSE_INS8_ISJ_NS7_16discard_iteratorINS7_11use_defaultEEES9_S9_S9_S9_S9_S9_S9_S9_EEEESB_EEENSN_IJSM_SM_EEESB_PlJNSF_9not_fun_tINSF_14equal_to_valueISA_EEEEEEE10hipError_tPvRmT3_T4_T5_T6_T7_T9_mT8_P12ihipStream_tbDpT10_ENKUlT_T0_E_clISt17integral_constantIbLb0EES1I_IbLb1EEEEDaS1E_S1F_EUlS1E_E_NS1_11comp_targetILNS1_3genE5ELNS1_11target_archE942ELNS1_3gpuE9ELNS1_3repE0EEENS1_30default_config_static_selectorELNS0_4arch9wavefront6targetE0EEEvT1_, .Lfunc_end2038-_ZN7rocprim17ROCPRIM_400000_NS6detail17trampoline_kernelINS0_14default_configENS1_25partition_config_selectorILNS1_17partition_subalgoE6EN6thrust23THRUST_200600_302600_NS5tupleIiiNS7_9null_typeES9_S9_S9_S9_S9_S9_S9_EENS0_10empty_typeEbEEZZNS1_14partition_implILS5_6ELb0ES3_mNS7_12zip_iteratorINS8_INS7_6detail15normal_iteratorINS7_10device_ptrIiEEEESJ_S9_S9_S9_S9_S9_S9_S9_S9_EEEEPSB_SM_NS0_5tupleIJNSE_INS8_ISJ_NS7_16discard_iteratorINS7_11use_defaultEEES9_S9_S9_S9_S9_S9_S9_S9_EEEESB_EEENSN_IJSM_SM_EEESB_PlJNSF_9not_fun_tINSF_14equal_to_valueISA_EEEEEEE10hipError_tPvRmT3_T4_T5_T6_T7_T9_mT8_P12ihipStream_tbDpT10_ENKUlT_T0_E_clISt17integral_constantIbLb0EES1I_IbLb1EEEEDaS1E_S1F_EUlS1E_E_NS1_11comp_targetILNS1_3genE5ELNS1_11target_archE942ELNS1_3gpuE9ELNS1_3repE0EEENS1_30default_config_static_selectorELNS0_4arch9wavefront6targetE0EEEvT1_
                                        ; -- End function
	.set _ZN7rocprim17ROCPRIM_400000_NS6detail17trampoline_kernelINS0_14default_configENS1_25partition_config_selectorILNS1_17partition_subalgoE6EN6thrust23THRUST_200600_302600_NS5tupleIiiNS7_9null_typeES9_S9_S9_S9_S9_S9_S9_EENS0_10empty_typeEbEEZZNS1_14partition_implILS5_6ELb0ES3_mNS7_12zip_iteratorINS8_INS7_6detail15normal_iteratorINS7_10device_ptrIiEEEESJ_S9_S9_S9_S9_S9_S9_S9_S9_EEEEPSB_SM_NS0_5tupleIJNSE_INS8_ISJ_NS7_16discard_iteratorINS7_11use_defaultEEES9_S9_S9_S9_S9_S9_S9_S9_EEEESB_EEENSN_IJSM_SM_EEESB_PlJNSF_9not_fun_tINSF_14equal_to_valueISA_EEEEEEE10hipError_tPvRmT3_T4_T5_T6_T7_T9_mT8_P12ihipStream_tbDpT10_ENKUlT_T0_E_clISt17integral_constantIbLb0EES1I_IbLb1EEEEDaS1E_S1F_EUlS1E_E_NS1_11comp_targetILNS1_3genE5ELNS1_11target_archE942ELNS1_3gpuE9ELNS1_3repE0EEENS1_30default_config_static_selectorELNS0_4arch9wavefront6targetE0EEEvT1_.num_vgpr, 0
	.set _ZN7rocprim17ROCPRIM_400000_NS6detail17trampoline_kernelINS0_14default_configENS1_25partition_config_selectorILNS1_17partition_subalgoE6EN6thrust23THRUST_200600_302600_NS5tupleIiiNS7_9null_typeES9_S9_S9_S9_S9_S9_S9_EENS0_10empty_typeEbEEZZNS1_14partition_implILS5_6ELb0ES3_mNS7_12zip_iteratorINS8_INS7_6detail15normal_iteratorINS7_10device_ptrIiEEEESJ_S9_S9_S9_S9_S9_S9_S9_S9_EEEEPSB_SM_NS0_5tupleIJNSE_INS8_ISJ_NS7_16discard_iteratorINS7_11use_defaultEEES9_S9_S9_S9_S9_S9_S9_S9_EEEESB_EEENSN_IJSM_SM_EEESB_PlJNSF_9not_fun_tINSF_14equal_to_valueISA_EEEEEEE10hipError_tPvRmT3_T4_T5_T6_T7_T9_mT8_P12ihipStream_tbDpT10_ENKUlT_T0_E_clISt17integral_constantIbLb0EES1I_IbLb1EEEEDaS1E_S1F_EUlS1E_E_NS1_11comp_targetILNS1_3genE5ELNS1_11target_archE942ELNS1_3gpuE9ELNS1_3repE0EEENS1_30default_config_static_selectorELNS0_4arch9wavefront6targetE0EEEvT1_.num_agpr, 0
	.set _ZN7rocprim17ROCPRIM_400000_NS6detail17trampoline_kernelINS0_14default_configENS1_25partition_config_selectorILNS1_17partition_subalgoE6EN6thrust23THRUST_200600_302600_NS5tupleIiiNS7_9null_typeES9_S9_S9_S9_S9_S9_S9_EENS0_10empty_typeEbEEZZNS1_14partition_implILS5_6ELb0ES3_mNS7_12zip_iteratorINS8_INS7_6detail15normal_iteratorINS7_10device_ptrIiEEEESJ_S9_S9_S9_S9_S9_S9_S9_S9_EEEEPSB_SM_NS0_5tupleIJNSE_INS8_ISJ_NS7_16discard_iteratorINS7_11use_defaultEEES9_S9_S9_S9_S9_S9_S9_S9_EEEESB_EEENSN_IJSM_SM_EEESB_PlJNSF_9not_fun_tINSF_14equal_to_valueISA_EEEEEEE10hipError_tPvRmT3_T4_T5_T6_T7_T9_mT8_P12ihipStream_tbDpT10_ENKUlT_T0_E_clISt17integral_constantIbLb0EES1I_IbLb1EEEEDaS1E_S1F_EUlS1E_E_NS1_11comp_targetILNS1_3genE5ELNS1_11target_archE942ELNS1_3gpuE9ELNS1_3repE0EEENS1_30default_config_static_selectorELNS0_4arch9wavefront6targetE0EEEvT1_.numbered_sgpr, 0
	.set _ZN7rocprim17ROCPRIM_400000_NS6detail17trampoline_kernelINS0_14default_configENS1_25partition_config_selectorILNS1_17partition_subalgoE6EN6thrust23THRUST_200600_302600_NS5tupleIiiNS7_9null_typeES9_S9_S9_S9_S9_S9_S9_EENS0_10empty_typeEbEEZZNS1_14partition_implILS5_6ELb0ES3_mNS7_12zip_iteratorINS8_INS7_6detail15normal_iteratorINS7_10device_ptrIiEEEESJ_S9_S9_S9_S9_S9_S9_S9_S9_EEEEPSB_SM_NS0_5tupleIJNSE_INS8_ISJ_NS7_16discard_iteratorINS7_11use_defaultEEES9_S9_S9_S9_S9_S9_S9_S9_EEEESB_EEENSN_IJSM_SM_EEESB_PlJNSF_9not_fun_tINSF_14equal_to_valueISA_EEEEEEE10hipError_tPvRmT3_T4_T5_T6_T7_T9_mT8_P12ihipStream_tbDpT10_ENKUlT_T0_E_clISt17integral_constantIbLb0EES1I_IbLb1EEEEDaS1E_S1F_EUlS1E_E_NS1_11comp_targetILNS1_3genE5ELNS1_11target_archE942ELNS1_3gpuE9ELNS1_3repE0EEENS1_30default_config_static_selectorELNS0_4arch9wavefront6targetE0EEEvT1_.num_named_barrier, 0
	.set _ZN7rocprim17ROCPRIM_400000_NS6detail17trampoline_kernelINS0_14default_configENS1_25partition_config_selectorILNS1_17partition_subalgoE6EN6thrust23THRUST_200600_302600_NS5tupleIiiNS7_9null_typeES9_S9_S9_S9_S9_S9_S9_EENS0_10empty_typeEbEEZZNS1_14partition_implILS5_6ELb0ES3_mNS7_12zip_iteratorINS8_INS7_6detail15normal_iteratorINS7_10device_ptrIiEEEESJ_S9_S9_S9_S9_S9_S9_S9_S9_EEEEPSB_SM_NS0_5tupleIJNSE_INS8_ISJ_NS7_16discard_iteratorINS7_11use_defaultEEES9_S9_S9_S9_S9_S9_S9_S9_EEEESB_EEENSN_IJSM_SM_EEESB_PlJNSF_9not_fun_tINSF_14equal_to_valueISA_EEEEEEE10hipError_tPvRmT3_T4_T5_T6_T7_T9_mT8_P12ihipStream_tbDpT10_ENKUlT_T0_E_clISt17integral_constantIbLb0EES1I_IbLb1EEEEDaS1E_S1F_EUlS1E_E_NS1_11comp_targetILNS1_3genE5ELNS1_11target_archE942ELNS1_3gpuE9ELNS1_3repE0EEENS1_30default_config_static_selectorELNS0_4arch9wavefront6targetE0EEEvT1_.private_seg_size, 0
	.set _ZN7rocprim17ROCPRIM_400000_NS6detail17trampoline_kernelINS0_14default_configENS1_25partition_config_selectorILNS1_17partition_subalgoE6EN6thrust23THRUST_200600_302600_NS5tupleIiiNS7_9null_typeES9_S9_S9_S9_S9_S9_S9_EENS0_10empty_typeEbEEZZNS1_14partition_implILS5_6ELb0ES3_mNS7_12zip_iteratorINS8_INS7_6detail15normal_iteratorINS7_10device_ptrIiEEEESJ_S9_S9_S9_S9_S9_S9_S9_S9_EEEEPSB_SM_NS0_5tupleIJNSE_INS8_ISJ_NS7_16discard_iteratorINS7_11use_defaultEEES9_S9_S9_S9_S9_S9_S9_S9_EEEESB_EEENSN_IJSM_SM_EEESB_PlJNSF_9not_fun_tINSF_14equal_to_valueISA_EEEEEEE10hipError_tPvRmT3_T4_T5_T6_T7_T9_mT8_P12ihipStream_tbDpT10_ENKUlT_T0_E_clISt17integral_constantIbLb0EES1I_IbLb1EEEEDaS1E_S1F_EUlS1E_E_NS1_11comp_targetILNS1_3genE5ELNS1_11target_archE942ELNS1_3gpuE9ELNS1_3repE0EEENS1_30default_config_static_selectorELNS0_4arch9wavefront6targetE0EEEvT1_.uses_vcc, 0
	.set _ZN7rocprim17ROCPRIM_400000_NS6detail17trampoline_kernelINS0_14default_configENS1_25partition_config_selectorILNS1_17partition_subalgoE6EN6thrust23THRUST_200600_302600_NS5tupleIiiNS7_9null_typeES9_S9_S9_S9_S9_S9_S9_EENS0_10empty_typeEbEEZZNS1_14partition_implILS5_6ELb0ES3_mNS7_12zip_iteratorINS8_INS7_6detail15normal_iteratorINS7_10device_ptrIiEEEESJ_S9_S9_S9_S9_S9_S9_S9_S9_EEEEPSB_SM_NS0_5tupleIJNSE_INS8_ISJ_NS7_16discard_iteratorINS7_11use_defaultEEES9_S9_S9_S9_S9_S9_S9_S9_EEEESB_EEENSN_IJSM_SM_EEESB_PlJNSF_9not_fun_tINSF_14equal_to_valueISA_EEEEEEE10hipError_tPvRmT3_T4_T5_T6_T7_T9_mT8_P12ihipStream_tbDpT10_ENKUlT_T0_E_clISt17integral_constantIbLb0EES1I_IbLb1EEEEDaS1E_S1F_EUlS1E_E_NS1_11comp_targetILNS1_3genE5ELNS1_11target_archE942ELNS1_3gpuE9ELNS1_3repE0EEENS1_30default_config_static_selectorELNS0_4arch9wavefront6targetE0EEEvT1_.uses_flat_scratch, 0
	.set _ZN7rocprim17ROCPRIM_400000_NS6detail17trampoline_kernelINS0_14default_configENS1_25partition_config_selectorILNS1_17partition_subalgoE6EN6thrust23THRUST_200600_302600_NS5tupleIiiNS7_9null_typeES9_S9_S9_S9_S9_S9_S9_EENS0_10empty_typeEbEEZZNS1_14partition_implILS5_6ELb0ES3_mNS7_12zip_iteratorINS8_INS7_6detail15normal_iteratorINS7_10device_ptrIiEEEESJ_S9_S9_S9_S9_S9_S9_S9_S9_EEEEPSB_SM_NS0_5tupleIJNSE_INS8_ISJ_NS7_16discard_iteratorINS7_11use_defaultEEES9_S9_S9_S9_S9_S9_S9_S9_EEEESB_EEENSN_IJSM_SM_EEESB_PlJNSF_9not_fun_tINSF_14equal_to_valueISA_EEEEEEE10hipError_tPvRmT3_T4_T5_T6_T7_T9_mT8_P12ihipStream_tbDpT10_ENKUlT_T0_E_clISt17integral_constantIbLb0EES1I_IbLb1EEEEDaS1E_S1F_EUlS1E_E_NS1_11comp_targetILNS1_3genE5ELNS1_11target_archE942ELNS1_3gpuE9ELNS1_3repE0EEENS1_30default_config_static_selectorELNS0_4arch9wavefront6targetE0EEEvT1_.has_dyn_sized_stack, 0
	.set _ZN7rocprim17ROCPRIM_400000_NS6detail17trampoline_kernelINS0_14default_configENS1_25partition_config_selectorILNS1_17partition_subalgoE6EN6thrust23THRUST_200600_302600_NS5tupleIiiNS7_9null_typeES9_S9_S9_S9_S9_S9_S9_EENS0_10empty_typeEbEEZZNS1_14partition_implILS5_6ELb0ES3_mNS7_12zip_iteratorINS8_INS7_6detail15normal_iteratorINS7_10device_ptrIiEEEESJ_S9_S9_S9_S9_S9_S9_S9_S9_EEEEPSB_SM_NS0_5tupleIJNSE_INS8_ISJ_NS7_16discard_iteratorINS7_11use_defaultEEES9_S9_S9_S9_S9_S9_S9_S9_EEEESB_EEENSN_IJSM_SM_EEESB_PlJNSF_9not_fun_tINSF_14equal_to_valueISA_EEEEEEE10hipError_tPvRmT3_T4_T5_T6_T7_T9_mT8_P12ihipStream_tbDpT10_ENKUlT_T0_E_clISt17integral_constantIbLb0EES1I_IbLb1EEEEDaS1E_S1F_EUlS1E_E_NS1_11comp_targetILNS1_3genE5ELNS1_11target_archE942ELNS1_3gpuE9ELNS1_3repE0EEENS1_30default_config_static_selectorELNS0_4arch9wavefront6targetE0EEEvT1_.has_recursion, 0
	.set _ZN7rocprim17ROCPRIM_400000_NS6detail17trampoline_kernelINS0_14default_configENS1_25partition_config_selectorILNS1_17partition_subalgoE6EN6thrust23THRUST_200600_302600_NS5tupleIiiNS7_9null_typeES9_S9_S9_S9_S9_S9_S9_EENS0_10empty_typeEbEEZZNS1_14partition_implILS5_6ELb0ES3_mNS7_12zip_iteratorINS8_INS7_6detail15normal_iteratorINS7_10device_ptrIiEEEESJ_S9_S9_S9_S9_S9_S9_S9_S9_EEEEPSB_SM_NS0_5tupleIJNSE_INS8_ISJ_NS7_16discard_iteratorINS7_11use_defaultEEES9_S9_S9_S9_S9_S9_S9_S9_EEEESB_EEENSN_IJSM_SM_EEESB_PlJNSF_9not_fun_tINSF_14equal_to_valueISA_EEEEEEE10hipError_tPvRmT3_T4_T5_T6_T7_T9_mT8_P12ihipStream_tbDpT10_ENKUlT_T0_E_clISt17integral_constantIbLb0EES1I_IbLb1EEEEDaS1E_S1F_EUlS1E_E_NS1_11comp_targetILNS1_3genE5ELNS1_11target_archE942ELNS1_3gpuE9ELNS1_3repE0EEENS1_30default_config_static_selectorELNS0_4arch9wavefront6targetE0EEEvT1_.has_indirect_call, 0
	.section	.AMDGPU.csdata,"",@progbits
; Kernel info:
; codeLenInByte = 0
; TotalNumSgprs: 0
; NumVgprs: 0
; ScratchSize: 0
; MemoryBound: 0
; FloatMode: 240
; IeeeMode: 1
; LDSByteSize: 0 bytes/workgroup (compile time only)
; SGPRBlocks: 0
; VGPRBlocks: 0
; NumSGPRsForWavesPerEU: 1
; NumVGPRsForWavesPerEU: 1
; Occupancy: 16
; WaveLimiterHint : 0
; COMPUTE_PGM_RSRC2:SCRATCH_EN: 0
; COMPUTE_PGM_RSRC2:USER_SGPR: 2
; COMPUTE_PGM_RSRC2:TRAP_HANDLER: 0
; COMPUTE_PGM_RSRC2:TGID_X_EN: 1
; COMPUTE_PGM_RSRC2:TGID_Y_EN: 0
; COMPUTE_PGM_RSRC2:TGID_Z_EN: 0
; COMPUTE_PGM_RSRC2:TIDIG_COMP_CNT: 0
	.section	.text._ZN7rocprim17ROCPRIM_400000_NS6detail17trampoline_kernelINS0_14default_configENS1_25partition_config_selectorILNS1_17partition_subalgoE6EN6thrust23THRUST_200600_302600_NS5tupleIiiNS7_9null_typeES9_S9_S9_S9_S9_S9_S9_EENS0_10empty_typeEbEEZZNS1_14partition_implILS5_6ELb0ES3_mNS7_12zip_iteratorINS8_INS7_6detail15normal_iteratorINS7_10device_ptrIiEEEESJ_S9_S9_S9_S9_S9_S9_S9_S9_EEEEPSB_SM_NS0_5tupleIJNSE_INS8_ISJ_NS7_16discard_iteratorINS7_11use_defaultEEES9_S9_S9_S9_S9_S9_S9_S9_EEEESB_EEENSN_IJSM_SM_EEESB_PlJNSF_9not_fun_tINSF_14equal_to_valueISA_EEEEEEE10hipError_tPvRmT3_T4_T5_T6_T7_T9_mT8_P12ihipStream_tbDpT10_ENKUlT_T0_E_clISt17integral_constantIbLb0EES1I_IbLb1EEEEDaS1E_S1F_EUlS1E_E_NS1_11comp_targetILNS1_3genE4ELNS1_11target_archE910ELNS1_3gpuE8ELNS1_3repE0EEENS1_30default_config_static_selectorELNS0_4arch9wavefront6targetE0EEEvT1_,"axG",@progbits,_ZN7rocprim17ROCPRIM_400000_NS6detail17trampoline_kernelINS0_14default_configENS1_25partition_config_selectorILNS1_17partition_subalgoE6EN6thrust23THRUST_200600_302600_NS5tupleIiiNS7_9null_typeES9_S9_S9_S9_S9_S9_S9_EENS0_10empty_typeEbEEZZNS1_14partition_implILS5_6ELb0ES3_mNS7_12zip_iteratorINS8_INS7_6detail15normal_iteratorINS7_10device_ptrIiEEEESJ_S9_S9_S9_S9_S9_S9_S9_S9_EEEEPSB_SM_NS0_5tupleIJNSE_INS8_ISJ_NS7_16discard_iteratorINS7_11use_defaultEEES9_S9_S9_S9_S9_S9_S9_S9_EEEESB_EEENSN_IJSM_SM_EEESB_PlJNSF_9not_fun_tINSF_14equal_to_valueISA_EEEEEEE10hipError_tPvRmT3_T4_T5_T6_T7_T9_mT8_P12ihipStream_tbDpT10_ENKUlT_T0_E_clISt17integral_constantIbLb0EES1I_IbLb1EEEEDaS1E_S1F_EUlS1E_E_NS1_11comp_targetILNS1_3genE4ELNS1_11target_archE910ELNS1_3gpuE8ELNS1_3repE0EEENS1_30default_config_static_selectorELNS0_4arch9wavefront6targetE0EEEvT1_,comdat
	.protected	_ZN7rocprim17ROCPRIM_400000_NS6detail17trampoline_kernelINS0_14default_configENS1_25partition_config_selectorILNS1_17partition_subalgoE6EN6thrust23THRUST_200600_302600_NS5tupleIiiNS7_9null_typeES9_S9_S9_S9_S9_S9_S9_EENS0_10empty_typeEbEEZZNS1_14partition_implILS5_6ELb0ES3_mNS7_12zip_iteratorINS8_INS7_6detail15normal_iteratorINS7_10device_ptrIiEEEESJ_S9_S9_S9_S9_S9_S9_S9_S9_EEEEPSB_SM_NS0_5tupleIJNSE_INS8_ISJ_NS7_16discard_iteratorINS7_11use_defaultEEES9_S9_S9_S9_S9_S9_S9_S9_EEEESB_EEENSN_IJSM_SM_EEESB_PlJNSF_9not_fun_tINSF_14equal_to_valueISA_EEEEEEE10hipError_tPvRmT3_T4_T5_T6_T7_T9_mT8_P12ihipStream_tbDpT10_ENKUlT_T0_E_clISt17integral_constantIbLb0EES1I_IbLb1EEEEDaS1E_S1F_EUlS1E_E_NS1_11comp_targetILNS1_3genE4ELNS1_11target_archE910ELNS1_3gpuE8ELNS1_3repE0EEENS1_30default_config_static_selectorELNS0_4arch9wavefront6targetE0EEEvT1_ ; -- Begin function _ZN7rocprim17ROCPRIM_400000_NS6detail17trampoline_kernelINS0_14default_configENS1_25partition_config_selectorILNS1_17partition_subalgoE6EN6thrust23THRUST_200600_302600_NS5tupleIiiNS7_9null_typeES9_S9_S9_S9_S9_S9_S9_EENS0_10empty_typeEbEEZZNS1_14partition_implILS5_6ELb0ES3_mNS7_12zip_iteratorINS8_INS7_6detail15normal_iteratorINS7_10device_ptrIiEEEESJ_S9_S9_S9_S9_S9_S9_S9_S9_EEEEPSB_SM_NS0_5tupleIJNSE_INS8_ISJ_NS7_16discard_iteratorINS7_11use_defaultEEES9_S9_S9_S9_S9_S9_S9_S9_EEEESB_EEENSN_IJSM_SM_EEESB_PlJNSF_9not_fun_tINSF_14equal_to_valueISA_EEEEEEE10hipError_tPvRmT3_T4_T5_T6_T7_T9_mT8_P12ihipStream_tbDpT10_ENKUlT_T0_E_clISt17integral_constantIbLb0EES1I_IbLb1EEEEDaS1E_S1F_EUlS1E_E_NS1_11comp_targetILNS1_3genE4ELNS1_11target_archE910ELNS1_3gpuE8ELNS1_3repE0EEENS1_30default_config_static_selectorELNS0_4arch9wavefront6targetE0EEEvT1_
	.globl	_ZN7rocprim17ROCPRIM_400000_NS6detail17trampoline_kernelINS0_14default_configENS1_25partition_config_selectorILNS1_17partition_subalgoE6EN6thrust23THRUST_200600_302600_NS5tupleIiiNS7_9null_typeES9_S9_S9_S9_S9_S9_S9_EENS0_10empty_typeEbEEZZNS1_14partition_implILS5_6ELb0ES3_mNS7_12zip_iteratorINS8_INS7_6detail15normal_iteratorINS7_10device_ptrIiEEEESJ_S9_S9_S9_S9_S9_S9_S9_S9_EEEEPSB_SM_NS0_5tupleIJNSE_INS8_ISJ_NS7_16discard_iteratorINS7_11use_defaultEEES9_S9_S9_S9_S9_S9_S9_S9_EEEESB_EEENSN_IJSM_SM_EEESB_PlJNSF_9not_fun_tINSF_14equal_to_valueISA_EEEEEEE10hipError_tPvRmT3_T4_T5_T6_T7_T9_mT8_P12ihipStream_tbDpT10_ENKUlT_T0_E_clISt17integral_constantIbLb0EES1I_IbLb1EEEEDaS1E_S1F_EUlS1E_E_NS1_11comp_targetILNS1_3genE4ELNS1_11target_archE910ELNS1_3gpuE8ELNS1_3repE0EEENS1_30default_config_static_selectorELNS0_4arch9wavefront6targetE0EEEvT1_
	.p2align	8
	.type	_ZN7rocprim17ROCPRIM_400000_NS6detail17trampoline_kernelINS0_14default_configENS1_25partition_config_selectorILNS1_17partition_subalgoE6EN6thrust23THRUST_200600_302600_NS5tupleIiiNS7_9null_typeES9_S9_S9_S9_S9_S9_S9_EENS0_10empty_typeEbEEZZNS1_14partition_implILS5_6ELb0ES3_mNS7_12zip_iteratorINS8_INS7_6detail15normal_iteratorINS7_10device_ptrIiEEEESJ_S9_S9_S9_S9_S9_S9_S9_S9_EEEEPSB_SM_NS0_5tupleIJNSE_INS8_ISJ_NS7_16discard_iteratorINS7_11use_defaultEEES9_S9_S9_S9_S9_S9_S9_S9_EEEESB_EEENSN_IJSM_SM_EEESB_PlJNSF_9not_fun_tINSF_14equal_to_valueISA_EEEEEEE10hipError_tPvRmT3_T4_T5_T6_T7_T9_mT8_P12ihipStream_tbDpT10_ENKUlT_T0_E_clISt17integral_constantIbLb0EES1I_IbLb1EEEEDaS1E_S1F_EUlS1E_E_NS1_11comp_targetILNS1_3genE4ELNS1_11target_archE910ELNS1_3gpuE8ELNS1_3repE0EEENS1_30default_config_static_selectorELNS0_4arch9wavefront6targetE0EEEvT1_,@function
_ZN7rocprim17ROCPRIM_400000_NS6detail17trampoline_kernelINS0_14default_configENS1_25partition_config_selectorILNS1_17partition_subalgoE6EN6thrust23THRUST_200600_302600_NS5tupleIiiNS7_9null_typeES9_S9_S9_S9_S9_S9_S9_EENS0_10empty_typeEbEEZZNS1_14partition_implILS5_6ELb0ES3_mNS7_12zip_iteratorINS8_INS7_6detail15normal_iteratorINS7_10device_ptrIiEEEESJ_S9_S9_S9_S9_S9_S9_S9_S9_EEEEPSB_SM_NS0_5tupleIJNSE_INS8_ISJ_NS7_16discard_iteratorINS7_11use_defaultEEES9_S9_S9_S9_S9_S9_S9_S9_EEEESB_EEENSN_IJSM_SM_EEESB_PlJNSF_9not_fun_tINSF_14equal_to_valueISA_EEEEEEE10hipError_tPvRmT3_T4_T5_T6_T7_T9_mT8_P12ihipStream_tbDpT10_ENKUlT_T0_E_clISt17integral_constantIbLb0EES1I_IbLb1EEEEDaS1E_S1F_EUlS1E_E_NS1_11comp_targetILNS1_3genE4ELNS1_11target_archE910ELNS1_3gpuE8ELNS1_3repE0EEENS1_30default_config_static_selectorELNS0_4arch9wavefront6targetE0EEEvT1_: ; @_ZN7rocprim17ROCPRIM_400000_NS6detail17trampoline_kernelINS0_14default_configENS1_25partition_config_selectorILNS1_17partition_subalgoE6EN6thrust23THRUST_200600_302600_NS5tupleIiiNS7_9null_typeES9_S9_S9_S9_S9_S9_S9_EENS0_10empty_typeEbEEZZNS1_14partition_implILS5_6ELb0ES3_mNS7_12zip_iteratorINS8_INS7_6detail15normal_iteratorINS7_10device_ptrIiEEEESJ_S9_S9_S9_S9_S9_S9_S9_S9_EEEEPSB_SM_NS0_5tupleIJNSE_INS8_ISJ_NS7_16discard_iteratorINS7_11use_defaultEEES9_S9_S9_S9_S9_S9_S9_S9_EEEESB_EEENSN_IJSM_SM_EEESB_PlJNSF_9not_fun_tINSF_14equal_to_valueISA_EEEEEEE10hipError_tPvRmT3_T4_T5_T6_T7_T9_mT8_P12ihipStream_tbDpT10_ENKUlT_T0_E_clISt17integral_constantIbLb0EES1I_IbLb1EEEEDaS1E_S1F_EUlS1E_E_NS1_11comp_targetILNS1_3genE4ELNS1_11target_archE910ELNS1_3gpuE8ELNS1_3repE0EEENS1_30default_config_static_selectorELNS0_4arch9wavefront6targetE0EEEvT1_
; %bb.0:
	.section	.rodata,"a",@progbits
	.p2align	6, 0x0
	.amdhsa_kernel _ZN7rocprim17ROCPRIM_400000_NS6detail17trampoline_kernelINS0_14default_configENS1_25partition_config_selectorILNS1_17partition_subalgoE6EN6thrust23THRUST_200600_302600_NS5tupleIiiNS7_9null_typeES9_S9_S9_S9_S9_S9_S9_EENS0_10empty_typeEbEEZZNS1_14partition_implILS5_6ELb0ES3_mNS7_12zip_iteratorINS8_INS7_6detail15normal_iteratorINS7_10device_ptrIiEEEESJ_S9_S9_S9_S9_S9_S9_S9_S9_EEEEPSB_SM_NS0_5tupleIJNSE_INS8_ISJ_NS7_16discard_iteratorINS7_11use_defaultEEES9_S9_S9_S9_S9_S9_S9_S9_EEEESB_EEENSN_IJSM_SM_EEESB_PlJNSF_9not_fun_tINSF_14equal_to_valueISA_EEEEEEE10hipError_tPvRmT3_T4_T5_T6_T7_T9_mT8_P12ihipStream_tbDpT10_ENKUlT_T0_E_clISt17integral_constantIbLb0EES1I_IbLb1EEEEDaS1E_S1F_EUlS1E_E_NS1_11comp_targetILNS1_3genE4ELNS1_11target_archE910ELNS1_3gpuE8ELNS1_3repE0EEENS1_30default_config_static_selectorELNS0_4arch9wavefront6targetE0EEEvT1_
		.amdhsa_group_segment_fixed_size 0
		.amdhsa_private_segment_fixed_size 0
		.amdhsa_kernarg_size 152
		.amdhsa_user_sgpr_count 2
		.amdhsa_user_sgpr_dispatch_ptr 0
		.amdhsa_user_sgpr_queue_ptr 0
		.amdhsa_user_sgpr_kernarg_segment_ptr 1
		.amdhsa_user_sgpr_dispatch_id 0
		.amdhsa_user_sgpr_private_segment_size 0
		.amdhsa_wavefront_size32 1
		.amdhsa_uses_dynamic_stack 0
		.amdhsa_enable_private_segment 0
		.amdhsa_system_sgpr_workgroup_id_x 1
		.amdhsa_system_sgpr_workgroup_id_y 0
		.amdhsa_system_sgpr_workgroup_id_z 0
		.amdhsa_system_sgpr_workgroup_info 0
		.amdhsa_system_vgpr_workitem_id 0
		.amdhsa_next_free_vgpr 1
		.amdhsa_next_free_sgpr 1
		.amdhsa_reserve_vcc 0
		.amdhsa_float_round_mode_32 0
		.amdhsa_float_round_mode_16_64 0
		.amdhsa_float_denorm_mode_32 3
		.amdhsa_float_denorm_mode_16_64 3
		.amdhsa_fp16_overflow 0
		.amdhsa_workgroup_processor_mode 1
		.amdhsa_memory_ordered 1
		.amdhsa_forward_progress 1
		.amdhsa_inst_pref_size 0
		.amdhsa_round_robin_scheduling 0
		.amdhsa_exception_fp_ieee_invalid_op 0
		.amdhsa_exception_fp_denorm_src 0
		.amdhsa_exception_fp_ieee_div_zero 0
		.amdhsa_exception_fp_ieee_overflow 0
		.amdhsa_exception_fp_ieee_underflow 0
		.amdhsa_exception_fp_ieee_inexact 0
		.amdhsa_exception_int_div_zero 0
	.end_amdhsa_kernel
	.section	.text._ZN7rocprim17ROCPRIM_400000_NS6detail17trampoline_kernelINS0_14default_configENS1_25partition_config_selectorILNS1_17partition_subalgoE6EN6thrust23THRUST_200600_302600_NS5tupleIiiNS7_9null_typeES9_S9_S9_S9_S9_S9_S9_EENS0_10empty_typeEbEEZZNS1_14partition_implILS5_6ELb0ES3_mNS7_12zip_iteratorINS8_INS7_6detail15normal_iteratorINS7_10device_ptrIiEEEESJ_S9_S9_S9_S9_S9_S9_S9_S9_EEEEPSB_SM_NS0_5tupleIJNSE_INS8_ISJ_NS7_16discard_iteratorINS7_11use_defaultEEES9_S9_S9_S9_S9_S9_S9_S9_EEEESB_EEENSN_IJSM_SM_EEESB_PlJNSF_9not_fun_tINSF_14equal_to_valueISA_EEEEEEE10hipError_tPvRmT3_T4_T5_T6_T7_T9_mT8_P12ihipStream_tbDpT10_ENKUlT_T0_E_clISt17integral_constantIbLb0EES1I_IbLb1EEEEDaS1E_S1F_EUlS1E_E_NS1_11comp_targetILNS1_3genE4ELNS1_11target_archE910ELNS1_3gpuE8ELNS1_3repE0EEENS1_30default_config_static_selectorELNS0_4arch9wavefront6targetE0EEEvT1_,"axG",@progbits,_ZN7rocprim17ROCPRIM_400000_NS6detail17trampoline_kernelINS0_14default_configENS1_25partition_config_selectorILNS1_17partition_subalgoE6EN6thrust23THRUST_200600_302600_NS5tupleIiiNS7_9null_typeES9_S9_S9_S9_S9_S9_S9_EENS0_10empty_typeEbEEZZNS1_14partition_implILS5_6ELb0ES3_mNS7_12zip_iteratorINS8_INS7_6detail15normal_iteratorINS7_10device_ptrIiEEEESJ_S9_S9_S9_S9_S9_S9_S9_S9_EEEEPSB_SM_NS0_5tupleIJNSE_INS8_ISJ_NS7_16discard_iteratorINS7_11use_defaultEEES9_S9_S9_S9_S9_S9_S9_S9_EEEESB_EEENSN_IJSM_SM_EEESB_PlJNSF_9not_fun_tINSF_14equal_to_valueISA_EEEEEEE10hipError_tPvRmT3_T4_T5_T6_T7_T9_mT8_P12ihipStream_tbDpT10_ENKUlT_T0_E_clISt17integral_constantIbLb0EES1I_IbLb1EEEEDaS1E_S1F_EUlS1E_E_NS1_11comp_targetILNS1_3genE4ELNS1_11target_archE910ELNS1_3gpuE8ELNS1_3repE0EEENS1_30default_config_static_selectorELNS0_4arch9wavefront6targetE0EEEvT1_,comdat
.Lfunc_end2039:
	.size	_ZN7rocprim17ROCPRIM_400000_NS6detail17trampoline_kernelINS0_14default_configENS1_25partition_config_selectorILNS1_17partition_subalgoE6EN6thrust23THRUST_200600_302600_NS5tupleIiiNS7_9null_typeES9_S9_S9_S9_S9_S9_S9_EENS0_10empty_typeEbEEZZNS1_14partition_implILS5_6ELb0ES3_mNS7_12zip_iteratorINS8_INS7_6detail15normal_iteratorINS7_10device_ptrIiEEEESJ_S9_S9_S9_S9_S9_S9_S9_S9_EEEEPSB_SM_NS0_5tupleIJNSE_INS8_ISJ_NS7_16discard_iteratorINS7_11use_defaultEEES9_S9_S9_S9_S9_S9_S9_S9_EEEESB_EEENSN_IJSM_SM_EEESB_PlJNSF_9not_fun_tINSF_14equal_to_valueISA_EEEEEEE10hipError_tPvRmT3_T4_T5_T6_T7_T9_mT8_P12ihipStream_tbDpT10_ENKUlT_T0_E_clISt17integral_constantIbLb0EES1I_IbLb1EEEEDaS1E_S1F_EUlS1E_E_NS1_11comp_targetILNS1_3genE4ELNS1_11target_archE910ELNS1_3gpuE8ELNS1_3repE0EEENS1_30default_config_static_selectorELNS0_4arch9wavefront6targetE0EEEvT1_, .Lfunc_end2039-_ZN7rocprim17ROCPRIM_400000_NS6detail17trampoline_kernelINS0_14default_configENS1_25partition_config_selectorILNS1_17partition_subalgoE6EN6thrust23THRUST_200600_302600_NS5tupleIiiNS7_9null_typeES9_S9_S9_S9_S9_S9_S9_EENS0_10empty_typeEbEEZZNS1_14partition_implILS5_6ELb0ES3_mNS7_12zip_iteratorINS8_INS7_6detail15normal_iteratorINS7_10device_ptrIiEEEESJ_S9_S9_S9_S9_S9_S9_S9_S9_EEEEPSB_SM_NS0_5tupleIJNSE_INS8_ISJ_NS7_16discard_iteratorINS7_11use_defaultEEES9_S9_S9_S9_S9_S9_S9_S9_EEEESB_EEENSN_IJSM_SM_EEESB_PlJNSF_9not_fun_tINSF_14equal_to_valueISA_EEEEEEE10hipError_tPvRmT3_T4_T5_T6_T7_T9_mT8_P12ihipStream_tbDpT10_ENKUlT_T0_E_clISt17integral_constantIbLb0EES1I_IbLb1EEEEDaS1E_S1F_EUlS1E_E_NS1_11comp_targetILNS1_3genE4ELNS1_11target_archE910ELNS1_3gpuE8ELNS1_3repE0EEENS1_30default_config_static_selectorELNS0_4arch9wavefront6targetE0EEEvT1_
                                        ; -- End function
	.set _ZN7rocprim17ROCPRIM_400000_NS6detail17trampoline_kernelINS0_14default_configENS1_25partition_config_selectorILNS1_17partition_subalgoE6EN6thrust23THRUST_200600_302600_NS5tupleIiiNS7_9null_typeES9_S9_S9_S9_S9_S9_S9_EENS0_10empty_typeEbEEZZNS1_14partition_implILS5_6ELb0ES3_mNS7_12zip_iteratorINS8_INS7_6detail15normal_iteratorINS7_10device_ptrIiEEEESJ_S9_S9_S9_S9_S9_S9_S9_S9_EEEEPSB_SM_NS0_5tupleIJNSE_INS8_ISJ_NS7_16discard_iteratorINS7_11use_defaultEEES9_S9_S9_S9_S9_S9_S9_S9_EEEESB_EEENSN_IJSM_SM_EEESB_PlJNSF_9not_fun_tINSF_14equal_to_valueISA_EEEEEEE10hipError_tPvRmT3_T4_T5_T6_T7_T9_mT8_P12ihipStream_tbDpT10_ENKUlT_T0_E_clISt17integral_constantIbLb0EES1I_IbLb1EEEEDaS1E_S1F_EUlS1E_E_NS1_11comp_targetILNS1_3genE4ELNS1_11target_archE910ELNS1_3gpuE8ELNS1_3repE0EEENS1_30default_config_static_selectorELNS0_4arch9wavefront6targetE0EEEvT1_.num_vgpr, 0
	.set _ZN7rocprim17ROCPRIM_400000_NS6detail17trampoline_kernelINS0_14default_configENS1_25partition_config_selectorILNS1_17partition_subalgoE6EN6thrust23THRUST_200600_302600_NS5tupleIiiNS7_9null_typeES9_S9_S9_S9_S9_S9_S9_EENS0_10empty_typeEbEEZZNS1_14partition_implILS5_6ELb0ES3_mNS7_12zip_iteratorINS8_INS7_6detail15normal_iteratorINS7_10device_ptrIiEEEESJ_S9_S9_S9_S9_S9_S9_S9_S9_EEEEPSB_SM_NS0_5tupleIJNSE_INS8_ISJ_NS7_16discard_iteratorINS7_11use_defaultEEES9_S9_S9_S9_S9_S9_S9_S9_EEEESB_EEENSN_IJSM_SM_EEESB_PlJNSF_9not_fun_tINSF_14equal_to_valueISA_EEEEEEE10hipError_tPvRmT3_T4_T5_T6_T7_T9_mT8_P12ihipStream_tbDpT10_ENKUlT_T0_E_clISt17integral_constantIbLb0EES1I_IbLb1EEEEDaS1E_S1F_EUlS1E_E_NS1_11comp_targetILNS1_3genE4ELNS1_11target_archE910ELNS1_3gpuE8ELNS1_3repE0EEENS1_30default_config_static_selectorELNS0_4arch9wavefront6targetE0EEEvT1_.num_agpr, 0
	.set _ZN7rocprim17ROCPRIM_400000_NS6detail17trampoline_kernelINS0_14default_configENS1_25partition_config_selectorILNS1_17partition_subalgoE6EN6thrust23THRUST_200600_302600_NS5tupleIiiNS7_9null_typeES9_S9_S9_S9_S9_S9_S9_EENS0_10empty_typeEbEEZZNS1_14partition_implILS5_6ELb0ES3_mNS7_12zip_iteratorINS8_INS7_6detail15normal_iteratorINS7_10device_ptrIiEEEESJ_S9_S9_S9_S9_S9_S9_S9_S9_EEEEPSB_SM_NS0_5tupleIJNSE_INS8_ISJ_NS7_16discard_iteratorINS7_11use_defaultEEES9_S9_S9_S9_S9_S9_S9_S9_EEEESB_EEENSN_IJSM_SM_EEESB_PlJNSF_9not_fun_tINSF_14equal_to_valueISA_EEEEEEE10hipError_tPvRmT3_T4_T5_T6_T7_T9_mT8_P12ihipStream_tbDpT10_ENKUlT_T0_E_clISt17integral_constantIbLb0EES1I_IbLb1EEEEDaS1E_S1F_EUlS1E_E_NS1_11comp_targetILNS1_3genE4ELNS1_11target_archE910ELNS1_3gpuE8ELNS1_3repE0EEENS1_30default_config_static_selectorELNS0_4arch9wavefront6targetE0EEEvT1_.numbered_sgpr, 0
	.set _ZN7rocprim17ROCPRIM_400000_NS6detail17trampoline_kernelINS0_14default_configENS1_25partition_config_selectorILNS1_17partition_subalgoE6EN6thrust23THRUST_200600_302600_NS5tupleIiiNS7_9null_typeES9_S9_S9_S9_S9_S9_S9_EENS0_10empty_typeEbEEZZNS1_14partition_implILS5_6ELb0ES3_mNS7_12zip_iteratorINS8_INS7_6detail15normal_iteratorINS7_10device_ptrIiEEEESJ_S9_S9_S9_S9_S9_S9_S9_S9_EEEEPSB_SM_NS0_5tupleIJNSE_INS8_ISJ_NS7_16discard_iteratorINS7_11use_defaultEEES9_S9_S9_S9_S9_S9_S9_S9_EEEESB_EEENSN_IJSM_SM_EEESB_PlJNSF_9not_fun_tINSF_14equal_to_valueISA_EEEEEEE10hipError_tPvRmT3_T4_T5_T6_T7_T9_mT8_P12ihipStream_tbDpT10_ENKUlT_T0_E_clISt17integral_constantIbLb0EES1I_IbLb1EEEEDaS1E_S1F_EUlS1E_E_NS1_11comp_targetILNS1_3genE4ELNS1_11target_archE910ELNS1_3gpuE8ELNS1_3repE0EEENS1_30default_config_static_selectorELNS0_4arch9wavefront6targetE0EEEvT1_.num_named_barrier, 0
	.set _ZN7rocprim17ROCPRIM_400000_NS6detail17trampoline_kernelINS0_14default_configENS1_25partition_config_selectorILNS1_17partition_subalgoE6EN6thrust23THRUST_200600_302600_NS5tupleIiiNS7_9null_typeES9_S9_S9_S9_S9_S9_S9_EENS0_10empty_typeEbEEZZNS1_14partition_implILS5_6ELb0ES3_mNS7_12zip_iteratorINS8_INS7_6detail15normal_iteratorINS7_10device_ptrIiEEEESJ_S9_S9_S9_S9_S9_S9_S9_S9_EEEEPSB_SM_NS0_5tupleIJNSE_INS8_ISJ_NS7_16discard_iteratorINS7_11use_defaultEEES9_S9_S9_S9_S9_S9_S9_S9_EEEESB_EEENSN_IJSM_SM_EEESB_PlJNSF_9not_fun_tINSF_14equal_to_valueISA_EEEEEEE10hipError_tPvRmT3_T4_T5_T6_T7_T9_mT8_P12ihipStream_tbDpT10_ENKUlT_T0_E_clISt17integral_constantIbLb0EES1I_IbLb1EEEEDaS1E_S1F_EUlS1E_E_NS1_11comp_targetILNS1_3genE4ELNS1_11target_archE910ELNS1_3gpuE8ELNS1_3repE0EEENS1_30default_config_static_selectorELNS0_4arch9wavefront6targetE0EEEvT1_.private_seg_size, 0
	.set _ZN7rocprim17ROCPRIM_400000_NS6detail17trampoline_kernelINS0_14default_configENS1_25partition_config_selectorILNS1_17partition_subalgoE6EN6thrust23THRUST_200600_302600_NS5tupleIiiNS7_9null_typeES9_S9_S9_S9_S9_S9_S9_EENS0_10empty_typeEbEEZZNS1_14partition_implILS5_6ELb0ES3_mNS7_12zip_iteratorINS8_INS7_6detail15normal_iteratorINS7_10device_ptrIiEEEESJ_S9_S9_S9_S9_S9_S9_S9_S9_EEEEPSB_SM_NS0_5tupleIJNSE_INS8_ISJ_NS7_16discard_iteratorINS7_11use_defaultEEES9_S9_S9_S9_S9_S9_S9_S9_EEEESB_EEENSN_IJSM_SM_EEESB_PlJNSF_9not_fun_tINSF_14equal_to_valueISA_EEEEEEE10hipError_tPvRmT3_T4_T5_T6_T7_T9_mT8_P12ihipStream_tbDpT10_ENKUlT_T0_E_clISt17integral_constantIbLb0EES1I_IbLb1EEEEDaS1E_S1F_EUlS1E_E_NS1_11comp_targetILNS1_3genE4ELNS1_11target_archE910ELNS1_3gpuE8ELNS1_3repE0EEENS1_30default_config_static_selectorELNS0_4arch9wavefront6targetE0EEEvT1_.uses_vcc, 0
	.set _ZN7rocprim17ROCPRIM_400000_NS6detail17trampoline_kernelINS0_14default_configENS1_25partition_config_selectorILNS1_17partition_subalgoE6EN6thrust23THRUST_200600_302600_NS5tupleIiiNS7_9null_typeES9_S9_S9_S9_S9_S9_S9_EENS0_10empty_typeEbEEZZNS1_14partition_implILS5_6ELb0ES3_mNS7_12zip_iteratorINS8_INS7_6detail15normal_iteratorINS7_10device_ptrIiEEEESJ_S9_S9_S9_S9_S9_S9_S9_S9_EEEEPSB_SM_NS0_5tupleIJNSE_INS8_ISJ_NS7_16discard_iteratorINS7_11use_defaultEEES9_S9_S9_S9_S9_S9_S9_S9_EEEESB_EEENSN_IJSM_SM_EEESB_PlJNSF_9not_fun_tINSF_14equal_to_valueISA_EEEEEEE10hipError_tPvRmT3_T4_T5_T6_T7_T9_mT8_P12ihipStream_tbDpT10_ENKUlT_T0_E_clISt17integral_constantIbLb0EES1I_IbLb1EEEEDaS1E_S1F_EUlS1E_E_NS1_11comp_targetILNS1_3genE4ELNS1_11target_archE910ELNS1_3gpuE8ELNS1_3repE0EEENS1_30default_config_static_selectorELNS0_4arch9wavefront6targetE0EEEvT1_.uses_flat_scratch, 0
	.set _ZN7rocprim17ROCPRIM_400000_NS6detail17trampoline_kernelINS0_14default_configENS1_25partition_config_selectorILNS1_17partition_subalgoE6EN6thrust23THRUST_200600_302600_NS5tupleIiiNS7_9null_typeES9_S9_S9_S9_S9_S9_S9_EENS0_10empty_typeEbEEZZNS1_14partition_implILS5_6ELb0ES3_mNS7_12zip_iteratorINS8_INS7_6detail15normal_iteratorINS7_10device_ptrIiEEEESJ_S9_S9_S9_S9_S9_S9_S9_S9_EEEEPSB_SM_NS0_5tupleIJNSE_INS8_ISJ_NS7_16discard_iteratorINS7_11use_defaultEEES9_S9_S9_S9_S9_S9_S9_S9_EEEESB_EEENSN_IJSM_SM_EEESB_PlJNSF_9not_fun_tINSF_14equal_to_valueISA_EEEEEEE10hipError_tPvRmT3_T4_T5_T6_T7_T9_mT8_P12ihipStream_tbDpT10_ENKUlT_T0_E_clISt17integral_constantIbLb0EES1I_IbLb1EEEEDaS1E_S1F_EUlS1E_E_NS1_11comp_targetILNS1_3genE4ELNS1_11target_archE910ELNS1_3gpuE8ELNS1_3repE0EEENS1_30default_config_static_selectorELNS0_4arch9wavefront6targetE0EEEvT1_.has_dyn_sized_stack, 0
	.set _ZN7rocprim17ROCPRIM_400000_NS6detail17trampoline_kernelINS0_14default_configENS1_25partition_config_selectorILNS1_17partition_subalgoE6EN6thrust23THRUST_200600_302600_NS5tupleIiiNS7_9null_typeES9_S9_S9_S9_S9_S9_S9_EENS0_10empty_typeEbEEZZNS1_14partition_implILS5_6ELb0ES3_mNS7_12zip_iteratorINS8_INS7_6detail15normal_iteratorINS7_10device_ptrIiEEEESJ_S9_S9_S9_S9_S9_S9_S9_S9_EEEEPSB_SM_NS0_5tupleIJNSE_INS8_ISJ_NS7_16discard_iteratorINS7_11use_defaultEEES9_S9_S9_S9_S9_S9_S9_S9_EEEESB_EEENSN_IJSM_SM_EEESB_PlJNSF_9not_fun_tINSF_14equal_to_valueISA_EEEEEEE10hipError_tPvRmT3_T4_T5_T6_T7_T9_mT8_P12ihipStream_tbDpT10_ENKUlT_T0_E_clISt17integral_constantIbLb0EES1I_IbLb1EEEEDaS1E_S1F_EUlS1E_E_NS1_11comp_targetILNS1_3genE4ELNS1_11target_archE910ELNS1_3gpuE8ELNS1_3repE0EEENS1_30default_config_static_selectorELNS0_4arch9wavefront6targetE0EEEvT1_.has_recursion, 0
	.set _ZN7rocprim17ROCPRIM_400000_NS6detail17trampoline_kernelINS0_14default_configENS1_25partition_config_selectorILNS1_17partition_subalgoE6EN6thrust23THRUST_200600_302600_NS5tupleIiiNS7_9null_typeES9_S9_S9_S9_S9_S9_S9_EENS0_10empty_typeEbEEZZNS1_14partition_implILS5_6ELb0ES3_mNS7_12zip_iteratorINS8_INS7_6detail15normal_iteratorINS7_10device_ptrIiEEEESJ_S9_S9_S9_S9_S9_S9_S9_S9_EEEEPSB_SM_NS0_5tupleIJNSE_INS8_ISJ_NS7_16discard_iteratorINS7_11use_defaultEEES9_S9_S9_S9_S9_S9_S9_S9_EEEESB_EEENSN_IJSM_SM_EEESB_PlJNSF_9not_fun_tINSF_14equal_to_valueISA_EEEEEEE10hipError_tPvRmT3_T4_T5_T6_T7_T9_mT8_P12ihipStream_tbDpT10_ENKUlT_T0_E_clISt17integral_constantIbLb0EES1I_IbLb1EEEEDaS1E_S1F_EUlS1E_E_NS1_11comp_targetILNS1_3genE4ELNS1_11target_archE910ELNS1_3gpuE8ELNS1_3repE0EEENS1_30default_config_static_selectorELNS0_4arch9wavefront6targetE0EEEvT1_.has_indirect_call, 0
	.section	.AMDGPU.csdata,"",@progbits
; Kernel info:
; codeLenInByte = 0
; TotalNumSgprs: 0
; NumVgprs: 0
; ScratchSize: 0
; MemoryBound: 0
; FloatMode: 240
; IeeeMode: 1
; LDSByteSize: 0 bytes/workgroup (compile time only)
; SGPRBlocks: 0
; VGPRBlocks: 0
; NumSGPRsForWavesPerEU: 1
; NumVGPRsForWavesPerEU: 1
; Occupancy: 16
; WaveLimiterHint : 0
; COMPUTE_PGM_RSRC2:SCRATCH_EN: 0
; COMPUTE_PGM_RSRC2:USER_SGPR: 2
; COMPUTE_PGM_RSRC2:TRAP_HANDLER: 0
; COMPUTE_PGM_RSRC2:TGID_X_EN: 1
; COMPUTE_PGM_RSRC2:TGID_Y_EN: 0
; COMPUTE_PGM_RSRC2:TGID_Z_EN: 0
; COMPUTE_PGM_RSRC2:TIDIG_COMP_CNT: 0
	.section	.text._ZN7rocprim17ROCPRIM_400000_NS6detail17trampoline_kernelINS0_14default_configENS1_25partition_config_selectorILNS1_17partition_subalgoE6EN6thrust23THRUST_200600_302600_NS5tupleIiiNS7_9null_typeES9_S9_S9_S9_S9_S9_S9_EENS0_10empty_typeEbEEZZNS1_14partition_implILS5_6ELb0ES3_mNS7_12zip_iteratorINS8_INS7_6detail15normal_iteratorINS7_10device_ptrIiEEEESJ_S9_S9_S9_S9_S9_S9_S9_S9_EEEEPSB_SM_NS0_5tupleIJNSE_INS8_ISJ_NS7_16discard_iteratorINS7_11use_defaultEEES9_S9_S9_S9_S9_S9_S9_S9_EEEESB_EEENSN_IJSM_SM_EEESB_PlJNSF_9not_fun_tINSF_14equal_to_valueISA_EEEEEEE10hipError_tPvRmT3_T4_T5_T6_T7_T9_mT8_P12ihipStream_tbDpT10_ENKUlT_T0_E_clISt17integral_constantIbLb0EES1I_IbLb1EEEEDaS1E_S1F_EUlS1E_E_NS1_11comp_targetILNS1_3genE3ELNS1_11target_archE908ELNS1_3gpuE7ELNS1_3repE0EEENS1_30default_config_static_selectorELNS0_4arch9wavefront6targetE0EEEvT1_,"axG",@progbits,_ZN7rocprim17ROCPRIM_400000_NS6detail17trampoline_kernelINS0_14default_configENS1_25partition_config_selectorILNS1_17partition_subalgoE6EN6thrust23THRUST_200600_302600_NS5tupleIiiNS7_9null_typeES9_S9_S9_S9_S9_S9_S9_EENS0_10empty_typeEbEEZZNS1_14partition_implILS5_6ELb0ES3_mNS7_12zip_iteratorINS8_INS7_6detail15normal_iteratorINS7_10device_ptrIiEEEESJ_S9_S9_S9_S9_S9_S9_S9_S9_EEEEPSB_SM_NS0_5tupleIJNSE_INS8_ISJ_NS7_16discard_iteratorINS7_11use_defaultEEES9_S9_S9_S9_S9_S9_S9_S9_EEEESB_EEENSN_IJSM_SM_EEESB_PlJNSF_9not_fun_tINSF_14equal_to_valueISA_EEEEEEE10hipError_tPvRmT3_T4_T5_T6_T7_T9_mT8_P12ihipStream_tbDpT10_ENKUlT_T0_E_clISt17integral_constantIbLb0EES1I_IbLb1EEEEDaS1E_S1F_EUlS1E_E_NS1_11comp_targetILNS1_3genE3ELNS1_11target_archE908ELNS1_3gpuE7ELNS1_3repE0EEENS1_30default_config_static_selectorELNS0_4arch9wavefront6targetE0EEEvT1_,comdat
	.protected	_ZN7rocprim17ROCPRIM_400000_NS6detail17trampoline_kernelINS0_14default_configENS1_25partition_config_selectorILNS1_17partition_subalgoE6EN6thrust23THRUST_200600_302600_NS5tupleIiiNS7_9null_typeES9_S9_S9_S9_S9_S9_S9_EENS0_10empty_typeEbEEZZNS1_14partition_implILS5_6ELb0ES3_mNS7_12zip_iteratorINS8_INS7_6detail15normal_iteratorINS7_10device_ptrIiEEEESJ_S9_S9_S9_S9_S9_S9_S9_S9_EEEEPSB_SM_NS0_5tupleIJNSE_INS8_ISJ_NS7_16discard_iteratorINS7_11use_defaultEEES9_S9_S9_S9_S9_S9_S9_S9_EEEESB_EEENSN_IJSM_SM_EEESB_PlJNSF_9not_fun_tINSF_14equal_to_valueISA_EEEEEEE10hipError_tPvRmT3_T4_T5_T6_T7_T9_mT8_P12ihipStream_tbDpT10_ENKUlT_T0_E_clISt17integral_constantIbLb0EES1I_IbLb1EEEEDaS1E_S1F_EUlS1E_E_NS1_11comp_targetILNS1_3genE3ELNS1_11target_archE908ELNS1_3gpuE7ELNS1_3repE0EEENS1_30default_config_static_selectorELNS0_4arch9wavefront6targetE0EEEvT1_ ; -- Begin function _ZN7rocprim17ROCPRIM_400000_NS6detail17trampoline_kernelINS0_14default_configENS1_25partition_config_selectorILNS1_17partition_subalgoE6EN6thrust23THRUST_200600_302600_NS5tupleIiiNS7_9null_typeES9_S9_S9_S9_S9_S9_S9_EENS0_10empty_typeEbEEZZNS1_14partition_implILS5_6ELb0ES3_mNS7_12zip_iteratorINS8_INS7_6detail15normal_iteratorINS7_10device_ptrIiEEEESJ_S9_S9_S9_S9_S9_S9_S9_S9_EEEEPSB_SM_NS0_5tupleIJNSE_INS8_ISJ_NS7_16discard_iteratorINS7_11use_defaultEEES9_S9_S9_S9_S9_S9_S9_S9_EEEESB_EEENSN_IJSM_SM_EEESB_PlJNSF_9not_fun_tINSF_14equal_to_valueISA_EEEEEEE10hipError_tPvRmT3_T4_T5_T6_T7_T9_mT8_P12ihipStream_tbDpT10_ENKUlT_T0_E_clISt17integral_constantIbLb0EES1I_IbLb1EEEEDaS1E_S1F_EUlS1E_E_NS1_11comp_targetILNS1_3genE3ELNS1_11target_archE908ELNS1_3gpuE7ELNS1_3repE0EEENS1_30default_config_static_selectorELNS0_4arch9wavefront6targetE0EEEvT1_
	.globl	_ZN7rocprim17ROCPRIM_400000_NS6detail17trampoline_kernelINS0_14default_configENS1_25partition_config_selectorILNS1_17partition_subalgoE6EN6thrust23THRUST_200600_302600_NS5tupleIiiNS7_9null_typeES9_S9_S9_S9_S9_S9_S9_EENS0_10empty_typeEbEEZZNS1_14partition_implILS5_6ELb0ES3_mNS7_12zip_iteratorINS8_INS7_6detail15normal_iteratorINS7_10device_ptrIiEEEESJ_S9_S9_S9_S9_S9_S9_S9_S9_EEEEPSB_SM_NS0_5tupleIJNSE_INS8_ISJ_NS7_16discard_iteratorINS7_11use_defaultEEES9_S9_S9_S9_S9_S9_S9_S9_EEEESB_EEENSN_IJSM_SM_EEESB_PlJNSF_9not_fun_tINSF_14equal_to_valueISA_EEEEEEE10hipError_tPvRmT3_T4_T5_T6_T7_T9_mT8_P12ihipStream_tbDpT10_ENKUlT_T0_E_clISt17integral_constantIbLb0EES1I_IbLb1EEEEDaS1E_S1F_EUlS1E_E_NS1_11comp_targetILNS1_3genE3ELNS1_11target_archE908ELNS1_3gpuE7ELNS1_3repE0EEENS1_30default_config_static_selectorELNS0_4arch9wavefront6targetE0EEEvT1_
	.p2align	8
	.type	_ZN7rocprim17ROCPRIM_400000_NS6detail17trampoline_kernelINS0_14default_configENS1_25partition_config_selectorILNS1_17partition_subalgoE6EN6thrust23THRUST_200600_302600_NS5tupleIiiNS7_9null_typeES9_S9_S9_S9_S9_S9_S9_EENS0_10empty_typeEbEEZZNS1_14partition_implILS5_6ELb0ES3_mNS7_12zip_iteratorINS8_INS7_6detail15normal_iteratorINS7_10device_ptrIiEEEESJ_S9_S9_S9_S9_S9_S9_S9_S9_EEEEPSB_SM_NS0_5tupleIJNSE_INS8_ISJ_NS7_16discard_iteratorINS7_11use_defaultEEES9_S9_S9_S9_S9_S9_S9_S9_EEEESB_EEENSN_IJSM_SM_EEESB_PlJNSF_9not_fun_tINSF_14equal_to_valueISA_EEEEEEE10hipError_tPvRmT3_T4_T5_T6_T7_T9_mT8_P12ihipStream_tbDpT10_ENKUlT_T0_E_clISt17integral_constantIbLb0EES1I_IbLb1EEEEDaS1E_S1F_EUlS1E_E_NS1_11comp_targetILNS1_3genE3ELNS1_11target_archE908ELNS1_3gpuE7ELNS1_3repE0EEENS1_30default_config_static_selectorELNS0_4arch9wavefront6targetE0EEEvT1_,@function
_ZN7rocprim17ROCPRIM_400000_NS6detail17trampoline_kernelINS0_14default_configENS1_25partition_config_selectorILNS1_17partition_subalgoE6EN6thrust23THRUST_200600_302600_NS5tupleIiiNS7_9null_typeES9_S9_S9_S9_S9_S9_S9_EENS0_10empty_typeEbEEZZNS1_14partition_implILS5_6ELb0ES3_mNS7_12zip_iteratorINS8_INS7_6detail15normal_iteratorINS7_10device_ptrIiEEEESJ_S9_S9_S9_S9_S9_S9_S9_S9_EEEEPSB_SM_NS0_5tupleIJNSE_INS8_ISJ_NS7_16discard_iteratorINS7_11use_defaultEEES9_S9_S9_S9_S9_S9_S9_S9_EEEESB_EEENSN_IJSM_SM_EEESB_PlJNSF_9not_fun_tINSF_14equal_to_valueISA_EEEEEEE10hipError_tPvRmT3_T4_T5_T6_T7_T9_mT8_P12ihipStream_tbDpT10_ENKUlT_T0_E_clISt17integral_constantIbLb0EES1I_IbLb1EEEEDaS1E_S1F_EUlS1E_E_NS1_11comp_targetILNS1_3genE3ELNS1_11target_archE908ELNS1_3gpuE7ELNS1_3repE0EEENS1_30default_config_static_selectorELNS0_4arch9wavefront6targetE0EEEvT1_: ; @_ZN7rocprim17ROCPRIM_400000_NS6detail17trampoline_kernelINS0_14default_configENS1_25partition_config_selectorILNS1_17partition_subalgoE6EN6thrust23THRUST_200600_302600_NS5tupleIiiNS7_9null_typeES9_S9_S9_S9_S9_S9_S9_EENS0_10empty_typeEbEEZZNS1_14partition_implILS5_6ELb0ES3_mNS7_12zip_iteratorINS8_INS7_6detail15normal_iteratorINS7_10device_ptrIiEEEESJ_S9_S9_S9_S9_S9_S9_S9_S9_EEEEPSB_SM_NS0_5tupleIJNSE_INS8_ISJ_NS7_16discard_iteratorINS7_11use_defaultEEES9_S9_S9_S9_S9_S9_S9_S9_EEEESB_EEENSN_IJSM_SM_EEESB_PlJNSF_9not_fun_tINSF_14equal_to_valueISA_EEEEEEE10hipError_tPvRmT3_T4_T5_T6_T7_T9_mT8_P12ihipStream_tbDpT10_ENKUlT_T0_E_clISt17integral_constantIbLb0EES1I_IbLb1EEEEDaS1E_S1F_EUlS1E_E_NS1_11comp_targetILNS1_3genE3ELNS1_11target_archE908ELNS1_3gpuE7ELNS1_3repE0EEENS1_30default_config_static_selectorELNS0_4arch9wavefront6targetE0EEEvT1_
; %bb.0:
	.section	.rodata,"a",@progbits
	.p2align	6, 0x0
	.amdhsa_kernel _ZN7rocprim17ROCPRIM_400000_NS6detail17trampoline_kernelINS0_14default_configENS1_25partition_config_selectorILNS1_17partition_subalgoE6EN6thrust23THRUST_200600_302600_NS5tupleIiiNS7_9null_typeES9_S9_S9_S9_S9_S9_S9_EENS0_10empty_typeEbEEZZNS1_14partition_implILS5_6ELb0ES3_mNS7_12zip_iteratorINS8_INS7_6detail15normal_iteratorINS7_10device_ptrIiEEEESJ_S9_S9_S9_S9_S9_S9_S9_S9_EEEEPSB_SM_NS0_5tupleIJNSE_INS8_ISJ_NS7_16discard_iteratorINS7_11use_defaultEEES9_S9_S9_S9_S9_S9_S9_S9_EEEESB_EEENSN_IJSM_SM_EEESB_PlJNSF_9not_fun_tINSF_14equal_to_valueISA_EEEEEEE10hipError_tPvRmT3_T4_T5_T6_T7_T9_mT8_P12ihipStream_tbDpT10_ENKUlT_T0_E_clISt17integral_constantIbLb0EES1I_IbLb1EEEEDaS1E_S1F_EUlS1E_E_NS1_11comp_targetILNS1_3genE3ELNS1_11target_archE908ELNS1_3gpuE7ELNS1_3repE0EEENS1_30default_config_static_selectorELNS0_4arch9wavefront6targetE0EEEvT1_
		.amdhsa_group_segment_fixed_size 0
		.amdhsa_private_segment_fixed_size 0
		.amdhsa_kernarg_size 152
		.amdhsa_user_sgpr_count 2
		.amdhsa_user_sgpr_dispatch_ptr 0
		.amdhsa_user_sgpr_queue_ptr 0
		.amdhsa_user_sgpr_kernarg_segment_ptr 1
		.amdhsa_user_sgpr_dispatch_id 0
		.amdhsa_user_sgpr_private_segment_size 0
		.amdhsa_wavefront_size32 1
		.amdhsa_uses_dynamic_stack 0
		.amdhsa_enable_private_segment 0
		.amdhsa_system_sgpr_workgroup_id_x 1
		.amdhsa_system_sgpr_workgroup_id_y 0
		.amdhsa_system_sgpr_workgroup_id_z 0
		.amdhsa_system_sgpr_workgroup_info 0
		.amdhsa_system_vgpr_workitem_id 0
		.amdhsa_next_free_vgpr 1
		.amdhsa_next_free_sgpr 1
		.amdhsa_reserve_vcc 0
		.amdhsa_float_round_mode_32 0
		.amdhsa_float_round_mode_16_64 0
		.amdhsa_float_denorm_mode_32 3
		.amdhsa_float_denorm_mode_16_64 3
		.amdhsa_fp16_overflow 0
		.amdhsa_workgroup_processor_mode 1
		.amdhsa_memory_ordered 1
		.amdhsa_forward_progress 1
		.amdhsa_inst_pref_size 0
		.amdhsa_round_robin_scheduling 0
		.amdhsa_exception_fp_ieee_invalid_op 0
		.amdhsa_exception_fp_denorm_src 0
		.amdhsa_exception_fp_ieee_div_zero 0
		.amdhsa_exception_fp_ieee_overflow 0
		.amdhsa_exception_fp_ieee_underflow 0
		.amdhsa_exception_fp_ieee_inexact 0
		.amdhsa_exception_int_div_zero 0
	.end_amdhsa_kernel
	.section	.text._ZN7rocprim17ROCPRIM_400000_NS6detail17trampoline_kernelINS0_14default_configENS1_25partition_config_selectorILNS1_17partition_subalgoE6EN6thrust23THRUST_200600_302600_NS5tupleIiiNS7_9null_typeES9_S9_S9_S9_S9_S9_S9_EENS0_10empty_typeEbEEZZNS1_14partition_implILS5_6ELb0ES3_mNS7_12zip_iteratorINS8_INS7_6detail15normal_iteratorINS7_10device_ptrIiEEEESJ_S9_S9_S9_S9_S9_S9_S9_S9_EEEEPSB_SM_NS0_5tupleIJNSE_INS8_ISJ_NS7_16discard_iteratorINS7_11use_defaultEEES9_S9_S9_S9_S9_S9_S9_S9_EEEESB_EEENSN_IJSM_SM_EEESB_PlJNSF_9not_fun_tINSF_14equal_to_valueISA_EEEEEEE10hipError_tPvRmT3_T4_T5_T6_T7_T9_mT8_P12ihipStream_tbDpT10_ENKUlT_T0_E_clISt17integral_constantIbLb0EES1I_IbLb1EEEEDaS1E_S1F_EUlS1E_E_NS1_11comp_targetILNS1_3genE3ELNS1_11target_archE908ELNS1_3gpuE7ELNS1_3repE0EEENS1_30default_config_static_selectorELNS0_4arch9wavefront6targetE0EEEvT1_,"axG",@progbits,_ZN7rocprim17ROCPRIM_400000_NS6detail17trampoline_kernelINS0_14default_configENS1_25partition_config_selectorILNS1_17partition_subalgoE6EN6thrust23THRUST_200600_302600_NS5tupleIiiNS7_9null_typeES9_S9_S9_S9_S9_S9_S9_EENS0_10empty_typeEbEEZZNS1_14partition_implILS5_6ELb0ES3_mNS7_12zip_iteratorINS8_INS7_6detail15normal_iteratorINS7_10device_ptrIiEEEESJ_S9_S9_S9_S9_S9_S9_S9_S9_EEEEPSB_SM_NS0_5tupleIJNSE_INS8_ISJ_NS7_16discard_iteratorINS7_11use_defaultEEES9_S9_S9_S9_S9_S9_S9_S9_EEEESB_EEENSN_IJSM_SM_EEESB_PlJNSF_9not_fun_tINSF_14equal_to_valueISA_EEEEEEE10hipError_tPvRmT3_T4_T5_T6_T7_T9_mT8_P12ihipStream_tbDpT10_ENKUlT_T0_E_clISt17integral_constantIbLb0EES1I_IbLb1EEEEDaS1E_S1F_EUlS1E_E_NS1_11comp_targetILNS1_3genE3ELNS1_11target_archE908ELNS1_3gpuE7ELNS1_3repE0EEENS1_30default_config_static_selectorELNS0_4arch9wavefront6targetE0EEEvT1_,comdat
.Lfunc_end2040:
	.size	_ZN7rocprim17ROCPRIM_400000_NS6detail17trampoline_kernelINS0_14default_configENS1_25partition_config_selectorILNS1_17partition_subalgoE6EN6thrust23THRUST_200600_302600_NS5tupleIiiNS7_9null_typeES9_S9_S9_S9_S9_S9_S9_EENS0_10empty_typeEbEEZZNS1_14partition_implILS5_6ELb0ES3_mNS7_12zip_iteratorINS8_INS7_6detail15normal_iteratorINS7_10device_ptrIiEEEESJ_S9_S9_S9_S9_S9_S9_S9_S9_EEEEPSB_SM_NS0_5tupleIJNSE_INS8_ISJ_NS7_16discard_iteratorINS7_11use_defaultEEES9_S9_S9_S9_S9_S9_S9_S9_EEEESB_EEENSN_IJSM_SM_EEESB_PlJNSF_9not_fun_tINSF_14equal_to_valueISA_EEEEEEE10hipError_tPvRmT3_T4_T5_T6_T7_T9_mT8_P12ihipStream_tbDpT10_ENKUlT_T0_E_clISt17integral_constantIbLb0EES1I_IbLb1EEEEDaS1E_S1F_EUlS1E_E_NS1_11comp_targetILNS1_3genE3ELNS1_11target_archE908ELNS1_3gpuE7ELNS1_3repE0EEENS1_30default_config_static_selectorELNS0_4arch9wavefront6targetE0EEEvT1_, .Lfunc_end2040-_ZN7rocprim17ROCPRIM_400000_NS6detail17trampoline_kernelINS0_14default_configENS1_25partition_config_selectorILNS1_17partition_subalgoE6EN6thrust23THRUST_200600_302600_NS5tupleIiiNS7_9null_typeES9_S9_S9_S9_S9_S9_S9_EENS0_10empty_typeEbEEZZNS1_14partition_implILS5_6ELb0ES3_mNS7_12zip_iteratorINS8_INS7_6detail15normal_iteratorINS7_10device_ptrIiEEEESJ_S9_S9_S9_S9_S9_S9_S9_S9_EEEEPSB_SM_NS0_5tupleIJNSE_INS8_ISJ_NS7_16discard_iteratorINS7_11use_defaultEEES9_S9_S9_S9_S9_S9_S9_S9_EEEESB_EEENSN_IJSM_SM_EEESB_PlJNSF_9not_fun_tINSF_14equal_to_valueISA_EEEEEEE10hipError_tPvRmT3_T4_T5_T6_T7_T9_mT8_P12ihipStream_tbDpT10_ENKUlT_T0_E_clISt17integral_constantIbLb0EES1I_IbLb1EEEEDaS1E_S1F_EUlS1E_E_NS1_11comp_targetILNS1_3genE3ELNS1_11target_archE908ELNS1_3gpuE7ELNS1_3repE0EEENS1_30default_config_static_selectorELNS0_4arch9wavefront6targetE0EEEvT1_
                                        ; -- End function
	.set _ZN7rocprim17ROCPRIM_400000_NS6detail17trampoline_kernelINS0_14default_configENS1_25partition_config_selectorILNS1_17partition_subalgoE6EN6thrust23THRUST_200600_302600_NS5tupleIiiNS7_9null_typeES9_S9_S9_S9_S9_S9_S9_EENS0_10empty_typeEbEEZZNS1_14partition_implILS5_6ELb0ES3_mNS7_12zip_iteratorINS8_INS7_6detail15normal_iteratorINS7_10device_ptrIiEEEESJ_S9_S9_S9_S9_S9_S9_S9_S9_EEEEPSB_SM_NS0_5tupleIJNSE_INS8_ISJ_NS7_16discard_iteratorINS7_11use_defaultEEES9_S9_S9_S9_S9_S9_S9_S9_EEEESB_EEENSN_IJSM_SM_EEESB_PlJNSF_9not_fun_tINSF_14equal_to_valueISA_EEEEEEE10hipError_tPvRmT3_T4_T5_T6_T7_T9_mT8_P12ihipStream_tbDpT10_ENKUlT_T0_E_clISt17integral_constantIbLb0EES1I_IbLb1EEEEDaS1E_S1F_EUlS1E_E_NS1_11comp_targetILNS1_3genE3ELNS1_11target_archE908ELNS1_3gpuE7ELNS1_3repE0EEENS1_30default_config_static_selectorELNS0_4arch9wavefront6targetE0EEEvT1_.num_vgpr, 0
	.set _ZN7rocprim17ROCPRIM_400000_NS6detail17trampoline_kernelINS0_14default_configENS1_25partition_config_selectorILNS1_17partition_subalgoE6EN6thrust23THRUST_200600_302600_NS5tupleIiiNS7_9null_typeES9_S9_S9_S9_S9_S9_S9_EENS0_10empty_typeEbEEZZNS1_14partition_implILS5_6ELb0ES3_mNS7_12zip_iteratorINS8_INS7_6detail15normal_iteratorINS7_10device_ptrIiEEEESJ_S9_S9_S9_S9_S9_S9_S9_S9_EEEEPSB_SM_NS0_5tupleIJNSE_INS8_ISJ_NS7_16discard_iteratorINS7_11use_defaultEEES9_S9_S9_S9_S9_S9_S9_S9_EEEESB_EEENSN_IJSM_SM_EEESB_PlJNSF_9not_fun_tINSF_14equal_to_valueISA_EEEEEEE10hipError_tPvRmT3_T4_T5_T6_T7_T9_mT8_P12ihipStream_tbDpT10_ENKUlT_T0_E_clISt17integral_constantIbLb0EES1I_IbLb1EEEEDaS1E_S1F_EUlS1E_E_NS1_11comp_targetILNS1_3genE3ELNS1_11target_archE908ELNS1_3gpuE7ELNS1_3repE0EEENS1_30default_config_static_selectorELNS0_4arch9wavefront6targetE0EEEvT1_.num_agpr, 0
	.set _ZN7rocprim17ROCPRIM_400000_NS6detail17trampoline_kernelINS0_14default_configENS1_25partition_config_selectorILNS1_17partition_subalgoE6EN6thrust23THRUST_200600_302600_NS5tupleIiiNS7_9null_typeES9_S9_S9_S9_S9_S9_S9_EENS0_10empty_typeEbEEZZNS1_14partition_implILS5_6ELb0ES3_mNS7_12zip_iteratorINS8_INS7_6detail15normal_iteratorINS7_10device_ptrIiEEEESJ_S9_S9_S9_S9_S9_S9_S9_S9_EEEEPSB_SM_NS0_5tupleIJNSE_INS8_ISJ_NS7_16discard_iteratorINS7_11use_defaultEEES9_S9_S9_S9_S9_S9_S9_S9_EEEESB_EEENSN_IJSM_SM_EEESB_PlJNSF_9not_fun_tINSF_14equal_to_valueISA_EEEEEEE10hipError_tPvRmT3_T4_T5_T6_T7_T9_mT8_P12ihipStream_tbDpT10_ENKUlT_T0_E_clISt17integral_constantIbLb0EES1I_IbLb1EEEEDaS1E_S1F_EUlS1E_E_NS1_11comp_targetILNS1_3genE3ELNS1_11target_archE908ELNS1_3gpuE7ELNS1_3repE0EEENS1_30default_config_static_selectorELNS0_4arch9wavefront6targetE0EEEvT1_.numbered_sgpr, 0
	.set _ZN7rocprim17ROCPRIM_400000_NS6detail17trampoline_kernelINS0_14default_configENS1_25partition_config_selectorILNS1_17partition_subalgoE6EN6thrust23THRUST_200600_302600_NS5tupleIiiNS7_9null_typeES9_S9_S9_S9_S9_S9_S9_EENS0_10empty_typeEbEEZZNS1_14partition_implILS5_6ELb0ES3_mNS7_12zip_iteratorINS8_INS7_6detail15normal_iteratorINS7_10device_ptrIiEEEESJ_S9_S9_S9_S9_S9_S9_S9_S9_EEEEPSB_SM_NS0_5tupleIJNSE_INS8_ISJ_NS7_16discard_iteratorINS7_11use_defaultEEES9_S9_S9_S9_S9_S9_S9_S9_EEEESB_EEENSN_IJSM_SM_EEESB_PlJNSF_9not_fun_tINSF_14equal_to_valueISA_EEEEEEE10hipError_tPvRmT3_T4_T5_T6_T7_T9_mT8_P12ihipStream_tbDpT10_ENKUlT_T0_E_clISt17integral_constantIbLb0EES1I_IbLb1EEEEDaS1E_S1F_EUlS1E_E_NS1_11comp_targetILNS1_3genE3ELNS1_11target_archE908ELNS1_3gpuE7ELNS1_3repE0EEENS1_30default_config_static_selectorELNS0_4arch9wavefront6targetE0EEEvT1_.num_named_barrier, 0
	.set _ZN7rocprim17ROCPRIM_400000_NS6detail17trampoline_kernelINS0_14default_configENS1_25partition_config_selectorILNS1_17partition_subalgoE6EN6thrust23THRUST_200600_302600_NS5tupleIiiNS7_9null_typeES9_S9_S9_S9_S9_S9_S9_EENS0_10empty_typeEbEEZZNS1_14partition_implILS5_6ELb0ES3_mNS7_12zip_iteratorINS8_INS7_6detail15normal_iteratorINS7_10device_ptrIiEEEESJ_S9_S9_S9_S9_S9_S9_S9_S9_EEEEPSB_SM_NS0_5tupleIJNSE_INS8_ISJ_NS7_16discard_iteratorINS7_11use_defaultEEES9_S9_S9_S9_S9_S9_S9_S9_EEEESB_EEENSN_IJSM_SM_EEESB_PlJNSF_9not_fun_tINSF_14equal_to_valueISA_EEEEEEE10hipError_tPvRmT3_T4_T5_T6_T7_T9_mT8_P12ihipStream_tbDpT10_ENKUlT_T0_E_clISt17integral_constantIbLb0EES1I_IbLb1EEEEDaS1E_S1F_EUlS1E_E_NS1_11comp_targetILNS1_3genE3ELNS1_11target_archE908ELNS1_3gpuE7ELNS1_3repE0EEENS1_30default_config_static_selectorELNS0_4arch9wavefront6targetE0EEEvT1_.private_seg_size, 0
	.set _ZN7rocprim17ROCPRIM_400000_NS6detail17trampoline_kernelINS0_14default_configENS1_25partition_config_selectorILNS1_17partition_subalgoE6EN6thrust23THRUST_200600_302600_NS5tupleIiiNS7_9null_typeES9_S9_S9_S9_S9_S9_S9_EENS0_10empty_typeEbEEZZNS1_14partition_implILS5_6ELb0ES3_mNS7_12zip_iteratorINS8_INS7_6detail15normal_iteratorINS7_10device_ptrIiEEEESJ_S9_S9_S9_S9_S9_S9_S9_S9_EEEEPSB_SM_NS0_5tupleIJNSE_INS8_ISJ_NS7_16discard_iteratorINS7_11use_defaultEEES9_S9_S9_S9_S9_S9_S9_S9_EEEESB_EEENSN_IJSM_SM_EEESB_PlJNSF_9not_fun_tINSF_14equal_to_valueISA_EEEEEEE10hipError_tPvRmT3_T4_T5_T6_T7_T9_mT8_P12ihipStream_tbDpT10_ENKUlT_T0_E_clISt17integral_constantIbLb0EES1I_IbLb1EEEEDaS1E_S1F_EUlS1E_E_NS1_11comp_targetILNS1_3genE3ELNS1_11target_archE908ELNS1_3gpuE7ELNS1_3repE0EEENS1_30default_config_static_selectorELNS0_4arch9wavefront6targetE0EEEvT1_.uses_vcc, 0
	.set _ZN7rocprim17ROCPRIM_400000_NS6detail17trampoline_kernelINS0_14default_configENS1_25partition_config_selectorILNS1_17partition_subalgoE6EN6thrust23THRUST_200600_302600_NS5tupleIiiNS7_9null_typeES9_S9_S9_S9_S9_S9_S9_EENS0_10empty_typeEbEEZZNS1_14partition_implILS5_6ELb0ES3_mNS7_12zip_iteratorINS8_INS7_6detail15normal_iteratorINS7_10device_ptrIiEEEESJ_S9_S9_S9_S9_S9_S9_S9_S9_EEEEPSB_SM_NS0_5tupleIJNSE_INS8_ISJ_NS7_16discard_iteratorINS7_11use_defaultEEES9_S9_S9_S9_S9_S9_S9_S9_EEEESB_EEENSN_IJSM_SM_EEESB_PlJNSF_9not_fun_tINSF_14equal_to_valueISA_EEEEEEE10hipError_tPvRmT3_T4_T5_T6_T7_T9_mT8_P12ihipStream_tbDpT10_ENKUlT_T0_E_clISt17integral_constantIbLb0EES1I_IbLb1EEEEDaS1E_S1F_EUlS1E_E_NS1_11comp_targetILNS1_3genE3ELNS1_11target_archE908ELNS1_3gpuE7ELNS1_3repE0EEENS1_30default_config_static_selectorELNS0_4arch9wavefront6targetE0EEEvT1_.uses_flat_scratch, 0
	.set _ZN7rocprim17ROCPRIM_400000_NS6detail17trampoline_kernelINS0_14default_configENS1_25partition_config_selectorILNS1_17partition_subalgoE6EN6thrust23THRUST_200600_302600_NS5tupleIiiNS7_9null_typeES9_S9_S9_S9_S9_S9_S9_EENS0_10empty_typeEbEEZZNS1_14partition_implILS5_6ELb0ES3_mNS7_12zip_iteratorINS8_INS7_6detail15normal_iteratorINS7_10device_ptrIiEEEESJ_S9_S9_S9_S9_S9_S9_S9_S9_EEEEPSB_SM_NS0_5tupleIJNSE_INS8_ISJ_NS7_16discard_iteratorINS7_11use_defaultEEES9_S9_S9_S9_S9_S9_S9_S9_EEEESB_EEENSN_IJSM_SM_EEESB_PlJNSF_9not_fun_tINSF_14equal_to_valueISA_EEEEEEE10hipError_tPvRmT3_T4_T5_T6_T7_T9_mT8_P12ihipStream_tbDpT10_ENKUlT_T0_E_clISt17integral_constantIbLb0EES1I_IbLb1EEEEDaS1E_S1F_EUlS1E_E_NS1_11comp_targetILNS1_3genE3ELNS1_11target_archE908ELNS1_3gpuE7ELNS1_3repE0EEENS1_30default_config_static_selectorELNS0_4arch9wavefront6targetE0EEEvT1_.has_dyn_sized_stack, 0
	.set _ZN7rocprim17ROCPRIM_400000_NS6detail17trampoline_kernelINS0_14default_configENS1_25partition_config_selectorILNS1_17partition_subalgoE6EN6thrust23THRUST_200600_302600_NS5tupleIiiNS7_9null_typeES9_S9_S9_S9_S9_S9_S9_EENS0_10empty_typeEbEEZZNS1_14partition_implILS5_6ELb0ES3_mNS7_12zip_iteratorINS8_INS7_6detail15normal_iteratorINS7_10device_ptrIiEEEESJ_S9_S9_S9_S9_S9_S9_S9_S9_EEEEPSB_SM_NS0_5tupleIJNSE_INS8_ISJ_NS7_16discard_iteratorINS7_11use_defaultEEES9_S9_S9_S9_S9_S9_S9_S9_EEEESB_EEENSN_IJSM_SM_EEESB_PlJNSF_9not_fun_tINSF_14equal_to_valueISA_EEEEEEE10hipError_tPvRmT3_T4_T5_T6_T7_T9_mT8_P12ihipStream_tbDpT10_ENKUlT_T0_E_clISt17integral_constantIbLb0EES1I_IbLb1EEEEDaS1E_S1F_EUlS1E_E_NS1_11comp_targetILNS1_3genE3ELNS1_11target_archE908ELNS1_3gpuE7ELNS1_3repE0EEENS1_30default_config_static_selectorELNS0_4arch9wavefront6targetE0EEEvT1_.has_recursion, 0
	.set _ZN7rocprim17ROCPRIM_400000_NS6detail17trampoline_kernelINS0_14default_configENS1_25partition_config_selectorILNS1_17partition_subalgoE6EN6thrust23THRUST_200600_302600_NS5tupleIiiNS7_9null_typeES9_S9_S9_S9_S9_S9_S9_EENS0_10empty_typeEbEEZZNS1_14partition_implILS5_6ELb0ES3_mNS7_12zip_iteratorINS8_INS7_6detail15normal_iteratorINS7_10device_ptrIiEEEESJ_S9_S9_S9_S9_S9_S9_S9_S9_EEEEPSB_SM_NS0_5tupleIJNSE_INS8_ISJ_NS7_16discard_iteratorINS7_11use_defaultEEES9_S9_S9_S9_S9_S9_S9_S9_EEEESB_EEENSN_IJSM_SM_EEESB_PlJNSF_9not_fun_tINSF_14equal_to_valueISA_EEEEEEE10hipError_tPvRmT3_T4_T5_T6_T7_T9_mT8_P12ihipStream_tbDpT10_ENKUlT_T0_E_clISt17integral_constantIbLb0EES1I_IbLb1EEEEDaS1E_S1F_EUlS1E_E_NS1_11comp_targetILNS1_3genE3ELNS1_11target_archE908ELNS1_3gpuE7ELNS1_3repE0EEENS1_30default_config_static_selectorELNS0_4arch9wavefront6targetE0EEEvT1_.has_indirect_call, 0
	.section	.AMDGPU.csdata,"",@progbits
; Kernel info:
; codeLenInByte = 0
; TotalNumSgprs: 0
; NumVgprs: 0
; ScratchSize: 0
; MemoryBound: 0
; FloatMode: 240
; IeeeMode: 1
; LDSByteSize: 0 bytes/workgroup (compile time only)
; SGPRBlocks: 0
; VGPRBlocks: 0
; NumSGPRsForWavesPerEU: 1
; NumVGPRsForWavesPerEU: 1
; Occupancy: 16
; WaveLimiterHint : 0
; COMPUTE_PGM_RSRC2:SCRATCH_EN: 0
; COMPUTE_PGM_RSRC2:USER_SGPR: 2
; COMPUTE_PGM_RSRC2:TRAP_HANDLER: 0
; COMPUTE_PGM_RSRC2:TGID_X_EN: 1
; COMPUTE_PGM_RSRC2:TGID_Y_EN: 0
; COMPUTE_PGM_RSRC2:TGID_Z_EN: 0
; COMPUTE_PGM_RSRC2:TIDIG_COMP_CNT: 0
	.section	.text._ZN7rocprim17ROCPRIM_400000_NS6detail17trampoline_kernelINS0_14default_configENS1_25partition_config_selectorILNS1_17partition_subalgoE6EN6thrust23THRUST_200600_302600_NS5tupleIiiNS7_9null_typeES9_S9_S9_S9_S9_S9_S9_EENS0_10empty_typeEbEEZZNS1_14partition_implILS5_6ELb0ES3_mNS7_12zip_iteratorINS8_INS7_6detail15normal_iteratorINS7_10device_ptrIiEEEESJ_S9_S9_S9_S9_S9_S9_S9_S9_EEEEPSB_SM_NS0_5tupleIJNSE_INS8_ISJ_NS7_16discard_iteratorINS7_11use_defaultEEES9_S9_S9_S9_S9_S9_S9_S9_EEEESB_EEENSN_IJSM_SM_EEESB_PlJNSF_9not_fun_tINSF_14equal_to_valueISA_EEEEEEE10hipError_tPvRmT3_T4_T5_T6_T7_T9_mT8_P12ihipStream_tbDpT10_ENKUlT_T0_E_clISt17integral_constantIbLb0EES1I_IbLb1EEEEDaS1E_S1F_EUlS1E_E_NS1_11comp_targetILNS1_3genE2ELNS1_11target_archE906ELNS1_3gpuE6ELNS1_3repE0EEENS1_30default_config_static_selectorELNS0_4arch9wavefront6targetE0EEEvT1_,"axG",@progbits,_ZN7rocprim17ROCPRIM_400000_NS6detail17trampoline_kernelINS0_14default_configENS1_25partition_config_selectorILNS1_17partition_subalgoE6EN6thrust23THRUST_200600_302600_NS5tupleIiiNS7_9null_typeES9_S9_S9_S9_S9_S9_S9_EENS0_10empty_typeEbEEZZNS1_14partition_implILS5_6ELb0ES3_mNS7_12zip_iteratorINS8_INS7_6detail15normal_iteratorINS7_10device_ptrIiEEEESJ_S9_S9_S9_S9_S9_S9_S9_S9_EEEEPSB_SM_NS0_5tupleIJNSE_INS8_ISJ_NS7_16discard_iteratorINS7_11use_defaultEEES9_S9_S9_S9_S9_S9_S9_S9_EEEESB_EEENSN_IJSM_SM_EEESB_PlJNSF_9not_fun_tINSF_14equal_to_valueISA_EEEEEEE10hipError_tPvRmT3_T4_T5_T6_T7_T9_mT8_P12ihipStream_tbDpT10_ENKUlT_T0_E_clISt17integral_constantIbLb0EES1I_IbLb1EEEEDaS1E_S1F_EUlS1E_E_NS1_11comp_targetILNS1_3genE2ELNS1_11target_archE906ELNS1_3gpuE6ELNS1_3repE0EEENS1_30default_config_static_selectorELNS0_4arch9wavefront6targetE0EEEvT1_,comdat
	.protected	_ZN7rocprim17ROCPRIM_400000_NS6detail17trampoline_kernelINS0_14default_configENS1_25partition_config_selectorILNS1_17partition_subalgoE6EN6thrust23THRUST_200600_302600_NS5tupleIiiNS7_9null_typeES9_S9_S9_S9_S9_S9_S9_EENS0_10empty_typeEbEEZZNS1_14partition_implILS5_6ELb0ES3_mNS7_12zip_iteratorINS8_INS7_6detail15normal_iteratorINS7_10device_ptrIiEEEESJ_S9_S9_S9_S9_S9_S9_S9_S9_EEEEPSB_SM_NS0_5tupleIJNSE_INS8_ISJ_NS7_16discard_iteratorINS7_11use_defaultEEES9_S9_S9_S9_S9_S9_S9_S9_EEEESB_EEENSN_IJSM_SM_EEESB_PlJNSF_9not_fun_tINSF_14equal_to_valueISA_EEEEEEE10hipError_tPvRmT3_T4_T5_T6_T7_T9_mT8_P12ihipStream_tbDpT10_ENKUlT_T0_E_clISt17integral_constantIbLb0EES1I_IbLb1EEEEDaS1E_S1F_EUlS1E_E_NS1_11comp_targetILNS1_3genE2ELNS1_11target_archE906ELNS1_3gpuE6ELNS1_3repE0EEENS1_30default_config_static_selectorELNS0_4arch9wavefront6targetE0EEEvT1_ ; -- Begin function _ZN7rocprim17ROCPRIM_400000_NS6detail17trampoline_kernelINS0_14default_configENS1_25partition_config_selectorILNS1_17partition_subalgoE6EN6thrust23THRUST_200600_302600_NS5tupleIiiNS7_9null_typeES9_S9_S9_S9_S9_S9_S9_EENS0_10empty_typeEbEEZZNS1_14partition_implILS5_6ELb0ES3_mNS7_12zip_iteratorINS8_INS7_6detail15normal_iteratorINS7_10device_ptrIiEEEESJ_S9_S9_S9_S9_S9_S9_S9_S9_EEEEPSB_SM_NS0_5tupleIJNSE_INS8_ISJ_NS7_16discard_iteratorINS7_11use_defaultEEES9_S9_S9_S9_S9_S9_S9_S9_EEEESB_EEENSN_IJSM_SM_EEESB_PlJNSF_9not_fun_tINSF_14equal_to_valueISA_EEEEEEE10hipError_tPvRmT3_T4_T5_T6_T7_T9_mT8_P12ihipStream_tbDpT10_ENKUlT_T0_E_clISt17integral_constantIbLb0EES1I_IbLb1EEEEDaS1E_S1F_EUlS1E_E_NS1_11comp_targetILNS1_3genE2ELNS1_11target_archE906ELNS1_3gpuE6ELNS1_3repE0EEENS1_30default_config_static_selectorELNS0_4arch9wavefront6targetE0EEEvT1_
	.globl	_ZN7rocprim17ROCPRIM_400000_NS6detail17trampoline_kernelINS0_14default_configENS1_25partition_config_selectorILNS1_17partition_subalgoE6EN6thrust23THRUST_200600_302600_NS5tupleIiiNS7_9null_typeES9_S9_S9_S9_S9_S9_S9_EENS0_10empty_typeEbEEZZNS1_14partition_implILS5_6ELb0ES3_mNS7_12zip_iteratorINS8_INS7_6detail15normal_iteratorINS7_10device_ptrIiEEEESJ_S9_S9_S9_S9_S9_S9_S9_S9_EEEEPSB_SM_NS0_5tupleIJNSE_INS8_ISJ_NS7_16discard_iteratorINS7_11use_defaultEEES9_S9_S9_S9_S9_S9_S9_S9_EEEESB_EEENSN_IJSM_SM_EEESB_PlJNSF_9not_fun_tINSF_14equal_to_valueISA_EEEEEEE10hipError_tPvRmT3_T4_T5_T6_T7_T9_mT8_P12ihipStream_tbDpT10_ENKUlT_T0_E_clISt17integral_constantIbLb0EES1I_IbLb1EEEEDaS1E_S1F_EUlS1E_E_NS1_11comp_targetILNS1_3genE2ELNS1_11target_archE906ELNS1_3gpuE6ELNS1_3repE0EEENS1_30default_config_static_selectorELNS0_4arch9wavefront6targetE0EEEvT1_
	.p2align	8
	.type	_ZN7rocprim17ROCPRIM_400000_NS6detail17trampoline_kernelINS0_14default_configENS1_25partition_config_selectorILNS1_17partition_subalgoE6EN6thrust23THRUST_200600_302600_NS5tupleIiiNS7_9null_typeES9_S9_S9_S9_S9_S9_S9_EENS0_10empty_typeEbEEZZNS1_14partition_implILS5_6ELb0ES3_mNS7_12zip_iteratorINS8_INS7_6detail15normal_iteratorINS7_10device_ptrIiEEEESJ_S9_S9_S9_S9_S9_S9_S9_S9_EEEEPSB_SM_NS0_5tupleIJNSE_INS8_ISJ_NS7_16discard_iteratorINS7_11use_defaultEEES9_S9_S9_S9_S9_S9_S9_S9_EEEESB_EEENSN_IJSM_SM_EEESB_PlJNSF_9not_fun_tINSF_14equal_to_valueISA_EEEEEEE10hipError_tPvRmT3_T4_T5_T6_T7_T9_mT8_P12ihipStream_tbDpT10_ENKUlT_T0_E_clISt17integral_constantIbLb0EES1I_IbLb1EEEEDaS1E_S1F_EUlS1E_E_NS1_11comp_targetILNS1_3genE2ELNS1_11target_archE906ELNS1_3gpuE6ELNS1_3repE0EEENS1_30default_config_static_selectorELNS0_4arch9wavefront6targetE0EEEvT1_,@function
_ZN7rocprim17ROCPRIM_400000_NS6detail17trampoline_kernelINS0_14default_configENS1_25partition_config_selectorILNS1_17partition_subalgoE6EN6thrust23THRUST_200600_302600_NS5tupleIiiNS7_9null_typeES9_S9_S9_S9_S9_S9_S9_EENS0_10empty_typeEbEEZZNS1_14partition_implILS5_6ELb0ES3_mNS7_12zip_iteratorINS8_INS7_6detail15normal_iteratorINS7_10device_ptrIiEEEESJ_S9_S9_S9_S9_S9_S9_S9_S9_EEEEPSB_SM_NS0_5tupleIJNSE_INS8_ISJ_NS7_16discard_iteratorINS7_11use_defaultEEES9_S9_S9_S9_S9_S9_S9_S9_EEEESB_EEENSN_IJSM_SM_EEESB_PlJNSF_9not_fun_tINSF_14equal_to_valueISA_EEEEEEE10hipError_tPvRmT3_T4_T5_T6_T7_T9_mT8_P12ihipStream_tbDpT10_ENKUlT_T0_E_clISt17integral_constantIbLb0EES1I_IbLb1EEEEDaS1E_S1F_EUlS1E_E_NS1_11comp_targetILNS1_3genE2ELNS1_11target_archE906ELNS1_3gpuE6ELNS1_3repE0EEENS1_30default_config_static_selectorELNS0_4arch9wavefront6targetE0EEEvT1_: ; @_ZN7rocprim17ROCPRIM_400000_NS6detail17trampoline_kernelINS0_14default_configENS1_25partition_config_selectorILNS1_17partition_subalgoE6EN6thrust23THRUST_200600_302600_NS5tupleIiiNS7_9null_typeES9_S9_S9_S9_S9_S9_S9_EENS0_10empty_typeEbEEZZNS1_14partition_implILS5_6ELb0ES3_mNS7_12zip_iteratorINS8_INS7_6detail15normal_iteratorINS7_10device_ptrIiEEEESJ_S9_S9_S9_S9_S9_S9_S9_S9_EEEEPSB_SM_NS0_5tupleIJNSE_INS8_ISJ_NS7_16discard_iteratorINS7_11use_defaultEEES9_S9_S9_S9_S9_S9_S9_S9_EEEESB_EEENSN_IJSM_SM_EEESB_PlJNSF_9not_fun_tINSF_14equal_to_valueISA_EEEEEEE10hipError_tPvRmT3_T4_T5_T6_T7_T9_mT8_P12ihipStream_tbDpT10_ENKUlT_T0_E_clISt17integral_constantIbLb0EES1I_IbLb1EEEEDaS1E_S1F_EUlS1E_E_NS1_11comp_targetILNS1_3genE2ELNS1_11target_archE906ELNS1_3gpuE6ELNS1_3repE0EEENS1_30default_config_static_selectorELNS0_4arch9wavefront6targetE0EEEvT1_
; %bb.0:
	.section	.rodata,"a",@progbits
	.p2align	6, 0x0
	.amdhsa_kernel _ZN7rocprim17ROCPRIM_400000_NS6detail17trampoline_kernelINS0_14default_configENS1_25partition_config_selectorILNS1_17partition_subalgoE6EN6thrust23THRUST_200600_302600_NS5tupleIiiNS7_9null_typeES9_S9_S9_S9_S9_S9_S9_EENS0_10empty_typeEbEEZZNS1_14partition_implILS5_6ELb0ES3_mNS7_12zip_iteratorINS8_INS7_6detail15normal_iteratorINS7_10device_ptrIiEEEESJ_S9_S9_S9_S9_S9_S9_S9_S9_EEEEPSB_SM_NS0_5tupleIJNSE_INS8_ISJ_NS7_16discard_iteratorINS7_11use_defaultEEES9_S9_S9_S9_S9_S9_S9_S9_EEEESB_EEENSN_IJSM_SM_EEESB_PlJNSF_9not_fun_tINSF_14equal_to_valueISA_EEEEEEE10hipError_tPvRmT3_T4_T5_T6_T7_T9_mT8_P12ihipStream_tbDpT10_ENKUlT_T0_E_clISt17integral_constantIbLb0EES1I_IbLb1EEEEDaS1E_S1F_EUlS1E_E_NS1_11comp_targetILNS1_3genE2ELNS1_11target_archE906ELNS1_3gpuE6ELNS1_3repE0EEENS1_30default_config_static_selectorELNS0_4arch9wavefront6targetE0EEEvT1_
		.amdhsa_group_segment_fixed_size 0
		.amdhsa_private_segment_fixed_size 0
		.amdhsa_kernarg_size 152
		.amdhsa_user_sgpr_count 2
		.amdhsa_user_sgpr_dispatch_ptr 0
		.amdhsa_user_sgpr_queue_ptr 0
		.amdhsa_user_sgpr_kernarg_segment_ptr 1
		.amdhsa_user_sgpr_dispatch_id 0
		.amdhsa_user_sgpr_private_segment_size 0
		.amdhsa_wavefront_size32 1
		.amdhsa_uses_dynamic_stack 0
		.amdhsa_enable_private_segment 0
		.amdhsa_system_sgpr_workgroup_id_x 1
		.amdhsa_system_sgpr_workgroup_id_y 0
		.amdhsa_system_sgpr_workgroup_id_z 0
		.amdhsa_system_sgpr_workgroup_info 0
		.amdhsa_system_vgpr_workitem_id 0
		.amdhsa_next_free_vgpr 1
		.amdhsa_next_free_sgpr 1
		.amdhsa_reserve_vcc 0
		.amdhsa_float_round_mode_32 0
		.amdhsa_float_round_mode_16_64 0
		.amdhsa_float_denorm_mode_32 3
		.amdhsa_float_denorm_mode_16_64 3
		.amdhsa_fp16_overflow 0
		.amdhsa_workgroup_processor_mode 1
		.amdhsa_memory_ordered 1
		.amdhsa_forward_progress 1
		.amdhsa_inst_pref_size 0
		.amdhsa_round_robin_scheduling 0
		.amdhsa_exception_fp_ieee_invalid_op 0
		.amdhsa_exception_fp_denorm_src 0
		.amdhsa_exception_fp_ieee_div_zero 0
		.amdhsa_exception_fp_ieee_overflow 0
		.amdhsa_exception_fp_ieee_underflow 0
		.amdhsa_exception_fp_ieee_inexact 0
		.amdhsa_exception_int_div_zero 0
	.end_amdhsa_kernel
	.section	.text._ZN7rocprim17ROCPRIM_400000_NS6detail17trampoline_kernelINS0_14default_configENS1_25partition_config_selectorILNS1_17partition_subalgoE6EN6thrust23THRUST_200600_302600_NS5tupleIiiNS7_9null_typeES9_S9_S9_S9_S9_S9_S9_EENS0_10empty_typeEbEEZZNS1_14partition_implILS5_6ELb0ES3_mNS7_12zip_iteratorINS8_INS7_6detail15normal_iteratorINS7_10device_ptrIiEEEESJ_S9_S9_S9_S9_S9_S9_S9_S9_EEEEPSB_SM_NS0_5tupleIJNSE_INS8_ISJ_NS7_16discard_iteratorINS7_11use_defaultEEES9_S9_S9_S9_S9_S9_S9_S9_EEEESB_EEENSN_IJSM_SM_EEESB_PlJNSF_9not_fun_tINSF_14equal_to_valueISA_EEEEEEE10hipError_tPvRmT3_T4_T5_T6_T7_T9_mT8_P12ihipStream_tbDpT10_ENKUlT_T0_E_clISt17integral_constantIbLb0EES1I_IbLb1EEEEDaS1E_S1F_EUlS1E_E_NS1_11comp_targetILNS1_3genE2ELNS1_11target_archE906ELNS1_3gpuE6ELNS1_3repE0EEENS1_30default_config_static_selectorELNS0_4arch9wavefront6targetE0EEEvT1_,"axG",@progbits,_ZN7rocprim17ROCPRIM_400000_NS6detail17trampoline_kernelINS0_14default_configENS1_25partition_config_selectorILNS1_17partition_subalgoE6EN6thrust23THRUST_200600_302600_NS5tupleIiiNS7_9null_typeES9_S9_S9_S9_S9_S9_S9_EENS0_10empty_typeEbEEZZNS1_14partition_implILS5_6ELb0ES3_mNS7_12zip_iteratorINS8_INS7_6detail15normal_iteratorINS7_10device_ptrIiEEEESJ_S9_S9_S9_S9_S9_S9_S9_S9_EEEEPSB_SM_NS0_5tupleIJNSE_INS8_ISJ_NS7_16discard_iteratorINS7_11use_defaultEEES9_S9_S9_S9_S9_S9_S9_S9_EEEESB_EEENSN_IJSM_SM_EEESB_PlJNSF_9not_fun_tINSF_14equal_to_valueISA_EEEEEEE10hipError_tPvRmT3_T4_T5_T6_T7_T9_mT8_P12ihipStream_tbDpT10_ENKUlT_T0_E_clISt17integral_constantIbLb0EES1I_IbLb1EEEEDaS1E_S1F_EUlS1E_E_NS1_11comp_targetILNS1_3genE2ELNS1_11target_archE906ELNS1_3gpuE6ELNS1_3repE0EEENS1_30default_config_static_selectorELNS0_4arch9wavefront6targetE0EEEvT1_,comdat
.Lfunc_end2041:
	.size	_ZN7rocprim17ROCPRIM_400000_NS6detail17trampoline_kernelINS0_14default_configENS1_25partition_config_selectorILNS1_17partition_subalgoE6EN6thrust23THRUST_200600_302600_NS5tupleIiiNS7_9null_typeES9_S9_S9_S9_S9_S9_S9_EENS0_10empty_typeEbEEZZNS1_14partition_implILS5_6ELb0ES3_mNS7_12zip_iteratorINS8_INS7_6detail15normal_iteratorINS7_10device_ptrIiEEEESJ_S9_S9_S9_S9_S9_S9_S9_S9_EEEEPSB_SM_NS0_5tupleIJNSE_INS8_ISJ_NS7_16discard_iteratorINS7_11use_defaultEEES9_S9_S9_S9_S9_S9_S9_S9_EEEESB_EEENSN_IJSM_SM_EEESB_PlJNSF_9not_fun_tINSF_14equal_to_valueISA_EEEEEEE10hipError_tPvRmT3_T4_T5_T6_T7_T9_mT8_P12ihipStream_tbDpT10_ENKUlT_T0_E_clISt17integral_constantIbLb0EES1I_IbLb1EEEEDaS1E_S1F_EUlS1E_E_NS1_11comp_targetILNS1_3genE2ELNS1_11target_archE906ELNS1_3gpuE6ELNS1_3repE0EEENS1_30default_config_static_selectorELNS0_4arch9wavefront6targetE0EEEvT1_, .Lfunc_end2041-_ZN7rocprim17ROCPRIM_400000_NS6detail17trampoline_kernelINS0_14default_configENS1_25partition_config_selectorILNS1_17partition_subalgoE6EN6thrust23THRUST_200600_302600_NS5tupleIiiNS7_9null_typeES9_S9_S9_S9_S9_S9_S9_EENS0_10empty_typeEbEEZZNS1_14partition_implILS5_6ELb0ES3_mNS7_12zip_iteratorINS8_INS7_6detail15normal_iteratorINS7_10device_ptrIiEEEESJ_S9_S9_S9_S9_S9_S9_S9_S9_EEEEPSB_SM_NS0_5tupleIJNSE_INS8_ISJ_NS7_16discard_iteratorINS7_11use_defaultEEES9_S9_S9_S9_S9_S9_S9_S9_EEEESB_EEENSN_IJSM_SM_EEESB_PlJNSF_9not_fun_tINSF_14equal_to_valueISA_EEEEEEE10hipError_tPvRmT3_T4_T5_T6_T7_T9_mT8_P12ihipStream_tbDpT10_ENKUlT_T0_E_clISt17integral_constantIbLb0EES1I_IbLb1EEEEDaS1E_S1F_EUlS1E_E_NS1_11comp_targetILNS1_3genE2ELNS1_11target_archE906ELNS1_3gpuE6ELNS1_3repE0EEENS1_30default_config_static_selectorELNS0_4arch9wavefront6targetE0EEEvT1_
                                        ; -- End function
	.set _ZN7rocprim17ROCPRIM_400000_NS6detail17trampoline_kernelINS0_14default_configENS1_25partition_config_selectorILNS1_17partition_subalgoE6EN6thrust23THRUST_200600_302600_NS5tupleIiiNS7_9null_typeES9_S9_S9_S9_S9_S9_S9_EENS0_10empty_typeEbEEZZNS1_14partition_implILS5_6ELb0ES3_mNS7_12zip_iteratorINS8_INS7_6detail15normal_iteratorINS7_10device_ptrIiEEEESJ_S9_S9_S9_S9_S9_S9_S9_S9_EEEEPSB_SM_NS0_5tupleIJNSE_INS8_ISJ_NS7_16discard_iteratorINS7_11use_defaultEEES9_S9_S9_S9_S9_S9_S9_S9_EEEESB_EEENSN_IJSM_SM_EEESB_PlJNSF_9not_fun_tINSF_14equal_to_valueISA_EEEEEEE10hipError_tPvRmT3_T4_T5_T6_T7_T9_mT8_P12ihipStream_tbDpT10_ENKUlT_T0_E_clISt17integral_constantIbLb0EES1I_IbLb1EEEEDaS1E_S1F_EUlS1E_E_NS1_11comp_targetILNS1_3genE2ELNS1_11target_archE906ELNS1_3gpuE6ELNS1_3repE0EEENS1_30default_config_static_selectorELNS0_4arch9wavefront6targetE0EEEvT1_.num_vgpr, 0
	.set _ZN7rocprim17ROCPRIM_400000_NS6detail17trampoline_kernelINS0_14default_configENS1_25partition_config_selectorILNS1_17partition_subalgoE6EN6thrust23THRUST_200600_302600_NS5tupleIiiNS7_9null_typeES9_S9_S9_S9_S9_S9_S9_EENS0_10empty_typeEbEEZZNS1_14partition_implILS5_6ELb0ES3_mNS7_12zip_iteratorINS8_INS7_6detail15normal_iteratorINS7_10device_ptrIiEEEESJ_S9_S9_S9_S9_S9_S9_S9_S9_EEEEPSB_SM_NS0_5tupleIJNSE_INS8_ISJ_NS7_16discard_iteratorINS7_11use_defaultEEES9_S9_S9_S9_S9_S9_S9_S9_EEEESB_EEENSN_IJSM_SM_EEESB_PlJNSF_9not_fun_tINSF_14equal_to_valueISA_EEEEEEE10hipError_tPvRmT3_T4_T5_T6_T7_T9_mT8_P12ihipStream_tbDpT10_ENKUlT_T0_E_clISt17integral_constantIbLb0EES1I_IbLb1EEEEDaS1E_S1F_EUlS1E_E_NS1_11comp_targetILNS1_3genE2ELNS1_11target_archE906ELNS1_3gpuE6ELNS1_3repE0EEENS1_30default_config_static_selectorELNS0_4arch9wavefront6targetE0EEEvT1_.num_agpr, 0
	.set _ZN7rocprim17ROCPRIM_400000_NS6detail17trampoline_kernelINS0_14default_configENS1_25partition_config_selectorILNS1_17partition_subalgoE6EN6thrust23THRUST_200600_302600_NS5tupleIiiNS7_9null_typeES9_S9_S9_S9_S9_S9_S9_EENS0_10empty_typeEbEEZZNS1_14partition_implILS5_6ELb0ES3_mNS7_12zip_iteratorINS8_INS7_6detail15normal_iteratorINS7_10device_ptrIiEEEESJ_S9_S9_S9_S9_S9_S9_S9_S9_EEEEPSB_SM_NS0_5tupleIJNSE_INS8_ISJ_NS7_16discard_iteratorINS7_11use_defaultEEES9_S9_S9_S9_S9_S9_S9_S9_EEEESB_EEENSN_IJSM_SM_EEESB_PlJNSF_9not_fun_tINSF_14equal_to_valueISA_EEEEEEE10hipError_tPvRmT3_T4_T5_T6_T7_T9_mT8_P12ihipStream_tbDpT10_ENKUlT_T0_E_clISt17integral_constantIbLb0EES1I_IbLb1EEEEDaS1E_S1F_EUlS1E_E_NS1_11comp_targetILNS1_3genE2ELNS1_11target_archE906ELNS1_3gpuE6ELNS1_3repE0EEENS1_30default_config_static_selectorELNS0_4arch9wavefront6targetE0EEEvT1_.numbered_sgpr, 0
	.set _ZN7rocprim17ROCPRIM_400000_NS6detail17trampoline_kernelINS0_14default_configENS1_25partition_config_selectorILNS1_17partition_subalgoE6EN6thrust23THRUST_200600_302600_NS5tupleIiiNS7_9null_typeES9_S9_S9_S9_S9_S9_S9_EENS0_10empty_typeEbEEZZNS1_14partition_implILS5_6ELb0ES3_mNS7_12zip_iteratorINS8_INS7_6detail15normal_iteratorINS7_10device_ptrIiEEEESJ_S9_S9_S9_S9_S9_S9_S9_S9_EEEEPSB_SM_NS0_5tupleIJNSE_INS8_ISJ_NS7_16discard_iteratorINS7_11use_defaultEEES9_S9_S9_S9_S9_S9_S9_S9_EEEESB_EEENSN_IJSM_SM_EEESB_PlJNSF_9not_fun_tINSF_14equal_to_valueISA_EEEEEEE10hipError_tPvRmT3_T4_T5_T6_T7_T9_mT8_P12ihipStream_tbDpT10_ENKUlT_T0_E_clISt17integral_constantIbLb0EES1I_IbLb1EEEEDaS1E_S1F_EUlS1E_E_NS1_11comp_targetILNS1_3genE2ELNS1_11target_archE906ELNS1_3gpuE6ELNS1_3repE0EEENS1_30default_config_static_selectorELNS0_4arch9wavefront6targetE0EEEvT1_.num_named_barrier, 0
	.set _ZN7rocprim17ROCPRIM_400000_NS6detail17trampoline_kernelINS0_14default_configENS1_25partition_config_selectorILNS1_17partition_subalgoE6EN6thrust23THRUST_200600_302600_NS5tupleIiiNS7_9null_typeES9_S9_S9_S9_S9_S9_S9_EENS0_10empty_typeEbEEZZNS1_14partition_implILS5_6ELb0ES3_mNS7_12zip_iteratorINS8_INS7_6detail15normal_iteratorINS7_10device_ptrIiEEEESJ_S9_S9_S9_S9_S9_S9_S9_S9_EEEEPSB_SM_NS0_5tupleIJNSE_INS8_ISJ_NS7_16discard_iteratorINS7_11use_defaultEEES9_S9_S9_S9_S9_S9_S9_S9_EEEESB_EEENSN_IJSM_SM_EEESB_PlJNSF_9not_fun_tINSF_14equal_to_valueISA_EEEEEEE10hipError_tPvRmT3_T4_T5_T6_T7_T9_mT8_P12ihipStream_tbDpT10_ENKUlT_T0_E_clISt17integral_constantIbLb0EES1I_IbLb1EEEEDaS1E_S1F_EUlS1E_E_NS1_11comp_targetILNS1_3genE2ELNS1_11target_archE906ELNS1_3gpuE6ELNS1_3repE0EEENS1_30default_config_static_selectorELNS0_4arch9wavefront6targetE0EEEvT1_.private_seg_size, 0
	.set _ZN7rocprim17ROCPRIM_400000_NS6detail17trampoline_kernelINS0_14default_configENS1_25partition_config_selectorILNS1_17partition_subalgoE6EN6thrust23THRUST_200600_302600_NS5tupleIiiNS7_9null_typeES9_S9_S9_S9_S9_S9_S9_EENS0_10empty_typeEbEEZZNS1_14partition_implILS5_6ELb0ES3_mNS7_12zip_iteratorINS8_INS7_6detail15normal_iteratorINS7_10device_ptrIiEEEESJ_S9_S9_S9_S9_S9_S9_S9_S9_EEEEPSB_SM_NS0_5tupleIJNSE_INS8_ISJ_NS7_16discard_iteratorINS7_11use_defaultEEES9_S9_S9_S9_S9_S9_S9_S9_EEEESB_EEENSN_IJSM_SM_EEESB_PlJNSF_9not_fun_tINSF_14equal_to_valueISA_EEEEEEE10hipError_tPvRmT3_T4_T5_T6_T7_T9_mT8_P12ihipStream_tbDpT10_ENKUlT_T0_E_clISt17integral_constantIbLb0EES1I_IbLb1EEEEDaS1E_S1F_EUlS1E_E_NS1_11comp_targetILNS1_3genE2ELNS1_11target_archE906ELNS1_3gpuE6ELNS1_3repE0EEENS1_30default_config_static_selectorELNS0_4arch9wavefront6targetE0EEEvT1_.uses_vcc, 0
	.set _ZN7rocprim17ROCPRIM_400000_NS6detail17trampoline_kernelINS0_14default_configENS1_25partition_config_selectorILNS1_17partition_subalgoE6EN6thrust23THRUST_200600_302600_NS5tupleIiiNS7_9null_typeES9_S9_S9_S9_S9_S9_S9_EENS0_10empty_typeEbEEZZNS1_14partition_implILS5_6ELb0ES3_mNS7_12zip_iteratorINS8_INS7_6detail15normal_iteratorINS7_10device_ptrIiEEEESJ_S9_S9_S9_S9_S9_S9_S9_S9_EEEEPSB_SM_NS0_5tupleIJNSE_INS8_ISJ_NS7_16discard_iteratorINS7_11use_defaultEEES9_S9_S9_S9_S9_S9_S9_S9_EEEESB_EEENSN_IJSM_SM_EEESB_PlJNSF_9not_fun_tINSF_14equal_to_valueISA_EEEEEEE10hipError_tPvRmT3_T4_T5_T6_T7_T9_mT8_P12ihipStream_tbDpT10_ENKUlT_T0_E_clISt17integral_constantIbLb0EES1I_IbLb1EEEEDaS1E_S1F_EUlS1E_E_NS1_11comp_targetILNS1_3genE2ELNS1_11target_archE906ELNS1_3gpuE6ELNS1_3repE0EEENS1_30default_config_static_selectorELNS0_4arch9wavefront6targetE0EEEvT1_.uses_flat_scratch, 0
	.set _ZN7rocprim17ROCPRIM_400000_NS6detail17trampoline_kernelINS0_14default_configENS1_25partition_config_selectorILNS1_17partition_subalgoE6EN6thrust23THRUST_200600_302600_NS5tupleIiiNS7_9null_typeES9_S9_S9_S9_S9_S9_S9_EENS0_10empty_typeEbEEZZNS1_14partition_implILS5_6ELb0ES3_mNS7_12zip_iteratorINS8_INS7_6detail15normal_iteratorINS7_10device_ptrIiEEEESJ_S9_S9_S9_S9_S9_S9_S9_S9_EEEEPSB_SM_NS0_5tupleIJNSE_INS8_ISJ_NS7_16discard_iteratorINS7_11use_defaultEEES9_S9_S9_S9_S9_S9_S9_S9_EEEESB_EEENSN_IJSM_SM_EEESB_PlJNSF_9not_fun_tINSF_14equal_to_valueISA_EEEEEEE10hipError_tPvRmT3_T4_T5_T6_T7_T9_mT8_P12ihipStream_tbDpT10_ENKUlT_T0_E_clISt17integral_constantIbLb0EES1I_IbLb1EEEEDaS1E_S1F_EUlS1E_E_NS1_11comp_targetILNS1_3genE2ELNS1_11target_archE906ELNS1_3gpuE6ELNS1_3repE0EEENS1_30default_config_static_selectorELNS0_4arch9wavefront6targetE0EEEvT1_.has_dyn_sized_stack, 0
	.set _ZN7rocprim17ROCPRIM_400000_NS6detail17trampoline_kernelINS0_14default_configENS1_25partition_config_selectorILNS1_17partition_subalgoE6EN6thrust23THRUST_200600_302600_NS5tupleIiiNS7_9null_typeES9_S9_S9_S9_S9_S9_S9_EENS0_10empty_typeEbEEZZNS1_14partition_implILS5_6ELb0ES3_mNS7_12zip_iteratorINS8_INS7_6detail15normal_iteratorINS7_10device_ptrIiEEEESJ_S9_S9_S9_S9_S9_S9_S9_S9_EEEEPSB_SM_NS0_5tupleIJNSE_INS8_ISJ_NS7_16discard_iteratorINS7_11use_defaultEEES9_S9_S9_S9_S9_S9_S9_S9_EEEESB_EEENSN_IJSM_SM_EEESB_PlJNSF_9not_fun_tINSF_14equal_to_valueISA_EEEEEEE10hipError_tPvRmT3_T4_T5_T6_T7_T9_mT8_P12ihipStream_tbDpT10_ENKUlT_T0_E_clISt17integral_constantIbLb0EES1I_IbLb1EEEEDaS1E_S1F_EUlS1E_E_NS1_11comp_targetILNS1_3genE2ELNS1_11target_archE906ELNS1_3gpuE6ELNS1_3repE0EEENS1_30default_config_static_selectorELNS0_4arch9wavefront6targetE0EEEvT1_.has_recursion, 0
	.set _ZN7rocprim17ROCPRIM_400000_NS6detail17trampoline_kernelINS0_14default_configENS1_25partition_config_selectorILNS1_17partition_subalgoE6EN6thrust23THRUST_200600_302600_NS5tupleIiiNS7_9null_typeES9_S9_S9_S9_S9_S9_S9_EENS0_10empty_typeEbEEZZNS1_14partition_implILS5_6ELb0ES3_mNS7_12zip_iteratorINS8_INS7_6detail15normal_iteratorINS7_10device_ptrIiEEEESJ_S9_S9_S9_S9_S9_S9_S9_S9_EEEEPSB_SM_NS0_5tupleIJNSE_INS8_ISJ_NS7_16discard_iteratorINS7_11use_defaultEEES9_S9_S9_S9_S9_S9_S9_S9_EEEESB_EEENSN_IJSM_SM_EEESB_PlJNSF_9not_fun_tINSF_14equal_to_valueISA_EEEEEEE10hipError_tPvRmT3_T4_T5_T6_T7_T9_mT8_P12ihipStream_tbDpT10_ENKUlT_T0_E_clISt17integral_constantIbLb0EES1I_IbLb1EEEEDaS1E_S1F_EUlS1E_E_NS1_11comp_targetILNS1_3genE2ELNS1_11target_archE906ELNS1_3gpuE6ELNS1_3repE0EEENS1_30default_config_static_selectorELNS0_4arch9wavefront6targetE0EEEvT1_.has_indirect_call, 0
	.section	.AMDGPU.csdata,"",@progbits
; Kernel info:
; codeLenInByte = 0
; TotalNumSgprs: 0
; NumVgprs: 0
; ScratchSize: 0
; MemoryBound: 0
; FloatMode: 240
; IeeeMode: 1
; LDSByteSize: 0 bytes/workgroup (compile time only)
; SGPRBlocks: 0
; VGPRBlocks: 0
; NumSGPRsForWavesPerEU: 1
; NumVGPRsForWavesPerEU: 1
; Occupancy: 16
; WaveLimiterHint : 0
; COMPUTE_PGM_RSRC2:SCRATCH_EN: 0
; COMPUTE_PGM_RSRC2:USER_SGPR: 2
; COMPUTE_PGM_RSRC2:TRAP_HANDLER: 0
; COMPUTE_PGM_RSRC2:TGID_X_EN: 1
; COMPUTE_PGM_RSRC2:TGID_Y_EN: 0
; COMPUTE_PGM_RSRC2:TGID_Z_EN: 0
; COMPUTE_PGM_RSRC2:TIDIG_COMP_CNT: 0
	.section	.text._ZN7rocprim17ROCPRIM_400000_NS6detail17trampoline_kernelINS0_14default_configENS1_25partition_config_selectorILNS1_17partition_subalgoE6EN6thrust23THRUST_200600_302600_NS5tupleIiiNS7_9null_typeES9_S9_S9_S9_S9_S9_S9_EENS0_10empty_typeEbEEZZNS1_14partition_implILS5_6ELb0ES3_mNS7_12zip_iteratorINS8_INS7_6detail15normal_iteratorINS7_10device_ptrIiEEEESJ_S9_S9_S9_S9_S9_S9_S9_S9_EEEEPSB_SM_NS0_5tupleIJNSE_INS8_ISJ_NS7_16discard_iteratorINS7_11use_defaultEEES9_S9_S9_S9_S9_S9_S9_S9_EEEESB_EEENSN_IJSM_SM_EEESB_PlJNSF_9not_fun_tINSF_14equal_to_valueISA_EEEEEEE10hipError_tPvRmT3_T4_T5_T6_T7_T9_mT8_P12ihipStream_tbDpT10_ENKUlT_T0_E_clISt17integral_constantIbLb0EES1I_IbLb1EEEEDaS1E_S1F_EUlS1E_E_NS1_11comp_targetILNS1_3genE10ELNS1_11target_archE1200ELNS1_3gpuE4ELNS1_3repE0EEENS1_30default_config_static_selectorELNS0_4arch9wavefront6targetE0EEEvT1_,"axG",@progbits,_ZN7rocprim17ROCPRIM_400000_NS6detail17trampoline_kernelINS0_14default_configENS1_25partition_config_selectorILNS1_17partition_subalgoE6EN6thrust23THRUST_200600_302600_NS5tupleIiiNS7_9null_typeES9_S9_S9_S9_S9_S9_S9_EENS0_10empty_typeEbEEZZNS1_14partition_implILS5_6ELb0ES3_mNS7_12zip_iteratorINS8_INS7_6detail15normal_iteratorINS7_10device_ptrIiEEEESJ_S9_S9_S9_S9_S9_S9_S9_S9_EEEEPSB_SM_NS0_5tupleIJNSE_INS8_ISJ_NS7_16discard_iteratorINS7_11use_defaultEEES9_S9_S9_S9_S9_S9_S9_S9_EEEESB_EEENSN_IJSM_SM_EEESB_PlJNSF_9not_fun_tINSF_14equal_to_valueISA_EEEEEEE10hipError_tPvRmT3_T4_T5_T6_T7_T9_mT8_P12ihipStream_tbDpT10_ENKUlT_T0_E_clISt17integral_constantIbLb0EES1I_IbLb1EEEEDaS1E_S1F_EUlS1E_E_NS1_11comp_targetILNS1_3genE10ELNS1_11target_archE1200ELNS1_3gpuE4ELNS1_3repE0EEENS1_30default_config_static_selectorELNS0_4arch9wavefront6targetE0EEEvT1_,comdat
	.protected	_ZN7rocprim17ROCPRIM_400000_NS6detail17trampoline_kernelINS0_14default_configENS1_25partition_config_selectorILNS1_17partition_subalgoE6EN6thrust23THRUST_200600_302600_NS5tupleIiiNS7_9null_typeES9_S9_S9_S9_S9_S9_S9_EENS0_10empty_typeEbEEZZNS1_14partition_implILS5_6ELb0ES3_mNS7_12zip_iteratorINS8_INS7_6detail15normal_iteratorINS7_10device_ptrIiEEEESJ_S9_S9_S9_S9_S9_S9_S9_S9_EEEEPSB_SM_NS0_5tupleIJNSE_INS8_ISJ_NS7_16discard_iteratorINS7_11use_defaultEEES9_S9_S9_S9_S9_S9_S9_S9_EEEESB_EEENSN_IJSM_SM_EEESB_PlJNSF_9not_fun_tINSF_14equal_to_valueISA_EEEEEEE10hipError_tPvRmT3_T4_T5_T6_T7_T9_mT8_P12ihipStream_tbDpT10_ENKUlT_T0_E_clISt17integral_constantIbLb0EES1I_IbLb1EEEEDaS1E_S1F_EUlS1E_E_NS1_11comp_targetILNS1_3genE10ELNS1_11target_archE1200ELNS1_3gpuE4ELNS1_3repE0EEENS1_30default_config_static_selectorELNS0_4arch9wavefront6targetE0EEEvT1_ ; -- Begin function _ZN7rocprim17ROCPRIM_400000_NS6detail17trampoline_kernelINS0_14default_configENS1_25partition_config_selectorILNS1_17partition_subalgoE6EN6thrust23THRUST_200600_302600_NS5tupleIiiNS7_9null_typeES9_S9_S9_S9_S9_S9_S9_EENS0_10empty_typeEbEEZZNS1_14partition_implILS5_6ELb0ES3_mNS7_12zip_iteratorINS8_INS7_6detail15normal_iteratorINS7_10device_ptrIiEEEESJ_S9_S9_S9_S9_S9_S9_S9_S9_EEEEPSB_SM_NS0_5tupleIJNSE_INS8_ISJ_NS7_16discard_iteratorINS7_11use_defaultEEES9_S9_S9_S9_S9_S9_S9_S9_EEEESB_EEENSN_IJSM_SM_EEESB_PlJNSF_9not_fun_tINSF_14equal_to_valueISA_EEEEEEE10hipError_tPvRmT3_T4_T5_T6_T7_T9_mT8_P12ihipStream_tbDpT10_ENKUlT_T0_E_clISt17integral_constantIbLb0EES1I_IbLb1EEEEDaS1E_S1F_EUlS1E_E_NS1_11comp_targetILNS1_3genE10ELNS1_11target_archE1200ELNS1_3gpuE4ELNS1_3repE0EEENS1_30default_config_static_selectorELNS0_4arch9wavefront6targetE0EEEvT1_
	.globl	_ZN7rocprim17ROCPRIM_400000_NS6detail17trampoline_kernelINS0_14default_configENS1_25partition_config_selectorILNS1_17partition_subalgoE6EN6thrust23THRUST_200600_302600_NS5tupleIiiNS7_9null_typeES9_S9_S9_S9_S9_S9_S9_EENS0_10empty_typeEbEEZZNS1_14partition_implILS5_6ELb0ES3_mNS7_12zip_iteratorINS8_INS7_6detail15normal_iteratorINS7_10device_ptrIiEEEESJ_S9_S9_S9_S9_S9_S9_S9_S9_EEEEPSB_SM_NS0_5tupleIJNSE_INS8_ISJ_NS7_16discard_iteratorINS7_11use_defaultEEES9_S9_S9_S9_S9_S9_S9_S9_EEEESB_EEENSN_IJSM_SM_EEESB_PlJNSF_9not_fun_tINSF_14equal_to_valueISA_EEEEEEE10hipError_tPvRmT3_T4_T5_T6_T7_T9_mT8_P12ihipStream_tbDpT10_ENKUlT_T0_E_clISt17integral_constantIbLb0EES1I_IbLb1EEEEDaS1E_S1F_EUlS1E_E_NS1_11comp_targetILNS1_3genE10ELNS1_11target_archE1200ELNS1_3gpuE4ELNS1_3repE0EEENS1_30default_config_static_selectorELNS0_4arch9wavefront6targetE0EEEvT1_
	.p2align	8
	.type	_ZN7rocprim17ROCPRIM_400000_NS6detail17trampoline_kernelINS0_14default_configENS1_25partition_config_selectorILNS1_17partition_subalgoE6EN6thrust23THRUST_200600_302600_NS5tupleIiiNS7_9null_typeES9_S9_S9_S9_S9_S9_S9_EENS0_10empty_typeEbEEZZNS1_14partition_implILS5_6ELb0ES3_mNS7_12zip_iteratorINS8_INS7_6detail15normal_iteratorINS7_10device_ptrIiEEEESJ_S9_S9_S9_S9_S9_S9_S9_S9_EEEEPSB_SM_NS0_5tupleIJNSE_INS8_ISJ_NS7_16discard_iteratorINS7_11use_defaultEEES9_S9_S9_S9_S9_S9_S9_S9_EEEESB_EEENSN_IJSM_SM_EEESB_PlJNSF_9not_fun_tINSF_14equal_to_valueISA_EEEEEEE10hipError_tPvRmT3_T4_T5_T6_T7_T9_mT8_P12ihipStream_tbDpT10_ENKUlT_T0_E_clISt17integral_constantIbLb0EES1I_IbLb1EEEEDaS1E_S1F_EUlS1E_E_NS1_11comp_targetILNS1_3genE10ELNS1_11target_archE1200ELNS1_3gpuE4ELNS1_3repE0EEENS1_30default_config_static_selectorELNS0_4arch9wavefront6targetE0EEEvT1_,@function
_ZN7rocprim17ROCPRIM_400000_NS6detail17trampoline_kernelINS0_14default_configENS1_25partition_config_selectorILNS1_17partition_subalgoE6EN6thrust23THRUST_200600_302600_NS5tupleIiiNS7_9null_typeES9_S9_S9_S9_S9_S9_S9_EENS0_10empty_typeEbEEZZNS1_14partition_implILS5_6ELb0ES3_mNS7_12zip_iteratorINS8_INS7_6detail15normal_iteratorINS7_10device_ptrIiEEEESJ_S9_S9_S9_S9_S9_S9_S9_S9_EEEEPSB_SM_NS0_5tupleIJNSE_INS8_ISJ_NS7_16discard_iteratorINS7_11use_defaultEEES9_S9_S9_S9_S9_S9_S9_S9_EEEESB_EEENSN_IJSM_SM_EEESB_PlJNSF_9not_fun_tINSF_14equal_to_valueISA_EEEEEEE10hipError_tPvRmT3_T4_T5_T6_T7_T9_mT8_P12ihipStream_tbDpT10_ENKUlT_T0_E_clISt17integral_constantIbLb0EES1I_IbLb1EEEEDaS1E_S1F_EUlS1E_E_NS1_11comp_targetILNS1_3genE10ELNS1_11target_archE1200ELNS1_3gpuE4ELNS1_3repE0EEENS1_30default_config_static_selectorELNS0_4arch9wavefront6targetE0EEEvT1_: ; @_ZN7rocprim17ROCPRIM_400000_NS6detail17trampoline_kernelINS0_14default_configENS1_25partition_config_selectorILNS1_17partition_subalgoE6EN6thrust23THRUST_200600_302600_NS5tupleIiiNS7_9null_typeES9_S9_S9_S9_S9_S9_S9_EENS0_10empty_typeEbEEZZNS1_14partition_implILS5_6ELb0ES3_mNS7_12zip_iteratorINS8_INS7_6detail15normal_iteratorINS7_10device_ptrIiEEEESJ_S9_S9_S9_S9_S9_S9_S9_S9_EEEEPSB_SM_NS0_5tupleIJNSE_INS8_ISJ_NS7_16discard_iteratorINS7_11use_defaultEEES9_S9_S9_S9_S9_S9_S9_S9_EEEESB_EEENSN_IJSM_SM_EEESB_PlJNSF_9not_fun_tINSF_14equal_to_valueISA_EEEEEEE10hipError_tPvRmT3_T4_T5_T6_T7_T9_mT8_P12ihipStream_tbDpT10_ENKUlT_T0_E_clISt17integral_constantIbLb0EES1I_IbLb1EEEEDaS1E_S1F_EUlS1E_E_NS1_11comp_targetILNS1_3genE10ELNS1_11target_archE1200ELNS1_3gpuE4ELNS1_3repE0EEENS1_30default_config_static_selectorELNS0_4arch9wavefront6targetE0EEEvT1_
; %bb.0:
	s_clause 0x6
	s_load_b128 s[4:7], s[0:1], 0x8
	s_load_b64 s[20:21], s[0:1], 0x18
	s_load_b64 s[10:11], s[0:1], 0x30
	s_load_b128 s[12:15], s[0:1], 0x58
	s_load_b64 s[8:9], s[0:1], 0x68
	s_load_b64 s[16:17], s[0:1], 0x78
	;; [unrolled: 1-line block ×3, first 2 shown]
	v_cmp_eq_u32_e64 s2, 0, v0
	s_and_saveexec_b32 s3, s2
	s_cbranch_execz .LBB2042_4
; %bb.1:
	s_mov_b32 s23, exec_lo
	s_mov_b32 s22, exec_lo
	v_mbcnt_lo_u32_b32 v1, s23, 0
                                        ; implicit-def: $vgpr2
	s_delay_alu instid0(VALU_DEP_1)
	v_cmpx_eq_u32_e32 0, v1
	s_cbranch_execz .LBB2042_3
; %bb.2:
	s_load_b64 s[24:25], s[0:1], 0x88
	s_bcnt1_i32_b32 s23, s23
	s_wait_alu 0xfffe
	v_dual_mov_b32 v2, 0 :: v_dual_mov_b32 v3, s23
	s_wait_kmcnt 0x0
	global_atomic_add_u32 v2, v2, v3, s[24:25] th:TH_ATOMIC_RETURN scope:SCOPE_DEV
.LBB2042_3:
	s_or_b32 exec_lo, exec_lo, s22
	s_wait_loadcnt 0x0
	v_readfirstlane_b32 s22, v2
	s_wait_alu 0xf1ff
	s_delay_alu instid0(VALU_DEP_1)
	v_dual_mov_b32 v2, 0 :: v_dual_add_nc_u32 v1, s22, v1
	ds_store_b32 v2, v1
.LBB2042_4:
	s_or_b32 exec_lo, exec_lo, s3
	v_mov_b32_e32 v1, 0
	s_wait_dscnt 0x0
	s_barrier_signal -1
	s_barrier_wait -1
	global_inv scope:SCOPE_SE
	ds_load_b32 v2, v1
	s_wait_loadcnt_dscnt 0x0
	s_barrier_signal -1
	s_barrier_wait -1
	global_inv scope:SCOPE_SE
	s_wait_kmcnt 0x0
	global_load_b64 v[17:18], v1, s[14:15]
	s_load_b32 s0, s[0:1], 0x80
	s_lshl_b64 s[14:15], s[20:21], 2
	s_mov_b32 s25, 0
	s_add_nc_u64 s[4:5], s[4:5], s[14:15]
	s_add_nc_u64 s[22:23], s[6:7], s[14:15]
	v_lshlrev_b32_e32 v9, 2, v0
	v_lshrrev_b32_e32 v10, 2, v0
	v_or_b32_e32 v12, 0x200, v0
	v_or_b32_e32 v11, 0x300, v0
	v_readfirstlane_b32 s15, v2
	s_wait_kmcnt 0x0
	s_lshl_b32 s24, s0, 10
	s_add_co_i32 s6, s0, -1
	s_add_nc_u64 s[0:1], s[20:21], s[24:25]
	s_lshl_b32 s3, s6, 10
	v_cmp_le_u64_e64 s0, s[8:9], s[0:1]
	s_add_co_i32 s3, s20, s3
	s_cmp_eq_u32 s15, s6
	s_mov_b32 s6, -1
	s_cselect_b32 s9, -1, 0
	s_lshl_b32 s24, s15, 10
	s_wait_alu 0xfffe
	s_and_b32 s0, s0, s9
	s_lshl_b64 s[20:21], s[24:25], 2
	s_wait_alu 0xfffe
	s_xor_b32 s14, s0, -1
	s_add_nc_u64 s[0:1], s[4:5], s[20:21]
	s_and_b32 vcc_lo, exec_lo, s14
	s_add_nc_u64 s[4:5], s[22:23], s[20:21]
	s_cbranch_vccz .LBB2042_6
; %bb.5:
	s_clause 0x7
	global_load_b32 v1, v9, s[0:1]
	global_load_b32 v2, v9, s[4:5]
	global_load_b32 v3, v9, s[0:1] offset:1024
	global_load_b32 v4, v9, s[4:5] offset:1024
	;; [unrolled: 1-line block ×6, first 2 shown]
	v_or_b32_e32 v13, 0x100, v0
	v_lshrrev_b32_e32 v14, 2, v12
	v_lshrrev_b32_e32 v15, 2, v11
	v_and_b32_e32 v16, 56, v10
	v_lshlrev_b32_e32 v19, 3, v0
	v_lshrrev_b32_e32 v13, 2, v13
	v_and_b32_e32 v14, 0xb8, v14
	v_and_b32_e32 v15, 0xf8, v15
	s_mov_b32 s6, 0
	v_add_nc_u32_e32 v16, v16, v19
	v_and_b32_e32 v13, 0x78, v13
	v_add_nc_u32_e32 v14, v14, v19
	v_add_nc_u32_e32 v15, v15, v19
	s_delay_alu instid0(VALU_DEP_3)
	v_add_nc_u32_e32 v13, v13, v19
	s_wait_loadcnt 0x6
	ds_store_b64 v16, v[1:2]
	s_wait_loadcnt 0x4
	ds_store_b64 v13, v[3:4] offset:2048
	s_wait_loadcnt 0x2
	ds_store_b64 v14, v[5:6] offset:4096
	;; [unrolled: 2-line block ×3, first 2 shown]
	s_wait_dscnt 0x0
	s_barrier_signal -1
	s_barrier_wait -1
.LBB2042_6:
	s_and_not1_b32 vcc_lo, exec_lo, s6
	s_sub_co_i32 s20, s8, s3
	s_cbranch_vccnz .LBB2042_16
; %bb.7:
	v_mov_b32_e32 v1, 0
	v_dual_mov_b32 v2, 0 :: v_dual_mov_b32 v3, 0
	v_mov_b32_e32 v4, 0
	s_mov_b32 s3, exec_lo
	v_cmpx_gt_u32_e64 s20, v0
	s_cbranch_execz .LBB2042_9
; %bb.8:
	s_clause 0x1
	global_load_b32 v3, v9, s[0:1]
	global_load_b32 v4, v9, s[4:5]
.LBB2042_9:
	s_or_b32 exec_lo, exec_lo, s3
	v_or_b32_e32 v13, 0x100, v0
	s_mov_b32 s3, exec_lo
	s_delay_alu instid0(VALU_DEP_1)
	v_cmpx_gt_u32_e64 s20, v13
	s_cbranch_execz .LBB2042_11
; %bb.10:
	s_clause 0x1
	global_load_b32 v1, v9, s[0:1] offset:1024
	global_load_b32 v2, v9, s[4:5] offset:1024
.LBB2042_11:
	s_or_b32 exec_lo, exec_lo, s3
	v_mov_b32_e32 v5, 0
	v_dual_mov_b32 v6, 0 :: v_dual_mov_b32 v7, 0
	v_mov_b32_e32 v8, 0
	s_mov_b32 s3, exec_lo
	v_cmpx_gt_u32_e64 s20, v12
	s_cbranch_execz .LBB2042_13
; %bb.12:
	s_clause 0x1
	global_load_b32 v7, v9, s[0:1] offset:2048
	global_load_b32 v8, v9, s[4:5] offset:2048
.LBB2042_13:
	s_or_b32 exec_lo, exec_lo, s3
	s_delay_alu instid0(SALU_CYCLE_1)
	s_mov_b32 s3, exec_lo
	v_cmpx_gt_u32_e64 s20, v11
	s_cbranch_execz .LBB2042_15
; %bb.14:
	s_clause 0x1
	global_load_b32 v5, v9, s[0:1] offset:3072
	global_load_b32 v6, v9, s[4:5] offset:3072
.LBB2042_15:
	s_or_b32 exec_lo, exec_lo, s3
	v_lshrrev_b32_e32 v13, 2, v13
	v_lshrrev_b32_e32 v12, 2, v12
	;; [unrolled: 1-line block ×3, first 2 shown]
	v_and_b32_e32 v10, 56, v10
	v_lshlrev_b32_e32 v14, 3, v0
	v_and_b32_e32 v13, 0x78, v13
	v_and_b32_e32 v12, 0xf8, v12
	;; [unrolled: 1-line block ×3, first 2 shown]
	s_delay_alu instid0(VALU_DEP_4) | instskip(NEXT) | instid1(VALU_DEP_4)
	v_add_nc_u32_e32 v10, v10, v14
	v_add_nc_u32_e32 v13, v13, v14
	s_delay_alu instid0(VALU_DEP_4) | instskip(NEXT) | instid1(VALU_DEP_4)
	v_add_nc_u32_e32 v12, v12, v14
	v_add_nc_u32_e32 v11, v11, v14
	s_wait_loadcnt 0x0
	ds_store_b64 v10, v[3:4]
	ds_store_b64 v13, v[1:2] offset:2048
	ds_store_b64 v12, v[7:8] offset:4096
	;; [unrolled: 1-line block ×3, first 2 shown]
	s_wait_dscnt 0x0
	s_barrier_signal -1
	s_barrier_wait -1
.LBB2042_16:
	v_and_b32_e32 v1, 0xf8, v0
	s_wait_loadcnt 0x0
	global_inv scope:SCOPE_SE
	s_and_not1_b32 vcc_lo, exec_lo, s14
	v_lshl_add_u32 v5, v0, 5, v1
	ds_load_2addr_b64 v[1:4], v5 offset1:3
	ds_load_2addr_b64 v[5:8], v5 offset0:1 offset1:2
	s_wait_loadcnt_dscnt 0x0
	s_barrier_signal -1
	s_barrier_wait -1
	global_inv scope:SCOPE_SE
	v_cmp_ne_u32_e64 s0, s18, v1
	v_cmp_ne_u32_e64 s3, s19, v2
	;; [unrolled: 1-line block ×8, first 2 shown]
	s_cbranch_vccnz .LBB2042_18
; %bb.17:
	s_or_b32 s6, s6, s8
	s_or_b32 s5, s5, s7
	v_cndmask_b32_e64 v27, 0, 1, s6
	v_cndmask_b32_e64 v10, 0, 1, s5
	s_wait_alu 0xfffe
	s_or_b32 s0, s0, s3
	s_or_b32 s5, s1, s4
	s_wait_alu 0xfffe
	v_cndmask_b32_e64 v29, 0, 1, s0
	v_lshlrev_b16 v11, 8, v27
	s_delay_alu instid0(VALU_DEP_1)
	v_or_b32_e32 v28, v10, v11
	s_cbranch_execz .LBB2042_19
	s_branch .LBB2042_20
.LBB2042_18:
                                        ; implicit-def: $sgpr5
                                        ; implicit-def: $vgpr29
                                        ; implicit-def: $vgpr28
                                        ; implicit-def: $vgpr27
.LBB2042_19:
	v_or_b32_e32 v10, 2, v9
	v_cmp_ne_u32_e32 vcc_lo, s18, v7
	v_cmp_ne_u32_e64 s0, s19, v8
	v_cmp_ne_u32_e64 s3, s18, v5
	;; [unrolled: 1-line block ×3, first 2 shown]
	v_cmp_gt_u32_e64 s1, s20, v10
	v_or_b32_e32 v10, 1, v9
	s_wait_alu 0xfffe
	s_or_b32 s0, vcc_lo, s0
	v_cmp_ne_u32_e32 vcc_lo, s19, v6
	v_or_b32_e32 v12, 3, v9
	s_wait_alu 0xfffe
	s_and_b32 s0, s1, s0
	v_cmp_ne_u32_e64 s1, s18, v1
	s_wait_alu 0xfffe
	v_cndmask_b32_e64 v27, 0, 1, s0
	v_cmp_gt_u32_e64 s0, s20, v10
	s_or_b32 s3, s3, vcc_lo
	v_cmp_ne_u32_e32 vcc_lo, s18, v3
	s_or_b32 s4, s1, s4
	v_cmp_gt_u32_e64 s1, s20, v12
	s_and_b32 s0, s0, s3
	v_cmp_gt_u32_e64 s3, s20, v9
	s_wait_alu 0xfffe
	v_cndmask_b32_e64 v11, 0, 1, s0
	v_cmp_ne_u32_e64 s0, s19, v4
	v_lshlrev_b16 v10, 8, v27
	s_and_b32 s3, s3, s4
	s_or_b32 s0, vcc_lo, s0
	s_delay_alu instid0(VALU_DEP_1)
	v_or_b32_e32 v28, v11, v10
	s_wait_alu 0xfffe
	s_and_b32 s0, s1, s0
	v_cndmask_b32_e64 v29, 0, 1, s3
	s_and_not1_b32 s1, s5, exec_lo
	s_wait_alu 0xfffe
	s_and_b32 s0, s0, exec_lo
	s_wait_alu 0xfffe
	s_or_b32 s5, s1, s0
.LBB2042_20:
	v_and_b32_e32 v32, 0xff, v29
	s_delay_alu instid0(VALU_DEP_2)
	v_dual_mov_b32 v10, 0 :: v_dual_and_b32 v31, 0xff, v28
	s_wait_alu 0xfffe
	v_cndmask_b32_e64 v9, 0, 1, s5
	v_mbcnt_lo_u32_b32 v33, -1, 0
	v_and_b32_e32 v30, 0xff, v27
	s_cmp_lg_u32 s15, 0
	s_mov_b32 s1, -1
	v_add3_u32 v9, v32, v9, v31
	v_and_b32_e32 v34, 15, v33
	s_delay_alu instid0(VALU_DEP_2) | instskip(SKIP_2) | instid1(VALU_DEP_3)
	v_add_co_u32 v19, s0, v9, v30
	s_wait_alu 0xf1ff
	v_add_co_ci_u32_e64 v20, null, 0, 0, s0
	v_cmp_ne_u32_e64 s0, 0, v34
	s_cbranch_scc0 .LBB2042_77
; %bb.21:
	v_mov_b32_e32 v11, v19
	v_mov_b32_dpp v9, v19 row_shr:1 row_mask:0xf bank_mask:0xf
	v_mov_b32_dpp v14, v10 row_shr:1 row_mask:0xf bank_mask:0xf
	v_dual_mov_b32 v13, v19 :: v_dual_mov_b32 v12, v20
	s_and_saveexec_b32 s1, s0
; %bb.22:
	s_delay_alu instid0(VALU_DEP_3) | instskip(NEXT) | instid1(VALU_DEP_1)
	v_add_co_u32 v13, vcc_lo, v19, v9
	v_add_co_ci_u32_e64 v10, null, 0, v20, vcc_lo
	s_delay_alu instid0(VALU_DEP_2) | instskip(SKIP_1) | instid1(VALU_DEP_2)
	v_add_co_u32 v9, vcc_lo, 0, v13
	s_wait_alu 0xfffd
	v_add_co_ci_u32_e64 v10, null, v14, v10, vcc_lo
	s_delay_alu instid0(VALU_DEP_1)
	v_dual_mov_b32 v12, v10 :: v_dual_mov_b32 v11, v9
; %bb.23:
	s_wait_alu 0xfffe
	s_or_b32 exec_lo, exec_lo, s1
	v_mov_b32_dpp v9, v13 row_shr:2 row_mask:0xf bank_mask:0xf
	v_mov_b32_dpp v14, v10 row_shr:2 row_mask:0xf bank_mask:0xf
	s_mov_b32 s1, exec_lo
	v_cmpx_lt_u32_e32 1, v34
; %bb.24:
	s_delay_alu instid0(VALU_DEP_3) | instskip(SKIP_2) | instid1(VALU_DEP_2)
	v_add_co_u32 v13, vcc_lo, v11, v9
	s_wait_alu 0xfffd
	v_add_co_ci_u32_e64 v10, null, 0, v12, vcc_lo
	v_add_co_u32 v9, vcc_lo, 0, v13
	s_wait_alu 0xfffd
	s_delay_alu instid0(VALU_DEP_2) | instskip(NEXT) | instid1(VALU_DEP_1)
	v_add_co_ci_u32_e64 v10, null, v14, v10, vcc_lo
	v_dual_mov_b32 v12, v10 :: v_dual_mov_b32 v11, v9
; %bb.25:
	s_wait_alu 0xfffe
	s_or_b32 exec_lo, exec_lo, s1
	v_mov_b32_dpp v9, v13 row_shr:4 row_mask:0xf bank_mask:0xf
	v_mov_b32_dpp v14, v10 row_shr:4 row_mask:0xf bank_mask:0xf
	s_mov_b32 s1, exec_lo
	v_cmpx_lt_u32_e32 3, v34
; %bb.26:
	s_delay_alu instid0(VALU_DEP_3) | instskip(SKIP_2) | instid1(VALU_DEP_2)
	v_add_co_u32 v13, vcc_lo, v11, v9
	s_wait_alu 0xfffd
	v_add_co_ci_u32_e64 v10, null, 0, v12, vcc_lo
	v_add_co_u32 v9, vcc_lo, 0, v13
	s_wait_alu 0xfffd
	s_delay_alu instid0(VALU_DEP_2) | instskip(NEXT) | instid1(VALU_DEP_1)
	v_add_co_ci_u32_e64 v10, null, v14, v10, vcc_lo
	;; [unrolled: 17-line block ×3, first 2 shown]
	v_mov_b32_e32 v10, v12
; %bb.29:
	s_wait_alu 0xfffe
	s_or_b32 exec_lo, exec_lo, s1
	ds_swizzle_b32 v9, v13 offset:swizzle(BROADCAST,32,15)
	ds_swizzle_b32 v14, v10 offset:swizzle(BROADCAST,32,15)
	v_and_b32_e32 v15, 16, v33
	s_mov_b32 s1, exec_lo
	s_delay_alu instid0(VALU_DEP_1)
	v_cmpx_ne_u32_e32 0, v15
	s_cbranch_execz .LBB2042_31
; %bb.30:
	s_wait_dscnt 0x1
	v_add_co_u32 v13, vcc_lo, v11, v9
	s_wait_alu 0xfffd
	v_add_co_ci_u32_e64 v10, null, 0, v12, vcc_lo
	s_delay_alu instid0(VALU_DEP_2) | instskip(SKIP_2) | instid1(VALU_DEP_2)
	v_add_co_u32 v9, vcc_lo, 0, v13
	s_wait_dscnt 0x0
	s_wait_alu 0xfffd
	v_add_co_ci_u32_e64 v10, null, v14, v10, vcc_lo
	s_delay_alu instid0(VALU_DEP_1)
	v_dual_mov_b32 v12, v10 :: v_dual_mov_b32 v11, v9
.LBB2042_31:
	s_wait_alu 0xfffe
	s_or_b32 exec_lo, exec_lo, s1
	s_wait_dscnt 0x0
	v_or_b32_e32 v14, 31, v0
	v_lshrrev_b32_e32 v9, 5, v0
	s_mov_b32 s1, exec_lo
	s_delay_alu instid0(VALU_DEP_2)
	v_cmpx_eq_u32_e64 v0, v14
; %bb.32:
	s_delay_alu instid0(VALU_DEP_2)
	v_lshlrev_b32_e32 v14, 3, v9
	ds_store_b64 v14, v[11:12]
; %bb.33:
	s_wait_alu 0xfffe
	s_or_b32 exec_lo, exec_lo, s1
	s_delay_alu instid0(SALU_CYCLE_1)
	s_mov_b32 s1, exec_lo
	s_wait_loadcnt_dscnt 0x0
	s_barrier_signal -1
	s_barrier_wait -1
	global_inv scope:SCOPE_SE
	v_cmpx_gt_u32_e32 8, v0
	s_cbranch_execz .LBB2042_41
; %bb.34:
	v_lshlrev_b32_e32 v14, 3, v0
	s_mov_b32 s3, exec_lo
	ds_load_b64 v[11:12], v14
	s_wait_dscnt 0x0
	v_dual_mov_b32 v16, v11 :: v_dual_and_b32 v15, 7, v33
	v_mov_b32_dpp v22, v11 row_shr:1 row_mask:0xf bank_mask:0xf
	v_mov_b32_dpp v21, v12 row_shr:1 row_mask:0xf bank_mask:0xf
	s_delay_alu instid0(VALU_DEP_3)
	v_cmpx_ne_u32_e32 0, v15
; %bb.35:
	s_delay_alu instid0(VALU_DEP_3) | instskip(SKIP_2) | instid1(VALU_DEP_2)
	v_add_co_u32 v16, vcc_lo, v11, v22
	s_wait_alu 0xfffd
	v_add_co_ci_u32_e64 v12, null, 0, v12, vcc_lo
	v_add_co_u32 v11, vcc_lo, 0, v16
	s_wait_alu 0xfffd
	s_delay_alu instid0(VALU_DEP_2)
	v_add_co_ci_u32_e64 v12, null, v21, v12, vcc_lo
; %bb.36:
	s_wait_alu 0xfffe
	s_or_b32 exec_lo, exec_lo, s3
	v_mov_b32_dpp v22, v16 row_shr:2 row_mask:0xf bank_mask:0xf
	s_delay_alu instid0(VALU_DEP_2)
	v_mov_b32_dpp v21, v12 row_shr:2 row_mask:0xf bank_mask:0xf
	s_mov_b32 s3, exec_lo
	v_cmpx_lt_u32_e32 1, v15
; %bb.37:
	s_delay_alu instid0(VALU_DEP_3) | instskip(SKIP_2) | instid1(VALU_DEP_2)
	v_add_co_u32 v16, vcc_lo, v11, v22
	s_wait_alu 0xfffd
	v_add_co_ci_u32_e64 v12, null, 0, v12, vcc_lo
	v_add_co_u32 v11, vcc_lo, 0, v16
	s_wait_alu 0xfffd
	s_delay_alu instid0(VALU_DEP_2)
	v_add_co_ci_u32_e64 v12, null, v21, v12, vcc_lo
; %bb.38:
	s_wait_alu 0xfffe
	s_or_b32 exec_lo, exec_lo, s3
	v_mov_b32_dpp v21, v16 row_shr:4 row_mask:0xf bank_mask:0xf
	s_delay_alu instid0(VALU_DEP_2)
	v_mov_b32_dpp v16, v12 row_shr:4 row_mask:0xf bank_mask:0xf
	s_mov_b32 s3, exec_lo
	v_cmpx_lt_u32_e32 3, v15
; %bb.39:
	s_delay_alu instid0(VALU_DEP_3) | instskip(SKIP_2) | instid1(VALU_DEP_2)
	v_add_co_u32 v11, vcc_lo, v11, v21
	s_wait_alu 0xfffd
	v_add_co_ci_u32_e64 v12, null, 0, v12, vcc_lo
	v_add_co_u32 v11, vcc_lo, v11, 0
	s_wait_alu 0xfffd
	s_delay_alu instid0(VALU_DEP_2)
	v_add_co_ci_u32_e64 v12, null, v12, v16, vcc_lo
; %bb.40:
	s_wait_alu 0xfffe
	s_or_b32 exec_lo, exec_lo, s3
	ds_store_b64 v14, v[11:12]
.LBB2042_41:
	s_wait_alu 0xfffe
	s_or_b32 exec_lo, exec_lo, s1
	s_delay_alu instid0(SALU_CYCLE_1)
	s_mov_b32 s3, exec_lo
	v_cmp_gt_u32_e32 vcc_lo, 32, v0
	s_wait_loadcnt_dscnt 0x0
	s_barrier_signal -1
	s_barrier_wait -1
	global_inv scope:SCOPE_SE
                                        ; implicit-def: $vgpr21_vgpr22
	v_cmpx_lt_u32_e32 31, v0
	s_cbranch_execz .LBB2042_43
; %bb.42:
	v_lshl_add_u32 v9, v9, 3, -8
	ds_load_b64 v[21:22], v9
	s_wait_dscnt 0x0
	v_add_co_u32 v13, s1, v13, v21
	s_wait_alu 0xf1ff
	v_add_co_ci_u32_e64 v10, null, v10, v22, s1
.LBB2042_43:
	s_wait_alu 0xfffe
	s_or_b32 exec_lo, exec_lo, s3
	v_sub_co_u32 v9, s1, v33, 1
	s_delay_alu instid0(VALU_DEP_1) | instskip(SKIP_1) | instid1(VALU_DEP_1)
	v_cmp_gt_i32_e64 s3, 0, v9
	s_wait_alu 0xf1ff
	v_cndmask_b32_e64 v9, v9, v33, s3
	s_delay_alu instid0(VALU_DEP_1)
	v_lshlrev_b32_e32 v9, 2, v9
	ds_bpermute_b32 v35, v9, v13
	ds_bpermute_b32 v36, v9, v10
	s_and_saveexec_b32 s3, vcc_lo
	s_cbranch_execz .LBB2042_82
; %bb.44:
	v_mov_b32_e32 v12, 0
	ds_load_b64 v[9:10], v12 offset:56
	s_and_saveexec_b32 s4, s1
	s_cbranch_execz .LBB2042_46
; %bb.45:
	s_add_co_i32 s6, s15, 32
	s_mov_b32 s7, 0
	s_wait_alu 0xfffe
	s_lshl_b64 s[6:7], s[6:7], 4
	s_wait_alu 0xfffe
	s_add_nc_u64 s[6:7], s[16:17], s[6:7]
	s_wait_alu 0xfffe
	v_dual_mov_b32 v11, 1 :: v_dual_mov_b32 v14, s7
	v_mov_b32_e32 v13, s6
	s_wait_dscnt 0x0
	;;#ASMSTART
	global_store_b128 v[13:14], v[9:12] off scope:SCOPE_DEV	
s_wait_storecnt 0x0
	;;#ASMEND
.LBB2042_46:
	s_wait_alu 0xfffe
	s_or_b32 exec_lo, exec_lo, s4
	v_xad_u32 v23, v33, -1, s15
	s_mov_b32 s6, 0
	s_mov_b32 s4, exec_lo
	s_delay_alu instid0(VALU_DEP_1) | instskip(NEXT) | instid1(VALU_DEP_1)
	v_add_nc_u32_e32 v11, 32, v23
	v_lshlrev_b64_e32 v[11:12], 4, v[11:12]
	s_delay_alu instid0(VALU_DEP_1) | instskip(SKIP_1) | instid1(VALU_DEP_2)
	v_add_co_u32 v11, vcc_lo, s16, v11
	s_wait_alu 0xfffd
	v_add_co_ci_u32_e64 v12, null, s17, v12, vcc_lo
	;;#ASMSTART
	global_load_b128 v[13:16], v[11:12] off scope:SCOPE_DEV	
s_wait_loadcnt 0x0
	;;#ASMEND
	v_and_b32_e32 v16, 0xff, v15
	s_delay_alu instid0(VALU_DEP_1)
	v_cmpx_eq_u16_e32 0, v16
	s_cbranch_execz .LBB2042_49
.LBB2042_47:                            ; =>This Inner Loop Header: Depth=1
	;;#ASMSTART
	global_load_b128 v[13:16], v[11:12] off scope:SCOPE_DEV	
s_wait_loadcnt 0x0
	;;#ASMEND
	v_and_b32_e32 v16, 0xff, v15
	s_delay_alu instid0(VALU_DEP_1)
	v_cmp_ne_u16_e32 vcc_lo, 0, v16
	s_wait_alu 0xfffe
	s_or_b32 s6, vcc_lo, s6
	s_wait_alu 0xfffe
	s_and_not1_b32 exec_lo, exec_lo, s6
	s_cbranch_execnz .LBB2042_47
; %bb.48:
	s_or_b32 exec_lo, exec_lo, s6
.LBB2042_49:
	s_wait_alu 0xfffe
	s_or_b32 exec_lo, exec_lo, s4
	v_cmp_ne_u32_e32 vcc_lo, 31, v33
	v_and_b32_e32 v12, 0xff, v15
	v_lshlrev_b32_e64 v38, v33, -1
	s_mov_b32 s4, exec_lo
	s_wait_alu 0xfffd
	v_add_co_ci_u32_e64 v11, null, 0, v33, vcc_lo
	v_cmp_eq_u16_e32 vcc_lo, 2, v12
	s_delay_alu instid0(VALU_DEP_2)
	v_dual_mov_b32 v12, v13 :: v_dual_lshlrev_b32 v37, 2, v11
	s_wait_alu 0xfffd
	v_and_or_b32 v11, vcc_lo, v38, 0x80000000
	ds_bpermute_b32 v24, v37, v13
	ds_bpermute_b32 v16, v37, v14
	v_ctz_i32_b32_e32 v11, v11
	s_delay_alu instid0(VALU_DEP_1)
	v_cmpx_lt_u32_e64 v33, v11
	s_cbranch_execz .LBB2042_51
; %bb.50:
	s_wait_dscnt 0x1
	v_add_co_u32 v12, vcc_lo, v13, v24
	s_wait_alu 0xfffd
	v_add_co_ci_u32_e64 v14, null, 0, v14, vcc_lo
	s_delay_alu instid0(VALU_DEP_2) | instskip(SKIP_2) | instid1(VALU_DEP_2)
	v_add_co_u32 v13, vcc_lo, 0, v12
	s_wait_dscnt 0x0
	s_wait_alu 0xfffd
	v_add_co_ci_u32_e64 v14, null, v16, v14, vcc_lo
.LBB2042_51:
	s_wait_alu 0xfffe
	s_or_b32 exec_lo, exec_lo, s4
	v_cmp_gt_u32_e32 vcc_lo, 30, v33
	v_add_nc_u32_e32 v40, 2, v33
	s_mov_b32 s4, exec_lo
	s_wait_dscnt 0x0
	s_wait_alu 0xfffd
	v_cndmask_b32_e64 v16, 0, 2, vcc_lo
	s_delay_alu instid0(VALU_DEP_1)
	v_add_lshl_u32 v39, v16, v33, 2
	ds_bpermute_b32 v24, v39, v12
	ds_bpermute_b32 v16, v39, v14
	v_cmpx_le_u32_e64 v40, v11
	s_cbranch_execz .LBB2042_53
; %bb.52:
	s_wait_dscnt 0x1
	v_add_co_u32 v12, vcc_lo, v13, v24
	s_wait_alu 0xfffd
	v_add_co_ci_u32_e64 v14, null, 0, v14, vcc_lo
	s_delay_alu instid0(VALU_DEP_2) | instskip(SKIP_2) | instid1(VALU_DEP_2)
	v_add_co_u32 v13, vcc_lo, 0, v12
	s_wait_dscnt 0x0
	s_wait_alu 0xfffd
	v_add_co_ci_u32_e64 v14, null, v16, v14, vcc_lo
.LBB2042_53:
	s_wait_alu 0xfffe
	s_or_b32 exec_lo, exec_lo, s4
	v_cmp_gt_u32_e32 vcc_lo, 28, v33
	v_add_nc_u32_e32 v42, 4, v33
	s_mov_b32 s4, exec_lo
	s_wait_dscnt 0x0
	s_wait_alu 0xfffd
	v_cndmask_b32_e64 v16, 0, 4, vcc_lo
	s_delay_alu instid0(VALU_DEP_1)
	v_add_lshl_u32 v41, v16, v33, 2
	ds_bpermute_b32 v24, v41, v12
	ds_bpermute_b32 v16, v41, v14
	v_cmpx_le_u32_e64 v42, v11
	;; [unrolled: 25-line block ×3, first 2 shown]
	s_cbranch_execz .LBB2042_57
; %bb.56:
	s_wait_dscnt 0x1
	v_add_co_u32 v12, vcc_lo, v13, v24
	s_wait_alu 0xfffd
	v_add_co_ci_u32_e64 v14, null, 0, v14, vcc_lo
	s_delay_alu instid0(VALU_DEP_2) | instskip(SKIP_2) | instid1(VALU_DEP_2)
	v_add_co_u32 v13, vcc_lo, 0, v12
	s_wait_dscnt 0x0
	s_wait_alu 0xfffd
	v_add_co_ci_u32_e64 v14, null, v16, v14, vcc_lo
.LBB2042_57:
	s_wait_alu 0xfffe
	s_or_b32 exec_lo, exec_lo, s4
	v_lshl_or_b32 v45, v33, 2, 64
	v_add_nc_u32_e32 v46, 16, v33
	s_mov_b32 s4, exec_lo
	s_wait_dscnt 0x0
	ds_bpermute_b32 v16, v45, v12
	ds_bpermute_b32 v12, v45, v14
	v_cmpx_le_u32_e64 v46, v11
	s_cbranch_execz .LBB2042_59
; %bb.58:
	s_wait_dscnt 0x1
	v_add_co_u32 v11, vcc_lo, v13, v16
	s_wait_alu 0xfffd
	v_add_co_ci_u32_e64 v14, null, 0, v14, vcc_lo
	s_delay_alu instid0(VALU_DEP_2) | instskip(SKIP_2) | instid1(VALU_DEP_2)
	v_add_co_u32 v13, vcc_lo, v11, 0
	s_wait_dscnt 0x0
	s_wait_alu 0xfffd
	v_add_co_ci_u32_e64 v14, null, v14, v12, vcc_lo
.LBB2042_59:
	s_wait_alu 0xfffe
	s_or_b32 exec_lo, exec_lo, s4
	v_mov_b32_e32 v24, 0
	s_branch .LBB2042_62
.LBB2042_60:                            ;   in Loop: Header=BB2042_62 Depth=1
	s_wait_alu 0xfffe
	s_or_b32 exec_lo, exec_lo, s4
	v_add_co_u32 v13, vcc_lo, v13, v11
	v_subrev_nc_u32_e32 v23, 32, v23
	s_wait_alu 0xfffd
	v_add_co_ci_u32_e64 v14, null, v14, v12, vcc_lo
	s_mov_b32 s4, 0
.LBB2042_61:                            ;   in Loop: Header=BB2042_62 Depth=1
	s_wait_alu 0xfffe
	s_and_b32 vcc_lo, exec_lo, s4
	s_wait_alu 0xfffe
	s_cbranch_vccnz .LBB2042_78
.LBB2042_62:                            ; =>This Loop Header: Depth=1
                                        ;     Child Loop BB2042_65 Depth 2
	v_and_b32_e32 v11, 0xff, v15
	s_mov_b32 s4, -1
	s_delay_alu instid0(VALU_DEP_1)
	v_cmp_ne_u16_e32 vcc_lo, 2, v11
	s_wait_dscnt 0x0
	v_dual_mov_b32 v11, v13 :: v_dual_mov_b32 v12, v14
                                        ; implicit-def: $vgpr13_vgpr14
	s_cmp_lg_u32 vcc_lo, exec_lo
	s_cbranch_scc1 .LBB2042_61
; %bb.63:                               ;   in Loop: Header=BB2042_62 Depth=1
	v_lshlrev_b64_e32 v[13:14], 4, v[23:24]
	s_mov_b32 s4, exec_lo
	s_delay_alu instid0(VALU_DEP_1) | instskip(SKIP_1) | instid1(VALU_DEP_2)
	v_add_co_u32 v25, vcc_lo, s16, v13
	s_wait_alu 0xfffd
	v_add_co_ci_u32_e64 v26, null, s17, v14, vcc_lo
	;;#ASMSTART
	global_load_b128 v[13:16], v[25:26] off scope:SCOPE_DEV	
s_wait_loadcnt 0x0
	;;#ASMEND
	v_and_b32_e32 v16, 0xff, v15
	s_delay_alu instid0(VALU_DEP_1)
	v_cmpx_eq_u16_e32 0, v16
	s_cbranch_execz .LBB2042_67
; %bb.64:                               ;   in Loop: Header=BB2042_62 Depth=1
	s_mov_b32 s6, 0
.LBB2042_65:                            ;   Parent Loop BB2042_62 Depth=1
                                        ; =>  This Inner Loop Header: Depth=2
	;;#ASMSTART
	global_load_b128 v[13:16], v[25:26] off scope:SCOPE_DEV	
s_wait_loadcnt 0x0
	;;#ASMEND
	v_and_b32_e32 v16, 0xff, v15
	s_delay_alu instid0(VALU_DEP_1)
	v_cmp_ne_u16_e32 vcc_lo, 0, v16
	s_wait_alu 0xfffe
	s_or_b32 s6, vcc_lo, s6
	s_wait_alu 0xfffe
	s_and_not1_b32 exec_lo, exec_lo, s6
	s_cbranch_execnz .LBB2042_65
; %bb.66:                               ;   in Loop: Header=BB2042_62 Depth=1
	s_or_b32 exec_lo, exec_lo, s6
.LBB2042_67:                            ;   in Loop: Header=BB2042_62 Depth=1
	s_wait_alu 0xfffe
	s_or_b32 exec_lo, exec_lo, s4
	v_dual_mov_b32 v25, v13 :: v_dual_and_b32 v16, 0xff, v15
	ds_bpermute_b32 v47, v37, v13
	ds_bpermute_b32 v26, v37, v14
	s_mov_b32 s4, exec_lo
	v_cmp_eq_u16_e32 vcc_lo, 2, v16
	s_wait_alu 0xfffd
	v_and_or_b32 v16, vcc_lo, v38, 0x80000000
	s_delay_alu instid0(VALU_DEP_1) | instskip(NEXT) | instid1(VALU_DEP_1)
	v_ctz_i32_b32_e32 v16, v16
	v_cmpx_lt_u32_e64 v33, v16
	s_cbranch_execz .LBB2042_69
; %bb.68:                               ;   in Loop: Header=BB2042_62 Depth=1
	s_wait_dscnt 0x1
	v_add_co_u32 v25, vcc_lo, v13, v47
	s_wait_alu 0xfffd
	v_add_co_ci_u32_e64 v14, null, 0, v14, vcc_lo
	s_delay_alu instid0(VALU_DEP_2) | instskip(SKIP_2) | instid1(VALU_DEP_2)
	v_add_co_u32 v13, vcc_lo, 0, v25
	s_wait_dscnt 0x0
	s_wait_alu 0xfffd
	v_add_co_ci_u32_e64 v14, null, v26, v14, vcc_lo
.LBB2042_69:                            ;   in Loop: Header=BB2042_62 Depth=1
	s_wait_alu 0xfffe
	s_or_b32 exec_lo, exec_lo, s4
	s_wait_dscnt 0x1
	ds_bpermute_b32 v47, v39, v25
	s_wait_dscnt 0x1
	ds_bpermute_b32 v26, v39, v14
	s_mov_b32 s4, exec_lo
	v_cmpx_le_u32_e64 v40, v16
	s_cbranch_execz .LBB2042_71
; %bb.70:                               ;   in Loop: Header=BB2042_62 Depth=1
	s_wait_dscnt 0x1
	v_add_co_u32 v25, vcc_lo, v13, v47
	s_wait_alu 0xfffd
	v_add_co_ci_u32_e64 v14, null, 0, v14, vcc_lo
	s_delay_alu instid0(VALU_DEP_2) | instskip(SKIP_2) | instid1(VALU_DEP_2)
	v_add_co_u32 v13, vcc_lo, 0, v25
	s_wait_dscnt 0x0
	s_wait_alu 0xfffd
	v_add_co_ci_u32_e64 v14, null, v26, v14, vcc_lo
.LBB2042_71:                            ;   in Loop: Header=BB2042_62 Depth=1
	s_wait_alu 0xfffe
	s_or_b32 exec_lo, exec_lo, s4
	s_wait_dscnt 0x1
	ds_bpermute_b32 v47, v41, v25
	s_wait_dscnt 0x1
	ds_bpermute_b32 v26, v41, v14
	s_mov_b32 s4, exec_lo
	v_cmpx_le_u32_e64 v42, v16
	;; [unrolled: 20-line block ×3, first 2 shown]
	s_cbranch_execz .LBB2042_75
; %bb.74:                               ;   in Loop: Header=BB2042_62 Depth=1
	s_wait_dscnt 0x1
	v_add_co_u32 v25, vcc_lo, v13, v47
	s_wait_alu 0xfffd
	v_add_co_ci_u32_e64 v14, null, 0, v14, vcc_lo
	s_delay_alu instid0(VALU_DEP_2) | instskip(SKIP_2) | instid1(VALU_DEP_2)
	v_add_co_u32 v13, vcc_lo, 0, v25
	s_wait_dscnt 0x0
	s_wait_alu 0xfffd
	v_add_co_ci_u32_e64 v14, null, v26, v14, vcc_lo
.LBB2042_75:                            ;   in Loop: Header=BB2042_62 Depth=1
	s_wait_alu 0xfffe
	s_or_b32 exec_lo, exec_lo, s4
	s_wait_dscnt 0x0
	ds_bpermute_b32 v26, v45, v25
	ds_bpermute_b32 v25, v45, v14
	s_mov_b32 s4, exec_lo
	v_cmpx_le_u32_e64 v46, v16
	s_cbranch_execz .LBB2042_60
; %bb.76:                               ;   in Loop: Header=BB2042_62 Depth=1
	s_wait_dscnt 0x1
	v_add_co_u32 v13, vcc_lo, v13, v26
	s_wait_alu 0xfffd
	v_add_co_ci_u32_e64 v14, null, 0, v14, vcc_lo
	s_delay_alu instid0(VALU_DEP_2) | instskip(SKIP_2) | instid1(VALU_DEP_2)
	v_add_co_u32 v13, vcc_lo, v13, 0
	s_wait_dscnt 0x0
	s_wait_alu 0xfffd
	v_add_co_ci_u32_e64 v14, null, v14, v25, vcc_lo
	s_branch .LBB2042_60
.LBB2042_77:
                                        ; implicit-def: $vgpr15_vgpr16
                                        ; implicit-def: $vgpr13_vgpr14
                                        ; implicit-def: $vgpr21_vgpr22
                                        ; implicit-def: $vgpr23_vgpr24
                                        ; implicit-def: $vgpr11_vgpr12
	s_wait_alu 0xfffe
	s_and_b32 vcc_lo, exec_lo, s1
	s_cbranch_vccnz .LBB2042_83
	s_branch .LBB2042_108
.LBB2042_78:
	s_and_saveexec_b32 s4, s1
	s_cbranch_execz .LBB2042_80
; %bb.79:
	s_add_co_i32 s6, s15, 32
	s_mov_b32 s7, 0
	v_add_co_u32 v13, vcc_lo, v11, v9
	s_wait_alu 0xfffe
	s_lshl_b64 s[6:7], s[6:7], 4
	v_dual_mov_b32 v15, 2 :: v_dual_mov_b32 v16, 0
	s_wait_alu 0xfffe
	s_add_nc_u64 s[6:7], s[16:17], s[6:7]
	s_wait_alu 0xfffd
	v_add_co_ci_u32_e64 v14, null, v12, v10, vcc_lo
	s_wait_alu 0xfffe
	v_dual_mov_b32 v24, s7 :: v_dual_mov_b32 v23, s6
	;;#ASMSTART
	global_store_b128 v[23:24], v[13:16] off scope:SCOPE_DEV	
s_wait_storecnt 0x0
	;;#ASMEND
	ds_store_b128 v16, v[9:12] offset:8448
.LBB2042_80:
	s_wait_alu 0xfffe
	s_or_b32 exec_lo, exec_lo, s4
	s_delay_alu instid0(SALU_CYCLE_1)
	s_and_b32 exec_lo, exec_lo, s2
; %bb.81:
	v_mov_b32_e32 v9, 0
	ds_store_b64 v9, v[11:12] offset:56
.LBB2042_82:
	s_wait_alu 0xfffe
	s_or_b32 exec_lo, exec_lo, s3
	v_mov_b32_e32 v9, 0
	s_wait_loadcnt_dscnt 0x0
	s_barrier_signal -1
	s_barrier_wait -1
	global_inv scope:SCOPE_SE
	ds_load_b64 v[13:14], v9 offset:56
	v_cndmask_b32_e64 v11, v35, v21, s1
	v_cndmask_b32_e64 v10, v36, v22, s1
	s_wait_loadcnt_dscnt 0x0
	s_barrier_signal -1
	s_barrier_wait -1
	v_cndmask_b32_e64 v16, v11, 0, s2
	v_cndmask_b32_e64 v15, v10, 0, s2
	global_inv scope:SCOPE_SE
	ds_load_b128 v[9:12], v9 offset:8448
	v_add_co_u32 v23, vcc_lo, v13, v16
	s_wait_alu 0xfffd
	v_add_co_ci_u32_e64 v24, null, v14, v15, vcc_lo
	s_delay_alu instid0(VALU_DEP_2) | instskip(SKIP_1) | instid1(VALU_DEP_2)
	v_add_co_u32 v21, vcc_lo, v23, v32
	s_wait_alu 0xfffd
	v_add_co_ci_u32_e64 v22, null, 0, v24, vcc_lo
	s_delay_alu instid0(VALU_DEP_2) | instskip(SKIP_1) | instid1(VALU_DEP_2)
	;; [unrolled: 4-line block ×3, first 2 shown]
	v_add_co_u32 v15, vcc_lo, v13, v30
	s_wait_alu 0xfffd
	v_add_co_ci_u32_e64 v16, null, 0, v14, vcc_lo
	s_branch .LBB2042_108
.LBB2042_83:
	s_wait_dscnt 0x0
	v_dual_mov_b32 v10, 0 :: v_dual_mov_b32 v11, v19
	v_mov_b32_dpp v12, v19 row_shr:1 row_mask:0xf bank_mask:0xf
	s_delay_alu instid0(VALU_DEP_2)
	v_mov_b32_dpp v9, v10 row_shr:1 row_mask:0xf bank_mask:0xf
	s_and_saveexec_b32 s1, s0
; %bb.84:
	s_delay_alu instid0(VALU_DEP_2) | instskip(NEXT) | instid1(VALU_DEP_1)
	v_add_co_u32 v11, vcc_lo, v19, v12
	v_add_co_ci_u32_e64 v10, null, 0, v20, vcc_lo
	s_delay_alu instid0(VALU_DEP_2) | instskip(SKIP_1) | instid1(VALU_DEP_2)
	v_add_co_u32 v19, vcc_lo, 0, v11
	s_wait_alu 0xfffd
	v_add_co_ci_u32_e64 v20, null, v9, v10, vcc_lo
	s_delay_alu instid0(VALU_DEP_1)
	v_mov_b32_e32 v10, v20
; %bb.85:
	s_wait_alu 0xfffe
	s_or_b32 exec_lo, exec_lo, s1
	v_mov_b32_dpp v9, v11 row_shr:2 row_mask:0xf bank_mask:0xf
	s_delay_alu instid0(VALU_DEP_2)
	v_mov_b32_dpp v12, v10 row_shr:2 row_mask:0xf bank_mask:0xf
	s_mov_b32 s0, exec_lo
	v_cmpx_lt_u32_e32 1, v34
; %bb.86:
	s_delay_alu instid0(VALU_DEP_3) | instskip(SKIP_2) | instid1(VALU_DEP_2)
	v_add_co_u32 v11, vcc_lo, v19, v9
	s_wait_alu 0xfffd
	v_add_co_ci_u32_e64 v10, null, 0, v20, vcc_lo
	v_add_co_u32 v9, vcc_lo, 0, v11
	s_wait_alu 0xfffd
	s_delay_alu instid0(VALU_DEP_2) | instskip(NEXT) | instid1(VALU_DEP_1)
	v_add_co_ci_u32_e64 v10, null, v12, v10, vcc_lo
	v_dual_mov_b32 v20, v10 :: v_dual_mov_b32 v19, v9
; %bb.87:
	s_wait_alu 0xfffe
	s_or_b32 exec_lo, exec_lo, s0
	v_mov_b32_dpp v9, v11 row_shr:4 row_mask:0xf bank_mask:0xf
	v_mov_b32_dpp v12, v10 row_shr:4 row_mask:0xf bank_mask:0xf
	s_mov_b32 s0, exec_lo
	v_cmpx_lt_u32_e32 3, v34
; %bb.88:
	s_delay_alu instid0(VALU_DEP_3) | instskip(SKIP_2) | instid1(VALU_DEP_2)
	v_add_co_u32 v11, vcc_lo, v19, v9
	s_wait_alu 0xfffd
	v_add_co_ci_u32_e64 v10, null, 0, v20, vcc_lo
	v_add_co_u32 v9, vcc_lo, 0, v11
	s_wait_alu 0xfffd
	s_delay_alu instid0(VALU_DEP_2) | instskip(NEXT) | instid1(VALU_DEP_1)
	v_add_co_ci_u32_e64 v10, null, v12, v10, vcc_lo
	v_dual_mov_b32 v20, v10 :: v_dual_mov_b32 v19, v9
; %bb.89:
	s_wait_alu 0xfffe
	s_or_b32 exec_lo, exec_lo, s0
	v_mov_b32_dpp v12, v11 row_shr:8 row_mask:0xf bank_mask:0xf
	v_mov_b32_dpp v9, v10 row_shr:8 row_mask:0xf bank_mask:0xf
	s_mov_b32 s0, exec_lo
	v_cmpx_lt_u32_e32 7, v34
; %bb.90:
	s_delay_alu instid0(VALU_DEP_3) | instskip(SKIP_2) | instid1(VALU_DEP_2)
	v_add_co_u32 v11, vcc_lo, v19, v12
	s_wait_alu 0xfffd
	v_add_co_ci_u32_e64 v10, null, 0, v20, vcc_lo
	v_add_co_u32 v19, vcc_lo, 0, v11
	s_wait_alu 0xfffd
	s_delay_alu instid0(VALU_DEP_2) | instskip(NEXT) | instid1(VALU_DEP_1)
	v_add_co_ci_u32_e64 v20, null, v9, v10, vcc_lo
	v_mov_b32_e32 v10, v20
; %bb.91:
	s_wait_alu 0xfffe
	s_or_b32 exec_lo, exec_lo, s0
	ds_swizzle_b32 v11, v11 offset:swizzle(BROADCAST,32,15)
	ds_swizzle_b32 v9, v10 offset:swizzle(BROADCAST,32,15)
	v_and_b32_e32 v10, 16, v33
	s_mov_b32 s0, exec_lo
	s_delay_alu instid0(VALU_DEP_1)
	v_cmpx_ne_u32_e32 0, v10
	s_cbranch_execz .LBB2042_93
; %bb.92:
	s_wait_dscnt 0x1
	v_add_co_u32 v10, vcc_lo, v19, v11
	s_wait_alu 0xfffd
	v_add_co_ci_u32_e64 v11, null, 0, v20, vcc_lo
	s_delay_alu instid0(VALU_DEP_2) | instskip(SKIP_2) | instid1(VALU_DEP_2)
	v_add_co_u32 v19, vcc_lo, v10, 0
	s_wait_dscnt 0x0
	s_wait_alu 0xfffd
	v_add_co_ci_u32_e64 v20, null, v11, v9, vcc_lo
.LBB2042_93:
	s_wait_alu 0xfffe
	s_or_b32 exec_lo, exec_lo, s0
	s_wait_dscnt 0x0
	v_or_b32_e32 v9, 31, v0
	v_lshrrev_b32_e32 v11, 5, v0
	s_mov_b32 s0, exec_lo
	s_delay_alu instid0(VALU_DEP_2)
	v_cmpx_eq_u32_e64 v0, v9
; %bb.94:
	s_delay_alu instid0(VALU_DEP_2)
	v_lshlrev_b32_e32 v9, 3, v11
	ds_store_b64 v9, v[19:20]
; %bb.95:
	s_wait_alu 0xfffe
	s_or_b32 exec_lo, exec_lo, s0
	s_delay_alu instid0(SALU_CYCLE_1)
	s_mov_b32 s0, exec_lo
	s_wait_loadcnt_dscnt 0x0
	s_barrier_signal -1
	s_barrier_wait -1
	global_inv scope:SCOPE_SE
	v_cmpx_gt_u32_e32 8, v0
	s_cbranch_execz .LBB2042_103
; %bb.96:
	v_lshlrev_b32_e32 v12, 3, v0
	s_mov_b32 s1, exec_lo
	ds_load_b64 v[9:10], v12
	s_wait_dscnt 0x0
	v_dual_mov_b32 v14, v9 :: v_dual_and_b32 v13, 7, v33
	v_mov_b32_dpp v16, v9 row_shr:1 row_mask:0xf bank_mask:0xf
	v_mov_b32_dpp v15, v10 row_shr:1 row_mask:0xf bank_mask:0xf
	s_delay_alu instid0(VALU_DEP_3)
	v_cmpx_ne_u32_e32 0, v13
; %bb.97:
	s_delay_alu instid0(VALU_DEP_3) | instskip(SKIP_2) | instid1(VALU_DEP_2)
	v_add_co_u32 v14, vcc_lo, v9, v16
	s_wait_alu 0xfffd
	v_add_co_ci_u32_e64 v10, null, 0, v10, vcc_lo
	v_add_co_u32 v9, vcc_lo, 0, v14
	s_wait_alu 0xfffd
	s_delay_alu instid0(VALU_DEP_2)
	v_add_co_ci_u32_e64 v10, null, v15, v10, vcc_lo
; %bb.98:
	s_wait_alu 0xfffe
	s_or_b32 exec_lo, exec_lo, s1
	v_mov_b32_dpp v16, v14 row_shr:2 row_mask:0xf bank_mask:0xf
	s_delay_alu instid0(VALU_DEP_2)
	v_mov_b32_dpp v15, v10 row_shr:2 row_mask:0xf bank_mask:0xf
	s_mov_b32 s1, exec_lo
	v_cmpx_lt_u32_e32 1, v13
; %bb.99:
	s_delay_alu instid0(VALU_DEP_3) | instskip(SKIP_2) | instid1(VALU_DEP_2)
	v_add_co_u32 v14, vcc_lo, v9, v16
	s_wait_alu 0xfffd
	v_add_co_ci_u32_e64 v10, null, 0, v10, vcc_lo
	v_add_co_u32 v9, vcc_lo, 0, v14
	s_wait_alu 0xfffd
	s_delay_alu instid0(VALU_DEP_2)
	v_add_co_ci_u32_e64 v10, null, v15, v10, vcc_lo
; %bb.100:
	s_wait_alu 0xfffe
	s_or_b32 exec_lo, exec_lo, s1
	v_mov_b32_dpp v15, v14 row_shr:4 row_mask:0xf bank_mask:0xf
	s_delay_alu instid0(VALU_DEP_2)
	v_mov_b32_dpp v14, v10 row_shr:4 row_mask:0xf bank_mask:0xf
	s_mov_b32 s1, exec_lo
	v_cmpx_lt_u32_e32 3, v13
; %bb.101:
	s_delay_alu instid0(VALU_DEP_3) | instskip(SKIP_2) | instid1(VALU_DEP_2)
	v_add_co_u32 v9, vcc_lo, v9, v15
	s_wait_alu 0xfffd
	v_add_co_ci_u32_e64 v10, null, 0, v10, vcc_lo
	v_add_co_u32 v9, vcc_lo, v9, 0
	s_wait_alu 0xfffd
	s_delay_alu instid0(VALU_DEP_2)
	v_add_co_ci_u32_e64 v10, null, v10, v14, vcc_lo
; %bb.102:
	s_wait_alu 0xfffe
	s_or_b32 exec_lo, exec_lo, s1
	ds_store_b64 v12, v[9:10]
.LBB2042_103:
	s_wait_alu 0xfffe
	s_or_b32 exec_lo, exec_lo, s0
	v_mov_b32_e32 v13, 0
	v_mov_b32_e32 v14, 0
	s_mov_b32 s0, exec_lo
	s_wait_loadcnt_dscnt 0x0
	s_barrier_signal -1
	s_barrier_wait -1
	global_inv scope:SCOPE_SE
	v_cmpx_lt_u32_e32 31, v0
; %bb.104:
	v_lshl_add_u32 v9, v11, 3, -8
	ds_load_b64 v[13:14], v9
; %bb.105:
	s_wait_alu 0xfffe
	s_or_b32 exec_lo, exec_lo, s0
	v_sub_co_u32 v9, vcc_lo, v33, 1
	v_mov_b32_e32 v12, 0
	s_delay_alu instid0(VALU_DEP_2) | instskip(SKIP_1) | instid1(VALU_DEP_1)
	v_cmp_gt_i32_e64 s0, 0, v9
	s_wait_alu 0xf1ff
	v_cndmask_b32_e64 v9, v9, v33, s0
	s_wait_dscnt 0x0
	v_add_co_u32 v10, s0, v13, v19
	s_wait_alu 0xf1ff
	v_add_co_ci_u32_e64 v11, null, v14, v20, s0
	v_lshlrev_b32_e32 v9, 2, v9
	ds_bpermute_b32 v15, v9, v10
	ds_bpermute_b32 v16, v9, v11
	ds_load_b64 v[9:10], v12 offset:56
	s_and_saveexec_b32 s0, s2
	s_cbranch_execz .LBB2042_107
; %bb.106:
	s_add_nc_u64 s[6:7], s[16:17], 0x200
	s_wait_alu 0xfffe
	v_dual_mov_b32 v11, 2 :: v_dual_mov_b32 v20, s7
	v_mov_b32_e32 v19, s6
	s_wait_dscnt 0x0
	;;#ASMSTART
	global_store_b128 v[19:20], v[9:12] off scope:SCOPE_DEV	
s_wait_storecnt 0x0
	;;#ASMEND
.LBB2042_107:
	s_wait_alu 0xfffe
	s_or_b32 exec_lo, exec_lo, s0
	s_wait_dscnt 0x1
	s_wait_alu 0xfffd
	v_dual_cndmask_b32 v11, v15, v13 :: v_dual_cndmask_b32 v12, v16, v14
	s_wait_loadcnt_dscnt 0x0
	s_barrier_signal -1
	s_barrier_wait -1
	s_delay_alu instid0(VALU_DEP_1)
	v_cndmask_b32_e64 v23, v11, 0, s2
	v_cndmask_b32_e64 v24, v12, 0, s2
	v_mov_b32_e32 v11, 0
	v_mov_b32_e32 v12, 0
	global_inv scope:SCOPE_SE
	v_add_co_u32 v21, vcc_lo, v23, v32
	s_wait_alu 0xfffd
	v_add_co_ci_u32_e64 v22, null, 0, v24, vcc_lo
	s_delay_alu instid0(VALU_DEP_2) | instskip(SKIP_1) | instid1(VALU_DEP_2)
	v_add_co_u32 v13, vcc_lo, v21, v31
	s_wait_alu 0xfffd
	v_add_co_ci_u32_e64 v14, null, 0, v22, vcc_lo
	s_delay_alu instid0(VALU_DEP_2) | instskip(SKIP_1) | instid1(VALU_DEP_2)
	v_add_co_u32 v15, vcc_lo, v13, v30
	s_wait_alu 0xfffd
	v_add_co_ci_u32_e64 v16, null, 0, v14, vcc_lo
.LBB2042_108:
	v_and_b32_e32 v25, 1, v29
	s_wait_dscnt 0x0
	v_cmp_gt_u64_e32 vcc_lo, 0x101, v[9:10]
	s_mov_b32 s1, -1
	s_delay_alu instid0(VALU_DEP_2)
	v_cmp_eq_u32_e64 s0, 1, v25
	s_cbranch_vccnz .LBB2042_112
; %bb.109:
	s_wait_alu 0xfffe
	s_and_b32 vcc_lo, exec_lo, s1
	s_wait_alu 0xfffe
	s_cbranch_vccnz .LBB2042_121
.LBB2042_110:
	s_and_b32 s0, s2, s9
	s_wait_alu 0xfffe
	s_and_saveexec_b32 s1, s0
	s_cbranch_execnz .LBB2042_133
.LBB2042_111:
	s_endpgm
.LBB2042_112:
	v_add_co_u32 v19, vcc_lo, v11, v9
	s_wait_alu 0xfffd
	v_add_co_ci_u32_e64 v20, null, v12, v10, vcc_lo
	v_lshlrev_b64_e32 v[29:30], 2, v[17:18]
	s_delay_alu instid0(VALU_DEP_2) | instskip(NEXT) | instid1(VALU_DEP_2)
	v_cmp_lt_u64_e32 vcc_lo, v[23:24], v[19:20]
	v_add_co_u32 v26, s1, s10, v29
	s_wait_alu 0xf1fe
	s_delay_alu instid0(VALU_DEP_3)
	v_add_co_ci_u32_e64 v29, null, s11, v30, s1
	s_or_b32 s1, s14, vcc_lo
	s_wait_alu 0xfffe
	s_and_b32 s1, s1, s0
	s_wait_alu 0xfffe
	s_and_saveexec_b32 s0, s1
	s_cbranch_execz .LBB2042_114
; %bb.113:
	v_lshlrev_b64_e32 v[30:31], 2, v[23:24]
	s_delay_alu instid0(VALU_DEP_1) | instskip(SKIP_1) | instid1(VALU_DEP_2)
	v_add_co_u32 v30, vcc_lo, v26, v30
	s_wait_alu 0xfffd
	v_add_co_ci_u32_e64 v31, null, v29, v31, vcc_lo
	global_store_b32 v[30:31], v1, off
.LBB2042_114:
	s_wait_alu 0xfffe
	s_or_b32 exec_lo, exec_lo, s0
	v_and_b32_e32 v24, 1, v28
	v_cmp_lt_u64_e32 vcc_lo, v[21:22], v[19:20]
	s_delay_alu instid0(VALU_DEP_2)
	v_cmp_eq_u32_e64 s0, 1, v24
	s_or_b32 s1, s14, vcc_lo
	s_wait_alu 0xfffe
	s_and_b32 s1, s1, s0
	s_wait_alu 0xfffe
	s_and_saveexec_b32 s0, s1
	s_cbranch_execz .LBB2042_116
; %bb.115:
	v_lshlrev_b64_e32 v[30:31], 2, v[21:22]
	s_delay_alu instid0(VALU_DEP_1) | instskip(SKIP_1) | instid1(VALU_DEP_2)
	v_add_co_u32 v30, vcc_lo, v26, v30
	s_wait_alu 0xfffd
	v_add_co_ci_u32_e64 v31, null, v29, v31, vcc_lo
	global_store_b32 v[30:31], v5, off
.LBB2042_116:
	s_wait_alu 0xfffe
	s_or_b32 exec_lo, exec_lo, s0
	v_and_b32_e32 v22, 1, v27
	v_cmp_lt_u64_e32 vcc_lo, v[13:14], v[19:20]
	s_delay_alu instid0(VALU_DEP_2)
	v_cmp_eq_u32_e64 s0, 1, v22
	s_or_b32 s1, s14, vcc_lo
	s_wait_alu 0xfffe
	s_and_b32 s1, s1, s0
	s_wait_alu 0xfffe
	s_and_saveexec_b32 s0, s1
	s_cbranch_execz .LBB2042_118
; %bb.117:
	v_lshlrev_b64_e32 v[30:31], 2, v[13:14]
	s_delay_alu instid0(VALU_DEP_1) | instskip(SKIP_1) | instid1(VALU_DEP_2)
	v_add_co_u32 v30, vcc_lo, v26, v30
	s_wait_alu 0xfffd
	v_add_co_ci_u32_e64 v31, null, v29, v31, vcc_lo
	global_store_b32 v[30:31], v7, off
.LBB2042_118:
	s_wait_alu 0xfffe
	s_or_b32 exec_lo, exec_lo, s0
	v_cmp_lt_u64_e32 vcc_lo, v[15:16], v[19:20]
	s_or_b32 s0, s14, vcc_lo
	s_wait_alu 0xfffe
	s_and_b32 s1, s0, s5
	s_wait_alu 0xfffe
	s_and_saveexec_b32 s0, s1
	s_cbranch_execz .LBB2042_120
; %bb.119:
	v_lshlrev_b64_e32 v[19:20], 2, v[15:16]
	s_delay_alu instid0(VALU_DEP_1) | instskip(SKIP_1) | instid1(VALU_DEP_2)
	v_add_co_u32 v19, vcc_lo, v26, v19
	s_wait_alu 0xfffd
	v_add_co_ci_u32_e64 v20, null, v29, v20, vcc_lo
	global_store_b32 v[19:20], v3, off
.LBB2042_120:
	s_wait_alu 0xfffe
	s_or_b32 exec_lo, exec_lo, s0
	s_branch .LBB2042_110
.LBB2042_121:
	s_mov_b32 s0, exec_lo
	v_cmpx_eq_u32_e32 1, v25
; %bb.122:
	v_sub_nc_u32_e32 v14, v23, v11
	s_delay_alu instid0(VALU_DEP_1)
	v_lshlrev_b32_e32 v14, 3, v14
	ds_store_b64 v14, v[1:2]
; %bb.123:
	s_wait_alu 0xfffe
	s_or_b32 exec_lo, exec_lo, s0
	v_and_b32_e32 v1, 1, v28
	s_mov_b32 s0, exec_lo
	s_delay_alu instid0(VALU_DEP_1)
	v_cmpx_eq_u32_e32 1, v1
; %bb.124:
	v_sub_nc_u32_e32 v1, v21, v11
	s_delay_alu instid0(VALU_DEP_1)
	v_lshlrev_b32_e32 v1, 3, v1
	ds_store_b64 v1, v[5:6]
; %bb.125:
	s_wait_alu 0xfffe
	s_or_b32 exec_lo, exec_lo, s0
	v_and_b32_e32 v1, 1, v27
	s_mov_b32 s0, exec_lo
	s_delay_alu instid0(VALU_DEP_1)
	v_cmpx_eq_u32_e32 1, v1
; %bb.126:
	v_sub_nc_u32_e32 v1, v13, v11
	s_delay_alu instid0(VALU_DEP_1)
	v_lshlrev_b32_e32 v1, 3, v1
	ds_store_b64 v1, v[7:8]
; %bb.127:
	s_wait_alu 0xfffe
	s_or_b32 exec_lo, exec_lo, s0
	s_and_saveexec_b32 s0, s5
; %bb.128:
	v_sub_nc_u32_e32 v1, v15, v11
	s_delay_alu instid0(VALU_DEP_1)
	v_lshlrev_b32_e32 v1, 3, v1
	ds_store_b64 v1, v[3:4]
; %bb.129:
	s_wait_alu 0xfffe
	s_or_b32 exec_lo, exec_lo, s0
	v_mov_b32_e32 v1, 0
	s_mov_b32 s1, exec_lo
	s_wait_storecnt 0x0
	s_wait_loadcnt_dscnt 0x0
	s_barrier_signal -1
	s_barrier_wait -1
	global_inv scope:SCOPE_SE
	v_cmpx_gt_u64_e64 v[9:10], v[0:1]
	s_cbranch_execz .LBB2042_132
; %bb.130:
	v_lshlrev_b64_e32 v[2:3], 2, v[17:18]
	v_lshlrev_b64_e32 v[4:5], 2, v[11:12]
	s_mov_b32 s3, 0
	s_delay_alu instid0(VALU_DEP_2) | instskip(SKIP_1) | instid1(VALU_DEP_3)
	v_add_co_u32 v6, vcc_lo, s10, v2
	s_wait_alu 0xfffd
	v_add_co_ci_u32_e64 v7, null, s11, v3, vcc_lo
	v_dual_mov_b32 v3, v1 :: v_dual_mov_b32 v2, v0
	s_delay_alu instid0(VALU_DEP_3) | instskip(SKIP_1) | instid1(VALU_DEP_3)
	v_add_co_u32 v4, vcc_lo, v6, v4
	s_wait_alu 0xfffd
	v_add_co_ci_u32_e64 v5, null, v7, v5, vcc_lo
	v_or_b32_e32 v0, 0x100, v0
.LBB2042_131:                           ; =>This Inner Loop Header: Depth=1
	v_lshlrev_b32_e32 v6, 3, v2
	s_delay_alu instid0(VALU_DEP_2)
	v_cmp_le_u64_e32 vcc_lo, v[9:10], v[0:1]
	ds_load_b32 v8, v6
	v_lshlrev_b64_e32 v[6:7], 2, v[2:3]
	v_dual_mov_b32 v3, v1 :: v_dual_mov_b32 v2, v0
	v_add_nc_u32_e32 v0, 0x100, v0
	s_wait_alu 0xfffe
	s_or_b32 s3, vcc_lo, s3
	s_delay_alu instid0(VALU_DEP_3)
	v_add_co_u32 v6, s0, v4, v6
	s_wait_alu 0xf1ff
	v_add_co_ci_u32_e64 v7, null, v5, v7, s0
	s_wait_dscnt 0x0
	global_store_b32 v[6:7], v8, off
	s_wait_alu 0xfffe
	s_and_not1_b32 exec_lo, exec_lo, s3
	s_cbranch_execnz .LBB2042_131
.LBB2042_132:
	s_wait_alu 0xfffe
	s_or_b32 exec_lo, exec_lo, s1
	s_and_b32 s0, s2, s9
	s_wait_alu 0xfffe
	s_and_saveexec_b32 s1, s0
	s_cbranch_execz .LBB2042_111
.LBB2042_133:
	v_add_co_u32 v0, vcc_lo, v11, v9
	s_wait_alu 0xfffd
	v_add_co_ci_u32_e64 v1, null, v12, v10, vcc_lo
	v_mov_b32_e32 v2, 0
	s_delay_alu instid0(VALU_DEP_3) | instskip(SKIP_1) | instid1(VALU_DEP_3)
	v_add_co_u32 v0, vcc_lo, v0, v17
	s_wait_alu 0xfffd
	v_add_co_ci_u32_e64 v1, null, v1, v18, vcc_lo
	global_store_b64 v2, v[0:1], s[12:13]
	s_endpgm
	.section	.rodata,"a",@progbits
	.p2align	6, 0x0
	.amdhsa_kernel _ZN7rocprim17ROCPRIM_400000_NS6detail17trampoline_kernelINS0_14default_configENS1_25partition_config_selectorILNS1_17partition_subalgoE6EN6thrust23THRUST_200600_302600_NS5tupleIiiNS7_9null_typeES9_S9_S9_S9_S9_S9_S9_EENS0_10empty_typeEbEEZZNS1_14partition_implILS5_6ELb0ES3_mNS7_12zip_iteratorINS8_INS7_6detail15normal_iteratorINS7_10device_ptrIiEEEESJ_S9_S9_S9_S9_S9_S9_S9_S9_EEEEPSB_SM_NS0_5tupleIJNSE_INS8_ISJ_NS7_16discard_iteratorINS7_11use_defaultEEES9_S9_S9_S9_S9_S9_S9_S9_EEEESB_EEENSN_IJSM_SM_EEESB_PlJNSF_9not_fun_tINSF_14equal_to_valueISA_EEEEEEE10hipError_tPvRmT3_T4_T5_T6_T7_T9_mT8_P12ihipStream_tbDpT10_ENKUlT_T0_E_clISt17integral_constantIbLb0EES1I_IbLb1EEEEDaS1E_S1F_EUlS1E_E_NS1_11comp_targetILNS1_3genE10ELNS1_11target_archE1200ELNS1_3gpuE4ELNS1_3repE0EEENS1_30default_config_static_selectorELNS0_4arch9wavefront6targetE0EEEvT1_
		.amdhsa_group_segment_fixed_size 8464
		.amdhsa_private_segment_fixed_size 0
		.amdhsa_kernarg_size 152
		.amdhsa_user_sgpr_count 2
		.amdhsa_user_sgpr_dispatch_ptr 0
		.amdhsa_user_sgpr_queue_ptr 0
		.amdhsa_user_sgpr_kernarg_segment_ptr 1
		.amdhsa_user_sgpr_dispatch_id 0
		.amdhsa_user_sgpr_private_segment_size 0
		.amdhsa_wavefront_size32 1
		.amdhsa_uses_dynamic_stack 0
		.amdhsa_enable_private_segment 0
		.amdhsa_system_sgpr_workgroup_id_x 1
		.amdhsa_system_sgpr_workgroup_id_y 0
		.amdhsa_system_sgpr_workgroup_id_z 0
		.amdhsa_system_sgpr_workgroup_info 0
		.amdhsa_system_vgpr_workitem_id 0
		.amdhsa_next_free_vgpr 48
		.amdhsa_next_free_sgpr 26
		.amdhsa_reserve_vcc 1
		.amdhsa_float_round_mode_32 0
		.amdhsa_float_round_mode_16_64 0
		.amdhsa_float_denorm_mode_32 3
		.amdhsa_float_denorm_mode_16_64 3
		.amdhsa_fp16_overflow 0
		.amdhsa_workgroup_processor_mode 1
		.amdhsa_memory_ordered 1
		.amdhsa_forward_progress 1
		.amdhsa_inst_pref_size 52
		.amdhsa_round_robin_scheduling 0
		.amdhsa_exception_fp_ieee_invalid_op 0
		.amdhsa_exception_fp_denorm_src 0
		.amdhsa_exception_fp_ieee_div_zero 0
		.amdhsa_exception_fp_ieee_overflow 0
		.amdhsa_exception_fp_ieee_underflow 0
		.amdhsa_exception_fp_ieee_inexact 0
		.amdhsa_exception_int_div_zero 0
	.end_amdhsa_kernel
	.section	.text._ZN7rocprim17ROCPRIM_400000_NS6detail17trampoline_kernelINS0_14default_configENS1_25partition_config_selectorILNS1_17partition_subalgoE6EN6thrust23THRUST_200600_302600_NS5tupleIiiNS7_9null_typeES9_S9_S9_S9_S9_S9_S9_EENS0_10empty_typeEbEEZZNS1_14partition_implILS5_6ELb0ES3_mNS7_12zip_iteratorINS8_INS7_6detail15normal_iteratorINS7_10device_ptrIiEEEESJ_S9_S9_S9_S9_S9_S9_S9_S9_EEEEPSB_SM_NS0_5tupleIJNSE_INS8_ISJ_NS7_16discard_iteratorINS7_11use_defaultEEES9_S9_S9_S9_S9_S9_S9_S9_EEEESB_EEENSN_IJSM_SM_EEESB_PlJNSF_9not_fun_tINSF_14equal_to_valueISA_EEEEEEE10hipError_tPvRmT3_T4_T5_T6_T7_T9_mT8_P12ihipStream_tbDpT10_ENKUlT_T0_E_clISt17integral_constantIbLb0EES1I_IbLb1EEEEDaS1E_S1F_EUlS1E_E_NS1_11comp_targetILNS1_3genE10ELNS1_11target_archE1200ELNS1_3gpuE4ELNS1_3repE0EEENS1_30default_config_static_selectorELNS0_4arch9wavefront6targetE0EEEvT1_,"axG",@progbits,_ZN7rocprim17ROCPRIM_400000_NS6detail17trampoline_kernelINS0_14default_configENS1_25partition_config_selectorILNS1_17partition_subalgoE6EN6thrust23THRUST_200600_302600_NS5tupleIiiNS7_9null_typeES9_S9_S9_S9_S9_S9_S9_EENS0_10empty_typeEbEEZZNS1_14partition_implILS5_6ELb0ES3_mNS7_12zip_iteratorINS8_INS7_6detail15normal_iteratorINS7_10device_ptrIiEEEESJ_S9_S9_S9_S9_S9_S9_S9_S9_EEEEPSB_SM_NS0_5tupleIJNSE_INS8_ISJ_NS7_16discard_iteratorINS7_11use_defaultEEES9_S9_S9_S9_S9_S9_S9_S9_EEEESB_EEENSN_IJSM_SM_EEESB_PlJNSF_9not_fun_tINSF_14equal_to_valueISA_EEEEEEE10hipError_tPvRmT3_T4_T5_T6_T7_T9_mT8_P12ihipStream_tbDpT10_ENKUlT_T0_E_clISt17integral_constantIbLb0EES1I_IbLb1EEEEDaS1E_S1F_EUlS1E_E_NS1_11comp_targetILNS1_3genE10ELNS1_11target_archE1200ELNS1_3gpuE4ELNS1_3repE0EEENS1_30default_config_static_selectorELNS0_4arch9wavefront6targetE0EEEvT1_,comdat
.Lfunc_end2042:
	.size	_ZN7rocprim17ROCPRIM_400000_NS6detail17trampoline_kernelINS0_14default_configENS1_25partition_config_selectorILNS1_17partition_subalgoE6EN6thrust23THRUST_200600_302600_NS5tupleIiiNS7_9null_typeES9_S9_S9_S9_S9_S9_S9_EENS0_10empty_typeEbEEZZNS1_14partition_implILS5_6ELb0ES3_mNS7_12zip_iteratorINS8_INS7_6detail15normal_iteratorINS7_10device_ptrIiEEEESJ_S9_S9_S9_S9_S9_S9_S9_S9_EEEEPSB_SM_NS0_5tupleIJNSE_INS8_ISJ_NS7_16discard_iteratorINS7_11use_defaultEEES9_S9_S9_S9_S9_S9_S9_S9_EEEESB_EEENSN_IJSM_SM_EEESB_PlJNSF_9not_fun_tINSF_14equal_to_valueISA_EEEEEEE10hipError_tPvRmT3_T4_T5_T6_T7_T9_mT8_P12ihipStream_tbDpT10_ENKUlT_T0_E_clISt17integral_constantIbLb0EES1I_IbLb1EEEEDaS1E_S1F_EUlS1E_E_NS1_11comp_targetILNS1_3genE10ELNS1_11target_archE1200ELNS1_3gpuE4ELNS1_3repE0EEENS1_30default_config_static_selectorELNS0_4arch9wavefront6targetE0EEEvT1_, .Lfunc_end2042-_ZN7rocprim17ROCPRIM_400000_NS6detail17trampoline_kernelINS0_14default_configENS1_25partition_config_selectorILNS1_17partition_subalgoE6EN6thrust23THRUST_200600_302600_NS5tupleIiiNS7_9null_typeES9_S9_S9_S9_S9_S9_S9_EENS0_10empty_typeEbEEZZNS1_14partition_implILS5_6ELb0ES3_mNS7_12zip_iteratorINS8_INS7_6detail15normal_iteratorINS7_10device_ptrIiEEEESJ_S9_S9_S9_S9_S9_S9_S9_S9_EEEEPSB_SM_NS0_5tupleIJNSE_INS8_ISJ_NS7_16discard_iteratorINS7_11use_defaultEEES9_S9_S9_S9_S9_S9_S9_S9_EEEESB_EEENSN_IJSM_SM_EEESB_PlJNSF_9not_fun_tINSF_14equal_to_valueISA_EEEEEEE10hipError_tPvRmT3_T4_T5_T6_T7_T9_mT8_P12ihipStream_tbDpT10_ENKUlT_T0_E_clISt17integral_constantIbLb0EES1I_IbLb1EEEEDaS1E_S1F_EUlS1E_E_NS1_11comp_targetILNS1_3genE10ELNS1_11target_archE1200ELNS1_3gpuE4ELNS1_3repE0EEENS1_30default_config_static_selectorELNS0_4arch9wavefront6targetE0EEEvT1_
                                        ; -- End function
	.set _ZN7rocprim17ROCPRIM_400000_NS6detail17trampoline_kernelINS0_14default_configENS1_25partition_config_selectorILNS1_17partition_subalgoE6EN6thrust23THRUST_200600_302600_NS5tupleIiiNS7_9null_typeES9_S9_S9_S9_S9_S9_S9_EENS0_10empty_typeEbEEZZNS1_14partition_implILS5_6ELb0ES3_mNS7_12zip_iteratorINS8_INS7_6detail15normal_iteratorINS7_10device_ptrIiEEEESJ_S9_S9_S9_S9_S9_S9_S9_S9_EEEEPSB_SM_NS0_5tupleIJNSE_INS8_ISJ_NS7_16discard_iteratorINS7_11use_defaultEEES9_S9_S9_S9_S9_S9_S9_S9_EEEESB_EEENSN_IJSM_SM_EEESB_PlJNSF_9not_fun_tINSF_14equal_to_valueISA_EEEEEEE10hipError_tPvRmT3_T4_T5_T6_T7_T9_mT8_P12ihipStream_tbDpT10_ENKUlT_T0_E_clISt17integral_constantIbLb0EES1I_IbLb1EEEEDaS1E_S1F_EUlS1E_E_NS1_11comp_targetILNS1_3genE10ELNS1_11target_archE1200ELNS1_3gpuE4ELNS1_3repE0EEENS1_30default_config_static_selectorELNS0_4arch9wavefront6targetE0EEEvT1_.num_vgpr, 48
	.set _ZN7rocprim17ROCPRIM_400000_NS6detail17trampoline_kernelINS0_14default_configENS1_25partition_config_selectorILNS1_17partition_subalgoE6EN6thrust23THRUST_200600_302600_NS5tupleIiiNS7_9null_typeES9_S9_S9_S9_S9_S9_S9_EENS0_10empty_typeEbEEZZNS1_14partition_implILS5_6ELb0ES3_mNS7_12zip_iteratorINS8_INS7_6detail15normal_iteratorINS7_10device_ptrIiEEEESJ_S9_S9_S9_S9_S9_S9_S9_S9_EEEEPSB_SM_NS0_5tupleIJNSE_INS8_ISJ_NS7_16discard_iteratorINS7_11use_defaultEEES9_S9_S9_S9_S9_S9_S9_S9_EEEESB_EEENSN_IJSM_SM_EEESB_PlJNSF_9not_fun_tINSF_14equal_to_valueISA_EEEEEEE10hipError_tPvRmT3_T4_T5_T6_T7_T9_mT8_P12ihipStream_tbDpT10_ENKUlT_T0_E_clISt17integral_constantIbLb0EES1I_IbLb1EEEEDaS1E_S1F_EUlS1E_E_NS1_11comp_targetILNS1_3genE10ELNS1_11target_archE1200ELNS1_3gpuE4ELNS1_3repE0EEENS1_30default_config_static_selectorELNS0_4arch9wavefront6targetE0EEEvT1_.num_agpr, 0
	.set _ZN7rocprim17ROCPRIM_400000_NS6detail17trampoline_kernelINS0_14default_configENS1_25partition_config_selectorILNS1_17partition_subalgoE6EN6thrust23THRUST_200600_302600_NS5tupleIiiNS7_9null_typeES9_S9_S9_S9_S9_S9_S9_EENS0_10empty_typeEbEEZZNS1_14partition_implILS5_6ELb0ES3_mNS7_12zip_iteratorINS8_INS7_6detail15normal_iteratorINS7_10device_ptrIiEEEESJ_S9_S9_S9_S9_S9_S9_S9_S9_EEEEPSB_SM_NS0_5tupleIJNSE_INS8_ISJ_NS7_16discard_iteratorINS7_11use_defaultEEES9_S9_S9_S9_S9_S9_S9_S9_EEEESB_EEENSN_IJSM_SM_EEESB_PlJNSF_9not_fun_tINSF_14equal_to_valueISA_EEEEEEE10hipError_tPvRmT3_T4_T5_T6_T7_T9_mT8_P12ihipStream_tbDpT10_ENKUlT_T0_E_clISt17integral_constantIbLb0EES1I_IbLb1EEEEDaS1E_S1F_EUlS1E_E_NS1_11comp_targetILNS1_3genE10ELNS1_11target_archE1200ELNS1_3gpuE4ELNS1_3repE0EEENS1_30default_config_static_selectorELNS0_4arch9wavefront6targetE0EEEvT1_.numbered_sgpr, 26
	.set _ZN7rocprim17ROCPRIM_400000_NS6detail17trampoline_kernelINS0_14default_configENS1_25partition_config_selectorILNS1_17partition_subalgoE6EN6thrust23THRUST_200600_302600_NS5tupleIiiNS7_9null_typeES9_S9_S9_S9_S9_S9_S9_EENS0_10empty_typeEbEEZZNS1_14partition_implILS5_6ELb0ES3_mNS7_12zip_iteratorINS8_INS7_6detail15normal_iteratorINS7_10device_ptrIiEEEESJ_S9_S9_S9_S9_S9_S9_S9_S9_EEEEPSB_SM_NS0_5tupleIJNSE_INS8_ISJ_NS7_16discard_iteratorINS7_11use_defaultEEES9_S9_S9_S9_S9_S9_S9_S9_EEEESB_EEENSN_IJSM_SM_EEESB_PlJNSF_9not_fun_tINSF_14equal_to_valueISA_EEEEEEE10hipError_tPvRmT3_T4_T5_T6_T7_T9_mT8_P12ihipStream_tbDpT10_ENKUlT_T0_E_clISt17integral_constantIbLb0EES1I_IbLb1EEEEDaS1E_S1F_EUlS1E_E_NS1_11comp_targetILNS1_3genE10ELNS1_11target_archE1200ELNS1_3gpuE4ELNS1_3repE0EEENS1_30default_config_static_selectorELNS0_4arch9wavefront6targetE0EEEvT1_.num_named_barrier, 0
	.set _ZN7rocprim17ROCPRIM_400000_NS6detail17trampoline_kernelINS0_14default_configENS1_25partition_config_selectorILNS1_17partition_subalgoE6EN6thrust23THRUST_200600_302600_NS5tupleIiiNS7_9null_typeES9_S9_S9_S9_S9_S9_S9_EENS0_10empty_typeEbEEZZNS1_14partition_implILS5_6ELb0ES3_mNS7_12zip_iteratorINS8_INS7_6detail15normal_iteratorINS7_10device_ptrIiEEEESJ_S9_S9_S9_S9_S9_S9_S9_S9_EEEEPSB_SM_NS0_5tupleIJNSE_INS8_ISJ_NS7_16discard_iteratorINS7_11use_defaultEEES9_S9_S9_S9_S9_S9_S9_S9_EEEESB_EEENSN_IJSM_SM_EEESB_PlJNSF_9not_fun_tINSF_14equal_to_valueISA_EEEEEEE10hipError_tPvRmT3_T4_T5_T6_T7_T9_mT8_P12ihipStream_tbDpT10_ENKUlT_T0_E_clISt17integral_constantIbLb0EES1I_IbLb1EEEEDaS1E_S1F_EUlS1E_E_NS1_11comp_targetILNS1_3genE10ELNS1_11target_archE1200ELNS1_3gpuE4ELNS1_3repE0EEENS1_30default_config_static_selectorELNS0_4arch9wavefront6targetE0EEEvT1_.private_seg_size, 0
	.set _ZN7rocprim17ROCPRIM_400000_NS6detail17trampoline_kernelINS0_14default_configENS1_25partition_config_selectorILNS1_17partition_subalgoE6EN6thrust23THRUST_200600_302600_NS5tupleIiiNS7_9null_typeES9_S9_S9_S9_S9_S9_S9_EENS0_10empty_typeEbEEZZNS1_14partition_implILS5_6ELb0ES3_mNS7_12zip_iteratorINS8_INS7_6detail15normal_iteratorINS7_10device_ptrIiEEEESJ_S9_S9_S9_S9_S9_S9_S9_S9_EEEEPSB_SM_NS0_5tupleIJNSE_INS8_ISJ_NS7_16discard_iteratorINS7_11use_defaultEEES9_S9_S9_S9_S9_S9_S9_S9_EEEESB_EEENSN_IJSM_SM_EEESB_PlJNSF_9not_fun_tINSF_14equal_to_valueISA_EEEEEEE10hipError_tPvRmT3_T4_T5_T6_T7_T9_mT8_P12ihipStream_tbDpT10_ENKUlT_T0_E_clISt17integral_constantIbLb0EES1I_IbLb1EEEEDaS1E_S1F_EUlS1E_E_NS1_11comp_targetILNS1_3genE10ELNS1_11target_archE1200ELNS1_3gpuE4ELNS1_3repE0EEENS1_30default_config_static_selectorELNS0_4arch9wavefront6targetE0EEEvT1_.uses_vcc, 1
	.set _ZN7rocprim17ROCPRIM_400000_NS6detail17trampoline_kernelINS0_14default_configENS1_25partition_config_selectorILNS1_17partition_subalgoE6EN6thrust23THRUST_200600_302600_NS5tupleIiiNS7_9null_typeES9_S9_S9_S9_S9_S9_S9_EENS0_10empty_typeEbEEZZNS1_14partition_implILS5_6ELb0ES3_mNS7_12zip_iteratorINS8_INS7_6detail15normal_iteratorINS7_10device_ptrIiEEEESJ_S9_S9_S9_S9_S9_S9_S9_S9_EEEEPSB_SM_NS0_5tupleIJNSE_INS8_ISJ_NS7_16discard_iteratorINS7_11use_defaultEEES9_S9_S9_S9_S9_S9_S9_S9_EEEESB_EEENSN_IJSM_SM_EEESB_PlJNSF_9not_fun_tINSF_14equal_to_valueISA_EEEEEEE10hipError_tPvRmT3_T4_T5_T6_T7_T9_mT8_P12ihipStream_tbDpT10_ENKUlT_T0_E_clISt17integral_constantIbLb0EES1I_IbLb1EEEEDaS1E_S1F_EUlS1E_E_NS1_11comp_targetILNS1_3genE10ELNS1_11target_archE1200ELNS1_3gpuE4ELNS1_3repE0EEENS1_30default_config_static_selectorELNS0_4arch9wavefront6targetE0EEEvT1_.uses_flat_scratch, 0
	.set _ZN7rocprim17ROCPRIM_400000_NS6detail17trampoline_kernelINS0_14default_configENS1_25partition_config_selectorILNS1_17partition_subalgoE6EN6thrust23THRUST_200600_302600_NS5tupleIiiNS7_9null_typeES9_S9_S9_S9_S9_S9_S9_EENS0_10empty_typeEbEEZZNS1_14partition_implILS5_6ELb0ES3_mNS7_12zip_iteratorINS8_INS7_6detail15normal_iteratorINS7_10device_ptrIiEEEESJ_S9_S9_S9_S9_S9_S9_S9_S9_EEEEPSB_SM_NS0_5tupleIJNSE_INS8_ISJ_NS7_16discard_iteratorINS7_11use_defaultEEES9_S9_S9_S9_S9_S9_S9_S9_EEEESB_EEENSN_IJSM_SM_EEESB_PlJNSF_9not_fun_tINSF_14equal_to_valueISA_EEEEEEE10hipError_tPvRmT3_T4_T5_T6_T7_T9_mT8_P12ihipStream_tbDpT10_ENKUlT_T0_E_clISt17integral_constantIbLb0EES1I_IbLb1EEEEDaS1E_S1F_EUlS1E_E_NS1_11comp_targetILNS1_3genE10ELNS1_11target_archE1200ELNS1_3gpuE4ELNS1_3repE0EEENS1_30default_config_static_selectorELNS0_4arch9wavefront6targetE0EEEvT1_.has_dyn_sized_stack, 0
	.set _ZN7rocprim17ROCPRIM_400000_NS6detail17trampoline_kernelINS0_14default_configENS1_25partition_config_selectorILNS1_17partition_subalgoE6EN6thrust23THRUST_200600_302600_NS5tupleIiiNS7_9null_typeES9_S9_S9_S9_S9_S9_S9_EENS0_10empty_typeEbEEZZNS1_14partition_implILS5_6ELb0ES3_mNS7_12zip_iteratorINS8_INS7_6detail15normal_iteratorINS7_10device_ptrIiEEEESJ_S9_S9_S9_S9_S9_S9_S9_S9_EEEEPSB_SM_NS0_5tupleIJNSE_INS8_ISJ_NS7_16discard_iteratorINS7_11use_defaultEEES9_S9_S9_S9_S9_S9_S9_S9_EEEESB_EEENSN_IJSM_SM_EEESB_PlJNSF_9not_fun_tINSF_14equal_to_valueISA_EEEEEEE10hipError_tPvRmT3_T4_T5_T6_T7_T9_mT8_P12ihipStream_tbDpT10_ENKUlT_T0_E_clISt17integral_constantIbLb0EES1I_IbLb1EEEEDaS1E_S1F_EUlS1E_E_NS1_11comp_targetILNS1_3genE10ELNS1_11target_archE1200ELNS1_3gpuE4ELNS1_3repE0EEENS1_30default_config_static_selectorELNS0_4arch9wavefront6targetE0EEEvT1_.has_recursion, 0
	.set _ZN7rocprim17ROCPRIM_400000_NS6detail17trampoline_kernelINS0_14default_configENS1_25partition_config_selectorILNS1_17partition_subalgoE6EN6thrust23THRUST_200600_302600_NS5tupleIiiNS7_9null_typeES9_S9_S9_S9_S9_S9_S9_EENS0_10empty_typeEbEEZZNS1_14partition_implILS5_6ELb0ES3_mNS7_12zip_iteratorINS8_INS7_6detail15normal_iteratorINS7_10device_ptrIiEEEESJ_S9_S9_S9_S9_S9_S9_S9_S9_EEEEPSB_SM_NS0_5tupleIJNSE_INS8_ISJ_NS7_16discard_iteratorINS7_11use_defaultEEES9_S9_S9_S9_S9_S9_S9_S9_EEEESB_EEENSN_IJSM_SM_EEESB_PlJNSF_9not_fun_tINSF_14equal_to_valueISA_EEEEEEE10hipError_tPvRmT3_T4_T5_T6_T7_T9_mT8_P12ihipStream_tbDpT10_ENKUlT_T0_E_clISt17integral_constantIbLb0EES1I_IbLb1EEEEDaS1E_S1F_EUlS1E_E_NS1_11comp_targetILNS1_3genE10ELNS1_11target_archE1200ELNS1_3gpuE4ELNS1_3repE0EEENS1_30default_config_static_selectorELNS0_4arch9wavefront6targetE0EEEvT1_.has_indirect_call, 0
	.section	.AMDGPU.csdata,"",@progbits
; Kernel info:
; codeLenInByte = 6544
; TotalNumSgprs: 28
; NumVgprs: 48
; ScratchSize: 0
; MemoryBound: 0
; FloatMode: 240
; IeeeMode: 1
; LDSByteSize: 8464 bytes/workgroup (compile time only)
; SGPRBlocks: 0
; VGPRBlocks: 5
; NumSGPRsForWavesPerEU: 28
; NumVGPRsForWavesPerEU: 48
; Occupancy: 16
; WaveLimiterHint : 1
; COMPUTE_PGM_RSRC2:SCRATCH_EN: 0
; COMPUTE_PGM_RSRC2:USER_SGPR: 2
; COMPUTE_PGM_RSRC2:TRAP_HANDLER: 0
; COMPUTE_PGM_RSRC2:TGID_X_EN: 1
; COMPUTE_PGM_RSRC2:TGID_Y_EN: 0
; COMPUTE_PGM_RSRC2:TGID_Z_EN: 0
; COMPUTE_PGM_RSRC2:TIDIG_COMP_CNT: 0
	.section	.text._ZN7rocprim17ROCPRIM_400000_NS6detail17trampoline_kernelINS0_14default_configENS1_25partition_config_selectorILNS1_17partition_subalgoE6EN6thrust23THRUST_200600_302600_NS5tupleIiiNS7_9null_typeES9_S9_S9_S9_S9_S9_S9_EENS0_10empty_typeEbEEZZNS1_14partition_implILS5_6ELb0ES3_mNS7_12zip_iteratorINS8_INS7_6detail15normal_iteratorINS7_10device_ptrIiEEEESJ_S9_S9_S9_S9_S9_S9_S9_S9_EEEEPSB_SM_NS0_5tupleIJNSE_INS8_ISJ_NS7_16discard_iteratorINS7_11use_defaultEEES9_S9_S9_S9_S9_S9_S9_S9_EEEESB_EEENSN_IJSM_SM_EEESB_PlJNSF_9not_fun_tINSF_14equal_to_valueISA_EEEEEEE10hipError_tPvRmT3_T4_T5_T6_T7_T9_mT8_P12ihipStream_tbDpT10_ENKUlT_T0_E_clISt17integral_constantIbLb0EES1I_IbLb1EEEEDaS1E_S1F_EUlS1E_E_NS1_11comp_targetILNS1_3genE9ELNS1_11target_archE1100ELNS1_3gpuE3ELNS1_3repE0EEENS1_30default_config_static_selectorELNS0_4arch9wavefront6targetE0EEEvT1_,"axG",@progbits,_ZN7rocprim17ROCPRIM_400000_NS6detail17trampoline_kernelINS0_14default_configENS1_25partition_config_selectorILNS1_17partition_subalgoE6EN6thrust23THRUST_200600_302600_NS5tupleIiiNS7_9null_typeES9_S9_S9_S9_S9_S9_S9_EENS0_10empty_typeEbEEZZNS1_14partition_implILS5_6ELb0ES3_mNS7_12zip_iteratorINS8_INS7_6detail15normal_iteratorINS7_10device_ptrIiEEEESJ_S9_S9_S9_S9_S9_S9_S9_S9_EEEEPSB_SM_NS0_5tupleIJNSE_INS8_ISJ_NS7_16discard_iteratorINS7_11use_defaultEEES9_S9_S9_S9_S9_S9_S9_S9_EEEESB_EEENSN_IJSM_SM_EEESB_PlJNSF_9not_fun_tINSF_14equal_to_valueISA_EEEEEEE10hipError_tPvRmT3_T4_T5_T6_T7_T9_mT8_P12ihipStream_tbDpT10_ENKUlT_T0_E_clISt17integral_constantIbLb0EES1I_IbLb1EEEEDaS1E_S1F_EUlS1E_E_NS1_11comp_targetILNS1_3genE9ELNS1_11target_archE1100ELNS1_3gpuE3ELNS1_3repE0EEENS1_30default_config_static_selectorELNS0_4arch9wavefront6targetE0EEEvT1_,comdat
	.protected	_ZN7rocprim17ROCPRIM_400000_NS6detail17trampoline_kernelINS0_14default_configENS1_25partition_config_selectorILNS1_17partition_subalgoE6EN6thrust23THRUST_200600_302600_NS5tupleIiiNS7_9null_typeES9_S9_S9_S9_S9_S9_S9_EENS0_10empty_typeEbEEZZNS1_14partition_implILS5_6ELb0ES3_mNS7_12zip_iteratorINS8_INS7_6detail15normal_iteratorINS7_10device_ptrIiEEEESJ_S9_S9_S9_S9_S9_S9_S9_S9_EEEEPSB_SM_NS0_5tupleIJNSE_INS8_ISJ_NS7_16discard_iteratorINS7_11use_defaultEEES9_S9_S9_S9_S9_S9_S9_S9_EEEESB_EEENSN_IJSM_SM_EEESB_PlJNSF_9not_fun_tINSF_14equal_to_valueISA_EEEEEEE10hipError_tPvRmT3_T4_T5_T6_T7_T9_mT8_P12ihipStream_tbDpT10_ENKUlT_T0_E_clISt17integral_constantIbLb0EES1I_IbLb1EEEEDaS1E_S1F_EUlS1E_E_NS1_11comp_targetILNS1_3genE9ELNS1_11target_archE1100ELNS1_3gpuE3ELNS1_3repE0EEENS1_30default_config_static_selectorELNS0_4arch9wavefront6targetE0EEEvT1_ ; -- Begin function _ZN7rocprim17ROCPRIM_400000_NS6detail17trampoline_kernelINS0_14default_configENS1_25partition_config_selectorILNS1_17partition_subalgoE6EN6thrust23THRUST_200600_302600_NS5tupleIiiNS7_9null_typeES9_S9_S9_S9_S9_S9_S9_EENS0_10empty_typeEbEEZZNS1_14partition_implILS5_6ELb0ES3_mNS7_12zip_iteratorINS8_INS7_6detail15normal_iteratorINS7_10device_ptrIiEEEESJ_S9_S9_S9_S9_S9_S9_S9_S9_EEEEPSB_SM_NS0_5tupleIJNSE_INS8_ISJ_NS7_16discard_iteratorINS7_11use_defaultEEES9_S9_S9_S9_S9_S9_S9_S9_EEEESB_EEENSN_IJSM_SM_EEESB_PlJNSF_9not_fun_tINSF_14equal_to_valueISA_EEEEEEE10hipError_tPvRmT3_T4_T5_T6_T7_T9_mT8_P12ihipStream_tbDpT10_ENKUlT_T0_E_clISt17integral_constantIbLb0EES1I_IbLb1EEEEDaS1E_S1F_EUlS1E_E_NS1_11comp_targetILNS1_3genE9ELNS1_11target_archE1100ELNS1_3gpuE3ELNS1_3repE0EEENS1_30default_config_static_selectorELNS0_4arch9wavefront6targetE0EEEvT1_
	.globl	_ZN7rocprim17ROCPRIM_400000_NS6detail17trampoline_kernelINS0_14default_configENS1_25partition_config_selectorILNS1_17partition_subalgoE6EN6thrust23THRUST_200600_302600_NS5tupleIiiNS7_9null_typeES9_S9_S9_S9_S9_S9_S9_EENS0_10empty_typeEbEEZZNS1_14partition_implILS5_6ELb0ES3_mNS7_12zip_iteratorINS8_INS7_6detail15normal_iteratorINS7_10device_ptrIiEEEESJ_S9_S9_S9_S9_S9_S9_S9_S9_EEEEPSB_SM_NS0_5tupleIJNSE_INS8_ISJ_NS7_16discard_iteratorINS7_11use_defaultEEES9_S9_S9_S9_S9_S9_S9_S9_EEEESB_EEENSN_IJSM_SM_EEESB_PlJNSF_9not_fun_tINSF_14equal_to_valueISA_EEEEEEE10hipError_tPvRmT3_T4_T5_T6_T7_T9_mT8_P12ihipStream_tbDpT10_ENKUlT_T0_E_clISt17integral_constantIbLb0EES1I_IbLb1EEEEDaS1E_S1F_EUlS1E_E_NS1_11comp_targetILNS1_3genE9ELNS1_11target_archE1100ELNS1_3gpuE3ELNS1_3repE0EEENS1_30default_config_static_selectorELNS0_4arch9wavefront6targetE0EEEvT1_
	.p2align	8
	.type	_ZN7rocprim17ROCPRIM_400000_NS6detail17trampoline_kernelINS0_14default_configENS1_25partition_config_selectorILNS1_17partition_subalgoE6EN6thrust23THRUST_200600_302600_NS5tupleIiiNS7_9null_typeES9_S9_S9_S9_S9_S9_S9_EENS0_10empty_typeEbEEZZNS1_14partition_implILS5_6ELb0ES3_mNS7_12zip_iteratorINS8_INS7_6detail15normal_iteratorINS7_10device_ptrIiEEEESJ_S9_S9_S9_S9_S9_S9_S9_S9_EEEEPSB_SM_NS0_5tupleIJNSE_INS8_ISJ_NS7_16discard_iteratorINS7_11use_defaultEEES9_S9_S9_S9_S9_S9_S9_S9_EEEESB_EEENSN_IJSM_SM_EEESB_PlJNSF_9not_fun_tINSF_14equal_to_valueISA_EEEEEEE10hipError_tPvRmT3_T4_T5_T6_T7_T9_mT8_P12ihipStream_tbDpT10_ENKUlT_T0_E_clISt17integral_constantIbLb0EES1I_IbLb1EEEEDaS1E_S1F_EUlS1E_E_NS1_11comp_targetILNS1_3genE9ELNS1_11target_archE1100ELNS1_3gpuE3ELNS1_3repE0EEENS1_30default_config_static_selectorELNS0_4arch9wavefront6targetE0EEEvT1_,@function
_ZN7rocprim17ROCPRIM_400000_NS6detail17trampoline_kernelINS0_14default_configENS1_25partition_config_selectorILNS1_17partition_subalgoE6EN6thrust23THRUST_200600_302600_NS5tupleIiiNS7_9null_typeES9_S9_S9_S9_S9_S9_S9_EENS0_10empty_typeEbEEZZNS1_14partition_implILS5_6ELb0ES3_mNS7_12zip_iteratorINS8_INS7_6detail15normal_iteratorINS7_10device_ptrIiEEEESJ_S9_S9_S9_S9_S9_S9_S9_S9_EEEEPSB_SM_NS0_5tupleIJNSE_INS8_ISJ_NS7_16discard_iteratorINS7_11use_defaultEEES9_S9_S9_S9_S9_S9_S9_S9_EEEESB_EEENSN_IJSM_SM_EEESB_PlJNSF_9not_fun_tINSF_14equal_to_valueISA_EEEEEEE10hipError_tPvRmT3_T4_T5_T6_T7_T9_mT8_P12ihipStream_tbDpT10_ENKUlT_T0_E_clISt17integral_constantIbLb0EES1I_IbLb1EEEEDaS1E_S1F_EUlS1E_E_NS1_11comp_targetILNS1_3genE9ELNS1_11target_archE1100ELNS1_3gpuE3ELNS1_3repE0EEENS1_30default_config_static_selectorELNS0_4arch9wavefront6targetE0EEEvT1_: ; @_ZN7rocprim17ROCPRIM_400000_NS6detail17trampoline_kernelINS0_14default_configENS1_25partition_config_selectorILNS1_17partition_subalgoE6EN6thrust23THRUST_200600_302600_NS5tupleIiiNS7_9null_typeES9_S9_S9_S9_S9_S9_S9_EENS0_10empty_typeEbEEZZNS1_14partition_implILS5_6ELb0ES3_mNS7_12zip_iteratorINS8_INS7_6detail15normal_iteratorINS7_10device_ptrIiEEEESJ_S9_S9_S9_S9_S9_S9_S9_S9_EEEEPSB_SM_NS0_5tupleIJNSE_INS8_ISJ_NS7_16discard_iteratorINS7_11use_defaultEEES9_S9_S9_S9_S9_S9_S9_S9_EEEESB_EEENSN_IJSM_SM_EEESB_PlJNSF_9not_fun_tINSF_14equal_to_valueISA_EEEEEEE10hipError_tPvRmT3_T4_T5_T6_T7_T9_mT8_P12ihipStream_tbDpT10_ENKUlT_T0_E_clISt17integral_constantIbLb0EES1I_IbLb1EEEEDaS1E_S1F_EUlS1E_E_NS1_11comp_targetILNS1_3genE9ELNS1_11target_archE1100ELNS1_3gpuE3ELNS1_3repE0EEENS1_30default_config_static_selectorELNS0_4arch9wavefront6targetE0EEEvT1_
; %bb.0:
	.section	.rodata,"a",@progbits
	.p2align	6, 0x0
	.amdhsa_kernel _ZN7rocprim17ROCPRIM_400000_NS6detail17trampoline_kernelINS0_14default_configENS1_25partition_config_selectorILNS1_17partition_subalgoE6EN6thrust23THRUST_200600_302600_NS5tupleIiiNS7_9null_typeES9_S9_S9_S9_S9_S9_S9_EENS0_10empty_typeEbEEZZNS1_14partition_implILS5_6ELb0ES3_mNS7_12zip_iteratorINS8_INS7_6detail15normal_iteratorINS7_10device_ptrIiEEEESJ_S9_S9_S9_S9_S9_S9_S9_S9_EEEEPSB_SM_NS0_5tupleIJNSE_INS8_ISJ_NS7_16discard_iteratorINS7_11use_defaultEEES9_S9_S9_S9_S9_S9_S9_S9_EEEESB_EEENSN_IJSM_SM_EEESB_PlJNSF_9not_fun_tINSF_14equal_to_valueISA_EEEEEEE10hipError_tPvRmT3_T4_T5_T6_T7_T9_mT8_P12ihipStream_tbDpT10_ENKUlT_T0_E_clISt17integral_constantIbLb0EES1I_IbLb1EEEEDaS1E_S1F_EUlS1E_E_NS1_11comp_targetILNS1_3genE9ELNS1_11target_archE1100ELNS1_3gpuE3ELNS1_3repE0EEENS1_30default_config_static_selectorELNS0_4arch9wavefront6targetE0EEEvT1_
		.amdhsa_group_segment_fixed_size 0
		.amdhsa_private_segment_fixed_size 0
		.amdhsa_kernarg_size 152
		.amdhsa_user_sgpr_count 2
		.amdhsa_user_sgpr_dispatch_ptr 0
		.amdhsa_user_sgpr_queue_ptr 0
		.amdhsa_user_sgpr_kernarg_segment_ptr 1
		.amdhsa_user_sgpr_dispatch_id 0
		.amdhsa_user_sgpr_private_segment_size 0
		.amdhsa_wavefront_size32 1
		.amdhsa_uses_dynamic_stack 0
		.amdhsa_enable_private_segment 0
		.amdhsa_system_sgpr_workgroup_id_x 1
		.amdhsa_system_sgpr_workgroup_id_y 0
		.amdhsa_system_sgpr_workgroup_id_z 0
		.amdhsa_system_sgpr_workgroup_info 0
		.amdhsa_system_vgpr_workitem_id 0
		.amdhsa_next_free_vgpr 1
		.amdhsa_next_free_sgpr 1
		.amdhsa_reserve_vcc 0
		.amdhsa_float_round_mode_32 0
		.amdhsa_float_round_mode_16_64 0
		.amdhsa_float_denorm_mode_32 3
		.amdhsa_float_denorm_mode_16_64 3
		.amdhsa_fp16_overflow 0
		.amdhsa_workgroup_processor_mode 1
		.amdhsa_memory_ordered 1
		.amdhsa_forward_progress 1
		.amdhsa_inst_pref_size 0
		.amdhsa_round_robin_scheduling 0
		.amdhsa_exception_fp_ieee_invalid_op 0
		.amdhsa_exception_fp_denorm_src 0
		.amdhsa_exception_fp_ieee_div_zero 0
		.amdhsa_exception_fp_ieee_overflow 0
		.amdhsa_exception_fp_ieee_underflow 0
		.amdhsa_exception_fp_ieee_inexact 0
		.amdhsa_exception_int_div_zero 0
	.end_amdhsa_kernel
	.section	.text._ZN7rocprim17ROCPRIM_400000_NS6detail17trampoline_kernelINS0_14default_configENS1_25partition_config_selectorILNS1_17partition_subalgoE6EN6thrust23THRUST_200600_302600_NS5tupleIiiNS7_9null_typeES9_S9_S9_S9_S9_S9_S9_EENS0_10empty_typeEbEEZZNS1_14partition_implILS5_6ELb0ES3_mNS7_12zip_iteratorINS8_INS7_6detail15normal_iteratorINS7_10device_ptrIiEEEESJ_S9_S9_S9_S9_S9_S9_S9_S9_EEEEPSB_SM_NS0_5tupleIJNSE_INS8_ISJ_NS7_16discard_iteratorINS7_11use_defaultEEES9_S9_S9_S9_S9_S9_S9_S9_EEEESB_EEENSN_IJSM_SM_EEESB_PlJNSF_9not_fun_tINSF_14equal_to_valueISA_EEEEEEE10hipError_tPvRmT3_T4_T5_T6_T7_T9_mT8_P12ihipStream_tbDpT10_ENKUlT_T0_E_clISt17integral_constantIbLb0EES1I_IbLb1EEEEDaS1E_S1F_EUlS1E_E_NS1_11comp_targetILNS1_3genE9ELNS1_11target_archE1100ELNS1_3gpuE3ELNS1_3repE0EEENS1_30default_config_static_selectorELNS0_4arch9wavefront6targetE0EEEvT1_,"axG",@progbits,_ZN7rocprim17ROCPRIM_400000_NS6detail17trampoline_kernelINS0_14default_configENS1_25partition_config_selectorILNS1_17partition_subalgoE6EN6thrust23THRUST_200600_302600_NS5tupleIiiNS7_9null_typeES9_S9_S9_S9_S9_S9_S9_EENS0_10empty_typeEbEEZZNS1_14partition_implILS5_6ELb0ES3_mNS7_12zip_iteratorINS8_INS7_6detail15normal_iteratorINS7_10device_ptrIiEEEESJ_S9_S9_S9_S9_S9_S9_S9_S9_EEEEPSB_SM_NS0_5tupleIJNSE_INS8_ISJ_NS7_16discard_iteratorINS7_11use_defaultEEES9_S9_S9_S9_S9_S9_S9_S9_EEEESB_EEENSN_IJSM_SM_EEESB_PlJNSF_9not_fun_tINSF_14equal_to_valueISA_EEEEEEE10hipError_tPvRmT3_T4_T5_T6_T7_T9_mT8_P12ihipStream_tbDpT10_ENKUlT_T0_E_clISt17integral_constantIbLb0EES1I_IbLb1EEEEDaS1E_S1F_EUlS1E_E_NS1_11comp_targetILNS1_3genE9ELNS1_11target_archE1100ELNS1_3gpuE3ELNS1_3repE0EEENS1_30default_config_static_selectorELNS0_4arch9wavefront6targetE0EEEvT1_,comdat
.Lfunc_end2043:
	.size	_ZN7rocprim17ROCPRIM_400000_NS6detail17trampoline_kernelINS0_14default_configENS1_25partition_config_selectorILNS1_17partition_subalgoE6EN6thrust23THRUST_200600_302600_NS5tupleIiiNS7_9null_typeES9_S9_S9_S9_S9_S9_S9_EENS0_10empty_typeEbEEZZNS1_14partition_implILS5_6ELb0ES3_mNS7_12zip_iteratorINS8_INS7_6detail15normal_iteratorINS7_10device_ptrIiEEEESJ_S9_S9_S9_S9_S9_S9_S9_S9_EEEEPSB_SM_NS0_5tupleIJNSE_INS8_ISJ_NS7_16discard_iteratorINS7_11use_defaultEEES9_S9_S9_S9_S9_S9_S9_S9_EEEESB_EEENSN_IJSM_SM_EEESB_PlJNSF_9not_fun_tINSF_14equal_to_valueISA_EEEEEEE10hipError_tPvRmT3_T4_T5_T6_T7_T9_mT8_P12ihipStream_tbDpT10_ENKUlT_T0_E_clISt17integral_constantIbLb0EES1I_IbLb1EEEEDaS1E_S1F_EUlS1E_E_NS1_11comp_targetILNS1_3genE9ELNS1_11target_archE1100ELNS1_3gpuE3ELNS1_3repE0EEENS1_30default_config_static_selectorELNS0_4arch9wavefront6targetE0EEEvT1_, .Lfunc_end2043-_ZN7rocprim17ROCPRIM_400000_NS6detail17trampoline_kernelINS0_14default_configENS1_25partition_config_selectorILNS1_17partition_subalgoE6EN6thrust23THRUST_200600_302600_NS5tupleIiiNS7_9null_typeES9_S9_S9_S9_S9_S9_S9_EENS0_10empty_typeEbEEZZNS1_14partition_implILS5_6ELb0ES3_mNS7_12zip_iteratorINS8_INS7_6detail15normal_iteratorINS7_10device_ptrIiEEEESJ_S9_S9_S9_S9_S9_S9_S9_S9_EEEEPSB_SM_NS0_5tupleIJNSE_INS8_ISJ_NS7_16discard_iteratorINS7_11use_defaultEEES9_S9_S9_S9_S9_S9_S9_S9_EEEESB_EEENSN_IJSM_SM_EEESB_PlJNSF_9not_fun_tINSF_14equal_to_valueISA_EEEEEEE10hipError_tPvRmT3_T4_T5_T6_T7_T9_mT8_P12ihipStream_tbDpT10_ENKUlT_T0_E_clISt17integral_constantIbLb0EES1I_IbLb1EEEEDaS1E_S1F_EUlS1E_E_NS1_11comp_targetILNS1_3genE9ELNS1_11target_archE1100ELNS1_3gpuE3ELNS1_3repE0EEENS1_30default_config_static_selectorELNS0_4arch9wavefront6targetE0EEEvT1_
                                        ; -- End function
	.set _ZN7rocprim17ROCPRIM_400000_NS6detail17trampoline_kernelINS0_14default_configENS1_25partition_config_selectorILNS1_17partition_subalgoE6EN6thrust23THRUST_200600_302600_NS5tupleIiiNS7_9null_typeES9_S9_S9_S9_S9_S9_S9_EENS0_10empty_typeEbEEZZNS1_14partition_implILS5_6ELb0ES3_mNS7_12zip_iteratorINS8_INS7_6detail15normal_iteratorINS7_10device_ptrIiEEEESJ_S9_S9_S9_S9_S9_S9_S9_S9_EEEEPSB_SM_NS0_5tupleIJNSE_INS8_ISJ_NS7_16discard_iteratorINS7_11use_defaultEEES9_S9_S9_S9_S9_S9_S9_S9_EEEESB_EEENSN_IJSM_SM_EEESB_PlJNSF_9not_fun_tINSF_14equal_to_valueISA_EEEEEEE10hipError_tPvRmT3_T4_T5_T6_T7_T9_mT8_P12ihipStream_tbDpT10_ENKUlT_T0_E_clISt17integral_constantIbLb0EES1I_IbLb1EEEEDaS1E_S1F_EUlS1E_E_NS1_11comp_targetILNS1_3genE9ELNS1_11target_archE1100ELNS1_3gpuE3ELNS1_3repE0EEENS1_30default_config_static_selectorELNS0_4arch9wavefront6targetE0EEEvT1_.num_vgpr, 0
	.set _ZN7rocprim17ROCPRIM_400000_NS6detail17trampoline_kernelINS0_14default_configENS1_25partition_config_selectorILNS1_17partition_subalgoE6EN6thrust23THRUST_200600_302600_NS5tupleIiiNS7_9null_typeES9_S9_S9_S9_S9_S9_S9_EENS0_10empty_typeEbEEZZNS1_14partition_implILS5_6ELb0ES3_mNS7_12zip_iteratorINS8_INS7_6detail15normal_iteratorINS7_10device_ptrIiEEEESJ_S9_S9_S9_S9_S9_S9_S9_S9_EEEEPSB_SM_NS0_5tupleIJNSE_INS8_ISJ_NS7_16discard_iteratorINS7_11use_defaultEEES9_S9_S9_S9_S9_S9_S9_S9_EEEESB_EEENSN_IJSM_SM_EEESB_PlJNSF_9not_fun_tINSF_14equal_to_valueISA_EEEEEEE10hipError_tPvRmT3_T4_T5_T6_T7_T9_mT8_P12ihipStream_tbDpT10_ENKUlT_T0_E_clISt17integral_constantIbLb0EES1I_IbLb1EEEEDaS1E_S1F_EUlS1E_E_NS1_11comp_targetILNS1_3genE9ELNS1_11target_archE1100ELNS1_3gpuE3ELNS1_3repE0EEENS1_30default_config_static_selectorELNS0_4arch9wavefront6targetE0EEEvT1_.num_agpr, 0
	.set _ZN7rocprim17ROCPRIM_400000_NS6detail17trampoline_kernelINS0_14default_configENS1_25partition_config_selectorILNS1_17partition_subalgoE6EN6thrust23THRUST_200600_302600_NS5tupleIiiNS7_9null_typeES9_S9_S9_S9_S9_S9_S9_EENS0_10empty_typeEbEEZZNS1_14partition_implILS5_6ELb0ES3_mNS7_12zip_iteratorINS8_INS7_6detail15normal_iteratorINS7_10device_ptrIiEEEESJ_S9_S9_S9_S9_S9_S9_S9_S9_EEEEPSB_SM_NS0_5tupleIJNSE_INS8_ISJ_NS7_16discard_iteratorINS7_11use_defaultEEES9_S9_S9_S9_S9_S9_S9_S9_EEEESB_EEENSN_IJSM_SM_EEESB_PlJNSF_9not_fun_tINSF_14equal_to_valueISA_EEEEEEE10hipError_tPvRmT3_T4_T5_T6_T7_T9_mT8_P12ihipStream_tbDpT10_ENKUlT_T0_E_clISt17integral_constantIbLb0EES1I_IbLb1EEEEDaS1E_S1F_EUlS1E_E_NS1_11comp_targetILNS1_3genE9ELNS1_11target_archE1100ELNS1_3gpuE3ELNS1_3repE0EEENS1_30default_config_static_selectorELNS0_4arch9wavefront6targetE0EEEvT1_.numbered_sgpr, 0
	.set _ZN7rocprim17ROCPRIM_400000_NS6detail17trampoline_kernelINS0_14default_configENS1_25partition_config_selectorILNS1_17partition_subalgoE6EN6thrust23THRUST_200600_302600_NS5tupleIiiNS7_9null_typeES9_S9_S9_S9_S9_S9_S9_EENS0_10empty_typeEbEEZZNS1_14partition_implILS5_6ELb0ES3_mNS7_12zip_iteratorINS8_INS7_6detail15normal_iteratorINS7_10device_ptrIiEEEESJ_S9_S9_S9_S9_S9_S9_S9_S9_EEEEPSB_SM_NS0_5tupleIJNSE_INS8_ISJ_NS7_16discard_iteratorINS7_11use_defaultEEES9_S9_S9_S9_S9_S9_S9_S9_EEEESB_EEENSN_IJSM_SM_EEESB_PlJNSF_9not_fun_tINSF_14equal_to_valueISA_EEEEEEE10hipError_tPvRmT3_T4_T5_T6_T7_T9_mT8_P12ihipStream_tbDpT10_ENKUlT_T0_E_clISt17integral_constantIbLb0EES1I_IbLb1EEEEDaS1E_S1F_EUlS1E_E_NS1_11comp_targetILNS1_3genE9ELNS1_11target_archE1100ELNS1_3gpuE3ELNS1_3repE0EEENS1_30default_config_static_selectorELNS0_4arch9wavefront6targetE0EEEvT1_.num_named_barrier, 0
	.set _ZN7rocprim17ROCPRIM_400000_NS6detail17trampoline_kernelINS0_14default_configENS1_25partition_config_selectorILNS1_17partition_subalgoE6EN6thrust23THRUST_200600_302600_NS5tupleIiiNS7_9null_typeES9_S9_S9_S9_S9_S9_S9_EENS0_10empty_typeEbEEZZNS1_14partition_implILS5_6ELb0ES3_mNS7_12zip_iteratorINS8_INS7_6detail15normal_iteratorINS7_10device_ptrIiEEEESJ_S9_S9_S9_S9_S9_S9_S9_S9_EEEEPSB_SM_NS0_5tupleIJNSE_INS8_ISJ_NS7_16discard_iteratorINS7_11use_defaultEEES9_S9_S9_S9_S9_S9_S9_S9_EEEESB_EEENSN_IJSM_SM_EEESB_PlJNSF_9not_fun_tINSF_14equal_to_valueISA_EEEEEEE10hipError_tPvRmT3_T4_T5_T6_T7_T9_mT8_P12ihipStream_tbDpT10_ENKUlT_T0_E_clISt17integral_constantIbLb0EES1I_IbLb1EEEEDaS1E_S1F_EUlS1E_E_NS1_11comp_targetILNS1_3genE9ELNS1_11target_archE1100ELNS1_3gpuE3ELNS1_3repE0EEENS1_30default_config_static_selectorELNS0_4arch9wavefront6targetE0EEEvT1_.private_seg_size, 0
	.set _ZN7rocprim17ROCPRIM_400000_NS6detail17trampoline_kernelINS0_14default_configENS1_25partition_config_selectorILNS1_17partition_subalgoE6EN6thrust23THRUST_200600_302600_NS5tupleIiiNS7_9null_typeES9_S9_S9_S9_S9_S9_S9_EENS0_10empty_typeEbEEZZNS1_14partition_implILS5_6ELb0ES3_mNS7_12zip_iteratorINS8_INS7_6detail15normal_iteratorINS7_10device_ptrIiEEEESJ_S9_S9_S9_S9_S9_S9_S9_S9_EEEEPSB_SM_NS0_5tupleIJNSE_INS8_ISJ_NS7_16discard_iteratorINS7_11use_defaultEEES9_S9_S9_S9_S9_S9_S9_S9_EEEESB_EEENSN_IJSM_SM_EEESB_PlJNSF_9not_fun_tINSF_14equal_to_valueISA_EEEEEEE10hipError_tPvRmT3_T4_T5_T6_T7_T9_mT8_P12ihipStream_tbDpT10_ENKUlT_T0_E_clISt17integral_constantIbLb0EES1I_IbLb1EEEEDaS1E_S1F_EUlS1E_E_NS1_11comp_targetILNS1_3genE9ELNS1_11target_archE1100ELNS1_3gpuE3ELNS1_3repE0EEENS1_30default_config_static_selectorELNS0_4arch9wavefront6targetE0EEEvT1_.uses_vcc, 0
	.set _ZN7rocprim17ROCPRIM_400000_NS6detail17trampoline_kernelINS0_14default_configENS1_25partition_config_selectorILNS1_17partition_subalgoE6EN6thrust23THRUST_200600_302600_NS5tupleIiiNS7_9null_typeES9_S9_S9_S9_S9_S9_S9_EENS0_10empty_typeEbEEZZNS1_14partition_implILS5_6ELb0ES3_mNS7_12zip_iteratorINS8_INS7_6detail15normal_iteratorINS7_10device_ptrIiEEEESJ_S9_S9_S9_S9_S9_S9_S9_S9_EEEEPSB_SM_NS0_5tupleIJNSE_INS8_ISJ_NS7_16discard_iteratorINS7_11use_defaultEEES9_S9_S9_S9_S9_S9_S9_S9_EEEESB_EEENSN_IJSM_SM_EEESB_PlJNSF_9not_fun_tINSF_14equal_to_valueISA_EEEEEEE10hipError_tPvRmT3_T4_T5_T6_T7_T9_mT8_P12ihipStream_tbDpT10_ENKUlT_T0_E_clISt17integral_constantIbLb0EES1I_IbLb1EEEEDaS1E_S1F_EUlS1E_E_NS1_11comp_targetILNS1_3genE9ELNS1_11target_archE1100ELNS1_3gpuE3ELNS1_3repE0EEENS1_30default_config_static_selectorELNS0_4arch9wavefront6targetE0EEEvT1_.uses_flat_scratch, 0
	.set _ZN7rocprim17ROCPRIM_400000_NS6detail17trampoline_kernelINS0_14default_configENS1_25partition_config_selectorILNS1_17partition_subalgoE6EN6thrust23THRUST_200600_302600_NS5tupleIiiNS7_9null_typeES9_S9_S9_S9_S9_S9_S9_EENS0_10empty_typeEbEEZZNS1_14partition_implILS5_6ELb0ES3_mNS7_12zip_iteratorINS8_INS7_6detail15normal_iteratorINS7_10device_ptrIiEEEESJ_S9_S9_S9_S9_S9_S9_S9_S9_EEEEPSB_SM_NS0_5tupleIJNSE_INS8_ISJ_NS7_16discard_iteratorINS7_11use_defaultEEES9_S9_S9_S9_S9_S9_S9_S9_EEEESB_EEENSN_IJSM_SM_EEESB_PlJNSF_9not_fun_tINSF_14equal_to_valueISA_EEEEEEE10hipError_tPvRmT3_T4_T5_T6_T7_T9_mT8_P12ihipStream_tbDpT10_ENKUlT_T0_E_clISt17integral_constantIbLb0EES1I_IbLb1EEEEDaS1E_S1F_EUlS1E_E_NS1_11comp_targetILNS1_3genE9ELNS1_11target_archE1100ELNS1_3gpuE3ELNS1_3repE0EEENS1_30default_config_static_selectorELNS0_4arch9wavefront6targetE0EEEvT1_.has_dyn_sized_stack, 0
	.set _ZN7rocprim17ROCPRIM_400000_NS6detail17trampoline_kernelINS0_14default_configENS1_25partition_config_selectorILNS1_17partition_subalgoE6EN6thrust23THRUST_200600_302600_NS5tupleIiiNS7_9null_typeES9_S9_S9_S9_S9_S9_S9_EENS0_10empty_typeEbEEZZNS1_14partition_implILS5_6ELb0ES3_mNS7_12zip_iteratorINS8_INS7_6detail15normal_iteratorINS7_10device_ptrIiEEEESJ_S9_S9_S9_S9_S9_S9_S9_S9_EEEEPSB_SM_NS0_5tupleIJNSE_INS8_ISJ_NS7_16discard_iteratorINS7_11use_defaultEEES9_S9_S9_S9_S9_S9_S9_S9_EEEESB_EEENSN_IJSM_SM_EEESB_PlJNSF_9not_fun_tINSF_14equal_to_valueISA_EEEEEEE10hipError_tPvRmT3_T4_T5_T6_T7_T9_mT8_P12ihipStream_tbDpT10_ENKUlT_T0_E_clISt17integral_constantIbLb0EES1I_IbLb1EEEEDaS1E_S1F_EUlS1E_E_NS1_11comp_targetILNS1_3genE9ELNS1_11target_archE1100ELNS1_3gpuE3ELNS1_3repE0EEENS1_30default_config_static_selectorELNS0_4arch9wavefront6targetE0EEEvT1_.has_recursion, 0
	.set _ZN7rocprim17ROCPRIM_400000_NS6detail17trampoline_kernelINS0_14default_configENS1_25partition_config_selectorILNS1_17partition_subalgoE6EN6thrust23THRUST_200600_302600_NS5tupleIiiNS7_9null_typeES9_S9_S9_S9_S9_S9_S9_EENS0_10empty_typeEbEEZZNS1_14partition_implILS5_6ELb0ES3_mNS7_12zip_iteratorINS8_INS7_6detail15normal_iteratorINS7_10device_ptrIiEEEESJ_S9_S9_S9_S9_S9_S9_S9_S9_EEEEPSB_SM_NS0_5tupleIJNSE_INS8_ISJ_NS7_16discard_iteratorINS7_11use_defaultEEES9_S9_S9_S9_S9_S9_S9_S9_EEEESB_EEENSN_IJSM_SM_EEESB_PlJNSF_9not_fun_tINSF_14equal_to_valueISA_EEEEEEE10hipError_tPvRmT3_T4_T5_T6_T7_T9_mT8_P12ihipStream_tbDpT10_ENKUlT_T0_E_clISt17integral_constantIbLb0EES1I_IbLb1EEEEDaS1E_S1F_EUlS1E_E_NS1_11comp_targetILNS1_3genE9ELNS1_11target_archE1100ELNS1_3gpuE3ELNS1_3repE0EEENS1_30default_config_static_selectorELNS0_4arch9wavefront6targetE0EEEvT1_.has_indirect_call, 0
	.section	.AMDGPU.csdata,"",@progbits
; Kernel info:
; codeLenInByte = 0
; TotalNumSgprs: 0
; NumVgprs: 0
; ScratchSize: 0
; MemoryBound: 0
; FloatMode: 240
; IeeeMode: 1
; LDSByteSize: 0 bytes/workgroup (compile time only)
; SGPRBlocks: 0
; VGPRBlocks: 0
; NumSGPRsForWavesPerEU: 1
; NumVGPRsForWavesPerEU: 1
; Occupancy: 16
; WaveLimiterHint : 0
; COMPUTE_PGM_RSRC2:SCRATCH_EN: 0
; COMPUTE_PGM_RSRC2:USER_SGPR: 2
; COMPUTE_PGM_RSRC2:TRAP_HANDLER: 0
; COMPUTE_PGM_RSRC2:TGID_X_EN: 1
; COMPUTE_PGM_RSRC2:TGID_Y_EN: 0
; COMPUTE_PGM_RSRC2:TGID_Z_EN: 0
; COMPUTE_PGM_RSRC2:TIDIG_COMP_CNT: 0
	.section	.text._ZN7rocprim17ROCPRIM_400000_NS6detail17trampoline_kernelINS0_14default_configENS1_25partition_config_selectorILNS1_17partition_subalgoE6EN6thrust23THRUST_200600_302600_NS5tupleIiiNS7_9null_typeES9_S9_S9_S9_S9_S9_S9_EENS0_10empty_typeEbEEZZNS1_14partition_implILS5_6ELb0ES3_mNS7_12zip_iteratorINS8_INS7_6detail15normal_iteratorINS7_10device_ptrIiEEEESJ_S9_S9_S9_S9_S9_S9_S9_S9_EEEEPSB_SM_NS0_5tupleIJNSE_INS8_ISJ_NS7_16discard_iteratorINS7_11use_defaultEEES9_S9_S9_S9_S9_S9_S9_S9_EEEESB_EEENSN_IJSM_SM_EEESB_PlJNSF_9not_fun_tINSF_14equal_to_valueISA_EEEEEEE10hipError_tPvRmT3_T4_T5_T6_T7_T9_mT8_P12ihipStream_tbDpT10_ENKUlT_T0_E_clISt17integral_constantIbLb0EES1I_IbLb1EEEEDaS1E_S1F_EUlS1E_E_NS1_11comp_targetILNS1_3genE8ELNS1_11target_archE1030ELNS1_3gpuE2ELNS1_3repE0EEENS1_30default_config_static_selectorELNS0_4arch9wavefront6targetE0EEEvT1_,"axG",@progbits,_ZN7rocprim17ROCPRIM_400000_NS6detail17trampoline_kernelINS0_14default_configENS1_25partition_config_selectorILNS1_17partition_subalgoE6EN6thrust23THRUST_200600_302600_NS5tupleIiiNS7_9null_typeES9_S9_S9_S9_S9_S9_S9_EENS0_10empty_typeEbEEZZNS1_14partition_implILS5_6ELb0ES3_mNS7_12zip_iteratorINS8_INS7_6detail15normal_iteratorINS7_10device_ptrIiEEEESJ_S9_S9_S9_S9_S9_S9_S9_S9_EEEEPSB_SM_NS0_5tupleIJNSE_INS8_ISJ_NS7_16discard_iteratorINS7_11use_defaultEEES9_S9_S9_S9_S9_S9_S9_S9_EEEESB_EEENSN_IJSM_SM_EEESB_PlJNSF_9not_fun_tINSF_14equal_to_valueISA_EEEEEEE10hipError_tPvRmT3_T4_T5_T6_T7_T9_mT8_P12ihipStream_tbDpT10_ENKUlT_T0_E_clISt17integral_constantIbLb0EES1I_IbLb1EEEEDaS1E_S1F_EUlS1E_E_NS1_11comp_targetILNS1_3genE8ELNS1_11target_archE1030ELNS1_3gpuE2ELNS1_3repE0EEENS1_30default_config_static_selectorELNS0_4arch9wavefront6targetE0EEEvT1_,comdat
	.protected	_ZN7rocprim17ROCPRIM_400000_NS6detail17trampoline_kernelINS0_14default_configENS1_25partition_config_selectorILNS1_17partition_subalgoE6EN6thrust23THRUST_200600_302600_NS5tupleIiiNS7_9null_typeES9_S9_S9_S9_S9_S9_S9_EENS0_10empty_typeEbEEZZNS1_14partition_implILS5_6ELb0ES3_mNS7_12zip_iteratorINS8_INS7_6detail15normal_iteratorINS7_10device_ptrIiEEEESJ_S9_S9_S9_S9_S9_S9_S9_S9_EEEEPSB_SM_NS0_5tupleIJNSE_INS8_ISJ_NS7_16discard_iteratorINS7_11use_defaultEEES9_S9_S9_S9_S9_S9_S9_S9_EEEESB_EEENSN_IJSM_SM_EEESB_PlJNSF_9not_fun_tINSF_14equal_to_valueISA_EEEEEEE10hipError_tPvRmT3_T4_T5_T6_T7_T9_mT8_P12ihipStream_tbDpT10_ENKUlT_T0_E_clISt17integral_constantIbLb0EES1I_IbLb1EEEEDaS1E_S1F_EUlS1E_E_NS1_11comp_targetILNS1_3genE8ELNS1_11target_archE1030ELNS1_3gpuE2ELNS1_3repE0EEENS1_30default_config_static_selectorELNS0_4arch9wavefront6targetE0EEEvT1_ ; -- Begin function _ZN7rocprim17ROCPRIM_400000_NS6detail17trampoline_kernelINS0_14default_configENS1_25partition_config_selectorILNS1_17partition_subalgoE6EN6thrust23THRUST_200600_302600_NS5tupleIiiNS7_9null_typeES9_S9_S9_S9_S9_S9_S9_EENS0_10empty_typeEbEEZZNS1_14partition_implILS5_6ELb0ES3_mNS7_12zip_iteratorINS8_INS7_6detail15normal_iteratorINS7_10device_ptrIiEEEESJ_S9_S9_S9_S9_S9_S9_S9_S9_EEEEPSB_SM_NS0_5tupleIJNSE_INS8_ISJ_NS7_16discard_iteratorINS7_11use_defaultEEES9_S9_S9_S9_S9_S9_S9_S9_EEEESB_EEENSN_IJSM_SM_EEESB_PlJNSF_9not_fun_tINSF_14equal_to_valueISA_EEEEEEE10hipError_tPvRmT3_T4_T5_T6_T7_T9_mT8_P12ihipStream_tbDpT10_ENKUlT_T0_E_clISt17integral_constantIbLb0EES1I_IbLb1EEEEDaS1E_S1F_EUlS1E_E_NS1_11comp_targetILNS1_3genE8ELNS1_11target_archE1030ELNS1_3gpuE2ELNS1_3repE0EEENS1_30default_config_static_selectorELNS0_4arch9wavefront6targetE0EEEvT1_
	.globl	_ZN7rocprim17ROCPRIM_400000_NS6detail17trampoline_kernelINS0_14default_configENS1_25partition_config_selectorILNS1_17partition_subalgoE6EN6thrust23THRUST_200600_302600_NS5tupleIiiNS7_9null_typeES9_S9_S9_S9_S9_S9_S9_EENS0_10empty_typeEbEEZZNS1_14partition_implILS5_6ELb0ES3_mNS7_12zip_iteratorINS8_INS7_6detail15normal_iteratorINS7_10device_ptrIiEEEESJ_S9_S9_S9_S9_S9_S9_S9_S9_EEEEPSB_SM_NS0_5tupleIJNSE_INS8_ISJ_NS7_16discard_iteratorINS7_11use_defaultEEES9_S9_S9_S9_S9_S9_S9_S9_EEEESB_EEENSN_IJSM_SM_EEESB_PlJNSF_9not_fun_tINSF_14equal_to_valueISA_EEEEEEE10hipError_tPvRmT3_T4_T5_T6_T7_T9_mT8_P12ihipStream_tbDpT10_ENKUlT_T0_E_clISt17integral_constantIbLb0EES1I_IbLb1EEEEDaS1E_S1F_EUlS1E_E_NS1_11comp_targetILNS1_3genE8ELNS1_11target_archE1030ELNS1_3gpuE2ELNS1_3repE0EEENS1_30default_config_static_selectorELNS0_4arch9wavefront6targetE0EEEvT1_
	.p2align	8
	.type	_ZN7rocprim17ROCPRIM_400000_NS6detail17trampoline_kernelINS0_14default_configENS1_25partition_config_selectorILNS1_17partition_subalgoE6EN6thrust23THRUST_200600_302600_NS5tupleIiiNS7_9null_typeES9_S9_S9_S9_S9_S9_S9_EENS0_10empty_typeEbEEZZNS1_14partition_implILS5_6ELb0ES3_mNS7_12zip_iteratorINS8_INS7_6detail15normal_iteratorINS7_10device_ptrIiEEEESJ_S9_S9_S9_S9_S9_S9_S9_S9_EEEEPSB_SM_NS0_5tupleIJNSE_INS8_ISJ_NS7_16discard_iteratorINS7_11use_defaultEEES9_S9_S9_S9_S9_S9_S9_S9_EEEESB_EEENSN_IJSM_SM_EEESB_PlJNSF_9not_fun_tINSF_14equal_to_valueISA_EEEEEEE10hipError_tPvRmT3_T4_T5_T6_T7_T9_mT8_P12ihipStream_tbDpT10_ENKUlT_T0_E_clISt17integral_constantIbLb0EES1I_IbLb1EEEEDaS1E_S1F_EUlS1E_E_NS1_11comp_targetILNS1_3genE8ELNS1_11target_archE1030ELNS1_3gpuE2ELNS1_3repE0EEENS1_30default_config_static_selectorELNS0_4arch9wavefront6targetE0EEEvT1_,@function
_ZN7rocprim17ROCPRIM_400000_NS6detail17trampoline_kernelINS0_14default_configENS1_25partition_config_selectorILNS1_17partition_subalgoE6EN6thrust23THRUST_200600_302600_NS5tupleIiiNS7_9null_typeES9_S9_S9_S9_S9_S9_S9_EENS0_10empty_typeEbEEZZNS1_14partition_implILS5_6ELb0ES3_mNS7_12zip_iteratorINS8_INS7_6detail15normal_iteratorINS7_10device_ptrIiEEEESJ_S9_S9_S9_S9_S9_S9_S9_S9_EEEEPSB_SM_NS0_5tupleIJNSE_INS8_ISJ_NS7_16discard_iteratorINS7_11use_defaultEEES9_S9_S9_S9_S9_S9_S9_S9_EEEESB_EEENSN_IJSM_SM_EEESB_PlJNSF_9not_fun_tINSF_14equal_to_valueISA_EEEEEEE10hipError_tPvRmT3_T4_T5_T6_T7_T9_mT8_P12ihipStream_tbDpT10_ENKUlT_T0_E_clISt17integral_constantIbLb0EES1I_IbLb1EEEEDaS1E_S1F_EUlS1E_E_NS1_11comp_targetILNS1_3genE8ELNS1_11target_archE1030ELNS1_3gpuE2ELNS1_3repE0EEENS1_30default_config_static_selectorELNS0_4arch9wavefront6targetE0EEEvT1_: ; @_ZN7rocprim17ROCPRIM_400000_NS6detail17trampoline_kernelINS0_14default_configENS1_25partition_config_selectorILNS1_17partition_subalgoE6EN6thrust23THRUST_200600_302600_NS5tupleIiiNS7_9null_typeES9_S9_S9_S9_S9_S9_S9_EENS0_10empty_typeEbEEZZNS1_14partition_implILS5_6ELb0ES3_mNS7_12zip_iteratorINS8_INS7_6detail15normal_iteratorINS7_10device_ptrIiEEEESJ_S9_S9_S9_S9_S9_S9_S9_S9_EEEEPSB_SM_NS0_5tupleIJNSE_INS8_ISJ_NS7_16discard_iteratorINS7_11use_defaultEEES9_S9_S9_S9_S9_S9_S9_S9_EEEESB_EEENSN_IJSM_SM_EEESB_PlJNSF_9not_fun_tINSF_14equal_to_valueISA_EEEEEEE10hipError_tPvRmT3_T4_T5_T6_T7_T9_mT8_P12ihipStream_tbDpT10_ENKUlT_T0_E_clISt17integral_constantIbLb0EES1I_IbLb1EEEEDaS1E_S1F_EUlS1E_E_NS1_11comp_targetILNS1_3genE8ELNS1_11target_archE1030ELNS1_3gpuE2ELNS1_3repE0EEENS1_30default_config_static_selectorELNS0_4arch9wavefront6targetE0EEEvT1_
; %bb.0:
	.section	.rodata,"a",@progbits
	.p2align	6, 0x0
	.amdhsa_kernel _ZN7rocprim17ROCPRIM_400000_NS6detail17trampoline_kernelINS0_14default_configENS1_25partition_config_selectorILNS1_17partition_subalgoE6EN6thrust23THRUST_200600_302600_NS5tupleIiiNS7_9null_typeES9_S9_S9_S9_S9_S9_S9_EENS0_10empty_typeEbEEZZNS1_14partition_implILS5_6ELb0ES3_mNS7_12zip_iteratorINS8_INS7_6detail15normal_iteratorINS7_10device_ptrIiEEEESJ_S9_S9_S9_S9_S9_S9_S9_S9_EEEEPSB_SM_NS0_5tupleIJNSE_INS8_ISJ_NS7_16discard_iteratorINS7_11use_defaultEEES9_S9_S9_S9_S9_S9_S9_S9_EEEESB_EEENSN_IJSM_SM_EEESB_PlJNSF_9not_fun_tINSF_14equal_to_valueISA_EEEEEEE10hipError_tPvRmT3_T4_T5_T6_T7_T9_mT8_P12ihipStream_tbDpT10_ENKUlT_T0_E_clISt17integral_constantIbLb0EES1I_IbLb1EEEEDaS1E_S1F_EUlS1E_E_NS1_11comp_targetILNS1_3genE8ELNS1_11target_archE1030ELNS1_3gpuE2ELNS1_3repE0EEENS1_30default_config_static_selectorELNS0_4arch9wavefront6targetE0EEEvT1_
		.amdhsa_group_segment_fixed_size 0
		.amdhsa_private_segment_fixed_size 0
		.amdhsa_kernarg_size 152
		.amdhsa_user_sgpr_count 2
		.amdhsa_user_sgpr_dispatch_ptr 0
		.amdhsa_user_sgpr_queue_ptr 0
		.amdhsa_user_sgpr_kernarg_segment_ptr 1
		.amdhsa_user_sgpr_dispatch_id 0
		.amdhsa_user_sgpr_private_segment_size 0
		.amdhsa_wavefront_size32 1
		.amdhsa_uses_dynamic_stack 0
		.amdhsa_enable_private_segment 0
		.amdhsa_system_sgpr_workgroup_id_x 1
		.amdhsa_system_sgpr_workgroup_id_y 0
		.amdhsa_system_sgpr_workgroup_id_z 0
		.amdhsa_system_sgpr_workgroup_info 0
		.amdhsa_system_vgpr_workitem_id 0
		.amdhsa_next_free_vgpr 1
		.amdhsa_next_free_sgpr 1
		.amdhsa_reserve_vcc 0
		.amdhsa_float_round_mode_32 0
		.amdhsa_float_round_mode_16_64 0
		.amdhsa_float_denorm_mode_32 3
		.amdhsa_float_denorm_mode_16_64 3
		.amdhsa_fp16_overflow 0
		.amdhsa_workgroup_processor_mode 1
		.amdhsa_memory_ordered 1
		.amdhsa_forward_progress 1
		.amdhsa_inst_pref_size 0
		.amdhsa_round_robin_scheduling 0
		.amdhsa_exception_fp_ieee_invalid_op 0
		.amdhsa_exception_fp_denorm_src 0
		.amdhsa_exception_fp_ieee_div_zero 0
		.amdhsa_exception_fp_ieee_overflow 0
		.amdhsa_exception_fp_ieee_underflow 0
		.amdhsa_exception_fp_ieee_inexact 0
		.amdhsa_exception_int_div_zero 0
	.end_amdhsa_kernel
	.section	.text._ZN7rocprim17ROCPRIM_400000_NS6detail17trampoline_kernelINS0_14default_configENS1_25partition_config_selectorILNS1_17partition_subalgoE6EN6thrust23THRUST_200600_302600_NS5tupleIiiNS7_9null_typeES9_S9_S9_S9_S9_S9_S9_EENS0_10empty_typeEbEEZZNS1_14partition_implILS5_6ELb0ES3_mNS7_12zip_iteratorINS8_INS7_6detail15normal_iteratorINS7_10device_ptrIiEEEESJ_S9_S9_S9_S9_S9_S9_S9_S9_EEEEPSB_SM_NS0_5tupleIJNSE_INS8_ISJ_NS7_16discard_iteratorINS7_11use_defaultEEES9_S9_S9_S9_S9_S9_S9_S9_EEEESB_EEENSN_IJSM_SM_EEESB_PlJNSF_9not_fun_tINSF_14equal_to_valueISA_EEEEEEE10hipError_tPvRmT3_T4_T5_T6_T7_T9_mT8_P12ihipStream_tbDpT10_ENKUlT_T0_E_clISt17integral_constantIbLb0EES1I_IbLb1EEEEDaS1E_S1F_EUlS1E_E_NS1_11comp_targetILNS1_3genE8ELNS1_11target_archE1030ELNS1_3gpuE2ELNS1_3repE0EEENS1_30default_config_static_selectorELNS0_4arch9wavefront6targetE0EEEvT1_,"axG",@progbits,_ZN7rocprim17ROCPRIM_400000_NS6detail17trampoline_kernelINS0_14default_configENS1_25partition_config_selectorILNS1_17partition_subalgoE6EN6thrust23THRUST_200600_302600_NS5tupleIiiNS7_9null_typeES9_S9_S9_S9_S9_S9_S9_EENS0_10empty_typeEbEEZZNS1_14partition_implILS5_6ELb0ES3_mNS7_12zip_iteratorINS8_INS7_6detail15normal_iteratorINS7_10device_ptrIiEEEESJ_S9_S9_S9_S9_S9_S9_S9_S9_EEEEPSB_SM_NS0_5tupleIJNSE_INS8_ISJ_NS7_16discard_iteratorINS7_11use_defaultEEES9_S9_S9_S9_S9_S9_S9_S9_EEEESB_EEENSN_IJSM_SM_EEESB_PlJNSF_9not_fun_tINSF_14equal_to_valueISA_EEEEEEE10hipError_tPvRmT3_T4_T5_T6_T7_T9_mT8_P12ihipStream_tbDpT10_ENKUlT_T0_E_clISt17integral_constantIbLb0EES1I_IbLb1EEEEDaS1E_S1F_EUlS1E_E_NS1_11comp_targetILNS1_3genE8ELNS1_11target_archE1030ELNS1_3gpuE2ELNS1_3repE0EEENS1_30default_config_static_selectorELNS0_4arch9wavefront6targetE0EEEvT1_,comdat
.Lfunc_end2044:
	.size	_ZN7rocprim17ROCPRIM_400000_NS6detail17trampoline_kernelINS0_14default_configENS1_25partition_config_selectorILNS1_17partition_subalgoE6EN6thrust23THRUST_200600_302600_NS5tupleIiiNS7_9null_typeES9_S9_S9_S9_S9_S9_S9_EENS0_10empty_typeEbEEZZNS1_14partition_implILS5_6ELb0ES3_mNS7_12zip_iteratorINS8_INS7_6detail15normal_iteratorINS7_10device_ptrIiEEEESJ_S9_S9_S9_S9_S9_S9_S9_S9_EEEEPSB_SM_NS0_5tupleIJNSE_INS8_ISJ_NS7_16discard_iteratorINS7_11use_defaultEEES9_S9_S9_S9_S9_S9_S9_S9_EEEESB_EEENSN_IJSM_SM_EEESB_PlJNSF_9not_fun_tINSF_14equal_to_valueISA_EEEEEEE10hipError_tPvRmT3_T4_T5_T6_T7_T9_mT8_P12ihipStream_tbDpT10_ENKUlT_T0_E_clISt17integral_constantIbLb0EES1I_IbLb1EEEEDaS1E_S1F_EUlS1E_E_NS1_11comp_targetILNS1_3genE8ELNS1_11target_archE1030ELNS1_3gpuE2ELNS1_3repE0EEENS1_30default_config_static_selectorELNS0_4arch9wavefront6targetE0EEEvT1_, .Lfunc_end2044-_ZN7rocprim17ROCPRIM_400000_NS6detail17trampoline_kernelINS0_14default_configENS1_25partition_config_selectorILNS1_17partition_subalgoE6EN6thrust23THRUST_200600_302600_NS5tupleIiiNS7_9null_typeES9_S9_S9_S9_S9_S9_S9_EENS0_10empty_typeEbEEZZNS1_14partition_implILS5_6ELb0ES3_mNS7_12zip_iteratorINS8_INS7_6detail15normal_iteratorINS7_10device_ptrIiEEEESJ_S9_S9_S9_S9_S9_S9_S9_S9_EEEEPSB_SM_NS0_5tupleIJNSE_INS8_ISJ_NS7_16discard_iteratorINS7_11use_defaultEEES9_S9_S9_S9_S9_S9_S9_S9_EEEESB_EEENSN_IJSM_SM_EEESB_PlJNSF_9not_fun_tINSF_14equal_to_valueISA_EEEEEEE10hipError_tPvRmT3_T4_T5_T6_T7_T9_mT8_P12ihipStream_tbDpT10_ENKUlT_T0_E_clISt17integral_constantIbLb0EES1I_IbLb1EEEEDaS1E_S1F_EUlS1E_E_NS1_11comp_targetILNS1_3genE8ELNS1_11target_archE1030ELNS1_3gpuE2ELNS1_3repE0EEENS1_30default_config_static_selectorELNS0_4arch9wavefront6targetE0EEEvT1_
                                        ; -- End function
	.set _ZN7rocprim17ROCPRIM_400000_NS6detail17trampoline_kernelINS0_14default_configENS1_25partition_config_selectorILNS1_17partition_subalgoE6EN6thrust23THRUST_200600_302600_NS5tupleIiiNS7_9null_typeES9_S9_S9_S9_S9_S9_S9_EENS0_10empty_typeEbEEZZNS1_14partition_implILS5_6ELb0ES3_mNS7_12zip_iteratorINS8_INS7_6detail15normal_iteratorINS7_10device_ptrIiEEEESJ_S9_S9_S9_S9_S9_S9_S9_S9_EEEEPSB_SM_NS0_5tupleIJNSE_INS8_ISJ_NS7_16discard_iteratorINS7_11use_defaultEEES9_S9_S9_S9_S9_S9_S9_S9_EEEESB_EEENSN_IJSM_SM_EEESB_PlJNSF_9not_fun_tINSF_14equal_to_valueISA_EEEEEEE10hipError_tPvRmT3_T4_T5_T6_T7_T9_mT8_P12ihipStream_tbDpT10_ENKUlT_T0_E_clISt17integral_constantIbLb0EES1I_IbLb1EEEEDaS1E_S1F_EUlS1E_E_NS1_11comp_targetILNS1_3genE8ELNS1_11target_archE1030ELNS1_3gpuE2ELNS1_3repE0EEENS1_30default_config_static_selectorELNS0_4arch9wavefront6targetE0EEEvT1_.num_vgpr, 0
	.set _ZN7rocprim17ROCPRIM_400000_NS6detail17trampoline_kernelINS0_14default_configENS1_25partition_config_selectorILNS1_17partition_subalgoE6EN6thrust23THRUST_200600_302600_NS5tupleIiiNS7_9null_typeES9_S9_S9_S9_S9_S9_S9_EENS0_10empty_typeEbEEZZNS1_14partition_implILS5_6ELb0ES3_mNS7_12zip_iteratorINS8_INS7_6detail15normal_iteratorINS7_10device_ptrIiEEEESJ_S9_S9_S9_S9_S9_S9_S9_S9_EEEEPSB_SM_NS0_5tupleIJNSE_INS8_ISJ_NS7_16discard_iteratorINS7_11use_defaultEEES9_S9_S9_S9_S9_S9_S9_S9_EEEESB_EEENSN_IJSM_SM_EEESB_PlJNSF_9not_fun_tINSF_14equal_to_valueISA_EEEEEEE10hipError_tPvRmT3_T4_T5_T6_T7_T9_mT8_P12ihipStream_tbDpT10_ENKUlT_T0_E_clISt17integral_constantIbLb0EES1I_IbLb1EEEEDaS1E_S1F_EUlS1E_E_NS1_11comp_targetILNS1_3genE8ELNS1_11target_archE1030ELNS1_3gpuE2ELNS1_3repE0EEENS1_30default_config_static_selectorELNS0_4arch9wavefront6targetE0EEEvT1_.num_agpr, 0
	.set _ZN7rocprim17ROCPRIM_400000_NS6detail17trampoline_kernelINS0_14default_configENS1_25partition_config_selectorILNS1_17partition_subalgoE6EN6thrust23THRUST_200600_302600_NS5tupleIiiNS7_9null_typeES9_S9_S9_S9_S9_S9_S9_EENS0_10empty_typeEbEEZZNS1_14partition_implILS5_6ELb0ES3_mNS7_12zip_iteratorINS8_INS7_6detail15normal_iteratorINS7_10device_ptrIiEEEESJ_S9_S9_S9_S9_S9_S9_S9_S9_EEEEPSB_SM_NS0_5tupleIJNSE_INS8_ISJ_NS7_16discard_iteratorINS7_11use_defaultEEES9_S9_S9_S9_S9_S9_S9_S9_EEEESB_EEENSN_IJSM_SM_EEESB_PlJNSF_9not_fun_tINSF_14equal_to_valueISA_EEEEEEE10hipError_tPvRmT3_T4_T5_T6_T7_T9_mT8_P12ihipStream_tbDpT10_ENKUlT_T0_E_clISt17integral_constantIbLb0EES1I_IbLb1EEEEDaS1E_S1F_EUlS1E_E_NS1_11comp_targetILNS1_3genE8ELNS1_11target_archE1030ELNS1_3gpuE2ELNS1_3repE0EEENS1_30default_config_static_selectorELNS0_4arch9wavefront6targetE0EEEvT1_.numbered_sgpr, 0
	.set _ZN7rocprim17ROCPRIM_400000_NS6detail17trampoline_kernelINS0_14default_configENS1_25partition_config_selectorILNS1_17partition_subalgoE6EN6thrust23THRUST_200600_302600_NS5tupleIiiNS7_9null_typeES9_S9_S9_S9_S9_S9_S9_EENS0_10empty_typeEbEEZZNS1_14partition_implILS5_6ELb0ES3_mNS7_12zip_iteratorINS8_INS7_6detail15normal_iteratorINS7_10device_ptrIiEEEESJ_S9_S9_S9_S9_S9_S9_S9_S9_EEEEPSB_SM_NS0_5tupleIJNSE_INS8_ISJ_NS7_16discard_iteratorINS7_11use_defaultEEES9_S9_S9_S9_S9_S9_S9_S9_EEEESB_EEENSN_IJSM_SM_EEESB_PlJNSF_9not_fun_tINSF_14equal_to_valueISA_EEEEEEE10hipError_tPvRmT3_T4_T5_T6_T7_T9_mT8_P12ihipStream_tbDpT10_ENKUlT_T0_E_clISt17integral_constantIbLb0EES1I_IbLb1EEEEDaS1E_S1F_EUlS1E_E_NS1_11comp_targetILNS1_3genE8ELNS1_11target_archE1030ELNS1_3gpuE2ELNS1_3repE0EEENS1_30default_config_static_selectorELNS0_4arch9wavefront6targetE0EEEvT1_.num_named_barrier, 0
	.set _ZN7rocprim17ROCPRIM_400000_NS6detail17trampoline_kernelINS0_14default_configENS1_25partition_config_selectorILNS1_17partition_subalgoE6EN6thrust23THRUST_200600_302600_NS5tupleIiiNS7_9null_typeES9_S9_S9_S9_S9_S9_S9_EENS0_10empty_typeEbEEZZNS1_14partition_implILS5_6ELb0ES3_mNS7_12zip_iteratorINS8_INS7_6detail15normal_iteratorINS7_10device_ptrIiEEEESJ_S9_S9_S9_S9_S9_S9_S9_S9_EEEEPSB_SM_NS0_5tupleIJNSE_INS8_ISJ_NS7_16discard_iteratorINS7_11use_defaultEEES9_S9_S9_S9_S9_S9_S9_S9_EEEESB_EEENSN_IJSM_SM_EEESB_PlJNSF_9not_fun_tINSF_14equal_to_valueISA_EEEEEEE10hipError_tPvRmT3_T4_T5_T6_T7_T9_mT8_P12ihipStream_tbDpT10_ENKUlT_T0_E_clISt17integral_constantIbLb0EES1I_IbLb1EEEEDaS1E_S1F_EUlS1E_E_NS1_11comp_targetILNS1_3genE8ELNS1_11target_archE1030ELNS1_3gpuE2ELNS1_3repE0EEENS1_30default_config_static_selectorELNS0_4arch9wavefront6targetE0EEEvT1_.private_seg_size, 0
	.set _ZN7rocprim17ROCPRIM_400000_NS6detail17trampoline_kernelINS0_14default_configENS1_25partition_config_selectorILNS1_17partition_subalgoE6EN6thrust23THRUST_200600_302600_NS5tupleIiiNS7_9null_typeES9_S9_S9_S9_S9_S9_S9_EENS0_10empty_typeEbEEZZNS1_14partition_implILS5_6ELb0ES3_mNS7_12zip_iteratorINS8_INS7_6detail15normal_iteratorINS7_10device_ptrIiEEEESJ_S9_S9_S9_S9_S9_S9_S9_S9_EEEEPSB_SM_NS0_5tupleIJNSE_INS8_ISJ_NS7_16discard_iteratorINS7_11use_defaultEEES9_S9_S9_S9_S9_S9_S9_S9_EEEESB_EEENSN_IJSM_SM_EEESB_PlJNSF_9not_fun_tINSF_14equal_to_valueISA_EEEEEEE10hipError_tPvRmT3_T4_T5_T6_T7_T9_mT8_P12ihipStream_tbDpT10_ENKUlT_T0_E_clISt17integral_constantIbLb0EES1I_IbLb1EEEEDaS1E_S1F_EUlS1E_E_NS1_11comp_targetILNS1_3genE8ELNS1_11target_archE1030ELNS1_3gpuE2ELNS1_3repE0EEENS1_30default_config_static_selectorELNS0_4arch9wavefront6targetE0EEEvT1_.uses_vcc, 0
	.set _ZN7rocprim17ROCPRIM_400000_NS6detail17trampoline_kernelINS0_14default_configENS1_25partition_config_selectorILNS1_17partition_subalgoE6EN6thrust23THRUST_200600_302600_NS5tupleIiiNS7_9null_typeES9_S9_S9_S9_S9_S9_S9_EENS0_10empty_typeEbEEZZNS1_14partition_implILS5_6ELb0ES3_mNS7_12zip_iteratorINS8_INS7_6detail15normal_iteratorINS7_10device_ptrIiEEEESJ_S9_S9_S9_S9_S9_S9_S9_S9_EEEEPSB_SM_NS0_5tupleIJNSE_INS8_ISJ_NS7_16discard_iteratorINS7_11use_defaultEEES9_S9_S9_S9_S9_S9_S9_S9_EEEESB_EEENSN_IJSM_SM_EEESB_PlJNSF_9not_fun_tINSF_14equal_to_valueISA_EEEEEEE10hipError_tPvRmT3_T4_T5_T6_T7_T9_mT8_P12ihipStream_tbDpT10_ENKUlT_T0_E_clISt17integral_constantIbLb0EES1I_IbLb1EEEEDaS1E_S1F_EUlS1E_E_NS1_11comp_targetILNS1_3genE8ELNS1_11target_archE1030ELNS1_3gpuE2ELNS1_3repE0EEENS1_30default_config_static_selectorELNS0_4arch9wavefront6targetE0EEEvT1_.uses_flat_scratch, 0
	.set _ZN7rocprim17ROCPRIM_400000_NS6detail17trampoline_kernelINS0_14default_configENS1_25partition_config_selectorILNS1_17partition_subalgoE6EN6thrust23THRUST_200600_302600_NS5tupleIiiNS7_9null_typeES9_S9_S9_S9_S9_S9_S9_EENS0_10empty_typeEbEEZZNS1_14partition_implILS5_6ELb0ES3_mNS7_12zip_iteratorINS8_INS7_6detail15normal_iteratorINS7_10device_ptrIiEEEESJ_S9_S9_S9_S9_S9_S9_S9_S9_EEEEPSB_SM_NS0_5tupleIJNSE_INS8_ISJ_NS7_16discard_iteratorINS7_11use_defaultEEES9_S9_S9_S9_S9_S9_S9_S9_EEEESB_EEENSN_IJSM_SM_EEESB_PlJNSF_9not_fun_tINSF_14equal_to_valueISA_EEEEEEE10hipError_tPvRmT3_T4_T5_T6_T7_T9_mT8_P12ihipStream_tbDpT10_ENKUlT_T0_E_clISt17integral_constantIbLb0EES1I_IbLb1EEEEDaS1E_S1F_EUlS1E_E_NS1_11comp_targetILNS1_3genE8ELNS1_11target_archE1030ELNS1_3gpuE2ELNS1_3repE0EEENS1_30default_config_static_selectorELNS0_4arch9wavefront6targetE0EEEvT1_.has_dyn_sized_stack, 0
	.set _ZN7rocprim17ROCPRIM_400000_NS6detail17trampoline_kernelINS0_14default_configENS1_25partition_config_selectorILNS1_17partition_subalgoE6EN6thrust23THRUST_200600_302600_NS5tupleIiiNS7_9null_typeES9_S9_S9_S9_S9_S9_S9_EENS0_10empty_typeEbEEZZNS1_14partition_implILS5_6ELb0ES3_mNS7_12zip_iteratorINS8_INS7_6detail15normal_iteratorINS7_10device_ptrIiEEEESJ_S9_S9_S9_S9_S9_S9_S9_S9_EEEEPSB_SM_NS0_5tupleIJNSE_INS8_ISJ_NS7_16discard_iteratorINS7_11use_defaultEEES9_S9_S9_S9_S9_S9_S9_S9_EEEESB_EEENSN_IJSM_SM_EEESB_PlJNSF_9not_fun_tINSF_14equal_to_valueISA_EEEEEEE10hipError_tPvRmT3_T4_T5_T6_T7_T9_mT8_P12ihipStream_tbDpT10_ENKUlT_T0_E_clISt17integral_constantIbLb0EES1I_IbLb1EEEEDaS1E_S1F_EUlS1E_E_NS1_11comp_targetILNS1_3genE8ELNS1_11target_archE1030ELNS1_3gpuE2ELNS1_3repE0EEENS1_30default_config_static_selectorELNS0_4arch9wavefront6targetE0EEEvT1_.has_recursion, 0
	.set _ZN7rocprim17ROCPRIM_400000_NS6detail17trampoline_kernelINS0_14default_configENS1_25partition_config_selectorILNS1_17partition_subalgoE6EN6thrust23THRUST_200600_302600_NS5tupleIiiNS7_9null_typeES9_S9_S9_S9_S9_S9_S9_EENS0_10empty_typeEbEEZZNS1_14partition_implILS5_6ELb0ES3_mNS7_12zip_iteratorINS8_INS7_6detail15normal_iteratorINS7_10device_ptrIiEEEESJ_S9_S9_S9_S9_S9_S9_S9_S9_EEEEPSB_SM_NS0_5tupleIJNSE_INS8_ISJ_NS7_16discard_iteratorINS7_11use_defaultEEES9_S9_S9_S9_S9_S9_S9_S9_EEEESB_EEENSN_IJSM_SM_EEESB_PlJNSF_9not_fun_tINSF_14equal_to_valueISA_EEEEEEE10hipError_tPvRmT3_T4_T5_T6_T7_T9_mT8_P12ihipStream_tbDpT10_ENKUlT_T0_E_clISt17integral_constantIbLb0EES1I_IbLb1EEEEDaS1E_S1F_EUlS1E_E_NS1_11comp_targetILNS1_3genE8ELNS1_11target_archE1030ELNS1_3gpuE2ELNS1_3repE0EEENS1_30default_config_static_selectorELNS0_4arch9wavefront6targetE0EEEvT1_.has_indirect_call, 0
	.section	.AMDGPU.csdata,"",@progbits
; Kernel info:
; codeLenInByte = 0
; TotalNumSgprs: 0
; NumVgprs: 0
; ScratchSize: 0
; MemoryBound: 0
; FloatMode: 240
; IeeeMode: 1
; LDSByteSize: 0 bytes/workgroup (compile time only)
; SGPRBlocks: 0
; VGPRBlocks: 0
; NumSGPRsForWavesPerEU: 1
; NumVGPRsForWavesPerEU: 1
; Occupancy: 16
; WaveLimiterHint : 0
; COMPUTE_PGM_RSRC2:SCRATCH_EN: 0
; COMPUTE_PGM_RSRC2:USER_SGPR: 2
; COMPUTE_PGM_RSRC2:TRAP_HANDLER: 0
; COMPUTE_PGM_RSRC2:TGID_X_EN: 1
; COMPUTE_PGM_RSRC2:TGID_Y_EN: 0
; COMPUTE_PGM_RSRC2:TGID_Z_EN: 0
; COMPUTE_PGM_RSRC2:TIDIG_COMP_CNT: 0
	.section	.text._ZN7rocprim17ROCPRIM_400000_NS6detail17trampoline_kernelINS0_14default_configENS1_25partition_config_selectorILNS1_17partition_subalgoE6EN6thrust23THRUST_200600_302600_NS5tupleIssNS7_9null_typeES9_S9_S9_S9_S9_S9_S9_EENS0_10empty_typeEbEEZZNS1_14partition_implILS5_6ELb0ES3_mNS7_12zip_iteratorINS8_INS7_6detail15normal_iteratorINS7_10device_ptrIsEEEESJ_S9_S9_S9_S9_S9_S9_S9_S9_EEEEPSB_SM_NS0_5tupleIJNSE_INS8_ISJ_NS7_16discard_iteratorINS7_11use_defaultEEES9_S9_S9_S9_S9_S9_S9_S9_EEEESB_EEENSN_IJSM_SM_EEESB_PlJNSF_9not_fun_tINSF_14equal_to_valueISA_EEEEEEE10hipError_tPvRmT3_T4_T5_T6_T7_T9_mT8_P12ihipStream_tbDpT10_ENKUlT_T0_E_clISt17integral_constantIbLb0EES1J_EEDaS1E_S1F_EUlS1E_E_NS1_11comp_targetILNS1_3genE0ELNS1_11target_archE4294967295ELNS1_3gpuE0ELNS1_3repE0EEENS1_30default_config_static_selectorELNS0_4arch9wavefront6targetE0EEEvT1_,"axG",@progbits,_ZN7rocprim17ROCPRIM_400000_NS6detail17trampoline_kernelINS0_14default_configENS1_25partition_config_selectorILNS1_17partition_subalgoE6EN6thrust23THRUST_200600_302600_NS5tupleIssNS7_9null_typeES9_S9_S9_S9_S9_S9_S9_EENS0_10empty_typeEbEEZZNS1_14partition_implILS5_6ELb0ES3_mNS7_12zip_iteratorINS8_INS7_6detail15normal_iteratorINS7_10device_ptrIsEEEESJ_S9_S9_S9_S9_S9_S9_S9_S9_EEEEPSB_SM_NS0_5tupleIJNSE_INS8_ISJ_NS7_16discard_iteratorINS7_11use_defaultEEES9_S9_S9_S9_S9_S9_S9_S9_EEEESB_EEENSN_IJSM_SM_EEESB_PlJNSF_9not_fun_tINSF_14equal_to_valueISA_EEEEEEE10hipError_tPvRmT3_T4_T5_T6_T7_T9_mT8_P12ihipStream_tbDpT10_ENKUlT_T0_E_clISt17integral_constantIbLb0EES1J_EEDaS1E_S1F_EUlS1E_E_NS1_11comp_targetILNS1_3genE0ELNS1_11target_archE4294967295ELNS1_3gpuE0ELNS1_3repE0EEENS1_30default_config_static_selectorELNS0_4arch9wavefront6targetE0EEEvT1_,comdat
	.protected	_ZN7rocprim17ROCPRIM_400000_NS6detail17trampoline_kernelINS0_14default_configENS1_25partition_config_selectorILNS1_17partition_subalgoE6EN6thrust23THRUST_200600_302600_NS5tupleIssNS7_9null_typeES9_S9_S9_S9_S9_S9_S9_EENS0_10empty_typeEbEEZZNS1_14partition_implILS5_6ELb0ES3_mNS7_12zip_iteratorINS8_INS7_6detail15normal_iteratorINS7_10device_ptrIsEEEESJ_S9_S9_S9_S9_S9_S9_S9_S9_EEEEPSB_SM_NS0_5tupleIJNSE_INS8_ISJ_NS7_16discard_iteratorINS7_11use_defaultEEES9_S9_S9_S9_S9_S9_S9_S9_EEEESB_EEENSN_IJSM_SM_EEESB_PlJNSF_9not_fun_tINSF_14equal_to_valueISA_EEEEEEE10hipError_tPvRmT3_T4_T5_T6_T7_T9_mT8_P12ihipStream_tbDpT10_ENKUlT_T0_E_clISt17integral_constantIbLb0EES1J_EEDaS1E_S1F_EUlS1E_E_NS1_11comp_targetILNS1_3genE0ELNS1_11target_archE4294967295ELNS1_3gpuE0ELNS1_3repE0EEENS1_30default_config_static_selectorELNS0_4arch9wavefront6targetE0EEEvT1_ ; -- Begin function _ZN7rocprim17ROCPRIM_400000_NS6detail17trampoline_kernelINS0_14default_configENS1_25partition_config_selectorILNS1_17partition_subalgoE6EN6thrust23THRUST_200600_302600_NS5tupleIssNS7_9null_typeES9_S9_S9_S9_S9_S9_S9_EENS0_10empty_typeEbEEZZNS1_14partition_implILS5_6ELb0ES3_mNS7_12zip_iteratorINS8_INS7_6detail15normal_iteratorINS7_10device_ptrIsEEEESJ_S9_S9_S9_S9_S9_S9_S9_S9_EEEEPSB_SM_NS0_5tupleIJNSE_INS8_ISJ_NS7_16discard_iteratorINS7_11use_defaultEEES9_S9_S9_S9_S9_S9_S9_S9_EEEESB_EEENSN_IJSM_SM_EEESB_PlJNSF_9not_fun_tINSF_14equal_to_valueISA_EEEEEEE10hipError_tPvRmT3_T4_T5_T6_T7_T9_mT8_P12ihipStream_tbDpT10_ENKUlT_T0_E_clISt17integral_constantIbLb0EES1J_EEDaS1E_S1F_EUlS1E_E_NS1_11comp_targetILNS1_3genE0ELNS1_11target_archE4294967295ELNS1_3gpuE0ELNS1_3repE0EEENS1_30default_config_static_selectorELNS0_4arch9wavefront6targetE0EEEvT1_
	.globl	_ZN7rocprim17ROCPRIM_400000_NS6detail17trampoline_kernelINS0_14default_configENS1_25partition_config_selectorILNS1_17partition_subalgoE6EN6thrust23THRUST_200600_302600_NS5tupleIssNS7_9null_typeES9_S9_S9_S9_S9_S9_S9_EENS0_10empty_typeEbEEZZNS1_14partition_implILS5_6ELb0ES3_mNS7_12zip_iteratorINS8_INS7_6detail15normal_iteratorINS7_10device_ptrIsEEEESJ_S9_S9_S9_S9_S9_S9_S9_S9_EEEEPSB_SM_NS0_5tupleIJNSE_INS8_ISJ_NS7_16discard_iteratorINS7_11use_defaultEEES9_S9_S9_S9_S9_S9_S9_S9_EEEESB_EEENSN_IJSM_SM_EEESB_PlJNSF_9not_fun_tINSF_14equal_to_valueISA_EEEEEEE10hipError_tPvRmT3_T4_T5_T6_T7_T9_mT8_P12ihipStream_tbDpT10_ENKUlT_T0_E_clISt17integral_constantIbLb0EES1J_EEDaS1E_S1F_EUlS1E_E_NS1_11comp_targetILNS1_3genE0ELNS1_11target_archE4294967295ELNS1_3gpuE0ELNS1_3repE0EEENS1_30default_config_static_selectorELNS0_4arch9wavefront6targetE0EEEvT1_
	.p2align	8
	.type	_ZN7rocprim17ROCPRIM_400000_NS6detail17trampoline_kernelINS0_14default_configENS1_25partition_config_selectorILNS1_17partition_subalgoE6EN6thrust23THRUST_200600_302600_NS5tupleIssNS7_9null_typeES9_S9_S9_S9_S9_S9_S9_EENS0_10empty_typeEbEEZZNS1_14partition_implILS5_6ELb0ES3_mNS7_12zip_iteratorINS8_INS7_6detail15normal_iteratorINS7_10device_ptrIsEEEESJ_S9_S9_S9_S9_S9_S9_S9_S9_EEEEPSB_SM_NS0_5tupleIJNSE_INS8_ISJ_NS7_16discard_iteratorINS7_11use_defaultEEES9_S9_S9_S9_S9_S9_S9_S9_EEEESB_EEENSN_IJSM_SM_EEESB_PlJNSF_9not_fun_tINSF_14equal_to_valueISA_EEEEEEE10hipError_tPvRmT3_T4_T5_T6_T7_T9_mT8_P12ihipStream_tbDpT10_ENKUlT_T0_E_clISt17integral_constantIbLb0EES1J_EEDaS1E_S1F_EUlS1E_E_NS1_11comp_targetILNS1_3genE0ELNS1_11target_archE4294967295ELNS1_3gpuE0ELNS1_3repE0EEENS1_30default_config_static_selectorELNS0_4arch9wavefront6targetE0EEEvT1_,@function
_ZN7rocprim17ROCPRIM_400000_NS6detail17trampoline_kernelINS0_14default_configENS1_25partition_config_selectorILNS1_17partition_subalgoE6EN6thrust23THRUST_200600_302600_NS5tupleIssNS7_9null_typeES9_S9_S9_S9_S9_S9_S9_EENS0_10empty_typeEbEEZZNS1_14partition_implILS5_6ELb0ES3_mNS7_12zip_iteratorINS8_INS7_6detail15normal_iteratorINS7_10device_ptrIsEEEESJ_S9_S9_S9_S9_S9_S9_S9_S9_EEEEPSB_SM_NS0_5tupleIJNSE_INS8_ISJ_NS7_16discard_iteratorINS7_11use_defaultEEES9_S9_S9_S9_S9_S9_S9_S9_EEEESB_EEENSN_IJSM_SM_EEESB_PlJNSF_9not_fun_tINSF_14equal_to_valueISA_EEEEEEE10hipError_tPvRmT3_T4_T5_T6_T7_T9_mT8_P12ihipStream_tbDpT10_ENKUlT_T0_E_clISt17integral_constantIbLb0EES1J_EEDaS1E_S1F_EUlS1E_E_NS1_11comp_targetILNS1_3genE0ELNS1_11target_archE4294967295ELNS1_3gpuE0ELNS1_3repE0EEENS1_30default_config_static_selectorELNS0_4arch9wavefront6targetE0EEEvT1_: ; @_ZN7rocprim17ROCPRIM_400000_NS6detail17trampoline_kernelINS0_14default_configENS1_25partition_config_selectorILNS1_17partition_subalgoE6EN6thrust23THRUST_200600_302600_NS5tupleIssNS7_9null_typeES9_S9_S9_S9_S9_S9_S9_EENS0_10empty_typeEbEEZZNS1_14partition_implILS5_6ELb0ES3_mNS7_12zip_iteratorINS8_INS7_6detail15normal_iteratorINS7_10device_ptrIsEEEESJ_S9_S9_S9_S9_S9_S9_S9_S9_EEEEPSB_SM_NS0_5tupleIJNSE_INS8_ISJ_NS7_16discard_iteratorINS7_11use_defaultEEES9_S9_S9_S9_S9_S9_S9_S9_EEEESB_EEENSN_IJSM_SM_EEESB_PlJNSF_9not_fun_tINSF_14equal_to_valueISA_EEEEEEE10hipError_tPvRmT3_T4_T5_T6_T7_T9_mT8_P12ihipStream_tbDpT10_ENKUlT_T0_E_clISt17integral_constantIbLb0EES1J_EEDaS1E_S1F_EUlS1E_E_NS1_11comp_targetILNS1_3genE0ELNS1_11target_archE4294967295ELNS1_3gpuE0ELNS1_3repE0EEENS1_30default_config_static_selectorELNS0_4arch9wavefront6targetE0EEEvT1_
; %bb.0:
	.section	.rodata,"a",@progbits
	.p2align	6, 0x0
	.amdhsa_kernel _ZN7rocprim17ROCPRIM_400000_NS6detail17trampoline_kernelINS0_14default_configENS1_25partition_config_selectorILNS1_17partition_subalgoE6EN6thrust23THRUST_200600_302600_NS5tupleIssNS7_9null_typeES9_S9_S9_S9_S9_S9_S9_EENS0_10empty_typeEbEEZZNS1_14partition_implILS5_6ELb0ES3_mNS7_12zip_iteratorINS8_INS7_6detail15normal_iteratorINS7_10device_ptrIsEEEESJ_S9_S9_S9_S9_S9_S9_S9_S9_EEEEPSB_SM_NS0_5tupleIJNSE_INS8_ISJ_NS7_16discard_iteratorINS7_11use_defaultEEES9_S9_S9_S9_S9_S9_S9_S9_EEEESB_EEENSN_IJSM_SM_EEESB_PlJNSF_9not_fun_tINSF_14equal_to_valueISA_EEEEEEE10hipError_tPvRmT3_T4_T5_T6_T7_T9_mT8_P12ihipStream_tbDpT10_ENKUlT_T0_E_clISt17integral_constantIbLb0EES1J_EEDaS1E_S1F_EUlS1E_E_NS1_11comp_targetILNS1_3genE0ELNS1_11target_archE4294967295ELNS1_3gpuE0ELNS1_3repE0EEENS1_30default_config_static_selectorELNS0_4arch9wavefront6targetE0EEEvT1_
		.amdhsa_group_segment_fixed_size 0
		.amdhsa_private_segment_fixed_size 0
		.amdhsa_kernarg_size 144
		.amdhsa_user_sgpr_count 2
		.amdhsa_user_sgpr_dispatch_ptr 0
		.amdhsa_user_sgpr_queue_ptr 0
		.amdhsa_user_sgpr_kernarg_segment_ptr 1
		.amdhsa_user_sgpr_dispatch_id 0
		.amdhsa_user_sgpr_private_segment_size 0
		.amdhsa_wavefront_size32 1
		.amdhsa_uses_dynamic_stack 0
		.amdhsa_enable_private_segment 0
		.amdhsa_system_sgpr_workgroup_id_x 1
		.amdhsa_system_sgpr_workgroup_id_y 0
		.amdhsa_system_sgpr_workgroup_id_z 0
		.amdhsa_system_sgpr_workgroup_info 0
		.amdhsa_system_vgpr_workitem_id 0
		.amdhsa_next_free_vgpr 1
		.amdhsa_next_free_sgpr 1
		.amdhsa_reserve_vcc 0
		.amdhsa_float_round_mode_32 0
		.amdhsa_float_round_mode_16_64 0
		.amdhsa_float_denorm_mode_32 3
		.amdhsa_float_denorm_mode_16_64 3
		.amdhsa_fp16_overflow 0
		.amdhsa_workgroup_processor_mode 1
		.amdhsa_memory_ordered 1
		.amdhsa_forward_progress 1
		.amdhsa_inst_pref_size 0
		.amdhsa_round_robin_scheduling 0
		.amdhsa_exception_fp_ieee_invalid_op 0
		.amdhsa_exception_fp_denorm_src 0
		.amdhsa_exception_fp_ieee_div_zero 0
		.amdhsa_exception_fp_ieee_overflow 0
		.amdhsa_exception_fp_ieee_underflow 0
		.amdhsa_exception_fp_ieee_inexact 0
		.amdhsa_exception_int_div_zero 0
	.end_amdhsa_kernel
	.section	.text._ZN7rocprim17ROCPRIM_400000_NS6detail17trampoline_kernelINS0_14default_configENS1_25partition_config_selectorILNS1_17partition_subalgoE6EN6thrust23THRUST_200600_302600_NS5tupleIssNS7_9null_typeES9_S9_S9_S9_S9_S9_S9_EENS0_10empty_typeEbEEZZNS1_14partition_implILS5_6ELb0ES3_mNS7_12zip_iteratorINS8_INS7_6detail15normal_iteratorINS7_10device_ptrIsEEEESJ_S9_S9_S9_S9_S9_S9_S9_S9_EEEEPSB_SM_NS0_5tupleIJNSE_INS8_ISJ_NS7_16discard_iteratorINS7_11use_defaultEEES9_S9_S9_S9_S9_S9_S9_S9_EEEESB_EEENSN_IJSM_SM_EEESB_PlJNSF_9not_fun_tINSF_14equal_to_valueISA_EEEEEEE10hipError_tPvRmT3_T4_T5_T6_T7_T9_mT8_P12ihipStream_tbDpT10_ENKUlT_T0_E_clISt17integral_constantIbLb0EES1J_EEDaS1E_S1F_EUlS1E_E_NS1_11comp_targetILNS1_3genE0ELNS1_11target_archE4294967295ELNS1_3gpuE0ELNS1_3repE0EEENS1_30default_config_static_selectorELNS0_4arch9wavefront6targetE0EEEvT1_,"axG",@progbits,_ZN7rocprim17ROCPRIM_400000_NS6detail17trampoline_kernelINS0_14default_configENS1_25partition_config_selectorILNS1_17partition_subalgoE6EN6thrust23THRUST_200600_302600_NS5tupleIssNS7_9null_typeES9_S9_S9_S9_S9_S9_S9_EENS0_10empty_typeEbEEZZNS1_14partition_implILS5_6ELb0ES3_mNS7_12zip_iteratorINS8_INS7_6detail15normal_iteratorINS7_10device_ptrIsEEEESJ_S9_S9_S9_S9_S9_S9_S9_S9_EEEEPSB_SM_NS0_5tupleIJNSE_INS8_ISJ_NS7_16discard_iteratorINS7_11use_defaultEEES9_S9_S9_S9_S9_S9_S9_S9_EEEESB_EEENSN_IJSM_SM_EEESB_PlJNSF_9not_fun_tINSF_14equal_to_valueISA_EEEEEEE10hipError_tPvRmT3_T4_T5_T6_T7_T9_mT8_P12ihipStream_tbDpT10_ENKUlT_T0_E_clISt17integral_constantIbLb0EES1J_EEDaS1E_S1F_EUlS1E_E_NS1_11comp_targetILNS1_3genE0ELNS1_11target_archE4294967295ELNS1_3gpuE0ELNS1_3repE0EEENS1_30default_config_static_selectorELNS0_4arch9wavefront6targetE0EEEvT1_,comdat
.Lfunc_end2045:
	.size	_ZN7rocprim17ROCPRIM_400000_NS6detail17trampoline_kernelINS0_14default_configENS1_25partition_config_selectorILNS1_17partition_subalgoE6EN6thrust23THRUST_200600_302600_NS5tupleIssNS7_9null_typeES9_S9_S9_S9_S9_S9_S9_EENS0_10empty_typeEbEEZZNS1_14partition_implILS5_6ELb0ES3_mNS7_12zip_iteratorINS8_INS7_6detail15normal_iteratorINS7_10device_ptrIsEEEESJ_S9_S9_S9_S9_S9_S9_S9_S9_EEEEPSB_SM_NS0_5tupleIJNSE_INS8_ISJ_NS7_16discard_iteratorINS7_11use_defaultEEES9_S9_S9_S9_S9_S9_S9_S9_EEEESB_EEENSN_IJSM_SM_EEESB_PlJNSF_9not_fun_tINSF_14equal_to_valueISA_EEEEEEE10hipError_tPvRmT3_T4_T5_T6_T7_T9_mT8_P12ihipStream_tbDpT10_ENKUlT_T0_E_clISt17integral_constantIbLb0EES1J_EEDaS1E_S1F_EUlS1E_E_NS1_11comp_targetILNS1_3genE0ELNS1_11target_archE4294967295ELNS1_3gpuE0ELNS1_3repE0EEENS1_30default_config_static_selectorELNS0_4arch9wavefront6targetE0EEEvT1_, .Lfunc_end2045-_ZN7rocprim17ROCPRIM_400000_NS6detail17trampoline_kernelINS0_14default_configENS1_25partition_config_selectorILNS1_17partition_subalgoE6EN6thrust23THRUST_200600_302600_NS5tupleIssNS7_9null_typeES9_S9_S9_S9_S9_S9_S9_EENS0_10empty_typeEbEEZZNS1_14partition_implILS5_6ELb0ES3_mNS7_12zip_iteratorINS8_INS7_6detail15normal_iteratorINS7_10device_ptrIsEEEESJ_S9_S9_S9_S9_S9_S9_S9_S9_EEEEPSB_SM_NS0_5tupleIJNSE_INS8_ISJ_NS7_16discard_iteratorINS7_11use_defaultEEES9_S9_S9_S9_S9_S9_S9_S9_EEEESB_EEENSN_IJSM_SM_EEESB_PlJNSF_9not_fun_tINSF_14equal_to_valueISA_EEEEEEE10hipError_tPvRmT3_T4_T5_T6_T7_T9_mT8_P12ihipStream_tbDpT10_ENKUlT_T0_E_clISt17integral_constantIbLb0EES1J_EEDaS1E_S1F_EUlS1E_E_NS1_11comp_targetILNS1_3genE0ELNS1_11target_archE4294967295ELNS1_3gpuE0ELNS1_3repE0EEENS1_30default_config_static_selectorELNS0_4arch9wavefront6targetE0EEEvT1_
                                        ; -- End function
	.set _ZN7rocprim17ROCPRIM_400000_NS6detail17trampoline_kernelINS0_14default_configENS1_25partition_config_selectorILNS1_17partition_subalgoE6EN6thrust23THRUST_200600_302600_NS5tupleIssNS7_9null_typeES9_S9_S9_S9_S9_S9_S9_EENS0_10empty_typeEbEEZZNS1_14partition_implILS5_6ELb0ES3_mNS7_12zip_iteratorINS8_INS7_6detail15normal_iteratorINS7_10device_ptrIsEEEESJ_S9_S9_S9_S9_S9_S9_S9_S9_EEEEPSB_SM_NS0_5tupleIJNSE_INS8_ISJ_NS7_16discard_iteratorINS7_11use_defaultEEES9_S9_S9_S9_S9_S9_S9_S9_EEEESB_EEENSN_IJSM_SM_EEESB_PlJNSF_9not_fun_tINSF_14equal_to_valueISA_EEEEEEE10hipError_tPvRmT3_T4_T5_T6_T7_T9_mT8_P12ihipStream_tbDpT10_ENKUlT_T0_E_clISt17integral_constantIbLb0EES1J_EEDaS1E_S1F_EUlS1E_E_NS1_11comp_targetILNS1_3genE0ELNS1_11target_archE4294967295ELNS1_3gpuE0ELNS1_3repE0EEENS1_30default_config_static_selectorELNS0_4arch9wavefront6targetE0EEEvT1_.num_vgpr, 0
	.set _ZN7rocprim17ROCPRIM_400000_NS6detail17trampoline_kernelINS0_14default_configENS1_25partition_config_selectorILNS1_17partition_subalgoE6EN6thrust23THRUST_200600_302600_NS5tupleIssNS7_9null_typeES9_S9_S9_S9_S9_S9_S9_EENS0_10empty_typeEbEEZZNS1_14partition_implILS5_6ELb0ES3_mNS7_12zip_iteratorINS8_INS7_6detail15normal_iteratorINS7_10device_ptrIsEEEESJ_S9_S9_S9_S9_S9_S9_S9_S9_EEEEPSB_SM_NS0_5tupleIJNSE_INS8_ISJ_NS7_16discard_iteratorINS7_11use_defaultEEES9_S9_S9_S9_S9_S9_S9_S9_EEEESB_EEENSN_IJSM_SM_EEESB_PlJNSF_9not_fun_tINSF_14equal_to_valueISA_EEEEEEE10hipError_tPvRmT3_T4_T5_T6_T7_T9_mT8_P12ihipStream_tbDpT10_ENKUlT_T0_E_clISt17integral_constantIbLb0EES1J_EEDaS1E_S1F_EUlS1E_E_NS1_11comp_targetILNS1_3genE0ELNS1_11target_archE4294967295ELNS1_3gpuE0ELNS1_3repE0EEENS1_30default_config_static_selectorELNS0_4arch9wavefront6targetE0EEEvT1_.num_agpr, 0
	.set _ZN7rocprim17ROCPRIM_400000_NS6detail17trampoline_kernelINS0_14default_configENS1_25partition_config_selectorILNS1_17partition_subalgoE6EN6thrust23THRUST_200600_302600_NS5tupleIssNS7_9null_typeES9_S9_S9_S9_S9_S9_S9_EENS0_10empty_typeEbEEZZNS1_14partition_implILS5_6ELb0ES3_mNS7_12zip_iteratorINS8_INS7_6detail15normal_iteratorINS7_10device_ptrIsEEEESJ_S9_S9_S9_S9_S9_S9_S9_S9_EEEEPSB_SM_NS0_5tupleIJNSE_INS8_ISJ_NS7_16discard_iteratorINS7_11use_defaultEEES9_S9_S9_S9_S9_S9_S9_S9_EEEESB_EEENSN_IJSM_SM_EEESB_PlJNSF_9not_fun_tINSF_14equal_to_valueISA_EEEEEEE10hipError_tPvRmT3_T4_T5_T6_T7_T9_mT8_P12ihipStream_tbDpT10_ENKUlT_T0_E_clISt17integral_constantIbLb0EES1J_EEDaS1E_S1F_EUlS1E_E_NS1_11comp_targetILNS1_3genE0ELNS1_11target_archE4294967295ELNS1_3gpuE0ELNS1_3repE0EEENS1_30default_config_static_selectorELNS0_4arch9wavefront6targetE0EEEvT1_.numbered_sgpr, 0
	.set _ZN7rocprim17ROCPRIM_400000_NS6detail17trampoline_kernelINS0_14default_configENS1_25partition_config_selectorILNS1_17partition_subalgoE6EN6thrust23THRUST_200600_302600_NS5tupleIssNS7_9null_typeES9_S9_S9_S9_S9_S9_S9_EENS0_10empty_typeEbEEZZNS1_14partition_implILS5_6ELb0ES3_mNS7_12zip_iteratorINS8_INS7_6detail15normal_iteratorINS7_10device_ptrIsEEEESJ_S9_S9_S9_S9_S9_S9_S9_S9_EEEEPSB_SM_NS0_5tupleIJNSE_INS8_ISJ_NS7_16discard_iteratorINS7_11use_defaultEEES9_S9_S9_S9_S9_S9_S9_S9_EEEESB_EEENSN_IJSM_SM_EEESB_PlJNSF_9not_fun_tINSF_14equal_to_valueISA_EEEEEEE10hipError_tPvRmT3_T4_T5_T6_T7_T9_mT8_P12ihipStream_tbDpT10_ENKUlT_T0_E_clISt17integral_constantIbLb0EES1J_EEDaS1E_S1F_EUlS1E_E_NS1_11comp_targetILNS1_3genE0ELNS1_11target_archE4294967295ELNS1_3gpuE0ELNS1_3repE0EEENS1_30default_config_static_selectorELNS0_4arch9wavefront6targetE0EEEvT1_.num_named_barrier, 0
	.set _ZN7rocprim17ROCPRIM_400000_NS6detail17trampoline_kernelINS0_14default_configENS1_25partition_config_selectorILNS1_17partition_subalgoE6EN6thrust23THRUST_200600_302600_NS5tupleIssNS7_9null_typeES9_S9_S9_S9_S9_S9_S9_EENS0_10empty_typeEbEEZZNS1_14partition_implILS5_6ELb0ES3_mNS7_12zip_iteratorINS8_INS7_6detail15normal_iteratorINS7_10device_ptrIsEEEESJ_S9_S9_S9_S9_S9_S9_S9_S9_EEEEPSB_SM_NS0_5tupleIJNSE_INS8_ISJ_NS7_16discard_iteratorINS7_11use_defaultEEES9_S9_S9_S9_S9_S9_S9_S9_EEEESB_EEENSN_IJSM_SM_EEESB_PlJNSF_9not_fun_tINSF_14equal_to_valueISA_EEEEEEE10hipError_tPvRmT3_T4_T5_T6_T7_T9_mT8_P12ihipStream_tbDpT10_ENKUlT_T0_E_clISt17integral_constantIbLb0EES1J_EEDaS1E_S1F_EUlS1E_E_NS1_11comp_targetILNS1_3genE0ELNS1_11target_archE4294967295ELNS1_3gpuE0ELNS1_3repE0EEENS1_30default_config_static_selectorELNS0_4arch9wavefront6targetE0EEEvT1_.private_seg_size, 0
	.set _ZN7rocprim17ROCPRIM_400000_NS6detail17trampoline_kernelINS0_14default_configENS1_25partition_config_selectorILNS1_17partition_subalgoE6EN6thrust23THRUST_200600_302600_NS5tupleIssNS7_9null_typeES9_S9_S9_S9_S9_S9_S9_EENS0_10empty_typeEbEEZZNS1_14partition_implILS5_6ELb0ES3_mNS7_12zip_iteratorINS8_INS7_6detail15normal_iteratorINS7_10device_ptrIsEEEESJ_S9_S9_S9_S9_S9_S9_S9_S9_EEEEPSB_SM_NS0_5tupleIJNSE_INS8_ISJ_NS7_16discard_iteratorINS7_11use_defaultEEES9_S9_S9_S9_S9_S9_S9_S9_EEEESB_EEENSN_IJSM_SM_EEESB_PlJNSF_9not_fun_tINSF_14equal_to_valueISA_EEEEEEE10hipError_tPvRmT3_T4_T5_T6_T7_T9_mT8_P12ihipStream_tbDpT10_ENKUlT_T0_E_clISt17integral_constantIbLb0EES1J_EEDaS1E_S1F_EUlS1E_E_NS1_11comp_targetILNS1_3genE0ELNS1_11target_archE4294967295ELNS1_3gpuE0ELNS1_3repE0EEENS1_30default_config_static_selectorELNS0_4arch9wavefront6targetE0EEEvT1_.uses_vcc, 0
	.set _ZN7rocprim17ROCPRIM_400000_NS6detail17trampoline_kernelINS0_14default_configENS1_25partition_config_selectorILNS1_17partition_subalgoE6EN6thrust23THRUST_200600_302600_NS5tupleIssNS7_9null_typeES9_S9_S9_S9_S9_S9_S9_EENS0_10empty_typeEbEEZZNS1_14partition_implILS5_6ELb0ES3_mNS7_12zip_iteratorINS8_INS7_6detail15normal_iteratorINS7_10device_ptrIsEEEESJ_S9_S9_S9_S9_S9_S9_S9_S9_EEEEPSB_SM_NS0_5tupleIJNSE_INS8_ISJ_NS7_16discard_iteratorINS7_11use_defaultEEES9_S9_S9_S9_S9_S9_S9_S9_EEEESB_EEENSN_IJSM_SM_EEESB_PlJNSF_9not_fun_tINSF_14equal_to_valueISA_EEEEEEE10hipError_tPvRmT3_T4_T5_T6_T7_T9_mT8_P12ihipStream_tbDpT10_ENKUlT_T0_E_clISt17integral_constantIbLb0EES1J_EEDaS1E_S1F_EUlS1E_E_NS1_11comp_targetILNS1_3genE0ELNS1_11target_archE4294967295ELNS1_3gpuE0ELNS1_3repE0EEENS1_30default_config_static_selectorELNS0_4arch9wavefront6targetE0EEEvT1_.uses_flat_scratch, 0
	.set _ZN7rocprim17ROCPRIM_400000_NS6detail17trampoline_kernelINS0_14default_configENS1_25partition_config_selectorILNS1_17partition_subalgoE6EN6thrust23THRUST_200600_302600_NS5tupleIssNS7_9null_typeES9_S9_S9_S9_S9_S9_S9_EENS0_10empty_typeEbEEZZNS1_14partition_implILS5_6ELb0ES3_mNS7_12zip_iteratorINS8_INS7_6detail15normal_iteratorINS7_10device_ptrIsEEEESJ_S9_S9_S9_S9_S9_S9_S9_S9_EEEEPSB_SM_NS0_5tupleIJNSE_INS8_ISJ_NS7_16discard_iteratorINS7_11use_defaultEEES9_S9_S9_S9_S9_S9_S9_S9_EEEESB_EEENSN_IJSM_SM_EEESB_PlJNSF_9not_fun_tINSF_14equal_to_valueISA_EEEEEEE10hipError_tPvRmT3_T4_T5_T6_T7_T9_mT8_P12ihipStream_tbDpT10_ENKUlT_T0_E_clISt17integral_constantIbLb0EES1J_EEDaS1E_S1F_EUlS1E_E_NS1_11comp_targetILNS1_3genE0ELNS1_11target_archE4294967295ELNS1_3gpuE0ELNS1_3repE0EEENS1_30default_config_static_selectorELNS0_4arch9wavefront6targetE0EEEvT1_.has_dyn_sized_stack, 0
	.set _ZN7rocprim17ROCPRIM_400000_NS6detail17trampoline_kernelINS0_14default_configENS1_25partition_config_selectorILNS1_17partition_subalgoE6EN6thrust23THRUST_200600_302600_NS5tupleIssNS7_9null_typeES9_S9_S9_S9_S9_S9_S9_EENS0_10empty_typeEbEEZZNS1_14partition_implILS5_6ELb0ES3_mNS7_12zip_iteratorINS8_INS7_6detail15normal_iteratorINS7_10device_ptrIsEEEESJ_S9_S9_S9_S9_S9_S9_S9_S9_EEEEPSB_SM_NS0_5tupleIJNSE_INS8_ISJ_NS7_16discard_iteratorINS7_11use_defaultEEES9_S9_S9_S9_S9_S9_S9_S9_EEEESB_EEENSN_IJSM_SM_EEESB_PlJNSF_9not_fun_tINSF_14equal_to_valueISA_EEEEEEE10hipError_tPvRmT3_T4_T5_T6_T7_T9_mT8_P12ihipStream_tbDpT10_ENKUlT_T0_E_clISt17integral_constantIbLb0EES1J_EEDaS1E_S1F_EUlS1E_E_NS1_11comp_targetILNS1_3genE0ELNS1_11target_archE4294967295ELNS1_3gpuE0ELNS1_3repE0EEENS1_30default_config_static_selectorELNS0_4arch9wavefront6targetE0EEEvT1_.has_recursion, 0
	.set _ZN7rocprim17ROCPRIM_400000_NS6detail17trampoline_kernelINS0_14default_configENS1_25partition_config_selectorILNS1_17partition_subalgoE6EN6thrust23THRUST_200600_302600_NS5tupleIssNS7_9null_typeES9_S9_S9_S9_S9_S9_S9_EENS0_10empty_typeEbEEZZNS1_14partition_implILS5_6ELb0ES3_mNS7_12zip_iteratorINS8_INS7_6detail15normal_iteratorINS7_10device_ptrIsEEEESJ_S9_S9_S9_S9_S9_S9_S9_S9_EEEEPSB_SM_NS0_5tupleIJNSE_INS8_ISJ_NS7_16discard_iteratorINS7_11use_defaultEEES9_S9_S9_S9_S9_S9_S9_S9_EEEESB_EEENSN_IJSM_SM_EEESB_PlJNSF_9not_fun_tINSF_14equal_to_valueISA_EEEEEEE10hipError_tPvRmT3_T4_T5_T6_T7_T9_mT8_P12ihipStream_tbDpT10_ENKUlT_T0_E_clISt17integral_constantIbLb0EES1J_EEDaS1E_S1F_EUlS1E_E_NS1_11comp_targetILNS1_3genE0ELNS1_11target_archE4294967295ELNS1_3gpuE0ELNS1_3repE0EEENS1_30default_config_static_selectorELNS0_4arch9wavefront6targetE0EEEvT1_.has_indirect_call, 0
	.section	.AMDGPU.csdata,"",@progbits
; Kernel info:
; codeLenInByte = 0
; TotalNumSgprs: 0
; NumVgprs: 0
; ScratchSize: 0
; MemoryBound: 0
; FloatMode: 240
; IeeeMode: 1
; LDSByteSize: 0 bytes/workgroup (compile time only)
; SGPRBlocks: 0
; VGPRBlocks: 0
; NumSGPRsForWavesPerEU: 1
; NumVGPRsForWavesPerEU: 1
; Occupancy: 16
; WaveLimiterHint : 0
; COMPUTE_PGM_RSRC2:SCRATCH_EN: 0
; COMPUTE_PGM_RSRC2:USER_SGPR: 2
; COMPUTE_PGM_RSRC2:TRAP_HANDLER: 0
; COMPUTE_PGM_RSRC2:TGID_X_EN: 1
; COMPUTE_PGM_RSRC2:TGID_Y_EN: 0
; COMPUTE_PGM_RSRC2:TGID_Z_EN: 0
; COMPUTE_PGM_RSRC2:TIDIG_COMP_CNT: 0
	.section	.text._ZN7rocprim17ROCPRIM_400000_NS6detail17trampoline_kernelINS0_14default_configENS1_25partition_config_selectorILNS1_17partition_subalgoE6EN6thrust23THRUST_200600_302600_NS5tupleIssNS7_9null_typeES9_S9_S9_S9_S9_S9_S9_EENS0_10empty_typeEbEEZZNS1_14partition_implILS5_6ELb0ES3_mNS7_12zip_iteratorINS8_INS7_6detail15normal_iteratorINS7_10device_ptrIsEEEESJ_S9_S9_S9_S9_S9_S9_S9_S9_EEEEPSB_SM_NS0_5tupleIJNSE_INS8_ISJ_NS7_16discard_iteratorINS7_11use_defaultEEES9_S9_S9_S9_S9_S9_S9_S9_EEEESB_EEENSN_IJSM_SM_EEESB_PlJNSF_9not_fun_tINSF_14equal_to_valueISA_EEEEEEE10hipError_tPvRmT3_T4_T5_T6_T7_T9_mT8_P12ihipStream_tbDpT10_ENKUlT_T0_E_clISt17integral_constantIbLb0EES1J_EEDaS1E_S1F_EUlS1E_E_NS1_11comp_targetILNS1_3genE5ELNS1_11target_archE942ELNS1_3gpuE9ELNS1_3repE0EEENS1_30default_config_static_selectorELNS0_4arch9wavefront6targetE0EEEvT1_,"axG",@progbits,_ZN7rocprim17ROCPRIM_400000_NS6detail17trampoline_kernelINS0_14default_configENS1_25partition_config_selectorILNS1_17partition_subalgoE6EN6thrust23THRUST_200600_302600_NS5tupleIssNS7_9null_typeES9_S9_S9_S9_S9_S9_S9_EENS0_10empty_typeEbEEZZNS1_14partition_implILS5_6ELb0ES3_mNS7_12zip_iteratorINS8_INS7_6detail15normal_iteratorINS7_10device_ptrIsEEEESJ_S9_S9_S9_S9_S9_S9_S9_S9_EEEEPSB_SM_NS0_5tupleIJNSE_INS8_ISJ_NS7_16discard_iteratorINS7_11use_defaultEEES9_S9_S9_S9_S9_S9_S9_S9_EEEESB_EEENSN_IJSM_SM_EEESB_PlJNSF_9not_fun_tINSF_14equal_to_valueISA_EEEEEEE10hipError_tPvRmT3_T4_T5_T6_T7_T9_mT8_P12ihipStream_tbDpT10_ENKUlT_T0_E_clISt17integral_constantIbLb0EES1J_EEDaS1E_S1F_EUlS1E_E_NS1_11comp_targetILNS1_3genE5ELNS1_11target_archE942ELNS1_3gpuE9ELNS1_3repE0EEENS1_30default_config_static_selectorELNS0_4arch9wavefront6targetE0EEEvT1_,comdat
	.protected	_ZN7rocprim17ROCPRIM_400000_NS6detail17trampoline_kernelINS0_14default_configENS1_25partition_config_selectorILNS1_17partition_subalgoE6EN6thrust23THRUST_200600_302600_NS5tupleIssNS7_9null_typeES9_S9_S9_S9_S9_S9_S9_EENS0_10empty_typeEbEEZZNS1_14partition_implILS5_6ELb0ES3_mNS7_12zip_iteratorINS8_INS7_6detail15normal_iteratorINS7_10device_ptrIsEEEESJ_S9_S9_S9_S9_S9_S9_S9_S9_EEEEPSB_SM_NS0_5tupleIJNSE_INS8_ISJ_NS7_16discard_iteratorINS7_11use_defaultEEES9_S9_S9_S9_S9_S9_S9_S9_EEEESB_EEENSN_IJSM_SM_EEESB_PlJNSF_9not_fun_tINSF_14equal_to_valueISA_EEEEEEE10hipError_tPvRmT3_T4_T5_T6_T7_T9_mT8_P12ihipStream_tbDpT10_ENKUlT_T0_E_clISt17integral_constantIbLb0EES1J_EEDaS1E_S1F_EUlS1E_E_NS1_11comp_targetILNS1_3genE5ELNS1_11target_archE942ELNS1_3gpuE9ELNS1_3repE0EEENS1_30default_config_static_selectorELNS0_4arch9wavefront6targetE0EEEvT1_ ; -- Begin function _ZN7rocprim17ROCPRIM_400000_NS6detail17trampoline_kernelINS0_14default_configENS1_25partition_config_selectorILNS1_17partition_subalgoE6EN6thrust23THRUST_200600_302600_NS5tupleIssNS7_9null_typeES9_S9_S9_S9_S9_S9_S9_EENS0_10empty_typeEbEEZZNS1_14partition_implILS5_6ELb0ES3_mNS7_12zip_iteratorINS8_INS7_6detail15normal_iteratorINS7_10device_ptrIsEEEESJ_S9_S9_S9_S9_S9_S9_S9_S9_EEEEPSB_SM_NS0_5tupleIJNSE_INS8_ISJ_NS7_16discard_iteratorINS7_11use_defaultEEES9_S9_S9_S9_S9_S9_S9_S9_EEEESB_EEENSN_IJSM_SM_EEESB_PlJNSF_9not_fun_tINSF_14equal_to_valueISA_EEEEEEE10hipError_tPvRmT3_T4_T5_T6_T7_T9_mT8_P12ihipStream_tbDpT10_ENKUlT_T0_E_clISt17integral_constantIbLb0EES1J_EEDaS1E_S1F_EUlS1E_E_NS1_11comp_targetILNS1_3genE5ELNS1_11target_archE942ELNS1_3gpuE9ELNS1_3repE0EEENS1_30default_config_static_selectorELNS0_4arch9wavefront6targetE0EEEvT1_
	.globl	_ZN7rocprim17ROCPRIM_400000_NS6detail17trampoline_kernelINS0_14default_configENS1_25partition_config_selectorILNS1_17partition_subalgoE6EN6thrust23THRUST_200600_302600_NS5tupleIssNS7_9null_typeES9_S9_S9_S9_S9_S9_S9_EENS0_10empty_typeEbEEZZNS1_14partition_implILS5_6ELb0ES3_mNS7_12zip_iteratorINS8_INS7_6detail15normal_iteratorINS7_10device_ptrIsEEEESJ_S9_S9_S9_S9_S9_S9_S9_S9_EEEEPSB_SM_NS0_5tupleIJNSE_INS8_ISJ_NS7_16discard_iteratorINS7_11use_defaultEEES9_S9_S9_S9_S9_S9_S9_S9_EEEESB_EEENSN_IJSM_SM_EEESB_PlJNSF_9not_fun_tINSF_14equal_to_valueISA_EEEEEEE10hipError_tPvRmT3_T4_T5_T6_T7_T9_mT8_P12ihipStream_tbDpT10_ENKUlT_T0_E_clISt17integral_constantIbLb0EES1J_EEDaS1E_S1F_EUlS1E_E_NS1_11comp_targetILNS1_3genE5ELNS1_11target_archE942ELNS1_3gpuE9ELNS1_3repE0EEENS1_30default_config_static_selectorELNS0_4arch9wavefront6targetE0EEEvT1_
	.p2align	8
	.type	_ZN7rocprim17ROCPRIM_400000_NS6detail17trampoline_kernelINS0_14default_configENS1_25partition_config_selectorILNS1_17partition_subalgoE6EN6thrust23THRUST_200600_302600_NS5tupleIssNS7_9null_typeES9_S9_S9_S9_S9_S9_S9_EENS0_10empty_typeEbEEZZNS1_14partition_implILS5_6ELb0ES3_mNS7_12zip_iteratorINS8_INS7_6detail15normal_iteratorINS7_10device_ptrIsEEEESJ_S9_S9_S9_S9_S9_S9_S9_S9_EEEEPSB_SM_NS0_5tupleIJNSE_INS8_ISJ_NS7_16discard_iteratorINS7_11use_defaultEEES9_S9_S9_S9_S9_S9_S9_S9_EEEESB_EEENSN_IJSM_SM_EEESB_PlJNSF_9not_fun_tINSF_14equal_to_valueISA_EEEEEEE10hipError_tPvRmT3_T4_T5_T6_T7_T9_mT8_P12ihipStream_tbDpT10_ENKUlT_T0_E_clISt17integral_constantIbLb0EES1J_EEDaS1E_S1F_EUlS1E_E_NS1_11comp_targetILNS1_3genE5ELNS1_11target_archE942ELNS1_3gpuE9ELNS1_3repE0EEENS1_30default_config_static_selectorELNS0_4arch9wavefront6targetE0EEEvT1_,@function
_ZN7rocprim17ROCPRIM_400000_NS6detail17trampoline_kernelINS0_14default_configENS1_25partition_config_selectorILNS1_17partition_subalgoE6EN6thrust23THRUST_200600_302600_NS5tupleIssNS7_9null_typeES9_S9_S9_S9_S9_S9_S9_EENS0_10empty_typeEbEEZZNS1_14partition_implILS5_6ELb0ES3_mNS7_12zip_iteratorINS8_INS7_6detail15normal_iteratorINS7_10device_ptrIsEEEESJ_S9_S9_S9_S9_S9_S9_S9_S9_EEEEPSB_SM_NS0_5tupleIJNSE_INS8_ISJ_NS7_16discard_iteratorINS7_11use_defaultEEES9_S9_S9_S9_S9_S9_S9_S9_EEEESB_EEENSN_IJSM_SM_EEESB_PlJNSF_9not_fun_tINSF_14equal_to_valueISA_EEEEEEE10hipError_tPvRmT3_T4_T5_T6_T7_T9_mT8_P12ihipStream_tbDpT10_ENKUlT_T0_E_clISt17integral_constantIbLb0EES1J_EEDaS1E_S1F_EUlS1E_E_NS1_11comp_targetILNS1_3genE5ELNS1_11target_archE942ELNS1_3gpuE9ELNS1_3repE0EEENS1_30default_config_static_selectorELNS0_4arch9wavefront6targetE0EEEvT1_: ; @_ZN7rocprim17ROCPRIM_400000_NS6detail17trampoline_kernelINS0_14default_configENS1_25partition_config_selectorILNS1_17partition_subalgoE6EN6thrust23THRUST_200600_302600_NS5tupleIssNS7_9null_typeES9_S9_S9_S9_S9_S9_S9_EENS0_10empty_typeEbEEZZNS1_14partition_implILS5_6ELb0ES3_mNS7_12zip_iteratorINS8_INS7_6detail15normal_iteratorINS7_10device_ptrIsEEEESJ_S9_S9_S9_S9_S9_S9_S9_S9_EEEEPSB_SM_NS0_5tupleIJNSE_INS8_ISJ_NS7_16discard_iteratorINS7_11use_defaultEEES9_S9_S9_S9_S9_S9_S9_S9_EEEESB_EEENSN_IJSM_SM_EEESB_PlJNSF_9not_fun_tINSF_14equal_to_valueISA_EEEEEEE10hipError_tPvRmT3_T4_T5_T6_T7_T9_mT8_P12ihipStream_tbDpT10_ENKUlT_T0_E_clISt17integral_constantIbLb0EES1J_EEDaS1E_S1F_EUlS1E_E_NS1_11comp_targetILNS1_3genE5ELNS1_11target_archE942ELNS1_3gpuE9ELNS1_3repE0EEENS1_30default_config_static_selectorELNS0_4arch9wavefront6targetE0EEEvT1_
; %bb.0:
	.section	.rodata,"a",@progbits
	.p2align	6, 0x0
	.amdhsa_kernel _ZN7rocprim17ROCPRIM_400000_NS6detail17trampoline_kernelINS0_14default_configENS1_25partition_config_selectorILNS1_17partition_subalgoE6EN6thrust23THRUST_200600_302600_NS5tupleIssNS7_9null_typeES9_S9_S9_S9_S9_S9_S9_EENS0_10empty_typeEbEEZZNS1_14partition_implILS5_6ELb0ES3_mNS7_12zip_iteratorINS8_INS7_6detail15normal_iteratorINS7_10device_ptrIsEEEESJ_S9_S9_S9_S9_S9_S9_S9_S9_EEEEPSB_SM_NS0_5tupleIJNSE_INS8_ISJ_NS7_16discard_iteratorINS7_11use_defaultEEES9_S9_S9_S9_S9_S9_S9_S9_EEEESB_EEENSN_IJSM_SM_EEESB_PlJNSF_9not_fun_tINSF_14equal_to_valueISA_EEEEEEE10hipError_tPvRmT3_T4_T5_T6_T7_T9_mT8_P12ihipStream_tbDpT10_ENKUlT_T0_E_clISt17integral_constantIbLb0EES1J_EEDaS1E_S1F_EUlS1E_E_NS1_11comp_targetILNS1_3genE5ELNS1_11target_archE942ELNS1_3gpuE9ELNS1_3repE0EEENS1_30default_config_static_selectorELNS0_4arch9wavefront6targetE0EEEvT1_
		.amdhsa_group_segment_fixed_size 0
		.amdhsa_private_segment_fixed_size 0
		.amdhsa_kernarg_size 144
		.amdhsa_user_sgpr_count 2
		.amdhsa_user_sgpr_dispatch_ptr 0
		.amdhsa_user_sgpr_queue_ptr 0
		.amdhsa_user_sgpr_kernarg_segment_ptr 1
		.amdhsa_user_sgpr_dispatch_id 0
		.amdhsa_user_sgpr_private_segment_size 0
		.amdhsa_wavefront_size32 1
		.amdhsa_uses_dynamic_stack 0
		.amdhsa_enable_private_segment 0
		.amdhsa_system_sgpr_workgroup_id_x 1
		.amdhsa_system_sgpr_workgroup_id_y 0
		.amdhsa_system_sgpr_workgroup_id_z 0
		.amdhsa_system_sgpr_workgroup_info 0
		.amdhsa_system_vgpr_workitem_id 0
		.amdhsa_next_free_vgpr 1
		.amdhsa_next_free_sgpr 1
		.amdhsa_reserve_vcc 0
		.amdhsa_float_round_mode_32 0
		.amdhsa_float_round_mode_16_64 0
		.amdhsa_float_denorm_mode_32 3
		.amdhsa_float_denorm_mode_16_64 3
		.amdhsa_fp16_overflow 0
		.amdhsa_workgroup_processor_mode 1
		.amdhsa_memory_ordered 1
		.amdhsa_forward_progress 1
		.amdhsa_inst_pref_size 0
		.amdhsa_round_robin_scheduling 0
		.amdhsa_exception_fp_ieee_invalid_op 0
		.amdhsa_exception_fp_denorm_src 0
		.amdhsa_exception_fp_ieee_div_zero 0
		.amdhsa_exception_fp_ieee_overflow 0
		.amdhsa_exception_fp_ieee_underflow 0
		.amdhsa_exception_fp_ieee_inexact 0
		.amdhsa_exception_int_div_zero 0
	.end_amdhsa_kernel
	.section	.text._ZN7rocprim17ROCPRIM_400000_NS6detail17trampoline_kernelINS0_14default_configENS1_25partition_config_selectorILNS1_17partition_subalgoE6EN6thrust23THRUST_200600_302600_NS5tupleIssNS7_9null_typeES9_S9_S9_S9_S9_S9_S9_EENS0_10empty_typeEbEEZZNS1_14partition_implILS5_6ELb0ES3_mNS7_12zip_iteratorINS8_INS7_6detail15normal_iteratorINS7_10device_ptrIsEEEESJ_S9_S9_S9_S9_S9_S9_S9_S9_EEEEPSB_SM_NS0_5tupleIJNSE_INS8_ISJ_NS7_16discard_iteratorINS7_11use_defaultEEES9_S9_S9_S9_S9_S9_S9_S9_EEEESB_EEENSN_IJSM_SM_EEESB_PlJNSF_9not_fun_tINSF_14equal_to_valueISA_EEEEEEE10hipError_tPvRmT3_T4_T5_T6_T7_T9_mT8_P12ihipStream_tbDpT10_ENKUlT_T0_E_clISt17integral_constantIbLb0EES1J_EEDaS1E_S1F_EUlS1E_E_NS1_11comp_targetILNS1_3genE5ELNS1_11target_archE942ELNS1_3gpuE9ELNS1_3repE0EEENS1_30default_config_static_selectorELNS0_4arch9wavefront6targetE0EEEvT1_,"axG",@progbits,_ZN7rocprim17ROCPRIM_400000_NS6detail17trampoline_kernelINS0_14default_configENS1_25partition_config_selectorILNS1_17partition_subalgoE6EN6thrust23THRUST_200600_302600_NS5tupleIssNS7_9null_typeES9_S9_S9_S9_S9_S9_S9_EENS0_10empty_typeEbEEZZNS1_14partition_implILS5_6ELb0ES3_mNS7_12zip_iteratorINS8_INS7_6detail15normal_iteratorINS7_10device_ptrIsEEEESJ_S9_S9_S9_S9_S9_S9_S9_S9_EEEEPSB_SM_NS0_5tupleIJNSE_INS8_ISJ_NS7_16discard_iteratorINS7_11use_defaultEEES9_S9_S9_S9_S9_S9_S9_S9_EEEESB_EEENSN_IJSM_SM_EEESB_PlJNSF_9not_fun_tINSF_14equal_to_valueISA_EEEEEEE10hipError_tPvRmT3_T4_T5_T6_T7_T9_mT8_P12ihipStream_tbDpT10_ENKUlT_T0_E_clISt17integral_constantIbLb0EES1J_EEDaS1E_S1F_EUlS1E_E_NS1_11comp_targetILNS1_3genE5ELNS1_11target_archE942ELNS1_3gpuE9ELNS1_3repE0EEENS1_30default_config_static_selectorELNS0_4arch9wavefront6targetE0EEEvT1_,comdat
.Lfunc_end2046:
	.size	_ZN7rocprim17ROCPRIM_400000_NS6detail17trampoline_kernelINS0_14default_configENS1_25partition_config_selectorILNS1_17partition_subalgoE6EN6thrust23THRUST_200600_302600_NS5tupleIssNS7_9null_typeES9_S9_S9_S9_S9_S9_S9_EENS0_10empty_typeEbEEZZNS1_14partition_implILS5_6ELb0ES3_mNS7_12zip_iteratorINS8_INS7_6detail15normal_iteratorINS7_10device_ptrIsEEEESJ_S9_S9_S9_S9_S9_S9_S9_S9_EEEEPSB_SM_NS0_5tupleIJNSE_INS8_ISJ_NS7_16discard_iteratorINS7_11use_defaultEEES9_S9_S9_S9_S9_S9_S9_S9_EEEESB_EEENSN_IJSM_SM_EEESB_PlJNSF_9not_fun_tINSF_14equal_to_valueISA_EEEEEEE10hipError_tPvRmT3_T4_T5_T6_T7_T9_mT8_P12ihipStream_tbDpT10_ENKUlT_T0_E_clISt17integral_constantIbLb0EES1J_EEDaS1E_S1F_EUlS1E_E_NS1_11comp_targetILNS1_3genE5ELNS1_11target_archE942ELNS1_3gpuE9ELNS1_3repE0EEENS1_30default_config_static_selectorELNS0_4arch9wavefront6targetE0EEEvT1_, .Lfunc_end2046-_ZN7rocprim17ROCPRIM_400000_NS6detail17trampoline_kernelINS0_14default_configENS1_25partition_config_selectorILNS1_17partition_subalgoE6EN6thrust23THRUST_200600_302600_NS5tupleIssNS7_9null_typeES9_S9_S9_S9_S9_S9_S9_EENS0_10empty_typeEbEEZZNS1_14partition_implILS5_6ELb0ES3_mNS7_12zip_iteratorINS8_INS7_6detail15normal_iteratorINS7_10device_ptrIsEEEESJ_S9_S9_S9_S9_S9_S9_S9_S9_EEEEPSB_SM_NS0_5tupleIJNSE_INS8_ISJ_NS7_16discard_iteratorINS7_11use_defaultEEES9_S9_S9_S9_S9_S9_S9_S9_EEEESB_EEENSN_IJSM_SM_EEESB_PlJNSF_9not_fun_tINSF_14equal_to_valueISA_EEEEEEE10hipError_tPvRmT3_T4_T5_T6_T7_T9_mT8_P12ihipStream_tbDpT10_ENKUlT_T0_E_clISt17integral_constantIbLb0EES1J_EEDaS1E_S1F_EUlS1E_E_NS1_11comp_targetILNS1_3genE5ELNS1_11target_archE942ELNS1_3gpuE9ELNS1_3repE0EEENS1_30default_config_static_selectorELNS0_4arch9wavefront6targetE0EEEvT1_
                                        ; -- End function
	.set _ZN7rocprim17ROCPRIM_400000_NS6detail17trampoline_kernelINS0_14default_configENS1_25partition_config_selectorILNS1_17partition_subalgoE6EN6thrust23THRUST_200600_302600_NS5tupleIssNS7_9null_typeES9_S9_S9_S9_S9_S9_S9_EENS0_10empty_typeEbEEZZNS1_14partition_implILS5_6ELb0ES3_mNS7_12zip_iteratorINS8_INS7_6detail15normal_iteratorINS7_10device_ptrIsEEEESJ_S9_S9_S9_S9_S9_S9_S9_S9_EEEEPSB_SM_NS0_5tupleIJNSE_INS8_ISJ_NS7_16discard_iteratorINS7_11use_defaultEEES9_S9_S9_S9_S9_S9_S9_S9_EEEESB_EEENSN_IJSM_SM_EEESB_PlJNSF_9not_fun_tINSF_14equal_to_valueISA_EEEEEEE10hipError_tPvRmT3_T4_T5_T6_T7_T9_mT8_P12ihipStream_tbDpT10_ENKUlT_T0_E_clISt17integral_constantIbLb0EES1J_EEDaS1E_S1F_EUlS1E_E_NS1_11comp_targetILNS1_3genE5ELNS1_11target_archE942ELNS1_3gpuE9ELNS1_3repE0EEENS1_30default_config_static_selectorELNS0_4arch9wavefront6targetE0EEEvT1_.num_vgpr, 0
	.set _ZN7rocprim17ROCPRIM_400000_NS6detail17trampoline_kernelINS0_14default_configENS1_25partition_config_selectorILNS1_17partition_subalgoE6EN6thrust23THRUST_200600_302600_NS5tupleIssNS7_9null_typeES9_S9_S9_S9_S9_S9_S9_EENS0_10empty_typeEbEEZZNS1_14partition_implILS5_6ELb0ES3_mNS7_12zip_iteratorINS8_INS7_6detail15normal_iteratorINS7_10device_ptrIsEEEESJ_S9_S9_S9_S9_S9_S9_S9_S9_EEEEPSB_SM_NS0_5tupleIJNSE_INS8_ISJ_NS7_16discard_iteratorINS7_11use_defaultEEES9_S9_S9_S9_S9_S9_S9_S9_EEEESB_EEENSN_IJSM_SM_EEESB_PlJNSF_9not_fun_tINSF_14equal_to_valueISA_EEEEEEE10hipError_tPvRmT3_T4_T5_T6_T7_T9_mT8_P12ihipStream_tbDpT10_ENKUlT_T0_E_clISt17integral_constantIbLb0EES1J_EEDaS1E_S1F_EUlS1E_E_NS1_11comp_targetILNS1_3genE5ELNS1_11target_archE942ELNS1_3gpuE9ELNS1_3repE0EEENS1_30default_config_static_selectorELNS0_4arch9wavefront6targetE0EEEvT1_.num_agpr, 0
	.set _ZN7rocprim17ROCPRIM_400000_NS6detail17trampoline_kernelINS0_14default_configENS1_25partition_config_selectorILNS1_17partition_subalgoE6EN6thrust23THRUST_200600_302600_NS5tupleIssNS7_9null_typeES9_S9_S9_S9_S9_S9_S9_EENS0_10empty_typeEbEEZZNS1_14partition_implILS5_6ELb0ES3_mNS7_12zip_iteratorINS8_INS7_6detail15normal_iteratorINS7_10device_ptrIsEEEESJ_S9_S9_S9_S9_S9_S9_S9_S9_EEEEPSB_SM_NS0_5tupleIJNSE_INS8_ISJ_NS7_16discard_iteratorINS7_11use_defaultEEES9_S9_S9_S9_S9_S9_S9_S9_EEEESB_EEENSN_IJSM_SM_EEESB_PlJNSF_9not_fun_tINSF_14equal_to_valueISA_EEEEEEE10hipError_tPvRmT3_T4_T5_T6_T7_T9_mT8_P12ihipStream_tbDpT10_ENKUlT_T0_E_clISt17integral_constantIbLb0EES1J_EEDaS1E_S1F_EUlS1E_E_NS1_11comp_targetILNS1_3genE5ELNS1_11target_archE942ELNS1_3gpuE9ELNS1_3repE0EEENS1_30default_config_static_selectorELNS0_4arch9wavefront6targetE0EEEvT1_.numbered_sgpr, 0
	.set _ZN7rocprim17ROCPRIM_400000_NS6detail17trampoline_kernelINS0_14default_configENS1_25partition_config_selectorILNS1_17partition_subalgoE6EN6thrust23THRUST_200600_302600_NS5tupleIssNS7_9null_typeES9_S9_S9_S9_S9_S9_S9_EENS0_10empty_typeEbEEZZNS1_14partition_implILS5_6ELb0ES3_mNS7_12zip_iteratorINS8_INS7_6detail15normal_iteratorINS7_10device_ptrIsEEEESJ_S9_S9_S9_S9_S9_S9_S9_S9_EEEEPSB_SM_NS0_5tupleIJNSE_INS8_ISJ_NS7_16discard_iteratorINS7_11use_defaultEEES9_S9_S9_S9_S9_S9_S9_S9_EEEESB_EEENSN_IJSM_SM_EEESB_PlJNSF_9not_fun_tINSF_14equal_to_valueISA_EEEEEEE10hipError_tPvRmT3_T4_T5_T6_T7_T9_mT8_P12ihipStream_tbDpT10_ENKUlT_T0_E_clISt17integral_constantIbLb0EES1J_EEDaS1E_S1F_EUlS1E_E_NS1_11comp_targetILNS1_3genE5ELNS1_11target_archE942ELNS1_3gpuE9ELNS1_3repE0EEENS1_30default_config_static_selectorELNS0_4arch9wavefront6targetE0EEEvT1_.num_named_barrier, 0
	.set _ZN7rocprim17ROCPRIM_400000_NS6detail17trampoline_kernelINS0_14default_configENS1_25partition_config_selectorILNS1_17partition_subalgoE6EN6thrust23THRUST_200600_302600_NS5tupleIssNS7_9null_typeES9_S9_S9_S9_S9_S9_S9_EENS0_10empty_typeEbEEZZNS1_14partition_implILS5_6ELb0ES3_mNS7_12zip_iteratorINS8_INS7_6detail15normal_iteratorINS7_10device_ptrIsEEEESJ_S9_S9_S9_S9_S9_S9_S9_S9_EEEEPSB_SM_NS0_5tupleIJNSE_INS8_ISJ_NS7_16discard_iteratorINS7_11use_defaultEEES9_S9_S9_S9_S9_S9_S9_S9_EEEESB_EEENSN_IJSM_SM_EEESB_PlJNSF_9not_fun_tINSF_14equal_to_valueISA_EEEEEEE10hipError_tPvRmT3_T4_T5_T6_T7_T9_mT8_P12ihipStream_tbDpT10_ENKUlT_T0_E_clISt17integral_constantIbLb0EES1J_EEDaS1E_S1F_EUlS1E_E_NS1_11comp_targetILNS1_3genE5ELNS1_11target_archE942ELNS1_3gpuE9ELNS1_3repE0EEENS1_30default_config_static_selectorELNS0_4arch9wavefront6targetE0EEEvT1_.private_seg_size, 0
	.set _ZN7rocprim17ROCPRIM_400000_NS6detail17trampoline_kernelINS0_14default_configENS1_25partition_config_selectorILNS1_17partition_subalgoE6EN6thrust23THRUST_200600_302600_NS5tupleIssNS7_9null_typeES9_S9_S9_S9_S9_S9_S9_EENS0_10empty_typeEbEEZZNS1_14partition_implILS5_6ELb0ES3_mNS7_12zip_iteratorINS8_INS7_6detail15normal_iteratorINS7_10device_ptrIsEEEESJ_S9_S9_S9_S9_S9_S9_S9_S9_EEEEPSB_SM_NS0_5tupleIJNSE_INS8_ISJ_NS7_16discard_iteratorINS7_11use_defaultEEES9_S9_S9_S9_S9_S9_S9_S9_EEEESB_EEENSN_IJSM_SM_EEESB_PlJNSF_9not_fun_tINSF_14equal_to_valueISA_EEEEEEE10hipError_tPvRmT3_T4_T5_T6_T7_T9_mT8_P12ihipStream_tbDpT10_ENKUlT_T0_E_clISt17integral_constantIbLb0EES1J_EEDaS1E_S1F_EUlS1E_E_NS1_11comp_targetILNS1_3genE5ELNS1_11target_archE942ELNS1_3gpuE9ELNS1_3repE0EEENS1_30default_config_static_selectorELNS0_4arch9wavefront6targetE0EEEvT1_.uses_vcc, 0
	.set _ZN7rocprim17ROCPRIM_400000_NS6detail17trampoline_kernelINS0_14default_configENS1_25partition_config_selectorILNS1_17partition_subalgoE6EN6thrust23THRUST_200600_302600_NS5tupleIssNS7_9null_typeES9_S9_S9_S9_S9_S9_S9_EENS0_10empty_typeEbEEZZNS1_14partition_implILS5_6ELb0ES3_mNS7_12zip_iteratorINS8_INS7_6detail15normal_iteratorINS7_10device_ptrIsEEEESJ_S9_S9_S9_S9_S9_S9_S9_S9_EEEEPSB_SM_NS0_5tupleIJNSE_INS8_ISJ_NS7_16discard_iteratorINS7_11use_defaultEEES9_S9_S9_S9_S9_S9_S9_S9_EEEESB_EEENSN_IJSM_SM_EEESB_PlJNSF_9not_fun_tINSF_14equal_to_valueISA_EEEEEEE10hipError_tPvRmT3_T4_T5_T6_T7_T9_mT8_P12ihipStream_tbDpT10_ENKUlT_T0_E_clISt17integral_constantIbLb0EES1J_EEDaS1E_S1F_EUlS1E_E_NS1_11comp_targetILNS1_3genE5ELNS1_11target_archE942ELNS1_3gpuE9ELNS1_3repE0EEENS1_30default_config_static_selectorELNS0_4arch9wavefront6targetE0EEEvT1_.uses_flat_scratch, 0
	.set _ZN7rocprim17ROCPRIM_400000_NS6detail17trampoline_kernelINS0_14default_configENS1_25partition_config_selectorILNS1_17partition_subalgoE6EN6thrust23THRUST_200600_302600_NS5tupleIssNS7_9null_typeES9_S9_S9_S9_S9_S9_S9_EENS0_10empty_typeEbEEZZNS1_14partition_implILS5_6ELb0ES3_mNS7_12zip_iteratorINS8_INS7_6detail15normal_iteratorINS7_10device_ptrIsEEEESJ_S9_S9_S9_S9_S9_S9_S9_S9_EEEEPSB_SM_NS0_5tupleIJNSE_INS8_ISJ_NS7_16discard_iteratorINS7_11use_defaultEEES9_S9_S9_S9_S9_S9_S9_S9_EEEESB_EEENSN_IJSM_SM_EEESB_PlJNSF_9not_fun_tINSF_14equal_to_valueISA_EEEEEEE10hipError_tPvRmT3_T4_T5_T6_T7_T9_mT8_P12ihipStream_tbDpT10_ENKUlT_T0_E_clISt17integral_constantIbLb0EES1J_EEDaS1E_S1F_EUlS1E_E_NS1_11comp_targetILNS1_3genE5ELNS1_11target_archE942ELNS1_3gpuE9ELNS1_3repE0EEENS1_30default_config_static_selectorELNS0_4arch9wavefront6targetE0EEEvT1_.has_dyn_sized_stack, 0
	.set _ZN7rocprim17ROCPRIM_400000_NS6detail17trampoline_kernelINS0_14default_configENS1_25partition_config_selectorILNS1_17partition_subalgoE6EN6thrust23THRUST_200600_302600_NS5tupleIssNS7_9null_typeES9_S9_S9_S9_S9_S9_S9_EENS0_10empty_typeEbEEZZNS1_14partition_implILS5_6ELb0ES3_mNS7_12zip_iteratorINS8_INS7_6detail15normal_iteratorINS7_10device_ptrIsEEEESJ_S9_S9_S9_S9_S9_S9_S9_S9_EEEEPSB_SM_NS0_5tupleIJNSE_INS8_ISJ_NS7_16discard_iteratorINS7_11use_defaultEEES9_S9_S9_S9_S9_S9_S9_S9_EEEESB_EEENSN_IJSM_SM_EEESB_PlJNSF_9not_fun_tINSF_14equal_to_valueISA_EEEEEEE10hipError_tPvRmT3_T4_T5_T6_T7_T9_mT8_P12ihipStream_tbDpT10_ENKUlT_T0_E_clISt17integral_constantIbLb0EES1J_EEDaS1E_S1F_EUlS1E_E_NS1_11comp_targetILNS1_3genE5ELNS1_11target_archE942ELNS1_3gpuE9ELNS1_3repE0EEENS1_30default_config_static_selectorELNS0_4arch9wavefront6targetE0EEEvT1_.has_recursion, 0
	.set _ZN7rocprim17ROCPRIM_400000_NS6detail17trampoline_kernelINS0_14default_configENS1_25partition_config_selectorILNS1_17partition_subalgoE6EN6thrust23THRUST_200600_302600_NS5tupleIssNS7_9null_typeES9_S9_S9_S9_S9_S9_S9_EENS0_10empty_typeEbEEZZNS1_14partition_implILS5_6ELb0ES3_mNS7_12zip_iteratorINS8_INS7_6detail15normal_iteratorINS7_10device_ptrIsEEEESJ_S9_S9_S9_S9_S9_S9_S9_S9_EEEEPSB_SM_NS0_5tupleIJNSE_INS8_ISJ_NS7_16discard_iteratorINS7_11use_defaultEEES9_S9_S9_S9_S9_S9_S9_S9_EEEESB_EEENSN_IJSM_SM_EEESB_PlJNSF_9not_fun_tINSF_14equal_to_valueISA_EEEEEEE10hipError_tPvRmT3_T4_T5_T6_T7_T9_mT8_P12ihipStream_tbDpT10_ENKUlT_T0_E_clISt17integral_constantIbLb0EES1J_EEDaS1E_S1F_EUlS1E_E_NS1_11comp_targetILNS1_3genE5ELNS1_11target_archE942ELNS1_3gpuE9ELNS1_3repE0EEENS1_30default_config_static_selectorELNS0_4arch9wavefront6targetE0EEEvT1_.has_indirect_call, 0
	.section	.AMDGPU.csdata,"",@progbits
; Kernel info:
; codeLenInByte = 0
; TotalNumSgprs: 0
; NumVgprs: 0
; ScratchSize: 0
; MemoryBound: 0
; FloatMode: 240
; IeeeMode: 1
; LDSByteSize: 0 bytes/workgroup (compile time only)
; SGPRBlocks: 0
; VGPRBlocks: 0
; NumSGPRsForWavesPerEU: 1
; NumVGPRsForWavesPerEU: 1
; Occupancy: 16
; WaveLimiterHint : 0
; COMPUTE_PGM_RSRC2:SCRATCH_EN: 0
; COMPUTE_PGM_RSRC2:USER_SGPR: 2
; COMPUTE_PGM_RSRC2:TRAP_HANDLER: 0
; COMPUTE_PGM_RSRC2:TGID_X_EN: 1
; COMPUTE_PGM_RSRC2:TGID_Y_EN: 0
; COMPUTE_PGM_RSRC2:TGID_Z_EN: 0
; COMPUTE_PGM_RSRC2:TIDIG_COMP_CNT: 0
	.section	.text._ZN7rocprim17ROCPRIM_400000_NS6detail17trampoline_kernelINS0_14default_configENS1_25partition_config_selectorILNS1_17partition_subalgoE6EN6thrust23THRUST_200600_302600_NS5tupleIssNS7_9null_typeES9_S9_S9_S9_S9_S9_S9_EENS0_10empty_typeEbEEZZNS1_14partition_implILS5_6ELb0ES3_mNS7_12zip_iteratorINS8_INS7_6detail15normal_iteratorINS7_10device_ptrIsEEEESJ_S9_S9_S9_S9_S9_S9_S9_S9_EEEEPSB_SM_NS0_5tupleIJNSE_INS8_ISJ_NS7_16discard_iteratorINS7_11use_defaultEEES9_S9_S9_S9_S9_S9_S9_S9_EEEESB_EEENSN_IJSM_SM_EEESB_PlJNSF_9not_fun_tINSF_14equal_to_valueISA_EEEEEEE10hipError_tPvRmT3_T4_T5_T6_T7_T9_mT8_P12ihipStream_tbDpT10_ENKUlT_T0_E_clISt17integral_constantIbLb0EES1J_EEDaS1E_S1F_EUlS1E_E_NS1_11comp_targetILNS1_3genE4ELNS1_11target_archE910ELNS1_3gpuE8ELNS1_3repE0EEENS1_30default_config_static_selectorELNS0_4arch9wavefront6targetE0EEEvT1_,"axG",@progbits,_ZN7rocprim17ROCPRIM_400000_NS6detail17trampoline_kernelINS0_14default_configENS1_25partition_config_selectorILNS1_17partition_subalgoE6EN6thrust23THRUST_200600_302600_NS5tupleIssNS7_9null_typeES9_S9_S9_S9_S9_S9_S9_EENS0_10empty_typeEbEEZZNS1_14partition_implILS5_6ELb0ES3_mNS7_12zip_iteratorINS8_INS7_6detail15normal_iteratorINS7_10device_ptrIsEEEESJ_S9_S9_S9_S9_S9_S9_S9_S9_EEEEPSB_SM_NS0_5tupleIJNSE_INS8_ISJ_NS7_16discard_iteratorINS7_11use_defaultEEES9_S9_S9_S9_S9_S9_S9_S9_EEEESB_EEENSN_IJSM_SM_EEESB_PlJNSF_9not_fun_tINSF_14equal_to_valueISA_EEEEEEE10hipError_tPvRmT3_T4_T5_T6_T7_T9_mT8_P12ihipStream_tbDpT10_ENKUlT_T0_E_clISt17integral_constantIbLb0EES1J_EEDaS1E_S1F_EUlS1E_E_NS1_11comp_targetILNS1_3genE4ELNS1_11target_archE910ELNS1_3gpuE8ELNS1_3repE0EEENS1_30default_config_static_selectorELNS0_4arch9wavefront6targetE0EEEvT1_,comdat
	.protected	_ZN7rocprim17ROCPRIM_400000_NS6detail17trampoline_kernelINS0_14default_configENS1_25partition_config_selectorILNS1_17partition_subalgoE6EN6thrust23THRUST_200600_302600_NS5tupleIssNS7_9null_typeES9_S9_S9_S9_S9_S9_S9_EENS0_10empty_typeEbEEZZNS1_14partition_implILS5_6ELb0ES3_mNS7_12zip_iteratorINS8_INS7_6detail15normal_iteratorINS7_10device_ptrIsEEEESJ_S9_S9_S9_S9_S9_S9_S9_S9_EEEEPSB_SM_NS0_5tupleIJNSE_INS8_ISJ_NS7_16discard_iteratorINS7_11use_defaultEEES9_S9_S9_S9_S9_S9_S9_S9_EEEESB_EEENSN_IJSM_SM_EEESB_PlJNSF_9not_fun_tINSF_14equal_to_valueISA_EEEEEEE10hipError_tPvRmT3_T4_T5_T6_T7_T9_mT8_P12ihipStream_tbDpT10_ENKUlT_T0_E_clISt17integral_constantIbLb0EES1J_EEDaS1E_S1F_EUlS1E_E_NS1_11comp_targetILNS1_3genE4ELNS1_11target_archE910ELNS1_3gpuE8ELNS1_3repE0EEENS1_30default_config_static_selectorELNS0_4arch9wavefront6targetE0EEEvT1_ ; -- Begin function _ZN7rocprim17ROCPRIM_400000_NS6detail17trampoline_kernelINS0_14default_configENS1_25partition_config_selectorILNS1_17partition_subalgoE6EN6thrust23THRUST_200600_302600_NS5tupleIssNS7_9null_typeES9_S9_S9_S9_S9_S9_S9_EENS0_10empty_typeEbEEZZNS1_14partition_implILS5_6ELb0ES3_mNS7_12zip_iteratorINS8_INS7_6detail15normal_iteratorINS7_10device_ptrIsEEEESJ_S9_S9_S9_S9_S9_S9_S9_S9_EEEEPSB_SM_NS0_5tupleIJNSE_INS8_ISJ_NS7_16discard_iteratorINS7_11use_defaultEEES9_S9_S9_S9_S9_S9_S9_S9_EEEESB_EEENSN_IJSM_SM_EEESB_PlJNSF_9not_fun_tINSF_14equal_to_valueISA_EEEEEEE10hipError_tPvRmT3_T4_T5_T6_T7_T9_mT8_P12ihipStream_tbDpT10_ENKUlT_T0_E_clISt17integral_constantIbLb0EES1J_EEDaS1E_S1F_EUlS1E_E_NS1_11comp_targetILNS1_3genE4ELNS1_11target_archE910ELNS1_3gpuE8ELNS1_3repE0EEENS1_30default_config_static_selectorELNS0_4arch9wavefront6targetE0EEEvT1_
	.globl	_ZN7rocprim17ROCPRIM_400000_NS6detail17trampoline_kernelINS0_14default_configENS1_25partition_config_selectorILNS1_17partition_subalgoE6EN6thrust23THRUST_200600_302600_NS5tupleIssNS7_9null_typeES9_S9_S9_S9_S9_S9_S9_EENS0_10empty_typeEbEEZZNS1_14partition_implILS5_6ELb0ES3_mNS7_12zip_iteratorINS8_INS7_6detail15normal_iteratorINS7_10device_ptrIsEEEESJ_S9_S9_S9_S9_S9_S9_S9_S9_EEEEPSB_SM_NS0_5tupleIJNSE_INS8_ISJ_NS7_16discard_iteratorINS7_11use_defaultEEES9_S9_S9_S9_S9_S9_S9_S9_EEEESB_EEENSN_IJSM_SM_EEESB_PlJNSF_9not_fun_tINSF_14equal_to_valueISA_EEEEEEE10hipError_tPvRmT3_T4_T5_T6_T7_T9_mT8_P12ihipStream_tbDpT10_ENKUlT_T0_E_clISt17integral_constantIbLb0EES1J_EEDaS1E_S1F_EUlS1E_E_NS1_11comp_targetILNS1_3genE4ELNS1_11target_archE910ELNS1_3gpuE8ELNS1_3repE0EEENS1_30default_config_static_selectorELNS0_4arch9wavefront6targetE0EEEvT1_
	.p2align	8
	.type	_ZN7rocprim17ROCPRIM_400000_NS6detail17trampoline_kernelINS0_14default_configENS1_25partition_config_selectorILNS1_17partition_subalgoE6EN6thrust23THRUST_200600_302600_NS5tupleIssNS7_9null_typeES9_S9_S9_S9_S9_S9_S9_EENS0_10empty_typeEbEEZZNS1_14partition_implILS5_6ELb0ES3_mNS7_12zip_iteratorINS8_INS7_6detail15normal_iteratorINS7_10device_ptrIsEEEESJ_S9_S9_S9_S9_S9_S9_S9_S9_EEEEPSB_SM_NS0_5tupleIJNSE_INS8_ISJ_NS7_16discard_iteratorINS7_11use_defaultEEES9_S9_S9_S9_S9_S9_S9_S9_EEEESB_EEENSN_IJSM_SM_EEESB_PlJNSF_9not_fun_tINSF_14equal_to_valueISA_EEEEEEE10hipError_tPvRmT3_T4_T5_T6_T7_T9_mT8_P12ihipStream_tbDpT10_ENKUlT_T0_E_clISt17integral_constantIbLb0EES1J_EEDaS1E_S1F_EUlS1E_E_NS1_11comp_targetILNS1_3genE4ELNS1_11target_archE910ELNS1_3gpuE8ELNS1_3repE0EEENS1_30default_config_static_selectorELNS0_4arch9wavefront6targetE0EEEvT1_,@function
_ZN7rocprim17ROCPRIM_400000_NS6detail17trampoline_kernelINS0_14default_configENS1_25partition_config_selectorILNS1_17partition_subalgoE6EN6thrust23THRUST_200600_302600_NS5tupleIssNS7_9null_typeES9_S9_S9_S9_S9_S9_S9_EENS0_10empty_typeEbEEZZNS1_14partition_implILS5_6ELb0ES3_mNS7_12zip_iteratorINS8_INS7_6detail15normal_iteratorINS7_10device_ptrIsEEEESJ_S9_S9_S9_S9_S9_S9_S9_S9_EEEEPSB_SM_NS0_5tupleIJNSE_INS8_ISJ_NS7_16discard_iteratorINS7_11use_defaultEEES9_S9_S9_S9_S9_S9_S9_S9_EEEESB_EEENSN_IJSM_SM_EEESB_PlJNSF_9not_fun_tINSF_14equal_to_valueISA_EEEEEEE10hipError_tPvRmT3_T4_T5_T6_T7_T9_mT8_P12ihipStream_tbDpT10_ENKUlT_T0_E_clISt17integral_constantIbLb0EES1J_EEDaS1E_S1F_EUlS1E_E_NS1_11comp_targetILNS1_3genE4ELNS1_11target_archE910ELNS1_3gpuE8ELNS1_3repE0EEENS1_30default_config_static_selectorELNS0_4arch9wavefront6targetE0EEEvT1_: ; @_ZN7rocprim17ROCPRIM_400000_NS6detail17trampoline_kernelINS0_14default_configENS1_25partition_config_selectorILNS1_17partition_subalgoE6EN6thrust23THRUST_200600_302600_NS5tupleIssNS7_9null_typeES9_S9_S9_S9_S9_S9_S9_EENS0_10empty_typeEbEEZZNS1_14partition_implILS5_6ELb0ES3_mNS7_12zip_iteratorINS8_INS7_6detail15normal_iteratorINS7_10device_ptrIsEEEESJ_S9_S9_S9_S9_S9_S9_S9_S9_EEEEPSB_SM_NS0_5tupleIJNSE_INS8_ISJ_NS7_16discard_iteratorINS7_11use_defaultEEES9_S9_S9_S9_S9_S9_S9_S9_EEEESB_EEENSN_IJSM_SM_EEESB_PlJNSF_9not_fun_tINSF_14equal_to_valueISA_EEEEEEE10hipError_tPvRmT3_T4_T5_T6_T7_T9_mT8_P12ihipStream_tbDpT10_ENKUlT_T0_E_clISt17integral_constantIbLb0EES1J_EEDaS1E_S1F_EUlS1E_E_NS1_11comp_targetILNS1_3genE4ELNS1_11target_archE910ELNS1_3gpuE8ELNS1_3repE0EEENS1_30default_config_static_selectorELNS0_4arch9wavefront6targetE0EEEvT1_
; %bb.0:
	.section	.rodata,"a",@progbits
	.p2align	6, 0x0
	.amdhsa_kernel _ZN7rocprim17ROCPRIM_400000_NS6detail17trampoline_kernelINS0_14default_configENS1_25partition_config_selectorILNS1_17partition_subalgoE6EN6thrust23THRUST_200600_302600_NS5tupleIssNS7_9null_typeES9_S9_S9_S9_S9_S9_S9_EENS0_10empty_typeEbEEZZNS1_14partition_implILS5_6ELb0ES3_mNS7_12zip_iteratorINS8_INS7_6detail15normal_iteratorINS7_10device_ptrIsEEEESJ_S9_S9_S9_S9_S9_S9_S9_S9_EEEEPSB_SM_NS0_5tupleIJNSE_INS8_ISJ_NS7_16discard_iteratorINS7_11use_defaultEEES9_S9_S9_S9_S9_S9_S9_S9_EEEESB_EEENSN_IJSM_SM_EEESB_PlJNSF_9not_fun_tINSF_14equal_to_valueISA_EEEEEEE10hipError_tPvRmT3_T4_T5_T6_T7_T9_mT8_P12ihipStream_tbDpT10_ENKUlT_T0_E_clISt17integral_constantIbLb0EES1J_EEDaS1E_S1F_EUlS1E_E_NS1_11comp_targetILNS1_3genE4ELNS1_11target_archE910ELNS1_3gpuE8ELNS1_3repE0EEENS1_30default_config_static_selectorELNS0_4arch9wavefront6targetE0EEEvT1_
		.amdhsa_group_segment_fixed_size 0
		.amdhsa_private_segment_fixed_size 0
		.amdhsa_kernarg_size 144
		.amdhsa_user_sgpr_count 2
		.amdhsa_user_sgpr_dispatch_ptr 0
		.amdhsa_user_sgpr_queue_ptr 0
		.amdhsa_user_sgpr_kernarg_segment_ptr 1
		.amdhsa_user_sgpr_dispatch_id 0
		.amdhsa_user_sgpr_private_segment_size 0
		.amdhsa_wavefront_size32 1
		.amdhsa_uses_dynamic_stack 0
		.amdhsa_enable_private_segment 0
		.amdhsa_system_sgpr_workgroup_id_x 1
		.amdhsa_system_sgpr_workgroup_id_y 0
		.amdhsa_system_sgpr_workgroup_id_z 0
		.amdhsa_system_sgpr_workgroup_info 0
		.amdhsa_system_vgpr_workitem_id 0
		.amdhsa_next_free_vgpr 1
		.amdhsa_next_free_sgpr 1
		.amdhsa_reserve_vcc 0
		.amdhsa_float_round_mode_32 0
		.amdhsa_float_round_mode_16_64 0
		.amdhsa_float_denorm_mode_32 3
		.amdhsa_float_denorm_mode_16_64 3
		.amdhsa_fp16_overflow 0
		.amdhsa_workgroup_processor_mode 1
		.amdhsa_memory_ordered 1
		.amdhsa_forward_progress 1
		.amdhsa_inst_pref_size 0
		.amdhsa_round_robin_scheduling 0
		.amdhsa_exception_fp_ieee_invalid_op 0
		.amdhsa_exception_fp_denorm_src 0
		.amdhsa_exception_fp_ieee_div_zero 0
		.amdhsa_exception_fp_ieee_overflow 0
		.amdhsa_exception_fp_ieee_underflow 0
		.amdhsa_exception_fp_ieee_inexact 0
		.amdhsa_exception_int_div_zero 0
	.end_amdhsa_kernel
	.section	.text._ZN7rocprim17ROCPRIM_400000_NS6detail17trampoline_kernelINS0_14default_configENS1_25partition_config_selectorILNS1_17partition_subalgoE6EN6thrust23THRUST_200600_302600_NS5tupleIssNS7_9null_typeES9_S9_S9_S9_S9_S9_S9_EENS0_10empty_typeEbEEZZNS1_14partition_implILS5_6ELb0ES3_mNS7_12zip_iteratorINS8_INS7_6detail15normal_iteratorINS7_10device_ptrIsEEEESJ_S9_S9_S9_S9_S9_S9_S9_S9_EEEEPSB_SM_NS0_5tupleIJNSE_INS8_ISJ_NS7_16discard_iteratorINS7_11use_defaultEEES9_S9_S9_S9_S9_S9_S9_S9_EEEESB_EEENSN_IJSM_SM_EEESB_PlJNSF_9not_fun_tINSF_14equal_to_valueISA_EEEEEEE10hipError_tPvRmT3_T4_T5_T6_T7_T9_mT8_P12ihipStream_tbDpT10_ENKUlT_T0_E_clISt17integral_constantIbLb0EES1J_EEDaS1E_S1F_EUlS1E_E_NS1_11comp_targetILNS1_3genE4ELNS1_11target_archE910ELNS1_3gpuE8ELNS1_3repE0EEENS1_30default_config_static_selectorELNS0_4arch9wavefront6targetE0EEEvT1_,"axG",@progbits,_ZN7rocprim17ROCPRIM_400000_NS6detail17trampoline_kernelINS0_14default_configENS1_25partition_config_selectorILNS1_17partition_subalgoE6EN6thrust23THRUST_200600_302600_NS5tupleIssNS7_9null_typeES9_S9_S9_S9_S9_S9_S9_EENS0_10empty_typeEbEEZZNS1_14partition_implILS5_6ELb0ES3_mNS7_12zip_iteratorINS8_INS7_6detail15normal_iteratorINS7_10device_ptrIsEEEESJ_S9_S9_S9_S9_S9_S9_S9_S9_EEEEPSB_SM_NS0_5tupleIJNSE_INS8_ISJ_NS7_16discard_iteratorINS7_11use_defaultEEES9_S9_S9_S9_S9_S9_S9_S9_EEEESB_EEENSN_IJSM_SM_EEESB_PlJNSF_9not_fun_tINSF_14equal_to_valueISA_EEEEEEE10hipError_tPvRmT3_T4_T5_T6_T7_T9_mT8_P12ihipStream_tbDpT10_ENKUlT_T0_E_clISt17integral_constantIbLb0EES1J_EEDaS1E_S1F_EUlS1E_E_NS1_11comp_targetILNS1_3genE4ELNS1_11target_archE910ELNS1_3gpuE8ELNS1_3repE0EEENS1_30default_config_static_selectorELNS0_4arch9wavefront6targetE0EEEvT1_,comdat
.Lfunc_end2047:
	.size	_ZN7rocprim17ROCPRIM_400000_NS6detail17trampoline_kernelINS0_14default_configENS1_25partition_config_selectorILNS1_17partition_subalgoE6EN6thrust23THRUST_200600_302600_NS5tupleIssNS7_9null_typeES9_S9_S9_S9_S9_S9_S9_EENS0_10empty_typeEbEEZZNS1_14partition_implILS5_6ELb0ES3_mNS7_12zip_iteratorINS8_INS7_6detail15normal_iteratorINS7_10device_ptrIsEEEESJ_S9_S9_S9_S9_S9_S9_S9_S9_EEEEPSB_SM_NS0_5tupleIJNSE_INS8_ISJ_NS7_16discard_iteratorINS7_11use_defaultEEES9_S9_S9_S9_S9_S9_S9_S9_EEEESB_EEENSN_IJSM_SM_EEESB_PlJNSF_9not_fun_tINSF_14equal_to_valueISA_EEEEEEE10hipError_tPvRmT3_T4_T5_T6_T7_T9_mT8_P12ihipStream_tbDpT10_ENKUlT_T0_E_clISt17integral_constantIbLb0EES1J_EEDaS1E_S1F_EUlS1E_E_NS1_11comp_targetILNS1_3genE4ELNS1_11target_archE910ELNS1_3gpuE8ELNS1_3repE0EEENS1_30default_config_static_selectorELNS0_4arch9wavefront6targetE0EEEvT1_, .Lfunc_end2047-_ZN7rocprim17ROCPRIM_400000_NS6detail17trampoline_kernelINS0_14default_configENS1_25partition_config_selectorILNS1_17partition_subalgoE6EN6thrust23THRUST_200600_302600_NS5tupleIssNS7_9null_typeES9_S9_S9_S9_S9_S9_S9_EENS0_10empty_typeEbEEZZNS1_14partition_implILS5_6ELb0ES3_mNS7_12zip_iteratorINS8_INS7_6detail15normal_iteratorINS7_10device_ptrIsEEEESJ_S9_S9_S9_S9_S9_S9_S9_S9_EEEEPSB_SM_NS0_5tupleIJNSE_INS8_ISJ_NS7_16discard_iteratorINS7_11use_defaultEEES9_S9_S9_S9_S9_S9_S9_S9_EEEESB_EEENSN_IJSM_SM_EEESB_PlJNSF_9not_fun_tINSF_14equal_to_valueISA_EEEEEEE10hipError_tPvRmT3_T4_T5_T6_T7_T9_mT8_P12ihipStream_tbDpT10_ENKUlT_T0_E_clISt17integral_constantIbLb0EES1J_EEDaS1E_S1F_EUlS1E_E_NS1_11comp_targetILNS1_3genE4ELNS1_11target_archE910ELNS1_3gpuE8ELNS1_3repE0EEENS1_30default_config_static_selectorELNS0_4arch9wavefront6targetE0EEEvT1_
                                        ; -- End function
	.set _ZN7rocprim17ROCPRIM_400000_NS6detail17trampoline_kernelINS0_14default_configENS1_25partition_config_selectorILNS1_17partition_subalgoE6EN6thrust23THRUST_200600_302600_NS5tupleIssNS7_9null_typeES9_S9_S9_S9_S9_S9_S9_EENS0_10empty_typeEbEEZZNS1_14partition_implILS5_6ELb0ES3_mNS7_12zip_iteratorINS8_INS7_6detail15normal_iteratorINS7_10device_ptrIsEEEESJ_S9_S9_S9_S9_S9_S9_S9_S9_EEEEPSB_SM_NS0_5tupleIJNSE_INS8_ISJ_NS7_16discard_iteratorINS7_11use_defaultEEES9_S9_S9_S9_S9_S9_S9_S9_EEEESB_EEENSN_IJSM_SM_EEESB_PlJNSF_9not_fun_tINSF_14equal_to_valueISA_EEEEEEE10hipError_tPvRmT3_T4_T5_T6_T7_T9_mT8_P12ihipStream_tbDpT10_ENKUlT_T0_E_clISt17integral_constantIbLb0EES1J_EEDaS1E_S1F_EUlS1E_E_NS1_11comp_targetILNS1_3genE4ELNS1_11target_archE910ELNS1_3gpuE8ELNS1_3repE0EEENS1_30default_config_static_selectorELNS0_4arch9wavefront6targetE0EEEvT1_.num_vgpr, 0
	.set _ZN7rocprim17ROCPRIM_400000_NS6detail17trampoline_kernelINS0_14default_configENS1_25partition_config_selectorILNS1_17partition_subalgoE6EN6thrust23THRUST_200600_302600_NS5tupleIssNS7_9null_typeES9_S9_S9_S9_S9_S9_S9_EENS0_10empty_typeEbEEZZNS1_14partition_implILS5_6ELb0ES3_mNS7_12zip_iteratorINS8_INS7_6detail15normal_iteratorINS7_10device_ptrIsEEEESJ_S9_S9_S9_S9_S9_S9_S9_S9_EEEEPSB_SM_NS0_5tupleIJNSE_INS8_ISJ_NS7_16discard_iteratorINS7_11use_defaultEEES9_S9_S9_S9_S9_S9_S9_S9_EEEESB_EEENSN_IJSM_SM_EEESB_PlJNSF_9not_fun_tINSF_14equal_to_valueISA_EEEEEEE10hipError_tPvRmT3_T4_T5_T6_T7_T9_mT8_P12ihipStream_tbDpT10_ENKUlT_T0_E_clISt17integral_constantIbLb0EES1J_EEDaS1E_S1F_EUlS1E_E_NS1_11comp_targetILNS1_3genE4ELNS1_11target_archE910ELNS1_3gpuE8ELNS1_3repE0EEENS1_30default_config_static_selectorELNS0_4arch9wavefront6targetE0EEEvT1_.num_agpr, 0
	.set _ZN7rocprim17ROCPRIM_400000_NS6detail17trampoline_kernelINS0_14default_configENS1_25partition_config_selectorILNS1_17partition_subalgoE6EN6thrust23THRUST_200600_302600_NS5tupleIssNS7_9null_typeES9_S9_S9_S9_S9_S9_S9_EENS0_10empty_typeEbEEZZNS1_14partition_implILS5_6ELb0ES3_mNS7_12zip_iteratorINS8_INS7_6detail15normal_iteratorINS7_10device_ptrIsEEEESJ_S9_S9_S9_S9_S9_S9_S9_S9_EEEEPSB_SM_NS0_5tupleIJNSE_INS8_ISJ_NS7_16discard_iteratorINS7_11use_defaultEEES9_S9_S9_S9_S9_S9_S9_S9_EEEESB_EEENSN_IJSM_SM_EEESB_PlJNSF_9not_fun_tINSF_14equal_to_valueISA_EEEEEEE10hipError_tPvRmT3_T4_T5_T6_T7_T9_mT8_P12ihipStream_tbDpT10_ENKUlT_T0_E_clISt17integral_constantIbLb0EES1J_EEDaS1E_S1F_EUlS1E_E_NS1_11comp_targetILNS1_3genE4ELNS1_11target_archE910ELNS1_3gpuE8ELNS1_3repE0EEENS1_30default_config_static_selectorELNS0_4arch9wavefront6targetE0EEEvT1_.numbered_sgpr, 0
	.set _ZN7rocprim17ROCPRIM_400000_NS6detail17trampoline_kernelINS0_14default_configENS1_25partition_config_selectorILNS1_17partition_subalgoE6EN6thrust23THRUST_200600_302600_NS5tupleIssNS7_9null_typeES9_S9_S9_S9_S9_S9_S9_EENS0_10empty_typeEbEEZZNS1_14partition_implILS5_6ELb0ES3_mNS7_12zip_iteratorINS8_INS7_6detail15normal_iteratorINS7_10device_ptrIsEEEESJ_S9_S9_S9_S9_S9_S9_S9_S9_EEEEPSB_SM_NS0_5tupleIJNSE_INS8_ISJ_NS7_16discard_iteratorINS7_11use_defaultEEES9_S9_S9_S9_S9_S9_S9_S9_EEEESB_EEENSN_IJSM_SM_EEESB_PlJNSF_9not_fun_tINSF_14equal_to_valueISA_EEEEEEE10hipError_tPvRmT3_T4_T5_T6_T7_T9_mT8_P12ihipStream_tbDpT10_ENKUlT_T0_E_clISt17integral_constantIbLb0EES1J_EEDaS1E_S1F_EUlS1E_E_NS1_11comp_targetILNS1_3genE4ELNS1_11target_archE910ELNS1_3gpuE8ELNS1_3repE0EEENS1_30default_config_static_selectorELNS0_4arch9wavefront6targetE0EEEvT1_.num_named_barrier, 0
	.set _ZN7rocprim17ROCPRIM_400000_NS6detail17trampoline_kernelINS0_14default_configENS1_25partition_config_selectorILNS1_17partition_subalgoE6EN6thrust23THRUST_200600_302600_NS5tupleIssNS7_9null_typeES9_S9_S9_S9_S9_S9_S9_EENS0_10empty_typeEbEEZZNS1_14partition_implILS5_6ELb0ES3_mNS7_12zip_iteratorINS8_INS7_6detail15normal_iteratorINS7_10device_ptrIsEEEESJ_S9_S9_S9_S9_S9_S9_S9_S9_EEEEPSB_SM_NS0_5tupleIJNSE_INS8_ISJ_NS7_16discard_iteratorINS7_11use_defaultEEES9_S9_S9_S9_S9_S9_S9_S9_EEEESB_EEENSN_IJSM_SM_EEESB_PlJNSF_9not_fun_tINSF_14equal_to_valueISA_EEEEEEE10hipError_tPvRmT3_T4_T5_T6_T7_T9_mT8_P12ihipStream_tbDpT10_ENKUlT_T0_E_clISt17integral_constantIbLb0EES1J_EEDaS1E_S1F_EUlS1E_E_NS1_11comp_targetILNS1_3genE4ELNS1_11target_archE910ELNS1_3gpuE8ELNS1_3repE0EEENS1_30default_config_static_selectorELNS0_4arch9wavefront6targetE0EEEvT1_.private_seg_size, 0
	.set _ZN7rocprim17ROCPRIM_400000_NS6detail17trampoline_kernelINS0_14default_configENS1_25partition_config_selectorILNS1_17partition_subalgoE6EN6thrust23THRUST_200600_302600_NS5tupleIssNS7_9null_typeES9_S9_S9_S9_S9_S9_S9_EENS0_10empty_typeEbEEZZNS1_14partition_implILS5_6ELb0ES3_mNS7_12zip_iteratorINS8_INS7_6detail15normal_iteratorINS7_10device_ptrIsEEEESJ_S9_S9_S9_S9_S9_S9_S9_S9_EEEEPSB_SM_NS0_5tupleIJNSE_INS8_ISJ_NS7_16discard_iteratorINS7_11use_defaultEEES9_S9_S9_S9_S9_S9_S9_S9_EEEESB_EEENSN_IJSM_SM_EEESB_PlJNSF_9not_fun_tINSF_14equal_to_valueISA_EEEEEEE10hipError_tPvRmT3_T4_T5_T6_T7_T9_mT8_P12ihipStream_tbDpT10_ENKUlT_T0_E_clISt17integral_constantIbLb0EES1J_EEDaS1E_S1F_EUlS1E_E_NS1_11comp_targetILNS1_3genE4ELNS1_11target_archE910ELNS1_3gpuE8ELNS1_3repE0EEENS1_30default_config_static_selectorELNS0_4arch9wavefront6targetE0EEEvT1_.uses_vcc, 0
	.set _ZN7rocprim17ROCPRIM_400000_NS6detail17trampoline_kernelINS0_14default_configENS1_25partition_config_selectorILNS1_17partition_subalgoE6EN6thrust23THRUST_200600_302600_NS5tupleIssNS7_9null_typeES9_S9_S9_S9_S9_S9_S9_EENS0_10empty_typeEbEEZZNS1_14partition_implILS5_6ELb0ES3_mNS7_12zip_iteratorINS8_INS7_6detail15normal_iteratorINS7_10device_ptrIsEEEESJ_S9_S9_S9_S9_S9_S9_S9_S9_EEEEPSB_SM_NS0_5tupleIJNSE_INS8_ISJ_NS7_16discard_iteratorINS7_11use_defaultEEES9_S9_S9_S9_S9_S9_S9_S9_EEEESB_EEENSN_IJSM_SM_EEESB_PlJNSF_9not_fun_tINSF_14equal_to_valueISA_EEEEEEE10hipError_tPvRmT3_T4_T5_T6_T7_T9_mT8_P12ihipStream_tbDpT10_ENKUlT_T0_E_clISt17integral_constantIbLb0EES1J_EEDaS1E_S1F_EUlS1E_E_NS1_11comp_targetILNS1_3genE4ELNS1_11target_archE910ELNS1_3gpuE8ELNS1_3repE0EEENS1_30default_config_static_selectorELNS0_4arch9wavefront6targetE0EEEvT1_.uses_flat_scratch, 0
	.set _ZN7rocprim17ROCPRIM_400000_NS6detail17trampoline_kernelINS0_14default_configENS1_25partition_config_selectorILNS1_17partition_subalgoE6EN6thrust23THRUST_200600_302600_NS5tupleIssNS7_9null_typeES9_S9_S9_S9_S9_S9_S9_EENS0_10empty_typeEbEEZZNS1_14partition_implILS5_6ELb0ES3_mNS7_12zip_iteratorINS8_INS7_6detail15normal_iteratorINS7_10device_ptrIsEEEESJ_S9_S9_S9_S9_S9_S9_S9_S9_EEEEPSB_SM_NS0_5tupleIJNSE_INS8_ISJ_NS7_16discard_iteratorINS7_11use_defaultEEES9_S9_S9_S9_S9_S9_S9_S9_EEEESB_EEENSN_IJSM_SM_EEESB_PlJNSF_9not_fun_tINSF_14equal_to_valueISA_EEEEEEE10hipError_tPvRmT3_T4_T5_T6_T7_T9_mT8_P12ihipStream_tbDpT10_ENKUlT_T0_E_clISt17integral_constantIbLb0EES1J_EEDaS1E_S1F_EUlS1E_E_NS1_11comp_targetILNS1_3genE4ELNS1_11target_archE910ELNS1_3gpuE8ELNS1_3repE0EEENS1_30default_config_static_selectorELNS0_4arch9wavefront6targetE0EEEvT1_.has_dyn_sized_stack, 0
	.set _ZN7rocprim17ROCPRIM_400000_NS6detail17trampoline_kernelINS0_14default_configENS1_25partition_config_selectorILNS1_17partition_subalgoE6EN6thrust23THRUST_200600_302600_NS5tupleIssNS7_9null_typeES9_S9_S9_S9_S9_S9_S9_EENS0_10empty_typeEbEEZZNS1_14partition_implILS5_6ELb0ES3_mNS7_12zip_iteratorINS8_INS7_6detail15normal_iteratorINS7_10device_ptrIsEEEESJ_S9_S9_S9_S9_S9_S9_S9_S9_EEEEPSB_SM_NS0_5tupleIJNSE_INS8_ISJ_NS7_16discard_iteratorINS7_11use_defaultEEES9_S9_S9_S9_S9_S9_S9_S9_EEEESB_EEENSN_IJSM_SM_EEESB_PlJNSF_9not_fun_tINSF_14equal_to_valueISA_EEEEEEE10hipError_tPvRmT3_T4_T5_T6_T7_T9_mT8_P12ihipStream_tbDpT10_ENKUlT_T0_E_clISt17integral_constantIbLb0EES1J_EEDaS1E_S1F_EUlS1E_E_NS1_11comp_targetILNS1_3genE4ELNS1_11target_archE910ELNS1_3gpuE8ELNS1_3repE0EEENS1_30default_config_static_selectorELNS0_4arch9wavefront6targetE0EEEvT1_.has_recursion, 0
	.set _ZN7rocprim17ROCPRIM_400000_NS6detail17trampoline_kernelINS0_14default_configENS1_25partition_config_selectorILNS1_17partition_subalgoE6EN6thrust23THRUST_200600_302600_NS5tupleIssNS7_9null_typeES9_S9_S9_S9_S9_S9_S9_EENS0_10empty_typeEbEEZZNS1_14partition_implILS5_6ELb0ES3_mNS7_12zip_iteratorINS8_INS7_6detail15normal_iteratorINS7_10device_ptrIsEEEESJ_S9_S9_S9_S9_S9_S9_S9_S9_EEEEPSB_SM_NS0_5tupleIJNSE_INS8_ISJ_NS7_16discard_iteratorINS7_11use_defaultEEES9_S9_S9_S9_S9_S9_S9_S9_EEEESB_EEENSN_IJSM_SM_EEESB_PlJNSF_9not_fun_tINSF_14equal_to_valueISA_EEEEEEE10hipError_tPvRmT3_T4_T5_T6_T7_T9_mT8_P12ihipStream_tbDpT10_ENKUlT_T0_E_clISt17integral_constantIbLb0EES1J_EEDaS1E_S1F_EUlS1E_E_NS1_11comp_targetILNS1_3genE4ELNS1_11target_archE910ELNS1_3gpuE8ELNS1_3repE0EEENS1_30default_config_static_selectorELNS0_4arch9wavefront6targetE0EEEvT1_.has_indirect_call, 0
	.section	.AMDGPU.csdata,"",@progbits
; Kernel info:
; codeLenInByte = 0
; TotalNumSgprs: 0
; NumVgprs: 0
; ScratchSize: 0
; MemoryBound: 0
; FloatMode: 240
; IeeeMode: 1
; LDSByteSize: 0 bytes/workgroup (compile time only)
; SGPRBlocks: 0
; VGPRBlocks: 0
; NumSGPRsForWavesPerEU: 1
; NumVGPRsForWavesPerEU: 1
; Occupancy: 16
; WaveLimiterHint : 0
; COMPUTE_PGM_RSRC2:SCRATCH_EN: 0
; COMPUTE_PGM_RSRC2:USER_SGPR: 2
; COMPUTE_PGM_RSRC2:TRAP_HANDLER: 0
; COMPUTE_PGM_RSRC2:TGID_X_EN: 1
; COMPUTE_PGM_RSRC2:TGID_Y_EN: 0
; COMPUTE_PGM_RSRC2:TGID_Z_EN: 0
; COMPUTE_PGM_RSRC2:TIDIG_COMP_CNT: 0
	.section	.text._ZN7rocprim17ROCPRIM_400000_NS6detail17trampoline_kernelINS0_14default_configENS1_25partition_config_selectorILNS1_17partition_subalgoE6EN6thrust23THRUST_200600_302600_NS5tupleIssNS7_9null_typeES9_S9_S9_S9_S9_S9_S9_EENS0_10empty_typeEbEEZZNS1_14partition_implILS5_6ELb0ES3_mNS7_12zip_iteratorINS8_INS7_6detail15normal_iteratorINS7_10device_ptrIsEEEESJ_S9_S9_S9_S9_S9_S9_S9_S9_EEEEPSB_SM_NS0_5tupleIJNSE_INS8_ISJ_NS7_16discard_iteratorINS7_11use_defaultEEES9_S9_S9_S9_S9_S9_S9_S9_EEEESB_EEENSN_IJSM_SM_EEESB_PlJNSF_9not_fun_tINSF_14equal_to_valueISA_EEEEEEE10hipError_tPvRmT3_T4_T5_T6_T7_T9_mT8_P12ihipStream_tbDpT10_ENKUlT_T0_E_clISt17integral_constantIbLb0EES1J_EEDaS1E_S1F_EUlS1E_E_NS1_11comp_targetILNS1_3genE3ELNS1_11target_archE908ELNS1_3gpuE7ELNS1_3repE0EEENS1_30default_config_static_selectorELNS0_4arch9wavefront6targetE0EEEvT1_,"axG",@progbits,_ZN7rocprim17ROCPRIM_400000_NS6detail17trampoline_kernelINS0_14default_configENS1_25partition_config_selectorILNS1_17partition_subalgoE6EN6thrust23THRUST_200600_302600_NS5tupleIssNS7_9null_typeES9_S9_S9_S9_S9_S9_S9_EENS0_10empty_typeEbEEZZNS1_14partition_implILS5_6ELb0ES3_mNS7_12zip_iteratorINS8_INS7_6detail15normal_iteratorINS7_10device_ptrIsEEEESJ_S9_S9_S9_S9_S9_S9_S9_S9_EEEEPSB_SM_NS0_5tupleIJNSE_INS8_ISJ_NS7_16discard_iteratorINS7_11use_defaultEEES9_S9_S9_S9_S9_S9_S9_S9_EEEESB_EEENSN_IJSM_SM_EEESB_PlJNSF_9not_fun_tINSF_14equal_to_valueISA_EEEEEEE10hipError_tPvRmT3_T4_T5_T6_T7_T9_mT8_P12ihipStream_tbDpT10_ENKUlT_T0_E_clISt17integral_constantIbLb0EES1J_EEDaS1E_S1F_EUlS1E_E_NS1_11comp_targetILNS1_3genE3ELNS1_11target_archE908ELNS1_3gpuE7ELNS1_3repE0EEENS1_30default_config_static_selectorELNS0_4arch9wavefront6targetE0EEEvT1_,comdat
	.protected	_ZN7rocprim17ROCPRIM_400000_NS6detail17trampoline_kernelINS0_14default_configENS1_25partition_config_selectorILNS1_17partition_subalgoE6EN6thrust23THRUST_200600_302600_NS5tupleIssNS7_9null_typeES9_S9_S9_S9_S9_S9_S9_EENS0_10empty_typeEbEEZZNS1_14partition_implILS5_6ELb0ES3_mNS7_12zip_iteratorINS8_INS7_6detail15normal_iteratorINS7_10device_ptrIsEEEESJ_S9_S9_S9_S9_S9_S9_S9_S9_EEEEPSB_SM_NS0_5tupleIJNSE_INS8_ISJ_NS7_16discard_iteratorINS7_11use_defaultEEES9_S9_S9_S9_S9_S9_S9_S9_EEEESB_EEENSN_IJSM_SM_EEESB_PlJNSF_9not_fun_tINSF_14equal_to_valueISA_EEEEEEE10hipError_tPvRmT3_T4_T5_T6_T7_T9_mT8_P12ihipStream_tbDpT10_ENKUlT_T0_E_clISt17integral_constantIbLb0EES1J_EEDaS1E_S1F_EUlS1E_E_NS1_11comp_targetILNS1_3genE3ELNS1_11target_archE908ELNS1_3gpuE7ELNS1_3repE0EEENS1_30default_config_static_selectorELNS0_4arch9wavefront6targetE0EEEvT1_ ; -- Begin function _ZN7rocprim17ROCPRIM_400000_NS6detail17trampoline_kernelINS0_14default_configENS1_25partition_config_selectorILNS1_17partition_subalgoE6EN6thrust23THRUST_200600_302600_NS5tupleIssNS7_9null_typeES9_S9_S9_S9_S9_S9_S9_EENS0_10empty_typeEbEEZZNS1_14partition_implILS5_6ELb0ES3_mNS7_12zip_iteratorINS8_INS7_6detail15normal_iteratorINS7_10device_ptrIsEEEESJ_S9_S9_S9_S9_S9_S9_S9_S9_EEEEPSB_SM_NS0_5tupleIJNSE_INS8_ISJ_NS7_16discard_iteratorINS7_11use_defaultEEES9_S9_S9_S9_S9_S9_S9_S9_EEEESB_EEENSN_IJSM_SM_EEESB_PlJNSF_9not_fun_tINSF_14equal_to_valueISA_EEEEEEE10hipError_tPvRmT3_T4_T5_T6_T7_T9_mT8_P12ihipStream_tbDpT10_ENKUlT_T0_E_clISt17integral_constantIbLb0EES1J_EEDaS1E_S1F_EUlS1E_E_NS1_11comp_targetILNS1_3genE3ELNS1_11target_archE908ELNS1_3gpuE7ELNS1_3repE0EEENS1_30default_config_static_selectorELNS0_4arch9wavefront6targetE0EEEvT1_
	.globl	_ZN7rocprim17ROCPRIM_400000_NS6detail17trampoline_kernelINS0_14default_configENS1_25partition_config_selectorILNS1_17partition_subalgoE6EN6thrust23THRUST_200600_302600_NS5tupleIssNS7_9null_typeES9_S9_S9_S9_S9_S9_S9_EENS0_10empty_typeEbEEZZNS1_14partition_implILS5_6ELb0ES3_mNS7_12zip_iteratorINS8_INS7_6detail15normal_iteratorINS7_10device_ptrIsEEEESJ_S9_S9_S9_S9_S9_S9_S9_S9_EEEEPSB_SM_NS0_5tupleIJNSE_INS8_ISJ_NS7_16discard_iteratorINS7_11use_defaultEEES9_S9_S9_S9_S9_S9_S9_S9_EEEESB_EEENSN_IJSM_SM_EEESB_PlJNSF_9not_fun_tINSF_14equal_to_valueISA_EEEEEEE10hipError_tPvRmT3_T4_T5_T6_T7_T9_mT8_P12ihipStream_tbDpT10_ENKUlT_T0_E_clISt17integral_constantIbLb0EES1J_EEDaS1E_S1F_EUlS1E_E_NS1_11comp_targetILNS1_3genE3ELNS1_11target_archE908ELNS1_3gpuE7ELNS1_3repE0EEENS1_30default_config_static_selectorELNS0_4arch9wavefront6targetE0EEEvT1_
	.p2align	8
	.type	_ZN7rocprim17ROCPRIM_400000_NS6detail17trampoline_kernelINS0_14default_configENS1_25partition_config_selectorILNS1_17partition_subalgoE6EN6thrust23THRUST_200600_302600_NS5tupleIssNS7_9null_typeES9_S9_S9_S9_S9_S9_S9_EENS0_10empty_typeEbEEZZNS1_14partition_implILS5_6ELb0ES3_mNS7_12zip_iteratorINS8_INS7_6detail15normal_iteratorINS7_10device_ptrIsEEEESJ_S9_S9_S9_S9_S9_S9_S9_S9_EEEEPSB_SM_NS0_5tupleIJNSE_INS8_ISJ_NS7_16discard_iteratorINS7_11use_defaultEEES9_S9_S9_S9_S9_S9_S9_S9_EEEESB_EEENSN_IJSM_SM_EEESB_PlJNSF_9not_fun_tINSF_14equal_to_valueISA_EEEEEEE10hipError_tPvRmT3_T4_T5_T6_T7_T9_mT8_P12ihipStream_tbDpT10_ENKUlT_T0_E_clISt17integral_constantIbLb0EES1J_EEDaS1E_S1F_EUlS1E_E_NS1_11comp_targetILNS1_3genE3ELNS1_11target_archE908ELNS1_3gpuE7ELNS1_3repE0EEENS1_30default_config_static_selectorELNS0_4arch9wavefront6targetE0EEEvT1_,@function
_ZN7rocprim17ROCPRIM_400000_NS6detail17trampoline_kernelINS0_14default_configENS1_25partition_config_selectorILNS1_17partition_subalgoE6EN6thrust23THRUST_200600_302600_NS5tupleIssNS7_9null_typeES9_S9_S9_S9_S9_S9_S9_EENS0_10empty_typeEbEEZZNS1_14partition_implILS5_6ELb0ES3_mNS7_12zip_iteratorINS8_INS7_6detail15normal_iteratorINS7_10device_ptrIsEEEESJ_S9_S9_S9_S9_S9_S9_S9_S9_EEEEPSB_SM_NS0_5tupleIJNSE_INS8_ISJ_NS7_16discard_iteratorINS7_11use_defaultEEES9_S9_S9_S9_S9_S9_S9_S9_EEEESB_EEENSN_IJSM_SM_EEESB_PlJNSF_9not_fun_tINSF_14equal_to_valueISA_EEEEEEE10hipError_tPvRmT3_T4_T5_T6_T7_T9_mT8_P12ihipStream_tbDpT10_ENKUlT_T0_E_clISt17integral_constantIbLb0EES1J_EEDaS1E_S1F_EUlS1E_E_NS1_11comp_targetILNS1_3genE3ELNS1_11target_archE908ELNS1_3gpuE7ELNS1_3repE0EEENS1_30default_config_static_selectorELNS0_4arch9wavefront6targetE0EEEvT1_: ; @_ZN7rocprim17ROCPRIM_400000_NS6detail17trampoline_kernelINS0_14default_configENS1_25partition_config_selectorILNS1_17partition_subalgoE6EN6thrust23THRUST_200600_302600_NS5tupleIssNS7_9null_typeES9_S9_S9_S9_S9_S9_S9_EENS0_10empty_typeEbEEZZNS1_14partition_implILS5_6ELb0ES3_mNS7_12zip_iteratorINS8_INS7_6detail15normal_iteratorINS7_10device_ptrIsEEEESJ_S9_S9_S9_S9_S9_S9_S9_S9_EEEEPSB_SM_NS0_5tupleIJNSE_INS8_ISJ_NS7_16discard_iteratorINS7_11use_defaultEEES9_S9_S9_S9_S9_S9_S9_S9_EEEESB_EEENSN_IJSM_SM_EEESB_PlJNSF_9not_fun_tINSF_14equal_to_valueISA_EEEEEEE10hipError_tPvRmT3_T4_T5_T6_T7_T9_mT8_P12ihipStream_tbDpT10_ENKUlT_T0_E_clISt17integral_constantIbLb0EES1J_EEDaS1E_S1F_EUlS1E_E_NS1_11comp_targetILNS1_3genE3ELNS1_11target_archE908ELNS1_3gpuE7ELNS1_3repE0EEENS1_30default_config_static_selectorELNS0_4arch9wavefront6targetE0EEEvT1_
; %bb.0:
	.section	.rodata,"a",@progbits
	.p2align	6, 0x0
	.amdhsa_kernel _ZN7rocprim17ROCPRIM_400000_NS6detail17trampoline_kernelINS0_14default_configENS1_25partition_config_selectorILNS1_17partition_subalgoE6EN6thrust23THRUST_200600_302600_NS5tupleIssNS7_9null_typeES9_S9_S9_S9_S9_S9_S9_EENS0_10empty_typeEbEEZZNS1_14partition_implILS5_6ELb0ES3_mNS7_12zip_iteratorINS8_INS7_6detail15normal_iteratorINS7_10device_ptrIsEEEESJ_S9_S9_S9_S9_S9_S9_S9_S9_EEEEPSB_SM_NS0_5tupleIJNSE_INS8_ISJ_NS7_16discard_iteratorINS7_11use_defaultEEES9_S9_S9_S9_S9_S9_S9_S9_EEEESB_EEENSN_IJSM_SM_EEESB_PlJNSF_9not_fun_tINSF_14equal_to_valueISA_EEEEEEE10hipError_tPvRmT3_T4_T5_T6_T7_T9_mT8_P12ihipStream_tbDpT10_ENKUlT_T0_E_clISt17integral_constantIbLb0EES1J_EEDaS1E_S1F_EUlS1E_E_NS1_11comp_targetILNS1_3genE3ELNS1_11target_archE908ELNS1_3gpuE7ELNS1_3repE0EEENS1_30default_config_static_selectorELNS0_4arch9wavefront6targetE0EEEvT1_
		.amdhsa_group_segment_fixed_size 0
		.amdhsa_private_segment_fixed_size 0
		.amdhsa_kernarg_size 144
		.amdhsa_user_sgpr_count 2
		.amdhsa_user_sgpr_dispatch_ptr 0
		.amdhsa_user_sgpr_queue_ptr 0
		.amdhsa_user_sgpr_kernarg_segment_ptr 1
		.amdhsa_user_sgpr_dispatch_id 0
		.amdhsa_user_sgpr_private_segment_size 0
		.amdhsa_wavefront_size32 1
		.amdhsa_uses_dynamic_stack 0
		.amdhsa_enable_private_segment 0
		.amdhsa_system_sgpr_workgroup_id_x 1
		.amdhsa_system_sgpr_workgroup_id_y 0
		.amdhsa_system_sgpr_workgroup_id_z 0
		.amdhsa_system_sgpr_workgroup_info 0
		.amdhsa_system_vgpr_workitem_id 0
		.amdhsa_next_free_vgpr 1
		.amdhsa_next_free_sgpr 1
		.amdhsa_reserve_vcc 0
		.amdhsa_float_round_mode_32 0
		.amdhsa_float_round_mode_16_64 0
		.amdhsa_float_denorm_mode_32 3
		.amdhsa_float_denorm_mode_16_64 3
		.amdhsa_fp16_overflow 0
		.amdhsa_workgroup_processor_mode 1
		.amdhsa_memory_ordered 1
		.amdhsa_forward_progress 1
		.amdhsa_inst_pref_size 0
		.amdhsa_round_robin_scheduling 0
		.amdhsa_exception_fp_ieee_invalid_op 0
		.amdhsa_exception_fp_denorm_src 0
		.amdhsa_exception_fp_ieee_div_zero 0
		.amdhsa_exception_fp_ieee_overflow 0
		.amdhsa_exception_fp_ieee_underflow 0
		.amdhsa_exception_fp_ieee_inexact 0
		.amdhsa_exception_int_div_zero 0
	.end_amdhsa_kernel
	.section	.text._ZN7rocprim17ROCPRIM_400000_NS6detail17trampoline_kernelINS0_14default_configENS1_25partition_config_selectorILNS1_17partition_subalgoE6EN6thrust23THRUST_200600_302600_NS5tupleIssNS7_9null_typeES9_S9_S9_S9_S9_S9_S9_EENS0_10empty_typeEbEEZZNS1_14partition_implILS5_6ELb0ES3_mNS7_12zip_iteratorINS8_INS7_6detail15normal_iteratorINS7_10device_ptrIsEEEESJ_S9_S9_S9_S9_S9_S9_S9_S9_EEEEPSB_SM_NS0_5tupleIJNSE_INS8_ISJ_NS7_16discard_iteratorINS7_11use_defaultEEES9_S9_S9_S9_S9_S9_S9_S9_EEEESB_EEENSN_IJSM_SM_EEESB_PlJNSF_9not_fun_tINSF_14equal_to_valueISA_EEEEEEE10hipError_tPvRmT3_T4_T5_T6_T7_T9_mT8_P12ihipStream_tbDpT10_ENKUlT_T0_E_clISt17integral_constantIbLb0EES1J_EEDaS1E_S1F_EUlS1E_E_NS1_11comp_targetILNS1_3genE3ELNS1_11target_archE908ELNS1_3gpuE7ELNS1_3repE0EEENS1_30default_config_static_selectorELNS0_4arch9wavefront6targetE0EEEvT1_,"axG",@progbits,_ZN7rocprim17ROCPRIM_400000_NS6detail17trampoline_kernelINS0_14default_configENS1_25partition_config_selectorILNS1_17partition_subalgoE6EN6thrust23THRUST_200600_302600_NS5tupleIssNS7_9null_typeES9_S9_S9_S9_S9_S9_S9_EENS0_10empty_typeEbEEZZNS1_14partition_implILS5_6ELb0ES3_mNS7_12zip_iteratorINS8_INS7_6detail15normal_iteratorINS7_10device_ptrIsEEEESJ_S9_S9_S9_S9_S9_S9_S9_S9_EEEEPSB_SM_NS0_5tupleIJNSE_INS8_ISJ_NS7_16discard_iteratorINS7_11use_defaultEEES9_S9_S9_S9_S9_S9_S9_S9_EEEESB_EEENSN_IJSM_SM_EEESB_PlJNSF_9not_fun_tINSF_14equal_to_valueISA_EEEEEEE10hipError_tPvRmT3_T4_T5_T6_T7_T9_mT8_P12ihipStream_tbDpT10_ENKUlT_T0_E_clISt17integral_constantIbLb0EES1J_EEDaS1E_S1F_EUlS1E_E_NS1_11comp_targetILNS1_3genE3ELNS1_11target_archE908ELNS1_3gpuE7ELNS1_3repE0EEENS1_30default_config_static_selectorELNS0_4arch9wavefront6targetE0EEEvT1_,comdat
.Lfunc_end2048:
	.size	_ZN7rocprim17ROCPRIM_400000_NS6detail17trampoline_kernelINS0_14default_configENS1_25partition_config_selectorILNS1_17partition_subalgoE6EN6thrust23THRUST_200600_302600_NS5tupleIssNS7_9null_typeES9_S9_S9_S9_S9_S9_S9_EENS0_10empty_typeEbEEZZNS1_14partition_implILS5_6ELb0ES3_mNS7_12zip_iteratorINS8_INS7_6detail15normal_iteratorINS7_10device_ptrIsEEEESJ_S9_S9_S9_S9_S9_S9_S9_S9_EEEEPSB_SM_NS0_5tupleIJNSE_INS8_ISJ_NS7_16discard_iteratorINS7_11use_defaultEEES9_S9_S9_S9_S9_S9_S9_S9_EEEESB_EEENSN_IJSM_SM_EEESB_PlJNSF_9not_fun_tINSF_14equal_to_valueISA_EEEEEEE10hipError_tPvRmT3_T4_T5_T6_T7_T9_mT8_P12ihipStream_tbDpT10_ENKUlT_T0_E_clISt17integral_constantIbLb0EES1J_EEDaS1E_S1F_EUlS1E_E_NS1_11comp_targetILNS1_3genE3ELNS1_11target_archE908ELNS1_3gpuE7ELNS1_3repE0EEENS1_30default_config_static_selectorELNS0_4arch9wavefront6targetE0EEEvT1_, .Lfunc_end2048-_ZN7rocprim17ROCPRIM_400000_NS6detail17trampoline_kernelINS0_14default_configENS1_25partition_config_selectorILNS1_17partition_subalgoE6EN6thrust23THRUST_200600_302600_NS5tupleIssNS7_9null_typeES9_S9_S9_S9_S9_S9_S9_EENS0_10empty_typeEbEEZZNS1_14partition_implILS5_6ELb0ES3_mNS7_12zip_iteratorINS8_INS7_6detail15normal_iteratorINS7_10device_ptrIsEEEESJ_S9_S9_S9_S9_S9_S9_S9_S9_EEEEPSB_SM_NS0_5tupleIJNSE_INS8_ISJ_NS7_16discard_iteratorINS7_11use_defaultEEES9_S9_S9_S9_S9_S9_S9_S9_EEEESB_EEENSN_IJSM_SM_EEESB_PlJNSF_9not_fun_tINSF_14equal_to_valueISA_EEEEEEE10hipError_tPvRmT3_T4_T5_T6_T7_T9_mT8_P12ihipStream_tbDpT10_ENKUlT_T0_E_clISt17integral_constantIbLb0EES1J_EEDaS1E_S1F_EUlS1E_E_NS1_11comp_targetILNS1_3genE3ELNS1_11target_archE908ELNS1_3gpuE7ELNS1_3repE0EEENS1_30default_config_static_selectorELNS0_4arch9wavefront6targetE0EEEvT1_
                                        ; -- End function
	.set _ZN7rocprim17ROCPRIM_400000_NS6detail17trampoline_kernelINS0_14default_configENS1_25partition_config_selectorILNS1_17partition_subalgoE6EN6thrust23THRUST_200600_302600_NS5tupleIssNS7_9null_typeES9_S9_S9_S9_S9_S9_S9_EENS0_10empty_typeEbEEZZNS1_14partition_implILS5_6ELb0ES3_mNS7_12zip_iteratorINS8_INS7_6detail15normal_iteratorINS7_10device_ptrIsEEEESJ_S9_S9_S9_S9_S9_S9_S9_S9_EEEEPSB_SM_NS0_5tupleIJNSE_INS8_ISJ_NS7_16discard_iteratorINS7_11use_defaultEEES9_S9_S9_S9_S9_S9_S9_S9_EEEESB_EEENSN_IJSM_SM_EEESB_PlJNSF_9not_fun_tINSF_14equal_to_valueISA_EEEEEEE10hipError_tPvRmT3_T4_T5_T6_T7_T9_mT8_P12ihipStream_tbDpT10_ENKUlT_T0_E_clISt17integral_constantIbLb0EES1J_EEDaS1E_S1F_EUlS1E_E_NS1_11comp_targetILNS1_3genE3ELNS1_11target_archE908ELNS1_3gpuE7ELNS1_3repE0EEENS1_30default_config_static_selectorELNS0_4arch9wavefront6targetE0EEEvT1_.num_vgpr, 0
	.set _ZN7rocprim17ROCPRIM_400000_NS6detail17trampoline_kernelINS0_14default_configENS1_25partition_config_selectorILNS1_17partition_subalgoE6EN6thrust23THRUST_200600_302600_NS5tupleIssNS7_9null_typeES9_S9_S9_S9_S9_S9_S9_EENS0_10empty_typeEbEEZZNS1_14partition_implILS5_6ELb0ES3_mNS7_12zip_iteratorINS8_INS7_6detail15normal_iteratorINS7_10device_ptrIsEEEESJ_S9_S9_S9_S9_S9_S9_S9_S9_EEEEPSB_SM_NS0_5tupleIJNSE_INS8_ISJ_NS7_16discard_iteratorINS7_11use_defaultEEES9_S9_S9_S9_S9_S9_S9_S9_EEEESB_EEENSN_IJSM_SM_EEESB_PlJNSF_9not_fun_tINSF_14equal_to_valueISA_EEEEEEE10hipError_tPvRmT3_T4_T5_T6_T7_T9_mT8_P12ihipStream_tbDpT10_ENKUlT_T0_E_clISt17integral_constantIbLb0EES1J_EEDaS1E_S1F_EUlS1E_E_NS1_11comp_targetILNS1_3genE3ELNS1_11target_archE908ELNS1_3gpuE7ELNS1_3repE0EEENS1_30default_config_static_selectorELNS0_4arch9wavefront6targetE0EEEvT1_.num_agpr, 0
	.set _ZN7rocprim17ROCPRIM_400000_NS6detail17trampoline_kernelINS0_14default_configENS1_25partition_config_selectorILNS1_17partition_subalgoE6EN6thrust23THRUST_200600_302600_NS5tupleIssNS7_9null_typeES9_S9_S9_S9_S9_S9_S9_EENS0_10empty_typeEbEEZZNS1_14partition_implILS5_6ELb0ES3_mNS7_12zip_iteratorINS8_INS7_6detail15normal_iteratorINS7_10device_ptrIsEEEESJ_S9_S9_S9_S9_S9_S9_S9_S9_EEEEPSB_SM_NS0_5tupleIJNSE_INS8_ISJ_NS7_16discard_iteratorINS7_11use_defaultEEES9_S9_S9_S9_S9_S9_S9_S9_EEEESB_EEENSN_IJSM_SM_EEESB_PlJNSF_9not_fun_tINSF_14equal_to_valueISA_EEEEEEE10hipError_tPvRmT3_T4_T5_T6_T7_T9_mT8_P12ihipStream_tbDpT10_ENKUlT_T0_E_clISt17integral_constantIbLb0EES1J_EEDaS1E_S1F_EUlS1E_E_NS1_11comp_targetILNS1_3genE3ELNS1_11target_archE908ELNS1_3gpuE7ELNS1_3repE0EEENS1_30default_config_static_selectorELNS0_4arch9wavefront6targetE0EEEvT1_.numbered_sgpr, 0
	.set _ZN7rocprim17ROCPRIM_400000_NS6detail17trampoline_kernelINS0_14default_configENS1_25partition_config_selectorILNS1_17partition_subalgoE6EN6thrust23THRUST_200600_302600_NS5tupleIssNS7_9null_typeES9_S9_S9_S9_S9_S9_S9_EENS0_10empty_typeEbEEZZNS1_14partition_implILS5_6ELb0ES3_mNS7_12zip_iteratorINS8_INS7_6detail15normal_iteratorINS7_10device_ptrIsEEEESJ_S9_S9_S9_S9_S9_S9_S9_S9_EEEEPSB_SM_NS0_5tupleIJNSE_INS8_ISJ_NS7_16discard_iteratorINS7_11use_defaultEEES9_S9_S9_S9_S9_S9_S9_S9_EEEESB_EEENSN_IJSM_SM_EEESB_PlJNSF_9not_fun_tINSF_14equal_to_valueISA_EEEEEEE10hipError_tPvRmT3_T4_T5_T6_T7_T9_mT8_P12ihipStream_tbDpT10_ENKUlT_T0_E_clISt17integral_constantIbLb0EES1J_EEDaS1E_S1F_EUlS1E_E_NS1_11comp_targetILNS1_3genE3ELNS1_11target_archE908ELNS1_3gpuE7ELNS1_3repE0EEENS1_30default_config_static_selectorELNS0_4arch9wavefront6targetE0EEEvT1_.num_named_barrier, 0
	.set _ZN7rocprim17ROCPRIM_400000_NS6detail17trampoline_kernelINS0_14default_configENS1_25partition_config_selectorILNS1_17partition_subalgoE6EN6thrust23THRUST_200600_302600_NS5tupleIssNS7_9null_typeES9_S9_S9_S9_S9_S9_S9_EENS0_10empty_typeEbEEZZNS1_14partition_implILS5_6ELb0ES3_mNS7_12zip_iteratorINS8_INS7_6detail15normal_iteratorINS7_10device_ptrIsEEEESJ_S9_S9_S9_S9_S9_S9_S9_S9_EEEEPSB_SM_NS0_5tupleIJNSE_INS8_ISJ_NS7_16discard_iteratorINS7_11use_defaultEEES9_S9_S9_S9_S9_S9_S9_S9_EEEESB_EEENSN_IJSM_SM_EEESB_PlJNSF_9not_fun_tINSF_14equal_to_valueISA_EEEEEEE10hipError_tPvRmT3_T4_T5_T6_T7_T9_mT8_P12ihipStream_tbDpT10_ENKUlT_T0_E_clISt17integral_constantIbLb0EES1J_EEDaS1E_S1F_EUlS1E_E_NS1_11comp_targetILNS1_3genE3ELNS1_11target_archE908ELNS1_3gpuE7ELNS1_3repE0EEENS1_30default_config_static_selectorELNS0_4arch9wavefront6targetE0EEEvT1_.private_seg_size, 0
	.set _ZN7rocprim17ROCPRIM_400000_NS6detail17trampoline_kernelINS0_14default_configENS1_25partition_config_selectorILNS1_17partition_subalgoE6EN6thrust23THRUST_200600_302600_NS5tupleIssNS7_9null_typeES9_S9_S9_S9_S9_S9_S9_EENS0_10empty_typeEbEEZZNS1_14partition_implILS5_6ELb0ES3_mNS7_12zip_iteratorINS8_INS7_6detail15normal_iteratorINS7_10device_ptrIsEEEESJ_S9_S9_S9_S9_S9_S9_S9_S9_EEEEPSB_SM_NS0_5tupleIJNSE_INS8_ISJ_NS7_16discard_iteratorINS7_11use_defaultEEES9_S9_S9_S9_S9_S9_S9_S9_EEEESB_EEENSN_IJSM_SM_EEESB_PlJNSF_9not_fun_tINSF_14equal_to_valueISA_EEEEEEE10hipError_tPvRmT3_T4_T5_T6_T7_T9_mT8_P12ihipStream_tbDpT10_ENKUlT_T0_E_clISt17integral_constantIbLb0EES1J_EEDaS1E_S1F_EUlS1E_E_NS1_11comp_targetILNS1_3genE3ELNS1_11target_archE908ELNS1_3gpuE7ELNS1_3repE0EEENS1_30default_config_static_selectorELNS0_4arch9wavefront6targetE0EEEvT1_.uses_vcc, 0
	.set _ZN7rocprim17ROCPRIM_400000_NS6detail17trampoline_kernelINS0_14default_configENS1_25partition_config_selectorILNS1_17partition_subalgoE6EN6thrust23THRUST_200600_302600_NS5tupleIssNS7_9null_typeES9_S9_S9_S9_S9_S9_S9_EENS0_10empty_typeEbEEZZNS1_14partition_implILS5_6ELb0ES3_mNS7_12zip_iteratorINS8_INS7_6detail15normal_iteratorINS7_10device_ptrIsEEEESJ_S9_S9_S9_S9_S9_S9_S9_S9_EEEEPSB_SM_NS0_5tupleIJNSE_INS8_ISJ_NS7_16discard_iteratorINS7_11use_defaultEEES9_S9_S9_S9_S9_S9_S9_S9_EEEESB_EEENSN_IJSM_SM_EEESB_PlJNSF_9not_fun_tINSF_14equal_to_valueISA_EEEEEEE10hipError_tPvRmT3_T4_T5_T6_T7_T9_mT8_P12ihipStream_tbDpT10_ENKUlT_T0_E_clISt17integral_constantIbLb0EES1J_EEDaS1E_S1F_EUlS1E_E_NS1_11comp_targetILNS1_3genE3ELNS1_11target_archE908ELNS1_3gpuE7ELNS1_3repE0EEENS1_30default_config_static_selectorELNS0_4arch9wavefront6targetE0EEEvT1_.uses_flat_scratch, 0
	.set _ZN7rocprim17ROCPRIM_400000_NS6detail17trampoline_kernelINS0_14default_configENS1_25partition_config_selectorILNS1_17partition_subalgoE6EN6thrust23THRUST_200600_302600_NS5tupleIssNS7_9null_typeES9_S9_S9_S9_S9_S9_S9_EENS0_10empty_typeEbEEZZNS1_14partition_implILS5_6ELb0ES3_mNS7_12zip_iteratorINS8_INS7_6detail15normal_iteratorINS7_10device_ptrIsEEEESJ_S9_S9_S9_S9_S9_S9_S9_S9_EEEEPSB_SM_NS0_5tupleIJNSE_INS8_ISJ_NS7_16discard_iteratorINS7_11use_defaultEEES9_S9_S9_S9_S9_S9_S9_S9_EEEESB_EEENSN_IJSM_SM_EEESB_PlJNSF_9not_fun_tINSF_14equal_to_valueISA_EEEEEEE10hipError_tPvRmT3_T4_T5_T6_T7_T9_mT8_P12ihipStream_tbDpT10_ENKUlT_T0_E_clISt17integral_constantIbLb0EES1J_EEDaS1E_S1F_EUlS1E_E_NS1_11comp_targetILNS1_3genE3ELNS1_11target_archE908ELNS1_3gpuE7ELNS1_3repE0EEENS1_30default_config_static_selectorELNS0_4arch9wavefront6targetE0EEEvT1_.has_dyn_sized_stack, 0
	.set _ZN7rocprim17ROCPRIM_400000_NS6detail17trampoline_kernelINS0_14default_configENS1_25partition_config_selectorILNS1_17partition_subalgoE6EN6thrust23THRUST_200600_302600_NS5tupleIssNS7_9null_typeES9_S9_S9_S9_S9_S9_S9_EENS0_10empty_typeEbEEZZNS1_14partition_implILS5_6ELb0ES3_mNS7_12zip_iteratorINS8_INS7_6detail15normal_iteratorINS7_10device_ptrIsEEEESJ_S9_S9_S9_S9_S9_S9_S9_S9_EEEEPSB_SM_NS0_5tupleIJNSE_INS8_ISJ_NS7_16discard_iteratorINS7_11use_defaultEEES9_S9_S9_S9_S9_S9_S9_S9_EEEESB_EEENSN_IJSM_SM_EEESB_PlJNSF_9not_fun_tINSF_14equal_to_valueISA_EEEEEEE10hipError_tPvRmT3_T4_T5_T6_T7_T9_mT8_P12ihipStream_tbDpT10_ENKUlT_T0_E_clISt17integral_constantIbLb0EES1J_EEDaS1E_S1F_EUlS1E_E_NS1_11comp_targetILNS1_3genE3ELNS1_11target_archE908ELNS1_3gpuE7ELNS1_3repE0EEENS1_30default_config_static_selectorELNS0_4arch9wavefront6targetE0EEEvT1_.has_recursion, 0
	.set _ZN7rocprim17ROCPRIM_400000_NS6detail17trampoline_kernelINS0_14default_configENS1_25partition_config_selectorILNS1_17partition_subalgoE6EN6thrust23THRUST_200600_302600_NS5tupleIssNS7_9null_typeES9_S9_S9_S9_S9_S9_S9_EENS0_10empty_typeEbEEZZNS1_14partition_implILS5_6ELb0ES3_mNS7_12zip_iteratorINS8_INS7_6detail15normal_iteratorINS7_10device_ptrIsEEEESJ_S9_S9_S9_S9_S9_S9_S9_S9_EEEEPSB_SM_NS0_5tupleIJNSE_INS8_ISJ_NS7_16discard_iteratorINS7_11use_defaultEEES9_S9_S9_S9_S9_S9_S9_S9_EEEESB_EEENSN_IJSM_SM_EEESB_PlJNSF_9not_fun_tINSF_14equal_to_valueISA_EEEEEEE10hipError_tPvRmT3_T4_T5_T6_T7_T9_mT8_P12ihipStream_tbDpT10_ENKUlT_T0_E_clISt17integral_constantIbLb0EES1J_EEDaS1E_S1F_EUlS1E_E_NS1_11comp_targetILNS1_3genE3ELNS1_11target_archE908ELNS1_3gpuE7ELNS1_3repE0EEENS1_30default_config_static_selectorELNS0_4arch9wavefront6targetE0EEEvT1_.has_indirect_call, 0
	.section	.AMDGPU.csdata,"",@progbits
; Kernel info:
; codeLenInByte = 0
; TotalNumSgprs: 0
; NumVgprs: 0
; ScratchSize: 0
; MemoryBound: 0
; FloatMode: 240
; IeeeMode: 1
; LDSByteSize: 0 bytes/workgroup (compile time only)
; SGPRBlocks: 0
; VGPRBlocks: 0
; NumSGPRsForWavesPerEU: 1
; NumVGPRsForWavesPerEU: 1
; Occupancy: 16
; WaveLimiterHint : 0
; COMPUTE_PGM_RSRC2:SCRATCH_EN: 0
; COMPUTE_PGM_RSRC2:USER_SGPR: 2
; COMPUTE_PGM_RSRC2:TRAP_HANDLER: 0
; COMPUTE_PGM_RSRC2:TGID_X_EN: 1
; COMPUTE_PGM_RSRC2:TGID_Y_EN: 0
; COMPUTE_PGM_RSRC2:TGID_Z_EN: 0
; COMPUTE_PGM_RSRC2:TIDIG_COMP_CNT: 0
	.section	.text._ZN7rocprim17ROCPRIM_400000_NS6detail17trampoline_kernelINS0_14default_configENS1_25partition_config_selectorILNS1_17partition_subalgoE6EN6thrust23THRUST_200600_302600_NS5tupleIssNS7_9null_typeES9_S9_S9_S9_S9_S9_S9_EENS0_10empty_typeEbEEZZNS1_14partition_implILS5_6ELb0ES3_mNS7_12zip_iteratorINS8_INS7_6detail15normal_iteratorINS7_10device_ptrIsEEEESJ_S9_S9_S9_S9_S9_S9_S9_S9_EEEEPSB_SM_NS0_5tupleIJNSE_INS8_ISJ_NS7_16discard_iteratorINS7_11use_defaultEEES9_S9_S9_S9_S9_S9_S9_S9_EEEESB_EEENSN_IJSM_SM_EEESB_PlJNSF_9not_fun_tINSF_14equal_to_valueISA_EEEEEEE10hipError_tPvRmT3_T4_T5_T6_T7_T9_mT8_P12ihipStream_tbDpT10_ENKUlT_T0_E_clISt17integral_constantIbLb0EES1J_EEDaS1E_S1F_EUlS1E_E_NS1_11comp_targetILNS1_3genE2ELNS1_11target_archE906ELNS1_3gpuE6ELNS1_3repE0EEENS1_30default_config_static_selectorELNS0_4arch9wavefront6targetE0EEEvT1_,"axG",@progbits,_ZN7rocprim17ROCPRIM_400000_NS6detail17trampoline_kernelINS0_14default_configENS1_25partition_config_selectorILNS1_17partition_subalgoE6EN6thrust23THRUST_200600_302600_NS5tupleIssNS7_9null_typeES9_S9_S9_S9_S9_S9_S9_EENS0_10empty_typeEbEEZZNS1_14partition_implILS5_6ELb0ES3_mNS7_12zip_iteratorINS8_INS7_6detail15normal_iteratorINS7_10device_ptrIsEEEESJ_S9_S9_S9_S9_S9_S9_S9_S9_EEEEPSB_SM_NS0_5tupleIJNSE_INS8_ISJ_NS7_16discard_iteratorINS7_11use_defaultEEES9_S9_S9_S9_S9_S9_S9_S9_EEEESB_EEENSN_IJSM_SM_EEESB_PlJNSF_9not_fun_tINSF_14equal_to_valueISA_EEEEEEE10hipError_tPvRmT3_T4_T5_T6_T7_T9_mT8_P12ihipStream_tbDpT10_ENKUlT_T0_E_clISt17integral_constantIbLb0EES1J_EEDaS1E_S1F_EUlS1E_E_NS1_11comp_targetILNS1_3genE2ELNS1_11target_archE906ELNS1_3gpuE6ELNS1_3repE0EEENS1_30default_config_static_selectorELNS0_4arch9wavefront6targetE0EEEvT1_,comdat
	.protected	_ZN7rocprim17ROCPRIM_400000_NS6detail17trampoline_kernelINS0_14default_configENS1_25partition_config_selectorILNS1_17partition_subalgoE6EN6thrust23THRUST_200600_302600_NS5tupleIssNS7_9null_typeES9_S9_S9_S9_S9_S9_S9_EENS0_10empty_typeEbEEZZNS1_14partition_implILS5_6ELb0ES3_mNS7_12zip_iteratorINS8_INS7_6detail15normal_iteratorINS7_10device_ptrIsEEEESJ_S9_S9_S9_S9_S9_S9_S9_S9_EEEEPSB_SM_NS0_5tupleIJNSE_INS8_ISJ_NS7_16discard_iteratorINS7_11use_defaultEEES9_S9_S9_S9_S9_S9_S9_S9_EEEESB_EEENSN_IJSM_SM_EEESB_PlJNSF_9not_fun_tINSF_14equal_to_valueISA_EEEEEEE10hipError_tPvRmT3_T4_T5_T6_T7_T9_mT8_P12ihipStream_tbDpT10_ENKUlT_T0_E_clISt17integral_constantIbLb0EES1J_EEDaS1E_S1F_EUlS1E_E_NS1_11comp_targetILNS1_3genE2ELNS1_11target_archE906ELNS1_3gpuE6ELNS1_3repE0EEENS1_30default_config_static_selectorELNS0_4arch9wavefront6targetE0EEEvT1_ ; -- Begin function _ZN7rocprim17ROCPRIM_400000_NS6detail17trampoline_kernelINS0_14default_configENS1_25partition_config_selectorILNS1_17partition_subalgoE6EN6thrust23THRUST_200600_302600_NS5tupleIssNS7_9null_typeES9_S9_S9_S9_S9_S9_S9_EENS0_10empty_typeEbEEZZNS1_14partition_implILS5_6ELb0ES3_mNS7_12zip_iteratorINS8_INS7_6detail15normal_iteratorINS7_10device_ptrIsEEEESJ_S9_S9_S9_S9_S9_S9_S9_S9_EEEEPSB_SM_NS0_5tupleIJNSE_INS8_ISJ_NS7_16discard_iteratorINS7_11use_defaultEEES9_S9_S9_S9_S9_S9_S9_S9_EEEESB_EEENSN_IJSM_SM_EEESB_PlJNSF_9not_fun_tINSF_14equal_to_valueISA_EEEEEEE10hipError_tPvRmT3_T4_T5_T6_T7_T9_mT8_P12ihipStream_tbDpT10_ENKUlT_T0_E_clISt17integral_constantIbLb0EES1J_EEDaS1E_S1F_EUlS1E_E_NS1_11comp_targetILNS1_3genE2ELNS1_11target_archE906ELNS1_3gpuE6ELNS1_3repE0EEENS1_30default_config_static_selectorELNS0_4arch9wavefront6targetE0EEEvT1_
	.globl	_ZN7rocprim17ROCPRIM_400000_NS6detail17trampoline_kernelINS0_14default_configENS1_25partition_config_selectorILNS1_17partition_subalgoE6EN6thrust23THRUST_200600_302600_NS5tupleIssNS7_9null_typeES9_S9_S9_S9_S9_S9_S9_EENS0_10empty_typeEbEEZZNS1_14partition_implILS5_6ELb0ES3_mNS7_12zip_iteratorINS8_INS7_6detail15normal_iteratorINS7_10device_ptrIsEEEESJ_S9_S9_S9_S9_S9_S9_S9_S9_EEEEPSB_SM_NS0_5tupleIJNSE_INS8_ISJ_NS7_16discard_iteratorINS7_11use_defaultEEES9_S9_S9_S9_S9_S9_S9_S9_EEEESB_EEENSN_IJSM_SM_EEESB_PlJNSF_9not_fun_tINSF_14equal_to_valueISA_EEEEEEE10hipError_tPvRmT3_T4_T5_T6_T7_T9_mT8_P12ihipStream_tbDpT10_ENKUlT_T0_E_clISt17integral_constantIbLb0EES1J_EEDaS1E_S1F_EUlS1E_E_NS1_11comp_targetILNS1_3genE2ELNS1_11target_archE906ELNS1_3gpuE6ELNS1_3repE0EEENS1_30default_config_static_selectorELNS0_4arch9wavefront6targetE0EEEvT1_
	.p2align	8
	.type	_ZN7rocprim17ROCPRIM_400000_NS6detail17trampoline_kernelINS0_14default_configENS1_25partition_config_selectorILNS1_17partition_subalgoE6EN6thrust23THRUST_200600_302600_NS5tupleIssNS7_9null_typeES9_S9_S9_S9_S9_S9_S9_EENS0_10empty_typeEbEEZZNS1_14partition_implILS5_6ELb0ES3_mNS7_12zip_iteratorINS8_INS7_6detail15normal_iteratorINS7_10device_ptrIsEEEESJ_S9_S9_S9_S9_S9_S9_S9_S9_EEEEPSB_SM_NS0_5tupleIJNSE_INS8_ISJ_NS7_16discard_iteratorINS7_11use_defaultEEES9_S9_S9_S9_S9_S9_S9_S9_EEEESB_EEENSN_IJSM_SM_EEESB_PlJNSF_9not_fun_tINSF_14equal_to_valueISA_EEEEEEE10hipError_tPvRmT3_T4_T5_T6_T7_T9_mT8_P12ihipStream_tbDpT10_ENKUlT_T0_E_clISt17integral_constantIbLb0EES1J_EEDaS1E_S1F_EUlS1E_E_NS1_11comp_targetILNS1_3genE2ELNS1_11target_archE906ELNS1_3gpuE6ELNS1_3repE0EEENS1_30default_config_static_selectorELNS0_4arch9wavefront6targetE0EEEvT1_,@function
_ZN7rocprim17ROCPRIM_400000_NS6detail17trampoline_kernelINS0_14default_configENS1_25partition_config_selectorILNS1_17partition_subalgoE6EN6thrust23THRUST_200600_302600_NS5tupleIssNS7_9null_typeES9_S9_S9_S9_S9_S9_S9_EENS0_10empty_typeEbEEZZNS1_14partition_implILS5_6ELb0ES3_mNS7_12zip_iteratorINS8_INS7_6detail15normal_iteratorINS7_10device_ptrIsEEEESJ_S9_S9_S9_S9_S9_S9_S9_S9_EEEEPSB_SM_NS0_5tupleIJNSE_INS8_ISJ_NS7_16discard_iteratorINS7_11use_defaultEEES9_S9_S9_S9_S9_S9_S9_S9_EEEESB_EEENSN_IJSM_SM_EEESB_PlJNSF_9not_fun_tINSF_14equal_to_valueISA_EEEEEEE10hipError_tPvRmT3_T4_T5_T6_T7_T9_mT8_P12ihipStream_tbDpT10_ENKUlT_T0_E_clISt17integral_constantIbLb0EES1J_EEDaS1E_S1F_EUlS1E_E_NS1_11comp_targetILNS1_3genE2ELNS1_11target_archE906ELNS1_3gpuE6ELNS1_3repE0EEENS1_30default_config_static_selectorELNS0_4arch9wavefront6targetE0EEEvT1_: ; @_ZN7rocprim17ROCPRIM_400000_NS6detail17trampoline_kernelINS0_14default_configENS1_25partition_config_selectorILNS1_17partition_subalgoE6EN6thrust23THRUST_200600_302600_NS5tupleIssNS7_9null_typeES9_S9_S9_S9_S9_S9_S9_EENS0_10empty_typeEbEEZZNS1_14partition_implILS5_6ELb0ES3_mNS7_12zip_iteratorINS8_INS7_6detail15normal_iteratorINS7_10device_ptrIsEEEESJ_S9_S9_S9_S9_S9_S9_S9_S9_EEEEPSB_SM_NS0_5tupleIJNSE_INS8_ISJ_NS7_16discard_iteratorINS7_11use_defaultEEES9_S9_S9_S9_S9_S9_S9_S9_EEEESB_EEENSN_IJSM_SM_EEESB_PlJNSF_9not_fun_tINSF_14equal_to_valueISA_EEEEEEE10hipError_tPvRmT3_T4_T5_T6_T7_T9_mT8_P12ihipStream_tbDpT10_ENKUlT_T0_E_clISt17integral_constantIbLb0EES1J_EEDaS1E_S1F_EUlS1E_E_NS1_11comp_targetILNS1_3genE2ELNS1_11target_archE906ELNS1_3gpuE6ELNS1_3repE0EEENS1_30default_config_static_selectorELNS0_4arch9wavefront6targetE0EEEvT1_
; %bb.0:
	.section	.rodata,"a",@progbits
	.p2align	6, 0x0
	.amdhsa_kernel _ZN7rocprim17ROCPRIM_400000_NS6detail17trampoline_kernelINS0_14default_configENS1_25partition_config_selectorILNS1_17partition_subalgoE6EN6thrust23THRUST_200600_302600_NS5tupleIssNS7_9null_typeES9_S9_S9_S9_S9_S9_S9_EENS0_10empty_typeEbEEZZNS1_14partition_implILS5_6ELb0ES3_mNS7_12zip_iteratorINS8_INS7_6detail15normal_iteratorINS7_10device_ptrIsEEEESJ_S9_S9_S9_S9_S9_S9_S9_S9_EEEEPSB_SM_NS0_5tupleIJNSE_INS8_ISJ_NS7_16discard_iteratorINS7_11use_defaultEEES9_S9_S9_S9_S9_S9_S9_S9_EEEESB_EEENSN_IJSM_SM_EEESB_PlJNSF_9not_fun_tINSF_14equal_to_valueISA_EEEEEEE10hipError_tPvRmT3_T4_T5_T6_T7_T9_mT8_P12ihipStream_tbDpT10_ENKUlT_T0_E_clISt17integral_constantIbLb0EES1J_EEDaS1E_S1F_EUlS1E_E_NS1_11comp_targetILNS1_3genE2ELNS1_11target_archE906ELNS1_3gpuE6ELNS1_3repE0EEENS1_30default_config_static_selectorELNS0_4arch9wavefront6targetE0EEEvT1_
		.amdhsa_group_segment_fixed_size 0
		.amdhsa_private_segment_fixed_size 0
		.amdhsa_kernarg_size 144
		.amdhsa_user_sgpr_count 2
		.amdhsa_user_sgpr_dispatch_ptr 0
		.amdhsa_user_sgpr_queue_ptr 0
		.amdhsa_user_sgpr_kernarg_segment_ptr 1
		.amdhsa_user_sgpr_dispatch_id 0
		.amdhsa_user_sgpr_private_segment_size 0
		.amdhsa_wavefront_size32 1
		.amdhsa_uses_dynamic_stack 0
		.amdhsa_enable_private_segment 0
		.amdhsa_system_sgpr_workgroup_id_x 1
		.amdhsa_system_sgpr_workgroup_id_y 0
		.amdhsa_system_sgpr_workgroup_id_z 0
		.amdhsa_system_sgpr_workgroup_info 0
		.amdhsa_system_vgpr_workitem_id 0
		.amdhsa_next_free_vgpr 1
		.amdhsa_next_free_sgpr 1
		.amdhsa_reserve_vcc 0
		.amdhsa_float_round_mode_32 0
		.amdhsa_float_round_mode_16_64 0
		.amdhsa_float_denorm_mode_32 3
		.amdhsa_float_denorm_mode_16_64 3
		.amdhsa_fp16_overflow 0
		.amdhsa_workgroup_processor_mode 1
		.amdhsa_memory_ordered 1
		.amdhsa_forward_progress 1
		.amdhsa_inst_pref_size 0
		.amdhsa_round_robin_scheduling 0
		.amdhsa_exception_fp_ieee_invalid_op 0
		.amdhsa_exception_fp_denorm_src 0
		.amdhsa_exception_fp_ieee_div_zero 0
		.amdhsa_exception_fp_ieee_overflow 0
		.amdhsa_exception_fp_ieee_underflow 0
		.amdhsa_exception_fp_ieee_inexact 0
		.amdhsa_exception_int_div_zero 0
	.end_amdhsa_kernel
	.section	.text._ZN7rocprim17ROCPRIM_400000_NS6detail17trampoline_kernelINS0_14default_configENS1_25partition_config_selectorILNS1_17partition_subalgoE6EN6thrust23THRUST_200600_302600_NS5tupleIssNS7_9null_typeES9_S9_S9_S9_S9_S9_S9_EENS0_10empty_typeEbEEZZNS1_14partition_implILS5_6ELb0ES3_mNS7_12zip_iteratorINS8_INS7_6detail15normal_iteratorINS7_10device_ptrIsEEEESJ_S9_S9_S9_S9_S9_S9_S9_S9_EEEEPSB_SM_NS0_5tupleIJNSE_INS8_ISJ_NS7_16discard_iteratorINS7_11use_defaultEEES9_S9_S9_S9_S9_S9_S9_S9_EEEESB_EEENSN_IJSM_SM_EEESB_PlJNSF_9not_fun_tINSF_14equal_to_valueISA_EEEEEEE10hipError_tPvRmT3_T4_T5_T6_T7_T9_mT8_P12ihipStream_tbDpT10_ENKUlT_T0_E_clISt17integral_constantIbLb0EES1J_EEDaS1E_S1F_EUlS1E_E_NS1_11comp_targetILNS1_3genE2ELNS1_11target_archE906ELNS1_3gpuE6ELNS1_3repE0EEENS1_30default_config_static_selectorELNS0_4arch9wavefront6targetE0EEEvT1_,"axG",@progbits,_ZN7rocprim17ROCPRIM_400000_NS6detail17trampoline_kernelINS0_14default_configENS1_25partition_config_selectorILNS1_17partition_subalgoE6EN6thrust23THRUST_200600_302600_NS5tupleIssNS7_9null_typeES9_S9_S9_S9_S9_S9_S9_EENS0_10empty_typeEbEEZZNS1_14partition_implILS5_6ELb0ES3_mNS7_12zip_iteratorINS8_INS7_6detail15normal_iteratorINS7_10device_ptrIsEEEESJ_S9_S9_S9_S9_S9_S9_S9_S9_EEEEPSB_SM_NS0_5tupleIJNSE_INS8_ISJ_NS7_16discard_iteratorINS7_11use_defaultEEES9_S9_S9_S9_S9_S9_S9_S9_EEEESB_EEENSN_IJSM_SM_EEESB_PlJNSF_9not_fun_tINSF_14equal_to_valueISA_EEEEEEE10hipError_tPvRmT3_T4_T5_T6_T7_T9_mT8_P12ihipStream_tbDpT10_ENKUlT_T0_E_clISt17integral_constantIbLb0EES1J_EEDaS1E_S1F_EUlS1E_E_NS1_11comp_targetILNS1_3genE2ELNS1_11target_archE906ELNS1_3gpuE6ELNS1_3repE0EEENS1_30default_config_static_selectorELNS0_4arch9wavefront6targetE0EEEvT1_,comdat
.Lfunc_end2049:
	.size	_ZN7rocprim17ROCPRIM_400000_NS6detail17trampoline_kernelINS0_14default_configENS1_25partition_config_selectorILNS1_17partition_subalgoE6EN6thrust23THRUST_200600_302600_NS5tupleIssNS7_9null_typeES9_S9_S9_S9_S9_S9_S9_EENS0_10empty_typeEbEEZZNS1_14partition_implILS5_6ELb0ES3_mNS7_12zip_iteratorINS8_INS7_6detail15normal_iteratorINS7_10device_ptrIsEEEESJ_S9_S9_S9_S9_S9_S9_S9_S9_EEEEPSB_SM_NS0_5tupleIJNSE_INS8_ISJ_NS7_16discard_iteratorINS7_11use_defaultEEES9_S9_S9_S9_S9_S9_S9_S9_EEEESB_EEENSN_IJSM_SM_EEESB_PlJNSF_9not_fun_tINSF_14equal_to_valueISA_EEEEEEE10hipError_tPvRmT3_T4_T5_T6_T7_T9_mT8_P12ihipStream_tbDpT10_ENKUlT_T0_E_clISt17integral_constantIbLb0EES1J_EEDaS1E_S1F_EUlS1E_E_NS1_11comp_targetILNS1_3genE2ELNS1_11target_archE906ELNS1_3gpuE6ELNS1_3repE0EEENS1_30default_config_static_selectorELNS0_4arch9wavefront6targetE0EEEvT1_, .Lfunc_end2049-_ZN7rocprim17ROCPRIM_400000_NS6detail17trampoline_kernelINS0_14default_configENS1_25partition_config_selectorILNS1_17partition_subalgoE6EN6thrust23THRUST_200600_302600_NS5tupleIssNS7_9null_typeES9_S9_S9_S9_S9_S9_S9_EENS0_10empty_typeEbEEZZNS1_14partition_implILS5_6ELb0ES3_mNS7_12zip_iteratorINS8_INS7_6detail15normal_iteratorINS7_10device_ptrIsEEEESJ_S9_S9_S9_S9_S9_S9_S9_S9_EEEEPSB_SM_NS0_5tupleIJNSE_INS8_ISJ_NS7_16discard_iteratorINS7_11use_defaultEEES9_S9_S9_S9_S9_S9_S9_S9_EEEESB_EEENSN_IJSM_SM_EEESB_PlJNSF_9not_fun_tINSF_14equal_to_valueISA_EEEEEEE10hipError_tPvRmT3_T4_T5_T6_T7_T9_mT8_P12ihipStream_tbDpT10_ENKUlT_T0_E_clISt17integral_constantIbLb0EES1J_EEDaS1E_S1F_EUlS1E_E_NS1_11comp_targetILNS1_3genE2ELNS1_11target_archE906ELNS1_3gpuE6ELNS1_3repE0EEENS1_30default_config_static_selectorELNS0_4arch9wavefront6targetE0EEEvT1_
                                        ; -- End function
	.set _ZN7rocprim17ROCPRIM_400000_NS6detail17trampoline_kernelINS0_14default_configENS1_25partition_config_selectorILNS1_17partition_subalgoE6EN6thrust23THRUST_200600_302600_NS5tupleIssNS7_9null_typeES9_S9_S9_S9_S9_S9_S9_EENS0_10empty_typeEbEEZZNS1_14partition_implILS5_6ELb0ES3_mNS7_12zip_iteratorINS8_INS7_6detail15normal_iteratorINS7_10device_ptrIsEEEESJ_S9_S9_S9_S9_S9_S9_S9_S9_EEEEPSB_SM_NS0_5tupleIJNSE_INS8_ISJ_NS7_16discard_iteratorINS7_11use_defaultEEES9_S9_S9_S9_S9_S9_S9_S9_EEEESB_EEENSN_IJSM_SM_EEESB_PlJNSF_9not_fun_tINSF_14equal_to_valueISA_EEEEEEE10hipError_tPvRmT3_T4_T5_T6_T7_T9_mT8_P12ihipStream_tbDpT10_ENKUlT_T0_E_clISt17integral_constantIbLb0EES1J_EEDaS1E_S1F_EUlS1E_E_NS1_11comp_targetILNS1_3genE2ELNS1_11target_archE906ELNS1_3gpuE6ELNS1_3repE0EEENS1_30default_config_static_selectorELNS0_4arch9wavefront6targetE0EEEvT1_.num_vgpr, 0
	.set _ZN7rocprim17ROCPRIM_400000_NS6detail17trampoline_kernelINS0_14default_configENS1_25partition_config_selectorILNS1_17partition_subalgoE6EN6thrust23THRUST_200600_302600_NS5tupleIssNS7_9null_typeES9_S9_S9_S9_S9_S9_S9_EENS0_10empty_typeEbEEZZNS1_14partition_implILS5_6ELb0ES3_mNS7_12zip_iteratorINS8_INS7_6detail15normal_iteratorINS7_10device_ptrIsEEEESJ_S9_S9_S9_S9_S9_S9_S9_S9_EEEEPSB_SM_NS0_5tupleIJNSE_INS8_ISJ_NS7_16discard_iteratorINS7_11use_defaultEEES9_S9_S9_S9_S9_S9_S9_S9_EEEESB_EEENSN_IJSM_SM_EEESB_PlJNSF_9not_fun_tINSF_14equal_to_valueISA_EEEEEEE10hipError_tPvRmT3_T4_T5_T6_T7_T9_mT8_P12ihipStream_tbDpT10_ENKUlT_T0_E_clISt17integral_constantIbLb0EES1J_EEDaS1E_S1F_EUlS1E_E_NS1_11comp_targetILNS1_3genE2ELNS1_11target_archE906ELNS1_3gpuE6ELNS1_3repE0EEENS1_30default_config_static_selectorELNS0_4arch9wavefront6targetE0EEEvT1_.num_agpr, 0
	.set _ZN7rocprim17ROCPRIM_400000_NS6detail17trampoline_kernelINS0_14default_configENS1_25partition_config_selectorILNS1_17partition_subalgoE6EN6thrust23THRUST_200600_302600_NS5tupleIssNS7_9null_typeES9_S9_S9_S9_S9_S9_S9_EENS0_10empty_typeEbEEZZNS1_14partition_implILS5_6ELb0ES3_mNS7_12zip_iteratorINS8_INS7_6detail15normal_iteratorINS7_10device_ptrIsEEEESJ_S9_S9_S9_S9_S9_S9_S9_S9_EEEEPSB_SM_NS0_5tupleIJNSE_INS8_ISJ_NS7_16discard_iteratorINS7_11use_defaultEEES9_S9_S9_S9_S9_S9_S9_S9_EEEESB_EEENSN_IJSM_SM_EEESB_PlJNSF_9not_fun_tINSF_14equal_to_valueISA_EEEEEEE10hipError_tPvRmT3_T4_T5_T6_T7_T9_mT8_P12ihipStream_tbDpT10_ENKUlT_T0_E_clISt17integral_constantIbLb0EES1J_EEDaS1E_S1F_EUlS1E_E_NS1_11comp_targetILNS1_3genE2ELNS1_11target_archE906ELNS1_3gpuE6ELNS1_3repE0EEENS1_30default_config_static_selectorELNS0_4arch9wavefront6targetE0EEEvT1_.numbered_sgpr, 0
	.set _ZN7rocprim17ROCPRIM_400000_NS6detail17trampoline_kernelINS0_14default_configENS1_25partition_config_selectorILNS1_17partition_subalgoE6EN6thrust23THRUST_200600_302600_NS5tupleIssNS7_9null_typeES9_S9_S9_S9_S9_S9_S9_EENS0_10empty_typeEbEEZZNS1_14partition_implILS5_6ELb0ES3_mNS7_12zip_iteratorINS8_INS7_6detail15normal_iteratorINS7_10device_ptrIsEEEESJ_S9_S9_S9_S9_S9_S9_S9_S9_EEEEPSB_SM_NS0_5tupleIJNSE_INS8_ISJ_NS7_16discard_iteratorINS7_11use_defaultEEES9_S9_S9_S9_S9_S9_S9_S9_EEEESB_EEENSN_IJSM_SM_EEESB_PlJNSF_9not_fun_tINSF_14equal_to_valueISA_EEEEEEE10hipError_tPvRmT3_T4_T5_T6_T7_T9_mT8_P12ihipStream_tbDpT10_ENKUlT_T0_E_clISt17integral_constantIbLb0EES1J_EEDaS1E_S1F_EUlS1E_E_NS1_11comp_targetILNS1_3genE2ELNS1_11target_archE906ELNS1_3gpuE6ELNS1_3repE0EEENS1_30default_config_static_selectorELNS0_4arch9wavefront6targetE0EEEvT1_.num_named_barrier, 0
	.set _ZN7rocprim17ROCPRIM_400000_NS6detail17trampoline_kernelINS0_14default_configENS1_25partition_config_selectorILNS1_17partition_subalgoE6EN6thrust23THRUST_200600_302600_NS5tupleIssNS7_9null_typeES9_S9_S9_S9_S9_S9_S9_EENS0_10empty_typeEbEEZZNS1_14partition_implILS5_6ELb0ES3_mNS7_12zip_iteratorINS8_INS7_6detail15normal_iteratorINS7_10device_ptrIsEEEESJ_S9_S9_S9_S9_S9_S9_S9_S9_EEEEPSB_SM_NS0_5tupleIJNSE_INS8_ISJ_NS7_16discard_iteratorINS7_11use_defaultEEES9_S9_S9_S9_S9_S9_S9_S9_EEEESB_EEENSN_IJSM_SM_EEESB_PlJNSF_9not_fun_tINSF_14equal_to_valueISA_EEEEEEE10hipError_tPvRmT3_T4_T5_T6_T7_T9_mT8_P12ihipStream_tbDpT10_ENKUlT_T0_E_clISt17integral_constantIbLb0EES1J_EEDaS1E_S1F_EUlS1E_E_NS1_11comp_targetILNS1_3genE2ELNS1_11target_archE906ELNS1_3gpuE6ELNS1_3repE0EEENS1_30default_config_static_selectorELNS0_4arch9wavefront6targetE0EEEvT1_.private_seg_size, 0
	.set _ZN7rocprim17ROCPRIM_400000_NS6detail17trampoline_kernelINS0_14default_configENS1_25partition_config_selectorILNS1_17partition_subalgoE6EN6thrust23THRUST_200600_302600_NS5tupleIssNS7_9null_typeES9_S9_S9_S9_S9_S9_S9_EENS0_10empty_typeEbEEZZNS1_14partition_implILS5_6ELb0ES3_mNS7_12zip_iteratorINS8_INS7_6detail15normal_iteratorINS7_10device_ptrIsEEEESJ_S9_S9_S9_S9_S9_S9_S9_S9_EEEEPSB_SM_NS0_5tupleIJNSE_INS8_ISJ_NS7_16discard_iteratorINS7_11use_defaultEEES9_S9_S9_S9_S9_S9_S9_S9_EEEESB_EEENSN_IJSM_SM_EEESB_PlJNSF_9not_fun_tINSF_14equal_to_valueISA_EEEEEEE10hipError_tPvRmT3_T4_T5_T6_T7_T9_mT8_P12ihipStream_tbDpT10_ENKUlT_T0_E_clISt17integral_constantIbLb0EES1J_EEDaS1E_S1F_EUlS1E_E_NS1_11comp_targetILNS1_3genE2ELNS1_11target_archE906ELNS1_3gpuE6ELNS1_3repE0EEENS1_30default_config_static_selectorELNS0_4arch9wavefront6targetE0EEEvT1_.uses_vcc, 0
	.set _ZN7rocprim17ROCPRIM_400000_NS6detail17trampoline_kernelINS0_14default_configENS1_25partition_config_selectorILNS1_17partition_subalgoE6EN6thrust23THRUST_200600_302600_NS5tupleIssNS7_9null_typeES9_S9_S9_S9_S9_S9_S9_EENS0_10empty_typeEbEEZZNS1_14partition_implILS5_6ELb0ES3_mNS7_12zip_iteratorINS8_INS7_6detail15normal_iteratorINS7_10device_ptrIsEEEESJ_S9_S9_S9_S9_S9_S9_S9_S9_EEEEPSB_SM_NS0_5tupleIJNSE_INS8_ISJ_NS7_16discard_iteratorINS7_11use_defaultEEES9_S9_S9_S9_S9_S9_S9_S9_EEEESB_EEENSN_IJSM_SM_EEESB_PlJNSF_9not_fun_tINSF_14equal_to_valueISA_EEEEEEE10hipError_tPvRmT3_T4_T5_T6_T7_T9_mT8_P12ihipStream_tbDpT10_ENKUlT_T0_E_clISt17integral_constantIbLb0EES1J_EEDaS1E_S1F_EUlS1E_E_NS1_11comp_targetILNS1_3genE2ELNS1_11target_archE906ELNS1_3gpuE6ELNS1_3repE0EEENS1_30default_config_static_selectorELNS0_4arch9wavefront6targetE0EEEvT1_.uses_flat_scratch, 0
	.set _ZN7rocprim17ROCPRIM_400000_NS6detail17trampoline_kernelINS0_14default_configENS1_25partition_config_selectorILNS1_17partition_subalgoE6EN6thrust23THRUST_200600_302600_NS5tupleIssNS7_9null_typeES9_S9_S9_S9_S9_S9_S9_EENS0_10empty_typeEbEEZZNS1_14partition_implILS5_6ELb0ES3_mNS7_12zip_iteratorINS8_INS7_6detail15normal_iteratorINS7_10device_ptrIsEEEESJ_S9_S9_S9_S9_S9_S9_S9_S9_EEEEPSB_SM_NS0_5tupleIJNSE_INS8_ISJ_NS7_16discard_iteratorINS7_11use_defaultEEES9_S9_S9_S9_S9_S9_S9_S9_EEEESB_EEENSN_IJSM_SM_EEESB_PlJNSF_9not_fun_tINSF_14equal_to_valueISA_EEEEEEE10hipError_tPvRmT3_T4_T5_T6_T7_T9_mT8_P12ihipStream_tbDpT10_ENKUlT_T0_E_clISt17integral_constantIbLb0EES1J_EEDaS1E_S1F_EUlS1E_E_NS1_11comp_targetILNS1_3genE2ELNS1_11target_archE906ELNS1_3gpuE6ELNS1_3repE0EEENS1_30default_config_static_selectorELNS0_4arch9wavefront6targetE0EEEvT1_.has_dyn_sized_stack, 0
	.set _ZN7rocprim17ROCPRIM_400000_NS6detail17trampoline_kernelINS0_14default_configENS1_25partition_config_selectorILNS1_17partition_subalgoE6EN6thrust23THRUST_200600_302600_NS5tupleIssNS7_9null_typeES9_S9_S9_S9_S9_S9_S9_EENS0_10empty_typeEbEEZZNS1_14partition_implILS5_6ELb0ES3_mNS7_12zip_iteratorINS8_INS7_6detail15normal_iteratorINS7_10device_ptrIsEEEESJ_S9_S9_S9_S9_S9_S9_S9_S9_EEEEPSB_SM_NS0_5tupleIJNSE_INS8_ISJ_NS7_16discard_iteratorINS7_11use_defaultEEES9_S9_S9_S9_S9_S9_S9_S9_EEEESB_EEENSN_IJSM_SM_EEESB_PlJNSF_9not_fun_tINSF_14equal_to_valueISA_EEEEEEE10hipError_tPvRmT3_T4_T5_T6_T7_T9_mT8_P12ihipStream_tbDpT10_ENKUlT_T0_E_clISt17integral_constantIbLb0EES1J_EEDaS1E_S1F_EUlS1E_E_NS1_11comp_targetILNS1_3genE2ELNS1_11target_archE906ELNS1_3gpuE6ELNS1_3repE0EEENS1_30default_config_static_selectorELNS0_4arch9wavefront6targetE0EEEvT1_.has_recursion, 0
	.set _ZN7rocprim17ROCPRIM_400000_NS6detail17trampoline_kernelINS0_14default_configENS1_25partition_config_selectorILNS1_17partition_subalgoE6EN6thrust23THRUST_200600_302600_NS5tupleIssNS7_9null_typeES9_S9_S9_S9_S9_S9_S9_EENS0_10empty_typeEbEEZZNS1_14partition_implILS5_6ELb0ES3_mNS7_12zip_iteratorINS8_INS7_6detail15normal_iteratorINS7_10device_ptrIsEEEESJ_S9_S9_S9_S9_S9_S9_S9_S9_EEEEPSB_SM_NS0_5tupleIJNSE_INS8_ISJ_NS7_16discard_iteratorINS7_11use_defaultEEES9_S9_S9_S9_S9_S9_S9_S9_EEEESB_EEENSN_IJSM_SM_EEESB_PlJNSF_9not_fun_tINSF_14equal_to_valueISA_EEEEEEE10hipError_tPvRmT3_T4_T5_T6_T7_T9_mT8_P12ihipStream_tbDpT10_ENKUlT_T0_E_clISt17integral_constantIbLb0EES1J_EEDaS1E_S1F_EUlS1E_E_NS1_11comp_targetILNS1_3genE2ELNS1_11target_archE906ELNS1_3gpuE6ELNS1_3repE0EEENS1_30default_config_static_selectorELNS0_4arch9wavefront6targetE0EEEvT1_.has_indirect_call, 0
	.section	.AMDGPU.csdata,"",@progbits
; Kernel info:
; codeLenInByte = 0
; TotalNumSgprs: 0
; NumVgprs: 0
; ScratchSize: 0
; MemoryBound: 0
; FloatMode: 240
; IeeeMode: 1
; LDSByteSize: 0 bytes/workgroup (compile time only)
; SGPRBlocks: 0
; VGPRBlocks: 0
; NumSGPRsForWavesPerEU: 1
; NumVGPRsForWavesPerEU: 1
; Occupancy: 16
; WaveLimiterHint : 0
; COMPUTE_PGM_RSRC2:SCRATCH_EN: 0
; COMPUTE_PGM_RSRC2:USER_SGPR: 2
; COMPUTE_PGM_RSRC2:TRAP_HANDLER: 0
; COMPUTE_PGM_RSRC2:TGID_X_EN: 1
; COMPUTE_PGM_RSRC2:TGID_Y_EN: 0
; COMPUTE_PGM_RSRC2:TGID_Z_EN: 0
; COMPUTE_PGM_RSRC2:TIDIG_COMP_CNT: 0
	.section	.text._ZN7rocprim17ROCPRIM_400000_NS6detail17trampoline_kernelINS0_14default_configENS1_25partition_config_selectorILNS1_17partition_subalgoE6EN6thrust23THRUST_200600_302600_NS5tupleIssNS7_9null_typeES9_S9_S9_S9_S9_S9_S9_EENS0_10empty_typeEbEEZZNS1_14partition_implILS5_6ELb0ES3_mNS7_12zip_iteratorINS8_INS7_6detail15normal_iteratorINS7_10device_ptrIsEEEESJ_S9_S9_S9_S9_S9_S9_S9_S9_EEEEPSB_SM_NS0_5tupleIJNSE_INS8_ISJ_NS7_16discard_iteratorINS7_11use_defaultEEES9_S9_S9_S9_S9_S9_S9_S9_EEEESB_EEENSN_IJSM_SM_EEESB_PlJNSF_9not_fun_tINSF_14equal_to_valueISA_EEEEEEE10hipError_tPvRmT3_T4_T5_T6_T7_T9_mT8_P12ihipStream_tbDpT10_ENKUlT_T0_E_clISt17integral_constantIbLb0EES1J_EEDaS1E_S1F_EUlS1E_E_NS1_11comp_targetILNS1_3genE10ELNS1_11target_archE1200ELNS1_3gpuE4ELNS1_3repE0EEENS1_30default_config_static_selectorELNS0_4arch9wavefront6targetE0EEEvT1_,"axG",@progbits,_ZN7rocprim17ROCPRIM_400000_NS6detail17trampoline_kernelINS0_14default_configENS1_25partition_config_selectorILNS1_17partition_subalgoE6EN6thrust23THRUST_200600_302600_NS5tupleIssNS7_9null_typeES9_S9_S9_S9_S9_S9_S9_EENS0_10empty_typeEbEEZZNS1_14partition_implILS5_6ELb0ES3_mNS7_12zip_iteratorINS8_INS7_6detail15normal_iteratorINS7_10device_ptrIsEEEESJ_S9_S9_S9_S9_S9_S9_S9_S9_EEEEPSB_SM_NS0_5tupleIJNSE_INS8_ISJ_NS7_16discard_iteratorINS7_11use_defaultEEES9_S9_S9_S9_S9_S9_S9_S9_EEEESB_EEENSN_IJSM_SM_EEESB_PlJNSF_9not_fun_tINSF_14equal_to_valueISA_EEEEEEE10hipError_tPvRmT3_T4_T5_T6_T7_T9_mT8_P12ihipStream_tbDpT10_ENKUlT_T0_E_clISt17integral_constantIbLb0EES1J_EEDaS1E_S1F_EUlS1E_E_NS1_11comp_targetILNS1_3genE10ELNS1_11target_archE1200ELNS1_3gpuE4ELNS1_3repE0EEENS1_30default_config_static_selectorELNS0_4arch9wavefront6targetE0EEEvT1_,comdat
	.protected	_ZN7rocprim17ROCPRIM_400000_NS6detail17trampoline_kernelINS0_14default_configENS1_25partition_config_selectorILNS1_17partition_subalgoE6EN6thrust23THRUST_200600_302600_NS5tupleIssNS7_9null_typeES9_S9_S9_S9_S9_S9_S9_EENS0_10empty_typeEbEEZZNS1_14partition_implILS5_6ELb0ES3_mNS7_12zip_iteratorINS8_INS7_6detail15normal_iteratorINS7_10device_ptrIsEEEESJ_S9_S9_S9_S9_S9_S9_S9_S9_EEEEPSB_SM_NS0_5tupleIJNSE_INS8_ISJ_NS7_16discard_iteratorINS7_11use_defaultEEES9_S9_S9_S9_S9_S9_S9_S9_EEEESB_EEENSN_IJSM_SM_EEESB_PlJNSF_9not_fun_tINSF_14equal_to_valueISA_EEEEEEE10hipError_tPvRmT3_T4_T5_T6_T7_T9_mT8_P12ihipStream_tbDpT10_ENKUlT_T0_E_clISt17integral_constantIbLb0EES1J_EEDaS1E_S1F_EUlS1E_E_NS1_11comp_targetILNS1_3genE10ELNS1_11target_archE1200ELNS1_3gpuE4ELNS1_3repE0EEENS1_30default_config_static_selectorELNS0_4arch9wavefront6targetE0EEEvT1_ ; -- Begin function _ZN7rocprim17ROCPRIM_400000_NS6detail17trampoline_kernelINS0_14default_configENS1_25partition_config_selectorILNS1_17partition_subalgoE6EN6thrust23THRUST_200600_302600_NS5tupleIssNS7_9null_typeES9_S9_S9_S9_S9_S9_S9_EENS0_10empty_typeEbEEZZNS1_14partition_implILS5_6ELb0ES3_mNS7_12zip_iteratorINS8_INS7_6detail15normal_iteratorINS7_10device_ptrIsEEEESJ_S9_S9_S9_S9_S9_S9_S9_S9_EEEEPSB_SM_NS0_5tupleIJNSE_INS8_ISJ_NS7_16discard_iteratorINS7_11use_defaultEEES9_S9_S9_S9_S9_S9_S9_S9_EEEESB_EEENSN_IJSM_SM_EEESB_PlJNSF_9not_fun_tINSF_14equal_to_valueISA_EEEEEEE10hipError_tPvRmT3_T4_T5_T6_T7_T9_mT8_P12ihipStream_tbDpT10_ENKUlT_T0_E_clISt17integral_constantIbLb0EES1J_EEDaS1E_S1F_EUlS1E_E_NS1_11comp_targetILNS1_3genE10ELNS1_11target_archE1200ELNS1_3gpuE4ELNS1_3repE0EEENS1_30default_config_static_selectorELNS0_4arch9wavefront6targetE0EEEvT1_
	.globl	_ZN7rocprim17ROCPRIM_400000_NS6detail17trampoline_kernelINS0_14default_configENS1_25partition_config_selectorILNS1_17partition_subalgoE6EN6thrust23THRUST_200600_302600_NS5tupleIssNS7_9null_typeES9_S9_S9_S9_S9_S9_S9_EENS0_10empty_typeEbEEZZNS1_14partition_implILS5_6ELb0ES3_mNS7_12zip_iteratorINS8_INS7_6detail15normal_iteratorINS7_10device_ptrIsEEEESJ_S9_S9_S9_S9_S9_S9_S9_S9_EEEEPSB_SM_NS0_5tupleIJNSE_INS8_ISJ_NS7_16discard_iteratorINS7_11use_defaultEEES9_S9_S9_S9_S9_S9_S9_S9_EEEESB_EEENSN_IJSM_SM_EEESB_PlJNSF_9not_fun_tINSF_14equal_to_valueISA_EEEEEEE10hipError_tPvRmT3_T4_T5_T6_T7_T9_mT8_P12ihipStream_tbDpT10_ENKUlT_T0_E_clISt17integral_constantIbLb0EES1J_EEDaS1E_S1F_EUlS1E_E_NS1_11comp_targetILNS1_3genE10ELNS1_11target_archE1200ELNS1_3gpuE4ELNS1_3repE0EEENS1_30default_config_static_selectorELNS0_4arch9wavefront6targetE0EEEvT1_
	.p2align	8
	.type	_ZN7rocprim17ROCPRIM_400000_NS6detail17trampoline_kernelINS0_14default_configENS1_25partition_config_selectorILNS1_17partition_subalgoE6EN6thrust23THRUST_200600_302600_NS5tupleIssNS7_9null_typeES9_S9_S9_S9_S9_S9_S9_EENS0_10empty_typeEbEEZZNS1_14partition_implILS5_6ELb0ES3_mNS7_12zip_iteratorINS8_INS7_6detail15normal_iteratorINS7_10device_ptrIsEEEESJ_S9_S9_S9_S9_S9_S9_S9_S9_EEEEPSB_SM_NS0_5tupleIJNSE_INS8_ISJ_NS7_16discard_iteratorINS7_11use_defaultEEES9_S9_S9_S9_S9_S9_S9_S9_EEEESB_EEENSN_IJSM_SM_EEESB_PlJNSF_9not_fun_tINSF_14equal_to_valueISA_EEEEEEE10hipError_tPvRmT3_T4_T5_T6_T7_T9_mT8_P12ihipStream_tbDpT10_ENKUlT_T0_E_clISt17integral_constantIbLb0EES1J_EEDaS1E_S1F_EUlS1E_E_NS1_11comp_targetILNS1_3genE10ELNS1_11target_archE1200ELNS1_3gpuE4ELNS1_3repE0EEENS1_30default_config_static_selectorELNS0_4arch9wavefront6targetE0EEEvT1_,@function
_ZN7rocprim17ROCPRIM_400000_NS6detail17trampoline_kernelINS0_14default_configENS1_25partition_config_selectorILNS1_17partition_subalgoE6EN6thrust23THRUST_200600_302600_NS5tupleIssNS7_9null_typeES9_S9_S9_S9_S9_S9_S9_EENS0_10empty_typeEbEEZZNS1_14partition_implILS5_6ELb0ES3_mNS7_12zip_iteratorINS8_INS7_6detail15normal_iteratorINS7_10device_ptrIsEEEESJ_S9_S9_S9_S9_S9_S9_S9_S9_EEEEPSB_SM_NS0_5tupleIJNSE_INS8_ISJ_NS7_16discard_iteratorINS7_11use_defaultEEES9_S9_S9_S9_S9_S9_S9_S9_EEEESB_EEENSN_IJSM_SM_EEESB_PlJNSF_9not_fun_tINSF_14equal_to_valueISA_EEEEEEE10hipError_tPvRmT3_T4_T5_T6_T7_T9_mT8_P12ihipStream_tbDpT10_ENKUlT_T0_E_clISt17integral_constantIbLb0EES1J_EEDaS1E_S1F_EUlS1E_E_NS1_11comp_targetILNS1_3genE10ELNS1_11target_archE1200ELNS1_3gpuE4ELNS1_3repE0EEENS1_30default_config_static_selectorELNS0_4arch9wavefront6targetE0EEEvT1_: ; @_ZN7rocprim17ROCPRIM_400000_NS6detail17trampoline_kernelINS0_14default_configENS1_25partition_config_selectorILNS1_17partition_subalgoE6EN6thrust23THRUST_200600_302600_NS5tupleIssNS7_9null_typeES9_S9_S9_S9_S9_S9_S9_EENS0_10empty_typeEbEEZZNS1_14partition_implILS5_6ELb0ES3_mNS7_12zip_iteratorINS8_INS7_6detail15normal_iteratorINS7_10device_ptrIsEEEESJ_S9_S9_S9_S9_S9_S9_S9_S9_EEEEPSB_SM_NS0_5tupleIJNSE_INS8_ISJ_NS7_16discard_iteratorINS7_11use_defaultEEES9_S9_S9_S9_S9_S9_S9_S9_EEEESB_EEENSN_IJSM_SM_EEESB_PlJNSF_9not_fun_tINSF_14equal_to_valueISA_EEEEEEE10hipError_tPvRmT3_T4_T5_T6_T7_T9_mT8_P12ihipStream_tbDpT10_ENKUlT_T0_E_clISt17integral_constantIbLb0EES1J_EEDaS1E_S1F_EUlS1E_E_NS1_11comp_targetILNS1_3genE10ELNS1_11target_archE1200ELNS1_3gpuE4ELNS1_3repE0EEENS1_30default_config_static_selectorELNS0_4arch9wavefront6targetE0EEEvT1_
; %bb.0:
	v_dual_mov_b32 v1, 0 :: v_dual_lshlrev_b32 v2, 2, v0
	s_clause 0x4
	s_load_b64 s[2:3], s[0:1], 0x18
	s_load_b128 s[4:7], s[0:1], 0x8
	s_load_b128 s[12:15], s[0:1], 0x58
	s_load_b32 s16, s[0:1], 0x80
	s_load_b64 s[8:9], s[0:1], 0x68
	s_mov_b32 s21, 0
	v_lshlrev_b32_e32 v3, 1, v0
	global_load_b32 v1, v1, s[0:1] offset:134
	s_wait_kmcnt 0x0
	s_lshl_b64 s[10:11], s[2:3], 1
	s_load_b64 s[14:15], s[14:15], 0x0
	s_mul_i32 s20, s16, 0xa80
	s_add_nc_u64 s[18:19], s[6:7], s[10:11]
	s_add_nc_u64 s[6:7], s[2:3], s[20:21]
	s_add_co_i32 s2, s20, s2
	s_add_co_i32 s16, s16, -1
	v_cmp_le_u64_e64 s3, s[8:9], s[6:7]
	s_sub_co_i32 s17, s8, s2
	s_cmp_eq_u32 ttmp9, s16
	s_add_nc_u64 s[4:5], s[4:5], s[10:11]
	s_cselect_b32 s11, -1, 0
	s_mul_i32 s20, ttmp9, 0xa80
	s_and_b32 s2, s11, s3
	s_lshl_b64 s[8:9], s[20:21], 1
	s_xor_b32 s16, s2, -1
	s_mov_b32 s6, -1
	s_wait_alu 0xfffe
	s_add_nc_u64 s[2:3], s[4:5], s[8:9]
	s_and_b32 vcc_lo, exec_lo, s16
	s_add_nc_u64 s[4:5], s[18:19], s[8:9]
	s_cbranch_vccz .LBB2050_2
; %bb.1:
	s_clause 0xd
	global_load_u16 v4, v3, s[2:3]
	global_load_u16 v5, v3, s[4:5]
	global_load_u16 v6, v3, s[2:3] offset:768
	global_load_u16 v7, v3, s[2:3] offset:1536
	;; [unrolled: 1-line block ×12, first 2 shown]
	s_mov_b32 s6, 0
	s_wait_loadcnt 0xc
	v_lshl_or_b32 v4, v5, 16, v4
	s_wait_loadcnt 0x5
	v_lshl_or_b32 v5, v12, 16, v6
	;; [unrolled: 2-line block ×7, first 2 shown]
	ds_store_2addr_stride64_b32 v2, v4, v5 offset1:6
	ds_store_2addr_stride64_b32 v2, v6, v7 offset0:12 offset1:18
	ds_store_2addr_stride64_b32 v2, v8, v9 offset0:24 offset1:30
	ds_store_b32 v2, v10 offset:9216
	s_wait_dscnt 0x0
	s_barrier_signal -1
	s_barrier_wait -1
.LBB2050_2:
	s_wait_alu 0xfffe
	s_and_not1_b32 vcc_lo, exec_lo, s6
	s_addk_co_i32 s17, 0xa80
	s_cbranch_vccnz .LBB2050_18
; %bb.3:
	v_dual_mov_b32 v4, 0 :: v_dual_mov_b32 v5, 0
	s_mov_b32 s6, exec_lo
	v_cmpx_gt_u32_e64 s17, v0
	s_cbranch_execz .LBB2050_5
; %bb.4:
	s_clause 0x1
	global_load_u16 v5, v3, s[2:3]
	global_load_u16 v6, v3, s[4:5]
	s_wait_loadcnt 0x0
	v_lshl_or_b32 v5, v6, 16, v5
.LBB2050_5:
	s_wait_alu 0xfffe
	s_or_b32 exec_lo, exec_lo, s6
	v_add_nc_u32_e32 v6, 0x180, v0
	s_mov_b32 s6, exec_lo
	s_delay_alu instid0(VALU_DEP_1)
	v_cmpx_gt_u32_e64 s17, v6
	s_cbranch_execz .LBB2050_7
; %bb.6:
	s_clause 0x1
	global_load_u16 v4, v3, s[2:3] offset:768
	global_load_u16 v6, v3, s[4:5] offset:768
	s_wait_loadcnt 0x0
	v_lshl_or_b32 v4, v6, 16, v4
.LBB2050_7:
	s_wait_alu 0xfffe
	s_or_b32 exec_lo, exec_lo, s6
	v_dual_mov_b32 v6, 0 :: v_dual_add_nc_u32 v7, 0x300, v0
	s_delay_alu instid0(VALU_DEP_1)
	v_cmp_gt_u32_e32 vcc_lo, s17, v7
	v_mov_b32_e32 v7, 0
	s_and_saveexec_b32 s6, vcc_lo
	s_cbranch_execz .LBB2050_9
; %bb.8:
	s_clause 0x1
	global_load_u16 v7, v3, s[2:3] offset:1536
	global_load_u16 v8, v3, s[4:5] offset:1536
	s_wait_loadcnt 0x0
	v_lshl_or_b32 v7, v8, 16, v7
.LBB2050_9:
	s_wait_alu 0xfffe
	s_or_b32 exec_lo, exec_lo, s6
	v_add_nc_u32_e32 v8, 0x480, v0
	s_mov_b32 s6, exec_lo
	s_delay_alu instid0(VALU_DEP_1)
	v_cmpx_gt_u32_e64 s17, v8
	s_cbranch_execz .LBB2050_11
; %bb.10:
	s_clause 0x1
	global_load_u16 v6, v3, s[2:3] offset:2304
	global_load_u16 v8, v3, s[4:5] offset:2304
	s_wait_loadcnt 0x0
	v_lshl_or_b32 v6, v8, 16, v6
.LBB2050_11:
	s_wait_alu 0xfffe
	s_or_b32 exec_lo, exec_lo, s6
	v_or_b32_e32 v9, 0x600, v0
	v_mov_b32_e32 v8, 0
	s_delay_alu instid0(VALU_DEP_2)
	v_cmp_gt_u32_e32 vcc_lo, s17, v9
	v_mov_b32_e32 v9, 0
	s_and_saveexec_b32 s6, vcc_lo
	s_cbranch_execz .LBB2050_13
; %bb.12:
	s_clause 0x1
	global_load_u16 v9, v3, s[2:3] offset:3072
	global_load_u16 v10, v3, s[4:5] offset:3072
	s_wait_loadcnt 0x0
	v_lshl_or_b32 v9, v10, 16, v9
.LBB2050_13:
	s_wait_alu 0xfffe
	s_or_b32 exec_lo, exec_lo, s6
	v_add_nc_u32_e32 v10, 0x780, v0
	s_mov_b32 s6, exec_lo
	s_delay_alu instid0(VALU_DEP_1)
	v_cmpx_gt_u32_e64 s17, v10
	s_cbranch_execz .LBB2050_15
; %bb.14:
	s_clause 0x1
	global_load_u16 v8, v3, s[2:3] offset:3840
	global_load_u16 v10, v3, s[4:5] offset:3840
	s_wait_loadcnt 0x0
	v_lshl_or_b32 v8, v10, 16, v8
.LBB2050_15:
	s_wait_alu 0xfffe
	s_or_b32 exec_lo, exec_lo, s6
	v_add_nc_u32_e32 v10, 0x900, v0
	s_delay_alu instid0(VALU_DEP_1)
	v_cmp_gt_u32_e32 vcc_lo, s17, v10
	v_mov_b32_e32 v10, 0
	s_and_saveexec_b32 s6, vcc_lo
	s_cbranch_execz .LBB2050_17
; %bb.16:
	s_clause 0x1
	global_load_u16 v10, v3, s[2:3] offset:4608
	global_load_u16 v3, v3, s[4:5] offset:4608
	s_wait_loadcnt 0x0
	v_lshl_or_b32 v10, v3, 16, v10
.LBB2050_17:
	s_wait_alu 0xfffe
	s_or_b32 exec_lo, exec_lo, s6
	ds_store_2addr_stride64_b32 v2, v5, v4 offset1:6
	ds_store_2addr_stride64_b32 v2, v7, v6 offset0:12 offset1:18
	ds_store_2addr_stride64_b32 v2, v9, v8 offset0:24 offset1:30
	ds_store_b32 v2, v10 offset:9216
	s_wait_loadcnt_dscnt 0x0
	s_barrier_signal -1
	s_barrier_wait -1
.LBB2050_18:
	v_mul_u32_u24_e32 v2, 7, v0
	s_wait_loadcnt 0x0
	global_inv scope:SCOPE_SE
	v_lshrrev_b32_e32 v3, 16, v1
	s_and_not1_b32 vcc_lo, exec_lo, s16
	v_lshlrev_b32_e32 v33, 2, v2
	ds_load_b32 v29, v33 offset:24
	ds_load_2addr_b32 v[13:14], v33 offset1:1
	ds_load_2addr_b32 v[11:12], v33 offset0:2 offset1:3
	ds_load_2addr_b32 v[9:10], v33 offset0:4 offset1:5
	s_wait_loadcnt_dscnt 0x0
	s_barrier_signal -1
	s_barrier_wait -1
	global_inv scope:SCOPE_SE
	v_lshrrev_b32_e32 v4, 16, v29
	v_lshrrev_b32_e32 v16, 16, v13
	v_lshrrev_b32_e32 v15, 16, v14
	v_cmp_ne_u16_e64 s8, v14, v1
	v_cmp_ne_u16_e64 s6, v13, v1
	v_lshrrev_b32_e32 v8, 16, v11
	v_lshrrev_b32_e32 v7, 16, v12
	v_cmp_ne_u16_e64 s9, v12, v1
	v_cmp_ne_u16_e64 s7, v11, v1
	v_lshrrev_b32_e32 v6, 16, v9
	v_lshrrev_b32_e32 v5, 16, v10
	v_cmp_ne_u16_e64 s5, v10, v1
	v_cmp_ne_u16_e64 s4, v9, v1
	;; [unrolled: 1-line block ×3, first 2 shown]
	v_cmp_ne_u32_e64 s3, v3, v4
	s_cbranch_vccnz .LBB2050_20
; %bb.19:
	v_cmp_ne_u32_e32 vcc_lo, v3, v15
	v_cmp_ne_u32_e64 s10, v3, v7
	s_or_b32 s8, s8, vcc_lo
	v_cmp_ne_u32_e32 vcc_lo, v3, v16
	s_wait_alu 0xfffe
	v_cndmask_b32_e64 v17, 0, 1, s8
	s_or_b32 s8, s9, s10
	v_cmp_ne_u32_e64 s9, v3, v5
	s_wait_alu 0xfffe
	v_cndmask_b32_e64 v18, 0, 1, s8
	v_cmp_ne_u32_e64 s8, v3, v8
	v_lshlrev_b16 v17, 8, v17
	s_or_b32 s6, s6, vcc_lo
	v_cmp_ne_u32_e32 vcc_lo, v3, v6
	v_lshlrev_b16 v18, 8, v18
	s_wait_alu 0xfffe
	v_cndmask_b32_e64 v19, 0, 1, s6
	v_lshrrev_b32_e32 v17, 8, v17
	s_or_b32 s6, s7, s8
	s_or_b32 s5, s5, s9
	v_lshrrev_b32_e32 v18, 8, v18
	s_wait_alu 0xfffe
	v_cndmask_b32_e64 v20, 0, 1, s6
	v_lshlrev_b16 v17, 8, v17
	v_cndmask_b32_e64 v31, 0, 1, s5
	s_or_b32 s4, s4, vcc_lo
	v_lshlrev_b16 v18, 8, v18
	s_or_b32 s8, s2, s3
	v_or_b32_e32 v17, v19, v17
	s_wait_alu 0xfffe
	v_cndmask_b32_e64 v19, 0, 1, s4
	v_or_b32_e32 v18, v20, v18
	v_lshlrev_b16 v20, 8, v31
	v_and_b32_e32 v17, 0xffff, v17
	s_delay_alu instid0(VALU_DEP_3) | instskip(NEXT) | instid1(VALU_DEP_3)
	v_lshlrev_b32_e32 v18, 16, v18
	v_or_b32_e32 v30, v19, v20
	s_delay_alu instid0(VALU_DEP_2)
	v_or_b32_e32 v34, v17, v18
	s_cbranch_execz .LBB2050_21
	s_branch .LBB2050_22
.LBB2050_20:
                                        ; implicit-def: $sgpr8
                                        ; implicit-def: $vgpr31
                                        ; implicit-def: $vgpr30
                                        ; implicit-def: $vgpr34
.LBB2050_21:
	v_cmp_ne_u16_e32 vcc_lo, v13, v1
	v_cmp_ne_u32_e64 s2, v3, v16
	v_add_nc_u32_e32 v16, 1, v2
	v_cmp_ne_u16_e64 s3, v14, v1
	v_cmp_ne_u32_e64 s4, v3, v15
	v_add_nc_u32_e32 v15, 2, v2
	s_or_b32 s6, vcc_lo, s2
	v_cmp_gt_u32_e32 vcc_lo, s17, v16
	v_cmp_gt_u32_e64 s5, s17, v2
	s_or_b32 s4, s3, s4
	v_cmp_ne_u16_e64 s2, v11, v1
	v_cmp_ne_u32_e64 s3, v3, v8
	s_wait_alu 0xfffe
	s_and_b32 s4, vcc_lo, s4
	v_cmp_gt_u32_e32 vcc_lo, s17, v15
	v_add_nc_u32_e32 v15, 3, v2
	s_and_b32 s5, s5, s6
	s_or_b32 s6, s2, s3
	v_cmp_ne_u16_e64 s2, v12, v1
	v_cmp_ne_u32_e64 s3, v3, v7
	s_wait_alu 0xfffe
	s_and_b32 s6, vcc_lo, s6
	v_cmp_gt_u32_e32 vcc_lo, s17, v15
	v_add_nc_u32_e32 v7, 4, v2
	v_cndmask_b32_e64 v8, 0, 1, s5
	s_or_b32 s3, s2, s3
	v_cndmask_b32_e64 v16, 0, 1, s4
	s_and_b32 s3, vcc_lo, s3
	v_cmp_ne_u16_e64 s4, v9, v1
	v_cmp_ne_u32_e64 s5, v3, v6
	v_cmp_gt_u32_e64 s2, s17, v7
	v_add_nc_u32_e32 v7, 5, v2
	v_cndmask_b32_e64 v15, 0, 1, s3
	s_wait_alu 0xfffe
	v_cndmask_b32_e64 v6, 0, 1, s6
	s_or_b32 s4, s4, s5
	v_cmp_ne_u32_e64 s3, v3, v5
	v_cmp_gt_u32_e32 vcc_lo, s17, v7
	v_lshlrev_b16 v7, 8, v16
	v_lshlrev_b16 v15, 8, v15
	s_wait_alu 0xfffe
	s_and_b32 s2, s2, s4
	v_add_nc_u32_e32 v2, 6, v2
	s_wait_alu 0xfffe
	v_cndmask_b32_e64 v30, 0, 1, s2
	v_cmp_ne_u16_e64 s2, v10, v1
	v_cmp_ne_u16_e64 s4, v29, v1
	v_or_b32_e32 v1, v8, v7
	v_or_b32_e32 v5, v6, v15
	v_cmp_ne_u32_e64 s5, v3, v4
	s_or_b32 s3, s2, s3
	v_cmp_gt_u32_e64 s2, s17, v2
	v_and_b32_e32 v1, 0xffff, v1
	v_lshlrev_b32_e32 v2, 16, v5
	s_or_b32 s4, s4, s5
	s_wait_alu 0xfffe
	s_and_b32 s3, vcc_lo, s3
	s_and_b32 s2, s2, s4
	s_wait_alu 0xfffe
	v_cndmask_b32_e64 v31, 0, 1, s3
	v_or_b32_e32 v34, v1, v2
	s_and_not1_b32 s3, s8, exec_lo
	s_and_b32 s2, s2, exec_lo
	s_wait_alu 0xfffe
	s_or_b32 s8, s3, s2
.LBB2050_22:
	s_delay_alu instid0(VALU_DEP_1)
	v_dual_mov_b32 v2, 0 :: v_dual_and_b32 v37, 0xff, v34
	v_bfe_u32 v36, v34, 8, 8
	s_wait_alu 0xfffe
	v_cndmask_b32_e64 v1, 0, 1, s8
	v_bfe_u32 v39, v34, 16, 8
	v_lshrrev_b32_e32 v32, 24, v34
	s_load_b64 s[6:7], s[0:1], 0x78
	v_and_b32_e32 v38, 0xff, v30
	v_add3_u32 v1, v37, v1, v36
	v_mbcnt_lo_u32_b32 v40, -1, 0
	v_and_b32_e32 v35, 0xff, v31
	s_cmp_lg_u32 ttmp9, 0
	s_mov_b32 s3, -1
	v_add_co_u32 v1, s2, v1, v39
	s_wait_alu 0xf1ff
	v_add_co_ci_u32_e64 v3, null, 0, 0, s2
	v_and_b32_e32 v41, 15, v40
	s_delay_alu instid0(VALU_DEP_3) | instskip(NEXT) | instid1(VALU_DEP_1)
	v_add_co_u32 v1, vcc_lo, v1, v32
	v_add_co_ci_u32_e64 v3, null, 0, v3, vcc_lo
	s_delay_alu instid0(VALU_DEP_3) | instskip(NEXT) | instid1(VALU_DEP_3)
	v_cmp_ne_u32_e64 s2, 0, v41
	v_add_co_u32 v1, vcc_lo, v1, v38
	s_wait_alu 0xfffd
	s_delay_alu instid0(VALU_DEP_3) | instskip(NEXT) | instid1(VALU_DEP_2)
	v_add_co_ci_u32_e64 v3, null, 0, v3, vcc_lo
	v_add_co_u32 v15, vcc_lo, v1, v35
	s_wait_alu 0xfffd
	s_delay_alu instid0(VALU_DEP_2)
	v_add_co_ci_u32_e64 v16, null, 0, v3, vcc_lo
	s_cbranch_scc0 .LBB2050_81
; %bb.23:
	v_mov_b32_e32 v3, v15
	v_mov_b32_dpp v1, v15 row_shr:1 row_mask:0xf bank_mask:0xf
	v_mov_b32_dpp v6, v2 row_shr:1 row_mask:0xf bank_mask:0xf
	v_dual_mov_b32 v5, v15 :: v_dual_mov_b32 v4, v16
	s_and_saveexec_b32 s3, s2
; %bb.24:
	s_delay_alu instid0(VALU_DEP_3) | instskip(SKIP_2) | instid1(VALU_DEP_2)
	v_add_co_u32 v5, vcc_lo, v15, v1
	s_wait_alu 0xfffd
	v_add_co_ci_u32_e64 v2, null, 0, v16, vcc_lo
	v_add_co_u32 v1, vcc_lo, 0, v5
	s_wait_alu 0xfffd
	s_delay_alu instid0(VALU_DEP_2) | instskip(NEXT) | instid1(VALU_DEP_1)
	v_add_co_ci_u32_e64 v2, null, v6, v2, vcc_lo
	v_dual_mov_b32 v4, v2 :: v_dual_mov_b32 v3, v1
; %bb.25:
	s_wait_alu 0xfffe
	s_or_b32 exec_lo, exec_lo, s3
	v_mov_b32_dpp v1, v5 row_shr:2 row_mask:0xf bank_mask:0xf
	v_mov_b32_dpp v6, v2 row_shr:2 row_mask:0xf bank_mask:0xf
	v_cmp_lt_u32_e32 vcc_lo, 1, v41
	s_and_saveexec_b32 s4, vcc_lo
; %bb.26:
	s_delay_alu instid0(VALU_DEP_3) | instskip(SKIP_2) | instid1(VALU_DEP_2)
	v_add_co_u32 v5, s3, v3, v1
	s_wait_alu 0xf1ff
	v_add_co_ci_u32_e64 v2, null, 0, v4, s3
	v_add_co_u32 v1, s3, 0, v5
	s_wait_alu 0xf1ff
	s_delay_alu instid0(VALU_DEP_2) | instskip(NEXT) | instid1(VALU_DEP_1)
	v_add_co_ci_u32_e64 v2, null, v6, v2, s3
	v_dual_mov_b32 v4, v2 :: v_dual_mov_b32 v3, v1
; %bb.27:
	s_wait_alu 0xfffe
	s_or_b32 exec_lo, exec_lo, s4
	v_mov_b32_dpp v1, v5 row_shr:4 row_mask:0xf bank_mask:0xf
	v_mov_b32_dpp v6, v2 row_shr:4 row_mask:0xf bank_mask:0xf
	v_cmp_lt_u32_e64 s3, 3, v41
	s_and_saveexec_b32 s5, s3
; %bb.28:
	v_add_co_u32 v5, s4, v3, v1
	s_wait_alu 0xf1ff
	v_add_co_ci_u32_e64 v2, null, 0, v4, s4
	s_delay_alu instid0(VALU_DEP_2) | instskip(SKIP_1) | instid1(VALU_DEP_2)
	v_add_co_u32 v1, s4, 0, v5
	s_wait_alu 0xf1ff
	v_add_co_ci_u32_e64 v2, null, v6, v2, s4
	s_delay_alu instid0(VALU_DEP_1)
	v_dual_mov_b32 v4, v2 :: v_dual_mov_b32 v3, v1
; %bb.29:
	s_wait_alu 0xfffe
	s_or_b32 exec_lo, exec_lo, s5
	v_mov_b32_dpp v6, v5 row_shr:8 row_mask:0xf bank_mask:0xf
	v_mov_b32_dpp v1, v2 row_shr:8 row_mask:0xf bank_mask:0xf
	v_cmp_lt_u32_e64 s4, 7, v41
	s_and_saveexec_b32 s9, s4
; %bb.30:
	v_add_co_u32 v5, s5, v3, v6
	s_wait_alu 0xf1ff
	v_add_co_ci_u32_e64 v2, null, 0, v4, s5
	s_delay_alu instid0(VALU_DEP_2) | instskip(SKIP_1) | instid1(VALU_DEP_2)
	v_add_co_u32 v3, s5, 0, v5
	s_wait_alu 0xf1ff
	v_add_co_ci_u32_e64 v4, null, v1, v2, s5
	s_delay_alu instid0(VALU_DEP_1)
	v_mov_b32_e32 v2, v4
; %bb.31:
	s_wait_alu 0xfffe
	s_or_b32 exec_lo, exec_lo, s9
	ds_swizzle_b32 v1, v5 offset:swizzle(BROADCAST,32,15)
	ds_swizzle_b32 v6, v2 offset:swizzle(BROADCAST,32,15)
	v_and_b32_e32 v7, 16, v40
	s_mov_b32 s9, exec_lo
	s_delay_alu instid0(VALU_DEP_1)
	v_cmpx_ne_u32_e32 0, v7
	s_cbranch_execz .LBB2050_33
; %bb.32:
	s_wait_dscnt 0x1
	v_add_co_u32 v5, s5, v3, v1
	s_wait_alu 0xf1ff
	v_add_co_ci_u32_e64 v2, null, 0, v4, s5
	s_delay_alu instid0(VALU_DEP_2) | instskip(SKIP_2) | instid1(VALU_DEP_2)
	v_add_co_u32 v1, s5, 0, v5
	s_wait_dscnt 0x0
	s_wait_alu 0xf1ff
	v_add_co_ci_u32_e64 v2, null, v6, v2, s5
	s_delay_alu instid0(VALU_DEP_1)
	v_dual_mov_b32 v4, v2 :: v_dual_mov_b32 v3, v1
.LBB2050_33:
	s_wait_alu 0xfffe
	s_or_b32 exec_lo, exec_lo, s9
	s_wait_dscnt 0x1
	v_and_b32_e32 v1, 0x1e0, v0
	s_mov_b32 s9, exec_lo
	s_delay_alu instid0(VALU_DEP_1) | instskip(SKIP_1) | instid1(VALU_DEP_1)
	v_min_u32_e32 v1, 0x160, v1
	s_wait_dscnt 0x0
	v_or_b32_e32 v6, 31, v1
	v_lshrrev_b32_e32 v1, 5, v0
	s_delay_alu instid0(VALU_DEP_2)
	v_cmpx_eq_u32_e64 v0, v6
; %bb.34:
	s_delay_alu instid0(VALU_DEP_2)
	v_lshlrev_b32_e32 v6, 3, v1
	ds_store_b64 v6, v[3:4]
; %bb.35:
	s_wait_alu 0xfffe
	s_or_b32 exec_lo, exec_lo, s9
	s_delay_alu instid0(SALU_CYCLE_1)
	s_mov_b32 s9, exec_lo
	s_wait_loadcnt_dscnt 0x0
	s_barrier_signal -1
	s_barrier_wait -1
	global_inv scope:SCOPE_SE
	v_cmpx_gt_u32_e32 12, v0
	s_cbranch_execz .LBB2050_45
; %bb.36:
	v_lshlrev_b32_e32 v6, 3, v0
	ds_load_b64 v[3:4], v6
	s_wait_dscnt 0x0
	v_mov_b32_dpp v17, v3 row_shr:1 row_mask:0xf bank_mask:0xf
	v_mov_b32_dpp v8, v4 row_shr:1 row_mask:0xf bank_mask:0xf
	v_mov_b32_e32 v7, v3
	s_and_saveexec_b32 s10, s2
; %bb.37:
	s_delay_alu instid0(VALU_DEP_3) | instskip(SKIP_2) | instid1(VALU_DEP_2)
	v_add_co_u32 v7, s5, v3, v17
	s_wait_alu 0xf1ff
	v_add_co_ci_u32_e64 v4, null, 0, v4, s5
	v_add_co_u32 v3, s5, 0, v7
	s_wait_alu 0xf1ff
	s_delay_alu instid0(VALU_DEP_2)
	v_add_co_ci_u32_e64 v4, null, v8, v4, s5
; %bb.38:
	s_or_b32 exec_lo, exec_lo, s10
	v_mov_b32_dpp v17, v7 row_shr:2 row_mask:0xf bank_mask:0xf
	s_delay_alu instid0(VALU_DEP_2)
	v_mov_b32_dpp v8, v4 row_shr:2 row_mask:0xf bank_mask:0xf
	s_and_saveexec_b32 s5, vcc_lo
; %bb.39:
	s_delay_alu instid0(VALU_DEP_2) | instskip(SKIP_2) | instid1(VALU_DEP_2)
	v_add_co_u32 v7, vcc_lo, v3, v17
	s_wait_alu 0xfffd
	v_add_co_ci_u32_e64 v4, null, 0, v4, vcc_lo
	v_add_co_u32 v3, vcc_lo, 0, v7
	s_wait_alu 0xfffd
	s_delay_alu instid0(VALU_DEP_2)
	v_add_co_ci_u32_e64 v4, null, v8, v4, vcc_lo
; %bb.40:
	s_wait_alu 0xfffe
	s_or_b32 exec_lo, exec_lo, s5
	v_mov_b32_dpp v17, v7 row_shr:4 row_mask:0xf bank_mask:0xf
	s_delay_alu instid0(VALU_DEP_2)
	v_mov_b32_dpp v8, v4 row_shr:4 row_mask:0xf bank_mask:0xf
	s_and_saveexec_b32 s5, s3
; %bb.41:
	s_delay_alu instid0(VALU_DEP_2) | instskip(SKIP_2) | instid1(VALU_DEP_2)
	v_add_co_u32 v7, vcc_lo, v3, v17
	s_wait_alu 0xfffd
	v_add_co_ci_u32_e64 v4, null, 0, v4, vcc_lo
	v_add_co_u32 v3, vcc_lo, 0, v7
	s_wait_alu 0xfffd
	s_delay_alu instid0(VALU_DEP_2)
	v_add_co_ci_u32_e64 v4, null, v8, v4, vcc_lo
; %bb.42:
	s_wait_alu 0xfffe
	s_or_b32 exec_lo, exec_lo, s5
	v_mov_b32_dpp v8, v7 row_shr:8 row_mask:0xf bank_mask:0xf
	s_delay_alu instid0(VALU_DEP_2)
	v_mov_b32_dpp v7, v4 row_shr:8 row_mask:0xf bank_mask:0xf
	s_and_saveexec_b32 s3, s4
; %bb.43:
	s_delay_alu instid0(VALU_DEP_2) | instskip(SKIP_2) | instid1(VALU_DEP_2)
	v_add_co_u32 v3, vcc_lo, v3, v8
	s_wait_alu 0xfffd
	v_add_co_ci_u32_e64 v4, null, 0, v4, vcc_lo
	v_add_co_u32 v3, vcc_lo, v3, 0
	s_wait_alu 0xfffd
	s_delay_alu instid0(VALU_DEP_2)
	v_add_co_ci_u32_e64 v4, null, v4, v7, vcc_lo
; %bb.44:
	s_wait_alu 0xfffe
	s_or_b32 exec_lo, exec_lo, s3
	ds_store_b64 v6, v[3:4]
.LBB2050_45:
	s_wait_alu 0xfffe
	s_or_b32 exec_lo, exec_lo, s9
	s_delay_alu instid0(SALU_CYCLE_1)
	s_mov_b32 s4, exec_lo
	v_cmp_gt_u32_e32 vcc_lo, 32, v0
	s_wait_loadcnt_dscnt 0x0
	s_barrier_signal -1
	s_barrier_wait -1
	global_inv scope:SCOPE_SE
                                        ; implicit-def: $vgpr17_vgpr18
	v_cmpx_lt_u32_e32 31, v0
	s_cbranch_execz .LBB2050_47
; %bb.46:
	v_lshl_add_u32 v1, v1, 3, -8
	ds_load_b64 v[17:18], v1
	s_wait_dscnt 0x0
	v_add_co_u32 v5, s3, v5, v17
	s_wait_alu 0xf1ff
	v_add_co_ci_u32_e64 v2, null, v2, v18, s3
.LBB2050_47:
	s_wait_alu 0xfffe
	s_or_b32 exec_lo, exec_lo, s4
	v_sub_co_u32 v1, s3, v40, 1
	s_delay_alu instid0(VALU_DEP_1) | instskip(SKIP_1) | instid1(VALU_DEP_1)
	v_cmp_gt_i32_e64 s4, 0, v1
	s_wait_alu 0xf1ff
	v_cndmask_b32_e64 v1, v1, v40, s4
	s_delay_alu instid0(VALU_DEP_1)
	v_lshlrev_b32_e32 v1, 2, v1
	ds_bpermute_b32 v23, v1, v5
	ds_bpermute_b32 v24, v1, v2
	s_and_saveexec_b32 s4, vcc_lo
	s_cbranch_execz .LBB2050_86
; %bb.48:
	v_mov_b32_e32 v4, 0
	ds_load_b64 v[1:2], v4 offset:88
	s_and_saveexec_b32 s5, s3
	s_cbranch_execz .LBB2050_50
; %bb.49:
	s_add_co_i32 s18, ttmp9, 32
	s_mov_b32 s19, 0
	s_delay_alu instid0(SALU_CYCLE_1)
	s_lshl_b64 s[18:19], s[18:19], 4
	s_wait_kmcnt 0x0
	s_add_nc_u64 s[18:19], s[6:7], s[18:19]
	v_mov_b32_e32 v3, 1
	v_dual_mov_b32 v5, s18 :: v_dual_mov_b32 v6, s19
	s_wait_dscnt 0x0
	;;#ASMSTART
	global_store_b128 v[5:6], v[1:4] off scope:SCOPE_DEV	
s_wait_storecnt 0x0
	;;#ASMEND
.LBB2050_50:
	s_wait_alu 0xfffe
	s_or_b32 exec_lo, exec_lo, s5
	v_xad_u32 v19, v40, -1, ttmp9
	s_mov_b32 s9, 0
	s_mov_b32 s5, exec_lo
	s_delay_alu instid0(VALU_DEP_1) | instskip(NEXT) | instid1(VALU_DEP_1)
	v_add_nc_u32_e32 v3, 32, v19
	v_lshlrev_b64_e32 v[3:4], 4, v[3:4]
	s_wait_kmcnt 0x0
	s_delay_alu instid0(VALU_DEP_1) | instskip(SKIP_1) | instid1(VALU_DEP_2)
	v_add_co_u32 v3, vcc_lo, s6, v3
	s_wait_alu 0xfffd
	v_add_co_ci_u32_e64 v4, null, s7, v4, vcc_lo
	;;#ASMSTART
	global_load_b128 v[5:8], v[3:4] off scope:SCOPE_DEV	
s_wait_loadcnt 0x0
	;;#ASMEND
	v_and_b32_e32 v8, 0xff, v7
	s_delay_alu instid0(VALU_DEP_1)
	v_cmpx_eq_u16_e32 0, v8
	s_cbranch_execz .LBB2050_53
.LBB2050_51:                            ; =>This Inner Loop Header: Depth=1
	;;#ASMSTART
	global_load_b128 v[5:8], v[3:4] off scope:SCOPE_DEV	
s_wait_loadcnt 0x0
	;;#ASMEND
	v_and_b32_e32 v8, 0xff, v7
	s_delay_alu instid0(VALU_DEP_1)
	v_cmp_ne_u16_e32 vcc_lo, 0, v8
	s_wait_alu 0xfffe
	s_or_b32 s9, vcc_lo, s9
	s_wait_alu 0xfffe
	s_and_not1_b32 exec_lo, exec_lo, s9
	s_cbranch_execnz .LBB2050_51
; %bb.52:
	s_or_b32 exec_lo, exec_lo, s9
.LBB2050_53:
	s_wait_alu 0xfffe
	s_or_b32 exec_lo, exec_lo, s5
	v_cmp_ne_u32_e32 vcc_lo, 31, v40
	v_and_b32_e32 v4, 0xff, v7
	v_lshlrev_b32_e64 v26, v40, -1
	s_mov_b32 s5, exec_lo
	s_wait_alu 0xfffd
	v_add_co_ci_u32_e64 v3, null, 0, v40, vcc_lo
	v_cmp_eq_u16_e32 vcc_lo, 2, v4
	s_delay_alu instid0(VALU_DEP_2)
	v_dual_mov_b32 v4, v5 :: v_dual_lshlrev_b32 v25, 2, v3
	s_wait_alu 0xfffd
	v_and_or_b32 v3, vcc_lo, v26, 0x80000000
	ds_bpermute_b32 v20, v25, v5
	ds_bpermute_b32 v8, v25, v6
	v_ctz_i32_b32_e32 v3, v3
	s_delay_alu instid0(VALU_DEP_1)
	v_cmpx_lt_u32_e64 v40, v3
	s_cbranch_execz .LBB2050_55
; %bb.54:
	s_wait_dscnt 0x1
	v_add_co_u32 v4, vcc_lo, v5, v20
	s_wait_alu 0xfffd
	v_add_co_ci_u32_e64 v6, null, 0, v6, vcc_lo
	s_delay_alu instid0(VALU_DEP_2) | instskip(SKIP_2) | instid1(VALU_DEP_2)
	v_add_co_u32 v5, vcc_lo, 0, v4
	s_wait_dscnt 0x0
	s_wait_alu 0xfffd
	v_add_co_ci_u32_e64 v6, null, v8, v6, vcc_lo
.LBB2050_55:
	s_wait_alu 0xfffe
	s_or_b32 exec_lo, exec_lo, s5
	v_cmp_gt_u32_e32 vcc_lo, 30, v40
	v_add_nc_u32_e32 v28, 2, v40
	s_mov_b32 s5, exec_lo
	s_wait_dscnt 0x0
	s_wait_alu 0xfffd
	v_cndmask_b32_e64 v8, 0, 2, vcc_lo
	s_delay_alu instid0(VALU_DEP_1)
	v_add_lshl_u32 v27, v8, v40, 2
	ds_bpermute_b32 v20, v27, v4
	ds_bpermute_b32 v8, v27, v6
	v_cmpx_le_u32_e64 v28, v3
	s_cbranch_execz .LBB2050_57
; %bb.56:
	s_wait_dscnt 0x1
	v_add_co_u32 v4, vcc_lo, v5, v20
	s_wait_alu 0xfffd
	v_add_co_ci_u32_e64 v6, null, 0, v6, vcc_lo
	s_delay_alu instid0(VALU_DEP_2) | instskip(SKIP_2) | instid1(VALU_DEP_2)
	v_add_co_u32 v5, vcc_lo, 0, v4
	s_wait_dscnt 0x0
	s_wait_alu 0xfffd
	v_add_co_ci_u32_e64 v6, null, v8, v6, vcc_lo
.LBB2050_57:
	s_wait_alu 0xfffe
	s_or_b32 exec_lo, exec_lo, s5
	v_cmp_gt_u32_e32 vcc_lo, 28, v40
	v_add_nc_u32_e32 v43, 4, v40
	s_mov_b32 s5, exec_lo
	s_wait_dscnt 0x0
	s_wait_alu 0xfffd
	v_cndmask_b32_e64 v8, 0, 4, vcc_lo
	s_delay_alu instid0(VALU_DEP_1)
	v_add_lshl_u32 v42, v8, v40, 2
	ds_bpermute_b32 v20, v42, v4
	ds_bpermute_b32 v8, v42, v6
	v_cmpx_le_u32_e64 v43, v3
	s_cbranch_execz .LBB2050_59
; %bb.58:
	s_wait_dscnt 0x1
	v_add_co_u32 v4, vcc_lo, v5, v20
	s_wait_alu 0xfffd
	v_add_co_ci_u32_e64 v6, null, 0, v6, vcc_lo
	s_delay_alu instid0(VALU_DEP_2) | instskip(SKIP_2) | instid1(VALU_DEP_2)
	v_add_co_u32 v5, vcc_lo, 0, v4
	s_wait_dscnt 0x0
	s_wait_alu 0xfffd
	v_add_co_ci_u32_e64 v6, null, v8, v6, vcc_lo
.LBB2050_59:
	s_wait_alu 0xfffe
	s_or_b32 exec_lo, exec_lo, s5
	v_cmp_gt_u32_e32 vcc_lo, 24, v40
	v_add_nc_u32_e32 v45, 8, v40
	s_mov_b32 s5, exec_lo
	s_wait_dscnt 0x0
	s_wait_alu 0xfffd
	v_cndmask_b32_e64 v8, 0, 8, vcc_lo
	s_delay_alu instid0(VALU_DEP_1)
	v_add_lshl_u32 v44, v8, v40, 2
	ds_bpermute_b32 v20, v44, v4
	ds_bpermute_b32 v8, v44, v6
	v_cmpx_le_u32_e64 v45, v3
	s_cbranch_execz .LBB2050_61
; %bb.60:
	s_wait_dscnt 0x1
	v_add_co_u32 v4, vcc_lo, v5, v20
	s_wait_alu 0xfffd
	v_add_co_ci_u32_e64 v6, null, 0, v6, vcc_lo
	s_delay_alu instid0(VALU_DEP_2) | instskip(SKIP_2) | instid1(VALU_DEP_2)
	v_add_co_u32 v5, vcc_lo, 0, v4
	s_wait_dscnt 0x0
	s_wait_alu 0xfffd
	v_add_co_ci_u32_e64 v6, null, v8, v6, vcc_lo
.LBB2050_61:
	s_wait_alu 0xfffe
	s_or_b32 exec_lo, exec_lo, s5
	v_lshl_or_b32 v46, v40, 2, 64
	v_add_nc_u32_e32 v47, 16, v40
	s_mov_b32 s5, exec_lo
	s_wait_dscnt 0x0
	ds_bpermute_b32 v8, v46, v4
	ds_bpermute_b32 v4, v46, v6
	v_cmpx_le_u32_e64 v47, v3
	s_cbranch_execz .LBB2050_63
; %bb.62:
	s_wait_dscnt 0x1
	v_add_co_u32 v3, vcc_lo, v5, v8
	s_wait_alu 0xfffd
	v_add_co_ci_u32_e64 v6, null, 0, v6, vcc_lo
	s_delay_alu instid0(VALU_DEP_2) | instskip(SKIP_2) | instid1(VALU_DEP_2)
	v_add_co_u32 v5, vcc_lo, v3, 0
	s_wait_dscnt 0x0
	s_wait_alu 0xfffd
	v_add_co_ci_u32_e64 v6, null, v6, v4, vcc_lo
.LBB2050_63:
	s_wait_alu 0xfffe
	s_or_b32 exec_lo, exec_lo, s5
	v_mov_b32_e32 v20, 0
	s_branch .LBB2050_66
.LBB2050_64:                            ;   in Loop: Header=BB2050_66 Depth=1
	s_wait_alu 0xfffe
	s_or_b32 exec_lo, exec_lo, s5
	v_add_co_u32 v5, vcc_lo, v5, v3
	v_subrev_nc_u32_e32 v19, 32, v19
	s_wait_alu 0xfffd
	v_add_co_ci_u32_e64 v6, null, v6, v4, vcc_lo
	s_mov_b32 s5, 0
.LBB2050_65:                            ;   in Loop: Header=BB2050_66 Depth=1
	s_wait_alu 0xfffe
	s_and_b32 vcc_lo, exec_lo, s5
	s_wait_alu 0xfffe
	s_cbranch_vccnz .LBB2050_82
.LBB2050_66:                            ; =>This Loop Header: Depth=1
                                        ;     Child Loop BB2050_69 Depth 2
	v_and_b32_e32 v3, 0xff, v7
	s_mov_b32 s5, -1
	s_delay_alu instid0(VALU_DEP_1)
	v_cmp_ne_u16_e32 vcc_lo, 2, v3
	s_wait_dscnt 0x0
	v_dual_mov_b32 v3, v5 :: v_dual_mov_b32 v4, v6
                                        ; implicit-def: $vgpr5_vgpr6
	s_cmp_lg_u32 vcc_lo, exec_lo
	s_cbranch_scc1 .LBB2050_65
; %bb.67:                               ;   in Loop: Header=BB2050_66 Depth=1
	v_lshlrev_b64_e32 v[5:6], 4, v[19:20]
	s_mov_b32 s5, exec_lo
	s_delay_alu instid0(VALU_DEP_1) | instskip(SKIP_1) | instid1(VALU_DEP_2)
	v_add_co_u32 v21, vcc_lo, s6, v5
	s_wait_alu 0xfffd
	v_add_co_ci_u32_e64 v22, null, s7, v6, vcc_lo
	;;#ASMSTART
	global_load_b128 v[5:8], v[21:22] off scope:SCOPE_DEV	
s_wait_loadcnt 0x0
	;;#ASMEND
	v_and_b32_e32 v8, 0xff, v7
	s_delay_alu instid0(VALU_DEP_1)
	v_cmpx_eq_u16_e32 0, v8
	s_cbranch_execz .LBB2050_71
; %bb.68:                               ;   in Loop: Header=BB2050_66 Depth=1
	s_mov_b32 s9, 0
.LBB2050_69:                            ;   Parent Loop BB2050_66 Depth=1
                                        ; =>  This Inner Loop Header: Depth=2
	;;#ASMSTART
	global_load_b128 v[5:8], v[21:22] off scope:SCOPE_DEV	
s_wait_loadcnt 0x0
	;;#ASMEND
	v_and_b32_e32 v8, 0xff, v7
	s_delay_alu instid0(VALU_DEP_1)
	v_cmp_ne_u16_e32 vcc_lo, 0, v8
	s_wait_alu 0xfffe
	s_or_b32 s9, vcc_lo, s9
	s_wait_alu 0xfffe
	s_and_not1_b32 exec_lo, exec_lo, s9
	s_cbranch_execnz .LBB2050_69
; %bb.70:                               ;   in Loop: Header=BB2050_66 Depth=1
	s_or_b32 exec_lo, exec_lo, s9
.LBB2050_71:                            ;   in Loop: Header=BB2050_66 Depth=1
	s_wait_alu 0xfffe
	s_or_b32 exec_lo, exec_lo, s5
	v_dual_mov_b32 v21, v5 :: v_dual_and_b32 v8, 0xff, v7
	ds_bpermute_b32 v48, v25, v5
	ds_bpermute_b32 v22, v25, v6
	s_mov_b32 s5, exec_lo
	v_cmp_eq_u16_e32 vcc_lo, 2, v8
	s_wait_alu 0xfffd
	v_and_or_b32 v8, vcc_lo, v26, 0x80000000
	s_delay_alu instid0(VALU_DEP_1) | instskip(NEXT) | instid1(VALU_DEP_1)
	v_ctz_i32_b32_e32 v8, v8
	v_cmpx_lt_u32_e64 v40, v8
	s_cbranch_execz .LBB2050_73
; %bb.72:                               ;   in Loop: Header=BB2050_66 Depth=1
	s_wait_dscnt 0x1
	v_add_co_u32 v21, vcc_lo, v5, v48
	s_wait_alu 0xfffd
	v_add_co_ci_u32_e64 v6, null, 0, v6, vcc_lo
	s_delay_alu instid0(VALU_DEP_2) | instskip(SKIP_2) | instid1(VALU_DEP_2)
	v_add_co_u32 v5, vcc_lo, 0, v21
	s_wait_dscnt 0x0
	s_wait_alu 0xfffd
	v_add_co_ci_u32_e64 v6, null, v22, v6, vcc_lo
.LBB2050_73:                            ;   in Loop: Header=BB2050_66 Depth=1
	s_wait_alu 0xfffe
	s_or_b32 exec_lo, exec_lo, s5
	s_wait_dscnt 0x1
	ds_bpermute_b32 v48, v27, v21
	s_wait_dscnt 0x1
	ds_bpermute_b32 v22, v27, v6
	s_mov_b32 s5, exec_lo
	v_cmpx_le_u32_e64 v28, v8
	s_cbranch_execz .LBB2050_75
; %bb.74:                               ;   in Loop: Header=BB2050_66 Depth=1
	s_wait_dscnt 0x1
	v_add_co_u32 v21, vcc_lo, v5, v48
	s_wait_alu 0xfffd
	v_add_co_ci_u32_e64 v6, null, 0, v6, vcc_lo
	s_delay_alu instid0(VALU_DEP_2) | instskip(SKIP_2) | instid1(VALU_DEP_2)
	v_add_co_u32 v5, vcc_lo, 0, v21
	s_wait_dscnt 0x0
	s_wait_alu 0xfffd
	v_add_co_ci_u32_e64 v6, null, v22, v6, vcc_lo
.LBB2050_75:                            ;   in Loop: Header=BB2050_66 Depth=1
	s_wait_alu 0xfffe
	s_or_b32 exec_lo, exec_lo, s5
	s_wait_dscnt 0x1
	ds_bpermute_b32 v48, v42, v21
	s_wait_dscnt 0x1
	ds_bpermute_b32 v22, v42, v6
	s_mov_b32 s5, exec_lo
	v_cmpx_le_u32_e64 v43, v8
	;; [unrolled: 20-line block ×3, first 2 shown]
	s_cbranch_execz .LBB2050_79
; %bb.78:                               ;   in Loop: Header=BB2050_66 Depth=1
	s_wait_dscnt 0x1
	v_add_co_u32 v21, vcc_lo, v5, v48
	s_wait_alu 0xfffd
	v_add_co_ci_u32_e64 v6, null, 0, v6, vcc_lo
	s_delay_alu instid0(VALU_DEP_2) | instskip(SKIP_2) | instid1(VALU_DEP_2)
	v_add_co_u32 v5, vcc_lo, 0, v21
	s_wait_dscnt 0x0
	s_wait_alu 0xfffd
	v_add_co_ci_u32_e64 v6, null, v22, v6, vcc_lo
.LBB2050_79:                            ;   in Loop: Header=BB2050_66 Depth=1
	s_wait_alu 0xfffe
	s_or_b32 exec_lo, exec_lo, s5
	s_wait_dscnt 0x0
	ds_bpermute_b32 v22, v46, v21
	ds_bpermute_b32 v21, v46, v6
	s_mov_b32 s5, exec_lo
	v_cmpx_le_u32_e64 v47, v8
	s_cbranch_execz .LBB2050_64
; %bb.80:                               ;   in Loop: Header=BB2050_66 Depth=1
	s_wait_dscnt 0x1
	v_add_co_u32 v5, vcc_lo, v5, v22
	s_wait_alu 0xfffd
	v_add_co_ci_u32_e64 v6, null, 0, v6, vcc_lo
	s_delay_alu instid0(VALU_DEP_2) | instskip(SKIP_2) | instid1(VALU_DEP_2)
	v_add_co_u32 v5, vcc_lo, v5, 0
	s_wait_dscnt 0x0
	s_wait_alu 0xfffd
	v_add_co_ci_u32_e64 v6, null, v6, v21, vcc_lo
	s_branch .LBB2050_64
.LBB2050_81:
                                        ; implicit-def: $vgpr17_vgpr18
                                        ; implicit-def: $vgpr6_vgpr7
                                        ; implicit-def: $vgpr19_vgpr20
                                        ; implicit-def: $vgpr21_vgpr22
                                        ; implicit-def: $vgpr23_vgpr24
                                        ; implicit-def: $vgpr25_vgpr26
                                        ; implicit-def: $vgpr27_vgpr28
                                        ; implicit-def: $vgpr4_vgpr5
	s_wait_alu 0xfffe
	s_and_b32 vcc_lo, exec_lo, s3
	s_wait_alu 0xfffe
	s_cbranch_vccnz .LBB2050_87
	s_branch .LBB2050_114
.LBB2050_82:
	s_and_saveexec_b32 s5, s3
	s_cbranch_execz .LBB2050_84
; %bb.83:
	s_add_co_i32 s18, ttmp9, 32
	s_mov_b32 s19, 0
	v_add_co_u32 v5, vcc_lo, v3, v1
	s_wait_alu 0xfffe
	s_lshl_b64 s[18:19], s[18:19], 4
	v_dual_mov_b32 v7, 2 :: v_dual_mov_b32 v8, 0
	s_wait_alu 0xfffe
	s_add_nc_u64 s[18:19], s[6:7], s[18:19]
	s_wait_alu 0xfffd
	v_add_co_ci_u32_e64 v6, null, v4, v2, vcc_lo
	s_wait_alu 0xfffe
	v_dual_mov_b32 v20, s19 :: v_dual_mov_b32 v19, s18
	;;#ASMSTART
	global_store_b128 v[19:20], v[5:8] off scope:SCOPE_DEV	
s_wait_storecnt 0x0
	;;#ASMEND
	ds_store_b128 v8, v[1:4] offset:10752
.LBB2050_84:
	s_wait_alu 0xfffe
	s_or_b32 exec_lo, exec_lo, s5
	v_cmp_eq_u32_e32 vcc_lo, 0, v0
	s_and_b32 exec_lo, exec_lo, vcc_lo
; %bb.85:
	v_mov_b32_e32 v1, 0
	ds_store_b64 v1, v[3:4] offset:88
.LBB2050_86:
	s_wait_alu 0xfffe
	s_or_b32 exec_lo, exec_lo, s4
	s_wait_dscnt 0x1
	v_cndmask_b32_e64 v4, v23, v17, s3
	v_cmp_ne_u32_e32 vcc_lo, 0, v0
	v_mov_b32_e32 v3, 0
	s_wait_loadcnt_dscnt 0x0
	s_barrier_signal -1
	s_barrier_wait -1
	global_inv scope:SCOPE_SE
	s_wait_alu 0xfffd
	v_cndmask_b32_e32 v4, 0, v4, vcc_lo
	ds_load_b64 v[1:2], v3 offset:88
	v_cndmask_b32_e64 v5, v24, v18, s3
	s_wait_loadcnt_dscnt 0x0
	s_barrier_signal -1
	s_barrier_wait -1
	global_inv scope:SCOPE_SE
	v_cndmask_b32_e32 v5, 0, v5, vcc_lo
	v_add_co_u32 v27, vcc_lo, v1, v4
	s_wait_alu 0xfffd
	s_delay_alu instid0(VALU_DEP_2) | instskip(SKIP_4) | instid1(VALU_DEP_2)
	v_add_co_ci_u32_e64 v28, null, v2, v5, vcc_lo
	ds_load_b128 v[2:5], v3 offset:10752
	v_add_co_u32 v25, vcc_lo, v27, v37
	s_wait_alu 0xfffd
	v_add_co_ci_u32_e64 v26, null, 0, v28, vcc_lo
	v_add_co_u32 v23, vcc_lo, v25, v36
	s_wait_alu 0xfffd
	s_delay_alu instid0(VALU_DEP_2) | instskip(NEXT) | instid1(VALU_DEP_2)
	v_add_co_ci_u32_e64 v24, null, 0, v26, vcc_lo
	v_add_co_u32 v21, vcc_lo, v23, v39
	s_wait_alu 0xfffd
	s_delay_alu instid0(VALU_DEP_2) | instskip(NEXT) | instid1(VALU_DEP_2)
	;; [unrolled: 4-line block ×4, first 2 shown]
	v_add_co_ci_u32_e64 v7, null, 0, v20, vcc_lo
	v_add_co_u32 v17, vcc_lo, v6, v35
	s_wait_alu 0xfffd
	s_delay_alu instid0(VALU_DEP_2)
	v_add_co_ci_u32_e64 v18, null, 0, v7, vcc_lo
	s_branch .LBB2050_114
.LBB2050_87:
	s_wait_dscnt 0x0
	v_dual_mov_b32 v2, 0 :: v_dual_mov_b32 v3, v15
	v_mov_b32_dpp v4, v15 row_shr:1 row_mask:0xf bank_mask:0xf
	s_delay_alu instid0(VALU_DEP_2)
	v_mov_b32_dpp v1, v2 row_shr:1 row_mask:0xf bank_mask:0xf
	s_and_saveexec_b32 s3, s2
; %bb.88:
	s_delay_alu instid0(VALU_DEP_2) | instskip(SKIP_2) | instid1(VALU_DEP_2)
	v_add_co_u32 v3, vcc_lo, v15, v4
	s_wait_alu 0xfffd
	v_add_co_ci_u32_e64 v2, null, 0, v16, vcc_lo
	v_add_co_u32 v15, vcc_lo, 0, v3
	s_wait_alu 0xfffd
	s_delay_alu instid0(VALU_DEP_2) | instskip(NEXT) | instid1(VALU_DEP_1)
	v_add_co_ci_u32_e64 v16, null, v1, v2, vcc_lo
	v_mov_b32_e32 v2, v16
; %bb.89:
	s_wait_alu 0xfffe
	s_or_b32 exec_lo, exec_lo, s3
	v_mov_b32_dpp v1, v3 row_shr:2 row_mask:0xf bank_mask:0xf
	s_delay_alu instid0(VALU_DEP_2)
	v_mov_b32_dpp v4, v2 row_shr:2 row_mask:0xf bank_mask:0xf
	v_cmp_lt_u32_e32 vcc_lo, 1, v41
	s_and_saveexec_b32 s4, vcc_lo
; %bb.90:
	s_delay_alu instid0(VALU_DEP_3) | instskip(SKIP_2) | instid1(VALU_DEP_2)
	v_add_co_u32 v3, s3, v15, v1
	s_wait_alu 0xf1ff
	v_add_co_ci_u32_e64 v2, null, 0, v16, s3
	v_add_co_u32 v1, s3, 0, v3
	s_wait_alu 0xf1ff
	s_delay_alu instid0(VALU_DEP_2) | instskip(NEXT) | instid1(VALU_DEP_1)
	v_add_co_ci_u32_e64 v2, null, v4, v2, s3
	v_dual_mov_b32 v16, v2 :: v_dual_mov_b32 v15, v1
; %bb.91:
	s_wait_alu 0xfffe
	s_or_b32 exec_lo, exec_lo, s4
	v_mov_b32_dpp v1, v3 row_shr:4 row_mask:0xf bank_mask:0xf
	v_mov_b32_dpp v4, v2 row_shr:4 row_mask:0xf bank_mask:0xf
	v_cmp_lt_u32_e64 s3, 3, v41
	s_and_saveexec_b32 s5, s3
; %bb.92:
	v_add_co_u32 v3, s4, v15, v1
	s_wait_alu 0xf1ff
	v_add_co_ci_u32_e64 v2, null, 0, v16, s4
	s_delay_alu instid0(VALU_DEP_2) | instskip(SKIP_1) | instid1(VALU_DEP_2)
	v_add_co_u32 v1, s4, 0, v3
	s_wait_alu 0xf1ff
	v_add_co_ci_u32_e64 v2, null, v4, v2, s4
	s_delay_alu instid0(VALU_DEP_1)
	v_dual_mov_b32 v16, v2 :: v_dual_mov_b32 v15, v1
; %bb.93:
	s_wait_alu 0xfffe
	s_or_b32 exec_lo, exec_lo, s5
	v_mov_b32_dpp v4, v3 row_shr:8 row_mask:0xf bank_mask:0xf
	v_mov_b32_dpp v1, v2 row_shr:8 row_mask:0xf bank_mask:0xf
	v_cmp_lt_u32_e64 s4, 7, v41
	s_and_saveexec_b32 s9, s4
; %bb.94:
	v_add_co_u32 v3, s5, v15, v4
	s_wait_alu 0xf1ff
	v_add_co_ci_u32_e64 v2, null, 0, v16, s5
	s_delay_alu instid0(VALU_DEP_2) | instskip(SKIP_1) | instid1(VALU_DEP_2)
	v_add_co_u32 v15, s5, 0, v3
	s_wait_alu 0xf1ff
	v_add_co_ci_u32_e64 v16, null, v1, v2, s5
	s_delay_alu instid0(VALU_DEP_1)
	v_mov_b32_e32 v2, v16
; %bb.95:
	s_wait_alu 0xfffe
	s_or_b32 exec_lo, exec_lo, s9
	ds_swizzle_b32 v3, v3 offset:swizzle(BROADCAST,32,15)
	ds_swizzle_b32 v1, v2 offset:swizzle(BROADCAST,32,15)
	v_and_b32_e32 v2, 16, v40
	s_mov_b32 s9, exec_lo
	s_delay_alu instid0(VALU_DEP_1)
	v_cmpx_ne_u32_e32 0, v2
	s_cbranch_execz .LBB2050_97
; %bb.96:
	s_wait_dscnt 0x1
	v_add_co_u32 v2, s5, v15, v3
	s_wait_alu 0xf1ff
	v_add_co_ci_u32_e64 v3, null, 0, v16, s5
	s_delay_alu instid0(VALU_DEP_2) | instskip(SKIP_2) | instid1(VALU_DEP_2)
	v_add_co_u32 v15, s5, v2, 0
	s_wait_dscnt 0x0
	s_wait_alu 0xf1ff
	v_add_co_ci_u32_e64 v16, null, v3, v1, s5
.LBB2050_97:
	s_wait_alu 0xfffe
	s_or_b32 exec_lo, exec_lo, s9
	s_wait_dscnt 0x0
	v_and_b32_e32 v1, 0x1e0, v0
	v_lshrrev_b32_e32 v3, 5, v0
	s_mov_b32 s9, exec_lo
	s_delay_alu instid0(VALU_DEP_2) | instskip(NEXT) | instid1(VALU_DEP_1)
	v_min_u32_e32 v1, 0x160, v1
	v_or_b32_e32 v1, 31, v1
	s_delay_alu instid0(VALU_DEP_1)
	v_cmpx_eq_u32_e64 v0, v1
; %bb.98:
	v_lshlrev_b32_e32 v1, 3, v3
	ds_store_b64 v1, v[15:16]
; %bb.99:
	s_wait_alu 0xfffe
	s_or_b32 exec_lo, exec_lo, s9
	s_delay_alu instid0(SALU_CYCLE_1)
	s_mov_b32 s9, exec_lo
	s_wait_loadcnt_dscnt 0x0
	s_barrier_signal -1
	s_barrier_wait -1
	global_inv scope:SCOPE_SE
	v_cmpx_gt_u32_e32 12, v0
	s_cbranch_execz .LBB2050_109
; %bb.100:
	v_mad_i32_i24 v1, 0xffffffec, v0, v33
	ds_load_b64 v[1:2], v1
	s_wait_dscnt 0x0
	v_mov_b32_dpp v6, v1 row_shr:1 row_mask:0xf bank_mask:0xf
	v_mov_b32_dpp v5, v2 row_shr:1 row_mask:0xf bank_mask:0xf
	v_mov_b32_e32 v4, v1
	s_and_saveexec_b32 s5, s2
; %bb.101:
	s_delay_alu instid0(VALU_DEP_3) | instskip(SKIP_2) | instid1(VALU_DEP_2)
	v_add_co_u32 v4, s2, v1, v6
	s_wait_alu 0xf1ff
	v_add_co_ci_u32_e64 v2, null, 0, v2, s2
	v_add_co_u32 v1, s2, 0, v4
	s_wait_alu 0xf1ff
	s_delay_alu instid0(VALU_DEP_2)
	v_add_co_ci_u32_e64 v2, null, v5, v2, s2
; %bb.102:
	s_wait_alu 0xfffe
	s_or_b32 exec_lo, exec_lo, s5
	v_mov_b32_dpp v6, v4 row_shr:2 row_mask:0xf bank_mask:0xf
	s_delay_alu instid0(VALU_DEP_2)
	v_mov_b32_dpp v5, v2 row_shr:2 row_mask:0xf bank_mask:0xf
	s_and_saveexec_b32 s2, vcc_lo
; %bb.103:
	s_delay_alu instid0(VALU_DEP_2) | instskip(SKIP_2) | instid1(VALU_DEP_2)
	v_add_co_u32 v4, vcc_lo, v1, v6
	s_wait_alu 0xfffd
	v_add_co_ci_u32_e64 v2, null, 0, v2, vcc_lo
	v_add_co_u32 v1, vcc_lo, 0, v4
	s_wait_alu 0xfffd
	s_delay_alu instid0(VALU_DEP_2)
	v_add_co_ci_u32_e64 v2, null, v5, v2, vcc_lo
; %bb.104:
	s_wait_alu 0xfffe
	s_or_b32 exec_lo, exec_lo, s2
	v_mov_b32_dpp v6, v4 row_shr:4 row_mask:0xf bank_mask:0xf
	s_delay_alu instid0(VALU_DEP_2)
	v_mov_b32_dpp v5, v2 row_shr:4 row_mask:0xf bank_mask:0xf
	s_and_saveexec_b32 s2, s3
; %bb.105:
	s_delay_alu instid0(VALU_DEP_2) | instskip(SKIP_2) | instid1(VALU_DEP_2)
	v_add_co_u32 v4, vcc_lo, v1, v6
	s_wait_alu 0xfffd
	v_add_co_ci_u32_e64 v2, null, 0, v2, vcc_lo
	v_add_co_u32 v1, vcc_lo, 0, v4
	s_wait_alu 0xfffd
	s_delay_alu instid0(VALU_DEP_2)
	v_add_co_ci_u32_e64 v2, null, v5, v2, vcc_lo
; %bb.106:
	s_wait_alu 0xfffe
	s_or_b32 exec_lo, exec_lo, s2
	v_mul_i32_i24_e32 v5, 0xffffffec, v0
	v_mov_b32_dpp v6, v4 row_shr:8 row_mask:0xf bank_mask:0xf
	v_mov_b32_dpp v4, v2 row_shr:8 row_mask:0xf bank_mask:0xf
	s_and_saveexec_b32 s2, s4
; %bb.107:
	s_delay_alu instid0(VALU_DEP_2) | instskip(SKIP_2) | instid1(VALU_DEP_2)
	v_add_co_u32 v1, vcc_lo, v1, v6
	s_wait_alu 0xfffd
	v_add_co_ci_u32_e64 v2, null, 0, v2, vcc_lo
	v_add_co_u32 v1, vcc_lo, v1, 0
	s_wait_alu 0xfffd
	s_delay_alu instid0(VALU_DEP_2)
	v_add_co_ci_u32_e64 v2, null, v2, v4, vcc_lo
; %bb.108:
	s_wait_alu 0xfffe
	s_or_b32 exec_lo, exec_lo, s2
	v_add_nc_u32_e32 v4, v33, v5
	ds_store_b64 v4, v[1:2]
.LBB2050_109:
	s_wait_alu 0xfffe
	s_or_b32 exec_lo, exec_lo, s9
	v_mov_b32_e32 v6, 0
	v_mov_b32_e32 v7, 0
	s_mov_b32 s2, exec_lo
	s_wait_loadcnt_dscnt 0x0
	s_barrier_signal -1
	s_barrier_wait -1
	global_inv scope:SCOPE_SE
	v_cmpx_lt_u32_e32 31, v0
; %bb.110:
	v_lshl_add_u32 v1, v3, 3, -8
	ds_load_b64 v[6:7], v1
; %bb.111:
	s_wait_alu 0xfffe
	s_or_b32 exec_lo, exec_lo, s2
	v_sub_co_u32 v1, vcc_lo, v40, 1
	v_mov_b32_e32 v5, 0
	s_delay_alu instid0(VALU_DEP_2) | instskip(SKIP_1) | instid1(VALU_DEP_1)
	v_cmp_gt_i32_e64 s2, 0, v1
	s_wait_alu 0xf1ff
	v_cndmask_b32_e64 v1, v1, v40, s2
	s_delay_alu instid0(VALU_DEP_1)
	v_lshlrev_b32_e32 v2, 2, v1
	s_wait_dscnt 0x0
	v_add_co_u32 v1, s2, v6, v15
	s_wait_alu 0xf1ff
	v_add_co_ci_u32_e64 v3, null, v7, v16, s2
	v_cmp_eq_u32_e64 s2, 0, v0
	ds_bpermute_b32 v1, v2, v1
	ds_bpermute_b32 v8, v2, v3
	ds_load_b64 v[2:3], v5 offset:88
	s_and_saveexec_b32 s3, s2
	s_cbranch_execz .LBB2050_113
; %bb.112:
	s_wait_kmcnt 0x0
	s_add_nc_u64 s[4:5], s[6:7], 0x200
	v_mov_b32_e32 v4, 2
	s_wait_alu 0xfffe
	v_dual_mov_b32 v16, s5 :: v_dual_mov_b32 v15, s4
	s_wait_dscnt 0x0
	;;#ASMSTART
	global_store_b128 v[15:16], v[2:5] off scope:SCOPE_DEV	
s_wait_storecnt 0x0
	;;#ASMEND
.LBB2050_113:
	s_wait_alu 0xfffe
	s_or_b32 exec_lo, exec_lo, s3
	s_wait_dscnt 0x1
	s_wait_alu 0xfffd
	v_dual_cndmask_b32 v1, v1, v6 :: v_dual_cndmask_b32 v4, v8, v7
	s_wait_loadcnt_dscnt 0x0
	s_barrier_signal -1
	s_barrier_wait -1
	s_delay_alu instid0(VALU_DEP_1)
	v_cndmask_b32_e64 v27, v1, 0, s2
	v_cndmask_b32_e64 v28, v4, 0, s2
	v_mov_b32_e32 v4, 0
	v_mov_b32_e32 v5, 0
	global_inv scope:SCOPE_SE
	v_add_co_u32 v25, vcc_lo, v27, v37
	s_wait_alu 0xfffd
	v_add_co_ci_u32_e64 v26, null, 0, v28, vcc_lo
	s_delay_alu instid0(VALU_DEP_2) | instskip(SKIP_1) | instid1(VALU_DEP_2)
	v_add_co_u32 v23, vcc_lo, v25, v36
	s_wait_alu 0xfffd
	v_add_co_ci_u32_e64 v24, null, 0, v26, vcc_lo
	s_delay_alu instid0(VALU_DEP_2) | instskip(SKIP_1) | instid1(VALU_DEP_2)
	;; [unrolled: 4-line block ×5, first 2 shown]
	v_add_co_u32 v17, vcc_lo, v6, v35
	s_wait_alu 0xfffd
	v_add_co_ci_u32_e64 v18, null, 0, v7, vcc_lo
.LBB2050_114:
	s_load_b64 s[2:3], s[0:1], 0x30
	v_and_b32_e32 v33, 1, v34
	s_wait_dscnt 0x0
	v_cmp_gt_u64_e32 vcc_lo, 0x181, v[2:3]
	v_lshrrev_b32_e32 v8, 8, v34
	v_lshrrev_b32_e32 v1, 16, v34
	s_mov_b32 s1, -1
	v_cmp_eq_u32_e64 s0, 1, v33
	s_cbranch_vccnz .LBB2050_118
; %bb.115:
	s_wait_alu 0xfffe
	s_and_b32 vcc_lo, exec_lo, s1
	s_wait_alu 0xfffe
	s_cbranch_vccnz .LBB2050_133
.LBB2050_116:
	v_cmp_eq_u32_e32 vcc_lo, 0, v0
	s_and_b32 s0, vcc_lo, s11
	s_wait_alu 0xfffe
	s_and_saveexec_b32 s1, s0
	s_cbranch_execnz .LBB2050_150
.LBB2050_117:
	s_endpgm
.LBB2050_118:
	v_add_co_u32 v15, vcc_lo, v4, v2
	s_wait_alu 0xfffd
	v_add_co_ci_u32_e64 v16, null, v5, v3, vcc_lo
	s_wait_kmcnt 0x0
	s_lshl_b64 s[4:5], s[14:15], 1
	s_wait_alu 0xfffe
	s_add_nc_u64 s[4:5], s[2:3], s[4:5]
	v_cmp_lt_u64_e32 vcc_lo, v[27:28], v[15:16]
	s_or_b32 s1, s16, vcc_lo
	s_wait_alu 0xfffe
	s_and_b32 s1, s1, s0
	s_wait_alu 0xfffe
	s_and_saveexec_b32 s0, s1
	s_cbranch_execz .LBB2050_120
; %bb.119:
	v_lshlrev_b64_e32 v[34:35], 1, v[27:28]
	s_delay_alu instid0(VALU_DEP_1) | instskip(SKIP_1) | instid1(VALU_DEP_2)
	v_add_co_u32 v34, vcc_lo, s4, v34
	s_wait_alu 0xfffd
	v_add_co_ci_u32_e64 v35, null, s5, v35, vcc_lo
	global_store_b16 v[34:35], v13, off
.LBB2050_120:
	s_wait_alu 0xfffe
	s_or_b32 exec_lo, exec_lo, s0
	v_and_b32_e32 v28, 1, v8
	v_cmp_lt_u64_e32 vcc_lo, v[25:26], v[15:16]
	s_delay_alu instid0(VALU_DEP_2)
	v_cmp_eq_u32_e64 s0, 1, v28
	s_or_b32 s1, s16, vcc_lo
	s_wait_alu 0xfffe
	s_and_b32 s1, s1, s0
	s_wait_alu 0xfffe
	s_and_saveexec_b32 s0, s1
	s_cbranch_execz .LBB2050_122
; %bb.121:
	v_lshlrev_b64_e32 v[34:35], 1, v[25:26]
	s_delay_alu instid0(VALU_DEP_1) | instskip(SKIP_1) | instid1(VALU_DEP_2)
	v_add_co_u32 v34, vcc_lo, s4, v34
	s_wait_alu 0xfffd
	v_add_co_ci_u32_e64 v35, null, s5, v35, vcc_lo
	global_store_b16 v[34:35], v14, off
.LBB2050_122:
	s_wait_alu 0xfffe
	s_or_b32 exec_lo, exec_lo, s0
	v_and_b32_e32 v26, 1, v1
	v_cmp_lt_u64_e32 vcc_lo, v[23:24], v[15:16]
	s_delay_alu instid0(VALU_DEP_2)
	v_cmp_eq_u32_e64 s0, 1, v26
	;; [unrolled: 20-line block ×5, first 2 shown]
	s_or_b32 s1, s16, vcc_lo
	s_wait_alu 0xfffe
	s_and_b32 s1, s1, s0
	s_wait_alu 0xfffe
	s_and_saveexec_b32 s0, s1
	s_cbranch_execz .LBB2050_130
; %bb.129:
	v_lshlrev_b64_e32 v[34:35], 1, v[6:7]
	s_delay_alu instid0(VALU_DEP_1) | instskip(SKIP_1) | instid1(VALU_DEP_2)
	v_add_co_u32 v34, vcc_lo, s4, v34
	s_wait_alu 0xfffd
	v_add_co_ci_u32_e64 v35, null, s5, v35, vcc_lo
	global_store_b16 v[34:35], v10, off
.LBB2050_130:
	s_wait_alu 0xfffe
	s_or_b32 exec_lo, exec_lo, s0
	v_cmp_lt_u64_e32 vcc_lo, v[17:18], v[15:16]
	s_or_b32 s0, s16, vcc_lo
	s_wait_alu 0xfffe
	s_and_b32 s1, s0, s8
	s_wait_alu 0xfffe
	s_and_saveexec_b32 s0, s1
	s_cbranch_execz .LBB2050_132
; %bb.131:
	v_lshlrev_b64_e32 v[15:16], 1, v[17:18]
	s_delay_alu instid0(VALU_DEP_1) | instskip(SKIP_1) | instid1(VALU_DEP_2)
	v_add_co_u32 v15, vcc_lo, s4, v15
	s_wait_alu 0xfffd
	v_add_co_ci_u32_e64 v16, null, s5, v16, vcc_lo
	global_store_b16 v[15:16], v29, off
.LBB2050_132:
	s_wait_alu 0xfffe
	s_or_b32 exec_lo, exec_lo, s0
	s_branch .LBB2050_116
.LBB2050_133:
	s_mov_b32 s0, exec_lo
	v_cmpx_eq_u32_e32 1, v33
; %bb.134:
	v_sub_nc_u32_e32 v7, v27, v4
	s_delay_alu instid0(VALU_DEP_1)
	v_lshlrev_b32_e32 v7, 2, v7
	ds_store_b32 v7, v13
; %bb.135:
	s_wait_alu 0xfffe
	s_or_b32 exec_lo, exec_lo, s0
	v_and_b32_e32 v7, 1, v8
	s_mov_b32 s0, exec_lo
	s_delay_alu instid0(VALU_DEP_1)
	v_cmpx_eq_u32_e32 1, v7
; %bb.136:
	v_sub_nc_u32_e32 v7, v25, v4
	s_delay_alu instid0(VALU_DEP_1)
	v_lshlrev_b32_e32 v7, 2, v7
	ds_store_b32 v7, v14
; %bb.137:
	s_wait_alu 0xfffe
	s_or_b32 exec_lo, exec_lo, s0
	v_and_b32_e32 v1, 1, v1
	s_mov_b32 s0, exec_lo
	s_delay_alu instid0(VALU_DEP_1)
	;; [unrolled: 12-line block ×5, first 2 shown]
	v_cmpx_eq_u32_e32 1, v1
; %bb.144:
	v_sub_nc_u32_e32 v1, v6, v4
	s_delay_alu instid0(VALU_DEP_1)
	v_lshlrev_b32_e32 v1, 2, v1
	ds_store_b32 v1, v10
; %bb.145:
	s_wait_alu 0xfffe
	s_or_b32 exec_lo, exec_lo, s0
	s_and_saveexec_b32 s0, s8
; %bb.146:
	v_sub_nc_u32_e32 v1, v17, v4
	s_delay_alu instid0(VALU_DEP_1)
	v_lshlrev_b32_e32 v1, 2, v1
	ds_store_b32 v1, v29
; %bb.147:
	s_wait_alu 0xfffe
	s_or_b32 exec_lo, exec_lo, s0
	v_dual_mov_b32 v7, 0 :: v_dual_add_nc_u32 v6, 0x180, v0
	v_lshlrev_b64_e32 v[8:9], 1, v[4:5]
	s_wait_kmcnt 0x0
	s_lshl_b64 s[0:1], s[14:15], 1
	s_wait_storecnt 0x0
	s_wait_loadcnt_dscnt 0x0
	v_mov_b32_e32 v1, v7
	s_wait_alu 0xfffe
	s_add_nc_u64 s[0:1], s[2:3], s[0:1]
	s_barrier_signal -1
	s_wait_alu 0xfffe
	v_add_co_u32 v10, vcc_lo, s0, v8
	s_wait_alu 0xfffd
	v_add_co_ci_u32_e64 v11, null, s1, v9, vcc_lo
	v_dual_mov_b32 v9, v1 :: v_dual_mov_b32 v8, v0
	s_mov_b32 s1, 0
	s_barrier_wait -1
	global_inv scope:SCOPE_SE
.LBB2050_148:                           ; =>This Inner Loop Header: Depth=1
	v_lshlrev_b32_e32 v1, 2, v8
	v_lshlrev_b64_e32 v[12:13], 1, v[8:9]
	v_dual_mov_b32 v9, v7 :: v_dual_mov_b32 v8, v6
	v_cmp_le_u64_e32 vcc_lo, v[2:3], v[6:7]
	ds_load_u16 v1, v1
	v_add_nc_u32_e32 v6, 0x180, v6
	v_add_co_u32 v12, s0, v10, v12
	s_wait_alu 0xf1ff
	v_add_co_ci_u32_e64 v13, null, v11, v13, s0
	s_wait_alu 0xfffe
	s_or_b32 s1, vcc_lo, s1
	s_wait_dscnt 0x0
	global_store_b16 v[12:13], v1, off
	s_wait_alu 0xfffe
	s_and_not1_b32 exec_lo, exec_lo, s1
	s_cbranch_execnz .LBB2050_148
; %bb.149:
	s_or_b32 exec_lo, exec_lo, s1
	v_cmp_eq_u32_e32 vcc_lo, 0, v0
	s_and_b32 s0, vcc_lo, s11
	s_wait_alu 0xfffe
	s_and_saveexec_b32 s1, s0
	s_cbranch_execz .LBB2050_117
.LBB2050_150:
	v_add_co_u32 v0, vcc_lo, v4, v2
	s_wait_alu 0xfffd
	v_add_co_ci_u32_e64 v1, null, v5, v3, vcc_lo
	v_mov_b32_e32 v2, 0
	s_wait_kmcnt 0x0
	v_add_co_u32 v0, vcc_lo, v0, s14
	s_wait_alu 0xfffd
	v_add_co_ci_u32_e64 v1, null, s15, v1, vcc_lo
	global_store_b64 v2, v[0:1], s[12:13]
	s_endpgm
	.section	.rodata,"a",@progbits
	.p2align	6, 0x0
	.amdhsa_kernel _ZN7rocprim17ROCPRIM_400000_NS6detail17trampoline_kernelINS0_14default_configENS1_25partition_config_selectorILNS1_17partition_subalgoE6EN6thrust23THRUST_200600_302600_NS5tupleIssNS7_9null_typeES9_S9_S9_S9_S9_S9_S9_EENS0_10empty_typeEbEEZZNS1_14partition_implILS5_6ELb0ES3_mNS7_12zip_iteratorINS8_INS7_6detail15normal_iteratorINS7_10device_ptrIsEEEESJ_S9_S9_S9_S9_S9_S9_S9_S9_EEEEPSB_SM_NS0_5tupleIJNSE_INS8_ISJ_NS7_16discard_iteratorINS7_11use_defaultEEES9_S9_S9_S9_S9_S9_S9_S9_EEEESB_EEENSN_IJSM_SM_EEESB_PlJNSF_9not_fun_tINSF_14equal_to_valueISA_EEEEEEE10hipError_tPvRmT3_T4_T5_T6_T7_T9_mT8_P12ihipStream_tbDpT10_ENKUlT_T0_E_clISt17integral_constantIbLb0EES1J_EEDaS1E_S1F_EUlS1E_E_NS1_11comp_targetILNS1_3genE10ELNS1_11target_archE1200ELNS1_3gpuE4ELNS1_3repE0EEENS1_30default_config_static_selectorELNS0_4arch9wavefront6targetE0EEEvT1_
		.amdhsa_group_segment_fixed_size 10768
		.amdhsa_private_segment_fixed_size 0
		.amdhsa_kernarg_size 144
		.amdhsa_user_sgpr_count 2
		.amdhsa_user_sgpr_dispatch_ptr 0
		.amdhsa_user_sgpr_queue_ptr 0
		.amdhsa_user_sgpr_kernarg_segment_ptr 1
		.amdhsa_user_sgpr_dispatch_id 0
		.amdhsa_user_sgpr_private_segment_size 0
		.amdhsa_wavefront_size32 1
		.amdhsa_uses_dynamic_stack 0
		.amdhsa_enable_private_segment 0
		.amdhsa_system_sgpr_workgroup_id_x 1
		.amdhsa_system_sgpr_workgroup_id_y 0
		.amdhsa_system_sgpr_workgroup_id_z 0
		.amdhsa_system_sgpr_workgroup_info 0
		.amdhsa_system_vgpr_workitem_id 0
		.amdhsa_next_free_vgpr 49
		.amdhsa_next_free_sgpr 22
		.amdhsa_reserve_vcc 1
		.amdhsa_float_round_mode_32 0
		.amdhsa_float_round_mode_16_64 0
		.amdhsa_float_denorm_mode_32 3
		.amdhsa_float_denorm_mode_16_64 3
		.amdhsa_fp16_overflow 0
		.amdhsa_workgroup_processor_mode 1
		.amdhsa_memory_ordered 1
		.amdhsa_forward_progress 1
		.amdhsa_inst_pref_size 61
		.amdhsa_round_robin_scheduling 0
		.amdhsa_exception_fp_ieee_invalid_op 0
		.amdhsa_exception_fp_denorm_src 0
		.amdhsa_exception_fp_ieee_div_zero 0
		.amdhsa_exception_fp_ieee_overflow 0
		.amdhsa_exception_fp_ieee_underflow 0
		.amdhsa_exception_fp_ieee_inexact 0
		.amdhsa_exception_int_div_zero 0
	.end_amdhsa_kernel
	.section	.text._ZN7rocprim17ROCPRIM_400000_NS6detail17trampoline_kernelINS0_14default_configENS1_25partition_config_selectorILNS1_17partition_subalgoE6EN6thrust23THRUST_200600_302600_NS5tupleIssNS7_9null_typeES9_S9_S9_S9_S9_S9_S9_EENS0_10empty_typeEbEEZZNS1_14partition_implILS5_6ELb0ES3_mNS7_12zip_iteratorINS8_INS7_6detail15normal_iteratorINS7_10device_ptrIsEEEESJ_S9_S9_S9_S9_S9_S9_S9_S9_EEEEPSB_SM_NS0_5tupleIJNSE_INS8_ISJ_NS7_16discard_iteratorINS7_11use_defaultEEES9_S9_S9_S9_S9_S9_S9_S9_EEEESB_EEENSN_IJSM_SM_EEESB_PlJNSF_9not_fun_tINSF_14equal_to_valueISA_EEEEEEE10hipError_tPvRmT3_T4_T5_T6_T7_T9_mT8_P12ihipStream_tbDpT10_ENKUlT_T0_E_clISt17integral_constantIbLb0EES1J_EEDaS1E_S1F_EUlS1E_E_NS1_11comp_targetILNS1_3genE10ELNS1_11target_archE1200ELNS1_3gpuE4ELNS1_3repE0EEENS1_30default_config_static_selectorELNS0_4arch9wavefront6targetE0EEEvT1_,"axG",@progbits,_ZN7rocprim17ROCPRIM_400000_NS6detail17trampoline_kernelINS0_14default_configENS1_25partition_config_selectorILNS1_17partition_subalgoE6EN6thrust23THRUST_200600_302600_NS5tupleIssNS7_9null_typeES9_S9_S9_S9_S9_S9_S9_EENS0_10empty_typeEbEEZZNS1_14partition_implILS5_6ELb0ES3_mNS7_12zip_iteratorINS8_INS7_6detail15normal_iteratorINS7_10device_ptrIsEEEESJ_S9_S9_S9_S9_S9_S9_S9_S9_EEEEPSB_SM_NS0_5tupleIJNSE_INS8_ISJ_NS7_16discard_iteratorINS7_11use_defaultEEES9_S9_S9_S9_S9_S9_S9_S9_EEEESB_EEENSN_IJSM_SM_EEESB_PlJNSF_9not_fun_tINSF_14equal_to_valueISA_EEEEEEE10hipError_tPvRmT3_T4_T5_T6_T7_T9_mT8_P12ihipStream_tbDpT10_ENKUlT_T0_E_clISt17integral_constantIbLb0EES1J_EEDaS1E_S1F_EUlS1E_E_NS1_11comp_targetILNS1_3genE10ELNS1_11target_archE1200ELNS1_3gpuE4ELNS1_3repE0EEENS1_30default_config_static_selectorELNS0_4arch9wavefront6targetE0EEEvT1_,comdat
.Lfunc_end2050:
	.size	_ZN7rocprim17ROCPRIM_400000_NS6detail17trampoline_kernelINS0_14default_configENS1_25partition_config_selectorILNS1_17partition_subalgoE6EN6thrust23THRUST_200600_302600_NS5tupleIssNS7_9null_typeES9_S9_S9_S9_S9_S9_S9_EENS0_10empty_typeEbEEZZNS1_14partition_implILS5_6ELb0ES3_mNS7_12zip_iteratorINS8_INS7_6detail15normal_iteratorINS7_10device_ptrIsEEEESJ_S9_S9_S9_S9_S9_S9_S9_S9_EEEEPSB_SM_NS0_5tupleIJNSE_INS8_ISJ_NS7_16discard_iteratorINS7_11use_defaultEEES9_S9_S9_S9_S9_S9_S9_S9_EEEESB_EEENSN_IJSM_SM_EEESB_PlJNSF_9not_fun_tINSF_14equal_to_valueISA_EEEEEEE10hipError_tPvRmT3_T4_T5_T6_T7_T9_mT8_P12ihipStream_tbDpT10_ENKUlT_T0_E_clISt17integral_constantIbLb0EES1J_EEDaS1E_S1F_EUlS1E_E_NS1_11comp_targetILNS1_3genE10ELNS1_11target_archE1200ELNS1_3gpuE4ELNS1_3repE0EEENS1_30default_config_static_selectorELNS0_4arch9wavefront6targetE0EEEvT1_, .Lfunc_end2050-_ZN7rocprim17ROCPRIM_400000_NS6detail17trampoline_kernelINS0_14default_configENS1_25partition_config_selectorILNS1_17partition_subalgoE6EN6thrust23THRUST_200600_302600_NS5tupleIssNS7_9null_typeES9_S9_S9_S9_S9_S9_S9_EENS0_10empty_typeEbEEZZNS1_14partition_implILS5_6ELb0ES3_mNS7_12zip_iteratorINS8_INS7_6detail15normal_iteratorINS7_10device_ptrIsEEEESJ_S9_S9_S9_S9_S9_S9_S9_S9_EEEEPSB_SM_NS0_5tupleIJNSE_INS8_ISJ_NS7_16discard_iteratorINS7_11use_defaultEEES9_S9_S9_S9_S9_S9_S9_S9_EEEESB_EEENSN_IJSM_SM_EEESB_PlJNSF_9not_fun_tINSF_14equal_to_valueISA_EEEEEEE10hipError_tPvRmT3_T4_T5_T6_T7_T9_mT8_P12ihipStream_tbDpT10_ENKUlT_T0_E_clISt17integral_constantIbLb0EES1J_EEDaS1E_S1F_EUlS1E_E_NS1_11comp_targetILNS1_3genE10ELNS1_11target_archE1200ELNS1_3gpuE4ELNS1_3repE0EEENS1_30default_config_static_selectorELNS0_4arch9wavefront6targetE0EEEvT1_
                                        ; -- End function
	.set _ZN7rocprim17ROCPRIM_400000_NS6detail17trampoline_kernelINS0_14default_configENS1_25partition_config_selectorILNS1_17partition_subalgoE6EN6thrust23THRUST_200600_302600_NS5tupleIssNS7_9null_typeES9_S9_S9_S9_S9_S9_S9_EENS0_10empty_typeEbEEZZNS1_14partition_implILS5_6ELb0ES3_mNS7_12zip_iteratorINS8_INS7_6detail15normal_iteratorINS7_10device_ptrIsEEEESJ_S9_S9_S9_S9_S9_S9_S9_S9_EEEEPSB_SM_NS0_5tupleIJNSE_INS8_ISJ_NS7_16discard_iteratorINS7_11use_defaultEEES9_S9_S9_S9_S9_S9_S9_S9_EEEESB_EEENSN_IJSM_SM_EEESB_PlJNSF_9not_fun_tINSF_14equal_to_valueISA_EEEEEEE10hipError_tPvRmT3_T4_T5_T6_T7_T9_mT8_P12ihipStream_tbDpT10_ENKUlT_T0_E_clISt17integral_constantIbLb0EES1J_EEDaS1E_S1F_EUlS1E_E_NS1_11comp_targetILNS1_3genE10ELNS1_11target_archE1200ELNS1_3gpuE4ELNS1_3repE0EEENS1_30default_config_static_selectorELNS0_4arch9wavefront6targetE0EEEvT1_.num_vgpr, 49
	.set _ZN7rocprim17ROCPRIM_400000_NS6detail17trampoline_kernelINS0_14default_configENS1_25partition_config_selectorILNS1_17partition_subalgoE6EN6thrust23THRUST_200600_302600_NS5tupleIssNS7_9null_typeES9_S9_S9_S9_S9_S9_S9_EENS0_10empty_typeEbEEZZNS1_14partition_implILS5_6ELb0ES3_mNS7_12zip_iteratorINS8_INS7_6detail15normal_iteratorINS7_10device_ptrIsEEEESJ_S9_S9_S9_S9_S9_S9_S9_S9_EEEEPSB_SM_NS0_5tupleIJNSE_INS8_ISJ_NS7_16discard_iteratorINS7_11use_defaultEEES9_S9_S9_S9_S9_S9_S9_S9_EEEESB_EEENSN_IJSM_SM_EEESB_PlJNSF_9not_fun_tINSF_14equal_to_valueISA_EEEEEEE10hipError_tPvRmT3_T4_T5_T6_T7_T9_mT8_P12ihipStream_tbDpT10_ENKUlT_T0_E_clISt17integral_constantIbLb0EES1J_EEDaS1E_S1F_EUlS1E_E_NS1_11comp_targetILNS1_3genE10ELNS1_11target_archE1200ELNS1_3gpuE4ELNS1_3repE0EEENS1_30default_config_static_selectorELNS0_4arch9wavefront6targetE0EEEvT1_.num_agpr, 0
	.set _ZN7rocprim17ROCPRIM_400000_NS6detail17trampoline_kernelINS0_14default_configENS1_25partition_config_selectorILNS1_17partition_subalgoE6EN6thrust23THRUST_200600_302600_NS5tupleIssNS7_9null_typeES9_S9_S9_S9_S9_S9_S9_EENS0_10empty_typeEbEEZZNS1_14partition_implILS5_6ELb0ES3_mNS7_12zip_iteratorINS8_INS7_6detail15normal_iteratorINS7_10device_ptrIsEEEESJ_S9_S9_S9_S9_S9_S9_S9_S9_EEEEPSB_SM_NS0_5tupleIJNSE_INS8_ISJ_NS7_16discard_iteratorINS7_11use_defaultEEES9_S9_S9_S9_S9_S9_S9_S9_EEEESB_EEENSN_IJSM_SM_EEESB_PlJNSF_9not_fun_tINSF_14equal_to_valueISA_EEEEEEE10hipError_tPvRmT3_T4_T5_T6_T7_T9_mT8_P12ihipStream_tbDpT10_ENKUlT_T0_E_clISt17integral_constantIbLb0EES1J_EEDaS1E_S1F_EUlS1E_E_NS1_11comp_targetILNS1_3genE10ELNS1_11target_archE1200ELNS1_3gpuE4ELNS1_3repE0EEENS1_30default_config_static_selectorELNS0_4arch9wavefront6targetE0EEEvT1_.numbered_sgpr, 22
	.set _ZN7rocprim17ROCPRIM_400000_NS6detail17trampoline_kernelINS0_14default_configENS1_25partition_config_selectorILNS1_17partition_subalgoE6EN6thrust23THRUST_200600_302600_NS5tupleIssNS7_9null_typeES9_S9_S9_S9_S9_S9_S9_EENS0_10empty_typeEbEEZZNS1_14partition_implILS5_6ELb0ES3_mNS7_12zip_iteratorINS8_INS7_6detail15normal_iteratorINS7_10device_ptrIsEEEESJ_S9_S9_S9_S9_S9_S9_S9_S9_EEEEPSB_SM_NS0_5tupleIJNSE_INS8_ISJ_NS7_16discard_iteratorINS7_11use_defaultEEES9_S9_S9_S9_S9_S9_S9_S9_EEEESB_EEENSN_IJSM_SM_EEESB_PlJNSF_9not_fun_tINSF_14equal_to_valueISA_EEEEEEE10hipError_tPvRmT3_T4_T5_T6_T7_T9_mT8_P12ihipStream_tbDpT10_ENKUlT_T0_E_clISt17integral_constantIbLb0EES1J_EEDaS1E_S1F_EUlS1E_E_NS1_11comp_targetILNS1_3genE10ELNS1_11target_archE1200ELNS1_3gpuE4ELNS1_3repE0EEENS1_30default_config_static_selectorELNS0_4arch9wavefront6targetE0EEEvT1_.num_named_barrier, 0
	.set _ZN7rocprim17ROCPRIM_400000_NS6detail17trampoline_kernelINS0_14default_configENS1_25partition_config_selectorILNS1_17partition_subalgoE6EN6thrust23THRUST_200600_302600_NS5tupleIssNS7_9null_typeES9_S9_S9_S9_S9_S9_S9_EENS0_10empty_typeEbEEZZNS1_14partition_implILS5_6ELb0ES3_mNS7_12zip_iteratorINS8_INS7_6detail15normal_iteratorINS7_10device_ptrIsEEEESJ_S9_S9_S9_S9_S9_S9_S9_S9_EEEEPSB_SM_NS0_5tupleIJNSE_INS8_ISJ_NS7_16discard_iteratorINS7_11use_defaultEEES9_S9_S9_S9_S9_S9_S9_S9_EEEESB_EEENSN_IJSM_SM_EEESB_PlJNSF_9not_fun_tINSF_14equal_to_valueISA_EEEEEEE10hipError_tPvRmT3_T4_T5_T6_T7_T9_mT8_P12ihipStream_tbDpT10_ENKUlT_T0_E_clISt17integral_constantIbLb0EES1J_EEDaS1E_S1F_EUlS1E_E_NS1_11comp_targetILNS1_3genE10ELNS1_11target_archE1200ELNS1_3gpuE4ELNS1_3repE0EEENS1_30default_config_static_selectorELNS0_4arch9wavefront6targetE0EEEvT1_.private_seg_size, 0
	.set _ZN7rocprim17ROCPRIM_400000_NS6detail17trampoline_kernelINS0_14default_configENS1_25partition_config_selectorILNS1_17partition_subalgoE6EN6thrust23THRUST_200600_302600_NS5tupleIssNS7_9null_typeES9_S9_S9_S9_S9_S9_S9_EENS0_10empty_typeEbEEZZNS1_14partition_implILS5_6ELb0ES3_mNS7_12zip_iteratorINS8_INS7_6detail15normal_iteratorINS7_10device_ptrIsEEEESJ_S9_S9_S9_S9_S9_S9_S9_S9_EEEEPSB_SM_NS0_5tupleIJNSE_INS8_ISJ_NS7_16discard_iteratorINS7_11use_defaultEEES9_S9_S9_S9_S9_S9_S9_S9_EEEESB_EEENSN_IJSM_SM_EEESB_PlJNSF_9not_fun_tINSF_14equal_to_valueISA_EEEEEEE10hipError_tPvRmT3_T4_T5_T6_T7_T9_mT8_P12ihipStream_tbDpT10_ENKUlT_T0_E_clISt17integral_constantIbLb0EES1J_EEDaS1E_S1F_EUlS1E_E_NS1_11comp_targetILNS1_3genE10ELNS1_11target_archE1200ELNS1_3gpuE4ELNS1_3repE0EEENS1_30default_config_static_selectorELNS0_4arch9wavefront6targetE0EEEvT1_.uses_vcc, 1
	.set _ZN7rocprim17ROCPRIM_400000_NS6detail17trampoline_kernelINS0_14default_configENS1_25partition_config_selectorILNS1_17partition_subalgoE6EN6thrust23THRUST_200600_302600_NS5tupleIssNS7_9null_typeES9_S9_S9_S9_S9_S9_S9_EENS0_10empty_typeEbEEZZNS1_14partition_implILS5_6ELb0ES3_mNS7_12zip_iteratorINS8_INS7_6detail15normal_iteratorINS7_10device_ptrIsEEEESJ_S9_S9_S9_S9_S9_S9_S9_S9_EEEEPSB_SM_NS0_5tupleIJNSE_INS8_ISJ_NS7_16discard_iteratorINS7_11use_defaultEEES9_S9_S9_S9_S9_S9_S9_S9_EEEESB_EEENSN_IJSM_SM_EEESB_PlJNSF_9not_fun_tINSF_14equal_to_valueISA_EEEEEEE10hipError_tPvRmT3_T4_T5_T6_T7_T9_mT8_P12ihipStream_tbDpT10_ENKUlT_T0_E_clISt17integral_constantIbLb0EES1J_EEDaS1E_S1F_EUlS1E_E_NS1_11comp_targetILNS1_3genE10ELNS1_11target_archE1200ELNS1_3gpuE4ELNS1_3repE0EEENS1_30default_config_static_selectorELNS0_4arch9wavefront6targetE0EEEvT1_.uses_flat_scratch, 0
	.set _ZN7rocprim17ROCPRIM_400000_NS6detail17trampoline_kernelINS0_14default_configENS1_25partition_config_selectorILNS1_17partition_subalgoE6EN6thrust23THRUST_200600_302600_NS5tupleIssNS7_9null_typeES9_S9_S9_S9_S9_S9_S9_EENS0_10empty_typeEbEEZZNS1_14partition_implILS5_6ELb0ES3_mNS7_12zip_iteratorINS8_INS7_6detail15normal_iteratorINS7_10device_ptrIsEEEESJ_S9_S9_S9_S9_S9_S9_S9_S9_EEEEPSB_SM_NS0_5tupleIJNSE_INS8_ISJ_NS7_16discard_iteratorINS7_11use_defaultEEES9_S9_S9_S9_S9_S9_S9_S9_EEEESB_EEENSN_IJSM_SM_EEESB_PlJNSF_9not_fun_tINSF_14equal_to_valueISA_EEEEEEE10hipError_tPvRmT3_T4_T5_T6_T7_T9_mT8_P12ihipStream_tbDpT10_ENKUlT_T0_E_clISt17integral_constantIbLb0EES1J_EEDaS1E_S1F_EUlS1E_E_NS1_11comp_targetILNS1_3genE10ELNS1_11target_archE1200ELNS1_3gpuE4ELNS1_3repE0EEENS1_30default_config_static_selectorELNS0_4arch9wavefront6targetE0EEEvT1_.has_dyn_sized_stack, 0
	.set _ZN7rocprim17ROCPRIM_400000_NS6detail17trampoline_kernelINS0_14default_configENS1_25partition_config_selectorILNS1_17partition_subalgoE6EN6thrust23THRUST_200600_302600_NS5tupleIssNS7_9null_typeES9_S9_S9_S9_S9_S9_S9_EENS0_10empty_typeEbEEZZNS1_14partition_implILS5_6ELb0ES3_mNS7_12zip_iteratorINS8_INS7_6detail15normal_iteratorINS7_10device_ptrIsEEEESJ_S9_S9_S9_S9_S9_S9_S9_S9_EEEEPSB_SM_NS0_5tupleIJNSE_INS8_ISJ_NS7_16discard_iteratorINS7_11use_defaultEEES9_S9_S9_S9_S9_S9_S9_S9_EEEESB_EEENSN_IJSM_SM_EEESB_PlJNSF_9not_fun_tINSF_14equal_to_valueISA_EEEEEEE10hipError_tPvRmT3_T4_T5_T6_T7_T9_mT8_P12ihipStream_tbDpT10_ENKUlT_T0_E_clISt17integral_constantIbLb0EES1J_EEDaS1E_S1F_EUlS1E_E_NS1_11comp_targetILNS1_3genE10ELNS1_11target_archE1200ELNS1_3gpuE4ELNS1_3repE0EEENS1_30default_config_static_selectorELNS0_4arch9wavefront6targetE0EEEvT1_.has_recursion, 0
	.set _ZN7rocprim17ROCPRIM_400000_NS6detail17trampoline_kernelINS0_14default_configENS1_25partition_config_selectorILNS1_17partition_subalgoE6EN6thrust23THRUST_200600_302600_NS5tupleIssNS7_9null_typeES9_S9_S9_S9_S9_S9_S9_EENS0_10empty_typeEbEEZZNS1_14partition_implILS5_6ELb0ES3_mNS7_12zip_iteratorINS8_INS7_6detail15normal_iteratorINS7_10device_ptrIsEEEESJ_S9_S9_S9_S9_S9_S9_S9_S9_EEEEPSB_SM_NS0_5tupleIJNSE_INS8_ISJ_NS7_16discard_iteratorINS7_11use_defaultEEES9_S9_S9_S9_S9_S9_S9_S9_EEEESB_EEENSN_IJSM_SM_EEESB_PlJNSF_9not_fun_tINSF_14equal_to_valueISA_EEEEEEE10hipError_tPvRmT3_T4_T5_T6_T7_T9_mT8_P12ihipStream_tbDpT10_ENKUlT_T0_E_clISt17integral_constantIbLb0EES1J_EEDaS1E_S1F_EUlS1E_E_NS1_11comp_targetILNS1_3genE10ELNS1_11target_archE1200ELNS1_3gpuE4ELNS1_3repE0EEENS1_30default_config_static_selectorELNS0_4arch9wavefront6targetE0EEEvT1_.has_indirect_call, 0
	.section	.AMDGPU.csdata,"",@progbits
; Kernel info:
; codeLenInByte = 7796
; TotalNumSgprs: 24
; NumVgprs: 49
; ScratchSize: 0
; MemoryBound: 0
; FloatMode: 240
; IeeeMode: 1
; LDSByteSize: 10768 bytes/workgroup (compile time only)
; SGPRBlocks: 0
; VGPRBlocks: 6
; NumSGPRsForWavesPerEU: 24
; NumVGPRsForWavesPerEU: 49
; Occupancy: 15
; WaveLimiterHint : 1
; COMPUTE_PGM_RSRC2:SCRATCH_EN: 0
; COMPUTE_PGM_RSRC2:USER_SGPR: 2
; COMPUTE_PGM_RSRC2:TRAP_HANDLER: 0
; COMPUTE_PGM_RSRC2:TGID_X_EN: 1
; COMPUTE_PGM_RSRC2:TGID_Y_EN: 0
; COMPUTE_PGM_RSRC2:TGID_Z_EN: 0
; COMPUTE_PGM_RSRC2:TIDIG_COMP_CNT: 0
	.section	.text._ZN7rocprim17ROCPRIM_400000_NS6detail17trampoline_kernelINS0_14default_configENS1_25partition_config_selectorILNS1_17partition_subalgoE6EN6thrust23THRUST_200600_302600_NS5tupleIssNS7_9null_typeES9_S9_S9_S9_S9_S9_S9_EENS0_10empty_typeEbEEZZNS1_14partition_implILS5_6ELb0ES3_mNS7_12zip_iteratorINS8_INS7_6detail15normal_iteratorINS7_10device_ptrIsEEEESJ_S9_S9_S9_S9_S9_S9_S9_S9_EEEEPSB_SM_NS0_5tupleIJNSE_INS8_ISJ_NS7_16discard_iteratorINS7_11use_defaultEEES9_S9_S9_S9_S9_S9_S9_S9_EEEESB_EEENSN_IJSM_SM_EEESB_PlJNSF_9not_fun_tINSF_14equal_to_valueISA_EEEEEEE10hipError_tPvRmT3_T4_T5_T6_T7_T9_mT8_P12ihipStream_tbDpT10_ENKUlT_T0_E_clISt17integral_constantIbLb0EES1J_EEDaS1E_S1F_EUlS1E_E_NS1_11comp_targetILNS1_3genE9ELNS1_11target_archE1100ELNS1_3gpuE3ELNS1_3repE0EEENS1_30default_config_static_selectorELNS0_4arch9wavefront6targetE0EEEvT1_,"axG",@progbits,_ZN7rocprim17ROCPRIM_400000_NS6detail17trampoline_kernelINS0_14default_configENS1_25partition_config_selectorILNS1_17partition_subalgoE6EN6thrust23THRUST_200600_302600_NS5tupleIssNS7_9null_typeES9_S9_S9_S9_S9_S9_S9_EENS0_10empty_typeEbEEZZNS1_14partition_implILS5_6ELb0ES3_mNS7_12zip_iteratorINS8_INS7_6detail15normal_iteratorINS7_10device_ptrIsEEEESJ_S9_S9_S9_S9_S9_S9_S9_S9_EEEEPSB_SM_NS0_5tupleIJNSE_INS8_ISJ_NS7_16discard_iteratorINS7_11use_defaultEEES9_S9_S9_S9_S9_S9_S9_S9_EEEESB_EEENSN_IJSM_SM_EEESB_PlJNSF_9not_fun_tINSF_14equal_to_valueISA_EEEEEEE10hipError_tPvRmT3_T4_T5_T6_T7_T9_mT8_P12ihipStream_tbDpT10_ENKUlT_T0_E_clISt17integral_constantIbLb0EES1J_EEDaS1E_S1F_EUlS1E_E_NS1_11comp_targetILNS1_3genE9ELNS1_11target_archE1100ELNS1_3gpuE3ELNS1_3repE0EEENS1_30default_config_static_selectorELNS0_4arch9wavefront6targetE0EEEvT1_,comdat
	.protected	_ZN7rocprim17ROCPRIM_400000_NS6detail17trampoline_kernelINS0_14default_configENS1_25partition_config_selectorILNS1_17partition_subalgoE6EN6thrust23THRUST_200600_302600_NS5tupleIssNS7_9null_typeES9_S9_S9_S9_S9_S9_S9_EENS0_10empty_typeEbEEZZNS1_14partition_implILS5_6ELb0ES3_mNS7_12zip_iteratorINS8_INS7_6detail15normal_iteratorINS7_10device_ptrIsEEEESJ_S9_S9_S9_S9_S9_S9_S9_S9_EEEEPSB_SM_NS0_5tupleIJNSE_INS8_ISJ_NS7_16discard_iteratorINS7_11use_defaultEEES9_S9_S9_S9_S9_S9_S9_S9_EEEESB_EEENSN_IJSM_SM_EEESB_PlJNSF_9not_fun_tINSF_14equal_to_valueISA_EEEEEEE10hipError_tPvRmT3_T4_T5_T6_T7_T9_mT8_P12ihipStream_tbDpT10_ENKUlT_T0_E_clISt17integral_constantIbLb0EES1J_EEDaS1E_S1F_EUlS1E_E_NS1_11comp_targetILNS1_3genE9ELNS1_11target_archE1100ELNS1_3gpuE3ELNS1_3repE0EEENS1_30default_config_static_selectorELNS0_4arch9wavefront6targetE0EEEvT1_ ; -- Begin function _ZN7rocprim17ROCPRIM_400000_NS6detail17trampoline_kernelINS0_14default_configENS1_25partition_config_selectorILNS1_17partition_subalgoE6EN6thrust23THRUST_200600_302600_NS5tupleIssNS7_9null_typeES9_S9_S9_S9_S9_S9_S9_EENS0_10empty_typeEbEEZZNS1_14partition_implILS5_6ELb0ES3_mNS7_12zip_iteratorINS8_INS7_6detail15normal_iteratorINS7_10device_ptrIsEEEESJ_S9_S9_S9_S9_S9_S9_S9_S9_EEEEPSB_SM_NS0_5tupleIJNSE_INS8_ISJ_NS7_16discard_iteratorINS7_11use_defaultEEES9_S9_S9_S9_S9_S9_S9_S9_EEEESB_EEENSN_IJSM_SM_EEESB_PlJNSF_9not_fun_tINSF_14equal_to_valueISA_EEEEEEE10hipError_tPvRmT3_T4_T5_T6_T7_T9_mT8_P12ihipStream_tbDpT10_ENKUlT_T0_E_clISt17integral_constantIbLb0EES1J_EEDaS1E_S1F_EUlS1E_E_NS1_11comp_targetILNS1_3genE9ELNS1_11target_archE1100ELNS1_3gpuE3ELNS1_3repE0EEENS1_30default_config_static_selectorELNS0_4arch9wavefront6targetE0EEEvT1_
	.globl	_ZN7rocprim17ROCPRIM_400000_NS6detail17trampoline_kernelINS0_14default_configENS1_25partition_config_selectorILNS1_17partition_subalgoE6EN6thrust23THRUST_200600_302600_NS5tupleIssNS7_9null_typeES9_S9_S9_S9_S9_S9_S9_EENS0_10empty_typeEbEEZZNS1_14partition_implILS5_6ELb0ES3_mNS7_12zip_iteratorINS8_INS7_6detail15normal_iteratorINS7_10device_ptrIsEEEESJ_S9_S9_S9_S9_S9_S9_S9_S9_EEEEPSB_SM_NS0_5tupleIJNSE_INS8_ISJ_NS7_16discard_iteratorINS7_11use_defaultEEES9_S9_S9_S9_S9_S9_S9_S9_EEEESB_EEENSN_IJSM_SM_EEESB_PlJNSF_9not_fun_tINSF_14equal_to_valueISA_EEEEEEE10hipError_tPvRmT3_T4_T5_T6_T7_T9_mT8_P12ihipStream_tbDpT10_ENKUlT_T0_E_clISt17integral_constantIbLb0EES1J_EEDaS1E_S1F_EUlS1E_E_NS1_11comp_targetILNS1_3genE9ELNS1_11target_archE1100ELNS1_3gpuE3ELNS1_3repE0EEENS1_30default_config_static_selectorELNS0_4arch9wavefront6targetE0EEEvT1_
	.p2align	8
	.type	_ZN7rocprim17ROCPRIM_400000_NS6detail17trampoline_kernelINS0_14default_configENS1_25partition_config_selectorILNS1_17partition_subalgoE6EN6thrust23THRUST_200600_302600_NS5tupleIssNS7_9null_typeES9_S9_S9_S9_S9_S9_S9_EENS0_10empty_typeEbEEZZNS1_14partition_implILS5_6ELb0ES3_mNS7_12zip_iteratorINS8_INS7_6detail15normal_iteratorINS7_10device_ptrIsEEEESJ_S9_S9_S9_S9_S9_S9_S9_S9_EEEEPSB_SM_NS0_5tupleIJNSE_INS8_ISJ_NS7_16discard_iteratorINS7_11use_defaultEEES9_S9_S9_S9_S9_S9_S9_S9_EEEESB_EEENSN_IJSM_SM_EEESB_PlJNSF_9not_fun_tINSF_14equal_to_valueISA_EEEEEEE10hipError_tPvRmT3_T4_T5_T6_T7_T9_mT8_P12ihipStream_tbDpT10_ENKUlT_T0_E_clISt17integral_constantIbLb0EES1J_EEDaS1E_S1F_EUlS1E_E_NS1_11comp_targetILNS1_3genE9ELNS1_11target_archE1100ELNS1_3gpuE3ELNS1_3repE0EEENS1_30default_config_static_selectorELNS0_4arch9wavefront6targetE0EEEvT1_,@function
_ZN7rocprim17ROCPRIM_400000_NS6detail17trampoline_kernelINS0_14default_configENS1_25partition_config_selectorILNS1_17partition_subalgoE6EN6thrust23THRUST_200600_302600_NS5tupleIssNS7_9null_typeES9_S9_S9_S9_S9_S9_S9_EENS0_10empty_typeEbEEZZNS1_14partition_implILS5_6ELb0ES3_mNS7_12zip_iteratorINS8_INS7_6detail15normal_iteratorINS7_10device_ptrIsEEEESJ_S9_S9_S9_S9_S9_S9_S9_S9_EEEEPSB_SM_NS0_5tupleIJNSE_INS8_ISJ_NS7_16discard_iteratorINS7_11use_defaultEEES9_S9_S9_S9_S9_S9_S9_S9_EEEESB_EEENSN_IJSM_SM_EEESB_PlJNSF_9not_fun_tINSF_14equal_to_valueISA_EEEEEEE10hipError_tPvRmT3_T4_T5_T6_T7_T9_mT8_P12ihipStream_tbDpT10_ENKUlT_T0_E_clISt17integral_constantIbLb0EES1J_EEDaS1E_S1F_EUlS1E_E_NS1_11comp_targetILNS1_3genE9ELNS1_11target_archE1100ELNS1_3gpuE3ELNS1_3repE0EEENS1_30default_config_static_selectorELNS0_4arch9wavefront6targetE0EEEvT1_: ; @_ZN7rocprim17ROCPRIM_400000_NS6detail17trampoline_kernelINS0_14default_configENS1_25partition_config_selectorILNS1_17partition_subalgoE6EN6thrust23THRUST_200600_302600_NS5tupleIssNS7_9null_typeES9_S9_S9_S9_S9_S9_S9_EENS0_10empty_typeEbEEZZNS1_14partition_implILS5_6ELb0ES3_mNS7_12zip_iteratorINS8_INS7_6detail15normal_iteratorINS7_10device_ptrIsEEEESJ_S9_S9_S9_S9_S9_S9_S9_S9_EEEEPSB_SM_NS0_5tupleIJNSE_INS8_ISJ_NS7_16discard_iteratorINS7_11use_defaultEEES9_S9_S9_S9_S9_S9_S9_S9_EEEESB_EEENSN_IJSM_SM_EEESB_PlJNSF_9not_fun_tINSF_14equal_to_valueISA_EEEEEEE10hipError_tPvRmT3_T4_T5_T6_T7_T9_mT8_P12ihipStream_tbDpT10_ENKUlT_T0_E_clISt17integral_constantIbLb0EES1J_EEDaS1E_S1F_EUlS1E_E_NS1_11comp_targetILNS1_3genE9ELNS1_11target_archE1100ELNS1_3gpuE3ELNS1_3repE0EEENS1_30default_config_static_selectorELNS0_4arch9wavefront6targetE0EEEvT1_
; %bb.0:
	.section	.rodata,"a",@progbits
	.p2align	6, 0x0
	.amdhsa_kernel _ZN7rocprim17ROCPRIM_400000_NS6detail17trampoline_kernelINS0_14default_configENS1_25partition_config_selectorILNS1_17partition_subalgoE6EN6thrust23THRUST_200600_302600_NS5tupleIssNS7_9null_typeES9_S9_S9_S9_S9_S9_S9_EENS0_10empty_typeEbEEZZNS1_14partition_implILS5_6ELb0ES3_mNS7_12zip_iteratorINS8_INS7_6detail15normal_iteratorINS7_10device_ptrIsEEEESJ_S9_S9_S9_S9_S9_S9_S9_S9_EEEEPSB_SM_NS0_5tupleIJNSE_INS8_ISJ_NS7_16discard_iteratorINS7_11use_defaultEEES9_S9_S9_S9_S9_S9_S9_S9_EEEESB_EEENSN_IJSM_SM_EEESB_PlJNSF_9not_fun_tINSF_14equal_to_valueISA_EEEEEEE10hipError_tPvRmT3_T4_T5_T6_T7_T9_mT8_P12ihipStream_tbDpT10_ENKUlT_T0_E_clISt17integral_constantIbLb0EES1J_EEDaS1E_S1F_EUlS1E_E_NS1_11comp_targetILNS1_3genE9ELNS1_11target_archE1100ELNS1_3gpuE3ELNS1_3repE0EEENS1_30default_config_static_selectorELNS0_4arch9wavefront6targetE0EEEvT1_
		.amdhsa_group_segment_fixed_size 0
		.amdhsa_private_segment_fixed_size 0
		.amdhsa_kernarg_size 144
		.amdhsa_user_sgpr_count 2
		.amdhsa_user_sgpr_dispatch_ptr 0
		.amdhsa_user_sgpr_queue_ptr 0
		.amdhsa_user_sgpr_kernarg_segment_ptr 1
		.amdhsa_user_sgpr_dispatch_id 0
		.amdhsa_user_sgpr_private_segment_size 0
		.amdhsa_wavefront_size32 1
		.amdhsa_uses_dynamic_stack 0
		.amdhsa_enable_private_segment 0
		.amdhsa_system_sgpr_workgroup_id_x 1
		.amdhsa_system_sgpr_workgroup_id_y 0
		.amdhsa_system_sgpr_workgroup_id_z 0
		.amdhsa_system_sgpr_workgroup_info 0
		.amdhsa_system_vgpr_workitem_id 0
		.amdhsa_next_free_vgpr 1
		.amdhsa_next_free_sgpr 1
		.amdhsa_reserve_vcc 0
		.amdhsa_float_round_mode_32 0
		.amdhsa_float_round_mode_16_64 0
		.amdhsa_float_denorm_mode_32 3
		.amdhsa_float_denorm_mode_16_64 3
		.amdhsa_fp16_overflow 0
		.amdhsa_workgroup_processor_mode 1
		.amdhsa_memory_ordered 1
		.amdhsa_forward_progress 1
		.amdhsa_inst_pref_size 0
		.amdhsa_round_robin_scheduling 0
		.amdhsa_exception_fp_ieee_invalid_op 0
		.amdhsa_exception_fp_denorm_src 0
		.amdhsa_exception_fp_ieee_div_zero 0
		.amdhsa_exception_fp_ieee_overflow 0
		.amdhsa_exception_fp_ieee_underflow 0
		.amdhsa_exception_fp_ieee_inexact 0
		.amdhsa_exception_int_div_zero 0
	.end_amdhsa_kernel
	.section	.text._ZN7rocprim17ROCPRIM_400000_NS6detail17trampoline_kernelINS0_14default_configENS1_25partition_config_selectorILNS1_17partition_subalgoE6EN6thrust23THRUST_200600_302600_NS5tupleIssNS7_9null_typeES9_S9_S9_S9_S9_S9_S9_EENS0_10empty_typeEbEEZZNS1_14partition_implILS5_6ELb0ES3_mNS7_12zip_iteratorINS8_INS7_6detail15normal_iteratorINS7_10device_ptrIsEEEESJ_S9_S9_S9_S9_S9_S9_S9_S9_EEEEPSB_SM_NS0_5tupleIJNSE_INS8_ISJ_NS7_16discard_iteratorINS7_11use_defaultEEES9_S9_S9_S9_S9_S9_S9_S9_EEEESB_EEENSN_IJSM_SM_EEESB_PlJNSF_9not_fun_tINSF_14equal_to_valueISA_EEEEEEE10hipError_tPvRmT3_T4_T5_T6_T7_T9_mT8_P12ihipStream_tbDpT10_ENKUlT_T0_E_clISt17integral_constantIbLb0EES1J_EEDaS1E_S1F_EUlS1E_E_NS1_11comp_targetILNS1_3genE9ELNS1_11target_archE1100ELNS1_3gpuE3ELNS1_3repE0EEENS1_30default_config_static_selectorELNS0_4arch9wavefront6targetE0EEEvT1_,"axG",@progbits,_ZN7rocprim17ROCPRIM_400000_NS6detail17trampoline_kernelINS0_14default_configENS1_25partition_config_selectorILNS1_17partition_subalgoE6EN6thrust23THRUST_200600_302600_NS5tupleIssNS7_9null_typeES9_S9_S9_S9_S9_S9_S9_EENS0_10empty_typeEbEEZZNS1_14partition_implILS5_6ELb0ES3_mNS7_12zip_iteratorINS8_INS7_6detail15normal_iteratorINS7_10device_ptrIsEEEESJ_S9_S9_S9_S9_S9_S9_S9_S9_EEEEPSB_SM_NS0_5tupleIJNSE_INS8_ISJ_NS7_16discard_iteratorINS7_11use_defaultEEES9_S9_S9_S9_S9_S9_S9_S9_EEEESB_EEENSN_IJSM_SM_EEESB_PlJNSF_9not_fun_tINSF_14equal_to_valueISA_EEEEEEE10hipError_tPvRmT3_T4_T5_T6_T7_T9_mT8_P12ihipStream_tbDpT10_ENKUlT_T0_E_clISt17integral_constantIbLb0EES1J_EEDaS1E_S1F_EUlS1E_E_NS1_11comp_targetILNS1_3genE9ELNS1_11target_archE1100ELNS1_3gpuE3ELNS1_3repE0EEENS1_30default_config_static_selectorELNS0_4arch9wavefront6targetE0EEEvT1_,comdat
.Lfunc_end2051:
	.size	_ZN7rocprim17ROCPRIM_400000_NS6detail17trampoline_kernelINS0_14default_configENS1_25partition_config_selectorILNS1_17partition_subalgoE6EN6thrust23THRUST_200600_302600_NS5tupleIssNS7_9null_typeES9_S9_S9_S9_S9_S9_S9_EENS0_10empty_typeEbEEZZNS1_14partition_implILS5_6ELb0ES3_mNS7_12zip_iteratorINS8_INS7_6detail15normal_iteratorINS7_10device_ptrIsEEEESJ_S9_S9_S9_S9_S9_S9_S9_S9_EEEEPSB_SM_NS0_5tupleIJNSE_INS8_ISJ_NS7_16discard_iteratorINS7_11use_defaultEEES9_S9_S9_S9_S9_S9_S9_S9_EEEESB_EEENSN_IJSM_SM_EEESB_PlJNSF_9not_fun_tINSF_14equal_to_valueISA_EEEEEEE10hipError_tPvRmT3_T4_T5_T6_T7_T9_mT8_P12ihipStream_tbDpT10_ENKUlT_T0_E_clISt17integral_constantIbLb0EES1J_EEDaS1E_S1F_EUlS1E_E_NS1_11comp_targetILNS1_3genE9ELNS1_11target_archE1100ELNS1_3gpuE3ELNS1_3repE0EEENS1_30default_config_static_selectorELNS0_4arch9wavefront6targetE0EEEvT1_, .Lfunc_end2051-_ZN7rocprim17ROCPRIM_400000_NS6detail17trampoline_kernelINS0_14default_configENS1_25partition_config_selectorILNS1_17partition_subalgoE6EN6thrust23THRUST_200600_302600_NS5tupleIssNS7_9null_typeES9_S9_S9_S9_S9_S9_S9_EENS0_10empty_typeEbEEZZNS1_14partition_implILS5_6ELb0ES3_mNS7_12zip_iteratorINS8_INS7_6detail15normal_iteratorINS7_10device_ptrIsEEEESJ_S9_S9_S9_S9_S9_S9_S9_S9_EEEEPSB_SM_NS0_5tupleIJNSE_INS8_ISJ_NS7_16discard_iteratorINS7_11use_defaultEEES9_S9_S9_S9_S9_S9_S9_S9_EEEESB_EEENSN_IJSM_SM_EEESB_PlJNSF_9not_fun_tINSF_14equal_to_valueISA_EEEEEEE10hipError_tPvRmT3_T4_T5_T6_T7_T9_mT8_P12ihipStream_tbDpT10_ENKUlT_T0_E_clISt17integral_constantIbLb0EES1J_EEDaS1E_S1F_EUlS1E_E_NS1_11comp_targetILNS1_3genE9ELNS1_11target_archE1100ELNS1_3gpuE3ELNS1_3repE0EEENS1_30default_config_static_selectorELNS0_4arch9wavefront6targetE0EEEvT1_
                                        ; -- End function
	.set _ZN7rocprim17ROCPRIM_400000_NS6detail17trampoline_kernelINS0_14default_configENS1_25partition_config_selectorILNS1_17partition_subalgoE6EN6thrust23THRUST_200600_302600_NS5tupleIssNS7_9null_typeES9_S9_S9_S9_S9_S9_S9_EENS0_10empty_typeEbEEZZNS1_14partition_implILS5_6ELb0ES3_mNS7_12zip_iteratorINS8_INS7_6detail15normal_iteratorINS7_10device_ptrIsEEEESJ_S9_S9_S9_S9_S9_S9_S9_S9_EEEEPSB_SM_NS0_5tupleIJNSE_INS8_ISJ_NS7_16discard_iteratorINS7_11use_defaultEEES9_S9_S9_S9_S9_S9_S9_S9_EEEESB_EEENSN_IJSM_SM_EEESB_PlJNSF_9not_fun_tINSF_14equal_to_valueISA_EEEEEEE10hipError_tPvRmT3_T4_T5_T6_T7_T9_mT8_P12ihipStream_tbDpT10_ENKUlT_T0_E_clISt17integral_constantIbLb0EES1J_EEDaS1E_S1F_EUlS1E_E_NS1_11comp_targetILNS1_3genE9ELNS1_11target_archE1100ELNS1_3gpuE3ELNS1_3repE0EEENS1_30default_config_static_selectorELNS0_4arch9wavefront6targetE0EEEvT1_.num_vgpr, 0
	.set _ZN7rocprim17ROCPRIM_400000_NS6detail17trampoline_kernelINS0_14default_configENS1_25partition_config_selectorILNS1_17partition_subalgoE6EN6thrust23THRUST_200600_302600_NS5tupleIssNS7_9null_typeES9_S9_S9_S9_S9_S9_S9_EENS0_10empty_typeEbEEZZNS1_14partition_implILS5_6ELb0ES3_mNS7_12zip_iteratorINS8_INS7_6detail15normal_iteratorINS7_10device_ptrIsEEEESJ_S9_S9_S9_S9_S9_S9_S9_S9_EEEEPSB_SM_NS0_5tupleIJNSE_INS8_ISJ_NS7_16discard_iteratorINS7_11use_defaultEEES9_S9_S9_S9_S9_S9_S9_S9_EEEESB_EEENSN_IJSM_SM_EEESB_PlJNSF_9not_fun_tINSF_14equal_to_valueISA_EEEEEEE10hipError_tPvRmT3_T4_T5_T6_T7_T9_mT8_P12ihipStream_tbDpT10_ENKUlT_T0_E_clISt17integral_constantIbLb0EES1J_EEDaS1E_S1F_EUlS1E_E_NS1_11comp_targetILNS1_3genE9ELNS1_11target_archE1100ELNS1_3gpuE3ELNS1_3repE0EEENS1_30default_config_static_selectorELNS0_4arch9wavefront6targetE0EEEvT1_.num_agpr, 0
	.set _ZN7rocprim17ROCPRIM_400000_NS6detail17trampoline_kernelINS0_14default_configENS1_25partition_config_selectorILNS1_17partition_subalgoE6EN6thrust23THRUST_200600_302600_NS5tupleIssNS7_9null_typeES9_S9_S9_S9_S9_S9_S9_EENS0_10empty_typeEbEEZZNS1_14partition_implILS5_6ELb0ES3_mNS7_12zip_iteratorINS8_INS7_6detail15normal_iteratorINS7_10device_ptrIsEEEESJ_S9_S9_S9_S9_S9_S9_S9_S9_EEEEPSB_SM_NS0_5tupleIJNSE_INS8_ISJ_NS7_16discard_iteratorINS7_11use_defaultEEES9_S9_S9_S9_S9_S9_S9_S9_EEEESB_EEENSN_IJSM_SM_EEESB_PlJNSF_9not_fun_tINSF_14equal_to_valueISA_EEEEEEE10hipError_tPvRmT3_T4_T5_T6_T7_T9_mT8_P12ihipStream_tbDpT10_ENKUlT_T0_E_clISt17integral_constantIbLb0EES1J_EEDaS1E_S1F_EUlS1E_E_NS1_11comp_targetILNS1_3genE9ELNS1_11target_archE1100ELNS1_3gpuE3ELNS1_3repE0EEENS1_30default_config_static_selectorELNS0_4arch9wavefront6targetE0EEEvT1_.numbered_sgpr, 0
	.set _ZN7rocprim17ROCPRIM_400000_NS6detail17trampoline_kernelINS0_14default_configENS1_25partition_config_selectorILNS1_17partition_subalgoE6EN6thrust23THRUST_200600_302600_NS5tupleIssNS7_9null_typeES9_S9_S9_S9_S9_S9_S9_EENS0_10empty_typeEbEEZZNS1_14partition_implILS5_6ELb0ES3_mNS7_12zip_iteratorINS8_INS7_6detail15normal_iteratorINS7_10device_ptrIsEEEESJ_S9_S9_S9_S9_S9_S9_S9_S9_EEEEPSB_SM_NS0_5tupleIJNSE_INS8_ISJ_NS7_16discard_iteratorINS7_11use_defaultEEES9_S9_S9_S9_S9_S9_S9_S9_EEEESB_EEENSN_IJSM_SM_EEESB_PlJNSF_9not_fun_tINSF_14equal_to_valueISA_EEEEEEE10hipError_tPvRmT3_T4_T5_T6_T7_T9_mT8_P12ihipStream_tbDpT10_ENKUlT_T0_E_clISt17integral_constantIbLb0EES1J_EEDaS1E_S1F_EUlS1E_E_NS1_11comp_targetILNS1_3genE9ELNS1_11target_archE1100ELNS1_3gpuE3ELNS1_3repE0EEENS1_30default_config_static_selectorELNS0_4arch9wavefront6targetE0EEEvT1_.num_named_barrier, 0
	.set _ZN7rocprim17ROCPRIM_400000_NS6detail17trampoline_kernelINS0_14default_configENS1_25partition_config_selectorILNS1_17partition_subalgoE6EN6thrust23THRUST_200600_302600_NS5tupleIssNS7_9null_typeES9_S9_S9_S9_S9_S9_S9_EENS0_10empty_typeEbEEZZNS1_14partition_implILS5_6ELb0ES3_mNS7_12zip_iteratorINS8_INS7_6detail15normal_iteratorINS7_10device_ptrIsEEEESJ_S9_S9_S9_S9_S9_S9_S9_S9_EEEEPSB_SM_NS0_5tupleIJNSE_INS8_ISJ_NS7_16discard_iteratorINS7_11use_defaultEEES9_S9_S9_S9_S9_S9_S9_S9_EEEESB_EEENSN_IJSM_SM_EEESB_PlJNSF_9not_fun_tINSF_14equal_to_valueISA_EEEEEEE10hipError_tPvRmT3_T4_T5_T6_T7_T9_mT8_P12ihipStream_tbDpT10_ENKUlT_T0_E_clISt17integral_constantIbLb0EES1J_EEDaS1E_S1F_EUlS1E_E_NS1_11comp_targetILNS1_3genE9ELNS1_11target_archE1100ELNS1_3gpuE3ELNS1_3repE0EEENS1_30default_config_static_selectorELNS0_4arch9wavefront6targetE0EEEvT1_.private_seg_size, 0
	.set _ZN7rocprim17ROCPRIM_400000_NS6detail17trampoline_kernelINS0_14default_configENS1_25partition_config_selectorILNS1_17partition_subalgoE6EN6thrust23THRUST_200600_302600_NS5tupleIssNS7_9null_typeES9_S9_S9_S9_S9_S9_S9_EENS0_10empty_typeEbEEZZNS1_14partition_implILS5_6ELb0ES3_mNS7_12zip_iteratorINS8_INS7_6detail15normal_iteratorINS7_10device_ptrIsEEEESJ_S9_S9_S9_S9_S9_S9_S9_S9_EEEEPSB_SM_NS0_5tupleIJNSE_INS8_ISJ_NS7_16discard_iteratorINS7_11use_defaultEEES9_S9_S9_S9_S9_S9_S9_S9_EEEESB_EEENSN_IJSM_SM_EEESB_PlJNSF_9not_fun_tINSF_14equal_to_valueISA_EEEEEEE10hipError_tPvRmT3_T4_T5_T6_T7_T9_mT8_P12ihipStream_tbDpT10_ENKUlT_T0_E_clISt17integral_constantIbLb0EES1J_EEDaS1E_S1F_EUlS1E_E_NS1_11comp_targetILNS1_3genE9ELNS1_11target_archE1100ELNS1_3gpuE3ELNS1_3repE0EEENS1_30default_config_static_selectorELNS0_4arch9wavefront6targetE0EEEvT1_.uses_vcc, 0
	.set _ZN7rocprim17ROCPRIM_400000_NS6detail17trampoline_kernelINS0_14default_configENS1_25partition_config_selectorILNS1_17partition_subalgoE6EN6thrust23THRUST_200600_302600_NS5tupleIssNS7_9null_typeES9_S9_S9_S9_S9_S9_S9_EENS0_10empty_typeEbEEZZNS1_14partition_implILS5_6ELb0ES3_mNS7_12zip_iteratorINS8_INS7_6detail15normal_iteratorINS7_10device_ptrIsEEEESJ_S9_S9_S9_S9_S9_S9_S9_S9_EEEEPSB_SM_NS0_5tupleIJNSE_INS8_ISJ_NS7_16discard_iteratorINS7_11use_defaultEEES9_S9_S9_S9_S9_S9_S9_S9_EEEESB_EEENSN_IJSM_SM_EEESB_PlJNSF_9not_fun_tINSF_14equal_to_valueISA_EEEEEEE10hipError_tPvRmT3_T4_T5_T6_T7_T9_mT8_P12ihipStream_tbDpT10_ENKUlT_T0_E_clISt17integral_constantIbLb0EES1J_EEDaS1E_S1F_EUlS1E_E_NS1_11comp_targetILNS1_3genE9ELNS1_11target_archE1100ELNS1_3gpuE3ELNS1_3repE0EEENS1_30default_config_static_selectorELNS0_4arch9wavefront6targetE0EEEvT1_.uses_flat_scratch, 0
	.set _ZN7rocprim17ROCPRIM_400000_NS6detail17trampoline_kernelINS0_14default_configENS1_25partition_config_selectorILNS1_17partition_subalgoE6EN6thrust23THRUST_200600_302600_NS5tupleIssNS7_9null_typeES9_S9_S9_S9_S9_S9_S9_EENS0_10empty_typeEbEEZZNS1_14partition_implILS5_6ELb0ES3_mNS7_12zip_iteratorINS8_INS7_6detail15normal_iteratorINS7_10device_ptrIsEEEESJ_S9_S9_S9_S9_S9_S9_S9_S9_EEEEPSB_SM_NS0_5tupleIJNSE_INS8_ISJ_NS7_16discard_iteratorINS7_11use_defaultEEES9_S9_S9_S9_S9_S9_S9_S9_EEEESB_EEENSN_IJSM_SM_EEESB_PlJNSF_9not_fun_tINSF_14equal_to_valueISA_EEEEEEE10hipError_tPvRmT3_T4_T5_T6_T7_T9_mT8_P12ihipStream_tbDpT10_ENKUlT_T0_E_clISt17integral_constantIbLb0EES1J_EEDaS1E_S1F_EUlS1E_E_NS1_11comp_targetILNS1_3genE9ELNS1_11target_archE1100ELNS1_3gpuE3ELNS1_3repE0EEENS1_30default_config_static_selectorELNS0_4arch9wavefront6targetE0EEEvT1_.has_dyn_sized_stack, 0
	.set _ZN7rocprim17ROCPRIM_400000_NS6detail17trampoline_kernelINS0_14default_configENS1_25partition_config_selectorILNS1_17partition_subalgoE6EN6thrust23THRUST_200600_302600_NS5tupleIssNS7_9null_typeES9_S9_S9_S9_S9_S9_S9_EENS0_10empty_typeEbEEZZNS1_14partition_implILS5_6ELb0ES3_mNS7_12zip_iteratorINS8_INS7_6detail15normal_iteratorINS7_10device_ptrIsEEEESJ_S9_S9_S9_S9_S9_S9_S9_S9_EEEEPSB_SM_NS0_5tupleIJNSE_INS8_ISJ_NS7_16discard_iteratorINS7_11use_defaultEEES9_S9_S9_S9_S9_S9_S9_S9_EEEESB_EEENSN_IJSM_SM_EEESB_PlJNSF_9not_fun_tINSF_14equal_to_valueISA_EEEEEEE10hipError_tPvRmT3_T4_T5_T6_T7_T9_mT8_P12ihipStream_tbDpT10_ENKUlT_T0_E_clISt17integral_constantIbLb0EES1J_EEDaS1E_S1F_EUlS1E_E_NS1_11comp_targetILNS1_3genE9ELNS1_11target_archE1100ELNS1_3gpuE3ELNS1_3repE0EEENS1_30default_config_static_selectorELNS0_4arch9wavefront6targetE0EEEvT1_.has_recursion, 0
	.set _ZN7rocprim17ROCPRIM_400000_NS6detail17trampoline_kernelINS0_14default_configENS1_25partition_config_selectorILNS1_17partition_subalgoE6EN6thrust23THRUST_200600_302600_NS5tupleIssNS7_9null_typeES9_S9_S9_S9_S9_S9_S9_EENS0_10empty_typeEbEEZZNS1_14partition_implILS5_6ELb0ES3_mNS7_12zip_iteratorINS8_INS7_6detail15normal_iteratorINS7_10device_ptrIsEEEESJ_S9_S9_S9_S9_S9_S9_S9_S9_EEEEPSB_SM_NS0_5tupleIJNSE_INS8_ISJ_NS7_16discard_iteratorINS7_11use_defaultEEES9_S9_S9_S9_S9_S9_S9_S9_EEEESB_EEENSN_IJSM_SM_EEESB_PlJNSF_9not_fun_tINSF_14equal_to_valueISA_EEEEEEE10hipError_tPvRmT3_T4_T5_T6_T7_T9_mT8_P12ihipStream_tbDpT10_ENKUlT_T0_E_clISt17integral_constantIbLb0EES1J_EEDaS1E_S1F_EUlS1E_E_NS1_11comp_targetILNS1_3genE9ELNS1_11target_archE1100ELNS1_3gpuE3ELNS1_3repE0EEENS1_30default_config_static_selectorELNS0_4arch9wavefront6targetE0EEEvT1_.has_indirect_call, 0
	.section	.AMDGPU.csdata,"",@progbits
; Kernel info:
; codeLenInByte = 0
; TotalNumSgprs: 0
; NumVgprs: 0
; ScratchSize: 0
; MemoryBound: 0
; FloatMode: 240
; IeeeMode: 1
; LDSByteSize: 0 bytes/workgroup (compile time only)
; SGPRBlocks: 0
; VGPRBlocks: 0
; NumSGPRsForWavesPerEU: 1
; NumVGPRsForWavesPerEU: 1
; Occupancy: 16
; WaveLimiterHint : 0
; COMPUTE_PGM_RSRC2:SCRATCH_EN: 0
; COMPUTE_PGM_RSRC2:USER_SGPR: 2
; COMPUTE_PGM_RSRC2:TRAP_HANDLER: 0
; COMPUTE_PGM_RSRC2:TGID_X_EN: 1
; COMPUTE_PGM_RSRC2:TGID_Y_EN: 0
; COMPUTE_PGM_RSRC2:TGID_Z_EN: 0
; COMPUTE_PGM_RSRC2:TIDIG_COMP_CNT: 0
	.section	.text._ZN7rocprim17ROCPRIM_400000_NS6detail17trampoline_kernelINS0_14default_configENS1_25partition_config_selectorILNS1_17partition_subalgoE6EN6thrust23THRUST_200600_302600_NS5tupleIssNS7_9null_typeES9_S9_S9_S9_S9_S9_S9_EENS0_10empty_typeEbEEZZNS1_14partition_implILS5_6ELb0ES3_mNS7_12zip_iteratorINS8_INS7_6detail15normal_iteratorINS7_10device_ptrIsEEEESJ_S9_S9_S9_S9_S9_S9_S9_S9_EEEEPSB_SM_NS0_5tupleIJNSE_INS8_ISJ_NS7_16discard_iteratorINS7_11use_defaultEEES9_S9_S9_S9_S9_S9_S9_S9_EEEESB_EEENSN_IJSM_SM_EEESB_PlJNSF_9not_fun_tINSF_14equal_to_valueISA_EEEEEEE10hipError_tPvRmT3_T4_T5_T6_T7_T9_mT8_P12ihipStream_tbDpT10_ENKUlT_T0_E_clISt17integral_constantIbLb0EES1J_EEDaS1E_S1F_EUlS1E_E_NS1_11comp_targetILNS1_3genE8ELNS1_11target_archE1030ELNS1_3gpuE2ELNS1_3repE0EEENS1_30default_config_static_selectorELNS0_4arch9wavefront6targetE0EEEvT1_,"axG",@progbits,_ZN7rocprim17ROCPRIM_400000_NS6detail17trampoline_kernelINS0_14default_configENS1_25partition_config_selectorILNS1_17partition_subalgoE6EN6thrust23THRUST_200600_302600_NS5tupleIssNS7_9null_typeES9_S9_S9_S9_S9_S9_S9_EENS0_10empty_typeEbEEZZNS1_14partition_implILS5_6ELb0ES3_mNS7_12zip_iteratorINS8_INS7_6detail15normal_iteratorINS7_10device_ptrIsEEEESJ_S9_S9_S9_S9_S9_S9_S9_S9_EEEEPSB_SM_NS0_5tupleIJNSE_INS8_ISJ_NS7_16discard_iteratorINS7_11use_defaultEEES9_S9_S9_S9_S9_S9_S9_S9_EEEESB_EEENSN_IJSM_SM_EEESB_PlJNSF_9not_fun_tINSF_14equal_to_valueISA_EEEEEEE10hipError_tPvRmT3_T4_T5_T6_T7_T9_mT8_P12ihipStream_tbDpT10_ENKUlT_T0_E_clISt17integral_constantIbLb0EES1J_EEDaS1E_S1F_EUlS1E_E_NS1_11comp_targetILNS1_3genE8ELNS1_11target_archE1030ELNS1_3gpuE2ELNS1_3repE0EEENS1_30default_config_static_selectorELNS0_4arch9wavefront6targetE0EEEvT1_,comdat
	.protected	_ZN7rocprim17ROCPRIM_400000_NS6detail17trampoline_kernelINS0_14default_configENS1_25partition_config_selectorILNS1_17partition_subalgoE6EN6thrust23THRUST_200600_302600_NS5tupleIssNS7_9null_typeES9_S9_S9_S9_S9_S9_S9_EENS0_10empty_typeEbEEZZNS1_14partition_implILS5_6ELb0ES3_mNS7_12zip_iteratorINS8_INS7_6detail15normal_iteratorINS7_10device_ptrIsEEEESJ_S9_S9_S9_S9_S9_S9_S9_S9_EEEEPSB_SM_NS0_5tupleIJNSE_INS8_ISJ_NS7_16discard_iteratorINS7_11use_defaultEEES9_S9_S9_S9_S9_S9_S9_S9_EEEESB_EEENSN_IJSM_SM_EEESB_PlJNSF_9not_fun_tINSF_14equal_to_valueISA_EEEEEEE10hipError_tPvRmT3_T4_T5_T6_T7_T9_mT8_P12ihipStream_tbDpT10_ENKUlT_T0_E_clISt17integral_constantIbLb0EES1J_EEDaS1E_S1F_EUlS1E_E_NS1_11comp_targetILNS1_3genE8ELNS1_11target_archE1030ELNS1_3gpuE2ELNS1_3repE0EEENS1_30default_config_static_selectorELNS0_4arch9wavefront6targetE0EEEvT1_ ; -- Begin function _ZN7rocprim17ROCPRIM_400000_NS6detail17trampoline_kernelINS0_14default_configENS1_25partition_config_selectorILNS1_17partition_subalgoE6EN6thrust23THRUST_200600_302600_NS5tupleIssNS7_9null_typeES9_S9_S9_S9_S9_S9_S9_EENS0_10empty_typeEbEEZZNS1_14partition_implILS5_6ELb0ES3_mNS7_12zip_iteratorINS8_INS7_6detail15normal_iteratorINS7_10device_ptrIsEEEESJ_S9_S9_S9_S9_S9_S9_S9_S9_EEEEPSB_SM_NS0_5tupleIJNSE_INS8_ISJ_NS7_16discard_iteratorINS7_11use_defaultEEES9_S9_S9_S9_S9_S9_S9_S9_EEEESB_EEENSN_IJSM_SM_EEESB_PlJNSF_9not_fun_tINSF_14equal_to_valueISA_EEEEEEE10hipError_tPvRmT3_T4_T5_T6_T7_T9_mT8_P12ihipStream_tbDpT10_ENKUlT_T0_E_clISt17integral_constantIbLb0EES1J_EEDaS1E_S1F_EUlS1E_E_NS1_11comp_targetILNS1_3genE8ELNS1_11target_archE1030ELNS1_3gpuE2ELNS1_3repE0EEENS1_30default_config_static_selectorELNS0_4arch9wavefront6targetE0EEEvT1_
	.globl	_ZN7rocprim17ROCPRIM_400000_NS6detail17trampoline_kernelINS0_14default_configENS1_25partition_config_selectorILNS1_17partition_subalgoE6EN6thrust23THRUST_200600_302600_NS5tupleIssNS7_9null_typeES9_S9_S9_S9_S9_S9_S9_EENS0_10empty_typeEbEEZZNS1_14partition_implILS5_6ELb0ES3_mNS7_12zip_iteratorINS8_INS7_6detail15normal_iteratorINS7_10device_ptrIsEEEESJ_S9_S9_S9_S9_S9_S9_S9_S9_EEEEPSB_SM_NS0_5tupleIJNSE_INS8_ISJ_NS7_16discard_iteratorINS7_11use_defaultEEES9_S9_S9_S9_S9_S9_S9_S9_EEEESB_EEENSN_IJSM_SM_EEESB_PlJNSF_9not_fun_tINSF_14equal_to_valueISA_EEEEEEE10hipError_tPvRmT3_T4_T5_T6_T7_T9_mT8_P12ihipStream_tbDpT10_ENKUlT_T0_E_clISt17integral_constantIbLb0EES1J_EEDaS1E_S1F_EUlS1E_E_NS1_11comp_targetILNS1_3genE8ELNS1_11target_archE1030ELNS1_3gpuE2ELNS1_3repE0EEENS1_30default_config_static_selectorELNS0_4arch9wavefront6targetE0EEEvT1_
	.p2align	8
	.type	_ZN7rocprim17ROCPRIM_400000_NS6detail17trampoline_kernelINS0_14default_configENS1_25partition_config_selectorILNS1_17partition_subalgoE6EN6thrust23THRUST_200600_302600_NS5tupleIssNS7_9null_typeES9_S9_S9_S9_S9_S9_S9_EENS0_10empty_typeEbEEZZNS1_14partition_implILS5_6ELb0ES3_mNS7_12zip_iteratorINS8_INS7_6detail15normal_iteratorINS7_10device_ptrIsEEEESJ_S9_S9_S9_S9_S9_S9_S9_S9_EEEEPSB_SM_NS0_5tupleIJNSE_INS8_ISJ_NS7_16discard_iteratorINS7_11use_defaultEEES9_S9_S9_S9_S9_S9_S9_S9_EEEESB_EEENSN_IJSM_SM_EEESB_PlJNSF_9not_fun_tINSF_14equal_to_valueISA_EEEEEEE10hipError_tPvRmT3_T4_T5_T6_T7_T9_mT8_P12ihipStream_tbDpT10_ENKUlT_T0_E_clISt17integral_constantIbLb0EES1J_EEDaS1E_S1F_EUlS1E_E_NS1_11comp_targetILNS1_3genE8ELNS1_11target_archE1030ELNS1_3gpuE2ELNS1_3repE0EEENS1_30default_config_static_selectorELNS0_4arch9wavefront6targetE0EEEvT1_,@function
_ZN7rocprim17ROCPRIM_400000_NS6detail17trampoline_kernelINS0_14default_configENS1_25partition_config_selectorILNS1_17partition_subalgoE6EN6thrust23THRUST_200600_302600_NS5tupleIssNS7_9null_typeES9_S9_S9_S9_S9_S9_S9_EENS0_10empty_typeEbEEZZNS1_14partition_implILS5_6ELb0ES3_mNS7_12zip_iteratorINS8_INS7_6detail15normal_iteratorINS7_10device_ptrIsEEEESJ_S9_S9_S9_S9_S9_S9_S9_S9_EEEEPSB_SM_NS0_5tupleIJNSE_INS8_ISJ_NS7_16discard_iteratorINS7_11use_defaultEEES9_S9_S9_S9_S9_S9_S9_S9_EEEESB_EEENSN_IJSM_SM_EEESB_PlJNSF_9not_fun_tINSF_14equal_to_valueISA_EEEEEEE10hipError_tPvRmT3_T4_T5_T6_T7_T9_mT8_P12ihipStream_tbDpT10_ENKUlT_T0_E_clISt17integral_constantIbLb0EES1J_EEDaS1E_S1F_EUlS1E_E_NS1_11comp_targetILNS1_3genE8ELNS1_11target_archE1030ELNS1_3gpuE2ELNS1_3repE0EEENS1_30default_config_static_selectorELNS0_4arch9wavefront6targetE0EEEvT1_: ; @_ZN7rocprim17ROCPRIM_400000_NS6detail17trampoline_kernelINS0_14default_configENS1_25partition_config_selectorILNS1_17partition_subalgoE6EN6thrust23THRUST_200600_302600_NS5tupleIssNS7_9null_typeES9_S9_S9_S9_S9_S9_S9_EENS0_10empty_typeEbEEZZNS1_14partition_implILS5_6ELb0ES3_mNS7_12zip_iteratorINS8_INS7_6detail15normal_iteratorINS7_10device_ptrIsEEEESJ_S9_S9_S9_S9_S9_S9_S9_S9_EEEEPSB_SM_NS0_5tupleIJNSE_INS8_ISJ_NS7_16discard_iteratorINS7_11use_defaultEEES9_S9_S9_S9_S9_S9_S9_S9_EEEESB_EEENSN_IJSM_SM_EEESB_PlJNSF_9not_fun_tINSF_14equal_to_valueISA_EEEEEEE10hipError_tPvRmT3_T4_T5_T6_T7_T9_mT8_P12ihipStream_tbDpT10_ENKUlT_T0_E_clISt17integral_constantIbLb0EES1J_EEDaS1E_S1F_EUlS1E_E_NS1_11comp_targetILNS1_3genE8ELNS1_11target_archE1030ELNS1_3gpuE2ELNS1_3repE0EEENS1_30default_config_static_selectorELNS0_4arch9wavefront6targetE0EEEvT1_
; %bb.0:
	.section	.rodata,"a",@progbits
	.p2align	6, 0x0
	.amdhsa_kernel _ZN7rocprim17ROCPRIM_400000_NS6detail17trampoline_kernelINS0_14default_configENS1_25partition_config_selectorILNS1_17partition_subalgoE6EN6thrust23THRUST_200600_302600_NS5tupleIssNS7_9null_typeES9_S9_S9_S9_S9_S9_S9_EENS0_10empty_typeEbEEZZNS1_14partition_implILS5_6ELb0ES3_mNS7_12zip_iteratorINS8_INS7_6detail15normal_iteratorINS7_10device_ptrIsEEEESJ_S9_S9_S9_S9_S9_S9_S9_S9_EEEEPSB_SM_NS0_5tupleIJNSE_INS8_ISJ_NS7_16discard_iteratorINS7_11use_defaultEEES9_S9_S9_S9_S9_S9_S9_S9_EEEESB_EEENSN_IJSM_SM_EEESB_PlJNSF_9not_fun_tINSF_14equal_to_valueISA_EEEEEEE10hipError_tPvRmT3_T4_T5_T6_T7_T9_mT8_P12ihipStream_tbDpT10_ENKUlT_T0_E_clISt17integral_constantIbLb0EES1J_EEDaS1E_S1F_EUlS1E_E_NS1_11comp_targetILNS1_3genE8ELNS1_11target_archE1030ELNS1_3gpuE2ELNS1_3repE0EEENS1_30default_config_static_selectorELNS0_4arch9wavefront6targetE0EEEvT1_
		.amdhsa_group_segment_fixed_size 0
		.amdhsa_private_segment_fixed_size 0
		.amdhsa_kernarg_size 144
		.amdhsa_user_sgpr_count 2
		.amdhsa_user_sgpr_dispatch_ptr 0
		.amdhsa_user_sgpr_queue_ptr 0
		.amdhsa_user_sgpr_kernarg_segment_ptr 1
		.amdhsa_user_sgpr_dispatch_id 0
		.amdhsa_user_sgpr_private_segment_size 0
		.amdhsa_wavefront_size32 1
		.amdhsa_uses_dynamic_stack 0
		.amdhsa_enable_private_segment 0
		.amdhsa_system_sgpr_workgroup_id_x 1
		.amdhsa_system_sgpr_workgroup_id_y 0
		.amdhsa_system_sgpr_workgroup_id_z 0
		.amdhsa_system_sgpr_workgroup_info 0
		.amdhsa_system_vgpr_workitem_id 0
		.amdhsa_next_free_vgpr 1
		.amdhsa_next_free_sgpr 1
		.amdhsa_reserve_vcc 0
		.amdhsa_float_round_mode_32 0
		.amdhsa_float_round_mode_16_64 0
		.amdhsa_float_denorm_mode_32 3
		.amdhsa_float_denorm_mode_16_64 3
		.amdhsa_fp16_overflow 0
		.amdhsa_workgroup_processor_mode 1
		.amdhsa_memory_ordered 1
		.amdhsa_forward_progress 1
		.amdhsa_inst_pref_size 0
		.amdhsa_round_robin_scheduling 0
		.amdhsa_exception_fp_ieee_invalid_op 0
		.amdhsa_exception_fp_denorm_src 0
		.amdhsa_exception_fp_ieee_div_zero 0
		.amdhsa_exception_fp_ieee_overflow 0
		.amdhsa_exception_fp_ieee_underflow 0
		.amdhsa_exception_fp_ieee_inexact 0
		.amdhsa_exception_int_div_zero 0
	.end_amdhsa_kernel
	.section	.text._ZN7rocprim17ROCPRIM_400000_NS6detail17trampoline_kernelINS0_14default_configENS1_25partition_config_selectorILNS1_17partition_subalgoE6EN6thrust23THRUST_200600_302600_NS5tupleIssNS7_9null_typeES9_S9_S9_S9_S9_S9_S9_EENS0_10empty_typeEbEEZZNS1_14partition_implILS5_6ELb0ES3_mNS7_12zip_iteratorINS8_INS7_6detail15normal_iteratorINS7_10device_ptrIsEEEESJ_S9_S9_S9_S9_S9_S9_S9_S9_EEEEPSB_SM_NS0_5tupleIJNSE_INS8_ISJ_NS7_16discard_iteratorINS7_11use_defaultEEES9_S9_S9_S9_S9_S9_S9_S9_EEEESB_EEENSN_IJSM_SM_EEESB_PlJNSF_9not_fun_tINSF_14equal_to_valueISA_EEEEEEE10hipError_tPvRmT3_T4_T5_T6_T7_T9_mT8_P12ihipStream_tbDpT10_ENKUlT_T0_E_clISt17integral_constantIbLb0EES1J_EEDaS1E_S1F_EUlS1E_E_NS1_11comp_targetILNS1_3genE8ELNS1_11target_archE1030ELNS1_3gpuE2ELNS1_3repE0EEENS1_30default_config_static_selectorELNS0_4arch9wavefront6targetE0EEEvT1_,"axG",@progbits,_ZN7rocprim17ROCPRIM_400000_NS6detail17trampoline_kernelINS0_14default_configENS1_25partition_config_selectorILNS1_17partition_subalgoE6EN6thrust23THRUST_200600_302600_NS5tupleIssNS7_9null_typeES9_S9_S9_S9_S9_S9_S9_EENS0_10empty_typeEbEEZZNS1_14partition_implILS5_6ELb0ES3_mNS7_12zip_iteratorINS8_INS7_6detail15normal_iteratorINS7_10device_ptrIsEEEESJ_S9_S9_S9_S9_S9_S9_S9_S9_EEEEPSB_SM_NS0_5tupleIJNSE_INS8_ISJ_NS7_16discard_iteratorINS7_11use_defaultEEES9_S9_S9_S9_S9_S9_S9_S9_EEEESB_EEENSN_IJSM_SM_EEESB_PlJNSF_9not_fun_tINSF_14equal_to_valueISA_EEEEEEE10hipError_tPvRmT3_T4_T5_T6_T7_T9_mT8_P12ihipStream_tbDpT10_ENKUlT_T0_E_clISt17integral_constantIbLb0EES1J_EEDaS1E_S1F_EUlS1E_E_NS1_11comp_targetILNS1_3genE8ELNS1_11target_archE1030ELNS1_3gpuE2ELNS1_3repE0EEENS1_30default_config_static_selectorELNS0_4arch9wavefront6targetE0EEEvT1_,comdat
.Lfunc_end2052:
	.size	_ZN7rocprim17ROCPRIM_400000_NS6detail17trampoline_kernelINS0_14default_configENS1_25partition_config_selectorILNS1_17partition_subalgoE6EN6thrust23THRUST_200600_302600_NS5tupleIssNS7_9null_typeES9_S9_S9_S9_S9_S9_S9_EENS0_10empty_typeEbEEZZNS1_14partition_implILS5_6ELb0ES3_mNS7_12zip_iteratorINS8_INS7_6detail15normal_iteratorINS7_10device_ptrIsEEEESJ_S9_S9_S9_S9_S9_S9_S9_S9_EEEEPSB_SM_NS0_5tupleIJNSE_INS8_ISJ_NS7_16discard_iteratorINS7_11use_defaultEEES9_S9_S9_S9_S9_S9_S9_S9_EEEESB_EEENSN_IJSM_SM_EEESB_PlJNSF_9not_fun_tINSF_14equal_to_valueISA_EEEEEEE10hipError_tPvRmT3_T4_T5_T6_T7_T9_mT8_P12ihipStream_tbDpT10_ENKUlT_T0_E_clISt17integral_constantIbLb0EES1J_EEDaS1E_S1F_EUlS1E_E_NS1_11comp_targetILNS1_3genE8ELNS1_11target_archE1030ELNS1_3gpuE2ELNS1_3repE0EEENS1_30default_config_static_selectorELNS0_4arch9wavefront6targetE0EEEvT1_, .Lfunc_end2052-_ZN7rocprim17ROCPRIM_400000_NS6detail17trampoline_kernelINS0_14default_configENS1_25partition_config_selectorILNS1_17partition_subalgoE6EN6thrust23THRUST_200600_302600_NS5tupleIssNS7_9null_typeES9_S9_S9_S9_S9_S9_S9_EENS0_10empty_typeEbEEZZNS1_14partition_implILS5_6ELb0ES3_mNS7_12zip_iteratorINS8_INS7_6detail15normal_iteratorINS7_10device_ptrIsEEEESJ_S9_S9_S9_S9_S9_S9_S9_S9_EEEEPSB_SM_NS0_5tupleIJNSE_INS8_ISJ_NS7_16discard_iteratorINS7_11use_defaultEEES9_S9_S9_S9_S9_S9_S9_S9_EEEESB_EEENSN_IJSM_SM_EEESB_PlJNSF_9not_fun_tINSF_14equal_to_valueISA_EEEEEEE10hipError_tPvRmT3_T4_T5_T6_T7_T9_mT8_P12ihipStream_tbDpT10_ENKUlT_T0_E_clISt17integral_constantIbLb0EES1J_EEDaS1E_S1F_EUlS1E_E_NS1_11comp_targetILNS1_3genE8ELNS1_11target_archE1030ELNS1_3gpuE2ELNS1_3repE0EEENS1_30default_config_static_selectorELNS0_4arch9wavefront6targetE0EEEvT1_
                                        ; -- End function
	.set _ZN7rocprim17ROCPRIM_400000_NS6detail17trampoline_kernelINS0_14default_configENS1_25partition_config_selectorILNS1_17partition_subalgoE6EN6thrust23THRUST_200600_302600_NS5tupleIssNS7_9null_typeES9_S9_S9_S9_S9_S9_S9_EENS0_10empty_typeEbEEZZNS1_14partition_implILS5_6ELb0ES3_mNS7_12zip_iteratorINS8_INS7_6detail15normal_iteratorINS7_10device_ptrIsEEEESJ_S9_S9_S9_S9_S9_S9_S9_S9_EEEEPSB_SM_NS0_5tupleIJNSE_INS8_ISJ_NS7_16discard_iteratorINS7_11use_defaultEEES9_S9_S9_S9_S9_S9_S9_S9_EEEESB_EEENSN_IJSM_SM_EEESB_PlJNSF_9not_fun_tINSF_14equal_to_valueISA_EEEEEEE10hipError_tPvRmT3_T4_T5_T6_T7_T9_mT8_P12ihipStream_tbDpT10_ENKUlT_T0_E_clISt17integral_constantIbLb0EES1J_EEDaS1E_S1F_EUlS1E_E_NS1_11comp_targetILNS1_3genE8ELNS1_11target_archE1030ELNS1_3gpuE2ELNS1_3repE0EEENS1_30default_config_static_selectorELNS0_4arch9wavefront6targetE0EEEvT1_.num_vgpr, 0
	.set _ZN7rocprim17ROCPRIM_400000_NS6detail17trampoline_kernelINS0_14default_configENS1_25partition_config_selectorILNS1_17partition_subalgoE6EN6thrust23THRUST_200600_302600_NS5tupleIssNS7_9null_typeES9_S9_S9_S9_S9_S9_S9_EENS0_10empty_typeEbEEZZNS1_14partition_implILS5_6ELb0ES3_mNS7_12zip_iteratorINS8_INS7_6detail15normal_iteratorINS7_10device_ptrIsEEEESJ_S9_S9_S9_S9_S9_S9_S9_S9_EEEEPSB_SM_NS0_5tupleIJNSE_INS8_ISJ_NS7_16discard_iteratorINS7_11use_defaultEEES9_S9_S9_S9_S9_S9_S9_S9_EEEESB_EEENSN_IJSM_SM_EEESB_PlJNSF_9not_fun_tINSF_14equal_to_valueISA_EEEEEEE10hipError_tPvRmT3_T4_T5_T6_T7_T9_mT8_P12ihipStream_tbDpT10_ENKUlT_T0_E_clISt17integral_constantIbLb0EES1J_EEDaS1E_S1F_EUlS1E_E_NS1_11comp_targetILNS1_3genE8ELNS1_11target_archE1030ELNS1_3gpuE2ELNS1_3repE0EEENS1_30default_config_static_selectorELNS0_4arch9wavefront6targetE0EEEvT1_.num_agpr, 0
	.set _ZN7rocprim17ROCPRIM_400000_NS6detail17trampoline_kernelINS0_14default_configENS1_25partition_config_selectorILNS1_17partition_subalgoE6EN6thrust23THRUST_200600_302600_NS5tupleIssNS7_9null_typeES9_S9_S9_S9_S9_S9_S9_EENS0_10empty_typeEbEEZZNS1_14partition_implILS5_6ELb0ES3_mNS7_12zip_iteratorINS8_INS7_6detail15normal_iteratorINS7_10device_ptrIsEEEESJ_S9_S9_S9_S9_S9_S9_S9_S9_EEEEPSB_SM_NS0_5tupleIJNSE_INS8_ISJ_NS7_16discard_iteratorINS7_11use_defaultEEES9_S9_S9_S9_S9_S9_S9_S9_EEEESB_EEENSN_IJSM_SM_EEESB_PlJNSF_9not_fun_tINSF_14equal_to_valueISA_EEEEEEE10hipError_tPvRmT3_T4_T5_T6_T7_T9_mT8_P12ihipStream_tbDpT10_ENKUlT_T0_E_clISt17integral_constantIbLb0EES1J_EEDaS1E_S1F_EUlS1E_E_NS1_11comp_targetILNS1_3genE8ELNS1_11target_archE1030ELNS1_3gpuE2ELNS1_3repE0EEENS1_30default_config_static_selectorELNS0_4arch9wavefront6targetE0EEEvT1_.numbered_sgpr, 0
	.set _ZN7rocprim17ROCPRIM_400000_NS6detail17trampoline_kernelINS0_14default_configENS1_25partition_config_selectorILNS1_17partition_subalgoE6EN6thrust23THRUST_200600_302600_NS5tupleIssNS7_9null_typeES9_S9_S9_S9_S9_S9_S9_EENS0_10empty_typeEbEEZZNS1_14partition_implILS5_6ELb0ES3_mNS7_12zip_iteratorINS8_INS7_6detail15normal_iteratorINS7_10device_ptrIsEEEESJ_S9_S9_S9_S9_S9_S9_S9_S9_EEEEPSB_SM_NS0_5tupleIJNSE_INS8_ISJ_NS7_16discard_iteratorINS7_11use_defaultEEES9_S9_S9_S9_S9_S9_S9_S9_EEEESB_EEENSN_IJSM_SM_EEESB_PlJNSF_9not_fun_tINSF_14equal_to_valueISA_EEEEEEE10hipError_tPvRmT3_T4_T5_T6_T7_T9_mT8_P12ihipStream_tbDpT10_ENKUlT_T0_E_clISt17integral_constantIbLb0EES1J_EEDaS1E_S1F_EUlS1E_E_NS1_11comp_targetILNS1_3genE8ELNS1_11target_archE1030ELNS1_3gpuE2ELNS1_3repE0EEENS1_30default_config_static_selectorELNS0_4arch9wavefront6targetE0EEEvT1_.num_named_barrier, 0
	.set _ZN7rocprim17ROCPRIM_400000_NS6detail17trampoline_kernelINS0_14default_configENS1_25partition_config_selectorILNS1_17partition_subalgoE6EN6thrust23THRUST_200600_302600_NS5tupleIssNS7_9null_typeES9_S9_S9_S9_S9_S9_S9_EENS0_10empty_typeEbEEZZNS1_14partition_implILS5_6ELb0ES3_mNS7_12zip_iteratorINS8_INS7_6detail15normal_iteratorINS7_10device_ptrIsEEEESJ_S9_S9_S9_S9_S9_S9_S9_S9_EEEEPSB_SM_NS0_5tupleIJNSE_INS8_ISJ_NS7_16discard_iteratorINS7_11use_defaultEEES9_S9_S9_S9_S9_S9_S9_S9_EEEESB_EEENSN_IJSM_SM_EEESB_PlJNSF_9not_fun_tINSF_14equal_to_valueISA_EEEEEEE10hipError_tPvRmT3_T4_T5_T6_T7_T9_mT8_P12ihipStream_tbDpT10_ENKUlT_T0_E_clISt17integral_constantIbLb0EES1J_EEDaS1E_S1F_EUlS1E_E_NS1_11comp_targetILNS1_3genE8ELNS1_11target_archE1030ELNS1_3gpuE2ELNS1_3repE0EEENS1_30default_config_static_selectorELNS0_4arch9wavefront6targetE0EEEvT1_.private_seg_size, 0
	.set _ZN7rocprim17ROCPRIM_400000_NS6detail17trampoline_kernelINS0_14default_configENS1_25partition_config_selectorILNS1_17partition_subalgoE6EN6thrust23THRUST_200600_302600_NS5tupleIssNS7_9null_typeES9_S9_S9_S9_S9_S9_S9_EENS0_10empty_typeEbEEZZNS1_14partition_implILS5_6ELb0ES3_mNS7_12zip_iteratorINS8_INS7_6detail15normal_iteratorINS7_10device_ptrIsEEEESJ_S9_S9_S9_S9_S9_S9_S9_S9_EEEEPSB_SM_NS0_5tupleIJNSE_INS8_ISJ_NS7_16discard_iteratorINS7_11use_defaultEEES9_S9_S9_S9_S9_S9_S9_S9_EEEESB_EEENSN_IJSM_SM_EEESB_PlJNSF_9not_fun_tINSF_14equal_to_valueISA_EEEEEEE10hipError_tPvRmT3_T4_T5_T6_T7_T9_mT8_P12ihipStream_tbDpT10_ENKUlT_T0_E_clISt17integral_constantIbLb0EES1J_EEDaS1E_S1F_EUlS1E_E_NS1_11comp_targetILNS1_3genE8ELNS1_11target_archE1030ELNS1_3gpuE2ELNS1_3repE0EEENS1_30default_config_static_selectorELNS0_4arch9wavefront6targetE0EEEvT1_.uses_vcc, 0
	.set _ZN7rocprim17ROCPRIM_400000_NS6detail17trampoline_kernelINS0_14default_configENS1_25partition_config_selectorILNS1_17partition_subalgoE6EN6thrust23THRUST_200600_302600_NS5tupleIssNS7_9null_typeES9_S9_S9_S9_S9_S9_S9_EENS0_10empty_typeEbEEZZNS1_14partition_implILS5_6ELb0ES3_mNS7_12zip_iteratorINS8_INS7_6detail15normal_iteratorINS7_10device_ptrIsEEEESJ_S9_S9_S9_S9_S9_S9_S9_S9_EEEEPSB_SM_NS0_5tupleIJNSE_INS8_ISJ_NS7_16discard_iteratorINS7_11use_defaultEEES9_S9_S9_S9_S9_S9_S9_S9_EEEESB_EEENSN_IJSM_SM_EEESB_PlJNSF_9not_fun_tINSF_14equal_to_valueISA_EEEEEEE10hipError_tPvRmT3_T4_T5_T6_T7_T9_mT8_P12ihipStream_tbDpT10_ENKUlT_T0_E_clISt17integral_constantIbLb0EES1J_EEDaS1E_S1F_EUlS1E_E_NS1_11comp_targetILNS1_3genE8ELNS1_11target_archE1030ELNS1_3gpuE2ELNS1_3repE0EEENS1_30default_config_static_selectorELNS0_4arch9wavefront6targetE0EEEvT1_.uses_flat_scratch, 0
	.set _ZN7rocprim17ROCPRIM_400000_NS6detail17trampoline_kernelINS0_14default_configENS1_25partition_config_selectorILNS1_17partition_subalgoE6EN6thrust23THRUST_200600_302600_NS5tupleIssNS7_9null_typeES9_S9_S9_S9_S9_S9_S9_EENS0_10empty_typeEbEEZZNS1_14partition_implILS5_6ELb0ES3_mNS7_12zip_iteratorINS8_INS7_6detail15normal_iteratorINS7_10device_ptrIsEEEESJ_S9_S9_S9_S9_S9_S9_S9_S9_EEEEPSB_SM_NS0_5tupleIJNSE_INS8_ISJ_NS7_16discard_iteratorINS7_11use_defaultEEES9_S9_S9_S9_S9_S9_S9_S9_EEEESB_EEENSN_IJSM_SM_EEESB_PlJNSF_9not_fun_tINSF_14equal_to_valueISA_EEEEEEE10hipError_tPvRmT3_T4_T5_T6_T7_T9_mT8_P12ihipStream_tbDpT10_ENKUlT_T0_E_clISt17integral_constantIbLb0EES1J_EEDaS1E_S1F_EUlS1E_E_NS1_11comp_targetILNS1_3genE8ELNS1_11target_archE1030ELNS1_3gpuE2ELNS1_3repE0EEENS1_30default_config_static_selectorELNS0_4arch9wavefront6targetE0EEEvT1_.has_dyn_sized_stack, 0
	.set _ZN7rocprim17ROCPRIM_400000_NS6detail17trampoline_kernelINS0_14default_configENS1_25partition_config_selectorILNS1_17partition_subalgoE6EN6thrust23THRUST_200600_302600_NS5tupleIssNS7_9null_typeES9_S9_S9_S9_S9_S9_S9_EENS0_10empty_typeEbEEZZNS1_14partition_implILS5_6ELb0ES3_mNS7_12zip_iteratorINS8_INS7_6detail15normal_iteratorINS7_10device_ptrIsEEEESJ_S9_S9_S9_S9_S9_S9_S9_S9_EEEEPSB_SM_NS0_5tupleIJNSE_INS8_ISJ_NS7_16discard_iteratorINS7_11use_defaultEEES9_S9_S9_S9_S9_S9_S9_S9_EEEESB_EEENSN_IJSM_SM_EEESB_PlJNSF_9not_fun_tINSF_14equal_to_valueISA_EEEEEEE10hipError_tPvRmT3_T4_T5_T6_T7_T9_mT8_P12ihipStream_tbDpT10_ENKUlT_T0_E_clISt17integral_constantIbLb0EES1J_EEDaS1E_S1F_EUlS1E_E_NS1_11comp_targetILNS1_3genE8ELNS1_11target_archE1030ELNS1_3gpuE2ELNS1_3repE0EEENS1_30default_config_static_selectorELNS0_4arch9wavefront6targetE0EEEvT1_.has_recursion, 0
	.set _ZN7rocprim17ROCPRIM_400000_NS6detail17trampoline_kernelINS0_14default_configENS1_25partition_config_selectorILNS1_17partition_subalgoE6EN6thrust23THRUST_200600_302600_NS5tupleIssNS7_9null_typeES9_S9_S9_S9_S9_S9_S9_EENS0_10empty_typeEbEEZZNS1_14partition_implILS5_6ELb0ES3_mNS7_12zip_iteratorINS8_INS7_6detail15normal_iteratorINS7_10device_ptrIsEEEESJ_S9_S9_S9_S9_S9_S9_S9_S9_EEEEPSB_SM_NS0_5tupleIJNSE_INS8_ISJ_NS7_16discard_iteratorINS7_11use_defaultEEES9_S9_S9_S9_S9_S9_S9_S9_EEEESB_EEENSN_IJSM_SM_EEESB_PlJNSF_9not_fun_tINSF_14equal_to_valueISA_EEEEEEE10hipError_tPvRmT3_T4_T5_T6_T7_T9_mT8_P12ihipStream_tbDpT10_ENKUlT_T0_E_clISt17integral_constantIbLb0EES1J_EEDaS1E_S1F_EUlS1E_E_NS1_11comp_targetILNS1_3genE8ELNS1_11target_archE1030ELNS1_3gpuE2ELNS1_3repE0EEENS1_30default_config_static_selectorELNS0_4arch9wavefront6targetE0EEEvT1_.has_indirect_call, 0
	.section	.AMDGPU.csdata,"",@progbits
; Kernel info:
; codeLenInByte = 0
; TotalNumSgprs: 0
; NumVgprs: 0
; ScratchSize: 0
; MemoryBound: 0
; FloatMode: 240
; IeeeMode: 1
; LDSByteSize: 0 bytes/workgroup (compile time only)
; SGPRBlocks: 0
; VGPRBlocks: 0
; NumSGPRsForWavesPerEU: 1
; NumVGPRsForWavesPerEU: 1
; Occupancy: 16
; WaveLimiterHint : 0
; COMPUTE_PGM_RSRC2:SCRATCH_EN: 0
; COMPUTE_PGM_RSRC2:USER_SGPR: 2
; COMPUTE_PGM_RSRC2:TRAP_HANDLER: 0
; COMPUTE_PGM_RSRC2:TGID_X_EN: 1
; COMPUTE_PGM_RSRC2:TGID_Y_EN: 0
; COMPUTE_PGM_RSRC2:TGID_Z_EN: 0
; COMPUTE_PGM_RSRC2:TIDIG_COMP_CNT: 0
	.section	.text._ZN7rocprim17ROCPRIM_400000_NS6detail17trampoline_kernelINS0_14default_configENS1_25partition_config_selectorILNS1_17partition_subalgoE6EN6thrust23THRUST_200600_302600_NS5tupleIssNS7_9null_typeES9_S9_S9_S9_S9_S9_S9_EENS0_10empty_typeEbEEZZNS1_14partition_implILS5_6ELb0ES3_mNS7_12zip_iteratorINS8_INS7_6detail15normal_iteratorINS7_10device_ptrIsEEEESJ_S9_S9_S9_S9_S9_S9_S9_S9_EEEEPSB_SM_NS0_5tupleIJNSE_INS8_ISJ_NS7_16discard_iteratorINS7_11use_defaultEEES9_S9_S9_S9_S9_S9_S9_S9_EEEESB_EEENSN_IJSM_SM_EEESB_PlJNSF_9not_fun_tINSF_14equal_to_valueISA_EEEEEEE10hipError_tPvRmT3_T4_T5_T6_T7_T9_mT8_P12ihipStream_tbDpT10_ENKUlT_T0_E_clISt17integral_constantIbLb1EES1J_EEDaS1E_S1F_EUlS1E_E_NS1_11comp_targetILNS1_3genE0ELNS1_11target_archE4294967295ELNS1_3gpuE0ELNS1_3repE0EEENS1_30default_config_static_selectorELNS0_4arch9wavefront6targetE0EEEvT1_,"axG",@progbits,_ZN7rocprim17ROCPRIM_400000_NS6detail17trampoline_kernelINS0_14default_configENS1_25partition_config_selectorILNS1_17partition_subalgoE6EN6thrust23THRUST_200600_302600_NS5tupleIssNS7_9null_typeES9_S9_S9_S9_S9_S9_S9_EENS0_10empty_typeEbEEZZNS1_14partition_implILS5_6ELb0ES3_mNS7_12zip_iteratorINS8_INS7_6detail15normal_iteratorINS7_10device_ptrIsEEEESJ_S9_S9_S9_S9_S9_S9_S9_S9_EEEEPSB_SM_NS0_5tupleIJNSE_INS8_ISJ_NS7_16discard_iteratorINS7_11use_defaultEEES9_S9_S9_S9_S9_S9_S9_S9_EEEESB_EEENSN_IJSM_SM_EEESB_PlJNSF_9not_fun_tINSF_14equal_to_valueISA_EEEEEEE10hipError_tPvRmT3_T4_T5_T6_T7_T9_mT8_P12ihipStream_tbDpT10_ENKUlT_T0_E_clISt17integral_constantIbLb1EES1J_EEDaS1E_S1F_EUlS1E_E_NS1_11comp_targetILNS1_3genE0ELNS1_11target_archE4294967295ELNS1_3gpuE0ELNS1_3repE0EEENS1_30default_config_static_selectorELNS0_4arch9wavefront6targetE0EEEvT1_,comdat
	.protected	_ZN7rocprim17ROCPRIM_400000_NS6detail17trampoline_kernelINS0_14default_configENS1_25partition_config_selectorILNS1_17partition_subalgoE6EN6thrust23THRUST_200600_302600_NS5tupleIssNS7_9null_typeES9_S9_S9_S9_S9_S9_S9_EENS0_10empty_typeEbEEZZNS1_14partition_implILS5_6ELb0ES3_mNS7_12zip_iteratorINS8_INS7_6detail15normal_iteratorINS7_10device_ptrIsEEEESJ_S9_S9_S9_S9_S9_S9_S9_S9_EEEEPSB_SM_NS0_5tupleIJNSE_INS8_ISJ_NS7_16discard_iteratorINS7_11use_defaultEEES9_S9_S9_S9_S9_S9_S9_S9_EEEESB_EEENSN_IJSM_SM_EEESB_PlJNSF_9not_fun_tINSF_14equal_to_valueISA_EEEEEEE10hipError_tPvRmT3_T4_T5_T6_T7_T9_mT8_P12ihipStream_tbDpT10_ENKUlT_T0_E_clISt17integral_constantIbLb1EES1J_EEDaS1E_S1F_EUlS1E_E_NS1_11comp_targetILNS1_3genE0ELNS1_11target_archE4294967295ELNS1_3gpuE0ELNS1_3repE0EEENS1_30default_config_static_selectorELNS0_4arch9wavefront6targetE0EEEvT1_ ; -- Begin function _ZN7rocprim17ROCPRIM_400000_NS6detail17trampoline_kernelINS0_14default_configENS1_25partition_config_selectorILNS1_17partition_subalgoE6EN6thrust23THRUST_200600_302600_NS5tupleIssNS7_9null_typeES9_S9_S9_S9_S9_S9_S9_EENS0_10empty_typeEbEEZZNS1_14partition_implILS5_6ELb0ES3_mNS7_12zip_iteratorINS8_INS7_6detail15normal_iteratorINS7_10device_ptrIsEEEESJ_S9_S9_S9_S9_S9_S9_S9_S9_EEEEPSB_SM_NS0_5tupleIJNSE_INS8_ISJ_NS7_16discard_iteratorINS7_11use_defaultEEES9_S9_S9_S9_S9_S9_S9_S9_EEEESB_EEENSN_IJSM_SM_EEESB_PlJNSF_9not_fun_tINSF_14equal_to_valueISA_EEEEEEE10hipError_tPvRmT3_T4_T5_T6_T7_T9_mT8_P12ihipStream_tbDpT10_ENKUlT_T0_E_clISt17integral_constantIbLb1EES1J_EEDaS1E_S1F_EUlS1E_E_NS1_11comp_targetILNS1_3genE0ELNS1_11target_archE4294967295ELNS1_3gpuE0ELNS1_3repE0EEENS1_30default_config_static_selectorELNS0_4arch9wavefront6targetE0EEEvT1_
	.globl	_ZN7rocprim17ROCPRIM_400000_NS6detail17trampoline_kernelINS0_14default_configENS1_25partition_config_selectorILNS1_17partition_subalgoE6EN6thrust23THRUST_200600_302600_NS5tupleIssNS7_9null_typeES9_S9_S9_S9_S9_S9_S9_EENS0_10empty_typeEbEEZZNS1_14partition_implILS5_6ELb0ES3_mNS7_12zip_iteratorINS8_INS7_6detail15normal_iteratorINS7_10device_ptrIsEEEESJ_S9_S9_S9_S9_S9_S9_S9_S9_EEEEPSB_SM_NS0_5tupleIJNSE_INS8_ISJ_NS7_16discard_iteratorINS7_11use_defaultEEES9_S9_S9_S9_S9_S9_S9_S9_EEEESB_EEENSN_IJSM_SM_EEESB_PlJNSF_9not_fun_tINSF_14equal_to_valueISA_EEEEEEE10hipError_tPvRmT3_T4_T5_T6_T7_T9_mT8_P12ihipStream_tbDpT10_ENKUlT_T0_E_clISt17integral_constantIbLb1EES1J_EEDaS1E_S1F_EUlS1E_E_NS1_11comp_targetILNS1_3genE0ELNS1_11target_archE4294967295ELNS1_3gpuE0ELNS1_3repE0EEENS1_30default_config_static_selectorELNS0_4arch9wavefront6targetE0EEEvT1_
	.p2align	8
	.type	_ZN7rocprim17ROCPRIM_400000_NS6detail17trampoline_kernelINS0_14default_configENS1_25partition_config_selectorILNS1_17partition_subalgoE6EN6thrust23THRUST_200600_302600_NS5tupleIssNS7_9null_typeES9_S9_S9_S9_S9_S9_S9_EENS0_10empty_typeEbEEZZNS1_14partition_implILS5_6ELb0ES3_mNS7_12zip_iteratorINS8_INS7_6detail15normal_iteratorINS7_10device_ptrIsEEEESJ_S9_S9_S9_S9_S9_S9_S9_S9_EEEEPSB_SM_NS0_5tupleIJNSE_INS8_ISJ_NS7_16discard_iteratorINS7_11use_defaultEEES9_S9_S9_S9_S9_S9_S9_S9_EEEESB_EEENSN_IJSM_SM_EEESB_PlJNSF_9not_fun_tINSF_14equal_to_valueISA_EEEEEEE10hipError_tPvRmT3_T4_T5_T6_T7_T9_mT8_P12ihipStream_tbDpT10_ENKUlT_T0_E_clISt17integral_constantIbLb1EES1J_EEDaS1E_S1F_EUlS1E_E_NS1_11comp_targetILNS1_3genE0ELNS1_11target_archE4294967295ELNS1_3gpuE0ELNS1_3repE0EEENS1_30default_config_static_selectorELNS0_4arch9wavefront6targetE0EEEvT1_,@function
_ZN7rocprim17ROCPRIM_400000_NS6detail17trampoline_kernelINS0_14default_configENS1_25partition_config_selectorILNS1_17partition_subalgoE6EN6thrust23THRUST_200600_302600_NS5tupleIssNS7_9null_typeES9_S9_S9_S9_S9_S9_S9_EENS0_10empty_typeEbEEZZNS1_14partition_implILS5_6ELb0ES3_mNS7_12zip_iteratorINS8_INS7_6detail15normal_iteratorINS7_10device_ptrIsEEEESJ_S9_S9_S9_S9_S9_S9_S9_S9_EEEEPSB_SM_NS0_5tupleIJNSE_INS8_ISJ_NS7_16discard_iteratorINS7_11use_defaultEEES9_S9_S9_S9_S9_S9_S9_S9_EEEESB_EEENSN_IJSM_SM_EEESB_PlJNSF_9not_fun_tINSF_14equal_to_valueISA_EEEEEEE10hipError_tPvRmT3_T4_T5_T6_T7_T9_mT8_P12ihipStream_tbDpT10_ENKUlT_T0_E_clISt17integral_constantIbLb1EES1J_EEDaS1E_S1F_EUlS1E_E_NS1_11comp_targetILNS1_3genE0ELNS1_11target_archE4294967295ELNS1_3gpuE0ELNS1_3repE0EEENS1_30default_config_static_selectorELNS0_4arch9wavefront6targetE0EEEvT1_: ; @_ZN7rocprim17ROCPRIM_400000_NS6detail17trampoline_kernelINS0_14default_configENS1_25partition_config_selectorILNS1_17partition_subalgoE6EN6thrust23THRUST_200600_302600_NS5tupleIssNS7_9null_typeES9_S9_S9_S9_S9_S9_S9_EENS0_10empty_typeEbEEZZNS1_14partition_implILS5_6ELb0ES3_mNS7_12zip_iteratorINS8_INS7_6detail15normal_iteratorINS7_10device_ptrIsEEEESJ_S9_S9_S9_S9_S9_S9_S9_S9_EEEEPSB_SM_NS0_5tupleIJNSE_INS8_ISJ_NS7_16discard_iteratorINS7_11use_defaultEEES9_S9_S9_S9_S9_S9_S9_S9_EEEESB_EEENSN_IJSM_SM_EEESB_PlJNSF_9not_fun_tINSF_14equal_to_valueISA_EEEEEEE10hipError_tPvRmT3_T4_T5_T6_T7_T9_mT8_P12ihipStream_tbDpT10_ENKUlT_T0_E_clISt17integral_constantIbLb1EES1J_EEDaS1E_S1F_EUlS1E_E_NS1_11comp_targetILNS1_3genE0ELNS1_11target_archE4294967295ELNS1_3gpuE0ELNS1_3repE0EEENS1_30default_config_static_selectorELNS0_4arch9wavefront6targetE0EEEvT1_
; %bb.0:
	.section	.rodata,"a",@progbits
	.p2align	6, 0x0
	.amdhsa_kernel _ZN7rocprim17ROCPRIM_400000_NS6detail17trampoline_kernelINS0_14default_configENS1_25partition_config_selectorILNS1_17partition_subalgoE6EN6thrust23THRUST_200600_302600_NS5tupleIssNS7_9null_typeES9_S9_S9_S9_S9_S9_S9_EENS0_10empty_typeEbEEZZNS1_14partition_implILS5_6ELb0ES3_mNS7_12zip_iteratorINS8_INS7_6detail15normal_iteratorINS7_10device_ptrIsEEEESJ_S9_S9_S9_S9_S9_S9_S9_S9_EEEEPSB_SM_NS0_5tupleIJNSE_INS8_ISJ_NS7_16discard_iteratorINS7_11use_defaultEEES9_S9_S9_S9_S9_S9_S9_S9_EEEESB_EEENSN_IJSM_SM_EEESB_PlJNSF_9not_fun_tINSF_14equal_to_valueISA_EEEEEEE10hipError_tPvRmT3_T4_T5_T6_T7_T9_mT8_P12ihipStream_tbDpT10_ENKUlT_T0_E_clISt17integral_constantIbLb1EES1J_EEDaS1E_S1F_EUlS1E_E_NS1_11comp_targetILNS1_3genE0ELNS1_11target_archE4294967295ELNS1_3gpuE0ELNS1_3repE0EEENS1_30default_config_static_selectorELNS0_4arch9wavefront6targetE0EEEvT1_
		.amdhsa_group_segment_fixed_size 0
		.amdhsa_private_segment_fixed_size 0
		.amdhsa_kernarg_size 152
		.amdhsa_user_sgpr_count 2
		.amdhsa_user_sgpr_dispatch_ptr 0
		.amdhsa_user_sgpr_queue_ptr 0
		.amdhsa_user_sgpr_kernarg_segment_ptr 1
		.amdhsa_user_sgpr_dispatch_id 0
		.amdhsa_user_sgpr_private_segment_size 0
		.amdhsa_wavefront_size32 1
		.amdhsa_uses_dynamic_stack 0
		.amdhsa_enable_private_segment 0
		.amdhsa_system_sgpr_workgroup_id_x 1
		.amdhsa_system_sgpr_workgroup_id_y 0
		.amdhsa_system_sgpr_workgroup_id_z 0
		.amdhsa_system_sgpr_workgroup_info 0
		.amdhsa_system_vgpr_workitem_id 0
		.amdhsa_next_free_vgpr 1
		.amdhsa_next_free_sgpr 1
		.amdhsa_reserve_vcc 0
		.amdhsa_float_round_mode_32 0
		.amdhsa_float_round_mode_16_64 0
		.amdhsa_float_denorm_mode_32 3
		.amdhsa_float_denorm_mode_16_64 3
		.amdhsa_fp16_overflow 0
		.amdhsa_workgroup_processor_mode 1
		.amdhsa_memory_ordered 1
		.amdhsa_forward_progress 1
		.amdhsa_inst_pref_size 0
		.amdhsa_round_robin_scheduling 0
		.amdhsa_exception_fp_ieee_invalid_op 0
		.amdhsa_exception_fp_denorm_src 0
		.amdhsa_exception_fp_ieee_div_zero 0
		.amdhsa_exception_fp_ieee_overflow 0
		.amdhsa_exception_fp_ieee_underflow 0
		.amdhsa_exception_fp_ieee_inexact 0
		.amdhsa_exception_int_div_zero 0
	.end_amdhsa_kernel
	.section	.text._ZN7rocprim17ROCPRIM_400000_NS6detail17trampoline_kernelINS0_14default_configENS1_25partition_config_selectorILNS1_17partition_subalgoE6EN6thrust23THRUST_200600_302600_NS5tupleIssNS7_9null_typeES9_S9_S9_S9_S9_S9_S9_EENS0_10empty_typeEbEEZZNS1_14partition_implILS5_6ELb0ES3_mNS7_12zip_iteratorINS8_INS7_6detail15normal_iteratorINS7_10device_ptrIsEEEESJ_S9_S9_S9_S9_S9_S9_S9_S9_EEEEPSB_SM_NS0_5tupleIJNSE_INS8_ISJ_NS7_16discard_iteratorINS7_11use_defaultEEES9_S9_S9_S9_S9_S9_S9_S9_EEEESB_EEENSN_IJSM_SM_EEESB_PlJNSF_9not_fun_tINSF_14equal_to_valueISA_EEEEEEE10hipError_tPvRmT3_T4_T5_T6_T7_T9_mT8_P12ihipStream_tbDpT10_ENKUlT_T0_E_clISt17integral_constantIbLb1EES1J_EEDaS1E_S1F_EUlS1E_E_NS1_11comp_targetILNS1_3genE0ELNS1_11target_archE4294967295ELNS1_3gpuE0ELNS1_3repE0EEENS1_30default_config_static_selectorELNS0_4arch9wavefront6targetE0EEEvT1_,"axG",@progbits,_ZN7rocprim17ROCPRIM_400000_NS6detail17trampoline_kernelINS0_14default_configENS1_25partition_config_selectorILNS1_17partition_subalgoE6EN6thrust23THRUST_200600_302600_NS5tupleIssNS7_9null_typeES9_S9_S9_S9_S9_S9_S9_EENS0_10empty_typeEbEEZZNS1_14partition_implILS5_6ELb0ES3_mNS7_12zip_iteratorINS8_INS7_6detail15normal_iteratorINS7_10device_ptrIsEEEESJ_S9_S9_S9_S9_S9_S9_S9_S9_EEEEPSB_SM_NS0_5tupleIJNSE_INS8_ISJ_NS7_16discard_iteratorINS7_11use_defaultEEES9_S9_S9_S9_S9_S9_S9_S9_EEEESB_EEENSN_IJSM_SM_EEESB_PlJNSF_9not_fun_tINSF_14equal_to_valueISA_EEEEEEE10hipError_tPvRmT3_T4_T5_T6_T7_T9_mT8_P12ihipStream_tbDpT10_ENKUlT_T0_E_clISt17integral_constantIbLb1EES1J_EEDaS1E_S1F_EUlS1E_E_NS1_11comp_targetILNS1_3genE0ELNS1_11target_archE4294967295ELNS1_3gpuE0ELNS1_3repE0EEENS1_30default_config_static_selectorELNS0_4arch9wavefront6targetE0EEEvT1_,comdat
.Lfunc_end2053:
	.size	_ZN7rocprim17ROCPRIM_400000_NS6detail17trampoline_kernelINS0_14default_configENS1_25partition_config_selectorILNS1_17partition_subalgoE6EN6thrust23THRUST_200600_302600_NS5tupleIssNS7_9null_typeES9_S9_S9_S9_S9_S9_S9_EENS0_10empty_typeEbEEZZNS1_14partition_implILS5_6ELb0ES3_mNS7_12zip_iteratorINS8_INS7_6detail15normal_iteratorINS7_10device_ptrIsEEEESJ_S9_S9_S9_S9_S9_S9_S9_S9_EEEEPSB_SM_NS0_5tupleIJNSE_INS8_ISJ_NS7_16discard_iteratorINS7_11use_defaultEEES9_S9_S9_S9_S9_S9_S9_S9_EEEESB_EEENSN_IJSM_SM_EEESB_PlJNSF_9not_fun_tINSF_14equal_to_valueISA_EEEEEEE10hipError_tPvRmT3_T4_T5_T6_T7_T9_mT8_P12ihipStream_tbDpT10_ENKUlT_T0_E_clISt17integral_constantIbLb1EES1J_EEDaS1E_S1F_EUlS1E_E_NS1_11comp_targetILNS1_3genE0ELNS1_11target_archE4294967295ELNS1_3gpuE0ELNS1_3repE0EEENS1_30default_config_static_selectorELNS0_4arch9wavefront6targetE0EEEvT1_, .Lfunc_end2053-_ZN7rocprim17ROCPRIM_400000_NS6detail17trampoline_kernelINS0_14default_configENS1_25partition_config_selectorILNS1_17partition_subalgoE6EN6thrust23THRUST_200600_302600_NS5tupleIssNS7_9null_typeES9_S9_S9_S9_S9_S9_S9_EENS0_10empty_typeEbEEZZNS1_14partition_implILS5_6ELb0ES3_mNS7_12zip_iteratorINS8_INS7_6detail15normal_iteratorINS7_10device_ptrIsEEEESJ_S9_S9_S9_S9_S9_S9_S9_S9_EEEEPSB_SM_NS0_5tupleIJNSE_INS8_ISJ_NS7_16discard_iteratorINS7_11use_defaultEEES9_S9_S9_S9_S9_S9_S9_S9_EEEESB_EEENSN_IJSM_SM_EEESB_PlJNSF_9not_fun_tINSF_14equal_to_valueISA_EEEEEEE10hipError_tPvRmT3_T4_T5_T6_T7_T9_mT8_P12ihipStream_tbDpT10_ENKUlT_T0_E_clISt17integral_constantIbLb1EES1J_EEDaS1E_S1F_EUlS1E_E_NS1_11comp_targetILNS1_3genE0ELNS1_11target_archE4294967295ELNS1_3gpuE0ELNS1_3repE0EEENS1_30default_config_static_selectorELNS0_4arch9wavefront6targetE0EEEvT1_
                                        ; -- End function
	.set _ZN7rocprim17ROCPRIM_400000_NS6detail17trampoline_kernelINS0_14default_configENS1_25partition_config_selectorILNS1_17partition_subalgoE6EN6thrust23THRUST_200600_302600_NS5tupleIssNS7_9null_typeES9_S9_S9_S9_S9_S9_S9_EENS0_10empty_typeEbEEZZNS1_14partition_implILS5_6ELb0ES3_mNS7_12zip_iteratorINS8_INS7_6detail15normal_iteratorINS7_10device_ptrIsEEEESJ_S9_S9_S9_S9_S9_S9_S9_S9_EEEEPSB_SM_NS0_5tupleIJNSE_INS8_ISJ_NS7_16discard_iteratorINS7_11use_defaultEEES9_S9_S9_S9_S9_S9_S9_S9_EEEESB_EEENSN_IJSM_SM_EEESB_PlJNSF_9not_fun_tINSF_14equal_to_valueISA_EEEEEEE10hipError_tPvRmT3_T4_T5_T6_T7_T9_mT8_P12ihipStream_tbDpT10_ENKUlT_T0_E_clISt17integral_constantIbLb1EES1J_EEDaS1E_S1F_EUlS1E_E_NS1_11comp_targetILNS1_3genE0ELNS1_11target_archE4294967295ELNS1_3gpuE0ELNS1_3repE0EEENS1_30default_config_static_selectorELNS0_4arch9wavefront6targetE0EEEvT1_.num_vgpr, 0
	.set _ZN7rocprim17ROCPRIM_400000_NS6detail17trampoline_kernelINS0_14default_configENS1_25partition_config_selectorILNS1_17partition_subalgoE6EN6thrust23THRUST_200600_302600_NS5tupleIssNS7_9null_typeES9_S9_S9_S9_S9_S9_S9_EENS0_10empty_typeEbEEZZNS1_14partition_implILS5_6ELb0ES3_mNS7_12zip_iteratorINS8_INS7_6detail15normal_iteratorINS7_10device_ptrIsEEEESJ_S9_S9_S9_S9_S9_S9_S9_S9_EEEEPSB_SM_NS0_5tupleIJNSE_INS8_ISJ_NS7_16discard_iteratorINS7_11use_defaultEEES9_S9_S9_S9_S9_S9_S9_S9_EEEESB_EEENSN_IJSM_SM_EEESB_PlJNSF_9not_fun_tINSF_14equal_to_valueISA_EEEEEEE10hipError_tPvRmT3_T4_T5_T6_T7_T9_mT8_P12ihipStream_tbDpT10_ENKUlT_T0_E_clISt17integral_constantIbLb1EES1J_EEDaS1E_S1F_EUlS1E_E_NS1_11comp_targetILNS1_3genE0ELNS1_11target_archE4294967295ELNS1_3gpuE0ELNS1_3repE0EEENS1_30default_config_static_selectorELNS0_4arch9wavefront6targetE0EEEvT1_.num_agpr, 0
	.set _ZN7rocprim17ROCPRIM_400000_NS6detail17trampoline_kernelINS0_14default_configENS1_25partition_config_selectorILNS1_17partition_subalgoE6EN6thrust23THRUST_200600_302600_NS5tupleIssNS7_9null_typeES9_S9_S9_S9_S9_S9_S9_EENS0_10empty_typeEbEEZZNS1_14partition_implILS5_6ELb0ES3_mNS7_12zip_iteratorINS8_INS7_6detail15normal_iteratorINS7_10device_ptrIsEEEESJ_S9_S9_S9_S9_S9_S9_S9_S9_EEEEPSB_SM_NS0_5tupleIJNSE_INS8_ISJ_NS7_16discard_iteratorINS7_11use_defaultEEES9_S9_S9_S9_S9_S9_S9_S9_EEEESB_EEENSN_IJSM_SM_EEESB_PlJNSF_9not_fun_tINSF_14equal_to_valueISA_EEEEEEE10hipError_tPvRmT3_T4_T5_T6_T7_T9_mT8_P12ihipStream_tbDpT10_ENKUlT_T0_E_clISt17integral_constantIbLb1EES1J_EEDaS1E_S1F_EUlS1E_E_NS1_11comp_targetILNS1_3genE0ELNS1_11target_archE4294967295ELNS1_3gpuE0ELNS1_3repE0EEENS1_30default_config_static_selectorELNS0_4arch9wavefront6targetE0EEEvT1_.numbered_sgpr, 0
	.set _ZN7rocprim17ROCPRIM_400000_NS6detail17trampoline_kernelINS0_14default_configENS1_25partition_config_selectorILNS1_17partition_subalgoE6EN6thrust23THRUST_200600_302600_NS5tupleIssNS7_9null_typeES9_S9_S9_S9_S9_S9_S9_EENS0_10empty_typeEbEEZZNS1_14partition_implILS5_6ELb0ES3_mNS7_12zip_iteratorINS8_INS7_6detail15normal_iteratorINS7_10device_ptrIsEEEESJ_S9_S9_S9_S9_S9_S9_S9_S9_EEEEPSB_SM_NS0_5tupleIJNSE_INS8_ISJ_NS7_16discard_iteratorINS7_11use_defaultEEES9_S9_S9_S9_S9_S9_S9_S9_EEEESB_EEENSN_IJSM_SM_EEESB_PlJNSF_9not_fun_tINSF_14equal_to_valueISA_EEEEEEE10hipError_tPvRmT3_T4_T5_T6_T7_T9_mT8_P12ihipStream_tbDpT10_ENKUlT_T0_E_clISt17integral_constantIbLb1EES1J_EEDaS1E_S1F_EUlS1E_E_NS1_11comp_targetILNS1_3genE0ELNS1_11target_archE4294967295ELNS1_3gpuE0ELNS1_3repE0EEENS1_30default_config_static_selectorELNS0_4arch9wavefront6targetE0EEEvT1_.num_named_barrier, 0
	.set _ZN7rocprim17ROCPRIM_400000_NS6detail17trampoline_kernelINS0_14default_configENS1_25partition_config_selectorILNS1_17partition_subalgoE6EN6thrust23THRUST_200600_302600_NS5tupleIssNS7_9null_typeES9_S9_S9_S9_S9_S9_S9_EENS0_10empty_typeEbEEZZNS1_14partition_implILS5_6ELb0ES3_mNS7_12zip_iteratorINS8_INS7_6detail15normal_iteratorINS7_10device_ptrIsEEEESJ_S9_S9_S9_S9_S9_S9_S9_S9_EEEEPSB_SM_NS0_5tupleIJNSE_INS8_ISJ_NS7_16discard_iteratorINS7_11use_defaultEEES9_S9_S9_S9_S9_S9_S9_S9_EEEESB_EEENSN_IJSM_SM_EEESB_PlJNSF_9not_fun_tINSF_14equal_to_valueISA_EEEEEEE10hipError_tPvRmT3_T4_T5_T6_T7_T9_mT8_P12ihipStream_tbDpT10_ENKUlT_T0_E_clISt17integral_constantIbLb1EES1J_EEDaS1E_S1F_EUlS1E_E_NS1_11comp_targetILNS1_3genE0ELNS1_11target_archE4294967295ELNS1_3gpuE0ELNS1_3repE0EEENS1_30default_config_static_selectorELNS0_4arch9wavefront6targetE0EEEvT1_.private_seg_size, 0
	.set _ZN7rocprim17ROCPRIM_400000_NS6detail17trampoline_kernelINS0_14default_configENS1_25partition_config_selectorILNS1_17partition_subalgoE6EN6thrust23THRUST_200600_302600_NS5tupleIssNS7_9null_typeES9_S9_S9_S9_S9_S9_S9_EENS0_10empty_typeEbEEZZNS1_14partition_implILS5_6ELb0ES3_mNS7_12zip_iteratorINS8_INS7_6detail15normal_iteratorINS7_10device_ptrIsEEEESJ_S9_S9_S9_S9_S9_S9_S9_S9_EEEEPSB_SM_NS0_5tupleIJNSE_INS8_ISJ_NS7_16discard_iteratorINS7_11use_defaultEEES9_S9_S9_S9_S9_S9_S9_S9_EEEESB_EEENSN_IJSM_SM_EEESB_PlJNSF_9not_fun_tINSF_14equal_to_valueISA_EEEEEEE10hipError_tPvRmT3_T4_T5_T6_T7_T9_mT8_P12ihipStream_tbDpT10_ENKUlT_T0_E_clISt17integral_constantIbLb1EES1J_EEDaS1E_S1F_EUlS1E_E_NS1_11comp_targetILNS1_3genE0ELNS1_11target_archE4294967295ELNS1_3gpuE0ELNS1_3repE0EEENS1_30default_config_static_selectorELNS0_4arch9wavefront6targetE0EEEvT1_.uses_vcc, 0
	.set _ZN7rocprim17ROCPRIM_400000_NS6detail17trampoline_kernelINS0_14default_configENS1_25partition_config_selectorILNS1_17partition_subalgoE6EN6thrust23THRUST_200600_302600_NS5tupleIssNS7_9null_typeES9_S9_S9_S9_S9_S9_S9_EENS0_10empty_typeEbEEZZNS1_14partition_implILS5_6ELb0ES3_mNS7_12zip_iteratorINS8_INS7_6detail15normal_iteratorINS7_10device_ptrIsEEEESJ_S9_S9_S9_S9_S9_S9_S9_S9_EEEEPSB_SM_NS0_5tupleIJNSE_INS8_ISJ_NS7_16discard_iteratorINS7_11use_defaultEEES9_S9_S9_S9_S9_S9_S9_S9_EEEESB_EEENSN_IJSM_SM_EEESB_PlJNSF_9not_fun_tINSF_14equal_to_valueISA_EEEEEEE10hipError_tPvRmT3_T4_T5_T6_T7_T9_mT8_P12ihipStream_tbDpT10_ENKUlT_T0_E_clISt17integral_constantIbLb1EES1J_EEDaS1E_S1F_EUlS1E_E_NS1_11comp_targetILNS1_3genE0ELNS1_11target_archE4294967295ELNS1_3gpuE0ELNS1_3repE0EEENS1_30default_config_static_selectorELNS0_4arch9wavefront6targetE0EEEvT1_.uses_flat_scratch, 0
	.set _ZN7rocprim17ROCPRIM_400000_NS6detail17trampoline_kernelINS0_14default_configENS1_25partition_config_selectorILNS1_17partition_subalgoE6EN6thrust23THRUST_200600_302600_NS5tupleIssNS7_9null_typeES9_S9_S9_S9_S9_S9_S9_EENS0_10empty_typeEbEEZZNS1_14partition_implILS5_6ELb0ES3_mNS7_12zip_iteratorINS8_INS7_6detail15normal_iteratorINS7_10device_ptrIsEEEESJ_S9_S9_S9_S9_S9_S9_S9_S9_EEEEPSB_SM_NS0_5tupleIJNSE_INS8_ISJ_NS7_16discard_iteratorINS7_11use_defaultEEES9_S9_S9_S9_S9_S9_S9_S9_EEEESB_EEENSN_IJSM_SM_EEESB_PlJNSF_9not_fun_tINSF_14equal_to_valueISA_EEEEEEE10hipError_tPvRmT3_T4_T5_T6_T7_T9_mT8_P12ihipStream_tbDpT10_ENKUlT_T0_E_clISt17integral_constantIbLb1EES1J_EEDaS1E_S1F_EUlS1E_E_NS1_11comp_targetILNS1_3genE0ELNS1_11target_archE4294967295ELNS1_3gpuE0ELNS1_3repE0EEENS1_30default_config_static_selectorELNS0_4arch9wavefront6targetE0EEEvT1_.has_dyn_sized_stack, 0
	.set _ZN7rocprim17ROCPRIM_400000_NS6detail17trampoline_kernelINS0_14default_configENS1_25partition_config_selectorILNS1_17partition_subalgoE6EN6thrust23THRUST_200600_302600_NS5tupleIssNS7_9null_typeES9_S9_S9_S9_S9_S9_S9_EENS0_10empty_typeEbEEZZNS1_14partition_implILS5_6ELb0ES3_mNS7_12zip_iteratorINS8_INS7_6detail15normal_iteratorINS7_10device_ptrIsEEEESJ_S9_S9_S9_S9_S9_S9_S9_S9_EEEEPSB_SM_NS0_5tupleIJNSE_INS8_ISJ_NS7_16discard_iteratorINS7_11use_defaultEEES9_S9_S9_S9_S9_S9_S9_S9_EEEESB_EEENSN_IJSM_SM_EEESB_PlJNSF_9not_fun_tINSF_14equal_to_valueISA_EEEEEEE10hipError_tPvRmT3_T4_T5_T6_T7_T9_mT8_P12ihipStream_tbDpT10_ENKUlT_T0_E_clISt17integral_constantIbLb1EES1J_EEDaS1E_S1F_EUlS1E_E_NS1_11comp_targetILNS1_3genE0ELNS1_11target_archE4294967295ELNS1_3gpuE0ELNS1_3repE0EEENS1_30default_config_static_selectorELNS0_4arch9wavefront6targetE0EEEvT1_.has_recursion, 0
	.set _ZN7rocprim17ROCPRIM_400000_NS6detail17trampoline_kernelINS0_14default_configENS1_25partition_config_selectorILNS1_17partition_subalgoE6EN6thrust23THRUST_200600_302600_NS5tupleIssNS7_9null_typeES9_S9_S9_S9_S9_S9_S9_EENS0_10empty_typeEbEEZZNS1_14partition_implILS5_6ELb0ES3_mNS7_12zip_iteratorINS8_INS7_6detail15normal_iteratorINS7_10device_ptrIsEEEESJ_S9_S9_S9_S9_S9_S9_S9_S9_EEEEPSB_SM_NS0_5tupleIJNSE_INS8_ISJ_NS7_16discard_iteratorINS7_11use_defaultEEES9_S9_S9_S9_S9_S9_S9_S9_EEEESB_EEENSN_IJSM_SM_EEESB_PlJNSF_9not_fun_tINSF_14equal_to_valueISA_EEEEEEE10hipError_tPvRmT3_T4_T5_T6_T7_T9_mT8_P12ihipStream_tbDpT10_ENKUlT_T0_E_clISt17integral_constantIbLb1EES1J_EEDaS1E_S1F_EUlS1E_E_NS1_11comp_targetILNS1_3genE0ELNS1_11target_archE4294967295ELNS1_3gpuE0ELNS1_3repE0EEENS1_30default_config_static_selectorELNS0_4arch9wavefront6targetE0EEEvT1_.has_indirect_call, 0
	.section	.AMDGPU.csdata,"",@progbits
; Kernel info:
; codeLenInByte = 0
; TotalNumSgprs: 0
; NumVgprs: 0
; ScratchSize: 0
; MemoryBound: 0
; FloatMode: 240
; IeeeMode: 1
; LDSByteSize: 0 bytes/workgroup (compile time only)
; SGPRBlocks: 0
; VGPRBlocks: 0
; NumSGPRsForWavesPerEU: 1
; NumVGPRsForWavesPerEU: 1
; Occupancy: 16
; WaveLimiterHint : 0
; COMPUTE_PGM_RSRC2:SCRATCH_EN: 0
; COMPUTE_PGM_RSRC2:USER_SGPR: 2
; COMPUTE_PGM_RSRC2:TRAP_HANDLER: 0
; COMPUTE_PGM_RSRC2:TGID_X_EN: 1
; COMPUTE_PGM_RSRC2:TGID_Y_EN: 0
; COMPUTE_PGM_RSRC2:TGID_Z_EN: 0
; COMPUTE_PGM_RSRC2:TIDIG_COMP_CNT: 0
	.section	.text._ZN7rocprim17ROCPRIM_400000_NS6detail17trampoline_kernelINS0_14default_configENS1_25partition_config_selectorILNS1_17partition_subalgoE6EN6thrust23THRUST_200600_302600_NS5tupleIssNS7_9null_typeES9_S9_S9_S9_S9_S9_S9_EENS0_10empty_typeEbEEZZNS1_14partition_implILS5_6ELb0ES3_mNS7_12zip_iteratorINS8_INS7_6detail15normal_iteratorINS7_10device_ptrIsEEEESJ_S9_S9_S9_S9_S9_S9_S9_S9_EEEEPSB_SM_NS0_5tupleIJNSE_INS8_ISJ_NS7_16discard_iteratorINS7_11use_defaultEEES9_S9_S9_S9_S9_S9_S9_S9_EEEESB_EEENSN_IJSM_SM_EEESB_PlJNSF_9not_fun_tINSF_14equal_to_valueISA_EEEEEEE10hipError_tPvRmT3_T4_T5_T6_T7_T9_mT8_P12ihipStream_tbDpT10_ENKUlT_T0_E_clISt17integral_constantIbLb1EES1J_EEDaS1E_S1F_EUlS1E_E_NS1_11comp_targetILNS1_3genE5ELNS1_11target_archE942ELNS1_3gpuE9ELNS1_3repE0EEENS1_30default_config_static_selectorELNS0_4arch9wavefront6targetE0EEEvT1_,"axG",@progbits,_ZN7rocprim17ROCPRIM_400000_NS6detail17trampoline_kernelINS0_14default_configENS1_25partition_config_selectorILNS1_17partition_subalgoE6EN6thrust23THRUST_200600_302600_NS5tupleIssNS7_9null_typeES9_S9_S9_S9_S9_S9_S9_EENS0_10empty_typeEbEEZZNS1_14partition_implILS5_6ELb0ES3_mNS7_12zip_iteratorINS8_INS7_6detail15normal_iteratorINS7_10device_ptrIsEEEESJ_S9_S9_S9_S9_S9_S9_S9_S9_EEEEPSB_SM_NS0_5tupleIJNSE_INS8_ISJ_NS7_16discard_iteratorINS7_11use_defaultEEES9_S9_S9_S9_S9_S9_S9_S9_EEEESB_EEENSN_IJSM_SM_EEESB_PlJNSF_9not_fun_tINSF_14equal_to_valueISA_EEEEEEE10hipError_tPvRmT3_T4_T5_T6_T7_T9_mT8_P12ihipStream_tbDpT10_ENKUlT_T0_E_clISt17integral_constantIbLb1EES1J_EEDaS1E_S1F_EUlS1E_E_NS1_11comp_targetILNS1_3genE5ELNS1_11target_archE942ELNS1_3gpuE9ELNS1_3repE0EEENS1_30default_config_static_selectorELNS0_4arch9wavefront6targetE0EEEvT1_,comdat
	.protected	_ZN7rocprim17ROCPRIM_400000_NS6detail17trampoline_kernelINS0_14default_configENS1_25partition_config_selectorILNS1_17partition_subalgoE6EN6thrust23THRUST_200600_302600_NS5tupleIssNS7_9null_typeES9_S9_S9_S9_S9_S9_S9_EENS0_10empty_typeEbEEZZNS1_14partition_implILS5_6ELb0ES3_mNS7_12zip_iteratorINS8_INS7_6detail15normal_iteratorINS7_10device_ptrIsEEEESJ_S9_S9_S9_S9_S9_S9_S9_S9_EEEEPSB_SM_NS0_5tupleIJNSE_INS8_ISJ_NS7_16discard_iteratorINS7_11use_defaultEEES9_S9_S9_S9_S9_S9_S9_S9_EEEESB_EEENSN_IJSM_SM_EEESB_PlJNSF_9not_fun_tINSF_14equal_to_valueISA_EEEEEEE10hipError_tPvRmT3_T4_T5_T6_T7_T9_mT8_P12ihipStream_tbDpT10_ENKUlT_T0_E_clISt17integral_constantIbLb1EES1J_EEDaS1E_S1F_EUlS1E_E_NS1_11comp_targetILNS1_3genE5ELNS1_11target_archE942ELNS1_3gpuE9ELNS1_3repE0EEENS1_30default_config_static_selectorELNS0_4arch9wavefront6targetE0EEEvT1_ ; -- Begin function _ZN7rocprim17ROCPRIM_400000_NS6detail17trampoline_kernelINS0_14default_configENS1_25partition_config_selectorILNS1_17partition_subalgoE6EN6thrust23THRUST_200600_302600_NS5tupleIssNS7_9null_typeES9_S9_S9_S9_S9_S9_S9_EENS0_10empty_typeEbEEZZNS1_14partition_implILS5_6ELb0ES3_mNS7_12zip_iteratorINS8_INS7_6detail15normal_iteratorINS7_10device_ptrIsEEEESJ_S9_S9_S9_S9_S9_S9_S9_S9_EEEEPSB_SM_NS0_5tupleIJNSE_INS8_ISJ_NS7_16discard_iteratorINS7_11use_defaultEEES9_S9_S9_S9_S9_S9_S9_S9_EEEESB_EEENSN_IJSM_SM_EEESB_PlJNSF_9not_fun_tINSF_14equal_to_valueISA_EEEEEEE10hipError_tPvRmT3_T4_T5_T6_T7_T9_mT8_P12ihipStream_tbDpT10_ENKUlT_T0_E_clISt17integral_constantIbLb1EES1J_EEDaS1E_S1F_EUlS1E_E_NS1_11comp_targetILNS1_3genE5ELNS1_11target_archE942ELNS1_3gpuE9ELNS1_3repE0EEENS1_30default_config_static_selectorELNS0_4arch9wavefront6targetE0EEEvT1_
	.globl	_ZN7rocprim17ROCPRIM_400000_NS6detail17trampoline_kernelINS0_14default_configENS1_25partition_config_selectorILNS1_17partition_subalgoE6EN6thrust23THRUST_200600_302600_NS5tupleIssNS7_9null_typeES9_S9_S9_S9_S9_S9_S9_EENS0_10empty_typeEbEEZZNS1_14partition_implILS5_6ELb0ES3_mNS7_12zip_iteratorINS8_INS7_6detail15normal_iteratorINS7_10device_ptrIsEEEESJ_S9_S9_S9_S9_S9_S9_S9_S9_EEEEPSB_SM_NS0_5tupleIJNSE_INS8_ISJ_NS7_16discard_iteratorINS7_11use_defaultEEES9_S9_S9_S9_S9_S9_S9_S9_EEEESB_EEENSN_IJSM_SM_EEESB_PlJNSF_9not_fun_tINSF_14equal_to_valueISA_EEEEEEE10hipError_tPvRmT3_T4_T5_T6_T7_T9_mT8_P12ihipStream_tbDpT10_ENKUlT_T0_E_clISt17integral_constantIbLb1EES1J_EEDaS1E_S1F_EUlS1E_E_NS1_11comp_targetILNS1_3genE5ELNS1_11target_archE942ELNS1_3gpuE9ELNS1_3repE0EEENS1_30default_config_static_selectorELNS0_4arch9wavefront6targetE0EEEvT1_
	.p2align	8
	.type	_ZN7rocprim17ROCPRIM_400000_NS6detail17trampoline_kernelINS0_14default_configENS1_25partition_config_selectorILNS1_17partition_subalgoE6EN6thrust23THRUST_200600_302600_NS5tupleIssNS7_9null_typeES9_S9_S9_S9_S9_S9_S9_EENS0_10empty_typeEbEEZZNS1_14partition_implILS5_6ELb0ES3_mNS7_12zip_iteratorINS8_INS7_6detail15normal_iteratorINS7_10device_ptrIsEEEESJ_S9_S9_S9_S9_S9_S9_S9_S9_EEEEPSB_SM_NS0_5tupleIJNSE_INS8_ISJ_NS7_16discard_iteratorINS7_11use_defaultEEES9_S9_S9_S9_S9_S9_S9_S9_EEEESB_EEENSN_IJSM_SM_EEESB_PlJNSF_9not_fun_tINSF_14equal_to_valueISA_EEEEEEE10hipError_tPvRmT3_T4_T5_T6_T7_T9_mT8_P12ihipStream_tbDpT10_ENKUlT_T0_E_clISt17integral_constantIbLb1EES1J_EEDaS1E_S1F_EUlS1E_E_NS1_11comp_targetILNS1_3genE5ELNS1_11target_archE942ELNS1_3gpuE9ELNS1_3repE0EEENS1_30default_config_static_selectorELNS0_4arch9wavefront6targetE0EEEvT1_,@function
_ZN7rocprim17ROCPRIM_400000_NS6detail17trampoline_kernelINS0_14default_configENS1_25partition_config_selectorILNS1_17partition_subalgoE6EN6thrust23THRUST_200600_302600_NS5tupleIssNS7_9null_typeES9_S9_S9_S9_S9_S9_S9_EENS0_10empty_typeEbEEZZNS1_14partition_implILS5_6ELb0ES3_mNS7_12zip_iteratorINS8_INS7_6detail15normal_iteratorINS7_10device_ptrIsEEEESJ_S9_S9_S9_S9_S9_S9_S9_S9_EEEEPSB_SM_NS0_5tupleIJNSE_INS8_ISJ_NS7_16discard_iteratorINS7_11use_defaultEEES9_S9_S9_S9_S9_S9_S9_S9_EEEESB_EEENSN_IJSM_SM_EEESB_PlJNSF_9not_fun_tINSF_14equal_to_valueISA_EEEEEEE10hipError_tPvRmT3_T4_T5_T6_T7_T9_mT8_P12ihipStream_tbDpT10_ENKUlT_T0_E_clISt17integral_constantIbLb1EES1J_EEDaS1E_S1F_EUlS1E_E_NS1_11comp_targetILNS1_3genE5ELNS1_11target_archE942ELNS1_3gpuE9ELNS1_3repE0EEENS1_30default_config_static_selectorELNS0_4arch9wavefront6targetE0EEEvT1_: ; @_ZN7rocprim17ROCPRIM_400000_NS6detail17trampoline_kernelINS0_14default_configENS1_25partition_config_selectorILNS1_17partition_subalgoE6EN6thrust23THRUST_200600_302600_NS5tupleIssNS7_9null_typeES9_S9_S9_S9_S9_S9_S9_EENS0_10empty_typeEbEEZZNS1_14partition_implILS5_6ELb0ES3_mNS7_12zip_iteratorINS8_INS7_6detail15normal_iteratorINS7_10device_ptrIsEEEESJ_S9_S9_S9_S9_S9_S9_S9_S9_EEEEPSB_SM_NS0_5tupleIJNSE_INS8_ISJ_NS7_16discard_iteratorINS7_11use_defaultEEES9_S9_S9_S9_S9_S9_S9_S9_EEEESB_EEENSN_IJSM_SM_EEESB_PlJNSF_9not_fun_tINSF_14equal_to_valueISA_EEEEEEE10hipError_tPvRmT3_T4_T5_T6_T7_T9_mT8_P12ihipStream_tbDpT10_ENKUlT_T0_E_clISt17integral_constantIbLb1EES1J_EEDaS1E_S1F_EUlS1E_E_NS1_11comp_targetILNS1_3genE5ELNS1_11target_archE942ELNS1_3gpuE9ELNS1_3repE0EEENS1_30default_config_static_selectorELNS0_4arch9wavefront6targetE0EEEvT1_
; %bb.0:
	.section	.rodata,"a",@progbits
	.p2align	6, 0x0
	.amdhsa_kernel _ZN7rocprim17ROCPRIM_400000_NS6detail17trampoline_kernelINS0_14default_configENS1_25partition_config_selectorILNS1_17partition_subalgoE6EN6thrust23THRUST_200600_302600_NS5tupleIssNS7_9null_typeES9_S9_S9_S9_S9_S9_S9_EENS0_10empty_typeEbEEZZNS1_14partition_implILS5_6ELb0ES3_mNS7_12zip_iteratorINS8_INS7_6detail15normal_iteratorINS7_10device_ptrIsEEEESJ_S9_S9_S9_S9_S9_S9_S9_S9_EEEEPSB_SM_NS0_5tupleIJNSE_INS8_ISJ_NS7_16discard_iteratorINS7_11use_defaultEEES9_S9_S9_S9_S9_S9_S9_S9_EEEESB_EEENSN_IJSM_SM_EEESB_PlJNSF_9not_fun_tINSF_14equal_to_valueISA_EEEEEEE10hipError_tPvRmT3_T4_T5_T6_T7_T9_mT8_P12ihipStream_tbDpT10_ENKUlT_T0_E_clISt17integral_constantIbLb1EES1J_EEDaS1E_S1F_EUlS1E_E_NS1_11comp_targetILNS1_3genE5ELNS1_11target_archE942ELNS1_3gpuE9ELNS1_3repE0EEENS1_30default_config_static_selectorELNS0_4arch9wavefront6targetE0EEEvT1_
		.amdhsa_group_segment_fixed_size 0
		.amdhsa_private_segment_fixed_size 0
		.amdhsa_kernarg_size 152
		.amdhsa_user_sgpr_count 2
		.amdhsa_user_sgpr_dispatch_ptr 0
		.amdhsa_user_sgpr_queue_ptr 0
		.amdhsa_user_sgpr_kernarg_segment_ptr 1
		.amdhsa_user_sgpr_dispatch_id 0
		.amdhsa_user_sgpr_private_segment_size 0
		.amdhsa_wavefront_size32 1
		.amdhsa_uses_dynamic_stack 0
		.amdhsa_enable_private_segment 0
		.amdhsa_system_sgpr_workgroup_id_x 1
		.amdhsa_system_sgpr_workgroup_id_y 0
		.amdhsa_system_sgpr_workgroup_id_z 0
		.amdhsa_system_sgpr_workgroup_info 0
		.amdhsa_system_vgpr_workitem_id 0
		.amdhsa_next_free_vgpr 1
		.amdhsa_next_free_sgpr 1
		.amdhsa_reserve_vcc 0
		.amdhsa_float_round_mode_32 0
		.amdhsa_float_round_mode_16_64 0
		.amdhsa_float_denorm_mode_32 3
		.amdhsa_float_denorm_mode_16_64 3
		.amdhsa_fp16_overflow 0
		.amdhsa_workgroup_processor_mode 1
		.amdhsa_memory_ordered 1
		.amdhsa_forward_progress 1
		.amdhsa_inst_pref_size 0
		.amdhsa_round_robin_scheduling 0
		.amdhsa_exception_fp_ieee_invalid_op 0
		.amdhsa_exception_fp_denorm_src 0
		.amdhsa_exception_fp_ieee_div_zero 0
		.amdhsa_exception_fp_ieee_overflow 0
		.amdhsa_exception_fp_ieee_underflow 0
		.amdhsa_exception_fp_ieee_inexact 0
		.amdhsa_exception_int_div_zero 0
	.end_amdhsa_kernel
	.section	.text._ZN7rocprim17ROCPRIM_400000_NS6detail17trampoline_kernelINS0_14default_configENS1_25partition_config_selectorILNS1_17partition_subalgoE6EN6thrust23THRUST_200600_302600_NS5tupleIssNS7_9null_typeES9_S9_S9_S9_S9_S9_S9_EENS0_10empty_typeEbEEZZNS1_14partition_implILS5_6ELb0ES3_mNS7_12zip_iteratorINS8_INS7_6detail15normal_iteratorINS7_10device_ptrIsEEEESJ_S9_S9_S9_S9_S9_S9_S9_S9_EEEEPSB_SM_NS0_5tupleIJNSE_INS8_ISJ_NS7_16discard_iteratorINS7_11use_defaultEEES9_S9_S9_S9_S9_S9_S9_S9_EEEESB_EEENSN_IJSM_SM_EEESB_PlJNSF_9not_fun_tINSF_14equal_to_valueISA_EEEEEEE10hipError_tPvRmT3_T4_T5_T6_T7_T9_mT8_P12ihipStream_tbDpT10_ENKUlT_T0_E_clISt17integral_constantIbLb1EES1J_EEDaS1E_S1F_EUlS1E_E_NS1_11comp_targetILNS1_3genE5ELNS1_11target_archE942ELNS1_3gpuE9ELNS1_3repE0EEENS1_30default_config_static_selectorELNS0_4arch9wavefront6targetE0EEEvT1_,"axG",@progbits,_ZN7rocprim17ROCPRIM_400000_NS6detail17trampoline_kernelINS0_14default_configENS1_25partition_config_selectorILNS1_17partition_subalgoE6EN6thrust23THRUST_200600_302600_NS5tupleIssNS7_9null_typeES9_S9_S9_S9_S9_S9_S9_EENS0_10empty_typeEbEEZZNS1_14partition_implILS5_6ELb0ES3_mNS7_12zip_iteratorINS8_INS7_6detail15normal_iteratorINS7_10device_ptrIsEEEESJ_S9_S9_S9_S9_S9_S9_S9_S9_EEEEPSB_SM_NS0_5tupleIJNSE_INS8_ISJ_NS7_16discard_iteratorINS7_11use_defaultEEES9_S9_S9_S9_S9_S9_S9_S9_EEEESB_EEENSN_IJSM_SM_EEESB_PlJNSF_9not_fun_tINSF_14equal_to_valueISA_EEEEEEE10hipError_tPvRmT3_T4_T5_T6_T7_T9_mT8_P12ihipStream_tbDpT10_ENKUlT_T0_E_clISt17integral_constantIbLb1EES1J_EEDaS1E_S1F_EUlS1E_E_NS1_11comp_targetILNS1_3genE5ELNS1_11target_archE942ELNS1_3gpuE9ELNS1_3repE0EEENS1_30default_config_static_selectorELNS0_4arch9wavefront6targetE0EEEvT1_,comdat
.Lfunc_end2054:
	.size	_ZN7rocprim17ROCPRIM_400000_NS6detail17trampoline_kernelINS0_14default_configENS1_25partition_config_selectorILNS1_17partition_subalgoE6EN6thrust23THRUST_200600_302600_NS5tupleIssNS7_9null_typeES9_S9_S9_S9_S9_S9_S9_EENS0_10empty_typeEbEEZZNS1_14partition_implILS5_6ELb0ES3_mNS7_12zip_iteratorINS8_INS7_6detail15normal_iteratorINS7_10device_ptrIsEEEESJ_S9_S9_S9_S9_S9_S9_S9_S9_EEEEPSB_SM_NS0_5tupleIJNSE_INS8_ISJ_NS7_16discard_iteratorINS7_11use_defaultEEES9_S9_S9_S9_S9_S9_S9_S9_EEEESB_EEENSN_IJSM_SM_EEESB_PlJNSF_9not_fun_tINSF_14equal_to_valueISA_EEEEEEE10hipError_tPvRmT3_T4_T5_T6_T7_T9_mT8_P12ihipStream_tbDpT10_ENKUlT_T0_E_clISt17integral_constantIbLb1EES1J_EEDaS1E_S1F_EUlS1E_E_NS1_11comp_targetILNS1_3genE5ELNS1_11target_archE942ELNS1_3gpuE9ELNS1_3repE0EEENS1_30default_config_static_selectorELNS0_4arch9wavefront6targetE0EEEvT1_, .Lfunc_end2054-_ZN7rocprim17ROCPRIM_400000_NS6detail17trampoline_kernelINS0_14default_configENS1_25partition_config_selectorILNS1_17partition_subalgoE6EN6thrust23THRUST_200600_302600_NS5tupleIssNS7_9null_typeES9_S9_S9_S9_S9_S9_S9_EENS0_10empty_typeEbEEZZNS1_14partition_implILS5_6ELb0ES3_mNS7_12zip_iteratorINS8_INS7_6detail15normal_iteratorINS7_10device_ptrIsEEEESJ_S9_S9_S9_S9_S9_S9_S9_S9_EEEEPSB_SM_NS0_5tupleIJNSE_INS8_ISJ_NS7_16discard_iteratorINS7_11use_defaultEEES9_S9_S9_S9_S9_S9_S9_S9_EEEESB_EEENSN_IJSM_SM_EEESB_PlJNSF_9not_fun_tINSF_14equal_to_valueISA_EEEEEEE10hipError_tPvRmT3_T4_T5_T6_T7_T9_mT8_P12ihipStream_tbDpT10_ENKUlT_T0_E_clISt17integral_constantIbLb1EES1J_EEDaS1E_S1F_EUlS1E_E_NS1_11comp_targetILNS1_3genE5ELNS1_11target_archE942ELNS1_3gpuE9ELNS1_3repE0EEENS1_30default_config_static_selectorELNS0_4arch9wavefront6targetE0EEEvT1_
                                        ; -- End function
	.set _ZN7rocprim17ROCPRIM_400000_NS6detail17trampoline_kernelINS0_14default_configENS1_25partition_config_selectorILNS1_17partition_subalgoE6EN6thrust23THRUST_200600_302600_NS5tupleIssNS7_9null_typeES9_S9_S9_S9_S9_S9_S9_EENS0_10empty_typeEbEEZZNS1_14partition_implILS5_6ELb0ES3_mNS7_12zip_iteratorINS8_INS7_6detail15normal_iteratorINS7_10device_ptrIsEEEESJ_S9_S9_S9_S9_S9_S9_S9_S9_EEEEPSB_SM_NS0_5tupleIJNSE_INS8_ISJ_NS7_16discard_iteratorINS7_11use_defaultEEES9_S9_S9_S9_S9_S9_S9_S9_EEEESB_EEENSN_IJSM_SM_EEESB_PlJNSF_9not_fun_tINSF_14equal_to_valueISA_EEEEEEE10hipError_tPvRmT3_T4_T5_T6_T7_T9_mT8_P12ihipStream_tbDpT10_ENKUlT_T0_E_clISt17integral_constantIbLb1EES1J_EEDaS1E_S1F_EUlS1E_E_NS1_11comp_targetILNS1_3genE5ELNS1_11target_archE942ELNS1_3gpuE9ELNS1_3repE0EEENS1_30default_config_static_selectorELNS0_4arch9wavefront6targetE0EEEvT1_.num_vgpr, 0
	.set _ZN7rocprim17ROCPRIM_400000_NS6detail17trampoline_kernelINS0_14default_configENS1_25partition_config_selectorILNS1_17partition_subalgoE6EN6thrust23THRUST_200600_302600_NS5tupleIssNS7_9null_typeES9_S9_S9_S9_S9_S9_S9_EENS0_10empty_typeEbEEZZNS1_14partition_implILS5_6ELb0ES3_mNS7_12zip_iteratorINS8_INS7_6detail15normal_iteratorINS7_10device_ptrIsEEEESJ_S9_S9_S9_S9_S9_S9_S9_S9_EEEEPSB_SM_NS0_5tupleIJNSE_INS8_ISJ_NS7_16discard_iteratorINS7_11use_defaultEEES9_S9_S9_S9_S9_S9_S9_S9_EEEESB_EEENSN_IJSM_SM_EEESB_PlJNSF_9not_fun_tINSF_14equal_to_valueISA_EEEEEEE10hipError_tPvRmT3_T4_T5_T6_T7_T9_mT8_P12ihipStream_tbDpT10_ENKUlT_T0_E_clISt17integral_constantIbLb1EES1J_EEDaS1E_S1F_EUlS1E_E_NS1_11comp_targetILNS1_3genE5ELNS1_11target_archE942ELNS1_3gpuE9ELNS1_3repE0EEENS1_30default_config_static_selectorELNS0_4arch9wavefront6targetE0EEEvT1_.num_agpr, 0
	.set _ZN7rocprim17ROCPRIM_400000_NS6detail17trampoline_kernelINS0_14default_configENS1_25partition_config_selectorILNS1_17partition_subalgoE6EN6thrust23THRUST_200600_302600_NS5tupleIssNS7_9null_typeES9_S9_S9_S9_S9_S9_S9_EENS0_10empty_typeEbEEZZNS1_14partition_implILS5_6ELb0ES3_mNS7_12zip_iteratorINS8_INS7_6detail15normal_iteratorINS7_10device_ptrIsEEEESJ_S9_S9_S9_S9_S9_S9_S9_S9_EEEEPSB_SM_NS0_5tupleIJNSE_INS8_ISJ_NS7_16discard_iteratorINS7_11use_defaultEEES9_S9_S9_S9_S9_S9_S9_S9_EEEESB_EEENSN_IJSM_SM_EEESB_PlJNSF_9not_fun_tINSF_14equal_to_valueISA_EEEEEEE10hipError_tPvRmT3_T4_T5_T6_T7_T9_mT8_P12ihipStream_tbDpT10_ENKUlT_T0_E_clISt17integral_constantIbLb1EES1J_EEDaS1E_S1F_EUlS1E_E_NS1_11comp_targetILNS1_3genE5ELNS1_11target_archE942ELNS1_3gpuE9ELNS1_3repE0EEENS1_30default_config_static_selectorELNS0_4arch9wavefront6targetE0EEEvT1_.numbered_sgpr, 0
	.set _ZN7rocprim17ROCPRIM_400000_NS6detail17trampoline_kernelINS0_14default_configENS1_25partition_config_selectorILNS1_17partition_subalgoE6EN6thrust23THRUST_200600_302600_NS5tupleIssNS7_9null_typeES9_S9_S9_S9_S9_S9_S9_EENS0_10empty_typeEbEEZZNS1_14partition_implILS5_6ELb0ES3_mNS7_12zip_iteratorINS8_INS7_6detail15normal_iteratorINS7_10device_ptrIsEEEESJ_S9_S9_S9_S9_S9_S9_S9_S9_EEEEPSB_SM_NS0_5tupleIJNSE_INS8_ISJ_NS7_16discard_iteratorINS7_11use_defaultEEES9_S9_S9_S9_S9_S9_S9_S9_EEEESB_EEENSN_IJSM_SM_EEESB_PlJNSF_9not_fun_tINSF_14equal_to_valueISA_EEEEEEE10hipError_tPvRmT3_T4_T5_T6_T7_T9_mT8_P12ihipStream_tbDpT10_ENKUlT_T0_E_clISt17integral_constantIbLb1EES1J_EEDaS1E_S1F_EUlS1E_E_NS1_11comp_targetILNS1_3genE5ELNS1_11target_archE942ELNS1_3gpuE9ELNS1_3repE0EEENS1_30default_config_static_selectorELNS0_4arch9wavefront6targetE0EEEvT1_.num_named_barrier, 0
	.set _ZN7rocprim17ROCPRIM_400000_NS6detail17trampoline_kernelINS0_14default_configENS1_25partition_config_selectorILNS1_17partition_subalgoE6EN6thrust23THRUST_200600_302600_NS5tupleIssNS7_9null_typeES9_S9_S9_S9_S9_S9_S9_EENS0_10empty_typeEbEEZZNS1_14partition_implILS5_6ELb0ES3_mNS7_12zip_iteratorINS8_INS7_6detail15normal_iteratorINS7_10device_ptrIsEEEESJ_S9_S9_S9_S9_S9_S9_S9_S9_EEEEPSB_SM_NS0_5tupleIJNSE_INS8_ISJ_NS7_16discard_iteratorINS7_11use_defaultEEES9_S9_S9_S9_S9_S9_S9_S9_EEEESB_EEENSN_IJSM_SM_EEESB_PlJNSF_9not_fun_tINSF_14equal_to_valueISA_EEEEEEE10hipError_tPvRmT3_T4_T5_T6_T7_T9_mT8_P12ihipStream_tbDpT10_ENKUlT_T0_E_clISt17integral_constantIbLb1EES1J_EEDaS1E_S1F_EUlS1E_E_NS1_11comp_targetILNS1_3genE5ELNS1_11target_archE942ELNS1_3gpuE9ELNS1_3repE0EEENS1_30default_config_static_selectorELNS0_4arch9wavefront6targetE0EEEvT1_.private_seg_size, 0
	.set _ZN7rocprim17ROCPRIM_400000_NS6detail17trampoline_kernelINS0_14default_configENS1_25partition_config_selectorILNS1_17partition_subalgoE6EN6thrust23THRUST_200600_302600_NS5tupleIssNS7_9null_typeES9_S9_S9_S9_S9_S9_S9_EENS0_10empty_typeEbEEZZNS1_14partition_implILS5_6ELb0ES3_mNS7_12zip_iteratorINS8_INS7_6detail15normal_iteratorINS7_10device_ptrIsEEEESJ_S9_S9_S9_S9_S9_S9_S9_S9_EEEEPSB_SM_NS0_5tupleIJNSE_INS8_ISJ_NS7_16discard_iteratorINS7_11use_defaultEEES9_S9_S9_S9_S9_S9_S9_S9_EEEESB_EEENSN_IJSM_SM_EEESB_PlJNSF_9not_fun_tINSF_14equal_to_valueISA_EEEEEEE10hipError_tPvRmT3_T4_T5_T6_T7_T9_mT8_P12ihipStream_tbDpT10_ENKUlT_T0_E_clISt17integral_constantIbLb1EES1J_EEDaS1E_S1F_EUlS1E_E_NS1_11comp_targetILNS1_3genE5ELNS1_11target_archE942ELNS1_3gpuE9ELNS1_3repE0EEENS1_30default_config_static_selectorELNS0_4arch9wavefront6targetE0EEEvT1_.uses_vcc, 0
	.set _ZN7rocprim17ROCPRIM_400000_NS6detail17trampoline_kernelINS0_14default_configENS1_25partition_config_selectorILNS1_17partition_subalgoE6EN6thrust23THRUST_200600_302600_NS5tupleIssNS7_9null_typeES9_S9_S9_S9_S9_S9_S9_EENS0_10empty_typeEbEEZZNS1_14partition_implILS5_6ELb0ES3_mNS7_12zip_iteratorINS8_INS7_6detail15normal_iteratorINS7_10device_ptrIsEEEESJ_S9_S9_S9_S9_S9_S9_S9_S9_EEEEPSB_SM_NS0_5tupleIJNSE_INS8_ISJ_NS7_16discard_iteratorINS7_11use_defaultEEES9_S9_S9_S9_S9_S9_S9_S9_EEEESB_EEENSN_IJSM_SM_EEESB_PlJNSF_9not_fun_tINSF_14equal_to_valueISA_EEEEEEE10hipError_tPvRmT3_T4_T5_T6_T7_T9_mT8_P12ihipStream_tbDpT10_ENKUlT_T0_E_clISt17integral_constantIbLb1EES1J_EEDaS1E_S1F_EUlS1E_E_NS1_11comp_targetILNS1_3genE5ELNS1_11target_archE942ELNS1_3gpuE9ELNS1_3repE0EEENS1_30default_config_static_selectorELNS0_4arch9wavefront6targetE0EEEvT1_.uses_flat_scratch, 0
	.set _ZN7rocprim17ROCPRIM_400000_NS6detail17trampoline_kernelINS0_14default_configENS1_25partition_config_selectorILNS1_17partition_subalgoE6EN6thrust23THRUST_200600_302600_NS5tupleIssNS7_9null_typeES9_S9_S9_S9_S9_S9_S9_EENS0_10empty_typeEbEEZZNS1_14partition_implILS5_6ELb0ES3_mNS7_12zip_iteratorINS8_INS7_6detail15normal_iteratorINS7_10device_ptrIsEEEESJ_S9_S9_S9_S9_S9_S9_S9_S9_EEEEPSB_SM_NS0_5tupleIJNSE_INS8_ISJ_NS7_16discard_iteratorINS7_11use_defaultEEES9_S9_S9_S9_S9_S9_S9_S9_EEEESB_EEENSN_IJSM_SM_EEESB_PlJNSF_9not_fun_tINSF_14equal_to_valueISA_EEEEEEE10hipError_tPvRmT3_T4_T5_T6_T7_T9_mT8_P12ihipStream_tbDpT10_ENKUlT_T0_E_clISt17integral_constantIbLb1EES1J_EEDaS1E_S1F_EUlS1E_E_NS1_11comp_targetILNS1_3genE5ELNS1_11target_archE942ELNS1_3gpuE9ELNS1_3repE0EEENS1_30default_config_static_selectorELNS0_4arch9wavefront6targetE0EEEvT1_.has_dyn_sized_stack, 0
	.set _ZN7rocprim17ROCPRIM_400000_NS6detail17trampoline_kernelINS0_14default_configENS1_25partition_config_selectorILNS1_17partition_subalgoE6EN6thrust23THRUST_200600_302600_NS5tupleIssNS7_9null_typeES9_S9_S9_S9_S9_S9_S9_EENS0_10empty_typeEbEEZZNS1_14partition_implILS5_6ELb0ES3_mNS7_12zip_iteratorINS8_INS7_6detail15normal_iteratorINS7_10device_ptrIsEEEESJ_S9_S9_S9_S9_S9_S9_S9_S9_EEEEPSB_SM_NS0_5tupleIJNSE_INS8_ISJ_NS7_16discard_iteratorINS7_11use_defaultEEES9_S9_S9_S9_S9_S9_S9_S9_EEEESB_EEENSN_IJSM_SM_EEESB_PlJNSF_9not_fun_tINSF_14equal_to_valueISA_EEEEEEE10hipError_tPvRmT3_T4_T5_T6_T7_T9_mT8_P12ihipStream_tbDpT10_ENKUlT_T0_E_clISt17integral_constantIbLb1EES1J_EEDaS1E_S1F_EUlS1E_E_NS1_11comp_targetILNS1_3genE5ELNS1_11target_archE942ELNS1_3gpuE9ELNS1_3repE0EEENS1_30default_config_static_selectorELNS0_4arch9wavefront6targetE0EEEvT1_.has_recursion, 0
	.set _ZN7rocprim17ROCPRIM_400000_NS6detail17trampoline_kernelINS0_14default_configENS1_25partition_config_selectorILNS1_17partition_subalgoE6EN6thrust23THRUST_200600_302600_NS5tupleIssNS7_9null_typeES9_S9_S9_S9_S9_S9_S9_EENS0_10empty_typeEbEEZZNS1_14partition_implILS5_6ELb0ES3_mNS7_12zip_iteratorINS8_INS7_6detail15normal_iteratorINS7_10device_ptrIsEEEESJ_S9_S9_S9_S9_S9_S9_S9_S9_EEEEPSB_SM_NS0_5tupleIJNSE_INS8_ISJ_NS7_16discard_iteratorINS7_11use_defaultEEES9_S9_S9_S9_S9_S9_S9_S9_EEEESB_EEENSN_IJSM_SM_EEESB_PlJNSF_9not_fun_tINSF_14equal_to_valueISA_EEEEEEE10hipError_tPvRmT3_T4_T5_T6_T7_T9_mT8_P12ihipStream_tbDpT10_ENKUlT_T0_E_clISt17integral_constantIbLb1EES1J_EEDaS1E_S1F_EUlS1E_E_NS1_11comp_targetILNS1_3genE5ELNS1_11target_archE942ELNS1_3gpuE9ELNS1_3repE0EEENS1_30default_config_static_selectorELNS0_4arch9wavefront6targetE0EEEvT1_.has_indirect_call, 0
	.section	.AMDGPU.csdata,"",@progbits
; Kernel info:
; codeLenInByte = 0
; TotalNumSgprs: 0
; NumVgprs: 0
; ScratchSize: 0
; MemoryBound: 0
; FloatMode: 240
; IeeeMode: 1
; LDSByteSize: 0 bytes/workgroup (compile time only)
; SGPRBlocks: 0
; VGPRBlocks: 0
; NumSGPRsForWavesPerEU: 1
; NumVGPRsForWavesPerEU: 1
; Occupancy: 16
; WaveLimiterHint : 0
; COMPUTE_PGM_RSRC2:SCRATCH_EN: 0
; COMPUTE_PGM_RSRC2:USER_SGPR: 2
; COMPUTE_PGM_RSRC2:TRAP_HANDLER: 0
; COMPUTE_PGM_RSRC2:TGID_X_EN: 1
; COMPUTE_PGM_RSRC2:TGID_Y_EN: 0
; COMPUTE_PGM_RSRC2:TGID_Z_EN: 0
; COMPUTE_PGM_RSRC2:TIDIG_COMP_CNT: 0
	.section	.text._ZN7rocprim17ROCPRIM_400000_NS6detail17trampoline_kernelINS0_14default_configENS1_25partition_config_selectorILNS1_17partition_subalgoE6EN6thrust23THRUST_200600_302600_NS5tupleIssNS7_9null_typeES9_S9_S9_S9_S9_S9_S9_EENS0_10empty_typeEbEEZZNS1_14partition_implILS5_6ELb0ES3_mNS7_12zip_iteratorINS8_INS7_6detail15normal_iteratorINS7_10device_ptrIsEEEESJ_S9_S9_S9_S9_S9_S9_S9_S9_EEEEPSB_SM_NS0_5tupleIJNSE_INS8_ISJ_NS7_16discard_iteratorINS7_11use_defaultEEES9_S9_S9_S9_S9_S9_S9_S9_EEEESB_EEENSN_IJSM_SM_EEESB_PlJNSF_9not_fun_tINSF_14equal_to_valueISA_EEEEEEE10hipError_tPvRmT3_T4_T5_T6_T7_T9_mT8_P12ihipStream_tbDpT10_ENKUlT_T0_E_clISt17integral_constantIbLb1EES1J_EEDaS1E_S1F_EUlS1E_E_NS1_11comp_targetILNS1_3genE4ELNS1_11target_archE910ELNS1_3gpuE8ELNS1_3repE0EEENS1_30default_config_static_selectorELNS0_4arch9wavefront6targetE0EEEvT1_,"axG",@progbits,_ZN7rocprim17ROCPRIM_400000_NS6detail17trampoline_kernelINS0_14default_configENS1_25partition_config_selectorILNS1_17partition_subalgoE6EN6thrust23THRUST_200600_302600_NS5tupleIssNS7_9null_typeES9_S9_S9_S9_S9_S9_S9_EENS0_10empty_typeEbEEZZNS1_14partition_implILS5_6ELb0ES3_mNS7_12zip_iteratorINS8_INS7_6detail15normal_iteratorINS7_10device_ptrIsEEEESJ_S9_S9_S9_S9_S9_S9_S9_S9_EEEEPSB_SM_NS0_5tupleIJNSE_INS8_ISJ_NS7_16discard_iteratorINS7_11use_defaultEEES9_S9_S9_S9_S9_S9_S9_S9_EEEESB_EEENSN_IJSM_SM_EEESB_PlJNSF_9not_fun_tINSF_14equal_to_valueISA_EEEEEEE10hipError_tPvRmT3_T4_T5_T6_T7_T9_mT8_P12ihipStream_tbDpT10_ENKUlT_T0_E_clISt17integral_constantIbLb1EES1J_EEDaS1E_S1F_EUlS1E_E_NS1_11comp_targetILNS1_3genE4ELNS1_11target_archE910ELNS1_3gpuE8ELNS1_3repE0EEENS1_30default_config_static_selectorELNS0_4arch9wavefront6targetE0EEEvT1_,comdat
	.protected	_ZN7rocprim17ROCPRIM_400000_NS6detail17trampoline_kernelINS0_14default_configENS1_25partition_config_selectorILNS1_17partition_subalgoE6EN6thrust23THRUST_200600_302600_NS5tupleIssNS7_9null_typeES9_S9_S9_S9_S9_S9_S9_EENS0_10empty_typeEbEEZZNS1_14partition_implILS5_6ELb0ES3_mNS7_12zip_iteratorINS8_INS7_6detail15normal_iteratorINS7_10device_ptrIsEEEESJ_S9_S9_S9_S9_S9_S9_S9_S9_EEEEPSB_SM_NS0_5tupleIJNSE_INS8_ISJ_NS7_16discard_iteratorINS7_11use_defaultEEES9_S9_S9_S9_S9_S9_S9_S9_EEEESB_EEENSN_IJSM_SM_EEESB_PlJNSF_9not_fun_tINSF_14equal_to_valueISA_EEEEEEE10hipError_tPvRmT3_T4_T5_T6_T7_T9_mT8_P12ihipStream_tbDpT10_ENKUlT_T0_E_clISt17integral_constantIbLb1EES1J_EEDaS1E_S1F_EUlS1E_E_NS1_11comp_targetILNS1_3genE4ELNS1_11target_archE910ELNS1_3gpuE8ELNS1_3repE0EEENS1_30default_config_static_selectorELNS0_4arch9wavefront6targetE0EEEvT1_ ; -- Begin function _ZN7rocprim17ROCPRIM_400000_NS6detail17trampoline_kernelINS0_14default_configENS1_25partition_config_selectorILNS1_17partition_subalgoE6EN6thrust23THRUST_200600_302600_NS5tupleIssNS7_9null_typeES9_S9_S9_S9_S9_S9_S9_EENS0_10empty_typeEbEEZZNS1_14partition_implILS5_6ELb0ES3_mNS7_12zip_iteratorINS8_INS7_6detail15normal_iteratorINS7_10device_ptrIsEEEESJ_S9_S9_S9_S9_S9_S9_S9_S9_EEEEPSB_SM_NS0_5tupleIJNSE_INS8_ISJ_NS7_16discard_iteratorINS7_11use_defaultEEES9_S9_S9_S9_S9_S9_S9_S9_EEEESB_EEENSN_IJSM_SM_EEESB_PlJNSF_9not_fun_tINSF_14equal_to_valueISA_EEEEEEE10hipError_tPvRmT3_T4_T5_T6_T7_T9_mT8_P12ihipStream_tbDpT10_ENKUlT_T0_E_clISt17integral_constantIbLb1EES1J_EEDaS1E_S1F_EUlS1E_E_NS1_11comp_targetILNS1_3genE4ELNS1_11target_archE910ELNS1_3gpuE8ELNS1_3repE0EEENS1_30default_config_static_selectorELNS0_4arch9wavefront6targetE0EEEvT1_
	.globl	_ZN7rocprim17ROCPRIM_400000_NS6detail17trampoline_kernelINS0_14default_configENS1_25partition_config_selectorILNS1_17partition_subalgoE6EN6thrust23THRUST_200600_302600_NS5tupleIssNS7_9null_typeES9_S9_S9_S9_S9_S9_S9_EENS0_10empty_typeEbEEZZNS1_14partition_implILS5_6ELb0ES3_mNS7_12zip_iteratorINS8_INS7_6detail15normal_iteratorINS7_10device_ptrIsEEEESJ_S9_S9_S9_S9_S9_S9_S9_S9_EEEEPSB_SM_NS0_5tupleIJNSE_INS8_ISJ_NS7_16discard_iteratorINS7_11use_defaultEEES9_S9_S9_S9_S9_S9_S9_S9_EEEESB_EEENSN_IJSM_SM_EEESB_PlJNSF_9not_fun_tINSF_14equal_to_valueISA_EEEEEEE10hipError_tPvRmT3_T4_T5_T6_T7_T9_mT8_P12ihipStream_tbDpT10_ENKUlT_T0_E_clISt17integral_constantIbLb1EES1J_EEDaS1E_S1F_EUlS1E_E_NS1_11comp_targetILNS1_3genE4ELNS1_11target_archE910ELNS1_3gpuE8ELNS1_3repE0EEENS1_30default_config_static_selectorELNS0_4arch9wavefront6targetE0EEEvT1_
	.p2align	8
	.type	_ZN7rocprim17ROCPRIM_400000_NS6detail17trampoline_kernelINS0_14default_configENS1_25partition_config_selectorILNS1_17partition_subalgoE6EN6thrust23THRUST_200600_302600_NS5tupleIssNS7_9null_typeES9_S9_S9_S9_S9_S9_S9_EENS0_10empty_typeEbEEZZNS1_14partition_implILS5_6ELb0ES3_mNS7_12zip_iteratorINS8_INS7_6detail15normal_iteratorINS7_10device_ptrIsEEEESJ_S9_S9_S9_S9_S9_S9_S9_S9_EEEEPSB_SM_NS0_5tupleIJNSE_INS8_ISJ_NS7_16discard_iteratorINS7_11use_defaultEEES9_S9_S9_S9_S9_S9_S9_S9_EEEESB_EEENSN_IJSM_SM_EEESB_PlJNSF_9not_fun_tINSF_14equal_to_valueISA_EEEEEEE10hipError_tPvRmT3_T4_T5_T6_T7_T9_mT8_P12ihipStream_tbDpT10_ENKUlT_T0_E_clISt17integral_constantIbLb1EES1J_EEDaS1E_S1F_EUlS1E_E_NS1_11comp_targetILNS1_3genE4ELNS1_11target_archE910ELNS1_3gpuE8ELNS1_3repE0EEENS1_30default_config_static_selectorELNS0_4arch9wavefront6targetE0EEEvT1_,@function
_ZN7rocprim17ROCPRIM_400000_NS6detail17trampoline_kernelINS0_14default_configENS1_25partition_config_selectorILNS1_17partition_subalgoE6EN6thrust23THRUST_200600_302600_NS5tupleIssNS7_9null_typeES9_S9_S9_S9_S9_S9_S9_EENS0_10empty_typeEbEEZZNS1_14partition_implILS5_6ELb0ES3_mNS7_12zip_iteratorINS8_INS7_6detail15normal_iteratorINS7_10device_ptrIsEEEESJ_S9_S9_S9_S9_S9_S9_S9_S9_EEEEPSB_SM_NS0_5tupleIJNSE_INS8_ISJ_NS7_16discard_iteratorINS7_11use_defaultEEES9_S9_S9_S9_S9_S9_S9_S9_EEEESB_EEENSN_IJSM_SM_EEESB_PlJNSF_9not_fun_tINSF_14equal_to_valueISA_EEEEEEE10hipError_tPvRmT3_T4_T5_T6_T7_T9_mT8_P12ihipStream_tbDpT10_ENKUlT_T0_E_clISt17integral_constantIbLb1EES1J_EEDaS1E_S1F_EUlS1E_E_NS1_11comp_targetILNS1_3genE4ELNS1_11target_archE910ELNS1_3gpuE8ELNS1_3repE0EEENS1_30default_config_static_selectorELNS0_4arch9wavefront6targetE0EEEvT1_: ; @_ZN7rocprim17ROCPRIM_400000_NS6detail17trampoline_kernelINS0_14default_configENS1_25partition_config_selectorILNS1_17partition_subalgoE6EN6thrust23THRUST_200600_302600_NS5tupleIssNS7_9null_typeES9_S9_S9_S9_S9_S9_S9_EENS0_10empty_typeEbEEZZNS1_14partition_implILS5_6ELb0ES3_mNS7_12zip_iteratorINS8_INS7_6detail15normal_iteratorINS7_10device_ptrIsEEEESJ_S9_S9_S9_S9_S9_S9_S9_S9_EEEEPSB_SM_NS0_5tupleIJNSE_INS8_ISJ_NS7_16discard_iteratorINS7_11use_defaultEEES9_S9_S9_S9_S9_S9_S9_S9_EEEESB_EEENSN_IJSM_SM_EEESB_PlJNSF_9not_fun_tINSF_14equal_to_valueISA_EEEEEEE10hipError_tPvRmT3_T4_T5_T6_T7_T9_mT8_P12ihipStream_tbDpT10_ENKUlT_T0_E_clISt17integral_constantIbLb1EES1J_EEDaS1E_S1F_EUlS1E_E_NS1_11comp_targetILNS1_3genE4ELNS1_11target_archE910ELNS1_3gpuE8ELNS1_3repE0EEENS1_30default_config_static_selectorELNS0_4arch9wavefront6targetE0EEEvT1_
; %bb.0:
	.section	.rodata,"a",@progbits
	.p2align	6, 0x0
	.amdhsa_kernel _ZN7rocprim17ROCPRIM_400000_NS6detail17trampoline_kernelINS0_14default_configENS1_25partition_config_selectorILNS1_17partition_subalgoE6EN6thrust23THRUST_200600_302600_NS5tupleIssNS7_9null_typeES9_S9_S9_S9_S9_S9_S9_EENS0_10empty_typeEbEEZZNS1_14partition_implILS5_6ELb0ES3_mNS7_12zip_iteratorINS8_INS7_6detail15normal_iteratorINS7_10device_ptrIsEEEESJ_S9_S9_S9_S9_S9_S9_S9_S9_EEEEPSB_SM_NS0_5tupleIJNSE_INS8_ISJ_NS7_16discard_iteratorINS7_11use_defaultEEES9_S9_S9_S9_S9_S9_S9_S9_EEEESB_EEENSN_IJSM_SM_EEESB_PlJNSF_9not_fun_tINSF_14equal_to_valueISA_EEEEEEE10hipError_tPvRmT3_T4_T5_T6_T7_T9_mT8_P12ihipStream_tbDpT10_ENKUlT_T0_E_clISt17integral_constantIbLb1EES1J_EEDaS1E_S1F_EUlS1E_E_NS1_11comp_targetILNS1_3genE4ELNS1_11target_archE910ELNS1_3gpuE8ELNS1_3repE0EEENS1_30default_config_static_selectorELNS0_4arch9wavefront6targetE0EEEvT1_
		.amdhsa_group_segment_fixed_size 0
		.amdhsa_private_segment_fixed_size 0
		.amdhsa_kernarg_size 152
		.amdhsa_user_sgpr_count 2
		.amdhsa_user_sgpr_dispatch_ptr 0
		.amdhsa_user_sgpr_queue_ptr 0
		.amdhsa_user_sgpr_kernarg_segment_ptr 1
		.amdhsa_user_sgpr_dispatch_id 0
		.amdhsa_user_sgpr_private_segment_size 0
		.amdhsa_wavefront_size32 1
		.amdhsa_uses_dynamic_stack 0
		.amdhsa_enable_private_segment 0
		.amdhsa_system_sgpr_workgroup_id_x 1
		.amdhsa_system_sgpr_workgroup_id_y 0
		.amdhsa_system_sgpr_workgroup_id_z 0
		.amdhsa_system_sgpr_workgroup_info 0
		.amdhsa_system_vgpr_workitem_id 0
		.amdhsa_next_free_vgpr 1
		.amdhsa_next_free_sgpr 1
		.amdhsa_reserve_vcc 0
		.amdhsa_float_round_mode_32 0
		.amdhsa_float_round_mode_16_64 0
		.amdhsa_float_denorm_mode_32 3
		.amdhsa_float_denorm_mode_16_64 3
		.amdhsa_fp16_overflow 0
		.amdhsa_workgroup_processor_mode 1
		.amdhsa_memory_ordered 1
		.amdhsa_forward_progress 1
		.amdhsa_inst_pref_size 0
		.amdhsa_round_robin_scheduling 0
		.amdhsa_exception_fp_ieee_invalid_op 0
		.amdhsa_exception_fp_denorm_src 0
		.amdhsa_exception_fp_ieee_div_zero 0
		.amdhsa_exception_fp_ieee_overflow 0
		.amdhsa_exception_fp_ieee_underflow 0
		.amdhsa_exception_fp_ieee_inexact 0
		.amdhsa_exception_int_div_zero 0
	.end_amdhsa_kernel
	.section	.text._ZN7rocprim17ROCPRIM_400000_NS6detail17trampoline_kernelINS0_14default_configENS1_25partition_config_selectorILNS1_17partition_subalgoE6EN6thrust23THRUST_200600_302600_NS5tupleIssNS7_9null_typeES9_S9_S9_S9_S9_S9_S9_EENS0_10empty_typeEbEEZZNS1_14partition_implILS5_6ELb0ES3_mNS7_12zip_iteratorINS8_INS7_6detail15normal_iteratorINS7_10device_ptrIsEEEESJ_S9_S9_S9_S9_S9_S9_S9_S9_EEEEPSB_SM_NS0_5tupleIJNSE_INS8_ISJ_NS7_16discard_iteratorINS7_11use_defaultEEES9_S9_S9_S9_S9_S9_S9_S9_EEEESB_EEENSN_IJSM_SM_EEESB_PlJNSF_9not_fun_tINSF_14equal_to_valueISA_EEEEEEE10hipError_tPvRmT3_T4_T5_T6_T7_T9_mT8_P12ihipStream_tbDpT10_ENKUlT_T0_E_clISt17integral_constantIbLb1EES1J_EEDaS1E_S1F_EUlS1E_E_NS1_11comp_targetILNS1_3genE4ELNS1_11target_archE910ELNS1_3gpuE8ELNS1_3repE0EEENS1_30default_config_static_selectorELNS0_4arch9wavefront6targetE0EEEvT1_,"axG",@progbits,_ZN7rocprim17ROCPRIM_400000_NS6detail17trampoline_kernelINS0_14default_configENS1_25partition_config_selectorILNS1_17partition_subalgoE6EN6thrust23THRUST_200600_302600_NS5tupleIssNS7_9null_typeES9_S9_S9_S9_S9_S9_S9_EENS0_10empty_typeEbEEZZNS1_14partition_implILS5_6ELb0ES3_mNS7_12zip_iteratorINS8_INS7_6detail15normal_iteratorINS7_10device_ptrIsEEEESJ_S9_S9_S9_S9_S9_S9_S9_S9_EEEEPSB_SM_NS0_5tupleIJNSE_INS8_ISJ_NS7_16discard_iteratorINS7_11use_defaultEEES9_S9_S9_S9_S9_S9_S9_S9_EEEESB_EEENSN_IJSM_SM_EEESB_PlJNSF_9not_fun_tINSF_14equal_to_valueISA_EEEEEEE10hipError_tPvRmT3_T4_T5_T6_T7_T9_mT8_P12ihipStream_tbDpT10_ENKUlT_T0_E_clISt17integral_constantIbLb1EES1J_EEDaS1E_S1F_EUlS1E_E_NS1_11comp_targetILNS1_3genE4ELNS1_11target_archE910ELNS1_3gpuE8ELNS1_3repE0EEENS1_30default_config_static_selectorELNS0_4arch9wavefront6targetE0EEEvT1_,comdat
.Lfunc_end2055:
	.size	_ZN7rocprim17ROCPRIM_400000_NS6detail17trampoline_kernelINS0_14default_configENS1_25partition_config_selectorILNS1_17partition_subalgoE6EN6thrust23THRUST_200600_302600_NS5tupleIssNS7_9null_typeES9_S9_S9_S9_S9_S9_S9_EENS0_10empty_typeEbEEZZNS1_14partition_implILS5_6ELb0ES3_mNS7_12zip_iteratorINS8_INS7_6detail15normal_iteratorINS7_10device_ptrIsEEEESJ_S9_S9_S9_S9_S9_S9_S9_S9_EEEEPSB_SM_NS0_5tupleIJNSE_INS8_ISJ_NS7_16discard_iteratorINS7_11use_defaultEEES9_S9_S9_S9_S9_S9_S9_S9_EEEESB_EEENSN_IJSM_SM_EEESB_PlJNSF_9not_fun_tINSF_14equal_to_valueISA_EEEEEEE10hipError_tPvRmT3_T4_T5_T6_T7_T9_mT8_P12ihipStream_tbDpT10_ENKUlT_T0_E_clISt17integral_constantIbLb1EES1J_EEDaS1E_S1F_EUlS1E_E_NS1_11comp_targetILNS1_3genE4ELNS1_11target_archE910ELNS1_3gpuE8ELNS1_3repE0EEENS1_30default_config_static_selectorELNS0_4arch9wavefront6targetE0EEEvT1_, .Lfunc_end2055-_ZN7rocprim17ROCPRIM_400000_NS6detail17trampoline_kernelINS0_14default_configENS1_25partition_config_selectorILNS1_17partition_subalgoE6EN6thrust23THRUST_200600_302600_NS5tupleIssNS7_9null_typeES9_S9_S9_S9_S9_S9_S9_EENS0_10empty_typeEbEEZZNS1_14partition_implILS5_6ELb0ES3_mNS7_12zip_iteratorINS8_INS7_6detail15normal_iteratorINS7_10device_ptrIsEEEESJ_S9_S9_S9_S9_S9_S9_S9_S9_EEEEPSB_SM_NS0_5tupleIJNSE_INS8_ISJ_NS7_16discard_iteratorINS7_11use_defaultEEES9_S9_S9_S9_S9_S9_S9_S9_EEEESB_EEENSN_IJSM_SM_EEESB_PlJNSF_9not_fun_tINSF_14equal_to_valueISA_EEEEEEE10hipError_tPvRmT3_T4_T5_T6_T7_T9_mT8_P12ihipStream_tbDpT10_ENKUlT_T0_E_clISt17integral_constantIbLb1EES1J_EEDaS1E_S1F_EUlS1E_E_NS1_11comp_targetILNS1_3genE4ELNS1_11target_archE910ELNS1_3gpuE8ELNS1_3repE0EEENS1_30default_config_static_selectorELNS0_4arch9wavefront6targetE0EEEvT1_
                                        ; -- End function
	.set _ZN7rocprim17ROCPRIM_400000_NS6detail17trampoline_kernelINS0_14default_configENS1_25partition_config_selectorILNS1_17partition_subalgoE6EN6thrust23THRUST_200600_302600_NS5tupleIssNS7_9null_typeES9_S9_S9_S9_S9_S9_S9_EENS0_10empty_typeEbEEZZNS1_14partition_implILS5_6ELb0ES3_mNS7_12zip_iteratorINS8_INS7_6detail15normal_iteratorINS7_10device_ptrIsEEEESJ_S9_S9_S9_S9_S9_S9_S9_S9_EEEEPSB_SM_NS0_5tupleIJNSE_INS8_ISJ_NS7_16discard_iteratorINS7_11use_defaultEEES9_S9_S9_S9_S9_S9_S9_S9_EEEESB_EEENSN_IJSM_SM_EEESB_PlJNSF_9not_fun_tINSF_14equal_to_valueISA_EEEEEEE10hipError_tPvRmT3_T4_T5_T6_T7_T9_mT8_P12ihipStream_tbDpT10_ENKUlT_T0_E_clISt17integral_constantIbLb1EES1J_EEDaS1E_S1F_EUlS1E_E_NS1_11comp_targetILNS1_3genE4ELNS1_11target_archE910ELNS1_3gpuE8ELNS1_3repE0EEENS1_30default_config_static_selectorELNS0_4arch9wavefront6targetE0EEEvT1_.num_vgpr, 0
	.set _ZN7rocprim17ROCPRIM_400000_NS6detail17trampoline_kernelINS0_14default_configENS1_25partition_config_selectorILNS1_17partition_subalgoE6EN6thrust23THRUST_200600_302600_NS5tupleIssNS7_9null_typeES9_S9_S9_S9_S9_S9_S9_EENS0_10empty_typeEbEEZZNS1_14partition_implILS5_6ELb0ES3_mNS7_12zip_iteratorINS8_INS7_6detail15normal_iteratorINS7_10device_ptrIsEEEESJ_S9_S9_S9_S9_S9_S9_S9_S9_EEEEPSB_SM_NS0_5tupleIJNSE_INS8_ISJ_NS7_16discard_iteratorINS7_11use_defaultEEES9_S9_S9_S9_S9_S9_S9_S9_EEEESB_EEENSN_IJSM_SM_EEESB_PlJNSF_9not_fun_tINSF_14equal_to_valueISA_EEEEEEE10hipError_tPvRmT3_T4_T5_T6_T7_T9_mT8_P12ihipStream_tbDpT10_ENKUlT_T0_E_clISt17integral_constantIbLb1EES1J_EEDaS1E_S1F_EUlS1E_E_NS1_11comp_targetILNS1_3genE4ELNS1_11target_archE910ELNS1_3gpuE8ELNS1_3repE0EEENS1_30default_config_static_selectorELNS0_4arch9wavefront6targetE0EEEvT1_.num_agpr, 0
	.set _ZN7rocprim17ROCPRIM_400000_NS6detail17trampoline_kernelINS0_14default_configENS1_25partition_config_selectorILNS1_17partition_subalgoE6EN6thrust23THRUST_200600_302600_NS5tupleIssNS7_9null_typeES9_S9_S9_S9_S9_S9_S9_EENS0_10empty_typeEbEEZZNS1_14partition_implILS5_6ELb0ES3_mNS7_12zip_iteratorINS8_INS7_6detail15normal_iteratorINS7_10device_ptrIsEEEESJ_S9_S9_S9_S9_S9_S9_S9_S9_EEEEPSB_SM_NS0_5tupleIJNSE_INS8_ISJ_NS7_16discard_iteratorINS7_11use_defaultEEES9_S9_S9_S9_S9_S9_S9_S9_EEEESB_EEENSN_IJSM_SM_EEESB_PlJNSF_9not_fun_tINSF_14equal_to_valueISA_EEEEEEE10hipError_tPvRmT3_T4_T5_T6_T7_T9_mT8_P12ihipStream_tbDpT10_ENKUlT_T0_E_clISt17integral_constantIbLb1EES1J_EEDaS1E_S1F_EUlS1E_E_NS1_11comp_targetILNS1_3genE4ELNS1_11target_archE910ELNS1_3gpuE8ELNS1_3repE0EEENS1_30default_config_static_selectorELNS0_4arch9wavefront6targetE0EEEvT1_.numbered_sgpr, 0
	.set _ZN7rocprim17ROCPRIM_400000_NS6detail17trampoline_kernelINS0_14default_configENS1_25partition_config_selectorILNS1_17partition_subalgoE6EN6thrust23THRUST_200600_302600_NS5tupleIssNS7_9null_typeES9_S9_S9_S9_S9_S9_S9_EENS0_10empty_typeEbEEZZNS1_14partition_implILS5_6ELb0ES3_mNS7_12zip_iteratorINS8_INS7_6detail15normal_iteratorINS7_10device_ptrIsEEEESJ_S9_S9_S9_S9_S9_S9_S9_S9_EEEEPSB_SM_NS0_5tupleIJNSE_INS8_ISJ_NS7_16discard_iteratorINS7_11use_defaultEEES9_S9_S9_S9_S9_S9_S9_S9_EEEESB_EEENSN_IJSM_SM_EEESB_PlJNSF_9not_fun_tINSF_14equal_to_valueISA_EEEEEEE10hipError_tPvRmT3_T4_T5_T6_T7_T9_mT8_P12ihipStream_tbDpT10_ENKUlT_T0_E_clISt17integral_constantIbLb1EES1J_EEDaS1E_S1F_EUlS1E_E_NS1_11comp_targetILNS1_3genE4ELNS1_11target_archE910ELNS1_3gpuE8ELNS1_3repE0EEENS1_30default_config_static_selectorELNS0_4arch9wavefront6targetE0EEEvT1_.num_named_barrier, 0
	.set _ZN7rocprim17ROCPRIM_400000_NS6detail17trampoline_kernelINS0_14default_configENS1_25partition_config_selectorILNS1_17partition_subalgoE6EN6thrust23THRUST_200600_302600_NS5tupleIssNS7_9null_typeES9_S9_S9_S9_S9_S9_S9_EENS0_10empty_typeEbEEZZNS1_14partition_implILS5_6ELb0ES3_mNS7_12zip_iteratorINS8_INS7_6detail15normal_iteratorINS7_10device_ptrIsEEEESJ_S9_S9_S9_S9_S9_S9_S9_S9_EEEEPSB_SM_NS0_5tupleIJNSE_INS8_ISJ_NS7_16discard_iteratorINS7_11use_defaultEEES9_S9_S9_S9_S9_S9_S9_S9_EEEESB_EEENSN_IJSM_SM_EEESB_PlJNSF_9not_fun_tINSF_14equal_to_valueISA_EEEEEEE10hipError_tPvRmT3_T4_T5_T6_T7_T9_mT8_P12ihipStream_tbDpT10_ENKUlT_T0_E_clISt17integral_constantIbLb1EES1J_EEDaS1E_S1F_EUlS1E_E_NS1_11comp_targetILNS1_3genE4ELNS1_11target_archE910ELNS1_3gpuE8ELNS1_3repE0EEENS1_30default_config_static_selectorELNS0_4arch9wavefront6targetE0EEEvT1_.private_seg_size, 0
	.set _ZN7rocprim17ROCPRIM_400000_NS6detail17trampoline_kernelINS0_14default_configENS1_25partition_config_selectorILNS1_17partition_subalgoE6EN6thrust23THRUST_200600_302600_NS5tupleIssNS7_9null_typeES9_S9_S9_S9_S9_S9_S9_EENS0_10empty_typeEbEEZZNS1_14partition_implILS5_6ELb0ES3_mNS7_12zip_iteratorINS8_INS7_6detail15normal_iteratorINS7_10device_ptrIsEEEESJ_S9_S9_S9_S9_S9_S9_S9_S9_EEEEPSB_SM_NS0_5tupleIJNSE_INS8_ISJ_NS7_16discard_iteratorINS7_11use_defaultEEES9_S9_S9_S9_S9_S9_S9_S9_EEEESB_EEENSN_IJSM_SM_EEESB_PlJNSF_9not_fun_tINSF_14equal_to_valueISA_EEEEEEE10hipError_tPvRmT3_T4_T5_T6_T7_T9_mT8_P12ihipStream_tbDpT10_ENKUlT_T0_E_clISt17integral_constantIbLb1EES1J_EEDaS1E_S1F_EUlS1E_E_NS1_11comp_targetILNS1_3genE4ELNS1_11target_archE910ELNS1_3gpuE8ELNS1_3repE0EEENS1_30default_config_static_selectorELNS0_4arch9wavefront6targetE0EEEvT1_.uses_vcc, 0
	.set _ZN7rocprim17ROCPRIM_400000_NS6detail17trampoline_kernelINS0_14default_configENS1_25partition_config_selectorILNS1_17partition_subalgoE6EN6thrust23THRUST_200600_302600_NS5tupleIssNS7_9null_typeES9_S9_S9_S9_S9_S9_S9_EENS0_10empty_typeEbEEZZNS1_14partition_implILS5_6ELb0ES3_mNS7_12zip_iteratorINS8_INS7_6detail15normal_iteratorINS7_10device_ptrIsEEEESJ_S9_S9_S9_S9_S9_S9_S9_S9_EEEEPSB_SM_NS0_5tupleIJNSE_INS8_ISJ_NS7_16discard_iteratorINS7_11use_defaultEEES9_S9_S9_S9_S9_S9_S9_S9_EEEESB_EEENSN_IJSM_SM_EEESB_PlJNSF_9not_fun_tINSF_14equal_to_valueISA_EEEEEEE10hipError_tPvRmT3_T4_T5_T6_T7_T9_mT8_P12ihipStream_tbDpT10_ENKUlT_T0_E_clISt17integral_constantIbLb1EES1J_EEDaS1E_S1F_EUlS1E_E_NS1_11comp_targetILNS1_3genE4ELNS1_11target_archE910ELNS1_3gpuE8ELNS1_3repE0EEENS1_30default_config_static_selectorELNS0_4arch9wavefront6targetE0EEEvT1_.uses_flat_scratch, 0
	.set _ZN7rocprim17ROCPRIM_400000_NS6detail17trampoline_kernelINS0_14default_configENS1_25partition_config_selectorILNS1_17partition_subalgoE6EN6thrust23THRUST_200600_302600_NS5tupleIssNS7_9null_typeES9_S9_S9_S9_S9_S9_S9_EENS0_10empty_typeEbEEZZNS1_14partition_implILS5_6ELb0ES3_mNS7_12zip_iteratorINS8_INS7_6detail15normal_iteratorINS7_10device_ptrIsEEEESJ_S9_S9_S9_S9_S9_S9_S9_S9_EEEEPSB_SM_NS0_5tupleIJNSE_INS8_ISJ_NS7_16discard_iteratorINS7_11use_defaultEEES9_S9_S9_S9_S9_S9_S9_S9_EEEESB_EEENSN_IJSM_SM_EEESB_PlJNSF_9not_fun_tINSF_14equal_to_valueISA_EEEEEEE10hipError_tPvRmT3_T4_T5_T6_T7_T9_mT8_P12ihipStream_tbDpT10_ENKUlT_T0_E_clISt17integral_constantIbLb1EES1J_EEDaS1E_S1F_EUlS1E_E_NS1_11comp_targetILNS1_3genE4ELNS1_11target_archE910ELNS1_3gpuE8ELNS1_3repE0EEENS1_30default_config_static_selectorELNS0_4arch9wavefront6targetE0EEEvT1_.has_dyn_sized_stack, 0
	.set _ZN7rocprim17ROCPRIM_400000_NS6detail17trampoline_kernelINS0_14default_configENS1_25partition_config_selectorILNS1_17partition_subalgoE6EN6thrust23THRUST_200600_302600_NS5tupleIssNS7_9null_typeES9_S9_S9_S9_S9_S9_S9_EENS0_10empty_typeEbEEZZNS1_14partition_implILS5_6ELb0ES3_mNS7_12zip_iteratorINS8_INS7_6detail15normal_iteratorINS7_10device_ptrIsEEEESJ_S9_S9_S9_S9_S9_S9_S9_S9_EEEEPSB_SM_NS0_5tupleIJNSE_INS8_ISJ_NS7_16discard_iteratorINS7_11use_defaultEEES9_S9_S9_S9_S9_S9_S9_S9_EEEESB_EEENSN_IJSM_SM_EEESB_PlJNSF_9not_fun_tINSF_14equal_to_valueISA_EEEEEEE10hipError_tPvRmT3_T4_T5_T6_T7_T9_mT8_P12ihipStream_tbDpT10_ENKUlT_T0_E_clISt17integral_constantIbLb1EES1J_EEDaS1E_S1F_EUlS1E_E_NS1_11comp_targetILNS1_3genE4ELNS1_11target_archE910ELNS1_3gpuE8ELNS1_3repE0EEENS1_30default_config_static_selectorELNS0_4arch9wavefront6targetE0EEEvT1_.has_recursion, 0
	.set _ZN7rocprim17ROCPRIM_400000_NS6detail17trampoline_kernelINS0_14default_configENS1_25partition_config_selectorILNS1_17partition_subalgoE6EN6thrust23THRUST_200600_302600_NS5tupleIssNS7_9null_typeES9_S9_S9_S9_S9_S9_S9_EENS0_10empty_typeEbEEZZNS1_14partition_implILS5_6ELb0ES3_mNS7_12zip_iteratorINS8_INS7_6detail15normal_iteratorINS7_10device_ptrIsEEEESJ_S9_S9_S9_S9_S9_S9_S9_S9_EEEEPSB_SM_NS0_5tupleIJNSE_INS8_ISJ_NS7_16discard_iteratorINS7_11use_defaultEEES9_S9_S9_S9_S9_S9_S9_S9_EEEESB_EEENSN_IJSM_SM_EEESB_PlJNSF_9not_fun_tINSF_14equal_to_valueISA_EEEEEEE10hipError_tPvRmT3_T4_T5_T6_T7_T9_mT8_P12ihipStream_tbDpT10_ENKUlT_T0_E_clISt17integral_constantIbLb1EES1J_EEDaS1E_S1F_EUlS1E_E_NS1_11comp_targetILNS1_3genE4ELNS1_11target_archE910ELNS1_3gpuE8ELNS1_3repE0EEENS1_30default_config_static_selectorELNS0_4arch9wavefront6targetE0EEEvT1_.has_indirect_call, 0
	.section	.AMDGPU.csdata,"",@progbits
; Kernel info:
; codeLenInByte = 0
; TotalNumSgprs: 0
; NumVgprs: 0
; ScratchSize: 0
; MemoryBound: 0
; FloatMode: 240
; IeeeMode: 1
; LDSByteSize: 0 bytes/workgroup (compile time only)
; SGPRBlocks: 0
; VGPRBlocks: 0
; NumSGPRsForWavesPerEU: 1
; NumVGPRsForWavesPerEU: 1
; Occupancy: 16
; WaveLimiterHint : 0
; COMPUTE_PGM_RSRC2:SCRATCH_EN: 0
; COMPUTE_PGM_RSRC2:USER_SGPR: 2
; COMPUTE_PGM_RSRC2:TRAP_HANDLER: 0
; COMPUTE_PGM_RSRC2:TGID_X_EN: 1
; COMPUTE_PGM_RSRC2:TGID_Y_EN: 0
; COMPUTE_PGM_RSRC2:TGID_Z_EN: 0
; COMPUTE_PGM_RSRC2:TIDIG_COMP_CNT: 0
	.section	.text._ZN7rocprim17ROCPRIM_400000_NS6detail17trampoline_kernelINS0_14default_configENS1_25partition_config_selectorILNS1_17partition_subalgoE6EN6thrust23THRUST_200600_302600_NS5tupleIssNS7_9null_typeES9_S9_S9_S9_S9_S9_S9_EENS0_10empty_typeEbEEZZNS1_14partition_implILS5_6ELb0ES3_mNS7_12zip_iteratorINS8_INS7_6detail15normal_iteratorINS7_10device_ptrIsEEEESJ_S9_S9_S9_S9_S9_S9_S9_S9_EEEEPSB_SM_NS0_5tupleIJNSE_INS8_ISJ_NS7_16discard_iteratorINS7_11use_defaultEEES9_S9_S9_S9_S9_S9_S9_S9_EEEESB_EEENSN_IJSM_SM_EEESB_PlJNSF_9not_fun_tINSF_14equal_to_valueISA_EEEEEEE10hipError_tPvRmT3_T4_T5_T6_T7_T9_mT8_P12ihipStream_tbDpT10_ENKUlT_T0_E_clISt17integral_constantIbLb1EES1J_EEDaS1E_S1F_EUlS1E_E_NS1_11comp_targetILNS1_3genE3ELNS1_11target_archE908ELNS1_3gpuE7ELNS1_3repE0EEENS1_30default_config_static_selectorELNS0_4arch9wavefront6targetE0EEEvT1_,"axG",@progbits,_ZN7rocprim17ROCPRIM_400000_NS6detail17trampoline_kernelINS0_14default_configENS1_25partition_config_selectorILNS1_17partition_subalgoE6EN6thrust23THRUST_200600_302600_NS5tupleIssNS7_9null_typeES9_S9_S9_S9_S9_S9_S9_EENS0_10empty_typeEbEEZZNS1_14partition_implILS5_6ELb0ES3_mNS7_12zip_iteratorINS8_INS7_6detail15normal_iteratorINS7_10device_ptrIsEEEESJ_S9_S9_S9_S9_S9_S9_S9_S9_EEEEPSB_SM_NS0_5tupleIJNSE_INS8_ISJ_NS7_16discard_iteratorINS7_11use_defaultEEES9_S9_S9_S9_S9_S9_S9_S9_EEEESB_EEENSN_IJSM_SM_EEESB_PlJNSF_9not_fun_tINSF_14equal_to_valueISA_EEEEEEE10hipError_tPvRmT3_T4_T5_T6_T7_T9_mT8_P12ihipStream_tbDpT10_ENKUlT_T0_E_clISt17integral_constantIbLb1EES1J_EEDaS1E_S1F_EUlS1E_E_NS1_11comp_targetILNS1_3genE3ELNS1_11target_archE908ELNS1_3gpuE7ELNS1_3repE0EEENS1_30default_config_static_selectorELNS0_4arch9wavefront6targetE0EEEvT1_,comdat
	.protected	_ZN7rocprim17ROCPRIM_400000_NS6detail17trampoline_kernelINS0_14default_configENS1_25partition_config_selectorILNS1_17partition_subalgoE6EN6thrust23THRUST_200600_302600_NS5tupleIssNS7_9null_typeES9_S9_S9_S9_S9_S9_S9_EENS0_10empty_typeEbEEZZNS1_14partition_implILS5_6ELb0ES3_mNS7_12zip_iteratorINS8_INS7_6detail15normal_iteratorINS7_10device_ptrIsEEEESJ_S9_S9_S9_S9_S9_S9_S9_S9_EEEEPSB_SM_NS0_5tupleIJNSE_INS8_ISJ_NS7_16discard_iteratorINS7_11use_defaultEEES9_S9_S9_S9_S9_S9_S9_S9_EEEESB_EEENSN_IJSM_SM_EEESB_PlJNSF_9not_fun_tINSF_14equal_to_valueISA_EEEEEEE10hipError_tPvRmT3_T4_T5_T6_T7_T9_mT8_P12ihipStream_tbDpT10_ENKUlT_T0_E_clISt17integral_constantIbLb1EES1J_EEDaS1E_S1F_EUlS1E_E_NS1_11comp_targetILNS1_3genE3ELNS1_11target_archE908ELNS1_3gpuE7ELNS1_3repE0EEENS1_30default_config_static_selectorELNS0_4arch9wavefront6targetE0EEEvT1_ ; -- Begin function _ZN7rocprim17ROCPRIM_400000_NS6detail17trampoline_kernelINS0_14default_configENS1_25partition_config_selectorILNS1_17partition_subalgoE6EN6thrust23THRUST_200600_302600_NS5tupleIssNS7_9null_typeES9_S9_S9_S9_S9_S9_S9_EENS0_10empty_typeEbEEZZNS1_14partition_implILS5_6ELb0ES3_mNS7_12zip_iteratorINS8_INS7_6detail15normal_iteratorINS7_10device_ptrIsEEEESJ_S9_S9_S9_S9_S9_S9_S9_S9_EEEEPSB_SM_NS0_5tupleIJNSE_INS8_ISJ_NS7_16discard_iteratorINS7_11use_defaultEEES9_S9_S9_S9_S9_S9_S9_S9_EEEESB_EEENSN_IJSM_SM_EEESB_PlJNSF_9not_fun_tINSF_14equal_to_valueISA_EEEEEEE10hipError_tPvRmT3_T4_T5_T6_T7_T9_mT8_P12ihipStream_tbDpT10_ENKUlT_T0_E_clISt17integral_constantIbLb1EES1J_EEDaS1E_S1F_EUlS1E_E_NS1_11comp_targetILNS1_3genE3ELNS1_11target_archE908ELNS1_3gpuE7ELNS1_3repE0EEENS1_30default_config_static_selectorELNS0_4arch9wavefront6targetE0EEEvT1_
	.globl	_ZN7rocprim17ROCPRIM_400000_NS6detail17trampoline_kernelINS0_14default_configENS1_25partition_config_selectorILNS1_17partition_subalgoE6EN6thrust23THRUST_200600_302600_NS5tupleIssNS7_9null_typeES9_S9_S9_S9_S9_S9_S9_EENS0_10empty_typeEbEEZZNS1_14partition_implILS5_6ELb0ES3_mNS7_12zip_iteratorINS8_INS7_6detail15normal_iteratorINS7_10device_ptrIsEEEESJ_S9_S9_S9_S9_S9_S9_S9_S9_EEEEPSB_SM_NS0_5tupleIJNSE_INS8_ISJ_NS7_16discard_iteratorINS7_11use_defaultEEES9_S9_S9_S9_S9_S9_S9_S9_EEEESB_EEENSN_IJSM_SM_EEESB_PlJNSF_9not_fun_tINSF_14equal_to_valueISA_EEEEEEE10hipError_tPvRmT3_T4_T5_T6_T7_T9_mT8_P12ihipStream_tbDpT10_ENKUlT_T0_E_clISt17integral_constantIbLb1EES1J_EEDaS1E_S1F_EUlS1E_E_NS1_11comp_targetILNS1_3genE3ELNS1_11target_archE908ELNS1_3gpuE7ELNS1_3repE0EEENS1_30default_config_static_selectorELNS0_4arch9wavefront6targetE0EEEvT1_
	.p2align	8
	.type	_ZN7rocprim17ROCPRIM_400000_NS6detail17trampoline_kernelINS0_14default_configENS1_25partition_config_selectorILNS1_17partition_subalgoE6EN6thrust23THRUST_200600_302600_NS5tupleIssNS7_9null_typeES9_S9_S9_S9_S9_S9_S9_EENS0_10empty_typeEbEEZZNS1_14partition_implILS5_6ELb0ES3_mNS7_12zip_iteratorINS8_INS7_6detail15normal_iteratorINS7_10device_ptrIsEEEESJ_S9_S9_S9_S9_S9_S9_S9_S9_EEEEPSB_SM_NS0_5tupleIJNSE_INS8_ISJ_NS7_16discard_iteratorINS7_11use_defaultEEES9_S9_S9_S9_S9_S9_S9_S9_EEEESB_EEENSN_IJSM_SM_EEESB_PlJNSF_9not_fun_tINSF_14equal_to_valueISA_EEEEEEE10hipError_tPvRmT3_T4_T5_T6_T7_T9_mT8_P12ihipStream_tbDpT10_ENKUlT_T0_E_clISt17integral_constantIbLb1EES1J_EEDaS1E_S1F_EUlS1E_E_NS1_11comp_targetILNS1_3genE3ELNS1_11target_archE908ELNS1_3gpuE7ELNS1_3repE0EEENS1_30default_config_static_selectorELNS0_4arch9wavefront6targetE0EEEvT1_,@function
_ZN7rocprim17ROCPRIM_400000_NS6detail17trampoline_kernelINS0_14default_configENS1_25partition_config_selectorILNS1_17partition_subalgoE6EN6thrust23THRUST_200600_302600_NS5tupleIssNS7_9null_typeES9_S9_S9_S9_S9_S9_S9_EENS0_10empty_typeEbEEZZNS1_14partition_implILS5_6ELb0ES3_mNS7_12zip_iteratorINS8_INS7_6detail15normal_iteratorINS7_10device_ptrIsEEEESJ_S9_S9_S9_S9_S9_S9_S9_S9_EEEEPSB_SM_NS0_5tupleIJNSE_INS8_ISJ_NS7_16discard_iteratorINS7_11use_defaultEEES9_S9_S9_S9_S9_S9_S9_S9_EEEESB_EEENSN_IJSM_SM_EEESB_PlJNSF_9not_fun_tINSF_14equal_to_valueISA_EEEEEEE10hipError_tPvRmT3_T4_T5_T6_T7_T9_mT8_P12ihipStream_tbDpT10_ENKUlT_T0_E_clISt17integral_constantIbLb1EES1J_EEDaS1E_S1F_EUlS1E_E_NS1_11comp_targetILNS1_3genE3ELNS1_11target_archE908ELNS1_3gpuE7ELNS1_3repE0EEENS1_30default_config_static_selectorELNS0_4arch9wavefront6targetE0EEEvT1_: ; @_ZN7rocprim17ROCPRIM_400000_NS6detail17trampoline_kernelINS0_14default_configENS1_25partition_config_selectorILNS1_17partition_subalgoE6EN6thrust23THRUST_200600_302600_NS5tupleIssNS7_9null_typeES9_S9_S9_S9_S9_S9_S9_EENS0_10empty_typeEbEEZZNS1_14partition_implILS5_6ELb0ES3_mNS7_12zip_iteratorINS8_INS7_6detail15normal_iteratorINS7_10device_ptrIsEEEESJ_S9_S9_S9_S9_S9_S9_S9_S9_EEEEPSB_SM_NS0_5tupleIJNSE_INS8_ISJ_NS7_16discard_iteratorINS7_11use_defaultEEES9_S9_S9_S9_S9_S9_S9_S9_EEEESB_EEENSN_IJSM_SM_EEESB_PlJNSF_9not_fun_tINSF_14equal_to_valueISA_EEEEEEE10hipError_tPvRmT3_T4_T5_T6_T7_T9_mT8_P12ihipStream_tbDpT10_ENKUlT_T0_E_clISt17integral_constantIbLb1EES1J_EEDaS1E_S1F_EUlS1E_E_NS1_11comp_targetILNS1_3genE3ELNS1_11target_archE908ELNS1_3gpuE7ELNS1_3repE0EEENS1_30default_config_static_selectorELNS0_4arch9wavefront6targetE0EEEvT1_
; %bb.0:
	.section	.rodata,"a",@progbits
	.p2align	6, 0x0
	.amdhsa_kernel _ZN7rocprim17ROCPRIM_400000_NS6detail17trampoline_kernelINS0_14default_configENS1_25partition_config_selectorILNS1_17partition_subalgoE6EN6thrust23THRUST_200600_302600_NS5tupleIssNS7_9null_typeES9_S9_S9_S9_S9_S9_S9_EENS0_10empty_typeEbEEZZNS1_14partition_implILS5_6ELb0ES3_mNS7_12zip_iteratorINS8_INS7_6detail15normal_iteratorINS7_10device_ptrIsEEEESJ_S9_S9_S9_S9_S9_S9_S9_S9_EEEEPSB_SM_NS0_5tupleIJNSE_INS8_ISJ_NS7_16discard_iteratorINS7_11use_defaultEEES9_S9_S9_S9_S9_S9_S9_S9_EEEESB_EEENSN_IJSM_SM_EEESB_PlJNSF_9not_fun_tINSF_14equal_to_valueISA_EEEEEEE10hipError_tPvRmT3_T4_T5_T6_T7_T9_mT8_P12ihipStream_tbDpT10_ENKUlT_T0_E_clISt17integral_constantIbLb1EES1J_EEDaS1E_S1F_EUlS1E_E_NS1_11comp_targetILNS1_3genE3ELNS1_11target_archE908ELNS1_3gpuE7ELNS1_3repE0EEENS1_30default_config_static_selectorELNS0_4arch9wavefront6targetE0EEEvT1_
		.amdhsa_group_segment_fixed_size 0
		.amdhsa_private_segment_fixed_size 0
		.amdhsa_kernarg_size 152
		.amdhsa_user_sgpr_count 2
		.amdhsa_user_sgpr_dispatch_ptr 0
		.amdhsa_user_sgpr_queue_ptr 0
		.amdhsa_user_sgpr_kernarg_segment_ptr 1
		.amdhsa_user_sgpr_dispatch_id 0
		.amdhsa_user_sgpr_private_segment_size 0
		.amdhsa_wavefront_size32 1
		.amdhsa_uses_dynamic_stack 0
		.amdhsa_enable_private_segment 0
		.amdhsa_system_sgpr_workgroup_id_x 1
		.amdhsa_system_sgpr_workgroup_id_y 0
		.amdhsa_system_sgpr_workgroup_id_z 0
		.amdhsa_system_sgpr_workgroup_info 0
		.amdhsa_system_vgpr_workitem_id 0
		.amdhsa_next_free_vgpr 1
		.amdhsa_next_free_sgpr 1
		.amdhsa_reserve_vcc 0
		.amdhsa_float_round_mode_32 0
		.amdhsa_float_round_mode_16_64 0
		.amdhsa_float_denorm_mode_32 3
		.amdhsa_float_denorm_mode_16_64 3
		.amdhsa_fp16_overflow 0
		.amdhsa_workgroup_processor_mode 1
		.amdhsa_memory_ordered 1
		.amdhsa_forward_progress 1
		.amdhsa_inst_pref_size 0
		.amdhsa_round_robin_scheduling 0
		.amdhsa_exception_fp_ieee_invalid_op 0
		.amdhsa_exception_fp_denorm_src 0
		.amdhsa_exception_fp_ieee_div_zero 0
		.amdhsa_exception_fp_ieee_overflow 0
		.amdhsa_exception_fp_ieee_underflow 0
		.amdhsa_exception_fp_ieee_inexact 0
		.amdhsa_exception_int_div_zero 0
	.end_amdhsa_kernel
	.section	.text._ZN7rocprim17ROCPRIM_400000_NS6detail17trampoline_kernelINS0_14default_configENS1_25partition_config_selectorILNS1_17partition_subalgoE6EN6thrust23THRUST_200600_302600_NS5tupleIssNS7_9null_typeES9_S9_S9_S9_S9_S9_S9_EENS0_10empty_typeEbEEZZNS1_14partition_implILS5_6ELb0ES3_mNS7_12zip_iteratorINS8_INS7_6detail15normal_iteratorINS7_10device_ptrIsEEEESJ_S9_S9_S9_S9_S9_S9_S9_S9_EEEEPSB_SM_NS0_5tupleIJNSE_INS8_ISJ_NS7_16discard_iteratorINS7_11use_defaultEEES9_S9_S9_S9_S9_S9_S9_S9_EEEESB_EEENSN_IJSM_SM_EEESB_PlJNSF_9not_fun_tINSF_14equal_to_valueISA_EEEEEEE10hipError_tPvRmT3_T4_T5_T6_T7_T9_mT8_P12ihipStream_tbDpT10_ENKUlT_T0_E_clISt17integral_constantIbLb1EES1J_EEDaS1E_S1F_EUlS1E_E_NS1_11comp_targetILNS1_3genE3ELNS1_11target_archE908ELNS1_3gpuE7ELNS1_3repE0EEENS1_30default_config_static_selectorELNS0_4arch9wavefront6targetE0EEEvT1_,"axG",@progbits,_ZN7rocprim17ROCPRIM_400000_NS6detail17trampoline_kernelINS0_14default_configENS1_25partition_config_selectorILNS1_17partition_subalgoE6EN6thrust23THRUST_200600_302600_NS5tupleIssNS7_9null_typeES9_S9_S9_S9_S9_S9_S9_EENS0_10empty_typeEbEEZZNS1_14partition_implILS5_6ELb0ES3_mNS7_12zip_iteratorINS8_INS7_6detail15normal_iteratorINS7_10device_ptrIsEEEESJ_S9_S9_S9_S9_S9_S9_S9_S9_EEEEPSB_SM_NS0_5tupleIJNSE_INS8_ISJ_NS7_16discard_iteratorINS7_11use_defaultEEES9_S9_S9_S9_S9_S9_S9_S9_EEEESB_EEENSN_IJSM_SM_EEESB_PlJNSF_9not_fun_tINSF_14equal_to_valueISA_EEEEEEE10hipError_tPvRmT3_T4_T5_T6_T7_T9_mT8_P12ihipStream_tbDpT10_ENKUlT_T0_E_clISt17integral_constantIbLb1EES1J_EEDaS1E_S1F_EUlS1E_E_NS1_11comp_targetILNS1_3genE3ELNS1_11target_archE908ELNS1_3gpuE7ELNS1_3repE0EEENS1_30default_config_static_selectorELNS0_4arch9wavefront6targetE0EEEvT1_,comdat
.Lfunc_end2056:
	.size	_ZN7rocprim17ROCPRIM_400000_NS6detail17trampoline_kernelINS0_14default_configENS1_25partition_config_selectorILNS1_17partition_subalgoE6EN6thrust23THRUST_200600_302600_NS5tupleIssNS7_9null_typeES9_S9_S9_S9_S9_S9_S9_EENS0_10empty_typeEbEEZZNS1_14partition_implILS5_6ELb0ES3_mNS7_12zip_iteratorINS8_INS7_6detail15normal_iteratorINS7_10device_ptrIsEEEESJ_S9_S9_S9_S9_S9_S9_S9_S9_EEEEPSB_SM_NS0_5tupleIJNSE_INS8_ISJ_NS7_16discard_iteratorINS7_11use_defaultEEES9_S9_S9_S9_S9_S9_S9_S9_EEEESB_EEENSN_IJSM_SM_EEESB_PlJNSF_9not_fun_tINSF_14equal_to_valueISA_EEEEEEE10hipError_tPvRmT3_T4_T5_T6_T7_T9_mT8_P12ihipStream_tbDpT10_ENKUlT_T0_E_clISt17integral_constantIbLb1EES1J_EEDaS1E_S1F_EUlS1E_E_NS1_11comp_targetILNS1_3genE3ELNS1_11target_archE908ELNS1_3gpuE7ELNS1_3repE0EEENS1_30default_config_static_selectorELNS0_4arch9wavefront6targetE0EEEvT1_, .Lfunc_end2056-_ZN7rocprim17ROCPRIM_400000_NS6detail17trampoline_kernelINS0_14default_configENS1_25partition_config_selectorILNS1_17partition_subalgoE6EN6thrust23THRUST_200600_302600_NS5tupleIssNS7_9null_typeES9_S9_S9_S9_S9_S9_S9_EENS0_10empty_typeEbEEZZNS1_14partition_implILS5_6ELb0ES3_mNS7_12zip_iteratorINS8_INS7_6detail15normal_iteratorINS7_10device_ptrIsEEEESJ_S9_S9_S9_S9_S9_S9_S9_S9_EEEEPSB_SM_NS0_5tupleIJNSE_INS8_ISJ_NS7_16discard_iteratorINS7_11use_defaultEEES9_S9_S9_S9_S9_S9_S9_S9_EEEESB_EEENSN_IJSM_SM_EEESB_PlJNSF_9not_fun_tINSF_14equal_to_valueISA_EEEEEEE10hipError_tPvRmT3_T4_T5_T6_T7_T9_mT8_P12ihipStream_tbDpT10_ENKUlT_T0_E_clISt17integral_constantIbLb1EES1J_EEDaS1E_S1F_EUlS1E_E_NS1_11comp_targetILNS1_3genE3ELNS1_11target_archE908ELNS1_3gpuE7ELNS1_3repE0EEENS1_30default_config_static_selectorELNS0_4arch9wavefront6targetE0EEEvT1_
                                        ; -- End function
	.set _ZN7rocprim17ROCPRIM_400000_NS6detail17trampoline_kernelINS0_14default_configENS1_25partition_config_selectorILNS1_17partition_subalgoE6EN6thrust23THRUST_200600_302600_NS5tupleIssNS7_9null_typeES9_S9_S9_S9_S9_S9_S9_EENS0_10empty_typeEbEEZZNS1_14partition_implILS5_6ELb0ES3_mNS7_12zip_iteratorINS8_INS7_6detail15normal_iteratorINS7_10device_ptrIsEEEESJ_S9_S9_S9_S9_S9_S9_S9_S9_EEEEPSB_SM_NS0_5tupleIJNSE_INS8_ISJ_NS7_16discard_iteratorINS7_11use_defaultEEES9_S9_S9_S9_S9_S9_S9_S9_EEEESB_EEENSN_IJSM_SM_EEESB_PlJNSF_9not_fun_tINSF_14equal_to_valueISA_EEEEEEE10hipError_tPvRmT3_T4_T5_T6_T7_T9_mT8_P12ihipStream_tbDpT10_ENKUlT_T0_E_clISt17integral_constantIbLb1EES1J_EEDaS1E_S1F_EUlS1E_E_NS1_11comp_targetILNS1_3genE3ELNS1_11target_archE908ELNS1_3gpuE7ELNS1_3repE0EEENS1_30default_config_static_selectorELNS0_4arch9wavefront6targetE0EEEvT1_.num_vgpr, 0
	.set _ZN7rocprim17ROCPRIM_400000_NS6detail17trampoline_kernelINS0_14default_configENS1_25partition_config_selectorILNS1_17partition_subalgoE6EN6thrust23THRUST_200600_302600_NS5tupleIssNS7_9null_typeES9_S9_S9_S9_S9_S9_S9_EENS0_10empty_typeEbEEZZNS1_14partition_implILS5_6ELb0ES3_mNS7_12zip_iteratorINS8_INS7_6detail15normal_iteratorINS7_10device_ptrIsEEEESJ_S9_S9_S9_S9_S9_S9_S9_S9_EEEEPSB_SM_NS0_5tupleIJNSE_INS8_ISJ_NS7_16discard_iteratorINS7_11use_defaultEEES9_S9_S9_S9_S9_S9_S9_S9_EEEESB_EEENSN_IJSM_SM_EEESB_PlJNSF_9not_fun_tINSF_14equal_to_valueISA_EEEEEEE10hipError_tPvRmT3_T4_T5_T6_T7_T9_mT8_P12ihipStream_tbDpT10_ENKUlT_T0_E_clISt17integral_constantIbLb1EES1J_EEDaS1E_S1F_EUlS1E_E_NS1_11comp_targetILNS1_3genE3ELNS1_11target_archE908ELNS1_3gpuE7ELNS1_3repE0EEENS1_30default_config_static_selectorELNS0_4arch9wavefront6targetE0EEEvT1_.num_agpr, 0
	.set _ZN7rocprim17ROCPRIM_400000_NS6detail17trampoline_kernelINS0_14default_configENS1_25partition_config_selectorILNS1_17partition_subalgoE6EN6thrust23THRUST_200600_302600_NS5tupleIssNS7_9null_typeES9_S9_S9_S9_S9_S9_S9_EENS0_10empty_typeEbEEZZNS1_14partition_implILS5_6ELb0ES3_mNS7_12zip_iteratorINS8_INS7_6detail15normal_iteratorINS7_10device_ptrIsEEEESJ_S9_S9_S9_S9_S9_S9_S9_S9_EEEEPSB_SM_NS0_5tupleIJNSE_INS8_ISJ_NS7_16discard_iteratorINS7_11use_defaultEEES9_S9_S9_S9_S9_S9_S9_S9_EEEESB_EEENSN_IJSM_SM_EEESB_PlJNSF_9not_fun_tINSF_14equal_to_valueISA_EEEEEEE10hipError_tPvRmT3_T4_T5_T6_T7_T9_mT8_P12ihipStream_tbDpT10_ENKUlT_T0_E_clISt17integral_constantIbLb1EES1J_EEDaS1E_S1F_EUlS1E_E_NS1_11comp_targetILNS1_3genE3ELNS1_11target_archE908ELNS1_3gpuE7ELNS1_3repE0EEENS1_30default_config_static_selectorELNS0_4arch9wavefront6targetE0EEEvT1_.numbered_sgpr, 0
	.set _ZN7rocprim17ROCPRIM_400000_NS6detail17trampoline_kernelINS0_14default_configENS1_25partition_config_selectorILNS1_17partition_subalgoE6EN6thrust23THRUST_200600_302600_NS5tupleIssNS7_9null_typeES9_S9_S9_S9_S9_S9_S9_EENS0_10empty_typeEbEEZZNS1_14partition_implILS5_6ELb0ES3_mNS7_12zip_iteratorINS8_INS7_6detail15normal_iteratorINS7_10device_ptrIsEEEESJ_S9_S9_S9_S9_S9_S9_S9_S9_EEEEPSB_SM_NS0_5tupleIJNSE_INS8_ISJ_NS7_16discard_iteratorINS7_11use_defaultEEES9_S9_S9_S9_S9_S9_S9_S9_EEEESB_EEENSN_IJSM_SM_EEESB_PlJNSF_9not_fun_tINSF_14equal_to_valueISA_EEEEEEE10hipError_tPvRmT3_T4_T5_T6_T7_T9_mT8_P12ihipStream_tbDpT10_ENKUlT_T0_E_clISt17integral_constantIbLb1EES1J_EEDaS1E_S1F_EUlS1E_E_NS1_11comp_targetILNS1_3genE3ELNS1_11target_archE908ELNS1_3gpuE7ELNS1_3repE0EEENS1_30default_config_static_selectorELNS0_4arch9wavefront6targetE0EEEvT1_.num_named_barrier, 0
	.set _ZN7rocprim17ROCPRIM_400000_NS6detail17trampoline_kernelINS0_14default_configENS1_25partition_config_selectorILNS1_17partition_subalgoE6EN6thrust23THRUST_200600_302600_NS5tupleIssNS7_9null_typeES9_S9_S9_S9_S9_S9_S9_EENS0_10empty_typeEbEEZZNS1_14partition_implILS5_6ELb0ES3_mNS7_12zip_iteratorINS8_INS7_6detail15normal_iteratorINS7_10device_ptrIsEEEESJ_S9_S9_S9_S9_S9_S9_S9_S9_EEEEPSB_SM_NS0_5tupleIJNSE_INS8_ISJ_NS7_16discard_iteratorINS7_11use_defaultEEES9_S9_S9_S9_S9_S9_S9_S9_EEEESB_EEENSN_IJSM_SM_EEESB_PlJNSF_9not_fun_tINSF_14equal_to_valueISA_EEEEEEE10hipError_tPvRmT3_T4_T5_T6_T7_T9_mT8_P12ihipStream_tbDpT10_ENKUlT_T0_E_clISt17integral_constantIbLb1EES1J_EEDaS1E_S1F_EUlS1E_E_NS1_11comp_targetILNS1_3genE3ELNS1_11target_archE908ELNS1_3gpuE7ELNS1_3repE0EEENS1_30default_config_static_selectorELNS0_4arch9wavefront6targetE0EEEvT1_.private_seg_size, 0
	.set _ZN7rocprim17ROCPRIM_400000_NS6detail17trampoline_kernelINS0_14default_configENS1_25partition_config_selectorILNS1_17partition_subalgoE6EN6thrust23THRUST_200600_302600_NS5tupleIssNS7_9null_typeES9_S9_S9_S9_S9_S9_S9_EENS0_10empty_typeEbEEZZNS1_14partition_implILS5_6ELb0ES3_mNS7_12zip_iteratorINS8_INS7_6detail15normal_iteratorINS7_10device_ptrIsEEEESJ_S9_S9_S9_S9_S9_S9_S9_S9_EEEEPSB_SM_NS0_5tupleIJNSE_INS8_ISJ_NS7_16discard_iteratorINS7_11use_defaultEEES9_S9_S9_S9_S9_S9_S9_S9_EEEESB_EEENSN_IJSM_SM_EEESB_PlJNSF_9not_fun_tINSF_14equal_to_valueISA_EEEEEEE10hipError_tPvRmT3_T4_T5_T6_T7_T9_mT8_P12ihipStream_tbDpT10_ENKUlT_T0_E_clISt17integral_constantIbLb1EES1J_EEDaS1E_S1F_EUlS1E_E_NS1_11comp_targetILNS1_3genE3ELNS1_11target_archE908ELNS1_3gpuE7ELNS1_3repE0EEENS1_30default_config_static_selectorELNS0_4arch9wavefront6targetE0EEEvT1_.uses_vcc, 0
	.set _ZN7rocprim17ROCPRIM_400000_NS6detail17trampoline_kernelINS0_14default_configENS1_25partition_config_selectorILNS1_17partition_subalgoE6EN6thrust23THRUST_200600_302600_NS5tupleIssNS7_9null_typeES9_S9_S9_S9_S9_S9_S9_EENS0_10empty_typeEbEEZZNS1_14partition_implILS5_6ELb0ES3_mNS7_12zip_iteratorINS8_INS7_6detail15normal_iteratorINS7_10device_ptrIsEEEESJ_S9_S9_S9_S9_S9_S9_S9_S9_EEEEPSB_SM_NS0_5tupleIJNSE_INS8_ISJ_NS7_16discard_iteratorINS7_11use_defaultEEES9_S9_S9_S9_S9_S9_S9_S9_EEEESB_EEENSN_IJSM_SM_EEESB_PlJNSF_9not_fun_tINSF_14equal_to_valueISA_EEEEEEE10hipError_tPvRmT3_T4_T5_T6_T7_T9_mT8_P12ihipStream_tbDpT10_ENKUlT_T0_E_clISt17integral_constantIbLb1EES1J_EEDaS1E_S1F_EUlS1E_E_NS1_11comp_targetILNS1_3genE3ELNS1_11target_archE908ELNS1_3gpuE7ELNS1_3repE0EEENS1_30default_config_static_selectorELNS0_4arch9wavefront6targetE0EEEvT1_.uses_flat_scratch, 0
	.set _ZN7rocprim17ROCPRIM_400000_NS6detail17trampoline_kernelINS0_14default_configENS1_25partition_config_selectorILNS1_17partition_subalgoE6EN6thrust23THRUST_200600_302600_NS5tupleIssNS7_9null_typeES9_S9_S9_S9_S9_S9_S9_EENS0_10empty_typeEbEEZZNS1_14partition_implILS5_6ELb0ES3_mNS7_12zip_iteratorINS8_INS7_6detail15normal_iteratorINS7_10device_ptrIsEEEESJ_S9_S9_S9_S9_S9_S9_S9_S9_EEEEPSB_SM_NS0_5tupleIJNSE_INS8_ISJ_NS7_16discard_iteratorINS7_11use_defaultEEES9_S9_S9_S9_S9_S9_S9_S9_EEEESB_EEENSN_IJSM_SM_EEESB_PlJNSF_9not_fun_tINSF_14equal_to_valueISA_EEEEEEE10hipError_tPvRmT3_T4_T5_T6_T7_T9_mT8_P12ihipStream_tbDpT10_ENKUlT_T0_E_clISt17integral_constantIbLb1EES1J_EEDaS1E_S1F_EUlS1E_E_NS1_11comp_targetILNS1_3genE3ELNS1_11target_archE908ELNS1_3gpuE7ELNS1_3repE0EEENS1_30default_config_static_selectorELNS0_4arch9wavefront6targetE0EEEvT1_.has_dyn_sized_stack, 0
	.set _ZN7rocprim17ROCPRIM_400000_NS6detail17trampoline_kernelINS0_14default_configENS1_25partition_config_selectorILNS1_17partition_subalgoE6EN6thrust23THRUST_200600_302600_NS5tupleIssNS7_9null_typeES9_S9_S9_S9_S9_S9_S9_EENS0_10empty_typeEbEEZZNS1_14partition_implILS5_6ELb0ES3_mNS7_12zip_iteratorINS8_INS7_6detail15normal_iteratorINS7_10device_ptrIsEEEESJ_S9_S9_S9_S9_S9_S9_S9_S9_EEEEPSB_SM_NS0_5tupleIJNSE_INS8_ISJ_NS7_16discard_iteratorINS7_11use_defaultEEES9_S9_S9_S9_S9_S9_S9_S9_EEEESB_EEENSN_IJSM_SM_EEESB_PlJNSF_9not_fun_tINSF_14equal_to_valueISA_EEEEEEE10hipError_tPvRmT3_T4_T5_T6_T7_T9_mT8_P12ihipStream_tbDpT10_ENKUlT_T0_E_clISt17integral_constantIbLb1EES1J_EEDaS1E_S1F_EUlS1E_E_NS1_11comp_targetILNS1_3genE3ELNS1_11target_archE908ELNS1_3gpuE7ELNS1_3repE0EEENS1_30default_config_static_selectorELNS0_4arch9wavefront6targetE0EEEvT1_.has_recursion, 0
	.set _ZN7rocprim17ROCPRIM_400000_NS6detail17trampoline_kernelINS0_14default_configENS1_25partition_config_selectorILNS1_17partition_subalgoE6EN6thrust23THRUST_200600_302600_NS5tupleIssNS7_9null_typeES9_S9_S9_S9_S9_S9_S9_EENS0_10empty_typeEbEEZZNS1_14partition_implILS5_6ELb0ES3_mNS7_12zip_iteratorINS8_INS7_6detail15normal_iteratorINS7_10device_ptrIsEEEESJ_S9_S9_S9_S9_S9_S9_S9_S9_EEEEPSB_SM_NS0_5tupleIJNSE_INS8_ISJ_NS7_16discard_iteratorINS7_11use_defaultEEES9_S9_S9_S9_S9_S9_S9_S9_EEEESB_EEENSN_IJSM_SM_EEESB_PlJNSF_9not_fun_tINSF_14equal_to_valueISA_EEEEEEE10hipError_tPvRmT3_T4_T5_T6_T7_T9_mT8_P12ihipStream_tbDpT10_ENKUlT_T0_E_clISt17integral_constantIbLb1EES1J_EEDaS1E_S1F_EUlS1E_E_NS1_11comp_targetILNS1_3genE3ELNS1_11target_archE908ELNS1_3gpuE7ELNS1_3repE0EEENS1_30default_config_static_selectorELNS0_4arch9wavefront6targetE0EEEvT1_.has_indirect_call, 0
	.section	.AMDGPU.csdata,"",@progbits
; Kernel info:
; codeLenInByte = 0
; TotalNumSgprs: 0
; NumVgprs: 0
; ScratchSize: 0
; MemoryBound: 0
; FloatMode: 240
; IeeeMode: 1
; LDSByteSize: 0 bytes/workgroup (compile time only)
; SGPRBlocks: 0
; VGPRBlocks: 0
; NumSGPRsForWavesPerEU: 1
; NumVGPRsForWavesPerEU: 1
; Occupancy: 16
; WaveLimiterHint : 0
; COMPUTE_PGM_RSRC2:SCRATCH_EN: 0
; COMPUTE_PGM_RSRC2:USER_SGPR: 2
; COMPUTE_PGM_RSRC2:TRAP_HANDLER: 0
; COMPUTE_PGM_RSRC2:TGID_X_EN: 1
; COMPUTE_PGM_RSRC2:TGID_Y_EN: 0
; COMPUTE_PGM_RSRC2:TGID_Z_EN: 0
; COMPUTE_PGM_RSRC2:TIDIG_COMP_CNT: 0
	.section	.text._ZN7rocprim17ROCPRIM_400000_NS6detail17trampoline_kernelINS0_14default_configENS1_25partition_config_selectorILNS1_17partition_subalgoE6EN6thrust23THRUST_200600_302600_NS5tupleIssNS7_9null_typeES9_S9_S9_S9_S9_S9_S9_EENS0_10empty_typeEbEEZZNS1_14partition_implILS5_6ELb0ES3_mNS7_12zip_iteratorINS8_INS7_6detail15normal_iteratorINS7_10device_ptrIsEEEESJ_S9_S9_S9_S9_S9_S9_S9_S9_EEEEPSB_SM_NS0_5tupleIJNSE_INS8_ISJ_NS7_16discard_iteratorINS7_11use_defaultEEES9_S9_S9_S9_S9_S9_S9_S9_EEEESB_EEENSN_IJSM_SM_EEESB_PlJNSF_9not_fun_tINSF_14equal_to_valueISA_EEEEEEE10hipError_tPvRmT3_T4_T5_T6_T7_T9_mT8_P12ihipStream_tbDpT10_ENKUlT_T0_E_clISt17integral_constantIbLb1EES1J_EEDaS1E_S1F_EUlS1E_E_NS1_11comp_targetILNS1_3genE2ELNS1_11target_archE906ELNS1_3gpuE6ELNS1_3repE0EEENS1_30default_config_static_selectorELNS0_4arch9wavefront6targetE0EEEvT1_,"axG",@progbits,_ZN7rocprim17ROCPRIM_400000_NS6detail17trampoline_kernelINS0_14default_configENS1_25partition_config_selectorILNS1_17partition_subalgoE6EN6thrust23THRUST_200600_302600_NS5tupleIssNS7_9null_typeES9_S9_S9_S9_S9_S9_S9_EENS0_10empty_typeEbEEZZNS1_14partition_implILS5_6ELb0ES3_mNS7_12zip_iteratorINS8_INS7_6detail15normal_iteratorINS7_10device_ptrIsEEEESJ_S9_S9_S9_S9_S9_S9_S9_S9_EEEEPSB_SM_NS0_5tupleIJNSE_INS8_ISJ_NS7_16discard_iteratorINS7_11use_defaultEEES9_S9_S9_S9_S9_S9_S9_S9_EEEESB_EEENSN_IJSM_SM_EEESB_PlJNSF_9not_fun_tINSF_14equal_to_valueISA_EEEEEEE10hipError_tPvRmT3_T4_T5_T6_T7_T9_mT8_P12ihipStream_tbDpT10_ENKUlT_T0_E_clISt17integral_constantIbLb1EES1J_EEDaS1E_S1F_EUlS1E_E_NS1_11comp_targetILNS1_3genE2ELNS1_11target_archE906ELNS1_3gpuE6ELNS1_3repE0EEENS1_30default_config_static_selectorELNS0_4arch9wavefront6targetE0EEEvT1_,comdat
	.protected	_ZN7rocprim17ROCPRIM_400000_NS6detail17trampoline_kernelINS0_14default_configENS1_25partition_config_selectorILNS1_17partition_subalgoE6EN6thrust23THRUST_200600_302600_NS5tupleIssNS7_9null_typeES9_S9_S9_S9_S9_S9_S9_EENS0_10empty_typeEbEEZZNS1_14partition_implILS5_6ELb0ES3_mNS7_12zip_iteratorINS8_INS7_6detail15normal_iteratorINS7_10device_ptrIsEEEESJ_S9_S9_S9_S9_S9_S9_S9_S9_EEEEPSB_SM_NS0_5tupleIJNSE_INS8_ISJ_NS7_16discard_iteratorINS7_11use_defaultEEES9_S9_S9_S9_S9_S9_S9_S9_EEEESB_EEENSN_IJSM_SM_EEESB_PlJNSF_9not_fun_tINSF_14equal_to_valueISA_EEEEEEE10hipError_tPvRmT3_T4_T5_T6_T7_T9_mT8_P12ihipStream_tbDpT10_ENKUlT_T0_E_clISt17integral_constantIbLb1EES1J_EEDaS1E_S1F_EUlS1E_E_NS1_11comp_targetILNS1_3genE2ELNS1_11target_archE906ELNS1_3gpuE6ELNS1_3repE0EEENS1_30default_config_static_selectorELNS0_4arch9wavefront6targetE0EEEvT1_ ; -- Begin function _ZN7rocprim17ROCPRIM_400000_NS6detail17trampoline_kernelINS0_14default_configENS1_25partition_config_selectorILNS1_17partition_subalgoE6EN6thrust23THRUST_200600_302600_NS5tupleIssNS7_9null_typeES9_S9_S9_S9_S9_S9_S9_EENS0_10empty_typeEbEEZZNS1_14partition_implILS5_6ELb0ES3_mNS7_12zip_iteratorINS8_INS7_6detail15normal_iteratorINS7_10device_ptrIsEEEESJ_S9_S9_S9_S9_S9_S9_S9_S9_EEEEPSB_SM_NS0_5tupleIJNSE_INS8_ISJ_NS7_16discard_iteratorINS7_11use_defaultEEES9_S9_S9_S9_S9_S9_S9_S9_EEEESB_EEENSN_IJSM_SM_EEESB_PlJNSF_9not_fun_tINSF_14equal_to_valueISA_EEEEEEE10hipError_tPvRmT3_T4_T5_T6_T7_T9_mT8_P12ihipStream_tbDpT10_ENKUlT_T0_E_clISt17integral_constantIbLb1EES1J_EEDaS1E_S1F_EUlS1E_E_NS1_11comp_targetILNS1_3genE2ELNS1_11target_archE906ELNS1_3gpuE6ELNS1_3repE0EEENS1_30default_config_static_selectorELNS0_4arch9wavefront6targetE0EEEvT1_
	.globl	_ZN7rocprim17ROCPRIM_400000_NS6detail17trampoline_kernelINS0_14default_configENS1_25partition_config_selectorILNS1_17partition_subalgoE6EN6thrust23THRUST_200600_302600_NS5tupleIssNS7_9null_typeES9_S9_S9_S9_S9_S9_S9_EENS0_10empty_typeEbEEZZNS1_14partition_implILS5_6ELb0ES3_mNS7_12zip_iteratorINS8_INS7_6detail15normal_iteratorINS7_10device_ptrIsEEEESJ_S9_S9_S9_S9_S9_S9_S9_S9_EEEEPSB_SM_NS0_5tupleIJNSE_INS8_ISJ_NS7_16discard_iteratorINS7_11use_defaultEEES9_S9_S9_S9_S9_S9_S9_S9_EEEESB_EEENSN_IJSM_SM_EEESB_PlJNSF_9not_fun_tINSF_14equal_to_valueISA_EEEEEEE10hipError_tPvRmT3_T4_T5_T6_T7_T9_mT8_P12ihipStream_tbDpT10_ENKUlT_T0_E_clISt17integral_constantIbLb1EES1J_EEDaS1E_S1F_EUlS1E_E_NS1_11comp_targetILNS1_3genE2ELNS1_11target_archE906ELNS1_3gpuE6ELNS1_3repE0EEENS1_30default_config_static_selectorELNS0_4arch9wavefront6targetE0EEEvT1_
	.p2align	8
	.type	_ZN7rocprim17ROCPRIM_400000_NS6detail17trampoline_kernelINS0_14default_configENS1_25partition_config_selectorILNS1_17partition_subalgoE6EN6thrust23THRUST_200600_302600_NS5tupleIssNS7_9null_typeES9_S9_S9_S9_S9_S9_S9_EENS0_10empty_typeEbEEZZNS1_14partition_implILS5_6ELb0ES3_mNS7_12zip_iteratorINS8_INS7_6detail15normal_iteratorINS7_10device_ptrIsEEEESJ_S9_S9_S9_S9_S9_S9_S9_S9_EEEEPSB_SM_NS0_5tupleIJNSE_INS8_ISJ_NS7_16discard_iteratorINS7_11use_defaultEEES9_S9_S9_S9_S9_S9_S9_S9_EEEESB_EEENSN_IJSM_SM_EEESB_PlJNSF_9not_fun_tINSF_14equal_to_valueISA_EEEEEEE10hipError_tPvRmT3_T4_T5_T6_T7_T9_mT8_P12ihipStream_tbDpT10_ENKUlT_T0_E_clISt17integral_constantIbLb1EES1J_EEDaS1E_S1F_EUlS1E_E_NS1_11comp_targetILNS1_3genE2ELNS1_11target_archE906ELNS1_3gpuE6ELNS1_3repE0EEENS1_30default_config_static_selectorELNS0_4arch9wavefront6targetE0EEEvT1_,@function
_ZN7rocprim17ROCPRIM_400000_NS6detail17trampoline_kernelINS0_14default_configENS1_25partition_config_selectorILNS1_17partition_subalgoE6EN6thrust23THRUST_200600_302600_NS5tupleIssNS7_9null_typeES9_S9_S9_S9_S9_S9_S9_EENS0_10empty_typeEbEEZZNS1_14partition_implILS5_6ELb0ES3_mNS7_12zip_iteratorINS8_INS7_6detail15normal_iteratorINS7_10device_ptrIsEEEESJ_S9_S9_S9_S9_S9_S9_S9_S9_EEEEPSB_SM_NS0_5tupleIJNSE_INS8_ISJ_NS7_16discard_iteratorINS7_11use_defaultEEES9_S9_S9_S9_S9_S9_S9_S9_EEEESB_EEENSN_IJSM_SM_EEESB_PlJNSF_9not_fun_tINSF_14equal_to_valueISA_EEEEEEE10hipError_tPvRmT3_T4_T5_T6_T7_T9_mT8_P12ihipStream_tbDpT10_ENKUlT_T0_E_clISt17integral_constantIbLb1EES1J_EEDaS1E_S1F_EUlS1E_E_NS1_11comp_targetILNS1_3genE2ELNS1_11target_archE906ELNS1_3gpuE6ELNS1_3repE0EEENS1_30default_config_static_selectorELNS0_4arch9wavefront6targetE0EEEvT1_: ; @_ZN7rocprim17ROCPRIM_400000_NS6detail17trampoline_kernelINS0_14default_configENS1_25partition_config_selectorILNS1_17partition_subalgoE6EN6thrust23THRUST_200600_302600_NS5tupleIssNS7_9null_typeES9_S9_S9_S9_S9_S9_S9_EENS0_10empty_typeEbEEZZNS1_14partition_implILS5_6ELb0ES3_mNS7_12zip_iteratorINS8_INS7_6detail15normal_iteratorINS7_10device_ptrIsEEEESJ_S9_S9_S9_S9_S9_S9_S9_S9_EEEEPSB_SM_NS0_5tupleIJNSE_INS8_ISJ_NS7_16discard_iteratorINS7_11use_defaultEEES9_S9_S9_S9_S9_S9_S9_S9_EEEESB_EEENSN_IJSM_SM_EEESB_PlJNSF_9not_fun_tINSF_14equal_to_valueISA_EEEEEEE10hipError_tPvRmT3_T4_T5_T6_T7_T9_mT8_P12ihipStream_tbDpT10_ENKUlT_T0_E_clISt17integral_constantIbLb1EES1J_EEDaS1E_S1F_EUlS1E_E_NS1_11comp_targetILNS1_3genE2ELNS1_11target_archE906ELNS1_3gpuE6ELNS1_3repE0EEENS1_30default_config_static_selectorELNS0_4arch9wavefront6targetE0EEEvT1_
; %bb.0:
	.section	.rodata,"a",@progbits
	.p2align	6, 0x0
	.amdhsa_kernel _ZN7rocprim17ROCPRIM_400000_NS6detail17trampoline_kernelINS0_14default_configENS1_25partition_config_selectorILNS1_17partition_subalgoE6EN6thrust23THRUST_200600_302600_NS5tupleIssNS7_9null_typeES9_S9_S9_S9_S9_S9_S9_EENS0_10empty_typeEbEEZZNS1_14partition_implILS5_6ELb0ES3_mNS7_12zip_iteratorINS8_INS7_6detail15normal_iteratorINS7_10device_ptrIsEEEESJ_S9_S9_S9_S9_S9_S9_S9_S9_EEEEPSB_SM_NS0_5tupleIJNSE_INS8_ISJ_NS7_16discard_iteratorINS7_11use_defaultEEES9_S9_S9_S9_S9_S9_S9_S9_EEEESB_EEENSN_IJSM_SM_EEESB_PlJNSF_9not_fun_tINSF_14equal_to_valueISA_EEEEEEE10hipError_tPvRmT3_T4_T5_T6_T7_T9_mT8_P12ihipStream_tbDpT10_ENKUlT_T0_E_clISt17integral_constantIbLb1EES1J_EEDaS1E_S1F_EUlS1E_E_NS1_11comp_targetILNS1_3genE2ELNS1_11target_archE906ELNS1_3gpuE6ELNS1_3repE0EEENS1_30default_config_static_selectorELNS0_4arch9wavefront6targetE0EEEvT1_
		.amdhsa_group_segment_fixed_size 0
		.amdhsa_private_segment_fixed_size 0
		.amdhsa_kernarg_size 152
		.amdhsa_user_sgpr_count 2
		.amdhsa_user_sgpr_dispatch_ptr 0
		.amdhsa_user_sgpr_queue_ptr 0
		.amdhsa_user_sgpr_kernarg_segment_ptr 1
		.amdhsa_user_sgpr_dispatch_id 0
		.amdhsa_user_sgpr_private_segment_size 0
		.amdhsa_wavefront_size32 1
		.amdhsa_uses_dynamic_stack 0
		.amdhsa_enable_private_segment 0
		.amdhsa_system_sgpr_workgroup_id_x 1
		.amdhsa_system_sgpr_workgroup_id_y 0
		.amdhsa_system_sgpr_workgroup_id_z 0
		.amdhsa_system_sgpr_workgroup_info 0
		.amdhsa_system_vgpr_workitem_id 0
		.amdhsa_next_free_vgpr 1
		.amdhsa_next_free_sgpr 1
		.amdhsa_reserve_vcc 0
		.amdhsa_float_round_mode_32 0
		.amdhsa_float_round_mode_16_64 0
		.amdhsa_float_denorm_mode_32 3
		.amdhsa_float_denorm_mode_16_64 3
		.amdhsa_fp16_overflow 0
		.amdhsa_workgroup_processor_mode 1
		.amdhsa_memory_ordered 1
		.amdhsa_forward_progress 1
		.amdhsa_inst_pref_size 0
		.amdhsa_round_robin_scheduling 0
		.amdhsa_exception_fp_ieee_invalid_op 0
		.amdhsa_exception_fp_denorm_src 0
		.amdhsa_exception_fp_ieee_div_zero 0
		.amdhsa_exception_fp_ieee_overflow 0
		.amdhsa_exception_fp_ieee_underflow 0
		.amdhsa_exception_fp_ieee_inexact 0
		.amdhsa_exception_int_div_zero 0
	.end_amdhsa_kernel
	.section	.text._ZN7rocprim17ROCPRIM_400000_NS6detail17trampoline_kernelINS0_14default_configENS1_25partition_config_selectorILNS1_17partition_subalgoE6EN6thrust23THRUST_200600_302600_NS5tupleIssNS7_9null_typeES9_S9_S9_S9_S9_S9_S9_EENS0_10empty_typeEbEEZZNS1_14partition_implILS5_6ELb0ES3_mNS7_12zip_iteratorINS8_INS7_6detail15normal_iteratorINS7_10device_ptrIsEEEESJ_S9_S9_S9_S9_S9_S9_S9_S9_EEEEPSB_SM_NS0_5tupleIJNSE_INS8_ISJ_NS7_16discard_iteratorINS7_11use_defaultEEES9_S9_S9_S9_S9_S9_S9_S9_EEEESB_EEENSN_IJSM_SM_EEESB_PlJNSF_9not_fun_tINSF_14equal_to_valueISA_EEEEEEE10hipError_tPvRmT3_T4_T5_T6_T7_T9_mT8_P12ihipStream_tbDpT10_ENKUlT_T0_E_clISt17integral_constantIbLb1EES1J_EEDaS1E_S1F_EUlS1E_E_NS1_11comp_targetILNS1_3genE2ELNS1_11target_archE906ELNS1_3gpuE6ELNS1_3repE0EEENS1_30default_config_static_selectorELNS0_4arch9wavefront6targetE0EEEvT1_,"axG",@progbits,_ZN7rocprim17ROCPRIM_400000_NS6detail17trampoline_kernelINS0_14default_configENS1_25partition_config_selectorILNS1_17partition_subalgoE6EN6thrust23THRUST_200600_302600_NS5tupleIssNS7_9null_typeES9_S9_S9_S9_S9_S9_S9_EENS0_10empty_typeEbEEZZNS1_14partition_implILS5_6ELb0ES3_mNS7_12zip_iteratorINS8_INS7_6detail15normal_iteratorINS7_10device_ptrIsEEEESJ_S9_S9_S9_S9_S9_S9_S9_S9_EEEEPSB_SM_NS0_5tupleIJNSE_INS8_ISJ_NS7_16discard_iteratorINS7_11use_defaultEEES9_S9_S9_S9_S9_S9_S9_S9_EEEESB_EEENSN_IJSM_SM_EEESB_PlJNSF_9not_fun_tINSF_14equal_to_valueISA_EEEEEEE10hipError_tPvRmT3_T4_T5_T6_T7_T9_mT8_P12ihipStream_tbDpT10_ENKUlT_T0_E_clISt17integral_constantIbLb1EES1J_EEDaS1E_S1F_EUlS1E_E_NS1_11comp_targetILNS1_3genE2ELNS1_11target_archE906ELNS1_3gpuE6ELNS1_3repE0EEENS1_30default_config_static_selectorELNS0_4arch9wavefront6targetE0EEEvT1_,comdat
.Lfunc_end2057:
	.size	_ZN7rocprim17ROCPRIM_400000_NS6detail17trampoline_kernelINS0_14default_configENS1_25partition_config_selectorILNS1_17partition_subalgoE6EN6thrust23THRUST_200600_302600_NS5tupleIssNS7_9null_typeES9_S9_S9_S9_S9_S9_S9_EENS0_10empty_typeEbEEZZNS1_14partition_implILS5_6ELb0ES3_mNS7_12zip_iteratorINS8_INS7_6detail15normal_iteratorINS7_10device_ptrIsEEEESJ_S9_S9_S9_S9_S9_S9_S9_S9_EEEEPSB_SM_NS0_5tupleIJNSE_INS8_ISJ_NS7_16discard_iteratorINS7_11use_defaultEEES9_S9_S9_S9_S9_S9_S9_S9_EEEESB_EEENSN_IJSM_SM_EEESB_PlJNSF_9not_fun_tINSF_14equal_to_valueISA_EEEEEEE10hipError_tPvRmT3_T4_T5_T6_T7_T9_mT8_P12ihipStream_tbDpT10_ENKUlT_T0_E_clISt17integral_constantIbLb1EES1J_EEDaS1E_S1F_EUlS1E_E_NS1_11comp_targetILNS1_3genE2ELNS1_11target_archE906ELNS1_3gpuE6ELNS1_3repE0EEENS1_30default_config_static_selectorELNS0_4arch9wavefront6targetE0EEEvT1_, .Lfunc_end2057-_ZN7rocprim17ROCPRIM_400000_NS6detail17trampoline_kernelINS0_14default_configENS1_25partition_config_selectorILNS1_17partition_subalgoE6EN6thrust23THRUST_200600_302600_NS5tupleIssNS7_9null_typeES9_S9_S9_S9_S9_S9_S9_EENS0_10empty_typeEbEEZZNS1_14partition_implILS5_6ELb0ES3_mNS7_12zip_iteratorINS8_INS7_6detail15normal_iteratorINS7_10device_ptrIsEEEESJ_S9_S9_S9_S9_S9_S9_S9_S9_EEEEPSB_SM_NS0_5tupleIJNSE_INS8_ISJ_NS7_16discard_iteratorINS7_11use_defaultEEES9_S9_S9_S9_S9_S9_S9_S9_EEEESB_EEENSN_IJSM_SM_EEESB_PlJNSF_9not_fun_tINSF_14equal_to_valueISA_EEEEEEE10hipError_tPvRmT3_T4_T5_T6_T7_T9_mT8_P12ihipStream_tbDpT10_ENKUlT_T0_E_clISt17integral_constantIbLb1EES1J_EEDaS1E_S1F_EUlS1E_E_NS1_11comp_targetILNS1_3genE2ELNS1_11target_archE906ELNS1_3gpuE6ELNS1_3repE0EEENS1_30default_config_static_selectorELNS0_4arch9wavefront6targetE0EEEvT1_
                                        ; -- End function
	.set _ZN7rocprim17ROCPRIM_400000_NS6detail17trampoline_kernelINS0_14default_configENS1_25partition_config_selectorILNS1_17partition_subalgoE6EN6thrust23THRUST_200600_302600_NS5tupleIssNS7_9null_typeES9_S9_S9_S9_S9_S9_S9_EENS0_10empty_typeEbEEZZNS1_14partition_implILS5_6ELb0ES3_mNS7_12zip_iteratorINS8_INS7_6detail15normal_iteratorINS7_10device_ptrIsEEEESJ_S9_S9_S9_S9_S9_S9_S9_S9_EEEEPSB_SM_NS0_5tupleIJNSE_INS8_ISJ_NS7_16discard_iteratorINS7_11use_defaultEEES9_S9_S9_S9_S9_S9_S9_S9_EEEESB_EEENSN_IJSM_SM_EEESB_PlJNSF_9not_fun_tINSF_14equal_to_valueISA_EEEEEEE10hipError_tPvRmT3_T4_T5_T6_T7_T9_mT8_P12ihipStream_tbDpT10_ENKUlT_T0_E_clISt17integral_constantIbLb1EES1J_EEDaS1E_S1F_EUlS1E_E_NS1_11comp_targetILNS1_3genE2ELNS1_11target_archE906ELNS1_3gpuE6ELNS1_3repE0EEENS1_30default_config_static_selectorELNS0_4arch9wavefront6targetE0EEEvT1_.num_vgpr, 0
	.set _ZN7rocprim17ROCPRIM_400000_NS6detail17trampoline_kernelINS0_14default_configENS1_25partition_config_selectorILNS1_17partition_subalgoE6EN6thrust23THRUST_200600_302600_NS5tupleIssNS7_9null_typeES9_S9_S9_S9_S9_S9_S9_EENS0_10empty_typeEbEEZZNS1_14partition_implILS5_6ELb0ES3_mNS7_12zip_iteratorINS8_INS7_6detail15normal_iteratorINS7_10device_ptrIsEEEESJ_S9_S9_S9_S9_S9_S9_S9_S9_EEEEPSB_SM_NS0_5tupleIJNSE_INS8_ISJ_NS7_16discard_iteratorINS7_11use_defaultEEES9_S9_S9_S9_S9_S9_S9_S9_EEEESB_EEENSN_IJSM_SM_EEESB_PlJNSF_9not_fun_tINSF_14equal_to_valueISA_EEEEEEE10hipError_tPvRmT3_T4_T5_T6_T7_T9_mT8_P12ihipStream_tbDpT10_ENKUlT_T0_E_clISt17integral_constantIbLb1EES1J_EEDaS1E_S1F_EUlS1E_E_NS1_11comp_targetILNS1_3genE2ELNS1_11target_archE906ELNS1_3gpuE6ELNS1_3repE0EEENS1_30default_config_static_selectorELNS0_4arch9wavefront6targetE0EEEvT1_.num_agpr, 0
	.set _ZN7rocprim17ROCPRIM_400000_NS6detail17trampoline_kernelINS0_14default_configENS1_25partition_config_selectorILNS1_17partition_subalgoE6EN6thrust23THRUST_200600_302600_NS5tupleIssNS7_9null_typeES9_S9_S9_S9_S9_S9_S9_EENS0_10empty_typeEbEEZZNS1_14partition_implILS5_6ELb0ES3_mNS7_12zip_iteratorINS8_INS7_6detail15normal_iteratorINS7_10device_ptrIsEEEESJ_S9_S9_S9_S9_S9_S9_S9_S9_EEEEPSB_SM_NS0_5tupleIJNSE_INS8_ISJ_NS7_16discard_iteratorINS7_11use_defaultEEES9_S9_S9_S9_S9_S9_S9_S9_EEEESB_EEENSN_IJSM_SM_EEESB_PlJNSF_9not_fun_tINSF_14equal_to_valueISA_EEEEEEE10hipError_tPvRmT3_T4_T5_T6_T7_T9_mT8_P12ihipStream_tbDpT10_ENKUlT_T0_E_clISt17integral_constantIbLb1EES1J_EEDaS1E_S1F_EUlS1E_E_NS1_11comp_targetILNS1_3genE2ELNS1_11target_archE906ELNS1_3gpuE6ELNS1_3repE0EEENS1_30default_config_static_selectorELNS0_4arch9wavefront6targetE0EEEvT1_.numbered_sgpr, 0
	.set _ZN7rocprim17ROCPRIM_400000_NS6detail17trampoline_kernelINS0_14default_configENS1_25partition_config_selectorILNS1_17partition_subalgoE6EN6thrust23THRUST_200600_302600_NS5tupleIssNS7_9null_typeES9_S9_S9_S9_S9_S9_S9_EENS0_10empty_typeEbEEZZNS1_14partition_implILS5_6ELb0ES3_mNS7_12zip_iteratorINS8_INS7_6detail15normal_iteratorINS7_10device_ptrIsEEEESJ_S9_S9_S9_S9_S9_S9_S9_S9_EEEEPSB_SM_NS0_5tupleIJNSE_INS8_ISJ_NS7_16discard_iteratorINS7_11use_defaultEEES9_S9_S9_S9_S9_S9_S9_S9_EEEESB_EEENSN_IJSM_SM_EEESB_PlJNSF_9not_fun_tINSF_14equal_to_valueISA_EEEEEEE10hipError_tPvRmT3_T4_T5_T6_T7_T9_mT8_P12ihipStream_tbDpT10_ENKUlT_T0_E_clISt17integral_constantIbLb1EES1J_EEDaS1E_S1F_EUlS1E_E_NS1_11comp_targetILNS1_3genE2ELNS1_11target_archE906ELNS1_3gpuE6ELNS1_3repE0EEENS1_30default_config_static_selectorELNS0_4arch9wavefront6targetE0EEEvT1_.num_named_barrier, 0
	.set _ZN7rocprim17ROCPRIM_400000_NS6detail17trampoline_kernelINS0_14default_configENS1_25partition_config_selectorILNS1_17partition_subalgoE6EN6thrust23THRUST_200600_302600_NS5tupleIssNS7_9null_typeES9_S9_S9_S9_S9_S9_S9_EENS0_10empty_typeEbEEZZNS1_14partition_implILS5_6ELb0ES3_mNS7_12zip_iteratorINS8_INS7_6detail15normal_iteratorINS7_10device_ptrIsEEEESJ_S9_S9_S9_S9_S9_S9_S9_S9_EEEEPSB_SM_NS0_5tupleIJNSE_INS8_ISJ_NS7_16discard_iteratorINS7_11use_defaultEEES9_S9_S9_S9_S9_S9_S9_S9_EEEESB_EEENSN_IJSM_SM_EEESB_PlJNSF_9not_fun_tINSF_14equal_to_valueISA_EEEEEEE10hipError_tPvRmT3_T4_T5_T6_T7_T9_mT8_P12ihipStream_tbDpT10_ENKUlT_T0_E_clISt17integral_constantIbLb1EES1J_EEDaS1E_S1F_EUlS1E_E_NS1_11comp_targetILNS1_3genE2ELNS1_11target_archE906ELNS1_3gpuE6ELNS1_3repE0EEENS1_30default_config_static_selectorELNS0_4arch9wavefront6targetE0EEEvT1_.private_seg_size, 0
	.set _ZN7rocprim17ROCPRIM_400000_NS6detail17trampoline_kernelINS0_14default_configENS1_25partition_config_selectorILNS1_17partition_subalgoE6EN6thrust23THRUST_200600_302600_NS5tupleIssNS7_9null_typeES9_S9_S9_S9_S9_S9_S9_EENS0_10empty_typeEbEEZZNS1_14partition_implILS5_6ELb0ES3_mNS7_12zip_iteratorINS8_INS7_6detail15normal_iteratorINS7_10device_ptrIsEEEESJ_S9_S9_S9_S9_S9_S9_S9_S9_EEEEPSB_SM_NS0_5tupleIJNSE_INS8_ISJ_NS7_16discard_iteratorINS7_11use_defaultEEES9_S9_S9_S9_S9_S9_S9_S9_EEEESB_EEENSN_IJSM_SM_EEESB_PlJNSF_9not_fun_tINSF_14equal_to_valueISA_EEEEEEE10hipError_tPvRmT3_T4_T5_T6_T7_T9_mT8_P12ihipStream_tbDpT10_ENKUlT_T0_E_clISt17integral_constantIbLb1EES1J_EEDaS1E_S1F_EUlS1E_E_NS1_11comp_targetILNS1_3genE2ELNS1_11target_archE906ELNS1_3gpuE6ELNS1_3repE0EEENS1_30default_config_static_selectorELNS0_4arch9wavefront6targetE0EEEvT1_.uses_vcc, 0
	.set _ZN7rocprim17ROCPRIM_400000_NS6detail17trampoline_kernelINS0_14default_configENS1_25partition_config_selectorILNS1_17partition_subalgoE6EN6thrust23THRUST_200600_302600_NS5tupleIssNS7_9null_typeES9_S9_S9_S9_S9_S9_S9_EENS0_10empty_typeEbEEZZNS1_14partition_implILS5_6ELb0ES3_mNS7_12zip_iteratorINS8_INS7_6detail15normal_iteratorINS7_10device_ptrIsEEEESJ_S9_S9_S9_S9_S9_S9_S9_S9_EEEEPSB_SM_NS0_5tupleIJNSE_INS8_ISJ_NS7_16discard_iteratorINS7_11use_defaultEEES9_S9_S9_S9_S9_S9_S9_S9_EEEESB_EEENSN_IJSM_SM_EEESB_PlJNSF_9not_fun_tINSF_14equal_to_valueISA_EEEEEEE10hipError_tPvRmT3_T4_T5_T6_T7_T9_mT8_P12ihipStream_tbDpT10_ENKUlT_T0_E_clISt17integral_constantIbLb1EES1J_EEDaS1E_S1F_EUlS1E_E_NS1_11comp_targetILNS1_3genE2ELNS1_11target_archE906ELNS1_3gpuE6ELNS1_3repE0EEENS1_30default_config_static_selectorELNS0_4arch9wavefront6targetE0EEEvT1_.uses_flat_scratch, 0
	.set _ZN7rocprim17ROCPRIM_400000_NS6detail17trampoline_kernelINS0_14default_configENS1_25partition_config_selectorILNS1_17partition_subalgoE6EN6thrust23THRUST_200600_302600_NS5tupleIssNS7_9null_typeES9_S9_S9_S9_S9_S9_S9_EENS0_10empty_typeEbEEZZNS1_14partition_implILS5_6ELb0ES3_mNS7_12zip_iteratorINS8_INS7_6detail15normal_iteratorINS7_10device_ptrIsEEEESJ_S9_S9_S9_S9_S9_S9_S9_S9_EEEEPSB_SM_NS0_5tupleIJNSE_INS8_ISJ_NS7_16discard_iteratorINS7_11use_defaultEEES9_S9_S9_S9_S9_S9_S9_S9_EEEESB_EEENSN_IJSM_SM_EEESB_PlJNSF_9not_fun_tINSF_14equal_to_valueISA_EEEEEEE10hipError_tPvRmT3_T4_T5_T6_T7_T9_mT8_P12ihipStream_tbDpT10_ENKUlT_T0_E_clISt17integral_constantIbLb1EES1J_EEDaS1E_S1F_EUlS1E_E_NS1_11comp_targetILNS1_3genE2ELNS1_11target_archE906ELNS1_3gpuE6ELNS1_3repE0EEENS1_30default_config_static_selectorELNS0_4arch9wavefront6targetE0EEEvT1_.has_dyn_sized_stack, 0
	.set _ZN7rocprim17ROCPRIM_400000_NS6detail17trampoline_kernelINS0_14default_configENS1_25partition_config_selectorILNS1_17partition_subalgoE6EN6thrust23THRUST_200600_302600_NS5tupleIssNS7_9null_typeES9_S9_S9_S9_S9_S9_S9_EENS0_10empty_typeEbEEZZNS1_14partition_implILS5_6ELb0ES3_mNS7_12zip_iteratorINS8_INS7_6detail15normal_iteratorINS7_10device_ptrIsEEEESJ_S9_S9_S9_S9_S9_S9_S9_S9_EEEEPSB_SM_NS0_5tupleIJNSE_INS8_ISJ_NS7_16discard_iteratorINS7_11use_defaultEEES9_S9_S9_S9_S9_S9_S9_S9_EEEESB_EEENSN_IJSM_SM_EEESB_PlJNSF_9not_fun_tINSF_14equal_to_valueISA_EEEEEEE10hipError_tPvRmT3_T4_T5_T6_T7_T9_mT8_P12ihipStream_tbDpT10_ENKUlT_T0_E_clISt17integral_constantIbLb1EES1J_EEDaS1E_S1F_EUlS1E_E_NS1_11comp_targetILNS1_3genE2ELNS1_11target_archE906ELNS1_3gpuE6ELNS1_3repE0EEENS1_30default_config_static_selectorELNS0_4arch9wavefront6targetE0EEEvT1_.has_recursion, 0
	.set _ZN7rocprim17ROCPRIM_400000_NS6detail17trampoline_kernelINS0_14default_configENS1_25partition_config_selectorILNS1_17partition_subalgoE6EN6thrust23THRUST_200600_302600_NS5tupleIssNS7_9null_typeES9_S9_S9_S9_S9_S9_S9_EENS0_10empty_typeEbEEZZNS1_14partition_implILS5_6ELb0ES3_mNS7_12zip_iteratorINS8_INS7_6detail15normal_iteratorINS7_10device_ptrIsEEEESJ_S9_S9_S9_S9_S9_S9_S9_S9_EEEEPSB_SM_NS0_5tupleIJNSE_INS8_ISJ_NS7_16discard_iteratorINS7_11use_defaultEEES9_S9_S9_S9_S9_S9_S9_S9_EEEESB_EEENSN_IJSM_SM_EEESB_PlJNSF_9not_fun_tINSF_14equal_to_valueISA_EEEEEEE10hipError_tPvRmT3_T4_T5_T6_T7_T9_mT8_P12ihipStream_tbDpT10_ENKUlT_T0_E_clISt17integral_constantIbLb1EES1J_EEDaS1E_S1F_EUlS1E_E_NS1_11comp_targetILNS1_3genE2ELNS1_11target_archE906ELNS1_3gpuE6ELNS1_3repE0EEENS1_30default_config_static_selectorELNS0_4arch9wavefront6targetE0EEEvT1_.has_indirect_call, 0
	.section	.AMDGPU.csdata,"",@progbits
; Kernel info:
; codeLenInByte = 0
; TotalNumSgprs: 0
; NumVgprs: 0
; ScratchSize: 0
; MemoryBound: 0
; FloatMode: 240
; IeeeMode: 1
; LDSByteSize: 0 bytes/workgroup (compile time only)
; SGPRBlocks: 0
; VGPRBlocks: 0
; NumSGPRsForWavesPerEU: 1
; NumVGPRsForWavesPerEU: 1
; Occupancy: 16
; WaveLimiterHint : 0
; COMPUTE_PGM_RSRC2:SCRATCH_EN: 0
; COMPUTE_PGM_RSRC2:USER_SGPR: 2
; COMPUTE_PGM_RSRC2:TRAP_HANDLER: 0
; COMPUTE_PGM_RSRC2:TGID_X_EN: 1
; COMPUTE_PGM_RSRC2:TGID_Y_EN: 0
; COMPUTE_PGM_RSRC2:TGID_Z_EN: 0
; COMPUTE_PGM_RSRC2:TIDIG_COMP_CNT: 0
	.section	.text._ZN7rocprim17ROCPRIM_400000_NS6detail17trampoline_kernelINS0_14default_configENS1_25partition_config_selectorILNS1_17partition_subalgoE6EN6thrust23THRUST_200600_302600_NS5tupleIssNS7_9null_typeES9_S9_S9_S9_S9_S9_S9_EENS0_10empty_typeEbEEZZNS1_14partition_implILS5_6ELb0ES3_mNS7_12zip_iteratorINS8_INS7_6detail15normal_iteratorINS7_10device_ptrIsEEEESJ_S9_S9_S9_S9_S9_S9_S9_S9_EEEEPSB_SM_NS0_5tupleIJNSE_INS8_ISJ_NS7_16discard_iteratorINS7_11use_defaultEEES9_S9_S9_S9_S9_S9_S9_S9_EEEESB_EEENSN_IJSM_SM_EEESB_PlJNSF_9not_fun_tINSF_14equal_to_valueISA_EEEEEEE10hipError_tPvRmT3_T4_T5_T6_T7_T9_mT8_P12ihipStream_tbDpT10_ENKUlT_T0_E_clISt17integral_constantIbLb1EES1J_EEDaS1E_S1F_EUlS1E_E_NS1_11comp_targetILNS1_3genE10ELNS1_11target_archE1200ELNS1_3gpuE4ELNS1_3repE0EEENS1_30default_config_static_selectorELNS0_4arch9wavefront6targetE0EEEvT1_,"axG",@progbits,_ZN7rocprim17ROCPRIM_400000_NS6detail17trampoline_kernelINS0_14default_configENS1_25partition_config_selectorILNS1_17partition_subalgoE6EN6thrust23THRUST_200600_302600_NS5tupleIssNS7_9null_typeES9_S9_S9_S9_S9_S9_S9_EENS0_10empty_typeEbEEZZNS1_14partition_implILS5_6ELb0ES3_mNS7_12zip_iteratorINS8_INS7_6detail15normal_iteratorINS7_10device_ptrIsEEEESJ_S9_S9_S9_S9_S9_S9_S9_S9_EEEEPSB_SM_NS0_5tupleIJNSE_INS8_ISJ_NS7_16discard_iteratorINS7_11use_defaultEEES9_S9_S9_S9_S9_S9_S9_S9_EEEESB_EEENSN_IJSM_SM_EEESB_PlJNSF_9not_fun_tINSF_14equal_to_valueISA_EEEEEEE10hipError_tPvRmT3_T4_T5_T6_T7_T9_mT8_P12ihipStream_tbDpT10_ENKUlT_T0_E_clISt17integral_constantIbLb1EES1J_EEDaS1E_S1F_EUlS1E_E_NS1_11comp_targetILNS1_3genE10ELNS1_11target_archE1200ELNS1_3gpuE4ELNS1_3repE0EEENS1_30default_config_static_selectorELNS0_4arch9wavefront6targetE0EEEvT1_,comdat
	.protected	_ZN7rocprim17ROCPRIM_400000_NS6detail17trampoline_kernelINS0_14default_configENS1_25partition_config_selectorILNS1_17partition_subalgoE6EN6thrust23THRUST_200600_302600_NS5tupleIssNS7_9null_typeES9_S9_S9_S9_S9_S9_S9_EENS0_10empty_typeEbEEZZNS1_14partition_implILS5_6ELb0ES3_mNS7_12zip_iteratorINS8_INS7_6detail15normal_iteratorINS7_10device_ptrIsEEEESJ_S9_S9_S9_S9_S9_S9_S9_S9_EEEEPSB_SM_NS0_5tupleIJNSE_INS8_ISJ_NS7_16discard_iteratorINS7_11use_defaultEEES9_S9_S9_S9_S9_S9_S9_S9_EEEESB_EEENSN_IJSM_SM_EEESB_PlJNSF_9not_fun_tINSF_14equal_to_valueISA_EEEEEEE10hipError_tPvRmT3_T4_T5_T6_T7_T9_mT8_P12ihipStream_tbDpT10_ENKUlT_T0_E_clISt17integral_constantIbLb1EES1J_EEDaS1E_S1F_EUlS1E_E_NS1_11comp_targetILNS1_3genE10ELNS1_11target_archE1200ELNS1_3gpuE4ELNS1_3repE0EEENS1_30default_config_static_selectorELNS0_4arch9wavefront6targetE0EEEvT1_ ; -- Begin function _ZN7rocprim17ROCPRIM_400000_NS6detail17trampoline_kernelINS0_14default_configENS1_25partition_config_selectorILNS1_17partition_subalgoE6EN6thrust23THRUST_200600_302600_NS5tupleIssNS7_9null_typeES9_S9_S9_S9_S9_S9_S9_EENS0_10empty_typeEbEEZZNS1_14partition_implILS5_6ELb0ES3_mNS7_12zip_iteratorINS8_INS7_6detail15normal_iteratorINS7_10device_ptrIsEEEESJ_S9_S9_S9_S9_S9_S9_S9_S9_EEEEPSB_SM_NS0_5tupleIJNSE_INS8_ISJ_NS7_16discard_iteratorINS7_11use_defaultEEES9_S9_S9_S9_S9_S9_S9_S9_EEEESB_EEENSN_IJSM_SM_EEESB_PlJNSF_9not_fun_tINSF_14equal_to_valueISA_EEEEEEE10hipError_tPvRmT3_T4_T5_T6_T7_T9_mT8_P12ihipStream_tbDpT10_ENKUlT_T0_E_clISt17integral_constantIbLb1EES1J_EEDaS1E_S1F_EUlS1E_E_NS1_11comp_targetILNS1_3genE10ELNS1_11target_archE1200ELNS1_3gpuE4ELNS1_3repE0EEENS1_30default_config_static_selectorELNS0_4arch9wavefront6targetE0EEEvT1_
	.globl	_ZN7rocprim17ROCPRIM_400000_NS6detail17trampoline_kernelINS0_14default_configENS1_25partition_config_selectorILNS1_17partition_subalgoE6EN6thrust23THRUST_200600_302600_NS5tupleIssNS7_9null_typeES9_S9_S9_S9_S9_S9_S9_EENS0_10empty_typeEbEEZZNS1_14partition_implILS5_6ELb0ES3_mNS7_12zip_iteratorINS8_INS7_6detail15normal_iteratorINS7_10device_ptrIsEEEESJ_S9_S9_S9_S9_S9_S9_S9_S9_EEEEPSB_SM_NS0_5tupleIJNSE_INS8_ISJ_NS7_16discard_iteratorINS7_11use_defaultEEES9_S9_S9_S9_S9_S9_S9_S9_EEEESB_EEENSN_IJSM_SM_EEESB_PlJNSF_9not_fun_tINSF_14equal_to_valueISA_EEEEEEE10hipError_tPvRmT3_T4_T5_T6_T7_T9_mT8_P12ihipStream_tbDpT10_ENKUlT_T0_E_clISt17integral_constantIbLb1EES1J_EEDaS1E_S1F_EUlS1E_E_NS1_11comp_targetILNS1_3genE10ELNS1_11target_archE1200ELNS1_3gpuE4ELNS1_3repE0EEENS1_30default_config_static_selectorELNS0_4arch9wavefront6targetE0EEEvT1_
	.p2align	8
	.type	_ZN7rocprim17ROCPRIM_400000_NS6detail17trampoline_kernelINS0_14default_configENS1_25partition_config_selectorILNS1_17partition_subalgoE6EN6thrust23THRUST_200600_302600_NS5tupleIssNS7_9null_typeES9_S9_S9_S9_S9_S9_S9_EENS0_10empty_typeEbEEZZNS1_14partition_implILS5_6ELb0ES3_mNS7_12zip_iteratorINS8_INS7_6detail15normal_iteratorINS7_10device_ptrIsEEEESJ_S9_S9_S9_S9_S9_S9_S9_S9_EEEEPSB_SM_NS0_5tupleIJNSE_INS8_ISJ_NS7_16discard_iteratorINS7_11use_defaultEEES9_S9_S9_S9_S9_S9_S9_S9_EEEESB_EEENSN_IJSM_SM_EEESB_PlJNSF_9not_fun_tINSF_14equal_to_valueISA_EEEEEEE10hipError_tPvRmT3_T4_T5_T6_T7_T9_mT8_P12ihipStream_tbDpT10_ENKUlT_T0_E_clISt17integral_constantIbLb1EES1J_EEDaS1E_S1F_EUlS1E_E_NS1_11comp_targetILNS1_3genE10ELNS1_11target_archE1200ELNS1_3gpuE4ELNS1_3repE0EEENS1_30default_config_static_selectorELNS0_4arch9wavefront6targetE0EEEvT1_,@function
_ZN7rocprim17ROCPRIM_400000_NS6detail17trampoline_kernelINS0_14default_configENS1_25partition_config_selectorILNS1_17partition_subalgoE6EN6thrust23THRUST_200600_302600_NS5tupleIssNS7_9null_typeES9_S9_S9_S9_S9_S9_S9_EENS0_10empty_typeEbEEZZNS1_14partition_implILS5_6ELb0ES3_mNS7_12zip_iteratorINS8_INS7_6detail15normal_iteratorINS7_10device_ptrIsEEEESJ_S9_S9_S9_S9_S9_S9_S9_S9_EEEEPSB_SM_NS0_5tupleIJNSE_INS8_ISJ_NS7_16discard_iteratorINS7_11use_defaultEEES9_S9_S9_S9_S9_S9_S9_S9_EEEESB_EEENSN_IJSM_SM_EEESB_PlJNSF_9not_fun_tINSF_14equal_to_valueISA_EEEEEEE10hipError_tPvRmT3_T4_T5_T6_T7_T9_mT8_P12ihipStream_tbDpT10_ENKUlT_T0_E_clISt17integral_constantIbLb1EES1J_EEDaS1E_S1F_EUlS1E_E_NS1_11comp_targetILNS1_3genE10ELNS1_11target_archE1200ELNS1_3gpuE4ELNS1_3repE0EEENS1_30default_config_static_selectorELNS0_4arch9wavefront6targetE0EEEvT1_: ; @_ZN7rocprim17ROCPRIM_400000_NS6detail17trampoline_kernelINS0_14default_configENS1_25partition_config_selectorILNS1_17partition_subalgoE6EN6thrust23THRUST_200600_302600_NS5tupleIssNS7_9null_typeES9_S9_S9_S9_S9_S9_S9_EENS0_10empty_typeEbEEZZNS1_14partition_implILS5_6ELb0ES3_mNS7_12zip_iteratorINS8_INS7_6detail15normal_iteratorINS7_10device_ptrIsEEEESJ_S9_S9_S9_S9_S9_S9_S9_S9_EEEEPSB_SM_NS0_5tupleIJNSE_INS8_ISJ_NS7_16discard_iteratorINS7_11use_defaultEEES9_S9_S9_S9_S9_S9_S9_S9_EEEESB_EEENSN_IJSM_SM_EEESB_PlJNSF_9not_fun_tINSF_14equal_to_valueISA_EEEEEEE10hipError_tPvRmT3_T4_T5_T6_T7_T9_mT8_P12ihipStream_tbDpT10_ENKUlT_T0_E_clISt17integral_constantIbLb1EES1J_EEDaS1E_S1F_EUlS1E_E_NS1_11comp_targetILNS1_3genE10ELNS1_11target_archE1200ELNS1_3gpuE4ELNS1_3repE0EEENS1_30default_config_static_selectorELNS0_4arch9wavefront6targetE0EEEvT1_
; %bb.0:
	s_endpgm
	.section	.rodata,"a",@progbits
	.p2align	6, 0x0
	.amdhsa_kernel _ZN7rocprim17ROCPRIM_400000_NS6detail17trampoline_kernelINS0_14default_configENS1_25partition_config_selectorILNS1_17partition_subalgoE6EN6thrust23THRUST_200600_302600_NS5tupleIssNS7_9null_typeES9_S9_S9_S9_S9_S9_S9_EENS0_10empty_typeEbEEZZNS1_14partition_implILS5_6ELb0ES3_mNS7_12zip_iteratorINS8_INS7_6detail15normal_iteratorINS7_10device_ptrIsEEEESJ_S9_S9_S9_S9_S9_S9_S9_S9_EEEEPSB_SM_NS0_5tupleIJNSE_INS8_ISJ_NS7_16discard_iteratorINS7_11use_defaultEEES9_S9_S9_S9_S9_S9_S9_S9_EEEESB_EEENSN_IJSM_SM_EEESB_PlJNSF_9not_fun_tINSF_14equal_to_valueISA_EEEEEEE10hipError_tPvRmT3_T4_T5_T6_T7_T9_mT8_P12ihipStream_tbDpT10_ENKUlT_T0_E_clISt17integral_constantIbLb1EES1J_EEDaS1E_S1F_EUlS1E_E_NS1_11comp_targetILNS1_3genE10ELNS1_11target_archE1200ELNS1_3gpuE4ELNS1_3repE0EEENS1_30default_config_static_selectorELNS0_4arch9wavefront6targetE0EEEvT1_
		.amdhsa_group_segment_fixed_size 0
		.amdhsa_private_segment_fixed_size 0
		.amdhsa_kernarg_size 152
		.amdhsa_user_sgpr_count 2
		.amdhsa_user_sgpr_dispatch_ptr 0
		.amdhsa_user_sgpr_queue_ptr 0
		.amdhsa_user_sgpr_kernarg_segment_ptr 1
		.amdhsa_user_sgpr_dispatch_id 0
		.amdhsa_user_sgpr_private_segment_size 0
		.amdhsa_wavefront_size32 1
		.amdhsa_uses_dynamic_stack 0
		.amdhsa_enable_private_segment 0
		.amdhsa_system_sgpr_workgroup_id_x 1
		.amdhsa_system_sgpr_workgroup_id_y 0
		.amdhsa_system_sgpr_workgroup_id_z 0
		.amdhsa_system_sgpr_workgroup_info 0
		.amdhsa_system_vgpr_workitem_id 0
		.amdhsa_next_free_vgpr 1
		.amdhsa_next_free_sgpr 1
		.amdhsa_reserve_vcc 0
		.amdhsa_float_round_mode_32 0
		.amdhsa_float_round_mode_16_64 0
		.amdhsa_float_denorm_mode_32 3
		.amdhsa_float_denorm_mode_16_64 3
		.amdhsa_fp16_overflow 0
		.amdhsa_workgroup_processor_mode 1
		.amdhsa_memory_ordered 1
		.amdhsa_forward_progress 1
		.amdhsa_inst_pref_size 1
		.amdhsa_round_robin_scheduling 0
		.amdhsa_exception_fp_ieee_invalid_op 0
		.amdhsa_exception_fp_denorm_src 0
		.amdhsa_exception_fp_ieee_div_zero 0
		.amdhsa_exception_fp_ieee_overflow 0
		.amdhsa_exception_fp_ieee_underflow 0
		.amdhsa_exception_fp_ieee_inexact 0
		.amdhsa_exception_int_div_zero 0
	.end_amdhsa_kernel
	.section	.text._ZN7rocprim17ROCPRIM_400000_NS6detail17trampoline_kernelINS0_14default_configENS1_25partition_config_selectorILNS1_17partition_subalgoE6EN6thrust23THRUST_200600_302600_NS5tupleIssNS7_9null_typeES9_S9_S9_S9_S9_S9_S9_EENS0_10empty_typeEbEEZZNS1_14partition_implILS5_6ELb0ES3_mNS7_12zip_iteratorINS8_INS7_6detail15normal_iteratorINS7_10device_ptrIsEEEESJ_S9_S9_S9_S9_S9_S9_S9_S9_EEEEPSB_SM_NS0_5tupleIJNSE_INS8_ISJ_NS7_16discard_iteratorINS7_11use_defaultEEES9_S9_S9_S9_S9_S9_S9_S9_EEEESB_EEENSN_IJSM_SM_EEESB_PlJNSF_9not_fun_tINSF_14equal_to_valueISA_EEEEEEE10hipError_tPvRmT3_T4_T5_T6_T7_T9_mT8_P12ihipStream_tbDpT10_ENKUlT_T0_E_clISt17integral_constantIbLb1EES1J_EEDaS1E_S1F_EUlS1E_E_NS1_11comp_targetILNS1_3genE10ELNS1_11target_archE1200ELNS1_3gpuE4ELNS1_3repE0EEENS1_30default_config_static_selectorELNS0_4arch9wavefront6targetE0EEEvT1_,"axG",@progbits,_ZN7rocprim17ROCPRIM_400000_NS6detail17trampoline_kernelINS0_14default_configENS1_25partition_config_selectorILNS1_17partition_subalgoE6EN6thrust23THRUST_200600_302600_NS5tupleIssNS7_9null_typeES9_S9_S9_S9_S9_S9_S9_EENS0_10empty_typeEbEEZZNS1_14partition_implILS5_6ELb0ES3_mNS7_12zip_iteratorINS8_INS7_6detail15normal_iteratorINS7_10device_ptrIsEEEESJ_S9_S9_S9_S9_S9_S9_S9_S9_EEEEPSB_SM_NS0_5tupleIJNSE_INS8_ISJ_NS7_16discard_iteratorINS7_11use_defaultEEES9_S9_S9_S9_S9_S9_S9_S9_EEEESB_EEENSN_IJSM_SM_EEESB_PlJNSF_9not_fun_tINSF_14equal_to_valueISA_EEEEEEE10hipError_tPvRmT3_T4_T5_T6_T7_T9_mT8_P12ihipStream_tbDpT10_ENKUlT_T0_E_clISt17integral_constantIbLb1EES1J_EEDaS1E_S1F_EUlS1E_E_NS1_11comp_targetILNS1_3genE10ELNS1_11target_archE1200ELNS1_3gpuE4ELNS1_3repE0EEENS1_30default_config_static_selectorELNS0_4arch9wavefront6targetE0EEEvT1_,comdat
.Lfunc_end2058:
	.size	_ZN7rocprim17ROCPRIM_400000_NS6detail17trampoline_kernelINS0_14default_configENS1_25partition_config_selectorILNS1_17partition_subalgoE6EN6thrust23THRUST_200600_302600_NS5tupleIssNS7_9null_typeES9_S9_S9_S9_S9_S9_S9_EENS0_10empty_typeEbEEZZNS1_14partition_implILS5_6ELb0ES3_mNS7_12zip_iteratorINS8_INS7_6detail15normal_iteratorINS7_10device_ptrIsEEEESJ_S9_S9_S9_S9_S9_S9_S9_S9_EEEEPSB_SM_NS0_5tupleIJNSE_INS8_ISJ_NS7_16discard_iteratorINS7_11use_defaultEEES9_S9_S9_S9_S9_S9_S9_S9_EEEESB_EEENSN_IJSM_SM_EEESB_PlJNSF_9not_fun_tINSF_14equal_to_valueISA_EEEEEEE10hipError_tPvRmT3_T4_T5_T6_T7_T9_mT8_P12ihipStream_tbDpT10_ENKUlT_T0_E_clISt17integral_constantIbLb1EES1J_EEDaS1E_S1F_EUlS1E_E_NS1_11comp_targetILNS1_3genE10ELNS1_11target_archE1200ELNS1_3gpuE4ELNS1_3repE0EEENS1_30default_config_static_selectorELNS0_4arch9wavefront6targetE0EEEvT1_, .Lfunc_end2058-_ZN7rocprim17ROCPRIM_400000_NS6detail17trampoline_kernelINS0_14default_configENS1_25partition_config_selectorILNS1_17partition_subalgoE6EN6thrust23THRUST_200600_302600_NS5tupleIssNS7_9null_typeES9_S9_S9_S9_S9_S9_S9_EENS0_10empty_typeEbEEZZNS1_14partition_implILS5_6ELb0ES3_mNS7_12zip_iteratorINS8_INS7_6detail15normal_iteratorINS7_10device_ptrIsEEEESJ_S9_S9_S9_S9_S9_S9_S9_S9_EEEEPSB_SM_NS0_5tupleIJNSE_INS8_ISJ_NS7_16discard_iteratorINS7_11use_defaultEEES9_S9_S9_S9_S9_S9_S9_S9_EEEESB_EEENSN_IJSM_SM_EEESB_PlJNSF_9not_fun_tINSF_14equal_to_valueISA_EEEEEEE10hipError_tPvRmT3_T4_T5_T6_T7_T9_mT8_P12ihipStream_tbDpT10_ENKUlT_T0_E_clISt17integral_constantIbLb1EES1J_EEDaS1E_S1F_EUlS1E_E_NS1_11comp_targetILNS1_3genE10ELNS1_11target_archE1200ELNS1_3gpuE4ELNS1_3repE0EEENS1_30default_config_static_selectorELNS0_4arch9wavefront6targetE0EEEvT1_
                                        ; -- End function
	.set _ZN7rocprim17ROCPRIM_400000_NS6detail17trampoline_kernelINS0_14default_configENS1_25partition_config_selectorILNS1_17partition_subalgoE6EN6thrust23THRUST_200600_302600_NS5tupleIssNS7_9null_typeES9_S9_S9_S9_S9_S9_S9_EENS0_10empty_typeEbEEZZNS1_14partition_implILS5_6ELb0ES3_mNS7_12zip_iteratorINS8_INS7_6detail15normal_iteratorINS7_10device_ptrIsEEEESJ_S9_S9_S9_S9_S9_S9_S9_S9_EEEEPSB_SM_NS0_5tupleIJNSE_INS8_ISJ_NS7_16discard_iteratorINS7_11use_defaultEEES9_S9_S9_S9_S9_S9_S9_S9_EEEESB_EEENSN_IJSM_SM_EEESB_PlJNSF_9not_fun_tINSF_14equal_to_valueISA_EEEEEEE10hipError_tPvRmT3_T4_T5_T6_T7_T9_mT8_P12ihipStream_tbDpT10_ENKUlT_T0_E_clISt17integral_constantIbLb1EES1J_EEDaS1E_S1F_EUlS1E_E_NS1_11comp_targetILNS1_3genE10ELNS1_11target_archE1200ELNS1_3gpuE4ELNS1_3repE0EEENS1_30default_config_static_selectorELNS0_4arch9wavefront6targetE0EEEvT1_.num_vgpr, 0
	.set _ZN7rocprim17ROCPRIM_400000_NS6detail17trampoline_kernelINS0_14default_configENS1_25partition_config_selectorILNS1_17partition_subalgoE6EN6thrust23THRUST_200600_302600_NS5tupleIssNS7_9null_typeES9_S9_S9_S9_S9_S9_S9_EENS0_10empty_typeEbEEZZNS1_14partition_implILS5_6ELb0ES3_mNS7_12zip_iteratorINS8_INS7_6detail15normal_iteratorINS7_10device_ptrIsEEEESJ_S9_S9_S9_S9_S9_S9_S9_S9_EEEEPSB_SM_NS0_5tupleIJNSE_INS8_ISJ_NS7_16discard_iteratorINS7_11use_defaultEEES9_S9_S9_S9_S9_S9_S9_S9_EEEESB_EEENSN_IJSM_SM_EEESB_PlJNSF_9not_fun_tINSF_14equal_to_valueISA_EEEEEEE10hipError_tPvRmT3_T4_T5_T6_T7_T9_mT8_P12ihipStream_tbDpT10_ENKUlT_T0_E_clISt17integral_constantIbLb1EES1J_EEDaS1E_S1F_EUlS1E_E_NS1_11comp_targetILNS1_3genE10ELNS1_11target_archE1200ELNS1_3gpuE4ELNS1_3repE0EEENS1_30default_config_static_selectorELNS0_4arch9wavefront6targetE0EEEvT1_.num_agpr, 0
	.set _ZN7rocprim17ROCPRIM_400000_NS6detail17trampoline_kernelINS0_14default_configENS1_25partition_config_selectorILNS1_17partition_subalgoE6EN6thrust23THRUST_200600_302600_NS5tupleIssNS7_9null_typeES9_S9_S9_S9_S9_S9_S9_EENS0_10empty_typeEbEEZZNS1_14partition_implILS5_6ELb0ES3_mNS7_12zip_iteratorINS8_INS7_6detail15normal_iteratorINS7_10device_ptrIsEEEESJ_S9_S9_S9_S9_S9_S9_S9_S9_EEEEPSB_SM_NS0_5tupleIJNSE_INS8_ISJ_NS7_16discard_iteratorINS7_11use_defaultEEES9_S9_S9_S9_S9_S9_S9_S9_EEEESB_EEENSN_IJSM_SM_EEESB_PlJNSF_9not_fun_tINSF_14equal_to_valueISA_EEEEEEE10hipError_tPvRmT3_T4_T5_T6_T7_T9_mT8_P12ihipStream_tbDpT10_ENKUlT_T0_E_clISt17integral_constantIbLb1EES1J_EEDaS1E_S1F_EUlS1E_E_NS1_11comp_targetILNS1_3genE10ELNS1_11target_archE1200ELNS1_3gpuE4ELNS1_3repE0EEENS1_30default_config_static_selectorELNS0_4arch9wavefront6targetE0EEEvT1_.numbered_sgpr, 0
	.set _ZN7rocprim17ROCPRIM_400000_NS6detail17trampoline_kernelINS0_14default_configENS1_25partition_config_selectorILNS1_17partition_subalgoE6EN6thrust23THRUST_200600_302600_NS5tupleIssNS7_9null_typeES9_S9_S9_S9_S9_S9_S9_EENS0_10empty_typeEbEEZZNS1_14partition_implILS5_6ELb0ES3_mNS7_12zip_iteratorINS8_INS7_6detail15normal_iteratorINS7_10device_ptrIsEEEESJ_S9_S9_S9_S9_S9_S9_S9_S9_EEEEPSB_SM_NS0_5tupleIJNSE_INS8_ISJ_NS7_16discard_iteratorINS7_11use_defaultEEES9_S9_S9_S9_S9_S9_S9_S9_EEEESB_EEENSN_IJSM_SM_EEESB_PlJNSF_9not_fun_tINSF_14equal_to_valueISA_EEEEEEE10hipError_tPvRmT3_T4_T5_T6_T7_T9_mT8_P12ihipStream_tbDpT10_ENKUlT_T0_E_clISt17integral_constantIbLb1EES1J_EEDaS1E_S1F_EUlS1E_E_NS1_11comp_targetILNS1_3genE10ELNS1_11target_archE1200ELNS1_3gpuE4ELNS1_3repE0EEENS1_30default_config_static_selectorELNS0_4arch9wavefront6targetE0EEEvT1_.num_named_barrier, 0
	.set _ZN7rocprim17ROCPRIM_400000_NS6detail17trampoline_kernelINS0_14default_configENS1_25partition_config_selectorILNS1_17partition_subalgoE6EN6thrust23THRUST_200600_302600_NS5tupleIssNS7_9null_typeES9_S9_S9_S9_S9_S9_S9_EENS0_10empty_typeEbEEZZNS1_14partition_implILS5_6ELb0ES3_mNS7_12zip_iteratorINS8_INS7_6detail15normal_iteratorINS7_10device_ptrIsEEEESJ_S9_S9_S9_S9_S9_S9_S9_S9_EEEEPSB_SM_NS0_5tupleIJNSE_INS8_ISJ_NS7_16discard_iteratorINS7_11use_defaultEEES9_S9_S9_S9_S9_S9_S9_S9_EEEESB_EEENSN_IJSM_SM_EEESB_PlJNSF_9not_fun_tINSF_14equal_to_valueISA_EEEEEEE10hipError_tPvRmT3_T4_T5_T6_T7_T9_mT8_P12ihipStream_tbDpT10_ENKUlT_T0_E_clISt17integral_constantIbLb1EES1J_EEDaS1E_S1F_EUlS1E_E_NS1_11comp_targetILNS1_3genE10ELNS1_11target_archE1200ELNS1_3gpuE4ELNS1_3repE0EEENS1_30default_config_static_selectorELNS0_4arch9wavefront6targetE0EEEvT1_.private_seg_size, 0
	.set _ZN7rocprim17ROCPRIM_400000_NS6detail17trampoline_kernelINS0_14default_configENS1_25partition_config_selectorILNS1_17partition_subalgoE6EN6thrust23THRUST_200600_302600_NS5tupleIssNS7_9null_typeES9_S9_S9_S9_S9_S9_S9_EENS0_10empty_typeEbEEZZNS1_14partition_implILS5_6ELb0ES3_mNS7_12zip_iteratorINS8_INS7_6detail15normal_iteratorINS7_10device_ptrIsEEEESJ_S9_S9_S9_S9_S9_S9_S9_S9_EEEEPSB_SM_NS0_5tupleIJNSE_INS8_ISJ_NS7_16discard_iteratorINS7_11use_defaultEEES9_S9_S9_S9_S9_S9_S9_S9_EEEESB_EEENSN_IJSM_SM_EEESB_PlJNSF_9not_fun_tINSF_14equal_to_valueISA_EEEEEEE10hipError_tPvRmT3_T4_T5_T6_T7_T9_mT8_P12ihipStream_tbDpT10_ENKUlT_T0_E_clISt17integral_constantIbLb1EES1J_EEDaS1E_S1F_EUlS1E_E_NS1_11comp_targetILNS1_3genE10ELNS1_11target_archE1200ELNS1_3gpuE4ELNS1_3repE0EEENS1_30default_config_static_selectorELNS0_4arch9wavefront6targetE0EEEvT1_.uses_vcc, 0
	.set _ZN7rocprim17ROCPRIM_400000_NS6detail17trampoline_kernelINS0_14default_configENS1_25partition_config_selectorILNS1_17partition_subalgoE6EN6thrust23THRUST_200600_302600_NS5tupleIssNS7_9null_typeES9_S9_S9_S9_S9_S9_S9_EENS0_10empty_typeEbEEZZNS1_14partition_implILS5_6ELb0ES3_mNS7_12zip_iteratorINS8_INS7_6detail15normal_iteratorINS7_10device_ptrIsEEEESJ_S9_S9_S9_S9_S9_S9_S9_S9_EEEEPSB_SM_NS0_5tupleIJNSE_INS8_ISJ_NS7_16discard_iteratorINS7_11use_defaultEEES9_S9_S9_S9_S9_S9_S9_S9_EEEESB_EEENSN_IJSM_SM_EEESB_PlJNSF_9not_fun_tINSF_14equal_to_valueISA_EEEEEEE10hipError_tPvRmT3_T4_T5_T6_T7_T9_mT8_P12ihipStream_tbDpT10_ENKUlT_T0_E_clISt17integral_constantIbLb1EES1J_EEDaS1E_S1F_EUlS1E_E_NS1_11comp_targetILNS1_3genE10ELNS1_11target_archE1200ELNS1_3gpuE4ELNS1_3repE0EEENS1_30default_config_static_selectorELNS0_4arch9wavefront6targetE0EEEvT1_.uses_flat_scratch, 0
	.set _ZN7rocprim17ROCPRIM_400000_NS6detail17trampoline_kernelINS0_14default_configENS1_25partition_config_selectorILNS1_17partition_subalgoE6EN6thrust23THRUST_200600_302600_NS5tupleIssNS7_9null_typeES9_S9_S9_S9_S9_S9_S9_EENS0_10empty_typeEbEEZZNS1_14partition_implILS5_6ELb0ES3_mNS7_12zip_iteratorINS8_INS7_6detail15normal_iteratorINS7_10device_ptrIsEEEESJ_S9_S9_S9_S9_S9_S9_S9_S9_EEEEPSB_SM_NS0_5tupleIJNSE_INS8_ISJ_NS7_16discard_iteratorINS7_11use_defaultEEES9_S9_S9_S9_S9_S9_S9_S9_EEEESB_EEENSN_IJSM_SM_EEESB_PlJNSF_9not_fun_tINSF_14equal_to_valueISA_EEEEEEE10hipError_tPvRmT3_T4_T5_T6_T7_T9_mT8_P12ihipStream_tbDpT10_ENKUlT_T0_E_clISt17integral_constantIbLb1EES1J_EEDaS1E_S1F_EUlS1E_E_NS1_11comp_targetILNS1_3genE10ELNS1_11target_archE1200ELNS1_3gpuE4ELNS1_3repE0EEENS1_30default_config_static_selectorELNS0_4arch9wavefront6targetE0EEEvT1_.has_dyn_sized_stack, 0
	.set _ZN7rocprim17ROCPRIM_400000_NS6detail17trampoline_kernelINS0_14default_configENS1_25partition_config_selectorILNS1_17partition_subalgoE6EN6thrust23THRUST_200600_302600_NS5tupleIssNS7_9null_typeES9_S9_S9_S9_S9_S9_S9_EENS0_10empty_typeEbEEZZNS1_14partition_implILS5_6ELb0ES3_mNS7_12zip_iteratorINS8_INS7_6detail15normal_iteratorINS7_10device_ptrIsEEEESJ_S9_S9_S9_S9_S9_S9_S9_S9_EEEEPSB_SM_NS0_5tupleIJNSE_INS8_ISJ_NS7_16discard_iteratorINS7_11use_defaultEEES9_S9_S9_S9_S9_S9_S9_S9_EEEESB_EEENSN_IJSM_SM_EEESB_PlJNSF_9not_fun_tINSF_14equal_to_valueISA_EEEEEEE10hipError_tPvRmT3_T4_T5_T6_T7_T9_mT8_P12ihipStream_tbDpT10_ENKUlT_T0_E_clISt17integral_constantIbLb1EES1J_EEDaS1E_S1F_EUlS1E_E_NS1_11comp_targetILNS1_3genE10ELNS1_11target_archE1200ELNS1_3gpuE4ELNS1_3repE0EEENS1_30default_config_static_selectorELNS0_4arch9wavefront6targetE0EEEvT1_.has_recursion, 0
	.set _ZN7rocprim17ROCPRIM_400000_NS6detail17trampoline_kernelINS0_14default_configENS1_25partition_config_selectorILNS1_17partition_subalgoE6EN6thrust23THRUST_200600_302600_NS5tupleIssNS7_9null_typeES9_S9_S9_S9_S9_S9_S9_EENS0_10empty_typeEbEEZZNS1_14partition_implILS5_6ELb0ES3_mNS7_12zip_iteratorINS8_INS7_6detail15normal_iteratorINS7_10device_ptrIsEEEESJ_S9_S9_S9_S9_S9_S9_S9_S9_EEEEPSB_SM_NS0_5tupleIJNSE_INS8_ISJ_NS7_16discard_iteratorINS7_11use_defaultEEES9_S9_S9_S9_S9_S9_S9_S9_EEEESB_EEENSN_IJSM_SM_EEESB_PlJNSF_9not_fun_tINSF_14equal_to_valueISA_EEEEEEE10hipError_tPvRmT3_T4_T5_T6_T7_T9_mT8_P12ihipStream_tbDpT10_ENKUlT_T0_E_clISt17integral_constantIbLb1EES1J_EEDaS1E_S1F_EUlS1E_E_NS1_11comp_targetILNS1_3genE10ELNS1_11target_archE1200ELNS1_3gpuE4ELNS1_3repE0EEENS1_30default_config_static_selectorELNS0_4arch9wavefront6targetE0EEEvT1_.has_indirect_call, 0
	.section	.AMDGPU.csdata,"",@progbits
; Kernel info:
; codeLenInByte = 4
; TotalNumSgprs: 0
; NumVgprs: 0
; ScratchSize: 0
; MemoryBound: 0
; FloatMode: 240
; IeeeMode: 1
; LDSByteSize: 0 bytes/workgroup (compile time only)
; SGPRBlocks: 0
; VGPRBlocks: 0
; NumSGPRsForWavesPerEU: 1
; NumVGPRsForWavesPerEU: 1
; Occupancy: 16
; WaveLimiterHint : 0
; COMPUTE_PGM_RSRC2:SCRATCH_EN: 0
; COMPUTE_PGM_RSRC2:USER_SGPR: 2
; COMPUTE_PGM_RSRC2:TRAP_HANDLER: 0
; COMPUTE_PGM_RSRC2:TGID_X_EN: 1
; COMPUTE_PGM_RSRC2:TGID_Y_EN: 0
; COMPUTE_PGM_RSRC2:TGID_Z_EN: 0
; COMPUTE_PGM_RSRC2:TIDIG_COMP_CNT: 0
	.section	.text._ZN7rocprim17ROCPRIM_400000_NS6detail17trampoline_kernelINS0_14default_configENS1_25partition_config_selectorILNS1_17partition_subalgoE6EN6thrust23THRUST_200600_302600_NS5tupleIssNS7_9null_typeES9_S9_S9_S9_S9_S9_S9_EENS0_10empty_typeEbEEZZNS1_14partition_implILS5_6ELb0ES3_mNS7_12zip_iteratorINS8_INS7_6detail15normal_iteratorINS7_10device_ptrIsEEEESJ_S9_S9_S9_S9_S9_S9_S9_S9_EEEEPSB_SM_NS0_5tupleIJNSE_INS8_ISJ_NS7_16discard_iteratorINS7_11use_defaultEEES9_S9_S9_S9_S9_S9_S9_S9_EEEESB_EEENSN_IJSM_SM_EEESB_PlJNSF_9not_fun_tINSF_14equal_to_valueISA_EEEEEEE10hipError_tPvRmT3_T4_T5_T6_T7_T9_mT8_P12ihipStream_tbDpT10_ENKUlT_T0_E_clISt17integral_constantIbLb1EES1J_EEDaS1E_S1F_EUlS1E_E_NS1_11comp_targetILNS1_3genE9ELNS1_11target_archE1100ELNS1_3gpuE3ELNS1_3repE0EEENS1_30default_config_static_selectorELNS0_4arch9wavefront6targetE0EEEvT1_,"axG",@progbits,_ZN7rocprim17ROCPRIM_400000_NS6detail17trampoline_kernelINS0_14default_configENS1_25partition_config_selectorILNS1_17partition_subalgoE6EN6thrust23THRUST_200600_302600_NS5tupleIssNS7_9null_typeES9_S9_S9_S9_S9_S9_S9_EENS0_10empty_typeEbEEZZNS1_14partition_implILS5_6ELb0ES3_mNS7_12zip_iteratorINS8_INS7_6detail15normal_iteratorINS7_10device_ptrIsEEEESJ_S9_S9_S9_S9_S9_S9_S9_S9_EEEEPSB_SM_NS0_5tupleIJNSE_INS8_ISJ_NS7_16discard_iteratorINS7_11use_defaultEEES9_S9_S9_S9_S9_S9_S9_S9_EEEESB_EEENSN_IJSM_SM_EEESB_PlJNSF_9not_fun_tINSF_14equal_to_valueISA_EEEEEEE10hipError_tPvRmT3_T4_T5_T6_T7_T9_mT8_P12ihipStream_tbDpT10_ENKUlT_T0_E_clISt17integral_constantIbLb1EES1J_EEDaS1E_S1F_EUlS1E_E_NS1_11comp_targetILNS1_3genE9ELNS1_11target_archE1100ELNS1_3gpuE3ELNS1_3repE0EEENS1_30default_config_static_selectorELNS0_4arch9wavefront6targetE0EEEvT1_,comdat
	.protected	_ZN7rocprim17ROCPRIM_400000_NS6detail17trampoline_kernelINS0_14default_configENS1_25partition_config_selectorILNS1_17partition_subalgoE6EN6thrust23THRUST_200600_302600_NS5tupleIssNS7_9null_typeES9_S9_S9_S9_S9_S9_S9_EENS0_10empty_typeEbEEZZNS1_14partition_implILS5_6ELb0ES3_mNS7_12zip_iteratorINS8_INS7_6detail15normal_iteratorINS7_10device_ptrIsEEEESJ_S9_S9_S9_S9_S9_S9_S9_S9_EEEEPSB_SM_NS0_5tupleIJNSE_INS8_ISJ_NS7_16discard_iteratorINS7_11use_defaultEEES9_S9_S9_S9_S9_S9_S9_S9_EEEESB_EEENSN_IJSM_SM_EEESB_PlJNSF_9not_fun_tINSF_14equal_to_valueISA_EEEEEEE10hipError_tPvRmT3_T4_T5_T6_T7_T9_mT8_P12ihipStream_tbDpT10_ENKUlT_T0_E_clISt17integral_constantIbLb1EES1J_EEDaS1E_S1F_EUlS1E_E_NS1_11comp_targetILNS1_3genE9ELNS1_11target_archE1100ELNS1_3gpuE3ELNS1_3repE0EEENS1_30default_config_static_selectorELNS0_4arch9wavefront6targetE0EEEvT1_ ; -- Begin function _ZN7rocprim17ROCPRIM_400000_NS6detail17trampoline_kernelINS0_14default_configENS1_25partition_config_selectorILNS1_17partition_subalgoE6EN6thrust23THRUST_200600_302600_NS5tupleIssNS7_9null_typeES9_S9_S9_S9_S9_S9_S9_EENS0_10empty_typeEbEEZZNS1_14partition_implILS5_6ELb0ES3_mNS7_12zip_iteratorINS8_INS7_6detail15normal_iteratorINS7_10device_ptrIsEEEESJ_S9_S9_S9_S9_S9_S9_S9_S9_EEEEPSB_SM_NS0_5tupleIJNSE_INS8_ISJ_NS7_16discard_iteratorINS7_11use_defaultEEES9_S9_S9_S9_S9_S9_S9_S9_EEEESB_EEENSN_IJSM_SM_EEESB_PlJNSF_9not_fun_tINSF_14equal_to_valueISA_EEEEEEE10hipError_tPvRmT3_T4_T5_T6_T7_T9_mT8_P12ihipStream_tbDpT10_ENKUlT_T0_E_clISt17integral_constantIbLb1EES1J_EEDaS1E_S1F_EUlS1E_E_NS1_11comp_targetILNS1_3genE9ELNS1_11target_archE1100ELNS1_3gpuE3ELNS1_3repE0EEENS1_30default_config_static_selectorELNS0_4arch9wavefront6targetE0EEEvT1_
	.globl	_ZN7rocprim17ROCPRIM_400000_NS6detail17trampoline_kernelINS0_14default_configENS1_25partition_config_selectorILNS1_17partition_subalgoE6EN6thrust23THRUST_200600_302600_NS5tupleIssNS7_9null_typeES9_S9_S9_S9_S9_S9_S9_EENS0_10empty_typeEbEEZZNS1_14partition_implILS5_6ELb0ES3_mNS7_12zip_iteratorINS8_INS7_6detail15normal_iteratorINS7_10device_ptrIsEEEESJ_S9_S9_S9_S9_S9_S9_S9_S9_EEEEPSB_SM_NS0_5tupleIJNSE_INS8_ISJ_NS7_16discard_iteratorINS7_11use_defaultEEES9_S9_S9_S9_S9_S9_S9_S9_EEEESB_EEENSN_IJSM_SM_EEESB_PlJNSF_9not_fun_tINSF_14equal_to_valueISA_EEEEEEE10hipError_tPvRmT3_T4_T5_T6_T7_T9_mT8_P12ihipStream_tbDpT10_ENKUlT_T0_E_clISt17integral_constantIbLb1EES1J_EEDaS1E_S1F_EUlS1E_E_NS1_11comp_targetILNS1_3genE9ELNS1_11target_archE1100ELNS1_3gpuE3ELNS1_3repE0EEENS1_30default_config_static_selectorELNS0_4arch9wavefront6targetE0EEEvT1_
	.p2align	8
	.type	_ZN7rocprim17ROCPRIM_400000_NS6detail17trampoline_kernelINS0_14default_configENS1_25partition_config_selectorILNS1_17partition_subalgoE6EN6thrust23THRUST_200600_302600_NS5tupleIssNS7_9null_typeES9_S9_S9_S9_S9_S9_S9_EENS0_10empty_typeEbEEZZNS1_14partition_implILS5_6ELb0ES3_mNS7_12zip_iteratorINS8_INS7_6detail15normal_iteratorINS7_10device_ptrIsEEEESJ_S9_S9_S9_S9_S9_S9_S9_S9_EEEEPSB_SM_NS0_5tupleIJNSE_INS8_ISJ_NS7_16discard_iteratorINS7_11use_defaultEEES9_S9_S9_S9_S9_S9_S9_S9_EEEESB_EEENSN_IJSM_SM_EEESB_PlJNSF_9not_fun_tINSF_14equal_to_valueISA_EEEEEEE10hipError_tPvRmT3_T4_T5_T6_T7_T9_mT8_P12ihipStream_tbDpT10_ENKUlT_T0_E_clISt17integral_constantIbLb1EES1J_EEDaS1E_S1F_EUlS1E_E_NS1_11comp_targetILNS1_3genE9ELNS1_11target_archE1100ELNS1_3gpuE3ELNS1_3repE0EEENS1_30default_config_static_selectorELNS0_4arch9wavefront6targetE0EEEvT1_,@function
_ZN7rocprim17ROCPRIM_400000_NS6detail17trampoline_kernelINS0_14default_configENS1_25partition_config_selectorILNS1_17partition_subalgoE6EN6thrust23THRUST_200600_302600_NS5tupleIssNS7_9null_typeES9_S9_S9_S9_S9_S9_S9_EENS0_10empty_typeEbEEZZNS1_14partition_implILS5_6ELb0ES3_mNS7_12zip_iteratorINS8_INS7_6detail15normal_iteratorINS7_10device_ptrIsEEEESJ_S9_S9_S9_S9_S9_S9_S9_S9_EEEEPSB_SM_NS0_5tupleIJNSE_INS8_ISJ_NS7_16discard_iteratorINS7_11use_defaultEEES9_S9_S9_S9_S9_S9_S9_S9_EEEESB_EEENSN_IJSM_SM_EEESB_PlJNSF_9not_fun_tINSF_14equal_to_valueISA_EEEEEEE10hipError_tPvRmT3_T4_T5_T6_T7_T9_mT8_P12ihipStream_tbDpT10_ENKUlT_T0_E_clISt17integral_constantIbLb1EES1J_EEDaS1E_S1F_EUlS1E_E_NS1_11comp_targetILNS1_3genE9ELNS1_11target_archE1100ELNS1_3gpuE3ELNS1_3repE0EEENS1_30default_config_static_selectorELNS0_4arch9wavefront6targetE0EEEvT1_: ; @_ZN7rocprim17ROCPRIM_400000_NS6detail17trampoline_kernelINS0_14default_configENS1_25partition_config_selectorILNS1_17partition_subalgoE6EN6thrust23THRUST_200600_302600_NS5tupleIssNS7_9null_typeES9_S9_S9_S9_S9_S9_S9_EENS0_10empty_typeEbEEZZNS1_14partition_implILS5_6ELb0ES3_mNS7_12zip_iteratorINS8_INS7_6detail15normal_iteratorINS7_10device_ptrIsEEEESJ_S9_S9_S9_S9_S9_S9_S9_S9_EEEEPSB_SM_NS0_5tupleIJNSE_INS8_ISJ_NS7_16discard_iteratorINS7_11use_defaultEEES9_S9_S9_S9_S9_S9_S9_S9_EEEESB_EEENSN_IJSM_SM_EEESB_PlJNSF_9not_fun_tINSF_14equal_to_valueISA_EEEEEEE10hipError_tPvRmT3_T4_T5_T6_T7_T9_mT8_P12ihipStream_tbDpT10_ENKUlT_T0_E_clISt17integral_constantIbLb1EES1J_EEDaS1E_S1F_EUlS1E_E_NS1_11comp_targetILNS1_3genE9ELNS1_11target_archE1100ELNS1_3gpuE3ELNS1_3repE0EEENS1_30default_config_static_selectorELNS0_4arch9wavefront6targetE0EEEvT1_
; %bb.0:
	.section	.rodata,"a",@progbits
	.p2align	6, 0x0
	.amdhsa_kernel _ZN7rocprim17ROCPRIM_400000_NS6detail17trampoline_kernelINS0_14default_configENS1_25partition_config_selectorILNS1_17partition_subalgoE6EN6thrust23THRUST_200600_302600_NS5tupleIssNS7_9null_typeES9_S9_S9_S9_S9_S9_S9_EENS0_10empty_typeEbEEZZNS1_14partition_implILS5_6ELb0ES3_mNS7_12zip_iteratorINS8_INS7_6detail15normal_iteratorINS7_10device_ptrIsEEEESJ_S9_S9_S9_S9_S9_S9_S9_S9_EEEEPSB_SM_NS0_5tupleIJNSE_INS8_ISJ_NS7_16discard_iteratorINS7_11use_defaultEEES9_S9_S9_S9_S9_S9_S9_S9_EEEESB_EEENSN_IJSM_SM_EEESB_PlJNSF_9not_fun_tINSF_14equal_to_valueISA_EEEEEEE10hipError_tPvRmT3_T4_T5_T6_T7_T9_mT8_P12ihipStream_tbDpT10_ENKUlT_T0_E_clISt17integral_constantIbLb1EES1J_EEDaS1E_S1F_EUlS1E_E_NS1_11comp_targetILNS1_3genE9ELNS1_11target_archE1100ELNS1_3gpuE3ELNS1_3repE0EEENS1_30default_config_static_selectorELNS0_4arch9wavefront6targetE0EEEvT1_
		.amdhsa_group_segment_fixed_size 0
		.amdhsa_private_segment_fixed_size 0
		.amdhsa_kernarg_size 152
		.amdhsa_user_sgpr_count 2
		.amdhsa_user_sgpr_dispatch_ptr 0
		.amdhsa_user_sgpr_queue_ptr 0
		.amdhsa_user_sgpr_kernarg_segment_ptr 1
		.amdhsa_user_sgpr_dispatch_id 0
		.amdhsa_user_sgpr_private_segment_size 0
		.amdhsa_wavefront_size32 1
		.amdhsa_uses_dynamic_stack 0
		.amdhsa_enable_private_segment 0
		.amdhsa_system_sgpr_workgroup_id_x 1
		.amdhsa_system_sgpr_workgroup_id_y 0
		.amdhsa_system_sgpr_workgroup_id_z 0
		.amdhsa_system_sgpr_workgroup_info 0
		.amdhsa_system_vgpr_workitem_id 0
		.amdhsa_next_free_vgpr 1
		.amdhsa_next_free_sgpr 1
		.amdhsa_reserve_vcc 0
		.amdhsa_float_round_mode_32 0
		.amdhsa_float_round_mode_16_64 0
		.amdhsa_float_denorm_mode_32 3
		.amdhsa_float_denorm_mode_16_64 3
		.amdhsa_fp16_overflow 0
		.amdhsa_workgroup_processor_mode 1
		.amdhsa_memory_ordered 1
		.amdhsa_forward_progress 1
		.amdhsa_inst_pref_size 0
		.amdhsa_round_robin_scheduling 0
		.amdhsa_exception_fp_ieee_invalid_op 0
		.amdhsa_exception_fp_denorm_src 0
		.amdhsa_exception_fp_ieee_div_zero 0
		.amdhsa_exception_fp_ieee_overflow 0
		.amdhsa_exception_fp_ieee_underflow 0
		.amdhsa_exception_fp_ieee_inexact 0
		.amdhsa_exception_int_div_zero 0
	.end_amdhsa_kernel
	.section	.text._ZN7rocprim17ROCPRIM_400000_NS6detail17trampoline_kernelINS0_14default_configENS1_25partition_config_selectorILNS1_17partition_subalgoE6EN6thrust23THRUST_200600_302600_NS5tupleIssNS7_9null_typeES9_S9_S9_S9_S9_S9_S9_EENS0_10empty_typeEbEEZZNS1_14partition_implILS5_6ELb0ES3_mNS7_12zip_iteratorINS8_INS7_6detail15normal_iteratorINS7_10device_ptrIsEEEESJ_S9_S9_S9_S9_S9_S9_S9_S9_EEEEPSB_SM_NS0_5tupleIJNSE_INS8_ISJ_NS7_16discard_iteratorINS7_11use_defaultEEES9_S9_S9_S9_S9_S9_S9_S9_EEEESB_EEENSN_IJSM_SM_EEESB_PlJNSF_9not_fun_tINSF_14equal_to_valueISA_EEEEEEE10hipError_tPvRmT3_T4_T5_T6_T7_T9_mT8_P12ihipStream_tbDpT10_ENKUlT_T0_E_clISt17integral_constantIbLb1EES1J_EEDaS1E_S1F_EUlS1E_E_NS1_11comp_targetILNS1_3genE9ELNS1_11target_archE1100ELNS1_3gpuE3ELNS1_3repE0EEENS1_30default_config_static_selectorELNS0_4arch9wavefront6targetE0EEEvT1_,"axG",@progbits,_ZN7rocprim17ROCPRIM_400000_NS6detail17trampoline_kernelINS0_14default_configENS1_25partition_config_selectorILNS1_17partition_subalgoE6EN6thrust23THRUST_200600_302600_NS5tupleIssNS7_9null_typeES9_S9_S9_S9_S9_S9_S9_EENS0_10empty_typeEbEEZZNS1_14partition_implILS5_6ELb0ES3_mNS7_12zip_iteratorINS8_INS7_6detail15normal_iteratorINS7_10device_ptrIsEEEESJ_S9_S9_S9_S9_S9_S9_S9_S9_EEEEPSB_SM_NS0_5tupleIJNSE_INS8_ISJ_NS7_16discard_iteratorINS7_11use_defaultEEES9_S9_S9_S9_S9_S9_S9_S9_EEEESB_EEENSN_IJSM_SM_EEESB_PlJNSF_9not_fun_tINSF_14equal_to_valueISA_EEEEEEE10hipError_tPvRmT3_T4_T5_T6_T7_T9_mT8_P12ihipStream_tbDpT10_ENKUlT_T0_E_clISt17integral_constantIbLb1EES1J_EEDaS1E_S1F_EUlS1E_E_NS1_11comp_targetILNS1_3genE9ELNS1_11target_archE1100ELNS1_3gpuE3ELNS1_3repE0EEENS1_30default_config_static_selectorELNS0_4arch9wavefront6targetE0EEEvT1_,comdat
.Lfunc_end2059:
	.size	_ZN7rocprim17ROCPRIM_400000_NS6detail17trampoline_kernelINS0_14default_configENS1_25partition_config_selectorILNS1_17partition_subalgoE6EN6thrust23THRUST_200600_302600_NS5tupleIssNS7_9null_typeES9_S9_S9_S9_S9_S9_S9_EENS0_10empty_typeEbEEZZNS1_14partition_implILS5_6ELb0ES3_mNS7_12zip_iteratorINS8_INS7_6detail15normal_iteratorINS7_10device_ptrIsEEEESJ_S9_S9_S9_S9_S9_S9_S9_S9_EEEEPSB_SM_NS0_5tupleIJNSE_INS8_ISJ_NS7_16discard_iteratorINS7_11use_defaultEEES9_S9_S9_S9_S9_S9_S9_S9_EEEESB_EEENSN_IJSM_SM_EEESB_PlJNSF_9not_fun_tINSF_14equal_to_valueISA_EEEEEEE10hipError_tPvRmT3_T4_T5_T6_T7_T9_mT8_P12ihipStream_tbDpT10_ENKUlT_T0_E_clISt17integral_constantIbLb1EES1J_EEDaS1E_S1F_EUlS1E_E_NS1_11comp_targetILNS1_3genE9ELNS1_11target_archE1100ELNS1_3gpuE3ELNS1_3repE0EEENS1_30default_config_static_selectorELNS0_4arch9wavefront6targetE0EEEvT1_, .Lfunc_end2059-_ZN7rocprim17ROCPRIM_400000_NS6detail17trampoline_kernelINS0_14default_configENS1_25partition_config_selectorILNS1_17partition_subalgoE6EN6thrust23THRUST_200600_302600_NS5tupleIssNS7_9null_typeES9_S9_S9_S9_S9_S9_S9_EENS0_10empty_typeEbEEZZNS1_14partition_implILS5_6ELb0ES3_mNS7_12zip_iteratorINS8_INS7_6detail15normal_iteratorINS7_10device_ptrIsEEEESJ_S9_S9_S9_S9_S9_S9_S9_S9_EEEEPSB_SM_NS0_5tupleIJNSE_INS8_ISJ_NS7_16discard_iteratorINS7_11use_defaultEEES9_S9_S9_S9_S9_S9_S9_S9_EEEESB_EEENSN_IJSM_SM_EEESB_PlJNSF_9not_fun_tINSF_14equal_to_valueISA_EEEEEEE10hipError_tPvRmT3_T4_T5_T6_T7_T9_mT8_P12ihipStream_tbDpT10_ENKUlT_T0_E_clISt17integral_constantIbLb1EES1J_EEDaS1E_S1F_EUlS1E_E_NS1_11comp_targetILNS1_3genE9ELNS1_11target_archE1100ELNS1_3gpuE3ELNS1_3repE0EEENS1_30default_config_static_selectorELNS0_4arch9wavefront6targetE0EEEvT1_
                                        ; -- End function
	.set _ZN7rocprim17ROCPRIM_400000_NS6detail17trampoline_kernelINS0_14default_configENS1_25partition_config_selectorILNS1_17partition_subalgoE6EN6thrust23THRUST_200600_302600_NS5tupleIssNS7_9null_typeES9_S9_S9_S9_S9_S9_S9_EENS0_10empty_typeEbEEZZNS1_14partition_implILS5_6ELb0ES3_mNS7_12zip_iteratorINS8_INS7_6detail15normal_iteratorINS7_10device_ptrIsEEEESJ_S9_S9_S9_S9_S9_S9_S9_S9_EEEEPSB_SM_NS0_5tupleIJNSE_INS8_ISJ_NS7_16discard_iteratorINS7_11use_defaultEEES9_S9_S9_S9_S9_S9_S9_S9_EEEESB_EEENSN_IJSM_SM_EEESB_PlJNSF_9not_fun_tINSF_14equal_to_valueISA_EEEEEEE10hipError_tPvRmT3_T4_T5_T6_T7_T9_mT8_P12ihipStream_tbDpT10_ENKUlT_T0_E_clISt17integral_constantIbLb1EES1J_EEDaS1E_S1F_EUlS1E_E_NS1_11comp_targetILNS1_3genE9ELNS1_11target_archE1100ELNS1_3gpuE3ELNS1_3repE0EEENS1_30default_config_static_selectorELNS0_4arch9wavefront6targetE0EEEvT1_.num_vgpr, 0
	.set _ZN7rocprim17ROCPRIM_400000_NS6detail17trampoline_kernelINS0_14default_configENS1_25partition_config_selectorILNS1_17partition_subalgoE6EN6thrust23THRUST_200600_302600_NS5tupleIssNS7_9null_typeES9_S9_S9_S9_S9_S9_S9_EENS0_10empty_typeEbEEZZNS1_14partition_implILS5_6ELb0ES3_mNS7_12zip_iteratorINS8_INS7_6detail15normal_iteratorINS7_10device_ptrIsEEEESJ_S9_S9_S9_S9_S9_S9_S9_S9_EEEEPSB_SM_NS0_5tupleIJNSE_INS8_ISJ_NS7_16discard_iteratorINS7_11use_defaultEEES9_S9_S9_S9_S9_S9_S9_S9_EEEESB_EEENSN_IJSM_SM_EEESB_PlJNSF_9not_fun_tINSF_14equal_to_valueISA_EEEEEEE10hipError_tPvRmT3_T4_T5_T6_T7_T9_mT8_P12ihipStream_tbDpT10_ENKUlT_T0_E_clISt17integral_constantIbLb1EES1J_EEDaS1E_S1F_EUlS1E_E_NS1_11comp_targetILNS1_3genE9ELNS1_11target_archE1100ELNS1_3gpuE3ELNS1_3repE0EEENS1_30default_config_static_selectorELNS0_4arch9wavefront6targetE0EEEvT1_.num_agpr, 0
	.set _ZN7rocprim17ROCPRIM_400000_NS6detail17trampoline_kernelINS0_14default_configENS1_25partition_config_selectorILNS1_17partition_subalgoE6EN6thrust23THRUST_200600_302600_NS5tupleIssNS7_9null_typeES9_S9_S9_S9_S9_S9_S9_EENS0_10empty_typeEbEEZZNS1_14partition_implILS5_6ELb0ES3_mNS7_12zip_iteratorINS8_INS7_6detail15normal_iteratorINS7_10device_ptrIsEEEESJ_S9_S9_S9_S9_S9_S9_S9_S9_EEEEPSB_SM_NS0_5tupleIJNSE_INS8_ISJ_NS7_16discard_iteratorINS7_11use_defaultEEES9_S9_S9_S9_S9_S9_S9_S9_EEEESB_EEENSN_IJSM_SM_EEESB_PlJNSF_9not_fun_tINSF_14equal_to_valueISA_EEEEEEE10hipError_tPvRmT3_T4_T5_T6_T7_T9_mT8_P12ihipStream_tbDpT10_ENKUlT_T0_E_clISt17integral_constantIbLb1EES1J_EEDaS1E_S1F_EUlS1E_E_NS1_11comp_targetILNS1_3genE9ELNS1_11target_archE1100ELNS1_3gpuE3ELNS1_3repE0EEENS1_30default_config_static_selectorELNS0_4arch9wavefront6targetE0EEEvT1_.numbered_sgpr, 0
	.set _ZN7rocprim17ROCPRIM_400000_NS6detail17trampoline_kernelINS0_14default_configENS1_25partition_config_selectorILNS1_17partition_subalgoE6EN6thrust23THRUST_200600_302600_NS5tupleIssNS7_9null_typeES9_S9_S9_S9_S9_S9_S9_EENS0_10empty_typeEbEEZZNS1_14partition_implILS5_6ELb0ES3_mNS7_12zip_iteratorINS8_INS7_6detail15normal_iteratorINS7_10device_ptrIsEEEESJ_S9_S9_S9_S9_S9_S9_S9_S9_EEEEPSB_SM_NS0_5tupleIJNSE_INS8_ISJ_NS7_16discard_iteratorINS7_11use_defaultEEES9_S9_S9_S9_S9_S9_S9_S9_EEEESB_EEENSN_IJSM_SM_EEESB_PlJNSF_9not_fun_tINSF_14equal_to_valueISA_EEEEEEE10hipError_tPvRmT3_T4_T5_T6_T7_T9_mT8_P12ihipStream_tbDpT10_ENKUlT_T0_E_clISt17integral_constantIbLb1EES1J_EEDaS1E_S1F_EUlS1E_E_NS1_11comp_targetILNS1_3genE9ELNS1_11target_archE1100ELNS1_3gpuE3ELNS1_3repE0EEENS1_30default_config_static_selectorELNS0_4arch9wavefront6targetE0EEEvT1_.num_named_barrier, 0
	.set _ZN7rocprim17ROCPRIM_400000_NS6detail17trampoline_kernelINS0_14default_configENS1_25partition_config_selectorILNS1_17partition_subalgoE6EN6thrust23THRUST_200600_302600_NS5tupleIssNS7_9null_typeES9_S9_S9_S9_S9_S9_S9_EENS0_10empty_typeEbEEZZNS1_14partition_implILS5_6ELb0ES3_mNS7_12zip_iteratorINS8_INS7_6detail15normal_iteratorINS7_10device_ptrIsEEEESJ_S9_S9_S9_S9_S9_S9_S9_S9_EEEEPSB_SM_NS0_5tupleIJNSE_INS8_ISJ_NS7_16discard_iteratorINS7_11use_defaultEEES9_S9_S9_S9_S9_S9_S9_S9_EEEESB_EEENSN_IJSM_SM_EEESB_PlJNSF_9not_fun_tINSF_14equal_to_valueISA_EEEEEEE10hipError_tPvRmT3_T4_T5_T6_T7_T9_mT8_P12ihipStream_tbDpT10_ENKUlT_T0_E_clISt17integral_constantIbLb1EES1J_EEDaS1E_S1F_EUlS1E_E_NS1_11comp_targetILNS1_3genE9ELNS1_11target_archE1100ELNS1_3gpuE3ELNS1_3repE0EEENS1_30default_config_static_selectorELNS0_4arch9wavefront6targetE0EEEvT1_.private_seg_size, 0
	.set _ZN7rocprim17ROCPRIM_400000_NS6detail17trampoline_kernelINS0_14default_configENS1_25partition_config_selectorILNS1_17partition_subalgoE6EN6thrust23THRUST_200600_302600_NS5tupleIssNS7_9null_typeES9_S9_S9_S9_S9_S9_S9_EENS0_10empty_typeEbEEZZNS1_14partition_implILS5_6ELb0ES3_mNS7_12zip_iteratorINS8_INS7_6detail15normal_iteratorINS7_10device_ptrIsEEEESJ_S9_S9_S9_S9_S9_S9_S9_S9_EEEEPSB_SM_NS0_5tupleIJNSE_INS8_ISJ_NS7_16discard_iteratorINS7_11use_defaultEEES9_S9_S9_S9_S9_S9_S9_S9_EEEESB_EEENSN_IJSM_SM_EEESB_PlJNSF_9not_fun_tINSF_14equal_to_valueISA_EEEEEEE10hipError_tPvRmT3_T4_T5_T6_T7_T9_mT8_P12ihipStream_tbDpT10_ENKUlT_T0_E_clISt17integral_constantIbLb1EES1J_EEDaS1E_S1F_EUlS1E_E_NS1_11comp_targetILNS1_3genE9ELNS1_11target_archE1100ELNS1_3gpuE3ELNS1_3repE0EEENS1_30default_config_static_selectorELNS0_4arch9wavefront6targetE0EEEvT1_.uses_vcc, 0
	.set _ZN7rocprim17ROCPRIM_400000_NS6detail17trampoline_kernelINS0_14default_configENS1_25partition_config_selectorILNS1_17partition_subalgoE6EN6thrust23THRUST_200600_302600_NS5tupleIssNS7_9null_typeES9_S9_S9_S9_S9_S9_S9_EENS0_10empty_typeEbEEZZNS1_14partition_implILS5_6ELb0ES3_mNS7_12zip_iteratorINS8_INS7_6detail15normal_iteratorINS7_10device_ptrIsEEEESJ_S9_S9_S9_S9_S9_S9_S9_S9_EEEEPSB_SM_NS0_5tupleIJNSE_INS8_ISJ_NS7_16discard_iteratorINS7_11use_defaultEEES9_S9_S9_S9_S9_S9_S9_S9_EEEESB_EEENSN_IJSM_SM_EEESB_PlJNSF_9not_fun_tINSF_14equal_to_valueISA_EEEEEEE10hipError_tPvRmT3_T4_T5_T6_T7_T9_mT8_P12ihipStream_tbDpT10_ENKUlT_T0_E_clISt17integral_constantIbLb1EES1J_EEDaS1E_S1F_EUlS1E_E_NS1_11comp_targetILNS1_3genE9ELNS1_11target_archE1100ELNS1_3gpuE3ELNS1_3repE0EEENS1_30default_config_static_selectorELNS0_4arch9wavefront6targetE0EEEvT1_.uses_flat_scratch, 0
	.set _ZN7rocprim17ROCPRIM_400000_NS6detail17trampoline_kernelINS0_14default_configENS1_25partition_config_selectorILNS1_17partition_subalgoE6EN6thrust23THRUST_200600_302600_NS5tupleIssNS7_9null_typeES9_S9_S9_S9_S9_S9_S9_EENS0_10empty_typeEbEEZZNS1_14partition_implILS5_6ELb0ES3_mNS7_12zip_iteratorINS8_INS7_6detail15normal_iteratorINS7_10device_ptrIsEEEESJ_S9_S9_S9_S9_S9_S9_S9_S9_EEEEPSB_SM_NS0_5tupleIJNSE_INS8_ISJ_NS7_16discard_iteratorINS7_11use_defaultEEES9_S9_S9_S9_S9_S9_S9_S9_EEEESB_EEENSN_IJSM_SM_EEESB_PlJNSF_9not_fun_tINSF_14equal_to_valueISA_EEEEEEE10hipError_tPvRmT3_T4_T5_T6_T7_T9_mT8_P12ihipStream_tbDpT10_ENKUlT_T0_E_clISt17integral_constantIbLb1EES1J_EEDaS1E_S1F_EUlS1E_E_NS1_11comp_targetILNS1_3genE9ELNS1_11target_archE1100ELNS1_3gpuE3ELNS1_3repE0EEENS1_30default_config_static_selectorELNS0_4arch9wavefront6targetE0EEEvT1_.has_dyn_sized_stack, 0
	.set _ZN7rocprim17ROCPRIM_400000_NS6detail17trampoline_kernelINS0_14default_configENS1_25partition_config_selectorILNS1_17partition_subalgoE6EN6thrust23THRUST_200600_302600_NS5tupleIssNS7_9null_typeES9_S9_S9_S9_S9_S9_S9_EENS0_10empty_typeEbEEZZNS1_14partition_implILS5_6ELb0ES3_mNS7_12zip_iteratorINS8_INS7_6detail15normal_iteratorINS7_10device_ptrIsEEEESJ_S9_S9_S9_S9_S9_S9_S9_S9_EEEEPSB_SM_NS0_5tupleIJNSE_INS8_ISJ_NS7_16discard_iteratorINS7_11use_defaultEEES9_S9_S9_S9_S9_S9_S9_S9_EEEESB_EEENSN_IJSM_SM_EEESB_PlJNSF_9not_fun_tINSF_14equal_to_valueISA_EEEEEEE10hipError_tPvRmT3_T4_T5_T6_T7_T9_mT8_P12ihipStream_tbDpT10_ENKUlT_T0_E_clISt17integral_constantIbLb1EES1J_EEDaS1E_S1F_EUlS1E_E_NS1_11comp_targetILNS1_3genE9ELNS1_11target_archE1100ELNS1_3gpuE3ELNS1_3repE0EEENS1_30default_config_static_selectorELNS0_4arch9wavefront6targetE0EEEvT1_.has_recursion, 0
	.set _ZN7rocprim17ROCPRIM_400000_NS6detail17trampoline_kernelINS0_14default_configENS1_25partition_config_selectorILNS1_17partition_subalgoE6EN6thrust23THRUST_200600_302600_NS5tupleIssNS7_9null_typeES9_S9_S9_S9_S9_S9_S9_EENS0_10empty_typeEbEEZZNS1_14partition_implILS5_6ELb0ES3_mNS7_12zip_iteratorINS8_INS7_6detail15normal_iteratorINS7_10device_ptrIsEEEESJ_S9_S9_S9_S9_S9_S9_S9_S9_EEEEPSB_SM_NS0_5tupleIJNSE_INS8_ISJ_NS7_16discard_iteratorINS7_11use_defaultEEES9_S9_S9_S9_S9_S9_S9_S9_EEEESB_EEENSN_IJSM_SM_EEESB_PlJNSF_9not_fun_tINSF_14equal_to_valueISA_EEEEEEE10hipError_tPvRmT3_T4_T5_T6_T7_T9_mT8_P12ihipStream_tbDpT10_ENKUlT_T0_E_clISt17integral_constantIbLb1EES1J_EEDaS1E_S1F_EUlS1E_E_NS1_11comp_targetILNS1_3genE9ELNS1_11target_archE1100ELNS1_3gpuE3ELNS1_3repE0EEENS1_30default_config_static_selectorELNS0_4arch9wavefront6targetE0EEEvT1_.has_indirect_call, 0
	.section	.AMDGPU.csdata,"",@progbits
; Kernel info:
; codeLenInByte = 0
; TotalNumSgprs: 0
; NumVgprs: 0
; ScratchSize: 0
; MemoryBound: 0
; FloatMode: 240
; IeeeMode: 1
; LDSByteSize: 0 bytes/workgroup (compile time only)
; SGPRBlocks: 0
; VGPRBlocks: 0
; NumSGPRsForWavesPerEU: 1
; NumVGPRsForWavesPerEU: 1
; Occupancy: 16
; WaveLimiterHint : 0
; COMPUTE_PGM_RSRC2:SCRATCH_EN: 0
; COMPUTE_PGM_RSRC2:USER_SGPR: 2
; COMPUTE_PGM_RSRC2:TRAP_HANDLER: 0
; COMPUTE_PGM_RSRC2:TGID_X_EN: 1
; COMPUTE_PGM_RSRC2:TGID_Y_EN: 0
; COMPUTE_PGM_RSRC2:TGID_Z_EN: 0
; COMPUTE_PGM_RSRC2:TIDIG_COMP_CNT: 0
	.section	.text._ZN7rocprim17ROCPRIM_400000_NS6detail17trampoline_kernelINS0_14default_configENS1_25partition_config_selectorILNS1_17partition_subalgoE6EN6thrust23THRUST_200600_302600_NS5tupleIssNS7_9null_typeES9_S9_S9_S9_S9_S9_S9_EENS0_10empty_typeEbEEZZNS1_14partition_implILS5_6ELb0ES3_mNS7_12zip_iteratorINS8_INS7_6detail15normal_iteratorINS7_10device_ptrIsEEEESJ_S9_S9_S9_S9_S9_S9_S9_S9_EEEEPSB_SM_NS0_5tupleIJNSE_INS8_ISJ_NS7_16discard_iteratorINS7_11use_defaultEEES9_S9_S9_S9_S9_S9_S9_S9_EEEESB_EEENSN_IJSM_SM_EEESB_PlJNSF_9not_fun_tINSF_14equal_to_valueISA_EEEEEEE10hipError_tPvRmT3_T4_T5_T6_T7_T9_mT8_P12ihipStream_tbDpT10_ENKUlT_T0_E_clISt17integral_constantIbLb1EES1J_EEDaS1E_S1F_EUlS1E_E_NS1_11comp_targetILNS1_3genE8ELNS1_11target_archE1030ELNS1_3gpuE2ELNS1_3repE0EEENS1_30default_config_static_selectorELNS0_4arch9wavefront6targetE0EEEvT1_,"axG",@progbits,_ZN7rocprim17ROCPRIM_400000_NS6detail17trampoline_kernelINS0_14default_configENS1_25partition_config_selectorILNS1_17partition_subalgoE6EN6thrust23THRUST_200600_302600_NS5tupleIssNS7_9null_typeES9_S9_S9_S9_S9_S9_S9_EENS0_10empty_typeEbEEZZNS1_14partition_implILS5_6ELb0ES3_mNS7_12zip_iteratorINS8_INS7_6detail15normal_iteratorINS7_10device_ptrIsEEEESJ_S9_S9_S9_S9_S9_S9_S9_S9_EEEEPSB_SM_NS0_5tupleIJNSE_INS8_ISJ_NS7_16discard_iteratorINS7_11use_defaultEEES9_S9_S9_S9_S9_S9_S9_S9_EEEESB_EEENSN_IJSM_SM_EEESB_PlJNSF_9not_fun_tINSF_14equal_to_valueISA_EEEEEEE10hipError_tPvRmT3_T4_T5_T6_T7_T9_mT8_P12ihipStream_tbDpT10_ENKUlT_T0_E_clISt17integral_constantIbLb1EES1J_EEDaS1E_S1F_EUlS1E_E_NS1_11comp_targetILNS1_3genE8ELNS1_11target_archE1030ELNS1_3gpuE2ELNS1_3repE0EEENS1_30default_config_static_selectorELNS0_4arch9wavefront6targetE0EEEvT1_,comdat
	.protected	_ZN7rocprim17ROCPRIM_400000_NS6detail17trampoline_kernelINS0_14default_configENS1_25partition_config_selectorILNS1_17partition_subalgoE6EN6thrust23THRUST_200600_302600_NS5tupleIssNS7_9null_typeES9_S9_S9_S9_S9_S9_S9_EENS0_10empty_typeEbEEZZNS1_14partition_implILS5_6ELb0ES3_mNS7_12zip_iteratorINS8_INS7_6detail15normal_iteratorINS7_10device_ptrIsEEEESJ_S9_S9_S9_S9_S9_S9_S9_S9_EEEEPSB_SM_NS0_5tupleIJNSE_INS8_ISJ_NS7_16discard_iteratorINS7_11use_defaultEEES9_S9_S9_S9_S9_S9_S9_S9_EEEESB_EEENSN_IJSM_SM_EEESB_PlJNSF_9not_fun_tINSF_14equal_to_valueISA_EEEEEEE10hipError_tPvRmT3_T4_T5_T6_T7_T9_mT8_P12ihipStream_tbDpT10_ENKUlT_T0_E_clISt17integral_constantIbLb1EES1J_EEDaS1E_S1F_EUlS1E_E_NS1_11comp_targetILNS1_3genE8ELNS1_11target_archE1030ELNS1_3gpuE2ELNS1_3repE0EEENS1_30default_config_static_selectorELNS0_4arch9wavefront6targetE0EEEvT1_ ; -- Begin function _ZN7rocprim17ROCPRIM_400000_NS6detail17trampoline_kernelINS0_14default_configENS1_25partition_config_selectorILNS1_17partition_subalgoE6EN6thrust23THRUST_200600_302600_NS5tupleIssNS7_9null_typeES9_S9_S9_S9_S9_S9_S9_EENS0_10empty_typeEbEEZZNS1_14partition_implILS5_6ELb0ES3_mNS7_12zip_iteratorINS8_INS7_6detail15normal_iteratorINS7_10device_ptrIsEEEESJ_S9_S9_S9_S9_S9_S9_S9_S9_EEEEPSB_SM_NS0_5tupleIJNSE_INS8_ISJ_NS7_16discard_iteratorINS7_11use_defaultEEES9_S9_S9_S9_S9_S9_S9_S9_EEEESB_EEENSN_IJSM_SM_EEESB_PlJNSF_9not_fun_tINSF_14equal_to_valueISA_EEEEEEE10hipError_tPvRmT3_T4_T5_T6_T7_T9_mT8_P12ihipStream_tbDpT10_ENKUlT_T0_E_clISt17integral_constantIbLb1EES1J_EEDaS1E_S1F_EUlS1E_E_NS1_11comp_targetILNS1_3genE8ELNS1_11target_archE1030ELNS1_3gpuE2ELNS1_3repE0EEENS1_30default_config_static_selectorELNS0_4arch9wavefront6targetE0EEEvT1_
	.globl	_ZN7rocprim17ROCPRIM_400000_NS6detail17trampoline_kernelINS0_14default_configENS1_25partition_config_selectorILNS1_17partition_subalgoE6EN6thrust23THRUST_200600_302600_NS5tupleIssNS7_9null_typeES9_S9_S9_S9_S9_S9_S9_EENS0_10empty_typeEbEEZZNS1_14partition_implILS5_6ELb0ES3_mNS7_12zip_iteratorINS8_INS7_6detail15normal_iteratorINS7_10device_ptrIsEEEESJ_S9_S9_S9_S9_S9_S9_S9_S9_EEEEPSB_SM_NS0_5tupleIJNSE_INS8_ISJ_NS7_16discard_iteratorINS7_11use_defaultEEES9_S9_S9_S9_S9_S9_S9_S9_EEEESB_EEENSN_IJSM_SM_EEESB_PlJNSF_9not_fun_tINSF_14equal_to_valueISA_EEEEEEE10hipError_tPvRmT3_T4_T5_T6_T7_T9_mT8_P12ihipStream_tbDpT10_ENKUlT_T0_E_clISt17integral_constantIbLb1EES1J_EEDaS1E_S1F_EUlS1E_E_NS1_11comp_targetILNS1_3genE8ELNS1_11target_archE1030ELNS1_3gpuE2ELNS1_3repE0EEENS1_30default_config_static_selectorELNS0_4arch9wavefront6targetE0EEEvT1_
	.p2align	8
	.type	_ZN7rocprim17ROCPRIM_400000_NS6detail17trampoline_kernelINS0_14default_configENS1_25partition_config_selectorILNS1_17partition_subalgoE6EN6thrust23THRUST_200600_302600_NS5tupleIssNS7_9null_typeES9_S9_S9_S9_S9_S9_S9_EENS0_10empty_typeEbEEZZNS1_14partition_implILS5_6ELb0ES3_mNS7_12zip_iteratorINS8_INS7_6detail15normal_iteratorINS7_10device_ptrIsEEEESJ_S9_S9_S9_S9_S9_S9_S9_S9_EEEEPSB_SM_NS0_5tupleIJNSE_INS8_ISJ_NS7_16discard_iteratorINS7_11use_defaultEEES9_S9_S9_S9_S9_S9_S9_S9_EEEESB_EEENSN_IJSM_SM_EEESB_PlJNSF_9not_fun_tINSF_14equal_to_valueISA_EEEEEEE10hipError_tPvRmT3_T4_T5_T6_T7_T9_mT8_P12ihipStream_tbDpT10_ENKUlT_T0_E_clISt17integral_constantIbLb1EES1J_EEDaS1E_S1F_EUlS1E_E_NS1_11comp_targetILNS1_3genE8ELNS1_11target_archE1030ELNS1_3gpuE2ELNS1_3repE0EEENS1_30default_config_static_selectorELNS0_4arch9wavefront6targetE0EEEvT1_,@function
_ZN7rocprim17ROCPRIM_400000_NS6detail17trampoline_kernelINS0_14default_configENS1_25partition_config_selectorILNS1_17partition_subalgoE6EN6thrust23THRUST_200600_302600_NS5tupleIssNS7_9null_typeES9_S9_S9_S9_S9_S9_S9_EENS0_10empty_typeEbEEZZNS1_14partition_implILS5_6ELb0ES3_mNS7_12zip_iteratorINS8_INS7_6detail15normal_iteratorINS7_10device_ptrIsEEEESJ_S9_S9_S9_S9_S9_S9_S9_S9_EEEEPSB_SM_NS0_5tupleIJNSE_INS8_ISJ_NS7_16discard_iteratorINS7_11use_defaultEEES9_S9_S9_S9_S9_S9_S9_S9_EEEESB_EEENSN_IJSM_SM_EEESB_PlJNSF_9not_fun_tINSF_14equal_to_valueISA_EEEEEEE10hipError_tPvRmT3_T4_T5_T6_T7_T9_mT8_P12ihipStream_tbDpT10_ENKUlT_T0_E_clISt17integral_constantIbLb1EES1J_EEDaS1E_S1F_EUlS1E_E_NS1_11comp_targetILNS1_3genE8ELNS1_11target_archE1030ELNS1_3gpuE2ELNS1_3repE0EEENS1_30default_config_static_selectorELNS0_4arch9wavefront6targetE0EEEvT1_: ; @_ZN7rocprim17ROCPRIM_400000_NS6detail17trampoline_kernelINS0_14default_configENS1_25partition_config_selectorILNS1_17partition_subalgoE6EN6thrust23THRUST_200600_302600_NS5tupleIssNS7_9null_typeES9_S9_S9_S9_S9_S9_S9_EENS0_10empty_typeEbEEZZNS1_14partition_implILS5_6ELb0ES3_mNS7_12zip_iteratorINS8_INS7_6detail15normal_iteratorINS7_10device_ptrIsEEEESJ_S9_S9_S9_S9_S9_S9_S9_S9_EEEEPSB_SM_NS0_5tupleIJNSE_INS8_ISJ_NS7_16discard_iteratorINS7_11use_defaultEEES9_S9_S9_S9_S9_S9_S9_S9_EEEESB_EEENSN_IJSM_SM_EEESB_PlJNSF_9not_fun_tINSF_14equal_to_valueISA_EEEEEEE10hipError_tPvRmT3_T4_T5_T6_T7_T9_mT8_P12ihipStream_tbDpT10_ENKUlT_T0_E_clISt17integral_constantIbLb1EES1J_EEDaS1E_S1F_EUlS1E_E_NS1_11comp_targetILNS1_3genE8ELNS1_11target_archE1030ELNS1_3gpuE2ELNS1_3repE0EEENS1_30default_config_static_selectorELNS0_4arch9wavefront6targetE0EEEvT1_
; %bb.0:
	.section	.rodata,"a",@progbits
	.p2align	6, 0x0
	.amdhsa_kernel _ZN7rocprim17ROCPRIM_400000_NS6detail17trampoline_kernelINS0_14default_configENS1_25partition_config_selectorILNS1_17partition_subalgoE6EN6thrust23THRUST_200600_302600_NS5tupleIssNS7_9null_typeES9_S9_S9_S9_S9_S9_S9_EENS0_10empty_typeEbEEZZNS1_14partition_implILS5_6ELb0ES3_mNS7_12zip_iteratorINS8_INS7_6detail15normal_iteratorINS7_10device_ptrIsEEEESJ_S9_S9_S9_S9_S9_S9_S9_S9_EEEEPSB_SM_NS0_5tupleIJNSE_INS8_ISJ_NS7_16discard_iteratorINS7_11use_defaultEEES9_S9_S9_S9_S9_S9_S9_S9_EEEESB_EEENSN_IJSM_SM_EEESB_PlJNSF_9not_fun_tINSF_14equal_to_valueISA_EEEEEEE10hipError_tPvRmT3_T4_T5_T6_T7_T9_mT8_P12ihipStream_tbDpT10_ENKUlT_T0_E_clISt17integral_constantIbLb1EES1J_EEDaS1E_S1F_EUlS1E_E_NS1_11comp_targetILNS1_3genE8ELNS1_11target_archE1030ELNS1_3gpuE2ELNS1_3repE0EEENS1_30default_config_static_selectorELNS0_4arch9wavefront6targetE0EEEvT1_
		.amdhsa_group_segment_fixed_size 0
		.amdhsa_private_segment_fixed_size 0
		.amdhsa_kernarg_size 152
		.amdhsa_user_sgpr_count 2
		.amdhsa_user_sgpr_dispatch_ptr 0
		.amdhsa_user_sgpr_queue_ptr 0
		.amdhsa_user_sgpr_kernarg_segment_ptr 1
		.amdhsa_user_sgpr_dispatch_id 0
		.amdhsa_user_sgpr_private_segment_size 0
		.amdhsa_wavefront_size32 1
		.amdhsa_uses_dynamic_stack 0
		.amdhsa_enable_private_segment 0
		.amdhsa_system_sgpr_workgroup_id_x 1
		.amdhsa_system_sgpr_workgroup_id_y 0
		.amdhsa_system_sgpr_workgroup_id_z 0
		.amdhsa_system_sgpr_workgroup_info 0
		.amdhsa_system_vgpr_workitem_id 0
		.amdhsa_next_free_vgpr 1
		.amdhsa_next_free_sgpr 1
		.amdhsa_reserve_vcc 0
		.amdhsa_float_round_mode_32 0
		.amdhsa_float_round_mode_16_64 0
		.amdhsa_float_denorm_mode_32 3
		.amdhsa_float_denorm_mode_16_64 3
		.amdhsa_fp16_overflow 0
		.amdhsa_workgroup_processor_mode 1
		.amdhsa_memory_ordered 1
		.amdhsa_forward_progress 1
		.amdhsa_inst_pref_size 0
		.amdhsa_round_robin_scheduling 0
		.amdhsa_exception_fp_ieee_invalid_op 0
		.amdhsa_exception_fp_denorm_src 0
		.amdhsa_exception_fp_ieee_div_zero 0
		.amdhsa_exception_fp_ieee_overflow 0
		.amdhsa_exception_fp_ieee_underflow 0
		.amdhsa_exception_fp_ieee_inexact 0
		.amdhsa_exception_int_div_zero 0
	.end_amdhsa_kernel
	.section	.text._ZN7rocprim17ROCPRIM_400000_NS6detail17trampoline_kernelINS0_14default_configENS1_25partition_config_selectorILNS1_17partition_subalgoE6EN6thrust23THRUST_200600_302600_NS5tupleIssNS7_9null_typeES9_S9_S9_S9_S9_S9_S9_EENS0_10empty_typeEbEEZZNS1_14partition_implILS5_6ELb0ES3_mNS7_12zip_iteratorINS8_INS7_6detail15normal_iteratorINS7_10device_ptrIsEEEESJ_S9_S9_S9_S9_S9_S9_S9_S9_EEEEPSB_SM_NS0_5tupleIJNSE_INS8_ISJ_NS7_16discard_iteratorINS7_11use_defaultEEES9_S9_S9_S9_S9_S9_S9_S9_EEEESB_EEENSN_IJSM_SM_EEESB_PlJNSF_9not_fun_tINSF_14equal_to_valueISA_EEEEEEE10hipError_tPvRmT3_T4_T5_T6_T7_T9_mT8_P12ihipStream_tbDpT10_ENKUlT_T0_E_clISt17integral_constantIbLb1EES1J_EEDaS1E_S1F_EUlS1E_E_NS1_11comp_targetILNS1_3genE8ELNS1_11target_archE1030ELNS1_3gpuE2ELNS1_3repE0EEENS1_30default_config_static_selectorELNS0_4arch9wavefront6targetE0EEEvT1_,"axG",@progbits,_ZN7rocprim17ROCPRIM_400000_NS6detail17trampoline_kernelINS0_14default_configENS1_25partition_config_selectorILNS1_17partition_subalgoE6EN6thrust23THRUST_200600_302600_NS5tupleIssNS7_9null_typeES9_S9_S9_S9_S9_S9_S9_EENS0_10empty_typeEbEEZZNS1_14partition_implILS5_6ELb0ES3_mNS7_12zip_iteratorINS8_INS7_6detail15normal_iteratorINS7_10device_ptrIsEEEESJ_S9_S9_S9_S9_S9_S9_S9_S9_EEEEPSB_SM_NS0_5tupleIJNSE_INS8_ISJ_NS7_16discard_iteratorINS7_11use_defaultEEES9_S9_S9_S9_S9_S9_S9_S9_EEEESB_EEENSN_IJSM_SM_EEESB_PlJNSF_9not_fun_tINSF_14equal_to_valueISA_EEEEEEE10hipError_tPvRmT3_T4_T5_T6_T7_T9_mT8_P12ihipStream_tbDpT10_ENKUlT_T0_E_clISt17integral_constantIbLb1EES1J_EEDaS1E_S1F_EUlS1E_E_NS1_11comp_targetILNS1_3genE8ELNS1_11target_archE1030ELNS1_3gpuE2ELNS1_3repE0EEENS1_30default_config_static_selectorELNS0_4arch9wavefront6targetE0EEEvT1_,comdat
.Lfunc_end2060:
	.size	_ZN7rocprim17ROCPRIM_400000_NS6detail17trampoline_kernelINS0_14default_configENS1_25partition_config_selectorILNS1_17partition_subalgoE6EN6thrust23THRUST_200600_302600_NS5tupleIssNS7_9null_typeES9_S9_S9_S9_S9_S9_S9_EENS0_10empty_typeEbEEZZNS1_14partition_implILS5_6ELb0ES3_mNS7_12zip_iteratorINS8_INS7_6detail15normal_iteratorINS7_10device_ptrIsEEEESJ_S9_S9_S9_S9_S9_S9_S9_S9_EEEEPSB_SM_NS0_5tupleIJNSE_INS8_ISJ_NS7_16discard_iteratorINS7_11use_defaultEEES9_S9_S9_S9_S9_S9_S9_S9_EEEESB_EEENSN_IJSM_SM_EEESB_PlJNSF_9not_fun_tINSF_14equal_to_valueISA_EEEEEEE10hipError_tPvRmT3_T4_T5_T6_T7_T9_mT8_P12ihipStream_tbDpT10_ENKUlT_T0_E_clISt17integral_constantIbLb1EES1J_EEDaS1E_S1F_EUlS1E_E_NS1_11comp_targetILNS1_3genE8ELNS1_11target_archE1030ELNS1_3gpuE2ELNS1_3repE0EEENS1_30default_config_static_selectorELNS0_4arch9wavefront6targetE0EEEvT1_, .Lfunc_end2060-_ZN7rocprim17ROCPRIM_400000_NS6detail17trampoline_kernelINS0_14default_configENS1_25partition_config_selectorILNS1_17partition_subalgoE6EN6thrust23THRUST_200600_302600_NS5tupleIssNS7_9null_typeES9_S9_S9_S9_S9_S9_S9_EENS0_10empty_typeEbEEZZNS1_14partition_implILS5_6ELb0ES3_mNS7_12zip_iteratorINS8_INS7_6detail15normal_iteratorINS7_10device_ptrIsEEEESJ_S9_S9_S9_S9_S9_S9_S9_S9_EEEEPSB_SM_NS0_5tupleIJNSE_INS8_ISJ_NS7_16discard_iteratorINS7_11use_defaultEEES9_S9_S9_S9_S9_S9_S9_S9_EEEESB_EEENSN_IJSM_SM_EEESB_PlJNSF_9not_fun_tINSF_14equal_to_valueISA_EEEEEEE10hipError_tPvRmT3_T4_T5_T6_T7_T9_mT8_P12ihipStream_tbDpT10_ENKUlT_T0_E_clISt17integral_constantIbLb1EES1J_EEDaS1E_S1F_EUlS1E_E_NS1_11comp_targetILNS1_3genE8ELNS1_11target_archE1030ELNS1_3gpuE2ELNS1_3repE0EEENS1_30default_config_static_selectorELNS0_4arch9wavefront6targetE0EEEvT1_
                                        ; -- End function
	.set _ZN7rocprim17ROCPRIM_400000_NS6detail17trampoline_kernelINS0_14default_configENS1_25partition_config_selectorILNS1_17partition_subalgoE6EN6thrust23THRUST_200600_302600_NS5tupleIssNS7_9null_typeES9_S9_S9_S9_S9_S9_S9_EENS0_10empty_typeEbEEZZNS1_14partition_implILS5_6ELb0ES3_mNS7_12zip_iteratorINS8_INS7_6detail15normal_iteratorINS7_10device_ptrIsEEEESJ_S9_S9_S9_S9_S9_S9_S9_S9_EEEEPSB_SM_NS0_5tupleIJNSE_INS8_ISJ_NS7_16discard_iteratorINS7_11use_defaultEEES9_S9_S9_S9_S9_S9_S9_S9_EEEESB_EEENSN_IJSM_SM_EEESB_PlJNSF_9not_fun_tINSF_14equal_to_valueISA_EEEEEEE10hipError_tPvRmT3_T4_T5_T6_T7_T9_mT8_P12ihipStream_tbDpT10_ENKUlT_T0_E_clISt17integral_constantIbLb1EES1J_EEDaS1E_S1F_EUlS1E_E_NS1_11comp_targetILNS1_3genE8ELNS1_11target_archE1030ELNS1_3gpuE2ELNS1_3repE0EEENS1_30default_config_static_selectorELNS0_4arch9wavefront6targetE0EEEvT1_.num_vgpr, 0
	.set _ZN7rocprim17ROCPRIM_400000_NS6detail17trampoline_kernelINS0_14default_configENS1_25partition_config_selectorILNS1_17partition_subalgoE6EN6thrust23THRUST_200600_302600_NS5tupleIssNS7_9null_typeES9_S9_S9_S9_S9_S9_S9_EENS0_10empty_typeEbEEZZNS1_14partition_implILS5_6ELb0ES3_mNS7_12zip_iteratorINS8_INS7_6detail15normal_iteratorINS7_10device_ptrIsEEEESJ_S9_S9_S9_S9_S9_S9_S9_S9_EEEEPSB_SM_NS0_5tupleIJNSE_INS8_ISJ_NS7_16discard_iteratorINS7_11use_defaultEEES9_S9_S9_S9_S9_S9_S9_S9_EEEESB_EEENSN_IJSM_SM_EEESB_PlJNSF_9not_fun_tINSF_14equal_to_valueISA_EEEEEEE10hipError_tPvRmT3_T4_T5_T6_T7_T9_mT8_P12ihipStream_tbDpT10_ENKUlT_T0_E_clISt17integral_constantIbLb1EES1J_EEDaS1E_S1F_EUlS1E_E_NS1_11comp_targetILNS1_3genE8ELNS1_11target_archE1030ELNS1_3gpuE2ELNS1_3repE0EEENS1_30default_config_static_selectorELNS0_4arch9wavefront6targetE0EEEvT1_.num_agpr, 0
	.set _ZN7rocprim17ROCPRIM_400000_NS6detail17trampoline_kernelINS0_14default_configENS1_25partition_config_selectorILNS1_17partition_subalgoE6EN6thrust23THRUST_200600_302600_NS5tupleIssNS7_9null_typeES9_S9_S9_S9_S9_S9_S9_EENS0_10empty_typeEbEEZZNS1_14partition_implILS5_6ELb0ES3_mNS7_12zip_iteratorINS8_INS7_6detail15normal_iteratorINS7_10device_ptrIsEEEESJ_S9_S9_S9_S9_S9_S9_S9_S9_EEEEPSB_SM_NS0_5tupleIJNSE_INS8_ISJ_NS7_16discard_iteratorINS7_11use_defaultEEES9_S9_S9_S9_S9_S9_S9_S9_EEEESB_EEENSN_IJSM_SM_EEESB_PlJNSF_9not_fun_tINSF_14equal_to_valueISA_EEEEEEE10hipError_tPvRmT3_T4_T5_T6_T7_T9_mT8_P12ihipStream_tbDpT10_ENKUlT_T0_E_clISt17integral_constantIbLb1EES1J_EEDaS1E_S1F_EUlS1E_E_NS1_11comp_targetILNS1_3genE8ELNS1_11target_archE1030ELNS1_3gpuE2ELNS1_3repE0EEENS1_30default_config_static_selectorELNS0_4arch9wavefront6targetE0EEEvT1_.numbered_sgpr, 0
	.set _ZN7rocprim17ROCPRIM_400000_NS6detail17trampoline_kernelINS0_14default_configENS1_25partition_config_selectorILNS1_17partition_subalgoE6EN6thrust23THRUST_200600_302600_NS5tupleIssNS7_9null_typeES9_S9_S9_S9_S9_S9_S9_EENS0_10empty_typeEbEEZZNS1_14partition_implILS5_6ELb0ES3_mNS7_12zip_iteratorINS8_INS7_6detail15normal_iteratorINS7_10device_ptrIsEEEESJ_S9_S9_S9_S9_S9_S9_S9_S9_EEEEPSB_SM_NS0_5tupleIJNSE_INS8_ISJ_NS7_16discard_iteratorINS7_11use_defaultEEES9_S9_S9_S9_S9_S9_S9_S9_EEEESB_EEENSN_IJSM_SM_EEESB_PlJNSF_9not_fun_tINSF_14equal_to_valueISA_EEEEEEE10hipError_tPvRmT3_T4_T5_T6_T7_T9_mT8_P12ihipStream_tbDpT10_ENKUlT_T0_E_clISt17integral_constantIbLb1EES1J_EEDaS1E_S1F_EUlS1E_E_NS1_11comp_targetILNS1_3genE8ELNS1_11target_archE1030ELNS1_3gpuE2ELNS1_3repE0EEENS1_30default_config_static_selectorELNS0_4arch9wavefront6targetE0EEEvT1_.num_named_barrier, 0
	.set _ZN7rocprim17ROCPRIM_400000_NS6detail17trampoline_kernelINS0_14default_configENS1_25partition_config_selectorILNS1_17partition_subalgoE6EN6thrust23THRUST_200600_302600_NS5tupleIssNS7_9null_typeES9_S9_S9_S9_S9_S9_S9_EENS0_10empty_typeEbEEZZNS1_14partition_implILS5_6ELb0ES3_mNS7_12zip_iteratorINS8_INS7_6detail15normal_iteratorINS7_10device_ptrIsEEEESJ_S9_S9_S9_S9_S9_S9_S9_S9_EEEEPSB_SM_NS0_5tupleIJNSE_INS8_ISJ_NS7_16discard_iteratorINS7_11use_defaultEEES9_S9_S9_S9_S9_S9_S9_S9_EEEESB_EEENSN_IJSM_SM_EEESB_PlJNSF_9not_fun_tINSF_14equal_to_valueISA_EEEEEEE10hipError_tPvRmT3_T4_T5_T6_T7_T9_mT8_P12ihipStream_tbDpT10_ENKUlT_T0_E_clISt17integral_constantIbLb1EES1J_EEDaS1E_S1F_EUlS1E_E_NS1_11comp_targetILNS1_3genE8ELNS1_11target_archE1030ELNS1_3gpuE2ELNS1_3repE0EEENS1_30default_config_static_selectorELNS0_4arch9wavefront6targetE0EEEvT1_.private_seg_size, 0
	.set _ZN7rocprim17ROCPRIM_400000_NS6detail17trampoline_kernelINS0_14default_configENS1_25partition_config_selectorILNS1_17partition_subalgoE6EN6thrust23THRUST_200600_302600_NS5tupleIssNS7_9null_typeES9_S9_S9_S9_S9_S9_S9_EENS0_10empty_typeEbEEZZNS1_14partition_implILS5_6ELb0ES3_mNS7_12zip_iteratorINS8_INS7_6detail15normal_iteratorINS7_10device_ptrIsEEEESJ_S9_S9_S9_S9_S9_S9_S9_S9_EEEEPSB_SM_NS0_5tupleIJNSE_INS8_ISJ_NS7_16discard_iteratorINS7_11use_defaultEEES9_S9_S9_S9_S9_S9_S9_S9_EEEESB_EEENSN_IJSM_SM_EEESB_PlJNSF_9not_fun_tINSF_14equal_to_valueISA_EEEEEEE10hipError_tPvRmT3_T4_T5_T6_T7_T9_mT8_P12ihipStream_tbDpT10_ENKUlT_T0_E_clISt17integral_constantIbLb1EES1J_EEDaS1E_S1F_EUlS1E_E_NS1_11comp_targetILNS1_3genE8ELNS1_11target_archE1030ELNS1_3gpuE2ELNS1_3repE0EEENS1_30default_config_static_selectorELNS0_4arch9wavefront6targetE0EEEvT1_.uses_vcc, 0
	.set _ZN7rocprim17ROCPRIM_400000_NS6detail17trampoline_kernelINS0_14default_configENS1_25partition_config_selectorILNS1_17partition_subalgoE6EN6thrust23THRUST_200600_302600_NS5tupleIssNS7_9null_typeES9_S9_S9_S9_S9_S9_S9_EENS0_10empty_typeEbEEZZNS1_14partition_implILS5_6ELb0ES3_mNS7_12zip_iteratorINS8_INS7_6detail15normal_iteratorINS7_10device_ptrIsEEEESJ_S9_S9_S9_S9_S9_S9_S9_S9_EEEEPSB_SM_NS0_5tupleIJNSE_INS8_ISJ_NS7_16discard_iteratorINS7_11use_defaultEEES9_S9_S9_S9_S9_S9_S9_S9_EEEESB_EEENSN_IJSM_SM_EEESB_PlJNSF_9not_fun_tINSF_14equal_to_valueISA_EEEEEEE10hipError_tPvRmT3_T4_T5_T6_T7_T9_mT8_P12ihipStream_tbDpT10_ENKUlT_T0_E_clISt17integral_constantIbLb1EES1J_EEDaS1E_S1F_EUlS1E_E_NS1_11comp_targetILNS1_3genE8ELNS1_11target_archE1030ELNS1_3gpuE2ELNS1_3repE0EEENS1_30default_config_static_selectorELNS0_4arch9wavefront6targetE0EEEvT1_.uses_flat_scratch, 0
	.set _ZN7rocprim17ROCPRIM_400000_NS6detail17trampoline_kernelINS0_14default_configENS1_25partition_config_selectorILNS1_17partition_subalgoE6EN6thrust23THRUST_200600_302600_NS5tupleIssNS7_9null_typeES9_S9_S9_S9_S9_S9_S9_EENS0_10empty_typeEbEEZZNS1_14partition_implILS5_6ELb0ES3_mNS7_12zip_iteratorINS8_INS7_6detail15normal_iteratorINS7_10device_ptrIsEEEESJ_S9_S9_S9_S9_S9_S9_S9_S9_EEEEPSB_SM_NS0_5tupleIJNSE_INS8_ISJ_NS7_16discard_iteratorINS7_11use_defaultEEES9_S9_S9_S9_S9_S9_S9_S9_EEEESB_EEENSN_IJSM_SM_EEESB_PlJNSF_9not_fun_tINSF_14equal_to_valueISA_EEEEEEE10hipError_tPvRmT3_T4_T5_T6_T7_T9_mT8_P12ihipStream_tbDpT10_ENKUlT_T0_E_clISt17integral_constantIbLb1EES1J_EEDaS1E_S1F_EUlS1E_E_NS1_11comp_targetILNS1_3genE8ELNS1_11target_archE1030ELNS1_3gpuE2ELNS1_3repE0EEENS1_30default_config_static_selectorELNS0_4arch9wavefront6targetE0EEEvT1_.has_dyn_sized_stack, 0
	.set _ZN7rocprim17ROCPRIM_400000_NS6detail17trampoline_kernelINS0_14default_configENS1_25partition_config_selectorILNS1_17partition_subalgoE6EN6thrust23THRUST_200600_302600_NS5tupleIssNS7_9null_typeES9_S9_S9_S9_S9_S9_S9_EENS0_10empty_typeEbEEZZNS1_14partition_implILS5_6ELb0ES3_mNS7_12zip_iteratorINS8_INS7_6detail15normal_iteratorINS7_10device_ptrIsEEEESJ_S9_S9_S9_S9_S9_S9_S9_S9_EEEEPSB_SM_NS0_5tupleIJNSE_INS8_ISJ_NS7_16discard_iteratorINS7_11use_defaultEEES9_S9_S9_S9_S9_S9_S9_S9_EEEESB_EEENSN_IJSM_SM_EEESB_PlJNSF_9not_fun_tINSF_14equal_to_valueISA_EEEEEEE10hipError_tPvRmT3_T4_T5_T6_T7_T9_mT8_P12ihipStream_tbDpT10_ENKUlT_T0_E_clISt17integral_constantIbLb1EES1J_EEDaS1E_S1F_EUlS1E_E_NS1_11comp_targetILNS1_3genE8ELNS1_11target_archE1030ELNS1_3gpuE2ELNS1_3repE0EEENS1_30default_config_static_selectorELNS0_4arch9wavefront6targetE0EEEvT1_.has_recursion, 0
	.set _ZN7rocprim17ROCPRIM_400000_NS6detail17trampoline_kernelINS0_14default_configENS1_25partition_config_selectorILNS1_17partition_subalgoE6EN6thrust23THRUST_200600_302600_NS5tupleIssNS7_9null_typeES9_S9_S9_S9_S9_S9_S9_EENS0_10empty_typeEbEEZZNS1_14partition_implILS5_6ELb0ES3_mNS7_12zip_iteratorINS8_INS7_6detail15normal_iteratorINS7_10device_ptrIsEEEESJ_S9_S9_S9_S9_S9_S9_S9_S9_EEEEPSB_SM_NS0_5tupleIJNSE_INS8_ISJ_NS7_16discard_iteratorINS7_11use_defaultEEES9_S9_S9_S9_S9_S9_S9_S9_EEEESB_EEENSN_IJSM_SM_EEESB_PlJNSF_9not_fun_tINSF_14equal_to_valueISA_EEEEEEE10hipError_tPvRmT3_T4_T5_T6_T7_T9_mT8_P12ihipStream_tbDpT10_ENKUlT_T0_E_clISt17integral_constantIbLb1EES1J_EEDaS1E_S1F_EUlS1E_E_NS1_11comp_targetILNS1_3genE8ELNS1_11target_archE1030ELNS1_3gpuE2ELNS1_3repE0EEENS1_30default_config_static_selectorELNS0_4arch9wavefront6targetE0EEEvT1_.has_indirect_call, 0
	.section	.AMDGPU.csdata,"",@progbits
; Kernel info:
; codeLenInByte = 0
; TotalNumSgprs: 0
; NumVgprs: 0
; ScratchSize: 0
; MemoryBound: 0
; FloatMode: 240
; IeeeMode: 1
; LDSByteSize: 0 bytes/workgroup (compile time only)
; SGPRBlocks: 0
; VGPRBlocks: 0
; NumSGPRsForWavesPerEU: 1
; NumVGPRsForWavesPerEU: 1
; Occupancy: 16
; WaveLimiterHint : 0
; COMPUTE_PGM_RSRC2:SCRATCH_EN: 0
; COMPUTE_PGM_RSRC2:USER_SGPR: 2
; COMPUTE_PGM_RSRC2:TRAP_HANDLER: 0
; COMPUTE_PGM_RSRC2:TGID_X_EN: 1
; COMPUTE_PGM_RSRC2:TGID_Y_EN: 0
; COMPUTE_PGM_RSRC2:TGID_Z_EN: 0
; COMPUTE_PGM_RSRC2:TIDIG_COMP_CNT: 0
	.section	.text._ZN7rocprim17ROCPRIM_400000_NS6detail17trampoline_kernelINS0_14default_configENS1_25partition_config_selectorILNS1_17partition_subalgoE6EN6thrust23THRUST_200600_302600_NS5tupleIssNS7_9null_typeES9_S9_S9_S9_S9_S9_S9_EENS0_10empty_typeEbEEZZNS1_14partition_implILS5_6ELb0ES3_mNS7_12zip_iteratorINS8_INS7_6detail15normal_iteratorINS7_10device_ptrIsEEEESJ_S9_S9_S9_S9_S9_S9_S9_S9_EEEEPSB_SM_NS0_5tupleIJNSE_INS8_ISJ_NS7_16discard_iteratorINS7_11use_defaultEEES9_S9_S9_S9_S9_S9_S9_S9_EEEESB_EEENSN_IJSM_SM_EEESB_PlJNSF_9not_fun_tINSF_14equal_to_valueISA_EEEEEEE10hipError_tPvRmT3_T4_T5_T6_T7_T9_mT8_P12ihipStream_tbDpT10_ENKUlT_T0_E_clISt17integral_constantIbLb1EES1I_IbLb0EEEEDaS1E_S1F_EUlS1E_E_NS1_11comp_targetILNS1_3genE0ELNS1_11target_archE4294967295ELNS1_3gpuE0ELNS1_3repE0EEENS1_30default_config_static_selectorELNS0_4arch9wavefront6targetE0EEEvT1_,"axG",@progbits,_ZN7rocprim17ROCPRIM_400000_NS6detail17trampoline_kernelINS0_14default_configENS1_25partition_config_selectorILNS1_17partition_subalgoE6EN6thrust23THRUST_200600_302600_NS5tupleIssNS7_9null_typeES9_S9_S9_S9_S9_S9_S9_EENS0_10empty_typeEbEEZZNS1_14partition_implILS5_6ELb0ES3_mNS7_12zip_iteratorINS8_INS7_6detail15normal_iteratorINS7_10device_ptrIsEEEESJ_S9_S9_S9_S9_S9_S9_S9_S9_EEEEPSB_SM_NS0_5tupleIJNSE_INS8_ISJ_NS7_16discard_iteratorINS7_11use_defaultEEES9_S9_S9_S9_S9_S9_S9_S9_EEEESB_EEENSN_IJSM_SM_EEESB_PlJNSF_9not_fun_tINSF_14equal_to_valueISA_EEEEEEE10hipError_tPvRmT3_T4_T5_T6_T7_T9_mT8_P12ihipStream_tbDpT10_ENKUlT_T0_E_clISt17integral_constantIbLb1EES1I_IbLb0EEEEDaS1E_S1F_EUlS1E_E_NS1_11comp_targetILNS1_3genE0ELNS1_11target_archE4294967295ELNS1_3gpuE0ELNS1_3repE0EEENS1_30default_config_static_selectorELNS0_4arch9wavefront6targetE0EEEvT1_,comdat
	.protected	_ZN7rocprim17ROCPRIM_400000_NS6detail17trampoline_kernelINS0_14default_configENS1_25partition_config_selectorILNS1_17partition_subalgoE6EN6thrust23THRUST_200600_302600_NS5tupleIssNS7_9null_typeES9_S9_S9_S9_S9_S9_S9_EENS0_10empty_typeEbEEZZNS1_14partition_implILS5_6ELb0ES3_mNS7_12zip_iteratorINS8_INS7_6detail15normal_iteratorINS7_10device_ptrIsEEEESJ_S9_S9_S9_S9_S9_S9_S9_S9_EEEEPSB_SM_NS0_5tupleIJNSE_INS8_ISJ_NS7_16discard_iteratorINS7_11use_defaultEEES9_S9_S9_S9_S9_S9_S9_S9_EEEESB_EEENSN_IJSM_SM_EEESB_PlJNSF_9not_fun_tINSF_14equal_to_valueISA_EEEEEEE10hipError_tPvRmT3_T4_T5_T6_T7_T9_mT8_P12ihipStream_tbDpT10_ENKUlT_T0_E_clISt17integral_constantIbLb1EES1I_IbLb0EEEEDaS1E_S1F_EUlS1E_E_NS1_11comp_targetILNS1_3genE0ELNS1_11target_archE4294967295ELNS1_3gpuE0ELNS1_3repE0EEENS1_30default_config_static_selectorELNS0_4arch9wavefront6targetE0EEEvT1_ ; -- Begin function _ZN7rocprim17ROCPRIM_400000_NS6detail17trampoline_kernelINS0_14default_configENS1_25partition_config_selectorILNS1_17partition_subalgoE6EN6thrust23THRUST_200600_302600_NS5tupleIssNS7_9null_typeES9_S9_S9_S9_S9_S9_S9_EENS0_10empty_typeEbEEZZNS1_14partition_implILS5_6ELb0ES3_mNS7_12zip_iteratorINS8_INS7_6detail15normal_iteratorINS7_10device_ptrIsEEEESJ_S9_S9_S9_S9_S9_S9_S9_S9_EEEEPSB_SM_NS0_5tupleIJNSE_INS8_ISJ_NS7_16discard_iteratorINS7_11use_defaultEEES9_S9_S9_S9_S9_S9_S9_S9_EEEESB_EEENSN_IJSM_SM_EEESB_PlJNSF_9not_fun_tINSF_14equal_to_valueISA_EEEEEEE10hipError_tPvRmT3_T4_T5_T6_T7_T9_mT8_P12ihipStream_tbDpT10_ENKUlT_T0_E_clISt17integral_constantIbLb1EES1I_IbLb0EEEEDaS1E_S1F_EUlS1E_E_NS1_11comp_targetILNS1_3genE0ELNS1_11target_archE4294967295ELNS1_3gpuE0ELNS1_3repE0EEENS1_30default_config_static_selectorELNS0_4arch9wavefront6targetE0EEEvT1_
	.globl	_ZN7rocprim17ROCPRIM_400000_NS6detail17trampoline_kernelINS0_14default_configENS1_25partition_config_selectorILNS1_17partition_subalgoE6EN6thrust23THRUST_200600_302600_NS5tupleIssNS7_9null_typeES9_S9_S9_S9_S9_S9_S9_EENS0_10empty_typeEbEEZZNS1_14partition_implILS5_6ELb0ES3_mNS7_12zip_iteratorINS8_INS7_6detail15normal_iteratorINS7_10device_ptrIsEEEESJ_S9_S9_S9_S9_S9_S9_S9_S9_EEEEPSB_SM_NS0_5tupleIJNSE_INS8_ISJ_NS7_16discard_iteratorINS7_11use_defaultEEES9_S9_S9_S9_S9_S9_S9_S9_EEEESB_EEENSN_IJSM_SM_EEESB_PlJNSF_9not_fun_tINSF_14equal_to_valueISA_EEEEEEE10hipError_tPvRmT3_T4_T5_T6_T7_T9_mT8_P12ihipStream_tbDpT10_ENKUlT_T0_E_clISt17integral_constantIbLb1EES1I_IbLb0EEEEDaS1E_S1F_EUlS1E_E_NS1_11comp_targetILNS1_3genE0ELNS1_11target_archE4294967295ELNS1_3gpuE0ELNS1_3repE0EEENS1_30default_config_static_selectorELNS0_4arch9wavefront6targetE0EEEvT1_
	.p2align	8
	.type	_ZN7rocprim17ROCPRIM_400000_NS6detail17trampoline_kernelINS0_14default_configENS1_25partition_config_selectorILNS1_17partition_subalgoE6EN6thrust23THRUST_200600_302600_NS5tupleIssNS7_9null_typeES9_S9_S9_S9_S9_S9_S9_EENS0_10empty_typeEbEEZZNS1_14partition_implILS5_6ELb0ES3_mNS7_12zip_iteratorINS8_INS7_6detail15normal_iteratorINS7_10device_ptrIsEEEESJ_S9_S9_S9_S9_S9_S9_S9_S9_EEEEPSB_SM_NS0_5tupleIJNSE_INS8_ISJ_NS7_16discard_iteratorINS7_11use_defaultEEES9_S9_S9_S9_S9_S9_S9_S9_EEEESB_EEENSN_IJSM_SM_EEESB_PlJNSF_9not_fun_tINSF_14equal_to_valueISA_EEEEEEE10hipError_tPvRmT3_T4_T5_T6_T7_T9_mT8_P12ihipStream_tbDpT10_ENKUlT_T0_E_clISt17integral_constantIbLb1EES1I_IbLb0EEEEDaS1E_S1F_EUlS1E_E_NS1_11comp_targetILNS1_3genE0ELNS1_11target_archE4294967295ELNS1_3gpuE0ELNS1_3repE0EEENS1_30default_config_static_selectorELNS0_4arch9wavefront6targetE0EEEvT1_,@function
_ZN7rocprim17ROCPRIM_400000_NS6detail17trampoline_kernelINS0_14default_configENS1_25partition_config_selectorILNS1_17partition_subalgoE6EN6thrust23THRUST_200600_302600_NS5tupleIssNS7_9null_typeES9_S9_S9_S9_S9_S9_S9_EENS0_10empty_typeEbEEZZNS1_14partition_implILS5_6ELb0ES3_mNS7_12zip_iteratorINS8_INS7_6detail15normal_iteratorINS7_10device_ptrIsEEEESJ_S9_S9_S9_S9_S9_S9_S9_S9_EEEEPSB_SM_NS0_5tupleIJNSE_INS8_ISJ_NS7_16discard_iteratorINS7_11use_defaultEEES9_S9_S9_S9_S9_S9_S9_S9_EEEESB_EEENSN_IJSM_SM_EEESB_PlJNSF_9not_fun_tINSF_14equal_to_valueISA_EEEEEEE10hipError_tPvRmT3_T4_T5_T6_T7_T9_mT8_P12ihipStream_tbDpT10_ENKUlT_T0_E_clISt17integral_constantIbLb1EES1I_IbLb0EEEEDaS1E_S1F_EUlS1E_E_NS1_11comp_targetILNS1_3genE0ELNS1_11target_archE4294967295ELNS1_3gpuE0ELNS1_3repE0EEENS1_30default_config_static_selectorELNS0_4arch9wavefront6targetE0EEEvT1_: ; @_ZN7rocprim17ROCPRIM_400000_NS6detail17trampoline_kernelINS0_14default_configENS1_25partition_config_selectorILNS1_17partition_subalgoE6EN6thrust23THRUST_200600_302600_NS5tupleIssNS7_9null_typeES9_S9_S9_S9_S9_S9_S9_EENS0_10empty_typeEbEEZZNS1_14partition_implILS5_6ELb0ES3_mNS7_12zip_iteratorINS8_INS7_6detail15normal_iteratorINS7_10device_ptrIsEEEESJ_S9_S9_S9_S9_S9_S9_S9_S9_EEEEPSB_SM_NS0_5tupleIJNSE_INS8_ISJ_NS7_16discard_iteratorINS7_11use_defaultEEES9_S9_S9_S9_S9_S9_S9_S9_EEEESB_EEENSN_IJSM_SM_EEESB_PlJNSF_9not_fun_tINSF_14equal_to_valueISA_EEEEEEE10hipError_tPvRmT3_T4_T5_T6_T7_T9_mT8_P12ihipStream_tbDpT10_ENKUlT_T0_E_clISt17integral_constantIbLb1EES1I_IbLb0EEEEDaS1E_S1F_EUlS1E_E_NS1_11comp_targetILNS1_3genE0ELNS1_11target_archE4294967295ELNS1_3gpuE0ELNS1_3repE0EEENS1_30default_config_static_selectorELNS0_4arch9wavefront6targetE0EEEvT1_
; %bb.0:
	.section	.rodata,"a",@progbits
	.p2align	6, 0x0
	.amdhsa_kernel _ZN7rocprim17ROCPRIM_400000_NS6detail17trampoline_kernelINS0_14default_configENS1_25partition_config_selectorILNS1_17partition_subalgoE6EN6thrust23THRUST_200600_302600_NS5tupleIssNS7_9null_typeES9_S9_S9_S9_S9_S9_S9_EENS0_10empty_typeEbEEZZNS1_14partition_implILS5_6ELb0ES3_mNS7_12zip_iteratorINS8_INS7_6detail15normal_iteratorINS7_10device_ptrIsEEEESJ_S9_S9_S9_S9_S9_S9_S9_S9_EEEEPSB_SM_NS0_5tupleIJNSE_INS8_ISJ_NS7_16discard_iteratorINS7_11use_defaultEEES9_S9_S9_S9_S9_S9_S9_S9_EEEESB_EEENSN_IJSM_SM_EEESB_PlJNSF_9not_fun_tINSF_14equal_to_valueISA_EEEEEEE10hipError_tPvRmT3_T4_T5_T6_T7_T9_mT8_P12ihipStream_tbDpT10_ENKUlT_T0_E_clISt17integral_constantIbLb1EES1I_IbLb0EEEEDaS1E_S1F_EUlS1E_E_NS1_11comp_targetILNS1_3genE0ELNS1_11target_archE4294967295ELNS1_3gpuE0ELNS1_3repE0EEENS1_30default_config_static_selectorELNS0_4arch9wavefront6targetE0EEEvT1_
		.amdhsa_group_segment_fixed_size 0
		.amdhsa_private_segment_fixed_size 0
		.amdhsa_kernarg_size 144
		.amdhsa_user_sgpr_count 2
		.amdhsa_user_sgpr_dispatch_ptr 0
		.amdhsa_user_sgpr_queue_ptr 0
		.amdhsa_user_sgpr_kernarg_segment_ptr 1
		.amdhsa_user_sgpr_dispatch_id 0
		.amdhsa_user_sgpr_private_segment_size 0
		.amdhsa_wavefront_size32 1
		.amdhsa_uses_dynamic_stack 0
		.amdhsa_enable_private_segment 0
		.amdhsa_system_sgpr_workgroup_id_x 1
		.amdhsa_system_sgpr_workgroup_id_y 0
		.amdhsa_system_sgpr_workgroup_id_z 0
		.amdhsa_system_sgpr_workgroup_info 0
		.amdhsa_system_vgpr_workitem_id 0
		.amdhsa_next_free_vgpr 1
		.amdhsa_next_free_sgpr 1
		.amdhsa_reserve_vcc 0
		.amdhsa_float_round_mode_32 0
		.amdhsa_float_round_mode_16_64 0
		.amdhsa_float_denorm_mode_32 3
		.amdhsa_float_denorm_mode_16_64 3
		.amdhsa_fp16_overflow 0
		.amdhsa_workgroup_processor_mode 1
		.amdhsa_memory_ordered 1
		.amdhsa_forward_progress 1
		.amdhsa_inst_pref_size 0
		.amdhsa_round_robin_scheduling 0
		.amdhsa_exception_fp_ieee_invalid_op 0
		.amdhsa_exception_fp_denorm_src 0
		.amdhsa_exception_fp_ieee_div_zero 0
		.amdhsa_exception_fp_ieee_overflow 0
		.amdhsa_exception_fp_ieee_underflow 0
		.amdhsa_exception_fp_ieee_inexact 0
		.amdhsa_exception_int_div_zero 0
	.end_amdhsa_kernel
	.section	.text._ZN7rocprim17ROCPRIM_400000_NS6detail17trampoline_kernelINS0_14default_configENS1_25partition_config_selectorILNS1_17partition_subalgoE6EN6thrust23THRUST_200600_302600_NS5tupleIssNS7_9null_typeES9_S9_S9_S9_S9_S9_S9_EENS0_10empty_typeEbEEZZNS1_14partition_implILS5_6ELb0ES3_mNS7_12zip_iteratorINS8_INS7_6detail15normal_iteratorINS7_10device_ptrIsEEEESJ_S9_S9_S9_S9_S9_S9_S9_S9_EEEEPSB_SM_NS0_5tupleIJNSE_INS8_ISJ_NS7_16discard_iteratorINS7_11use_defaultEEES9_S9_S9_S9_S9_S9_S9_S9_EEEESB_EEENSN_IJSM_SM_EEESB_PlJNSF_9not_fun_tINSF_14equal_to_valueISA_EEEEEEE10hipError_tPvRmT3_T4_T5_T6_T7_T9_mT8_P12ihipStream_tbDpT10_ENKUlT_T0_E_clISt17integral_constantIbLb1EES1I_IbLb0EEEEDaS1E_S1F_EUlS1E_E_NS1_11comp_targetILNS1_3genE0ELNS1_11target_archE4294967295ELNS1_3gpuE0ELNS1_3repE0EEENS1_30default_config_static_selectorELNS0_4arch9wavefront6targetE0EEEvT1_,"axG",@progbits,_ZN7rocprim17ROCPRIM_400000_NS6detail17trampoline_kernelINS0_14default_configENS1_25partition_config_selectorILNS1_17partition_subalgoE6EN6thrust23THRUST_200600_302600_NS5tupleIssNS7_9null_typeES9_S9_S9_S9_S9_S9_S9_EENS0_10empty_typeEbEEZZNS1_14partition_implILS5_6ELb0ES3_mNS7_12zip_iteratorINS8_INS7_6detail15normal_iteratorINS7_10device_ptrIsEEEESJ_S9_S9_S9_S9_S9_S9_S9_S9_EEEEPSB_SM_NS0_5tupleIJNSE_INS8_ISJ_NS7_16discard_iteratorINS7_11use_defaultEEES9_S9_S9_S9_S9_S9_S9_S9_EEEESB_EEENSN_IJSM_SM_EEESB_PlJNSF_9not_fun_tINSF_14equal_to_valueISA_EEEEEEE10hipError_tPvRmT3_T4_T5_T6_T7_T9_mT8_P12ihipStream_tbDpT10_ENKUlT_T0_E_clISt17integral_constantIbLb1EES1I_IbLb0EEEEDaS1E_S1F_EUlS1E_E_NS1_11comp_targetILNS1_3genE0ELNS1_11target_archE4294967295ELNS1_3gpuE0ELNS1_3repE0EEENS1_30default_config_static_selectorELNS0_4arch9wavefront6targetE0EEEvT1_,comdat
.Lfunc_end2061:
	.size	_ZN7rocprim17ROCPRIM_400000_NS6detail17trampoline_kernelINS0_14default_configENS1_25partition_config_selectorILNS1_17partition_subalgoE6EN6thrust23THRUST_200600_302600_NS5tupleIssNS7_9null_typeES9_S9_S9_S9_S9_S9_S9_EENS0_10empty_typeEbEEZZNS1_14partition_implILS5_6ELb0ES3_mNS7_12zip_iteratorINS8_INS7_6detail15normal_iteratorINS7_10device_ptrIsEEEESJ_S9_S9_S9_S9_S9_S9_S9_S9_EEEEPSB_SM_NS0_5tupleIJNSE_INS8_ISJ_NS7_16discard_iteratorINS7_11use_defaultEEES9_S9_S9_S9_S9_S9_S9_S9_EEEESB_EEENSN_IJSM_SM_EEESB_PlJNSF_9not_fun_tINSF_14equal_to_valueISA_EEEEEEE10hipError_tPvRmT3_T4_T5_T6_T7_T9_mT8_P12ihipStream_tbDpT10_ENKUlT_T0_E_clISt17integral_constantIbLb1EES1I_IbLb0EEEEDaS1E_S1F_EUlS1E_E_NS1_11comp_targetILNS1_3genE0ELNS1_11target_archE4294967295ELNS1_3gpuE0ELNS1_3repE0EEENS1_30default_config_static_selectorELNS0_4arch9wavefront6targetE0EEEvT1_, .Lfunc_end2061-_ZN7rocprim17ROCPRIM_400000_NS6detail17trampoline_kernelINS0_14default_configENS1_25partition_config_selectorILNS1_17partition_subalgoE6EN6thrust23THRUST_200600_302600_NS5tupleIssNS7_9null_typeES9_S9_S9_S9_S9_S9_S9_EENS0_10empty_typeEbEEZZNS1_14partition_implILS5_6ELb0ES3_mNS7_12zip_iteratorINS8_INS7_6detail15normal_iteratorINS7_10device_ptrIsEEEESJ_S9_S9_S9_S9_S9_S9_S9_S9_EEEEPSB_SM_NS0_5tupleIJNSE_INS8_ISJ_NS7_16discard_iteratorINS7_11use_defaultEEES9_S9_S9_S9_S9_S9_S9_S9_EEEESB_EEENSN_IJSM_SM_EEESB_PlJNSF_9not_fun_tINSF_14equal_to_valueISA_EEEEEEE10hipError_tPvRmT3_T4_T5_T6_T7_T9_mT8_P12ihipStream_tbDpT10_ENKUlT_T0_E_clISt17integral_constantIbLb1EES1I_IbLb0EEEEDaS1E_S1F_EUlS1E_E_NS1_11comp_targetILNS1_3genE0ELNS1_11target_archE4294967295ELNS1_3gpuE0ELNS1_3repE0EEENS1_30default_config_static_selectorELNS0_4arch9wavefront6targetE0EEEvT1_
                                        ; -- End function
	.set _ZN7rocprim17ROCPRIM_400000_NS6detail17trampoline_kernelINS0_14default_configENS1_25partition_config_selectorILNS1_17partition_subalgoE6EN6thrust23THRUST_200600_302600_NS5tupleIssNS7_9null_typeES9_S9_S9_S9_S9_S9_S9_EENS0_10empty_typeEbEEZZNS1_14partition_implILS5_6ELb0ES3_mNS7_12zip_iteratorINS8_INS7_6detail15normal_iteratorINS7_10device_ptrIsEEEESJ_S9_S9_S9_S9_S9_S9_S9_S9_EEEEPSB_SM_NS0_5tupleIJNSE_INS8_ISJ_NS7_16discard_iteratorINS7_11use_defaultEEES9_S9_S9_S9_S9_S9_S9_S9_EEEESB_EEENSN_IJSM_SM_EEESB_PlJNSF_9not_fun_tINSF_14equal_to_valueISA_EEEEEEE10hipError_tPvRmT3_T4_T5_T6_T7_T9_mT8_P12ihipStream_tbDpT10_ENKUlT_T0_E_clISt17integral_constantIbLb1EES1I_IbLb0EEEEDaS1E_S1F_EUlS1E_E_NS1_11comp_targetILNS1_3genE0ELNS1_11target_archE4294967295ELNS1_3gpuE0ELNS1_3repE0EEENS1_30default_config_static_selectorELNS0_4arch9wavefront6targetE0EEEvT1_.num_vgpr, 0
	.set _ZN7rocprim17ROCPRIM_400000_NS6detail17trampoline_kernelINS0_14default_configENS1_25partition_config_selectorILNS1_17partition_subalgoE6EN6thrust23THRUST_200600_302600_NS5tupleIssNS7_9null_typeES9_S9_S9_S9_S9_S9_S9_EENS0_10empty_typeEbEEZZNS1_14partition_implILS5_6ELb0ES3_mNS7_12zip_iteratorINS8_INS7_6detail15normal_iteratorINS7_10device_ptrIsEEEESJ_S9_S9_S9_S9_S9_S9_S9_S9_EEEEPSB_SM_NS0_5tupleIJNSE_INS8_ISJ_NS7_16discard_iteratorINS7_11use_defaultEEES9_S9_S9_S9_S9_S9_S9_S9_EEEESB_EEENSN_IJSM_SM_EEESB_PlJNSF_9not_fun_tINSF_14equal_to_valueISA_EEEEEEE10hipError_tPvRmT3_T4_T5_T6_T7_T9_mT8_P12ihipStream_tbDpT10_ENKUlT_T0_E_clISt17integral_constantIbLb1EES1I_IbLb0EEEEDaS1E_S1F_EUlS1E_E_NS1_11comp_targetILNS1_3genE0ELNS1_11target_archE4294967295ELNS1_3gpuE0ELNS1_3repE0EEENS1_30default_config_static_selectorELNS0_4arch9wavefront6targetE0EEEvT1_.num_agpr, 0
	.set _ZN7rocprim17ROCPRIM_400000_NS6detail17trampoline_kernelINS0_14default_configENS1_25partition_config_selectorILNS1_17partition_subalgoE6EN6thrust23THRUST_200600_302600_NS5tupleIssNS7_9null_typeES9_S9_S9_S9_S9_S9_S9_EENS0_10empty_typeEbEEZZNS1_14partition_implILS5_6ELb0ES3_mNS7_12zip_iteratorINS8_INS7_6detail15normal_iteratorINS7_10device_ptrIsEEEESJ_S9_S9_S9_S9_S9_S9_S9_S9_EEEEPSB_SM_NS0_5tupleIJNSE_INS8_ISJ_NS7_16discard_iteratorINS7_11use_defaultEEES9_S9_S9_S9_S9_S9_S9_S9_EEEESB_EEENSN_IJSM_SM_EEESB_PlJNSF_9not_fun_tINSF_14equal_to_valueISA_EEEEEEE10hipError_tPvRmT3_T4_T5_T6_T7_T9_mT8_P12ihipStream_tbDpT10_ENKUlT_T0_E_clISt17integral_constantIbLb1EES1I_IbLb0EEEEDaS1E_S1F_EUlS1E_E_NS1_11comp_targetILNS1_3genE0ELNS1_11target_archE4294967295ELNS1_3gpuE0ELNS1_3repE0EEENS1_30default_config_static_selectorELNS0_4arch9wavefront6targetE0EEEvT1_.numbered_sgpr, 0
	.set _ZN7rocprim17ROCPRIM_400000_NS6detail17trampoline_kernelINS0_14default_configENS1_25partition_config_selectorILNS1_17partition_subalgoE6EN6thrust23THRUST_200600_302600_NS5tupleIssNS7_9null_typeES9_S9_S9_S9_S9_S9_S9_EENS0_10empty_typeEbEEZZNS1_14partition_implILS5_6ELb0ES3_mNS7_12zip_iteratorINS8_INS7_6detail15normal_iteratorINS7_10device_ptrIsEEEESJ_S9_S9_S9_S9_S9_S9_S9_S9_EEEEPSB_SM_NS0_5tupleIJNSE_INS8_ISJ_NS7_16discard_iteratorINS7_11use_defaultEEES9_S9_S9_S9_S9_S9_S9_S9_EEEESB_EEENSN_IJSM_SM_EEESB_PlJNSF_9not_fun_tINSF_14equal_to_valueISA_EEEEEEE10hipError_tPvRmT3_T4_T5_T6_T7_T9_mT8_P12ihipStream_tbDpT10_ENKUlT_T0_E_clISt17integral_constantIbLb1EES1I_IbLb0EEEEDaS1E_S1F_EUlS1E_E_NS1_11comp_targetILNS1_3genE0ELNS1_11target_archE4294967295ELNS1_3gpuE0ELNS1_3repE0EEENS1_30default_config_static_selectorELNS0_4arch9wavefront6targetE0EEEvT1_.num_named_barrier, 0
	.set _ZN7rocprim17ROCPRIM_400000_NS6detail17trampoline_kernelINS0_14default_configENS1_25partition_config_selectorILNS1_17partition_subalgoE6EN6thrust23THRUST_200600_302600_NS5tupleIssNS7_9null_typeES9_S9_S9_S9_S9_S9_S9_EENS0_10empty_typeEbEEZZNS1_14partition_implILS5_6ELb0ES3_mNS7_12zip_iteratorINS8_INS7_6detail15normal_iteratorINS7_10device_ptrIsEEEESJ_S9_S9_S9_S9_S9_S9_S9_S9_EEEEPSB_SM_NS0_5tupleIJNSE_INS8_ISJ_NS7_16discard_iteratorINS7_11use_defaultEEES9_S9_S9_S9_S9_S9_S9_S9_EEEESB_EEENSN_IJSM_SM_EEESB_PlJNSF_9not_fun_tINSF_14equal_to_valueISA_EEEEEEE10hipError_tPvRmT3_T4_T5_T6_T7_T9_mT8_P12ihipStream_tbDpT10_ENKUlT_T0_E_clISt17integral_constantIbLb1EES1I_IbLb0EEEEDaS1E_S1F_EUlS1E_E_NS1_11comp_targetILNS1_3genE0ELNS1_11target_archE4294967295ELNS1_3gpuE0ELNS1_3repE0EEENS1_30default_config_static_selectorELNS0_4arch9wavefront6targetE0EEEvT1_.private_seg_size, 0
	.set _ZN7rocprim17ROCPRIM_400000_NS6detail17trampoline_kernelINS0_14default_configENS1_25partition_config_selectorILNS1_17partition_subalgoE6EN6thrust23THRUST_200600_302600_NS5tupleIssNS7_9null_typeES9_S9_S9_S9_S9_S9_S9_EENS0_10empty_typeEbEEZZNS1_14partition_implILS5_6ELb0ES3_mNS7_12zip_iteratorINS8_INS7_6detail15normal_iteratorINS7_10device_ptrIsEEEESJ_S9_S9_S9_S9_S9_S9_S9_S9_EEEEPSB_SM_NS0_5tupleIJNSE_INS8_ISJ_NS7_16discard_iteratorINS7_11use_defaultEEES9_S9_S9_S9_S9_S9_S9_S9_EEEESB_EEENSN_IJSM_SM_EEESB_PlJNSF_9not_fun_tINSF_14equal_to_valueISA_EEEEEEE10hipError_tPvRmT3_T4_T5_T6_T7_T9_mT8_P12ihipStream_tbDpT10_ENKUlT_T0_E_clISt17integral_constantIbLb1EES1I_IbLb0EEEEDaS1E_S1F_EUlS1E_E_NS1_11comp_targetILNS1_3genE0ELNS1_11target_archE4294967295ELNS1_3gpuE0ELNS1_3repE0EEENS1_30default_config_static_selectorELNS0_4arch9wavefront6targetE0EEEvT1_.uses_vcc, 0
	.set _ZN7rocprim17ROCPRIM_400000_NS6detail17trampoline_kernelINS0_14default_configENS1_25partition_config_selectorILNS1_17partition_subalgoE6EN6thrust23THRUST_200600_302600_NS5tupleIssNS7_9null_typeES9_S9_S9_S9_S9_S9_S9_EENS0_10empty_typeEbEEZZNS1_14partition_implILS5_6ELb0ES3_mNS7_12zip_iteratorINS8_INS7_6detail15normal_iteratorINS7_10device_ptrIsEEEESJ_S9_S9_S9_S9_S9_S9_S9_S9_EEEEPSB_SM_NS0_5tupleIJNSE_INS8_ISJ_NS7_16discard_iteratorINS7_11use_defaultEEES9_S9_S9_S9_S9_S9_S9_S9_EEEESB_EEENSN_IJSM_SM_EEESB_PlJNSF_9not_fun_tINSF_14equal_to_valueISA_EEEEEEE10hipError_tPvRmT3_T4_T5_T6_T7_T9_mT8_P12ihipStream_tbDpT10_ENKUlT_T0_E_clISt17integral_constantIbLb1EES1I_IbLb0EEEEDaS1E_S1F_EUlS1E_E_NS1_11comp_targetILNS1_3genE0ELNS1_11target_archE4294967295ELNS1_3gpuE0ELNS1_3repE0EEENS1_30default_config_static_selectorELNS0_4arch9wavefront6targetE0EEEvT1_.uses_flat_scratch, 0
	.set _ZN7rocprim17ROCPRIM_400000_NS6detail17trampoline_kernelINS0_14default_configENS1_25partition_config_selectorILNS1_17partition_subalgoE6EN6thrust23THRUST_200600_302600_NS5tupleIssNS7_9null_typeES9_S9_S9_S9_S9_S9_S9_EENS0_10empty_typeEbEEZZNS1_14partition_implILS5_6ELb0ES3_mNS7_12zip_iteratorINS8_INS7_6detail15normal_iteratorINS7_10device_ptrIsEEEESJ_S9_S9_S9_S9_S9_S9_S9_S9_EEEEPSB_SM_NS0_5tupleIJNSE_INS8_ISJ_NS7_16discard_iteratorINS7_11use_defaultEEES9_S9_S9_S9_S9_S9_S9_S9_EEEESB_EEENSN_IJSM_SM_EEESB_PlJNSF_9not_fun_tINSF_14equal_to_valueISA_EEEEEEE10hipError_tPvRmT3_T4_T5_T6_T7_T9_mT8_P12ihipStream_tbDpT10_ENKUlT_T0_E_clISt17integral_constantIbLb1EES1I_IbLb0EEEEDaS1E_S1F_EUlS1E_E_NS1_11comp_targetILNS1_3genE0ELNS1_11target_archE4294967295ELNS1_3gpuE0ELNS1_3repE0EEENS1_30default_config_static_selectorELNS0_4arch9wavefront6targetE0EEEvT1_.has_dyn_sized_stack, 0
	.set _ZN7rocprim17ROCPRIM_400000_NS6detail17trampoline_kernelINS0_14default_configENS1_25partition_config_selectorILNS1_17partition_subalgoE6EN6thrust23THRUST_200600_302600_NS5tupleIssNS7_9null_typeES9_S9_S9_S9_S9_S9_S9_EENS0_10empty_typeEbEEZZNS1_14partition_implILS5_6ELb0ES3_mNS7_12zip_iteratorINS8_INS7_6detail15normal_iteratorINS7_10device_ptrIsEEEESJ_S9_S9_S9_S9_S9_S9_S9_S9_EEEEPSB_SM_NS0_5tupleIJNSE_INS8_ISJ_NS7_16discard_iteratorINS7_11use_defaultEEES9_S9_S9_S9_S9_S9_S9_S9_EEEESB_EEENSN_IJSM_SM_EEESB_PlJNSF_9not_fun_tINSF_14equal_to_valueISA_EEEEEEE10hipError_tPvRmT3_T4_T5_T6_T7_T9_mT8_P12ihipStream_tbDpT10_ENKUlT_T0_E_clISt17integral_constantIbLb1EES1I_IbLb0EEEEDaS1E_S1F_EUlS1E_E_NS1_11comp_targetILNS1_3genE0ELNS1_11target_archE4294967295ELNS1_3gpuE0ELNS1_3repE0EEENS1_30default_config_static_selectorELNS0_4arch9wavefront6targetE0EEEvT1_.has_recursion, 0
	.set _ZN7rocprim17ROCPRIM_400000_NS6detail17trampoline_kernelINS0_14default_configENS1_25partition_config_selectorILNS1_17partition_subalgoE6EN6thrust23THRUST_200600_302600_NS5tupleIssNS7_9null_typeES9_S9_S9_S9_S9_S9_S9_EENS0_10empty_typeEbEEZZNS1_14partition_implILS5_6ELb0ES3_mNS7_12zip_iteratorINS8_INS7_6detail15normal_iteratorINS7_10device_ptrIsEEEESJ_S9_S9_S9_S9_S9_S9_S9_S9_EEEEPSB_SM_NS0_5tupleIJNSE_INS8_ISJ_NS7_16discard_iteratorINS7_11use_defaultEEES9_S9_S9_S9_S9_S9_S9_S9_EEEESB_EEENSN_IJSM_SM_EEESB_PlJNSF_9not_fun_tINSF_14equal_to_valueISA_EEEEEEE10hipError_tPvRmT3_T4_T5_T6_T7_T9_mT8_P12ihipStream_tbDpT10_ENKUlT_T0_E_clISt17integral_constantIbLb1EES1I_IbLb0EEEEDaS1E_S1F_EUlS1E_E_NS1_11comp_targetILNS1_3genE0ELNS1_11target_archE4294967295ELNS1_3gpuE0ELNS1_3repE0EEENS1_30default_config_static_selectorELNS0_4arch9wavefront6targetE0EEEvT1_.has_indirect_call, 0
	.section	.AMDGPU.csdata,"",@progbits
; Kernel info:
; codeLenInByte = 0
; TotalNumSgprs: 0
; NumVgprs: 0
; ScratchSize: 0
; MemoryBound: 0
; FloatMode: 240
; IeeeMode: 1
; LDSByteSize: 0 bytes/workgroup (compile time only)
; SGPRBlocks: 0
; VGPRBlocks: 0
; NumSGPRsForWavesPerEU: 1
; NumVGPRsForWavesPerEU: 1
; Occupancy: 16
; WaveLimiterHint : 0
; COMPUTE_PGM_RSRC2:SCRATCH_EN: 0
; COMPUTE_PGM_RSRC2:USER_SGPR: 2
; COMPUTE_PGM_RSRC2:TRAP_HANDLER: 0
; COMPUTE_PGM_RSRC2:TGID_X_EN: 1
; COMPUTE_PGM_RSRC2:TGID_Y_EN: 0
; COMPUTE_PGM_RSRC2:TGID_Z_EN: 0
; COMPUTE_PGM_RSRC2:TIDIG_COMP_CNT: 0
	.section	.text._ZN7rocprim17ROCPRIM_400000_NS6detail17trampoline_kernelINS0_14default_configENS1_25partition_config_selectorILNS1_17partition_subalgoE6EN6thrust23THRUST_200600_302600_NS5tupleIssNS7_9null_typeES9_S9_S9_S9_S9_S9_S9_EENS0_10empty_typeEbEEZZNS1_14partition_implILS5_6ELb0ES3_mNS7_12zip_iteratorINS8_INS7_6detail15normal_iteratorINS7_10device_ptrIsEEEESJ_S9_S9_S9_S9_S9_S9_S9_S9_EEEEPSB_SM_NS0_5tupleIJNSE_INS8_ISJ_NS7_16discard_iteratorINS7_11use_defaultEEES9_S9_S9_S9_S9_S9_S9_S9_EEEESB_EEENSN_IJSM_SM_EEESB_PlJNSF_9not_fun_tINSF_14equal_to_valueISA_EEEEEEE10hipError_tPvRmT3_T4_T5_T6_T7_T9_mT8_P12ihipStream_tbDpT10_ENKUlT_T0_E_clISt17integral_constantIbLb1EES1I_IbLb0EEEEDaS1E_S1F_EUlS1E_E_NS1_11comp_targetILNS1_3genE5ELNS1_11target_archE942ELNS1_3gpuE9ELNS1_3repE0EEENS1_30default_config_static_selectorELNS0_4arch9wavefront6targetE0EEEvT1_,"axG",@progbits,_ZN7rocprim17ROCPRIM_400000_NS6detail17trampoline_kernelINS0_14default_configENS1_25partition_config_selectorILNS1_17partition_subalgoE6EN6thrust23THRUST_200600_302600_NS5tupleIssNS7_9null_typeES9_S9_S9_S9_S9_S9_S9_EENS0_10empty_typeEbEEZZNS1_14partition_implILS5_6ELb0ES3_mNS7_12zip_iteratorINS8_INS7_6detail15normal_iteratorINS7_10device_ptrIsEEEESJ_S9_S9_S9_S9_S9_S9_S9_S9_EEEEPSB_SM_NS0_5tupleIJNSE_INS8_ISJ_NS7_16discard_iteratorINS7_11use_defaultEEES9_S9_S9_S9_S9_S9_S9_S9_EEEESB_EEENSN_IJSM_SM_EEESB_PlJNSF_9not_fun_tINSF_14equal_to_valueISA_EEEEEEE10hipError_tPvRmT3_T4_T5_T6_T7_T9_mT8_P12ihipStream_tbDpT10_ENKUlT_T0_E_clISt17integral_constantIbLb1EES1I_IbLb0EEEEDaS1E_S1F_EUlS1E_E_NS1_11comp_targetILNS1_3genE5ELNS1_11target_archE942ELNS1_3gpuE9ELNS1_3repE0EEENS1_30default_config_static_selectorELNS0_4arch9wavefront6targetE0EEEvT1_,comdat
	.protected	_ZN7rocprim17ROCPRIM_400000_NS6detail17trampoline_kernelINS0_14default_configENS1_25partition_config_selectorILNS1_17partition_subalgoE6EN6thrust23THRUST_200600_302600_NS5tupleIssNS7_9null_typeES9_S9_S9_S9_S9_S9_S9_EENS0_10empty_typeEbEEZZNS1_14partition_implILS5_6ELb0ES3_mNS7_12zip_iteratorINS8_INS7_6detail15normal_iteratorINS7_10device_ptrIsEEEESJ_S9_S9_S9_S9_S9_S9_S9_S9_EEEEPSB_SM_NS0_5tupleIJNSE_INS8_ISJ_NS7_16discard_iteratorINS7_11use_defaultEEES9_S9_S9_S9_S9_S9_S9_S9_EEEESB_EEENSN_IJSM_SM_EEESB_PlJNSF_9not_fun_tINSF_14equal_to_valueISA_EEEEEEE10hipError_tPvRmT3_T4_T5_T6_T7_T9_mT8_P12ihipStream_tbDpT10_ENKUlT_T0_E_clISt17integral_constantIbLb1EES1I_IbLb0EEEEDaS1E_S1F_EUlS1E_E_NS1_11comp_targetILNS1_3genE5ELNS1_11target_archE942ELNS1_3gpuE9ELNS1_3repE0EEENS1_30default_config_static_selectorELNS0_4arch9wavefront6targetE0EEEvT1_ ; -- Begin function _ZN7rocprim17ROCPRIM_400000_NS6detail17trampoline_kernelINS0_14default_configENS1_25partition_config_selectorILNS1_17partition_subalgoE6EN6thrust23THRUST_200600_302600_NS5tupleIssNS7_9null_typeES9_S9_S9_S9_S9_S9_S9_EENS0_10empty_typeEbEEZZNS1_14partition_implILS5_6ELb0ES3_mNS7_12zip_iteratorINS8_INS7_6detail15normal_iteratorINS7_10device_ptrIsEEEESJ_S9_S9_S9_S9_S9_S9_S9_S9_EEEEPSB_SM_NS0_5tupleIJNSE_INS8_ISJ_NS7_16discard_iteratorINS7_11use_defaultEEES9_S9_S9_S9_S9_S9_S9_S9_EEEESB_EEENSN_IJSM_SM_EEESB_PlJNSF_9not_fun_tINSF_14equal_to_valueISA_EEEEEEE10hipError_tPvRmT3_T4_T5_T6_T7_T9_mT8_P12ihipStream_tbDpT10_ENKUlT_T0_E_clISt17integral_constantIbLb1EES1I_IbLb0EEEEDaS1E_S1F_EUlS1E_E_NS1_11comp_targetILNS1_3genE5ELNS1_11target_archE942ELNS1_3gpuE9ELNS1_3repE0EEENS1_30default_config_static_selectorELNS0_4arch9wavefront6targetE0EEEvT1_
	.globl	_ZN7rocprim17ROCPRIM_400000_NS6detail17trampoline_kernelINS0_14default_configENS1_25partition_config_selectorILNS1_17partition_subalgoE6EN6thrust23THRUST_200600_302600_NS5tupleIssNS7_9null_typeES9_S9_S9_S9_S9_S9_S9_EENS0_10empty_typeEbEEZZNS1_14partition_implILS5_6ELb0ES3_mNS7_12zip_iteratorINS8_INS7_6detail15normal_iteratorINS7_10device_ptrIsEEEESJ_S9_S9_S9_S9_S9_S9_S9_S9_EEEEPSB_SM_NS0_5tupleIJNSE_INS8_ISJ_NS7_16discard_iteratorINS7_11use_defaultEEES9_S9_S9_S9_S9_S9_S9_S9_EEEESB_EEENSN_IJSM_SM_EEESB_PlJNSF_9not_fun_tINSF_14equal_to_valueISA_EEEEEEE10hipError_tPvRmT3_T4_T5_T6_T7_T9_mT8_P12ihipStream_tbDpT10_ENKUlT_T0_E_clISt17integral_constantIbLb1EES1I_IbLb0EEEEDaS1E_S1F_EUlS1E_E_NS1_11comp_targetILNS1_3genE5ELNS1_11target_archE942ELNS1_3gpuE9ELNS1_3repE0EEENS1_30default_config_static_selectorELNS0_4arch9wavefront6targetE0EEEvT1_
	.p2align	8
	.type	_ZN7rocprim17ROCPRIM_400000_NS6detail17trampoline_kernelINS0_14default_configENS1_25partition_config_selectorILNS1_17partition_subalgoE6EN6thrust23THRUST_200600_302600_NS5tupleIssNS7_9null_typeES9_S9_S9_S9_S9_S9_S9_EENS0_10empty_typeEbEEZZNS1_14partition_implILS5_6ELb0ES3_mNS7_12zip_iteratorINS8_INS7_6detail15normal_iteratorINS7_10device_ptrIsEEEESJ_S9_S9_S9_S9_S9_S9_S9_S9_EEEEPSB_SM_NS0_5tupleIJNSE_INS8_ISJ_NS7_16discard_iteratorINS7_11use_defaultEEES9_S9_S9_S9_S9_S9_S9_S9_EEEESB_EEENSN_IJSM_SM_EEESB_PlJNSF_9not_fun_tINSF_14equal_to_valueISA_EEEEEEE10hipError_tPvRmT3_T4_T5_T6_T7_T9_mT8_P12ihipStream_tbDpT10_ENKUlT_T0_E_clISt17integral_constantIbLb1EES1I_IbLb0EEEEDaS1E_S1F_EUlS1E_E_NS1_11comp_targetILNS1_3genE5ELNS1_11target_archE942ELNS1_3gpuE9ELNS1_3repE0EEENS1_30default_config_static_selectorELNS0_4arch9wavefront6targetE0EEEvT1_,@function
_ZN7rocprim17ROCPRIM_400000_NS6detail17trampoline_kernelINS0_14default_configENS1_25partition_config_selectorILNS1_17partition_subalgoE6EN6thrust23THRUST_200600_302600_NS5tupleIssNS7_9null_typeES9_S9_S9_S9_S9_S9_S9_EENS0_10empty_typeEbEEZZNS1_14partition_implILS5_6ELb0ES3_mNS7_12zip_iteratorINS8_INS7_6detail15normal_iteratorINS7_10device_ptrIsEEEESJ_S9_S9_S9_S9_S9_S9_S9_S9_EEEEPSB_SM_NS0_5tupleIJNSE_INS8_ISJ_NS7_16discard_iteratorINS7_11use_defaultEEES9_S9_S9_S9_S9_S9_S9_S9_EEEESB_EEENSN_IJSM_SM_EEESB_PlJNSF_9not_fun_tINSF_14equal_to_valueISA_EEEEEEE10hipError_tPvRmT3_T4_T5_T6_T7_T9_mT8_P12ihipStream_tbDpT10_ENKUlT_T0_E_clISt17integral_constantIbLb1EES1I_IbLb0EEEEDaS1E_S1F_EUlS1E_E_NS1_11comp_targetILNS1_3genE5ELNS1_11target_archE942ELNS1_3gpuE9ELNS1_3repE0EEENS1_30default_config_static_selectorELNS0_4arch9wavefront6targetE0EEEvT1_: ; @_ZN7rocprim17ROCPRIM_400000_NS6detail17trampoline_kernelINS0_14default_configENS1_25partition_config_selectorILNS1_17partition_subalgoE6EN6thrust23THRUST_200600_302600_NS5tupleIssNS7_9null_typeES9_S9_S9_S9_S9_S9_S9_EENS0_10empty_typeEbEEZZNS1_14partition_implILS5_6ELb0ES3_mNS7_12zip_iteratorINS8_INS7_6detail15normal_iteratorINS7_10device_ptrIsEEEESJ_S9_S9_S9_S9_S9_S9_S9_S9_EEEEPSB_SM_NS0_5tupleIJNSE_INS8_ISJ_NS7_16discard_iteratorINS7_11use_defaultEEES9_S9_S9_S9_S9_S9_S9_S9_EEEESB_EEENSN_IJSM_SM_EEESB_PlJNSF_9not_fun_tINSF_14equal_to_valueISA_EEEEEEE10hipError_tPvRmT3_T4_T5_T6_T7_T9_mT8_P12ihipStream_tbDpT10_ENKUlT_T0_E_clISt17integral_constantIbLb1EES1I_IbLb0EEEEDaS1E_S1F_EUlS1E_E_NS1_11comp_targetILNS1_3genE5ELNS1_11target_archE942ELNS1_3gpuE9ELNS1_3repE0EEENS1_30default_config_static_selectorELNS0_4arch9wavefront6targetE0EEEvT1_
; %bb.0:
	.section	.rodata,"a",@progbits
	.p2align	6, 0x0
	.amdhsa_kernel _ZN7rocprim17ROCPRIM_400000_NS6detail17trampoline_kernelINS0_14default_configENS1_25partition_config_selectorILNS1_17partition_subalgoE6EN6thrust23THRUST_200600_302600_NS5tupleIssNS7_9null_typeES9_S9_S9_S9_S9_S9_S9_EENS0_10empty_typeEbEEZZNS1_14partition_implILS5_6ELb0ES3_mNS7_12zip_iteratorINS8_INS7_6detail15normal_iteratorINS7_10device_ptrIsEEEESJ_S9_S9_S9_S9_S9_S9_S9_S9_EEEEPSB_SM_NS0_5tupleIJNSE_INS8_ISJ_NS7_16discard_iteratorINS7_11use_defaultEEES9_S9_S9_S9_S9_S9_S9_S9_EEEESB_EEENSN_IJSM_SM_EEESB_PlJNSF_9not_fun_tINSF_14equal_to_valueISA_EEEEEEE10hipError_tPvRmT3_T4_T5_T6_T7_T9_mT8_P12ihipStream_tbDpT10_ENKUlT_T0_E_clISt17integral_constantIbLb1EES1I_IbLb0EEEEDaS1E_S1F_EUlS1E_E_NS1_11comp_targetILNS1_3genE5ELNS1_11target_archE942ELNS1_3gpuE9ELNS1_3repE0EEENS1_30default_config_static_selectorELNS0_4arch9wavefront6targetE0EEEvT1_
		.amdhsa_group_segment_fixed_size 0
		.amdhsa_private_segment_fixed_size 0
		.amdhsa_kernarg_size 144
		.amdhsa_user_sgpr_count 2
		.amdhsa_user_sgpr_dispatch_ptr 0
		.amdhsa_user_sgpr_queue_ptr 0
		.amdhsa_user_sgpr_kernarg_segment_ptr 1
		.amdhsa_user_sgpr_dispatch_id 0
		.amdhsa_user_sgpr_private_segment_size 0
		.amdhsa_wavefront_size32 1
		.amdhsa_uses_dynamic_stack 0
		.amdhsa_enable_private_segment 0
		.amdhsa_system_sgpr_workgroup_id_x 1
		.amdhsa_system_sgpr_workgroup_id_y 0
		.amdhsa_system_sgpr_workgroup_id_z 0
		.amdhsa_system_sgpr_workgroup_info 0
		.amdhsa_system_vgpr_workitem_id 0
		.amdhsa_next_free_vgpr 1
		.amdhsa_next_free_sgpr 1
		.amdhsa_reserve_vcc 0
		.amdhsa_float_round_mode_32 0
		.amdhsa_float_round_mode_16_64 0
		.amdhsa_float_denorm_mode_32 3
		.amdhsa_float_denorm_mode_16_64 3
		.amdhsa_fp16_overflow 0
		.amdhsa_workgroup_processor_mode 1
		.amdhsa_memory_ordered 1
		.amdhsa_forward_progress 1
		.amdhsa_inst_pref_size 0
		.amdhsa_round_robin_scheduling 0
		.amdhsa_exception_fp_ieee_invalid_op 0
		.amdhsa_exception_fp_denorm_src 0
		.amdhsa_exception_fp_ieee_div_zero 0
		.amdhsa_exception_fp_ieee_overflow 0
		.amdhsa_exception_fp_ieee_underflow 0
		.amdhsa_exception_fp_ieee_inexact 0
		.amdhsa_exception_int_div_zero 0
	.end_amdhsa_kernel
	.section	.text._ZN7rocprim17ROCPRIM_400000_NS6detail17trampoline_kernelINS0_14default_configENS1_25partition_config_selectorILNS1_17partition_subalgoE6EN6thrust23THRUST_200600_302600_NS5tupleIssNS7_9null_typeES9_S9_S9_S9_S9_S9_S9_EENS0_10empty_typeEbEEZZNS1_14partition_implILS5_6ELb0ES3_mNS7_12zip_iteratorINS8_INS7_6detail15normal_iteratorINS7_10device_ptrIsEEEESJ_S9_S9_S9_S9_S9_S9_S9_S9_EEEEPSB_SM_NS0_5tupleIJNSE_INS8_ISJ_NS7_16discard_iteratorINS7_11use_defaultEEES9_S9_S9_S9_S9_S9_S9_S9_EEEESB_EEENSN_IJSM_SM_EEESB_PlJNSF_9not_fun_tINSF_14equal_to_valueISA_EEEEEEE10hipError_tPvRmT3_T4_T5_T6_T7_T9_mT8_P12ihipStream_tbDpT10_ENKUlT_T0_E_clISt17integral_constantIbLb1EES1I_IbLb0EEEEDaS1E_S1F_EUlS1E_E_NS1_11comp_targetILNS1_3genE5ELNS1_11target_archE942ELNS1_3gpuE9ELNS1_3repE0EEENS1_30default_config_static_selectorELNS0_4arch9wavefront6targetE0EEEvT1_,"axG",@progbits,_ZN7rocprim17ROCPRIM_400000_NS6detail17trampoline_kernelINS0_14default_configENS1_25partition_config_selectorILNS1_17partition_subalgoE6EN6thrust23THRUST_200600_302600_NS5tupleIssNS7_9null_typeES9_S9_S9_S9_S9_S9_S9_EENS0_10empty_typeEbEEZZNS1_14partition_implILS5_6ELb0ES3_mNS7_12zip_iteratorINS8_INS7_6detail15normal_iteratorINS7_10device_ptrIsEEEESJ_S9_S9_S9_S9_S9_S9_S9_S9_EEEEPSB_SM_NS0_5tupleIJNSE_INS8_ISJ_NS7_16discard_iteratorINS7_11use_defaultEEES9_S9_S9_S9_S9_S9_S9_S9_EEEESB_EEENSN_IJSM_SM_EEESB_PlJNSF_9not_fun_tINSF_14equal_to_valueISA_EEEEEEE10hipError_tPvRmT3_T4_T5_T6_T7_T9_mT8_P12ihipStream_tbDpT10_ENKUlT_T0_E_clISt17integral_constantIbLb1EES1I_IbLb0EEEEDaS1E_S1F_EUlS1E_E_NS1_11comp_targetILNS1_3genE5ELNS1_11target_archE942ELNS1_3gpuE9ELNS1_3repE0EEENS1_30default_config_static_selectorELNS0_4arch9wavefront6targetE0EEEvT1_,comdat
.Lfunc_end2062:
	.size	_ZN7rocprim17ROCPRIM_400000_NS6detail17trampoline_kernelINS0_14default_configENS1_25partition_config_selectorILNS1_17partition_subalgoE6EN6thrust23THRUST_200600_302600_NS5tupleIssNS7_9null_typeES9_S9_S9_S9_S9_S9_S9_EENS0_10empty_typeEbEEZZNS1_14partition_implILS5_6ELb0ES3_mNS7_12zip_iteratorINS8_INS7_6detail15normal_iteratorINS7_10device_ptrIsEEEESJ_S9_S9_S9_S9_S9_S9_S9_S9_EEEEPSB_SM_NS0_5tupleIJNSE_INS8_ISJ_NS7_16discard_iteratorINS7_11use_defaultEEES9_S9_S9_S9_S9_S9_S9_S9_EEEESB_EEENSN_IJSM_SM_EEESB_PlJNSF_9not_fun_tINSF_14equal_to_valueISA_EEEEEEE10hipError_tPvRmT3_T4_T5_T6_T7_T9_mT8_P12ihipStream_tbDpT10_ENKUlT_T0_E_clISt17integral_constantIbLb1EES1I_IbLb0EEEEDaS1E_S1F_EUlS1E_E_NS1_11comp_targetILNS1_3genE5ELNS1_11target_archE942ELNS1_3gpuE9ELNS1_3repE0EEENS1_30default_config_static_selectorELNS0_4arch9wavefront6targetE0EEEvT1_, .Lfunc_end2062-_ZN7rocprim17ROCPRIM_400000_NS6detail17trampoline_kernelINS0_14default_configENS1_25partition_config_selectorILNS1_17partition_subalgoE6EN6thrust23THRUST_200600_302600_NS5tupleIssNS7_9null_typeES9_S9_S9_S9_S9_S9_S9_EENS0_10empty_typeEbEEZZNS1_14partition_implILS5_6ELb0ES3_mNS7_12zip_iteratorINS8_INS7_6detail15normal_iteratorINS7_10device_ptrIsEEEESJ_S9_S9_S9_S9_S9_S9_S9_S9_EEEEPSB_SM_NS0_5tupleIJNSE_INS8_ISJ_NS7_16discard_iteratorINS7_11use_defaultEEES9_S9_S9_S9_S9_S9_S9_S9_EEEESB_EEENSN_IJSM_SM_EEESB_PlJNSF_9not_fun_tINSF_14equal_to_valueISA_EEEEEEE10hipError_tPvRmT3_T4_T5_T6_T7_T9_mT8_P12ihipStream_tbDpT10_ENKUlT_T0_E_clISt17integral_constantIbLb1EES1I_IbLb0EEEEDaS1E_S1F_EUlS1E_E_NS1_11comp_targetILNS1_3genE5ELNS1_11target_archE942ELNS1_3gpuE9ELNS1_3repE0EEENS1_30default_config_static_selectorELNS0_4arch9wavefront6targetE0EEEvT1_
                                        ; -- End function
	.set _ZN7rocprim17ROCPRIM_400000_NS6detail17trampoline_kernelINS0_14default_configENS1_25partition_config_selectorILNS1_17partition_subalgoE6EN6thrust23THRUST_200600_302600_NS5tupleIssNS7_9null_typeES9_S9_S9_S9_S9_S9_S9_EENS0_10empty_typeEbEEZZNS1_14partition_implILS5_6ELb0ES3_mNS7_12zip_iteratorINS8_INS7_6detail15normal_iteratorINS7_10device_ptrIsEEEESJ_S9_S9_S9_S9_S9_S9_S9_S9_EEEEPSB_SM_NS0_5tupleIJNSE_INS8_ISJ_NS7_16discard_iteratorINS7_11use_defaultEEES9_S9_S9_S9_S9_S9_S9_S9_EEEESB_EEENSN_IJSM_SM_EEESB_PlJNSF_9not_fun_tINSF_14equal_to_valueISA_EEEEEEE10hipError_tPvRmT3_T4_T5_T6_T7_T9_mT8_P12ihipStream_tbDpT10_ENKUlT_T0_E_clISt17integral_constantIbLb1EES1I_IbLb0EEEEDaS1E_S1F_EUlS1E_E_NS1_11comp_targetILNS1_3genE5ELNS1_11target_archE942ELNS1_3gpuE9ELNS1_3repE0EEENS1_30default_config_static_selectorELNS0_4arch9wavefront6targetE0EEEvT1_.num_vgpr, 0
	.set _ZN7rocprim17ROCPRIM_400000_NS6detail17trampoline_kernelINS0_14default_configENS1_25partition_config_selectorILNS1_17partition_subalgoE6EN6thrust23THRUST_200600_302600_NS5tupleIssNS7_9null_typeES9_S9_S9_S9_S9_S9_S9_EENS0_10empty_typeEbEEZZNS1_14partition_implILS5_6ELb0ES3_mNS7_12zip_iteratorINS8_INS7_6detail15normal_iteratorINS7_10device_ptrIsEEEESJ_S9_S9_S9_S9_S9_S9_S9_S9_EEEEPSB_SM_NS0_5tupleIJNSE_INS8_ISJ_NS7_16discard_iteratorINS7_11use_defaultEEES9_S9_S9_S9_S9_S9_S9_S9_EEEESB_EEENSN_IJSM_SM_EEESB_PlJNSF_9not_fun_tINSF_14equal_to_valueISA_EEEEEEE10hipError_tPvRmT3_T4_T5_T6_T7_T9_mT8_P12ihipStream_tbDpT10_ENKUlT_T0_E_clISt17integral_constantIbLb1EES1I_IbLb0EEEEDaS1E_S1F_EUlS1E_E_NS1_11comp_targetILNS1_3genE5ELNS1_11target_archE942ELNS1_3gpuE9ELNS1_3repE0EEENS1_30default_config_static_selectorELNS0_4arch9wavefront6targetE0EEEvT1_.num_agpr, 0
	.set _ZN7rocprim17ROCPRIM_400000_NS6detail17trampoline_kernelINS0_14default_configENS1_25partition_config_selectorILNS1_17partition_subalgoE6EN6thrust23THRUST_200600_302600_NS5tupleIssNS7_9null_typeES9_S9_S9_S9_S9_S9_S9_EENS0_10empty_typeEbEEZZNS1_14partition_implILS5_6ELb0ES3_mNS7_12zip_iteratorINS8_INS7_6detail15normal_iteratorINS7_10device_ptrIsEEEESJ_S9_S9_S9_S9_S9_S9_S9_S9_EEEEPSB_SM_NS0_5tupleIJNSE_INS8_ISJ_NS7_16discard_iteratorINS7_11use_defaultEEES9_S9_S9_S9_S9_S9_S9_S9_EEEESB_EEENSN_IJSM_SM_EEESB_PlJNSF_9not_fun_tINSF_14equal_to_valueISA_EEEEEEE10hipError_tPvRmT3_T4_T5_T6_T7_T9_mT8_P12ihipStream_tbDpT10_ENKUlT_T0_E_clISt17integral_constantIbLb1EES1I_IbLb0EEEEDaS1E_S1F_EUlS1E_E_NS1_11comp_targetILNS1_3genE5ELNS1_11target_archE942ELNS1_3gpuE9ELNS1_3repE0EEENS1_30default_config_static_selectorELNS0_4arch9wavefront6targetE0EEEvT1_.numbered_sgpr, 0
	.set _ZN7rocprim17ROCPRIM_400000_NS6detail17trampoline_kernelINS0_14default_configENS1_25partition_config_selectorILNS1_17partition_subalgoE6EN6thrust23THRUST_200600_302600_NS5tupleIssNS7_9null_typeES9_S9_S9_S9_S9_S9_S9_EENS0_10empty_typeEbEEZZNS1_14partition_implILS5_6ELb0ES3_mNS7_12zip_iteratorINS8_INS7_6detail15normal_iteratorINS7_10device_ptrIsEEEESJ_S9_S9_S9_S9_S9_S9_S9_S9_EEEEPSB_SM_NS0_5tupleIJNSE_INS8_ISJ_NS7_16discard_iteratorINS7_11use_defaultEEES9_S9_S9_S9_S9_S9_S9_S9_EEEESB_EEENSN_IJSM_SM_EEESB_PlJNSF_9not_fun_tINSF_14equal_to_valueISA_EEEEEEE10hipError_tPvRmT3_T4_T5_T6_T7_T9_mT8_P12ihipStream_tbDpT10_ENKUlT_T0_E_clISt17integral_constantIbLb1EES1I_IbLb0EEEEDaS1E_S1F_EUlS1E_E_NS1_11comp_targetILNS1_3genE5ELNS1_11target_archE942ELNS1_3gpuE9ELNS1_3repE0EEENS1_30default_config_static_selectorELNS0_4arch9wavefront6targetE0EEEvT1_.num_named_barrier, 0
	.set _ZN7rocprim17ROCPRIM_400000_NS6detail17trampoline_kernelINS0_14default_configENS1_25partition_config_selectorILNS1_17partition_subalgoE6EN6thrust23THRUST_200600_302600_NS5tupleIssNS7_9null_typeES9_S9_S9_S9_S9_S9_S9_EENS0_10empty_typeEbEEZZNS1_14partition_implILS5_6ELb0ES3_mNS7_12zip_iteratorINS8_INS7_6detail15normal_iteratorINS7_10device_ptrIsEEEESJ_S9_S9_S9_S9_S9_S9_S9_S9_EEEEPSB_SM_NS0_5tupleIJNSE_INS8_ISJ_NS7_16discard_iteratorINS7_11use_defaultEEES9_S9_S9_S9_S9_S9_S9_S9_EEEESB_EEENSN_IJSM_SM_EEESB_PlJNSF_9not_fun_tINSF_14equal_to_valueISA_EEEEEEE10hipError_tPvRmT3_T4_T5_T6_T7_T9_mT8_P12ihipStream_tbDpT10_ENKUlT_T0_E_clISt17integral_constantIbLb1EES1I_IbLb0EEEEDaS1E_S1F_EUlS1E_E_NS1_11comp_targetILNS1_3genE5ELNS1_11target_archE942ELNS1_3gpuE9ELNS1_3repE0EEENS1_30default_config_static_selectorELNS0_4arch9wavefront6targetE0EEEvT1_.private_seg_size, 0
	.set _ZN7rocprim17ROCPRIM_400000_NS6detail17trampoline_kernelINS0_14default_configENS1_25partition_config_selectorILNS1_17partition_subalgoE6EN6thrust23THRUST_200600_302600_NS5tupleIssNS7_9null_typeES9_S9_S9_S9_S9_S9_S9_EENS0_10empty_typeEbEEZZNS1_14partition_implILS5_6ELb0ES3_mNS7_12zip_iteratorINS8_INS7_6detail15normal_iteratorINS7_10device_ptrIsEEEESJ_S9_S9_S9_S9_S9_S9_S9_S9_EEEEPSB_SM_NS0_5tupleIJNSE_INS8_ISJ_NS7_16discard_iteratorINS7_11use_defaultEEES9_S9_S9_S9_S9_S9_S9_S9_EEEESB_EEENSN_IJSM_SM_EEESB_PlJNSF_9not_fun_tINSF_14equal_to_valueISA_EEEEEEE10hipError_tPvRmT3_T4_T5_T6_T7_T9_mT8_P12ihipStream_tbDpT10_ENKUlT_T0_E_clISt17integral_constantIbLb1EES1I_IbLb0EEEEDaS1E_S1F_EUlS1E_E_NS1_11comp_targetILNS1_3genE5ELNS1_11target_archE942ELNS1_3gpuE9ELNS1_3repE0EEENS1_30default_config_static_selectorELNS0_4arch9wavefront6targetE0EEEvT1_.uses_vcc, 0
	.set _ZN7rocprim17ROCPRIM_400000_NS6detail17trampoline_kernelINS0_14default_configENS1_25partition_config_selectorILNS1_17partition_subalgoE6EN6thrust23THRUST_200600_302600_NS5tupleIssNS7_9null_typeES9_S9_S9_S9_S9_S9_S9_EENS0_10empty_typeEbEEZZNS1_14partition_implILS5_6ELb0ES3_mNS7_12zip_iteratorINS8_INS7_6detail15normal_iteratorINS7_10device_ptrIsEEEESJ_S9_S9_S9_S9_S9_S9_S9_S9_EEEEPSB_SM_NS0_5tupleIJNSE_INS8_ISJ_NS7_16discard_iteratorINS7_11use_defaultEEES9_S9_S9_S9_S9_S9_S9_S9_EEEESB_EEENSN_IJSM_SM_EEESB_PlJNSF_9not_fun_tINSF_14equal_to_valueISA_EEEEEEE10hipError_tPvRmT3_T4_T5_T6_T7_T9_mT8_P12ihipStream_tbDpT10_ENKUlT_T0_E_clISt17integral_constantIbLb1EES1I_IbLb0EEEEDaS1E_S1F_EUlS1E_E_NS1_11comp_targetILNS1_3genE5ELNS1_11target_archE942ELNS1_3gpuE9ELNS1_3repE0EEENS1_30default_config_static_selectorELNS0_4arch9wavefront6targetE0EEEvT1_.uses_flat_scratch, 0
	.set _ZN7rocprim17ROCPRIM_400000_NS6detail17trampoline_kernelINS0_14default_configENS1_25partition_config_selectorILNS1_17partition_subalgoE6EN6thrust23THRUST_200600_302600_NS5tupleIssNS7_9null_typeES9_S9_S9_S9_S9_S9_S9_EENS0_10empty_typeEbEEZZNS1_14partition_implILS5_6ELb0ES3_mNS7_12zip_iteratorINS8_INS7_6detail15normal_iteratorINS7_10device_ptrIsEEEESJ_S9_S9_S9_S9_S9_S9_S9_S9_EEEEPSB_SM_NS0_5tupleIJNSE_INS8_ISJ_NS7_16discard_iteratorINS7_11use_defaultEEES9_S9_S9_S9_S9_S9_S9_S9_EEEESB_EEENSN_IJSM_SM_EEESB_PlJNSF_9not_fun_tINSF_14equal_to_valueISA_EEEEEEE10hipError_tPvRmT3_T4_T5_T6_T7_T9_mT8_P12ihipStream_tbDpT10_ENKUlT_T0_E_clISt17integral_constantIbLb1EES1I_IbLb0EEEEDaS1E_S1F_EUlS1E_E_NS1_11comp_targetILNS1_3genE5ELNS1_11target_archE942ELNS1_3gpuE9ELNS1_3repE0EEENS1_30default_config_static_selectorELNS0_4arch9wavefront6targetE0EEEvT1_.has_dyn_sized_stack, 0
	.set _ZN7rocprim17ROCPRIM_400000_NS6detail17trampoline_kernelINS0_14default_configENS1_25partition_config_selectorILNS1_17partition_subalgoE6EN6thrust23THRUST_200600_302600_NS5tupleIssNS7_9null_typeES9_S9_S9_S9_S9_S9_S9_EENS0_10empty_typeEbEEZZNS1_14partition_implILS5_6ELb0ES3_mNS7_12zip_iteratorINS8_INS7_6detail15normal_iteratorINS7_10device_ptrIsEEEESJ_S9_S9_S9_S9_S9_S9_S9_S9_EEEEPSB_SM_NS0_5tupleIJNSE_INS8_ISJ_NS7_16discard_iteratorINS7_11use_defaultEEES9_S9_S9_S9_S9_S9_S9_S9_EEEESB_EEENSN_IJSM_SM_EEESB_PlJNSF_9not_fun_tINSF_14equal_to_valueISA_EEEEEEE10hipError_tPvRmT3_T4_T5_T6_T7_T9_mT8_P12ihipStream_tbDpT10_ENKUlT_T0_E_clISt17integral_constantIbLb1EES1I_IbLb0EEEEDaS1E_S1F_EUlS1E_E_NS1_11comp_targetILNS1_3genE5ELNS1_11target_archE942ELNS1_3gpuE9ELNS1_3repE0EEENS1_30default_config_static_selectorELNS0_4arch9wavefront6targetE0EEEvT1_.has_recursion, 0
	.set _ZN7rocprim17ROCPRIM_400000_NS6detail17trampoline_kernelINS0_14default_configENS1_25partition_config_selectorILNS1_17partition_subalgoE6EN6thrust23THRUST_200600_302600_NS5tupleIssNS7_9null_typeES9_S9_S9_S9_S9_S9_S9_EENS0_10empty_typeEbEEZZNS1_14partition_implILS5_6ELb0ES3_mNS7_12zip_iteratorINS8_INS7_6detail15normal_iteratorINS7_10device_ptrIsEEEESJ_S9_S9_S9_S9_S9_S9_S9_S9_EEEEPSB_SM_NS0_5tupleIJNSE_INS8_ISJ_NS7_16discard_iteratorINS7_11use_defaultEEES9_S9_S9_S9_S9_S9_S9_S9_EEEESB_EEENSN_IJSM_SM_EEESB_PlJNSF_9not_fun_tINSF_14equal_to_valueISA_EEEEEEE10hipError_tPvRmT3_T4_T5_T6_T7_T9_mT8_P12ihipStream_tbDpT10_ENKUlT_T0_E_clISt17integral_constantIbLb1EES1I_IbLb0EEEEDaS1E_S1F_EUlS1E_E_NS1_11comp_targetILNS1_3genE5ELNS1_11target_archE942ELNS1_3gpuE9ELNS1_3repE0EEENS1_30default_config_static_selectorELNS0_4arch9wavefront6targetE0EEEvT1_.has_indirect_call, 0
	.section	.AMDGPU.csdata,"",@progbits
; Kernel info:
; codeLenInByte = 0
; TotalNumSgprs: 0
; NumVgprs: 0
; ScratchSize: 0
; MemoryBound: 0
; FloatMode: 240
; IeeeMode: 1
; LDSByteSize: 0 bytes/workgroup (compile time only)
; SGPRBlocks: 0
; VGPRBlocks: 0
; NumSGPRsForWavesPerEU: 1
; NumVGPRsForWavesPerEU: 1
; Occupancy: 16
; WaveLimiterHint : 0
; COMPUTE_PGM_RSRC2:SCRATCH_EN: 0
; COMPUTE_PGM_RSRC2:USER_SGPR: 2
; COMPUTE_PGM_RSRC2:TRAP_HANDLER: 0
; COMPUTE_PGM_RSRC2:TGID_X_EN: 1
; COMPUTE_PGM_RSRC2:TGID_Y_EN: 0
; COMPUTE_PGM_RSRC2:TGID_Z_EN: 0
; COMPUTE_PGM_RSRC2:TIDIG_COMP_CNT: 0
	.section	.text._ZN7rocprim17ROCPRIM_400000_NS6detail17trampoline_kernelINS0_14default_configENS1_25partition_config_selectorILNS1_17partition_subalgoE6EN6thrust23THRUST_200600_302600_NS5tupleIssNS7_9null_typeES9_S9_S9_S9_S9_S9_S9_EENS0_10empty_typeEbEEZZNS1_14partition_implILS5_6ELb0ES3_mNS7_12zip_iteratorINS8_INS7_6detail15normal_iteratorINS7_10device_ptrIsEEEESJ_S9_S9_S9_S9_S9_S9_S9_S9_EEEEPSB_SM_NS0_5tupleIJNSE_INS8_ISJ_NS7_16discard_iteratorINS7_11use_defaultEEES9_S9_S9_S9_S9_S9_S9_S9_EEEESB_EEENSN_IJSM_SM_EEESB_PlJNSF_9not_fun_tINSF_14equal_to_valueISA_EEEEEEE10hipError_tPvRmT3_T4_T5_T6_T7_T9_mT8_P12ihipStream_tbDpT10_ENKUlT_T0_E_clISt17integral_constantIbLb1EES1I_IbLb0EEEEDaS1E_S1F_EUlS1E_E_NS1_11comp_targetILNS1_3genE4ELNS1_11target_archE910ELNS1_3gpuE8ELNS1_3repE0EEENS1_30default_config_static_selectorELNS0_4arch9wavefront6targetE0EEEvT1_,"axG",@progbits,_ZN7rocprim17ROCPRIM_400000_NS6detail17trampoline_kernelINS0_14default_configENS1_25partition_config_selectorILNS1_17partition_subalgoE6EN6thrust23THRUST_200600_302600_NS5tupleIssNS7_9null_typeES9_S9_S9_S9_S9_S9_S9_EENS0_10empty_typeEbEEZZNS1_14partition_implILS5_6ELb0ES3_mNS7_12zip_iteratorINS8_INS7_6detail15normal_iteratorINS7_10device_ptrIsEEEESJ_S9_S9_S9_S9_S9_S9_S9_S9_EEEEPSB_SM_NS0_5tupleIJNSE_INS8_ISJ_NS7_16discard_iteratorINS7_11use_defaultEEES9_S9_S9_S9_S9_S9_S9_S9_EEEESB_EEENSN_IJSM_SM_EEESB_PlJNSF_9not_fun_tINSF_14equal_to_valueISA_EEEEEEE10hipError_tPvRmT3_T4_T5_T6_T7_T9_mT8_P12ihipStream_tbDpT10_ENKUlT_T0_E_clISt17integral_constantIbLb1EES1I_IbLb0EEEEDaS1E_S1F_EUlS1E_E_NS1_11comp_targetILNS1_3genE4ELNS1_11target_archE910ELNS1_3gpuE8ELNS1_3repE0EEENS1_30default_config_static_selectorELNS0_4arch9wavefront6targetE0EEEvT1_,comdat
	.protected	_ZN7rocprim17ROCPRIM_400000_NS6detail17trampoline_kernelINS0_14default_configENS1_25partition_config_selectorILNS1_17partition_subalgoE6EN6thrust23THRUST_200600_302600_NS5tupleIssNS7_9null_typeES9_S9_S9_S9_S9_S9_S9_EENS0_10empty_typeEbEEZZNS1_14partition_implILS5_6ELb0ES3_mNS7_12zip_iteratorINS8_INS7_6detail15normal_iteratorINS7_10device_ptrIsEEEESJ_S9_S9_S9_S9_S9_S9_S9_S9_EEEEPSB_SM_NS0_5tupleIJNSE_INS8_ISJ_NS7_16discard_iteratorINS7_11use_defaultEEES9_S9_S9_S9_S9_S9_S9_S9_EEEESB_EEENSN_IJSM_SM_EEESB_PlJNSF_9not_fun_tINSF_14equal_to_valueISA_EEEEEEE10hipError_tPvRmT3_T4_T5_T6_T7_T9_mT8_P12ihipStream_tbDpT10_ENKUlT_T0_E_clISt17integral_constantIbLb1EES1I_IbLb0EEEEDaS1E_S1F_EUlS1E_E_NS1_11comp_targetILNS1_3genE4ELNS1_11target_archE910ELNS1_3gpuE8ELNS1_3repE0EEENS1_30default_config_static_selectorELNS0_4arch9wavefront6targetE0EEEvT1_ ; -- Begin function _ZN7rocprim17ROCPRIM_400000_NS6detail17trampoline_kernelINS0_14default_configENS1_25partition_config_selectorILNS1_17partition_subalgoE6EN6thrust23THRUST_200600_302600_NS5tupleIssNS7_9null_typeES9_S9_S9_S9_S9_S9_S9_EENS0_10empty_typeEbEEZZNS1_14partition_implILS5_6ELb0ES3_mNS7_12zip_iteratorINS8_INS7_6detail15normal_iteratorINS7_10device_ptrIsEEEESJ_S9_S9_S9_S9_S9_S9_S9_S9_EEEEPSB_SM_NS0_5tupleIJNSE_INS8_ISJ_NS7_16discard_iteratorINS7_11use_defaultEEES9_S9_S9_S9_S9_S9_S9_S9_EEEESB_EEENSN_IJSM_SM_EEESB_PlJNSF_9not_fun_tINSF_14equal_to_valueISA_EEEEEEE10hipError_tPvRmT3_T4_T5_T6_T7_T9_mT8_P12ihipStream_tbDpT10_ENKUlT_T0_E_clISt17integral_constantIbLb1EES1I_IbLb0EEEEDaS1E_S1F_EUlS1E_E_NS1_11comp_targetILNS1_3genE4ELNS1_11target_archE910ELNS1_3gpuE8ELNS1_3repE0EEENS1_30default_config_static_selectorELNS0_4arch9wavefront6targetE0EEEvT1_
	.globl	_ZN7rocprim17ROCPRIM_400000_NS6detail17trampoline_kernelINS0_14default_configENS1_25partition_config_selectorILNS1_17partition_subalgoE6EN6thrust23THRUST_200600_302600_NS5tupleIssNS7_9null_typeES9_S9_S9_S9_S9_S9_S9_EENS0_10empty_typeEbEEZZNS1_14partition_implILS5_6ELb0ES3_mNS7_12zip_iteratorINS8_INS7_6detail15normal_iteratorINS7_10device_ptrIsEEEESJ_S9_S9_S9_S9_S9_S9_S9_S9_EEEEPSB_SM_NS0_5tupleIJNSE_INS8_ISJ_NS7_16discard_iteratorINS7_11use_defaultEEES9_S9_S9_S9_S9_S9_S9_S9_EEEESB_EEENSN_IJSM_SM_EEESB_PlJNSF_9not_fun_tINSF_14equal_to_valueISA_EEEEEEE10hipError_tPvRmT3_T4_T5_T6_T7_T9_mT8_P12ihipStream_tbDpT10_ENKUlT_T0_E_clISt17integral_constantIbLb1EES1I_IbLb0EEEEDaS1E_S1F_EUlS1E_E_NS1_11comp_targetILNS1_3genE4ELNS1_11target_archE910ELNS1_3gpuE8ELNS1_3repE0EEENS1_30default_config_static_selectorELNS0_4arch9wavefront6targetE0EEEvT1_
	.p2align	8
	.type	_ZN7rocprim17ROCPRIM_400000_NS6detail17trampoline_kernelINS0_14default_configENS1_25partition_config_selectorILNS1_17partition_subalgoE6EN6thrust23THRUST_200600_302600_NS5tupleIssNS7_9null_typeES9_S9_S9_S9_S9_S9_S9_EENS0_10empty_typeEbEEZZNS1_14partition_implILS5_6ELb0ES3_mNS7_12zip_iteratorINS8_INS7_6detail15normal_iteratorINS7_10device_ptrIsEEEESJ_S9_S9_S9_S9_S9_S9_S9_S9_EEEEPSB_SM_NS0_5tupleIJNSE_INS8_ISJ_NS7_16discard_iteratorINS7_11use_defaultEEES9_S9_S9_S9_S9_S9_S9_S9_EEEESB_EEENSN_IJSM_SM_EEESB_PlJNSF_9not_fun_tINSF_14equal_to_valueISA_EEEEEEE10hipError_tPvRmT3_T4_T5_T6_T7_T9_mT8_P12ihipStream_tbDpT10_ENKUlT_T0_E_clISt17integral_constantIbLb1EES1I_IbLb0EEEEDaS1E_S1F_EUlS1E_E_NS1_11comp_targetILNS1_3genE4ELNS1_11target_archE910ELNS1_3gpuE8ELNS1_3repE0EEENS1_30default_config_static_selectorELNS0_4arch9wavefront6targetE0EEEvT1_,@function
_ZN7rocprim17ROCPRIM_400000_NS6detail17trampoline_kernelINS0_14default_configENS1_25partition_config_selectorILNS1_17partition_subalgoE6EN6thrust23THRUST_200600_302600_NS5tupleIssNS7_9null_typeES9_S9_S9_S9_S9_S9_S9_EENS0_10empty_typeEbEEZZNS1_14partition_implILS5_6ELb0ES3_mNS7_12zip_iteratorINS8_INS7_6detail15normal_iteratorINS7_10device_ptrIsEEEESJ_S9_S9_S9_S9_S9_S9_S9_S9_EEEEPSB_SM_NS0_5tupleIJNSE_INS8_ISJ_NS7_16discard_iteratorINS7_11use_defaultEEES9_S9_S9_S9_S9_S9_S9_S9_EEEESB_EEENSN_IJSM_SM_EEESB_PlJNSF_9not_fun_tINSF_14equal_to_valueISA_EEEEEEE10hipError_tPvRmT3_T4_T5_T6_T7_T9_mT8_P12ihipStream_tbDpT10_ENKUlT_T0_E_clISt17integral_constantIbLb1EES1I_IbLb0EEEEDaS1E_S1F_EUlS1E_E_NS1_11comp_targetILNS1_3genE4ELNS1_11target_archE910ELNS1_3gpuE8ELNS1_3repE0EEENS1_30default_config_static_selectorELNS0_4arch9wavefront6targetE0EEEvT1_: ; @_ZN7rocprim17ROCPRIM_400000_NS6detail17trampoline_kernelINS0_14default_configENS1_25partition_config_selectorILNS1_17partition_subalgoE6EN6thrust23THRUST_200600_302600_NS5tupleIssNS7_9null_typeES9_S9_S9_S9_S9_S9_S9_EENS0_10empty_typeEbEEZZNS1_14partition_implILS5_6ELb0ES3_mNS7_12zip_iteratorINS8_INS7_6detail15normal_iteratorINS7_10device_ptrIsEEEESJ_S9_S9_S9_S9_S9_S9_S9_S9_EEEEPSB_SM_NS0_5tupleIJNSE_INS8_ISJ_NS7_16discard_iteratorINS7_11use_defaultEEES9_S9_S9_S9_S9_S9_S9_S9_EEEESB_EEENSN_IJSM_SM_EEESB_PlJNSF_9not_fun_tINSF_14equal_to_valueISA_EEEEEEE10hipError_tPvRmT3_T4_T5_T6_T7_T9_mT8_P12ihipStream_tbDpT10_ENKUlT_T0_E_clISt17integral_constantIbLb1EES1I_IbLb0EEEEDaS1E_S1F_EUlS1E_E_NS1_11comp_targetILNS1_3genE4ELNS1_11target_archE910ELNS1_3gpuE8ELNS1_3repE0EEENS1_30default_config_static_selectorELNS0_4arch9wavefront6targetE0EEEvT1_
; %bb.0:
	.section	.rodata,"a",@progbits
	.p2align	6, 0x0
	.amdhsa_kernel _ZN7rocprim17ROCPRIM_400000_NS6detail17trampoline_kernelINS0_14default_configENS1_25partition_config_selectorILNS1_17partition_subalgoE6EN6thrust23THRUST_200600_302600_NS5tupleIssNS7_9null_typeES9_S9_S9_S9_S9_S9_S9_EENS0_10empty_typeEbEEZZNS1_14partition_implILS5_6ELb0ES3_mNS7_12zip_iteratorINS8_INS7_6detail15normal_iteratorINS7_10device_ptrIsEEEESJ_S9_S9_S9_S9_S9_S9_S9_S9_EEEEPSB_SM_NS0_5tupleIJNSE_INS8_ISJ_NS7_16discard_iteratorINS7_11use_defaultEEES9_S9_S9_S9_S9_S9_S9_S9_EEEESB_EEENSN_IJSM_SM_EEESB_PlJNSF_9not_fun_tINSF_14equal_to_valueISA_EEEEEEE10hipError_tPvRmT3_T4_T5_T6_T7_T9_mT8_P12ihipStream_tbDpT10_ENKUlT_T0_E_clISt17integral_constantIbLb1EES1I_IbLb0EEEEDaS1E_S1F_EUlS1E_E_NS1_11comp_targetILNS1_3genE4ELNS1_11target_archE910ELNS1_3gpuE8ELNS1_3repE0EEENS1_30default_config_static_selectorELNS0_4arch9wavefront6targetE0EEEvT1_
		.amdhsa_group_segment_fixed_size 0
		.amdhsa_private_segment_fixed_size 0
		.amdhsa_kernarg_size 144
		.amdhsa_user_sgpr_count 2
		.amdhsa_user_sgpr_dispatch_ptr 0
		.amdhsa_user_sgpr_queue_ptr 0
		.amdhsa_user_sgpr_kernarg_segment_ptr 1
		.amdhsa_user_sgpr_dispatch_id 0
		.amdhsa_user_sgpr_private_segment_size 0
		.amdhsa_wavefront_size32 1
		.amdhsa_uses_dynamic_stack 0
		.amdhsa_enable_private_segment 0
		.amdhsa_system_sgpr_workgroup_id_x 1
		.amdhsa_system_sgpr_workgroup_id_y 0
		.amdhsa_system_sgpr_workgroup_id_z 0
		.amdhsa_system_sgpr_workgroup_info 0
		.amdhsa_system_vgpr_workitem_id 0
		.amdhsa_next_free_vgpr 1
		.amdhsa_next_free_sgpr 1
		.amdhsa_reserve_vcc 0
		.amdhsa_float_round_mode_32 0
		.amdhsa_float_round_mode_16_64 0
		.amdhsa_float_denorm_mode_32 3
		.amdhsa_float_denorm_mode_16_64 3
		.amdhsa_fp16_overflow 0
		.amdhsa_workgroup_processor_mode 1
		.amdhsa_memory_ordered 1
		.amdhsa_forward_progress 1
		.amdhsa_inst_pref_size 0
		.amdhsa_round_robin_scheduling 0
		.amdhsa_exception_fp_ieee_invalid_op 0
		.amdhsa_exception_fp_denorm_src 0
		.amdhsa_exception_fp_ieee_div_zero 0
		.amdhsa_exception_fp_ieee_overflow 0
		.amdhsa_exception_fp_ieee_underflow 0
		.amdhsa_exception_fp_ieee_inexact 0
		.amdhsa_exception_int_div_zero 0
	.end_amdhsa_kernel
	.section	.text._ZN7rocprim17ROCPRIM_400000_NS6detail17trampoline_kernelINS0_14default_configENS1_25partition_config_selectorILNS1_17partition_subalgoE6EN6thrust23THRUST_200600_302600_NS5tupleIssNS7_9null_typeES9_S9_S9_S9_S9_S9_S9_EENS0_10empty_typeEbEEZZNS1_14partition_implILS5_6ELb0ES3_mNS7_12zip_iteratorINS8_INS7_6detail15normal_iteratorINS7_10device_ptrIsEEEESJ_S9_S9_S9_S9_S9_S9_S9_S9_EEEEPSB_SM_NS0_5tupleIJNSE_INS8_ISJ_NS7_16discard_iteratorINS7_11use_defaultEEES9_S9_S9_S9_S9_S9_S9_S9_EEEESB_EEENSN_IJSM_SM_EEESB_PlJNSF_9not_fun_tINSF_14equal_to_valueISA_EEEEEEE10hipError_tPvRmT3_T4_T5_T6_T7_T9_mT8_P12ihipStream_tbDpT10_ENKUlT_T0_E_clISt17integral_constantIbLb1EES1I_IbLb0EEEEDaS1E_S1F_EUlS1E_E_NS1_11comp_targetILNS1_3genE4ELNS1_11target_archE910ELNS1_3gpuE8ELNS1_3repE0EEENS1_30default_config_static_selectorELNS0_4arch9wavefront6targetE0EEEvT1_,"axG",@progbits,_ZN7rocprim17ROCPRIM_400000_NS6detail17trampoline_kernelINS0_14default_configENS1_25partition_config_selectorILNS1_17partition_subalgoE6EN6thrust23THRUST_200600_302600_NS5tupleIssNS7_9null_typeES9_S9_S9_S9_S9_S9_S9_EENS0_10empty_typeEbEEZZNS1_14partition_implILS5_6ELb0ES3_mNS7_12zip_iteratorINS8_INS7_6detail15normal_iteratorINS7_10device_ptrIsEEEESJ_S9_S9_S9_S9_S9_S9_S9_S9_EEEEPSB_SM_NS0_5tupleIJNSE_INS8_ISJ_NS7_16discard_iteratorINS7_11use_defaultEEES9_S9_S9_S9_S9_S9_S9_S9_EEEESB_EEENSN_IJSM_SM_EEESB_PlJNSF_9not_fun_tINSF_14equal_to_valueISA_EEEEEEE10hipError_tPvRmT3_T4_T5_T6_T7_T9_mT8_P12ihipStream_tbDpT10_ENKUlT_T0_E_clISt17integral_constantIbLb1EES1I_IbLb0EEEEDaS1E_S1F_EUlS1E_E_NS1_11comp_targetILNS1_3genE4ELNS1_11target_archE910ELNS1_3gpuE8ELNS1_3repE0EEENS1_30default_config_static_selectorELNS0_4arch9wavefront6targetE0EEEvT1_,comdat
.Lfunc_end2063:
	.size	_ZN7rocprim17ROCPRIM_400000_NS6detail17trampoline_kernelINS0_14default_configENS1_25partition_config_selectorILNS1_17partition_subalgoE6EN6thrust23THRUST_200600_302600_NS5tupleIssNS7_9null_typeES9_S9_S9_S9_S9_S9_S9_EENS0_10empty_typeEbEEZZNS1_14partition_implILS5_6ELb0ES3_mNS7_12zip_iteratorINS8_INS7_6detail15normal_iteratorINS7_10device_ptrIsEEEESJ_S9_S9_S9_S9_S9_S9_S9_S9_EEEEPSB_SM_NS0_5tupleIJNSE_INS8_ISJ_NS7_16discard_iteratorINS7_11use_defaultEEES9_S9_S9_S9_S9_S9_S9_S9_EEEESB_EEENSN_IJSM_SM_EEESB_PlJNSF_9not_fun_tINSF_14equal_to_valueISA_EEEEEEE10hipError_tPvRmT3_T4_T5_T6_T7_T9_mT8_P12ihipStream_tbDpT10_ENKUlT_T0_E_clISt17integral_constantIbLb1EES1I_IbLb0EEEEDaS1E_S1F_EUlS1E_E_NS1_11comp_targetILNS1_3genE4ELNS1_11target_archE910ELNS1_3gpuE8ELNS1_3repE0EEENS1_30default_config_static_selectorELNS0_4arch9wavefront6targetE0EEEvT1_, .Lfunc_end2063-_ZN7rocprim17ROCPRIM_400000_NS6detail17trampoline_kernelINS0_14default_configENS1_25partition_config_selectorILNS1_17partition_subalgoE6EN6thrust23THRUST_200600_302600_NS5tupleIssNS7_9null_typeES9_S9_S9_S9_S9_S9_S9_EENS0_10empty_typeEbEEZZNS1_14partition_implILS5_6ELb0ES3_mNS7_12zip_iteratorINS8_INS7_6detail15normal_iteratorINS7_10device_ptrIsEEEESJ_S9_S9_S9_S9_S9_S9_S9_S9_EEEEPSB_SM_NS0_5tupleIJNSE_INS8_ISJ_NS7_16discard_iteratorINS7_11use_defaultEEES9_S9_S9_S9_S9_S9_S9_S9_EEEESB_EEENSN_IJSM_SM_EEESB_PlJNSF_9not_fun_tINSF_14equal_to_valueISA_EEEEEEE10hipError_tPvRmT3_T4_T5_T6_T7_T9_mT8_P12ihipStream_tbDpT10_ENKUlT_T0_E_clISt17integral_constantIbLb1EES1I_IbLb0EEEEDaS1E_S1F_EUlS1E_E_NS1_11comp_targetILNS1_3genE4ELNS1_11target_archE910ELNS1_3gpuE8ELNS1_3repE0EEENS1_30default_config_static_selectorELNS0_4arch9wavefront6targetE0EEEvT1_
                                        ; -- End function
	.set _ZN7rocprim17ROCPRIM_400000_NS6detail17trampoline_kernelINS0_14default_configENS1_25partition_config_selectorILNS1_17partition_subalgoE6EN6thrust23THRUST_200600_302600_NS5tupleIssNS7_9null_typeES9_S9_S9_S9_S9_S9_S9_EENS0_10empty_typeEbEEZZNS1_14partition_implILS5_6ELb0ES3_mNS7_12zip_iteratorINS8_INS7_6detail15normal_iteratorINS7_10device_ptrIsEEEESJ_S9_S9_S9_S9_S9_S9_S9_S9_EEEEPSB_SM_NS0_5tupleIJNSE_INS8_ISJ_NS7_16discard_iteratorINS7_11use_defaultEEES9_S9_S9_S9_S9_S9_S9_S9_EEEESB_EEENSN_IJSM_SM_EEESB_PlJNSF_9not_fun_tINSF_14equal_to_valueISA_EEEEEEE10hipError_tPvRmT3_T4_T5_T6_T7_T9_mT8_P12ihipStream_tbDpT10_ENKUlT_T0_E_clISt17integral_constantIbLb1EES1I_IbLb0EEEEDaS1E_S1F_EUlS1E_E_NS1_11comp_targetILNS1_3genE4ELNS1_11target_archE910ELNS1_3gpuE8ELNS1_3repE0EEENS1_30default_config_static_selectorELNS0_4arch9wavefront6targetE0EEEvT1_.num_vgpr, 0
	.set _ZN7rocprim17ROCPRIM_400000_NS6detail17trampoline_kernelINS0_14default_configENS1_25partition_config_selectorILNS1_17partition_subalgoE6EN6thrust23THRUST_200600_302600_NS5tupleIssNS7_9null_typeES9_S9_S9_S9_S9_S9_S9_EENS0_10empty_typeEbEEZZNS1_14partition_implILS5_6ELb0ES3_mNS7_12zip_iteratorINS8_INS7_6detail15normal_iteratorINS7_10device_ptrIsEEEESJ_S9_S9_S9_S9_S9_S9_S9_S9_EEEEPSB_SM_NS0_5tupleIJNSE_INS8_ISJ_NS7_16discard_iteratorINS7_11use_defaultEEES9_S9_S9_S9_S9_S9_S9_S9_EEEESB_EEENSN_IJSM_SM_EEESB_PlJNSF_9not_fun_tINSF_14equal_to_valueISA_EEEEEEE10hipError_tPvRmT3_T4_T5_T6_T7_T9_mT8_P12ihipStream_tbDpT10_ENKUlT_T0_E_clISt17integral_constantIbLb1EES1I_IbLb0EEEEDaS1E_S1F_EUlS1E_E_NS1_11comp_targetILNS1_3genE4ELNS1_11target_archE910ELNS1_3gpuE8ELNS1_3repE0EEENS1_30default_config_static_selectorELNS0_4arch9wavefront6targetE0EEEvT1_.num_agpr, 0
	.set _ZN7rocprim17ROCPRIM_400000_NS6detail17trampoline_kernelINS0_14default_configENS1_25partition_config_selectorILNS1_17partition_subalgoE6EN6thrust23THRUST_200600_302600_NS5tupleIssNS7_9null_typeES9_S9_S9_S9_S9_S9_S9_EENS0_10empty_typeEbEEZZNS1_14partition_implILS5_6ELb0ES3_mNS7_12zip_iteratorINS8_INS7_6detail15normal_iteratorINS7_10device_ptrIsEEEESJ_S9_S9_S9_S9_S9_S9_S9_S9_EEEEPSB_SM_NS0_5tupleIJNSE_INS8_ISJ_NS7_16discard_iteratorINS7_11use_defaultEEES9_S9_S9_S9_S9_S9_S9_S9_EEEESB_EEENSN_IJSM_SM_EEESB_PlJNSF_9not_fun_tINSF_14equal_to_valueISA_EEEEEEE10hipError_tPvRmT3_T4_T5_T6_T7_T9_mT8_P12ihipStream_tbDpT10_ENKUlT_T0_E_clISt17integral_constantIbLb1EES1I_IbLb0EEEEDaS1E_S1F_EUlS1E_E_NS1_11comp_targetILNS1_3genE4ELNS1_11target_archE910ELNS1_3gpuE8ELNS1_3repE0EEENS1_30default_config_static_selectorELNS0_4arch9wavefront6targetE0EEEvT1_.numbered_sgpr, 0
	.set _ZN7rocprim17ROCPRIM_400000_NS6detail17trampoline_kernelINS0_14default_configENS1_25partition_config_selectorILNS1_17partition_subalgoE6EN6thrust23THRUST_200600_302600_NS5tupleIssNS7_9null_typeES9_S9_S9_S9_S9_S9_S9_EENS0_10empty_typeEbEEZZNS1_14partition_implILS5_6ELb0ES3_mNS7_12zip_iteratorINS8_INS7_6detail15normal_iteratorINS7_10device_ptrIsEEEESJ_S9_S9_S9_S9_S9_S9_S9_S9_EEEEPSB_SM_NS0_5tupleIJNSE_INS8_ISJ_NS7_16discard_iteratorINS7_11use_defaultEEES9_S9_S9_S9_S9_S9_S9_S9_EEEESB_EEENSN_IJSM_SM_EEESB_PlJNSF_9not_fun_tINSF_14equal_to_valueISA_EEEEEEE10hipError_tPvRmT3_T4_T5_T6_T7_T9_mT8_P12ihipStream_tbDpT10_ENKUlT_T0_E_clISt17integral_constantIbLb1EES1I_IbLb0EEEEDaS1E_S1F_EUlS1E_E_NS1_11comp_targetILNS1_3genE4ELNS1_11target_archE910ELNS1_3gpuE8ELNS1_3repE0EEENS1_30default_config_static_selectorELNS0_4arch9wavefront6targetE0EEEvT1_.num_named_barrier, 0
	.set _ZN7rocprim17ROCPRIM_400000_NS6detail17trampoline_kernelINS0_14default_configENS1_25partition_config_selectorILNS1_17partition_subalgoE6EN6thrust23THRUST_200600_302600_NS5tupleIssNS7_9null_typeES9_S9_S9_S9_S9_S9_S9_EENS0_10empty_typeEbEEZZNS1_14partition_implILS5_6ELb0ES3_mNS7_12zip_iteratorINS8_INS7_6detail15normal_iteratorINS7_10device_ptrIsEEEESJ_S9_S9_S9_S9_S9_S9_S9_S9_EEEEPSB_SM_NS0_5tupleIJNSE_INS8_ISJ_NS7_16discard_iteratorINS7_11use_defaultEEES9_S9_S9_S9_S9_S9_S9_S9_EEEESB_EEENSN_IJSM_SM_EEESB_PlJNSF_9not_fun_tINSF_14equal_to_valueISA_EEEEEEE10hipError_tPvRmT3_T4_T5_T6_T7_T9_mT8_P12ihipStream_tbDpT10_ENKUlT_T0_E_clISt17integral_constantIbLb1EES1I_IbLb0EEEEDaS1E_S1F_EUlS1E_E_NS1_11comp_targetILNS1_3genE4ELNS1_11target_archE910ELNS1_3gpuE8ELNS1_3repE0EEENS1_30default_config_static_selectorELNS0_4arch9wavefront6targetE0EEEvT1_.private_seg_size, 0
	.set _ZN7rocprim17ROCPRIM_400000_NS6detail17trampoline_kernelINS0_14default_configENS1_25partition_config_selectorILNS1_17partition_subalgoE6EN6thrust23THRUST_200600_302600_NS5tupleIssNS7_9null_typeES9_S9_S9_S9_S9_S9_S9_EENS0_10empty_typeEbEEZZNS1_14partition_implILS5_6ELb0ES3_mNS7_12zip_iteratorINS8_INS7_6detail15normal_iteratorINS7_10device_ptrIsEEEESJ_S9_S9_S9_S9_S9_S9_S9_S9_EEEEPSB_SM_NS0_5tupleIJNSE_INS8_ISJ_NS7_16discard_iteratorINS7_11use_defaultEEES9_S9_S9_S9_S9_S9_S9_S9_EEEESB_EEENSN_IJSM_SM_EEESB_PlJNSF_9not_fun_tINSF_14equal_to_valueISA_EEEEEEE10hipError_tPvRmT3_T4_T5_T6_T7_T9_mT8_P12ihipStream_tbDpT10_ENKUlT_T0_E_clISt17integral_constantIbLb1EES1I_IbLb0EEEEDaS1E_S1F_EUlS1E_E_NS1_11comp_targetILNS1_3genE4ELNS1_11target_archE910ELNS1_3gpuE8ELNS1_3repE0EEENS1_30default_config_static_selectorELNS0_4arch9wavefront6targetE0EEEvT1_.uses_vcc, 0
	.set _ZN7rocprim17ROCPRIM_400000_NS6detail17trampoline_kernelINS0_14default_configENS1_25partition_config_selectorILNS1_17partition_subalgoE6EN6thrust23THRUST_200600_302600_NS5tupleIssNS7_9null_typeES9_S9_S9_S9_S9_S9_S9_EENS0_10empty_typeEbEEZZNS1_14partition_implILS5_6ELb0ES3_mNS7_12zip_iteratorINS8_INS7_6detail15normal_iteratorINS7_10device_ptrIsEEEESJ_S9_S9_S9_S9_S9_S9_S9_S9_EEEEPSB_SM_NS0_5tupleIJNSE_INS8_ISJ_NS7_16discard_iteratorINS7_11use_defaultEEES9_S9_S9_S9_S9_S9_S9_S9_EEEESB_EEENSN_IJSM_SM_EEESB_PlJNSF_9not_fun_tINSF_14equal_to_valueISA_EEEEEEE10hipError_tPvRmT3_T4_T5_T6_T7_T9_mT8_P12ihipStream_tbDpT10_ENKUlT_T0_E_clISt17integral_constantIbLb1EES1I_IbLb0EEEEDaS1E_S1F_EUlS1E_E_NS1_11comp_targetILNS1_3genE4ELNS1_11target_archE910ELNS1_3gpuE8ELNS1_3repE0EEENS1_30default_config_static_selectorELNS0_4arch9wavefront6targetE0EEEvT1_.uses_flat_scratch, 0
	.set _ZN7rocprim17ROCPRIM_400000_NS6detail17trampoline_kernelINS0_14default_configENS1_25partition_config_selectorILNS1_17partition_subalgoE6EN6thrust23THRUST_200600_302600_NS5tupleIssNS7_9null_typeES9_S9_S9_S9_S9_S9_S9_EENS0_10empty_typeEbEEZZNS1_14partition_implILS5_6ELb0ES3_mNS7_12zip_iteratorINS8_INS7_6detail15normal_iteratorINS7_10device_ptrIsEEEESJ_S9_S9_S9_S9_S9_S9_S9_S9_EEEEPSB_SM_NS0_5tupleIJNSE_INS8_ISJ_NS7_16discard_iteratorINS7_11use_defaultEEES9_S9_S9_S9_S9_S9_S9_S9_EEEESB_EEENSN_IJSM_SM_EEESB_PlJNSF_9not_fun_tINSF_14equal_to_valueISA_EEEEEEE10hipError_tPvRmT3_T4_T5_T6_T7_T9_mT8_P12ihipStream_tbDpT10_ENKUlT_T0_E_clISt17integral_constantIbLb1EES1I_IbLb0EEEEDaS1E_S1F_EUlS1E_E_NS1_11comp_targetILNS1_3genE4ELNS1_11target_archE910ELNS1_3gpuE8ELNS1_3repE0EEENS1_30default_config_static_selectorELNS0_4arch9wavefront6targetE0EEEvT1_.has_dyn_sized_stack, 0
	.set _ZN7rocprim17ROCPRIM_400000_NS6detail17trampoline_kernelINS0_14default_configENS1_25partition_config_selectorILNS1_17partition_subalgoE6EN6thrust23THRUST_200600_302600_NS5tupleIssNS7_9null_typeES9_S9_S9_S9_S9_S9_S9_EENS0_10empty_typeEbEEZZNS1_14partition_implILS5_6ELb0ES3_mNS7_12zip_iteratorINS8_INS7_6detail15normal_iteratorINS7_10device_ptrIsEEEESJ_S9_S9_S9_S9_S9_S9_S9_S9_EEEEPSB_SM_NS0_5tupleIJNSE_INS8_ISJ_NS7_16discard_iteratorINS7_11use_defaultEEES9_S9_S9_S9_S9_S9_S9_S9_EEEESB_EEENSN_IJSM_SM_EEESB_PlJNSF_9not_fun_tINSF_14equal_to_valueISA_EEEEEEE10hipError_tPvRmT3_T4_T5_T6_T7_T9_mT8_P12ihipStream_tbDpT10_ENKUlT_T0_E_clISt17integral_constantIbLb1EES1I_IbLb0EEEEDaS1E_S1F_EUlS1E_E_NS1_11comp_targetILNS1_3genE4ELNS1_11target_archE910ELNS1_3gpuE8ELNS1_3repE0EEENS1_30default_config_static_selectorELNS0_4arch9wavefront6targetE0EEEvT1_.has_recursion, 0
	.set _ZN7rocprim17ROCPRIM_400000_NS6detail17trampoline_kernelINS0_14default_configENS1_25partition_config_selectorILNS1_17partition_subalgoE6EN6thrust23THRUST_200600_302600_NS5tupleIssNS7_9null_typeES9_S9_S9_S9_S9_S9_S9_EENS0_10empty_typeEbEEZZNS1_14partition_implILS5_6ELb0ES3_mNS7_12zip_iteratorINS8_INS7_6detail15normal_iteratorINS7_10device_ptrIsEEEESJ_S9_S9_S9_S9_S9_S9_S9_S9_EEEEPSB_SM_NS0_5tupleIJNSE_INS8_ISJ_NS7_16discard_iteratorINS7_11use_defaultEEES9_S9_S9_S9_S9_S9_S9_S9_EEEESB_EEENSN_IJSM_SM_EEESB_PlJNSF_9not_fun_tINSF_14equal_to_valueISA_EEEEEEE10hipError_tPvRmT3_T4_T5_T6_T7_T9_mT8_P12ihipStream_tbDpT10_ENKUlT_T0_E_clISt17integral_constantIbLb1EES1I_IbLb0EEEEDaS1E_S1F_EUlS1E_E_NS1_11comp_targetILNS1_3genE4ELNS1_11target_archE910ELNS1_3gpuE8ELNS1_3repE0EEENS1_30default_config_static_selectorELNS0_4arch9wavefront6targetE0EEEvT1_.has_indirect_call, 0
	.section	.AMDGPU.csdata,"",@progbits
; Kernel info:
; codeLenInByte = 0
; TotalNumSgprs: 0
; NumVgprs: 0
; ScratchSize: 0
; MemoryBound: 0
; FloatMode: 240
; IeeeMode: 1
; LDSByteSize: 0 bytes/workgroup (compile time only)
; SGPRBlocks: 0
; VGPRBlocks: 0
; NumSGPRsForWavesPerEU: 1
; NumVGPRsForWavesPerEU: 1
; Occupancy: 16
; WaveLimiterHint : 0
; COMPUTE_PGM_RSRC2:SCRATCH_EN: 0
; COMPUTE_PGM_RSRC2:USER_SGPR: 2
; COMPUTE_PGM_RSRC2:TRAP_HANDLER: 0
; COMPUTE_PGM_RSRC2:TGID_X_EN: 1
; COMPUTE_PGM_RSRC2:TGID_Y_EN: 0
; COMPUTE_PGM_RSRC2:TGID_Z_EN: 0
; COMPUTE_PGM_RSRC2:TIDIG_COMP_CNT: 0
	.section	.text._ZN7rocprim17ROCPRIM_400000_NS6detail17trampoline_kernelINS0_14default_configENS1_25partition_config_selectorILNS1_17partition_subalgoE6EN6thrust23THRUST_200600_302600_NS5tupleIssNS7_9null_typeES9_S9_S9_S9_S9_S9_S9_EENS0_10empty_typeEbEEZZNS1_14partition_implILS5_6ELb0ES3_mNS7_12zip_iteratorINS8_INS7_6detail15normal_iteratorINS7_10device_ptrIsEEEESJ_S9_S9_S9_S9_S9_S9_S9_S9_EEEEPSB_SM_NS0_5tupleIJNSE_INS8_ISJ_NS7_16discard_iteratorINS7_11use_defaultEEES9_S9_S9_S9_S9_S9_S9_S9_EEEESB_EEENSN_IJSM_SM_EEESB_PlJNSF_9not_fun_tINSF_14equal_to_valueISA_EEEEEEE10hipError_tPvRmT3_T4_T5_T6_T7_T9_mT8_P12ihipStream_tbDpT10_ENKUlT_T0_E_clISt17integral_constantIbLb1EES1I_IbLb0EEEEDaS1E_S1F_EUlS1E_E_NS1_11comp_targetILNS1_3genE3ELNS1_11target_archE908ELNS1_3gpuE7ELNS1_3repE0EEENS1_30default_config_static_selectorELNS0_4arch9wavefront6targetE0EEEvT1_,"axG",@progbits,_ZN7rocprim17ROCPRIM_400000_NS6detail17trampoline_kernelINS0_14default_configENS1_25partition_config_selectorILNS1_17partition_subalgoE6EN6thrust23THRUST_200600_302600_NS5tupleIssNS7_9null_typeES9_S9_S9_S9_S9_S9_S9_EENS0_10empty_typeEbEEZZNS1_14partition_implILS5_6ELb0ES3_mNS7_12zip_iteratorINS8_INS7_6detail15normal_iteratorINS7_10device_ptrIsEEEESJ_S9_S9_S9_S9_S9_S9_S9_S9_EEEEPSB_SM_NS0_5tupleIJNSE_INS8_ISJ_NS7_16discard_iteratorINS7_11use_defaultEEES9_S9_S9_S9_S9_S9_S9_S9_EEEESB_EEENSN_IJSM_SM_EEESB_PlJNSF_9not_fun_tINSF_14equal_to_valueISA_EEEEEEE10hipError_tPvRmT3_T4_T5_T6_T7_T9_mT8_P12ihipStream_tbDpT10_ENKUlT_T0_E_clISt17integral_constantIbLb1EES1I_IbLb0EEEEDaS1E_S1F_EUlS1E_E_NS1_11comp_targetILNS1_3genE3ELNS1_11target_archE908ELNS1_3gpuE7ELNS1_3repE0EEENS1_30default_config_static_selectorELNS0_4arch9wavefront6targetE0EEEvT1_,comdat
	.protected	_ZN7rocprim17ROCPRIM_400000_NS6detail17trampoline_kernelINS0_14default_configENS1_25partition_config_selectorILNS1_17partition_subalgoE6EN6thrust23THRUST_200600_302600_NS5tupleIssNS7_9null_typeES9_S9_S9_S9_S9_S9_S9_EENS0_10empty_typeEbEEZZNS1_14partition_implILS5_6ELb0ES3_mNS7_12zip_iteratorINS8_INS7_6detail15normal_iteratorINS7_10device_ptrIsEEEESJ_S9_S9_S9_S9_S9_S9_S9_S9_EEEEPSB_SM_NS0_5tupleIJNSE_INS8_ISJ_NS7_16discard_iteratorINS7_11use_defaultEEES9_S9_S9_S9_S9_S9_S9_S9_EEEESB_EEENSN_IJSM_SM_EEESB_PlJNSF_9not_fun_tINSF_14equal_to_valueISA_EEEEEEE10hipError_tPvRmT3_T4_T5_T6_T7_T9_mT8_P12ihipStream_tbDpT10_ENKUlT_T0_E_clISt17integral_constantIbLb1EES1I_IbLb0EEEEDaS1E_S1F_EUlS1E_E_NS1_11comp_targetILNS1_3genE3ELNS1_11target_archE908ELNS1_3gpuE7ELNS1_3repE0EEENS1_30default_config_static_selectorELNS0_4arch9wavefront6targetE0EEEvT1_ ; -- Begin function _ZN7rocprim17ROCPRIM_400000_NS6detail17trampoline_kernelINS0_14default_configENS1_25partition_config_selectorILNS1_17partition_subalgoE6EN6thrust23THRUST_200600_302600_NS5tupleIssNS7_9null_typeES9_S9_S9_S9_S9_S9_S9_EENS0_10empty_typeEbEEZZNS1_14partition_implILS5_6ELb0ES3_mNS7_12zip_iteratorINS8_INS7_6detail15normal_iteratorINS7_10device_ptrIsEEEESJ_S9_S9_S9_S9_S9_S9_S9_S9_EEEEPSB_SM_NS0_5tupleIJNSE_INS8_ISJ_NS7_16discard_iteratorINS7_11use_defaultEEES9_S9_S9_S9_S9_S9_S9_S9_EEEESB_EEENSN_IJSM_SM_EEESB_PlJNSF_9not_fun_tINSF_14equal_to_valueISA_EEEEEEE10hipError_tPvRmT3_T4_T5_T6_T7_T9_mT8_P12ihipStream_tbDpT10_ENKUlT_T0_E_clISt17integral_constantIbLb1EES1I_IbLb0EEEEDaS1E_S1F_EUlS1E_E_NS1_11comp_targetILNS1_3genE3ELNS1_11target_archE908ELNS1_3gpuE7ELNS1_3repE0EEENS1_30default_config_static_selectorELNS0_4arch9wavefront6targetE0EEEvT1_
	.globl	_ZN7rocprim17ROCPRIM_400000_NS6detail17trampoline_kernelINS0_14default_configENS1_25partition_config_selectorILNS1_17partition_subalgoE6EN6thrust23THRUST_200600_302600_NS5tupleIssNS7_9null_typeES9_S9_S9_S9_S9_S9_S9_EENS0_10empty_typeEbEEZZNS1_14partition_implILS5_6ELb0ES3_mNS7_12zip_iteratorINS8_INS7_6detail15normal_iteratorINS7_10device_ptrIsEEEESJ_S9_S9_S9_S9_S9_S9_S9_S9_EEEEPSB_SM_NS0_5tupleIJNSE_INS8_ISJ_NS7_16discard_iteratorINS7_11use_defaultEEES9_S9_S9_S9_S9_S9_S9_S9_EEEESB_EEENSN_IJSM_SM_EEESB_PlJNSF_9not_fun_tINSF_14equal_to_valueISA_EEEEEEE10hipError_tPvRmT3_T4_T5_T6_T7_T9_mT8_P12ihipStream_tbDpT10_ENKUlT_T0_E_clISt17integral_constantIbLb1EES1I_IbLb0EEEEDaS1E_S1F_EUlS1E_E_NS1_11comp_targetILNS1_3genE3ELNS1_11target_archE908ELNS1_3gpuE7ELNS1_3repE0EEENS1_30default_config_static_selectorELNS0_4arch9wavefront6targetE0EEEvT1_
	.p2align	8
	.type	_ZN7rocprim17ROCPRIM_400000_NS6detail17trampoline_kernelINS0_14default_configENS1_25partition_config_selectorILNS1_17partition_subalgoE6EN6thrust23THRUST_200600_302600_NS5tupleIssNS7_9null_typeES9_S9_S9_S9_S9_S9_S9_EENS0_10empty_typeEbEEZZNS1_14partition_implILS5_6ELb0ES3_mNS7_12zip_iteratorINS8_INS7_6detail15normal_iteratorINS7_10device_ptrIsEEEESJ_S9_S9_S9_S9_S9_S9_S9_S9_EEEEPSB_SM_NS0_5tupleIJNSE_INS8_ISJ_NS7_16discard_iteratorINS7_11use_defaultEEES9_S9_S9_S9_S9_S9_S9_S9_EEEESB_EEENSN_IJSM_SM_EEESB_PlJNSF_9not_fun_tINSF_14equal_to_valueISA_EEEEEEE10hipError_tPvRmT3_T4_T5_T6_T7_T9_mT8_P12ihipStream_tbDpT10_ENKUlT_T0_E_clISt17integral_constantIbLb1EES1I_IbLb0EEEEDaS1E_S1F_EUlS1E_E_NS1_11comp_targetILNS1_3genE3ELNS1_11target_archE908ELNS1_3gpuE7ELNS1_3repE0EEENS1_30default_config_static_selectorELNS0_4arch9wavefront6targetE0EEEvT1_,@function
_ZN7rocprim17ROCPRIM_400000_NS6detail17trampoline_kernelINS0_14default_configENS1_25partition_config_selectorILNS1_17partition_subalgoE6EN6thrust23THRUST_200600_302600_NS5tupleIssNS7_9null_typeES9_S9_S9_S9_S9_S9_S9_EENS0_10empty_typeEbEEZZNS1_14partition_implILS5_6ELb0ES3_mNS7_12zip_iteratorINS8_INS7_6detail15normal_iteratorINS7_10device_ptrIsEEEESJ_S9_S9_S9_S9_S9_S9_S9_S9_EEEEPSB_SM_NS0_5tupleIJNSE_INS8_ISJ_NS7_16discard_iteratorINS7_11use_defaultEEES9_S9_S9_S9_S9_S9_S9_S9_EEEESB_EEENSN_IJSM_SM_EEESB_PlJNSF_9not_fun_tINSF_14equal_to_valueISA_EEEEEEE10hipError_tPvRmT3_T4_T5_T6_T7_T9_mT8_P12ihipStream_tbDpT10_ENKUlT_T0_E_clISt17integral_constantIbLb1EES1I_IbLb0EEEEDaS1E_S1F_EUlS1E_E_NS1_11comp_targetILNS1_3genE3ELNS1_11target_archE908ELNS1_3gpuE7ELNS1_3repE0EEENS1_30default_config_static_selectorELNS0_4arch9wavefront6targetE0EEEvT1_: ; @_ZN7rocprim17ROCPRIM_400000_NS6detail17trampoline_kernelINS0_14default_configENS1_25partition_config_selectorILNS1_17partition_subalgoE6EN6thrust23THRUST_200600_302600_NS5tupleIssNS7_9null_typeES9_S9_S9_S9_S9_S9_S9_EENS0_10empty_typeEbEEZZNS1_14partition_implILS5_6ELb0ES3_mNS7_12zip_iteratorINS8_INS7_6detail15normal_iteratorINS7_10device_ptrIsEEEESJ_S9_S9_S9_S9_S9_S9_S9_S9_EEEEPSB_SM_NS0_5tupleIJNSE_INS8_ISJ_NS7_16discard_iteratorINS7_11use_defaultEEES9_S9_S9_S9_S9_S9_S9_S9_EEEESB_EEENSN_IJSM_SM_EEESB_PlJNSF_9not_fun_tINSF_14equal_to_valueISA_EEEEEEE10hipError_tPvRmT3_T4_T5_T6_T7_T9_mT8_P12ihipStream_tbDpT10_ENKUlT_T0_E_clISt17integral_constantIbLb1EES1I_IbLb0EEEEDaS1E_S1F_EUlS1E_E_NS1_11comp_targetILNS1_3genE3ELNS1_11target_archE908ELNS1_3gpuE7ELNS1_3repE0EEENS1_30default_config_static_selectorELNS0_4arch9wavefront6targetE0EEEvT1_
; %bb.0:
	.section	.rodata,"a",@progbits
	.p2align	6, 0x0
	.amdhsa_kernel _ZN7rocprim17ROCPRIM_400000_NS6detail17trampoline_kernelINS0_14default_configENS1_25partition_config_selectorILNS1_17partition_subalgoE6EN6thrust23THRUST_200600_302600_NS5tupleIssNS7_9null_typeES9_S9_S9_S9_S9_S9_S9_EENS0_10empty_typeEbEEZZNS1_14partition_implILS5_6ELb0ES3_mNS7_12zip_iteratorINS8_INS7_6detail15normal_iteratorINS7_10device_ptrIsEEEESJ_S9_S9_S9_S9_S9_S9_S9_S9_EEEEPSB_SM_NS0_5tupleIJNSE_INS8_ISJ_NS7_16discard_iteratorINS7_11use_defaultEEES9_S9_S9_S9_S9_S9_S9_S9_EEEESB_EEENSN_IJSM_SM_EEESB_PlJNSF_9not_fun_tINSF_14equal_to_valueISA_EEEEEEE10hipError_tPvRmT3_T4_T5_T6_T7_T9_mT8_P12ihipStream_tbDpT10_ENKUlT_T0_E_clISt17integral_constantIbLb1EES1I_IbLb0EEEEDaS1E_S1F_EUlS1E_E_NS1_11comp_targetILNS1_3genE3ELNS1_11target_archE908ELNS1_3gpuE7ELNS1_3repE0EEENS1_30default_config_static_selectorELNS0_4arch9wavefront6targetE0EEEvT1_
		.amdhsa_group_segment_fixed_size 0
		.amdhsa_private_segment_fixed_size 0
		.amdhsa_kernarg_size 144
		.amdhsa_user_sgpr_count 2
		.amdhsa_user_sgpr_dispatch_ptr 0
		.amdhsa_user_sgpr_queue_ptr 0
		.amdhsa_user_sgpr_kernarg_segment_ptr 1
		.amdhsa_user_sgpr_dispatch_id 0
		.amdhsa_user_sgpr_private_segment_size 0
		.amdhsa_wavefront_size32 1
		.amdhsa_uses_dynamic_stack 0
		.amdhsa_enable_private_segment 0
		.amdhsa_system_sgpr_workgroup_id_x 1
		.amdhsa_system_sgpr_workgroup_id_y 0
		.amdhsa_system_sgpr_workgroup_id_z 0
		.amdhsa_system_sgpr_workgroup_info 0
		.amdhsa_system_vgpr_workitem_id 0
		.amdhsa_next_free_vgpr 1
		.amdhsa_next_free_sgpr 1
		.amdhsa_reserve_vcc 0
		.amdhsa_float_round_mode_32 0
		.amdhsa_float_round_mode_16_64 0
		.amdhsa_float_denorm_mode_32 3
		.amdhsa_float_denorm_mode_16_64 3
		.amdhsa_fp16_overflow 0
		.amdhsa_workgroup_processor_mode 1
		.amdhsa_memory_ordered 1
		.amdhsa_forward_progress 1
		.amdhsa_inst_pref_size 0
		.amdhsa_round_robin_scheduling 0
		.amdhsa_exception_fp_ieee_invalid_op 0
		.amdhsa_exception_fp_denorm_src 0
		.amdhsa_exception_fp_ieee_div_zero 0
		.amdhsa_exception_fp_ieee_overflow 0
		.amdhsa_exception_fp_ieee_underflow 0
		.amdhsa_exception_fp_ieee_inexact 0
		.amdhsa_exception_int_div_zero 0
	.end_amdhsa_kernel
	.section	.text._ZN7rocprim17ROCPRIM_400000_NS6detail17trampoline_kernelINS0_14default_configENS1_25partition_config_selectorILNS1_17partition_subalgoE6EN6thrust23THRUST_200600_302600_NS5tupleIssNS7_9null_typeES9_S9_S9_S9_S9_S9_S9_EENS0_10empty_typeEbEEZZNS1_14partition_implILS5_6ELb0ES3_mNS7_12zip_iteratorINS8_INS7_6detail15normal_iteratorINS7_10device_ptrIsEEEESJ_S9_S9_S9_S9_S9_S9_S9_S9_EEEEPSB_SM_NS0_5tupleIJNSE_INS8_ISJ_NS7_16discard_iteratorINS7_11use_defaultEEES9_S9_S9_S9_S9_S9_S9_S9_EEEESB_EEENSN_IJSM_SM_EEESB_PlJNSF_9not_fun_tINSF_14equal_to_valueISA_EEEEEEE10hipError_tPvRmT3_T4_T5_T6_T7_T9_mT8_P12ihipStream_tbDpT10_ENKUlT_T0_E_clISt17integral_constantIbLb1EES1I_IbLb0EEEEDaS1E_S1F_EUlS1E_E_NS1_11comp_targetILNS1_3genE3ELNS1_11target_archE908ELNS1_3gpuE7ELNS1_3repE0EEENS1_30default_config_static_selectorELNS0_4arch9wavefront6targetE0EEEvT1_,"axG",@progbits,_ZN7rocprim17ROCPRIM_400000_NS6detail17trampoline_kernelINS0_14default_configENS1_25partition_config_selectorILNS1_17partition_subalgoE6EN6thrust23THRUST_200600_302600_NS5tupleIssNS7_9null_typeES9_S9_S9_S9_S9_S9_S9_EENS0_10empty_typeEbEEZZNS1_14partition_implILS5_6ELb0ES3_mNS7_12zip_iteratorINS8_INS7_6detail15normal_iteratorINS7_10device_ptrIsEEEESJ_S9_S9_S9_S9_S9_S9_S9_S9_EEEEPSB_SM_NS0_5tupleIJNSE_INS8_ISJ_NS7_16discard_iteratorINS7_11use_defaultEEES9_S9_S9_S9_S9_S9_S9_S9_EEEESB_EEENSN_IJSM_SM_EEESB_PlJNSF_9not_fun_tINSF_14equal_to_valueISA_EEEEEEE10hipError_tPvRmT3_T4_T5_T6_T7_T9_mT8_P12ihipStream_tbDpT10_ENKUlT_T0_E_clISt17integral_constantIbLb1EES1I_IbLb0EEEEDaS1E_S1F_EUlS1E_E_NS1_11comp_targetILNS1_3genE3ELNS1_11target_archE908ELNS1_3gpuE7ELNS1_3repE0EEENS1_30default_config_static_selectorELNS0_4arch9wavefront6targetE0EEEvT1_,comdat
.Lfunc_end2064:
	.size	_ZN7rocprim17ROCPRIM_400000_NS6detail17trampoline_kernelINS0_14default_configENS1_25partition_config_selectorILNS1_17partition_subalgoE6EN6thrust23THRUST_200600_302600_NS5tupleIssNS7_9null_typeES9_S9_S9_S9_S9_S9_S9_EENS0_10empty_typeEbEEZZNS1_14partition_implILS5_6ELb0ES3_mNS7_12zip_iteratorINS8_INS7_6detail15normal_iteratorINS7_10device_ptrIsEEEESJ_S9_S9_S9_S9_S9_S9_S9_S9_EEEEPSB_SM_NS0_5tupleIJNSE_INS8_ISJ_NS7_16discard_iteratorINS7_11use_defaultEEES9_S9_S9_S9_S9_S9_S9_S9_EEEESB_EEENSN_IJSM_SM_EEESB_PlJNSF_9not_fun_tINSF_14equal_to_valueISA_EEEEEEE10hipError_tPvRmT3_T4_T5_T6_T7_T9_mT8_P12ihipStream_tbDpT10_ENKUlT_T0_E_clISt17integral_constantIbLb1EES1I_IbLb0EEEEDaS1E_S1F_EUlS1E_E_NS1_11comp_targetILNS1_3genE3ELNS1_11target_archE908ELNS1_3gpuE7ELNS1_3repE0EEENS1_30default_config_static_selectorELNS0_4arch9wavefront6targetE0EEEvT1_, .Lfunc_end2064-_ZN7rocprim17ROCPRIM_400000_NS6detail17trampoline_kernelINS0_14default_configENS1_25partition_config_selectorILNS1_17partition_subalgoE6EN6thrust23THRUST_200600_302600_NS5tupleIssNS7_9null_typeES9_S9_S9_S9_S9_S9_S9_EENS0_10empty_typeEbEEZZNS1_14partition_implILS5_6ELb0ES3_mNS7_12zip_iteratorINS8_INS7_6detail15normal_iteratorINS7_10device_ptrIsEEEESJ_S9_S9_S9_S9_S9_S9_S9_S9_EEEEPSB_SM_NS0_5tupleIJNSE_INS8_ISJ_NS7_16discard_iteratorINS7_11use_defaultEEES9_S9_S9_S9_S9_S9_S9_S9_EEEESB_EEENSN_IJSM_SM_EEESB_PlJNSF_9not_fun_tINSF_14equal_to_valueISA_EEEEEEE10hipError_tPvRmT3_T4_T5_T6_T7_T9_mT8_P12ihipStream_tbDpT10_ENKUlT_T0_E_clISt17integral_constantIbLb1EES1I_IbLb0EEEEDaS1E_S1F_EUlS1E_E_NS1_11comp_targetILNS1_3genE3ELNS1_11target_archE908ELNS1_3gpuE7ELNS1_3repE0EEENS1_30default_config_static_selectorELNS0_4arch9wavefront6targetE0EEEvT1_
                                        ; -- End function
	.set _ZN7rocprim17ROCPRIM_400000_NS6detail17trampoline_kernelINS0_14default_configENS1_25partition_config_selectorILNS1_17partition_subalgoE6EN6thrust23THRUST_200600_302600_NS5tupleIssNS7_9null_typeES9_S9_S9_S9_S9_S9_S9_EENS0_10empty_typeEbEEZZNS1_14partition_implILS5_6ELb0ES3_mNS7_12zip_iteratorINS8_INS7_6detail15normal_iteratorINS7_10device_ptrIsEEEESJ_S9_S9_S9_S9_S9_S9_S9_S9_EEEEPSB_SM_NS0_5tupleIJNSE_INS8_ISJ_NS7_16discard_iteratorINS7_11use_defaultEEES9_S9_S9_S9_S9_S9_S9_S9_EEEESB_EEENSN_IJSM_SM_EEESB_PlJNSF_9not_fun_tINSF_14equal_to_valueISA_EEEEEEE10hipError_tPvRmT3_T4_T5_T6_T7_T9_mT8_P12ihipStream_tbDpT10_ENKUlT_T0_E_clISt17integral_constantIbLb1EES1I_IbLb0EEEEDaS1E_S1F_EUlS1E_E_NS1_11comp_targetILNS1_3genE3ELNS1_11target_archE908ELNS1_3gpuE7ELNS1_3repE0EEENS1_30default_config_static_selectorELNS0_4arch9wavefront6targetE0EEEvT1_.num_vgpr, 0
	.set _ZN7rocprim17ROCPRIM_400000_NS6detail17trampoline_kernelINS0_14default_configENS1_25partition_config_selectorILNS1_17partition_subalgoE6EN6thrust23THRUST_200600_302600_NS5tupleIssNS7_9null_typeES9_S9_S9_S9_S9_S9_S9_EENS0_10empty_typeEbEEZZNS1_14partition_implILS5_6ELb0ES3_mNS7_12zip_iteratorINS8_INS7_6detail15normal_iteratorINS7_10device_ptrIsEEEESJ_S9_S9_S9_S9_S9_S9_S9_S9_EEEEPSB_SM_NS0_5tupleIJNSE_INS8_ISJ_NS7_16discard_iteratorINS7_11use_defaultEEES9_S9_S9_S9_S9_S9_S9_S9_EEEESB_EEENSN_IJSM_SM_EEESB_PlJNSF_9not_fun_tINSF_14equal_to_valueISA_EEEEEEE10hipError_tPvRmT3_T4_T5_T6_T7_T9_mT8_P12ihipStream_tbDpT10_ENKUlT_T0_E_clISt17integral_constantIbLb1EES1I_IbLb0EEEEDaS1E_S1F_EUlS1E_E_NS1_11comp_targetILNS1_3genE3ELNS1_11target_archE908ELNS1_3gpuE7ELNS1_3repE0EEENS1_30default_config_static_selectorELNS0_4arch9wavefront6targetE0EEEvT1_.num_agpr, 0
	.set _ZN7rocprim17ROCPRIM_400000_NS6detail17trampoline_kernelINS0_14default_configENS1_25partition_config_selectorILNS1_17partition_subalgoE6EN6thrust23THRUST_200600_302600_NS5tupleIssNS7_9null_typeES9_S9_S9_S9_S9_S9_S9_EENS0_10empty_typeEbEEZZNS1_14partition_implILS5_6ELb0ES3_mNS7_12zip_iteratorINS8_INS7_6detail15normal_iteratorINS7_10device_ptrIsEEEESJ_S9_S9_S9_S9_S9_S9_S9_S9_EEEEPSB_SM_NS0_5tupleIJNSE_INS8_ISJ_NS7_16discard_iteratorINS7_11use_defaultEEES9_S9_S9_S9_S9_S9_S9_S9_EEEESB_EEENSN_IJSM_SM_EEESB_PlJNSF_9not_fun_tINSF_14equal_to_valueISA_EEEEEEE10hipError_tPvRmT3_T4_T5_T6_T7_T9_mT8_P12ihipStream_tbDpT10_ENKUlT_T0_E_clISt17integral_constantIbLb1EES1I_IbLb0EEEEDaS1E_S1F_EUlS1E_E_NS1_11comp_targetILNS1_3genE3ELNS1_11target_archE908ELNS1_3gpuE7ELNS1_3repE0EEENS1_30default_config_static_selectorELNS0_4arch9wavefront6targetE0EEEvT1_.numbered_sgpr, 0
	.set _ZN7rocprim17ROCPRIM_400000_NS6detail17trampoline_kernelINS0_14default_configENS1_25partition_config_selectorILNS1_17partition_subalgoE6EN6thrust23THRUST_200600_302600_NS5tupleIssNS7_9null_typeES9_S9_S9_S9_S9_S9_S9_EENS0_10empty_typeEbEEZZNS1_14partition_implILS5_6ELb0ES3_mNS7_12zip_iteratorINS8_INS7_6detail15normal_iteratorINS7_10device_ptrIsEEEESJ_S9_S9_S9_S9_S9_S9_S9_S9_EEEEPSB_SM_NS0_5tupleIJNSE_INS8_ISJ_NS7_16discard_iteratorINS7_11use_defaultEEES9_S9_S9_S9_S9_S9_S9_S9_EEEESB_EEENSN_IJSM_SM_EEESB_PlJNSF_9not_fun_tINSF_14equal_to_valueISA_EEEEEEE10hipError_tPvRmT3_T4_T5_T6_T7_T9_mT8_P12ihipStream_tbDpT10_ENKUlT_T0_E_clISt17integral_constantIbLb1EES1I_IbLb0EEEEDaS1E_S1F_EUlS1E_E_NS1_11comp_targetILNS1_3genE3ELNS1_11target_archE908ELNS1_3gpuE7ELNS1_3repE0EEENS1_30default_config_static_selectorELNS0_4arch9wavefront6targetE0EEEvT1_.num_named_barrier, 0
	.set _ZN7rocprim17ROCPRIM_400000_NS6detail17trampoline_kernelINS0_14default_configENS1_25partition_config_selectorILNS1_17partition_subalgoE6EN6thrust23THRUST_200600_302600_NS5tupleIssNS7_9null_typeES9_S9_S9_S9_S9_S9_S9_EENS0_10empty_typeEbEEZZNS1_14partition_implILS5_6ELb0ES3_mNS7_12zip_iteratorINS8_INS7_6detail15normal_iteratorINS7_10device_ptrIsEEEESJ_S9_S9_S9_S9_S9_S9_S9_S9_EEEEPSB_SM_NS0_5tupleIJNSE_INS8_ISJ_NS7_16discard_iteratorINS7_11use_defaultEEES9_S9_S9_S9_S9_S9_S9_S9_EEEESB_EEENSN_IJSM_SM_EEESB_PlJNSF_9not_fun_tINSF_14equal_to_valueISA_EEEEEEE10hipError_tPvRmT3_T4_T5_T6_T7_T9_mT8_P12ihipStream_tbDpT10_ENKUlT_T0_E_clISt17integral_constantIbLb1EES1I_IbLb0EEEEDaS1E_S1F_EUlS1E_E_NS1_11comp_targetILNS1_3genE3ELNS1_11target_archE908ELNS1_3gpuE7ELNS1_3repE0EEENS1_30default_config_static_selectorELNS0_4arch9wavefront6targetE0EEEvT1_.private_seg_size, 0
	.set _ZN7rocprim17ROCPRIM_400000_NS6detail17trampoline_kernelINS0_14default_configENS1_25partition_config_selectorILNS1_17partition_subalgoE6EN6thrust23THRUST_200600_302600_NS5tupleIssNS7_9null_typeES9_S9_S9_S9_S9_S9_S9_EENS0_10empty_typeEbEEZZNS1_14partition_implILS5_6ELb0ES3_mNS7_12zip_iteratorINS8_INS7_6detail15normal_iteratorINS7_10device_ptrIsEEEESJ_S9_S9_S9_S9_S9_S9_S9_S9_EEEEPSB_SM_NS0_5tupleIJNSE_INS8_ISJ_NS7_16discard_iteratorINS7_11use_defaultEEES9_S9_S9_S9_S9_S9_S9_S9_EEEESB_EEENSN_IJSM_SM_EEESB_PlJNSF_9not_fun_tINSF_14equal_to_valueISA_EEEEEEE10hipError_tPvRmT3_T4_T5_T6_T7_T9_mT8_P12ihipStream_tbDpT10_ENKUlT_T0_E_clISt17integral_constantIbLb1EES1I_IbLb0EEEEDaS1E_S1F_EUlS1E_E_NS1_11comp_targetILNS1_3genE3ELNS1_11target_archE908ELNS1_3gpuE7ELNS1_3repE0EEENS1_30default_config_static_selectorELNS0_4arch9wavefront6targetE0EEEvT1_.uses_vcc, 0
	.set _ZN7rocprim17ROCPRIM_400000_NS6detail17trampoline_kernelINS0_14default_configENS1_25partition_config_selectorILNS1_17partition_subalgoE6EN6thrust23THRUST_200600_302600_NS5tupleIssNS7_9null_typeES9_S9_S9_S9_S9_S9_S9_EENS0_10empty_typeEbEEZZNS1_14partition_implILS5_6ELb0ES3_mNS7_12zip_iteratorINS8_INS7_6detail15normal_iteratorINS7_10device_ptrIsEEEESJ_S9_S9_S9_S9_S9_S9_S9_S9_EEEEPSB_SM_NS0_5tupleIJNSE_INS8_ISJ_NS7_16discard_iteratorINS7_11use_defaultEEES9_S9_S9_S9_S9_S9_S9_S9_EEEESB_EEENSN_IJSM_SM_EEESB_PlJNSF_9not_fun_tINSF_14equal_to_valueISA_EEEEEEE10hipError_tPvRmT3_T4_T5_T6_T7_T9_mT8_P12ihipStream_tbDpT10_ENKUlT_T0_E_clISt17integral_constantIbLb1EES1I_IbLb0EEEEDaS1E_S1F_EUlS1E_E_NS1_11comp_targetILNS1_3genE3ELNS1_11target_archE908ELNS1_3gpuE7ELNS1_3repE0EEENS1_30default_config_static_selectorELNS0_4arch9wavefront6targetE0EEEvT1_.uses_flat_scratch, 0
	.set _ZN7rocprim17ROCPRIM_400000_NS6detail17trampoline_kernelINS0_14default_configENS1_25partition_config_selectorILNS1_17partition_subalgoE6EN6thrust23THRUST_200600_302600_NS5tupleIssNS7_9null_typeES9_S9_S9_S9_S9_S9_S9_EENS0_10empty_typeEbEEZZNS1_14partition_implILS5_6ELb0ES3_mNS7_12zip_iteratorINS8_INS7_6detail15normal_iteratorINS7_10device_ptrIsEEEESJ_S9_S9_S9_S9_S9_S9_S9_S9_EEEEPSB_SM_NS0_5tupleIJNSE_INS8_ISJ_NS7_16discard_iteratorINS7_11use_defaultEEES9_S9_S9_S9_S9_S9_S9_S9_EEEESB_EEENSN_IJSM_SM_EEESB_PlJNSF_9not_fun_tINSF_14equal_to_valueISA_EEEEEEE10hipError_tPvRmT3_T4_T5_T6_T7_T9_mT8_P12ihipStream_tbDpT10_ENKUlT_T0_E_clISt17integral_constantIbLb1EES1I_IbLb0EEEEDaS1E_S1F_EUlS1E_E_NS1_11comp_targetILNS1_3genE3ELNS1_11target_archE908ELNS1_3gpuE7ELNS1_3repE0EEENS1_30default_config_static_selectorELNS0_4arch9wavefront6targetE0EEEvT1_.has_dyn_sized_stack, 0
	.set _ZN7rocprim17ROCPRIM_400000_NS6detail17trampoline_kernelINS0_14default_configENS1_25partition_config_selectorILNS1_17partition_subalgoE6EN6thrust23THRUST_200600_302600_NS5tupleIssNS7_9null_typeES9_S9_S9_S9_S9_S9_S9_EENS0_10empty_typeEbEEZZNS1_14partition_implILS5_6ELb0ES3_mNS7_12zip_iteratorINS8_INS7_6detail15normal_iteratorINS7_10device_ptrIsEEEESJ_S9_S9_S9_S9_S9_S9_S9_S9_EEEEPSB_SM_NS0_5tupleIJNSE_INS8_ISJ_NS7_16discard_iteratorINS7_11use_defaultEEES9_S9_S9_S9_S9_S9_S9_S9_EEEESB_EEENSN_IJSM_SM_EEESB_PlJNSF_9not_fun_tINSF_14equal_to_valueISA_EEEEEEE10hipError_tPvRmT3_T4_T5_T6_T7_T9_mT8_P12ihipStream_tbDpT10_ENKUlT_T0_E_clISt17integral_constantIbLb1EES1I_IbLb0EEEEDaS1E_S1F_EUlS1E_E_NS1_11comp_targetILNS1_3genE3ELNS1_11target_archE908ELNS1_3gpuE7ELNS1_3repE0EEENS1_30default_config_static_selectorELNS0_4arch9wavefront6targetE0EEEvT1_.has_recursion, 0
	.set _ZN7rocprim17ROCPRIM_400000_NS6detail17trampoline_kernelINS0_14default_configENS1_25partition_config_selectorILNS1_17partition_subalgoE6EN6thrust23THRUST_200600_302600_NS5tupleIssNS7_9null_typeES9_S9_S9_S9_S9_S9_S9_EENS0_10empty_typeEbEEZZNS1_14partition_implILS5_6ELb0ES3_mNS7_12zip_iteratorINS8_INS7_6detail15normal_iteratorINS7_10device_ptrIsEEEESJ_S9_S9_S9_S9_S9_S9_S9_S9_EEEEPSB_SM_NS0_5tupleIJNSE_INS8_ISJ_NS7_16discard_iteratorINS7_11use_defaultEEES9_S9_S9_S9_S9_S9_S9_S9_EEEESB_EEENSN_IJSM_SM_EEESB_PlJNSF_9not_fun_tINSF_14equal_to_valueISA_EEEEEEE10hipError_tPvRmT3_T4_T5_T6_T7_T9_mT8_P12ihipStream_tbDpT10_ENKUlT_T0_E_clISt17integral_constantIbLb1EES1I_IbLb0EEEEDaS1E_S1F_EUlS1E_E_NS1_11comp_targetILNS1_3genE3ELNS1_11target_archE908ELNS1_3gpuE7ELNS1_3repE0EEENS1_30default_config_static_selectorELNS0_4arch9wavefront6targetE0EEEvT1_.has_indirect_call, 0
	.section	.AMDGPU.csdata,"",@progbits
; Kernel info:
; codeLenInByte = 0
; TotalNumSgprs: 0
; NumVgprs: 0
; ScratchSize: 0
; MemoryBound: 0
; FloatMode: 240
; IeeeMode: 1
; LDSByteSize: 0 bytes/workgroup (compile time only)
; SGPRBlocks: 0
; VGPRBlocks: 0
; NumSGPRsForWavesPerEU: 1
; NumVGPRsForWavesPerEU: 1
; Occupancy: 16
; WaveLimiterHint : 0
; COMPUTE_PGM_RSRC2:SCRATCH_EN: 0
; COMPUTE_PGM_RSRC2:USER_SGPR: 2
; COMPUTE_PGM_RSRC2:TRAP_HANDLER: 0
; COMPUTE_PGM_RSRC2:TGID_X_EN: 1
; COMPUTE_PGM_RSRC2:TGID_Y_EN: 0
; COMPUTE_PGM_RSRC2:TGID_Z_EN: 0
; COMPUTE_PGM_RSRC2:TIDIG_COMP_CNT: 0
	.section	.text._ZN7rocprim17ROCPRIM_400000_NS6detail17trampoline_kernelINS0_14default_configENS1_25partition_config_selectorILNS1_17partition_subalgoE6EN6thrust23THRUST_200600_302600_NS5tupleIssNS7_9null_typeES9_S9_S9_S9_S9_S9_S9_EENS0_10empty_typeEbEEZZNS1_14partition_implILS5_6ELb0ES3_mNS7_12zip_iteratorINS8_INS7_6detail15normal_iteratorINS7_10device_ptrIsEEEESJ_S9_S9_S9_S9_S9_S9_S9_S9_EEEEPSB_SM_NS0_5tupleIJNSE_INS8_ISJ_NS7_16discard_iteratorINS7_11use_defaultEEES9_S9_S9_S9_S9_S9_S9_S9_EEEESB_EEENSN_IJSM_SM_EEESB_PlJNSF_9not_fun_tINSF_14equal_to_valueISA_EEEEEEE10hipError_tPvRmT3_T4_T5_T6_T7_T9_mT8_P12ihipStream_tbDpT10_ENKUlT_T0_E_clISt17integral_constantIbLb1EES1I_IbLb0EEEEDaS1E_S1F_EUlS1E_E_NS1_11comp_targetILNS1_3genE2ELNS1_11target_archE906ELNS1_3gpuE6ELNS1_3repE0EEENS1_30default_config_static_selectorELNS0_4arch9wavefront6targetE0EEEvT1_,"axG",@progbits,_ZN7rocprim17ROCPRIM_400000_NS6detail17trampoline_kernelINS0_14default_configENS1_25partition_config_selectorILNS1_17partition_subalgoE6EN6thrust23THRUST_200600_302600_NS5tupleIssNS7_9null_typeES9_S9_S9_S9_S9_S9_S9_EENS0_10empty_typeEbEEZZNS1_14partition_implILS5_6ELb0ES3_mNS7_12zip_iteratorINS8_INS7_6detail15normal_iteratorINS7_10device_ptrIsEEEESJ_S9_S9_S9_S9_S9_S9_S9_S9_EEEEPSB_SM_NS0_5tupleIJNSE_INS8_ISJ_NS7_16discard_iteratorINS7_11use_defaultEEES9_S9_S9_S9_S9_S9_S9_S9_EEEESB_EEENSN_IJSM_SM_EEESB_PlJNSF_9not_fun_tINSF_14equal_to_valueISA_EEEEEEE10hipError_tPvRmT3_T4_T5_T6_T7_T9_mT8_P12ihipStream_tbDpT10_ENKUlT_T0_E_clISt17integral_constantIbLb1EES1I_IbLb0EEEEDaS1E_S1F_EUlS1E_E_NS1_11comp_targetILNS1_3genE2ELNS1_11target_archE906ELNS1_3gpuE6ELNS1_3repE0EEENS1_30default_config_static_selectorELNS0_4arch9wavefront6targetE0EEEvT1_,comdat
	.protected	_ZN7rocprim17ROCPRIM_400000_NS6detail17trampoline_kernelINS0_14default_configENS1_25partition_config_selectorILNS1_17partition_subalgoE6EN6thrust23THRUST_200600_302600_NS5tupleIssNS7_9null_typeES9_S9_S9_S9_S9_S9_S9_EENS0_10empty_typeEbEEZZNS1_14partition_implILS5_6ELb0ES3_mNS7_12zip_iteratorINS8_INS7_6detail15normal_iteratorINS7_10device_ptrIsEEEESJ_S9_S9_S9_S9_S9_S9_S9_S9_EEEEPSB_SM_NS0_5tupleIJNSE_INS8_ISJ_NS7_16discard_iteratorINS7_11use_defaultEEES9_S9_S9_S9_S9_S9_S9_S9_EEEESB_EEENSN_IJSM_SM_EEESB_PlJNSF_9not_fun_tINSF_14equal_to_valueISA_EEEEEEE10hipError_tPvRmT3_T4_T5_T6_T7_T9_mT8_P12ihipStream_tbDpT10_ENKUlT_T0_E_clISt17integral_constantIbLb1EES1I_IbLb0EEEEDaS1E_S1F_EUlS1E_E_NS1_11comp_targetILNS1_3genE2ELNS1_11target_archE906ELNS1_3gpuE6ELNS1_3repE0EEENS1_30default_config_static_selectorELNS0_4arch9wavefront6targetE0EEEvT1_ ; -- Begin function _ZN7rocprim17ROCPRIM_400000_NS6detail17trampoline_kernelINS0_14default_configENS1_25partition_config_selectorILNS1_17partition_subalgoE6EN6thrust23THRUST_200600_302600_NS5tupleIssNS7_9null_typeES9_S9_S9_S9_S9_S9_S9_EENS0_10empty_typeEbEEZZNS1_14partition_implILS5_6ELb0ES3_mNS7_12zip_iteratorINS8_INS7_6detail15normal_iteratorINS7_10device_ptrIsEEEESJ_S9_S9_S9_S9_S9_S9_S9_S9_EEEEPSB_SM_NS0_5tupleIJNSE_INS8_ISJ_NS7_16discard_iteratorINS7_11use_defaultEEES9_S9_S9_S9_S9_S9_S9_S9_EEEESB_EEENSN_IJSM_SM_EEESB_PlJNSF_9not_fun_tINSF_14equal_to_valueISA_EEEEEEE10hipError_tPvRmT3_T4_T5_T6_T7_T9_mT8_P12ihipStream_tbDpT10_ENKUlT_T0_E_clISt17integral_constantIbLb1EES1I_IbLb0EEEEDaS1E_S1F_EUlS1E_E_NS1_11comp_targetILNS1_3genE2ELNS1_11target_archE906ELNS1_3gpuE6ELNS1_3repE0EEENS1_30default_config_static_selectorELNS0_4arch9wavefront6targetE0EEEvT1_
	.globl	_ZN7rocprim17ROCPRIM_400000_NS6detail17trampoline_kernelINS0_14default_configENS1_25partition_config_selectorILNS1_17partition_subalgoE6EN6thrust23THRUST_200600_302600_NS5tupleIssNS7_9null_typeES9_S9_S9_S9_S9_S9_S9_EENS0_10empty_typeEbEEZZNS1_14partition_implILS5_6ELb0ES3_mNS7_12zip_iteratorINS8_INS7_6detail15normal_iteratorINS7_10device_ptrIsEEEESJ_S9_S9_S9_S9_S9_S9_S9_S9_EEEEPSB_SM_NS0_5tupleIJNSE_INS8_ISJ_NS7_16discard_iteratorINS7_11use_defaultEEES9_S9_S9_S9_S9_S9_S9_S9_EEEESB_EEENSN_IJSM_SM_EEESB_PlJNSF_9not_fun_tINSF_14equal_to_valueISA_EEEEEEE10hipError_tPvRmT3_T4_T5_T6_T7_T9_mT8_P12ihipStream_tbDpT10_ENKUlT_T0_E_clISt17integral_constantIbLb1EES1I_IbLb0EEEEDaS1E_S1F_EUlS1E_E_NS1_11comp_targetILNS1_3genE2ELNS1_11target_archE906ELNS1_3gpuE6ELNS1_3repE0EEENS1_30default_config_static_selectorELNS0_4arch9wavefront6targetE0EEEvT1_
	.p2align	8
	.type	_ZN7rocprim17ROCPRIM_400000_NS6detail17trampoline_kernelINS0_14default_configENS1_25partition_config_selectorILNS1_17partition_subalgoE6EN6thrust23THRUST_200600_302600_NS5tupleIssNS7_9null_typeES9_S9_S9_S9_S9_S9_S9_EENS0_10empty_typeEbEEZZNS1_14partition_implILS5_6ELb0ES3_mNS7_12zip_iteratorINS8_INS7_6detail15normal_iteratorINS7_10device_ptrIsEEEESJ_S9_S9_S9_S9_S9_S9_S9_S9_EEEEPSB_SM_NS0_5tupleIJNSE_INS8_ISJ_NS7_16discard_iteratorINS7_11use_defaultEEES9_S9_S9_S9_S9_S9_S9_S9_EEEESB_EEENSN_IJSM_SM_EEESB_PlJNSF_9not_fun_tINSF_14equal_to_valueISA_EEEEEEE10hipError_tPvRmT3_T4_T5_T6_T7_T9_mT8_P12ihipStream_tbDpT10_ENKUlT_T0_E_clISt17integral_constantIbLb1EES1I_IbLb0EEEEDaS1E_S1F_EUlS1E_E_NS1_11comp_targetILNS1_3genE2ELNS1_11target_archE906ELNS1_3gpuE6ELNS1_3repE0EEENS1_30default_config_static_selectorELNS0_4arch9wavefront6targetE0EEEvT1_,@function
_ZN7rocprim17ROCPRIM_400000_NS6detail17trampoline_kernelINS0_14default_configENS1_25partition_config_selectorILNS1_17partition_subalgoE6EN6thrust23THRUST_200600_302600_NS5tupleIssNS7_9null_typeES9_S9_S9_S9_S9_S9_S9_EENS0_10empty_typeEbEEZZNS1_14partition_implILS5_6ELb0ES3_mNS7_12zip_iteratorINS8_INS7_6detail15normal_iteratorINS7_10device_ptrIsEEEESJ_S9_S9_S9_S9_S9_S9_S9_S9_EEEEPSB_SM_NS0_5tupleIJNSE_INS8_ISJ_NS7_16discard_iteratorINS7_11use_defaultEEES9_S9_S9_S9_S9_S9_S9_S9_EEEESB_EEENSN_IJSM_SM_EEESB_PlJNSF_9not_fun_tINSF_14equal_to_valueISA_EEEEEEE10hipError_tPvRmT3_T4_T5_T6_T7_T9_mT8_P12ihipStream_tbDpT10_ENKUlT_T0_E_clISt17integral_constantIbLb1EES1I_IbLb0EEEEDaS1E_S1F_EUlS1E_E_NS1_11comp_targetILNS1_3genE2ELNS1_11target_archE906ELNS1_3gpuE6ELNS1_3repE0EEENS1_30default_config_static_selectorELNS0_4arch9wavefront6targetE0EEEvT1_: ; @_ZN7rocprim17ROCPRIM_400000_NS6detail17trampoline_kernelINS0_14default_configENS1_25partition_config_selectorILNS1_17partition_subalgoE6EN6thrust23THRUST_200600_302600_NS5tupleIssNS7_9null_typeES9_S9_S9_S9_S9_S9_S9_EENS0_10empty_typeEbEEZZNS1_14partition_implILS5_6ELb0ES3_mNS7_12zip_iteratorINS8_INS7_6detail15normal_iteratorINS7_10device_ptrIsEEEESJ_S9_S9_S9_S9_S9_S9_S9_S9_EEEEPSB_SM_NS0_5tupleIJNSE_INS8_ISJ_NS7_16discard_iteratorINS7_11use_defaultEEES9_S9_S9_S9_S9_S9_S9_S9_EEEESB_EEENSN_IJSM_SM_EEESB_PlJNSF_9not_fun_tINSF_14equal_to_valueISA_EEEEEEE10hipError_tPvRmT3_T4_T5_T6_T7_T9_mT8_P12ihipStream_tbDpT10_ENKUlT_T0_E_clISt17integral_constantIbLb1EES1I_IbLb0EEEEDaS1E_S1F_EUlS1E_E_NS1_11comp_targetILNS1_3genE2ELNS1_11target_archE906ELNS1_3gpuE6ELNS1_3repE0EEENS1_30default_config_static_selectorELNS0_4arch9wavefront6targetE0EEEvT1_
; %bb.0:
	.section	.rodata,"a",@progbits
	.p2align	6, 0x0
	.amdhsa_kernel _ZN7rocprim17ROCPRIM_400000_NS6detail17trampoline_kernelINS0_14default_configENS1_25partition_config_selectorILNS1_17partition_subalgoE6EN6thrust23THRUST_200600_302600_NS5tupleIssNS7_9null_typeES9_S9_S9_S9_S9_S9_S9_EENS0_10empty_typeEbEEZZNS1_14partition_implILS5_6ELb0ES3_mNS7_12zip_iteratorINS8_INS7_6detail15normal_iteratorINS7_10device_ptrIsEEEESJ_S9_S9_S9_S9_S9_S9_S9_S9_EEEEPSB_SM_NS0_5tupleIJNSE_INS8_ISJ_NS7_16discard_iteratorINS7_11use_defaultEEES9_S9_S9_S9_S9_S9_S9_S9_EEEESB_EEENSN_IJSM_SM_EEESB_PlJNSF_9not_fun_tINSF_14equal_to_valueISA_EEEEEEE10hipError_tPvRmT3_T4_T5_T6_T7_T9_mT8_P12ihipStream_tbDpT10_ENKUlT_T0_E_clISt17integral_constantIbLb1EES1I_IbLb0EEEEDaS1E_S1F_EUlS1E_E_NS1_11comp_targetILNS1_3genE2ELNS1_11target_archE906ELNS1_3gpuE6ELNS1_3repE0EEENS1_30default_config_static_selectorELNS0_4arch9wavefront6targetE0EEEvT1_
		.amdhsa_group_segment_fixed_size 0
		.amdhsa_private_segment_fixed_size 0
		.amdhsa_kernarg_size 144
		.amdhsa_user_sgpr_count 2
		.amdhsa_user_sgpr_dispatch_ptr 0
		.amdhsa_user_sgpr_queue_ptr 0
		.amdhsa_user_sgpr_kernarg_segment_ptr 1
		.amdhsa_user_sgpr_dispatch_id 0
		.amdhsa_user_sgpr_private_segment_size 0
		.amdhsa_wavefront_size32 1
		.amdhsa_uses_dynamic_stack 0
		.amdhsa_enable_private_segment 0
		.amdhsa_system_sgpr_workgroup_id_x 1
		.amdhsa_system_sgpr_workgroup_id_y 0
		.amdhsa_system_sgpr_workgroup_id_z 0
		.amdhsa_system_sgpr_workgroup_info 0
		.amdhsa_system_vgpr_workitem_id 0
		.amdhsa_next_free_vgpr 1
		.amdhsa_next_free_sgpr 1
		.amdhsa_reserve_vcc 0
		.amdhsa_float_round_mode_32 0
		.amdhsa_float_round_mode_16_64 0
		.amdhsa_float_denorm_mode_32 3
		.amdhsa_float_denorm_mode_16_64 3
		.amdhsa_fp16_overflow 0
		.amdhsa_workgroup_processor_mode 1
		.amdhsa_memory_ordered 1
		.amdhsa_forward_progress 1
		.amdhsa_inst_pref_size 0
		.amdhsa_round_robin_scheduling 0
		.amdhsa_exception_fp_ieee_invalid_op 0
		.amdhsa_exception_fp_denorm_src 0
		.amdhsa_exception_fp_ieee_div_zero 0
		.amdhsa_exception_fp_ieee_overflow 0
		.amdhsa_exception_fp_ieee_underflow 0
		.amdhsa_exception_fp_ieee_inexact 0
		.amdhsa_exception_int_div_zero 0
	.end_amdhsa_kernel
	.section	.text._ZN7rocprim17ROCPRIM_400000_NS6detail17trampoline_kernelINS0_14default_configENS1_25partition_config_selectorILNS1_17partition_subalgoE6EN6thrust23THRUST_200600_302600_NS5tupleIssNS7_9null_typeES9_S9_S9_S9_S9_S9_S9_EENS0_10empty_typeEbEEZZNS1_14partition_implILS5_6ELb0ES3_mNS7_12zip_iteratorINS8_INS7_6detail15normal_iteratorINS7_10device_ptrIsEEEESJ_S9_S9_S9_S9_S9_S9_S9_S9_EEEEPSB_SM_NS0_5tupleIJNSE_INS8_ISJ_NS7_16discard_iteratorINS7_11use_defaultEEES9_S9_S9_S9_S9_S9_S9_S9_EEEESB_EEENSN_IJSM_SM_EEESB_PlJNSF_9not_fun_tINSF_14equal_to_valueISA_EEEEEEE10hipError_tPvRmT3_T4_T5_T6_T7_T9_mT8_P12ihipStream_tbDpT10_ENKUlT_T0_E_clISt17integral_constantIbLb1EES1I_IbLb0EEEEDaS1E_S1F_EUlS1E_E_NS1_11comp_targetILNS1_3genE2ELNS1_11target_archE906ELNS1_3gpuE6ELNS1_3repE0EEENS1_30default_config_static_selectorELNS0_4arch9wavefront6targetE0EEEvT1_,"axG",@progbits,_ZN7rocprim17ROCPRIM_400000_NS6detail17trampoline_kernelINS0_14default_configENS1_25partition_config_selectorILNS1_17partition_subalgoE6EN6thrust23THRUST_200600_302600_NS5tupleIssNS7_9null_typeES9_S9_S9_S9_S9_S9_S9_EENS0_10empty_typeEbEEZZNS1_14partition_implILS5_6ELb0ES3_mNS7_12zip_iteratorINS8_INS7_6detail15normal_iteratorINS7_10device_ptrIsEEEESJ_S9_S9_S9_S9_S9_S9_S9_S9_EEEEPSB_SM_NS0_5tupleIJNSE_INS8_ISJ_NS7_16discard_iteratorINS7_11use_defaultEEES9_S9_S9_S9_S9_S9_S9_S9_EEEESB_EEENSN_IJSM_SM_EEESB_PlJNSF_9not_fun_tINSF_14equal_to_valueISA_EEEEEEE10hipError_tPvRmT3_T4_T5_T6_T7_T9_mT8_P12ihipStream_tbDpT10_ENKUlT_T0_E_clISt17integral_constantIbLb1EES1I_IbLb0EEEEDaS1E_S1F_EUlS1E_E_NS1_11comp_targetILNS1_3genE2ELNS1_11target_archE906ELNS1_3gpuE6ELNS1_3repE0EEENS1_30default_config_static_selectorELNS0_4arch9wavefront6targetE0EEEvT1_,comdat
.Lfunc_end2065:
	.size	_ZN7rocprim17ROCPRIM_400000_NS6detail17trampoline_kernelINS0_14default_configENS1_25partition_config_selectorILNS1_17partition_subalgoE6EN6thrust23THRUST_200600_302600_NS5tupleIssNS7_9null_typeES9_S9_S9_S9_S9_S9_S9_EENS0_10empty_typeEbEEZZNS1_14partition_implILS5_6ELb0ES3_mNS7_12zip_iteratorINS8_INS7_6detail15normal_iteratorINS7_10device_ptrIsEEEESJ_S9_S9_S9_S9_S9_S9_S9_S9_EEEEPSB_SM_NS0_5tupleIJNSE_INS8_ISJ_NS7_16discard_iteratorINS7_11use_defaultEEES9_S9_S9_S9_S9_S9_S9_S9_EEEESB_EEENSN_IJSM_SM_EEESB_PlJNSF_9not_fun_tINSF_14equal_to_valueISA_EEEEEEE10hipError_tPvRmT3_T4_T5_T6_T7_T9_mT8_P12ihipStream_tbDpT10_ENKUlT_T0_E_clISt17integral_constantIbLb1EES1I_IbLb0EEEEDaS1E_S1F_EUlS1E_E_NS1_11comp_targetILNS1_3genE2ELNS1_11target_archE906ELNS1_3gpuE6ELNS1_3repE0EEENS1_30default_config_static_selectorELNS0_4arch9wavefront6targetE0EEEvT1_, .Lfunc_end2065-_ZN7rocprim17ROCPRIM_400000_NS6detail17trampoline_kernelINS0_14default_configENS1_25partition_config_selectorILNS1_17partition_subalgoE6EN6thrust23THRUST_200600_302600_NS5tupleIssNS7_9null_typeES9_S9_S9_S9_S9_S9_S9_EENS0_10empty_typeEbEEZZNS1_14partition_implILS5_6ELb0ES3_mNS7_12zip_iteratorINS8_INS7_6detail15normal_iteratorINS7_10device_ptrIsEEEESJ_S9_S9_S9_S9_S9_S9_S9_S9_EEEEPSB_SM_NS0_5tupleIJNSE_INS8_ISJ_NS7_16discard_iteratorINS7_11use_defaultEEES9_S9_S9_S9_S9_S9_S9_S9_EEEESB_EEENSN_IJSM_SM_EEESB_PlJNSF_9not_fun_tINSF_14equal_to_valueISA_EEEEEEE10hipError_tPvRmT3_T4_T5_T6_T7_T9_mT8_P12ihipStream_tbDpT10_ENKUlT_T0_E_clISt17integral_constantIbLb1EES1I_IbLb0EEEEDaS1E_S1F_EUlS1E_E_NS1_11comp_targetILNS1_3genE2ELNS1_11target_archE906ELNS1_3gpuE6ELNS1_3repE0EEENS1_30default_config_static_selectorELNS0_4arch9wavefront6targetE0EEEvT1_
                                        ; -- End function
	.set _ZN7rocprim17ROCPRIM_400000_NS6detail17trampoline_kernelINS0_14default_configENS1_25partition_config_selectorILNS1_17partition_subalgoE6EN6thrust23THRUST_200600_302600_NS5tupleIssNS7_9null_typeES9_S9_S9_S9_S9_S9_S9_EENS0_10empty_typeEbEEZZNS1_14partition_implILS5_6ELb0ES3_mNS7_12zip_iteratorINS8_INS7_6detail15normal_iteratorINS7_10device_ptrIsEEEESJ_S9_S9_S9_S9_S9_S9_S9_S9_EEEEPSB_SM_NS0_5tupleIJNSE_INS8_ISJ_NS7_16discard_iteratorINS7_11use_defaultEEES9_S9_S9_S9_S9_S9_S9_S9_EEEESB_EEENSN_IJSM_SM_EEESB_PlJNSF_9not_fun_tINSF_14equal_to_valueISA_EEEEEEE10hipError_tPvRmT3_T4_T5_T6_T7_T9_mT8_P12ihipStream_tbDpT10_ENKUlT_T0_E_clISt17integral_constantIbLb1EES1I_IbLb0EEEEDaS1E_S1F_EUlS1E_E_NS1_11comp_targetILNS1_3genE2ELNS1_11target_archE906ELNS1_3gpuE6ELNS1_3repE0EEENS1_30default_config_static_selectorELNS0_4arch9wavefront6targetE0EEEvT1_.num_vgpr, 0
	.set _ZN7rocprim17ROCPRIM_400000_NS6detail17trampoline_kernelINS0_14default_configENS1_25partition_config_selectorILNS1_17partition_subalgoE6EN6thrust23THRUST_200600_302600_NS5tupleIssNS7_9null_typeES9_S9_S9_S9_S9_S9_S9_EENS0_10empty_typeEbEEZZNS1_14partition_implILS5_6ELb0ES3_mNS7_12zip_iteratorINS8_INS7_6detail15normal_iteratorINS7_10device_ptrIsEEEESJ_S9_S9_S9_S9_S9_S9_S9_S9_EEEEPSB_SM_NS0_5tupleIJNSE_INS8_ISJ_NS7_16discard_iteratorINS7_11use_defaultEEES9_S9_S9_S9_S9_S9_S9_S9_EEEESB_EEENSN_IJSM_SM_EEESB_PlJNSF_9not_fun_tINSF_14equal_to_valueISA_EEEEEEE10hipError_tPvRmT3_T4_T5_T6_T7_T9_mT8_P12ihipStream_tbDpT10_ENKUlT_T0_E_clISt17integral_constantIbLb1EES1I_IbLb0EEEEDaS1E_S1F_EUlS1E_E_NS1_11comp_targetILNS1_3genE2ELNS1_11target_archE906ELNS1_3gpuE6ELNS1_3repE0EEENS1_30default_config_static_selectorELNS0_4arch9wavefront6targetE0EEEvT1_.num_agpr, 0
	.set _ZN7rocprim17ROCPRIM_400000_NS6detail17trampoline_kernelINS0_14default_configENS1_25partition_config_selectorILNS1_17partition_subalgoE6EN6thrust23THRUST_200600_302600_NS5tupleIssNS7_9null_typeES9_S9_S9_S9_S9_S9_S9_EENS0_10empty_typeEbEEZZNS1_14partition_implILS5_6ELb0ES3_mNS7_12zip_iteratorINS8_INS7_6detail15normal_iteratorINS7_10device_ptrIsEEEESJ_S9_S9_S9_S9_S9_S9_S9_S9_EEEEPSB_SM_NS0_5tupleIJNSE_INS8_ISJ_NS7_16discard_iteratorINS7_11use_defaultEEES9_S9_S9_S9_S9_S9_S9_S9_EEEESB_EEENSN_IJSM_SM_EEESB_PlJNSF_9not_fun_tINSF_14equal_to_valueISA_EEEEEEE10hipError_tPvRmT3_T4_T5_T6_T7_T9_mT8_P12ihipStream_tbDpT10_ENKUlT_T0_E_clISt17integral_constantIbLb1EES1I_IbLb0EEEEDaS1E_S1F_EUlS1E_E_NS1_11comp_targetILNS1_3genE2ELNS1_11target_archE906ELNS1_3gpuE6ELNS1_3repE0EEENS1_30default_config_static_selectorELNS0_4arch9wavefront6targetE0EEEvT1_.numbered_sgpr, 0
	.set _ZN7rocprim17ROCPRIM_400000_NS6detail17trampoline_kernelINS0_14default_configENS1_25partition_config_selectorILNS1_17partition_subalgoE6EN6thrust23THRUST_200600_302600_NS5tupleIssNS7_9null_typeES9_S9_S9_S9_S9_S9_S9_EENS0_10empty_typeEbEEZZNS1_14partition_implILS5_6ELb0ES3_mNS7_12zip_iteratorINS8_INS7_6detail15normal_iteratorINS7_10device_ptrIsEEEESJ_S9_S9_S9_S9_S9_S9_S9_S9_EEEEPSB_SM_NS0_5tupleIJNSE_INS8_ISJ_NS7_16discard_iteratorINS7_11use_defaultEEES9_S9_S9_S9_S9_S9_S9_S9_EEEESB_EEENSN_IJSM_SM_EEESB_PlJNSF_9not_fun_tINSF_14equal_to_valueISA_EEEEEEE10hipError_tPvRmT3_T4_T5_T6_T7_T9_mT8_P12ihipStream_tbDpT10_ENKUlT_T0_E_clISt17integral_constantIbLb1EES1I_IbLb0EEEEDaS1E_S1F_EUlS1E_E_NS1_11comp_targetILNS1_3genE2ELNS1_11target_archE906ELNS1_3gpuE6ELNS1_3repE0EEENS1_30default_config_static_selectorELNS0_4arch9wavefront6targetE0EEEvT1_.num_named_barrier, 0
	.set _ZN7rocprim17ROCPRIM_400000_NS6detail17trampoline_kernelINS0_14default_configENS1_25partition_config_selectorILNS1_17partition_subalgoE6EN6thrust23THRUST_200600_302600_NS5tupleIssNS7_9null_typeES9_S9_S9_S9_S9_S9_S9_EENS0_10empty_typeEbEEZZNS1_14partition_implILS5_6ELb0ES3_mNS7_12zip_iteratorINS8_INS7_6detail15normal_iteratorINS7_10device_ptrIsEEEESJ_S9_S9_S9_S9_S9_S9_S9_S9_EEEEPSB_SM_NS0_5tupleIJNSE_INS8_ISJ_NS7_16discard_iteratorINS7_11use_defaultEEES9_S9_S9_S9_S9_S9_S9_S9_EEEESB_EEENSN_IJSM_SM_EEESB_PlJNSF_9not_fun_tINSF_14equal_to_valueISA_EEEEEEE10hipError_tPvRmT3_T4_T5_T6_T7_T9_mT8_P12ihipStream_tbDpT10_ENKUlT_T0_E_clISt17integral_constantIbLb1EES1I_IbLb0EEEEDaS1E_S1F_EUlS1E_E_NS1_11comp_targetILNS1_3genE2ELNS1_11target_archE906ELNS1_3gpuE6ELNS1_3repE0EEENS1_30default_config_static_selectorELNS0_4arch9wavefront6targetE0EEEvT1_.private_seg_size, 0
	.set _ZN7rocprim17ROCPRIM_400000_NS6detail17trampoline_kernelINS0_14default_configENS1_25partition_config_selectorILNS1_17partition_subalgoE6EN6thrust23THRUST_200600_302600_NS5tupleIssNS7_9null_typeES9_S9_S9_S9_S9_S9_S9_EENS0_10empty_typeEbEEZZNS1_14partition_implILS5_6ELb0ES3_mNS7_12zip_iteratorINS8_INS7_6detail15normal_iteratorINS7_10device_ptrIsEEEESJ_S9_S9_S9_S9_S9_S9_S9_S9_EEEEPSB_SM_NS0_5tupleIJNSE_INS8_ISJ_NS7_16discard_iteratorINS7_11use_defaultEEES9_S9_S9_S9_S9_S9_S9_S9_EEEESB_EEENSN_IJSM_SM_EEESB_PlJNSF_9not_fun_tINSF_14equal_to_valueISA_EEEEEEE10hipError_tPvRmT3_T4_T5_T6_T7_T9_mT8_P12ihipStream_tbDpT10_ENKUlT_T0_E_clISt17integral_constantIbLb1EES1I_IbLb0EEEEDaS1E_S1F_EUlS1E_E_NS1_11comp_targetILNS1_3genE2ELNS1_11target_archE906ELNS1_3gpuE6ELNS1_3repE0EEENS1_30default_config_static_selectorELNS0_4arch9wavefront6targetE0EEEvT1_.uses_vcc, 0
	.set _ZN7rocprim17ROCPRIM_400000_NS6detail17trampoline_kernelINS0_14default_configENS1_25partition_config_selectorILNS1_17partition_subalgoE6EN6thrust23THRUST_200600_302600_NS5tupleIssNS7_9null_typeES9_S9_S9_S9_S9_S9_S9_EENS0_10empty_typeEbEEZZNS1_14partition_implILS5_6ELb0ES3_mNS7_12zip_iteratorINS8_INS7_6detail15normal_iteratorINS7_10device_ptrIsEEEESJ_S9_S9_S9_S9_S9_S9_S9_S9_EEEEPSB_SM_NS0_5tupleIJNSE_INS8_ISJ_NS7_16discard_iteratorINS7_11use_defaultEEES9_S9_S9_S9_S9_S9_S9_S9_EEEESB_EEENSN_IJSM_SM_EEESB_PlJNSF_9not_fun_tINSF_14equal_to_valueISA_EEEEEEE10hipError_tPvRmT3_T4_T5_T6_T7_T9_mT8_P12ihipStream_tbDpT10_ENKUlT_T0_E_clISt17integral_constantIbLb1EES1I_IbLb0EEEEDaS1E_S1F_EUlS1E_E_NS1_11comp_targetILNS1_3genE2ELNS1_11target_archE906ELNS1_3gpuE6ELNS1_3repE0EEENS1_30default_config_static_selectorELNS0_4arch9wavefront6targetE0EEEvT1_.uses_flat_scratch, 0
	.set _ZN7rocprim17ROCPRIM_400000_NS6detail17trampoline_kernelINS0_14default_configENS1_25partition_config_selectorILNS1_17partition_subalgoE6EN6thrust23THRUST_200600_302600_NS5tupleIssNS7_9null_typeES9_S9_S9_S9_S9_S9_S9_EENS0_10empty_typeEbEEZZNS1_14partition_implILS5_6ELb0ES3_mNS7_12zip_iteratorINS8_INS7_6detail15normal_iteratorINS7_10device_ptrIsEEEESJ_S9_S9_S9_S9_S9_S9_S9_S9_EEEEPSB_SM_NS0_5tupleIJNSE_INS8_ISJ_NS7_16discard_iteratorINS7_11use_defaultEEES9_S9_S9_S9_S9_S9_S9_S9_EEEESB_EEENSN_IJSM_SM_EEESB_PlJNSF_9not_fun_tINSF_14equal_to_valueISA_EEEEEEE10hipError_tPvRmT3_T4_T5_T6_T7_T9_mT8_P12ihipStream_tbDpT10_ENKUlT_T0_E_clISt17integral_constantIbLb1EES1I_IbLb0EEEEDaS1E_S1F_EUlS1E_E_NS1_11comp_targetILNS1_3genE2ELNS1_11target_archE906ELNS1_3gpuE6ELNS1_3repE0EEENS1_30default_config_static_selectorELNS0_4arch9wavefront6targetE0EEEvT1_.has_dyn_sized_stack, 0
	.set _ZN7rocprim17ROCPRIM_400000_NS6detail17trampoline_kernelINS0_14default_configENS1_25partition_config_selectorILNS1_17partition_subalgoE6EN6thrust23THRUST_200600_302600_NS5tupleIssNS7_9null_typeES9_S9_S9_S9_S9_S9_S9_EENS0_10empty_typeEbEEZZNS1_14partition_implILS5_6ELb0ES3_mNS7_12zip_iteratorINS8_INS7_6detail15normal_iteratorINS7_10device_ptrIsEEEESJ_S9_S9_S9_S9_S9_S9_S9_S9_EEEEPSB_SM_NS0_5tupleIJNSE_INS8_ISJ_NS7_16discard_iteratorINS7_11use_defaultEEES9_S9_S9_S9_S9_S9_S9_S9_EEEESB_EEENSN_IJSM_SM_EEESB_PlJNSF_9not_fun_tINSF_14equal_to_valueISA_EEEEEEE10hipError_tPvRmT3_T4_T5_T6_T7_T9_mT8_P12ihipStream_tbDpT10_ENKUlT_T0_E_clISt17integral_constantIbLb1EES1I_IbLb0EEEEDaS1E_S1F_EUlS1E_E_NS1_11comp_targetILNS1_3genE2ELNS1_11target_archE906ELNS1_3gpuE6ELNS1_3repE0EEENS1_30default_config_static_selectorELNS0_4arch9wavefront6targetE0EEEvT1_.has_recursion, 0
	.set _ZN7rocprim17ROCPRIM_400000_NS6detail17trampoline_kernelINS0_14default_configENS1_25partition_config_selectorILNS1_17partition_subalgoE6EN6thrust23THRUST_200600_302600_NS5tupleIssNS7_9null_typeES9_S9_S9_S9_S9_S9_S9_EENS0_10empty_typeEbEEZZNS1_14partition_implILS5_6ELb0ES3_mNS7_12zip_iteratorINS8_INS7_6detail15normal_iteratorINS7_10device_ptrIsEEEESJ_S9_S9_S9_S9_S9_S9_S9_S9_EEEEPSB_SM_NS0_5tupleIJNSE_INS8_ISJ_NS7_16discard_iteratorINS7_11use_defaultEEES9_S9_S9_S9_S9_S9_S9_S9_EEEESB_EEENSN_IJSM_SM_EEESB_PlJNSF_9not_fun_tINSF_14equal_to_valueISA_EEEEEEE10hipError_tPvRmT3_T4_T5_T6_T7_T9_mT8_P12ihipStream_tbDpT10_ENKUlT_T0_E_clISt17integral_constantIbLb1EES1I_IbLb0EEEEDaS1E_S1F_EUlS1E_E_NS1_11comp_targetILNS1_3genE2ELNS1_11target_archE906ELNS1_3gpuE6ELNS1_3repE0EEENS1_30default_config_static_selectorELNS0_4arch9wavefront6targetE0EEEvT1_.has_indirect_call, 0
	.section	.AMDGPU.csdata,"",@progbits
; Kernel info:
; codeLenInByte = 0
; TotalNumSgprs: 0
; NumVgprs: 0
; ScratchSize: 0
; MemoryBound: 0
; FloatMode: 240
; IeeeMode: 1
; LDSByteSize: 0 bytes/workgroup (compile time only)
; SGPRBlocks: 0
; VGPRBlocks: 0
; NumSGPRsForWavesPerEU: 1
; NumVGPRsForWavesPerEU: 1
; Occupancy: 16
; WaveLimiterHint : 0
; COMPUTE_PGM_RSRC2:SCRATCH_EN: 0
; COMPUTE_PGM_RSRC2:USER_SGPR: 2
; COMPUTE_PGM_RSRC2:TRAP_HANDLER: 0
; COMPUTE_PGM_RSRC2:TGID_X_EN: 1
; COMPUTE_PGM_RSRC2:TGID_Y_EN: 0
; COMPUTE_PGM_RSRC2:TGID_Z_EN: 0
; COMPUTE_PGM_RSRC2:TIDIG_COMP_CNT: 0
	.section	.text._ZN7rocprim17ROCPRIM_400000_NS6detail17trampoline_kernelINS0_14default_configENS1_25partition_config_selectorILNS1_17partition_subalgoE6EN6thrust23THRUST_200600_302600_NS5tupleIssNS7_9null_typeES9_S9_S9_S9_S9_S9_S9_EENS0_10empty_typeEbEEZZNS1_14partition_implILS5_6ELb0ES3_mNS7_12zip_iteratorINS8_INS7_6detail15normal_iteratorINS7_10device_ptrIsEEEESJ_S9_S9_S9_S9_S9_S9_S9_S9_EEEEPSB_SM_NS0_5tupleIJNSE_INS8_ISJ_NS7_16discard_iteratorINS7_11use_defaultEEES9_S9_S9_S9_S9_S9_S9_S9_EEEESB_EEENSN_IJSM_SM_EEESB_PlJNSF_9not_fun_tINSF_14equal_to_valueISA_EEEEEEE10hipError_tPvRmT3_T4_T5_T6_T7_T9_mT8_P12ihipStream_tbDpT10_ENKUlT_T0_E_clISt17integral_constantIbLb1EES1I_IbLb0EEEEDaS1E_S1F_EUlS1E_E_NS1_11comp_targetILNS1_3genE10ELNS1_11target_archE1200ELNS1_3gpuE4ELNS1_3repE0EEENS1_30default_config_static_selectorELNS0_4arch9wavefront6targetE0EEEvT1_,"axG",@progbits,_ZN7rocprim17ROCPRIM_400000_NS6detail17trampoline_kernelINS0_14default_configENS1_25partition_config_selectorILNS1_17partition_subalgoE6EN6thrust23THRUST_200600_302600_NS5tupleIssNS7_9null_typeES9_S9_S9_S9_S9_S9_S9_EENS0_10empty_typeEbEEZZNS1_14partition_implILS5_6ELb0ES3_mNS7_12zip_iteratorINS8_INS7_6detail15normal_iteratorINS7_10device_ptrIsEEEESJ_S9_S9_S9_S9_S9_S9_S9_S9_EEEEPSB_SM_NS0_5tupleIJNSE_INS8_ISJ_NS7_16discard_iteratorINS7_11use_defaultEEES9_S9_S9_S9_S9_S9_S9_S9_EEEESB_EEENSN_IJSM_SM_EEESB_PlJNSF_9not_fun_tINSF_14equal_to_valueISA_EEEEEEE10hipError_tPvRmT3_T4_T5_T6_T7_T9_mT8_P12ihipStream_tbDpT10_ENKUlT_T0_E_clISt17integral_constantIbLb1EES1I_IbLb0EEEEDaS1E_S1F_EUlS1E_E_NS1_11comp_targetILNS1_3genE10ELNS1_11target_archE1200ELNS1_3gpuE4ELNS1_3repE0EEENS1_30default_config_static_selectorELNS0_4arch9wavefront6targetE0EEEvT1_,comdat
	.protected	_ZN7rocprim17ROCPRIM_400000_NS6detail17trampoline_kernelINS0_14default_configENS1_25partition_config_selectorILNS1_17partition_subalgoE6EN6thrust23THRUST_200600_302600_NS5tupleIssNS7_9null_typeES9_S9_S9_S9_S9_S9_S9_EENS0_10empty_typeEbEEZZNS1_14partition_implILS5_6ELb0ES3_mNS7_12zip_iteratorINS8_INS7_6detail15normal_iteratorINS7_10device_ptrIsEEEESJ_S9_S9_S9_S9_S9_S9_S9_S9_EEEEPSB_SM_NS0_5tupleIJNSE_INS8_ISJ_NS7_16discard_iteratorINS7_11use_defaultEEES9_S9_S9_S9_S9_S9_S9_S9_EEEESB_EEENSN_IJSM_SM_EEESB_PlJNSF_9not_fun_tINSF_14equal_to_valueISA_EEEEEEE10hipError_tPvRmT3_T4_T5_T6_T7_T9_mT8_P12ihipStream_tbDpT10_ENKUlT_T0_E_clISt17integral_constantIbLb1EES1I_IbLb0EEEEDaS1E_S1F_EUlS1E_E_NS1_11comp_targetILNS1_3genE10ELNS1_11target_archE1200ELNS1_3gpuE4ELNS1_3repE0EEENS1_30default_config_static_selectorELNS0_4arch9wavefront6targetE0EEEvT1_ ; -- Begin function _ZN7rocprim17ROCPRIM_400000_NS6detail17trampoline_kernelINS0_14default_configENS1_25partition_config_selectorILNS1_17partition_subalgoE6EN6thrust23THRUST_200600_302600_NS5tupleIssNS7_9null_typeES9_S9_S9_S9_S9_S9_S9_EENS0_10empty_typeEbEEZZNS1_14partition_implILS5_6ELb0ES3_mNS7_12zip_iteratorINS8_INS7_6detail15normal_iteratorINS7_10device_ptrIsEEEESJ_S9_S9_S9_S9_S9_S9_S9_S9_EEEEPSB_SM_NS0_5tupleIJNSE_INS8_ISJ_NS7_16discard_iteratorINS7_11use_defaultEEES9_S9_S9_S9_S9_S9_S9_S9_EEEESB_EEENSN_IJSM_SM_EEESB_PlJNSF_9not_fun_tINSF_14equal_to_valueISA_EEEEEEE10hipError_tPvRmT3_T4_T5_T6_T7_T9_mT8_P12ihipStream_tbDpT10_ENKUlT_T0_E_clISt17integral_constantIbLb1EES1I_IbLb0EEEEDaS1E_S1F_EUlS1E_E_NS1_11comp_targetILNS1_3genE10ELNS1_11target_archE1200ELNS1_3gpuE4ELNS1_3repE0EEENS1_30default_config_static_selectorELNS0_4arch9wavefront6targetE0EEEvT1_
	.globl	_ZN7rocprim17ROCPRIM_400000_NS6detail17trampoline_kernelINS0_14default_configENS1_25partition_config_selectorILNS1_17partition_subalgoE6EN6thrust23THRUST_200600_302600_NS5tupleIssNS7_9null_typeES9_S9_S9_S9_S9_S9_S9_EENS0_10empty_typeEbEEZZNS1_14partition_implILS5_6ELb0ES3_mNS7_12zip_iteratorINS8_INS7_6detail15normal_iteratorINS7_10device_ptrIsEEEESJ_S9_S9_S9_S9_S9_S9_S9_S9_EEEEPSB_SM_NS0_5tupleIJNSE_INS8_ISJ_NS7_16discard_iteratorINS7_11use_defaultEEES9_S9_S9_S9_S9_S9_S9_S9_EEEESB_EEENSN_IJSM_SM_EEESB_PlJNSF_9not_fun_tINSF_14equal_to_valueISA_EEEEEEE10hipError_tPvRmT3_T4_T5_T6_T7_T9_mT8_P12ihipStream_tbDpT10_ENKUlT_T0_E_clISt17integral_constantIbLb1EES1I_IbLb0EEEEDaS1E_S1F_EUlS1E_E_NS1_11comp_targetILNS1_3genE10ELNS1_11target_archE1200ELNS1_3gpuE4ELNS1_3repE0EEENS1_30default_config_static_selectorELNS0_4arch9wavefront6targetE0EEEvT1_
	.p2align	8
	.type	_ZN7rocprim17ROCPRIM_400000_NS6detail17trampoline_kernelINS0_14default_configENS1_25partition_config_selectorILNS1_17partition_subalgoE6EN6thrust23THRUST_200600_302600_NS5tupleIssNS7_9null_typeES9_S9_S9_S9_S9_S9_S9_EENS0_10empty_typeEbEEZZNS1_14partition_implILS5_6ELb0ES3_mNS7_12zip_iteratorINS8_INS7_6detail15normal_iteratorINS7_10device_ptrIsEEEESJ_S9_S9_S9_S9_S9_S9_S9_S9_EEEEPSB_SM_NS0_5tupleIJNSE_INS8_ISJ_NS7_16discard_iteratorINS7_11use_defaultEEES9_S9_S9_S9_S9_S9_S9_S9_EEEESB_EEENSN_IJSM_SM_EEESB_PlJNSF_9not_fun_tINSF_14equal_to_valueISA_EEEEEEE10hipError_tPvRmT3_T4_T5_T6_T7_T9_mT8_P12ihipStream_tbDpT10_ENKUlT_T0_E_clISt17integral_constantIbLb1EES1I_IbLb0EEEEDaS1E_S1F_EUlS1E_E_NS1_11comp_targetILNS1_3genE10ELNS1_11target_archE1200ELNS1_3gpuE4ELNS1_3repE0EEENS1_30default_config_static_selectorELNS0_4arch9wavefront6targetE0EEEvT1_,@function
_ZN7rocprim17ROCPRIM_400000_NS6detail17trampoline_kernelINS0_14default_configENS1_25partition_config_selectorILNS1_17partition_subalgoE6EN6thrust23THRUST_200600_302600_NS5tupleIssNS7_9null_typeES9_S9_S9_S9_S9_S9_S9_EENS0_10empty_typeEbEEZZNS1_14partition_implILS5_6ELb0ES3_mNS7_12zip_iteratorINS8_INS7_6detail15normal_iteratorINS7_10device_ptrIsEEEESJ_S9_S9_S9_S9_S9_S9_S9_S9_EEEEPSB_SM_NS0_5tupleIJNSE_INS8_ISJ_NS7_16discard_iteratorINS7_11use_defaultEEES9_S9_S9_S9_S9_S9_S9_S9_EEEESB_EEENSN_IJSM_SM_EEESB_PlJNSF_9not_fun_tINSF_14equal_to_valueISA_EEEEEEE10hipError_tPvRmT3_T4_T5_T6_T7_T9_mT8_P12ihipStream_tbDpT10_ENKUlT_T0_E_clISt17integral_constantIbLb1EES1I_IbLb0EEEEDaS1E_S1F_EUlS1E_E_NS1_11comp_targetILNS1_3genE10ELNS1_11target_archE1200ELNS1_3gpuE4ELNS1_3repE0EEENS1_30default_config_static_selectorELNS0_4arch9wavefront6targetE0EEEvT1_: ; @_ZN7rocprim17ROCPRIM_400000_NS6detail17trampoline_kernelINS0_14default_configENS1_25partition_config_selectorILNS1_17partition_subalgoE6EN6thrust23THRUST_200600_302600_NS5tupleIssNS7_9null_typeES9_S9_S9_S9_S9_S9_S9_EENS0_10empty_typeEbEEZZNS1_14partition_implILS5_6ELb0ES3_mNS7_12zip_iteratorINS8_INS7_6detail15normal_iteratorINS7_10device_ptrIsEEEESJ_S9_S9_S9_S9_S9_S9_S9_S9_EEEEPSB_SM_NS0_5tupleIJNSE_INS8_ISJ_NS7_16discard_iteratorINS7_11use_defaultEEES9_S9_S9_S9_S9_S9_S9_S9_EEEESB_EEENSN_IJSM_SM_EEESB_PlJNSF_9not_fun_tINSF_14equal_to_valueISA_EEEEEEE10hipError_tPvRmT3_T4_T5_T6_T7_T9_mT8_P12ihipStream_tbDpT10_ENKUlT_T0_E_clISt17integral_constantIbLb1EES1I_IbLb0EEEEDaS1E_S1F_EUlS1E_E_NS1_11comp_targetILNS1_3genE10ELNS1_11target_archE1200ELNS1_3gpuE4ELNS1_3repE0EEENS1_30default_config_static_selectorELNS0_4arch9wavefront6targetE0EEEvT1_
; %bb.0:
	s_endpgm
	.section	.rodata,"a",@progbits
	.p2align	6, 0x0
	.amdhsa_kernel _ZN7rocprim17ROCPRIM_400000_NS6detail17trampoline_kernelINS0_14default_configENS1_25partition_config_selectorILNS1_17partition_subalgoE6EN6thrust23THRUST_200600_302600_NS5tupleIssNS7_9null_typeES9_S9_S9_S9_S9_S9_S9_EENS0_10empty_typeEbEEZZNS1_14partition_implILS5_6ELb0ES3_mNS7_12zip_iteratorINS8_INS7_6detail15normal_iteratorINS7_10device_ptrIsEEEESJ_S9_S9_S9_S9_S9_S9_S9_S9_EEEEPSB_SM_NS0_5tupleIJNSE_INS8_ISJ_NS7_16discard_iteratorINS7_11use_defaultEEES9_S9_S9_S9_S9_S9_S9_S9_EEEESB_EEENSN_IJSM_SM_EEESB_PlJNSF_9not_fun_tINSF_14equal_to_valueISA_EEEEEEE10hipError_tPvRmT3_T4_T5_T6_T7_T9_mT8_P12ihipStream_tbDpT10_ENKUlT_T0_E_clISt17integral_constantIbLb1EES1I_IbLb0EEEEDaS1E_S1F_EUlS1E_E_NS1_11comp_targetILNS1_3genE10ELNS1_11target_archE1200ELNS1_3gpuE4ELNS1_3repE0EEENS1_30default_config_static_selectorELNS0_4arch9wavefront6targetE0EEEvT1_
		.amdhsa_group_segment_fixed_size 0
		.amdhsa_private_segment_fixed_size 0
		.amdhsa_kernarg_size 144
		.amdhsa_user_sgpr_count 2
		.amdhsa_user_sgpr_dispatch_ptr 0
		.amdhsa_user_sgpr_queue_ptr 0
		.amdhsa_user_sgpr_kernarg_segment_ptr 1
		.amdhsa_user_sgpr_dispatch_id 0
		.amdhsa_user_sgpr_private_segment_size 0
		.amdhsa_wavefront_size32 1
		.amdhsa_uses_dynamic_stack 0
		.amdhsa_enable_private_segment 0
		.amdhsa_system_sgpr_workgroup_id_x 1
		.amdhsa_system_sgpr_workgroup_id_y 0
		.amdhsa_system_sgpr_workgroup_id_z 0
		.amdhsa_system_sgpr_workgroup_info 0
		.amdhsa_system_vgpr_workitem_id 0
		.amdhsa_next_free_vgpr 1
		.amdhsa_next_free_sgpr 1
		.amdhsa_reserve_vcc 0
		.amdhsa_float_round_mode_32 0
		.amdhsa_float_round_mode_16_64 0
		.amdhsa_float_denorm_mode_32 3
		.amdhsa_float_denorm_mode_16_64 3
		.amdhsa_fp16_overflow 0
		.amdhsa_workgroup_processor_mode 1
		.amdhsa_memory_ordered 1
		.amdhsa_forward_progress 1
		.amdhsa_inst_pref_size 1
		.amdhsa_round_robin_scheduling 0
		.amdhsa_exception_fp_ieee_invalid_op 0
		.amdhsa_exception_fp_denorm_src 0
		.amdhsa_exception_fp_ieee_div_zero 0
		.amdhsa_exception_fp_ieee_overflow 0
		.amdhsa_exception_fp_ieee_underflow 0
		.amdhsa_exception_fp_ieee_inexact 0
		.amdhsa_exception_int_div_zero 0
	.end_amdhsa_kernel
	.section	.text._ZN7rocprim17ROCPRIM_400000_NS6detail17trampoline_kernelINS0_14default_configENS1_25partition_config_selectorILNS1_17partition_subalgoE6EN6thrust23THRUST_200600_302600_NS5tupleIssNS7_9null_typeES9_S9_S9_S9_S9_S9_S9_EENS0_10empty_typeEbEEZZNS1_14partition_implILS5_6ELb0ES3_mNS7_12zip_iteratorINS8_INS7_6detail15normal_iteratorINS7_10device_ptrIsEEEESJ_S9_S9_S9_S9_S9_S9_S9_S9_EEEEPSB_SM_NS0_5tupleIJNSE_INS8_ISJ_NS7_16discard_iteratorINS7_11use_defaultEEES9_S9_S9_S9_S9_S9_S9_S9_EEEESB_EEENSN_IJSM_SM_EEESB_PlJNSF_9not_fun_tINSF_14equal_to_valueISA_EEEEEEE10hipError_tPvRmT3_T4_T5_T6_T7_T9_mT8_P12ihipStream_tbDpT10_ENKUlT_T0_E_clISt17integral_constantIbLb1EES1I_IbLb0EEEEDaS1E_S1F_EUlS1E_E_NS1_11comp_targetILNS1_3genE10ELNS1_11target_archE1200ELNS1_3gpuE4ELNS1_3repE0EEENS1_30default_config_static_selectorELNS0_4arch9wavefront6targetE0EEEvT1_,"axG",@progbits,_ZN7rocprim17ROCPRIM_400000_NS6detail17trampoline_kernelINS0_14default_configENS1_25partition_config_selectorILNS1_17partition_subalgoE6EN6thrust23THRUST_200600_302600_NS5tupleIssNS7_9null_typeES9_S9_S9_S9_S9_S9_S9_EENS0_10empty_typeEbEEZZNS1_14partition_implILS5_6ELb0ES3_mNS7_12zip_iteratorINS8_INS7_6detail15normal_iteratorINS7_10device_ptrIsEEEESJ_S9_S9_S9_S9_S9_S9_S9_S9_EEEEPSB_SM_NS0_5tupleIJNSE_INS8_ISJ_NS7_16discard_iteratorINS7_11use_defaultEEES9_S9_S9_S9_S9_S9_S9_S9_EEEESB_EEENSN_IJSM_SM_EEESB_PlJNSF_9not_fun_tINSF_14equal_to_valueISA_EEEEEEE10hipError_tPvRmT3_T4_T5_T6_T7_T9_mT8_P12ihipStream_tbDpT10_ENKUlT_T0_E_clISt17integral_constantIbLb1EES1I_IbLb0EEEEDaS1E_S1F_EUlS1E_E_NS1_11comp_targetILNS1_3genE10ELNS1_11target_archE1200ELNS1_3gpuE4ELNS1_3repE0EEENS1_30default_config_static_selectorELNS0_4arch9wavefront6targetE0EEEvT1_,comdat
.Lfunc_end2066:
	.size	_ZN7rocprim17ROCPRIM_400000_NS6detail17trampoline_kernelINS0_14default_configENS1_25partition_config_selectorILNS1_17partition_subalgoE6EN6thrust23THRUST_200600_302600_NS5tupleIssNS7_9null_typeES9_S9_S9_S9_S9_S9_S9_EENS0_10empty_typeEbEEZZNS1_14partition_implILS5_6ELb0ES3_mNS7_12zip_iteratorINS8_INS7_6detail15normal_iteratorINS7_10device_ptrIsEEEESJ_S9_S9_S9_S9_S9_S9_S9_S9_EEEEPSB_SM_NS0_5tupleIJNSE_INS8_ISJ_NS7_16discard_iteratorINS7_11use_defaultEEES9_S9_S9_S9_S9_S9_S9_S9_EEEESB_EEENSN_IJSM_SM_EEESB_PlJNSF_9not_fun_tINSF_14equal_to_valueISA_EEEEEEE10hipError_tPvRmT3_T4_T5_T6_T7_T9_mT8_P12ihipStream_tbDpT10_ENKUlT_T0_E_clISt17integral_constantIbLb1EES1I_IbLb0EEEEDaS1E_S1F_EUlS1E_E_NS1_11comp_targetILNS1_3genE10ELNS1_11target_archE1200ELNS1_3gpuE4ELNS1_3repE0EEENS1_30default_config_static_selectorELNS0_4arch9wavefront6targetE0EEEvT1_, .Lfunc_end2066-_ZN7rocprim17ROCPRIM_400000_NS6detail17trampoline_kernelINS0_14default_configENS1_25partition_config_selectorILNS1_17partition_subalgoE6EN6thrust23THRUST_200600_302600_NS5tupleIssNS7_9null_typeES9_S9_S9_S9_S9_S9_S9_EENS0_10empty_typeEbEEZZNS1_14partition_implILS5_6ELb0ES3_mNS7_12zip_iteratorINS8_INS7_6detail15normal_iteratorINS7_10device_ptrIsEEEESJ_S9_S9_S9_S9_S9_S9_S9_S9_EEEEPSB_SM_NS0_5tupleIJNSE_INS8_ISJ_NS7_16discard_iteratorINS7_11use_defaultEEES9_S9_S9_S9_S9_S9_S9_S9_EEEESB_EEENSN_IJSM_SM_EEESB_PlJNSF_9not_fun_tINSF_14equal_to_valueISA_EEEEEEE10hipError_tPvRmT3_T4_T5_T6_T7_T9_mT8_P12ihipStream_tbDpT10_ENKUlT_T0_E_clISt17integral_constantIbLb1EES1I_IbLb0EEEEDaS1E_S1F_EUlS1E_E_NS1_11comp_targetILNS1_3genE10ELNS1_11target_archE1200ELNS1_3gpuE4ELNS1_3repE0EEENS1_30default_config_static_selectorELNS0_4arch9wavefront6targetE0EEEvT1_
                                        ; -- End function
	.set _ZN7rocprim17ROCPRIM_400000_NS6detail17trampoline_kernelINS0_14default_configENS1_25partition_config_selectorILNS1_17partition_subalgoE6EN6thrust23THRUST_200600_302600_NS5tupleIssNS7_9null_typeES9_S9_S9_S9_S9_S9_S9_EENS0_10empty_typeEbEEZZNS1_14partition_implILS5_6ELb0ES3_mNS7_12zip_iteratorINS8_INS7_6detail15normal_iteratorINS7_10device_ptrIsEEEESJ_S9_S9_S9_S9_S9_S9_S9_S9_EEEEPSB_SM_NS0_5tupleIJNSE_INS8_ISJ_NS7_16discard_iteratorINS7_11use_defaultEEES9_S9_S9_S9_S9_S9_S9_S9_EEEESB_EEENSN_IJSM_SM_EEESB_PlJNSF_9not_fun_tINSF_14equal_to_valueISA_EEEEEEE10hipError_tPvRmT3_T4_T5_T6_T7_T9_mT8_P12ihipStream_tbDpT10_ENKUlT_T0_E_clISt17integral_constantIbLb1EES1I_IbLb0EEEEDaS1E_S1F_EUlS1E_E_NS1_11comp_targetILNS1_3genE10ELNS1_11target_archE1200ELNS1_3gpuE4ELNS1_3repE0EEENS1_30default_config_static_selectorELNS0_4arch9wavefront6targetE0EEEvT1_.num_vgpr, 0
	.set _ZN7rocprim17ROCPRIM_400000_NS6detail17trampoline_kernelINS0_14default_configENS1_25partition_config_selectorILNS1_17partition_subalgoE6EN6thrust23THRUST_200600_302600_NS5tupleIssNS7_9null_typeES9_S9_S9_S9_S9_S9_S9_EENS0_10empty_typeEbEEZZNS1_14partition_implILS5_6ELb0ES3_mNS7_12zip_iteratorINS8_INS7_6detail15normal_iteratorINS7_10device_ptrIsEEEESJ_S9_S9_S9_S9_S9_S9_S9_S9_EEEEPSB_SM_NS0_5tupleIJNSE_INS8_ISJ_NS7_16discard_iteratorINS7_11use_defaultEEES9_S9_S9_S9_S9_S9_S9_S9_EEEESB_EEENSN_IJSM_SM_EEESB_PlJNSF_9not_fun_tINSF_14equal_to_valueISA_EEEEEEE10hipError_tPvRmT3_T4_T5_T6_T7_T9_mT8_P12ihipStream_tbDpT10_ENKUlT_T0_E_clISt17integral_constantIbLb1EES1I_IbLb0EEEEDaS1E_S1F_EUlS1E_E_NS1_11comp_targetILNS1_3genE10ELNS1_11target_archE1200ELNS1_3gpuE4ELNS1_3repE0EEENS1_30default_config_static_selectorELNS0_4arch9wavefront6targetE0EEEvT1_.num_agpr, 0
	.set _ZN7rocprim17ROCPRIM_400000_NS6detail17trampoline_kernelINS0_14default_configENS1_25partition_config_selectorILNS1_17partition_subalgoE6EN6thrust23THRUST_200600_302600_NS5tupleIssNS7_9null_typeES9_S9_S9_S9_S9_S9_S9_EENS0_10empty_typeEbEEZZNS1_14partition_implILS5_6ELb0ES3_mNS7_12zip_iteratorINS8_INS7_6detail15normal_iteratorINS7_10device_ptrIsEEEESJ_S9_S9_S9_S9_S9_S9_S9_S9_EEEEPSB_SM_NS0_5tupleIJNSE_INS8_ISJ_NS7_16discard_iteratorINS7_11use_defaultEEES9_S9_S9_S9_S9_S9_S9_S9_EEEESB_EEENSN_IJSM_SM_EEESB_PlJNSF_9not_fun_tINSF_14equal_to_valueISA_EEEEEEE10hipError_tPvRmT3_T4_T5_T6_T7_T9_mT8_P12ihipStream_tbDpT10_ENKUlT_T0_E_clISt17integral_constantIbLb1EES1I_IbLb0EEEEDaS1E_S1F_EUlS1E_E_NS1_11comp_targetILNS1_3genE10ELNS1_11target_archE1200ELNS1_3gpuE4ELNS1_3repE0EEENS1_30default_config_static_selectorELNS0_4arch9wavefront6targetE0EEEvT1_.numbered_sgpr, 0
	.set _ZN7rocprim17ROCPRIM_400000_NS6detail17trampoline_kernelINS0_14default_configENS1_25partition_config_selectorILNS1_17partition_subalgoE6EN6thrust23THRUST_200600_302600_NS5tupleIssNS7_9null_typeES9_S9_S9_S9_S9_S9_S9_EENS0_10empty_typeEbEEZZNS1_14partition_implILS5_6ELb0ES3_mNS7_12zip_iteratorINS8_INS7_6detail15normal_iteratorINS7_10device_ptrIsEEEESJ_S9_S9_S9_S9_S9_S9_S9_S9_EEEEPSB_SM_NS0_5tupleIJNSE_INS8_ISJ_NS7_16discard_iteratorINS7_11use_defaultEEES9_S9_S9_S9_S9_S9_S9_S9_EEEESB_EEENSN_IJSM_SM_EEESB_PlJNSF_9not_fun_tINSF_14equal_to_valueISA_EEEEEEE10hipError_tPvRmT3_T4_T5_T6_T7_T9_mT8_P12ihipStream_tbDpT10_ENKUlT_T0_E_clISt17integral_constantIbLb1EES1I_IbLb0EEEEDaS1E_S1F_EUlS1E_E_NS1_11comp_targetILNS1_3genE10ELNS1_11target_archE1200ELNS1_3gpuE4ELNS1_3repE0EEENS1_30default_config_static_selectorELNS0_4arch9wavefront6targetE0EEEvT1_.num_named_barrier, 0
	.set _ZN7rocprim17ROCPRIM_400000_NS6detail17trampoline_kernelINS0_14default_configENS1_25partition_config_selectorILNS1_17partition_subalgoE6EN6thrust23THRUST_200600_302600_NS5tupleIssNS7_9null_typeES9_S9_S9_S9_S9_S9_S9_EENS0_10empty_typeEbEEZZNS1_14partition_implILS5_6ELb0ES3_mNS7_12zip_iteratorINS8_INS7_6detail15normal_iteratorINS7_10device_ptrIsEEEESJ_S9_S9_S9_S9_S9_S9_S9_S9_EEEEPSB_SM_NS0_5tupleIJNSE_INS8_ISJ_NS7_16discard_iteratorINS7_11use_defaultEEES9_S9_S9_S9_S9_S9_S9_S9_EEEESB_EEENSN_IJSM_SM_EEESB_PlJNSF_9not_fun_tINSF_14equal_to_valueISA_EEEEEEE10hipError_tPvRmT3_T4_T5_T6_T7_T9_mT8_P12ihipStream_tbDpT10_ENKUlT_T0_E_clISt17integral_constantIbLb1EES1I_IbLb0EEEEDaS1E_S1F_EUlS1E_E_NS1_11comp_targetILNS1_3genE10ELNS1_11target_archE1200ELNS1_3gpuE4ELNS1_3repE0EEENS1_30default_config_static_selectorELNS0_4arch9wavefront6targetE0EEEvT1_.private_seg_size, 0
	.set _ZN7rocprim17ROCPRIM_400000_NS6detail17trampoline_kernelINS0_14default_configENS1_25partition_config_selectorILNS1_17partition_subalgoE6EN6thrust23THRUST_200600_302600_NS5tupleIssNS7_9null_typeES9_S9_S9_S9_S9_S9_S9_EENS0_10empty_typeEbEEZZNS1_14partition_implILS5_6ELb0ES3_mNS7_12zip_iteratorINS8_INS7_6detail15normal_iteratorINS7_10device_ptrIsEEEESJ_S9_S9_S9_S9_S9_S9_S9_S9_EEEEPSB_SM_NS0_5tupleIJNSE_INS8_ISJ_NS7_16discard_iteratorINS7_11use_defaultEEES9_S9_S9_S9_S9_S9_S9_S9_EEEESB_EEENSN_IJSM_SM_EEESB_PlJNSF_9not_fun_tINSF_14equal_to_valueISA_EEEEEEE10hipError_tPvRmT3_T4_T5_T6_T7_T9_mT8_P12ihipStream_tbDpT10_ENKUlT_T0_E_clISt17integral_constantIbLb1EES1I_IbLb0EEEEDaS1E_S1F_EUlS1E_E_NS1_11comp_targetILNS1_3genE10ELNS1_11target_archE1200ELNS1_3gpuE4ELNS1_3repE0EEENS1_30default_config_static_selectorELNS0_4arch9wavefront6targetE0EEEvT1_.uses_vcc, 0
	.set _ZN7rocprim17ROCPRIM_400000_NS6detail17trampoline_kernelINS0_14default_configENS1_25partition_config_selectorILNS1_17partition_subalgoE6EN6thrust23THRUST_200600_302600_NS5tupleIssNS7_9null_typeES9_S9_S9_S9_S9_S9_S9_EENS0_10empty_typeEbEEZZNS1_14partition_implILS5_6ELb0ES3_mNS7_12zip_iteratorINS8_INS7_6detail15normal_iteratorINS7_10device_ptrIsEEEESJ_S9_S9_S9_S9_S9_S9_S9_S9_EEEEPSB_SM_NS0_5tupleIJNSE_INS8_ISJ_NS7_16discard_iteratorINS7_11use_defaultEEES9_S9_S9_S9_S9_S9_S9_S9_EEEESB_EEENSN_IJSM_SM_EEESB_PlJNSF_9not_fun_tINSF_14equal_to_valueISA_EEEEEEE10hipError_tPvRmT3_T4_T5_T6_T7_T9_mT8_P12ihipStream_tbDpT10_ENKUlT_T0_E_clISt17integral_constantIbLb1EES1I_IbLb0EEEEDaS1E_S1F_EUlS1E_E_NS1_11comp_targetILNS1_3genE10ELNS1_11target_archE1200ELNS1_3gpuE4ELNS1_3repE0EEENS1_30default_config_static_selectorELNS0_4arch9wavefront6targetE0EEEvT1_.uses_flat_scratch, 0
	.set _ZN7rocprim17ROCPRIM_400000_NS6detail17trampoline_kernelINS0_14default_configENS1_25partition_config_selectorILNS1_17partition_subalgoE6EN6thrust23THRUST_200600_302600_NS5tupleIssNS7_9null_typeES9_S9_S9_S9_S9_S9_S9_EENS0_10empty_typeEbEEZZNS1_14partition_implILS5_6ELb0ES3_mNS7_12zip_iteratorINS8_INS7_6detail15normal_iteratorINS7_10device_ptrIsEEEESJ_S9_S9_S9_S9_S9_S9_S9_S9_EEEEPSB_SM_NS0_5tupleIJNSE_INS8_ISJ_NS7_16discard_iteratorINS7_11use_defaultEEES9_S9_S9_S9_S9_S9_S9_S9_EEEESB_EEENSN_IJSM_SM_EEESB_PlJNSF_9not_fun_tINSF_14equal_to_valueISA_EEEEEEE10hipError_tPvRmT3_T4_T5_T6_T7_T9_mT8_P12ihipStream_tbDpT10_ENKUlT_T0_E_clISt17integral_constantIbLb1EES1I_IbLb0EEEEDaS1E_S1F_EUlS1E_E_NS1_11comp_targetILNS1_3genE10ELNS1_11target_archE1200ELNS1_3gpuE4ELNS1_3repE0EEENS1_30default_config_static_selectorELNS0_4arch9wavefront6targetE0EEEvT1_.has_dyn_sized_stack, 0
	.set _ZN7rocprim17ROCPRIM_400000_NS6detail17trampoline_kernelINS0_14default_configENS1_25partition_config_selectorILNS1_17partition_subalgoE6EN6thrust23THRUST_200600_302600_NS5tupleIssNS7_9null_typeES9_S9_S9_S9_S9_S9_S9_EENS0_10empty_typeEbEEZZNS1_14partition_implILS5_6ELb0ES3_mNS7_12zip_iteratorINS8_INS7_6detail15normal_iteratorINS7_10device_ptrIsEEEESJ_S9_S9_S9_S9_S9_S9_S9_S9_EEEEPSB_SM_NS0_5tupleIJNSE_INS8_ISJ_NS7_16discard_iteratorINS7_11use_defaultEEES9_S9_S9_S9_S9_S9_S9_S9_EEEESB_EEENSN_IJSM_SM_EEESB_PlJNSF_9not_fun_tINSF_14equal_to_valueISA_EEEEEEE10hipError_tPvRmT3_T4_T5_T6_T7_T9_mT8_P12ihipStream_tbDpT10_ENKUlT_T0_E_clISt17integral_constantIbLb1EES1I_IbLb0EEEEDaS1E_S1F_EUlS1E_E_NS1_11comp_targetILNS1_3genE10ELNS1_11target_archE1200ELNS1_3gpuE4ELNS1_3repE0EEENS1_30default_config_static_selectorELNS0_4arch9wavefront6targetE0EEEvT1_.has_recursion, 0
	.set _ZN7rocprim17ROCPRIM_400000_NS6detail17trampoline_kernelINS0_14default_configENS1_25partition_config_selectorILNS1_17partition_subalgoE6EN6thrust23THRUST_200600_302600_NS5tupleIssNS7_9null_typeES9_S9_S9_S9_S9_S9_S9_EENS0_10empty_typeEbEEZZNS1_14partition_implILS5_6ELb0ES3_mNS7_12zip_iteratorINS8_INS7_6detail15normal_iteratorINS7_10device_ptrIsEEEESJ_S9_S9_S9_S9_S9_S9_S9_S9_EEEEPSB_SM_NS0_5tupleIJNSE_INS8_ISJ_NS7_16discard_iteratorINS7_11use_defaultEEES9_S9_S9_S9_S9_S9_S9_S9_EEEESB_EEENSN_IJSM_SM_EEESB_PlJNSF_9not_fun_tINSF_14equal_to_valueISA_EEEEEEE10hipError_tPvRmT3_T4_T5_T6_T7_T9_mT8_P12ihipStream_tbDpT10_ENKUlT_T0_E_clISt17integral_constantIbLb1EES1I_IbLb0EEEEDaS1E_S1F_EUlS1E_E_NS1_11comp_targetILNS1_3genE10ELNS1_11target_archE1200ELNS1_3gpuE4ELNS1_3repE0EEENS1_30default_config_static_selectorELNS0_4arch9wavefront6targetE0EEEvT1_.has_indirect_call, 0
	.section	.AMDGPU.csdata,"",@progbits
; Kernel info:
; codeLenInByte = 4
; TotalNumSgprs: 0
; NumVgprs: 0
; ScratchSize: 0
; MemoryBound: 0
; FloatMode: 240
; IeeeMode: 1
; LDSByteSize: 0 bytes/workgroup (compile time only)
; SGPRBlocks: 0
; VGPRBlocks: 0
; NumSGPRsForWavesPerEU: 1
; NumVGPRsForWavesPerEU: 1
; Occupancy: 16
; WaveLimiterHint : 0
; COMPUTE_PGM_RSRC2:SCRATCH_EN: 0
; COMPUTE_PGM_RSRC2:USER_SGPR: 2
; COMPUTE_PGM_RSRC2:TRAP_HANDLER: 0
; COMPUTE_PGM_RSRC2:TGID_X_EN: 1
; COMPUTE_PGM_RSRC2:TGID_Y_EN: 0
; COMPUTE_PGM_RSRC2:TGID_Z_EN: 0
; COMPUTE_PGM_RSRC2:TIDIG_COMP_CNT: 0
	.section	.text._ZN7rocprim17ROCPRIM_400000_NS6detail17trampoline_kernelINS0_14default_configENS1_25partition_config_selectorILNS1_17partition_subalgoE6EN6thrust23THRUST_200600_302600_NS5tupleIssNS7_9null_typeES9_S9_S9_S9_S9_S9_S9_EENS0_10empty_typeEbEEZZNS1_14partition_implILS5_6ELb0ES3_mNS7_12zip_iteratorINS8_INS7_6detail15normal_iteratorINS7_10device_ptrIsEEEESJ_S9_S9_S9_S9_S9_S9_S9_S9_EEEEPSB_SM_NS0_5tupleIJNSE_INS8_ISJ_NS7_16discard_iteratorINS7_11use_defaultEEES9_S9_S9_S9_S9_S9_S9_S9_EEEESB_EEENSN_IJSM_SM_EEESB_PlJNSF_9not_fun_tINSF_14equal_to_valueISA_EEEEEEE10hipError_tPvRmT3_T4_T5_T6_T7_T9_mT8_P12ihipStream_tbDpT10_ENKUlT_T0_E_clISt17integral_constantIbLb1EES1I_IbLb0EEEEDaS1E_S1F_EUlS1E_E_NS1_11comp_targetILNS1_3genE9ELNS1_11target_archE1100ELNS1_3gpuE3ELNS1_3repE0EEENS1_30default_config_static_selectorELNS0_4arch9wavefront6targetE0EEEvT1_,"axG",@progbits,_ZN7rocprim17ROCPRIM_400000_NS6detail17trampoline_kernelINS0_14default_configENS1_25partition_config_selectorILNS1_17partition_subalgoE6EN6thrust23THRUST_200600_302600_NS5tupleIssNS7_9null_typeES9_S9_S9_S9_S9_S9_S9_EENS0_10empty_typeEbEEZZNS1_14partition_implILS5_6ELb0ES3_mNS7_12zip_iteratorINS8_INS7_6detail15normal_iteratorINS7_10device_ptrIsEEEESJ_S9_S9_S9_S9_S9_S9_S9_S9_EEEEPSB_SM_NS0_5tupleIJNSE_INS8_ISJ_NS7_16discard_iteratorINS7_11use_defaultEEES9_S9_S9_S9_S9_S9_S9_S9_EEEESB_EEENSN_IJSM_SM_EEESB_PlJNSF_9not_fun_tINSF_14equal_to_valueISA_EEEEEEE10hipError_tPvRmT3_T4_T5_T6_T7_T9_mT8_P12ihipStream_tbDpT10_ENKUlT_T0_E_clISt17integral_constantIbLb1EES1I_IbLb0EEEEDaS1E_S1F_EUlS1E_E_NS1_11comp_targetILNS1_3genE9ELNS1_11target_archE1100ELNS1_3gpuE3ELNS1_3repE0EEENS1_30default_config_static_selectorELNS0_4arch9wavefront6targetE0EEEvT1_,comdat
	.protected	_ZN7rocprim17ROCPRIM_400000_NS6detail17trampoline_kernelINS0_14default_configENS1_25partition_config_selectorILNS1_17partition_subalgoE6EN6thrust23THRUST_200600_302600_NS5tupleIssNS7_9null_typeES9_S9_S9_S9_S9_S9_S9_EENS0_10empty_typeEbEEZZNS1_14partition_implILS5_6ELb0ES3_mNS7_12zip_iteratorINS8_INS7_6detail15normal_iteratorINS7_10device_ptrIsEEEESJ_S9_S9_S9_S9_S9_S9_S9_S9_EEEEPSB_SM_NS0_5tupleIJNSE_INS8_ISJ_NS7_16discard_iteratorINS7_11use_defaultEEES9_S9_S9_S9_S9_S9_S9_S9_EEEESB_EEENSN_IJSM_SM_EEESB_PlJNSF_9not_fun_tINSF_14equal_to_valueISA_EEEEEEE10hipError_tPvRmT3_T4_T5_T6_T7_T9_mT8_P12ihipStream_tbDpT10_ENKUlT_T0_E_clISt17integral_constantIbLb1EES1I_IbLb0EEEEDaS1E_S1F_EUlS1E_E_NS1_11comp_targetILNS1_3genE9ELNS1_11target_archE1100ELNS1_3gpuE3ELNS1_3repE0EEENS1_30default_config_static_selectorELNS0_4arch9wavefront6targetE0EEEvT1_ ; -- Begin function _ZN7rocprim17ROCPRIM_400000_NS6detail17trampoline_kernelINS0_14default_configENS1_25partition_config_selectorILNS1_17partition_subalgoE6EN6thrust23THRUST_200600_302600_NS5tupleIssNS7_9null_typeES9_S9_S9_S9_S9_S9_S9_EENS0_10empty_typeEbEEZZNS1_14partition_implILS5_6ELb0ES3_mNS7_12zip_iteratorINS8_INS7_6detail15normal_iteratorINS7_10device_ptrIsEEEESJ_S9_S9_S9_S9_S9_S9_S9_S9_EEEEPSB_SM_NS0_5tupleIJNSE_INS8_ISJ_NS7_16discard_iteratorINS7_11use_defaultEEES9_S9_S9_S9_S9_S9_S9_S9_EEEESB_EEENSN_IJSM_SM_EEESB_PlJNSF_9not_fun_tINSF_14equal_to_valueISA_EEEEEEE10hipError_tPvRmT3_T4_T5_T6_T7_T9_mT8_P12ihipStream_tbDpT10_ENKUlT_T0_E_clISt17integral_constantIbLb1EES1I_IbLb0EEEEDaS1E_S1F_EUlS1E_E_NS1_11comp_targetILNS1_3genE9ELNS1_11target_archE1100ELNS1_3gpuE3ELNS1_3repE0EEENS1_30default_config_static_selectorELNS0_4arch9wavefront6targetE0EEEvT1_
	.globl	_ZN7rocprim17ROCPRIM_400000_NS6detail17trampoline_kernelINS0_14default_configENS1_25partition_config_selectorILNS1_17partition_subalgoE6EN6thrust23THRUST_200600_302600_NS5tupleIssNS7_9null_typeES9_S9_S9_S9_S9_S9_S9_EENS0_10empty_typeEbEEZZNS1_14partition_implILS5_6ELb0ES3_mNS7_12zip_iteratorINS8_INS7_6detail15normal_iteratorINS7_10device_ptrIsEEEESJ_S9_S9_S9_S9_S9_S9_S9_S9_EEEEPSB_SM_NS0_5tupleIJNSE_INS8_ISJ_NS7_16discard_iteratorINS7_11use_defaultEEES9_S9_S9_S9_S9_S9_S9_S9_EEEESB_EEENSN_IJSM_SM_EEESB_PlJNSF_9not_fun_tINSF_14equal_to_valueISA_EEEEEEE10hipError_tPvRmT3_T4_T5_T6_T7_T9_mT8_P12ihipStream_tbDpT10_ENKUlT_T0_E_clISt17integral_constantIbLb1EES1I_IbLb0EEEEDaS1E_S1F_EUlS1E_E_NS1_11comp_targetILNS1_3genE9ELNS1_11target_archE1100ELNS1_3gpuE3ELNS1_3repE0EEENS1_30default_config_static_selectorELNS0_4arch9wavefront6targetE0EEEvT1_
	.p2align	8
	.type	_ZN7rocprim17ROCPRIM_400000_NS6detail17trampoline_kernelINS0_14default_configENS1_25partition_config_selectorILNS1_17partition_subalgoE6EN6thrust23THRUST_200600_302600_NS5tupleIssNS7_9null_typeES9_S9_S9_S9_S9_S9_S9_EENS0_10empty_typeEbEEZZNS1_14partition_implILS5_6ELb0ES3_mNS7_12zip_iteratorINS8_INS7_6detail15normal_iteratorINS7_10device_ptrIsEEEESJ_S9_S9_S9_S9_S9_S9_S9_S9_EEEEPSB_SM_NS0_5tupleIJNSE_INS8_ISJ_NS7_16discard_iteratorINS7_11use_defaultEEES9_S9_S9_S9_S9_S9_S9_S9_EEEESB_EEENSN_IJSM_SM_EEESB_PlJNSF_9not_fun_tINSF_14equal_to_valueISA_EEEEEEE10hipError_tPvRmT3_T4_T5_T6_T7_T9_mT8_P12ihipStream_tbDpT10_ENKUlT_T0_E_clISt17integral_constantIbLb1EES1I_IbLb0EEEEDaS1E_S1F_EUlS1E_E_NS1_11comp_targetILNS1_3genE9ELNS1_11target_archE1100ELNS1_3gpuE3ELNS1_3repE0EEENS1_30default_config_static_selectorELNS0_4arch9wavefront6targetE0EEEvT1_,@function
_ZN7rocprim17ROCPRIM_400000_NS6detail17trampoline_kernelINS0_14default_configENS1_25partition_config_selectorILNS1_17partition_subalgoE6EN6thrust23THRUST_200600_302600_NS5tupleIssNS7_9null_typeES9_S9_S9_S9_S9_S9_S9_EENS0_10empty_typeEbEEZZNS1_14partition_implILS5_6ELb0ES3_mNS7_12zip_iteratorINS8_INS7_6detail15normal_iteratorINS7_10device_ptrIsEEEESJ_S9_S9_S9_S9_S9_S9_S9_S9_EEEEPSB_SM_NS0_5tupleIJNSE_INS8_ISJ_NS7_16discard_iteratorINS7_11use_defaultEEES9_S9_S9_S9_S9_S9_S9_S9_EEEESB_EEENSN_IJSM_SM_EEESB_PlJNSF_9not_fun_tINSF_14equal_to_valueISA_EEEEEEE10hipError_tPvRmT3_T4_T5_T6_T7_T9_mT8_P12ihipStream_tbDpT10_ENKUlT_T0_E_clISt17integral_constantIbLb1EES1I_IbLb0EEEEDaS1E_S1F_EUlS1E_E_NS1_11comp_targetILNS1_3genE9ELNS1_11target_archE1100ELNS1_3gpuE3ELNS1_3repE0EEENS1_30default_config_static_selectorELNS0_4arch9wavefront6targetE0EEEvT1_: ; @_ZN7rocprim17ROCPRIM_400000_NS6detail17trampoline_kernelINS0_14default_configENS1_25partition_config_selectorILNS1_17partition_subalgoE6EN6thrust23THRUST_200600_302600_NS5tupleIssNS7_9null_typeES9_S9_S9_S9_S9_S9_S9_EENS0_10empty_typeEbEEZZNS1_14partition_implILS5_6ELb0ES3_mNS7_12zip_iteratorINS8_INS7_6detail15normal_iteratorINS7_10device_ptrIsEEEESJ_S9_S9_S9_S9_S9_S9_S9_S9_EEEEPSB_SM_NS0_5tupleIJNSE_INS8_ISJ_NS7_16discard_iteratorINS7_11use_defaultEEES9_S9_S9_S9_S9_S9_S9_S9_EEEESB_EEENSN_IJSM_SM_EEESB_PlJNSF_9not_fun_tINSF_14equal_to_valueISA_EEEEEEE10hipError_tPvRmT3_T4_T5_T6_T7_T9_mT8_P12ihipStream_tbDpT10_ENKUlT_T0_E_clISt17integral_constantIbLb1EES1I_IbLb0EEEEDaS1E_S1F_EUlS1E_E_NS1_11comp_targetILNS1_3genE9ELNS1_11target_archE1100ELNS1_3gpuE3ELNS1_3repE0EEENS1_30default_config_static_selectorELNS0_4arch9wavefront6targetE0EEEvT1_
; %bb.0:
	.section	.rodata,"a",@progbits
	.p2align	6, 0x0
	.amdhsa_kernel _ZN7rocprim17ROCPRIM_400000_NS6detail17trampoline_kernelINS0_14default_configENS1_25partition_config_selectorILNS1_17partition_subalgoE6EN6thrust23THRUST_200600_302600_NS5tupleIssNS7_9null_typeES9_S9_S9_S9_S9_S9_S9_EENS0_10empty_typeEbEEZZNS1_14partition_implILS5_6ELb0ES3_mNS7_12zip_iteratorINS8_INS7_6detail15normal_iteratorINS7_10device_ptrIsEEEESJ_S9_S9_S9_S9_S9_S9_S9_S9_EEEEPSB_SM_NS0_5tupleIJNSE_INS8_ISJ_NS7_16discard_iteratorINS7_11use_defaultEEES9_S9_S9_S9_S9_S9_S9_S9_EEEESB_EEENSN_IJSM_SM_EEESB_PlJNSF_9not_fun_tINSF_14equal_to_valueISA_EEEEEEE10hipError_tPvRmT3_T4_T5_T6_T7_T9_mT8_P12ihipStream_tbDpT10_ENKUlT_T0_E_clISt17integral_constantIbLb1EES1I_IbLb0EEEEDaS1E_S1F_EUlS1E_E_NS1_11comp_targetILNS1_3genE9ELNS1_11target_archE1100ELNS1_3gpuE3ELNS1_3repE0EEENS1_30default_config_static_selectorELNS0_4arch9wavefront6targetE0EEEvT1_
		.amdhsa_group_segment_fixed_size 0
		.amdhsa_private_segment_fixed_size 0
		.amdhsa_kernarg_size 144
		.amdhsa_user_sgpr_count 2
		.amdhsa_user_sgpr_dispatch_ptr 0
		.amdhsa_user_sgpr_queue_ptr 0
		.amdhsa_user_sgpr_kernarg_segment_ptr 1
		.amdhsa_user_sgpr_dispatch_id 0
		.amdhsa_user_sgpr_private_segment_size 0
		.amdhsa_wavefront_size32 1
		.amdhsa_uses_dynamic_stack 0
		.amdhsa_enable_private_segment 0
		.amdhsa_system_sgpr_workgroup_id_x 1
		.amdhsa_system_sgpr_workgroup_id_y 0
		.amdhsa_system_sgpr_workgroup_id_z 0
		.amdhsa_system_sgpr_workgroup_info 0
		.amdhsa_system_vgpr_workitem_id 0
		.amdhsa_next_free_vgpr 1
		.amdhsa_next_free_sgpr 1
		.amdhsa_reserve_vcc 0
		.amdhsa_float_round_mode_32 0
		.amdhsa_float_round_mode_16_64 0
		.amdhsa_float_denorm_mode_32 3
		.amdhsa_float_denorm_mode_16_64 3
		.amdhsa_fp16_overflow 0
		.amdhsa_workgroup_processor_mode 1
		.amdhsa_memory_ordered 1
		.amdhsa_forward_progress 1
		.amdhsa_inst_pref_size 0
		.amdhsa_round_robin_scheduling 0
		.amdhsa_exception_fp_ieee_invalid_op 0
		.amdhsa_exception_fp_denorm_src 0
		.amdhsa_exception_fp_ieee_div_zero 0
		.amdhsa_exception_fp_ieee_overflow 0
		.amdhsa_exception_fp_ieee_underflow 0
		.amdhsa_exception_fp_ieee_inexact 0
		.amdhsa_exception_int_div_zero 0
	.end_amdhsa_kernel
	.section	.text._ZN7rocprim17ROCPRIM_400000_NS6detail17trampoline_kernelINS0_14default_configENS1_25partition_config_selectorILNS1_17partition_subalgoE6EN6thrust23THRUST_200600_302600_NS5tupleIssNS7_9null_typeES9_S9_S9_S9_S9_S9_S9_EENS0_10empty_typeEbEEZZNS1_14partition_implILS5_6ELb0ES3_mNS7_12zip_iteratorINS8_INS7_6detail15normal_iteratorINS7_10device_ptrIsEEEESJ_S9_S9_S9_S9_S9_S9_S9_S9_EEEEPSB_SM_NS0_5tupleIJNSE_INS8_ISJ_NS7_16discard_iteratorINS7_11use_defaultEEES9_S9_S9_S9_S9_S9_S9_S9_EEEESB_EEENSN_IJSM_SM_EEESB_PlJNSF_9not_fun_tINSF_14equal_to_valueISA_EEEEEEE10hipError_tPvRmT3_T4_T5_T6_T7_T9_mT8_P12ihipStream_tbDpT10_ENKUlT_T0_E_clISt17integral_constantIbLb1EES1I_IbLb0EEEEDaS1E_S1F_EUlS1E_E_NS1_11comp_targetILNS1_3genE9ELNS1_11target_archE1100ELNS1_3gpuE3ELNS1_3repE0EEENS1_30default_config_static_selectorELNS0_4arch9wavefront6targetE0EEEvT1_,"axG",@progbits,_ZN7rocprim17ROCPRIM_400000_NS6detail17trampoline_kernelINS0_14default_configENS1_25partition_config_selectorILNS1_17partition_subalgoE6EN6thrust23THRUST_200600_302600_NS5tupleIssNS7_9null_typeES9_S9_S9_S9_S9_S9_S9_EENS0_10empty_typeEbEEZZNS1_14partition_implILS5_6ELb0ES3_mNS7_12zip_iteratorINS8_INS7_6detail15normal_iteratorINS7_10device_ptrIsEEEESJ_S9_S9_S9_S9_S9_S9_S9_S9_EEEEPSB_SM_NS0_5tupleIJNSE_INS8_ISJ_NS7_16discard_iteratorINS7_11use_defaultEEES9_S9_S9_S9_S9_S9_S9_S9_EEEESB_EEENSN_IJSM_SM_EEESB_PlJNSF_9not_fun_tINSF_14equal_to_valueISA_EEEEEEE10hipError_tPvRmT3_T4_T5_T6_T7_T9_mT8_P12ihipStream_tbDpT10_ENKUlT_T0_E_clISt17integral_constantIbLb1EES1I_IbLb0EEEEDaS1E_S1F_EUlS1E_E_NS1_11comp_targetILNS1_3genE9ELNS1_11target_archE1100ELNS1_3gpuE3ELNS1_3repE0EEENS1_30default_config_static_selectorELNS0_4arch9wavefront6targetE0EEEvT1_,comdat
.Lfunc_end2067:
	.size	_ZN7rocprim17ROCPRIM_400000_NS6detail17trampoline_kernelINS0_14default_configENS1_25partition_config_selectorILNS1_17partition_subalgoE6EN6thrust23THRUST_200600_302600_NS5tupleIssNS7_9null_typeES9_S9_S9_S9_S9_S9_S9_EENS0_10empty_typeEbEEZZNS1_14partition_implILS5_6ELb0ES3_mNS7_12zip_iteratorINS8_INS7_6detail15normal_iteratorINS7_10device_ptrIsEEEESJ_S9_S9_S9_S9_S9_S9_S9_S9_EEEEPSB_SM_NS0_5tupleIJNSE_INS8_ISJ_NS7_16discard_iteratorINS7_11use_defaultEEES9_S9_S9_S9_S9_S9_S9_S9_EEEESB_EEENSN_IJSM_SM_EEESB_PlJNSF_9not_fun_tINSF_14equal_to_valueISA_EEEEEEE10hipError_tPvRmT3_T4_T5_T6_T7_T9_mT8_P12ihipStream_tbDpT10_ENKUlT_T0_E_clISt17integral_constantIbLb1EES1I_IbLb0EEEEDaS1E_S1F_EUlS1E_E_NS1_11comp_targetILNS1_3genE9ELNS1_11target_archE1100ELNS1_3gpuE3ELNS1_3repE0EEENS1_30default_config_static_selectorELNS0_4arch9wavefront6targetE0EEEvT1_, .Lfunc_end2067-_ZN7rocprim17ROCPRIM_400000_NS6detail17trampoline_kernelINS0_14default_configENS1_25partition_config_selectorILNS1_17partition_subalgoE6EN6thrust23THRUST_200600_302600_NS5tupleIssNS7_9null_typeES9_S9_S9_S9_S9_S9_S9_EENS0_10empty_typeEbEEZZNS1_14partition_implILS5_6ELb0ES3_mNS7_12zip_iteratorINS8_INS7_6detail15normal_iteratorINS7_10device_ptrIsEEEESJ_S9_S9_S9_S9_S9_S9_S9_S9_EEEEPSB_SM_NS0_5tupleIJNSE_INS8_ISJ_NS7_16discard_iteratorINS7_11use_defaultEEES9_S9_S9_S9_S9_S9_S9_S9_EEEESB_EEENSN_IJSM_SM_EEESB_PlJNSF_9not_fun_tINSF_14equal_to_valueISA_EEEEEEE10hipError_tPvRmT3_T4_T5_T6_T7_T9_mT8_P12ihipStream_tbDpT10_ENKUlT_T0_E_clISt17integral_constantIbLb1EES1I_IbLb0EEEEDaS1E_S1F_EUlS1E_E_NS1_11comp_targetILNS1_3genE9ELNS1_11target_archE1100ELNS1_3gpuE3ELNS1_3repE0EEENS1_30default_config_static_selectorELNS0_4arch9wavefront6targetE0EEEvT1_
                                        ; -- End function
	.set _ZN7rocprim17ROCPRIM_400000_NS6detail17trampoline_kernelINS0_14default_configENS1_25partition_config_selectorILNS1_17partition_subalgoE6EN6thrust23THRUST_200600_302600_NS5tupleIssNS7_9null_typeES9_S9_S9_S9_S9_S9_S9_EENS0_10empty_typeEbEEZZNS1_14partition_implILS5_6ELb0ES3_mNS7_12zip_iteratorINS8_INS7_6detail15normal_iteratorINS7_10device_ptrIsEEEESJ_S9_S9_S9_S9_S9_S9_S9_S9_EEEEPSB_SM_NS0_5tupleIJNSE_INS8_ISJ_NS7_16discard_iteratorINS7_11use_defaultEEES9_S9_S9_S9_S9_S9_S9_S9_EEEESB_EEENSN_IJSM_SM_EEESB_PlJNSF_9not_fun_tINSF_14equal_to_valueISA_EEEEEEE10hipError_tPvRmT3_T4_T5_T6_T7_T9_mT8_P12ihipStream_tbDpT10_ENKUlT_T0_E_clISt17integral_constantIbLb1EES1I_IbLb0EEEEDaS1E_S1F_EUlS1E_E_NS1_11comp_targetILNS1_3genE9ELNS1_11target_archE1100ELNS1_3gpuE3ELNS1_3repE0EEENS1_30default_config_static_selectorELNS0_4arch9wavefront6targetE0EEEvT1_.num_vgpr, 0
	.set _ZN7rocprim17ROCPRIM_400000_NS6detail17trampoline_kernelINS0_14default_configENS1_25partition_config_selectorILNS1_17partition_subalgoE6EN6thrust23THRUST_200600_302600_NS5tupleIssNS7_9null_typeES9_S9_S9_S9_S9_S9_S9_EENS0_10empty_typeEbEEZZNS1_14partition_implILS5_6ELb0ES3_mNS7_12zip_iteratorINS8_INS7_6detail15normal_iteratorINS7_10device_ptrIsEEEESJ_S9_S9_S9_S9_S9_S9_S9_S9_EEEEPSB_SM_NS0_5tupleIJNSE_INS8_ISJ_NS7_16discard_iteratorINS7_11use_defaultEEES9_S9_S9_S9_S9_S9_S9_S9_EEEESB_EEENSN_IJSM_SM_EEESB_PlJNSF_9not_fun_tINSF_14equal_to_valueISA_EEEEEEE10hipError_tPvRmT3_T4_T5_T6_T7_T9_mT8_P12ihipStream_tbDpT10_ENKUlT_T0_E_clISt17integral_constantIbLb1EES1I_IbLb0EEEEDaS1E_S1F_EUlS1E_E_NS1_11comp_targetILNS1_3genE9ELNS1_11target_archE1100ELNS1_3gpuE3ELNS1_3repE0EEENS1_30default_config_static_selectorELNS0_4arch9wavefront6targetE0EEEvT1_.num_agpr, 0
	.set _ZN7rocprim17ROCPRIM_400000_NS6detail17trampoline_kernelINS0_14default_configENS1_25partition_config_selectorILNS1_17partition_subalgoE6EN6thrust23THRUST_200600_302600_NS5tupleIssNS7_9null_typeES9_S9_S9_S9_S9_S9_S9_EENS0_10empty_typeEbEEZZNS1_14partition_implILS5_6ELb0ES3_mNS7_12zip_iteratorINS8_INS7_6detail15normal_iteratorINS7_10device_ptrIsEEEESJ_S9_S9_S9_S9_S9_S9_S9_S9_EEEEPSB_SM_NS0_5tupleIJNSE_INS8_ISJ_NS7_16discard_iteratorINS7_11use_defaultEEES9_S9_S9_S9_S9_S9_S9_S9_EEEESB_EEENSN_IJSM_SM_EEESB_PlJNSF_9not_fun_tINSF_14equal_to_valueISA_EEEEEEE10hipError_tPvRmT3_T4_T5_T6_T7_T9_mT8_P12ihipStream_tbDpT10_ENKUlT_T0_E_clISt17integral_constantIbLb1EES1I_IbLb0EEEEDaS1E_S1F_EUlS1E_E_NS1_11comp_targetILNS1_3genE9ELNS1_11target_archE1100ELNS1_3gpuE3ELNS1_3repE0EEENS1_30default_config_static_selectorELNS0_4arch9wavefront6targetE0EEEvT1_.numbered_sgpr, 0
	.set _ZN7rocprim17ROCPRIM_400000_NS6detail17trampoline_kernelINS0_14default_configENS1_25partition_config_selectorILNS1_17partition_subalgoE6EN6thrust23THRUST_200600_302600_NS5tupleIssNS7_9null_typeES9_S9_S9_S9_S9_S9_S9_EENS0_10empty_typeEbEEZZNS1_14partition_implILS5_6ELb0ES3_mNS7_12zip_iteratorINS8_INS7_6detail15normal_iteratorINS7_10device_ptrIsEEEESJ_S9_S9_S9_S9_S9_S9_S9_S9_EEEEPSB_SM_NS0_5tupleIJNSE_INS8_ISJ_NS7_16discard_iteratorINS7_11use_defaultEEES9_S9_S9_S9_S9_S9_S9_S9_EEEESB_EEENSN_IJSM_SM_EEESB_PlJNSF_9not_fun_tINSF_14equal_to_valueISA_EEEEEEE10hipError_tPvRmT3_T4_T5_T6_T7_T9_mT8_P12ihipStream_tbDpT10_ENKUlT_T0_E_clISt17integral_constantIbLb1EES1I_IbLb0EEEEDaS1E_S1F_EUlS1E_E_NS1_11comp_targetILNS1_3genE9ELNS1_11target_archE1100ELNS1_3gpuE3ELNS1_3repE0EEENS1_30default_config_static_selectorELNS0_4arch9wavefront6targetE0EEEvT1_.num_named_barrier, 0
	.set _ZN7rocprim17ROCPRIM_400000_NS6detail17trampoline_kernelINS0_14default_configENS1_25partition_config_selectorILNS1_17partition_subalgoE6EN6thrust23THRUST_200600_302600_NS5tupleIssNS7_9null_typeES9_S9_S9_S9_S9_S9_S9_EENS0_10empty_typeEbEEZZNS1_14partition_implILS5_6ELb0ES3_mNS7_12zip_iteratorINS8_INS7_6detail15normal_iteratorINS7_10device_ptrIsEEEESJ_S9_S9_S9_S9_S9_S9_S9_S9_EEEEPSB_SM_NS0_5tupleIJNSE_INS8_ISJ_NS7_16discard_iteratorINS7_11use_defaultEEES9_S9_S9_S9_S9_S9_S9_S9_EEEESB_EEENSN_IJSM_SM_EEESB_PlJNSF_9not_fun_tINSF_14equal_to_valueISA_EEEEEEE10hipError_tPvRmT3_T4_T5_T6_T7_T9_mT8_P12ihipStream_tbDpT10_ENKUlT_T0_E_clISt17integral_constantIbLb1EES1I_IbLb0EEEEDaS1E_S1F_EUlS1E_E_NS1_11comp_targetILNS1_3genE9ELNS1_11target_archE1100ELNS1_3gpuE3ELNS1_3repE0EEENS1_30default_config_static_selectorELNS0_4arch9wavefront6targetE0EEEvT1_.private_seg_size, 0
	.set _ZN7rocprim17ROCPRIM_400000_NS6detail17trampoline_kernelINS0_14default_configENS1_25partition_config_selectorILNS1_17partition_subalgoE6EN6thrust23THRUST_200600_302600_NS5tupleIssNS7_9null_typeES9_S9_S9_S9_S9_S9_S9_EENS0_10empty_typeEbEEZZNS1_14partition_implILS5_6ELb0ES3_mNS7_12zip_iteratorINS8_INS7_6detail15normal_iteratorINS7_10device_ptrIsEEEESJ_S9_S9_S9_S9_S9_S9_S9_S9_EEEEPSB_SM_NS0_5tupleIJNSE_INS8_ISJ_NS7_16discard_iteratorINS7_11use_defaultEEES9_S9_S9_S9_S9_S9_S9_S9_EEEESB_EEENSN_IJSM_SM_EEESB_PlJNSF_9not_fun_tINSF_14equal_to_valueISA_EEEEEEE10hipError_tPvRmT3_T4_T5_T6_T7_T9_mT8_P12ihipStream_tbDpT10_ENKUlT_T0_E_clISt17integral_constantIbLb1EES1I_IbLb0EEEEDaS1E_S1F_EUlS1E_E_NS1_11comp_targetILNS1_3genE9ELNS1_11target_archE1100ELNS1_3gpuE3ELNS1_3repE0EEENS1_30default_config_static_selectorELNS0_4arch9wavefront6targetE0EEEvT1_.uses_vcc, 0
	.set _ZN7rocprim17ROCPRIM_400000_NS6detail17trampoline_kernelINS0_14default_configENS1_25partition_config_selectorILNS1_17partition_subalgoE6EN6thrust23THRUST_200600_302600_NS5tupleIssNS7_9null_typeES9_S9_S9_S9_S9_S9_S9_EENS0_10empty_typeEbEEZZNS1_14partition_implILS5_6ELb0ES3_mNS7_12zip_iteratorINS8_INS7_6detail15normal_iteratorINS7_10device_ptrIsEEEESJ_S9_S9_S9_S9_S9_S9_S9_S9_EEEEPSB_SM_NS0_5tupleIJNSE_INS8_ISJ_NS7_16discard_iteratorINS7_11use_defaultEEES9_S9_S9_S9_S9_S9_S9_S9_EEEESB_EEENSN_IJSM_SM_EEESB_PlJNSF_9not_fun_tINSF_14equal_to_valueISA_EEEEEEE10hipError_tPvRmT3_T4_T5_T6_T7_T9_mT8_P12ihipStream_tbDpT10_ENKUlT_T0_E_clISt17integral_constantIbLb1EES1I_IbLb0EEEEDaS1E_S1F_EUlS1E_E_NS1_11comp_targetILNS1_3genE9ELNS1_11target_archE1100ELNS1_3gpuE3ELNS1_3repE0EEENS1_30default_config_static_selectorELNS0_4arch9wavefront6targetE0EEEvT1_.uses_flat_scratch, 0
	.set _ZN7rocprim17ROCPRIM_400000_NS6detail17trampoline_kernelINS0_14default_configENS1_25partition_config_selectorILNS1_17partition_subalgoE6EN6thrust23THRUST_200600_302600_NS5tupleIssNS7_9null_typeES9_S9_S9_S9_S9_S9_S9_EENS0_10empty_typeEbEEZZNS1_14partition_implILS5_6ELb0ES3_mNS7_12zip_iteratorINS8_INS7_6detail15normal_iteratorINS7_10device_ptrIsEEEESJ_S9_S9_S9_S9_S9_S9_S9_S9_EEEEPSB_SM_NS0_5tupleIJNSE_INS8_ISJ_NS7_16discard_iteratorINS7_11use_defaultEEES9_S9_S9_S9_S9_S9_S9_S9_EEEESB_EEENSN_IJSM_SM_EEESB_PlJNSF_9not_fun_tINSF_14equal_to_valueISA_EEEEEEE10hipError_tPvRmT3_T4_T5_T6_T7_T9_mT8_P12ihipStream_tbDpT10_ENKUlT_T0_E_clISt17integral_constantIbLb1EES1I_IbLb0EEEEDaS1E_S1F_EUlS1E_E_NS1_11comp_targetILNS1_3genE9ELNS1_11target_archE1100ELNS1_3gpuE3ELNS1_3repE0EEENS1_30default_config_static_selectorELNS0_4arch9wavefront6targetE0EEEvT1_.has_dyn_sized_stack, 0
	.set _ZN7rocprim17ROCPRIM_400000_NS6detail17trampoline_kernelINS0_14default_configENS1_25partition_config_selectorILNS1_17partition_subalgoE6EN6thrust23THRUST_200600_302600_NS5tupleIssNS7_9null_typeES9_S9_S9_S9_S9_S9_S9_EENS0_10empty_typeEbEEZZNS1_14partition_implILS5_6ELb0ES3_mNS7_12zip_iteratorINS8_INS7_6detail15normal_iteratorINS7_10device_ptrIsEEEESJ_S9_S9_S9_S9_S9_S9_S9_S9_EEEEPSB_SM_NS0_5tupleIJNSE_INS8_ISJ_NS7_16discard_iteratorINS7_11use_defaultEEES9_S9_S9_S9_S9_S9_S9_S9_EEEESB_EEENSN_IJSM_SM_EEESB_PlJNSF_9not_fun_tINSF_14equal_to_valueISA_EEEEEEE10hipError_tPvRmT3_T4_T5_T6_T7_T9_mT8_P12ihipStream_tbDpT10_ENKUlT_T0_E_clISt17integral_constantIbLb1EES1I_IbLb0EEEEDaS1E_S1F_EUlS1E_E_NS1_11comp_targetILNS1_3genE9ELNS1_11target_archE1100ELNS1_3gpuE3ELNS1_3repE0EEENS1_30default_config_static_selectorELNS0_4arch9wavefront6targetE0EEEvT1_.has_recursion, 0
	.set _ZN7rocprim17ROCPRIM_400000_NS6detail17trampoline_kernelINS0_14default_configENS1_25partition_config_selectorILNS1_17partition_subalgoE6EN6thrust23THRUST_200600_302600_NS5tupleIssNS7_9null_typeES9_S9_S9_S9_S9_S9_S9_EENS0_10empty_typeEbEEZZNS1_14partition_implILS5_6ELb0ES3_mNS7_12zip_iteratorINS8_INS7_6detail15normal_iteratorINS7_10device_ptrIsEEEESJ_S9_S9_S9_S9_S9_S9_S9_S9_EEEEPSB_SM_NS0_5tupleIJNSE_INS8_ISJ_NS7_16discard_iteratorINS7_11use_defaultEEES9_S9_S9_S9_S9_S9_S9_S9_EEEESB_EEENSN_IJSM_SM_EEESB_PlJNSF_9not_fun_tINSF_14equal_to_valueISA_EEEEEEE10hipError_tPvRmT3_T4_T5_T6_T7_T9_mT8_P12ihipStream_tbDpT10_ENKUlT_T0_E_clISt17integral_constantIbLb1EES1I_IbLb0EEEEDaS1E_S1F_EUlS1E_E_NS1_11comp_targetILNS1_3genE9ELNS1_11target_archE1100ELNS1_3gpuE3ELNS1_3repE0EEENS1_30default_config_static_selectorELNS0_4arch9wavefront6targetE0EEEvT1_.has_indirect_call, 0
	.section	.AMDGPU.csdata,"",@progbits
; Kernel info:
; codeLenInByte = 0
; TotalNumSgprs: 0
; NumVgprs: 0
; ScratchSize: 0
; MemoryBound: 0
; FloatMode: 240
; IeeeMode: 1
; LDSByteSize: 0 bytes/workgroup (compile time only)
; SGPRBlocks: 0
; VGPRBlocks: 0
; NumSGPRsForWavesPerEU: 1
; NumVGPRsForWavesPerEU: 1
; Occupancy: 16
; WaveLimiterHint : 0
; COMPUTE_PGM_RSRC2:SCRATCH_EN: 0
; COMPUTE_PGM_RSRC2:USER_SGPR: 2
; COMPUTE_PGM_RSRC2:TRAP_HANDLER: 0
; COMPUTE_PGM_RSRC2:TGID_X_EN: 1
; COMPUTE_PGM_RSRC2:TGID_Y_EN: 0
; COMPUTE_PGM_RSRC2:TGID_Z_EN: 0
; COMPUTE_PGM_RSRC2:TIDIG_COMP_CNT: 0
	.section	.text._ZN7rocprim17ROCPRIM_400000_NS6detail17trampoline_kernelINS0_14default_configENS1_25partition_config_selectorILNS1_17partition_subalgoE6EN6thrust23THRUST_200600_302600_NS5tupleIssNS7_9null_typeES9_S9_S9_S9_S9_S9_S9_EENS0_10empty_typeEbEEZZNS1_14partition_implILS5_6ELb0ES3_mNS7_12zip_iteratorINS8_INS7_6detail15normal_iteratorINS7_10device_ptrIsEEEESJ_S9_S9_S9_S9_S9_S9_S9_S9_EEEEPSB_SM_NS0_5tupleIJNSE_INS8_ISJ_NS7_16discard_iteratorINS7_11use_defaultEEES9_S9_S9_S9_S9_S9_S9_S9_EEEESB_EEENSN_IJSM_SM_EEESB_PlJNSF_9not_fun_tINSF_14equal_to_valueISA_EEEEEEE10hipError_tPvRmT3_T4_T5_T6_T7_T9_mT8_P12ihipStream_tbDpT10_ENKUlT_T0_E_clISt17integral_constantIbLb1EES1I_IbLb0EEEEDaS1E_S1F_EUlS1E_E_NS1_11comp_targetILNS1_3genE8ELNS1_11target_archE1030ELNS1_3gpuE2ELNS1_3repE0EEENS1_30default_config_static_selectorELNS0_4arch9wavefront6targetE0EEEvT1_,"axG",@progbits,_ZN7rocprim17ROCPRIM_400000_NS6detail17trampoline_kernelINS0_14default_configENS1_25partition_config_selectorILNS1_17partition_subalgoE6EN6thrust23THRUST_200600_302600_NS5tupleIssNS7_9null_typeES9_S9_S9_S9_S9_S9_S9_EENS0_10empty_typeEbEEZZNS1_14partition_implILS5_6ELb0ES3_mNS7_12zip_iteratorINS8_INS7_6detail15normal_iteratorINS7_10device_ptrIsEEEESJ_S9_S9_S9_S9_S9_S9_S9_S9_EEEEPSB_SM_NS0_5tupleIJNSE_INS8_ISJ_NS7_16discard_iteratorINS7_11use_defaultEEES9_S9_S9_S9_S9_S9_S9_S9_EEEESB_EEENSN_IJSM_SM_EEESB_PlJNSF_9not_fun_tINSF_14equal_to_valueISA_EEEEEEE10hipError_tPvRmT3_T4_T5_T6_T7_T9_mT8_P12ihipStream_tbDpT10_ENKUlT_T0_E_clISt17integral_constantIbLb1EES1I_IbLb0EEEEDaS1E_S1F_EUlS1E_E_NS1_11comp_targetILNS1_3genE8ELNS1_11target_archE1030ELNS1_3gpuE2ELNS1_3repE0EEENS1_30default_config_static_selectorELNS0_4arch9wavefront6targetE0EEEvT1_,comdat
	.protected	_ZN7rocprim17ROCPRIM_400000_NS6detail17trampoline_kernelINS0_14default_configENS1_25partition_config_selectorILNS1_17partition_subalgoE6EN6thrust23THRUST_200600_302600_NS5tupleIssNS7_9null_typeES9_S9_S9_S9_S9_S9_S9_EENS0_10empty_typeEbEEZZNS1_14partition_implILS5_6ELb0ES3_mNS7_12zip_iteratorINS8_INS7_6detail15normal_iteratorINS7_10device_ptrIsEEEESJ_S9_S9_S9_S9_S9_S9_S9_S9_EEEEPSB_SM_NS0_5tupleIJNSE_INS8_ISJ_NS7_16discard_iteratorINS7_11use_defaultEEES9_S9_S9_S9_S9_S9_S9_S9_EEEESB_EEENSN_IJSM_SM_EEESB_PlJNSF_9not_fun_tINSF_14equal_to_valueISA_EEEEEEE10hipError_tPvRmT3_T4_T5_T6_T7_T9_mT8_P12ihipStream_tbDpT10_ENKUlT_T0_E_clISt17integral_constantIbLb1EES1I_IbLb0EEEEDaS1E_S1F_EUlS1E_E_NS1_11comp_targetILNS1_3genE8ELNS1_11target_archE1030ELNS1_3gpuE2ELNS1_3repE0EEENS1_30default_config_static_selectorELNS0_4arch9wavefront6targetE0EEEvT1_ ; -- Begin function _ZN7rocprim17ROCPRIM_400000_NS6detail17trampoline_kernelINS0_14default_configENS1_25partition_config_selectorILNS1_17partition_subalgoE6EN6thrust23THRUST_200600_302600_NS5tupleIssNS7_9null_typeES9_S9_S9_S9_S9_S9_S9_EENS0_10empty_typeEbEEZZNS1_14partition_implILS5_6ELb0ES3_mNS7_12zip_iteratorINS8_INS7_6detail15normal_iteratorINS7_10device_ptrIsEEEESJ_S9_S9_S9_S9_S9_S9_S9_S9_EEEEPSB_SM_NS0_5tupleIJNSE_INS8_ISJ_NS7_16discard_iteratorINS7_11use_defaultEEES9_S9_S9_S9_S9_S9_S9_S9_EEEESB_EEENSN_IJSM_SM_EEESB_PlJNSF_9not_fun_tINSF_14equal_to_valueISA_EEEEEEE10hipError_tPvRmT3_T4_T5_T6_T7_T9_mT8_P12ihipStream_tbDpT10_ENKUlT_T0_E_clISt17integral_constantIbLb1EES1I_IbLb0EEEEDaS1E_S1F_EUlS1E_E_NS1_11comp_targetILNS1_3genE8ELNS1_11target_archE1030ELNS1_3gpuE2ELNS1_3repE0EEENS1_30default_config_static_selectorELNS0_4arch9wavefront6targetE0EEEvT1_
	.globl	_ZN7rocprim17ROCPRIM_400000_NS6detail17trampoline_kernelINS0_14default_configENS1_25partition_config_selectorILNS1_17partition_subalgoE6EN6thrust23THRUST_200600_302600_NS5tupleIssNS7_9null_typeES9_S9_S9_S9_S9_S9_S9_EENS0_10empty_typeEbEEZZNS1_14partition_implILS5_6ELb0ES3_mNS7_12zip_iteratorINS8_INS7_6detail15normal_iteratorINS7_10device_ptrIsEEEESJ_S9_S9_S9_S9_S9_S9_S9_S9_EEEEPSB_SM_NS0_5tupleIJNSE_INS8_ISJ_NS7_16discard_iteratorINS7_11use_defaultEEES9_S9_S9_S9_S9_S9_S9_S9_EEEESB_EEENSN_IJSM_SM_EEESB_PlJNSF_9not_fun_tINSF_14equal_to_valueISA_EEEEEEE10hipError_tPvRmT3_T4_T5_T6_T7_T9_mT8_P12ihipStream_tbDpT10_ENKUlT_T0_E_clISt17integral_constantIbLb1EES1I_IbLb0EEEEDaS1E_S1F_EUlS1E_E_NS1_11comp_targetILNS1_3genE8ELNS1_11target_archE1030ELNS1_3gpuE2ELNS1_3repE0EEENS1_30default_config_static_selectorELNS0_4arch9wavefront6targetE0EEEvT1_
	.p2align	8
	.type	_ZN7rocprim17ROCPRIM_400000_NS6detail17trampoline_kernelINS0_14default_configENS1_25partition_config_selectorILNS1_17partition_subalgoE6EN6thrust23THRUST_200600_302600_NS5tupleIssNS7_9null_typeES9_S9_S9_S9_S9_S9_S9_EENS0_10empty_typeEbEEZZNS1_14partition_implILS5_6ELb0ES3_mNS7_12zip_iteratorINS8_INS7_6detail15normal_iteratorINS7_10device_ptrIsEEEESJ_S9_S9_S9_S9_S9_S9_S9_S9_EEEEPSB_SM_NS0_5tupleIJNSE_INS8_ISJ_NS7_16discard_iteratorINS7_11use_defaultEEES9_S9_S9_S9_S9_S9_S9_S9_EEEESB_EEENSN_IJSM_SM_EEESB_PlJNSF_9not_fun_tINSF_14equal_to_valueISA_EEEEEEE10hipError_tPvRmT3_T4_T5_T6_T7_T9_mT8_P12ihipStream_tbDpT10_ENKUlT_T0_E_clISt17integral_constantIbLb1EES1I_IbLb0EEEEDaS1E_S1F_EUlS1E_E_NS1_11comp_targetILNS1_3genE8ELNS1_11target_archE1030ELNS1_3gpuE2ELNS1_3repE0EEENS1_30default_config_static_selectorELNS0_4arch9wavefront6targetE0EEEvT1_,@function
_ZN7rocprim17ROCPRIM_400000_NS6detail17trampoline_kernelINS0_14default_configENS1_25partition_config_selectorILNS1_17partition_subalgoE6EN6thrust23THRUST_200600_302600_NS5tupleIssNS7_9null_typeES9_S9_S9_S9_S9_S9_S9_EENS0_10empty_typeEbEEZZNS1_14partition_implILS5_6ELb0ES3_mNS7_12zip_iteratorINS8_INS7_6detail15normal_iteratorINS7_10device_ptrIsEEEESJ_S9_S9_S9_S9_S9_S9_S9_S9_EEEEPSB_SM_NS0_5tupleIJNSE_INS8_ISJ_NS7_16discard_iteratorINS7_11use_defaultEEES9_S9_S9_S9_S9_S9_S9_S9_EEEESB_EEENSN_IJSM_SM_EEESB_PlJNSF_9not_fun_tINSF_14equal_to_valueISA_EEEEEEE10hipError_tPvRmT3_T4_T5_T6_T7_T9_mT8_P12ihipStream_tbDpT10_ENKUlT_T0_E_clISt17integral_constantIbLb1EES1I_IbLb0EEEEDaS1E_S1F_EUlS1E_E_NS1_11comp_targetILNS1_3genE8ELNS1_11target_archE1030ELNS1_3gpuE2ELNS1_3repE0EEENS1_30default_config_static_selectorELNS0_4arch9wavefront6targetE0EEEvT1_: ; @_ZN7rocprim17ROCPRIM_400000_NS6detail17trampoline_kernelINS0_14default_configENS1_25partition_config_selectorILNS1_17partition_subalgoE6EN6thrust23THRUST_200600_302600_NS5tupleIssNS7_9null_typeES9_S9_S9_S9_S9_S9_S9_EENS0_10empty_typeEbEEZZNS1_14partition_implILS5_6ELb0ES3_mNS7_12zip_iteratorINS8_INS7_6detail15normal_iteratorINS7_10device_ptrIsEEEESJ_S9_S9_S9_S9_S9_S9_S9_S9_EEEEPSB_SM_NS0_5tupleIJNSE_INS8_ISJ_NS7_16discard_iteratorINS7_11use_defaultEEES9_S9_S9_S9_S9_S9_S9_S9_EEEESB_EEENSN_IJSM_SM_EEESB_PlJNSF_9not_fun_tINSF_14equal_to_valueISA_EEEEEEE10hipError_tPvRmT3_T4_T5_T6_T7_T9_mT8_P12ihipStream_tbDpT10_ENKUlT_T0_E_clISt17integral_constantIbLb1EES1I_IbLb0EEEEDaS1E_S1F_EUlS1E_E_NS1_11comp_targetILNS1_3genE8ELNS1_11target_archE1030ELNS1_3gpuE2ELNS1_3repE0EEENS1_30default_config_static_selectorELNS0_4arch9wavefront6targetE0EEEvT1_
; %bb.0:
	.section	.rodata,"a",@progbits
	.p2align	6, 0x0
	.amdhsa_kernel _ZN7rocprim17ROCPRIM_400000_NS6detail17trampoline_kernelINS0_14default_configENS1_25partition_config_selectorILNS1_17partition_subalgoE6EN6thrust23THRUST_200600_302600_NS5tupleIssNS7_9null_typeES9_S9_S9_S9_S9_S9_S9_EENS0_10empty_typeEbEEZZNS1_14partition_implILS5_6ELb0ES3_mNS7_12zip_iteratorINS8_INS7_6detail15normal_iteratorINS7_10device_ptrIsEEEESJ_S9_S9_S9_S9_S9_S9_S9_S9_EEEEPSB_SM_NS0_5tupleIJNSE_INS8_ISJ_NS7_16discard_iteratorINS7_11use_defaultEEES9_S9_S9_S9_S9_S9_S9_S9_EEEESB_EEENSN_IJSM_SM_EEESB_PlJNSF_9not_fun_tINSF_14equal_to_valueISA_EEEEEEE10hipError_tPvRmT3_T4_T5_T6_T7_T9_mT8_P12ihipStream_tbDpT10_ENKUlT_T0_E_clISt17integral_constantIbLb1EES1I_IbLb0EEEEDaS1E_S1F_EUlS1E_E_NS1_11comp_targetILNS1_3genE8ELNS1_11target_archE1030ELNS1_3gpuE2ELNS1_3repE0EEENS1_30default_config_static_selectorELNS0_4arch9wavefront6targetE0EEEvT1_
		.amdhsa_group_segment_fixed_size 0
		.amdhsa_private_segment_fixed_size 0
		.amdhsa_kernarg_size 144
		.amdhsa_user_sgpr_count 2
		.amdhsa_user_sgpr_dispatch_ptr 0
		.amdhsa_user_sgpr_queue_ptr 0
		.amdhsa_user_sgpr_kernarg_segment_ptr 1
		.amdhsa_user_sgpr_dispatch_id 0
		.amdhsa_user_sgpr_private_segment_size 0
		.amdhsa_wavefront_size32 1
		.amdhsa_uses_dynamic_stack 0
		.amdhsa_enable_private_segment 0
		.amdhsa_system_sgpr_workgroup_id_x 1
		.amdhsa_system_sgpr_workgroup_id_y 0
		.amdhsa_system_sgpr_workgroup_id_z 0
		.amdhsa_system_sgpr_workgroup_info 0
		.amdhsa_system_vgpr_workitem_id 0
		.amdhsa_next_free_vgpr 1
		.amdhsa_next_free_sgpr 1
		.amdhsa_reserve_vcc 0
		.amdhsa_float_round_mode_32 0
		.amdhsa_float_round_mode_16_64 0
		.amdhsa_float_denorm_mode_32 3
		.amdhsa_float_denorm_mode_16_64 3
		.amdhsa_fp16_overflow 0
		.amdhsa_workgroup_processor_mode 1
		.amdhsa_memory_ordered 1
		.amdhsa_forward_progress 1
		.amdhsa_inst_pref_size 0
		.amdhsa_round_robin_scheduling 0
		.amdhsa_exception_fp_ieee_invalid_op 0
		.amdhsa_exception_fp_denorm_src 0
		.amdhsa_exception_fp_ieee_div_zero 0
		.amdhsa_exception_fp_ieee_overflow 0
		.amdhsa_exception_fp_ieee_underflow 0
		.amdhsa_exception_fp_ieee_inexact 0
		.amdhsa_exception_int_div_zero 0
	.end_amdhsa_kernel
	.section	.text._ZN7rocprim17ROCPRIM_400000_NS6detail17trampoline_kernelINS0_14default_configENS1_25partition_config_selectorILNS1_17partition_subalgoE6EN6thrust23THRUST_200600_302600_NS5tupleIssNS7_9null_typeES9_S9_S9_S9_S9_S9_S9_EENS0_10empty_typeEbEEZZNS1_14partition_implILS5_6ELb0ES3_mNS7_12zip_iteratorINS8_INS7_6detail15normal_iteratorINS7_10device_ptrIsEEEESJ_S9_S9_S9_S9_S9_S9_S9_S9_EEEEPSB_SM_NS0_5tupleIJNSE_INS8_ISJ_NS7_16discard_iteratorINS7_11use_defaultEEES9_S9_S9_S9_S9_S9_S9_S9_EEEESB_EEENSN_IJSM_SM_EEESB_PlJNSF_9not_fun_tINSF_14equal_to_valueISA_EEEEEEE10hipError_tPvRmT3_T4_T5_T6_T7_T9_mT8_P12ihipStream_tbDpT10_ENKUlT_T0_E_clISt17integral_constantIbLb1EES1I_IbLb0EEEEDaS1E_S1F_EUlS1E_E_NS1_11comp_targetILNS1_3genE8ELNS1_11target_archE1030ELNS1_3gpuE2ELNS1_3repE0EEENS1_30default_config_static_selectorELNS0_4arch9wavefront6targetE0EEEvT1_,"axG",@progbits,_ZN7rocprim17ROCPRIM_400000_NS6detail17trampoline_kernelINS0_14default_configENS1_25partition_config_selectorILNS1_17partition_subalgoE6EN6thrust23THRUST_200600_302600_NS5tupleIssNS7_9null_typeES9_S9_S9_S9_S9_S9_S9_EENS0_10empty_typeEbEEZZNS1_14partition_implILS5_6ELb0ES3_mNS7_12zip_iteratorINS8_INS7_6detail15normal_iteratorINS7_10device_ptrIsEEEESJ_S9_S9_S9_S9_S9_S9_S9_S9_EEEEPSB_SM_NS0_5tupleIJNSE_INS8_ISJ_NS7_16discard_iteratorINS7_11use_defaultEEES9_S9_S9_S9_S9_S9_S9_S9_EEEESB_EEENSN_IJSM_SM_EEESB_PlJNSF_9not_fun_tINSF_14equal_to_valueISA_EEEEEEE10hipError_tPvRmT3_T4_T5_T6_T7_T9_mT8_P12ihipStream_tbDpT10_ENKUlT_T0_E_clISt17integral_constantIbLb1EES1I_IbLb0EEEEDaS1E_S1F_EUlS1E_E_NS1_11comp_targetILNS1_3genE8ELNS1_11target_archE1030ELNS1_3gpuE2ELNS1_3repE0EEENS1_30default_config_static_selectorELNS0_4arch9wavefront6targetE0EEEvT1_,comdat
.Lfunc_end2068:
	.size	_ZN7rocprim17ROCPRIM_400000_NS6detail17trampoline_kernelINS0_14default_configENS1_25partition_config_selectorILNS1_17partition_subalgoE6EN6thrust23THRUST_200600_302600_NS5tupleIssNS7_9null_typeES9_S9_S9_S9_S9_S9_S9_EENS0_10empty_typeEbEEZZNS1_14partition_implILS5_6ELb0ES3_mNS7_12zip_iteratorINS8_INS7_6detail15normal_iteratorINS7_10device_ptrIsEEEESJ_S9_S9_S9_S9_S9_S9_S9_S9_EEEEPSB_SM_NS0_5tupleIJNSE_INS8_ISJ_NS7_16discard_iteratorINS7_11use_defaultEEES9_S9_S9_S9_S9_S9_S9_S9_EEEESB_EEENSN_IJSM_SM_EEESB_PlJNSF_9not_fun_tINSF_14equal_to_valueISA_EEEEEEE10hipError_tPvRmT3_T4_T5_T6_T7_T9_mT8_P12ihipStream_tbDpT10_ENKUlT_T0_E_clISt17integral_constantIbLb1EES1I_IbLb0EEEEDaS1E_S1F_EUlS1E_E_NS1_11comp_targetILNS1_3genE8ELNS1_11target_archE1030ELNS1_3gpuE2ELNS1_3repE0EEENS1_30default_config_static_selectorELNS0_4arch9wavefront6targetE0EEEvT1_, .Lfunc_end2068-_ZN7rocprim17ROCPRIM_400000_NS6detail17trampoline_kernelINS0_14default_configENS1_25partition_config_selectorILNS1_17partition_subalgoE6EN6thrust23THRUST_200600_302600_NS5tupleIssNS7_9null_typeES9_S9_S9_S9_S9_S9_S9_EENS0_10empty_typeEbEEZZNS1_14partition_implILS5_6ELb0ES3_mNS7_12zip_iteratorINS8_INS7_6detail15normal_iteratorINS7_10device_ptrIsEEEESJ_S9_S9_S9_S9_S9_S9_S9_S9_EEEEPSB_SM_NS0_5tupleIJNSE_INS8_ISJ_NS7_16discard_iteratorINS7_11use_defaultEEES9_S9_S9_S9_S9_S9_S9_S9_EEEESB_EEENSN_IJSM_SM_EEESB_PlJNSF_9not_fun_tINSF_14equal_to_valueISA_EEEEEEE10hipError_tPvRmT3_T4_T5_T6_T7_T9_mT8_P12ihipStream_tbDpT10_ENKUlT_T0_E_clISt17integral_constantIbLb1EES1I_IbLb0EEEEDaS1E_S1F_EUlS1E_E_NS1_11comp_targetILNS1_3genE8ELNS1_11target_archE1030ELNS1_3gpuE2ELNS1_3repE0EEENS1_30default_config_static_selectorELNS0_4arch9wavefront6targetE0EEEvT1_
                                        ; -- End function
	.set _ZN7rocprim17ROCPRIM_400000_NS6detail17trampoline_kernelINS0_14default_configENS1_25partition_config_selectorILNS1_17partition_subalgoE6EN6thrust23THRUST_200600_302600_NS5tupleIssNS7_9null_typeES9_S9_S9_S9_S9_S9_S9_EENS0_10empty_typeEbEEZZNS1_14partition_implILS5_6ELb0ES3_mNS7_12zip_iteratorINS8_INS7_6detail15normal_iteratorINS7_10device_ptrIsEEEESJ_S9_S9_S9_S9_S9_S9_S9_S9_EEEEPSB_SM_NS0_5tupleIJNSE_INS8_ISJ_NS7_16discard_iteratorINS7_11use_defaultEEES9_S9_S9_S9_S9_S9_S9_S9_EEEESB_EEENSN_IJSM_SM_EEESB_PlJNSF_9not_fun_tINSF_14equal_to_valueISA_EEEEEEE10hipError_tPvRmT3_T4_T5_T6_T7_T9_mT8_P12ihipStream_tbDpT10_ENKUlT_T0_E_clISt17integral_constantIbLb1EES1I_IbLb0EEEEDaS1E_S1F_EUlS1E_E_NS1_11comp_targetILNS1_3genE8ELNS1_11target_archE1030ELNS1_3gpuE2ELNS1_3repE0EEENS1_30default_config_static_selectorELNS0_4arch9wavefront6targetE0EEEvT1_.num_vgpr, 0
	.set _ZN7rocprim17ROCPRIM_400000_NS6detail17trampoline_kernelINS0_14default_configENS1_25partition_config_selectorILNS1_17partition_subalgoE6EN6thrust23THRUST_200600_302600_NS5tupleIssNS7_9null_typeES9_S9_S9_S9_S9_S9_S9_EENS0_10empty_typeEbEEZZNS1_14partition_implILS5_6ELb0ES3_mNS7_12zip_iteratorINS8_INS7_6detail15normal_iteratorINS7_10device_ptrIsEEEESJ_S9_S9_S9_S9_S9_S9_S9_S9_EEEEPSB_SM_NS0_5tupleIJNSE_INS8_ISJ_NS7_16discard_iteratorINS7_11use_defaultEEES9_S9_S9_S9_S9_S9_S9_S9_EEEESB_EEENSN_IJSM_SM_EEESB_PlJNSF_9not_fun_tINSF_14equal_to_valueISA_EEEEEEE10hipError_tPvRmT3_T4_T5_T6_T7_T9_mT8_P12ihipStream_tbDpT10_ENKUlT_T0_E_clISt17integral_constantIbLb1EES1I_IbLb0EEEEDaS1E_S1F_EUlS1E_E_NS1_11comp_targetILNS1_3genE8ELNS1_11target_archE1030ELNS1_3gpuE2ELNS1_3repE0EEENS1_30default_config_static_selectorELNS0_4arch9wavefront6targetE0EEEvT1_.num_agpr, 0
	.set _ZN7rocprim17ROCPRIM_400000_NS6detail17trampoline_kernelINS0_14default_configENS1_25partition_config_selectorILNS1_17partition_subalgoE6EN6thrust23THRUST_200600_302600_NS5tupleIssNS7_9null_typeES9_S9_S9_S9_S9_S9_S9_EENS0_10empty_typeEbEEZZNS1_14partition_implILS5_6ELb0ES3_mNS7_12zip_iteratorINS8_INS7_6detail15normal_iteratorINS7_10device_ptrIsEEEESJ_S9_S9_S9_S9_S9_S9_S9_S9_EEEEPSB_SM_NS0_5tupleIJNSE_INS8_ISJ_NS7_16discard_iteratorINS7_11use_defaultEEES9_S9_S9_S9_S9_S9_S9_S9_EEEESB_EEENSN_IJSM_SM_EEESB_PlJNSF_9not_fun_tINSF_14equal_to_valueISA_EEEEEEE10hipError_tPvRmT3_T4_T5_T6_T7_T9_mT8_P12ihipStream_tbDpT10_ENKUlT_T0_E_clISt17integral_constantIbLb1EES1I_IbLb0EEEEDaS1E_S1F_EUlS1E_E_NS1_11comp_targetILNS1_3genE8ELNS1_11target_archE1030ELNS1_3gpuE2ELNS1_3repE0EEENS1_30default_config_static_selectorELNS0_4arch9wavefront6targetE0EEEvT1_.numbered_sgpr, 0
	.set _ZN7rocprim17ROCPRIM_400000_NS6detail17trampoline_kernelINS0_14default_configENS1_25partition_config_selectorILNS1_17partition_subalgoE6EN6thrust23THRUST_200600_302600_NS5tupleIssNS7_9null_typeES9_S9_S9_S9_S9_S9_S9_EENS0_10empty_typeEbEEZZNS1_14partition_implILS5_6ELb0ES3_mNS7_12zip_iteratorINS8_INS7_6detail15normal_iteratorINS7_10device_ptrIsEEEESJ_S9_S9_S9_S9_S9_S9_S9_S9_EEEEPSB_SM_NS0_5tupleIJNSE_INS8_ISJ_NS7_16discard_iteratorINS7_11use_defaultEEES9_S9_S9_S9_S9_S9_S9_S9_EEEESB_EEENSN_IJSM_SM_EEESB_PlJNSF_9not_fun_tINSF_14equal_to_valueISA_EEEEEEE10hipError_tPvRmT3_T4_T5_T6_T7_T9_mT8_P12ihipStream_tbDpT10_ENKUlT_T0_E_clISt17integral_constantIbLb1EES1I_IbLb0EEEEDaS1E_S1F_EUlS1E_E_NS1_11comp_targetILNS1_3genE8ELNS1_11target_archE1030ELNS1_3gpuE2ELNS1_3repE0EEENS1_30default_config_static_selectorELNS0_4arch9wavefront6targetE0EEEvT1_.num_named_barrier, 0
	.set _ZN7rocprim17ROCPRIM_400000_NS6detail17trampoline_kernelINS0_14default_configENS1_25partition_config_selectorILNS1_17partition_subalgoE6EN6thrust23THRUST_200600_302600_NS5tupleIssNS7_9null_typeES9_S9_S9_S9_S9_S9_S9_EENS0_10empty_typeEbEEZZNS1_14partition_implILS5_6ELb0ES3_mNS7_12zip_iteratorINS8_INS7_6detail15normal_iteratorINS7_10device_ptrIsEEEESJ_S9_S9_S9_S9_S9_S9_S9_S9_EEEEPSB_SM_NS0_5tupleIJNSE_INS8_ISJ_NS7_16discard_iteratorINS7_11use_defaultEEES9_S9_S9_S9_S9_S9_S9_S9_EEEESB_EEENSN_IJSM_SM_EEESB_PlJNSF_9not_fun_tINSF_14equal_to_valueISA_EEEEEEE10hipError_tPvRmT3_T4_T5_T6_T7_T9_mT8_P12ihipStream_tbDpT10_ENKUlT_T0_E_clISt17integral_constantIbLb1EES1I_IbLb0EEEEDaS1E_S1F_EUlS1E_E_NS1_11comp_targetILNS1_3genE8ELNS1_11target_archE1030ELNS1_3gpuE2ELNS1_3repE0EEENS1_30default_config_static_selectorELNS0_4arch9wavefront6targetE0EEEvT1_.private_seg_size, 0
	.set _ZN7rocprim17ROCPRIM_400000_NS6detail17trampoline_kernelINS0_14default_configENS1_25partition_config_selectorILNS1_17partition_subalgoE6EN6thrust23THRUST_200600_302600_NS5tupleIssNS7_9null_typeES9_S9_S9_S9_S9_S9_S9_EENS0_10empty_typeEbEEZZNS1_14partition_implILS5_6ELb0ES3_mNS7_12zip_iteratorINS8_INS7_6detail15normal_iteratorINS7_10device_ptrIsEEEESJ_S9_S9_S9_S9_S9_S9_S9_S9_EEEEPSB_SM_NS0_5tupleIJNSE_INS8_ISJ_NS7_16discard_iteratorINS7_11use_defaultEEES9_S9_S9_S9_S9_S9_S9_S9_EEEESB_EEENSN_IJSM_SM_EEESB_PlJNSF_9not_fun_tINSF_14equal_to_valueISA_EEEEEEE10hipError_tPvRmT3_T4_T5_T6_T7_T9_mT8_P12ihipStream_tbDpT10_ENKUlT_T0_E_clISt17integral_constantIbLb1EES1I_IbLb0EEEEDaS1E_S1F_EUlS1E_E_NS1_11comp_targetILNS1_3genE8ELNS1_11target_archE1030ELNS1_3gpuE2ELNS1_3repE0EEENS1_30default_config_static_selectorELNS0_4arch9wavefront6targetE0EEEvT1_.uses_vcc, 0
	.set _ZN7rocprim17ROCPRIM_400000_NS6detail17trampoline_kernelINS0_14default_configENS1_25partition_config_selectorILNS1_17partition_subalgoE6EN6thrust23THRUST_200600_302600_NS5tupleIssNS7_9null_typeES9_S9_S9_S9_S9_S9_S9_EENS0_10empty_typeEbEEZZNS1_14partition_implILS5_6ELb0ES3_mNS7_12zip_iteratorINS8_INS7_6detail15normal_iteratorINS7_10device_ptrIsEEEESJ_S9_S9_S9_S9_S9_S9_S9_S9_EEEEPSB_SM_NS0_5tupleIJNSE_INS8_ISJ_NS7_16discard_iteratorINS7_11use_defaultEEES9_S9_S9_S9_S9_S9_S9_S9_EEEESB_EEENSN_IJSM_SM_EEESB_PlJNSF_9not_fun_tINSF_14equal_to_valueISA_EEEEEEE10hipError_tPvRmT3_T4_T5_T6_T7_T9_mT8_P12ihipStream_tbDpT10_ENKUlT_T0_E_clISt17integral_constantIbLb1EES1I_IbLb0EEEEDaS1E_S1F_EUlS1E_E_NS1_11comp_targetILNS1_3genE8ELNS1_11target_archE1030ELNS1_3gpuE2ELNS1_3repE0EEENS1_30default_config_static_selectorELNS0_4arch9wavefront6targetE0EEEvT1_.uses_flat_scratch, 0
	.set _ZN7rocprim17ROCPRIM_400000_NS6detail17trampoline_kernelINS0_14default_configENS1_25partition_config_selectorILNS1_17partition_subalgoE6EN6thrust23THRUST_200600_302600_NS5tupleIssNS7_9null_typeES9_S9_S9_S9_S9_S9_S9_EENS0_10empty_typeEbEEZZNS1_14partition_implILS5_6ELb0ES3_mNS7_12zip_iteratorINS8_INS7_6detail15normal_iteratorINS7_10device_ptrIsEEEESJ_S9_S9_S9_S9_S9_S9_S9_S9_EEEEPSB_SM_NS0_5tupleIJNSE_INS8_ISJ_NS7_16discard_iteratorINS7_11use_defaultEEES9_S9_S9_S9_S9_S9_S9_S9_EEEESB_EEENSN_IJSM_SM_EEESB_PlJNSF_9not_fun_tINSF_14equal_to_valueISA_EEEEEEE10hipError_tPvRmT3_T4_T5_T6_T7_T9_mT8_P12ihipStream_tbDpT10_ENKUlT_T0_E_clISt17integral_constantIbLb1EES1I_IbLb0EEEEDaS1E_S1F_EUlS1E_E_NS1_11comp_targetILNS1_3genE8ELNS1_11target_archE1030ELNS1_3gpuE2ELNS1_3repE0EEENS1_30default_config_static_selectorELNS0_4arch9wavefront6targetE0EEEvT1_.has_dyn_sized_stack, 0
	.set _ZN7rocprim17ROCPRIM_400000_NS6detail17trampoline_kernelINS0_14default_configENS1_25partition_config_selectorILNS1_17partition_subalgoE6EN6thrust23THRUST_200600_302600_NS5tupleIssNS7_9null_typeES9_S9_S9_S9_S9_S9_S9_EENS0_10empty_typeEbEEZZNS1_14partition_implILS5_6ELb0ES3_mNS7_12zip_iteratorINS8_INS7_6detail15normal_iteratorINS7_10device_ptrIsEEEESJ_S9_S9_S9_S9_S9_S9_S9_S9_EEEEPSB_SM_NS0_5tupleIJNSE_INS8_ISJ_NS7_16discard_iteratorINS7_11use_defaultEEES9_S9_S9_S9_S9_S9_S9_S9_EEEESB_EEENSN_IJSM_SM_EEESB_PlJNSF_9not_fun_tINSF_14equal_to_valueISA_EEEEEEE10hipError_tPvRmT3_T4_T5_T6_T7_T9_mT8_P12ihipStream_tbDpT10_ENKUlT_T0_E_clISt17integral_constantIbLb1EES1I_IbLb0EEEEDaS1E_S1F_EUlS1E_E_NS1_11comp_targetILNS1_3genE8ELNS1_11target_archE1030ELNS1_3gpuE2ELNS1_3repE0EEENS1_30default_config_static_selectorELNS0_4arch9wavefront6targetE0EEEvT1_.has_recursion, 0
	.set _ZN7rocprim17ROCPRIM_400000_NS6detail17trampoline_kernelINS0_14default_configENS1_25partition_config_selectorILNS1_17partition_subalgoE6EN6thrust23THRUST_200600_302600_NS5tupleIssNS7_9null_typeES9_S9_S9_S9_S9_S9_S9_EENS0_10empty_typeEbEEZZNS1_14partition_implILS5_6ELb0ES3_mNS7_12zip_iteratorINS8_INS7_6detail15normal_iteratorINS7_10device_ptrIsEEEESJ_S9_S9_S9_S9_S9_S9_S9_S9_EEEEPSB_SM_NS0_5tupleIJNSE_INS8_ISJ_NS7_16discard_iteratorINS7_11use_defaultEEES9_S9_S9_S9_S9_S9_S9_S9_EEEESB_EEENSN_IJSM_SM_EEESB_PlJNSF_9not_fun_tINSF_14equal_to_valueISA_EEEEEEE10hipError_tPvRmT3_T4_T5_T6_T7_T9_mT8_P12ihipStream_tbDpT10_ENKUlT_T0_E_clISt17integral_constantIbLb1EES1I_IbLb0EEEEDaS1E_S1F_EUlS1E_E_NS1_11comp_targetILNS1_3genE8ELNS1_11target_archE1030ELNS1_3gpuE2ELNS1_3repE0EEENS1_30default_config_static_selectorELNS0_4arch9wavefront6targetE0EEEvT1_.has_indirect_call, 0
	.section	.AMDGPU.csdata,"",@progbits
; Kernel info:
; codeLenInByte = 0
; TotalNumSgprs: 0
; NumVgprs: 0
; ScratchSize: 0
; MemoryBound: 0
; FloatMode: 240
; IeeeMode: 1
; LDSByteSize: 0 bytes/workgroup (compile time only)
; SGPRBlocks: 0
; VGPRBlocks: 0
; NumSGPRsForWavesPerEU: 1
; NumVGPRsForWavesPerEU: 1
; Occupancy: 16
; WaveLimiterHint : 0
; COMPUTE_PGM_RSRC2:SCRATCH_EN: 0
; COMPUTE_PGM_RSRC2:USER_SGPR: 2
; COMPUTE_PGM_RSRC2:TRAP_HANDLER: 0
; COMPUTE_PGM_RSRC2:TGID_X_EN: 1
; COMPUTE_PGM_RSRC2:TGID_Y_EN: 0
; COMPUTE_PGM_RSRC2:TGID_Z_EN: 0
; COMPUTE_PGM_RSRC2:TIDIG_COMP_CNT: 0
	.section	.text._ZN7rocprim17ROCPRIM_400000_NS6detail17trampoline_kernelINS0_14default_configENS1_25partition_config_selectorILNS1_17partition_subalgoE6EN6thrust23THRUST_200600_302600_NS5tupleIssNS7_9null_typeES9_S9_S9_S9_S9_S9_S9_EENS0_10empty_typeEbEEZZNS1_14partition_implILS5_6ELb0ES3_mNS7_12zip_iteratorINS8_INS7_6detail15normal_iteratorINS7_10device_ptrIsEEEESJ_S9_S9_S9_S9_S9_S9_S9_S9_EEEEPSB_SM_NS0_5tupleIJNSE_INS8_ISJ_NS7_16discard_iteratorINS7_11use_defaultEEES9_S9_S9_S9_S9_S9_S9_S9_EEEESB_EEENSN_IJSM_SM_EEESB_PlJNSF_9not_fun_tINSF_14equal_to_valueISA_EEEEEEE10hipError_tPvRmT3_T4_T5_T6_T7_T9_mT8_P12ihipStream_tbDpT10_ENKUlT_T0_E_clISt17integral_constantIbLb0EES1I_IbLb1EEEEDaS1E_S1F_EUlS1E_E_NS1_11comp_targetILNS1_3genE0ELNS1_11target_archE4294967295ELNS1_3gpuE0ELNS1_3repE0EEENS1_30default_config_static_selectorELNS0_4arch9wavefront6targetE0EEEvT1_,"axG",@progbits,_ZN7rocprim17ROCPRIM_400000_NS6detail17trampoline_kernelINS0_14default_configENS1_25partition_config_selectorILNS1_17partition_subalgoE6EN6thrust23THRUST_200600_302600_NS5tupleIssNS7_9null_typeES9_S9_S9_S9_S9_S9_S9_EENS0_10empty_typeEbEEZZNS1_14partition_implILS5_6ELb0ES3_mNS7_12zip_iteratorINS8_INS7_6detail15normal_iteratorINS7_10device_ptrIsEEEESJ_S9_S9_S9_S9_S9_S9_S9_S9_EEEEPSB_SM_NS0_5tupleIJNSE_INS8_ISJ_NS7_16discard_iteratorINS7_11use_defaultEEES9_S9_S9_S9_S9_S9_S9_S9_EEEESB_EEENSN_IJSM_SM_EEESB_PlJNSF_9not_fun_tINSF_14equal_to_valueISA_EEEEEEE10hipError_tPvRmT3_T4_T5_T6_T7_T9_mT8_P12ihipStream_tbDpT10_ENKUlT_T0_E_clISt17integral_constantIbLb0EES1I_IbLb1EEEEDaS1E_S1F_EUlS1E_E_NS1_11comp_targetILNS1_3genE0ELNS1_11target_archE4294967295ELNS1_3gpuE0ELNS1_3repE0EEENS1_30default_config_static_selectorELNS0_4arch9wavefront6targetE0EEEvT1_,comdat
	.protected	_ZN7rocprim17ROCPRIM_400000_NS6detail17trampoline_kernelINS0_14default_configENS1_25partition_config_selectorILNS1_17partition_subalgoE6EN6thrust23THRUST_200600_302600_NS5tupleIssNS7_9null_typeES9_S9_S9_S9_S9_S9_S9_EENS0_10empty_typeEbEEZZNS1_14partition_implILS5_6ELb0ES3_mNS7_12zip_iteratorINS8_INS7_6detail15normal_iteratorINS7_10device_ptrIsEEEESJ_S9_S9_S9_S9_S9_S9_S9_S9_EEEEPSB_SM_NS0_5tupleIJNSE_INS8_ISJ_NS7_16discard_iteratorINS7_11use_defaultEEES9_S9_S9_S9_S9_S9_S9_S9_EEEESB_EEENSN_IJSM_SM_EEESB_PlJNSF_9not_fun_tINSF_14equal_to_valueISA_EEEEEEE10hipError_tPvRmT3_T4_T5_T6_T7_T9_mT8_P12ihipStream_tbDpT10_ENKUlT_T0_E_clISt17integral_constantIbLb0EES1I_IbLb1EEEEDaS1E_S1F_EUlS1E_E_NS1_11comp_targetILNS1_3genE0ELNS1_11target_archE4294967295ELNS1_3gpuE0ELNS1_3repE0EEENS1_30default_config_static_selectorELNS0_4arch9wavefront6targetE0EEEvT1_ ; -- Begin function _ZN7rocprim17ROCPRIM_400000_NS6detail17trampoline_kernelINS0_14default_configENS1_25partition_config_selectorILNS1_17partition_subalgoE6EN6thrust23THRUST_200600_302600_NS5tupleIssNS7_9null_typeES9_S9_S9_S9_S9_S9_S9_EENS0_10empty_typeEbEEZZNS1_14partition_implILS5_6ELb0ES3_mNS7_12zip_iteratorINS8_INS7_6detail15normal_iteratorINS7_10device_ptrIsEEEESJ_S9_S9_S9_S9_S9_S9_S9_S9_EEEEPSB_SM_NS0_5tupleIJNSE_INS8_ISJ_NS7_16discard_iteratorINS7_11use_defaultEEES9_S9_S9_S9_S9_S9_S9_S9_EEEESB_EEENSN_IJSM_SM_EEESB_PlJNSF_9not_fun_tINSF_14equal_to_valueISA_EEEEEEE10hipError_tPvRmT3_T4_T5_T6_T7_T9_mT8_P12ihipStream_tbDpT10_ENKUlT_T0_E_clISt17integral_constantIbLb0EES1I_IbLb1EEEEDaS1E_S1F_EUlS1E_E_NS1_11comp_targetILNS1_3genE0ELNS1_11target_archE4294967295ELNS1_3gpuE0ELNS1_3repE0EEENS1_30default_config_static_selectorELNS0_4arch9wavefront6targetE0EEEvT1_
	.globl	_ZN7rocprim17ROCPRIM_400000_NS6detail17trampoline_kernelINS0_14default_configENS1_25partition_config_selectorILNS1_17partition_subalgoE6EN6thrust23THRUST_200600_302600_NS5tupleIssNS7_9null_typeES9_S9_S9_S9_S9_S9_S9_EENS0_10empty_typeEbEEZZNS1_14partition_implILS5_6ELb0ES3_mNS7_12zip_iteratorINS8_INS7_6detail15normal_iteratorINS7_10device_ptrIsEEEESJ_S9_S9_S9_S9_S9_S9_S9_S9_EEEEPSB_SM_NS0_5tupleIJNSE_INS8_ISJ_NS7_16discard_iteratorINS7_11use_defaultEEES9_S9_S9_S9_S9_S9_S9_S9_EEEESB_EEENSN_IJSM_SM_EEESB_PlJNSF_9not_fun_tINSF_14equal_to_valueISA_EEEEEEE10hipError_tPvRmT3_T4_T5_T6_T7_T9_mT8_P12ihipStream_tbDpT10_ENKUlT_T0_E_clISt17integral_constantIbLb0EES1I_IbLb1EEEEDaS1E_S1F_EUlS1E_E_NS1_11comp_targetILNS1_3genE0ELNS1_11target_archE4294967295ELNS1_3gpuE0ELNS1_3repE0EEENS1_30default_config_static_selectorELNS0_4arch9wavefront6targetE0EEEvT1_
	.p2align	8
	.type	_ZN7rocprim17ROCPRIM_400000_NS6detail17trampoline_kernelINS0_14default_configENS1_25partition_config_selectorILNS1_17partition_subalgoE6EN6thrust23THRUST_200600_302600_NS5tupleIssNS7_9null_typeES9_S9_S9_S9_S9_S9_S9_EENS0_10empty_typeEbEEZZNS1_14partition_implILS5_6ELb0ES3_mNS7_12zip_iteratorINS8_INS7_6detail15normal_iteratorINS7_10device_ptrIsEEEESJ_S9_S9_S9_S9_S9_S9_S9_S9_EEEEPSB_SM_NS0_5tupleIJNSE_INS8_ISJ_NS7_16discard_iteratorINS7_11use_defaultEEES9_S9_S9_S9_S9_S9_S9_S9_EEEESB_EEENSN_IJSM_SM_EEESB_PlJNSF_9not_fun_tINSF_14equal_to_valueISA_EEEEEEE10hipError_tPvRmT3_T4_T5_T6_T7_T9_mT8_P12ihipStream_tbDpT10_ENKUlT_T0_E_clISt17integral_constantIbLb0EES1I_IbLb1EEEEDaS1E_S1F_EUlS1E_E_NS1_11comp_targetILNS1_3genE0ELNS1_11target_archE4294967295ELNS1_3gpuE0ELNS1_3repE0EEENS1_30default_config_static_selectorELNS0_4arch9wavefront6targetE0EEEvT1_,@function
_ZN7rocprim17ROCPRIM_400000_NS6detail17trampoline_kernelINS0_14default_configENS1_25partition_config_selectorILNS1_17partition_subalgoE6EN6thrust23THRUST_200600_302600_NS5tupleIssNS7_9null_typeES9_S9_S9_S9_S9_S9_S9_EENS0_10empty_typeEbEEZZNS1_14partition_implILS5_6ELb0ES3_mNS7_12zip_iteratorINS8_INS7_6detail15normal_iteratorINS7_10device_ptrIsEEEESJ_S9_S9_S9_S9_S9_S9_S9_S9_EEEEPSB_SM_NS0_5tupleIJNSE_INS8_ISJ_NS7_16discard_iteratorINS7_11use_defaultEEES9_S9_S9_S9_S9_S9_S9_S9_EEEESB_EEENSN_IJSM_SM_EEESB_PlJNSF_9not_fun_tINSF_14equal_to_valueISA_EEEEEEE10hipError_tPvRmT3_T4_T5_T6_T7_T9_mT8_P12ihipStream_tbDpT10_ENKUlT_T0_E_clISt17integral_constantIbLb0EES1I_IbLb1EEEEDaS1E_S1F_EUlS1E_E_NS1_11comp_targetILNS1_3genE0ELNS1_11target_archE4294967295ELNS1_3gpuE0ELNS1_3repE0EEENS1_30default_config_static_selectorELNS0_4arch9wavefront6targetE0EEEvT1_: ; @_ZN7rocprim17ROCPRIM_400000_NS6detail17trampoline_kernelINS0_14default_configENS1_25partition_config_selectorILNS1_17partition_subalgoE6EN6thrust23THRUST_200600_302600_NS5tupleIssNS7_9null_typeES9_S9_S9_S9_S9_S9_S9_EENS0_10empty_typeEbEEZZNS1_14partition_implILS5_6ELb0ES3_mNS7_12zip_iteratorINS8_INS7_6detail15normal_iteratorINS7_10device_ptrIsEEEESJ_S9_S9_S9_S9_S9_S9_S9_S9_EEEEPSB_SM_NS0_5tupleIJNSE_INS8_ISJ_NS7_16discard_iteratorINS7_11use_defaultEEES9_S9_S9_S9_S9_S9_S9_S9_EEEESB_EEENSN_IJSM_SM_EEESB_PlJNSF_9not_fun_tINSF_14equal_to_valueISA_EEEEEEE10hipError_tPvRmT3_T4_T5_T6_T7_T9_mT8_P12ihipStream_tbDpT10_ENKUlT_T0_E_clISt17integral_constantIbLb0EES1I_IbLb1EEEEDaS1E_S1F_EUlS1E_E_NS1_11comp_targetILNS1_3genE0ELNS1_11target_archE4294967295ELNS1_3gpuE0ELNS1_3repE0EEENS1_30default_config_static_selectorELNS0_4arch9wavefront6targetE0EEEvT1_
; %bb.0:
	.section	.rodata,"a",@progbits
	.p2align	6, 0x0
	.amdhsa_kernel _ZN7rocprim17ROCPRIM_400000_NS6detail17trampoline_kernelINS0_14default_configENS1_25partition_config_selectorILNS1_17partition_subalgoE6EN6thrust23THRUST_200600_302600_NS5tupleIssNS7_9null_typeES9_S9_S9_S9_S9_S9_S9_EENS0_10empty_typeEbEEZZNS1_14partition_implILS5_6ELb0ES3_mNS7_12zip_iteratorINS8_INS7_6detail15normal_iteratorINS7_10device_ptrIsEEEESJ_S9_S9_S9_S9_S9_S9_S9_S9_EEEEPSB_SM_NS0_5tupleIJNSE_INS8_ISJ_NS7_16discard_iteratorINS7_11use_defaultEEES9_S9_S9_S9_S9_S9_S9_S9_EEEESB_EEENSN_IJSM_SM_EEESB_PlJNSF_9not_fun_tINSF_14equal_to_valueISA_EEEEEEE10hipError_tPvRmT3_T4_T5_T6_T7_T9_mT8_P12ihipStream_tbDpT10_ENKUlT_T0_E_clISt17integral_constantIbLb0EES1I_IbLb1EEEEDaS1E_S1F_EUlS1E_E_NS1_11comp_targetILNS1_3genE0ELNS1_11target_archE4294967295ELNS1_3gpuE0ELNS1_3repE0EEENS1_30default_config_static_selectorELNS0_4arch9wavefront6targetE0EEEvT1_
		.amdhsa_group_segment_fixed_size 0
		.amdhsa_private_segment_fixed_size 0
		.amdhsa_kernarg_size 152
		.amdhsa_user_sgpr_count 2
		.amdhsa_user_sgpr_dispatch_ptr 0
		.amdhsa_user_sgpr_queue_ptr 0
		.amdhsa_user_sgpr_kernarg_segment_ptr 1
		.amdhsa_user_sgpr_dispatch_id 0
		.amdhsa_user_sgpr_private_segment_size 0
		.amdhsa_wavefront_size32 1
		.amdhsa_uses_dynamic_stack 0
		.amdhsa_enable_private_segment 0
		.amdhsa_system_sgpr_workgroup_id_x 1
		.amdhsa_system_sgpr_workgroup_id_y 0
		.amdhsa_system_sgpr_workgroup_id_z 0
		.amdhsa_system_sgpr_workgroup_info 0
		.amdhsa_system_vgpr_workitem_id 0
		.amdhsa_next_free_vgpr 1
		.amdhsa_next_free_sgpr 1
		.amdhsa_reserve_vcc 0
		.amdhsa_float_round_mode_32 0
		.amdhsa_float_round_mode_16_64 0
		.amdhsa_float_denorm_mode_32 3
		.amdhsa_float_denorm_mode_16_64 3
		.amdhsa_fp16_overflow 0
		.amdhsa_workgroup_processor_mode 1
		.amdhsa_memory_ordered 1
		.amdhsa_forward_progress 1
		.amdhsa_inst_pref_size 0
		.amdhsa_round_robin_scheduling 0
		.amdhsa_exception_fp_ieee_invalid_op 0
		.amdhsa_exception_fp_denorm_src 0
		.amdhsa_exception_fp_ieee_div_zero 0
		.amdhsa_exception_fp_ieee_overflow 0
		.amdhsa_exception_fp_ieee_underflow 0
		.amdhsa_exception_fp_ieee_inexact 0
		.amdhsa_exception_int_div_zero 0
	.end_amdhsa_kernel
	.section	.text._ZN7rocprim17ROCPRIM_400000_NS6detail17trampoline_kernelINS0_14default_configENS1_25partition_config_selectorILNS1_17partition_subalgoE6EN6thrust23THRUST_200600_302600_NS5tupleIssNS7_9null_typeES9_S9_S9_S9_S9_S9_S9_EENS0_10empty_typeEbEEZZNS1_14partition_implILS5_6ELb0ES3_mNS7_12zip_iteratorINS8_INS7_6detail15normal_iteratorINS7_10device_ptrIsEEEESJ_S9_S9_S9_S9_S9_S9_S9_S9_EEEEPSB_SM_NS0_5tupleIJNSE_INS8_ISJ_NS7_16discard_iteratorINS7_11use_defaultEEES9_S9_S9_S9_S9_S9_S9_S9_EEEESB_EEENSN_IJSM_SM_EEESB_PlJNSF_9not_fun_tINSF_14equal_to_valueISA_EEEEEEE10hipError_tPvRmT3_T4_T5_T6_T7_T9_mT8_P12ihipStream_tbDpT10_ENKUlT_T0_E_clISt17integral_constantIbLb0EES1I_IbLb1EEEEDaS1E_S1F_EUlS1E_E_NS1_11comp_targetILNS1_3genE0ELNS1_11target_archE4294967295ELNS1_3gpuE0ELNS1_3repE0EEENS1_30default_config_static_selectorELNS0_4arch9wavefront6targetE0EEEvT1_,"axG",@progbits,_ZN7rocprim17ROCPRIM_400000_NS6detail17trampoline_kernelINS0_14default_configENS1_25partition_config_selectorILNS1_17partition_subalgoE6EN6thrust23THRUST_200600_302600_NS5tupleIssNS7_9null_typeES9_S9_S9_S9_S9_S9_S9_EENS0_10empty_typeEbEEZZNS1_14partition_implILS5_6ELb0ES3_mNS7_12zip_iteratorINS8_INS7_6detail15normal_iteratorINS7_10device_ptrIsEEEESJ_S9_S9_S9_S9_S9_S9_S9_S9_EEEEPSB_SM_NS0_5tupleIJNSE_INS8_ISJ_NS7_16discard_iteratorINS7_11use_defaultEEES9_S9_S9_S9_S9_S9_S9_S9_EEEESB_EEENSN_IJSM_SM_EEESB_PlJNSF_9not_fun_tINSF_14equal_to_valueISA_EEEEEEE10hipError_tPvRmT3_T4_T5_T6_T7_T9_mT8_P12ihipStream_tbDpT10_ENKUlT_T0_E_clISt17integral_constantIbLb0EES1I_IbLb1EEEEDaS1E_S1F_EUlS1E_E_NS1_11comp_targetILNS1_3genE0ELNS1_11target_archE4294967295ELNS1_3gpuE0ELNS1_3repE0EEENS1_30default_config_static_selectorELNS0_4arch9wavefront6targetE0EEEvT1_,comdat
.Lfunc_end2069:
	.size	_ZN7rocprim17ROCPRIM_400000_NS6detail17trampoline_kernelINS0_14default_configENS1_25partition_config_selectorILNS1_17partition_subalgoE6EN6thrust23THRUST_200600_302600_NS5tupleIssNS7_9null_typeES9_S9_S9_S9_S9_S9_S9_EENS0_10empty_typeEbEEZZNS1_14partition_implILS5_6ELb0ES3_mNS7_12zip_iteratorINS8_INS7_6detail15normal_iteratorINS7_10device_ptrIsEEEESJ_S9_S9_S9_S9_S9_S9_S9_S9_EEEEPSB_SM_NS0_5tupleIJNSE_INS8_ISJ_NS7_16discard_iteratorINS7_11use_defaultEEES9_S9_S9_S9_S9_S9_S9_S9_EEEESB_EEENSN_IJSM_SM_EEESB_PlJNSF_9not_fun_tINSF_14equal_to_valueISA_EEEEEEE10hipError_tPvRmT3_T4_T5_T6_T7_T9_mT8_P12ihipStream_tbDpT10_ENKUlT_T0_E_clISt17integral_constantIbLb0EES1I_IbLb1EEEEDaS1E_S1F_EUlS1E_E_NS1_11comp_targetILNS1_3genE0ELNS1_11target_archE4294967295ELNS1_3gpuE0ELNS1_3repE0EEENS1_30default_config_static_selectorELNS0_4arch9wavefront6targetE0EEEvT1_, .Lfunc_end2069-_ZN7rocprim17ROCPRIM_400000_NS6detail17trampoline_kernelINS0_14default_configENS1_25partition_config_selectorILNS1_17partition_subalgoE6EN6thrust23THRUST_200600_302600_NS5tupleIssNS7_9null_typeES9_S9_S9_S9_S9_S9_S9_EENS0_10empty_typeEbEEZZNS1_14partition_implILS5_6ELb0ES3_mNS7_12zip_iteratorINS8_INS7_6detail15normal_iteratorINS7_10device_ptrIsEEEESJ_S9_S9_S9_S9_S9_S9_S9_S9_EEEEPSB_SM_NS0_5tupleIJNSE_INS8_ISJ_NS7_16discard_iteratorINS7_11use_defaultEEES9_S9_S9_S9_S9_S9_S9_S9_EEEESB_EEENSN_IJSM_SM_EEESB_PlJNSF_9not_fun_tINSF_14equal_to_valueISA_EEEEEEE10hipError_tPvRmT3_T4_T5_T6_T7_T9_mT8_P12ihipStream_tbDpT10_ENKUlT_T0_E_clISt17integral_constantIbLb0EES1I_IbLb1EEEEDaS1E_S1F_EUlS1E_E_NS1_11comp_targetILNS1_3genE0ELNS1_11target_archE4294967295ELNS1_3gpuE0ELNS1_3repE0EEENS1_30default_config_static_selectorELNS0_4arch9wavefront6targetE0EEEvT1_
                                        ; -- End function
	.set _ZN7rocprim17ROCPRIM_400000_NS6detail17trampoline_kernelINS0_14default_configENS1_25partition_config_selectorILNS1_17partition_subalgoE6EN6thrust23THRUST_200600_302600_NS5tupleIssNS7_9null_typeES9_S9_S9_S9_S9_S9_S9_EENS0_10empty_typeEbEEZZNS1_14partition_implILS5_6ELb0ES3_mNS7_12zip_iteratorINS8_INS7_6detail15normal_iteratorINS7_10device_ptrIsEEEESJ_S9_S9_S9_S9_S9_S9_S9_S9_EEEEPSB_SM_NS0_5tupleIJNSE_INS8_ISJ_NS7_16discard_iteratorINS7_11use_defaultEEES9_S9_S9_S9_S9_S9_S9_S9_EEEESB_EEENSN_IJSM_SM_EEESB_PlJNSF_9not_fun_tINSF_14equal_to_valueISA_EEEEEEE10hipError_tPvRmT3_T4_T5_T6_T7_T9_mT8_P12ihipStream_tbDpT10_ENKUlT_T0_E_clISt17integral_constantIbLb0EES1I_IbLb1EEEEDaS1E_S1F_EUlS1E_E_NS1_11comp_targetILNS1_3genE0ELNS1_11target_archE4294967295ELNS1_3gpuE0ELNS1_3repE0EEENS1_30default_config_static_selectorELNS0_4arch9wavefront6targetE0EEEvT1_.num_vgpr, 0
	.set _ZN7rocprim17ROCPRIM_400000_NS6detail17trampoline_kernelINS0_14default_configENS1_25partition_config_selectorILNS1_17partition_subalgoE6EN6thrust23THRUST_200600_302600_NS5tupleIssNS7_9null_typeES9_S9_S9_S9_S9_S9_S9_EENS0_10empty_typeEbEEZZNS1_14partition_implILS5_6ELb0ES3_mNS7_12zip_iteratorINS8_INS7_6detail15normal_iteratorINS7_10device_ptrIsEEEESJ_S9_S9_S9_S9_S9_S9_S9_S9_EEEEPSB_SM_NS0_5tupleIJNSE_INS8_ISJ_NS7_16discard_iteratorINS7_11use_defaultEEES9_S9_S9_S9_S9_S9_S9_S9_EEEESB_EEENSN_IJSM_SM_EEESB_PlJNSF_9not_fun_tINSF_14equal_to_valueISA_EEEEEEE10hipError_tPvRmT3_T4_T5_T6_T7_T9_mT8_P12ihipStream_tbDpT10_ENKUlT_T0_E_clISt17integral_constantIbLb0EES1I_IbLb1EEEEDaS1E_S1F_EUlS1E_E_NS1_11comp_targetILNS1_3genE0ELNS1_11target_archE4294967295ELNS1_3gpuE0ELNS1_3repE0EEENS1_30default_config_static_selectorELNS0_4arch9wavefront6targetE0EEEvT1_.num_agpr, 0
	.set _ZN7rocprim17ROCPRIM_400000_NS6detail17trampoline_kernelINS0_14default_configENS1_25partition_config_selectorILNS1_17partition_subalgoE6EN6thrust23THRUST_200600_302600_NS5tupleIssNS7_9null_typeES9_S9_S9_S9_S9_S9_S9_EENS0_10empty_typeEbEEZZNS1_14partition_implILS5_6ELb0ES3_mNS7_12zip_iteratorINS8_INS7_6detail15normal_iteratorINS7_10device_ptrIsEEEESJ_S9_S9_S9_S9_S9_S9_S9_S9_EEEEPSB_SM_NS0_5tupleIJNSE_INS8_ISJ_NS7_16discard_iteratorINS7_11use_defaultEEES9_S9_S9_S9_S9_S9_S9_S9_EEEESB_EEENSN_IJSM_SM_EEESB_PlJNSF_9not_fun_tINSF_14equal_to_valueISA_EEEEEEE10hipError_tPvRmT3_T4_T5_T6_T7_T9_mT8_P12ihipStream_tbDpT10_ENKUlT_T0_E_clISt17integral_constantIbLb0EES1I_IbLb1EEEEDaS1E_S1F_EUlS1E_E_NS1_11comp_targetILNS1_3genE0ELNS1_11target_archE4294967295ELNS1_3gpuE0ELNS1_3repE0EEENS1_30default_config_static_selectorELNS0_4arch9wavefront6targetE0EEEvT1_.numbered_sgpr, 0
	.set _ZN7rocprim17ROCPRIM_400000_NS6detail17trampoline_kernelINS0_14default_configENS1_25partition_config_selectorILNS1_17partition_subalgoE6EN6thrust23THRUST_200600_302600_NS5tupleIssNS7_9null_typeES9_S9_S9_S9_S9_S9_S9_EENS0_10empty_typeEbEEZZNS1_14partition_implILS5_6ELb0ES3_mNS7_12zip_iteratorINS8_INS7_6detail15normal_iteratorINS7_10device_ptrIsEEEESJ_S9_S9_S9_S9_S9_S9_S9_S9_EEEEPSB_SM_NS0_5tupleIJNSE_INS8_ISJ_NS7_16discard_iteratorINS7_11use_defaultEEES9_S9_S9_S9_S9_S9_S9_S9_EEEESB_EEENSN_IJSM_SM_EEESB_PlJNSF_9not_fun_tINSF_14equal_to_valueISA_EEEEEEE10hipError_tPvRmT3_T4_T5_T6_T7_T9_mT8_P12ihipStream_tbDpT10_ENKUlT_T0_E_clISt17integral_constantIbLb0EES1I_IbLb1EEEEDaS1E_S1F_EUlS1E_E_NS1_11comp_targetILNS1_3genE0ELNS1_11target_archE4294967295ELNS1_3gpuE0ELNS1_3repE0EEENS1_30default_config_static_selectorELNS0_4arch9wavefront6targetE0EEEvT1_.num_named_barrier, 0
	.set _ZN7rocprim17ROCPRIM_400000_NS6detail17trampoline_kernelINS0_14default_configENS1_25partition_config_selectorILNS1_17partition_subalgoE6EN6thrust23THRUST_200600_302600_NS5tupleIssNS7_9null_typeES9_S9_S9_S9_S9_S9_S9_EENS0_10empty_typeEbEEZZNS1_14partition_implILS5_6ELb0ES3_mNS7_12zip_iteratorINS8_INS7_6detail15normal_iteratorINS7_10device_ptrIsEEEESJ_S9_S9_S9_S9_S9_S9_S9_S9_EEEEPSB_SM_NS0_5tupleIJNSE_INS8_ISJ_NS7_16discard_iteratorINS7_11use_defaultEEES9_S9_S9_S9_S9_S9_S9_S9_EEEESB_EEENSN_IJSM_SM_EEESB_PlJNSF_9not_fun_tINSF_14equal_to_valueISA_EEEEEEE10hipError_tPvRmT3_T4_T5_T6_T7_T9_mT8_P12ihipStream_tbDpT10_ENKUlT_T0_E_clISt17integral_constantIbLb0EES1I_IbLb1EEEEDaS1E_S1F_EUlS1E_E_NS1_11comp_targetILNS1_3genE0ELNS1_11target_archE4294967295ELNS1_3gpuE0ELNS1_3repE0EEENS1_30default_config_static_selectorELNS0_4arch9wavefront6targetE0EEEvT1_.private_seg_size, 0
	.set _ZN7rocprim17ROCPRIM_400000_NS6detail17trampoline_kernelINS0_14default_configENS1_25partition_config_selectorILNS1_17partition_subalgoE6EN6thrust23THRUST_200600_302600_NS5tupleIssNS7_9null_typeES9_S9_S9_S9_S9_S9_S9_EENS0_10empty_typeEbEEZZNS1_14partition_implILS5_6ELb0ES3_mNS7_12zip_iteratorINS8_INS7_6detail15normal_iteratorINS7_10device_ptrIsEEEESJ_S9_S9_S9_S9_S9_S9_S9_S9_EEEEPSB_SM_NS0_5tupleIJNSE_INS8_ISJ_NS7_16discard_iteratorINS7_11use_defaultEEES9_S9_S9_S9_S9_S9_S9_S9_EEEESB_EEENSN_IJSM_SM_EEESB_PlJNSF_9not_fun_tINSF_14equal_to_valueISA_EEEEEEE10hipError_tPvRmT3_T4_T5_T6_T7_T9_mT8_P12ihipStream_tbDpT10_ENKUlT_T0_E_clISt17integral_constantIbLb0EES1I_IbLb1EEEEDaS1E_S1F_EUlS1E_E_NS1_11comp_targetILNS1_3genE0ELNS1_11target_archE4294967295ELNS1_3gpuE0ELNS1_3repE0EEENS1_30default_config_static_selectorELNS0_4arch9wavefront6targetE0EEEvT1_.uses_vcc, 0
	.set _ZN7rocprim17ROCPRIM_400000_NS6detail17trampoline_kernelINS0_14default_configENS1_25partition_config_selectorILNS1_17partition_subalgoE6EN6thrust23THRUST_200600_302600_NS5tupleIssNS7_9null_typeES9_S9_S9_S9_S9_S9_S9_EENS0_10empty_typeEbEEZZNS1_14partition_implILS5_6ELb0ES3_mNS7_12zip_iteratorINS8_INS7_6detail15normal_iteratorINS7_10device_ptrIsEEEESJ_S9_S9_S9_S9_S9_S9_S9_S9_EEEEPSB_SM_NS0_5tupleIJNSE_INS8_ISJ_NS7_16discard_iteratorINS7_11use_defaultEEES9_S9_S9_S9_S9_S9_S9_S9_EEEESB_EEENSN_IJSM_SM_EEESB_PlJNSF_9not_fun_tINSF_14equal_to_valueISA_EEEEEEE10hipError_tPvRmT3_T4_T5_T6_T7_T9_mT8_P12ihipStream_tbDpT10_ENKUlT_T0_E_clISt17integral_constantIbLb0EES1I_IbLb1EEEEDaS1E_S1F_EUlS1E_E_NS1_11comp_targetILNS1_3genE0ELNS1_11target_archE4294967295ELNS1_3gpuE0ELNS1_3repE0EEENS1_30default_config_static_selectorELNS0_4arch9wavefront6targetE0EEEvT1_.uses_flat_scratch, 0
	.set _ZN7rocprim17ROCPRIM_400000_NS6detail17trampoline_kernelINS0_14default_configENS1_25partition_config_selectorILNS1_17partition_subalgoE6EN6thrust23THRUST_200600_302600_NS5tupleIssNS7_9null_typeES9_S9_S9_S9_S9_S9_S9_EENS0_10empty_typeEbEEZZNS1_14partition_implILS5_6ELb0ES3_mNS7_12zip_iteratorINS8_INS7_6detail15normal_iteratorINS7_10device_ptrIsEEEESJ_S9_S9_S9_S9_S9_S9_S9_S9_EEEEPSB_SM_NS0_5tupleIJNSE_INS8_ISJ_NS7_16discard_iteratorINS7_11use_defaultEEES9_S9_S9_S9_S9_S9_S9_S9_EEEESB_EEENSN_IJSM_SM_EEESB_PlJNSF_9not_fun_tINSF_14equal_to_valueISA_EEEEEEE10hipError_tPvRmT3_T4_T5_T6_T7_T9_mT8_P12ihipStream_tbDpT10_ENKUlT_T0_E_clISt17integral_constantIbLb0EES1I_IbLb1EEEEDaS1E_S1F_EUlS1E_E_NS1_11comp_targetILNS1_3genE0ELNS1_11target_archE4294967295ELNS1_3gpuE0ELNS1_3repE0EEENS1_30default_config_static_selectorELNS0_4arch9wavefront6targetE0EEEvT1_.has_dyn_sized_stack, 0
	.set _ZN7rocprim17ROCPRIM_400000_NS6detail17trampoline_kernelINS0_14default_configENS1_25partition_config_selectorILNS1_17partition_subalgoE6EN6thrust23THRUST_200600_302600_NS5tupleIssNS7_9null_typeES9_S9_S9_S9_S9_S9_S9_EENS0_10empty_typeEbEEZZNS1_14partition_implILS5_6ELb0ES3_mNS7_12zip_iteratorINS8_INS7_6detail15normal_iteratorINS7_10device_ptrIsEEEESJ_S9_S9_S9_S9_S9_S9_S9_S9_EEEEPSB_SM_NS0_5tupleIJNSE_INS8_ISJ_NS7_16discard_iteratorINS7_11use_defaultEEES9_S9_S9_S9_S9_S9_S9_S9_EEEESB_EEENSN_IJSM_SM_EEESB_PlJNSF_9not_fun_tINSF_14equal_to_valueISA_EEEEEEE10hipError_tPvRmT3_T4_T5_T6_T7_T9_mT8_P12ihipStream_tbDpT10_ENKUlT_T0_E_clISt17integral_constantIbLb0EES1I_IbLb1EEEEDaS1E_S1F_EUlS1E_E_NS1_11comp_targetILNS1_3genE0ELNS1_11target_archE4294967295ELNS1_3gpuE0ELNS1_3repE0EEENS1_30default_config_static_selectorELNS0_4arch9wavefront6targetE0EEEvT1_.has_recursion, 0
	.set _ZN7rocprim17ROCPRIM_400000_NS6detail17trampoline_kernelINS0_14default_configENS1_25partition_config_selectorILNS1_17partition_subalgoE6EN6thrust23THRUST_200600_302600_NS5tupleIssNS7_9null_typeES9_S9_S9_S9_S9_S9_S9_EENS0_10empty_typeEbEEZZNS1_14partition_implILS5_6ELb0ES3_mNS7_12zip_iteratorINS8_INS7_6detail15normal_iteratorINS7_10device_ptrIsEEEESJ_S9_S9_S9_S9_S9_S9_S9_S9_EEEEPSB_SM_NS0_5tupleIJNSE_INS8_ISJ_NS7_16discard_iteratorINS7_11use_defaultEEES9_S9_S9_S9_S9_S9_S9_S9_EEEESB_EEENSN_IJSM_SM_EEESB_PlJNSF_9not_fun_tINSF_14equal_to_valueISA_EEEEEEE10hipError_tPvRmT3_T4_T5_T6_T7_T9_mT8_P12ihipStream_tbDpT10_ENKUlT_T0_E_clISt17integral_constantIbLb0EES1I_IbLb1EEEEDaS1E_S1F_EUlS1E_E_NS1_11comp_targetILNS1_3genE0ELNS1_11target_archE4294967295ELNS1_3gpuE0ELNS1_3repE0EEENS1_30default_config_static_selectorELNS0_4arch9wavefront6targetE0EEEvT1_.has_indirect_call, 0
	.section	.AMDGPU.csdata,"",@progbits
; Kernel info:
; codeLenInByte = 0
; TotalNumSgprs: 0
; NumVgprs: 0
; ScratchSize: 0
; MemoryBound: 0
; FloatMode: 240
; IeeeMode: 1
; LDSByteSize: 0 bytes/workgroup (compile time only)
; SGPRBlocks: 0
; VGPRBlocks: 0
; NumSGPRsForWavesPerEU: 1
; NumVGPRsForWavesPerEU: 1
; Occupancy: 16
; WaveLimiterHint : 0
; COMPUTE_PGM_RSRC2:SCRATCH_EN: 0
; COMPUTE_PGM_RSRC2:USER_SGPR: 2
; COMPUTE_PGM_RSRC2:TRAP_HANDLER: 0
; COMPUTE_PGM_RSRC2:TGID_X_EN: 1
; COMPUTE_PGM_RSRC2:TGID_Y_EN: 0
; COMPUTE_PGM_RSRC2:TGID_Z_EN: 0
; COMPUTE_PGM_RSRC2:TIDIG_COMP_CNT: 0
	.section	.text._ZN7rocprim17ROCPRIM_400000_NS6detail17trampoline_kernelINS0_14default_configENS1_25partition_config_selectorILNS1_17partition_subalgoE6EN6thrust23THRUST_200600_302600_NS5tupleIssNS7_9null_typeES9_S9_S9_S9_S9_S9_S9_EENS0_10empty_typeEbEEZZNS1_14partition_implILS5_6ELb0ES3_mNS7_12zip_iteratorINS8_INS7_6detail15normal_iteratorINS7_10device_ptrIsEEEESJ_S9_S9_S9_S9_S9_S9_S9_S9_EEEEPSB_SM_NS0_5tupleIJNSE_INS8_ISJ_NS7_16discard_iteratorINS7_11use_defaultEEES9_S9_S9_S9_S9_S9_S9_S9_EEEESB_EEENSN_IJSM_SM_EEESB_PlJNSF_9not_fun_tINSF_14equal_to_valueISA_EEEEEEE10hipError_tPvRmT3_T4_T5_T6_T7_T9_mT8_P12ihipStream_tbDpT10_ENKUlT_T0_E_clISt17integral_constantIbLb0EES1I_IbLb1EEEEDaS1E_S1F_EUlS1E_E_NS1_11comp_targetILNS1_3genE5ELNS1_11target_archE942ELNS1_3gpuE9ELNS1_3repE0EEENS1_30default_config_static_selectorELNS0_4arch9wavefront6targetE0EEEvT1_,"axG",@progbits,_ZN7rocprim17ROCPRIM_400000_NS6detail17trampoline_kernelINS0_14default_configENS1_25partition_config_selectorILNS1_17partition_subalgoE6EN6thrust23THRUST_200600_302600_NS5tupleIssNS7_9null_typeES9_S9_S9_S9_S9_S9_S9_EENS0_10empty_typeEbEEZZNS1_14partition_implILS5_6ELb0ES3_mNS7_12zip_iteratorINS8_INS7_6detail15normal_iteratorINS7_10device_ptrIsEEEESJ_S9_S9_S9_S9_S9_S9_S9_S9_EEEEPSB_SM_NS0_5tupleIJNSE_INS8_ISJ_NS7_16discard_iteratorINS7_11use_defaultEEES9_S9_S9_S9_S9_S9_S9_S9_EEEESB_EEENSN_IJSM_SM_EEESB_PlJNSF_9not_fun_tINSF_14equal_to_valueISA_EEEEEEE10hipError_tPvRmT3_T4_T5_T6_T7_T9_mT8_P12ihipStream_tbDpT10_ENKUlT_T0_E_clISt17integral_constantIbLb0EES1I_IbLb1EEEEDaS1E_S1F_EUlS1E_E_NS1_11comp_targetILNS1_3genE5ELNS1_11target_archE942ELNS1_3gpuE9ELNS1_3repE0EEENS1_30default_config_static_selectorELNS0_4arch9wavefront6targetE0EEEvT1_,comdat
	.protected	_ZN7rocprim17ROCPRIM_400000_NS6detail17trampoline_kernelINS0_14default_configENS1_25partition_config_selectorILNS1_17partition_subalgoE6EN6thrust23THRUST_200600_302600_NS5tupleIssNS7_9null_typeES9_S9_S9_S9_S9_S9_S9_EENS0_10empty_typeEbEEZZNS1_14partition_implILS5_6ELb0ES3_mNS7_12zip_iteratorINS8_INS7_6detail15normal_iteratorINS7_10device_ptrIsEEEESJ_S9_S9_S9_S9_S9_S9_S9_S9_EEEEPSB_SM_NS0_5tupleIJNSE_INS8_ISJ_NS7_16discard_iteratorINS7_11use_defaultEEES9_S9_S9_S9_S9_S9_S9_S9_EEEESB_EEENSN_IJSM_SM_EEESB_PlJNSF_9not_fun_tINSF_14equal_to_valueISA_EEEEEEE10hipError_tPvRmT3_T4_T5_T6_T7_T9_mT8_P12ihipStream_tbDpT10_ENKUlT_T0_E_clISt17integral_constantIbLb0EES1I_IbLb1EEEEDaS1E_S1F_EUlS1E_E_NS1_11comp_targetILNS1_3genE5ELNS1_11target_archE942ELNS1_3gpuE9ELNS1_3repE0EEENS1_30default_config_static_selectorELNS0_4arch9wavefront6targetE0EEEvT1_ ; -- Begin function _ZN7rocprim17ROCPRIM_400000_NS6detail17trampoline_kernelINS0_14default_configENS1_25partition_config_selectorILNS1_17partition_subalgoE6EN6thrust23THRUST_200600_302600_NS5tupleIssNS7_9null_typeES9_S9_S9_S9_S9_S9_S9_EENS0_10empty_typeEbEEZZNS1_14partition_implILS5_6ELb0ES3_mNS7_12zip_iteratorINS8_INS7_6detail15normal_iteratorINS7_10device_ptrIsEEEESJ_S9_S9_S9_S9_S9_S9_S9_S9_EEEEPSB_SM_NS0_5tupleIJNSE_INS8_ISJ_NS7_16discard_iteratorINS7_11use_defaultEEES9_S9_S9_S9_S9_S9_S9_S9_EEEESB_EEENSN_IJSM_SM_EEESB_PlJNSF_9not_fun_tINSF_14equal_to_valueISA_EEEEEEE10hipError_tPvRmT3_T4_T5_T6_T7_T9_mT8_P12ihipStream_tbDpT10_ENKUlT_T0_E_clISt17integral_constantIbLb0EES1I_IbLb1EEEEDaS1E_S1F_EUlS1E_E_NS1_11comp_targetILNS1_3genE5ELNS1_11target_archE942ELNS1_3gpuE9ELNS1_3repE0EEENS1_30default_config_static_selectorELNS0_4arch9wavefront6targetE0EEEvT1_
	.globl	_ZN7rocprim17ROCPRIM_400000_NS6detail17trampoline_kernelINS0_14default_configENS1_25partition_config_selectorILNS1_17partition_subalgoE6EN6thrust23THRUST_200600_302600_NS5tupleIssNS7_9null_typeES9_S9_S9_S9_S9_S9_S9_EENS0_10empty_typeEbEEZZNS1_14partition_implILS5_6ELb0ES3_mNS7_12zip_iteratorINS8_INS7_6detail15normal_iteratorINS7_10device_ptrIsEEEESJ_S9_S9_S9_S9_S9_S9_S9_S9_EEEEPSB_SM_NS0_5tupleIJNSE_INS8_ISJ_NS7_16discard_iteratorINS7_11use_defaultEEES9_S9_S9_S9_S9_S9_S9_S9_EEEESB_EEENSN_IJSM_SM_EEESB_PlJNSF_9not_fun_tINSF_14equal_to_valueISA_EEEEEEE10hipError_tPvRmT3_T4_T5_T6_T7_T9_mT8_P12ihipStream_tbDpT10_ENKUlT_T0_E_clISt17integral_constantIbLb0EES1I_IbLb1EEEEDaS1E_S1F_EUlS1E_E_NS1_11comp_targetILNS1_3genE5ELNS1_11target_archE942ELNS1_3gpuE9ELNS1_3repE0EEENS1_30default_config_static_selectorELNS0_4arch9wavefront6targetE0EEEvT1_
	.p2align	8
	.type	_ZN7rocprim17ROCPRIM_400000_NS6detail17trampoline_kernelINS0_14default_configENS1_25partition_config_selectorILNS1_17partition_subalgoE6EN6thrust23THRUST_200600_302600_NS5tupleIssNS7_9null_typeES9_S9_S9_S9_S9_S9_S9_EENS0_10empty_typeEbEEZZNS1_14partition_implILS5_6ELb0ES3_mNS7_12zip_iteratorINS8_INS7_6detail15normal_iteratorINS7_10device_ptrIsEEEESJ_S9_S9_S9_S9_S9_S9_S9_S9_EEEEPSB_SM_NS0_5tupleIJNSE_INS8_ISJ_NS7_16discard_iteratorINS7_11use_defaultEEES9_S9_S9_S9_S9_S9_S9_S9_EEEESB_EEENSN_IJSM_SM_EEESB_PlJNSF_9not_fun_tINSF_14equal_to_valueISA_EEEEEEE10hipError_tPvRmT3_T4_T5_T6_T7_T9_mT8_P12ihipStream_tbDpT10_ENKUlT_T0_E_clISt17integral_constantIbLb0EES1I_IbLb1EEEEDaS1E_S1F_EUlS1E_E_NS1_11comp_targetILNS1_3genE5ELNS1_11target_archE942ELNS1_3gpuE9ELNS1_3repE0EEENS1_30default_config_static_selectorELNS0_4arch9wavefront6targetE0EEEvT1_,@function
_ZN7rocprim17ROCPRIM_400000_NS6detail17trampoline_kernelINS0_14default_configENS1_25partition_config_selectorILNS1_17partition_subalgoE6EN6thrust23THRUST_200600_302600_NS5tupleIssNS7_9null_typeES9_S9_S9_S9_S9_S9_S9_EENS0_10empty_typeEbEEZZNS1_14partition_implILS5_6ELb0ES3_mNS7_12zip_iteratorINS8_INS7_6detail15normal_iteratorINS7_10device_ptrIsEEEESJ_S9_S9_S9_S9_S9_S9_S9_S9_EEEEPSB_SM_NS0_5tupleIJNSE_INS8_ISJ_NS7_16discard_iteratorINS7_11use_defaultEEES9_S9_S9_S9_S9_S9_S9_S9_EEEESB_EEENSN_IJSM_SM_EEESB_PlJNSF_9not_fun_tINSF_14equal_to_valueISA_EEEEEEE10hipError_tPvRmT3_T4_T5_T6_T7_T9_mT8_P12ihipStream_tbDpT10_ENKUlT_T0_E_clISt17integral_constantIbLb0EES1I_IbLb1EEEEDaS1E_S1F_EUlS1E_E_NS1_11comp_targetILNS1_3genE5ELNS1_11target_archE942ELNS1_3gpuE9ELNS1_3repE0EEENS1_30default_config_static_selectorELNS0_4arch9wavefront6targetE0EEEvT1_: ; @_ZN7rocprim17ROCPRIM_400000_NS6detail17trampoline_kernelINS0_14default_configENS1_25partition_config_selectorILNS1_17partition_subalgoE6EN6thrust23THRUST_200600_302600_NS5tupleIssNS7_9null_typeES9_S9_S9_S9_S9_S9_S9_EENS0_10empty_typeEbEEZZNS1_14partition_implILS5_6ELb0ES3_mNS7_12zip_iteratorINS8_INS7_6detail15normal_iteratorINS7_10device_ptrIsEEEESJ_S9_S9_S9_S9_S9_S9_S9_S9_EEEEPSB_SM_NS0_5tupleIJNSE_INS8_ISJ_NS7_16discard_iteratorINS7_11use_defaultEEES9_S9_S9_S9_S9_S9_S9_S9_EEEESB_EEENSN_IJSM_SM_EEESB_PlJNSF_9not_fun_tINSF_14equal_to_valueISA_EEEEEEE10hipError_tPvRmT3_T4_T5_T6_T7_T9_mT8_P12ihipStream_tbDpT10_ENKUlT_T0_E_clISt17integral_constantIbLb0EES1I_IbLb1EEEEDaS1E_S1F_EUlS1E_E_NS1_11comp_targetILNS1_3genE5ELNS1_11target_archE942ELNS1_3gpuE9ELNS1_3repE0EEENS1_30default_config_static_selectorELNS0_4arch9wavefront6targetE0EEEvT1_
; %bb.0:
	.section	.rodata,"a",@progbits
	.p2align	6, 0x0
	.amdhsa_kernel _ZN7rocprim17ROCPRIM_400000_NS6detail17trampoline_kernelINS0_14default_configENS1_25partition_config_selectorILNS1_17partition_subalgoE6EN6thrust23THRUST_200600_302600_NS5tupleIssNS7_9null_typeES9_S9_S9_S9_S9_S9_S9_EENS0_10empty_typeEbEEZZNS1_14partition_implILS5_6ELb0ES3_mNS7_12zip_iteratorINS8_INS7_6detail15normal_iteratorINS7_10device_ptrIsEEEESJ_S9_S9_S9_S9_S9_S9_S9_S9_EEEEPSB_SM_NS0_5tupleIJNSE_INS8_ISJ_NS7_16discard_iteratorINS7_11use_defaultEEES9_S9_S9_S9_S9_S9_S9_S9_EEEESB_EEENSN_IJSM_SM_EEESB_PlJNSF_9not_fun_tINSF_14equal_to_valueISA_EEEEEEE10hipError_tPvRmT3_T4_T5_T6_T7_T9_mT8_P12ihipStream_tbDpT10_ENKUlT_T0_E_clISt17integral_constantIbLb0EES1I_IbLb1EEEEDaS1E_S1F_EUlS1E_E_NS1_11comp_targetILNS1_3genE5ELNS1_11target_archE942ELNS1_3gpuE9ELNS1_3repE0EEENS1_30default_config_static_selectorELNS0_4arch9wavefront6targetE0EEEvT1_
		.amdhsa_group_segment_fixed_size 0
		.amdhsa_private_segment_fixed_size 0
		.amdhsa_kernarg_size 152
		.amdhsa_user_sgpr_count 2
		.amdhsa_user_sgpr_dispatch_ptr 0
		.amdhsa_user_sgpr_queue_ptr 0
		.amdhsa_user_sgpr_kernarg_segment_ptr 1
		.amdhsa_user_sgpr_dispatch_id 0
		.amdhsa_user_sgpr_private_segment_size 0
		.amdhsa_wavefront_size32 1
		.amdhsa_uses_dynamic_stack 0
		.amdhsa_enable_private_segment 0
		.amdhsa_system_sgpr_workgroup_id_x 1
		.amdhsa_system_sgpr_workgroup_id_y 0
		.amdhsa_system_sgpr_workgroup_id_z 0
		.amdhsa_system_sgpr_workgroup_info 0
		.amdhsa_system_vgpr_workitem_id 0
		.amdhsa_next_free_vgpr 1
		.amdhsa_next_free_sgpr 1
		.amdhsa_reserve_vcc 0
		.amdhsa_float_round_mode_32 0
		.amdhsa_float_round_mode_16_64 0
		.amdhsa_float_denorm_mode_32 3
		.amdhsa_float_denorm_mode_16_64 3
		.amdhsa_fp16_overflow 0
		.amdhsa_workgroup_processor_mode 1
		.amdhsa_memory_ordered 1
		.amdhsa_forward_progress 1
		.amdhsa_inst_pref_size 0
		.amdhsa_round_robin_scheduling 0
		.amdhsa_exception_fp_ieee_invalid_op 0
		.amdhsa_exception_fp_denorm_src 0
		.amdhsa_exception_fp_ieee_div_zero 0
		.amdhsa_exception_fp_ieee_overflow 0
		.amdhsa_exception_fp_ieee_underflow 0
		.amdhsa_exception_fp_ieee_inexact 0
		.amdhsa_exception_int_div_zero 0
	.end_amdhsa_kernel
	.section	.text._ZN7rocprim17ROCPRIM_400000_NS6detail17trampoline_kernelINS0_14default_configENS1_25partition_config_selectorILNS1_17partition_subalgoE6EN6thrust23THRUST_200600_302600_NS5tupleIssNS7_9null_typeES9_S9_S9_S9_S9_S9_S9_EENS0_10empty_typeEbEEZZNS1_14partition_implILS5_6ELb0ES3_mNS7_12zip_iteratorINS8_INS7_6detail15normal_iteratorINS7_10device_ptrIsEEEESJ_S9_S9_S9_S9_S9_S9_S9_S9_EEEEPSB_SM_NS0_5tupleIJNSE_INS8_ISJ_NS7_16discard_iteratorINS7_11use_defaultEEES9_S9_S9_S9_S9_S9_S9_S9_EEEESB_EEENSN_IJSM_SM_EEESB_PlJNSF_9not_fun_tINSF_14equal_to_valueISA_EEEEEEE10hipError_tPvRmT3_T4_T5_T6_T7_T9_mT8_P12ihipStream_tbDpT10_ENKUlT_T0_E_clISt17integral_constantIbLb0EES1I_IbLb1EEEEDaS1E_S1F_EUlS1E_E_NS1_11comp_targetILNS1_3genE5ELNS1_11target_archE942ELNS1_3gpuE9ELNS1_3repE0EEENS1_30default_config_static_selectorELNS0_4arch9wavefront6targetE0EEEvT1_,"axG",@progbits,_ZN7rocprim17ROCPRIM_400000_NS6detail17trampoline_kernelINS0_14default_configENS1_25partition_config_selectorILNS1_17partition_subalgoE6EN6thrust23THRUST_200600_302600_NS5tupleIssNS7_9null_typeES9_S9_S9_S9_S9_S9_S9_EENS0_10empty_typeEbEEZZNS1_14partition_implILS5_6ELb0ES3_mNS7_12zip_iteratorINS8_INS7_6detail15normal_iteratorINS7_10device_ptrIsEEEESJ_S9_S9_S9_S9_S9_S9_S9_S9_EEEEPSB_SM_NS0_5tupleIJNSE_INS8_ISJ_NS7_16discard_iteratorINS7_11use_defaultEEES9_S9_S9_S9_S9_S9_S9_S9_EEEESB_EEENSN_IJSM_SM_EEESB_PlJNSF_9not_fun_tINSF_14equal_to_valueISA_EEEEEEE10hipError_tPvRmT3_T4_T5_T6_T7_T9_mT8_P12ihipStream_tbDpT10_ENKUlT_T0_E_clISt17integral_constantIbLb0EES1I_IbLb1EEEEDaS1E_S1F_EUlS1E_E_NS1_11comp_targetILNS1_3genE5ELNS1_11target_archE942ELNS1_3gpuE9ELNS1_3repE0EEENS1_30default_config_static_selectorELNS0_4arch9wavefront6targetE0EEEvT1_,comdat
.Lfunc_end2070:
	.size	_ZN7rocprim17ROCPRIM_400000_NS6detail17trampoline_kernelINS0_14default_configENS1_25partition_config_selectorILNS1_17partition_subalgoE6EN6thrust23THRUST_200600_302600_NS5tupleIssNS7_9null_typeES9_S9_S9_S9_S9_S9_S9_EENS0_10empty_typeEbEEZZNS1_14partition_implILS5_6ELb0ES3_mNS7_12zip_iteratorINS8_INS7_6detail15normal_iteratorINS7_10device_ptrIsEEEESJ_S9_S9_S9_S9_S9_S9_S9_S9_EEEEPSB_SM_NS0_5tupleIJNSE_INS8_ISJ_NS7_16discard_iteratorINS7_11use_defaultEEES9_S9_S9_S9_S9_S9_S9_S9_EEEESB_EEENSN_IJSM_SM_EEESB_PlJNSF_9not_fun_tINSF_14equal_to_valueISA_EEEEEEE10hipError_tPvRmT3_T4_T5_T6_T7_T9_mT8_P12ihipStream_tbDpT10_ENKUlT_T0_E_clISt17integral_constantIbLb0EES1I_IbLb1EEEEDaS1E_S1F_EUlS1E_E_NS1_11comp_targetILNS1_3genE5ELNS1_11target_archE942ELNS1_3gpuE9ELNS1_3repE0EEENS1_30default_config_static_selectorELNS0_4arch9wavefront6targetE0EEEvT1_, .Lfunc_end2070-_ZN7rocprim17ROCPRIM_400000_NS6detail17trampoline_kernelINS0_14default_configENS1_25partition_config_selectorILNS1_17partition_subalgoE6EN6thrust23THRUST_200600_302600_NS5tupleIssNS7_9null_typeES9_S9_S9_S9_S9_S9_S9_EENS0_10empty_typeEbEEZZNS1_14partition_implILS5_6ELb0ES3_mNS7_12zip_iteratorINS8_INS7_6detail15normal_iteratorINS7_10device_ptrIsEEEESJ_S9_S9_S9_S9_S9_S9_S9_S9_EEEEPSB_SM_NS0_5tupleIJNSE_INS8_ISJ_NS7_16discard_iteratorINS7_11use_defaultEEES9_S9_S9_S9_S9_S9_S9_S9_EEEESB_EEENSN_IJSM_SM_EEESB_PlJNSF_9not_fun_tINSF_14equal_to_valueISA_EEEEEEE10hipError_tPvRmT3_T4_T5_T6_T7_T9_mT8_P12ihipStream_tbDpT10_ENKUlT_T0_E_clISt17integral_constantIbLb0EES1I_IbLb1EEEEDaS1E_S1F_EUlS1E_E_NS1_11comp_targetILNS1_3genE5ELNS1_11target_archE942ELNS1_3gpuE9ELNS1_3repE0EEENS1_30default_config_static_selectorELNS0_4arch9wavefront6targetE0EEEvT1_
                                        ; -- End function
	.set _ZN7rocprim17ROCPRIM_400000_NS6detail17trampoline_kernelINS0_14default_configENS1_25partition_config_selectorILNS1_17partition_subalgoE6EN6thrust23THRUST_200600_302600_NS5tupleIssNS7_9null_typeES9_S9_S9_S9_S9_S9_S9_EENS0_10empty_typeEbEEZZNS1_14partition_implILS5_6ELb0ES3_mNS7_12zip_iteratorINS8_INS7_6detail15normal_iteratorINS7_10device_ptrIsEEEESJ_S9_S9_S9_S9_S9_S9_S9_S9_EEEEPSB_SM_NS0_5tupleIJNSE_INS8_ISJ_NS7_16discard_iteratorINS7_11use_defaultEEES9_S9_S9_S9_S9_S9_S9_S9_EEEESB_EEENSN_IJSM_SM_EEESB_PlJNSF_9not_fun_tINSF_14equal_to_valueISA_EEEEEEE10hipError_tPvRmT3_T4_T5_T6_T7_T9_mT8_P12ihipStream_tbDpT10_ENKUlT_T0_E_clISt17integral_constantIbLb0EES1I_IbLb1EEEEDaS1E_S1F_EUlS1E_E_NS1_11comp_targetILNS1_3genE5ELNS1_11target_archE942ELNS1_3gpuE9ELNS1_3repE0EEENS1_30default_config_static_selectorELNS0_4arch9wavefront6targetE0EEEvT1_.num_vgpr, 0
	.set _ZN7rocprim17ROCPRIM_400000_NS6detail17trampoline_kernelINS0_14default_configENS1_25partition_config_selectorILNS1_17partition_subalgoE6EN6thrust23THRUST_200600_302600_NS5tupleIssNS7_9null_typeES9_S9_S9_S9_S9_S9_S9_EENS0_10empty_typeEbEEZZNS1_14partition_implILS5_6ELb0ES3_mNS7_12zip_iteratorINS8_INS7_6detail15normal_iteratorINS7_10device_ptrIsEEEESJ_S9_S9_S9_S9_S9_S9_S9_S9_EEEEPSB_SM_NS0_5tupleIJNSE_INS8_ISJ_NS7_16discard_iteratorINS7_11use_defaultEEES9_S9_S9_S9_S9_S9_S9_S9_EEEESB_EEENSN_IJSM_SM_EEESB_PlJNSF_9not_fun_tINSF_14equal_to_valueISA_EEEEEEE10hipError_tPvRmT3_T4_T5_T6_T7_T9_mT8_P12ihipStream_tbDpT10_ENKUlT_T0_E_clISt17integral_constantIbLb0EES1I_IbLb1EEEEDaS1E_S1F_EUlS1E_E_NS1_11comp_targetILNS1_3genE5ELNS1_11target_archE942ELNS1_3gpuE9ELNS1_3repE0EEENS1_30default_config_static_selectorELNS0_4arch9wavefront6targetE0EEEvT1_.num_agpr, 0
	.set _ZN7rocprim17ROCPRIM_400000_NS6detail17trampoline_kernelINS0_14default_configENS1_25partition_config_selectorILNS1_17partition_subalgoE6EN6thrust23THRUST_200600_302600_NS5tupleIssNS7_9null_typeES9_S9_S9_S9_S9_S9_S9_EENS0_10empty_typeEbEEZZNS1_14partition_implILS5_6ELb0ES3_mNS7_12zip_iteratorINS8_INS7_6detail15normal_iteratorINS7_10device_ptrIsEEEESJ_S9_S9_S9_S9_S9_S9_S9_S9_EEEEPSB_SM_NS0_5tupleIJNSE_INS8_ISJ_NS7_16discard_iteratorINS7_11use_defaultEEES9_S9_S9_S9_S9_S9_S9_S9_EEEESB_EEENSN_IJSM_SM_EEESB_PlJNSF_9not_fun_tINSF_14equal_to_valueISA_EEEEEEE10hipError_tPvRmT3_T4_T5_T6_T7_T9_mT8_P12ihipStream_tbDpT10_ENKUlT_T0_E_clISt17integral_constantIbLb0EES1I_IbLb1EEEEDaS1E_S1F_EUlS1E_E_NS1_11comp_targetILNS1_3genE5ELNS1_11target_archE942ELNS1_3gpuE9ELNS1_3repE0EEENS1_30default_config_static_selectorELNS0_4arch9wavefront6targetE0EEEvT1_.numbered_sgpr, 0
	.set _ZN7rocprim17ROCPRIM_400000_NS6detail17trampoline_kernelINS0_14default_configENS1_25partition_config_selectorILNS1_17partition_subalgoE6EN6thrust23THRUST_200600_302600_NS5tupleIssNS7_9null_typeES9_S9_S9_S9_S9_S9_S9_EENS0_10empty_typeEbEEZZNS1_14partition_implILS5_6ELb0ES3_mNS7_12zip_iteratorINS8_INS7_6detail15normal_iteratorINS7_10device_ptrIsEEEESJ_S9_S9_S9_S9_S9_S9_S9_S9_EEEEPSB_SM_NS0_5tupleIJNSE_INS8_ISJ_NS7_16discard_iteratorINS7_11use_defaultEEES9_S9_S9_S9_S9_S9_S9_S9_EEEESB_EEENSN_IJSM_SM_EEESB_PlJNSF_9not_fun_tINSF_14equal_to_valueISA_EEEEEEE10hipError_tPvRmT3_T4_T5_T6_T7_T9_mT8_P12ihipStream_tbDpT10_ENKUlT_T0_E_clISt17integral_constantIbLb0EES1I_IbLb1EEEEDaS1E_S1F_EUlS1E_E_NS1_11comp_targetILNS1_3genE5ELNS1_11target_archE942ELNS1_3gpuE9ELNS1_3repE0EEENS1_30default_config_static_selectorELNS0_4arch9wavefront6targetE0EEEvT1_.num_named_barrier, 0
	.set _ZN7rocprim17ROCPRIM_400000_NS6detail17trampoline_kernelINS0_14default_configENS1_25partition_config_selectorILNS1_17partition_subalgoE6EN6thrust23THRUST_200600_302600_NS5tupleIssNS7_9null_typeES9_S9_S9_S9_S9_S9_S9_EENS0_10empty_typeEbEEZZNS1_14partition_implILS5_6ELb0ES3_mNS7_12zip_iteratorINS8_INS7_6detail15normal_iteratorINS7_10device_ptrIsEEEESJ_S9_S9_S9_S9_S9_S9_S9_S9_EEEEPSB_SM_NS0_5tupleIJNSE_INS8_ISJ_NS7_16discard_iteratorINS7_11use_defaultEEES9_S9_S9_S9_S9_S9_S9_S9_EEEESB_EEENSN_IJSM_SM_EEESB_PlJNSF_9not_fun_tINSF_14equal_to_valueISA_EEEEEEE10hipError_tPvRmT3_T4_T5_T6_T7_T9_mT8_P12ihipStream_tbDpT10_ENKUlT_T0_E_clISt17integral_constantIbLb0EES1I_IbLb1EEEEDaS1E_S1F_EUlS1E_E_NS1_11comp_targetILNS1_3genE5ELNS1_11target_archE942ELNS1_3gpuE9ELNS1_3repE0EEENS1_30default_config_static_selectorELNS0_4arch9wavefront6targetE0EEEvT1_.private_seg_size, 0
	.set _ZN7rocprim17ROCPRIM_400000_NS6detail17trampoline_kernelINS0_14default_configENS1_25partition_config_selectorILNS1_17partition_subalgoE6EN6thrust23THRUST_200600_302600_NS5tupleIssNS7_9null_typeES9_S9_S9_S9_S9_S9_S9_EENS0_10empty_typeEbEEZZNS1_14partition_implILS5_6ELb0ES3_mNS7_12zip_iteratorINS8_INS7_6detail15normal_iteratorINS7_10device_ptrIsEEEESJ_S9_S9_S9_S9_S9_S9_S9_S9_EEEEPSB_SM_NS0_5tupleIJNSE_INS8_ISJ_NS7_16discard_iteratorINS7_11use_defaultEEES9_S9_S9_S9_S9_S9_S9_S9_EEEESB_EEENSN_IJSM_SM_EEESB_PlJNSF_9not_fun_tINSF_14equal_to_valueISA_EEEEEEE10hipError_tPvRmT3_T4_T5_T6_T7_T9_mT8_P12ihipStream_tbDpT10_ENKUlT_T0_E_clISt17integral_constantIbLb0EES1I_IbLb1EEEEDaS1E_S1F_EUlS1E_E_NS1_11comp_targetILNS1_3genE5ELNS1_11target_archE942ELNS1_3gpuE9ELNS1_3repE0EEENS1_30default_config_static_selectorELNS0_4arch9wavefront6targetE0EEEvT1_.uses_vcc, 0
	.set _ZN7rocprim17ROCPRIM_400000_NS6detail17trampoline_kernelINS0_14default_configENS1_25partition_config_selectorILNS1_17partition_subalgoE6EN6thrust23THRUST_200600_302600_NS5tupleIssNS7_9null_typeES9_S9_S9_S9_S9_S9_S9_EENS0_10empty_typeEbEEZZNS1_14partition_implILS5_6ELb0ES3_mNS7_12zip_iteratorINS8_INS7_6detail15normal_iteratorINS7_10device_ptrIsEEEESJ_S9_S9_S9_S9_S9_S9_S9_S9_EEEEPSB_SM_NS0_5tupleIJNSE_INS8_ISJ_NS7_16discard_iteratorINS7_11use_defaultEEES9_S9_S9_S9_S9_S9_S9_S9_EEEESB_EEENSN_IJSM_SM_EEESB_PlJNSF_9not_fun_tINSF_14equal_to_valueISA_EEEEEEE10hipError_tPvRmT3_T4_T5_T6_T7_T9_mT8_P12ihipStream_tbDpT10_ENKUlT_T0_E_clISt17integral_constantIbLb0EES1I_IbLb1EEEEDaS1E_S1F_EUlS1E_E_NS1_11comp_targetILNS1_3genE5ELNS1_11target_archE942ELNS1_3gpuE9ELNS1_3repE0EEENS1_30default_config_static_selectorELNS0_4arch9wavefront6targetE0EEEvT1_.uses_flat_scratch, 0
	.set _ZN7rocprim17ROCPRIM_400000_NS6detail17trampoline_kernelINS0_14default_configENS1_25partition_config_selectorILNS1_17partition_subalgoE6EN6thrust23THRUST_200600_302600_NS5tupleIssNS7_9null_typeES9_S9_S9_S9_S9_S9_S9_EENS0_10empty_typeEbEEZZNS1_14partition_implILS5_6ELb0ES3_mNS7_12zip_iteratorINS8_INS7_6detail15normal_iteratorINS7_10device_ptrIsEEEESJ_S9_S9_S9_S9_S9_S9_S9_S9_EEEEPSB_SM_NS0_5tupleIJNSE_INS8_ISJ_NS7_16discard_iteratorINS7_11use_defaultEEES9_S9_S9_S9_S9_S9_S9_S9_EEEESB_EEENSN_IJSM_SM_EEESB_PlJNSF_9not_fun_tINSF_14equal_to_valueISA_EEEEEEE10hipError_tPvRmT3_T4_T5_T6_T7_T9_mT8_P12ihipStream_tbDpT10_ENKUlT_T0_E_clISt17integral_constantIbLb0EES1I_IbLb1EEEEDaS1E_S1F_EUlS1E_E_NS1_11comp_targetILNS1_3genE5ELNS1_11target_archE942ELNS1_3gpuE9ELNS1_3repE0EEENS1_30default_config_static_selectorELNS0_4arch9wavefront6targetE0EEEvT1_.has_dyn_sized_stack, 0
	.set _ZN7rocprim17ROCPRIM_400000_NS6detail17trampoline_kernelINS0_14default_configENS1_25partition_config_selectorILNS1_17partition_subalgoE6EN6thrust23THRUST_200600_302600_NS5tupleIssNS7_9null_typeES9_S9_S9_S9_S9_S9_S9_EENS0_10empty_typeEbEEZZNS1_14partition_implILS5_6ELb0ES3_mNS7_12zip_iteratorINS8_INS7_6detail15normal_iteratorINS7_10device_ptrIsEEEESJ_S9_S9_S9_S9_S9_S9_S9_S9_EEEEPSB_SM_NS0_5tupleIJNSE_INS8_ISJ_NS7_16discard_iteratorINS7_11use_defaultEEES9_S9_S9_S9_S9_S9_S9_S9_EEEESB_EEENSN_IJSM_SM_EEESB_PlJNSF_9not_fun_tINSF_14equal_to_valueISA_EEEEEEE10hipError_tPvRmT3_T4_T5_T6_T7_T9_mT8_P12ihipStream_tbDpT10_ENKUlT_T0_E_clISt17integral_constantIbLb0EES1I_IbLb1EEEEDaS1E_S1F_EUlS1E_E_NS1_11comp_targetILNS1_3genE5ELNS1_11target_archE942ELNS1_3gpuE9ELNS1_3repE0EEENS1_30default_config_static_selectorELNS0_4arch9wavefront6targetE0EEEvT1_.has_recursion, 0
	.set _ZN7rocprim17ROCPRIM_400000_NS6detail17trampoline_kernelINS0_14default_configENS1_25partition_config_selectorILNS1_17partition_subalgoE6EN6thrust23THRUST_200600_302600_NS5tupleIssNS7_9null_typeES9_S9_S9_S9_S9_S9_S9_EENS0_10empty_typeEbEEZZNS1_14partition_implILS5_6ELb0ES3_mNS7_12zip_iteratorINS8_INS7_6detail15normal_iteratorINS7_10device_ptrIsEEEESJ_S9_S9_S9_S9_S9_S9_S9_S9_EEEEPSB_SM_NS0_5tupleIJNSE_INS8_ISJ_NS7_16discard_iteratorINS7_11use_defaultEEES9_S9_S9_S9_S9_S9_S9_S9_EEEESB_EEENSN_IJSM_SM_EEESB_PlJNSF_9not_fun_tINSF_14equal_to_valueISA_EEEEEEE10hipError_tPvRmT3_T4_T5_T6_T7_T9_mT8_P12ihipStream_tbDpT10_ENKUlT_T0_E_clISt17integral_constantIbLb0EES1I_IbLb1EEEEDaS1E_S1F_EUlS1E_E_NS1_11comp_targetILNS1_3genE5ELNS1_11target_archE942ELNS1_3gpuE9ELNS1_3repE0EEENS1_30default_config_static_selectorELNS0_4arch9wavefront6targetE0EEEvT1_.has_indirect_call, 0
	.section	.AMDGPU.csdata,"",@progbits
; Kernel info:
; codeLenInByte = 0
; TotalNumSgprs: 0
; NumVgprs: 0
; ScratchSize: 0
; MemoryBound: 0
; FloatMode: 240
; IeeeMode: 1
; LDSByteSize: 0 bytes/workgroup (compile time only)
; SGPRBlocks: 0
; VGPRBlocks: 0
; NumSGPRsForWavesPerEU: 1
; NumVGPRsForWavesPerEU: 1
; Occupancy: 16
; WaveLimiterHint : 0
; COMPUTE_PGM_RSRC2:SCRATCH_EN: 0
; COMPUTE_PGM_RSRC2:USER_SGPR: 2
; COMPUTE_PGM_RSRC2:TRAP_HANDLER: 0
; COMPUTE_PGM_RSRC2:TGID_X_EN: 1
; COMPUTE_PGM_RSRC2:TGID_Y_EN: 0
; COMPUTE_PGM_RSRC2:TGID_Z_EN: 0
; COMPUTE_PGM_RSRC2:TIDIG_COMP_CNT: 0
	.section	.text._ZN7rocprim17ROCPRIM_400000_NS6detail17trampoline_kernelINS0_14default_configENS1_25partition_config_selectorILNS1_17partition_subalgoE6EN6thrust23THRUST_200600_302600_NS5tupleIssNS7_9null_typeES9_S9_S9_S9_S9_S9_S9_EENS0_10empty_typeEbEEZZNS1_14partition_implILS5_6ELb0ES3_mNS7_12zip_iteratorINS8_INS7_6detail15normal_iteratorINS7_10device_ptrIsEEEESJ_S9_S9_S9_S9_S9_S9_S9_S9_EEEEPSB_SM_NS0_5tupleIJNSE_INS8_ISJ_NS7_16discard_iteratorINS7_11use_defaultEEES9_S9_S9_S9_S9_S9_S9_S9_EEEESB_EEENSN_IJSM_SM_EEESB_PlJNSF_9not_fun_tINSF_14equal_to_valueISA_EEEEEEE10hipError_tPvRmT3_T4_T5_T6_T7_T9_mT8_P12ihipStream_tbDpT10_ENKUlT_T0_E_clISt17integral_constantIbLb0EES1I_IbLb1EEEEDaS1E_S1F_EUlS1E_E_NS1_11comp_targetILNS1_3genE4ELNS1_11target_archE910ELNS1_3gpuE8ELNS1_3repE0EEENS1_30default_config_static_selectorELNS0_4arch9wavefront6targetE0EEEvT1_,"axG",@progbits,_ZN7rocprim17ROCPRIM_400000_NS6detail17trampoline_kernelINS0_14default_configENS1_25partition_config_selectorILNS1_17partition_subalgoE6EN6thrust23THRUST_200600_302600_NS5tupleIssNS7_9null_typeES9_S9_S9_S9_S9_S9_S9_EENS0_10empty_typeEbEEZZNS1_14partition_implILS5_6ELb0ES3_mNS7_12zip_iteratorINS8_INS7_6detail15normal_iteratorINS7_10device_ptrIsEEEESJ_S9_S9_S9_S9_S9_S9_S9_S9_EEEEPSB_SM_NS0_5tupleIJNSE_INS8_ISJ_NS7_16discard_iteratorINS7_11use_defaultEEES9_S9_S9_S9_S9_S9_S9_S9_EEEESB_EEENSN_IJSM_SM_EEESB_PlJNSF_9not_fun_tINSF_14equal_to_valueISA_EEEEEEE10hipError_tPvRmT3_T4_T5_T6_T7_T9_mT8_P12ihipStream_tbDpT10_ENKUlT_T0_E_clISt17integral_constantIbLb0EES1I_IbLb1EEEEDaS1E_S1F_EUlS1E_E_NS1_11comp_targetILNS1_3genE4ELNS1_11target_archE910ELNS1_3gpuE8ELNS1_3repE0EEENS1_30default_config_static_selectorELNS0_4arch9wavefront6targetE0EEEvT1_,comdat
	.protected	_ZN7rocprim17ROCPRIM_400000_NS6detail17trampoline_kernelINS0_14default_configENS1_25partition_config_selectorILNS1_17partition_subalgoE6EN6thrust23THRUST_200600_302600_NS5tupleIssNS7_9null_typeES9_S9_S9_S9_S9_S9_S9_EENS0_10empty_typeEbEEZZNS1_14partition_implILS5_6ELb0ES3_mNS7_12zip_iteratorINS8_INS7_6detail15normal_iteratorINS7_10device_ptrIsEEEESJ_S9_S9_S9_S9_S9_S9_S9_S9_EEEEPSB_SM_NS0_5tupleIJNSE_INS8_ISJ_NS7_16discard_iteratorINS7_11use_defaultEEES9_S9_S9_S9_S9_S9_S9_S9_EEEESB_EEENSN_IJSM_SM_EEESB_PlJNSF_9not_fun_tINSF_14equal_to_valueISA_EEEEEEE10hipError_tPvRmT3_T4_T5_T6_T7_T9_mT8_P12ihipStream_tbDpT10_ENKUlT_T0_E_clISt17integral_constantIbLb0EES1I_IbLb1EEEEDaS1E_S1F_EUlS1E_E_NS1_11comp_targetILNS1_3genE4ELNS1_11target_archE910ELNS1_3gpuE8ELNS1_3repE0EEENS1_30default_config_static_selectorELNS0_4arch9wavefront6targetE0EEEvT1_ ; -- Begin function _ZN7rocprim17ROCPRIM_400000_NS6detail17trampoline_kernelINS0_14default_configENS1_25partition_config_selectorILNS1_17partition_subalgoE6EN6thrust23THRUST_200600_302600_NS5tupleIssNS7_9null_typeES9_S9_S9_S9_S9_S9_S9_EENS0_10empty_typeEbEEZZNS1_14partition_implILS5_6ELb0ES3_mNS7_12zip_iteratorINS8_INS7_6detail15normal_iteratorINS7_10device_ptrIsEEEESJ_S9_S9_S9_S9_S9_S9_S9_S9_EEEEPSB_SM_NS0_5tupleIJNSE_INS8_ISJ_NS7_16discard_iteratorINS7_11use_defaultEEES9_S9_S9_S9_S9_S9_S9_S9_EEEESB_EEENSN_IJSM_SM_EEESB_PlJNSF_9not_fun_tINSF_14equal_to_valueISA_EEEEEEE10hipError_tPvRmT3_T4_T5_T6_T7_T9_mT8_P12ihipStream_tbDpT10_ENKUlT_T0_E_clISt17integral_constantIbLb0EES1I_IbLb1EEEEDaS1E_S1F_EUlS1E_E_NS1_11comp_targetILNS1_3genE4ELNS1_11target_archE910ELNS1_3gpuE8ELNS1_3repE0EEENS1_30default_config_static_selectorELNS0_4arch9wavefront6targetE0EEEvT1_
	.globl	_ZN7rocprim17ROCPRIM_400000_NS6detail17trampoline_kernelINS0_14default_configENS1_25partition_config_selectorILNS1_17partition_subalgoE6EN6thrust23THRUST_200600_302600_NS5tupleIssNS7_9null_typeES9_S9_S9_S9_S9_S9_S9_EENS0_10empty_typeEbEEZZNS1_14partition_implILS5_6ELb0ES3_mNS7_12zip_iteratorINS8_INS7_6detail15normal_iteratorINS7_10device_ptrIsEEEESJ_S9_S9_S9_S9_S9_S9_S9_S9_EEEEPSB_SM_NS0_5tupleIJNSE_INS8_ISJ_NS7_16discard_iteratorINS7_11use_defaultEEES9_S9_S9_S9_S9_S9_S9_S9_EEEESB_EEENSN_IJSM_SM_EEESB_PlJNSF_9not_fun_tINSF_14equal_to_valueISA_EEEEEEE10hipError_tPvRmT3_T4_T5_T6_T7_T9_mT8_P12ihipStream_tbDpT10_ENKUlT_T0_E_clISt17integral_constantIbLb0EES1I_IbLb1EEEEDaS1E_S1F_EUlS1E_E_NS1_11comp_targetILNS1_3genE4ELNS1_11target_archE910ELNS1_3gpuE8ELNS1_3repE0EEENS1_30default_config_static_selectorELNS0_4arch9wavefront6targetE0EEEvT1_
	.p2align	8
	.type	_ZN7rocprim17ROCPRIM_400000_NS6detail17trampoline_kernelINS0_14default_configENS1_25partition_config_selectorILNS1_17partition_subalgoE6EN6thrust23THRUST_200600_302600_NS5tupleIssNS7_9null_typeES9_S9_S9_S9_S9_S9_S9_EENS0_10empty_typeEbEEZZNS1_14partition_implILS5_6ELb0ES3_mNS7_12zip_iteratorINS8_INS7_6detail15normal_iteratorINS7_10device_ptrIsEEEESJ_S9_S9_S9_S9_S9_S9_S9_S9_EEEEPSB_SM_NS0_5tupleIJNSE_INS8_ISJ_NS7_16discard_iteratorINS7_11use_defaultEEES9_S9_S9_S9_S9_S9_S9_S9_EEEESB_EEENSN_IJSM_SM_EEESB_PlJNSF_9not_fun_tINSF_14equal_to_valueISA_EEEEEEE10hipError_tPvRmT3_T4_T5_T6_T7_T9_mT8_P12ihipStream_tbDpT10_ENKUlT_T0_E_clISt17integral_constantIbLb0EES1I_IbLb1EEEEDaS1E_S1F_EUlS1E_E_NS1_11comp_targetILNS1_3genE4ELNS1_11target_archE910ELNS1_3gpuE8ELNS1_3repE0EEENS1_30default_config_static_selectorELNS0_4arch9wavefront6targetE0EEEvT1_,@function
_ZN7rocprim17ROCPRIM_400000_NS6detail17trampoline_kernelINS0_14default_configENS1_25partition_config_selectorILNS1_17partition_subalgoE6EN6thrust23THRUST_200600_302600_NS5tupleIssNS7_9null_typeES9_S9_S9_S9_S9_S9_S9_EENS0_10empty_typeEbEEZZNS1_14partition_implILS5_6ELb0ES3_mNS7_12zip_iteratorINS8_INS7_6detail15normal_iteratorINS7_10device_ptrIsEEEESJ_S9_S9_S9_S9_S9_S9_S9_S9_EEEEPSB_SM_NS0_5tupleIJNSE_INS8_ISJ_NS7_16discard_iteratorINS7_11use_defaultEEES9_S9_S9_S9_S9_S9_S9_S9_EEEESB_EEENSN_IJSM_SM_EEESB_PlJNSF_9not_fun_tINSF_14equal_to_valueISA_EEEEEEE10hipError_tPvRmT3_T4_T5_T6_T7_T9_mT8_P12ihipStream_tbDpT10_ENKUlT_T0_E_clISt17integral_constantIbLb0EES1I_IbLb1EEEEDaS1E_S1F_EUlS1E_E_NS1_11comp_targetILNS1_3genE4ELNS1_11target_archE910ELNS1_3gpuE8ELNS1_3repE0EEENS1_30default_config_static_selectorELNS0_4arch9wavefront6targetE0EEEvT1_: ; @_ZN7rocprim17ROCPRIM_400000_NS6detail17trampoline_kernelINS0_14default_configENS1_25partition_config_selectorILNS1_17partition_subalgoE6EN6thrust23THRUST_200600_302600_NS5tupleIssNS7_9null_typeES9_S9_S9_S9_S9_S9_S9_EENS0_10empty_typeEbEEZZNS1_14partition_implILS5_6ELb0ES3_mNS7_12zip_iteratorINS8_INS7_6detail15normal_iteratorINS7_10device_ptrIsEEEESJ_S9_S9_S9_S9_S9_S9_S9_S9_EEEEPSB_SM_NS0_5tupleIJNSE_INS8_ISJ_NS7_16discard_iteratorINS7_11use_defaultEEES9_S9_S9_S9_S9_S9_S9_S9_EEEESB_EEENSN_IJSM_SM_EEESB_PlJNSF_9not_fun_tINSF_14equal_to_valueISA_EEEEEEE10hipError_tPvRmT3_T4_T5_T6_T7_T9_mT8_P12ihipStream_tbDpT10_ENKUlT_T0_E_clISt17integral_constantIbLb0EES1I_IbLb1EEEEDaS1E_S1F_EUlS1E_E_NS1_11comp_targetILNS1_3genE4ELNS1_11target_archE910ELNS1_3gpuE8ELNS1_3repE0EEENS1_30default_config_static_selectorELNS0_4arch9wavefront6targetE0EEEvT1_
; %bb.0:
	.section	.rodata,"a",@progbits
	.p2align	6, 0x0
	.amdhsa_kernel _ZN7rocprim17ROCPRIM_400000_NS6detail17trampoline_kernelINS0_14default_configENS1_25partition_config_selectorILNS1_17partition_subalgoE6EN6thrust23THRUST_200600_302600_NS5tupleIssNS7_9null_typeES9_S9_S9_S9_S9_S9_S9_EENS0_10empty_typeEbEEZZNS1_14partition_implILS5_6ELb0ES3_mNS7_12zip_iteratorINS8_INS7_6detail15normal_iteratorINS7_10device_ptrIsEEEESJ_S9_S9_S9_S9_S9_S9_S9_S9_EEEEPSB_SM_NS0_5tupleIJNSE_INS8_ISJ_NS7_16discard_iteratorINS7_11use_defaultEEES9_S9_S9_S9_S9_S9_S9_S9_EEEESB_EEENSN_IJSM_SM_EEESB_PlJNSF_9not_fun_tINSF_14equal_to_valueISA_EEEEEEE10hipError_tPvRmT3_T4_T5_T6_T7_T9_mT8_P12ihipStream_tbDpT10_ENKUlT_T0_E_clISt17integral_constantIbLb0EES1I_IbLb1EEEEDaS1E_S1F_EUlS1E_E_NS1_11comp_targetILNS1_3genE4ELNS1_11target_archE910ELNS1_3gpuE8ELNS1_3repE0EEENS1_30default_config_static_selectorELNS0_4arch9wavefront6targetE0EEEvT1_
		.amdhsa_group_segment_fixed_size 0
		.amdhsa_private_segment_fixed_size 0
		.amdhsa_kernarg_size 152
		.amdhsa_user_sgpr_count 2
		.amdhsa_user_sgpr_dispatch_ptr 0
		.amdhsa_user_sgpr_queue_ptr 0
		.amdhsa_user_sgpr_kernarg_segment_ptr 1
		.amdhsa_user_sgpr_dispatch_id 0
		.amdhsa_user_sgpr_private_segment_size 0
		.amdhsa_wavefront_size32 1
		.amdhsa_uses_dynamic_stack 0
		.amdhsa_enable_private_segment 0
		.amdhsa_system_sgpr_workgroup_id_x 1
		.amdhsa_system_sgpr_workgroup_id_y 0
		.amdhsa_system_sgpr_workgroup_id_z 0
		.amdhsa_system_sgpr_workgroup_info 0
		.amdhsa_system_vgpr_workitem_id 0
		.amdhsa_next_free_vgpr 1
		.amdhsa_next_free_sgpr 1
		.amdhsa_reserve_vcc 0
		.amdhsa_float_round_mode_32 0
		.amdhsa_float_round_mode_16_64 0
		.amdhsa_float_denorm_mode_32 3
		.amdhsa_float_denorm_mode_16_64 3
		.amdhsa_fp16_overflow 0
		.amdhsa_workgroup_processor_mode 1
		.amdhsa_memory_ordered 1
		.amdhsa_forward_progress 1
		.amdhsa_inst_pref_size 0
		.amdhsa_round_robin_scheduling 0
		.amdhsa_exception_fp_ieee_invalid_op 0
		.amdhsa_exception_fp_denorm_src 0
		.amdhsa_exception_fp_ieee_div_zero 0
		.amdhsa_exception_fp_ieee_overflow 0
		.amdhsa_exception_fp_ieee_underflow 0
		.amdhsa_exception_fp_ieee_inexact 0
		.amdhsa_exception_int_div_zero 0
	.end_amdhsa_kernel
	.section	.text._ZN7rocprim17ROCPRIM_400000_NS6detail17trampoline_kernelINS0_14default_configENS1_25partition_config_selectorILNS1_17partition_subalgoE6EN6thrust23THRUST_200600_302600_NS5tupleIssNS7_9null_typeES9_S9_S9_S9_S9_S9_S9_EENS0_10empty_typeEbEEZZNS1_14partition_implILS5_6ELb0ES3_mNS7_12zip_iteratorINS8_INS7_6detail15normal_iteratorINS7_10device_ptrIsEEEESJ_S9_S9_S9_S9_S9_S9_S9_S9_EEEEPSB_SM_NS0_5tupleIJNSE_INS8_ISJ_NS7_16discard_iteratorINS7_11use_defaultEEES9_S9_S9_S9_S9_S9_S9_S9_EEEESB_EEENSN_IJSM_SM_EEESB_PlJNSF_9not_fun_tINSF_14equal_to_valueISA_EEEEEEE10hipError_tPvRmT3_T4_T5_T6_T7_T9_mT8_P12ihipStream_tbDpT10_ENKUlT_T0_E_clISt17integral_constantIbLb0EES1I_IbLb1EEEEDaS1E_S1F_EUlS1E_E_NS1_11comp_targetILNS1_3genE4ELNS1_11target_archE910ELNS1_3gpuE8ELNS1_3repE0EEENS1_30default_config_static_selectorELNS0_4arch9wavefront6targetE0EEEvT1_,"axG",@progbits,_ZN7rocprim17ROCPRIM_400000_NS6detail17trampoline_kernelINS0_14default_configENS1_25partition_config_selectorILNS1_17partition_subalgoE6EN6thrust23THRUST_200600_302600_NS5tupleIssNS7_9null_typeES9_S9_S9_S9_S9_S9_S9_EENS0_10empty_typeEbEEZZNS1_14partition_implILS5_6ELb0ES3_mNS7_12zip_iteratorINS8_INS7_6detail15normal_iteratorINS7_10device_ptrIsEEEESJ_S9_S9_S9_S9_S9_S9_S9_S9_EEEEPSB_SM_NS0_5tupleIJNSE_INS8_ISJ_NS7_16discard_iteratorINS7_11use_defaultEEES9_S9_S9_S9_S9_S9_S9_S9_EEEESB_EEENSN_IJSM_SM_EEESB_PlJNSF_9not_fun_tINSF_14equal_to_valueISA_EEEEEEE10hipError_tPvRmT3_T4_T5_T6_T7_T9_mT8_P12ihipStream_tbDpT10_ENKUlT_T0_E_clISt17integral_constantIbLb0EES1I_IbLb1EEEEDaS1E_S1F_EUlS1E_E_NS1_11comp_targetILNS1_3genE4ELNS1_11target_archE910ELNS1_3gpuE8ELNS1_3repE0EEENS1_30default_config_static_selectorELNS0_4arch9wavefront6targetE0EEEvT1_,comdat
.Lfunc_end2071:
	.size	_ZN7rocprim17ROCPRIM_400000_NS6detail17trampoline_kernelINS0_14default_configENS1_25partition_config_selectorILNS1_17partition_subalgoE6EN6thrust23THRUST_200600_302600_NS5tupleIssNS7_9null_typeES9_S9_S9_S9_S9_S9_S9_EENS0_10empty_typeEbEEZZNS1_14partition_implILS5_6ELb0ES3_mNS7_12zip_iteratorINS8_INS7_6detail15normal_iteratorINS7_10device_ptrIsEEEESJ_S9_S9_S9_S9_S9_S9_S9_S9_EEEEPSB_SM_NS0_5tupleIJNSE_INS8_ISJ_NS7_16discard_iteratorINS7_11use_defaultEEES9_S9_S9_S9_S9_S9_S9_S9_EEEESB_EEENSN_IJSM_SM_EEESB_PlJNSF_9not_fun_tINSF_14equal_to_valueISA_EEEEEEE10hipError_tPvRmT3_T4_T5_T6_T7_T9_mT8_P12ihipStream_tbDpT10_ENKUlT_T0_E_clISt17integral_constantIbLb0EES1I_IbLb1EEEEDaS1E_S1F_EUlS1E_E_NS1_11comp_targetILNS1_3genE4ELNS1_11target_archE910ELNS1_3gpuE8ELNS1_3repE0EEENS1_30default_config_static_selectorELNS0_4arch9wavefront6targetE0EEEvT1_, .Lfunc_end2071-_ZN7rocprim17ROCPRIM_400000_NS6detail17trampoline_kernelINS0_14default_configENS1_25partition_config_selectorILNS1_17partition_subalgoE6EN6thrust23THRUST_200600_302600_NS5tupleIssNS7_9null_typeES9_S9_S9_S9_S9_S9_S9_EENS0_10empty_typeEbEEZZNS1_14partition_implILS5_6ELb0ES3_mNS7_12zip_iteratorINS8_INS7_6detail15normal_iteratorINS7_10device_ptrIsEEEESJ_S9_S9_S9_S9_S9_S9_S9_S9_EEEEPSB_SM_NS0_5tupleIJNSE_INS8_ISJ_NS7_16discard_iteratorINS7_11use_defaultEEES9_S9_S9_S9_S9_S9_S9_S9_EEEESB_EEENSN_IJSM_SM_EEESB_PlJNSF_9not_fun_tINSF_14equal_to_valueISA_EEEEEEE10hipError_tPvRmT3_T4_T5_T6_T7_T9_mT8_P12ihipStream_tbDpT10_ENKUlT_T0_E_clISt17integral_constantIbLb0EES1I_IbLb1EEEEDaS1E_S1F_EUlS1E_E_NS1_11comp_targetILNS1_3genE4ELNS1_11target_archE910ELNS1_3gpuE8ELNS1_3repE0EEENS1_30default_config_static_selectorELNS0_4arch9wavefront6targetE0EEEvT1_
                                        ; -- End function
	.set _ZN7rocprim17ROCPRIM_400000_NS6detail17trampoline_kernelINS0_14default_configENS1_25partition_config_selectorILNS1_17partition_subalgoE6EN6thrust23THRUST_200600_302600_NS5tupleIssNS7_9null_typeES9_S9_S9_S9_S9_S9_S9_EENS0_10empty_typeEbEEZZNS1_14partition_implILS5_6ELb0ES3_mNS7_12zip_iteratorINS8_INS7_6detail15normal_iteratorINS7_10device_ptrIsEEEESJ_S9_S9_S9_S9_S9_S9_S9_S9_EEEEPSB_SM_NS0_5tupleIJNSE_INS8_ISJ_NS7_16discard_iteratorINS7_11use_defaultEEES9_S9_S9_S9_S9_S9_S9_S9_EEEESB_EEENSN_IJSM_SM_EEESB_PlJNSF_9not_fun_tINSF_14equal_to_valueISA_EEEEEEE10hipError_tPvRmT3_T4_T5_T6_T7_T9_mT8_P12ihipStream_tbDpT10_ENKUlT_T0_E_clISt17integral_constantIbLb0EES1I_IbLb1EEEEDaS1E_S1F_EUlS1E_E_NS1_11comp_targetILNS1_3genE4ELNS1_11target_archE910ELNS1_3gpuE8ELNS1_3repE0EEENS1_30default_config_static_selectorELNS0_4arch9wavefront6targetE0EEEvT1_.num_vgpr, 0
	.set _ZN7rocprim17ROCPRIM_400000_NS6detail17trampoline_kernelINS0_14default_configENS1_25partition_config_selectorILNS1_17partition_subalgoE6EN6thrust23THRUST_200600_302600_NS5tupleIssNS7_9null_typeES9_S9_S9_S9_S9_S9_S9_EENS0_10empty_typeEbEEZZNS1_14partition_implILS5_6ELb0ES3_mNS7_12zip_iteratorINS8_INS7_6detail15normal_iteratorINS7_10device_ptrIsEEEESJ_S9_S9_S9_S9_S9_S9_S9_S9_EEEEPSB_SM_NS0_5tupleIJNSE_INS8_ISJ_NS7_16discard_iteratorINS7_11use_defaultEEES9_S9_S9_S9_S9_S9_S9_S9_EEEESB_EEENSN_IJSM_SM_EEESB_PlJNSF_9not_fun_tINSF_14equal_to_valueISA_EEEEEEE10hipError_tPvRmT3_T4_T5_T6_T7_T9_mT8_P12ihipStream_tbDpT10_ENKUlT_T0_E_clISt17integral_constantIbLb0EES1I_IbLb1EEEEDaS1E_S1F_EUlS1E_E_NS1_11comp_targetILNS1_3genE4ELNS1_11target_archE910ELNS1_3gpuE8ELNS1_3repE0EEENS1_30default_config_static_selectorELNS0_4arch9wavefront6targetE0EEEvT1_.num_agpr, 0
	.set _ZN7rocprim17ROCPRIM_400000_NS6detail17trampoline_kernelINS0_14default_configENS1_25partition_config_selectorILNS1_17partition_subalgoE6EN6thrust23THRUST_200600_302600_NS5tupleIssNS7_9null_typeES9_S9_S9_S9_S9_S9_S9_EENS0_10empty_typeEbEEZZNS1_14partition_implILS5_6ELb0ES3_mNS7_12zip_iteratorINS8_INS7_6detail15normal_iteratorINS7_10device_ptrIsEEEESJ_S9_S9_S9_S9_S9_S9_S9_S9_EEEEPSB_SM_NS0_5tupleIJNSE_INS8_ISJ_NS7_16discard_iteratorINS7_11use_defaultEEES9_S9_S9_S9_S9_S9_S9_S9_EEEESB_EEENSN_IJSM_SM_EEESB_PlJNSF_9not_fun_tINSF_14equal_to_valueISA_EEEEEEE10hipError_tPvRmT3_T4_T5_T6_T7_T9_mT8_P12ihipStream_tbDpT10_ENKUlT_T0_E_clISt17integral_constantIbLb0EES1I_IbLb1EEEEDaS1E_S1F_EUlS1E_E_NS1_11comp_targetILNS1_3genE4ELNS1_11target_archE910ELNS1_3gpuE8ELNS1_3repE0EEENS1_30default_config_static_selectorELNS0_4arch9wavefront6targetE0EEEvT1_.numbered_sgpr, 0
	.set _ZN7rocprim17ROCPRIM_400000_NS6detail17trampoline_kernelINS0_14default_configENS1_25partition_config_selectorILNS1_17partition_subalgoE6EN6thrust23THRUST_200600_302600_NS5tupleIssNS7_9null_typeES9_S9_S9_S9_S9_S9_S9_EENS0_10empty_typeEbEEZZNS1_14partition_implILS5_6ELb0ES3_mNS7_12zip_iteratorINS8_INS7_6detail15normal_iteratorINS7_10device_ptrIsEEEESJ_S9_S9_S9_S9_S9_S9_S9_S9_EEEEPSB_SM_NS0_5tupleIJNSE_INS8_ISJ_NS7_16discard_iteratorINS7_11use_defaultEEES9_S9_S9_S9_S9_S9_S9_S9_EEEESB_EEENSN_IJSM_SM_EEESB_PlJNSF_9not_fun_tINSF_14equal_to_valueISA_EEEEEEE10hipError_tPvRmT3_T4_T5_T6_T7_T9_mT8_P12ihipStream_tbDpT10_ENKUlT_T0_E_clISt17integral_constantIbLb0EES1I_IbLb1EEEEDaS1E_S1F_EUlS1E_E_NS1_11comp_targetILNS1_3genE4ELNS1_11target_archE910ELNS1_3gpuE8ELNS1_3repE0EEENS1_30default_config_static_selectorELNS0_4arch9wavefront6targetE0EEEvT1_.num_named_barrier, 0
	.set _ZN7rocprim17ROCPRIM_400000_NS6detail17trampoline_kernelINS0_14default_configENS1_25partition_config_selectorILNS1_17partition_subalgoE6EN6thrust23THRUST_200600_302600_NS5tupleIssNS7_9null_typeES9_S9_S9_S9_S9_S9_S9_EENS0_10empty_typeEbEEZZNS1_14partition_implILS5_6ELb0ES3_mNS7_12zip_iteratorINS8_INS7_6detail15normal_iteratorINS7_10device_ptrIsEEEESJ_S9_S9_S9_S9_S9_S9_S9_S9_EEEEPSB_SM_NS0_5tupleIJNSE_INS8_ISJ_NS7_16discard_iteratorINS7_11use_defaultEEES9_S9_S9_S9_S9_S9_S9_S9_EEEESB_EEENSN_IJSM_SM_EEESB_PlJNSF_9not_fun_tINSF_14equal_to_valueISA_EEEEEEE10hipError_tPvRmT3_T4_T5_T6_T7_T9_mT8_P12ihipStream_tbDpT10_ENKUlT_T0_E_clISt17integral_constantIbLb0EES1I_IbLb1EEEEDaS1E_S1F_EUlS1E_E_NS1_11comp_targetILNS1_3genE4ELNS1_11target_archE910ELNS1_3gpuE8ELNS1_3repE0EEENS1_30default_config_static_selectorELNS0_4arch9wavefront6targetE0EEEvT1_.private_seg_size, 0
	.set _ZN7rocprim17ROCPRIM_400000_NS6detail17trampoline_kernelINS0_14default_configENS1_25partition_config_selectorILNS1_17partition_subalgoE6EN6thrust23THRUST_200600_302600_NS5tupleIssNS7_9null_typeES9_S9_S9_S9_S9_S9_S9_EENS0_10empty_typeEbEEZZNS1_14partition_implILS5_6ELb0ES3_mNS7_12zip_iteratorINS8_INS7_6detail15normal_iteratorINS7_10device_ptrIsEEEESJ_S9_S9_S9_S9_S9_S9_S9_S9_EEEEPSB_SM_NS0_5tupleIJNSE_INS8_ISJ_NS7_16discard_iteratorINS7_11use_defaultEEES9_S9_S9_S9_S9_S9_S9_S9_EEEESB_EEENSN_IJSM_SM_EEESB_PlJNSF_9not_fun_tINSF_14equal_to_valueISA_EEEEEEE10hipError_tPvRmT3_T4_T5_T6_T7_T9_mT8_P12ihipStream_tbDpT10_ENKUlT_T0_E_clISt17integral_constantIbLb0EES1I_IbLb1EEEEDaS1E_S1F_EUlS1E_E_NS1_11comp_targetILNS1_3genE4ELNS1_11target_archE910ELNS1_3gpuE8ELNS1_3repE0EEENS1_30default_config_static_selectorELNS0_4arch9wavefront6targetE0EEEvT1_.uses_vcc, 0
	.set _ZN7rocprim17ROCPRIM_400000_NS6detail17trampoline_kernelINS0_14default_configENS1_25partition_config_selectorILNS1_17partition_subalgoE6EN6thrust23THRUST_200600_302600_NS5tupleIssNS7_9null_typeES9_S9_S9_S9_S9_S9_S9_EENS0_10empty_typeEbEEZZNS1_14partition_implILS5_6ELb0ES3_mNS7_12zip_iteratorINS8_INS7_6detail15normal_iteratorINS7_10device_ptrIsEEEESJ_S9_S9_S9_S9_S9_S9_S9_S9_EEEEPSB_SM_NS0_5tupleIJNSE_INS8_ISJ_NS7_16discard_iteratorINS7_11use_defaultEEES9_S9_S9_S9_S9_S9_S9_S9_EEEESB_EEENSN_IJSM_SM_EEESB_PlJNSF_9not_fun_tINSF_14equal_to_valueISA_EEEEEEE10hipError_tPvRmT3_T4_T5_T6_T7_T9_mT8_P12ihipStream_tbDpT10_ENKUlT_T0_E_clISt17integral_constantIbLb0EES1I_IbLb1EEEEDaS1E_S1F_EUlS1E_E_NS1_11comp_targetILNS1_3genE4ELNS1_11target_archE910ELNS1_3gpuE8ELNS1_3repE0EEENS1_30default_config_static_selectorELNS0_4arch9wavefront6targetE0EEEvT1_.uses_flat_scratch, 0
	.set _ZN7rocprim17ROCPRIM_400000_NS6detail17trampoline_kernelINS0_14default_configENS1_25partition_config_selectorILNS1_17partition_subalgoE6EN6thrust23THRUST_200600_302600_NS5tupleIssNS7_9null_typeES9_S9_S9_S9_S9_S9_S9_EENS0_10empty_typeEbEEZZNS1_14partition_implILS5_6ELb0ES3_mNS7_12zip_iteratorINS8_INS7_6detail15normal_iteratorINS7_10device_ptrIsEEEESJ_S9_S9_S9_S9_S9_S9_S9_S9_EEEEPSB_SM_NS0_5tupleIJNSE_INS8_ISJ_NS7_16discard_iteratorINS7_11use_defaultEEES9_S9_S9_S9_S9_S9_S9_S9_EEEESB_EEENSN_IJSM_SM_EEESB_PlJNSF_9not_fun_tINSF_14equal_to_valueISA_EEEEEEE10hipError_tPvRmT3_T4_T5_T6_T7_T9_mT8_P12ihipStream_tbDpT10_ENKUlT_T0_E_clISt17integral_constantIbLb0EES1I_IbLb1EEEEDaS1E_S1F_EUlS1E_E_NS1_11comp_targetILNS1_3genE4ELNS1_11target_archE910ELNS1_3gpuE8ELNS1_3repE0EEENS1_30default_config_static_selectorELNS0_4arch9wavefront6targetE0EEEvT1_.has_dyn_sized_stack, 0
	.set _ZN7rocprim17ROCPRIM_400000_NS6detail17trampoline_kernelINS0_14default_configENS1_25partition_config_selectorILNS1_17partition_subalgoE6EN6thrust23THRUST_200600_302600_NS5tupleIssNS7_9null_typeES9_S9_S9_S9_S9_S9_S9_EENS0_10empty_typeEbEEZZNS1_14partition_implILS5_6ELb0ES3_mNS7_12zip_iteratorINS8_INS7_6detail15normal_iteratorINS7_10device_ptrIsEEEESJ_S9_S9_S9_S9_S9_S9_S9_S9_EEEEPSB_SM_NS0_5tupleIJNSE_INS8_ISJ_NS7_16discard_iteratorINS7_11use_defaultEEES9_S9_S9_S9_S9_S9_S9_S9_EEEESB_EEENSN_IJSM_SM_EEESB_PlJNSF_9not_fun_tINSF_14equal_to_valueISA_EEEEEEE10hipError_tPvRmT3_T4_T5_T6_T7_T9_mT8_P12ihipStream_tbDpT10_ENKUlT_T0_E_clISt17integral_constantIbLb0EES1I_IbLb1EEEEDaS1E_S1F_EUlS1E_E_NS1_11comp_targetILNS1_3genE4ELNS1_11target_archE910ELNS1_3gpuE8ELNS1_3repE0EEENS1_30default_config_static_selectorELNS0_4arch9wavefront6targetE0EEEvT1_.has_recursion, 0
	.set _ZN7rocprim17ROCPRIM_400000_NS6detail17trampoline_kernelINS0_14default_configENS1_25partition_config_selectorILNS1_17partition_subalgoE6EN6thrust23THRUST_200600_302600_NS5tupleIssNS7_9null_typeES9_S9_S9_S9_S9_S9_S9_EENS0_10empty_typeEbEEZZNS1_14partition_implILS5_6ELb0ES3_mNS7_12zip_iteratorINS8_INS7_6detail15normal_iteratorINS7_10device_ptrIsEEEESJ_S9_S9_S9_S9_S9_S9_S9_S9_EEEEPSB_SM_NS0_5tupleIJNSE_INS8_ISJ_NS7_16discard_iteratorINS7_11use_defaultEEES9_S9_S9_S9_S9_S9_S9_S9_EEEESB_EEENSN_IJSM_SM_EEESB_PlJNSF_9not_fun_tINSF_14equal_to_valueISA_EEEEEEE10hipError_tPvRmT3_T4_T5_T6_T7_T9_mT8_P12ihipStream_tbDpT10_ENKUlT_T0_E_clISt17integral_constantIbLb0EES1I_IbLb1EEEEDaS1E_S1F_EUlS1E_E_NS1_11comp_targetILNS1_3genE4ELNS1_11target_archE910ELNS1_3gpuE8ELNS1_3repE0EEENS1_30default_config_static_selectorELNS0_4arch9wavefront6targetE0EEEvT1_.has_indirect_call, 0
	.section	.AMDGPU.csdata,"",@progbits
; Kernel info:
; codeLenInByte = 0
; TotalNumSgprs: 0
; NumVgprs: 0
; ScratchSize: 0
; MemoryBound: 0
; FloatMode: 240
; IeeeMode: 1
; LDSByteSize: 0 bytes/workgroup (compile time only)
; SGPRBlocks: 0
; VGPRBlocks: 0
; NumSGPRsForWavesPerEU: 1
; NumVGPRsForWavesPerEU: 1
; Occupancy: 16
; WaveLimiterHint : 0
; COMPUTE_PGM_RSRC2:SCRATCH_EN: 0
; COMPUTE_PGM_RSRC2:USER_SGPR: 2
; COMPUTE_PGM_RSRC2:TRAP_HANDLER: 0
; COMPUTE_PGM_RSRC2:TGID_X_EN: 1
; COMPUTE_PGM_RSRC2:TGID_Y_EN: 0
; COMPUTE_PGM_RSRC2:TGID_Z_EN: 0
; COMPUTE_PGM_RSRC2:TIDIG_COMP_CNT: 0
	.section	.text._ZN7rocprim17ROCPRIM_400000_NS6detail17trampoline_kernelINS0_14default_configENS1_25partition_config_selectorILNS1_17partition_subalgoE6EN6thrust23THRUST_200600_302600_NS5tupleIssNS7_9null_typeES9_S9_S9_S9_S9_S9_S9_EENS0_10empty_typeEbEEZZNS1_14partition_implILS5_6ELb0ES3_mNS7_12zip_iteratorINS8_INS7_6detail15normal_iteratorINS7_10device_ptrIsEEEESJ_S9_S9_S9_S9_S9_S9_S9_S9_EEEEPSB_SM_NS0_5tupleIJNSE_INS8_ISJ_NS7_16discard_iteratorINS7_11use_defaultEEES9_S9_S9_S9_S9_S9_S9_S9_EEEESB_EEENSN_IJSM_SM_EEESB_PlJNSF_9not_fun_tINSF_14equal_to_valueISA_EEEEEEE10hipError_tPvRmT3_T4_T5_T6_T7_T9_mT8_P12ihipStream_tbDpT10_ENKUlT_T0_E_clISt17integral_constantIbLb0EES1I_IbLb1EEEEDaS1E_S1F_EUlS1E_E_NS1_11comp_targetILNS1_3genE3ELNS1_11target_archE908ELNS1_3gpuE7ELNS1_3repE0EEENS1_30default_config_static_selectorELNS0_4arch9wavefront6targetE0EEEvT1_,"axG",@progbits,_ZN7rocprim17ROCPRIM_400000_NS6detail17trampoline_kernelINS0_14default_configENS1_25partition_config_selectorILNS1_17partition_subalgoE6EN6thrust23THRUST_200600_302600_NS5tupleIssNS7_9null_typeES9_S9_S9_S9_S9_S9_S9_EENS0_10empty_typeEbEEZZNS1_14partition_implILS5_6ELb0ES3_mNS7_12zip_iteratorINS8_INS7_6detail15normal_iteratorINS7_10device_ptrIsEEEESJ_S9_S9_S9_S9_S9_S9_S9_S9_EEEEPSB_SM_NS0_5tupleIJNSE_INS8_ISJ_NS7_16discard_iteratorINS7_11use_defaultEEES9_S9_S9_S9_S9_S9_S9_S9_EEEESB_EEENSN_IJSM_SM_EEESB_PlJNSF_9not_fun_tINSF_14equal_to_valueISA_EEEEEEE10hipError_tPvRmT3_T4_T5_T6_T7_T9_mT8_P12ihipStream_tbDpT10_ENKUlT_T0_E_clISt17integral_constantIbLb0EES1I_IbLb1EEEEDaS1E_S1F_EUlS1E_E_NS1_11comp_targetILNS1_3genE3ELNS1_11target_archE908ELNS1_3gpuE7ELNS1_3repE0EEENS1_30default_config_static_selectorELNS0_4arch9wavefront6targetE0EEEvT1_,comdat
	.protected	_ZN7rocprim17ROCPRIM_400000_NS6detail17trampoline_kernelINS0_14default_configENS1_25partition_config_selectorILNS1_17partition_subalgoE6EN6thrust23THRUST_200600_302600_NS5tupleIssNS7_9null_typeES9_S9_S9_S9_S9_S9_S9_EENS0_10empty_typeEbEEZZNS1_14partition_implILS5_6ELb0ES3_mNS7_12zip_iteratorINS8_INS7_6detail15normal_iteratorINS7_10device_ptrIsEEEESJ_S9_S9_S9_S9_S9_S9_S9_S9_EEEEPSB_SM_NS0_5tupleIJNSE_INS8_ISJ_NS7_16discard_iteratorINS7_11use_defaultEEES9_S9_S9_S9_S9_S9_S9_S9_EEEESB_EEENSN_IJSM_SM_EEESB_PlJNSF_9not_fun_tINSF_14equal_to_valueISA_EEEEEEE10hipError_tPvRmT3_T4_T5_T6_T7_T9_mT8_P12ihipStream_tbDpT10_ENKUlT_T0_E_clISt17integral_constantIbLb0EES1I_IbLb1EEEEDaS1E_S1F_EUlS1E_E_NS1_11comp_targetILNS1_3genE3ELNS1_11target_archE908ELNS1_3gpuE7ELNS1_3repE0EEENS1_30default_config_static_selectorELNS0_4arch9wavefront6targetE0EEEvT1_ ; -- Begin function _ZN7rocprim17ROCPRIM_400000_NS6detail17trampoline_kernelINS0_14default_configENS1_25partition_config_selectorILNS1_17partition_subalgoE6EN6thrust23THRUST_200600_302600_NS5tupleIssNS7_9null_typeES9_S9_S9_S9_S9_S9_S9_EENS0_10empty_typeEbEEZZNS1_14partition_implILS5_6ELb0ES3_mNS7_12zip_iteratorINS8_INS7_6detail15normal_iteratorINS7_10device_ptrIsEEEESJ_S9_S9_S9_S9_S9_S9_S9_S9_EEEEPSB_SM_NS0_5tupleIJNSE_INS8_ISJ_NS7_16discard_iteratorINS7_11use_defaultEEES9_S9_S9_S9_S9_S9_S9_S9_EEEESB_EEENSN_IJSM_SM_EEESB_PlJNSF_9not_fun_tINSF_14equal_to_valueISA_EEEEEEE10hipError_tPvRmT3_T4_T5_T6_T7_T9_mT8_P12ihipStream_tbDpT10_ENKUlT_T0_E_clISt17integral_constantIbLb0EES1I_IbLb1EEEEDaS1E_S1F_EUlS1E_E_NS1_11comp_targetILNS1_3genE3ELNS1_11target_archE908ELNS1_3gpuE7ELNS1_3repE0EEENS1_30default_config_static_selectorELNS0_4arch9wavefront6targetE0EEEvT1_
	.globl	_ZN7rocprim17ROCPRIM_400000_NS6detail17trampoline_kernelINS0_14default_configENS1_25partition_config_selectorILNS1_17partition_subalgoE6EN6thrust23THRUST_200600_302600_NS5tupleIssNS7_9null_typeES9_S9_S9_S9_S9_S9_S9_EENS0_10empty_typeEbEEZZNS1_14partition_implILS5_6ELb0ES3_mNS7_12zip_iteratorINS8_INS7_6detail15normal_iteratorINS7_10device_ptrIsEEEESJ_S9_S9_S9_S9_S9_S9_S9_S9_EEEEPSB_SM_NS0_5tupleIJNSE_INS8_ISJ_NS7_16discard_iteratorINS7_11use_defaultEEES9_S9_S9_S9_S9_S9_S9_S9_EEEESB_EEENSN_IJSM_SM_EEESB_PlJNSF_9not_fun_tINSF_14equal_to_valueISA_EEEEEEE10hipError_tPvRmT3_T4_T5_T6_T7_T9_mT8_P12ihipStream_tbDpT10_ENKUlT_T0_E_clISt17integral_constantIbLb0EES1I_IbLb1EEEEDaS1E_S1F_EUlS1E_E_NS1_11comp_targetILNS1_3genE3ELNS1_11target_archE908ELNS1_3gpuE7ELNS1_3repE0EEENS1_30default_config_static_selectorELNS0_4arch9wavefront6targetE0EEEvT1_
	.p2align	8
	.type	_ZN7rocprim17ROCPRIM_400000_NS6detail17trampoline_kernelINS0_14default_configENS1_25partition_config_selectorILNS1_17partition_subalgoE6EN6thrust23THRUST_200600_302600_NS5tupleIssNS7_9null_typeES9_S9_S9_S9_S9_S9_S9_EENS0_10empty_typeEbEEZZNS1_14partition_implILS5_6ELb0ES3_mNS7_12zip_iteratorINS8_INS7_6detail15normal_iteratorINS7_10device_ptrIsEEEESJ_S9_S9_S9_S9_S9_S9_S9_S9_EEEEPSB_SM_NS0_5tupleIJNSE_INS8_ISJ_NS7_16discard_iteratorINS7_11use_defaultEEES9_S9_S9_S9_S9_S9_S9_S9_EEEESB_EEENSN_IJSM_SM_EEESB_PlJNSF_9not_fun_tINSF_14equal_to_valueISA_EEEEEEE10hipError_tPvRmT3_T4_T5_T6_T7_T9_mT8_P12ihipStream_tbDpT10_ENKUlT_T0_E_clISt17integral_constantIbLb0EES1I_IbLb1EEEEDaS1E_S1F_EUlS1E_E_NS1_11comp_targetILNS1_3genE3ELNS1_11target_archE908ELNS1_3gpuE7ELNS1_3repE0EEENS1_30default_config_static_selectorELNS0_4arch9wavefront6targetE0EEEvT1_,@function
_ZN7rocprim17ROCPRIM_400000_NS6detail17trampoline_kernelINS0_14default_configENS1_25partition_config_selectorILNS1_17partition_subalgoE6EN6thrust23THRUST_200600_302600_NS5tupleIssNS7_9null_typeES9_S9_S9_S9_S9_S9_S9_EENS0_10empty_typeEbEEZZNS1_14partition_implILS5_6ELb0ES3_mNS7_12zip_iteratorINS8_INS7_6detail15normal_iteratorINS7_10device_ptrIsEEEESJ_S9_S9_S9_S9_S9_S9_S9_S9_EEEEPSB_SM_NS0_5tupleIJNSE_INS8_ISJ_NS7_16discard_iteratorINS7_11use_defaultEEES9_S9_S9_S9_S9_S9_S9_S9_EEEESB_EEENSN_IJSM_SM_EEESB_PlJNSF_9not_fun_tINSF_14equal_to_valueISA_EEEEEEE10hipError_tPvRmT3_T4_T5_T6_T7_T9_mT8_P12ihipStream_tbDpT10_ENKUlT_T0_E_clISt17integral_constantIbLb0EES1I_IbLb1EEEEDaS1E_S1F_EUlS1E_E_NS1_11comp_targetILNS1_3genE3ELNS1_11target_archE908ELNS1_3gpuE7ELNS1_3repE0EEENS1_30default_config_static_selectorELNS0_4arch9wavefront6targetE0EEEvT1_: ; @_ZN7rocprim17ROCPRIM_400000_NS6detail17trampoline_kernelINS0_14default_configENS1_25partition_config_selectorILNS1_17partition_subalgoE6EN6thrust23THRUST_200600_302600_NS5tupleIssNS7_9null_typeES9_S9_S9_S9_S9_S9_S9_EENS0_10empty_typeEbEEZZNS1_14partition_implILS5_6ELb0ES3_mNS7_12zip_iteratorINS8_INS7_6detail15normal_iteratorINS7_10device_ptrIsEEEESJ_S9_S9_S9_S9_S9_S9_S9_S9_EEEEPSB_SM_NS0_5tupleIJNSE_INS8_ISJ_NS7_16discard_iteratorINS7_11use_defaultEEES9_S9_S9_S9_S9_S9_S9_S9_EEEESB_EEENSN_IJSM_SM_EEESB_PlJNSF_9not_fun_tINSF_14equal_to_valueISA_EEEEEEE10hipError_tPvRmT3_T4_T5_T6_T7_T9_mT8_P12ihipStream_tbDpT10_ENKUlT_T0_E_clISt17integral_constantIbLb0EES1I_IbLb1EEEEDaS1E_S1F_EUlS1E_E_NS1_11comp_targetILNS1_3genE3ELNS1_11target_archE908ELNS1_3gpuE7ELNS1_3repE0EEENS1_30default_config_static_selectorELNS0_4arch9wavefront6targetE0EEEvT1_
; %bb.0:
	.section	.rodata,"a",@progbits
	.p2align	6, 0x0
	.amdhsa_kernel _ZN7rocprim17ROCPRIM_400000_NS6detail17trampoline_kernelINS0_14default_configENS1_25partition_config_selectorILNS1_17partition_subalgoE6EN6thrust23THRUST_200600_302600_NS5tupleIssNS7_9null_typeES9_S9_S9_S9_S9_S9_S9_EENS0_10empty_typeEbEEZZNS1_14partition_implILS5_6ELb0ES3_mNS7_12zip_iteratorINS8_INS7_6detail15normal_iteratorINS7_10device_ptrIsEEEESJ_S9_S9_S9_S9_S9_S9_S9_S9_EEEEPSB_SM_NS0_5tupleIJNSE_INS8_ISJ_NS7_16discard_iteratorINS7_11use_defaultEEES9_S9_S9_S9_S9_S9_S9_S9_EEEESB_EEENSN_IJSM_SM_EEESB_PlJNSF_9not_fun_tINSF_14equal_to_valueISA_EEEEEEE10hipError_tPvRmT3_T4_T5_T6_T7_T9_mT8_P12ihipStream_tbDpT10_ENKUlT_T0_E_clISt17integral_constantIbLb0EES1I_IbLb1EEEEDaS1E_S1F_EUlS1E_E_NS1_11comp_targetILNS1_3genE3ELNS1_11target_archE908ELNS1_3gpuE7ELNS1_3repE0EEENS1_30default_config_static_selectorELNS0_4arch9wavefront6targetE0EEEvT1_
		.amdhsa_group_segment_fixed_size 0
		.amdhsa_private_segment_fixed_size 0
		.amdhsa_kernarg_size 152
		.amdhsa_user_sgpr_count 2
		.amdhsa_user_sgpr_dispatch_ptr 0
		.amdhsa_user_sgpr_queue_ptr 0
		.amdhsa_user_sgpr_kernarg_segment_ptr 1
		.amdhsa_user_sgpr_dispatch_id 0
		.amdhsa_user_sgpr_private_segment_size 0
		.amdhsa_wavefront_size32 1
		.amdhsa_uses_dynamic_stack 0
		.amdhsa_enable_private_segment 0
		.amdhsa_system_sgpr_workgroup_id_x 1
		.amdhsa_system_sgpr_workgroup_id_y 0
		.amdhsa_system_sgpr_workgroup_id_z 0
		.amdhsa_system_sgpr_workgroup_info 0
		.amdhsa_system_vgpr_workitem_id 0
		.amdhsa_next_free_vgpr 1
		.amdhsa_next_free_sgpr 1
		.amdhsa_reserve_vcc 0
		.amdhsa_float_round_mode_32 0
		.amdhsa_float_round_mode_16_64 0
		.amdhsa_float_denorm_mode_32 3
		.amdhsa_float_denorm_mode_16_64 3
		.amdhsa_fp16_overflow 0
		.amdhsa_workgroup_processor_mode 1
		.amdhsa_memory_ordered 1
		.amdhsa_forward_progress 1
		.amdhsa_inst_pref_size 0
		.amdhsa_round_robin_scheduling 0
		.amdhsa_exception_fp_ieee_invalid_op 0
		.amdhsa_exception_fp_denorm_src 0
		.amdhsa_exception_fp_ieee_div_zero 0
		.amdhsa_exception_fp_ieee_overflow 0
		.amdhsa_exception_fp_ieee_underflow 0
		.amdhsa_exception_fp_ieee_inexact 0
		.amdhsa_exception_int_div_zero 0
	.end_amdhsa_kernel
	.section	.text._ZN7rocprim17ROCPRIM_400000_NS6detail17trampoline_kernelINS0_14default_configENS1_25partition_config_selectorILNS1_17partition_subalgoE6EN6thrust23THRUST_200600_302600_NS5tupleIssNS7_9null_typeES9_S9_S9_S9_S9_S9_S9_EENS0_10empty_typeEbEEZZNS1_14partition_implILS5_6ELb0ES3_mNS7_12zip_iteratorINS8_INS7_6detail15normal_iteratorINS7_10device_ptrIsEEEESJ_S9_S9_S9_S9_S9_S9_S9_S9_EEEEPSB_SM_NS0_5tupleIJNSE_INS8_ISJ_NS7_16discard_iteratorINS7_11use_defaultEEES9_S9_S9_S9_S9_S9_S9_S9_EEEESB_EEENSN_IJSM_SM_EEESB_PlJNSF_9not_fun_tINSF_14equal_to_valueISA_EEEEEEE10hipError_tPvRmT3_T4_T5_T6_T7_T9_mT8_P12ihipStream_tbDpT10_ENKUlT_T0_E_clISt17integral_constantIbLb0EES1I_IbLb1EEEEDaS1E_S1F_EUlS1E_E_NS1_11comp_targetILNS1_3genE3ELNS1_11target_archE908ELNS1_3gpuE7ELNS1_3repE0EEENS1_30default_config_static_selectorELNS0_4arch9wavefront6targetE0EEEvT1_,"axG",@progbits,_ZN7rocprim17ROCPRIM_400000_NS6detail17trampoline_kernelINS0_14default_configENS1_25partition_config_selectorILNS1_17partition_subalgoE6EN6thrust23THRUST_200600_302600_NS5tupleIssNS7_9null_typeES9_S9_S9_S9_S9_S9_S9_EENS0_10empty_typeEbEEZZNS1_14partition_implILS5_6ELb0ES3_mNS7_12zip_iteratorINS8_INS7_6detail15normal_iteratorINS7_10device_ptrIsEEEESJ_S9_S9_S9_S9_S9_S9_S9_S9_EEEEPSB_SM_NS0_5tupleIJNSE_INS8_ISJ_NS7_16discard_iteratorINS7_11use_defaultEEES9_S9_S9_S9_S9_S9_S9_S9_EEEESB_EEENSN_IJSM_SM_EEESB_PlJNSF_9not_fun_tINSF_14equal_to_valueISA_EEEEEEE10hipError_tPvRmT3_T4_T5_T6_T7_T9_mT8_P12ihipStream_tbDpT10_ENKUlT_T0_E_clISt17integral_constantIbLb0EES1I_IbLb1EEEEDaS1E_S1F_EUlS1E_E_NS1_11comp_targetILNS1_3genE3ELNS1_11target_archE908ELNS1_3gpuE7ELNS1_3repE0EEENS1_30default_config_static_selectorELNS0_4arch9wavefront6targetE0EEEvT1_,comdat
.Lfunc_end2072:
	.size	_ZN7rocprim17ROCPRIM_400000_NS6detail17trampoline_kernelINS0_14default_configENS1_25partition_config_selectorILNS1_17partition_subalgoE6EN6thrust23THRUST_200600_302600_NS5tupleIssNS7_9null_typeES9_S9_S9_S9_S9_S9_S9_EENS0_10empty_typeEbEEZZNS1_14partition_implILS5_6ELb0ES3_mNS7_12zip_iteratorINS8_INS7_6detail15normal_iteratorINS7_10device_ptrIsEEEESJ_S9_S9_S9_S9_S9_S9_S9_S9_EEEEPSB_SM_NS0_5tupleIJNSE_INS8_ISJ_NS7_16discard_iteratorINS7_11use_defaultEEES9_S9_S9_S9_S9_S9_S9_S9_EEEESB_EEENSN_IJSM_SM_EEESB_PlJNSF_9not_fun_tINSF_14equal_to_valueISA_EEEEEEE10hipError_tPvRmT3_T4_T5_T6_T7_T9_mT8_P12ihipStream_tbDpT10_ENKUlT_T0_E_clISt17integral_constantIbLb0EES1I_IbLb1EEEEDaS1E_S1F_EUlS1E_E_NS1_11comp_targetILNS1_3genE3ELNS1_11target_archE908ELNS1_3gpuE7ELNS1_3repE0EEENS1_30default_config_static_selectorELNS0_4arch9wavefront6targetE0EEEvT1_, .Lfunc_end2072-_ZN7rocprim17ROCPRIM_400000_NS6detail17trampoline_kernelINS0_14default_configENS1_25partition_config_selectorILNS1_17partition_subalgoE6EN6thrust23THRUST_200600_302600_NS5tupleIssNS7_9null_typeES9_S9_S9_S9_S9_S9_S9_EENS0_10empty_typeEbEEZZNS1_14partition_implILS5_6ELb0ES3_mNS7_12zip_iteratorINS8_INS7_6detail15normal_iteratorINS7_10device_ptrIsEEEESJ_S9_S9_S9_S9_S9_S9_S9_S9_EEEEPSB_SM_NS0_5tupleIJNSE_INS8_ISJ_NS7_16discard_iteratorINS7_11use_defaultEEES9_S9_S9_S9_S9_S9_S9_S9_EEEESB_EEENSN_IJSM_SM_EEESB_PlJNSF_9not_fun_tINSF_14equal_to_valueISA_EEEEEEE10hipError_tPvRmT3_T4_T5_T6_T7_T9_mT8_P12ihipStream_tbDpT10_ENKUlT_T0_E_clISt17integral_constantIbLb0EES1I_IbLb1EEEEDaS1E_S1F_EUlS1E_E_NS1_11comp_targetILNS1_3genE3ELNS1_11target_archE908ELNS1_3gpuE7ELNS1_3repE0EEENS1_30default_config_static_selectorELNS0_4arch9wavefront6targetE0EEEvT1_
                                        ; -- End function
	.set _ZN7rocprim17ROCPRIM_400000_NS6detail17trampoline_kernelINS0_14default_configENS1_25partition_config_selectorILNS1_17partition_subalgoE6EN6thrust23THRUST_200600_302600_NS5tupleIssNS7_9null_typeES9_S9_S9_S9_S9_S9_S9_EENS0_10empty_typeEbEEZZNS1_14partition_implILS5_6ELb0ES3_mNS7_12zip_iteratorINS8_INS7_6detail15normal_iteratorINS7_10device_ptrIsEEEESJ_S9_S9_S9_S9_S9_S9_S9_S9_EEEEPSB_SM_NS0_5tupleIJNSE_INS8_ISJ_NS7_16discard_iteratorINS7_11use_defaultEEES9_S9_S9_S9_S9_S9_S9_S9_EEEESB_EEENSN_IJSM_SM_EEESB_PlJNSF_9not_fun_tINSF_14equal_to_valueISA_EEEEEEE10hipError_tPvRmT3_T4_T5_T6_T7_T9_mT8_P12ihipStream_tbDpT10_ENKUlT_T0_E_clISt17integral_constantIbLb0EES1I_IbLb1EEEEDaS1E_S1F_EUlS1E_E_NS1_11comp_targetILNS1_3genE3ELNS1_11target_archE908ELNS1_3gpuE7ELNS1_3repE0EEENS1_30default_config_static_selectorELNS0_4arch9wavefront6targetE0EEEvT1_.num_vgpr, 0
	.set _ZN7rocprim17ROCPRIM_400000_NS6detail17trampoline_kernelINS0_14default_configENS1_25partition_config_selectorILNS1_17partition_subalgoE6EN6thrust23THRUST_200600_302600_NS5tupleIssNS7_9null_typeES9_S9_S9_S9_S9_S9_S9_EENS0_10empty_typeEbEEZZNS1_14partition_implILS5_6ELb0ES3_mNS7_12zip_iteratorINS8_INS7_6detail15normal_iteratorINS7_10device_ptrIsEEEESJ_S9_S9_S9_S9_S9_S9_S9_S9_EEEEPSB_SM_NS0_5tupleIJNSE_INS8_ISJ_NS7_16discard_iteratorINS7_11use_defaultEEES9_S9_S9_S9_S9_S9_S9_S9_EEEESB_EEENSN_IJSM_SM_EEESB_PlJNSF_9not_fun_tINSF_14equal_to_valueISA_EEEEEEE10hipError_tPvRmT3_T4_T5_T6_T7_T9_mT8_P12ihipStream_tbDpT10_ENKUlT_T0_E_clISt17integral_constantIbLb0EES1I_IbLb1EEEEDaS1E_S1F_EUlS1E_E_NS1_11comp_targetILNS1_3genE3ELNS1_11target_archE908ELNS1_3gpuE7ELNS1_3repE0EEENS1_30default_config_static_selectorELNS0_4arch9wavefront6targetE0EEEvT1_.num_agpr, 0
	.set _ZN7rocprim17ROCPRIM_400000_NS6detail17trampoline_kernelINS0_14default_configENS1_25partition_config_selectorILNS1_17partition_subalgoE6EN6thrust23THRUST_200600_302600_NS5tupleIssNS7_9null_typeES9_S9_S9_S9_S9_S9_S9_EENS0_10empty_typeEbEEZZNS1_14partition_implILS5_6ELb0ES3_mNS7_12zip_iteratorINS8_INS7_6detail15normal_iteratorINS7_10device_ptrIsEEEESJ_S9_S9_S9_S9_S9_S9_S9_S9_EEEEPSB_SM_NS0_5tupleIJNSE_INS8_ISJ_NS7_16discard_iteratorINS7_11use_defaultEEES9_S9_S9_S9_S9_S9_S9_S9_EEEESB_EEENSN_IJSM_SM_EEESB_PlJNSF_9not_fun_tINSF_14equal_to_valueISA_EEEEEEE10hipError_tPvRmT3_T4_T5_T6_T7_T9_mT8_P12ihipStream_tbDpT10_ENKUlT_T0_E_clISt17integral_constantIbLb0EES1I_IbLb1EEEEDaS1E_S1F_EUlS1E_E_NS1_11comp_targetILNS1_3genE3ELNS1_11target_archE908ELNS1_3gpuE7ELNS1_3repE0EEENS1_30default_config_static_selectorELNS0_4arch9wavefront6targetE0EEEvT1_.numbered_sgpr, 0
	.set _ZN7rocprim17ROCPRIM_400000_NS6detail17trampoline_kernelINS0_14default_configENS1_25partition_config_selectorILNS1_17partition_subalgoE6EN6thrust23THRUST_200600_302600_NS5tupleIssNS7_9null_typeES9_S9_S9_S9_S9_S9_S9_EENS0_10empty_typeEbEEZZNS1_14partition_implILS5_6ELb0ES3_mNS7_12zip_iteratorINS8_INS7_6detail15normal_iteratorINS7_10device_ptrIsEEEESJ_S9_S9_S9_S9_S9_S9_S9_S9_EEEEPSB_SM_NS0_5tupleIJNSE_INS8_ISJ_NS7_16discard_iteratorINS7_11use_defaultEEES9_S9_S9_S9_S9_S9_S9_S9_EEEESB_EEENSN_IJSM_SM_EEESB_PlJNSF_9not_fun_tINSF_14equal_to_valueISA_EEEEEEE10hipError_tPvRmT3_T4_T5_T6_T7_T9_mT8_P12ihipStream_tbDpT10_ENKUlT_T0_E_clISt17integral_constantIbLb0EES1I_IbLb1EEEEDaS1E_S1F_EUlS1E_E_NS1_11comp_targetILNS1_3genE3ELNS1_11target_archE908ELNS1_3gpuE7ELNS1_3repE0EEENS1_30default_config_static_selectorELNS0_4arch9wavefront6targetE0EEEvT1_.num_named_barrier, 0
	.set _ZN7rocprim17ROCPRIM_400000_NS6detail17trampoline_kernelINS0_14default_configENS1_25partition_config_selectorILNS1_17partition_subalgoE6EN6thrust23THRUST_200600_302600_NS5tupleIssNS7_9null_typeES9_S9_S9_S9_S9_S9_S9_EENS0_10empty_typeEbEEZZNS1_14partition_implILS5_6ELb0ES3_mNS7_12zip_iteratorINS8_INS7_6detail15normal_iteratorINS7_10device_ptrIsEEEESJ_S9_S9_S9_S9_S9_S9_S9_S9_EEEEPSB_SM_NS0_5tupleIJNSE_INS8_ISJ_NS7_16discard_iteratorINS7_11use_defaultEEES9_S9_S9_S9_S9_S9_S9_S9_EEEESB_EEENSN_IJSM_SM_EEESB_PlJNSF_9not_fun_tINSF_14equal_to_valueISA_EEEEEEE10hipError_tPvRmT3_T4_T5_T6_T7_T9_mT8_P12ihipStream_tbDpT10_ENKUlT_T0_E_clISt17integral_constantIbLb0EES1I_IbLb1EEEEDaS1E_S1F_EUlS1E_E_NS1_11comp_targetILNS1_3genE3ELNS1_11target_archE908ELNS1_3gpuE7ELNS1_3repE0EEENS1_30default_config_static_selectorELNS0_4arch9wavefront6targetE0EEEvT1_.private_seg_size, 0
	.set _ZN7rocprim17ROCPRIM_400000_NS6detail17trampoline_kernelINS0_14default_configENS1_25partition_config_selectorILNS1_17partition_subalgoE6EN6thrust23THRUST_200600_302600_NS5tupleIssNS7_9null_typeES9_S9_S9_S9_S9_S9_S9_EENS0_10empty_typeEbEEZZNS1_14partition_implILS5_6ELb0ES3_mNS7_12zip_iteratorINS8_INS7_6detail15normal_iteratorINS7_10device_ptrIsEEEESJ_S9_S9_S9_S9_S9_S9_S9_S9_EEEEPSB_SM_NS0_5tupleIJNSE_INS8_ISJ_NS7_16discard_iteratorINS7_11use_defaultEEES9_S9_S9_S9_S9_S9_S9_S9_EEEESB_EEENSN_IJSM_SM_EEESB_PlJNSF_9not_fun_tINSF_14equal_to_valueISA_EEEEEEE10hipError_tPvRmT3_T4_T5_T6_T7_T9_mT8_P12ihipStream_tbDpT10_ENKUlT_T0_E_clISt17integral_constantIbLb0EES1I_IbLb1EEEEDaS1E_S1F_EUlS1E_E_NS1_11comp_targetILNS1_3genE3ELNS1_11target_archE908ELNS1_3gpuE7ELNS1_3repE0EEENS1_30default_config_static_selectorELNS0_4arch9wavefront6targetE0EEEvT1_.uses_vcc, 0
	.set _ZN7rocprim17ROCPRIM_400000_NS6detail17trampoline_kernelINS0_14default_configENS1_25partition_config_selectorILNS1_17partition_subalgoE6EN6thrust23THRUST_200600_302600_NS5tupleIssNS7_9null_typeES9_S9_S9_S9_S9_S9_S9_EENS0_10empty_typeEbEEZZNS1_14partition_implILS5_6ELb0ES3_mNS7_12zip_iteratorINS8_INS7_6detail15normal_iteratorINS7_10device_ptrIsEEEESJ_S9_S9_S9_S9_S9_S9_S9_S9_EEEEPSB_SM_NS0_5tupleIJNSE_INS8_ISJ_NS7_16discard_iteratorINS7_11use_defaultEEES9_S9_S9_S9_S9_S9_S9_S9_EEEESB_EEENSN_IJSM_SM_EEESB_PlJNSF_9not_fun_tINSF_14equal_to_valueISA_EEEEEEE10hipError_tPvRmT3_T4_T5_T6_T7_T9_mT8_P12ihipStream_tbDpT10_ENKUlT_T0_E_clISt17integral_constantIbLb0EES1I_IbLb1EEEEDaS1E_S1F_EUlS1E_E_NS1_11comp_targetILNS1_3genE3ELNS1_11target_archE908ELNS1_3gpuE7ELNS1_3repE0EEENS1_30default_config_static_selectorELNS0_4arch9wavefront6targetE0EEEvT1_.uses_flat_scratch, 0
	.set _ZN7rocprim17ROCPRIM_400000_NS6detail17trampoline_kernelINS0_14default_configENS1_25partition_config_selectorILNS1_17partition_subalgoE6EN6thrust23THRUST_200600_302600_NS5tupleIssNS7_9null_typeES9_S9_S9_S9_S9_S9_S9_EENS0_10empty_typeEbEEZZNS1_14partition_implILS5_6ELb0ES3_mNS7_12zip_iteratorINS8_INS7_6detail15normal_iteratorINS7_10device_ptrIsEEEESJ_S9_S9_S9_S9_S9_S9_S9_S9_EEEEPSB_SM_NS0_5tupleIJNSE_INS8_ISJ_NS7_16discard_iteratorINS7_11use_defaultEEES9_S9_S9_S9_S9_S9_S9_S9_EEEESB_EEENSN_IJSM_SM_EEESB_PlJNSF_9not_fun_tINSF_14equal_to_valueISA_EEEEEEE10hipError_tPvRmT3_T4_T5_T6_T7_T9_mT8_P12ihipStream_tbDpT10_ENKUlT_T0_E_clISt17integral_constantIbLb0EES1I_IbLb1EEEEDaS1E_S1F_EUlS1E_E_NS1_11comp_targetILNS1_3genE3ELNS1_11target_archE908ELNS1_3gpuE7ELNS1_3repE0EEENS1_30default_config_static_selectorELNS0_4arch9wavefront6targetE0EEEvT1_.has_dyn_sized_stack, 0
	.set _ZN7rocprim17ROCPRIM_400000_NS6detail17trampoline_kernelINS0_14default_configENS1_25partition_config_selectorILNS1_17partition_subalgoE6EN6thrust23THRUST_200600_302600_NS5tupleIssNS7_9null_typeES9_S9_S9_S9_S9_S9_S9_EENS0_10empty_typeEbEEZZNS1_14partition_implILS5_6ELb0ES3_mNS7_12zip_iteratorINS8_INS7_6detail15normal_iteratorINS7_10device_ptrIsEEEESJ_S9_S9_S9_S9_S9_S9_S9_S9_EEEEPSB_SM_NS0_5tupleIJNSE_INS8_ISJ_NS7_16discard_iteratorINS7_11use_defaultEEES9_S9_S9_S9_S9_S9_S9_S9_EEEESB_EEENSN_IJSM_SM_EEESB_PlJNSF_9not_fun_tINSF_14equal_to_valueISA_EEEEEEE10hipError_tPvRmT3_T4_T5_T6_T7_T9_mT8_P12ihipStream_tbDpT10_ENKUlT_T0_E_clISt17integral_constantIbLb0EES1I_IbLb1EEEEDaS1E_S1F_EUlS1E_E_NS1_11comp_targetILNS1_3genE3ELNS1_11target_archE908ELNS1_3gpuE7ELNS1_3repE0EEENS1_30default_config_static_selectorELNS0_4arch9wavefront6targetE0EEEvT1_.has_recursion, 0
	.set _ZN7rocprim17ROCPRIM_400000_NS6detail17trampoline_kernelINS0_14default_configENS1_25partition_config_selectorILNS1_17partition_subalgoE6EN6thrust23THRUST_200600_302600_NS5tupleIssNS7_9null_typeES9_S9_S9_S9_S9_S9_S9_EENS0_10empty_typeEbEEZZNS1_14partition_implILS5_6ELb0ES3_mNS7_12zip_iteratorINS8_INS7_6detail15normal_iteratorINS7_10device_ptrIsEEEESJ_S9_S9_S9_S9_S9_S9_S9_S9_EEEEPSB_SM_NS0_5tupleIJNSE_INS8_ISJ_NS7_16discard_iteratorINS7_11use_defaultEEES9_S9_S9_S9_S9_S9_S9_S9_EEEESB_EEENSN_IJSM_SM_EEESB_PlJNSF_9not_fun_tINSF_14equal_to_valueISA_EEEEEEE10hipError_tPvRmT3_T4_T5_T6_T7_T9_mT8_P12ihipStream_tbDpT10_ENKUlT_T0_E_clISt17integral_constantIbLb0EES1I_IbLb1EEEEDaS1E_S1F_EUlS1E_E_NS1_11comp_targetILNS1_3genE3ELNS1_11target_archE908ELNS1_3gpuE7ELNS1_3repE0EEENS1_30default_config_static_selectorELNS0_4arch9wavefront6targetE0EEEvT1_.has_indirect_call, 0
	.section	.AMDGPU.csdata,"",@progbits
; Kernel info:
; codeLenInByte = 0
; TotalNumSgprs: 0
; NumVgprs: 0
; ScratchSize: 0
; MemoryBound: 0
; FloatMode: 240
; IeeeMode: 1
; LDSByteSize: 0 bytes/workgroup (compile time only)
; SGPRBlocks: 0
; VGPRBlocks: 0
; NumSGPRsForWavesPerEU: 1
; NumVGPRsForWavesPerEU: 1
; Occupancy: 16
; WaveLimiterHint : 0
; COMPUTE_PGM_RSRC2:SCRATCH_EN: 0
; COMPUTE_PGM_RSRC2:USER_SGPR: 2
; COMPUTE_PGM_RSRC2:TRAP_HANDLER: 0
; COMPUTE_PGM_RSRC2:TGID_X_EN: 1
; COMPUTE_PGM_RSRC2:TGID_Y_EN: 0
; COMPUTE_PGM_RSRC2:TGID_Z_EN: 0
; COMPUTE_PGM_RSRC2:TIDIG_COMP_CNT: 0
	.section	.text._ZN7rocprim17ROCPRIM_400000_NS6detail17trampoline_kernelINS0_14default_configENS1_25partition_config_selectorILNS1_17partition_subalgoE6EN6thrust23THRUST_200600_302600_NS5tupleIssNS7_9null_typeES9_S9_S9_S9_S9_S9_S9_EENS0_10empty_typeEbEEZZNS1_14partition_implILS5_6ELb0ES3_mNS7_12zip_iteratorINS8_INS7_6detail15normal_iteratorINS7_10device_ptrIsEEEESJ_S9_S9_S9_S9_S9_S9_S9_S9_EEEEPSB_SM_NS0_5tupleIJNSE_INS8_ISJ_NS7_16discard_iteratorINS7_11use_defaultEEES9_S9_S9_S9_S9_S9_S9_S9_EEEESB_EEENSN_IJSM_SM_EEESB_PlJNSF_9not_fun_tINSF_14equal_to_valueISA_EEEEEEE10hipError_tPvRmT3_T4_T5_T6_T7_T9_mT8_P12ihipStream_tbDpT10_ENKUlT_T0_E_clISt17integral_constantIbLb0EES1I_IbLb1EEEEDaS1E_S1F_EUlS1E_E_NS1_11comp_targetILNS1_3genE2ELNS1_11target_archE906ELNS1_3gpuE6ELNS1_3repE0EEENS1_30default_config_static_selectorELNS0_4arch9wavefront6targetE0EEEvT1_,"axG",@progbits,_ZN7rocprim17ROCPRIM_400000_NS6detail17trampoline_kernelINS0_14default_configENS1_25partition_config_selectorILNS1_17partition_subalgoE6EN6thrust23THRUST_200600_302600_NS5tupleIssNS7_9null_typeES9_S9_S9_S9_S9_S9_S9_EENS0_10empty_typeEbEEZZNS1_14partition_implILS5_6ELb0ES3_mNS7_12zip_iteratorINS8_INS7_6detail15normal_iteratorINS7_10device_ptrIsEEEESJ_S9_S9_S9_S9_S9_S9_S9_S9_EEEEPSB_SM_NS0_5tupleIJNSE_INS8_ISJ_NS7_16discard_iteratorINS7_11use_defaultEEES9_S9_S9_S9_S9_S9_S9_S9_EEEESB_EEENSN_IJSM_SM_EEESB_PlJNSF_9not_fun_tINSF_14equal_to_valueISA_EEEEEEE10hipError_tPvRmT3_T4_T5_T6_T7_T9_mT8_P12ihipStream_tbDpT10_ENKUlT_T0_E_clISt17integral_constantIbLb0EES1I_IbLb1EEEEDaS1E_S1F_EUlS1E_E_NS1_11comp_targetILNS1_3genE2ELNS1_11target_archE906ELNS1_3gpuE6ELNS1_3repE0EEENS1_30default_config_static_selectorELNS0_4arch9wavefront6targetE0EEEvT1_,comdat
	.protected	_ZN7rocprim17ROCPRIM_400000_NS6detail17trampoline_kernelINS0_14default_configENS1_25partition_config_selectorILNS1_17partition_subalgoE6EN6thrust23THRUST_200600_302600_NS5tupleIssNS7_9null_typeES9_S9_S9_S9_S9_S9_S9_EENS0_10empty_typeEbEEZZNS1_14partition_implILS5_6ELb0ES3_mNS7_12zip_iteratorINS8_INS7_6detail15normal_iteratorINS7_10device_ptrIsEEEESJ_S9_S9_S9_S9_S9_S9_S9_S9_EEEEPSB_SM_NS0_5tupleIJNSE_INS8_ISJ_NS7_16discard_iteratorINS7_11use_defaultEEES9_S9_S9_S9_S9_S9_S9_S9_EEEESB_EEENSN_IJSM_SM_EEESB_PlJNSF_9not_fun_tINSF_14equal_to_valueISA_EEEEEEE10hipError_tPvRmT3_T4_T5_T6_T7_T9_mT8_P12ihipStream_tbDpT10_ENKUlT_T0_E_clISt17integral_constantIbLb0EES1I_IbLb1EEEEDaS1E_S1F_EUlS1E_E_NS1_11comp_targetILNS1_3genE2ELNS1_11target_archE906ELNS1_3gpuE6ELNS1_3repE0EEENS1_30default_config_static_selectorELNS0_4arch9wavefront6targetE0EEEvT1_ ; -- Begin function _ZN7rocprim17ROCPRIM_400000_NS6detail17trampoline_kernelINS0_14default_configENS1_25partition_config_selectorILNS1_17partition_subalgoE6EN6thrust23THRUST_200600_302600_NS5tupleIssNS7_9null_typeES9_S9_S9_S9_S9_S9_S9_EENS0_10empty_typeEbEEZZNS1_14partition_implILS5_6ELb0ES3_mNS7_12zip_iteratorINS8_INS7_6detail15normal_iteratorINS7_10device_ptrIsEEEESJ_S9_S9_S9_S9_S9_S9_S9_S9_EEEEPSB_SM_NS0_5tupleIJNSE_INS8_ISJ_NS7_16discard_iteratorINS7_11use_defaultEEES9_S9_S9_S9_S9_S9_S9_S9_EEEESB_EEENSN_IJSM_SM_EEESB_PlJNSF_9not_fun_tINSF_14equal_to_valueISA_EEEEEEE10hipError_tPvRmT3_T4_T5_T6_T7_T9_mT8_P12ihipStream_tbDpT10_ENKUlT_T0_E_clISt17integral_constantIbLb0EES1I_IbLb1EEEEDaS1E_S1F_EUlS1E_E_NS1_11comp_targetILNS1_3genE2ELNS1_11target_archE906ELNS1_3gpuE6ELNS1_3repE0EEENS1_30default_config_static_selectorELNS0_4arch9wavefront6targetE0EEEvT1_
	.globl	_ZN7rocprim17ROCPRIM_400000_NS6detail17trampoline_kernelINS0_14default_configENS1_25partition_config_selectorILNS1_17partition_subalgoE6EN6thrust23THRUST_200600_302600_NS5tupleIssNS7_9null_typeES9_S9_S9_S9_S9_S9_S9_EENS0_10empty_typeEbEEZZNS1_14partition_implILS5_6ELb0ES3_mNS7_12zip_iteratorINS8_INS7_6detail15normal_iteratorINS7_10device_ptrIsEEEESJ_S9_S9_S9_S9_S9_S9_S9_S9_EEEEPSB_SM_NS0_5tupleIJNSE_INS8_ISJ_NS7_16discard_iteratorINS7_11use_defaultEEES9_S9_S9_S9_S9_S9_S9_S9_EEEESB_EEENSN_IJSM_SM_EEESB_PlJNSF_9not_fun_tINSF_14equal_to_valueISA_EEEEEEE10hipError_tPvRmT3_T4_T5_T6_T7_T9_mT8_P12ihipStream_tbDpT10_ENKUlT_T0_E_clISt17integral_constantIbLb0EES1I_IbLb1EEEEDaS1E_S1F_EUlS1E_E_NS1_11comp_targetILNS1_3genE2ELNS1_11target_archE906ELNS1_3gpuE6ELNS1_3repE0EEENS1_30default_config_static_selectorELNS0_4arch9wavefront6targetE0EEEvT1_
	.p2align	8
	.type	_ZN7rocprim17ROCPRIM_400000_NS6detail17trampoline_kernelINS0_14default_configENS1_25partition_config_selectorILNS1_17partition_subalgoE6EN6thrust23THRUST_200600_302600_NS5tupleIssNS7_9null_typeES9_S9_S9_S9_S9_S9_S9_EENS0_10empty_typeEbEEZZNS1_14partition_implILS5_6ELb0ES3_mNS7_12zip_iteratorINS8_INS7_6detail15normal_iteratorINS7_10device_ptrIsEEEESJ_S9_S9_S9_S9_S9_S9_S9_S9_EEEEPSB_SM_NS0_5tupleIJNSE_INS8_ISJ_NS7_16discard_iteratorINS7_11use_defaultEEES9_S9_S9_S9_S9_S9_S9_S9_EEEESB_EEENSN_IJSM_SM_EEESB_PlJNSF_9not_fun_tINSF_14equal_to_valueISA_EEEEEEE10hipError_tPvRmT3_T4_T5_T6_T7_T9_mT8_P12ihipStream_tbDpT10_ENKUlT_T0_E_clISt17integral_constantIbLb0EES1I_IbLb1EEEEDaS1E_S1F_EUlS1E_E_NS1_11comp_targetILNS1_3genE2ELNS1_11target_archE906ELNS1_3gpuE6ELNS1_3repE0EEENS1_30default_config_static_selectorELNS0_4arch9wavefront6targetE0EEEvT1_,@function
_ZN7rocprim17ROCPRIM_400000_NS6detail17trampoline_kernelINS0_14default_configENS1_25partition_config_selectorILNS1_17partition_subalgoE6EN6thrust23THRUST_200600_302600_NS5tupleIssNS7_9null_typeES9_S9_S9_S9_S9_S9_S9_EENS0_10empty_typeEbEEZZNS1_14partition_implILS5_6ELb0ES3_mNS7_12zip_iteratorINS8_INS7_6detail15normal_iteratorINS7_10device_ptrIsEEEESJ_S9_S9_S9_S9_S9_S9_S9_S9_EEEEPSB_SM_NS0_5tupleIJNSE_INS8_ISJ_NS7_16discard_iteratorINS7_11use_defaultEEES9_S9_S9_S9_S9_S9_S9_S9_EEEESB_EEENSN_IJSM_SM_EEESB_PlJNSF_9not_fun_tINSF_14equal_to_valueISA_EEEEEEE10hipError_tPvRmT3_T4_T5_T6_T7_T9_mT8_P12ihipStream_tbDpT10_ENKUlT_T0_E_clISt17integral_constantIbLb0EES1I_IbLb1EEEEDaS1E_S1F_EUlS1E_E_NS1_11comp_targetILNS1_3genE2ELNS1_11target_archE906ELNS1_3gpuE6ELNS1_3repE0EEENS1_30default_config_static_selectorELNS0_4arch9wavefront6targetE0EEEvT1_: ; @_ZN7rocprim17ROCPRIM_400000_NS6detail17trampoline_kernelINS0_14default_configENS1_25partition_config_selectorILNS1_17partition_subalgoE6EN6thrust23THRUST_200600_302600_NS5tupleIssNS7_9null_typeES9_S9_S9_S9_S9_S9_S9_EENS0_10empty_typeEbEEZZNS1_14partition_implILS5_6ELb0ES3_mNS7_12zip_iteratorINS8_INS7_6detail15normal_iteratorINS7_10device_ptrIsEEEESJ_S9_S9_S9_S9_S9_S9_S9_S9_EEEEPSB_SM_NS0_5tupleIJNSE_INS8_ISJ_NS7_16discard_iteratorINS7_11use_defaultEEES9_S9_S9_S9_S9_S9_S9_S9_EEEESB_EEENSN_IJSM_SM_EEESB_PlJNSF_9not_fun_tINSF_14equal_to_valueISA_EEEEEEE10hipError_tPvRmT3_T4_T5_T6_T7_T9_mT8_P12ihipStream_tbDpT10_ENKUlT_T0_E_clISt17integral_constantIbLb0EES1I_IbLb1EEEEDaS1E_S1F_EUlS1E_E_NS1_11comp_targetILNS1_3genE2ELNS1_11target_archE906ELNS1_3gpuE6ELNS1_3repE0EEENS1_30default_config_static_selectorELNS0_4arch9wavefront6targetE0EEEvT1_
; %bb.0:
	.section	.rodata,"a",@progbits
	.p2align	6, 0x0
	.amdhsa_kernel _ZN7rocprim17ROCPRIM_400000_NS6detail17trampoline_kernelINS0_14default_configENS1_25partition_config_selectorILNS1_17partition_subalgoE6EN6thrust23THRUST_200600_302600_NS5tupleIssNS7_9null_typeES9_S9_S9_S9_S9_S9_S9_EENS0_10empty_typeEbEEZZNS1_14partition_implILS5_6ELb0ES3_mNS7_12zip_iteratorINS8_INS7_6detail15normal_iteratorINS7_10device_ptrIsEEEESJ_S9_S9_S9_S9_S9_S9_S9_S9_EEEEPSB_SM_NS0_5tupleIJNSE_INS8_ISJ_NS7_16discard_iteratorINS7_11use_defaultEEES9_S9_S9_S9_S9_S9_S9_S9_EEEESB_EEENSN_IJSM_SM_EEESB_PlJNSF_9not_fun_tINSF_14equal_to_valueISA_EEEEEEE10hipError_tPvRmT3_T4_T5_T6_T7_T9_mT8_P12ihipStream_tbDpT10_ENKUlT_T0_E_clISt17integral_constantIbLb0EES1I_IbLb1EEEEDaS1E_S1F_EUlS1E_E_NS1_11comp_targetILNS1_3genE2ELNS1_11target_archE906ELNS1_3gpuE6ELNS1_3repE0EEENS1_30default_config_static_selectorELNS0_4arch9wavefront6targetE0EEEvT1_
		.amdhsa_group_segment_fixed_size 0
		.amdhsa_private_segment_fixed_size 0
		.amdhsa_kernarg_size 152
		.amdhsa_user_sgpr_count 2
		.amdhsa_user_sgpr_dispatch_ptr 0
		.amdhsa_user_sgpr_queue_ptr 0
		.amdhsa_user_sgpr_kernarg_segment_ptr 1
		.amdhsa_user_sgpr_dispatch_id 0
		.amdhsa_user_sgpr_private_segment_size 0
		.amdhsa_wavefront_size32 1
		.amdhsa_uses_dynamic_stack 0
		.amdhsa_enable_private_segment 0
		.amdhsa_system_sgpr_workgroup_id_x 1
		.amdhsa_system_sgpr_workgroup_id_y 0
		.amdhsa_system_sgpr_workgroup_id_z 0
		.amdhsa_system_sgpr_workgroup_info 0
		.amdhsa_system_vgpr_workitem_id 0
		.amdhsa_next_free_vgpr 1
		.amdhsa_next_free_sgpr 1
		.amdhsa_reserve_vcc 0
		.amdhsa_float_round_mode_32 0
		.amdhsa_float_round_mode_16_64 0
		.amdhsa_float_denorm_mode_32 3
		.amdhsa_float_denorm_mode_16_64 3
		.amdhsa_fp16_overflow 0
		.amdhsa_workgroup_processor_mode 1
		.amdhsa_memory_ordered 1
		.amdhsa_forward_progress 1
		.amdhsa_inst_pref_size 0
		.amdhsa_round_robin_scheduling 0
		.amdhsa_exception_fp_ieee_invalid_op 0
		.amdhsa_exception_fp_denorm_src 0
		.amdhsa_exception_fp_ieee_div_zero 0
		.amdhsa_exception_fp_ieee_overflow 0
		.amdhsa_exception_fp_ieee_underflow 0
		.amdhsa_exception_fp_ieee_inexact 0
		.amdhsa_exception_int_div_zero 0
	.end_amdhsa_kernel
	.section	.text._ZN7rocprim17ROCPRIM_400000_NS6detail17trampoline_kernelINS0_14default_configENS1_25partition_config_selectorILNS1_17partition_subalgoE6EN6thrust23THRUST_200600_302600_NS5tupleIssNS7_9null_typeES9_S9_S9_S9_S9_S9_S9_EENS0_10empty_typeEbEEZZNS1_14partition_implILS5_6ELb0ES3_mNS7_12zip_iteratorINS8_INS7_6detail15normal_iteratorINS7_10device_ptrIsEEEESJ_S9_S9_S9_S9_S9_S9_S9_S9_EEEEPSB_SM_NS0_5tupleIJNSE_INS8_ISJ_NS7_16discard_iteratorINS7_11use_defaultEEES9_S9_S9_S9_S9_S9_S9_S9_EEEESB_EEENSN_IJSM_SM_EEESB_PlJNSF_9not_fun_tINSF_14equal_to_valueISA_EEEEEEE10hipError_tPvRmT3_T4_T5_T6_T7_T9_mT8_P12ihipStream_tbDpT10_ENKUlT_T0_E_clISt17integral_constantIbLb0EES1I_IbLb1EEEEDaS1E_S1F_EUlS1E_E_NS1_11comp_targetILNS1_3genE2ELNS1_11target_archE906ELNS1_3gpuE6ELNS1_3repE0EEENS1_30default_config_static_selectorELNS0_4arch9wavefront6targetE0EEEvT1_,"axG",@progbits,_ZN7rocprim17ROCPRIM_400000_NS6detail17trampoline_kernelINS0_14default_configENS1_25partition_config_selectorILNS1_17partition_subalgoE6EN6thrust23THRUST_200600_302600_NS5tupleIssNS7_9null_typeES9_S9_S9_S9_S9_S9_S9_EENS0_10empty_typeEbEEZZNS1_14partition_implILS5_6ELb0ES3_mNS7_12zip_iteratorINS8_INS7_6detail15normal_iteratorINS7_10device_ptrIsEEEESJ_S9_S9_S9_S9_S9_S9_S9_S9_EEEEPSB_SM_NS0_5tupleIJNSE_INS8_ISJ_NS7_16discard_iteratorINS7_11use_defaultEEES9_S9_S9_S9_S9_S9_S9_S9_EEEESB_EEENSN_IJSM_SM_EEESB_PlJNSF_9not_fun_tINSF_14equal_to_valueISA_EEEEEEE10hipError_tPvRmT3_T4_T5_T6_T7_T9_mT8_P12ihipStream_tbDpT10_ENKUlT_T0_E_clISt17integral_constantIbLb0EES1I_IbLb1EEEEDaS1E_S1F_EUlS1E_E_NS1_11comp_targetILNS1_3genE2ELNS1_11target_archE906ELNS1_3gpuE6ELNS1_3repE0EEENS1_30default_config_static_selectorELNS0_4arch9wavefront6targetE0EEEvT1_,comdat
.Lfunc_end2073:
	.size	_ZN7rocprim17ROCPRIM_400000_NS6detail17trampoline_kernelINS0_14default_configENS1_25partition_config_selectorILNS1_17partition_subalgoE6EN6thrust23THRUST_200600_302600_NS5tupleIssNS7_9null_typeES9_S9_S9_S9_S9_S9_S9_EENS0_10empty_typeEbEEZZNS1_14partition_implILS5_6ELb0ES3_mNS7_12zip_iteratorINS8_INS7_6detail15normal_iteratorINS7_10device_ptrIsEEEESJ_S9_S9_S9_S9_S9_S9_S9_S9_EEEEPSB_SM_NS0_5tupleIJNSE_INS8_ISJ_NS7_16discard_iteratorINS7_11use_defaultEEES9_S9_S9_S9_S9_S9_S9_S9_EEEESB_EEENSN_IJSM_SM_EEESB_PlJNSF_9not_fun_tINSF_14equal_to_valueISA_EEEEEEE10hipError_tPvRmT3_T4_T5_T6_T7_T9_mT8_P12ihipStream_tbDpT10_ENKUlT_T0_E_clISt17integral_constantIbLb0EES1I_IbLb1EEEEDaS1E_S1F_EUlS1E_E_NS1_11comp_targetILNS1_3genE2ELNS1_11target_archE906ELNS1_3gpuE6ELNS1_3repE0EEENS1_30default_config_static_selectorELNS0_4arch9wavefront6targetE0EEEvT1_, .Lfunc_end2073-_ZN7rocprim17ROCPRIM_400000_NS6detail17trampoline_kernelINS0_14default_configENS1_25partition_config_selectorILNS1_17partition_subalgoE6EN6thrust23THRUST_200600_302600_NS5tupleIssNS7_9null_typeES9_S9_S9_S9_S9_S9_S9_EENS0_10empty_typeEbEEZZNS1_14partition_implILS5_6ELb0ES3_mNS7_12zip_iteratorINS8_INS7_6detail15normal_iteratorINS7_10device_ptrIsEEEESJ_S9_S9_S9_S9_S9_S9_S9_S9_EEEEPSB_SM_NS0_5tupleIJNSE_INS8_ISJ_NS7_16discard_iteratorINS7_11use_defaultEEES9_S9_S9_S9_S9_S9_S9_S9_EEEESB_EEENSN_IJSM_SM_EEESB_PlJNSF_9not_fun_tINSF_14equal_to_valueISA_EEEEEEE10hipError_tPvRmT3_T4_T5_T6_T7_T9_mT8_P12ihipStream_tbDpT10_ENKUlT_T0_E_clISt17integral_constantIbLb0EES1I_IbLb1EEEEDaS1E_S1F_EUlS1E_E_NS1_11comp_targetILNS1_3genE2ELNS1_11target_archE906ELNS1_3gpuE6ELNS1_3repE0EEENS1_30default_config_static_selectorELNS0_4arch9wavefront6targetE0EEEvT1_
                                        ; -- End function
	.set _ZN7rocprim17ROCPRIM_400000_NS6detail17trampoline_kernelINS0_14default_configENS1_25partition_config_selectorILNS1_17partition_subalgoE6EN6thrust23THRUST_200600_302600_NS5tupleIssNS7_9null_typeES9_S9_S9_S9_S9_S9_S9_EENS0_10empty_typeEbEEZZNS1_14partition_implILS5_6ELb0ES3_mNS7_12zip_iteratorINS8_INS7_6detail15normal_iteratorINS7_10device_ptrIsEEEESJ_S9_S9_S9_S9_S9_S9_S9_S9_EEEEPSB_SM_NS0_5tupleIJNSE_INS8_ISJ_NS7_16discard_iteratorINS7_11use_defaultEEES9_S9_S9_S9_S9_S9_S9_S9_EEEESB_EEENSN_IJSM_SM_EEESB_PlJNSF_9not_fun_tINSF_14equal_to_valueISA_EEEEEEE10hipError_tPvRmT3_T4_T5_T6_T7_T9_mT8_P12ihipStream_tbDpT10_ENKUlT_T0_E_clISt17integral_constantIbLb0EES1I_IbLb1EEEEDaS1E_S1F_EUlS1E_E_NS1_11comp_targetILNS1_3genE2ELNS1_11target_archE906ELNS1_3gpuE6ELNS1_3repE0EEENS1_30default_config_static_selectorELNS0_4arch9wavefront6targetE0EEEvT1_.num_vgpr, 0
	.set _ZN7rocprim17ROCPRIM_400000_NS6detail17trampoline_kernelINS0_14default_configENS1_25partition_config_selectorILNS1_17partition_subalgoE6EN6thrust23THRUST_200600_302600_NS5tupleIssNS7_9null_typeES9_S9_S9_S9_S9_S9_S9_EENS0_10empty_typeEbEEZZNS1_14partition_implILS5_6ELb0ES3_mNS7_12zip_iteratorINS8_INS7_6detail15normal_iteratorINS7_10device_ptrIsEEEESJ_S9_S9_S9_S9_S9_S9_S9_S9_EEEEPSB_SM_NS0_5tupleIJNSE_INS8_ISJ_NS7_16discard_iteratorINS7_11use_defaultEEES9_S9_S9_S9_S9_S9_S9_S9_EEEESB_EEENSN_IJSM_SM_EEESB_PlJNSF_9not_fun_tINSF_14equal_to_valueISA_EEEEEEE10hipError_tPvRmT3_T4_T5_T6_T7_T9_mT8_P12ihipStream_tbDpT10_ENKUlT_T0_E_clISt17integral_constantIbLb0EES1I_IbLb1EEEEDaS1E_S1F_EUlS1E_E_NS1_11comp_targetILNS1_3genE2ELNS1_11target_archE906ELNS1_3gpuE6ELNS1_3repE0EEENS1_30default_config_static_selectorELNS0_4arch9wavefront6targetE0EEEvT1_.num_agpr, 0
	.set _ZN7rocprim17ROCPRIM_400000_NS6detail17trampoline_kernelINS0_14default_configENS1_25partition_config_selectorILNS1_17partition_subalgoE6EN6thrust23THRUST_200600_302600_NS5tupleIssNS7_9null_typeES9_S9_S9_S9_S9_S9_S9_EENS0_10empty_typeEbEEZZNS1_14partition_implILS5_6ELb0ES3_mNS7_12zip_iteratorINS8_INS7_6detail15normal_iteratorINS7_10device_ptrIsEEEESJ_S9_S9_S9_S9_S9_S9_S9_S9_EEEEPSB_SM_NS0_5tupleIJNSE_INS8_ISJ_NS7_16discard_iteratorINS7_11use_defaultEEES9_S9_S9_S9_S9_S9_S9_S9_EEEESB_EEENSN_IJSM_SM_EEESB_PlJNSF_9not_fun_tINSF_14equal_to_valueISA_EEEEEEE10hipError_tPvRmT3_T4_T5_T6_T7_T9_mT8_P12ihipStream_tbDpT10_ENKUlT_T0_E_clISt17integral_constantIbLb0EES1I_IbLb1EEEEDaS1E_S1F_EUlS1E_E_NS1_11comp_targetILNS1_3genE2ELNS1_11target_archE906ELNS1_3gpuE6ELNS1_3repE0EEENS1_30default_config_static_selectorELNS0_4arch9wavefront6targetE0EEEvT1_.numbered_sgpr, 0
	.set _ZN7rocprim17ROCPRIM_400000_NS6detail17trampoline_kernelINS0_14default_configENS1_25partition_config_selectorILNS1_17partition_subalgoE6EN6thrust23THRUST_200600_302600_NS5tupleIssNS7_9null_typeES9_S9_S9_S9_S9_S9_S9_EENS0_10empty_typeEbEEZZNS1_14partition_implILS5_6ELb0ES3_mNS7_12zip_iteratorINS8_INS7_6detail15normal_iteratorINS7_10device_ptrIsEEEESJ_S9_S9_S9_S9_S9_S9_S9_S9_EEEEPSB_SM_NS0_5tupleIJNSE_INS8_ISJ_NS7_16discard_iteratorINS7_11use_defaultEEES9_S9_S9_S9_S9_S9_S9_S9_EEEESB_EEENSN_IJSM_SM_EEESB_PlJNSF_9not_fun_tINSF_14equal_to_valueISA_EEEEEEE10hipError_tPvRmT3_T4_T5_T6_T7_T9_mT8_P12ihipStream_tbDpT10_ENKUlT_T0_E_clISt17integral_constantIbLb0EES1I_IbLb1EEEEDaS1E_S1F_EUlS1E_E_NS1_11comp_targetILNS1_3genE2ELNS1_11target_archE906ELNS1_3gpuE6ELNS1_3repE0EEENS1_30default_config_static_selectorELNS0_4arch9wavefront6targetE0EEEvT1_.num_named_barrier, 0
	.set _ZN7rocprim17ROCPRIM_400000_NS6detail17trampoline_kernelINS0_14default_configENS1_25partition_config_selectorILNS1_17partition_subalgoE6EN6thrust23THRUST_200600_302600_NS5tupleIssNS7_9null_typeES9_S9_S9_S9_S9_S9_S9_EENS0_10empty_typeEbEEZZNS1_14partition_implILS5_6ELb0ES3_mNS7_12zip_iteratorINS8_INS7_6detail15normal_iteratorINS7_10device_ptrIsEEEESJ_S9_S9_S9_S9_S9_S9_S9_S9_EEEEPSB_SM_NS0_5tupleIJNSE_INS8_ISJ_NS7_16discard_iteratorINS7_11use_defaultEEES9_S9_S9_S9_S9_S9_S9_S9_EEEESB_EEENSN_IJSM_SM_EEESB_PlJNSF_9not_fun_tINSF_14equal_to_valueISA_EEEEEEE10hipError_tPvRmT3_T4_T5_T6_T7_T9_mT8_P12ihipStream_tbDpT10_ENKUlT_T0_E_clISt17integral_constantIbLb0EES1I_IbLb1EEEEDaS1E_S1F_EUlS1E_E_NS1_11comp_targetILNS1_3genE2ELNS1_11target_archE906ELNS1_3gpuE6ELNS1_3repE0EEENS1_30default_config_static_selectorELNS0_4arch9wavefront6targetE0EEEvT1_.private_seg_size, 0
	.set _ZN7rocprim17ROCPRIM_400000_NS6detail17trampoline_kernelINS0_14default_configENS1_25partition_config_selectorILNS1_17partition_subalgoE6EN6thrust23THRUST_200600_302600_NS5tupleIssNS7_9null_typeES9_S9_S9_S9_S9_S9_S9_EENS0_10empty_typeEbEEZZNS1_14partition_implILS5_6ELb0ES3_mNS7_12zip_iteratorINS8_INS7_6detail15normal_iteratorINS7_10device_ptrIsEEEESJ_S9_S9_S9_S9_S9_S9_S9_S9_EEEEPSB_SM_NS0_5tupleIJNSE_INS8_ISJ_NS7_16discard_iteratorINS7_11use_defaultEEES9_S9_S9_S9_S9_S9_S9_S9_EEEESB_EEENSN_IJSM_SM_EEESB_PlJNSF_9not_fun_tINSF_14equal_to_valueISA_EEEEEEE10hipError_tPvRmT3_T4_T5_T6_T7_T9_mT8_P12ihipStream_tbDpT10_ENKUlT_T0_E_clISt17integral_constantIbLb0EES1I_IbLb1EEEEDaS1E_S1F_EUlS1E_E_NS1_11comp_targetILNS1_3genE2ELNS1_11target_archE906ELNS1_3gpuE6ELNS1_3repE0EEENS1_30default_config_static_selectorELNS0_4arch9wavefront6targetE0EEEvT1_.uses_vcc, 0
	.set _ZN7rocprim17ROCPRIM_400000_NS6detail17trampoline_kernelINS0_14default_configENS1_25partition_config_selectorILNS1_17partition_subalgoE6EN6thrust23THRUST_200600_302600_NS5tupleIssNS7_9null_typeES9_S9_S9_S9_S9_S9_S9_EENS0_10empty_typeEbEEZZNS1_14partition_implILS5_6ELb0ES3_mNS7_12zip_iteratorINS8_INS7_6detail15normal_iteratorINS7_10device_ptrIsEEEESJ_S9_S9_S9_S9_S9_S9_S9_S9_EEEEPSB_SM_NS0_5tupleIJNSE_INS8_ISJ_NS7_16discard_iteratorINS7_11use_defaultEEES9_S9_S9_S9_S9_S9_S9_S9_EEEESB_EEENSN_IJSM_SM_EEESB_PlJNSF_9not_fun_tINSF_14equal_to_valueISA_EEEEEEE10hipError_tPvRmT3_T4_T5_T6_T7_T9_mT8_P12ihipStream_tbDpT10_ENKUlT_T0_E_clISt17integral_constantIbLb0EES1I_IbLb1EEEEDaS1E_S1F_EUlS1E_E_NS1_11comp_targetILNS1_3genE2ELNS1_11target_archE906ELNS1_3gpuE6ELNS1_3repE0EEENS1_30default_config_static_selectorELNS0_4arch9wavefront6targetE0EEEvT1_.uses_flat_scratch, 0
	.set _ZN7rocprim17ROCPRIM_400000_NS6detail17trampoline_kernelINS0_14default_configENS1_25partition_config_selectorILNS1_17partition_subalgoE6EN6thrust23THRUST_200600_302600_NS5tupleIssNS7_9null_typeES9_S9_S9_S9_S9_S9_S9_EENS0_10empty_typeEbEEZZNS1_14partition_implILS5_6ELb0ES3_mNS7_12zip_iteratorINS8_INS7_6detail15normal_iteratorINS7_10device_ptrIsEEEESJ_S9_S9_S9_S9_S9_S9_S9_S9_EEEEPSB_SM_NS0_5tupleIJNSE_INS8_ISJ_NS7_16discard_iteratorINS7_11use_defaultEEES9_S9_S9_S9_S9_S9_S9_S9_EEEESB_EEENSN_IJSM_SM_EEESB_PlJNSF_9not_fun_tINSF_14equal_to_valueISA_EEEEEEE10hipError_tPvRmT3_T4_T5_T6_T7_T9_mT8_P12ihipStream_tbDpT10_ENKUlT_T0_E_clISt17integral_constantIbLb0EES1I_IbLb1EEEEDaS1E_S1F_EUlS1E_E_NS1_11comp_targetILNS1_3genE2ELNS1_11target_archE906ELNS1_3gpuE6ELNS1_3repE0EEENS1_30default_config_static_selectorELNS0_4arch9wavefront6targetE0EEEvT1_.has_dyn_sized_stack, 0
	.set _ZN7rocprim17ROCPRIM_400000_NS6detail17trampoline_kernelINS0_14default_configENS1_25partition_config_selectorILNS1_17partition_subalgoE6EN6thrust23THRUST_200600_302600_NS5tupleIssNS7_9null_typeES9_S9_S9_S9_S9_S9_S9_EENS0_10empty_typeEbEEZZNS1_14partition_implILS5_6ELb0ES3_mNS7_12zip_iteratorINS8_INS7_6detail15normal_iteratorINS7_10device_ptrIsEEEESJ_S9_S9_S9_S9_S9_S9_S9_S9_EEEEPSB_SM_NS0_5tupleIJNSE_INS8_ISJ_NS7_16discard_iteratorINS7_11use_defaultEEES9_S9_S9_S9_S9_S9_S9_S9_EEEESB_EEENSN_IJSM_SM_EEESB_PlJNSF_9not_fun_tINSF_14equal_to_valueISA_EEEEEEE10hipError_tPvRmT3_T4_T5_T6_T7_T9_mT8_P12ihipStream_tbDpT10_ENKUlT_T0_E_clISt17integral_constantIbLb0EES1I_IbLb1EEEEDaS1E_S1F_EUlS1E_E_NS1_11comp_targetILNS1_3genE2ELNS1_11target_archE906ELNS1_3gpuE6ELNS1_3repE0EEENS1_30default_config_static_selectorELNS0_4arch9wavefront6targetE0EEEvT1_.has_recursion, 0
	.set _ZN7rocprim17ROCPRIM_400000_NS6detail17trampoline_kernelINS0_14default_configENS1_25partition_config_selectorILNS1_17partition_subalgoE6EN6thrust23THRUST_200600_302600_NS5tupleIssNS7_9null_typeES9_S9_S9_S9_S9_S9_S9_EENS0_10empty_typeEbEEZZNS1_14partition_implILS5_6ELb0ES3_mNS7_12zip_iteratorINS8_INS7_6detail15normal_iteratorINS7_10device_ptrIsEEEESJ_S9_S9_S9_S9_S9_S9_S9_S9_EEEEPSB_SM_NS0_5tupleIJNSE_INS8_ISJ_NS7_16discard_iteratorINS7_11use_defaultEEES9_S9_S9_S9_S9_S9_S9_S9_EEEESB_EEENSN_IJSM_SM_EEESB_PlJNSF_9not_fun_tINSF_14equal_to_valueISA_EEEEEEE10hipError_tPvRmT3_T4_T5_T6_T7_T9_mT8_P12ihipStream_tbDpT10_ENKUlT_T0_E_clISt17integral_constantIbLb0EES1I_IbLb1EEEEDaS1E_S1F_EUlS1E_E_NS1_11comp_targetILNS1_3genE2ELNS1_11target_archE906ELNS1_3gpuE6ELNS1_3repE0EEENS1_30default_config_static_selectorELNS0_4arch9wavefront6targetE0EEEvT1_.has_indirect_call, 0
	.section	.AMDGPU.csdata,"",@progbits
; Kernel info:
; codeLenInByte = 0
; TotalNumSgprs: 0
; NumVgprs: 0
; ScratchSize: 0
; MemoryBound: 0
; FloatMode: 240
; IeeeMode: 1
; LDSByteSize: 0 bytes/workgroup (compile time only)
; SGPRBlocks: 0
; VGPRBlocks: 0
; NumSGPRsForWavesPerEU: 1
; NumVGPRsForWavesPerEU: 1
; Occupancy: 16
; WaveLimiterHint : 0
; COMPUTE_PGM_RSRC2:SCRATCH_EN: 0
; COMPUTE_PGM_RSRC2:USER_SGPR: 2
; COMPUTE_PGM_RSRC2:TRAP_HANDLER: 0
; COMPUTE_PGM_RSRC2:TGID_X_EN: 1
; COMPUTE_PGM_RSRC2:TGID_Y_EN: 0
; COMPUTE_PGM_RSRC2:TGID_Z_EN: 0
; COMPUTE_PGM_RSRC2:TIDIG_COMP_CNT: 0
	.section	.text._ZN7rocprim17ROCPRIM_400000_NS6detail17trampoline_kernelINS0_14default_configENS1_25partition_config_selectorILNS1_17partition_subalgoE6EN6thrust23THRUST_200600_302600_NS5tupleIssNS7_9null_typeES9_S9_S9_S9_S9_S9_S9_EENS0_10empty_typeEbEEZZNS1_14partition_implILS5_6ELb0ES3_mNS7_12zip_iteratorINS8_INS7_6detail15normal_iteratorINS7_10device_ptrIsEEEESJ_S9_S9_S9_S9_S9_S9_S9_S9_EEEEPSB_SM_NS0_5tupleIJNSE_INS8_ISJ_NS7_16discard_iteratorINS7_11use_defaultEEES9_S9_S9_S9_S9_S9_S9_S9_EEEESB_EEENSN_IJSM_SM_EEESB_PlJNSF_9not_fun_tINSF_14equal_to_valueISA_EEEEEEE10hipError_tPvRmT3_T4_T5_T6_T7_T9_mT8_P12ihipStream_tbDpT10_ENKUlT_T0_E_clISt17integral_constantIbLb0EES1I_IbLb1EEEEDaS1E_S1F_EUlS1E_E_NS1_11comp_targetILNS1_3genE10ELNS1_11target_archE1200ELNS1_3gpuE4ELNS1_3repE0EEENS1_30default_config_static_selectorELNS0_4arch9wavefront6targetE0EEEvT1_,"axG",@progbits,_ZN7rocprim17ROCPRIM_400000_NS6detail17trampoline_kernelINS0_14default_configENS1_25partition_config_selectorILNS1_17partition_subalgoE6EN6thrust23THRUST_200600_302600_NS5tupleIssNS7_9null_typeES9_S9_S9_S9_S9_S9_S9_EENS0_10empty_typeEbEEZZNS1_14partition_implILS5_6ELb0ES3_mNS7_12zip_iteratorINS8_INS7_6detail15normal_iteratorINS7_10device_ptrIsEEEESJ_S9_S9_S9_S9_S9_S9_S9_S9_EEEEPSB_SM_NS0_5tupleIJNSE_INS8_ISJ_NS7_16discard_iteratorINS7_11use_defaultEEES9_S9_S9_S9_S9_S9_S9_S9_EEEESB_EEENSN_IJSM_SM_EEESB_PlJNSF_9not_fun_tINSF_14equal_to_valueISA_EEEEEEE10hipError_tPvRmT3_T4_T5_T6_T7_T9_mT8_P12ihipStream_tbDpT10_ENKUlT_T0_E_clISt17integral_constantIbLb0EES1I_IbLb1EEEEDaS1E_S1F_EUlS1E_E_NS1_11comp_targetILNS1_3genE10ELNS1_11target_archE1200ELNS1_3gpuE4ELNS1_3repE0EEENS1_30default_config_static_selectorELNS0_4arch9wavefront6targetE0EEEvT1_,comdat
	.protected	_ZN7rocprim17ROCPRIM_400000_NS6detail17trampoline_kernelINS0_14default_configENS1_25partition_config_selectorILNS1_17partition_subalgoE6EN6thrust23THRUST_200600_302600_NS5tupleIssNS7_9null_typeES9_S9_S9_S9_S9_S9_S9_EENS0_10empty_typeEbEEZZNS1_14partition_implILS5_6ELb0ES3_mNS7_12zip_iteratorINS8_INS7_6detail15normal_iteratorINS7_10device_ptrIsEEEESJ_S9_S9_S9_S9_S9_S9_S9_S9_EEEEPSB_SM_NS0_5tupleIJNSE_INS8_ISJ_NS7_16discard_iteratorINS7_11use_defaultEEES9_S9_S9_S9_S9_S9_S9_S9_EEEESB_EEENSN_IJSM_SM_EEESB_PlJNSF_9not_fun_tINSF_14equal_to_valueISA_EEEEEEE10hipError_tPvRmT3_T4_T5_T6_T7_T9_mT8_P12ihipStream_tbDpT10_ENKUlT_T0_E_clISt17integral_constantIbLb0EES1I_IbLb1EEEEDaS1E_S1F_EUlS1E_E_NS1_11comp_targetILNS1_3genE10ELNS1_11target_archE1200ELNS1_3gpuE4ELNS1_3repE0EEENS1_30default_config_static_selectorELNS0_4arch9wavefront6targetE0EEEvT1_ ; -- Begin function _ZN7rocprim17ROCPRIM_400000_NS6detail17trampoline_kernelINS0_14default_configENS1_25partition_config_selectorILNS1_17partition_subalgoE6EN6thrust23THRUST_200600_302600_NS5tupleIssNS7_9null_typeES9_S9_S9_S9_S9_S9_S9_EENS0_10empty_typeEbEEZZNS1_14partition_implILS5_6ELb0ES3_mNS7_12zip_iteratorINS8_INS7_6detail15normal_iteratorINS7_10device_ptrIsEEEESJ_S9_S9_S9_S9_S9_S9_S9_S9_EEEEPSB_SM_NS0_5tupleIJNSE_INS8_ISJ_NS7_16discard_iteratorINS7_11use_defaultEEES9_S9_S9_S9_S9_S9_S9_S9_EEEESB_EEENSN_IJSM_SM_EEESB_PlJNSF_9not_fun_tINSF_14equal_to_valueISA_EEEEEEE10hipError_tPvRmT3_T4_T5_T6_T7_T9_mT8_P12ihipStream_tbDpT10_ENKUlT_T0_E_clISt17integral_constantIbLb0EES1I_IbLb1EEEEDaS1E_S1F_EUlS1E_E_NS1_11comp_targetILNS1_3genE10ELNS1_11target_archE1200ELNS1_3gpuE4ELNS1_3repE0EEENS1_30default_config_static_selectorELNS0_4arch9wavefront6targetE0EEEvT1_
	.globl	_ZN7rocprim17ROCPRIM_400000_NS6detail17trampoline_kernelINS0_14default_configENS1_25partition_config_selectorILNS1_17partition_subalgoE6EN6thrust23THRUST_200600_302600_NS5tupleIssNS7_9null_typeES9_S9_S9_S9_S9_S9_S9_EENS0_10empty_typeEbEEZZNS1_14partition_implILS5_6ELb0ES3_mNS7_12zip_iteratorINS8_INS7_6detail15normal_iteratorINS7_10device_ptrIsEEEESJ_S9_S9_S9_S9_S9_S9_S9_S9_EEEEPSB_SM_NS0_5tupleIJNSE_INS8_ISJ_NS7_16discard_iteratorINS7_11use_defaultEEES9_S9_S9_S9_S9_S9_S9_S9_EEEESB_EEENSN_IJSM_SM_EEESB_PlJNSF_9not_fun_tINSF_14equal_to_valueISA_EEEEEEE10hipError_tPvRmT3_T4_T5_T6_T7_T9_mT8_P12ihipStream_tbDpT10_ENKUlT_T0_E_clISt17integral_constantIbLb0EES1I_IbLb1EEEEDaS1E_S1F_EUlS1E_E_NS1_11comp_targetILNS1_3genE10ELNS1_11target_archE1200ELNS1_3gpuE4ELNS1_3repE0EEENS1_30default_config_static_selectorELNS0_4arch9wavefront6targetE0EEEvT1_
	.p2align	8
	.type	_ZN7rocprim17ROCPRIM_400000_NS6detail17trampoline_kernelINS0_14default_configENS1_25partition_config_selectorILNS1_17partition_subalgoE6EN6thrust23THRUST_200600_302600_NS5tupleIssNS7_9null_typeES9_S9_S9_S9_S9_S9_S9_EENS0_10empty_typeEbEEZZNS1_14partition_implILS5_6ELb0ES3_mNS7_12zip_iteratorINS8_INS7_6detail15normal_iteratorINS7_10device_ptrIsEEEESJ_S9_S9_S9_S9_S9_S9_S9_S9_EEEEPSB_SM_NS0_5tupleIJNSE_INS8_ISJ_NS7_16discard_iteratorINS7_11use_defaultEEES9_S9_S9_S9_S9_S9_S9_S9_EEEESB_EEENSN_IJSM_SM_EEESB_PlJNSF_9not_fun_tINSF_14equal_to_valueISA_EEEEEEE10hipError_tPvRmT3_T4_T5_T6_T7_T9_mT8_P12ihipStream_tbDpT10_ENKUlT_T0_E_clISt17integral_constantIbLb0EES1I_IbLb1EEEEDaS1E_S1F_EUlS1E_E_NS1_11comp_targetILNS1_3genE10ELNS1_11target_archE1200ELNS1_3gpuE4ELNS1_3repE0EEENS1_30default_config_static_selectorELNS0_4arch9wavefront6targetE0EEEvT1_,@function
_ZN7rocprim17ROCPRIM_400000_NS6detail17trampoline_kernelINS0_14default_configENS1_25partition_config_selectorILNS1_17partition_subalgoE6EN6thrust23THRUST_200600_302600_NS5tupleIssNS7_9null_typeES9_S9_S9_S9_S9_S9_S9_EENS0_10empty_typeEbEEZZNS1_14partition_implILS5_6ELb0ES3_mNS7_12zip_iteratorINS8_INS7_6detail15normal_iteratorINS7_10device_ptrIsEEEESJ_S9_S9_S9_S9_S9_S9_S9_S9_EEEEPSB_SM_NS0_5tupleIJNSE_INS8_ISJ_NS7_16discard_iteratorINS7_11use_defaultEEES9_S9_S9_S9_S9_S9_S9_S9_EEEESB_EEENSN_IJSM_SM_EEESB_PlJNSF_9not_fun_tINSF_14equal_to_valueISA_EEEEEEE10hipError_tPvRmT3_T4_T5_T6_T7_T9_mT8_P12ihipStream_tbDpT10_ENKUlT_T0_E_clISt17integral_constantIbLb0EES1I_IbLb1EEEEDaS1E_S1F_EUlS1E_E_NS1_11comp_targetILNS1_3genE10ELNS1_11target_archE1200ELNS1_3gpuE4ELNS1_3repE0EEENS1_30default_config_static_selectorELNS0_4arch9wavefront6targetE0EEEvT1_: ; @_ZN7rocprim17ROCPRIM_400000_NS6detail17trampoline_kernelINS0_14default_configENS1_25partition_config_selectorILNS1_17partition_subalgoE6EN6thrust23THRUST_200600_302600_NS5tupleIssNS7_9null_typeES9_S9_S9_S9_S9_S9_S9_EENS0_10empty_typeEbEEZZNS1_14partition_implILS5_6ELb0ES3_mNS7_12zip_iteratorINS8_INS7_6detail15normal_iteratorINS7_10device_ptrIsEEEESJ_S9_S9_S9_S9_S9_S9_S9_S9_EEEEPSB_SM_NS0_5tupleIJNSE_INS8_ISJ_NS7_16discard_iteratorINS7_11use_defaultEEES9_S9_S9_S9_S9_S9_S9_S9_EEEESB_EEENSN_IJSM_SM_EEESB_PlJNSF_9not_fun_tINSF_14equal_to_valueISA_EEEEEEE10hipError_tPvRmT3_T4_T5_T6_T7_T9_mT8_P12ihipStream_tbDpT10_ENKUlT_T0_E_clISt17integral_constantIbLb0EES1I_IbLb1EEEEDaS1E_S1F_EUlS1E_E_NS1_11comp_targetILNS1_3genE10ELNS1_11target_archE1200ELNS1_3gpuE4ELNS1_3repE0EEENS1_30default_config_static_selectorELNS0_4arch9wavefront6targetE0EEEvT1_
; %bb.0:
	s_clause 0x6
	s_load_b128 s[4:7], s[0:1], 0x8
	s_load_b64 s[18:19], s[0:1], 0x18
	s_load_b64 s[10:11], s[0:1], 0x30
	s_load_b128 s[12:15], s[0:1], 0x58
	s_load_b64 s[8:9], s[0:1], 0x68
	s_load_b64 s[16:17], s[0:1], 0x78
	s_load_b32 s21, s[0:1], 0x90
	v_cmp_eq_u32_e64 s2, 0, v0
	s_and_saveexec_b32 s3, s2
	s_cbranch_execz .LBB2074_4
; %bb.1:
	s_mov_b32 s22, exec_lo
	s_mov_b32 s20, exec_lo
	v_mbcnt_lo_u32_b32 v1, s22, 0
                                        ; implicit-def: $vgpr2
	s_delay_alu instid0(VALU_DEP_1)
	v_cmpx_eq_u32_e32 0, v1
	s_cbranch_execz .LBB2074_3
; %bb.2:
	s_load_b64 s[24:25], s[0:1], 0x88
	s_bcnt1_i32_b32 s22, s22
	s_wait_alu 0xfffe
	v_dual_mov_b32 v2, 0 :: v_dual_mov_b32 v3, s22
	s_wait_kmcnt 0x0
	global_atomic_add_u32 v2, v2, v3, s[24:25] th:TH_ATOMIC_RETURN scope:SCOPE_DEV
.LBB2074_3:
	s_or_b32 exec_lo, exec_lo, s20
	s_wait_loadcnt 0x0
	v_readfirstlane_b32 s20, v2
	s_delay_alu instid0(VALU_DEP_1)
	v_dual_mov_b32 v2, 0 :: v_dual_add_nc_u32 v1, s20, v1
	ds_store_b32 v2, v1
.LBB2074_4:
	s_or_b32 exec_lo, exec_lo, s3
	v_mov_b32_e32 v1, 0
	s_wait_dscnt 0x0
	s_barrier_signal -1
	s_barrier_wait -1
	global_inv scope:SCOPE_SE
	ds_load_b32 v2, v1
	s_wait_loadcnt_dscnt 0x0
	s_barrier_signal -1
	s_barrier_wait -1
	global_inv scope:SCOPE_SE
	s_load_b32 s0, s[0:1], 0x80
	s_mov_b32 s23, 0
	v_readfirstlane_b32 s20, v2
	v_lshlrev_b32_e32 v2, 1, v0
	s_wait_kmcnt 0x0
	global_load_b64 v[9:10], v1, s[14:15]
	s_lshl_b64 s[14:15], s[18:19], 1
	v_lshlrev_b32_e32 v1, 2, v0
	s_mul_i32 s22, s0, 0xa80
	s_add_co_i32 s3, s0, -1
	s_wait_alu 0xfffe
	s_add_nc_u64 s[0:1], s[18:19], s[22:23]
	s_add_nc_u64 s[4:5], s[4:5], s[14:15]
	;; [unrolled: 1-line block ×3, first 2 shown]
	s_add_co_i32 s14, s22, s18
	v_cmp_le_u64_e64 s0, s[8:9], s[0:1]
	s_sub_co_i32 s18, s8, s14
	s_cmp_eq_u32 s20, s3
	s_mul_i32 s22, s20, 0xa80
	s_cselect_b32 s14, -1, 0
	s_wait_alu 0xfffe
	s_lshl_b64 s[8:9], s[22:23], 1
	s_and_b32 s0, s0, s14
	s_mov_b32 s3, -1
	s_wait_alu 0xfffe
	s_xor_b32 s15, s0, -1
	s_add_nc_u64 s[0:1], s[4:5], s[8:9]
	s_and_b32 vcc_lo, exec_lo, s15
	s_add_nc_u64 s[4:5], s[6:7], s[8:9]
	s_cbranch_vccz .LBB2074_6
; %bb.5:
	s_clause 0xd
	global_load_u16 v3, v2, s[0:1]
	global_load_u16 v4, v2, s[4:5]
	global_load_u16 v5, v2, s[0:1] offset:768
	global_load_u16 v6, v2, s[0:1] offset:1536
	;; [unrolled: 1-line block ×12, first 2 shown]
	s_mov_b32 s3, 0
	s_wait_loadcnt 0xc
	v_lshl_or_b32 v3, v4, 16, v3
	s_wait_loadcnt 0x5
	v_lshl_or_b32 v4, v13, 16, v5
	;; [unrolled: 2-line block ×7, first 2 shown]
	ds_store_2addr_stride64_b32 v1, v3, v4 offset1:6
	ds_store_2addr_stride64_b32 v1, v5, v6 offset0:12 offset1:18
	ds_store_2addr_stride64_b32 v1, v7, v8 offset0:24 offset1:30
	ds_store_b32 v1, v11 offset:9216
	s_wait_dscnt 0x0
	s_barrier_signal -1
	s_barrier_wait -1
.LBB2074_6:
	s_and_not1_b32 vcc_lo, exec_lo, s3
	s_addk_co_i32 s18, 0xa80
	s_cbranch_vccnz .LBB2074_22
; %bb.7:
	v_dual_mov_b32 v3, 0 :: v_dual_mov_b32 v4, 0
	s_mov_b32 s3, exec_lo
	v_cmpx_gt_u32_e64 s18, v0
	s_cbranch_execz .LBB2074_9
; %bb.8:
	s_clause 0x1
	global_load_u16 v4, v2, s[0:1]
	global_load_u16 v5, v2, s[4:5]
	s_wait_loadcnt 0x0
	v_lshl_or_b32 v4, v5, 16, v4
.LBB2074_9:
	s_or_b32 exec_lo, exec_lo, s3
	v_add_nc_u32_e32 v5, 0x180, v0
	s_mov_b32 s3, exec_lo
	s_delay_alu instid0(VALU_DEP_1)
	v_cmpx_gt_u32_e64 s18, v5
	s_cbranch_execz .LBB2074_11
; %bb.10:
	s_clause 0x1
	global_load_u16 v3, v2, s[0:1] offset:768
	global_load_u16 v5, v2, s[4:5] offset:768
	s_wait_loadcnt 0x0
	v_lshl_or_b32 v3, v5, 16, v3
.LBB2074_11:
	s_or_b32 exec_lo, exec_lo, s3
	v_dual_mov_b32 v5, 0 :: v_dual_add_nc_u32 v6, 0x300, v0
	s_delay_alu instid0(VALU_DEP_1)
	v_cmp_gt_u32_e32 vcc_lo, s18, v6
	v_mov_b32_e32 v6, 0
	s_and_saveexec_b32 s3, vcc_lo
	s_cbranch_execz .LBB2074_13
; %bb.12:
	s_clause 0x1
	global_load_u16 v6, v2, s[0:1] offset:1536
	global_load_u16 v7, v2, s[4:5] offset:1536
	s_wait_loadcnt 0x0
	v_lshl_or_b32 v6, v7, 16, v6
.LBB2074_13:
	s_or_b32 exec_lo, exec_lo, s3
	v_add_nc_u32_e32 v7, 0x480, v0
	s_mov_b32 s3, exec_lo
	s_delay_alu instid0(VALU_DEP_1)
	v_cmpx_gt_u32_e64 s18, v7
	s_cbranch_execz .LBB2074_15
; %bb.14:
	s_clause 0x1
	global_load_u16 v5, v2, s[0:1] offset:2304
	global_load_u16 v7, v2, s[4:5] offset:2304
	s_wait_loadcnt 0x0
	v_lshl_or_b32 v5, v7, 16, v5
.LBB2074_15:
	s_or_b32 exec_lo, exec_lo, s3
	v_or_b32_e32 v8, 0x600, v0
	v_mov_b32_e32 v7, 0
	s_delay_alu instid0(VALU_DEP_2)
	v_cmp_gt_u32_e32 vcc_lo, s18, v8
	v_mov_b32_e32 v8, 0
	s_and_saveexec_b32 s3, vcc_lo
	s_cbranch_execz .LBB2074_17
; %bb.16:
	s_clause 0x1
	global_load_u16 v8, v2, s[0:1] offset:3072
	global_load_u16 v11, v2, s[4:5] offset:3072
	s_wait_loadcnt 0x0
	v_lshl_or_b32 v8, v11, 16, v8
.LBB2074_17:
	s_or_b32 exec_lo, exec_lo, s3
	v_add_nc_u32_e32 v11, 0x780, v0
	s_mov_b32 s3, exec_lo
	s_delay_alu instid0(VALU_DEP_1)
	v_cmpx_gt_u32_e64 s18, v11
	s_cbranch_execz .LBB2074_19
; %bb.18:
	s_clause 0x1
	global_load_u16 v7, v2, s[0:1] offset:3840
	global_load_u16 v11, v2, s[4:5] offset:3840
	s_wait_loadcnt 0x0
	v_lshl_or_b32 v7, v11, 16, v7
.LBB2074_19:
	s_or_b32 exec_lo, exec_lo, s3
	v_add_nc_u32_e32 v11, 0x900, v0
	s_delay_alu instid0(VALU_DEP_1)
	v_cmp_gt_u32_e32 vcc_lo, s18, v11
	v_mov_b32_e32 v11, 0
	s_and_saveexec_b32 s3, vcc_lo
	s_cbranch_execz .LBB2074_21
; %bb.20:
	s_clause 0x1
	global_load_u16 v11, v2, s[0:1] offset:4608
	global_load_u16 v2, v2, s[4:5] offset:4608
	s_wait_loadcnt 0x0
	v_lshl_or_b32 v11, v2, 16, v11
.LBB2074_21:
	s_or_b32 exec_lo, exec_lo, s3
	ds_store_2addr_stride64_b32 v1, v4, v3 offset1:6
	ds_store_2addr_stride64_b32 v1, v6, v5 offset0:12 offset1:18
	ds_store_2addr_stride64_b32 v1, v8, v7 offset0:24 offset1:30
	ds_store_b32 v1, v11 offset:9216
	s_wait_loadcnt_dscnt 0x0
	s_barrier_signal -1
	s_barrier_wait -1
.LBB2074_22:
	v_mul_u32_u24_e32 v1, 7, v0
	s_wait_loadcnt 0x0
	global_inv scope:SCOPE_SE
	s_lshr_b32 s19, s21, 16
	s_and_not1_b32 vcc_lo, exec_lo, s15
	v_lshlrev_b32_e32 v31, 2, v1
	ds_load_b32 v33, v31 offset:24
	ds_load_2addr_b32 v[15:16], v31 offset1:1
	ds_load_2addr_b32 v[13:14], v31 offset0:2 offset1:3
	ds_load_2addr_b32 v[11:12], v31 offset0:4 offset1:5
	s_wait_loadcnt_dscnt 0x0
	s_barrier_signal -1
	s_barrier_wait -1
	global_inv scope:SCOPE_SE
	v_lshrrev_b32_e32 v2, 16, v33
	v_lshrrev_b32_e32 v8, 16, v15
	;; [unrolled: 1-line block ×3, first 2 shown]
	v_cmp_ne_u16_e64 s7, s21, v16
	v_cmp_ne_u16_e64 s5, s21, v15
	v_lshrrev_b32_e32 v6, 16, v13
	v_lshrrev_b32_e32 v5, 16, v14
	v_cmp_ne_u16_e64 s8, s21, v14
	v_cmp_ne_u16_e64 s6, s21, v13
	v_lshrrev_b32_e32 v4, 16, v11
	v_lshrrev_b32_e32 v3, 16, v12
	v_cmp_ne_u16_e64 s4, s21, v12
	v_cmp_ne_u16_e64 s3, s21, v11
	;; [unrolled: 1-line block ×3, first 2 shown]
	s_wait_alu 0xfffe
	v_cmp_ne_u32_e64 s1, s19, v2
	s_cbranch_vccnz .LBB2074_24
; %bb.23:
	v_cmp_ne_u32_e32 vcc_lo, s19, v7
	v_cmp_ne_u32_e64 s9, s19, v5
	s_or_b32 s7, s7, vcc_lo
	v_cmp_ne_u32_e32 vcc_lo, s19, v8
	v_cndmask_b32_e64 v17, 0, 1, s7
	s_or_b32 s7, s8, s9
	v_cmp_ne_u32_e64 s8, s19, v3
	s_wait_alu 0xfffe
	v_cndmask_b32_e64 v18, 0, 1, s7
	v_cmp_ne_u32_e64 s7, s19, v6
	v_lshlrev_b16 v17, 8, v17
	s_or_b32 s5, s5, vcc_lo
	v_cmp_ne_u32_e32 vcc_lo, s19, v4
	v_lshlrev_b16 v18, 8, v18
	v_cndmask_b32_e64 v19, 0, 1, s5
	v_lshrrev_b32_e32 v17, 8, v17
	s_or_b32 s5, s6, s7
	s_or_b32 s4, s4, s8
	v_lshrrev_b32_e32 v18, 8, v18
	s_wait_alu 0xfffe
	v_cndmask_b32_e64 v20, 0, 1, s5
	v_lshlrev_b16 v17, 8, v17
	v_cndmask_b32_e64 v35, 0, 1, s4
	s_or_b32 s3, s3, vcc_lo
	v_lshlrev_b16 v18, 8, v18
	s_or_b32 s5, s0, s1
	v_or_b32_e32 v17, v19, v17
	v_cndmask_b32_e64 v19, 0, 1, s3
	s_delay_alu instid0(VALU_DEP_3) | instskip(SKIP_1) | instid1(VALU_DEP_4)
	v_or_b32_e32 v18, v20, v18
	v_lshlrev_b16 v20, 8, v35
	v_and_b32_e32 v17, 0xffff, v17
	s_delay_alu instid0(VALU_DEP_3) | instskip(NEXT) | instid1(VALU_DEP_3)
	v_lshlrev_b32_e32 v18, 16, v18
	v_or_b32_e32 v34, v19, v20
	s_delay_alu instid0(VALU_DEP_2)
	v_or_b32_e32 v32, v17, v18
	s_cbranch_execz .LBB2074_25
	s_branch .LBB2074_26
.LBB2074_24:
                                        ; implicit-def: $sgpr5
                                        ; implicit-def: $vgpr35
                                        ; implicit-def: $vgpr34
                                        ; implicit-def: $vgpr32
.LBB2074_25:
	v_cmp_ne_u16_e32 vcc_lo, s21, v15
	v_cmp_ne_u32_e64 s0, s19, v8
	v_add_nc_u32_e32 v8, 1, v1
	v_cmp_ne_u16_e64 s1, s21, v16
	v_cmp_ne_u32_e64 s3, s19, v7
	v_add_nc_u32_e32 v7, 2, v1
	s_or_b32 s6, vcc_lo, s0
	v_cmp_gt_u32_e32 vcc_lo, s18, v8
	v_cmp_gt_u32_e64 s4, s18, v1
	s_or_b32 s3, s1, s3
	v_cmp_ne_u16_e64 s0, s21, v13
	v_cmp_ne_u32_e64 s1, s19, v6
	s_wait_alu 0xfffe
	s_and_b32 s3, vcc_lo, s3
	v_cmp_gt_u32_e32 vcc_lo, s18, v7
	v_add_nc_u32_e32 v7, 3, v1
	s_and_b32 s4, s4, s6
	s_or_b32 s6, s0, s1
	v_cmp_ne_u16_e64 s0, s21, v14
	v_cmp_ne_u32_e64 s1, s19, v5
	s_wait_alu 0xfffe
	s_and_b32 s6, vcc_lo, s6
	v_cmp_gt_u32_e32 vcc_lo, s18, v7
	v_add_nc_u32_e32 v5, 4, v1
	v_cndmask_b32_e64 v6, 0, 1, s4
	s_or_b32 s1, s0, s1
	v_cndmask_b32_e64 v8, 0, 1, s3
	s_wait_alu 0xfffe
	s_and_b32 s1, vcc_lo, s1
	v_cmp_ne_u16_e64 s3, s21, v11
	v_cmp_ne_u32_e64 s4, s19, v4
	v_cmp_gt_u32_e64 s0, s18, v5
	v_add_nc_u32_e32 v5, 5, v1
	s_wait_alu 0xfffe
	v_cndmask_b32_e64 v7, 0, 1, s1
	v_cndmask_b32_e64 v4, 0, 1, s6
	s_or_b32 s3, s3, s4
	v_cmp_ne_u32_e64 s1, s19, v3
	v_cmp_gt_u32_e32 vcc_lo, s18, v5
	v_lshlrev_b16 v5, 8, v8
	v_lshlrev_b16 v7, 8, v7
	s_wait_alu 0xfffe
	s_and_b32 s0, s0, s3
	v_add_nc_u32_e32 v1, 6, v1
	s_wait_alu 0xfffe
	v_cndmask_b32_e64 v34, 0, 1, s0
	v_cmp_ne_u16_e64 s0, s21, v12
	v_or_b32_e32 v3, v6, v5
	v_or_b32_e32 v4, v4, v7
	v_cmp_ne_u16_e64 s3, s21, v33
	v_cmp_ne_u32_e64 s4, s19, v2
	s_or_b32 s1, s0, s1
	v_cmp_gt_u32_e64 s0, s18, v1
	v_and_b32_e32 v1, 0xffff, v3
	v_lshlrev_b32_e32 v2, 16, v4
	s_or_b32 s3, s3, s4
	s_wait_alu 0xfffe
	s_and_b32 s1, vcc_lo, s1
	s_and_b32 s0, s0, s3
	s_wait_alu 0xfffe
	v_cndmask_b32_e64 v35, 0, 1, s1
	v_or_b32_e32 v32, v1, v2
	s_and_not1_b32 s1, s5, exec_lo
	s_and_b32 s0, s0, exec_lo
	s_wait_alu 0xfffe
	s_or_b32 s5, s1, s0
.LBB2074_26:
	s_delay_alu instid0(VALU_DEP_1)
	v_dual_mov_b32 v2, 0 :: v_dual_and_b32 v39, 0xff, v32
	v_bfe_u32 v38, v32, 8, 8
	s_wait_alu 0xfffe
	v_cndmask_b32_e64 v1, 0, 1, s5
	v_bfe_u32 v41, v32, 16, 8
	v_lshrrev_b32_e32 v36, 24, v32
	v_and_b32_e32 v40, 0xff, v34
	v_mbcnt_lo_u32_b32 v42, -1, 0
	v_add3_u32 v1, v39, v1, v38
	v_and_b32_e32 v37, 0xff, v35
	s_cmp_lg_u32 s20, 0
	s_mov_b32 s1, -1
	v_and_b32_e32 v43, 15, v42
	v_add_co_u32 v1, s0, v1, v41
	s_wait_alu 0xf1ff
	v_add_co_ci_u32_e64 v3, null, 0, 0, s0
	s_delay_alu instid0(VALU_DEP_3) | instskip(NEXT) | instid1(VALU_DEP_3)
	v_cmp_ne_u32_e64 s0, 0, v43
	v_add_co_u32 v1, vcc_lo, v1, v36
	s_delay_alu instid0(VALU_DEP_1) | instskip(NEXT) | instid1(VALU_DEP_2)
	v_add_co_ci_u32_e64 v3, null, 0, v3, vcc_lo
	v_add_co_u32 v1, vcc_lo, v1, v40
	s_wait_alu 0xfffd
	s_delay_alu instid0(VALU_DEP_2) | instskip(NEXT) | instid1(VALU_DEP_2)
	v_add_co_ci_u32_e64 v3, null, 0, v3, vcc_lo
	v_add_co_u32 v17, vcc_lo, v1, v37
	s_wait_alu 0xfffd
	s_delay_alu instid0(VALU_DEP_2)
	v_add_co_ci_u32_e64 v18, null, 0, v3, vcc_lo
	s_cbranch_scc0 .LBB2074_85
; %bb.27:
	v_mov_b32_e32 v3, v17
	v_mov_b32_dpp v1, v17 row_shr:1 row_mask:0xf bank_mask:0xf
	v_mov_b32_dpp v6, v2 row_shr:1 row_mask:0xf bank_mask:0xf
	v_dual_mov_b32 v5, v17 :: v_dual_mov_b32 v4, v18
	s_and_saveexec_b32 s1, s0
; %bb.28:
	s_delay_alu instid0(VALU_DEP_3) | instskip(SKIP_2) | instid1(VALU_DEP_2)
	v_add_co_u32 v5, vcc_lo, v17, v1
	s_wait_alu 0xfffd
	v_add_co_ci_u32_e64 v2, null, 0, v18, vcc_lo
	v_add_co_u32 v1, vcc_lo, 0, v5
	s_wait_alu 0xfffd
	s_delay_alu instid0(VALU_DEP_2) | instskip(NEXT) | instid1(VALU_DEP_1)
	v_add_co_ci_u32_e64 v2, null, v6, v2, vcc_lo
	v_dual_mov_b32 v4, v2 :: v_dual_mov_b32 v3, v1
; %bb.29:
	s_wait_alu 0xfffe
	s_or_b32 exec_lo, exec_lo, s1
	v_mov_b32_dpp v1, v5 row_shr:2 row_mask:0xf bank_mask:0xf
	v_mov_b32_dpp v6, v2 row_shr:2 row_mask:0xf bank_mask:0xf
	v_cmp_lt_u32_e32 vcc_lo, 1, v43
	s_and_saveexec_b32 s3, vcc_lo
; %bb.30:
	s_delay_alu instid0(VALU_DEP_3) | instskip(SKIP_2) | instid1(VALU_DEP_2)
	v_add_co_u32 v5, s1, v3, v1
	s_wait_alu 0xf1ff
	v_add_co_ci_u32_e64 v2, null, 0, v4, s1
	v_add_co_u32 v1, s1, 0, v5
	s_wait_alu 0xf1ff
	s_delay_alu instid0(VALU_DEP_2) | instskip(NEXT) | instid1(VALU_DEP_1)
	v_add_co_ci_u32_e64 v2, null, v6, v2, s1
	v_dual_mov_b32 v4, v2 :: v_dual_mov_b32 v3, v1
; %bb.31:
	s_wait_alu 0xfffe
	s_or_b32 exec_lo, exec_lo, s3
	v_mov_b32_dpp v1, v5 row_shr:4 row_mask:0xf bank_mask:0xf
	v_mov_b32_dpp v6, v2 row_shr:4 row_mask:0xf bank_mask:0xf
	v_cmp_lt_u32_e64 s1, 3, v43
	s_and_saveexec_b32 s4, s1
; %bb.32:
	v_add_co_u32 v5, s3, v3, v1
	s_wait_alu 0xf1ff
	v_add_co_ci_u32_e64 v2, null, 0, v4, s3
	s_delay_alu instid0(VALU_DEP_2) | instskip(SKIP_1) | instid1(VALU_DEP_2)
	v_add_co_u32 v1, s3, 0, v5
	s_wait_alu 0xf1ff
	v_add_co_ci_u32_e64 v2, null, v6, v2, s3
	s_delay_alu instid0(VALU_DEP_1)
	v_dual_mov_b32 v4, v2 :: v_dual_mov_b32 v3, v1
; %bb.33:
	s_wait_alu 0xfffe
	s_or_b32 exec_lo, exec_lo, s4
	v_mov_b32_dpp v6, v5 row_shr:8 row_mask:0xf bank_mask:0xf
	v_mov_b32_dpp v1, v2 row_shr:8 row_mask:0xf bank_mask:0xf
	v_cmp_lt_u32_e64 s3, 7, v43
	s_and_saveexec_b32 s6, s3
; %bb.34:
	v_add_co_u32 v5, s4, v3, v6
	s_wait_alu 0xf1ff
	v_add_co_ci_u32_e64 v2, null, 0, v4, s4
	s_delay_alu instid0(VALU_DEP_2) | instskip(SKIP_1) | instid1(VALU_DEP_2)
	v_add_co_u32 v3, s4, 0, v5
	s_wait_alu 0xf1ff
	v_add_co_ci_u32_e64 v4, null, v1, v2, s4
	s_delay_alu instid0(VALU_DEP_1)
	v_mov_b32_e32 v2, v4
; %bb.35:
	s_wait_alu 0xfffe
	s_or_b32 exec_lo, exec_lo, s6
	ds_swizzle_b32 v1, v5 offset:swizzle(BROADCAST,32,15)
	ds_swizzle_b32 v6, v2 offset:swizzle(BROADCAST,32,15)
	v_and_b32_e32 v7, 16, v42
	s_mov_b32 s6, exec_lo
	s_delay_alu instid0(VALU_DEP_1)
	v_cmpx_ne_u32_e32 0, v7
	s_cbranch_execz .LBB2074_37
; %bb.36:
	s_wait_dscnt 0x1
	v_add_co_u32 v5, s4, v3, v1
	s_wait_alu 0xf1ff
	v_add_co_ci_u32_e64 v2, null, 0, v4, s4
	s_delay_alu instid0(VALU_DEP_2) | instskip(SKIP_2) | instid1(VALU_DEP_2)
	v_add_co_u32 v1, s4, 0, v5
	s_wait_dscnt 0x0
	s_wait_alu 0xf1ff
	v_add_co_ci_u32_e64 v2, null, v6, v2, s4
	s_delay_alu instid0(VALU_DEP_1)
	v_dual_mov_b32 v4, v2 :: v_dual_mov_b32 v3, v1
.LBB2074_37:
	s_wait_alu 0xfffe
	s_or_b32 exec_lo, exec_lo, s6
	s_wait_dscnt 0x1
	v_and_b32_e32 v1, 0x1e0, v0
	s_mov_b32 s6, exec_lo
	s_delay_alu instid0(VALU_DEP_1) | instskip(SKIP_1) | instid1(VALU_DEP_1)
	v_min_u32_e32 v1, 0x160, v1
	s_wait_dscnt 0x0
	v_or_b32_e32 v6, 31, v1
	v_lshrrev_b32_e32 v1, 5, v0
	s_delay_alu instid0(VALU_DEP_2)
	v_cmpx_eq_u32_e64 v0, v6
; %bb.38:
	s_delay_alu instid0(VALU_DEP_2)
	v_lshlrev_b32_e32 v6, 3, v1
	ds_store_b64 v6, v[3:4]
; %bb.39:
	s_wait_alu 0xfffe
	s_or_b32 exec_lo, exec_lo, s6
	s_delay_alu instid0(SALU_CYCLE_1)
	s_mov_b32 s6, exec_lo
	s_wait_loadcnt_dscnt 0x0
	s_barrier_signal -1
	s_barrier_wait -1
	global_inv scope:SCOPE_SE
	v_cmpx_gt_u32_e32 12, v0
	s_cbranch_execz .LBB2074_49
; %bb.40:
	v_lshlrev_b32_e32 v6, 3, v0
	ds_load_b64 v[3:4], v6
	s_wait_dscnt 0x0
	v_mov_b32_dpp v19, v3 row_shr:1 row_mask:0xf bank_mask:0xf
	v_mov_b32_dpp v8, v4 row_shr:1 row_mask:0xf bank_mask:0xf
	v_mov_b32_e32 v7, v3
	s_and_saveexec_b32 s7, s0
; %bb.41:
	s_delay_alu instid0(VALU_DEP_3) | instskip(SKIP_2) | instid1(VALU_DEP_2)
	v_add_co_u32 v7, s4, v3, v19
	s_wait_alu 0xf1ff
	v_add_co_ci_u32_e64 v4, null, 0, v4, s4
	v_add_co_u32 v3, s4, 0, v7
	s_wait_alu 0xf1ff
	s_delay_alu instid0(VALU_DEP_2)
	v_add_co_ci_u32_e64 v4, null, v8, v4, s4
; %bb.42:
	s_wait_alu 0xfffe
	s_or_b32 exec_lo, exec_lo, s7
	v_mov_b32_dpp v19, v7 row_shr:2 row_mask:0xf bank_mask:0xf
	s_delay_alu instid0(VALU_DEP_2)
	v_mov_b32_dpp v8, v4 row_shr:2 row_mask:0xf bank_mask:0xf
	s_and_saveexec_b32 s4, vcc_lo
; %bb.43:
	s_delay_alu instid0(VALU_DEP_2) | instskip(SKIP_2) | instid1(VALU_DEP_2)
	v_add_co_u32 v7, vcc_lo, v3, v19
	s_wait_alu 0xfffd
	v_add_co_ci_u32_e64 v4, null, 0, v4, vcc_lo
	v_add_co_u32 v3, vcc_lo, 0, v7
	s_wait_alu 0xfffd
	s_delay_alu instid0(VALU_DEP_2)
	v_add_co_ci_u32_e64 v4, null, v8, v4, vcc_lo
; %bb.44:
	s_wait_alu 0xfffe
	s_or_b32 exec_lo, exec_lo, s4
	v_mov_b32_dpp v19, v7 row_shr:4 row_mask:0xf bank_mask:0xf
	s_delay_alu instid0(VALU_DEP_2)
	v_mov_b32_dpp v8, v4 row_shr:4 row_mask:0xf bank_mask:0xf
	s_and_saveexec_b32 s4, s1
; %bb.45:
	s_delay_alu instid0(VALU_DEP_2) | instskip(SKIP_2) | instid1(VALU_DEP_2)
	v_add_co_u32 v7, vcc_lo, v3, v19
	s_wait_alu 0xfffd
	v_add_co_ci_u32_e64 v4, null, 0, v4, vcc_lo
	v_add_co_u32 v3, vcc_lo, 0, v7
	s_wait_alu 0xfffd
	s_delay_alu instid0(VALU_DEP_2)
	v_add_co_ci_u32_e64 v4, null, v8, v4, vcc_lo
; %bb.46:
	s_wait_alu 0xfffe
	s_or_b32 exec_lo, exec_lo, s4
	v_mov_b32_dpp v8, v7 row_shr:8 row_mask:0xf bank_mask:0xf
	s_delay_alu instid0(VALU_DEP_2)
	v_mov_b32_dpp v7, v4 row_shr:8 row_mask:0xf bank_mask:0xf
	s_and_saveexec_b32 s1, s3
; %bb.47:
	s_delay_alu instid0(VALU_DEP_2) | instskip(SKIP_2) | instid1(VALU_DEP_2)
	v_add_co_u32 v3, vcc_lo, v3, v8
	s_wait_alu 0xfffd
	v_add_co_ci_u32_e64 v4, null, 0, v4, vcc_lo
	v_add_co_u32 v3, vcc_lo, v3, 0
	s_wait_alu 0xfffd
	s_delay_alu instid0(VALU_DEP_2)
	v_add_co_ci_u32_e64 v4, null, v4, v7, vcc_lo
; %bb.48:
	s_wait_alu 0xfffe
	s_or_b32 exec_lo, exec_lo, s1
	ds_store_b64 v6, v[3:4]
.LBB2074_49:
	s_wait_alu 0xfffe
	s_or_b32 exec_lo, exec_lo, s6
	s_delay_alu instid0(SALU_CYCLE_1)
	s_mov_b32 s3, exec_lo
	v_cmp_gt_u32_e32 vcc_lo, 32, v0
	s_wait_loadcnt_dscnt 0x0
	s_barrier_signal -1
	s_barrier_wait -1
	global_inv scope:SCOPE_SE
                                        ; implicit-def: $vgpr19_vgpr20
	v_cmpx_lt_u32_e32 31, v0
	s_cbranch_execz .LBB2074_51
; %bb.50:
	v_lshl_add_u32 v1, v1, 3, -8
	ds_load_b64 v[19:20], v1
	s_wait_dscnt 0x0
	v_add_co_u32 v5, s1, v5, v19
	s_wait_alu 0xf1ff
	v_add_co_ci_u32_e64 v2, null, v2, v20, s1
.LBB2074_51:
	s_wait_alu 0xfffe
	s_or_b32 exec_lo, exec_lo, s3
	v_sub_co_u32 v1, s1, v42, 1
	s_delay_alu instid0(VALU_DEP_1) | instskip(SKIP_1) | instid1(VALU_DEP_1)
	v_cmp_gt_i32_e64 s3, 0, v1
	s_wait_alu 0xf1ff
	v_cndmask_b32_e64 v1, v1, v42, s3
	s_delay_alu instid0(VALU_DEP_1)
	v_lshlrev_b32_e32 v1, 2, v1
	ds_bpermute_b32 v25, v1, v5
	ds_bpermute_b32 v26, v1, v2
	s_and_saveexec_b32 s3, vcc_lo
	s_cbranch_execz .LBB2074_90
; %bb.52:
	v_mov_b32_e32 v4, 0
	ds_load_b64 v[1:2], v4 offset:88
	s_and_saveexec_b32 s4, s1
	s_cbranch_execz .LBB2074_54
; %bb.53:
	s_add_co_i32 s6, s20, 32
	s_mov_b32 s7, 0
	s_wait_alu 0xfffe
	s_lshl_b64 s[6:7], s[6:7], 4
	s_wait_alu 0xfffe
	s_add_nc_u64 s[6:7], s[16:17], s[6:7]
	v_mov_b32_e32 v3, 1
	s_wait_alu 0xfffe
	v_dual_mov_b32 v5, s6 :: v_dual_mov_b32 v6, s7
	s_wait_dscnt 0x0
	;;#ASMSTART
	global_store_b128 v[5:6], v[1:4] off scope:SCOPE_DEV	
s_wait_storecnt 0x0
	;;#ASMEND
.LBB2074_54:
	s_wait_alu 0xfffe
	s_or_b32 exec_lo, exec_lo, s4
	v_xad_u32 v21, v42, -1, s20
	s_mov_b32 s6, 0
	s_mov_b32 s4, exec_lo
	s_delay_alu instid0(VALU_DEP_1) | instskip(NEXT) | instid1(VALU_DEP_1)
	v_add_nc_u32_e32 v3, 32, v21
	v_lshlrev_b64_e32 v[3:4], 4, v[3:4]
	s_delay_alu instid0(VALU_DEP_1) | instskip(SKIP_1) | instid1(VALU_DEP_2)
	v_add_co_u32 v3, vcc_lo, s16, v3
	s_wait_alu 0xfffd
	v_add_co_ci_u32_e64 v4, null, s17, v4, vcc_lo
	;;#ASMSTART
	global_load_b128 v[5:8], v[3:4] off scope:SCOPE_DEV	
s_wait_loadcnt 0x0
	;;#ASMEND
	v_and_b32_e32 v8, 0xff, v7
	s_delay_alu instid0(VALU_DEP_1)
	v_cmpx_eq_u16_e32 0, v8
	s_cbranch_execz .LBB2074_57
.LBB2074_55:                            ; =>This Inner Loop Header: Depth=1
	;;#ASMSTART
	global_load_b128 v[5:8], v[3:4] off scope:SCOPE_DEV	
s_wait_loadcnt 0x0
	;;#ASMEND
	v_and_b32_e32 v8, 0xff, v7
	s_delay_alu instid0(VALU_DEP_1)
	v_cmp_ne_u16_e32 vcc_lo, 0, v8
	s_wait_alu 0xfffe
	s_or_b32 s6, vcc_lo, s6
	s_wait_alu 0xfffe
	s_and_not1_b32 exec_lo, exec_lo, s6
	s_cbranch_execnz .LBB2074_55
; %bb.56:
	s_or_b32 exec_lo, exec_lo, s6
.LBB2074_57:
	s_wait_alu 0xfffe
	s_or_b32 exec_lo, exec_lo, s4
	v_cmp_ne_u32_e32 vcc_lo, 31, v42
	v_and_b32_e32 v4, 0xff, v7
	v_lshlrev_b32_e64 v28, v42, -1
	s_mov_b32 s4, exec_lo
	s_wait_alu 0xfffd
	v_add_co_ci_u32_e64 v3, null, 0, v42, vcc_lo
	v_cmp_eq_u16_e32 vcc_lo, 2, v4
	s_delay_alu instid0(VALU_DEP_2)
	v_dual_mov_b32 v4, v5 :: v_dual_lshlrev_b32 v27, 2, v3
	s_wait_alu 0xfffd
	v_and_or_b32 v3, vcc_lo, v28, 0x80000000
	ds_bpermute_b32 v22, v27, v5
	ds_bpermute_b32 v8, v27, v6
	v_ctz_i32_b32_e32 v3, v3
	s_delay_alu instid0(VALU_DEP_1)
	v_cmpx_lt_u32_e64 v42, v3
	s_cbranch_execz .LBB2074_59
; %bb.58:
	s_wait_dscnt 0x1
	v_add_co_u32 v4, vcc_lo, v5, v22
	s_wait_alu 0xfffd
	v_add_co_ci_u32_e64 v6, null, 0, v6, vcc_lo
	s_delay_alu instid0(VALU_DEP_2) | instskip(SKIP_2) | instid1(VALU_DEP_2)
	v_add_co_u32 v5, vcc_lo, 0, v4
	s_wait_dscnt 0x0
	s_wait_alu 0xfffd
	v_add_co_ci_u32_e64 v6, null, v8, v6, vcc_lo
.LBB2074_59:
	s_wait_alu 0xfffe
	s_or_b32 exec_lo, exec_lo, s4
	v_cmp_gt_u32_e32 vcc_lo, 30, v42
	v_add_nc_u32_e32 v30, 2, v42
	s_mov_b32 s4, exec_lo
	s_wait_dscnt 0x0
	s_wait_alu 0xfffd
	v_cndmask_b32_e64 v8, 0, 2, vcc_lo
	s_delay_alu instid0(VALU_DEP_1)
	v_add_lshl_u32 v29, v8, v42, 2
	ds_bpermute_b32 v22, v29, v4
	ds_bpermute_b32 v8, v29, v6
	v_cmpx_le_u32_e64 v30, v3
	s_cbranch_execz .LBB2074_61
; %bb.60:
	s_wait_dscnt 0x1
	v_add_co_u32 v4, vcc_lo, v5, v22
	s_wait_alu 0xfffd
	v_add_co_ci_u32_e64 v6, null, 0, v6, vcc_lo
	s_delay_alu instid0(VALU_DEP_2) | instskip(SKIP_2) | instid1(VALU_DEP_2)
	v_add_co_u32 v5, vcc_lo, 0, v4
	s_wait_dscnt 0x0
	s_wait_alu 0xfffd
	v_add_co_ci_u32_e64 v6, null, v8, v6, vcc_lo
.LBB2074_61:
	s_wait_alu 0xfffe
	s_or_b32 exec_lo, exec_lo, s4
	v_cmp_gt_u32_e32 vcc_lo, 28, v42
	v_add_nc_u32_e32 v45, 4, v42
	s_mov_b32 s4, exec_lo
	s_wait_dscnt 0x0
	s_wait_alu 0xfffd
	v_cndmask_b32_e64 v8, 0, 4, vcc_lo
	s_delay_alu instid0(VALU_DEP_1)
	v_add_lshl_u32 v44, v8, v42, 2
	ds_bpermute_b32 v22, v44, v4
	ds_bpermute_b32 v8, v44, v6
	v_cmpx_le_u32_e64 v45, v3
	;; [unrolled: 25-line block ×3, first 2 shown]
	s_cbranch_execz .LBB2074_65
; %bb.64:
	s_wait_dscnt 0x1
	v_add_co_u32 v4, vcc_lo, v5, v22
	s_wait_alu 0xfffd
	v_add_co_ci_u32_e64 v6, null, 0, v6, vcc_lo
	s_delay_alu instid0(VALU_DEP_2) | instskip(SKIP_2) | instid1(VALU_DEP_2)
	v_add_co_u32 v5, vcc_lo, 0, v4
	s_wait_dscnt 0x0
	s_wait_alu 0xfffd
	v_add_co_ci_u32_e64 v6, null, v8, v6, vcc_lo
.LBB2074_65:
	s_wait_alu 0xfffe
	s_or_b32 exec_lo, exec_lo, s4
	v_lshl_or_b32 v48, v42, 2, 64
	v_add_nc_u32_e32 v49, 16, v42
	s_mov_b32 s4, exec_lo
	s_wait_dscnt 0x0
	ds_bpermute_b32 v8, v48, v4
	ds_bpermute_b32 v4, v48, v6
	v_cmpx_le_u32_e64 v49, v3
	s_cbranch_execz .LBB2074_67
; %bb.66:
	s_wait_dscnt 0x1
	v_add_co_u32 v3, vcc_lo, v5, v8
	s_wait_alu 0xfffd
	v_add_co_ci_u32_e64 v6, null, 0, v6, vcc_lo
	s_delay_alu instid0(VALU_DEP_2) | instskip(SKIP_2) | instid1(VALU_DEP_2)
	v_add_co_u32 v5, vcc_lo, v3, 0
	s_wait_dscnt 0x0
	s_wait_alu 0xfffd
	v_add_co_ci_u32_e64 v6, null, v6, v4, vcc_lo
.LBB2074_67:
	s_wait_alu 0xfffe
	s_or_b32 exec_lo, exec_lo, s4
	v_mov_b32_e32 v22, 0
	s_branch .LBB2074_70
.LBB2074_68:                            ;   in Loop: Header=BB2074_70 Depth=1
	s_wait_alu 0xfffe
	s_or_b32 exec_lo, exec_lo, s4
	v_add_co_u32 v5, vcc_lo, v5, v3
	v_subrev_nc_u32_e32 v21, 32, v21
	s_wait_alu 0xfffd
	v_add_co_ci_u32_e64 v6, null, v6, v4, vcc_lo
	s_mov_b32 s4, 0
.LBB2074_69:                            ;   in Loop: Header=BB2074_70 Depth=1
	s_wait_alu 0xfffe
	s_and_b32 vcc_lo, exec_lo, s4
	s_wait_alu 0xfffe
	s_cbranch_vccnz .LBB2074_86
.LBB2074_70:                            ; =>This Loop Header: Depth=1
                                        ;     Child Loop BB2074_73 Depth 2
	v_and_b32_e32 v3, 0xff, v7
	s_mov_b32 s4, -1
	s_delay_alu instid0(VALU_DEP_1)
	v_cmp_ne_u16_e32 vcc_lo, 2, v3
	s_wait_dscnt 0x0
	v_dual_mov_b32 v3, v5 :: v_dual_mov_b32 v4, v6
                                        ; implicit-def: $vgpr5_vgpr6
	s_cmp_lg_u32 vcc_lo, exec_lo
	s_cbranch_scc1 .LBB2074_69
; %bb.71:                               ;   in Loop: Header=BB2074_70 Depth=1
	v_lshlrev_b64_e32 v[5:6], 4, v[21:22]
	s_mov_b32 s4, exec_lo
	s_delay_alu instid0(VALU_DEP_1) | instskip(SKIP_1) | instid1(VALU_DEP_2)
	v_add_co_u32 v23, vcc_lo, s16, v5
	s_wait_alu 0xfffd
	v_add_co_ci_u32_e64 v24, null, s17, v6, vcc_lo
	;;#ASMSTART
	global_load_b128 v[5:8], v[23:24] off scope:SCOPE_DEV	
s_wait_loadcnt 0x0
	;;#ASMEND
	v_and_b32_e32 v8, 0xff, v7
	s_delay_alu instid0(VALU_DEP_1)
	v_cmpx_eq_u16_e32 0, v8
	s_cbranch_execz .LBB2074_75
; %bb.72:                               ;   in Loop: Header=BB2074_70 Depth=1
	s_mov_b32 s6, 0
.LBB2074_73:                            ;   Parent Loop BB2074_70 Depth=1
                                        ; =>  This Inner Loop Header: Depth=2
	;;#ASMSTART
	global_load_b128 v[5:8], v[23:24] off scope:SCOPE_DEV	
s_wait_loadcnt 0x0
	;;#ASMEND
	v_and_b32_e32 v8, 0xff, v7
	s_delay_alu instid0(VALU_DEP_1)
	v_cmp_ne_u16_e32 vcc_lo, 0, v8
	s_wait_alu 0xfffe
	s_or_b32 s6, vcc_lo, s6
	s_wait_alu 0xfffe
	s_and_not1_b32 exec_lo, exec_lo, s6
	s_cbranch_execnz .LBB2074_73
; %bb.74:                               ;   in Loop: Header=BB2074_70 Depth=1
	s_or_b32 exec_lo, exec_lo, s6
.LBB2074_75:                            ;   in Loop: Header=BB2074_70 Depth=1
	s_wait_alu 0xfffe
	s_or_b32 exec_lo, exec_lo, s4
	v_dual_mov_b32 v23, v5 :: v_dual_and_b32 v8, 0xff, v7
	ds_bpermute_b32 v50, v27, v5
	ds_bpermute_b32 v24, v27, v6
	s_mov_b32 s4, exec_lo
	v_cmp_eq_u16_e32 vcc_lo, 2, v8
	s_wait_alu 0xfffd
	v_and_or_b32 v8, vcc_lo, v28, 0x80000000
	s_delay_alu instid0(VALU_DEP_1) | instskip(NEXT) | instid1(VALU_DEP_1)
	v_ctz_i32_b32_e32 v8, v8
	v_cmpx_lt_u32_e64 v42, v8
	s_cbranch_execz .LBB2074_77
; %bb.76:                               ;   in Loop: Header=BB2074_70 Depth=1
	s_wait_dscnt 0x1
	v_add_co_u32 v23, vcc_lo, v5, v50
	s_wait_alu 0xfffd
	v_add_co_ci_u32_e64 v6, null, 0, v6, vcc_lo
	s_delay_alu instid0(VALU_DEP_2) | instskip(SKIP_2) | instid1(VALU_DEP_2)
	v_add_co_u32 v5, vcc_lo, 0, v23
	s_wait_dscnt 0x0
	s_wait_alu 0xfffd
	v_add_co_ci_u32_e64 v6, null, v24, v6, vcc_lo
.LBB2074_77:                            ;   in Loop: Header=BB2074_70 Depth=1
	s_wait_alu 0xfffe
	s_or_b32 exec_lo, exec_lo, s4
	s_wait_dscnt 0x1
	ds_bpermute_b32 v50, v29, v23
	s_wait_dscnt 0x1
	ds_bpermute_b32 v24, v29, v6
	s_mov_b32 s4, exec_lo
	v_cmpx_le_u32_e64 v30, v8
	s_cbranch_execz .LBB2074_79
; %bb.78:                               ;   in Loop: Header=BB2074_70 Depth=1
	s_wait_dscnt 0x1
	v_add_co_u32 v23, vcc_lo, v5, v50
	s_wait_alu 0xfffd
	v_add_co_ci_u32_e64 v6, null, 0, v6, vcc_lo
	s_delay_alu instid0(VALU_DEP_2) | instskip(SKIP_2) | instid1(VALU_DEP_2)
	v_add_co_u32 v5, vcc_lo, 0, v23
	s_wait_dscnt 0x0
	s_wait_alu 0xfffd
	v_add_co_ci_u32_e64 v6, null, v24, v6, vcc_lo
.LBB2074_79:                            ;   in Loop: Header=BB2074_70 Depth=1
	s_wait_alu 0xfffe
	s_or_b32 exec_lo, exec_lo, s4
	s_wait_dscnt 0x1
	ds_bpermute_b32 v50, v44, v23
	s_wait_dscnt 0x1
	ds_bpermute_b32 v24, v44, v6
	s_mov_b32 s4, exec_lo
	v_cmpx_le_u32_e64 v45, v8
	;; [unrolled: 20-line block ×3, first 2 shown]
	s_cbranch_execz .LBB2074_83
; %bb.82:                               ;   in Loop: Header=BB2074_70 Depth=1
	s_wait_dscnt 0x1
	v_add_co_u32 v23, vcc_lo, v5, v50
	s_wait_alu 0xfffd
	v_add_co_ci_u32_e64 v6, null, 0, v6, vcc_lo
	s_delay_alu instid0(VALU_DEP_2) | instskip(SKIP_2) | instid1(VALU_DEP_2)
	v_add_co_u32 v5, vcc_lo, 0, v23
	s_wait_dscnt 0x0
	s_wait_alu 0xfffd
	v_add_co_ci_u32_e64 v6, null, v24, v6, vcc_lo
.LBB2074_83:                            ;   in Loop: Header=BB2074_70 Depth=1
	s_wait_alu 0xfffe
	s_or_b32 exec_lo, exec_lo, s4
	s_wait_dscnt 0x0
	ds_bpermute_b32 v24, v48, v23
	ds_bpermute_b32 v23, v48, v6
	s_mov_b32 s4, exec_lo
	v_cmpx_le_u32_e64 v49, v8
	s_cbranch_execz .LBB2074_68
; %bb.84:                               ;   in Loop: Header=BB2074_70 Depth=1
	s_wait_dscnt 0x1
	v_add_co_u32 v5, vcc_lo, v5, v24
	s_wait_alu 0xfffd
	v_add_co_ci_u32_e64 v6, null, 0, v6, vcc_lo
	s_delay_alu instid0(VALU_DEP_2) | instskip(SKIP_2) | instid1(VALU_DEP_2)
	v_add_co_u32 v5, vcc_lo, v5, 0
	s_wait_dscnt 0x0
	s_wait_alu 0xfffd
	v_add_co_ci_u32_e64 v6, null, v6, v23, vcc_lo
	s_branch .LBB2074_68
.LBB2074_85:
                                        ; implicit-def: $vgpr19_vgpr20
                                        ; implicit-def: $vgpr6_vgpr7
                                        ; implicit-def: $vgpr21_vgpr22
                                        ; implicit-def: $vgpr23_vgpr24
                                        ; implicit-def: $vgpr25_vgpr26
                                        ; implicit-def: $vgpr27_vgpr28
                                        ; implicit-def: $vgpr29_vgpr30
                                        ; implicit-def: $vgpr4_vgpr5
	s_wait_alu 0xfffe
	s_and_b32 vcc_lo, exec_lo, s1
	s_wait_alu 0xfffe
	s_cbranch_vccnz .LBB2074_91
	s_branch .LBB2074_118
.LBB2074_86:
	s_and_saveexec_b32 s4, s1
	s_cbranch_execz .LBB2074_88
; %bb.87:
	s_add_co_i32 s6, s20, 32
	s_mov_b32 s7, 0
	v_add_co_u32 v5, vcc_lo, v3, v1
	s_wait_alu 0xfffe
	s_lshl_b64 s[6:7], s[6:7], 4
	v_dual_mov_b32 v7, 2 :: v_dual_mov_b32 v8, 0
	s_wait_alu 0xfffe
	s_add_nc_u64 s[6:7], s[16:17], s[6:7]
	s_wait_alu 0xfffd
	v_add_co_ci_u32_e64 v6, null, v4, v2, vcc_lo
	s_wait_alu 0xfffe
	v_dual_mov_b32 v22, s7 :: v_dual_mov_b32 v21, s6
	;;#ASMSTART
	global_store_b128 v[21:22], v[5:8] off scope:SCOPE_DEV	
s_wait_storecnt 0x0
	;;#ASMEND
	ds_store_b128 v8, v[1:4] offset:10752
.LBB2074_88:
	s_wait_alu 0xfffe
	s_or_b32 exec_lo, exec_lo, s4
	s_delay_alu instid0(SALU_CYCLE_1)
	s_and_b32 exec_lo, exec_lo, s2
; %bb.89:
	v_mov_b32_e32 v1, 0
	ds_store_b64 v1, v[3:4] offset:88
.LBB2074_90:
	s_wait_alu 0xfffe
	s_or_b32 exec_lo, exec_lo, s3
	v_mov_b32_e32 v3, 0
	s_wait_loadcnt_dscnt 0x0
	s_barrier_signal -1
	s_barrier_wait -1
	global_inv scope:SCOPE_SE
	ds_load_b64 v[1:2], v3 offset:88
	v_cndmask_b32_e64 v4, v25, v19, s1
	v_cndmask_b32_e64 v5, v26, v20, s1
	s_wait_loadcnt_dscnt 0x0
	s_barrier_signal -1
	s_barrier_wait -1
	v_cndmask_b32_e64 v4, v4, 0, s2
	v_cndmask_b32_e64 v5, v5, 0, s2
	global_inv scope:SCOPE_SE
	v_add_co_u32 v29, vcc_lo, v1, v4
	s_wait_alu 0xfffd
	v_add_co_ci_u32_e64 v30, null, v2, v5, vcc_lo
	ds_load_b128 v[2:5], v3 offset:10752
	v_add_co_u32 v27, vcc_lo, v29, v39
	s_wait_alu 0xfffd
	v_add_co_ci_u32_e64 v28, null, 0, v30, vcc_lo
	s_delay_alu instid0(VALU_DEP_2) | instskip(SKIP_1) | instid1(VALU_DEP_2)
	v_add_co_u32 v25, vcc_lo, v27, v38
	s_wait_alu 0xfffd
	v_add_co_ci_u32_e64 v26, null, 0, v28, vcc_lo
	s_delay_alu instid0(VALU_DEP_2) | instskip(SKIP_1) | instid1(VALU_DEP_2)
	;; [unrolled: 4-line block ×5, first 2 shown]
	v_add_co_u32 v19, vcc_lo, v6, v37
	s_wait_alu 0xfffd
	v_add_co_ci_u32_e64 v20, null, 0, v7, vcc_lo
	s_branch .LBB2074_118
.LBB2074_91:
	s_wait_dscnt 0x0
	v_dual_mov_b32 v2, 0 :: v_dual_mov_b32 v3, v17
	v_mov_b32_dpp v4, v17 row_shr:1 row_mask:0xf bank_mask:0xf
	s_delay_alu instid0(VALU_DEP_2)
	v_mov_b32_dpp v1, v2 row_shr:1 row_mask:0xf bank_mask:0xf
	s_and_saveexec_b32 s1, s0
; %bb.92:
	s_delay_alu instid0(VALU_DEP_2) | instskip(SKIP_2) | instid1(VALU_DEP_2)
	v_add_co_u32 v3, vcc_lo, v17, v4
	s_wait_alu 0xfffd
	v_add_co_ci_u32_e64 v2, null, 0, v18, vcc_lo
	v_add_co_u32 v17, vcc_lo, 0, v3
	s_wait_alu 0xfffd
	s_delay_alu instid0(VALU_DEP_2) | instskip(NEXT) | instid1(VALU_DEP_1)
	v_add_co_ci_u32_e64 v18, null, v1, v2, vcc_lo
	v_mov_b32_e32 v2, v18
; %bb.93:
	s_wait_alu 0xfffe
	s_or_b32 exec_lo, exec_lo, s1
	v_mov_b32_dpp v1, v3 row_shr:2 row_mask:0xf bank_mask:0xf
	s_delay_alu instid0(VALU_DEP_2)
	v_mov_b32_dpp v4, v2 row_shr:2 row_mask:0xf bank_mask:0xf
	v_cmp_lt_u32_e32 vcc_lo, 1, v43
	s_and_saveexec_b32 s3, vcc_lo
; %bb.94:
	s_delay_alu instid0(VALU_DEP_3) | instskip(SKIP_2) | instid1(VALU_DEP_2)
	v_add_co_u32 v3, s1, v17, v1
	s_wait_alu 0xf1ff
	v_add_co_ci_u32_e64 v2, null, 0, v18, s1
	v_add_co_u32 v1, s1, 0, v3
	s_wait_alu 0xf1ff
	s_delay_alu instid0(VALU_DEP_2) | instskip(NEXT) | instid1(VALU_DEP_1)
	v_add_co_ci_u32_e64 v2, null, v4, v2, s1
	v_dual_mov_b32 v18, v2 :: v_dual_mov_b32 v17, v1
; %bb.95:
	s_wait_alu 0xfffe
	s_or_b32 exec_lo, exec_lo, s3
	v_mov_b32_dpp v1, v3 row_shr:4 row_mask:0xf bank_mask:0xf
	v_mov_b32_dpp v4, v2 row_shr:4 row_mask:0xf bank_mask:0xf
	v_cmp_lt_u32_e64 s1, 3, v43
	s_and_saveexec_b32 s4, s1
; %bb.96:
	v_add_co_u32 v3, s3, v17, v1
	s_wait_alu 0xf1ff
	v_add_co_ci_u32_e64 v2, null, 0, v18, s3
	s_delay_alu instid0(VALU_DEP_2) | instskip(SKIP_1) | instid1(VALU_DEP_2)
	v_add_co_u32 v1, s3, 0, v3
	s_wait_alu 0xf1ff
	v_add_co_ci_u32_e64 v2, null, v4, v2, s3
	s_delay_alu instid0(VALU_DEP_1)
	v_dual_mov_b32 v18, v2 :: v_dual_mov_b32 v17, v1
; %bb.97:
	s_wait_alu 0xfffe
	s_or_b32 exec_lo, exec_lo, s4
	v_mov_b32_dpp v4, v3 row_shr:8 row_mask:0xf bank_mask:0xf
	v_mov_b32_dpp v1, v2 row_shr:8 row_mask:0xf bank_mask:0xf
	v_cmp_lt_u32_e64 s3, 7, v43
	s_and_saveexec_b32 s6, s3
; %bb.98:
	v_add_co_u32 v3, s4, v17, v4
	s_wait_alu 0xf1ff
	v_add_co_ci_u32_e64 v2, null, 0, v18, s4
	s_delay_alu instid0(VALU_DEP_2) | instskip(SKIP_1) | instid1(VALU_DEP_2)
	v_add_co_u32 v17, s4, 0, v3
	s_wait_alu 0xf1ff
	v_add_co_ci_u32_e64 v18, null, v1, v2, s4
	s_delay_alu instid0(VALU_DEP_1)
	v_mov_b32_e32 v2, v18
; %bb.99:
	s_wait_alu 0xfffe
	s_or_b32 exec_lo, exec_lo, s6
	ds_swizzle_b32 v3, v3 offset:swizzle(BROADCAST,32,15)
	ds_swizzle_b32 v1, v2 offset:swizzle(BROADCAST,32,15)
	v_and_b32_e32 v2, 16, v42
	s_mov_b32 s6, exec_lo
	s_delay_alu instid0(VALU_DEP_1)
	v_cmpx_ne_u32_e32 0, v2
	s_cbranch_execz .LBB2074_101
; %bb.100:
	s_wait_dscnt 0x1
	v_add_co_u32 v2, s4, v17, v3
	s_wait_alu 0xf1ff
	v_add_co_ci_u32_e64 v3, null, 0, v18, s4
	s_delay_alu instid0(VALU_DEP_2) | instskip(SKIP_2) | instid1(VALU_DEP_2)
	v_add_co_u32 v17, s4, v2, 0
	s_wait_dscnt 0x0
	s_wait_alu 0xf1ff
	v_add_co_ci_u32_e64 v18, null, v3, v1, s4
.LBB2074_101:
	s_wait_alu 0xfffe
	s_or_b32 exec_lo, exec_lo, s6
	s_wait_dscnt 0x0
	v_and_b32_e32 v1, 0x1e0, v0
	v_lshrrev_b32_e32 v3, 5, v0
	s_mov_b32 s6, exec_lo
	s_delay_alu instid0(VALU_DEP_2) | instskip(NEXT) | instid1(VALU_DEP_1)
	v_min_u32_e32 v1, 0x160, v1
	v_or_b32_e32 v1, 31, v1
	s_delay_alu instid0(VALU_DEP_1)
	v_cmpx_eq_u32_e64 v0, v1
; %bb.102:
	v_lshlrev_b32_e32 v1, 3, v3
	ds_store_b64 v1, v[17:18]
; %bb.103:
	s_wait_alu 0xfffe
	s_or_b32 exec_lo, exec_lo, s6
	s_delay_alu instid0(SALU_CYCLE_1)
	s_mov_b32 s6, exec_lo
	s_wait_loadcnt_dscnt 0x0
	s_barrier_signal -1
	s_barrier_wait -1
	global_inv scope:SCOPE_SE
	v_cmpx_gt_u32_e32 12, v0
	s_cbranch_execz .LBB2074_113
; %bb.104:
	v_mad_i32_i24 v1, 0xffffffec, v0, v31
	ds_load_b64 v[1:2], v1
	s_wait_dscnt 0x0
	v_mov_b32_dpp v6, v1 row_shr:1 row_mask:0xf bank_mask:0xf
	v_mov_b32_dpp v5, v2 row_shr:1 row_mask:0xf bank_mask:0xf
	v_mov_b32_e32 v4, v1
	s_and_saveexec_b32 s4, s0
; %bb.105:
	s_delay_alu instid0(VALU_DEP_3) | instskip(SKIP_2) | instid1(VALU_DEP_2)
	v_add_co_u32 v4, s0, v1, v6
	s_wait_alu 0xf1ff
	v_add_co_ci_u32_e64 v2, null, 0, v2, s0
	v_add_co_u32 v1, s0, 0, v4
	s_wait_alu 0xf1ff
	s_delay_alu instid0(VALU_DEP_2)
	v_add_co_ci_u32_e64 v2, null, v5, v2, s0
; %bb.106:
	s_wait_alu 0xfffe
	s_or_b32 exec_lo, exec_lo, s4
	v_mov_b32_dpp v6, v4 row_shr:2 row_mask:0xf bank_mask:0xf
	s_delay_alu instid0(VALU_DEP_2)
	v_mov_b32_dpp v5, v2 row_shr:2 row_mask:0xf bank_mask:0xf
	s_and_saveexec_b32 s0, vcc_lo
; %bb.107:
	s_delay_alu instid0(VALU_DEP_2) | instskip(SKIP_2) | instid1(VALU_DEP_2)
	v_add_co_u32 v4, vcc_lo, v1, v6
	s_wait_alu 0xfffd
	v_add_co_ci_u32_e64 v2, null, 0, v2, vcc_lo
	v_add_co_u32 v1, vcc_lo, 0, v4
	s_wait_alu 0xfffd
	s_delay_alu instid0(VALU_DEP_2)
	v_add_co_ci_u32_e64 v2, null, v5, v2, vcc_lo
; %bb.108:
	s_wait_alu 0xfffe
	s_or_b32 exec_lo, exec_lo, s0
	v_mov_b32_dpp v6, v4 row_shr:4 row_mask:0xf bank_mask:0xf
	s_delay_alu instid0(VALU_DEP_2)
	v_mov_b32_dpp v5, v2 row_shr:4 row_mask:0xf bank_mask:0xf
	s_and_saveexec_b32 s0, s1
; %bb.109:
	s_delay_alu instid0(VALU_DEP_2) | instskip(SKIP_2) | instid1(VALU_DEP_2)
	v_add_co_u32 v4, vcc_lo, v1, v6
	s_wait_alu 0xfffd
	v_add_co_ci_u32_e64 v2, null, 0, v2, vcc_lo
	v_add_co_u32 v1, vcc_lo, 0, v4
	s_wait_alu 0xfffd
	s_delay_alu instid0(VALU_DEP_2)
	v_add_co_ci_u32_e64 v2, null, v5, v2, vcc_lo
; %bb.110:
	s_wait_alu 0xfffe
	s_or_b32 exec_lo, exec_lo, s0
	v_mul_i32_i24_e32 v5, 0xffffffec, v0
	v_mov_b32_dpp v6, v4 row_shr:8 row_mask:0xf bank_mask:0xf
	v_mov_b32_dpp v4, v2 row_shr:8 row_mask:0xf bank_mask:0xf
	s_and_saveexec_b32 s0, s3
; %bb.111:
	s_delay_alu instid0(VALU_DEP_2) | instskip(SKIP_2) | instid1(VALU_DEP_2)
	v_add_co_u32 v1, vcc_lo, v1, v6
	s_wait_alu 0xfffd
	v_add_co_ci_u32_e64 v2, null, 0, v2, vcc_lo
	v_add_co_u32 v1, vcc_lo, v1, 0
	s_wait_alu 0xfffd
	s_delay_alu instid0(VALU_DEP_2)
	v_add_co_ci_u32_e64 v2, null, v2, v4, vcc_lo
; %bb.112:
	s_wait_alu 0xfffe
	s_or_b32 exec_lo, exec_lo, s0
	v_add_nc_u32_e32 v4, v31, v5
	ds_store_b64 v4, v[1:2]
.LBB2074_113:
	s_wait_alu 0xfffe
	s_or_b32 exec_lo, exec_lo, s6
	v_mov_b32_e32 v6, 0
	v_mov_b32_e32 v7, 0
	s_mov_b32 s0, exec_lo
	s_wait_loadcnt_dscnt 0x0
	s_barrier_signal -1
	s_barrier_wait -1
	global_inv scope:SCOPE_SE
	v_cmpx_lt_u32_e32 31, v0
; %bb.114:
	v_lshl_add_u32 v1, v3, 3, -8
	ds_load_b64 v[6:7], v1
; %bb.115:
	s_wait_alu 0xfffe
	s_or_b32 exec_lo, exec_lo, s0
	v_sub_co_u32 v1, vcc_lo, v42, 1
	v_mov_b32_e32 v5, 0
	s_delay_alu instid0(VALU_DEP_2) | instskip(SKIP_1) | instid1(VALU_DEP_1)
	v_cmp_gt_i32_e64 s0, 0, v1
	s_wait_alu 0xf1ff
	v_cndmask_b32_e64 v1, v1, v42, s0
	s_delay_alu instid0(VALU_DEP_1)
	v_lshlrev_b32_e32 v2, 2, v1
	s_wait_dscnt 0x0
	v_add_co_u32 v1, s0, v6, v17
	s_wait_alu 0xf1ff
	v_add_co_ci_u32_e64 v3, null, v7, v18, s0
	ds_bpermute_b32 v1, v2, v1
	ds_bpermute_b32 v8, v2, v3
	ds_load_b64 v[2:3], v5 offset:88
	s_and_saveexec_b32 s0, s2
	s_cbranch_execz .LBB2074_117
; %bb.116:
	s_add_nc_u64 s[6:7], s[16:17], 0x200
	v_mov_b32_e32 v4, 2
	s_wait_alu 0xfffe
	v_dual_mov_b32 v18, s7 :: v_dual_mov_b32 v17, s6
	s_wait_dscnt 0x0
	;;#ASMSTART
	global_store_b128 v[17:18], v[2:5] off scope:SCOPE_DEV	
s_wait_storecnt 0x0
	;;#ASMEND
.LBB2074_117:
	s_wait_alu 0xfffe
	s_or_b32 exec_lo, exec_lo, s0
	s_wait_dscnt 0x1
	s_wait_alu 0xfffd
	v_dual_cndmask_b32 v1, v1, v6 :: v_dual_cndmask_b32 v4, v8, v7
	s_wait_loadcnt_dscnt 0x0
	s_barrier_signal -1
	s_barrier_wait -1
	s_delay_alu instid0(VALU_DEP_1)
	v_cndmask_b32_e64 v29, v1, 0, s2
	v_cndmask_b32_e64 v30, v4, 0, s2
	v_mov_b32_e32 v4, 0
	v_mov_b32_e32 v5, 0
	global_inv scope:SCOPE_SE
	v_add_co_u32 v27, vcc_lo, v29, v39
	s_wait_alu 0xfffd
	v_add_co_ci_u32_e64 v28, null, 0, v30, vcc_lo
	s_delay_alu instid0(VALU_DEP_2) | instskip(SKIP_1) | instid1(VALU_DEP_2)
	v_add_co_u32 v25, vcc_lo, v27, v38
	s_wait_alu 0xfffd
	v_add_co_ci_u32_e64 v26, null, 0, v28, vcc_lo
	s_delay_alu instid0(VALU_DEP_2) | instskip(SKIP_1) | instid1(VALU_DEP_2)
	;; [unrolled: 4-line block ×5, first 2 shown]
	v_add_co_u32 v19, vcc_lo, v6, v37
	s_wait_alu 0xfffd
	v_add_co_ci_u32_e64 v20, null, 0, v7, vcc_lo
.LBB2074_118:
	v_and_b32_e32 v37, 1, v32
	s_wait_dscnt 0x0
	v_cmp_gt_u64_e32 vcc_lo, 0x181, v[2:3]
	v_lshlrev_b64_e32 v[17:18], 1, v[9:10]
	v_lshrrev_b32_e32 v8, 8, v32
	v_lshrrev_b32_e32 v1, 16, v32
	v_cmp_eq_u32_e64 s0, 1, v37
	s_mov_b32 s1, -1
	s_cbranch_vccnz .LBB2074_122
; %bb.119:
	s_wait_alu 0xfffe
	s_and_b32 vcc_lo, exec_lo, s1
	s_wait_alu 0xfffe
	s_cbranch_vccnz .LBB2074_137
.LBB2074_120:
	s_and_b32 s0, s2, s14
	s_wait_alu 0xfffe
	s_and_saveexec_b32 s1, s0
	s_cbranch_execnz .LBB2074_154
.LBB2074_121:
	s_endpgm
.LBB2074_122:
	v_add_co_u32 v31, vcc_lo, v4, v2
	s_wait_alu 0xfffd
	v_add_co_ci_u32_e64 v32, null, v5, v3, vcc_lo
	v_add_co_u32 v38, s1, s10, v17
	s_wait_alu 0xf1fe
	v_add_co_ci_u32_e64 v39, null, s11, v18, s1
	s_delay_alu instid0(VALU_DEP_3)
	v_cmp_lt_u64_e32 vcc_lo, v[29:30], v[31:32]
	s_or_b32 s1, s15, vcc_lo
	s_wait_alu 0xfffe
	s_and_b32 s1, s1, s0
	s_wait_alu 0xfffe
	s_and_saveexec_b32 s0, s1
	s_cbranch_execz .LBB2074_124
; %bb.123:
	v_lshlrev_b64_e32 v[40:41], 1, v[29:30]
	s_delay_alu instid0(VALU_DEP_1) | instskip(SKIP_1) | instid1(VALU_DEP_2)
	v_add_co_u32 v40, vcc_lo, v38, v40
	s_wait_alu 0xfffd
	v_add_co_ci_u32_e64 v41, null, v39, v41, vcc_lo
	global_store_b16 v[40:41], v15, off
.LBB2074_124:
	s_wait_alu 0xfffe
	s_or_b32 exec_lo, exec_lo, s0
	v_and_b32_e32 v30, 1, v8
	v_cmp_lt_u64_e32 vcc_lo, v[27:28], v[31:32]
	s_delay_alu instid0(VALU_DEP_2)
	v_cmp_eq_u32_e64 s0, 1, v30
	s_or_b32 s1, s15, vcc_lo
	s_wait_alu 0xfffe
	s_and_b32 s1, s1, s0
	s_wait_alu 0xfffe
	s_and_saveexec_b32 s0, s1
	s_cbranch_execz .LBB2074_126
; %bb.125:
	v_lshlrev_b64_e32 v[40:41], 1, v[27:28]
	s_delay_alu instid0(VALU_DEP_1) | instskip(SKIP_1) | instid1(VALU_DEP_2)
	v_add_co_u32 v40, vcc_lo, v38, v40
	s_wait_alu 0xfffd
	v_add_co_ci_u32_e64 v41, null, v39, v41, vcc_lo
	global_store_b16 v[40:41], v16, off
.LBB2074_126:
	s_wait_alu 0xfffe
	s_or_b32 exec_lo, exec_lo, s0
	v_and_b32_e32 v28, 1, v1
	v_cmp_lt_u64_e32 vcc_lo, v[25:26], v[31:32]
	s_delay_alu instid0(VALU_DEP_2)
	v_cmp_eq_u32_e64 s0, 1, v28
	;; [unrolled: 20-line block ×5, first 2 shown]
	s_or_b32 s1, s15, vcc_lo
	s_wait_alu 0xfffe
	s_and_b32 s1, s1, s0
	s_wait_alu 0xfffe
	s_and_saveexec_b32 s0, s1
	s_cbranch_execz .LBB2074_134
; %bb.133:
	v_lshlrev_b64_e32 v[40:41], 1, v[6:7]
	s_delay_alu instid0(VALU_DEP_1) | instskip(SKIP_1) | instid1(VALU_DEP_2)
	v_add_co_u32 v40, vcc_lo, v38, v40
	s_wait_alu 0xfffd
	v_add_co_ci_u32_e64 v41, null, v39, v41, vcc_lo
	global_store_b16 v[40:41], v12, off
.LBB2074_134:
	s_wait_alu 0xfffe
	s_or_b32 exec_lo, exec_lo, s0
	v_cmp_lt_u64_e32 vcc_lo, v[19:20], v[31:32]
	s_or_b32 s0, s15, vcc_lo
	s_wait_alu 0xfffe
	s_and_b32 s1, s0, s5
	s_wait_alu 0xfffe
	s_and_saveexec_b32 s0, s1
	s_cbranch_execz .LBB2074_136
; %bb.135:
	v_lshlrev_b64_e32 v[30:31], 1, v[19:20]
	s_delay_alu instid0(VALU_DEP_1) | instskip(SKIP_1) | instid1(VALU_DEP_2)
	v_add_co_u32 v30, vcc_lo, v38, v30
	s_wait_alu 0xfffd
	v_add_co_ci_u32_e64 v31, null, v39, v31, vcc_lo
	global_store_b16 v[30:31], v33, off
.LBB2074_136:
	s_wait_alu 0xfffe
	s_or_b32 exec_lo, exec_lo, s0
	s_branch .LBB2074_120
.LBB2074_137:
	s_mov_b32 s0, exec_lo
	v_cmpx_eq_u32_e32 1, v37
; %bb.138:
	v_sub_nc_u32_e32 v7, v29, v4
	s_delay_alu instid0(VALU_DEP_1)
	v_lshlrev_b32_e32 v7, 2, v7
	ds_store_b32 v7, v15
; %bb.139:
	s_wait_alu 0xfffe
	s_or_b32 exec_lo, exec_lo, s0
	v_and_b32_e32 v7, 1, v8
	s_mov_b32 s0, exec_lo
	s_delay_alu instid0(VALU_DEP_1)
	v_cmpx_eq_u32_e32 1, v7
; %bb.140:
	v_sub_nc_u32_e32 v7, v27, v4
	s_delay_alu instid0(VALU_DEP_1)
	v_lshlrev_b32_e32 v7, 2, v7
	ds_store_b32 v7, v16
; %bb.141:
	s_wait_alu 0xfffe
	s_or_b32 exec_lo, exec_lo, s0
	v_and_b32_e32 v1, 1, v1
	s_mov_b32 s0, exec_lo
	s_delay_alu instid0(VALU_DEP_1)
	;; [unrolled: 12-line block ×5, first 2 shown]
	v_cmpx_eq_u32_e32 1, v1
; %bb.148:
	v_sub_nc_u32_e32 v1, v6, v4
	s_delay_alu instid0(VALU_DEP_1)
	v_lshlrev_b32_e32 v1, 2, v1
	ds_store_b32 v1, v12
; %bb.149:
	s_wait_alu 0xfffe
	s_or_b32 exec_lo, exec_lo, s0
	s_and_saveexec_b32 s0, s5
; %bb.150:
	v_sub_nc_u32_e32 v1, v19, v4
	s_delay_alu instid0(VALU_DEP_1)
	v_lshlrev_b32_e32 v1, 2, v1
	ds_store_b32 v1, v33
; %bb.151:
	s_wait_alu 0xfffe
	s_or_b32 exec_lo, exec_lo, s0
	v_lshlrev_b64_e32 v[11:12], 1, v[4:5]
	v_add_co_u32 v8, vcc_lo, s10, v17
	v_mov_b32_e32 v1, 0
	s_wait_alu 0xfffd
	v_add_co_ci_u32_e64 v13, null, s11, v18, vcc_lo
	s_delay_alu instid0(VALU_DEP_3) | instskip(NEXT) | instid1(VALU_DEP_3)
	v_add_co_u32 v8, vcc_lo, v8, v11
	v_dual_mov_b32 v7, v1 :: v_dual_mov_b32 v6, v0
	s_wait_alu 0xfffd
	s_delay_alu instid0(VALU_DEP_3)
	v_add_co_ci_u32_e64 v11, null, v13, v12, vcc_lo
	v_add_nc_u32_e32 v0, 0x180, v0
	s_mov_b32 s1, 0
	s_wait_storecnt 0x0
	s_wait_loadcnt_dscnt 0x0
	s_barrier_signal -1
	s_barrier_wait -1
	global_inv scope:SCOPE_SE
.LBB2074_152:                           ; =>This Inner Loop Header: Depth=1
	v_lshlrev_b32_e32 v12, 2, v6
	v_cmp_le_u64_e32 vcc_lo, v[2:3], v[0:1]
	ds_load_u16 v14, v12
	v_lshlrev_b64_e32 v[12:13], 1, v[6:7]
	v_dual_mov_b32 v7, v1 :: v_dual_mov_b32 v6, v0
	v_add_nc_u32_e32 v0, 0x180, v0
	s_wait_alu 0xfffe
	s_or_b32 s1, vcc_lo, s1
	s_delay_alu instid0(VALU_DEP_3)
	v_add_co_u32 v12, s0, v8, v12
	s_wait_alu 0xf1ff
	v_add_co_ci_u32_e64 v13, null, v11, v13, s0
	s_wait_dscnt 0x0
	global_store_b16 v[12:13], v14, off
	s_wait_alu 0xfffe
	s_and_not1_b32 exec_lo, exec_lo, s1
	s_cbranch_execnz .LBB2074_152
; %bb.153:
	s_or_b32 exec_lo, exec_lo, s1
	s_and_b32 s0, s2, s14
	s_wait_alu 0xfffe
	s_and_saveexec_b32 s1, s0
	s_cbranch_execz .LBB2074_121
.LBB2074_154:
	v_add_co_u32 v0, vcc_lo, v4, v2
	s_wait_alu 0xfffd
	v_add_co_ci_u32_e64 v1, null, v5, v3, vcc_lo
	v_mov_b32_e32 v2, 0
	s_delay_alu instid0(VALU_DEP_3) | instskip(SKIP_1) | instid1(VALU_DEP_3)
	v_add_co_u32 v0, vcc_lo, v0, v9
	s_wait_alu 0xfffd
	v_add_co_ci_u32_e64 v1, null, v1, v10, vcc_lo
	global_store_b64 v2, v[0:1], s[12:13]
	s_endpgm
	.section	.rodata,"a",@progbits
	.p2align	6, 0x0
	.amdhsa_kernel _ZN7rocprim17ROCPRIM_400000_NS6detail17trampoline_kernelINS0_14default_configENS1_25partition_config_selectorILNS1_17partition_subalgoE6EN6thrust23THRUST_200600_302600_NS5tupleIssNS7_9null_typeES9_S9_S9_S9_S9_S9_S9_EENS0_10empty_typeEbEEZZNS1_14partition_implILS5_6ELb0ES3_mNS7_12zip_iteratorINS8_INS7_6detail15normal_iteratorINS7_10device_ptrIsEEEESJ_S9_S9_S9_S9_S9_S9_S9_S9_EEEEPSB_SM_NS0_5tupleIJNSE_INS8_ISJ_NS7_16discard_iteratorINS7_11use_defaultEEES9_S9_S9_S9_S9_S9_S9_S9_EEEESB_EEENSN_IJSM_SM_EEESB_PlJNSF_9not_fun_tINSF_14equal_to_valueISA_EEEEEEE10hipError_tPvRmT3_T4_T5_T6_T7_T9_mT8_P12ihipStream_tbDpT10_ENKUlT_T0_E_clISt17integral_constantIbLb0EES1I_IbLb1EEEEDaS1E_S1F_EUlS1E_E_NS1_11comp_targetILNS1_3genE10ELNS1_11target_archE1200ELNS1_3gpuE4ELNS1_3repE0EEENS1_30default_config_static_selectorELNS0_4arch9wavefront6targetE0EEEvT1_
		.amdhsa_group_segment_fixed_size 10768
		.amdhsa_private_segment_fixed_size 0
		.amdhsa_kernarg_size 152
		.amdhsa_user_sgpr_count 2
		.amdhsa_user_sgpr_dispatch_ptr 0
		.amdhsa_user_sgpr_queue_ptr 0
		.amdhsa_user_sgpr_kernarg_segment_ptr 1
		.amdhsa_user_sgpr_dispatch_id 0
		.amdhsa_user_sgpr_private_segment_size 0
		.amdhsa_wavefront_size32 1
		.amdhsa_uses_dynamic_stack 0
		.amdhsa_enable_private_segment 0
		.amdhsa_system_sgpr_workgroup_id_x 1
		.amdhsa_system_sgpr_workgroup_id_y 0
		.amdhsa_system_sgpr_workgroup_id_z 0
		.amdhsa_system_sgpr_workgroup_info 0
		.amdhsa_system_vgpr_workitem_id 0
		.amdhsa_next_free_vgpr 51
		.amdhsa_next_free_sgpr 26
		.amdhsa_reserve_vcc 1
		.amdhsa_float_round_mode_32 0
		.amdhsa_float_round_mode_16_64 0
		.amdhsa_float_denorm_mode_32 3
		.amdhsa_float_denorm_mode_16_64 3
		.amdhsa_fp16_overflow 0
		.amdhsa_workgroup_processor_mode 1
		.amdhsa_memory_ordered 1
		.amdhsa_forward_progress 1
		.amdhsa_inst_pref_size 63
		.amdhsa_round_robin_scheduling 0
		.amdhsa_exception_fp_ieee_invalid_op 0
		.amdhsa_exception_fp_denorm_src 0
		.amdhsa_exception_fp_ieee_div_zero 0
		.amdhsa_exception_fp_ieee_overflow 0
		.amdhsa_exception_fp_ieee_underflow 0
		.amdhsa_exception_fp_ieee_inexact 0
		.amdhsa_exception_int_div_zero 0
	.end_amdhsa_kernel
	.section	.text._ZN7rocprim17ROCPRIM_400000_NS6detail17trampoline_kernelINS0_14default_configENS1_25partition_config_selectorILNS1_17partition_subalgoE6EN6thrust23THRUST_200600_302600_NS5tupleIssNS7_9null_typeES9_S9_S9_S9_S9_S9_S9_EENS0_10empty_typeEbEEZZNS1_14partition_implILS5_6ELb0ES3_mNS7_12zip_iteratorINS8_INS7_6detail15normal_iteratorINS7_10device_ptrIsEEEESJ_S9_S9_S9_S9_S9_S9_S9_S9_EEEEPSB_SM_NS0_5tupleIJNSE_INS8_ISJ_NS7_16discard_iteratorINS7_11use_defaultEEES9_S9_S9_S9_S9_S9_S9_S9_EEEESB_EEENSN_IJSM_SM_EEESB_PlJNSF_9not_fun_tINSF_14equal_to_valueISA_EEEEEEE10hipError_tPvRmT3_T4_T5_T6_T7_T9_mT8_P12ihipStream_tbDpT10_ENKUlT_T0_E_clISt17integral_constantIbLb0EES1I_IbLb1EEEEDaS1E_S1F_EUlS1E_E_NS1_11comp_targetILNS1_3genE10ELNS1_11target_archE1200ELNS1_3gpuE4ELNS1_3repE0EEENS1_30default_config_static_selectorELNS0_4arch9wavefront6targetE0EEEvT1_,"axG",@progbits,_ZN7rocprim17ROCPRIM_400000_NS6detail17trampoline_kernelINS0_14default_configENS1_25partition_config_selectorILNS1_17partition_subalgoE6EN6thrust23THRUST_200600_302600_NS5tupleIssNS7_9null_typeES9_S9_S9_S9_S9_S9_S9_EENS0_10empty_typeEbEEZZNS1_14partition_implILS5_6ELb0ES3_mNS7_12zip_iteratorINS8_INS7_6detail15normal_iteratorINS7_10device_ptrIsEEEESJ_S9_S9_S9_S9_S9_S9_S9_S9_EEEEPSB_SM_NS0_5tupleIJNSE_INS8_ISJ_NS7_16discard_iteratorINS7_11use_defaultEEES9_S9_S9_S9_S9_S9_S9_S9_EEEESB_EEENSN_IJSM_SM_EEESB_PlJNSF_9not_fun_tINSF_14equal_to_valueISA_EEEEEEE10hipError_tPvRmT3_T4_T5_T6_T7_T9_mT8_P12ihipStream_tbDpT10_ENKUlT_T0_E_clISt17integral_constantIbLb0EES1I_IbLb1EEEEDaS1E_S1F_EUlS1E_E_NS1_11comp_targetILNS1_3genE10ELNS1_11target_archE1200ELNS1_3gpuE4ELNS1_3repE0EEENS1_30default_config_static_selectorELNS0_4arch9wavefront6targetE0EEEvT1_,comdat
.Lfunc_end2074:
	.size	_ZN7rocprim17ROCPRIM_400000_NS6detail17trampoline_kernelINS0_14default_configENS1_25partition_config_selectorILNS1_17partition_subalgoE6EN6thrust23THRUST_200600_302600_NS5tupleIssNS7_9null_typeES9_S9_S9_S9_S9_S9_S9_EENS0_10empty_typeEbEEZZNS1_14partition_implILS5_6ELb0ES3_mNS7_12zip_iteratorINS8_INS7_6detail15normal_iteratorINS7_10device_ptrIsEEEESJ_S9_S9_S9_S9_S9_S9_S9_S9_EEEEPSB_SM_NS0_5tupleIJNSE_INS8_ISJ_NS7_16discard_iteratorINS7_11use_defaultEEES9_S9_S9_S9_S9_S9_S9_S9_EEEESB_EEENSN_IJSM_SM_EEESB_PlJNSF_9not_fun_tINSF_14equal_to_valueISA_EEEEEEE10hipError_tPvRmT3_T4_T5_T6_T7_T9_mT8_P12ihipStream_tbDpT10_ENKUlT_T0_E_clISt17integral_constantIbLb0EES1I_IbLb1EEEEDaS1E_S1F_EUlS1E_E_NS1_11comp_targetILNS1_3genE10ELNS1_11target_archE1200ELNS1_3gpuE4ELNS1_3repE0EEENS1_30default_config_static_selectorELNS0_4arch9wavefront6targetE0EEEvT1_, .Lfunc_end2074-_ZN7rocprim17ROCPRIM_400000_NS6detail17trampoline_kernelINS0_14default_configENS1_25partition_config_selectorILNS1_17partition_subalgoE6EN6thrust23THRUST_200600_302600_NS5tupleIssNS7_9null_typeES9_S9_S9_S9_S9_S9_S9_EENS0_10empty_typeEbEEZZNS1_14partition_implILS5_6ELb0ES3_mNS7_12zip_iteratorINS8_INS7_6detail15normal_iteratorINS7_10device_ptrIsEEEESJ_S9_S9_S9_S9_S9_S9_S9_S9_EEEEPSB_SM_NS0_5tupleIJNSE_INS8_ISJ_NS7_16discard_iteratorINS7_11use_defaultEEES9_S9_S9_S9_S9_S9_S9_S9_EEEESB_EEENSN_IJSM_SM_EEESB_PlJNSF_9not_fun_tINSF_14equal_to_valueISA_EEEEEEE10hipError_tPvRmT3_T4_T5_T6_T7_T9_mT8_P12ihipStream_tbDpT10_ENKUlT_T0_E_clISt17integral_constantIbLb0EES1I_IbLb1EEEEDaS1E_S1F_EUlS1E_E_NS1_11comp_targetILNS1_3genE10ELNS1_11target_archE1200ELNS1_3gpuE4ELNS1_3repE0EEENS1_30default_config_static_selectorELNS0_4arch9wavefront6targetE0EEEvT1_
                                        ; -- End function
	.set _ZN7rocprim17ROCPRIM_400000_NS6detail17trampoline_kernelINS0_14default_configENS1_25partition_config_selectorILNS1_17partition_subalgoE6EN6thrust23THRUST_200600_302600_NS5tupleIssNS7_9null_typeES9_S9_S9_S9_S9_S9_S9_EENS0_10empty_typeEbEEZZNS1_14partition_implILS5_6ELb0ES3_mNS7_12zip_iteratorINS8_INS7_6detail15normal_iteratorINS7_10device_ptrIsEEEESJ_S9_S9_S9_S9_S9_S9_S9_S9_EEEEPSB_SM_NS0_5tupleIJNSE_INS8_ISJ_NS7_16discard_iteratorINS7_11use_defaultEEES9_S9_S9_S9_S9_S9_S9_S9_EEEESB_EEENSN_IJSM_SM_EEESB_PlJNSF_9not_fun_tINSF_14equal_to_valueISA_EEEEEEE10hipError_tPvRmT3_T4_T5_T6_T7_T9_mT8_P12ihipStream_tbDpT10_ENKUlT_T0_E_clISt17integral_constantIbLb0EES1I_IbLb1EEEEDaS1E_S1F_EUlS1E_E_NS1_11comp_targetILNS1_3genE10ELNS1_11target_archE1200ELNS1_3gpuE4ELNS1_3repE0EEENS1_30default_config_static_selectorELNS0_4arch9wavefront6targetE0EEEvT1_.num_vgpr, 51
	.set _ZN7rocprim17ROCPRIM_400000_NS6detail17trampoline_kernelINS0_14default_configENS1_25partition_config_selectorILNS1_17partition_subalgoE6EN6thrust23THRUST_200600_302600_NS5tupleIssNS7_9null_typeES9_S9_S9_S9_S9_S9_S9_EENS0_10empty_typeEbEEZZNS1_14partition_implILS5_6ELb0ES3_mNS7_12zip_iteratorINS8_INS7_6detail15normal_iteratorINS7_10device_ptrIsEEEESJ_S9_S9_S9_S9_S9_S9_S9_S9_EEEEPSB_SM_NS0_5tupleIJNSE_INS8_ISJ_NS7_16discard_iteratorINS7_11use_defaultEEES9_S9_S9_S9_S9_S9_S9_S9_EEEESB_EEENSN_IJSM_SM_EEESB_PlJNSF_9not_fun_tINSF_14equal_to_valueISA_EEEEEEE10hipError_tPvRmT3_T4_T5_T6_T7_T9_mT8_P12ihipStream_tbDpT10_ENKUlT_T0_E_clISt17integral_constantIbLb0EES1I_IbLb1EEEEDaS1E_S1F_EUlS1E_E_NS1_11comp_targetILNS1_3genE10ELNS1_11target_archE1200ELNS1_3gpuE4ELNS1_3repE0EEENS1_30default_config_static_selectorELNS0_4arch9wavefront6targetE0EEEvT1_.num_agpr, 0
	.set _ZN7rocprim17ROCPRIM_400000_NS6detail17trampoline_kernelINS0_14default_configENS1_25partition_config_selectorILNS1_17partition_subalgoE6EN6thrust23THRUST_200600_302600_NS5tupleIssNS7_9null_typeES9_S9_S9_S9_S9_S9_S9_EENS0_10empty_typeEbEEZZNS1_14partition_implILS5_6ELb0ES3_mNS7_12zip_iteratorINS8_INS7_6detail15normal_iteratorINS7_10device_ptrIsEEEESJ_S9_S9_S9_S9_S9_S9_S9_S9_EEEEPSB_SM_NS0_5tupleIJNSE_INS8_ISJ_NS7_16discard_iteratorINS7_11use_defaultEEES9_S9_S9_S9_S9_S9_S9_S9_EEEESB_EEENSN_IJSM_SM_EEESB_PlJNSF_9not_fun_tINSF_14equal_to_valueISA_EEEEEEE10hipError_tPvRmT3_T4_T5_T6_T7_T9_mT8_P12ihipStream_tbDpT10_ENKUlT_T0_E_clISt17integral_constantIbLb0EES1I_IbLb1EEEEDaS1E_S1F_EUlS1E_E_NS1_11comp_targetILNS1_3genE10ELNS1_11target_archE1200ELNS1_3gpuE4ELNS1_3repE0EEENS1_30default_config_static_selectorELNS0_4arch9wavefront6targetE0EEEvT1_.numbered_sgpr, 26
	.set _ZN7rocprim17ROCPRIM_400000_NS6detail17trampoline_kernelINS0_14default_configENS1_25partition_config_selectorILNS1_17partition_subalgoE6EN6thrust23THRUST_200600_302600_NS5tupleIssNS7_9null_typeES9_S9_S9_S9_S9_S9_S9_EENS0_10empty_typeEbEEZZNS1_14partition_implILS5_6ELb0ES3_mNS7_12zip_iteratorINS8_INS7_6detail15normal_iteratorINS7_10device_ptrIsEEEESJ_S9_S9_S9_S9_S9_S9_S9_S9_EEEEPSB_SM_NS0_5tupleIJNSE_INS8_ISJ_NS7_16discard_iteratorINS7_11use_defaultEEES9_S9_S9_S9_S9_S9_S9_S9_EEEESB_EEENSN_IJSM_SM_EEESB_PlJNSF_9not_fun_tINSF_14equal_to_valueISA_EEEEEEE10hipError_tPvRmT3_T4_T5_T6_T7_T9_mT8_P12ihipStream_tbDpT10_ENKUlT_T0_E_clISt17integral_constantIbLb0EES1I_IbLb1EEEEDaS1E_S1F_EUlS1E_E_NS1_11comp_targetILNS1_3genE10ELNS1_11target_archE1200ELNS1_3gpuE4ELNS1_3repE0EEENS1_30default_config_static_selectorELNS0_4arch9wavefront6targetE0EEEvT1_.num_named_barrier, 0
	.set _ZN7rocprim17ROCPRIM_400000_NS6detail17trampoline_kernelINS0_14default_configENS1_25partition_config_selectorILNS1_17partition_subalgoE6EN6thrust23THRUST_200600_302600_NS5tupleIssNS7_9null_typeES9_S9_S9_S9_S9_S9_S9_EENS0_10empty_typeEbEEZZNS1_14partition_implILS5_6ELb0ES3_mNS7_12zip_iteratorINS8_INS7_6detail15normal_iteratorINS7_10device_ptrIsEEEESJ_S9_S9_S9_S9_S9_S9_S9_S9_EEEEPSB_SM_NS0_5tupleIJNSE_INS8_ISJ_NS7_16discard_iteratorINS7_11use_defaultEEES9_S9_S9_S9_S9_S9_S9_S9_EEEESB_EEENSN_IJSM_SM_EEESB_PlJNSF_9not_fun_tINSF_14equal_to_valueISA_EEEEEEE10hipError_tPvRmT3_T4_T5_T6_T7_T9_mT8_P12ihipStream_tbDpT10_ENKUlT_T0_E_clISt17integral_constantIbLb0EES1I_IbLb1EEEEDaS1E_S1F_EUlS1E_E_NS1_11comp_targetILNS1_3genE10ELNS1_11target_archE1200ELNS1_3gpuE4ELNS1_3repE0EEENS1_30default_config_static_selectorELNS0_4arch9wavefront6targetE0EEEvT1_.private_seg_size, 0
	.set _ZN7rocprim17ROCPRIM_400000_NS6detail17trampoline_kernelINS0_14default_configENS1_25partition_config_selectorILNS1_17partition_subalgoE6EN6thrust23THRUST_200600_302600_NS5tupleIssNS7_9null_typeES9_S9_S9_S9_S9_S9_S9_EENS0_10empty_typeEbEEZZNS1_14partition_implILS5_6ELb0ES3_mNS7_12zip_iteratorINS8_INS7_6detail15normal_iteratorINS7_10device_ptrIsEEEESJ_S9_S9_S9_S9_S9_S9_S9_S9_EEEEPSB_SM_NS0_5tupleIJNSE_INS8_ISJ_NS7_16discard_iteratorINS7_11use_defaultEEES9_S9_S9_S9_S9_S9_S9_S9_EEEESB_EEENSN_IJSM_SM_EEESB_PlJNSF_9not_fun_tINSF_14equal_to_valueISA_EEEEEEE10hipError_tPvRmT3_T4_T5_T6_T7_T9_mT8_P12ihipStream_tbDpT10_ENKUlT_T0_E_clISt17integral_constantIbLb0EES1I_IbLb1EEEEDaS1E_S1F_EUlS1E_E_NS1_11comp_targetILNS1_3genE10ELNS1_11target_archE1200ELNS1_3gpuE4ELNS1_3repE0EEENS1_30default_config_static_selectorELNS0_4arch9wavefront6targetE0EEEvT1_.uses_vcc, 1
	.set _ZN7rocprim17ROCPRIM_400000_NS6detail17trampoline_kernelINS0_14default_configENS1_25partition_config_selectorILNS1_17partition_subalgoE6EN6thrust23THRUST_200600_302600_NS5tupleIssNS7_9null_typeES9_S9_S9_S9_S9_S9_S9_EENS0_10empty_typeEbEEZZNS1_14partition_implILS5_6ELb0ES3_mNS7_12zip_iteratorINS8_INS7_6detail15normal_iteratorINS7_10device_ptrIsEEEESJ_S9_S9_S9_S9_S9_S9_S9_S9_EEEEPSB_SM_NS0_5tupleIJNSE_INS8_ISJ_NS7_16discard_iteratorINS7_11use_defaultEEES9_S9_S9_S9_S9_S9_S9_S9_EEEESB_EEENSN_IJSM_SM_EEESB_PlJNSF_9not_fun_tINSF_14equal_to_valueISA_EEEEEEE10hipError_tPvRmT3_T4_T5_T6_T7_T9_mT8_P12ihipStream_tbDpT10_ENKUlT_T0_E_clISt17integral_constantIbLb0EES1I_IbLb1EEEEDaS1E_S1F_EUlS1E_E_NS1_11comp_targetILNS1_3genE10ELNS1_11target_archE1200ELNS1_3gpuE4ELNS1_3repE0EEENS1_30default_config_static_selectorELNS0_4arch9wavefront6targetE0EEEvT1_.uses_flat_scratch, 0
	.set _ZN7rocprim17ROCPRIM_400000_NS6detail17trampoline_kernelINS0_14default_configENS1_25partition_config_selectorILNS1_17partition_subalgoE6EN6thrust23THRUST_200600_302600_NS5tupleIssNS7_9null_typeES9_S9_S9_S9_S9_S9_S9_EENS0_10empty_typeEbEEZZNS1_14partition_implILS5_6ELb0ES3_mNS7_12zip_iteratorINS8_INS7_6detail15normal_iteratorINS7_10device_ptrIsEEEESJ_S9_S9_S9_S9_S9_S9_S9_S9_EEEEPSB_SM_NS0_5tupleIJNSE_INS8_ISJ_NS7_16discard_iteratorINS7_11use_defaultEEES9_S9_S9_S9_S9_S9_S9_S9_EEEESB_EEENSN_IJSM_SM_EEESB_PlJNSF_9not_fun_tINSF_14equal_to_valueISA_EEEEEEE10hipError_tPvRmT3_T4_T5_T6_T7_T9_mT8_P12ihipStream_tbDpT10_ENKUlT_T0_E_clISt17integral_constantIbLb0EES1I_IbLb1EEEEDaS1E_S1F_EUlS1E_E_NS1_11comp_targetILNS1_3genE10ELNS1_11target_archE1200ELNS1_3gpuE4ELNS1_3repE0EEENS1_30default_config_static_selectorELNS0_4arch9wavefront6targetE0EEEvT1_.has_dyn_sized_stack, 0
	.set _ZN7rocprim17ROCPRIM_400000_NS6detail17trampoline_kernelINS0_14default_configENS1_25partition_config_selectorILNS1_17partition_subalgoE6EN6thrust23THRUST_200600_302600_NS5tupleIssNS7_9null_typeES9_S9_S9_S9_S9_S9_S9_EENS0_10empty_typeEbEEZZNS1_14partition_implILS5_6ELb0ES3_mNS7_12zip_iteratorINS8_INS7_6detail15normal_iteratorINS7_10device_ptrIsEEEESJ_S9_S9_S9_S9_S9_S9_S9_S9_EEEEPSB_SM_NS0_5tupleIJNSE_INS8_ISJ_NS7_16discard_iteratorINS7_11use_defaultEEES9_S9_S9_S9_S9_S9_S9_S9_EEEESB_EEENSN_IJSM_SM_EEESB_PlJNSF_9not_fun_tINSF_14equal_to_valueISA_EEEEEEE10hipError_tPvRmT3_T4_T5_T6_T7_T9_mT8_P12ihipStream_tbDpT10_ENKUlT_T0_E_clISt17integral_constantIbLb0EES1I_IbLb1EEEEDaS1E_S1F_EUlS1E_E_NS1_11comp_targetILNS1_3genE10ELNS1_11target_archE1200ELNS1_3gpuE4ELNS1_3repE0EEENS1_30default_config_static_selectorELNS0_4arch9wavefront6targetE0EEEvT1_.has_recursion, 0
	.set _ZN7rocprim17ROCPRIM_400000_NS6detail17trampoline_kernelINS0_14default_configENS1_25partition_config_selectorILNS1_17partition_subalgoE6EN6thrust23THRUST_200600_302600_NS5tupleIssNS7_9null_typeES9_S9_S9_S9_S9_S9_S9_EENS0_10empty_typeEbEEZZNS1_14partition_implILS5_6ELb0ES3_mNS7_12zip_iteratorINS8_INS7_6detail15normal_iteratorINS7_10device_ptrIsEEEESJ_S9_S9_S9_S9_S9_S9_S9_S9_EEEEPSB_SM_NS0_5tupleIJNSE_INS8_ISJ_NS7_16discard_iteratorINS7_11use_defaultEEES9_S9_S9_S9_S9_S9_S9_S9_EEEESB_EEENSN_IJSM_SM_EEESB_PlJNSF_9not_fun_tINSF_14equal_to_valueISA_EEEEEEE10hipError_tPvRmT3_T4_T5_T6_T7_T9_mT8_P12ihipStream_tbDpT10_ENKUlT_T0_E_clISt17integral_constantIbLb0EES1I_IbLb1EEEEDaS1E_S1F_EUlS1E_E_NS1_11comp_targetILNS1_3genE10ELNS1_11target_archE1200ELNS1_3gpuE4ELNS1_3repE0EEENS1_30default_config_static_selectorELNS0_4arch9wavefront6targetE0EEEvT1_.has_indirect_call, 0
	.section	.AMDGPU.csdata,"",@progbits
; Kernel info:
; codeLenInByte = 7948
; TotalNumSgprs: 28
; NumVgprs: 51
; ScratchSize: 0
; MemoryBound: 0
; FloatMode: 240
; IeeeMode: 1
; LDSByteSize: 10768 bytes/workgroup (compile time only)
; SGPRBlocks: 0
; VGPRBlocks: 6
; NumSGPRsForWavesPerEU: 28
; NumVGPRsForWavesPerEU: 51
; Occupancy: 15
; WaveLimiterHint : 1
; COMPUTE_PGM_RSRC2:SCRATCH_EN: 0
; COMPUTE_PGM_RSRC2:USER_SGPR: 2
; COMPUTE_PGM_RSRC2:TRAP_HANDLER: 0
; COMPUTE_PGM_RSRC2:TGID_X_EN: 1
; COMPUTE_PGM_RSRC2:TGID_Y_EN: 0
; COMPUTE_PGM_RSRC2:TGID_Z_EN: 0
; COMPUTE_PGM_RSRC2:TIDIG_COMP_CNT: 0
	.section	.text._ZN7rocprim17ROCPRIM_400000_NS6detail17trampoline_kernelINS0_14default_configENS1_25partition_config_selectorILNS1_17partition_subalgoE6EN6thrust23THRUST_200600_302600_NS5tupleIssNS7_9null_typeES9_S9_S9_S9_S9_S9_S9_EENS0_10empty_typeEbEEZZNS1_14partition_implILS5_6ELb0ES3_mNS7_12zip_iteratorINS8_INS7_6detail15normal_iteratorINS7_10device_ptrIsEEEESJ_S9_S9_S9_S9_S9_S9_S9_S9_EEEEPSB_SM_NS0_5tupleIJNSE_INS8_ISJ_NS7_16discard_iteratorINS7_11use_defaultEEES9_S9_S9_S9_S9_S9_S9_S9_EEEESB_EEENSN_IJSM_SM_EEESB_PlJNSF_9not_fun_tINSF_14equal_to_valueISA_EEEEEEE10hipError_tPvRmT3_T4_T5_T6_T7_T9_mT8_P12ihipStream_tbDpT10_ENKUlT_T0_E_clISt17integral_constantIbLb0EES1I_IbLb1EEEEDaS1E_S1F_EUlS1E_E_NS1_11comp_targetILNS1_3genE9ELNS1_11target_archE1100ELNS1_3gpuE3ELNS1_3repE0EEENS1_30default_config_static_selectorELNS0_4arch9wavefront6targetE0EEEvT1_,"axG",@progbits,_ZN7rocprim17ROCPRIM_400000_NS6detail17trampoline_kernelINS0_14default_configENS1_25partition_config_selectorILNS1_17partition_subalgoE6EN6thrust23THRUST_200600_302600_NS5tupleIssNS7_9null_typeES9_S9_S9_S9_S9_S9_S9_EENS0_10empty_typeEbEEZZNS1_14partition_implILS5_6ELb0ES3_mNS7_12zip_iteratorINS8_INS7_6detail15normal_iteratorINS7_10device_ptrIsEEEESJ_S9_S9_S9_S9_S9_S9_S9_S9_EEEEPSB_SM_NS0_5tupleIJNSE_INS8_ISJ_NS7_16discard_iteratorINS7_11use_defaultEEES9_S9_S9_S9_S9_S9_S9_S9_EEEESB_EEENSN_IJSM_SM_EEESB_PlJNSF_9not_fun_tINSF_14equal_to_valueISA_EEEEEEE10hipError_tPvRmT3_T4_T5_T6_T7_T9_mT8_P12ihipStream_tbDpT10_ENKUlT_T0_E_clISt17integral_constantIbLb0EES1I_IbLb1EEEEDaS1E_S1F_EUlS1E_E_NS1_11comp_targetILNS1_3genE9ELNS1_11target_archE1100ELNS1_3gpuE3ELNS1_3repE0EEENS1_30default_config_static_selectorELNS0_4arch9wavefront6targetE0EEEvT1_,comdat
	.protected	_ZN7rocprim17ROCPRIM_400000_NS6detail17trampoline_kernelINS0_14default_configENS1_25partition_config_selectorILNS1_17partition_subalgoE6EN6thrust23THRUST_200600_302600_NS5tupleIssNS7_9null_typeES9_S9_S9_S9_S9_S9_S9_EENS0_10empty_typeEbEEZZNS1_14partition_implILS5_6ELb0ES3_mNS7_12zip_iteratorINS8_INS7_6detail15normal_iteratorINS7_10device_ptrIsEEEESJ_S9_S9_S9_S9_S9_S9_S9_S9_EEEEPSB_SM_NS0_5tupleIJNSE_INS8_ISJ_NS7_16discard_iteratorINS7_11use_defaultEEES9_S9_S9_S9_S9_S9_S9_S9_EEEESB_EEENSN_IJSM_SM_EEESB_PlJNSF_9not_fun_tINSF_14equal_to_valueISA_EEEEEEE10hipError_tPvRmT3_T4_T5_T6_T7_T9_mT8_P12ihipStream_tbDpT10_ENKUlT_T0_E_clISt17integral_constantIbLb0EES1I_IbLb1EEEEDaS1E_S1F_EUlS1E_E_NS1_11comp_targetILNS1_3genE9ELNS1_11target_archE1100ELNS1_3gpuE3ELNS1_3repE0EEENS1_30default_config_static_selectorELNS0_4arch9wavefront6targetE0EEEvT1_ ; -- Begin function _ZN7rocprim17ROCPRIM_400000_NS6detail17trampoline_kernelINS0_14default_configENS1_25partition_config_selectorILNS1_17partition_subalgoE6EN6thrust23THRUST_200600_302600_NS5tupleIssNS7_9null_typeES9_S9_S9_S9_S9_S9_S9_EENS0_10empty_typeEbEEZZNS1_14partition_implILS5_6ELb0ES3_mNS7_12zip_iteratorINS8_INS7_6detail15normal_iteratorINS7_10device_ptrIsEEEESJ_S9_S9_S9_S9_S9_S9_S9_S9_EEEEPSB_SM_NS0_5tupleIJNSE_INS8_ISJ_NS7_16discard_iteratorINS7_11use_defaultEEES9_S9_S9_S9_S9_S9_S9_S9_EEEESB_EEENSN_IJSM_SM_EEESB_PlJNSF_9not_fun_tINSF_14equal_to_valueISA_EEEEEEE10hipError_tPvRmT3_T4_T5_T6_T7_T9_mT8_P12ihipStream_tbDpT10_ENKUlT_T0_E_clISt17integral_constantIbLb0EES1I_IbLb1EEEEDaS1E_S1F_EUlS1E_E_NS1_11comp_targetILNS1_3genE9ELNS1_11target_archE1100ELNS1_3gpuE3ELNS1_3repE0EEENS1_30default_config_static_selectorELNS0_4arch9wavefront6targetE0EEEvT1_
	.globl	_ZN7rocprim17ROCPRIM_400000_NS6detail17trampoline_kernelINS0_14default_configENS1_25partition_config_selectorILNS1_17partition_subalgoE6EN6thrust23THRUST_200600_302600_NS5tupleIssNS7_9null_typeES9_S9_S9_S9_S9_S9_S9_EENS0_10empty_typeEbEEZZNS1_14partition_implILS5_6ELb0ES3_mNS7_12zip_iteratorINS8_INS7_6detail15normal_iteratorINS7_10device_ptrIsEEEESJ_S9_S9_S9_S9_S9_S9_S9_S9_EEEEPSB_SM_NS0_5tupleIJNSE_INS8_ISJ_NS7_16discard_iteratorINS7_11use_defaultEEES9_S9_S9_S9_S9_S9_S9_S9_EEEESB_EEENSN_IJSM_SM_EEESB_PlJNSF_9not_fun_tINSF_14equal_to_valueISA_EEEEEEE10hipError_tPvRmT3_T4_T5_T6_T7_T9_mT8_P12ihipStream_tbDpT10_ENKUlT_T0_E_clISt17integral_constantIbLb0EES1I_IbLb1EEEEDaS1E_S1F_EUlS1E_E_NS1_11comp_targetILNS1_3genE9ELNS1_11target_archE1100ELNS1_3gpuE3ELNS1_3repE0EEENS1_30default_config_static_selectorELNS0_4arch9wavefront6targetE0EEEvT1_
	.p2align	8
	.type	_ZN7rocprim17ROCPRIM_400000_NS6detail17trampoline_kernelINS0_14default_configENS1_25partition_config_selectorILNS1_17partition_subalgoE6EN6thrust23THRUST_200600_302600_NS5tupleIssNS7_9null_typeES9_S9_S9_S9_S9_S9_S9_EENS0_10empty_typeEbEEZZNS1_14partition_implILS5_6ELb0ES3_mNS7_12zip_iteratorINS8_INS7_6detail15normal_iteratorINS7_10device_ptrIsEEEESJ_S9_S9_S9_S9_S9_S9_S9_S9_EEEEPSB_SM_NS0_5tupleIJNSE_INS8_ISJ_NS7_16discard_iteratorINS7_11use_defaultEEES9_S9_S9_S9_S9_S9_S9_S9_EEEESB_EEENSN_IJSM_SM_EEESB_PlJNSF_9not_fun_tINSF_14equal_to_valueISA_EEEEEEE10hipError_tPvRmT3_T4_T5_T6_T7_T9_mT8_P12ihipStream_tbDpT10_ENKUlT_T0_E_clISt17integral_constantIbLb0EES1I_IbLb1EEEEDaS1E_S1F_EUlS1E_E_NS1_11comp_targetILNS1_3genE9ELNS1_11target_archE1100ELNS1_3gpuE3ELNS1_3repE0EEENS1_30default_config_static_selectorELNS0_4arch9wavefront6targetE0EEEvT1_,@function
_ZN7rocprim17ROCPRIM_400000_NS6detail17trampoline_kernelINS0_14default_configENS1_25partition_config_selectorILNS1_17partition_subalgoE6EN6thrust23THRUST_200600_302600_NS5tupleIssNS7_9null_typeES9_S9_S9_S9_S9_S9_S9_EENS0_10empty_typeEbEEZZNS1_14partition_implILS5_6ELb0ES3_mNS7_12zip_iteratorINS8_INS7_6detail15normal_iteratorINS7_10device_ptrIsEEEESJ_S9_S9_S9_S9_S9_S9_S9_S9_EEEEPSB_SM_NS0_5tupleIJNSE_INS8_ISJ_NS7_16discard_iteratorINS7_11use_defaultEEES9_S9_S9_S9_S9_S9_S9_S9_EEEESB_EEENSN_IJSM_SM_EEESB_PlJNSF_9not_fun_tINSF_14equal_to_valueISA_EEEEEEE10hipError_tPvRmT3_T4_T5_T6_T7_T9_mT8_P12ihipStream_tbDpT10_ENKUlT_T0_E_clISt17integral_constantIbLb0EES1I_IbLb1EEEEDaS1E_S1F_EUlS1E_E_NS1_11comp_targetILNS1_3genE9ELNS1_11target_archE1100ELNS1_3gpuE3ELNS1_3repE0EEENS1_30default_config_static_selectorELNS0_4arch9wavefront6targetE0EEEvT1_: ; @_ZN7rocprim17ROCPRIM_400000_NS6detail17trampoline_kernelINS0_14default_configENS1_25partition_config_selectorILNS1_17partition_subalgoE6EN6thrust23THRUST_200600_302600_NS5tupleIssNS7_9null_typeES9_S9_S9_S9_S9_S9_S9_EENS0_10empty_typeEbEEZZNS1_14partition_implILS5_6ELb0ES3_mNS7_12zip_iteratorINS8_INS7_6detail15normal_iteratorINS7_10device_ptrIsEEEESJ_S9_S9_S9_S9_S9_S9_S9_S9_EEEEPSB_SM_NS0_5tupleIJNSE_INS8_ISJ_NS7_16discard_iteratorINS7_11use_defaultEEES9_S9_S9_S9_S9_S9_S9_S9_EEEESB_EEENSN_IJSM_SM_EEESB_PlJNSF_9not_fun_tINSF_14equal_to_valueISA_EEEEEEE10hipError_tPvRmT3_T4_T5_T6_T7_T9_mT8_P12ihipStream_tbDpT10_ENKUlT_T0_E_clISt17integral_constantIbLb0EES1I_IbLb1EEEEDaS1E_S1F_EUlS1E_E_NS1_11comp_targetILNS1_3genE9ELNS1_11target_archE1100ELNS1_3gpuE3ELNS1_3repE0EEENS1_30default_config_static_selectorELNS0_4arch9wavefront6targetE0EEEvT1_
; %bb.0:
	.section	.rodata,"a",@progbits
	.p2align	6, 0x0
	.amdhsa_kernel _ZN7rocprim17ROCPRIM_400000_NS6detail17trampoline_kernelINS0_14default_configENS1_25partition_config_selectorILNS1_17partition_subalgoE6EN6thrust23THRUST_200600_302600_NS5tupleIssNS7_9null_typeES9_S9_S9_S9_S9_S9_S9_EENS0_10empty_typeEbEEZZNS1_14partition_implILS5_6ELb0ES3_mNS7_12zip_iteratorINS8_INS7_6detail15normal_iteratorINS7_10device_ptrIsEEEESJ_S9_S9_S9_S9_S9_S9_S9_S9_EEEEPSB_SM_NS0_5tupleIJNSE_INS8_ISJ_NS7_16discard_iteratorINS7_11use_defaultEEES9_S9_S9_S9_S9_S9_S9_S9_EEEESB_EEENSN_IJSM_SM_EEESB_PlJNSF_9not_fun_tINSF_14equal_to_valueISA_EEEEEEE10hipError_tPvRmT3_T4_T5_T6_T7_T9_mT8_P12ihipStream_tbDpT10_ENKUlT_T0_E_clISt17integral_constantIbLb0EES1I_IbLb1EEEEDaS1E_S1F_EUlS1E_E_NS1_11comp_targetILNS1_3genE9ELNS1_11target_archE1100ELNS1_3gpuE3ELNS1_3repE0EEENS1_30default_config_static_selectorELNS0_4arch9wavefront6targetE0EEEvT1_
		.amdhsa_group_segment_fixed_size 0
		.amdhsa_private_segment_fixed_size 0
		.amdhsa_kernarg_size 152
		.amdhsa_user_sgpr_count 2
		.amdhsa_user_sgpr_dispatch_ptr 0
		.amdhsa_user_sgpr_queue_ptr 0
		.amdhsa_user_sgpr_kernarg_segment_ptr 1
		.amdhsa_user_sgpr_dispatch_id 0
		.amdhsa_user_sgpr_private_segment_size 0
		.amdhsa_wavefront_size32 1
		.amdhsa_uses_dynamic_stack 0
		.amdhsa_enable_private_segment 0
		.amdhsa_system_sgpr_workgroup_id_x 1
		.amdhsa_system_sgpr_workgroup_id_y 0
		.amdhsa_system_sgpr_workgroup_id_z 0
		.amdhsa_system_sgpr_workgroup_info 0
		.amdhsa_system_vgpr_workitem_id 0
		.amdhsa_next_free_vgpr 1
		.amdhsa_next_free_sgpr 1
		.amdhsa_reserve_vcc 0
		.amdhsa_float_round_mode_32 0
		.amdhsa_float_round_mode_16_64 0
		.amdhsa_float_denorm_mode_32 3
		.amdhsa_float_denorm_mode_16_64 3
		.amdhsa_fp16_overflow 0
		.amdhsa_workgroup_processor_mode 1
		.amdhsa_memory_ordered 1
		.amdhsa_forward_progress 1
		.amdhsa_inst_pref_size 0
		.amdhsa_round_robin_scheduling 0
		.amdhsa_exception_fp_ieee_invalid_op 0
		.amdhsa_exception_fp_denorm_src 0
		.amdhsa_exception_fp_ieee_div_zero 0
		.amdhsa_exception_fp_ieee_overflow 0
		.amdhsa_exception_fp_ieee_underflow 0
		.amdhsa_exception_fp_ieee_inexact 0
		.amdhsa_exception_int_div_zero 0
	.end_amdhsa_kernel
	.section	.text._ZN7rocprim17ROCPRIM_400000_NS6detail17trampoline_kernelINS0_14default_configENS1_25partition_config_selectorILNS1_17partition_subalgoE6EN6thrust23THRUST_200600_302600_NS5tupleIssNS7_9null_typeES9_S9_S9_S9_S9_S9_S9_EENS0_10empty_typeEbEEZZNS1_14partition_implILS5_6ELb0ES3_mNS7_12zip_iteratorINS8_INS7_6detail15normal_iteratorINS7_10device_ptrIsEEEESJ_S9_S9_S9_S9_S9_S9_S9_S9_EEEEPSB_SM_NS0_5tupleIJNSE_INS8_ISJ_NS7_16discard_iteratorINS7_11use_defaultEEES9_S9_S9_S9_S9_S9_S9_S9_EEEESB_EEENSN_IJSM_SM_EEESB_PlJNSF_9not_fun_tINSF_14equal_to_valueISA_EEEEEEE10hipError_tPvRmT3_T4_T5_T6_T7_T9_mT8_P12ihipStream_tbDpT10_ENKUlT_T0_E_clISt17integral_constantIbLb0EES1I_IbLb1EEEEDaS1E_S1F_EUlS1E_E_NS1_11comp_targetILNS1_3genE9ELNS1_11target_archE1100ELNS1_3gpuE3ELNS1_3repE0EEENS1_30default_config_static_selectorELNS0_4arch9wavefront6targetE0EEEvT1_,"axG",@progbits,_ZN7rocprim17ROCPRIM_400000_NS6detail17trampoline_kernelINS0_14default_configENS1_25partition_config_selectorILNS1_17partition_subalgoE6EN6thrust23THRUST_200600_302600_NS5tupleIssNS7_9null_typeES9_S9_S9_S9_S9_S9_S9_EENS0_10empty_typeEbEEZZNS1_14partition_implILS5_6ELb0ES3_mNS7_12zip_iteratorINS8_INS7_6detail15normal_iteratorINS7_10device_ptrIsEEEESJ_S9_S9_S9_S9_S9_S9_S9_S9_EEEEPSB_SM_NS0_5tupleIJNSE_INS8_ISJ_NS7_16discard_iteratorINS7_11use_defaultEEES9_S9_S9_S9_S9_S9_S9_S9_EEEESB_EEENSN_IJSM_SM_EEESB_PlJNSF_9not_fun_tINSF_14equal_to_valueISA_EEEEEEE10hipError_tPvRmT3_T4_T5_T6_T7_T9_mT8_P12ihipStream_tbDpT10_ENKUlT_T0_E_clISt17integral_constantIbLb0EES1I_IbLb1EEEEDaS1E_S1F_EUlS1E_E_NS1_11comp_targetILNS1_3genE9ELNS1_11target_archE1100ELNS1_3gpuE3ELNS1_3repE0EEENS1_30default_config_static_selectorELNS0_4arch9wavefront6targetE0EEEvT1_,comdat
.Lfunc_end2075:
	.size	_ZN7rocprim17ROCPRIM_400000_NS6detail17trampoline_kernelINS0_14default_configENS1_25partition_config_selectorILNS1_17partition_subalgoE6EN6thrust23THRUST_200600_302600_NS5tupleIssNS7_9null_typeES9_S9_S9_S9_S9_S9_S9_EENS0_10empty_typeEbEEZZNS1_14partition_implILS5_6ELb0ES3_mNS7_12zip_iteratorINS8_INS7_6detail15normal_iteratorINS7_10device_ptrIsEEEESJ_S9_S9_S9_S9_S9_S9_S9_S9_EEEEPSB_SM_NS0_5tupleIJNSE_INS8_ISJ_NS7_16discard_iteratorINS7_11use_defaultEEES9_S9_S9_S9_S9_S9_S9_S9_EEEESB_EEENSN_IJSM_SM_EEESB_PlJNSF_9not_fun_tINSF_14equal_to_valueISA_EEEEEEE10hipError_tPvRmT3_T4_T5_T6_T7_T9_mT8_P12ihipStream_tbDpT10_ENKUlT_T0_E_clISt17integral_constantIbLb0EES1I_IbLb1EEEEDaS1E_S1F_EUlS1E_E_NS1_11comp_targetILNS1_3genE9ELNS1_11target_archE1100ELNS1_3gpuE3ELNS1_3repE0EEENS1_30default_config_static_selectorELNS0_4arch9wavefront6targetE0EEEvT1_, .Lfunc_end2075-_ZN7rocprim17ROCPRIM_400000_NS6detail17trampoline_kernelINS0_14default_configENS1_25partition_config_selectorILNS1_17partition_subalgoE6EN6thrust23THRUST_200600_302600_NS5tupleIssNS7_9null_typeES9_S9_S9_S9_S9_S9_S9_EENS0_10empty_typeEbEEZZNS1_14partition_implILS5_6ELb0ES3_mNS7_12zip_iteratorINS8_INS7_6detail15normal_iteratorINS7_10device_ptrIsEEEESJ_S9_S9_S9_S9_S9_S9_S9_S9_EEEEPSB_SM_NS0_5tupleIJNSE_INS8_ISJ_NS7_16discard_iteratorINS7_11use_defaultEEES9_S9_S9_S9_S9_S9_S9_S9_EEEESB_EEENSN_IJSM_SM_EEESB_PlJNSF_9not_fun_tINSF_14equal_to_valueISA_EEEEEEE10hipError_tPvRmT3_T4_T5_T6_T7_T9_mT8_P12ihipStream_tbDpT10_ENKUlT_T0_E_clISt17integral_constantIbLb0EES1I_IbLb1EEEEDaS1E_S1F_EUlS1E_E_NS1_11comp_targetILNS1_3genE9ELNS1_11target_archE1100ELNS1_3gpuE3ELNS1_3repE0EEENS1_30default_config_static_selectorELNS0_4arch9wavefront6targetE0EEEvT1_
                                        ; -- End function
	.set _ZN7rocprim17ROCPRIM_400000_NS6detail17trampoline_kernelINS0_14default_configENS1_25partition_config_selectorILNS1_17partition_subalgoE6EN6thrust23THRUST_200600_302600_NS5tupleIssNS7_9null_typeES9_S9_S9_S9_S9_S9_S9_EENS0_10empty_typeEbEEZZNS1_14partition_implILS5_6ELb0ES3_mNS7_12zip_iteratorINS8_INS7_6detail15normal_iteratorINS7_10device_ptrIsEEEESJ_S9_S9_S9_S9_S9_S9_S9_S9_EEEEPSB_SM_NS0_5tupleIJNSE_INS8_ISJ_NS7_16discard_iteratorINS7_11use_defaultEEES9_S9_S9_S9_S9_S9_S9_S9_EEEESB_EEENSN_IJSM_SM_EEESB_PlJNSF_9not_fun_tINSF_14equal_to_valueISA_EEEEEEE10hipError_tPvRmT3_T4_T5_T6_T7_T9_mT8_P12ihipStream_tbDpT10_ENKUlT_T0_E_clISt17integral_constantIbLb0EES1I_IbLb1EEEEDaS1E_S1F_EUlS1E_E_NS1_11comp_targetILNS1_3genE9ELNS1_11target_archE1100ELNS1_3gpuE3ELNS1_3repE0EEENS1_30default_config_static_selectorELNS0_4arch9wavefront6targetE0EEEvT1_.num_vgpr, 0
	.set _ZN7rocprim17ROCPRIM_400000_NS6detail17trampoline_kernelINS0_14default_configENS1_25partition_config_selectorILNS1_17partition_subalgoE6EN6thrust23THRUST_200600_302600_NS5tupleIssNS7_9null_typeES9_S9_S9_S9_S9_S9_S9_EENS0_10empty_typeEbEEZZNS1_14partition_implILS5_6ELb0ES3_mNS7_12zip_iteratorINS8_INS7_6detail15normal_iteratorINS7_10device_ptrIsEEEESJ_S9_S9_S9_S9_S9_S9_S9_S9_EEEEPSB_SM_NS0_5tupleIJNSE_INS8_ISJ_NS7_16discard_iteratorINS7_11use_defaultEEES9_S9_S9_S9_S9_S9_S9_S9_EEEESB_EEENSN_IJSM_SM_EEESB_PlJNSF_9not_fun_tINSF_14equal_to_valueISA_EEEEEEE10hipError_tPvRmT3_T4_T5_T6_T7_T9_mT8_P12ihipStream_tbDpT10_ENKUlT_T0_E_clISt17integral_constantIbLb0EES1I_IbLb1EEEEDaS1E_S1F_EUlS1E_E_NS1_11comp_targetILNS1_3genE9ELNS1_11target_archE1100ELNS1_3gpuE3ELNS1_3repE0EEENS1_30default_config_static_selectorELNS0_4arch9wavefront6targetE0EEEvT1_.num_agpr, 0
	.set _ZN7rocprim17ROCPRIM_400000_NS6detail17trampoline_kernelINS0_14default_configENS1_25partition_config_selectorILNS1_17partition_subalgoE6EN6thrust23THRUST_200600_302600_NS5tupleIssNS7_9null_typeES9_S9_S9_S9_S9_S9_S9_EENS0_10empty_typeEbEEZZNS1_14partition_implILS5_6ELb0ES3_mNS7_12zip_iteratorINS8_INS7_6detail15normal_iteratorINS7_10device_ptrIsEEEESJ_S9_S9_S9_S9_S9_S9_S9_S9_EEEEPSB_SM_NS0_5tupleIJNSE_INS8_ISJ_NS7_16discard_iteratorINS7_11use_defaultEEES9_S9_S9_S9_S9_S9_S9_S9_EEEESB_EEENSN_IJSM_SM_EEESB_PlJNSF_9not_fun_tINSF_14equal_to_valueISA_EEEEEEE10hipError_tPvRmT3_T4_T5_T6_T7_T9_mT8_P12ihipStream_tbDpT10_ENKUlT_T0_E_clISt17integral_constantIbLb0EES1I_IbLb1EEEEDaS1E_S1F_EUlS1E_E_NS1_11comp_targetILNS1_3genE9ELNS1_11target_archE1100ELNS1_3gpuE3ELNS1_3repE0EEENS1_30default_config_static_selectorELNS0_4arch9wavefront6targetE0EEEvT1_.numbered_sgpr, 0
	.set _ZN7rocprim17ROCPRIM_400000_NS6detail17trampoline_kernelINS0_14default_configENS1_25partition_config_selectorILNS1_17partition_subalgoE6EN6thrust23THRUST_200600_302600_NS5tupleIssNS7_9null_typeES9_S9_S9_S9_S9_S9_S9_EENS0_10empty_typeEbEEZZNS1_14partition_implILS5_6ELb0ES3_mNS7_12zip_iteratorINS8_INS7_6detail15normal_iteratorINS7_10device_ptrIsEEEESJ_S9_S9_S9_S9_S9_S9_S9_S9_EEEEPSB_SM_NS0_5tupleIJNSE_INS8_ISJ_NS7_16discard_iteratorINS7_11use_defaultEEES9_S9_S9_S9_S9_S9_S9_S9_EEEESB_EEENSN_IJSM_SM_EEESB_PlJNSF_9not_fun_tINSF_14equal_to_valueISA_EEEEEEE10hipError_tPvRmT3_T4_T5_T6_T7_T9_mT8_P12ihipStream_tbDpT10_ENKUlT_T0_E_clISt17integral_constantIbLb0EES1I_IbLb1EEEEDaS1E_S1F_EUlS1E_E_NS1_11comp_targetILNS1_3genE9ELNS1_11target_archE1100ELNS1_3gpuE3ELNS1_3repE0EEENS1_30default_config_static_selectorELNS0_4arch9wavefront6targetE0EEEvT1_.num_named_barrier, 0
	.set _ZN7rocprim17ROCPRIM_400000_NS6detail17trampoline_kernelINS0_14default_configENS1_25partition_config_selectorILNS1_17partition_subalgoE6EN6thrust23THRUST_200600_302600_NS5tupleIssNS7_9null_typeES9_S9_S9_S9_S9_S9_S9_EENS0_10empty_typeEbEEZZNS1_14partition_implILS5_6ELb0ES3_mNS7_12zip_iteratorINS8_INS7_6detail15normal_iteratorINS7_10device_ptrIsEEEESJ_S9_S9_S9_S9_S9_S9_S9_S9_EEEEPSB_SM_NS0_5tupleIJNSE_INS8_ISJ_NS7_16discard_iteratorINS7_11use_defaultEEES9_S9_S9_S9_S9_S9_S9_S9_EEEESB_EEENSN_IJSM_SM_EEESB_PlJNSF_9not_fun_tINSF_14equal_to_valueISA_EEEEEEE10hipError_tPvRmT3_T4_T5_T6_T7_T9_mT8_P12ihipStream_tbDpT10_ENKUlT_T0_E_clISt17integral_constantIbLb0EES1I_IbLb1EEEEDaS1E_S1F_EUlS1E_E_NS1_11comp_targetILNS1_3genE9ELNS1_11target_archE1100ELNS1_3gpuE3ELNS1_3repE0EEENS1_30default_config_static_selectorELNS0_4arch9wavefront6targetE0EEEvT1_.private_seg_size, 0
	.set _ZN7rocprim17ROCPRIM_400000_NS6detail17trampoline_kernelINS0_14default_configENS1_25partition_config_selectorILNS1_17partition_subalgoE6EN6thrust23THRUST_200600_302600_NS5tupleIssNS7_9null_typeES9_S9_S9_S9_S9_S9_S9_EENS0_10empty_typeEbEEZZNS1_14partition_implILS5_6ELb0ES3_mNS7_12zip_iteratorINS8_INS7_6detail15normal_iteratorINS7_10device_ptrIsEEEESJ_S9_S9_S9_S9_S9_S9_S9_S9_EEEEPSB_SM_NS0_5tupleIJNSE_INS8_ISJ_NS7_16discard_iteratorINS7_11use_defaultEEES9_S9_S9_S9_S9_S9_S9_S9_EEEESB_EEENSN_IJSM_SM_EEESB_PlJNSF_9not_fun_tINSF_14equal_to_valueISA_EEEEEEE10hipError_tPvRmT3_T4_T5_T6_T7_T9_mT8_P12ihipStream_tbDpT10_ENKUlT_T0_E_clISt17integral_constantIbLb0EES1I_IbLb1EEEEDaS1E_S1F_EUlS1E_E_NS1_11comp_targetILNS1_3genE9ELNS1_11target_archE1100ELNS1_3gpuE3ELNS1_3repE0EEENS1_30default_config_static_selectorELNS0_4arch9wavefront6targetE0EEEvT1_.uses_vcc, 0
	.set _ZN7rocprim17ROCPRIM_400000_NS6detail17trampoline_kernelINS0_14default_configENS1_25partition_config_selectorILNS1_17partition_subalgoE6EN6thrust23THRUST_200600_302600_NS5tupleIssNS7_9null_typeES9_S9_S9_S9_S9_S9_S9_EENS0_10empty_typeEbEEZZNS1_14partition_implILS5_6ELb0ES3_mNS7_12zip_iteratorINS8_INS7_6detail15normal_iteratorINS7_10device_ptrIsEEEESJ_S9_S9_S9_S9_S9_S9_S9_S9_EEEEPSB_SM_NS0_5tupleIJNSE_INS8_ISJ_NS7_16discard_iteratorINS7_11use_defaultEEES9_S9_S9_S9_S9_S9_S9_S9_EEEESB_EEENSN_IJSM_SM_EEESB_PlJNSF_9not_fun_tINSF_14equal_to_valueISA_EEEEEEE10hipError_tPvRmT3_T4_T5_T6_T7_T9_mT8_P12ihipStream_tbDpT10_ENKUlT_T0_E_clISt17integral_constantIbLb0EES1I_IbLb1EEEEDaS1E_S1F_EUlS1E_E_NS1_11comp_targetILNS1_3genE9ELNS1_11target_archE1100ELNS1_3gpuE3ELNS1_3repE0EEENS1_30default_config_static_selectorELNS0_4arch9wavefront6targetE0EEEvT1_.uses_flat_scratch, 0
	.set _ZN7rocprim17ROCPRIM_400000_NS6detail17trampoline_kernelINS0_14default_configENS1_25partition_config_selectorILNS1_17partition_subalgoE6EN6thrust23THRUST_200600_302600_NS5tupleIssNS7_9null_typeES9_S9_S9_S9_S9_S9_S9_EENS0_10empty_typeEbEEZZNS1_14partition_implILS5_6ELb0ES3_mNS7_12zip_iteratorINS8_INS7_6detail15normal_iteratorINS7_10device_ptrIsEEEESJ_S9_S9_S9_S9_S9_S9_S9_S9_EEEEPSB_SM_NS0_5tupleIJNSE_INS8_ISJ_NS7_16discard_iteratorINS7_11use_defaultEEES9_S9_S9_S9_S9_S9_S9_S9_EEEESB_EEENSN_IJSM_SM_EEESB_PlJNSF_9not_fun_tINSF_14equal_to_valueISA_EEEEEEE10hipError_tPvRmT3_T4_T5_T6_T7_T9_mT8_P12ihipStream_tbDpT10_ENKUlT_T0_E_clISt17integral_constantIbLb0EES1I_IbLb1EEEEDaS1E_S1F_EUlS1E_E_NS1_11comp_targetILNS1_3genE9ELNS1_11target_archE1100ELNS1_3gpuE3ELNS1_3repE0EEENS1_30default_config_static_selectorELNS0_4arch9wavefront6targetE0EEEvT1_.has_dyn_sized_stack, 0
	.set _ZN7rocprim17ROCPRIM_400000_NS6detail17trampoline_kernelINS0_14default_configENS1_25partition_config_selectorILNS1_17partition_subalgoE6EN6thrust23THRUST_200600_302600_NS5tupleIssNS7_9null_typeES9_S9_S9_S9_S9_S9_S9_EENS0_10empty_typeEbEEZZNS1_14partition_implILS5_6ELb0ES3_mNS7_12zip_iteratorINS8_INS7_6detail15normal_iteratorINS7_10device_ptrIsEEEESJ_S9_S9_S9_S9_S9_S9_S9_S9_EEEEPSB_SM_NS0_5tupleIJNSE_INS8_ISJ_NS7_16discard_iteratorINS7_11use_defaultEEES9_S9_S9_S9_S9_S9_S9_S9_EEEESB_EEENSN_IJSM_SM_EEESB_PlJNSF_9not_fun_tINSF_14equal_to_valueISA_EEEEEEE10hipError_tPvRmT3_T4_T5_T6_T7_T9_mT8_P12ihipStream_tbDpT10_ENKUlT_T0_E_clISt17integral_constantIbLb0EES1I_IbLb1EEEEDaS1E_S1F_EUlS1E_E_NS1_11comp_targetILNS1_3genE9ELNS1_11target_archE1100ELNS1_3gpuE3ELNS1_3repE0EEENS1_30default_config_static_selectorELNS0_4arch9wavefront6targetE0EEEvT1_.has_recursion, 0
	.set _ZN7rocprim17ROCPRIM_400000_NS6detail17trampoline_kernelINS0_14default_configENS1_25partition_config_selectorILNS1_17partition_subalgoE6EN6thrust23THRUST_200600_302600_NS5tupleIssNS7_9null_typeES9_S9_S9_S9_S9_S9_S9_EENS0_10empty_typeEbEEZZNS1_14partition_implILS5_6ELb0ES3_mNS7_12zip_iteratorINS8_INS7_6detail15normal_iteratorINS7_10device_ptrIsEEEESJ_S9_S9_S9_S9_S9_S9_S9_S9_EEEEPSB_SM_NS0_5tupleIJNSE_INS8_ISJ_NS7_16discard_iteratorINS7_11use_defaultEEES9_S9_S9_S9_S9_S9_S9_S9_EEEESB_EEENSN_IJSM_SM_EEESB_PlJNSF_9not_fun_tINSF_14equal_to_valueISA_EEEEEEE10hipError_tPvRmT3_T4_T5_T6_T7_T9_mT8_P12ihipStream_tbDpT10_ENKUlT_T0_E_clISt17integral_constantIbLb0EES1I_IbLb1EEEEDaS1E_S1F_EUlS1E_E_NS1_11comp_targetILNS1_3genE9ELNS1_11target_archE1100ELNS1_3gpuE3ELNS1_3repE0EEENS1_30default_config_static_selectorELNS0_4arch9wavefront6targetE0EEEvT1_.has_indirect_call, 0
	.section	.AMDGPU.csdata,"",@progbits
; Kernel info:
; codeLenInByte = 0
; TotalNumSgprs: 0
; NumVgprs: 0
; ScratchSize: 0
; MemoryBound: 0
; FloatMode: 240
; IeeeMode: 1
; LDSByteSize: 0 bytes/workgroup (compile time only)
; SGPRBlocks: 0
; VGPRBlocks: 0
; NumSGPRsForWavesPerEU: 1
; NumVGPRsForWavesPerEU: 1
; Occupancy: 16
; WaveLimiterHint : 0
; COMPUTE_PGM_RSRC2:SCRATCH_EN: 0
; COMPUTE_PGM_RSRC2:USER_SGPR: 2
; COMPUTE_PGM_RSRC2:TRAP_HANDLER: 0
; COMPUTE_PGM_RSRC2:TGID_X_EN: 1
; COMPUTE_PGM_RSRC2:TGID_Y_EN: 0
; COMPUTE_PGM_RSRC2:TGID_Z_EN: 0
; COMPUTE_PGM_RSRC2:TIDIG_COMP_CNT: 0
	.section	.text._ZN7rocprim17ROCPRIM_400000_NS6detail17trampoline_kernelINS0_14default_configENS1_25partition_config_selectorILNS1_17partition_subalgoE6EN6thrust23THRUST_200600_302600_NS5tupleIssNS7_9null_typeES9_S9_S9_S9_S9_S9_S9_EENS0_10empty_typeEbEEZZNS1_14partition_implILS5_6ELb0ES3_mNS7_12zip_iteratorINS8_INS7_6detail15normal_iteratorINS7_10device_ptrIsEEEESJ_S9_S9_S9_S9_S9_S9_S9_S9_EEEEPSB_SM_NS0_5tupleIJNSE_INS8_ISJ_NS7_16discard_iteratorINS7_11use_defaultEEES9_S9_S9_S9_S9_S9_S9_S9_EEEESB_EEENSN_IJSM_SM_EEESB_PlJNSF_9not_fun_tINSF_14equal_to_valueISA_EEEEEEE10hipError_tPvRmT3_T4_T5_T6_T7_T9_mT8_P12ihipStream_tbDpT10_ENKUlT_T0_E_clISt17integral_constantIbLb0EES1I_IbLb1EEEEDaS1E_S1F_EUlS1E_E_NS1_11comp_targetILNS1_3genE8ELNS1_11target_archE1030ELNS1_3gpuE2ELNS1_3repE0EEENS1_30default_config_static_selectorELNS0_4arch9wavefront6targetE0EEEvT1_,"axG",@progbits,_ZN7rocprim17ROCPRIM_400000_NS6detail17trampoline_kernelINS0_14default_configENS1_25partition_config_selectorILNS1_17partition_subalgoE6EN6thrust23THRUST_200600_302600_NS5tupleIssNS7_9null_typeES9_S9_S9_S9_S9_S9_S9_EENS0_10empty_typeEbEEZZNS1_14partition_implILS5_6ELb0ES3_mNS7_12zip_iteratorINS8_INS7_6detail15normal_iteratorINS7_10device_ptrIsEEEESJ_S9_S9_S9_S9_S9_S9_S9_S9_EEEEPSB_SM_NS0_5tupleIJNSE_INS8_ISJ_NS7_16discard_iteratorINS7_11use_defaultEEES9_S9_S9_S9_S9_S9_S9_S9_EEEESB_EEENSN_IJSM_SM_EEESB_PlJNSF_9not_fun_tINSF_14equal_to_valueISA_EEEEEEE10hipError_tPvRmT3_T4_T5_T6_T7_T9_mT8_P12ihipStream_tbDpT10_ENKUlT_T0_E_clISt17integral_constantIbLb0EES1I_IbLb1EEEEDaS1E_S1F_EUlS1E_E_NS1_11comp_targetILNS1_3genE8ELNS1_11target_archE1030ELNS1_3gpuE2ELNS1_3repE0EEENS1_30default_config_static_selectorELNS0_4arch9wavefront6targetE0EEEvT1_,comdat
	.protected	_ZN7rocprim17ROCPRIM_400000_NS6detail17trampoline_kernelINS0_14default_configENS1_25partition_config_selectorILNS1_17partition_subalgoE6EN6thrust23THRUST_200600_302600_NS5tupleIssNS7_9null_typeES9_S9_S9_S9_S9_S9_S9_EENS0_10empty_typeEbEEZZNS1_14partition_implILS5_6ELb0ES3_mNS7_12zip_iteratorINS8_INS7_6detail15normal_iteratorINS7_10device_ptrIsEEEESJ_S9_S9_S9_S9_S9_S9_S9_S9_EEEEPSB_SM_NS0_5tupleIJNSE_INS8_ISJ_NS7_16discard_iteratorINS7_11use_defaultEEES9_S9_S9_S9_S9_S9_S9_S9_EEEESB_EEENSN_IJSM_SM_EEESB_PlJNSF_9not_fun_tINSF_14equal_to_valueISA_EEEEEEE10hipError_tPvRmT3_T4_T5_T6_T7_T9_mT8_P12ihipStream_tbDpT10_ENKUlT_T0_E_clISt17integral_constantIbLb0EES1I_IbLb1EEEEDaS1E_S1F_EUlS1E_E_NS1_11comp_targetILNS1_3genE8ELNS1_11target_archE1030ELNS1_3gpuE2ELNS1_3repE0EEENS1_30default_config_static_selectorELNS0_4arch9wavefront6targetE0EEEvT1_ ; -- Begin function _ZN7rocprim17ROCPRIM_400000_NS6detail17trampoline_kernelINS0_14default_configENS1_25partition_config_selectorILNS1_17partition_subalgoE6EN6thrust23THRUST_200600_302600_NS5tupleIssNS7_9null_typeES9_S9_S9_S9_S9_S9_S9_EENS0_10empty_typeEbEEZZNS1_14partition_implILS5_6ELb0ES3_mNS7_12zip_iteratorINS8_INS7_6detail15normal_iteratorINS7_10device_ptrIsEEEESJ_S9_S9_S9_S9_S9_S9_S9_S9_EEEEPSB_SM_NS0_5tupleIJNSE_INS8_ISJ_NS7_16discard_iteratorINS7_11use_defaultEEES9_S9_S9_S9_S9_S9_S9_S9_EEEESB_EEENSN_IJSM_SM_EEESB_PlJNSF_9not_fun_tINSF_14equal_to_valueISA_EEEEEEE10hipError_tPvRmT3_T4_T5_T6_T7_T9_mT8_P12ihipStream_tbDpT10_ENKUlT_T0_E_clISt17integral_constantIbLb0EES1I_IbLb1EEEEDaS1E_S1F_EUlS1E_E_NS1_11comp_targetILNS1_3genE8ELNS1_11target_archE1030ELNS1_3gpuE2ELNS1_3repE0EEENS1_30default_config_static_selectorELNS0_4arch9wavefront6targetE0EEEvT1_
	.globl	_ZN7rocprim17ROCPRIM_400000_NS6detail17trampoline_kernelINS0_14default_configENS1_25partition_config_selectorILNS1_17partition_subalgoE6EN6thrust23THRUST_200600_302600_NS5tupleIssNS7_9null_typeES9_S9_S9_S9_S9_S9_S9_EENS0_10empty_typeEbEEZZNS1_14partition_implILS5_6ELb0ES3_mNS7_12zip_iteratorINS8_INS7_6detail15normal_iteratorINS7_10device_ptrIsEEEESJ_S9_S9_S9_S9_S9_S9_S9_S9_EEEEPSB_SM_NS0_5tupleIJNSE_INS8_ISJ_NS7_16discard_iteratorINS7_11use_defaultEEES9_S9_S9_S9_S9_S9_S9_S9_EEEESB_EEENSN_IJSM_SM_EEESB_PlJNSF_9not_fun_tINSF_14equal_to_valueISA_EEEEEEE10hipError_tPvRmT3_T4_T5_T6_T7_T9_mT8_P12ihipStream_tbDpT10_ENKUlT_T0_E_clISt17integral_constantIbLb0EES1I_IbLb1EEEEDaS1E_S1F_EUlS1E_E_NS1_11comp_targetILNS1_3genE8ELNS1_11target_archE1030ELNS1_3gpuE2ELNS1_3repE0EEENS1_30default_config_static_selectorELNS0_4arch9wavefront6targetE0EEEvT1_
	.p2align	8
	.type	_ZN7rocprim17ROCPRIM_400000_NS6detail17trampoline_kernelINS0_14default_configENS1_25partition_config_selectorILNS1_17partition_subalgoE6EN6thrust23THRUST_200600_302600_NS5tupleIssNS7_9null_typeES9_S9_S9_S9_S9_S9_S9_EENS0_10empty_typeEbEEZZNS1_14partition_implILS5_6ELb0ES3_mNS7_12zip_iteratorINS8_INS7_6detail15normal_iteratorINS7_10device_ptrIsEEEESJ_S9_S9_S9_S9_S9_S9_S9_S9_EEEEPSB_SM_NS0_5tupleIJNSE_INS8_ISJ_NS7_16discard_iteratorINS7_11use_defaultEEES9_S9_S9_S9_S9_S9_S9_S9_EEEESB_EEENSN_IJSM_SM_EEESB_PlJNSF_9not_fun_tINSF_14equal_to_valueISA_EEEEEEE10hipError_tPvRmT3_T4_T5_T6_T7_T9_mT8_P12ihipStream_tbDpT10_ENKUlT_T0_E_clISt17integral_constantIbLb0EES1I_IbLb1EEEEDaS1E_S1F_EUlS1E_E_NS1_11comp_targetILNS1_3genE8ELNS1_11target_archE1030ELNS1_3gpuE2ELNS1_3repE0EEENS1_30default_config_static_selectorELNS0_4arch9wavefront6targetE0EEEvT1_,@function
_ZN7rocprim17ROCPRIM_400000_NS6detail17trampoline_kernelINS0_14default_configENS1_25partition_config_selectorILNS1_17partition_subalgoE6EN6thrust23THRUST_200600_302600_NS5tupleIssNS7_9null_typeES9_S9_S9_S9_S9_S9_S9_EENS0_10empty_typeEbEEZZNS1_14partition_implILS5_6ELb0ES3_mNS7_12zip_iteratorINS8_INS7_6detail15normal_iteratorINS7_10device_ptrIsEEEESJ_S9_S9_S9_S9_S9_S9_S9_S9_EEEEPSB_SM_NS0_5tupleIJNSE_INS8_ISJ_NS7_16discard_iteratorINS7_11use_defaultEEES9_S9_S9_S9_S9_S9_S9_S9_EEEESB_EEENSN_IJSM_SM_EEESB_PlJNSF_9not_fun_tINSF_14equal_to_valueISA_EEEEEEE10hipError_tPvRmT3_T4_T5_T6_T7_T9_mT8_P12ihipStream_tbDpT10_ENKUlT_T0_E_clISt17integral_constantIbLb0EES1I_IbLb1EEEEDaS1E_S1F_EUlS1E_E_NS1_11comp_targetILNS1_3genE8ELNS1_11target_archE1030ELNS1_3gpuE2ELNS1_3repE0EEENS1_30default_config_static_selectorELNS0_4arch9wavefront6targetE0EEEvT1_: ; @_ZN7rocprim17ROCPRIM_400000_NS6detail17trampoline_kernelINS0_14default_configENS1_25partition_config_selectorILNS1_17partition_subalgoE6EN6thrust23THRUST_200600_302600_NS5tupleIssNS7_9null_typeES9_S9_S9_S9_S9_S9_S9_EENS0_10empty_typeEbEEZZNS1_14partition_implILS5_6ELb0ES3_mNS7_12zip_iteratorINS8_INS7_6detail15normal_iteratorINS7_10device_ptrIsEEEESJ_S9_S9_S9_S9_S9_S9_S9_S9_EEEEPSB_SM_NS0_5tupleIJNSE_INS8_ISJ_NS7_16discard_iteratorINS7_11use_defaultEEES9_S9_S9_S9_S9_S9_S9_S9_EEEESB_EEENSN_IJSM_SM_EEESB_PlJNSF_9not_fun_tINSF_14equal_to_valueISA_EEEEEEE10hipError_tPvRmT3_T4_T5_T6_T7_T9_mT8_P12ihipStream_tbDpT10_ENKUlT_T0_E_clISt17integral_constantIbLb0EES1I_IbLb1EEEEDaS1E_S1F_EUlS1E_E_NS1_11comp_targetILNS1_3genE8ELNS1_11target_archE1030ELNS1_3gpuE2ELNS1_3repE0EEENS1_30default_config_static_selectorELNS0_4arch9wavefront6targetE0EEEvT1_
; %bb.0:
	.section	.rodata,"a",@progbits
	.p2align	6, 0x0
	.amdhsa_kernel _ZN7rocprim17ROCPRIM_400000_NS6detail17trampoline_kernelINS0_14default_configENS1_25partition_config_selectorILNS1_17partition_subalgoE6EN6thrust23THRUST_200600_302600_NS5tupleIssNS7_9null_typeES9_S9_S9_S9_S9_S9_S9_EENS0_10empty_typeEbEEZZNS1_14partition_implILS5_6ELb0ES3_mNS7_12zip_iteratorINS8_INS7_6detail15normal_iteratorINS7_10device_ptrIsEEEESJ_S9_S9_S9_S9_S9_S9_S9_S9_EEEEPSB_SM_NS0_5tupleIJNSE_INS8_ISJ_NS7_16discard_iteratorINS7_11use_defaultEEES9_S9_S9_S9_S9_S9_S9_S9_EEEESB_EEENSN_IJSM_SM_EEESB_PlJNSF_9not_fun_tINSF_14equal_to_valueISA_EEEEEEE10hipError_tPvRmT3_T4_T5_T6_T7_T9_mT8_P12ihipStream_tbDpT10_ENKUlT_T0_E_clISt17integral_constantIbLb0EES1I_IbLb1EEEEDaS1E_S1F_EUlS1E_E_NS1_11comp_targetILNS1_3genE8ELNS1_11target_archE1030ELNS1_3gpuE2ELNS1_3repE0EEENS1_30default_config_static_selectorELNS0_4arch9wavefront6targetE0EEEvT1_
		.amdhsa_group_segment_fixed_size 0
		.amdhsa_private_segment_fixed_size 0
		.amdhsa_kernarg_size 152
		.amdhsa_user_sgpr_count 2
		.amdhsa_user_sgpr_dispatch_ptr 0
		.amdhsa_user_sgpr_queue_ptr 0
		.amdhsa_user_sgpr_kernarg_segment_ptr 1
		.amdhsa_user_sgpr_dispatch_id 0
		.amdhsa_user_sgpr_private_segment_size 0
		.amdhsa_wavefront_size32 1
		.amdhsa_uses_dynamic_stack 0
		.amdhsa_enable_private_segment 0
		.amdhsa_system_sgpr_workgroup_id_x 1
		.amdhsa_system_sgpr_workgroup_id_y 0
		.amdhsa_system_sgpr_workgroup_id_z 0
		.amdhsa_system_sgpr_workgroup_info 0
		.amdhsa_system_vgpr_workitem_id 0
		.amdhsa_next_free_vgpr 1
		.amdhsa_next_free_sgpr 1
		.amdhsa_reserve_vcc 0
		.amdhsa_float_round_mode_32 0
		.amdhsa_float_round_mode_16_64 0
		.amdhsa_float_denorm_mode_32 3
		.amdhsa_float_denorm_mode_16_64 3
		.amdhsa_fp16_overflow 0
		.amdhsa_workgroup_processor_mode 1
		.amdhsa_memory_ordered 1
		.amdhsa_forward_progress 1
		.amdhsa_inst_pref_size 0
		.amdhsa_round_robin_scheduling 0
		.amdhsa_exception_fp_ieee_invalid_op 0
		.amdhsa_exception_fp_denorm_src 0
		.amdhsa_exception_fp_ieee_div_zero 0
		.amdhsa_exception_fp_ieee_overflow 0
		.amdhsa_exception_fp_ieee_underflow 0
		.amdhsa_exception_fp_ieee_inexact 0
		.amdhsa_exception_int_div_zero 0
	.end_amdhsa_kernel
	.section	.text._ZN7rocprim17ROCPRIM_400000_NS6detail17trampoline_kernelINS0_14default_configENS1_25partition_config_selectorILNS1_17partition_subalgoE6EN6thrust23THRUST_200600_302600_NS5tupleIssNS7_9null_typeES9_S9_S9_S9_S9_S9_S9_EENS0_10empty_typeEbEEZZNS1_14partition_implILS5_6ELb0ES3_mNS7_12zip_iteratorINS8_INS7_6detail15normal_iteratorINS7_10device_ptrIsEEEESJ_S9_S9_S9_S9_S9_S9_S9_S9_EEEEPSB_SM_NS0_5tupleIJNSE_INS8_ISJ_NS7_16discard_iteratorINS7_11use_defaultEEES9_S9_S9_S9_S9_S9_S9_S9_EEEESB_EEENSN_IJSM_SM_EEESB_PlJNSF_9not_fun_tINSF_14equal_to_valueISA_EEEEEEE10hipError_tPvRmT3_T4_T5_T6_T7_T9_mT8_P12ihipStream_tbDpT10_ENKUlT_T0_E_clISt17integral_constantIbLb0EES1I_IbLb1EEEEDaS1E_S1F_EUlS1E_E_NS1_11comp_targetILNS1_3genE8ELNS1_11target_archE1030ELNS1_3gpuE2ELNS1_3repE0EEENS1_30default_config_static_selectorELNS0_4arch9wavefront6targetE0EEEvT1_,"axG",@progbits,_ZN7rocprim17ROCPRIM_400000_NS6detail17trampoline_kernelINS0_14default_configENS1_25partition_config_selectorILNS1_17partition_subalgoE6EN6thrust23THRUST_200600_302600_NS5tupleIssNS7_9null_typeES9_S9_S9_S9_S9_S9_S9_EENS0_10empty_typeEbEEZZNS1_14partition_implILS5_6ELb0ES3_mNS7_12zip_iteratorINS8_INS7_6detail15normal_iteratorINS7_10device_ptrIsEEEESJ_S9_S9_S9_S9_S9_S9_S9_S9_EEEEPSB_SM_NS0_5tupleIJNSE_INS8_ISJ_NS7_16discard_iteratorINS7_11use_defaultEEES9_S9_S9_S9_S9_S9_S9_S9_EEEESB_EEENSN_IJSM_SM_EEESB_PlJNSF_9not_fun_tINSF_14equal_to_valueISA_EEEEEEE10hipError_tPvRmT3_T4_T5_T6_T7_T9_mT8_P12ihipStream_tbDpT10_ENKUlT_T0_E_clISt17integral_constantIbLb0EES1I_IbLb1EEEEDaS1E_S1F_EUlS1E_E_NS1_11comp_targetILNS1_3genE8ELNS1_11target_archE1030ELNS1_3gpuE2ELNS1_3repE0EEENS1_30default_config_static_selectorELNS0_4arch9wavefront6targetE0EEEvT1_,comdat
.Lfunc_end2076:
	.size	_ZN7rocprim17ROCPRIM_400000_NS6detail17trampoline_kernelINS0_14default_configENS1_25partition_config_selectorILNS1_17partition_subalgoE6EN6thrust23THRUST_200600_302600_NS5tupleIssNS7_9null_typeES9_S9_S9_S9_S9_S9_S9_EENS0_10empty_typeEbEEZZNS1_14partition_implILS5_6ELb0ES3_mNS7_12zip_iteratorINS8_INS7_6detail15normal_iteratorINS7_10device_ptrIsEEEESJ_S9_S9_S9_S9_S9_S9_S9_S9_EEEEPSB_SM_NS0_5tupleIJNSE_INS8_ISJ_NS7_16discard_iteratorINS7_11use_defaultEEES9_S9_S9_S9_S9_S9_S9_S9_EEEESB_EEENSN_IJSM_SM_EEESB_PlJNSF_9not_fun_tINSF_14equal_to_valueISA_EEEEEEE10hipError_tPvRmT3_T4_T5_T6_T7_T9_mT8_P12ihipStream_tbDpT10_ENKUlT_T0_E_clISt17integral_constantIbLb0EES1I_IbLb1EEEEDaS1E_S1F_EUlS1E_E_NS1_11comp_targetILNS1_3genE8ELNS1_11target_archE1030ELNS1_3gpuE2ELNS1_3repE0EEENS1_30default_config_static_selectorELNS0_4arch9wavefront6targetE0EEEvT1_, .Lfunc_end2076-_ZN7rocprim17ROCPRIM_400000_NS6detail17trampoline_kernelINS0_14default_configENS1_25partition_config_selectorILNS1_17partition_subalgoE6EN6thrust23THRUST_200600_302600_NS5tupleIssNS7_9null_typeES9_S9_S9_S9_S9_S9_S9_EENS0_10empty_typeEbEEZZNS1_14partition_implILS5_6ELb0ES3_mNS7_12zip_iteratorINS8_INS7_6detail15normal_iteratorINS7_10device_ptrIsEEEESJ_S9_S9_S9_S9_S9_S9_S9_S9_EEEEPSB_SM_NS0_5tupleIJNSE_INS8_ISJ_NS7_16discard_iteratorINS7_11use_defaultEEES9_S9_S9_S9_S9_S9_S9_S9_EEEESB_EEENSN_IJSM_SM_EEESB_PlJNSF_9not_fun_tINSF_14equal_to_valueISA_EEEEEEE10hipError_tPvRmT3_T4_T5_T6_T7_T9_mT8_P12ihipStream_tbDpT10_ENKUlT_T0_E_clISt17integral_constantIbLb0EES1I_IbLb1EEEEDaS1E_S1F_EUlS1E_E_NS1_11comp_targetILNS1_3genE8ELNS1_11target_archE1030ELNS1_3gpuE2ELNS1_3repE0EEENS1_30default_config_static_selectorELNS0_4arch9wavefront6targetE0EEEvT1_
                                        ; -- End function
	.set _ZN7rocprim17ROCPRIM_400000_NS6detail17trampoline_kernelINS0_14default_configENS1_25partition_config_selectorILNS1_17partition_subalgoE6EN6thrust23THRUST_200600_302600_NS5tupleIssNS7_9null_typeES9_S9_S9_S9_S9_S9_S9_EENS0_10empty_typeEbEEZZNS1_14partition_implILS5_6ELb0ES3_mNS7_12zip_iteratorINS8_INS7_6detail15normal_iteratorINS7_10device_ptrIsEEEESJ_S9_S9_S9_S9_S9_S9_S9_S9_EEEEPSB_SM_NS0_5tupleIJNSE_INS8_ISJ_NS7_16discard_iteratorINS7_11use_defaultEEES9_S9_S9_S9_S9_S9_S9_S9_EEEESB_EEENSN_IJSM_SM_EEESB_PlJNSF_9not_fun_tINSF_14equal_to_valueISA_EEEEEEE10hipError_tPvRmT3_T4_T5_T6_T7_T9_mT8_P12ihipStream_tbDpT10_ENKUlT_T0_E_clISt17integral_constantIbLb0EES1I_IbLb1EEEEDaS1E_S1F_EUlS1E_E_NS1_11comp_targetILNS1_3genE8ELNS1_11target_archE1030ELNS1_3gpuE2ELNS1_3repE0EEENS1_30default_config_static_selectorELNS0_4arch9wavefront6targetE0EEEvT1_.num_vgpr, 0
	.set _ZN7rocprim17ROCPRIM_400000_NS6detail17trampoline_kernelINS0_14default_configENS1_25partition_config_selectorILNS1_17partition_subalgoE6EN6thrust23THRUST_200600_302600_NS5tupleIssNS7_9null_typeES9_S9_S9_S9_S9_S9_S9_EENS0_10empty_typeEbEEZZNS1_14partition_implILS5_6ELb0ES3_mNS7_12zip_iteratorINS8_INS7_6detail15normal_iteratorINS7_10device_ptrIsEEEESJ_S9_S9_S9_S9_S9_S9_S9_S9_EEEEPSB_SM_NS0_5tupleIJNSE_INS8_ISJ_NS7_16discard_iteratorINS7_11use_defaultEEES9_S9_S9_S9_S9_S9_S9_S9_EEEESB_EEENSN_IJSM_SM_EEESB_PlJNSF_9not_fun_tINSF_14equal_to_valueISA_EEEEEEE10hipError_tPvRmT3_T4_T5_T6_T7_T9_mT8_P12ihipStream_tbDpT10_ENKUlT_T0_E_clISt17integral_constantIbLb0EES1I_IbLb1EEEEDaS1E_S1F_EUlS1E_E_NS1_11comp_targetILNS1_3genE8ELNS1_11target_archE1030ELNS1_3gpuE2ELNS1_3repE0EEENS1_30default_config_static_selectorELNS0_4arch9wavefront6targetE0EEEvT1_.num_agpr, 0
	.set _ZN7rocprim17ROCPRIM_400000_NS6detail17trampoline_kernelINS0_14default_configENS1_25partition_config_selectorILNS1_17partition_subalgoE6EN6thrust23THRUST_200600_302600_NS5tupleIssNS7_9null_typeES9_S9_S9_S9_S9_S9_S9_EENS0_10empty_typeEbEEZZNS1_14partition_implILS5_6ELb0ES3_mNS7_12zip_iteratorINS8_INS7_6detail15normal_iteratorINS7_10device_ptrIsEEEESJ_S9_S9_S9_S9_S9_S9_S9_S9_EEEEPSB_SM_NS0_5tupleIJNSE_INS8_ISJ_NS7_16discard_iteratorINS7_11use_defaultEEES9_S9_S9_S9_S9_S9_S9_S9_EEEESB_EEENSN_IJSM_SM_EEESB_PlJNSF_9not_fun_tINSF_14equal_to_valueISA_EEEEEEE10hipError_tPvRmT3_T4_T5_T6_T7_T9_mT8_P12ihipStream_tbDpT10_ENKUlT_T0_E_clISt17integral_constantIbLb0EES1I_IbLb1EEEEDaS1E_S1F_EUlS1E_E_NS1_11comp_targetILNS1_3genE8ELNS1_11target_archE1030ELNS1_3gpuE2ELNS1_3repE0EEENS1_30default_config_static_selectorELNS0_4arch9wavefront6targetE0EEEvT1_.numbered_sgpr, 0
	.set _ZN7rocprim17ROCPRIM_400000_NS6detail17trampoline_kernelINS0_14default_configENS1_25partition_config_selectorILNS1_17partition_subalgoE6EN6thrust23THRUST_200600_302600_NS5tupleIssNS7_9null_typeES9_S9_S9_S9_S9_S9_S9_EENS0_10empty_typeEbEEZZNS1_14partition_implILS5_6ELb0ES3_mNS7_12zip_iteratorINS8_INS7_6detail15normal_iteratorINS7_10device_ptrIsEEEESJ_S9_S9_S9_S9_S9_S9_S9_S9_EEEEPSB_SM_NS0_5tupleIJNSE_INS8_ISJ_NS7_16discard_iteratorINS7_11use_defaultEEES9_S9_S9_S9_S9_S9_S9_S9_EEEESB_EEENSN_IJSM_SM_EEESB_PlJNSF_9not_fun_tINSF_14equal_to_valueISA_EEEEEEE10hipError_tPvRmT3_T4_T5_T6_T7_T9_mT8_P12ihipStream_tbDpT10_ENKUlT_T0_E_clISt17integral_constantIbLb0EES1I_IbLb1EEEEDaS1E_S1F_EUlS1E_E_NS1_11comp_targetILNS1_3genE8ELNS1_11target_archE1030ELNS1_3gpuE2ELNS1_3repE0EEENS1_30default_config_static_selectorELNS0_4arch9wavefront6targetE0EEEvT1_.num_named_barrier, 0
	.set _ZN7rocprim17ROCPRIM_400000_NS6detail17trampoline_kernelINS0_14default_configENS1_25partition_config_selectorILNS1_17partition_subalgoE6EN6thrust23THRUST_200600_302600_NS5tupleIssNS7_9null_typeES9_S9_S9_S9_S9_S9_S9_EENS0_10empty_typeEbEEZZNS1_14partition_implILS5_6ELb0ES3_mNS7_12zip_iteratorINS8_INS7_6detail15normal_iteratorINS7_10device_ptrIsEEEESJ_S9_S9_S9_S9_S9_S9_S9_S9_EEEEPSB_SM_NS0_5tupleIJNSE_INS8_ISJ_NS7_16discard_iteratorINS7_11use_defaultEEES9_S9_S9_S9_S9_S9_S9_S9_EEEESB_EEENSN_IJSM_SM_EEESB_PlJNSF_9not_fun_tINSF_14equal_to_valueISA_EEEEEEE10hipError_tPvRmT3_T4_T5_T6_T7_T9_mT8_P12ihipStream_tbDpT10_ENKUlT_T0_E_clISt17integral_constantIbLb0EES1I_IbLb1EEEEDaS1E_S1F_EUlS1E_E_NS1_11comp_targetILNS1_3genE8ELNS1_11target_archE1030ELNS1_3gpuE2ELNS1_3repE0EEENS1_30default_config_static_selectorELNS0_4arch9wavefront6targetE0EEEvT1_.private_seg_size, 0
	.set _ZN7rocprim17ROCPRIM_400000_NS6detail17trampoline_kernelINS0_14default_configENS1_25partition_config_selectorILNS1_17partition_subalgoE6EN6thrust23THRUST_200600_302600_NS5tupleIssNS7_9null_typeES9_S9_S9_S9_S9_S9_S9_EENS0_10empty_typeEbEEZZNS1_14partition_implILS5_6ELb0ES3_mNS7_12zip_iteratorINS8_INS7_6detail15normal_iteratorINS7_10device_ptrIsEEEESJ_S9_S9_S9_S9_S9_S9_S9_S9_EEEEPSB_SM_NS0_5tupleIJNSE_INS8_ISJ_NS7_16discard_iteratorINS7_11use_defaultEEES9_S9_S9_S9_S9_S9_S9_S9_EEEESB_EEENSN_IJSM_SM_EEESB_PlJNSF_9not_fun_tINSF_14equal_to_valueISA_EEEEEEE10hipError_tPvRmT3_T4_T5_T6_T7_T9_mT8_P12ihipStream_tbDpT10_ENKUlT_T0_E_clISt17integral_constantIbLb0EES1I_IbLb1EEEEDaS1E_S1F_EUlS1E_E_NS1_11comp_targetILNS1_3genE8ELNS1_11target_archE1030ELNS1_3gpuE2ELNS1_3repE0EEENS1_30default_config_static_selectorELNS0_4arch9wavefront6targetE0EEEvT1_.uses_vcc, 0
	.set _ZN7rocprim17ROCPRIM_400000_NS6detail17trampoline_kernelINS0_14default_configENS1_25partition_config_selectorILNS1_17partition_subalgoE6EN6thrust23THRUST_200600_302600_NS5tupleIssNS7_9null_typeES9_S9_S9_S9_S9_S9_S9_EENS0_10empty_typeEbEEZZNS1_14partition_implILS5_6ELb0ES3_mNS7_12zip_iteratorINS8_INS7_6detail15normal_iteratorINS7_10device_ptrIsEEEESJ_S9_S9_S9_S9_S9_S9_S9_S9_EEEEPSB_SM_NS0_5tupleIJNSE_INS8_ISJ_NS7_16discard_iteratorINS7_11use_defaultEEES9_S9_S9_S9_S9_S9_S9_S9_EEEESB_EEENSN_IJSM_SM_EEESB_PlJNSF_9not_fun_tINSF_14equal_to_valueISA_EEEEEEE10hipError_tPvRmT3_T4_T5_T6_T7_T9_mT8_P12ihipStream_tbDpT10_ENKUlT_T0_E_clISt17integral_constantIbLb0EES1I_IbLb1EEEEDaS1E_S1F_EUlS1E_E_NS1_11comp_targetILNS1_3genE8ELNS1_11target_archE1030ELNS1_3gpuE2ELNS1_3repE0EEENS1_30default_config_static_selectorELNS0_4arch9wavefront6targetE0EEEvT1_.uses_flat_scratch, 0
	.set _ZN7rocprim17ROCPRIM_400000_NS6detail17trampoline_kernelINS0_14default_configENS1_25partition_config_selectorILNS1_17partition_subalgoE6EN6thrust23THRUST_200600_302600_NS5tupleIssNS7_9null_typeES9_S9_S9_S9_S9_S9_S9_EENS0_10empty_typeEbEEZZNS1_14partition_implILS5_6ELb0ES3_mNS7_12zip_iteratorINS8_INS7_6detail15normal_iteratorINS7_10device_ptrIsEEEESJ_S9_S9_S9_S9_S9_S9_S9_S9_EEEEPSB_SM_NS0_5tupleIJNSE_INS8_ISJ_NS7_16discard_iteratorINS7_11use_defaultEEES9_S9_S9_S9_S9_S9_S9_S9_EEEESB_EEENSN_IJSM_SM_EEESB_PlJNSF_9not_fun_tINSF_14equal_to_valueISA_EEEEEEE10hipError_tPvRmT3_T4_T5_T6_T7_T9_mT8_P12ihipStream_tbDpT10_ENKUlT_T0_E_clISt17integral_constantIbLb0EES1I_IbLb1EEEEDaS1E_S1F_EUlS1E_E_NS1_11comp_targetILNS1_3genE8ELNS1_11target_archE1030ELNS1_3gpuE2ELNS1_3repE0EEENS1_30default_config_static_selectorELNS0_4arch9wavefront6targetE0EEEvT1_.has_dyn_sized_stack, 0
	.set _ZN7rocprim17ROCPRIM_400000_NS6detail17trampoline_kernelINS0_14default_configENS1_25partition_config_selectorILNS1_17partition_subalgoE6EN6thrust23THRUST_200600_302600_NS5tupleIssNS7_9null_typeES9_S9_S9_S9_S9_S9_S9_EENS0_10empty_typeEbEEZZNS1_14partition_implILS5_6ELb0ES3_mNS7_12zip_iteratorINS8_INS7_6detail15normal_iteratorINS7_10device_ptrIsEEEESJ_S9_S9_S9_S9_S9_S9_S9_S9_EEEEPSB_SM_NS0_5tupleIJNSE_INS8_ISJ_NS7_16discard_iteratorINS7_11use_defaultEEES9_S9_S9_S9_S9_S9_S9_S9_EEEESB_EEENSN_IJSM_SM_EEESB_PlJNSF_9not_fun_tINSF_14equal_to_valueISA_EEEEEEE10hipError_tPvRmT3_T4_T5_T6_T7_T9_mT8_P12ihipStream_tbDpT10_ENKUlT_T0_E_clISt17integral_constantIbLb0EES1I_IbLb1EEEEDaS1E_S1F_EUlS1E_E_NS1_11comp_targetILNS1_3genE8ELNS1_11target_archE1030ELNS1_3gpuE2ELNS1_3repE0EEENS1_30default_config_static_selectorELNS0_4arch9wavefront6targetE0EEEvT1_.has_recursion, 0
	.set _ZN7rocprim17ROCPRIM_400000_NS6detail17trampoline_kernelINS0_14default_configENS1_25partition_config_selectorILNS1_17partition_subalgoE6EN6thrust23THRUST_200600_302600_NS5tupleIssNS7_9null_typeES9_S9_S9_S9_S9_S9_S9_EENS0_10empty_typeEbEEZZNS1_14partition_implILS5_6ELb0ES3_mNS7_12zip_iteratorINS8_INS7_6detail15normal_iteratorINS7_10device_ptrIsEEEESJ_S9_S9_S9_S9_S9_S9_S9_S9_EEEEPSB_SM_NS0_5tupleIJNSE_INS8_ISJ_NS7_16discard_iteratorINS7_11use_defaultEEES9_S9_S9_S9_S9_S9_S9_S9_EEEESB_EEENSN_IJSM_SM_EEESB_PlJNSF_9not_fun_tINSF_14equal_to_valueISA_EEEEEEE10hipError_tPvRmT3_T4_T5_T6_T7_T9_mT8_P12ihipStream_tbDpT10_ENKUlT_T0_E_clISt17integral_constantIbLb0EES1I_IbLb1EEEEDaS1E_S1F_EUlS1E_E_NS1_11comp_targetILNS1_3genE8ELNS1_11target_archE1030ELNS1_3gpuE2ELNS1_3repE0EEENS1_30default_config_static_selectorELNS0_4arch9wavefront6targetE0EEEvT1_.has_indirect_call, 0
	.section	.AMDGPU.csdata,"",@progbits
; Kernel info:
; codeLenInByte = 0
; TotalNumSgprs: 0
; NumVgprs: 0
; ScratchSize: 0
; MemoryBound: 0
; FloatMode: 240
; IeeeMode: 1
; LDSByteSize: 0 bytes/workgroup (compile time only)
; SGPRBlocks: 0
; VGPRBlocks: 0
; NumSGPRsForWavesPerEU: 1
; NumVGPRsForWavesPerEU: 1
; Occupancy: 16
; WaveLimiterHint : 0
; COMPUTE_PGM_RSRC2:SCRATCH_EN: 0
; COMPUTE_PGM_RSRC2:USER_SGPR: 2
; COMPUTE_PGM_RSRC2:TRAP_HANDLER: 0
; COMPUTE_PGM_RSRC2:TGID_X_EN: 1
; COMPUTE_PGM_RSRC2:TGID_Y_EN: 0
; COMPUTE_PGM_RSRC2:TGID_Z_EN: 0
; COMPUTE_PGM_RSRC2:TIDIG_COMP_CNT: 0
	.section	.text._ZN7rocprim17ROCPRIM_400000_NS6detail17trampoline_kernelINS0_14default_configENS1_25partition_config_selectorILNS1_17partition_subalgoE6EdNS0_10empty_typeEbEEZZNS1_14partition_implILS5_6ELb0ES3_mN6thrust23THRUST_200600_302600_NS6detail15normal_iteratorINSA_10device_ptrIdEEEEPS6_SG_NS0_5tupleIJNSA_16discard_iteratorINSA_11use_defaultEEES6_EEENSH_IJSG_SG_EEES6_PlJNSB_9not_fun_tI7is_trueIdEEEEEE10hipError_tPvRmT3_T4_T5_T6_T7_T9_mT8_P12ihipStream_tbDpT10_ENKUlT_T0_E_clISt17integral_constantIbLb0EES1B_EEDaS16_S17_EUlS16_E_NS1_11comp_targetILNS1_3genE0ELNS1_11target_archE4294967295ELNS1_3gpuE0ELNS1_3repE0EEENS1_30default_config_static_selectorELNS0_4arch9wavefront6targetE0EEEvT1_,"axG",@progbits,_ZN7rocprim17ROCPRIM_400000_NS6detail17trampoline_kernelINS0_14default_configENS1_25partition_config_selectorILNS1_17partition_subalgoE6EdNS0_10empty_typeEbEEZZNS1_14partition_implILS5_6ELb0ES3_mN6thrust23THRUST_200600_302600_NS6detail15normal_iteratorINSA_10device_ptrIdEEEEPS6_SG_NS0_5tupleIJNSA_16discard_iteratorINSA_11use_defaultEEES6_EEENSH_IJSG_SG_EEES6_PlJNSB_9not_fun_tI7is_trueIdEEEEEE10hipError_tPvRmT3_T4_T5_T6_T7_T9_mT8_P12ihipStream_tbDpT10_ENKUlT_T0_E_clISt17integral_constantIbLb0EES1B_EEDaS16_S17_EUlS16_E_NS1_11comp_targetILNS1_3genE0ELNS1_11target_archE4294967295ELNS1_3gpuE0ELNS1_3repE0EEENS1_30default_config_static_selectorELNS0_4arch9wavefront6targetE0EEEvT1_,comdat
	.protected	_ZN7rocprim17ROCPRIM_400000_NS6detail17trampoline_kernelINS0_14default_configENS1_25partition_config_selectorILNS1_17partition_subalgoE6EdNS0_10empty_typeEbEEZZNS1_14partition_implILS5_6ELb0ES3_mN6thrust23THRUST_200600_302600_NS6detail15normal_iteratorINSA_10device_ptrIdEEEEPS6_SG_NS0_5tupleIJNSA_16discard_iteratorINSA_11use_defaultEEES6_EEENSH_IJSG_SG_EEES6_PlJNSB_9not_fun_tI7is_trueIdEEEEEE10hipError_tPvRmT3_T4_T5_T6_T7_T9_mT8_P12ihipStream_tbDpT10_ENKUlT_T0_E_clISt17integral_constantIbLb0EES1B_EEDaS16_S17_EUlS16_E_NS1_11comp_targetILNS1_3genE0ELNS1_11target_archE4294967295ELNS1_3gpuE0ELNS1_3repE0EEENS1_30default_config_static_selectorELNS0_4arch9wavefront6targetE0EEEvT1_ ; -- Begin function _ZN7rocprim17ROCPRIM_400000_NS6detail17trampoline_kernelINS0_14default_configENS1_25partition_config_selectorILNS1_17partition_subalgoE6EdNS0_10empty_typeEbEEZZNS1_14partition_implILS5_6ELb0ES3_mN6thrust23THRUST_200600_302600_NS6detail15normal_iteratorINSA_10device_ptrIdEEEEPS6_SG_NS0_5tupleIJNSA_16discard_iteratorINSA_11use_defaultEEES6_EEENSH_IJSG_SG_EEES6_PlJNSB_9not_fun_tI7is_trueIdEEEEEE10hipError_tPvRmT3_T4_T5_T6_T7_T9_mT8_P12ihipStream_tbDpT10_ENKUlT_T0_E_clISt17integral_constantIbLb0EES1B_EEDaS16_S17_EUlS16_E_NS1_11comp_targetILNS1_3genE0ELNS1_11target_archE4294967295ELNS1_3gpuE0ELNS1_3repE0EEENS1_30default_config_static_selectorELNS0_4arch9wavefront6targetE0EEEvT1_
	.globl	_ZN7rocprim17ROCPRIM_400000_NS6detail17trampoline_kernelINS0_14default_configENS1_25partition_config_selectorILNS1_17partition_subalgoE6EdNS0_10empty_typeEbEEZZNS1_14partition_implILS5_6ELb0ES3_mN6thrust23THRUST_200600_302600_NS6detail15normal_iteratorINSA_10device_ptrIdEEEEPS6_SG_NS0_5tupleIJNSA_16discard_iteratorINSA_11use_defaultEEES6_EEENSH_IJSG_SG_EEES6_PlJNSB_9not_fun_tI7is_trueIdEEEEEE10hipError_tPvRmT3_T4_T5_T6_T7_T9_mT8_P12ihipStream_tbDpT10_ENKUlT_T0_E_clISt17integral_constantIbLb0EES1B_EEDaS16_S17_EUlS16_E_NS1_11comp_targetILNS1_3genE0ELNS1_11target_archE4294967295ELNS1_3gpuE0ELNS1_3repE0EEENS1_30default_config_static_selectorELNS0_4arch9wavefront6targetE0EEEvT1_
	.p2align	8
	.type	_ZN7rocprim17ROCPRIM_400000_NS6detail17trampoline_kernelINS0_14default_configENS1_25partition_config_selectorILNS1_17partition_subalgoE6EdNS0_10empty_typeEbEEZZNS1_14partition_implILS5_6ELb0ES3_mN6thrust23THRUST_200600_302600_NS6detail15normal_iteratorINSA_10device_ptrIdEEEEPS6_SG_NS0_5tupleIJNSA_16discard_iteratorINSA_11use_defaultEEES6_EEENSH_IJSG_SG_EEES6_PlJNSB_9not_fun_tI7is_trueIdEEEEEE10hipError_tPvRmT3_T4_T5_T6_T7_T9_mT8_P12ihipStream_tbDpT10_ENKUlT_T0_E_clISt17integral_constantIbLb0EES1B_EEDaS16_S17_EUlS16_E_NS1_11comp_targetILNS1_3genE0ELNS1_11target_archE4294967295ELNS1_3gpuE0ELNS1_3repE0EEENS1_30default_config_static_selectorELNS0_4arch9wavefront6targetE0EEEvT1_,@function
_ZN7rocprim17ROCPRIM_400000_NS6detail17trampoline_kernelINS0_14default_configENS1_25partition_config_selectorILNS1_17partition_subalgoE6EdNS0_10empty_typeEbEEZZNS1_14partition_implILS5_6ELb0ES3_mN6thrust23THRUST_200600_302600_NS6detail15normal_iteratorINSA_10device_ptrIdEEEEPS6_SG_NS0_5tupleIJNSA_16discard_iteratorINSA_11use_defaultEEES6_EEENSH_IJSG_SG_EEES6_PlJNSB_9not_fun_tI7is_trueIdEEEEEE10hipError_tPvRmT3_T4_T5_T6_T7_T9_mT8_P12ihipStream_tbDpT10_ENKUlT_T0_E_clISt17integral_constantIbLb0EES1B_EEDaS16_S17_EUlS16_E_NS1_11comp_targetILNS1_3genE0ELNS1_11target_archE4294967295ELNS1_3gpuE0ELNS1_3repE0EEENS1_30default_config_static_selectorELNS0_4arch9wavefront6targetE0EEEvT1_: ; @_ZN7rocprim17ROCPRIM_400000_NS6detail17trampoline_kernelINS0_14default_configENS1_25partition_config_selectorILNS1_17partition_subalgoE6EdNS0_10empty_typeEbEEZZNS1_14partition_implILS5_6ELb0ES3_mN6thrust23THRUST_200600_302600_NS6detail15normal_iteratorINSA_10device_ptrIdEEEEPS6_SG_NS0_5tupleIJNSA_16discard_iteratorINSA_11use_defaultEEES6_EEENSH_IJSG_SG_EEES6_PlJNSB_9not_fun_tI7is_trueIdEEEEEE10hipError_tPvRmT3_T4_T5_T6_T7_T9_mT8_P12ihipStream_tbDpT10_ENKUlT_T0_E_clISt17integral_constantIbLb0EES1B_EEDaS16_S17_EUlS16_E_NS1_11comp_targetILNS1_3genE0ELNS1_11target_archE4294967295ELNS1_3gpuE0ELNS1_3repE0EEENS1_30default_config_static_selectorELNS0_4arch9wavefront6targetE0EEEvT1_
; %bb.0:
	.section	.rodata,"a",@progbits
	.p2align	6, 0x0
	.amdhsa_kernel _ZN7rocprim17ROCPRIM_400000_NS6detail17trampoline_kernelINS0_14default_configENS1_25partition_config_selectorILNS1_17partition_subalgoE6EdNS0_10empty_typeEbEEZZNS1_14partition_implILS5_6ELb0ES3_mN6thrust23THRUST_200600_302600_NS6detail15normal_iteratorINSA_10device_ptrIdEEEEPS6_SG_NS0_5tupleIJNSA_16discard_iteratorINSA_11use_defaultEEES6_EEENSH_IJSG_SG_EEES6_PlJNSB_9not_fun_tI7is_trueIdEEEEEE10hipError_tPvRmT3_T4_T5_T6_T7_T9_mT8_P12ihipStream_tbDpT10_ENKUlT_T0_E_clISt17integral_constantIbLb0EES1B_EEDaS16_S17_EUlS16_E_NS1_11comp_targetILNS1_3genE0ELNS1_11target_archE4294967295ELNS1_3gpuE0ELNS1_3repE0EEENS1_30default_config_static_selectorELNS0_4arch9wavefront6targetE0EEEvT1_
		.amdhsa_group_segment_fixed_size 0
		.amdhsa_private_segment_fixed_size 0
		.amdhsa_kernarg_size 120
		.amdhsa_user_sgpr_count 2
		.amdhsa_user_sgpr_dispatch_ptr 0
		.amdhsa_user_sgpr_queue_ptr 0
		.amdhsa_user_sgpr_kernarg_segment_ptr 1
		.amdhsa_user_sgpr_dispatch_id 0
		.amdhsa_user_sgpr_private_segment_size 0
		.amdhsa_wavefront_size32 1
		.amdhsa_uses_dynamic_stack 0
		.amdhsa_enable_private_segment 0
		.amdhsa_system_sgpr_workgroup_id_x 1
		.amdhsa_system_sgpr_workgroup_id_y 0
		.amdhsa_system_sgpr_workgroup_id_z 0
		.amdhsa_system_sgpr_workgroup_info 0
		.amdhsa_system_vgpr_workitem_id 0
		.amdhsa_next_free_vgpr 1
		.amdhsa_next_free_sgpr 1
		.amdhsa_reserve_vcc 0
		.amdhsa_float_round_mode_32 0
		.amdhsa_float_round_mode_16_64 0
		.amdhsa_float_denorm_mode_32 3
		.amdhsa_float_denorm_mode_16_64 3
		.amdhsa_fp16_overflow 0
		.amdhsa_workgroup_processor_mode 1
		.amdhsa_memory_ordered 1
		.amdhsa_forward_progress 1
		.amdhsa_inst_pref_size 0
		.amdhsa_round_robin_scheduling 0
		.amdhsa_exception_fp_ieee_invalid_op 0
		.amdhsa_exception_fp_denorm_src 0
		.amdhsa_exception_fp_ieee_div_zero 0
		.amdhsa_exception_fp_ieee_overflow 0
		.amdhsa_exception_fp_ieee_underflow 0
		.amdhsa_exception_fp_ieee_inexact 0
		.amdhsa_exception_int_div_zero 0
	.end_amdhsa_kernel
	.section	.text._ZN7rocprim17ROCPRIM_400000_NS6detail17trampoline_kernelINS0_14default_configENS1_25partition_config_selectorILNS1_17partition_subalgoE6EdNS0_10empty_typeEbEEZZNS1_14partition_implILS5_6ELb0ES3_mN6thrust23THRUST_200600_302600_NS6detail15normal_iteratorINSA_10device_ptrIdEEEEPS6_SG_NS0_5tupleIJNSA_16discard_iteratorINSA_11use_defaultEEES6_EEENSH_IJSG_SG_EEES6_PlJNSB_9not_fun_tI7is_trueIdEEEEEE10hipError_tPvRmT3_T4_T5_T6_T7_T9_mT8_P12ihipStream_tbDpT10_ENKUlT_T0_E_clISt17integral_constantIbLb0EES1B_EEDaS16_S17_EUlS16_E_NS1_11comp_targetILNS1_3genE0ELNS1_11target_archE4294967295ELNS1_3gpuE0ELNS1_3repE0EEENS1_30default_config_static_selectorELNS0_4arch9wavefront6targetE0EEEvT1_,"axG",@progbits,_ZN7rocprim17ROCPRIM_400000_NS6detail17trampoline_kernelINS0_14default_configENS1_25partition_config_selectorILNS1_17partition_subalgoE6EdNS0_10empty_typeEbEEZZNS1_14partition_implILS5_6ELb0ES3_mN6thrust23THRUST_200600_302600_NS6detail15normal_iteratorINSA_10device_ptrIdEEEEPS6_SG_NS0_5tupleIJNSA_16discard_iteratorINSA_11use_defaultEEES6_EEENSH_IJSG_SG_EEES6_PlJNSB_9not_fun_tI7is_trueIdEEEEEE10hipError_tPvRmT3_T4_T5_T6_T7_T9_mT8_P12ihipStream_tbDpT10_ENKUlT_T0_E_clISt17integral_constantIbLb0EES1B_EEDaS16_S17_EUlS16_E_NS1_11comp_targetILNS1_3genE0ELNS1_11target_archE4294967295ELNS1_3gpuE0ELNS1_3repE0EEENS1_30default_config_static_selectorELNS0_4arch9wavefront6targetE0EEEvT1_,comdat
.Lfunc_end2077:
	.size	_ZN7rocprim17ROCPRIM_400000_NS6detail17trampoline_kernelINS0_14default_configENS1_25partition_config_selectorILNS1_17partition_subalgoE6EdNS0_10empty_typeEbEEZZNS1_14partition_implILS5_6ELb0ES3_mN6thrust23THRUST_200600_302600_NS6detail15normal_iteratorINSA_10device_ptrIdEEEEPS6_SG_NS0_5tupleIJNSA_16discard_iteratorINSA_11use_defaultEEES6_EEENSH_IJSG_SG_EEES6_PlJNSB_9not_fun_tI7is_trueIdEEEEEE10hipError_tPvRmT3_T4_T5_T6_T7_T9_mT8_P12ihipStream_tbDpT10_ENKUlT_T0_E_clISt17integral_constantIbLb0EES1B_EEDaS16_S17_EUlS16_E_NS1_11comp_targetILNS1_3genE0ELNS1_11target_archE4294967295ELNS1_3gpuE0ELNS1_3repE0EEENS1_30default_config_static_selectorELNS0_4arch9wavefront6targetE0EEEvT1_, .Lfunc_end2077-_ZN7rocprim17ROCPRIM_400000_NS6detail17trampoline_kernelINS0_14default_configENS1_25partition_config_selectorILNS1_17partition_subalgoE6EdNS0_10empty_typeEbEEZZNS1_14partition_implILS5_6ELb0ES3_mN6thrust23THRUST_200600_302600_NS6detail15normal_iteratorINSA_10device_ptrIdEEEEPS6_SG_NS0_5tupleIJNSA_16discard_iteratorINSA_11use_defaultEEES6_EEENSH_IJSG_SG_EEES6_PlJNSB_9not_fun_tI7is_trueIdEEEEEE10hipError_tPvRmT3_T4_T5_T6_T7_T9_mT8_P12ihipStream_tbDpT10_ENKUlT_T0_E_clISt17integral_constantIbLb0EES1B_EEDaS16_S17_EUlS16_E_NS1_11comp_targetILNS1_3genE0ELNS1_11target_archE4294967295ELNS1_3gpuE0ELNS1_3repE0EEENS1_30default_config_static_selectorELNS0_4arch9wavefront6targetE0EEEvT1_
                                        ; -- End function
	.set _ZN7rocprim17ROCPRIM_400000_NS6detail17trampoline_kernelINS0_14default_configENS1_25partition_config_selectorILNS1_17partition_subalgoE6EdNS0_10empty_typeEbEEZZNS1_14partition_implILS5_6ELb0ES3_mN6thrust23THRUST_200600_302600_NS6detail15normal_iteratorINSA_10device_ptrIdEEEEPS6_SG_NS0_5tupleIJNSA_16discard_iteratorINSA_11use_defaultEEES6_EEENSH_IJSG_SG_EEES6_PlJNSB_9not_fun_tI7is_trueIdEEEEEE10hipError_tPvRmT3_T4_T5_T6_T7_T9_mT8_P12ihipStream_tbDpT10_ENKUlT_T0_E_clISt17integral_constantIbLb0EES1B_EEDaS16_S17_EUlS16_E_NS1_11comp_targetILNS1_3genE0ELNS1_11target_archE4294967295ELNS1_3gpuE0ELNS1_3repE0EEENS1_30default_config_static_selectorELNS0_4arch9wavefront6targetE0EEEvT1_.num_vgpr, 0
	.set _ZN7rocprim17ROCPRIM_400000_NS6detail17trampoline_kernelINS0_14default_configENS1_25partition_config_selectorILNS1_17partition_subalgoE6EdNS0_10empty_typeEbEEZZNS1_14partition_implILS5_6ELb0ES3_mN6thrust23THRUST_200600_302600_NS6detail15normal_iteratorINSA_10device_ptrIdEEEEPS6_SG_NS0_5tupleIJNSA_16discard_iteratorINSA_11use_defaultEEES6_EEENSH_IJSG_SG_EEES6_PlJNSB_9not_fun_tI7is_trueIdEEEEEE10hipError_tPvRmT3_T4_T5_T6_T7_T9_mT8_P12ihipStream_tbDpT10_ENKUlT_T0_E_clISt17integral_constantIbLb0EES1B_EEDaS16_S17_EUlS16_E_NS1_11comp_targetILNS1_3genE0ELNS1_11target_archE4294967295ELNS1_3gpuE0ELNS1_3repE0EEENS1_30default_config_static_selectorELNS0_4arch9wavefront6targetE0EEEvT1_.num_agpr, 0
	.set _ZN7rocprim17ROCPRIM_400000_NS6detail17trampoline_kernelINS0_14default_configENS1_25partition_config_selectorILNS1_17partition_subalgoE6EdNS0_10empty_typeEbEEZZNS1_14partition_implILS5_6ELb0ES3_mN6thrust23THRUST_200600_302600_NS6detail15normal_iteratorINSA_10device_ptrIdEEEEPS6_SG_NS0_5tupleIJNSA_16discard_iteratorINSA_11use_defaultEEES6_EEENSH_IJSG_SG_EEES6_PlJNSB_9not_fun_tI7is_trueIdEEEEEE10hipError_tPvRmT3_T4_T5_T6_T7_T9_mT8_P12ihipStream_tbDpT10_ENKUlT_T0_E_clISt17integral_constantIbLb0EES1B_EEDaS16_S17_EUlS16_E_NS1_11comp_targetILNS1_3genE0ELNS1_11target_archE4294967295ELNS1_3gpuE0ELNS1_3repE0EEENS1_30default_config_static_selectorELNS0_4arch9wavefront6targetE0EEEvT1_.numbered_sgpr, 0
	.set _ZN7rocprim17ROCPRIM_400000_NS6detail17trampoline_kernelINS0_14default_configENS1_25partition_config_selectorILNS1_17partition_subalgoE6EdNS0_10empty_typeEbEEZZNS1_14partition_implILS5_6ELb0ES3_mN6thrust23THRUST_200600_302600_NS6detail15normal_iteratorINSA_10device_ptrIdEEEEPS6_SG_NS0_5tupleIJNSA_16discard_iteratorINSA_11use_defaultEEES6_EEENSH_IJSG_SG_EEES6_PlJNSB_9not_fun_tI7is_trueIdEEEEEE10hipError_tPvRmT3_T4_T5_T6_T7_T9_mT8_P12ihipStream_tbDpT10_ENKUlT_T0_E_clISt17integral_constantIbLb0EES1B_EEDaS16_S17_EUlS16_E_NS1_11comp_targetILNS1_3genE0ELNS1_11target_archE4294967295ELNS1_3gpuE0ELNS1_3repE0EEENS1_30default_config_static_selectorELNS0_4arch9wavefront6targetE0EEEvT1_.num_named_barrier, 0
	.set _ZN7rocprim17ROCPRIM_400000_NS6detail17trampoline_kernelINS0_14default_configENS1_25partition_config_selectorILNS1_17partition_subalgoE6EdNS0_10empty_typeEbEEZZNS1_14partition_implILS5_6ELb0ES3_mN6thrust23THRUST_200600_302600_NS6detail15normal_iteratorINSA_10device_ptrIdEEEEPS6_SG_NS0_5tupleIJNSA_16discard_iteratorINSA_11use_defaultEEES6_EEENSH_IJSG_SG_EEES6_PlJNSB_9not_fun_tI7is_trueIdEEEEEE10hipError_tPvRmT3_T4_T5_T6_T7_T9_mT8_P12ihipStream_tbDpT10_ENKUlT_T0_E_clISt17integral_constantIbLb0EES1B_EEDaS16_S17_EUlS16_E_NS1_11comp_targetILNS1_3genE0ELNS1_11target_archE4294967295ELNS1_3gpuE0ELNS1_3repE0EEENS1_30default_config_static_selectorELNS0_4arch9wavefront6targetE0EEEvT1_.private_seg_size, 0
	.set _ZN7rocprim17ROCPRIM_400000_NS6detail17trampoline_kernelINS0_14default_configENS1_25partition_config_selectorILNS1_17partition_subalgoE6EdNS0_10empty_typeEbEEZZNS1_14partition_implILS5_6ELb0ES3_mN6thrust23THRUST_200600_302600_NS6detail15normal_iteratorINSA_10device_ptrIdEEEEPS6_SG_NS0_5tupleIJNSA_16discard_iteratorINSA_11use_defaultEEES6_EEENSH_IJSG_SG_EEES6_PlJNSB_9not_fun_tI7is_trueIdEEEEEE10hipError_tPvRmT3_T4_T5_T6_T7_T9_mT8_P12ihipStream_tbDpT10_ENKUlT_T0_E_clISt17integral_constantIbLb0EES1B_EEDaS16_S17_EUlS16_E_NS1_11comp_targetILNS1_3genE0ELNS1_11target_archE4294967295ELNS1_3gpuE0ELNS1_3repE0EEENS1_30default_config_static_selectorELNS0_4arch9wavefront6targetE0EEEvT1_.uses_vcc, 0
	.set _ZN7rocprim17ROCPRIM_400000_NS6detail17trampoline_kernelINS0_14default_configENS1_25partition_config_selectorILNS1_17partition_subalgoE6EdNS0_10empty_typeEbEEZZNS1_14partition_implILS5_6ELb0ES3_mN6thrust23THRUST_200600_302600_NS6detail15normal_iteratorINSA_10device_ptrIdEEEEPS6_SG_NS0_5tupleIJNSA_16discard_iteratorINSA_11use_defaultEEES6_EEENSH_IJSG_SG_EEES6_PlJNSB_9not_fun_tI7is_trueIdEEEEEE10hipError_tPvRmT3_T4_T5_T6_T7_T9_mT8_P12ihipStream_tbDpT10_ENKUlT_T0_E_clISt17integral_constantIbLb0EES1B_EEDaS16_S17_EUlS16_E_NS1_11comp_targetILNS1_3genE0ELNS1_11target_archE4294967295ELNS1_3gpuE0ELNS1_3repE0EEENS1_30default_config_static_selectorELNS0_4arch9wavefront6targetE0EEEvT1_.uses_flat_scratch, 0
	.set _ZN7rocprim17ROCPRIM_400000_NS6detail17trampoline_kernelINS0_14default_configENS1_25partition_config_selectorILNS1_17partition_subalgoE6EdNS0_10empty_typeEbEEZZNS1_14partition_implILS5_6ELb0ES3_mN6thrust23THRUST_200600_302600_NS6detail15normal_iteratorINSA_10device_ptrIdEEEEPS6_SG_NS0_5tupleIJNSA_16discard_iteratorINSA_11use_defaultEEES6_EEENSH_IJSG_SG_EEES6_PlJNSB_9not_fun_tI7is_trueIdEEEEEE10hipError_tPvRmT3_T4_T5_T6_T7_T9_mT8_P12ihipStream_tbDpT10_ENKUlT_T0_E_clISt17integral_constantIbLb0EES1B_EEDaS16_S17_EUlS16_E_NS1_11comp_targetILNS1_3genE0ELNS1_11target_archE4294967295ELNS1_3gpuE0ELNS1_3repE0EEENS1_30default_config_static_selectorELNS0_4arch9wavefront6targetE0EEEvT1_.has_dyn_sized_stack, 0
	.set _ZN7rocprim17ROCPRIM_400000_NS6detail17trampoline_kernelINS0_14default_configENS1_25partition_config_selectorILNS1_17partition_subalgoE6EdNS0_10empty_typeEbEEZZNS1_14partition_implILS5_6ELb0ES3_mN6thrust23THRUST_200600_302600_NS6detail15normal_iteratorINSA_10device_ptrIdEEEEPS6_SG_NS0_5tupleIJNSA_16discard_iteratorINSA_11use_defaultEEES6_EEENSH_IJSG_SG_EEES6_PlJNSB_9not_fun_tI7is_trueIdEEEEEE10hipError_tPvRmT3_T4_T5_T6_T7_T9_mT8_P12ihipStream_tbDpT10_ENKUlT_T0_E_clISt17integral_constantIbLb0EES1B_EEDaS16_S17_EUlS16_E_NS1_11comp_targetILNS1_3genE0ELNS1_11target_archE4294967295ELNS1_3gpuE0ELNS1_3repE0EEENS1_30default_config_static_selectorELNS0_4arch9wavefront6targetE0EEEvT1_.has_recursion, 0
	.set _ZN7rocprim17ROCPRIM_400000_NS6detail17trampoline_kernelINS0_14default_configENS1_25partition_config_selectorILNS1_17partition_subalgoE6EdNS0_10empty_typeEbEEZZNS1_14partition_implILS5_6ELb0ES3_mN6thrust23THRUST_200600_302600_NS6detail15normal_iteratorINSA_10device_ptrIdEEEEPS6_SG_NS0_5tupleIJNSA_16discard_iteratorINSA_11use_defaultEEES6_EEENSH_IJSG_SG_EEES6_PlJNSB_9not_fun_tI7is_trueIdEEEEEE10hipError_tPvRmT3_T4_T5_T6_T7_T9_mT8_P12ihipStream_tbDpT10_ENKUlT_T0_E_clISt17integral_constantIbLb0EES1B_EEDaS16_S17_EUlS16_E_NS1_11comp_targetILNS1_3genE0ELNS1_11target_archE4294967295ELNS1_3gpuE0ELNS1_3repE0EEENS1_30default_config_static_selectorELNS0_4arch9wavefront6targetE0EEEvT1_.has_indirect_call, 0
	.section	.AMDGPU.csdata,"",@progbits
; Kernel info:
; codeLenInByte = 0
; TotalNumSgprs: 0
; NumVgprs: 0
; ScratchSize: 0
; MemoryBound: 0
; FloatMode: 240
; IeeeMode: 1
; LDSByteSize: 0 bytes/workgroup (compile time only)
; SGPRBlocks: 0
; VGPRBlocks: 0
; NumSGPRsForWavesPerEU: 1
; NumVGPRsForWavesPerEU: 1
; Occupancy: 16
; WaveLimiterHint : 0
; COMPUTE_PGM_RSRC2:SCRATCH_EN: 0
; COMPUTE_PGM_RSRC2:USER_SGPR: 2
; COMPUTE_PGM_RSRC2:TRAP_HANDLER: 0
; COMPUTE_PGM_RSRC2:TGID_X_EN: 1
; COMPUTE_PGM_RSRC2:TGID_Y_EN: 0
; COMPUTE_PGM_RSRC2:TGID_Z_EN: 0
; COMPUTE_PGM_RSRC2:TIDIG_COMP_CNT: 0
	.section	.text._ZN7rocprim17ROCPRIM_400000_NS6detail17trampoline_kernelINS0_14default_configENS1_25partition_config_selectorILNS1_17partition_subalgoE6EdNS0_10empty_typeEbEEZZNS1_14partition_implILS5_6ELb0ES3_mN6thrust23THRUST_200600_302600_NS6detail15normal_iteratorINSA_10device_ptrIdEEEEPS6_SG_NS0_5tupleIJNSA_16discard_iteratorINSA_11use_defaultEEES6_EEENSH_IJSG_SG_EEES6_PlJNSB_9not_fun_tI7is_trueIdEEEEEE10hipError_tPvRmT3_T4_T5_T6_T7_T9_mT8_P12ihipStream_tbDpT10_ENKUlT_T0_E_clISt17integral_constantIbLb0EES1B_EEDaS16_S17_EUlS16_E_NS1_11comp_targetILNS1_3genE5ELNS1_11target_archE942ELNS1_3gpuE9ELNS1_3repE0EEENS1_30default_config_static_selectorELNS0_4arch9wavefront6targetE0EEEvT1_,"axG",@progbits,_ZN7rocprim17ROCPRIM_400000_NS6detail17trampoline_kernelINS0_14default_configENS1_25partition_config_selectorILNS1_17partition_subalgoE6EdNS0_10empty_typeEbEEZZNS1_14partition_implILS5_6ELb0ES3_mN6thrust23THRUST_200600_302600_NS6detail15normal_iteratorINSA_10device_ptrIdEEEEPS6_SG_NS0_5tupleIJNSA_16discard_iteratorINSA_11use_defaultEEES6_EEENSH_IJSG_SG_EEES6_PlJNSB_9not_fun_tI7is_trueIdEEEEEE10hipError_tPvRmT3_T4_T5_T6_T7_T9_mT8_P12ihipStream_tbDpT10_ENKUlT_T0_E_clISt17integral_constantIbLb0EES1B_EEDaS16_S17_EUlS16_E_NS1_11comp_targetILNS1_3genE5ELNS1_11target_archE942ELNS1_3gpuE9ELNS1_3repE0EEENS1_30default_config_static_selectorELNS0_4arch9wavefront6targetE0EEEvT1_,comdat
	.protected	_ZN7rocprim17ROCPRIM_400000_NS6detail17trampoline_kernelINS0_14default_configENS1_25partition_config_selectorILNS1_17partition_subalgoE6EdNS0_10empty_typeEbEEZZNS1_14partition_implILS5_6ELb0ES3_mN6thrust23THRUST_200600_302600_NS6detail15normal_iteratorINSA_10device_ptrIdEEEEPS6_SG_NS0_5tupleIJNSA_16discard_iteratorINSA_11use_defaultEEES6_EEENSH_IJSG_SG_EEES6_PlJNSB_9not_fun_tI7is_trueIdEEEEEE10hipError_tPvRmT3_T4_T5_T6_T7_T9_mT8_P12ihipStream_tbDpT10_ENKUlT_T0_E_clISt17integral_constantIbLb0EES1B_EEDaS16_S17_EUlS16_E_NS1_11comp_targetILNS1_3genE5ELNS1_11target_archE942ELNS1_3gpuE9ELNS1_3repE0EEENS1_30default_config_static_selectorELNS0_4arch9wavefront6targetE0EEEvT1_ ; -- Begin function _ZN7rocprim17ROCPRIM_400000_NS6detail17trampoline_kernelINS0_14default_configENS1_25partition_config_selectorILNS1_17partition_subalgoE6EdNS0_10empty_typeEbEEZZNS1_14partition_implILS5_6ELb0ES3_mN6thrust23THRUST_200600_302600_NS6detail15normal_iteratorINSA_10device_ptrIdEEEEPS6_SG_NS0_5tupleIJNSA_16discard_iteratorINSA_11use_defaultEEES6_EEENSH_IJSG_SG_EEES6_PlJNSB_9not_fun_tI7is_trueIdEEEEEE10hipError_tPvRmT3_T4_T5_T6_T7_T9_mT8_P12ihipStream_tbDpT10_ENKUlT_T0_E_clISt17integral_constantIbLb0EES1B_EEDaS16_S17_EUlS16_E_NS1_11comp_targetILNS1_3genE5ELNS1_11target_archE942ELNS1_3gpuE9ELNS1_3repE0EEENS1_30default_config_static_selectorELNS0_4arch9wavefront6targetE0EEEvT1_
	.globl	_ZN7rocprim17ROCPRIM_400000_NS6detail17trampoline_kernelINS0_14default_configENS1_25partition_config_selectorILNS1_17partition_subalgoE6EdNS0_10empty_typeEbEEZZNS1_14partition_implILS5_6ELb0ES3_mN6thrust23THRUST_200600_302600_NS6detail15normal_iteratorINSA_10device_ptrIdEEEEPS6_SG_NS0_5tupleIJNSA_16discard_iteratorINSA_11use_defaultEEES6_EEENSH_IJSG_SG_EEES6_PlJNSB_9not_fun_tI7is_trueIdEEEEEE10hipError_tPvRmT3_T4_T5_T6_T7_T9_mT8_P12ihipStream_tbDpT10_ENKUlT_T0_E_clISt17integral_constantIbLb0EES1B_EEDaS16_S17_EUlS16_E_NS1_11comp_targetILNS1_3genE5ELNS1_11target_archE942ELNS1_3gpuE9ELNS1_3repE0EEENS1_30default_config_static_selectorELNS0_4arch9wavefront6targetE0EEEvT1_
	.p2align	8
	.type	_ZN7rocprim17ROCPRIM_400000_NS6detail17trampoline_kernelINS0_14default_configENS1_25partition_config_selectorILNS1_17partition_subalgoE6EdNS0_10empty_typeEbEEZZNS1_14partition_implILS5_6ELb0ES3_mN6thrust23THRUST_200600_302600_NS6detail15normal_iteratorINSA_10device_ptrIdEEEEPS6_SG_NS0_5tupleIJNSA_16discard_iteratorINSA_11use_defaultEEES6_EEENSH_IJSG_SG_EEES6_PlJNSB_9not_fun_tI7is_trueIdEEEEEE10hipError_tPvRmT3_T4_T5_T6_T7_T9_mT8_P12ihipStream_tbDpT10_ENKUlT_T0_E_clISt17integral_constantIbLb0EES1B_EEDaS16_S17_EUlS16_E_NS1_11comp_targetILNS1_3genE5ELNS1_11target_archE942ELNS1_3gpuE9ELNS1_3repE0EEENS1_30default_config_static_selectorELNS0_4arch9wavefront6targetE0EEEvT1_,@function
_ZN7rocprim17ROCPRIM_400000_NS6detail17trampoline_kernelINS0_14default_configENS1_25partition_config_selectorILNS1_17partition_subalgoE6EdNS0_10empty_typeEbEEZZNS1_14partition_implILS5_6ELb0ES3_mN6thrust23THRUST_200600_302600_NS6detail15normal_iteratorINSA_10device_ptrIdEEEEPS6_SG_NS0_5tupleIJNSA_16discard_iteratorINSA_11use_defaultEEES6_EEENSH_IJSG_SG_EEES6_PlJNSB_9not_fun_tI7is_trueIdEEEEEE10hipError_tPvRmT3_T4_T5_T6_T7_T9_mT8_P12ihipStream_tbDpT10_ENKUlT_T0_E_clISt17integral_constantIbLb0EES1B_EEDaS16_S17_EUlS16_E_NS1_11comp_targetILNS1_3genE5ELNS1_11target_archE942ELNS1_3gpuE9ELNS1_3repE0EEENS1_30default_config_static_selectorELNS0_4arch9wavefront6targetE0EEEvT1_: ; @_ZN7rocprim17ROCPRIM_400000_NS6detail17trampoline_kernelINS0_14default_configENS1_25partition_config_selectorILNS1_17partition_subalgoE6EdNS0_10empty_typeEbEEZZNS1_14partition_implILS5_6ELb0ES3_mN6thrust23THRUST_200600_302600_NS6detail15normal_iteratorINSA_10device_ptrIdEEEEPS6_SG_NS0_5tupleIJNSA_16discard_iteratorINSA_11use_defaultEEES6_EEENSH_IJSG_SG_EEES6_PlJNSB_9not_fun_tI7is_trueIdEEEEEE10hipError_tPvRmT3_T4_T5_T6_T7_T9_mT8_P12ihipStream_tbDpT10_ENKUlT_T0_E_clISt17integral_constantIbLb0EES1B_EEDaS16_S17_EUlS16_E_NS1_11comp_targetILNS1_3genE5ELNS1_11target_archE942ELNS1_3gpuE9ELNS1_3repE0EEENS1_30default_config_static_selectorELNS0_4arch9wavefront6targetE0EEEvT1_
; %bb.0:
	.section	.rodata,"a",@progbits
	.p2align	6, 0x0
	.amdhsa_kernel _ZN7rocprim17ROCPRIM_400000_NS6detail17trampoline_kernelINS0_14default_configENS1_25partition_config_selectorILNS1_17partition_subalgoE6EdNS0_10empty_typeEbEEZZNS1_14partition_implILS5_6ELb0ES3_mN6thrust23THRUST_200600_302600_NS6detail15normal_iteratorINSA_10device_ptrIdEEEEPS6_SG_NS0_5tupleIJNSA_16discard_iteratorINSA_11use_defaultEEES6_EEENSH_IJSG_SG_EEES6_PlJNSB_9not_fun_tI7is_trueIdEEEEEE10hipError_tPvRmT3_T4_T5_T6_T7_T9_mT8_P12ihipStream_tbDpT10_ENKUlT_T0_E_clISt17integral_constantIbLb0EES1B_EEDaS16_S17_EUlS16_E_NS1_11comp_targetILNS1_3genE5ELNS1_11target_archE942ELNS1_3gpuE9ELNS1_3repE0EEENS1_30default_config_static_selectorELNS0_4arch9wavefront6targetE0EEEvT1_
		.amdhsa_group_segment_fixed_size 0
		.amdhsa_private_segment_fixed_size 0
		.amdhsa_kernarg_size 120
		.amdhsa_user_sgpr_count 2
		.amdhsa_user_sgpr_dispatch_ptr 0
		.amdhsa_user_sgpr_queue_ptr 0
		.amdhsa_user_sgpr_kernarg_segment_ptr 1
		.amdhsa_user_sgpr_dispatch_id 0
		.amdhsa_user_sgpr_private_segment_size 0
		.amdhsa_wavefront_size32 1
		.amdhsa_uses_dynamic_stack 0
		.amdhsa_enable_private_segment 0
		.amdhsa_system_sgpr_workgroup_id_x 1
		.amdhsa_system_sgpr_workgroup_id_y 0
		.amdhsa_system_sgpr_workgroup_id_z 0
		.amdhsa_system_sgpr_workgroup_info 0
		.amdhsa_system_vgpr_workitem_id 0
		.amdhsa_next_free_vgpr 1
		.amdhsa_next_free_sgpr 1
		.amdhsa_reserve_vcc 0
		.amdhsa_float_round_mode_32 0
		.amdhsa_float_round_mode_16_64 0
		.amdhsa_float_denorm_mode_32 3
		.amdhsa_float_denorm_mode_16_64 3
		.amdhsa_fp16_overflow 0
		.amdhsa_workgroup_processor_mode 1
		.amdhsa_memory_ordered 1
		.amdhsa_forward_progress 1
		.amdhsa_inst_pref_size 0
		.amdhsa_round_robin_scheduling 0
		.amdhsa_exception_fp_ieee_invalid_op 0
		.amdhsa_exception_fp_denorm_src 0
		.amdhsa_exception_fp_ieee_div_zero 0
		.amdhsa_exception_fp_ieee_overflow 0
		.amdhsa_exception_fp_ieee_underflow 0
		.amdhsa_exception_fp_ieee_inexact 0
		.amdhsa_exception_int_div_zero 0
	.end_amdhsa_kernel
	.section	.text._ZN7rocprim17ROCPRIM_400000_NS6detail17trampoline_kernelINS0_14default_configENS1_25partition_config_selectorILNS1_17partition_subalgoE6EdNS0_10empty_typeEbEEZZNS1_14partition_implILS5_6ELb0ES3_mN6thrust23THRUST_200600_302600_NS6detail15normal_iteratorINSA_10device_ptrIdEEEEPS6_SG_NS0_5tupleIJNSA_16discard_iteratorINSA_11use_defaultEEES6_EEENSH_IJSG_SG_EEES6_PlJNSB_9not_fun_tI7is_trueIdEEEEEE10hipError_tPvRmT3_T4_T5_T6_T7_T9_mT8_P12ihipStream_tbDpT10_ENKUlT_T0_E_clISt17integral_constantIbLb0EES1B_EEDaS16_S17_EUlS16_E_NS1_11comp_targetILNS1_3genE5ELNS1_11target_archE942ELNS1_3gpuE9ELNS1_3repE0EEENS1_30default_config_static_selectorELNS0_4arch9wavefront6targetE0EEEvT1_,"axG",@progbits,_ZN7rocprim17ROCPRIM_400000_NS6detail17trampoline_kernelINS0_14default_configENS1_25partition_config_selectorILNS1_17partition_subalgoE6EdNS0_10empty_typeEbEEZZNS1_14partition_implILS5_6ELb0ES3_mN6thrust23THRUST_200600_302600_NS6detail15normal_iteratorINSA_10device_ptrIdEEEEPS6_SG_NS0_5tupleIJNSA_16discard_iteratorINSA_11use_defaultEEES6_EEENSH_IJSG_SG_EEES6_PlJNSB_9not_fun_tI7is_trueIdEEEEEE10hipError_tPvRmT3_T4_T5_T6_T7_T9_mT8_P12ihipStream_tbDpT10_ENKUlT_T0_E_clISt17integral_constantIbLb0EES1B_EEDaS16_S17_EUlS16_E_NS1_11comp_targetILNS1_3genE5ELNS1_11target_archE942ELNS1_3gpuE9ELNS1_3repE0EEENS1_30default_config_static_selectorELNS0_4arch9wavefront6targetE0EEEvT1_,comdat
.Lfunc_end2078:
	.size	_ZN7rocprim17ROCPRIM_400000_NS6detail17trampoline_kernelINS0_14default_configENS1_25partition_config_selectorILNS1_17partition_subalgoE6EdNS0_10empty_typeEbEEZZNS1_14partition_implILS5_6ELb0ES3_mN6thrust23THRUST_200600_302600_NS6detail15normal_iteratorINSA_10device_ptrIdEEEEPS6_SG_NS0_5tupleIJNSA_16discard_iteratorINSA_11use_defaultEEES6_EEENSH_IJSG_SG_EEES6_PlJNSB_9not_fun_tI7is_trueIdEEEEEE10hipError_tPvRmT3_T4_T5_T6_T7_T9_mT8_P12ihipStream_tbDpT10_ENKUlT_T0_E_clISt17integral_constantIbLb0EES1B_EEDaS16_S17_EUlS16_E_NS1_11comp_targetILNS1_3genE5ELNS1_11target_archE942ELNS1_3gpuE9ELNS1_3repE0EEENS1_30default_config_static_selectorELNS0_4arch9wavefront6targetE0EEEvT1_, .Lfunc_end2078-_ZN7rocprim17ROCPRIM_400000_NS6detail17trampoline_kernelINS0_14default_configENS1_25partition_config_selectorILNS1_17partition_subalgoE6EdNS0_10empty_typeEbEEZZNS1_14partition_implILS5_6ELb0ES3_mN6thrust23THRUST_200600_302600_NS6detail15normal_iteratorINSA_10device_ptrIdEEEEPS6_SG_NS0_5tupleIJNSA_16discard_iteratorINSA_11use_defaultEEES6_EEENSH_IJSG_SG_EEES6_PlJNSB_9not_fun_tI7is_trueIdEEEEEE10hipError_tPvRmT3_T4_T5_T6_T7_T9_mT8_P12ihipStream_tbDpT10_ENKUlT_T0_E_clISt17integral_constantIbLb0EES1B_EEDaS16_S17_EUlS16_E_NS1_11comp_targetILNS1_3genE5ELNS1_11target_archE942ELNS1_3gpuE9ELNS1_3repE0EEENS1_30default_config_static_selectorELNS0_4arch9wavefront6targetE0EEEvT1_
                                        ; -- End function
	.set _ZN7rocprim17ROCPRIM_400000_NS6detail17trampoline_kernelINS0_14default_configENS1_25partition_config_selectorILNS1_17partition_subalgoE6EdNS0_10empty_typeEbEEZZNS1_14partition_implILS5_6ELb0ES3_mN6thrust23THRUST_200600_302600_NS6detail15normal_iteratorINSA_10device_ptrIdEEEEPS6_SG_NS0_5tupleIJNSA_16discard_iteratorINSA_11use_defaultEEES6_EEENSH_IJSG_SG_EEES6_PlJNSB_9not_fun_tI7is_trueIdEEEEEE10hipError_tPvRmT3_T4_T5_T6_T7_T9_mT8_P12ihipStream_tbDpT10_ENKUlT_T0_E_clISt17integral_constantIbLb0EES1B_EEDaS16_S17_EUlS16_E_NS1_11comp_targetILNS1_3genE5ELNS1_11target_archE942ELNS1_3gpuE9ELNS1_3repE0EEENS1_30default_config_static_selectorELNS0_4arch9wavefront6targetE0EEEvT1_.num_vgpr, 0
	.set _ZN7rocprim17ROCPRIM_400000_NS6detail17trampoline_kernelINS0_14default_configENS1_25partition_config_selectorILNS1_17partition_subalgoE6EdNS0_10empty_typeEbEEZZNS1_14partition_implILS5_6ELb0ES3_mN6thrust23THRUST_200600_302600_NS6detail15normal_iteratorINSA_10device_ptrIdEEEEPS6_SG_NS0_5tupleIJNSA_16discard_iteratorINSA_11use_defaultEEES6_EEENSH_IJSG_SG_EEES6_PlJNSB_9not_fun_tI7is_trueIdEEEEEE10hipError_tPvRmT3_T4_T5_T6_T7_T9_mT8_P12ihipStream_tbDpT10_ENKUlT_T0_E_clISt17integral_constantIbLb0EES1B_EEDaS16_S17_EUlS16_E_NS1_11comp_targetILNS1_3genE5ELNS1_11target_archE942ELNS1_3gpuE9ELNS1_3repE0EEENS1_30default_config_static_selectorELNS0_4arch9wavefront6targetE0EEEvT1_.num_agpr, 0
	.set _ZN7rocprim17ROCPRIM_400000_NS6detail17trampoline_kernelINS0_14default_configENS1_25partition_config_selectorILNS1_17partition_subalgoE6EdNS0_10empty_typeEbEEZZNS1_14partition_implILS5_6ELb0ES3_mN6thrust23THRUST_200600_302600_NS6detail15normal_iteratorINSA_10device_ptrIdEEEEPS6_SG_NS0_5tupleIJNSA_16discard_iteratorINSA_11use_defaultEEES6_EEENSH_IJSG_SG_EEES6_PlJNSB_9not_fun_tI7is_trueIdEEEEEE10hipError_tPvRmT3_T4_T5_T6_T7_T9_mT8_P12ihipStream_tbDpT10_ENKUlT_T0_E_clISt17integral_constantIbLb0EES1B_EEDaS16_S17_EUlS16_E_NS1_11comp_targetILNS1_3genE5ELNS1_11target_archE942ELNS1_3gpuE9ELNS1_3repE0EEENS1_30default_config_static_selectorELNS0_4arch9wavefront6targetE0EEEvT1_.numbered_sgpr, 0
	.set _ZN7rocprim17ROCPRIM_400000_NS6detail17trampoline_kernelINS0_14default_configENS1_25partition_config_selectorILNS1_17partition_subalgoE6EdNS0_10empty_typeEbEEZZNS1_14partition_implILS5_6ELb0ES3_mN6thrust23THRUST_200600_302600_NS6detail15normal_iteratorINSA_10device_ptrIdEEEEPS6_SG_NS0_5tupleIJNSA_16discard_iteratorINSA_11use_defaultEEES6_EEENSH_IJSG_SG_EEES6_PlJNSB_9not_fun_tI7is_trueIdEEEEEE10hipError_tPvRmT3_T4_T5_T6_T7_T9_mT8_P12ihipStream_tbDpT10_ENKUlT_T0_E_clISt17integral_constantIbLb0EES1B_EEDaS16_S17_EUlS16_E_NS1_11comp_targetILNS1_3genE5ELNS1_11target_archE942ELNS1_3gpuE9ELNS1_3repE0EEENS1_30default_config_static_selectorELNS0_4arch9wavefront6targetE0EEEvT1_.num_named_barrier, 0
	.set _ZN7rocprim17ROCPRIM_400000_NS6detail17trampoline_kernelINS0_14default_configENS1_25partition_config_selectorILNS1_17partition_subalgoE6EdNS0_10empty_typeEbEEZZNS1_14partition_implILS5_6ELb0ES3_mN6thrust23THRUST_200600_302600_NS6detail15normal_iteratorINSA_10device_ptrIdEEEEPS6_SG_NS0_5tupleIJNSA_16discard_iteratorINSA_11use_defaultEEES6_EEENSH_IJSG_SG_EEES6_PlJNSB_9not_fun_tI7is_trueIdEEEEEE10hipError_tPvRmT3_T4_T5_T6_T7_T9_mT8_P12ihipStream_tbDpT10_ENKUlT_T0_E_clISt17integral_constantIbLb0EES1B_EEDaS16_S17_EUlS16_E_NS1_11comp_targetILNS1_3genE5ELNS1_11target_archE942ELNS1_3gpuE9ELNS1_3repE0EEENS1_30default_config_static_selectorELNS0_4arch9wavefront6targetE0EEEvT1_.private_seg_size, 0
	.set _ZN7rocprim17ROCPRIM_400000_NS6detail17trampoline_kernelINS0_14default_configENS1_25partition_config_selectorILNS1_17partition_subalgoE6EdNS0_10empty_typeEbEEZZNS1_14partition_implILS5_6ELb0ES3_mN6thrust23THRUST_200600_302600_NS6detail15normal_iteratorINSA_10device_ptrIdEEEEPS6_SG_NS0_5tupleIJNSA_16discard_iteratorINSA_11use_defaultEEES6_EEENSH_IJSG_SG_EEES6_PlJNSB_9not_fun_tI7is_trueIdEEEEEE10hipError_tPvRmT3_T4_T5_T6_T7_T9_mT8_P12ihipStream_tbDpT10_ENKUlT_T0_E_clISt17integral_constantIbLb0EES1B_EEDaS16_S17_EUlS16_E_NS1_11comp_targetILNS1_3genE5ELNS1_11target_archE942ELNS1_3gpuE9ELNS1_3repE0EEENS1_30default_config_static_selectorELNS0_4arch9wavefront6targetE0EEEvT1_.uses_vcc, 0
	.set _ZN7rocprim17ROCPRIM_400000_NS6detail17trampoline_kernelINS0_14default_configENS1_25partition_config_selectorILNS1_17partition_subalgoE6EdNS0_10empty_typeEbEEZZNS1_14partition_implILS5_6ELb0ES3_mN6thrust23THRUST_200600_302600_NS6detail15normal_iteratorINSA_10device_ptrIdEEEEPS6_SG_NS0_5tupleIJNSA_16discard_iteratorINSA_11use_defaultEEES6_EEENSH_IJSG_SG_EEES6_PlJNSB_9not_fun_tI7is_trueIdEEEEEE10hipError_tPvRmT3_T4_T5_T6_T7_T9_mT8_P12ihipStream_tbDpT10_ENKUlT_T0_E_clISt17integral_constantIbLb0EES1B_EEDaS16_S17_EUlS16_E_NS1_11comp_targetILNS1_3genE5ELNS1_11target_archE942ELNS1_3gpuE9ELNS1_3repE0EEENS1_30default_config_static_selectorELNS0_4arch9wavefront6targetE0EEEvT1_.uses_flat_scratch, 0
	.set _ZN7rocprim17ROCPRIM_400000_NS6detail17trampoline_kernelINS0_14default_configENS1_25partition_config_selectorILNS1_17partition_subalgoE6EdNS0_10empty_typeEbEEZZNS1_14partition_implILS5_6ELb0ES3_mN6thrust23THRUST_200600_302600_NS6detail15normal_iteratorINSA_10device_ptrIdEEEEPS6_SG_NS0_5tupleIJNSA_16discard_iteratorINSA_11use_defaultEEES6_EEENSH_IJSG_SG_EEES6_PlJNSB_9not_fun_tI7is_trueIdEEEEEE10hipError_tPvRmT3_T4_T5_T6_T7_T9_mT8_P12ihipStream_tbDpT10_ENKUlT_T0_E_clISt17integral_constantIbLb0EES1B_EEDaS16_S17_EUlS16_E_NS1_11comp_targetILNS1_3genE5ELNS1_11target_archE942ELNS1_3gpuE9ELNS1_3repE0EEENS1_30default_config_static_selectorELNS0_4arch9wavefront6targetE0EEEvT1_.has_dyn_sized_stack, 0
	.set _ZN7rocprim17ROCPRIM_400000_NS6detail17trampoline_kernelINS0_14default_configENS1_25partition_config_selectorILNS1_17partition_subalgoE6EdNS0_10empty_typeEbEEZZNS1_14partition_implILS5_6ELb0ES3_mN6thrust23THRUST_200600_302600_NS6detail15normal_iteratorINSA_10device_ptrIdEEEEPS6_SG_NS0_5tupleIJNSA_16discard_iteratorINSA_11use_defaultEEES6_EEENSH_IJSG_SG_EEES6_PlJNSB_9not_fun_tI7is_trueIdEEEEEE10hipError_tPvRmT3_T4_T5_T6_T7_T9_mT8_P12ihipStream_tbDpT10_ENKUlT_T0_E_clISt17integral_constantIbLb0EES1B_EEDaS16_S17_EUlS16_E_NS1_11comp_targetILNS1_3genE5ELNS1_11target_archE942ELNS1_3gpuE9ELNS1_3repE0EEENS1_30default_config_static_selectorELNS0_4arch9wavefront6targetE0EEEvT1_.has_recursion, 0
	.set _ZN7rocprim17ROCPRIM_400000_NS6detail17trampoline_kernelINS0_14default_configENS1_25partition_config_selectorILNS1_17partition_subalgoE6EdNS0_10empty_typeEbEEZZNS1_14partition_implILS5_6ELb0ES3_mN6thrust23THRUST_200600_302600_NS6detail15normal_iteratorINSA_10device_ptrIdEEEEPS6_SG_NS0_5tupleIJNSA_16discard_iteratorINSA_11use_defaultEEES6_EEENSH_IJSG_SG_EEES6_PlJNSB_9not_fun_tI7is_trueIdEEEEEE10hipError_tPvRmT3_T4_T5_T6_T7_T9_mT8_P12ihipStream_tbDpT10_ENKUlT_T0_E_clISt17integral_constantIbLb0EES1B_EEDaS16_S17_EUlS16_E_NS1_11comp_targetILNS1_3genE5ELNS1_11target_archE942ELNS1_3gpuE9ELNS1_3repE0EEENS1_30default_config_static_selectorELNS0_4arch9wavefront6targetE0EEEvT1_.has_indirect_call, 0
	.section	.AMDGPU.csdata,"",@progbits
; Kernel info:
; codeLenInByte = 0
; TotalNumSgprs: 0
; NumVgprs: 0
; ScratchSize: 0
; MemoryBound: 0
; FloatMode: 240
; IeeeMode: 1
; LDSByteSize: 0 bytes/workgroup (compile time only)
; SGPRBlocks: 0
; VGPRBlocks: 0
; NumSGPRsForWavesPerEU: 1
; NumVGPRsForWavesPerEU: 1
; Occupancy: 16
; WaveLimiterHint : 0
; COMPUTE_PGM_RSRC2:SCRATCH_EN: 0
; COMPUTE_PGM_RSRC2:USER_SGPR: 2
; COMPUTE_PGM_RSRC2:TRAP_HANDLER: 0
; COMPUTE_PGM_RSRC2:TGID_X_EN: 1
; COMPUTE_PGM_RSRC2:TGID_Y_EN: 0
; COMPUTE_PGM_RSRC2:TGID_Z_EN: 0
; COMPUTE_PGM_RSRC2:TIDIG_COMP_CNT: 0
	.section	.text._ZN7rocprim17ROCPRIM_400000_NS6detail17trampoline_kernelINS0_14default_configENS1_25partition_config_selectorILNS1_17partition_subalgoE6EdNS0_10empty_typeEbEEZZNS1_14partition_implILS5_6ELb0ES3_mN6thrust23THRUST_200600_302600_NS6detail15normal_iteratorINSA_10device_ptrIdEEEEPS6_SG_NS0_5tupleIJNSA_16discard_iteratorINSA_11use_defaultEEES6_EEENSH_IJSG_SG_EEES6_PlJNSB_9not_fun_tI7is_trueIdEEEEEE10hipError_tPvRmT3_T4_T5_T6_T7_T9_mT8_P12ihipStream_tbDpT10_ENKUlT_T0_E_clISt17integral_constantIbLb0EES1B_EEDaS16_S17_EUlS16_E_NS1_11comp_targetILNS1_3genE4ELNS1_11target_archE910ELNS1_3gpuE8ELNS1_3repE0EEENS1_30default_config_static_selectorELNS0_4arch9wavefront6targetE0EEEvT1_,"axG",@progbits,_ZN7rocprim17ROCPRIM_400000_NS6detail17trampoline_kernelINS0_14default_configENS1_25partition_config_selectorILNS1_17partition_subalgoE6EdNS0_10empty_typeEbEEZZNS1_14partition_implILS5_6ELb0ES3_mN6thrust23THRUST_200600_302600_NS6detail15normal_iteratorINSA_10device_ptrIdEEEEPS6_SG_NS0_5tupleIJNSA_16discard_iteratorINSA_11use_defaultEEES6_EEENSH_IJSG_SG_EEES6_PlJNSB_9not_fun_tI7is_trueIdEEEEEE10hipError_tPvRmT3_T4_T5_T6_T7_T9_mT8_P12ihipStream_tbDpT10_ENKUlT_T0_E_clISt17integral_constantIbLb0EES1B_EEDaS16_S17_EUlS16_E_NS1_11comp_targetILNS1_3genE4ELNS1_11target_archE910ELNS1_3gpuE8ELNS1_3repE0EEENS1_30default_config_static_selectorELNS0_4arch9wavefront6targetE0EEEvT1_,comdat
	.protected	_ZN7rocprim17ROCPRIM_400000_NS6detail17trampoline_kernelINS0_14default_configENS1_25partition_config_selectorILNS1_17partition_subalgoE6EdNS0_10empty_typeEbEEZZNS1_14partition_implILS5_6ELb0ES3_mN6thrust23THRUST_200600_302600_NS6detail15normal_iteratorINSA_10device_ptrIdEEEEPS6_SG_NS0_5tupleIJNSA_16discard_iteratorINSA_11use_defaultEEES6_EEENSH_IJSG_SG_EEES6_PlJNSB_9not_fun_tI7is_trueIdEEEEEE10hipError_tPvRmT3_T4_T5_T6_T7_T9_mT8_P12ihipStream_tbDpT10_ENKUlT_T0_E_clISt17integral_constantIbLb0EES1B_EEDaS16_S17_EUlS16_E_NS1_11comp_targetILNS1_3genE4ELNS1_11target_archE910ELNS1_3gpuE8ELNS1_3repE0EEENS1_30default_config_static_selectorELNS0_4arch9wavefront6targetE0EEEvT1_ ; -- Begin function _ZN7rocprim17ROCPRIM_400000_NS6detail17trampoline_kernelINS0_14default_configENS1_25partition_config_selectorILNS1_17partition_subalgoE6EdNS0_10empty_typeEbEEZZNS1_14partition_implILS5_6ELb0ES3_mN6thrust23THRUST_200600_302600_NS6detail15normal_iteratorINSA_10device_ptrIdEEEEPS6_SG_NS0_5tupleIJNSA_16discard_iteratorINSA_11use_defaultEEES6_EEENSH_IJSG_SG_EEES6_PlJNSB_9not_fun_tI7is_trueIdEEEEEE10hipError_tPvRmT3_T4_T5_T6_T7_T9_mT8_P12ihipStream_tbDpT10_ENKUlT_T0_E_clISt17integral_constantIbLb0EES1B_EEDaS16_S17_EUlS16_E_NS1_11comp_targetILNS1_3genE4ELNS1_11target_archE910ELNS1_3gpuE8ELNS1_3repE0EEENS1_30default_config_static_selectorELNS0_4arch9wavefront6targetE0EEEvT1_
	.globl	_ZN7rocprim17ROCPRIM_400000_NS6detail17trampoline_kernelINS0_14default_configENS1_25partition_config_selectorILNS1_17partition_subalgoE6EdNS0_10empty_typeEbEEZZNS1_14partition_implILS5_6ELb0ES3_mN6thrust23THRUST_200600_302600_NS6detail15normal_iteratorINSA_10device_ptrIdEEEEPS6_SG_NS0_5tupleIJNSA_16discard_iteratorINSA_11use_defaultEEES6_EEENSH_IJSG_SG_EEES6_PlJNSB_9not_fun_tI7is_trueIdEEEEEE10hipError_tPvRmT3_T4_T5_T6_T7_T9_mT8_P12ihipStream_tbDpT10_ENKUlT_T0_E_clISt17integral_constantIbLb0EES1B_EEDaS16_S17_EUlS16_E_NS1_11comp_targetILNS1_3genE4ELNS1_11target_archE910ELNS1_3gpuE8ELNS1_3repE0EEENS1_30default_config_static_selectorELNS0_4arch9wavefront6targetE0EEEvT1_
	.p2align	8
	.type	_ZN7rocprim17ROCPRIM_400000_NS6detail17trampoline_kernelINS0_14default_configENS1_25partition_config_selectorILNS1_17partition_subalgoE6EdNS0_10empty_typeEbEEZZNS1_14partition_implILS5_6ELb0ES3_mN6thrust23THRUST_200600_302600_NS6detail15normal_iteratorINSA_10device_ptrIdEEEEPS6_SG_NS0_5tupleIJNSA_16discard_iteratorINSA_11use_defaultEEES6_EEENSH_IJSG_SG_EEES6_PlJNSB_9not_fun_tI7is_trueIdEEEEEE10hipError_tPvRmT3_T4_T5_T6_T7_T9_mT8_P12ihipStream_tbDpT10_ENKUlT_T0_E_clISt17integral_constantIbLb0EES1B_EEDaS16_S17_EUlS16_E_NS1_11comp_targetILNS1_3genE4ELNS1_11target_archE910ELNS1_3gpuE8ELNS1_3repE0EEENS1_30default_config_static_selectorELNS0_4arch9wavefront6targetE0EEEvT1_,@function
_ZN7rocprim17ROCPRIM_400000_NS6detail17trampoline_kernelINS0_14default_configENS1_25partition_config_selectorILNS1_17partition_subalgoE6EdNS0_10empty_typeEbEEZZNS1_14partition_implILS5_6ELb0ES3_mN6thrust23THRUST_200600_302600_NS6detail15normal_iteratorINSA_10device_ptrIdEEEEPS6_SG_NS0_5tupleIJNSA_16discard_iteratorINSA_11use_defaultEEES6_EEENSH_IJSG_SG_EEES6_PlJNSB_9not_fun_tI7is_trueIdEEEEEE10hipError_tPvRmT3_T4_T5_T6_T7_T9_mT8_P12ihipStream_tbDpT10_ENKUlT_T0_E_clISt17integral_constantIbLb0EES1B_EEDaS16_S17_EUlS16_E_NS1_11comp_targetILNS1_3genE4ELNS1_11target_archE910ELNS1_3gpuE8ELNS1_3repE0EEENS1_30default_config_static_selectorELNS0_4arch9wavefront6targetE0EEEvT1_: ; @_ZN7rocprim17ROCPRIM_400000_NS6detail17trampoline_kernelINS0_14default_configENS1_25partition_config_selectorILNS1_17partition_subalgoE6EdNS0_10empty_typeEbEEZZNS1_14partition_implILS5_6ELb0ES3_mN6thrust23THRUST_200600_302600_NS6detail15normal_iteratorINSA_10device_ptrIdEEEEPS6_SG_NS0_5tupleIJNSA_16discard_iteratorINSA_11use_defaultEEES6_EEENSH_IJSG_SG_EEES6_PlJNSB_9not_fun_tI7is_trueIdEEEEEE10hipError_tPvRmT3_T4_T5_T6_T7_T9_mT8_P12ihipStream_tbDpT10_ENKUlT_T0_E_clISt17integral_constantIbLb0EES1B_EEDaS16_S17_EUlS16_E_NS1_11comp_targetILNS1_3genE4ELNS1_11target_archE910ELNS1_3gpuE8ELNS1_3repE0EEENS1_30default_config_static_selectorELNS0_4arch9wavefront6targetE0EEEvT1_
; %bb.0:
	.section	.rodata,"a",@progbits
	.p2align	6, 0x0
	.amdhsa_kernel _ZN7rocprim17ROCPRIM_400000_NS6detail17trampoline_kernelINS0_14default_configENS1_25partition_config_selectorILNS1_17partition_subalgoE6EdNS0_10empty_typeEbEEZZNS1_14partition_implILS5_6ELb0ES3_mN6thrust23THRUST_200600_302600_NS6detail15normal_iteratorINSA_10device_ptrIdEEEEPS6_SG_NS0_5tupleIJNSA_16discard_iteratorINSA_11use_defaultEEES6_EEENSH_IJSG_SG_EEES6_PlJNSB_9not_fun_tI7is_trueIdEEEEEE10hipError_tPvRmT3_T4_T5_T6_T7_T9_mT8_P12ihipStream_tbDpT10_ENKUlT_T0_E_clISt17integral_constantIbLb0EES1B_EEDaS16_S17_EUlS16_E_NS1_11comp_targetILNS1_3genE4ELNS1_11target_archE910ELNS1_3gpuE8ELNS1_3repE0EEENS1_30default_config_static_selectorELNS0_4arch9wavefront6targetE0EEEvT1_
		.amdhsa_group_segment_fixed_size 0
		.amdhsa_private_segment_fixed_size 0
		.amdhsa_kernarg_size 120
		.amdhsa_user_sgpr_count 2
		.amdhsa_user_sgpr_dispatch_ptr 0
		.amdhsa_user_sgpr_queue_ptr 0
		.amdhsa_user_sgpr_kernarg_segment_ptr 1
		.amdhsa_user_sgpr_dispatch_id 0
		.amdhsa_user_sgpr_private_segment_size 0
		.amdhsa_wavefront_size32 1
		.amdhsa_uses_dynamic_stack 0
		.amdhsa_enable_private_segment 0
		.amdhsa_system_sgpr_workgroup_id_x 1
		.amdhsa_system_sgpr_workgroup_id_y 0
		.amdhsa_system_sgpr_workgroup_id_z 0
		.amdhsa_system_sgpr_workgroup_info 0
		.amdhsa_system_vgpr_workitem_id 0
		.amdhsa_next_free_vgpr 1
		.amdhsa_next_free_sgpr 1
		.amdhsa_reserve_vcc 0
		.amdhsa_float_round_mode_32 0
		.amdhsa_float_round_mode_16_64 0
		.amdhsa_float_denorm_mode_32 3
		.amdhsa_float_denorm_mode_16_64 3
		.amdhsa_fp16_overflow 0
		.amdhsa_workgroup_processor_mode 1
		.amdhsa_memory_ordered 1
		.amdhsa_forward_progress 1
		.amdhsa_inst_pref_size 0
		.amdhsa_round_robin_scheduling 0
		.amdhsa_exception_fp_ieee_invalid_op 0
		.amdhsa_exception_fp_denorm_src 0
		.amdhsa_exception_fp_ieee_div_zero 0
		.amdhsa_exception_fp_ieee_overflow 0
		.amdhsa_exception_fp_ieee_underflow 0
		.amdhsa_exception_fp_ieee_inexact 0
		.amdhsa_exception_int_div_zero 0
	.end_amdhsa_kernel
	.section	.text._ZN7rocprim17ROCPRIM_400000_NS6detail17trampoline_kernelINS0_14default_configENS1_25partition_config_selectorILNS1_17partition_subalgoE6EdNS0_10empty_typeEbEEZZNS1_14partition_implILS5_6ELb0ES3_mN6thrust23THRUST_200600_302600_NS6detail15normal_iteratorINSA_10device_ptrIdEEEEPS6_SG_NS0_5tupleIJNSA_16discard_iteratorINSA_11use_defaultEEES6_EEENSH_IJSG_SG_EEES6_PlJNSB_9not_fun_tI7is_trueIdEEEEEE10hipError_tPvRmT3_T4_T5_T6_T7_T9_mT8_P12ihipStream_tbDpT10_ENKUlT_T0_E_clISt17integral_constantIbLb0EES1B_EEDaS16_S17_EUlS16_E_NS1_11comp_targetILNS1_3genE4ELNS1_11target_archE910ELNS1_3gpuE8ELNS1_3repE0EEENS1_30default_config_static_selectorELNS0_4arch9wavefront6targetE0EEEvT1_,"axG",@progbits,_ZN7rocprim17ROCPRIM_400000_NS6detail17trampoline_kernelINS0_14default_configENS1_25partition_config_selectorILNS1_17partition_subalgoE6EdNS0_10empty_typeEbEEZZNS1_14partition_implILS5_6ELb0ES3_mN6thrust23THRUST_200600_302600_NS6detail15normal_iteratorINSA_10device_ptrIdEEEEPS6_SG_NS0_5tupleIJNSA_16discard_iteratorINSA_11use_defaultEEES6_EEENSH_IJSG_SG_EEES6_PlJNSB_9not_fun_tI7is_trueIdEEEEEE10hipError_tPvRmT3_T4_T5_T6_T7_T9_mT8_P12ihipStream_tbDpT10_ENKUlT_T0_E_clISt17integral_constantIbLb0EES1B_EEDaS16_S17_EUlS16_E_NS1_11comp_targetILNS1_3genE4ELNS1_11target_archE910ELNS1_3gpuE8ELNS1_3repE0EEENS1_30default_config_static_selectorELNS0_4arch9wavefront6targetE0EEEvT1_,comdat
.Lfunc_end2079:
	.size	_ZN7rocprim17ROCPRIM_400000_NS6detail17trampoline_kernelINS0_14default_configENS1_25partition_config_selectorILNS1_17partition_subalgoE6EdNS0_10empty_typeEbEEZZNS1_14partition_implILS5_6ELb0ES3_mN6thrust23THRUST_200600_302600_NS6detail15normal_iteratorINSA_10device_ptrIdEEEEPS6_SG_NS0_5tupleIJNSA_16discard_iteratorINSA_11use_defaultEEES6_EEENSH_IJSG_SG_EEES6_PlJNSB_9not_fun_tI7is_trueIdEEEEEE10hipError_tPvRmT3_T4_T5_T6_T7_T9_mT8_P12ihipStream_tbDpT10_ENKUlT_T0_E_clISt17integral_constantIbLb0EES1B_EEDaS16_S17_EUlS16_E_NS1_11comp_targetILNS1_3genE4ELNS1_11target_archE910ELNS1_3gpuE8ELNS1_3repE0EEENS1_30default_config_static_selectorELNS0_4arch9wavefront6targetE0EEEvT1_, .Lfunc_end2079-_ZN7rocprim17ROCPRIM_400000_NS6detail17trampoline_kernelINS0_14default_configENS1_25partition_config_selectorILNS1_17partition_subalgoE6EdNS0_10empty_typeEbEEZZNS1_14partition_implILS5_6ELb0ES3_mN6thrust23THRUST_200600_302600_NS6detail15normal_iteratorINSA_10device_ptrIdEEEEPS6_SG_NS0_5tupleIJNSA_16discard_iteratorINSA_11use_defaultEEES6_EEENSH_IJSG_SG_EEES6_PlJNSB_9not_fun_tI7is_trueIdEEEEEE10hipError_tPvRmT3_T4_T5_T6_T7_T9_mT8_P12ihipStream_tbDpT10_ENKUlT_T0_E_clISt17integral_constantIbLb0EES1B_EEDaS16_S17_EUlS16_E_NS1_11comp_targetILNS1_3genE4ELNS1_11target_archE910ELNS1_3gpuE8ELNS1_3repE0EEENS1_30default_config_static_selectorELNS0_4arch9wavefront6targetE0EEEvT1_
                                        ; -- End function
	.set _ZN7rocprim17ROCPRIM_400000_NS6detail17trampoline_kernelINS0_14default_configENS1_25partition_config_selectorILNS1_17partition_subalgoE6EdNS0_10empty_typeEbEEZZNS1_14partition_implILS5_6ELb0ES3_mN6thrust23THRUST_200600_302600_NS6detail15normal_iteratorINSA_10device_ptrIdEEEEPS6_SG_NS0_5tupleIJNSA_16discard_iteratorINSA_11use_defaultEEES6_EEENSH_IJSG_SG_EEES6_PlJNSB_9not_fun_tI7is_trueIdEEEEEE10hipError_tPvRmT3_T4_T5_T6_T7_T9_mT8_P12ihipStream_tbDpT10_ENKUlT_T0_E_clISt17integral_constantIbLb0EES1B_EEDaS16_S17_EUlS16_E_NS1_11comp_targetILNS1_3genE4ELNS1_11target_archE910ELNS1_3gpuE8ELNS1_3repE0EEENS1_30default_config_static_selectorELNS0_4arch9wavefront6targetE0EEEvT1_.num_vgpr, 0
	.set _ZN7rocprim17ROCPRIM_400000_NS6detail17trampoline_kernelINS0_14default_configENS1_25partition_config_selectorILNS1_17partition_subalgoE6EdNS0_10empty_typeEbEEZZNS1_14partition_implILS5_6ELb0ES3_mN6thrust23THRUST_200600_302600_NS6detail15normal_iteratorINSA_10device_ptrIdEEEEPS6_SG_NS0_5tupleIJNSA_16discard_iteratorINSA_11use_defaultEEES6_EEENSH_IJSG_SG_EEES6_PlJNSB_9not_fun_tI7is_trueIdEEEEEE10hipError_tPvRmT3_T4_T5_T6_T7_T9_mT8_P12ihipStream_tbDpT10_ENKUlT_T0_E_clISt17integral_constantIbLb0EES1B_EEDaS16_S17_EUlS16_E_NS1_11comp_targetILNS1_3genE4ELNS1_11target_archE910ELNS1_3gpuE8ELNS1_3repE0EEENS1_30default_config_static_selectorELNS0_4arch9wavefront6targetE0EEEvT1_.num_agpr, 0
	.set _ZN7rocprim17ROCPRIM_400000_NS6detail17trampoline_kernelINS0_14default_configENS1_25partition_config_selectorILNS1_17partition_subalgoE6EdNS0_10empty_typeEbEEZZNS1_14partition_implILS5_6ELb0ES3_mN6thrust23THRUST_200600_302600_NS6detail15normal_iteratorINSA_10device_ptrIdEEEEPS6_SG_NS0_5tupleIJNSA_16discard_iteratorINSA_11use_defaultEEES6_EEENSH_IJSG_SG_EEES6_PlJNSB_9not_fun_tI7is_trueIdEEEEEE10hipError_tPvRmT3_T4_T5_T6_T7_T9_mT8_P12ihipStream_tbDpT10_ENKUlT_T0_E_clISt17integral_constantIbLb0EES1B_EEDaS16_S17_EUlS16_E_NS1_11comp_targetILNS1_3genE4ELNS1_11target_archE910ELNS1_3gpuE8ELNS1_3repE0EEENS1_30default_config_static_selectorELNS0_4arch9wavefront6targetE0EEEvT1_.numbered_sgpr, 0
	.set _ZN7rocprim17ROCPRIM_400000_NS6detail17trampoline_kernelINS0_14default_configENS1_25partition_config_selectorILNS1_17partition_subalgoE6EdNS0_10empty_typeEbEEZZNS1_14partition_implILS5_6ELb0ES3_mN6thrust23THRUST_200600_302600_NS6detail15normal_iteratorINSA_10device_ptrIdEEEEPS6_SG_NS0_5tupleIJNSA_16discard_iteratorINSA_11use_defaultEEES6_EEENSH_IJSG_SG_EEES6_PlJNSB_9not_fun_tI7is_trueIdEEEEEE10hipError_tPvRmT3_T4_T5_T6_T7_T9_mT8_P12ihipStream_tbDpT10_ENKUlT_T0_E_clISt17integral_constantIbLb0EES1B_EEDaS16_S17_EUlS16_E_NS1_11comp_targetILNS1_3genE4ELNS1_11target_archE910ELNS1_3gpuE8ELNS1_3repE0EEENS1_30default_config_static_selectorELNS0_4arch9wavefront6targetE0EEEvT1_.num_named_barrier, 0
	.set _ZN7rocprim17ROCPRIM_400000_NS6detail17trampoline_kernelINS0_14default_configENS1_25partition_config_selectorILNS1_17partition_subalgoE6EdNS0_10empty_typeEbEEZZNS1_14partition_implILS5_6ELb0ES3_mN6thrust23THRUST_200600_302600_NS6detail15normal_iteratorINSA_10device_ptrIdEEEEPS6_SG_NS0_5tupleIJNSA_16discard_iteratorINSA_11use_defaultEEES6_EEENSH_IJSG_SG_EEES6_PlJNSB_9not_fun_tI7is_trueIdEEEEEE10hipError_tPvRmT3_T4_T5_T6_T7_T9_mT8_P12ihipStream_tbDpT10_ENKUlT_T0_E_clISt17integral_constantIbLb0EES1B_EEDaS16_S17_EUlS16_E_NS1_11comp_targetILNS1_3genE4ELNS1_11target_archE910ELNS1_3gpuE8ELNS1_3repE0EEENS1_30default_config_static_selectorELNS0_4arch9wavefront6targetE0EEEvT1_.private_seg_size, 0
	.set _ZN7rocprim17ROCPRIM_400000_NS6detail17trampoline_kernelINS0_14default_configENS1_25partition_config_selectorILNS1_17partition_subalgoE6EdNS0_10empty_typeEbEEZZNS1_14partition_implILS5_6ELb0ES3_mN6thrust23THRUST_200600_302600_NS6detail15normal_iteratorINSA_10device_ptrIdEEEEPS6_SG_NS0_5tupleIJNSA_16discard_iteratorINSA_11use_defaultEEES6_EEENSH_IJSG_SG_EEES6_PlJNSB_9not_fun_tI7is_trueIdEEEEEE10hipError_tPvRmT3_T4_T5_T6_T7_T9_mT8_P12ihipStream_tbDpT10_ENKUlT_T0_E_clISt17integral_constantIbLb0EES1B_EEDaS16_S17_EUlS16_E_NS1_11comp_targetILNS1_3genE4ELNS1_11target_archE910ELNS1_3gpuE8ELNS1_3repE0EEENS1_30default_config_static_selectorELNS0_4arch9wavefront6targetE0EEEvT1_.uses_vcc, 0
	.set _ZN7rocprim17ROCPRIM_400000_NS6detail17trampoline_kernelINS0_14default_configENS1_25partition_config_selectorILNS1_17partition_subalgoE6EdNS0_10empty_typeEbEEZZNS1_14partition_implILS5_6ELb0ES3_mN6thrust23THRUST_200600_302600_NS6detail15normal_iteratorINSA_10device_ptrIdEEEEPS6_SG_NS0_5tupleIJNSA_16discard_iteratorINSA_11use_defaultEEES6_EEENSH_IJSG_SG_EEES6_PlJNSB_9not_fun_tI7is_trueIdEEEEEE10hipError_tPvRmT3_T4_T5_T6_T7_T9_mT8_P12ihipStream_tbDpT10_ENKUlT_T0_E_clISt17integral_constantIbLb0EES1B_EEDaS16_S17_EUlS16_E_NS1_11comp_targetILNS1_3genE4ELNS1_11target_archE910ELNS1_3gpuE8ELNS1_3repE0EEENS1_30default_config_static_selectorELNS0_4arch9wavefront6targetE0EEEvT1_.uses_flat_scratch, 0
	.set _ZN7rocprim17ROCPRIM_400000_NS6detail17trampoline_kernelINS0_14default_configENS1_25partition_config_selectorILNS1_17partition_subalgoE6EdNS0_10empty_typeEbEEZZNS1_14partition_implILS5_6ELb0ES3_mN6thrust23THRUST_200600_302600_NS6detail15normal_iteratorINSA_10device_ptrIdEEEEPS6_SG_NS0_5tupleIJNSA_16discard_iteratorINSA_11use_defaultEEES6_EEENSH_IJSG_SG_EEES6_PlJNSB_9not_fun_tI7is_trueIdEEEEEE10hipError_tPvRmT3_T4_T5_T6_T7_T9_mT8_P12ihipStream_tbDpT10_ENKUlT_T0_E_clISt17integral_constantIbLb0EES1B_EEDaS16_S17_EUlS16_E_NS1_11comp_targetILNS1_3genE4ELNS1_11target_archE910ELNS1_3gpuE8ELNS1_3repE0EEENS1_30default_config_static_selectorELNS0_4arch9wavefront6targetE0EEEvT1_.has_dyn_sized_stack, 0
	.set _ZN7rocprim17ROCPRIM_400000_NS6detail17trampoline_kernelINS0_14default_configENS1_25partition_config_selectorILNS1_17partition_subalgoE6EdNS0_10empty_typeEbEEZZNS1_14partition_implILS5_6ELb0ES3_mN6thrust23THRUST_200600_302600_NS6detail15normal_iteratorINSA_10device_ptrIdEEEEPS6_SG_NS0_5tupleIJNSA_16discard_iteratorINSA_11use_defaultEEES6_EEENSH_IJSG_SG_EEES6_PlJNSB_9not_fun_tI7is_trueIdEEEEEE10hipError_tPvRmT3_T4_T5_T6_T7_T9_mT8_P12ihipStream_tbDpT10_ENKUlT_T0_E_clISt17integral_constantIbLb0EES1B_EEDaS16_S17_EUlS16_E_NS1_11comp_targetILNS1_3genE4ELNS1_11target_archE910ELNS1_3gpuE8ELNS1_3repE0EEENS1_30default_config_static_selectorELNS0_4arch9wavefront6targetE0EEEvT1_.has_recursion, 0
	.set _ZN7rocprim17ROCPRIM_400000_NS6detail17trampoline_kernelINS0_14default_configENS1_25partition_config_selectorILNS1_17partition_subalgoE6EdNS0_10empty_typeEbEEZZNS1_14partition_implILS5_6ELb0ES3_mN6thrust23THRUST_200600_302600_NS6detail15normal_iteratorINSA_10device_ptrIdEEEEPS6_SG_NS0_5tupleIJNSA_16discard_iteratorINSA_11use_defaultEEES6_EEENSH_IJSG_SG_EEES6_PlJNSB_9not_fun_tI7is_trueIdEEEEEE10hipError_tPvRmT3_T4_T5_T6_T7_T9_mT8_P12ihipStream_tbDpT10_ENKUlT_T0_E_clISt17integral_constantIbLb0EES1B_EEDaS16_S17_EUlS16_E_NS1_11comp_targetILNS1_3genE4ELNS1_11target_archE910ELNS1_3gpuE8ELNS1_3repE0EEENS1_30default_config_static_selectorELNS0_4arch9wavefront6targetE0EEEvT1_.has_indirect_call, 0
	.section	.AMDGPU.csdata,"",@progbits
; Kernel info:
; codeLenInByte = 0
; TotalNumSgprs: 0
; NumVgprs: 0
; ScratchSize: 0
; MemoryBound: 0
; FloatMode: 240
; IeeeMode: 1
; LDSByteSize: 0 bytes/workgroup (compile time only)
; SGPRBlocks: 0
; VGPRBlocks: 0
; NumSGPRsForWavesPerEU: 1
; NumVGPRsForWavesPerEU: 1
; Occupancy: 16
; WaveLimiterHint : 0
; COMPUTE_PGM_RSRC2:SCRATCH_EN: 0
; COMPUTE_PGM_RSRC2:USER_SGPR: 2
; COMPUTE_PGM_RSRC2:TRAP_HANDLER: 0
; COMPUTE_PGM_RSRC2:TGID_X_EN: 1
; COMPUTE_PGM_RSRC2:TGID_Y_EN: 0
; COMPUTE_PGM_RSRC2:TGID_Z_EN: 0
; COMPUTE_PGM_RSRC2:TIDIG_COMP_CNT: 0
	.section	.text._ZN7rocprim17ROCPRIM_400000_NS6detail17trampoline_kernelINS0_14default_configENS1_25partition_config_selectorILNS1_17partition_subalgoE6EdNS0_10empty_typeEbEEZZNS1_14partition_implILS5_6ELb0ES3_mN6thrust23THRUST_200600_302600_NS6detail15normal_iteratorINSA_10device_ptrIdEEEEPS6_SG_NS0_5tupleIJNSA_16discard_iteratorINSA_11use_defaultEEES6_EEENSH_IJSG_SG_EEES6_PlJNSB_9not_fun_tI7is_trueIdEEEEEE10hipError_tPvRmT3_T4_T5_T6_T7_T9_mT8_P12ihipStream_tbDpT10_ENKUlT_T0_E_clISt17integral_constantIbLb0EES1B_EEDaS16_S17_EUlS16_E_NS1_11comp_targetILNS1_3genE3ELNS1_11target_archE908ELNS1_3gpuE7ELNS1_3repE0EEENS1_30default_config_static_selectorELNS0_4arch9wavefront6targetE0EEEvT1_,"axG",@progbits,_ZN7rocprim17ROCPRIM_400000_NS6detail17trampoline_kernelINS0_14default_configENS1_25partition_config_selectorILNS1_17partition_subalgoE6EdNS0_10empty_typeEbEEZZNS1_14partition_implILS5_6ELb0ES3_mN6thrust23THRUST_200600_302600_NS6detail15normal_iteratorINSA_10device_ptrIdEEEEPS6_SG_NS0_5tupleIJNSA_16discard_iteratorINSA_11use_defaultEEES6_EEENSH_IJSG_SG_EEES6_PlJNSB_9not_fun_tI7is_trueIdEEEEEE10hipError_tPvRmT3_T4_T5_T6_T7_T9_mT8_P12ihipStream_tbDpT10_ENKUlT_T0_E_clISt17integral_constantIbLb0EES1B_EEDaS16_S17_EUlS16_E_NS1_11comp_targetILNS1_3genE3ELNS1_11target_archE908ELNS1_3gpuE7ELNS1_3repE0EEENS1_30default_config_static_selectorELNS0_4arch9wavefront6targetE0EEEvT1_,comdat
	.protected	_ZN7rocprim17ROCPRIM_400000_NS6detail17trampoline_kernelINS0_14default_configENS1_25partition_config_selectorILNS1_17partition_subalgoE6EdNS0_10empty_typeEbEEZZNS1_14partition_implILS5_6ELb0ES3_mN6thrust23THRUST_200600_302600_NS6detail15normal_iteratorINSA_10device_ptrIdEEEEPS6_SG_NS0_5tupleIJNSA_16discard_iteratorINSA_11use_defaultEEES6_EEENSH_IJSG_SG_EEES6_PlJNSB_9not_fun_tI7is_trueIdEEEEEE10hipError_tPvRmT3_T4_T5_T6_T7_T9_mT8_P12ihipStream_tbDpT10_ENKUlT_T0_E_clISt17integral_constantIbLb0EES1B_EEDaS16_S17_EUlS16_E_NS1_11comp_targetILNS1_3genE3ELNS1_11target_archE908ELNS1_3gpuE7ELNS1_3repE0EEENS1_30default_config_static_selectorELNS0_4arch9wavefront6targetE0EEEvT1_ ; -- Begin function _ZN7rocprim17ROCPRIM_400000_NS6detail17trampoline_kernelINS0_14default_configENS1_25partition_config_selectorILNS1_17partition_subalgoE6EdNS0_10empty_typeEbEEZZNS1_14partition_implILS5_6ELb0ES3_mN6thrust23THRUST_200600_302600_NS6detail15normal_iteratorINSA_10device_ptrIdEEEEPS6_SG_NS0_5tupleIJNSA_16discard_iteratorINSA_11use_defaultEEES6_EEENSH_IJSG_SG_EEES6_PlJNSB_9not_fun_tI7is_trueIdEEEEEE10hipError_tPvRmT3_T4_T5_T6_T7_T9_mT8_P12ihipStream_tbDpT10_ENKUlT_T0_E_clISt17integral_constantIbLb0EES1B_EEDaS16_S17_EUlS16_E_NS1_11comp_targetILNS1_3genE3ELNS1_11target_archE908ELNS1_3gpuE7ELNS1_3repE0EEENS1_30default_config_static_selectorELNS0_4arch9wavefront6targetE0EEEvT1_
	.globl	_ZN7rocprim17ROCPRIM_400000_NS6detail17trampoline_kernelINS0_14default_configENS1_25partition_config_selectorILNS1_17partition_subalgoE6EdNS0_10empty_typeEbEEZZNS1_14partition_implILS5_6ELb0ES3_mN6thrust23THRUST_200600_302600_NS6detail15normal_iteratorINSA_10device_ptrIdEEEEPS6_SG_NS0_5tupleIJNSA_16discard_iteratorINSA_11use_defaultEEES6_EEENSH_IJSG_SG_EEES6_PlJNSB_9not_fun_tI7is_trueIdEEEEEE10hipError_tPvRmT3_T4_T5_T6_T7_T9_mT8_P12ihipStream_tbDpT10_ENKUlT_T0_E_clISt17integral_constantIbLb0EES1B_EEDaS16_S17_EUlS16_E_NS1_11comp_targetILNS1_3genE3ELNS1_11target_archE908ELNS1_3gpuE7ELNS1_3repE0EEENS1_30default_config_static_selectorELNS0_4arch9wavefront6targetE0EEEvT1_
	.p2align	8
	.type	_ZN7rocprim17ROCPRIM_400000_NS6detail17trampoline_kernelINS0_14default_configENS1_25partition_config_selectorILNS1_17partition_subalgoE6EdNS0_10empty_typeEbEEZZNS1_14partition_implILS5_6ELb0ES3_mN6thrust23THRUST_200600_302600_NS6detail15normal_iteratorINSA_10device_ptrIdEEEEPS6_SG_NS0_5tupleIJNSA_16discard_iteratorINSA_11use_defaultEEES6_EEENSH_IJSG_SG_EEES6_PlJNSB_9not_fun_tI7is_trueIdEEEEEE10hipError_tPvRmT3_T4_T5_T6_T7_T9_mT8_P12ihipStream_tbDpT10_ENKUlT_T0_E_clISt17integral_constantIbLb0EES1B_EEDaS16_S17_EUlS16_E_NS1_11comp_targetILNS1_3genE3ELNS1_11target_archE908ELNS1_3gpuE7ELNS1_3repE0EEENS1_30default_config_static_selectorELNS0_4arch9wavefront6targetE0EEEvT1_,@function
_ZN7rocprim17ROCPRIM_400000_NS6detail17trampoline_kernelINS0_14default_configENS1_25partition_config_selectorILNS1_17partition_subalgoE6EdNS0_10empty_typeEbEEZZNS1_14partition_implILS5_6ELb0ES3_mN6thrust23THRUST_200600_302600_NS6detail15normal_iteratorINSA_10device_ptrIdEEEEPS6_SG_NS0_5tupleIJNSA_16discard_iteratorINSA_11use_defaultEEES6_EEENSH_IJSG_SG_EEES6_PlJNSB_9not_fun_tI7is_trueIdEEEEEE10hipError_tPvRmT3_T4_T5_T6_T7_T9_mT8_P12ihipStream_tbDpT10_ENKUlT_T0_E_clISt17integral_constantIbLb0EES1B_EEDaS16_S17_EUlS16_E_NS1_11comp_targetILNS1_3genE3ELNS1_11target_archE908ELNS1_3gpuE7ELNS1_3repE0EEENS1_30default_config_static_selectorELNS0_4arch9wavefront6targetE0EEEvT1_: ; @_ZN7rocprim17ROCPRIM_400000_NS6detail17trampoline_kernelINS0_14default_configENS1_25partition_config_selectorILNS1_17partition_subalgoE6EdNS0_10empty_typeEbEEZZNS1_14partition_implILS5_6ELb0ES3_mN6thrust23THRUST_200600_302600_NS6detail15normal_iteratorINSA_10device_ptrIdEEEEPS6_SG_NS0_5tupleIJNSA_16discard_iteratorINSA_11use_defaultEEES6_EEENSH_IJSG_SG_EEES6_PlJNSB_9not_fun_tI7is_trueIdEEEEEE10hipError_tPvRmT3_T4_T5_T6_T7_T9_mT8_P12ihipStream_tbDpT10_ENKUlT_T0_E_clISt17integral_constantIbLb0EES1B_EEDaS16_S17_EUlS16_E_NS1_11comp_targetILNS1_3genE3ELNS1_11target_archE908ELNS1_3gpuE7ELNS1_3repE0EEENS1_30default_config_static_selectorELNS0_4arch9wavefront6targetE0EEEvT1_
; %bb.0:
	.section	.rodata,"a",@progbits
	.p2align	6, 0x0
	.amdhsa_kernel _ZN7rocprim17ROCPRIM_400000_NS6detail17trampoline_kernelINS0_14default_configENS1_25partition_config_selectorILNS1_17partition_subalgoE6EdNS0_10empty_typeEbEEZZNS1_14partition_implILS5_6ELb0ES3_mN6thrust23THRUST_200600_302600_NS6detail15normal_iteratorINSA_10device_ptrIdEEEEPS6_SG_NS0_5tupleIJNSA_16discard_iteratorINSA_11use_defaultEEES6_EEENSH_IJSG_SG_EEES6_PlJNSB_9not_fun_tI7is_trueIdEEEEEE10hipError_tPvRmT3_T4_T5_T6_T7_T9_mT8_P12ihipStream_tbDpT10_ENKUlT_T0_E_clISt17integral_constantIbLb0EES1B_EEDaS16_S17_EUlS16_E_NS1_11comp_targetILNS1_3genE3ELNS1_11target_archE908ELNS1_3gpuE7ELNS1_3repE0EEENS1_30default_config_static_selectorELNS0_4arch9wavefront6targetE0EEEvT1_
		.amdhsa_group_segment_fixed_size 0
		.amdhsa_private_segment_fixed_size 0
		.amdhsa_kernarg_size 120
		.amdhsa_user_sgpr_count 2
		.amdhsa_user_sgpr_dispatch_ptr 0
		.amdhsa_user_sgpr_queue_ptr 0
		.amdhsa_user_sgpr_kernarg_segment_ptr 1
		.amdhsa_user_sgpr_dispatch_id 0
		.amdhsa_user_sgpr_private_segment_size 0
		.amdhsa_wavefront_size32 1
		.amdhsa_uses_dynamic_stack 0
		.amdhsa_enable_private_segment 0
		.amdhsa_system_sgpr_workgroup_id_x 1
		.amdhsa_system_sgpr_workgroup_id_y 0
		.amdhsa_system_sgpr_workgroup_id_z 0
		.amdhsa_system_sgpr_workgroup_info 0
		.amdhsa_system_vgpr_workitem_id 0
		.amdhsa_next_free_vgpr 1
		.amdhsa_next_free_sgpr 1
		.amdhsa_reserve_vcc 0
		.amdhsa_float_round_mode_32 0
		.amdhsa_float_round_mode_16_64 0
		.amdhsa_float_denorm_mode_32 3
		.amdhsa_float_denorm_mode_16_64 3
		.amdhsa_fp16_overflow 0
		.amdhsa_workgroup_processor_mode 1
		.amdhsa_memory_ordered 1
		.amdhsa_forward_progress 1
		.amdhsa_inst_pref_size 0
		.amdhsa_round_robin_scheduling 0
		.amdhsa_exception_fp_ieee_invalid_op 0
		.amdhsa_exception_fp_denorm_src 0
		.amdhsa_exception_fp_ieee_div_zero 0
		.amdhsa_exception_fp_ieee_overflow 0
		.amdhsa_exception_fp_ieee_underflow 0
		.amdhsa_exception_fp_ieee_inexact 0
		.amdhsa_exception_int_div_zero 0
	.end_amdhsa_kernel
	.section	.text._ZN7rocprim17ROCPRIM_400000_NS6detail17trampoline_kernelINS0_14default_configENS1_25partition_config_selectorILNS1_17partition_subalgoE6EdNS0_10empty_typeEbEEZZNS1_14partition_implILS5_6ELb0ES3_mN6thrust23THRUST_200600_302600_NS6detail15normal_iteratorINSA_10device_ptrIdEEEEPS6_SG_NS0_5tupleIJNSA_16discard_iteratorINSA_11use_defaultEEES6_EEENSH_IJSG_SG_EEES6_PlJNSB_9not_fun_tI7is_trueIdEEEEEE10hipError_tPvRmT3_T4_T5_T6_T7_T9_mT8_P12ihipStream_tbDpT10_ENKUlT_T0_E_clISt17integral_constantIbLb0EES1B_EEDaS16_S17_EUlS16_E_NS1_11comp_targetILNS1_3genE3ELNS1_11target_archE908ELNS1_3gpuE7ELNS1_3repE0EEENS1_30default_config_static_selectorELNS0_4arch9wavefront6targetE0EEEvT1_,"axG",@progbits,_ZN7rocprim17ROCPRIM_400000_NS6detail17trampoline_kernelINS0_14default_configENS1_25partition_config_selectorILNS1_17partition_subalgoE6EdNS0_10empty_typeEbEEZZNS1_14partition_implILS5_6ELb0ES3_mN6thrust23THRUST_200600_302600_NS6detail15normal_iteratorINSA_10device_ptrIdEEEEPS6_SG_NS0_5tupleIJNSA_16discard_iteratorINSA_11use_defaultEEES6_EEENSH_IJSG_SG_EEES6_PlJNSB_9not_fun_tI7is_trueIdEEEEEE10hipError_tPvRmT3_T4_T5_T6_T7_T9_mT8_P12ihipStream_tbDpT10_ENKUlT_T0_E_clISt17integral_constantIbLb0EES1B_EEDaS16_S17_EUlS16_E_NS1_11comp_targetILNS1_3genE3ELNS1_11target_archE908ELNS1_3gpuE7ELNS1_3repE0EEENS1_30default_config_static_selectorELNS0_4arch9wavefront6targetE0EEEvT1_,comdat
.Lfunc_end2080:
	.size	_ZN7rocprim17ROCPRIM_400000_NS6detail17trampoline_kernelINS0_14default_configENS1_25partition_config_selectorILNS1_17partition_subalgoE6EdNS0_10empty_typeEbEEZZNS1_14partition_implILS5_6ELb0ES3_mN6thrust23THRUST_200600_302600_NS6detail15normal_iteratorINSA_10device_ptrIdEEEEPS6_SG_NS0_5tupleIJNSA_16discard_iteratorINSA_11use_defaultEEES6_EEENSH_IJSG_SG_EEES6_PlJNSB_9not_fun_tI7is_trueIdEEEEEE10hipError_tPvRmT3_T4_T5_T6_T7_T9_mT8_P12ihipStream_tbDpT10_ENKUlT_T0_E_clISt17integral_constantIbLb0EES1B_EEDaS16_S17_EUlS16_E_NS1_11comp_targetILNS1_3genE3ELNS1_11target_archE908ELNS1_3gpuE7ELNS1_3repE0EEENS1_30default_config_static_selectorELNS0_4arch9wavefront6targetE0EEEvT1_, .Lfunc_end2080-_ZN7rocprim17ROCPRIM_400000_NS6detail17trampoline_kernelINS0_14default_configENS1_25partition_config_selectorILNS1_17partition_subalgoE6EdNS0_10empty_typeEbEEZZNS1_14partition_implILS5_6ELb0ES3_mN6thrust23THRUST_200600_302600_NS6detail15normal_iteratorINSA_10device_ptrIdEEEEPS6_SG_NS0_5tupleIJNSA_16discard_iteratorINSA_11use_defaultEEES6_EEENSH_IJSG_SG_EEES6_PlJNSB_9not_fun_tI7is_trueIdEEEEEE10hipError_tPvRmT3_T4_T5_T6_T7_T9_mT8_P12ihipStream_tbDpT10_ENKUlT_T0_E_clISt17integral_constantIbLb0EES1B_EEDaS16_S17_EUlS16_E_NS1_11comp_targetILNS1_3genE3ELNS1_11target_archE908ELNS1_3gpuE7ELNS1_3repE0EEENS1_30default_config_static_selectorELNS0_4arch9wavefront6targetE0EEEvT1_
                                        ; -- End function
	.set _ZN7rocprim17ROCPRIM_400000_NS6detail17trampoline_kernelINS0_14default_configENS1_25partition_config_selectorILNS1_17partition_subalgoE6EdNS0_10empty_typeEbEEZZNS1_14partition_implILS5_6ELb0ES3_mN6thrust23THRUST_200600_302600_NS6detail15normal_iteratorINSA_10device_ptrIdEEEEPS6_SG_NS0_5tupleIJNSA_16discard_iteratorINSA_11use_defaultEEES6_EEENSH_IJSG_SG_EEES6_PlJNSB_9not_fun_tI7is_trueIdEEEEEE10hipError_tPvRmT3_T4_T5_T6_T7_T9_mT8_P12ihipStream_tbDpT10_ENKUlT_T0_E_clISt17integral_constantIbLb0EES1B_EEDaS16_S17_EUlS16_E_NS1_11comp_targetILNS1_3genE3ELNS1_11target_archE908ELNS1_3gpuE7ELNS1_3repE0EEENS1_30default_config_static_selectorELNS0_4arch9wavefront6targetE0EEEvT1_.num_vgpr, 0
	.set _ZN7rocprim17ROCPRIM_400000_NS6detail17trampoline_kernelINS0_14default_configENS1_25partition_config_selectorILNS1_17partition_subalgoE6EdNS0_10empty_typeEbEEZZNS1_14partition_implILS5_6ELb0ES3_mN6thrust23THRUST_200600_302600_NS6detail15normal_iteratorINSA_10device_ptrIdEEEEPS6_SG_NS0_5tupleIJNSA_16discard_iteratorINSA_11use_defaultEEES6_EEENSH_IJSG_SG_EEES6_PlJNSB_9not_fun_tI7is_trueIdEEEEEE10hipError_tPvRmT3_T4_T5_T6_T7_T9_mT8_P12ihipStream_tbDpT10_ENKUlT_T0_E_clISt17integral_constantIbLb0EES1B_EEDaS16_S17_EUlS16_E_NS1_11comp_targetILNS1_3genE3ELNS1_11target_archE908ELNS1_3gpuE7ELNS1_3repE0EEENS1_30default_config_static_selectorELNS0_4arch9wavefront6targetE0EEEvT1_.num_agpr, 0
	.set _ZN7rocprim17ROCPRIM_400000_NS6detail17trampoline_kernelINS0_14default_configENS1_25partition_config_selectorILNS1_17partition_subalgoE6EdNS0_10empty_typeEbEEZZNS1_14partition_implILS5_6ELb0ES3_mN6thrust23THRUST_200600_302600_NS6detail15normal_iteratorINSA_10device_ptrIdEEEEPS6_SG_NS0_5tupleIJNSA_16discard_iteratorINSA_11use_defaultEEES6_EEENSH_IJSG_SG_EEES6_PlJNSB_9not_fun_tI7is_trueIdEEEEEE10hipError_tPvRmT3_T4_T5_T6_T7_T9_mT8_P12ihipStream_tbDpT10_ENKUlT_T0_E_clISt17integral_constantIbLb0EES1B_EEDaS16_S17_EUlS16_E_NS1_11comp_targetILNS1_3genE3ELNS1_11target_archE908ELNS1_3gpuE7ELNS1_3repE0EEENS1_30default_config_static_selectorELNS0_4arch9wavefront6targetE0EEEvT1_.numbered_sgpr, 0
	.set _ZN7rocprim17ROCPRIM_400000_NS6detail17trampoline_kernelINS0_14default_configENS1_25partition_config_selectorILNS1_17partition_subalgoE6EdNS0_10empty_typeEbEEZZNS1_14partition_implILS5_6ELb0ES3_mN6thrust23THRUST_200600_302600_NS6detail15normal_iteratorINSA_10device_ptrIdEEEEPS6_SG_NS0_5tupleIJNSA_16discard_iteratorINSA_11use_defaultEEES6_EEENSH_IJSG_SG_EEES6_PlJNSB_9not_fun_tI7is_trueIdEEEEEE10hipError_tPvRmT3_T4_T5_T6_T7_T9_mT8_P12ihipStream_tbDpT10_ENKUlT_T0_E_clISt17integral_constantIbLb0EES1B_EEDaS16_S17_EUlS16_E_NS1_11comp_targetILNS1_3genE3ELNS1_11target_archE908ELNS1_3gpuE7ELNS1_3repE0EEENS1_30default_config_static_selectorELNS0_4arch9wavefront6targetE0EEEvT1_.num_named_barrier, 0
	.set _ZN7rocprim17ROCPRIM_400000_NS6detail17trampoline_kernelINS0_14default_configENS1_25partition_config_selectorILNS1_17partition_subalgoE6EdNS0_10empty_typeEbEEZZNS1_14partition_implILS5_6ELb0ES3_mN6thrust23THRUST_200600_302600_NS6detail15normal_iteratorINSA_10device_ptrIdEEEEPS6_SG_NS0_5tupleIJNSA_16discard_iteratorINSA_11use_defaultEEES6_EEENSH_IJSG_SG_EEES6_PlJNSB_9not_fun_tI7is_trueIdEEEEEE10hipError_tPvRmT3_T4_T5_T6_T7_T9_mT8_P12ihipStream_tbDpT10_ENKUlT_T0_E_clISt17integral_constantIbLb0EES1B_EEDaS16_S17_EUlS16_E_NS1_11comp_targetILNS1_3genE3ELNS1_11target_archE908ELNS1_3gpuE7ELNS1_3repE0EEENS1_30default_config_static_selectorELNS0_4arch9wavefront6targetE0EEEvT1_.private_seg_size, 0
	.set _ZN7rocprim17ROCPRIM_400000_NS6detail17trampoline_kernelINS0_14default_configENS1_25partition_config_selectorILNS1_17partition_subalgoE6EdNS0_10empty_typeEbEEZZNS1_14partition_implILS5_6ELb0ES3_mN6thrust23THRUST_200600_302600_NS6detail15normal_iteratorINSA_10device_ptrIdEEEEPS6_SG_NS0_5tupleIJNSA_16discard_iteratorINSA_11use_defaultEEES6_EEENSH_IJSG_SG_EEES6_PlJNSB_9not_fun_tI7is_trueIdEEEEEE10hipError_tPvRmT3_T4_T5_T6_T7_T9_mT8_P12ihipStream_tbDpT10_ENKUlT_T0_E_clISt17integral_constantIbLb0EES1B_EEDaS16_S17_EUlS16_E_NS1_11comp_targetILNS1_3genE3ELNS1_11target_archE908ELNS1_3gpuE7ELNS1_3repE0EEENS1_30default_config_static_selectorELNS0_4arch9wavefront6targetE0EEEvT1_.uses_vcc, 0
	.set _ZN7rocprim17ROCPRIM_400000_NS6detail17trampoline_kernelINS0_14default_configENS1_25partition_config_selectorILNS1_17partition_subalgoE6EdNS0_10empty_typeEbEEZZNS1_14partition_implILS5_6ELb0ES3_mN6thrust23THRUST_200600_302600_NS6detail15normal_iteratorINSA_10device_ptrIdEEEEPS6_SG_NS0_5tupleIJNSA_16discard_iteratorINSA_11use_defaultEEES6_EEENSH_IJSG_SG_EEES6_PlJNSB_9not_fun_tI7is_trueIdEEEEEE10hipError_tPvRmT3_T4_T5_T6_T7_T9_mT8_P12ihipStream_tbDpT10_ENKUlT_T0_E_clISt17integral_constantIbLb0EES1B_EEDaS16_S17_EUlS16_E_NS1_11comp_targetILNS1_3genE3ELNS1_11target_archE908ELNS1_3gpuE7ELNS1_3repE0EEENS1_30default_config_static_selectorELNS0_4arch9wavefront6targetE0EEEvT1_.uses_flat_scratch, 0
	.set _ZN7rocprim17ROCPRIM_400000_NS6detail17trampoline_kernelINS0_14default_configENS1_25partition_config_selectorILNS1_17partition_subalgoE6EdNS0_10empty_typeEbEEZZNS1_14partition_implILS5_6ELb0ES3_mN6thrust23THRUST_200600_302600_NS6detail15normal_iteratorINSA_10device_ptrIdEEEEPS6_SG_NS0_5tupleIJNSA_16discard_iteratorINSA_11use_defaultEEES6_EEENSH_IJSG_SG_EEES6_PlJNSB_9not_fun_tI7is_trueIdEEEEEE10hipError_tPvRmT3_T4_T5_T6_T7_T9_mT8_P12ihipStream_tbDpT10_ENKUlT_T0_E_clISt17integral_constantIbLb0EES1B_EEDaS16_S17_EUlS16_E_NS1_11comp_targetILNS1_3genE3ELNS1_11target_archE908ELNS1_3gpuE7ELNS1_3repE0EEENS1_30default_config_static_selectorELNS0_4arch9wavefront6targetE0EEEvT1_.has_dyn_sized_stack, 0
	.set _ZN7rocprim17ROCPRIM_400000_NS6detail17trampoline_kernelINS0_14default_configENS1_25partition_config_selectorILNS1_17partition_subalgoE6EdNS0_10empty_typeEbEEZZNS1_14partition_implILS5_6ELb0ES3_mN6thrust23THRUST_200600_302600_NS6detail15normal_iteratorINSA_10device_ptrIdEEEEPS6_SG_NS0_5tupleIJNSA_16discard_iteratorINSA_11use_defaultEEES6_EEENSH_IJSG_SG_EEES6_PlJNSB_9not_fun_tI7is_trueIdEEEEEE10hipError_tPvRmT3_T4_T5_T6_T7_T9_mT8_P12ihipStream_tbDpT10_ENKUlT_T0_E_clISt17integral_constantIbLb0EES1B_EEDaS16_S17_EUlS16_E_NS1_11comp_targetILNS1_3genE3ELNS1_11target_archE908ELNS1_3gpuE7ELNS1_3repE0EEENS1_30default_config_static_selectorELNS0_4arch9wavefront6targetE0EEEvT1_.has_recursion, 0
	.set _ZN7rocprim17ROCPRIM_400000_NS6detail17trampoline_kernelINS0_14default_configENS1_25partition_config_selectorILNS1_17partition_subalgoE6EdNS0_10empty_typeEbEEZZNS1_14partition_implILS5_6ELb0ES3_mN6thrust23THRUST_200600_302600_NS6detail15normal_iteratorINSA_10device_ptrIdEEEEPS6_SG_NS0_5tupleIJNSA_16discard_iteratorINSA_11use_defaultEEES6_EEENSH_IJSG_SG_EEES6_PlJNSB_9not_fun_tI7is_trueIdEEEEEE10hipError_tPvRmT3_T4_T5_T6_T7_T9_mT8_P12ihipStream_tbDpT10_ENKUlT_T0_E_clISt17integral_constantIbLb0EES1B_EEDaS16_S17_EUlS16_E_NS1_11comp_targetILNS1_3genE3ELNS1_11target_archE908ELNS1_3gpuE7ELNS1_3repE0EEENS1_30default_config_static_selectorELNS0_4arch9wavefront6targetE0EEEvT1_.has_indirect_call, 0
	.section	.AMDGPU.csdata,"",@progbits
; Kernel info:
; codeLenInByte = 0
; TotalNumSgprs: 0
; NumVgprs: 0
; ScratchSize: 0
; MemoryBound: 0
; FloatMode: 240
; IeeeMode: 1
; LDSByteSize: 0 bytes/workgroup (compile time only)
; SGPRBlocks: 0
; VGPRBlocks: 0
; NumSGPRsForWavesPerEU: 1
; NumVGPRsForWavesPerEU: 1
; Occupancy: 16
; WaveLimiterHint : 0
; COMPUTE_PGM_RSRC2:SCRATCH_EN: 0
; COMPUTE_PGM_RSRC2:USER_SGPR: 2
; COMPUTE_PGM_RSRC2:TRAP_HANDLER: 0
; COMPUTE_PGM_RSRC2:TGID_X_EN: 1
; COMPUTE_PGM_RSRC2:TGID_Y_EN: 0
; COMPUTE_PGM_RSRC2:TGID_Z_EN: 0
; COMPUTE_PGM_RSRC2:TIDIG_COMP_CNT: 0
	.section	.text._ZN7rocprim17ROCPRIM_400000_NS6detail17trampoline_kernelINS0_14default_configENS1_25partition_config_selectorILNS1_17partition_subalgoE6EdNS0_10empty_typeEbEEZZNS1_14partition_implILS5_6ELb0ES3_mN6thrust23THRUST_200600_302600_NS6detail15normal_iteratorINSA_10device_ptrIdEEEEPS6_SG_NS0_5tupleIJNSA_16discard_iteratorINSA_11use_defaultEEES6_EEENSH_IJSG_SG_EEES6_PlJNSB_9not_fun_tI7is_trueIdEEEEEE10hipError_tPvRmT3_T4_T5_T6_T7_T9_mT8_P12ihipStream_tbDpT10_ENKUlT_T0_E_clISt17integral_constantIbLb0EES1B_EEDaS16_S17_EUlS16_E_NS1_11comp_targetILNS1_3genE2ELNS1_11target_archE906ELNS1_3gpuE6ELNS1_3repE0EEENS1_30default_config_static_selectorELNS0_4arch9wavefront6targetE0EEEvT1_,"axG",@progbits,_ZN7rocprim17ROCPRIM_400000_NS6detail17trampoline_kernelINS0_14default_configENS1_25partition_config_selectorILNS1_17partition_subalgoE6EdNS0_10empty_typeEbEEZZNS1_14partition_implILS5_6ELb0ES3_mN6thrust23THRUST_200600_302600_NS6detail15normal_iteratorINSA_10device_ptrIdEEEEPS6_SG_NS0_5tupleIJNSA_16discard_iteratorINSA_11use_defaultEEES6_EEENSH_IJSG_SG_EEES6_PlJNSB_9not_fun_tI7is_trueIdEEEEEE10hipError_tPvRmT3_T4_T5_T6_T7_T9_mT8_P12ihipStream_tbDpT10_ENKUlT_T0_E_clISt17integral_constantIbLb0EES1B_EEDaS16_S17_EUlS16_E_NS1_11comp_targetILNS1_3genE2ELNS1_11target_archE906ELNS1_3gpuE6ELNS1_3repE0EEENS1_30default_config_static_selectorELNS0_4arch9wavefront6targetE0EEEvT1_,comdat
	.protected	_ZN7rocprim17ROCPRIM_400000_NS6detail17trampoline_kernelINS0_14default_configENS1_25partition_config_selectorILNS1_17partition_subalgoE6EdNS0_10empty_typeEbEEZZNS1_14partition_implILS5_6ELb0ES3_mN6thrust23THRUST_200600_302600_NS6detail15normal_iteratorINSA_10device_ptrIdEEEEPS6_SG_NS0_5tupleIJNSA_16discard_iteratorINSA_11use_defaultEEES6_EEENSH_IJSG_SG_EEES6_PlJNSB_9not_fun_tI7is_trueIdEEEEEE10hipError_tPvRmT3_T4_T5_T6_T7_T9_mT8_P12ihipStream_tbDpT10_ENKUlT_T0_E_clISt17integral_constantIbLb0EES1B_EEDaS16_S17_EUlS16_E_NS1_11comp_targetILNS1_3genE2ELNS1_11target_archE906ELNS1_3gpuE6ELNS1_3repE0EEENS1_30default_config_static_selectorELNS0_4arch9wavefront6targetE0EEEvT1_ ; -- Begin function _ZN7rocprim17ROCPRIM_400000_NS6detail17trampoline_kernelINS0_14default_configENS1_25partition_config_selectorILNS1_17partition_subalgoE6EdNS0_10empty_typeEbEEZZNS1_14partition_implILS5_6ELb0ES3_mN6thrust23THRUST_200600_302600_NS6detail15normal_iteratorINSA_10device_ptrIdEEEEPS6_SG_NS0_5tupleIJNSA_16discard_iteratorINSA_11use_defaultEEES6_EEENSH_IJSG_SG_EEES6_PlJNSB_9not_fun_tI7is_trueIdEEEEEE10hipError_tPvRmT3_T4_T5_T6_T7_T9_mT8_P12ihipStream_tbDpT10_ENKUlT_T0_E_clISt17integral_constantIbLb0EES1B_EEDaS16_S17_EUlS16_E_NS1_11comp_targetILNS1_3genE2ELNS1_11target_archE906ELNS1_3gpuE6ELNS1_3repE0EEENS1_30default_config_static_selectorELNS0_4arch9wavefront6targetE0EEEvT1_
	.globl	_ZN7rocprim17ROCPRIM_400000_NS6detail17trampoline_kernelINS0_14default_configENS1_25partition_config_selectorILNS1_17partition_subalgoE6EdNS0_10empty_typeEbEEZZNS1_14partition_implILS5_6ELb0ES3_mN6thrust23THRUST_200600_302600_NS6detail15normal_iteratorINSA_10device_ptrIdEEEEPS6_SG_NS0_5tupleIJNSA_16discard_iteratorINSA_11use_defaultEEES6_EEENSH_IJSG_SG_EEES6_PlJNSB_9not_fun_tI7is_trueIdEEEEEE10hipError_tPvRmT3_T4_T5_T6_T7_T9_mT8_P12ihipStream_tbDpT10_ENKUlT_T0_E_clISt17integral_constantIbLb0EES1B_EEDaS16_S17_EUlS16_E_NS1_11comp_targetILNS1_3genE2ELNS1_11target_archE906ELNS1_3gpuE6ELNS1_3repE0EEENS1_30default_config_static_selectorELNS0_4arch9wavefront6targetE0EEEvT1_
	.p2align	8
	.type	_ZN7rocprim17ROCPRIM_400000_NS6detail17trampoline_kernelINS0_14default_configENS1_25partition_config_selectorILNS1_17partition_subalgoE6EdNS0_10empty_typeEbEEZZNS1_14partition_implILS5_6ELb0ES3_mN6thrust23THRUST_200600_302600_NS6detail15normal_iteratorINSA_10device_ptrIdEEEEPS6_SG_NS0_5tupleIJNSA_16discard_iteratorINSA_11use_defaultEEES6_EEENSH_IJSG_SG_EEES6_PlJNSB_9not_fun_tI7is_trueIdEEEEEE10hipError_tPvRmT3_T4_T5_T6_T7_T9_mT8_P12ihipStream_tbDpT10_ENKUlT_T0_E_clISt17integral_constantIbLb0EES1B_EEDaS16_S17_EUlS16_E_NS1_11comp_targetILNS1_3genE2ELNS1_11target_archE906ELNS1_3gpuE6ELNS1_3repE0EEENS1_30default_config_static_selectorELNS0_4arch9wavefront6targetE0EEEvT1_,@function
_ZN7rocprim17ROCPRIM_400000_NS6detail17trampoline_kernelINS0_14default_configENS1_25partition_config_selectorILNS1_17partition_subalgoE6EdNS0_10empty_typeEbEEZZNS1_14partition_implILS5_6ELb0ES3_mN6thrust23THRUST_200600_302600_NS6detail15normal_iteratorINSA_10device_ptrIdEEEEPS6_SG_NS0_5tupleIJNSA_16discard_iteratorINSA_11use_defaultEEES6_EEENSH_IJSG_SG_EEES6_PlJNSB_9not_fun_tI7is_trueIdEEEEEE10hipError_tPvRmT3_T4_T5_T6_T7_T9_mT8_P12ihipStream_tbDpT10_ENKUlT_T0_E_clISt17integral_constantIbLb0EES1B_EEDaS16_S17_EUlS16_E_NS1_11comp_targetILNS1_3genE2ELNS1_11target_archE906ELNS1_3gpuE6ELNS1_3repE0EEENS1_30default_config_static_selectorELNS0_4arch9wavefront6targetE0EEEvT1_: ; @_ZN7rocprim17ROCPRIM_400000_NS6detail17trampoline_kernelINS0_14default_configENS1_25partition_config_selectorILNS1_17partition_subalgoE6EdNS0_10empty_typeEbEEZZNS1_14partition_implILS5_6ELb0ES3_mN6thrust23THRUST_200600_302600_NS6detail15normal_iteratorINSA_10device_ptrIdEEEEPS6_SG_NS0_5tupleIJNSA_16discard_iteratorINSA_11use_defaultEEES6_EEENSH_IJSG_SG_EEES6_PlJNSB_9not_fun_tI7is_trueIdEEEEEE10hipError_tPvRmT3_T4_T5_T6_T7_T9_mT8_P12ihipStream_tbDpT10_ENKUlT_T0_E_clISt17integral_constantIbLb0EES1B_EEDaS16_S17_EUlS16_E_NS1_11comp_targetILNS1_3genE2ELNS1_11target_archE906ELNS1_3gpuE6ELNS1_3repE0EEENS1_30default_config_static_selectorELNS0_4arch9wavefront6targetE0EEEvT1_
; %bb.0:
	.section	.rodata,"a",@progbits
	.p2align	6, 0x0
	.amdhsa_kernel _ZN7rocprim17ROCPRIM_400000_NS6detail17trampoline_kernelINS0_14default_configENS1_25partition_config_selectorILNS1_17partition_subalgoE6EdNS0_10empty_typeEbEEZZNS1_14partition_implILS5_6ELb0ES3_mN6thrust23THRUST_200600_302600_NS6detail15normal_iteratorINSA_10device_ptrIdEEEEPS6_SG_NS0_5tupleIJNSA_16discard_iteratorINSA_11use_defaultEEES6_EEENSH_IJSG_SG_EEES6_PlJNSB_9not_fun_tI7is_trueIdEEEEEE10hipError_tPvRmT3_T4_T5_T6_T7_T9_mT8_P12ihipStream_tbDpT10_ENKUlT_T0_E_clISt17integral_constantIbLb0EES1B_EEDaS16_S17_EUlS16_E_NS1_11comp_targetILNS1_3genE2ELNS1_11target_archE906ELNS1_3gpuE6ELNS1_3repE0EEENS1_30default_config_static_selectorELNS0_4arch9wavefront6targetE0EEEvT1_
		.amdhsa_group_segment_fixed_size 0
		.amdhsa_private_segment_fixed_size 0
		.amdhsa_kernarg_size 120
		.amdhsa_user_sgpr_count 2
		.amdhsa_user_sgpr_dispatch_ptr 0
		.amdhsa_user_sgpr_queue_ptr 0
		.amdhsa_user_sgpr_kernarg_segment_ptr 1
		.amdhsa_user_sgpr_dispatch_id 0
		.amdhsa_user_sgpr_private_segment_size 0
		.amdhsa_wavefront_size32 1
		.amdhsa_uses_dynamic_stack 0
		.amdhsa_enable_private_segment 0
		.amdhsa_system_sgpr_workgroup_id_x 1
		.amdhsa_system_sgpr_workgroup_id_y 0
		.amdhsa_system_sgpr_workgroup_id_z 0
		.amdhsa_system_sgpr_workgroup_info 0
		.amdhsa_system_vgpr_workitem_id 0
		.amdhsa_next_free_vgpr 1
		.amdhsa_next_free_sgpr 1
		.amdhsa_reserve_vcc 0
		.amdhsa_float_round_mode_32 0
		.amdhsa_float_round_mode_16_64 0
		.amdhsa_float_denorm_mode_32 3
		.amdhsa_float_denorm_mode_16_64 3
		.amdhsa_fp16_overflow 0
		.amdhsa_workgroup_processor_mode 1
		.amdhsa_memory_ordered 1
		.amdhsa_forward_progress 1
		.amdhsa_inst_pref_size 0
		.amdhsa_round_robin_scheduling 0
		.amdhsa_exception_fp_ieee_invalid_op 0
		.amdhsa_exception_fp_denorm_src 0
		.amdhsa_exception_fp_ieee_div_zero 0
		.amdhsa_exception_fp_ieee_overflow 0
		.amdhsa_exception_fp_ieee_underflow 0
		.amdhsa_exception_fp_ieee_inexact 0
		.amdhsa_exception_int_div_zero 0
	.end_amdhsa_kernel
	.section	.text._ZN7rocprim17ROCPRIM_400000_NS6detail17trampoline_kernelINS0_14default_configENS1_25partition_config_selectorILNS1_17partition_subalgoE6EdNS0_10empty_typeEbEEZZNS1_14partition_implILS5_6ELb0ES3_mN6thrust23THRUST_200600_302600_NS6detail15normal_iteratorINSA_10device_ptrIdEEEEPS6_SG_NS0_5tupleIJNSA_16discard_iteratorINSA_11use_defaultEEES6_EEENSH_IJSG_SG_EEES6_PlJNSB_9not_fun_tI7is_trueIdEEEEEE10hipError_tPvRmT3_T4_T5_T6_T7_T9_mT8_P12ihipStream_tbDpT10_ENKUlT_T0_E_clISt17integral_constantIbLb0EES1B_EEDaS16_S17_EUlS16_E_NS1_11comp_targetILNS1_3genE2ELNS1_11target_archE906ELNS1_3gpuE6ELNS1_3repE0EEENS1_30default_config_static_selectorELNS0_4arch9wavefront6targetE0EEEvT1_,"axG",@progbits,_ZN7rocprim17ROCPRIM_400000_NS6detail17trampoline_kernelINS0_14default_configENS1_25partition_config_selectorILNS1_17partition_subalgoE6EdNS0_10empty_typeEbEEZZNS1_14partition_implILS5_6ELb0ES3_mN6thrust23THRUST_200600_302600_NS6detail15normal_iteratorINSA_10device_ptrIdEEEEPS6_SG_NS0_5tupleIJNSA_16discard_iteratorINSA_11use_defaultEEES6_EEENSH_IJSG_SG_EEES6_PlJNSB_9not_fun_tI7is_trueIdEEEEEE10hipError_tPvRmT3_T4_T5_T6_T7_T9_mT8_P12ihipStream_tbDpT10_ENKUlT_T0_E_clISt17integral_constantIbLb0EES1B_EEDaS16_S17_EUlS16_E_NS1_11comp_targetILNS1_3genE2ELNS1_11target_archE906ELNS1_3gpuE6ELNS1_3repE0EEENS1_30default_config_static_selectorELNS0_4arch9wavefront6targetE0EEEvT1_,comdat
.Lfunc_end2081:
	.size	_ZN7rocprim17ROCPRIM_400000_NS6detail17trampoline_kernelINS0_14default_configENS1_25partition_config_selectorILNS1_17partition_subalgoE6EdNS0_10empty_typeEbEEZZNS1_14partition_implILS5_6ELb0ES3_mN6thrust23THRUST_200600_302600_NS6detail15normal_iteratorINSA_10device_ptrIdEEEEPS6_SG_NS0_5tupleIJNSA_16discard_iteratorINSA_11use_defaultEEES6_EEENSH_IJSG_SG_EEES6_PlJNSB_9not_fun_tI7is_trueIdEEEEEE10hipError_tPvRmT3_T4_T5_T6_T7_T9_mT8_P12ihipStream_tbDpT10_ENKUlT_T0_E_clISt17integral_constantIbLb0EES1B_EEDaS16_S17_EUlS16_E_NS1_11comp_targetILNS1_3genE2ELNS1_11target_archE906ELNS1_3gpuE6ELNS1_3repE0EEENS1_30default_config_static_selectorELNS0_4arch9wavefront6targetE0EEEvT1_, .Lfunc_end2081-_ZN7rocprim17ROCPRIM_400000_NS6detail17trampoline_kernelINS0_14default_configENS1_25partition_config_selectorILNS1_17partition_subalgoE6EdNS0_10empty_typeEbEEZZNS1_14partition_implILS5_6ELb0ES3_mN6thrust23THRUST_200600_302600_NS6detail15normal_iteratorINSA_10device_ptrIdEEEEPS6_SG_NS0_5tupleIJNSA_16discard_iteratorINSA_11use_defaultEEES6_EEENSH_IJSG_SG_EEES6_PlJNSB_9not_fun_tI7is_trueIdEEEEEE10hipError_tPvRmT3_T4_T5_T6_T7_T9_mT8_P12ihipStream_tbDpT10_ENKUlT_T0_E_clISt17integral_constantIbLb0EES1B_EEDaS16_S17_EUlS16_E_NS1_11comp_targetILNS1_3genE2ELNS1_11target_archE906ELNS1_3gpuE6ELNS1_3repE0EEENS1_30default_config_static_selectorELNS0_4arch9wavefront6targetE0EEEvT1_
                                        ; -- End function
	.set _ZN7rocprim17ROCPRIM_400000_NS6detail17trampoline_kernelINS0_14default_configENS1_25partition_config_selectorILNS1_17partition_subalgoE6EdNS0_10empty_typeEbEEZZNS1_14partition_implILS5_6ELb0ES3_mN6thrust23THRUST_200600_302600_NS6detail15normal_iteratorINSA_10device_ptrIdEEEEPS6_SG_NS0_5tupleIJNSA_16discard_iteratorINSA_11use_defaultEEES6_EEENSH_IJSG_SG_EEES6_PlJNSB_9not_fun_tI7is_trueIdEEEEEE10hipError_tPvRmT3_T4_T5_T6_T7_T9_mT8_P12ihipStream_tbDpT10_ENKUlT_T0_E_clISt17integral_constantIbLb0EES1B_EEDaS16_S17_EUlS16_E_NS1_11comp_targetILNS1_3genE2ELNS1_11target_archE906ELNS1_3gpuE6ELNS1_3repE0EEENS1_30default_config_static_selectorELNS0_4arch9wavefront6targetE0EEEvT1_.num_vgpr, 0
	.set _ZN7rocprim17ROCPRIM_400000_NS6detail17trampoline_kernelINS0_14default_configENS1_25partition_config_selectorILNS1_17partition_subalgoE6EdNS0_10empty_typeEbEEZZNS1_14partition_implILS5_6ELb0ES3_mN6thrust23THRUST_200600_302600_NS6detail15normal_iteratorINSA_10device_ptrIdEEEEPS6_SG_NS0_5tupleIJNSA_16discard_iteratorINSA_11use_defaultEEES6_EEENSH_IJSG_SG_EEES6_PlJNSB_9not_fun_tI7is_trueIdEEEEEE10hipError_tPvRmT3_T4_T5_T6_T7_T9_mT8_P12ihipStream_tbDpT10_ENKUlT_T0_E_clISt17integral_constantIbLb0EES1B_EEDaS16_S17_EUlS16_E_NS1_11comp_targetILNS1_3genE2ELNS1_11target_archE906ELNS1_3gpuE6ELNS1_3repE0EEENS1_30default_config_static_selectorELNS0_4arch9wavefront6targetE0EEEvT1_.num_agpr, 0
	.set _ZN7rocprim17ROCPRIM_400000_NS6detail17trampoline_kernelINS0_14default_configENS1_25partition_config_selectorILNS1_17partition_subalgoE6EdNS0_10empty_typeEbEEZZNS1_14partition_implILS5_6ELb0ES3_mN6thrust23THRUST_200600_302600_NS6detail15normal_iteratorINSA_10device_ptrIdEEEEPS6_SG_NS0_5tupleIJNSA_16discard_iteratorINSA_11use_defaultEEES6_EEENSH_IJSG_SG_EEES6_PlJNSB_9not_fun_tI7is_trueIdEEEEEE10hipError_tPvRmT3_T4_T5_T6_T7_T9_mT8_P12ihipStream_tbDpT10_ENKUlT_T0_E_clISt17integral_constantIbLb0EES1B_EEDaS16_S17_EUlS16_E_NS1_11comp_targetILNS1_3genE2ELNS1_11target_archE906ELNS1_3gpuE6ELNS1_3repE0EEENS1_30default_config_static_selectorELNS0_4arch9wavefront6targetE0EEEvT1_.numbered_sgpr, 0
	.set _ZN7rocprim17ROCPRIM_400000_NS6detail17trampoline_kernelINS0_14default_configENS1_25partition_config_selectorILNS1_17partition_subalgoE6EdNS0_10empty_typeEbEEZZNS1_14partition_implILS5_6ELb0ES3_mN6thrust23THRUST_200600_302600_NS6detail15normal_iteratorINSA_10device_ptrIdEEEEPS6_SG_NS0_5tupleIJNSA_16discard_iteratorINSA_11use_defaultEEES6_EEENSH_IJSG_SG_EEES6_PlJNSB_9not_fun_tI7is_trueIdEEEEEE10hipError_tPvRmT3_T4_T5_T6_T7_T9_mT8_P12ihipStream_tbDpT10_ENKUlT_T0_E_clISt17integral_constantIbLb0EES1B_EEDaS16_S17_EUlS16_E_NS1_11comp_targetILNS1_3genE2ELNS1_11target_archE906ELNS1_3gpuE6ELNS1_3repE0EEENS1_30default_config_static_selectorELNS0_4arch9wavefront6targetE0EEEvT1_.num_named_barrier, 0
	.set _ZN7rocprim17ROCPRIM_400000_NS6detail17trampoline_kernelINS0_14default_configENS1_25partition_config_selectorILNS1_17partition_subalgoE6EdNS0_10empty_typeEbEEZZNS1_14partition_implILS5_6ELb0ES3_mN6thrust23THRUST_200600_302600_NS6detail15normal_iteratorINSA_10device_ptrIdEEEEPS6_SG_NS0_5tupleIJNSA_16discard_iteratorINSA_11use_defaultEEES6_EEENSH_IJSG_SG_EEES6_PlJNSB_9not_fun_tI7is_trueIdEEEEEE10hipError_tPvRmT3_T4_T5_T6_T7_T9_mT8_P12ihipStream_tbDpT10_ENKUlT_T0_E_clISt17integral_constantIbLb0EES1B_EEDaS16_S17_EUlS16_E_NS1_11comp_targetILNS1_3genE2ELNS1_11target_archE906ELNS1_3gpuE6ELNS1_3repE0EEENS1_30default_config_static_selectorELNS0_4arch9wavefront6targetE0EEEvT1_.private_seg_size, 0
	.set _ZN7rocprim17ROCPRIM_400000_NS6detail17trampoline_kernelINS0_14default_configENS1_25partition_config_selectorILNS1_17partition_subalgoE6EdNS0_10empty_typeEbEEZZNS1_14partition_implILS5_6ELb0ES3_mN6thrust23THRUST_200600_302600_NS6detail15normal_iteratorINSA_10device_ptrIdEEEEPS6_SG_NS0_5tupleIJNSA_16discard_iteratorINSA_11use_defaultEEES6_EEENSH_IJSG_SG_EEES6_PlJNSB_9not_fun_tI7is_trueIdEEEEEE10hipError_tPvRmT3_T4_T5_T6_T7_T9_mT8_P12ihipStream_tbDpT10_ENKUlT_T0_E_clISt17integral_constantIbLb0EES1B_EEDaS16_S17_EUlS16_E_NS1_11comp_targetILNS1_3genE2ELNS1_11target_archE906ELNS1_3gpuE6ELNS1_3repE0EEENS1_30default_config_static_selectorELNS0_4arch9wavefront6targetE0EEEvT1_.uses_vcc, 0
	.set _ZN7rocprim17ROCPRIM_400000_NS6detail17trampoline_kernelINS0_14default_configENS1_25partition_config_selectorILNS1_17partition_subalgoE6EdNS0_10empty_typeEbEEZZNS1_14partition_implILS5_6ELb0ES3_mN6thrust23THRUST_200600_302600_NS6detail15normal_iteratorINSA_10device_ptrIdEEEEPS6_SG_NS0_5tupleIJNSA_16discard_iteratorINSA_11use_defaultEEES6_EEENSH_IJSG_SG_EEES6_PlJNSB_9not_fun_tI7is_trueIdEEEEEE10hipError_tPvRmT3_T4_T5_T6_T7_T9_mT8_P12ihipStream_tbDpT10_ENKUlT_T0_E_clISt17integral_constantIbLb0EES1B_EEDaS16_S17_EUlS16_E_NS1_11comp_targetILNS1_3genE2ELNS1_11target_archE906ELNS1_3gpuE6ELNS1_3repE0EEENS1_30default_config_static_selectorELNS0_4arch9wavefront6targetE0EEEvT1_.uses_flat_scratch, 0
	.set _ZN7rocprim17ROCPRIM_400000_NS6detail17trampoline_kernelINS0_14default_configENS1_25partition_config_selectorILNS1_17partition_subalgoE6EdNS0_10empty_typeEbEEZZNS1_14partition_implILS5_6ELb0ES3_mN6thrust23THRUST_200600_302600_NS6detail15normal_iteratorINSA_10device_ptrIdEEEEPS6_SG_NS0_5tupleIJNSA_16discard_iteratorINSA_11use_defaultEEES6_EEENSH_IJSG_SG_EEES6_PlJNSB_9not_fun_tI7is_trueIdEEEEEE10hipError_tPvRmT3_T4_T5_T6_T7_T9_mT8_P12ihipStream_tbDpT10_ENKUlT_T0_E_clISt17integral_constantIbLb0EES1B_EEDaS16_S17_EUlS16_E_NS1_11comp_targetILNS1_3genE2ELNS1_11target_archE906ELNS1_3gpuE6ELNS1_3repE0EEENS1_30default_config_static_selectorELNS0_4arch9wavefront6targetE0EEEvT1_.has_dyn_sized_stack, 0
	.set _ZN7rocprim17ROCPRIM_400000_NS6detail17trampoline_kernelINS0_14default_configENS1_25partition_config_selectorILNS1_17partition_subalgoE6EdNS0_10empty_typeEbEEZZNS1_14partition_implILS5_6ELb0ES3_mN6thrust23THRUST_200600_302600_NS6detail15normal_iteratorINSA_10device_ptrIdEEEEPS6_SG_NS0_5tupleIJNSA_16discard_iteratorINSA_11use_defaultEEES6_EEENSH_IJSG_SG_EEES6_PlJNSB_9not_fun_tI7is_trueIdEEEEEE10hipError_tPvRmT3_T4_T5_T6_T7_T9_mT8_P12ihipStream_tbDpT10_ENKUlT_T0_E_clISt17integral_constantIbLb0EES1B_EEDaS16_S17_EUlS16_E_NS1_11comp_targetILNS1_3genE2ELNS1_11target_archE906ELNS1_3gpuE6ELNS1_3repE0EEENS1_30default_config_static_selectorELNS0_4arch9wavefront6targetE0EEEvT1_.has_recursion, 0
	.set _ZN7rocprim17ROCPRIM_400000_NS6detail17trampoline_kernelINS0_14default_configENS1_25partition_config_selectorILNS1_17partition_subalgoE6EdNS0_10empty_typeEbEEZZNS1_14partition_implILS5_6ELb0ES3_mN6thrust23THRUST_200600_302600_NS6detail15normal_iteratorINSA_10device_ptrIdEEEEPS6_SG_NS0_5tupleIJNSA_16discard_iteratorINSA_11use_defaultEEES6_EEENSH_IJSG_SG_EEES6_PlJNSB_9not_fun_tI7is_trueIdEEEEEE10hipError_tPvRmT3_T4_T5_T6_T7_T9_mT8_P12ihipStream_tbDpT10_ENKUlT_T0_E_clISt17integral_constantIbLb0EES1B_EEDaS16_S17_EUlS16_E_NS1_11comp_targetILNS1_3genE2ELNS1_11target_archE906ELNS1_3gpuE6ELNS1_3repE0EEENS1_30default_config_static_selectorELNS0_4arch9wavefront6targetE0EEEvT1_.has_indirect_call, 0
	.section	.AMDGPU.csdata,"",@progbits
; Kernel info:
; codeLenInByte = 0
; TotalNumSgprs: 0
; NumVgprs: 0
; ScratchSize: 0
; MemoryBound: 0
; FloatMode: 240
; IeeeMode: 1
; LDSByteSize: 0 bytes/workgroup (compile time only)
; SGPRBlocks: 0
; VGPRBlocks: 0
; NumSGPRsForWavesPerEU: 1
; NumVGPRsForWavesPerEU: 1
; Occupancy: 16
; WaveLimiterHint : 0
; COMPUTE_PGM_RSRC2:SCRATCH_EN: 0
; COMPUTE_PGM_RSRC2:USER_SGPR: 2
; COMPUTE_PGM_RSRC2:TRAP_HANDLER: 0
; COMPUTE_PGM_RSRC2:TGID_X_EN: 1
; COMPUTE_PGM_RSRC2:TGID_Y_EN: 0
; COMPUTE_PGM_RSRC2:TGID_Z_EN: 0
; COMPUTE_PGM_RSRC2:TIDIG_COMP_CNT: 0
	.section	.text._ZN7rocprim17ROCPRIM_400000_NS6detail17trampoline_kernelINS0_14default_configENS1_25partition_config_selectorILNS1_17partition_subalgoE6EdNS0_10empty_typeEbEEZZNS1_14partition_implILS5_6ELb0ES3_mN6thrust23THRUST_200600_302600_NS6detail15normal_iteratorINSA_10device_ptrIdEEEEPS6_SG_NS0_5tupleIJNSA_16discard_iteratorINSA_11use_defaultEEES6_EEENSH_IJSG_SG_EEES6_PlJNSB_9not_fun_tI7is_trueIdEEEEEE10hipError_tPvRmT3_T4_T5_T6_T7_T9_mT8_P12ihipStream_tbDpT10_ENKUlT_T0_E_clISt17integral_constantIbLb0EES1B_EEDaS16_S17_EUlS16_E_NS1_11comp_targetILNS1_3genE10ELNS1_11target_archE1200ELNS1_3gpuE4ELNS1_3repE0EEENS1_30default_config_static_selectorELNS0_4arch9wavefront6targetE0EEEvT1_,"axG",@progbits,_ZN7rocprim17ROCPRIM_400000_NS6detail17trampoline_kernelINS0_14default_configENS1_25partition_config_selectorILNS1_17partition_subalgoE6EdNS0_10empty_typeEbEEZZNS1_14partition_implILS5_6ELb0ES3_mN6thrust23THRUST_200600_302600_NS6detail15normal_iteratorINSA_10device_ptrIdEEEEPS6_SG_NS0_5tupleIJNSA_16discard_iteratorINSA_11use_defaultEEES6_EEENSH_IJSG_SG_EEES6_PlJNSB_9not_fun_tI7is_trueIdEEEEEE10hipError_tPvRmT3_T4_T5_T6_T7_T9_mT8_P12ihipStream_tbDpT10_ENKUlT_T0_E_clISt17integral_constantIbLb0EES1B_EEDaS16_S17_EUlS16_E_NS1_11comp_targetILNS1_3genE10ELNS1_11target_archE1200ELNS1_3gpuE4ELNS1_3repE0EEENS1_30default_config_static_selectorELNS0_4arch9wavefront6targetE0EEEvT1_,comdat
	.protected	_ZN7rocprim17ROCPRIM_400000_NS6detail17trampoline_kernelINS0_14default_configENS1_25partition_config_selectorILNS1_17partition_subalgoE6EdNS0_10empty_typeEbEEZZNS1_14partition_implILS5_6ELb0ES3_mN6thrust23THRUST_200600_302600_NS6detail15normal_iteratorINSA_10device_ptrIdEEEEPS6_SG_NS0_5tupleIJNSA_16discard_iteratorINSA_11use_defaultEEES6_EEENSH_IJSG_SG_EEES6_PlJNSB_9not_fun_tI7is_trueIdEEEEEE10hipError_tPvRmT3_T4_T5_T6_T7_T9_mT8_P12ihipStream_tbDpT10_ENKUlT_T0_E_clISt17integral_constantIbLb0EES1B_EEDaS16_S17_EUlS16_E_NS1_11comp_targetILNS1_3genE10ELNS1_11target_archE1200ELNS1_3gpuE4ELNS1_3repE0EEENS1_30default_config_static_selectorELNS0_4arch9wavefront6targetE0EEEvT1_ ; -- Begin function _ZN7rocprim17ROCPRIM_400000_NS6detail17trampoline_kernelINS0_14default_configENS1_25partition_config_selectorILNS1_17partition_subalgoE6EdNS0_10empty_typeEbEEZZNS1_14partition_implILS5_6ELb0ES3_mN6thrust23THRUST_200600_302600_NS6detail15normal_iteratorINSA_10device_ptrIdEEEEPS6_SG_NS0_5tupleIJNSA_16discard_iteratorINSA_11use_defaultEEES6_EEENSH_IJSG_SG_EEES6_PlJNSB_9not_fun_tI7is_trueIdEEEEEE10hipError_tPvRmT3_T4_T5_T6_T7_T9_mT8_P12ihipStream_tbDpT10_ENKUlT_T0_E_clISt17integral_constantIbLb0EES1B_EEDaS16_S17_EUlS16_E_NS1_11comp_targetILNS1_3genE10ELNS1_11target_archE1200ELNS1_3gpuE4ELNS1_3repE0EEENS1_30default_config_static_selectorELNS0_4arch9wavefront6targetE0EEEvT1_
	.globl	_ZN7rocprim17ROCPRIM_400000_NS6detail17trampoline_kernelINS0_14default_configENS1_25partition_config_selectorILNS1_17partition_subalgoE6EdNS0_10empty_typeEbEEZZNS1_14partition_implILS5_6ELb0ES3_mN6thrust23THRUST_200600_302600_NS6detail15normal_iteratorINSA_10device_ptrIdEEEEPS6_SG_NS0_5tupleIJNSA_16discard_iteratorINSA_11use_defaultEEES6_EEENSH_IJSG_SG_EEES6_PlJNSB_9not_fun_tI7is_trueIdEEEEEE10hipError_tPvRmT3_T4_T5_T6_T7_T9_mT8_P12ihipStream_tbDpT10_ENKUlT_T0_E_clISt17integral_constantIbLb0EES1B_EEDaS16_S17_EUlS16_E_NS1_11comp_targetILNS1_3genE10ELNS1_11target_archE1200ELNS1_3gpuE4ELNS1_3repE0EEENS1_30default_config_static_selectorELNS0_4arch9wavefront6targetE0EEEvT1_
	.p2align	8
	.type	_ZN7rocprim17ROCPRIM_400000_NS6detail17trampoline_kernelINS0_14default_configENS1_25partition_config_selectorILNS1_17partition_subalgoE6EdNS0_10empty_typeEbEEZZNS1_14partition_implILS5_6ELb0ES3_mN6thrust23THRUST_200600_302600_NS6detail15normal_iteratorINSA_10device_ptrIdEEEEPS6_SG_NS0_5tupleIJNSA_16discard_iteratorINSA_11use_defaultEEES6_EEENSH_IJSG_SG_EEES6_PlJNSB_9not_fun_tI7is_trueIdEEEEEE10hipError_tPvRmT3_T4_T5_T6_T7_T9_mT8_P12ihipStream_tbDpT10_ENKUlT_T0_E_clISt17integral_constantIbLb0EES1B_EEDaS16_S17_EUlS16_E_NS1_11comp_targetILNS1_3genE10ELNS1_11target_archE1200ELNS1_3gpuE4ELNS1_3repE0EEENS1_30default_config_static_selectorELNS0_4arch9wavefront6targetE0EEEvT1_,@function
_ZN7rocprim17ROCPRIM_400000_NS6detail17trampoline_kernelINS0_14default_configENS1_25partition_config_selectorILNS1_17partition_subalgoE6EdNS0_10empty_typeEbEEZZNS1_14partition_implILS5_6ELb0ES3_mN6thrust23THRUST_200600_302600_NS6detail15normal_iteratorINSA_10device_ptrIdEEEEPS6_SG_NS0_5tupleIJNSA_16discard_iteratorINSA_11use_defaultEEES6_EEENSH_IJSG_SG_EEES6_PlJNSB_9not_fun_tI7is_trueIdEEEEEE10hipError_tPvRmT3_T4_T5_T6_T7_T9_mT8_P12ihipStream_tbDpT10_ENKUlT_T0_E_clISt17integral_constantIbLb0EES1B_EEDaS16_S17_EUlS16_E_NS1_11comp_targetILNS1_3genE10ELNS1_11target_archE1200ELNS1_3gpuE4ELNS1_3repE0EEENS1_30default_config_static_selectorELNS0_4arch9wavefront6targetE0EEEvT1_: ; @_ZN7rocprim17ROCPRIM_400000_NS6detail17trampoline_kernelINS0_14default_configENS1_25partition_config_selectorILNS1_17partition_subalgoE6EdNS0_10empty_typeEbEEZZNS1_14partition_implILS5_6ELb0ES3_mN6thrust23THRUST_200600_302600_NS6detail15normal_iteratorINSA_10device_ptrIdEEEEPS6_SG_NS0_5tupleIJNSA_16discard_iteratorINSA_11use_defaultEEES6_EEENSH_IJSG_SG_EEES6_PlJNSB_9not_fun_tI7is_trueIdEEEEEE10hipError_tPvRmT3_T4_T5_T6_T7_T9_mT8_P12ihipStream_tbDpT10_ENKUlT_T0_E_clISt17integral_constantIbLb0EES1B_EEDaS16_S17_EUlS16_E_NS1_11comp_targetILNS1_3genE10ELNS1_11target_archE1200ELNS1_3gpuE4ELNS1_3repE0EEENS1_30default_config_static_selectorELNS0_4arch9wavefront6targetE0EEEvT1_
; %bb.0:
	s_clause 0x3
	s_load_b128 s[4:7], s[0:1], 0x8
	s_load_b128 s[8:11], s[0:1], 0x48
	s_load_b32 s15, s[0:1], 0x70
	s_load_b64 s[12:13], s[0:1], 0x58
	s_mov_b32 s17, 0
	s_lshl_b32 s2, ttmp9, 10
	s_mov_b32 s3, s17
	v_lshrrev_b32_e32 v9, 2, v0
	v_or_b32_e32 v12, 0x100, v0
	v_or_b32_e32 v11, 0x200, v0
	;; [unrolled: 1-line block ×3, first 2 shown]
	s_mov_b32 s14, -1
	s_wait_kmcnt 0x0
	s_lshl_b64 s[18:19], s[6:7], 3
	s_load_b64 s[10:11], s[10:11], 0x0
	s_add_co_i32 s20, s15, -1
	s_lshl_b32 s16, s15, 10
	s_lshl_b32 s15, s20, 10
	s_add_nc_u64 s[16:17], s[6:7], s[16:17]
	s_add_co_i32 s6, s6, s15
	s_cmp_eq_u32 ttmp9, s20
	v_cmp_gt_u64_e64 s13, s[12:13], s[16:17]
	s_cselect_b32 s7, -1, 0
	s_cmp_lg_u32 ttmp9, s20
	s_add_nc_u64 s[16:17], s[4:5], s[18:19]
	s_cselect_b32 s15, -1, 0
	s_lshl_b64 s[2:3], s[2:3], 3
	s_or_b32 s4, s15, s13
	s_wait_alu 0xfffe
	s_add_nc_u64 s[2:3], s[16:17], s[2:3]
	s_and_b32 vcc_lo, exec_lo, s4
	s_cbranch_vccz .LBB2082_2
; %bb.1:
	v_lshlrev_b32_e32 v13, 3, v0
	v_lshrrev_b32_e32 v14, 2, v12
	v_lshrrev_b32_e32 v15, 2, v11
	;; [unrolled: 1-line block ×3, first 2 shown]
	v_and_b32_e32 v17, 56, v9
	v_add_co_u32 v1, s5, s2, v13
	s_delay_alu instid0(VALU_DEP_1)
	v_add_co_ci_u32_e64 v2, null, s3, 0, s5
	v_and_b32_e32 v14, 0x78, v14
	v_and_b32_e32 v15, 0xb8, v15
	;; [unrolled: 1-line block ×3, first 2 shown]
	s_clause 0x3
	flat_load_b64 v[3:4], v[1:2]
	flat_load_b64 v[5:6], v[1:2] offset:2048
	flat_load_b64 v[7:8], v[1:2] offset:4096
	;; [unrolled: 1-line block ×3, first 2 shown]
	v_add_nc_u32_e32 v17, v17, v13
	v_add_nc_u32_e32 v14, v14, v13
	v_add_nc_u32_e32 v15, v15, v13
	v_add_nc_u32_e32 v13, v16, v13
	s_mov_b32 s14, 0
	s_wait_loadcnt_dscnt 0x303
	ds_store_b64 v17, v[3:4]
	s_wait_loadcnt_dscnt 0x203
	ds_store_b64 v14, v[5:6] offset:2048
	s_wait_loadcnt_dscnt 0x103
	ds_store_b64 v15, v[7:8] offset:4096
	;; [unrolled: 2-line block ×3, first 2 shown]
	s_wait_dscnt 0x0
	s_barrier_signal -1
	s_barrier_wait -1
.LBB2082_2:
	s_and_not1_b32 vcc_lo, exec_lo, s14
	s_sub_co_i32 s13, s12, s6
	s_cbranch_vccnz .LBB2082_9
; %bb.3:
	v_mov_b32_e32 v1, 0
	s_mov_b32 s5, exec_lo
	s_delay_alu instid0(VALU_DEP_1)
	v_dual_mov_b32 v2, v1 :: v_dual_mov_b32 v3, v1
	v_dual_mov_b32 v4, v1 :: v_dual_mov_b32 v5, v1
	;; [unrolled: 1-line block ×3, first 2 shown]
	v_mov_b32_e32 v8, v1
	s_wait_alu 0xfffe
	v_cmpx_gt_u32_e64 s13, v0
	s_cbranch_execnz .LBB2082_114
; %bb.4:
	s_or_b32 exec_lo, exec_lo, s5
	s_delay_alu instid0(SALU_CYCLE_1)
	s_mov_b32 s5, exec_lo
	v_cmpx_gt_u32_e64 s13, v12
	s_cbranch_execnz .LBB2082_115
.LBB2082_5:
	s_wait_alu 0xfffe
	s_or_b32 exec_lo, exec_lo, s5
	s_delay_alu instid0(SALU_CYCLE_1)
	s_mov_b32 s5, exec_lo
	v_cmpx_gt_u32_e64 s13, v11
	s_cbranch_execnz .LBB2082_116
.LBB2082_6:
	s_wait_alu 0xfffe
	s_or_b32 exec_lo, exec_lo, s5
	s_delay_alu instid0(SALU_CYCLE_1)
	s_mov_b32 s5, exec_lo
	v_cmpx_gt_u32_e64 s13, v10
	s_cbranch_execz .LBB2082_8
.LBB2082_7:
	v_lshlrev_b32_e32 v7, 3, v0
	s_delay_alu instid0(VALU_DEP_1)
	v_add_co_u32 v7, s2, s2, v7
	s_wait_alu 0xf1ff
	v_add_co_ci_u32_e64 v8, null, s3, 0, s2
	flat_load_b64 v[7:8], v[7:8] offset:6144
.LBB2082_8:
	s_wait_alu 0xfffe
	s_or_b32 exec_lo, exec_lo, s5
	v_lshrrev_b32_e32 v12, 2, v12
	v_lshrrev_b32_e32 v11, 2, v11
	;; [unrolled: 1-line block ×3, first 2 shown]
	v_and_b32_e32 v9, 56, v9
	v_lshlrev_b32_e32 v13, 3, v0
	v_and_b32_e32 v12, 0x78, v12
	v_and_b32_e32 v11, 0xf8, v11
	v_and_b32_e32 v10, 0xf8, v10
	s_delay_alu instid0(VALU_DEP_4) | instskip(NEXT) | instid1(VALU_DEP_4)
	v_add_nc_u32_e32 v9, v9, v13
	v_add_nc_u32_e32 v12, v12, v13
	s_delay_alu instid0(VALU_DEP_4) | instskip(NEXT) | instid1(VALU_DEP_4)
	v_add_nc_u32_e32 v11, v11, v13
	v_add_nc_u32_e32 v10, v10, v13
	ds_store_b64 v9, v[1:2]
	s_wait_loadcnt_dscnt 0x1
	ds_store_b64 v12, v[3:4] offset:2048
	ds_store_b64 v11, v[5:6] offset:4096
	;; [unrolled: 1-line block ×3, first 2 shown]
	s_wait_dscnt 0x0
	s_barrier_signal -1
	s_barrier_wait -1
.LBB2082_9:
	v_and_b32_e32 v1, 0xf8, v0
	global_inv scope:SCOPE_SE
	s_and_not1_b32 vcc_lo, exec_lo, s4
	v_lshl_add_u32 v5, v0, 5, v1
	ds_load_2addr_b64 v[1:4], v5 offset1:3
	ds_load_2addr_b64 v[5:8], v5 offset0:1 offset1:2
	s_wait_loadcnt_dscnt 0x0
	s_barrier_signal -1
	s_barrier_wait -1
	global_inv scope:SCOPE_SE
	v_cmp_eq_f64_e64 s2, 0, v[1:2]
	v_cmp_eq_f64_e64 s12, 0, v[3:4]
	s_cbranch_vccnz .LBB2082_11
; %bb.10:
	v_cmp_eq_f64_e32 vcc_lo, 0, v[7:8]
	s_wait_alu 0xf1ff
	v_cndmask_b32_e64 v27, 0, 1, s2
	v_cndmask_b32_e64 v25, 0, 1, vcc_lo
	v_cmp_eq_f64_e32 vcc_lo, 0, v[5:6]
	s_delay_alu instid0(VALU_DEP_2) | instskip(SKIP_2) | instid1(VALU_DEP_1)
	v_lshlrev_b16 v10, 8, v25
	s_wait_alu 0xfffd
	v_cndmask_b32_e64 v9, 0, 1, vcc_lo
	v_or_b32_e32 v26, v9, v10
	s_cbranch_execz .LBB2082_12
	s_branch .LBB2082_13
.LBB2082_11:
                                        ; implicit-def: $sgpr12
                                        ; implicit-def: $vgpr27
                                        ; implicit-def: $vgpr26
                                        ; implicit-def: $vgpr25
.LBB2082_12:
	v_cmp_eq_f64_e32 vcc_lo, 0, v[7:8]
	v_cmp_eq_f64_e64 s2, 0, v[5:6]
	v_cmp_eq_f64_e64 s3, 0, v[1:2]
	;; [unrolled: 1-line block ×3, first 2 shown]
	v_lshlrev_b32_e32 v9, 2, v0
	s_delay_alu instid0(VALU_DEP_1) | instskip(SKIP_2) | instid1(VALU_DEP_2)
	v_or_b32_e32 v10, 2, v9
	v_or_b32_e32 v11, 1, v9
	s_wait_alu 0xfffe
	v_cmp_gt_u32_e64 s5, s13, v10
	s_delay_alu instid0(VALU_DEP_2)
	v_cmp_gt_u32_e64 s6, s13, v11
	v_or_b32_e32 v10, 3, v9
	s_and_b32 s5, s5, vcc_lo
	v_cmp_gt_u32_e32 vcc_lo, s13, v9
	s_wait_alu 0xfffe
	v_cndmask_b32_e64 v25, 0, 1, s5
	s_and_b32 s2, s6, s2
	v_cmp_gt_u32_e64 s5, s13, v10
	s_wait_alu 0xfffe
	v_cndmask_b32_e64 v9, 0, 1, s2
	s_and_b32 s2, vcc_lo, s3
	v_lshlrev_b16 v10, 8, v25
	s_wait_alu 0xfffe
	v_cndmask_b32_e64 v27, 0, 1, s2
	s_and_b32 s2, s5, s4
	s_and_not1_b32 s3, s12, exec_lo
	s_wait_alu 0xfffe
	s_and_b32 s2, s2, exec_lo
	v_or_b32_e32 v26, v9, v10
	s_wait_alu 0xfffe
	s_or_b32 s12, s3, s2
.LBB2082_13:
	s_load_b64 s[4:5], s[0:1], 0x68
	v_and_b32_e32 v29, 0xff, v27
	v_dual_mov_b32 v11, 0 :: v_dual_and_b32 v28, 0xff, v26
	v_cndmask_b32_e64 v9, 0, 1, s12
	v_mbcnt_lo_u32_b32 v31, -1, 0
	v_and_b32_e32 v30, 0xff, v25
	s_cmp_lg_u32 ttmp9, 0
	s_mov_b32 s1, -1
	v_add3_u32 v9, v29, v9, v28
	v_and_b32_e32 v32, 15, v31
	s_delay_alu instid0(VALU_DEP_2) | instskip(NEXT) | instid1(VALU_DEP_1)
	v_add_co_u32 v17, s0, v9, v30
	v_add_co_ci_u32_e64 v18, null, 0, 0, s0
	s_delay_alu instid0(VALU_DEP_3)
	v_cmp_ne_u32_e64 s0, 0, v32
	s_cbranch_scc0 .LBB2082_70
; %bb.14:
	v_dual_mov_b32 v12, v17 :: v_dual_mov_b32 v9, v17
	v_mov_b32_dpp v14, v17 row_shr:1 row_mask:0xf bank_mask:0xf
	v_mov_b32_dpp v13, v11 row_shr:1 row_mask:0xf bank_mask:0xf
	v_mov_b32_e32 v10, v18
	s_and_saveexec_b32 s1, s0
; %bb.15:
	s_delay_alu instid0(VALU_DEP_3) | instskip(SKIP_2) | instid1(VALU_DEP_2)
	v_add_co_u32 v12, vcc_lo, v17, v14
	s_wait_alu 0xfffd
	v_add_co_ci_u32_e64 v9, null, 0, v18, vcc_lo
	v_add_co_u32 v10, vcc_lo, 0, v12
	s_wait_alu 0xfffd
	s_delay_alu instid0(VALU_DEP_2) | instskip(NEXT) | instid1(VALU_DEP_2)
	v_add_co_ci_u32_e64 v11, null, v13, v9, vcc_lo
	v_mov_b32_e32 v9, v10
	s_delay_alu instid0(VALU_DEP_2)
	v_mov_b32_e32 v10, v11
; %bb.16:
	s_wait_alu 0xfffe
	s_or_b32 exec_lo, exec_lo, s1
	v_mov_b32_dpp v14, v12 row_shr:2 row_mask:0xf bank_mask:0xf
	v_mov_b32_dpp v13, v11 row_shr:2 row_mask:0xf bank_mask:0xf
	s_mov_b32 s1, exec_lo
	v_cmpx_lt_u32_e32 1, v32
; %bb.17:
	s_delay_alu instid0(VALU_DEP_3) | instskip(SKIP_2) | instid1(VALU_DEP_2)
	v_add_co_u32 v12, vcc_lo, v9, v14
	s_wait_alu 0xfffd
	v_add_co_ci_u32_e64 v9, null, 0, v10, vcc_lo
	v_add_co_u32 v10, vcc_lo, 0, v12
	s_wait_alu 0xfffd
	s_delay_alu instid0(VALU_DEP_2) | instskip(NEXT) | instid1(VALU_DEP_2)
	v_add_co_ci_u32_e64 v11, null, v13, v9, vcc_lo
	v_mov_b32_e32 v9, v10
	s_delay_alu instid0(VALU_DEP_2)
	v_mov_b32_e32 v10, v11
; %bb.18:
	s_wait_alu 0xfffe
	s_or_b32 exec_lo, exec_lo, s1
	v_mov_b32_dpp v14, v12 row_shr:4 row_mask:0xf bank_mask:0xf
	v_mov_b32_dpp v13, v11 row_shr:4 row_mask:0xf bank_mask:0xf
	s_mov_b32 s1, exec_lo
	v_cmpx_lt_u32_e32 3, v32
	;; [unrolled: 19-line block ×3, first 2 shown]
; %bb.21:
	s_delay_alu instid0(VALU_DEP_3) | instskip(SKIP_2) | instid1(VALU_DEP_2)
	v_add_co_u32 v12, vcc_lo, v9, v14
	s_wait_alu 0xfffd
	v_add_co_ci_u32_e64 v10, null, 0, v10, vcc_lo
	v_add_co_u32 v9, vcc_lo, 0, v12
	s_wait_alu 0xfffd
	s_delay_alu instid0(VALU_DEP_2) | instskip(NEXT) | instid1(VALU_DEP_1)
	v_add_co_ci_u32_e64 v10, null, v13, v10, vcc_lo
	v_mov_b32_e32 v11, v10
; %bb.22:
	s_wait_alu 0xfffe
	s_or_b32 exec_lo, exec_lo, s1
	ds_swizzle_b32 v13, v12 offset:swizzle(BROADCAST,32,15)
	ds_swizzle_b32 v11, v11 offset:swizzle(BROADCAST,32,15)
	v_and_b32_e32 v14, 16, v31
	s_mov_b32 s1, exec_lo
	s_delay_alu instid0(VALU_DEP_1)
	v_cmpx_ne_u32_e32 0, v14
	s_cbranch_execz .LBB2082_24
; %bb.23:
	s_wait_dscnt 0x1
	v_add_co_u32 v12, vcc_lo, v9, v13
	s_wait_alu 0xfffd
	v_add_co_ci_u32_e64 v10, null, 0, v10, vcc_lo
	s_delay_alu instid0(VALU_DEP_2) | instskip(SKIP_2) | instid1(VALU_DEP_2)
	v_add_co_u32 v9, vcc_lo, 0, v12
	s_wait_dscnt 0x0
	s_wait_alu 0xfffd
	v_add_co_ci_u32_e64 v10, null, v11, v10, vcc_lo
.LBB2082_24:
	s_wait_alu 0xfffe
	s_or_b32 exec_lo, exec_lo, s1
	s_wait_dscnt 0x1
	v_or_b32_e32 v13, 31, v0
	s_wait_dscnt 0x0
	v_lshrrev_b32_e32 v11, 5, v0
	s_mov_b32 s1, exec_lo
	s_delay_alu instid0(VALU_DEP_2)
	v_cmpx_eq_u32_e64 v0, v13
; %bb.25:
	s_delay_alu instid0(VALU_DEP_2)
	v_lshlrev_b32_e32 v13, 3, v11
	ds_store_b64 v13, v[9:10]
; %bb.26:
	s_wait_alu 0xfffe
	s_or_b32 exec_lo, exec_lo, s1
	s_delay_alu instid0(SALU_CYCLE_1)
	s_mov_b32 s1, exec_lo
	s_wait_loadcnt_dscnt 0x0
	s_barrier_signal -1
	s_barrier_wait -1
	global_inv scope:SCOPE_SE
	v_cmpx_gt_u32_e32 8, v0
	s_cbranch_execz .LBB2082_34
; %bb.27:
	v_lshlrev_b32_e32 v13, 3, v0
	s_mov_b32 s2, exec_lo
	ds_load_b64 v[9:10], v13
	s_wait_dscnt 0x0
	v_dual_mov_b32 v15, v9 :: v_dual_and_b32 v14, 7, v31
	v_mov_b32_dpp v19, v9 row_shr:1 row_mask:0xf bank_mask:0xf
	v_mov_b32_dpp v16, v10 row_shr:1 row_mask:0xf bank_mask:0xf
	s_delay_alu instid0(VALU_DEP_3)
	v_cmpx_ne_u32_e32 0, v14
; %bb.28:
	s_delay_alu instid0(VALU_DEP_3) | instskip(SKIP_2) | instid1(VALU_DEP_2)
	v_add_co_u32 v15, vcc_lo, v9, v19
	s_wait_alu 0xfffd
	v_add_co_ci_u32_e64 v10, null, 0, v10, vcc_lo
	v_add_co_u32 v9, vcc_lo, 0, v15
	s_wait_alu 0xfffd
	s_delay_alu instid0(VALU_DEP_2)
	v_add_co_ci_u32_e64 v10, null, v16, v10, vcc_lo
; %bb.29:
	s_wait_alu 0xfffe
	s_or_b32 exec_lo, exec_lo, s2
	v_mov_b32_dpp v19, v15 row_shr:2 row_mask:0xf bank_mask:0xf
	s_delay_alu instid0(VALU_DEP_2)
	v_mov_b32_dpp v16, v10 row_shr:2 row_mask:0xf bank_mask:0xf
	s_mov_b32 s2, exec_lo
	v_cmpx_lt_u32_e32 1, v14
; %bb.30:
	s_delay_alu instid0(VALU_DEP_3) | instskip(SKIP_2) | instid1(VALU_DEP_2)
	v_add_co_u32 v15, vcc_lo, v9, v19
	s_wait_alu 0xfffd
	v_add_co_ci_u32_e64 v10, null, 0, v10, vcc_lo
	v_add_co_u32 v9, vcc_lo, 0, v15
	s_wait_alu 0xfffd
	s_delay_alu instid0(VALU_DEP_2)
	v_add_co_ci_u32_e64 v10, null, v16, v10, vcc_lo
; %bb.31:
	s_wait_alu 0xfffe
	s_or_b32 exec_lo, exec_lo, s2
	v_mov_b32_dpp v16, v15 row_shr:4 row_mask:0xf bank_mask:0xf
	s_delay_alu instid0(VALU_DEP_2)
	v_mov_b32_dpp v15, v10 row_shr:4 row_mask:0xf bank_mask:0xf
	s_mov_b32 s2, exec_lo
	v_cmpx_lt_u32_e32 3, v14
; %bb.32:
	s_delay_alu instid0(VALU_DEP_3) | instskip(SKIP_2) | instid1(VALU_DEP_2)
	v_add_co_u32 v9, vcc_lo, v9, v16
	s_wait_alu 0xfffd
	v_add_co_ci_u32_e64 v10, null, 0, v10, vcc_lo
	v_add_co_u32 v9, vcc_lo, v9, 0
	s_wait_alu 0xfffd
	s_delay_alu instid0(VALU_DEP_2)
	v_add_co_ci_u32_e64 v10, null, v10, v15, vcc_lo
; %bb.33:
	s_wait_alu 0xfffe
	s_or_b32 exec_lo, exec_lo, s2
	ds_store_b64 v13, v[9:10]
.LBB2082_34:
	s_wait_alu 0xfffe
	s_or_b32 exec_lo, exec_lo, s1
	s_delay_alu instid0(SALU_CYCLE_1)
	s_mov_b32 s2, exec_lo
	v_cmp_gt_u32_e32 vcc_lo, 32, v0
	s_wait_loadcnt_dscnt 0x0
	s_barrier_signal -1
	s_barrier_wait -1
	global_inv scope:SCOPE_SE
                                        ; implicit-def: $vgpr19_vgpr20
	v_cmpx_lt_u32_e32 31, v0
	s_cbranch_execz .LBB2082_36
; %bb.35:
	v_lshl_add_u32 v9, v11, 3, -8
	ds_load_b64 v[19:20], v9
	s_wait_dscnt 0x0
	v_add_nc_u32_e32 v12, v12, v19
.LBB2082_36:
	s_wait_alu 0xfffe
	s_or_b32 exec_lo, exec_lo, s2
	v_sub_co_u32 v9, s1, v31, 1
	s_delay_alu instid0(VALU_DEP_1) | instskip(SKIP_1) | instid1(VALU_DEP_1)
	v_cmp_gt_i32_e64 s2, 0, v9
	s_wait_alu 0xf1ff
	v_cndmask_b32_e64 v9, v9, v31, s2
	s_delay_alu instid0(VALU_DEP_1)
	v_lshlrev_b32_e32 v9, 2, v9
	ds_bpermute_b32 v33, v9, v12
	s_and_saveexec_b32 s2, vcc_lo
	s_cbranch_execz .LBB2082_75
; %bb.37:
	v_mov_b32_e32 v12, 0
	ds_load_b64 v[9:10], v12 offset:56
	s_and_saveexec_b32 s3, s1
	s_cbranch_execz .LBB2082_39
; %bb.38:
	s_add_co_i32 s14, ttmp9, 32
	s_mov_b32 s15, 0
	s_delay_alu instid0(SALU_CYCLE_1)
	s_lshl_b64 s[14:15], s[14:15], 4
	s_wait_kmcnt 0x0
	s_add_nc_u64 s[14:15], s[4:5], s[14:15]
	v_mov_b32_e32 v11, 1
	v_dual_mov_b32 v13, s14 :: v_dual_mov_b32 v14, s15
	s_wait_dscnt 0x0
	;;#ASMSTART
	global_store_b128 v[13:14], v[9:12] off scope:SCOPE_DEV	
s_wait_storecnt 0x0
	;;#ASMEND
.LBB2082_39:
	s_wait_alu 0xfffe
	s_or_b32 exec_lo, exec_lo, s3
	v_xad_u32 v21, v31, -1, ttmp9
	s_mov_b32 s6, 0
	s_mov_b32 s3, exec_lo
	s_delay_alu instid0(VALU_DEP_1) | instskip(NEXT) | instid1(VALU_DEP_1)
	v_add_nc_u32_e32 v11, 32, v21
	v_lshlrev_b64_e32 v[11:12], 4, v[11:12]
	s_wait_kmcnt 0x0
	s_delay_alu instid0(VALU_DEP_1) | instskip(SKIP_1) | instid1(VALU_DEP_2)
	v_add_co_u32 v11, vcc_lo, s4, v11
	s_wait_alu 0xfffd
	v_add_co_ci_u32_e64 v12, null, s5, v12, vcc_lo
	;;#ASMSTART
	global_load_b128 v[13:16], v[11:12] off scope:SCOPE_DEV	
s_wait_loadcnt 0x0
	;;#ASMEND
	v_and_b32_e32 v16, 0xff, v15
	s_delay_alu instid0(VALU_DEP_1)
	v_cmpx_eq_u16_e32 0, v16
	s_cbranch_execz .LBB2082_42
.LBB2082_40:                            ; =>This Inner Loop Header: Depth=1
	;;#ASMSTART
	global_load_b128 v[13:16], v[11:12] off scope:SCOPE_DEV	
s_wait_loadcnt 0x0
	;;#ASMEND
	v_and_b32_e32 v16, 0xff, v15
	s_delay_alu instid0(VALU_DEP_1)
	v_cmp_ne_u16_e32 vcc_lo, 0, v16
	s_wait_alu 0xfffe
	s_or_b32 s6, vcc_lo, s6
	s_wait_alu 0xfffe
	s_and_not1_b32 exec_lo, exec_lo, s6
	s_cbranch_execnz .LBB2082_40
; %bb.41:
	s_or_b32 exec_lo, exec_lo, s6
.LBB2082_42:
	s_wait_alu 0xfffe
	s_or_b32 exec_lo, exec_lo, s3
	v_cmp_ne_u32_e32 vcc_lo, 31, v31
	v_and_b32_e32 v12, 0xff, v15
	v_lshlrev_b32_e64 v35, v31, -1
	s_mov_b32 s3, exec_lo
	s_wait_alu 0xfffd
	v_add_co_ci_u32_e64 v11, null, 0, v31, vcc_lo
	v_cmp_eq_u16_e32 vcc_lo, 2, v12
	v_mov_b32_e32 v12, v13
	s_delay_alu instid0(VALU_DEP_3)
	v_lshlrev_b32_e32 v34, 2, v11
	s_wait_alu 0xfffd
	v_and_or_b32 v11, vcc_lo, v35, 0x80000000
	ds_bpermute_b32 v22, v34, v13
	ds_bpermute_b32 v16, v34, v14
	v_ctz_i32_b32_e32 v11, v11
	s_delay_alu instid0(VALU_DEP_1)
	v_cmpx_lt_u32_e64 v31, v11
	s_cbranch_execz .LBB2082_44
; %bb.43:
	s_wait_dscnt 0x1
	v_add_co_u32 v12, vcc_lo, v13, v22
	s_wait_alu 0xfffd
	v_add_co_ci_u32_e64 v14, null, 0, v14, vcc_lo
	s_delay_alu instid0(VALU_DEP_2) | instskip(SKIP_2) | instid1(VALU_DEP_2)
	v_add_co_u32 v13, vcc_lo, 0, v12
	s_wait_dscnt 0x0
	s_wait_alu 0xfffd
	v_add_co_ci_u32_e64 v14, null, v16, v14, vcc_lo
.LBB2082_44:
	s_wait_alu 0xfffe
	s_or_b32 exec_lo, exec_lo, s3
	v_cmp_gt_u32_e32 vcc_lo, 30, v31
	v_add_nc_u32_e32 v37, 2, v31
	s_mov_b32 s3, exec_lo
	s_wait_dscnt 0x0
	s_wait_alu 0xfffd
	v_cndmask_b32_e64 v16, 0, 2, vcc_lo
	s_delay_alu instid0(VALU_DEP_1)
	v_add_lshl_u32 v36, v16, v31, 2
	ds_bpermute_b32 v22, v36, v12
	ds_bpermute_b32 v16, v36, v14
	v_cmpx_le_u32_e64 v37, v11
	s_cbranch_execz .LBB2082_46
; %bb.45:
	s_wait_dscnt 0x1
	v_add_co_u32 v12, vcc_lo, v13, v22
	s_wait_alu 0xfffd
	v_add_co_ci_u32_e64 v14, null, 0, v14, vcc_lo
	s_delay_alu instid0(VALU_DEP_2) | instskip(SKIP_2) | instid1(VALU_DEP_2)
	v_add_co_u32 v13, vcc_lo, 0, v12
	s_wait_dscnt 0x0
	s_wait_alu 0xfffd
	v_add_co_ci_u32_e64 v14, null, v16, v14, vcc_lo
.LBB2082_46:
	s_wait_alu 0xfffe
	s_or_b32 exec_lo, exec_lo, s3
	v_cmp_gt_u32_e32 vcc_lo, 28, v31
	v_add_nc_u32_e32 v39, 4, v31
	s_mov_b32 s3, exec_lo
	s_wait_dscnt 0x0
	s_wait_alu 0xfffd
	v_cndmask_b32_e64 v16, 0, 4, vcc_lo
	s_delay_alu instid0(VALU_DEP_1)
	v_add_lshl_u32 v38, v16, v31, 2
	ds_bpermute_b32 v22, v38, v12
	ds_bpermute_b32 v16, v38, v14
	v_cmpx_le_u32_e64 v39, v11
	;; [unrolled: 25-line block ×3, first 2 shown]
	s_cbranch_execz .LBB2082_50
; %bb.49:
	s_wait_dscnt 0x1
	v_add_co_u32 v12, vcc_lo, v13, v22
	s_wait_alu 0xfffd
	v_add_co_ci_u32_e64 v14, null, 0, v14, vcc_lo
	s_delay_alu instid0(VALU_DEP_2) | instskip(SKIP_2) | instid1(VALU_DEP_2)
	v_add_co_u32 v13, vcc_lo, 0, v12
	s_wait_dscnt 0x0
	s_wait_alu 0xfffd
	v_add_co_ci_u32_e64 v14, null, v16, v14, vcc_lo
.LBB2082_50:
	s_wait_alu 0xfffe
	s_or_b32 exec_lo, exec_lo, s3
	v_lshl_or_b32 v42, v31, 2, 64
	v_add_nc_u32_e32 v43, 16, v31
	s_mov_b32 s3, exec_lo
	s_wait_dscnt 0x0
	ds_bpermute_b32 v16, v42, v12
	ds_bpermute_b32 v12, v42, v14
	v_cmpx_le_u32_e64 v43, v11
	s_cbranch_execz .LBB2082_52
; %bb.51:
	s_wait_dscnt 0x1
	v_add_co_u32 v11, vcc_lo, v13, v16
	s_wait_alu 0xfffd
	v_add_co_ci_u32_e64 v14, null, 0, v14, vcc_lo
	s_delay_alu instid0(VALU_DEP_2) | instskip(SKIP_2) | instid1(VALU_DEP_2)
	v_add_co_u32 v13, vcc_lo, v11, 0
	s_wait_dscnt 0x0
	s_wait_alu 0xfffd
	v_add_co_ci_u32_e64 v14, null, v14, v12, vcc_lo
.LBB2082_52:
	s_wait_alu 0xfffe
	s_or_b32 exec_lo, exec_lo, s3
	v_mov_b32_e32 v22, 0
	s_branch .LBB2082_55
.LBB2082_53:                            ;   in Loop: Header=BB2082_55 Depth=1
	s_wait_alu 0xfffe
	s_or_b32 exec_lo, exec_lo, s3
	v_add_co_u32 v13, vcc_lo, v13, v11
	v_subrev_nc_u32_e32 v21, 32, v21
	s_wait_alu 0xfffd
	v_add_co_ci_u32_e64 v14, null, v14, v12, vcc_lo
	s_mov_b32 s3, 0
.LBB2082_54:                            ;   in Loop: Header=BB2082_55 Depth=1
	s_wait_alu 0xfffe
	s_and_b32 vcc_lo, exec_lo, s3
	s_wait_alu 0xfffe
	s_cbranch_vccnz .LBB2082_71
.LBB2082_55:                            ; =>This Loop Header: Depth=1
                                        ;     Child Loop BB2082_58 Depth 2
	v_and_b32_e32 v11, 0xff, v15
	s_mov_b32 s3, -1
	s_delay_alu instid0(VALU_DEP_1)
	v_cmp_ne_u16_e32 vcc_lo, 2, v11
	s_wait_dscnt 0x0
	v_dual_mov_b32 v11, v13 :: v_dual_mov_b32 v12, v14
                                        ; implicit-def: $vgpr13_vgpr14
	s_cmp_lg_u32 vcc_lo, exec_lo
	s_cbranch_scc1 .LBB2082_54
; %bb.56:                               ;   in Loop: Header=BB2082_55 Depth=1
	v_lshlrev_b64_e32 v[13:14], 4, v[21:22]
	s_mov_b32 s3, exec_lo
	s_delay_alu instid0(VALU_DEP_1) | instskip(SKIP_1) | instid1(VALU_DEP_2)
	v_add_co_u32 v23, vcc_lo, s4, v13
	s_wait_alu 0xfffd
	v_add_co_ci_u32_e64 v24, null, s5, v14, vcc_lo
	;;#ASMSTART
	global_load_b128 v[13:16], v[23:24] off scope:SCOPE_DEV	
s_wait_loadcnt 0x0
	;;#ASMEND
	v_and_b32_e32 v16, 0xff, v15
	s_delay_alu instid0(VALU_DEP_1)
	v_cmpx_eq_u16_e32 0, v16
	s_cbranch_execz .LBB2082_60
; %bb.57:                               ;   in Loop: Header=BB2082_55 Depth=1
	s_mov_b32 s6, 0
.LBB2082_58:                            ;   Parent Loop BB2082_55 Depth=1
                                        ; =>  This Inner Loop Header: Depth=2
	;;#ASMSTART
	global_load_b128 v[13:16], v[23:24] off scope:SCOPE_DEV	
s_wait_loadcnt 0x0
	;;#ASMEND
	v_and_b32_e32 v16, 0xff, v15
	s_delay_alu instid0(VALU_DEP_1)
	v_cmp_ne_u16_e32 vcc_lo, 0, v16
	s_wait_alu 0xfffe
	s_or_b32 s6, vcc_lo, s6
	s_wait_alu 0xfffe
	s_and_not1_b32 exec_lo, exec_lo, s6
	s_cbranch_execnz .LBB2082_58
; %bb.59:                               ;   in Loop: Header=BB2082_55 Depth=1
	s_or_b32 exec_lo, exec_lo, s6
.LBB2082_60:                            ;   in Loop: Header=BB2082_55 Depth=1
	s_wait_alu 0xfffe
	s_or_b32 exec_lo, exec_lo, s3
	v_dual_mov_b32 v23, v13 :: v_dual_and_b32 v16, 0xff, v15
	ds_bpermute_b32 v44, v34, v13
	ds_bpermute_b32 v24, v34, v14
	s_mov_b32 s3, exec_lo
	v_cmp_eq_u16_e32 vcc_lo, 2, v16
	s_wait_alu 0xfffd
	v_and_or_b32 v16, vcc_lo, v35, 0x80000000
	s_delay_alu instid0(VALU_DEP_1) | instskip(NEXT) | instid1(VALU_DEP_1)
	v_ctz_i32_b32_e32 v16, v16
	v_cmpx_lt_u32_e64 v31, v16
	s_cbranch_execz .LBB2082_62
; %bb.61:                               ;   in Loop: Header=BB2082_55 Depth=1
	s_wait_dscnt 0x1
	v_add_co_u32 v23, vcc_lo, v13, v44
	s_wait_alu 0xfffd
	v_add_co_ci_u32_e64 v14, null, 0, v14, vcc_lo
	s_delay_alu instid0(VALU_DEP_2) | instskip(SKIP_2) | instid1(VALU_DEP_2)
	v_add_co_u32 v13, vcc_lo, 0, v23
	s_wait_dscnt 0x0
	s_wait_alu 0xfffd
	v_add_co_ci_u32_e64 v14, null, v24, v14, vcc_lo
.LBB2082_62:                            ;   in Loop: Header=BB2082_55 Depth=1
	s_wait_alu 0xfffe
	s_or_b32 exec_lo, exec_lo, s3
	s_wait_dscnt 0x1
	ds_bpermute_b32 v44, v36, v23
	s_wait_dscnt 0x1
	ds_bpermute_b32 v24, v36, v14
	s_mov_b32 s3, exec_lo
	v_cmpx_le_u32_e64 v37, v16
	s_cbranch_execz .LBB2082_64
; %bb.63:                               ;   in Loop: Header=BB2082_55 Depth=1
	s_wait_dscnt 0x1
	v_add_co_u32 v23, vcc_lo, v13, v44
	s_wait_alu 0xfffd
	v_add_co_ci_u32_e64 v14, null, 0, v14, vcc_lo
	s_delay_alu instid0(VALU_DEP_2) | instskip(SKIP_2) | instid1(VALU_DEP_2)
	v_add_co_u32 v13, vcc_lo, 0, v23
	s_wait_dscnt 0x0
	s_wait_alu 0xfffd
	v_add_co_ci_u32_e64 v14, null, v24, v14, vcc_lo
.LBB2082_64:                            ;   in Loop: Header=BB2082_55 Depth=1
	s_wait_alu 0xfffe
	s_or_b32 exec_lo, exec_lo, s3
	s_wait_dscnt 0x1
	ds_bpermute_b32 v44, v38, v23
	s_wait_dscnt 0x1
	ds_bpermute_b32 v24, v38, v14
	s_mov_b32 s3, exec_lo
	v_cmpx_le_u32_e64 v39, v16
	;; [unrolled: 20-line block ×3, first 2 shown]
	s_cbranch_execz .LBB2082_68
; %bb.67:                               ;   in Loop: Header=BB2082_55 Depth=1
	s_wait_dscnt 0x1
	v_add_co_u32 v23, vcc_lo, v13, v44
	s_wait_alu 0xfffd
	v_add_co_ci_u32_e64 v14, null, 0, v14, vcc_lo
	s_delay_alu instid0(VALU_DEP_2) | instskip(SKIP_2) | instid1(VALU_DEP_2)
	v_add_co_u32 v13, vcc_lo, 0, v23
	s_wait_dscnt 0x0
	s_wait_alu 0xfffd
	v_add_co_ci_u32_e64 v14, null, v24, v14, vcc_lo
.LBB2082_68:                            ;   in Loop: Header=BB2082_55 Depth=1
	s_wait_alu 0xfffe
	s_or_b32 exec_lo, exec_lo, s3
	s_wait_dscnt 0x0
	ds_bpermute_b32 v24, v42, v23
	ds_bpermute_b32 v23, v42, v14
	s_mov_b32 s3, exec_lo
	v_cmpx_le_u32_e64 v43, v16
	s_cbranch_execz .LBB2082_53
; %bb.69:                               ;   in Loop: Header=BB2082_55 Depth=1
	s_wait_dscnt 0x1
	v_add_co_u32 v13, vcc_lo, v13, v24
	s_wait_alu 0xfffd
	v_add_co_ci_u32_e64 v14, null, 0, v14, vcc_lo
	s_delay_alu instid0(VALU_DEP_2) | instskip(SKIP_2) | instid1(VALU_DEP_2)
	v_add_co_u32 v13, vcc_lo, v13, 0
	s_wait_dscnt 0x0
	s_wait_alu 0xfffd
	v_add_co_ci_u32_e64 v14, null, v14, v23, vcc_lo
	s_branch .LBB2082_53
.LBB2082_70:
                                        ; implicit-def: $vgpr13_vgpr14
                                        ; implicit-def: $vgpr19_vgpr20
                                        ; implicit-def: $vgpr11_vgpr12
                                        ; implicit-def: $vgpr14_vgpr15
                                        ; implicit-def: $vgpr15_vgpr16
	s_and_b32 vcc_lo, exec_lo, s1
	s_wait_alu 0xfffe
	s_cbranch_vccnz .LBB2082_76
	s_branch .LBB2082_101
.LBB2082_71:
	s_and_saveexec_b32 s3, s1
	s_cbranch_execz .LBB2082_73
; %bb.72:
	s_add_co_i32 s14, ttmp9, 32
	s_mov_b32 s15, 0
	v_add_co_u32 v13, vcc_lo, v11, v9
	s_wait_alu 0xfffe
	s_lshl_b64 s[14:15], s[14:15], 4
	v_dual_mov_b32 v15, 2 :: v_dual_mov_b32 v16, 0
	s_wait_alu 0xfffe
	s_add_nc_u64 s[14:15], s[4:5], s[14:15]
	s_wait_alu 0xfffd
	v_add_co_ci_u32_e64 v14, null, v12, v10, vcc_lo
	s_wait_alu 0xfffe
	v_dual_mov_b32 v22, s15 :: v_dual_mov_b32 v21, s14
	;;#ASMSTART
	global_store_b128 v[21:22], v[13:16] off scope:SCOPE_DEV	
s_wait_storecnt 0x0
	;;#ASMEND
	ds_store_b128 v16, v[9:12] offset:8448
.LBB2082_73:
	s_wait_alu 0xfffe
	s_or_b32 exec_lo, exec_lo, s3
	v_cmp_eq_u32_e32 vcc_lo, 0, v0
	s_and_b32 exec_lo, exec_lo, vcc_lo
; %bb.74:
	v_mov_b32_e32 v9, 0
	ds_store_b64 v9, v[11:12] offset:56
.LBB2082_75:
	s_wait_alu 0xfffe
	s_or_b32 exec_lo, exec_lo, s2
	s_wait_dscnt 0x0
	v_cndmask_b32_e64 v10, v33, v19, s1
	v_cmp_ne_u32_e32 vcc_lo, 0, v0
	v_mov_b32_e32 v9, 0
	s_wait_loadcnt 0x0
	s_barrier_signal -1
	s_barrier_wait -1
	global_inv scope:SCOPE_SE
	s_wait_alu 0xfffd
	v_cndmask_b32_e32 v16, 0, v10, vcc_lo
	ds_load_b64 v[13:14], v9 offset:56
	v_cndmask_b32_e64 v11, 0, v20, s1
	s_wait_loadcnt_dscnt 0x0
	s_barrier_signal -1
	s_barrier_wait -1
	global_inv scope:SCOPE_SE
	v_cndmask_b32_e32 v15, 0, v11, vcc_lo
	ds_load_b128 v[9:12], v9 offset:8448
	v_add_co_u32 v19, vcc_lo, v13, v16
	s_wait_alu 0xfffd
	v_add_co_ci_u32_e64 v13, null, v14, v15, vcc_lo
	s_delay_alu instid0(VALU_DEP_2) | instskip(SKIP_1) | instid1(VALU_DEP_2)
	v_add_co_u32 v15, vcc_lo, v19, v29
	s_wait_alu 0xfffd
	v_add_co_ci_u32_e64 v13, null, 0, v13, vcc_lo
	s_delay_alu instid0(VALU_DEP_2) | instskip(SKIP_1) | instid1(VALU_DEP_2)
	;; [unrolled: 4-line block ×3, first 2 shown]
	v_add_co_u32 v13, vcc_lo, v14, v30
	s_wait_alu 0xfffd
	v_add_co_ci_u32_e64 v16, null, 0, v16, vcc_lo
	s_branch .LBB2082_101
.LBB2082_76:
	s_wait_dscnt 0x0
	v_dual_mov_b32 v10, 0 :: v_dual_mov_b32 v11, v17
	v_mov_b32_dpp v12, v17 row_shr:1 row_mask:0xf bank_mask:0xf
	s_delay_alu instid0(VALU_DEP_2)
	v_mov_b32_dpp v9, v10 row_shr:1 row_mask:0xf bank_mask:0xf
	s_and_saveexec_b32 s1, s0
; %bb.77:
	s_delay_alu instid0(VALU_DEP_2) | instskip(SKIP_2) | instid1(VALU_DEP_2)
	v_add_co_u32 v11, vcc_lo, v17, v12
	s_wait_alu 0xfffd
	v_add_co_ci_u32_e64 v10, null, 0, v18, vcc_lo
	v_add_co_u32 v17, vcc_lo, 0, v11
	s_wait_alu 0xfffd
	s_delay_alu instid0(VALU_DEP_2) | instskip(NEXT) | instid1(VALU_DEP_1)
	v_add_co_ci_u32_e64 v18, null, v9, v10, vcc_lo
	v_mov_b32_e32 v10, v18
; %bb.78:
	s_wait_alu 0xfffe
	s_or_b32 exec_lo, exec_lo, s1
	v_mov_b32_dpp v9, v11 row_shr:2 row_mask:0xf bank_mask:0xf
	s_delay_alu instid0(VALU_DEP_2)
	v_mov_b32_dpp v12, v10 row_shr:2 row_mask:0xf bank_mask:0xf
	s_mov_b32 s0, exec_lo
	v_cmpx_lt_u32_e32 1, v32
; %bb.79:
	s_delay_alu instid0(VALU_DEP_3) | instskip(SKIP_2) | instid1(VALU_DEP_2)
	v_add_co_u32 v11, vcc_lo, v17, v9
	s_wait_alu 0xfffd
	v_add_co_ci_u32_e64 v10, null, 0, v18, vcc_lo
	v_add_co_u32 v9, vcc_lo, 0, v11
	s_wait_alu 0xfffd
	s_delay_alu instid0(VALU_DEP_2) | instskip(NEXT) | instid1(VALU_DEP_1)
	v_add_co_ci_u32_e64 v10, null, v12, v10, vcc_lo
	v_dual_mov_b32 v18, v10 :: v_dual_mov_b32 v17, v9
; %bb.80:
	s_wait_alu 0xfffe
	s_or_b32 exec_lo, exec_lo, s0
	v_mov_b32_dpp v9, v11 row_shr:4 row_mask:0xf bank_mask:0xf
	v_mov_b32_dpp v12, v10 row_shr:4 row_mask:0xf bank_mask:0xf
	s_mov_b32 s0, exec_lo
	v_cmpx_lt_u32_e32 3, v32
; %bb.81:
	s_delay_alu instid0(VALU_DEP_3) | instskip(SKIP_2) | instid1(VALU_DEP_2)
	v_add_co_u32 v11, vcc_lo, v17, v9
	s_wait_alu 0xfffd
	v_add_co_ci_u32_e64 v10, null, 0, v18, vcc_lo
	v_add_co_u32 v9, vcc_lo, 0, v11
	s_wait_alu 0xfffd
	s_delay_alu instid0(VALU_DEP_2) | instskip(NEXT) | instid1(VALU_DEP_1)
	v_add_co_ci_u32_e64 v10, null, v12, v10, vcc_lo
	v_dual_mov_b32 v18, v10 :: v_dual_mov_b32 v17, v9
; %bb.82:
	s_wait_alu 0xfffe
	s_or_b32 exec_lo, exec_lo, s0
	v_mov_b32_dpp v12, v11 row_shr:8 row_mask:0xf bank_mask:0xf
	v_mov_b32_dpp v9, v10 row_shr:8 row_mask:0xf bank_mask:0xf
	s_mov_b32 s0, exec_lo
	v_cmpx_lt_u32_e32 7, v32
; %bb.83:
	s_delay_alu instid0(VALU_DEP_3) | instskip(SKIP_2) | instid1(VALU_DEP_2)
	v_add_co_u32 v11, vcc_lo, v17, v12
	s_wait_alu 0xfffd
	v_add_co_ci_u32_e64 v10, null, 0, v18, vcc_lo
	v_add_co_u32 v17, vcc_lo, 0, v11
	s_wait_alu 0xfffd
	s_delay_alu instid0(VALU_DEP_2) | instskip(NEXT) | instid1(VALU_DEP_1)
	v_add_co_ci_u32_e64 v18, null, v9, v10, vcc_lo
	v_mov_b32_e32 v10, v18
; %bb.84:
	s_wait_alu 0xfffe
	s_or_b32 exec_lo, exec_lo, s0
	ds_swizzle_b32 v11, v11 offset:swizzle(BROADCAST,32,15)
	ds_swizzle_b32 v9, v10 offset:swizzle(BROADCAST,32,15)
	v_and_b32_e32 v10, 16, v31
	s_mov_b32 s0, exec_lo
	s_delay_alu instid0(VALU_DEP_1)
	v_cmpx_ne_u32_e32 0, v10
	s_cbranch_execz .LBB2082_86
; %bb.85:
	s_wait_dscnt 0x1
	v_add_co_u32 v10, vcc_lo, v17, v11
	s_wait_alu 0xfffd
	v_add_co_ci_u32_e64 v11, null, 0, v18, vcc_lo
	s_delay_alu instid0(VALU_DEP_2) | instskip(SKIP_2) | instid1(VALU_DEP_2)
	v_add_co_u32 v17, vcc_lo, v10, 0
	s_wait_dscnt 0x0
	s_wait_alu 0xfffd
	v_add_co_ci_u32_e64 v18, null, v11, v9, vcc_lo
.LBB2082_86:
	s_wait_alu 0xfffe
	s_or_b32 exec_lo, exec_lo, s0
	s_wait_dscnt 0x0
	v_or_b32_e32 v9, 31, v0
	v_lshrrev_b32_e32 v11, 5, v0
	s_mov_b32 s0, exec_lo
	s_delay_alu instid0(VALU_DEP_2)
	v_cmpx_eq_u32_e64 v0, v9
; %bb.87:
	s_delay_alu instid0(VALU_DEP_2)
	v_lshlrev_b32_e32 v9, 3, v11
	ds_store_b64 v9, v[17:18]
; %bb.88:
	s_wait_alu 0xfffe
	s_or_b32 exec_lo, exec_lo, s0
	s_delay_alu instid0(SALU_CYCLE_1)
	s_mov_b32 s0, exec_lo
	s_wait_loadcnt_dscnt 0x0
	s_barrier_signal -1
	s_barrier_wait -1
	global_inv scope:SCOPE_SE
	v_cmpx_gt_u32_e32 8, v0
	s_cbranch_execz .LBB2082_96
; %bb.89:
	v_lshlrev_b32_e32 v12, 3, v0
	s_mov_b32 s1, exec_lo
	ds_load_b64 v[9:10], v12
	s_wait_dscnt 0x0
	v_dual_mov_b32 v14, v9 :: v_dual_and_b32 v13, 7, v31
	v_mov_b32_dpp v16, v9 row_shr:1 row_mask:0xf bank_mask:0xf
	v_mov_b32_dpp v15, v10 row_shr:1 row_mask:0xf bank_mask:0xf
	s_delay_alu instid0(VALU_DEP_3)
	v_cmpx_ne_u32_e32 0, v13
; %bb.90:
	s_delay_alu instid0(VALU_DEP_3) | instskip(SKIP_2) | instid1(VALU_DEP_2)
	v_add_co_u32 v14, vcc_lo, v9, v16
	s_wait_alu 0xfffd
	v_add_co_ci_u32_e64 v10, null, 0, v10, vcc_lo
	v_add_co_u32 v9, vcc_lo, 0, v14
	s_wait_alu 0xfffd
	s_delay_alu instid0(VALU_DEP_2)
	v_add_co_ci_u32_e64 v10, null, v15, v10, vcc_lo
; %bb.91:
	s_wait_alu 0xfffe
	s_or_b32 exec_lo, exec_lo, s1
	v_mov_b32_dpp v16, v14 row_shr:2 row_mask:0xf bank_mask:0xf
	s_delay_alu instid0(VALU_DEP_2)
	v_mov_b32_dpp v15, v10 row_shr:2 row_mask:0xf bank_mask:0xf
	s_mov_b32 s1, exec_lo
	v_cmpx_lt_u32_e32 1, v13
; %bb.92:
	s_delay_alu instid0(VALU_DEP_3) | instskip(SKIP_2) | instid1(VALU_DEP_2)
	v_add_co_u32 v14, vcc_lo, v9, v16
	s_wait_alu 0xfffd
	v_add_co_ci_u32_e64 v10, null, 0, v10, vcc_lo
	v_add_co_u32 v9, vcc_lo, 0, v14
	s_wait_alu 0xfffd
	s_delay_alu instid0(VALU_DEP_2)
	v_add_co_ci_u32_e64 v10, null, v15, v10, vcc_lo
; %bb.93:
	s_wait_alu 0xfffe
	s_or_b32 exec_lo, exec_lo, s1
	v_mov_b32_dpp v15, v14 row_shr:4 row_mask:0xf bank_mask:0xf
	s_delay_alu instid0(VALU_DEP_2)
	v_mov_b32_dpp v14, v10 row_shr:4 row_mask:0xf bank_mask:0xf
	s_mov_b32 s1, exec_lo
	v_cmpx_lt_u32_e32 3, v13
; %bb.94:
	s_delay_alu instid0(VALU_DEP_3) | instskip(SKIP_2) | instid1(VALU_DEP_2)
	v_add_co_u32 v9, vcc_lo, v9, v15
	s_wait_alu 0xfffd
	v_add_co_ci_u32_e64 v10, null, 0, v10, vcc_lo
	v_add_co_u32 v9, vcc_lo, v9, 0
	s_wait_alu 0xfffd
	s_delay_alu instid0(VALU_DEP_2)
	v_add_co_ci_u32_e64 v10, null, v10, v14, vcc_lo
; %bb.95:
	s_wait_alu 0xfffe
	s_or_b32 exec_lo, exec_lo, s1
	ds_store_b64 v12, v[9:10]
.LBB2082_96:
	s_wait_alu 0xfffe
	s_or_b32 exec_lo, exec_lo, s0
	v_mov_b32_e32 v13, 0
	v_mov_b32_e32 v14, 0
	s_mov_b32 s0, exec_lo
	s_wait_loadcnt_dscnt 0x0
	s_barrier_signal -1
	s_barrier_wait -1
	global_inv scope:SCOPE_SE
	v_cmpx_lt_u32_e32 31, v0
; %bb.97:
	v_lshl_add_u32 v9, v11, 3, -8
	ds_load_b64 v[13:14], v9
; %bb.98:
	s_wait_alu 0xfffe
	s_or_b32 exec_lo, exec_lo, s0
	v_sub_co_u32 v9, vcc_lo, v31, 1
	s_wait_dscnt 0x0
	v_add_nc_u32_e32 v10, v13, v17
	v_mov_b32_e32 v12, 0
	s_delay_alu instid0(VALU_DEP_3) | instskip(SKIP_1) | instid1(VALU_DEP_1)
	v_cmp_gt_i32_e64 s0, 0, v9
	s_wait_alu 0xf1ff
	v_cndmask_b32_e64 v9, v9, v31, s0
	v_cmp_eq_u32_e64 s0, 0, v0
	s_delay_alu instid0(VALU_DEP_2)
	v_lshlrev_b32_e32 v9, 2, v9
	ds_bpermute_b32 v15, v9, v10
	ds_load_b64 v[9:10], v12 offset:56
	s_and_saveexec_b32 s1, s0
	s_cbranch_execz .LBB2082_100
; %bb.99:
	s_wait_kmcnt 0x0
	s_add_nc_u64 s[2:3], s[4:5], 0x200
	v_mov_b32_e32 v11, 2
	s_wait_alu 0xfffe
	v_dual_mov_b32 v17, s3 :: v_dual_mov_b32 v16, s2
	s_wait_dscnt 0x0
	;;#ASMSTART
	global_store_b128 v[16:17], v[9:12] off scope:SCOPE_DEV	
s_wait_storecnt 0x0
	;;#ASMEND
.LBB2082_100:
	s_wait_alu 0xfffe
	s_or_b32 exec_lo, exec_lo, s1
	s_wait_dscnt 0x1
	s_wait_alu 0xfffd
	v_dual_cndmask_b32 v11, v15, v13 :: v_dual_cndmask_b32 v12, 0, v14
	s_wait_loadcnt_dscnt 0x0
	s_barrier_signal -1
	s_barrier_wait -1
	s_delay_alu instid0(VALU_DEP_1)
	v_cndmask_b32_e64 v19, v11, 0, s0
	v_cndmask_b32_e64 v11, v12, 0, s0
	global_inv scope:SCOPE_SE
	v_add_co_u32 v15, vcc_lo, v19, v29
	s_wait_alu 0xfffd
	v_add_co_ci_u32_e64 v11, null, 0, v11, vcc_lo
	s_delay_alu instid0(VALU_DEP_2) | instskip(SKIP_1) | instid1(VALU_DEP_2)
	v_add_co_u32 v14, vcc_lo, v15, v28
	s_wait_alu 0xfffd
	v_add_co_ci_u32_e64 v16, null, 0, v11, vcc_lo
	v_mov_b32_e32 v11, 0
	v_mov_b32_e32 v12, 0
	v_add_co_u32 v13, vcc_lo, v14, v30
	s_wait_alu 0xfffd
	v_add_co_ci_u32_e64 v16, null, 0, v16, vcc_lo
.LBB2082_101:
	s_wait_dscnt 0x0
	v_cmp_gt_u64_e32 vcc_lo, 0x101, v[9:10]
	s_cbranch_vccz .LBB2082_104
; %bb.102:
	v_cmp_eq_u32_e32 vcc_lo, 0, v0
	s_and_b32 s0, vcc_lo, s7
	s_wait_alu 0xfffe
	s_and_saveexec_b32 s1, s0
	s_cbranch_execnz .LBB2082_113
.LBB2082_103:
	s_endpgm
.LBB2082_104:
	v_and_b32_e32 v16, 1, v27
	s_mov_b32 s0, exec_lo
	s_delay_alu instid0(VALU_DEP_1)
	v_cmpx_eq_u32_e32 1, v16
; %bb.105:
	v_sub_nc_u32_e32 v16, v19, v11
	s_delay_alu instid0(VALU_DEP_1)
	v_lshlrev_b32_e32 v16, 3, v16
	ds_store_b64 v16, v[1:2]
; %bb.106:
	s_wait_alu 0xfffe
	s_or_b32 exec_lo, exec_lo, s0
	v_and_b32_e32 v1, 1, v26
	s_mov_b32 s0, exec_lo
	s_delay_alu instid0(VALU_DEP_1)
	v_cmpx_eq_u32_e32 1, v1
; %bb.107:
	v_sub_nc_u32_e32 v1, v15, v11
	s_delay_alu instid0(VALU_DEP_1)
	v_lshlrev_b32_e32 v1, 3, v1
	ds_store_b64 v1, v[5:6]
; %bb.108:
	s_wait_alu 0xfffe
	s_or_b32 exec_lo, exec_lo, s0
	;; [unrolled: 12-line block ×3, first 2 shown]
	s_and_saveexec_b32 s0, s12
; %bb.111:
	v_sub_nc_u32_e32 v1, v13, v11
	s_delay_alu instid0(VALU_DEP_1)
	v_lshlrev_b32_e32 v1, 3, v1
	ds_store_b64 v1, v[3:4]
; %bb.112:
	s_wait_alu 0xfffe
	s_or_b32 exec_lo, exec_lo, s0
	s_wait_loadcnt_dscnt 0x0
	s_barrier_signal -1
	s_barrier_wait -1
	global_inv scope:SCOPE_SE
	v_cmp_eq_u32_e32 vcc_lo, 0, v0
	s_and_b32 s0, vcc_lo, s7
	s_wait_alu 0xfffe
	s_and_saveexec_b32 s1, s0
	s_cbranch_execz .LBB2082_103
.LBB2082_113:
	s_wait_kmcnt 0x0
	v_add_co_u32 v0, vcc_lo, v9, s10
	s_wait_alu 0xfffd
	v_add_co_ci_u32_e64 v1, null, s11, v10, vcc_lo
	v_mov_b32_e32 v2, 0
	s_delay_alu instid0(VALU_DEP_3) | instskip(SKIP_1) | instid1(VALU_DEP_3)
	v_add_co_u32 v0, vcc_lo, v0, v11
	s_wait_alu 0xfffd
	v_add_co_ci_u32_e64 v1, null, v1, v12, vcc_lo
	global_store_b64 v2, v[0:1], s[8:9]
	s_endpgm
.LBB2082_114:
	v_dual_mov_b32 v15, v1 :: v_dual_lshlrev_b32 v2, 3, v0
	v_dual_mov_b32 v16, v1 :: v_dual_mov_b32 v17, v1
	v_dual_mov_b32 v18, v1 :: v_dual_mov_b32 v19, v1
	s_delay_alu instid0(VALU_DEP_3) | instskip(NEXT) | instid1(VALU_DEP_1)
	v_add_co_u32 v2, s6, s2, v2
	v_add_co_ci_u32_e64 v3, null, s3, 0, s6
	v_mov_b32_e32 v20, v1
	flat_load_b64 v[13:14], v[2:3]
	s_wait_loadcnt_dscnt 0x0
	v_dual_mov_b32 v1, v13 :: v_dual_mov_b32 v2, v14
	v_dual_mov_b32 v3, v15 :: v_dual_mov_b32 v4, v16
	;; [unrolled: 1-line block ×4, first 2 shown]
	s_or_b32 exec_lo, exec_lo, s5
	s_delay_alu instid0(SALU_CYCLE_1)
	s_mov_b32 s5, exec_lo
	v_cmpx_gt_u32_e64 s13, v12
	s_cbranch_execz .LBB2082_5
.LBB2082_115:
	v_lshlrev_b32_e32 v3, 3, v0
	s_delay_alu instid0(VALU_DEP_1)
	v_add_co_u32 v3, s6, s2, v3
	s_wait_alu 0xf1ff
	v_add_co_ci_u32_e64 v4, null, s3, 0, s6
	flat_load_b64 v[3:4], v[3:4] offset:2048
	s_wait_alu 0xfffe
	s_or_b32 exec_lo, exec_lo, s5
	s_delay_alu instid0(SALU_CYCLE_1)
	s_mov_b32 s5, exec_lo
	v_cmpx_gt_u32_e64 s13, v11
	s_cbranch_execz .LBB2082_6
.LBB2082_116:
	v_lshlrev_b32_e32 v5, 3, v0
	s_delay_alu instid0(VALU_DEP_1)
	v_add_co_u32 v5, s6, s2, v5
	s_wait_alu 0xf1ff
	v_add_co_ci_u32_e64 v6, null, s3, 0, s6
	flat_load_b64 v[5:6], v[5:6] offset:4096
	s_wait_alu 0xfffe
	s_or_b32 exec_lo, exec_lo, s5
	s_delay_alu instid0(SALU_CYCLE_1)
	s_mov_b32 s5, exec_lo
	v_cmpx_gt_u32_e64 s13, v10
	s_cbranch_execnz .LBB2082_7
	s_branch .LBB2082_8
	.section	.rodata,"a",@progbits
	.p2align	6, 0x0
	.amdhsa_kernel _ZN7rocprim17ROCPRIM_400000_NS6detail17trampoline_kernelINS0_14default_configENS1_25partition_config_selectorILNS1_17partition_subalgoE6EdNS0_10empty_typeEbEEZZNS1_14partition_implILS5_6ELb0ES3_mN6thrust23THRUST_200600_302600_NS6detail15normal_iteratorINSA_10device_ptrIdEEEEPS6_SG_NS0_5tupleIJNSA_16discard_iteratorINSA_11use_defaultEEES6_EEENSH_IJSG_SG_EEES6_PlJNSB_9not_fun_tI7is_trueIdEEEEEE10hipError_tPvRmT3_T4_T5_T6_T7_T9_mT8_P12ihipStream_tbDpT10_ENKUlT_T0_E_clISt17integral_constantIbLb0EES1B_EEDaS16_S17_EUlS16_E_NS1_11comp_targetILNS1_3genE10ELNS1_11target_archE1200ELNS1_3gpuE4ELNS1_3repE0EEENS1_30default_config_static_selectorELNS0_4arch9wavefront6targetE0EEEvT1_
		.amdhsa_group_segment_fixed_size 8464
		.amdhsa_private_segment_fixed_size 0
		.amdhsa_kernarg_size 120
		.amdhsa_user_sgpr_count 2
		.amdhsa_user_sgpr_dispatch_ptr 0
		.amdhsa_user_sgpr_queue_ptr 0
		.amdhsa_user_sgpr_kernarg_segment_ptr 1
		.amdhsa_user_sgpr_dispatch_id 0
		.amdhsa_user_sgpr_private_segment_size 0
		.amdhsa_wavefront_size32 1
		.amdhsa_uses_dynamic_stack 0
		.amdhsa_enable_private_segment 0
		.amdhsa_system_sgpr_workgroup_id_x 1
		.amdhsa_system_sgpr_workgroup_id_y 0
		.amdhsa_system_sgpr_workgroup_id_z 0
		.amdhsa_system_sgpr_workgroup_info 0
		.amdhsa_system_vgpr_workitem_id 0
		.amdhsa_next_free_vgpr 45
		.amdhsa_next_free_sgpr 21
		.amdhsa_reserve_vcc 1
		.amdhsa_float_round_mode_32 0
		.amdhsa_float_round_mode_16_64 0
		.amdhsa_float_denorm_mode_32 3
		.amdhsa_float_denorm_mode_16_64 3
		.amdhsa_fp16_overflow 0
		.amdhsa_workgroup_processor_mode 1
		.amdhsa_memory_ordered 1
		.amdhsa_forward_progress 1
		.amdhsa_inst_pref_size 45
		.amdhsa_round_robin_scheduling 0
		.amdhsa_exception_fp_ieee_invalid_op 0
		.amdhsa_exception_fp_denorm_src 0
		.amdhsa_exception_fp_ieee_div_zero 0
		.amdhsa_exception_fp_ieee_overflow 0
		.amdhsa_exception_fp_ieee_underflow 0
		.amdhsa_exception_fp_ieee_inexact 0
		.amdhsa_exception_int_div_zero 0
	.end_amdhsa_kernel
	.section	.text._ZN7rocprim17ROCPRIM_400000_NS6detail17trampoline_kernelINS0_14default_configENS1_25partition_config_selectorILNS1_17partition_subalgoE6EdNS0_10empty_typeEbEEZZNS1_14partition_implILS5_6ELb0ES3_mN6thrust23THRUST_200600_302600_NS6detail15normal_iteratorINSA_10device_ptrIdEEEEPS6_SG_NS0_5tupleIJNSA_16discard_iteratorINSA_11use_defaultEEES6_EEENSH_IJSG_SG_EEES6_PlJNSB_9not_fun_tI7is_trueIdEEEEEE10hipError_tPvRmT3_T4_T5_T6_T7_T9_mT8_P12ihipStream_tbDpT10_ENKUlT_T0_E_clISt17integral_constantIbLb0EES1B_EEDaS16_S17_EUlS16_E_NS1_11comp_targetILNS1_3genE10ELNS1_11target_archE1200ELNS1_3gpuE4ELNS1_3repE0EEENS1_30default_config_static_selectorELNS0_4arch9wavefront6targetE0EEEvT1_,"axG",@progbits,_ZN7rocprim17ROCPRIM_400000_NS6detail17trampoline_kernelINS0_14default_configENS1_25partition_config_selectorILNS1_17partition_subalgoE6EdNS0_10empty_typeEbEEZZNS1_14partition_implILS5_6ELb0ES3_mN6thrust23THRUST_200600_302600_NS6detail15normal_iteratorINSA_10device_ptrIdEEEEPS6_SG_NS0_5tupleIJNSA_16discard_iteratorINSA_11use_defaultEEES6_EEENSH_IJSG_SG_EEES6_PlJNSB_9not_fun_tI7is_trueIdEEEEEE10hipError_tPvRmT3_T4_T5_T6_T7_T9_mT8_P12ihipStream_tbDpT10_ENKUlT_T0_E_clISt17integral_constantIbLb0EES1B_EEDaS16_S17_EUlS16_E_NS1_11comp_targetILNS1_3genE10ELNS1_11target_archE1200ELNS1_3gpuE4ELNS1_3repE0EEENS1_30default_config_static_selectorELNS0_4arch9wavefront6targetE0EEEvT1_,comdat
.Lfunc_end2082:
	.size	_ZN7rocprim17ROCPRIM_400000_NS6detail17trampoline_kernelINS0_14default_configENS1_25partition_config_selectorILNS1_17partition_subalgoE6EdNS0_10empty_typeEbEEZZNS1_14partition_implILS5_6ELb0ES3_mN6thrust23THRUST_200600_302600_NS6detail15normal_iteratorINSA_10device_ptrIdEEEEPS6_SG_NS0_5tupleIJNSA_16discard_iteratorINSA_11use_defaultEEES6_EEENSH_IJSG_SG_EEES6_PlJNSB_9not_fun_tI7is_trueIdEEEEEE10hipError_tPvRmT3_T4_T5_T6_T7_T9_mT8_P12ihipStream_tbDpT10_ENKUlT_T0_E_clISt17integral_constantIbLb0EES1B_EEDaS16_S17_EUlS16_E_NS1_11comp_targetILNS1_3genE10ELNS1_11target_archE1200ELNS1_3gpuE4ELNS1_3repE0EEENS1_30default_config_static_selectorELNS0_4arch9wavefront6targetE0EEEvT1_, .Lfunc_end2082-_ZN7rocprim17ROCPRIM_400000_NS6detail17trampoline_kernelINS0_14default_configENS1_25partition_config_selectorILNS1_17partition_subalgoE6EdNS0_10empty_typeEbEEZZNS1_14partition_implILS5_6ELb0ES3_mN6thrust23THRUST_200600_302600_NS6detail15normal_iteratorINSA_10device_ptrIdEEEEPS6_SG_NS0_5tupleIJNSA_16discard_iteratorINSA_11use_defaultEEES6_EEENSH_IJSG_SG_EEES6_PlJNSB_9not_fun_tI7is_trueIdEEEEEE10hipError_tPvRmT3_T4_T5_T6_T7_T9_mT8_P12ihipStream_tbDpT10_ENKUlT_T0_E_clISt17integral_constantIbLb0EES1B_EEDaS16_S17_EUlS16_E_NS1_11comp_targetILNS1_3genE10ELNS1_11target_archE1200ELNS1_3gpuE4ELNS1_3repE0EEENS1_30default_config_static_selectorELNS0_4arch9wavefront6targetE0EEEvT1_
                                        ; -- End function
	.set _ZN7rocprim17ROCPRIM_400000_NS6detail17trampoline_kernelINS0_14default_configENS1_25partition_config_selectorILNS1_17partition_subalgoE6EdNS0_10empty_typeEbEEZZNS1_14partition_implILS5_6ELb0ES3_mN6thrust23THRUST_200600_302600_NS6detail15normal_iteratorINSA_10device_ptrIdEEEEPS6_SG_NS0_5tupleIJNSA_16discard_iteratorINSA_11use_defaultEEES6_EEENSH_IJSG_SG_EEES6_PlJNSB_9not_fun_tI7is_trueIdEEEEEE10hipError_tPvRmT3_T4_T5_T6_T7_T9_mT8_P12ihipStream_tbDpT10_ENKUlT_T0_E_clISt17integral_constantIbLb0EES1B_EEDaS16_S17_EUlS16_E_NS1_11comp_targetILNS1_3genE10ELNS1_11target_archE1200ELNS1_3gpuE4ELNS1_3repE0EEENS1_30default_config_static_selectorELNS0_4arch9wavefront6targetE0EEEvT1_.num_vgpr, 45
	.set _ZN7rocprim17ROCPRIM_400000_NS6detail17trampoline_kernelINS0_14default_configENS1_25partition_config_selectorILNS1_17partition_subalgoE6EdNS0_10empty_typeEbEEZZNS1_14partition_implILS5_6ELb0ES3_mN6thrust23THRUST_200600_302600_NS6detail15normal_iteratorINSA_10device_ptrIdEEEEPS6_SG_NS0_5tupleIJNSA_16discard_iteratorINSA_11use_defaultEEES6_EEENSH_IJSG_SG_EEES6_PlJNSB_9not_fun_tI7is_trueIdEEEEEE10hipError_tPvRmT3_T4_T5_T6_T7_T9_mT8_P12ihipStream_tbDpT10_ENKUlT_T0_E_clISt17integral_constantIbLb0EES1B_EEDaS16_S17_EUlS16_E_NS1_11comp_targetILNS1_3genE10ELNS1_11target_archE1200ELNS1_3gpuE4ELNS1_3repE0EEENS1_30default_config_static_selectorELNS0_4arch9wavefront6targetE0EEEvT1_.num_agpr, 0
	.set _ZN7rocprim17ROCPRIM_400000_NS6detail17trampoline_kernelINS0_14default_configENS1_25partition_config_selectorILNS1_17partition_subalgoE6EdNS0_10empty_typeEbEEZZNS1_14partition_implILS5_6ELb0ES3_mN6thrust23THRUST_200600_302600_NS6detail15normal_iteratorINSA_10device_ptrIdEEEEPS6_SG_NS0_5tupleIJNSA_16discard_iteratorINSA_11use_defaultEEES6_EEENSH_IJSG_SG_EEES6_PlJNSB_9not_fun_tI7is_trueIdEEEEEE10hipError_tPvRmT3_T4_T5_T6_T7_T9_mT8_P12ihipStream_tbDpT10_ENKUlT_T0_E_clISt17integral_constantIbLb0EES1B_EEDaS16_S17_EUlS16_E_NS1_11comp_targetILNS1_3genE10ELNS1_11target_archE1200ELNS1_3gpuE4ELNS1_3repE0EEENS1_30default_config_static_selectorELNS0_4arch9wavefront6targetE0EEEvT1_.numbered_sgpr, 21
	.set _ZN7rocprim17ROCPRIM_400000_NS6detail17trampoline_kernelINS0_14default_configENS1_25partition_config_selectorILNS1_17partition_subalgoE6EdNS0_10empty_typeEbEEZZNS1_14partition_implILS5_6ELb0ES3_mN6thrust23THRUST_200600_302600_NS6detail15normal_iteratorINSA_10device_ptrIdEEEEPS6_SG_NS0_5tupleIJNSA_16discard_iteratorINSA_11use_defaultEEES6_EEENSH_IJSG_SG_EEES6_PlJNSB_9not_fun_tI7is_trueIdEEEEEE10hipError_tPvRmT3_T4_T5_T6_T7_T9_mT8_P12ihipStream_tbDpT10_ENKUlT_T0_E_clISt17integral_constantIbLb0EES1B_EEDaS16_S17_EUlS16_E_NS1_11comp_targetILNS1_3genE10ELNS1_11target_archE1200ELNS1_3gpuE4ELNS1_3repE0EEENS1_30default_config_static_selectorELNS0_4arch9wavefront6targetE0EEEvT1_.num_named_barrier, 0
	.set _ZN7rocprim17ROCPRIM_400000_NS6detail17trampoline_kernelINS0_14default_configENS1_25partition_config_selectorILNS1_17partition_subalgoE6EdNS0_10empty_typeEbEEZZNS1_14partition_implILS5_6ELb0ES3_mN6thrust23THRUST_200600_302600_NS6detail15normal_iteratorINSA_10device_ptrIdEEEEPS6_SG_NS0_5tupleIJNSA_16discard_iteratorINSA_11use_defaultEEES6_EEENSH_IJSG_SG_EEES6_PlJNSB_9not_fun_tI7is_trueIdEEEEEE10hipError_tPvRmT3_T4_T5_T6_T7_T9_mT8_P12ihipStream_tbDpT10_ENKUlT_T0_E_clISt17integral_constantIbLb0EES1B_EEDaS16_S17_EUlS16_E_NS1_11comp_targetILNS1_3genE10ELNS1_11target_archE1200ELNS1_3gpuE4ELNS1_3repE0EEENS1_30default_config_static_selectorELNS0_4arch9wavefront6targetE0EEEvT1_.private_seg_size, 0
	.set _ZN7rocprim17ROCPRIM_400000_NS6detail17trampoline_kernelINS0_14default_configENS1_25partition_config_selectorILNS1_17partition_subalgoE6EdNS0_10empty_typeEbEEZZNS1_14partition_implILS5_6ELb0ES3_mN6thrust23THRUST_200600_302600_NS6detail15normal_iteratorINSA_10device_ptrIdEEEEPS6_SG_NS0_5tupleIJNSA_16discard_iteratorINSA_11use_defaultEEES6_EEENSH_IJSG_SG_EEES6_PlJNSB_9not_fun_tI7is_trueIdEEEEEE10hipError_tPvRmT3_T4_T5_T6_T7_T9_mT8_P12ihipStream_tbDpT10_ENKUlT_T0_E_clISt17integral_constantIbLb0EES1B_EEDaS16_S17_EUlS16_E_NS1_11comp_targetILNS1_3genE10ELNS1_11target_archE1200ELNS1_3gpuE4ELNS1_3repE0EEENS1_30default_config_static_selectorELNS0_4arch9wavefront6targetE0EEEvT1_.uses_vcc, 1
	.set _ZN7rocprim17ROCPRIM_400000_NS6detail17trampoline_kernelINS0_14default_configENS1_25partition_config_selectorILNS1_17partition_subalgoE6EdNS0_10empty_typeEbEEZZNS1_14partition_implILS5_6ELb0ES3_mN6thrust23THRUST_200600_302600_NS6detail15normal_iteratorINSA_10device_ptrIdEEEEPS6_SG_NS0_5tupleIJNSA_16discard_iteratorINSA_11use_defaultEEES6_EEENSH_IJSG_SG_EEES6_PlJNSB_9not_fun_tI7is_trueIdEEEEEE10hipError_tPvRmT3_T4_T5_T6_T7_T9_mT8_P12ihipStream_tbDpT10_ENKUlT_T0_E_clISt17integral_constantIbLb0EES1B_EEDaS16_S17_EUlS16_E_NS1_11comp_targetILNS1_3genE10ELNS1_11target_archE1200ELNS1_3gpuE4ELNS1_3repE0EEENS1_30default_config_static_selectorELNS0_4arch9wavefront6targetE0EEEvT1_.uses_flat_scratch, 1
	.set _ZN7rocprim17ROCPRIM_400000_NS6detail17trampoline_kernelINS0_14default_configENS1_25partition_config_selectorILNS1_17partition_subalgoE6EdNS0_10empty_typeEbEEZZNS1_14partition_implILS5_6ELb0ES3_mN6thrust23THRUST_200600_302600_NS6detail15normal_iteratorINSA_10device_ptrIdEEEEPS6_SG_NS0_5tupleIJNSA_16discard_iteratorINSA_11use_defaultEEES6_EEENSH_IJSG_SG_EEES6_PlJNSB_9not_fun_tI7is_trueIdEEEEEE10hipError_tPvRmT3_T4_T5_T6_T7_T9_mT8_P12ihipStream_tbDpT10_ENKUlT_T0_E_clISt17integral_constantIbLb0EES1B_EEDaS16_S17_EUlS16_E_NS1_11comp_targetILNS1_3genE10ELNS1_11target_archE1200ELNS1_3gpuE4ELNS1_3repE0EEENS1_30default_config_static_selectorELNS0_4arch9wavefront6targetE0EEEvT1_.has_dyn_sized_stack, 0
	.set _ZN7rocprim17ROCPRIM_400000_NS6detail17trampoline_kernelINS0_14default_configENS1_25partition_config_selectorILNS1_17partition_subalgoE6EdNS0_10empty_typeEbEEZZNS1_14partition_implILS5_6ELb0ES3_mN6thrust23THRUST_200600_302600_NS6detail15normal_iteratorINSA_10device_ptrIdEEEEPS6_SG_NS0_5tupleIJNSA_16discard_iteratorINSA_11use_defaultEEES6_EEENSH_IJSG_SG_EEES6_PlJNSB_9not_fun_tI7is_trueIdEEEEEE10hipError_tPvRmT3_T4_T5_T6_T7_T9_mT8_P12ihipStream_tbDpT10_ENKUlT_T0_E_clISt17integral_constantIbLb0EES1B_EEDaS16_S17_EUlS16_E_NS1_11comp_targetILNS1_3genE10ELNS1_11target_archE1200ELNS1_3gpuE4ELNS1_3repE0EEENS1_30default_config_static_selectorELNS0_4arch9wavefront6targetE0EEEvT1_.has_recursion, 0
	.set _ZN7rocprim17ROCPRIM_400000_NS6detail17trampoline_kernelINS0_14default_configENS1_25partition_config_selectorILNS1_17partition_subalgoE6EdNS0_10empty_typeEbEEZZNS1_14partition_implILS5_6ELb0ES3_mN6thrust23THRUST_200600_302600_NS6detail15normal_iteratorINSA_10device_ptrIdEEEEPS6_SG_NS0_5tupleIJNSA_16discard_iteratorINSA_11use_defaultEEES6_EEENSH_IJSG_SG_EEES6_PlJNSB_9not_fun_tI7is_trueIdEEEEEE10hipError_tPvRmT3_T4_T5_T6_T7_T9_mT8_P12ihipStream_tbDpT10_ENKUlT_T0_E_clISt17integral_constantIbLb0EES1B_EEDaS16_S17_EUlS16_E_NS1_11comp_targetILNS1_3genE10ELNS1_11target_archE1200ELNS1_3gpuE4ELNS1_3repE0EEENS1_30default_config_static_selectorELNS0_4arch9wavefront6targetE0EEEvT1_.has_indirect_call, 0
	.section	.AMDGPU.csdata,"",@progbits
; Kernel info:
; codeLenInByte = 5736
; TotalNumSgprs: 23
; NumVgprs: 45
; ScratchSize: 0
; MemoryBound: 0
; FloatMode: 240
; IeeeMode: 1
; LDSByteSize: 8464 bytes/workgroup (compile time only)
; SGPRBlocks: 0
; VGPRBlocks: 5
; NumSGPRsForWavesPerEU: 23
; NumVGPRsForWavesPerEU: 45
; Occupancy: 16
; WaveLimiterHint : 1
; COMPUTE_PGM_RSRC2:SCRATCH_EN: 0
; COMPUTE_PGM_RSRC2:USER_SGPR: 2
; COMPUTE_PGM_RSRC2:TRAP_HANDLER: 0
; COMPUTE_PGM_RSRC2:TGID_X_EN: 1
; COMPUTE_PGM_RSRC2:TGID_Y_EN: 0
; COMPUTE_PGM_RSRC2:TGID_Z_EN: 0
; COMPUTE_PGM_RSRC2:TIDIG_COMP_CNT: 0
	.section	.text._ZN7rocprim17ROCPRIM_400000_NS6detail17trampoline_kernelINS0_14default_configENS1_25partition_config_selectorILNS1_17partition_subalgoE6EdNS0_10empty_typeEbEEZZNS1_14partition_implILS5_6ELb0ES3_mN6thrust23THRUST_200600_302600_NS6detail15normal_iteratorINSA_10device_ptrIdEEEEPS6_SG_NS0_5tupleIJNSA_16discard_iteratorINSA_11use_defaultEEES6_EEENSH_IJSG_SG_EEES6_PlJNSB_9not_fun_tI7is_trueIdEEEEEE10hipError_tPvRmT3_T4_T5_T6_T7_T9_mT8_P12ihipStream_tbDpT10_ENKUlT_T0_E_clISt17integral_constantIbLb0EES1B_EEDaS16_S17_EUlS16_E_NS1_11comp_targetILNS1_3genE9ELNS1_11target_archE1100ELNS1_3gpuE3ELNS1_3repE0EEENS1_30default_config_static_selectorELNS0_4arch9wavefront6targetE0EEEvT1_,"axG",@progbits,_ZN7rocprim17ROCPRIM_400000_NS6detail17trampoline_kernelINS0_14default_configENS1_25partition_config_selectorILNS1_17partition_subalgoE6EdNS0_10empty_typeEbEEZZNS1_14partition_implILS5_6ELb0ES3_mN6thrust23THRUST_200600_302600_NS6detail15normal_iteratorINSA_10device_ptrIdEEEEPS6_SG_NS0_5tupleIJNSA_16discard_iteratorINSA_11use_defaultEEES6_EEENSH_IJSG_SG_EEES6_PlJNSB_9not_fun_tI7is_trueIdEEEEEE10hipError_tPvRmT3_T4_T5_T6_T7_T9_mT8_P12ihipStream_tbDpT10_ENKUlT_T0_E_clISt17integral_constantIbLb0EES1B_EEDaS16_S17_EUlS16_E_NS1_11comp_targetILNS1_3genE9ELNS1_11target_archE1100ELNS1_3gpuE3ELNS1_3repE0EEENS1_30default_config_static_selectorELNS0_4arch9wavefront6targetE0EEEvT1_,comdat
	.protected	_ZN7rocprim17ROCPRIM_400000_NS6detail17trampoline_kernelINS0_14default_configENS1_25partition_config_selectorILNS1_17partition_subalgoE6EdNS0_10empty_typeEbEEZZNS1_14partition_implILS5_6ELb0ES3_mN6thrust23THRUST_200600_302600_NS6detail15normal_iteratorINSA_10device_ptrIdEEEEPS6_SG_NS0_5tupleIJNSA_16discard_iteratorINSA_11use_defaultEEES6_EEENSH_IJSG_SG_EEES6_PlJNSB_9not_fun_tI7is_trueIdEEEEEE10hipError_tPvRmT3_T4_T5_T6_T7_T9_mT8_P12ihipStream_tbDpT10_ENKUlT_T0_E_clISt17integral_constantIbLb0EES1B_EEDaS16_S17_EUlS16_E_NS1_11comp_targetILNS1_3genE9ELNS1_11target_archE1100ELNS1_3gpuE3ELNS1_3repE0EEENS1_30default_config_static_selectorELNS0_4arch9wavefront6targetE0EEEvT1_ ; -- Begin function _ZN7rocprim17ROCPRIM_400000_NS6detail17trampoline_kernelINS0_14default_configENS1_25partition_config_selectorILNS1_17partition_subalgoE6EdNS0_10empty_typeEbEEZZNS1_14partition_implILS5_6ELb0ES3_mN6thrust23THRUST_200600_302600_NS6detail15normal_iteratorINSA_10device_ptrIdEEEEPS6_SG_NS0_5tupleIJNSA_16discard_iteratorINSA_11use_defaultEEES6_EEENSH_IJSG_SG_EEES6_PlJNSB_9not_fun_tI7is_trueIdEEEEEE10hipError_tPvRmT3_T4_T5_T6_T7_T9_mT8_P12ihipStream_tbDpT10_ENKUlT_T0_E_clISt17integral_constantIbLb0EES1B_EEDaS16_S17_EUlS16_E_NS1_11comp_targetILNS1_3genE9ELNS1_11target_archE1100ELNS1_3gpuE3ELNS1_3repE0EEENS1_30default_config_static_selectorELNS0_4arch9wavefront6targetE0EEEvT1_
	.globl	_ZN7rocprim17ROCPRIM_400000_NS6detail17trampoline_kernelINS0_14default_configENS1_25partition_config_selectorILNS1_17partition_subalgoE6EdNS0_10empty_typeEbEEZZNS1_14partition_implILS5_6ELb0ES3_mN6thrust23THRUST_200600_302600_NS6detail15normal_iteratorINSA_10device_ptrIdEEEEPS6_SG_NS0_5tupleIJNSA_16discard_iteratorINSA_11use_defaultEEES6_EEENSH_IJSG_SG_EEES6_PlJNSB_9not_fun_tI7is_trueIdEEEEEE10hipError_tPvRmT3_T4_T5_T6_T7_T9_mT8_P12ihipStream_tbDpT10_ENKUlT_T0_E_clISt17integral_constantIbLb0EES1B_EEDaS16_S17_EUlS16_E_NS1_11comp_targetILNS1_3genE9ELNS1_11target_archE1100ELNS1_3gpuE3ELNS1_3repE0EEENS1_30default_config_static_selectorELNS0_4arch9wavefront6targetE0EEEvT1_
	.p2align	8
	.type	_ZN7rocprim17ROCPRIM_400000_NS6detail17trampoline_kernelINS0_14default_configENS1_25partition_config_selectorILNS1_17partition_subalgoE6EdNS0_10empty_typeEbEEZZNS1_14partition_implILS5_6ELb0ES3_mN6thrust23THRUST_200600_302600_NS6detail15normal_iteratorINSA_10device_ptrIdEEEEPS6_SG_NS0_5tupleIJNSA_16discard_iteratorINSA_11use_defaultEEES6_EEENSH_IJSG_SG_EEES6_PlJNSB_9not_fun_tI7is_trueIdEEEEEE10hipError_tPvRmT3_T4_T5_T6_T7_T9_mT8_P12ihipStream_tbDpT10_ENKUlT_T0_E_clISt17integral_constantIbLb0EES1B_EEDaS16_S17_EUlS16_E_NS1_11comp_targetILNS1_3genE9ELNS1_11target_archE1100ELNS1_3gpuE3ELNS1_3repE0EEENS1_30default_config_static_selectorELNS0_4arch9wavefront6targetE0EEEvT1_,@function
_ZN7rocprim17ROCPRIM_400000_NS6detail17trampoline_kernelINS0_14default_configENS1_25partition_config_selectorILNS1_17partition_subalgoE6EdNS0_10empty_typeEbEEZZNS1_14partition_implILS5_6ELb0ES3_mN6thrust23THRUST_200600_302600_NS6detail15normal_iteratorINSA_10device_ptrIdEEEEPS6_SG_NS0_5tupleIJNSA_16discard_iteratorINSA_11use_defaultEEES6_EEENSH_IJSG_SG_EEES6_PlJNSB_9not_fun_tI7is_trueIdEEEEEE10hipError_tPvRmT3_T4_T5_T6_T7_T9_mT8_P12ihipStream_tbDpT10_ENKUlT_T0_E_clISt17integral_constantIbLb0EES1B_EEDaS16_S17_EUlS16_E_NS1_11comp_targetILNS1_3genE9ELNS1_11target_archE1100ELNS1_3gpuE3ELNS1_3repE0EEENS1_30default_config_static_selectorELNS0_4arch9wavefront6targetE0EEEvT1_: ; @_ZN7rocprim17ROCPRIM_400000_NS6detail17trampoline_kernelINS0_14default_configENS1_25partition_config_selectorILNS1_17partition_subalgoE6EdNS0_10empty_typeEbEEZZNS1_14partition_implILS5_6ELb0ES3_mN6thrust23THRUST_200600_302600_NS6detail15normal_iteratorINSA_10device_ptrIdEEEEPS6_SG_NS0_5tupleIJNSA_16discard_iteratorINSA_11use_defaultEEES6_EEENSH_IJSG_SG_EEES6_PlJNSB_9not_fun_tI7is_trueIdEEEEEE10hipError_tPvRmT3_T4_T5_T6_T7_T9_mT8_P12ihipStream_tbDpT10_ENKUlT_T0_E_clISt17integral_constantIbLb0EES1B_EEDaS16_S17_EUlS16_E_NS1_11comp_targetILNS1_3genE9ELNS1_11target_archE1100ELNS1_3gpuE3ELNS1_3repE0EEENS1_30default_config_static_selectorELNS0_4arch9wavefront6targetE0EEEvT1_
; %bb.0:
	.section	.rodata,"a",@progbits
	.p2align	6, 0x0
	.amdhsa_kernel _ZN7rocprim17ROCPRIM_400000_NS6detail17trampoline_kernelINS0_14default_configENS1_25partition_config_selectorILNS1_17partition_subalgoE6EdNS0_10empty_typeEbEEZZNS1_14partition_implILS5_6ELb0ES3_mN6thrust23THRUST_200600_302600_NS6detail15normal_iteratorINSA_10device_ptrIdEEEEPS6_SG_NS0_5tupleIJNSA_16discard_iteratorINSA_11use_defaultEEES6_EEENSH_IJSG_SG_EEES6_PlJNSB_9not_fun_tI7is_trueIdEEEEEE10hipError_tPvRmT3_T4_T5_T6_T7_T9_mT8_P12ihipStream_tbDpT10_ENKUlT_T0_E_clISt17integral_constantIbLb0EES1B_EEDaS16_S17_EUlS16_E_NS1_11comp_targetILNS1_3genE9ELNS1_11target_archE1100ELNS1_3gpuE3ELNS1_3repE0EEENS1_30default_config_static_selectorELNS0_4arch9wavefront6targetE0EEEvT1_
		.amdhsa_group_segment_fixed_size 0
		.amdhsa_private_segment_fixed_size 0
		.amdhsa_kernarg_size 120
		.amdhsa_user_sgpr_count 2
		.amdhsa_user_sgpr_dispatch_ptr 0
		.amdhsa_user_sgpr_queue_ptr 0
		.amdhsa_user_sgpr_kernarg_segment_ptr 1
		.amdhsa_user_sgpr_dispatch_id 0
		.amdhsa_user_sgpr_private_segment_size 0
		.amdhsa_wavefront_size32 1
		.amdhsa_uses_dynamic_stack 0
		.amdhsa_enable_private_segment 0
		.amdhsa_system_sgpr_workgroup_id_x 1
		.amdhsa_system_sgpr_workgroup_id_y 0
		.amdhsa_system_sgpr_workgroup_id_z 0
		.amdhsa_system_sgpr_workgroup_info 0
		.amdhsa_system_vgpr_workitem_id 0
		.amdhsa_next_free_vgpr 1
		.amdhsa_next_free_sgpr 1
		.amdhsa_reserve_vcc 0
		.amdhsa_float_round_mode_32 0
		.amdhsa_float_round_mode_16_64 0
		.amdhsa_float_denorm_mode_32 3
		.amdhsa_float_denorm_mode_16_64 3
		.amdhsa_fp16_overflow 0
		.amdhsa_workgroup_processor_mode 1
		.amdhsa_memory_ordered 1
		.amdhsa_forward_progress 1
		.amdhsa_inst_pref_size 0
		.amdhsa_round_robin_scheduling 0
		.amdhsa_exception_fp_ieee_invalid_op 0
		.amdhsa_exception_fp_denorm_src 0
		.amdhsa_exception_fp_ieee_div_zero 0
		.amdhsa_exception_fp_ieee_overflow 0
		.amdhsa_exception_fp_ieee_underflow 0
		.amdhsa_exception_fp_ieee_inexact 0
		.amdhsa_exception_int_div_zero 0
	.end_amdhsa_kernel
	.section	.text._ZN7rocprim17ROCPRIM_400000_NS6detail17trampoline_kernelINS0_14default_configENS1_25partition_config_selectorILNS1_17partition_subalgoE6EdNS0_10empty_typeEbEEZZNS1_14partition_implILS5_6ELb0ES3_mN6thrust23THRUST_200600_302600_NS6detail15normal_iteratorINSA_10device_ptrIdEEEEPS6_SG_NS0_5tupleIJNSA_16discard_iteratorINSA_11use_defaultEEES6_EEENSH_IJSG_SG_EEES6_PlJNSB_9not_fun_tI7is_trueIdEEEEEE10hipError_tPvRmT3_T4_T5_T6_T7_T9_mT8_P12ihipStream_tbDpT10_ENKUlT_T0_E_clISt17integral_constantIbLb0EES1B_EEDaS16_S17_EUlS16_E_NS1_11comp_targetILNS1_3genE9ELNS1_11target_archE1100ELNS1_3gpuE3ELNS1_3repE0EEENS1_30default_config_static_selectorELNS0_4arch9wavefront6targetE0EEEvT1_,"axG",@progbits,_ZN7rocprim17ROCPRIM_400000_NS6detail17trampoline_kernelINS0_14default_configENS1_25partition_config_selectorILNS1_17partition_subalgoE6EdNS0_10empty_typeEbEEZZNS1_14partition_implILS5_6ELb0ES3_mN6thrust23THRUST_200600_302600_NS6detail15normal_iteratorINSA_10device_ptrIdEEEEPS6_SG_NS0_5tupleIJNSA_16discard_iteratorINSA_11use_defaultEEES6_EEENSH_IJSG_SG_EEES6_PlJNSB_9not_fun_tI7is_trueIdEEEEEE10hipError_tPvRmT3_T4_T5_T6_T7_T9_mT8_P12ihipStream_tbDpT10_ENKUlT_T0_E_clISt17integral_constantIbLb0EES1B_EEDaS16_S17_EUlS16_E_NS1_11comp_targetILNS1_3genE9ELNS1_11target_archE1100ELNS1_3gpuE3ELNS1_3repE0EEENS1_30default_config_static_selectorELNS0_4arch9wavefront6targetE0EEEvT1_,comdat
.Lfunc_end2083:
	.size	_ZN7rocprim17ROCPRIM_400000_NS6detail17trampoline_kernelINS0_14default_configENS1_25partition_config_selectorILNS1_17partition_subalgoE6EdNS0_10empty_typeEbEEZZNS1_14partition_implILS5_6ELb0ES3_mN6thrust23THRUST_200600_302600_NS6detail15normal_iteratorINSA_10device_ptrIdEEEEPS6_SG_NS0_5tupleIJNSA_16discard_iteratorINSA_11use_defaultEEES6_EEENSH_IJSG_SG_EEES6_PlJNSB_9not_fun_tI7is_trueIdEEEEEE10hipError_tPvRmT3_T4_T5_T6_T7_T9_mT8_P12ihipStream_tbDpT10_ENKUlT_T0_E_clISt17integral_constantIbLb0EES1B_EEDaS16_S17_EUlS16_E_NS1_11comp_targetILNS1_3genE9ELNS1_11target_archE1100ELNS1_3gpuE3ELNS1_3repE0EEENS1_30default_config_static_selectorELNS0_4arch9wavefront6targetE0EEEvT1_, .Lfunc_end2083-_ZN7rocprim17ROCPRIM_400000_NS6detail17trampoline_kernelINS0_14default_configENS1_25partition_config_selectorILNS1_17partition_subalgoE6EdNS0_10empty_typeEbEEZZNS1_14partition_implILS5_6ELb0ES3_mN6thrust23THRUST_200600_302600_NS6detail15normal_iteratorINSA_10device_ptrIdEEEEPS6_SG_NS0_5tupleIJNSA_16discard_iteratorINSA_11use_defaultEEES6_EEENSH_IJSG_SG_EEES6_PlJNSB_9not_fun_tI7is_trueIdEEEEEE10hipError_tPvRmT3_T4_T5_T6_T7_T9_mT8_P12ihipStream_tbDpT10_ENKUlT_T0_E_clISt17integral_constantIbLb0EES1B_EEDaS16_S17_EUlS16_E_NS1_11comp_targetILNS1_3genE9ELNS1_11target_archE1100ELNS1_3gpuE3ELNS1_3repE0EEENS1_30default_config_static_selectorELNS0_4arch9wavefront6targetE0EEEvT1_
                                        ; -- End function
	.set _ZN7rocprim17ROCPRIM_400000_NS6detail17trampoline_kernelINS0_14default_configENS1_25partition_config_selectorILNS1_17partition_subalgoE6EdNS0_10empty_typeEbEEZZNS1_14partition_implILS5_6ELb0ES3_mN6thrust23THRUST_200600_302600_NS6detail15normal_iteratorINSA_10device_ptrIdEEEEPS6_SG_NS0_5tupleIJNSA_16discard_iteratorINSA_11use_defaultEEES6_EEENSH_IJSG_SG_EEES6_PlJNSB_9not_fun_tI7is_trueIdEEEEEE10hipError_tPvRmT3_T4_T5_T6_T7_T9_mT8_P12ihipStream_tbDpT10_ENKUlT_T0_E_clISt17integral_constantIbLb0EES1B_EEDaS16_S17_EUlS16_E_NS1_11comp_targetILNS1_3genE9ELNS1_11target_archE1100ELNS1_3gpuE3ELNS1_3repE0EEENS1_30default_config_static_selectorELNS0_4arch9wavefront6targetE0EEEvT1_.num_vgpr, 0
	.set _ZN7rocprim17ROCPRIM_400000_NS6detail17trampoline_kernelINS0_14default_configENS1_25partition_config_selectorILNS1_17partition_subalgoE6EdNS0_10empty_typeEbEEZZNS1_14partition_implILS5_6ELb0ES3_mN6thrust23THRUST_200600_302600_NS6detail15normal_iteratorINSA_10device_ptrIdEEEEPS6_SG_NS0_5tupleIJNSA_16discard_iteratorINSA_11use_defaultEEES6_EEENSH_IJSG_SG_EEES6_PlJNSB_9not_fun_tI7is_trueIdEEEEEE10hipError_tPvRmT3_T4_T5_T6_T7_T9_mT8_P12ihipStream_tbDpT10_ENKUlT_T0_E_clISt17integral_constantIbLb0EES1B_EEDaS16_S17_EUlS16_E_NS1_11comp_targetILNS1_3genE9ELNS1_11target_archE1100ELNS1_3gpuE3ELNS1_3repE0EEENS1_30default_config_static_selectorELNS0_4arch9wavefront6targetE0EEEvT1_.num_agpr, 0
	.set _ZN7rocprim17ROCPRIM_400000_NS6detail17trampoline_kernelINS0_14default_configENS1_25partition_config_selectorILNS1_17partition_subalgoE6EdNS0_10empty_typeEbEEZZNS1_14partition_implILS5_6ELb0ES3_mN6thrust23THRUST_200600_302600_NS6detail15normal_iteratorINSA_10device_ptrIdEEEEPS6_SG_NS0_5tupleIJNSA_16discard_iteratorINSA_11use_defaultEEES6_EEENSH_IJSG_SG_EEES6_PlJNSB_9not_fun_tI7is_trueIdEEEEEE10hipError_tPvRmT3_T4_T5_T6_T7_T9_mT8_P12ihipStream_tbDpT10_ENKUlT_T0_E_clISt17integral_constantIbLb0EES1B_EEDaS16_S17_EUlS16_E_NS1_11comp_targetILNS1_3genE9ELNS1_11target_archE1100ELNS1_3gpuE3ELNS1_3repE0EEENS1_30default_config_static_selectorELNS0_4arch9wavefront6targetE0EEEvT1_.numbered_sgpr, 0
	.set _ZN7rocprim17ROCPRIM_400000_NS6detail17trampoline_kernelINS0_14default_configENS1_25partition_config_selectorILNS1_17partition_subalgoE6EdNS0_10empty_typeEbEEZZNS1_14partition_implILS5_6ELb0ES3_mN6thrust23THRUST_200600_302600_NS6detail15normal_iteratorINSA_10device_ptrIdEEEEPS6_SG_NS0_5tupleIJNSA_16discard_iteratorINSA_11use_defaultEEES6_EEENSH_IJSG_SG_EEES6_PlJNSB_9not_fun_tI7is_trueIdEEEEEE10hipError_tPvRmT3_T4_T5_T6_T7_T9_mT8_P12ihipStream_tbDpT10_ENKUlT_T0_E_clISt17integral_constantIbLb0EES1B_EEDaS16_S17_EUlS16_E_NS1_11comp_targetILNS1_3genE9ELNS1_11target_archE1100ELNS1_3gpuE3ELNS1_3repE0EEENS1_30default_config_static_selectorELNS0_4arch9wavefront6targetE0EEEvT1_.num_named_barrier, 0
	.set _ZN7rocprim17ROCPRIM_400000_NS6detail17trampoline_kernelINS0_14default_configENS1_25partition_config_selectorILNS1_17partition_subalgoE6EdNS0_10empty_typeEbEEZZNS1_14partition_implILS5_6ELb0ES3_mN6thrust23THRUST_200600_302600_NS6detail15normal_iteratorINSA_10device_ptrIdEEEEPS6_SG_NS0_5tupleIJNSA_16discard_iteratorINSA_11use_defaultEEES6_EEENSH_IJSG_SG_EEES6_PlJNSB_9not_fun_tI7is_trueIdEEEEEE10hipError_tPvRmT3_T4_T5_T6_T7_T9_mT8_P12ihipStream_tbDpT10_ENKUlT_T0_E_clISt17integral_constantIbLb0EES1B_EEDaS16_S17_EUlS16_E_NS1_11comp_targetILNS1_3genE9ELNS1_11target_archE1100ELNS1_3gpuE3ELNS1_3repE0EEENS1_30default_config_static_selectorELNS0_4arch9wavefront6targetE0EEEvT1_.private_seg_size, 0
	.set _ZN7rocprim17ROCPRIM_400000_NS6detail17trampoline_kernelINS0_14default_configENS1_25partition_config_selectorILNS1_17partition_subalgoE6EdNS0_10empty_typeEbEEZZNS1_14partition_implILS5_6ELb0ES3_mN6thrust23THRUST_200600_302600_NS6detail15normal_iteratorINSA_10device_ptrIdEEEEPS6_SG_NS0_5tupleIJNSA_16discard_iteratorINSA_11use_defaultEEES6_EEENSH_IJSG_SG_EEES6_PlJNSB_9not_fun_tI7is_trueIdEEEEEE10hipError_tPvRmT3_T4_T5_T6_T7_T9_mT8_P12ihipStream_tbDpT10_ENKUlT_T0_E_clISt17integral_constantIbLb0EES1B_EEDaS16_S17_EUlS16_E_NS1_11comp_targetILNS1_3genE9ELNS1_11target_archE1100ELNS1_3gpuE3ELNS1_3repE0EEENS1_30default_config_static_selectorELNS0_4arch9wavefront6targetE0EEEvT1_.uses_vcc, 0
	.set _ZN7rocprim17ROCPRIM_400000_NS6detail17trampoline_kernelINS0_14default_configENS1_25partition_config_selectorILNS1_17partition_subalgoE6EdNS0_10empty_typeEbEEZZNS1_14partition_implILS5_6ELb0ES3_mN6thrust23THRUST_200600_302600_NS6detail15normal_iteratorINSA_10device_ptrIdEEEEPS6_SG_NS0_5tupleIJNSA_16discard_iteratorINSA_11use_defaultEEES6_EEENSH_IJSG_SG_EEES6_PlJNSB_9not_fun_tI7is_trueIdEEEEEE10hipError_tPvRmT3_T4_T5_T6_T7_T9_mT8_P12ihipStream_tbDpT10_ENKUlT_T0_E_clISt17integral_constantIbLb0EES1B_EEDaS16_S17_EUlS16_E_NS1_11comp_targetILNS1_3genE9ELNS1_11target_archE1100ELNS1_3gpuE3ELNS1_3repE0EEENS1_30default_config_static_selectorELNS0_4arch9wavefront6targetE0EEEvT1_.uses_flat_scratch, 0
	.set _ZN7rocprim17ROCPRIM_400000_NS6detail17trampoline_kernelINS0_14default_configENS1_25partition_config_selectorILNS1_17partition_subalgoE6EdNS0_10empty_typeEbEEZZNS1_14partition_implILS5_6ELb0ES3_mN6thrust23THRUST_200600_302600_NS6detail15normal_iteratorINSA_10device_ptrIdEEEEPS6_SG_NS0_5tupleIJNSA_16discard_iteratorINSA_11use_defaultEEES6_EEENSH_IJSG_SG_EEES6_PlJNSB_9not_fun_tI7is_trueIdEEEEEE10hipError_tPvRmT3_T4_T5_T6_T7_T9_mT8_P12ihipStream_tbDpT10_ENKUlT_T0_E_clISt17integral_constantIbLb0EES1B_EEDaS16_S17_EUlS16_E_NS1_11comp_targetILNS1_3genE9ELNS1_11target_archE1100ELNS1_3gpuE3ELNS1_3repE0EEENS1_30default_config_static_selectorELNS0_4arch9wavefront6targetE0EEEvT1_.has_dyn_sized_stack, 0
	.set _ZN7rocprim17ROCPRIM_400000_NS6detail17trampoline_kernelINS0_14default_configENS1_25partition_config_selectorILNS1_17partition_subalgoE6EdNS0_10empty_typeEbEEZZNS1_14partition_implILS5_6ELb0ES3_mN6thrust23THRUST_200600_302600_NS6detail15normal_iteratorINSA_10device_ptrIdEEEEPS6_SG_NS0_5tupleIJNSA_16discard_iteratorINSA_11use_defaultEEES6_EEENSH_IJSG_SG_EEES6_PlJNSB_9not_fun_tI7is_trueIdEEEEEE10hipError_tPvRmT3_T4_T5_T6_T7_T9_mT8_P12ihipStream_tbDpT10_ENKUlT_T0_E_clISt17integral_constantIbLb0EES1B_EEDaS16_S17_EUlS16_E_NS1_11comp_targetILNS1_3genE9ELNS1_11target_archE1100ELNS1_3gpuE3ELNS1_3repE0EEENS1_30default_config_static_selectorELNS0_4arch9wavefront6targetE0EEEvT1_.has_recursion, 0
	.set _ZN7rocprim17ROCPRIM_400000_NS6detail17trampoline_kernelINS0_14default_configENS1_25partition_config_selectorILNS1_17partition_subalgoE6EdNS0_10empty_typeEbEEZZNS1_14partition_implILS5_6ELb0ES3_mN6thrust23THRUST_200600_302600_NS6detail15normal_iteratorINSA_10device_ptrIdEEEEPS6_SG_NS0_5tupleIJNSA_16discard_iteratorINSA_11use_defaultEEES6_EEENSH_IJSG_SG_EEES6_PlJNSB_9not_fun_tI7is_trueIdEEEEEE10hipError_tPvRmT3_T4_T5_T6_T7_T9_mT8_P12ihipStream_tbDpT10_ENKUlT_T0_E_clISt17integral_constantIbLb0EES1B_EEDaS16_S17_EUlS16_E_NS1_11comp_targetILNS1_3genE9ELNS1_11target_archE1100ELNS1_3gpuE3ELNS1_3repE0EEENS1_30default_config_static_selectorELNS0_4arch9wavefront6targetE0EEEvT1_.has_indirect_call, 0
	.section	.AMDGPU.csdata,"",@progbits
; Kernel info:
; codeLenInByte = 0
; TotalNumSgprs: 0
; NumVgprs: 0
; ScratchSize: 0
; MemoryBound: 0
; FloatMode: 240
; IeeeMode: 1
; LDSByteSize: 0 bytes/workgroup (compile time only)
; SGPRBlocks: 0
; VGPRBlocks: 0
; NumSGPRsForWavesPerEU: 1
; NumVGPRsForWavesPerEU: 1
; Occupancy: 16
; WaveLimiterHint : 0
; COMPUTE_PGM_RSRC2:SCRATCH_EN: 0
; COMPUTE_PGM_RSRC2:USER_SGPR: 2
; COMPUTE_PGM_RSRC2:TRAP_HANDLER: 0
; COMPUTE_PGM_RSRC2:TGID_X_EN: 1
; COMPUTE_PGM_RSRC2:TGID_Y_EN: 0
; COMPUTE_PGM_RSRC2:TGID_Z_EN: 0
; COMPUTE_PGM_RSRC2:TIDIG_COMP_CNT: 0
	.section	.text._ZN7rocprim17ROCPRIM_400000_NS6detail17trampoline_kernelINS0_14default_configENS1_25partition_config_selectorILNS1_17partition_subalgoE6EdNS0_10empty_typeEbEEZZNS1_14partition_implILS5_6ELb0ES3_mN6thrust23THRUST_200600_302600_NS6detail15normal_iteratorINSA_10device_ptrIdEEEEPS6_SG_NS0_5tupleIJNSA_16discard_iteratorINSA_11use_defaultEEES6_EEENSH_IJSG_SG_EEES6_PlJNSB_9not_fun_tI7is_trueIdEEEEEE10hipError_tPvRmT3_T4_T5_T6_T7_T9_mT8_P12ihipStream_tbDpT10_ENKUlT_T0_E_clISt17integral_constantIbLb0EES1B_EEDaS16_S17_EUlS16_E_NS1_11comp_targetILNS1_3genE8ELNS1_11target_archE1030ELNS1_3gpuE2ELNS1_3repE0EEENS1_30default_config_static_selectorELNS0_4arch9wavefront6targetE0EEEvT1_,"axG",@progbits,_ZN7rocprim17ROCPRIM_400000_NS6detail17trampoline_kernelINS0_14default_configENS1_25partition_config_selectorILNS1_17partition_subalgoE6EdNS0_10empty_typeEbEEZZNS1_14partition_implILS5_6ELb0ES3_mN6thrust23THRUST_200600_302600_NS6detail15normal_iteratorINSA_10device_ptrIdEEEEPS6_SG_NS0_5tupleIJNSA_16discard_iteratorINSA_11use_defaultEEES6_EEENSH_IJSG_SG_EEES6_PlJNSB_9not_fun_tI7is_trueIdEEEEEE10hipError_tPvRmT3_T4_T5_T6_T7_T9_mT8_P12ihipStream_tbDpT10_ENKUlT_T0_E_clISt17integral_constantIbLb0EES1B_EEDaS16_S17_EUlS16_E_NS1_11comp_targetILNS1_3genE8ELNS1_11target_archE1030ELNS1_3gpuE2ELNS1_3repE0EEENS1_30default_config_static_selectorELNS0_4arch9wavefront6targetE0EEEvT1_,comdat
	.protected	_ZN7rocprim17ROCPRIM_400000_NS6detail17trampoline_kernelINS0_14default_configENS1_25partition_config_selectorILNS1_17partition_subalgoE6EdNS0_10empty_typeEbEEZZNS1_14partition_implILS5_6ELb0ES3_mN6thrust23THRUST_200600_302600_NS6detail15normal_iteratorINSA_10device_ptrIdEEEEPS6_SG_NS0_5tupleIJNSA_16discard_iteratorINSA_11use_defaultEEES6_EEENSH_IJSG_SG_EEES6_PlJNSB_9not_fun_tI7is_trueIdEEEEEE10hipError_tPvRmT3_T4_T5_T6_T7_T9_mT8_P12ihipStream_tbDpT10_ENKUlT_T0_E_clISt17integral_constantIbLb0EES1B_EEDaS16_S17_EUlS16_E_NS1_11comp_targetILNS1_3genE8ELNS1_11target_archE1030ELNS1_3gpuE2ELNS1_3repE0EEENS1_30default_config_static_selectorELNS0_4arch9wavefront6targetE0EEEvT1_ ; -- Begin function _ZN7rocprim17ROCPRIM_400000_NS6detail17trampoline_kernelINS0_14default_configENS1_25partition_config_selectorILNS1_17partition_subalgoE6EdNS0_10empty_typeEbEEZZNS1_14partition_implILS5_6ELb0ES3_mN6thrust23THRUST_200600_302600_NS6detail15normal_iteratorINSA_10device_ptrIdEEEEPS6_SG_NS0_5tupleIJNSA_16discard_iteratorINSA_11use_defaultEEES6_EEENSH_IJSG_SG_EEES6_PlJNSB_9not_fun_tI7is_trueIdEEEEEE10hipError_tPvRmT3_T4_T5_T6_T7_T9_mT8_P12ihipStream_tbDpT10_ENKUlT_T0_E_clISt17integral_constantIbLb0EES1B_EEDaS16_S17_EUlS16_E_NS1_11comp_targetILNS1_3genE8ELNS1_11target_archE1030ELNS1_3gpuE2ELNS1_3repE0EEENS1_30default_config_static_selectorELNS0_4arch9wavefront6targetE0EEEvT1_
	.globl	_ZN7rocprim17ROCPRIM_400000_NS6detail17trampoline_kernelINS0_14default_configENS1_25partition_config_selectorILNS1_17partition_subalgoE6EdNS0_10empty_typeEbEEZZNS1_14partition_implILS5_6ELb0ES3_mN6thrust23THRUST_200600_302600_NS6detail15normal_iteratorINSA_10device_ptrIdEEEEPS6_SG_NS0_5tupleIJNSA_16discard_iteratorINSA_11use_defaultEEES6_EEENSH_IJSG_SG_EEES6_PlJNSB_9not_fun_tI7is_trueIdEEEEEE10hipError_tPvRmT3_T4_T5_T6_T7_T9_mT8_P12ihipStream_tbDpT10_ENKUlT_T0_E_clISt17integral_constantIbLb0EES1B_EEDaS16_S17_EUlS16_E_NS1_11comp_targetILNS1_3genE8ELNS1_11target_archE1030ELNS1_3gpuE2ELNS1_3repE0EEENS1_30default_config_static_selectorELNS0_4arch9wavefront6targetE0EEEvT1_
	.p2align	8
	.type	_ZN7rocprim17ROCPRIM_400000_NS6detail17trampoline_kernelINS0_14default_configENS1_25partition_config_selectorILNS1_17partition_subalgoE6EdNS0_10empty_typeEbEEZZNS1_14partition_implILS5_6ELb0ES3_mN6thrust23THRUST_200600_302600_NS6detail15normal_iteratorINSA_10device_ptrIdEEEEPS6_SG_NS0_5tupleIJNSA_16discard_iteratorINSA_11use_defaultEEES6_EEENSH_IJSG_SG_EEES6_PlJNSB_9not_fun_tI7is_trueIdEEEEEE10hipError_tPvRmT3_T4_T5_T6_T7_T9_mT8_P12ihipStream_tbDpT10_ENKUlT_T0_E_clISt17integral_constantIbLb0EES1B_EEDaS16_S17_EUlS16_E_NS1_11comp_targetILNS1_3genE8ELNS1_11target_archE1030ELNS1_3gpuE2ELNS1_3repE0EEENS1_30default_config_static_selectorELNS0_4arch9wavefront6targetE0EEEvT1_,@function
_ZN7rocprim17ROCPRIM_400000_NS6detail17trampoline_kernelINS0_14default_configENS1_25partition_config_selectorILNS1_17partition_subalgoE6EdNS0_10empty_typeEbEEZZNS1_14partition_implILS5_6ELb0ES3_mN6thrust23THRUST_200600_302600_NS6detail15normal_iteratorINSA_10device_ptrIdEEEEPS6_SG_NS0_5tupleIJNSA_16discard_iteratorINSA_11use_defaultEEES6_EEENSH_IJSG_SG_EEES6_PlJNSB_9not_fun_tI7is_trueIdEEEEEE10hipError_tPvRmT3_T4_T5_T6_T7_T9_mT8_P12ihipStream_tbDpT10_ENKUlT_T0_E_clISt17integral_constantIbLb0EES1B_EEDaS16_S17_EUlS16_E_NS1_11comp_targetILNS1_3genE8ELNS1_11target_archE1030ELNS1_3gpuE2ELNS1_3repE0EEENS1_30default_config_static_selectorELNS0_4arch9wavefront6targetE0EEEvT1_: ; @_ZN7rocprim17ROCPRIM_400000_NS6detail17trampoline_kernelINS0_14default_configENS1_25partition_config_selectorILNS1_17partition_subalgoE6EdNS0_10empty_typeEbEEZZNS1_14partition_implILS5_6ELb0ES3_mN6thrust23THRUST_200600_302600_NS6detail15normal_iteratorINSA_10device_ptrIdEEEEPS6_SG_NS0_5tupleIJNSA_16discard_iteratorINSA_11use_defaultEEES6_EEENSH_IJSG_SG_EEES6_PlJNSB_9not_fun_tI7is_trueIdEEEEEE10hipError_tPvRmT3_T4_T5_T6_T7_T9_mT8_P12ihipStream_tbDpT10_ENKUlT_T0_E_clISt17integral_constantIbLb0EES1B_EEDaS16_S17_EUlS16_E_NS1_11comp_targetILNS1_3genE8ELNS1_11target_archE1030ELNS1_3gpuE2ELNS1_3repE0EEENS1_30default_config_static_selectorELNS0_4arch9wavefront6targetE0EEEvT1_
; %bb.0:
	.section	.rodata,"a",@progbits
	.p2align	6, 0x0
	.amdhsa_kernel _ZN7rocprim17ROCPRIM_400000_NS6detail17trampoline_kernelINS0_14default_configENS1_25partition_config_selectorILNS1_17partition_subalgoE6EdNS0_10empty_typeEbEEZZNS1_14partition_implILS5_6ELb0ES3_mN6thrust23THRUST_200600_302600_NS6detail15normal_iteratorINSA_10device_ptrIdEEEEPS6_SG_NS0_5tupleIJNSA_16discard_iteratorINSA_11use_defaultEEES6_EEENSH_IJSG_SG_EEES6_PlJNSB_9not_fun_tI7is_trueIdEEEEEE10hipError_tPvRmT3_T4_T5_T6_T7_T9_mT8_P12ihipStream_tbDpT10_ENKUlT_T0_E_clISt17integral_constantIbLb0EES1B_EEDaS16_S17_EUlS16_E_NS1_11comp_targetILNS1_3genE8ELNS1_11target_archE1030ELNS1_3gpuE2ELNS1_3repE0EEENS1_30default_config_static_selectorELNS0_4arch9wavefront6targetE0EEEvT1_
		.amdhsa_group_segment_fixed_size 0
		.amdhsa_private_segment_fixed_size 0
		.amdhsa_kernarg_size 120
		.amdhsa_user_sgpr_count 2
		.amdhsa_user_sgpr_dispatch_ptr 0
		.amdhsa_user_sgpr_queue_ptr 0
		.amdhsa_user_sgpr_kernarg_segment_ptr 1
		.amdhsa_user_sgpr_dispatch_id 0
		.amdhsa_user_sgpr_private_segment_size 0
		.amdhsa_wavefront_size32 1
		.amdhsa_uses_dynamic_stack 0
		.amdhsa_enable_private_segment 0
		.amdhsa_system_sgpr_workgroup_id_x 1
		.amdhsa_system_sgpr_workgroup_id_y 0
		.amdhsa_system_sgpr_workgroup_id_z 0
		.amdhsa_system_sgpr_workgroup_info 0
		.amdhsa_system_vgpr_workitem_id 0
		.amdhsa_next_free_vgpr 1
		.amdhsa_next_free_sgpr 1
		.amdhsa_reserve_vcc 0
		.amdhsa_float_round_mode_32 0
		.amdhsa_float_round_mode_16_64 0
		.amdhsa_float_denorm_mode_32 3
		.amdhsa_float_denorm_mode_16_64 3
		.amdhsa_fp16_overflow 0
		.amdhsa_workgroup_processor_mode 1
		.amdhsa_memory_ordered 1
		.amdhsa_forward_progress 1
		.amdhsa_inst_pref_size 0
		.amdhsa_round_robin_scheduling 0
		.amdhsa_exception_fp_ieee_invalid_op 0
		.amdhsa_exception_fp_denorm_src 0
		.amdhsa_exception_fp_ieee_div_zero 0
		.amdhsa_exception_fp_ieee_overflow 0
		.amdhsa_exception_fp_ieee_underflow 0
		.amdhsa_exception_fp_ieee_inexact 0
		.amdhsa_exception_int_div_zero 0
	.end_amdhsa_kernel
	.section	.text._ZN7rocprim17ROCPRIM_400000_NS6detail17trampoline_kernelINS0_14default_configENS1_25partition_config_selectorILNS1_17partition_subalgoE6EdNS0_10empty_typeEbEEZZNS1_14partition_implILS5_6ELb0ES3_mN6thrust23THRUST_200600_302600_NS6detail15normal_iteratorINSA_10device_ptrIdEEEEPS6_SG_NS0_5tupleIJNSA_16discard_iteratorINSA_11use_defaultEEES6_EEENSH_IJSG_SG_EEES6_PlJNSB_9not_fun_tI7is_trueIdEEEEEE10hipError_tPvRmT3_T4_T5_T6_T7_T9_mT8_P12ihipStream_tbDpT10_ENKUlT_T0_E_clISt17integral_constantIbLb0EES1B_EEDaS16_S17_EUlS16_E_NS1_11comp_targetILNS1_3genE8ELNS1_11target_archE1030ELNS1_3gpuE2ELNS1_3repE0EEENS1_30default_config_static_selectorELNS0_4arch9wavefront6targetE0EEEvT1_,"axG",@progbits,_ZN7rocprim17ROCPRIM_400000_NS6detail17trampoline_kernelINS0_14default_configENS1_25partition_config_selectorILNS1_17partition_subalgoE6EdNS0_10empty_typeEbEEZZNS1_14partition_implILS5_6ELb0ES3_mN6thrust23THRUST_200600_302600_NS6detail15normal_iteratorINSA_10device_ptrIdEEEEPS6_SG_NS0_5tupleIJNSA_16discard_iteratorINSA_11use_defaultEEES6_EEENSH_IJSG_SG_EEES6_PlJNSB_9not_fun_tI7is_trueIdEEEEEE10hipError_tPvRmT3_T4_T5_T6_T7_T9_mT8_P12ihipStream_tbDpT10_ENKUlT_T0_E_clISt17integral_constantIbLb0EES1B_EEDaS16_S17_EUlS16_E_NS1_11comp_targetILNS1_3genE8ELNS1_11target_archE1030ELNS1_3gpuE2ELNS1_3repE0EEENS1_30default_config_static_selectorELNS0_4arch9wavefront6targetE0EEEvT1_,comdat
.Lfunc_end2084:
	.size	_ZN7rocprim17ROCPRIM_400000_NS6detail17trampoline_kernelINS0_14default_configENS1_25partition_config_selectorILNS1_17partition_subalgoE6EdNS0_10empty_typeEbEEZZNS1_14partition_implILS5_6ELb0ES3_mN6thrust23THRUST_200600_302600_NS6detail15normal_iteratorINSA_10device_ptrIdEEEEPS6_SG_NS0_5tupleIJNSA_16discard_iteratorINSA_11use_defaultEEES6_EEENSH_IJSG_SG_EEES6_PlJNSB_9not_fun_tI7is_trueIdEEEEEE10hipError_tPvRmT3_T4_T5_T6_T7_T9_mT8_P12ihipStream_tbDpT10_ENKUlT_T0_E_clISt17integral_constantIbLb0EES1B_EEDaS16_S17_EUlS16_E_NS1_11comp_targetILNS1_3genE8ELNS1_11target_archE1030ELNS1_3gpuE2ELNS1_3repE0EEENS1_30default_config_static_selectorELNS0_4arch9wavefront6targetE0EEEvT1_, .Lfunc_end2084-_ZN7rocprim17ROCPRIM_400000_NS6detail17trampoline_kernelINS0_14default_configENS1_25partition_config_selectorILNS1_17partition_subalgoE6EdNS0_10empty_typeEbEEZZNS1_14partition_implILS5_6ELb0ES3_mN6thrust23THRUST_200600_302600_NS6detail15normal_iteratorINSA_10device_ptrIdEEEEPS6_SG_NS0_5tupleIJNSA_16discard_iteratorINSA_11use_defaultEEES6_EEENSH_IJSG_SG_EEES6_PlJNSB_9not_fun_tI7is_trueIdEEEEEE10hipError_tPvRmT3_T4_T5_T6_T7_T9_mT8_P12ihipStream_tbDpT10_ENKUlT_T0_E_clISt17integral_constantIbLb0EES1B_EEDaS16_S17_EUlS16_E_NS1_11comp_targetILNS1_3genE8ELNS1_11target_archE1030ELNS1_3gpuE2ELNS1_3repE0EEENS1_30default_config_static_selectorELNS0_4arch9wavefront6targetE0EEEvT1_
                                        ; -- End function
	.set _ZN7rocprim17ROCPRIM_400000_NS6detail17trampoline_kernelINS0_14default_configENS1_25partition_config_selectorILNS1_17partition_subalgoE6EdNS0_10empty_typeEbEEZZNS1_14partition_implILS5_6ELb0ES3_mN6thrust23THRUST_200600_302600_NS6detail15normal_iteratorINSA_10device_ptrIdEEEEPS6_SG_NS0_5tupleIJNSA_16discard_iteratorINSA_11use_defaultEEES6_EEENSH_IJSG_SG_EEES6_PlJNSB_9not_fun_tI7is_trueIdEEEEEE10hipError_tPvRmT3_T4_T5_T6_T7_T9_mT8_P12ihipStream_tbDpT10_ENKUlT_T0_E_clISt17integral_constantIbLb0EES1B_EEDaS16_S17_EUlS16_E_NS1_11comp_targetILNS1_3genE8ELNS1_11target_archE1030ELNS1_3gpuE2ELNS1_3repE0EEENS1_30default_config_static_selectorELNS0_4arch9wavefront6targetE0EEEvT1_.num_vgpr, 0
	.set _ZN7rocprim17ROCPRIM_400000_NS6detail17trampoline_kernelINS0_14default_configENS1_25partition_config_selectorILNS1_17partition_subalgoE6EdNS0_10empty_typeEbEEZZNS1_14partition_implILS5_6ELb0ES3_mN6thrust23THRUST_200600_302600_NS6detail15normal_iteratorINSA_10device_ptrIdEEEEPS6_SG_NS0_5tupleIJNSA_16discard_iteratorINSA_11use_defaultEEES6_EEENSH_IJSG_SG_EEES6_PlJNSB_9not_fun_tI7is_trueIdEEEEEE10hipError_tPvRmT3_T4_T5_T6_T7_T9_mT8_P12ihipStream_tbDpT10_ENKUlT_T0_E_clISt17integral_constantIbLb0EES1B_EEDaS16_S17_EUlS16_E_NS1_11comp_targetILNS1_3genE8ELNS1_11target_archE1030ELNS1_3gpuE2ELNS1_3repE0EEENS1_30default_config_static_selectorELNS0_4arch9wavefront6targetE0EEEvT1_.num_agpr, 0
	.set _ZN7rocprim17ROCPRIM_400000_NS6detail17trampoline_kernelINS0_14default_configENS1_25partition_config_selectorILNS1_17partition_subalgoE6EdNS0_10empty_typeEbEEZZNS1_14partition_implILS5_6ELb0ES3_mN6thrust23THRUST_200600_302600_NS6detail15normal_iteratorINSA_10device_ptrIdEEEEPS6_SG_NS0_5tupleIJNSA_16discard_iteratorINSA_11use_defaultEEES6_EEENSH_IJSG_SG_EEES6_PlJNSB_9not_fun_tI7is_trueIdEEEEEE10hipError_tPvRmT3_T4_T5_T6_T7_T9_mT8_P12ihipStream_tbDpT10_ENKUlT_T0_E_clISt17integral_constantIbLb0EES1B_EEDaS16_S17_EUlS16_E_NS1_11comp_targetILNS1_3genE8ELNS1_11target_archE1030ELNS1_3gpuE2ELNS1_3repE0EEENS1_30default_config_static_selectorELNS0_4arch9wavefront6targetE0EEEvT1_.numbered_sgpr, 0
	.set _ZN7rocprim17ROCPRIM_400000_NS6detail17trampoline_kernelINS0_14default_configENS1_25partition_config_selectorILNS1_17partition_subalgoE6EdNS0_10empty_typeEbEEZZNS1_14partition_implILS5_6ELb0ES3_mN6thrust23THRUST_200600_302600_NS6detail15normal_iteratorINSA_10device_ptrIdEEEEPS6_SG_NS0_5tupleIJNSA_16discard_iteratorINSA_11use_defaultEEES6_EEENSH_IJSG_SG_EEES6_PlJNSB_9not_fun_tI7is_trueIdEEEEEE10hipError_tPvRmT3_T4_T5_T6_T7_T9_mT8_P12ihipStream_tbDpT10_ENKUlT_T0_E_clISt17integral_constantIbLb0EES1B_EEDaS16_S17_EUlS16_E_NS1_11comp_targetILNS1_3genE8ELNS1_11target_archE1030ELNS1_3gpuE2ELNS1_3repE0EEENS1_30default_config_static_selectorELNS0_4arch9wavefront6targetE0EEEvT1_.num_named_barrier, 0
	.set _ZN7rocprim17ROCPRIM_400000_NS6detail17trampoline_kernelINS0_14default_configENS1_25partition_config_selectorILNS1_17partition_subalgoE6EdNS0_10empty_typeEbEEZZNS1_14partition_implILS5_6ELb0ES3_mN6thrust23THRUST_200600_302600_NS6detail15normal_iteratorINSA_10device_ptrIdEEEEPS6_SG_NS0_5tupleIJNSA_16discard_iteratorINSA_11use_defaultEEES6_EEENSH_IJSG_SG_EEES6_PlJNSB_9not_fun_tI7is_trueIdEEEEEE10hipError_tPvRmT3_T4_T5_T6_T7_T9_mT8_P12ihipStream_tbDpT10_ENKUlT_T0_E_clISt17integral_constantIbLb0EES1B_EEDaS16_S17_EUlS16_E_NS1_11comp_targetILNS1_3genE8ELNS1_11target_archE1030ELNS1_3gpuE2ELNS1_3repE0EEENS1_30default_config_static_selectorELNS0_4arch9wavefront6targetE0EEEvT1_.private_seg_size, 0
	.set _ZN7rocprim17ROCPRIM_400000_NS6detail17trampoline_kernelINS0_14default_configENS1_25partition_config_selectorILNS1_17partition_subalgoE6EdNS0_10empty_typeEbEEZZNS1_14partition_implILS5_6ELb0ES3_mN6thrust23THRUST_200600_302600_NS6detail15normal_iteratorINSA_10device_ptrIdEEEEPS6_SG_NS0_5tupleIJNSA_16discard_iteratorINSA_11use_defaultEEES6_EEENSH_IJSG_SG_EEES6_PlJNSB_9not_fun_tI7is_trueIdEEEEEE10hipError_tPvRmT3_T4_T5_T6_T7_T9_mT8_P12ihipStream_tbDpT10_ENKUlT_T0_E_clISt17integral_constantIbLb0EES1B_EEDaS16_S17_EUlS16_E_NS1_11comp_targetILNS1_3genE8ELNS1_11target_archE1030ELNS1_3gpuE2ELNS1_3repE0EEENS1_30default_config_static_selectorELNS0_4arch9wavefront6targetE0EEEvT1_.uses_vcc, 0
	.set _ZN7rocprim17ROCPRIM_400000_NS6detail17trampoline_kernelINS0_14default_configENS1_25partition_config_selectorILNS1_17partition_subalgoE6EdNS0_10empty_typeEbEEZZNS1_14partition_implILS5_6ELb0ES3_mN6thrust23THRUST_200600_302600_NS6detail15normal_iteratorINSA_10device_ptrIdEEEEPS6_SG_NS0_5tupleIJNSA_16discard_iteratorINSA_11use_defaultEEES6_EEENSH_IJSG_SG_EEES6_PlJNSB_9not_fun_tI7is_trueIdEEEEEE10hipError_tPvRmT3_T4_T5_T6_T7_T9_mT8_P12ihipStream_tbDpT10_ENKUlT_T0_E_clISt17integral_constantIbLb0EES1B_EEDaS16_S17_EUlS16_E_NS1_11comp_targetILNS1_3genE8ELNS1_11target_archE1030ELNS1_3gpuE2ELNS1_3repE0EEENS1_30default_config_static_selectorELNS0_4arch9wavefront6targetE0EEEvT1_.uses_flat_scratch, 0
	.set _ZN7rocprim17ROCPRIM_400000_NS6detail17trampoline_kernelINS0_14default_configENS1_25partition_config_selectorILNS1_17partition_subalgoE6EdNS0_10empty_typeEbEEZZNS1_14partition_implILS5_6ELb0ES3_mN6thrust23THRUST_200600_302600_NS6detail15normal_iteratorINSA_10device_ptrIdEEEEPS6_SG_NS0_5tupleIJNSA_16discard_iteratorINSA_11use_defaultEEES6_EEENSH_IJSG_SG_EEES6_PlJNSB_9not_fun_tI7is_trueIdEEEEEE10hipError_tPvRmT3_T4_T5_T6_T7_T9_mT8_P12ihipStream_tbDpT10_ENKUlT_T0_E_clISt17integral_constantIbLb0EES1B_EEDaS16_S17_EUlS16_E_NS1_11comp_targetILNS1_3genE8ELNS1_11target_archE1030ELNS1_3gpuE2ELNS1_3repE0EEENS1_30default_config_static_selectorELNS0_4arch9wavefront6targetE0EEEvT1_.has_dyn_sized_stack, 0
	.set _ZN7rocprim17ROCPRIM_400000_NS6detail17trampoline_kernelINS0_14default_configENS1_25partition_config_selectorILNS1_17partition_subalgoE6EdNS0_10empty_typeEbEEZZNS1_14partition_implILS5_6ELb0ES3_mN6thrust23THRUST_200600_302600_NS6detail15normal_iteratorINSA_10device_ptrIdEEEEPS6_SG_NS0_5tupleIJNSA_16discard_iteratorINSA_11use_defaultEEES6_EEENSH_IJSG_SG_EEES6_PlJNSB_9not_fun_tI7is_trueIdEEEEEE10hipError_tPvRmT3_T4_T5_T6_T7_T9_mT8_P12ihipStream_tbDpT10_ENKUlT_T0_E_clISt17integral_constantIbLb0EES1B_EEDaS16_S17_EUlS16_E_NS1_11comp_targetILNS1_3genE8ELNS1_11target_archE1030ELNS1_3gpuE2ELNS1_3repE0EEENS1_30default_config_static_selectorELNS0_4arch9wavefront6targetE0EEEvT1_.has_recursion, 0
	.set _ZN7rocprim17ROCPRIM_400000_NS6detail17trampoline_kernelINS0_14default_configENS1_25partition_config_selectorILNS1_17partition_subalgoE6EdNS0_10empty_typeEbEEZZNS1_14partition_implILS5_6ELb0ES3_mN6thrust23THRUST_200600_302600_NS6detail15normal_iteratorINSA_10device_ptrIdEEEEPS6_SG_NS0_5tupleIJNSA_16discard_iteratorINSA_11use_defaultEEES6_EEENSH_IJSG_SG_EEES6_PlJNSB_9not_fun_tI7is_trueIdEEEEEE10hipError_tPvRmT3_T4_T5_T6_T7_T9_mT8_P12ihipStream_tbDpT10_ENKUlT_T0_E_clISt17integral_constantIbLb0EES1B_EEDaS16_S17_EUlS16_E_NS1_11comp_targetILNS1_3genE8ELNS1_11target_archE1030ELNS1_3gpuE2ELNS1_3repE0EEENS1_30default_config_static_selectorELNS0_4arch9wavefront6targetE0EEEvT1_.has_indirect_call, 0
	.section	.AMDGPU.csdata,"",@progbits
; Kernel info:
; codeLenInByte = 0
; TotalNumSgprs: 0
; NumVgprs: 0
; ScratchSize: 0
; MemoryBound: 0
; FloatMode: 240
; IeeeMode: 1
; LDSByteSize: 0 bytes/workgroup (compile time only)
; SGPRBlocks: 0
; VGPRBlocks: 0
; NumSGPRsForWavesPerEU: 1
; NumVGPRsForWavesPerEU: 1
; Occupancy: 16
; WaveLimiterHint : 0
; COMPUTE_PGM_RSRC2:SCRATCH_EN: 0
; COMPUTE_PGM_RSRC2:USER_SGPR: 2
; COMPUTE_PGM_RSRC2:TRAP_HANDLER: 0
; COMPUTE_PGM_RSRC2:TGID_X_EN: 1
; COMPUTE_PGM_RSRC2:TGID_Y_EN: 0
; COMPUTE_PGM_RSRC2:TGID_Z_EN: 0
; COMPUTE_PGM_RSRC2:TIDIG_COMP_CNT: 0
	.section	.text._ZN7rocprim17ROCPRIM_400000_NS6detail17trampoline_kernelINS0_14default_configENS1_25partition_config_selectorILNS1_17partition_subalgoE6EdNS0_10empty_typeEbEEZZNS1_14partition_implILS5_6ELb0ES3_mN6thrust23THRUST_200600_302600_NS6detail15normal_iteratorINSA_10device_ptrIdEEEEPS6_SG_NS0_5tupleIJNSA_16discard_iteratorINSA_11use_defaultEEES6_EEENSH_IJSG_SG_EEES6_PlJNSB_9not_fun_tI7is_trueIdEEEEEE10hipError_tPvRmT3_T4_T5_T6_T7_T9_mT8_P12ihipStream_tbDpT10_ENKUlT_T0_E_clISt17integral_constantIbLb1EES1B_EEDaS16_S17_EUlS16_E_NS1_11comp_targetILNS1_3genE0ELNS1_11target_archE4294967295ELNS1_3gpuE0ELNS1_3repE0EEENS1_30default_config_static_selectorELNS0_4arch9wavefront6targetE0EEEvT1_,"axG",@progbits,_ZN7rocprim17ROCPRIM_400000_NS6detail17trampoline_kernelINS0_14default_configENS1_25partition_config_selectorILNS1_17partition_subalgoE6EdNS0_10empty_typeEbEEZZNS1_14partition_implILS5_6ELb0ES3_mN6thrust23THRUST_200600_302600_NS6detail15normal_iteratorINSA_10device_ptrIdEEEEPS6_SG_NS0_5tupleIJNSA_16discard_iteratorINSA_11use_defaultEEES6_EEENSH_IJSG_SG_EEES6_PlJNSB_9not_fun_tI7is_trueIdEEEEEE10hipError_tPvRmT3_T4_T5_T6_T7_T9_mT8_P12ihipStream_tbDpT10_ENKUlT_T0_E_clISt17integral_constantIbLb1EES1B_EEDaS16_S17_EUlS16_E_NS1_11comp_targetILNS1_3genE0ELNS1_11target_archE4294967295ELNS1_3gpuE0ELNS1_3repE0EEENS1_30default_config_static_selectorELNS0_4arch9wavefront6targetE0EEEvT1_,comdat
	.protected	_ZN7rocprim17ROCPRIM_400000_NS6detail17trampoline_kernelINS0_14default_configENS1_25partition_config_selectorILNS1_17partition_subalgoE6EdNS0_10empty_typeEbEEZZNS1_14partition_implILS5_6ELb0ES3_mN6thrust23THRUST_200600_302600_NS6detail15normal_iteratorINSA_10device_ptrIdEEEEPS6_SG_NS0_5tupleIJNSA_16discard_iteratorINSA_11use_defaultEEES6_EEENSH_IJSG_SG_EEES6_PlJNSB_9not_fun_tI7is_trueIdEEEEEE10hipError_tPvRmT3_T4_T5_T6_T7_T9_mT8_P12ihipStream_tbDpT10_ENKUlT_T0_E_clISt17integral_constantIbLb1EES1B_EEDaS16_S17_EUlS16_E_NS1_11comp_targetILNS1_3genE0ELNS1_11target_archE4294967295ELNS1_3gpuE0ELNS1_3repE0EEENS1_30default_config_static_selectorELNS0_4arch9wavefront6targetE0EEEvT1_ ; -- Begin function _ZN7rocprim17ROCPRIM_400000_NS6detail17trampoline_kernelINS0_14default_configENS1_25partition_config_selectorILNS1_17partition_subalgoE6EdNS0_10empty_typeEbEEZZNS1_14partition_implILS5_6ELb0ES3_mN6thrust23THRUST_200600_302600_NS6detail15normal_iteratorINSA_10device_ptrIdEEEEPS6_SG_NS0_5tupleIJNSA_16discard_iteratorINSA_11use_defaultEEES6_EEENSH_IJSG_SG_EEES6_PlJNSB_9not_fun_tI7is_trueIdEEEEEE10hipError_tPvRmT3_T4_T5_T6_T7_T9_mT8_P12ihipStream_tbDpT10_ENKUlT_T0_E_clISt17integral_constantIbLb1EES1B_EEDaS16_S17_EUlS16_E_NS1_11comp_targetILNS1_3genE0ELNS1_11target_archE4294967295ELNS1_3gpuE0ELNS1_3repE0EEENS1_30default_config_static_selectorELNS0_4arch9wavefront6targetE0EEEvT1_
	.globl	_ZN7rocprim17ROCPRIM_400000_NS6detail17trampoline_kernelINS0_14default_configENS1_25partition_config_selectorILNS1_17partition_subalgoE6EdNS0_10empty_typeEbEEZZNS1_14partition_implILS5_6ELb0ES3_mN6thrust23THRUST_200600_302600_NS6detail15normal_iteratorINSA_10device_ptrIdEEEEPS6_SG_NS0_5tupleIJNSA_16discard_iteratorINSA_11use_defaultEEES6_EEENSH_IJSG_SG_EEES6_PlJNSB_9not_fun_tI7is_trueIdEEEEEE10hipError_tPvRmT3_T4_T5_T6_T7_T9_mT8_P12ihipStream_tbDpT10_ENKUlT_T0_E_clISt17integral_constantIbLb1EES1B_EEDaS16_S17_EUlS16_E_NS1_11comp_targetILNS1_3genE0ELNS1_11target_archE4294967295ELNS1_3gpuE0ELNS1_3repE0EEENS1_30default_config_static_selectorELNS0_4arch9wavefront6targetE0EEEvT1_
	.p2align	8
	.type	_ZN7rocprim17ROCPRIM_400000_NS6detail17trampoline_kernelINS0_14default_configENS1_25partition_config_selectorILNS1_17partition_subalgoE6EdNS0_10empty_typeEbEEZZNS1_14partition_implILS5_6ELb0ES3_mN6thrust23THRUST_200600_302600_NS6detail15normal_iteratorINSA_10device_ptrIdEEEEPS6_SG_NS0_5tupleIJNSA_16discard_iteratorINSA_11use_defaultEEES6_EEENSH_IJSG_SG_EEES6_PlJNSB_9not_fun_tI7is_trueIdEEEEEE10hipError_tPvRmT3_T4_T5_T6_T7_T9_mT8_P12ihipStream_tbDpT10_ENKUlT_T0_E_clISt17integral_constantIbLb1EES1B_EEDaS16_S17_EUlS16_E_NS1_11comp_targetILNS1_3genE0ELNS1_11target_archE4294967295ELNS1_3gpuE0ELNS1_3repE0EEENS1_30default_config_static_selectorELNS0_4arch9wavefront6targetE0EEEvT1_,@function
_ZN7rocprim17ROCPRIM_400000_NS6detail17trampoline_kernelINS0_14default_configENS1_25partition_config_selectorILNS1_17partition_subalgoE6EdNS0_10empty_typeEbEEZZNS1_14partition_implILS5_6ELb0ES3_mN6thrust23THRUST_200600_302600_NS6detail15normal_iteratorINSA_10device_ptrIdEEEEPS6_SG_NS0_5tupleIJNSA_16discard_iteratorINSA_11use_defaultEEES6_EEENSH_IJSG_SG_EEES6_PlJNSB_9not_fun_tI7is_trueIdEEEEEE10hipError_tPvRmT3_T4_T5_T6_T7_T9_mT8_P12ihipStream_tbDpT10_ENKUlT_T0_E_clISt17integral_constantIbLb1EES1B_EEDaS16_S17_EUlS16_E_NS1_11comp_targetILNS1_3genE0ELNS1_11target_archE4294967295ELNS1_3gpuE0ELNS1_3repE0EEENS1_30default_config_static_selectorELNS0_4arch9wavefront6targetE0EEEvT1_: ; @_ZN7rocprim17ROCPRIM_400000_NS6detail17trampoline_kernelINS0_14default_configENS1_25partition_config_selectorILNS1_17partition_subalgoE6EdNS0_10empty_typeEbEEZZNS1_14partition_implILS5_6ELb0ES3_mN6thrust23THRUST_200600_302600_NS6detail15normal_iteratorINSA_10device_ptrIdEEEEPS6_SG_NS0_5tupleIJNSA_16discard_iteratorINSA_11use_defaultEEES6_EEENSH_IJSG_SG_EEES6_PlJNSB_9not_fun_tI7is_trueIdEEEEEE10hipError_tPvRmT3_T4_T5_T6_T7_T9_mT8_P12ihipStream_tbDpT10_ENKUlT_T0_E_clISt17integral_constantIbLb1EES1B_EEDaS16_S17_EUlS16_E_NS1_11comp_targetILNS1_3genE0ELNS1_11target_archE4294967295ELNS1_3gpuE0ELNS1_3repE0EEENS1_30default_config_static_selectorELNS0_4arch9wavefront6targetE0EEEvT1_
; %bb.0:
	.section	.rodata,"a",@progbits
	.p2align	6, 0x0
	.amdhsa_kernel _ZN7rocprim17ROCPRIM_400000_NS6detail17trampoline_kernelINS0_14default_configENS1_25partition_config_selectorILNS1_17partition_subalgoE6EdNS0_10empty_typeEbEEZZNS1_14partition_implILS5_6ELb0ES3_mN6thrust23THRUST_200600_302600_NS6detail15normal_iteratorINSA_10device_ptrIdEEEEPS6_SG_NS0_5tupleIJNSA_16discard_iteratorINSA_11use_defaultEEES6_EEENSH_IJSG_SG_EEES6_PlJNSB_9not_fun_tI7is_trueIdEEEEEE10hipError_tPvRmT3_T4_T5_T6_T7_T9_mT8_P12ihipStream_tbDpT10_ENKUlT_T0_E_clISt17integral_constantIbLb1EES1B_EEDaS16_S17_EUlS16_E_NS1_11comp_targetILNS1_3genE0ELNS1_11target_archE4294967295ELNS1_3gpuE0ELNS1_3repE0EEENS1_30default_config_static_selectorELNS0_4arch9wavefront6targetE0EEEvT1_
		.amdhsa_group_segment_fixed_size 0
		.amdhsa_private_segment_fixed_size 0
		.amdhsa_kernarg_size 136
		.amdhsa_user_sgpr_count 2
		.amdhsa_user_sgpr_dispatch_ptr 0
		.amdhsa_user_sgpr_queue_ptr 0
		.amdhsa_user_sgpr_kernarg_segment_ptr 1
		.amdhsa_user_sgpr_dispatch_id 0
		.amdhsa_user_sgpr_private_segment_size 0
		.amdhsa_wavefront_size32 1
		.amdhsa_uses_dynamic_stack 0
		.amdhsa_enable_private_segment 0
		.amdhsa_system_sgpr_workgroup_id_x 1
		.amdhsa_system_sgpr_workgroup_id_y 0
		.amdhsa_system_sgpr_workgroup_id_z 0
		.amdhsa_system_sgpr_workgroup_info 0
		.amdhsa_system_vgpr_workitem_id 0
		.amdhsa_next_free_vgpr 1
		.amdhsa_next_free_sgpr 1
		.amdhsa_reserve_vcc 0
		.amdhsa_float_round_mode_32 0
		.amdhsa_float_round_mode_16_64 0
		.amdhsa_float_denorm_mode_32 3
		.amdhsa_float_denorm_mode_16_64 3
		.amdhsa_fp16_overflow 0
		.amdhsa_workgroup_processor_mode 1
		.amdhsa_memory_ordered 1
		.amdhsa_forward_progress 1
		.amdhsa_inst_pref_size 0
		.amdhsa_round_robin_scheduling 0
		.amdhsa_exception_fp_ieee_invalid_op 0
		.amdhsa_exception_fp_denorm_src 0
		.amdhsa_exception_fp_ieee_div_zero 0
		.amdhsa_exception_fp_ieee_overflow 0
		.amdhsa_exception_fp_ieee_underflow 0
		.amdhsa_exception_fp_ieee_inexact 0
		.amdhsa_exception_int_div_zero 0
	.end_amdhsa_kernel
	.section	.text._ZN7rocprim17ROCPRIM_400000_NS6detail17trampoline_kernelINS0_14default_configENS1_25partition_config_selectorILNS1_17partition_subalgoE6EdNS0_10empty_typeEbEEZZNS1_14partition_implILS5_6ELb0ES3_mN6thrust23THRUST_200600_302600_NS6detail15normal_iteratorINSA_10device_ptrIdEEEEPS6_SG_NS0_5tupleIJNSA_16discard_iteratorINSA_11use_defaultEEES6_EEENSH_IJSG_SG_EEES6_PlJNSB_9not_fun_tI7is_trueIdEEEEEE10hipError_tPvRmT3_T4_T5_T6_T7_T9_mT8_P12ihipStream_tbDpT10_ENKUlT_T0_E_clISt17integral_constantIbLb1EES1B_EEDaS16_S17_EUlS16_E_NS1_11comp_targetILNS1_3genE0ELNS1_11target_archE4294967295ELNS1_3gpuE0ELNS1_3repE0EEENS1_30default_config_static_selectorELNS0_4arch9wavefront6targetE0EEEvT1_,"axG",@progbits,_ZN7rocprim17ROCPRIM_400000_NS6detail17trampoline_kernelINS0_14default_configENS1_25partition_config_selectorILNS1_17partition_subalgoE6EdNS0_10empty_typeEbEEZZNS1_14partition_implILS5_6ELb0ES3_mN6thrust23THRUST_200600_302600_NS6detail15normal_iteratorINSA_10device_ptrIdEEEEPS6_SG_NS0_5tupleIJNSA_16discard_iteratorINSA_11use_defaultEEES6_EEENSH_IJSG_SG_EEES6_PlJNSB_9not_fun_tI7is_trueIdEEEEEE10hipError_tPvRmT3_T4_T5_T6_T7_T9_mT8_P12ihipStream_tbDpT10_ENKUlT_T0_E_clISt17integral_constantIbLb1EES1B_EEDaS16_S17_EUlS16_E_NS1_11comp_targetILNS1_3genE0ELNS1_11target_archE4294967295ELNS1_3gpuE0ELNS1_3repE0EEENS1_30default_config_static_selectorELNS0_4arch9wavefront6targetE0EEEvT1_,comdat
.Lfunc_end2085:
	.size	_ZN7rocprim17ROCPRIM_400000_NS6detail17trampoline_kernelINS0_14default_configENS1_25partition_config_selectorILNS1_17partition_subalgoE6EdNS0_10empty_typeEbEEZZNS1_14partition_implILS5_6ELb0ES3_mN6thrust23THRUST_200600_302600_NS6detail15normal_iteratorINSA_10device_ptrIdEEEEPS6_SG_NS0_5tupleIJNSA_16discard_iteratorINSA_11use_defaultEEES6_EEENSH_IJSG_SG_EEES6_PlJNSB_9not_fun_tI7is_trueIdEEEEEE10hipError_tPvRmT3_T4_T5_T6_T7_T9_mT8_P12ihipStream_tbDpT10_ENKUlT_T0_E_clISt17integral_constantIbLb1EES1B_EEDaS16_S17_EUlS16_E_NS1_11comp_targetILNS1_3genE0ELNS1_11target_archE4294967295ELNS1_3gpuE0ELNS1_3repE0EEENS1_30default_config_static_selectorELNS0_4arch9wavefront6targetE0EEEvT1_, .Lfunc_end2085-_ZN7rocprim17ROCPRIM_400000_NS6detail17trampoline_kernelINS0_14default_configENS1_25partition_config_selectorILNS1_17partition_subalgoE6EdNS0_10empty_typeEbEEZZNS1_14partition_implILS5_6ELb0ES3_mN6thrust23THRUST_200600_302600_NS6detail15normal_iteratorINSA_10device_ptrIdEEEEPS6_SG_NS0_5tupleIJNSA_16discard_iteratorINSA_11use_defaultEEES6_EEENSH_IJSG_SG_EEES6_PlJNSB_9not_fun_tI7is_trueIdEEEEEE10hipError_tPvRmT3_T4_T5_T6_T7_T9_mT8_P12ihipStream_tbDpT10_ENKUlT_T0_E_clISt17integral_constantIbLb1EES1B_EEDaS16_S17_EUlS16_E_NS1_11comp_targetILNS1_3genE0ELNS1_11target_archE4294967295ELNS1_3gpuE0ELNS1_3repE0EEENS1_30default_config_static_selectorELNS0_4arch9wavefront6targetE0EEEvT1_
                                        ; -- End function
	.set _ZN7rocprim17ROCPRIM_400000_NS6detail17trampoline_kernelINS0_14default_configENS1_25partition_config_selectorILNS1_17partition_subalgoE6EdNS0_10empty_typeEbEEZZNS1_14partition_implILS5_6ELb0ES3_mN6thrust23THRUST_200600_302600_NS6detail15normal_iteratorINSA_10device_ptrIdEEEEPS6_SG_NS0_5tupleIJNSA_16discard_iteratorINSA_11use_defaultEEES6_EEENSH_IJSG_SG_EEES6_PlJNSB_9not_fun_tI7is_trueIdEEEEEE10hipError_tPvRmT3_T4_T5_T6_T7_T9_mT8_P12ihipStream_tbDpT10_ENKUlT_T0_E_clISt17integral_constantIbLb1EES1B_EEDaS16_S17_EUlS16_E_NS1_11comp_targetILNS1_3genE0ELNS1_11target_archE4294967295ELNS1_3gpuE0ELNS1_3repE0EEENS1_30default_config_static_selectorELNS0_4arch9wavefront6targetE0EEEvT1_.num_vgpr, 0
	.set _ZN7rocprim17ROCPRIM_400000_NS6detail17trampoline_kernelINS0_14default_configENS1_25partition_config_selectorILNS1_17partition_subalgoE6EdNS0_10empty_typeEbEEZZNS1_14partition_implILS5_6ELb0ES3_mN6thrust23THRUST_200600_302600_NS6detail15normal_iteratorINSA_10device_ptrIdEEEEPS6_SG_NS0_5tupleIJNSA_16discard_iteratorINSA_11use_defaultEEES6_EEENSH_IJSG_SG_EEES6_PlJNSB_9not_fun_tI7is_trueIdEEEEEE10hipError_tPvRmT3_T4_T5_T6_T7_T9_mT8_P12ihipStream_tbDpT10_ENKUlT_T0_E_clISt17integral_constantIbLb1EES1B_EEDaS16_S17_EUlS16_E_NS1_11comp_targetILNS1_3genE0ELNS1_11target_archE4294967295ELNS1_3gpuE0ELNS1_3repE0EEENS1_30default_config_static_selectorELNS0_4arch9wavefront6targetE0EEEvT1_.num_agpr, 0
	.set _ZN7rocprim17ROCPRIM_400000_NS6detail17trampoline_kernelINS0_14default_configENS1_25partition_config_selectorILNS1_17partition_subalgoE6EdNS0_10empty_typeEbEEZZNS1_14partition_implILS5_6ELb0ES3_mN6thrust23THRUST_200600_302600_NS6detail15normal_iteratorINSA_10device_ptrIdEEEEPS6_SG_NS0_5tupleIJNSA_16discard_iteratorINSA_11use_defaultEEES6_EEENSH_IJSG_SG_EEES6_PlJNSB_9not_fun_tI7is_trueIdEEEEEE10hipError_tPvRmT3_T4_T5_T6_T7_T9_mT8_P12ihipStream_tbDpT10_ENKUlT_T0_E_clISt17integral_constantIbLb1EES1B_EEDaS16_S17_EUlS16_E_NS1_11comp_targetILNS1_3genE0ELNS1_11target_archE4294967295ELNS1_3gpuE0ELNS1_3repE0EEENS1_30default_config_static_selectorELNS0_4arch9wavefront6targetE0EEEvT1_.numbered_sgpr, 0
	.set _ZN7rocprim17ROCPRIM_400000_NS6detail17trampoline_kernelINS0_14default_configENS1_25partition_config_selectorILNS1_17partition_subalgoE6EdNS0_10empty_typeEbEEZZNS1_14partition_implILS5_6ELb0ES3_mN6thrust23THRUST_200600_302600_NS6detail15normal_iteratorINSA_10device_ptrIdEEEEPS6_SG_NS0_5tupleIJNSA_16discard_iteratorINSA_11use_defaultEEES6_EEENSH_IJSG_SG_EEES6_PlJNSB_9not_fun_tI7is_trueIdEEEEEE10hipError_tPvRmT3_T4_T5_T6_T7_T9_mT8_P12ihipStream_tbDpT10_ENKUlT_T0_E_clISt17integral_constantIbLb1EES1B_EEDaS16_S17_EUlS16_E_NS1_11comp_targetILNS1_3genE0ELNS1_11target_archE4294967295ELNS1_3gpuE0ELNS1_3repE0EEENS1_30default_config_static_selectorELNS0_4arch9wavefront6targetE0EEEvT1_.num_named_barrier, 0
	.set _ZN7rocprim17ROCPRIM_400000_NS6detail17trampoline_kernelINS0_14default_configENS1_25partition_config_selectorILNS1_17partition_subalgoE6EdNS0_10empty_typeEbEEZZNS1_14partition_implILS5_6ELb0ES3_mN6thrust23THRUST_200600_302600_NS6detail15normal_iteratorINSA_10device_ptrIdEEEEPS6_SG_NS0_5tupleIJNSA_16discard_iteratorINSA_11use_defaultEEES6_EEENSH_IJSG_SG_EEES6_PlJNSB_9not_fun_tI7is_trueIdEEEEEE10hipError_tPvRmT3_T4_T5_T6_T7_T9_mT8_P12ihipStream_tbDpT10_ENKUlT_T0_E_clISt17integral_constantIbLb1EES1B_EEDaS16_S17_EUlS16_E_NS1_11comp_targetILNS1_3genE0ELNS1_11target_archE4294967295ELNS1_3gpuE0ELNS1_3repE0EEENS1_30default_config_static_selectorELNS0_4arch9wavefront6targetE0EEEvT1_.private_seg_size, 0
	.set _ZN7rocprim17ROCPRIM_400000_NS6detail17trampoline_kernelINS0_14default_configENS1_25partition_config_selectorILNS1_17partition_subalgoE6EdNS0_10empty_typeEbEEZZNS1_14partition_implILS5_6ELb0ES3_mN6thrust23THRUST_200600_302600_NS6detail15normal_iteratorINSA_10device_ptrIdEEEEPS6_SG_NS0_5tupleIJNSA_16discard_iteratorINSA_11use_defaultEEES6_EEENSH_IJSG_SG_EEES6_PlJNSB_9not_fun_tI7is_trueIdEEEEEE10hipError_tPvRmT3_T4_T5_T6_T7_T9_mT8_P12ihipStream_tbDpT10_ENKUlT_T0_E_clISt17integral_constantIbLb1EES1B_EEDaS16_S17_EUlS16_E_NS1_11comp_targetILNS1_3genE0ELNS1_11target_archE4294967295ELNS1_3gpuE0ELNS1_3repE0EEENS1_30default_config_static_selectorELNS0_4arch9wavefront6targetE0EEEvT1_.uses_vcc, 0
	.set _ZN7rocprim17ROCPRIM_400000_NS6detail17trampoline_kernelINS0_14default_configENS1_25partition_config_selectorILNS1_17partition_subalgoE6EdNS0_10empty_typeEbEEZZNS1_14partition_implILS5_6ELb0ES3_mN6thrust23THRUST_200600_302600_NS6detail15normal_iteratorINSA_10device_ptrIdEEEEPS6_SG_NS0_5tupleIJNSA_16discard_iteratorINSA_11use_defaultEEES6_EEENSH_IJSG_SG_EEES6_PlJNSB_9not_fun_tI7is_trueIdEEEEEE10hipError_tPvRmT3_T4_T5_T6_T7_T9_mT8_P12ihipStream_tbDpT10_ENKUlT_T0_E_clISt17integral_constantIbLb1EES1B_EEDaS16_S17_EUlS16_E_NS1_11comp_targetILNS1_3genE0ELNS1_11target_archE4294967295ELNS1_3gpuE0ELNS1_3repE0EEENS1_30default_config_static_selectorELNS0_4arch9wavefront6targetE0EEEvT1_.uses_flat_scratch, 0
	.set _ZN7rocprim17ROCPRIM_400000_NS6detail17trampoline_kernelINS0_14default_configENS1_25partition_config_selectorILNS1_17partition_subalgoE6EdNS0_10empty_typeEbEEZZNS1_14partition_implILS5_6ELb0ES3_mN6thrust23THRUST_200600_302600_NS6detail15normal_iteratorINSA_10device_ptrIdEEEEPS6_SG_NS0_5tupleIJNSA_16discard_iteratorINSA_11use_defaultEEES6_EEENSH_IJSG_SG_EEES6_PlJNSB_9not_fun_tI7is_trueIdEEEEEE10hipError_tPvRmT3_T4_T5_T6_T7_T9_mT8_P12ihipStream_tbDpT10_ENKUlT_T0_E_clISt17integral_constantIbLb1EES1B_EEDaS16_S17_EUlS16_E_NS1_11comp_targetILNS1_3genE0ELNS1_11target_archE4294967295ELNS1_3gpuE0ELNS1_3repE0EEENS1_30default_config_static_selectorELNS0_4arch9wavefront6targetE0EEEvT1_.has_dyn_sized_stack, 0
	.set _ZN7rocprim17ROCPRIM_400000_NS6detail17trampoline_kernelINS0_14default_configENS1_25partition_config_selectorILNS1_17partition_subalgoE6EdNS0_10empty_typeEbEEZZNS1_14partition_implILS5_6ELb0ES3_mN6thrust23THRUST_200600_302600_NS6detail15normal_iteratorINSA_10device_ptrIdEEEEPS6_SG_NS0_5tupleIJNSA_16discard_iteratorINSA_11use_defaultEEES6_EEENSH_IJSG_SG_EEES6_PlJNSB_9not_fun_tI7is_trueIdEEEEEE10hipError_tPvRmT3_T4_T5_T6_T7_T9_mT8_P12ihipStream_tbDpT10_ENKUlT_T0_E_clISt17integral_constantIbLb1EES1B_EEDaS16_S17_EUlS16_E_NS1_11comp_targetILNS1_3genE0ELNS1_11target_archE4294967295ELNS1_3gpuE0ELNS1_3repE0EEENS1_30default_config_static_selectorELNS0_4arch9wavefront6targetE0EEEvT1_.has_recursion, 0
	.set _ZN7rocprim17ROCPRIM_400000_NS6detail17trampoline_kernelINS0_14default_configENS1_25partition_config_selectorILNS1_17partition_subalgoE6EdNS0_10empty_typeEbEEZZNS1_14partition_implILS5_6ELb0ES3_mN6thrust23THRUST_200600_302600_NS6detail15normal_iteratorINSA_10device_ptrIdEEEEPS6_SG_NS0_5tupleIJNSA_16discard_iteratorINSA_11use_defaultEEES6_EEENSH_IJSG_SG_EEES6_PlJNSB_9not_fun_tI7is_trueIdEEEEEE10hipError_tPvRmT3_T4_T5_T6_T7_T9_mT8_P12ihipStream_tbDpT10_ENKUlT_T0_E_clISt17integral_constantIbLb1EES1B_EEDaS16_S17_EUlS16_E_NS1_11comp_targetILNS1_3genE0ELNS1_11target_archE4294967295ELNS1_3gpuE0ELNS1_3repE0EEENS1_30default_config_static_selectorELNS0_4arch9wavefront6targetE0EEEvT1_.has_indirect_call, 0
	.section	.AMDGPU.csdata,"",@progbits
; Kernel info:
; codeLenInByte = 0
; TotalNumSgprs: 0
; NumVgprs: 0
; ScratchSize: 0
; MemoryBound: 0
; FloatMode: 240
; IeeeMode: 1
; LDSByteSize: 0 bytes/workgroup (compile time only)
; SGPRBlocks: 0
; VGPRBlocks: 0
; NumSGPRsForWavesPerEU: 1
; NumVGPRsForWavesPerEU: 1
; Occupancy: 16
; WaveLimiterHint : 0
; COMPUTE_PGM_RSRC2:SCRATCH_EN: 0
; COMPUTE_PGM_RSRC2:USER_SGPR: 2
; COMPUTE_PGM_RSRC2:TRAP_HANDLER: 0
; COMPUTE_PGM_RSRC2:TGID_X_EN: 1
; COMPUTE_PGM_RSRC2:TGID_Y_EN: 0
; COMPUTE_PGM_RSRC2:TGID_Z_EN: 0
; COMPUTE_PGM_RSRC2:TIDIG_COMP_CNT: 0
	.section	.text._ZN7rocprim17ROCPRIM_400000_NS6detail17trampoline_kernelINS0_14default_configENS1_25partition_config_selectorILNS1_17partition_subalgoE6EdNS0_10empty_typeEbEEZZNS1_14partition_implILS5_6ELb0ES3_mN6thrust23THRUST_200600_302600_NS6detail15normal_iteratorINSA_10device_ptrIdEEEEPS6_SG_NS0_5tupleIJNSA_16discard_iteratorINSA_11use_defaultEEES6_EEENSH_IJSG_SG_EEES6_PlJNSB_9not_fun_tI7is_trueIdEEEEEE10hipError_tPvRmT3_T4_T5_T6_T7_T9_mT8_P12ihipStream_tbDpT10_ENKUlT_T0_E_clISt17integral_constantIbLb1EES1B_EEDaS16_S17_EUlS16_E_NS1_11comp_targetILNS1_3genE5ELNS1_11target_archE942ELNS1_3gpuE9ELNS1_3repE0EEENS1_30default_config_static_selectorELNS0_4arch9wavefront6targetE0EEEvT1_,"axG",@progbits,_ZN7rocprim17ROCPRIM_400000_NS6detail17trampoline_kernelINS0_14default_configENS1_25partition_config_selectorILNS1_17partition_subalgoE6EdNS0_10empty_typeEbEEZZNS1_14partition_implILS5_6ELb0ES3_mN6thrust23THRUST_200600_302600_NS6detail15normal_iteratorINSA_10device_ptrIdEEEEPS6_SG_NS0_5tupleIJNSA_16discard_iteratorINSA_11use_defaultEEES6_EEENSH_IJSG_SG_EEES6_PlJNSB_9not_fun_tI7is_trueIdEEEEEE10hipError_tPvRmT3_T4_T5_T6_T7_T9_mT8_P12ihipStream_tbDpT10_ENKUlT_T0_E_clISt17integral_constantIbLb1EES1B_EEDaS16_S17_EUlS16_E_NS1_11comp_targetILNS1_3genE5ELNS1_11target_archE942ELNS1_3gpuE9ELNS1_3repE0EEENS1_30default_config_static_selectorELNS0_4arch9wavefront6targetE0EEEvT1_,comdat
	.protected	_ZN7rocprim17ROCPRIM_400000_NS6detail17trampoline_kernelINS0_14default_configENS1_25partition_config_selectorILNS1_17partition_subalgoE6EdNS0_10empty_typeEbEEZZNS1_14partition_implILS5_6ELb0ES3_mN6thrust23THRUST_200600_302600_NS6detail15normal_iteratorINSA_10device_ptrIdEEEEPS6_SG_NS0_5tupleIJNSA_16discard_iteratorINSA_11use_defaultEEES6_EEENSH_IJSG_SG_EEES6_PlJNSB_9not_fun_tI7is_trueIdEEEEEE10hipError_tPvRmT3_T4_T5_T6_T7_T9_mT8_P12ihipStream_tbDpT10_ENKUlT_T0_E_clISt17integral_constantIbLb1EES1B_EEDaS16_S17_EUlS16_E_NS1_11comp_targetILNS1_3genE5ELNS1_11target_archE942ELNS1_3gpuE9ELNS1_3repE0EEENS1_30default_config_static_selectorELNS0_4arch9wavefront6targetE0EEEvT1_ ; -- Begin function _ZN7rocprim17ROCPRIM_400000_NS6detail17trampoline_kernelINS0_14default_configENS1_25partition_config_selectorILNS1_17partition_subalgoE6EdNS0_10empty_typeEbEEZZNS1_14partition_implILS5_6ELb0ES3_mN6thrust23THRUST_200600_302600_NS6detail15normal_iteratorINSA_10device_ptrIdEEEEPS6_SG_NS0_5tupleIJNSA_16discard_iteratorINSA_11use_defaultEEES6_EEENSH_IJSG_SG_EEES6_PlJNSB_9not_fun_tI7is_trueIdEEEEEE10hipError_tPvRmT3_T4_T5_T6_T7_T9_mT8_P12ihipStream_tbDpT10_ENKUlT_T0_E_clISt17integral_constantIbLb1EES1B_EEDaS16_S17_EUlS16_E_NS1_11comp_targetILNS1_3genE5ELNS1_11target_archE942ELNS1_3gpuE9ELNS1_3repE0EEENS1_30default_config_static_selectorELNS0_4arch9wavefront6targetE0EEEvT1_
	.globl	_ZN7rocprim17ROCPRIM_400000_NS6detail17trampoline_kernelINS0_14default_configENS1_25partition_config_selectorILNS1_17partition_subalgoE6EdNS0_10empty_typeEbEEZZNS1_14partition_implILS5_6ELb0ES3_mN6thrust23THRUST_200600_302600_NS6detail15normal_iteratorINSA_10device_ptrIdEEEEPS6_SG_NS0_5tupleIJNSA_16discard_iteratorINSA_11use_defaultEEES6_EEENSH_IJSG_SG_EEES6_PlJNSB_9not_fun_tI7is_trueIdEEEEEE10hipError_tPvRmT3_T4_T5_T6_T7_T9_mT8_P12ihipStream_tbDpT10_ENKUlT_T0_E_clISt17integral_constantIbLb1EES1B_EEDaS16_S17_EUlS16_E_NS1_11comp_targetILNS1_3genE5ELNS1_11target_archE942ELNS1_3gpuE9ELNS1_3repE0EEENS1_30default_config_static_selectorELNS0_4arch9wavefront6targetE0EEEvT1_
	.p2align	8
	.type	_ZN7rocprim17ROCPRIM_400000_NS6detail17trampoline_kernelINS0_14default_configENS1_25partition_config_selectorILNS1_17partition_subalgoE6EdNS0_10empty_typeEbEEZZNS1_14partition_implILS5_6ELb0ES3_mN6thrust23THRUST_200600_302600_NS6detail15normal_iteratorINSA_10device_ptrIdEEEEPS6_SG_NS0_5tupleIJNSA_16discard_iteratorINSA_11use_defaultEEES6_EEENSH_IJSG_SG_EEES6_PlJNSB_9not_fun_tI7is_trueIdEEEEEE10hipError_tPvRmT3_T4_T5_T6_T7_T9_mT8_P12ihipStream_tbDpT10_ENKUlT_T0_E_clISt17integral_constantIbLb1EES1B_EEDaS16_S17_EUlS16_E_NS1_11comp_targetILNS1_3genE5ELNS1_11target_archE942ELNS1_3gpuE9ELNS1_3repE0EEENS1_30default_config_static_selectorELNS0_4arch9wavefront6targetE0EEEvT1_,@function
_ZN7rocprim17ROCPRIM_400000_NS6detail17trampoline_kernelINS0_14default_configENS1_25partition_config_selectorILNS1_17partition_subalgoE6EdNS0_10empty_typeEbEEZZNS1_14partition_implILS5_6ELb0ES3_mN6thrust23THRUST_200600_302600_NS6detail15normal_iteratorINSA_10device_ptrIdEEEEPS6_SG_NS0_5tupleIJNSA_16discard_iteratorINSA_11use_defaultEEES6_EEENSH_IJSG_SG_EEES6_PlJNSB_9not_fun_tI7is_trueIdEEEEEE10hipError_tPvRmT3_T4_T5_T6_T7_T9_mT8_P12ihipStream_tbDpT10_ENKUlT_T0_E_clISt17integral_constantIbLb1EES1B_EEDaS16_S17_EUlS16_E_NS1_11comp_targetILNS1_3genE5ELNS1_11target_archE942ELNS1_3gpuE9ELNS1_3repE0EEENS1_30default_config_static_selectorELNS0_4arch9wavefront6targetE0EEEvT1_: ; @_ZN7rocprim17ROCPRIM_400000_NS6detail17trampoline_kernelINS0_14default_configENS1_25partition_config_selectorILNS1_17partition_subalgoE6EdNS0_10empty_typeEbEEZZNS1_14partition_implILS5_6ELb0ES3_mN6thrust23THRUST_200600_302600_NS6detail15normal_iteratorINSA_10device_ptrIdEEEEPS6_SG_NS0_5tupleIJNSA_16discard_iteratorINSA_11use_defaultEEES6_EEENSH_IJSG_SG_EEES6_PlJNSB_9not_fun_tI7is_trueIdEEEEEE10hipError_tPvRmT3_T4_T5_T6_T7_T9_mT8_P12ihipStream_tbDpT10_ENKUlT_T0_E_clISt17integral_constantIbLb1EES1B_EEDaS16_S17_EUlS16_E_NS1_11comp_targetILNS1_3genE5ELNS1_11target_archE942ELNS1_3gpuE9ELNS1_3repE0EEENS1_30default_config_static_selectorELNS0_4arch9wavefront6targetE0EEEvT1_
; %bb.0:
	.section	.rodata,"a",@progbits
	.p2align	6, 0x0
	.amdhsa_kernel _ZN7rocprim17ROCPRIM_400000_NS6detail17trampoline_kernelINS0_14default_configENS1_25partition_config_selectorILNS1_17partition_subalgoE6EdNS0_10empty_typeEbEEZZNS1_14partition_implILS5_6ELb0ES3_mN6thrust23THRUST_200600_302600_NS6detail15normal_iteratorINSA_10device_ptrIdEEEEPS6_SG_NS0_5tupleIJNSA_16discard_iteratorINSA_11use_defaultEEES6_EEENSH_IJSG_SG_EEES6_PlJNSB_9not_fun_tI7is_trueIdEEEEEE10hipError_tPvRmT3_T4_T5_T6_T7_T9_mT8_P12ihipStream_tbDpT10_ENKUlT_T0_E_clISt17integral_constantIbLb1EES1B_EEDaS16_S17_EUlS16_E_NS1_11comp_targetILNS1_3genE5ELNS1_11target_archE942ELNS1_3gpuE9ELNS1_3repE0EEENS1_30default_config_static_selectorELNS0_4arch9wavefront6targetE0EEEvT1_
		.amdhsa_group_segment_fixed_size 0
		.amdhsa_private_segment_fixed_size 0
		.amdhsa_kernarg_size 136
		.amdhsa_user_sgpr_count 2
		.amdhsa_user_sgpr_dispatch_ptr 0
		.amdhsa_user_sgpr_queue_ptr 0
		.amdhsa_user_sgpr_kernarg_segment_ptr 1
		.amdhsa_user_sgpr_dispatch_id 0
		.amdhsa_user_sgpr_private_segment_size 0
		.amdhsa_wavefront_size32 1
		.amdhsa_uses_dynamic_stack 0
		.amdhsa_enable_private_segment 0
		.amdhsa_system_sgpr_workgroup_id_x 1
		.amdhsa_system_sgpr_workgroup_id_y 0
		.amdhsa_system_sgpr_workgroup_id_z 0
		.amdhsa_system_sgpr_workgroup_info 0
		.amdhsa_system_vgpr_workitem_id 0
		.amdhsa_next_free_vgpr 1
		.amdhsa_next_free_sgpr 1
		.amdhsa_reserve_vcc 0
		.amdhsa_float_round_mode_32 0
		.amdhsa_float_round_mode_16_64 0
		.amdhsa_float_denorm_mode_32 3
		.amdhsa_float_denorm_mode_16_64 3
		.amdhsa_fp16_overflow 0
		.amdhsa_workgroup_processor_mode 1
		.amdhsa_memory_ordered 1
		.amdhsa_forward_progress 1
		.amdhsa_inst_pref_size 0
		.amdhsa_round_robin_scheduling 0
		.amdhsa_exception_fp_ieee_invalid_op 0
		.amdhsa_exception_fp_denorm_src 0
		.amdhsa_exception_fp_ieee_div_zero 0
		.amdhsa_exception_fp_ieee_overflow 0
		.amdhsa_exception_fp_ieee_underflow 0
		.amdhsa_exception_fp_ieee_inexact 0
		.amdhsa_exception_int_div_zero 0
	.end_amdhsa_kernel
	.section	.text._ZN7rocprim17ROCPRIM_400000_NS6detail17trampoline_kernelINS0_14default_configENS1_25partition_config_selectorILNS1_17partition_subalgoE6EdNS0_10empty_typeEbEEZZNS1_14partition_implILS5_6ELb0ES3_mN6thrust23THRUST_200600_302600_NS6detail15normal_iteratorINSA_10device_ptrIdEEEEPS6_SG_NS0_5tupleIJNSA_16discard_iteratorINSA_11use_defaultEEES6_EEENSH_IJSG_SG_EEES6_PlJNSB_9not_fun_tI7is_trueIdEEEEEE10hipError_tPvRmT3_T4_T5_T6_T7_T9_mT8_P12ihipStream_tbDpT10_ENKUlT_T0_E_clISt17integral_constantIbLb1EES1B_EEDaS16_S17_EUlS16_E_NS1_11comp_targetILNS1_3genE5ELNS1_11target_archE942ELNS1_3gpuE9ELNS1_3repE0EEENS1_30default_config_static_selectorELNS0_4arch9wavefront6targetE0EEEvT1_,"axG",@progbits,_ZN7rocprim17ROCPRIM_400000_NS6detail17trampoline_kernelINS0_14default_configENS1_25partition_config_selectorILNS1_17partition_subalgoE6EdNS0_10empty_typeEbEEZZNS1_14partition_implILS5_6ELb0ES3_mN6thrust23THRUST_200600_302600_NS6detail15normal_iteratorINSA_10device_ptrIdEEEEPS6_SG_NS0_5tupleIJNSA_16discard_iteratorINSA_11use_defaultEEES6_EEENSH_IJSG_SG_EEES6_PlJNSB_9not_fun_tI7is_trueIdEEEEEE10hipError_tPvRmT3_T4_T5_T6_T7_T9_mT8_P12ihipStream_tbDpT10_ENKUlT_T0_E_clISt17integral_constantIbLb1EES1B_EEDaS16_S17_EUlS16_E_NS1_11comp_targetILNS1_3genE5ELNS1_11target_archE942ELNS1_3gpuE9ELNS1_3repE0EEENS1_30default_config_static_selectorELNS0_4arch9wavefront6targetE0EEEvT1_,comdat
.Lfunc_end2086:
	.size	_ZN7rocprim17ROCPRIM_400000_NS6detail17trampoline_kernelINS0_14default_configENS1_25partition_config_selectorILNS1_17partition_subalgoE6EdNS0_10empty_typeEbEEZZNS1_14partition_implILS5_6ELb0ES3_mN6thrust23THRUST_200600_302600_NS6detail15normal_iteratorINSA_10device_ptrIdEEEEPS6_SG_NS0_5tupleIJNSA_16discard_iteratorINSA_11use_defaultEEES6_EEENSH_IJSG_SG_EEES6_PlJNSB_9not_fun_tI7is_trueIdEEEEEE10hipError_tPvRmT3_T4_T5_T6_T7_T9_mT8_P12ihipStream_tbDpT10_ENKUlT_T0_E_clISt17integral_constantIbLb1EES1B_EEDaS16_S17_EUlS16_E_NS1_11comp_targetILNS1_3genE5ELNS1_11target_archE942ELNS1_3gpuE9ELNS1_3repE0EEENS1_30default_config_static_selectorELNS0_4arch9wavefront6targetE0EEEvT1_, .Lfunc_end2086-_ZN7rocprim17ROCPRIM_400000_NS6detail17trampoline_kernelINS0_14default_configENS1_25partition_config_selectorILNS1_17partition_subalgoE6EdNS0_10empty_typeEbEEZZNS1_14partition_implILS5_6ELb0ES3_mN6thrust23THRUST_200600_302600_NS6detail15normal_iteratorINSA_10device_ptrIdEEEEPS6_SG_NS0_5tupleIJNSA_16discard_iteratorINSA_11use_defaultEEES6_EEENSH_IJSG_SG_EEES6_PlJNSB_9not_fun_tI7is_trueIdEEEEEE10hipError_tPvRmT3_T4_T5_T6_T7_T9_mT8_P12ihipStream_tbDpT10_ENKUlT_T0_E_clISt17integral_constantIbLb1EES1B_EEDaS16_S17_EUlS16_E_NS1_11comp_targetILNS1_3genE5ELNS1_11target_archE942ELNS1_3gpuE9ELNS1_3repE0EEENS1_30default_config_static_selectorELNS0_4arch9wavefront6targetE0EEEvT1_
                                        ; -- End function
	.set _ZN7rocprim17ROCPRIM_400000_NS6detail17trampoline_kernelINS0_14default_configENS1_25partition_config_selectorILNS1_17partition_subalgoE6EdNS0_10empty_typeEbEEZZNS1_14partition_implILS5_6ELb0ES3_mN6thrust23THRUST_200600_302600_NS6detail15normal_iteratorINSA_10device_ptrIdEEEEPS6_SG_NS0_5tupleIJNSA_16discard_iteratorINSA_11use_defaultEEES6_EEENSH_IJSG_SG_EEES6_PlJNSB_9not_fun_tI7is_trueIdEEEEEE10hipError_tPvRmT3_T4_T5_T6_T7_T9_mT8_P12ihipStream_tbDpT10_ENKUlT_T0_E_clISt17integral_constantIbLb1EES1B_EEDaS16_S17_EUlS16_E_NS1_11comp_targetILNS1_3genE5ELNS1_11target_archE942ELNS1_3gpuE9ELNS1_3repE0EEENS1_30default_config_static_selectorELNS0_4arch9wavefront6targetE0EEEvT1_.num_vgpr, 0
	.set _ZN7rocprim17ROCPRIM_400000_NS6detail17trampoline_kernelINS0_14default_configENS1_25partition_config_selectorILNS1_17partition_subalgoE6EdNS0_10empty_typeEbEEZZNS1_14partition_implILS5_6ELb0ES3_mN6thrust23THRUST_200600_302600_NS6detail15normal_iteratorINSA_10device_ptrIdEEEEPS6_SG_NS0_5tupleIJNSA_16discard_iteratorINSA_11use_defaultEEES6_EEENSH_IJSG_SG_EEES6_PlJNSB_9not_fun_tI7is_trueIdEEEEEE10hipError_tPvRmT3_T4_T5_T6_T7_T9_mT8_P12ihipStream_tbDpT10_ENKUlT_T0_E_clISt17integral_constantIbLb1EES1B_EEDaS16_S17_EUlS16_E_NS1_11comp_targetILNS1_3genE5ELNS1_11target_archE942ELNS1_3gpuE9ELNS1_3repE0EEENS1_30default_config_static_selectorELNS0_4arch9wavefront6targetE0EEEvT1_.num_agpr, 0
	.set _ZN7rocprim17ROCPRIM_400000_NS6detail17trampoline_kernelINS0_14default_configENS1_25partition_config_selectorILNS1_17partition_subalgoE6EdNS0_10empty_typeEbEEZZNS1_14partition_implILS5_6ELb0ES3_mN6thrust23THRUST_200600_302600_NS6detail15normal_iteratorINSA_10device_ptrIdEEEEPS6_SG_NS0_5tupleIJNSA_16discard_iteratorINSA_11use_defaultEEES6_EEENSH_IJSG_SG_EEES6_PlJNSB_9not_fun_tI7is_trueIdEEEEEE10hipError_tPvRmT3_T4_T5_T6_T7_T9_mT8_P12ihipStream_tbDpT10_ENKUlT_T0_E_clISt17integral_constantIbLb1EES1B_EEDaS16_S17_EUlS16_E_NS1_11comp_targetILNS1_3genE5ELNS1_11target_archE942ELNS1_3gpuE9ELNS1_3repE0EEENS1_30default_config_static_selectorELNS0_4arch9wavefront6targetE0EEEvT1_.numbered_sgpr, 0
	.set _ZN7rocprim17ROCPRIM_400000_NS6detail17trampoline_kernelINS0_14default_configENS1_25partition_config_selectorILNS1_17partition_subalgoE6EdNS0_10empty_typeEbEEZZNS1_14partition_implILS5_6ELb0ES3_mN6thrust23THRUST_200600_302600_NS6detail15normal_iteratorINSA_10device_ptrIdEEEEPS6_SG_NS0_5tupleIJNSA_16discard_iteratorINSA_11use_defaultEEES6_EEENSH_IJSG_SG_EEES6_PlJNSB_9not_fun_tI7is_trueIdEEEEEE10hipError_tPvRmT3_T4_T5_T6_T7_T9_mT8_P12ihipStream_tbDpT10_ENKUlT_T0_E_clISt17integral_constantIbLb1EES1B_EEDaS16_S17_EUlS16_E_NS1_11comp_targetILNS1_3genE5ELNS1_11target_archE942ELNS1_3gpuE9ELNS1_3repE0EEENS1_30default_config_static_selectorELNS0_4arch9wavefront6targetE0EEEvT1_.num_named_barrier, 0
	.set _ZN7rocprim17ROCPRIM_400000_NS6detail17trampoline_kernelINS0_14default_configENS1_25partition_config_selectorILNS1_17partition_subalgoE6EdNS0_10empty_typeEbEEZZNS1_14partition_implILS5_6ELb0ES3_mN6thrust23THRUST_200600_302600_NS6detail15normal_iteratorINSA_10device_ptrIdEEEEPS6_SG_NS0_5tupleIJNSA_16discard_iteratorINSA_11use_defaultEEES6_EEENSH_IJSG_SG_EEES6_PlJNSB_9not_fun_tI7is_trueIdEEEEEE10hipError_tPvRmT3_T4_T5_T6_T7_T9_mT8_P12ihipStream_tbDpT10_ENKUlT_T0_E_clISt17integral_constantIbLb1EES1B_EEDaS16_S17_EUlS16_E_NS1_11comp_targetILNS1_3genE5ELNS1_11target_archE942ELNS1_3gpuE9ELNS1_3repE0EEENS1_30default_config_static_selectorELNS0_4arch9wavefront6targetE0EEEvT1_.private_seg_size, 0
	.set _ZN7rocprim17ROCPRIM_400000_NS6detail17trampoline_kernelINS0_14default_configENS1_25partition_config_selectorILNS1_17partition_subalgoE6EdNS0_10empty_typeEbEEZZNS1_14partition_implILS5_6ELb0ES3_mN6thrust23THRUST_200600_302600_NS6detail15normal_iteratorINSA_10device_ptrIdEEEEPS6_SG_NS0_5tupleIJNSA_16discard_iteratorINSA_11use_defaultEEES6_EEENSH_IJSG_SG_EEES6_PlJNSB_9not_fun_tI7is_trueIdEEEEEE10hipError_tPvRmT3_T4_T5_T6_T7_T9_mT8_P12ihipStream_tbDpT10_ENKUlT_T0_E_clISt17integral_constantIbLb1EES1B_EEDaS16_S17_EUlS16_E_NS1_11comp_targetILNS1_3genE5ELNS1_11target_archE942ELNS1_3gpuE9ELNS1_3repE0EEENS1_30default_config_static_selectorELNS0_4arch9wavefront6targetE0EEEvT1_.uses_vcc, 0
	.set _ZN7rocprim17ROCPRIM_400000_NS6detail17trampoline_kernelINS0_14default_configENS1_25partition_config_selectorILNS1_17partition_subalgoE6EdNS0_10empty_typeEbEEZZNS1_14partition_implILS5_6ELb0ES3_mN6thrust23THRUST_200600_302600_NS6detail15normal_iteratorINSA_10device_ptrIdEEEEPS6_SG_NS0_5tupleIJNSA_16discard_iteratorINSA_11use_defaultEEES6_EEENSH_IJSG_SG_EEES6_PlJNSB_9not_fun_tI7is_trueIdEEEEEE10hipError_tPvRmT3_T4_T5_T6_T7_T9_mT8_P12ihipStream_tbDpT10_ENKUlT_T0_E_clISt17integral_constantIbLb1EES1B_EEDaS16_S17_EUlS16_E_NS1_11comp_targetILNS1_3genE5ELNS1_11target_archE942ELNS1_3gpuE9ELNS1_3repE0EEENS1_30default_config_static_selectorELNS0_4arch9wavefront6targetE0EEEvT1_.uses_flat_scratch, 0
	.set _ZN7rocprim17ROCPRIM_400000_NS6detail17trampoline_kernelINS0_14default_configENS1_25partition_config_selectorILNS1_17partition_subalgoE6EdNS0_10empty_typeEbEEZZNS1_14partition_implILS5_6ELb0ES3_mN6thrust23THRUST_200600_302600_NS6detail15normal_iteratorINSA_10device_ptrIdEEEEPS6_SG_NS0_5tupleIJNSA_16discard_iteratorINSA_11use_defaultEEES6_EEENSH_IJSG_SG_EEES6_PlJNSB_9not_fun_tI7is_trueIdEEEEEE10hipError_tPvRmT3_T4_T5_T6_T7_T9_mT8_P12ihipStream_tbDpT10_ENKUlT_T0_E_clISt17integral_constantIbLb1EES1B_EEDaS16_S17_EUlS16_E_NS1_11comp_targetILNS1_3genE5ELNS1_11target_archE942ELNS1_3gpuE9ELNS1_3repE0EEENS1_30default_config_static_selectorELNS0_4arch9wavefront6targetE0EEEvT1_.has_dyn_sized_stack, 0
	.set _ZN7rocprim17ROCPRIM_400000_NS6detail17trampoline_kernelINS0_14default_configENS1_25partition_config_selectorILNS1_17partition_subalgoE6EdNS0_10empty_typeEbEEZZNS1_14partition_implILS5_6ELb0ES3_mN6thrust23THRUST_200600_302600_NS6detail15normal_iteratorINSA_10device_ptrIdEEEEPS6_SG_NS0_5tupleIJNSA_16discard_iteratorINSA_11use_defaultEEES6_EEENSH_IJSG_SG_EEES6_PlJNSB_9not_fun_tI7is_trueIdEEEEEE10hipError_tPvRmT3_T4_T5_T6_T7_T9_mT8_P12ihipStream_tbDpT10_ENKUlT_T0_E_clISt17integral_constantIbLb1EES1B_EEDaS16_S17_EUlS16_E_NS1_11comp_targetILNS1_3genE5ELNS1_11target_archE942ELNS1_3gpuE9ELNS1_3repE0EEENS1_30default_config_static_selectorELNS0_4arch9wavefront6targetE0EEEvT1_.has_recursion, 0
	.set _ZN7rocprim17ROCPRIM_400000_NS6detail17trampoline_kernelINS0_14default_configENS1_25partition_config_selectorILNS1_17partition_subalgoE6EdNS0_10empty_typeEbEEZZNS1_14partition_implILS5_6ELb0ES3_mN6thrust23THRUST_200600_302600_NS6detail15normal_iteratorINSA_10device_ptrIdEEEEPS6_SG_NS0_5tupleIJNSA_16discard_iteratorINSA_11use_defaultEEES6_EEENSH_IJSG_SG_EEES6_PlJNSB_9not_fun_tI7is_trueIdEEEEEE10hipError_tPvRmT3_T4_T5_T6_T7_T9_mT8_P12ihipStream_tbDpT10_ENKUlT_T0_E_clISt17integral_constantIbLb1EES1B_EEDaS16_S17_EUlS16_E_NS1_11comp_targetILNS1_3genE5ELNS1_11target_archE942ELNS1_3gpuE9ELNS1_3repE0EEENS1_30default_config_static_selectorELNS0_4arch9wavefront6targetE0EEEvT1_.has_indirect_call, 0
	.section	.AMDGPU.csdata,"",@progbits
; Kernel info:
; codeLenInByte = 0
; TotalNumSgprs: 0
; NumVgprs: 0
; ScratchSize: 0
; MemoryBound: 0
; FloatMode: 240
; IeeeMode: 1
; LDSByteSize: 0 bytes/workgroup (compile time only)
; SGPRBlocks: 0
; VGPRBlocks: 0
; NumSGPRsForWavesPerEU: 1
; NumVGPRsForWavesPerEU: 1
; Occupancy: 16
; WaveLimiterHint : 0
; COMPUTE_PGM_RSRC2:SCRATCH_EN: 0
; COMPUTE_PGM_RSRC2:USER_SGPR: 2
; COMPUTE_PGM_RSRC2:TRAP_HANDLER: 0
; COMPUTE_PGM_RSRC2:TGID_X_EN: 1
; COMPUTE_PGM_RSRC2:TGID_Y_EN: 0
; COMPUTE_PGM_RSRC2:TGID_Z_EN: 0
; COMPUTE_PGM_RSRC2:TIDIG_COMP_CNT: 0
	.section	.text._ZN7rocprim17ROCPRIM_400000_NS6detail17trampoline_kernelINS0_14default_configENS1_25partition_config_selectorILNS1_17partition_subalgoE6EdNS0_10empty_typeEbEEZZNS1_14partition_implILS5_6ELb0ES3_mN6thrust23THRUST_200600_302600_NS6detail15normal_iteratorINSA_10device_ptrIdEEEEPS6_SG_NS0_5tupleIJNSA_16discard_iteratorINSA_11use_defaultEEES6_EEENSH_IJSG_SG_EEES6_PlJNSB_9not_fun_tI7is_trueIdEEEEEE10hipError_tPvRmT3_T4_T5_T6_T7_T9_mT8_P12ihipStream_tbDpT10_ENKUlT_T0_E_clISt17integral_constantIbLb1EES1B_EEDaS16_S17_EUlS16_E_NS1_11comp_targetILNS1_3genE4ELNS1_11target_archE910ELNS1_3gpuE8ELNS1_3repE0EEENS1_30default_config_static_selectorELNS0_4arch9wavefront6targetE0EEEvT1_,"axG",@progbits,_ZN7rocprim17ROCPRIM_400000_NS6detail17trampoline_kernelINS0_14default_configENS1_25partition_config_selectorILNS1_17partition_subalgoE6EdNS0_10empty_typeEbEEZZNS1_14partition_implILS5_6ELb0ES3_mN6thrust23THRUST_200600_302600_NS6detail15normal_iteratorINSA_10device_ptrIdEEEEPS6_SG_NS0_5tupleIJNSA_16discard_iteratorINSA_11use_defaultEEES6_EEENSH_IJSG_SG_EEES6_PlJNSB_9not_fun_tI7is_trueIdEEEEEE10hipError_tPvRmT3_T4_T5_T6_T7_T9_mT8_P12ihipStream_tbDpT10_ENKUlT_T0_E_clISt17integral_constantIbLb1EES1B_EEDaS16_S17_EUlS16_E_NS1_11comp_targetILNS1_3genE4ELNS1_11target_archE910ELNS1_3gpuE8ELNS1_3repE0EEENS1_30default_config_static_selectorELNS0_4arch9wavefront6targetE0EEEvT1_,comdat
	.protected	_ZN7rocprim17ROCPRIM_400000_NS6detail17trampoline_kernelINS0_14default_configENS1_25partition_config_selectorILNS1_17partition_subalgoE6EdNS0_10empty_typeEbEEZZNS1_14partition_implILS5_6ELb0ES3_mN6thrust23THRUST_200600_302600_NS6detail15normal_iteratorINSA_10device_ptrIdEEEEPS6_SG_NS0_5tupleIJNSA_16discard_iteratorINSA_11use_defaultEEES6_EEENSH_IJSG_SG_EEES6_PlJNSB_9not_fun_tI7is_trueIdEEEEEE10hipError_tPvRmT3_T4_T5_T6_T7_T9_mT8_P12ihipStream_tbDpT10_ENKUlT_T0_E_clISt17integral_constantIbLb1EES1B_EEDaS16_S17_EUlS16_E_NS1_11comp_targetILNS1_3genE4ELNS1_11target_archE910ELNS1_3gpuE8ELNS1_3repE0EEENS1_30default_config_static_selectorELNS0_4arch9wavefront6targetE0EEEvT1_ ; -- Begin function _ZN7rocprim17ROCPRIM_400000_NS6detail17trampoline_kernelINS0_14default_configENS1_25partition_config_selectorILNS1_17partition_subalgoE6EdNS0_10empty_typeEbEEZZNS1_14partition_implILS5_6ELb0ES3_mN6thrust23THRUST_200600_302600_NS6detail15normal_iteratorINSA_10device_ptrIdEEEEPS6_SG_NS0_5tupleIJNSA_16discard_iteratorINSA_11use_defaultEEES6_EEENSH_IJSG_SG_EEES6_PlJNSB_9not_fun_tI7is_trueIdEEEEEE10hipError_tPvRmT3_T4_T5_T6_T7_T9_mT8_P12ihipStream_tbDpT10_ENKUlT_T0_E_clISt17integral_constantIbLb1EES1B_EEDaS16_S17_EUlS16_E_NS1_11comp_targetILNS1_3genE4ELNS1_11target_archE910ELNS1_3gpuE8ELNS1_3repE0EEENS1_30default_config_static_selectorELNS0_4arch9wavefront6targetE0EEEvT1_
	.globl	_ZN7rocprim17ROCPRIM_400000_NS6detail17trampoline_kernelINS0_14default_configENS1_25partition_config_selectorILNS1_17partition_subalgoE6EdNS0_10empty_typeEbEEZZNS1_14partition_implILS5_6ELb0ES3_mN6thrust23THRUST_200600_302600_NS6detail15normal_iteratorINSA_10device_ptrIdEEEEPS6_SG_NS0_5tupleIJNSA_16discard_iteratorINSA_11use_defaultEEES6_EEENSH_IJSG_SG_EEES6_PlJNSB_9not_fun_tI7is_trueIdEEEEEE10hipError_tPvRmT3_T4_T5_T6_T7_T9_mT8_P12ihipStream_tbDpT10_ENKUlT_T0_E_clISt17integral_constantIbLb1EES1B_EEDaS16_S17_EUlS16_E_NS1_11comp_targetILNS1_3genE4ELNS1_11target_archE910ELNS1_3gpuE8ELNS1_3repE0EEENS1_30default_config_static_selectorELNS0_4arch9wavefront6targetE0EEEvT1_
	.p2align	8
	.type	_ZN7rocprim17ROCPRIM_400000_NS6detail17trampoline_kernelINS0_14default_configENS1_25partition_config_selectorILNS1_17partition_subalgoE6EdNS0_10empty_typeEbEEZZNS1_14partition_implILS5_6ELb0ES3_mN6thrust23THRUST_200600_302600_NS6detail15normal_iteratorINSA_10device_ptrIdEEEEPS6_SG_NS0_5tupleIJNSA_16discard_iteratorINSA_11use_defaultEEES6_EEENSH_IJSG_SG_EEES6_PlJNSB_9not_fun_tI7is_trueIdEEEEEE10hipError_tPvRmT3_T4_T5_T6_T7_T9_mT8_P12ihipStream_tbDpT10_ENKUlT_T0_E_clISt17integral_constantIbLb1EES1B_EEDaS16_S17_EUlS16_E_NS1_11comp_targetILNS1_3genE4ELNS1_11target_archE910ELNS1_3gpuE8ELNS1_3repE0EEENS1_30default_config_static_selectorELNS0_4arch9wavefront6targetE0EEEvT1_,@function
_ZN7rocprim17ROCPRIM_400000_NS6detail17trampoline_kernelINS0_14default_configENS1_25partition_config_selectorILNS1_17partition_subalgoE6EdNS0_10empty_typeEbEEZZNS1_14partition_implILS5_6ELb0ES3_mN6thrust23THRUST_200600_302600_NS6detail15normal_iteratorINSA_10device_ptrIdEEEEPS6_SG_NS0_5tupleIJNSA_16discard_iteratorINSA_11use_defaultEEES6_EEENSH_IJSG_SG_EEES6_PlJNSB_9not_fun_tI7is_trueIdEEEEEE10hipError_tPvRmT3_T4_T5_T6_T7_T9_mT8_P12ihipStream_tbDpT10_ENKUlT_T0_E_clISt17integral_constantIbLb1EES1B_EEDaS16_S17_EUlS16_E_NS1_11comp_targetILNS1_3genE4ELNS1_11target_archE910ELNS1_3gpuE8ELNS1_3repE0EEENS1_30default_config_static_selectorELNS0_4arch9wavefront6targetE0EEEvT1_: ; @_ZN7rocprim17ROCPRIM_400000_NS6detail17trampoline_kernelINS0_14default_configENS1_25partition_config_selectorILNS1_17partition_subalgoE6EdNS0_10empty_typeEbEEZZNS1_14partition_implILS5_6ELb0ES3_mN6thrust23THRUST_200600_302600_NS6detail15normal_iteratorINSA_10device_ptrIdEEEEPS6_SG_NS0_5tupleIJNSA_16discard_iteratorINSA_11use_defaultEEES6_EEENSH_IJSG_SG_EEES6_PlJNSB_9not_fun_tI7is_trueIdEEEEEE10hipError_tPvRmT3_T4_T5_T6_T7_T9_mT8_P12ihipStream_tbDpT10_ENKUlT_T0_E_clISt17integral_constantIbLb1EES1B_EEDaS16_S17_EUlS16_E_NS1_11comp_targetILNS1_3genE4ELNS1_11target_archE910ELNS1_3gpuE8ELNS1_3repE0EEENS1_30default_config_static_selectorELNS0_4arch9wavefront6targetE0EEEvT1_
; %bb.0:
	.section	.rodata,"a",@progbits
	.p2align	6, 0x0
	.amdhsa_kernel _ZN7rocprim17ROCPRIM_400000_NS6detail17trampoline_kernelINS0_14default_configENS1_25partition_config_selectorILNS1_17partition_subalgoE6EdNS0_10empty_typeEbEEZZNS1_14partition_implILS5_6ELb0ES3_mN6thrust23THRUST_200600_302600_NS6detail15normal_iteratorINSA_10device_ptrIdEEEEPS6_SG_NS0_5tupleIJNSA_16discard_iteratorINSA_11use_defaultEEES6_EEENSH_IJSG_SG_EEES6_PlJNSB_9not_fun_tI7is_trueIdEEEEEE10hipError_tPvRmT3_T4_T5_T6_T7_T9_mT8_P12ihipStream_tbDpT10_ENKUlT_T0_E_clISt17integral_constantIbLb1EES1B_EEDaS16_S17_EUlS16_E_NS1_11comp_targetILNS1_3genE4ELNS1_11target_archE910ELNS1_3gpuE8ELNS1_3repE0EEENS1_30default_config_static_selectorELNS0_4arch9wavefront6targetE0EEEvT1_
		.amdhsa_group_segment_fixed_size 0
		.amdhsa_private_segment_fixed_size 0
		.amdhsa_kernarg_size 136
		.amdhsa_user_sgpr_count 2
		.amdhsa_user_sgpr_dispatch_ptr 0
		.amdhsa_user_sgpr_queue_ptr 0
		.amdhsa_user_sgpr_kernarg_segment_ptr 1
		.amdhsa_user_sgpr_dispatch_id 0
		.amdhsa_user_sgpr_private_segment_size 0
		.amdhsa_wavefront_size32 1
		.amdhsa_uses_dynamic_stack 0
		.amdhsa_enable_private_segment 0
		.amdhsa_system_sgpr_workgroup_id_x 1
		.amdhsa_system_sgpr_workgroup_id_y 0
		.amdhsa_system_sgpr_workgroup_id_z 0
		.amdhsa_system_sgpr_workgroup_info 0
		.amdhsa_system_vgpr_workitem_id 0
		.amdhsa_next_free_vgpr 1
		.amdhsa_next_free_sgpr 1
		.amdhsa_reserve_vcc 0
		.amdhsa_float_round_mode_32 0
		.amdhsa_float_round_mode_16_64 0
		.amdhsa_float_denorm_mode_32 3
		.amdhsa_float_denorm_mode_16_64 3
		.amdhsa_fp16_overflow 0
		.amdhsa_workgroup_processor_mode 1
		.amdhsa_memory_ordered 1
		.amdhsa_forward_progress 1
		.amdhsa_inst_pref_size 0
		.amdhsa_round_robin_scheduling 0
		.amdhsa_exception_fp_ieee_invalid_op 0
		.amdhsa_exception_fp_denorm_src 0
		.amdhsa_exception_fp_ieee_div_zero 0
		.amdhsa_exception_fp_ieee_overflow 0
		.amdhsa_exception_fp_ieee_underflow 0
		.amdhsa_exception_fp_ieee_inexact 0
		.amdhsa_exception_int_div_zero 0
	.end_amdhsa_kernel
	.section	.text._ZN7rocprim17ROCPRIM_400000_NS6detail17trampoline_kernelINS0_14default_configENS1_25partition_config_selectorILNS1_17partition_subalgoE6EdNS0_10empty_typeEbEEZZNS1_14partition_implILS5_6ELb0ES3_mN6thrust23THRUST_200600_302600_NS6detail15normal_iteratorINSA_10device_ptrIdEEEEPS6_SG_NS0_5tupleIJNSA_16discard_iteratorINSA_11use_defaultEEES6_EEENSH_IJSG_SG_EEES6_PlJNSB_9not_fun_tI7is_trueIdEEEEEE10hipError_tPvRmT3_T4_T5_T6_T7_T9_mT8_P12ihipStream_tbDpT10_ENKUlT_T0_E_clISt17integral_constantIbLb1EES1B_EEDaS16_S17_EUlS16_E_NS1_11comp_targetILNS1_3genE4ELNS1_11target_archE910ELNS1_3gpuE8ELNS1_3repE0EEENS1_30default_config_static_selectorELNS0_4arch9wavefront6targetE0EEEvT1_,"axG",@progbits,_ZN7rocprim17ROCPRIM_400000_NS6detail17trampoline_kernelINS0_14default_configENS1_25partition_config_selectorILNS1_17partition_subalgoE6EdNS0_10empty_typeEbEEZZNS1_14partition_implILS5_6ELb0ES3_mN6thrust23THRUST_200600_302600_NS6detail15normal_iteratorINSA_10device_ptrIdEEEEPS6_SG_NS0_5tupleIJNSA_16discard_iteratorINSA_11use_defaultEEES6_EEENSH_IJSG_SG_EEES6_PlJNSB_9not_fun_tI7is_trueIdEEEEEE10hipError_tPvRmT3_T4_T5_T6_T7_T9_mT8_P12ihipStream_tbDpT10_ENKUlT_T0_E_clISt17integral_constantIbLb1EES1B_EEDaS16_S17_EUlS16_E_NS1_11comp_targetILNS1_3genE4ELNS1_11target_archE910ELNS1_3gpuE8ELNS1_3repE0EEENS1_30default_config_static_selectorELNS0_4arch9wavefront6targetE0EEEvT1_,comdat
.Lfunc_end2087:
	.size	_ZN7rocprim17ROCPRIM_400000_NS6detail17trampoline_kernelINS0_14default_configENS1_25partition_config_selectorILNS1_17partition_subalgoE6EdNS0_10empty_typeEbEEZZNS1_14partition_implILS5_6ELb0ES3_mN6thrust23THRUST_200600_302600_NS6detail15normal_iteratorINSA_10device_ptrIdEEEEPS6_SG_NS0_5tupleIJNSA_16discard_iteratorINSA_11use_defaultEEES6_EEENSH_IJSG_SG_EEES6_PlJNSB_9not_fun_tI7is_trueIdEEEEEE10hipError_tPvRmT3_T4_T5_T6_T7_T9_mT8_P12ihipStream_tbDpT10_ENKUlT_T0_E_clISt17integral_constantIbLb1EES1B_EEDaS16_S17_EUlS16_E_NS1_11comp_targetILNS1_3genE4ELNS1_11target_archE910ELNS1_3gpuE8ELNS1_3repE0EEENS1_30default_config_static_selectorELNS0_4arch9wavefront6targetE0EEEvT1_, .Lfunc_end2087-_ZN7rocprim17ROCPRIM_400000_NS6detail17trampoline_kernelINS0_14default_configENS1_25partition_config_selectorILNS1_17partition_subalgoE6EdNS0_10empty_typeEbEEZZNS1_14partition_implILS5_6ELb0ES3_mN6thrust23THRUST_200600_302600_NS6detail15normal_iteratorINSA_10device_ptrIdEEEEPS6_SG_NS0_5tupleIJNSA_16discard_iteratorINSA_11use_defaultEEES6_EEENSH_IJSG_SG_EEES6_PlJNSB_9not_fun_tI7is_trueIdEEEEEE10hipError_tPvRmT3_T4_T5_T6_T7_T9_mT8_P12ihipStream_tbDpT10_ENKUlT_T0_E_clISt17integral_constantIbLb1EES1B_EEDaS16_S17_EUlS16_E_NS1_11comp_targetILNS1_3genE4ELNS1_11target_archE910ELNS1_3gpuE8ELNS1_3repE0EEENS1_30default_config_static_selectorELNS0_4arch9wavefront6targetE0EEEvT1_
                                        ; -- End function
	.set _ZN7rocprim17ROCPRIM_400000_NS6detail17trampoline_kernelINS0_14default_configENS1_25partition_config_selectorILNS1_17partition_subalgoE6EdNS0_10empty_typeEbEEZZNS1_14partition_implILS5_6ELb0ES3_mN6thrust23THRUST_200600_302600_NS6detail15normal_iteratorINSA_10device_ptrIdEEEEPS6_SG_NS0_5tupleIJNSA_16discard_iteratorINSA_11use_defaultEEES6_EEENSH_IJSG_SG_EEES6_PlJNSB_9not_fun_tI7is_trueIdEEEEEE10hipError_tPvRmT3_T4_T5_T6_T7_T9_mT8_P12ihipStream_tbDpT10_ENKUlT_T0_E_clISt17integral_constantIbLb1EES1B_EEDaS16_S17_EUlS16_E_NS1_11comp_targetILNS1_3genE4ELNS1_11target_archE910ELNS1_3gpuE8ELNS1_3repE0EEENS1_30default_config_static_selectorELNS0_4arch9wavefront6targetE0EEEvT1_.num_vgpr, 0
	.set _ZN7rocprim17ROCPRIM_400000_NS6detail17trampoline_kernelINS0_14default_configENS1_25partition_config_selectorILNS1_17partition_subalgoE6EdNS0_10empty_typeEbEEZZNS1_14partition_implILS5_6ELb0ES3_mN6thrust23THRUST_200600_302600_NS6detail15normal_iteratorINSA_10device_ptrIdEEEEPS6_SG_NS0_5tupleIJNSA_16discard_iteratorINSA_11use_defaultEEES6_EEENSH_IJSG_SG_EEES6_PlJNSB_9not_fun_tI7is_trueIdEEEEEE10hipError_tPvRmT3_T4_T5_T6_T7_T9_mT8_P12ihipStream_tbDpT10_ENKUlT_T0_E_clISt17integral_constantIbLb1EES1B_EEDaS16_S17_EUlS16_E_NS1_11comp_targetILNS1_3genE4ELNS1_11target_archE910ELNS1_3gpuE8ELNS1_3repE0EEENS1_30default_config_static_selectorELNS0_4arch9wavefront6targetE0EEEvT1_.num_agpr, 0
	.set _ZN7rocprim17ROCPRIM_400000_NS6detail17trampoline_kernelINS0_14default_configENS1_25partition_config_selectorILNS1_17partition_subalgoE6EdNS0_10empty_typeEbEEZZNS1_14partition_implILS5_6ELb0ES3_mN6thrust23THRUST_200600_302600_NS6detail15normal_iteratorINSA_10device_ptrIdEEEEPS6_SG_NS0_5tupleIJNSA_16discard_iteratorINSA_11use_defaultEEES6_EEENSH_IJSG_SG_EEES6_PlJNSB_9not_fun_tI7is_trueIdEEEEEE10hipError_tPvRmT3_T4_T5_T6_T7_T9_mT8_P12ihipStream_tbDpT10_ENKUlT_T0_E_clISt17integral_constantIbLb1EES1B_EEDaS16_S17_EUlS16_E_NS1_11comp_targetILNS1_3genE4ELNS1_11target_archE910ELNS1_3gpuE8ELNS1_3repE0EEENS1_30default_config_static_selectorELNS0_4arch9wavefront6targetE0EEEvT1_.numbered_sgpr, 0
	.set _ZN7rocprim17ROCPRIM_400000_NS6detail17trampoline_kernelINS0_14default_configENS1_25partition_config_selectorILNS1_17partition_subalgoE6EdNS0_10empty_typeEbEEZZNS1_14partition_implILS5_6ELb0ES3_mN6thrust23THRUST_200600_302600_NS6detail15normal_iteratorINSA_10device_ptrIdEEEEPS6_SG_NS0_5tupleIJNSA_16discard_iteratorINSA_11use_defaultEEES6_EEENSH_IJSG_SG_EEES6_PlJNSB_9not_fun_tI7is_trueIdEEEEEE10hipError_tPvRmT3_T4_T5_T6_T7_T9_mT8_P12ihipStream_tbDpT10_ENKUlT_T0_E_clISt17integral_constantIbLb1EES1B_EEDaS16_S17_EUlS16_E_NS1_11comp_targetILNS1_3genE4ELNS1_11target_archE910ELNS1_3gpuE8ELNS1_3repE0EEENS1_30default_config_static_selectorELNS0_4arch9wavefront6targetE0EEEvT1_.num_named_barrier, 0
	.set _ZN7rocprim17ROCPRIM_400000_NS6detail17trampoline_kernelINS0_14default_configENS1_25partition_config_selectorILNS1_17partition_subalgoE6EdNS0_10empty_typeEbEEZZNS1_14partition_implILS5_6ELb0ES3_mN6thrust23THRUST_200600_302600_NS6detail15normal_iteratorINSA_10device_ptrIdEEEEPS6_SG_NS0_5tupleIJNSA_16discard_iteratorINSA_11use_defaultEEES6_EEENSH_IJSG_SG_EEES6_PlJNSB_9not_fun_tI7is_trueIdEEEEEE10hipError_tPvRmT3_T4_T5_T6_T7_T9_mT8_P12ihipStream_tbDpT10_ENKUlT_T0_E_clISt17integral_constantIbLb1EES1B_EEDaS16_S17_EUlS16_E_NS1_11comp_targetILNS1_3genE4ELNS1_11target_archE910ELNS1_3gpuE8ELNS1_3repE0EEENS1_30default_config_static_selectorELNS0_4arch9wavefront6targetE0EEEvT1_.private_seg_size, 0
	.set _ZN7rocprim17ROCPRIM_400000_NS6detail17trampoline_kernelINS0_14default_configENS1_25partition_config_selectorILNS1_17partition_subalgoE6EdNS0_10empty_typeEbEEZZNS1_14partition_implILS5_6ELb0ES3_mN6thrust23THRUST_200600_302600_NS6detail15normal_iteratorINSA_10device_ptrIdEEEEPS6_SG_NS0_5tupleIJNSA_16discard_iteratorINSA_11use_defaultEEES6_EEENSH_IJSG_SG_EEES6_PlJNSB_9not_fun_tI7is_trueIdEEEEEE10hipError_tPvRmT3_T4_T5_T6_T7_T9_mT8_P12ihipStream_tbDpT10_ENKUlT_T0_E_clISt17integral_constantIbLb1EES1B_EEDaS16_S17_EUlS16_E_NS1_11comp_targetILNS1_3genE4ELNS1_11target_archE910ELNS1_3gpuE8ELNS1_3repE0EEENS1_30default_config_static_selectorELNS0_4arch9wavefront6targetE0EEEvT1_.uses_vcc, 0
	.set _ZN7rocprim17ROCPRIM_400000_NS6detail17trampoline_kernelINS0_14default_configENS1_25partition_config_selectorILNS1_17partition_subalgoE6EdNS0_10empty_typeEbEEZZNS1_14partition_implILS5_6ELb0ES3_mN6thrust23THRUST_200600_302600_NS6detail15normal_iteratorINSA_10device_ptrIdEEEEPS6_SG_NS0_5tupleIJNSA_16discard_iteratorINSA_11use_defaultEEES6_EEENSH_IJSG_SG_EEES6_PlJNSB_9not_fun_tI7is_trueIdEEEEEE10hipError_tPvRmT3_T4_T5_T6_T7_T9_mT8_P12ihipStream_tbDpT10_ENKUlT_T0_E_clISt17integral_constantIbLb1EES1B_EEDaS16_S17_EUlS16_E_NS1_11comp_targetILNS1_3genE4ELNS1_11target_archE910ELNS1_3gpuE8ELNS1_3repE0EEENS1_30default_config_static_selectorELNS0_4arch9wavefront6targetE0EEEvT1_.uses_flat_scratch, 0
	.set _ZN7rocprim17ROCPRIM_400000_NS6detail17trampoline_kernelINS0_14default_configENS1_25partition_config_selectorILNS1_17partition_subalgoE6EdNS0_10empty_typeEbEEZZNS1_14partition_implILS5_6ELb0ES3_mN6thrust23THRUST_200600_302600_NS6detail15normal_iteratorINSA_10device_ptrIdEEEEPS6_SG_NS0_5tupleIJNSA_16discard_iteratorINSA_11use_defaultEEES6_EEENSH_IJSG_SG_EEES6_PlJNSB_9not_fun_tI7is_trueIdEEEEEE10hipError_tPvRmT3_T4_T5_T6_T7_T9_mT8_P12ihipStream_tbDpT10_ENKUlT_T0_E_clISt17integral_constantIbLb1EES1B_EEDaS16_S17_EUlS16_E_NS1_11comp_targetILNS1_3genE4ELNS1_11target_archE910ELNS1_3gpuE8ELNS1_3repE0EEENS1_30default_config_static_selectorELNS0_4arch9wavefront6targetE0EEEvT1_.has_dyn_sized_stack, 0
	.set _ZN7rocprim17ROCPRIM_400000_NS6detail17trampoline_kernelINS0_14default_configENS1_25partition_config_selectorILNS1_17partition_subalgoE6EdNS0_10empty_typeEbEEZZNS1_14partition_implILS5_6ELb0ES3_mN6thrust23THRUST_200600_302600_NS6detail15normal_iteratorINSA_10device_ptrIdEEEEPS6_SG_NS0_5tupleIJNSA_16discard_iteratorINSA_11use_defaultEEES6_EEENSH_IJSG_SG_EEES6_PlJNSB_9not_fun_tI7is_trueIdEEEEEE10hipError_tPvRmT3_T4_T5_T6_T7_T9_mT8_P12ihipStream_tbDpT10_ENKUlT_T0_E_clISt17integral_constantIbLb1EES1B_EEDaS16_S17_EUlS16_E_NS1_11comp_targetILNS1_3genE4ELNS1_11target_archE910ELNS1_3gpuE8ELNS1_3repE0EEENS1_30default_config_static_selectorELNS0_4arch9wavefront6targetE0EEEvT1_.has_recursion, 0
	.set _ZN7rocprim17ROCPRIM_400000_NS6detail17trampoline_kernelINS0_14default_configENS1_25partition_config_selectorILNS1_17partition_subalgoE6EdNS0_10empty_typeEbEEZZNS1_14partition_implILS5_6ELb0ES3_mN6thrust23THRUST_200600_302600_NS6detail15normal_iteratorINSA_10device_ptrIdEEEEPS6_SG_NS0_5tupleIJNSA_16discard_iteratorINSA_11use_defaultEEES6_EEENSH_IJSG_SG_EEES6_PlJNSB_9not_fun_tI7is_trueIdEEEEEE10hipError_tPvRmT3_T4_T5_T6_T7_T9_mT8_P12ihipStream_tbDpT10_ENKUlT_T0_E_clISt17integral_constantIbLb1EES1B_EEDaS16_S17_EUlS16_E_NS1_11comp_targetILNS1_3genE4ELNS1_11target_archE910ELNS1_3gpuE8ELNS1_3repE0EEENS1_30default_config_static_selectorELNS0_4arch9wavefront6targetE0EEEvT1_.has_indirect_call, 0
	.section	.AMDGPU.csdata,"",@progbits
; Kernel info:
; codeLenInByte = 0
; TotalNumSgprs: 0
; NumVgprs: 0
; ScratchSize: 0
; MemoryBound: 0
; FloatMode: 240
; IeeeMode: 1
; LDSByteSize: 0 bytes/workgroup (compile time only)
; SGPRBlocks: 0
; VGPRBlocks: 0
; NumSGPRsForWavesPerEU: 1
; NumVGPRsForWavesPerEU: 1
; Occupancy: 16
; WaveLimiterHint : 0
; COMPUTE_PGM_RSRC2:SCRATCH_EN: 0
; COMPUTE_PGM_RSRC2:USER_SGPR: 2
; COMPUTE_PGM_RSRC2:TRAP_HANDLER: 0
; COMPUTE_PGM_RSRC2:TGID_X_EN: 1
; COMPUTE_PGM_RSRC2:TGID_Y_EN: 0
; COMPUTE_PGM_RSRC2:TGID_Z_EN: 0
; COMPUTE_PGM_RSRC2:TIDIG_COMP_CNT: 0
	.section	.text._ZN7rocprim17ROCPRIM_400000_NS6detail17trampoline_kernelINS0_14default_configENS1_25partition_config_selectorILNS1_17partition_subalgoE6EdNS0_10empty_typeEbEEZZNS1_14partition_implILS5_6ELb0ES3_mN6thrust23THRUST_200600_302600_NS6detail15normal_iteratorINSA_10device_ptrIdEEEEPS6_SG_NS0_5tupleIJNSA_16discard_iteratorINSA_11use_defaultEEES6_EEENSH_IJSG_SG_EEES6_PlJNSB_9not_fun_tI7is_trueIdEEEEEE10hipError_tPvRmT3_T4_T5_T6_T7_T9_mT8_P12ihipStream_tbDpT10_ENKUlT_T0_E_clISt17integral_constantIbLb1EES1B_EEDaS16_S17_EUlS16_E_NS1_11comp_targetILNS1_3genE3ELNS1_11target_archE908ELNS1_3gpuE7ELNS1_3repE0EEENS1_30default_config_static_selectorELNS0_4arch9wavefront6targetE0EEEvT1_,"axG",@progbits,_ZN7rocprim17ROCPRIM_400000_NS6detail17trampoline_kernelINS0_14default_configENS1_25partition_config_selectorILNS1_17partition_subalgoE6EdNS0_10empty_typeEbEEZZNS1_14partition_implILS5_6ELb0ES3_mN6thrust23THRUST_200600_302600_NS6detail15normal_iteratorINSA_10device_ptrIdEEEEPS6_SG_NS0_5tupleIJNSA_16discard_iteratorINSA_11use_defaultEEES6_EEENSH_IJSG_SG_EEES6_PlJNSB_9not_fun_tI7is_trueIdEEEEEE10hipError_tPvRmT3_T4_T5_T6_T7_T9_mT8_P12ihipStream_tbDpT10_ENKUlT_T0_E_clISt17integral_constantIbLb1EES1B_EEDaS16_S17_EUlS16_E_NS1_11comp_targetILNS1_3genE3ELNS1_11target_archE908ELNS1_3gpuE7ELNS1_3repE0EEENS1_30default_config_static_selectorELNS0_4arch9wavefront6targetE0EEEvT1_,comdat
	.protected	_ZN7rocprim17ROCPRIM_400000_NS6detail17trampoline_kernelINS0_14default_configENS1_25partition_config_selectorILNS1_17partition_subalgoE6EdNS0_10empty_typeEbEEZZNS1_14partition_implILS5_6ELb0ES3_mN6thrust23THRUST_200600_302600_NS6detail15normal_iteratorINSA_10device_ptrIdEEEEPS6_SG_NS0_5tupleIJNSA_16discard_iteratorINSA_11use_defaultEEES6_EEENSH_IJSG_SG_EEES6_PlJNSB_9not_fun_tI7is_trueIdEEEEEE10hipError_tPvRmT3_T4_T5_T6_T7_T9_mT8_P12ihipStream_tbDpT10_ENKUlT_T0_E_clISt17integral_constantIbLb1EES1B_EEDaS16_S17_EUlS16_E_NS1_11comp_targetILNS1_3genE3ELNS1_11target_archE908ELNS1_3gpuE7ELNS1_3repE0EEENS1_30default_config_static_selectorELNS0_4arch9wavefront6targetE0EEEvT1_ ; -- Begin function _ZN7rocprim17ROCPRIM_400000_NS6detail17trampoline_kernelINS0_14default_configENS1_25partition_config_selectorILNS1_17partition_subalgoE6EdNS0_10empty_typeEbEEZZNS1_14partition_implILS5_6ELb0ES3_mN6thrust23THRUST_200600_302600_NS6detail15normal_iteratorINSA_10device_ptrIdEEEEPS6_SG_NS0_5tupleIJNSA_16discard_iteratorINSA_11use_defaultEEES6_EEENSH_IJSG_SG_EEES6_PlJNSB_9not_fun_tI7is_trueIdEEEEEE10hipError_tPvRmT3_T4_T5_T6_T7_T9_mT8_P12ihipStream_tbDpT10_ENKUlT_T0_E_clISt17integral_constantIbLb1EES1B_EEDaS16_S17_EUlS16_E_NS1_11comp_targetILNS1_3genE3ELNS1_11target_archE908ELNS1_3gpuE7ELNS1_3repE0EEENS1_30default_config_static_selectorELNS0_4arch9wavefront6targetE0EEEvT1_
	.globl	_ZN7rocprim17ROCPRIM_400000_NS6detail17trampoline_kernelINS0_14default_configENS1_25partition_config_selectorILNS1_17partition_subalgoE6EdNS0_10empty_typeEbEEZZNS1_14partition_implILS5_6ELb0ES3_mN6thrust23THRUST_200600_302600_NS6detail15normal_iteratorINSA_10device_ptrIdEEEEPS6_SG_NS0_5tupleIJNSA_16discard_iteratorINSA_11use_defaultEEES6_EEENSH_IJSG_SG_EEES6_PlJNSB_9not_fun_tI7is_trueIdEEEEEE10hipError_tPvRmT3_T4_T5_T6_T7_T9_mT8_P12ihipStream_tbDpT10_ENKUlT_T0_E_clISt17integral_constantIbLb1EES1B_EEDaS16_S17_EUlS16_E_NS1_11comp_targetILNS1_3genE3ELNS1_11target_archE908ELNS1_3gpuE7ELNS1_3repE0EEENS1_30default_config_static_selectorELNS0_4arch9wavefront6targetE0EEEvT1_
	.p2align	8
	.type	_ZN7rocprim17ROCPRIM_400000_NS6detail17trampoline_kernelINS0_14default_configENS1_25partition_config_selectorILNS1_17partition_subalgoE6EdNS0_10empty_typeEbEEZZNS1_14partition_implILS5_6ELb0ES3_mN6thrust23THRUST_200600_302600_NS6detail15normal_iteratorINSA_10device_ptrIdEEEEPS6_SG_NS0_5tupleIJNSA_16discard_iteratorINSA_11use_defaultEEES6_EEENSH_IJSG_SG_EEES6_PlJNSB_9not_fun_tI7is_trueIdEEEEEE10hipError_tPvRmT3_T4_T5_T6_T7_T9_mT8_P12ihipStream_tbDpT10_ENKUlT_T0_E_clISt17integral_constantIbLb1EES1B_EEDaS16_S17_EUlS16_E_NS1_11comp_targetILNS1_3genE3ELNS1_11target_archE908ELNS1_3gpuE7ELNS1_3repE0EEENS1_30default_config_static_selectorELNS0_4arch9wavefront6targetE0EEEvT1_,@function
_ZN7rocprim17ROCPRIM_400000_NS6detail17trampoline_kernelINS0_14default_configENS1_25partition_config_selectorILNS1_17partition_subalgoE6EdNS0_10empty_typeEbEEZZNS1_14partition_implILS5_6ELb0ES3_mN6thrust23THRUST_200600_302600_NS6detail15normal_iteratorINSA_10device_ptrIdEEEEPS6_SG_NS0_5tupleIJNSA_16discard_iteratorINSA_11use_defaultEEES6_EEENSH_IJSG_SG_EEES6_PlJNSB_9not_fun_tI7is_trueIdEEEEEE10hipError_tPvRmT3_T4_T5_T6_T7_T9_mT8_P12ihipStream_tbDpT10_ENKUlT_T0_E_clISt17integral_constantIbLb1EES1B_EEDaS16_S17_EUlS16_E_NS1_11comp_targetILNS1_3genE3ELNS1_11target_archE908ELNS1_3gpuE7ELNS1_3repE0EEENS1_30default_config_static_selectorELNS0_4arch9wavefront6targetE0EEEvT1_: ; @_ZN7rocprim17ROCPRIM_400000_NS6detail17trampoline_kernelINS0_14default_configENS1_25partition_config_selectorILNS1_17partition_subalgoE6EdNS0_10empty_typeEbEEZZNS1_14partition_implILS5_6ELb0ES3_mN6thrust23THRUST_200600_302600_NS6detail15normal_iteratorINSA_10device_ptrIdEEEEPS6_SG_NS0_5tupleIJNSA_16discard_iteratorINSA_11use_defaultEEES6_EEENSH_IJSG_SG_EEES6_PlJNSB_9not_fun_tI7is_trueIdEEEEEE10hipError_tPvRmT3_T4_T5_T6_T7_T9_mT8_P12ihipStream_tbDpT10_ENKUlT_T0_E_clISt17integral_constantIbLb1EES1B_EEDaS16_S17_EUlS16_E_NS1_11comp_targetILNS1_3genE3ELNS1_11target_archE908ELNS1_3gpuE7ELNS1_3repE0EEENS1_30default_config_static_selectorELNS0_4arch9wavefront6targetE0EEEvT1_
; %bb.0:
	.section	.rodata,"a",@progbits
	.p2align	6, 0x0
	.amdhsa_kernel _ZN7rocprim17ROCPRIM_400000_NS6detail17trampoline_kernelINS0_14default_configENS1_25partition_config_selectorILNS1_17partition_subalgoE6EdNS0_10empty_typeEbEEZZNS1_14partition_implILS5_6ELb0ES3_mN6thrust23THRUST_200600_302600_NS6detail15normal_iteratorINSA_10device_ptrIdEEEEPS6_SG_NS0_5tupleIJNSA_16discard_iteratorINSA_11use_defaultEEES6_EEENSH_IJSG_SG_EEES6_PlJNSB_9not_fun_tI7is_trueIdEEEEEE10hipError_tPvRmT3_T4_T5_T6_T7_T9_mT8_P12ihipStream_tbDpT10_ENKUlT_T0_E_clISt17integral_constantIbLb1EES1B_EEDaS16_S17_EUlS16_E_NS1_11comp_targetILNS1_3genE3ELNS1_11target_archE908ELNS1_3gpuE7ELNS1_3repE0EEENS1_30default_config_static_selectorELNS0_4arch9wavefront6targetE0EEEvT1_
		.amdhsa_group_segment_fixed_size 0
		.amdhsa_private_segment_fixed_size 0
		.amdhsa_kernarg_size 136
		.amdhsa_user_sgpr_count 2
		.amdhsa_user_sgpr_dispatch_ptr 0
		.amdhsa_user_sgpr_queue_ptr 0
		.amdhsa_user_sgpr_kernarg_segment_ptr 1
		.amdhsa_user_sgpr_dispatch_id 0
		.amdhsa_user_sgpr_private_segment_size 0
		.amdhsa_wavefront_size32 1
		.amdhsa_uses_dynamic_stack 0
		.amdhsa_enable_private_segment 0
		.amdhsa_system_sgpr_workgroup_id_x 1
		.amdhsa_system_sgpr_workgroup_id_y 0
		.amdhsa_system_sgpr_workgroup_id_z 0
		.amdhsa_system_sgpr_workgroup_info 0
		.amdhsa_system_vgpr_workitem_id 0
		.amdhsa_next_free_vgpr 1
		.amdhsa_next_free_sgpr 1
		.amdhsa_reserve_vcc 0
		.amdhsa_float_round_mode_32 0
		.amdhsa_float_round_mode_16_64 0
		.amdhsa_float_denorm_mode_32 3
		.amdhsa_float_denorm_mode_16_64 3
		.amdhsa_fp16_overflow 0
		.amdhsa_workgroup_processor_mode 1
		.amdhsa_memory_ordered 1
		.amdhsa_forward_progress 1
		.amdhsa_inst_pref_size 0
		.amdhsa_round_robin_scheduling 0
		.amdhsa_exception_fp_ieee_invalid_op 0
		.amdhsa_exception_fp_denorm_src 0
		.amdhsa_exception_fp_ieee_div_zero 0
		.amdhsa_exception_fp_ieee_overflow 0
		.amdhsa_exception_fp_ieee_underflow 0
		.amdhsa_exception_fp_ieee_inexact 0
		.amdhsa_exception_int_div_zero 0
	.end_amdhsa_kernel
	.section	.text._ZN7rocprim17ROCPRIM_400000_NS6detail17trampoline_kernelINS0_14default_configENS1_25partition_config_selectorILNS1_17partition_subalgoE6EdNS0_10empty_typeEbEEZZNS1_14partition_implILS5_6ELb0ES3_mN6thrust23THRUST_200600_302600_NS6detail15normal_iteratorINSA_10device_ptrIdEEEEPS6_SG_NS0_5tupleIJNSA_16discard_iteratorINSA_11use_defaultEEES6_EEENSH_IJSG_SG_EEES6_PlJNSB_9not_fun_tI7is_trueIdEEEEEE10hipError_tPvRmT3_T4_T5_T6_T7_T9_mT8_P12ihipStream_tbDpT10_ENKUlT_T0_E_clISt17integral_constantIbLb1EES1B_EEDaS16_S17_EUlS16_E_NS1_11comp_targetILNS1_3genE3ELNS1_11target_archE908ELNS1_3gpuE7ELNS1_3repE0EEENS1_30default_config_static_selectorELNS0_4arch9wavefront6targetE0EEEvT1_,"axG",@progbits,_ZN7rocprim17ROCPRIM_400000_NS6detail17trampoline_kernelINS0_14default_configENS1_25partition_config_selectorILNS1_17partition_subalgoE6EdNS0_10empty_typeEbEEZZNS1_14partition_implILS5_6ELb0ES3_mN6thrust23THRUST_200600_302600_NS6detail15normal_iteratorINSA_10device_ptrIdEEEEPS6_SG_NS0_5tupleIJNSA_16discard_iteratorINSA_11use_defaultEEES6_EEENSH_IJSG_SG_EEES6_PlJNSB_9not_fun_tI7is_trueIdEEEEEE10hipError_tPvRmT3_T4_T5_T6_T7_T9_mT8_P12ihipStream_tbDpT10_ENKUlT_T0_E_clISt17integral_constantIbLb1EES1B_EEDaS16_S17_EUlS16_E_NS1_11comp_targetILNS1_3genE3ELNS1_11target_archE908ELNS1_3gpuE7ELNS1_3repE0EEENS1_30default_config_static_selectorELNS0_4arch9wavefront6targetE0EEEvT1_,comdat
.Lfunc_end2088:
	.size	_ZN7rocprim17ROCPRIM_400000_NS6detail17trampoline_kernelINS0_14default_configENS1_25partition_config_selectorILNS1_17partition_subalgoE6EdNS0_10empty_typeEbEEZZNS1_14partition_implILS5_6ELb0ES3_mN6thrust23THRUST_200600_302600_NS6detail15normal_iteratorINSA_10device_ptrIdEEEEPS6_SG_NS0_5tupleIJNSA_16discard_iteratorINSA_11use_defaultEEES6_EEENSH_IJSG_SG_EEES6_PlJNSB_9not_fun_tI7is_trueIdEEEEEE10hipError_tPvRmT3_T4_T5_T6_T7_T9_mT8_P12ihipStream_tbDpT10_ENKUlT_T0_E_clISt17integral_constantIbLb1EES1B_EEDaS16_S17_EUlS16_E_NS1_11comp_targetILNS1_3genE3ELNS1_11target_archE908ELNS1_3gpuE7ELNS1_3repE0EEENS1_30default_config_static_selectorELNS0_4arch9wavefront6targetE0EEEvT1_, .Lfunc_end2088-_ZN7rocprim17ROCPRIM_400000_NS6detail17trampoline_kernelINS0_14default_configENS1_25partition_config_selectorILNS1_17partition_subalgoE6EdNS0_10empty_typeEbEEZZNS1_14partition_implILS5_6ELb0ES3_mN6thrust23THRUST_200600_302600_NS6detail15normal_iteratorINSA_10device_ptrIdEEEEPS6_SG_NS0_5tupleIJNSA_16discard_iteratorINSA_11use_defaultEEES6_EEENSH_IJSG_SG_EEES6_PlJNSB_9not_fun_tI7is_trueIdEEEEEE10hipError_tPvRmT3_T4_T5_T6_T7_T9_mT8_P12ihipStream_tbDpT10_ENKUlT_T0_E_clISt17integral_constantIbLb1EES1B_EEDaS16_S17_EUlS16_E_NS1_11comp_targetILNS1_3genE3ELNS1_11target_archE908ELNS1_3gpuE7ELNS1_3repE0EEENS1_30default_config_static_selectorELNS0_4arch9wavefront6targetE0EEEvT1_
                                        ; -- End function
	.set _ZN7rocprim17ROCPRIM_400000_NS6detail17trampoline_kernelINS0_14default_configENS1_25partition_config_selectorILNS1_17partition_subalgoE6EdNS0_10empty_typeEbEEZZNS1_14partition_implILS5_6ELb0ES3_mN6thrust23THRUST_200600_302600_NS6detail15normal_iteratorINSA_10device_ptrIdEEEEPS6_SG_NS0_5tupleIJNSA_16discard_iteratorINSA_11use_defaultEEES6_EEENSH_IJSG_SG_EEES6_PlJNSB_9not_fun_tI7is_trueIdEEEEEE10hipError_tPvRmT3_T4_T5_T6_T7_T9_mT8_P12ihipStream_tbDpT10_ENKUlT_T0_E_clISt17integral_constantIbLb1EES1B_EEDaS16_S17_EUlS16_E_NS1_11comp_targetILNS1_3genE3ELNS1_11target_archE908ELNS1_3gpuE7ELNS1_3repE0EEENS1_30default_config_static_selectorELNS0_4arch9wavefront6targetE0EEEvT1_.num_vgpr, 0
	.set _ZN7rocprim17ROCPRIM_400000_NS6detail17trampoline_kernelINS0_14default_configENS1_25partition_config_selectorILNS1_17partition_subalgoE6EdNS0_10empty_typeEbEEZZNS1_14partition_implILS5_6ELb0ES3_mN6thrust23THRUST_200600_302600_NS6detail15normal_iteratorINSA_10device_ptrIdEEEEPS6_SG_NS0_5tupleIJNSA_16discard_iteratorINSA_11use_defaultEEES6_EEENSH_IJSG_SG_EEES6_PlJNSB_9not_fun_tI7is_trueIdEEEEEE10hipError_tPvRmT3_T4_T5_T6_T7_T9_mT8_P12ihipStream_tbDpT10_ENKUlT_T0_E_clISt17integral_constantIbLb1EES1B_EEDaS16_S17_EUlS16_E_NS1_11comp_targetILNS1_3genE3ELNS1_11target_archE908ELNS1_3gpuE7ELNS1_3repE0EEENS1_30default_config_static_selectorELNS0_4arch9wavefront6targetE0EEEvT1_.num_agpr, 0
	.set _ZN7rocprim17ROCPRIM_400000_NS6detail17trampoline_kernelINS0_14default_configENS1_25partition_config_selectorILNS1_17partition_subalgoE6EdNS0_10empty_typeEbEEZZNS1_14partition_implILS5_6ELb0ES3_mN6thrust23THRUST_200600_302600_NS6detail15normal_iteratorINSA_10device_ptrIdEEEEPS6_SG_NS0_5tupleIJNSA_16discard_iteratorINSA_11use_defaultEEES6_EEENSH_IJSG_SG_EEES6_PlJNSB_9not_fun_tI7is_trueIdEEEEEE10hipError_tPvRmT3_T4_T5_T6_T7_T9_mT8_P12ihipStream_tbDpT10_ENKUlT_T0_E_clISt17integral_constantIbLb1EES1B_EEDaS16_S17_EUlS16_E_NS1_11comp_targetILNS1_3genE3ELNS1_11target_archE908ELNS1_3gpuE7ELNS1_3repE0EEENS1_30default_config_static_selectorELNS0_4arch9wavefront6targetE0EEEvT1_.numbered_sgpr, 0
	.set _ZN7rocprim17ROCPRIM_400000_NS6detail17trampoline_kernelINS0_14default_configENS1_25partition_config_selectorILNS1_17partition_subalgoE6EdNS0_10empty_typeEbEEZZNS1_14partition_implILS5_6ELb0ES3_mN6thrust23THRUST_200600_302600_NS6detail15normal_iteratorINSA_10device_ptrIdEEEEPS6_SG_NS0_5tupleIJNSA_16discard_iteratorINSA_11use_defaultEEES6_EEENSH_IJSG_SG_EEES6_PlJNSB_9not_fun_tI7is_trueIdEEEEEE10hipError_tPvRmT3_T4_T5_T6_T7_T9_mT8_P12ihipStream_tbDpT10_ENKUlT_T0_E_clISt17integral_constantIbLb1EES1B_EEDaS16_S17_EUlS16_E_NS1_11comp_targetILNS1_3genE3ELNS1_11target_archE908ELNS1_3gpuE7ELNS1_3repE0EEENS1_30default_config_static_selectorELNS0_4arch9wavefront6targetE0EEEvT1_.num_named_barrier, 0
	.set _ZN7rocprim17ROCPRIM_400000_NS6detail17trampoline_kernelINS0_14default_configENS1_25partition_config_selectorILNS1_17partition_subalgoE6EdNS0_10empty_typeEbEEZZNS1_14partition_implILS5_6ELb0ES3_mN6thrust23THRUST_200600_302600_NS6detail15normal_iteratorINSA_10device_ptrIdEEEEPS6_SG_NS0_5tupleIJNSA_16discard_iteratorINSA_11use_defaultEEES6_EEENSH_IJSG_SG_EEES6_PlJNSB_9not_fun_tI7is_trueIdEEEEEE10hipError_tPvRmT3_T4_T5_T6_T7_T9_mT8_P12ihipStream_tbDpT10_ENKUlT_T0_E_clISt17integral_constantIbLb1EES1B_EEDaS16_S17_EUlS16_E_NS1_11comp_targetILNS1_3genE3ELNS1_11target_archE908ELNS1_3gpuE7ELNS1_3repE0EEENS1_30default_config_static_selectorELNS0_4arch9wavefront6targetE0EEEvT1_.private_seg_size, 0
	.set _ZN7rocprim17ROCPRIM_400000_NS6detail17trampoline_kernelINS0_14default_configENS1_25partition_config_selectorILNS1_17partition_subalgoE6EdNS0_10empty_typeEbEEZZNS1_14partition_implILS5_6ELb0ES3_mN6thrust23THRUST_200600_302600_NS6detail15normal_iteratorINSA_10device_ptrIdEEEEPS6_SG_NS0_5tupleIJNSA_16discard_iteratorINSA_11use_defaultEEES6_EEENSH_IJSG_SG_EEES6_PlJNSB_9not_fun_tI7is_trueIdEEEEEE10hipError_tPvRmT3_T4_T5_T6_T7_T9_mT8_P12ihipStream_tbDpT10_ENKUlT_T0_E_clISt17integral_constantIbLb1EES1B_EEDaS16_S17_EUlS16_E_NS1_11comp_targetILNS1_3genE3ELNS1_11target_archE908ELNS1_3gpuE7ELNS1_3repE0EEENS1_30default_config_static_selectorELNS0_4arch9wavefront6targetE0EEEvT1_.uses_vcc, 0
	.set _ZN7rocprim17ROCPRIM_400000_NS6detail17trampoline_kernelINS0_14default_configENS1_25partition_config_selectorILNS1_17partition_subalgoE6EdNS0_10empty_typeEbEEZZNS1_14partition_implILS5_6ELb0ES3_mN6thrust23THRUST_200600_302600_NS6detail15normal_iteratorINSA_10device_ptrIdEEEEPS6_SG_NS0_5tupleIJNSA_16discard_iteratorINSA_11use_defaultEEES6_EEENSH_IJSG_SG_EEES6_PlJNSB_9not_fun_tI7is_trueIdEEEEEE10hipError_tPvRmT3_T4_T5_T6_T7_T9_mT8_P12ihipStream_tbDpT10_ENKUlT_T0_E_clISt17integral_constantIbLb1EES1B_EEDaS16_S17_EUlS16_E_NS1_11comp_targetILNS1_3genE3ELNS1_11target_archE908ELNS1_3gpuE7ELNS1_3repE0EEENS1_30default_config_static_selectorELNS0_4arch9wavefront6targetE0EEEvT1_.uses_flat_scratch, 0
	.set _ZN7rocprim17ROCPRIM_400000_NS6detail17trampoline_kernelINS0_14default_configENS1_25partition_config_selectorILNS1_17partition_subalgoE6EdNS0_10empty_typeEbEEZZNS1_14partition_implILS5_6ELb0ES3_mN6thrust23THRUST_200600_302600_NS6detail15normal_iteratorINSA_10device_ptrIdEEEEPS6_SG_NS0_5tupleIJNSA_16discard_iteratorINSA_11use_defaultEEES6_EEENSH_IJSG_SG_EEES6_PlJNSB_9not_fun_tI7is_trueIdEEEEEE10hipError_tPvRmT3_T4_T5_T6_T7_T9_mT8_P12ihipStream_tbDpT10_ENKUlT_T0_E_clISt17integral_constantIbLb1EES1B_EEDaS16_S17_EUlS16_E_NS1_11comp_targetILNS1_3genE3ELNS1_11target_archE908ELNS1_3gpuE7ELNS1_3repE0EEENS1_30default_config_static_selectorELNS0_4arch9wavefront6targetE0EEEvT1_.has_dyn_sized_stack, 0
	.set _ZN7rocprim17ROCPRIM_400000_NS6detail17trampoline_kernelINS0_14default_configENS1_25partition_config_selectorILNS1_17partition_subalgoE6EdNS0_10empty_typeEbEEZZNS1_14partition_implILS5_6ELb0ES3_mN6thrust23THRUST_200600_302600_NS6detail15normal_iteratorINSA_10device_ptrIdEEEEPS6_SG_NS0_5tupleIJNSA_16discard_iteratorINSA_11use_defaultEEES6_EEENSH_IJSG_SG_EEES6_PlJNSB_9not_fun_tI7is_trueIdEEEEEE10hipError_tPvRmT3_T4_T5_T6_T7_T9_mT8_P12ihipStream_tbDpT10_ENKUlT_T0_E_clISt17integral_constantIbLb1EES1B_EEDaS16_S17_EUlS16_E_NS1_11comp_targetILNS1_3genE3ELNS1_11target_archE908ELNS1_3gpuE7ELNS1_3repE0EEENS1_30default_config_static_selectorELNS0_4arch9wavefront6targetE0EEEvT1_.has_recursion, 0
	.set _ZN7rocprim17ROCPRIM_400000_NS6detail17trampoline_kernelINS0_14default_configENS1_25partition_config_selectorILNS1_17partition_subalgoE6EdNS0_10empty_typeEbEEZZNS1_14partition_implILS5_6ELb0ES3_mN6thrust23THRUST_200600_302600_NS6detail15normal_iteratorINSA_10device_ptrIdEEEEPS6_SG_NS0_5tupleIJNSA_16discard_iteratorINSA_11use_defaultEEES6_EEENSH_IJSG_SG_EEES6_PlJNSB_9not_fun_tI7is_trueIdEEEEEE10hipError_tPvRmT3_T4_T5_T6_T7_T9_mT8_P12ihipStream_tbDpT10_ENKUlT_T0_E_clISt17integral_constantIbLb1EES1B_EEDaS16_S17_EUlS16_E_NS1_11comp_targetILNS1_3genE3ELNS1_11target_archE908ELNS1_3gpuE7ELNS1_3repE0EEENS1_30default_config_static_selectorELNS0_4arch9wavefront6targetE0EEEvT1_.has_indirect_call, 0
	.section	.AMDGPU.csdata,"",@progbits
; Kernel info:
; codeLenInByte = 0
; TotalNumSgprs: 0
; NumVgprs: 0
; ScratchSize: 0
; MemoryBound: 0
; FloatMode: 240
; IeeeMode: 1
; LDSByteSize: 0 bytes/workgroup (compile time only)
; SGPRBlocks: 0
; VGPRBlocks: 0
; NumSGPRsForWavesPerEU: 1
; NumVGPRsForWavesPerEU: 1
; Occupancy: 16
; WaveLimiterHint : 0
; COMPUTE_PGM_RSRC2:SCRATCH_EN: 0
; COMPUTE_PGM_RSRC2:USER_SGPR: 2
; COMPUTE_PGM_RSRC2:TRAP_HANDLER: 0
; COMPUTE_PGM_RSRC2:TGID_X_EN: 1
; COMPUTE_PGM_RSRC2:TGID_Y_EN: 0
; COMPUTE_PGM_RSRC2:TGID_Z_EN: 0
; COMPUTE_PGM_RSRC2:TIDIG_COMP_CNT: 0
	.section	.text._ZN7rocprim17ROCPRIM_400000_NS6detail17trampoline_kernelINS0_14default_configENS1_25partition_config_selectorILNS1_17partition_subalgoE6EdNS0_10empty_typeEbEEZZNS1_14partition_implILS5_6ELb0ES3_mN6thrust23THRUST_200600_302600_NS6detail15normal_iteratorINSA_10device_ptrIdEEEEPS6_SG_NS0_5tupleIJNSA_16discard_iteratorINSA_11use_defaultEEES6_EEENSH_IJSG_SG_EEES6_PlJNSB_9not_fun_tI7is_trueIdEEEEEE10hipError_tPvRmT3_T4_T5_T6_T7_T9_mT8_P12ihipStream_tbDpT10_ENKUlT_T0_E_clISt17integral_constantIbLb1EES1B_EEDaS16_S17_EUlS16_E_NS1_11comp_targetILNS1_3genE2ELNS1_11target_archE906ELNS1_3gpuE6ELNS1_3repE0EEENS1_30default_config_static_selectorELNS0_4arch9wavefront6targetE0EEEvT1_,"axG",@progbits,_ZN7rocprim17ROCPRIM_400000_NS6detail17trampoline_kernelINS0_14default_configENS1_25partition_config_selectorILNS1_17partition_subalgoE6EdNS0_10empty_typeEbEEZZNS1_14partition_implILS5_6ELb0ES3_mN6thrust23THRUST_200600_302600_NS6detail15normal_iteratorINSA_10device_ptrIdEEEEPS6_SG_NS0_5tupleIJNSA_16discard_iteratorINSA_11use_defaultEEES6_EEENSH_IJSG_SG_EEES6_PlJNSB_9not_fun_tI7is_trueIdEEEEEE10hipError_tPvRmT3_T4_T5_T6_T7_T9_mT8_P12ihipStream_tbDpT10_ENKUlT_T0_E_clISt17integral_constantIbLb1EES1B_EEDaS16_S17_EUlS16_E_NS1_11comp_targetILNS1_3genE2ELNS1_11target_archE906ELNS1_3gpuE6ELNS1_3repE0EEENS1_30default_config_static_selectorELNS0_4arch9wavefront6targetE0EEEvT1_,comdat
	.protected	_ZN7rocprim17ROCPRIM_400000_NS6detail17trampoline_kernelINS0_14default_configENS1_25partition_config_selectorILNS1_17partition_subalgoE6EdNS0_10empty_typeEbEEZZNS1_14partition_implILS5_6ELb0ES3_mN6thrust23THRUST_200600_302600_NS6detail15normal_iteratorINSA_10device_ptrIdEEEEPS6_SG_NS0_5tupleIJNSA_16discard_iteratorINSA_11use_defaultEEES6_EEENSH_IJSG_SG_EEES6_PlJNSB_9not_fun_tI7is_trueIdEEEEEE10hipError_tPvRmT3_T4_T5_T6_T7_T9_mT8_P12ihipStream_tbDpT10_ENKUlT_T0_E_clISt17integral_constantIbLb1EES1B_EEDaS16_S17_EUlS16_E_NS1_11comp_targetILNS1_3genE2ELNS1_11target_archE906ELNS1_3gpuE6ELNS1_3repE0EEENS1_30default_config_static_selectorELNS0_4arch9wavefront6targetE0EEEvT1_ ; -- Begin function _ZN7rocprim17ROCPRIM_400000_NS6detail17trampoline_kernelINS0_14default_configENS1_25partition_config_selectorILNS1_17partition_subalgoE6EdNS0_10empty_typeEbEEZZNS1_14partition_implILS5_6ELb0ES3_mN6thrust23THRUST_200600_302600_NS6detail15normal_iteratorINSA_10device_ptrIdEEEEPS6_SG_NS0_5tupleIJNSA_16discard_iteratorINSA_11use_defaultEEES6_EEENSH_IJSG_SG_EEES6_PlJNSB_9not_fun_tI7is_trueIdEEEEEE10hipError_tPvRmT3_T4_T5_T6_T7_T9_mT8_P12ihipStream_tbDpT10_ENKUlT_T0_E_clISt17integral_constantIbLb1EES1B_EEDaS16_S17_EUlS16_E_NS1_11comp_targetILNS1_3genE2ELNS1_11target_archE906ELNS1_3gpuE6ELNS1_3repE0EEENS1_30default_config_static_selectorELNS0_4arch9wavefront6targetE0EEEvT1_
	.globl	_ZN7rocprim17ROCPRIM_400000_NS6detail17trampoline_kernelINS0_14default_configENS1_25partition_config_selectorILNS1_17partition_subalgoE6EdNS0_10empty_typeEbEEZZNS1_14partition_implILS5_6ELb0ES3_mN6thrust23THRUST_200600_302600_NS6detail15normal_iteratorINSA_10device_ptrIdEEEEPS6_SG_NS0_5tupleIJNSA_16discard_iteratorINSA_11use_defaultEEES6_EEENSH_IJSG_SG_EEES6_PlJNSB_9not_fun_tI7is_trueIdEEEEEE10hipError_tPvRmT3_T4_T5_T6_T7_T9_mT8_P12ihipStream_tbDpT10_ENKUlT_T0_E_clISt17integral_constantIbLb1EES1B_EEDaS16_S17_EUlS16_E_NS1_11comp_targetILNS1_3genE2ELNS1_11target_archE906ELNS1_3gpuE6ELNS1_3repE0EEENS1_30default_config_static_selectorELNS0_4arch9wavefront6targetE0EEEvT1_
	.p2align	8
	.type	_ZN7rocprim17ROCPRIM_400000_NS6detail17trampoline_kernelINS0_14default_configENS1_25partition_config_selectorILNS1_17partition_subalgoE6EdNS0_10empty_typeEbEEZZNS1_14partition_implILS5_6ELb0ES3_mN6thrust23THRUST_200600_302600_NS6detail15normal_iteratorINSA_10device_ptrIdEEEEPS6_SG_NS0_5tupleIJNSA_16discard_iteratorINSA_11use_defaultEEES6_EEENSH_IJSG_SG_EEES6_PlJNSB_9not_fun_tI7is_trueIdEEEEEE10hipError_tPvRmT3_T4_T5_T6_T7_T9_mT8_P12ihipStream_tbDpT10_ENKUlT_T0_E_clISt17integral_constantIbLb1EES1B_EEDaS16_S17_EUlS16_E_NS1_11comp_targetILNS1_3genE2ELNS1_11target_archE906ELNS1_3gpuE6ELNS1_3repE0EEENS1_30default_config_static_selectorELNS0_4arch9wavefront6targetE0EEEvT1_,@function
_ZN7rocprim17ROCPRIM_400000_NS6detail17trampoline_kernelINS0_14default_configENS1_25partition_config_selectorILNS1_17partition_subalgoE6EdNS0_10empty_typeEbEEZZNS1_14partition_implILS5_6ELb0ES3_mN6thrust23THRUST_200600_302600_NS6detail15normal_iteratorINSA_10device_ptrIdEEEEPS6_SG_NS0_5tupleIJNSA_16discard_iteratorINSA_11use_defaultEEES6_EEENSH_IJSG_SG_EEES6_PlJNSB_9not_fun_tI7is_trueIdEEEEEE10hipError_tPvRmT3_T4_T5_T6_T7_T9_mT8_P12ihipStream_tbDpT10_ENKUlT_T0_E_clISt17integral_constantIbLb1EES1B_EEDaS16_S17_EUlS16_E_NS1_11comp_targetILNS1_3genE2ELNS1_11target_archE906ELNS1_3gpuE6ELNS1_3repE0EEENS1_30default_config_static_selectorELNS0_4arch9wavefront6targetE0EEEvT1_: ; @_ZN7rocprim17ROCPRIM_400000_NS6detail17trampoline_kernelINS0_14default_configENS1_25partition_config_selectorILNS1_17partition_subalgoE6EdNS0_10empty_typeEbEEZZNS1_14partition_implILS5_6ELb0ES3_mN6thrust23THRUST_200600_302600_NS6detail15normal_iteratorINSA_10device_ptrIdEEEEPS6_SG_NS0_5tupleIJNSA_16discard_iteratorINSA_11use_defaultEEES6_EEENSH_IJSG_SG_EEES6_PlJNSB_9not_fun_tI7is_trueIdEEEEEE10hipError_tPvRmT3_T4_T5_T6_T7_T9_mT8_P12ihipStream_tbDpT10_ENKUlT_T0_E_clISt17integral_constantIbLb1EES1B_EEDaS16_S17_EUlS16_E_NS1_11comp_targetILNS1_3genE2ELNS1_11target_archE906ELNS1_3gpuE6ELNS1_3repE0EEENS1_30default_config_static_selectorELNS0_4arch9wavefront6targetE0EEEvT1_
; %bb.0:
	.section	.rodata,"a",@progbits
	.p2align	6, 0x0
	.amdhsa_kernel _ZN7rocprim17ROCPRIM_400000_NS6detail17trampoline_kernelINS0_14default_configENS1_25partition_config_selectorILNS1_17partition_subalgoE6EdNS0_10empty_typeEbEEZZNS1_14partition_implILS5_6ELb0ES3_mN6thrust23THRUST_200600_302600_NS6detail15normal_iteratorINSA_10device_ptrIdEEEEPS6_SG_NS0_5tupleIJNSA_16discard_iteratorINSA_11use_defaultEEES6_EEENSH_IJSG_SG_EEES6_PlJNSB_9not_fun_tI7is_trueIdEEEEEE10hipError_tPvRmT3_T4_T5_T6_T7_T9_mT8_P12ihipStream_tbDpT10_ENKUlT_T0_E_clISt17integral_constantIbLb1EES1B_EEDaS16_S17_EUlS16_E_NS1_11comp_targetILNS1_3genE2ELNS1_11target_archE906ELNS1_3gpuE6ELNS1_3repE0EEENS1_30default_config_static_selectorELNS0_4arch9wavefront6targetE0EEEvT1_
		.amdhsa_group_segment_fixed_size 0
		.amdhsa_private_segment_fixed_size 0
		.amdhsa_kernarg_size 136
		.amdhsa_user_sgpr_count 2
		.amdhsa_user_sgpr_dispatch_ptr 0
		.amdhsa_user_sgpr_queue_ptr 0
		.amdhsa_user_sgpr_kernarg_segment_ptr 1
		.amdhsa_user_sgpr_dispatch_id 0
		.amdhsa_user_sgpr_private_segment_size 0
		.amdhsa_wavefront_size32 1
		.amdhsa_uses_dynamic_stack 0
		.amdhsa_enable_private_segment 0
		.amdhsa_system_sgpr_workgroup_id_x 1
		.amdhsa_system_sgpr_workgroup_id_y 0
		.amdhsa_system_sgpr_workgroup_id_z 0
		.amdhsa_system_sgpr_workgroup_info 0
		.amdhsa_system_vgpr_workitem_id 0
		.amdhsa_next_free_vgpr 1
		.amdhsa_next_free_sgpr 1
		.amdhsa_reserve_vcc 0
		.amdhsa_float_round_mode_32 0
		.amdhsa_float_round_mode_16_64 0
		.amdhsa_float_denorm_mode_32 3
		.amdhsa_float_denorm_mode_16_64 3
		.amdhsa_fp16_overflow 0
		.amdhsa_workgroup_processor_mode 1
		.amdhsa_memory_ordered 1
		.amdhsa_forward_progress 1
		.amdhsa_inst_pref_size 0
		.amdhsa_round_robin_scheduling 0
		.amdhsa_exception_fp_ieee_invalid_op 0
		.amdhsa_exception_fp_denorm_src 0
		.amdhsa_exception_fp_ieee_div_zero 0
		.amdhsa_exception_fp_ieee_overflow 0
		.amdhsa_exception_fp_ieee_underflow 0
		.amdhsa_exception_fp_ieee_inexact 0
		.amdhsa_exception_int_div_zero 0
	.end_amdhsa_kernel
	.section	.text._ZN7rocprim17ROCPRIM_400000_NS6detail17trampoline_kernelINS0_14default_configENS1_25partition_config_selectorILNS1_17partition_subalgoE6EdNS0_10empty_typeEbEEZZNS1_14partition_implILS5_6ELb0ES3_mN6thrust23THRUST_200600_302600_NS6detail15normal_iteratorINSA_10device_ptrIdEEEEPS6_SG_NS0_5tupleIJNSA_16discard_iteratorINSA_11use_defaultEEES6_EEENSH_IJSG_SG_EEES6_PlJNSB_9not_fun_tI7is_trueIdEEEEEE10hipError_tPvRmT3_T4_T5_T6_T7_T9_mT8_P12ihipStream_tbDpT10_ENKUlT_T0_E_clISt17integral_constantIbLb1EES1B_EEDaS16_S17_EUlS16_E_NS1_11comp_targetILNS1_3genE2ELNS1_11target_archE906ELNS1_3gpuE6ELNS1_3repE0EEENS1_30default_config_static_selectorELNS0_4arch9wavefront6targetE0EEEvT1_,"axG",@progbits,_ZN7rocprim17ROCPRIM_400000_NS6detail17trampoline_kernelINS0_14default_configENS1_25partition_config_selectorILNS1_17partition_subalgoE6EdNS0_10empty_typeEbEEZZNS1_14partition_implILS5_6ELb0ES3_mN6thrust23THRUST_200600_302600_NS6detail15normal_iteratorINSA_10device_ptrIdEEEEPS6_SG_NS0_5tupleIJNSA_16discard_iteratorINSA_11use_defaultEEES6_EEENSH_IJSG_SG_EEES6_PlJNSB_9not_fun_tI7is_trueIdEEEEEE10hipError_tPvRmT3_T4_T5_T6_T7_T9_mT8_P12ihipStream_tbDpT10_ENKUlT_T0_E_clISt17integral_constantIbLb1EES1B_EEDaS16_S17_EUlS16_E_NS1_11comp_targetILNS1_3genE2ELNS1_11target_archE906ELNS1_3gpuE6ELNS1_3repE0EEENS1_30default_config_static_selectorELNS0_4arch9wavefront6targetE0EEEvT1_,comdat
.Lfunc_end2089:
	.size	_ZN7rocprim17ROCPRIM_400000_NS6detail17trampoline_kernelINS0_14default_configENS1_25partition_config_selectorILNS1_17partition_subalgoE6EdNS0_10empty_typeEbEEZZNS1_14partition_implILS5_6ELb0ES3_mN6thrust23THRUST_200600_302600_NS6detail15normal_iteratorINSA_10device_ptrIdEEEEPS6_SG_NS0_5tupleIJNSA_16discard_iteratorINSA_11use_defaultEEES6_EEENSH_IJSG_SG_EEES6_PlJNSB_9not_fun_tI7is_trueIdEEEEEE10hipError_tPvRmT3_T4_T5_T6_T7_T9_mT8_P12ihipStream_tbDpT10_ENKUlT_T0_E_clISt17integral_constantIbLb1EES1B_EEDaS16_S17_EUlS16_E_NS1_11comp_targetILNS1_3genE2ELNS1_11target_archE906ELNS1_3gpuE6ELNS1_3repE0EEENS1_30default_config_static_selectorELNS0_4arch9wavefront6targetE0EEEvT1_, .Lfunc_end2089-_ZN7rocprim17ROCPRIM_400000_NS6detail17trampoline_kernelINS0_14default_configENS1_25partition_config_selectorILNS1_17partition_subalgoE6EdNS0_10empty_typeEbEEZZNS1_14partition_implILS5_6ELb0ES3_mN6thrust23THRUST_200600_302600_NS6detail15normal_iteratorINSA_10device_ptrIdEEEEPS6_SG_NS0_5tupleIJNSA_16discard_iteratorINSA_11use_defaultEEES6_EEENSH_IJSG_SG_EEES6_PlJNSB_9not_fun_tI7is_trueIdEEEEEE10hipError_tPvRmT3_T4_T5_T6_T7_T9_mT8_P12ihipStream_tbDpT10_ENKUlT_T0_E_clISt17integral_constantIbLb1EES1B_EEDaS16_S17_EUlS16_E_NS1_11comp_targetILNS1_3genE2ELNS1_11target_archE906ELNS1_3gpuE6ELNS1_3repE0EEENS1_30default_config_static_selectorELNS0_4arch9wavefront6targetE0EEEvT1_
                                        ; -- End function
	.set _ZN7rocprim17ROCPRIM_400000_NS6detail17trampoline_kernelINS0_14default_configENS1_25partition_config_selectorILNS1_17partition_subalgoE6EdNS0_10empty_typeEbEEZZNS1_14partition_implILS5_6ELb0ES3_mN6thrust23THRUST_200600_302600_NS6detail15normal_iteratorINSA_10device_ptrIdEEEEPS6_SG_NS0_5tupleIJNSA_16discard_iteratorINSA_11use_defaultEEES6_EEENSH_IJSG_SG_EEES6_PlJNSB_9not_fun_tI7is_trueIdEEEEEE10hipError_tPvRmT3_T4_T5_T6_T7_T9_mT8_P12ihipStream_tbDpT10_ENKUlT_T0_E_clISt17integral_constantIbLb1EES1B_EEDaS16_S17_EUlS16_E_NS1_11comp_targetILNS1_3genE2ELNS1_11target_archE906ELNS1_3gpuE6ELNS1_3repE0EEENS1_30default_config_static_selectorELNS0_4arch9wavefront6targetE0EEEvT1_.num_vgpr, 0
	.set _ZN7rocprim17ROCPRIM_400000_NS6detail17trampoline_kernelINS0_14default_configENS1_25partition_config_selectorILNS1_17partition_subalgoE6EdNS0_10empty_typeEbEEZZNS1_14partition_implILS5_6ELb0ES3_mN6thrust23THRUST_200600_302600_NS6detail15normal_iteratorINSA_10device_ptrIdEEEEPS6_SG_NS0_5tupleIJNSA_16discard_iteratorINSA_11use_defaultEEES6_EEENSH_IJSG_SG_EEES6_PlJNSB_9not_fun_tI7is_trueIdEEEEEE10hipError_tPvRmT3_T4_T5_T6_T7_T9_mT8_P12ihipStream_tbDpT10_ENKUlT_T0_E_clISt17integral_constantIbLb1EES1B_EEDaS16_S17_EUlS16_E_NS1_11comp_targetILNS1_3genE2ELNS1_11target_archE906ELNS1_3gpuE6ELNS1_3repE0EEENS1_30default_config_static_selectorELNS0_4arch9wavefront6targetE0EEEvT1_.num_agpr, 0
	.set _ZN7rocprim17ROCPRIM_400000_NS6detail17trampoline_kernelINS0_14default_configENS1_25partition_config_selectorILNS1_17partition_subalgoE6EdNS0_10empty_typeEbEEZZNS1_14partition_implILS5_6ELb0ES3_mN6thrust23THRUST_200600_302600_NS6detail15normal_iteratorINSA_10device_ptrIdEEEEPS6_SG_NS0_5tupleIJNSA_16discard_iteratorINSA_11use_defaultEEES6_EEENSH_IJSG_SG_EEES6_PlJNSB_9not_fun_tI7is_trueIdEEEEEE10hipError_tPvRmT3_T4_T5_T6_T7_T9_mT8_P12ihipStream_tbDpT10_ENKUlT_T0_E_clISt17integral_constantIbLb1EES1B_EEDaS16_S17_EUlS16_E_NS1_11comp_targetILNS1_3genE2ELNS1_11target_archE906ELNS1_3gpuE6ELNS1_3repE0EEENS1_30default_config_static_selectorELNS0_4arch9wavefront6targetE0EEEvT1_.numbered_sgpr, 0
	.set _ZN7rocprim17ROCPRIM_400000_NS6detail17trampoline_kernelINS0_14default_configENS1_25partition_config_selectorILNS1_17partition_subalgoE6EdNS0_10empty_typeEbEEZZNS1_14partition_implILS5_6ELb0ES3_mN6thrust23THRUST_200600_302600_NS6detail15normal_iteratorINSA_10device_ptrIdEEEEPS6_SG_NS0_5tupleIJNSA_16discard_iteratorINSA_11use_defaultEEES6_EEENSH_IJSG_SG_EEES6_PlJNSB_9not_fun_tI7is_trueIdEEEEEE10hipError_tPvRmT3_T4_T5_T6_T7_T9_mT8_P12ihipStream_tbDpT10_ENKUlT_T0_E_clISt17integral_constantIbLb1EES1B_EEDaS16_S17_EUlS16_E_NS1_11comp_targetILNS1_3genE2ELNS1_11target_archE906ELNS1_3gpuE6ELNS1_3repE0EEENS1_30default_config_static_selectorELNS0_4arch9wavefront6targetE0EEEvT1_.num_named_barrier, 0
	.set _ZN7rocprim17ROCPRIM_400000_NS6detail17trampoline_kernelINS0_14default_configENS1_25partition_config_selectorILNS1_17partition_subalgoE6EdNS0_10empty_typeEbEEZZNS1_14partition_implILS5_6ELb0ES3_mN6thrust23THRUST_200600_302600_NS6detail15normal_iteratorINSA_10device_ptrIdEEEEPS6_SG_NS0_5tupleIJNSA_16discard_iteratorINSA_11use_defaultEEES6_EEENSH_IJSG_SG_EEES6_PlJNSB_9not_fun_tI7is_trueIdEEEEEE10hipError_tPvRmT3_T4_T5_T6_T7_T9_mT8_P12ihipStream_tbDpT10_ENKUlT_T0_E_clISt17integral_constantIbLb1EES1B_EEDaS16_S17_EUlS16_E_NS1_11comp_targetILNS1_3genE2ELNS1_11target_archE906ELNS1_3gpuE6ELNS1_3repE0EEENS1_30default_config_static_selectorELNS0_4arch9wavefront6targetE0EEEvT1_.private_seg_size, 0
	.set _ZN7rocprim17ROCPRIM_400000_NS6detail17trampoline_kernelINS0_14default_configENS1_25partition_config_selectorILNS1_17partition_subalgoE6EdNS0_10empty_typeEbEEZZNS1_14partition_implILS5_6ELb0ES3_mN6thrust23THRUST_200600_302600_NS6detail15normal_iteratorINSA_10device_ptrIdEEEEPS6_SG_NS0_5tupleIJNSA_16discard_iteratorINSA_11use_defaultEEES6_EEENSH_IJSG_SG_EEES6_PlJNSB_9not_fun_tI7is_trueIdEEEEEE10hipError_tPvRmT3_T4_T5_T6_T7_T9_mT8_P12ihipStream_tbDpT10_ENKUlT_T0_E_clISt17integral_constantIbLb1EES1B_EEDaS16_S17_EUlS16_E_NS1_11comp_targetILNS1_3genE2ELNS1_11target_archE906ELNS1_3gpuE6ELNS1_3repE0EEENS1_30default_config_static_selectorELNS0_4arch9wavefront6targetE0EEEvT1_.uses_vcc, 0
	.set _ZN7rocprim17ROCPRIM_400000_NS6detail17trampoline_kernelINS0_14default_configENS1_25partition_config_selectorILNS1_17partition_subalgoE6EdNS0_10empty_typeEbEEZZNS1_14partition_implILS5_6ELb0ES3_mN6thrust23THRUST_200600_302600_NS6detail15normal_iteratorINSA_10device_ptrIdEEEEPS6_SG_NS0_5tupleIJNSA_16discard_iteratorINSA_11use_defaultEEES6_EEENSH_IJSG_SG_EEES6_PlJNSB_9not_fun_tI7is_trueIdEEEEEE10hipError_tPvRmT3_T4_T5_T6_T7_T9_mT8_P12ihipStream_tbDpT10_ENKUlT_T0_E_clISt17integral_constantIbLb1EES1B_EEDaS16_S17_EUlS16_E_NS1_11comp_targetILNS1_3genE2ELNS1_11target_archE906ELNS1_3gpuE6ELNS1_3repE0EEENS1_30default_config_static_selectorELNS0_4arch9wavefront6targetE0EEEvT1_.uses_flat_scratch, 0
	.set _ZN7rocprim17ROCPRIM_400000_NS6detail17trampoline_kernelINS0_14default_configENS1_25partition_config_selectorILNS1_17partition_subalgoE6EdNS0_10empty_typeEbEEZZNS1_14partition_implILS5_6ELb0ES3_mN6thrust23THRUST_200600_302600_NS6detail15normal_iteratorINSA_10device_ptrIdEEEEPS6_SG_NS0_5tupleIJNSA_16discard_iteratorINSA_11use_defaultEEES6_EEENSH_IJSG_SG_EEES6_PlJNSB_9not_fun_tI7is_trueIdEEEEEE10hipError_tPvRmT3_T4_T5_T6_T7_T9_mT8_P12ihipStream_tbDpT10_ENKUlT_T0_E_clISt17integral_constantIbLb1EES1B_EEDaS16_S17_EUlS16_E_NS1_11comp_targetILNS1_3genE2ELNS1_11target_archE906ELNS1_3gpuE6ELNS1_3repE0EEENS1_30default_config_static_selectorELNS0_4arch9wavefront6targetE0EEEvT1_.has_dyn_sized_stack, 0
	.set _ZN7rocprim17ROCPRIM_400000_NS6detail17trampoline_kernelINS0_14default_configENS1_25partition_config_selectorILNS1_17partition_subalgoE6EdNS0_10empty_typeEbEEZZNS1_14partition_implILS5_6ELb0ES3_mN6thrust23THRUST_200600_302600_NS6detail15normal_iteratorINSA_10device_ptrIdEEEEPS6_SG_NS0_5tupleIJNSA_16discard_iteratorINSA_11use_defaultEEES6_EEENSH_IJSG_SG_EEES6_PlJNSB_9not_fun_tI7is_trueIdEEEEEE10hipError_tPvRmT3_T4_T5_T6_T7_T9_mT8_P12ihipStream_tbDpT10_ENKUlT_T0_E_clISt17integral_constantIbLb1EES1B_EEDaS16_S17_EUlS16_E_NS1_11comp_targetILNS1_3genE2ELNS1_11target_archE906ELNS1_3gpuE6ELNS1_3repE0EEENS1_30default_config_static_selectorELNS0_4arch9wavefront6targetE0EEEvT1_.has_recursion, 0
	.set _ZN7rocprim17ROCPRIM_400000_NS6detail17trampoline_kernelINS0_14default_configENS1_25partition_config_selectorILNS1_17partition_subalgoE6EdNS0_10empty_typeEbEEZZNS1_14partition_implILS5_6ELb0ES3_mN6thrust23THRUST_200600_302600_NS6detail15normal_iteratorINSA_10device_ptrIdEEEEPS6_SG_NS0_5tupleIJNSA_16discard_iteratorINSA_11use_defaultEEES6_EEENSH_IJSG_SG_EEES6_PlJNSB_9not_fun_tI7is_trueIdEEEEEE10hipError_tPvRmT3_T4_T5_T6_T7_T9_mT8_P12ihipStream_tbDpT10_ENKUlT_T0_E_clISt17integral_constantIbLb1EES1B_EEDaS16_S17_EUlS16_E_NS1_11comp_targetILNS1_3genE2ELNS1_11target_archE906ELNS1_3gpuE6ELNS1_3repE0EEENS1_30default_config_static_selectorELNS0_4arch9wavefront6targetE0EEEvT1_.has_indirect_call, 0
	.section	.AMDGPU.csdata,"",@progbits
; Kernel info:
; codeLenInByte = 0
; TotalNumSgprs: 0
; NumVgprs: 0
; ScratchSize: 0
; MemoryBound: 0
; FloatMode: 240
; IeeeMode: 1
; LDSByteSize: 0 bytes/workgroup (compile time only)
; SGPRBlocks: 0
; VGPRBlocks: 0
; NumSGPRsForWavesPerEU: 1
; NumVGPRsForWavesPerEU: 1
; Occupancy: 16
; WaveLimiterHint : 0
; COMPUTE_PGM_RSRC2:SCRATCH_EN: 0
; COMPUTE_PGM_RSRC2:USER_SGPR: 2
; COMPUTE_PGM_RSRC2:TRAP_HANDLER: 0
; COMPUTE_PGM_RSRC2:TGID_X_EN: 1
; COMPUTE_PGM_RSRC2:TGID_Y_EN: 0
; COMPUTE_PGM_RSRC2:TGID_Z_EN: 0
; COMPUTE_PGM_RSRC2:TIDIG_COMP_CNT: 0
	.section	.text._ZN7rocprim17ROCPRIM_400000_NS6detail17trampoline_kernelINS0_14default_configENS1_25partition_config_selectorILNS1_17partition_subalgoE6EdNS0_10empty_typeEbEEZZNS1_14partition_implILS5_6ELb0ES3_mN6thrust23THRUST_200600_302600_NS6detail15normal_iteratorINSA_10device_ptrIdEEEEPS6_SG_NS0_5tupleIJNSA_16discard_iteratorINSA_11use_defaultEEES6_EEENSH_IJSG_SG_EEES6_PlJNSB_9not_fun_tI7is_trueIdEEEEEE10hipError_tPvRmT3_T4_T5_T6_T7_T9_mT8_P12ihipStream_tbDpT10_ENKUlT_T0_E_clISt17integral_constantIbLb1EES1B_EEDaS16_S17_EUlS16_E_NS1_11comp_targetILNS1_3genE10ELNS1_11target_archE1200ELNS1_3gpuE4ELNS1_3repE0EEENS1_30default_config_static_selectorELNS0_4arch9wavefront6targetE0EEEvT1_,"axG",@progbits,_ZN7rocprim17ROCPRIM_400000_NS6detail17trampoline_kernelINS0_14default_configENS1_25partition_config_selectorILNS1_17partition_subalgoE6EdNS0_10empty_typeEbEEZZNS1_14partition_implILS5_6ELb0ES3_mN6thrust23THRUST_200600_302600_NS6detail15normal_iteratorINSA_10device_ptrIdEEEEPS6_SG_NS0_5tupleIJNSA_16discard_iteratorINSA_11use_defaultEEES6_EEENSH_IJSG_SG_EEES6_PlJNSB_9not_fun_tI7is_trueIdEEEEEE10hipError_tPvRmT3_T4_T5_T6_T7_T9_mT8_P12ihipStream_tbDpT10_ENKUlT_T0_E_clISt17integral_constantIbLb1EES1B_EEDaS16_S17_EUlS16_E_NS1_11comp_targetILNS1_3genE10ELNS1_11target_archE1200ELNS1_3gpuE4ELNS1_3repE0EEENS1_30default_config_static_selectorELNS0_4arch9wavefront6targetE0EEEvT1_,comdat
	.protected	_ZN7rocprim17ROCPRIM_400000_NS6detail17trampoline_kernelINS0_14default_configENS1_25partition_config_selectorILNS1_17partition_subalgoE6EdNS0_10empty_typeEbEEZZNS1_14partition_implILS5_6ELb0ES3_mN6thrust23THRUST_200600_302600_NS6detail15normal_iteratorINSA_10device_ptrIdEEEEPS6_SG_NS0_5tupleIJNSA_16discard_iteratorINSA_11use_defaultEEES6_EEENSH_IJSG_SG_EEES6_PlJNSB_9not_fun_tI7is_trueIdEEEEEE10hipError_tPvRmT3_T4_T5_T6_T7_T9_mT8_P12ihipStream_tbDpT10_ENKUlT_T0_E_clISt17integral_constantIbLb1EES1B_EEDaS16_S17_EUlS16_E_NS1_11comp_targetILNS1_3genE10ELNS1_11target_archE1200ELNS1_3gpuE4ELNS1_3repE0EEENS1_30default_config_static_selectorELNS0_4arch9wavefront6targetE0EEEvT1_ ; -- Begin function _ZN7rocprim17ROCPRIM_400000_NS6detail17trampoline_kernelINS0_14default_configENS1_25partition_config_selectorILNS1_17partition_subalgoE6EdNS0_10empty_typeEbEEZZNS1_14partition_implILS5_6ELb0ES3_mN6thrust23THRUST_200600_302600_NS6detail15normal_iteratorINSA_10device_ptrIdEEEEPS6_SG_NS0_5tupleIJNSA_16discard_iteratorINSA_11use_defaultEEES6_EEENSH_IJSG_SG_EEES6_PlJNSB_9not_fun_tI7is_trueIdEEEEEE10hipError_tPvRmT3_T4_T5_T6_T7_T9_mT8_P12ihipStream_tbDpT10_ENKUlT_T0_E_clISt17integral_constantIbLb1EES1B_EEDaS16_S17_EUlS16_E_NS1_11comp_targetILNS1_3genE10ELNS1_11target_archE1200ELNS1_3gpuE4ELNS1_3repE0EEENS1_30default_config_static_selectorELNS0_4arch9wavefront6targetE0EEEvT1_
	.globl	_ZN7rocprim17ROCPRIM_400000_NS6detail17trampoline_kernelINS0_14default_configENS1_25partition_config_selectorILNS1_17partition_subalgoE6EdNS0_10empty_typeEbEEZZNS1_14partition_implILS5_6ELb0ES3_mN6thrust23THRUST_200600_302600_NS6detail15normal_iteratorINSA_10device_ptrIdEEEEPS6_SG_NS0_5tupleIJNSA_16discard_iteratorINSA_11use_defaultEEES6_EEENSH_IJSG_SG_EEES6_PlJNSB_9not_fun_tI7is_trueIdEEEEEE10hipError_tPvRmT3_T4_T5_T6_T7_T9_mT8_P12ihipStream_tbDpT10_ENKUlT_T0_E_clISt17integral_constantIbLb1EES1B_EEDaS16_S17_EUlS16_E_NS1_11comp_targetILNS1_3genE10ELNS1_11target_archE1200ELNS1_3gpuE4ELNS1_3repE0EEENS1_30default_config_static_selectorELNS0_4arch9wavefront6targetE0EEEvT1_
	.p2align	8
	.type	_ZN7rocprim17ROCPRIM_400000_NS6detail17trampoline_kernelINS0_14default_configENS1_25partition_config_selectorILNS1_17partition_subalgoE6EdNS0_10empty_typeEbEEZZNS1_14partition_implILS5_6ELb0ES3_mN6thrust23THRUST_200600_302600_NS6detail15normal_iteratorINSA_10device_ptrIdEEEEPS6_SG_NS0_5tupleIJNSA_16discard_iteratorINSA_11use_defaultEEES6_EEENSH_IJSG_SG_EEES6_PlJNSB_9not_fun_tI7is_trueIdEEEEEE10hipError_tPvRmT3_T4_T5_T6_T7_T9_mT8_P12ihipStream_tbDpT10_ENKUlT_T0_E_clISt17integral_constantIbLb1EES1B_EEDaS16_S17_EUlS16_E_NS1_11comp_targetILNS1_3genE10ELNS1_11target_archE1200ELNS1_3gpuE4ELNS1_3repE0EEENS1_30default_config_static_selectorELNS0_4arch9wavefront6targetE0EEEvT1_,@function
_ZN7rocprim17ROCPRIM_400000_NS6detail17trampoline_kernelINS0_14default_configENS1_25partition_config_selectorILNS1_17partition_subalgoE6EdNS0_10empty_typeEbEEZZNS1_14partition_implILS5_6ELb0ES3_mN6thrust23THRUST_200600_302600_NS6detail15normal_iteratorINSA_10device_ptrIdEEEEPS6_SG_NS0_5tupleIJNSA_16discard_iteratorINSA_11use_defaultEEES6_EEENSH_IJSG_SG_EEES6_PlJNSB_9not_fun_tI7is_trueIdEEEEEE10hipError_tPvRmT3_T4_T5_T6_T7_T9_mT8_P12ihipStream_tbDpT10_ENKUlT_T0_E_clISt17integral_constantIbLb1EES1B_EEDaS16_S17_EUlS16_E_NS1_11comp_targetILNS1_3genE10ELNS1_11target_archE1200ELNS1_3gpuE4ELNS1_3repE0EEENS1_30default_config_static_selectorELNS0_4arch9wavefront6targetE0EEEvT1_: ; @_ZN7rocprim17ROCPRIM_400000_NS6detail17trampoline_kernelINS0_14default_configENS1_25partition_config_selectorILNS1_17partition_subalgoE6EdNS0_10empty_typeEbEEZZNS1_14partition_implILS5_6ELb0ES3_mN6thrust23THRUST_200600_302600_NS6detail15normal_iteratorINSA_10device_ptrIdEEEEPS6_SG_NS0_5tupleIJNSA_16discard_iteratorINSA_11use_defaultEEES6_EEENSH_IJSG_SG_EEES6_PlJNSB_9not_fun_tI7is_trueIdEEEEEE10hipError_tPvRmT3_T4_T5_T6_T7_T9_mT8_P12ihipStream_tbDpT10_ENKUlT_T0_E_clISt17integral_constantIbLb1EES1B_EEDaS16_S17_EUlS16_E_NS1_11comp_targetILNS1_3genE10ELNS1_11target_archE1200ELNS1_3gpuE4ELNS1_3repE0EEENS1_30default_config_static_selectorELNS0_4arch9wavefront6targetE0EEEvT1_
; %bb.0:
	s_endpgm
	.section	.rodata,"a",@progbits
	.p2align	6, 0x0
	.amdhsa_kernel _ZN7rocprim17ROCPRIM_400000_NS6detail17trampoline_kernelINS0_14default_configENS1_25partition_config_selectorILNS1_17partition_subalgoE6EdNS0_10empty_typeEbEEZZNS1_14partition_implILS5_6ELb0ES3_mN6thrust23THRUST_200600_302600_NS6detail15normal_iteratorINSA_10device_ptrIdEEEEPS6_SG_NS0_5tupleIJNSA_16discard_iteratorINSA_11use_defaultEEES6_EEENSH_IJSG_SG_EEES6_PlJNSB_9not_fun_tI7is_trueIdEEEEEE10hipError_tPvRmT3_T4_T5_T6_T7_T9_mT8_P12ihipStream_tbDpT10_ENKUlT_T0_E_clISt17integral_constantIbLb1EES1B_EEDaS16_S17_EUlS16_E_NS1_11comp_targetILNS1_3genE10ELNS1_11target_archE1200ELNS1_3gpuE4ELNS1_3repE0EEENS1_30default_config_static_selectorELNS0_4arch9wavefront6targetE0EEEvT1_
		.amdhsa_group_segment_fixed_size 0
		.amdhsa_private_segment_fixed_size 0
		.amdhsa_kernarg_size 136
		.amdhsa_user_sgpr_count 2
		.amdhsa_user_sgpr_dispatch_ptr 0
		.amdhsa_user_sgpr_queue_ptr 0
		.amdhsa_user_sgpr_kernarg_segment_ptr 1
		.amdhsa_user_sgpr_dispatch_id 0
		.amdhsa_user_sgpr_private_segment_size 0
		.amdhsa_wavefront_size32 1
		.amdhsa_uses_dynamic_stack 0
		.amdhsa_enable_private_segment 0
		.amdhsa_system_sgpr_workgroup_id_x 1
		.amdhsa_system_sgpr_workgroup_id_y 0
		.amdhsa_system_sgpr_workgroup_id_z 0
		.amdhsa_system_sgpr_workgroup_info 0
		.amdhsa_system_vgpr_workitem_id 0
		.amdhsa_next_free_vgpr 1
		.amdhsa_next_free_sgpr 1
		.amdhsa_reserve_vcc 0
		.amdhsa_float_round_mode_32 0
		.amdhsa_float_round_mode_16_64 0
		.amdhsa_float_denorm_mode_32 3
		.amdhsa_float_denorm_mode_16_64 3
		.amdhsa_fp16_overflow 0
		.amdhsa_workgroup_processor_mode 1
		.amdhsa_memory_ordered 1
		.amdhsa_forward_progress 1
		.amdhsa_inst_pref_size 1
		.amdhsa_round_robin_scheduling 0
		.amdhsa_exception_fp_ieee_invalid_op 0
		.amdhsa_exception_fp_denorm_src 0
		.amdhsa_exception_fp_ieee_div_zero 0
		.amdhsa_exception_fp_ieee_overflow 0
		.amdhsa_exception_fp_ieee_underflow 0
		.amdhsa_exception_fp_ieee_inexact 0
		.amdhsa_exception_int_div_zero 0
	.end_amdhsa_kernel
	.section	.text._ZN7rocprim17ROCPRIM_400000_NS6detail17trampoline_kernelINS0_14default_configENS1_25partition_config_selectorILNS1_17partition_subalgoE6EdNS0_10empty_typeEbEEZZNS1_14partition_implILS5_6ELb0ES3_mN6thrust23THRUST_200600_302600_NS6detail15normal_iteratorINSA_10device_ptrIdEEEEPS6_SG_NS0_5tupleIJNSA_16discard_iteratorINSA_11use_defaultEEES6_EEENSH_IJSG_SG_EEES6_PlJNSB_9not_fun_tI7is_trueIdEEEEEE10hipError_tPvRmT3_T4_T5_T6_T7_T9_mT8_P12ihipStream_tbDpT10_ENKUlT_T0_E_clISt17integral_constantIbLb1EES1B_EEDaS16_S17_EUlS16_E_NS1_11comp_targetILNS1_3genE10ELNS1_11target_archE1200ELNS1_3gpuE4ELNS1_3repE0EEENS1_30default_config_static_selectorELNS0_4arch9wavefront6targetE0EEEvT1_,"axG",@progbits,_ZN7rocprim17ROCPRIM_400000_NS6detail17trampoline_kernelINS0_14default_configENS1_25partition_config_selectorILNS1_17partition_subalgoE6EdNS0_10empty_typeEbEEZZNS1_14partition_implILS5_6ELb0ES3_mN6thrust23THRUST_200600_302600_NS6detail15normal_iteratorINSA_10device_ptrIdEEEEPS6_SG_NS0_5tupleIJNSA_16discard_iteratorINSA_11use_defaultEEES6_EEENSH_IJSG_SG_EEES6_PlJNSB_9not_fun_tI7is_trueIdEEEEEE10hipError_tPvRmT3_T4_T5_T6_T7_T9_mT8_P12ihipStream_tbDpT10_ENKUlT_T0_E_clISt17integral_constantIbLb1EES1B_EEDaS16_S17_EUlS16_E_NS1_11comp_targetILNS1_3genE10ELNS1_11target_archE1200ELNS1_3gpuE4ELNS1_3repE0EEENS1_30default_config_static_selectorELNS0_4arch9wavefront6targetE0EEEvT1_,comdat
.Lfunc_end2090:
	.size	_ZN7rocprim17ROCPRIM_400000_NS6detail17trampoline_kernelINS0_14default_configENS1_25partition_config_selectorILNS1_17partition_subalgoE6EdNS0_10empty_typeEbEEZZNS1_14partition_implILS5_6ELb0ES3_mN6thrust23THRUST_200600_302600_NS6detail15normal_iteratorINSA_10device_ptrIdEEEEPS6_SG_NS0_5tupleIJNSA_16discard_iteratorINSA_11use_defaultEEES6_EEENSH_IJSG_SG_EEES6_PlJNSB_9not_fun_tI7is_trueIdEEEEEE10hipError_tPvRmT3_T4_T5_T6_T7_T9_mT8_P12ihipStream_tbDpT10_ENKUlT_T0_E_clISt17integral_constantIbLb1EES1B_EEDaS16_S17_EUlS16_E_NS1_11comp_targetILNS1_3genE10ELNS1_11target_archE1200ELNS1_3gpuE4ELNS1_3repE0EEENS1_30default_config_static_selectorELNS0_4arch9wavefront6targetE0EEEvT1_, .Lfunc_end2090-_ZN7rocprim17ROCPRIM_400000_NS6detail17trampoline_kernelINS0_14default_configENS1_25partition_config_selectorILNS1_17partition_subalgoE6EdNS0_10empty_typeEbEEZZNS1_14partition_implILS5_6ELb0ES3_mN6thrust23THRUST_200600_302600_NS6detail15normal_iteratorINSA_10device_ptrIdEEEEPS6_SG_NS0_5tupleIJNSA_16discard_iteratorINSA_11use_defaultEEES6_EEENSH_IJSG_SG_EEES6_PlJNSB_9not_fun_tI7is_trueIdEEEEEE10hipError_tPvRmT3_T4_T5_T6_T7_T9_mT8_P12ihipStream_tbDpT10_ENKUlT_T0_E_clISt17integral_constantIbLb1EES1B_EEDaS16_S17_EUlS16_E_NS1_11comp_targetILNS1_3genE10ELNS1_11target_archE1200ELNS1_3gpuE4ELNS1_3repE0EEENS1_30default_config_static_selectorELNS0_4arch9wavefront6targetE0EEEvT1_
                                        ; -- End function
	.set _ZN7rocprim17ROCPRIM_400000_NS6detail17trampoline_kernelINS0_14default_configENS1_25partition_config_selectorILNS1_17partition_subalgoE6EdNS0_10empty_typeEbEEZZNS1_14partition_implILS5_6ELb0ES3_mN6thrust23THRUST_200600_302600_NS6detail15normal_iteratorINSA_10device_ptrIdEEEEPS6_SG_NS0_5tupleIJNSA_16discard_iteratorINSA_11use_defaultEEES6_EEENSH_IJSG_SG_EEES6_PlJNSB_9not_fun_tI7is_trueIdEEEEEE10hipError_tPvRmT3_T4_T5_T6_T7_T9_mT8_P12ihipStream_tbDpT10_ENKUlT_T0_E_clISt17integral_constantIbLb1EES1B_EEDaS16_S17_EUlS16_E_NS1_11comp_targetILNS1_3genE10ELNS1_11target_archE1200ELNS1_3gpuE4ELNS1_3repE0EEENS1_30default_config_static_selectorELNS0_4arch9wavefront6targetE0EEEvT1_.num_vgpr, 0
	.set _ZN7rocprim17ROCPRIM_400000_NS6detail17trampoline_kernelINS0_14default_configENS1_25partition_config_selectorILNS1_17partition_subalgoE6EdNS0_10empty_typeEbEEZZNS1_14partition_implILS5_6ELb0ES3_mN6thrust23THRUST_200600_302600_NS6detail15normal_iteratorINSA_10device_ptrIdEEEEPS6_SG_NS0_5tupleIJNSA_16discard_iteratorINSA_11use_defaultEEES6_EEENSH_IJSG_SG_EEES6_PlJNSB_9not_fun_tI7is_trueIdEEEEEE10hipError_tPvRmT3_T4_T5_T6_T7_T9_mT8_P12ihipStream_tbDpT10_ENKUlT_T0_E_clISt17integral_constantIbLb1EES1B_EEDaS16_S17_EUlS16_E_NS1_11comp_targetILNS1_3genE10ELNS1_11target_archE1200ELNS1_3gpuE4ELNS1_3repE0EEENS1_30default_config_static_selectorELNS0_4arch9wavefront6targetE0EEEvT1_.num_agpr, 0
	.set _ZN7rocprim17ROCPRIM_400000_NS6detail17trampoline_kernelINS0_14default_configENS1_25partition_config_selectorILNS1_17partition_subalgoE6EdNS0_10empty_typeEbEEZZNS1_14partition_implILS5_6ELb0ES3_mN6thrust23THRUST_200600_302600_NS6detail15normal_iteratorINSA_10device_ptrIdEEEEPS6_SG_NS0_5tupleIJNSA_16discard_iteratorINSA_11use_defaultEEES6_EEENSH_IJSG_SG_EEES6_PlJNSB_9not_fun_tI7is_trueIdEEEEEE10hipError_tPvRmT3_T4_T5_T6_T7_T9_mT8_P12ihipStream_tbDpT10_ENKUlT_T0_E_clISt17integral_constantIbLb1EES1B_EEDaS16_S17_EUlS16_E_NS1_11comp_targetILNS1_3genE10ELNS1_11target_archE1200ELNS1_3gpuE4ELNS1_3repE0EEENS1_30default_config_static_selectorELNS0_4arch9wavefront6targetE0EEEvT1_.numbered_sgpr, 0
	.set _ZN7rocprim17ROCPRIM_400000_NS6detail17trampoline_kernelINS0_14default_configENS1_25partition_config_selectorILNS1_17partition_subalgoE6EdNS0_10empty_typeEbEEZZNS1_14partition_implILS5_6ELb0ES3_mN6thrust23THRUST_200600_302600_NS6detail15normal_iteratorINSA_10device_ptrIdEEEEPS6_SG_NS0_5tupleIJNSA_16discard_iteratorINSA_11use_defaultEEES6_EEENSH_IJSG_SG_EEES6_PlJNSB_9not_fun_tI7is_trueIdEEEEEE10hipError_tPvRmT3_T4_T5_T6_T7_T9_mT8_P12ihipStream_tbDpT10_ENKUlT_T0_E_clISt17integral_constantIbLb1EES1B_EEDaS16_S17_EUlS16_E_NS1_11comp_targetILNS1_3genE10ELNS1_11target_archE1200ELNS1_3gpuE4ELNS1_3repE0EEENS1_30default_config_static_selectorELNS0_4arch9wavefront6targetE0EEEvT1_.num_named_barrier, 0
	.set _ZN7rocprim17ROCPRIM_400000_NS6detail17trampoline_kernelINS0_14default_configENS1_25partition_config_selectorILNS1_17partition_subalgoE6EdNS0_10empty_typeEbEEZZNS1_14partition_implILS5_6ELb0ES3_mN6thrust23THRUST_200600_302600_NS6detail15normal_iteratorINSA_10device_ptrIdEEEEPS6_SG_NS0_5tupleIJNSA_16discard_iteratorINSA_11use_defaultEEES6_EEENSH_IJSG_SG_EEES6_PlJNSB_9not_fun_tI7is_trueIdEEEEEE10hipError_tPvRmT3_T4_T5_T6_T7_T9_mT8_P12ihipStream_tbDpT10_ENKUlT_T0_E_clISt17integral_constantIbLb1EES1B_EEDaS16_S17_EUlS16_E_NS1_11comp_targetILNS1_3genE10ELNS1_11target_archE1200ELNS1_3gpuE4ELNS1_3repE0EEENS1_30default_config_static_selectorELNS0_4arch9wavefront6targetE0EEEvT1_.private_seg_size, 0
	.set _ZN7rocprim17ROCPRIM_400000_NS6detail17trampoline_kernelINS0_14default_configENS1_25partition_config_selectorILNS1_17partition_subalgoE6EdNS0_10empty_typeEbEEZZNS1_14partition_implILS5_6ELb0ES3_mN6thrust23THRUST_200600_302600_NS6detail15normal_iteratorINSA_10device_ptrIdEEEEPS6_SG_NS0_5tupleIJNSA_16discard_iteratorINSA_11use_defaultEEES6_EEENSH_IJSG_SG_EEES6_PlJNSB_9not_fun_tI7is_trueIdEEEEEE10hipError_tPvRmT3_T4_T5_T6_T7_T9_mT8_P12ihipStream_tbDpT10_ENKUlT_T0_E_clISt17integral_constantIbLb1EES1B_EEDaS16_S17_EUlS16_E_NS1_11comp_targetILNS1_3genE10ELNS1_11target_archE1200ELNS1_3gpuE4ELNS1_3repE0EEENS1_30default_config_static_selectorELNS0_4arch9wavefront6targetE0EEEvT1_.uses_vcc, 0
	.set _ZN7rocprim17ROCPRIM_400000_NS6detail17trampoline_kernelINS0_14default_configENS1_25partition_config_selectorILNS1_17partition_subalgoE6EdNS0_10empty_typeEbEEZZNS1_14partition_implILS5_6ELb0ES3_mN6thrust23THRUST_200600_302600_NS6detail15normal_iteratorINSA_10device_ptrIdEEEEPS6_SG_NS0_5tupleIJNSA_16discard_iteratorINSA_11use_defaultEEES6_EEENSH_IJSG_SG_EEES6_PlJNSB_9not_fun_tI7is_trueIdEEEEEE10hipError_tPvRmT3_T4_T5_T6_T7_T9_mT8_P12ihipStream_tbDpT10_ENKUlT_T0_E_clISt17integral_constantIbLb1EES1B_EEDaS16_S17_EUlS16_E_NS1_11comp_targetILNS1_3genE10ELNS1_11target_archE1200ELNS1_3gpuE4ELNS1_3repE0EEENS1_30default_config_static_selectorELNS0_4arch9wavefront6targetE0EEEvT1_.uses_flat_scratch, 0
	.set _ZN7rocprim17ROCPRIM_400000_NS6detail17trampoline_kernelINS0_14default_configENS1_25partition_config_selectorILNS1_17partition_subalgoE6EdNS0_10empty_typeEbEEZZNS1_14partition_implILS5_6ELb0ES3_mN6thrust23THRUST_200600_302600_NS6detail15normal_iteratorINSA_10device_ptrIdEEEEPS6_SG_NS0_5tupleIJNSA_16discard_iteratorINSA_11use_defaultEEES6_EEENSH_IJSG_SG_EEES6_PlJNSB_9not_fun_tI7is_trueIdEEEEEE10hipError_tPvRmT3_T4_T5_T6_T7_T9_mT8_P12ihipStream_tbDpT10_ENKUlT_T0_E_clISt17integral_constantIbLb1EES1B_EEDaS16_S17_EUlS16_E_NS1_11comp_targetILNS1_3genE10ELNS1_11target_archE1200ELNS1_3gpuE4ELNS1_3repE0EEENS1_30default_config_static_selectorELNS0_4arch9wavefront6targetE0EEEvT1_.has_dyn_sized_stack, 0
	.set _ZN7rocprim17ROCPRIM_400000_NS6detail17trampoline_kernelINS0_14default_configENS1_25partition_config_selectorILNS1_17partition_subalgoE6EdNS0_10empty_typeEbEEZZNS1_14partition_implILS5_6ELb0ES3_mN6thrust23THRUST_200600_302600_NS6detail15normal_iteratorINSA_10device_ptrIdEEEEPS6_SG_NS0_5tupleIJNSA_16discard_iteratorINSA_11use_defaultEEES6_EEENSH_IJSG_SG_EEES6_PlJNSB_9not_fun_tI7is_trueIdEEEEEE10hipError_tPvRmT3_T4_T5_T6_T7_T9_mT8_P12ihipStream_tbDpT10_ENKUlT_T0_E_clISt17integral_constantIbLb1EES1B_EEDaS16_S17_EUlS16_E_NS1_11comp_targetILNS1_3genE10ELNS1_11target_archE1200ELNS1_3gpuE4ELNS1_3repE0EEENS1_30default_config_static_selectorELNS0_4arch9wavefront6targetE0EEEvT1_.has_recursion, 0
	.set _ZN7rocprim17ROCPRIM_400000_NS6detail17trampoline_kernelINS0_14default_configENS1_25partition_config_selectorILNS1_17partition_subalgoE6EdNS0_10empty_typeEbEEZZNS1_14partition_implILS5_6ELb0ES3_mN6thrust23THRUST_200600_302600_NS6detail15normal_iteratorINSA_10device_ptrIdEEEEPS6_SG_NS0_5tupleIJNSA_16discard_iteratorINSA_11use_defaultEEES6_EEENSH_IJSG_SG_EEES6_PlJNSB_9not_fun_tI7is_trueIdEEEEEE10hipError_tPvRmT3_T4_T5_T6_T7_T9_mT8_P12ihipStream_tbDpT10_ENKUlT_T0_E_clISt17integral_constantIbLb1EES1B_EEDaS16_S17_EUlS16_E_NS1_11comp_targetILNS1_3genE10ELNS1_11target_archE1200ELNS1_3gpuE4ELNS1_3repE0EEENS1_30default_config_static_selectorELNS0_4arch9wavefront6targetE0EEEvT1_.has_indirect_call, 0
	.section	.AMDGPU.csdata,"",@progbits
; Kernel info:
; codeLenInByte = 4
; TotalNumSgprs: 0
; NumVgprs: 0
; ScratchSize: 0
; MemoryBound: 0
; FloatMode: 240
; IeeeMode: 1
; LDSByteSize: 0 bytes/workgroup (compile time only)
; SGPRBlocks: 0
; VGPRBlocks: 0
; NumSGPRsForWavesPerEU: 1
; NumVGPRsForWavesPerEU: 1
; Occupancy: 16
; WaveLimiterHint : 0
; COMPUTE_PGM_RSRC2:SCRATCH_EN: 0
; COMPUTE_PGM_RSRC2:USER_SGPR: 2
; COMPUTE_PGM_RSRC2:TRAP_HANDLER: 0
; COMPUTE_PGM_RSRC2:TGID_X_EN: 1
; COMPUTE_PGM_RSRC2:TGID_Y_EN: 0
; COMPUTE_PGM_RSRC2:TGID_Z_EN: 0
; COMPUTE_PGM_RSRC2:TIDIG_COMP_CNT: 0
	.section	.text._ZN7rocprim17ROCPRIM_400000_NS6detail17trampoline_kernelINS0_14default_configENS1_25partition_config_selectorILNS1_17partition_subalgoE6EdNS0_10empty_typeEbEEZZNS1_14partition_implILS5_6ELb0ES3_mN6thrust23THRUST_200600_302600_NS6detail15normal_iteratorINSA_10device_ptrIdEEEEPS6_SG_NS0_5tupleIJNSA_16discard_iteratorINSA_11use_defaultEEES6_EEENSH_IJSG_SG_EEES6_PlJNSB_9not_fun_tI7is_trueIdEEEEEE10hipError_tPvRmT3_T4_T5_T6_T7_T9_mT8_P12ihipStream_tbDpT10_ENKUlT_T0_E_clISt17integral_constantIbLb1EES1B_EEDaS16_S17_EUlS16_E_NS1_11comp_targetILNS1_3genE9ELNS1_11target_archE1100ELNS1_3gpuE3ELNS1_3repE0EEENS1_30default_config_static_selectorELNS0_4arch9wavefront6targetE0EEEvT1_,"axG",@progbits,_ZN7rocprim17ROCPRIM_400000_NS6detail17trampoline_kernelINS0_14default_configENS1_25partition_config_selectorILNS1_17partition_subalgoE6EdNS0_10empty_typeEbEEZZNS1_14partition_implILS5_6ELb0ES3_mN6thrust23THRUST_200600_302600_NS6detail15normal_iteratorINSA_10device_ptrIdEEEEPS6_SG_NS0_5tupleIJNSA_16discard_iteratorINSA_11use_defaultEEES6_EEENSH_IJSG_SG_EEES6_PlJNSB_9not_fun_tI7is_trueIdEEEEEE10hipError_tPvRmT3_T4_T5_T6_T7_T9_mT8_P12ihipStream_tbDpT10_ENKUlT_T0_E_clISt17integral_constantIbLb1EES1B_EEDaS16_S17_EUlS16_E_NS1_11comp_targetILNS1_3genE9ELNS1_11target_archE1100ELNS1_3gpuE3ELNS1_3repE0EEENS1_30default_config_static_selectorELNS0_4arch9wavefront6targetE0EEEvT1_,comdat
	.protected	_ZN7rocprim17ROCPRIM_400000_NS6detail17trampoline_kernelINS0_14default_configENS1_25partition_config_selectorILNS1_17partition_subalgoE6EdNS0_10empty_typeEbEEZZNS1_14partition_implILS5_6ELb0ES3_mN6thrust23THRUST_200600_302600_NS6detail15normal_iteratorINSA_10device_ptrIdEEEEPS6_SG_NS0_5tupleIJNSA_16discard_iteratorINSA_11use_defaultEEES6_EEENSH_IJSG_SG_EEES6_PlJNSB_9not_fun_tI7is_trueIdEEEEEE10hipError_tPvRmT3_T4_T5_T6_T7_T9_mT8_P12ihipStream_tbDpT10_ENKUlT_T0_E_clISt17integral_constantIbLb1EES1B_EEDaS16_S17_EUlS16_E_NS1_11comp_targetILNS1_3genE9ELNS1_11target_archE1100ELNS1_3gpuE3ELNS1_3repE0EEENS1_30default_config_static_selectorELNS0_4arch9wavefront6targetE0EEEvT1_ ; -- Begin function _ZN7rocprim17ROCPRIM_400000_NS6detail17trampoline_kernelINS0_14default_configENS1_25partition_config_selectorILNS1_17partition_subalgoE6EdNS0_10empty_typeEbEEZZNS1_14partition_implILS5_6ELb0ES3_mN6thrust23THRUST_200600_302600_NS6detail15normal_iteratorINSA_10device_ptrIdEEEEPS6_SG_NS0_5tupleIJNSA_16discard_iteratorINSA_11use_defaultEEES6_EEENSH_IJSG_SG_EEES6_PlJNSB_9not_fun_tI7is_trueIdEEEEEE10hipError_tPvRmT3_T4_T5_T6_T7_T9_mT8_P12ihipStream_tbDpT10_ENKUlT_T0_E_clISt17integral_constantIbLb1EES1B_EEDaS16_S17_EUlS16_E_NS1_11comp_targetILNS1_3genE9ELNS1_11target_archE1100ELNS1_3gpuE3ELNS1_3repE0EEENS1_30default_config_static_selectorELNS0_4arch9wavefront6targetE0EEEvT1_
	.globl	_ZN7rocprim17ROCPRIM_400000_NS6detail17trampoline_kernelINS0_14default_configENS1_25partition_config_selectorILNS1_17partition_subalgoE6EdNS0_10empty_typeEbEEZZNS1_14partition_implILS5_6ELb0ES3_mN6thrust23THRUST_200600_302600_NS6detail15normal_iteratorINSA_10device_ptrIdEEEEPS6_SG_NS0_5tupleIJNSA_16discard_iteratorINSA_11use_defaultEEES6_EEENSH_IJSG_SG_EEES6_PlJNSB_9not_fun_tI7is_trueIdEEEEEE10hipError_tPvRmT3_T4_T5_T6_T7_T9_mT8_P12ihipStream_tbDpT10_ENKUlT_T0_E_clISt17integral_constantIbLb1EES1B_EEDaS16_S17_EUlS16_E_NS1_11comp_targetILNS1_3genE9ELNS1_11target_archE1100ELNS1_3gpuE3ELNS1_3repE0EEENS1_30default_config_static_selectorELNS0_4arch9wavefront6targetE0EEEvT1_
	.p2align	8
	.type	_ZN7rocprim17ROCPRIM_400000_NS6detail17trampoline_kernelINS0_14default_configENS1_25partition_config_selectorILNS1_17partition_subalgoE6EdNS0_10empty_typeEbEEZZNS1_14partition_implILS5_6ELb0ES3_mN6thrust23THRUST_200600_302600_NS6detail15normal_iteratorINSA_10device_ptrIdEEEEPS6_SG_NS0_5tupleIJNSA_16discard_iteratorINSA_11use_defaultEEES6_EEENSH_IJSG_SG_EEES6_PlJNSB_9not_fun_tI7is_trueIdEEEEEE10hipError_tPvRmT3_T4_T5_T6_T7_T9_mT8_P12ihipStream_tbDpT10_ENKUlT_T0_E_clISt17integral_constantIbLb1EES1B_EEDaS16_S17_EUlS16_E_NS1_11comp_targetILNS1_3genE9ELNS1_11target_archE1100ELNS1_3gpuE3ELNS1_3repE0EEENS1_30default_config_static_selectorELNS0_4arch9wavefront6targetE0EEEvT1_,@function
_ZN7rocprim17ROCPRIM_400000_NS6detail17trampoline_kernelINS0_14default_configENS1_25partition_config_selectorILNS1_17partition_subalgoE6EdNS0_10empty_typeEbEEZZNS1_14partition_implILS5_6ELb0ES3_mN6thrust23THRUST_200600_302600_NS6detail15normal_iteratorINSA_10device_ptrIdEEEEPS6_SG_NS0_5tupleIJNSA_16discard_iteratorINSA_11use_defaultEEES6_EEENSH_IJSG_SG_EEES6_PlJNSB_9not_fun_tI7is_trueIdEEEEEE10hipError_tPvRmT3_T4_T5_T6_T7_T9_mT8_P12ihipStream_tbDpT10_ENKUlT_T0_E_clISt17integral_constantIbLb1EES1B_EEDaS16_S17_EUlS16_E_NS1_11comp_targetILNS1_3genE9ELNS1_11target_archE1100ELNS1_3gpuE3ELNS1_3repE0EEENS1_30default_config_static_selectorELNS0_4arch9wavefront6targetE0EEEvT1_: ; @_ZN7rocprim17ROCPRIM_400000_NS6detail17trampoline_kernelINS0_14default_configENS1_25partition_config_selectorILNS1_17partition_subalgoE6EdNS0_10empty_typeEbEEZZNS1_14partition_implILS5_6ELb0ES3_mN6thrust23THRUST_200600_302600_NS6detail15normal_iteratorINSA_10device_ptrIdEEEEPS6_SG_NS0_5tupleIJNSA_16discard_iteratorINSA_11use_defaultEEES6_EEENSH_IJSG_SG_EEES6_PlJNSB_9not_fun_tI7is_trueIdEEEEEE10hipError_tPvRmT3_T4_T5_T6_T7_T9_mT8_P12ihipStream_tbDpT10_ENKUlT_T0_E_clISt17integral_constantIbLb1EES1B_EEDaS16_S17_EUlS16_E_NS1_11comp_targetILNS1_3genE9ELNS1_11target_archE1100ELNS1_3gpuE3ELNS1_3repE0EEENS1_30default_config_static_selectorELNS0_4arch9wavefront6targetE0EEEvT1_
; %bb.0:
	.section	.rodata,"a",@progbits
	.p2align	6, 0x0
	.amdhsa_kernel _ZN7rocprim17ROCPRIM_400000_NS6detail17trampoline_kernelINS0_14default_configENS1_25partition_config_selectorILNS1_17partition_subalgoE6EdNS0_10empty_typeEbEEZZNS1_14partition_implILS5_6ELb0ES3_mN6thrust23THRUST_200600_302600_NS6detail15normal_iteratorINSA_10device_ptrIdEEEEPS6_SG_NS0_5tupleIJNSA_16discard_iteratorINSA_11use_defaultEEES6_EEENSH_IJSG_SG_EEES6_PlJNSB_9not_fun_tI7is_trueIdEEEEEE10hipError_tPvRmT3_T4_T5_T6_T7_T9_mT8_P12ihipStream_tbDpT10_ENKUlT_T0_E_clISt17integral_constantIbLb1EES1B_EEDaS16_S17_EUlS16_E_NS1_11comp_targetILNS1_3genE9ELNS1_11target_archE1100ELNS1_3gpuE3ELNS1_3repE0EEENS1_30default_config_static_selectorELNS0_4arch9wavefront6targetE0EEEvT1_
		.amdhsa_group_segment_fixed_size 0
		.amdhsa_private_segment_fixed_size 0
		.amdhsa_kernarg_size 136
		.amdhsa_user_sgpr_count 2
		.amdhsa_user_sgpr_dispatch_ptr 0
		.amdhsa_user_sgpr_queue_ptr 0
		.amdhsa_user_sgpr_kernarg_segment_ptr 1
		.amdhsa_user_sgpr_dispatch_id 0
		.amdhsa_user_sgpr_private_segment_size 0
		.amdhsa_wavefront_size32 1
		.amdhsa_uses_dynamic_stack 0
		.amdhsa_enable_private_segment 0
		.amdhsa_system_sgpr_workgroup_id_x 1
		.amdhsa_system_sgpr_workgroup_id_y 0
		.amdhsa_system_sgpr_workgroup_id_z 0
		.amdhsa_system_sgpr_workgroup_info 0
		.amdhsa_system_vgpr_workitem_id 0
		.amdhsa_next_free_vgpr 1
		.amdhsa_next_free_sgpr 1
		.amdhsa_reserve_vcc 0
		.amdhsa_float_round_mode_32 0
		.amdhsa_float_round_mode_16_64 0
		.amdhsa_float_denorm_mode_32 3
		.amdhsa_float_denorm_mode_16_64 3
		.amdhsa_fp16_overflow 0
		.amdhsa_workgroup_processor_mode 1
		.amdhsa_memory_ordered 1
		.amdhsa_forward_progress 1
		.amdhsa_inst_pref_size 0
		.amdhsa_round_robin_scheduling 0
		.amdhsa_exception_fp_ieee_invalid_op 0
		.amdhsa_exception_fp_denorm_src 0
		.amdhsa_exception_fp_ieee_div_zero 0
		.amdhsa_exception_fp_ieee_overflow 0
		.amdhsa_exception_fp_ieee_underflow 0
		.amdhsa_exception_fp_ieee_inexact 0
		.amdhsa_exception_int_div_zero 0
	.end_amdhsa_kernel
	.section	.text._ZN7rocprim17ROCPRIM_400000_NS6detail17trampoline_kernelINS0_14default_configENS1_25partition_config_selectorILNS1_17partition_subalgoE6EdNS0_10empty_typeEbEEZZNS1_14partition_implILS5_6ELb0ES3_mN6thrust23THRUST_200600_302600_NS6detail15normal_iteratorINSA_10device_ptrIdEEEEPS6_SG_NS0_5tupleIJNSA_16discard_iteratorINSA_11use_defaultEEES6_EEENSH_IJSG_SG_EEES6_PlJNSB_9not_fun_tI7is_trueIdEEEEEE10hipError_tPvRmT3_T4_T5_T6_T7_T9_mT8_P12ihipStream_tbDpT10_ENKUlT_T0_E_clISt17integral_constantIbLb1EES1B_EEDaS16_S17_EUlS16_E_NS1_11comp_targetILNS1_3genE9ELNS1_11target_archE1100ELNS1_3gpuE3ELNS1_3repE0EEENS1_30default_config_static_selectorELNS0_4arch9wavefront6targetE0EEEvT1_,"axG",@progbits,_ZN7rocprim17ROCPRIM_400000_NS6detail17trampoline_kernelINS0_14default_configENS1_25partition_config_selectorILNS1_17partition_subalgoE6EdNS0_10empty_typeEbEEZZNS1_14partition_implILS5_6ELb0ES3_mN6thrust23THRUST_200600_302600_NS6detail15normal_iteratorINSA_10device_ptrIdEEEEPS6_SG_NS0_5tupleIJNSA_16discard_iteratorINSA_11use_defaultEEES6_EEENSH_IJSG_SG_EEES6_PlJNSB_9not_fun_tI7is_trueIdEEEEEE10hipError_tPvRmT3_T4_T5_T6_T7_T9_mT8_P12ihipStream_tbDpT10_ENKUlT_T0_E_clISt17integral_constantIbLb1EES1B_EEDaS16_S17_EUlS16_E_NS1_11comp_targetILNS1_3genE9ELNS1_11target_archE1100ELNS1_3gpuE3ELNS1_3repE0EEENS1_30default_config_static_selectorELNS0_4arch9wavefront6targetE0EEEvT1_,comdat
.Lfunc_end2091:
	.size	_ZN7rocprim17ROCPRIM_400000_NS6detail17trampoline_kernelINS0_14default_configENS1_25partition_config_selectorILNS1_17partition_subalgoE6EdNS0_10empty_typeEbEEZZNS1_14partition_implILS5_6ELb0ES3_mN6thrust23THRUST_200600_302600_NS6detail15normal_iteratorINSA_10device_ptrIdEEEEPS6_SG_NS0_5tupleIJNSA_16discard_iteratorINSA_11use_defaultEEES6_EEENSH_IJSG_SG_EEES6_PlJNSB_9not_fun_tI7is_trueIdEEEEEE10hipError_tPvRmT3_T4_T5_T6_T7_T9_mT8_P12ihipStream_tbDpT10_ENKUlT_T0_E_clISt17integral_constantIbLb1EES1B_EEDaS16_S17_EUlS16_E_NS1_11comp_targetILNS1_3genE9ELNS1_11target_archE1100ELNS1_3gpuE3ELNS1_3repE0EEENS1_30default_config_static_selectorELNS0_4arch9wavefront6targetE0EEEvT1_, .Lfunc_end2091-_ZN7rocprim17ROCPRIM_400000_NS6detail17trampoline_kernelINS0_14default_configENS1_25partition_config_selectorILNS1_17partition_subalgoE6EdNS0_10empty_typeEbEEZZNS1_14partition_implILS5_6ELb0ES3_mN6thrust23THRUST_200600_302600_NS6detail15normal_iteratorINSA_10device_ptrIdEEEEPS6_SG_NS0_5tupleIJNSA_16discard_iteratorINSA_11use_defaultEEES6_EEENSH_IJSG_SG_EEES6_PlJNSB_9not_fun_tI7is_trueIdEEEEEE10hipError_tPvRmT3_T4_T5_T6_T7_T9_mT8_P12ihipStream_tbDpT10_ENKUlT_T0_E_clISt17integral_constantIbLb1EES1B_EEDaS16_S17_EUlS16_E_NS1_11comp_targetILNS1_3genE9ELNS1_11target_archE1100ELNS1_3gpuE3ELNS1_3repE0EEENS1_30default_config_static_selectorELNS0_4arch9wavefront6targetE0EEEvT1_
                                        ; -- End function
	.set _ZN7rocprim17ROCPRIM_400000_NS6detail17trampoline_kernelINS0_14default_configENS1_25partition_config_selectorILNS1_17partition_subalgoE6EdNS0_10empty_typeEbEEZZNS1_14partition_implILS5_6ELb0ES3_mN6thrust23THRUST_200600_302600_NS6detail15normal_iteratorINSA_10device_ptrIdEEEEPS6_SG_NS0_5tupleIJNSA_16discard_iteratorINSA_11use_defaultEEES6_EEENSH_IJSG_SG_EEES6_PlJNSB_9not_fun_tI7is_trueIdEEEEEE10hipError_tPvRmT3_T4_T5_T6_T7_T9_mT8_P12ihipStream_tbDpT10_ENKUlT_T0_E_clISt17integral_constantIbLb1EES1B_EEDaS16_S17_EUlS16_E_NS1_11comp_targetILNS1_3genE9ELNS1_11target_archE1100ELNS1_3gpuE3ELNS1_3repE0EEENS1_30default_config_static_selectorELNS0_4arch9wavefront6targetE0EEEvT1_.num_vgpr, 0
	.set _ZN7rocprim17ROCPRIM_400000_NS6detail17trampoline_kernelINS0_14default_configENS1_25partition_config_selectorILNS1_17partition_subalgoE6EdNS0_10empty_typeEbEEZZNS1_14partition_implILS5_6ELb0ES3_mN6thrust23THRUST_200600_302600_NS6detail15normal_iteratorINSA_10device_ptrIdEEEEPS6_SG_NS0_5tupleIJNSA_16discard_iteratorINSA_11use_defaultEEES6_EEENSH_IJSG_SG_EEES6_PlJNSB_9not_fun_tI7is_trueIdEEEEEE10hipError_tPvRmT3_T4_T5_T6_T7_T9_mT8_P12ihipStream_tbDpT10_ENKUlT_T0_E_clISt17integral_constantIbLb1EES1B_EEDaS16_S17_EUlS16_E_NS1_11comp_targetILNS1_3genE9ELNS1_11target_archE1100ELNS1_3gpuE3ELNS1_3repE0EEENS1_30default_config_static_selectorELNS0_4arch9wavefront6targetE0EEEvT1_.num_agpr, 0
	.set _ZN7rocprim17ROCPRIM_400000_NS6detail17trampoline_kernelINS0_14default_configENS1_25partition_config_selectorILNS1_17partition_subalgoE6EdNS0_10empty_typeEbEEZZNS1_14partition_implILS5_6ELb0ES3_mN6thrust23THRUST_200600_302600_NS6detail15normal_iteratorINSA_10device_ptrIdEEEEPS6_SG_NS0_5tupleIJNSA_16discard_iteratorINSA_11use_defaultEEES6_EEENSH_IJSG_SG_EEES6_PlJNSB_9not_fun_tI7is_trueIdEEEEEE10hipError_tPvRmT3_T4_T5_T6_T7_T9_mT8_P12ihipStream_tbDpT10_ENKUlT_T0_E_clISt17integral_constantIbLb1EES1B_EEDaS16_S17_EUlS16_E_NS1_11comp_targetILNS1_3genE9ELNS1_11target_archE1100ELNS1_3gpuE3ELNS1_3repE0EEENS1_30default_config_static_selectorELNS0_4arch9wavefront6targetE0EEEvT1_.numbered_sgpr, 0
	.set _ZN7rocprim17ROCPRIM_400000_NS6detail17trampoline_kernelINS0_14default_configENS1_25partition_config_selectorILNS1_17partition_subalgoE6EdNS0_10empty_typeEbEEZZNS1_14partition_implILS5_6ELb0ES3_mN6thrust23THRUST_200600_302600_NS6detail15normal_iteratorINSA_10device_ptrIdEEEEPS6_SG_NS0_5tupleIJNSA_16discard_iteratorINSA_11use_defaultEEES6_EEENSH_IJSG_SG_EEES6_PlJNSB_9not_fun_tI7is_trueIdEEEEEE10hipError_tPvRmT3_T4_T5_T6_T7_T9_mT8_P12ihipStream_tbDpT10_ENKUlT_T0_E_clISt17integral_constantIbLb1EES1B_EEDaS16_S17_EUlS16_E_NS1_11comp_targetILNS1_3genE9ELNS1_11target_archE1100ELNS1_3gpuE3ELNS1_3repE0EEENS1_30default_config_static_selectorELNS0_4arch9wavefront6targetE0EEEvT1_.num_named_barrier, 0
	.set _ZN7rocprim17ROCPRIM_400000_NS6detail17trampoline_kernelINS0_14default_configENS1_25partition_config_selectorILNS1_17partition_subalgoE6EdNS0_10empty_typeEbEEZZNS1_14partition_implILS5_6ELb0ES3_mN6thrust23THRUST_200600_302600_NS6detail15normal_iteratorINSA_10device_ptrIdEEEEPS6_SG_NS0_5tupleIJNSA_16discard_iteratorINSA_11use_defaultEEES6_EEENSH_IJSG_SG_EEES6_PlJNSB_9not_fun_tI7is_trueIdEEEEEE10hipError_tPvRmT3_T4_T5_T6_T7_T9_mT8_P12ihipStream_tbDpT10_ENKUlT_T0_E_clISt17integral_constantIbLb1EES1B_EEDaS16_S17_EUlS16_E_NS1_11comp_targetILNS1_3genE9ELNS1_11target_archE1100ELNS1_3gpuE3ELNS1_3repE0EEENS1_30default_config_static_selectorELNS0_4arch9wavefront6targetE0EEEvT1_.private_seg_size, 0
	.set _ZN7rocprim17ROCPRIM_400000_NS6detail17trampoline_kernelINS0_14default_configENS1_25partition_config_selectorILNS1_17partition_subalgoE6EdNS0_10empty_typeEbEEZZNS1_14partition_implILS5_6ELb0ES3_mN6thrust23THRUST_200600_302600_NS6detail15normal_iteratorINSA_10device_ptrIdEEEEPS6_SG_NS0_5tupleIJNSA_16discard_iteratorINSA_11use_defaultEEES6_EEENSH_IJSG_SG_EEES6_PlJNSB_9not_fun_tI7is_trueIdEEEEEE10hipError_tPvRmT3_T4_T5_T6_T7_T9_mT8_P12ihipStream_tbDpT10_ENKUlT_T0_E_clISt17integral_constantIbLb1EES1B_EEDaS16_S17_EUlS16_E_NS1_11comp_targetILNS1_3genE9ELNS1_11target_archE1100ELNS1_3gpuE3ELNS1_3repE0EEENS1_30default_config_static_selectorELNS0_4arch9wavefront6targetE0EEEvT1_.uses_vcc, 0
	.set _ZN7rocprim17ROCPRIM_400000_NS6detail17trampoline_kernelINS0_14default_configENS1_25partition_config_selectorILNS1_17partition_subalgoE6EdNS0_10empty_typeEbEEZZNS1_14partition_implILS5_6ELb0ES3_mN6thrust23THRUST_200600_302600_NS6detail15normal_iteratorINSA_10device_ptrIdEEEEPS6_SG_NS0_5tupleIJNSA_16discard_iteratorINSA_11use_defaultEEES6_EEENSH_IJSG_SG_EEES6_PlJNSB_9not_fun_tI7is_trueIdEEEEEE10hipError_tPvRmT3_T4_T5_T6_T7_T9_mT8_P12ihipStream_tbDpT10_ENKUlT_T0_E_clISt17integral_constantIbLb1EES1B_EEDaS16_S17_EUlS16_E_NS1_11comp_targetILNS1_3genE9ELNS1_11target_archE1100ELNS1_3gpuE3ELNS1_3repE0EEENS1_30default_config_static_selectorELNS0_4arch9wavefront6targetE0EEEvT1_.uses_flat_scratch, 0
	.set _ZN7rocprim17ROCPRIM_400000_NS6detail17trampoline_kernelINS0_14default_configENS1_25partition_config_selectorILNS1_17partition_subalgoE6EdNS0_10empty_typeEbEEZZNS1_14partition_implILS5_6ELb0ES3_mN6thrust23THRUST_200600_302600_NS6detail15normal_iteratorINSA_10device_ptrIdEEEEPS6_SG_NS0_5tupleIJNSA_16discard_iteratorINSA_11use_defaultEEES6_EEENSH_IJSG_SG_EEES6_PlJNSB_9not_fun_tI7is_trueIdEEEEEE10hipError_tPvRmT3_T4_T5_T6_T7_T9_mT8_P12ihipStream_tbDpT10_ENKUlT_T0_E_clISt17integral_constantIbLb1EES1B_EEDaS16_S17_EUlS16_E_NS1_11comp_targetILNS1_3genE9ELNS1_11target_archE1100ELNS1_3gpuE3ELNS1_3repE0EEENS1_30default_config_static_selectorELNS0_4arch9wavefront6targetE0EEEvT1_.has_dyn_sized_stack, 0
	.set _ZN7rocprim17ROCPRIM_400000_NS6detail17trampoline_kernelINS0_14default_configENS1_25partition_config_selectorILNS1_17partition_subalgoE6EdNS0_10empty_typeEbEEZZNS1_14partition_implILS5_6ELb0ES3_mN6thrust23THRUST_200600_302600_NS6detail15normal_iteratorINSA_10device_ptrIdEEEEPS6_SG_NS0_5tupleIJNSA_16discard_iteratorINSA_11use_defaultEEES6_EEENSH_IJSG_SG_EEES6_PlJNSB_9not_fun_tI7is_trueIdEEEEEE10hipError_tPvRmT3_T4_T5_T6_T7_T9_mT8_P12ihipStream_tbDpT10_ENKUlT_T0_E_clISt17integral_constantIbLb1EES1B_EEDaS16_S17_EUlS16_E_NS1_11comp_targetILNS1_3genE9ELNS1_11target_archE1100ELNS1_3gpuE3ELNS1_3repE0EEENS1_30default_config_static_selectorELNS0_4arch9wavefront6targetE0EEEvT1_.has_recursion, 0
	.set _ZN7rocprim17ROCPRIM_400000_NS6detail17trampoline_kernelINS0_14default_configENS1_25partition_config_selectorILNS1_17partition_subalgoE6EdNS0_10empty_typeEbEEZZNS1_14partition_implILS5_6ELb0ES3_mN6thrust23THRUST_200600_302600_NS6detail15normal_iteratorINSA_10device_ptrIdEEEEPS6_SG_NS0_5tupleIJNSA_16discard_iteratorINSA_11use_defaultEEES6_EEENSH_IJSG_SG_EEES6_PlJNSB_9not_fun_tI7is_trueIdEEEEEE10hipError_tPvRmT3_T4_T5_T6_T7_T9_mT8_P12ihipStream_tbDpT10_ENKUlT_T0_E_clISt17integral_constantIbLb1EES1B_EEDaS16_S17_EUlS16_E_NS1_11comp_targetILNS1_3genE9ELNS1_11target_archE1100ELNS1_3gpuE3ELNS1_3repE0EEENS1_30default_config_static_selectorELNS0_4arch9wavefront6targetE0EEEvT1_.has_indirect_call, 0
	.section	.AMDGPU.csdata,"",@progbits
; Kernel info:
; codeLenInByte = 0
; TotalNumSgprs: 0
; NumVgprs: 0
; ScratchSize: 0
; MemoryBound: 0
; FloatMode: 240
; IeeeMode: 1
; LDSByteSize: 0 bytes/workgroup (compile time only)
; SGPRBlocks: 0
; VGPRBlocks: 0
; NumSGPRsForWavesPerEU: 1
; NumVGPRsForWavesPerEU: 1
; Occupancy: 16
; WaveLimiterHint : 0
; COMPUTE_PGM_RSRC2:SCRATCH_EN: 0
; COMPUTE_PGM_RSRC2:USER_SGPR: 2
; COMPUTE_PGM_RSRC2:TRAP_HANDLER: 0
; COMPUTE_PGM_RSRC2:TGID_X_EN: 1
; COMPUTE_PGM_RSRC2:TGID_Y_EN: 0
; COMPUTE_PGM_RSRC2:TGID_Z_EN: 0
; COMPUTE_PGM_RSRC2:TIDIG_COMP_CNT: 0
	.section	.text._ZN7rocprim17ROCPRIM_400000_NS6detail17trampoline_kernelINS0_14default_configENS1_25partition_config_selectorILNS1_17partition_subalgoE6EdNS0_10empty_typeEbEEZZNS1_14partition_implILS5_6ELb0ES3_mN6thrust23THRUST_200600_302600_NS6detail15normal_iteratorINSA_10device_ptrIdEEEEPS6_SG_NS0_5tupleIJNSA_16discard_iteratorINSA_11use_defaultEEES6_EEENSH_IJSG_SG_EEES6_PlJNSB_9not_fun_tI7is_trueIdEEEEEE10hipError_tPvRmT3_T4_T5_T6_T7_T9_mT8_P12ihipStream_tbDpT10_ENKUlT_T0_E_clISt17integral_constantIbLb1EES1B_EEDaS16_S17_EUlS16_E_NS1_11comp_targetILNS1_3genE8ELNS1_11target_archE1030ELNS1_3gpuE2ELNS1_3repE0EEENS1_30default_config_static_selectorELNS0_4arch9wavefront6targetE0EEEvT1_,"axG",@progbits,_ZN7rocprim17ROCPRIM_400000_NS6detail17trampoline_kernelINS0_14default_configENS1_25partition_config_selectorILNS1_17partition_subalgoE6EdNS0_10empty_typeEbEEZZNS1_14partition_implILS5_6ELb0ES3_mN6thrust23THRUST_200600_302600_NS6detail15normal_iteratorINSA_10device_ptrIdEEEEPS6_SG_NS0_5tupleIJNSA_16discard_iteratorINSA_11use_defaultEEES6_EEENSH_IJSG_SG_EEES6_PlJNSB_9not_fun_tI7is_trueIdEEEEEE10hipError_tPvRmT3_T4_T5_T6_T7_T9_mT8_P12ihipStream_tbDpT10_ENKUlT_T0_E_clISt17integral_constantIbLb1EES1B_EEDaS16_S17_EUlS16_E_NS1_11comp_targetILNS1_3genE8ELNS1_11target_archE1030ELNS1_3gpuE2ELNS1_3repE0EEENS1_30default_config_static_selectorELNS0_4arch9wavefront6targetE0EEEvT1_,comdat
	.protected	_ZN7rocprim17ROCPRIM_400000_NS6detail17trampoline_kernelINS0_14default_configENS1_25partition_config_selectorILNS1_17partition_subalgoE6EdNS0_10empty_typeEbEEZZNS1_14partition_implILS5_6ELb0ES3_mN6thrust23THRUST_200600_302600_NS6detail15normal_iteratorINSA_10device_ptrIdEEEEPS6_SG_NS0_5tupleIJNSA_16discard_iteratorINSA_11use_defaultEEES6_EEENSH_IJSG_SG_EEES6_PlJNSB_9not_fun_tI7is_trueIdEEEEEE10hipError_tPvRmT3_T4_T5_T6_T7_T9_mT8_P12ihipStream_tbDpT10_ENKUlT_T0_E_clISt17integral_constantIbLb1EES1B_EEDaS16_S17_EUlS16_E_NS1_11comp_targetILNS1_3genE8ELNS1_11target_archE1030ELNS1_3gpuE2ELNS1_3repE0EEENS1_30default_config_static_selectorELNS0_4arch9wavefront6targetE0EEEvT1_ ; -- Begin function _ZN7rocprim17ROCPRIM_400000_NS6detail17trampoline_kernelINS0_14default_configENS1_25partition_config_selectorILNS1_17partition_subalgoE6EdNS0_10empty_typeEbEEZZNS1_14partition_implILS5_6ELb0ES3_mN6thrust23THRUST_200600_302600_NS6detail15normal_iteratorINSA_10device_ptrIdEEEEPS6_SG_NS0_5tupleIJNSA_16discard_iteratorINSA_11use_defaultEEES6_EEENSH_IJSG_SG_EEES6_PlJNSB_9not_fun_tI7is_trueIdEEEEEE10hipError_tPvRmT3_T4_T5_T6_T7_T9_mT8_P12ihipStream_tbDpT10_ENKUlT_T0_E_clISt17integral_constantIbLb1EES1B_EEDaS16_S17_EUlS16_E_NS1_11comp_targetILNS1_3genE8ELNS1_11target_archE1030ELNS1_3gpuE2ELNS1_3repE0EEENS1_30default_config_static_selectorELNS0_4arch9wavefront6targetE0EEEvT1_
	.globl	_ZN7rocprim17ROCPRIM_400000_NS6detail17trampoline_kernelINS0_14default_configENS1_25partition_config_selectorILNS1_17partition_subalgoE6EdNS0_10empty_typeEbEEZZNS1_14partition_implILS5_6ELb0ES3_mN6thrust23THRUST_200600_302600_NS6detail15normal_iteratorINSA_10device_ptrIdEEEEPS6_SG_NS0_5tupleIJNSA_16discard_iteratorINSA_11use_defaultEEES6_EEENSH_IJSG_SG_EEES6_PlJNSB_9not_fun_tI7is_trueIdEEEEEE10hipError_tPvRmT3_T4_T5_T6_T7_T9_mT8_P12ihipStream_tbDpT10_ENKUlT_T0_E_clISt17integral_constantIbLb1EES1B_EEDaS16_S17_EUlS16_E_NS1_11comp_targetILNS1_3genE8ELNS1_11target_archE1030ELNS1_3gpuE2ELNS1_3repE0EEENS1_30default_config_static_selectorELNS0_4arch9wavefront6targetE0EEEvT1_
	.p2align	8
	.type	_ZN7rocprim17ROCPRIM_400000_NS6detail17trampoline_kernelINS0_14default_configENS1_25partition_config_selectorILNS1_17partition_subalgoE6EdNS0_10empty_typeEbEEZZNS1_14partition_implILS5_6ELb0ES3_mN6thrust23THRUST_200600_302600_NS6detail15normal_iteratorINSA_10device_ptrIdEEEEPS6_SG_NS0_5tupleIJNSA_16discard_iteratorINSA_11use_defaultEEES6_EEENSH_IJSG_SG_EEES6_PlJNSB_9not_fun_tI7is_trueIdEEEEEE10hipError_tPvRmT3_T4_T5_T6_T7_T9_mT8_P12ihipStream_tbDpT10_ENKUlT_T0_E_clISt17integral_constantIbLb1EES1B_EEDaS16_S17_EUlS16_E_NS1_11comp_targetILNS1_3genE8ELNS1_11target_archE1030ELNS1_3gpuE2ELNS1_3repE0EEENS1_30default_config_static_selectorELNS0_4arch9wavefront6targetE0EEEvT1_,@function
_ZN7rocprim17ROCPRIM_400000_NS6detail17trampoline_kernelINS0_14default_configENS1_25partition_config_selectorILNS1_17partition_subalgoE6EdNS0_10empty_typeEbEEZZNS1_14partition_implILS5_6ELb0ES3_mN6thrust23THRUST_200600_302600_NS6detail15normal_iteratorINSA_10device_ptrIdEEEEPS6_SG_NS0_5tupleIJNSA_16discard_iteratorINSA_11use_defaultEEES6_EEENSH_IJSG_SG_EEES6_PlJNSB_9not_fun_tI7is_trueIdEEEEEE10hipError_tPvRmT3_T4_T5_T6_T7_T9_mT8_P12ihipStream_tbDpT10_ENKUlT_T0_E_clISt17integral_constantIbLb1EES1B_EEDaS16_S17_EUlS16_E_NS1_11comp_targetILNS1_3genE8ELNS1_11target_archE1030ELNS1_3gpuE2ELNS1_3repE0EEENS1_30default_config_static_selectorELNS0_4arch9wavefront6targetE0EEEvT1_: ; @_ZN7rocprim17ROCPRIM_400000_NS6detail17trampoline_kernelINS0_14default_configENS1_25partition_config_selectorILNS1_17partition_subalgoE6EdNS0_10empty_typeEbEEZZNS1_14partition_implILS5_6ELb0ES3_mN6thrust23THRUST_200600_302600_NS6detail15normal_iteratorINSA_10device_ptrIdEEEEPS6_SG_NS0_5tupleIJNSA_16discard_iteratorINSA_11use_defaultEEES6_EEENSH_IJSG_SG_EEES6_PlJNSB_9not_fun_tI7is_trueIdEEEEEE10hipError_tPvRmT3_T4_T5_T6_T7_T9_mT8_P12ihipStream_tbDpT10_ENKUlT_T0_E_clISt17integral_constantIbLb1EES1B_EEDaS16_S17_EUlS16_E_NS1_11comp_targetILNS1_3genE8ELNS1_11target_archE1030ELNS1_3gpuE2ELNS1_3repE0EEENS1_30default_config_static_selectorELNS0_4arch9wavefront6targetE0EEEvT1_
; %bb.0:
	.section	.rodata,"a",@progbits
	.p2align	6, 0x0
	.amdhsa_kernel _ZN7rocprim17ROCPRIM_400000_NS6detail17trampoline_kernelINS0_14default_configENS1_25partition_config_selectorILNS1_17partition_subalgoE6EdNS0_10empty_typeEbEEZZNS1_14partition_implILS5_6ELb0ES3_mN6thrust23THRUST_200600_302600_NS6detail15normal_iteratorINSA_10device_ptrIdEEEEPS6_SG_NS0_5tupleIJNSA_16discard_iteratorINSA_11use_defaultEEES6_EEENSH_IJSG_SG_EEES6_PlJNSB_9not_fun_tI7is_trueIdEEEEEE10hipError_tPvRmT3_T4_T5_T6_T7_T9_mT8_P12ihipStream_tbDpT10_ENKUlT_T0_E_clISt17integral_constantIbLb1EES1B_EEDaS16_S17_EUlS16_E_NS1_11comp_targetILNS1_3genE8ELNS1_11target_archE1030ELNS1_3gpuE2ELNS1_3repE0EEENS1_30default_config_static_selectorELNS0_4arch9wavefront6targetE0EEEvT1_
		.amdhsa_group_segment_fixed_size 0
		.amdhsa_private_segment_fixed_size 0
		.amdhsa_kernarg_size 136
		.amdhsa_user_sgpr_count 2
		.amdhsa_user_sgpr_dispatch_ptr 0
		.amdhsa_user_sgpr_queue_ptr 0
		.amdhsa_user_sgpr_kernarg_segment_ptr 1
		.amdhsa_user_sgpr_dispatch_id 0
		.amdhsa_user_sgpr_private_segment_size 0
		.amdhsa_wavefront_size32 1
		.amdhsa_uses_dynamic_stack 0
		.amdhsa_enable_private_segment 0
		.amdhsa_system_sgpr_workgroup_id_x 1
		.amdhsa_system_sgpr_workgroup_id_y 0
		.amdhsa_system_sgpr_workgroup_id_z 0
		.amdhsa_system_sgpr_workgroup_info 0
		.amdhsa_system_vgpr_workitem_id 0
		.amdhsa_next_free_vgpr 1
		.amdhsa_next_free_sgpr 1
		.amdhsa_reserve_vcc 0
		.amdhsa_float_round_mode_32 0
		.amdhsa_float_round_mode_16_64 0
		.amdhsa_float_denorm_mode_32 3
		.amdhsa_float_denorm_mode_16_64 3
		.amdhsa_fp16_overflow 0
		.amdhsa_workgroup_processor_mode 1
		.amdhsa_memory_ordered 1
		.amdhsa_forward_progress 1
		.amdhsa_inst_pref_size 0
		.amdhsa_round_robin_scheduling 0
		.amdhsa_exception_fp_ieee_invalid_op 0
		.amdhsa_exception_fp_denorm_src 0
		.amdhsa_exception_fp_ieee_div_zero 0
		.amdhsa_exception_fp_ieee_overflow 0
		.amdhsa_exception_fp_ieee_underflow 0
		.amdhsa_exception_fp_ieee_inexact 0
		.amdhsa_exception_int_div_zero 0
	.end_amdhsa_kernel
	.section	.text._ZN7rocprim17ROCPRIM_400000_NS6detail17trampoline_kernelINS0_14default_configENS1_25partition_config_selectorILNS1_17partition_subalgoE6EdNS0_10empty_typeEbEEZZNS1_14partition_implILS5_6ELb0ES3_mN6thrust23THRUST_200600_302600_NS6detail15normal_iteratorINSA_10device_ptrIdEEEEPS6_SG_NS0_5tupleIJNSA_16discard_iteratorINSA_11use_defaultEEES6_EEENSH_IJSG_SG_EEES6_PlJNSB_9not_fun_tI7is_trueIdEEEEEE10hipError_tPvRmT3_T4_T5_T6_T7_T9_mT8_P12ihipStream_tbDpT10_ENKUlT_T0_E_clISt17integral_constantIbLb1EES1B_EEDaS16_S17_EUlS16_E_NS1_11comp_targetILNS1_3genE8ELNS1_11target_archE1030ELNS1_3gpuE2ELNS1_3repE0EEENS1_30default_config_static_selectorELNS0_4arch9wavefront6targetE0EEEvT1_,"axG",@progbits,_ZN7rocprim17ROCPRIM_400000_NS6detail17trampoline_kernelINS0_14default_configENS1_25partition_config_selectorILNS1_17partition_subalgoE6EdNS0_10empty_typeEbEEZZNS1_14partition_implILS5_6ELb0ES3_mN6thrust23THRUST_200600_302600_NS6detail15normal_iteratorINSA_10device_ptrIdEEEEPS6_SG_NS0_5tupleIJNSA_16discard_iteratorINSA_11use_defaultEEES6_EEENSH_IJSG_SG_EEES6_PlJNSB_9not_fun_tI7is_trueIdEEEEEE10hipError_tPvRmT3_T4_T5_T6_T7_T9_mT8_P12ihipStream_tbDpT10_ENKUlT_T0_E_clISt17integral_constantIbLb1EES1B_EEDaS16_S17_EUlS16_E_NS1_11comp_targetILNS1_3genE8ELNS1_11target_archE1030ELNS1_3gpuE2ELNS1_3repE0EEENS1_30default_config_static_selectorELNS0_4arch9wavefront6targetE0EEEvT1_,comdat
.Lfunc_end2092:
	.size	_ZN7rocprim17ROCPRIM_400000_NS6detail17trampoline_kernelINS0_14default_configENS1_25partition_config_selectorILNS1_17partition_subalgoE6EdNS0_10empty_typeEbEEZZNS1_14partition_implILS5_6ELb0ES3_mN6thrust23THRUST_200600_302600_NS6detail15normal_iteratorINSA_10device_ptrIdEEEEPS6_SG_NS0_5tupleIJNSA_16discard_iteratorINSA_11use_defaultEEES6_EEENSH_IJSG_SG_EEES6_PlJNSB_9not_fun_tI7is_trueIdEEEEEE10hipError_tPvRmT3_T4_T5_T6_T7_T9_mT8_P12ihipStream_tbDpT10_ENKUlT_T0_E_clISt17integral_constantIbLb1EES1B_EEDaS16_S17_EUlS16_E_NS1_11comp_targetILNS1_3genE8ELNS1_11target_archE1030ELNS1_3gpuE2ELNS1_3repE0EEENS1_30default_config_static_selectorELNS0_4arch9wavefront6targetE0EEEvT1_, .Lfunc_end2092-_ZN7rocprim17ROCPRIM_400000_NS6detail17trampoline_kernelINS0_14default_configENS1_25partition_config_selectorILNS1_17partition_subalgoE6EdNS0_10empty_typeEbEEZZNS1_14partition_implILS5_6ELb0ES3_mN6thrust23THRUST_200600_302600_NS6detail15normal_iteratorINSA_10device_ptrIdEEEEPS6_SG_NS0_5tupleIJNSA_16discard_iteratorINSA_11use_defaultEEES6_EEENSH_IJSG_SG_EEES6_PlJNSB_9not_fun_tI7is_trueIdEEEEEE10hipError_tPvRmT3_T4_T5_T6_T7_T9_mT8_P12ihipStream_tbDpT10_ENKUlT_T0_E_clISt17integral_constantIbLb1EES1B_EEDaS16_S17_EUlS16_E_NS1_11comp_targetILNS1_3genE8ELNS1_11target_archE1030ELNS1_3gpuE2ELNS1_3repE0EEENS1_30default_config_static_selectorELNS0_4arch9wavefront6targetE0EEEvT1_
                                        ; -- End function
	.set _ZN7rocprim17ROCPRIM_400000_NS6detail17trampoline_kernelINS0_14default_configENS1_25partition_config_selectorILNS1_17partition_subalgoE6EdNS0_10empty_typeEbEEZZNS1_14partition_implILS5_6ELb0ES3_mN6thrust23THRUST_200600_302600_NS6detail15normal_iteratorINSA_10device_ptrIdEEEEPS6_SG_NS0_5tupleIJNSA_16discard_iteratorINSA_11use_defaultEEES6_EEENSH_IJSG_SG_EEES6_PlJNSB_9not_fun_tI7is_trueIdEEEEEE10hipError_tPvRmT3_T4_T5_T6_T7_T9_mT8_P12ihipStream_tbDpT10_ENKUlT_T0_E_clISt17integral_constantIbLb1EES1B_EEDaS16_S17_EUlS16_E_NS1_11comp_targetILNS1_3genE8ELNS1_11target_archE1030ELNS1_3gpuE2ELNS1_3repE0EEENS1_30default_config_static_selectorELNS0_4arch9wavefront6targetE0EEEvT1_.num_vgpr, 0
	.set _ZN7rocprim17ROCPRIM_400000_NS6detail17trampoline_kernelINS0_14default_configENS1_25partition_config_selectorILNS1_17partition_subalgoE6EdNS0_10empty_typeEbEEZZNS1_14partition_implILS5_6ELb0ES3_mN6thrust23THRUST_200600_302600_NS6detail15normal_iteratorINSA_10device_ptrIdEEEEPS6_SG_NS0_5tupleIJNSA_16discard_iteratorINSA_11use_defaultEEES6_EEENSH_IJSG_SG_EEES6_PlJNSB_9not_fun_tI7is_trueIdEEEEEE10hipError_tPvRmT3_T4_T5_T6_T7_T9_mT8_P12ihipStream_tbDpT10_ENKUlT_T0_E_clISt17integral_constantIbLb1EES1B_EEDaS16_S17_EUlS16_E_NS1_11comp_targetILNS1_3genE8ELNS1_11target_archE1030ELNS1_3gpuE2ELNS1_3repE0EEENS1_30default_config_static_selectorELNS0_4arch9wavefront6targetE0EEEvT1_.num_agpr, 0
	.set _ZN7rocprim17ROCPRIM_400000_NS6detail17trampoline_kernelINS0_14default_configENS1_25partition_config_selectorILNS1_17partition_subalgoE6EdNS0_10empty_typeEbEEZZNS1_14partition_implILS5_6ELb0ES3_mN6thrust23THRUST_200600_302600_NS6detail15normal_iteratorINSA_10device_ptrIdEEEEPS6_SG_NS0_5tupleIJNSA_16discard_iteratorINSA_11use_defaultEEES6_EEENSH_IJSG_SG_EEES6_PlJNSB_9not_fun_tI7is_trueIdEEEEEE10hipError_tPvRmT3_T4_T5_T6_T7_T9_mT8_P12ihipStream_tbDpT10_ENKUlT_T0_E_clISt17integral_constantIbLb1EES1B_EEDaS16_S17_EUlS16_E_NS1_11comp_targetILNS1_3genE8ELNS1_11target_archE1030ELNS1_3gpuE2ELNS1_3repE0EEENS1_30default_config_static_selectorELNS0_4arch9wavefront6targetE0EEEvT1_.numbered_sgpr, 0
	.set _ZN7rocprim17ROCPRIM_400000_NS6detail17trampoline_kernelINS0_14default_configENS1_25partition_config_selectorILNS1_17partition_subalgoE6EdNS0_10empty_typeEbEEZZNS1_14partition_implILS5_6ELb0ES3_mN6thrust23THRUST_200600_302600_NS6detail15normal_iteratorINSA_10device_ptrIdEEEEPS6_SG_NS0_5tupleIJNSA_16discard_iteratorINSA_11use_defaultEEES6_EEENSH_IJSG_SG_EEES6_PlJNSB_9not_fun_tI7is_trueIdEEEEEE10hipError_tPvRmT3_T4_T5_T6_T7_T9_mT8_P12ihipStream_tbDpT10_ENKUlT_T0_E_clISt17integral_constantIbLb1EES1B_EEDaS16_S17_EUlS16_E_NS1_11comp_targetILNS1_3genE8ELNS1_11target_archE1030ELNS1_3gpuE2ELNS1_3repE0EEENS1_30default_config_static_selectorELNS0_4arch9wavefront6targetE0EEEvT1_.num_named_barrier, 0
	.set _ZN7rocprim17ROCPRIM_400000_NS6detail17trampoline_kernelINS0_14default_configENS1_25partition_config_selectorILNS1_17partition_subalgoE6EdNS0_10empty_typeEbEEZZNS1_14partition_implILS5_6ELb0ES3_mN6thrust23THRUST_200600_302600_NS6detail15normal_iteratorINSA_10device_ptrIdEEEEPS6_SG_NS0_5tupleIJNSA_16discard_iteratorINSA_11use_defaultEEES6_EEENSH_IJSG_SG_EEES6_PlJNSB_9not_fun_tI7is_trueIdEEEEEE10hipError_tPvRmT3_T4_T5_T6_T7_T9_mT8_P12ihipStream_tbDpT10_ENKUlT_T0_E_clISt17integral_constantIbLb1EES1B_EEDaS16_S17_EUlS16_E_NS1_11comp_targetILNS1_3genE8ELNS1_11target_archE1030ELNS1_3gpuE2ELNS1_3repE0EEENS1_30default_config_static_selectorELNS0_4arch9wavefront6targetE0EEEvT1_.private_seg_size, 0
	.set _ZN7rocprim17ROCPRIM_400000_NS6detail17trampoline_kernelINS0_14default_configENS1_25partition_config_selectorILNS1_17partition_subalgoE6EdNS0_10empty_typeEbEEZZNS1_14partition_implILS5_6ELb0ES3_mN6thrust23THRUST_200600_302600_NS6detail15normal_iteratorINSA_10device_ptrIdEEEEPS6_SG_NS0_5tupleIJNSA_16discard_iteratorINSA_11use_defaultEEES6_EEENSH_IJSG_SG_EEES6_PlJNSB_9not_fun_tI7is_trueIdEEEEEE10hipError_tPvRmT3_T4_T5_T6_T7_T9_mT8_P12ihipStream_tbDpT10_ENKUlT_T0_E_clISt17integral_constantIbLb1EES1B_EEDaS16_S17_EUlS16_E_NS1_11comp_targetILNS1_3genE8ELNS1_11target_archE1030ELNS1_3gpuE2ELNS1_3repE0EEENS1_30default_config_static_selectorELNS0_4arch9wavefront6targetE0EEEvT1_.uses_vcc, 0
	.set _ZN7rocprim17ROCPRIM_400000_NS6detail17trampoline_kernelINS0_14default_configENS1_25partition_config_selectorILNS1_17partition_subalgoE6EdNS0_10empty_typeEbEEZZNS1_14partition_implILS5_6ELb0ES3_mN6thrust23THRUST_200600_302600_NS6detail15normal_iteratorINSA_10device_ptrIdEEEEPS6_SG_NS0_5tupleIJNSA_16discard_iteratorINSA_11use_defaultEEES6_EEENSH_IJSG_SG_EEES6_PlJNSB_9not_fun_tI7is_trueIdEEEEEE10hipError_tPvRmT3_T4_T5_T6_T7_T9_mT8_P12ihipStream_tbDpT10_ENKUlT_T0_E_clISt17integral_constantIbLb1EES1B_EEDaS16_S17_EUlS16_E_NS1_11comp_targetILNS1_3genE8ELNS1_11target_archE1030ELNS1_3gpuE2ELNS1_3repE0EEENS1_30default_config_static_selectorELNS0_4arch9wavefront6targetE0EEEvT1_.uses_flat_scratch, 0
	.set _ZN7rocprim17ROCPRIM_400000_NS6detail17trampoline_kernelINS0_14default_configENS1_25partition_config_selectorILNS1_17partition_subalgoE6EdNS0_10empty_typeEbEEZZNS1_14partition_implILS5_6ELb0ES3_mN6thrust23THRUST_200600_302600_NS6detail15normal_iteratorINSA_10device_ptrIdEEEEPS6_SG_NS0_5tupleIJNSA_16discard_iteratorINSA_11use_defaultEEES6_EEENSH_IJSG_SG_EEES6_PlJNSB_9not_fun_tI7is_trueIdEEEEEE10hipError_tPvRmT3_T4_T5_T6_T7_T9_mT8_P12ihipStream_tbDpT10_ENKUlT_T0_E_clISt17integral_constantIbLb1EES1B_EEDaS16_S17_EUlS16_E_NS1_11comp_targetILNS1_3genE8ELNS1_11target_archE1030ELNS1_3gpuE2ELNS1_3repE0EEENS1_30default_config_static_selectorELNS0_4arch9wavefront6targetE0EEEvT1_.has_dyn_sized_stack, 0
	.set _ZN7rocprim17ROCPRIM_400000_NS6detail17trampoline_kernelINS0_14default_configENS1_25partition_config_selectorILNS1_17partition_subalgoE6EdNS0_10empty_typeEbEEZZNS1_14partition_implILS5_6ELb0ES3_mN6thrust23THRUST_200600_302600_NS6detail15normal_iteratorINSA_10device_ptrIdEEEEPS6_SG_NS0_5tupleIJNSA_16discard_iteratorINSA_11use_defaultEEES6_EEENSH_IJSG_SG_EEES6_PlJNSB_9not_fun_tI7is_trueIdEEEEEE10hipError_tPvRmT3_T4_T5_T6_T7_T9_mT8_P12ihipStream_tbDpT10_ENKUlT_T0_E_clISt17integral_constantIbLb1EES1B_EEDaS16_S17_EUlS16_E_NS1_11comp_targetILNS1_3genE8ELNS1_11target_archE1030ELNS1_3gpuE2ELNS1_3repE0EEENS1_30default_config_static_selectorELNS0_4arch9wavefront6targetE0EEEvT1_.has_recursion, 0
	.set _ZN7rocprim17ROCPRIM_400000_NS6detail17trampoline_kernelINS0_14default_configENS1_25partition_config_selectorILNS1_17partition_subalgoE6EdNS0_10empty_typeEbEEZZNS1_14partition_implILS5_6ELb0ES3_mN6thrust23THRUST_200600_302600_NS6detail15normal_iteratorINSA_10device_ptrIdEEEEPS6_SG_NS0_5tupleIJNSA_16discard_iteratorINSA_11use_defaultEEES6_EEENSH_IJSG_SG_EEES6_PlJNSB_9not_fun_tI7is_trueIdEEEEEE10hipError_tPvRmT3_T4_T5_T6_T7_T9_mT8_P12ihipStream_tbDpT10_ENKUlT_T0_E_clISt17integral_constantIbLb1EES1B_EEDaS16_S17_EUlS16_E_NS1_11comp_targetILNS1_3genE8ELNS1_11target_archE1030ELNS1_3gpuE2ELNS1_3repE0EEENS1_30default_config_static_selectorELNS0_4arch9wavefront6targetE0EEEvT1_.has_indirect_call, 0
	.section	.AMDGPU.csdata,"",@progbits
; Kernel info:
; codeLenInByte = 0
; TotalNumSgprs: 0
; NumVgprs: 0
; ScratchSize: 0
; MemoryBound: 0
; FloatMode: 240
; IeeeMode: 1
; LDSByteSize: 0 bytes/workgroup (compile time only)
; SGPRBlocks: 0
; VGPRBlocks: 0
; NumSGPRsForWavesPerEU: 1
; NumVGPRsForWavesPerEU: 1
; Occupancy: 16
; WaveLimiterHint : 0
; COMPUTE_PGM_RSRC2:SCRATCH_EN: 0
; COMPUTE_PGM_RSRC2:USER_SGPR: 2
; COMPUTE_PGM_RSRC2:TRAP_HANDLER: 0
; COMPUTE_PGM_RSRC2:TGID_X_EN: 1
; COMPUTE_PGM_RSRC2:TGID_Y_EN: 0
; COMPUTE_PGM_RSRC2:TGID_Z_EN: 0
; COMPUTE_PGM_RSRC2:TIDIG_COMP_CNT: 0
	.section	.text._ZN7rocprim17ROCPRIM_400000_NS6detail17trampoline_kernelINS0_14default_configENS1_25partition_config_selectorILNS1_17partition_subalgoE6EdNS0_10empty_typeEbEEZZNS1_14partition_implILS5_6ELb0ES3_mN6thrust23THRUST_200600_302600_NS6detail15normal_iteratorINSA_10device_ptrIdEEEEPS6_SG_NS0_5tupleIJNSA_16discard_iteratorINSA_11use_defaultEEES6_EEENSH_IJSG_SG_EEES6_PlJNSB_9not_fun_tI7is_trueIdEEEEEE10hipError_tPvRmT3_T4_T5_T6_T7_T9_mT8_P12ihipStream_tbDpT10_ENKUlT_T0_E_clISt17integral_constantIbLb1EES1A_IbLb0EEEEDaS16_S17_EUlS16_E_NS1_11comp_targetILNS1_3genE0ELNS1_11target_archE4294967295ELNS1_3gpuE0ELNS1_3repE0EEENS1_30default_config_static_selectorELNS0_4arch9wavefront6targetE0EEEvT1_,"axG",@progbits,_ZN7rocprim17ROCPRIM_400000_NS6detail17trampoline_kernelINS0_14default_configENS1_25partition_config_selectorILNS1_17partition_subalgoE6EdNS0_10empty_typeEbEEZZNS1_14partition_implILS5_6ELb0ES3_mN6thrust23THRUST_200600_302600_NS6detail15normal_iteratorINSA_10device_ptrIdEEEEPS6_SG_NS0_5tupleIJNSA_16discard_iteratorINSA_11use_defaultEEES6_EEENSH_IJSG_SG_EEES6_PlJNSB_9not_fun_tI7is_trueIdEEEEEE10hipError_tPvRmT3_T4_T5_T6_T7_T9_mT8_P12ihipStream_tbDpT10_ENKUlT_T0_E_clISt17integral_constantIbLb1EES1A_IbLb0EEEEDaS16_S17_EUlS16_E_NS1_11comp_targetILNS1_3genE0ELNS1_11target_archE4294967295ELNS1_3gpuE0ELNS1_3repE0EEENS1_30default_config_static_selectorELNS0_4arch9wavefront6targetE0EEEvT1_,comdat
	.protected	_ZN7rocprim17ROCPRIM_400000_NS6detail17trampoline_kernelINS0_14default_configENS1_25partition_config_selectorILNS1_17partition_subalgoE6EdNS0_10empty_typeEbEEZZNS1_14partition_implILS5_6ELb0ES3_mN6thrust23THRUST_200600_302600_NS6detail15normal_iteratorINSA_10device_ptrIdEEEEPS6_SG_NS0_5tupleIJNSA_16discard_iteratorINSA_11use_defaultEEES6_EEENSH_IJSG_SG_EEES6_PlJNSB_9not_fun_tI7is_trueIdEEEEEE10hipError_tPvRmT3_T4_T5_T6_T7_T9_mT8_P12ihipStream_tbDpT10_ENKUlT_T0_E_clISt17integral_constantIbLb1EES1A_IbLb0EEEEDaS16_S17_EUlS16_E_NS1_11comp_targetILNS1_3genE0ELNS1_11target_archE4294967295ELNS1_3gpuE0ELNS1_3repE0EEENS1_30default_config_static_selectorELNS0_4arch9wavefront6targetE0EEEvT1_ ; -- Begin function _ZN7rocprim17ROCPRIM_400000_NS6detail17trampoline_kernelINS0_14default_configENS1_25partition_config_selectorILNS1_17partition_subalgoE6EdNS0_10empty_typeEbEEZZNS1_14partition_implILS5_6ELb0ES3_mN6thrust23THRUST_200600_302600_NS6detail15normal_iteratorINSA_10device_ptrIdEEEEPS6_SG_NS0_5tupleIJNSA_16discard_iteratorINSA_11use_defaultEEES6_EEENSH_IJSG_SG_EEES6_PlJNSB_9not_fun_tI7is_trueIdEEEEEE10hipError_tPvRmT3_T4_T5_T6_T7_T9_mT8_P12ihipStream_tbDpT10_ENKUlT_T0_E_clISt17integral_constantIbLb1EES1A_IbLb0EEEEDaS16_S17_EUlS16_E_NS1_11comp_targetILNS1_3genE0ELNS1_11target_archE4294967295ELNS1_3gpuE0ELNS1_3repE0EEENS1_30default_config_static_selectorELNS0_4arch9wavefront6targetE0EEEvT1_
	.globl	_ZN7rocprim17ROCPRIM_400000_NS6detail17trampoline_kernelINS0_14default_configENS1_25partition_config_selectorILNS1_17partition_subalgoE6EdNS0_10empty_typeEbEEZZNS1_14partition_implILS5_6ELb0ES3_mN6thrust23THRUST_200600_302600_NS6detail15normal_iteratorINSA_10device_ptrIdEEEEPS6_SG_NS0_5tupleIJNSA_16discard_iteratorINSA_11use_defaultEEES6_EEENSH_IJSG_SG_EEES6_PlJNSB_9not_fun_tI7is_trueIdEEEEEE10hipError_tPvRmT3_T4_T5_T6_T7_T9_mT8_P12ihipStream_tbDpT10_ENKUlT_T0_E_clISt17integral_constantIbLb1EES1A_IbLb0EEEEDaS16_S17_EUlS16_E_NS1_11comp_targetILNS1_3genE0ELNS1_11target_archE4294967295ELNS1_3gpuE0ELNS1_3repE0EEENS1_30default_config_static_selectorELNS0_4arch9wavefront6targetE0EEEvT1_
	.p2align	8
	.type	_ZN7rocprim17ROCPRIM_400000_NS6detail17trampoline_kernelINS0_14default_configENS1_25partition_config_selectorILNS1_17partition_subalgoE6EdNS0_10empty_typeEbEEZZNS1_14partition_implILS5_6ELb0ES3_mN6thrust23THRUST_200600_302600_NS6detail15normal_iteratorINSA_10device_ptrIdEEEEPS6_SG_NS0_5tupleIJNSA_16discard_iteratorINSA_11use_defaultEEES6_EEENSH_IJSG_SG_EEES6_PlJNSB_9not_fun_tI7is_trueIdEEEEEE10hipError_tPvRmT3_T4_T5_T6_T7_T9_mT8_P12ihipStream_tbDpT10_ENKUlT_T0_E_clISt17integral_constantIbLb1EES1A_IbLb0EEEEDaS16_S17_EUlS16_E_NS1_11comp_targetILNS1_3genE0ELNS1_11target_archE4294967295ELNS1_3gpuE0ELNS1_3repE0EEENS1_30default_config_static_selectorELNS0_4arch9wavefront6targetE0EEEvT1_,@function
_ZN7rocprim17ROCPRIM_400000_NS6detail17trampoline_kernelINS0_14default_configENS1_25partition_config_selectorILNS1_17partition_subalgoE6EdNS0_10empty_typeEbEEZZNS1_14partition_implILS5_6ELb0ES3_mN6thrust23THRUST_200600_302600_NS6detail15normal_iteratorINSA_10device_ptrIdEEEEPS6_SG_NS0_5tupleIJNSA_16discard_iteratorINSA_11use_defaultEEES6_EEENSH_IJSG_SG_EEES6_PlJNSB_9not_fun_tI7is_trueIdEEEEEE10hipError_tPvRmT3_T4_T5_T6_T7_T9_mT8_P12ihipStream_tbDpT10_ENKUlT_T0_E_clISt17integral_constantIbLb1EES1A_IbLb0EEEEDaS16_S17_EUlS16_E_NS1_11comp_targetILNS1_3genE0ELNS1_11target_archE4294967295ELNS1_3gpuE0ELNS1_3repE0EEENS1_30default_config_static_selectorELNS0_4arch9wavefront6targetE0EEEvT1_: ; @_ZN7rocprim17ROCPRIM_400000_NS6detail17trampoline_kernelINS0_14default_configENS1_25partition_config_selectorILNS1_17partition_subalgoE6EdNS0_10empty_typeEbEEZZNS1_14partition_implILS5_6ELb0ES3_mN6thrust23THRUST_200600_302600_NS6detail15normal_iteratorINSA_10device_ptrIdEEEEPS6_SG_NS0_5tupleIJNSA_16discard_iteratorINSA_11use_defaultEEES6_EEENSH_IJSG_SG_EEES6_PlJNSB_9not_fun_tI7is_trueIdEEEEEE10hipError_tPvRmT3_T4_T5_T6_T7_T9_mT8_P12ihipStream_tbDpT10_ENKUlT_T0_E_clISt17integral_constantIbLb1EES1A_IbLb0EEEEDaS16_S17_EUlS16_E_NS1_11comp_targetILNS1_3genE0ELNS1_11target_archE4294967295ELNS1_3gpuE0ELNS1_3repE0EEENS1_30default_config_static_selectorELNS0_4arch9wavefront6targetE0EEEvT1_
; %bb.0:
	.section	.rodata,"a",@progbits
	.p2align	6, 0x0
	.amdhsa_kernel _ZN7rocprim17ROCPRIM_400000_NS6detail17trampoline_kernelINS0_14default_configENS1_25partition_config_selectorILNS1_17partition_subalgoE6EdNS0_10empty_typeEbEEZZNS1_14partition_implILS5_6ELb0ES3_mN6thrust23THRUST_200600_302600_NS6detail15normal_iteratorINSA_10device_ptrIdEEEEPS6_SG_NS0_5tupleIJNSA_16discard_iteratorINSA_11use_defaultEEES6_EEENSH_IJSG_SG_EEES6_PlJNSB_9not_fun_tI7is_trueIdEEEEEE10hipError_tPvRmT3_T4_T5_T6_T7_T9_mT8_P12ihipStream_tbDpT10_ENKUlT_T0_E_clISt17integral_constantIbLb1EES1A_IbLb0EEEEDaS16_S17_EUlS16_E_NS1_11comp_targetILNS1_3genE0ELNS1_11target_archE4294967295ELNS1_3gpuE0ELNS1_3repE0EEENS1_30default_config_static_selectorELNS0_4arch9wavefront6targetE0EEEvT1_
		.amdhsa_group_segment_fixed_size 0
		.amdhsa_private_segment_fixed_size 0
		.amdhsa_kernarg_size 120
		.amdhsa_user_sgpr_count 2
		.amdhsa_user_sgpr_dispatch_ptr 0
		.amdhsa_user_sgpr_queue_ptr 0
		.amdhsa_user_sgpr_kernarg_segment_ptr 1
		.amdhsa_user_sgpr_dispatch_id 0
		.amdhsa_user_sgpr_private_segment_size 0
		.amdhsa_wavefront_size32 1
		.amdhsa_uses_dynamic_stack 0
		.amdhsa_enable_private_segment 0
		.amdhsa_system_sgpr_workgroup_id_x 1
		.amdhsa_system_sgpr_workgroup_id_y 0
		.amdhsa_system_sgpr_workgroup_id_z 0
		.amdhsa_system_sgpr_workgroup_info 0
		.amdhsa_system_vgpr_workitem_id 0
		.amdhsa_next_free_vgpr 1
		.amdhsa_next_free_sgpr 1
		.amdhsa_reserve_vcc 0
		.amdhsa_float_round_mode_32 0
		.amdhsa_float_round_mode_16_64 0
		.amdhsa_float_denorm_mode_32 3
		.amdhsa_float_denorm_mode_16_64 3
		.amdhsa_fp16_overflow 0
		.amdhsa_workgroup_processor_mode 1
		.amdhsa_memory_ordered 1
		.amdhsa_forward_progress 1
		.amdhsa_inst_pref_size 0
		.amdhsa_round_robin_scheduling 0
		.amdhsa_exception_fp_ieee_invalid_op 0
		.amdhsa_exception_fp_denorm_src 0
		.amdhsa_exception_fp_ieee_div_zero 0
		.amdhsa_exception_fp_ieee_overflow 0
		.amdhsa_exception_fp_ieee_underflow 0
		.amdhsa_exception_fp_ieee_inexact 0
		.amdhsa_exception_int_div_zero 0
	.end_amdhsa_kernel
	.section	.text._ZN7rocprim17ROCPRIM_400000_NS6detail17trampoline_kernelINS0_14default_configENS1_25partition_config_selectorILNS1_17partition_subalgoE6EdNS0_10empty_typeEbEEZZNS1_14partition_implILS5_6ELb0ES3_mN6thrust23THRUST_200600_302600_NS6detail15normal_iteratorINSA_10device_ptrIdEEEEPS6_SG_NS0_5tupleIJNSA_16discard_iteratorINSA_11use_defaultEEES6_EEENSH_IJSG_SG_EEES6_PlJNSB_9not_fun_tI7is_trueIdEEEEEE10hipError_tPvRmT3_T4_T5_T6_T7_T9_mT8_P12ihipStream_tbDpT10_ENKUlT_T0_E_clISt17integral_constantIbLb1EES1A_IbLb0EEEEDaS16_S17_EUlS16_E_NS1_11comp_targetILNS1_3genE0ELNS1_11target_archE4294967295ELNS1_3gpuE0ELNS1_3repE0EEENS1_30default_config_static_selectorELNS0_4arch9wavefront6targetE0EEEvT1_,"axG",@progbits,_ZN7rocprim17ROCPRIM_400000_NS6detail17trampoline_kernelINS0_14default_configENS1_25partition_config_selectorILNS1_17partition_subalgoE6EdNS0_10empty_typeEbEEZZNS1_14partition_implILS5_6ELb0ES3_mN6thrust23THRUST_200600_302600_NS6detail15normal_iteratorINSA_10device_ptrIdEEEEPS6_SG_NS0_5tupleIJNSA_16discard_iteratorINSA_11use_defaultEEES6_EEENSH_IJSG_SG_EEES6_PlJNSB_9not_fun_tI7is_trueIdEEEEEE10hipError_tPvRmT3_T4_T5_T6_T7_T9_mT8_P12ihipStream_tbDpT10_ENKUlT_T0_E_clISt17integral_constantIbLb1EES1A_IbLb0EEEEDaS16_S17_EUlS16_E_NS1_11comp_targetILNS1_3genE0ELNS1_11target_archE4294967295ELNS1_3gpuE0ELNS1_3repE0EEENS1_30default_config_static_selectorELNS0_4arch9wavefront6targetE0EEEvT1_,comdat
.Lfunc_end2093:
	.size	_ZN7rocprim17ROCPRIM_400000_NS6detail17trampoline_kernelINS0_14default_configENS1_25partition_config_selectorILNS1_17partition_subalgoE6EdNS0_10empty_typeEbEEZZNS1_14partition_implILS5_6ELb0ES3_mN6thrust23THRUST_200600_302600_NS6detail15normal_iteratorINSA_10device_ptrIdEEEEPS6_SG_NS0_5tupleIJNSA_16discard_iteratorINSA_11use_defaultEEES6_EEENSH_IJSG_SG_EEES6_PlJNSB_9not_fun_tI7is_trueIdEEEEEE10hipError_tPvRmT3_T4_T5_T6_T7_T9_mT8_P12ihipStream_tbDpT10_ENKUlT_T0_E_clISt17integral_constantIbLb1EES1A_IbLb0EEEEDaS16_S17_EUlS16_E_NS1_11comp_targetILNS1_3genE0ELNS1_11target_archE4294967295ELNS1_3gpuE0ELNS1_3repE0EEENS1_30default_config_static_selectorELNS0_4arch9wavefront6targetE0EEEvT1_, .Lfunc_end2093-_ZN7rocprim17ROCPRIM_400000_NS6detail17trampoline_kernelINS0_14default_configENS1_25partition_config_selectorILNS1_17partition_subalgoE6EdNS0_10empty_typeEbEEZZNS1_14partition_implILS5_6ELb0ES3_mN6thrust23THRUST_200600_302600_NS6detail15normal_iteratorINSA_10device_ptrIdEEEEPS6_SG_NS0_5tupleIJNSA_16discard_iteratorINSA_11use_defaultEEES6_EEENSH_IJSG_SG_EEES6_PlJNSB_9not_fun_tI7is_trueIdEEEEEE10hipError_tPvRmT3_T4_T5_T6_T7_T9_mT8_P12ihipStream_tbDpT10_ENKUlT_T0_E_clISt17integral_constantIbLb1EES1A_IbLb0EEEEDaS16_S17_EUlS16_E_NS1_11comp_targetILNS1_3genE0ELNS1_11target_archE4294967295ELNS1_3gpuE0ELNS1_3repE0EEENS1_30default_config_static_selectorELNS0_4arch9wavefront6targetE0EEEvT1_
                                        ; -- End function
	.set _ZN7rocprim17ROCPRIM_400000_NS6detail17trampoline_kernelINS0_14default_configENS1_25partition_config_selectorILNS1_17partition_subalgoE6EdNS0_10empty_typeEbEEZZNS1_14partition_implILS5_6ELb0ES3_mN6thrust23THRUST_200600_302600_NS6detail15normal_iteratorINSA_10device_ptrIdEEEEPS6_SG_NS0_5tupleIJNSA_16discard_iteratorINSA_11use_defaultEEES6_EEENSH_IJSG_SG_EEES6_PlJNSB_9not_fun_tI7is_trueIdEEEEEE10hipError_tPvRmT3_T4_T5_T6_T7_T9_mT8_P12ihipStream_tbDpT10_ENKUlT_T0_E_clISt17integral_constantIbLb1EES1A_IbLb0EEEEDaS16_S17_EUlS16_E_NS1_11comp_targetILNS1_3genE0ELNS1_11target_archE4294967295ELNS1_3gpuE0ELNS1_3repE0EEENS1_30default_config_static_selectorELNS0_4arch9wavefront6targetE0EEEvT1_.num_vgpr, 0
	.set _ZN7rocprim17ROCPRIM_400000_NS6detail17trampoline_kernelINS0_14default_configENS1_25partition_config_selectorILNS1_17partition_subalgoE6EdNS0_10empty_typeEbEEZZNS1_14partition_implILS5_6ELb0ES3_mN6thrust23THRUST_200600_302600_NS6detail15normal_iteratorINSA_10device_ptrIdEEEEPS6_SG_NS0_5tupleIJNSA_16discard_iteratorINSA_11use_defaultEEES6_EEENSH_IJSG_SG_EEES6_PlJNSB_9not_fun_tI7is_trueIdEEEEEE10hipError_tPvRmT3_T4_T5_T6_T7_T9_mT8_P12ihipStream_tbDpT10_ENKUlT_T0_E_clISt17integral_constantIbLb1EES1A_IbLb0EEEEDaS16_S17_EUlS16_E_NS1_11comp_targetILNS1_3genE0ELNS1_11target_archE4294967295ELNS1_3gpuE0ELNS1_3repE0EEENS1_30default_config_static_selectorELNS0_4arch9wavefront6targetE0EEEvT1_.num_agpr, 0
	.set _ZN7rocprim17ROCPRIM_400000_NS6detail17trampoline_kernelINS0_14default_configENS1_25partition_config_selectorILNS1_17partition_subalgoE6EdNS0_10empty_typeEbEEZZNS1_14partition_implILS5_6ELb0ES3_mN6thrust23THRUST_200600_302600_NS6detail15normal_iteratorINSA_10device_ptrIdEEEEPS6_SG_NS0_5tupleIJNSA_16discard_iteratorINSA_11use_defaultEEES6_EEENSH_IJSG_SG_EEES6_PlJNSB_9not_fun_tI7is_trueIdEEEEEE10hipError_tPvRmT3_T4_T5_T6_T7_T9_mT8_P12ihipStream_tbDpT10_ENKUlT_T0_E_clISt17integral_constantIbLb1EES1A_IbLb0EEEEDaS16_S17_EUlS16_E_NS1_11comp_targetILNS1_3genE0ELNS1_11target_archE4294967295ELNS1_3gpuE0ELNS1_3repE0EEENS1_30default_config_static_selectorELNS0_4arch9wavefront6targetE0EEEvT1_.numbered_sgpr, 0
	.set _ZN7rocprim17ROCPRIM_400000_NS6detail17trampoline_kernelINS0_14default_configENS1_25partition_config_selectorILNS1_17partition_subalgoE6EdNS0_10empty_typeEbEEZZNS1_14partition_implILS5_6ELb0ES3_mN6thrust23THRUST_200600_302600_NS6detail15normal_iteratorINSA_10device_ptrIdEEEEPS6_SG_NS0_5tupleIJNSA_16discard_iteratorINSA_11use_defaultEEES6_EEENSH_IJSG_SG_EEES6_PlJNSB_9not_fun_tI7is_trueIdEEEEEE10hipError_tPvRmT3_T4_T5_T6_T7_T9_mT8_P12ihipStream_tbDpT10_ENKUlT_T0_E_clISt17integral_constantIbLb1EES1A_IbLb0EEEEDaS16_S17_EUlS16_E_NS1_11comp_targetILNS1_3genE0ELNS1_11target_archE4294967295ELNS1_3gpuE0ELNS1_3repE0EEENS1_30default_config_static_selectorELNS0_4arch9wavefront6targetE0EEEvT1_.num_named_barrier, 0
	.set _ZN7rocprim17ROCPRIM_400000_NS6detail17trampoline_kernelINS0_14default_configENS1_25partition_config_selectorILNS1_17partition_subalgoE6EdNS0_10empty_typeEbEEZZNS1_14partition_implILS5_6ELb0ES3_mN6thrust23THRUST_200600_302600_NS6detail15normal_iteratorINSA_10device_ptrIdEEEEPS6_SG_NS0_5tupleIJNSA_16discard_iteratorINSA_11use_defaultEEES6_EEENSH_IJSG_SG_EEES6_PlJNSB_9not_fun_tI7is_trueIdEEEEEE10hipError_tPvRmT3_T4_T5_T6_T7_T9_mT8_P12ihipStream_tbDpT10_ENKUlT_T0_E_clISt17integral_constantIbLb1EES1A_IbLb0EEEEDaS16_S17_EUlS16_E_NS1_11comp_targetILNS1_3genE0ELNS1_11target_archE4294967295ELNS1_3gpuE0ELNS1_3repE0EEENS1_30default_config_static_selectorELNS0_4arch9wavefront6targetE0EEEvT1_.private_seg_size, 0
	.set _ZN7rocprim17ROCPRIM_400000_NS6detail17trampoline_kernelINS0_14default_configENS1_25partition_config_selectorILNS1_17partition_subalgoE6EdNS0_10empty_typeEbEEZZNS1_14partition_implILS5_6ELb0ES3_mN6thrust23THRUST_200600_302600_NS6detail15normal_iteratorINSA_10device_ptrIdEEEEPS6_SG_NS0_5tupleIJNSA_16discard_iteratorINSA_11use_defaultEEES6_EEENSH_IJSG_SG_EEES6_PlJNSB_9not_fun_tI7is_trueIdEEEEEE10hipError_tPvRmT3_T4_T5_T6_T7_T9_mT8_P12ihipStream_tbDpT10_ENKUlT_T0_E_clISt17integral_constantIbLb1EES1A_IbLb0EEEEDaS16_S17_EUlS16_E_NS1_11comp_targetILNS1_3genE0ELNS1_11target_archE4294967295ELNS1_3gpuE0ELNS1_3repE0EEENS1_30default_config_static_selectorELNS0_4arch9wavefront6targetE0EEEvT1_.uses_vcc, 0
	.set _ZN7rocprim17ROCPRIM_400000_NS6detail17trampoline_kernelINS0_14default_configENS1_25partition_config_selectorILNS1_17partition_subalgoE6EdNS0_10empty_typeEbEEZZNS1_14partition_implILS5_6ELb0ES3_mN6thrust23THRUST_200600_302600_NS6detail15normal_iteratorINSA_10device_ptrIdEEEEPS6_SG_NS0_5tupleIJNSA_16discard_iteratorINSA_11use_defaultEEES6_EEENSH_IJSG_SG_EEES6_PlJNSB_9not_fun_tI7is_trueIdEEEEEE10hipError_tPvRmT3_T4_T5_T6_T7_T9_mT8_P12ihipStream_tbDpT10_ENKUlT_T0_E_clISt17integral_constantIbLb1EES1A_IbLb0EEEEDaS16_S17_EUlS16_E_NS1_11comp_targetILNS1_3genE0ELNS1_11target_archE4294967295ELNS1_3gpuE0ELNS1_3repE0EEENS1_30default_config_static_selectorELNS0_4arch9wavefront6targetE0EEEvT1_.uses_flat_scratch, 0
	.set _ZN7rocprim17ROCPRIM_400000_NS6detail17trampoline_kernelINS0_14default_configENS1_25partition_config_selectorILNS1_17partition_subalgoE6EdNS0_10empty_typeEbEEZZNS1_14partition_implILS5_6ELb0ES3_mN6thrust23THRUST_200600_302600_NS6detail15normal_iteratorINSA_10device_ptrIdEEEEPS6_SG_NS0_5tupleIJNSA_16discard_iteratorINSA_11use_defaultEEES6_EEENSH_IJSG_SG_EEES6_PlJNSB_9not_fun_tI7is_trueIdEEEEEE10hipError_tPvRmT3_T4_T5_T6_T7_T9_mT8_P12ihipStream_tbDpT10_ENKUlT_T0_E_clISt17integral_constantIbLb1EES1A_IbLb0EEEEDaS16_S17_EUlS16_E_NS1_11comp_targetILNS1_3genE0ELNS1_11target_archE4294967295ELNS1_3gpuE0ELNS1_3repE0EEENS1_30default_config_static_selectorELNS0_4arch9wavefront6targetE0EEEvT1_.has_dyn_sized_stack, 0
	.set _ZN7rocprim17ROCPRIM_400000_NS6detail17trampoline_kernelINS0_14default_configENS1_25partition_config_selectorILNS1_17partition_subalgoE6EdNS0_10empty_typeEbEEZZNS1_14partition_implILS5_6ELb0ES3_mN6thrust23THRUST_200600_302600_NS6detail15normal_iteratorINSA_10device_ptrIdEEEEPS6_SG_NS0_5tupleIJNSA_16discard_iteratorINSA_11use_defaultEEES6_EEENSH_IJSG_SG_EEES6_PlJNSB_9not_fun_tI7is_trueIdEEEEEE10hipError_tPvRmT3_T4_T5_T6_T7_T9_mT8_P12ihipStream_tbDpT10_ENKUlT_T0_E_clISt17integral_constantIbLb1EES1A_IbLb0EEEEDaS16_S17_EUlS16_E_NS1_11comp_targetILNS1_3genE0ELNS1_11target_archE4294967295ELNS1_3gpuE0ELNS1_3repE0EEENS1_30default_config_static_selectorELNS0_4arch9wavefront6targetE0EEEvT1_.has_recursion, 0
	.set _ZN7rocprim17ROCPRIM_400000_NS6detail17trampoline_kernelINS0_14default_configENS1_25partition_config_selectorILNS1_17partition_subalgoE6EdNS0_10empty_typeEbEEZZNS1_14partition_implILS5_6ELb0ES3_mN6thrust23THRUST_200600_302600_NS6detail15normal_iteratorINSA_10device_ptrIdEEEEPS6_SG_NS0_5tupleIJNSA_16discard_iteratorINSA_11use_defaultEEES6_EEENSH_IJSG_SG_EEES6_PlJNSB_9not_fun_tI7is_trueIdEEEEEE10hipError_tPvRmT3_T4_T5_T6_T7_T9_mT8_P12ihipStream_tbDpT10_ENKUlT_T0_E_clISt17integral_constantIbLb1EES1A_IbLb0EEEEDaS16_S17_EUlS16_E_NS1_11comp_targetILNS1_3genE0ELNS1_11target_archE4294967295ELNS1_3gpuE0ELNS1_3repE0EEENS1_30default_config_static_selectorELNS0_4arch9wavefront6targetE0EEEvT1_.has_indirect_call, 0
	.section	.AMDGPU.csdata,"",@progbits
; Kernel info:
; codeLenInByte = 0
; TotalNumSgprs: 0
; NumVgprs: 0
; ScratchSize: 0
; MemoryBound: 0
; FloatMode: 240
; IeeeMode: 1
; LDSByteSize: 0 bytes/workgroup (compile time only)
; SGPRBlocks: 0
; VGPRBlocks: 0
; NumSGPRsForWavesPerEU: 1
; NumVGPRsForWavesPerEU: 1
; Occupancy: 16
; WaveLimiterHint : 0
; COMPUTE_PGM_RSRC2:SCRATCH_EN: 0
; COMPUTE_PGM_RSRC2:USER_SGPR: 2
; COMPUTE_PGM_RSRC2:TRAP_HANDLER: 0
; COMPUTE_PGM_RSRC2:TGID_X_EN: 1
; COMPUTE_PGM_RSRC2:TGID_Y_EN: 0
; COMPUTE_PGM_RSRC2:TGID_Z_EN: 0
; COMPUTE_PGM_RSRC2:TIDIG_COMP_CNT: 0
	.section	.text._ZN7rocprim17ROCPRIM_400000_NS6detail17trampoline_kernelINS0_14default_configENS1_25partition_config_selectorILNS1_17partition_subalgoE6EdNS0_10empty_typeEbEEZZNS1_14partition_implILS5_6ELb0ES3_mN6thrust23THRUST_200600_302600_NS6detail15normal_iteratorINSA_10device_ptrIdEEEEPS6_SG_NS0_5tupleIJNSA_16discard_iteratorINSA_11use_defaultEEES6_EEENSH_IJSG_SG_EEES6_PlJNSB_9not_fun_tI7is_trueIdEEEEEE10hipError_tPvRmT3_T4_T5_T6_T7_T9_mT8_P12ihipStream_tbDpT10_ENKUlT_T0_E_clISt17integral_constantIbLb1EES1A_IbLb0EEEEDaS16_S17_EUlS16_E_NS1_11comp_targetILNS1_3genE5ELNS1_11target_archE942ELNS1_3gpuE9ELNS1_3repE0EEENS1_30default_config_static_selectorELNS0_4arch9wavefront6targetE0EEEvT1_,"axG",@progbits,_ZN7rocprim17ROCPRIM_400000_NS6detail17trampoline_kernelINS0_14default_configENS1_25partition_config_selectorILNS1_17partition_subalgoE6EdNS0_10empty_typeEbEEZZNS1_14partition_implILS5_6ELb0ES3_mN6thrust23THRUST_200600_302600_NS6detail15normal_iteratorINSA_10device_ptrIdEEEEPS6_SG_NS0_5tupleIJNSA_16discard_iteratorINSA_11use_defaultEEES6_EEENSH_IJSG_SG_EEES6_PlJNSB_9not_fun_tI7is_trueIdEEEEEE10hipError_tPvRmT3_T4_T5_T6_T7_T9_mT8_P12ihipStream_tbDpT10_ENKUlT_T0_E_clISt17integral_constantIbLb1EES1A_IbLb0EEEEDaS16_S17_EUlS16_E_NS1_11comp_targetILNS1_3genE5ELNS1_11target_archE942ELNS1_3gpuE9ELNS1_3repE0EEENS1_30default_config_static_selectorELNS0_4arch9wavefront6targetE0EEEvT1_,comdat
	.protected	_ZN7rocprim17ROCPRIM_400000_NS6detail17trampoline_kernelINS0_14default_configENS1_25partition_config_selectorILNS1_17partition_subalgoE6EdNS0_10empty_typeEbEEZZNS1_14partition_implILS5_6ELb0ES3_mN6thrust23THRUST_200600_302600_NS6detail15normal_iteratorINSA_10device_ptrIdEEEEPS6_SG_NS0_5tupleIJNSA_16discard_iteratorINSA_11use_defaultEEES6_EEENSH_IJSG_SG_EEES6_PlJNSB_9not_fun_tI7is_trueIdEEEEEE10hipError_tPvRmT3_T4_T5_T6_T7_T9_mT8_P12ihipStream_tbDpT10_ENKUlT_T0_E_clISt17integral_constantIbLb1EES1A_IbLb0EEEEDaS16_S17_EUlS16_E_NS1_11comp_targetILNS1_3genE5ELNS1_11target_archE942ELNS1_3gpuE9ELNS1_3repE0EEENS1_30default_config_static_selectorELNS0_4arch9wavefront6targetE0EEEvT1_ ; -- Begin function _ZN7rocprim17ROCPRIM_400000_NS6detail17trampoline_kernelINS0_14default_configENS1_25partition_config_selectorILNS1_17partition_subalgoE6EdNS0_10empty_typeEbEEZZNS1_14partition_implILS5_6ELb0ES3_mN6thrust23THRUST_200600_302600_NS6detail15normal_iteratorINSA_10device_ptrIdEEEEPS6_SG_NS0_5tupleIJNSA_16discard_iteratorINSA_11use_defaultEEES6_EEENSH_IJSG_SG_EEES6_PlJNSB_9not_fun_tI7is_trueIdEEEEEE10hipError_tPvRmT3_T4_T5_T6_T7_T9_mT8_P12ihipStream_tbDpT10_ENKUlT_T0_E_clISt17integral_constantIbLb1EES1A_IbLb0EEEEDaS16_S17_EUlS16_E_NS1_11comp_targetILNS1_3genE5ELNS1_11target_archE942ELNS1_3gpuE9ELNS1_3repE0EEENS1_30default_config_static_selectorELNS0_4arch9wavefront6targetE0EEEvT1_
	.globl	_ZN7rocprim17ROCPRIM_400000_NS6detail17trampoline_kernelINS0_14default_configENS1_25partition_config_selectorILNS1_17partition_subalgoE6EdNS0_10empty_typeEbEEZZNS1_14partition_implILS5_6ELb0ES3_mN6thrust23THRUST_200600_302600_NS6detail15normal_iteratorINSA_10device_ptrIdEEEEPS6_SG_NS0_5tupleIJNSA_16discard_iteratorINSA_11use_defaultEEES6_EEENSH_IJSG_SG_EEES6_PlJNSB_9not_fun_tI7is_trueIdEEEEEE10hipError_tPvRmT3_T4_T5_T6_T7_T9_mT8_P12ihipStream_tbDpT10_ENKUlT_T0_E_clISt17integral_constantIbLb1EES1A_IbLb0EEEEDaS16_S17_EUlS16_E_NS1_11comp_targetILNS1_3genE5ELNS1_11target_archE942ELNS1_3gpuE9ELNS1_3repE0EEENS1_30default_config_static_selectorELNS0_4arch9wavefront6targetE0EEEvT1_
	.p2align	8
	.type	_ZN7rocprim17ROCPRIM_400000_NS6detail17trampoline_kernelINS0_14default_configENS1_25partition_config_selectorILNS1_17partition_subalgoE6EdNS0_10empty_typeEbEEZZNS1_14partition_implILS5_6ELb0ES3_mN6thrust23THRUST_200600_302600_NS6detail15normal_iteratorINSA_10device_ptrIdEEEEPS6_SG_NS0_5tupleIJNSA_16discard_iteratorINSA_11use_defaultEEES6_EEENSH_IJSG_SG_EEES6_PlJNSB_9not_fun_tI7is_trueIdEEEEEE10hipError_tPvRmT3_T4_T5_T6_T7_T9_mT8_P12ihipStream_tbDpT10_ENKUlT_T0_E_clISt17integral_constantIbLb1EES1A_IbLb0EEEEDaS16_S17_EUlS16_E_NS1_11comp_targetILNS1_3genE5ELNS1_11target_archE942ELNS1_3gpuE9ELNS1_3repE0EEENS1_30default_config_static_selectorELNS0_4arch9wavefront6targetE0EEEvT1_,@function
_ZN7rocprim17ROCPRIM_400000_NS6detail17trampoline_kernelINS0_14default_configENS1_25partition_config_selectorILNS1_17partition_subalgoE6EdNS0_10empty_typeEbEEZZNS1_14partition_implILS5_6ELb0ES3_mN6thrust23THRUST_200600_302600_NS6detail15normal_iteratorINSA_10device_ptrIdEEEEPS6_SG_NS0_5tupleIJNSA_16discard_iteratorINSA_11use_defaultEEES6_EEENSH_IJSG_SG_EEES6_PlJNSB_9not_fun_tI7is_trueIdEEEEEE10hipError_tPvRmT3_T4_T5_T6_T7_T9_mT8_P12ihipStream_tbDpT10_ENKUlT_T0_E_clISt17integral_constantIbLb1EES1A_IbLb0EEEEDaS16_S17_EUlS16_E_NS1_11comp_targetILNS1_3genE5ELNS1_11target_archE942ELNS1_3gpuE9ELNS1_3repE0EEENS1_30default_config_static_selectorELNS0_4arch9wavefront6targetE0EEEvT1_: ; @_ZN7rocprim17ROCPRIM_400000_NS6detail17trampoline_kernelINS0_14default_configENS1_25partition_config_selectorILNS1_17partition_subalgoE6EdNS0_10empty_typeEbEEZZNS1_14partition_implILS5_6ELb0ES3_mN6thrust23THRUST_200600_302600_NS6detail15normal_iteratorINSA_10device_ptrIdEEEEPS6_SG_NS0_5tupleIJNSA_16discard_iteratorINSA_11use_defaultEEES6_EEENSH_IJSG_SG_EEES6_PlJNSB_9not_fun_tI7is_trueIdEEEEEE10hipError_tPvRmT3_T4_T5_T6_T7_T9_mT8_P12ihipStream_tbDpT10_ENKUlT_T0_E_clISt17integral_constantIbLb1EES1A_IbLb0EEEEDaS16_S17_EUlS16_E_NS1_11comp_targetILNS1_3genE5ELNS1_11target_archE942ELNS1_3gpuE9ELNS1_3repE0EEENS1_30default_config_static_selectorELNS0_4arch9wavefront6targetE0EEEvT1_
; %bb.0:
	.section	.rodata,"a",@progbits
	.p2align	6, 0x0
	.amdhsa_kernel _ZN7rocprim17ROCPRIM_400000_NS6detail17trampoline_kernelINS0_14default_configENS1_25partition_config_selectorILNS1_17partition_subalgoE6EdNS0_10empty_typeEbEEZZNS1_14partition_implILS5_6ELb0ES3_mN6thrust23THRUST_200600_302600_NS6detail15normal_iteratorINSA_10device_ptrIdEEEEPS6_SG_NS0_5tupleIJNSA_16discard_iteratorINSA_11use_defaultEEES6_EEENSH_IJSG_SG_EEES6_PlJNSB_9not_fun_tI7is_trueIdEEEEEE10hipError_tPvRmT3_T4_T5_T6_T7_T9_mT8_P12ihipStream_tbDpT10_ENKUlT_T0_E_clISt17integral_constantIbLb1EES1A_IbLb0EEEEDaS16_S17_EUlS16_E_NS1_11comp_targetILNS1_3genE5ELNS1_11target_archE942ELNS1_3gpuE9ELNS1_3repE0EEENS1_30default_config_static_selectorELNS0_4arch9wavefront6targetE0EEEvT1_
		.amdhsa_group_segment_fixed_size 0
		.amdhsa_private_segment_fixed_size 0
		.amdhsa_kernarg_size 120
		.amdhsa_user_sgpr_count 2
		.amdhsa_user_sgpr_dispatch_ptr 0
		.amdhsa_user_sgpr_queue_ptr 0
		.amdhsa_user_sgpr_kernarg_segment_ptr 1
		.amdhsa_user_sgpr_dispatch_id 0
		.amdhsa_user_sgpr_private_segment_size 0
		.amdhsa_wavefront_size32 1
		.amdhsa_uses_dynamic_stack 0
		.amdhsa_enable_private_segment 0
		.amdhsa_system_sgpr_workgroup_id_x 1
		.amdhsa_system_sgpr_workgroup_id_y 0
		.amdhsa_system_sgpr_workgroup_id_z 0
		.amdhsa_system_sgpr_workgroup_info 0
		.amdhsa_system_vgpr_workitem_id 0
		.amdhsa_next_free_vgpr 1
		.amdhsa_next_free_sgpr 1
		.amdhsa_reserve_vcc 0
		.amdhsa_float_round_mode_32 0
		.amdhsa_float_round_mode_16_64 0
		.amdhsa_float_denorm_mode_32 3
		.amdhsa_float_denorm_mode_16_64 3
		.amdhsa_fp16_overflow 0
		.amdhsa_workgroup_processor_mode 1
		.amdhsa_memory_ordered 1
		.amdhsa_forward_progress 1
		.amdhsa_inst_pref_size 0
		.amdhsa_round_robin_scheduling 0
		.amdhsa_exception_fp_ieee_invalid_op 0
		.amdhsa_exception_fp_denorm_src 0
		.amdhsa_exception_fp_ieee_div_zero 0
		.amdhsa_exception_fp_ieee_overflow 0
		.amdhsa_exception_fp_ieee_underflow 0
		.amdhsa_exception_fp_ieee_inexact 0
		.amdhsa_exception_int_div_zero 0
	.end_amdhsa_kernel
	.section	.text._ZN7rocprim17ROCPRIM_400000_NS6detail17trampoline_kernelINS0_14default_configENS1_25partition_config_selectorILNS1_17partition_subalgoE6EdNS0_10empty_typeEbEEZZNS1_14partition_implILS5_6ELb0ES3_mN6thrust23THRUST_200600_302600_NS6detail15normal_iteratorINSA_10device_ptrIdEEEEPS6_SG_NS0_5tupleIJNSA_16discard_iteratorINSA_11use_defaultEEES6_EEENSH_IJSG_SG_EEES6_PlJNSB_9not_fun_tI7is_trueIdEEEEEE10hipError_tPvRmT3_T4_T5_T6_T7_T9_mT8_P12ihipStream_tbDpT10_ENKUlT_T0_E_clISt17integral_constantIbLb1EES1A_IbLb0EEEEDaS16_S17_EUlS16_E_NS1_11comp_targetILNS1_3genE5ELNS1_11target_archE942ELNS1_3gpuE9ELNS1_3repE0EEENS1_30default_config_static_selectorELNS0_4arch9wavefront6targetE0EEEvT1_,"axG",@progbits,_ZN7rocprim17ROCPRIM_400000_NS6detail17trampoline_kernelINS0_14default_configENS1_25partition_config_selectorILNS1_17partition_subalgoE6EdNS0_10empty_typeEbEEZZNS1_14partition_implILS5_6ELb0ES3_mN6thrust23THRUST_200600_302600_NS6detail15normal_iteratorINSA_10device_ptrIdEEEEPS6_SG_NS0_5tupleIJNSA_16discard_iteratorINSA_11use_defaultEEES6_EEENSH_IJSG_SG_EEES6_PlJNSB_9not_fun_tI7is_trueIdEEEEEE10hipError_tPvRmT3_T4_T5_T6_T7_T9_mT8_P12ihipStream_tbDpT10_ENKUlT_T0_E_clISt17integral_constantIbLb1EES1A_IbLb0EEEEDaS16_S17_EUlS16_E_NS1_11comp_targetILNS1_3genE5ELNS1_11target_archE942ELNS1_3gpuE9ELNS1_3repE0EEENS1_30default_config_static_selectorELNS0_4arch9wavefront6targetE0EEEvT1_,comdat
.Lfunc_end2094:
	.size	_ZN7rocprim17ROCPRIM_400000_NS6detail17trampoline_kernelINS0_14default_configENS1_25partition_config_selectorILNS1_17partition_subalgoE6EdNS0_10empty_typeEbEEZZNS1_14partition_implILS5_6ELb0ES3_mN6thrust23THRUST_200600_302600_NS6detail15normal_iteratorINSA_10device_ptrIdEEEEPS6_SG_NS0_5tupleIJNSA_16discard_iteratorINSA_11use_defaultEEES6_EEENSH_IJSG_SG_EEES6_PlJNSB_9not_fun_tI7is_trueIdEEEEEE10hipError_tPvRmT3_T4_T5_T6_T7_T9_mT8_P12ihipStream_tbDpT10_ENKUlT_T0_E_clISt17integral_constantIbLb1EES1A_IbLb0EEEEDaS16_S17_EUlS16_E_NS1_11comp_targetILNS1_3genE5ELNS1_11target_archE942ELNS1_3gpuE9ELNS1_3repE0EEENS1_30default_config_static_selectorELNS0_4arch9wavefront6targetE0EEEvT1_, .Lfunc_end2094-_ZN7rocprim17ROCPRIM_400000_NS6detail17trampoline_kernelINS0_14default_configENS1_25partition_config_selectorILNS1_17partition_subalgoE6EdNS0_10empty_typeEbEEZZNS1_14partition_implILS5_6ELb0ES3_mN6thrust23THRUST_200600_302600_NS6detail15normal_iteratorINSA_10device_ptrIdEEEEPS6_SG_NS0_5tupleIJNSA_16discard_iteratorINSA_11use_defaultEEES6_EEENSH_IJSG_SG_EEES6_PlJNSB_9not_fun_tI7is_trueIdEEEEEE10hipError_tPvRmT3_T4_T5_T6_T7_T9_mT8_P12ihipStream_tbDpT10_ENKUlT_T0_E_clISt17integral_constantIbLb1EES1A_IbLb0EEEEDaS16_S17_EUlS16_E_NS1_11comp_targetILNS1_3genE5ELNS1_11target_archE942ELNS1_3gpuE9ELNS1_3repE0EEENS1_30default_config_static_selectorELNS0_4arch9wavefront6targetE0EEEvT1_
                                        ; -- End function
	.set _ZN7rocprim17ROCPRIM_400000_NS6detail17trampoline_kernelINS0_14default_configENS1_25partition_config_selectorILNS1_17partition_subalgoE6EdNS0_10empty_typeEbEEZZNS1_14partition_implILS5_6ELb0ES3_mN6thrust23THRUST_200600_302600_NS6detail15normal_iteratorINSA_10device_ptrIdEEEEPS6_SG_NS0_5tupleIJNSA_16discard_iteratorINSA_11use_defaultEEES6_EEENSH_IJSG_SG_EEES6_PlJNSB_9not_fun_tI7is_trueIdEEEEEE10hipError_tPvRmT3_T4_T5_T6_T7_T9_mT8_P12ihipStream_tbDpT10_ENKUlT_T0_E_clISt17integral_constantIbLb1EES1A_IbLb0EEEEDaS16_S17_EUlS16_E_NS1_11comp_targetILNS1_3genE5ELNS1_11target_archE942ELNS1_3gpuE9ELNS1_3repE0EEENS1_30default_config_static_selectorELNS0_4arch9wavefront6targetE0EEEvT1_.num_vgpr, 0
	.set _ZN7rocprim17ROCPRIM_400000_NS6detail17trampoline_kernelINS0_14default_configENS1_25partition_config_selectorILNS1_17partition_subalgoE6EdNS0_10empty_typeEbEEZZNS1_14partition_implILS5_6ELb0ES3_mN6thrust23THRUST_200600_302600_NS6detail15normal_iteratorINSA_10device_ptrIdEEEEPS6_SG_NS0_5tupleIJNSA_16discard_iteratorINSA_11use_defaultEEES6_EEENSH_IJSG_SG_EEES6_PlJNSB_9not_fun_tI7is_trueIdEEEEEE10hipError_tPvRmT3_T4_T5_T6_T7_T9_mT8_P12ihipStream_tbDpT10_ENKUlT_T0_E_clISt17integral_constantIbLb1EES1A_IbLb0EEEEDaS16_S17_EUlS16_E_NS1_11comp_targetILNS1_3genE5ELNS1_11target_archE942ELNS1_3gpuE9ELNS1_3repE0EEENS1_30default_config_static_selectorELNS0_4arch9wavefront6targetE0EEEvT1_.num_agpr, 0
	.set _ZN7rocprim17ROCPRIM_400000_NS6detail17trampoline_kernelINS0_14default_configENS1_25partition_config_selectorILNS1_17partition_subalgoE6EdNS0_10empty_typeEbEEZZNS1_14partition_implILS5_6ELb0ES3_mN6thrust23THRUST_200600_302600_NS6detail15normal_iteratorINSA_10device_ptrIdEEEEPS6_SG_NS0_5tupleIJNSA_16discard_iteratorINSA_11use_defaultEEES6_EEENSH_IJSG_SG_EEES6_PlJNSB_9not_fun_tI7is_trueIdEEEEEE10hipError_tPvRmT3_T4_T5_T6_T7_T9_mT8_P12ihipStream_tbDpT10_ENKUlT_T0_E_clISt17integral_constantIbLb1EES1A_IbLb0EEEEDaS16_S17_EUlS16_E_NS1_11comp_targetILNS1_3genE5ELNS1_11target_archE942ELNS1_3gpuE9ELNS1_3repE0EEENS1_30default_config_static_selectorELNS0_4arch9wavefront6targetE0EEEvT1_.numbered_sgpr, 0
	.set _ZN7rocprim17ROCPRIM_400000_NS6detail17trampoline_kernelINS0_14default_configENS1_25partition_config_selectorILNS1_17partition_subalgoE6EdNS0_10empty_typeEbEEZZNS1_14partition_implILS5_6ELb0ES3_mN6thrust23THRUST_200600_302600_NS6detail15normal_iteratorINSA_10device_ptrIdEEEEPS6_SG_NS0_5tupleIJNSA_16discard_iteratorINSA_11use_defaultEEES6_EEENSH_IJSG_SG_EEES6_PlJNSB_9not_fun_tI7is_trueIdEEEEEE10hipError_tPvRmT3_T4_T5_T6_T7_T9_mT8_P12ihipStream_tbDpT10_ENKUlT_T0_E_clISt17integral_constantIbLb1EES1A_IbLb0EEEEDaS16_S17_EUlS16_E_NS1_11comp_targetILNS1_3genE5ELNS1_11target_archE942ELNS1_3gpuE9ELNS1_3repE0EEENS1_30default_config_static_selectorELNS0_4arch9wavefront6targetE0EEEvT1_.num_named_barrier, 0
	.set _ZN7rocprim17ROCPRIM_400000_NS6detail17trampoline_kernelINS0_14default_configENS1_25partition_config_selectorILNS1_17partition_subalgoE6EdNS0_10empty_typeEbEEZZNS1_14partition_implILS5_6ELb0ES3_mN6thrust23THRUST_200600_302600_NS6detail15normal_iteratorINSA_10device_ptrIdEEEEPS6_SG_NS0_5tupleIJNSA_16discard_iteratorINSA_11use_defaultEEES6_EEENSH_IJSG_SG_EEES6_PlJNSB_9not_fun_tI7is_trueIdEEEEEE10hipError_tPvRmT3_T4_T5_T6_T7_T9_mT8_P12ihipStream_tbDpT10_ENKUlT_T0_E_clISt17integral_constantIbLb1EES1A_IbLb0EEEEDaS16_S17_EUlS16_E_NS1_11comp_targetILNS1_3genE5ELNS1_11target_archE942ELNS1_3gpuE9ELNS1_3repE0EEENS1_30default_config_static_selectorELNS0_4arch9wavefront6targetE0EEEvT1_.private_seg_size, 0
	.set _ZN7rocprim17ROCPRIM_400000_NS6detail17trampoline_kernelINS0_14default_configENS1_25partition_config_selectorILNS1_17partition_subalgoE6EdNS0_10empty_typeEbEEZZNS1_14partition_implILS5_6ELb0ES3_mN6thrust23THRUST_200600_302600_NS6detail15normal_iteratorINSA_10device_ptrIdEEEEPS6_SG_NS0_5tupleIJNSA_16discard_iteratorINSA_11use_defaultEEES6_EEENSH_IJSG_SG_EEES6_PlJNSB_9not_fun_tI7is_trueIdEEEEEE10hipError_tPvRmT3_T4_T5_T6_T7_T9_mT8_P12ihipStream_tbDpT10_ENKUlT_T0_E_clISt17integral_constantIbLb1EES1A_IbLb0EEEEDaS16_S17_EUlS16_E_NS1_11comp_targetILNS1_3genE5ELNS1_11target_archE942ELNS1_3gpuE9ELNS1_3repE0EEENS1_30default_config_static_selectorELNS0_4arch9wavefront6targetE0EEEvT1_.uses_vcc, 0
	.set _ZN7rocprim17ROCPRIM_400000_NS6detail17trampoline_kernelINS0_14default_configENS1_25partition_config_selectorILNS1_17partition_subalgoE6EdNS0_10empty_typeEbEEZZNS1_14partition_implILS5_6ELb0ES3_mN6thrust23THRUST_200600_302600_NS6detail15normal_iteratorINSA_10device_ptrIdEEEEPS6_SG_NS0_5tupleIJNSA_16discard_iteratorINSA_11use_defaultEEES6_EEENSH_IJSG_SG_EEES6_PlJNSB_9not_fun_tI7is_trueIdEEEEEE10hipError_tPvRmT3_T4_T5_T6_T7_T9_mT8_P12ihipStream_tbDpT10_ENKUlT_T0_E_clISt17integral_constantIbLb1EES1A_IbLb0EEEEDaS16_S17_EUlS16_E_NS1_11comp_targetILNS1_3genE5ELNS1_11target_archE942ELNS1_3gpuE9ELNS1_3repE0EEENS1_30default_config_static_selectorELNS0_4arch9wavefront6targetE0EEEvT1_.uses_flat_scratch, 0
	.set _ZN7rocprim17ROCPRIM_400000_NS6detail17trampoline_kernelINS0_14default_configENS1_25partition_config_selectorILNS1_17partition_subalgoE6EdNS0_10empty_typeEbEEZZNS1_14partition_implILS5_6ELb0ES3_mN6thrust23THRUST_200600_302600_NS6detail15normal_iteratorINSA_10device_ptrIdEEEEPS6_SG_NS0_5tupleIJNSA_16discard_iteratorINSA_11use_defaultEEES6_EEENSH_IJSG_SG_EEES6_PlJNSB_9not_fun_tI7is_trueIdEEEEEE10hipError_tPvRmT3_T4_T5_T6_T7_T9_mT8_P12ihipStream_tbDpT10_ENKUlT_T0_E_clISt17integral_constantIbLb1EES1A_IbLb0EEEEDaS16_S17_EUlS16_E_NS1_11comp_targetILNS1_3genE5ELNS1_11target_archE942ELNS1_3gpuE9ELNS1_3repE0EEENS1_30default_config_static_selectorELNS0_4arch9wavefront6targetE0EEEvT1_.has_dyn_sized_stack, 0
	.set _ZN7rocprim17ROCPRIM_400000_NS6detail17trampoline_kernelINS0_14default_configENS1_25partition_config_selectorILNS1_17partition_subalgoE6EdNS0_10empty_typeEbEEZZNS1_14partition_implILS5_6ELb0ES3_mN6thrust23THRUST_200600_302600_NS6detail15normal_iteratorINSA_10device_ptrIdEEEEPS6_SG_NS0_5tupleIJNSA_16discard_iteratorINSA_11use_defaultEEES6_EEENSH_IJSG_SG_EEES6_PlJNSB_9not_fun_tI7is_trueIdEEEEEE10hipError_tPvRmT3_T4_T5_T6_T7_T9_mT8_P12ihipStream_tbDpT10_ENKUlT_T0_E_clISt17integral_constantIbLb1EES1A_IbLb0EEEEDaS16_S17_EUlS16_E_NS1_11comp_targetILNS1_3genE5ELNS1_11target_archE942ELNS1_3gpuE9ELNS1_3repE0EEENS1_30default_config_static_selectorELNS0_4arch9wavefront6targetE0EEEvT1_.has_recursion, 0
	.set _ZN7rocprim17ROCPRIM_400000_NS6detail17trampoline_kernelINS0_14default_configENS1_25partition_config_selectorILNS1_17partition_subalgoE6EdNS0_10empty_typeEbEEZZNS1_14partition_implILS5_6ELb0ES3_mN6thrust23THRUST_200600_302600_NS6detail15normal_iteratorINSA_10device_ptrIdEEEEPS6_SG_NS0_5tupleIJNSA_16discard_iteratorINSA_11use_defaultEEES6_EEENSH_IJSG_SG_EEES6_PlJNSB_9not_fun_tI7is_trueIdEEEEEE10hipError_tPvRmT3_T4_T5_T6_T7_T9_mT8_P12ihipStream_tbDpT10_ENKUlT_T0_E_clISt17integral_constantIbLb1EES1A_IbLb0EEEEDaS16_S17_EUlS16_E_NS1_11comp_targetILNS1_3genE5ELNS1_11target_archE942ELNS1_3gpuE9ELNS1_3repE0EEENS1_30default_config_static_selectorELNS0_4arch9wavefront6targetE0EEEvT1_.has_indirect_call, 0
	.section	.AMDGPU.csdata,"",@progbits
; Kernel info:
; codeLenInByte = 0
; TotalNumSgprs: 0
; NumVgprs: 0
; ScratchSize: 0
; MemoryBound: 0
; FloatMode: 240
; IeeeMode: 1
; LDSByteSize: 0 bytes/workgroup (compile time only)
; SGPRBlocks: 0
; VGPRBlocks: 0
; NumSGPRsForWavesPerEU: 1
; NumVGPRsForWavesPerEU: 1
; Occupancy: 16
; WaveLimiterHint : 0
; COMPUTE_PGM_RSRC2:SCRATCH_EN: 0
; COMPUTE_PGM_RSRC2:USER_SGPR: 2
; COMPUTE_PGM_RSRC2:TRAP_HANDLER: 0
; COMPUTE_PGM_RSRC2:TGID_X_EN: 1
; COMPUTE_PGM_RSRC2:TGID_Y_EN: 0
; COMPUTE_PGM_RSRC2:TGID_Z_EN: 0
; COMPUTE_PGM_RSRC2:TIDIG_COMP_CNT: 0
	.section	.text._ZN7rocprim17ROCPRIM_400000_NS6detail17trampoline_kernelINS0_14default_configENS1_25partition_config_selectorILNS1_17partition_subalgoE6EdNS0_10empty_typeEbEEZZNS1_14partition_implILS5_6ELb0ES3_mN6thrust23THRUST_200600_302600_NS6detail15normal_iteratorINSA_10device_ptrIdEEEEPS6_SG_NS0_5tupleIJNSA_16discard_iteratorINSA_11use_defaultEEES6_EEENSH_IJSG_SG_EEES6_PlJNSB_9not_fun_tI7is_trueIdEEEEEE10hipError_tPvRmT3_T4_T5_T6_T7_T9_mT8_P12ihipStream_tbDpT10_ENKUlT_T0_E_clISt17integral_constantIbLb1EES1A_IbLb0EEEEDaS16_S17_EUlS16_E_NS1_11comp_targetILNS1_3genE4ELNS1_11target_archE910ELNS1_3gpuE8ELNS1_3repE0EEENS1_30default_config_static_selectorELNS0_4arch9wavefront6targetE0EEEvT1_,"axG",@progbits,_ZN7rocprim17ROCPRIM_400000_NS6detail17trampoline_kernelINS0_14default_configENS1_25partition_config_selectorILNS1_17partition_subalgoE6EdNS0_10empty_typeEbEEZZNS1_14partition_implILS5_6ELb0ES3_mN6thrust23THRUST_200600_302600_NS6detail15normal_iteratorINSA_10device_ptrIdEEEEPS6_SG_NS0_5tupleIJNSA_16discard_iteratorINSA_11use_defaultEEES6_EEENSH_IJSG_SG_EEES6_PlJNSB_9not_fun_tI7is_trueIdEEEEEE10hipError_tPvRmT3_T4_T5_T6_T7_T9_mT8_P12ihipStream_tbDpT10_ENKUlT_T0_E_clISt17integral_constantIbLb1EES1A_IbLb0EEEEDaS16_S17_EUlS16_E_NS1_11comp_targetILNS1_3genE4ELNS1_11target_archE910ELNS1_3gpuE8ELNS1_3repE0EEENS1_30default_config_static_selectorELNS0_4arch9wavefront6targetE0EEEvT1_,comdat
	.protected	_ZN7rocprim17ROCPRIM_400000_NS6detail17trampoline_kernelINS0_14default_configENS1_25partition_config_selectorILNS1_17partition_subalgoE6EdNS0_10empty_typeEbEEZZNS1_14partition_implILS5_6ELb0ES3_mN6thrust23THRUST_200600_302600_NS6detail15normal_iteratorINSA_10device_ptrIdEEEEPS6_SG_NS0_5tupleIJNSA_16discard_iteratorINSA_11use_defaultEEES6_EEENSH_IJSG_SG_EEES6_PlJNSB_9not_fun_tI7is_trueIdEEEEEE10hipError_tPvRmT3_T4_T5_T6_T7_T9_mT8_P12ihipStream_tbDpT10_ENKUlT_T0_E_clISt17integral_constantIbLb1EES1A_IbLb0EEEEDaS16_S17_EUlS16_E_NS1_11comp_targetILNS1_3genE4ELNS1_11target_archE910ELNS1_3gpuE8ELNS1_3repE0EEENS1_30default_config_static_selectorELNS0_4arch9wavefront6targetE0EEEvT1_ ; -- Begin function _ZN7rocprim17ROCPRIM_400000_NS6detail17trampoline_kernelINS0_14default_configENS1_25partition_config_selectorILNS1_17partition_subalgoE6EdNS0_10empty_typeEbEEZZNS1_14partition_implILS5_6ELb0ES3_mN6thrust23THRUST_200600_302600_NS6detail15normal_iteratorINSA_10device_ptrIdEEEEPS6_SG_NS0_5tupleIJNSA_16discard_iteratorINSA_11use_defaultEEES6_EEENSH_IJSG_SG_EEES6_PlJNSB_9not_fun_tI7is_trueIdEEEEEE10hipError_tPvRmT3_T4_T5_T6_T7_T9_mT8_P12ihipStream_tbDpT10_ENKUlT_T0_E_clISt17integral_constantIbLb1EES1A_IbLb0EEEEDaS16_S17_EUlS16_E_NS1_11comp_targetILNS1_3genE4ELNS1_11target_archE910ELNS1_3gpuE8ELNS1_3repE0EEENS1_30default_config_static_selectorELNS0_4arch9wavefront6targetE0EEEvT1_
	.globl	_ZN7rocprim17ROCPRIM_400000_NS6detail17trampoline_kernelINS0_14default_configENS1_25partition_config_selectorILNS1_17partition_subalgoE6EdNS0_10empty_typeEbEEZZNS1_14partition_implILS5_6ELb0ES3_mN6thrust23THRUST_200600_302600_NS6detail15normal_iteratorINSA_10device_ptrIdEEEEPS6_SG_NS0_5tupleIJNSA_16discard_iteratorINSA_11use_defaultEEES6_EEENSH_IJSG_SG_EEES6_PlJNSB_9not_fun_tI7is_trueIdEEEEEE10hipError_tPvRmT3_T4_T5_T6_T7_T9_mT8_P12ihipStream_tbDpT10_ENKUlT_T0_E_clISt17integral_constantIbLb1EES1A_IbLb0EEEEDaS16_S17_EUlS16_E_NS1_11comp_targetILNS1_3genE4ELNS1_11target_archE910ELNS1_3gpuE8ELNS1_3repE0EEENS1_30default_config_static_selectorELNS0_4arch9wavefront6targetE0EEEvT1_
	.p2align	8
	.type	_ZN7rocprim17ROCPRIM_400000_NS6detail17trampoline_kernelINS0_14default_configENS1_25partition_config_selectorILNS1_17partition_subalgoE6EdNS0_10empty_typeEbEEZZNS1_14partition_implILS5_6ELb0ES3_mN6thrust23THRUST_200600_302600_NS6detail15normal_iteratorINSA_10device_ptrIdEEEEPS6_SG_NS0_5tupleIJNSA_16discard_iteratorINSA_11use_defaultEEES6_EEENSH_IJSG_SG_EEES6_PlJNSB_9not_fun_tI7is_trueIdEEEEEE10hipError_tPvRmT3_T4_T5_T6_T7_T9_mT8_P12ihipStream_tbDpT10_ENKUlT_T0_E_clISt17integral_constantIbLb1EES1A_IbLb0EEEEDaS16_S17_EUlS16_E_NS1_11comp_targetILNS1_3genE4ELNS1_11target_archE910ELNS1_3gpuE8ELNS1_3repE0EEENS1_30default_config_static_selectorELNS0_4arch9wavefront6targetE0EEEvT1_,@function
_ZN7rocprim17ROCPRIM_400000_NS6detail17trampoline_kernelINS0_14default_configENS1_25partition_config_selectorILNS1_17partition_subalgoE6EdNS0_10empty_typeEbEEZZNS1_14partition_implILS5_6ELb0ES3_mN6thrust23THRUST_200600_302600_NS6detail15normal_iteratorINSA_10device_ptrIdEEEEPS6_SG_NS0_5tupleIJNSA_16discard_iteratorINSA_11use_defaultEEES6_EEENSH_IJSG_SG_EEES6_PlJNSB_9not_fun_tI7is_trueIdEEEEEE10hipError_tPvRmT3_T4_T5_T6_T7_T9_mT8_P12ihipStream_tbDpT10_ENKUlT_T0_E_clISt17integral_constantIbLb1EES1A_IbLb0EEEEDaS16_S17_EUlS16_E_NS1_11comp_targetILNS1_3genE4ELNS1_11target_archE910ELNS1_3gpuE8ELNS1_3repE0EEENS1_30default_config_static_selectorELNS0_4arch9wavefront6targetE0EEEvT1_: ; @_ZN7rocprim17ROCPRIM_400000_NS6detail17trampoline_kernelINS0_14default_configENS1_25partition_config_selectorILNS1_17partition_subalgoE6EdNS0_10empty_typeEbEEZZNS1_14partition_implILS5_6ELb0ES3_mN6thrust23THRUST_200600_302600_NS6detail15normal_iteratorINSA_10device_ptrIdEEEEPS6_SG_NS0_5tupleIJNSA_16discard_iteratorINSA_11use_defaultEEES6_EEENSH_IJSG_SG_EEES6_PlJNSB_9not_fun_tI7is_trueIdEEEEEE10hipError_tPvRmT3_T4_T5_T6_T7_T9_mT8_P12ihipStream_tbDpT10_ENKUlT_T0_E_clISt17integral_constantIbLb1EES1A_IbLb0EEEEDaS16_S17_EUlS16_E_NS1_11comp_targetILNS1_3genE4ELNS1_11target_archE910ELNS1_3gpuE8ELNS1_3repE0EEENS1_30default_config_static_selectorELNS0_4arch9wavefront6targetE0EEEvT1_
; %bb.0:
	.section	.rodata,"a",@progbits
	.p2align	6, 0x0
	.amdhsa_kernel _ZN7rocprim17ROCPRIM_400000_NS6detail17trampoline_kernelINS0_14default_configENS1_25partition_config_selectorILNS1_17partition_subalgoE6EdNS0_10empty_typeEbEEZZNS1_14partition_implILS5_6ELb0ES3_mN6thrust23THRUST_200600_302600_NS6detail15normal_iteratorINSA_10device_ptrIdEEEEPS6_SG_NS0_5tupleIJNSA_16discard_iteratorINSA_11use_defaultEEES6_EEENSH_IJSG_SG_EEES6_PlJNSB_9not_fun_tI7is_trueIdEEEEEE10hipError_tPvRmT3_T4_T5_T6_T7_T9_mT8_P12ihipStream_tbDpT10_ENKUlT_T0_E_clISt17integral_constantIbLb1EES1A_IbLb0EEEEDaS16_S17_EUlS16_E_NS1_11comp_targetILNS1_3genE4ELNS1_11target_archE910ELNS1_3gpuE8ELNS1_3repE0EEENS1_30default_config_static_selectorELNS0_4arch9wavefront6targetE0EEEvT1_
		.amdhsa_group_segment_fixed_size 0
		.amdhsa_private_segment_fixed_size 0
		.amdhsa_kernarg_size 120
		.amdhsa_user_sgpr_count 2
		.amdhsa_user_sgpr_dispatch_ptr 0
		.amdhsa_user_sgpr_queue_ptr 0
		.amdhsa_user_sgpr_kernarg_segment_ptr 1
		.amdhsa_user_sgpr_dispatch_id 0
		.amdhsa_user_sgpr_private_segment_size 0
		.amdhsa_wavefront_size32 1
		.amdhsa_uses_dynamic_stack 0
		.amdhsa_enable_private_segment 0
		.amdhsa_system_sgpr_workgroup_id_x 1
		.amdhsa_system_sgpr_workgroup_id_y 0
		.amdhsa_system_sgpr_workgroup_id_z 0
		.amdhsa_system_sgpr_workgroup_info 0
		.amdhsa_system_vgpr_workitem_id 0
		.amdhsa_next_free_vgpr 1
		.amdhsa_next_free_sgpr 1
		.amdhsa_reserve_vcc 0
		.amdhsa_float_round_mode_32 0
		.amdhsa_float_round_mode_16_64 0
		.amdhsa_float_denorm_mode_32 3
		.amdhsa_float_denorm_mode_16_64 3
		.amdhsa_fp16_overflow 0
		.amdhsa_workgroup_processor_mode 1
		.amdhsa_memory_ordered 1
		.amdhsa_forward_progress 1
		.amdhsa_inst_pref_size 0
		.amdhsa_round_robin_scheduling 0
		.amdhsa_exception_fp_ieee_invalid_op 0
		.amdhsa_exception_fp_denorm_src 0
		.amdhsa_exception_fp_ieee_div_zero 0
		.amdhsa_exception_fp_ieee_overflow 0
		.amdhsa_exception_fp_ieee_underflow 0
		.amdhsa_exception_fp_ieee_inexact 0
		.amdhsa_exception_int_div_zero 0
	.end_amdhsa_kernel
	.section	.text._ZN7rocprim17ROCPRIM_400000_NS6detail17trampoline_kernelINS0_14default_configENS1_25partition_config_selectorILNS1_17partition_subalgoE6EdNS0_10empty_typeEbEEZZNS1_14partition_implILS5_6ELb0ES3_mN6thrust23THRUST_200600_302600_NS6detail15normal_iteratorINSA_10device_ptrIdEEEEPS6_SG_NS0_5tupleIJNSA_16discard_iteratorINSA_11use_defaultEEES6_EEENSH_IJSG_SG_EEES6_PlJNSB_9not_fun_tI7is_trueIdEEEEEE10hipError_tPvRmT3_T4_T5_T6_T7_T9_mT8_P12ihipStream_tbDpT10_ENKUlT_T0_E_clISt17integral_constantIbLb1EES1A_IbLb0EEEEDaS16_S17_EUlS16_E_NS1_11comp_targetILNS1_3genE4ELNS1_11target_archE910ELNS1_3gpuE8ELNS1_3repE0EEENS1_30default_config_static_selectorELNS0_4arch9wavefront6targetE0EEEvT1_,"axG",@progbits,_ZN7rocprim17ROCPRIM_400000_NS6detail17trampoline_kernelINS0_14default_configENS1_25partition_config_selectorILNS1_17partition_subalgoE6EdNS0_10empty_typeEbEEZZNS1_14partition_implILS5_6ELb0ES3_mN6thrust23THRUST_200600_302600_NS6detail15normal_iteratorINSA_10device_ptrIdEEEEPS6_SG_NS0_5tupleIJNSA_16discard_iteratorINSA_11use_defaultEEES6_EEENSH_IJSG_SG_EEES6_PlJNSB_9not_fun_tI7is_trueIdEEEEEE10hipError_tPvRmT3_T4_T5_T6_T7_T9_mT8_P12ihipStream_tbDpT10_ENKUlT_T0_E_clISt17integral_constantIbLb1EES1A_IbLb0EEEEDaS16_S17_EUlS16_E_NS1_11comp_targetILNS1_3genE4ELNS1_11target_archE910ELNS1_3gpuE8ELNS1_3repE0EEENS1_30default_config_static_selectorELNS0_4arch9wavefront6targetE0EEEvT1_,comdat
.Lfunc_end2095:
	.size	_ZN7rocprim17ROCPRIM_400000_NS6detail17trampoline_kernelINS0_14default_configENS1_25partition_config_selectorILNS1_17partition_subalgoE6EdNS0_10empty_typeEbEEZZNS1_14partition_implILS5_6ELb0ES3_mN6thrust23THRUST_200600_302600_NS6detail15normal_iteratorINSA_10device_ptrIdEEEEPS6_SG_NS0_5tupleIJNSA_16discard_iteratorINSA_11use_defaultEEES6_EEENSH_IJSG_SG_EEES6_PlJNSB_9not_fun_tI7is_trueIdEEEEEE10hipError_tPvRmT3_T4_T5_T6_T7_T9_mT8_P12ihipStream_tbDpT10_ENKUlT_T0_E_clISt17integral_constantIbLb1EES1A_IbLb0EEEEDaS16_S17_EUlS16_E_NS1_11comp_targetILNS1_3genE4ELNS1_11target_archE910ELNS1_3gpuE8ELNS1_3repE0EEENS1_30default_config_static_selectorELNS0_4arch9wavefront6targetE0EEEvT1_, .Lfunc_end2095-_ZN7rocprim17ROCPRIM_400000_NS6detail17trampoline_kernelINS0_14default_configENS1_25partition_config_selectorILNS1_17partition_subalgoE6EdNS0_10empty_typeEbEEZZNS1_14partition_implILS5_6ELb0ES3_mN6thrust23THRUST_200600_302600_NS6detail15normal_iteratorINSA_10device_ptrIdEEEEPS6_SG_NS0_5tupleIJNSA_16discard_iteratorINSA_11use_defaultEEES6_EEENSH_IJSG_SG_EEES6_PlJNSB_9not_fun_tI7is_trueIdEEEEEE10hipError_tPvRmT3_T4_T5_T6_T7_T9_mT8_P12ihipStream_tbDpT10_ENKUlT_T0_E_clISt17integral_constantIbLb1EES1A_IbLb0EEEEDaS16_S17_EUlS16_E_NS1_11comp_targetILNS1_3genE4ELNS1_11target_archE910ELNS1_3gpuE8ELNS1_3repE0EEENS1_30default_config_static_selectorELNS0_4arch9wavefront6targetE0EEEvT1_
                                        ; -- End function
	.set _ZN7rocprim17ROCPRIM_400000_NS6detail17trampoline_kernelINS0_14default_configENS1_25partition_config_selectorILNS1_17partition_subalgoE6EdNS0_10empty_typeEbEEZZNS1_14partition_implILS5_6ELb0ES3_mN6thrust23THRUST_200600_302600_NS6detail15normal_iteratorINSA_10device_ptrIdEEEEPS6_SG_NS0_5tupleIJNSA_16discard_iteratorINSA_11use_defaultEEES6_EEENSH_IJSG_SG_EEES6_PlJNSB_9not_fun_tI7is_trueIdEEEEEE10hipError_tPvRmT3_T4_T5_T6_T7_T9_mT8_P12ihipStream_tbDpT10_ENKUlT_T0_E_clISt17integral_constantIbLb1EES1A_IbLb0EEEEDaS16_S17_EUlS16_E_NS1_11comp_targetILNS1_3genE4ELNS1_11target_archE910ELNS1_3gpuE8ELNS1_3repE0EEENS1_30default_config_static_selectorELNS0_4arch9wavefront6targetE0EEEvT1_.num_vgpr, 0
	.set _ZN7rocprim17ROCPRIM_400000_NS6detail17trampoline_kernelINS0_14default_configENS1_25partition_config_selectorILNS1_17partition_subalgoE6EdNS0_10empty_typeEbEEZZNS1_14partition_implILS5_6ELb0ES3_mN6thrust23THRUST_200600_302600_NS6detail15normal_iteratorINSA_10device_ptrIdEEEEPS6_SG_NS0_5tupleIJNSA_16discard_iteratorINSA_11use_defaultEEES6_EEENSH_IJSG_SG_EEES6_PlJNSB_9not_fun_tI7is_trueIdEEEEEE10hipError_tPvRmT3_T4_T5_T6_T7_T9_mT8_P12ihipStream_tbDpT10_ENKUlT_T0_E_clISt17integral_constantIbLb1EES1A_IbLb0EEEEDaS16_S17_EUlS16_E_NS1_11comp_targetILNS1_3genE4ELNS1_11target_archE910ELNS1_3gpuE8ELNS1_3repE0EEENS1_30default_config_static_selectorELNS0_4arch9wavefront6targetE0EEEvT1_.num_agpr, 0
	.set _ZN7rocprim17ROCPRIM_400000_NS6detail17trampoline_kernelINS0_14default_configENS1_25partition_config_selectorILNS1_17partition_subalgoE6EdNS0_10empty_typeEbEEZZNS1_14partition_implILS5_6ELb0ES3_mN6thrust23THRUST_200600_302600_NS6detail15normal_iteratorINSA_10device_ptrIdEEEEPS6_SG_NS0_5tupleIJNSA_16discard_iteratorINSA_11use_defaultEEES6_EEENSH_IJSG_SG_EEES6_PlJNSB_9not_fun_tI7is_trueIdEEEEEE10hipError_tPvRmT3_T4_T5_T6_T7_T9_mT8_P12ihipStream_tbDpT10_ENKUlT_T0_E_clISt17integral_constantIbLb1EES1A_IbLb0EEEEDaS16_S17_EUlS16_E_NS1_11comp_targetILNS1_3genE4ELNS1_11target_archE910ELNS1_3gpuE8ELNS1_3repE0EEENS1_30default_config_static_selectorELNS0_4arch9wavefront6targetE0EEEvT1_.numbered_sgpr, 0
	.set _ZN7rocprim17ROCPRIM_400000_NS6detail17trampoline_kernelINS0_14default_configENS1_25partition_config_selectorILNS1_17partition_subalgoE6EdNS0_10empty_typeEbEEZZNS1_14partition_implILS5_6ELb0ES3_mN6thrust23THRUST_200600_302600_NS6detail15normal_iteratorINSA_10device_ptrIdEEEEPS6_SG_NS0_5tupleIJNSA_16discard_iteratorINSA_11use_defaultEEES6_EEENSH_IJSG_SG_EEES6_PlJNSB_9not_fun_tI7is_trueIdEEEEEE10hipError_tPvRmT3_T4_T5_T6_T7_T9_mT8_P12ihipStream_tbDpT10_ENKUlT_T0_E_clISt17integral_constantIbLb1EES1A_IbLb0EEEEDaS16_S17_EUlS16_E_NS1_11comp_targetILNS1_3genE4ELNS1_11target_archE910ELNS1_3gpuE8ELNS1_3repE0EEENS1_30default_config_static_selectorELNS0_4arch9wavefront6targetE0EEEvT1_.num_named_barrier, 0
	.set _ZN7rocprim17ROCPRIM_400000_NS6detail17trampoline_kernelINS0_14default_configENS1_25partition_config_selectorILNS1_17partition_subalgoE6EdNS0_10empty_typeEbEEZZNS1_14partition_implILS5_6ELb0ES3_mN6thrust23THRUST_200600_302600_NS6detail15normal_iteratorINSA_10device_ptrIdEEEEPS6_SG_NS0_5tupleIJNSA_16discard_iteratorINSA_11use_defaultEEES6_EEENSH_IJSG_SG_EEES6_PlJNSB_9not_fun_tI7is_trueIdEEEEEE10hipError_tPvRmT3_T4_T5_T6_T7_T9_mT8_P12ihipStream_tbDpT10_ENKUlT_T0_E_clISt17integral_constantIbLb1EES1A_IbLb0EEEEDaS16_S17_EUlS16_E_NS1_11comp_targetILNS1_3genE4ELNS1_11target_archE910ELNS1_3gpuE8ELNS1_3repE0EEENS1_30default_config_static_selectorELNS0_4arch9wavefront6targetE0EEEvT1_.private_seg_size, 0
	.set _ZN7rocprim17ROCPRIM_400000_NS6detail17trampoline_kernelINS0_14default_configENS1_25partition_config_selectorILNS1_17partition_subalgoE6EdNS0_10empty_typeEbEEZZNS1_14partition_implILS5_6ELb0ES3_mN6thrust23THRUST_200600_302600_NS6detail15normal_iteratorINSA_10device_ptrIdEEEEPS6_SG_NS0_5tupleIJNSA_16discard_iteratorINSA_11use_defaultEEES6_EEENSH_IJSG_SG_EEES6_PlJNSB_9not_fun_tI7is_trueIdEEEEEE10hipError_tPvRmT3_T4_T5_T6_T7_T9_mT8_P12ihipStream_tbDpT10_ENKUlT_T0_E_clISt17integral_constantIbLb1EES1A_IbLb0EEEEDaS16_S17_EUlS16_E_NS1_11comp_targetILNS1_3genE4ELNS1_11target_archE910ELNS1_3gpuE8ELNS1_3repE0EEENS1_30default_config_static_selectorELNS0_4arch9wavefront6targetE0EEEvT1_.uses_vcc, 0
	.set _ZN7rocprim17ROCPRIM_400000_NS6detail17trampoline_kernelINS0_14default_configENS1_25partition_config_selectorILNS1_17partition_subalgoE6EdNS0_10empty_typeEbEEZZNS1_14partition_implILS5_6ELb0ES3_mN6thrust23THRUST_200600_302600_NS6detail15normal_iteratorINSA_10device_ptrIdEEEEPS6_SG_NS0_5tupleIJNSA_16discard_iteratorINSA_11use_defaultEEES6_EEENSH_IJSG_SG_EEES6_PlJNSB_9not_fun_tI7is_trueIdEEEEEE10hipError_tPvRmT3_T4_T5_T6_T7_T9_mT8_P12ihipStream_tbDpT10_ENKUlT_T0_E_clISt17integral_constantIbLb1EES1A_IbLb0EEEEDaS16_S17_EUlS16_E_NS1_11comp_targetILNS1_3genE4ELNS1_11target_archE910ELNS1_3gpuE8ELNS1_3repE0EEENS1_30default_config_static_selectorELNS0_4arch9wavefront6targetE0EEEvT1_.uses_flat_scratch, 0
	.set _ZN7rocprim17ROCPRIM_400000_NS6detail17trampoline_kernelINS0_14default_configENS1_25partition_config_selectorILNS1_17partition_subalgoE6EdNS0_10empty_typeEbEEZZNS1_14partition_implILS5_6ELb0ES3_mN6thrust23THRUST_200600_302600_NS6detail15normal_iteratorINSA_10device_ptrIdEEEEPS6_SG_NS0_5tupleIJNSA_16discard_iteratorINSA_11use_defaultEEES6_EEENSH_IJSG_SG_EEES6_PlJNSB_9not_fun_tI7is_trueIdEEEEEE10hipError_tPvRmT3_T4_T5_T6_T7_T9_mT8_P12ihipStream_tbDpT10_ENKUlT_T0_E_clISt17integral_constantIbLb1EES1A_IbLb0EEEEDaS16_S17_EUlS16_E_NS1_11comp_targetILNS1_3genE4ELNS1_11target_archE910ELNS1_3gpuE8ELNS1_3repE0EEENS1_30default_config_static_selectorELNS0_4arch9wavefront6targetE0EEEvT1_.has_dyn_sized_stack, 0
	.set _ZN7rocprim17ROCPRIM_400000_NS6detail17trampoline_kernelINS0_14default_configENS1_25partition_config_selectorILNS1_17partition_subalgoE6EdNS0_10empty_typeEbEEZZNS1_14partition_implILS5_6ELb0ES3_mN6thrust23THRUST_200600_302600_NS6detail15normal_iteratorINSA_10device_ptrIdEEEEPS6_SG_NS0_5tupleIJNSA_16discard_iteratorINSA_11use_defaultEEES6_EEENSH_IJSG_SG_EEES6_PlJNSB_9not_fun_tI7is_trueIdEEEEEE10hipError_tPvRmT3_T4_T5_T6_T7_T9_mT8_P12ihipStream_tbDpT10_ENKUlT_T0_E_clISt17integral_constantIbLb1EES1A_IbLb0EEEEDaS16_S17_EUlS16_E_NS1_11comp_targetILNS1_3genE4ELNS1_11target_archE910ELNS1_3gpuE8ELNS1_3repE0EEENS1_30default_config_static_selectorELNS0_4arch9wavefront6targetE0EEEvT1_.has_recursion, 0
	.set _ZN7rocprim17ROCPRIM_400000_NS6detail17trampoline_kernelINS0_14default_configENS1_25partition_config_selectorILNS1_17partition_subalgoE6EdNS0_10empty_typeEbEEZZNS1_14partition_implILS5_6ELb0ES3_mN6thrust23THRUST_200600_302600_NS6detail15normal_iteratorINSA_10device_ptrIdEEEEPS6_SG_NS0_5tupleIJNSA_16discard_iteratorINSA_11use_defaultEEES6_EEENSH_IJSG_SG_EEES6_PlJNSB_9not_fun_tI7is_trueIdEEEEEE10hipError_tPvRmT3_T4_T5_T6_T7_T9_mT8_P12ihipStream_tbDpT10_ENKUlT_T0_E_clISt17integral_constantIbLb1EES1A_IbLb0EEEEDaS16_S17_EUlS16_E_NS1_11comp_targetILNS1_3genE4ELNS1_11target_archE910ELNS1_3gpuE8ELNS1_3repE0EEENS1_30default_config_static_selectorELNS0_4arch9wavefront6targetE0EEEvT1_.has_indirect_call, 0
	.section	.AMDGPU.csdata,"",@progbits
; Kernel info:
; codeLenInByte = 0
; TotalNumSgprs: 0
; NumVgprs: 0
; ScratchSize: 0
; MemoryBound: 0
; FloatMode: 240
; IeeeMode: 1
; LDSByteSize: 0 bytes/workgroup (compile time only)
; SGPRBlocks: 0
; VGPRBlocks: 0
; NumSGPRsForWavesPerEU: 1
; NumVGPRsForWavesPerEU: 1
; Occupancy: 16
; WaveLimiterHint : 0
; COMPUTE_PGM_RSRC2:SCRATCH_EN: 0
; COMPUTE_PGM_RSRC2:USER_SGPR: 2
; COMPUTE_PGM_RSRC2:TRAP_HANDLER: 0
; COMPUTE_PGM_RSRC2:TGID_X_EN: 1
; COMPUTE_PGM_RSRC2:TGID_Y_EN: 0
; COMPUTE_PGM_RSRC2:TGID_Z_EN: 0
; COMPUTE_PGM_RSRC2:TIDIG_COMP_CNT: 0
	.section	.text._ZN7rocprim17ROCPRIM_400000_NS6detail17trampoline_kernelINS0_14default_configENS1_25partition_config_selectorILNS1_17partition_subalgoE6EdNS0_10empty_typeEbEEZZNS1_14partition_implILS5_6ELb0ES3_mN6thrust23THRUST_200600_302600_NS6detail15normal_iteratorINSA_10device_ptrIdEEEEPS6_SG_NS0_5tupleIJNSA_16discard_iteratorINSA_11use_defaultEEES6_EEENSH_IJSG_SG_EEES6_PlJNSB_9not_fun_tI7is_trueIdEEEEEE10hipError_tPvRmT3_T4_T5_T6_T7_T9_mT8_P12ihipStream_tbDpT10_ENKUlT_T0_E_clISt17integral_constantIbLb1EES1A_IbLb0EEEEDaS16_S17_EUlS16_E_NS1_11comp_targetILNS1_3genE3ELNS1_11target_archE908ELNS1_3gpuE7ELNS1_3repE0EEENS1_30default_config_static_selectorELNS0_4arch9wavefront6targetE0EEEvT1_,"axG",@progbits,_ZN7rocprim17ROCPRIM_400000_NS6detail17trampoline_kernelINS0_14default_configENS1_25partition_config_selectorILNS1_17partition_subalgoE6EdNS0_10empty_typeEbEEZZNS1_14partition_implILS5_6ELb0ES3_mN6thrust23THRUST_200600_302600_NS6detail15normal_iteratorINSA_10device_ptrIdEEEEPS6_SG_NS0_5tupleIJNSA_16discard_iteratorINSA_11use_defaultEEES6_EEENSH_IJSG_SG_EEES6_PlJNSB_9not_fun_tI7is_trueIdEEEEEE10hipError_tPvRmT3_T4_T5_T6_T7_T9_mT8_P12ihipStream_tbDpT10_ENKUlT_T0_E_clISt17integral_constantIbLb1EES1A_IbLb0EEEEDaS16_S17_EUlS16_E_NS1_11comp_targetILNS1_3genE3ELNS1_11target_archE908ELNS1_3gpuE7ELNS1_3repE0EEENS1_30default_config_static_selectorELNS0_4arch9wavefront6targetE0EEEvT1_,comdat
	.protected	_ZN7rocprim17ROCPRIM_400000_NS6detail17trampoline_kernelINS0_14default_configENS1_25partition_config_selectorILNS1_17partition_subalgoE6EdNS0_10empty_typeEbEEZZNS1_14partition_implILS5_6ELb0ES3_mN6thrust23THRUST_200600_302600_NS6detail15normal_iteratorINSA_10device_ptrIdEEEEPS6_SG_NS0_5tupleIJNSA_16discard_iteratorINSA_11use_defaultEEES6_EEENSH_IJSG_SG_EEES6_PlJNSB_9not_fun_tI7is_trueIdEEEEEE10hipError_tPvRmT3_T4_T5_T6_T7_T9_mT8_P12ihipStream_tbDpT10_ENKUlT_T0_E_clISt17integral_constantIbLb1EES1A_IbLb0EEEEDaS16_S17_EUlS16_E_NS1_11comp_targetILNS1_3genE3ELNS1_11target_archE908ELNS1_3gpuE7ELNS1_3repE0EEENS1_30default_config_static_selectorELNS0_4arch9wavefront6targetE0EEEvT1_ ; -- Begin function _ZN7rocprim17ROCPRIM_400000_NS6detail17trampoline_kernelINS0_14default_configENS1_25partition_config_selectorILNS1_17partition_subalgoE6EdNS0_10empty_typeEbEEZZNS1_14partition_implILS5_6ELb0ES3_mN6thrust23THRUST_200600_302600_NS6detail15normal_iteratorINSA_10device_ptrIdEEEEPS6_SG_NS0_5tupleIJNSA_16discard_iteratorINSA_11use_defaultEEES6_EEENSH_IJSG_SG_EEES6_PlJNSB_9not_fun_tI7is_trueIdEEEEEE10hipError_tPvRmT3_T4_T5_T6_T7_T9_mT8_P12ihipStream_tbDpT10_ENKUlT_T0_E_clISt17integral_constantIbLb1EES1A_IbLb0EEEEDaS16_S17_EUlS16_E_NS1_11comp_targetILNS1_3genE3ELNS1_11target_archE908ELNS1_3gpuE7ELNS1_3repE0EEENS1_30default_config_static_selectorELNS0_4arch9wavefront6targetE0EEEvT1_
	.globl	_ZN7rocprim17ROCPRIM_400000_NS6detail17trampoline_kernelINS0_14default_configENS1_25partition_config_selectorILNS1_17partition_subalgoE6EdNS0_10empty_typeEbEEZZNS1_14partition_implILS5_6ELb0ES3_mN6thrust23THRUST_200600_302600_NS6detail15normal_iteratorINSA_10device_ptrIdEEEEPS6_SG_NS0_5tupleIJNSA_16discard_iteratorINSA_11use_defaultEEES6_EEENSH_IJSG_SG_EEES6_PlJNSB_9not_fun_tI7is_trueIdEEEEEE10hipError_tPvRmT3_T4_T5_T6_T7_T9_mT8_P12ihipStream_tbDpT10_ENKUlT_T0_E_clISt17integral_constantIbLb1EES1A_IbLb0EEEEDaS16_S17_EUlS16_E_NS1_11comp_targetILNS1_3genE3ELNS1_11target_archE908ELNS1_3gpuE7ELNS1_3repE0EEENS1_30default_config_static_selectorELNS0_4arch9wavefront6targetE0EEEvT1_
	.p2align	8
	.type	_ZN7rocprim17ROCPRIM_400000_NS6detail17trampoline_kernelINS0_14default_configENS1_25partition_config_selectorILNS1_17partition_subalgoE6EdNS0_10empty_typeEbEEZZNS1_14partition_implILS5_6ELb0ES3_mN6thrust23THRUST_200600_302600_NS6detail15normal_iteratorINSA_10device_ptrIdEEEEPS6_SG_NS0_5tupleIJNSA_16discard_iteratorINSA_11use_defaultEEES6_EEENSH_IJSG_SG_EEES6_PlJNSB_9not_fun_tI7is_trueIdEEEEEE10hipError_tPvRmT3_T4_T5_T6_T7_T9_mT8_P12ihipStream_tbDpT10_ENKUlT_T0_E_clISt17integral_constantIbLb1EES1A_IbLb0EEEEDaS16_S17_EUlS16_E_NS1_11comp_targetILNS1_3genE3ELNS1_11target_archE908ELNS1_3gpuE7ELNS1_3repE0EEENS1_30default_config_static_selectorELNS0_4arch9wavefront6targetE0EEEvT1_,@function
_ZN7rocprim17ROCPRIM_400000_NS6detail17trampoline_kernelINS0_14default_configENS1_25partition_config_selectorILNS1_17partition_subalgoE6EdNS0_10empty_typeEbEEZZNS1_14partition_implILS5_6ELb0ES3_mN6thrust23THRUST_200600_302600_NS6detail15normal_iteratorINSA_10device_ptrIdEEEEPS6_SG_NS0_5tupleIJNSA_16discard_iteratorINSA_11use_defaultEEES6_EEENSH_IJSG_SG_EEES6_PlJNSB_9not_fun_tI7is_trueIdEEEEEE10hipError_tPvRmT3_T4_T5_T6_T7_T9_mT8_P12ihipStream_tbDpT10_ENKUlT_T0_E_clISt17integral_constantIbLb1EES1A_IbLb0EEEEDaS16_S17_EUlS16_E_NS1_11comp_targetILNS1_3genE3ELNS1_11target_archE908ELNS1_3gpuE7ELNS1_3repE0EEENS1_30default_config_static_selectorELNS0_4arch9wavefront6targetE0EEEvT1_: ; @_ZN7rocprim17ROCPRIM_400000_NS6detail17trampoline_kernelINS0_14default_configENS1_25partition_config_selectorILNS1_17partition_subalgoE6EdNS0_10empty_typeEbEEZZNS1_14partition_implILS5_6ELb0ES3_mN6thrust23THRUST_200600_302600_NS6detail15normal_iteratorINSA_10device_ptrIdEEEEPS6_SG_NS0_5tupleIJNSA_16discard_iteratorINSA_11use_defaultEEES6_EEENSH_IJSG_SG_EEES6_PlJNSB_9not_fun_tI7is_trueIdEEEEEE10hipError_tPvRmT3_T4_T5_T6_T7_T9_mT8_P12ihipStream_tbDpT10_ENKUlT_T0_E_clISt17integral_constantIbLb1EES1A_IbLb0EEEEDaS16_S17_EUlS16_E_NS1_11comp_targetILNS1_3genE3ELNS1_11target_archE908ELNS1_3gpuE7ELNS1_3repE0EEENS1_30default_config_static_selectorELNS0_4arch9wavefront6targetE0EEEvT1_
; %bb.0:
	.section	.rodata,"a",@progbits
	.p2align	6, 0x0
	.amdhsa_kernel _ZN7rocprim17ROCPRIM_400000_NS6detail17trampoline_kernelINS0_14default_configENS1_25partition_config_selectorILNS1_17partition_subalgoE6EdNS0_10empty_typeEbEEZZNS1_14partition_implILS5_6ELb0ES3_mN6thrust23THRUST_200600_302600_NS6detail15normal_iteratorINSA_10device_ptrIdEEEEPS6_SG_NS0_5tupleIJNSA_16discard_iteratorINSA_11use_defaultEEES6_EEENSH_IJSG_SG_EEES6_PlJNSB_9not_fun_tI7is_trueIdEEEEEE10hipError_tPvRmT3_T4_T5_T6_T7_T9_mT8_P12ihipStream_tbDpT10_ENKUlT_T0_E_clISt17integral_constantIbLb1EES1A_IbLb0EEEEDaS16_S17_EUlS16_E_NS1_11comp_targetILNS1_3genE3ELNS1_11target_archE908ELNS1_3gpuE7ELNS1_3repE0EEENS1_30default_config_static_selectorELNS0_4arch9wavefront6targetE0EEEvT1_
		.amdhsa_group_segment_fixed_size 0
		.amdhsa_private_segment_fixed_size 0
		.amdhsa_kernarg_size 120
		.amdhsa_user_sgpr_count 2
		.amdhsa_user_sgpr_dispatch_ptr 0
		.amdhsa_user_sgpr_queue_ptr 0
		.amdhsa_user_sgpr_kernarg_segment_ptr 1
		.amdhsa_user_sgpr_dispatch_id 0
		.amdhsa_user_sgpr_private_segment_size 0
		.amdhsa_wavefront_size32 1
		.amdhsa_uses_dynamic_stack 0
		.amdhsa_enable_private_segment 0
		.amdhsa_system_sgpr_workgroup_id_x 1
		.amdhsa_system_sgpr_workgroup_id_y 0
		.amdhsa_system_sgpr_workgroup_id_z 0
		.amdhsa_system_sgpr_workgroup_info 0
		.amdhsa_system_vgpr_workitem_id 0
		.amdhsa_next_free_vgpr 1
		.amdhsa_next_free_sgpr 1
		.amdhsa_reserve_vcc 0
		.amdhsa_float_round_mode_32 0
		.amdhsa_float_round_mode_16_64 0
		.amdhsa_float_denorm_mode_32 3
		.amdhsa_float_denorm_mode_16_64 3
		.amdhsa_fp16_overflow 0
		.amdhsa_workgroup_processor_mode 1
		.amdhsa_memory_ordered 1
		.amdhsa_forward_progress 1
		.amdhsa_inst_pref_size 0
		.amdhsa_round_robin_scheduling 0
		.amdhsa_exception_fp_ieee_invalid_op 0
		.amdhsa_exception_fp_denorm_src 0
		.amdhsa_exception_fp_ieee_div_zero 0
		.amdhsa_exception_fp_ieee_overflow 0
		.amdhsa_exception_fp_ieee_underflow 0
		.amdhsa_exception_fp_ieee_inexact 0
		.amdhsa_exception_int_div_zero 0
	.end_amdhsa_kernel
	.section	.text._ZN7rocprim17ROCPRIM_400000_NS6detail17trampoline_kernelINS0_14default_configENS1_25partition_config_selectorILNS1_17partition_subalgoE6EdNS0_10empty_typeEbEEZZNS1_14partition_implILS5_6ELb0ES3_mN6thrust23THRUST_200600_302600_NS6detail15normal_iteratorINSA_10device_ptrIdEEEEPS6_SG_NS0_5tupleIJNSA_16discard_iteratorINSA_11use_defaultEEES6_EEENSH_IJSG_SG_EEES6_PlJNSB_9not_fun_tI7is_trueIdEEEEEE10hipError_tPvRmT3_T4_T5_T6_T7_T9_mT8_P12ihipStream_tbDpT10_ENKUlT_T0_E_clISt17integral_constantIbLb1EES1A_IbLb0EEEEDaS16_S17_EUlS16_E_NS1_11comp_targetILNS1_3genE3ELNS1_11target_archE908ELNS1_3gpuE7ELNS1_3repE0EEENS1_30default_config_static_selectorELNS0_4arch9wavefront6targetE0EEEvT1_,"axG",@progbits,_ZN7rocprim17ROCPRIM_400000_NS6detail17trampoline_kernelINS0_14default_configENS1_25partition_config_selectorILNS1_17partition_subalgoE6EdNS0_10empty_typeEbEEZZNS1_14partition_implILS5_6ELb0ES3_mN6thrust23THRUST_200600_302600_NS6detail15normal_iteratorINSA_10device_ptrIdEEEEPS6_SG_NS0_5tupleIJNSA_16discard_iteratorINSA_11use_defaultEEES6_EEENSH_IJSG_SG_EEES6_PlJNSB_9not_fun_tI7is_trueIdEEEEEE10hipError_tPvRmT3_T4_T5_T6_T7_T9_mT8_P12ihipStream_tbDpT10_ENKUlT_T0_E_clISt17integral_constantIbLb1EES1A_IbLb0EEEEDaS16_S17_EUlS16_E_NS1_11comp_targetILNS1_3genE3ELNS1_11target_archE908ELNS1_3gpuE7ELNS1_3repE0EEENS1_30default_config_static_selectorELNS0_4arch9wavefront6targetE0EEEvT1_,comdat
.Lfunc_end2096:
	.size	_ZN7rocprim17ROCPRIM_400000_NS6detail17trampoline_kernelINS0_14default_configENS1_25partition_config_selectorILNS1_17partition_subalgoE6EdNS0_10empty_typeEbEEZZNS1_14partition_implILS5_6ELb0ES3_mN6thrust23THRUST_200600_302600_NS6detail15normal_iteratorINSA_10device_ptrIdEEEEPS6_SG_NS0_5tupleIJNSA_16discard_iteratorINSA_11use_defaultEEES6_EEENSH_IJSG_SG_EEES6_PlJNSB_9not_fun_tI7is_trueIdEEEEEE10hipError_tPvRmT3_T4_T5_T6_T7_T9_mT8_P12ihipStream_tbDpT10_ENKUlT_T0_E_clISt17integral_constantIbLb1EES1A_IbLb0EEEEDaS16_S17_EUlS16_E_NS1_11comp_targetILNS1_3genE3ELNS1_11target_archE908ELNS1_3gpuE7ELNS1_3repE0EEENS1_30default_config_static_selectorELNS0_4arch9wavefront6targetE0EEEvT1_, .Lfunc_end2096-_ZN7rocprim17ROCPRIM_400000_NS6detail17trampoline_kernelINS0_14default_configENS1_25partition_config_selectorILNS1_17partition_subalgoE6EdNS0_10empty_typeEbEEZZNS1_14partition_implILS5_6ELb0ES3_mN6thrust23THRUST_200600_302600_NS6detail15normal_iteratorINSA_10device_ptrIdEEEEPS6_SG_NS0_5tupleIJNSA_16discard_iteratorINSA_11use_defaultEEES6_EEENSH_IJSG_SG_EEES6_PlJNSB_9not_fun_tI7is_trueIdEEEEEE10hipError_tPvRmT3_T4_T5_T6_T7_T9_mT8_P12ihipStream_tbDpT10_ENKUlT_T0_E_clISt17integral_constantIbLb1EES1A_IbLb0EEEEDaS16_S17_EUlS16_E_NS1_11comp_targetILNS1_3genE3ELNS1_11target_archE908ELNS1_3gpuE7ELNS1_3repE0EEENS1_30default_config_static_selectorELNS0_4arch9wavefront6targetE0EEEvT1_
                                        ; -- End function
	.set _ZN7rocprim17ROCPRIM_400000_NS6detail17trampoline_kernelINS0_14default_configENS1_25partition_config_selectorILNS1_17partition_subalgoE6EdNS0_10empty_typeEbEEZZNS1_14partition_implILS5_6ELb0ES3_mN6thrust23THRUST_200600_302600_NS6detail15normal_iteratorINSA_10device_ptrIdEEEEPS6_SG_NS0_5tupleIJNSA_16discard_iteratorINSA_11use_defaultEEES6_EEENSH_IJSG_SG_EEES6_PlJNSB_9not_fun_tI7is_trueIdEEEEEE10hipError_tPvRmT3_T4_T5_T6_T7_T9_mT8_P12ihipStream_tbDpT10_ENKUlT_T0_E_clISt17integral_constantIbLb1EES1A_IbLb0EEEEDaS16_S17_EUlS16_E_NS1_11comp_targetILNS1_3genE3ELNS1_11target_archE908ELNS1_3gpuE7ELNS1_3repE0EEENS1_30default_config_static_selectorELNS0_4arch9wavefront6targetE0EEEvT1_.num_vgpr, 0
	.set _ZN7rocprim17ROCPRIM_400000_NS6detail17trampoline_kernelINS0_14default_configENS1_25partition_config_selectorILNS1_17partition_subalgoE6EdNS0_10empty_typeEbEEZZNS1_14partition_implILS5_6ELb0ES3_mN6thrust23THRUST_200600_302600_NS6detail15normal_iteratorINSA_10device_ptrIdEEEEPS6_SG_NS0_5tupleIJNSA_16discard_iteratorINSA_11use_defaultEEES6_EEENSH_IJSG_SG_EEES6_PlJNSB_9not_fun_tI7is_trueIdEEEEEE10hipError_tPvRmT3_T4_T5_T6_T7_T9_mT8_P12ihipStream_tbDpT10_ENKUlT_T0_E_clISt17integral_constantIbLb1EES1A_IbLb0EEEEDaS16_S17_EUlS16_E_NS1_11comp_targetILNS1_3genE3ELNS1_11target_archE908ELNS1_3gpuE7ELNS1_3repE0EEENS1_30default_config_static_selectorELNS0_4arch9wavefront6targetE0EEEvT1_.num_agpr, 0
	.set _ZN7rocprim17ROCPRIM_400000_NS6detail17trampoline_kernelINS0_14default_configENS1_25partition_config_selectorILNS1_17partition_subalgoE6EdNS0_10empty_typeEbEEZZNS1_14partition_implILS5_6ELb0ES3_mN6thrust23THRUST_200600_302600_NS6detail15normal_iteratorINSA_10device_ptrIdEEEEPS6_SG_NS0_5tupleIJNSA_16discard_iteratorINSA_11use_defaultEEES6_EEENSH_IJSG_SG_EEES6_PlJNSB_9not_fun_tI7is_trueIdEEEEEE10hipError_tPvRmT3_T4_T5_T6_T7_T9_mT8_P12ihipStream_tbDpT10_ENKUlT_T0_E_clISt17integral_constantIbLb1EES1A_IbLb0EEEEDaS16_S17_EUlS16_E_NS1_11comp_targetILNS1_3genE3ELNS1_11target_archE908ELNS1_3gpuE7ELNS1_3repE0EEENS1_30default_config_static_selectorELNS0_4arch9wavefront6targetE0EEEvT1_.numbered_sgpr, 0
	.set _ZN7rocprim17ROCPRIM_400000_NS6detail17trampoline_kernelINS0_14default_configENS1_25partition_config_selectorILNS1_17partition_subalgoE6EdNS0_10empty_typeEbEEZZNS1_14partition_implILS5_6ELb0ES3_mN6thrust23THRUST_200600_302600_NS6detail15normal_iteratorINSA_10device_ptrIdEEEEPS6_SG_NS0_5tupleIJNSA_16discard_iteratorINSA_11use_defaultEEES6_EEENSH_IJSG_SG_EEES6_PlJNSB_9not_fun_tI7is_trueIdEEEEEE10hipError_tPvRmT3_T4_T5_T6_T7_T9_mT8_P12ihipStream_tbDpT10_ENKUlT_T0_E_clISt17integral_constantIbLb1EES1A_IbLb0EEEEDaS16_S17_EUlS16_E_NS1_11comp_targetILNS1_3genE3ELNS1_11target_archE908ELNS1_3gpuE7ELNS1_3repE0EEENS1_30default_config_static_selectorELNS0_4arch9wavefront6targetE0EEEvT1_.num_named_barrier, 0
	.set _ZN7rocprim17ROCPRIM_400000_NS6detail17trampoline_kernelINS0_14default_configENS1_25partition_config_selectorILNS1_17partition_subalgoE6EdNS0_10empty_typeEbEEZZNS1_14partition_implILS5_6ELb0ES3_mN6thrust23THRUST_200600_302600_NS6detail15normal_iteratorINSA_10device_ptrIdEEEEPS6_SG_NS0_5tupleIJNSA_16discard_iteratorINSA_11use_defaultEEES6_EEENSH_IJSG_SG_EEES6_PlJNSB_9not_fun_tI7is_trueIdEEEEEE10hipError_tPvRmT3_T4_T5_T6_T7_T9_mT8_P12ihipStream_tbDpT10_ENKUlT_T0_E_clISt17integral_constantIbLb1EES1A_IbLb0EEEEDaS16_S17_EUlS16_E_NS1_11comp_targetILNS1_3genE3ELNS1_11target_archE908ELNS1_3gpuE7ELNS1_3repE0EEENS1_30default_config_static_selectorELNS0_4arch9wavefront6targetE0EEEvT1_.private_seg_size, 0
	.set _ZN7rocprim17ROCPRIM_400000_NS6detail17trampoline_kernelINS0_14default_configENS1_25partition_config_selectorILNS1_17partition_subalgoE6EdNS0_10empty_typeEbEEZZNS1_14partition_implILS5_6ELb0ES3_mN6thrust23THRUST_200600_302600_NS6detail15normal_iteratorINSA_10device_ptrIdEEEEPS6_SG_NS0_5tupleIJNSA_16discard_iteratorINSA_11use_defaultEEES6_EEENSH_IJSG_SG_EEES6_PlJNSB_9not_fun_tI7is_trueIdEEEEEE10hipError_tPvRmT3_T4_T5_T6_T7_T9_mT8_P12ihipStream_tbDpT10_ENKUlT_T0_E_clISt17integral_constantIbLb1EES1A_IbLb0EEEEDaS16_S17_EUlS16_E_NS1_11comp_targetILNS1_3genE3ELNS1_11target_archE908ELNS1_3gpuE7ELNS1_3repE0EEENS1_30default_config_static_selectorELNS0_4arch9wavefront6targetE0EEEvT1_.uses_vcc, 0
	.set _ZN7rocprim17ROCPRIM_400000_NS6detail17trampoline_kernelINS0_14default_configENS1_25partition_config_selectorILNS1_17partition_subalgoE6EdNS0_10empty_typeEbEEZZNS1_14partition_implILS5_6ELb0ES3_mN6thrust23THRUST_200600_302600_NS6detail15normal_iteratorINSA_10device_ptrIdEEEEPS6_SG_NS0_5tupleIJNSA_16discard_iteratorINSA_11use_defaultEEES6_EEENSH_IJSG_SG_EEES6_PlJNSB_9not_fun_tI7is_trueIdEEEEEE10hipError_tPvRmT3_T4_T5_T6_T7_T9_mT8_P12ihipStream_tbDpT10_ENKUlT_T0_E_clISt17integral_constantIbLb1EES1A_IbLb0EEEEDaS16_S17_EUlS16_E_NS1_11comp_targetILNS1_3genE3ELNS1_11target_archE908ELNS1_3gpuE7ELNS1_3repE0EEENS1_30default_config_static_selectorELNS0_4arch9wavefront6targetE0EEEvT1_.uses_flat_scratch, 0
	.set _ZN7rocprim17ROCPRIM_400000_NS6detail17trampoline_kernelINS0_14default_configENS1_25partition_config_selectorILNS1_17partition_subalgoE6EdNS0_10empty_typeEbEEZZNS1_14partition_implILS5_6ELb0ES3_mN6thrust23THRUST_200600_302600_NS6detail15normal_iteratorINSA_10device_ptrIdEEEEPS6_SG_NS0_5tupleIJNSA_16discard_iteratorINSA_11use_defaultEEES6_EEENSH_IJSG_SG_EEES6_PlJNSB_9not_fun_tI7is_trueIdEEEEEE10hipError_tPvRmT3_T4_T5_T6_T7_T9_mT8_P12ihipStream_tbDpT10_ENKUlT_T0_E_clISt17integral_constantIbLb1EES1A_IbLb0EEEEDaS16_S17_EUlS16_E_NS1_11comp_targetILNS1_3genE3ELNS1_11target_archE908ELNS1_3gpuE7ELNS1_3repE0EEENS1_30default_config_static_selectorELNS0_4arch9wavefront6targetE0EEEvT1_.has_dyn_sized_stack, 0
	.set _ZN7rocprim17ROCPRIM_400000_NS6detail17trampoline_kernelINS0_14default_configENS1_25partition_config_selectorILNS1_17partition_subalgoE6EdNS0_10empty_typeEbEEZZNS1_14partition_implILS5_6ELb0ES3_mN6thrust23THRUST_200600_302600_NS6detail15normal_iteratorINSA_10device_ptrIdEEEEPS6_SG_NS0_5tupleIJNSA_16discard_iteratorINSA_11use_defaultEEES6_EEENSH_IJSG_SG_EEES6_PlJNSB_9not_fun_tI7is_trueIdEEEEEE10hipError_tPvRmT3_T4_T5_T6_T7_T9_mT8_P12ihipStream_tbDpT10_ENKUlT_T0_E_clISt17integral_constantIbLb1EES1A_IbLb0EEEEDaS16_S17_EUlS16_E_NS1_11comp_targetILNS1_3genE3ELNS1_11target_archE908ELNS1_3gpuE7ELNS1_3repE0EEENS1_30default_config_static_selectorELNS0_4arch9wavefront6targetE0EEEvT1_.has_recursion, 0
	.set _ZN7rocprim17ROCPRIM_400000_NS6detail17trampoline_kernelINS0_14default_configENS1_25partition_config_selectorILNS1_17partition_subalgoE6EdNS0_10empty_typeEbEEZZNS1_14partition_implILS5_6ELb0ES3_mN6thrust23THRUST_200600_302600_NS6detail15normal_iteratorINSA_10device_ptrIdEEEEPS6_SG_NS0_5tupleIJNSA_16discard_iteratorINSA_11use_defaultEEES6_EEENSH_IJSG_SG_EEES6_PlJNSB_9not_fun_tI7is_trueIdEEEEEE10hipError_tPvRmT3_T4_T5_T6_T7_T9_mT8_P12ihipStream_tbDpT10_ENKUlT_T0_E_clISt17integral_constantIbLb1EES1A_IbLb0EEEEDaS16_S17_EUlS16_E_NS1_11comp_targetILNS1_3genE3ELNS1_11target_archE908ELNS1_3gpuE7ELNS1_3repE0EEENS1_30default_config_static_selectorELNS0_4arch9wavefront6targetE0EEEvT1_.has_indirect_call, 0
	.section	.AMDGPU.csdata,"",@progbits
; Kernel info:
; codeLenInByte = 0
; TotalNumSgprs: 0
; NumVgprs: 0
; ScratchSize: 0
; MemoryBound: 0
; FloatMode: 240
; IeeeMode: 1
; LDSByteSize: 0 bytes/workgroup (compile time only)
; SGPRBlocks: 0
; VGPRBlocks: 0
; NumSGPRsForWavesPerEU: 1
; NumVGPRsForWavesPerEU: 1
; Occupancy: 16
; WaveLimiterHint : 0
; COMPUTE_PGM_RSRC2:SCRATCH_EN: 0
; COMPUTE_PGM_RSRC2:USER_SGPR: 2
; COMPUTE_PGM_RSRC2:TRAP_HANDLER: 0
; COMPUTE_PGM_RSRC2:TGID_X_EN: 1
; COMPUTE_PGM_RSRC2:TGID_Y_EN: 0
; COMPUTE_PGM_RSRC2:TGID_Z_EN: 0
; COMPUTE_PGM_RSRC2:TIDIG_COMP_CNT: 0
	.section	.text._ZN7rocprim17ROCPRIM_400000_NS6detail17trampoline_kernelINS0_14default_configENS1_25partition_config_selectorILNS1_17partition_subalgoE6EdNS0_10empty_typeEbEEZZNS1_14partition_implILS5_6ELb0ES3_mN6thrust23THRUST_200600_302600_NS6detail15normal_iteratorINSA_10device_ptrIdEEEEPS6_SG_NS0_5tupleIJNSA_16discard_iteratorINSA_11use_defaultEEES6_EEENSH_IJSG_SG_EEES6_PlJNSB_9not_fun_tI7is_trueIdEEEEEE10hipError_tPvRmT3_T4_T5_T6_T7_T9_mT8_P12ihipStream_tbDpT10_ENKUlT_T0_E_clISt17integral_constantIbLb1EES1A_IbLb0EEEEDaS16_S17_EUlS16_E_NS1_11comp_targetILNS1_3genE2ELNS1_11target_archE906ELNS1_3gpuE6ELNS1_3repE0EEENS1_30default_config_static_selectorELNS0_4arch9wavefront6targetE0EEEvT1_,"axG",@progbits,_ZN7rocprim17ROCPRIM_400000_NS6detail17trampoline_kernelINS0_14default_configENS1_25partition_config_selectorILNS1_17partition_subalgoE6EdNS0_10empty_typeEbEEZZNS1_14partition_implILS5_6ELb0ES3_mN6thrust23THRUST_200600_302600_NS6detail15normal_iteratorINSA_10device_ptrIdEEEEPS6_SG_NS0_5tupleIJNSA_16discard_iteratorINSA_11use_defaultEEES6_EEENSH_IJSG_SG_EEES6_PlJNSB_9not_fun_tI7is_trueIdEEEEEE10hipError_tPvRmT3_T4_T5_T6_T7_T9_mT8_P12ihipStream_tbDpT10_ENKUlT_T0_E_clISt17integral_constantIbLb1EES1A_IbLb0EEEEDaS16_S17_EUlS16_E_NS1_11comp_targetILNS1_3genE2ELNS1_11target_archE906ELNS1_3gpuE6ELNS1_3repE0EEENS1_30default_config_static_selectorELNS0_4arch9wavefront6targetE0EEEvT1_,comdat
	.protected	_ZN7rocprim17ROCPRIM_400000_NS6detail17trampoline_kernelINS0_14default_configENS1_25partition_config_selectorILNS1_17partition_subalgoE6EdNS0_10empty_typeEbEEZZNS1_14partition_implILS5_6ELb0ES3_mN6thrust23THRUST_200600_302600_NS6detail15normal_iteratorINSA_10device_ptrIdEEEEPS6_SG_NS0_5tupleIJNSA_16discard_iteratorINSA_11use_defaultEEES6_EEENSH_IJSG_SG_EEES6_PlJNSB_9not_fun_tI7is_trueIdEEEEEE10hipError_tPvRmT3_T4_T5_T6_T7_T9_mT8_P12ihipStream_tbDpT10_ENKUlT_T0_E_clISt17integral_constantIbLb1EES1A_IbLb0EEEEDaS16_S17_EUlS16_E_NS1_11comp_targetILNS1_3genE2ELNS1_11target_archE906ELNS1_3gpuE6ELNS1_3repE0EEENS1_30default_config_static_selectorELNS0_4arch9wavefront6targetE0EEEvT1_ ; -- Begin function _ZN7rocprim17ROCPRIM_400000_NS6detail17trampoline_kernelINS0_14default_configENS1_25partition_config_selectorILNS1_17partition_subalgoE6EdNS0_10empty_typeEbEEZZNS1_14partition_implILS5_6ELb0ES3_mN6thrust23THRUST_200600_302600_NS6detail15normal_iteratorINSA_10device_ptrIdEEEEPS6_SG_NS0_5tupleIJNSA_16discard_iteratorINSA_11use_defaultEEES6_EEENSH_IJSG_SG_EEES6_PlJNSB_9not_fun_tI7is_trueIdEEEEEE10hipError_tPvRmT3_T4_T5_T6_T7_T9_mT8_P12ihipStream_tbDpT10_ENKUlT_T0_E_clISt17integral_constantIbLb1EES1A_IbLb0EEEEDaS16_S17_EUlS16_E_NS1_11comp_targetILNS1_3genE2ELNS1_11target_archE906ELNS1_3gpuE6ELNS1_3repE0EEENS1_30default_config_static_selectorELNS0_4arch9wavefront6targetE0EEEvT1_
	.globl	_ZN7rocprim17ROCPRIM_400000_NS6detail17trampoline_kernelINS0_14default_configENS1_25partition_config_selectorILNS1_17partition_subalgoE6EdNS0_10empty_typeEbEEZZNS1_14partition_implILS5_6ELb0ES3_mN6thrust23THRUST_200600_302600_NS6detail15normal_iteratorINSA_10device_ptrIdEEEEPS6_SG_NS0_5tupleIJNSA_16discard_iteratorINSA_11use_defaultEEES6_EEENSH_IJSG_SG_EEES6_PlJNSB_9not_fun_tI7is_trueIdEEEEEE10hipError_tPvRmT3_T4_T5_T6_T7_T9_mT8_P12ihipStream_tbDpT10_ENKUlT_T0_E_clISt17integral_constantIbLb1EES1A_IbLb0EEEEDaS16_S17_EUlS16_E_NS1_11comp_targetILNS1_3genE2ELNS1_11target_archE906ELNS1_3gpuE6ELNS1_3repE0EEENS1_30default_config_static_selectorELNS0_4arch9wavefront6targetE0EEEvT1_
	.p2align	8
	.type	_ZN7rocprim17ROCPRIM_400000_NS6detail17trampoline_kernelINS0_14default_configENS1_25partition_config_selectorILNS1_17partition_subalgoE6EdNS0_10empty_typeEbEEZZNS1_14partition_implILS5_6ELb0ES3_mN6thrust23THRUST_200600_302600_NS6detail15normal_iteratorINSA_10device_ptrIdEEEEPS6_SG_NS0_5tupleIJNSA_16discard_iteratorINSA_11use_defaultEEES6_EEENSH_IJSG_SG_EEES6_PlJNSB_9not_fun_tI7is_trueIdEEEEEE10hipError_tPvRmT3_T4_T5_T6_T7_T9_mT8_P12ihipStream_tbDpT10_ENKUlT_T0_E_clISt17integral_constantIbLb1EES1A_IbLb0EEEEDaS16_S17_EUlS16_E_NS1_11comp_targetILNS1_3genE2ELNS1_11target_archE906ELNS1_3gpuE6ELNS1_3repE0EEENS1_30default_config_static_selectorELNS0_4arch9wavefront6targetE0EEEvT1_,@function
_ZN7rocprim17ROCPRIM_400000_NS6detail17trampoline_kernelINS0_14default_configENS1_25partition_config_selectorILNS1_17partition_subalgoE6EdNS0_10empty_typeEbEEZZNS1_14partition_implILS5_6ELb0ES3_mN6thrust23THRUST_200600_302600_NS6detail15normal_iteratorINSA_10device_ptrIdEEEEPS6_SG_NS0_5tupleIJNSA_16discard_iteratorINSA_11use_defaultEEES6_EEENSH_IJSG_SG_EEES6_PlJNSB_9not_fun_tI7is_trueIdEEEEEE10hipError_tPvRmT3_T4_T5_T6_T7_T9_mT8_P12ihipStream_tbDpT10_ENKUlT_T0_E_clISt17integral_constantIbLb1EES1A_IbLb0EEEEDaS16_S17_EUlS16_E_NS1_11comp_targetILNS1_3genE2ELNS1_11target_archE906ELNS1_3gpuE6ELNS1_3repE0EEENS1_30default_config_static_selectorELNS0_4arch9wavefront6targetE0EEEvT1_: ; @_ZN7rocprim17ROCPRIM_400000_NS6detail17trampoline_kernelINS0_14default_configENS1_25partition_config_selectorILNS1_17partition_subalgoE6EdNS0_10empty_typeEbEEZZNS1_14partition_implILS5_6ELb0ES3_mN6thrust23THRUST_200600_302600_NS6detail15normal_iteratorINSA_10device_ptrIdEEEEPS6_SG_NS0_5tupleIJNSA_16discard_iteratorINSA_11use_defaultEEES6_EEENSH_IJSG_SG_EEES6_PlJNSB_9not_fun_tI7is_trueIdEEEEEE10hipError_tPvRmT3_T4_T5_T6_T7_T9_mT8_P12ihipStream_tbDpT10_ENKUlT_T0_E_clISt17integral_constantIbLb1EES1A_IbLb0EEEEDaS16_S17_EUlS16_E_NS1_11comp_targetILNS1_3genE2ELNS1_11target_archE906ELNS1_3gpuE6ELNS1_3repE0EEENS1_30default_config_static_selectorELNS0_4arch9wavefront6targetE0EEEvT1_
; %bb.0:
	.section	.rodata,"a",@progbits
	.p2align	6, 0x0
	.amdhsa_kernel _ZN7rocprim17ROCPRIM_400000_NS6detail17trampoline_kernelINS0_14default_configENS1_25partition_config_selectorILNS1_17partition_subalgoE6EdNS0_10empty_typeEbEEZZNS1_14partition_implILS5_6ELb0ES3_mN6thrust23THRUST_200600_302600_NS6detail15normal_iteratorINSA_10device_ptrIdEEEEPS6_SG_NS0_5tupleIJNSA_16discard_iteratorINSA_11use_defaultEEES6_EEENSH_IJSG_SG_EEES6_PlJNSB_9not_fun_tI7is_trueIdEEEEEE10hipError_tPvRmT3_T4_T5_T6_T7_T9_mT8_P12ihipStream_tbDpT10_ENKUlT_T0_E_clISt17integral_constantIbLb1EES1A_IbLb0EEEEDaS16_S17_EUlS16_E_NS1_11comp_targetILNS1_3genE2ELNS1_11target_archE906ELNS1_3gpuE6ELNS1_3repE0EEENS1_30default_config_static_selectorELNS0_4arch9wavefront6targetE0EEEvT1_
		.amdhsa_group_segment_fixed_size 0
		.amdhsa_private_segment_fixed_size 0
		.amdhsa_kernarg_size 120
		.amdhsa_user_sgpr_count 2
		.amdhsa_user_sgpr_dispatch_ptr 0
		.amdhsa_user_sgpr_queue_ptr 0
		.amdhsa_user_sgpr_kernarg_segment_ptr 1
		.amdhsa_user_sgpr_dispatch_id 0
		.amdhsa_user_sgpr_private_segment_size 0
		.amdhsa_wavefront_size32 1
		.amdhsa_uses_dynamic_stack 0
		.amdhsa_enable_private_segment 0
		.amdhsa_system_sgpr_workgroup_id_x 1
		.amdhsa_system_sgpr_workgroup_id_y 0
		.amdhsa_system_sgpr_workgroup_id_z 0
		.amdhsa_system_sgpr_workgroup_info 0
		.amdhsa_system_vgpr_workitem_id 0
		.amdhsa_next_free_vgpr 1
		.amdhsa_next_free_sgpr 1
		.amdhsa_reserve_vcc 0
		.amdhsa_float_round_mode_32 0
		.amdhsa_float_round_mode_16_64 0
		.amdhsa_float_denorm_mode_32 3
		.amdhsa_float_denorm_mode_16_64 3
		.amdhsa_fp16_overflow 0
		.amdhsa_workgroup_processor_mode 1
		.amdhsa_memory_ordered 1
		.amdhsa_forward_progress 1
		.amdhsa_inst_pref_size 0
		.amdhsa_round_robin_scheduling 0
		.amdhsa_exception_fp_ieee_invalid_op 0
		.amdhsa_exception_fp_denorm_src 0
		.amdhsa_exception_fp_ieee_div_zero 0
		.amdhsa_exception_fp_ieee_overflow 0
		.amdhsa_exception_fp_ieee_underflow 0
		.amdhsa_exception_fp_ieee_inexact 0
		.amdhsa_exception_int_div_zero 0
	.end_amdhsa_kernel
	.section	.text._ZN7rocprim17ROCPRIM_400000_NS6detail17trampoline_kernelINS0_14default_configENS1_25partition_config_selectorILNS1_17partition_subalgoE6EdNS0_10empty_typeEbEEZZNS1_14partition_implILS5_6ELb0ES3_mN6thrust23THRUST_200600_302600_NS6detail15normal_iteratorINSA_10device_ptrIdEEEEPS6_SG_NS0_5tupleIJNSA_16discard_iteratorINSA_11use_defaultEEES6_EEENSH_IJSG_SG_EEES6_PlJNSB_9not_fun_tI7is_trueIdEEEEEE10hipError_tPvRmT3_T4_T5_T6_T7_T9_mT8_P12ihipStream_tbDpT10_ENKUlT_T0_E_clISt17integral_constantIbLb1EES1A_IbLb0EEEEDaS16_S17_EUlS16_E_NS1_11comp_targetILNS1_3genE2ELNS1_11target_archE906ELNS1_3gpuE6ELNS1_3repE0EEENS1_30default_config_static_selectorELNS0_4arch9wavefront6targetE0EEEvT1_,"axG",@progbits,_ZN7rocprim17ROCPRIM_400000_NS6detail17trampoline_kernelINS0_14default_configENS1_25partition_config_selectorILNS1_17partition_subalgoE6EdNS0_10empty_typeEbEEZZNS1_14partition_implILS5_6ELb0ES3_mN6thrust23THRUST_200600_302600_NS6detail15normal_iteratorINSA_10device_ptrIdEEEEPS6_SG_NS0_5tupleIJNSA_16discard_iteratorINSA_11use_defaultEEES6_EEENSH_IJSG_SG_EEES6_PlJNSB_9not_fun_tI7is_trueIdEEEEEE10hipError_tPvRmT3_T4_T5_T6_T7_T9_mT8_P12ihipStream_tbDpT10_ENKUlT_T0_E_clISt17integral_constantIbLb1EES1A_IbLb0EEEEDaS16_S17_EUlS16_E_NS1_11comp_targetILNS1_3genE2ELNS1_11target_archE906ELNS1_3gpuE6ELNS1_3repE0EEENS1_30default_config_static_selectorELNS0_4arch9wavefront6targetE0EEEvT1_,comdat
.Lfunc_end2097:
	.size	_ZN7rocprim17ROCPRIM_400000_NS6detail17trampoline_kernelINS0_14default_configENS1_25partition_config_selectorILNS1_17partition_subalgoE6EdNS0_10empty_typeEbEEZZNS1_14partition_implILS5_6ELb0ES3_mN6thrust23THRUST_200600_302600_NS6detail15normal_iteratorINSA_10device_ptrIdEEEEPS6_SG_NS0_5tupleIJNSA_16discard_iteratorINSA_11use_defaultEEES6_EEENSH_IJSG_SG_EEES6_PlJNSB_9not_fun_tI7is_trueIdEEEEEE10hipError_tPvRmT3_T4_T5_T6_T7_T9_mT8_P12ihipStream_tbDpT10_ENKUlT_T0_E_clISt17integral_constantIbLb1EES1A_IbLb0EEEEDaS16_S17_EUlS16_E_NS1_11comp_targetILNS1_3genE2ELNS1_11target_archE906ELNS1_3gpuE6ELNS1_3repE0EEENS1_30default_config_static_selectorELNS0_4arch9wavefront6targetE0EEEvT1_, .Lfunc_end2097-_ZN7rocprim17ROCPRIM_400000_NS6detail17trampoline_kernelINS0_14default_configENS1_25partition_config_selectorILNS1_17partition_subalgoE6EdNS0_10empty_typeEbEEZZNS1_14partition_implILS5_6ELb0ES3_mN6thrust23THRUST_200600_302600_NS6detail15normal_iteratorINSA_10device_ptrIdEEEEPS6_SG_NS0_5tupleIJNSA_16discard_iteratorINSA_11use_defaultEEES6_EEENSH_IJSG_SG_EEES6_PlJNSB_9not_fun_tI7is_trueIdEEEEEE10hipError_tPvRmT3_T4_T5_T6_T7_T9_mT8_P12ihipStream_tbDpT10_ENKUlT_T0_E_clISt17integral_constantIbLb1EES1A_IbLb0EEEEDaS16_S17_EUlS16_E_NS1_11comp_targetILNS1_3genE2ELNS1_11target_archE906ELNS1_3gpuE6ELNS1_3repE0EEENS1_30default_config_static_selectorELNS0_4arch9wavefront6targetE0EEEvT1_
                                        ; -- End function
	.set _ZN7rocprim17ROCPRIM_400000_NS6detail17trampoline_kernelINS0_14default_configENS1_25partition_config_selectorILNS1_17partition_subalgoE6EdNS0_10empty_typeEbEEZZNS1_14partition_implILS5_6ELb0ES3_mN6thrust23THRUST_200600_302600_NS6detail15normal_iteratorINSA_10device_ptrIdEEEEPS6_SG_NS0_5tupleIJNSA_16discard_iteratorINSA_11use_defaultEEES6_EEENSH_IJSG_SG_EEES6_PlJNSB_9not_fun_tI7is_trueIdEEEEEE10hipError_tPvRmT3_T4_T5_T6_T7_T9_mT8_P12ihipStream_tbDpT10_ENKUlT_T0_E_clISt17integral_constantIbLb1EES1A_IbLb0EEEEDaS16_S17_EUlS16_E_NS1_11comp_targetILNS1_3genE2ELNS1_11target_archE906ELNS1_3gpuE6ELNS1_3repE0EEENS1_30default_config_static_selectorELNS0_4arch9wavefront6targetE0EEEvT1_.num_vgpr, 0
	.set _ZN7rocprim17ROCPRIM_400000_NS6detail17trampoline_kernelINS0_14default_configENS1_25partition_config_selectorILNS1_17partition_subalgoE6EdNS0_10empty_typeEbEEZZNS1_14partition_implILS5_6ELb0ES3_mN6thrust23THRUST_200600_302600_NS6detail15normal_iteratorINSA_10device_ptrIdEEEEPS6_SG_NS0_5tupleIJNSA_16discard_iteratorINSA_11use_defaultEEES6_EEENSH_IJSG_SG_EEES6_PlJNSB_9not_fun_tI7is_trueIdEEEEEE10hipError_tPvRmT3_T4_T5_T6_T7_T9_mT8_P12ihipStream_tbDpT10_ENKUlT_T0_E_clISt17integral_constantIbLb1EES1A_IbLb0EEEEDaS16_S17_EUlS16_E_NS1_11comp_targetILNS1_3genE2ELNS1_11target_archE906ELNS1_3gpuE6ELNS1_3repE0EEENS1_30default_config_static_selectorELNS0_4arch9wavefront6targetE0EEEvT1_.num_agpr, 0
	.set _ZN7rocprim17ROCPRIM_400000_NS6detail17trampoline_kernelINS0_14default_configENS1_25partition_config_selectorILNS1_17partition_subalgoE6EdNS0_10empty_typeEbEEZZNS1_14partition_implILS5_6ELb0ES3_mN6thrust23THRUST_200600_302600_NS6detail15normal_iteratorINSA_10device_ptrIdEEEEPS6_SG_NS0_5tupleIJNSA_16discard_iteratorINSA_11use_defaultEEES6_EEENSH_IJSG_SG_EEES6_PlJNSB_9not_fun_tI7is_trueIdEEEEEE10hipError_tPvRmT3_T4_T5_T6_T7_T9_mT8_P12ihipStream_tbDpT10_ENKUlT_T0_E_clISt17integral_constantIbLb1EES1A_IbLb0EEEEDaS16_S17_EUlS16_E_NS1_11comp_targetILNS1_3genE2ELNS1_11target_archE906ELNS1_3gpuE6ELNS1_3repE0EEENS1_30default_config_static_selectorELNS0_4arch9wavefront6targetE0EEEvT1_.numbered_sgpr, 0
	.set _ZN7rocprim17ROCPRIM_400000_NS6detail17trampoline_kernelINS0_14default_configENS1_25partition_config_selectorILNS1_17partition_subalgoE6EdNS0_10empty_typeEbEEZZNS1_14partition_implILS5_6ELb0ES3_mN6thrust23THRUST_200600_302600_NS6detail15normal_iteratorINSA_10device_ptrIdEEEEPS6_SG_NS0_5tupleIJNSA_16discard_iteratorINSA_11use_defaultEEES6_EEENSH_IJSG_SG_EEES6_PlJNSB_9not_fun_tI7is_trueIdEEEEEE10hipError_tPvRmT3_T4_T5_T6_T7_T9_mT8_P12ihipStream_tbDpT10_ENKUlT_T0_E_clISt17integral_constantIbLb1EES1A_IbLb0EEEEDaS16_S17_EUlS16_E_NS1_11comp_targetILNS1_3genE2ELNS1_11target_archE906ELNS1_3gpuE6ELNS1_3repE0EEENS1_30default_config_static_selectorELNS0_4arch9wavefront6targetE0EEEvT1_.num_named_barrier, 0
	.set _ZN7rocprim17ROCPRIM_400000_NS6detail17trampoline_kernelINS0_14default_configENS1_25partition_config_selectorILNS1_17partition_subalgoE6EdNS0_10empty_typeEbEEZZNS1_14partition_implILS5_6ELb0ES3_mN6thrust23THRUST_200600_302600_NS6detail15normal_iteratorINSA_10device_ptrIdEEEEPS6_SG_NS0_5tupleIJNSA_16discard_iteratorINSA_11use_defaultEEES6_EEENSH_IJSG_SG_EEES6_PlJNSB_9not_fun_tI7is_trueIdEEEEEE10hipError_tPvRmT3_T4_T5_T6_T7_T9_mT8_P12ihipStream_tbDpT10_ENKUlT_T0_E_clISt17integral_constantIbLb1EES1A_IbLb0EEEEDaS16_S17_EUlS16_E_NS1_11comp_targetILNS1_3genE2ELNS1_11target_archE906ELNS1_3gpuE6ELNS1_3repE0EEENS1_30default_config_static_selectorELNS0_4arch9wavefront6targetE0EEEvT1_.private_seg_size, 0
	.set _ZN7rocprim17ROCPRIM_400000_NS6detail17trampoline_kernelINS0_14default_configENS1_25partition_config_selectorILNS1_17partition_subalgoE6EdNS0_10empty_typeEbEEZZNS1_14partition_implILS5_6ELb0ES3_mN6thrust23THRUST_200600_302600_NS6detail15normal_iteratorINSA_10device_ptrIdEEEEPS6_SG_NS0_5tupleIJNSA_16discard_iteratorINSA_11use_defaultEEES6_EEENSH_IJSG_SG_EEES6_PlJNSB_9not_fun_tI7is_trueIdEEEEEE10hipError_tPvRmT3_T4_T5_T6_T7_T9_mT8_P12ihipStream_tbDpT10_ENKUlT_T0_E_clISt17integral_constantIbLb1EES1A_IbLb0EEEEDaS16_S17_EUlS16_E_NS1_11comp_targetILNS1_3genE2ELNS1_11target_archE906ELNS1_3gpuE6ELNS1_3repE0EEENS1_30default_config_static_selectorELNS0_4arch9wavefront6targetE0EEEvT1_.uses_vcc, 0
	.set _ZN7rocprim17ROCPRIM_400000_NS6detail17trampoline_kernelINS0_14default_configENS1_25partition_config_selectorILNS1_17partition_subalgoE6EdNS0_10empty_typeEbEEZZNS1_14partition_implILS5_6ELb0ES3_mN6thrust23THRUST_200600_302600_NS6detail15normal_iteratorINSA_10device_ptrIdEEEEPS6_SG_NS0_5tupleIJNSA_16discard_iteratorINSA_11use_defaultEEES6_EEENSH_IJSG_SG_EEES6_PlJNSB_9not_fun_tI7is_trueIdEEEEEE10hipError_tPvRmT3_T4_T5_T6_T7_T9_mT8_P12ihipStream_tbDpT10_ENKUlT_T0_E_clISt17integral_constantIbLb1EES1A_IbLb0EEEEDaS16_S17_EUlS16_E_NS1_11comp_targetILNS1_3genE2ELNS1_11target_archE906ELNS1_3gpuE6ELNS1_3repE0EEENS1_30default_config_static_selectorELNS0_4arch9wavefront6targetE0EEEvT1_.uses_flat_scratch, 0
	.set _ZN7rocprim17ROCPRIM_400000_NS6detail17trampoline_kernelINS0_14default_configENS1_25partition_config_selectorILNS1_17partition_subalgoE6EdNS0_10empty_typeEbEEZZNS1_14partition_implILS5_6ELb0ES3_mN6thrust23THRUST_200600_302600_NS6detail15normal_iteratorINSA_10device_ptrIdEEEEPS6_SG_NS0_5tupleIJNSA_16discard_iteratorINSA_11use_defaultEEES6_EEENSH_IJSG_SG_EEES6_PlJNSB_9not_fun_tI7is_trueIdEEEEEE10hipError_tPvRmT3_T4_T5_T6_T7_T9_mT8_P12ihipStream_tbDpT10_ENKUlT_T0_E_clISt17integral_constantIbLb1EES1A_IbLb0EEEEDaS16_S17_EUlS16_E_NS1_11comp_targetILNS1_3genE2ELNS1_11target_archE906ELNS1_3gpuE6ELNS1_3repE0EEENS1_30default_config_static_selectorELNS0_4arch9wavefront6targetE0EEEvT1_.has_dyn_sized_stack, 0
	.set _ZN7rocprim17ROCPRIM_400000_NS6detail17trampoline_kernelINS0_14default_configENS1_25partition_config_selectorILNS1_17partition_subalgoE6EdNS0_10empty_typeEbEEZZNS1_14partition_implILS5_6ELb0ES3_mN6thrust23THRUST_200600_302600_NS6detail15normal_iteratorINSA_10device_ptrIdEEEEPS6_SG_NS0_5tupleIJNSA_16discard_iteratorINSA_11use_defaultEEES6_EEENSH_IJSG_SG_EEES6_PlJNSB_9not_fun_tI7is_trueIdEEEEEE10hipError_tPvRmT3_T4_T5_T6_T7_T9_mT8_P12ihipStream_tbDpT10_ENKUlT_T0_E_clISt17integral_constantIbLb1EES1A_IbLb0EEEEDaS16_S17_EUlS16_E_NS1_11comp_targetILNS1_3genE2ELNS1_11target_archE906ELNS1_3gpuE6ELNS1_3repE0EEENS1_30default_config_static_selectorELNS0_4arch9wavefront6targetE0EEEvT1_.has_recursion, 0
	.set _ZN7rocprim17ROCPRIM_400000_NS6detail17trampoline_kernelINS0_14default_configENS1_25partition_config_selectorILNS1_17partition_subalgoE6EdNS0_10empty_typeEbEEZZNS1_14partition_implILS5_6ELb0ES3_mN6thrust23THRUST_200600_302600_NS6detail15normal_iteratorINSA_10device_ptrIdEEEEPS6_SG_NS0_5tupleIJNSA_16discard_iteratorINSA_11use_defaultEEES6_EEENSH_IJSG_SG_EEES6_PlJNSB_9not_fun_tI7is_trueIdEEEEEE10hipError_tPvRmT3_T4_T5_T6_T7_T9_mT8_P12ihipStream_tbDpT10_ENKUlT_T0_E_clISt17integral_constantIbLb1EES1A_IbLb0EEEEDaS16_S17_EUlS16_E_NS1_11comp_targetILNS1_3genE2ELNS1_11target_archE906ELNS1_3gpuE6ELNS1_3repE0EEENS1_30default_config_static_selectorELNS0_4arch9wavefront6targetE0EEEvT1_.has_indirect_call, 0
	.section	.AMDGPU.csdata,"",@progbits
; Kernel info:
; codeLenInByte = 0
; TotalNumSgprs: 0
; NumVgprs: 0
; ScratchSize: 0
; MemoryBound: 0
; FloatMode: 240
; IeeeMode: 1
; LDSByteSize: 0 bytes/workgroup (compile time only)
; SGPRBlocks: 0
; VGPRBlocks: 0
; NumSGPRsForWavesPerEU: 1
; NumVGPRsForWavesPerEU: 1
; Occupancy: 16
; WaveLimiterHint : 0
; COMPUTE_PGM_RSRC2:SCRATCH_EN: 0
; COMPUTE_PGM_RSRC2:USER_SGPR: 2
; COMPUTE_PGM_RSRC2:TRAP_HANDLER: 0
; COMPUTE_PGM_RSRC2:TGID_X_EN: 1
; COMPUTE_PGM_RSRC2:TGID_Y_EN: 0
; COMPUTE_PGM_RSRC2:TGID_Z_EN: 0
; COMPUTE_PGM_RSRC2:TIDIG_COMP_CNT: 0
	.section	.text._ZN7rocprim17ROCPRIM_400000_NS6detail17trampoline_kernelINS0_14default_configENS1_25partition_config_selectorILNS1_17partition_subalgoE6EdNS0_10empty_typeEbEEZZNS1_14partition_implILS5_6ELb0ES3_mN6thrust23THRUST_200600_302600_NS6detail15normal_iteratorINSA_10device_ptrIdEEEEPS6_SG_NS0_5tupleIJNSA_16discard_iteratorINSA_11use_defaultEEES6_EEENSH_IJSG_SG_EEES6_PlJNSB_9not_fun_tI7is_trueIdEEEEEE10hipError_tPvRmT3_T4_T5_T6_T7_T9_mT8_P12ihipStream_tbDpT10_ENKUlT_T0_E_clISt17integral_constantIbLb1EES1A_IbLb0EEEEDaS16_S17_EUlS16_E_NS1_11comp_targetILNS1_3genE10ELNS1_11target_archE1200ELNS1_3gpuE4ELNS1_3repE0EEENS1_30default_config_static_selectorELNS0_4arch9wavefront6targetE0EEEvT1_,"axG",@progbits,_ZN7rocprim17ROCPRIM_400000_NS6detail17trampoline_kernelINS0_14default_configENS1_25partition_config_selectorILNS1_17partition_subalgoE6EdNS0_10empty_typeEbEEZZNS1_14partition_implILS5_6ELb0ES3_mN6thrust23THRUST_200600_302600_NS6detail15normal_iteratorINSA_10device_ptrIdEEEEPS6_SG_NS0_5tupleIJNSA_16discard_iteratorINSA_11use_defaultEEES6_EEENSH_IJSG_SG_EEES6_PlJNSB_9not_fun_tI7is_trueIdEEEEEE10hipError_tPvRmT3_T4_T5_T6_T7_T9_mT8_P12ihipStream_tbDpT10_ENKUlT_T0_E_clISt17integral_constantIbLb1EES1A_IbLb0EEEEDaS16_S17_EUlS16_E_NS1_11comp_targetILNS1_3genE10ELNS1_11target_archE1200ELNS1_3gpuE4ELNS1_3repE0EEENS1_30default_config_static_selectorELNS0_4arch9wavefront6targetE0EEEvT1_,comdat
	.protected	_ZN7rocprim17ROCPRIM_400000_NS6detail17trampoline_kernelINS0_14default_configENS1_25partition_config_selectorILNS1_17partition_subalgoE6EdNS0_10empty_typeEbEEZZNS1_14partition_implILS5_6ELb0ES3_mN6thrust23THRUST_200600_302600_NS6detail15normal_iteratorINSA_10device_ptrIdEEEEPS6_SG_NS0_5tupleIJNSA_16discard_iteratorINSA_11use_defaultEEES6_EEENSH_IJSG_SG_EEES6_PlJNSB_9not_fun_tI7is_trueIdEEEEEE10hipError_tPvRmT3_T4_T5_T6_T7_T9_mT8_P12ihipStream_tbDpT10_ENKUlT_T0_E_clISt17integral_constantIbLb1EES1A_IbLb0EEEEDaS16_S17_EUlS16_E_NS1_11comp_targetILNS1_3genE10ELNS1_11target_archE1200ELNS1_3gpuE4ELNS1_3repE0EEENS1_30default_config_static_selectorELNS0_4arch9wavefront6targetE0EEEvT1_ ; -- Begin function _ZN7rocprim17ROCPRIM_400000_NS6detail17trampoline_kernelINS0_14default_configENS1_25partition_config_selectorILNS1_17partition_subalgoE6EdNS0_10empty_typeEbEEZZNS1_14partition_implILS5_6ELb0ES3_mN6thrust23THRUST_200600_302600_NS6detail15normal_iteratorINSA_10device_ptrIdEEEEPS6_SG_NS0_5tupleIJNSA_16discard_iteratorINSA_11use_defaultEEES6_EEENSH_IJSG_SG_EEES6_PlJNSB_9not_fun_tI7is_trueIdEEEEEE10hipError_tPvRmT3_T4_T5_T6_T7_T9_mT8_P12ihipStream_tbDpT10_ENKUlT_T0_E_clISt17integral_constantIbLb1EES1A_IbLb0EEEEDaS16_S17_EUlS16_E_NS1_11comp_targetILNS1_3genE10ELNS1_11target_archE1200ELNS1_3gpuE4ELNS1_3repE0EEENS1_30default_config_static_selectorELNS0_4arch9wavefront6targetE0EEEvT1_
	.globl	_ZN7rocprim17ROCPRIM_400000_NS6detail17trampoline_kernelINS0_14default_configENS1_25partition_config_selectorILNS1_17partition_subalgoE6EdNS0_10empty_typeEbEEZZNS1_14partition_implILS5_6ELb0ES3_mN6thrust23THRUST_200600_302600_NS6detail15normal_iteratorINSA_10device_ptrIdEEEEPS6_SG_NS0_5tupleIJNSA_16discard_iteratorINSA_11use_defaultEEES6_EEENSH_IJSG_SG_EEES6_PlJNSB_9not_fun_tI7is_trueIdEEEEEE10hipError_tPvRmT3_T4_T5_T6_T7_T9_mT8_P12ihipStream_tbDpT10_ENKUlT_T0_E_clISt17integral_constantIbLb1EES1A_IbLb0EEEEDaS16_S17_EUlS16_E_NS1_11comp_targetILNS1_3genE10ELNS1_11target_archE1200ELNS1_3gpuE4ELNS1_3repE0EEENS1_30default_config_static_selectorELNS0_4arch9wavefront6targetE0EEEvT1_
	.p2align	8
	.type	_ZN7rocprim17ROCPRIM_400000_NS6detail17trampoline_kernelINS0_14default_configENS1_25partition_config_selectorILNS1_17partition_subalgoE6EdNS0_10empty_typeEbEEZZNS1_14partition_implILS5_6ELb0ES3_mN6thrust23THRUST_200600_302600_NS6detail15normal_iteratorINSA_10device_ptrIdEEEEPS6_SG_NS0_5tupleIJNSA_16discard_iteratorINSA_11use_defaultEEES6_EEENSH_IJSG_SG_EEES6_PlJNSB_9not_fun_tI7is_trueIdEEEEEE10hipError_tPvRmT3_T4_T5_T6_T7_T9_mT8_P12ihipStream_tbDpT10_ENKUlT_T0_E_clISt17integral_constantIbLb1EES1A_IbLb0EEEEDaS16_S17_EUlS16_E_NS1_11comp_targetILNS1_3genE10ELNS1_11target_archE1200ELNS1_3gpuE4ELNS1_3repE0EEENS1_30default_config_static_selectorELNS0_4arch9wavefront6targetE0EEEvT1_,@function
_ZN7rocprim17ROCPRIM_400000_NS6detail17trampoline_kernelINS0_14default_configENS1_25partition_config_selectorILNS1_17partition_subalgoE6EdNS0_10empty_typeEbEEZZNS1_14partition_implILS5_6ELb0ES3_mN6thrust23THRUST_200600_302600_NS6detail15normal_iteratorINSA_10device_ptrIdEEEEPS6_SG_NS0_5tupleIJNSA_16discard_iteratorINSA_11use_defaultEEES6_EEENSH_IJSG_SG_EEES6_PlJNSB_9not_fun_tI7is_trueIdEEEEEE10hipError_tPvRmT3_T4_T5_T6_T7_T9_mT8_P12ihipStream_tbDpT10_ENKUlT_T0_E_clISt17integral_constantIbLb1EES1A_IbLb0EEEEDaS16_S17_EUlS16_E_NS1_11comp_targetILNS1_3genE10ELNS1_11target_archE1200ELNS1_3gpuE4ELNS1_3repE0EEENS1_30default_config_static_selectorELNS0_4arch9wavefront6targetE0EEEvT1_: ; @_ZN7rocprim17ROCPRIM_400000_NS6detail17trampoline_kernelINS0_14default_configENS1_25partition_config_selectorILNS1_17partition_subalgoE6EdNS0_10empty_typeEbEEZZNS1_14partition_implILS5_6ELb0ES3_mN6thrust23THRUST_200600_302600_NS6detail15normal_iteratorINSA_10device_ptrIdEEEEPS6_SG_NS0_5tupleIJNSA_16discard_iteratorINSA_11use_defaultEEES6_EEENSH_IJSG_SG_EEES6_PlJNSB_9not_fun_tI7is_trueIdEEEEEE10hipError_tPvRmT3_T4_T5_T6_T7_T9_mT8_P12ihipStream_tbDpT10_ENKUlT_T0_E_clISt17integral_constantIbLb1EES1A_IbLb0EEEEDaS16_S17_EUlS16_E_NS1_11comp_targetILNS1_3genE10ELNS1_11target_archE1200ELNS1_3gpuE4ELNS1_3repE0EEENS1_30default_config_static_selectorELNS0_4arch9wavefront6targetE0EEEvT1_
; %bb.0:
	s_endpgm
	.section	.rodata,"a",@progbits
	.p2align	6, 0x0
	.amdhsa_kernel _ZN7rocprim17ROCPRIM_400000_NS6detail17trampoline_kernelINS0_14default_configENS1_25partition_config_selectorILNS1_17partition_subalgoE6EdNS0_10empty_typeEbEEZZNS1_14partition_implILS5_6ELb0ES3_mN6thrust23THRUST_200600_302600_NS6detail15normal_iteratorINSA_10device_ptrIdEEEEPS6_SG_NS0_5tupleIJNSA_16discard_iteratorINSA_11use_defaultEEES6_EEENSH_IJSG_SG_EEES6_PlJNSB_9not_fun_tI7is_trueIdEEEEEE10hipError_tPvRmT3_T4_T5_T6_T7_T9_mT8_P12ihipStream_tbDpT10_ENKUlT_T0_E_clISt17integral_constantIbLb1EES1A_IbLb0EEEEDaS16_S17_EUlS16_E_NS1_11comp_targetILNS1_3genE10ELNS1_11target_archE1200ELNS1_3gpuE4ELNS1_3repE0EEENS1_30default_config_static_selectorELNS0_4arch9wavefront6targetE0EEEvT1_
		.amdhsa_group_segment_fixed_size 0
		.amdhsa_private_segment_fixed_size 0
		.amdhsa_kernarg_size 120
		.amdhsa_user_sgpr_count 2
		.amdhsa_user_sgpr_dispatch_ptr 0
		.amdhsa_user_sgpr_queue_ptr 0
		.amdhsa_user_sgpr_kernarg_segment_ptr 1
		.amdhsa_user_sgpr_dispatch_id 0
		.amdhsa_user_sgpr_private_segment_size 0
		.amdhsa_wavefront_size32 1
		.amdhsa_uses_dynamic_stack 0
		.amdhsa_enable_private_segment 0
		.amdhsa_system_sgpr_workgroup_id_x 1
		.amdhsa_system_sgpr_workgroup_id_y 0
		.amdhsa_system_sgpr_workgroup_id_z 0
		.amdhsa_system_sgpr_workgroup_info 0
		.amdhsa_system_vgpr_workitem_id 0
		.amdhsa_next_free_vgpr 1
		.amdhsa_next_free_sgpr 1
		.amdhsa_reserve_vcc 0
		.amdhsa_float_round_mode_32 0
		.amdhsa_float_round_mode_16_64 0
		.amdhsa_float_denorm_mode_32 3
		.amdhsa_float_denorm_mode_16_64 3
		.amdhsa_fp16_overflow 0
		.amdhsa_workgroup_processor_mode 1
		.amdhsa_memory_ordered 1
		.amdhsa_forward_progress 1
		.amdhsa_inst_pref_size 1
		.amdhsa_round_robin_scheduling 0
		.amdhsa_exception_fp_ieee_invalid_op 0
		.amdhsa_exception_fp_denorm_src 0
		.amdhsa_exception_fp_ieee_div_zero 0
		.amdhsa_exception_fp_ieee_overflow 0
		.amdhsa_exception_fp_ieee_underflow 0
		.amdhsa_exception_fp_ieee_inexact 0
		.amdhsa_exception_int_div_zero 0
	.end_amdhsa_kernel
	.section	.text._ZN7rocprim17ROCPRIM_400000_NS6detail17trampoline_kernelINS0_14default_configENS1_25partition_config_selectorILNS1_17partition_subalgoE6EdNS0_10empty_typeEbEEZZNS1_14partition_implILS5_6ELb0ES3_mN6thrust23THRUST_200600_302600_NS6detail15normal_iteratorINSA_10device_ptrIdEEEEPS6_SG_NS0_5tupleIJNSA_16discard_iteratorINSA_11use_defaultEEES6_EEENSH_IJSG_SG_EEES6_PlJNSB_9not_fun_tI7is_trueIdEEEEEE10hipError_tPvRmT3_T4_T5_T6_T7_T9_mT8_P12ihipStream_tbDpT10_ENKUlT_T0_E_clISt17integral_constantIbLb1EES1A_IbLb0EEEEDaS16_S17_EUlS16_E_NS1_11comp_targetILNS1_3genE10ELNS1_11target_archE1200ELNS1_3gpuE4ELNS1_3repE0EEENS1_30default_config_static_selectorELNS0_4arch9wavefront6targetE0EEEvT1_,"axG",@progbits,_ZN7rocprim17ROCPRIM_400000_NS6detail17trampoline_kernelINS0_14default_configENS1_25partition_config_selectorILNS1_17partition_subalgoE6EdNS0_10empty_typeEbEEZZNS1_14partition_implILS5_6ELb0ES3_mN6thrust23THRUST_200600_302600_NS6detail15normal_iteratorINSA_10device_ptrIdEEEEPS6_SG_NS0_5tupleIJNSA_16discard_iteratorINSA_11use_defaultEEES6_EEENSH_IJSG_SG_EEES6_PlJNSB_9not_fun_tI7is_trueIdEEEEEE10hipError_tPvRmT3_T4_T5_T6_T7_T9_mT8_P12ihipStream_tbDpT10_ENKUlT_T0_E_clISt17integral_constantIbLb1EES1A_IbLb0EEEEDaS16_S17_EUlS16_E_NS1_11comp_targetILNS1_3genE10ELNS1_11target_archE1200ELNS1_3gpuE4ELNS1_3repE0EEENS1_30default_config_static_selectorELNS0_4arch9wavefront6targetE0EEEvT1_,comdat
.Lfunc_end2098:
	.size	_ZN7rocprim17ROCPRIM_400000_NS6detail17trampoline_kernelINS0_14default_configENS1_25partition_config_selectorILNS1_17partition_subalgoE6EdNS0_10empty_typeEbEEZZNS1_14partition_implILS5_6ELb0ES3_mN6thrust23THRUST_200600_302600_NS6detail15normal_iteratorINSA_10device_ptrIdEEEEPS6_SG_NS0_5tupleIJNSA_16discard_iteratorINSA_11use_defaultEEES6_EEENSH_IJSG_SG_EEES6_PlJNSB_9not_fun_tI7is_trueIdEEEEEE10hipError_tPvRmT3_T4_T5_T6_T7_T9_mT8_P12ihipStream_tbDpT10_ENKUlT_T0_E_clISt17integral_constantIbLb1EES1A_IbLb0EEEEDaS16_S17_EUlS16_E_NS1_11comp_targetILNS1_3genE10ELNS1_11target_archE1200ELNS1_3gpuE4ELNS1_3repE0EEENS1_30default_config_static_selectorELNS0_4arch9wavefront6targetE0EEEvT1_, .Lfunc_end2098-_ZN7rocprim17ROCPRIM_400000_NS6detail17trampoline_kernelINS0_14default_configENS1_25partition_config_selectorILNS1_17partition_subalgoE6EdNS0_10empty_typeEbEEZZNS1_14partition_implILS5_6ELb0ES3_mN6thrust23THRUST_200600_302600_NS6detail15normal_iteratorINSA_10device_ptrIdEEEEPS6_SG_NS0_5tupleIJNSA_16discard_iteratorINSA_11use_defaultEEES6_EEENSH_IJSG_SG_EEES6_PlJNSB_9not_fun_tI7is_trueIdEEEEEE10hipError_tPvRmT3_T4_T5_T6_T7_T9_mT8_P12ihipStream_tbDpT10_ENKUlT_T0_E_clISt17integral_constantIbLb1EES1A_IbLb0EEEEDaS16_S17_EUlS16_E_NS1_11comp_targetILNS1_3genE10ELNS1_11target_archE1200ELNS1_3gpuE4ELNS1_3repE0EEENS1_30default_config_static_selectorELNS0_4arch9wavefront6targetE0EEEvT1_
                                        ; -- End function
	.set _ZN7rocprim17ROCPRIM_400000_NS6detail17trampoline_kernelINS0_14default_configENS1_25partition_config_selectorILNS1_17partition_subalgoE6EdNS0_10empty_typeEbEEZZNS1_14partition_implILS5_6ELb0ES3_mN6thrust23THRUST_200600_302600_NS6detail15normal_iteratorINSA_10device_ptrIdEEEEPS6_SG_NS0_5tupleIJNSA_16discard_iteratorINSA_11use_defaultEEES6_EEENSH_IJSG_SG_EEES6_PlJNSB_9not_fun_tI7is_trueIdEEEEEE10hipError_tPvRmT3_T4_T5_T6_T7_T9_mT8_P12ihipStream_tbDpT10_ENKUlT_T0_E_clISt17integral_constantIbLb1EES1A_IbLb0EEEEDaS16_S17_EUlS16_E_NS1_11comp_targetILNS1_3genE10ELNS1_11target_archE1200ELNS1_3gpuE4ELNS1_3repE0EEENS1_30default_config_static_selectorELNS0_4arch9wavefront6targetE0EEEvT1_.num_vgpr, 0
	.set _ZN7rocprim17ROCPRIM_400000_NS6detail17trampoline_kernelINS0_14default_configENS1_25partition_config_selectorILNS1_17partition_subalgoE6EdNS0_10empty_typeEbEEZZNS1_14partition_implILS5_6ELb0ES3_mN6thrust23THRUST_200600_302600_NS6detail15normal_iteratorINSA_10device_ptrIdEEEEPS6_SG_NS0_5tupleIJNSA_16discard_iteratorINSA_11use_defaultEEES6_EEENSH_IJSG_SG_EEES6_PlJNSB_9not_fun_tI7is_trueIdEEEEEE10hipError_tPvRmT3_T4_T5_T6_T7_T9_mT8_P12ihipStream_tbDpT10_ENKUlT_T0_E_clISt17integral_constantIbLb1EES1A_IbLb0EEEEDaS16_S17_EUlS16_E_NS1_11comp_targetILNS1_3genE10ELNS1_11target_archE1200ELNS1_3gpuE4ELNS1_3repE0EEENS1_30default_config_static_selectorELNS0_4arch9wavefront6targetE0EEEvT1_.num_agpr, 0
	.set _ZN7rocprim17ROCPRIM_400000_NS6detail17trampoline_kernelINS0_14default_configENS1_25partition_config_selectorILNS1_17partition_subalgoE6EdNS0_10empty_typeEbEEZZNS1_14partition_implILS5_6ELb0ES3_mN6thrust23THRUST_200600_302600_NS6detail15normal_iteratorINSA_10device_ptrIdEEEEPS6_SG_NS0_5tupleIJNSA_16discard_iteratorINSA_11use_defaultEEES6_EEENSH_IJSG_SG_EEES6_PlJNSB_9not_fun_tI7is_trueIdEEEEEE10hipError_tPvRmT3_T4_T5_T6_T7_T9_mT8_P12ihipStream_tbDpT10_ENKUlT_T0_E_clISt17integral_constantIbLb1EES1A_IbLb0EEEEDaS16_S17_EUlS16_E_NS1_11comp_targetILNS1_3genE10ELNS1_11target_archE1200ELNS1_3gpuE4ELNS1_3repE0EEENS1_30default_config_static_selectorELNS0_4arch9wavefront6targetE0EEEvT1_.numbered_sgpr, 0
	.set _ZN7rocprim17ROCPRIM_400000_NS6detail17trampoline_kernelINS0_14default_configENS1_25partition_config_selectorILNS1_17partition_subalgoE6EdNS0_10empty_typeEbEEZZNS1_14partition_implILS5_6ELb0ES3_mN6thrust23THRUST_200600_302600_NS6detail15normal_iteratorINSA_10device_ptrIdEEEEPS6_SG_NS0_5tupleIJNSA_16discard_iteratorINSA_11use_defaultEEES6_EEENSH_IJSG_SG_EEES6_PlJNSB_9not_fun_tI7is_trueIdEEEEEE10hipError_tPvRmT3_T4_T5_T6_T7_T9_mT8_P12ihipStream_tbDpT10_ENKUlT_T0_E_clISt17integral_constantIbLb1EES1A_IbLb0EEEEDaS16_S17_EUlS16_E_NS1_11comp_targetILNS1_3genE10ELNS1_11target_archE1200ELNS1_3gpuE4ELNS1_3repE0EEENS1_30default_config_static_selectorELNS0_4arch9wavefront6targetE0EEEvT1_.num_named_barrier, 0
	.set _ZN7rocprim17ROCPRIM_400000_NS6detail17trampoline_kernelINS0_14default_configENS1_25partition_config_selectorILNS1_17partition_subalgoE6EdNS0_10empty_typeEbEEZZNS1_14partition_implILS5_6ELb0ES3_mN6thrust23THRUST_200600_302600_NS6detail15normal_iteratorINSA_10device_ptrIdEEEEPS6_SG_NS0_5tupleIJNSA_16discard_iteratorINSA_11use_defaultEEES6_EEENSH_IJSG_SG_EEES6_PlJNSB_9not_fun_tI7is_trueIdEEEEEE10hipError_tPvRmT3_T4_T5_T6_T7_T9_mT8_P12ihipStream_tbDpT10_ENKUlT_T0_E_clISt17integral_constantIbLb1EES1A_IbLb0EEEEDaS16_S17_EUlS16_E_NS1_11comp_targetILNS1_3genE10ELNS1_11target_archE1200ELNS1_3gpuE4ELNS1_3repE0EEENS1_30default_config_static_selectorELNS0_4arch9wavefront6targetE0EEEvT1_.private_seg_size, 0
	.set _ZN7rocprim17ROCPRIM_400000_NS6detail17trampoline_kernelINS0_14default_configENS1_25partition_config_selectorILNS1_17partition_subalgoE6EdNS0_10empty_typeEbEEZZNS1_14partition_implILS5_6ELb0ES3_mN6thrust23THRUST_200600_302600_NS6detail15normal_iteratorINSA_10device_ptrIdEEEEPS6_SG_NS0_5tupleIJNSA_16discard_iteratorINSA_11use_defaultEEES6_EEENSH_IJSG_SG_EEES6_PlJNSB_9not_fun_tI7is_trueIdEEEEEE10hipError_tPvRmT3_T4_T5_T6_T7_T9_mT8_P12ihipStream_tbDpT10_ENKUlT_T0_E_clISt17integral_constantIbLb1EES1A_IbLb0EEEEDaS16_S17_EUlS16_E_NS1_11comp_targetILNS1_3genE10ELNS1_11target_archE1200ELNS1_3gpuE4ELNS1_3repE0EEENS1_30default_config_static_selectorELNS0_4arch9wavefront6targetE0EEEvT1_.uses_vcc, 0
	.set _ZN7rocprim17ROCPRIM_400000_NS6detail17trampoline_kernelINS0_14default_configENS1_25partition_config_selectorILNS1_17partition_subalgoE6EdNS0_10empty_typeEbEEZZNS1_14partition_implILS5_6ELb0ES3_mN6thrust23THRUST_200600_302600_NS6detail15normal_iteratorINSA_10device_ptrIdEEEEPS6_SG_NS0_5tupleIJNSA_16discard_iteratorINSA_11use_defaultEEES6_EEENSH_IJSG_SG_EEES6_PlJNSB_9not_fun_tI7is_trueIdEEEEEE10hipError_tPvRmT3_T4_T5_T6_T7_T9_mT8_P12ihipStream_tbDpT10_ENKUlT_T0_E_clISt17integral_constantIbLb1EES1A_IbLb0EEEEDaS16_S17_EUlS16_E_NS1_11comp_targetILNS1_3genE10ELNS1_11target_archE1200ELNS1_3gpuE4ELNS1_3repE0EEENS1_30default_config_static_selectorELNS0_4arch9wavefront6targetE0EEEvT1_.uses_flat_scratch, 0
	.set _ZN7rocprim17ROCPRIM_400000_NS6detail17trampoline_kernelINS0_14default_configENS1_25partition_config_selectorILNS1_17partition_subalgoE6EdNS0_10empty_typeEbEEZZNS1_14partition_implILS5_6ELb0ES3_mN6thrust23THRUST_200600_302600_NS6detail15normal_iteratorINSA_10device_ptrIdEEEEPS6_SG_NS0_5tupleIJNSA_16discard_iteratorINSA_11use_defaultEEES6_EEENSH_IJSG_SG_EEES6_PlJNSB_9not_fun_tI7is_trueIdEEEEEE10hipError_tPvRmT3_T4_T5_T6_T7_T9_mT8_P12ihipStream_tbDpT10_ENKUlT_T0_E_clISt17integral_constantIbLb1EES1A_IbLb0EEEEDaS16_S17_EUlS16_E_NS1_11comp_targetILNS1_3genE10ELNS1_11target_archE1200ELNS1_3gpuE4ELNS1_3repE0EEENS1_30default_config_static_selectorELNS0_4arch9wavefront6targetE0EEEvT1_.has_dyn_sized_stack, 0
	.set _ZN7rocprim17ROCPRIM_400000_NS6detail17trampoline_kernelINS0_14default_configENS1_25partition_config_selectorILNS1_17partition_subalgoE6EdNS0_10empty_typeEbEEZZNS1_14partition_implILS5_6ELb0ES3_mN6thrust23THRUST_200600_302600_NS6detail15normal_iteratorINSA_10device_ptrIdEEEEPS6_SG_NS0_5tupleIJNSA_16discard_iteratorINSA_11use_defaultEEES6_EEENSH_IJSG_SG_EEES6_PlJNSB_9not_fun_tI7is_trueIdEEEEEE10hipError_tPvRmT3_T4_T5_T6_T7_T9_mT8_P12ihipStream_tbDpT10_ENKUlT_T0_E_clISt17integral_constantIbLb1EES1A_IbLb0EEEEDaS16_S17_EUlS16_E_NS1_11comp_targetILNS1_3genE10ELNS1_11target_archE1200ELNS1_3gpuE4ELNS1_3repE0EEENS1_30default_config_static_selectorELNS0_4arch9wavefront6targetE0EEEvT1_.has_recursion, 0
	.set _ZN7rocprim17ROCPRIM_400000_NS6detail17trampoline_kernelINS0_14default_configENS1_25partition_config_selectorILNS1_17partition_subalgoE6EdNS0_10empty_typeEbEEZZNS1_14partition_implILS5_6ELb0ES3_mN6thrust23THRUST_200600_302600_NS6detail15normal_iteratorINSA_10device_ptrIdEEEEPS6_SG_NS0_5tupleIJNSA_16discard_iteratorINSA_11use_defaultEEES6_EEENSH_IJSG_SG_EEES6_PlJNSB_9not_fun_tI7is_trueIdEEEEEE10hipError_tPvRmT3_T4_T5_T6_T7_T9_mT8_P12ihipStream_tbDpT10_ENKUlT_T0_E_clISt17integral_constantIbLb1EES1A_IbLb0EEEEDaS16_S17_EUlS16_E_NS1_11comp_targetILNS1_3genE10ELNS1_11target_archE1200ELNS1_3gpuE4ELNS1_3repE0EEENS1_30default_config_static_selectorELNS0_4arch9wavefront6targetE0EEEvT1_.has_indirect_call, 0
	.section	.AMDGPU.csdata,"",@progbits
; Kernel info:
; codeLenInByte = 4
; TotalNumSgprs: 0
; NumVgprs: 0
; ScratchSize: 0
; MemoryBound: 0
; FloatMode: 240
; IeeeMode: 1
; LDSByteSize: 0 bytes/workgroup (compile time only)
; SGPRBlocks: 0
; VGPRBlocks: 0
; NumSGPRsForWavesPerEU: 1
; NumVGPRsForWavesPerEU: 1
; Occupancy: 16
; WaveLimiterHint : 0
; COMPUTE_PGM_RSRC2:SCRATCH_EN: 0
; COMPUTE_PGM_RSRC2:USER_SGPR: 2
; COMPUTE_PGM_RSRC2:TRAP_HANDLER: 0
; COMPUTE_PGM_RSRC2:TGID_X_EN: 1
; COMPUTE_PGM_RSRC2:TGID_Y_EN: 0
; COMPUTE_PGM_RSRC2:TGID_Z_EN: 0
; COMPUTE_PGM_RSRC2:TIDIG_COMP_CNT: 0
	.section	.text._ZN7rocprim17ROCPRIM_400000_NS6detail17trampoline_kernelINS0_14default_configENS1_25partition_config_selectorILNS1_17partition_subalgoE6EdNS0_10empty_typeEbEEZZNS1_14partition_implILS5_6ELb0ES3_mN6thrust23THRUST_200600_302600_NS6detail15normal_iteratorINSA_10device_ptrIdEEEEPS6_SG_NS0_5tupleIJNSA_16discard_iteratorINSA_11use_defaultEEES6_EEENSH_IJSG_SG_EEES6_PlJNSB_9not_fun_tI7is_trueIdEEEEEE10hipError_tPvRmT3_T4_T5_T6_T7_T9_mT8_P12ihipStream_tbDpT10_ENKUlT_T0_E_clISt17integral_constantIbLb1EES1A_IbLb0EEEEDaS16_S17_EUlS16_E_NS1_11comp_targetILNS1_3genE9ELNS1_11target_archE1100ELNS1_3gpuE3ELNS1_3repE0EEENS1_30default_config_static_selectorELNS0_4arch9wavefront6targetE0EEEvT1_,"axG",@progbits,_ZN7rocprim17ROCPRIM_400000_NS6detail17trampoline_kernelINS0_14default_configENS1_25partition_config_selectorILNS1_17partition_subalgoE6EdNS0_10empty_typeEbEEZZNS1_14partition_implILS5_6ELb0ES3_mN6thrust23THRUST_200600_302600_NS6detail15normal_iteratorINSA_10device_ptrIdEEEEPS6_SG_NS0_5tupleIJNSA_16discard_iteratorINSA_11use_defaultEEES6_EEENSH_IJSG_SG_EEES6_PlJNSB_9not_fun_tI7is_trueIdEEEEEE10hipError_tPvRmT3_T4_T5_T6_T7_T9_mT8_P12ihipStream_tbDpT10_ENKUlT_T0_E_clISt17integral_constantIbLb1EES1A_IbLb0EEEEDaS16_S17_EUlS16_E_NS1_11comp_targetILNS1_3genE9ELNS1_11target_archE1100ELNS1_3gpuE3ELNS1_3repE0EEENS1_30default_config_static_selectorELNS0_4arch9wavefront6targetE0EEEvT1_,comdat
	.protected	_ZN7rocprim17ROCPRIM_400000_NS6detail17trampoline_kernelINS0_14default_configENS1_25partition_config_selectorILNS1_17partition_subalgoE6EdNS0_10empty_typeEbEEZZNS1_14partition_implILS5_6ELb0ES3_mN6thrust23THRUST_200600_302600_NS6detail15normal_iteratorINSA_10device_ptrIdEEEEPS6_SG_NS0_5tupleIJNSA_16discard_iteratorINSA_11use_defaultEEES6_EEENSH_IJSG_SG_EEES6_PlJNSB_9not_fun_tI7is_trueIdEEEEEE10hipError_tPvRmT3_T4_T5_T6_T7_T9_mT8_P12ihipStream_tbDpT10_ENKUlT_T0_E_clISt17integral_constantIbLb1EES1A_IbLb0EEEEDaS16_S17_EUlS16_E_NS1_11comp_targetILNS1_3genE9ELNS1_11target_archE1100ELNS1_3gpuE3ELNS1_3repE0EEENS1_30default_config_static_selectorELNS0_4arch9wavefront6targetE0EEEvT1_ ; -- Begin function _ZN7rocprim17ROCPRIM_400000_NS6detail17trampoline_kernelINS0_14default_configENS1_25partition_config_selectorILNS1_17partition_subalgoE6EdNS0_10empty_typeEbEEZZNS1_14partition_implILS5_6ELb0ES3_mN6thrust23THRUST_200600_302600_NS6detail15normal_iteratorINSA_10device_ptrIdEEEEPS6_SG_NS0_5tupleIJNSA_16discard_iteratorINSA_11use_defaultEEES6_EEENSH_IJSG_SG_EEES6_PlJNSB_9not_fun_tI7is_trueIdEEEEEE10hipError_tPvRmT3_T4_T5_T6_T7_T9_mT8_P12ihipStream_tbDpT10_ENKUlT_T0_E_clISt17integral_constantIbLb1EES1A_IbLb0EEEEDaS16_S17_EUlS16_E_NS1_11comp_targetILNS1_3genE9ELNS1_11target_archE1100ELNS1_3gpuE3ELNS1_3repE0EEENS1_30default_config_static_selectorELNS0_4arch9wavefront6targetE0EEEvT1_
	.globl	_ZN7rocprim17ROCPRIM_400000_NS6detail17trampoline_kernelINS0_14default_configENS1_25partition_config_selectorILNS1_17partition_subalgoE6EdNS0_10empty_typeEbEEZZNS1_14partition_implILS5_6ELb0ES3_mN6thrust23THRUST_200600_302600_NS6detail15normal_iteratorINSA_10device_ptrIdEEEEPS6_SG_NS0_5tupleIJNSA_16discard_iteratorINSA_11use_defaultEEES6_EEENSH_IJSG_SG_EEES6_PlJNSB_9not_fun_tI7is_trueIdEEEEEE10hipError_tPvRmT3_T4_T5_T6_T7_T9_mT8_P12ihipStream_tbDpT10_ENKUlT_T0_E_clISt17integral_constantIbLb1EES1A_IbLb0EEEEDaS16_S17_EUlS16_E_NS1_11comp_targetILNS1_3genE9ELNS1_11target_archE1100ELNS1_3gpuE3ELNS1_3repE0EEENS1_30default_config_static_selectorELNS0_4arch9wavefront6targetE0EEEvT1_
	.p2align	8
	.type	_ZN7rocprim17ROCPRIM_400000_NS6detail17trampoline_kernelINS0_14default_configENS1_25partition_config_selectorILNS1_17partition_subalgoE6EdNS0_10empty_typeEbEEZZNS1_14partition_implILS5_6ELb0ES3_mN6thrust23THRUST_200600_302600_NS6detail15normal_iteratorINSA_10device_ptrIdEEEEPS6_SG_NS0_5tupleIJNSA_16discard_iteratorINSA_11use_defaultEEES6_EEENSH_IJSG_SG_EEES6_PlJNSB_9not_fun_tI7is_trueIdEEEEEE10hipError_tPvRmT3_T4_T5_T6_T7_T9_mT8_P12ihipStream_tbDpT10_ENKUlT_T0_E_clISt17integral_constantIbLb1EES1A_IbLb0EEEEDaS16_S17_EUlS16_E_NS1_11comp_targetILNS1_3genE9ELNS1_11target_archE1100ELNS1_3gpuE3ELNS1_3repE0EEENS1_30default_config_static_selectorELNS0_4arch9wavefront6targetE0EEEvT1_,@function
_ZN7rocprim17ROCPRIM_400000_NS6detail17trampoline_kernelINS0_14default_configENS1_25partition_config_selectorILNS1_17partition_subalgoE6EdNS0_10empty_typeEbEEZZNS1_14partition_implILS5_6ELb0ES3_mN6thrust23THRUST_200600_302600_NS6detail15normal_iteratorINSA_10device_ptrIdEEEEPS6_SG_NS0_5tupleIJNSA_16discard_iteratorINSA_11use_defaultEEES6_EEENSH_IJSG_SG_EEES6_PlJNSB_9not_fun_tI7is_trueIdEEEEEE10hipError_tPvRmT3_T4_T5_T6_T7_T9_mT8_P12ihipStream_tbDpT10_ENKUlT_T0_E_clISt17integral_constantIbLb1EES1A_IbLb0EEEEDaS16_S17_EUlS16_E_NS1_11comp_targetILNS1_3genE9ELNS1_11target_archE1100ELNS1_3gpuE3ELNS1_3repE0EEENS1_30default_config_static_selectorELNS0_4arch9wavefront6targetE0EEEvT1_: ; @_ZN7rocprim17ROCPRIM_400000_NS6detail17trampoline_kernelINS0_14default_configENS1_25partition_config_selectorILNS1_17partition_subalgoE6EdNS0_10empty_typeEbEEZZNS1_14partition_implILS5_6ELb0ES3_mN6thrust23THRUST_200600_302600_NS6detail15normal_iteratorINSA_10device_ptrIdEEEEPS6_SG_NS0_5tupleIJNSA_16discard_iteratorINSA_11use_defaultEEES6_EEENSH_IJSG_SG_EEES6_PlJNSB_9not_fun_tI7is_trueIdEEEEEE10hipError_tPvRmT3_T4_T5_T6_T7_T9_mT8_P12ihipStream_tbDpT10_ENKUlT_T0_E_clISt17integral_constantIbLb1EES1A_IbLb0EEEEDaS16_S17_EUlS16_E_NS1_11comp_targetILNS1_3genE9ELNS1_11target_archE1100ELNS1_3gpuE3ELNS1_3repE0EEENS1_30default_config_static_selectorELNS0_4arch9wavefront6targetE0EEEvT1_
; %bb.0:
	.section	.rodata,"a",@progbits
	.p2align	6, 0x0
	.amdhsa_kernel _ZN7rocprim17ROCPRIM_400000_NS6detail17trampoline_kernelINS0_14default_configENS1_25partition_config_selectorILNS1_17partition_subalgoE6EdNS0_10empty_typeEbEEZZNS1_14partition_implILS5_6ELb0ES3_mN6thrust23THRUST_200600_302600_NS6detail15normal_iteratorINSA_10device_ptrIdEEEEPS6_SG_NS0_5tupleIJNSA_16discard_iteratorINSA_11use_defaultEEES6_EEENSH_IJSG_SG_EEES6_PlJNSB_9not_fun_tI7is_trueIdEEEEEE10hipError_tPvRmT3_T4_T5_T6_T7_T9_mT8_P12ihipStream_tbDpT10_ENKUlT_T0_E_clISt17integral_constantIbLb1EES1A_IbLb0EEEEDaS16_S17_EUlS16_E_NS1_11comp_targetILNS1_3genE9ELNS1_11target_archE1100ELNS1_3gpuE3ELNS1_3repE0EEENS1_30default_config_static_selectorELNS0_4arch9wavefront6targetE0EEEvT1_
		.amdhsa_group_segment_fixed_size 0
		.amdhsa_private_segment_fixed_size 0
		.amdhsa_kernarg_size 120
		.amdhsa_user_sgpr_count 2
		.amdhsa_user_sgpr_dispatch_ptr 0
		.amdhsa_user_sgpr_queue_ptr 0
		.amdhsa_user_sgpr_kernarg_segment_ptr 1
		.amdhsa_user_sgpr_dispatch_id 0
		.amdhsa_user_sgpr_private_segment_size 0
		.amdhsa_wavefront_size32 1
		.amdhsa_uses_dynamic_stack 0
		.amdhsa_enable_private_segment 0
		.amdhsa_system_sgpr_workgroup_id_x 1
		.amdhsa_system_sgpr_workgroup_id_y 0
		.amdhsa_system_sgpr_workgroup_id_z 0
		.amdhsa_system_sgpr_workgroup_info 0
		.amdhsa_system_vgpr_workitem_id 0
		.amdhsa_next_free_vgpr 1
		.amdhsa_next_free_sgpr 1
		.amdhsa_reserve_vcc 0
		.amdhsa_float_round_mode_32 0
		.amdhsa_float_round_mode_16_64 0
		.amdhsa_float_denorm_mode_32 3
		.amdhsa_float_denorm_mode_16_64 3
		.amdhsa_fp16_overflow 0
		.amdhsa_workgroup_processor_mode 1
		.amdhsa_memory_ordered 1
		.amdhsa_forward_progress 1
		.amdhsa_inst_pref_size 0
		.amdhsa_round_robin_scheduling 0
		.amdhsa_exception_fp_ieee_invalid_op 0
		.amdhsa_exception_fp_denorm_src 0
		.amdhsa_exception_fp_ieee_div_zero 0
		.amdhsa_exception_fp_ieee_overflow 0
		.amdhsa_exception_fp_ieee_underflow 0
		.amdhsa_exception_fp_ieee_inexact 0
		.amdhsa_exception_int_div_zero 0
	.end_amdhsa_kernel
	.section	.text._ZN7rocprim17ROCPRIM_400000_NS6detail17trampoline_kernelINS0_14default_configENS1_25partition_config_selectorILNS1_17partition_subalgoE6EdNS0_10empty_typeEbEEZZNS1_14partition_implILS5_6ELb0ES3_mN6thrust23THRUST_200600_302600_NS6detail15normal_iteratorINSA_10device_ptrIdEEEEPS6_SG_NS0_5tupleIJNSA_16discard_iteratorINSA_11use_defaultEEES6_EEENSH_IJSG_SG_EEES6_PlJNSB_9not_fun_tI7is_trueIdEEEEEE10hipError_tPvRmT3_T4_T5_T6_T7_T9_mT8_P12ihipStream_tbDpT10_ENKUlT_T0_E_clISt17integral_constantIbLb1EES1A_IbLb0EEEEDaS16_S17_EUlS16_E_NS1_11comp_targetILNS1_3genE9ELNS1_11target_archE1100ELNS1_3gpuE3ELNS1_3repE0EEENS1_30default_config_static_selectorELNS0_4arch9wavefront6targetE0EEEvT1_,"axG",@progbits,_ZN7rocprim17ROCPRIM_400000_NS6detail17trampoline_kernelINS0_14default_configENS1_25partition_config_selectorILNS1_17partition_subalgoE6EdNS0_10empty_typeEbEEZZNS1_14partition_implILS5_6ELb0ES3_mN6thrust23THRUST_200600_302600_NS6detail15normal_iteratorINSA_10device_ptrIdEEEEPS6_SG_NS0_5tupleIJNSA_16discard_iteratorINSA_11use_defaultEEES6_EEENSH_IJSG_SG_EEES6_PlJNSB_9not_fun_tI7is_trueIdEEEEEE10hipError_tPvRmT3_T4_T5_T6_T7_T9_mT8_P12ihipStream_tbDpT10_ENKUlT_T0_E_clISt17integral_constantIbLb1EES1A_IbLb0EEEEDaS16_S17_EUlS16_E_NS1_11comp_targetILNS1_3genE9ELNS1_11target_archE1100ELNS1_3gpuE3ELNS1_3repE0EEENS1_30default_config_static_selectorELNS0_4arch9wavefront6targetE0EEEvT1_,comdat
.Lfunc_end2099:
	.size	_ZN7rocprim17ROCPRIM_400000_NS6detail17trampoline_kernelINS0_14default_configENS1_25partition_config_selectorILNS1_17partition_subalgoE6EdNS0_10empty_typeEbEEZZNS1_14partition_implILS5_6ELb0ES3_mN6thrust23THRUST_200600_302600_NS6detail15normal_iteratorINSA_10device_ptrIdEEEEPS6_SG_NS0_5tupleIJNSA_16discard_iteratorINSA_11use_defaultEEES6_EEENSH_IJSG_SG_EEES6_PlJNSB_9not_fun_tI7is_trueIdEEEEEE10hipError_tPvRmT3_T4_T5_T6_T7_T9_mT8_P12ihipStream_tbDpT10_ENKUlT_T0_E_clISt17integral_constantIbLb1EES1A_IbLb0EEEEDaS16_S17_EUlS16_E_NS1_11comp_targetILNS1_3genE9ELNS1_11target_archE1100ELNS1_3gpuE3ELNS1_3repE0EEENS1_30default_config_static_selectorELNS0_4arch9wavefront6targetE0EEEvT1_, .Lfunc_end2099-_ZN7rocprim17ROCPRIM_400000_NS6detail17trampoline_kernelINS0_14default_configENS1_25partition_config_selectorILNS1_17partition_subalgoE6EdNS0_10empty_typeEbEEZZNS1_14partition_implILS5_6ELb0ES3_mN6thrust23THRUST_200600_302600_NS6detail15normal_iteratorINSA_10device_ptrIdEEEEPS6_SG_NS0_5tupleIJNSA_16discard_iteratorINSA_11use_defaultEEES6_EEENSH_IJSG_SG_EEES6_PlJNSB_9not_fun_tI7is_trueIdEEEEEE10hipError_tPvRmT3_T4_T5_T6_T7_T9_mT8_P12ihipStream_tbDpT10_ENKUlT_T0_E_clISt17integral_constantIbLb1EES1A_IbLb0EEEEDaS16_S17_EUlS16_E_NS1_11comp_targetILNS1_3genE9ELNS1_11target_archE1100ELNS1_3gpuE3ELNS1_3repE0EEENS1_30default_config_static_selectorELNS0_4arch9wavefront6targetE0EEEvT1_
                                        ; -- End function
	.set _ZN7rocprim17ROCPRIM_400000_NS6detail17trampoline_kernelINS0_14default_configENS1_25partition_config_selectorILNS1_17partition_subalgoE6EdNS0_10empty_typeEbEEZZNS1_14partition_implILS5_6ELb0ES3_mN6thrust23THRUST_200600_302600_NS6detail15normal_iteratorINSA_10device_ptrIdEEEEPS6_SG_NS0_5tupleIJNSA_16discard_iteratorINSA_11use_defaultEEES6_EEENSH_IJSG_SG_EEES6_PlJNSB_9not_fun_tI7is_trueIdEEEEEE10hipError_tPvRmT3_T4_T5_T6_T7_T9_mT8_P12ihipStream_tbDpT10_ENKUlT_T0_E_clISt17integral_constantIbLb1EES1A_IbLb0EEEEDaS16_S17_EUlS16_E_NS1_11comp_targetILNS1_3genE9ELNS1_11target_archE1100ELNS1_3gpuE3ELNS1_3repE0EEENS1_30default_config_static_selectorELNS0_4arch9wavefront6targetE0EEEvT1_.num_vgpr, 0
	.set _ZN7rocprim17ROCPRIM_400000_NS6detail17trampoline_kernelINS0_14default_configENS1_25partition_config_selectorILNS1_17partition_subalgoE6EdNS0_10empty_typeEbEEZZNS1_14partition_implILS5_6ELb0ES3_mN6thrust23THRUST_200600_302600_NS6detail15normal_iteratorINSA_10device_ptrIdEEEEPS6_SG_NS0_5tupleIJNSA_16discard_iteratorINSA_11use_defaultEEES6_EEENSH_IJSG_SG_EEES6_PlJNSB_9not_fun_tI7is_trueIdEEEEEE10hipError_tPvRmT3_T4_T5_T6_T7_T9_mT8_P12ihipStream_tbDpT10_ENKUlT_T0_E_clISt17integral_constantIbLb1EES1A_IbLb0EEEEDaS16_S17_EUlS16_E_NS1_11comp_targetILNS1_3genE9ELNS1_11target_archE1100ELNS1_3gpuE3ELNS1_3repE0EEENS1_30default_config_static_selectorELNS0_4arch9wavefront6targetE0EEEvT1_.num_agpr, 0
	.set _ZN7rocprim17ROCPRIM_400000_NS6detail17trampoline_kernelINS0_14default_configENS1_25partition_config_selectorILNS1_17partition_subalgoE6EdNS0_10empty_typeEbEEZZNS1_14partition_implILS5_6ELb0ES3_mN6thrust23THRUST_200600_302600_NS6detail15normal_iteratorINSA_10device_ptrIdEEEEPS6_SG_NS0_5tupleIJNSA_16discard_iteratorINSA_11use_defaultEEES6_EEENSH_IJSG_SG_EEES6_PlJNSB_9not_fun_tI7is_trueIdEEEEEE10hipError_tPvRmT3_T4_T5_T6_T7_T9_mT8_P12ihipStream_tbDpT10_ENKUlT_T0_E_clISt17integral_constantIbLb1EES1A_IbLb0EEEEDaS16_S17_EUlS16_E_NS1_11comp_targetILNS1_3genE9ELNS1_11target_archE1100ELNS1_3gpuE3ELNS1_3repE0EEENS1_30default_config_static_selectorELNS0_4arch9wavefront6targetE0EEEvT1_.numbered_sgpr, 0
	.set _ZN7rocprim17ROCPRIM_400000_NS6detail17trampoline_kernelINS0_14default_configENS1_25partition_config_selectorILNS1_17partition_subalgoE6EdNS0_10empty_typeEbEEZZNS1_14partition_implILS5_6ELb0ES3_mN6thrust23THRUST_200600_302600_NS6detail15normal_iteratorINSA_10device_ptrIdEEEEPS6_SG_NS0_5tupleIJNSA_16discard_iteratorINSA_11use_defaultEEES6_EEENSH_IJSG_SG_EEES6_PlJNSB_9not_fun_tI7is_trueIdEEEEEE10hipError_tPvRmT3_T4_T5_T6_T7_T9_mT8_P12ihipStream_tbDpT10_ENKUlT_T0_E_clISt17integral_constantIbLb1EES1A_IbLb0EEEEDaS16_S17_EUlS16_E_NS1_11comp_targetILNS1_3genE9ELNS1_11target_archE1100ELNS1_3gpuE3ELNS1_3repE0EEENS1_30default_config_static_selectorELNS0_4arch9wavefront6targetE0EEEvT1_.num_named_barrier, 0
	.set _ZN7rocprim17ROCPRIM_400000_NS6detail17trampoline_kernelINS0_14default_configENS1_25partition_config_selectorILNS1_17partition_subalgoE6EdNS0_10empty_typeEbEEZZNS1_14partition_implILS5_6ELb0ES3_mN6thrust23THRUST_200600_302600_NS6detail15normal_iteratorINSA_10device_ptrIdEEEEPS6_SG_NS0_5tupleIJNSA_16discard_iteratorINSA_11use_defaultEEES6_EEENSH_IJSG_SG_EEES6_PlJNSB_9not_fun_tI7is_trueIdEEEEEE10hipError_tPvRmT3_T4_T5_T6_T7_T9_mT8_P12ihipStream_tbDpT10_ENKUlT_T0_E_clISt17integral_constantIbLb1EES1A_IbLb0EEEEDaS16_S17_EUlS16_E_NS1_11comp_targetILNS1_3genE9ELNS1_11target_archE1100ELNS1_3gpuE3ELNS1_3repE0EEENS1_30default_config_static_selectorELNS0_4arch9wavefront6targetE0EEEvT1_.private_seg_size, 0
	.set _ZN7rocprim17ROCPRIM_400000_NS6detail17trampoline_kernelINS0_14default_configENS1_25partition_config_selectorILNS1_17partition_subalgoE6EdNS0_10empty_typeEbEEZZNS1_14partition_implILS5_6ELb0ES3_mN6thrust23THRUST_200600_302600_NS6detail15normal_iteratorINSA_10device_ptrIdEEEEPS6_SG_NS0_5tupleIJNSA_16discard_iteratorINSA_11use_defaultEEES6_EEENSH_IJSG_SG_EEES6_PlJNSB_9not_fun_tI7is_trueIdEEEEEE10hipError_tPvRmT3_T4_T5_T6_T7_T9_mT8_P12ihipStream_tbDpT10_ENKUlT_T0_E_clISt17integral_constantIbLb1EES1A_IbLb0EEEEDaS16_S17_EUlS16_E_NS1_11comp_targetILNS1_3genE9ELNS1_11target_archE1100ELNS1_3gpuE3ELNS1_3repE0EEENS1_30default_config_static_selectorELNS0_4arch9wavefront6targetE0EEEvT1_.uses_vcc, 0
	.set _ZN7rocprim17ROCPRIM_400000_NS6detail17trampoline_kernelINS0_14default_configENS1_25partition_config_selectorILNS1_17partition_subalgoE6EdNS0_10empty_typeEbEEZZNS1_14partition_implILS5_6ELb0ES3_mN6thrust23THRUST_200600_302600_NS6detail15normal_iteratorINSA_10device_ptrIdEEEEPS6_SG_NS0_5tupleIJNSA_16discard_iteratorINSA_11use_defaultEEES6_EEENSH_IJSG_SG_EEES6_PlJNSB_9not_fun_tI7is_trueIdEEEEEE10hipError_tPvRmT3_T4_T5_T6_T7_T9_mT8_P12ihipStream_tbDpT10_ENKUlT_T0_E_clISt17integral_constantIbLb1EES1A_IbLb0EEEEDaS16_S17_EUlS16_E_NS1_11comp_targetILNS1_3genE9ELNS1_11target_archE1100ELNS1_3gpuE3ELNS1_3repE0EEENS1_30default_config_static_selectorELNS0_4arch9wavefront6targetE0EEEvT1_.uses_flat_scratch, 0
	.set _ZN7rocprim17ROCPRIM_400000_NS6detail17trampoline_kernelINS0_14default_configENS1_25partition_config_selectorILNS1_17partition_subalgoE6EdNS0_10empty_typeEbEEZZNS1_14partition_implILS5_6ELb0ES3_mN6thrust23THRUST_200600_302600_NS6detail15normal_iteratorINSA_10device_ptrIdEEEEPS6_SG_NS0_5tupleIJNSA_16discard_iteratorINSA_11use_defaultEEES6_EEENSH_IJSG_SG_EEES6_PlJNSB_9not_fun_tI7is_trueIdEEEEEE10hipError_tPvRmT3_T4_T5_T6_T7_T9_mT8_P12ihipStream_tbDpT10_ENKUlT_T0_E_clISt17integral_constantIbLb1EES1A_IbLb0EEEEDaS16_S17_EUlS16_E_NS1_11comp_targetILNS1_3genE9ELNS1_11target_archE1100ELNS1_3gpuE3ELNS1_3repE0EEENS1_30default_config_static_selectorELNS0_4arch9wavefront6targetE0EEEvT1_.has_dyn_sized_stack, 0
	.set _ZN7rocprim17ROCPRIM_400000_NS6detail17trampoline_kernelINS0_14default_configENS1_25partition_config_selectorILNS1_17partition_subalgoE6EdNS0_10empty_typeEbEEZZNS1_14partition_implILS5_6ELb0ES3_mN6thrust23THRUST_200600_302600_NS6detail15normal_iteratorINSA_10device_ptrIdEEEEPS6_SG_NS0_5tupleIJNSA_16discard_iteratorINSA_11use_defaultEEES6_EEENSH_IJSG_SG_EEES6_PlJNSB_9not_fun_tI7is_trueIdEEEEEE10hipError_tPvRmT3_T4_T5_T6_T7_T9_mT8_P12ihipStream_tbDpT10_ENKUlT_T0_E_clISt17integral_constantIbLb1EES1A_IbLb0EEEEDaS16_S17_EUlS16_E_NS1_11comp_targetILNS1_3genE9ELNS1_11target_archE1100ELNS1_3gpuE3ELNS1_3repE0EEENS1_30default_config_static_selectorELNS0_4arch9wavefront6targetE0EEEvT1_.has_recursion, 0
	.set _ZN7rocprim17ROCPRIM_400000_NS6detail17trampoline_kernelINS0_14default_configENS1_25partition_config_selectorILNS1_17partition_subalgoE6EdNS0_10empty_typeEbEEZZNS1_14partition_implILS5_6ELb0ES3_mN6thrust23THRUST_200600_302600_NS6detail15normal_iteratorINSA_10device_ptrIdEEEEPS6_SG_NS0_5tupleIJNSA_16discard_iteratorINSA_11use_defaultEEES6_EEENSH_IJSG_SG_EEES6_PlJNSB_9not_fun_tI7is_trueIdEEEEEE10hipError_tPvRmT3_T4_T5_T6_T7_T9_mT8_P12ihipStream_tbDpT10_ENKUlT_T0_E_clISt17integral_constantIbLb1EES1A_IbLb0EEEEDaS16_S17_EUlS16_E_NS1_11comp_targetILNS1_3genE9ELNS1_11target_archE1100ELNS1_3gpuE3ELNS1_3repE0EEENS1_30default_config_static_selectorELNS0_4arch9wavefront6targetE0EEEvT1_.has_indirect_call, 0
	.section	.AMDGPU.csdata,"",@progbits
; Kernel info:
; codeLenInByte = 0
; TotalNumSgprs: 0
; NumVgprs: 0
; ScratchSize: 0
; MemoryBound: 0
; FloatMode: 240
; IeeeMode: 1
; LDSByteSize: 0 bytes/workgroup (compile time only)
; SGPRBlocks: 0
; VGPRBlocks: 0
; NumSGPRsForWavesPerEU: 1
; NumVGPRsForWavesPerEU: 1
; Occupancy: 16
; WaveLimiterHint : 0
; COMPUTE_PGM_RSRC2:SCRATCH_EN: 0
; COMPUTE_PGM_RSRC2:USER_SGPR: 2
; COMPUTE_PGM_RSRC2:TRAP_HANDLER: 0
; COMPUTE_PGM_RSRC2:TGID_X_EN: 1
; COMPUTE_PGM_RSRC2:TGID_Y_EN: 0
; COMPUTE_PGM_RSRC2:TGID_Z_EN: 0
; COMPUTE_PGM_RSRC2:TIDIG_COMP_CNT: 0
	.section	.text._ZN7rocprim17ROCPRIM_400000_NS6detail17trampoline_kernelINS0_14default_configENS1_25partition_config_selectorILNS1_17partition_subalgoE6EdNS0_10empty_typeEbEEZZNS1_14partition_implILS5_6ELb0ES3_mN6thrust23THRUST_200600_302600_NS6detail15normal_iteratorINSA_10device_ptrIdEEEEPS6_SG_NS0_5tupleIJNSA_16discard_iteratorINSA_11use_defaultEEES6_EEENSH_IJSG_SG_EEES6_PlJNSB_9not_fun_tI7is_trueIdEEEEEE10hipError_tPvRmT3_T4_T5_T6_T7_T9_mT8_P12ihipStream_tbDpT10_ENKUlT_T0_E_clISt17integral_constantIbLb1EES1A_IbLb0EEEEDaS16_S17_EUlS16_E_NS1_11comp_targetILNS1_3genE8ELNS1_11target_archE1030ELNS1_3gpuE2ELNS1_3repE0EEENS1_30default_config_static_selectorELNS0_4arch9wavefront6targetE0EEEvT1_,"axG",@progbits,_ZN7rocprim17ROCPRIM_400000_NS6detail17trampoline_kernelINS0_14default_configENS1_25partition_config_selectorILNS1_17partition_subalgoE6EdNS0_10empty_typeEbEEZZNS1_14partition_implILS5_6ELb0ES3_mN6thrust23THRUST_200600_302600_NS6detail15normal_iteratorINSA_10device_ptrIdEEEEPS6_SG_NS0_5tupleIJNSA_16discard_iteratorINSA_11use_defaultEEES6_EEENSH_IJSG_SG_EEES6_PlJNSB_9not_fun_tI7is_trueIdEEEEEE10hipError_tPvRmT3_T4_T5_T6_T7_T9_mT8_P12ihipStream_tbDpT10_ENKUlT_T0_E_clISt17integral_constantIbLb1EES1A_IbLb0EEEEDaS16_S17_EUlS16_E_NS1_11comp_targetILNS1_3genE8ELNS1_11target_archE1030ELNS1_3gpuE2ELNS1_3repE0EEENS1_30default_config_static_selectorELNS0_4arch9wavefront6targetE0EEEvT1_,comdat
	.protected	_ZN7rocprim17ROCPRIM_400000_NS6detail17trampoline_kernelINS0_14default_configENS1_25partition_config_selectorILNS1_17partition_subalgoE6EdNS0_10empty_typeEbEEZZNS1_14partition_implILS5_6ELb0ES3_mN6thrust23THRUST_200600_302600_NS6detail15normal_iteratorINSA_10device_ptrIdEEEEPS6_SG_NS0_5tupleIJNSA_16discard_iteratorINSA_11use_defaultEEES6_EEENSH_IJSG_SG_EEES6_PlJNSB_9not_fun_tI7is_trueIdEEEEEE10hipError_tPvRmT3_T4_T5_T6_T7_T9_mT8_P12ihipStream_tbDpT10_ENKUlT_T0_E_clISt17integral_constantIbLb1EES1A_IbLb0EEEEDaS16_S17_EUlS16_E_NS1_11comp_targetILNS1_3genE8ELNS1_11target_archE1030ELNS1_3gpuE2ELNS1_3repE0EEENS1_30default_config_static_selectorELNS0_4arch9wavefront6targetE0EEEvT1_ ; -- Begin function _ZN7rocprim17ROCPRIM_400000_NS6detail17trampoline_kernelINS0_14default_configENS1_25partition_config_selectorILNS1_17partition_subalgoE6EdNS0_10empty_typeEbEEZZNS1_14partition_implILS5_6ELb0ES3_mN6thrust23THRUST_200600_302600_NS6detail15normal_iteratorINSA_10device_ptrIdEEEEPS6_SG_NS0_5tupleIJNSA_16discard_iteratorINSA_11use_defaultEEES6_EEENSH_IJSG_SG_EEES6_PlJNSB_9not_fun_tI7is_trueIdEEEEEE10hipError_tPvRmT3_T4_T5_T6_T7_T9_mT8_P12ihipStream_tbDpT10_ENKUlT_T0_E_clISt17integral_constantIbLb1EES1A_IbLb0EEEEDaS16_S17_EUlS16_E_NS1_11comp_targetILNS1_3genE8ELNS1_11target_archE1030ELNS1_3gpuE2ELNS1_3repE0EEENS1_30default_config_static_selectorELNS0_4arch9wavefront6targetE0EEEvT1_
	.globl	_ZN7rocprim17ROCPRIM_400000_NS6detail17trampoline_kernelINS0_14default_configENS1_25partition_config_selectorILNS1_17partition_subalgoE6EdNS0_10empty_typeEbEEZZNS1_14partition_implILS5_6ELb0ES3_mN6thrust23THRUST_200600_302600_NS6detail15normal_iteratorINSA_10device_ptrIdEEEEPS6_SG_NS0_5tupleIJNSA_16discard_iteratorINSA_11use_defaultEEES6_EEENSH_IJSG_SG_EEES6_PlJNSB_9not_fun_tI7is_trueIdEEEEEE10hipError_tPvRmT3_T4_T5_T6_T7_T9_mT8_P12ihipStream_tbDpT10_ENKUlT_T0_E_clISt17integral_constantIbLb1EES1A_IbLb0EEEEDaS16_S17_EUlS16_E_NS1_11comp_targetILNS1_3genE8ELNS1_11target_archE1030ELNS1_3gpuE2ELNS1_3repE0EEENS1_30default_config_static_selectorELNS0_4arch9wavefront6targetE0EEEvT1_
	.p2align	8
	.type	_ZN7rocprim17ROCPRIM_400000_NS6detail17trampoline_kernelINS0_14default_configENS1_25partition_config_selectorILNS1_17partition_subalgoE6EdNS0_10empty_typeEbEEZZNS1_14partition_implILS5_6ELb0ES3_mN6thrust23THRUST_200600_302600_NS6detail15normal_iteratorINSA_10device_ptrIdEEEEPS6_SG_NS0_5tupleIJNSA_16discard_iteratorINSA_11use_defaultEEES6_EEENSH_IJSG_SG_EEES6_PlJNSB_9not_fun_tI7is_trueIdEEEEEE10hipError_tPvRmT3_T4_T5_T6_T7_T9_mT8_P12ihipStream_tbDpT10_ENKUlT_T0_E_clISt17integral_constantIbLb1EES1A_IbLb0EEEEDaS16_S17_EUlS16_E_NS1_11comp_targetILNS1_3genE8ELNS1_11target_archE1030ELNS1_3gpuE2ELNS1_3repE0EEENS1_30default_config_static_selectorELNS0_4arch9wavefront6targetE0EEEvT1_,@function
_ZN7rocprim17ROCPRIM_400000_NS6detail17trampoline_kernelINS0_14default_configENS1_25partition_config_selectorILNS1_17partition_subalgoE6EdNS0_10empty_typeEbEEZZNS1_14partition_implILS5_6ELb0ES3_mN6thrust23THRUST_200600_302600_NS6detail15normal_iteratorINSA_10device_ptrIdEEEEPS6_SG_NS0_5tupleIJNSA_16discard_iteratorINSA_11use_defaultEEES6_EEENSH_IJSG_SG_EEES6_PlJNSB_9not_fun_tI7is_trueIdEEEEEE10hipError_tPvRmT3_T4_T5_T6_T7_T9_mT8_P12ihipStream_tbDpT10_ENKUlT_T0_E_clISt17integral_constantIbLb1EES1A_IbLb0EEEEDaS16_S17_EUlS16_E_NS1_11comp_targetILNS1_3genE8ELNS1_11target_archE1030ELNS1_3gpuE2ELNS1_3repE0EEENS1_30default_config_static_selectorELNS0_4arch9wavefront6targetE0EEEvT1_: ; @_ZN7rocprim17ROCPRIM_400000_NS6detail17trampoline_kernelINS0_14default_configENS1_25partition_config_selectorILNS1_17partition_subalgoE6EdNS0_10empty_typeEbEEZZNS1_14partition_implILS5_6ELb0ES3_mN6thrust23THRUST_200600_302600_NS6detail15normal_iteratorINSA_10device_ptrIdEEEEPS6_SG_NS0_5tupleIJNSA_16discard_iteratorINSA_11use_defaultEEES6_EEENSH_IJSG_SG_EEES6_PlJNSB_9not_fun_tI7is_trueIdEEEEEE10hipError_tPvRmT3_T4_T5_T6_T7_T9_mT8_P12ihipStream_tbDpT10_ENKUlT_T0_E_clISt17integral_constantIbLb1EES1A_IbLb0EEEEDaS16_S17_EUlS16_E_NS1_11comp_targetILNS1_3genE8ELNS1_11target_archE1030ELNS1_3gpuE2ELNS1_3repE0EEENS1_30default_config_static_selectorELNS0_4arch9wavefront6targetE0EEEvT1_
; %bb.0:
	.section	.rodata,"a",@progbits
	.p2align	6, 0x0
	.amdhsa_kernel _ZN7rocprim17ROCPRIM_400000_NS6detail17trampoline_kernelINS0_14default_configENS1_25partition_config_selectorILNS1_17partition_subalgoE6EdNS0_10empty_typeEbEEZZNS1_14partition_implILS5_6ELb0ES3_mN6thrust23THRUST_200600_302600_NS6detail15normal_iteratorINSA_10device_ptrIdEEEEPS6_SG_NS0_5tupleIJNSA_16discard_iteratorINSA_11use_defaultEEES6_EEENSH_IJSG_SG_EEES6_PlJNSB_9not_fun_tI7is_trueIdEEEEEE10hipError_tPvRmT3_T4_T5_T6_T7_T9_mT8_P12ihipStream_tbDpT10_ENKUlT_T0_E_clISt17integral_constantIbLb1EES1A_IbLb0EEEEDaS16_S17_EUlS16_E_NS1_11comp_targetILNS1_3genE8ELNS1_11target_archE1030ELNS1_3gpuE2ELNS1_3repE0EEENS1_30default_config_static_selectorELNS0_4arch9wavefront6targetE0EEEvT1_
		.amdhsa_group_segment_fixed_size 0
		.amdhsa_private_segment_fixed_size 0
		.amdhsa_kernarg_size 120
		.amdhsa_user_sgpr_count 2
		.amdhsa_user_sgpr_dispatch_ptr 0
		.amdhsa_user_sgpr_queue_ptr 0
		.amdhsa_user_sgpr_kernarg_segment_ptr 1
		.amdhsa_user_sgpr_dispatch_id 0
		.amdhsa_user_sgpr_private_segment_size 0
		.amdhsa_wavefront_size32 1
		.amdhsa_uses_dynamic_stack 0
		.amdhsa_enable_private_segment 0
		.amdhsa_system_sgpr_workgroup_id_x 1
		.amdhsa_system_sgpr_workgroup_id_y 0
		.amdhsa_system_sgpr_workgroup_id_z 0
		.amdhsa_system_sgpr_workgroup_info 0
		.amdhsa_system_vgpr_workitem_id 0
		.amdhsa_next_free_vgpr 1
		.amdhsa_next_free_sgpr 1
		.amdhsa_reserve_vcc 0
		.amdhsa_float_round_mode_32 0
		.amdhsa_float_round_mode_16_64 0
		.amdhsa_float_denorm_mode_32 3
		.amdhsa_float_denorm_mode_16_64 3
		.amdhsa_fp16_overflow 0
		.amdhsa_workgroup_processor_mode 1
		.amdhsa_memory_ordered 1
		.amdhsa_forward_progress 1
		.amdhsa_inst_pref_size 0
		.amdhsa_round_robin_scheduling 0
		.amdhsa_exception_fp_ieee_invalid_op 0
		.amdhsa_exception_fp_denorm_src 0
		.amdhsa_exception_fp_ieee_div_zero 0
		.amdhsa_exception_fp_ieee_overflow 0
		.amdhsa_exception_fp_ieee_underflow 0
		.amdhsa_exception_fp_ieee_inexact 0
		.amdhsa_exception_int_div_zero 0
	.end_amdhsa_kernel
	.section	.text._ZN7rocprim17ROCPRIM_400000_NS6detail17trampoline_kernelINS0_14default_configENS1_25partition_config_selectorILNS1_17partition_subalgoE6EdNS0_10empty_typeEbEEZZNS1_14partition_implILS5_6ELb0ES3_mN6thrust23THRUST_200600_302600_NS6detail15normal_iteratorINSA_10device_ptrIdEEEEPS6_SG_NS0_5tupleIJNSA_16discard_iteratorINSA_11use_defaultEEES6_EEENSH_IJSG_SG_EEES6_PlJNSB_9not_fun_tI7is_trueIdEEEEEE10hipError_tPvRmT3_T4_T5_T6_T7_T9_mT8_P12ihipStream_tbDpT10_ENKUlT_T0_E_clISt17integral_constantIbLb1EES1A_IbLb0EEEEDaS16_S17_EUlS16_E_NS1_11comp_targetILNS1_3genE8ELNS1_11target_archE1030ELNS1_3gpuE2ELNS1_3repE0EEENS1_30default_config_static_selectorELNS0_4arch9wavefront6targetE0EEEvT1_,"axG",@progbits,_ZN7rocprim17ROCPRIM_400000_NS6detail17trampoline_kernelINS0_14default_configENS1_25partition_config_selectorILNS1_17partition_subalgoE6EdNS0_10empty_typeEbEEZZNS1_14partition_implILS5_6ELb0ES3_mN6thrust23THRUST_200600_302600_NS6detail15normal_iteratorINSA_10device_ptrIdEEEEPS6_SG_NS0_5tupleIJNSA_16discard_iteratorINSA_11use_defaultEEES6_EEENSH_IJSG_SG_EEES6_PlJNSB_9not_fun_tI7is_trueIdEEEEEE10hipError_tPvRmT3_T4_T5_T6_T7_T9_mT8_P12ihipStream_tbDpT10_ENKUlT_T0_E_clISt17integral_constantIbLb1EES1A_IbLb0EEEEDaS16_S17_EUlS16_E_NS1_11comp_targetILNS1_3genE8ELNS1_11target_archE1030ELNS1_3gpuE2ELNS1_3repE0EEENS1_30default_config_static_selectorELNS0_4arch9wavefront6targetE0EEEvT1_,comdat
.Lfunc_end2100:
	.size	_ZN7rocprim17ROCPRIM_400000_NS6detail17trampoline_kernelINS0_14default_configENS1_25partition_config_selectorILNS1_17partition_subalgoE6EdNS0_10empty_typeEbEEZZNS1_14partition_implILS5_6ELb0ES3_mN6thrust23THRUST_200600_302600_NS6detail15normal_iteratorINSA_10device_ptrIdEEEEPS6_SG_NS0_5tupleIJNSA_16discard_iteratorINSA_11use_defaultEEES6_EEENSH_IJSG_SG_EEES6_PlJNSB_9not_fun_tI7is_trueIdEEEEEE10hipError_tPvRmT3_T4_T5_T6_T7_T9_mT8_P12ihipStream_tbDpT10_ENKUlT_T0_E_clISt17integral_constantIbLb1EES1A_IbLb0EEEEDaS16_S17_EUlS16_E_NS1_11comp_targetILNS1_3genE8ELNS1_11target_archE1030ELNS1_3gpuE2ELNS1_3repE0EEENS1_30default_config_static_selectorELNS0_4arch9wavefront6targetE0EEEvT1_, .Lfunc_end2100-_ZN7rocprim17ROCPRIM_400000_NS6detail17trampoline_kernelINS0_14default_configENS1_25partition_config_selectorILNS1_17partition_subalgoE6EdNS0_10empty_typeEbEEZZNS1_14partition_implILS5_6ELb0ES3_mN6thrust23THRUST_200600_302600_NS6detail15normal_iteratorINSA_10device_ptrIdEEEEPS6_SG_NS0_5tupleIJNSA_16discard_iteratorINSA_11use_defaultEEES6_EEENSH_IJSG_SG_EEES6_PlJNSB_9not_fun_tI7is_trueIdEEEEEE10hipError_tPvRmT3_T4_T5_T6_T7_T9_mT8_P12ihipStream_tbDpT10_ENKUlT_T0_E_clISt17integral_constantIbLb1EES1A_IbLb0EEEEDaS16_S17_EUlS16_E_NS1_11comp_targetILNS1_3genE8ELNS1_11target_archE1030ELNS1_3gpuE2ELNS1_3repE0EEENS1_30default_config_static_selectorELNS0_4arch9wavefront6targetE0EEEvT1_
                                        ; -- End function
	.set _ZN7rocprim17ROCPRIM_400000_NS6detail17trampoline_kernelINS0_14default_configENS1_25partition_config_selectorILNS1_17partition_subalgoE6EdNS0_10empty_typeEbEEZZNS1_14partition_implILS5_6ELb0ES3_mN6thrust23THRUST_200600_302600_NS6detail15normal_iteratorINSA_10device_ptrIdEEEEPS6_SG_NS0_5tupleIJNSA_16discard_iteratorINSA_11use_defaultEEES6_EEENSH_IJSG_SG_EEES6_PlJNSB_9not_fun_tI7is_trueIdEEEEEE10hipError_tPvRmT3_T4_T5_T6_T7_T9_mT8_P12ihipStream_tbDpT10_ENKUlT_T0_E_clISt17integral_constantIbLb1EES1A_IbLb0EEEEDaS16_S17_EUlS16_E_NS1_11comp_targetILNS1_3genE8ELNS1_11target_archE1030ELNS1_3gpuE2ELNS1_3repE0EEENS1_30default_config_static_selectorELNS0_4arch9wavefront6targetE0EEEvT1_.num_vgpr, 0
	.set _ZN7rocprim17ROCPRIM_400000_NS6detail17trampoline_kernelINS0_14default_configENS1_25partition_config_selectorILNS1_17partition_subalgoE6EdNS0_10empty_typeEbEEZZNS1_14partition_implILS5_6ELb0ES3_mN6thrust23THRUST_200600_302600_NS6detail15normal_iteratorINSA_10device_ptrIdEEEEPS6_SG_NS0_5tupleIJNSA_16discard_iteratorINSA_11use_defaultEEES6_EEENSH_IJSG_SG_EEES6_PlJNSB_9not_fun_tI7is_trueIdEEEEEE10hipError_tPvRmT3_T4_T5_T6_T7_T9_mT8_P12ihipStream_tbDpT10_ENKUlT_T0_E_clISt17integral_constantIbLb1EES1A_IbLb0EEEEDaS16_S17_EUlS16_E_NS1_11comp_targetILNS1_3genE8ELNS1_11target_archE1030ELNS1_3gpuE2ELNS1_3repE0EEENS1_30default_config_static_selectorELNS0_4arch9wavefront6targetE0EEEvT1_.num_agpr, 0
	.set _ZN7rocprim17ROCPRIM_400000_NS6detail17trampoline_kernelINS0_14default_configENS1_25partition_config_selectorILNS1_17partition_subalgoE6EdNS0_10empty_typeEbEEZZNS1_14partition_implILS5_6ELb0ES3_mN6thrust23THRUST_200600_302600_NS6detail15normal_iteratorINSA_10device_ptrIdEEEEPS6_SG_NS0_5tupleIJNSA_16discard_iteratorINSA_11use_defaultEEES6_EEENSH_IJSG_SG_EEES6_PlJNSB_9not_fun_tI7is_trueIdEEEEEE10hipError_tPvRmT3_T4_T5_T6_T7_T9_mT8_P12ihipStream_tbDpT10_ENKUlT_T0_E_clISt17integral_constantIbLb1EES1A_IbLb0EEEEDaS16_S17_EUlS16_E_NS1_11comp_targetILNS1_3genE8ELNS1_11target_archE1030ELNS1_3gpuE2ELNS1_3repE0EEENS1_30default_config_static_selectorELNS0_4arch9wavefront6targetE0EEEvT1_.numbered_sgpr, 0
	.set _ZN7rocprim17ROCPRIM_400000_NS6detail17trampoline_kernelINS0_14default_configENS1_25partition_config_selectorILNS1_17partition_subalgoE6EdNS0_10empty_typeEbEEZZNS1_14partition_implILS5_6ELb0ES3_mN6thrust23THRUST_200600_302600_NS6detail15normal_iteratorINSA_10device_ptrIdEEEEPS6_SG_NS0_5tupleIJNSA_16discard_iteratorINSA_11use_defaultEEES6_EEENSH_IJSG_SG_EEES6_PlJNSB_9not_fun_tI7is_trueIdEEEEEE10hipError_tPvRmT3_T4_T5_T6_T7_T9_mT8_P12ihipStream_tbDpT10_ENKUlT_T0_E_clISt17integral_constantIbLb1EES1A_IbLb0EEEEDaS16_S17_EUlS16_E_NS1_11comp_targetILNS1_3genE8ELNS1_11target_archE1030ELNS1_3gpuE2ELNS1_3repE0EEENS1_30default_config_static_selectorELNS0_4arch9wavefront6targetE0EEEvT1_.num_named_barrier, 0
	.set _ZN7rocprim17ROCPRIM_400000_NS6detail17trampoline_kernelINS0_14default_configENS1_25partition_config_selectorILNS1_17partition_subalgoE6EdNS0_10empty_typeEbEEZZNS1_14partition_implILS5_6ELb0ES3_mN6thrust23THRUST_200600_302600_NS6detail15normal_iteratorINSA_10device_ptrIdEEEEPS6_SG_NS0_5tupleIJNSA_16discard_iteratorINSA_11use_defaultEEES6_EEENSH_IJSG_SG_EEES6_PlJNSB_9not_fun_tI7is_trueIdEEEEEE10hipError_tPvRmT3_T4_T5_T6_T7_T9_mT8_P12ihipStream_tbDpT10_ENKUlT_T0_E_clISt17integral_constantIbLb1EES1A_IbLb0EEEEDaS16_S17_EUlS16_E_NS1_11comp_targetILNS1_3genE8ELNS1_11target_archE1030ELNS1_3gpuE2ELNS1_3repE0EEENS1_30default_config_static_selectorELNS0_4arch9wavefront6targetE0EEEvT1_.private_seg_size, 0
	.set _ZN7rocprim17ROCPRIM_400000_NS6detail17trampoline_kernelINS0_14default_configENS1_25partition_config_selectorILNS1_17partition_subalgoE6EdNS0_10empty_typeEbEEZZNS1_14partition_implILS5_6ELb0ES3_mN6thrust23THRUST_200600_302600_NS6detail15normal_iteratorINSA_10device_ptrIdEEEEPS6_SG_NS0_5tupleIJNSA_16discard_iteratorINSA_11use_defaultEEES6_EEENSH_IJSG_SG_EEES6_PlJNSB_9not_fun_tI7is_trueIdEEEEEE10hipError_tPvRmT3_T4_T5_T6_T7_T9_mT8_P12ihipStream_tbDpT10_ENKUlT_T0_E_clISt17integral_constantIbLb1EES1A_IbLb0EEEEDaS16_S17_EUlS16_E_NS1_11comp_targetILNS1_3genE8ELNS1_11target_archE1030ELNS1_3gpuE2ELNS1_3repE0EEENS1_30default_config_static_selectorELNS0_4arch9wavefront6targetE0EEEvT1_.uses_vcc, 0
	.set _ZN7rocprim17ROCPRIM_400000_NS6detail17trampoline_kernelINS0_14default_configENS1_25partition_config_selectorILNS1_17partition_subalgoE6EdNS0_10empty_typeEbEEZZNS1_14partition_implILS5_6ELb0ES3_mN6thrust23THRUST_200600_302600_NS6detail15normal_iteratorINSA_10device_ptrIdEEEEPS6_SG_NS0_5tupleIJNSA_16discard_iteratorINSA_11use_defaultEEES6_EEENSH_IJSG_SG_EEES6_PlJNSB_9not_fun_tI7is_trueIdEEEEEE10hipError_tPvRmT3_T4_T5_T6_T7_T9_mT8_P12ihipStream_tbDpT10_ENKUlT_T0_E_clISt17integral_constantIbLb1EES1A_IbLb0EEEEDaS16_S17_EUlS16_E_NS1_11comp_targetILNS1_3genE8ELNS1_11target_archE1030ELNS1_3gpuE2ELNS1_3repE0EEENS1_30default_config_static_selectorELNS0_4arch9wavefront6targetE0EEEvT1_.uses_flat_scratch, 0
	.set _ZN7rocprim17ROCPRIM_400000_NS6detail17trampoline_kernelINS0_14default_configENS1_25partition_config_selectorILNS1_17partition_subalgoE6EdNS0_10empty_typeEbEEZZNS1_14partition_implILS5_6ELb0ES3_mN6thrust23THRUST_200600_302600_NS6detail15normal_iteratorINSA_10device_ptrIdEEEEPS6_SG_NS0_5tupleIJNSA_16discard_iteratorINSA_11use_defaultEEES6_EEENSH_IJSG_SG_EEES6_PlJNSB_9not_fun_tI7is_trueIdEEEEEE10hipError_tPvRmT3_T4_T5_T6_T7_T9_mT8_P12ihipStream_tbDpT10_ENKUlT_T0_E_clISt17integral_constantIbLb1EES1A_IbLb0EEEEDaS16_S17_EUlS16_E_NS1_11comp_targetILNS1_3genE8ELNS1_11target_archE1030ELNS1_3gpuE2ELNS1_3repE0EEENS1_30default_config_static_selectorELNS0_4arch9wavefront6targetE0EEEvT1_.has_dyn_sized_stack, 0
	.set _ZN7rocprim17ROCPRIM_400000_NS6detail17trampoline_kernelINS0_14default_configENS1_25partition_config_selectorILNS1_17partition_subalgoE6EdNS0_10empty_typeEbEEZZNS1_14partition_implILS5_6ELb0ES3_mN6thrust23THRUST_200600_302600_NS6detail15normal_iteratorINSA_10device_ptrIdEEEEPS6_SG_NS0_5tupleIJNSA_16discard_iteratorINSA_11use_defaultEEES6_EEENSH_IJSG_SG_EEES6_PlJNSB_9not_fun_tI7is_trueIdEEEEEE10hipError_tPvRmT3_T4_T5_T6_T7_T9_mT8_P12ihipStream_tbDpT10_ENKUlT_T0_E_clISt17integral_constantIbLb1EES1A_IbLb0EEEEDaS16_S17_EUlS16_E_NS1_11comp_targetILNS1_3genE8ELNS1_11target_archE1030ELNS1_3gpuE2ELNS1_3repE0EEENS1_30default_config_static_selectorELNS0_4arch9wavefront6targetE0EEEvT1_.has_recursion, 0
	.set _ZN7rocprim17ROCPRIM_400000_NS6detail17trampoline_kernelINS0_14default_configENS1_25partition_config_selectorILNS1_17partition_subalgoE6EdNS0_10empty_typeEbEEZZNS1_14partition_implILS5_6ELb0ES3_mN6thrust23THRUST_200600_302600_NS6detail15normal_iteratorINSA_10device_ptrIdEEEEPS6_SG_NS0_5tupleIJNSA_16discard_iteratorINSA_11use_defaultEEES6_EEENSH_IJSG_SG_EEES6_PlJNSB_9not_fun_tI7is_trueIdEEEEEE10hipError_tPvRmT3_T4_T5_T6_T7_T9_mT8_P12ihipStream_tbDpT10_ENKUlT_T0_E_clISt17integral_constantIbLb1EES1A_IbLb0EEEEDaS16_S17_EUlS16_E_NS1_11comp_targetILNS1_3genE8ELNS1_11target_archE1030ELNS1_3gpuE2ELNS1_3repE0EEENS1_30default_config_static_selectorELNS0_4arch9wavefront6targetE0EEEvT1_.has_indirect_call, 0
	.section	.AMDGPU.csdata,"",@progbits
; Kernel info:
; codeLenInByte = 0
; TotalNumSgprs: 0
; NumVgprs: 0
; ScratchSize: 0
; MemoryBound: 0
; FloatMode: 240
; IeeeMode: 1
; LDSByteSize: 0 bytes/workgroup (compile time only)
; SGPRBlocks: 0
; VGPRBlocks: 0
; NumSGPRsForWavesPerEU: 1
; NumVGPRsForWavesPerEU: 1
; Occupancy: 16
; WaveLimiterHint : 0
; COMPUTE_PGM_RSRC2:SCRATCH_EN: 0
; COMPUTE_PGM_RSRC2:USER_SGPR: 2
; COMPUTE_PGM_RSRC2:TRAP_HANDLER: 0
; COMPUTE_PGM_RSRC2:TGID_X_EN: 1
; COMPUTE_PGM_RSRC2:TGID_Y_EN: 0
; COMPUTE_PGM_RSRC2:TGID_Z_EN: 0
; COMPUTE_PGM_RSRC2:TIDIG_COMP_CNT: 0
	.section	.text._ZN7rocprim17ROCPRIM_400000_NS6detail17trampoline_kernelINS0_14default_configENS1_25partition_config_selectorILNS1_17partition_subalgoE6EdNS0_10empty_typeEbEEZZNS1_14partition_implILS5_6ELb0ES3_mN6thrust23THRUST_200600_302600_NS6detail15normal_iteratorINSA_10device_ptrIdEEEEPS6_SG_NS0_5tupleIJNSA_16discard_iteratorINSA_11use_defaultEEES6_EEENSH_IJSG_SG_EEES6_PlJNSB_9not_fun_tI7is_trueIdEEEEEE10hipError_tPvRmT3_T4_T5_T6_T7_T9_mT8_P12ihipStream_tbDpT10_ENKUlT_T0_E_clISt17integral_constantIbLb0EES1A_IbLb1EEEEDaS16_S17_EUlS16_E_NS1_11comp_targetILNS1_3genE0ELNS1_11target_archE4294967295ELNS1_3gpuE0ELNS1_3repE0EEENS1_30default_config_static_selectorELNS0_4arch9wavefront6targetE0EEEvT1_,"axG",@progbits,_ZN7rocprim17ROCPRIM_400000_NS6detail17trampoline_kernelINS0_14default_configENS1_25partition_config_selectorILNS1_17partition_subalgoE6EdNS0_10empty_typeEbEEZZNS1_14partition_implILS5_6ELb0ES3_mN6thrust23THRUST_200600_302600_NS6detail15normal_iteratorINSA_10device_ptrIdEEEEPS6_SG_NS0_5tupleIJNSA_16discard_iteratorINSA_11use_defaultEEES6_EEENSH_IJSG_SG_EEES6_PlJNSB_9not_fun_tI7is_trueIdEEEEEE10hipError_tPvRmT3_T4_T5_T6_T7_T9_mT8_P12ihipStream_tbDpT10_ENKUlT_T0_E_clISt17integral_constantIbLb0EES1A_IbLb1EEEEDaS16_S17_EUlS16_E_NS1_11comp_targetILNS1_3genE0ELNS1_11target_archE4294967295ELNS1_3gpuE0ELNS1_3repE0EEENS1_30default_config_static_selectorELNS0_4arch9wavefront6targetE0EEEvT1_,comdat
	.protected	_ZN7rocprim17ROCPRIM_400000_NS6detail17trampoline_kernelINS0_14default_configENS1_25partition_config_selectorILNS1_17partition_subalgoE6EdNS0_10empty_typeEbEEZZNS1_14partition_implILS5_6ELb0ES3_mN6thrust23THRUST_200600_302600_NS6detail15normal_iteratorINSA_10device_ptrIdEEEEPS6_SG_NS0_5tupleIJNSA_16discard_iteratorINSA_11use_defaultEEES6_EEENSH_IJSG_SG_EEES6_PlJNSB_9not_fun_tI7is_trueIdEEEEEE10hipError_tPvRmT3_T4_T5_T6_T7_T9_mT8_P12ihipStream_tbDpT10_ENKUlT_T0_E_clISt17integral_constantIbLb0EES1A_IbLb1EEEEDaS16_S17_EUlS16_E_NS1_11comp_targetILNS1_3genE0ELNS1_11target_archE4294967295ELNS1_3gpuE0ELNS1_3repE0EEENS1_30default_config_static_selectorELNS0_4arch9wavefront6targetE0EEEvT1_ ; -- Begin function _ZN7rocprim17ROCPRIM_400000_NS6detail17trampoline_kernelINS0_14default_configENS1_25partition_config_selectorILNS1_17partition_subalgoE6EdNS0_10empty_typeEbEEZZNS1_14partition_implILS5_6ELb0ES3_mN6thrust23THRUST_200600_302600_NS6detail15normal_iteratorINSA_10device_ptrIdEEEEPS6_SG_NS0_5tupleIJNSA_16discard_iteratorINSA_11use_defaultEEES6_EEENSH_IJSG_SG_EEES6_PlJNSB_9not_fun_tI7is_trueIdEEEEEE10hipError_tPvRmT3_T4_T5_T6_T7_T9_mT8_P12ihipStream_tbDpT10_ENKUlT_T0_E_clISt17integral_constantIbLb0EES1A_IbLb1EEEEDaS16_S17_EUlS16_E_NS1_11comp_targetILNS1_3genE0ELNS1_11target_archE4294967295ELNS1_3gpuE0ELNS1_3repE0EEENS1_30default_config_static_selectorELNS0_4arch9wavefront6targetE0EEEvT1_
	.globl	_ZN7rocprim17ROCPRIM_400000_NS6detail17trampoline_kernelINS0_14default_configENS1_25partition_config_selectorILNS1_17partition_subalgoE6EdNS0_10empty_typeEbEEZZNS1_14partition_implILS5_6ELb0ES3_mN6thrust23THRUST_200600_302600_NS6detail15normal_iteratorINSA_10device_ptrIdEEEEPS6_SG_NS0_5tupleIJNSA_16discard_iteratorINSA_11use_defaultEEES6_EEENSH_IJSG_SG_EEES6_PlJNSB_9not_fun_tI7is_trueIdEEEEEE10hipError_tPvRmT3_T4_T5_T6_T7_T9_mT8_P12ihipStream_tbDpT10_ENKUlT_T0_E_clISt17integral_constantIbLb0EES1A_IbLb1EEEEDaS16_S17_EUlS16_E_NS1_11comp_targetILNS1_3genE0ELNS1_11target_archE4294967295ELNS1_3gpuE0ELNS1_3repE0EEENS1_30default_config_static_selectorELNS0_4arch9wavefront6targetE0EEEvT1_
	.p2align	8
	.type	_ZN7rocprim17ROCPRIM_400000_NS6detail17trampoline_kernelINS0_14default_configENS1_25partition_config_selectorILNS1_17partition_subalgoE6EdNS0_10empty_typeEbEEZZNS1_14partition_implILS5_6ELb0ES3_mN6thrust23THRUST_200600_302600_NS6detail15normal_iteratorINSA_10device_ptrIdEEEEPS6_SG_NS0_5tupleIJNSA_16discard_iteratorINSA_11use_defaultEEES6_EEENSH_IJSG_SG_EEES6_PlJNSB_9not_fun_tI7is_trueIdEEEEEE10hipError_tPvRmT3_T4_T5_T6_T7_T9_mT8_P12ihipStream_tbDpT10_ENKUlT_T0_E_clISt17integral_constantIbLb0EES1A_IbLb1EEEEDaS16_S17_EUlS16_E_NS1_11comp_targetILNS1_3genE0ELNS1_11target_archE4294967295ELNS1_3gpuE0ELNS1_3repE0EEENS1_30default_config_static_selectorELNS0_4arch9wavefront6targetE0EEEvT1_,@function
_ZN7rocprim17ROCPRIM_400000_NS6detail17trampoline_kernelINS0_14default_configENS1_25partition_config_selectorILNS1_17partition_subalgoE6EdNS0_10empty_typeEbEEZZNS1_14partition_implILS5_6ELb0ES3_mN6thrust23THRUST_200600_302600_NS6detail15normal_iteratorINSA_10device_ptrIdEEEEPS6_SG_NS0_5tupleIJNSA_16discard_iteratorINSA_11use_defaultEEES6_EEENSH_IJSG_SG_EEES6_PlJNSB_9not_fun_tI7is_trueIdEEEEEE10hipError_tPvRmT3_T4_T5_T6_T7_T9_mT8_P12ihipStream_tbDpT10_ENKUlT_T0_E_clISt17integral_constantIbLb0EES1A_IbLb1EEEEDaS16_S17_EUlS16_E_NS1_11comp_targetILNS1_3genE0ELNS1_11target_archE4294967295ELNS1_3gpuE0ELNS1_3repE0EEENS1_30default_config_static_selectorELNS0_4arch9wavefront6targetE0EEEvT1_: ; @_ZN7rocprim17ROCPRIM_400000_NS6detail17trampoline_kernelINS0_14default_configENS1_25partition_config_selectorILNS1_17partition_subalgoE6EdNS0_10empty_typeEbEEZZNS1_14partition_implILS5_6ELb0ES3_mN6thrust23THRUST_200600_302600_NS6detail15normal_iteratorINSA_10device_ptrIdEEEEPS6_SG_NS0_5tupleIJNSA_16discard_iteratorINSA_11use_defaultEEES6_EEENSH_IJSG_SG_EEES6_PlJNSB_9not_fun_tI7is_trueIdEEEEEE10hipError_tPvRmT3_T4_T5_T6_T7_T9_mT8_P12ihipStream_tbDpT10_ENKUlT_T0_E_clISt17integral_constantIbLb0EES1A_IbLb1EEEEDaS16_S17_EUlS16_E_NS1_11comp_targetILNS1_3genE0ELNS1_11target_archE4294967295ELNS1_3gpuE0ELNS1_3repE0EEENS1_30default_config_static_selectorELNS0_4arch9wavefront6targetE0EEEvT1_
; %bb.0:
	.section	.rodata,"a",@progbits
	.p2align	6, 0x0
	.amdhsa_kernel _ZN7rocprim17ROCPRIM_400000_NS6detail17trampoline_kernelINS0_14default_configENS1_25partition_config_selectorILNS1_17partition_subalgoE6EdNS0_10empty_typeEbEEZZNS1_14partition_implILS5_6ELb0ES3_mN6thrust23THRUST_200600_302600_NS6detail15normal_iteratorINSA_10device_ptrIdEEEEPS6_SG_NS0_5tupleIJNSA_16discard_iteratorINSA_11use_defaultEEES6_EEENSH_IJSG_SG_EEES6_PlJNSB_9not_fun_tI7is_trueIdEEEEEE10hipError_tPvRmT3_T4_T5_T6_T7_T9_mT8_P12ihipStream_tbDpT10_ENKUlT_T0_E_clISt17integral_constantIbLb0EES1A_IbLb1EEEEDaS16_S17_EUlS16_E_NS1_11comp_targetILNS1_3genE0ELNS1_11target_archE4294967295ELNS1_3gpuE0ELNS1_3repE0EEENS1_30default_config_static_selectorELNS0_4arch9wavefront6targetE0EEEvT1_
		.amdhsa_group_segment_fixed_size 0
		.amdhsa_private_segment_fixed_size 0
		.amdhsa_kernarg_size 136
		.amdhsa_user_sgpr_count 2
		.amdhsa_user_sgpr_dispatch_ptr 0
		.amdhsa_user_sgpr_queue_ptr 0
		.amdhsa_user_sgpr_kernarg_segment_ptr 1
		.amdhsa_user_sgpr_dispatch_id 0
		.amdhsa_user_sgpr_private_segment_size 0
		.amdhsa_wavefront_size32 1
		.amdhsa_uses_dynamic_stack 0
		.amdhsa_enable_private_segment 0
		.amdhsa_system_sgpr_workgroup_id_x 1
		.amdhsa_system_sgpr_workgroup_id_y 0
		.amdhsa_system_sgpr_workgroup_id_z 0
		.amdhsa_system_sgpr_workgroup_info 0
		.amdhsa_system_vgpr_workitem_id 0
		.amdhsa_next_free_vgpr 1
		.amdhsa_next_free_sgpr 1
		.amdhsa_reserve_vcc 0
		.amdhsa_float_round_mode_32 0
		.amdhsa_float_round_mode_16_64 0
		.amdhsa_float_denorm_mode_32 3
		.amdhsa_float_denorm_mode_16_64 3
		.amdhsa_fp16_overflow 0
		.amdhsa_workgroup_processor_mode 1
		.amdhsa_memory_ordered 1
		.amdhsa_forward_progress 1
		.amdhsa_inst_pref_size 0
		.amdhsa_round_robin_scheduling 0
		.amdhsa_exception_fp_ieee_invalid_op 0
		.amdhsa_exception_fp_denorm_src 0
		.amdhsa_exception_fp_ieee_div_zero 0
		.amdhsa_exception_fp_ieee_overflow 0
		.amdhsa_exception_fp_ieee_underflow 0
		.amdhsa_exception_fp_ieee_inexact 0
		.amdhsa_exception_int_div_zero 0
	.end_amdhsa_kernel
	.section	.text._ZN7rocprim17ROCPRIM_400000_NS6detail17trampoline_kernelINS0_14default_configENS1_25partition_config_selectorILNS1_17partition_subalgoE6EdNS0_10empty_typeEbEEZZNS1_14partition_implILS5_6ELb0ES3_mN6thrust23THRUST_200600_302600_NS6detail15normal_iteratorINSA_10device_ptrIdEEEEPS6_SG_NS0_5tupleIJNSA_16discard_iteratorINSA_11use_defaultEEES6_EEENSH_IJSG_SG_EEES6_PlJNSB_9not_fun_tI7is_trueIdEEEEEE10hipError_tPvRmT3_T4_T5_T6_T7_T9_mT8_P12ihipStream_tbDpT10_ENKUlT_T0_E_clISt17integral_constantIbLb0EES1A_IbLb1EEEEDaS16_S17_EUlS16_E_NS1_11comp_targetILNS1_3genE0ELNS1_11target_archE4294967295ELNS1_3gpuE0ELNS1_3repE0EEENS1_30default_config_static_selectorELNS0_4arch9wavefront6targetE0EEEvT1_,"axG",@progbits,_ZN7rocprim17ROCPRIM_400000_NS6detail17trampoline_kernelINS0_14default_configENS1_25partition_config_selectorILNS1_17partition_subalgoE6EdNS0_10empty_typeEbEEZZNS1_14partition_implILS5_6ELb0ES3_mN6thrust23THRUST_200600_302600_NS6detail15normal_iteratorINSA_10device_ptrIdEEEEPS6_SG_NS0_5tupleIJNSA_16discard_iteratorINSA_11use_defaultEEES6_EEENSH_IJSG_SG_EEES6_PlJNSB_9not_fun_tI7is_trueIdEEEEEE10hipError_tPvRmT3_T4_T5_T6_T7_T9_mT8_P12ihipStream_tbDpT10_ENKUlT_T0_E_clISt17integral_constantIbLb0EES1A_IbLb1EEEEDaS16_S17_EUlS16_E_NS1_11comp_targetILNS1_3genE0ELNS1_11target_archE4294967295ELNS1_3gpuE0ELNS1_3repE0EEENS1_30default_config_static_selectorELNS0_4arch9wavefront6targetE0EEEvT1_,comdat
.Lfunc_end2101:
	.size	_ZN7rocprim17ROCPRIM_400000_NS6detail17trampoline_kernelINS0_14default_configENS1_25partition_config_selectorILNS1_17partition_subalgoE6EdNS0_10empty_typeEbEEZZNS1_14partition_implILS5_6ELb0ES3_mN6thrust23THRUST_200600_302600_NS6detail15normal_iteratorINSA_10device_ptrIdEEEEPS6_SG_NS0_5tupleIJNSA_16discard_iteratorINSA_11use_defaultEEES6_EEENSH_IJSG_SG_EEES6_PlJNSB_9not_fun_tI7is_trueIdEEEEEE10hipError_tPvRmT3_T4_T5_T6_T7_T9_mT8_P12ihipStream_tbDpT10_ENKUlT_T0_E_clISt17integral_constantIbLb0EES1A_IbLb1EEEEDaS16_S17_EUlS16_E_NS1_11comp_targetILNS1_3genE0ELNS1_11target_archE4294967295ELNS1_3gpuE0ELNS1_3repE0EEENS1_30default_config_static_selectorELNS0_4arch9wavefront6targetE0EEEvT1_, .Lfunc_end2101-_ZN7rocprim17ROCPRIM_400000_NS6detail17trampoline_kernelINS0_14default_configENS1_25partition_config_selectorILNS1_17partition_subalgoE6EdNS0_10empty_typeEbEEZZNS1_14partition_implILS5_6ELb0ES3_mN6thrust23THRUST_200600_302600_NS6detail15normal_iteratorINSA_10device_ptrIdEEEEPS6_SG_NS0_5tupleIJNSA_16discard_iteratorINSA_11use_defaultEEES6_EEENSH_IJSG_SG_EEES6_PlJNSB_9not_fun_tI7is_trueIdEEEEEE10hipError_tPvRmT3_T4_T5_T6_T7_T9_mT8_P12ihipStream_tbDpT10_ENKUlT_T0_E_clISt17integral_constantIbLb0EES1A_IbLb1EEEEDaS16_S17_EUlS16_E_NS1_11comp_targetILNS1_3genE0ELNS1_11target_archE4294967295ELNS1_3gpuE0ELNS1_3repE0EEENS1_30default_config_static_selectorELNS0_4arch9wavefront6targetE0EEEvT1_
                                        ; -- End function
	.set _ZN7rocprim17ROCPRIM_400000_NS6detail17trampoline_kernelINS0_14default_configENS1_25partition_config_selectorILNS1_17partition_subalgoE6EdNS0_10empty_typeEbEEZZNS1_14partition_implILS5_6ELb0ES3_mN6thrust23THRUST_200600_302600_NS6detail15normal_iteratorINSA_10device_ptrIdEEEEPS6_SG_NS0_5tupleIJNSA_16discard_iteratorINSA_11use_defaultEEES6_EEENSH_IJSG_SG_EEES6_PlJNSB_9not_fun_tI7is_trueIdEEEEEE10hipError_tPvRmT3_T4_T5_T6_T7_T9_mT8_P12ihipStream_tbDpT10_ENKUlT_T0_E_clISt17integral_constantIbLb0EES1A_IbLb1EEEEDaS16_S17_EUlS16_E_NS1_11comp_targetILNS1_3genE0ELNS1_11target_archE4294967295ELNS1_3gpuE0ELNS1_3repE0EEENS1_30default_config_static_selectorELNS0_4arch9wavefront6targetE0EEEvT1_.num_vgpr, 0
	.set _ZN7rocprim17ROCPRIM_400000_NS6detail17trampoline_kernelINS0_14default_configENS1_25partition_config_selectorILNS1_17partition_subalgoE6EdNS0_10empty_typeEbEEZZNS1_14partition_implILS5_6ELb0ES3_mN6thrust23THRUST_200600_302600_NS6detail15normal_iteratorINSA_10device_ptrIdEEEEPS6_SG_NS0_5tupleIJNSA_16discard_iteratorINSA_11use_defaultEEES6_EEENSH_IJSG_SG_EEES6_PlJNSB_9not_fun_tI7is_trueIdEEEEEE10hipError_tPvRmT3_T4_T5_T6_T7_T9_mT8_P12ihipStream_tbDpT10_ENKUlT_T0_E_clISt17integral_constantIbLb0EES1A_IbLb1EEEEDaS16_S17_EUlS16_E_NS1_11comp_targetILNS1_3genE0ELNS1_11target_archE4294967295ELNS1_3gpuE0ELNS1_3repE0EEENS1_30default_config_static_selectorELNS0_4arch9wavefront6targetE0EEEvT1_.num_agpr, 0
	.set _ZN7rocprim17ROCPRIM_400000_NS6detail17trampoline_kernelINS0_14default_configENS1_25partition_config_selectorILNS1_17partition_subalgoE6EdNS0_10empty_typeEbEEZZNS1_14partition_implILS5_6ELb0ES3_mN6thrust23THRUST_200600_302600_NS6detail15normal_iteratorINSA_10device_ptrIdEEEEPS6_SG_NS0_5tupleIJNSA_16discard_iteratorINSA_11use_defaultEEES6_EEENSH_IJSG_SG_EEES6_PlJNSB_9not_fun_tI7is_trueIdEEEEEE10hipError_tPvRmT3_T4_T5_T6_T7_T9_mT8_P12ihipStream_tbDpT10_ENKUlT_T0_E_clISt17integral_constantIbLb0EES1A_IbLb1EEEEDaS16_S17_EUlS16_E_NS1_11comp_targetILNS1_3genE0ELNS1_11target_archE4294967295ELNS1_3gpuE0ELNS1_3repE0EEENS1_30default_config_static_selectorELNS0_4arch9wavefront6targetE0EEEvT1_.numbered_sgpr, 0
	.set _ZN7rocprim17ROCPRIM_400000_NS6detail17trampoline_kernelINS0_14default_configENS1_25partition_config_selectorILNS1_17partition_subalgoE6EdNS0_10empty_typeEbEEZZNS1_14partition_implILS5_6ELb0ES3_mN6thrust23THRUST_200600_302600_NS6detail15normal_iteratorINSA_10device_ptrIdEEEEPS6_SG_NS0_5tupleIJNSA_16discard_iteratorINSA_11use_defaultEEES6_EEENSH_IJSG_SG_EEES6_PlJNSB_9not_fun_tI7is_trueIdEEEEEE10hipError_tPvRmT3_T4_T5_T6_T7_T9_mT8_P12ihipStream_tbDpT10_ENKUlT_T0_E_clISt17integral_constantIbLb0EES1A_IbLb1EEEEDaS16_S17_EUlS16_E_NS1_11comp_targetILNS1_3genE0ELNS1_11target_archE4294967295ELNS1_3gpuE0ELNS1_3repE0EEENS1_30default_config_static_selectorELNS0_4arch9wavefront6targetE0EEEvT1_.num_named_barrier, 0
	.set _ZN7rocprim17ROCPRIM_400000_NS6detail17trampoline_kernelINS0_14default_configENS1_25partition_config_selectorILNS1_17partition_subalgoE6EdNS0_10empty_typeEbEEZZNS1_14partition_implILS5_6ELb0ES3_mN6thrust23THRUST_200600_302600_NS6detail15normal_iteratorINSA_10device_ptrIdEEEEPS6_SG_NS0_5tupleIJNSA_16discard_iteratorINSA_11use_defaultEEES6_EEENSH_IJSG_SG_EEES6_PlJNSB_9not_fun_tI7is_trueIdEEEEEE10hipError_tPvRmT3_T4_T5_T6_T7_T9_mT8_P12ihipStream_tbDpT10_ENKUlT_T0_E_clISt17integral_constantIbLb0EES1A_IbLb1EEEEDaS16_S17_EUlS16_E_NS1_11comp_targetILNS1_3genE0ELNS1_11target_archE4294967295ELNS1_3gpuE0ELNS1_3repE0EEENS1_30default_config_static_selectorELNS0_4arch9wavefront6targetE0EEEvT1_.private_seg_size, 0
	.set _ZN7rocprim17ROCPRIM_400000_NS6detail17trampoline_kernelINS0_14default_configENS1_25partition_config_selectorILNS1_17partition_subalgoE6EdNS0_10empty_typeEbEEZZNS1_14partition_implILS5_6ELb0ES3_mN6thrust23THRUST_200600_302600_NS6detail15normal_iteratorINSA_10device_ptrIdEEEEPS6_SG_NS0_5tupleIJNSA_16discard_iteratorINSA_11use_defaultEEES6_EEENSH_IJSG_SG_EEES6_PlJNSB_9not_fun_tI7is_trueIdEEEEEE10hipError_tPvRmT3_T4_T5_T6_T7_T9_mT8_P12ihipStream_tbDpT10_ENKUlT_T0_E_clISt17integral_constantIbLb0EES1A_IbLb1EEEEDaS16_S17_EUlS16_E_NS1_11comp_targetILNS1_3genE0ELNS1_11target_archE4294967295ELNS1_3gpuE0ELNS1_3repE0EEENS1_30default_config_static_selectorELNS0_4arch9wavefront6targetE0EEEvT1_.uses_vcc, 0
	.set _ZN7rocprim17ROCPRIM_400000_NS6detail17trampoline_kernelINS0_14default_configENS1_25partition_config_selectorILNS1_17partition_subalgoE6EdNS0_10empty_typeEbEEZZNS1_14partition_implILS5_6ELb0ES3_mN6thrust23THRUST_200600_302600_NS6detail15normal_iteratorINSA_10device_ptrIdEEEEPS6_SG_NS0_5tupleIJNSA_16discard_iteratorINSA_11use_defaultEEES6_EEENSH_IJSG_SG_EEES6_PlJNSB_9not_fun_tI7is_trueIdEEEEEE10hipError_tPvRmT3_T4_T5_T6_T7_T9_mT8_P12ihipStream_tbDpT10_ENKUlT_T0_E_clISt17integral_constantIbLb0EES1A_IbLb1EEEEDaS16_S17_EUlS16_E_NS1_11comp_targetILNS1_3genE0ELNS1_11target_archE4294967295ELNS1_3gpuE0ELNS1_3repE0EEENS1_30default_config_static_selectorELNS0_4arch9wavefront6targetE0EEEvT1_.uses_flat_scratch, 0
	.set _ZN7rocprim17ROCPRIM_400000_NS6detail17trampoline_kernelINS0_14default_configENS1_25partition_config_selectorILNS1_17partition_subalgoE6EdNS0_10empty_typeEbEEZZNS1_14partition_implILS5_6ELb0ES3_mN6thrust23THRUST_200600_302600_NS6detail15normal_iteratorINSA_10device_ptrIdEEEEPS6_SG_NS0_5tupleIJNSA_16discard_iteratorINSA_11use_defaultEEES6_EEENSH_IJSG_SG_EEES6_PlJNSB_9not_fun_tI7is_trueIdEEEEEE10hipError_tPvRmT3_T4_T5_T6_T7_T9_mT8_P12ihipStream_tbDpT10_ENKUlT_T0_E_clISt17integral_constantIbLb0EES1A_IbLb1EEEEDaS16_S17_EUlS16_E_NS1_11comp_targetILNS1_3genE0ELNS1_11target_archE4294967295ELNS1_3gpuE0ELNS1_3repE0EEENS1_30default_config_static_selectorELNS0_4arch9wavefront6targetE0EEEvT1_.has_dyn_sized_stack, 0
	.set _ZN7rocprim17ROCPRIM_400000_NS6detail17trampoline_kernelINS0_14default_configENS1_25partition_config_selectorILNS1_17partition_subalgoE6EdNS0_10empty_typeEbEEZZNS1_14partition_implILS5_6ELb0ES3_mN6thrust23THRUST_200600_302600_NS6detail15normal_iteratorINSA_10device_ptrIdEEEEPS6_SG_NS0_5tupleIJNSA_16discard_iteratorINSA_11use_defaultEEES6_EEENSH_IJSG_SG_EEES6_PlJNSB_9not_fun_tI7is_trueIdEEEEEE10hipError_tPvRmT3_T4_T5_T6_T7_T9_mT8_P12ihipStream_tbDpT10_ENKUlT_T0_E_clISt17integral_constantIbLb0EES1A_IbLb1EEEEDaS16_S17_EUlS16_E_NS1_11comp_targetILNS1_3genE0ELNS1_11target_archE4294967295ELNS1_3gpuE0ELNS1_3repE0EEENS1_30default_config_static_selectorELNS0_4arch9wavefront6targetE0EEEvT1_.has_recursion, 0
	.set _ZN7rocprim17ROCPRIM_400000_NS6detail17trampoline_kernelINS0_14default_configENS1_25partition_config_selectorILNS1_17partition_subalgoE6EdNS0_10empty_typeEbEEZZNS1_14partition_implILS5_6ELb0ES3_mN6thrust23THRUST_200600_302600_NS6detail15normal_iteratorINSA_10device_ptrIdEEEEPS6_SG_NS0_5tupleIJNSA_16discard_iteratorINSA_11use_defaultEEES6_EEENSH_IJSG_SG_EEES6_PlJNSB_9not_fun_tI7is_trueIdEEEEEE10hipError_tPvRmT3_T4_T5_T6_T7_T9_mT8_P12ihipStream_tbDpT10_ENKUlT_T0_E_clISt17integral_constantIbLb0EES1A_IbLb1EEEEDaS16_S17_EUlS16_E_NS1_11comp_targetILNS1_3genE0ELNS1_11target_archE4294967295ELNS1_3gpuE0ELNS1_3repE0EEENS1_30default_config_static_selectorELNS0_4arch9wavefront6targetE0EEEvT1_.has_indirect_call, 0
	.section	.AMDGPU.csdata,"",@progbits
; Kernel info:
; codeLenInByte = 0
; TotalNumSgprs: 0
; NumVgprs: 0
; ScratchSize: 0
; MemoryBound: 0
; FloatMode: 240
; IeeeMode: 1
; LDSByteSize: 0 bytes/workgroup (compile time only)
; SGPRBlocks: 0
; VGPRBlocks: 0
; NumSGPRsForWavesPerEU: 1
; NumVGPRsForWavesPerEU: 1
; Occupancy: 16
; WaveLimiterHint : 0
; COMPUTE_PGM_RSRC2:SCRATCH_EN: 0
; COMPUTE_PGM_RSRC2:USER_SGPR: 2
; COMPUTE_PGM_RSRC2:TRAP_HANDLER: 0
; COMPUTE_PGM_RSRC2:TGID_X_EN: 1
; COMPUTE_PGM_RSRC2:TGID_Y_EN: 0
; COMPUTE_PGM_RSRC2:TGID_Z_EN: 0
; COMPUTE_PGM_RSRC2:TIDIG_COMP_CNT: 0
	.section	.text._ZN7rocprim17ROCPRIM_400000_NS6detail17trampoline_kernelINS0_14default_configENS1_25partition_config_selectorILNS1_17partition_subalgoE6EdNS0_10empty_typeEbEEZZNS1_14partition_implILS5_6ELb0ES3_mN6thrust23THRUST_200600_302600_NS6detail15normal_iteratorINSA_10device_ptrIdEEEEPS6_SG_NS0_5tupleIJNSA_16discard_iteratorINSA_11use_defaultEEES6_EEENSH_IJSG_SG_EEES6_PlJNSB_9not_fun_tI7is_trueIdEEEEEE10hipError_tPvRmT3_T4_T5_T6_T7_T9_mT8_P12ihipStream_tbDpT10_ENKUlT_T0_E_clISt17integral_constantIbLb0EES1A_IbLb1EEEEDaS16_S17_EUlS16_E_NS1_11comp_targetILNS1_3genE5ELNS1_11target_archE942ELNS1_3gpuE9ELNS1_3repE0EEENS1_30default_config_static_selectorELNS0_4arch9wavefront6targetE0EEEvT1_,"axG",@progbits,_ZN7rocprim17ROCPRIM_400000_NS6detail17trampoline_kernelINS0_14default_configENS1_25partition_config_selectorILNS1_17partition_subalgoE6EdNS0_10empty_typeEbEEZZNS1_14partition_implILS5_6ELb0ES3_mN6thrust23THRUST_200600_302600_NS6detail15normal_iteratorINSA_10device_ptrIdEEEEPS6_SG_NS0_5tupleIJNSA_16discard_iteratorINSA_11use_defaultEEES6_EEENSH_IJSG_SG_EEES6_PlJNSB_9not_fun_tI7is_trueIdEEEEEE10hipError_tPvRmT3_T4_T5_T6_T7_T9_mT8_P12ihipStream_tbDpT10_ENKUlT_T0_E_clISt17integral_constantIbLb0EES1A_IbLb1EEEEDaS16_S17_EUlS16_E_NS1_11comp_targetILNS1_3genE5ELNS1_11target_archE942ELNS1_3gpuE9ELNS1_3repE0EEENS1_30default_config_static_selectorELNS0_4arch9wavefront6targetE0EEEvT1_,comdat
	.protected	_ZN7rocprim17ROCPRIM_400000_NS6detail17trampoline_kernelINS0_14default_configENS1_25partition_config_selectorILNS1_17partition_subalgoE6EdNS0_10empty_typeEbEEZZNS1_14partition_implILS5_6ELb0ES3_mN6thrust23THRUST_200600_302600_NS6detail15normal_iteratorINSA_10device_ptrIdEEEEPS6_SG_NS0_5tupleIJNSA_16discard_iteratorINSA_11use_defaultEEES6_EEENSH_IJSG_SG_EEES6_PlJNSB_9not_fun_tI7is_trueIdEEEEEE10hipError_tPvRmT3_T4_T5_T6_T7_T9_mT8_P12ihipStream_tbDpT10_ENKUlT_T0_E_clISt17integral_constantIbLb0EES1A_IbLb1EEEEDaS16_S17_EUlS16_E_NS1_11comp_targetILNS1_3genE5ELNS1_11target_archE942ELNS1_3gpuE9ELNS1_3repE0EEENS1_30default_config_static_selectorELNS0_4arch9wavefront6targetE0EEEvT1_ ; -- Begin function _ZN7rocprim17ROCPRIM_400000_NS6detail17trampoline_kernelINS0_14default_configENS1_25partition_config_selectorILNS1_17partition_subalgoE6EdNS0_10empty_typeEbEEZZNS1_14partition_implILS5_6ELb0ES3_mN6thrust23THRUST_200600_302600_NS6detail15normal_iteratorINSA_10device_ptrIdEEEEPS6_SG_NS0_5tupleIJNSA_16discard_iteratorINSA_11use_defaultEEES6_EEENSH_IJSG_SG_EEES6_PlJNSB_9not_fun_tI7is_trueIdEEEEEE10hipError_tPvRmT3_T4_T5_T6_T7_T9_mT8_P12ihipStream_tbDpT10_ENKUlT_T0_E_clISt17integral_constantIbLb0EES1A_IbLb1EEEEDaS16_S17_EUlS16_E_NS1_11comp_targetILNS1_3genE5ELNS1_11target_archE942ELNS1_3gpuE9ELNS1_3repE0EEENS1_30default_config_static_selectorELNS0_4arch9wavefront6targetE0EEEvT1_
	.globl	_ZN7rocprim17ROCPRIM_400000_NS6detail17trampoline_kernelINS0_14default_configENS1_25partition_config_selectorILNS1_17partition_subalgoE6EdNS0_10empty_typeEbEEZZNS1_14partition_implILS5_6ELb0ES3_mN6thrust23THRUST_200600_302600_NS6detail15normal_iteratorINSA_10device_ptrIdEEEEPS6_SG_NS0_5tupleIJNSA_16discard_iteratorINSA_11use_defaultEEES6_EEENSH_IJSG_SG_EEES6_PlJNSB_9not_fun_tI7is_trueIdEEEEEE10hipError_tPvRmT3_T4_T5_T6_T7_T9_mT8_P12ihipStream_tbDpT10_ENKUlT_T0_E_clISt17integral_constantIbLb0EES1A_IbLb1EEEEDaS16_S17_EUlS16_E_NS1_11comp_targetILNS1_3genE5ELNS1_11target_archE942ELNS1_3gpuE9ELNS1_3repE0EEENS1_30default_config_static_selectorELNS0_4arch9wavefront6targetE0EEEvT1_
	.p2align	8
	.type	_ZN7rocprim17ROCPRIM_400000_NS6detail17trampoline_kernelINS0_14default_configENS1_25partition_config_selectorILNS1_17partition_subalgoE6EdNS0_10empty_typeEbEEZZNS1_14partition_implILS5_6ELb0ES3_mN6thrust23THRUST_200600_302600_NS6detail15normal_iteratorINSA_10device_ptrIdEEEEPS6_SG_NS0_5tupleIJNSA_16discard_iteratorINSA_11use_defaultEEES6_EEENSH_IJSG_SG_EEES6_PlJNSB_9not_fun_tI7is_trueIdEEEEEE10hipError_tPvRmT3_T4_T5_T6_T7_T9_mT8_P12ihipStream_tbDpT10_ENKUlT_T0_E_clISt17integral_constantIbLb0EES1A_IbLb1EEEEDaS16_S17_EUlS16_E_NS1_11comp_targetILNS1_3genE5ELNS1_11target_archE942ELNS1_3gpuE9ELNS1_3repE0EEENS1_30default_config_static_selectorELNS0_4arch9wavefront6targetE0EEEvT1_,@function
_ZN7rocprim17ROCPRIM_400000_NS6detail17trampoline_kernelINS0_14default_configENS1_25partition_config_selectorILNS1_17partition_subalgoE6EdNS0_10empty_typeEbEEZZNS1_14partition_implILS5_6ELb0ES3_mN6thrust23THRUST_200600_302600_NS6detail15normal_iteratorINSA_10device_ptrIdEEEEPS6_SG_NS0_5tupleIJNSA_16discard_iteratorINSA_11use_defaultEEES6_EEENSH_IJSG_SG_EEES6_PlJNSB_9not_fun_tI7is_trueIdEEEEEE10hipError_tPvRmT3_T4_T5_T6_T7_T9_mT8_P12ihipStream_tbDpT10_ENKUlT_T0_E_clISt17integral_constantIbLb0EES1A_IbLb1EEEEDaS16_S17_EUlS16_E_NS1_11comp_targetILNS1_3genE5ELNS1_11target_archE942ELNS1_3gpuE9ELNS1_3repE0EEENS1_30default_config_static_selectorELNS0_4arch9wavefront6targetE0EEEvT1_: ; @_ZN7rocprim17ROCPRIM_400000_NS6detail17trampoline_kernelINS0_14default_configENS1_25partition_config_selectorILNS1_17partition_subalgoE6EdNS0_10empty_typeEbEEZZNS1_14partition_implILS5_6ELb0ES3_mN6thrust23THRUST_200600_302600_NS6detail15normal_iteratorINSA_10device_ptrIdEEEEPS6_SG_NS0_5tupleIJNSA_16discard_iteratorINSA_11use_defaultEEES6_EEENSH_IJSG_SG_EEES6_PlJNSB_9not_fun_tI7is_trueIdEEEEEE10hipError_tPvRmT3_T4_T5_T6_T7_T9_mT8_P12ihipStream_tbDpT10_ENKUlT_T0_E_clISt17integral_constantIbLb0EES1A_IbLb1EEEEDaS16_S17_EUlS16_E_NS1_11comp_targetILNS1_3genE5ELNS1_11target_archE942ELNS1_3gpuE9ELNS1_3repE0EEENS1_30default_config_static_selectorELNS0_4arch9wavefront6targetE0EEEvT1_
; %bb.0:
	.section	.rodata,"a",@progbits
	.p2align	6, 0x0
	.amdhsa_kernel _ZN7rocprim17ROCPRIM_400000_NS6detail17trampoline_kernelINS0_14default_configENS1_25partition_config_selectorILNS1_17partition_subalgoE6EdNS0_10empty_typeEbEEZZNS1_14partition_implILS5_6ELb0ES3_mN6thrust23THRUST_200600_302600_NS6detail15normal_iteratorINSA_10device_ptrIdEEEEPS6_SG_NS0_5tupleIJNSA_16discard_iteratorINSA_11use_defaultEEES6_EEENSH_IJSG_SG_EEES6_PlJNSB_9not_fun_tI7is_trueIdEEEEEE10hipError_tPvRmT3_T4_T5_T6_T7_T9_mT8_P12ihipStream_tbDpT10_ENKUlT_T0_E_clISt17integral_constantIbLb0EES1A_IbLb1EEEEDaS16_S17_EUlS16_E_NS1_11comp_targetILNS1_3genE5ELNS1_11target_archE942ELNS1_3gpuE9ELNS1_3repE0EEENS1_30default_config_static_selectorELNS0_4arch9wavefront6targetE0EEEvT1_
		.amdhsa_group_segment_fixed_size 0
		.amdhsa_private_segment_fixed_size 0
		.amdhsa_kernarg_size 136
		.amdhsa_user_sgpr_count 2
		.amdhsa_user_sgpr_dispatch_ptr 0
		.amdhsa_user_sgpr_queue_ptr 0
		.amdhsa_user_sgpr_kernarg_segment_ptr 1
		.amdhsa_user_sgpr_dispatch_id 0
		.amdhsa_user_sgpr_private_segment_size 0
		.amdhsa_wavefront_size32 1
		.amdhsa_uses_dynamic_stack 0
		.amdhsa_enable_private_segment 0
		.amdhsa_system_sgpr_workgroup_id_x 1
		.amdhsa_system_sgpr_workgroup_id_y 0
		.amdhsa_system_sgpr_workgroup_id_z 0
		.amdhsa_system_sgpr_workgroup_info 0
		.amdhsa_system_vgpr_workitem_id 0
		.amdhsa_next_free_vgpr 1
		.amdhsa_next_free_sgpr 1
		.amdhsa_reserve_vcc 0
		.amdhsa_float_round_mode_32 0
		.amdhsa_float_round_mode_16_64 0
		.amdhsa_float_denorm_mode_32 3
		.amdhsa_float_denorm_mode_16_64 3
		.amdhsa_fp16_overflow 0
		.amdhsa_workgroup_processor_mode 1
		.amdhsa_memory_ordered 1
		.amdhsa_forward_progress 1
		.amdhsa_inst_pref_size 0
		.amdhsa_round_robin_scheduling 0
		.amdhsa_exception_fp_ieee_invalid_op 0
		.amdhsa_exception_fp_denorm_src 0
		.amdhsa_exception_fp_ieee_div_zero 0
		.amdhsa_exception_fp_ieee_overflow 0
		.amdhsa_exception_fp_ieee_underflow 0
		.amdhsa_exception_fp_ieee_inexact 0
		.amdhsa_exception_int_div_zero 0
	.end_amdhsa_kernel
	.section	.text._ZN7rocprim17ROCPRIM_400000_NS6detail17trampoline_kernelINS0_14default_configENS1_25partition_config_selectorILNS1_17partition_subalgoE6EdNS0_10empty_typeEbEEZZNS1_14partition_implILS5_6ELb0ES3_mN6thrust23THRUST_200600_302600_NS6detail15normal_iteratorINSA_10device_ptrIdEEEEPS6_SG_NS0_5tupleIJNSA_16discard_iteratorINSA_11use_defaultEEES6_EEENSH_IJSG_SG_EEES6_PlJNSB_9not_fun_tI7is_trueIdEEEEEE10hipError_tPvRmT3_T4_T5_T6_T7_T9_mT8_P12ihipStream_tbDpT10_ENKUlT_T0_E_clISt17integral_constantIbLb0EES1A_IbLb1EEEEDaS16_S17_EUlS16_E_NS1_11comp_targetILNS1_3genE5ELNS1_11target_archE942ELNS1_3gpuE9ELNS1_3repE0EEENS1_30default_config_static_selectorELNS0_4arch9wavefront6targetE0EEEvT1_,"axG",@progbits,_ZN7rocprim17ROCPRIM_400000_NS6detail17trampoline_kernelINS0_14default_configENS1_25partition_config_selectorILNS1_17partition_subalgoE6EdNS0_10empty_typeEbEEZZNS1_14partition_implILS5_6ELb0ES3_mN6thrust23THRUST_200600_302600_NS6detail15normal_iteratorINSA_10device_ptrIdEEEEPS6_SG_NS0_5tupleIJNSA_16discard_iteratorINSA_11use_defaultEEES6_EEENSH_IJSG_SG_EEES6_PlJNSB_9not_fun_tI7is_trueIdEEEEEE10hipError_tPvRmT3_T4_T5_T6_T7_T9_mT8_P12ihipStream_tbDpT10_ENKUlT_T0_E_clISt17integral_constantIbLb0EES1A_IbLb1EEEEDaS16_S17_EUlS16_E_NS1_11comp_targetILNS1_3genE5ELNS1_11target_archE942ELNS1_3gpuE9ELNS1_3repE0EEENS1_30default_config_static_selectorELNS0_4arch9wavefront6targetE0EEEvT1_,comdat
.Lfunc_end2102:
	.size	_ZN7rocprim17ROCPRIM_400000_NS6detail17trampoline_kernelINS0_14default_configENS1_25partition_config_selectorILNS1_17partition_subalgoE6EdNS0_10empty_typeEbEEZZNS1_14partition_implILS5_6ELb0ES3_mN6thrust23THRUST_200600_302600_NS6detail15normal_iteratorINSA_10device_ptrIdEEEEPS6_SG_NS0_5tupleIJNSA_16discard_iteratorINSA_11use_defaultEEES6_EEENSH_IJSG_SG_EEES6_PlJNSB_9not_fun_tI7is_trueIdEEEEEE10hipError_tPvRmT3_T4_T5_T6_T7_T9_mT8_P12ihipStream_tbDpT10_ENKUlT_T0_E_clISt17integral_constantIbLb0EES1A_IbLb1EEEEDaS16_S17_EUlS16_E_NS1_11comp_targetILNS1_3genE5ELNS1_11target_archE942ELNS1_3gpuE9ELNS1_3repE0EEENS1_30default_config_static_selectorELNS0_4arch9wavefront6targetE0EEEvT1_, .Lfunc_end2102-_ZN7rocprim17ROCPRIM_400000_NS6detail17trampoline_kernelINS0_14default_configENS1_25partition_config_selectorILNS1_17partition_subalgoE6EdNS0_10empty_typeEbEEZZNS1_14partition_implILS5_6ELb0ES3_mN6thrust23THRUST_200600_302600_NS6detail15normal_iteratorINSA_10device_ptrIdEEEEPS6_SG_NS0_5tupleIJNSA_16discard_iteratorINSA_11use_defaultEEES6_EEENSH_IJSG_SG_EEES6_PlJNSB_9not_fun_tI7is_trueIdEEEEEE10hipError_tPvRmT3_T4_T5_T6_T7_T9_mT8_P12ihipStream_tbDpT10_ENKUlT_T0_E_clISt17integral_constantIbLb0EES1A_IbLb1EEEEDaS16_S17_EUlS16_E_NS1_11comp_targetILNS1_3genE5ELNS1_11target_archE942ELNS1_3gpuE9ELNS1_3repE0EEENS1_30default_config_static_selectorELNS0_4arch9wavefront6targetE0EEEvT1_
                                        ; -- End function
	.set _ZN7rocprim17ROCPRIM_400000_NS6detail17trampoline_kernelINS0_14default_configENS1_25partition_config_selectorILNS1_17partition_subalgoE6EdNS0_10empty_typeEbEEZZNS1_14partition_implILS5_6ELb0ES3_mN6thrust23THRUST_200600_302600_NS6detail15normal_iteratorINSA_10device_ptrIdEEEEPS6_SG_NS0_5tupleIJNSA_16discard_iteratorINSA_11use_defaultEEES6_EEENSH_IJSG_SG_EEES6_PlJNSB_9not_fun_tI7is_trueIdEEEEEE10hipError_tPvRmT3_T4_T5_T6_T7_T9_mT8_P12ihipStream_tbDpT10_ENKUlT_T0_E_clISt17integral_constantIbLb0EES1A_IbLb1EEEEDaS16_S17_EUlS16_E_NS1_11comp_targetILNS1_3genE5ELNS1_11target_archE942ELNS1_3gpuE9ELNS1_3repE0EEENS1_30default_config_static_selectorELNS0_4arch9wavefront6targetE0EEEvT1_.num_vgpr, 0
	.set _ZN7rocprim17ROCPRIM_400000_NS6detail17trampoline_kernelINS0_14default_configENS1_25partition_config_selectorILNS1_17partition_subalgoE6EdNS0_10empty_typeEbEEZZNS1_14partition_implILS5_6ELb0ES3_mN6thrust23THRUST_200600_302600_NS6detail15normal_iteratorINSA_10device_ptrIdEEEEPS6_SG_NS0_5tupleIJNSA_16discard_iteratorINSA_11use_defaultEEES6_EEENSH_IJSG_SG_EEES6_PlJNSB_9not_fun_tI7is_trueIdEEEEEE10hipError_tPvRmT3_T4_T5_T6_T7_T9_mT8_P12ihipStream_tbDpT10_ENKUlT_T0_E_clISt17integral_constantIbLb0EES1A_IbLb1EEEEDaS16_S17_EUlS16_E_NS1_11comp_targetILNS1_3genE5ELNS1_11target_archE942ELNS1_3gpuE9ELNS1_3repE0EEENS1_30default_config_static_selectorELNS0_4arch9wavefront6targetE0EEEvT1_.num_agpr, 0
	.set _ZN7rocprim17ROCPRIM_400000_NS6detail17trampoline_kernelINS0_14default_configENS1_25partition_config_selectorILNS1_17partition_subalgoE6EdNS0_10empty_typeEbEEZZNS1_14partition_implILS5_6ELb0ES3_mN6thrust23THRUST_200600_302600_NS6detail15normal_iteratorINSA_10device_ptrIdEEEEPS6_SG_NS0_5tupleIJNSA_16discard_iteratorINSA_11use_defaultEEES6_EEENSH_IJSG_SG_EEES6_PlJNSB_9not_fun_tI7is_trueIdEEEEEE10hipError_tPvRmT3_T4_T5_T6_T7_T9_mT8_P12ihipStream_tbDpT10_ENKUlT_T0_E_clISt17integral_constantIbLb0EES1A_IbLb1EEEEDaS16_S17_EUlS16_E_NS1_11comp_targetILNS1_3genE5ELNS1_11target_archE942ELNS1_3gpuE9ELNS1_3repE0EEENS1_30default_config_static_selectorELNS0_4arch9wavefront6targetE0EEEvT1_.numbered_sgpr, 0
	.set _ZN7rocprim17ROCPRIM_400000_NS6detail17trampoline_kernelINS0_14default_configENS1_25partition_config_selectorILNS1_17partition_subalgoE6EdNS0_10empty_typeEbEEZZNS1_14partition_implILS5_6ELb0ES3_mN6thrust23THRUST_200600_302600_NS6detail15normal_iteratorINSA_10device_ptrIdEEEEPS6_SG_NS0_5tupleIJNSA_16discard_iteratorINSA_11use_defaultEEES6_EEENSH_IJSG_SG_EEES6_PlJNSB_9not_fun_tI7is_trueIdEEEEEE10hipError_tPvRmT3_T4_T5_T6_T7_T9_mT8_P12ihipStream_tbDpT10_ENKUlT_T0_E_clISt17integral_constantIbLb0EES1A_IbLb1EEEEDaS16_S17_EUlS16_E_NS1_11comp_targetILNS1_3genE5ELNS1_11target_archE942ELNS1_3gpuE9ELNS1_3repE0EEENS1_30default_config_static_selectorELNS0_4arch9wavefront6targetE0EEEvT1_.num_named_barrier, 0
	.set _ZN7rocprim17ROCPRIM_400000_NS6detail17trampoline_kernelINS0_14default_configENS1_25partition_config_selectorILNS1_17partition_subalgoE6EdNS0_10empty_typeEbEEZZNS1_14partition_implILS5_6ELb0ES3_mN6thrust23THRUST_200600_302600_NS6detail15normal_iteratorINSA_10device_ptrIdEEEEPS6_SG_NS0_5tupleIJNSA_16discard_iteratorINSA_11use_defaultEEES6_EEENSH_IJSG_SG_EEES6_PlJNSB_9not_fun_tI7is_trueIdEEEEEE10hipError_tPvRmT3_T4_T5_T6_T7_T9_mT8_P12ihipStream_tbDpT10_ENKUlT_T0_E_clISt17integral_constantIbLb0EES1A_IbLb1EEEEDaS16_S17_EUlS16_E_NS1_11comp_targetILNS1_3genE5ELNS1_11target_archE942ELNS1_3gpuE9ELNS1_3repE0EEENS1_30default_config_static_selectorELNS0_4arch9wavefront6targetE0EEEvT1_.private_seg_size, 0
	.set _ZN7rocprim17ROCPRIM_400000_NS6detail17trampoline_kernelINS0_14default_configENS1_25partition_config_selectorILNS1_17partition_subalgoE6EdNS0_10empty_typeEbEEZZNS1_14partition_implILS5_6ELb0ES3_mN6thrust23THRUST_200600_302600_NS6detail15normal_iteratorINSA_10device_ptrIdEEEEPS6_SG_NS0_5tupleIJNSA_16discard_iteratorINSA_11use_defaultEEES6_EEENSH_IJSG_SG_EEES6_PlJNSB_9not_fun_tI7is_trueIdEEEEEE10hipError_tPvRmT3_T4_T5_T6_T7_T9_mT8_P12ihipStream_tbDpT10_ENKUlT_T0_E_clISt17integral_constantIbLb0EES1A_IbLb1EEEEDaS16_S17_EUlS16_E_NS1_11comp_targetILNS1_3genE5ELNS1_11target_archE942ELNS1_3gpuE9ELNS1_3repE0EEENS1_30default_config_static_selectorELNS0_4arch9wavefront6targetE0EEEvT1_.uses_vcc, 0
	.set _ZN7rocprim17ROCPRIM_400000_NS6detail17trampoline_kernelINS0_14default_configENS1_25partition_config_selectorILNS1_17partition_subalgoE6EdNS0_10empty_typeEbEEZZNS1_14partition_implILS5_6ELb0ES3_mN6thrust23THRUST_200600_302600_NS6detail15normal_iteratorINSA_10device_ptrIdEEEEPS6_SG_NS0_5tupleIJNSA_16discard_iteratorINSA_11use_defaultEEES6_EEENSH_IJSG_SG_EEES6_PlJNSB_9not_fun_tI7is_trueIdEEEEEE10hipError_tPvRmT3_T4_T5_T6_T7_T9_mT8_P12ihipStream_tbDpT10_ENKUlT_T0_E_clISt17integral_constantIbLb0EES1A_IbLb1EEEEDaS16_S17_EUlS16_E_NS1_11comp_targetILNS1_3genE5ELNS1_11target_archE942ELNS1_3gpuE9ELNS1_3repE0EEENS1_30default_config_static_selectorELNS0_4arch9wavefront6targetE0EEEvT1_.uses_flat_scratch, 0
	.set _ZN7rocprim17ROCPRIM_400000_NS6detail17trampoline_kernelINS0_14default_configENS1_25partition_config_selectorILNS1_17partition_subalgoE6EdNS0_10empty_typeEbEEZZNS1_14partition_implILS5_6ELb0ES3_mN6thrust23THRUST_200600_302600_NS6detail15normal_iteratorINSA_10device_ptrIdEEEEPS6_SG_NS0_5tupleIJNSA_16discard_iteratorINSA_11use_defaultEEES6_EEENSH_IJSG_SG_EEES6_PlJNSB_9not_fun_tI7is_trueIdEEEEEE10hipError_tPvRmT3_T4_T5_T6_T7_T9_mT8_P12ihipStream_tbDpT10_ENKUlT_T0_E_clISt17integral_constantIbLb0EES1A_IbLb1EEEEDaS16_S17_EUlS16_E_NS1_11comp_targetILNS1_3genE5ELNS1_11target_archE942ELNS1_3gpuE9ELNS1_3repE0EEENS1_30default_config_static_selectorELNS0_4arch9wavefront6targetE0EEEvT1_.has_dyn_sized_stack, 0
	.set _ZN7rocprim17ROCPRIM_400000_NS6detail17trampoline_kernelINS0_14default_configENS1_25partition_config_selectorILNS1_17partition_subalgoE6EdNS0_10empty_typeEbEEZZNS1_14partition_implILS5_6ELb0ES3_mN6thrust23THRUST_200600_302600_NS6detail15normal_iteratorINSA_10device_ptrIdEEEEPS6_SG_NS0_5tupleIJNSA_16discard_iteratorINSA_11use_defaultEEES6_EEENSH_IJSG_SG_EEES6_PlJNSB_9not_fun_tI7is_trueIdEEEEEE10hipError_tPvRmT3_T4_T5_T6_T7_T9_mT8_P12ihipStream_tbDpT10_ENKUlT_T0_E_clISt17integral_constantIbLb0EES1A_IbLb1EEEEDaS16_S17_EUlS16_E_NS1_11comp_targetILNS1_3genE5ELNS1_11target_archE942ELNS1_3gpuE9ELNS1_3repE0EEENS1_30default_config_static_selectorELNS0_4arch9wavefront6targetE0EEEvT1_.has_recursion, 0
	.set _ZN7rocprim17ROCPRIM_400000_NS6detail17trampoline_kernelINS0_14default_configENS1_25partition_config_selectorILNS1_17partition_subalgoE6EdNS0_10empty_typeEbEEZZNS1_14partition_implILS5_6ELb0ES3_mN6thrust23THRUST_200600_302600_NS6detail15normal_iteratorINSA_10device_ptrIdEEEEPS6_SG_NS0_5tupleIJNSA_16discard_iteratorINSA_11use_defaultEEES6_EEENSH_IJSG_SG_EEES6_PlJNSB_9not_fun_tI7is_trueIdEEEEEE10hipError_tPvRmT3_T4_T5_T6_T7_T9_mT8_P12ihipStream_tbDpT10_ENKUlT_T0_E_clISt17integral_constantIbLb0EES1A_IbLb1EEEEDaS16_S17_EUlS16_E_NS1_11comp_targetILNS1_3genE5ELNS1_11target_archE942ELNS1_3gpuE9ELNS1_3repE0EEENS1_30default_config_static_selectorELNS0_4arch9wavefront6targetE0EEEvT1_.has_indirect_call, 0
	.section	.AMDGPU.csdata,"",@progbits
; Kernel info:
; codeLenInByte = 0
; TotalNumSgprs: 0
; NumVgprs: 0
; ScratchSize: 0
; MemoryBound: 0
; FloatMode: 240
; IeeeMode: 1
; LDSByteSize: 0 bytes/workgroup (compile time only)
; SGPRBlocks: 0
; VGPRBlocks: 0
; NumSGPRsForWavesPerEU: 1
; NumVGPRsForWavesPerEU: 1
; Occupancy: 16
; WaveLimiterHint : 0
; COMPUTE_PGM_RSRC2:SCRATCH_EN: 0
; COMPUTE_PGM_RSRC2:USER_SGPR: 2
; COMPUTE_PGM_RSRC2:TRAP_HANDLER: 0
; COMPUTE_PGM_RSRC2:TGID_X_EN: 1
; COMPUTE_PGM_RSRC2:TGID_Y_EN: 0
; COMPUTE_PGM_RSRC2:TGID_Z_EN: 0
; COMPUTE_PGM_RSRC2:TIDIG_COMP_CNT: 0
	.section	.text._ZN7rocprim17ROCPRIM_400000_NS6detail17trampoline_kernelINS0_14default_configENS1_25partition_config_selectorILNS1_17partition_subalgoE6EdNS0_10empty_typeEbEEZZNS1_14partition_implILS5_6ELb0ES3_mN6thrust23THRUST_200600_302600_NS6detail15normal_iteratorINSA_10device_ptrIdEEEEPS6_SG_NS0_5tupleIJNSA_16discard_iteratorINSA_11use_defaultEEES6_EEENSH_IJSG_SG_EEES6_PlJNSB_9not_fun_tI7is_trueIdEEEEEE10hipError_tPvRmT3_T4_T5_T6_T7_T9_mT8_P12ihipStream_tbDpT10_ENKUlT_T0_E_clISt17integral_constantIbLb0EES1A_IbLb1EEEEDaS16_S17_EUlS16_E_NS1_11comp_targetILNS1_3genE4ELNS1_11target_archE910ELNS1_3gpuE8ELNS1_3repE0EEENS1_30default_config_static_selectorELNS0_4arch9wavefront6targetE0EEEvT1_,"axG",@progbits,_ZN7rocprim17ROCPRIM_400000_NS6detail17trampoline_kernelINS0_14default_configENS1_25partition_config_selectorILNS1_17partition_subalgoE6EdNS0_10empty_typeEbEEZZNS1_14partition_implILS5_6ELb0ES3_mN6thrust23THRUST_200600_302600_NS6detail15normal_iteratorINSA_10device_ptrIdEEEEPS6_SG_NS0_5tupleIJNSA_16discard_iteratorINSA_11use_defaultEEES6_EEENSH_IJSG_SG_EEES6_PlJNSB_9not_fun_tI7is_trueIdEEEEEE10hipError_tPvRmT3_T4_T5_T6_T7_T9_mT8_P12ihipStream_tbDpT10_ENKUlT_T0_E_clISt17integral_constantIbLb0EES1A_IbLb1EEEEDaS16_S17_EUlS16_E_NS1_11comp_targetILNS1_3genE4ELNS1_11target_archE910ELNS1_3gpuE8ELNS1_3repE0EEENS1_30default_config_static_selectorELNS0_4arch9wavefront6targetE0EEEvT1_,comdat
	.protected	_ZN7rocprim17ROCPRIM_400000_NS6detail17trampoline_kernelINS0_14default_configENS1_25partition_config_selectorILNS1_17partition_subalgoE6EdNS0_10empty_typeEbEEZZNS1_14partition_implILS5_6ELb0ES3_mN6thrust23THRUST_200600_302600_NS6detail15normal_iteratorINSA_10device_ptrIdEEEEPS6_SG_NS0_5tupleIJNSA_16discard_iteratorINSA_11use_defaultEEES6_EEENSH_IJSG_SG_EEES6_PlJNSB_9not_fun_tI7is_trueIdEEEEEE10hipError_tPvRmT3_T4_T5_T6_T7_T9_mT8_P12ihipStream_tbDpT10_ENKUlT_T0_E_clISt17integral_constantIbLb0EES1A_IbLb1EEEEDaS16_S17_EUlS16_E_NS1_11comp_targetILNS1_3genE4ELNS1_11target_archE910ELNS1_3gpuE8ELNS1_3repE0EEENS1_30default_config_static_selectorELNS0_4arch9wavefront6targetE0EEEvT1_ ; -- Begin function _ZN7rocprim17ROCPRIM_400000_NS6detail17trampoline_kernelINS0_14default_configENS1_25partition_config_selectorILNS1_17partition_subalgoE6EdNS0_10empty_typeEbEEZZNS1_14partition_implILS5_6ELb0ES3_mN6thrust23THRUST_200600_302600_NS6detail15normal_iteratorINSA_10device_ptrIdEEEEPS6_SG_NS0_5tupleIJNSA_16discard_iteratorINSA_11use_defaultEEES6_EEENSH_IJSG_SG_EEES6_PlJNSB_9not_fun_tI7is_trueIdEEEEEE10hipError_tPvRmT3_T4_T5_T6_T7_T9_mT8_P12ihipStream_tbDpT10_ENKUlT_T0_E_clISt17integral_constantIbLb0EES1A_IbLb1EEEEDaS16_S17_EUlS16_E_NS1_11comp_targetILNS1_3genE4ELNS1_11target_archE910ELNS1_3gpuE8ELNS1_3repE0EEENS1_30default_config_static_selectorELNS0_4arch9wavefront6targetE0EEEvT1_
	.globl	_ZN7rocprim17ROCPRIM_400000_NS6detail17trampoline_kernelINS0_14default_configENS1_25partition_config_selectorILNS1_17partition_subalgoE6EdNS0_10empty_typeEbEEZZNS1_14partition_implILS5_6ELb0ES3_mN6thrust23THRUST_200600_302600_NS6detail15normal_iteratorINSA_10device_ptrIdEEEEPS6_SG_NS0_5tupleIJNSA_16discard_iteratorINSA_11use_defaultEEES6_EEENSH_IJSG_SG_EEES6_PlJNSB_9not_fun_tI7is_trueIdEEEEEE10hipError_tPvRmT3_T4_T5_T6_T7_T9_mT8_P12ihipStream_tbDpT10_ENKUlT_T0_E_clISt17integral_constantIbLb0EES1A_IbLb1EEEEDaS16_S17_EUlS16_E_NS1_11comp_targetILNS1_3genE4ELNS1_11target_archE910ELNS1_3gpuE8ELNS1_3repE0EEENS1_30default_config_static_selectorELNS0_4arch9wavefront6targetE0EEEvT1_
	.p2align	8
	.type	_ZN7rocprim17ROCPRIM_400000_NS6detail17trampoline_kernelINS0_14default_configENS1_25partition_config_selectorILNS1_17partition_subalgoE6EdNS0_10empty_typeEbEEZZNS1_14partition_implILS5_6ELb0ES3_mN6thrust23THRUST_200600_302600_NS6detail15normal_iteratorINSA_10device_ptrIdEEEEPS6_SG_NS0_5tupleIJNSA_16discard_iteratorINSA_11use_defaultEEES6_EEENSH_IJSG_SG_EEES6_PlJNSB_9not_fun_tI7is_trueIdEEEEEE10hipError_tPvRmT3_T4_T5_T6_T7_T9_mT8_P12ihipStream_tbDpT10_ENKUlT_T0_E_clISt17integral_constantIbLb0EES1A_IbLb1EEEEDaS16_S17_EUlS16_E_NS1_11comp_targetILNS1_3genE4ELNS1_11target_archE910ELNS1_3gpuE8ELNS1_3repE0EEENS1_30default_config_static_selectorELNS0_4arch9wavefront6targetE0EEEvT1_,@function
_ZN7rocprim17ROCPRIM_400000_NS6detail17trampoline_kernelINS0_14default_configENS1_25partition_config_selectorILNS1_17partition_subalgoE6EdNS0_10empty_typeEbEEZZNS1_14partition_implILS5_6ELb0ES3_mN6thrust23THRUST_200600_302600_NS6detail15normal_iteratorINSA_10device_ptrIdEEEEPS6_SG_NS0_5tupleIJNSA_16discard_iteratorINSA_11use_defaultEEES6_EEENSH_IJSG_SG_EEES6_PlJNSB_9not_fun_tI7is_trueIdEEEEEE10hipError_tPvRmT3_T4_T5_T6_T7_T9_mT8_P12ihipStream_tbDpT10_ENKUlT_T0_E_clISt17integral_constantIbLb0EES1A_IbLb1EEEEDaS16_S17_EUlS16_E_NS1_11comp_targetILNS1_3genE4ELNS1_11target_archE910ELNS1_3gpuE8ELNS1_3repE0EEENS1_30default_config_static_selectorELNS0_4arch9wavefront6targetE0EEEvT1_: ; @_ZN7rocprim17ROCPRIM_400000_NS6detail17trampoline_kernelINS0_14default_configENS1_25partition_config_selectorILNS1_17partition_subalgoE6EdNS0_10empty_typeEbEEZZNS1_14partition_implILS5_6ELb0ES3_mN6thrust23THRUST_200600_302600_NS6detail15normal_iteratorINSA_10device_ptrIdEEEEPS6_SG_NS0_5tupleIJNSA_16discard_iteratorINSA_11use_defaultEEES6_EEENSH_IJSG_SG_EEES6_PlJNSB_9not_fun_tI7is_trueIdEEEEEE10hipError_tPvRmT3_T4_T5_T6_T7_T9_mT8_P12ihipStream_tbDpT10_ENKUlT_T0_E_clISt17integral_constantIbLb0EES1A_IbLb1EEEEDaS16_S17_EUlS16_E_NS1_11comp_targetILNS1_3genE4ELNS1_11target_archE910ELNS1_3gpuE8ELNS1_3repE0EEENS1_30default_config_static_selectorELNS0_4arch9wavefront6targetE0EEEvT1_
; %bb.0:
	.section	.rodata,"a",@progbits
	.p2align	6, 0x0
	.amdhsa_kernel _ZN7rocprim17ROCPRIM_400000_NS6detail17trampoline_kernelINS0_14default_configENS1_25partition_config_selectorILNS1_17partition_subalgoE6EdNS0_10empty_typeEbEEZZNS1_14partition_implILS5_6ELb0ES3_mN6thrust23THRUST_200600_302600_NS6detail15normal_iteratorINSA_10device_ptrIdEEEEPS6_SG_NS0_5tupleIJNSA_16discard_iteratorINSA_11use_defaultEEES6_EEENSH_IJSG_SG_EEES6_PlJNSB_9not_fun_tI7is_trueIdEEEEEE10hipError_tPvRmT3_T4_T5_T6_T7_T9_mT8_P12ihipStream_tbDpT10_ENKUlT_T0_E_clISt17integral_constantIbLb0EES1A_IbLb1EEEEDaS16_S17_EUlS16_E_NS1_11comp_targetILNS1_3genE4ELNS1_11target_archE910ELNS1_3gpuE8ELNS1_3repE0EEENS1_30default_config_static_selectorELNS0_4arch9wavefront6targetE0EEEvT1_
		.amdhsa_group_segment_fixed_size 0
		.amdhsa_private_segment_fixed_size 0
		.amdhsa_kernarg_size 136
		.amdhsa_user_sgpr_count 2
		.amdhsa_user_sgpr_dispatch_ptr 0
		.amdhsa_user_sgpr_queue_ptr 0
		.amdhsa_user_sgpr_kernarg_segment_ptr 1
		.amdhsa_user_sgpr_dispatch_id 0
		.amdhsa_user_sgpr_private_segment_size 0
		.amdhsa_wavefront_size32 1
		.amdhsa_uses_dynamic_stack 0
		.amdhsa_enable_private_segment 0
		.amdhsa_system_sgpr_workgroup_id_x 1
		.amdhsa_system_sgpr_workgroup_id_y 0
		.amdhsa_system_sgpr_workgroup_id_z 0
		.amdhsa_system_sgpr_workgroup_info 0
		.amdhsa_system_vgpr_workitem_id 0
		.amdhsa_next_free_vgpr 1
		.amdhsa_next_free_sgpr 1
		.amdhsa_reserve_vcc 0
		.amdhsa_float_round_mode_32 0
		.amdhsa_float_round_mode_16_64 0
		.amdhsa_float_denorm_mode_32 3
		.amdhsa_float_denorm_mode_16_64 3
		.amdhsa_fp16_overflow 0
		.amdhsa_workgroup_processor_mode 1
		.amdhsa_memory_ordered 1
		.amdhsa_forward_progress 1
		.amdhsa_inst_pref_size 0
		.amdhsa_round_robin_scheduling 0
		.amdhsa_exception_fp_ieee_invalid_op 0
		.amdhsa_exception_fp_denorm_src 0
		.amdhsa_exception_fp_ieee_div_zero 0
		.amdhsa_exception_fp_ieee_overflow 0
		.amdhsa_exception_fp_ieee_underflow 0
		.amdhsa_exception_fp_ieee_inexact 0
		.amdhsa_exception_int_div_zero 0
	.end_amdhsa_kernel
	.section	.text._ZN7rocprim17ROCPRIM_400000_NS6detail17trampoline_kernelINS0_14default_configENS1_25partition_config_selectorILNS1_17partition_subalgoE6EdNS0_10empty_typeEbEEZZNS1_14partition_implILS5_6ELb0ES3_mN6thrust23THRUST_200600_302600_NS6detail15normal_iteratorINSA_10device_ptrIdEEEEPS6_SG_NS0_5tupleIJNSA_16discard_iteratorINSA_11use_defaultEEES6_EEENSH_IJSG_SG_EEES6_PlJNSB_9not_fun_tI7is_trueIdEEEEEE10hipError_tPvRmT3_T4_T5_T6_T7_T9_mT8_P12ihipStream_tbDpT10_ENKUlT_T0_E_clISt17integral_constantIbLb0EES1A_IbLb1EEEEDaS16_S17_EUlS16_E_NS1_11comp_targetILNS1_3genE4ELNS1_11target_archE910ELNS1_3gpuE8ELNS1_3repE0EEENS1_30default_config_static_selectorELNS0_4arch9wavefront6targetE0EEEvT1_,"axG",@progbits,_ZN7rocprim17ROCPRIM_400000_NS6detail17trampoline_kernelINS0_14default_configENS1_25partition_config_selectorILNS1_17partition_subalgoE6EdNS0_10empty_typeEbEEZZNS1_14partition_implILS5_6ELb0ES3_mN6thrust23THRUST_200600_302600_NS6detail15normal_iteratorINSA_10device_ptrIdEEEEPS6_SG_NS0_5tupleIJNSA_16discard_iteratorINSA_11use_defaultEEES6_EEENSH_IJSG_SG_EEES6_PlJNSB_9not_fun_tI7is_trueIdEEEEEE10hipError_tPvRmT3_T4_T5_T6_T7_T9_mT8_P12ihipStream_tbDpT10_ENKUlT_T0_E_clISt17integral_constantIbLb0EES1A_IbLb1EEEEDaS16_S17_EUlS16_E_NS1_11comp_targetILNS1_3genE4ELNS1_11target_archE910ELNS1_3gpuE8ELNS1_3repE0EEENS1_30default_config_static_selectorELNS0_4arch9wavefront6targetE0EEEvT1_,comdat
.Lfunc_end2103:
	.size	_ZN7rocprim17ROCPRIM_400000_NS6detail17trampoline_kernelINS0_14default_configENS1_25partition_config_selectorILNS1_17partition_subalgoE6EdNS0_10empty_typeEbEEZZNS1_14partition_implILS5_6ELb0ES3_mN6thrust23THRUST_200600_302600_NS6detail15normal_iteratorINSA_10device_ptrIdEEEEPS6_SG_NS0_5tupleIJNSA_16discard_iteratorINSA_11use_defaultEEES6_EEENSH_IJSG_SG_EEES6_PlJNSB_9not_fun_tI7is_trueIdEEEEEE10hipError_tPvRmT3_T4_T5_T6_T7_T9_mT8_P12ihipStream_tbDpT10_ENKUlT_T0_E_clISt17integral_constantIbLb0EES1A_IbLb1EEEEDaS16_S17_EUlS16_E_NS1_11comp_targetILNS1_3genE4ELNS1_11target_archE910ELNS1_3gpuE8ELNS1_3repE0EEENS1_30default_config_static_selectorELNS0_4arch9wavefront6targetE0EEEvT1_, .Lfunc_end2103-_ZN7rocprim17ROCPRIM_400000_NS6detail17trampoline_kernelINS0_14default_configENS1_25partition_config_selectorILNS1_17partition_subalgoE6EdNS0_10empty_typeEbEEZZNS1_14partition_implILS5_6ELb0ES3_mN6thrust23THRUST_200600_302600_NS6detail15normal_iteratorINSA_10device_ptrIdEEEEPS6_SG_NS0_5tupleIJNSA_16discard_iteratorINSA_11use_defaultEEES6_EEENSH_IJSG_SG_EEES6_PlJNSB_9not_fun_tI7is_trueIdEEEEEE10hipError_tPvRmT3_T4_T5_T6_T7_T9_mT8_P12ihipStream_tbDpT10_ENKUlT_T0_E_clISt17integral_constantIbLb0EES1A_IbLb1EEEEDaS16_S17_EUlS16_E_NS1_11comp_targetILNS1_3genE4ELNS1_11target_archE910ELNS1_3gpuE8ELNS1_3repE0EEENS1_30default_config_static_selectorELNS0_4arch9wavefront6targetE0EEEvT1_
                                        ; -- End function
	.set _ZN7rocprim17ROCPRIM_400000_NS6detail17trampoline_kernelINS0_14default_configENS1_25partition_config_selectorILNS1_17partition_subalgoE6EdNS0_10empty_typeEbEEZZNS1_14partition_implILS5_6ELb0ES3_mN6thrust23THRUST_200600_302600_NS6detail15normal_iteratorINSA_10device_ptrIdEEEEPS6_SG_NS0_5tupleIJNSA_16discard_iteratorINSA_11use_defaultEEES6_EEENSH_IJSG_SG_EEES6_PlJNSB_9not_fun_tI7is_trueIdEEEEEE10hipError_tPvRmT3_T4_T5_T6_T7_T9_mT8_P12ihipStream_tbDpT10_ENKUlT_T0_E_clISt17integral_constantIbLb0EES1A_IbLb1EEEEDaS16_S17_EUlS16_E_NS1_11comp_targetILNS1_3genE4ELNS1_11target_archE910ELNS1_3gpuE8ELNS1_3repE0EEENS1_30default_config_static_selectorELNS0_4arch9wavefront6targetE0EEEvT1_.num_vgpr, 0
	.set _ZN7rocprim17ROCPRIM_400000_NS6detail17trampoline_kernelINS0_14default_configENS1_25partition_config_selectorILNS1_17partition_subalgoE6EdNS0_10empty_typeEbEEZZNS1_14partition_implILS5_6ELb0ES3_mN6thrust23THRUST_200600_302600_NS6detail15normal_iteratorINSA_10device_ptrIdEEEEPS6_SG_NS0_5tupleIJNSA_16discard_iteratorINSA_11use_defaultEEES6_EEENSH_IJSG_SG_EEES6_PlJNSB_9not_fun_tI7is_trueIdEEEEEE10hipError_tPvRmT3_T4_T5_T6_T7_T9_mT8_P12ihipStream_tbDpT10_ENKUlT_T0_E_clISt17integral_constantIbLb0EES1A_IbLb1EEEEDaS16_S17_EUlS16_E_NS1_11comp_targetILNS1_3genE4ELNS1_11target_archE910ELNS1_3gpuE8ELNS1_3repE0EEENS1_30default_config_static_selectorELNS0_4arch9wavefront6targetE0EEEvT1_.num_agpr, 0
	.set _ZN7rocprim17ROCPRIM_400000_NS6detail17trampoline_kernelINS0_14default_configENS1_25partition_config_selectorILNS1_17partition_subalgoE6EdNS0_10empty_typeEbEEZZNS1_14partition_implILS5_6ELb0ES3_mN6thrust23THRUST_200600_302600_NS6detail15normal_iteratorINSA_10device_ptrIdEEEEPS6_SG_NS0_5tupleIJNSA_16discard_iteratorINSA_11use_defaultEEES6_EEENSH_IJSG_SG_EEES6_PlJNSB_9not_fun_tI7is_trueIdEEEEEE10hipError_tPvRmT3_T4_T5_T6_T7_T9_mT8_P12ihipStream_tbDpT10_ENKUlT_T0_E_clISt17integral_constantIbLb0EES1A_IbLb1EEEEDaS16_S17_EUlS16_E_NS1_11comp_targetILNS1_3genE4ELNS1_11target_archE910ELNS1_3gpuE8ELNS1_3repE0EEENS1_30default_config_static_selectorELNS0_4arch9wavefront6targetE0EEEvT1_.numbered_sgpr, 0
	.set _ZN7rocprim17ROCPRIM_400000_NS6detail17trampoline_kernelINS0_14default_configENS1_25partition_config_selectorILNS1_17partition_subalgoE6EdNS0_10empty_typeEbEEZZNS1_14partition_implILS5_6ELb0ES3_mN6thrust23THRUST_200600_302600_NS6detail15normal_iteratorINSA_10device_ptrIdEEEEPS6_SG_NS0_5tupleIJNSA_16discard_iteratorINSA_11use_defaultEEES6_EEENSH_IJSG_SG_EEES6_PlJNSB_9not_fun_tI7is_trueIdEEEEEE10hipError_tPvRmT3_T4_T5_T6_T7_T9_mT8_P12ihipStream_tbDpT10_ENKUlT_T0_E_clISt17integral_constantIbLb0EES1A_IbLb1EEEEDaS16_S17_EUlS16_E_NS1_11comp_targetILNS1_3genE4ELNS1_11target_archE910ELNS1_3gpuE8ELNS1_3repE0EEENS1_30default_config_static_selectorELNS0_4arch9wavefront6targetE0EEEvT1_.num_named_barrier, 0
	.set _ZN7rocprim17ROCPRIM_400000_NS6detail17trampoline_kernelINS0_14default_configENS1_25partition_config_selectorILNS1_17partition_subalgoE6EdNS0_10empty_typeEbEEZZNS1_14partition_implILS5_6ELb0ES3_mN6thrust23THRUST_200600_302600_NS6detail15normal_iteratorINSA_10device_ptrIdEEEEPS6_SG_NS0_5tupleIJNSA_16discard_iteratorINSA_11use_defaultEEES6_EEENSH_IJSG_SG_EEES6_PlJNSB_9not_fun_tI7is_trueIdEEEEEE10hipError_tPvRmT3_T4_T5_T6_T7_T9_mT8_P12ihipStream_tbDpT10_ENKUlT_T0_E_clISt17integral_constantIbLb0EES1A_IbLb1EEEEDaS16_S17_EUlS16_E_NS1_11comp_targetILNS1_3genE4ELNS1_11target_archE910ELNS1_3gpuE8ELNS1_3repE0EEENS1_30default_config_static_selectorELNS0_4arch9wavefront6targetE0EEEvT1_.private_seg_size, 0
	.set _ZN7rocprim17ROCPRIM_400000_NS6detail17trampoline_kernelINS0_14default_configENS1_25partition_config_selectorILNS1_17partition_subalgoE6EdNS0_10empty_typeEbEEZZNS1_14partition_implILS5_6ELb0ES3_mN6thrust23THRUST_200600_302600_NS6detail15normal_iteratorINSA_10device_ptrIdEEEEPS6_SG_NS0_5tupleIJNSA_16discard_iteratorINSA_11use_defaultEEES6_EEENSH_IJSG_SG_EEES6_PlJNSB_9not_fun_tI7is_trueIdEEEEEE10hipError_tPvRmT3_T4_T5_T6_T7_T9_mT8_P12ihipStream_tbDpT10_ENKUlT_T0_E_clISt17integral_constantIbLb0EES1A_IbLb1EEEEDaS16_S17_EUlS16_E_NS1_11comp_targetILNS1_3genE4ELNS1_11target_archE910ELNS1_3gpuE8ELNS1_3repE0EEENS1_30default_config_static_selectorELNS0_4arch9wavefront6targetE0EEEvT1_.uses_vcc, 0
	.set _ZN7rocprim17ROCPRIM_400000_NS6detail17trampoline_kernelINS0_14default_configENS1_25partition_config_selectorILNS1_17partition_subalgoE6EdNS0_10empty_typeEbEEZZNS1_14partition_implILS5_6ELb0ES3_mN6thrust23THRUST_200600_302600_NS6detail15normal_iteratorINSA_10device_ptrIdEEEEPS6_SG_NS0_5tupleIJNSA_16discard_iteratorINSA_11use_defaultEEES6_EEENSH_IJSG_SG_EEES6_PlJNSB_9not_fun_tI7is_trueIdEEEEEE10hipError_tPvRmT3_T4_T5_T6_T7_T9_mT8_P12ihipStream_tbDpT10_ENKUlT_T0_E_clISt17integral_constantIbLb0EES1A_IbLb1EEEEDaS16_S17_EUlS16_E_NS1_11comp_targetILNS1_3genE4ELNS1_11target_archE910ELNS1_3gpuE8ELNS1_3repE0EEENS1_30default_config_static_selectorELNS0_4arch9wavefront6targetE0EEEvT1_.uses_flat_scratch, 0
	.set _ZN7rocprim17ROCPRIM_400000_NS6detail17trampoline_kernelINS0_14default_configENS1_25partition_config_selectorILNS1_17partition_subalgoE6EdNS0_10empty_typeEbEEZZNS1_14partition_implILS5_6ELb0ES3_mN6thrust23THRUST_200600_302600_NS6detail15normal_iteratorINSA_10device_ptrIdEEEEPS6_SG_NS0_5tupleIJNSA_16discard_iteratorINSA_11use_defaultEEES6_EEENSH_IJSG_SG_EEES6_PlJNSB_9not_fun_tI7is_trueIdEEEEEE10hipError_tPvRmT3_T4_T5_T6_T7_T9_mT8_P12ihipStream_tbDpT10_ENKUlT_T0_E_clISt17integral_constantIbLb0EES1A_IbLb1EEEEDaS16_S17_EUlS16_E_NS1_11comp_targetILNS1_3genE4ELNS1_11target_archE910ELNS1_3gpuE8ELNS1_3repE0EEENS1_30default_config_static_selectorELNS0_4arch9wavefront6targetE0EEEvT1_.has_dyn_sized_stack, 0
	.set _ZN7rocprim17ROCPRIM_400000_NS6detail17trampoline_kernelINS0_14default_configENS1_25partition_config_selectorILNS1_17partition_subalgoE6EdNS0_10empty_typeEbEEZZNS1_14partition_implILS5_6ELb0ES3_mN6thrust23THRUST_200600_302600_NS6detail15normal_iteratorINSA_10device_ptrIdEEEEPS6_SG_NS0_5tupleIJNSA_16discard_iteratorINSA_11use_defaultEEES6_EEENSH_IJSG_SG_EEES6_PlJNSB_9not_fun_tI7is_trueIdEEEEEE10hipError_tPvRmT3_T4_T5_T6_T7_T9_mT8_P12ihipStream_tbDpT10_ENKUlT_T0_E_clISt17integral_constantIbLb0EES1A_IbLb1EEEEDaS16_S17_EUlS16_E_NS1_11comp_targetILNS1_3genE4ELNS1_11target_archE910ELNS1_3gpuE8ELNS1_3repE0EEENS1_30default_config_static_selectorELNS0_4arch9wavefront6targetE0EEEvT1_.has_recursion, 0
	.set _ZN7rocprim17ROCPRIM_400000_NS6detail17trampoline_kernelINS0_14default_configENS1_25partition_config_selectorILNS1_17partition_subalgoE6EdNS0_10empty_typeEbEEZZNS1_14partition_implILS5_6ELb0ES3_mN6thrust23THRUST_200600_302600_NS6detail15normal_iteratorINSA_10device_ptrIdEEEEPS6_SG_NS0_5tupleIJNSA_16discard_iteratorINSA_11use_defaultEEES6_EEENSH_IJSG_SG_EEES6_PlJNSB_9not_fun_tI7is_trueIdEEEEEE10hipError_tPvRmT3_T4_T5_T6_T7_T9_mT8_P12ihipStream_tbDpT10_ENKUlT_T0_E_clISt17integral_constantIbLb0EES1A_IbLb1EEEEDaS16_S17_EUlS16_E_NS1_11comp_targetILNS1_3genE4ELNS1_11target_archE910ELNS1_3gpuE8ELNS1_3repE0EEENS1_30default_config_static_selectorELNS0_4arch9wavefront6targetE0EEEvT1_.has_indirect_call, 0
	.section	.AMDGPU.csdata,"",@progbits
; Kernel info:
; codeLenInByte = 0
; TotalNumSgprs: 0
; NumVgprs: 0
; ScratchSize: 0
; MemoryBound: 0
; FloatMode: 240
; IeeeMode: 1
; LDSByteSize: 0 bytes/workgroup (compile time only)
; SGPRBlocks: 0
; VGPRBlocks: 0
; NumSGPRsForWavesPerEU: 1
; NumVGPRsForWavesPerEU: 1
; Occupancy: 16
; WaveLimiterHint : 0
; COMPUTE_PGM_RSRC2:SCRATCH_EN: 0
; COMPUTE_PGM_RSRC2:USER_SGPR: 2
; COMPUTE_PGM_RSRC2:TRAP_HANDLER: 0
; COMPUTE_PGM_RSRC2:TGID_X_EN: 1
; COMPUTE_PGM_RSRC2:TGID_Y_EN: 0
; COMPUTE_PGM_RSRC2:TGID_Z_EN: 0
; COMPUTE_PGM_RSRC2:TIDIG_COMP_CNT: 0
	.section	.text._ZN7rocprim17ROCPRIM_400000_NS6detail17trampoline_kernelINS0_14default_configENS1_25partition_config_selectorILNS1_17partition_subalgoE6EdNS0_10empty_typeEbEEZZNS1_14partition_implILS5_6ELb0ES3_mN6thrust23THRUST_200600_302600_NS6detail15normal_iteratorINSA_10device_ptrIdEEEEPS6_SG_NS0_5tupleIJNSA_16discard_iteratorINSA_11use_defaultEEES6_EEENSH_IJSG_SG_EEES6_PlJNSB_9not_fun_tI7is_trueIdEEEEEE10hipError_tPvRmT3_T4_T5_T6_T7_T9_mT8_P12ihipStream_tbDpT10_ENKUlT_T0_E_clISt17integral_constantIbLb0EES1A_IbLb1EEEEDaS16_S17_EUlS16_E_NS1_11comp_targetILNS1_3genE3ELNS1_11target_archE908ELNS1_3gpuE7ELNS1_3repE0EEENS1_30default_config_static_selectorELNS0_4arch9wavefront6targetE0EEEvT1_,"axG",@progbits,_ZN7rocprim17ROCPRIM_400000_NS6detail17trampoline_kernelINS0_14default_configENS1_25partition_config_selectorILNS1_17partition_subalgoE6EdNS0_10empty_typeEbEEZZNS1_14partition_implILS5_6ELb0ES3_mN6thrust23THRUST_200600_302600_NS6detail15normal_iteratorINSA_10device_ptrIdEEEEPS6_SG_NS0_5tupleIJNSA_16discard_iteratorINSA_11use_defaultEEES6_EEENSH_IJSG_SG_EEES6_PlJNSB_9not_fun_tI7is_trueIdEEEEEE10hipError_tPvRmT3_T4_T5_T6_T7_T9_mT8_P12ihipStream_tbDpT10_ENKUlT_T0_E_clISt17integral_constantIbLb0EES1A_IbLb1EEEEDaS16_S17_EUlS16_E_NS1_11comp_targetILNS1_3genE3ELNS1_11target_archE908ELNS1_3gpuE7ELNS1_3repE0EEENS1_30default_config_static_selectorELNS0_4arch9wavefront6targetE0EEEvT1_,comdat
	.protected	_ZN7rocprim17ROCPRIM_400000_NS6detail17trampoline_kernelINS0_14default_configENS1_25partition_config_selectorILNS1_17partition_subalgoE6EdNS0_10empty_typeEbEEZZNS1_14partition_implILS5_6ELb0ES3_mN6thrust23THRUST_200600_302600_NS6detail15normal_iteratorINSA_10device_ptrIdEEEEPS6_SG_NS0_5tupleIJNSA_16discard_iteratorINSA_11use_defaultEEES6_EEENSH_IJSG_SG_EEES6_PlJNSB_9not_fun_tI7is_trueIdEEEEEE10hipError_tPvRmT3_T4_T5_T6_T7_T9_mT8_P12ihipStream_tbDpT10_ENKUlT_T0_E_clISt17integral_constantIbLb0EES1A_IbLb1EEEEDaS16_S17_EUlS16_E_NS1_11comp_targetILNS1_3genE3ELNS1_11target_archE908ELNS1_3gpuE7ELNS1_3repE0EEENS1_30default_config_static_selectorELNS0_4arch9wavefront6targetE0EEEvT1_ ; -- Begin function _ZN7rocprim17ROCPRIM_400000_NS6detail17trampoline_kernelINS0_14default_configENS1_25partition_config_selectorILNS1_17partition_subalgoE6EdNS0_10empty_typeEbEEZZNS1_14partition_implILS5_6ELb0ES3_mN6thrust23THRUST_200600_302600_NS6detail15normal_iteratorINSA_10device_ptrIdEEEEPS6_SG_NS0_5tupleIJNSA_16discard_iteratorINSA_11use_defaultEEES6_EEENSH_IJSG_SG_EEES6_PlJNSB_9not_fun_tI7is_trueIdEEEEEE10hipError_tPvRmT3_T4_T5_T6_T7_T9_mT8_P12ihipStream_tbDpT10_ENKUlT_T0_E_clISt17integral_constantIbLb0EES1A_IbLb1EEEEDaS16_S17_EUlS16_E_NS1_11comp_targetILNS1_3genE3ELNS1_11target_archE908ELNS1_3gpuE7ELNS1_3repE0EEENS1_30default_config_static_selectorELNS0_4arch9wavefront6targetE0EEEvT1_
	.globl	_ZN7rocprim17ROCPRIM_400000_NS6detail17trampoline_kernelINS0_14default_configENS1_25partition_config_selectorILNS1_17partition_subalgoE6EdNS0_10empty_typeEbEEZZNS1_14partition_implILS5_6ELb0ES3_mN6thrust23THRUST_200600_302600_NS6detail15normal_iteratorINSA_10device_ptrIdEEEEPS6_SG_NS0_5tupleIJNSA_16discard_iteratorINSA_11use_defaultEEES6_EEENSH_IJSG_SG_EEES6_PlJNSB_9not_fun_tI7is_trueIdEEEEEE10hipError_tPvRmT3_T4_T5_T6_T7_T9_mT8_P12ihipStream_tbDpT10_ENKUlT_T0_E_clISt17integral_constantIbLb0EES1A_IbLb1EEEEDaS16_S17_EUlS16_E_NS1_11comp_targetILNS1_3genE3ELNS1_11target_archE908ELNS1_3gpuE7ELNS1_3repE0EEENS1_30default_config_static_selectorELNS0_4arch9wavefront6targetE0EEEvT1_
	.p2align	8
	.type	_ZN7rocprim17ROCPRIM_400000_NS6detail17trampoline_kernelINS0_14default_configENS1_25partition_config_selectorILNS1_17partition_subalgoE6EdNS0_10empty_typeEbEEZZNS1_14partition_implILS5_6ELb0ES3_mN6thrust23THRUST_200600_302600_NS6detail15normal_iteratorINSA_10device_ptrIdEEEEPS6_SG_NS0_5tupleIJNSA_16discard_iteratorINSA_11use_defaultEEES6_EEENSH_IJSG_SG_EEES6_PlJNSB_9not_fun_tI7is_trueIdEEEEEE10hipError_tPvRmT3_T4_T5_T6_T7_T9_mT8_P12ihipStream_tbDpT10_ENKUlT_T0_E_clISt17integral_constantIbLb0EES1A_IbLb1EEEEDaS16_S17_EUlS16_E_NS1_11comp_targetILNS1_3genE3ELNS1_11target_archE908ELNS1_3gpuE7ELNS1_3repE0EEENS1_30default_config_static_selectorELNS0_4arch9wavefront6targetE0EEEvT1_,@function
_ZN7rocprim17ROCPRIM_400000_NS6detail17trampoline_kernelINS0_14default_configENS1_25partition_config_selectorILNS1_17partition_subalgoE6EdNS0_10empty_typeEbEEZZNS1_14partition_implILS5_6ELb0ES3_mN6thrust23THRUST_200600_302600_NS6detail15normal_iteratorINSA_10device_ptrIdEEEEPS6_SG_NS0_5tupleIJNSA_16discard_iteratorINSA_11use_defaultEEES6_EEENSH_IJSG_SG_EEES6_PlJNSB_9not_fun_tI7is_trueIdEEEEEE10hipError_tPvRmT3_T4_T5_T6_T7_T9_mT8_P12ihipStream_tbDpT10_ENKUlT_T0_E_clISt17integral_constantIbLb0EES1A_IbLb1EEEEDaS16_S17_EUlS16_E_NS1_11comp_targetILNS1_3genE3ELNS1_11target_archE908ELNS1_3gpuE7ELNS1_3repE0EEENS1_30default_config_static_selectorELNS0_4arch9wavefront6targetE0EEEvT1_: ; @_ZN7rocprim17ROCPRIM_400000_NS6detail17trampoline_kernelINS0_14default_configENS1_25partition_config_selectorILNS1_17partition_subalgoE6EdNS0_10empty_typeEbEEZZNS1_14partition_implILS5_6ELb0ES3_mN6thrust23THRUST_200600_302600_NS6detail15normal_iteratorINSA_10device_ptrIdEEEEPS6_SG_NS0_5tupleIJNSA_16discard_iteratorINSA_11use_defaultEEES6_EEENSH_IJSG_SG_EEES6_PlJNSB_9not_fun_tI7is_trueIdEEEEEE10hipError_tPvRmT3_T4_T5_T6_T7_T9_mT8_P12ihipStream_tbDpT10_ENKUlT_T0_E_clISt17integral_constantIbLb0EES1A_IbLb1EEEEDaS16_S17_EUlS16_E_NS1_11comp_targetILNS1_3genE3ELNS1_11target_archE908ELNS1_3gpuE7ELNS1_3repE0EEENS1_30default_config_static_selectorELNS0_4arch9wavefront6targetE0EEEvT1_
; %bb.0:
	.section	.rodata,"a",@progbits
	.p2align	6, 0x0
	.amdhsa_kernel _ZN7rocprim17ROCPRIM_400000_NS6detail17trampoline_kernelINS0_14default_configENS1_25partition_config_selectorILNS1_17partition_subalgoE6EdNS0_10empty_typeEbEEZZNS1_14partition_implILS5_6ELb0ES3_mN6thrust23THRUST_200600_302600_NS6detail15normal_iteratorINSA_10device_ptrIdEEEEPS6_SG_NS0_5tupleIJNSA_16discard_iteratorINSA_11use_defaultEEES6_EEENSH_IJSG_SG_EEES6_PlJNSB_9not_fun_tI7is_trueIdEEEEEE10hipError_tPvRmT3_T4_T5_T6_T7_T9_mT8_P12ihipStream_tbDpT10_ENKUlT_T0_E_clISt17integral_constantIbLb0EES1A_IbLb1EEEEDaS16_S17_EUlS16_E_NS1_11comp_targetILNS1_3genE3ELNS1_11target_archE908ELNS1_3gpuE7ELNS1_3repE0EEENS1_30default_config_static_selectorELNS0_4arch9wavefront6targetE0EEEvT1_
		.amdhsa_group_segment_fixed_size 0
		.amdhsa_private_segment_fixed_size 0
		.amdhsa_kernarg_size 136
		.amdhsa_user_sgpr_count 2
		.amdhsa_user_sgpr_dispatch_ptr 0
		.amdhsa_user_sgpr_queue_ptr 0
		.amdhsa_user_sgpr_kernarg_segment_ptr 1
		.amdhsa_user_sgpr_dispatch_id 0
		.amdhsa_user_sgpr_private_segment_size 0
		.amdhsa_wavefront_size32 1
		.amdhsa_uses_dynamic_stack 0
		.amdhsa_enable_private_segment 0
		.amdhsa_system_sgpr_workgroup_id_x 1
		.amdhsa_system_sgpr_workgroup_id_y 0
		.amdhsa_system_sgpr_workgroup_id_z 0
		.amdhsa_system_sgpr_workgroup_info 0
		.amdhsa_system_vgpr_workitem_id 0
		.amdhsa_next_free_vgpr 1
		.amdhsa_next_free_sgpr 1
		.amdhsa_reserve_vcc 0
		.amdhsa_float_round_mode_32 0
		.amdhsa_float_round_mode_16_64 0
		.amdhsa_float_denorm_mode_32 3
		.amdhsa_float_denorm_mode_16_64 3
		.amdhsa_fp16_overflow 0
		.amdhsa_workgroup_processor_mode 1
		.amdhsa_memory_ordered 1
		.amdhsa_forward_progress 1
		.amdhsa_inst_pref_size 0
		.amdhsa_round_robin_scheduling 0
		.amdhsa_exception_fp_ieee_invalid_op 0
		.amdhsa_exception_fp_denorm_src 0
		.amdhsa_exception_fp_ieee_div_zero 0
		.amdhsa_exception_fp_ieee_overflow 0
		.amdhsa_exception_fp_ieee_underflow 0
		.amdhsa_exception_fp_ieee_inexact 0
		.amdhsa_exception_int_div_zero 0
	.end_amdhsa_kernel
	.section	.text._ZN7rocprim17ROCPRIM_400000_NS6detail17trampoline_kernelINS0_14default_configENS1_25partition_config_selectorILNS1_17partition_subalgoE6EdNS0_10empty_typeEbEEZZNS1_14partition_implILS5_6ELb0ES3_mN6thrust23THRUST_200600_302600_NS6detail15normal_iteratorINSA_10device_ptrIdEEEEPS6_SG_NS0_5tupleIJNSA_16discard_iteratorINSA_11use_defaultEEES6_EEENSH_IJSG_SG_EEES6_PlJNSB_9not_fun_tI7is_trueIdEEEEEE10hipError_tPvRmT3_T4_T5_T6_T7_T9_mT8_P12ihipStream_tbDpT10_ENKUlT_T0_E_clISt17integral_constantIbLb0EES1A_IbLb1EEEEDaS16_S17_EUlS16_E_NS1_11comp_targetILNS1_3genE3ELNS1_11target_archE908ELNS1_3gpuE7ELNS1_3repE0EEENS1_30default_config_static_selectorELNS0_4arch9wavefront6targetE0EEEvT1_,"axG",@progbits,_ZN7rocprim17ROCPRIM_400000_NS6detail17trampoline_kernelINS0_14default_configENS1_25partition_config_selectorILNS1_17partition_subalgoE6EdNS0_10empty_typeEbEEZZNS1_14partition_implILS5_6ELb0ES3_mN6thrust23THRUST_200600_302600_NS6detail15normal_iteratorINSA_10device_ptrIdEEEEPS6_SG_NS0_5tupleIJNSA_16discard_iteratorINSA_11use_defaultEEES6_EEENSH_IJSG_SG_EEES6_PlJNSB_9not_fun_tI7is_trueIdEEEEEE10hipError_tPvRmT3_T4_T5_T6_T7_T9_mT8_P12ihipStream_tbDpT10_ENKUlT_T0_E_clISt17integral_constantIbLb0EES1A_IbLb1EEEEDaS16_S17_EUlS16_E_NS1_11comp_targetILNS1_3genE3ELNS1_11target_archE908ELNS1_3gpuE7ELNS1_3repE0EEENS1_30default_config_static_selectorELNS0_4arch9wavefront6targetE0EEEvT1_,comdat
.Lfunc_end2104:
	.size	_ZN7rocprim17ROCPRIM_400000_NS6detail17trampoline_kernelINS0_14default_configENS1_25partition_config_selectorILNS1_17partition_subalgoE6EdNS0_10empty_typeEbEEZZNS1_14partition_implILS5_6ELb0ES3_mN6thrust23THRUST_200600_302600_NS6detail15normal_iteratorINSA_10device_ptrIdEEEEPS6_SG_NS0_5tupleIJNSA_16discard_iteratorINSA_11use_defaultEEES6_EEENSH_IJSG_SG_EEES6_PlJNSB_9not_fun_tI7is_trueIdEEEEEE10hipError_tPvRmT3_T4_T5_T6_T7_T9_mT8_P12ihipStream_tbDpT10_ENKUlT_T0_E_clISt17integral_constantIbLb0EES1A_IbLb1EEEEDaS16_S17_EUlS16_E_NS1_11comp_targetILNS1_3genE3ELNS1_11target_archE908ELNS1_3gpuE7ELNS1_3repE0EEENS1_30default_config_static_selectorELNS0_4arch9wavefront6targetE0EEEvT1_, .Lfunc_end2104-_ZN7rocprim17ROCPRIM_400000_NS6detail17trampoline_kernelINS0_14default_configENS1_25partition_config_selectorILNS1_17partition_subalgoE6EdNS0_10empty_typeEbEEZZNS1_14partition_implILS5_6ELb0ES3_mN6thrust23THRUST_200600_302600_NS6detail15normal_iteratorINSA_10device_ptrIdEEEEPS6_SG_NS0_5tupleIJNSA_16discard_iteratorINSA_11use_defaultEEES6_EEENSH_IJSG_SG_EEES6_PlJNSB_9not_fun_tI7is_trueIdEEEEEE10hipError_tPvRmT3_T4_T5_T6_T7_T9_mT8_P12ihipStream_tbDpT10_ENKUlT_T0_E_clISt17integral_constantIbLb0EES1A_IbLb1EEEEDaS16_S17_EUlS16_E_NS1_11comp_targetILNS1_3genE3ELNS1_11target_archE908ELNS1_3gpuE7ELNS1_3repE0EEENS1_30default_config_static_selectorELNS0_4arch9wavefront6targetE0EEEvT1_
                                        ; -- End function
	.set _ZN7rocprim17ROCPRIM_400000_NS6detail17trampoline_kernelINS0_14default_configENS1_25partition_config_selectorILNS1_17partition_subalgoE6EdNS0_10empty_typeEbEEZZNS1_14partition_implILS5_6ELb0ES3_mN6thrust23THRUST_200600_302600_NS6detail15normal_iteratorINSA_10device_ptrIdEEEEPS6_SG_NS0_5tupleIJNSA_16discard_iteratorINSA_11use_defaultEEES6_EEENSH_IJSG_SG_EEES6_PlJNSB_9not_fun_tI7is_trueIdEEEEEE10hipError_tPvRmT3_T4_T5_T6_T7_T9_mT8_P12ihipStream_tbDpT10_ENKUlT_T0_E_clISt17integral_constantIbLb0EES1A_IbLb1EEEEDaS16_S17_EUlS16_E_NS1_11comp_targetILNS1_3genE3ELNS1_11target_archE908ELNS1_3gpuE7ELNS1_3repE0EEENS1_30default_config_static_selectorELNS0_4arch9wavefront6targetE0EEEvT1_.num_vgpr, 0
	.set _ZN7rocprim17ROCPRIM_400000_NS6detail17trampoline_kernelINS0_14default_configENS1_25partition_config_selectorILNS1_17partition_subalgoE6EdNS0_10empty_typeEbEEZZNS1_14partition_implILS5_6ELb0ES3_mN6thrust23THRUST_200600_302600_NS6detail15normal_iteratorINSA_10device_ptrIdEEEEPS6_SG_NS0_5tupleIJNSA_16discard_iteratorINSA_11use_defaultEEES6_EEENSH_IJSG_SG_EEES6_PlJNSB_9not_fun_tI7is_trueIdEEEEEE10hipError_tPvRmT3_T4_T5_T6_T7_T9_mT8_P12ihipStream_tbDpT10_ENKUlT_T0_E_clISt17integral_constantIbLb0EES1A_IbLb1EEEEDaS16_S17_EUlS16_E_NS1_11comp_targetILNS1_3genE3ELNS1_11target_archE908ELNS1_3gpuE7ELNS1_3repE0EEENS1_30default_config_static_selectorELNS0_4arch9wavefront6targetE0EEEvT1_.num_agpr, 0
	.set _ZN7rocprim17ROCPRIM_400000_NS6detail17trampoline_kernelINS0_14default_configENS1_25partition_config_selectorILNS1_17partition_subalgoE6EdNS0_10empty_typeEbEEZZNS1_14partition_implILS5_6ELb0ES3_mN6thrust23THRUST_200600_302600_NS6detail15normal_iteratorINSA_10device_ptrIdEEEEPS6_SG_NS0_5tupleIJNSA_16discard_iteratorINSA_11use_defaultEEES6_EEENSH_IJSG_SG_EEES6_PlJNSB_9not_fun_tI7is_trueIdEEEEEE10hipError_tPvRmT3_T4_T5_T6_T7_T9_mT8_P12ihipStream_tbDpT10_ENKUlT_T0_E_clISt17integral_constantIbLb0EES1A_IbLb1EEEEDaS16_S17_EUlS16_E_NS1_11comp_targetILNS1_3genE3ELNS1_11target_archE908ELNS1_3gpuE7ELNS1_3repE0EEENS1_30default_config_static_selectorELNS0_4arch9wavefront6targetE0EEEvT1_.numbered_sgpr, 0
	.set _ZN7rocprim17ROCPRIM_400000_NS6detail17trampoline_kernelINS0_14default_configENS1_25partition_config_selectorILNS1_17partition_subalgoE6EdNS0_10empty_typeEbEEZZNS1_14partition_implILS5_6ELb0ES3_mN6thrust23THRUST_200600_302600_NS6detail15normal_iteratorINSA_10device_ptrIdEEEEPS6_SG_NS0_5tupleIJNSA_16discard_iteratorINSA_11use_defaultEEES6_EEENSH_IJSG_SG_EEES6_PlJNSB_9not_fun_tI7is_trueIdEEEEEE10hipError_tPvRmT3_T4_T5_T6_T7_T9_mT8_P12ihipStream_tbDpT10_ENKUlT_T0_E_clISt17integral_constantIbLb0EES1A_IbLb1EEEEDaS16_S17_EUlS16_E_NS1_11comp_targetILNS1_3genE3ELNS1_11target_archE908ELNS1_3gpuE7ELNS1_3repE0EEENS1_30default_config_static_selectorELNS0_4arch9wavefront6targetE0EEEvT1_.num_named_barrier, 0
	.set _ZN7rocprim17ROCPRIM_400000_NS6detail17trampoline_kernelINS0_14default_configENS1_25partition_config_selectorILNS1_17partition_subalgoE6EdNS0_10empty_typeEbEEZZNS1_14partition_implILS5_6ELb0ES3_mN6thrust23THRUST_200600_302600_NS6detail15normal_iteratorINSA_10device_ptrIdEEEEPS6_SG_NS0_5tupleIJNSA_16discard_iteratorINSA_11use_defaultEEES6_EEENSH_IJSG_SG_EEES6_PlJNSB_9not_fun_tI7is_trueIdEEEEEE10hipError_tPvRmT3_T4_T5_T6_T7_T9_mT8_P12ihipStream_tbDpT10_ENKUlT_T0_E_clISt17integral_constantIbLb0EES1A_IbLb1EEEEDaS16_S17_EUlS16_E_NS1_11comp_targetILNS1_3genE3ELNS1_11target_archE908ELNS1_3gpuE7ELNS1_3repE0EEENS1_30default_config_static_selectorELNS0_4arch9wavefront6targetE0EEEvT1_.private_seg_size, 0
	.set _ZN7rocprim17ROCPRIM_400000_NS6detail17trampoline_kernelINS0_14default_configENS1_25partition_config_selectorILNS1_17partition_subalgoE6EdNS0_10empty_typeEbEEZZNS1_14partition_implILS5_6ELb0ES3_mN6thrust23THRUST_200600_302600_NS6detail15normal_iteratorINSA_10device_ptrIdEEEEPS6_SG_NS0_5tupleIJNSA_16discard_iteratorINSA_11use_defaultEEES6_EEENSH_IJSG_SG_EEES6_PlJNSB_9not_fun_tI7is_trueIdEEEEEE10hipError_tPvRmT3_T4_T5_T6_T7_T9_mT8_P12ihipStream_tbDpT10_ENKUlT_T0_E_clISt17integral_constantIbLb0EES1A_IbLb1EEEEDaS16_S17_EUlS16_E_NS1_11comp_targetILNS1_3genE3ELNS1_11target_archE908ELNS1_3gpuE7ELNS1_3repE0EEENS1_30default_config_static_selectorELNS0_4arch9wavefront6targetE0EEEvT1_.uses_vcc, 0
	.set _ZN7rocprim17ROCPRIM_400000_NS6detail17trampoline_kernelINS0_14default_configENS1_25partition_config_selectorILNS1_17partition_subalgoE6EdNS0_10empty_typeEbEEZZNS1_14partition_implILS5_6ELb0ES3_mN6thrust23THRUST_200600_302600_NS6detail15normal_iteratorINSA_10device_ptrIdEEEEPS6_SG_NS0_5tupleIJNSA_16discard_iteratorINSA_11use_defaultEEES6_EEENSH_IJSG_SG_EEES6_PlJNSB_9not_fun_tI7is_trueIdEEEEEE10hipError_tPvRmT3_T4_T5_T6_T7_T9_mT8_P12ihipStream_tbDpT10_ENKUlT_T0_E_clISt17integral_constantIbLb0EES1A_IbLb1EEEEDaS16_S17_EUlS16_E_NS1_11comp_targetILNS1_3genE3ELNS1_11target_archE908ELNS1_3gpuE7ELNS1_3repE0EEENS1_30default_config_static_selectorELNS0_4arch9wavefront6targetE0EEEvT1_.uses_flat_scratch, 0
	.set _ZN7rocprim17ROCPRIM_400000_NS6detail17trampoline_kernelINS0_14default_configENS1_25partition_config_selectorILNS1_17partition_subalgoE6EdNS0_10empty_typeEbEEZZNS1_14partition_implILS5_6ELb0ES3_mN6thrust23THRUST_200600_302600_NS6detail15normal_iteratorINSA_10device_ptrIdEEEEPS6_SG_NS0_5tupleIJNSA_16discard_iteratorINSA_11use_defaultEEES6_EEENSH_IJSG_SG_EEES6_PlJNSB_9not_fun_tI7is_trueIdEEEEEE10hipError_tPvRmT3_T4_T5_T6_T7_T9_mT8_P12ihipStream_tbDpT10_ENKUlT_T0_E_clISt17integral_constantIbLb0EES1A_IbLb1EEEEDaS16_S17_EUlS16_E_NS1_11comp_targetILNS1_3genE3ELNS1_11target_archE908ELNS1_3gpuE7ELNS1_3repE0EEENS1_30default_config_static_selectorELNS0_4arch9wavefront6targetE0EEEvT1_.has_dyn_sized_stack, 0
	.set _ZN7rocprim17ROCPRIM_400000_NS6detail17trampoline_kernelINS0_14default_configENS1_25partition_config_selectorILNS1_17partition_subalgoE6EdNS0_10empty_typeEbEEZZNS1_14partition_implILS5_6ELb0ES3_mN6thrust23THRUST_200600_302600_NS6detail15normal_iteratorINSA_10device_ptrIdEEEEPS6_SG_NS0_5tupleIJNSA_16discard_iteratorINSA_11use_defaultEEES6_EEENSH_IJSG_SG_EEES6_PlJNSB_9not_fun_tI7is_trueIdEEEEEE10hipError_tPvRmT3_T4_T5_T6_T7_T9_mT8_P12ihipStream_tbDpT10_ENKUlT_T0_E_clISt17integral_constantIbLb0EES1A_IbLb1EEEEDaS16_S17_EUlS16_E_NS1_11comp_targetILNS1_3genE3ELNS1_11target_archE908ELNS1_3gpuE7ELNS1_3repE0EEENS1_30default_config_static_selectorELNS0_4arch9wavefront6targetE0EEEvT1_.has_recursion, 0
	.set _ZN7rocprim17ROCPRIM_400000_NS6detail17trampoline_kernelINS0_14default_configENS1_25partition_config_selectorILNS1_17partition_subalgoE6EdNS0_10empty_typeEbEEZZNS1_14partition_implILS5_6ELb0ES3_mN6thrust23THRUST_200600_302600_NS6detail15normal_iteratorINSA_10device_ptrIdEEEEPS6_SG_NS0_5tupleIJNSA_16discard_iteratorINSA_11use_defaultEEES6_EEENSH_IJSG_SG_EEES6_PlJNSB_9not_fun_tI7is_trueIdEEEEEE10hipError_tPvRmT3_T4_T5_T6_T7_T9_mT8_P12ihipStream_tbDpT10_ENKUlT_T0_E_clISt17integral_constantIbLb0EES1A_IbLb1EEEEDaS16_S17_EUlS16_E_NS1_11comp_targetILNS1_3genE3ELNS1_11target_archE908ELNS1_3gpuE7ELNS1_3repE0EEENS1_30default_config_static_selectorELNS0_4arch9wavefront6targetE0EEEvT1_.has_indirect_call, 0
	.section	.AMDGPU.csdata,"",@progbits
; Kernel info:
; codeLenInByte = 0
; TotalNumSgprs: 0
; NumVgprs: 0
; ScratchSize: 0
; MemoryBound: 0
; FloatMode: 240
; IeeeMode: 1
; LDSByteSize: 0 bytes/workgroup (compile time only)
; SGPRBlocks: 0
; VGPRBlocks: 0
; NumSGPRsForWavesPerEU: 1
; NumVGPRsForWavesPerEU: 1
; Occupancy: 16
; WaveLimiterHint : 0
; COMPUTE_PGM_RSRC2:SCRATCH_EN: 0
; COMPUTE_PGM_RSRC2:USER_SGPR: 2
; COMPUTE_PGM_RSRC2:TRAP_HANDLER: 0
; COMPUTE_PGM_RSRC2:TGID_X_EN: 1
; COMPUTE_PGM_RSRC2:TGID_Y_EN: 0
; COMPUTE_PGM_RSRC2:TGID_Z_EN: 0
; COMPUTE_PGM_RSRC2:TIDIG_COMP_CNT: 0
	.section	.text._ZN7rocprim17ROCPRIM_400000_NS6detail17trampoline_kernelINS0_14default_configENS1_25partition_config_selectorILNS1_17partition_subalgoE6EdNS0_10empty_typeEbEEZZNS1_14partition_implILS5_6ELb0ES3_mN6thrust23THRUST_200600_302600_NS6detail15normal_iteratorINSA_10device_ptrIdEEEEPS6_SG_NS0_5tupleIJNSA_16discard_iteratorINSA_11use_defaultEEES6_EEENSH_IJSG_SG_EEES6_PlJNSB_9not_fun_tI7is_trueIdEEEEEE10hipError_tPvRmT3_T4_T5_T6_T7_T9_mT8_P12ihipStream_tbDpT10_ENKUlT_T0_E_clISt17integral_constantIbLb0EES1A_IbLb1EEEEDaS16_S17_EUlS16_E_NS1_11comp_targetILNS1_3genE2ELNS1_11target_archE906ELNS1_3gpuE6ELNS1_3repE0EEENS1_30default_config_static_selectorELNS0_4arch9wavefront6targetE0EEEvT1_,"axG",@progbits,_ZN7rocprim17ROCPRIM_400000_NS6detail17trampoline_kernelINS0_14default_configENS1_25partition_config_selectorILNS1_17partition_subalgoE6EdNS0_10empty_typeEbEEZZNS1_14partition_implILS5_6ELb0ES3_mN6thrust23THRUST_200600_302600_NS6detail15normal_iteratorINSA_10device_ptrIdEEEEPS6_SG_NS0_5tupleIJNSA_16discard_iteratorINSA_11use_defaultEEES6_EEENSH_IJSG_SG_EEES6_PlJNSB_9not_fun_tI7is_trueIdEEEEEE10hipError_tPvRmT3_T4_T5_T6_T7_T9_mT8_P12ihipStream_tbDpT10_ENKUlT_T0_E_clISt17integral_constantIbLb0EES1A_IbLb1EEEEDaS16_S17_EUlS16_E_NS1_11comp_targetILNS1_3genE2ELNS1_11target_archE906ELNS1_3gpuE6ELNS1_3repE0EEENS1_30default_config_static_selectorELNS0_4arch9wavefront6targetE0EEEvT1_,comdat
	.protected	_ZN7rocprim17ROCPRIM_400000_NS6detail17trampoline_kernelINS0_14default_configENS1_25partition_config_selectorILNS1_17partition_subalgoE6EdNS0_10empty_typeEbEEZZNS1_14partition_implILS5_6ELb0ES3_mN6thrust23THRUST_200600_302600_NS6detail15normal_iteratorINSA_10device_ptrIdEEEEPS6_SG_NS0_5tupleIJNSA_16discard_iteratorINSA_11use_defaultEEES6_EEENSH_IJSG_SG_EEES6_PlJNSB_9not_fun_tI7is_trueIdEEEEEE10hipError_tPvRmT3_T4_T5_T6_T7_T9_mT8_P12ihipStream_tbDpT10_ENKUlT_T0_E_clISt17integral_constantIbLb0EES1A_IbLb1EEEEDaS16_S17_EUlS16_E_NS1_11comp_targetILNS1_3genE2ELNS1_11target_archE906ELNS1_3gpuE6ELNS1_3repE0EEENS1_30default_config_static_selectorELNS0_4arch9wavefront6targetE0EEEvT1_ ; -- Begin function _ZN7rocprim17ROCPRIM_400000_NS6detail17trampoline_kernelINS0_14default_configENS1_25partition_config_selectorILNS1_17partition_subalgoE6EdNS0_10empty_typeEbEEZZNS1_14partition_implILS5_6ELb0ES3_mN6thrust23THRUST_200600_302600_NS6detail15normal_iteratorINSA_10device_ptrIdEEEEPS6_SG_NS0_5tupleIJNSA_16discard_iteratorINSA_11use_defaultEEES6_EEENSH_IJSG_SG_EEES6_PlJNSB_9not_fun_tI7is_trueIdEEEEEE10hipError_tPvRmT3_T4_T5_T6_T7_T9_mT8_P12ihipStream_tbDpT10_ENKUlT_T0_E_clISt17integral_constantIbLb0EES1A_IbLb1EEEEDaS16_S17_EUlS16_E_NS1_11comp_targetILNS1_3genE2ELNS1_11target_archE906ELNS1_3gpuE6ELNS1_3repE0EEENS1_30default_config_static_selectorELNS0_4arch9wavefront6targetE0EEEvT1_
	.globl	_ZN7rocprim17ROCPRIM_400000_NS6detail17trampoline_kernelINS0_14default_configENS1_25partition_config_selectorILNS1_17partition_subalgoE6EdNS0_10empty_typeEbEEZZNS1_14partition_implILS5_6ELb0ES3_mN6thrust23THRUST_200600_302600_NS6detail15normal_iteratorINSA_10device_ptrIdEEEEPS6_SG_NS0_5tupleIJNSA_16discard_iteratorINSA_11use_defaultEEES6_EEENSH_IJSG_SG_EEES6_PlJNSB_9not_fun_tI7is_trueIdEEEEEE10hipError_tPvRmT3_T4_T5_T6_T7_T9_mT8_P12ihipStream_tbDpT10_ENKUlT_T0_E_clISt17integral_constantIbLb0EES1A_IbLb1EEEEDaS16_S17_EUlS16_E_NS1_11comp_targetILNS1_3genE2ELNS1_11target_archE906ELNS1_3gpuE6ELNS1_3repE0EEENS1_30default_config_static_selectorELNS0_4arch9wavefront6targetE0EEEvT1_
	.p2align	8
	.type	_ZN7rocprim17ROCPRIM_400000_NS6detail17trampoline_kernelINS0_14default_configENS1_25partition_config_selectorILNS1_17partition_subalgoE6EdNS0_10empty_typeEbEEZZNS1_14partition_implILS5_6ELb0ES3_mN6thrust23THRUST_200600_302600_NS6detail15normal_iteratorINSA_10device_ptrIdEEEEPS6_SG_NS0_5tupleIJNSA_16discard_iteratorINSA_11use_defaultEEES6_EEENSH_IJSG_SG_EEES6_PlJNSB_9not_fun_tI7is_trueIdEEEEEE10hipError_tPvRmT3_T4_T5_T6_T7_T9_mT8_P12ihipStream_tbDpT10_ENKUlT_T0_E_clISt17integral_constantIbLb0EES1A_IbLb1EEEEDaS16_S17_EUlS16_E_NS1_11comp_targetILNS1_3genE2ELNS1_11target_archE906ELNS1_3gpuE6ELNS1_3repE0EEENS1_30default_config_static_selectorELNS0_4arch9wavefront6targetE0EEEvT1_,@function
_ZN7rocprim17ROCPRIM_400000_NS6detail17trampoline_kernelINS0_14default_configENS1_25partition_config_selectorILNS1_17partition_subalgoE6EdNS0_10empty_typeEbEEZZNS1_14partition_implILS5_6ELb0ES3_mN6thrust23THRUST_200600_302600_NS6detail15normal_iteratorINSA_10device_ptrIdEEEEPS6_SG_NS0_5tupleIJNSA_16discard_iteratorINSA_11use_defaultEEES6_EEENSH_IJSG_SG_EEES6_PlJNSB_9not_fun_tI7is_trueIdEEEEEE10hipError_tPvRmT3_T4_T5_T6_T7_T9_mT8_P12ihipStream_tbDpT10_ENKUlT_T0_E_clISt17integral_constantIbLb0EES1A_IbLb1EEEEDaS16_S17_EUlS16_E_NS1_11comp_targetILNS1_3genE2ELNS1_11target_archE906ELNS1_3gpuE6ELNS1_3repE0EEENS1_30default_config_static_selectorELNS0_4arch9wavefront6targetE0EEEvT1_: ; @_ZN7rocprim17ROCPRIM_400000_NS6detail17trampoline_kernelINS0_14default_configENS1_25partition_config_selectorILNS1_17partition_subalgoE6EdNS0_10empty_typeEbEEZZNS1_14partition_implILS5_6ELb0ES3_mN6thrust23THRUST_200600_302600_NS6detail15normal_iteratorINSA_10device_ptrIdEEEEPS6_SG_NS0_5tupleIJNSA_16discard_iteratorINSA_11use_defaultEEES6_EEENSH_IJSG_SG_EEES6_PlJNSB_9not_fun_tI7is_trueIdEEEEEE10hipError_tPvRmT3_T4_T5_T6_T7_T9_mT8_P12ihipStream_tbDpT10_ENKUlT_T0_E_clISt17integral_constantIbLb0EES1A_IbLb1EEEEDaS16_S17_EUlS16_E_NS1_11comp_targetILNS1_3genE2ELNS1_11target_archE906ELNS1_3gpuE6ELNS1_3repE0EEENS1_30default_config_static_selectorELNS0_4arch9wavefront6targetE0EEEvT1_
; %bb.0:
	.section	.rodata,"a",@progbits
	.p2align	6, 0x0
	.amdhsa_kernel _ZN7rocprim17ROCPRIM_400000_NS6detail17trampoline_kernelINS0_14default_configENS1_25partition_config_selectorILNS1_17partition_subalgoE6EdNS0_10empty_typeEbEEZZNS1_14partition_implILS5_6ELb0ES3_mN6thrust23THRUST_200600_302600_NS6detail15normal_iteratorINSA_10device_ptrIdEEEEPS6_SG_NS0_5tupleIJNSA_16discard_iteratorINSA_11use_defaultEEES6_EEENSH_IJSG_SG_EEES6_PlJNSB_9not_fun_tI7is_trueIdEEEEEE10hipError_tPvRmT3_T4_T5_T6_T7_T9_mT8_P12ihipStream_tbDpT10_ENKUlT_T0_E_clISt17integral_constantIbLb0EES1A_IbLb1EEEEDaS16_S17_EUlS16_E_NS1_11comp_targetILNS1_3genE2ELNS1_11target_archE906ELNS1_3gpuE6ELNS1_3repE0EEENS1_30default_config_static_selectorELNS0_4arch9wavefront6targetE0EEEvT1_
		.amdhsa_group_segment_fixed_size 0
		.amdhsa_private_segment_fixed_size 0
		.amdhsa_kernarg_size 136
		.amdhsa_user_sgpr_count 2
		.amdhsa_user_sgpr_dispatch_ptr 0
		.amdhsa_user_sgpr_queue_ptr 0
		.amdhsa_user_sgpr_kernarg_segment_ptr 1
		.amdhsa_user_sgpr_dispatch_id 0
		.amdhsa_user_sgpr_private_segment_size 0
		.amdhsa_wavefront_size32 1
		.amdhsa_uses_dynamic_stack 0
		.amdhsa_enable_private_segment 0
		.amdhsa_system_sgpr_workgroup_id_x 1
		.amdhsa_system_sgpr_workgroup_id_y 0
		.amdhsa_system_sgpr_workgroup_id_z 0
		.amdhsa_system_sgpr_workgroup_info 0
		.amdhsa_system_vgpr_workitem_id 0
		.amdhsa_next_free_vgpr 1
		.amdhsa_next_free_sgpr 1
		.amdhsa_reserve_vcc 0
		.amdhsa_float_round_mode_32 0
		.amdhsa_float_round_mode_16_64 0
		.amdhsa_float_denorm_mode_32 3
		.amdhsa_float_denorm_mode_16_64 3
		.amdhsa_fp16_overflow 0
		.amdhsa_workgroup_processor_mode 1
		.amdhsa_memory_ordered 1
		.amdhsa_forward_progress 1
		.amdhsa_inst_pref_size 0
		.amdhsa_round_robin_scheduling 0
		.amdhsa_exception_fp_ieee_invalid_op 0
		.amdhsa_exception_fp_denorm_src 0
		.amdhsa_exception_fp_ieee_div_zero 0
		.amdhsa_exception_fp_ieee_overflow 0
		.amdhsa_exception_fp_ieee_underflow 0
		.amdhsa_exception_fp_ieee_inexact 0
		.amdhsa_exception_int_div_zero 0
	.end_amdhsa_kernel
	.section	.text._ZN7rocprim17ROCPRIM_400000_NS6detail17trampoline_kernelINS0_14default_configENS1_25partition_config_selectorILNS1_17partition_subalgoE6EdNS0_10empty_typeEbEEZZNS1_14partition_implILS5_6ELb0ES3_mN6thrust23THRUST_200600_302600_NS6detail15normal_iteratorINSA_10device_ptrIdEEEEPS6_SG_NS0_5tupleIJNSA_16discard_iteratorINSA_11use_defaultEEES6_EEENSH_IJSG_SG_EEES6_PlJNSB_9not_fun_tI7is_trueIdEEEEEE10hipError_tPvRmT3_T4_T5_T6_T7_T9_mT8_P12ihipStream_tbDpT10_ENKUlT_T0_E_clISt17integral_constantIbLb0EES1A_IbLb1EEEEDaS16_S17_EUlS16_E_NS1_11comp_targetILNS1_3genE2ELNS1_11target_archE906ELNS1_3gpuE6ELNS1_3repE0EEENS1_30default_config_static_selectorELNS0_4arch9wavefront6targetE0EEEvT1_,"axG",@progbits,_ZN7rocprim17ROCPRIM_400000_NS6detail17trampoline_kernelINS0_14default_configENS1_25partition_config_selectorILNS1_17partition_subalgoE6EdNS0_10empty_typeEbEEZZNS1_14partition_implILS5_6ELb0ES3_mN6thrust23THRUST_200600_302600_NS6detail15normal_iteratorINSA_10device_ptrIdEEEEPS6_SG_NS0_5tupleIJNSA_16discard_iteratorINSA_11use_defaultEEES6_EEENSH_IJSG_SG_EEES6_PlJNSB_9not_fun_tI7is_trueIdEEEEEE10hipError_tPvRmT3_T4_T5_T6_T7_T9_mT8_P12ihipStream_tbDpT10_ENKUlT_T0_E_clISt17integral_constantIbLb0EES1A_IbLb1EEEEDaS16_S17_EUlS16_E_NS1_11comp_targetILNS1_3genE2ELNS1_11target_archE906ELNS1_3gpuE6ELNS1_3repE0EEENS1_30default_config_static_selectorELNS0_4arch9wavefront6targetE0EEEvT1_,comdat
.Lfunc_end2105:
	.size	_ZN7rocprim17ROCPRIM_400000_NS6detail17trampoline_kernelINS0_14default_configENS1_25partition_config_selectorILNS1_17partition_subalgoE6EdNS0_10empty_typeEbEEZZNS1_14partition_implILS5_6ELb0ES3_mN6thrust23THRUST_200600_302600_NS6detail15normal_iteratorINSA_10device_ptrIdEEEEPS6_SG_NS0_5tupleIJNSA_16discard_iteratorINSA_11use_defaultEEES6_EEENSH_IJSG_SG_EEES6_PlJNSB_9not_fun_tI7is_trueIdEEEEEE10hipError_tPvRmT3_T4_T5_T6_T7_T9_mT8_P12ihipStream_tbDpT10_ENKUlT_T0_E_clISt17integral_constantIbLb0EES1A_IbLb1EEEEDaS16_S17_EUlS16_E_NS1_11comp_targetILNS1_3genE2ELNS1_11target_archE906ELNS1_3gpuE6ELNS1_3repE0EEENS1_30default_config_static_selectorELNS0_4arch9wavefront6targetE0EEEvT1_, .Lfunc_end2105-_ZN7rocprim17ROCPRIM_400000_NS6detail17trampoline_kernelINS0_14default_configENS1_25partition_config_selectorILNS1_17partition_subalgoE6EdNS0_10empty_typeEbEEZZNS1_14partition_implILS5_6ELb0ES3_mN6thrust23THRUST_200600_302600_NS6detail15normal_iteratorINSA_10device_ptrIdEEEEPS6_SG_NS0_5tupleIJNSA_16discard_iteratorINSA_11use_defaultEEES6_EEENSH_IJSG_SG_EEES6_PlJNSB_9not_fun_tI7is_trueIdEEEEEE10hipError_tPvRmT3_T4_T5_T6_T7_T9_mT8_P12ihipStream_tbDpT10_ENKUlT_T0_E_clISt17integral_constantIbLb0EES1A_IbLb1EEEEDaS16_S17_EUlS16_E_NS1_11comp_targetILNS1_3genE2ELNS1_11target_archE906ELNS1_3gpuE6ELNS1_3repE0EEENS1_30default_config_static_selectorELNS0_4arch9wavefront6targetE0EEEvT1_
                                        ; -- End function
	.set _ZN7rocprim17ROCPRIM_400000_NS6detail17trampoline_kernelINS0_14default_configENS1_25partition_config_selectorILNS1_17partition_subalgoE6EdNS0_10empty_typeEbEEZZNS1_14partition_implILS5_6ELb0ES3_mN6thrust23THRUST_200600_302600_NS6detail15normal_iteratorINSA_10device_ptrIdEEEEPS6_SG_NS0_5tupleIJNSA_16discard_iteratorINSA_11use_defaultEEES6_EEENSH_IJSG_SG_EEES6_PlJNSB_9not_fun_tI7is_trueIdEEEEEE10hipError_tPvRmT3_T4_T5_T6_T7_T9_mT8_P12ihipStream_tbDpT10_ENKUlT_T0_E_clISt17integral_constantIbLb0EES1A_IbLb1EEEEDaS16_S17_EUlS16_E_NS1_11comp_targetILNS1_3genE2ELNS1_11target_archE906ELNS1_3gpuE6ELNS1_3repE0EEENS1_30default_config_static_selectorELNS0_4arch9wavefront6targetE0EEEvT1_.num_vgpr, 0
	.set _ZN7rocprim17ROCPRIM_400000_NS6detail17trampoline_kernelINS0_14default_configENS1_25partition_config_selectorILNS1_17partition_subalgoE6EdNS0_10empty_typeEbEEZZNS1_14partition_implILS5_6ELb0ES3_mN6thrust23THRUST_200600_302600_NS6detail15normal_iteratorINSA_10device_ptrIdEEEEPS6_SG_NS0_5tupleIJNSA_16discard_iteratorINSA_11use_defaultEEES6_EEENSH_IJSG_SG_EEES6_PlJNSB_9not_fun_tI7is_trueIdEEEEEE10hipError_tPvRmT3_T4_T5_T6_T7_T9_mT8_P12ihipStream_tbDpT10_ENKUlT_T0_E_clISt17integral_constantIbLb0EES1A_IbLb1EEEEDaS16_S17_EUlS16_E_NS1_11comp_targetILNS1_3genE2ELNS1_11target_archE906ELNS1_3gpuE6ELNS1_3repE0EEENS1_30default_config_static_selectorELNS0_4arch9wavefront6targetE0EEEvT1_.num_agpr, 0
	.set _ZN7rocprim17ROCPRIM_400000_NS6detail17trampoline_kernelINS0_14default_configENS1_25partition_config_selectorILNS1_17partition_subalgoE6EdNS0_10empty_typeEbEEZZNS1_14partition_implILS5_6ELb0ES3_mN6thrust23THRUST_200600_302600_NS6detail15normal_iteratorINSA_10device_ptrIdEEEEPS6_SG_NS0_5tupleIJNSA_16discard_iteratorINSA_11use_defaultEEES6_EEENSH_IJSG_SG_EEES6_PlJNSB_9not_fun_tI7is_trueIdEEEEEE10hipError_tPvRmT3_T4_T5_T6_T7_T9_mT8_P12ihipStream_tbDpT10_ENKUlT_T0_E_clISt17integral_constantIbLb0EES1A_IbLb1EEEEDaS16_S17_EUlS16_E_NS1_11comp_targetILNS1_3genE2ELNS1_11target_archE906ELNS1_3gpuE6ELNS1_3repE0EEENS1_30default_config_static_selectorELNS0_4arch9wavefront6targetE0EEEvT1_.numbered_sgpr, 0
	.set _ZN7rocprim17ROCPRIM_400000_NS6detail17trampoline_kernelINS0_14default_configENS1_25partition_config_selectorILNS1_17partition_subalgoE6EdNS0_10empty_typeEbEEZZNS1_14partition_implILS5_6ELb0ES3_mN6thrust23THRUST_200600_302600_NS6detail15normal_iteratorINSA_10device_ptrIdEEEEPS6_SG_NS0_5tupleIJNSA_16discard_iteratorINSA_11use_defaultEEES6_EEENSH_IJSG_SG_EEES6_PlJNSB_9not_fun_tI7is_trueIdEEEEEE10hipError_tPvRmT3_T4_T5_T6_T7_T9_mT8_P12ihipStream_tbDpT10_ENKUlT_T0_E_clISt17integral_constantIbLb0EES1A_IbLb1EEEEDaS16_S17_EUlS16_E_NS1_11comp_targetILNS1_3genE2ELNS1_11target_archE906ELNS1_3gpuE6ELNS1_3repE0EEENS1_30default_config_static_selectorELNS0_4arch9wavefront6targetE0EEEvT1_.num_named_barrier, 0
	.set _ZN7rocprim17ROCPRIM_400000_NS6detail17trampoline_kernelINS0_14default_configENS1_25partition_config_selectorILNS1_17partition_subalgoE6EdNS0_10empty_typeEbEEZZNS1_14partition_implILS5_6ELb0ES3_mN6thrust23THRUST_200600_302600_NS6detail15normal_iteratorINSA_10device_ptrIdEEEEPS6_SG_NS0_5tupleIJNSA_16discard_iteratorINSA_11use_defaultEEES6_EEENSH_IJSG_SG_EEES6_PlJNSB_9not_fun_tI7is_trueIdEEEEEE10hipError_tPvRmT3_T4_T5_T6_T7_T9_mT8_P12ihipStream_tbDpT10_ENKUlT_T0_E_clISt17integral_constantIbLb0EES1A_IbLb1EEEEDaS16_S17_EUlS16_E_NS1_11comp_targetILNS1_3genE2ELNS1_11target_archE906ELNS1_3gpuE6ELNS1_3repE0EEENS1_30default_config_static_selectorELNS0_4arch9wavefront6targetE0EEEvT1_.private_seg_size, 0
	.set _ZN7rocprim17ROCPRIM_400000_NS6detail17trampoline_kernelINS0_14default_configENS1_25partition_config_selectorILNS1_17partition_subalgoE6EdNS0_10empty_typeEbEEZZNS1_14partition_implILS5_6ELb0ES3_mN6thrust23THRUST_200600_302600_NS6detail15normal_iteratorINSA_10device_ptrIdEEEEPS6_SG_NS0_5tupleIJNSA_16discard_iteratorINSA_11use_defaultEEES6_EEENSH_IJSG_SG_EEES6_PlJNSB_9not_fun_tI7is_trueIdEEEEEE10hipError_tPvRmT3_T4_T5_T6_T7_T9_mT8_P12ihipStream_tbDpT10_ENKUlT_T0_E_clISt17integral_constantIbLb0EES1A_IbLb1EEEEDaS16_S17_EUlS16_E_NS1_11comp_targetILNS1_3genE2ELNS1_11target_archE906ELNS1_3gpuE6ELNS1_3repE0EEENS1_30default_config_static_selectorELNS0_4arch9wavefront6targetE0EEEvT1_.uses_vcc, 0
	.set _ZN7rocprim17ROCPRIM_400000_NS6detail17trampoline_kernelINS0_14default_configENS1_25partition_config_selectorILNS1_17partition_subalgoE6EdNS0_10empty_typeEbEEZZNS1_14partition_implILS5_6ELb0ES3_mN6thrust23THRUST_200600_302600_NS6detail15normal_iteratorINSA_10device_ptrIdEEEEPS6_SG_NS0_5tupleIJNSA_16discard_iteratorINSA_11use_defaultEEES6_EEENSH_IJSG_SG_EEES6_PlJNSB_9not_fun_tI7is_trueIdEEEEEE10hipError_tPvRmT3_T4_T5_T6_T7_T9_mT8_P12ihipStream_tbDpT10_ENKUlT_T0_E_clISt17integral_constantIbLb0EES1A_IbLb1EEEEDaS16_S17_EUlS16_E_NS1_11comp_targetILNS1_3genE2ELNS1_11target_archE906ELNS1_3gpuE6ELNS1_3repE0EEENS1_30default_config_static_selectorELNS0_4arch9wavefront6targetE0EEEvT1_.uses_flat_scratch, 0
	.set _ZN7rocprim17ROCPRIM_400000_NS6detail17trampoline_kernelINS0_14default_configENS1_25partition_config_selectorILNS1_17partition_subalgoE6EdNS0_10empty_typeEbEEZZNS1_14partition_implILS5_6ELb0ES3_mN6thrust23THRUST_200600_302600_NS6detail15normal_iteratorINSA_10device_ptrIdEEEEPS6_SG_NS0_5tupleIJNSA_16discard_iteratorINSA_11use_defaultEEES6_EEENSH_IJSG_SG_EEES6_PlJNSB_9not_fun_tI7is_trueIdEEEEEE10hipError_tPvRmT3_T4_T5_T6_T7_T9_mT8_P12ihipStream_tbDpT10_ENKUlT_T0_E_clISt17integral_constantIbLb0EES1A_IbLb1EEEEDaS16_S17_EUlS16_E_NS1_11comp_targetILNS1_3genE2ELNS1_11target_archE906ELNS1_3gpuE6ELNS1_3repE0EEENS1_30default_config_static_selectorELNS0_4arch9wavefront6targetE0EEEvT1_.has_dyn_sized_stack, 0
	.set _ZN7rocprim17ROCPRIM_400000_NS6detail17trampoline_kernelINS0_14default_configENS1_25partition_config_selectorILNS1_17partition_subalgoE6EdNS0_10empty_typeEbEEZZNS1_14partition_implILS5_6ELb0ES3_mN6thrust23THRUST_200600_302600_NS6detail15normal_iteratorINSA_10device_ptrIdEEEEPS6_SG_NS0_5tupleIJNSA_16discard_iteratorINSA_11use_defaultEEES6_EEENSH_IJSG_SG_EEES6_PlJNSB_9not_fun_tI7is_trueIdEEEEEE10hipError_tPvRmT3_T4_T5_T6_T7_T9_mT8_P12ihipStream_tbDpT10_ENKUlT_T0_E_clISt17integral_constantIbLb0EES1A_IbLb1EEEEDaS16_S17_EUlS16_E_NS1_11comp_targetILNS1_3genE2ELNS1_11target_archE906ELNS1_3gpuE6ELNS1_3repE0EEENS1_30default_config_static_selectorELNS0_4arch9wavefront6targetE0EEEvT1_.has_recursion, 0
	.set _ZN7rocprim17ROCPRIM_400000_NS6detail17trampoline_kernelINS0_14default_configENS1_25partition_config_selectorILNS1_17partition_subalgoE6EdNS0_10empty_typeEbEEZZNS1_14partition_implILS5_6ELb0ES3_mN6thrust23THRUST_200600_302600_NS6detail15normal_iteratorINSA_10device_ptrIdEEEEPS6_SG_NS0_5tupleIJNSA_16discard_iteratorINSA_11use_defaultEEES6_EEENSH_IJSG_SG_EEES6_PlJNSB_9not_fun_tI7is_trueIdEEEEEE10hipError_tPvRmT3_T4_T5_T6_T7_T9_mT8_P12ihipStream_tbDpT10_ENKUlT_T0_E_clISt17integral_constantIbLb0EES1A_IbLb1EEEEDaS16_S17_EUlS16_E_NS1_11comp_targetILNS1_3genE2ELNS1_11target_archE906ELNS1_3gpuE6ELNS1_3repE0EEENS1_30default_config_static_selectorELNS0_4arch9wavefront6targetE0EEEvT1_.has_indirect_call, 0
	.section	.AMDGPU.csdata,"",@progbits
; Kernel info:
; codeLenInByte = 0
; TotalNumSgprs: 0
; NumVgprs: 0
; ScratchSize: 0
; MemoryBound: 0
; FloatMode: 240
; IeeeMode: 1
; LDSByteSize: 0 bytes/workgroup (compile time only)
; SGPRBlocks: 0
; VGPRBlocks: 0
; NumSGPRsForWavesPerEU: 1
; NumVGPRsForWavesPerEU: 1
; Occupancy: 16
; WaveLimiterHint : 0
; COMPUTE_PGM_RSRC2:SCRATCH_EN: 0
; COMPUTE_PGM_RSRC2:USER_SGPR: 2
; COMPUTE_PGM_RSRC2:TRAP_HANDLER: 0
; COMPUTE_PGM_RSRC2:TGID_X_EN: 1
; COMPUTE_PGM_RSRC2:TGID_Y_EN: 0
; COMPUTE_PGM_RSRC2:TGID_Z_EN: 0
; COMPUTE_PGM_RSRC2:TIDIG_COMP_CNT: 0
	.section	.text._ZN7rocprim17ROCPRIM_400000_NS6detail17trampoline_kernelINS0_14default_configENS1_25partition_config_selectorILNS1_17partition_subalgoE6EdNS0_10empty_typeEbEEZZNS1_14partition_implILS5_6ELb0ES3_mN6thrust23THRUST_200600_302600_NS6detail15normal_iteratorINSA_10device_ptrIdEEEEPS6_SG_NS0_5tupleIJNSA_16discard_iteratorINSA_11use_defaultEEES6_EEENSH_IJSG_SG_EEES6_PlJNSB_9not_fun_tI7is_trueIdEEEEEE10hipError_tPvRmT3_T4_T5_T6_T7_T9_mT8_P12ihipStream_tbDpT10_ENKUlT_T0_E_clISt17integral_constantIbLb0EES1A_IbLb1EEEEDaS16_S17_EUlS16_E_NS1_11comp_targetILNS1_3genE10ELNS1_11target_archE1200ELNS1_3gpuE4ELNS1_3repE0EEENS1_30default_config_static_selectorELNS0_4arch9wavefront6targetE0EEEvT1_,"axG",@progbits,_ZN7rocprim17ROCPRIM_400000_NS6detail17trampoline_kernelINS0_14default_configENS1_25partition_config_selectorILNS1_17partition_subalgoE6EdNS0_10empty_typeEbEEZZNS1_14partition_implILS5_6ELb0ES3_mN6thrust23THRUST_200600_302600_NS6detail15normal_iteratorINSA_10device_ptrIdEEEEPS6_SG_NS0_5tupleIJNSA_16discard_iteratorINSA_11use_defaultEEES6_EEENSH_IJSG_SG_EEES6_PlJNSB_9not_fun_tI7is_trueIdEEEEEE10hipError_tPvRmT3_T4_T5_T6_T7_T9_mT8_P12ihipStream_tbDpT10_ENKUlT_T0_E_clISt17integral_constantIbLb0EES1A_IbLb1EEEEDaS16_S17_EUlS16_E_NS1_11comp_targetILNS1_3genE10ELNS1_11target_archE1200ELNS1_3gpuE4ELNS1_3repE0EEENS1_30default_config_static_selectorELNS0_4arch9wavefront6targetE0EEEvT1_,comdat
	.protected	_ZN7rocprim17ROCPRIM_400000_NS6detail17trampoline_kernelINS0_14default_configENS1_25partition_config_selectorILNS1_17partition_subalgoE6EdNS0_10empty_typeEbEEZZNS1_14partition_implILS5_6ELb0ES3_mN6thrust23THRUST_200600_302600_NS6detail15normal_iteratorINSA_10device_ptrIdEEEEPS6_SG_NS0_5tupleIJNSA_16discard_iteratorINSA_11use_defaultEEES6_EEENSH_IJSG_SG_EEES6_PlJNSB_9not_fun_tI7is_trueIdEEEEEE10hipError_tPvRmT3_T4_T5_T6_T7_T9_mT8_P12ihipStream_tbDpT10_ENKUlT_T0_E_clISt17integral_constantIbLb0EES1A_IbLb1EEEEDaS16_S17_EUlS16_E_NS1_11comp_targetILNS1_3genE10ELNS1_11target_archE1200ELNS1_3gpuE4ELNS1_3repE0EEENS1_30default_config_static_selectorELNS0_4arch9wavefront6targetE0EEEvT1_ ; -- Begin function _ZN7rocprim17ROCPRIM_400000_NS6detail17trampoline_kernelINS0_14default_configENS1_25partition_config_selectorILNS1_17partition_subalgoE6EdNS0_10empty_typeEbEEZZNS1_14partition_implILS5_6ELb0ES3_mN6thrust23THRUST_200600_302600_NS6detail15normal_iteratorINSA_10device_ptrIdEEEEPS6_SG_NS0_5tupleIJNSA_16discard_iteratorINSA_11use_defaultEEES6_EEENSH_IJSG_SG_EEES6_PlJNSB_9not_fun_tI7is_trueIdEEEEEE10hipError_tPvRmT3_T4_T5_T6_T7_T9_mT8_P12ihipStream_tbDpT10_ENKUlT_T0_E_clISt17integral_constantIbLb0EES1A_IbLb1EEEEDaS16_S17_EUlS16_E_NS1_11comp_targetILNS1_3genE10ELNS1_11target_archE1200ELNS1_3gpuE4ELNS1_3repE0EEENS1_30default_config_static_selectorELNS0_4arch9wavefront6targetE0EEEvT1_
	.globl	_ZN7rocprim17ROCPRIM_400000_NS6detail17trampoline_kernelINS0_14default_configENS1_25partition_config_selectorILNS1_17partition_subalgoE6EdNS0_10empty_typeEbEEZZNS1_14partition_implILS5_6ELb0ES3_mN6thrust23THRUST_200600_302600_NS6detail15normal_iteratorINSA_10device_ptrIdEEEEPS6_SG_NS0_5tupleIJNSA_16discard_iteratorINSA_11use_defaultEEES6_EEENSH_IJSG_SG_EEES6_PlJNSB_9not_fun_tI7is_trueIdEEEEEE10hipError_tPvRmT3_T4_T5_T6_T7_T9_mT8_P12ihipStream_tbDpT10_ENKUlT_T0_E_clISt17integral_constantIbLb0EES1A_IbLb1EEEEDaS16_S17_EUlS16_E_NS1_11comp_targetILNS1_3genE10ELNS1_11target_archE1200ELNS1_3gpuE4ELNS1_3repE0EEENS1_30default_config_static_selectorELNS0_4arch9wavefront6targetE0EEEvT1_
	.p2align	8
	.type	_ZN7rocprim17ROCPRIM_400000_NS6detail17trampoline_kernelINS0_14default_configENS1_25partition_config_selectorILNS1_17partition_subalgoE6EdNS0_10empty_typeEbEEZZNS1_14partition_implILS5_6ELb0ES3_mN6thrust23THRUST_200600_302600_NS6detail15normal_iteratorINSA_10device_ptrIdEEEEPS6_SG_NS0_5tupleIJNSA_16discard_iteratorINSA_11use_defaultEEES6_EEENSH_IJSG_SG_EEES6_PlJNSB_9not_fun_tI7is_trueIdEEEEEE10hipError_tPvRmT3_T4_T5_T6_T7_T9_mT8_P12ihipStream_tbDpT10_ENKUlT_T0_E_clISt17integral_constantIbLb0EES1A_IbLb1EEEEDaS16_S17_EUlS16_E_NS1_11comp_targetILNS1_3genE10ELNS1_11target_archE1200ELNS1_3gpuE4ELNS1_3repE0EEENS1_30default_config_static_selectorELNS0_4arch9wavefront6targetE0EEEvT1_,@function
_ZN7rocprim17ROCPRIM_400000_NS6detail17trampoline_kernelINS0_14default_configENS1_25partition_config_selectorILNS1_17partition_subalgoE6EdNS0_10empty_typeEbEEZZNS1_14partition_implILS5_6ELb0ES3_mN6thrust23THRUST_200600_302600_NS6detail15normal_iteratorINSA_10device_ptrIdEEEEPS6_SG_NS0_5tupleIJNSA_16discard_iteratorINSA_11use_defaultEEES6_EEENSH_IJSG_SG_EEES6_PlJNSB_9not_fun_tI7is_trueIdEEEEEE10hipError_tPvRmT3_T4_T5_T6_T7_T9_mT8_P12ihipStream_tbDpT10_ENKUlT_T0_E_clISt17integral_constantIbLb0EES1A_IbLb1EEEEDaS16_S17_EUlS16_E_NS1_11comp_targetILNS1_3genE10ELNS1_11target_archE1200ELNS1_3gpuE4ELNS1_3repE0EEENS1_30default_config_static_selectorELNS0_4arch9wavefront6targetE0EEEvT1_: ; @_ZN7rocprim17ROCPRIM_400000_NS6detail17trampoline_kernelINS0_14default_configENS1_25partition_config_selectorILNS1_17partition_subalgoE6EdNS0_10empty_typeEbEEZZNS1_14partition_implILS5_6ELb0ES3_mN6thrust23THRUST_200600_302600_NS6detail15normal_iteratorINSA_10device_ptrIdEEEEPS6_SG_NS0_5tupleIJNSA_16discard_iteratorINSA_11use_defaultEEES6_EEENSH_IJSG_SG_EEES6_PlJNSB_9not_fun_tI7is_trueIdEEEEEE10hipError_tPvRmT3_T4_T5_T6_T7_T9_mT8_P12ihipStream_tbDpT10_ENKUlT_T0_E_clISt17integral_constantIbLb0EES1A_IbLb1EEEEDaS16_S17_EUlS16_E_NS1_11comp_targetILNS1_3genE10ELNS1_11target_archE1200ELNS1_3gpuE4ELNS1_3repE0EEENS1_30default_config_static_selectorELNS0_4arch9wavefront6targetE0EEEvT1_
; %bb.0:
	s_clause 0x2
	s_load_b64 s[14:15], s[0:1], 0x58
	s_load_b128 s[8:11], s[0:1], 0x48
	s_load_b64 s[12:13], s[0:1], 0x68
	v_cmp_eq_u32_e64 s2, 0, v0
	s_and_saveexec_b32 s3, s2
	s_cbranch_execz .LBB2106_4
; %bb.1:
	s_mov_b32 s5, exec_lo
	s_mov_b32 s4, exec_lo
	v_mbcnt_lo_u32_b32 v1, s5, 0
                                        ; implicit-def: $vgpr2
	s_delay_alu instid0(VALU_DEP_1)
	v_cmpx_eq_u32_e32 0, v1
	s_cbranch_execz .LBB2106_3
; %bb.2:
	s_load_b64 s[6:7], s[0:1], 0x78
	s_bcnt1_i32_b32 s5, s5
	s_wait_alu 0xfffe
	v_dual_mov_b32 v2, 0 :: v_dual_mov_b32 v3, s5
	s_wait_kmcnt 0x0
	global_atomic_add_u32 v2, v2, v3, s[6:7] th:TH_ATOMIC_RETURN scope:SCOPE_DEV
.LBB2106_3:
	s_or_b32 exec_lo, exec_lo, s4
	s_wait_loadcnt 0x0
	v_readfirstlane_b32 s4, v2
	s_wait_alu 0xf1ff
	s_delay_alu instid0(VALU_DEP_1)
	v_dual_mov_b32 v2, 0 :: v_dual_add_nc_u32 v1, s4, v1
	ds_store_b32 v2, v1
.LBB2106_4:
	s_or_b32 exec_lo, exec_lo, s3
	v_mov_b32_e32 v2, 0
	s_clause 0x1
	s_load_b128 s[4:7], s[0:1], 0x8
	s_load_b32 s0, s[0:1], 0x70
	s_wait_dscnt 0x0
	s_barrier_signal -1
	s_barrier_wait -1
	global_inv scope:SCOPE_SE
	ds_load_b32 v3, v2
	s_wait_loadcnt_dscnt 0x0
	s_barrier_signal -1
	s_barrier_wait -1
	global_inv scope:SCOPE_SE
	s_mov_b32 s1, 0
	v_lshrrev_b32_e32 v9, 2, v0
	v_or_b32_e32 v12, 0x100, v0
	v_or_b32_e32 v11, 0x200, v0
	;; [unrolled: 1-line block ×3, first 2 shown]
	s_wait_kmcnt 0x0
	s_lshl_b64 s[16:17], s[6:7], 3
	s_add_co_i32 s3, s0, -1
	s_lshl_b32 s0, s0, 10
	s_add_nc_u64 s[4:5], s[4:5], s[16:17]
	s_add_nc_u64 s[18:19], s[6:7], s[0:1]
	v_lshlrev_b32_e32 v1, 10, v3
	global_load_b64 v[17:18], v2, s[10:11]
	v_readfirstlane_b32 s10, v3
	v_cmp_gt_u64_e64 s1, s[14:15], s[18:19]
	s_lshl_b32 s11, s3, 10
	v_lshlrev_b64_e32 v[1:2], 3, v[1:2]
	v_cmp_ne_u32_e32 vcc_lo, s3, v3
	s_add_co_i32 s0, s6, s11
	s_cmp_eq_u32 s10, s3
	s_mov_b32 s3, -1
	s_cselect_b32 s6, -1, 0
	s_or_b32 s1, s1, vcc_lo
	s_wait_alu 0xfffe
	v_add_co_u32 v13, vcc_lo, s4, v1
	s_delay_alu instid0(VALU_DEP_1)
	v_add_co_ci_u32_e64 v14, null, s5, v2, vcc_lo
	s_and_b32 vcc_lo, exec_lo, s1
	s_wait_alu 0xfffe
	s_cbranch_vccz .LBB2106_6
; %bb.5:
	v_lshlrev_b32_e32 v15, 3, v0
	v_lshrrev_b32_e32 v16, 2, v12
	v_lshrrev_b32_e32 v19, 2, v11
	;; [unrolled: 1-line block ×3, first 2 shown]
	v_and_b32_e32 v21, 56, v9
	v_add_co_u32 v1, vcc_lo, v13, v15
	s_wait_alu 0xfffd
	v_add_co_ci_u32_e64 v2, null, 0, v14, vcc_lo
	v_and_b32_e32 v16, 0x78, v16
	v_and_b32_e32 v19, 0xb8, v19
	;; [unrolled: 1-line block ×3, first 2 shown]
	s_clause 0x3
	flat_load_b64 v[3:4], v[1:2]
	flat_load_b64 v[5:6], v[1:2] offset:2048
	flat_load_b64 v[7:8], v[1:2] offset:4096
	;; [unrolled: 1-line block ×3, first 2 shown]
	v_add_nc_u32_e32 v21, v21, v15
	v_add_nc_u32_e32 v16, v16, v15
	;; [unrolled: 1-line block ×4, first 2 shown]
	s_mov_b32 s3, 0
	s_wait_loadcnt_dscnt 0x303
	ds_store_b64 v21, v[3:4]
	s_wait_loadcnt_dscnt 0x203
	ds_store_b64 v16, v[5:6] offset:2048
	s_wait_loadcnt_dscnt 0x103
	ds_store_b64 v19, v[7:8] offset:4096
	;; [unrolled: 2-line block ×3, first 2 shown]
	s_wait_dscnt 0x0
	s_barrier_signal -1
	s_barrier_wait -1
.LBB2106_6:
	s_wait_alu 0xfffe
	s_and_not1_b32 vcc_lo, exec_lo, s3
	s_sub_co_i32 s11, s14, s0
	s_wait_alu 0xfffe
	s_cbranch_vccnz .LBB2106_13
; %bb.7:
	v_mov_b32_e32 v1, 0
	s_mov_b32 s0, exec_lo
	s_delay_alu instid0(VALU_DEP_1)
	v_dual_mov_b32 v2, v1 :: v_dual_mov_b32 v3, v1
	v_dual_mov_b32 v4, v1 :: v_dual_mov_b32 v5, v1
	;; [unrolled: 1-line block ×3, first 2 shown]
	v_mov_b32_e32 v8, v1
	v_cmpx_gt_u32_e64 s11, v0
	s_cbranch_execnz .LBB2106_118
; %bb.8:
	s_or_b32 exec_lo, exec_lo, s0
	s_delay_alu instid0(SALU_CYCLE_1)
	s_mov_b32 s0, exec_lo
	v_cmpx_gt_u32_e64 s11, v12
	s_cbranch_execnz .LBB2106_119
.LBB2106_9:
	s_or_b32 exec_lo, exec_lo, s0
	s_delay_alu instid0(SALU_CYCLE_1)
	s_mov_b32 s0, exec_lo
	v_cmpx_gt_u32_e64 s11, v11
	s_cbranch_execnz .LBB2106_120
.LBB2106_10:
	s_or_b32 exec_lo, exec_lo, s0
	s_delay_alu instid0(SALU_CYCLE_1)
	s_mov_b32 s0, exec_lo
	v_cmpx_gt_u32_e64 s11, v10
	s_cbranch_execz .LBB2106_12
.LBB2106_11:
	v_lshlrev_b32_e32 v7, 3, v0
	s_delay_alu instid0(VALU_DEP_1)
	v_add_co_u32 v7, vcc_lo, v13, v7
	s_wait_alu 0xfffd
	v_add_co_ci_u32_e64 v8, null, 0, v14, vcc_lo
	flat_load_b64 v[7:8], v[7:8] offset:6144
.LBB2106_12:
	s_or_b32 exec_lo, exec_lo, s0
	v_lshrrev_b32_e32 v12, 2, v12
	v_lshrrev_b32_e32 v11, 2, v11
	;; [unrolled: 1-line block ×3, first 2 shown]
	v_and_b32_e32 v9, 56, v9
	v_lshlrev_b32_e32 v13, 3, v0
	v_and_b32_e32 v12, 0x78, v12
	v_and_b32_e32 v11, 0xf8, v11
	;; [unrolled: 1-line block ×3, first 2 shown]
	s_delay_alu instid0(VALU_DEP_4) | instskip(NEXT) | instid1(VALU_DEP_4)
	v_add_nc_u32_e32 v9, v9, v13
	v_add_nc_u32_e32 v12, v12, v13
	s_delay_alu instid0(VALU_DEP_4) | instskip(NEXT) | instid1(VALU_DEP_4)
	v_add_nc_u32_e32 v11, v11, v13
	v_add_nc_u32_e32 v10, v10, v13
	ds_store_b64 v9, v[1:2]
	s_wait_loadcnt_dscnt 0x1
	ds_store_b64 v12, v[3:4] offset:2048
	ds_store_b64 v11, v[5:6] offset:4096
	;; [unrolled: 1-line block ×3, first 2 shown]
	s_wait_dscnt 0x0
	s_barrier_signal -1
	s_barrier_wait -1
.LBB2106_13:
	v_and_b32_e32 v1, 0xf8, v0
	s_wait_loadcnt 0x0
	global_inv scope:SCOPE_SE
	s_and_not1_b32 vcc_lo, exec_lo, s1
	v_lshl_add_u32 v5, v0, 5, v1
	ds_load_2addr_b64 v[1:4], v5 offset1:3
	ds_load_2addr_b64 v[5:8], v5 offset0:1 offset1:2
	s_wait_loadcnt_dscnt 0x0
	s_barrier_signal -1
	s_barrier_wait -1
	global_inv scope:SCOPE_SE
	v_cmp_eq_f64_e64 s0, 0, v[1:2]
	v_cmp_eq_f64_e64 s7, 0, v[3:4]
	s_wait_alu 0xfffe
	s_cbranch_vccnz .LBB2106_15
; %bb.14:
	v_cmp_eq_f64_e32 vcc_lo, 0, v[7:8]
	v_cndmask_b32_e64 v29, 0, 1, s0
	s_wait_alu 0xfffd
	v_cndmask_b32_e64 v27, 0, 1, vcc_lo
	v_cmp_eq_f64_e32 vcc_lo, 0, v[5:6]
	s_delay_alu instid0(VALU_DEP_2) | instskip(SKIP_2) | instid1(VALU_DEP_1)
	v_lshlrev_b16 v10, 8, v27
	s_wait_alu 0xfffd
	v_cndmask_b32_e64 v9, 0, 1, vcc_lo
	v_or_b32_e32 v28, v9, v10
	s_cbranch_execz .LBB2106_16
	s_branch .LBB2106_17
.LBB2106_15:
                                        ; implicit-def: $sgpr7
                                        ; implicit-def: $vgpr29
                                        ; implicit-def: $vgpr28
                                        ; implicit-def: $vgpr27
.LBB2106_16:
	v_cmp_eq_f64_e32 vcc_lo, 0, v[7:8]
	v_cmp_eq_f64_e64 s0, 0, v[5:6]
	v_cmp_eq_f64_e64 s1, 0, v[1:2]
	;; [unrolled: 1-line block ×3, first 2 shown]
	v_lshlrev_b32_e32 v9, 2, v0
	s_delay_alu instid0(VALU_DEP_1) | instskip(SKIP_1) | instid1(VALU_DEP_2)
	v_or_b32_e32 v10, 2, v9
	v_or_b32_e32 v11, 1, v9
	v_cmp_gt_u32_e64 s4, s11, v10
	s_delay_alu instid0(VALU_DEP_2)
	v_cmp_gt_u32_e64 s5, s11, v11
	v_or_b32_e32 v10, 3, v9
	s_and_b32 s4, s4, vcc_lo
	v_cmp_gt_u32_e32 vcc_lo, s11, v9
	s_wait_alu 0xfffe
	v_cndmask_b32_e64 v27, 0, 1, s4
	s_and_b32 s0, s5, s0
	v_cmp_gt_u32_e64 s4, s11, v10
	s_wait_alu 0xfffe
	v_cndmask_b32_e64 v9, 0, 1, s0
	s_and_b32 s0, vcc_lo, s1
	v_lshlrev_b16 v10, 8, v27
	s_wait_alu 0xfffe
	v_cndmask_b32_e64 v29, 0, 1, s0
	s_and_b32 s0, s4, s3
	s_and_not1_b32 s1, s7, exec_lo
	s_wait_alu 0xfffe
	s_and_b32 s0, s0, exec_lo
	v_or_b32_e32 v28, v9, v10
	s_wait_alu 0xfffe
	s_or_b32 s7, s1, s0
.LBB2106_17:
	v_and_b32_e32 v31, 0xff, v29
	s_delay_alu instid0(VALU_DEP_2)
	v_dual_mov_b32 v11, 0 :: v_dual_and_b32 v30, 0xff, v28
	v_cndmask_b32_e64 v9, 0, 1, s7
	v_mbcnt_lo_u32_b32 v33, -1, 0
	v_and_b32_e32 v32, 0xff, v27
	s_cmp_lg_u32 s10, 0
	s_mov_b32 s1, -1
	v_add3_u32 v9, v31, v9, v30
	v_and_b32_e32 v34, 15, v33
	s_delay_alu instid0(VALU_DEP_2) | instskip(SKIP_2) | instid1(VALU_DEP_3)
	v_add_co_u32 v19, s0, v9, v32
	s_wait_alu 0xf1ff
	v_add_co_ci_u32_e64 v20, null, 0, 0, s0
	v_cmp_ne_u32_e64 s0, 0, v34
	s_cbranch_scc0 .LBB2106_74
; %bb.18:
	v_dual_mov_b32 v12, v19 :: v_dual_mov_b32 v9, v19
	v_mov_b32_dpp v14, v19 row_shr:1 row_mask:0xf bank_mask:0xf
	v_mov_b32_dpp v13, v11 row_shr:1 row_mask:0xf bank_mask:0xf
	v_mov_b32_e32 v10, v20
	s_and_saveexec_b32 s1, s0
; %bb.19:
	s_delay_alu instid0(VALU_DEP_3) | instskip(SKIP_2) | instid1(VALU_DEP_2)
	v_add_co_u32 v12, vcc_lo, v19, v14
	s_wait_alu 0xfffd
	v_add_co_ci_u32_e64 v9, null, 0, v20, vcc_lo
	v_add_co_u32 v10, vcc_lo, 0, v12
	s_wait_alu 0xfffd
	s_delay_alu instid0(VALU_DEP_2) | instskip(NEXT) | instid1(VALU_DEP_2)
	v_add_co_ci_u32_e64 v11, null, v13, v9, vcc_lo
	v_mov_b32_e32 v9, v10
	s_delay_alu instid0(VALU_DEP_2)
	v_mov_b32_e32 v10, v11
; %bb.20:
	s_wait_alu 0xfffe
	s_or_b32 exec_lo, exec_lo, s1
	v_mov_b32_dpp v14, v12 row_shr:2 row_mask:0xf bank_mask:0xf
	v_mov_b32_dpp v13, v11 row_shr:2 row_mask:0xf bank_mask:0xf
	s_mov_b32 s1, exec_lo
	v_cmpx_lt_u32_e32 1, v34
; %bb.21:
	s_delay_alu instid0(VALU_DEP_3) | instskip(SKIP_2) | instid1(VALU_DEP_2)
	v_add_co_u32 v12, vcc_lo, v9, v14
	s_wait_alu 0xfffd
	v_add_co_ci_u32_e64 v9, null, 0, v10, vcc_lo
	v_add_co_u32 v10, vcc_lo, 0, v12
	s_wait_alu 0xfffd
	s_delay_alu instid0(VALU_DEP_2) | instskip(NEXT) | instid1(VALU_DEP_2)
	v_add_co_ci_u32_e64 v11, null, v13, v9, vcc_lo
	v_mov_b32_e32 v9, v10
	s_delay_alu instid0(VALU_DEP_2)
	v_mov_b32_e32 v10, v11
; %bb.22:
	s_wait_alu 0xfffe
	s_or_b32 exec_lo, exec_lo, s1
	v_mov_b32_dpp v14, v12 row_shr:4 row_mask:0xf bank_mask:0xf
	v_mov_b32_dpp v13, v11 row_shr:4 row_mask:0xf bank_mask:0xf
	s_mov_b32 s1, exec_lo
	v_cmpx_lt_u32_e32 3, v34
	;; [unrolled: 19-line block ×3, first 2 shown]
; %bb.25:
	s_delay_alu instid0(VALU_DEP_3) | instskip(SKIP_2) | instid1(VALU_DEP_2)
	v_add_co_u32 v12, vcc_lo, v9, v14
	s_wait_alu 0xfffd
	v_add_co_ci_u32_e64 v10, null, 0, v10, vcc_lo
	v_add_co_u32 v9, vcc_lo, 0, v12
	s_wait_alu 0xfffd
	s_delay_alu instid0(VALU_DEP_2) | instskip(NEXT) | instid1(VALU_DEP_1)
	v_add_co_ci_u32_e64 v10, null, v13, v10, vcc_lo
	v_mov_b32_e32 v11, v10
; %bb.26:
	s_wait_alu 0xfffe
	s_or_b32 exec_lo, exec_lo, s1
	ds_swizzle_b32 v13, v12 offset:swizzle(BROADCAST,32,15)
	ds_swizzle_b32 v11, v11 offset:swizzle(BROADCAST,32,15)
	v_and_b32_e32 v14, 16, v33
	s_mov_b32 s1, exec_lo
	s_delay_alu instid0(VALU_DEP_1)
	v_cmpx_ne_u32_e32 0, v14
	s_cbranch_execz .LBB2106_28
; %bb.27:
	s_wait_dscnt 0x1
	v_add_co_u32 v12, vcc_lo, v9, v13
	s_wait_alu 0xfffd
	v_add_co_ci_u32_e64 v10, null, 0, v10, vcc_lo
	s_delay_alu instid0(VALU_DEP_2) | instskip(SKIP_2) | instid1(VALU_DEP_2)
	v_add_co_u32 v9, vcc_lo, 0, v12
	s_wait_dscnt 0x0
	s_wait_alu 0xfffd
	v_add_co_ci_u32_e64 v10, null, v11, v10, vcc_lo
.LBB2106_28:
	s_wait_alu 0xfffe
	s_or_b32 exec_lo, exec_lo, s1
	s_wait_dscnt 0x1
	v_or_b32_e32 v13, 31, v0
	s_wait_dscnt 0x0
	v_lshrrev_b32_e32 v11, 5, v0
	s_mov_b32 s1, exec_lo
	s_delay_alu instid0(VALU_DEP_2)
	v_cmpx_eq_u32_e64 v0, v13
; %bb.29:
	s_delay_alu instid0(VALU_DEP_2)
	v_lshlrev_b32_e32 v13, 3, v11
	ds_store_b64 v13, v[9:10]
; %bb.30:
	s_wait_alu 0xfffe
	s_or_b32 exec_lo, exec_lo, s1
	s_delay_alu instid0(SALU_CYCLE_1)
	s_mov_b32 s1, exec_lo
	s_wait_loadcnt_dscnt 0x0
	s_barrier_signal -1
	s_barrier_wait -1
	global_inv scope:SCOPE_SE
	v_cmpx_gt_u32_e32 8, v0
	s_cbranch_execz .LBB2106_38
; %bb.31:
	v_lshlrev_b32_e32 v13, 3, v0
	s_mov_b32 s3, exec_lo
	ds_load_b64 v[9:10], v13
	s_wait_dscnt 0x0
	v_dual_mov_b32 v15, v9 :: v_dual_and_b32 v14, 7, v33
	v_mov_b32_dpp v21, v9 row_shr:1 row_mask:0xf bank_mask:0xf
	v_mov_b32_dpp v16, v10 row_shr:1 row_mask:0xf bank_mask:0xf
	s_delay_alu instid0(VALU_DEP_3)
	v_cmpx_ne_u32_e32 0, v14
; %bb.32:
	s_delay_alu instid0(VALU_DEP_3) | instskip(SKIP_2) | instid1(VALU_DEP_2)
	v_add_co_u32 v15, vcc_lo, v9, v21
	s_wait_alu 0xfffd
	v_add_co_ci_u32_e64 v10, null, 0, v10, vcc_lo
	v_add_co_u32 v9, vcc_lo, 0, v15
	s_wait_alu 0xfffd
	s_delay_alu instid0(VALU_DEP_2)
	v_add_co_ci_u32_e64 v10, null, v16, v10, vcc_lo
; %bb.33:
	s_wait_alu 0xfffe
	s_or_b32 exec_lo, exec_lo, s3
	v_mov_b32_dpp v21, v15 row_shr:2 row_mask:0xf bank_mask:0xf
	s_delay_alu instid0(VALU_DEP_2)
	v_mov_b32_dpp v16, v10 row_shr:2 row_mask:0xf bank_mask:0xf
	s_mov_b32 s3, exec_lo
	v_cmpx_lt_u32_e32 1, v14
; %bb.34:
	s_delay_alu instid0(VALU_DEP_3) | instskip(SKIP_2) | instid1(VALU_DEP_2)
	v_add_co_u32 v15, vcc_lo, v9, v21
	s_wait_alu 0xfffd
	v_add_co_ci_u32_e64 v10, null, 0, v10, vcc_lo
	v_add_co_u32 v9, vcc_lo, 0, v15
	s_wait_alu 0xfffd
	s_delay_alu instid0(VALU_DEP_2)
	v_add_co_ci_u32_e64 v10, null, v16, v10, vcc_lo
; %bb.35:
	s_wait_alu 0xfffe
	s_or_b32 exec_lo, exec_lo, s3
	v_mov_b32_dpp v16, v15 row_shr:4 row_mask:0xf bank_mask:0xf
	s_delay_alu instid0(VALU_DEP_2)
	v_mov_b32_dpp v15, v10 row_shr:4 row_mask:0xf bank_mask:0xf
	s_mov_b32 s3, exec_lo
	v_cmpx_lt_u32_e32 3, v14
; %bb.36:
	s_delay_alu instid0(VALU_DEP_3) | instskip(SKIP_2) | instid1(VALU_DEP_2)
	v_add_co_u32 v9, vcc_lo, v9, v16
	s_wait_alu 0xfffd
	v_add_co_ci_u32_e64 v10, null, 0, v10, vcc_lo
	v_add_co_u32 v9, vcc_lo, v9, 0
	s_wait_alu 0xfffd
	s_delay_alu instid0(VALU_DEP_2)
	v_add_co_ci_u32_e64 v10, null, v10, v15, vcc_lo
; %bb.37:
	s_wait_alu 0xfffe
	s_or_b32 exec_lo, exec_lo, s3
	ds_store_b64 v13, v[9:10]
.LBB2106_38:
	s_wait_alu 0xfffe
	s_or_b32 exec_lo, exec_lo, s1
	s_delay_alu instid0(SALU_CYCLE_1)
	s_mov_b32 s3, exec_lo
	v_cmp_gt_u32_e32 vcc_lo, 32, v0
	s_wait_loadcnt_dscnt 0x0
	s_barrier_signal -1
	s_barrier_wait -1
	global_inv scope:SCOPE_SE
                                        ; implicit-def: $vgpr21_vgpr22
	v_cmpx_lt_u32_e32 31, v0
	s_cbranch_execz .LBB2106_40
; %bb.39:
	v_lshl_add_u32 v9, v11, 3, -8
	ds_load_b64 v[21:22], v9
	s_wait_dscnt 0x0
	v_add_nc_u32_e32 v12, v12, v21
.LBB2106_40:
	s_wait_alu 0xfffe
	s_or_b32 exec_lo, exec_lo, s3
	v_sub_co_u32 v9, s1, v33, 1
	s_delay_alu instid0(VALU_DEP_1) | instskip(SKIP_1) | instid1(VALU_DEP_1)
	v_cmp_gt_i32_e64 s3, 0, v9
	s_wait_alu 0xf1ff
	v_cndmask_b32_e64 v9, v9, v33, s3
	s_delay_alu instid0(VALU_DEP_1)
	v_lshlrev_b32_e32 v9, 2, v9
	ds_bpermute_b32 v35, v9, v12
	s_and_saveexec_b32 s3, vcc_lo
	s_cbranch_execz .LBB2106_79
; %bb.41:
	v_mov_b32_e32 v12, 0
	ds_load_b64 v[9:10], v12 offset:56
	s_and_saveexec_b32 s4, s1
	s_cbranch_execz .LBB2106_43
; %bb.42:
	s_add_co_i32 s14, s10, 32
	s_mov_b32 s15, 0
	s_wait_alu 0xfffe
	s_lshl_b64 s[14:15], s[14:15], 4
	s_wait_alu 0xfffe
	s_add_nc_u64 s[14:15], s[12:13], s[14:15]
	v_mov_b32_e32 v11, 1
	s_wait_alu 0xfffe
	v_dual_mov_b32 v13, s14 :: v_dual_mov_b32 v14, s15
	s_wait_dscnt 0x0
	;;#ASMSTART
	global_store_b128 v[13:14], v[9:12] off scope:SCOPE_DEV	
s_wait_storecnt 0x0
	;;#ASMEND
.LBB2106_43:
	s_wait_alu 0xfffe
	s_or_b32 exec_lo, exec_lo, s4
	v_xad_u32 v23, v33, -1, s10
	s_mov_b32 s5, 0
	s_mov_b32 s4, exec_lo
	s_delay_alu instid0(VALU_DEP_1) | instskip(NEXT) | instid1(VALU_DEP_1)
	v_add_nc_u32_e32 v11, 32, v23
	v_lshlrev_b64_e32 v[11:12], 4, v[11:12]
	s_delay_alu instid0(VALU_DEP_1) | instskip(SKIP_1) | instid1(VALU_DEP_2)
	v_add_co_u32 v11, vcc_lo, s12, v11
	s_wait_alu 0xfffd
	v_add_co_ci_u32_e64 v12, null, s13, v12, vcc_lo
	;;#ASMSTART
	global_load_b128 v[13:16], v[11:12] off scope:SCOPE_DEV	
s_wait_loadcnt 0x0
	;;#ASMEND
	v_and_b32_e32 v16, 0xff, v15
	s_delay_alu instid0(VALU_DEP_1)
	v_cmpx_eq_u16_e32 0, v16
	s_cbranch_execz .LBB2106_46
.LBB2106_44:                            ; =>This Inner Loop Header: Depth=1
	;;#ASMSTART
	global_load_b128 v[13:16], v[11:12] off scope:SCOPE_DEV	
s_wait_loadcnt 0x0
	;;#ASMEND
	v_and_b32_e32 v16, 0xff, v15
	s_delay_alu instid0(VALU_DEP_1)
	v_cmp_ne_u16_e32 vcc_lo, 0, v16
	s_wait_alu 0xfffe
	s_or_b32 s5, vcc_lo, s5
	s_wait_alu 0xfffe
	s_and_not1_b32 exec_lo, exec_lo, s5
	s_cbranch_execnz .LBB2106_44
; %bb.45:
	s_or_b32 exec_lo, exec_lo, s5
.LBB2106_46:
	s_wait_alu 0xfffe
	s_or_b32 exec_lo, exec_lo, s4
	v_cmp_ne_u32_e32 vcc_lo, 31, v33
	v_and_b32_e32 v12, 0xff, v15
	v_lshlrev_b32_e64 v37, v33, -1
	s_mov_b32 s4, exec_lo
	s_wait_alu 0xfffd
	v_add_co_ci_u32_e64 v11, null, 0, v33, vcc_lo
	v_cmp_eq_u16_e32 vcc_lo, 2, v12
	v_mov_b32_e32 v12, v13
	s_delay_alu instid0(VALU_DEP_3)
	v_lshlrev_b32_e32 v36, 2, v11
	s_wait_alu 0xfffd
	v_and_or_b32 v11, vcc_lo, v37, 0x80000000
	ds_bpermute_b32 v24, v36, v13
	ds_bpermute_b32 v16, v36, v14
	v_ctz_i32_b32_e32 v11, v11
	s_delay_alu instid0(VALU_DEP_1)
	v_cmpx_lt_u32_e64 v33, v11
	s_cbranch_execz .LBB2106_48
; %bb.47:
	s_wait_dscnt 0x1
	v_add_co_u32 v12, vcc_lo, v13, v24
	s_wait_alu 0xfffd
	v_add_co_ci_u32_e64 v14, null, 0, v14, vcc_lo
	s_delay_alu instid0(VALU_DEP_2) | instskip(SKIP_2) | instid1(VALU_DEP_2)
	v_add_co_u32 v13, vcc_lo, 0, v12
	s_wait_dscnt 0x0
	s_wait_alu 0xfffd
	v_add_co_ci_u32_e64 v14, null, v16, v14, vcc_lo
.LBB2106_48:
	s_wait_alu 0xfffe
	s_or_b32 exec_lo, exec_lo, s4
	v_cmp_gt_u32_e32 vcc_lo, 30, v33
	v_add_nc_u32_e32 v39, 2, v33
	s_mov_b32 s4, exec_lo
	s_wait_dscnt 0x0
	s_wait_alu 0xfffd
	v_cndmask_b32_e64 v16, 0, 2, vcc_lo
	s_delay_alu instid0(VALU_DEP_1)
	v_add_lshl_u32 v38, v16, v33, 2
	ds_bpermute_b32 v24, v38, v12
	ds_bpermute_b32 v16, v38, v14
	v_cmpx_le_u32_e64 v39, v11
	s_cbranch_execz .LBB2106_50
; %bb.49:
	s_wait_dscnt 0x1
	v_add_co_u32 v12, vcc_lo, v13, v24
	s_wait_alu 0xfffd
	v_add_co_ci_u32_e64 v14, null, 0, v14, vcc_lo
	s_delay_alu instid0(VALU_DEP_2) | instskip(SKIP_2) | instid1(VALU_DEP_2)
	v_add_co_u32 v13, vcc_lo, 0, v12
	s_wait_dscnt 0x0
	s_wait_alu 0xfffd
	v_add_co_ci_u32_e64 v14, null, v16, v14, vcc_lo
.LBB2106_50:
	s_wait_alu 0xfffe
	s_or_b32 exec_lo, exec_lo, s4
	v_cmp_gt_u32_e32 vcc_lo, 28, v33
	v_add_nc_u32_e32 v41, 4, v33
	s_mov_b32 s4, exec_lo
	s_wait_dscnt 0x0
	s_wait_alu 0xfffd
	v_cndmask_b32_e64 v16, 0, 4, vcc_lo
	s_delay_alu instid0(VALU_DEP_1)
	v_add_lshl_u32 v40, v16, v33, 2
	ds_bpermute_b32 v24, v40, v12
	ds_bpermute_b32 v16, v40, v14
	v_cmpx_le_u32_e64 v41, v11
	;; [unrolled: 25-line block ×3, first 2 shown]
	s_cbranch_execz .LBB2106_54
; %bb.53:
	s_wait_dscnt 0x1
	v_add_co_u32 v12, vcc_lo, v13, v24
	s_wait_alu 0xfffd
	v_add_co_ci_u32_e64 v14, null, 0, v14, vcc_lo
	s_delay_alu instid0(VALU_DEP_2) | instskip(SKIP_2) | instid1(VALU_DEP_2)
	v_add_co_u32 v13, vcc_lo, 0, v12
	s_wait_dscnt 0x0
	s_wait_alu 0xfffd
	v_add_co_ci_u32_e64 v14, null, v16, v14, vcc_lo
.LBB2106_54:
	s_wait_alu 0xfffe
	s_or_b32 exec_lo, exec_lo, s4
	v_lshl_or_b32 v44, v33, 2, 64
	v_add_nc_u32_e32 v45, 16, v33
	s_mov_b32 s4, exec_lo
	s_wait_dscnt 0x0
	ds_bpermute_b32 v16, v44, v12
	ds_bpermute_b32 v12, v44, v14
	v_cmpx_le_u32_e64 v45, v11
	s_cbranch_execz .LBB2106_56
; %bb.55:
	s_wait_dscnt 0x1
	v_add_co_u32 v11, vcc_lo, v13, v16
	s_wait_alu 0xfffd
	v_add_co_ci_u32_e64 v14, null, 0, v14, vcc_lo
	s_delay_alu instid0(VALU_DEP_2) | instskip(SKIP_2) | instid1(VALU_DEP_2)
	v_add_co_u32 v13, vcc_lo, v11, 0
	s_wait_dscnt 0x0
	s_wait_alu 0xfffd
	v_add_co_ci_u32_e64 v14, null, v14, v12, vcc_lo
.LBB2106_56:
	s_wait_alu 0xfffe
	s_or_b32 exec_lo, exec_lo, s4
	v_mov_b32_e32 v24, 0
	s_branch .LBB2106_59
.LBB2106_57:                            ;   in Loop: Header=BB2106_59 Depth=1
	s_wait_alu 0xfffe
	s_or_b32 exec_lo, exec_lo, s4
	v_add_co_u32 v13, vcc_lo, v13, v11
	v_subrev_nc_u32_e32 v23, 32, v23
	s_wait_alu 0xfffd
	v_add_co_ci_u32_e64 v14, null, v14, v12, vcc_lo
	s_mov_b32 s4, 0
.LBB2106_58:                            ;   in Loop: Header=BB2106_59 Depth=1
	s_wait_alu 0xfffe
	s_and_b32 vcc_lo, exec_lo, s4
	s_wait_alu 0xfffe
	s_cbranch_vccnz .LBB2106_75
.LBB2106_59:                            ; =>This Loop Header: Depth=1
                                        ;     Child Loop BB2106_62 Depth 2
	v_and_b32_e32 v11, 0xff, v15
	s_mov_b32 s4, -1
	s_delay_alu instid0(VALU_DEP_1)
	v_cmp_ne_u16_e32 vcc_lo, 2, v11
	s_wait_dscnt 0x0
	v_dual_mov_b32 v11, v13 :: v_dual_mov_b32 v12, v14
                                        ; implicit-def: $vgpr13_vgpr14
	s_cmp_lg_u32 vcc_lo, exec_lo
	s_cbranch_scc1 .LBB2106_58
; %bb.60:                               ;   in Loop: Header=BB2106_59 Depth=1
	v_lshlrev_b64_e32 v[13:14], 4, v[23:24]
	s_mov_b32 s4, exec_lo
	s_delay_alu instid0(VALU_DEP_1) | instskip(SKIP_1) | instid1(VALU_DEP_2)
	v_add_co_u32 v25, vcc_lo, s12, v13
	s_wait_alu 0xfffd
	v_add_co_ci_u32_e64 v26, null, s13, v14, vcc_lo
	;;#ASMSTART
	global_load_b128 v[13:16], v[25:26] off scope:SCOPE_DEV	
s_wait_loadcnt 0x0
	;;#ASMEND
	v_and_b32_e32 v16, 0xff, v15
	s_delay_alu instid0(VALU_DEP_1)
	v_cmpx_eq_u16_e32 0, v16
	s_cbranch_execz .LBB2106_64
; %bb.61:                               ;   in Loop: Header=BB2106_59 Depth=1
	s_mov_b32 s5, 0
.LBB2106_62:                            ;   Parent Loop BB2106_59 Depth=1
                                        ; =>  This Inner Loop Header: Depth=2
	;;#ASMSTART
	global_load_b128 v[13:16], v[25:26] off scope:SCOPE_DEV	
s_wait_loadcnt 0x0
	;;#ASMEND
	v_and_b32_e32 v16, 0xff, v15
	s_delay_alu instid0(VALU_DEP_1)
	v_cmp_ne_u16_e32 vcc_lo, 0, v16
	s_wait_alu 0xfffe
	s_or_b32 s5, vcc_lo, s5
	s_wait_alu 0xfffe
	s_and_not1_b32 exec_lo, exec_lo, s5
	s_cbranch_execnz .LBB2106_62
; %bb.63:                               ;   in Loop: Header=BB2106_59 Depth=1
	s_or_b32 exec_lo, exec_lo, s5
.LBB2106_64:                            ;   in Loop: Header=BB2106_59 Depth=1
	s_wait_alu 0xfffe
	s_or_b32 exec_lo, exec_lo, s4
	v_dual_mov_b32 v25, v13 :: v_dual_and_b32 v16, 0xff, v15
	ds_bpermute_b32 v46, v36, v13
	ds_bpermute_b32 v26, v36, v14
	s_mov_b32 s4, exec_lo
	v_cmp_eq_u16_e32 vcc_lo, 2, v16
	s_wait_alu 0xfffd
	v_and_or_b32 v16, vcc_lo, v37, 0x80000000
	s_delay_alu instid0(VALU_DEP_1) | instskip(NEXT) | instid1(VALU_DEP_1)
	v_ctz_i32_b32_e32 v16, v16
	v_cmpx_lt_u32_e64 v33, v16
	s_cbranch_execz .LBB2106_66
; %bb.65:                               ;   in Loop: Header=BB2106_59 Depth=1
	s_wait_dscnt 0x1
	v_add_co_u32 v25, vcc_lo, v13, v46
	s_wait_alu 0xfffd
	v_add_co_ci_u32_e64 v14, null, 0, v14, vcc_lo
	s_delay_alu instid0(VALU_DEP_2) | instskip(SKIP_2) | instid1(VALU_DEP_2)
	v_add_co_u32 v13, vcc_lo, 0, v25
	s_wait_dscnt 0x0
	s_wait_alu 0xfffd
	v_add_co_ci_u32_e64 v14, null, v26, v14, vcc_lo
.LBB2106_66:                            ;   in Loop: Header=BB2106_59 Depth=1
	s_wait_alu 0xfffe
	s_or_b32 exec_lo, exec_lo, s4
	s_wait_dscnt 0x1
	ds_bpermute_b32 v46, v38, v25
	s_wait_dscnt 0x1
	ds_bpermute_b32 v26, v38, v14
	s_mov_b32 s4, exec_lo
	v_cmpx_le_u32_e64 v39, v16
	s_cbranch_execz .LBB2106_68
; %bb.67:                               ;   in Loop: Header=BB2106_59 Depth=1
	s_wait_dscnt 0x1
	v_add_co_u32 v25, vcc_lo, v13, v46
	s_wait_alu 0xfffd
	v_add_co_ci_u32_e64 v14, null, 0, v14, vcc_lo
	s_delay_alu instid0(VALU_DEP_2) | instskip(SKIP_2) | instid1(VALU_DEP_2)
	v_add_co_u32 v13, vcc_lo, 0, v25
	s_wait_dscnt 0x0
	s_wait_alu 0xfffd
	v_add_co_ci_u32_e64 v14, null, v26, v14, vcc_lo
.LBB2106_68:                            ;   in Loop: Header=BB2106_59 Depth=1
	s_wait_alu 0xfffe
	s_or_b32 exec_lo, exec_lo, s4
	s_wait_dscnt 0x1
	ds_bpermute_b32 v46, v40, v25
	s_wait_dscnt 0x1
	ds_bpermute_b32 v26, v40, v14
	s_mov_b32 s4, exec_lo
	v_cmpx_le_u32_e64 v41, v16
	;; [unrolled: 20-line block ×3, first 2 shown]
	s_cbranch_execz .LBB2106_72
; %bb.71:                               ;   in Loop: Header=BB2106_59 Depth=1
	s_wait_dscnt 0x1
	v_add_co_u32 v25, vcc_lo, v13, v46
	s_wait_alu 0xfffd
	v_add_co_ci_u32_e64 v14, null, 0, v14, vcc_lo
	s_delay_alu instid0(VALU_DEP_2) | instskip(SKIP_2) | instid1(VALU_DEP_2)
	v_add_co_u32 v13, vcc_lo, 0, v25
	s_wait_dscnt 0x0
	s_wait_alu 0xfffd
	v_add_co_ci_u32_e64 v14, null, v26, v14, vcc_lo
.LBB2106_72:                            ;   in Loop: Header=BB2106_59 Depth=1
	s_wait_alu 0xfffe
	s_or_b32 exec_lo, exec_lo, s4
	s_wait_dscnt 0x0
	ds_bpermute_b32 v26, v44, v25
	ds_bpermute_b32 v25, v44, v14
	s_mov_b32 s4, exec_lo
	v_cmpx_le_u32_e64 v45, v16
	s_cbranch_execz .LBB2106_57
; %bb.73:                               ;   in Loop: Header=BB2106_59 Depth=1
	s_wait_dscnt 0x1
	v_add_co_u32 v13, vcc_lo, v13, v26
	s_wait_alu 0xfffd
	v_add_co_ci_u32_e64 v14, null, 0, v14, vcc_lo
	s_delay_alu instid0(VALU_DEP_2) | instskip(SKIP_2) | instid1(VALU_DEP_2)
	v_add_co_u32 v13, vcc_lo, v13, 0
	s_wait_dscnt 0x0
	s_wait_alu 0xfffd
	v_add_co_ci_u32_e64 v14, null, v14, v25, vcc_lo
	s_branch .LBB2106_57
.LBB2106_74:
                                        ; implicit-def: $vgpr13_vgpr14
                                        ; implicit-def: $vgpr21_vgpr22
                                        ; implicit-def: $vgpr11_vgpr12
                                        ; implicit-def: $vgpr14_vgpr15
                                        ; implicit-def: $vgpr15_vgpr16
	s_wait_alu 0xfffe
	s_and_b32 vcc_lo, exec_lo, s1
	s_wait_alu 0xfffe
	s_cbranch_vccnz .LBB2106_80
	s_branch .LBB2106_105
.LBB2106_75:
	s_and_saveexec_b32 s4, s1
	s_cbranch_execz .LBB2106_77
; %bb.76:
	s_add_co_i32 s10, s10, 32
	s_mov_b32 s11, 0
	v_add_co_u32 v13, vcc_lo, v11, v9
	s_wait_alu 0xfffe
	s_lshl_b64 s[10:11], s[10:11], 4
	v_dual_mov_b32 v15, 2 :: v_dual_mov_b32 v16, 0
	s_wait_alu 0xfffe
	s_add_nc_u64 s[10:11], s[12:13], s[10:11]
	s_wait_alu 0xfffd
	v_add_co_ci_u32_e64 v14, null, v12, v10, vcc_lo
	s_wait_alu 0xfffe
	v_dual_mov_b32 v24, s11 :: v_dual_mov_b32 v23, s10
	;;#ASMSTART
	global_store_b128 v[23:24], v[13:16] off scope:SCOPE_DEV	
s_wait_storecnt 0x0
	;;#ASMEND
	ds_store_b128 v16, v[9:12] offset:8448
.LBB2106_77:
	s_wait_alu 0xfffe
	s_or_b32 exec_lo, exec_lo, s4
	s_delay_alu instid0(SALU_CYCLE_1)
	s_and_b32 exec_lo, exec_lo, s2
; %bb.78:
	v_mov_b32_e32 v9, 0
	ds_store_b64 v9, v[11:12] offset:56
.LBB2106_79:
	s_wait_alu 0xfffe
	s_or_b32 exec_lo, exec_lo, s3
	v_mov_b32_e32 v9, 0
	s_wait_loadcnt_dscnt 0x0
	s_barrier_signal -1
	s_barrier_wait -1
	global_inv scope:SCOPE_SE
	ds_load_b64 v[13:14], v9 offset:56
	v_cndmask_b32_e64 v11, v35, v21, s1
	v_cndmask_b32_e64 v10, 0, v22, s1
	s_wait_loadcnt_dscnt 0x0
	s_barrier_signal -1
	s_barrier_wait -1
	v_cndmask_b32_e64 v16, v11, 0, s2
	v_cndmask_b32_e64 v15, v10, 0, s2
	global_inv scope:SCOPE_SE
	ds_load_b128 v[9:12], v9 offset:8448
	v_add_co_u32 v21, vcc_lo, v13, v16
	s_wait_alu 0xfffd
	v_add_co_ci_u32_e64 v13, null, v14, v15, vcc_lo
	s_delay_alu instid0(VALU_DEP_2) | instskip(SKIP_1) | instid1(VALU_DEP_2)
	v_add_co_u32 v15, vcc_lo, v21, v31
	s_wait_alu 0xfffd
	v_add_co_ci_u32_e64 v13, null, 0, v13, vcc_lo
	s_delay_alu instid0(VALU_DEP_2) | instskip(SKIP_1) | instid1(VALU_DEP_2)
	;; [unrolled: 4-line block ×3, first 2 shown]
	v_add_co_u32 v13, vcc_lo, v14, v32
	s_wait_alu 0xfffd
	v_add_co_ci_u32_e64 v16, null, 0, v16, vcc_lo
	s_branch .LBB2106_105
.LBB2106_80:
	s_wait_dscnt 0x0
	v_dual_mov_b32 v10, 0 :: v_dual_mov_b32 v11, v19
	v_mov_b32_dpp v12, v19 row_shr:1 row_mask:0xf bank_mask:0xf
	s_delay_alu instid0(VALU_DEP_2)
	v_mov_b32_dpp v9, v10 row_shr:1 row_mask:0xf bank_mask:0xf
	s_and_saveexec_b32 s1, s0
; %bb.81:
	s_delay_alu instid0(VALU_DEP_2) | instskip(SKIP_2) | instid1(VALU_DEP_2)
	v_add_co_u32 v11, vcc_lo, v19, v12
	s_wait_alu 0xfffd
	v_add_co_ci_u32_e64 v10, null, 0, v20, vcc_lo
	v_add_co_u32 v19, vcc_lo, 0, v11
	s_wait_alu 0xfffd
	s_delay_alu instid0(VALU_DEP_2) | instskip(NEXT) | instid1(VALU_DEP_1)
	v_add_co_ci_u32_e64 v20, null, v9, v10, vcc_lo
	v_mov_b32_e32 v10, v20
; %bb.82:
	s_wait_alu 0xfffe
	s_or_b32 exec_lo, exec_lo, s1
	v_mov_b32_dpp v9, v11 row_shr:2 row_mask:0xf bank_mask:0xf
	s_delay_alu instid0(VALU_DEP_2)
	v_mov_b32_dpp v12, v10 row_shr:2 row_mask:0xf bank_mask:0xf
	s_mov_b32 s0, exec_lo
	v_cmpx_lt_u32_e32 1, v34
; %bb.83:
	s_delay_alu instid0(VALU_DEP_3) | instskip(SKIP_2) | instid1(VALU_DEP_2)
	v_add_co_u32 v11, vcc_lo, v19, v9
	s_wait_alu 0xfffd
	v_add_co_ci_u32_e64 v10, null, 0, v20, vcc_lo
	v_add_co_u32 v9, vcc_lo, 0, v11
	s_wait_alu 0xfffd
	s_delay_alu instid0(VALU_DEP_2) | instskip(NEXT) | instid1(VALU_DEP_1)
	v_add_co_ci_u32_e64 v10, null, v12, v10, vcc_lo
	v_dual_mov_b32 v20, v10 :: v_dual_mov_b32 v19, v9
; %bb.84:
	s_wait_alu 0xfffe
	s_or_b32 exec_lo, exec_lo, s0
	v_mov_b32_dpp v9, v11 row_shr:4 row_mask:0xf bank_mask:0xf
	v_mov_b32_dpp v12, v10 row_shr:4 row_mask:0xf bank_mask:0xf
	s_mov_b32 s0, exec_lo
	v_cmpx_lt_u32_e32 3, v34
; %bb.85:
	s_delay_alu instid0(VALU_DEP_3) | instskip(SKIP_2) | instid1(VALU_DEP_2)
	v_add_co_u32 v11, vcc_lo, v19, v9
	s_wait_alu 0xfffd
	v_add_co_ci_u32_e64 v10, null, 0, v20, vcc_lo
	v_add_co_u32 v9, vcc_lo, 0, v11
	s_wait_alu 0xfffd
	s_delay_alu instid0(VALU_DEP_2) | instskip(NEXT) | instid1(VALU_DEP_1)
	v_add_co_ci_u32_e64 v10, null, v12, v10, vcc_lo
	v_dual_mov_b32 v20, v10 :: v_dual_mov_b32 v19, v9
; %bb.86:
	s_wait_alu 0xfffe
	s_or_b32 exec_lo, exec_lo, s0
	v_mov_b32_dpp v12, v11 row_shr:8 row_mask:0xf bank_mask:0xf
	v_mov_b32_dpp v9, v10 row_shr:8 row_mask:0xf bank_mask:0xf
	s_mov_b32 s0, exec_lo
	v_cmpx_lt_u32_e32 7, v34
; %bb.87:
	s_delay_alu instid0(VALU_DEP_3) | instskip(SKIP_2) | instid1(VALU_DEP_2)
	v_add_co_u32 v11, vcc_lo, v19, v12
	s_wait_alu 0xfffd
	v_add_co_ci_u32_e64 v10, null, 0, v20, vcc_lo
	v_add_co_u32 v19, vcc_lo, 0, v11
	s_wait_alu 0xfffd
	s_delay_alu instid0(VALU_DEP_2) | instskip(NEXT) | instid1(VALU_DEP_1)
	v_add_co_ci_u32_e64 v20, null, v9, v10, vcc_lo
	v_mov_b32_e32 v10, v20
; %bb.88:
	s_wait_alu 0xfffe
	s_or_b32 exec_lo, exec_lo, s0
	ds_swizzle_b32 v11, v11 offset:swizzle(BROADCAST,32,15)
	ds_swizzle_b32 v9, v10 offset:swizzle(BROADCAST,32,15)
	v_and_b32_e32 v10, 16, v33
	s_mov_b32 s0, exec_lo
	s_delay_alu instid0(VALU_DEP_1)
	v_cmpx_ne_u32_e32 0, v10
	s_cbranch_execz .LBB2106_90
; %bb.89:
	s_wait_dscnt 0x1
	v_add_co_u32 v10, vcc_lo, v19, v11
	s_wait_alu 0xfffd
	v_add_co_ci_u32_e64 v11, null, 0, v20, vcc_lo
	s_delay_alu instid0(VALU_DEP_2) | instskip(SKIP_2) | instid1(VALU_DEP_2)
	v_add_co_u32 v19, vcc_lo, v10, 0
	s_wait_dscnt 0x0
	s_wait_alu 0xfffd
	v_add_co_ci_u32_e64 v20, null, v11, v9, vcc_lo
.LBB2106_90:
	s_wait_alu 0xfffe
	s_or_b32 exec_lo, exec_lo, s0
	s_wait_dscnt 0x0
	v_or_b32_e32 v9, 31, v0
	v_lshrrev_b32_e32 v11, 5, v0
	s_mov_b32 s0, exec_lo
	s_delay_alu instid0(VALU_DEP_2)
	v_cmpx_eq_u32_e64 v0, v9
; %bb.91:
	s_delay_alu instid0(VALU_DEP_2)
	v_lshlrev_b32_e32 v9, 3, v11
	ds_store_b64 v9, v[19:20]
; %bb.92:
	s_wait_alu 0xfffe
	s_or_b32 exec_lo, exec_lo, s0
	s_delay_alu instid0(SALU_CYCLE_1)
	s_mov_b32 s0, exec_lo
	s_wait_loadcnt_dscnt 0x0
	s_barrier_signal -1
	s_barrier_wait -1
	global_inv scope:SCOPE_SE
	v_cmpx_gt_u32_e32 8, v0
	s_cbranch_execz .LBB2106_100
; %bb.93:
	v_lshlrev_b32_e32 v12, 3, v0
	s_mov_b32 s1, exec_lo
	ds_load_b64 v[9:10], v12
	s_wait_dscnt 0x0
	v_dual_mov_b32 v14, v9 :: v_dual_and_b32 v13, 7, v33
	v_mov_b32_dpp v16, v9 row_shr:1 row_mask:0xf bank_mask:0xf
	v_mov_b32_dpp v15, v10 row_shr:1 row_mask:0xf bank_mask:0xf
	s_delay_alu instid0(VALU_DEP_3)
	v_cmpx_ne_u32_e32 0, v13
; %bb.94:
	s_delay_alu instid0(VALU_DEP_3) | instskip(SKIP_2) | instid1(VALU_DEP_2)
	v_add_co_u32 v14, vcc_lo, v9, v16
	s_wait_alu 0xfffd
	v_add_co_ci_u32_e64 v10, null, 0, v10, vcc_lo
	v_add_co_u32 v9, vcc_lo, 0, v14
	s_wait_alu 0xfffd
	s_delay_alu instid0(VALU_DEP_2)
	v_add_co_ci_u32_e64 v10, null, v15, v10, vcc_lo
; %bb.95:
	s_wait_alu 0xfffe
	s_or_b32 exec_lo, exec_lo, s1
	v_mov_b32_dpp v16, v14 row_shr:2 row_mask:0xf bank_mask:0xf
	s_delay_alu instid0(VALU_DEP_2)
	v_mov_b32_dpp v15, v10 row_shr:2 row_mask:0xf bank_mask:0xf
	s_mov_b32 s1, exec_lo
	v_cmpx_lt_u32_e32 1, v13
; %bb.96:
	s_delay_alu instid0(VALU_DEP_3) | instskip(SKIP_2) | instid1(VALU_DEP_2)
	v_add_co_u32 v14, vcc_lo, v9, v16
	s_wait_alu 0xfffd
	v_add_co_ci_u32_e64 v10, null, 0, v10, vcc_lo
	v_add_co_u32 v9, vcc_lo, 0, v14
	s_wait_alu 0xfffd
	s_delay_alu instid0(VALU_DEP_2)
	v_add_co_ci_u32_e64 v10, null, v15, v10, vcc_lo
; %bb.97:
	s_wait_alu 0xfffe
	s_or_b32 exec_lo, exec_lo, s1
	v_mov_b32_dpp v15, v14 row_shr:4 row_mask:0xf bank_mask:0xf
	s_delay_alu instid0(VALU_DEP_2)
	v_mov_b32_dpp v14, v10 row_shr:4 row_mask:0xf bank_mask:0xf
	s_mov_b32 s1, exec_lo
	v_cmpx_lt_u32_e32 3, v13
; %bb.98:
	s_delay_alu instid0(VALU_DEP_3) | instskip(SKIP_2) | instid1(VALU_DEP_2)
	v_add_co_u32 v9, vcc_lo, v9, v15
	s_wait_alu 0xfffd
	v_add_co_ci_u32_e64 v10, null, 0, v10, vcc_lo
	v_add_co_u32 v9, vcc_lo, v9, 0
	s_wait_alu 0xfffd
	s_delay_alu instid0(VALU_DEP_2)
	v_add_co_ci_u32_e64 v10, null, v10, v14, vcc_lo
; %bb.99:
	s_wait_alu 0xfffe
	s_or_b32 exec_lo, exec_lo, s1
	ds_store_b64 v12, v[9:10]
.LBB2106_100:
	s_wait_alu 0xfffe
	s_or_b32 exec_lo, exec_lo, s0
	v_mov_b32_e32 v13, 0
	v_mov_b32_e32 v14, 0
	s_mov_b32 s0, exec_lo
	s_wait_loadcnt_dscnt 0x0
	s_barrier_signal -1
	s_barrier_wait -1
	global_inv scope:SCOPE_SE
	v_cmpx_lt_u32_e32 31, v0
; %bb.101:
	v_lshl_add_u32 v0, v11, 3, -8
	ds_load_b64 v[13:14], v0
; %bb.102:
	s_wait_alu 0xfffe
	s_or_b32 exec_lo, exec_lo, s0
	v_sub_co_u32 v0, vcc_lo, v33, 1
	s_wait_dscnt 0x0
	v_dual_mov_b32 v12, 0 :: v_dual_add_nc_u32 v9, v13, v19
	s_delay_alu instid0(VALU_DEP_2) | instskip(SKIP_1) | instid1(VALU_DEP_1)
	v_cmp_gt_i32_e64 s0, 0, v0
	s_wait_alu 0xf1ff
	v_cndmask_b32_e64 v0, v0, v33, s0
	s_delay_alu instid0(VALU_DEP_1)
	v_lshlrev_b32_e32 v0, 2, v0
	ds_bpermute_b32 v0, v0, v9
	ds_load_b64 v[9:10], v12 offset:56
	s_and_saveexec_b32 s0, s2
	s_cbranch_execz .LBB2106_104
; %bb.103:
	s_add_nc_u64 s[4:5], s[12:13], 0x200
	s_wait_alu 0xfffe
	v_dual_mov_b32 v11, 2 :: v_dual_mov_b32 v16, s5
	v_mov_b32_e32 v15, s4
	s_wait_dscnt 0x0
	;;#ASMSTART
	global_store_b128 v[15:16], v[9:12] off scope:SCOPE_DEV	
s_wait_storecnt 0x0
	;;#ASMEND
.LBB2106_104:
	s_wait_alu 0xfffe
	s_or_b32 exec_lo, exec_lo, s0
	s_wait_dscnt 0x1
	s_wait_alu 0xfffd
	v_dual_cndmask_b32 v0, v0, v13 :: v_dual_cndmask_b32 v11, 0, v14
	s_wait_loadcnt_dscnt 0x0
	s_barrier_signal -1
	s_barrier_wait -1
	s_delay_alu instid0(VALU_DEP_1)
	v_cndmask_b32_e64 v21, v0, 0, s2
	v_cndmask_b32_e64 v0, v11, 0, s2
	v_mov_b32_e32 v11, 0
	v_mov_b32_e32 v12, 0
	global_inv scope:SCOPE_SE
	v_add_co_u32 v15, vcc_lo, v21, v31
	s_wait_alu 0xfffd
	v_add_co_ci_u32_e64 v0, null, 0, v0, vcc_lo
	s_delay_alu instid0(VALU_DEP_2) | instskip(SKIP_1) | instid1(VALU_DEP_2)
	v_add_co_u32 v14, vcc_lo, v15, v30
	s_wait_alu 0xfffd
	v_add_co_ci_u32_e64 v0, null, 0, v0, vcc_lo
	s_delay_alu instid0(VALU_DEP_2) | instskip(SKIP_1) | instid1(VALU_DEP_2)
	v_add_co_u32 v13, vcc_lo, v14, v32
	s_wait_alu 0xfffd
	v_add_co_ci_u32_e64 v0, null, 0, v0, vcc_lo
.LBB2106_105:
	s_wait_dscnt 0x0
	v_cmp_gt_u64_e32 vcc_lo, 0x101, v[9:10]
	s_cbranch_vccz .LBB2106_108
; %bb.106:
	s_and_b32 s0, s2, s6
	s_wait_alu 0xfffe
	s_and_saveexec_b32 s1, s0
	s_cbranch_execnz .LBB2106_117
.LBB2106_107:
	s_endpgm
.LBB2106_108:
	v_and_b32_e32 v0, 1, v29
	s_mov_b32 s0, exec_lo
	s_delay_alu instid0(VALU_DEP_1)
	v_cmpx_eq_u32_e32 1, v0
; %bb.109:
	v_sub_nc_u32_e32 v0, v21, v11
	s_delay_alu instid0(VALU_DEP_1)
	v_lshlrev_b32_e32 v0, 3, v0
	ds_store_b64 v0, v[1:2]
; %bb.110:
	s_wait_alu 0xfffe
	s_or_b32 exec_lo, exec_lo, s0
	v_and_b32_e32 v0, 1, v28
	s_mov_b32 s0, exec_lo
	s_delay_alu instid0(VALU_DEP_1)
	v_cmpx_eq_u32_e32 1, v0
; %bb.111:
	v_sub_nc_u32_e32 v0, v15, v11
	s_delay_alu instid0(VALU_DEP_1)
	v_lshlrev_b32_e32 v0, 3, v0
	ds_store_b64 v0, v[5:6]
; %bb.112:
	s_wait_alu 0xfffe
	s_or_b32 exec_lo, exec_lo, s0
	;; [unrolled: 12-line block ×3, first 2 shown]
	s_and_saveexec_b32 s0, s7
; %bb.115:
	v_sub_nc_u32_e32 v0, v13, v11
	s_delay_alu instid0(VALU_DEP_1)
	v_lshlrev_b32_e32 v0, 3, v0
	ds_store_b64 v0, v[3:4]
; %bb.116:
	s_wait_alu 0xfffe
	s_or_b32 exec_lo, exec_lo, s0
	s_wait_loadcnt_dscnt 0x0
	s_barrier_signal -1
	s_barrier_wait -1
	global_inv scope:SCOPE_SE
	s_and_b32 s0, s2, s6
	s_wait_alu 0xfffe
	s_and_saveexec_b32 s1, s0
	s_cbranch_execz .LBB2106_107
.LBB2106_117:
	v_add_co_u32 v0, vcc_lo, v9, v17
	s_wait_alu 0xfffd
	v_add_co_ci_u32_e64 v1, null, v10, v18, vcc_lo
	v_mov_b32_e32 v2, 0
	s_delay_alu instid0(VALU_DEP_3) | instskip(SKIP_1) | instid1(VALU_DEP_3)
	v_add_co_u32 v0, vcc_lo, v0, v11
	s_wait_alu 0xfffd
	v_add_co_ci_u32_e64 v1, null, v1, v12, vcc_lo
	global_store_b64 v2, v[0:1], s[8:9]
	s_endpgm
.LBB2106_118:
	v_dual_mov_b32 v21, v1 :: v_dual_lshlrev_b32 v2, 3, v0
	v_dual_mov_b32 v22, v1 :: v_dual_mov_b32 v23, v1
	v_dual_mov_b32 v24, v1 :: v_dual_mov_b32 v25, v1
	s_delay_alu instid0(VALU_DEP_3)
	v_add_co_u32 v2, vcc_lo, v13, v2
	s_wait_alu 0xfffd
	v_add_co_ci_u32_e64 v3, null, 0, v14, vcc_lo
	v_mov_b32_e32 v26, v1
	flat_load_b64 v[19:20], v[2:3]
	s_wait_loadcnt_dscnt 0x0
	v_dual_mov_b32 v1, v19 :: v_dual_mov_b32 v2, v20
	v_dual_mov_b32 v3, v21 :: v_dual_mov_b32 v4, v22
	;; [unrolled: 1-line block ×4, first 2 shown]
	s_or_b32 exec_lo, exec_lo, s0
	s_delay_alu instid0(SALU_CYCLE_1)
	s_mov_b32 s0, exec_lo
	v_cmpx_gt_u32_e64 s11, v12
	s_cbranch_execz .LBB2106_9
.LBB2106_119:
	v_lshlrev_b32_e32 v3, 3, v0
	s_delay_alu instid0(VALU_DEP_1) | instskip(SKIP_4) | instid1(SALU_CYCLE_1)
	v_add_co_u32 v3, vcc_lo, v13, v3
	s_wait_alu 0xfffd
	v_add_co_ci_u32_e64 v4, null, 0, v14, vcc_lo
	flat_load_b64 v[3:4], v[3:4] offset:2048
	s_or_b32 exec_lo, exec_lo, s0
	s_mov_b32 s0, exec_lo
	v_cmpx_gt_u32_e64 s11, v11
	s_cbranch_execz .LBB2106_10
.LBB2106_120:
	v_lshlrev_b32_e32 v5, 3, v0
	s_delay_alu instid0(VALU_DEP_1) | instskip(SKIP_4) | instid1(SALU_CYCLE_1)
	v_add_co_u32 v5, vcc_lo, v13, v5
	s_wait_alu 0xfffd
	v_add_co_ci_u32_e64 v6, null, 0, v14, vcc_lo
	flat_load_b64 v[5:6], v[5:6] offset:4096
	s_or_b32 exec_lo, exec_lo, s0
	s_mov_b32 s0, exec_lo
	v_cmpx_gt_u32_e64 s11, v10
	s_cbranch_execnz .LBB2106_11
	s_branch .LBB2106_12
	.section	.rodata,"a",@progbits
	.p2align	6, 0x0
	.amdhsa_kernel _ZN7rocprim17ROCPRIM_400000_NS6detail17trampoline_kernelINS0_14default_configENS1_25partition_config_selectorILNS1_17partition_subalgoE6EdNS0_10empty_typeEbEEZZNS1_14partition_implILS5_6ELb0ES3_mN6thrust23THRUST_200600_302600_NS6detail15normal_iteratorINSA_10device_ptrIdEEEEPS6_SG_NS0_5tupleIJNSA_16discard_iteratorINSA_11use_defaultEEES6_EEENSH_IJSG_SG_EEES6_PlJNSB_9not_fun_tI7is_trueIdEEEEEE10hipError_tPvRmT3_T4_T5_T6_T7_T9_mT8_P12ihipStream_tbDpT10_ENKUlT_T0_E_clISt17integral_constantIbLb0EES1A_IbLb1EEEEDaS16_S17_EUlS16_E_NS1_11comp_targetILNS1_3genE10ELNS1_11target_archE1200ELNS1_3gpuE4ELNS1_3repE0EEENS1_30default_config_static_selectorELNS0_4arch9wavefront6targetE0EEEvT1_
		.amdhsa_group_segment_fixed_size 8464
		.amdhsa_private_segment_fixed_size 0
		.amdhsa_kernarg_size 136
		.amdhsa_user_sgpr_count 2
		.amdhsa_user_sgpr_dispatch_ptr 0
		.amdhsa_user_sgpr_queue_ptr 0
		.amdhsa_user_sgpr_kernarg_segment_ptr 1
		.amdhsa_user_sgpr_dispatch_id 0
		.amdhsa_user_sgpr_private_segment_size 0
		.amdhsa_wavefront_size32 1
		.amdhsa_uses_dynamic_stack 0
		.amdhsa_enable_private_segment 0
		.amdhsa_system_sgpr_workgroup_id_x 1
		.amdhsa_system_sgpr_workgroup_id_y 0
		.amdhsa_system_sgpr_workgroup_id_z 0
		.amdhsa_system_sgpr_workgroup_info 0
		.amdhsa_system_vgpr_workitem_id 0
		.amdhsa_next_free_vgpr 47
		.amdhsa_next_free_sgpr 20
		.amdhsa_reserve_vcc 1
		.amdhsa_float_round_mode_32 0
		.amdhsa_float_round_mode_16_64 0
		.amdhsa_float_denorm_mode_32 3
		.amdhsa_float_denorm_mode_16_64 3
		.amdhsa_fp16_overflow 0
		.amdhsa_workgroup_processor_mode 1
		.amdhsa_memory_ordered 1
		.amdhsa_forward_progress 1
		.amdhsa_inst_pref_size 47
		.amdhsa_round_robin_scheduling 0
		.amdhsa_exception_fp_ieee_invalid_op 0
		.amdhsa_exception_fp_denorm_src 0
		.amdhsa_exception_fp_ieee_div_zero 0
		.amdhsa_exception_fp_ieee_overflow 0
		.amdhsa_exception_fp_ieee_underflow 0
		.amdhsa_exception_fp_ieee_inexact 0
		.amdhsa_exception_int_div_zero 0
	.end_amdhsa_kernel
	.section	.text._ZN7rocprim17ROCPRIM_400000_NS6detail17trampoline_kernelINS0_14default_configENS1_25partition_config_selectorILNS1_17partition_subalgoE6EdNS0_10empty_typeEbEEZZNS1_14partition_implILS5_6ELb0ES3_mN6thrust23THRUST_200600_302600_NS6detail15normal_iteratorINSA_10device_ptrIdEEEEPS6_SG_NS0_5tupleIJNSA_16discard_iteratorINSA_11use_defaultEEES6_EEENSH_IJSG_SG_EEES6_PlJNSB_9not_fun_tI7is_trueIdEEEEEE10hipError_tPvRmT3_T4_T5_T6_T7_T9_mT8_P12ihipStream_tbDpT10_ENKUlT_T0_E_clISt17integral_constantIbLb0EES1A_IbLb1EEEEDaS16_S17_EUlS16_E_NS1_11comp_targetILNS1_3genE10ELNS1_11target_archE1200ELNS1_3gpuE4ELNS1_3repE0EEENS1_30default_config_static_selectorELNS0_4arch9wavefront6targetE0EEEvT1_,"axG",@progbits,_ZN7rocprim17ROCPRIM_400000_NS6detail17trampoline_kernelINS0_14default_configENS1_25partition_config_selectorILNS1_17partition_subalgoE6EdNS0_10empty_typeEbEEZZNS1_14partition_implILS5_6ELb0ES3_mN6thrust23THRUST_200600_302600_NS6detail15normal_iteratorINSA_10device_ptrIdEEEEPS6_SG_NS0_5tupleIJNSA_16discard_iteratorINSA_11use_defaultEEES6_EEENSH_IJSG_SG_EEES6_PlJNSB_9not_fun_tI7is_trueIdEEEEEE10hipError_tPvRmT3_T4_T5_T6_T7_T9_mT8_P12ihipStream_tbDpT10_ENKUlT_T0_E_clISt17integral_constantIbLb0EES1A_IbLb1EEEEDaS16_S17_EUlS16_E_NS1_11comp_targetILNS1_3genE10ELNS1_11target_archE1200ELNS1_3gpuE4ELNS1_3repE0EEENS1_30default_config_static_selectorELNS0_4arch9wavefront6targetE0EEEvT1_,comdat
.Lfunc_end2106:
	.size	_ZN7rocprim17ROCPRIM_400000_NS6detail17trampoline_kernelINS0_14default_configENS1_25partition_config_selectorILNS1_17partition_subalgoE6EdNS0_10empty_typeEbEEZZNS1_14partition_implILS5_6ELb0ES3_mN6thrust23THRUST_200600_302600_NS6detail15normal_iteratorINSA_10device_ptrIdEEEEPS6_SG_NS0_5tupleIJNSA_16discard_iteratorINSA_11use_defaultEEES6_EEENSH_IJSG_SG_EEES6_PlJNSB_9not_fun_tI7is_trueIdEEEEEE10hipError_tPvRmT3_T4_T5_T6_T7_T9_mT8_P12ihipStream_tbDpT10_ENKUlT_T0_E_clISt17integral_constantIbLb0EES1A_IbLb1EEEEDaS16_S17_EUlS16_E_NS1_11comp_targetILNS1_3genE10ELNS1_11target_archE1200ELNS1_3gpuE4ELNS1_3repE0EEENS1_30default_config_static_selectorELNS0_4arch9wavefront6targetE0EEEvT1_, .Lfunc_end2106-_ZN7rocprim17ROCPRIM_400000_NS6detail17trampoline_kernelINS0_14default_configENS1_25partition_config_selectorILNS1_17partition_subalgoE6EdNS0_10empty_typeEbEEZZNS1_14partition_implILS5_6ELb0ES3_mN6thrust23THRUST_200600_302600_NS6detail15normal_iteratorINSA_10device_ptrIdEEEEPS6_SG_NS0_5tupleIJNSA_16discard_iteratorINSA_11use_defaultEEES6_EEENSH_IJSG_SG_EEES6_PlJNSB_9not_fun_tI7is_trueIdEEEEEE10hipError_tPvRmT3_T4_T5_T6_T7_T9_mT8_P12ihipStream_tbDpT10_ENKUlT_T0_E_clISt17integral_constantIbLb0EES1A_IbLb1EEEEDaS16_S17_EUlS16_E_NS1_11comp_targetILNS1_3genE10ELNS1_11target_archE1200ELNS1_3gpuE4ELNS1_3repE0EEENS1_30default_config_static_selectorELNS0_4arch9wavefront6targetE0EEEvT1_
                                        ; -- End function
	.set _ZN7rocprim17ROCPRIM_400000_NS6detail17trampoline_kernelINS0_14default_configENS1_25partition_config_selectorILNS1_17partition_subalgoE6EdNS0_10empty_typeEbEEZZNS1_14partition_implILS5_6ELb0ES3_mN6thrust23THRUST_200600_302600_NS6detail15normal_iteratorINSA_10device_ptrIdEEEEPS6_SG_NS0_5tupleIJNSA_16discard_iteratorINSA_11use_defaultEEES6_EEENSH_IJSG_SG_EEES6_PlJNSB_9not_fun_tI7is_trueIdEEEEEE10hipError_tPvRmT3_T4_T5_T6_T7_T9_mT8_P12ihipStream_tbDpT10_ENKUlT_T0_E_clISt17integral_constantIbLb0EES1A_IbLb1EEEEDaS16_S17_EUlS16_E_NS1_11comp_targetILNS1_3genE10ELNS1_11target_archE1200ELNS1_3gpuE4ELNS1_3repE0EEENS1_30default_config_static_selectorELNS0_4arch9wavefront6targetE0EEEvT1_.num_vgpr, 47
	.set _ZN7rocprim17ROCPRIM_400000_NS6detail17trampoline_kernelINS0_14default_configENS1_25partition_config_selectorILNS1_17partition_subalgoE6EdNS0_10empty_typeEbEEZZNS1_14partition_implILS5_6ELb0ES3_mN6thrust23THRUST_200600_302600_NS6detail15normal_iteratorINSA_10device_ptrIdEEEEPS6_SG_NS0_5tupleIJNSA_16discard_iteratorINSA_11use_defaultEEES6_EEENSH_IJSG_SG_EEES6_PlJNSB_9not_fun_tI7is_trueIdEEEEEE10hipError_tPvRmT3_T4_T5_T6_T7_T9_mT8_P12ihipStream_tbDpT10_ENKUlT_T0_E_clISt17integral_constantIbLb0EES1A_IbLb1EEEEDaS16_S17_EUlS16_E_NS1_11comp_targetILNS1_3genE10ELNS1_11target_archE1200ELNS1_3gpuE4ELNS1_3repE0EEENS1_30default_config_static_selectorELNS0_4arch9wavefront6targetE0EEEvT1_.num_agpr, 0
	.set _ZN7rocprim17ROCPRIM_400000_NS6detail17trampoline_kernelINS0_14default_configENS1_25partition_config_selectorILNS1_17partition_subalgoE6EdNS0_10empty_typeEbEEZZNS1_14partition_implILS5_6ELb0ES3_mN6thrust23THRUST_200600_302600_NS6detail15normal_iteratorINSA_10device_ptrIdEEEEPS6_SG_NS0_5tupleIJNSA_16discard_iteratorINSA_11use_defaultEEES6_EEENSH_IJSG_SG_EEES6_PlJNSB_9not_fun_tI7is_trueIdEEEEEE10hipError_tPvRmT3_T4_T5_T6_T7_T9_mT8_P12ihipStream_tbDpT10_ENKUlT_T0_E_clISt17integral_constantIbLb0EES1A_IbLb1EEEEDaS16_S17_EUlS16_E_NS1_11comp_targetILNS1_3genE10ELNS1_11target_archE1200ELNS1_3gpuE4ELNS1_3repE0EEENS1_30default_config_static_selectorELNS0_4arch9wavefront6targetE0EEEvT1_.numbered_sgpr, 20
	.set _ZN7rocprim17ROCPRIM_400000_NS6detail17trampoline_kernelINS0_14default_configENS1_25partition_config_selectorILNS1_17partition_subalgoE6EdNS0_10empty_typeEbEEZZNS1_14partition_implILS5_6ELb0ES3_mN6thrust23THRUST_200600_302600_NS6detail15normal_iteratorINSA_10device_ptrIdEEEEPS6_SG_NS0_5tupleIJNSA_16discard_iteratorINSA_11use_defaultEEES6_EEENSH_IJSG_SG_EEES6_PlJNSB_9not_fun_tI7is_trueIdEEEEEE10hipError_tPvRmT3_T4_T5_T6_T7_T9_mT8_P12ihipStream_tbDpT10_ENKUlT_T0_E_clISt17integral_constantIbLb0EES1A_IbLb1EEEEDaS16_S17_EUlS16_E_NS1_11comp_targetILNS1_3genE10ELNS1_11target_archE1200ELNS1_3gpuE4ELNS1_3repE0EEENS1_30default_config_static_selectorELNS0_4arch9wavefront6targetE0EEEvT1_.num_named_barrier, 0
	.set _ZN7rocprim17ROCPRIM_400000_NS6detail17trampoline_kernelINS0_14default_configENS1_25partition_config_selectorILNS1_17partition_subalgoE6EdNS0_10empty_typeEbEEZZNS1_14partition_implILS5_6ELb0ES3_mN6thrust23THRUST_200600_302600_NS6detail15normal_iteratorINSA_10device_ptrIdEEEEPS6_SG_NS0_5tupleIJNSA_16discard_iteratorINSA_11use_defaultEEES6_EEENSH_IJSG_SG_EEES6_PlJNSB_9not_fun_tI7is_trueIdEEEEEE10hipError_tPvRmT3_T4_T5_T6_T7_T9_mT8_P12ihipStream_tbDpT10_ENKUlT_T0_E_clISt17integral_constantIbLb0EES1A_IbLb1EEEEDaS16_S17_EUlS16_E_NS1_11comp_targetILNS1_3genE10ELNS1_11target_archE1200ELNS1_3gpuE4ELNS1_3repE0EEENS1_30default_config_static_selectorELNS0_4arch9wavefront6targetE0EEEvT1_.private_seg_size, 0
	.set _ZN7rocprim17ROCPRIM_400000_NS6detail17trampoline_kernelINS0_14default_configENS1_25partition_config_selectorILNS1_17partition_subalgoE6EdNS0_10empty_typeEbEEZZNS1_14partition_implILS5_6ELb0ES3_mN6thrust23THRUST_200600_302600_NS6detail15normal_iteratorINSA_10device_ptrIdEEEEPS6_SG_NS0_5tupleIJNSA_16discard_iteratorINSA_11use_defaultEEES6_EEENSH_IJSG_SG_EEES6_PlJNSB_9not_fun_tI7is_trueIdEEEEEE10hipError_tPvRmT3_T4_T5_T6_T7_T9_mT8_P12ihipStream_tbDpT10_ENKUlT_T0_E_clISt17integral_constantIbLb0EES1A_IbLb1EEEEDaS16_S17_EUlS16_E_NS1_11comp_targetILNS1_3genE10ELNS1_11target_archE1200ELNS1_3gpuE4ELNS1_3repE0EEENS1_30default_config_static_selectorELNS0_4arch9wavefront6targetE0EEEvT1_.uses_vcc, 1
	.set _ZN7rocprim17ROCPRIM_400000_NS6detail17trampoline_kernelINS0_14default_configENS1_25partition_config_selectorILNS1_17partition_subalgoE6EdNS0_10empty_typeEbEEZZNS1_14partition_implILS5_6ELb0ES3_mN6thrust23THRUST_200600_302600_NS6detail15normal_iteratorINSA_10device_ptrIdEEEEPS6_SG_NS0_5tupleIJNSA_16discard_iteratorINSA_11use_defaultEEES6_EEENSH_IJSG_SG_EEES6_PlJNSB_9not_fun_tI7is_trueIdEEEEEE10hipError_tPvRmT3_T4_T5_T6_T7_T9_mT8_P12ihipStream_tbDpT10_ENKUlT_T0_E_clISt17integral_constantIbLb0EES1A_IbLb1EEEEDaS16_S17_EUlS16_E_NS1_11comp_targetILNS1_3genE10ELNS1_11target_archE1200ELNS1_3gpuE4ELNS1_3repE0EEENS1_30default_config_static_selectorELNS0_4arch9wavefront6targetE0EEEvT1_.uses_flat_scratch, 1
	.set _ZN7rocprim17ROCPRIM_400000_NS6detail17trampoline_kernelINS0_14default_configENS1_25partition_config_selectorILNS1_17partition_subalgoE6EdNS0_10empty_typeEbEEZZNS1_14partition_implILS5_6ELb0ES3_mN6thrust23THRUST_200600_302600_NS6detail15normal_iteratorINSA_10device_ptrIdEEEEPS6_SG_NS0_5tupleIJNSA_16discard_iteratorINSA_11use_defaultEEES6_EEENSH_IJSG_SG_EEES6_PlJNSB_9not_fun_tI7is_trueIdEEEEEE10hipError_tPvRmT3_T4_T5_T6_T7_T9_mT8_P12ihipStream_tbDpT10_ENKUlT_T0_E_clISt17integral_constantIbLb0EES1A_IbLb1EEEEDaS16_S17_EUlS16_E_NS1_11comp_targetILNS1_3genE10ELNS1_11target_archE1200ELNS1_3gpuE4ELNS1_3repE0EEENS1_30default_config_static_selectorELNS0_4arch9wavefront6targetE0EEEvT1_.has_dyn_sized_stack, 0
	.set _ZN7rocprim17ROCPRIM_400000_NS6detail17trampoline_kernelINS0_14default_configENS1_25partition_config_selectorILNS1_17partition_subalgoE6EdNS0_10empty_typeEbEEZZNS1_14partition_implILS5_6ELb0ES3_mN6thrust23THRUST_200600_302600_NS6detail15normal_iteratorINSA_10device_ptrIdEEEEPS6_SG_NS0_5tupleIJNSA_16discard_iteratorINSA_11use_defaultEEES6_EEENSH_IJSG_SG_EEES6_PlJNSB_9not_fun_tI7is_trueIdEEEEEE10hipError_tPvRmT3_T4_T5_T6_T7_T9_mT8_P12ihipStream_tbDpT10_ENKUlT_T0_E_clISt17integral_constantIbLb0EES1A_IbLb1EEEEDaS16_S17_EUlS16_E_NS1_11comp_targetILNS1_3genE10ELNS1_11target_archE1200ELNS1_3gpuE4ELNS1_3repE0EEENS1_30default_config_static_selectorELNS0_4arch9wavefront6targetE0EEEvT1_.has_recursion, 0
	.set _ZN7rocprim17ROCPRIM_400000_NS6detail17trampoline_kernelINS0_14default_configENS1_25partition_config_selectorILNS1_17partition_subalgoE6EdNS0_10empty_typeEbEEZZNS1_14partition_implILS5_6ELb0ES3_mN6thrust23THRUST_200600_302600_NS6detail15normal_iteratorINSA_10device_ptrIdEEEEPS6_SG_NS0_5tupleIJNSA_16discard_iteratorINSA_11use_defaultEEES6_EEENSH_IJSG_SG_EEES6_PlJNSB_9not_fun_tI7is_trueIdEEEEEE10hipError_tPvRmT3_T4_T5_T6_T7_T9_mT8_P12ihipStream_tbDpT10_ENKUlT_T0_E_clISt17integral_constantIbLb0EES1A_IbLb1EEEEDaS16_S17_EUlS16_E_NS1_11comp_targetILNS1_3genE10ELNS1_11target_archE1200ELNS1_3gpuE4ELNS1_3repE0EEENS1_30default_config_static_selectorELNS0_4arch9wavefront6targetE0EEEvT1_.has_indirect_call, 0
	.section	.AMDGPU.csdata,"",@progbits
; Kernel info:
; codeLenInByte = 5912
; TotalNumSgprs: 22
; NumVgprs: 47
; ScratchSize: 0
; MemoryBound: 0
; FloatMode: 240
; IeeeMode: 1
; LDSByteSize: 8464 bytes/workgroup (compile time only)
; SGPRBlocks: 0
; VGPRBlocks: 5
; NumSGPRsForWavesPerEU: 22
; NumVGPRsForWavesPerEU: 47
; Occupancy: 16
; WaveLimiterHint : 1
; COMPUTE_PGM_RSRC2:SCRATCH_EN: 0
; COMPUTE_PGM_RSRC2:USER_SGPR: 2
; COMPUTE_PGM_RSRC2:TRAP_HANDLER: 0
; COMPUTE_PGM_RSRC2:TGID_X_EN: 1
; COMPUTE_PGM_RSRC2:TGID_Y_EN: 0
; COMPUTE_PGM_RSRC2:TGID_Z_EN: 0
; COMPUTE_PGM_RSRC2:TIDIG_COMP_CNT: 0
	.section	.text._ZN7rocprim17ROCPRIM_400000_NS6detail17trampoline_kernelINS0_14default_configENS1_25partition_config_selectorILNS1_17partition_subalgoE6EdNS0_10empty_typeEbEEZZNS1_14partition_implILS5_6ELb0ES3_mN6thrust23THRUST_200600_302600_NS6detail15normal_iteratorINSA_10device_ptrIdEEEEPS6_SG_NS0_5tupleIJNSA_16discard_iteratorINSA_11use_defaultEEES6_EEENSH_IJSG_SG_EEES6_PlJNSB_9not_fun_tI7is_trueIdEEEEEE10hipError_tPvRmT3_T4_T5_T6_T7_T9_mT8_P12ihipStream_tbDpT10_ENKUlT_T0_E_clISt17integral_constantIbLb0EES1A_IbLb1EEEEDaS16_S17_EUlS16_E_NS1_11comp_targetILNS1_3genE9ELNS1_11target_archE1100ELNS1_3gpuE3ELNS1_3repE0EEENS1_30default_config_static_selectorELNS0_4arch9wavefront6targetE0EEEvT1_,"axG",@progbits,_ZN7rocprim17ROCPRIM_400000_NS6detail17trampoline_kernelINS0_14default_configENS1_25partition_config_selectorILNS1_17partition_subalgoE6EdNS0_10empty_typeEbEEZZNS1_14partition_implILS5_6ELb0ES3_mN6thrust23THRUST_200600_302600_NS6detail15normal_iteratorINSA_10device_ptrIdEEEEPS6_SG_NS0_5tupleIJNSA_16discard_iteratorINSA_11use_defaultEEES6_EEENSH_IJSG_SG_EEES6_PlJNSB_9not_fun_tI7is_trueIdEEEEEE10hipError_tPvRmT3_T4_T5_T6_T7_T9_mT8_P12ihipStream_tbDpT10_ENKUlT_T0_E_clISt17integral_constantIbLb0EES1A_IbLb1EEEEDaS16_S17_EUlS16_E_NS1_11comp_targetILNS1_3genE9ELNS1_11target_archE1100ELNS1_3gpuE3ELNS1_3repE0EEENS1_30default_config_static_selectorELNS0_4arch9wavefront6targetE0EEEvT1_,comdat
	.protected	_ZN7rocprim17ROCPRIM_400000_NS6detail17trampoline_kernelINS0_14default_configENS1_25partition_config_selectorILNS1_17partition_subalgoE6EdNS0_10empty_typeEbEEZZNS1_14partition_implILS5_6ELb0ES3_mN6thrust23THRUST_200600_302600_NS6detail15normal_iteratorINSA_10device_ptrIdEEEEPS6_SG_NS0_5tupleIJNSA_16discard_iteratorINSA_11use_defaultEEES6_EEENSH_IJSG_SG_EEES6_PlJNSB_9not_fun_tI7is_trueIdEEEEEE10hipError_tPvRmT3_T4_T5_T6_T7_T9_mT8_P12ihipStream_tbDpT10_ENKUlT_T0_E_clISt17integral_constantIbLb0EES1A_IbLb1EEEEDaS16_S17_EUlS16_E_NS1_11comp_targetILNS1_3genE9ELNS1_11target_archE1100ELNS1_3gpuE3ELNS1_3repE0EEENS1_30default_config_static_selectorELNS0_4arch9wavefront6targetE0EEEvT1_ ; -- Begin function _ZN7rocprim17ROCPRIM_400000_NS6detail17trampoline_kernelINS0_14default_configENS1_25partition_config_selectorILNS1_17partition_subalgoE6EdNS0_10empty_typeEbEEZZNS1_14partition_implILS5_6ELb0ES3_mN6thrust23THRUST_200600_302600_NS6detail15normal_iteratorINSA_10device_ptrIdEEEEPS6_SG_NS0_5tupleIJNSA_16discard_iteratorINSA_11use_defaultEEES6_EEENSH_IJSG_SG_EEES6_PlJNSB_9not_fun_tI7is_trueIdEEEEEE10hipError_tPvRmT3_T4_T5_T6_T7_T9_mT8_P12ihipStream_tbDpT10_ENKUlT_T0_E_clISt17integral_constantIbLb0EES1A_IbLb1EEEEDaS16_S17_EUlS16_E_NS1_11comp_targetILNS1_3genE9ELNS1_11target_archE1100ELNS1_3gpuE3ELNS1_3repE0EEENS1_30default_config_static_selectorELNS0_4arch9wavefront6targetE0EEEvT1_
	.globl	_ZN7rocprim17ROCPRIM_400000_NS6detail17trampoline_kernelINS0_14default_configENS1_25partition_config_selectorILNS1_17partition_subalgoE6EdNS0_10empty_typeEbEEZZNS1_14partition_implILS5_6ELb0ES3_mN6thrust23THRUST_200600_302600_NS6detail15normal_iteratorINSA_10device_ptrIdEEEEPS6_SG_NS0_5tupleIJNSA_16discard_iteratorINSA_11use_defaultEEES6_EEENSH_IJSG_SG_EEES6_PlJNSB_9not_fun_tI7is_trueIdEEEEEE10hipError_tPvRmT3_T4_T5_T6_T7_T9_mT8_P12ihipStream_tbDpT10_ENKUlT_T0_E_clISt17integral_constantIbLb0EES1A_IbLb1EEEEDaS16_S17_EUlS16_E_NS1_11comp_targetILNS1_3genE9ELNS1_11target_archE1100ELNS1_3gpuE3ELNS1_3repE0EEENS1_30default_config_static_selectorELNS0_4arch9wavefront6targetE0EEEvT1_
	.p2align	8
	.type	_ZN7rocprim17ROCPRIM_400000_NS6detail17trampoline_kernelINS0_14default_configENS1_25partition_config_selectorILNS1_17partition_subalgoE6EdNS0_10empty_typeEbEEZZNS1_14partition_implILS5_6ELb0ES3_mN6thrust23THRUST_200600_302600_NS6detail15normal_iteratorINSA_10device_ptrIdEEEEPS6_SG_NS0_5tupleIJNSA_16discard_iteratorINSA_11use_defaultEEES6_EEENSH_IJSG_SG_EEES6_PlJNSB_9not_fun_tI7is_trueIdEEEEEE10hipError_tPvRmT3_T4_T5_T6_T7_T9_mT8_P12ihipStream_tbDpT10_ENKUlT_T0_E_clISt17integral_constantIbLb0EES1A_IbLb1EEEEDaS16_S17_EUlS16_E_NS1_11comp_targetILNS1_3genE9ELNS1_11target_archE1100ELNS1_3gpuE3ELNS1_3repE0EEENS1_30default_config_static_selectorELNS0_4arch9wavefront6targetE0EEEvT1_,@function
_ZN7rocprim17ROCPRIM_400000_NS6detail17trampoline_kernelINS0_14default_configENS1_25partition_config_selectorILNS1_17partition_subalgoE6EdNS0_10empty_typeEbEEZZNS1_14partition_implILS5_6ELb0ES3_mN6thrust23THRUST_200600_302600_NS6detail15normal_iteratorINSA_10device_ptrIdEEEEPS6_SG_NS0_5tupleIJNSA_16discard_iteratorINSA_11use_defaultEEES6_EEENSH_IJSG_SG_EEES6_PlJNSB_9not_fun_tI7is_trueIdEEEEEE10hipError_tPvRmT3_T4_T5_T6_T7_T9_mT8_P12ihipStream_tbDpT10_ENKUlT_T0_E_clISt17integral_constantIbLb0EES1A_IbLb1EEEEDaS16_S17_EUlS16_E_NS1_11comp_targetILNS1_3genE9ELNS1_11target_archE1100ELNS1_3gpuE3ELNS1_3repE0EEENS1_30default_config_static_selectorELNS0_4arch9wavefront6targetE0EEEvT1_: ; @_ZN7rocprim17ROCPRIM_400000_NS6detail17trampoline_kernelINS0_14default_configENS1_25partition_config_selectorILNS1_17partition_subalgoE6EdNS0_10empty_typeEbEEZZNS1_14partition_implILS5_6ELb0ES3_mN6thrust23THRUST_200600_302600_NS6detail15normal_iteratorINSA_10device_ptrIdEEEEPS6_SG_NS0_5tupleIJNSA_16discard_iteratorINSA_11use_defaultEEES6_EEENSH_IJSG_SG_EEES6_PlJNSB_9not_fun_tI7is_trueIdEEEEEE10hipError_tPvRmT3_T4_T5_T6_T7_T9_mT8_P12ihipStream_tbDpT10_ENKUlT_T0_E_clISt17integral_constantIbLb0EES1A_IbLb1EEEEDaS16_S17_EUlS16_E_NS1_11comp_targetILNS1_3genE9ELNS1_11target_archE1100ELNS1_3gpuE3ELNS1_3repE0EEENS1_30default_config_static_selectorELNS0_4arch9wavefront6targetE0EEEvT1_
; %bb.0:
	.section	.rodata,"a",@progbits
	.p2align	6, 0x0
	.amdhsa_kernel _ZN7rocprim17ROCPRIM_400000_NS6detail17trampoline_kernelINS0_14default_configENS1_25partition_config_selectorILNS1_17partition_subalgoE6EdNS0_10empty_typeEbEEZZNS1_14partition_implILS5_6ELb0ES3_mN6thrust23THRUST_200600_302600_NS6detail15normal_iteratorINSA_10device_ptrIdEEEEPS6_SG_NS0_5tupleIJNSA_16discard_iteratorINSA_11use_defaultEEES6_EEENSH_IJSG_SG_EEES6_PlJNSB_9not_fun_tI7is_trueIdEEEEEE10hipError_tPvRmT3_T4_T5_T6_T7_T9_mT8_P12ihipStream_tbDpT10_ENKUlT_T0_E_clISt17integral_constantIbLb0EES1A_IbLb1EEEEDaS16_S17_EUlS16_E_NS1_11comp_targetILNS1_3genE9ELNS1_11target_archE1100ELNS1_3gpuE3ELNS1_3repE0EEENS1_30default_config_static_selectorELNS0_4arch9wavefront6targetE0EEEvT1_
		.amdhsa_group_segment_fixed_size 0
		.amdhsa_private_segment_fixed_size 0
		.amdhsa_kernarg_size 136
		.amdhsa_user_sgpr_count 2
		.amdhsa_user_sgpr_dispatch_ptr 0
		.amdhsa_user_sgpr_queue_ptr 0
		.amdhsa_user_sgpr_kernarg_segment_ptr 1
		.amdhsa_user_sgpr_dispatch_id 0
		.amdhsa_user_sgpr_private_segment_size 0
		.amdhsa_wavefront_size32 1
		.amdhsa_uses_dynamic_stack 0
		.amdhsa_enable_private_segment 0
		.amdhsa_system_sgpr_workgroup_id_x 1
		.amdhsa_system_sgpr_workgroup_id_y 0
		.amdhsa_system_sgpr_workgroup_id_z 0
		.amdhsa_system_sgpr_workgroup_info 0
		.amdhsa_system_vgpr_workitem_id 0
		.amdhsa_next_free_vgpr 1
		.amdhsa_next_free_sgpr 1
		.amdhsa_reserve_vcc 0
		.amdhsa_float_round_mode_32 0
		.amdhsa_float_round_mode_16_64 0
		.amdhsa_float_denorm_mode_32 3
		.amdhsa_float_denorm_mode_16_64 3
		.amdhsa_fp16_overflow 0
		.amdhsa_workgroup_processor_mode 1
		.amdhsa_memory_ordered 1
		.amdhsa_forward_progress 1
		.amdhsa_inst_pref_size 0
		.amdhsa_round_robin_scheduling 0
		.amdhsa_exception_fp_ieee_invalid_op 0
		.amdhsa_exception_fp_denorm_src 0
		.amdhsa_exception_fp_ieee_div_zero 0
		.amdhsa_exception_fp_ieee_overflow 0
		.amdhsa_exception_fp_ieee_underflow 0
		.amdhsa_exception_fp_ieee_inexact 0
		.amdhsa_exception_int_div_zero 0
	.end_amdhsa_kernel
	.section	.text._ZN7rocprim17ROCPRIM_400000_NS6detail17trampoline_kernelINS0_14default_configENS1_25partition_config_selectorILNS1_17partition_subalgoE6EdNS0_10empty_typeEbEEZZNS1_14partition_implILS5_6ELb0ES3_mN6thrust23THRUST_200600_302600_NS6detail15normal_iteratorINSA_10device_ptrIdEEEEPS6_SG_NS0_5tupleIJNSA_16discard_iteratorINSA_11use_defaultEEES6_EEENSH_IJSG_SG_EEES6_PlJNSB_9not_fun_tI7is_trueIdEEEEEE10hipError_tPvRmT3_T4_T5_T6_T7_T9_mT8_P12ihipStream_tbDpT10_ENKUlT_T0_E_clISt17integral_constantIbLb0EES1A_IbLb1EEEEDaS16_S17_EUlS16_E_NS1_11comp_targetILNS1_3genE9ELNS1_11target_archE1100ELNS1_3gpuE3ELNS1_3repE0EEENS1_30default_config_static_selectorELNS0_4arch9wavefront6targetE0EEEvT1_,"axG",@progbits,_ZN7rocprim17ROCPRIM_400000_NS6detail17trampoline_kernelINS0_14default_configENS1_25partition_config_selectorILNS1_17partition_subalgoE6EdNS0_10empty_typeEbEEZZNS1_14partition_implILS5_6ELb0ES3_mN6thrust23THRUST_200600_302600_NS6detail15normal_iteratorINSA_10device_ptrIdEEEEPS6_SG_NS0_5tupleIJNSA_16discard_iteratorINSA_11use_defaultEEES6_EEENSH_IJSG_SG_EEES6_PlJNSB_9not_fun_tI7is_trueIdEEEEEE10hipError_tPvRmT3_T4_T5_T6_T7_T9_mT8_P12ihipStream_tbDpT10_ENKUlT_T0_E_clISt17integral_constantIbLb0EES1A_IbLb1EEEEDaS16_S17_EUlS16_E_NS1_11comp_targetILNS1_3genE9ELNS1_11target_archE1100ELNS1_3gpuE3ELNS1_3repE0EEENS1_30default_config_static_selectorELNS0_4arch9wavefront6targetE0EEEvT1_,comdat
.Lfunc_end2107:
	.size	_ZN7rocprim17ROCPRIM_400000_NS6detail17trampoline_kernelINS0_14default_configENS1_25partition_config_selectorILNS1_17partition_subalgoE6EdNS0_10empty_typeEbEEZZNS1_14partition_implILS5_6ELb0ES3_mN6thrust23THRUST_200600_302600_NS6detail15normal_iteratorINSA_10device_ptrIdEEEEPS6_SG_NS0_5tupleIJNSA_16discard_iteratorINSA_11use_defaultEEES6_EEENSH_IJSG_SG_EEES6_PlJNSB_9not_fun_tI7is_trueIdEEEEEE10hipError_tPvRmT3_T4_T5_T6_T7_T9_mT8_P12ihipStream_tbDpT10_ENKUlT_T0_E_clISt17integral_constantIbLb0EES1A_IbLb1EEEEDaS16_S17_EUlS16_E_NS1_11comp_targetILNS1_3genE9ELNS1_11target_archE1100ELNS1_3gpuE3ELNS1_3repE0EEENS1_30default_config_static_selectorELNS0_4arch9wavefront6targetE0EEEvT1_, .Lfunc_end2107-_ZN7rocprim17ROCPRIM_400000_NS6detail17trampoline_kernelINS0_14default_configENS1_25partition_config_selectorILNS1_17partition_subalgoE6EdNS0_10empty_typeEbEEZZNS1_14partition_implILS5_6ELb0ES3_mN6thrust23THRUST_200600_302600_NS6detail15normal_iteratorINSA_10device_ptrIdEEEEPS6_SG_NS0_5tupleIJNSA_16discard_iteratorINSA_11use_defaultEEES6_EEENSH_IJSG_SG_EEES6_PlJNSB_9not_fun_tI7is_trueIdEEEEEE10hipError_tPvRmT3_T4_T5_T6_T7_T9_mT8_P12ihipStream_tbDpT10_ENKUlT_T0_E_clISt17integral_constantIbLb0EES1A_IbLb1EEEEDaS16_S17_EUlS16_E_NS1_11comp_targetILNS1_3genE9ELNS1_11target_archE1100ELNS1_3gpuE3ELNS1_3repE0EEENS1_30default_config_static_selectorELNS0_4arch9wavefront6targetE0EEEvT1_
                                        ; -- End function
	.set _ZN7rocprim17ROCPRIM_400000_NS6detail17trampoline_kernelINS0_14default_configENS1_25partition_config_selectorILNS1_17partition_subalgoE6EdNS0_10empty_typeEbEEZZNS1_14partition_implILS5_6ELb0ES3_mN6thrust23THRUST_200600_302600_NS6detail15normal_iteratorINSA_10device_ptrIdEEEEPS6_SG_NS0_5tupleIJNSA_16discard_iteratorINSA_11use_defaultEEES6_EEENSH_IJSG_SG_EEES6_PlJNSB_9not_fun_tI7is_trueIdEEEEEE10hipError_tPvRmT3_T4_T5_T6_T7_T9_mT8_P12ihipStream_tbDpT10_ENKUlT_T0_E_clISt17integral_constantIbLb0EES1A_IbLb1EEEEDaS16_S17_EUlS16_E_NS1_11comp_targetILNS1_3genE9ELNS1_11target_archE1100ELNS1_3gpuE3ELNS1_3repE0EEENS1_30default_config_static_selectorELNS0_4arch9wavefront6targetE0EEEvT1_.num_vgpr, 0
	.set _ZN7rocprim17ROCPRIM_400000_NS6detail17trampoline_kernelINS0_14default_configENS1_25partition_config_selectorILNS1_17partition_subalgoE6EdNS0_10empty_typeEbEEZZNS1_14partition_implILS5_6ELb0ES3_mN6thrust23THRUST_200600_302600_NS6detail15normal_iteratorINSA_10device_ptrIdEEEEPS6_SG_NS0_5tupleIJNSA_16discard_iteratorINSA_11use_defaultEEES6_EEENSH_IJSG_SG_EEES6_PlJNSB_9not_fun_tI7is_trueIdEEEEEE10hipError_tPvRmT3_T4_T5_T6_T7_T9_mT8_P12ihipStream_tbDpT10_ENKUlT_T0_E_clISt17integral_constantIbLb0EES1A_IbLb1EEEEDaS16_S17_EUlS16_E_NS1_11comp_targetILNS1_3genE9ELNS1_11target_archE1100ELNS1_3gpuE3ELNS1_3repE0EEENS1_30default_config_static_selectorELNS0_4arch9wavefront6targetE0EEEvT1_.num_agpr, 0
	.set _ZN7rocprim17ROCPRIM_400000_NS6detail17trampoline_kernelINS0_14default_configENS1_25partition_config_selectorILNS1_17partition_subalgoE6EdNS0_10empty_typeEbEEZZNS1_14partition_implILS5_6ELb0ES3_mN6thrust23THRUST_200600_302600_NS6detail15normal_iteratorINSA_10device_ptrIdEEEEPS6_SG_NS0_5tupleIJNSA_16discard_iteratorINSA_11use_defaultEEES6_EEENSH_IJSG_SG_EEES6_PlJNSB_9not_fun_tI7is_trueIdEEEEEE10hipError_tPvRmT3_T4_T5_T6_T7_T9_mT8_P12ihipStream_tbDpT10_ENKUlT_T0_E_clISt17integral_constantIbLb0EES1A_IbLb1EEEEDaS16_S17_EUlS16_E_NS1_11comp_targetILNS1_3genE9ELNS1_11target_archE1100ELNS1_3gpuE3ELNS1_3repE0EEENS1_30default_config_static_selectorELNS0_4arch9wavefront6targetE0EEEvT1_.numbered_sgpr, 0
	.set _ZN7rocprim17ROCPRIM_400000_NS6detail17trampoline_kernelINS0_14default_configENS1_25partition_config_selectorILNS1_17partition_subalgoE6EdNS0_10empty_typeEbEEZZNS1_14partition_implILS5_6ELb0ES3_mN6thrust23THRUST_200600_302600_NS6detail15normal_iteratorINSA_10device_ptrIdEEEEPS6_SG_NS0_5tupleIJNSA_16discard_iteratorINSA_11use_defaultEEES6_EEENSH_IJSG_SG_EEES6_PlJNSB_9not_fun_tI7is_trueIdEEEEEE10hipError_tPvRmT3_T4_T5_T6_T7_T9_mT8_P12ihipStream_tbDpT10_ENKUlT_T0_E_clISt17integral_constantIbLb0EES1A_IbLb1EEEEDaS16_S17_EUlS16_E_NS1_11comp_targetILNS1_3genE9ELNS1_11target_archE1100ELNS1_3gpuE3ELNS1_3repE0EEENS1_30default_config_static_selectorELNS0_4arch9wavefront6targetE0EEEvT1_.num_named_barrier, 0
	.set _ZN7rocprim17ROCPRIM_400000_NS6detail17trampoline_kernelINS0_14default_configENS1_25partition_config_selectorILNS1_17partition_subalgoE6EdNS0_10empty_typeEbEEZZNS1_14partition_implILS5_6ELb0ES3_mN6thrust23THRUST_200600_302600_NS6detail15normal_iteratorINSA_10device_ptrIdEEEEPS6_SG_NS0_5tupleIJNSA_16discard_iteratorINSA_11use_defaultEEES6_EEENSH_IJSG_SG_EEES6_PlJNSB_9not_fun_tI7is_trueIdEEEEEE10hipError_tPvRmT3_T4_T5_T6_T7_T9_mT8_P12ihipStream_tbDpT10_ENKUlT_T0_E_clISt17integral_constantIbLb0EES1A_IbLb1EEEEDaS16_S17_EUlS16_E_NS1_11comp_targetILNS1_3genE9ELNS1_11target_archE1100ELNS1_3gpuE3ELNS1_3repE0EEENS1_30default_config_static_selectorELNS0_4arch9wavefront6targetE0EEEvT1_.private_seg_size, 0
	.set _ZN7rocprim17ROCPRIM_400000_NS6detail17trampoline_kernelINS0_14default_configENS1_25partition_config_selectorILNS1_17partition_subalgoE6EdNS0_10empty_typeEbEEZZNS1_14partition_implILS5_6ELb0ES3_mN6thrust23THRUST_200600_302600_NS6detail15normal_iteratorINSA_10device_ptrIdEEEEPS6_SG_NS0_5tupleIJNSA_16discard_iteratorINSA_11use_defaultEEES6_EEENSH_IJSG_SG_EEES6_PlJNSB_9not_fun_tI7is_trueIdEEEEEE10hipError_tPvRmT3_T4_T5_T6_T7_T9_mT8_P12ihipStream_tbDpT10_ENKUlT_T0_E_clISt17integral_constantIbLb0EES1A_IbLb1EEEEDaS16_S17_EUlS16_E_NS1_11comp_targetILNS1_3genE9ELNS1_11target_archE1100ELNS1_3gpuE3ELNS1_3repE0EEENS1_30default_config_static_selectorELNS0_4arch9wavefront6targetE0EEEvT1_.uses_vcc, 0
	.set _ZN7rocprim17ROCPRIM_400000_NS6detail17trampoline_kernelINS0_14default_configENS1_25partition_config_selectorILNS1_17partition_subalgoE6EdNS0_10empty_typeEbEEZZNS1_14partition_implILS5_6ELb0ES3_mN6thrust23THRUST_200600_302600_NS6detail15normal_iteratorINSA_10device_ptrIdEEEEPS6_SG_NS0_5tupleIJNSA_16discard_iteratorINSA_11use_defaultEEES6_EEENSH_IJSG_SG_EEES6_PlJNSB_9not_fun_tI7is_trueIdEEEEEE10hipError_tPvRmT3_T4_T5_T6_T7_T9_mT8_P12ihipStream_tbDpT10_ENKUlT_T0_E_clISt17integral_constantIbLb0EES1A_IbLb1EEEEDaS16_S17_EUlS16_E_NS1_11comp_targetILNS1_3genE9ELNS1_11target_archE1100ELNS1_3gpuE3ELNS1_3repE0EEENS1_30default_config_static_selectorELNS0_4arch9wavefront6targetE0EEEvT1_.uses_flat_scratch, 0
	.set _ZN7rocprim17ROCPRIM_400000_NS6detail17trampoline_kernelINS0_14default_configENS1_25partition_config_selectorILNS1_17partition_subalgoE6EdNS0_10empty_typeEbEEZZNS1_14partition_implILS5_6ELb0ES3_mN6thrust23THRUST_200600_302600_NS6detail15normal_iteratorINSA_10device_ptrIdEEEEPS6_SG_NS0_5tupleIJNSA_16discard_iteratorINSA_11use_defaultEEES6_EEENSH_IJSG_SG_EEES6_PlJNSB_9not_fun_tI7is_trueIdEEEEEE10hipError_tPvRmT3_T4_T5_T6_T7_T9_mT8_P12ihipStream_tbDpT10_ENKUlT_T0_E_clISt17integral_constantIbLb0EES1A_IbLb1EEEEDaS16_S17_EUlS16_E_NS1_11comp_targetILNS1_3genE9ELNS1_11target_archE1100ELNS1_3gpuE3ELNS1_3repE0EEENS1_30default_config_static_selectorELNS0_4arch9wavefront6targetE0EEEvT1_.has_dyn_sized_stack, 0
	.set _ZN7rocprim17ROCPRIM_400000_NS6detail17trampoline_kernelINS0_14default_configENS1_25partition_config_selectorILNS1_17partition_subalgoE6EdNS0_10empty_typeEbEEZZNS1_14partition_implILS5_6ELb0ES3_mN6thrust23THRUST_200600_302600_NS6detail15normal_iteratorINSA_10device_ptrIdEEEEPS6_SG_NS0_5tupleIJNSA_16discard_iteratorINSA_11use_defaultEEES6_EEENSH_IJSG_SG_EEES6_PlJNSB_9not_fun_tI7is_trueIdEEEEEE10hipError_tPvRmT3_T4_T5_T6_T7_T9_mT8_P12ihipStream_tbDpT10_ENKUlT_T0_E_clISt17integral_constantIbLb0EES1A_IbLb1EEEEDaS16_S17_EUlS16_E_NS1_11comp_targetILNS1_3genE9ELNS1_11target_archE1100ELNS1_3gpuE3ELNS1_3repE0EEENS1_30default_config_static_selectorELNS0_4arch9wavefront6targetE0EEEvT1_.has_recursion, 0
	.set _ZN7rocprim17ROCPRIM_400000_NS6detail17trampoline_kernelINS0_14default_configENS1_25partition_config_selectorILNS1_17partition_subalgoE6EdNS0_10empty_typeEbEEZZNS1_14partition_implILS5_6ELb0ES3_mN6thrust23THRUST_200600_302600_NS6detail15normal_iteratorINSA_10device_ptrIdEEEEPS6_SG_NS0_5tupleIJNSA_16discard_iteratorINSA_11use_defaultEEES6_EEENSH_IJSG_SG_EEES6_PlJNSB_9not_fun_tI7is_trueIdEEEEEE10hipError_tPvRmT3_T4_T5_T6_T7_T9_mT8_P12ihipStream_tbDpT10_ENKUlT_T0_E_clISt17integral_constantIbLb0EES1A_IbLb1EEEEDaS16_S17_EUlS16_E_NS1_11comp_targetILNS1_3genE9ELNS1_11target_archE1100ELNS1_3gpuE3ELNS1_3repE0EEENS1_30default_config_static_selectorELNS0_4arch9wavefront6targetE0EEEvT1_.has_indirect_call, 0
	.section	.AMDGPU.csdata,"",@progbits
; Kernel info:
; codeLenInByte = 0
; TotalNumSgprs: 0
; NumVgprs: 0
; ScratchSize: 0
; MemoryBound: 0
; FloatMode: 240
; IeeeMode: 1
; LDSByteSize: 0 bytes/workgroup (compile time only)
; SGPRBlocks: 0
; VGPRBlocks: 0
; NumSGPRsForWavesPerEU: 1
; NumVGPRsForWavesPerEU: 1
; Occupancy: 16
; WaveLimiterHint : 0
; COMPUTE_PGM_RSRC2:SCRATCH_EN: 0
; COMPUTE_PGM_RSRC2:USER_SGPR: 2
; COMPUTE_PGM_RSRC2:TRAP_HANDLER: 0
; COMPUTE_PGM_RSRC2:TGID_X_EN: 1
; COMPUTE_PGM_RSRC2:TGID_Y_EN: 0
; COMPUTE_PGM_RSRC2:TGID_Z_EN: 0
; COMPUTE_PGM_RSRC2:TIDIG_COMP_CNT: 0
	.section	.text._ZN7rocprim17ROCPRIM_400000_NS6detail17trampoline_kernelINS0_14default_configENS1_25partition_config_selectorILNS1_17partition_subalgoE6EdNS0_10empty_typeEbEEZZNS1_14partition_implILS5_6ELb0ES3_mN6thrust23THRUST_200600_302600_NS6detail15normal_iteratorINSA_10device_ptrIdEEEEPS6_SG_NS0_5tupleIJNSA_16discard_iteratorINSA_11use_defaultEEES6_EEENSH_IJSG_SG_EEES6_PlJNSB_9not_fun_tI7is_trueIdEEEEEE10hipError_tPvRmT3_T4_T5_T6_T7_T9_mT8_P12ihipStream_tbDpT10_ENKUlT_T0_E_clISt17integral_constantIbLb0EES1A_IbLb1EEEEDaS16_S17_EUlS16_E_NS1_11comp_targetILNS1_3genE8ELNS1_11target_archE1030ELNS1_3gpuE2ELNS1_3repE0EEENS1_30default_config_static_selectorELNS0_4arch9wavefront6targetE0EEEvT1_,"axG",@progbits,_ZN7rocprim17ROCPRIM_400000_NS6detail17trampoline_kernelINS0_14default_configENS1_25partition_config_selectorILNS1_17partition_subalgoE6EdNS0_10empty_typeEbEEZZNS1_14partition_implILS5_6ELb0ES3_mN6thrust23THRUST_200600_302600_NS6detail15normal_iteratorINSA_10device_ptrIdEEEEPS6_SG_NS0_5tupleIJNSA_16discard_iteratorINSA_11use_defaultEEES6_EEENSH_IJSG_SG_EEES6_PlJNSB_9not_fun_tI7is_trueIdEEEEEE10hipError_tPvRmT3_T4_T5_T6_T7_T9_mT8_P12ihipStream_tbDpT10_ENKUlT_T0_E_clISt17integral_constantIbLb0EES1A_IbLb1EEEEDaS16_S17_EUlS16_E_NS1_11comp_targetILNS1_3genE8ELNS1_11target_archE1030ELNS1_3gpuE2ELNS1_3repE0EEENS1_30default_config_static_selectorELNS0_4arch9wavefront6targetE0EEEvT1_,comdat
	.protected	_ZN7rocprim17ROCPRIM_400000_NS6detail17trampoline_kernelINS0_14default_configENS1_25partition_config_selectorILNS1_17partition_subalgoE6EdNS0_10empty_typeEbEEZZNS1_14partition_implILS5_6ELb0ES3_mN6thrust23THRUST_200600_302600_NS6detail15normal_iteratorINSA_10device_ptrIdEEEEPS6_SG_NS0_5tupleIJNSA_16discard_iteratorINSA_11use_defaultEEES6_EEENSH_IJSG_SG_EEES6_PlJNSB_9not_fun_tI7is_trueIdEEEEEE10hipError_tPvRmT3_T4_T5_T6_T7_T9_mT8_P12ihipStream_tbDpT10_ENKUlT_T0_E_clISt17integral_constantIbLb0EES1A_IbLb1EEEEDaS16_S17_EUlS16_E_NS1_11comp_targetILNS1_3genE8ELNS1_11target_archE1030ELNS1_3gpuE2ELNS1_3repE0EEENS1_30default_config_static_selectorELNS0_4arch9wavefront6targetE0EEEvT1_ ; -- Begin function _ZN7rocprim17ROCPRIM_400000_NS6detail17trampoline_kernelINS0_14default_configENS1_25partition_config_selectorILNS1_17partition_subalgoE6EdNS0_10empty_typeEbEEZZNS1_14partition_implILS5_6ELb0ES3_mN6thrust23THRUST_200600_302600_NS6detail15normal_iteratorINSA_10device_ptrIdEEEEPS6_SG_NS0_5tupleIJNSA_16discard_iteratorINSA_11use_defaultEEES6_EEENSH_IJSG_SG_EEES6_PlJNSB_9not_fun_tI7is_trueIdEEEEEE10hipError_tPvRmT3_T4_T5_T6_T7_T9_mT8_P12ihipStream_tbDpT10_ENKUlT_T0_E_clISt17integral_constantIbLb0EES1A_IbLb1EEEEDaS16_S17_EUlS16_E_NS1_11comp_targetILNS1_3genE8ELNS1_11target_archE1030ELNS1_3gpuE2ELNS1_3repE0EEENS1_30default_config_static_selectorELNS0_4arch9wavefront6targetE0EEEvT1_
	.globl	_ZN7rocprim17ROCPRIM_400000_NS6detail17trampoline_kernelINS0_14default_configENS1_25partition_config_selectorILNS1_17partition_subalgoE6EdNS0_10empty_typeEbEEZZNS1_14partition_implILS5_6ELb0ES3_mN6thrust23THRUST_200600_302600_NS6detail15normal_iteratorINSA_10device_ptrIdEEEEPS6_SG_NS0_5tupleIJNSA_16discard_iteratorINSA_11use_defaultEEES6_EEENSH_IJSG_SG_EEES6_PlJNSB_9not_fun_tI7is_trueIdEEEEEE10hipError_tPvRmT3_T4_T5_T6_T7_T9_mT8_P12ihipStream_tbDpT10_ENKUlT_T0_E_clISt17integral_constantIbLb0EES1A_IbLb1EEEEDaS16_S17_EUlS16_E_NS1_11comp_targetILNS1_3genE8ELNS1_11target_archE1030ELNS1_3gpuE2ELNS1_3repE0EEENS1_30default_config_static_selectorELNS0_4arch9wavefront6targetE0EEEvT1_
	.p2align	8
	.type	_ZN7rocprim17ROCPRIM_400000_NS6detail17trampoline_kernelINS0_14default_configENS1_25partition_config_selectorILNS1_17partition_subalgoE6EdNS0_10empty_typeEbEEZZNS1_14partition_implILS5_6ELb0ES3_mN6thrust23THRUST_200600_302600_NS6detail15normal_iteratorINSA_10device_ptrIdEEEEPS6_SG_NS0_5tupleIJNSA_16discard_iteratorINSA_11use_defaultEEES6_EEENSH_IJSG_SG_EEES6_PlJNSB_9not_fun_tI7is_trueIdEEEEEE10hipError_tPvRmT3_T4_T5_T6_T7_T9_mT8_P12ihipStream_tbDpT10_ENKUlT_T0_E_clISt17integral_constantIbLb0EES1A_IbLb1EEEEDaS16_S17_EUlS16_E_NS1_11comp_targetILNS1_3genE8ELNS1_11target_archE1030ELNS1_3gpuE2ELNS1_3repE0EEENS1_30default_config_static_selectorELNS0_4arch9wavefront6targetE0EEEvT1_,@function
_ZN7rocprim17ROCPRIM_400000_NS6detail17trampoline_kernelINS0_14default_configENS1_25partition_config_selectorILNS1_17partition_subalgoE6EdNS0_10empty_typeEbEEZZNS1_14partition_implILS5_6ELb0ES3_mN6thrust23THRUST_200600_302600_NS6detail15normal_iteratorINSA_10device_ptrIdEEEEPS6_SG_NS0_5tupleIJNSA_16discard_iteratorINSA_11use_defaultEEES6_EEENSH_IJSG_SG_EEES6_PlJNSB_9not_fun_tI7is_trueIdEEEEEE10hipError_tPvRmT3_T4_T5_T6_T7_T9_mT8_P12ihipStream_tbDpT10_ENKUlT_T0_E_clISt17integral_constantIbLb0EES1A_IbLb1EEEEDaS16_S17_EUlS16_E_NS1_11comp_targetILNS1_3genE8ELNS1_11target_archE1030ELNS1_3gpuE2ELNS1_3repE0EEENS1_30default_config_static_selectorELNS0_4arch9wavefront6targetE0EEEvT1_: ; @_ZN7rocprim17ROCPRIM_400000_NS6detail17trampoline_kernelINS0_14default_configENS1_25partition_config_selectorILNS1_17partition_subalgoE6EdNS0_10empty_typeEbEEZZNS1_14partition_implILS5_6ELb0ES3_mN6thrust23THRUST_200600_302600_NS6detail15normal_iteratorINSA_10device_ptrIdEEEEPS6_SG_NS0_5tupleIJNSA_16discard_iteratorINSA_11use_defaultEEES6_EEENSH_IJSG_SG_EEES6_PlJNSB_9not_fun_tI7is_trueIdEEEEEE10hipError_tPvRmT3_T4_T5_T6_T7_T9_mT8_P12ihipStream_tbDpT10_ENKUlT_T0_E_clISt17integral_constantIbLb0EES1A_IbLb1EEEEDaS16_S17_EUlS16_E_NS1_11comp_targetILNS1_3genE8ELNS1_11target_archE1030ELNS1_3gpuE2ELNS1_3repE0EEENS1_30default_config_static_selectorELNS0_4arch9wavefront6targetE0EEEvT1_
; %bb.0:
	.section	.rodata,"a",@progbits
	.p2align	6, 0x0
	.amdhsa_kernel _ZN7rocprim17ROCPRIM_400000_NS6detail17trampoline_kernelINS0_14default_configENS1_25partition_config_selectorILNS1_17partition_subalgoE6EdNS0_10empty_typeEbEEZZNS1_14partition_implILS5_6ELb0ES3_mN6thrust23THRUST_200600_302600_NS6detail15normal_iteratorINSA_10device_ptrIdEEEEPS6_SG_NS0_5tupleIJNSA_16discard_iteratorINSA_11use_defaultEEES6_EEENSH_IJSG_SG_EEES6_PlJNSB_9not_fun_tI7is_trueIdEEEEEE10hipError_tPvRmT3_T4_T5_T6_T7_T9_mT8_P12ihipStream_tbDpT10_ENKUlT_T0_E_clISt17integral_constantIbLb0EES1A_IbLb1EEEEDaS16_S17_EUlS16_E_NS1_11comp_targetILNS1_3genE8ELNS1_11target_archE1030ELNS1_3gpuE2ELNS1_3repE0EEENS1_30default_config_static_selectorELNS0_4arch9wavefront6targetE0EEEvT1_
		.amdhsa_group_segment_fixed_size 0
		.amdhsa_private_segment_fixed_size 0
		.amdhsa_kernarg_size 136
		.amdhsa_user_sgpr_count 2
		.amdhsa_user_sgpr_dispatch_ptr 0
		.amdhsa_user_sgpr_queue_ptr 0
		.amdhsa_user_sgpr_kernarg_segment_ptr 1
		.amdhsa_user_sgpr_dispatch_id 0
		.amdhsa_user_sgpr_private_segment_size 0
		.amdhsa_wavefront_size32 1
		.amdhsa_uses_dynamic_stack 0
		.amdhsa_enable_private_segment 0
		.amdhsa_system_sgpr_workgroup_id_x 1
		.amdhsa_system_sgpr_workgroup_id_y 0
		.amdhsa_system_sgpr_workgroup_id_z 0
		.amdhsa_system_sgpr_workgroup_info 0
		.amdhsa_system_vgpr_workitem_id 0
		.amdhsa_next_free_vgpr 1
		.amdhsa_next_free_sgpr 1
		.amdhsa_reserve_vcc 0
		.amdhsa_float_round_mode_32 0
		.amdhsa_float_round_mode_16_64 0
		.amdhsa_float_denorm_mode_32 3
		.amdhsa_float_denorm_mode_16_64 3
		.amdhsa_fp16_overflow 0
		.amdhsa_workgroup_processor_mode 1
		.amdhsa_memory_ordered 1
		.amdhsa_forward_progress 1
		.amdhsa_inst_pref_size 0
		.amdhsa_round_robin_scheduling 0
		.amdhsa_exception_fp_ieee_invalid_op 0
		.amdhsa_exception_fp_denorm_src 0
		.amdhsa_exception_fp_ieee_div_zero 0
		.amdhsa_exception_fp_ieee_overflow 0
		.amdhsa_exception_fp_ieee_underflow 0
		.amdhsa_exception_fp_ieee_inexact 0
		.amdhsa_exception_int_div_zero 0
	.end_amdhsa_kernel
	.section	.text._ZN7rocprim17ROCPRIM_400000_NS6detail17trampoline_kernelINS0_14default_configENS1_25partition_config_selectorILNS1_17partition_subalgoE6EdNS0_10empty_typeEbEEZZNS1_14partition_implILS5_6ELb0ES3_mN6thrust23THRUST_200600_302600_NS6detail15normal_iteratorINSA_10device_ptrIdEEEEPS6_SG_NS0_5tupleIJNSA_16discard_iteratorINSA_11use_defaultEEES6_EEENSH_IJSG_SG_EEES6_PlJNSB_9not_fun_tI7is_trueIdEEEEEE10hipError_tPvRmT3_T4_T5_T6_T7_T9_mT8_P12ihipStream_tbDpT10_ENKUlT_T0_E_clISt17integral_constantIbLb0EES1A_IbLb1EEEEDaS16_S17_EUlS16_E_NS1_11comp_targetILNS1_3genE8ELNS1_11target_archE1030ELNS1_3gpuE2ELNS1_3repE0EEENS1_30default_config_static_selectorELNS0_4arch9wavefront6targetE0EEEvT1_,"axG",@progbits,_ZN7rocprim17ROCPRIM_400000_NS6detail17trampoline_kernelINS0_14default_configENS1_25partition_config_selectorILNS1_17partition_subalgoE6EdNS0_10empty_typeEbEEZZNS1_14partition_implILS5_6ELb0ES3_mN6thrust23THRUST_200600_302600_NS6detail15normal_iteratorINSA_10device_ptrIdEEEEPS6_SG_NS0_5tupleIJNSA_16discard_iteratorINSA_11use_defaultEEES6_EEENSH_IJSG_SG_EEES6_PlJNSB_9not_fun_tI7is_trueIdEEEEEE10hipError_tPvRmT3_T4_T5_T6_T7_T9_mT8_P12ihipStream_tbDpT10_ENKUlT_T0_E_clISt17integral_constantIbLb0EES1A_IbLb1EEEEDaS16_S17_EUlS16_E_NS1_11comp_targetILNS1_3genE8ELNS1_11target_archE1030ELNS1_3gpuE2ELNS1_3repE0EEENS1_30default_config_static_selectorELNS0_4arch9wavefront6targetE0EEEvT1_,comdat
.Lfunc_end2108:
	.size	_ZN7rocprim17ROCPRIM_400000_NS6detail17trampoline_kernelINS0_14default_configENS1_25partition_config_selectorILNS1_17partition_subalgoE6EdNS0_10empty_typeEbEEZZNS1_14partition_implILS5_6ELb0ES3_mN6thrust23THRUST_200600_302600_NS6detail15normal_iteratorINSA_10device_ptrIdEEEEPS6_SG_NS0_5tupleIJNSA_16discard_iteratorINSA_11use_defaultEEES6_EEENSH_IJSG_SG_EEES6_PlJNSB_9not_fun_tI7is_trueIdEEEEEE10hipError_tPvRmT3_T4_T5_T6_T7_T9_mT8_P12ihipStream_tbDpT10_ENKUlT_T0_E_clISt17integral_constantIbLb0EES1A_IbLb1EEEEDaS16_S17_EUlS16_E_NS1_11comp_targetILNS1_3genE8ELNS1_11target_archE1030ELNS1_3gpuE2ELNS1_3repE0EEENS1_30default_config_static_selectorELNS0_4arch9wavefront6targetE0EEEvT1_, .Lfunc_end2108-_ZN7rocprim17ROCPRIM_400000_NS6detail17trampoline_kernelINS0_14default_configENS1_25partition_config_selectorILNS1_17partition_subalgoE6EdNS0_10empty_typeEbEEZZNS1_14partition_implILS5_6ELb0ES3_mN6thrust23THRUST_200600_302600_NS6detail15normal_iteratorINSA_10device_ptrIdEEEEPS6_SG_NS0_5tupleIJNSA_16discard_iteratorINSA_11use_defaultEEES6_EEENSH_IJSG_SG_EEES6_PlJNSB_9not_fun_tI7is_trueIdEEEEEE10hipError_tPvRmT3_T4_T5_T6_T7_T9_mT8_P12ihipStream_tbDpT10_ENKUlT_T0_E_clISt17integral_constantIbLb0EES1A_IbLb1EEEEDaS16_S17_EUlS16_E_NS1_11comp_targetILNS1_3genE8ELNS1_11target_archE1030ELNS1_3gpuE2ELNS1_3repE0EEENS1_30default_config_static_selectorELNS0_4arch9wavefront6targetE0EEEvT1_
                                        ; -- End function
	.set _ZN7rocprim17ROCPRIM_400000_NS6detail17trampoline_kernelINS0_14default_configENS1_25partition_config_selectorILNS1_17partition_subalgoE6EdNS0_10empty_typeEbEEZZNS1_14partition_implILS5_6ELb0ES3_mN6thrust23THRUST_200600_302600_NS6detail15normal_iteratorINSA_10device_ptrIdEEEEPS6_SG_NS0_5tupleIJNSA_16discard_iteratorINSA_11use_defaultEEES6_EEENSH_IJSG_SG_EEES6_PlJNSB_9not_fun_tI7is_trueIdEEEEEE10hipError_tPvRmT3_T4_T5_T6_T7_T9_mT8_P12ihipStream_tbDpT10_ENKUlT_T0_E_clISt17integral_constantIbLb0EES1A_IbLb1EEEEDaS16_S17_EUlS16_E_NS1_11comp_targetILNS1_3genE8ELNS1_11target_archE1030ELNS1_3gpuE2ELNS1_3repE0EEENS1_30default_config_static_selectorELNS0_4arch9wavefront6targetE0EEEvT1_.num_vgpr, 0
	.set _ZN7rocprim17ROCPRIM_400000_NS6detail17trampoline_kernelINS0_14default_configENS1_25partition_config_selectorILNS1_17partition_subalgoE6EdNS0_10empty_typeEbEEZZNS1_14partition_implILS5_6ELb0ES3_mN6thrust23THRUST_200600_302600_NS6detail15normal_iteratorINSA_10device_ptrIdEEEEPS6_SG_NS0_5tupleIJNSA_16discard_iteratorINSA_11use_defaultEEES6_EEENSH_IJSG_SG_EEES6_PlJNSB_9not_fun_tI7is_trueIdEEEEEE10hipError_tPvRmT3_T4_T5_T6_T7_T9_mT8_P12ihipStream_tbDpT10_ENKUlT_T0_E_clISt17integral_constantIbLb0EES1A_IbLb1EEEEDaS16_S17_EUlS16_E_NS1_11comp_targetILNS1_3genE8ELNS1_11target_archE1030ELNS1_3gpuE2ELNS1_3repE0EEENS1_30default_config_static_selectorELNS0_4arch9wavefront6targetE0EEEvT1_.num_agpr, 0
	.set _ZN7rocprim17ROCPRIM_400000_NS6detail17trampoline_kernelINS0_14default_configENS1_25partition_config_selectorILNS1_17partition_subalgoE6EdNS0_10empty_typeEbEEZZNS1_14partition_implILS5_6ELb0ES3_mN6thrust23THRUST_200600_302600_NS6detail15normal_iteratorINSA_10device_ptrIdEEEEPS6_SG_NS0_5tupleIJNSA_16discard_iteratorINSA_11use_defaultEEES6_EEENSH_IJSG_SG_EEES6_PlJNSB_9not_fun_tI7is_trueIdEEEEEE10hipError_tPvRmT3_T4_T5_T6_T7_T9_mT8_P12ihipStream_tbDpT10_ENKUlT_T0_E_clISt17integral_constantIbLb0EES1A_IbLb1EEEEDaS16_S17_EUlS16_E_NS1_11comp_targetILNS1_3genE8ELNS1_11target_archE1030ELNS1_3gpuE2ELNS1_3repE0EEENS1_30default_config_static_selectorELNS0_4arch9wavefront6targetE0EEEvT1_.numbered_sgpr, 0
	.set _ZN7rocprim17ROCPRIM_400000_NS6detail17trampoline_kernelINS0_14default_configENS1_25partition_config_selectorILNS1_17partition_subalgoE6EdNS0_10empty_typeEbEEZZNS1_14partition_implILS5_6ELb0ES3_mN6thrust23THRUST_200600_302600_NS6detail15normal_iteratorINSA_10device_ptrIdEEEEPS6_SG_NS0_5tupleIJNSA_16discard_iteratorINSA_11use_defaultEEES6_EEENSH_IJSG_SG_EEES6_PlJNSB_9not_fun_tI7is_trueIdEEEEEE10hipError_tPvRmT3_T4_T5_T6_T7_T9_mT8_P12ihipStream_tbDpT10_ENKUlT_T0_E_clISt17integral_constantIbLb0EES1A_IbLb1EEEEDaS16_S17_EUlS16_E_NS1_11comp_targetILNS1_3genE8ELNS1_11target_archE1030ELNS1_3gpuE2ELNS1_3repE0EEENS1_30default_config_static_selectorELNS0_4arch9wavefront6targetE0EEEvT1_.num_named_barrier, 0
	.set _ZN7rocprim17ROCPRIM_400000_NS6detail17trampoline_kernelINS0_14default_configENS1_25partition_config_selectorILNS1_17partition_subalgoE6EdNS0_10empty_typeEbEEZZNS1_14partition_implILS5_6ELb0ES3_mN6thrust23THRUST_200600_302600_NS6detail15normal_iteratorINSA_10device_ptrIdEEEEPS6_SG_NS0_5tupleIJNSA_16discard_iteratorINSA_11use_defaultEEES6_EEENSH_IJSG_SG_EEES6_PlJNSB_9not_fun_tI7is_trueIdEEEEEE10hipError_tPvRmT3_T4_T5_T6_T7_T9_mT8_P12ihipStream_tbDpT10_ENKUlT_T0_E_clISt17integral_constantIbLb0EES1A_IbLb1EEEEDaS16_S17_EUlS16_E_NS1_11comp_targetILNS1_3genE8ELNS1_11target_archE1030ELNS1_3gpuE2ELNS1_3repE0EEENS1_30default_config_static_selectorELNS0_4arch9wavefront6targetE0EEEvT1_.private_seg_size, 0
	.set _ZN7rocprim17ROCPRIM_400000_NS6detail17trampoline_kernelINS0_14default_configENS1_25partition_config_selectorILNS1_17partition_subalgoE6EdNS0_10empty_typeEbEEZZNS1_14partition_implILS5_6ELb0ES3_mN6thrust23THRUST_200600_302600_NS6detail15normal_iteratorINSA_10device_ptrIdEEEEPS6_SG_NS0_5tupleIJNSA_16discard_iteratorINSA_11use_defaultEEES6_EEENSH_IJSG_SG_EEES6_PlJNSB_9not_fun_tI7is_trueIdEEEEEE10hipError_tPvRmT3_T4_T5_T6_T7_T9_mT8_P12ihipStream_tbDpT10_ENKUlT_T0_E_clISt17integral_constantIbLb0EES1A_IbLb1EEEEDaS16_S17_EUlS16_E_NS1_11comp_targetILNS1_3genE8ELNS1_11target_archE1030ELNS1_3gpuE2ELNS1_3repE0EEENS1_30default_config_static_selectorELNS0_4arch9wavefront6targetE0EEEvT1_.uses_vcc, 0
	.set _ZN7rocprim17ROCPRIM_400000_NS6detail17trampoline_kernelINS0_14default_configENS1_25partition_config_selectorILNS1_17partition_subalgoE6EdNS0_10empty_typeEbEEZZNS1_14partition_implILS5_6ELb0ES3_mN6thrust23THRUST_200600_302600_NS6detail15normal_iteratorINSA_10device_ptrIdEEEEPS6_SG_NS0_5tupleIJNSA_16discard_iteratorINSA_11use_defaultEEES6_EEENSH_IJSG_SG_EEES6_PlJNSB_9not_fun_tI7is_trueIdEEEEEE10hipError_tPvRmT3_T4_T5_T6_T7_T9_mT8_P12ihipStream_tbDpT10_ENKUlT_T0_E_clISt17integral_constantIbLb0EES1A_IbLb1EEEEDaS16_S17_EUlS16_E_NS1_11comp_targetILNS1_3genE8ELNS1_11target_archE1030ELNS1_3gpuE2ELNS1_3repE0EEENS1_30default_config_static_selectorELNS0_4arch9wavefront6targetE0EEEvT1_.uses_flat_scratch, 0
	.set _ZN7rocprim17ROCPRIM_400000_NS6detail17trampoline_kernelINS0_14default_configENS1_25partition_config_selectorILNS1_17partition_subalgoE6EdNS0_10empty_typeEbEEZZNS1_14partition_implILS5_6ELb0ES3_mN6thrust23THRUST_200600_302600_NS6detail15normal_iteratorINSA_10device_ptrIdEEEEPS6_SG_NS0_5tupleIJNSA_16discard_iteratorINSA_11use_defaultEEES6_EEENSH_IJSG_SG_EEES6_PlJNSB_9not_fun_tI7is_trueIdEEEEEE10hipError_tPvRmT3_T4_T5_T6_T7_T9_mT8_P12ihipStream_tbDpT10_ENKUlT_T0_E_clISt17integral_constantIbLb0EES1A_IbLb1EEEEDaS16_S17_EUlS16_E_NS1_11comp_targetILNS1_3genE8ELNS1_11target_archE1030ELNS1_3gpuE2ELNS1_3repE0EEENS1_30default_config_static_selectorELNS0_4arch9wavefront6targetE0EEEvT1_.has_dyn_sized_stack, 0
	.set _ZN7rocprim17ROCPRIM_400000_NS6detail17trampoline_kernelINS0_14default_configENS1_25partition_config_selectorILNS1_17partition_subalgoE6EdNS0_10empty_typeEbEEZZNS1_14partition_implILS5_6ELb0ES3_mN6thrust23THRUST_200600_302600_NS6detail15normal_iteratorINSA_10device_ptrIdEEEEPS6_SG_NS0_5tupleIJNSA_16discard_iteratorINSA_11use_defaultEEES6_EEENSH_IJSG_SG_EEES6_PlJNSB_9not_fun_tI7is_trueIdEEEEEE10hipError_tPvRmT3_T4_T5_T6_T7_T9_mT8_P12ihipStream_tbDpT10_ENKUlT_T0_E_clISt17integral_constantIbLb0EES1A_IbLb1EEEEDaS16_S17_EUlS16_E_NS1_11comp_targetILNS1_3genE8ELNS1_11target_archE1030ELNS1_3gpuE2ELNS1_3repE0EEENS1_30default_config_static_selectorELNS0_4arch9wavefront6targetE0EEEvT1_.has_recursion, 0
	.set _ZN7rocprim17ROCPRIM_400000_NS6detail17trampoline_kernelINS0_14default_configENS1_25partition_config_selectorILNS1_17partition_subalgoE6EdNS0_10empty_typeEbEEZZNS1_14partition_implILS5_6ELb0ES3_mN6thrust23THRUST_200600_302600_NS6detail15normal_iteratorINSA_10device_ptrIdEEEEPS6_SG_NS0_5tupleIJNSA_16discard_iteratorINSA_11use_defaultEEES6_EEENSH_IJSG_SG_EEES6_PlJNSB_9not_fun_tI7is_trueIdEEEEEE10hipError_tPvRmT3_T4_T5_T6_T7_T9_mT8_P12ihipStream_tbDpT10_ENKUlT_T0_E_clISt17integral_constantIbLb0EES1A_IbLb1EEEEDaS16_S17_EUlS16_E_NS1_11comp_targetILNS1_3genE8ELNS1_11target_archE1030ELNS1_3gpuE2ELNS1_3repE0EEENS1_30default_config_static_selectorELNS0_4arch9wavefront6targetE0EEEvT1_.has_indirect_call, 0
	.section	.AMDGPU.csdata,"",@progbits
; Kernel info:
; codeLenInByte = 0
; TotalNumSgprs: 0
; NumVgprs: 0
; ScratchSize: 0
; MemoryBound: 0
; FloatMode: 240
; IeeeMode: 1
; LDSByteSize: 0 bytes/workgroup (compile time only)
; SGPRBlocks: 0
; VGPRBlocks: 0
; NumSGPRsForWavesPerEU: 1
; NumVGPRsForWavesPerEU: 1
; Occupancy: 16
; WaveLimiterHint : 0
; COMPUTE_PGM_RSRC2:SCRATCH_EN: 0
; COMPUTE_PGM_RSRC2:USER_SGPR: 2
; COMPUTE_PGM_RSRC2:TRAP_HANDLER: 0
; COMPUTE_PGM_RSRC2:TGID_X_EN: 1
; COMPUTE_PGM_RSRC2:TGID_Y_EN: 0
; COMPUTE_PGM_RSRC2:TGID_Z_EN: 0
; COMPUTE_PGM_RSRC2:TIDIG_COMP_CNT: 0
	.section	.text._ZN7rocprim17ROCPRIM_400000_NS6detail17trampoline_kernelINS0_14default_configENS1_25partition_config_selectorILNS1_17partition_subalgoE6EfNS0_10empty_typeEbEEZZNS1_14partition_implILS5_6ELb0ES3_mN6thrust23THRUST_200600_302600_NS6detail15normal_iteratorINSA_10device_ptrIfEEEEPS6_SG_NS0_5tupleIJNSA_16discard_iteratorINSA_11use_defaultEEES6_EEENSH_IJSG_SG_EEES6_PlJNSB_9not_fun_tI7is_trueIfEEEEEE10hipError_tPvRmT3_T4_T5_T6_T7_T9_mT8_P12ihipStream_tbDpT10_ENKUlT_T0_E_clISt17integral_constantIbLb0EES1B_EEDaS16_S17_EUlS16_E_NS1_11comp_targetILNS1_3genE0ELNS1_11target_archE4294967295ELNS1_3gpuE0ELNS1_3repE0EEENS1_30default_config_static_selectorELNS0_4arch9wavefront6targetE0EEEvT1_,"axG",@progbits,_ZN7rocprim17ROCPRIM_400000_NS6detail17trampoline_kernelINS0_14default_configENS1_25partition_config_selectorILNS1_17partition_subalgoE6EfNS0_10empty_typeEbEEZZNS1_14partition_implILS5_6ELb0ES3_mN6thrust23THRUST_200600_302600_NS6detail15normal_iteratorINSA_10device_ptrIfEEEEPS6_SG_NS0_5tupleIJNSA_16discard_iteratorINSA_11use_defaultEEES6_EEENSH_IJSG_SG_EEES6_PlJNSB_9not_fun_tI7is_trueIfEEEEEE10hipError_tPvRmT3_T4_T5_T6_T7_T9_mT8_P12ihipStream_tbDpT10_ENKUlT_T0_E_clISt17integral_constantIbLb0EES1B_EEDaS16_S17_EUlS16_E_NS1_11comp_targetILNS1_3genE0ELNS1_11target_archE4294967295ELNS1_3gpuE0ELNS1_3repE0EEENS1_30default_config_static_selectorELNS0_4arch9wavefront6targetE0EEEvT1_,comdat
	.protected	_ZN7rocprim17ROCPRIM_400000_NS6detail17trampoline_kernelINS0_14default_configENS1_25partition_config_selectorILNS1_17partition_subalgoE6EfNS0_10empty_typeEbEEZZNS1_14partition_implILS5_6ELb0ES3_mN6thrust23THRUST_200600_302600_NS6detail15normal_iteratorINSA_10device_ptrIfEEEEPS6_SG_NS0_5tupleIJNSA_16discard_iteratorINSA_11use_defaultEEES6_EEENSH_IJSG_SG_EEES6_PlJNSB_9not_fun_tI7is_trueIfEEEEEE10hipError_tPvRmT3_T4_T5_T6_T7_T9_mT8_P12ihipStream_tbDpT10_ENKUlT_T0_E_clISt17integral_constantIbLb0EES1B_EEDaS16_S17_EUlS16_E_NS1_11comp_targetILNS1_3genE0ELNS1_11target_archE4294967295ELNS1_3gpuE0ELNS1_3repE0EEENS1_30default_config_static_selectorELNS0_4arch9wavefront6targetE0EEEvT1_ ; -- Begin function _ZN7rocprim17ROCPRIM_400000_NS6detail17trampoline_kernelINS0_14default_configENS1_25partition_config_selectorILNS1_17partition_subalgoE6EfNS0_10empty_typeEbEEZZNS1_14partition_implILS5_6ELb0ES3_mN6thrust23THRUST_200600_302600_NS6detail15normal_iteratorINSA_10device_ptrIfEEEEPS6_SG_NS0_5tupleIJNSA_16discard_iteratorINSA_11use_defaultEEES6_EEENSH_IJSG_SG_EEES6_PlJNSB_9not_fun_tI7is_trueIfEEEEEE10hipError_tPvRmT3_T4_T5_T6_T7_T9_mT8_P12ihipStream_tbDpT10_ENKUlT_T0_E_clISt17integral_constantIbLb0EES1B_EEDaS16_S17_EUlS16_E_NS1_11comp_targetILNS1_3genE0ELNS1_11target_archE4294967295ELNS1_3gpuE0ELNS1_3repE0EEENS1_30default_config_static_selectorELNS0_4arch9wavefront6targetE0EEEvT1_
	.globl	_ZN7rocprim17ROCPRIM_400000_NS6detail17trampoline_kernelINS0_14default_configENS1_25partition_config_selectorILNS1_17partition_subalgoE6EfNS0_10empty_typeEbEEZZNS1_14partition_implILS5_6ELb0ES3_mN6thrust23THRUST_200600_302600_NS6detail15normal_iteratorINSA_10device_ptrIfEEEEPS6_SG_NS0_5tupleIJNSA_16discard_iteratorINSA_11use_defaultEEES6_EEENSH_IJSG_SG_EEES6_PlJNSB_9not_fun_tI7is_trueIfEEEEEE10hipError_tPvRmT3_T4_T5_T6_T7_T9_mT8_P12ihipStream_tbDpT10_ENKUlT_T0_E_clISt17integral_constantIbLb0EES1B_EEDaS16_S17_EUlS16_E_NS1_11comp_targetILNS1_3genE0ELNS1_11target_archE4294967295ELNS1_3gpuE0ELNS1_3repE0EEENS1_30default_config_static_selectorELNS0_4arch9wavefront6targetE0EEEvT1_
	.p2align	8
	.type	_ZN7rocprim17ROCPRIM_400000_NS6detail17trampoline_kernelINS0_14default_configENS1_25partition_config_selectorILNS1_17partition_subalgoE6EfNS0_10empty_typeEbEEZZNS1_14partition_implILS5_6ELb0ES3_mN6thrust23THRUST_200600_302600_NS6detail15normal_iteratorINSA_10device_ptrIfEEEEPS6_SG_NS0_5tupleIJNSA_16discard_iteratorINSA_11use_defaultEEES6_EEENSH_IJSG_SG_EEES6_PlJNSB_9not_fun_tI7is_trueIfEEEEEE10hipError_tPvRmT3_T4_T5_T6_T7_T9_mT8_P12ihipStream_tbDpT10_ENKUlT_T0_E_clISt17integral_constantIbLb0EES1B_EEDaS16_S17_EUlS16_E_NS1_11comp_targetILNS1_3genE0ELNS1_11target_archE4294967295ELNS1_3gpuE0ELNS1_3repE0EEENS1_30default_config_static_selectorELNS0_4arch9wavefront6targetE0EEEvT1_,@function
_ZN7rocprim17ROCPRIM_400000_NS6detail17trampoline_kernelINS0_14default_configENS1_25partition_config_selectorILNS1_17partition_subalgoE6EfNS0_10empty_typeEbEEZZNS1_14partition_implILS5_6ELb0ES3_mN6thrust23THRUST_200600_302600_NS6detail15normal_iteratorINSA_10device_ptrIfEEEEPS6_SG_NS0_5tupleIJNSA_16discard_iteratorINSA_11use_defaultEEES6_EEENSH_IJSG_SG_EEES6_PlJNSB_9not_fun_tI7is_trueIfEEEEEE10hipError_tPvRmT3_T4_T5_T6_T7_T9_mT8_P12ihipStream_tbDpT10_ENKUlT_T0_E_clISt17integral_constantIbLb0EES1B_EEDaS16_S17_EUlS16_E_NS1_11comp_targetILNS1_3genE0ELNS1_11target_archE4294967295ELNS1_3gpuE0ELNS1_3repE0EEENS1_30default_config_static_selectorELNS0_4arch9wavefront6targetE0EEEvT1_: ; @_ZN7rocprim17ROCPRIM_400000_NS6detail17trampoline_kernelINS0_14default_configENS1_25partition_config_selectorILNS1_17partition_subalgoE6EfNS0_10empty_typeEbEEZZNS1_14partition_implILS5_6ELb0ES3_mN6thrust23THRUST_200600_302600_NS6detail15normal_iteratorINSA_10device_ptrIfEEEEPS6_SG_NS0_5tupleIJNSA_16discard_iteratorINSA_11use_defaultEEES6_EEENSH_IJSG_SG_EEES6_PlJNSB_9not_fun_tI7is_trueIfEEEEEE10hipError_tPvRmT3_T4_T5_T6_T7_T9_mT8_P12ihipStream_tbDpT10_ENKUlT_T0_E_clISt17integral_constantIbLb0EES1B_EEDaS16_S17_EUlS16_E_NS1_11comp_targetILNS1_3genE0ELNS1_11target_archE4294967295ELNS1_3gpuE0ELNS1_3repE0EEENS1_30default_config_static_selectorELNS0_4arch9wavefront6targetE0EEEvT1_
; %bb.0:
	.section	.rodata,"a",@progbits
	.p2align	6, 0x0
	.amdhsa_kernel _ZN7rocprim17ROCPRIM_400000_NS6detail17trampoline_kernelINS0_14default_configENS1_25partition_config_selectorILNS1_17partition_subalgoE6EfNS0_10empty_typeEbEEZZNS1_14partition_implILS5_6ELb0ES3_mN6thrust23THRUST_200600_302600_NS6detail15normal_iteratorINSA_10device_ptrIfEEEEPS6_SG_NS0_5tupleIJNSA_16discard_iteratorINSA_11use_defaultEEES6_EEENSH_IJSG_SG_EEES6_PlJNSB_9not_fun_tI7is_trueIfEEEEEE10hipError_tPvRmT3_T4_T5_T6_T7_T9_mT8_P12ihipStream_tbDpT10_ENKUlT_T0_E_clISt17integral_constantIbLb0EES1B_EEDaS16_S17_EUlS16_E_NS1_11comp_targetILNS1_3genE0ELNS1_11target_archE4294967295ELNS1_3gpuE0ELNS1_3repE0EEENS1_30default_config_static_selectorELNS0_4arch9wavefront6targetE0EEEvT1_
		.amdhsa_group_segment_fixed_size 0
		.amdhsa_private_segment_fixed_size 0
		.amdhsa_kernarg_size 120
		.amdhsa_user_sgpr_count 2
		.amdhsa_user_sgpr_dispatch_ptr 0
		.amdhsa_user_sgpr_queue_ptr 0
		.amdhsa_user_sgpr_kernarg_segment_ptr 1
		.amdhsa_user_sgpr_dispatch_id 0
		.amdhsa_user_sgpr_private_segment_size 0
		.amdhsa_wavefront_size32 1
		.amdhsa_uses_dynamic_stack 0
		.amdhsa_enable_private_segment 0
		.amdhsa_system_sgpr_workgroup_id_x 1
		.amdhsa_system_sgpr_workgroup_id_y 0
		.amdhsa_system_sgpr_workgroup_id_z 0
		.amdhsa_system_sgpr_workgroup_info 0
		.amdhsa_system_vgpr_workitem_id 0
		.amdhsa_next_free_vgpr 1
		.amdhsa_next_free_sgpr 1
		.amdhsa_reserve_vcc 0
		.amdhsa_float_round_mode_32 0
		.amdhsa_float_round_mode_16_64 0
		.amdhsa_float_denorm_mode_32 3
		.amdhsa_float_denorm_mode_16_64 3
		.amdhsa_fp16_overflow 0
		.amdhsa_workgroup_processor_mode 1
		.amdhsa_memory_ordered 1
		.amdhsa_forward_progress 1
		.amdhsa_inst_pref_size 0
		.amdhsa_round_robin_scheduling 0
		.amdhsa_exception_fp_ieee_invalid_op 0
		.amdhsa_exception_fp_denorm_src 0
		.amdhsa_exception_fp_ieee_div_zero 0
		.amdhsa_exception_fp_ieee_overflow 0
		.amdhsa_exception_fp_ieee_underflow 0
		.amdhsa_exception_fp_ieee_inexact 0
		.amdhsa_exception_int_div_zero 0
	.end_amdhsa_kernel
	.section	.text._ZN7rocprim17ROCPRIM_400000_NS6detail17trampoline_kernelINS0_14default_configENS1_25partition_config_selectorILNS1_17partition_subalgoE6EfNS0_10empty_typeEbEEZZNS1_14partition_implILS5_6ELb0ES3_mN6thrust23THRUST_200600_302600_NS6detail15normal_iteratorINSA_10device_ptrIfEEEEPS6_SG_NS0_5tupleIJNSA_16discard_iteratorINSA_11use_defaultEEES6_EEENSH_IJSG_SG_EEES6_PlJNSB_9not_fun_tI7is_trueIfEEEEEE10hipError_tPvRmT3_T4_T5_T6_T7_T9_mT8_P12ihipStream_tbDpT10_ENKUlT_T0_E_clISt17integral_constantIbLb0EES1B_EEDaS16_S17_EUlS16_E_NS1_11comp_targetILNS1_3genE0ELNS1_11target_archE4294967295ELNS1_3gpuE0ELNS1_3repE0EEENS1_30default_config_static_selectorELNS0_4arch9wavefront6targetE0EEEvT1_,"axG",@progbits,_ZN7rocprim17ROCPRIM_400000_NS6detail17trampoline_kernelINS0_14default_configENS1_25partition_config_selectorILNS1_17partition_subalgoE6EfNS0_10empty_typeEbEEZZNS1_14partition_implILS5_6ELb0ES3_mN6thrust23THRUST_200600_302600_NS6detail15normal_iteratorINSA_10device_ptrIfEEEEPS6_SG_NS0_5tupleIJNSA_16discard_iteratorINSA_11use_defaultEEES6_EEENSH_IJSG_SG_EEES6_PlJNSB_9not_fun_tI7is_trueIfEEEEEE10hipError_tPvRmT3_T4_T5_T6_T7_T9_mT8_P12ihipStream_tbDpT10_ENKUlT_T0_E_clISt17integral_constantIbLb0EES1B_EEDaS16_S17_EUlS16_E_NS1_11comp_targetILNS1_3genE0ELNS1_11target_archE4294967295ELNS1_3gpuE0ELNS1_3repE0EEENS1_30default_config_static_selectorELNS0_4arch9wavefront6targetE0EEEvT1_,comdat
.Lfunc_end2109:
	.size	_ZN7rocprim17ROCPRIM_400000_NS6detail17trampoline_kernelINS0_14default_configENS1_25partition_config_selectorILNS1_17partition_subalgoE6EfNS0_10empty_typeEbEEZZNS1_14partition_implILS5_6ELb0ES3_mN6thrust23THRUST_200600_302600_NS6detail15normal_iteratorINSA_10device_ptrIfEEEEPS6_SG_NS0_5tupleIJNSA_16discard_iteratorINSA_11use_defaultEEES6_EEENSH_IJSG_SG_EEES6_PlJNSB_9not_fun_tI7is_trueIfEEEEEE10hipError_tPvRmT3_T4_T5_T6_T7_T9_mT8_P12ihipStream_tbDpT10_ENKUlT_T0_E_clISt17integral_constantIbLb0EES1B_EEDaS16_S17_EUlS16_E_NS1_11comp_targetILNS1_3genE0ELNS1_11target_archE4294967295ELNS1_3gpuE0ELNS1_3repE0EEENS1_30default_config_static_selectorELNS0_4arch9wavefront6targetE0EEEvT1_, .Lfunc_end2109-_ZN7rocprim17ROCPRIM_400000_NS6detail17trampoline_kernelINS0_14default_configENS1_25partition_config_selectorILNS1_17partition_subalgoE6EfNS0_10empty_typeEbEEZZNS1_14partition_implILS5_6ELb0ES3_mN6thrust23THRUST_200600_302600_NS6detail15normal_iteratorINSA_10device_ptrIfEEEEPS6_SG_NS0_5tupleIJNSA_16discard_iteratorINSA_11use_defaultEEES6_EEENSH_IJSG_SG_EEES6_PlJNSB_9not_fun_tI7is_trueIfEEEEEE10hipError_tPvRmT3_T4_T5_T6_T7_T9_mT8_P12ihipStream_tbDpT10_ENKUlT_T0_E_clISt17integral_constantIbLb0EES1B_EEDaS16_S17_EUlS16_E_NS1_11comp_targetILNS1_3genE0ELNS1_11target_archE4294967295ELNS1_3gpuE0ELNS1_3repE0EEENS1_30default_config_static_selectorELNS0_4arch9wavefront6targetE0EEEvT1_
                                        ; -- End function
	.set _ZN7rocprim17ROCPRIM_400000_NS6detail17trampoline_kernelINS0_14default_configENS1_25partition_config_selectorILNS1_17partition_subalgoE6EfNS0_10empty_typeEbEEZZNS1_14partition_implILS5_6ELb0ES3_mN6thrust23THRUST_200600_302600_NS6detail15normal_iteratorINSA_10device_ptrIfEEEEPS6_SG_NS0_5tupleIJNSA_16discard_iteratorINSA_11use_defaultEEES6_EEENSH_IJSG_SG_EEES6_PlJNSB_9not_fun_tI7is_trueIfEEEEEE10hipError_tPvRmT3_T4_T5_T6_T7_T9_mT8_P12ihipStream_tbDpT10_ENKUlT_T0_E_clISt17integral_constantIbLb0EES1B_EEDaS16_S17_EUlS16_E_NS1_11comp_targetILNS1_3genE0ELNS1_11target_archE4294967295ELNS1_3gpuE0ELNS1_3repE0EEENS1_30default_config_static_selectorELNS0_4arch9wavefront6targetE0EEEvT1_.num_vgpr, 0
	.set _ZN7rocprim17ROCPRIM_400000_NS6detail17trampoline_kernelINS0_14default_configENS1_25partition_config_selectorILNS1_17partition_subalgoE6EfNS0_10empty_typeEbEEZZNS1_14partition_implILS5_6ELb0ES3_mN6thrust23THRUST_200600_302600_NS6detail15normal_iteratorINSA_10device_ptrIfEEEEPS6_SG_NS0_5tupleIJNSA_16discard_iteratorINSA_11use_defaultEEES6_EEENSH_IJSG_SG_EEES6_PlJNSB_9not_fun_tI7is_trueIfEEEEEE10hipError_tPvRmT3_T4_T5_T6_T7_T9_mT8_P12ihipStream_tbDpT10_ENKUlT_T0_E_clISt17integral_constantIbLb0EES1B_EEDaS16_S17_EUlS16_E_NS1_11comp_targetILNS1_3genE0ELNS1_11target_archE4294967295ELNS1_3gpuE0ELNS1_3repE0EEENS1_30default_config_static_selectorELNS0_4arch9wavefront6targetE0EEEvT1_.num_agpr, 0
	.set _ZN7rocprim17ROCPRIM_400000_NS6detail17trampoline_kernelINS0_14default_configENS1_25partition_config_selectorILNS1_17partition_subalgoE6EfNS0_10empty_typeEbEEZZNS1_14partition_implILS5_6ELb0ES3_mN6thrust23THRUST_200600_302600_NS6detail15normal_iteratorINSA_10device_ptrIfEEEEPS6_SG_NS0_5tupleIJNSA_16discard_iteratorINSA_11use_defaultEEES6_EEENSH_IJSG_SG_EEES6_PlJNSB_9not_fun_tI7is_trueIfEEEEEE10hipError_tPvRmT3_T4_T5_T6_T7_T9_mT8_P12ihipStream_tbDpT10_ENKUlT_T0_E_clISt17integral_constantIbLb0EES1B_EEDaS16_S17_EUlS16_E_NS1_11comp_targetILNS1_3genE0ELNS1_11target_archE4294967295ELNS1_3gpuE0ELNS1_3repE0EEENS1_30default_config_static_selectorELNS0_4arch9wavefront6targetE0EEEvT1_.numbered_sgpr, 0
	.set _ZN7rocprim17ROCPRIM_400000_NS6detail17trampoline_kernelINS0_14default_configENS1_25partition_config_selectorILNS1_17partition_subalgoE6EfNS0_10empty_typeEbEEZZNS1_14partition_implILS5_6ELb0ES3_mN6thrust23THRUST_200600_302600_NS6detail15normal_iteratorINSA_10device_ptrIfEEEEPS6_SG_NS0_5tupleIJNSA_16discard_iteratorINSA_11use_defaultEEES6_EEENSH_IJSG_SG_EEES6_PlJNSB_9not_fun_tI7is_trueIfEEEEEE10hipError_tPvRmT3_T4_T5_T6_T7_T9_mT8_P12ihipStream_tbDpT10_ENKUlT_T0_E_clISt17integral_constantIbLb0EES1B_EEDaS16_S17_EUlS16_E_NS1_11comp_targetILNS1_3genE0ELNS1_11target_archE4294967295ELNS1_3gpuE0ELNS1_3repE0EEENS1_30default_config_static_selectorELNS0_4arch9wavefront6targetE0EEEvT1_.num_named_barrier, 0
	.set _ZN7rocprim17ROCPRIM_400000_NS6detail17trampoline_kernelINS0_14default_configENS1_25partition_config_selectorILNS1_17partition_subalgoE6EfNS0_10empty_typeEbEEZZNS1_14partition_implILS5_6ELb0ES3_mN6thrust23THRUST_200600_302600_NS6detail15normal_iteratorINSA_10device_ptrIfEEEEPS6_SG_NS0_5tupleIJNSA_16discard_iteratorINSA_11use_defaultEEES6_EEENSH_IJSG_SG_EEES6_PlJNSB_9not_fun_tI7is_trueIfEEEEEE10hipError_tPvRmT3_T4_T5_T6_T7_T9_mT8_P12ihipStream_tbDpT10_ENKUlT_T0_E_clISt17integral_constantIbLb0EES1B_EEDaS16_S17_EUlS16_E_NS1_11comp_targetILNS1_3genE0ELNS1_11target_archE4294967295ELNS1_3gpuE0ELNS1_3repE0EEENS1_30default_config_static_selectorELNS0_4arch9wavefront6targetE0EEEvT1_.private_seg_size, 0
	.set _ZN7rocprim17ROCPRIM_400000_NS6detail17trampoline_kernelINS0_14default_configENS1_25partition_config_selectorILNS1_17partition_subalgoE6EfNS0_10empty_typeEbEEZZNS1_14partition_implILS5_6ELb0ES3_mN6thrust23THRUST_200600_302600_NS6detail15normal_iteratorINSA_10device_ptrIfEEEEPS6_SG_NS0_5tupleIJNSA_16discard_iteratorINSA_11use_defaultEEES6_EEENSH_IJSG_SG_EEES6_PlJNSB_9not_fun_tI7is_trueIfEEEEEE10hipError_tPvRmT3_T4_T5_T6_T7_T9_mT8_P12ihipStream_tbDpT10_ENKUlT_T0_E_clISt17integral_constantIbLb0EES1B_EEDaS16_S17_EUlS16_E_NS1_11comp_targetILNS1_3genE0ELNS1_11target_archE4294967295ELNS1_3gpuE0ELNS1_3repE0EEENS1_30default_config_static_selectorELNS0_4arch9wavefront6targetE0EEEvT1_.uses_vcc, 0
	.set _ZN7rocprim17ROCPRIM_400000_NS6detail17trampoline_kernelINS0_14default_configENS1_25partition_config_selectorILNS1_17partition_subalgoE6EfNS0_10empty_typeEbEEZZNS1_14partition_implILS5_6ELb0ES3_mN6thrust23THRUST_200600_302600_NS6detail15normal_iteratorINSA_10device_ptrIfEEEEPS6_SG_NS0_5tupleIJNSA_16discard_iteratorINSA_11use_defaultEEES6_EEENSH_IJSG_SG_EEES6_PlJNSB_9not_fun_tI7is_trueIfEEEEEE10hipError_tPvRmT3_T4_T5_T6_T7_T9_mT8_P12ihipStream_tbDpT10_ENKUlT_T0_E_clISt17integral_constantIbLb0EES1B_EEDaS16_S17_EUlS16_E_NS1_11comp_targetILNS1_3genE0ELNS1_11target_archE4294967295ELNS1_3gpuE0ELNS1_3repE0EEENS1_30default_config_static_selectorELNS0_4arch9wavefront6targetE0EEEvT1_.uses_flat_scratch, 0
	.set _ZN7rocprim17ROCPRIM_400000_NS6detail17trampoline_kernelINS0_14default_configENS1_25partition_config_selectorILNS1_17partition_subalgoE6EfNS0_10empty_typeEbEEZZNS1_14partition_implILS5_6ELb0ES3_mN6thrust23THRUST_200600_302600_NS6detail15normal_iteratorINSA_10device_ptrIfEEEEPS6_SG_NS0_5tupleIJNSA_16discard_iteratorINSA_11use_defaultEEES6_EEENSH_IJSG_SG_EEES6_PlJNSB_9not_fun_tI7is_trueIfEEEEEE10hipError_tPvRmT3_T4_T5_T6_T7_T9_mT8_P12ihipStream_tbDpT10_ENKUlT_T0_E_clISt17integral_constantIbLb0EES1B_EEDaS16_S17_EUlS16_E_NS1_11comp_targetILNS1_3genE0ELNS1_11target_archE4294967295ELNS1_3gpuE0ELNS1_3repE0EEENS1_30default_config_static_selectorELNS0_4arch9wavefront6targetE0EEEvT1_.has_dyn_sized_stack, 0
	.set _ZN7rocprim17ROCPRIM_400000_NS6detail17trampoline_kernelINS0_14default_configENS1_25partition_config_selectorILNS1_17partition_subalgoE6EfNS0_10empty_typeEbEEZZNS1_14partition_implILS5_6ELb0ES3_mN6thrust23THRUST_200600_302600_NS6detail15normal_iteratorINSA_10device_ptrIfEEEEPS6_SG_NS0_5tupleIJNSA_16discard_iteratorINSA_11use_defaultEEES6_EEENSH_IJSG_SG_EEES6_PlJNSB_9not_fun_tI7is_trueIfEEEEEE10hipError_tPvRmT3_T4_T5_T6_T7_T9_mT8_P12ihipStream_tbDpT10_ENKUlT_T0_E_clISt17integral_constantIbLb0EES1B_EEDaS16_S17_EUlS16_E_NS1_11comp_targetILNS1_3genE0ELNS1_11target_archE4294967295ELNS1_3gpuE0ELNS1_3repE0EEENS1_30default_config_static_selectorELNS0_4arch9wavefront6targetE0EEEvT1_.has_recursion, 0
	.set _ZN7rocprim17ROCPRIM_400000_NS6detail17trampoline_kernelINS0_14default_configENS1_25partition_config_selectorILNS1_17partition_subalgoE6EfNS0_10empty_typeEbEEZZNS1_14partition_implILS5_6ELb0ES3_mN6thrust23THRUST_200600_302600_NS6detail15normal_iteratorINSA_10device_ptrIfEEEEPS6_SG_NS0_5tupleIJNSA_16discard_iteratorINSA_11use_defaultEEES6_EEENSH_IJSG_SG_EEES6_PlJNSB_9not_fun_tI7is_trueIfEEEEEE10hipError_tPvRmT3_T4_T5_T6_T7_T9_mT8_P12ihipStream_tbDpT10_ENKUlT_T0_E_clISt17integral_constantIbLb0EES1B_EEDaS16_S17_EUlS16_E_NS1_11comp_targetILNS1_3genE0ELNS1_11target_archE4294967295ELNS1_3gpuE0ELNS1_3repE0EEENS1_30default_config_static_selectorELNS0_4arch9wavefront6targetE0EEEvT1_.has_indirect_call, 0
	.section	.AMDGPU.csdata,"",@progbits
; Kernel info:
; codeLenInByte = 0
; TotalNumSgprs: 0
; NumVgprs: 0
; ScratchSize: 0
; MemoryBound: 0
; FloatMode: 240
; IeeeMode: 1
; LDSByteSize: 0 bytes/workgroup (compile time only)
; SGPRBlocks: 0
; VGPRBlocks: 0
; NumSGPRsForWavesPerEU: 1
; NumVGPRsForWavesPerEU: 1
; Occupancy: 16
; WaveLimiterHint : 0
; COMPUTE_PGM_RSRC2:SCRATCH_EN: 0
; COMPUTE_PGM_RSRC2:USER_SGPR: 2
; COMPUTE_PGM_RSRC2:TRAP_HANDLER: 0
; COMPUTE_PGM_RSRC2:TGID_X_EN: 1
; COMPUTE_PGM_RSRC2:TGID_Y_EN: 0
; COMPUTE_PGM_RSRC2:TGID_Z_EN: 0
; COMPUTE_PGM_RSRC2:TIDIG_COMP_CNT: 0
	.section	.text._ZN7rocprim17ROCPRIM_400000_NS6detail17trampoline_kernelINS0_14default_configENS1_25partition_config_selectorILNS1_17partition_subalgoE6EfNS0_10empty_typeEbEEZZNS1_14partition_implILS5_6ELb0ES3_mN6thrust23THRUST_200600_302600_NS6detail15normal_iteratorINSA_10device_ptrIfEEEEPS6_SG_NS0_5tupleIJNSA_16discard_iteratorINSA_11use_defaultEEES6_EEENSH_IJSG_SG_EEES6_PlJNSB_9not_fun_tI7is_trueIfEEEEEE10hipError_tPvRmT3_T4_T5_T6_T7_T9_mT8_P12ihipStream_tbDpT10_ENKUlT_T0_E_clISt17integral_constantIbLb0EES1B_EEDaS16_S17_EUlS16_E_NS1_11comp_targetILNS1_3genE5ELNS1_11target_archE942ELNS1_3gpuE9ELNS1_3repE0EEENS1_30default_config_static_selectorELNS0_4arch9wavefront6targetE0EEEvT1_,"axG",@progbits,_ZN7rocprim17ROCPRIM_400000_NS6detail17trampoline_kernelINS0_14default_configENS1_25partition_config_selectorILNS1_17partition_subalgoE6EfNS0_10empty_typeEbEEZZNS1_14partition_implILS5_6ELb0ES3_mN6thrust23THRUST_200600_302600_NS6detail15normal_iteratorINSA_10device_ptrIfEEEEPS6_SG_NS0_5tupleIJNSA_16discard_iteratorINSA_11use_defaultEEES6_EEENSH_IJSG_SG_EEES6_PlJNSB_9not_fun_tI7is_trueIfEEEEEE10hipError_tPvRmT3_T4_T5_T6_T7_T9_mT8_P12ihipStream_tbDpT10_ENKUlT_T0_E_clISt17integral_constantIbLb0EES1B_EEDaS16_S17_EUlS16_E_NS1_11comp_targetILNS1_3genE5ELNS1_11target_archE942ELNS1_3gpuE9ELNS1_3repE0EEENS1_30default_config_static_selectorELNS0_4arch9wavefront6targetE0EEEvT1_,comdat
	.protected	_ZN7rocprim17ROCPRIM_400000_NS6detail17trampoline_kernelINS0_14default_configENS1_25partition_config_selectorILNS1_17partition_subalgoE6EfNS0_10empty_typeEbEEZZNS1_14partition_implILS5_6ELb0ES3_mN6thrust23THRUST_200600_302600_NS6detail15normal_iteratorINSA_10device_ptrIfEEEEPS6_SG_NS0_5tupleIJNSA_16discard_iteratorINSA_11use_defaultEEES6_EEENSH_IJSG_SG_EEES6_PlJNSB_9not_fun_tI7is_trueIfEEEEEE10hipError_tPvRmT3_T4_T5_T6_T7_T9_mT8_P12ihipStream_tbDpT10_ENKUlT_T0_E_clISt17integral_constantIbLb0EES1B_EEDaS16_S17_EUlS16_E_NS1_11comp_targetILNS1_3genE5ELNS1_11target_archE942ELNS1_3gpuE9ELNS1_3repE0EEENS1_30default_config_static_selectorELNS0_4arch9wavefront6targetE0EEEvT1_ ; -- Begin function _ZN7rocprim17ROCPRIM_400000_NS6detail17trampoline_kernelINS0_14default_configENS1_25partition_config_selectorILNS1_17partition_subalgoE6EfNS0_10empty_typeEbEEZZNS1_14partition_implILS5_6ELb0ES3_mN6thrust23THRUST_200600_302600_NS6detail15normal_iteratorINSA_10device_ptrIfEEEEPS6_SG_NS0_5tupleIJNSA_16discard_iteratorINSA_11use_defaultEEES6_EEENSH_IJSG_SG_EEES6_PlJNSB_9not_fun_tI7is_trueIfEEEEEE10hipError_tPvRmT3_T4_T5_T6_T7_T9_mT8_P12ihipStream_tbDpT10_ENKUlT_T0_E_clISt17integral_constantIbLb0EES1B_EEDaS16_S17_EUlS16_E_NS1_11comp_targetILNS1_3genE5ELNS1_11target_archE942ELNS1_3gpuE9ELNS1_3repE0EEENS1_30default_config_static_selectorELNS0_4arch9wavefront6targetE0EEEvT1_
	.globl	_ZN7rocprim17ROCPRIM_400000_NS6detail17trampoline_kernelINS0_14default_configENS1_25partition_config_selectorILNS1_17partition_subalgoE6EfNS0_10empty_typeEbEEZZNS1_14partition_implILS5_6ELb0ES3_mN6thrust23THRUST_200600_302600_NS6detail15normal_iteratorINSA_10device_ptrIfEEEEPS6_SG_NS0_5tupleIJNSA_16discard_iteratorINSA_11use_defaultEEES6_EEENSH_IJSG_SG_EEES6_PlJNSB_9not_fun_tI7is_trueIfEEEEEE10hipError_tPvRmT3_T4_T5_T6_T7_T9_mT8_P12ihipStream_tbDpT10_ENKUlT_T0_E_clISt17integral_constantIbLb0EES1B_EEDaS16_S17_EUlS16_E_NS1_11comp_targetILNS1_3genE5ELNS1_11target_archE942ELNS1_3gpuE9ELNS1_3repE0EEENS1_30default_config_static_selectorELNS0_4arch9wavefront6targetE0EEEvT1_
	.p2align	8
	.type	_ZN7rocprim17ROCPRIM_400000_NS6detail17trampoline_kernelINS0_14default_configENS1_25partition_config_selectorILNS1_17partition_subalgoE6EfNS0_10empty_typeEbEEZZNS1_14partition_implILS5_6ELb0ES3_mN6thrust23THRUST_200600_302600_NS6detail15normal_iteratorINSA_10device_ptrIfEEEEPS6_SG_NS0_5tupleIJNSA_16discard_iteratorINSA_11use_defaultEEES6_EEENSH_IJSG_SG_EEES6_PlJNSB_9not_fun_tI7is_trueIfEEEEEE10hipError_tPvRmT3_T4_T5_T6_T7_T9_mT8_P12ihipStream_tbDpT10_ENKUlT_T0_E_clISt17integral_constantIbLb0EES1B_EEDaS16_S17_EUlS16_E_NS1_11comp_targetILNS1_3genE5ELNS1_11target_archE942ELNS1_3gpuE9ELNS1_3repE0EEENS1_30default_config_static_selectorELNS0_4arch9wavefront6targetE0EEEvT1_,@function
_ZN7rocprim17ROCPRIM_400000_NS6detail17trampoline_kernelINS0_14default_configENS1_25partition_config_selectorILNS1_17partition_subalgoE6EfNS0_10empty_typeEbEEZZNS1_14partition_implILS5_6ELb0ES3_mN6thrust23THRUST_200600_302600_NS6detail15normal_iteratorINSA_10device_ptrIfEEEEPS6_SG_NS0_5tupleIJNSA_16discard_iteratorINSA_11use_defaultEEES6_EEENSH_IJSG_SG_EEES6_PlJNSB_9not_fun_tI7is_trueIfEEEEEE10hipError_tPvRmT3_T4_T5_T6_T7_T9_mT8_P12ihipStream_tbDpT10_ENKUlT_T0_E_clISt17integral_constantIbLb0EES1B_EEDaS16_S17_EUlS16_E_NS1_11comp_targetILNS1_3genE5ELNS1_11target_archE942ELNS1_3gpuE9ELNS1_3repE0EEENS1_30default_config_static_selectorELNS0_4arch9wavefront6targetE0EEEvT1_: ; @_ZN7rocprim17ROCPRIM_400000_NS6detail17trampoline_kernelINS0_14default_configENS1_25partition_config_selectorILNS1_17partition_subalgoE6EfNS0_10empty_typeEbEEZZNS1_14partition_implILS5_6ELb0ES3_mN6thrust23THRUST_200600_302600_NS6detail15normal_iteratorINSA_10device_ptrIfEEEEPS6_SG_NS0_5tupleIJNSA_16discard_iteratorINSA_11use_defaultEEES6_EEENSH_IJSG_SG_EEES6_PlJNSB_9not_fun_tI7is_trueIfEEEEEE10hipError_tPvRmT3_T4_T5_T6_T7_T9_mT8_P12ihipStream_tbDpT10_ENKUlT_T0_E_clISt17integral_constantIbLb0EES1B_EEDaS16_S17_EUlS16_E_NS1_11comp_targetILNS1_3genE5ELNS1_11target_archE942ELNS1_3gpuE9ELNS1_3repE0EEENS1_30default_config_static_selectorELNS0_4arch9wavefront6targetE0EEEvT1_
; %bb.0:
	.section	.rodata,"a",@progbits
	.p2align	6, 0x0
	.amdhsa_kernel _ZN7rocprim17ROCPRIM_400000_NS6detail17trampoline_kernelINS0_14default_configENS1_25partition_config_selectorILNS1_17partition_subalgoE6EfNS0_10empty_typeEbEEZZNS1_14partition_implILS5_6ELb0ES3_mN6thrust23THRUST_200600_302600_NS6detail15normal_iteratorINSA_10device_ptrIfEEEEPS6_SG_NS0_5tupleIJNSA_16discard_iteratorINSA_11use_defaultEEES6_EEENSH_IJSG_SG_EEES6_PlJNSB_9not_fun_tI7is_trueIfEEEEEE10hipError_tPvRmT3_T4_T5_T6_T7_T9_mT8_P12ihipStream_tbDpT10_ENKUlT_T0_E_clISt17integral_constantIbLb0EES1B_EEDaS16_S17_EUlS16_E_NS1_11comp_targetILNS1_3genE5ELNS1_11target_archE942ELNS1_3gpuE9ELNS1_3repE0EEENS1_30default_config_static_selectorELNS0_4arch9wavefront6targetE0EEEvT1_
		.amdhsa_group_segment_fixed_size 0
		.amdhsa_private_segment_fixed_size 0
		.amdhsa_kernarg_size 120
		.amdhsa_user_sgpr_count 2
		.amdhsa_user_sgpr_dispatch_ptr 0
		.amdhsa_user_sgpr_queue_ptr 0
		.amdhsa_user_sgpr_kernarg_segment_ptr 1
		.amdhsa_user_sgpr_dispatch_id 0
		.amdhsa_user_sgpr_private_segment_size 0
		.amdhsa_wavefront_size32 1
		.amdhsa_uses_dynamic_stack 0
		.amdhsa_enable_private_segment 0
		.amdhsa_system_sgpr_workgroup_id_x 1
		.amdhsa_system_sgpr_workgroup_id_y 0
		.amdhsa_system_sgpr_workgroup_id_z 0
		.amdhsa_system_sgpr_workgroup_info 0
		.amdhsa_system_vgpr_workitem_id 0
		.amdhsa_next_free_vgpr 1
		.amdhsa_next_free_sgpr 1
		.amdhsa_reserve_vcc 0
		.amdhsa_float_round_mode_32 0
		.amdhsa_float_round_mode_16_64 0
		.amdhsa_float_denorm_mode_32 3
		.amdhsa_float_denorm_mode_16_64 3
		.amdhsa_fp16_overflow 0
		.amdhsa_workgroup_processor_mode 1
		.amdhsa_memory_ordered 1
		.amdhsa_forward_progress 1
		.amdhsa_inst_pref_size 0
		.amdhsa_round_robin_scheduling 0
		.amdhsa_exception_fp_ieee_invalid_op 0
		.amdhsa_exception_fp_denorm_src 0
		.amdhsa_exception_fp_ieee_div_zero 0
		.amdhsa_exception_fp_ieee_overflow 0
		.amdhsa_exception_fp_ieee_underflow 0
		.amdhsa_exception_fp_ieee_inexact 0
		.amdhsa_exception_int_div_zero 0
	.end_amdhsa_kernel
	.section	.text._ZN7rocprim17ROCPRIM_400000_NS6detail17trampoline_kernelINS0_14default_configENS1_25partition_config_selectorILNS1_17partition_subalgoE6EfNS0_10empty_typeEbEEZZNS1_14partition_implILS5_6ELb0ES3_mN6thrust23THRUST_200600_302600_NS6detail15normal_iteratorINSA_10device_ptrIfEEEEPS6_SG_NS0_5tupleIJNSA_16discard_iteratorINSA_11use_defaultEEES6_EEENSH_IJSG_SG_EEES6_PlJNSB_9not_fun_tI7is_trueIfEEEEEE10hipError_tPvRmT3_T4_T5_T6_T7_T9_mT8_P12ihipStream_tbDpT10_ENKUlT_T0_E_clISt17integral_constantIbLb0EES1B_EEDaS16_S17_EUlS16_E_NS1_11comp_targetILNS1_3genE5ELNS1_11target_archE942ELNS1_3gpuE9ELNS1_3repE0EEENS1_30default_config_static_selectorELNS0_4arch9wavefront6targetE0EEEvT1_,"axG",@progbits,_ZN7rocprim17ROCPRIM_400000_NS6detail17trampoline_kernelINS0_14default_configENS1_25partition_config_selectorILNS1_17partition_subalgoE6EfNS0_10empty_typeEbEEZZNS1_14partition_implILS5_6ELb0ES3_mN6thrust23THRUST_200600_302600_NS6detail15normal_iteratorINSA_10device_ptrIfEEEEPS6_SG_NS0_5tupleIJNSA_16discard_iteratorINSA_11use_defaultEEES6_EEENSH_IJSG_SG_EEES6_PlJNSB_9not_fun_tI7is_trueIfEEEEEE10hipError_tPvRmT3_T4_T5_T6_T7_T9_mT8_P12ihipStream_tbDpT10_ENKUlT_T0_E_clISt17integral_constantIbLb0EES1B_EEDaS16_S17_EUlS16_E_NS1_11comp_targetILNS1_3genE5ELNS1_11target_archE942ELNS1_3gpuE9ELNS1_3repE0EEENS1_30default_config_static_selectorELNS0_4arch9wavefront6targetE0EEEvT1_,comdat
.Lfunc_end2110:
	.size	_ZN7rocprim17ROCPRIM_400000_NS6detail17trampoline_kernelINS0_14default_configENS1_25partition_config_selectorILNS1_17partition_subalgoE6EfNS0_10empty_typeEbEEZZNS1_14partition_implILS5_6ELb0ES3_mN6thrust23THRUST_200600_302600_NS6detail15normal_iteratorINSA_10device_ptrIfEEEEPS6_SG_NS0_5tupleIJNSA_16discard_iteratorINSA_11use_defaultEEES6_EEENSH_IJSG_SG_EEES6_PlJNSB_9not_fun_tI7is_trueIfEEEEEE10hipError_tPvRmT3_T4_T5_T6_T7_T9_mT8_P12ihipStream_tbDpT10_ENKUlT_T0_E_clISt17integral_constantIbLb0EES1B_EEDaS16_S17_EUlS16_E_NS1_11comp_targetILNS1_3genE5ELNS1_11target_archE942ELNS1_3gpuE9ELNS1_3repE0EEENS1_30default_config_static_selectorELNS0_4arch9wavefront6targetE0EEEvT1_, .Lfunc_end2110-_ZN7rocprim17ROCPRIM_400000_NS6detail17trampoline_kernelINS0_14default_configENS1_25partition_config_selectorILNS1_17partition_subalgoE6EfNS0_10empty_typeEbEEZZNS1_14partition_implILS5_6ELb0ES3_mN6thrust23THRUST_200600_302600_NS6detail15normal_iteratorINSA_10device_ptrIfEEEEPS6_SG_NS0_5tupleIJNSA_16discard_iteratorINSA_11use_defaultEEES6_EEENSH_IJSG_SG_EEES6_PlJNSB_9not_fun_tI7is_trueIfEEEEEE10hipError_tPvRmT3_T4_T5_T6_T7_T9_mT8_P12ihipStream_tbDpT10_ENKUlT_T0_E_clISt17integral_constantIbLb0EES1B_EEDaS16_S17_EUlS16_E_NS1_11comp_targetILNS1_3genE5ELNS1_11target_archE942ELNS1_3gpuE9ELNS1_3repE0EEENS1_30default_config_static_selectorELNS0_4arch9wavefront6targetE0EEEvT1_
                                        ; -- End function
	.set _ZN7rocprim17ROCPRIM_400000_NS6detail17trampoline_kernelINS0_14default_configENS1_25partition_config_selectorILNS1_17partition_subalgoE6EfNS0_10empty_typeEbEEZZNS1_14partition_implILS5_6ELb0ES3_mN6thrust23THRUST_200600_302600_NS6detail15normal_iteratorINSA_10device_ptrIfEEEEPS6_SG_NS0_5tupleIJNSA_16discard_iteratorINSA_11use_defaultEEES6_EEENSH_IJSG_SG_EEES6_PlJNSB_9not_fun_tI7is_trueIfEEEEEE10hipError_tPvRmT3_T4_T5_T6_T7_T9_mT8_P12ihipStream_tbDpT10_ENKUlT_T0_E_clISt17integral_constantIbLb0EES1B_EEDaS16_S17_EUlS16_E_NS1_11comp_targetILNS1_3genE5ELNS1_11target_archE942ELNS1_3gpuE9ELNS1_3repE0EEENS1_30default_config_static_selectorELNS0_4arch9wavefront6targetE0EEEvT1_.num_vgpr, 0
	.set _ZN7rocprim17ROCPRIM_400000_NS6detail17trampoline_kernelINS0_14default_configENS1_25partition_config_selectorILNS1_17partition_subalgoE6EfNS0_10empty_typeEbEEZZNS1_14partition_implILS5_6ELb0ES3_mN6thrust23THRUST_200600_302600_NS6detail15normal_iteratorINSA_10device_ptrIfEEEEPS6_SG_NS0_5tupleIJNSA_16discard_iteratorINSA_11use_defaultEEES6_EEENSH_IJSG_SG_EEES6_PlJNSB_9not_fun_tI7is_trueIfEEEEEE10hipError_tPvRmT3_T4_T5_T6_T7_T9_mT8_P12ihipStream_tbDpT10_ENKUlT_T0_E_clISt17integral_constantIbLb0EES1B_EEDaS16_S17_EUlS16_E_NS1_11comp_targetILNS1_3genE5ELNS1_11target_archE942ELNS1_3gpuE9ELNS1_3repE0EEENS1_30default_config_static_selectorELNS0_4arch9wavefront6targetE0EEEvT1_.num_agpr, 0
	.set _ZN7rocprim17ROCPRIM_400000_NS6detail17trampoline_kernelINS0_14default_configENS1_25partition_config_selectorILNS1_17partition_subalgoE6EfNS0_10empty_typeEbEEZZNS1_14partition_implILS5_6ELb0ES3_mN6thrust23THRUST_200600_302600_NS6detail15normal_iteratorINSA_10device_ptrIfEEEEPS6_SG_NS0_5tupleIJNSA_16discard_iteratorINSA_11use_defaultEEES6_EEENSH_IJSG_SG_EEES6_PlJNSB_9not_fun_tI7is_trueIfEEEEEE10hipError_tPvRmT3_T4_T5_T6_T7_T9_mT8_P12ihipStream_tbDpT10_ENKUlT_T0_E_clISt17integral_constantIbLb0EES1B_EEDaS16_S17_EUlS16_E_NS1_11comp_targetILNS1_3genE5ELNS1_11target_archE942ELNS1_3gpuE9ELNS1_3repE0EEENS1_30default_config_static_selectorELNS0_4arch9wavefront6targetE0EEEvT1_.numbered_sgpr, 0
	.set _ZN7rocprim17ROCPRIM_400000_NS6detail17trampoline_kernelINS0_14default_configENS1_25partition_config_selectorILNS1_17partition_subalgoE6EfNS0_10empty_typeEbEEZZNS1_14partition_implILS5_6ELb0ES3_mN6thrust23THRUST_200600_302600_NS6detail15normal_iteratorINSA_10device_ptrIfEEEEPS6_SG_NS0_5tupleIJNSA_16discard_iteratorINSA_11use_defaultEEES6_EEENSH_IJSG_SG_EEES6_PlJNSB_9not_fun_tI7is_trueIfEEEEEE10hipError_tPvRmT3_T4_T5_T6_T7_T9_mT8_P12ihipStream_tbDpT10_ENKUlT_T0_E_clISt17integral_constantIbLb0EES1B_EEDaS16_S17_EUlS16_E_NS1_11comp_targetILNS1_3genE5ELNS1_11target_archE942ELNS1_3gpuE9ELNS1_3repE0EEENS1_30default_config_static_selectorELNS0_4arch9wavefront6targetE0EEEvT1_.num_named_barrier, 0
	.set _ZN7rocprim17ROCPRIM_400000_NS6detail17trampoline_kernelINS0_14default_configENS1_25partition_config_selectorILNS1_17partition_subalgoE6EfNS0_10empty_typeEbEEZZNS1_14partition_implILS5_6ELb0ES3_mN6thrust23THRUST_200600_302600_NS6detail15normal_iteratorINSA_10device_ptrIfEEEEPS6_SG_NS0_5tupleIJNSA_16discard_iteratorINSA_11use_defaultEEES6_EEENSH_IJSG_SG_EEES6_PlJNSB_9not_fun_tI7is_trueIfEEEEEE10hipError_tPvRmT3_T4_T5_T6_T7_T9_mT8_P12ihipStream_tbDpT10_ENKUlT_T0_E_clISt17integral_constantIbLb0EES1B_EEDaS16_S17_EUlS16_E_NS1_11comp_targetILNS1_3genE5ELNS1_11target_archE942ELNS1_3gpuE9ELNS1_3repE0EEENS1_30default_config_static_selectorELNS0_4arch9wavefront6targetE0EEEvT1_.private_seg_size, 0
	.set _ZN7rocprim17ROCPRIM_400000_NS6detail17trampoline_kernelINS0_14default_configENS1_25partition_config_selectorILNS1_17partition_subalgoE6EfNS0_10empty_typeEbEEZZNS1_14partition_implILS5_6ELb0ES3_mN6thrust23THRUST_200600_302600_NS6detail15normal_iteratorINSA_10device_ptrIfEEEEPS6_SG_NS0_5tupleIJNSA_16discard_iteratorINSA_11use_defaultEEES6_EEENSH_IJSG_SG_EEES6_PlJNSB_9not_fun_tI7is_trueIfEEEEEE10hipError_tPvRmT3_T4_T5_T6_T7_T9_mT8_P12ihipStream_tbDpT10_ENKUlT_T0_E_clISt17integral_constantIbLb0EES1B_EEDaS16_S17_EUlS16_E_NS1_11comp_targetILNS1_3genE5ELNS1_11target_archE942ELNS1_3gpuE9ELNS1_3repE0EEENS1_30default_config_static_selectorELNS0_4arch9wavefront6targetE0EEEvT1_.uses_vcc, 0
	.set _ZN7rocprim17ROCPRIM_400000_NS6detail17trampoline_kernelINS0_14default_configENS1_25partition_config_selectorILNS1_17partition_subalgoE6EfNS0_10empty_typeEbEEZZNS1_14partition_implILS5_6ELb0ES3_mN6thrust23THRUST_200600_302600_NS6detail15normal_iteratorINSA_10device_ptrIfEEEEPS6_SG_NS0_5tupleIJNSA_16discard_iteratorINSA_11use_defaultEEES6_EEENSH_IJSG_SG_EEES6_PlJNSB_9not_fun_tI7is_trueIfEEEEEE10hipError_tPvRmT3_T4_T5_T6_T7_T9_mT8_P12ihipStream_tbDpT10_ENKUlT_T0_E_clISt17integral_constantIbLb0EES1B_EEDaS16_S17_EUlS16_E_NS1_11comp_targetILNS1_3genE5ELNS1_11target_archE942ELNS1_3gpuE9ELNS1_3repE0EEENS1_30default_config_static_selectorELNS0_4arch9wavefront6targetE0EEEvT1_.uses_flat_scratch, 0
	.set _ZN7rocprim17ROCPRIM_400000_NS6detail17trampoline_kernelINS0_14default_configENS1_25partition_config_selectorILNS1_17partition_subalgoE6EfNS0_10empty_typeEbEEZZNS1_14partition_implILS5_6ELb0ES3_mN6thrust23THRUST_200600_302600_NS6detail15normal_iteratorINSA_10device_ptrIfEEEEPS6_SG_NS0_5tupleIJNSA_16discard_iteratorINSA_11use_defaultEEES6_EEENSH_IJSG_SG_EEES6_PlJNSB_9not_fun_tI7is_trueIfEEEEEE10hipError_tPvRmT3_T4_T5_T6_T7_T9_mT8_P12ihipStream_tbDpT10_ENKUlT_T0_E_clISt17integral_constantIbLb0EES1B_EEDaS16_S17_EUlS16_E_NS1_11comp_targetILNS1_3genE5ELNS1_11target_archE942ELNS1_3gpuE9ELNS1_3repE0EEENS1_30default_config_static_selectorELNS0_4arch9wavefront6targetE0EEEvT1_.has_dyn_sized_stack, 0
	.set _ZN7rocprim17ROCPRIM_400000_NS6detail17trampoline_kernelINS0_14default_configENS1_25partition_config_selectorILNS1_17partition_subalgoE6EfNS0_10empty_typeEbEEZZNS1_14partition_implILS5_6ELb0ES3_mN6thrust23THRUST_200600_302600_NS6detail15normal_iteratorINSA_10device_ptrIfEEEEPS6_SG_NS0_5tupleIJNSA_16discard_iteratorINSA_11use_defaultEEES6_EEENSH_IJSG_SG_EEES6_PlJNSB_9not_fun_tI7is_trueIfEEEEEE10hipError_tPvRmT3_T4_T5_T6_T7_T9_mT8_P12ihipStream_tbDpT10_ENKUlT_T0_E_clISt17integral_constantIbLb0EES1B_EEDaS16_S17_EUlS16_E_NS1_11comp_targetILNS1_3genE5ELNS1_11target_archE942ELNS1_3gpuE9ELNS1_3repE0EEENS1_30default_config_static_selectorELNS0_4arch9wavefront6targetE0EEEvT1_.has_recursion, 0
	.set _ZN7rocprim17ROCPRIM_400000_NS6detail17trampoline_kernelINS0_14default_configENS1_25partition_config_selectorILNS1_17partition_subalgoE6EfNS0_10empty_typeEbEEZZNS1_14partition_implILS5_6ELb0ES3_mN6thrust23THRUST_200600_302600_NS6detail15normal_iteratorINSA_10device_ptrIfEEEEPS6_SG_NS0_5tupleIJNSA_16discard_iteratorINSA_11use_defaultEEES6_EEENSH_IJSG_SG_EEES6_PlJNSB_9not_fun_tI7is_trueIfEEEEEE10hipError_tPvRmT3_T4_T5_T6_T7_T9_mT8_P12ihipStream_tbDpT10_ENKUlT_T0_E_clISt17integral_constantIbLb0EES1B_EEDaS16_S17_EUlS16_E_NS1_11comp_targetILNS1_3genE5ELNS1_11target_archE942ELNS1_3gpuE9ELNS1_3repE0EEENS1_30default_config_static_selectorELNS0_4arch9wavefront6targetE0EEEvT1_.has_indirect_call, 0
	.section	.AMDGPU.csdata,"",@progbits
; Kernel info:
; codeLenInByte = 0
; TotalNumSgprs: 0
; NumVgprs: 0
; ScratchSize: 0
; MemoryBound: 0
; FloatMode: 240
; IeeeMode: 1
; LDSByteSize: 0 bytes/workgroup (compile time only)
; SGPRBlocks: 0
; VGPRBlocks: 0
; NumSGPRsForWavesPerEU: 1
; NumVGPRsForWavesPerEU: 1
; Occupancy: 16
; WaveLimiterHint : 0
; COMPUTE_PGM_RSRC2:SCRATCH_EN: 0
; COMPUTE_PGM_RSRC2:USER_SGPR: 2
; COMPUTE_PGM_RSRC2:TRAP_HANDLER: 0
; COMPUTE_PGM_RSRC2:TGID_X_EN: 1
; COMPUTE_PGM_RSRC2:TGID_Y_EN: 0
; COMPUTE_PGM_RSRC2:TGID_Z_EN: 0
; COMPUTE_PGM_RSRC2:TIDIG_COMP_CNT: 0
	.section	.text._ZN7rocprim17ROCPRIM_400000_NS6detail17trampoline_kernelINS0_14default_configENS1_25partition_config_selectorILNS1_17partition_subalgoE6EfNS0_10empty_typeEbEEZZNS1_14partition_implILS5_6ELb0ES3_mN6thrust23THRUST_200600_302600_NS6detail15normal_iteratorINSA_10device_ptrIfEEEEPS6_SG_NS0_5tupleIJNSA_16discard_iteratorINSA_11use_defaultEEES6_EEENSH_IJSG_SG_EEES6_PlJNSB_9not_fun_tI7is_trueIfEEEEEE10hipError_tPvRmT3_T4_T5_T6_T7_T9_mT8_P12ihipStream_tbDpT10_ENKUlT_T0_E_clISt17integral_constantIbLb0EES1B_EEDaS16_S17_EUlS16_E_NS1_11comp_targetILNS1_3genE4ELNS1_11target_archE910ELNS1_3gpuE8ELNS1_3repE0EEENS1_30default_config_static_selectorELNS0_4arch9wavefront6targetE0EEEvT1_,"axG",@progbits,_ZN7rocprim17ROCPRIM_400000_NS6detail17trampoline_kernelINS0_14default_configENS1_25partition_config_selectorILNS1_17partition_subalgoE6EfNS0_10empty_typeEbEEZZNS1_14partition_implILS5_6ELb0ES3_mN6thrust23THRUST_200600_302600_NS6detail15normal_iteratorINSA_10device_ptrIfEEEEPS6_SG_NS0_5tupleIJNSA_16discard_iteratorINSA_11use_defaultEEES6_EEENSH_IJSG_SG_EEES6_PlJNSB_9not_fun_tI7is_trueIfEEEEEE10hipError_tPvRmT3_T4_T5_T6_T7_T9_mT8_P12ihipStream_tbDpT10_ENKUlT_T0_E_clISt17integral_constantIbLb0EES1B_EEDaS16_S17_EUlS16_E_NS1_11comp_targetILNS1_3genE4ELNS1_11target_archE910ELNS1_3gpuE8ELNS1_3repE0EEENS1_30default_config_static_selectorELNS0_4arch9wavefront6targetE0EEEvT1_,comdat
	.protected	_ZN7rocprim17ROCPRIM_400000_NS6detail17trampoline_kernelINS0_14default_configENS1_25partition_config_selectorILNS1_17partition_subalgoE6EfNS0_10empty_typeEbEEZZNS1_14partition_implILS5_6ELb0ES3_mN6thrust23THRUST_200600_302600_NS6detail15normal_iteratorINSA_10device_ptrIfEEEEPS6_SG_NS0_5tupleIJNSA_16discard_iteratorINSA_11use_defaultEEES6_EEENSH_IJSG_SG_EEES6_PlJNSB_9not_fun_tI7is_trueIfEEEEEE10hipError_tPvRmT3_T4_T5_T6_T7_T9_mT8_P12ihipStream_tbDpT10_ENKUlT_T0_E_clISt17integral_constantIbLb0EES1B_EEDaS16_S17_EUlS16_E_NS1_11comp_targetILNS1_3genE4ELNS1_11target_archE910ELNS1_3gpuE8ELNS1_3repE0EEENS1_30default_config_static_selectorELNS0_4arch9wavefront6targetE0EEEvT1_ ; -- Begin function _ZN7rocprim17ROCPRIM_400000_NS6detail17trampoline_kernelINS0_14default_configENS1_25partition_config_selectorILNS1_17partition_subalgoE6EfNS0_10empty_typeEbEEZZNS1_14partition_implILS5_6ELb0ES3_mN6thrust23THRUST_200600_302600_NS6detail15normal_iteratorINSA_10device_ptrIfEEEEPS6_SG_NS0_5tupleIJNSA_16discard_iteratorINSA_11use_defaultEEES6_EEENSH_IJSG_SG_EEES6_PlJNSB_9not_fun_tI7is_trueIfEEEEEE10hipError_tPvRmT3_T4_T5_T6_T7_T9_mT8_P12ihipStream_tbDpT10_ENKUlT_T0_E_clISt17integral_constantIbLb0EES1B_EEDaS16_S17_EUlS16_E_NS1_11comp_targetILNS1_3genE4ELNS1_11target_archE910ELNS1_3gpuE8ELNS1_3repE0EEENS1_30default_config_static_selectorELNS0_4arch9wavefront6targetE0EEEvT1_
	.globl	_ZN7rocprim17ROCPRIM_400000_NS6detail17trampoline_kernelINS0_14default_configENS1_25partition_config_selectorILNS1_17partition_subalgoE6EfNS0_10empty_typeEbEEZZNS1_14partition_implILS5_6ELb0ES3_mN6thrust23THRUST_200600_302600_NS6detail15normal_iteratorINSA_10device_ptrIfEEEEPS6_SG_NS0_5tupleIJNSA_16discard_iteratorINSA_11use_defaultEEES6_EEENSH_IJSG_SG_EEES6_PlJNSB_9not_fun_tI7is_trueIfEEEEEE10hipError_tPvRmT3_T4_T5_T6_T7_T9_mT8_P12ihipStream_tbDpT10_ENKUlT_T0_E_clISt17integral_constantIbLb0EES1B_EEDaS16_S17_EUlS16_E_NS1_11comp_targetILNS1_3genE4ELNS1_11target_archE910ELNS1_3gpuE8ELNS1_3repE0EEENS1_30default_config_static_selectorELNS0_4arch9wavefront6targetE0EEEvT1_
	.p2align	8
	.type	_ZN7rocprim17ROCPRIM_400000_NS6detail17trampoline_kernelINS0_14default_configENS1_25partition_config_selectorILNS1_17partition_subalgoE6EfNS0_10empty_typeEbEEZZNS1_14partition_implILS5_6ELb0ES3_mN6thrust23THRUST_200600_302600_NS6detail15normal_iteratorINSA_10device_ptrIfEEEEPS6_SG_NS0_5tupleIJNSA_16discard_iteratorINSA_11use_defaultEEES6_EEENSH_IJSG_SG_EEES6_PlJNSB_9not_fun_tI7is_trueIfEEEEEE10hipError_tPvRmT3_T4_T5_T6_T7_T9_mT8_P12ihipStream_tbDpT10_ENKUlT_T0_E_clISt17integral_constantIbLb0EES1B_EEDaS16_S17_EUlS16_E_NS1_11comp_targetILNS1_3genE4ELNS1_11target_archE910ELNS1_3gpuE8ELNS1_3repE0EEENS1_30default_config_static_selectorELNS0_4arch9wavefront6targetE0EEEvT1_,@function
_ZN7rocprim17ROCPRIM_400000_NS6detail17trampoline_kernelINS0_14default_configENS1_25partition_config_selectorILNS1_17partition_subalgoE6EfNS0_10empty_typeEbEEZZNS1_14partition_implILS5_6ELb0ES3_mN6thrust23THRUST_200600_302600_NS6detail15normal_iteratorINSA_10device_ptrIfEEEEPS6_SG_NS0_5tupleIJNSA_16discard_iteratorINSA_11use_defaultEEES6_EEENSH_IJSG_SG_EEES6_PlJNSB_9not_fun_tI7is_trueIfEEEEEE10hipError_tPvRmT3_T4_T5_T6_T7_T9_mT8_P12ihipStream_tbDpT10_ENKUlT_T0_E_clISt17integral_constantIbLb0EES1B_EEDaS16_S17_EUlS16_E_NS1_11comp_targetILNS1_3genE4ELNS1_11target_archE910ELNS1_3gpuE8ELNS1_3repE0EEENS1_30default_config_static_selectorELNS0_4arch9wavefront6targetE0EEEvT1_: ; @_ZN7rocprim17ROCPRIM_400000_NS6detail17trampoline_kernelINS0_14default_configENS1_25partition_config_selectorILNS1_17partition_subalgoE6EfNS0_10empty_typeEbEEZZNS1_14partition_implILS5_6ELb0ES3_mN6thrust23THRUST_200600_302600_NS6detail15normal_iteratorINSA_10device_ptrIfEEEEPS6_SG_NS0_5tupleIJNSA_16discard_iteratorINSA_11use_defaultEEES6_EEENSH_IJSG_SG_EEES6_PlJNSB_9not_fun_tI7is_trueIfEEEEEE10hipError_tPvRmT3_T4_T5_T6_T7_T9_mT8_P12ihipStream_tbDpT10_ENKUlT_T0_E_clISt17integral_constantIbLb0EES1B_EEDaS16_S17_EUlS16_E_NS1_11comp_targetILNS1_3genE4ELNS1_11target_archE910ELNS1_3gpuE8ELNS1_3repE0EEENS1_30default_config_static_selectorELNS0_4arch9wavefront6targetE0EEEvT1_
; %bb.0:
	.section	.rodata,"a",@progbits
	.p2align	6, 0x0
	.amdhsa_kernel _ZN7rocprim17ROCPRIM_400000_NS6detail17trampoline_kernelINS0_14default_configENS1_25partition_config_selectorILNS1_17partition_subalgoE6EfNS0_10empty_typeEbEEZZNS1_14partition_implILS5_6ELb0ES3_mN6thrust23THRUST_200600_302600_NS6detail15normal_iteratorINSA_10device_ptrIfEEEEPS6_SG_NS0_5tupleIJNSA_16discard_iteratorINSA_11use_defaultEEES6_EEENSH_IJSG_SG_EEES6_PlJNSB_9not_fun_tI7is_trueIfEEEEEE10hipError_tPvRmT3_T4_T5_T6_T7_T9_mT8_P12ihipStream_tbDpT10_ENKUlT_T0_E_clISt17integral_constantIbLb0EES1B_EEDaS16_S17_EUlS16_E_NS1_11comp_targetILNS1_3genE4ELNS1_11target_archE910ELNS1_3gpuE8ELNS1_3repE0EEENS1_30default_config_static_selectorELNS0_4arch9wavefront6targetE0EEEvT1_
		.amdhsa_group_segment_fixed_size 0
		.amdhsa_private_segment_fixed_size 0
		.amdhsa_kernarg_size 120
		.amdhsa_user_sgpr_count 2
		.amdhsa_user_sgpr_dispatch_ptr 0
		.amdhsa_user_sgpr_queue_ptr 0
		.amdhsa_user_sgpr_kernarg_segment_ptr 1
		.amdhsa_user_sgpr_dispatch_id 0
		.amdhsa_user_sgpr_private_segment_size 0
		.amdhsa_wavefront_size32 1
		.amdhsa_uses_dynamic_stack 0
		.amdhsa_enable_private_segment 0
		.amdhsa_system_sgpr_workgroup_id_x 1
		.amdhsa_system_sgpr_workgroup_id_y 0
		.amdhsa_system_sgpr_workgroup_id_z 0
		.amdhsa_system_sgpr_workgroup_info 0
		.amdhsa_system_vgpr_workitem_id 0
		.amdhsa_next_free_vgpr 1
		.amdhsa_next_free_sgpr 1
		.amdhsa_reserve_vcc 0
		.amdhsa_float_round_mode_32 0
		.amdhsa_float_round_mode_16_64 0
		.amdhsa_float_denorm_mode_32 3
		.amdhsa_float_denorm_mode_16_64 3
		.amdhsa_fp16_overflow 0
		.amdhsa_workgroup_processor_mode 1
		.amdhsa_memory_ordered 1
		.amdhsa_forward_progress 1
		.amdhsa_inst_pref_size 0
		.amdhsa_round_robin_scheduling 0
		.amdhsa_exception_fp_ieee_invalid_op 0
		.amdhsa_exception_fp_denorm_src 0
		.amdhsa_exception_fp_ieee_div_zero 0
		.amdhsa_exception_fp_ieee_overflow 0
		.amdhsa_exception_fp_ieee_underflow 0
		.amdhsa_exception_fp_ieee_inexact 0
		.amdhsa_exception_int_div_zero 0
	.end_amdhsa_kernel
	.section	.text._ZN7rocprim17ROCPRIM_400000_NS6detail17trampoline_kernelINS0_14default_configENS1_25partition_config_selectorILNS1_17partition_subalgoE6EfNS0_10empty_typeEbEEZZNS1_14partition_implILS5_6ELb0ES3_mN6thrust23THRUST_200600_302600_NS6detail15normal_iteratorINSA_10device_ptrIfEEEEPS6_SG_NS0_5tupleIJNSA_16discard_iteratorINSA_11use_defaultEEES6_EEENSH_IJSG_SG_EEES6_PlJNSB_9not_fun_tI7is_trueIfEEEEEE10hipError_tPvRmT3_T4_T5_T6_T7_T9_mT8_P12ihipStream_tbDpT10_ENKUlT_T0_E_clISt17integral_constantIbLb0EES1B_EEDaS16_S17_EUlS16_E_NS1_11comp_targetILNS1_3genE4ELNS1_11target_archE910ELNS1_3gpuE8ELNS1_3repE0EEENS1_30default_config_static_selectorELNS0_4arch9wavefront6targetE0EEEvT1_,"axG",@progbits,_ZN7rocprim17ROCPRIM_400000_NS6detail17trampoline_kernelINS0_14default_configENS1_25partition_config_selectorILNS1_17partition_subalgoE6EfNS0_10empty_typeEbEEZZNS1_14partition_implILS5_6ELb0ES3_mN6thrust23THRUST_200600_302600_NS6detail15normal_iteratorINSA_10device_ptrIfEEEEPS6_SG_NS0_5tupleIJNSA_16discard_iteratorINSA_11use_defaultEEES6_EEENSH_IJSG_SG_EEES6_PlJNSB_9not_fun_tI7is_trueIfEEEEEE10hipError_tPvRmT3_T4_T5_T6_T7_T9_mT8_P12ihipStream_tbDpT10_ENKUlT_T0_E_clISt17integral_constantIbLb0EES1B_EEDaS16_S17_EUlS16_E_NS1_11comp_targetILNS1_3genE4ELNS1_11target_archE910ELNS1_3gpuE8ELNS1_3repE0EEENS1_30default_config_static_selectorELNS0_4arch9wavefront6targetE0EEEvT1_,comdat
.Lfunc_end2111:
	.size	_ZN7rocprim17ROCPRIM_400000_NS6detail17trampoline_kernelINS0_14default_configENS1_25partition_config_selectorILNS1_17partition_subalgoE6EfNS0_10empty_typeEbEEZZNS1_14partition_implILS5_6ELb0ES3_mN6thrust23THRUST_200600_302600_NS6detail15normal_iteratorINSA_10device_ptrIfEEEEPS6_SG_NS0_5tupleIJNSA_16discard_iteratorINSA_11use_defaultEEES6_EEENSH_IJSG_SG_EEES6_PlJNSB_9not_fun_tI7is_trueIfEEEEEE10hipError_tPvRmT3_T4_T5_T6_T7_T9_mT8_P12ihipStream_tbDpT10_ENKUlT_T0_E_clISt17integral_constantIbLb0EES1B_EEDaS16_S17_EUlS16_E_NS1_11comp_targetILNS1_3genE4ELNS1_11target_archE910ELNS1_3gpuE8ELNS1_3repE0EEENS1_30default_config_static_selectorELNS0_4arch9wavefront6targetE0EEEvT1_, .Lfunc_end2111-_ZN7rocprim17ROCPRIM_400000_NS6detail17trampoline_kernelINS0_14default_configENS1_25partition_config_selectorILNS1_17partition_subalgoE6EfNS0_10empty_typeEbEEZZNS1_14partition_implILS5_6ELb0ES3_mN6thrust23THRUST_200600_302600_NS6detail15normal_iteratorINSA_10device_ptrIfEEEEPS6_SG_NS0_5tupleIJNSA_16discard_iteratorINSA_11use_defaultEEES6_EEENSH_IJSG_SG_EEES6_PlJNSB_9not_fun_tI7is_trueIfEEEEEE10hipError_tPvRmT3_T4_T5_T6_T7_T9_mT8_P12ihipStream_tbDpT10_ENKUlT_T0_E_clISt17integral_constantIbLb0EES1B_EEDaS16_S17_EUlS16_E_NS1_11comp_targetILNS1_3genE4ELNS1_11target_archE910ELNS1_3gpuE8ELNS1_3repE0EEENS1_30default_config_static_selectorELNS0_4arch9wavefront6targetE0EEEvT1_
                                        ; -- End function
	.set _ZN7rocprim17ROCPRIM_400000_NS6detail17trampoline_kernelINS0_14default_configENS1_25partition_config_selectorILNS1_17partition_subalgoE6EfNS0_10empty_typeEbEEZZNS1_14partition_implILS5_6ELb0ES3_mN6thrust23THRUST_200600_302600_NS6detail15normal_iteratorINSA_10device_ptrIfEEEEPS6_SG_NS0_5tupleIJNSA_16discard_iteratorINSA_11use_defaultEEES6_EEENSH_IJSG_SG_EEES6_PlJNSB_9not_fun_tI7is_trueIfEEEEEE10hipError_tPvRmT3_T4_T5_T6_T7_T9_mT8_P12ihipStream_tbDpT10_ENKUlT_T0_E_clISt17integral_constantIbLb0EES1B_EEDaS16_S17_EUlS16_E_NS1_11comp_targetILNS1_3genE4ELNS1_11target_archE910ELNS1_3gpuE8ELNS1_3repE0EEENS1_30default_config_static_selectorELNS0_4arch9wavefront6targetE0EEEvT1_.num_vgpr, 0
	.set _ZN7rocprim17ROCPRIM_400000_NS6detail17trampoline_kernelINS0_14default_configENS1_25partition_config_selectorILNS1_17partition_subalgoE6EfNS0_10empty_typeEbEEZZNS1_14partition_implILS5_6ELb0ES3_mN6thrust23THRUST_200600_302600_NS6detail15normal_iteratorINSA_10device_ptrIfEEEEPS6_SG_NS0_5tupleIJNSA_16discard_iteratorINSA_11use_defaultEEES6_EEENSH_IJSG_SG_EEES6_PlJNSB_9not_fun_tI7is_trueIfEEEEEE10hipError_tPvRmT3_T4_T5_T6_T7_T9_mT8_P12ihipStream_tbDpT10_ENKUlT_T0_E_clISt17integral_constantIbLb0EES1B_EEDaS16_S17_EUlS16_E_NS1_11comp_targetILNS1_3genE4ELNS1_11target_archE910ELNS1_3gpuE8ELNS1_3repE0EEENS1_30default_config_static_selectorELNS0_4arch9wavefront6targetE0EEEvT1_.num_agpr, 0
	.set _ZN7rocprim17ROCPRIM_400000_NS6detail17trampoline_kernelINS0_14default_configENS1_25partition_config_selectorILNS1_17partition_subalgoE6EfNS0_10empty_typeEbEEZZNS1_14partition_implILS5_6ELb0ES3_mN6thrust23THRUST_200600_302600_NS6detail15normal_iteratorINSA_10device_ptrIfEEEEPS6_SG_NS0_5tupleIJNSA_16discard_iteratorINSA_11use_defaultEEES6_EEENSH_IJSG_SG_EEES6_PlJNSB_9not_fun_tI7is_trueIfEEEEEE10hipError_tPvRmT3_T4_T5_T6_T7_T9_mT8_P12ihipStream_tbDpT10_ENKUlT_T0_E_clISt17integral_constantIbLb0EES1B_EEDaS16_S17_EUlS16_E_NS1_11comp_targetILNS1_3genE4ELNS1_11target_archE910ELNS1_3gpuE8ELNS1_3repE0EEENS1_30default_config_static_selectorELNS0_4arch9wavefront6targetE0EEEvT1_.numbered_sgpr, 0
	.set _ZN7rocprim17ROCPRIM_400000_NS6detail17trampoline_kernelINS0_14default_configENS1_25partition_config_selectorILNS1_17partition_subalgoE6EfNS0_10empty_typeEbEEZZNS1_14partition_implILS5_6ELb0ES3_mN6thrust23THRUST_200600_302600_NS6detail15normal_iteratorINSA_10device_ptrIfEEEEPS6_SG_NS0_5tupleIJNSA_16discard_iteratorINSA_11use_defaultEEES6_EEENSH_IJSG_SG_EEES6_PlJNSB_9not_fun_tI7is_trueIfEEEEEE10hipError_tPvRmT3_T4_T5_T6_T7_T9_mT8_P12ihipStream_tbDpT10_ENKUlT_T0_E_clISt17integral_constantIbLb0EES1B_EEDaS16_S17_EUlS16_E_NS1_11comp_targetILNS1_3genE4ELNS1_11target_archE910ELNS1_3gpuE8ELNS1_3repE0EEENS1_30default_config_static_selectorELNS0_4arch9wavefront6targetE0EEEvT1_.num_named_barrier, 0
	.set _ZN7rocprim17ROCPRIM_400000_NS6detail17trampoline_kernelINS0_14default_configENS1_25partition_config_selectorILNS1_17partition_subalgoE6EfNS0_10empty_typeEbEEZZNS1_14partition_implILS5_6ELb0ES3_mN6thrust23THRUST_200600_302600_NS6detail15normal_iteratorINSA_10device_ptrIfEEEEPS6_SG_NS0_5tupleIJNSA_16discard_iteratorINSA_11use_defaultEEES6_EEENSH_IJSG_SG_EEES6_PlJNSB_9not_fun_tI7is_trueIfEEEEEE10hipError_tPvRmT3_T4_T5_T6_T7_T9_mT8_P12ihipStream_tbDpT10_ENKUlT_T0_E_clISt17integral_constantIbLb0EES1B_EEDaS16_S17_EUlS16_E_NS1_11comp_targetILNS1_3genE4ELNS1_11target_archE910ELNS1_3gpuE8ELNS1_3repE0EEENS1_30default_config_static_selectorELNS0_4arch9wavefront6targetE0EEEvT1_.private_seg_size, 0
	.set _ZN7rocprim17ROCPRIM_400000_NS6detail17trampoline_kernelINS0_14default_configENS1_25partition_config_selectorILNS1_17partition_subalgoE6EfNS0_10empty_typeEbEEZZNS1_14partition_implILS5_6ELb0ES3_mN6thrust23THRUST_200600_302600_NS6detail15normal_iteratorINSA_10device_ptrIfEEEEPS6_SG_NS0_5tupleIJNSA_16discard_iteratorINSA_11use_defaultEEES6_EEENSH_IJSG_SG_EEES6_PlJNSB_9not_fun_tI7is_trueIfEEEEEE10hipError_tPvRmT3_T4_T5_T6_T7_T9_mT8_P12ihipStream_tbDpT10_ENKUlT_T0_E_clISt17integral_constantIbLb0EES1B_EEDaS16_S17_EUlS16_E_NS1_11comp_targetILNS1_3genE4ELNS1_11target_archE910ELNS1_3gpuE8ELNS1_3repE0EEENS1_30default_config_static_selectorELNS0_4arch9wavefront6targetE0EEEvT1_.uses_vcc, 0
	.set _ZN7rocprim17ROCPRIM_400000_NS6detail17trampoline_kernelINS0_14default_configENS1_25partition_config_selectorILNS1_17partition_subalgoE6EfNS0_10empty_typeEbEEZZNS1_14partition_implILS5_6ELb0ES3_mN6thrust23THRUST_200600_302600_NS6detail15normal_iteratorINSA_10device_ptrIfEEEEPS6_SG_NS0_5tupleIJNSA_16discard_iteratorINSA_11use_defaultEEES6_EEENSH_IJSG_SG_EEES6_PlJNSB_9not_fun_tI7is_trueIfEEEEEE10hipError_tPvRmT3_T4_T5_T6_T7_T9_mT8_P12ihipStream_tbDpT10_ENKUlT_T0_E_clISt17integral_constantIbLb0EES1B_EEDaS16_S17_EUlS16_E_NS1_11comp_targetILNS1_3genE4ELNS1_11target_archE910ELNS1_3gpuE8ELNS1_3repE0EEENS1_30default_config_static_selectorELNS0_4arch9wavefront6targetE0EEEvT1_.uses_flat_scratch, 0
	.set _ZN7rocprim17ROCPRIM_400000_NS6detail17trampoline_kernelINS0_14default_configENS1_25partition_config_selectorILNS1_17partition_subalgoE6EfNS0_10empty_typeEbEEZZNS1_14partition_implILS5_6ELb0ES3_mN6thrust23THRUST_200600_302600_NS6detail15normal_iteratorINSA_10device_ptrIfEEEEPS6_SG_NS0_5tupleIJNSA_16discard_iteratorINSA_11use_defaultEEES6_EEENSH_IJSG_SG_EEES6_PlJNSB_9not_fun_tI7is_trueIfEEEEEE10hipError_tPvRmT3_T4_T5_T6_T7_T9_mT8_P12ihipStream_tbDpT10_ENKUlT_T0_E_clISt17integral_constantIbLb0EES1B_EEDaS16_S17_EUlS16_E_NS1_11comp_targetILNS1_3genE4ELNS1_11target_archE910ELNS1_3gpuE8ELNS1_3repE0EEENS1_30default_config_static_selectorELNS0_4arch9wavefront6targetE0EEEvT1_.has_dyn_sized_stack, 0
	.set _ZN7rocprim17ROCPRIM_400000_NS6detail17trampoline_kernelINS0_14default_configENS1_25partition_config_selectorILNS1_17partition_subalgoE6EfNS0_10empty_typeEbEEZZNS1_14partition_implILS5_6ELb0ES3_mN6thrust23THRUST_200600_302600_NS6detail15normal_iteratorINSA_10device_ptrIfEEEEPS6_SG_NS0_5tupleIJNSA_16discard_iteratorINSA_11use_defaultEEES6_EEENSH_IJSG_SG_EEES6_PlJNSB_9not_fun_tI7is_trueIfEEEEEE10hipError_tPvRmT3_T4_T5_T6_T7_T9_mT8_P12ihipStream_tbDpT10_ENKUlT_T0_E_clISt17integral_constantIbLb0EES1B_EEDaS16_S17_EUlS16_E_NS1_11comp_targetILNS1_3genE4ELNS1_11target_archE910ELNS1_3gpuE8ELNS1_3repE0EEENS1_30default_config_static_selectorELNS0_4arch9wavefront6targetE0EEEvT1_.has_recursion, 0
	.set _ZN7rocprim17ROCPRIM_400000_NS6detail17trampoline_kernelINS0_14default_configENS1_25partition_config_selectorILNS1_17partition_subalgoE6EfNS0_10empty_typeEbEEZZNS1_14partition_implILS5_6ELb0ES3_mN6thrust23THRUST_200600_302600_NS6detail15normal_iteratorINSA_10device_ptrIfEEEEPS6_SG_NS0_5tupleIJNSA_16discard_iteratorINSA_11use_defaultEEES6_EEENSH_IJSG_SG_EEES6_PlJNSB_9not_fun_tI7is_trueIfEEEEEE10hipError_tPvRmT3_T4_T5_T6_T7_T9_mT8_P12ihipStream_tbDpT10_ENKUlT_T0_E_clISt17integral_constantIbLb0EES1B_EEDaS16_S17_EUlS16_E_NS1_11comp_targetILNS1_3genE4ELNS1_11target_archE910ELNS1_3gpuE8ELNS1_3repE0EEENS1_30default_config_static_selectorELNS0_4arch9wavefront6targetE0EEEvT1_.has_indirect_call, 0
	.section	.AMDGPU.csdata,"",@progbits
; Kernel info:
; codeLenInByte = 0
; TotalNumSgprs: 0
; NumVgprs: 0
; ScratchSize: 0
; MemoryBound: 0
; FloatMode: 240
; IeeeMode: 1
; LDSByteSize: 0 bytes/workgroup (compile time only)
; SGPRBlocks: 0
; VGPRBlocks: 0
; NumSGPRsForWavesPerEU: 1
; NumVGPRsForWavesPerEU: 1
; Occupancy: 16
; WaveLimiterHint : 0
; COMPUTE_PGM_RSRC2:SCRATCH_EN: 0
; COMPUTE_PGM_RSRC2:USER_SGPR: 2
; COMPUTE_PGM_RSRC2:TRAP_HANDLER: 0
; COMPUTE_PGM_RSRC2:TGID_X_EN: 1
; COMPUTE_PGM_RSRC2:TGID_Y_EN: 0
; COMPUTE_PGM_RSRC2:TGID_Z_EN: 0
; COMPUTE_PGM_RSRC2:TIDIG_COMP_CNT: 0
	.section	.text._ZN7rocprim17ROCPRIM_400000_NS6detail17trampoline_kernelINS0_14default_configENS1_25partition_config_selectorILNS1_17partition_subalgoE6EfNS0_10empty_typeEbEEZZNS1_14partition_implILS5_6ELb0ES3_mN6thrust23THRUST_200600_302600_NS6detail15normal_iteratorINSA_10device_ptrIfEEEEPS6_SG_NS0_5tupleIJNSA_16discard_iteratorINSA_11use_defaultEEES6_EEENSH_IJSG_SG_EEES6_PlJNSB_9not_fun_tI7is_trueIfEEEEEE10hipError_tPvRmT3_T4_T5_T6_T7_T9_mT8_P12ihipStream_tbDpT10_ENKUlT_T0_E_clISt17integral_constantIbLb0EES1B_EEDaS16_S17_EUlS16_E_NS1_11comp_targetILNS1_3genE3ELNS1_11target_archE908ELNS1_3gpuE7ELNS1_3repE0EEENS1_30default_config_static_selectorELNS0_4arch9wavefront6targetE0EEEvT1_,"axG",@progbits,_ZN7rocprim17ROCPRIM_400000_NS6detail17trampoline_kernelINS0_14default_configENS1_25partition_config_selectorILNS1_17partition_subalgoE6EfNS0_10empty_typeEbEEZZNS1_14partition_implILS5_6ELb0ES3_mN6thrust23THRUST_200600_302600_NS6detail15normal_iteratorINSA_10device_ptrIfEEEEPS6_SG_NS0_5tupleIJNSA_16discard_iteratorINSA_11use_defaultEEES6_EEENSH_IJSG_SG_EEES6_PlJNSB_9not_fun_tI7is_trueIfEEEEEE10hipError_tPvRmT3_T4_T5_T6_T7_T9_mT8_P12ihipStream_tbDpT10_ENKUlT_T0_E_clISt17integral_constantIbLb0EES1B_EEDaS16_S17_EUlS16_E_NS1_11comp_targetILNS1_3genE3ELNS1_11target_archE908ELNS1_3gpuE7ELNS1_3repE0EEENS1_30default_config_static_selectorELNS0_4arch9wavefront6targetE0EEEvT1_,comdat
	.protected	_ZN7rocprim17ROCPRIM_400000_NS6detail17trampoline_kernelINS0_14default_configENS1_25partition_config_selectorILNS1_17partition_subalgoE6EfNS0_10empty_typeEbEEZZNS1_14partition_implILS5_6ELb0ES3_mN6thrust23THRUST_200600_302600_NS6detail15normal_iteratorINSA_10device_ptrIfEEEEPS6_SG_NS0_5tupleIJNSA_16discard_iteratorINSA_11use_defaultEEES6_EEENSH_IJSG_SG_EEES6_PlJNSB_9not_fun_tI7is_trueIfEEEEEE10hipError_tPvRmT3_T4_T5_T6_T7_T9_mT8_P12ihipStream_tbDpT10_ENKUlT_T0_E_clISt17integral_constantIbLb0EES1B_EEDaS16_S17_EUlS16_E_NS1_11comp_targetILNS1_3genE3ELNS1_11target_archE908ELNS1_3gpuE7ELNS1_3repE0EEENS1_30default_config_static_selectorELNS0_4arch9wavefront6targetE0EEEvT1_ ; -- Begin function _ZN7rocprim17ROCPRIM_400000_NS6detail17trampoline_kernelINS0_14default_configENS1_25partition_config_selectorILNS1_17partition_subalgoE6EfNS0_10empty_typeEbEEZZNS1_14partition_implILS5_6ELb0ES3_mN6thrust23THRUST_200600_302600_NS6detail15normal_iteratorINSA_10device_ptrIfEEEEPS6_SG_NS0_5tupleIJNSA_16discard_iteratorINSA_11use_defaultEEES6_EEENSH_IJSG_SG_EEES6_PlJNSB_9not_fun_tI7is_trueIfEEEEEE10hipError_tPvRmT3_T4_T5_T6_T7_T9_mT8_P12ihipStream_tbDpT10_ENKUlT_T0_E_clISt17integral_constantIbLb0EES1B_EEDaS16_S17_EUlS16_E_NS1_11comp_targetILNS1_3genE3ELNS1_11target_archE908ELNS1_3gpuE7ELNS1_3repE0EEENS1_30default_config_static_selectorELNS0_4arch9wavefront6targetE0EEEvT1_
	.globl	_ZN7rocprim17ROCPRIM_400000_NS6detail17trampoline_kernelINS0_14default_configENS1_25partition_config_selectorILNS1_17partition_subalgoE6EfNS0_10empty_typeEbEEZZNS1_14partition_implILS5_6ELb0ES3_mN6thrust23THRUST_200600_302600_NS6detail15normal_iteratorINSA_10device_ptrIfEEEEPS6_SG_NS0_5tupleIJNSA_16discard_iteratorINSA_11use_defaultEEES6_EEENSH_IJSG_SG_EEES6_PlJNSB_9not_fun_tI7is_trueIfEEEEEE10hipError_tPvRmT3_T4_T5_T6_T7_T9_mT8_P12ihipStream_tbDpT10_ENKUlT_T0_E_clISt17integral_constantIbLb0EES1B_EEDaS16_S17_EUlS16_E_NS1_11comp_targetILNS1_3genE3ELNS1_11target_archE908ELNS1_3gpuE7ELNS1_3repE0EEENS1_30default_config_static_selectorELNS0_4arch9wavefront6targetE0EEEvT1_
	.p2align	8
	.type	_ZN7rocprim17ROCPRIM_400000_NS6detail17trampoline_kernelINS0_14default_configENS1_25partition_config_selectorILNS1_17partition_subalgoE6EfNS0_10empty_typeEbEEZZNS1_14partition_implILS5_6ELb0ES3_mN6thrust23THRUST_200600_302600_NS6detail15normal_iteratorINSA_10device_ptrIfEEEEPS6_SG_NS0_5tupleIJNSA_16discard_iteratorINSA_11use_defaultEEES6_EEENSH_IJSG_SG_EEES6_PlJNSB_9not_fun_tI7is_trueIfEEEEEE10hipError_tPvRmT3_T4_T5_T6_T7_T9_mT8_P12ihipStream_tbDpT10_ENKUlT_T0_E_clISt17integral_constantIbLb0EES1B_EEDaS16_S17_EUlS16_E_NS1_11comp_targetILNS1_3genE3ELNS1_11target_archE908ELNS1_3gpuE7ELNS1_3repE0EEENS1_30default_config_static_selectorELNS0_4arch9wavefront6targetE0EEEvT1_,@function
_ZN7rocprim17ROCPRIM_400000_NS6detail17trampoline_kernelINS0_14default_configENS1_25partition_config_selectorILNS1_17partition_subalgoE6EfNS0_10empty_typeEbEEZZNS1_14partition_implILS5_6ELb0ES3_mN6thrust23THRUST_200600_302600_NS6detail15normal_iteratorINSA_10device_ptrIfEEEEPS6_SG_NS0_5tupleIJNSA_16discard_iteratorINSA_11use_defaultEEES6_EEENSH_IJSG_SG_EEES6_PlJNSB_9not_fun_tI7is_trueIfEEEEEE10hipError_tPvRmT3_T4_T5_T6_T7_T9_mT8_P12ihipStream_tbDpT10_ENKUlT_T0_E_clISt17integral_constantIbLb0EES1B_EEDaS16_S17_EUlS16_E_NS1_11comp_targetILNS1_3genE3ELNS1_11target_archE908ELNS1_3gpuE7ELNS1_3repE0EEENS1_30default_config_static_selectorELNS0_4arch9wavefront6targetE0EEEvT1_: ; @_ZN7rocprim17ROCPRIM_400000_NS6detail17trampoline_kernelINS0_14default_configENS1_25partition_config_selectorILNS1_17partition_subalgoE6EfNS0_10empty_typeEbEEZZNS1_14partition_implILS5_6ELb0ES3_mN6thrust23THRUST_200600_302600_NS6detail15normal_iteratorINSA_10device_ptrIfEEEEPS6_SG_NS0_5tupleIJNSA_16discard_iteratorINSA_11use_defaultEEES6_EEENSH_IJSG_SG_EEES6_PlJNSB_9not_fun_tI7is_trueIfEEEEEE10hipError_tPvRmT3_T4_T5_T6_T7_T9_mT8_P12ihipStream_tbDpT10_ENKUlT_T0_E_clISt17integral_constantIbLb0EES1B_EEDaS16_S17_EUlS16_E_NS1_11comp_targetILNS1_3genE3ELNS1_11target_archE908ELNS1_3gpuE7ELNS1_3repE0EEENS1_30default_config_static_selectorELNS0_4arch9wavefront6targetE0EEEvT1_
; %bb.0:
	.section	.rodata,"a",@progbits
	.p2align	6, 0x0
	.amdhsa_kernel _ZN7rocprim17ROCPRIM_400000_NS6detail17trampoline_kernelINS0_14default_configENS1_25partition_config_selectorILNS1_17partition_subalgoE6EfNS0_10empty_typeEbEEZZNS1_14partition_implILS5_6ELb0ES3_mN6thrust23THRUST_200600_302600_NS6detail15normal_iteratorINSA_10device_ptrIfEEEEPS6_SG_NS0_5tupleIJNSA_16discard_iteratorINSA_11use_defaultEEES6_EEENSH_IJSG_SG_EEES6_PlJNSB_9not_fun_tI7is_trueIfEEEEEE10hipError_tPvRmT3_T4_T5_T6_T7_T9_mT8_P12ihipStream_tbDpT10_ENKUlT_T0_E_clISt17integral_constantIbLb0EES1B_EEDaS16_S17_EUlS16_E_NS1_11comp_targetILNS1_3genE3ELNS1_11target_archE908ELNS1_3gpuE7ELNS1_3repE0EEENS1_30default_config_static_selectorELNS0_4arch9wavefront6targetE0EEEvT1_
		.amdhsa_group_segment_fixed_size 0
		.amdhsa_private_segment_fixed_size 0
		.amdhsa_kernarg_size 120
		.amdhsa_user_sgpr_count 2
		.amdhsa_user_sgpr_dispatch_ptr 0
		.amdhsa_user_sgpr_queue_ptr 0
		.amdhsa_user_sgpr_kernarg_segment_ptr 1
		.amdhsa_user_sgpr_dispatch_id 0
		.amdhsa_user_sgpr_private_segment_size 0
		.amdhsa_wavefront_size32 1
		.amdhsa_uses_dynamic_stack 0
		.amdhsa_enable_private_segment 0
		.amdhsa_system_sgpr_workgroup_id_x 1
		.amdhsa_system_sgpr_workgroup_id_y 0
		.amdhsa_system_sgpr_workgroup_id_z 0
		.amdhsa_system_sgpr_workgroup_info 0
		.amdhsa_system_vgpr_workitem_id 0
		.amdhsa_next_free_vgpr 1
		.amdhsa_next_free_sgpr 1
		.amdhsa_reserve_vcc 0
		.amdhsa_float_round_mode_32 0
		.amdhsa_float_round_mode_16_64 0
		.amdhsa_float_denorm_mode_32 3
		.amdhsa_float_denorm_mode_16_64 3
		.amdhsa_fp16_overflow 0
		.amdhsa_workgroup_processor_mode 1
		.amdhsa_memory_ordered 1
		.amdhsa_forward_progress 1
		.amdhsa_inst_pref_size 0
		.amdhsa_round_robin_scheduling 0
		.amdhsa_exception_fp_ieee_invalid_op 0
		.amdhsa_exception_fp_denorm_src 0
		.amdhsa_exception_fp_ieee_div_zero 0
		.amdhsa_exception_fp_ieee_overflow 0
		.amdhsa_exception_fp_ieee_underflow 0
		.amdhsa_exception_fp_ieee_inexact 0
		.amdhsa_exception_int_div_zero 0
	.end_amdhsa_kernel
	.section	.text._ZN7rocprim17ROCPRIM_400000_NS6detail17trampoline_kernelINS0_14default_configENS1_25partition_config_selectorILNS1_17partition_subalgoE6EfNS0_10empty_typeEbEEZZNS1_14partition_implILS5_6ELb0ES3_mN6thrust23THRUST_200600_302600_NS6detail15normal_iteratorINSA_10device_ptrIfEEEEPS6_SG_NS0_5tupleIJNSA_16discard_iteratorINSA_11use_defaultEEES6_EEENSH_IJSG_SG_EEES6_PlJNSB_9not_fun_tI7is_trueIfEEEEEE10hipError_tPvRmT3_T4_T5_T6_T7_T9_mT8_P12ihipStream_tbDpT10_ENKUlT_T0_E_clISt17integral_constantIbLb0EES1B_EEDaS16_S17_EUlS16_E_NS1_11comp_targetILNS1_3genE3ELNS1_11target_archE908ELNS1_3gpuE7ELNS1_3repE0EEENS1_30default_config_static_selectorELNS0_4arch9wavefront6targetE0EEEvT1_,"axG",@progbits,_ZN7rocprim17ROCPRIM_400000_NS6detail17trampoline_kernelINS0_14default_configENS1_25partition_config_selectorILNS1_17partition_subalgoE6EfNS0_10empty_typeEbEEZZNS1_14partition_implILS5_6ELb0ES3_mN6thrust23THRUST_200600_302600_NS6detail15normal_iteratorINSA_10device_ptrIfEEEEPS6_SG_NS0_5tupleIJNSA_16discard_iteratorINSA_11use_defaultEEES6_EEENSH_IJSG_SG_EEES6_PlJNSB_9not_fun_tI7is_trueIfEEEEEE10hipError_tPvRmT3_T4_T5_T6_T7_T9_mT8_P12ihipStream_tbDpT10_ENKUlT_T0_E_clISt17integral_constantIbLb0EES1B_EEDaS16_S17_EUlS16_E_NS1_11comp_targetILNS1_3genE3ELNS1_11target_archE908ELNS1_3gpuE7ELNS1_3repE0EEENS1_30default_config_static_selectorELNS0_4arch9wavefront6targetE0EEEvT1_,comdat
.Lfunc_end2112:
	.size	_ZN7rocprim17ROCPRIM_400000_NS6detail17trampoline_kernelINS0_14default_configENS1_25partition_config_selectorILNS1_17partition_subalgoE6EfNS0_10empty_typeEbEEZZNS1_14partition_implILS5_6ELb0ES3_mN6thrust23THRUST_200600_302600_NS6detail15normal_iteratorINSA_10device_ptrIfEEEEPS6_SG_NS0_5tupleIJNSA_16discard_iteratorINSA_11use_defaultEEES6_EEENSH_IJSG_SG_EEES6_PlJNSB_9not_fun_tI7is_trueIfEEEEEE10hipError_tPvRmT3_T4_T5_T6_T7_T9_mT8_P12ihipStream_tbDpT10_ENKUlT_T0_E_clISt17integral_constantIbLb0EES1B_EEDaS16_S17_EUlS16_E_NS1_11comp_targetILNS1_3genE3ELNS1_11target_archE908ELNS1_3gpuE7ELNS1_3repE0EEENS1_30default_config_static_selectorELNS0_4arch9wavefront6targetE0EEEvT1_, .Lfunc_end2112-_ZN7rocprim17ROCPRIM_400000_NS6detail17trampoline_kernelINS0_14default_configENS1_25partition_config_selectorILNS1_17partition_subalgoE6EfNS0_10empty_typeEbEEZZNS1_14partition_implILS5_6ELb0ES3_mN6thrust23THRUST_200600_302600_NS6detail15normal_iteratorINSA_10device_ptrIfEEEEPS6_SG_NS0_5tupleIJNSA_16discard_iteratorINSA_11use_defaultEEES6_EEENSH_IJSG_SG_EEES6_PlJNSB_9not_fun_tI7is_trueIfEEEEEE10hipError_tPvRmT3_T4_T5_T6_T7_T9_mT8_P12ihipStream_tbDpT10_ENKUlT_T0_E_clISt17integral_constantIbLb0EES1B_EEDaS16_S17_EUlS16_E_NS1_11comp_targetILNS1_3genE3ELNS1_11target_archE908ELNS1_3gpuE7ELNS1_3repE0EEENS1_30default_config_static_selectorELNS0_4arch9wavefront6targetE0EEEvT1_
                                        ; -- End function
	.set _ZN7rocprim17ROCPRIM_400000_NS6detail17trampoline_kernelINS0_14default_configENS1_25partition_config_selectorILNS1_17partition_subalgoE6EfNS0_10empty_typeEbEEZZNS1_14partition_implILS5_6ELb0ES3_mN6thrust23THRUST_200600_302600_NS6detail15normal_iteratorINSA_10device_ptrIfEEEEPS6_SG_NS0_5tupleIJNSA_16discard_iteratorINSA_11use_defaultEEES6_EEENSH_IJSG_SG_EEES6_PlJNSB_9not_fun_tI7is_trueIfEEEEEE10hipError_tPvRmT3_T4_T5_T6_T7_T9_mT8_P12ihipStream_tbDpT10_ENKUlT_T0_E_clISt17integral_constantIbLb0EES1B_EEDaS16_S17_EUlS16_E_NS1_11comp_targetILNS1_3genE3ELNS1_11target_archE908ELNS1_3gpuE7ELNS1_3repE0EEENS1_30default_config_static_selectorELNS0_4arch9wavefront6targetE0EEEvT1_.num_vgpr, 0
	.set _ZN7rocprim17ROCPRIM_400000_NS6detail17trampoline_kernelINS0_14default_configENS1_25partition_config_selectorILNS1_17partition_subalgoE6EfNS0_10empty_typeEbEEZZNS1_14partition_implILS5_6ELb0ES3_mN6thrust23THRUST_200600_302600_NS6detail15normal_iteratorINSA_10device_ptrIfEEEEPS6_SG_NS0_5tupleIJNSA_16discard_iteratorINSA_11use_defaultEEES6_EEENSH_IJSG_SG_EEES6_PlJNSB_9not_fun_tI7is_trueIfEEEEEE10hipError_tPvRmT3_T4_T5_T6_T7_T9_mT8_P12ihipStream_tbDpT10_ENKUlT_T0_E_clISt17integral_constantIbLb0EES1B_EEDaS16_S17_EUlS16_E_NS1_11comp_targetILNS1_3genE3ELNS1_11target_archE908ELNS1_3gpuE7ELNS1_3repE0EEENS1_30default_config_static_selectorELNS0_4arch9wavefront6targetE0EEEvT1_.num_agpr, 0
	.set _ZN7rocprim17ROCPRIM_400000_NS6detail17trampoline_kernelINS0_14default_configENS1_25partition_config_selectorILNS1_17partition_subalgoE6EfNS0_10empty_typeEbEEZZNS1_14partition_implILS5_6ELb0ES3_mN6thrust23THRUST_200600_302600_NS6detail15normal_iteratorINSA_10device_ptrIfEEEEPS6_SG_NS0_5tupleIJNSA_16discard_iteratorINSA_11use_defaultEEES6_EEENSH_IJSG_SG_EEES6_PlJNSB_9not_fun_tI7is_trueIfEEEEEE10hipError_tPvRmT3_T4_T5_T6_T7_T9_mT8_P12ihipStream_tbDpT10_ENKUlT_T0_E_clISt17integral_constantIbLb0EES1B_EEDaS16_S17_EUlS16_E_NS1_11comp_targetILNS1_3genE3ELNS1_11target_archE908ELNS1_3gpuE7ELNS1_3repE0EEENS1_30default_config_static_selectorELNS0_4arch9wavefront6targetE0EEEvT1_.numbered_sgpr, 0
	.set _ZN7rocprim17ROCPRIM_400000_NS6detail17trampoline_kernelINS0_14default_configENS1_25partition_config_selectorILNS1_17partition_subalgoE6EfNS0_10empty_typeEbEEZZNS1_14partition_implILS5_6ELb0ES3_mN6thrust23THRUST_200600_302600_NS6detail15normal_iteratorINSA_10device_ptrIfEEEEPS6_SG_NS0_5tupleIJNSA_16discard_iteratorINSA_11use_defaultEEES6_EEENSH_IJSG_SG_EEES6_PlJNSB_9not_fun_tI7is_trueIfEEEEEE10hipError_tPvRmT3_T4_T5_T6_T7_T9_mT8_P12ihipStream_tbDpT10_ENKUlT_T0_E_clISt17integral_constantIbLb0EES1B_EEDaS16_S17_EUlS16_E_NS1_11comp_targetILNS1_3genE3ELNS1_11target_archE908ELNS1_3gpuE7ELNS1_3repE0EEENS1_30default_config_static_selectorELNS0_4arch9wavefront6targetE0EEEvT1_.num_named_barrier, 0
	.set _ZN7rocprim17ROCPRIM_400000_NS6detail17trampoline_kernelINS0_14default_configENS1_25partition_config_selectorILNS1_17partition_subalgoE6EfNS0_10empty_typeEbEEZZNS1_14partition_implILS5_6ELb0ES3_mN6thrust23THRUST_200600_302600_NS6detail15normal_iteratorINSA_10device_ptrIfEEEEPS6_SG_NS0_5tupleIJNSA_16discard_iteratorINSA_11use_defaultEEES6_EEENSH_IJSG_SG_EEES6_PlJNSB_9not_fun_tI7is_trueIfEEEEEE10hipError_tPvRmT3_T4_T5_T6_T7_T9_mT8_P12ihipStream_tbDpT10_ENKUlT_T0_E_clISt17integral_constantIbLb0EES1B_EEDaS16_S17_EUlS16_E_NS1_11comp_targetILNS1_3genE3ELNS1_11target_archE908ELNS1_3gpuE7ELNS1_3repE0EEENS1_30default_config_static_selectorELNS0_4arch9wavefront6targetE0EEEvT1_.private_seg_size, 0
	.set _ZN7rocprim17ROCPRIM_400000_NS6detail17trampoline_kernelINS0_14default_configENS1_25partition_config_selectorILNS1_17partition_subalgoE6EfNS0_10empty_typeEbEEZZNS1_14partition_implILS5_6ELb0ES3_mN6thrust23THRUST_200600_302600_NS6detail15normal_iteratorINSA_10device_ptrIfEEEEPS6_SG_NS0_5tupleIJNSA_16discard_iteratorINSA_11use_defaultEEES6_EEENSH_IJSG_SG_EEES6_PlJNSB_9not_fun_tI7is_trueIfEEEEEE10hipError_tPvRmT3_T4_T5_T6_T7_T9_mT8_P12ihipStream_tbDpT10_ENKUlT_T0_E_clISt17integral_constantIbLb0EES1B_EEDaS16_S17_EUlS16_E_NS1_11comp_targetILNS1_3genE3ELNS1_11target_archE908ELNS1_3gpuE7ELNS1_3repE0EEENS1_30default_config_static_selectorELNS0_4arch9wavefront6targetE0EEEvT1_.uses_vcc, 0
	.set _ZN7rocprim17ROCPRIM_400000_NS6detail17trampoline_kernelINS0_14default_configENS1_25partition_config_selectorILNS1_17partition_subalgoE6EfNS0_10empty_typeEbEEZZNS1_14partition_implILS5_6ELb0ES3_mN6thrust23THRUST_200600_302600_NS6detail15normal_iteratorINSA_10device_ptrIfEEEEPS6_SG_NS0_5tupleIJNSA_16discard_iteratorINSA_11use_defaultEEES6_EEENSH_IJSG_SG_EEES6_PlJNSB_9not_fun_tI7is_trueIfEEEEEE10hipError_tPvRmT3_T4_T5_T6_T7_T9_mT8_P12ihipStream_tbDpT10_ENKUlT_T0_E_clISt17integral_constantIbLb0EES1B_EEDaS16_S17_EUlS16_E_NS1_11comp_targetILNS1_3genE3ELNS1_11target_archE908ELNS1_3gpuE7ELNS1_3repE0EEENS1_30default_config_static_selectorELNS0_4arch9wavefront6targetE0EEEvT1_.uses_flat_scratch, 0
	.set _ZN7rocprim17ROCPRIM_400000_NS6detail17trampoline_kernelINS0_14default_configENS1_25partition_config_selectorILNS1_17partition_subalgoE6EfNS0_10empty_typeEbEEZZNS1_14partition_implILS5_6ELb0ES3_mN6thrust23THRUST_200600_302600_NS6detail15normal_iteratorINSA_10device_ptrIfEEEEPS6_SG_NS0_5tupleIJNSA_16discard_iteratorINSA_11use_defaultEEES6_EEENSH_IJSG_SG_EEES6_PlJNSB_9not_fun_tI7is_trueIfEEEEEE10hipError_tPvRmT3_T4_T5_T6_T7_T9_mT8_P12ihipStream_tbDpT10_ENKUlT_T0_E_clISt17integral_constantIbLb0EES1B_EEDaS16_S17_EUlS16_E_NS1_11comp_targetILNS1_3genE3ELNS1_11target_archE908ELNS1_3gpuE7ELNS1_3repE0EEENS1_30default_config_static_selectorELNS0_4arch9wavefront6targetE0EEEvT1_.has_dyn_sized_stack, 0
	.set _ZN7rocprim17ROCPRIM_400000_NS6detail17trampoline_kernelINS0_14default_configENS1_25partition_config_selectorILNS1_17partition_subalgoE6EfNS0_10empty_typeEbEEZZNS1_14partition_implILS5_6ELb0ES3_mN6thrust23THRUST_200600_302600_NS6detail15normal_iteratorINSA_10device_ptrIfEEEEPS6_SG_NS0_5tupleIJNSA_16discard_iteratorINSA_11use_defaultEEES6_EEENSH_IJSG_SG_EEES6_PlJNSB_9not_fun_tI7is_trueIfEEEEEE10hipError_tPvRmT3_T4_T5_T6_T7_T9_mT8_P12ihipStream_tbDpT10_ENKUlT_T0_E_clISt17integral_constantIbLb0EES1B_EEDaS16_S17_EUlS16_E_NS1_11comp_targetILNS1_3genE3ELNS1_11target_archE908ELNS1_3gpuE7ELNS1_3repE0EEENS1_30default_config_static_selectorELNS0_4arch9wavefront6targetE0EEEvT1_.has_recursion, 0
	.set _ZN7rocprim17ROCPRIM_400000_NS6detail17trampoline_kernelINS0_14default_configENS1_25partition_config_selectorILNS1_17partition_subalgoE6EfNS0_10empty_typeEbEEZZNS1_14partition_implILS5_6ELb0ES3_mN6thrust23THRUST_200600_302600_NS6detail15normal_iteratorINSA_10device_ptrIfEEEEPS6_SG_NS0_5tupleIJNSA_16discard_iteratorINSA_11use_defaultEEES6_EEENSH_IJSG_SG_EEES6_PlJNSB_9not_fun_tI7is_trueIfEEEEEE10hipError_tPvRmT3_T4_T5_T6_T7_T9_mT8_P12ihipStream_tbDpT10_ENKUlT_T0_E_clISt17integral_constantIbLb0EES1B_EEDaS16_S17_EUlS16_E_NS1_11comp_targetILNS1_3genE3ELNS1_11target_archE908ELNS1_3gpuE7ELNS1_3repE0EEENS1_30default_config_static_selectorELNS0_4arch9wavefront6targetE0EEEvT1_.has_indirect_call, 0
	.section	.AMDGPU.csdata,"",@progbits
; Kernel info:
; codeLenInByte = 0
; TotalNumSgprs: 0
; NumVgprs: 0
; ScratchSize: 0
; MemoryBound: 0
; FloatMode: 240
; IeeeMode: 1
; LDSByteSize: 0 bytes/workgroup (compile time only)
; SGPRBlocks: 0
; VGPRBlocks: 0
; NumSGPRsForWavesPerEU: 1
; NumVGPRsForWavesPerEU: 1
; Occupancy: 16
; WaveLimiterHint : 0
; COMPUTE_PGM_RSRC2:SCRATCH_EN: 0
; COMPUTE_PGM_RSRC2:USER_SGPR: 2
; COMPUTE_PGM_RSRC2:TRAP_HANDLER: 0
; COMPUTE_PGM_RSRC2:TGID_X_EN: 1
; COMPUTE_PGM_RSRC2:TGID_Y_EN: 0
; COMPUTE_PGM_RSRC2:TGID_Z_EN: 0
; COMPUTE_PGM_RSRC2:TIDIG_COMP_CNT: 0
	.section	.text._ZN7rocprim17ROCPRIM_400000_NS6detail17trampoline_kernelINS0_14default_configENS1_25partition_config_selectorILNS1_17partition_subalgoE6EfNS0_10empty_typeEbEEZZNS1_14partition_implILS5_6ELb0ES3_mN6thrust23THRUST_200600_302600_NS6detail15normal_iteratorINSA_10device_ptrIfEEEEPS6_SG_NS0_5tupleIJNSA_16discard_iteratorINSA_11use_defaultEEES6_EEENSH_IJSG_SG_EEES6_PlJNSB_9not_fun_tI7is_trueIfEEEEEE10hipError_tPvRmT3_T4_T5_T6_T7_T9_mT8_P12ihipStream_tbDpT10_ENKUlT_T0_E_clISt17integral_constantIbLb0EES1B_EEDaS16_S17_EUlS16_E_NS1_11comp_targetILNS1_3genE2ELNS1_11target_archE906ELNS1_3gpuE6ELNS1_3repE0EEENS1_30default_config_static_selectorELNS0_4arch9wavefront6targetE0EEEvT1_,"axG",@progbits,_ZN7rocprim17ROCPRIM_400000_NS6detail17trampoline_kernelINS0_14default_configENS1_25partition_config_selectorILNS1_17partition_subalgoE6EfNS0_10empty_typeEbEEZZNS1_14partition_implILS5_6ELb0ES3_mN6thrust23THRUST_200600_302600_NS6detail15normal_iteratorINSA_10device_ptrIfEEEEPS6_SG_NS0_5tupleIJNSA_16discard_iteratorINSA_11use_defaultEEES6_EEENSH_IJSG_SG_EEES6_PlJNSB_9not_fun_tI7is_trueIfEEEEEE10hipError_tPvRmT3_T4_T5_T6_T7_T9_mT8_P12ihipStream_tbDpT10_ENKUlT_T0_E_clISt17integral_constantIbLb0EES1B_EEDaS16_S17_EUlS16_E_NS1_11comp_targetILNS1_3genE2ELNS1_11target_archE906ELNS1_3gpuE6ELNS1_3repE0EEENS1_30default_config_static_selectorELNS0_4arch9wavefront6targetE0EEEvT1_,comdat
	.protected	_ZN7rocprim17ROCPRIM_400000_NS6detail17trampoline_kernelINS0_14default_configENS1_25partition_config_selectorILNS1_17partition_subalgoE6EfNS0_10empty_typeEbEEZZNS1_14partition_implILS5_6ELb0ES3_mN6thrust23THRUST_200600_302600_NS6detail15normal_iteratorINSA_10device_ptrIfEEEEPS6_SG_NS0_5tupleIJNSA_16discard_iteratorINSA_11use_defaultEEES6_EEENSH_IJSG_SG_EEES6_PlJNSB_9not_fun_tI7is_trueIfEEEEEE10hipError_tPvRmT3_T4_T5_T6_T7_T9_mT8_P12ihipStream_tbDpT10_ENKUlT_T0_E_clISt17integral_constantIbLb0EES1B_EEDaS16_S17_EUlS16_E_NS1_11comp_targetILNS1_3genE2ELNS1_11target_archE906ELNS1_3gpuE6ELNS1_3repE0EEENS1_30default_config_static_selectorELNS0_4arch9wavefront6targetE0EEEvT1_ ; -- Begin function _ZN7rocprim17ROCPRIM_400000_NS6detail17trampoline_kernelINS0_14default_configENS1_25partition_config_selectorILNS1_17partition_subalgoE6EfNS0_10empty_typeEbEEZZNS1_14partition_implILS5_6ELb0ES3_mN6thrust23THRUST_200600_302600_NS6detail15normal_iteratorINSA_10device_ptrIfEEEEPS6_SG_NS0_5tupleIJNSA_16discard_iteratorINSA_11use_defaultEEES6_EEENSH_IJSG_SG_EEES6_PlJNSB_9not_fun_tI7is_trueIfEEEEEE10hipError_tPvRmT3_T4_T5_T6_T7_T9_mT8_P12ihipStream_tbDpT10_ENKUlT_T0_E_clISt17integral_constantIbLb0EES1B_EEDaS16_S17_EUlS16_E_NS1_11comp_targetILNS1_3genE2ELNS1_11target_archE906ELNS1_3gpuE6ELNS1_3repE0EEENS1_30default_config_static_selectorELNS0_4arch9wavefront6targetE0EEEvT1_
	.globl	_ZN7rocprim17ROCPRIM_400000_NS6detail17trampoline_kernelINS0_14default_configENS1_25partition_config_selectorILNS1_17partition_subalgoE6EfNS0_10empty_typeEbEEZZNS1_14partition_implILS5_6ELb0ES3_mN6thrust23THRUST_200600_302600_NS6detail15normal_iteratorINSA_10device_ptrIfEEEEPS6_SG_NS0_5tupleIJNSA_16discard_iteratorINSA_11use_defaultEEES6_EEENSH_IJSG_SG_EEES6_PlJNSB_9not_fun_tI7is_trueIfEEEEEE10hipError_tPvRmT3_T4_T5_T6_T7_T9_mT8_P12ihipStream_tbDpT10_ENKUlT_T0_E_clISt17integral_constantIbLb0EES1B_EEDaS16_S17_EUlS16_E_NS1_11comp_targetILNS1_3genE2ELNS1_11target_archE906ELNS1_3gpuE6ELNS1_3repE0EEENS1_30default_config_static_selectorELNS0_4arch9wavefront6targetE0EEEvT1_
	.p2align	8
	.type	_ZN7rocprim17ROCPRIM_400000_NS6detail17trampoline_kernelINS0_14default_configENS1_25partition_config_selectorILNS1_17partition_subalgoE6EfNS0_10empty_typeEbEEZZNS1_14partition_implILS5_6ELb0ES3_mN6thrust23THRUST_200600_302600_NS6detail15normal_iteratorINSA_10device_ptrIfEEEEPS6_SG_NS0_5tupleIJNSA_16discard_iteratorINSA_11use_defaultEEES6_EEENSH_IJSG_SG_EEES6_PlJNSB_9not_fun_tI7is_trueIfEEEEEE10hipError_tPvRmT3_T4_T5_T6_T7_T9_mT8_P12ihipStream_tbDpT10_ENKUlT_T0_E_clISt17integral_constantIbLb0EES1B_EEDaS16_S17_EUlS16_E_NS1_11comp_targetILNS1_3genE2ELNS1_11target_archE906ELNS1_3gpuE6ELNS1_3repE0EEENS1_30default_config_static_selectorELNS0_4arch9wavefront6targetE0EEEvT1_,@function
_ZN7rocprim17ROCPRIM_400000_NS6detail17trampoline_kernelINS0_14default_configENS1_25partition_config_selectorILNS1_17partition_subalgoE6EfNS0_10empty_typeEbEEZZNS1_14partition_implILS5_6ELb0ES3_mN6thrust23THRUST_200600_302600_NS6detail15normal_iteratorINSA_10device_ptrIfEEEEPS6_SG_NS0_5tupleIJNSA_16discard_iteratorINSA_11use_defaultEEES6_EEENSH_IJSG_SG_EEES6_PlJNSB_9not_fun_tI7is_trueIfEEEEEE10hipError_tPvRmT3_T4_T5_T6_T7_T9_mT8_P12ihipStream_tbDpT10_ENKUlT_T0_E_clISt17integral_constantIbLb0EES1B_EEDaS16_S17_EUlS16_E_NS1_11comp_targetILNS1_3genE2ELNS1_11target_archE906ELNS1_3gpuE6ELNS1_3repE0EEENS1_30default_config_static_selectorELNS0_4arch9wavefront6targetE0EEEvT1_: ; @_ZN7rocprim17ROCPRIM_400000_NS6detail17trampoline_kernelINS0_14default_configENS1_25partition_config_selectorILNS1_17partition_subalgoE6EfNS0_10empty_typeEbEEZZNS1_14partition_implILS5_6ELb0ES3_mN6thrust23THRUST_200600_302600_NS6detail15normal_iteratorINSA_10device_ptrIfEEEEPS6_SG_NS0_5tupleIJNSA_16discard_iteratorINSA_11use_defaultEEES6_EEENSH_IJSG_SG_EEES6_PlJNSB_9not_fun_tI7is_trueIfEEEEEE10hipError_tPvRmT3_T4_T5_T6_T7_T9_mT8_P12ihipStream_tbDpT10_ENKUlT_T0_E_clISt17integral_constantIbLb0EES1B_EEDaS16_S17_EUlS16_E_NS1_11comp_targetILNS1_3genE2ELNS1_11target_archE906ELNS1_3gpuE6ELNS1_3repE0EEENS1_30default_config_static_selectorELNS0_4arch9wavefront6targetE0EEEvT1_
; %bb.0:
	.section	.rodata,"a",@progbits
	.p2align	6, 0x0
	.amdhsa_kernel _ZN7rocprim17ROCPRIM_400000_NS6detail17trampoline_kernelINS0_14default_configENS1_25partition_config_selectorILNS1_17partition_subalgoE6EfNS0_10empty_typeEbEEZZNS1_14partition_implILS5_6ELb0ES3_mN6thrust23THRUST_200600_302600_NS6detail15normal_iteratorINSA_10device_ptrIfEEEEPS6_SG_NS0_5tupleIJNSA_16discard_iteratorINSA_11use_defaultEEES6_EEENSH_IJSG_SG_EEES6_PlJNSB_9not_fun_tI7is_trueIfEEEEEE10hipError_tPvRmT3_T4_T5_T6_T7_T9_mT8_P12ihipStream_tbDpT10_ENKUlT_T0_E_clISt17integral_constantIbLb0EES1B_EEDaS16_S17_EUlS16_E_NS1_11comp_targetILNS1_3genE2ELNS1_11target_archE906ELNS1_3gpuE6ELNS1_3repE0EEENS1_30default_config_static_selectorELNS0_4arch9wavefront6targetE0EEEvT1_
		.amdhsa_group_segment_fixed_size 0
		.amdhsa_private_segment_fixed_size 0
		.amdhsa_kernarg_size 120
		.amdhsa_user_sgpr_count 2
		.amdhsa_user_sgpr_dispatch_ptr 0
		.amdhsa_user_sgpr_queue_ptr 0
		.amdhsa_user_sgpr_kernarg_segment_ptr 1
		.amdhsa_user_sgpr_dispatch_id 0
		.amdhsa_user_sgpr_private_segment_size 0
		.amdhsa_wavefront_size32 1
		.amdhsa_uses_dynamic_stack 0
		.amdhsa_enable_private_segment 0
		.amdhsa_system_sgpr_workgroup_id_x 1
		.amdhsa_system_sgpr_workgroup_id_y 0
		.amdhsa_system_sgpr_workgroup_id_z 0
		.amdhsa_system_sgpr_workgroup_info 0
		.amdhsa_system_vgpr_workitem_id 0
		.amdhsa_next_free_vgpr 1
		.amdhsa_next_free_sgpr 1
		.amdhsa_reserve_vcc 0
		.amdhsa_float_round_mode_32 0
		.amdhsa_float_round_mode_16_64 0
		.amdhsa_float_denorm_mode_32 3
		.amdhsa_float_denorm_mode_16_64 3
		.amdhsa_fp16_overflow 0
		.amdhsa_workgroup_processor_mode 1
		.amdhsa_memory_ordered 1
		.amdhsa_forward_progress 1
		.amdhsa_inst_pref_size 0
		.amdhsa_round_robin_scheduling 0
		.amdhsa_exception_fp_ieee_invalid_op 0
		.amdhsa_exception_fp_denorm_src 0
		.amdhsa_exception_fp_ieee_div_zero 0
		.amdhsa_exception_fp_ieee_overflow 0
		.amdhsa_exception_fp_ieee_underflow 0
		.amdhsa_exception_fp_ieee_inexact 0
		.amdhsa_exception_int_div_zero 0
	.end_amdhsa_kernel
	.section	.text._ZN7rocprim17ROCPRIM_400000_NS6detail17trampoline_kernelINS0_14default_configENS1_25partition_config_selectorILNS1_17partition_subalgoE6EfNS0_10empty_typeEbEEZZNS1_14partition_implILS5_6ELb0ES3_mN6thrust23THRUST_200600_302600_NS6detail15normal_iteratorINSA_10device_ptrIfEEEEPS6_SG_NS0_5tupleIJNSA_16discard_iteratorINSA_11use_defaultEEES6_EEENSH_IJSG_SG_EEES6_PlJNSB_9not_fun_tI7is_trueIfEEEEEE10hipError_tPvRmT3_T4_T5_T6_T7_T9_mT8_P12ihipStream_tbDpT10_ENKUlT_T0_E_clISt17integral_constantIbLb0EES1B_EEDaS16_S17_EUlS16_E_NS1_11comp_targetILNS1_3genE2ELNS1_11target_archE906ELNS1_3gpuE6ELNS1_3repE0EEENS1_30default_config_static_selectorELNS0_4arch9wavefront6targetE0EEEvT1_,"axG",@progbits,_ZN7rocprim17ROCPRIM_400000_NS6detail17trampoline_kernelINS0_14default_configENS1_25partition_config_selectorILNS1_17partition_subalgoE6EfNS0_10empty_typeEbEEZZNS1_14partition_implILS5_6ELb0ES3_mN6thrust23THRUST_200600_302600_NS6detail15normal_iteratorINSA_10device_ptrIfEEEEPS6_SG_NS0_5tupleIJNSA_16discard_iteratorINSA_11use_defaultEEES6_EEENSH_IJSG_SG_EEES6_PlJNSB_9not_fun_tI7is_trueIfEEEEEE10hipError_tPvRmT3_T4_T5_T6_T7_T9_mT8_P12ihipStream_tbDpT10_ENKUlT_T0_E_clISt17integral_constantIbLb0EES1B_EEDaS16_S17_EUlS16_E_NS1_11comp_targetILNS1_3genE2ELNS1_11target_archE906ELNS1_3gpuE6ELNS1_3repE0EEENS1_30default_config_static_selectorELNS0_4arch9wavefront6targetE0EEEvT1_,comdat
.Lfunc_end2113:
	.size	_ZN7rocprim17ROCPRIM_400000_NS6detail17trampoline_kernelINS0_14default_configENS1_25partition_config_selectorILNS1_17partition_subalgoE6EfNS0_10empty_typeEbEEZZNS1_14partition_implILS5_6ELb0ES3_mN6thrust23THRUST_200600_302600_NS6detail15normal_iteratorINSA_10device_ptrIfEEEEPS6_SG_NS0_5tupleIJNSA_16discard_iteratorINSA_11use_defaultEEES6_EEENSH_IJSG_SG_EEES6_PlJNSB_9not_fun_tI7is_trueIfEEEEEE10hipError_tPvRmT3_T4_T5_T6_T7_T9_mT8_P12ihipStream_tbDpT10_ENKUlT_T0_E_clISt17integral_constantIbLb0EES1B_EEDaS16_S17_EUlS16_E_NS1_11comp_targetILNS1_3genE2ELNS1_11target_archE906ELNS1_3gpuE6ELNS1_3repE0EEENS1_30default_config_static_selectorELNS0_4arch9wavefront6targetE0EEEvT1_, .Lfunc_end2113-_ZN7rocprim17ROCPRIM_400000_NS6detail17trampoline_kernelINS0_14default_configENS1_25partition_config_selectorILNS1_17partition_subalgoE6EfNS0_10empty_typeEbEEZZNS1_14partition_implILS5_6ELb0ES3_mN6thrust23THRUST_200600_302600_NS6detail15normal_iteratorINSA_10device_ptrIfEEEEPS6_SG_NS0_5tupleIJNSA_16discard_iteratorINSA_11use_defaultEEES6_EEENSH_IJSG_SG_EEES6_PlJNSB_9not_fun_tI7is_trueIfEEEEEE10hipError_tPvRmT3_T4_T5_T6_T7_T9_mT8_P12ihipStream_tbDpT10_ENKUlT_T0_E_clISt17integral_constantIbLb0EES1B_EEDaS16_S17_EUlS16_E_NS1_11comp_targetILNS1_3genE2ELNS1_11target_archE906ELNS1_3gpuE6ELNS1_3repE0EEENS1_30default_config_static_selectorELNS0_4arch9wavefront6targetE0EEEvT1_
                                        ; -- End function
	.set _ZN7rocprim17ROCPRIM_400000_NS6detail17trampoline_kernelINS0_14default_configENS1_25partition_config_selectorILNS1_17partition_subalgoE6EfNS0_10empty_typeEbEEZZNS1_14partition_implILS5_6ELb0ES3_mN6thrust23THRUST_200600_302600_NS6detail15normal_iteratorINSA_10device_ptrIfEEEEPS6_SG_NS0_5tupleIJNSA_16discard_iteratorINSA_11use_defaultEEES6_EEENSH_IJSG_SG_EEES6_PlJNSB_9not_fun_tI7is_trueIfEEEEEE10hipError_tPvRmT3_T4_T5_T6_T7_T9_mT8_P12ihipStream_tbDpT10_ENKUlT_T0_E_clISt17integral_constantIbLb0EES1B_EEDaS16_S17_EUlS16_E_NS1_11comp_targetILNS1_3genE2ELNS1_11target_archE906ELNS1_3gpuE6ELNS1_3repE0EEENS1_30default_config_static_selectorELNS0_4arch9wavefront6targetE0EEEvT1_.num_vgpr, 0
	.set _ZN7rocprim17ROCPRIM_400000_NS6detail17trampoline_kernelINS0_14default_configENS1_25partition_config_selectorILNS1_17partition_subalgoE6EfNS0_10empty_typeEbEEZZNS1_14partition_implILS5_6ELb0ES3_mN6thrust23THRUST_200600_302600_NS6detail15normal_iteratorINSA_10device_ptrIfEEEEPS6_SG_NS0_5tupleIJNSA_16discard_iteratorINSA_11use_defaultEEES6_EEENSH_IJSG_SG_EEES6_PlJNSB_9not_fun_tI7is_trueIfEEEEEE10hipError_tPvRmT3_T4_T5_T6_T7_T9_mT8_P12ihipStream_tbDpT10_ENKUlT_T0_E_clISt17integral_constantIbLb0EES1B_EEDaS16_S17_EUlS16_E_NS1_11comp_targetILNS1_3genE2ELNS1_11target_archE906ELNS1_3gpuE6ELNS1_3repE0EEENS1_30default_config_static_selectorELNS0_4arch9wavefront6targetE0EEEvT1_.num_agpr, 0
	.set _ZN7rocprim17ROCPRIM_400000_NS6detail17trampoline_kernelINS0_14default_configENS1_25partition_config_selectorILNS1_17partition_subalgoE6EfNS0_10empty_typeEbEEZZNS1_14partition_implILS5_6ELb0ES3_mN6thrust23THRUST_200600_302600_NS6detail15normal_iteratorINSA_10device_ptrIfEEEEPS6_SG_NS0_5tupleIJNSA_16discard_iteratorINSA_11use_defaultEEES6_EEENSH_IJSG_SG_EEES6_PlJNSB_9not_fun_tI7is_trueIfEEEEEE10hipError_tPvRmT3_T4_T5_T6_T7_T9_mT8_P12ihipStream_tbDpT10_ENKUlT_T0_E_clISt17integral_constantIbLb0EES1B_EEDaS16_S17_EUlS16_E_NS1_11comp_targetILNS1_3genE2ELNS1_11target_archE906ELNS1_3gpuE6ELNS1_3repE0EEENS1_30default_config_static_selectorELNS0_4arch9wavefront6targetE0EEEvT1_.numbered_sgpr, 0
	.set _ZN7rocprim17ROCPRIM_400000_NS6detail17trampoline_kernelINS0_14default_configENS1_25partition_config_selectorILNS1_17partition_subalgoE6EfNS0_10empty_typeEbEEZZNS1_14partition_implILS5_6ELb0ES3_mN6thrust23THRUST_200600_302600_NS6detail15normal_iteratorINSA_10device_ptrIfEEEEPS6_SG_NS0_5tupleIJNSA_16discard_iteratorINSA_11use_defaultEEES6_EEENSH_IJSG_SG_EEES6_PlJNSB_9not_fun_tI7is_trueIfEEEEEE10hipError_tPvRmT3_T4_T5_T6_T7_T9_mT8_P12ihipStream_tbDpT10_ENKUlT_T0_E_clISt17integral_constantIbLb0EES1B_EEDaS16_S17_EUlS16_E_NS1_11comp_targetILNS1_3genE2ELNS1_11target_archE906ELNS1_3gpuE6ELNS1_3repE0EEENS1_30default_config_static_selectorELNS0_4arch9wavefront6targetE0EEEvT1_.num_named_barrier, 0
	.set _ZN7rocprim17ROCPRIM_400000_NS6detail17trampoline_kernelINS0_14default_configENS1_25partition_config_selectorILNS1_17partition_subalgoE6EfNS0_10empty_typeEbEEZZNS1_14partition_implILS5_6ELb0ES3_mN6thrust23THRUST_200600_302600_NS6detail15normal_iteratorINSA_10device_ptrIfEEEEPS6_SG_NS0_5tupleIJNSA_16discard_iteratorINSA_11use_defaultEEES6_EEENSH_IJSG_SG_EEES6_PlJNSB_9not_fun_tI7is_trueIfEEEEEE10hipError_tPvRmT3_T4_T5_T6_T7_T9_mT8_P12ihipStream_tbDpT10_ENKUlT_T0_E_clISt17integral_constantIbLb0EES1B_EEDaS16_S17_EUlS16_E_NS1_11comp_targetILNS1_3genE2ELNS1_11target_archE906ELNS1_3gpuE6ELNS1_3repE0EEENS1_30default_config_static_selectorELNS0_4arch9wavefront6targetE0EEEvT1_.private_seg_size, 0
	.set _ZN7rocprim17ROCPRIM_400000_NS6detail17trampoline_kernelINS0_14default_configENS1_25partition_config_selectorILNS1_17partition_subalgoE6EfNS0_10empty_typeEbEEZZNS1_14partition_implILS5_6ELb0ES3_mN6thrust23THRUST_200600_302600_NS6detail15normal_iteratorINSA_10device_ptrIfEEEEPS6_SG_NS0_5tupleIJNSA_16discard_iteratorINSA_11use_defaultEEES6_EEENSH_IJSG_SG_EEES6_PlJNSB_9not_fun_tI7is_trueIfEEEEEE10hipError_tPvRmT3_T4_T5_T6_T7_T9_mT8_P12ihipStream_tbDpT10_ENKUlT_T0_E_clISt17integral_constantIbLb0EES1B_EEDaS16_S17_EUlS16_E_NS1_11comp_targetILNS1_3genE2ELNS1_11target_archE906ELNS1_3gpuE6ELNS1_3repE0EEENS1_30default_config_static_selectorELNS0_4arch9wavefront6targetE0EEEvT1_.uses_vcc, 0
	.set _ZN7rocprim17ROCPRIM_400000_NS6detail17trampoline_kernelINS0_14default_configENS1_25partition_config_selectorILNS1_17partition_subalgoE6EfNS0_10empty_typeEbEEZZNS1_14partition_implILS5_6ELb0ES3_mN6thrust23THRUST_200600_302600_NS6detail15normal_iteratorINSA_10device_ptrIfEEEEPS6_SG_NS0_5tupleIJNSA_16discard_iteratorINSA_11use_defaultEEES6_EEENSH_IJSG_SG_EEES6_PlJNSB_9not_fun_tI7is_trueIfEEEEEE10hipError_tPvRmT3_T4_T5_T6_T7_T9_mT8_P12ihipStream_tbDpT10_ENKUlT_T0_E_clISt17integral_constantIbLb0EES1B_EEDaS16_S17_EUlS16_E_NS1_11comp_targetILNS1_3genE2ELNS1_11target_archE906ELNS1_3gpuE6ELNS1_3repE0EEENS1_30default_config_static_selectorELNS0_4arch9wavefront6targetE0EEEvT1_.uses_flat_scratch, 0
	.set _ZN7rocprim17ROCPRIM_400000_NS6detail17trampoline_kernelINS0_14default_configENS1_25partition_config_selectorILNS1_17partition_subalgoE6EfNS0_10empty_typeEbEEZZNS1_14partition_implILS5_6ELb0ES3_mN6thrust23THRUST_200600_302600_NS6detail15normal_iteratorINSA_10device_ptrIfEEEEPS6_SG_NS0_5tupleIJNSA_16discard_iteratorINSA_11use_defaultEEES6_EEENSH_IJSG_SG_EEES6_PlJNSB_9not_fun_tI7is_trueIfEEEEEE10hipError_tPvRmT3_T4_T5_T6_T7_T9_mT8_P12ihipStream_tbDpT10_ENKUlT_T0_E_clISt17integral_constantIbLb0EES1B_EEDaS16_S17_EUlS16_E_NS1_11comp_targetILNS1_3genE2ELNS1_11target_archE906ELNS1_3gpuE6ELNS1_3repE0EEENS1_30default_config_static_selectorELNS0_4arch9wavefront6targetE0EEEvT1_.has_dyn_sized_stack, 0
	.set _ZN7rocprim17ROCPRIM_400000_NS6detail17trampoline_kernelINS0_14default_configENS1_25partition_config_selectorILNS1_17partition_subalgoE6EfNS0_10empty_typeEbEEZZNS1_14partition_implILS5_6ELb0ES3_mN6thrust23THRUST_200600_302600_NS6detail15normal_iteratorINSA_10device_ptrIfEEEEPS6_SG_NS0_5tupleIJNSA_16discard_iteratorINSA_11use_defaultEEES6_EEENSH_IJSG_SG_EEES6_PlJNSB_9not_fun_tI7is_trueIfEEEEEE10hipError_tPvRmT3_T4_T5_T6_T7_T9_mT8_P12ihipStream_tbDpT10_ENKUlT_T0_E_clISt17integral_constantIbLb0EES1B_EEDaS16_S17_EUlS16_E_NS1_11comp_targetILNS1_3genE2ELNS1_11target_archE906ELNS1_3gpuE6ELNS1_3repE0EEENS1_30default_config_static_selectorELNS0_4arch9wavefront6targetE0EEEvT1_.has_recursion, 0
	.set _ZN7rocprim17ROCPRIM_400000_NS6detail17trampoline_kernelINS0_14default_configENS1_25partition_config_selectorILNS1_17partition_subalgoE6EfNS0_10empty_typeEbEEZZNS1_14partition_implILS5_6ELb0ES3_mN6thrust23THRUST_200600_302600_NS6detail15normal_iteratorINSA_10device_ptrIfEEEEPS6_SG_NS0_5tupleIJNSA_16discard_iteratorINSA_11use_defaultEEES6_EEENSH_IJSG_SG_EEES6_PlJNSB_9not_fun_tI7is_trueIfEEEEEE10hipError_tPvRmT3_T4_T5_T6_T7_T9_mT8_P12ihipStream_tbDpT10_ENKUlT_T0_E_clISt17integral_constantIbLb0EES1B_EEDaS16_S17_EUlS16_E_NS1_11comp_targetILNS1_3genE2ELNS1_11target_archE906ELNS1_3gpuE6ELNS1_3repE0EEENS1_30default_config_static_selectorELNS0_4arch9wavefront6targetE0EEEvT1_.has_indirect_call, 0
	.section	.AMDGPU.csdata,"",@progbits
; Kernel info:
; codeLenInByte = 0
; TotalNumSgprs: 0
; NumVgprs: 0
; ScratchSize: 0
; MemoryBound: 0
; FloatMode: 240
; IeeeMode: 1
; LDSByteSize: 0 bytes/workgroup (compile time only)
; SGPRBlocks: 0
; VGPRBlocks: 0
; NumSGPRsForWavesPerEU: 1
; NumVGPRsForWavesPerEU: 1
; Occupancy: 16
; WaveLimiterHint : 0
; COMPUTE_PGM_RSRC2:SCRATCH_EN: 0
; COMPUTE_PGM_RSRC2:USER_SGPR: 2
; COMPUTE_PGM_RSRC2:TRAP_HANDLER: 0
; COMPUTE_PGM_RSRC2:TGID_X_EN: 1
; COMPUTE_PGM_RSRC2:TGID_Y_EN: 0
; COMPUTE_PGM_RSRC2:TGID_Z_EN: 0
; COMPUTE_PGM_RSRC2:TIDIG_COMP_CNT: 0
	.section	.text._ZN7rocprim17ROCPRIM_400000_NS6detail17trampoline_kernelINS0_14default_configENS1_25partition_config_selectorILNS1_17partition_subalgoE6EfNS0_10empty_typeEbEEZZNS1_14partition_implILS5_6ELb0ES3_mN6thrust23THRUST_200600_302600_NS6detail15normal_iteratorINSA_10device_ptrIfEEEEPS6_SG_NS0_5tupleIJNSA_16discard_iteratorINSA_11use_defaultEEES6_EEENSH_IJSG_SG_EEES6_PlJNSB_9not_fun_tI7is_trueIfEEEEEE10hipError_tPvRmT3_T4_T5_T6_T7_T9_mT8_P12ihipStream_tbDpT10_ENKUlT_T0_E_clISt17integral_constantIbLb0EES1B_EEDaS16_S17_EUlS16_E_NS1_11comp_targetILNS1_3genE10ELNS1_11target_archE1200ELNS1_3gpuE4ELNS1_3repE0EEENS1_30default_config_static_selectorELNS0_4arch9wavefront6targetE0EEEvT1_,"axG",@progbits,_ZN7rocprim17ROCPRIM_400000_NS6detail17trampoline_kernelINS0_14default_configENS1_25partition_config_selectorILNS1_17partition_subalgoE6EfNS0_10empty_typeEbEEZZNS1_14partition_implILS5_6ELb0ES3_mN6thrust23THRUST_200600_302600_NS6detail15normal_iteratorINSA_10device_ptrIfEEEEPS6_SG_NS0_5tupleIJNSA_16discard_iteratorINSA_11use_defaultEEES6_EEENSH_IJSG_SG_EEES6_PlJNSB_9not_fun_tI7is_trueIfEEEEEE10hipError_tPvRmT3_T4_T5_T6_T7_T9_mT8_P12ihipStream_tbDpT10_ENKUlT_T0_E_clISt17integral_constantIbLb0EES1B_EEDaS16_S17_EUlS16_E_NS1_11comp_targetILNS1_3genE10ELNS1_11target_archE1200ELNS1_3gpuE4ELNS1_3repE0EEENS1_30default_config_static_selectorELNS0_4arch9wavefront6targetE0EEEvT1_,comdat
	.protected	_ZN7rocprim17ROCPRIM_400000_NS6detail17trampoline_kernelINS0_14default_configENS1_25partition_config_selectorILNS1_17partition_subalgoE6EfNS0_10empty_typeEbEEZZNS1_14partition_implILS5_6ELb0ES3_mN6thrust23THRUST_200600_302600_NS6detail15normal_iteratorINSA_10device_ptrIfEEEEPS6_SG_NS0_5tupleIJNSA_16discard_iteratorINSA_11use_defaultEEES6_EEENSH_IJSG_SG_EEES6_PlJNSB_9not_fun_tI7is_trueIfEEEEEE10hipError_tPvRmT3_T4_T5_T6_T7_T9_mT8_P12ihipStream_tbDpT10_ENKUlT_T0_E_clISt17integral_constantIbLb0EES1B_EEDaS16_S17_EUlS16_E_NS1_11comp_targetILNS1_3genE10ELNS1_11target_archE1200ELNS1_3gpuE4ELNS1_3repE0EEENS1_30default_config_static_selectorELNS0_4arch9wavefront6targetE0EEEvT1_ ; -- Begin function _ZN7rocprim17ROCPRIM_400000_NS6detail17trampoline_kernelINS0_14default_configENS1_25partition_config_selectorILNS1_17partition_subalgoE6EfNS0_10empty_typeEbEEZZNS1_14partition_implILS5_6ELb0ES3_mN6thrust23THRUST_200600_302600_NS6detail15normal_iteratorINSA_10device_ptrIfEEEEPS6_SG_NS0_5tupleIJNSA_16discard_iteratorINSA_11use_defaultEEES6_EEENSH_IJSG_SG_EEES6_PlJNSB_9not_fun_tI7is_trueIfEEEEEE10hipError_tPvRmT3_T4_T5_T6_T7_T9_mT8_P12ihipStream_tbDpT10_ENKUlT_T0_E_clISt17integral_constantIbLb0EES1B_EEDaS16_S17_EUlS16_E_NS1_11comp_targetILNS1_3genE10ELNS1_11target_archE1200ELNS1_3gpuE4ELNS1_3repE0EEENS1_30default_config_static_selectorELNS0_4arch9wavefront6targetE0EEEvT1_
	.globl	_ZN7rocprim17ROCPRIM_400000_NS6detail17trampoline_kernelINS0_14default_configENS1_25partition_config_selectorILNS1_17partition_subalgoE6EfNS0_10empty_typeEbEEZZNS1_14partition_implILS5_6ELb0ES3_mN6thrust23THRUST_200600_302600_NS6detail15normal_iteratorINSA_10device_ptrIfEEEEPS6_SG_NS0_5tupleIJNSA_16discard_iteratorINSA_11use_defaultEEES6_EEENSH_IJSG_SG_EEES6_PlJNSB_9not_fun_tI7is_trueIfEEEEEE10hipError_tPvRmT3_T4_T5_T6_T7_T9_mT8_P12ihipStream_tbDpT10_ENKUlT_T0_E_clISt17integral_constantIbLb0EES1B_EEDaS16_S17_EUlS16_E_NS1_11comp_targetILNS1_3genE10ELNS1_11target_archE1200ELNS1_3gpuE4ELNS1_3repE0EEENS1_30default_config_static_selectorELNS0_4arch9wavefront6targetE0EEEvT1_
	.p2align	8
	.type	_ZN7rocprim17ROCPRIM_400000_NS6detail17trampoline_kernelINS0_14default_configENS1_25partition_config_selectorILNS1_17partition_subalgoE6EfNS0_10empty_typeEbEEZZNS1_14partition_implILS5_6ELb0ES3_mN6thrust23THRUST_200600_302600_NS6detail15normal_iteratorINSA_10device_ptrIfEEEEPS6_SG_NS0_5tupleIJNSA_16discard_iteratorINSA_11use_defaultEEES6_EEENSH_IJSG_SG_EEES6_PlJNSB_9not_fun_tI7is_trueIfEEEEEE10hipError_tPvRmT3_T4_T5_T6_T7_T9_mT8_P12ihipStream_tbDpT10_ENKUlT_T0_E_clISt17integral_constantIbLb0EES1B_EEDaS16_S17_EUlS16_E_NS1_11comp_targetILNS1_3genE10ELNS1_11target_archE1200ELNS1_3gpuE4ELNS1_3repE0EEENS1_30default_config_static_selectorELNS0_4arch9wavefront6targetE0EEEvT1_,@function
_ZN7rocprim17ROCPRIM_400000_NS6detail17trampoline_kernelINS0_14default_configENS1_25partition_config_selectorILNS1_17partition_subalgoE6EfNS0_10empty_typeEbEEZZNS1_14partition_implILS5_6ELb0ES3_mN6thrust23THRUST_200600_302600_NS6detail15normal_iteratorINSA_10device_ptrIfEEEEPS6_SG_NS0_5tupleIJNSA_16discard_iteratorINSA_11use_defaultEEES6_EEENSH_IJSG_SG_EEES6_PlJNSB_9not_fun_tI7is_trueIfEEEEEE10hipError_tPvRmT3_T4_T5_T6_T7_T9_mT8_P12ihipStream_tbDpT10_ENKUlT_T0_E_clISt17integral_constantIbLb0EES1B_EEDaS16_S17_EUlS16_E_NS1_11comp_targetILNS1_3genE10ELNS1_11target_archE1200ELNS1_3gpuE4ELNS1_3repE0EEENS1_30default_config_static_selectorELNS0_4arch9wavefront6targetE0EEEvT1_: ; @_ZN7rocprim17ROCPRIM_400000_NS6detail17trampoline_kernelINS0_14default_configENS1_25partition_config_selectorILNS1_17partition_subalgoE6EfNS0_10empty_typeEbEEZZNS1_14partition_implILS5_6ELb0ES3_mN6thrust23THRUST_200600_302600_NS6detail15normal_iteratorINSA_10device_ptrIfEEEEPS6_SG_NS0_5tupleIJNSA_16discard_iteratorINSA_11use_defaultEEES6_EEENSH_IJSG_SG_EEES6_PlJNSB_9not_fun_tI7is_trueIfEEEEEE10hipError_tPvRmT3_T4_T5_T6_T7_T9_mT8_P12ihipStream_tbDpT10_ENKUlT_T0_E_clISt17integral_constantIbLb0EES1B_EEDaS16_S17_EUlS16_E_NS1_11comp_targetILNS1_3genE10ELNS1_11target_archE1200ELNS1_3gpuE4ELNS1_3repE0EEENS1_30default_config_static_selectorELNS0_4arch9wavefront6targetE0EEEvT1_
; %bb.0:
	s_clause 0x3
	s_load_b128 s[4:7], s[0:1], 0x8
	s_load_b128 s[8:11], s[0:1], 0x48
	s_load_b32 s17, s[0:1], 0x70
	s_load_b64 s[2:3], s[0:1], 0x58
	s_mov_b32 s13, 0
	s_mul_i32 s16, ttmp9, 0xa80
	v_lshlrev_b32_e32 v8, 2, v0
	s_wait_kmcnt 0x0
	s_lshl_b64 s[14:15], s[6:7], 2
	s_load_b64 s[10:11], s[10:11], 0x0
	s_mul_i32 s12, s17, 0xa80
	s_add_co_i32 s17, s17, -1
	s_add_co_i32 s20, s12, s6
	s_add_nc_u64 s[18:19], s[4:5], s[14:15]
	s_add_nc_u64 s[4:5], s[6:7], s[12:13]
	s_sub_co_i32 s14, s2, s20
	s_cmp_eq_u32 ttmp9, s17
	v_cmp_gt_u64_e64 s2, s[2:3], s[4:5]
	s_cselect_b32 s12, -1, 0
	s_cmp_lg_u32 ttmp9, s17
	s_mov_b32 s17, s13
	s_cselect_b32 s3, -1, 0
	s_mov_b32 s4, -1
	s_wait_alu 0xfffe
	s_or_b32 s15, s3, s2
	s_lshl_b64 s[2:3], s[16:17], 2
	s_and_b32 vcc_lo, exec_lo, s15
	s_wait_alu 0xfffe
	s_add_nc_u64 s[2:3], s[18:19], s[2:3]
	s_cbranch_vccz .LBB2114_2
; %bb.1:
	s_wait_alu 0xfffe
	v_add_co_u32 v1, s4, s2, v8
	s_wait_alu 0xf1ff
	v_add_co_ci_u32_e64 v2, null, s3, 0, s4
	s_mov_b32 s4, 0
	s_clause 0x6
	flat_load_b32 v3, v[1:2]
	flat_load_b32 v4, v[1:2] offset:1536
	flat_load_b32 v5, v[1:2] offset:3072
	;; [unrolled: 1-line block ×6, first 2 shown]
	s_wait_loadcnt_dscnt 0x505
	ds_store_2addr_stride64_b32 v8, v3, v4 offset1:6
	s_wait_loadcnt_dscnt 0x304
	ds_store_2addr_stride64_b32 v8, v5, v6 offset0:12 offset1:18
	s_wait_loadcnt_dscnt 0x103
	ds_store_2addr_stride64_b32 v8, v7, v9 offset0:24 offset1:30
	s_wait_loadcnt_dscnt 0x3
	ds_store_b32 v8, v1 offset:9216
	s_wait_dscnt 0x0
	s_barrier_signal -1
	s_barrier_wait -1
.LBB2114_2:
	s_wait_alu 0xfffe
	s_and_not1_b32 vcc_lo, exec_lo, s4
	s_addk_co_i32 s14, 0xa80
	s_cbranch_vccnz .LBB2114_18
; %bb.3:
	v_mov_b32_e32 v1, 0
	s_mov_b32 s4, exec_lo
	s_delay_alu instid0(VALU_DEP_1)
	v_dual_mov_b32 v2, v1 :: v_dual_mov_b32 v3, v1
	v_dual_mov_b32 v4, v1 :: v_dual_mov_b32 v5, v1
	;; [unrolled: 1-line block ×3, first 2 shown]
	v_cmpx_gt_u32_e64 s14, v0
	s_cbranch_execz .LBB2114_5
; %bb.4:
	v_add_co_u32 v2, s5, s2, v8
	s_wait_alu 0xf1ff
	v_add_co_ci_u32_e64 v3, null, s3, 0, s5
	v_dual_mov_b32 v10, v1 :: v_dual_mov_b32 v11, v1
	v_dual_mov_b32 v12, v1 :: v_dual_mov_b32 v13, v1
	flat_load_b32 v9, v[2:3]
	v_dual_mov_b32 v14, v1 :: v_dual_mov_b32 v15, v1
	s_wait_loadcnt_dscnt 0x0
	v_dual_mov_b32 v1, v9 :: v_dual_mov_b32 v2, v10
	v_dual_mov_b32 v3, v11 :: v_dual_mov_b32 v4, v12
	s_delay_alu instid0(VALU_DEP_3)
	v_dual_mov_b32 v5, v13 :: v_dual_mov_b32 v6, v14
	v_mov_b32_e32 v7, v15
.LBB2114_5:
	s_wait_alu 0xfffe
	s_or_b32 exec_lo, exec_lo, s4
	v_add_nc_u32_e32 v9, 0x180, v0
	s_mov_b32 s4, exec_lo
	s_delay_alu instid0(VALU_DEP_1)
	v_cmpx_gt_u32_e64 s14, v9
	s_cbranch_execz .LBB2114_7
; %bb.6:
	v_add_co_u32 v9, s5, s2, v8
	s_wait_alu 0xf1ff
	v_add_co_ci_u32_e64 v10, null, s3, 0, s5
	flat_load_b32 v2, v[9:10] offset:1536
.LBB2114_7:
	s_wait_alu 0xfffe
	s_or_b32 exec_lo, exec_lo, s4
	v_add_nc_u32_e32 v9, 0x300, v0
	s_mov_b32 s4, exec_lo
	s_delay_alu instid0(VALU_DEP_1)
	v_cmpx_gt_u32_e64 s14, v9
	s_cbranch_execz .LBB2114_9
; %bb.8:
	v_add_co_u32 v9, s5, s2, v8
	s_wait_alu 0xf1ff
	v_add_co_ci_u32_e64 v10, null, s3, 0, s5
	flat_load_b32 v3, v[9:10] offset:3072
.LBB2114_9:
	;; [unrolled: 13-line block ×3, first 2 shown]
	s_wait_alu 0xfffe
	s_or_b32 exec_lo, exec_lo, s4
	v_or_b32_e32 v9, 0x600, v0
	s_mov_b32 s4, exec_lo
	s_delay_alu instid0(VALU_DEP_1)
	v_cmpx_gt_u32_e64 s14, v9
	s_cbranch_execz .LBB2114_13
; %bb.12:
	v_add_co_u32 v9, s5, s2, v8
	s_wait_alu 0xf1ff
	v_add_co_ci_u32_e64 v10, null, s3, 0, s5
	flat_load_b32 v5, v[9:10] offset:6144
.LBB2114_13:
	s_wait_alu 0xfffe
	s_or_b32 exec_lo, exec_lo, s4
	v_add_nc_u32_e32 v9, 0x780, v0
	s_mov_b32 s4, exec_lo
	s_delay_alu instid0(VALU_DEP_1)
	v_cmpx_gt_u32_e64 s14, v9
	s_cbranch_execz .LBB2114_15
; %bb.14:
	v_add_co_u32 v9, s5, s2, v8
	s_wait_alu 0xf1ff
	v_add_co_ci_u32_e64 v10, null, s3, 0, s5
	flat_load_b32 v6, v[9:10] offset:7680
.LBB2114_15:
	s_wait_alu 0xfffe
	s_or_b32 exec_lo, exec_lo, s4
	v_add_nc_u32_e32 v9, 0x900, v0
	s_mov_b32 s4, exec_lo
	s_delay_alu instid0(VALU_DEP_1)
	v_cmpx_gt_u32_e64 s14, v9
	s_cbranch_execz .LBB2114_17
; %bb.16:
	v_add_co_u32 v9, s2, s2, v8
	s_wait_alu 0xf1ff
	v_add_co_ci_u32_e64 v10, null, s3, 0, s2
	flat_load_b32 v7, v[9:10] offset:9216
.LBB2114_17:
	s_wait_alu 0xfffe
	s_or_b32 exec_lo, exec_lo, s4
	s_wait_loadcnt_dscnt 0x0
	ds_store_2addr_stride64_b32 v8, v1, v2 offset1:6
	ds_store_2addr_stride64_b32 v8, v3, v4 offset0:12 offset1:18
	ds_store_2addr_stride64_b32 v8, v5, v6 offset0:24 offset1:30
	ds_store_b32 v8, v7 offset:9216
	s_wait_dscnt 0x0
	s_barrier_signal -1
	s_barrier_wait -1
.LBB2114_18:
	v_mul_u32_u24_e32 v1, 7, v0
	global_inv scope:SCOPE_SE
	s_and_not1_b32 vcc_lo, exec_lo, s15
	v_lshlrev_b32_e32 v27, 2, v1
	ds_load_2addr_b32 v[9:10], v27 offset0:4 offset1:5
	ds_load_b32 v23, v27 offset:24
	ds_load_2addr_b32 v[13:14], v27 offset1:1
	ds_load_2addr_b32 v[11:12], v27 offset0:2 offset1:3
	s_wait_loadcnt_dscnt 0x0
	s_barrier_signal -1
	s_barrier_wait -1
	global_inv scope:SCOPE_SE
	v_cmp_eq_f32_e64 s2, 0, v9
	v_cmp_eq_f32_e64 s3, 0, v10
	v_cmp_eq_f32_e64 s4, 0, v13
	v_cmp_eq_f32_e64 s6, 0, v14
	v_cmp_eq_f32_e64 s5, 0, v11
	v_cmp_eq_f32_e64 s7, 0, v12
	v_cmp_eq_f32_e64 s13, 0, v23
	s_cbranch_vccnz .LBB2114_20
; %bb.19:
	v_cndmask_b32_e64 v2, 0, 1, s6
	v_cndmask_b32_e64 v3, 0, 1, s7
	s_wait_alu 0xf1ff
	v_cndmask_b32_e64 v4, 0, 1, s4
	v_cndmask_b32_e64 v5, 0, 1, s5
	;; [unrolled: 1-line block ×3, first 2 shown]
	v_lshlrev_b16 v2, 8, v2
	v_lshlrev_b16 v3, 8, v3
	v_cndmask_b32_e64 v24, 0, 1, s3
	s_delay_alu instid0(VALU_DEP_3) | instskip(NEXT) | instid1(VALU_DEP_3)
	v_or_b32_e32 v2, v4, v2
	v_or_b32_e32 v3, v5, v3
	s_delay_alu instid0(VALU_DEP_2) | instskip(NEXT) | instid1(VALU_DEP_2)
	v_and_b32_e32 v2, 0xffff, v2
	v_lshlrev_b32_e32 v3, 16, v3
	s_delay_alu instid0(VALU_DEP_1)
	v_or_b32_e32 v26, v2, v3
	s_cbranch_execz .LBB2114_21
	s_branch .LBB2114_22
.LBB2114_20:
                                        ; implicit-def: $sgpr13
                                        ; implicit-def: $vgpr24
                                        ; implicit-def: $vgpr25
                                        ; implicit-def: $vgpr26
.LBB2114_21:
	v_add_nc_u32_e32 v2, 1, v1
	v_cmp_eq_f32_e32 vcc_lo, 0, v14
	v_add_nc_u32_e32 v3, 3, v1
	v_cmp_eq_f32_e64 s2, 0, v13
	v_cmp_eq_f32_e64 s4, 0, v12
	v_cmp_gt_u32_e64 s3, s14, v2
	v_add_nc_u32_e32 v2, 2, v1
	v_cmp_gt_u32_e64 s6, s14, v3
	v_cmp_eq_f32_e64 s5, 0, v11
	v_add_nc_u32_e32 v5, 5, v1
	s_and_b32 s3, s3, vcc_lo
	v_cmp_gt_u32_e32 vcc_lo, s14, v1
	s_wait_alu 0xfffe
	v_cndmask_b32_e64 v3, 0, 1, s3
	v_cmp_gt_u32_e64 s3, s14, v2
	s_and_b32 s4, s6, s4
	s_and_b32 s2, vcc_lo, s2
	v_lshlrev_b16 v3, 8, v3
	s_wait_alu 0xfffe
	v_cndmask_b32_e64 v4, 0, 1, s2
	v_cndmask_b32_e64 v2, 0, 1, s4
	s_and_b32 s2, s3, s5
	v_cmp_eq_f32_e32 vcc_lo, 0, v10
	s_wait_alu 0xfffe
	v_cndmask_b32_e64 v6, 0, 1, s2
	v_cmp_gt_u32_e64 s2, s14, v5
	v_or_b32_e32 v3, v4, v3
	v_add_nc_u32_e32 v4, 4, v1
	v_lshlrev_b16 v2, 8, v2
	v_cmp_eq_f32_e64 s3, 0, v9
	s_and_b32 s2, s2, vcc_lo
	v_add_nc_u32_e32 v1, 6, v1
	v_cmp_gt_u32_e32 vcc_lo, s14, v4
	v_or_b32_e32 v2, v6, v2
	s_wait_alu 0xfffe
	v_cndmask_b32_e64 v24, 0, 1, s2
	v_and_b32_e32 v3, 0xffff, v3
	s_and_b32 s2, vcc_lo, s3
	v_cmp_gt_u32_e32 vcc_lo, s14, v1
	s_wait_alu 0xfffe
	v_cndmask_b32_e64 v5, 0, 1, s2
	v_cmp_eq_f32_e64 s2, 0, v23
	v_lshlrev_b32_e32 v2, 16, v2
	v_lshlrev_b16 v4, 8, v24
	s_and_not1_b32 s3, s13, exec_lo
	s_and_b32 s2, vcc_lo, s2
	s_delay_alu instid0(VALU_DEP_2) | instskip(NEXT) | instid1(VALU_DEP_2)
	v_or_b32_e32 v26, v3, v2
	v_or_b32_e32 v25, v5, v4
	s_wait_alu 0xfffe
	s_and_b32 s2, s2, exec_lo
	s_wait_alu 0xfffe
	s_or_b32 s13, s3, s2
.LBB2114_22:
	s_delay_alu instid0(VALU_DEP_1)
	v_dual_mov_b32 v2, 0 :: v_dual_and_b32 v31, 0xff, v26
	v_bfe_u32 v30, v26, 8, 8
	v_cndmask_b32_e64 v1, 0, 1, s13
	v_bfe_u32 v33, v26, 16, 8
	s_load_b64 s[4:5], s[0:1], 0x68
	v_lshrrev_b32_e32 v28, 24, v26
	v_and_b32_e32 v32, 0xff, v25
	v_add3_u32 v1, v31, v1, v30
	v_mbcnt_lo_u32_b32 v34, -1, 0
	v_and_b32_e32 v29, 0xff, v24
	s_cmp_lg_u32 ttmp9, 0
	s_mov_b32 s1, -1
	v_add_co_u32 v1, s0, v1, v33
	s_delay_alu instid0(VALU_DEP_1) | instskip(SKIP_1) | instid1(VALU_DEP_3)
	v_add_co_ci_u32_e64 v3, null, 0, 0, s0
	v_and_b32_e32 v35, 15, v34
	v_add_co_u32 v1, vcc_lo, v1, v28
	s_delay_alu instid0(VALU_DEP_1) | instskip(NEXT) | instid1(VALU_DEP_3)
	v_add_co_ci_u32_e64 v3, null, 0, v3, vcc_lo
	v_cmp_ne_u32_e64 s0, 0, v35
	s_delay_alu instid0(VALU_DEP_3) | instskip(SKIP_1) | instid1(VALU_DEP_3)
	v_add_co_u32 v1, vcc_lo, v1, v32
	s_wait_alu 0xfffd
	v_add_co_ci_u32_e64 v3, null, 0, v3, vcc_lo
	s_delay_alu instid0(VALU_DEP_2) | instskip(SKIP_1) | instid1(VALU_DEP_2)
	v_add_co_u32 v15, vcc_lo, v1, v29
	s_wait_alu 0xfffd
	v_add_co_ci_u32_e64 v16, null, 0, v3, vcc_lo
	s_cbranch_scc0 .LBB2114_81
; %bb.23:
	v_mov_b32_e32 v3, v15
	v_mov_b32_dpp v1, v15 row_shr:1 row_mask:0xf bank_mask:0xf
	v_mov_b32_dpp v6, v2 row_shr:1 row_mask:0xf bank_mask:0xf
	v_dual_mov_b32 v5, v15 :: v_dual_mov_b32 v4, v16
	s_and_saveexec_b32 s1, s0
; %bb.24:
	s_delay_alu instid0(VALU_DEP_3) | instskip(SKIP_2) | instid1(VALU_DEP_2)
	v_add_co_u32 v5, vcc_lo, v15, v1
	s_wait_alu 0xfffd
	v_add_co_ci_u32_e64 v2, null, 0, v16, vcc_lo
	v_add_co_u32 v1, vcc_lo, 0, v5
	s_wait_alu 0xfffd
	s_delay_alu instid0(VALU_DEP_2) | instskip(NEXT) | instid1(VALU_DEP_1)
	v_add_co_ci_u32_e64 v2, null, v6, v2, vcc_lo
	v_dual_mov_b32 v4, v2 :: v_dual_mov_b32 v3, v1
; %bb.25:
	s_wait_alu 0xfffe
	s_or_b32 exec_lo, exec_lo, s1
	v_mov_b32_dpp v1, v5 row_shr:2 row_mask:0xf bank_mask:0xf
	v_mov_b32_dpp v6, v2 row_shr:2 row_mask:0xf bank_mask:0xf
	v_cmp_lt_u32_e32 vcc_lo, 1, v35
	s_and_saveexec_b32 s2, vcc_lo
; %bb.26:
	s_delay_alu instid0(VALU_DEP_3) | instskip(SKIP_2) | instid1(VALU_DEP_2)
	v_add_co_u32 v5, s1, v3, v1
	s_wait_alu 0xf1ff
	v_add_co_ci_u32_e64 v2, null, 0, v4, s1
	v_add_co_u32 v1, s1, 0, v5
	s_wait_alu 0xf1ff
	s_delay_alu instid0(VALU_DEP_2) | instskip(NEXT) | instid1(VALU_DEP_1)
	v_add_co_ci_u32_e64 v2, null, v6, v2, s1
	v_dual_mov_b32 v4, v2 :: v_dual_mov_b32 v3, v1
; %bb.27:
	s_wait_alu 0xfffe
	s_or_b32 exec_lo, exec_lo, s2
	v_mov_b32_dpp v1, v5 row_shr:4 row_mask:0xf bank_mask:0xf
	v_mov_b32_dpp v6, v2 row_shr:4 row_mask:0xf bank_mask:0xf
	v_cmp_lt_u32_e64 s1, 3, v35
	s_and_saveexec_b32 s3, s1
; %bb.28:
	v_add_co_u32 v5, s2, v3, v1
	s_wait_alu 0xf1ff
	v_add_co_ci_u32_e64 v2, null, 0, v4, s2
	s_delay_alu instid0(VALU_DEP_2) | instskip(SKIP_1) | instid1(VALU_DEP_2)
	v_add_co_u32 v1, s2, 0, v5
	s_wait_alu 0xf1ff
	v_add_co_ci_u32_e64 v2, null, v6, v2, s2
	s_delay_alu instid0(VALU_DEP_1)
	v_dual_mov_b32 v4, v2 :: v_dual_mov_b32 v3, v1
; %bb.29:
	s_wait_alu 0xfffe
	s_or_b32 exec_lo, exec_lo, s3
	v_mov_b32_dpp v6, v5 row_shr:8 row_mask:0xf bank_mask:0xf
	v_mov_b32_dpp v1, v2 row_shr:8 row_mask:0xf bank_mask:0xf
	v_cmp_lt_u32_e64 s2, 7, v35
	s_and_saveexec_b32 s6, s2
; %bb.30:
	v_add_co_u32 v5, s3, v3, v6
	s_wait_alu 0xf1ff
	v_add_co_ci_u32_e64 v2, null, 0, v4, s3
	s_delay_alu instid0(VALU_DEP_2) | instskip(SKIP_1) | instid1(VALU_DEP_2)
	v_add_co_u32 v3, s3, 0, v5
	s_wait_alu 0xf1ff
	v_add_co_ci_u32_e64 v4, null, v1, v2, s3
	s_delay_alu instid0(VALU_DEP_1)
	v_mov_b32_e32 v2, v4
; %bb.31:
	s_wait_alu 0xfffe
	s_or_b32 exec_lo, exec_lo, s6
	ds_swizzle_b32 v6, v5 offset:swizzle(BROADCAST,32,15)
	ds_swizzle_b32 v1, v2 offset:swizzle(BROADCAST,32,15)
	v_and_b32_e32 v2, 16, v34
	s_mov_b32 s6, exec_lo
	s_delay_alu instid0(VALU_DEP_1)
	v_cmpx_ne_u32_e32 0, v2
	s_cbranch_execz .LBB2114_33
; %bb.32:
	s_wait_dscnt 0x1
	v_add_co_u32 v5, s3, v3, v6
	s_wait_alu 0xf1ff
	v_add_co_ci_u32_e64 v2, null, 0, v4, s3
	s_delay_alu instid0(VALU_DEP_2) | instskip(SKIP_2) | instid1(VALU_DEP_2)
	v_add_co_u32 v3, s3, 0, v5
	s_wait_dscnt 0x0
	s_wait_alu 0xf1ff
	v_add_co_ci_u32_e64 v4, null, v1, v2, s3
.LBB2114_33:
	s_wait_alu 0xfffe
	s_or_b32 exec_lo, exec_lo, s6
	s_wait_dscnt 0x0
	v_and_b32_e32 v1, 0x1e0, v0
	v_lshrrev_b32_e32 v6, 5, v0
	s_mov_b32 s6, exec_lo
	s_delay_alu instid0(VALU_DEP_2) | instskip(NEXT) | instid1(VALU_DEP_1)
	v_min_u32_e32 v1, 0x160, v1
	v_or_b32_e32 v1, 31, v1
	s_delay_alu instid0(VALU_DEP_1)
	v_cmpx_eq_u32_e64 v0, v1
; %bb.34:
	v_lshlrev_b32_e32 v1, 3, v6
	ds_store_b64 v1, v[3:4]
; %bb.35:
	s_wait_alu 0xfffe
	s_or_b32 exec_lo, exec_lo, s6
	s_delay_alu instid0(SALU_CYCLE_1)
	s_mov_b32 s6, exec_lo
	s_wait_loadcnt_dscnt 0x0
	s_barrier_signal -1
	s_barrier_wait -1
	global_inv scope:SCOPE_SE
	v_cmpx_gt_u32_e32 12, v0
	s_cbranch_execz .LBB2114_45
; %bb.36:
	v_lshlrev_b32_e32 v3, 3, v0
	ds_load_b64 v[1:2], v3
	s_wait_dscnt 0x0
	v_mov_b32_dpp v8, v1 row_shr:1 row_mask:0xf bank_mask:0xf
	v_mov_b32_dpp v7, v2 row_shr:1 row_mask:0xf bank_mask:0xf
	v_mov_b32_e32 v4, v1
	s_and_saveexec_b32 s7, s0
; %bb.37:
	s_delay_alu instid0(VALU_DEP_3) | instskip(SKIP_2) | instid1(VALU_DEP_2)
	v_add_co_u32 v4, s3, v1, v8
	s_wait_alu 0xf1ff
	v_add_co_ci_u32_e64 v2, null, 0, v2, s3
	v_add_co_u32 v1, s3, 0, v4
	s_wait_alu 0xf1ff
	s_delay_alu instid0(VALU_DEP_2)
	v_add_co_ci_u32_e64 v2, null, v7, v2, s3
; %bb.38:
	s_wait_alu 0xfffe
	s_or_b32 exec_lo, exec_lo, s7
	v_mov_b32_dpp v8, v4 row_shr:2 row_mask:0xf bank_mask:0xf
	s_delay_alu instid0(VALU_DEP_2)
	v_mov_b32_dpp v7, v2 row_shr:2 row_mask:0xf bank_mask:0xf
	s_and_saveexec_b32 s3, vcc_lo
; %bb.39:
	s_delay_alu instid0(VALU_DEP_2) | instskip(SKIP_2) | instid1(VALU_DEP_2)
	v_add_co_u32 v4, vcc_lo, v1, v8
	s_wait_alu 0xfffd
	v_add_co_ci_u32_e64 v2, null, 0, v2, vcc_lo
	v_add_co_u32 v1, vcc_lo, 0, v4
	s_wait_alu 0xfffd
	s_delay_alu instid0(VALU_DEP_2)
	v_add_co_ci_u32_e64 v2, null, v7, v2, vcc_lo
; %bb.40:
	s_wait_alu 0xfffe
	s_or_b32 exec_lo, exec_lo, s3
	v_mov_b32_dpp v8, v4 row_shr:4 row_mask:0xf bank_mask:0xf
	s_delay_alu instid0(VALU_DEP_2)
	v_mov_b32_dpp v7, v2 row_shr:4 row_mask:0xf bank_mask:0xf
	s_and_saveexec_b32 s3, s1
; %bb.41:
	s_delay_alu instid0(VALU_DEP_2) | instskip(SKIP_2) | instid1(VALU_DEP_2)
	v_add_co_u32 v4, vcc_lo, v1, v8
	s_wait_alu 0xfffd
	v_add_co_ci_u32_e64 v2, null, 0, v2, vcc_lo
	v_add_co_u32 v1, vcc_lo, 0, v4
	s_wait_alu 0xfffd
	s_delay_alu instid0(VALU_DEP_2)
	v_add_co_ci_u32_e64 v2, null, v7, v2, vcc_lo
; %bb.42:
	s_wait_alu 0xfffe
	s_or_b32 exec_lo, exec_lo, s3
	v_mov_b32_dpp v7, v4 row_shr:8 row_mask:0xf bank_mask:0xf
	s_delay_alu instid0(VALU_DEP_2)
	v_mov_b32_dpp v4, v2 row_shr:8 row_mask:0xf bank_mask:0xf
	s_and_saveexec_b32 s1, s2
; %bb.43:
	s_delay_alu instid0(VALU_DEP_2) | instskip(SKIP_2) | instid1(VALU_DEP_2)
	v_add_co_u32 v1, vcc_lo, v1, v7
	s_wait_alu 0xfffd
	v_add_co_ci_u32_e64 v2, null, 0, v2, vcc_lo
	v_add_co_u32 v1, vcc_lo, v1, 0
	s_wait_alu 0xfffd
	s_delay_alu instid0(VALU_DEP_2)
	v_add_co_ci_u32_e64 v2, null, v2, v4, vcc_lo
; %bb.44:
	s_wait_alu 0xfffe
	s_or_b32 exec_lo, exec_lo, s1
	ds_store_b64 v3, v[1:2]
.LBB2114_45:
	s_wait_alu 0xfffe
	s_or_b32 exec_lo, exec_lo, s6
	s_delay_alu instid0(SALU_CYCLE_1)
	s_mov_b32 s2, exec_lo
	v_cmp_gt_u32_e32 vcc_lo, 32, v0
	s_wait_loadcnt_dscnt 0x0
	s_barrier_signal -1
	s_barrier_wait -1
	global_inv scope:SCOPE_SE
                                        ; implicit-def: $vgpr17_vgpr18
	v_cmpx_lt_u32_e32 31, v0
	s_cbranch_execz .LBB2114_47
; %bb.46:
	v_lshl_add_u32 v1, v6, 3, -8
	ds_load_b64 v[17:18], v1
	s_wait_dscnt 0x0
	v_add_nc_u32_e32 v5, v5, v17
.LBB2114_47:
	s_wait_alu 0xfffe
	s_or_b32 exec_lo, exec_lo, s2
	v_sub_co_u32 v1, s1, v34, 1
	s_delay_alu instid0(VALU_DEP_1) | instskip(SKIP_1) | instid1(VALU_DEP_1)
	v_cmp_gt_i32_e64 s2, 0, v1
	s_wait_alu 0xf1ff
	v_cndmask_b32_e64 v1, v1, v34, s2
	s_delay_alu instid0(VALU_DEP_1)
	v_lshlrev_b32_e32 v1, 2, v1
	ds_bpermute_b32 v36, v1, v5
	s_and_saveexec_b32 s2, vcc_lo
	s_cbranch_execz .LBB2114_86
; %bb.48:
	v_mov_b32_e32 v4, 0
	ds_load_b64 v[1:2], v4 offset:88
	s_and_saveexec_b32 s3, s1
	s_cbranch_execz .LBB2114_50
; %bb.49:
	s_add_co_i32 s6, ttmp9, 32
	s_mov_b32 s7, 0
	s_wait_alu 0xfffe
	s_lshl_b64 s[6:7], s[6:7], 4
	s_wait_kmcnt 0x0
	s_wait_alu 0xfffe
	s_add_nc_u64 s[6:7], s[4:5], s[6:7]
	v_mov_b32_e32 v3, 1
	s_wait_alu 0xfffe
	v_dual_mov_b32 v5, s6 :: v_dual_mov_b32 v6, s7
	s_wait_dscnt 0x0
	;;#ASMSTART
	global_store_b128 v[5:6], v[1:4] off scope:SCOPE_DEV	
s_wait_storecnt 0x0
	;;#ASMEND
.LBB2114_50:
	s_wait_alu 0xfffe
	s_or_b32 exec_lo, exec_lo, s3
	v_xad_u32 v19, v34, -1, ttmp9
	s_mov_b32 s6, 0
	s_mov_b32 s3, exec_lo
	s_delay_alu instid0(VALU_DEP_1) | instskip(NEXT) | instid1(VALU_DEP_1)
	v_add_nc_u32_e32 v3, 32, v19
	v_lshlrev_b64_e32 v[3:4], 4, v[3:4]
	s_wait_kmcnt 0x0
	s_delay_alu instid0(VALU_DEP_1) | instskip(SKIP_1) | instid1(VALU_DEP_2)
	v_add_co_u32 v3, vcc_lo, s4, v3
	s_wait_alu 0xfffd
	v_add_co_ci_u32_e64 v4, null, s5, v4, vcc_lo
	;;#ASMSTART
	global_load_b128 v[5:8], v[3:4] off scope:SCOPE_DEV	
s_wait_loadcnt 0x0
	;;#ASMEND
	v_and_b32_e32 v8, 0xff, v7
	s_delay_alu instid0(VALU_DEP_1)
	v_cmpx_eq_u16_e32 0, v8
	s_cbranch_execz .LBB2114_53
.LBB2114_51:                            ; =>This Inner Loop Header: Depth=1
	;;#ASMSTART
	global_load_b128 v[5:8], v[3:4] off scope:SCOPE_DEV	
s_wait_loadcnt 0x0
	;;#ASMEND
	v_and_b32_e32 v8, 0xff, v7
	s_delay_alu instid0(VALU_DEP_1)
	v_cmp_ne_u16_e32 vcc_lo, 0, v8
	s_wait_alu 0xfffe
	s_or_b32 s6, vcc_lo, s6
	s_wait_alu 0xfffe
	s_and_not1_b32 exec_lo, exec_lo, s6
	s_cbranch_execnz .LBB2114_51
; %bb.52:
	s_or_b32 exec_lo, exec_lo, s6
.LBB2114_53:
	s_wait_alu 0xfffe
	s_or_b32 exec_lo, exec_lo, s3
	v_cmp_ne_u32_e32 vcc_lo, 31, v34
	v_and_b32_e32 v4, 0xff, v7
	v_lshlrev_b32_e64 v38, v34, -1
	s_mov_b32 s3, exec_lo
	s_wait_alu 0xfffd
	v_add_co_ci_u32_e64 v3, null, 0, v34, vcc_lo
	v_cmp_eq_u16_e32 vcc_lo, 2, v4
	s_delay_alu instid0(VALU_DEP_2)
	v_dual_mov_b32 v4, v5 :: v_dual_lshlrev_b32 v37, 2, v3
	s_wait_alu 0xfffd
	v_and_or_b32 v3, vcc_lo, v38, 0x80000000
	ds_bpermute_b32 v20, v37, v5
	ds_bpermute_b32 v8, v37, v6
	v_ctz_i32_b32_e32 v3, v3
	s_delay_alu instid0(VALU_DEP_1)
	v_cmpx_lt_u32_e64 v34, v3
	s_cbranch_execz .LBB2114_55
; %bb.54:
	s_wait_dscnt 0x1
	v_add_co_u32 v4, vcc_lo, v5, v20
	s_wait_alu 0xfffd
	v_add_co_ci_u32_e64 v6, null, 0, v6, vcc_lo
	s_delay_alu instid0(VALU_DEP_2) | instskip(SKIP_2) | instid1(VALU_DEP_2)
	v_add_co_u32 v5, vcc_lo, 0, v4
	s_wait_dscnt 0x0
	s_wait_alu 0xfffd
	v_add_co_ci_u32_e64 v6, null, v8, v6, vcc_lo
.LBB2114_55:
	s_wait_alu 0xfffe
	s_or_b32 exec_lo, exec_lo, s3
	v_cmp_gt_u32_e32 vcc_lo, 30, v34
	v_add_nc_u32_e32 v40, 2, v34
	s_mov_b32 s3, exec_lo
	s_wait_dscnt 0x0
	s_wait_alu 0xfffd
	v_cndmask_b32_e64 v8, 0, 2, vcc_lo
	s_delay_alu instid0(VALU_DEP_1)
	v_add_lshl_u32 v39, v8, v34, 2
	ds_bpermute_b32 v20, v39, v4
	ds_bpermute_b32 v8, v39, v6
	v_cmpx_le_u32_e64 v40, v3
	s_cbranch_execz .LBB2114_57
; %bb.56:
	s_wait_dscnt 0x1
	v_add_co_u32 v4, vcc_lo, v5, v20
	s_wait_alu 0xfffd
	v_add_co_ci_u32_e64 v6, null, 0, v6, vcc_lo
	s_delay_alu instid0(VALU_DEP_2) | instskip(SKIP_2) | instid1(VALU_DEP_2)
	v_add_co_u32 v5, vcc_lo, 0, v4
	s_wait_dscnt 0x0
	s_wait_alu 0xfffd
	v_add_co_ci_u32_e64 v6, null, v8, v6, vcc_lo
.LBB2114_57:
	s_wait_alu 0xfffe
	s_or_b32 exec_lo, exec_lo, s3
	v_cmp_gt_u32_e32 vcc_lo, 28, v34
	v_add_nc_u32_e32 v42, 4, v34
	s_mov_b32 s3, exec_lo
	s_wait_dscnt 0x0
	s_wait_alu 0xfffd
	v_cndmask_b32_e64 v8, 0, 4, vcc_lo
	s_delay_alu instid0(VALU_DEP_1)
	v_add_lshl_u32 v41, v8, v34, 2
	ds_bpermute_b32 v20, v41, v4
	ds_bpermute_b32 v8, v41, v6
	v_cmpx_le_u32_e64 v42, v3
	;; [unrolled: 25-line block ×3, first 2 shown]
	s_cbranch_execz .LBB2114_61
; %bb.60:
	s_wait_dscnt 0x1
	v_add_co_u32 v4, vcc_lo, v5, v20
	s_wait_alu 0xfffd
	v_add_co_ci_u32_e64 v6, null, 0, v6, vcc_lo
	s_delay_alu instid0(VALU_DEP_2) | instskip(SKIP_2) | instid1(VALU_DEP_2)
	v_add_co_u32 v5, vcc_lo, 0, v4
	s_wait_dscnt 0x0
	s_wait_alu 0xfffd
	v_add_co_ci_u32_e64 v6, null, v8, v6, vcc_lo
.LBB2114_61:
	s_wait_alu 0xfffe
	s_or_b32 exec_lo, exec_lo, s3
	v_lshl_or_b32 v45, v34, 2, 64
	v_add_nc_u32_e32 v46, 16, v34
	s_mov_b32 s3, exec_lo
	s_wait_dscnt 0x0
	ds_bpermute_b32 v8, v45, v4
	ds_bpermute_b32 v4, v45, v6
	v_cmpx_le_u32_e64 v46, v3
	s_cbranch_execz .LBB2114_63
; %bb.62:
	s_wait_dscnt 0x1
	v_add_co_u32 v3, vcc_lo, v5, v8
	s_wait_alu 0xfffd
	v_add_co_ci_u32_e64 v6, null, 0, v6, vcc_lo
	s_delay_alu instid0(VALU_DEP_2) | instskip(SKIP_2) | instid1(VALU_DEP_2)
	v_add_co_u32 v5, vcc_lo, v3, 0
	s_wait_dscnt 0x0
	s_wait_alu 0xfffd
	v_add_co_ci_u32_e64 v6, null, v6, v4, vcc_lo
.LBB2114_63:
	s_wait_alu 0xfffe
	s_or_b32 exec_lo, exec_lo, s3
	v_mov_b32_e32 v20, 0
	s_branch .LBB2114_66
.LBB2114_64:                            ;   in Loop: Header=BB2114_66 Depth=1
	s_wait_alu 0xfffe
	s_or_b32 exec_lo, exec_lo, s3
	v_add_co_u32 v5, vcc_lo, v5, v3
	v_subrev_nc_u32_e32 v19, 32, v19
	s_wait_alu 0xfffd
	v_add_co_ci_u32_e64 v6, null, v6, v4, vcc_lo
	s_mov_b32 s3, 0
.LBB2114_65:                            ;   in Loop: Header=BB2114_66 Depth=1
	s_wait_alu 0xfffe
	s_and_b32 vcc_lo, exec_lo, s3
	s_wait_alu 0xfffe
	s_cbranch_vccnz .LBB2114_82
.LBB2114_66:                            ; =>This Loop Header: Depth=1
                                        ;     Child Loop BB2114_69 Depth 2
	v_and_b32_e32 v3, 0xff, v7
	s_mov_b32 s3, -1
	s_delay_alu instid0(VALU_DEP_1)
	v_cmp_ne_u16_e32 vcc_lo, 2, v3
	s_wait_dscnt 0x0
	v_dual_mov_b32 v3, v5 :: v_dual_mov_b32 v4, v6
                                        ; implicit-def: $vgpr5_vgpr6
	s_cmp_lg_u32 vcc_lo, exec_lo
	s_cbranch_scc1 .LBB2114_65
; %bb.67:                               ;   in Loop: Header=BB2114_66 Depth=1
	v_lshlrev_b64_e32 v[5:6], 4, v[19:20]
	s_mov_b32 s3, exec_lo
	s_delay_alu instid0(VALU_DEP_1) | instskip(SKIP_1) | instid1(VALU_DEP_2)
	v_add_co_u32 v21, vcc_lo, s4, v5
	s_wait_alu 0xfffd
	v_add_co_ci_u32_e64 v22, null, s5, v6, vcc_lo
	;;#ASMSTART
	global_load_b128 v[5:8], v[21:22] off scope:SCOPE_DEV	
s_wait_loadcnt 0x0
	;;#ASMEND
	v_and_b32_e32 v8, 0xff, v7
	s_delay_alu instid0(VALU_DEP_1)
	v_cmpx_eq_u16_e32 0, v8
	s_cbranch_execz .LBB2114_71
; %bb.68:                               ;   in Loop: Header=BB2114_66 Depth=1
	s_mov_b32 s6, 0
.LBB2114_69:                            ;   Parent Loop BB2114_66 Depth=1
                                        ; =>  This Inner Loop Header: Depth=2
	;;#ASMSTART
	global_load_b128 v[5:8], v[21:22] off scope:SCOPE_DEV	
s_wait_loadcnt 0x0
	;;#ASMEND
	v_and_b32_e32 v8, 0xff, v7
	s_delay_alu instid0(VALU_DEP_1)
	v_cmp_ne_u16_e32 vcc_lo, 0, v8
	s_wait_alu 0xfffe
	s_or_b32 s6, vcc_lo, s6
	s_wait_alu 0xfffe
	s_and_not1_b32 exec_lo, exec_lo, s6
	s_cbranch_execnz .LBB2114_69
; %bb.70:                               ;   in Loop: Header=BB2114_66 Depth=1
	s_or_b32 exec_lo, exec_lo, s6
.LBB2114_71:                            ;   in Loop: Header=BB2114_66 Depth=1
	s_wait_alu 0xfffe
	s_or_b32 exec_lo, exec_lo, s3
	v_dual_mov_b32 v21, v5 :: v_dual_and_b32 v8, 0xff, v7
	ds_bpermute_b32 v47, v37, v5
	ds_bpermute_b32 v22, v37, v6
	s_mov_b32 s3, exec_lo
	v_cmp_eq_u16_e32 vcc_lo, 2, v8
	s_wait_alu 0xfffd
	v_and_or_b32 v8, vcc_lo, v38, 0x80000000
	s_delay_alu instid0(VALU_DEP_1) | instskip(NEXT) | instid1(VALU_DEP_1)
	v_ctz_i32_b32_e32 v8, v8
	v_cmpx_lt_u32_e64 v34, v8
	s_cbranch_execz .LBB2114_73
; %bb.72:                               ;   in Loop: Header=BB2114_66 Depth=1
	s_wait_dscnt 0x1
	v_add_co_u32 v21, vcc_lo, v5, v47
	s_wait_alu 0xfffd
	v_add_co_ci_u32_e64 v6, null, 0, v6, vcc_lo
	s_delay_alu instid0(VALU_DEP_2) | instskip(SKIP_2) | instid1(VALU_DEP_2)
	v_add_co_u32 v5, vcc_lo, 0, v21
	s_wait_dscnt 0x0
	s_wait_alu 0xfffd
	v_add_co_ci_u32_e64 v6, null, v22, v6, vcc_lo
.LBB2114_73:                            ;   in Loop: Header=BB2114_66 Depth=1
	s_wait_alu 0xfffe
	s_or_b32 exec_lo, exec_lo, s3
	s_wait_dscnt 0x1
	ds_bpermute_b32 v47, v39, v21
	s_wait_dscnt 0x1
	ds_bpermute_b32 v22, v39, v6
	s_mov_b32 s3, exec_lo
	v_cmpx_le_u32_e64 v40, v8
	s_cbranch_execz .LBB2114_75
; %bb.74:                               ;   in Loop: Header=BB2114_66 Depth=1
	s_wait_dscnt 0x1
	v_add_co_u32 v21, vcc_lo, v5, v47
	s_wait_alu 0xfffd
	v_add_co_ci_u32_e64 v6, null, 0, v6, vcc_lo
	s_delay_alu instid0(VALU_DEP_2) | instskip(SKIP_2) | instid1(VALU_DEP_2)
	v_add_co_u32 v5, vcc_lo, 0, v21
	s_wait_dscnt 0x0
	s_wait_alu 0xfffd
	v_add_co_ci_u32_e64 v6, null, v22, v6, vcc_lo
.LBB2114_75:                            ;   in Loop: Header=BB2114_66 Depth=1
	s_wait_alu 0xfffe
	s_or_b32 exec_lo, exec_lo, s3
	s_wait_dscnt 0x1
	ds_bpermute_b32 v47, v41, v21
	s_wait_dscnt 0x1
	ds_bpermute_b32 v22, v41, v6
	s_mov_b32 s3, exec_lo
	v_cmpx_le_u32_e64 v42, v8
	;; [unrolled: 20-line block ×3, first 2 shown]
	s_cbranch_execz .LBB2114_79
; %bb.78:                               ;   in Loop: Header=BB2114_66 Depth=1
	s_wait_dscnt 0x1
	v_add_co_u32 v21, vcc_lo, v5, v47
	s_wait_alu 0xfffd
	v_add_co_ci_u32_e64 v6, null, 0, v6, vcc_lo
	s_delay_alu instid0(VALU_DEP_2) | instskip(SKIP_2) | instid1(VALU_DEP_2)
	v_add_co_u32 v5, vcc_lo, 0, v21
	s_wait_dscnt 0x0
	s_wait_alu 0xfffd
	v_add_co_ci_u32_e64 v6, null, v22, v6, vcc_lo
.LBB2114_79:                            ;   in Loop: Header=BB2114_66 Depth=1
	s_wait_alu 0xfffe
	s_or_b32 exec_lo, exec_lo, s3
	s_wait_dscnt 0x0
	ds_bpermute_b32 v22, v45, v21
	ds_bpermute_b32 v21, v45, v6
	s_mov_b32 s3, exec_lo
	v_cmpx_le_u32_e64 v46, v8
	s_cbranch_execz .LBB2114_64
; %bb.80:                               ;   in Loop: Header=BB2114_66 Depth=1
	s_wait_dscnt 0x1
	v_add_co_u32 v5, vcc_lo, v5, v22
	s_wait_alu 0xfffd
	v_add_co_ci_u32_e64 v6, null, 0, v6, vcc_lo
	s_delay_alu instid0(VALU_DEP_2) | instskip(SKIP_2) | instid1(VALU_DEP_2)
	v_add_co_u32 v5, vcc_lo, v5, 0
	s_wait_dscnt 0x0
	s_wait_alu 0xfffd
	v_add_co_ci_u32_e64 v6, null, v6, v21, vcc_lo
	s_branch .LBB2114_64
.LBB2114_81:
                                        ; implicit-def: $vgpr17_vgpr18
                                        ; implicit-def: $vgpr7_vgpr8
                                        ; implicit-def: $vgpr5_vgpr6
                                        ; implicit-def: $vgpr3_vgpr4
                                        ; implicit-def: $vgpr18_vgpr19
                                        ; implicit-def: $vgpr19_vgpr20
                                        ; implicit-def: $vgpr20_vgpr21
                                        ; implicit-def: $vgpr21_vgpr22
	s_and_b32 vcc_lo, exec_lo, s1
	s_wait_alu 0xfffe
	s_cbranch_vccnz .LBB2114_87
	s_branch .LBB2114_114
.LBB2114_82:
	s_and_saveexec_b32 s3, s1
	s_cbranch_execz .LBB2114_84
; %bb.83:
	s_add_co_i32 s6, ttmp9, 32
	s_mov_b32 s7, 0
	v_add_co_u32 v5, vcc_lo, v3, v1
	s_wait_alu 0xfffe
	s_lshl_b64 s[6:7], s[6:7], 4
	v_dual_mov_b32 v7, 2 :: v_dual_mov_b32 v8, 0
	s_wait_alu 0xfffe
	s_add_nc_u64 s[6:7], s[4:5], s[6:7]
	s_wait_alu 0xfffd
	v_add_co_ci_u32_e64 v6, null, v4, v2, vcc_lo
	s_wait_alu 0xfffe
	v_dual_mov_b32 v20, s7 :: v_dual_mov_b32 v19, s6
	;;#ASMSTART
	global_store_b128 v[19:20], v[5:8] off scope:SCOPE_DEV	
s_wait_storecnt 0x0
	;;#ASMEND
	ds_store_b128 v8, v[1:4] offset:10752
.LBB2114_84:
	s_wait_alu 0xfffe
	s_or_b32 exec_lo, exec_lo, s3
	v_cmp_eq_u32_e32 vcc_lo, 0, v0
	s_and_b32 exec_lo, exec_lo, vcc_lo
; %bb.85:
	v_mov_b32_e32 v1, 0
	ds_store_b64 v1, v[3:4] offset:88
.LBB2114_86:
	s_wait_alu 0xfffe
	s_or_b32 exec_lo, exec_lo, s2
	s_wait_dscnt 0x0
	v_cndmask_b32_e64 v4, v36, v17, s1
	v_cmp_ne_u32_e32 vcc_lo, 0, v0
	v_mov_b32_e32 v3, 0
	s_wait_loadcnt 0x0
	s_barrier_signal -1
	s_barrier_wait -1
	global_inv scope:SCOPE_SE
	s_wait_alu 0xfffd
	v_cndmask_b32_e32 v4, 0, v4, vcc_lo
	ds_load_b64 v[1:2], v3 offset:88
	v_cndmask_b32_e64 v5, 0, v18, s1
	s_wait_loadcnt_dscnt 0x0
	s_barrier_signal -1
	s_barrier_wait -1
	global_inv scope:SCOPE_SE
	v_cndmask_b32_e32 v5, 0, v5, vcc_lo
	v_add_co_u32 v21, vcc_lo, v1, v4
	s_wait_alu 0xfffd
	s_delay_alu instid0(VALU_DEP_2) | instskip(NEXT) | instid1(VALU_DEP_2)
	v_add_co_ci_u32_e64 v1, null, v2, v5, vcc_lo
	v_add_co_u32 v20, vcc_lo, v21, v31
	s_wait_alu 0xfffd
	s_delay_alu instid0(VALU_DEP_2) | instskip(NEXT) | instid1(VALU_DEP_2)
	v_add_co_ci_u32_e64 v1, null, 0, v1, vcc_lo
	v_add_co_u32 v19, vcc_lo, v20, v30
	s_wait_alu 0xfffd
	s_delay_alu instid0(VALU_DEP_2) | instskip(SKIP_4) | instid1(VALU_DEP_2)
	v_add_co_ci_u32_e64 v5, null, 0, v1, vcc_lo
	ds_load_b128 v[1:4], v3 offset:10752
	v_add_co_u32 v18, vcc_lo, v19, v33
	s_wait_alu 0xfffd
	v_add_co_ci_u32_e64 v5, null, 0, v5, vcc_lo
	v_add_co_u32 v17, vcc_lo, v18, v28
	s_wait_alu 0xfffd
	s_delay_alu instid0(VALU_DEP_2) | instskip(NEXT) | instid1(VALU_DEP_2)
	v_add_co_ci_u32_e64 v6, null, 0, v5, vcc_lo
	v_add_co_u32 v5, vcc_lo, v17, v32
	s_wait_alu 0xfffd
	s_delay_alu instid0(VALU_DEP_2) | instskip(NEXT) | instid1(VALU_DEP_2)
	v_add_co_ci_u32_e64 v6, null, 0, v6, vcc_lo
	v_add_co_u32 v7, vcc_lo, v5, v29
	s_wait_alu 0xfffd
	s_delay_alu instid0(VALU_DEP_2)
	v_add_co_ci_u32_e64 v6, null, 0, v6, vcc_lo
	s_branch .LBB2114_114
.LBB2114_87:
	s_wait_dscnt 0x0
	v_dual_mov_b32 v2, 0 :: v_dual_mov_b32 v3, v15
	v_mov_b32_dpp v4, v15 row_shr:1 row_mask:0xf bank_mask:0xf
	s_delay_alu instid0(VALU_DEP_2)
	v_mov_b32_dpp v1, v2 row_shr:1 row_mask:0xf bank_mask:0xf
	s_and_saveexec_b32 s1, s0
; %bb.88:
	s_delay_alu instid0(VALU_DEP_2) | instskip(SKIP_2) | instid1(VALU_DEP_2)
	v_add_co_u32 v3, vcc_lo, v15, v4
	s_wait_alu 0xfffd
	v_add_co_ci_u32_e64 v2, null, 0, v16, vcc_lo
	v_add_co_u32 v15, vcc_lo, 0, v3
	s_wait_alu 0xfffd
	s_delay_alu instid0(VALU_DEP_2) | instskip(NEXT) | instid1(VALU_DEP_1)
	v_add_co_ci_u32_e64 v16, null, v1, v2, vcc_lo
	v_mov_b32_e32 v2, v16
; %bb.89:
	s_wait_alu 0xfffe
	s_or_b32 exec_lo, exec_lo, s1
	v_mov_b32_dpp v1, v3 row_shr:2 row_mask:0xf bank_mask:0xf
	s_delay_alu instid0(VALU_DEP_2)
	v_mov_b32_dpp v4, v2 row_shr:2 row_mask:0xf bank_mask:0xf
	v_cmp_lt_u32_e32 vcc_lo, 1, v35
	s_and_saveexec_b32 s2, vcc_lo
; %bb.90:
	s_delay_alu instid0(VALU_DEP_3) | instskip(SKIP_2) | instid1(VALU_DEP_2)
	v_add_co_u32 v3, s1, v15, v1
	s_wait_alu 0xf1ff
	v_add_co_ci_u32_e64 v2, null, 0, v16, s1
	v_add_co_u32 v1, s1, 0, v3
	s_wait_alu 0xf1ff
	s_delay_alu instid0(VALU_DEP_2) | instskip(NEXT) | instid1(VALU_DEP_1)
	v_add_co_ci_u32_e64 v2, null, v4, v2, s1
	v_dual_mov_b32 v16, v2 :: v_dual_mov_b32 v15, v1
; %bb.91:
	s_wait_alu 0xfffe
	s_or_b32 exec_lo, exec_lo, s2
	v_mov_b32_dpp v1, v3 row_shr:4 row_mask:0xf bank_mask:0xf
	v_mov_b32_dpp v4, v2 row_shr:4 row_mask:0xf bank_mask:0xf
	v_cmp_lt_u32_e64 s1, 3, v35
	s_and_saveexec_b32 s3, s1
; %bb.92:
	v_add_co_u32 v3, s2, v15, v1
	s_wait_alu 0xf1ff
	v_add_co_ci_u32_e64 v2, null, 0, v16, s2
	s_delay_alu instid0(VALU_DEP_2) | instskip(SKIP_1) | instid1(VALU_DEP_2)
	v_add_co_u32 v1, s2, 0, v3
	s_wait_alu 0xf1ff
	v_add_co_ci_u32_e64 v2, null, v4, v2, s2
	s_delay_alu instid0(VALU_DEP_1)
	v_dual_mov_b32 v16, v2 :: v_dual_mov_b32 v15, v1
; %bb.93:
	s_wait_alu 0xfffe
	s_or_b32 exec_lo, exec_lo, s3
	v_mov_b32_dpp v4, v3 row_shr:8 row_mask:0xf bank_mask:0xf
	v_mov_b32_dpp v1, v2 row_shr:8 row_mask:0xf bank_mask:0xf
	v_cmp_lt_u32_e64 s2, 7, v35
	s_and_saveexec_b32 s6, s2
; %bb.94:
	v_add_co_u32 v3, s3, v15, v4
	s_wait_alu 0xf1ff
	v_add_co_ci_u32_e64 v2, null, 0, v16, s3
	s_delay_alu instid0(VALU_DEP_2) | instskip(SKIP_1) | instid1(VALU_DEP_2)
	v_add_co_u32 v15, s3, 0, v3
	s_wait_alu 0xf1ff
	v_add_co_ci_u32_e64 v16, null, v1, v2, s3
	s_delay_alu instid0(VALU_DEP_1)
	v_mov_b32_e32 v2, v16
; %bb.95:
	s_wait_alu 0xfffe
	s_or_b32 exec_lo, exec_lo, s6
	ds_swizzle_b32 v3, v3 offset:swizzle(BROADCAST,32,15)
	ds_swizzle_b32 v1, v2 offset:swizzle(BROADCAST,32,15)
	v_and_b32_e32 v2, 16, v34
	s_mov_b32 s6, exec_lo
	s_delay_alu instid0(VALU_DEP_1)
	v_cmpx_ne_u32_e32 0, v2
	s_cbranch_execz .LBB2114_97
; %bb.96:
	s_wait_dscnt 0x1
	v_add_co_u32 v2, s3, v15, v3
	s_wait_alu 0xf1ff
	v_add_co_ci_u32_e64 v3, null, 0, v16, s3
	s_delay_alu instid0(VALU_DEP_2) | instskip(SKIP_2) | instid1(VALU_DEP_2)
	v_add_co_u32 v15, s3, v2, 0
	s_wait_dscnt 0x0
	s_wait_alu 0xf1ff
	v_add_co_ci_u32_e64 v16, null, v3, v1, s3
.LBB2114_97:
	s_wait_alu 0xfffe
	s_or_b32 exec_lo, exec_lo, s6
	s_wait_dscnt 0x0
	v_and_b32_e32 v1, 0x1e0, v0
	v_lshrrev_b32_e32 v3, 5, v0
	s_mov_b32 s6, exec_lo
	s_delay_alu instid0(VALU_DEP_2) | instskip(NEXT) | instid1(VALU_DEP_1)
	v_min_u32_e32 v1, 0x160, v1
	v_or_b32_e32 v1, 31, v1
	s_delay_alu instid0(VALU_DEP_1)
	v_cmpx_eq_u32_e64 v0, v1
; %bb.98:
	v_lshlrev_b32_e32 v1, 3, v3
	ds_store_b64 v1, v[15:16]
; %bb.99:
	s_wait_alu 0xfffe
	s_or_b32 exec_lo, exec_lo, s6
	s_delay_alu instid0(SALU_CYCLE_1)
	s_mov_b32 s6, exec_lo
	s_wait_loadcnt_dscnt 0x0
	s_barrier_signal -1
	s_barrier_wait -1
	global_inv scope:SCOPE_SE
	v_cmpx_gt_u32_e32 12, v0
	s_cbranch_execz .LBB2114_109
; %bb.100:
	v_mad_i32_i24 v1, 0xffffffec, v0, v27
	ds_load_b64 v[1:2], v1
	s_wait_dscnt 0x0
	v_mov_b32_dpp v6, v1 row_shr:1 row_mask:0xf bank_mask:0xf
	v_mov_b32_dpp v5, v2 row_shr:1 row_mask:0xf bank_mask:0xf
	v_mov_b32_e32 v4, v1
	s_and_saveexec_b32 s3, s0
; %bb.101:
	s_delay_alu instid0(VALU_DEP_3) | instskip(SKIP_2) | instid1(VALU_DEP_2)
	v_add_co_u32 v4, s0, v1, v6
	s_wait_alu 0xf1ff
	v_add_co_ci_u32_e64 v2, null, 0, v2, s0
	v_add_co_u32 v1, s0, 0, v4
	s_wait_alu 0xf1ff
	s_delay_alu instid0(VALU_DEP_2)
	v_add_co_ci_u32_e64 v2, null, v5, v2, s0
; %bb.102:
	s_wait_alu 0xfffe
	s_or_b32 exec_lo, exec_lo, s3
	v_mov_b32_dpp v6, v4 row_shr:2 row_mask:0xf bank_mask:0xf
	s_delay_alu instid0(VALU_DEP_2)
	v_mov_b32_dpp v5, v2 row_shr:2 row_mask:0xf bank_mask:0xf
	s_and_saveexec_b32 s0, vcc_lo
; %bb.103:
	s_delay_alu instid0(VALU_DEP_2) | instskip(SKIP_2) | instid1(VALU_DEP_2)
	v_add_co_u32 v4, vcc_lo, v1, v6
	s_wait_alu 0xfffd
	v_add_co_ci_u32_e64 v2, null, 0, v2, vcc_lo
	v_add_co_u32 v1, vcc_lo, 0, v4
	s_wait_alu 0xfffd
	s_delay_alu instid0(VALU_DEP_2)
	v_add_co_ci_u32_e64 v2, null, v5, v2, vcc_lo
; %bb.104:
	s_wait_alu 0xfffe
	s_or_b32 exec_lo, exec_lo, s0
	v_mov_b32_dpp v6, v4 row_shr:4 row_mask:0xf bank_mask:0xf
	s_delay_alu instid0(VALU_DEP_2)
	v_mov_b32_dpp v5, v2 row_shr:4 row_mask:0xf bank_mask:0xf
	s_and_saveexec_b32 s0, s1
; %bb.105:
	s_delay_alu instid0(VALU_DEP_2) | instskip(SKIP_2) | instid1(VALU_DEP_2)
	v_add_co_u32 v4, vcc_lo, v1, v6
	s_wait_alu 0xfffd
	v_add_co_ci_u32_e64 v2, null, 0, v2, vcc_lo
	v_add_co_u32 v1, vcc_lo, 0, v4
	s_wait_alu 0xfffd
	s_delay_alu instid0(VALU_DEP_2)
	v_add_co_ci_u32_e64 v2, null, v5, v2, vcc_lo
; %bb.106:
	s_wait_alu 0xfffe
	s_or_b32 exec_lo, exec_lo, s0
	v_mul_i32_i24_e32 v5, 0xffffffec, v0
	v_mov_b32_dpp v6, v4 row_shr:8 row_mask:0xf bank_mask:0xf
	v_mov_b32_dpp v4, v2 row_shr:8 row_mask:0xf bank_mask:0xf
	s_and_saveexec_b32 s0, s2
; %bb.107:
	s_delay_alu instid0(VALU_DEP_2) | instskip(SKIP_2) | instid1(VALU_DEP_2)
	v_add_co_u32 v1, vcc_lo, v1, v6
	s_wait_alu 0xfffd
	v_add_co_ci_u32_e64 v2, null, 0, v2, vcc_lo
	v_add_co_u32 v1, vcc_lo, v1, 0
	s_wait_alu 0xfffd
	s_delay_alu instid0(VALU_DEP_2)
	v_add_co_ci_u32_e64 v2, null, v2, v4, vcc_lo
; %bb.108:
	s_wait_alu 0xfffe
	s_or_b32 exec_lo, exec_lo, s0
	v_add_nc_u32_e32 v4, v27, v5
	ds_store_b64 v4, v[1:2]
.LBB2114_109:
	s_wait_alu 0xfffe
	s_or_b32 exec_lo, exec_lo, s6
	v_mov_b32_e32 v5, 0
	v_mov_b32_e32 v6, 0
	s_mov_b32 s0, exec_lo
	s_wait_loadcnt_dscnt 0x0
	s_barrier_signal -1
	s_barrier_wait -1
	global_inv scope:SCOPE_SE
	v_cmpx_lt_u32_e32 31, v0
; %bb.110:
	v_lshl_add_u32 v1, v3, 3, -8
	ds_load_b64 v[5:6], v1
; %bb.111:
	s_wait_alu 0xfffe
	s_or_b32 exec_lo, exec_lo, s0
	v_sub_co_u32 v1, vcc_lo, v34, 1
	s_wait_dscnt 0x0
	v_add_nc_u32_e32 v2, v5, v15
	v_mov_b32_e32 v4, 0
	s_delay_alu instid0(VALU_DEP_3) | instskip(SKIP_1) | instid1(VALU_DEP_1)
	v_cmp_gt_i32_e64 s0, 0, v1
	s_wait_alu 0xf1ff
	v_cndmask_b32_e64 v1, v1, v34, s0
	v_cmp_eq_u32_e64 s0, 0, v0
	s_delay_alu instid0(VALU_DEP_2)
	v_lshlrev_b32_e32 v1, 2, v1
	ds_bpermute_b32 v7, v1, v2
	ds_load_b64 v[1:2], v4 offset:88
	s_and_saveexec_b32 s1, s0
	s_cbranch_execz .LBB2114_113
; %bb.112:
	s_wait_kmcnt 0x0
	s_add_nc_u64 s[2:3], s[4:5], 0x200
	s_wait_alu 0xfffe
	v_dual_mov_b32 v3, 2 :: v_dual_mov_b32 v16, s3
	v_mov_b32_e32 v15, s2
	s_wait_dscnt 0x0
	;;#ASMSTART
	global_store_b128 v[15:16], v[1:4] off scope:SCOPE_DEV	
s_wait_storecnt 0x0
	;;#ASMEND
.LBB2114_113:
	s_wait_alu 0xfffe
	s_or_b32 exec_lo, exec_lo, s1
	s_wait_dscnt 0x1
	s_wait_alu 0xfffd
	v_dual_cndmask_b32 v3, v7, v5 :: v_dual_cndmask_b32 v4, 0, v6
	s_wait_loadcnt_dscnt 0x0
	s_barrier_signal -1
	s_barrier_wait -1
	s_delay_alu instid0(VALU_DEP_1)
	v_cndmask_b32_e64 v21, v3, 0, s0
	v_cndmask_b32_e64 v3, v4, 0, s0
	global_inv scope:SCOPE_SE
	v_add_co_u32 v20, vcc_lo, v21, v31
	s_wait_alu 0xfffd
	v_add_co_ci_u32_e64 v3, null, 0, v3, vcc_lo
	s_delay_alu instid0(VALU_DEP_2) | instskip(SKIP_1) | instid1(VALU_DEP_2)
	v_add_co_u32 v19, vcc_lo, v20, v30
	s_wait_alu 0xfffd
	v_add_co_ci_u32_e64 v3, null, 0, v3, vcc_lo
	s_delay_alu instid0(VALU_DEP_2) | instskip(SKIP_1) | instid1(VALU_DEP_2)
	;; [unrolled: 4-line block ×4, first 2 shown]
	v_add_co_u32 v5, vcc_lo, v17, v32
	s_wait_alu 0xfffd
	v_add_co_ci_u32_e64 v6, null, 0, v3, vcc_lo
	v_mov_b32_e32 v3, 0
	v_mov_b32_e32 v4, 0
	v_add_co_u32 v7, vcc_lo, v5, v29
	s_wait_alu 0xfffd
	v_add_co_ci_u32_e64 v6, null, 0, v6, vcc_lo
.LBB2114_114:
	s_wait_dscnt 0x0
	v_cmp_gt_u64_e32 vcc_lo, 0x181, v[1:2]
	v_lshrrev_b32_e32 v8, 8, v26
	v_lshrrev_b32_e32 v6, 16, v26
	s_cbranch_vccz .LBB2114_117
; %bb.115:
	v_cmp_eq_u32_e32 vcc_lo, 0, v0
	s_and_b32 s0, vcc_lo, s12
	s_wait_alu 0xfffe
	s_and_saveexec_b32 s1, s0
	s_cbranch_execnz .LBB2114_132
.LBB2114_116:
	s_endpgm
.LBB2114_117:
	v_and_b32_e32 v15, 1, v26
	s_mov_b32 s0, exec_lo
	s_delay_alu instid0(VALU_DEP_1)
	v_cmpx_eq_u32_e32 1, v15
; %bb.118:
	v_sub_nc_u32_e32 v15, v21, v3
	s_delay_alu instid0(VALU_DEP_1)
	v_lshlrev_b32_e32 v15, 2, v15
	ds_store_b32 v15, v13
; %bb.119:
	s_wait_alu 0xfffe
	s_or_b32 exec_lo, exec_lo, s0
	v_and_b32_e32 v8, 1, v8
	s_mov_b32 s0, exec_lo
	s_delay_alu instid0(VALU_DEP_1)
	v_cmpx_eq_u32_e32 1, v8
; %bb.120:
	v_sub_nc_u32_e32 v8, v20, v3
	s_delay_alu instid0(VALU_DEP_1)
	v_lshlrev_b32_e32 v8, 2, v8
	ds_store_b32 v8, v14
; %bb.121:
	s_wait_alu 0xfffe
	s_or_b32 exec_lo, exec_lo, s0
	;; [unrolled: 12-line block ×6, first 2 shown]
	s_and_saveexec_b32 s0, s13
; %bb.130:
	v_sub_nc_u32_e32 v5, v7, v3
	s_delay_alu instid0(VALU_DEP_1)
	v_lshlrev_b32_e32 v5, 2, v5
	ds_store_b32 v5, v23
; %bb.131:
	s_wait_alu 0xfffe
	s_or_b32 exec_lo, exec_lo, s0
	s_wait_loadcnt_dscnt 0x0
	s_barrier_signal -1
	s_barrier_wait -1
	global_inv scope:SCOPE_SE
	v_cmp_eq_u32_e32 vcc_lo, 0, v0
	s_and_b32 s0, vcc_lo, s12
	s_wait_alu 0xfffe
	s_and_saveexec_b32 s1, s0
	s_cbranch_execz .LBB2114_116
.LBB2114_132:
	s_wait_kmcnt 0x0
	v_add_co_u32 v0, vcc_lo, v1, s10
	s_wait_alu 0xfffd
	v_add_co_ci_u32_e64 v1, null, s11, v2, vcc_lo
	v_mov_b32_e32 v2, 0
	s_delay_alu instid0(VALU_DEP_3) | instskip(SKIP_1) | instid1(VALU_DEP_3)
	v_add_co_u32 v0, vcc_lo, v0, v3
	s_wait_alu 0xfffd
	v_add_co_ci_u32_e64 v1, null, v1, v4, vcc_lo
	global_store_b64 v2, v[0:1], s[8:9]
	s_endpgm
	.section	.rodata,"a",@progbits
	.p2align	6, 0x0
	.amdhsa_kernel _ZN7rocprim17ROCPRIM_400000_NS6detail17trampoline_kernelINS0_14default_configENS1_25partition_config_selectorILNS1_17partition_subalgoE6EfNS0_10empty_typeEbEEZZNS1_14partition_implILS5_6ELb0ES3_mN6thrust23THRUST_200600_302600_NS6detail15normal_iteratorINSA_10device_ptrIfEEEEPS6_SG_NS0_5tupleIJNSA_16discard_iteratorINSA_11use_defaultEEES6_EEENSH_IJSG_SG_EEES6_PlJNSB_9not_fun_tI7is_trueIfEEEEEE10hipError_tPvRmT3_T4_T5_T6_T7_T9_mT8_P12ihipStream_tbDpT10_ENKUlT_T0_E_clISt17integral_constantIbLb0EES1B_EEDaS16_S17_EUlS16_E_NS1_11comp_targetILNS1_3genE10ELNS1_11target_archE1200ELNS1_3gpuE4ELNS1_3repE0EEENS1_30default_config_static_selectorELNS0_4arch9wavefront6targetE0EEEvT1_
		.amdhsa_group_segment_fixed_size 10768
		.amdhsa_private_segment_fixed_size 0
		.amdhsa_kernarg_size 120
		.amdhsa_user_sgpr_count 2
		.amdhsa_user_sgpr_dispatch_ptr 0
		.amdhsa_user_sgpr_queue_ptr 0
		.amdhsa_user_sgpr_kernarg_segment_ptr 1
		.amdhsa_user_sgpr_dispatch_id 0
		.amdhsa_user_sgpr_private_segment_size 0
		.amdhsa_wavefront_size32 1
		.amdhsa_uses_dynamic_stack 0
		.amdhsa_enable_private_segment 0
		.amdhsa_system_sgpr_workgroup_id_x 1
		.amdhsa_system_sgpr_workgroup_id_y 0
		.amdhsa_system_sgpr_workgroup_id_z 0
		.amdhsa_system_sgpr_workgroup_info 0
		.amdhsa_system_vgpr_workitem_id 0
		.amdhsa_next_free_vgpr 48
		.amdhsa_next_free_sgpr 21
		.amdhsa_reserve_vcc 1
		.amdhsa_float_round_mode_32 0
		.amdhsa_float_round_mode_16_64 0
		.amdhsa_float_denorm_mode_32 3
		.amdhsa_float_denorm_mode_16_64 3
		.amdhsa_fp16_overflow 0
		.amdhsa_workgroup_processor_mode 1
		.amdhsa_memory_ordered 1
		.amdhsa_forward_progress 1
		.amdhsa_inst_pref_size 51
		.amdhsa_round_robin_scheduling 0
		.amdhsa_exception_fp_ieee_invalid_op 0
		.amdhsa_exception_fp_denorm_src 0
		.amdhsa_exception_fp_ieee_div_zero 0
		.amdhsa_exception_fp_ieee_overflow 0
		.amdhsa_exception_fp_ieee_underflow 0
		.amdhsa_exception_fp_ieee_inexact 0
		.amdhsa_exception_int_div_zero 0
	.end_amdhsa_kernel
	.section	.text._ZN7rocprim17ROCPRIM_400000_NS6detail17trampoline_kernelINS0_14default_configENS1_25partition_config_selectorILNS1_17partition_subalgoE6EfNS0_10empty_typeEbEEZZNS1_14partition_implILS5_6ELb0ES3_mN6thrust23THRUST_200600_302600_NS6detail15normal_iteratorINSA_10device_ptrIfEEEEPS6_SG_NS0_5tupleIJNSA_16discard_iteratorINSA_11use_defaultEEES6_EEENSH_IJSG_SG_EEES6_PlJNSB_9not_fun_tI7is_trueIfEEEEEE10hipError_tPvRmT3_T4_T5_T6_T7_T9_mT8_P12ihipStream_tbDpT10_ENKUlT_T0_E_clISt17integral_constantIbLb0EES1B_EEDaS16_S17_EUlS16_E_NS1_11comp_targetILNS1_3genE10ELNS1_11target_archE1200ELNS1_3gpuE4ELNS1_3repE0EEENS1_30default_config_static_selectorELNS0_4arch9wavefront6targetE0EEEvT1_,"axG",@progbits,_ZN7rocprim17ROCPRIM_400000_NS6detail17trampoline_kernelINS0_14default_configENS1_25partition_config_selectorILNS1_17partition_subalgoE6EfNS0_10empty_typeEbEEZZNS1_14partition_implILS5_6ELb0ES3_mN6thrust23THRUST_200600_302600_NS6detail15normal_iteratorINSA_10device_ptrIfEEEEPS6_SG_NS0_5tupleIJNSA_16discard_iteratorINSA_11use_defaultEEES6_EEENSH_IJSG_SG_EEES6_PlJNSB_9not_fun_tI7is_trueIfEEEEEE10hipError_tPvRmT3_T4_T5_T6_T7_T9_mT8_P12ihipStream_tbDpT10_ENKUlT_T0_E_clISt17integral_constantIbLb0EES1B_EEDaS16_S17_EUlS16_E_NS1_11comp_targetILNS1_3genE10ELNS1_11target_archE1200ELNS1_3gpuE4ELNS1_3repE0EEENS1_30default_config_static_selectorELNS0_4arch9wavefront6targetE0EEEvT1_,comdat
.Lfunc_end2114:
	.size	_ZN7rocprim17ROCPRIM_400000_NS6detail17trampoline_kernelINS0_14default_configENS1_25partition_config_selectorILNS1_17partition_subalgoE6EfNS0_10empty_typeEbEEZZNS1_14partition_implILS5_6ELb0ES3_mN6thrust23THRUST_200600_302600_NS6detail15normal_iteratorINSA_10device_ptrIfEEEEPS6_SG_NS0_5tupleIJNSA_16discard_iteratorINSA_11use_defaultEEES6_EEENSH_IJSG_SG_EEES6_PlJNSB_9not_fun_tI7is_trueIfEEEEEE10hipError_tPvRmT3_T4_T5_T6_T7_T9_mT8_P12ihipStream_tbDpT10_ENKUlT_T0_E_clISt17integral_constantIbLb0EES1B_EEDaS16_S17_EUlS16_E_NS1_11comp_targetILNS1_3genE10ELNS1_11target_archE1200ELNS1_3gpuE4ELNS1_3repE0EEENS1_30default_config_static_selectorELNS0_4arch9wavefront6targetE0EEEvT1_, .Lfunc_end2114-_ZN7rocprim17ROCPRIM_400000_NS6detail17trampoline_kernelINS0_14default_configENS1_25partition_config_selectorILNS1_17partition_subalgoE6EfNS0_10empty_typeEbEEZZNS1_14partition_implILS5_6ELb0ES3_mN6thrust23THRUST_200600_302600_NS6detail15normal_iteratorINSA_10device_ptrIfEEEEPS6_SG_NS0_5tupleIJNSA_16discard_iteratorINSA_11use_defaultEEES6_EEENSH_IJSG_SG_EEES6_PlJNSB_9not_fun_tI7is_trueIfEEEEEE10hipError_tPvRmT3_T4_T5_T6_T7_T9_mT8_P12ihipStream_tbDpT10_ENKUlT_T0_E_clISt17integral_constantIbLb0EES1B_EEDaS16_S17_EUlS16_E_NS1_11comp_targetILNS1_3genE10ELNS1_11target_archE1200ELNS1_3gpuE4ELNS1_3repE0EEENS1_30default_config_static_selectorELNS0_4arch9wavefront6targetE0EEEvT1_
                                        ; -- End function
	.set _ZN7rocprim17ROCPRIM_400000_NS6detail17trampoline_kernelINS0_14default_configENS1_25partition_config_selectorILNS1_17partition_subalgoE6EfNS0_10empty_typeEbEEZZNS1_14partition_implILS5_6ELb0ES3_mN6thrust23THRUST_200600_302600_NS6detail15normal_iteratorINSA_10device_ptrIfEEEEPS6_SG_NS0_5tupleIJNSA_16discard_iteratorINSA_11use_defaultEEES6_EEENSH_IJSG_SG_EEES6_PlJNSB_9not_fun_tI7is_trueIfEEEEEE10hipError_tPvRmT3_T4_T5_T6_T7_T9_mT8_P12ihipStream_tbDpT10_ENKUlT_T0_E_clISt17integral_constantIbLb0EES1B_EEDaS16_S17_EUlS16_E_NS1_11comp_targetILNS1_3genE10ELNS1_11target_archE1200ELNS1_3gpuE4ELNS1_3repE0EEENS1_30default_config_static_selectorELNS0_4arch9wavefront6targetE0EEEvT1_.num_vgpr, 48
	.set _ZN7rocprim17ROCPRIM_400000_NS6detail17trampoline_kernelINS0_14default_configENS1_25partition_config_selectorILNS1_17partition_subalgoE6EfNS0_10empty_typeEbEEZZNS1_14partition_implILS5_6ELb0ES3_mN6thrust23THRUST_200600_302600_NS6detail15normal_iteratorINSA_10device_ptrIfEEEEPS6_SG_NS0_5tupleIJNSA_16discard_iteratorINSA_11use_defaultEEES6_EEENSH_IJSG_SG_EEES6_PlJNSB_9not_fun_tI7is_trueIfEEEEEE10hipError_tPvRmT3_T4_T5_T6_T7_T9_mT8_P12ihipStream_tbDpT10_ENKUlT_T0_E_clISt17integral_constantIbLb0EES1B_EEDaS16_S17_EUlS16_E_NS1_11comp_targetILNS1_3genE10ELNS1_11target_archE1200ELNS1_3gpuE4ELNS1_3repE0EEENS1_30default_config_static_selectorELNS0_4arch9wavefront6targetE0EEEvT1_.num_agpr, 0
	.set _ZN7rocprim17ROCPRIM_400000_NS6detail17trampoline_kernelINS0_14default_configENS1_25partition_config_selectorILNS1_17partition_subalgoE6EfNS0_10empty_typeEbEEZZNS1_14partition_implILS5_6ELb0ES3_mN6thrust23THRUST_200600_302600_NS6detail15normal_iteratorINSA_10device_ptrIfEEEEPS6_SG_NS0_5tupleIJNSA_16discard_iteratorINSA_11use_defaultEEES6_EEENSH_IJSG_SG_EEES6_PlJNSB_9not_fun_tI7is_trueIfEEEEEE10hipError_tPvRmT3_T4_T5_T6_T7_T9_mT8_P12ihipStream_tbDpT10_ENKUlT_T0_E_clISt17integral_constantIbLb0EES1B_EEDaS16_S17_EUlS16_E_NS1_11comp_targetILNS1_3genE10ELNS1_11target_archE1200ELNS1_3gpuE4ELNS1_3repE0EEENS1_30default_config_static_selectorELNS0_4arch9wavefront6targetE0EEEvT1_.numbered_sgpr, 21
	.set _ZN7rocprim17ROCPRIM_400000_NS6detail17trampoline_kernelINS0_14default_configENS1_25partition_config_selectorILNS1_17partition_subalgoE6EfNS0_10empty_typeEbEEZZNS1_14partition_implILS5_6ELb0ES3_mN6thrust23THRUST_200600_302600_NS6detail15normal_iteratorINSA_10device_ptrIfEEEEPS6_SG_NS0_5tupleIJNSA_16discard_iteratorINSA_11use_defaultEEES6_EEENSH_IJSG_SG_EEES6_PlJNSB_9not_fun_tI7is_trueIfEEEEEE10hipError_tPvRmT3_T4_T5_T6_T7_T9_mT8_P12ihipStream_tbDpT10_ENKUlT_T0_E_clISt17integral_constantIbLb0EES1B_EEDaS16_S17_EUlS16_E_NS1_11comp_targetILNS1_3genE10ELNS1_11target_archE1200ELNS1_3gpuE4ELNS1_3repE0EEENS1_30default_config_static_selectorELNS0_4arch9wavefront6targetE0EEEvT1_.num_named_barrier, 0
	.set _ZN7rocprim17ROCPRIM_400000_NS6detail17trampoline_kernelINS0_14default_configENS1_25partition_config_selectorILNS1_17partition_subalgoE6EfNS0_10empty_typeEbEEZZNS1_14partition_implILS5_6ELb0ES3_mN6thrust23THRUST_200600_302600_NS6detail15normal_iteratorINSA_10device_ptrIfEEEEPS6_SG_NS0_5tupleIJNSA_16discard_iteratorINSA_11use_defaultEEES6_EEENSH_IJSG_SG_EEES6_PlJNSB_9not_fun_tI7is_trueIfEEEEEE10hipError_tPvRmT3_T4_T5_T6_T7_T9_mT8_P12ihipStream_tbDpT10_ENKUlT_T0_E_clISt17integral_constantIbLb0EES1B_EEDaS16_S17_EUlS16_E_NS1_11comp_targetILNS1_3genE10ELNS1_11target_archE1200ELNS1_3gpuE4ELNS1_3repE0EEENS1_30default_config_static_selectorELNS0_4arch9wavefront6targetE0EEEvT1_.private_seg_size, 0
	.set _ZN7rocprim17ROCPRIM_400000_NS6detail17trampoline_kernelINS0_14default_configENS1_25partition_config_selectorILNS1_17partition_subalgoE6EfNS0_10empty_typeEbEEZZNS1_14partition_implILS5_6ELb0ES3_mN6thrust23THRUST_200600_302600_NS6detail15normal_iteratorINSA_10device_ptrIfEEEEPS6_SG_NS0_5tupleIJNSA_16discard_iteratorINSA_11use_defaultEEES6_EEENSH_IJSG_SG_EEES6_PlJNSB_9not_fun_tI7is_trueIfEEEEEE10hipError_tPvRmT3_T4_T5_T6_T7_T9_mT8_P12ihipStream_tbDpT10_ENKUlT_T0_E_clISt17integral_constantIbLb0EES1B_EEDaS16_S17_EUlS16_E_NS1_11comp_targetILNS1_3genE10ELNS1_11target_archE1200ELNS1_3gpuE4ELNS1_3repE0EEENS1_30default_config_static_selectorELNS0_4arch9wavefront6targetE0EEEvT1_.uses_vcc, 1
	.set _ZN7rocprim17ROCPRIM_400000_NS6detail17trampoline_kernelINS0_14default_configENS1_25partition_config_selectorILNS1_17partition_subalgoE6EfNS0_10empty_typeEbEEZZNS1_14partition_implILS5_6ELb0ES3_mN6thrust23THRUST_200600_302600_NS6detail15normal_iteratorINSA_10device_ptrIfEEEEPS6_SG_NS0_5tupleIJNSA_16discard_iteratorINSA_11use_defaultEEES6_EEENSH_IJSG_SG_EEES6_PlJNSB_9not_fun_tI7is_trueIfEEEEEE10hipError_tPvRmT3_T4_T5_T6_T7_T9_mT8_P12ihipStream_tbDpT10_ENKUlT_T0_E_clISt17integral_constantIbLb0EES1B_EEDaS16_S17_EUlS16_E_NS1_11comp_targetILNS1_3genE10ELNS1_11target_archE1200ELNS1_3gpuE4ELNS1_3repE0EEENS1_30default_config_static_selectorELNS0_4arch9wavefront6targetE0EEEvT1_.uses_flat_scratch, 1
	.set _ZN7rocprim17ROCPRIM_400000_NS6detail17trampoline_kernelINS0_14default_configENS1_25partition_config_selectorILNS1_17partition_subalgoE6EfNS0_10empty_typeEbEEZZNS1_14partition_implILS5_6ELb0ES3_mN6thrust23THRUST_200600_302600_NS6detail15normal_iteratorINSA_10device_ptrIfEEEEPS6_SG_NS0_5tupleIJNSA_16discard_iteratorINSA_11use_defaultEEES6_EEENSH_IJSG_SG_EEES6_PlJNSB_9not_fun_tI7is_trueIfEEEEEE10hipError_tPvRmT3_T4_T5_T6_T7_T9_mT8_P12ihipStream_tbDpT10_ENKUlT_T0_E_clISt17integral_constantIbLb0EES1B_EEDaS16_S17_EUlS16_E_NS1_11comp_targetILNS1_3genE10ELNS1_11target_archE1200ELNS1_3gpuE4ELNS1_3repE0EEENS1_30default_config_static_selectorELNS0_4arch9wavefront6targetE0EEEvT1_.has_dyn_sized_stack, 0
	.set _ZN7rocprim17ROCPRIM_400000_NS6detail17trampoline_kernelINS0_14default_configENS1_25partition_config_selectorILNS1_17partition_subalgoE6EfNS0_10empty_typeEbEEZZNS1_14partition_implILS5_6ELb0ES3_mN6thrust23THRUST_200600_302600_NS6detail15normal_iteratorINSA_10device_ptrIfEEEEPS6_SG_NS0_5tupleIJNSA_16discard_iteratorINSA_11use_defaultEEES6_EEENSH_IJSG_SG_EEES6_PlJNSB_9not_fun_tI7is_trueIfEEEEEE10hipError_tPvRmT3_T4_T5_T6_T7_T9_mT8_P12ihipStream_tbDpT10_ENKUlT_T0_E_clISt17integral_constantIbLb0EES1B_EEDaS16_S17_EUlS16_E_NS1_11comp_targetILNS1_3genE10ELNS1_11target_archE1200ELNS1_3gpuE4ELNS1_3repE0EEENS1_30default_config_static_selectorELNS0_4arch9wavefront6targetE0EEEvT1_.has_recursion, 0
	.set _ZN7rocprim17ROCPRIM_400000_NS6detail17trampoline_kernelINS0_14default_configENS1_25partition_config_selectorILNS1_17partition_subalgoE6EfNS0_10empty_typeEbEEZZNS1_14partition_implILS5_6ELb0ES3_mN6thrust23THRUST_200600_302600_NS6detail15normal_iteratorINSA_10device_ptrIfEEEEPS6_SG_NS0_5tupleIJNSA_16discard_iteratorINSA_11use_defaultEEES6_EEENSH_IJSG_SG_EEES6_PlJNSB_9not_fun_tI7is_trueIfEEEEEE10hipError_tPvRmT3_T4_T5_T6_T7_T9_mT8_P12ihipStream_tbDpT10_ENKUlT_T0_E_clISt17integral_constantIbLb0EES1B_EEDaS16_S17_EUlS16_E_NS1_11comp_targetILNS1_3genE10ELNS1_11target_archE1200ELNS1_3gpuE4ELNS1_3repE0EEENS1_30default_config_static_selectorELNS0_4arch9wavefront6targetE0EEEvT1_.has_indirect_call, 0
	.section	.AMDGPU.csdata,"",@progbits
; Kernel info:
; codeLenInByte = 6516
; TotalNumSgprs: 23
; NumVgprs: 48
; ScratchSize: 0
; MemoryBound: 0
; FloatMode: 240
; IeeeMode: 1
; LDSByteSize: 10768 bytes/workgroup (compile time only)
; SGPRBlocks: 0
; VGPRBlocks: 5
; NumSGPRsForWavesPerEU: 23
; NumVGPRsForWavesPerEU: 48
; Occupancy: 15
; WaveLimiterHint : 1
; COMPUTE_PGM_RSRC2:SCRATCH_EN: 0
; COMPUTE_PGM_RSRC2:USER_SGPR: 2
; COMPUTE_PGM_RSRC2:TRAP_HANDLER: 0
; COMPUTE_PGM_RSRC2:TGID_X_EN: 1
; COMPUTE_PGM_RSRC2:TGID_Y_EN: 0
; COMPUTE_PGM_RSRC2:TGID_Z_EN: 0
; COMPUTE_PGM_RSRC2:TIDIG_COMP_CNT: 0
	.section	.text._ZN7rocprim17ROCPRIM_400000_NS6detail17trampoline_kernelINS0_14default_configENS1_25partition_config_selectorILNS1_17partition_subalgoE6EfNS0_10empty_typeEbEEZZNS1_14partition_implILS5_6ELb0ES3_mN6thrust23THRUST_200600_302600_NS6detail15normal_iteratorINSA_10device_ptrIfEEEEPS6_SG_NS0_5tupleIJNSA_16discard_iteratorINSA_11use_defaultEEES6_EEENSH_IJSG_SG_EEES6_PlJNSB_9not_fun_tI7is_trueIfEEEEEE10hipError_tPvRmT3_T4_T5_T6_T7_T9_mT8_P12ihipStream_tbDpT10_ENKUlT_T0_E_clISt17integral_constantIbLb0EES1B_EEDaS16_S17_EUlS16_E_NS1_11comp_targetILNS1_3genE9ELNS1_11target_archE1100ELNS1_3gpuE3ELNS1_3repE0EEENS1_30default_config_static_selectorELNS0_4arch9wavefront6targetE0EEEvT1_,"axG",@progbits,_ZN7rocprim17ROCPRIM_400000_NS6detail17trampoline_kernelINS0_14default_configENS1_25partition_config_selectorILNS1_17partition_subalgoE6EfNS0_10empty_typeEbEEZZNS1_14partition_implILS5_6ELb0ES3_mN6thrust23THRUST_200600_302600_NS6detail15normal_iteratorINSA_10device_ptrIfEEEEPS6_SG_NS0_5tupleIJNSA_16discard_iteratorINSA_11use_defaultEEES6_EEENSH_IJSG_SG_EEES6_PlJNSB_9not_fun_tI7is_trueIfEEEEEE10hipError_tPvRmT3_T4_T5_T6_T7_T9_mT8_P12ihipStream_tbDpT10_ENKUlT_T0_E_clISt17integral_constantIbLb0EES1B_EEDaS16_S17_EUlS16_E_NS1_11comp_targetILNS1_3genE9ELNS1_11target_archE1100ELNS1_3gpuE3ELNS1_3repE0EEENS1_30default_config_static_selectorELNS0_4arch9wavefront6targetE0EEEvT1_,comdat
	.protected	_ZN7rocprim17ROCPRIM_400000_NS6detail17trampoline_kernelINS0_14default_configENS1_25partition_config_selectorILNS1_17partition_subalgoE6EfNS0_10empty_typeEbEEZZNS1_14partition_implILS5_6ELb0ES3_mN6thrust23THRUST_200600_302600_NS6detail15normal_iteratorINSA_10device_ptrIfEEEEPS6_SG_NS0_5tupleIJNSA_16discard_iteratorINSA_11use_defaultEEES6_EEENSH_IJSG_SG_EEES6_PlJNSB_9not_fun_tI7is_trueIfEEEEEE10hipError_tPvRmT3_T4_T5_T6_T7_T9_mT8_P12ihipStream_tbDpT10_ENKUlT_T0_E_clISt17integral_constantIbLb0EES1B_EEDaS16_S17_EUlS16_E_NS1_11comp_targetILNS1_3genE9ELNS1_11target_archE1100ELNS1_3gpuE3ELNS1_3repE0EEENS1_30default_config_static_selectorELNS0_4arch9wavefront6targetE0EEEvT1_ ; -- Begin function _ZN7rocprim17ROCPRIM_400000_NS6detail17trampoline_kernelINS0_14default_configENS1_25partition_config_selectorILNS1_17partition_subalgoE6EfNS0_10empty_typeEbEEZZNS1_14partition_implILS5_6ELb0ES3_mN6thrust23THRUST_200600_302600_NS6detail15normal_iteratorINSA_10device_ptrIfEEEEPS6_SG_NS0_5tupleIJNSA_16discard_iteratorINSA_11use_defaultEEES6_EEENSH_IJSG_SG_EEES6_PlJNSB_9not_fun_tI7is_trueIfEEEEEE10hipError_tPvRmT3_T4_T5_T6_T7_T9_mT8_P12ihipStream_tbDpT10_ENKUlT_T0_E_clISt17integral_constantIbLb0EES1B_EEDaS16_S17_EUlS16_E_NS1_11comp_targetILNS1_3genE9ELNS1_11target_archE1100ELNS1_3gpuE3ELNS1_3repE0EEENS1_30default_config_static_selectorELNS0_4arch9wavefront6targetE0EEEvT1_
	.globl	_ZN7rocprim17ROCPRIM_400000_NS6detail17trampoline_kernelINS0_14default_configENS1_25partition_config_selectorILNS1_17partition_subalgoE6EfNS0_10empty_typeEbEEZZNS1_14partition_implILS5_6ELb0ES3_mN6thrust23THRUST_200600_302600_NS6detail15normal_iteratorINSA_10device_ptrIfEEEEPS6_SG_NS0_5tupleIJNSA_16discard_iteratorINSA_11use_defaultEEES6_EEENSH_IJSG_SG_EEES6_PlJNSB_9not_fun_tI7is_trueIfEEEEEE10hipError_tPvRmT3_T4_T5_T6_T7_T9_mT8_P12ihipStream_tbDpT10_ENKUlT_T0_E_clISt17integral_constantIbLb0EES1B_EEDaS16_S17_EUlS16_E_NS1_11comp_targetILNS1_3genE9ELNS1_11target_archE1100ELNS1_3gpuE3ELNS1_3repE0EEENS1_30default_config_static_selectorELNS0_4arch9wavefront6targetE0EEEvT1_
	.p2align	8
	.type	_ZN7rocprim17ROCPRIM_400000_NS6detail17trampoline_kernelINS0_14default_configENS1_25partition_config_selectorILNS1_17partition_subalgoE6EfNS0_10empty_typeEbEEZZNS1_14partition_implILS5_6ELb0ES3_mN6thrust23THRUST_200600_302600_NS6detail15normal_iteratorINSA_10device_ptrIfEEEEPS6_SG_NS0_5tupleIJNSA_16discard_iteratorINSA_11use_defaultEEES6_EEENSH_IJSG_SG_EEES6_PlJNSB_9not_fun_tI7is_trueIfEEEEEE10hipError_tPvRmT3_T4_T5_T6_T7_T9_mT8_P12ihipStream_tbDpT10_ENKUlT_T0_E_clISt17integral_constantIbLb0EES1B_EEDaS16_S17_EUlS16_E_NS1_11comp_targetILNS1_3genE9ELNS1_11target_archE1100ELNS1_3gpuE3ELNS1_3repE0EEENS1_30default_config_static_selectorELNS0_4arch9wavefront6targetE0EEEvT1_,@function
_ZN7rocprim17ROCPRIM_400000_NS6detail17trampoline_kernelINS0_14default_configENS1_25partition_config_selectorILNS1_17partition_subalgoE6EfNS0_10empty_typeEbEEZZNS1_14partition_implILS5_6ELb0ES3_mN6thrust23THRUST_200600_302600_NS6detail15normal_iteratorINSA_10device_ptrIfEEEEPS6_SG_NS0_5tupleIJNSA_16discard_iteratorINSA_11use_defaultEEES6_EEENSH_IJSG_SG_EEES6_PlJNSB_9not_fun_tI7is_trueIfEEEEEE10hipError_tPvRmT3_T4_T5_T6_T7_T9_mT8_P12ihipStream_tbDpT10_ENKUlT_T0_E_clISt17integral_constantIbLb0EES1B_EEDaS16_S17_EUlS16_E_NS1_11comp_targetILNS1_3genE9ELNS1_11target_archE1100ELNS1_3gpuE3ELNS1_3repE0EEENS1_30default_config_static_selectorELNS0_4arch9wavefront6targetE0EEEvT1_: ; @_ZN7rocprim17ROCPRIM_400000_NS6detail17trampoline_kernelINS0_14default_configENS1_25partition_config_selectorILNS1_17partition_subalgoE6EfNS0_10empty_typeEbEEZZNS1_14partition_implILS5_6ELb0ES3_mN6thrust23THRUST_200600_302600_NS6detail15normal_iteratorINSA_10device_ptrIfEEEEPS6_SG_NS0_5tupleIJNSA_16discard_iteratorINSA_11use_defaultEEES6_EEENSH_IJSG_SG_EEES6_PlJNSB_9not_fun_tI7is_trueIfEEEEEE10hipError_tPvRmT3_T4_T5_T6_T7_T9_mT8_P12ihipStream_tbDpT10_ENKUlT_T0_E_clISt17integral_constantIbLb0EES1B_EEDaS16_S17_EUlS16_E_NS1_11comp_targetILNS1_3genE9ELNS1_11target_archE1100ELNS1_3gpuE3ELNS1_3repE0EEENS1_30default_config_static_selectorELNS0_4arch9wavefront6targetE0EEEvT1_
; %bb.0:
	.section	.rodata,"a",@progbits
	.p2align	6, 0x0
	.amdhsa_kernel _ZN7rocprim17ROCPRIM_400000_NS6detail17trampoline_kernelINS0_14default_configENS1_25partition_config_selectorILNS1_17partition_subalgoE6EfNS0_10empty_typeEbEEZZNS1_14partition_implILS5_6ELb0ES3_mN6thrust23THRUST_200600_302600_NS6detail15normal_iteratorINSA_10device_ptrIfEEEEPS6_SG_NS0_5tupleIJNSA_16discard_iteratorINSA_11use_defaultEEES6_EEENSH_IJSG_SG_EEES6_PlJNSB_9not_fun_tI7is_trueIfEEEEEE10hipError_tPvRmT3_T4_T5_T6_T7_T9_mT8_P12ihipStream_tbDpT10_ENKUlT_T0_E_clISt17integral_constantIbLb0EES1B_EEDaS16_S17_EUlS16_E_NS1_11comp_targetILNS1_3genE9ELNS1_11target_archE1100ELNS1_3gpuE3ELNS1_3repE0EEENS1_30default_config_static_selectorELNS0_4arch9wavefront6targetE0EEEvT1_
		.amdhsa_group_segment_fixed_size 0
		.amdhsa_private_segment_fixed_size 0
		.amdhsa_kernarg_size 120
		.amdhsa_user_sgpr_count 2
		.amdhsa_user_sgpr_dispatch_ptr 0
		.amdhsa_user_sgpr_queue_ptr 0
		.amdhsa_user_sgpr_kernarg_segment_ptr 1
		.amdhsa_user_sgpr_dispatch_id 0
		.amdhsa_user_sgpr_private_segment_size 0
		.amdhsa_wavefront_size32 1
		.amdhsa_uses_dynamic_stack 0
		.amdhsa_enable_private_segment 0
		.amdhsa_system_sgpr_workgroup_id_x 1
		.amdhsa_system_sgpr_workgroup_id_y 0
		.amdhsa_system_sgpr_workgroup_id_z 0
		.amdhsa_system_sgpr_workgroup_info 0
		.amdhsa_system_vgpr_workitem_id 0
		.amdhsa_next_free_vgpr 1
		.amdhsa_next_free_sgpr 1
		.amdhsa_reserve_vcc 0
		.amdhsa_float_round_mode_32 0
		.amdhsa_float_round_mode_16_64 0
		.amdhsa_float_denorm_mode_32 3
		.amdhsa_float_denorm_mode_16_64 3
		.amdhsa_fp16_overflow 0
		.amdhsa_workgroup_processor_mode 1
		.amdhsa_memory_ordered 1
		.amdhsa_forward_progress 1
		.amdhsa_inst_pref_size 0
		.amdhsa_round_robin_scheduling 0
		.amdhsa_exception_fp_ieee_invalid_op 0
		.amdhsa_exception_fp_denorm_src 0
		.amdhsa_exception_fp_ieee_div_zero 0
		.amdhsa_exception_fp_ieee_overflow 0
		.amdhsa_exception_fp_ieee_underflow 0
		.amdhsa_exception_fp_ieee_inexact 0
		.amdhsa_exception_int_div_zero 0
	.end_amdhsa_kernel
	.section	.text._ZN7rocprim17ROCPRIM_400000_NS6detail17trampoline_kernelINS0_14default_configENS1_25partition_config_selectorILNS1_17partition_subalgoE6EfNS0_10empty_typeEbEEZZNS1_14partition_implILS5_6ELb0ES3_mN6thrust23THRUST_200600_302600_NS6detail15normal_iteratorINSA_10device_ptrIfEEEEPS6_SG_NS0_5tupleIJNSA_16discard_iteratorINSA_11use_defaultEEES6_EEENSH_IJSG_SG_EEES6_PlJNSB_9not_fun_tI7is_trueIfEEEEEE10hipError_tPvRmT3_T4_T5_T6_T7_T9_mT8_P12ihipStream_tbDpT10_ENKUlT_T0_E_clISt17integral_constantIbLb0EES1B_EEDaS16_S17_EUlS16_E_NS1_11comp_targetILNS1_3genE9ELNS1_11target_archE1100ELNS1_3gpuE3ELNS1_3repE0EEENS1_30default_config_static_selectorELNS0_4arch9wavefront6targetE0EEEvT1_,"axG",@progbits,_ZN7rocprim17ROCPRIM_400000_NS6detail17trampoline_kernelINS0_14default_configENS1_25partition_config_selectorILNS1_17partition_subalgoE6EfNS0_10empty_typeEbEEZZNS1_14partition_implILS5_6ELb0ES3_mN6thrust23THRUST_200600_302600_NS6detail15normal_iteratorINSA_10device_ptrIfEEEEPS6_SG_NS0_5tupleIJNSA_16discard_iteratorINSA_11use_defaultEEES6_EEENSH_IJSG_SG_EEES6_PlJNSB_9not_fun_tI7is_trueIfEEEEEE10hipError_tPvRmT3_T4_T5_T6_T7_T9_mT8_P12ihipStream_tbDpT10_ENKUlT_T0_E_clISt17integral_constantIbLb0EES1B_EEDaS16_S17_EUlS16_E_NS1_11comp_targetILNS1_3genE9ELNS1_11target_archE1100ELNS1_3gpuE3ELNS1_3repE0EEENS1_30default_config_static_selectorELNS0_4arch9wavefront6targetE0EEEvT1_,comdat
.Lfunc_end2115:
	.size	_ZN7rocprim17ROCPRIM_400000_NS6detail17trampoline_kernelINS0_14default_configENS1_25partition_config_selectorILNS1_17partition_subalgoE6EfNS0_10empty_typeEbEEZZNS1_14partition_implILS5_6ELb0ES3_mN6thrust23THRUST_200600_302600_NS6detail15normal_iteratorINSA_10device_ptrIfEEEEPS6_SG_NS0_5tupleIJNSA_16discard_iteratorINSA_11use_defaultEEES6_EEENSH_IJSG_SG_EEES6_PlJNSB_9not_fun_tI7is_trueIfEEEEEE10hipError_tPvRmT3_T4_T5_T6_T7_T9_mT8_P12ihipStream_tbDpT10_ENKUlT_T0_E_clISt17integral_constantIbLb0EES1B_EEDaS16_S17_EUlS16_E_NS1_11comp_targetILNS1_3genE9ELNS1_11target_archE1100ELNS1_3gpuE3ELNS1_3repE0EEENS1_30default_config_static_selectorELNS0_4arch9wavefront6targetE0EEEvT1_, .Lfunc_end2115-_ZN7rocprim17ROCPRIM_400000_NS6detail17trampoline_kernelINS0_14default_configENS1_25partition_config_selectorILNS1_17partition_subalgoE6EfNS0_10empty_typeEbEEZZNS1_14partition_implILS5_6ELb0ES3_mN6thrust23THRUST_200600_302600_NS6detail15normal_iteratorINSA_10device_ptrIfEEEEPS6_SG_NS0_5tupleIJNSA_16discard_iteratorINSA_11use_defaultEEES6_EEENSH_IJSG_SG_EEES6_PlJNSB_9not_fun_tI7is_trueIfEEEEEE10hipError_tPvRmT3_T4_T5_T6_T7_T9_mT8_P12ihipStream_tbDpT10_ENKUlT_T0_E_clISt17integral_constantIbLb0EES1B_EEDaS16_S17_EUlS16_E_NS1_11comp_targetILNS1_3genE9ELNS1_11target_archE1100ELNS1_3gpuE3ELNS1_3repE0EEENS1_30default_config_static_selectorELNS0_4arch9wavefront6targetE0EEEvT1_
                                        ; -- End function
	.set _ZN7rocprim17ROCPRIM_400000_NS6detail17trampoline_kernelINS0_14default_configENS1_25partition_config_selectorILNS1_17partition_subalgoE6EfNS0_10empty_typeEbEEZZNS1_14partition_implILS5_6ELb0ES3_mN6thrust23THRUST_200600_302600_NS6detail15normal_iteratorINSA_10device_ptrIfEEEEPS6_SG_NS0_5tupleIJNSA_16discard_iteratorINSA_11use_defaultEEES6_EEENSH_IJSG_SG_EEES6_PlJNSB_9not_fun_tI7is_trueIfEEEEEE10hipError_tPvRmT3_T4_T5_T6_T7_T9_mT8_P12ihipStream_tbDpT10_ENKUlT_T0_E_clISt17integral_constantIbLb0EES1B_EEDaS16_S17_EUlS16_E_NS1_11comp_targetILNS1_3genE9ELNS1_11target_archE1100ELNS1_3gpuE3ELNS1_3repE0EEENS1_30default_config_static_selectorELNS0_4arch9wavefront6targetE0EEEvT1_.num_vgpr, 0
	.set _ZN7rocprim17ROCPRIM_400000_NS6detail17trampoline_kernelINS0_14default_configENS1_25partition_config_selectorILNS1_17partition_subalgoE6EfNS0_10empty_typeEbEEZZNS1_14partition_implILS5_6ELb0ES3_mN6thrust23THRUST_200600_302600_NS6detail15normal_iteratorINSA_10device_ptrIfEEEEPS6_SG_NS0_5tupleIJNSA_16discard_iteratorINSA_11use_defaultEEES6_EEENSH_IJSG_SG_EEES6_PlJNSB_9not_fun_tI7is_trueIfEEEEEE10hipError_tPvRmT3_T4_T5_T6_T7_T9_mT8_P12ihipStream_tbDpT10_ENKUlT_T0_E_clISt17integral_constantIbLb0EES1B_EEDaS16_S17_EUlS16_E_NS1_11comp_targetILNS1_3genE9ELNS1_11target_archE1100ELNS1_3gpuE3ELNS1_3repE0EEENS1_30default_config_static_selectorELNS0_4arch9wavefront6targetE0EEEvT1_.num_agpr, 0
	.set _ZN7rocprim17ROCPRIM_400000_NS6detail17trampoline_kernelINS0_14default_configENS1_25partition_config_selectorILNS1_17partition_subalgoE6EfNS0_10empty_typeEbEEZZNS1_14partition_implILS5_6ELb0ES3_mN6thrust23THRUST_200600_302600_NS6detail15normal_iteratorINSA_10device_ptrIfEEEEPS6_SG_NS0_5tupleIJNSA_16discard_iteratorINSA_11use_defaultEEES6_EEENSH_IJSG_SG_EEES6_PlJNSB_9not_fun_tI7is_trueIfEEEEEE10hipError_tPvRmT3_T4_T5_T6_T7_T9_mT8_P12ihipStream_tbDpT10_ENKUlT_T0_E_clISt17integral_constantIbLb0EES1B_EEDaS16_S17_EUlS16_E_NS1_11comp_targetILNS1_3genE9ELNS1_11target_archE1100ELNS1_3gpuE3ELNS1_3repE0EEENS1_30default_config_static_selectorELNS0_4arch9wavefront6targetE0EEEvT1_.numbered_sgpr, 0
	.set _ZN7rocprim17ROCPRIM_400000_NS6detail17trampoline_kernelINS0_14default_configENS1_25partition_config_selectorILNS1_17partition_subalgoE6EfNS0_10empty_typeEbEEZZNS1_14partition_implILS5_6ELb0ES3_mN6thrust23THRUST_200600_302600_NS6detail15normal_iteratorINSA_10device_ptrIfEEEEPS6_SG_NS0_5tupleIJNSA_16discard_iteratorINSA_11use_defaultEEES6_EEENSH_IJSG_SG_EEES6_PlJNSB_9not_fun_tI7is_trueIfEEEEEE10hipError_tPvRmT3_T4_T5_T6_T7_T9_mT8_P12ihipStream_tbDpT10_ENKUlT_T0_E_clISt17integral_constantIbLb0EES1B_EEDaS16_S17_EUlS16_E_NS1_11comp_targetILNS1_3genE9ELNS1_11target_archE1100ELNS1_3gpuE3ELNS1_3repE0EEENS1_30default_config_static_selectorELNS0_4arch9wavefront6targetE0EEEvT1_.num_named_barrier, 0
	.set _ZN7rocprim17ROCPRIM_400000_NS6detail17trampoline_kernelINS0_14default_configENS1_25partition_config_selectorILNS1_17partition_subalgoE6EfNS0_10empty_typeEbEEZZNS1_14partition_implILS5_6ELb0ES3_mN6thrust23THRUST_200600_302600_NS6detail15normal_iteratorINSA_10device_ptrIfEEEEPS6_SG_NS0_5tupleIJNSA_16discard_iteratorINSA_11use_defaultEEES6_EEENSH_IJSG_SG_EEES6_PlJNSB_9not_fun_tI7is_trueIfEEEEEE10hipError_tPvRmT3_T4_T5_T6_T7_T9_mT8_P12ihipStream_tbDpT10_ENKUlT_T0_E_clISt17integral_constantIbLb0EES1B_EEDaS16_S17_EUlS16_E_NS1_11comp_targetILNS1_3genE9ELNS1_11target_archE1100ELNS1_3gpuE3ELNS1_3repE0EEENS1_30default_config_static_selectorELNS0_4arch9wavefront6targetE0EEEvT1_.private_seg_size, 0
	.set _ZN7rocprim17ROCPRIM_400000_NS6detail17trampoline_kernelINS0_14default_configENS1_25partition_config_selectorILNS1_17partition_subalgoE6EfNS0_10empty_typeEbEEZZNS1_14partition_implILS5_6ELb0ES3_mN6thrust23THRUST_200600_302600_NS6detail15normal_iteratorINSA_10device_ptrIfEEEEPS6_SG_NS0_5tupleIJNSA_16discard_iteratorINSA_11use_defaultEEES6_EEENSH_IJSG_SG_EEES6_PlJNSB_9not_fun_tI7is_trueIfEEEEEE10hipError_tPvRmT3_T4_T5_T6_T7_T9_mT8_P12ihipStream_tbDpT10_ENKUlT_T0_E_clISt17integral_constantIbLb0EES1B_EEDaS16_S17_EUlS16_E_NS1_11comp_targetILNS1_3genE9ELNS1_11target_archE1100ELNS1_3gpuE3ELNS1_3repE0EEENS1_30default_config_static_selectorELNS0_4arch9wavefront6targetE0EEEvT1_.uses_vcc, 0
	.set _ZN7rocprim17ROCPRIM_400000_NS6detail17trampoline_kernelINS0_14default_configENS1_25partition_config_selectorILNS1_17partition_subalgoE6EfNS0_10empty_typeEbEEZZNS1_14partition_implILS5_6ELb0ES3_mN6thrust23THRUST_200600_302600_NS6detail15normal_iteratorINSA_10device_ptrIfEEEEPS6_SG_NS0_5tupleIJNSA_16discard_iteratorINSA_11use_defaultEEES6_EEENSH_IJSG_SG_EEES6_PlJNSB_9not_fun_tI7is_trueIfEEEEEE10hipError_tPvRmT3_T4_T5_T6_T7_T9_mT8_P12ihipStream_tbDpT10_ENKUlT_T0_E_clISt17integral_constantIbLb0EES1B_EEDaS16_S17_EUlS16_E_NS1_11comp_targetILNS1_3genE9ELNS1_11target_archE1100ELNS1_3gpuE3ELNS1_3repE0EEENS1_30default_config_static_selectorELNS0_4arch9wavefront6targetE0EEEvT1_.uses_flat_scratch, 0
	.set _ZN7rocprim17ROCPRIM_400000_NS6detail17trampoline_kernelINS0_14default_configENS1_25partition_config_selectorILNS1_17partition_subalgoE6EfNS0_10empty_typeEbEEZZNS1_14partition_implILS5_6ELb0ES3_mN6thrust23THRUST_200600_302600_NS6detail15normal_iteratorINSA_10device_ptrIfEEEEPS6_SG_NS0_5tupleIJNSA_16discard_iteratorINSA_11use_defaultEEES6_EEENSH_IJSG_SG_EEES6_PlJNSB_9not_fun_tI7is_trueIfEEEEEE10hipError_tPvRmT3_T4_T5_T6_T7_T9_mT8_P12ihipStream_tbDpT10_ENKUlT_T0_E_clISt17integral_constantIbLb0EES1B_EEDaS16_S17_EUlS16_E_NS1_11comp_targetILNS1_3genE9ELNS1_11target_archE1100ELNS1_3gpuE3ELNS1_3repE0EEENS1_30default_config_static_selectorELNS0_4arch9wavefront6targetE0EEEvT1_.has_dyn_sized_stack, 0
	.set _ZN7rocprim17ROCPRIM_400000_NS6detail17trampoline_kernelINS0_14default_configENS1_25partition_config_selectorILNS1_17partition_subalgoE6EfNS0_10empty_typeEbEEZZNS1_14partition_implILS5_6ELb0ES3_mN6thrust23THRUST_200600_302600_NS6detail15normal_iteratorINSA_10device_ptrIfEEEEPS6_SG_NS0_5tupleIJNSA_16discard_iteratorINSA_11use_defaultEEES6_EEENSH_IJSG_SG_EEES6_PlJNSB_9not_fun_tI7is_trueIfEEEEEE10hipError_tPvRmT3_T4_T5_T6_T7_T9_mT8_P12ihipStream_tbDpT10_ENKUlT_T0_E_clISt17integral_constantIbLb0EES1B_EEDaS16_S17_EUlS16_E_NS1_11comp_targetILNS1_3genE9ELNS1_11target_archE1100ELNS1_3gpuE3ELNS1_3repE0EEENS1_30default_config_static_selectorELNS0_4arch9wavefront6targetE0EEEvT1_.has_recursion, 0
	.set _ZN7rocprim17ROCPRIM_400000_NS6detail17trampoline_kernelINS0_14default_configENS1_25partition_config_selectorILNS1_17partition_subalgoE6EfNS0_10empty_typeEbEEZZNS1_14partition_implILS5_6ELb0ES3_mN6thrust23THRUST_200600_302600_NS6detail15normal_iteratorINSA_10device_ptrIfEEEEPS6_SG_NS0_5tupleIJNSA_16discard_iteratorINSA_11use_defaultEEES6_EEENSH_IJSG_SG_EEES6_PlJNSB_9not_fun_tI7is_trueIfEEEEEE10hipError_tPvRmT3_T4_T5_T6_T7_T9_mT8_P12ihipStream_tbDpT10_ENKUlT_T0_E_clISt17integral_constantIbLb0EES1B_EEDaS16_S17_EUlS16_E_NS1_11comp_targetILNS1_3genE9ELNS1_11target_archE1100ELNS1_3gpuE3ELNS1_3repE0EEENS1_30default_config_static_selectorELNS0_4arch9wavefront6targetE0EEEvT1_.has_indirect_call, 0
	.section	.AMDGPU.csdata,"",@progbits
; Kernel info:
; codeLenInByte = 0
; TotalNumSgprs: 0
; NumVgprs: 0
; ScratchSize: 0
; MemoryBound: 0
; FloatMode: 240
; IeeeMode: 1
; LDSByteSize: 0 bytes/workgroup (compile time only)
; SGPRBlocks: 0
; VGPRBlocks: 0
; NumSGPRsForWavesPerEU: 1
; NumVGPRsForWavesPerEU: 1
; Occupancy: 16
; WaveLimiterHint : 0
; COMPUTE_PGM_RSRC2:SCRATCH_EN: 0
; COMPUTE_PGM_RSRC2:USER_SGPR: 2
; COMPUTE_PGM_RSRC2:TRAP_HANDLER: 0
; COMPUTE_PGM_RSRC2:TGID_X_EN: 1
; COMPUTE_PGM_RSRC2:TGID_Y_EN: 0
; COMPUTE_PGM_RSRC2:TGID_Z_EN: 0
; COMPUTE_PGM_RSRC2:TIDIG_COMP_CNT: 0
	.section	.text._ZN7rocprim17ROCPRIM_400000_NS6detail17trampoline_kernelINS0_14default_configENS1_25partition_config_selectorILNS1_17partition_subalgoE6EfNS0_10empty_typeEbEEZZNS1_14partition_implILS5_6ELb0ES3_mN6thrust23THRUST_200600_302600_NS6detail15normal_iteratorINSA_10device_ptrIfEEEEPS6_SG_NS0_5tupleIJNSA_16discard_iteratorINSA_11use_defaultEEES6_EEENSH_IJSG_SG_EEES6_PlJNSB_9not_fun_tI7is_trueIfEEEEEE10hipError_tPvRmT3_T4_T5_T6_T7_T9_mT8_P12ihipStream_tbDpT10_ENKUlT_T0_E_clISt17integral_constantIbLb0EES1B_EEDaS16_S17_EUlS16_E_NS1_11comp_targetILNS1_3genE8ELNS1_11target_archE1030ELNS1_3gpuE2ELNS1_3repE0EEENS1_30default_config_static_selectorELNS0_4arch9wavefront6targetE0EEEvT1_,"axG",@progbits,_ZN7rocprim17ROCPRIM_400000_NS6detail17trampoline_kernelINS0_14default_configENS1_25partition_config_selectorILNS1_17partition_subalgoE6EfNS0_10empty_typeEbEEZZNS1_14partition_implILS5_6ELb0ES3_mN6thrust23THRUST_200600_302600_NS6detail15normal_iteratorINSA_10device_ptrIfEEEEPS6_SG_NS0_5tupleIJNSA_16discard_iteratorINSA_11use_defaultEEES6_EEENSH_IJSG_SG_EEES6_PlJNSB_9not_fun_tI7is_trueIfEEEEEE10hipError_tPvRmT3_T4_T5_T6_T7_T9_mT8_P12ihipStream_tbDpT10_ENKUlT_T0_E_clISt17integral_constantIbLb0EES1B_EEDaS16_S17_EUlS16_E_NS1_11comp_targetILNS1_3genE8ELNS1_11target_archE1030ELNS1_3gpuE2ELNS1_3repE0EEENS1_30default_config_static_selectorELNS0_4arch9wavefront6targetE0EEEvT1_,comdat
	.protected	_ZN7rocprim17ROCPRIM_400000_NS6detail17trampoline_kernelINS0_14default_configENS1_25partition_config_selectorILNS1_17partition_subalgoE6EfNS0_10empty_typeEbEEZZNS1_14partition_implILS5_6ELb0ES3_mN6thrust23THRUST_200600_302600_NS6detail15normal_iteratorINSA_10device_ptrIfEEEEPS6_SG_NS0_5tupleIJNSA_16discard_iteratorINSA_11use_defaultEEES6_EEENSH_IJSG_SG_EEES6_PlJNSB_9not_fun_tI7is_trueIfEEEEEE10hipError_tPvRmT3_T4_T5_T6_T7_T9_mT8_P12ihipStream_tbDpT10_ENKUlT_T0_E_clISt17integral_constantIbLb0EES1B_EEDaS16_S17_EUlS16_E_NS1_11comp_targetILNS1_3genE8ELNS1_11target_archE1030ELNS1_3gpuE2ELNS1_3repE0EEENS1_30default_config_static_selectorELNS0_4arch9wavefront6targetE0EEEvT1_ ; -- Begin function _ZN7rocprim17ROCPRIM_400000_NS6detail17trampoline_kernelINS0_14default_configENS1_25partition_config_selectorILNS1_17partition_subalgoE6EfNS0_10empty_typeEbEEZZNS1_14partition_implILS5_6ELb0ES3_mN6thrust23THRUST_200600_302600_NS6detail15normal_iteratorINSA_10device_ptrIfEEEEPS6_SG_NS0_5tupleIJNSA_16discard_iteratorINSA_11use_defaultEEES6_EEENSH_IJSG_SG_EEES6_PlJNSB_9not_fun_tI7is_trueIfEEEEEE10hipError_tPvRmT3_T4_T5_T6_T7_T9_mT8_P12ihipStream_tbDpT10_ENKUlT_T0_E_clISt17integral_constantIbLb0EES1B_EEDaS16_S17_EUlS16_E_NS1_11comp_targetILNS1_3genE8ELNS1_11target_archE1030ELNS1_3gpuE2ELNS1_3repE0EEENS1_30default_config_static_selectorELNS0_4arch9wavefront6targetE0EEEvT1_
	.globl	_ZN7rocprim17ROCPRIM_400000_NS6detail17trampoline_kernelINS0_14default_configENS1_25partition_config_selectorILNS1_17partition_subalgoE6EfNS0_10empty_typeEbEEZZNS1_14partition_implILS5_6ELb0ES3_mN6thrust23THRUST_200600_302600_NS6detail15normal_iteratorINSA_10device_ptrIfEEEEPS6_SG_NS0_5tupleIJNSA_16discard_iteratorINSA_11use_defaultEEES6_EEENSH_IJSG_SG_EEES6_PlJNSB_9not_fun_tI7is_trueIfEEEEEE10hipError_tPvRmT3_T4_T5_T6_T7_T9_mT8_P12ihipStream_tbDpT10_ENKUlT_T0_E_clISt17integral_constantIbLb0EES1B_EEDaS16_S17_EUlS16_E_NS1_11comp_targetILNS1_3genE8ELNS1_11target_archE1030ELNS1_3gpuE2ELNS1_3repE0EEENS1_30default_config_static_selectorELNS0_4arch9wavefront6targetE0EEEvT1_
	.p2align	8
	.type	_ZN7rocprim17ROCPRIM_400000_NS6detail17trampoline_kernelINS0_14default_configENS1_25partition_config_selectorILNS1_17partition_subalgoE6EfNS0_10empty_typeEbEEZZNS1_14partition_implILS5_6ELb0ES3_mN6thrust23THRUST_200600_302600_NS6detail15normal_iteratorINSA_10device_ptrIfEEEEPS6_SG_NS0_5tupleIJNSA_16discard_iteratorINSA_11use_defaultEEES6_EEENSH_IJSG_SG_EEES6_PlJNSB_9not_fun_tI7is_trueIfEEEEEE10hipError_tPvRmT3_T4_T5_T6_T7_T9_mT8_P12ihipStream_tbDpT10_ENKUlT_T0_E_clISt17integral_constantIbLb0EES1B_EEDaS16_S17_EUlS16_E_NS1_11comp_targetILNS1_3genE8ELNS1_11target_archE1030ELNS1_3gpuE2ELNS1_3repE0EEENS1_30default_config_static_selectorELNS0_4arch9wavefront6targetE0EEEvT1_,@function
_ZN7rocprim17ROCPRIM_400000_NS6detail17trampoline_kernelINS0_14default_configENS1_25partition_config_selectorILNS1_17partition_subalgoE6EfNS0_10empty_typeEbEEZZNS1_14partition_implILS5_6ELb0ES3_mN6thrust23THRUST_200600_302600_NS6detail15normal_iteratorINSA_10device_ptrIfEEEEPS6_SG_NS0_5tupleIJNSA_16discard_iteratorINSA_11use_defaultEEES6_EEENSH_IJSG_SG_EEES6_PlJNSB_9not_fun_tI7is_trueIfEEEEEE10hipError_tPvRmT3_T4_T5_T6_T7_T9_mT8_P12ihipStream_tbDpT10_ENKUlT_T0_E_clISt17integral_constantIbLb0EES1B_EEDaS16_S17_EUlS16_E_NS1_11comp_targetILNS1_3genE8ELNS1_11target_archE1030ELNS1_3gpuE2ELNS1_3repE0EEENS1_30default_config_static_selectorELNS0_4arch9wavefront6targetE0EEEvT1_: ; @_ZN7rocprim17ROCPRIM_400000_NS6detail17trampoline_kernelINS0_14default_configENS1_25partition_config_selectorILNS1_17partition_subalgoE6EfNS0_10empty_typeEbEEZZNS1_14partition_implILS5_6ELb0ES3_mN6thrust23THRUST_200600_302600_NS6detail15normal_iteratorINSA_10device_ptrIfEEEEPS6_SG_NS0_5tupleIJNSA_16discard_iteratorINSA_11use_defaultEEES6_EEENSH_IJSG_SG_EEES6_PlJNSB_9not_fun_tI7is_trueIfEEEEEE10hipError_tPvRmT3_T4_T5_T6_T7_T9_mT8_P12ihipStream_tbDpT10_ENKUlT_T0_E_clISt17integral_constantIbLb0EES1B_EEDaS16_S17_EUlS16_E_NS1_11comp_targetILNS1_3genE8ELNS1_11target_archE1030ELNS1_3gpuE2ELNS1_3repE0EEENS1_30default_config_static_selectorELNS0_4arch9wavefront6targetE0EEEvT1_
; %bb.0:
	.section	.rodata,"a",@progbits
	.p2align	6, 0x0
	.amdhsa_kernel _ZN7rocprim17ROCPRIM_400000_NS6detail17trampoline_kernelINS0_14default_configENS1_25partition_config_selectorILNS1_17partition_subalgoE6EfNS0_10empty_typeEbEEZZNS1_14partition_implILS5_6ELb0ES3_mN6thrust23THRUST_200600_302600_NS6detail15normal_iteratorINSA_10device_ptrIfEEEEPS6_SG_NS0_5tupleIJNSA_16discard_iteratorINSA_11use_defaultEEES6_EEENSH_IJSG_SG_EEES6_PlJNSB_9not_fun_tI7is_trueIfEEEEEE10hipError_tPvRmT3_T4_T5_T6_T7_T9_mT8_P12ihipStream_tbDpT10_ENKUlT_T0_E_clISt17integral_constantIbLb0EES1B_EEDaS16_S17_EUlS16_E_NS1_11comp_targetILNS1_3genE8ELNS1_11target_archE1030ELNS1_3gpuE2ELNS1_3repE0EEENS1_30default_config_static_selectorELNS0_4arch9wavefront6targetE0EEEvT1_
		.amdhsa_group_segment_fixed_size 0
		.amdhsa_private_segment_fixed_size 0
		.amdhsa_kernarg_size 120
		.amdhsa_user_sgpr_count 2
		.amdhsa_user_sgpr_dispatch_ptr 0
		.amdhsa_user_sgpr_queue_ptr 0
		.amdhsa_user_sgpr_kernarg_segment_ptr 1
		.amdhsa_user_sgpr_dispatch_id 0
		.amdhsa_user_sgpr_private_segment_size 0
		.amdhsa_wavefront_size32 1
		.amdhsa_uses_dynamic_stack 0
		.amdhsa_enable_private_segment 0
		.amdhsa_system_sgpr_workgroup_id_x 1
		.amdhsa_system_sgpr_workgroup_id_y 0
		.amdhsa_system_sgpr_workgroup_id_z 0
		.amdhsa_system_sgpr_workgroup_info 0
		.amdhsa_system_vgpr_workitem_id 0
		.amdhsa_next_free_vgpr 1
		.amdhsa_next_free_sgpr 1
		.amdhsa_reserve_vcc 0
		.amdhsa_float_round_mode_32 0
		.amdhsa_float_round_mode_16_64 0
		.amdhsa_float_denorm_mode_32 3
		.amdhsa_float_denorm_mode_16_64 3
		.amdhsa_fp16_overflow 0
		.amdhsa_workgroup_processor_mode 1
		.amdhsa_memory_ordered 1
		.amdhsa_forward_progress 1
		.amdhsa_inst_pref_size 0
		.amdhsa_round_robin_scheduling 0
		.amdhsa_exception_fp_ieee_invalid_op 0
		.amdhsa_exception_fp_denorm_src 0
		.amdhsa_exception_fp_ieee_div_zero 0
		.amdhsa_exception_fp_ieee_overflow 0
		.amdhsa_exception_fp_ieee_underflow 0
		.amdhsa_exception_fp_ieee_inexact 0
		.amdhsa_exception_int_div_zero 0
	.end_amdhsa_kernel
	.section	.text._ZN7rocprim17ROCPRIM_400000_NS6detail17trampoline_kernelINS0_14default_configENS1_25partition_config_selectorILNS1_17partition_subalgoE6EfNS0_10empty_typeEbEEZZNS1_14partition_implILS5_6ELb0ES3_mN6thrust23THRUST_200600_302600_NS6detail15normal_iteratorINSA_10device_ptrIfEEEEPS6_SG_NS0_5tupleIJNSA_16discard_iteratorINSA_11use_defaultEEES6_EEENSH_IJSG_SG_EEES6_PlJNSB_9not_fun_tI7is_trueIfEEEEEE10hipError_tPvRmT3_T4_T5_T6_T7_T9_mT8_P12ihipStream_tbDpT10_ENKUlT_T0_E_clISt17integral_constantIbLb0EES1B_EEDaS16_S17_EUlS16_E_NS1_11comp_targetILNS1_3genE8ELNS1_11target_archE1030ELNS1_3gpuE2ELNS1_3repE0EEENS1_30default_config_static_selectorELNS0_4arch9wavefront6targetE0EEEvT1_,"axG",@progbits,_ZN7rocprim17ROCPRIM_400000_NS6detail17trampoline_kernelINS0_14default_configENS1_25partition_config_selectorILNS1_17partition_subalgoE6EfNS0_10empty_typeEbEEZZNS1_14partition_implILS5_6ELb0ES3_mN6thrust23THRUST_200600_302600_NS6detail15normal_iteratorINSA_10device_ptrIfEEEEPS6_SG_NS0_5tupleIJNSA_16discard_iteratorINSA_11use_defaultEEES6_EEENSH_IJSG_SG_EEES6_PlJNSB_9not_fun_tI7is_trueIfEEEEEE10hipError_tPvRmT3_T4_T5_T6_T7_T9_mT8_P12ihipStream_tbDpT10_ENKUlT_T0_E_clISt17integral_constantIbLb0EES1B_EEDaS16_S17_EUlS16_E_NS1_11comp_targetILNS1_3genE8ELNS1_11target_archE1030ELNS1_3gpuE2ELNS1_3repE0EEENS1_30default_config_static_selectorELNS0_4arch9wavefront6targetE0EEEvT1_,comdat
.Lfunc_end2116:
	.size	_ZN7rocprim17ROCPRIM_400000_NS6detail17trampoline_kernelINS0_14default_configENS1_25partition_config_selectorILNS1_17partition_subalgoE6EfNS0_10empty_typeEbEEZZNS1_14partition_implILS5_6ELb0ES3_mN6thrust23THRUST_200600_302600_NS6detail15normal_iteratorINSA_10device_ptrIfEEEEPS6_SG_NS0_5tupleIJNSA_16discard_iteratorINSA_11use_defaultEEES6_EEENSH_IJSG_SG_EEES6_PlJNSB_9not_fun_tI7is_trueIfEEEEEE10hipError_tPvRmT3_T4_T5_T6_T7_T9_mT8_P12ihipStream_tbDpT10_ENKUlT_T0_E_clISt17integral_constantIbLb0EES1B_EEDaS16_S17_EUlS16_E_NS1_11comp_targetILNS1_3genE8ELNS1_11target_archE1030ELNS1_3gpuE2ELNS1_3repE0EEENS1_30default_config_static_selectorELNS0_4arch9wavefront6targetE0EEEvT1_, .Lfunc_end2116-_ZN7rocprim17ROCPRIM_400000_NS6detail17trampoline_kernelINS0_14default_configENS1_25partition_config_selectorILNS1_17partition_subalgoE6EfNS0_10empty_typeEbEEZZNS1_14partition_implILS5_6ELb0ES3_mN6thrust23THRUST_200600_302600_NS6detail15normal_iteratorINSA_10device_ptrIfEEEEPS6_SG_NS0_5tupleIJNSA_16discard_iteratorINSA_11use_defaultEEES6_EEENSH_IJSG_SG_EEES6_PlJNSB_9not_fun_tI7is_trueIfEEEEEE10hipError_tPvRmT3_T4_T5_T6_T7_T9_mT8_P12ihipStream_tbDpT10_ENKUlT_T0_E_clISt17integral_constantIbLb0EES1B_EEDaS16_S17_EUlS16_E_NS1_11comp_targetILNS1_3genE8ELNS1_11target_archE1030ELNS1_3gpuE2ELNS1_3repE0EEENS1_30default_config_static_selectorELNS0_4arch9wavefront6targetE0EEEvT1_
                                        ; -- End function
	.set _ZN7rocprim17ROCPRIM_400000_NS6detail17trampoline_kernelINS0_14default_configENS1_25partition_config_selectorILNS1_17partition_subalgoE6EfNS0_10empty_typeEbEEZZNS1_14partition_implILS5_6ELb0ES3_mN6thrust23THRUST_200600_302600_NS6detail15normal_iteratorINSA_10device_ptrIfEEEEPS6_SG_NS0_5tupleIJNSA_16discard_iteratorINSA_11use_defaultEEES6_EEENSH_IJSG_SG_EEES6_PlJNSB_9not_fun_tI7is_trueIfEEEEEE10hipError_tPvRmT3_T4_T5_T6_T7_T9_mT8_P12ihipStream_tbDpT10_ENKUlT_T0_E_clISt17integral_constantIbLb0EES1B_EEDaS16_S17_EUlS16_E_NS1_11comp_targetILNS1_3genE8ELNS1_11target_archE1030ELNS1_3gpuE2ELNS1_3repE0EEENS1_30default_config_static_selectorELNS0_4arch9wavefront6targetE0EEEvT1_.num_vgpr, 0
	.set _ZN7rocprim17ROCPRIM_400000_NS6detail17trampoline_kernelINS0_14default_configENS1_25partition_config_selectorILNS1_17partition_subalgoE6EfNS0_10empty_typeEbEEZZNS1_14partition_implILS5_6ELb0ES3_mN6thrust23THRUST_200600_302600_NS6detail15normal_iteratorINSA_10device_ptrIfEEEEPS6_SG_NS0_5tupleIJNSA_16discard_iteratorINSA_11use_defaultEEES6_EEENSH_IJSG_SG_EEES6_PlJNSB_9not_fun_tI7is_trueIfEEEEEE10hipError_tPvRmT3_T4_T5_T6_T7_T9_mT8_P12ihipStream_tbDpT10_ENKUlT_T0_E_clISt17integral_constantIbLb0EES1B_EEDaS16_S17_EUlS16_E_NS1_11comp_targetILNS1_3genE8ELNS1_11target_archE1030ELNS1_3gpuE2ELNS1_3repE0EEENS1_30default_config_static_selectorELNS0_4arch9wavefront6targetE0EEEvT1_.num_agpr, 0
	.set _ZN7rocprim17ROCPRIM_400000_NS6detail17trampoline_kernelINS0_14default_configENS1_25partition_config_selectorILNS1_17partition_subalgoE6EfNS0_10empty_typeEbEEZZNS1_14partition_implILS5_6ELb0ES3_mN6thrust23THRUST_200600_302600_NS6detail15normal_iteratorINSA_10device_ptrIfEEEEPS6_SG_NS0_5tupleIJNSA_16discard_iteratorINSA_11use_defaultEEES6_EEENSH_IJSG_SG_EEES6_PlJNSB_9not_fun_tI7is_trueIfEEEEEE10hipError_tPvRmT3_T4_T5_T6_T7_T9_mT8_P12ihipStream_tbDpT10_ENKUlT_T0_E_clISt17integral_constantIbLb0EES1B_EEDaS16_S17_EUlS16_E_NS1_11comp_targetILNS1_3genE8ELNS1_11target_archE1030ELNS1_3gpuE2ELNS1_3repE0EEENS1_30default_config_static_selectorELNS0_4arch9wavefront6targetE0EEEvT1_.numbered_sgpr, 0
	.set _ZN7rocprim17ROCPRIM_400000_NS6detail17trampoline_kernelINS0_14default_configENS1_25partition_config_selectorILNS1_17partition_subalgoE6EfNS0_10empty_typeEbEEZZNS1_14partition_implILS5_6ELb0ES3_mN6thrust23THRUST_200600_302600_NS6detail15normal_iteratorINSA_10device_ptrIfEEEEPS6_SG_NS0_5tupleIJNSA_16discard_iteratorINSA_11use_defaultEEES6_EEENSH_IJSG_SG_EEES6_PlJNSB_9not_fun_tI7is_trueIfEEEEEE10hipError_tPvRmT3_T4_T5_T6_T7_T9_mT8_P12ihipStream_tbDpT10_ENKUlT_T0_E_clISt17integral_constantIbLb0EES1B_EEDaS16_S17_EUlS16_E_NS1_11comp_targetILNS1_3genE8ELNS1_11target_archE1030ELNS1_3gpuE2ELNS1_3repE0EEENS1_30default_config_static_selectorELNS0_4arch9wavefront6targetE0EEEvT1_.num_named_barrier, 0
	.set _ZN7rocprim17ROCPRIM_400000_NS6detail17trampoline_kernelINS0_14default_configENS1_25partition_config_selectorILNS1_17partition_subalgoE6EfNS0_10empty_typeEbEEZZNS1_14partition_implILS5_6ELb0ES3_mN6thrust23THRUST_200600_302600_NS6detail15normal_iteratorINSA_10device_ptrIfEEEEPS6_SG_NS0_5tupleIJNSA_16discard_iteratorINSA_11use_defaultEEES6_EEENSH_IJSG_SG_EEES6_PlJNSB_9not_fun_tI7is_trueIfEEEEEE10hipError_tPvRmT3_T4_T5_T6_T7_T9_mT8_P12ihipStream_tbDpT10_ENKUlT_T0_E_clISt17integral_constantIbLb0EES1B_EEDaS16_S17_EUlS16_E_NS1_11comp_targetILNS1_3genE8ELNS1_11target_archE1030ELNS1_3gpuE2ELNS1_3repE0EEENS1_30default_config_static_selectorELNS0_4arch9wavefront6targetE0EEEvT1_.private_seg_size, 0
	.set _ZN7rocprim17ROCPRIM_400000_NS6detail17trampoline_kernelINS0_14default_configENS1_25partition_config_selectorILNS1_17partition_subalgoE6EfNS0_10empty_typeEbEEZZNS1_14partition_implILS5_6ELb0ES3_mN6thrust23THRUST_200600_302600_NS6detail15normal_iteratorINSA_10device_ptrIfEEEEPS6_SG_NS0_5tupleIJNSA_16discard_iteratorINSA_11use_defaultEEES6_EEENSH_IJSG_SG_EEES6_PlJNSB_9not_fun_tI7is_trueIfEEEEEE10hipError_tPvRmT3_T4_T5_T6_T7_T9_mT8_P12ihipStream_tbDpT10_ENKUlT_T0_E_clISt17integral_constantIbLb0EES1B_EEDaS16_S17_EUlS16_E_NS1_11comp_targetILNS1_3genE8ELNS1_11target_archE1030ELNS1_3gpuE2ELNS1_3repE0EEENS1_30default_config_static_selectorELNS0_4arch9wavefront6targetE0EEEvT1_.uses_vcc, 0
	.set _ZN7rocprim17ROCPRIM_400000_NS6detail17trampoline_kernelINS0_14default_configENS1_25partition_config_selectorILNS1_17partition_subalgoE6EfNS0_10empty_typeEbEEZZNS1_14partition_implILS5_6ELb0ES3_mN6thrust23THRUST_200600_302600_NS6detail15normal_iteratorINSA_10device_ptrIfEEEEPS6_SG_NS0_5tupleIJNSA_16discard_iteratorINSA_11use_defaultEEES6_EEENSH_IJSG_SG_EEES6_PlJNSB_9not_fun_tI7is_trueIfEEEEEE10hipError_tPvRmT3_T4_T5_T6_T7_T9_mT8_P12ihipStream_tbDpT10_ENKUlT_T0_E_clISt17integral_constantIbLb0EES1B_EEDaS16_S17_EUlS16_E_NS1_11comp_targetILNS1_3genE8ELNS1_11target_archE1030ELNS1_3gpuE2ELNS1_3repE0EEENS1_30default_config_static_selectorELNS0_4arch9wavefront6targetE0EEEvT1_.uses_flat_scratch, 0
	.set _ZN7rocprim17ROCPRIM_400000_NS6detail17trampoline_kernelINS0_14default_configENS1_25partition_config_selectorILNS1_17partition_subalgoE6EfNS0_10empty_typeEbEEZZNS1_14partition_implILS5_6ELb0ES3_mN6thrust23THRUST_200600_302600_NS6detail15normal_iteratorINSA_10device_ptrIfEEEEPS6_SG_NS0_5tupleIJNSA_16discard_iteratorINSA_11use_defaultEEES6_EEENSH_IJSG_SG_EEES6_PlJNSB_9not_fun_tI7is_trueIfEEEEEE10hipError_tPvRmT3_T4_T5_T6_T7_T9_mT8_P12ihipStream_tbDpT10_ENKUlT_T0_E_clISt17integral_constantIbLb0EES1B_EEDaS16_S17_EUlS16_E_NS1_11comp_targetILNS1_3genE8ELNS1_11target_archE1030ELNS1_3gpuE2ELNS1_3repE0EEENS1_30default_config_static_selectorELNS0_4arch9wavefront6targetE0EEEvT1_.has_dyn_sized_stack, 0
	.set _ZN7rocprim17ROCPRIM_400000_NS6detail17trampoline_kernelINS0_14default_configENS1_25partition_config_selectorILNS1_17partition_subalgoE6EfNS0_10empty_typeEbEEZZNS1_14partition_implILS5_6ELb0ES3_mN6thrust23THRUST_200600_302600_NS6detail15normal_iteratorINSA_10device_ptrIfEEEEPS6_SG_NS0_5tupleIJNSA_16discard_iteratorINSA_11use_defaultEEES6_EEENSH_IJSG_SG_EEES6_PlJNSB_9not_fun_tI7is_trueIfEEEEEE10hipError_tPvRmT3_T4_T5_T6_T7_T9_mT8_P12ihipStream_tbDpT10_ENKUlT_T0_E_clISt17integral_constantIbLb0EES1B_EEDaS16_S17_EUlS16_E_NS1_11comp_targetILNS1_3genE8ELNS1_11target_archE1030ELNS1_3gpuE2ELNS1_3repE0EEENS1_30default_config_static_selectorELNS0_4arch9wavefront6targetE0EEEvT1_.has_recursion, 0
	.set _ZN7rocprim17ROCPRIM_400000_NS6detail17trampoline_kernelINS0_14default_configENS1_25partition_config_selectorILNS1_17partition_subalgoE6EfNS0_10empty_typeEbEEZZNS1_14partition_implILS5_6ELb0ES3_mN6thrust23THRUST_200600_302600_NS6detail15normal_iteratorINSA_10device_ptrIfEEEEPS6_SG_NS0_5tupleIJNSA_16discard_iteratorINSA_11use_defaultEEES6_EEENSH_IJSG_SG_EEES6_PlJNSB_9not_fun_tI7is_trueIfEEEEEE10hipError_tPvRmT3_T4_T5_T6_T7_T9_mT8_P12ihipStream_tbDpT10_ENKUlT_T0_E_clISt17integral_constantIbLb0EES1B_EEDaS16_S17_EUlS16_E_NS1_11comp_targetILNS1_3genE8ELNS1_11target_archE1030ELNS1_3gpuE2ELNS1_3repE0EEENS1_30default_config_static_selectorELNS0_4arch9wavefront6targetE0EEEvT1_.has_indirect_call, 0
	.section	.AMDGPU.csdata,"",@progbits
; Kernel info:
; codeLenInByte = 0
; TotalNumSgprs: 0
; NumVgprs: 0
; ScratchSize: 0
; MemoryBound: 0
; FloatMode: 240
; IeeeMode: 1
; LDSByteSize: 0 bytes/workgroup (compile time only)
; SGPRBlocks: 0
; VGPRBlocks: 0
; NumSGPRsForWavesPerEU: 1
; NumVGPRsForWavesPerEU: 1
; Occupancy: 16
; WaveLimiterHint : 0
; COMPUTE_PGM_RSRC2:SCRATCH_EN: 0
; COMPUTE_PGM_RSRC2:USER_SGPR: 2
; COMPUTE_PGM_RSRC2:TRAP_HANDLER: 0
; COMPUTE_PGM_RSRC2:TGID_X_EN: 1
; COMPUTE_PGM_RSRC2:TGID_Y_EN: 0
; COMPUTE_PGM_RSRC2:TGID_Z_EN: 0
; COMPUTE_PGM_RSRC2:TIDIG_COMP_CNT: 0
	.section	.text._ZN7rocprim17ROCPRIM_400000_NS6detail17trampoline_kernelINS0_14default_configENS1_25partition_config_selectorILNS1_17partition_subalgoE6EfNS0_10empty_typeEbEEZZNS1_14partition_implILS5_6ELb0ES3_mN6thrust23THRUST_200600_302600_NS6detail15normal_iteratorINSA_10device_ptrIfEEEEPS6_SG_NS0_5tupleIJNSA_16discard_iteratorINSA_11use_defaultEEES6_EEENSH_IJSG_SG_EEES6_PlJNSB_9not_fun_tI7is_trueIfEEEEEE10hipError_tPvRmT3_T4_T5_T6_T7_T9_mT8_P12ihipStream_tbDpT10_ENKUlT_T0_E_clISt17integral_constantIbLb1EES1B_EEDaS16_S17_EUlS16_E_NS1_11comp_targetILNS1_3genE0ELNS1_11target_archE4294967295ELNS1_3gpuE0ELNS1_3repE0EEENS1_30default_config_static_selectorELNS0_4arch9wavefront6targetE0EEEvT1_,"axG",@progbits,_ZN7rocprim17ROCPRIM_400000_NS6detail17trampoline_kernelINS0_14default_configENS1_25partition_config_selectorILNS1_17partition_subalgoE6EfNS0_10empty_typeEbEEZZNS1_14partition_implILS5_6ELb0ES3_mN6thrust23THRUST_200600_302600_NS6detail15normal_iteratorINSA_10device_ptrIfEEEEPS6_SG_NS0_5tupleIJNSA_16discard_iteratorINSA_11use_defaultEEES6_EEENSH_IJSG_SG_EEES6_PlJNSB_9not_fun_tI7is_trueIfEEEEEE10hipError_tPvRmT3_T4_T5_T6_T7_T9_mT8_P12ihipStream_tbDpT10_ENKUlT_T0_E_clISt17integral_constantIbLb1EES1B_EEDaS16_S17_EUlS16_E_NS1_11comp_targetILNS1_3genE0ELNS1_11target_archE4294967295ELNS1_3gpuE0ELNS1_3repE0EEENS1_30default_config_static_selectorELNS0_4arch9wavefront6targetE0EEEvT1_,comdat
	.protected	_ZN7rocprim17ROCPRIM_400000_NS6detail17trampoline_kernelINS0_14default_configENS1_25partition_config_selectorILNS1_17partition_subalgoE6EfNS0_10empty_typeEbEEZZNS1_14partition_implILS5_6ELb0ES3_mN6thrust23THRUST_200600_302600_NS6detail15normal_iteratorINSA_10device_ptrIfEEEEPS6_SG_NS0_5tupleIJNSA_16discard_iteratorINSA_11use_defaultEEES6_EEENSH_IJSG_SG_EEES6_PlJNSB_9not_fun_tI7is_trueIfEEEEEE10hipError_tPvRmT3_T4_T5_T6_T7_T9_mT8_P12ihipStream_tbDpT10_ENKUlT_T0_E_clISt17integral_constantIbLb1EES1B_EEDaS16_S17_EUlS16_E_NS1_11comp_targetILNS1_3genE0ELNS1_11target_archE4294967295ELNS1_3gpuE0ELNS1_3repE0EEENS1_30default_config_static_selectorELNS0_4arch9wavefront6targetE0EEEvT1_ ; -- Begin function _ZN7rocprim17ROCPRIM_400000_NS6detail17trampoline_kernelINS0_14default_configENS1_25partition_config_selectorILNS1_17partition_subalgoE6EfNS0_10empty_typeEbEEZZNS1_14partition_implILS5_6ELb0ES3_mN6thrust23THRUST_200600_302600_NS6detail15normal_iteratorINSA_10device_ptrIfEEEEPS6_SG_NS0_5tupleIJNSA_16discard_iteratorINSA_11use_defaultEEES6_EEENSH_IJSG_SG_EEES6_PlJNSB_9not_fun_tI7is_trueIfEEEEEE10hipError_tPvRmT3_T4_T5_T6_T7_T9_mT8_P12ihipStream_tbDpT10_ENKUlT_T0_E_clISt17integral_constantIbLb1EES1B_EEDaS16_S17_EUlS16_E_NS1_11comp_targetILNS1_3genE0ELNS1_11target_archE4294967295ELNS1_3gpuE0ELNS1_3repE0EEENS1_30default_config_static_selectorELNS0_4arch9wavefront6targetE0EEEvT1_
	.globl	_ZN7rocprim17ROCPRIM_400000_NS6detail17trampoline_kernelINS0_14default_configENS1_25partition_config_selectorILNS1_17partition_subalgoE6EfNS0_10empty_typeEbEEZZNS1_14partition_implILS5_6ELb0ES3_mN6thrust23THRUST_200600_302600_NS6detail15normal_iteratorINSA_10device_ptrIfEEEEPS6_SG_NS0_5tupleIJNSA_16discard_iteratorINSA_11use_defaultEEES6_EEENSH_IJSG_SG_EEES6_PlJNSB_9not_fun_tI7is_trueIfEEEEEE10hipError_tPvRmT3_T4_T5_T6_T7_T9_mT8_P12ihipStream_tbDpT10_ENKUlT_T0_E_clISt17integral_constantIbLb1EES1B_EEDaS16_S17_EUlS16_E_NS1_11comp_targetILNS1_3genE0ELNS1_11target_archE4294967295ELNS1_3gpuE0ELNS1_3repE0EEENS1_30default_config_static_selectorELNS0_4arch9wavefront6targetE0EEEvT1_
	.p2align	8
	.type	_ZN7rocprim17ROCPRIM_400000_NS6detail17trampoline_kernelINS0_14default_configENS1_25partition_config_selectorILNS1_17partition_subalgoE6EfNS0_10empty_typeEbEEZZNS1_14partition_implILS5_6ELb0ES3_mN6thrust23THRUST_200600_302600_NS6detail15normal_iteratorINSA_10device_ptrIfEEEEPS6_SG_NS0_5tupleIJNSA_16discard_iteratorINSA_11use_defaultEEES6_EEENSH_IJSG_SG_EEES6_PlJNSB_9not_fun_tI7is_trueIfEEEEEE10hipError_tPvRmT3_T4_T5_T6_T7_T9_mT8_P12ihipStream_tbDpT10_ENKUlT_T0_E_clISt17integral_constantIbLb1EES1B_EEDaS16_S17_EUlS16_E_NS1_11comp_targetILNS1_3genE0ELNS1_11target_archE4294967295ELNS1_3gpuE0ELNS1_3repE0EEENS1_30default_config_static_selectorELNS0_4arch9wavefront6targetE0EEEvT1_,@function
_ZN7rocprim17ROCPRIM_400000_NS6detail17trampoline_kernelINS0_14default_configENS1_25partition_config_selectorILNS1_17partition_subalgoE6EfNS0_10empty_typeEbEEZZNS1_14partition_implILS5_6ELb0ES3_mN6thrust23THRUST_200600_302600_NS6detail15normal_iteratorINSA_10device_ptrIfEEEEPS6_SG_NS0_5tupleIJNSA_16discard_iteratorINSA_11use_defaultEEES6_EEENSH_IJSG_SG_EEES6_PlJNSB_9not_fun_tI7is_trueIfEEEEEE10hipError_tPvRmT3_T4_T5_T6_T7_T9_mT8_P12ihipStream_tbDpT10_ENKUlT_T0_E_clISt17integral_constantIbLb1EES1B_EEDaS16_S17_EUlS16_E_NS1_11comp_targetILNS1_3genE0ELNS1_11target_archE4294967295ELNS1_3gpuE0ELNS1_3repE0EEENS1_30default_config_static_selectorELNS0_4arch9wavefront6targetE0EEEvT1_: ; @_ZN7rocprim17ROCPRIM_400000_NS6detail17trampoline_kernelINS0_14default_configENS1_25partition_config_selectorILNS1_17partition_subalgoE6EfNS0_10empty_typeEbEEZZNS1_14partition_implILS5_6ELb0ES3_mN6thrust23THRUST_200600_302600_NS6detail15normal_iteratorINSA_10device_ptrIfEEEEPS6_SG_NS0_5tupleIJNSA_16discard_iteratorINSA_11use_defaultEEES6_EEENSH_IJSG_SG_EEES6_PlJNSB_9not_fun_tI7is_trueIfEEEEEE10hipError_tPvRmT3_T4_T5_T6_T7_T9_mT8_P12ihipStream_tbDpT10_ENKUlT_T0_E_clISt17integral_constantIbLb1EES1B_EEDaS16_S17_EUlS16_E_NS1_11comp_targetILNS1_3genE0ELNS1_11target_archE4294967295ELNS1_3gpuE0ELNS1_3repE0EEENS1_30default_config_static_selectorELNS0_4arch9wavefront6targetE0EEEvT1_
; %bb.0:
	.section	.rodata,"a",@progbits
	.p2align	6, 0x0
	.amdhsa_kernel _ZN7rocprim17ROCPRIM_400000_NS6detail17trampoline_kernelINS0_14default_configENS1_25partition_config_selectorILNS1_17partition_subalgoE6EfNS0_10empty_typeEbEEZZNS1_14partition_implILS5_6ELb0ES3_mN6thrust23THRUST_200600_302600_NS6detail15normal_iteratorINSA_10device_ptrIfEEEEPS6_SG_NS0_5tupleIJNSA_16discard_iteratorINSA_11use_defaultEEES6_EEENSH_IJSG_SG_EEES6_PlJNSB_9not_fun_tI7is_trueIfEEEEEE10hipError_tPvRmT3_T4_T5_T6_T7_T9_mT8_P12ihipStream_tbDpT10_ENKUlT_T0_E_clISt17integral_constantIbLb1EES1B_EEDaS16_S17_EUlS16_E_NS1_11comp_targetILNS1_3genE0ELNS1_11target_archE4294967295ELNS1_3gpuE0ELNS1_3repE0EEENS1_30default_config_static_selectorELNS0_4arch9wavefront6targetE0EEEvT1_
		.amdhsa_group_segment_fixed_size 0
		.amdhsa_private_segment_fixed_size 0
		.amdhsa_kernarg_size 136
		.amdhsa_user_sgpr_count 2
		.amdhsa_user_sgpr_dispatch_ptr 0
		.amdhsa_user_sgpr_queue_ptr 0
		.amdhsa_user_sgpr_kernarg_segment_ptr 1
		.amdhsa_user_sgpr_dispatch_id 0
		.amdhsa_user_sgpr_private_segment_size 0
		.amdhsa_wavefront_size32 1
		.amdhsa_uses_dynamic_stack 0
		.amdhsa_enable_private_segment 0
		.amdhsa_system_sgpr_workgroup_id_x 1
		.amdhsa_system_sgpr_workgroup_id_y 0
		.amdhsa_system_sgpr_workgroup_id_z 0
		.amdhsa_system_sgpr_workgroup_info 0
		.amdhsa_system_vgpr_workitem_id 0
		.amdhsa_next_free_vgpr 1
		.amdhsa_next_free_sgpr 1
		.amdhsa_reserve_vcc 0
		.amdhsa_float_round_mode_32 0
		.amdhsa_float_round_mode_16_64 0
		.amdhsa_float_denorm_mode_32 3
		.amdhsa_float_denorm_mode_16_64 3
		.amdhsa_fp16_overflow 0
		.amdhsa_workgroup_processor_mode 1
		.amdhsa_memory_ordered 1
		.amdhsa_forward_progress 1
		.amdhsa_inst_pref_size 0
		.amdhsa_round_robin_scheduling 0
		.amdhsa_exception_fp_ieee_invalid_op 0
		.amdhsa_exception_fp_denorm_src 0
		.amdhsa_exception_fp_ieee_div_zero 0
		.amdhsa_exception_fp_ieee_overflow 0
		.amdhsa_exception_fp_ieee_underflow 0
		.amdhsa_exception_fp_ieee_inexact 0
		.amdhsa_exception_int_div_zero 0
	.end_amdhsa_kernel
	.section	.text._ZN7rocprim17ROCPRIM_400000_NS6detail17trampoline_kernelINS0_14default_configENS1_25partition_config_selectorILNS1_17partition_subalgoE6EfNS0_10empty_typeEbEEZZNS1_14partition_implILS5_6ELb0ES3_mN6thrust23THRUST_200600_302600_NS6detail15normal_iteratorINSA_10device_ptrIfEEEEPS6_SG_NS0_5tupleIJNSA_16discard_iteratorINSA_11use_defaultEEES6_EEENSH_IJSG_SG_EEES6_PlJNSB_9not_fun_tI7is_trueIfEEEEEE10hipError_tPvRmT3_T4_T5_T6_T7_T9_mT8_P12ihipStream_tbDpT10_ENKUlT_T0_E_clISt17integral_constantIbLb1EES1B_EEDaS16_S17_EUlS16_E_NS1_11comp_targetILNS1_3genE0ELNS1_11target_archE4294967295ELNS1_3gpuE0ELNS1_3repE0EEENS1_30default_config_static_selectorELNS0_4arch9wavefront6targetE0EEEvT1_,"axG",@progbits,_ZN7rocprim17ROCPRIM_400000_NS6detail17trampoline_kernelINS0_14default_configENS1_25partition_config_selectorILNS1_17partition_subalgoE6EfNS0_10empty_typeEbEEZZNS1_14partition_implILS5_6ELb0ES3_mN6thrust23THRUST_200600_302600_NS6detail15normal_iteratorINSA_10device_ptrIfEEEEPS6_SG_NS0_5tupleIJNSA_16discard_iteratorINSA_11use_defaultEEES6_EEENSH_IJSG_SG_EEES6_PlJNSB_9not_fun_tI7is_trueIfEEEEEE10hipError_tPvRmT3_T4_T5_T6_T7_T9_mT8_P12ihipStream_tbDpT10_ENKUlT_T0_E_clISt17integral_constantIbLb1EES1B_EEDaS16_S17_EUlS16_E_NS1_11comp_targetILNS1_3genE0ELNS1_11target_archE4294967295ELNS1_3gpuE0ELNS1_3repE0EEENS1_30default_config_static_selectorELNS0_4arch9wavefront6targetE0EEEvT1_,comdat
.Lfunc_end2117:
	.size	_ZN7rocprim17ROCPRIM_400000_NS6detail17trampoline_kernelINS0_14default_configENS1_25partition_config_selectorILNS1_17partition_subalgoE6EfNS0_10empty_typeEbEEZZNS1_14partition_implILS5_6ELb0ES3_mN6thrust23THRUST_200600_302600_NS6detail15normal_iteratorINSA_10device_ptrIfEEEEPS6_SG_NS0_5tupleIJNSA_16discard_iteratorINSA_11use_defaultEEES6_EEENSH_IJSG_SG_EEES6_PlJNSB_9not_fun_tI7is_trueIfEEEEEE10hipError_tPvRmT3_T4_T5_T6_T7_T9_mT8_P12ihipStream_tbDpT10_ENKUlT_T0_E_clISt17integral_constantIbLb1EES1B_EEDaS16_S17_EUlS16_E_NS1_11comp_targetILNS1_3genE0ELNS1_11target_archE4294967295ELNS1_3gpuE0ELNS1_3repE0EEENS1_30default_config_static_selectorELNS0_4arch9wavefront6targetE0EEEvT1_, .Lfunc_end2117-_ZN7rocprim17ROCPRIM_400000_NS6detail17trampoline_kernelINS0_14default_configENS1_25partition_config_selectorILNS1_17partition_subalgoE6EfNS0_10empty_typeEbEEZZNS1_14partition_implILS5_6ELb0ES3_mN6thrust23THRUST_200600_302600_NS6detail15normal_iteratorINSA_10device_ptrIfEEEEPS6_SG_NS0_5tupleIJNSA_16discard_iteratorINSA_11use_defaultEEES6_EEENSH_IJSG_SG_EEES6_PlJNSB_9not_fun_tI7is_trueIfEEEEEE10hipError_tPvRmT3_T4_T5_T6_T7_T9_mT8_P12ihipStream_tbDpT10_ENKUlT_T0_E_clISt17integral_constantIbLb1EES1B_EEDaS16_S17_EUlS16_E_NS1_11comp_targetILNS1_3genE0ELNS1_11target_archE4294967295ELNS1_3gpuE0ELNS1_3repE0EEENS1_30default_config_static_selectorELNS0_4arch9wavefront6targetE0EEEvT1_
                                        ; -- End function
	.set _ZN7rocprim17ROCPRIM_400000_NS6detail17trampoline_kernelINS0_14default_configENS1_25partition_config_selectorILNS1_17partition_subalgoE6EfNS0_10empty_typeEbEEZZNS1_14partition_implILS5_6ELb0ES3_mN6thrust23THRUST_200600_302600_NS6detail15normal_iteratorINSA_10device_ptrIfEEEEPS6_SG_NS0_5tupleIJNSA_16discard_iteratorINSA_11use_defaultEEES6_EEENSH_IJSG_SG_EEES6_PlJNSB_9not_fun_tI7is_trueIfEEEEEE10hipError_tPvRmT3_T4_T5_T6_T7_T9_mT8_P12ihipStream_tbDpT10_ENKUlT_T0_E_clISt17integral_constantIbLb1EES1B_EEDaS16_S17_EUlS16_E_NS1_11comp_targetILNS1_3genE0ELNS1_11target_archE4294967295ELNS1_3gpuE0ELNS1_3repE0EEENS1_30default_config_static_selectorELNS0_4arch9wavefront6targetE0EEEvT1_.num_vgpr, 0
	.set _ZN7rocprim17ROCPRIM_400000_NS6detail17trampoline_kernelINS0_14default_configENS1_25partition_config_selectorILNS1_17partition_subalgoE6EfNS0_10empty_typeEbEEZZNS1_14partition_implILS5_6ELb0ES3_mN6thrust23THRUST_200600_302600_NS6detail15normal_iteratorINSA_10device_ptrIfEEEEPS6_SG_NS0_5tupleIJNSA_16discard_iteratorINSA_11use_defaultEEES6_EEENSH_IJSG_SG_EEES6_PlJNSB_9not_fun_tI7is_trueIfEEEEEE10hipError_tPvRmT3_T4_T5_T6_T7_T9_mT8_P12ihipStream_tbDpT10_ENKUlT_T0_E_clISt17integral_constantIbLb1EES1B_EEDaS16_S17_EUlS16_E_NS1_11comp_targetILNS1_3genE0ELNS1_11target_archE4294967295ELNS1_3gpuE0ELNS1_3repE0EEENS1_30default_config_static_selectorELNS0_4arch9wavefront6targetE0EEEvT1_.num_agpr, 0
	.set _ZN7rocprim17ROCPRIM_400000_NS6detail17trampoline_kernelINS0_14default_configENS1_25partition_config_selectorILNS1_17partition_subalgoE6EfNS0_10empty_typeEbEEZZNS1_14partition_implILS5_6ELb0ES3_mN6thrust23THRUST_200600_302600_NS6detail15normal_iteratorINSA_10device_ptrIfEEEEPS6_SG_NS0_5tupleIJNSA_16discard_iteratorINSA_11use_defaultEEES6_EEENSH_IJSG_SG_EEES6_PlJNSB_9not_fun_tI7is_trueIfEEEEEE10hipError_tPvRmT3_T4_T5_T6_T7_T9_mT8_P12ihipStream_tbDpT10_ENKUlT_T0_E_clISt17integral_constantIbLb1EES1B_EEDaS16_S17_EUlS16_E_NS1_11comp_targetILNS1_3genE0ELNS1_11target_archE4294967295ELNS1_3gpuE0ELNS1_3repE0EEENS1_30default_config_static_selectorELNS0_4arch9wavefront6targetE0EEEvT1_.numbered_sgpr, 0
	.set _ZN7rocprim17ROCPRIM_400000_NS6detail17trampoline_kernelINS0_14default_configENS1_25partition_config_selectorILNS1_17partition_subalgoE6EfNS0_10empty_typeEbEEZZNS1_14partition_implILS5_6ELb0ES3_mN6thrust23THRUST_200600_302600_NS6detail15normal_iteratorINSA_10device_ptrIfEEEEPS6_SG_NS0_5tupleIJNSA_16discard_iteratorINSA_11use_defaultEEES6_EEENSH_IJSG_SG_EEES6_PlJNSB_9not_fun_tI7is_trueIfEEEEEE10hipError_tPvRmT3_T4_T5_T6_T7_T9_mT8_P12ihipStream_tbDpT10_ENKUlT_T0_E_clISt17integral_constantIbLb1EES1B_EEDaS16_S17_EUlS16_E_NS1_11comp_targetILNS1_3genE0ELNS1_11target_archE4294967295ELNS1_3gpuE0ELNS1_3repE0EEENS1_30default_config_static_selectorELNS0_4arch9wavefront6targetE0EEEvT1_.num_named_barrier, 0
	.set _ZN7rocprim17ROCPRIM_400000_NS6detail17trampoline_kernelINS0_14default_configENS1_25partition_config_selectorILNS1_17partition_subalgoE6EfNS0_10empty_typeEbEEZZNS1_14partition_implILS5_6ELb0ES3_mN6thrust23THRUST_200600_302600_NS6detail15normal_iteratorINSA_10device_ptrIfEEEEPS6_SG_NS0_5tupleIJNSA_16discard_iteratorINSA_11use_defaultEEES6_EEENSH_IJSG_SG_EEES6_PlJNSB_9not_fun_tI7is_trueIfEEEEEE10hipError_tPvRmT3_T4_T5_T6_T7_T9_mT8_P12ihipStream_tbDpT10_ENKUlT_T0_E_clISt17integral_constantIbLb1EES1B_EEDaS16_S17_EUlS16_E_NS1_11comp_targetILNS1_3genE0ELNS1_11target_archE4294967295ELNS1_3gpuE0ELNS1_3repE0EEENS1_30default_config_static_selectorELNS0_4arch9wavefront6targetE0EEEvT1_.private_seg_size, 0
	.set _ZN7rocprim17ROCPRIM_400000_NS6detail17trampoline_kernelINS0_14default_configENS1_25partition_config_selectorILNS1_17partition_subalgoE6EfNS0_10empty_typeEbEEZZNS1_14partition_implILS5_6ELb0ES3_mN6thrust23THRUST_200600_302600_NS6detail15normal_iteratorINSA_10device_ptrIfEEEEPS6_SG_NS0_5tupleIJNSA_16discard_iteratorINSA_11use_defaultEEES6_EEENSH_IJSG_SG_EEES6_PlJNSB_9not_fun_tI7is_trueIfEEEEEE10hipError_tPvRmT3_T4_T5_T6_T7_T9_mT8_P12ihipStream_tbDpT10_ENKUlT_T0_E_clISt17integral_constantIbLb1EES1B_EEDaS16_S17_EUlS16_E_NS1_11comp_targetILNS1_3genE0ELNS1_11target_archE4294967295ELNS1_3gpuE0ELNS1_3repE0EEENS1_30default_config_static_selectorELNS0_4arch9wavefront6targetE0EEEvT1_.uses_vcc, 0
	.set _ZN7rocprim17ROCPRIM_400000_NS6detail17trampoline_kernelINS0_14default_configENS1_25partition_config_selectorILNS1_17partition_subalgoE6EfNS0_10empty_typeEbEEZZNS1_14partition_implILS5_6ELb0ES3_mN6thrust23THRUST_200600_302600_NS6detail15normal_iteratorINSA_10device_ptrIfEEEEPS6_SG_NS0_5tupleIJNSA_16discard_iteratorINSA_11use_defaultEEES6_EEENSH_IJSG_SG_EEES6_PlJNSB_9not_fun_tI7is_trueIfEEEEEE10hipError_tPvRmT3_T4_T5_T6_T7_T9_mT8_P12ihipStream_tbDpT10_ENKUlT_T0_E_clISt17integral_constantIbLb1EES1B_EEDaS16_S17_EUlS16_E_NS1_11comp_targetILNS1_3genE0ELNS1_11target_archE4294967295ELNS1_3gpuE0ELNS1_3repE0EEENS1_30default_config_static_selectorELNS0_4arch9wavefront6targetE0EEEvT1_.uses_flat_scratch, 0
	.set _ZN7rocprim17ROCPRIM_400000_NS6detail17trampoline_kernelINS0_14default_configENS1_25partition_config_selectorILNS1_17partition_subalgoE6EfNS0_10empty_typeEbEEZZNS1_14partition_implILS5_6ELb0ES3_mN6thrust23THRUST_200600_302600_NS6detail15normal_iteratorINSA_10device_ptrIfEEEEPS6_SG_NS0_5tupleIJNSA_16discard_iteratorINSA_11use_defaultEEES6_EEENSH_IJSG_SG_EEES6_PlJNSB_9not_fun_tI7is_trueIfEEEEEE10hipError_tPvRmT3_T4_T5_T6_T7_T9_mT8_P12ihipStream_tbDpT10_ENKUlT_T0_E_clISt17integral_constantIbLb1EES1B_EEDaS16_S17_EUlS16_E_NS1_11comp_targetILNS1_3genE0ELNS1_11target_archE4294967295ELNS1_3gpuE0ELNS1_3repE0EEENS1_30default_config_static_selectorELNS0_4arch9wavefront6targetE0EEEvT1_.has_dyn_sized_stack, 0
	.set _ZN7rocprim17ROCPRIM_400000_NS6detail17trampoline_kernelINS0_14default_configENS1_25partition_config_selectorILNS1_17partition_subalgoE6EfNS0_10empty_typeEbEEZZNS1_14partition_implILS5_6ELb0ES3_mN6thrust23THRUST_200600_302600_NS6detail15normal_iteratorINSA_10device_ptrIfEEEEPS6_SG_NS0_5tupleIJNSA_16discard_iteratorINSA_11use_defaultEEES6_EEENSH_IJSG_SG_EEES6_PlJNSB_9not_fun_tI7is_trueIfEEEEEE10hipError_tPvRmT3_T4_T5_T6_T7_T9_mT8_P12ihipStream_tbDpT10_ENKUlT_T0_E_clISt17integral_constantIbLb1EES1B_EEDaS16_S17_EUlS16_E_NS1_11comp_targetILNS1_3genE0ELNS1_11target_archE4294967295ELNS1_3gpuE0ELNS1_3repE0EEENS1_30default_config_static_selectorELNS0_4arch9wavefront6targetE0EEEvT1_.has_recursion, 0
	.set _ZN7rocprim17ROCPRIM_400000_NS6detail17trampoline_kernelINS0_14default_configENS1_25partition_config_selectorILNS1_17partition_subalgoE6EfNS0_10empty_typeEbEEZZNS1_14partition_implILS5_6ELb0ES3_mN6thrust23THRUST_200600_302600_NS6detail15normal_iteratorINSA_10device_ptrIfEEEEPS6_SG_NS0_5tupleIJNSA_16discard_iteratorINSA_11use_defaultEEES6_EEENSH_IJSG_SG_EEES6_PlJNSB_9not_fun_tI7is_trueIfEEEEEE10hipError_tPvRmT3_T4_T5_T6_T7_T9_mT8_P12ihipStream_tbDpT10_ENKUlT_T0_E_clISt17integral_constantIbLb1EES1B_EEDaS16_S17_EUlS16_E_NS1_11comp_targetILNS1_3genE0ELNS1_11target_archE4294967295ELNS1_3gpuE0ELNS1_3repE0EEENS1_30default_config_static_selectorELNS0_4arch9wavefront6targetE0EEEvT1_.has_indirect_call, 0
	.section	.AMDGPU.csdata,"",@progbits
; Kernel info:
; codeLenInByte = 0
; TotalNumSgprs: 0
; NumVgprs: 0
; ScratchSize: 0
; MemoryBound: 0
; FloatMode: 240
; IeeeMode: 1
; LDSByteSize: 0 bytes/workgroup (compile time only)
; SGPRBlocks: 0
; VGPRBlocks: 0
; NumSGPRsForWavesPerEU: 1
; NumVGPRsForWavesPerEU: 1
; Occupancy: 16
; WaveLimiterHint : 0
; COMPUTE_PGM_RSRC2:SCRATCH_EN: 0
; COMPUTE_PGM_RSRC2:USER_SGPR: 2
; COMPUTE_PGM_RSRC2:TRAP_HANDLER: 0
; COMPUTE_PGM_RSRC2:TGID_X_EN: 1
; COMPUTE_PGM_RSRC2:TGID_Y_EN: 0
; COMPUTE_PGM_RSRC2:TGID_Z_EN: 0
; COMPUTE_PGM_RSRC2:TIDIG_COMP_CNT: 0
	.section	.text._ZN7rocprim17ROCPRIM_400000_NS6detail17trampoline_kernelINS0_14default_configENS1_25partition_config_selectorILNS1_17partition_subalgoE6EfNS0_10empty_typeEbEEZZNS1_14partition_implILS5_6ELb0ES3_mN6thrust23THRUST_200600_302600_NS6detail15normal_iteratorINSA_10device_ptrIfEEEEPS6_SG_NS0_5tupleIJNSA_16discard_iteratorINSA_11use_defaultEEES6_EEENSH_IJSG_SG_EEES6_PlJNSB_9not_fun_tI7is_trueIfEEEEEE10hipError_tPvRmT3_T4_T5_T6_T7_T9_mT8_P12ihipStream_tbDpT10_ENKUlT_T0_E_clISt17integral_constantIbLb1EES1B_EEDaS16_S17_EUlS16_E_NS1_11comp_targetILNS1_3genE5ELNS1_11target_archE942ELNS1_3gpuE9ELNS1_3repE0EEENS1_30default_config_static_selectorELNS0_4arch9wavefront6targetE0EEEvT1_,"axG",@progbits,_ZN7rocprim17ROCPRIM_400000_NS6detail17trampoline_kernelINS0_14default_configENS1_25partition_config_selectorILNS1_17partition_subalgoE6EfNS0_10empty_typeEbEEZZNS1_14partition_implILS5_6ELb0ES3_mN6thrust23THRUST_200600_302600_NS6detail15normal_iteratorINSA_10device_ptrIfEEEEPS6_SG_NS0_5tupleIJNSA_16discard_iteratorINSA_11use_defaultEEES6_EEENSH_IJSG_SG_EEES6_PlJNSB_9not_fun_tI7is_trueIfEEEEEE10hipError_tPvRmT3_T4_T5_T6_T7_T9_mT8_P12ihipStream_tbDpT10_ENKUlT_T0_E_clISt17integral_constantIbLb1EES1B_EEDaS16_S17_EUlS16_E_NS1_11comp_targetILNS1_3genE5ELNS1_11target_archE942ELNS1_3gpuE9ELNS1_3repE0EEENS1_30default_config_static_selectorELNS0_4arch9wavefront6targetE0EEEvT1_,comdat
	.protected	_ZN7rocprim17ROCPRIM_400000_NS6detail17trampoline_kernelINS0_14default_configENS1_25partition_config_selectorILNS1_17partition_subalgoE6EfNS0_10empty_typeEbEEZZNS1_14partition_implILS5_6ELb0ES3_mN6thrust23THRUST_200600_302600_NS6detail15normal_iteratorINSA_10device_ptrIfEEEEPS6_SG_NS0_5tupleIJNSA_16discard_iteratorINSA_11use_defaultEEES6_EEENSH_IJSG_SG_EEES6_PlJNSB_9not_fun_tI7is_trueIfEEEEEE10hipError_tPvRmT3_T4_T5_T6_T7_T9_mT8_P12ihipStream_tbDpT10_ENKUlT_T0_E_clISt17integral_constantIbLb1EES1B_EEDaS16_S17_EUlS16_E_NS1_11comp_targetILNS1_3genE5ELNS1_11target_archE942ELNS1_3gpuE9ELNS1_3repE0EEENS1_30default_config_static_selectorELNS0_4arch9wavefront6targetE0EEEvT1_ ; -- Begin function _ZN7rocprim17ROCPRIM_400000_NS6detail17trampoline_kernelINS0_14default_configENS1_25partition_config_selectorILNS1_17partition_subalgoE6EfNS0_10empty_typeEbEEZZNS1_14partition_implILS5_6ELb0ES3_mN6thrust23THRUST_200600_302600_NS6detail15normal_iteratorINSA_10device_ptrIfEEEEPS6_SG_NS0_5tupleIJNSA_16discard_iteratorINSA_11use_defaultEEES6_EEENSH_IJSG_SG_EEES6_PlJNSB_9not_fun_tI7is_trueIfEEEEEE10hipError_tPvRmT3_T4_T5_T6_T7_T9_mT8_P12ihipStream_tbDpT10_ENKUlT_T0_E_clISt17integral_constantIbLb1EES1B_EEDaS16_S17_EUlS16_E_NS1_11comp_targetILNS1_3genE5ELNS1_11target_archE942ELNS1_3gpuE9ELNS1_3repE0EEENS1_30default_config_static_selectorELNS0_4arch9wavefront6targetE0EEEvT1_
	.globl	_ZN7rocprim17ROCPRIM_400000_NS6detail17trampoline_kernelINS0_14default_configENS1_25partition_config_selectorILNS1_17partition_subalgoE6EfNS0_10empty_typeEbEEZZNS1_14partition_implILS5_6ELb0ES3_mN6thrust23THRUST_200600_302600_NS6detail15normal_iteratorINSA_10device_ptrIfEEEEPS6_SG_NS0_5tupleIJNSA_16discard_iteratorINSA_11use_defaultEEES6_EEENSH_IJSG_SG_EEES6_PlJNSB_9not_fun_tI7is_trueIfEEEEEE10hipError_tPvRmT3_T4_T5_T6_T7_T9_mT8_P12ihipStream_tbDpT10_ENKUlT_T0_E_clISt17integral_constantIbLb1EES1B_EEDaS16_S17_EUlS16_E_NS1_11comp_targetILNS1_3genE5ELNS1_11target_archE942ELNS1_3gpuE9ELNS1_3repE0EEENS1_30default_config_static_selectorELNS0_4arch9wavefront6targetE0EEEvT1_
	.p2align	8
	.type	_ZN7rocprim17ROCPRIM_400000_NS6detail17trampoline_kernelINS0_14default_configENS1_25partition_config_selectorILNS1_17partition_subalgoE6EfNS0_10empty_typeEbEEZZNS1_14partition_implILS5_6ELb0ES3_mN6thrust23THRUST_200600_302600_NS6detail15normal_iteratorINSA_10device_ptrIfEEEEPS6_SG_NS0_5tupleIJNSA_16discard_iteratorINSA_11use_defaultEEES6_EEENSH_IJSG_SG_EEES6_PlJNSB_9not_fun_tI7is_trueIfEEEEEE10hipError_tPvRmT3_T4_T5_T6_T7_T9_mT8_P12ihipStream_tbDpT10_ENKUlT_T0_E_clISt17integral_constantIbLb1EES1B_EEDaS16_S17_EUlS16_E_NS1_11comp_targetILNS1_3genE5ELNS1_11target_archE942ELNS1_3gpuE9ELNS1_3repE0EEENS1_30default_config_static_selectorELNS0_4arch9wavefront6targetE0EEEvT1_,@function
_ZN7rocprim17ROCPRIM_400000_NS6detail17trampoline_kernelINS0_14default_configENS1_25partition_config_selectorILNS1_17partition_subalgoE6EfNS0_10empty_typeEbEEZZNS1_14partition_implILS5_6ELb0ES3_mN6thrust23THRUST_200600_302600_NS6detail15normal_iteratorINSA_10device_ptrIfEEEEPS6_SG_NS0_5tupleIJNSA_16discard_iteratorINSA_11use_defaultEEES6_EEENSH_IJSG_SG_EEES6_PlJNSB_9not_fun_tI7is_trueIfEEEEEE10hipError_tPvRmT3_T4_T5_T6_T7_T9_mT8_P12ihipStream_tbDpT10_ENKUlT_T0_E_clISt17integral_constantIbLb1EES1B_EEDaS16_S17_EUlS16_E_NS1_11comp_targetILNS1_3genE5ELNS1_11target_archE942ELNS1_3gpuE9ELNS1_3repE0EEENS1_30default_config_static_selectorELNS0_4arch9wavefront6targetE0EEEvT1_: ; @_ZN7rocprim17ROCPRIM_400000_NS6detail17trampoline_kernelINS0_14default_configENS1_25partition_config_selectorILNS1_17partition_subalgoE6EfNS0_10empty_typeEbEEZZNS1_14partition_implILS5_6ELb0ES3_mN6thrust23THRUST_200600_302600_NS6detail15normal_iteratorINSA_10device_ptrIfEEEEPS6_SG_NS0_5tupleIJNSA_16discard_iteratorINSA_11use_defaultEEES6_EEENSH_IJSG_SG_EEES6_PlJNSB_9not_fun_tI7is_trueIfEEEEEE10hipError_tPvRmT3_T4_T5_T6_T7_T9_mT8_P12ihipStream_tbDpT10_ENKUlT_T0_E_clISt17integral_constantIbLb1EES1B_EEDaS16_S17_EUlS16_E_NS1_11comp_targetILNS1_3genE5ELNS1_11target_archE942ELNS1_3gpuE9ELNS1_3repE0EEENS1_30default_config_static_selectorELNS0_4arch9wavefront6targetE0EEEvT1_
; %bb.0:
	.section	.rodata,"a",@progbits
	.p2align	6, 0x0
	.amdhsa_kernel _ZN7rocprim17ROCPRIM_400000_NS6detail17trampoline_kernelINS0_14default_configENS1_25partition_config_selectorILNS1_17partition_subalgoE6EfNS0_10empty_typeEbEEZZNS1_14partition_implILS5_6ELb0ES3_mN6thrust23THRUST_200600_302600_NS6detail15normal_iteratorINSA_10device_ptrIfEEEEPS6_SG_NS0_5tupleIJNSA_16discard_iteratorINSA_11use_defaultEEES6_EEENSH_IJSG_SG_EEES6_PlJNSB_9not_fun_tI7is_trueIfEEEEEE10hipError_tPvRmT3_T4_T5_T6_T7_T9_mT8_P12ihipStream_tbDpT10_ENKUlT_T0_E_clISt17integral_constantIbLb1EES1B_EEDaS16_S17_EUlS16_E_NS1_11comp_targetILNS1_3genE5ELNS1_11target_archE942ELNS1_3gpuE9ELNS1_3repE0EEENS1_30default_config_static_selectorELNS0_4arch9wavefront6targetE0EEEvT1_
		.amdhsa_group_segment_fixed_size 0
		.amdhsa_private_segment_fixed_size 0
		.amdhsa_kernarg_size 136
		.amdhsa_user_sgpr_count 2
		.amdhsa_user_sgpr_dispatch_ptr 0
		.amdhsa_user_sgpr_queue_ptr 0
		.amdhsa_user_sgpr_kernarg_segment_ptr 1
		.amdhsa_user_sgpr_dispatch_id 0
		.amdhsa_user_sgpr_private_segment_size 0
		.amdhsa_wavefront_size32 1
		.amdhsa_uses_dynamic_stack 0
		.amdhsa_enable_private_segment 0
		.amdhsa_system_sgpr_workgroup_id_x 1
		.amdhsa_system_sgpr_workgroup_id_y 0
		.amdhsa_system_sgpr_workgroup_id_z 0
		.amdhsa_system_sgpr_workgroup_info 0
		.amdhsa_system_vgpr_workitem_id 0
		.amdhsa_next_free_vgpr 1
		.amdhsa_next_free_sgpr 1
		.amdhsa_reserve_vcc 0
		.amdhsa_float_round_mode_32 0
		.amdhsa_float_round_mode_16_64 0
		.amdhsa_float_denorm_mode_32 3
		.amdhsa_float_denorm_mode_16_64 3
		.amdhsa_fp16_overflow 0
		.amdhsa_workgroup_processor_mode 1
		.amdhsa_memory_ordered 1
		.amdhsa_forward_progress 1
		.amdhsa_inst_pref_size 0
		.amdhsa_round_robin_scheduling 0
		.amdhsa_exception_fp_ieee_invalid_op 0
		.amdhsa_exception_fp_denorm_src 0
		.amdhsa_exception_fp_ieee_div_zero 0
		.amdhsa_exception_fp_ieee_overflow 0
		.amdhsa_exception_fp_ieee_underflow 0
		.amdhsa_exception_fp_ieee_inexact 0
		.amdhsa_exception_int_div_zero 0
	.end_amdhsa_kernel
	.section	.text._ZN7rocprim17ROCPRIM_400000_NS6detail17trampoline_kernelINS0_14default_configENS1_25partition_config_selectorILNS1_17partition_subalgoE6EfNS0_10empty_typeEbEEZZNS1_14partition_implILS5_6ELb0ES3_mN6thrust23THRUST_200600_302600_NS6detail15normal_iteratorINSA_10device_ptrIfEEEEPS6_SG_NS0_5tupleIJNSA_16discard_iteratorINSA_11use_defaultEEES6_EEENSH_IJSG_SG_EEES6_PlJNSB_9not_fun_tI7is_trueIfEEEEEE10hipError_tPvRmT3_T4_T5_T6_T7_T9_mT8_P12ihipStream_tbDpT10_ENKUlT_T0_E_clISt17integral_constantIbLb1EES1B_EEDaS16_S17_EUlS16_E_NS1_11comp_targetILNS1_3genE5ELNS1_11target_archE942ELNS1_3gpuE9ELNS1_3repE0EEENS1_30default_config_static_selectorELNS0_4arch9wavefront6targetE0EEEvT1_,"axG",@progbits,_ZN7rocprim17ROCPRIM_400000_NS6detail17trampoline_kernelINS0_14default_configENS1_25partition_config_selectorILNS1_17partition_subalgoE6EfNS0_10empty_typeEbEEZZNS1_14partition_implILS5_6ELb0ES3_mN6thrust23THRUST_200600_302600_NS6detail15normal_iteratorINSA_10device_ptrIfEEEEPS6_SG_NS0_5tupleIJNSA_16discard_iteratorINSA_11use_defaultEEES6_EEENSH_IJSG_SG_EEES6_PlJNSB_9not_fun_tI7is_trueIfEEEEEE10hipError_tPvRmT3_T4_T5_T6_T7_T9_mT8_P12ihipStream_tbDpT10_ENKUlT_T0_E_clISt17integral_constantIbLb1EES1B_EEDaS16_S17_EUlS16_E_NS1_11comp_targetILNS1_3genE5ELNS1_11target_archE942ELNS1_3gpuE9ELNS1_3repE0EEENS1_30default_config_static_selectorELNS0_4arch9wavefront6targetE0EEEvT1_,comdat
.Lfunc_end2118:
	.size	_ZN7rocprim17ROCPRIM_400000_NS6detail17trampoline_kernelINS0_14default_configENS1_25partition_config_selectorILNS1_17partition_subalgoE6EfNS0_10empty_typeEbEEZZNS1_14partition_implILS5_6ELb0ES3_mN6thrust23THRUST_200600_302600_NS6detail15normal_iteratorINSA_10device_ptrIfEEEEPS6_SG_NS0_5tupleIJNSA_16discard_iteratorINSA_11use_defaultEEES6_EEENSH_IJSG_SG_EEES6_PlJNSB_9not_fun_tI7is_trueIfEEEEEE10hipError_tPvRmT3_T4_T5_T6_T7_T9_mT8_P12ihipStream_tbDpT10_ENKUlT_T0_E_clISt17integral_constantIbLb1EES1B_EEDaS16_S17_EUlS16_E_NS1_11comp_targetILNS1_3genE5ELNS1_11target_archE942ELNS1_3gpuE9ELNS1_3repE0EEENS1_30default_config_static_selectorELNS0_4arch9wavefront6targetE0EEEvT1_, .Lfunc_end2118-_ZN7rocprim17ROCPRIM_400000_NS6detail17trampoline_kernelINS0_14default_configENS1_25partition_config_selectorILNS1_17partition_subalgoE6EfNS0_10empty_typeEbEEZZNS1_14partition_implILS5_6ELb0ES3_mN6thrust23THRUST_200600_302600_NS6detail15normal_iteratorINSA_10device_ptrIfEEEEPS6_SG_NS0_5tupleIJNSA_16discard_iteratorINSA_11use_defaultEEES6_EEENSH_IJSG_SG_EEES6_PlJNSB_9not_fun_tI7is_trueIfEEEEEE10hipError_tPvRmT3_T4_T5_T6_T7_T9_mT8_P12ihipStream_tbDpT10_ENKUlT_T0_E_clISt17integral_constantIbLb1EES1B_EEDaS16_S17_EUlS16_E_NS1_11comp_targetILNS1_3genE5ELNS1_11target_archE942ELNS1_3gpuE9ELNS1_3repE0EEENS1_30default_config_static_selectorELNS0_4arch9wavefront6targetE0EEEvT1_
                                        ; -- End function
	.set _ZN7rocprim17ROCPRIM_400000_NS6detail17trampoline_kernelINS0_14default_configENS1_25partition_config_selectorILNS1_17partition_subalgoE6EfNS0_10empty_typeEbEEZZNS1_14partition_implILS5_6ELb0ES3_mN6thrust23THRUST_200600_302600_NS6detail15normal_iteratorINSA_10device_ptrIfEEEEPS6_SG_NS0_5tupleIJNSA_16discard_iteratorINSA_11use_defaultEEES6_EEENSH_IJSG_SG_EEES6_PlJNSB_9not_fun_tI7is_trueIfEEEEEE10hipError_tPvRmT3_T4_T5_T6_T7_T9_mT8_P12ihipStream_tbDpT10_ENKUlT_T0_E_clISt17integral_constantIbLb1EES1B_EEDaS16_S17_EUlS16_E_NS1_11comp_targetILNS1_3genE5ELNS1_11target_archE942ELNS1_3gpuE9ELNS1_3repE0EEENS1_30default_config_static_selectorELNS0_4arch9wavefront6targetE0EEEvT1_.num_vgpr, 0
	.set _ZN7rocprim17ROCPRIM_400000_NS6detail17trampoline_kernelINS0_14default_configENS1_25partition_config_selectorILNS1_17partition_subalgoE6EfNS0_10empty_typeEbEEZZNS1_14partition_implILS5_6ELb0ES3_mN6thrust23THRUST_200600_302600_NS6detail15normal_iteratorINSA_10device_ptrIfEEEEPS6_SG_NS0_5tupleIJNSA_16discard_iteratorINSA_11use_defaultEEES6_EEENSH_IJSG_SG_EEES6_PlJNSB_9not_fun_tI7is_trueIfEEEEEE10hipError_tPvRmT3_T4_T5_T6_T7_T9_mT8_P12ihipStream_tbDpT10_ENKUlT_T0_E_clISt17integral_constantIbLb1EES1B_EEDaS16_S17_EUlS16_E_NS1_11comp_targetILNS1_3genE5ELNS1_11target_archE942ELNS1_3gpuE9ELNS1_3repE0EEENS1_30default_config_static_selectorELNS0_4arch9wavefront6targetE0EEEvT1_.num_agpr, 0
	.set _ZN7rocprim17ROCPRIM_400000_NS6detail17trampoline_kernelINS0_14default_configENS1_25partition_config_selectorILNS1_17partition_subalgoE6EfNS0_10empty_typeEbEEZZNS1_14partition_implILS5_6ELb0ES3_mN6thrust23THRUST_200600_302600_NS6detail15normal_iteratorINSA_10device_ptrIfEEEEPS6_SG_NS0_5tupleIJNSA_16discard_iteratorINSA_11use_defaultEEES6_EEENSH_IJSG_SG_EEES6_PlJNSB_9not_fun_tI7is_trueIfEEEEEE10hipError_tPvRmT3_T4_T5_T6_T7_T9_mT8_P12ihipStream_tbDpT10_ENKUlT_T0_E_clISt17integral_constantIbLb1EES1B_EEDaS16_S17_EUlS16_E_NS1_11comp_targetILNS1_3genE5ELNS1_11target_archE942ELNS1_3gpuE9ELNS1_3repE0EEENS1_30default_config_static_selectorELNS0_4arch9wavefront6targetE0EEEvT1_.numbered_sgpr, 0
	.set _ZN7rocprim17ROCPRIM_400000_NS6detail17trampoline_kernelINS0_14default_configENS1_25partition_config_selectorILNS1_17partition_subalgoE6EfNS0_10empty_typeEbEEZZNS1_14partition_implILS5_6ELb0ES3_mN6thrust23THRUST_200600_302600_NS6detail15normal_iteratorINSA_10device_ptrIfEEEEPS6_SG_NS0_5tupleIJNSA_16discard_iteratorINSA_11use_defaultEEES6_EEENSH_IJSG_SG_EEES6_PlJNSB_9not_fun_tI7is_trueIfEEEEEE10hipError_tPvRmT3_T4_T5_T6_T7_T9_mT8_P12ihipStream_tbDpT10_ENKUlT_T0_E_clISt17integral_constantIbLb1EES1B_EEDaS16_S17_EUlS16_E_NS1_11comp_targetILNS1_3genE5ELNS1_11target_archE942ELNS1_3gpuE9ELNS1_3repE0EEENS1_30default_config_static_selectorELNS0_4arch9wavefront6targetE0EEEvT1_.num_named_barrier, 0
	.set _ZN7rocprim17ROCPRIM_400000_NS6detail17trampoline_kernelINS0_14default_configENS1_25partition_config_selectorILNS1_17partition_subalgoE6EfNS0_10empty_typeEbEEZZNS1_14partition_implILS5_6ELb0ES3_mN6thrust23THRUST_200600_302600_NS6detail15normal_iteratorINSA_10device_ptrIfEEEEPS6_SG_NS0_5tupleIJNSA_16discard_iteratorINSA_11use_defaultEEES6_EEENSH_IJSG_SG_EEES6_PlJNSB_9not_fun_tI7is_trueIfEEEEEE10hipError_tPvRmT3_T4_T5_T6_T7_T9_mT8_P12ihipStream_tbDpT10_ENKUlT_T0_E_clISt17integral_constantIbLb1EES1B_EEDaS16_S17_EUlS16_E_NS1_11comp_targetILNS1_3genE5ELNS1_11target_archE942ELNS1_3gpuE9ELNS1_3repE0EEENS1_30default_config_static_selectorELNS0_4arch9wavefront6targetE0EEEvT1_.private_seg_size, 0
	.set _ZN7rocprim17ROCPRIM_400000_NS6detail17trampoline_kernelINS0_14default_configENS1_25partition_config_selectorILNS1_17partition_subalgoE6EfNS0_10empty_typeEbEEZZNS1_14partition_implILS5_6ELb0ES3_mN6thrust23THRUST_200600_302600_NS6detail15normal_iteratorINSA_10device_ptrIfEEEEPS6_SG_NS0_5tupleIJNSA_16discard_iteratorINSA_11use_defaultEEES6_EEENSH_IJSG_SG_EEES6_PlJNSB_9not_fun_tI7is_trueIfEEEEEE10hipError_tPvRmT3_T4_T5_T6_T7_T9_mT8_P12ihipStream_tbDpT10_ENKUlT_T0_E_clISt17integral_constantIbLb1EES1B_EEDaS16_S17_EUlS16_E_NS1_11comp_targetILNS1_3genE5ELNS1_11target_archE942ELNS1_3gpuE9ELNS1_3repE0EEENS1_30default_config_static_selectorELNS0_4arch9wavefront6targetE0EEEvT1_.uses_vcc, 0
	.set _ZN7rocprim17ROCPRIM_400000_NS6detail17trampoline_kernelINS0_14default_configENS1_25partition_config_selectorILNS1_17partition_subalgoE6EfNS0_10empty_typeEbEEZZNS1_14partition_implILS5_6ELb0ES3_mN6thrust23THRUST_200600_302600_NS6detail15normal_iteratorINSA_10device_ptrIfEEEEPS6_SG_NS0_5tupleIJNSA_16discard_iteratorINSA_11use_defaultEEES6_EEENSH_IJSG_SG_EEES6_PlJNSB_9not_fun_tI7is_trueIfEEEEEE10hipError_tPvRmT3_T4_T5_T6_T7_T9_mT8_P12ihipStream_tbDpT10_ENKUlT_T0_E_clISt17integral_constantIbLb1EES1B_EEDaS16_S17_EUlS16_E_NS1_11comp_targetILNS1_3genE5ELNS1_11target_archE942ELNS1_3gpuE9ELNS1_3repE0EEENS1_30default_config_static_selectorELNS0_4arch9wavefront6targetE0EEEvT1_.uses_flat_scratch, 0
	.set _ZN7rocprim17ROCPRIM_400000_NS6detail17trampoline_kernelINS0_14default_configENS1_25partition_config_selectorILNS1_17partition_subalgoE6EfNS0_10empty_typeEbEEZZNS1_14partition_implILS5_6ELb0ES3_mN6thrust23THRUST_200600_302600_NS6detail15normal_iteratorINSA_10device_ptrIfEEEEPS6_SG_NS0_5tupleIJNSA_16discard_iteratorINSA_11use_defaultEEES6_EEENSH_IJSG_SG_EEES6_PlJNSB_9not_fun_tI7is_trueIfEEEEEE10hipError_tPvRmT3_T4_T5_T6_T7_T9_mT8_P12ihipStream_tbDpT10_ENKUlT_T0_E_clISt17integral_constantIbLb1EES1B_EEDaS16_S17_EUlS16_E_NS1_11comp_targetILNS1_3genE5ELNS1_11target_archE942ELNS1_3gpuE9ELNS1_3repE0EEENS1_30default_config_static_selectorELNS0_4arch9wavefront6targetE0EEEvT1_.has_dyn_sized_stack, 0
	.set _ZN7rocprim17ROCPRIM_400000_NS6detail17trampoline_kernelINS0_14default_configENS1_25partition_config_selectorILNS1_17partition_subalgoE6EfNS0_10empty_typeEbEEZZNS1_14partition_implILS5_6ELb0ES3_mN6thrust23THRUST_200600_302600_NS6detail15normal_iteratorINSA_10device_ptrIfEEEEPS6_SG_NS0_5tupleIJNSA_16discard_iteratorINSA_11use_defaultEEES6_EEENSH_IJSG_SG_EEES6_PlJNSB_9not_fun_tI7is_trueIfEEEEEE10hipError_tPvRmT3_T4_T5_T6_T7_T9_mT8_P12ihipStream_tbDpT10_ENKUlT_T0_E_clISt17integral_constantIbLb1EES1B_EEDaS16_S17_EUlS16_E_NS1_11comp_targetILNS1_3genE5ELNS1_11target_archE942ELNS1_3gpuE9ELNS1_3repE0EEENS1_30default_config_static_selectorELNS0_4arch9wavefront6targetE0EEEvT1_.has_recursion, 0
	.set _ZN7rocprim17ROCPRIM_400000_NS6detail17trampoline_kernelINS0_14default_configENS1_25partition_config_selectorILNS1_17partition_subalgoE6EfNS0_10empty_typeEbEEZZNS1_14partition_implILS5_6ELb0ES3_mN6thrust23THRUST_200600_302600_NS6detail15normal_iteratorINSA_10device_ptrIfEEEEPS6_SG_NS0_5tupleIJNSA_16discard_iteratorINSA_11use_defaultEEES6_EEENSH_IJSG_SG_EEES6_PlJNSB_9not_fun_tI7is_trueIfEEEEEE10hipError_tPvRmT3_T4_T5_T6_T7_T9_mT8_P12ihipStream_tbDpT10_ENKUlT_T0_E_clISt17integral_constantIbLb1EES1B_EEDaS16_S17_EUlS16_E_NS1_11comp_targetILNS1_3genE5ELNS1_11target_archE942ELNS1_3gpuE9ELNS1_3repE0EEENS1_30default_config_static_selectorELNS0_4arch9wavefront6targetE0EEEvT1_.has_indirect_call, 0
	.section	.AMDGPU.csdata,"",@progbits
; Kernel info:
; codeLenInByte = 0
; TotalNumSgprs: 0
; NumVgprs: 0
; ScratchSize: 0
; MemoryBound: 0
; FloatMode: 240
; IeeeMode: 1
; LDSByteSize: 0 bytes/workgroup (compile time only)
; SGPRBlocks: 0
; VGPRBlocks: 0
; NumSGPRsForWavesPerEU: 1
; NumVGPRsForWavesPerEU: 1
; Occupancy: 16
; WaveLimiterHint : 0
; COMPUTE_PGM_RSRC2:SCRATCH_EN: 0
; COMPUTE_PGM_RSRC2:USER_SGPR: 2
; COMPUTE_PGM_RSRC2:TRAP_HANDLER: 0
; COMPUTE_PGM_RSRC2:TGID_X_EN: 1
; COMPUTE_PGM_RSRC2:TGID_Y_EN: 0
; COMPUTE_PGM_RSRC2:TGID_Z_EN: 0
; COMPUTE_PGM_RSRC2:TIDIG_COMP_CNT: 0
	.section	.text._ZN7rocprim17ROCPRIM_400000_NS6detail17trampoline_kernelINS0_14default_configENS1_25partition_config_selectorILNS1_17partition_subalgoE6EfNS0_10empty_typeEbEEZZNS1_14partition_implILS5_6ELb0ES3_mN6thrust23THRUST_200600_302600_NS6detail15normal_iteratorINSA_10device_ptrIfEEEEPS6_SG_NS0_5tupleIJNSA_16discard_iteratorINSA_11use_defaultEEES6_EEENSH_IJSG_SG_EEES6_PlJNSB_9not_fun_tI7is_trueIfEEEEEE10hipError_tPvRmT3_T4_T5_T6_T7_T9_mT8_P12ihipStream_tbDpT10_ENKUlT_T0_E_clISt17integral_constantIbLb1EES1B_EEDaS16_S17_EUlS16_E_NS1_11comp_targetILNS1_3genE4ELNS1_11target_archE910ELNS1_3gpuE8ELNS1_3repE0EEENS1_30default_config_static_selectorELNS0_4arch9wavefront6targetE0EEEvT1_,"axG",@progbits,_ZN7rocprim17ROCPRIM_400000_NS6detail17trampoline_kernelINS0_14default_configENS1_25partition_config_selectorILNS1_17partition_subalgoE6EfNS0_10empty_typeEbEEZZNS1_14partition_implILS5_6ELb0ES3_mN6thrust23THRUST_200600_302600_NS6detail15normal_iteratorINSA_10device_ptrIfEEEEPS6_SG_NS0_5tupleIJNSA_16discard_iteratorINSA_11use_defaultEEES6_EEENSH_IJSG_SG_EEES6_PlJNSB_9not_fun_tI7is_trueIfEEEEEE10hipError_tPvRmT3_T4_T5_T6_T7_T9_mT8_P12ihipStream_tbDpT10_ENKUlT_T0_E_clISt17integral_constantIbLb1EES1B_EEDaS16_S17_EUlS16_E_NS1_11comp_targetILNS1_3genE4ELNS1_11target_archE910ELNS1_3gpuE8ELNS1_3repE0EEENS1_30default_config_static_selectorELNS0_4arch9wavefront6targetE0EEEvT1_,comdat
	.protected	_ZN7rocprim17ROCPRIM_400000_NS6detail17trampoline_kernelINS0_14default_configENS1_25partition_config_selectorILNS1_17partition_subalgoE6EfNS0_10empty_typeEbEEZZNS1_14partition_implILS5_6ELb0ES3_mN6thrust23THRUST_200600_302600_NS6detail15normal_iteratorINSA_10device_ptrIfEEEEPS6_SG_NS0_5tupleIJNSA_16discard_iteratorINSA_11use_defaultEEES6_EEENSH_IJSG_SG_EEES6_PlJNSB_9not_fun_tI7is_trueIfEEEEEE10hipError_tPvRmT3_T4_T5_T6_T7_T9_mT8_P12ihipStream_tbDpT10_ENKUlT_T0_E_clISt17integral_constantIbLb1EES1B_EEDaS16_S17_EUlS16_E_NS1_11comp_targetILNS1_3genE4ELNS1_11target_archE910ELNS1_3gpuE8ELNS1_3repE0EEENS1_30default_config_static_selectorELNS0_4arch9wavefront6targetE0EEEvT1_ ; -- Begin function _ZN7rocprim17ROCPRIM_400000_NS6detail17trampoline_kernelINS0_14default_configENS1_25partition_config_selectorILNS1_17partition_subalgoE6EfNS0_10empty_typeEbEEZZNS1_14partition_implILS5_6ELb0ES3_mN6thrust23THRUST_200600_302600_NS6detail15normal_iteratorINSA_10device_ptrIfEEEEPS6_SG_NS0_5tupleIJNSA_16discard_iteratorINSA_11use_defaultEEES6_EEENSH_IJSG_SG_EEES6_PlJNSB_9not_fun_tI7is_trueIfEEEEEE10hipError_tPvRmT3_T4_T5_T6_T7_T9_mT8_P12ihipStream_tbDpT10_ENKUlT_T0_E_clISt17integral_constantIbLb1EES1B_EEDaS16_S17_EUlS16_E_NS1_11comp_targetILNS1_3genE4ELNS1_11target_archE910ELNS1_3gpuE8ELNS1_3repE0EEENS1_30default_config_static_selectorELNS0_4arch9wavefront6targetE0EEEvT1_
	.globl	_ZN7rocprim17ROCPRIM_400000_NS6detail17trampoline_kernelINS0_14default_configENS1_25partition_config_selectorILNS1_17partition_subalgoE6EfNS0_10empty_typeEbEEZZNS1_14partition_implILS5_6ELb0ES3_mN6thrust23THRUST_200600_302600_NS6detail15normal_iteratorINSA_10device_ptrIfEEEEPS6_SG_NS0_5tupleIJNSA_16discard_iteratorINSA_11use_defaultEEES6_EEENSH_IJSG_SG_EEES6_PlJNSB_9not_fun_tI7is_trueIfEEEEEE10hipError_tPvRmT3_T4_T5_T6_T7_T9_mT8_P12ihipStream_tbDpT10_ENKUlT_T0_E_clISt17integral_constantIbLb1EES1B_EEDaS16_S17_EUlS16_E_NS1_11comp_targetILNS1_3genE4ELNS1_11target_archE910ELNS1_3gpuE8ELNS1_3repE0EEENS1_30default_config_static_selectorELNS0_4arch9wavefront6targetE0EEEvT1_
	.p2align	8
	.type	_ZN7rocprim17ROCPRIM_400000_NS6detail17trampoline_kernelINS0_14default_configENS1_25partition_config_selectorILNS1_17partition_subalgoE6EfNS0_10empty_typeEbEEZZNS1_14partition_implILS5_6ELb0ES3_mN6thrust23THRUST_200600_302600_NS6detail15normal_iteratorINSA_10device_ptrIfEEEEPS6_SG_NS0_5tupleIJNSA_16discard_iteratorINSA_11use_defaultEEES6_EEENSH_IJSG_SG_EEES6_PlJNSB_9not_fun_tI7is_trueIfEEEEEE10hipError_tPvRmT3_T4_T5_T6_T7_T9_mT8_P12ihipStream_tbDpT10_ENKUlT_T0_E_clISt17integral_constantIbLb1EES1B_EEDaS16_S17_EUlS16_E_NS1_11comp_targetILNS1_3genE4ELNS1_11target_archE910ELNS1_3gpuE8ELNS1_3repE0EEENS1_30default_config_static_selectorELNS0_4arch9wavefront6targetE0EEEvT1_,@function
_ZN7rocprim17ROCPRIM_400000_NS6detail17trampoline_kernelINS0_14default_configENS1_25partition_config_selectorILNS1_17partition_subalgoE6EfNS0_10empty_typeEbEEZZNS1_14partition_implILS5_6ELb0ES3_mN6thrust23THRUST_200600_302600_NS6detail15normal_iteratorINSA_10device_ptrIfEEEEPS6_SG_NS0_5tupleIJNSA_16discard_iteratorINSA_11use_defaultEEES6_EEENSH_IJSG_SG_EEES6_PlJNSB_9not_fun_tI7is_trueIfEEEEEE10hipError_tPvRmT3_T4_T5_T6_T7_T9_mT8_P12ihipStream_tbDpT10_ENKUlT_T0_E_clISt17integral_constantIbLb1EES1B_EEDaS16_S17_EUlS16_E_NS1_11comp_targetILNS1_3genE4ELNS1_11target_archE910ELNS1_3gpuE8ELNS1_3repE0EEENS1_30default_config_static_selectorELNS0_4arch9wavefront6targetE0EEEvT1_: ; @_ZN7rocprim17ROCPRIM_400000_NS6detail17trampoline_kernelINS0_14default_configENS1_25partition_config_selectorILNS1_17partition_subalgoE6EfNS0_10empty_typeEbEEZZNS1_14partition_implILS5_6ELb0ES3_mN6thrust23THRUST_200600_302600_NS6detail15normal_iteratorINSA_10device_ptrIfEEEEPS6_SG_NS0_5tupleIJNSA_16discard_iteratorINSA_11use_defaultEEES6_EEENSH_IJSG_SG_EEES6_PlJNSB_9not_fun_tI7is_trueIfEEEEEE10hipError_tPvRmT3_T4_T5_T6_T7_T9_mT8_P12ihipStream_tbDpT10_ENKUlT_T0_E_clISt17integral_constantIbLb1EES1B_EEDaS16_S17_EUlS16_E_NS1_11comp_targetILNS1_3genE4ELNS1_11target_archE910ELNS1_3gpuE8ELNS1_3repE0EEENS1_30default_config_static_selectorELNS0_4arch9wavefront6targetE0EEEvT1_
; %bb.0:
	.section	.rodata,"a",@progbits
	.p2align	6, 0x0
	.amdhsa_kernel _ZN7rocprim17ROCPRIM_400000_NS6detail17trampoline_kernelINS0_14default_configENS1_25partition_config_selectorILNS1_17partition_subalgoE6EfNS0_10empty_typeEbEEZZNS1_14partition_implILS5_6ELb0ES3_mN6thrust23THRUST_200600_302600_NS6detail15normal_iteratorINSA_10device_ptrIfEEEEPS6_SG_NS0_5tupleIJNSA_16discard_iteratorINSA_11use_defaultEEES6_EEENSH_IJSG_SG_EEES6_PlJNSB_9not_fun_tI7is_trueIfEEEEEE10hipError_tPvRmT3_T4_T5_T6_T7_T9_mT8_P12ihipStream_tbDpT10_ENKUlT_T0_E_clISt17integral_constantIbLb1EES1B_EEDaS16_S17_EUlS16_E_NS1_11comp_targetILNS1_3genE4ELNS1_11target_archE910ELNS1_3gpuE8ELNS1_3repE0EEENS1_30default_config_static_selectorELNS0_4arch9wavefront6targetE0EEEvT1_
		.amdhsa_group_segment_fixed_size 0
		.amdhsa_private_segment_fixed_size 0
		.amdhsa_kernarg_size 136
		.amdhsa_user_sgpr_count 2
		.amdhsa_user_sgpr_dispatch_ptr 0
		.amdhsa_user_sgpr_queue_ptr 0
		.amdhsa_user_sgpr_kernarg_segment_ptr 1
		.amdhsa_user_sgpr_dispatch_id 0
		.amdhsa_user_sgpr_private_segment_size 0
		.amdhsa_wavefront_size32 1
		.amdhsa_uses_dynamic_stack 0
		.amdhsa_enable_private_segment 0
		.amdhsa_system_sgpr_workgroup_id_x 1
		.amdhsa_system_sgpr_workgroup_id_y 0
		.amdhsa_system_sgpr_workgroup_id_z 0
		.amdhsa_system_sgpr_workgroup_info 0
		.amdhsa_system_vgpr_workitem_id 0
		.amdhsa_next_free_vgpr 1
		.amdhsa_next_free_sgpr 1
		.amdhsa_reserve_vcc 0
		.amdhsa_float_round_mode_32 0
		.amdhsa_float_round_mode_16_64 0
		.amdhsa_float_denorm_mode_32 3
		.amdhsa_float_denorm_mode_16_64 3
		.amdhsa_fp16_overflow 0
		.amdhsa_workgroup_processor_mode 1
		.amdhsa_memory_ordered 1
		.amdhsa_forward_progress 1
		.amdhsa_inst_pref_size 0
		.amdhsa_round_robin_scheduling 0
		.amdhsa_exception_fp_ieee_invalid_op 0
		.amdhsa_exception_fp_denorm_src 0
		.amdhsa_exception_fp_ieee_div_zero 0
		.amdhsa_exception_fp_ieee_overflow 0
		.amdhsa_exception_fp_ieee_underflow 0
		.amdhsa_exception_fp_ieee_inexact 0
		.amdhsa_exception_int_div_zero 0
	.end_amdhsa_kernel
	.section	.text._ZN7rocprim17ROCPRIM_400000_NS6detail17trampoline_kernelINS0_14default_configENS1_25partition_config_selectorILNS1_17partition_subalgoE6EfNS0_10empty_typeEbEEZZNS1_14partition_implILS5_6ELb0ES3_mN6thrust23THRUST_200600_302600_NS6detail15normal_iteratorINSA_10device_ptrIfEEEEPS6_SG_NS0_5tupleIJNSA_16discard_iteratorINSA_11use_defaultEEES6_EEENSH_IJSG_SG_EEES6_PlJNSB_9not_fun_tI7is_trueIfEEEEEE10hipError_tPvRmT3_T4_T5_T6_T7_T9_mT8_P12ihipStream_tbDpT10_ENKUlT_T0_E_clISt17integral_constantIbLb1EES1B_EEDaS16_S17_EUlS16_E_NS1_11comp_targetILNS1_3genE4ELNS1_11target_archE910ELNS1_3gpuE8ELNS1_3repE0EEENS1_30default_config_static_selectorELNS0_4arch9wavefront6targetE0EEEvT1_,"axG",@progbits,_ZN7rocprim17ROCPRIM_400000_NS6detail17trampoline_kernelINS0_14default_configENS1_25partition_config_selectorILNS1_17partition_subalgoE6EfNS0_10empty_typeEbEEZZNS1_14partition_implILS5_6ELb0ES3_mN6thrust23THRUST_200600_302600_NS6detail15normal_iteratorINSA_10device_ptrIfEEEEPS6_SG_NS0_5tupleIJNSA_16discard_iteratorINSA_11use_defaultEEES6_EEENSH_IJSG_SG_EEES6_PlJNSB_9not_fun_tI7is_trueIfEEEEEE10hipError_tPvRmT3_T4_T5_T6_T7_T9_mT8_P12ihipStream_tbDpT10_ENKUlT_T0_E_clISt17integral_constantIbLb1EES1B_EEDaS16_S17_EUlS16_E_NS1_11comp_targetILNS1_3genE4ELNS1_11target_archE910ELNS1_3gpuE8ELNS1_3repE0EEENS1_30default_config_static_selectorELNS0_4arch9wavefront6targetE0EEEvT1_,comdat
.Lfunc_end2119:
	.size	_ZN7rocprim17ROCPRIM_400000_NS6detail17trampoline_kernelINS0_14default_configENS1_25partition_config_selectorILNS1_17partition_subalgoE6EfNS0_10empty_typeEbEEZZNS1_14partition_implILS5_6ELb0ES3_mN6thrust23THRUST_200600_302600_NS6detail15normal_iteratorINSA_10device_ptrIfEEEEPS6_SG_NS0_5tupleIJNSA_16discard_iteratorINSA_11use_defaultEEES6_EEENSH_IJSG_SG_EEES6_PlJNSB_9not_fun_tI7is_trueIfEEEEEE10hipError_tPvRmT3_T4_T5_T6_T7_T9_mT8_P12ihipStream_tbDpT10_ENKUlT_T0_E_clISt17integral_constantIbLb1EES1B_EEDaS16_S17_EUlS16_E_NS1_11comp_targetILNS1_3genE4ELNS1_11target_archE910ELNS1_3gpuE8ELNS1_3repE0EEENS1_30default_config_static_selectorELNS0_4arch9wavefront6targetE0EEEvT1_, .Lfunc_end2119-_ZN7rocprim17ROCPRIM_400000_NS6detail17trampoline_kernelINS0_14default_configENS1_25partition_config_selectorILNS1_17partition_subalgoE6EfNS0_10empty_typeEbEEZZNS1_14partition_implILS5_6ELb0ES3_mN6thrust23THRUST_200600_302600_NS6detail15normal_iteratorINSA_10device_ptrIfEEEEPS6_SG_NS0_5tupleIJNSA_16discard_iteratorINSA_11use_defaultEEES6_EEENSH_IJSG_SG_EEES6_PlJNSB_9not_fun_tI7is_trueIfEEEEEE10hipError_tPvRmT3_T4_T5_T6_T7_T9_mT8_P12ihipStream_tbDpT10_ENKUlT_T0_E_clISt17integral_constantIbLb1EES1B_EEDaS16_S17_EUlS16_E_NS1_11comp_targetILNS1_3genE4ELNS1_11target_archE910ELNS1_3gpuE8ELNS1_3repE0EEENS1_30default_config_static_selectorELNS0_4arch9wavefront6targetE0EEEvT1_
                                        ; -- End function
	.set _ZN7rocprim17ROCPRIM_400000_NS6detail17trampoline_kernelINS0_14default_configENS1_25partition_config_selectorILNS1_17partition_subalgoE6EfNS0_10empty_typeEbEEZZNS1_14partition_implILS5_6ELb0ES3_mN6thrust23THRUST_200600_302600_NS6detail15normal_iteratorINSA_10device_ptrIfEEEEPS6_SG_NS0_5tupleIJNSA_16discard_iteratorINSA_11use_defaultEEES6_EEENSH_IJSG_SG_EEES6_PlJNSB_9not_fun_tI7is_trueIfEEEEEE10hipError_tPvRmT3_T4_T5_T6_T7_T9_mT8_P12ihipStream_tbDpT10_ENKUlT_T0_E_clISt17integral_constantIbLb1EES1B_EEDaS16_S17_EUlS16_E_NS1_11comp_targetILNS1_3genE4ELNS1_11target_archE910ELNS1_3gpuE8ELNS1_3repE0EEENS1_30default_config_static_selectorELNS0_4arch9wavefront6targetE0EEEvT1_.num_vgpr, 0
	.set _ZN7rocprim17ROCPRIM_400000_NS6detail17trampoline_kernelINS0_14default_configENS1_25partition_config_selectorILNS1_17partition_subalgoE6EfNS0_10empty_typeEbEEZZNS1_14partition_implILS5_6ELb0ES3_mN6thrust23THRUST_200600_302600_NS6detail15normal_iteratorINSA_10device_ptrIfEEEEPS6_SG_NS0_5tupleIJNSA_16discard_iteratorINSA_11use_defaultEEES6_EEENSH_IJSG_SG_EEES6_PlJNSB_9not_fun_tI7is_trueIfEEEEEE10hipError_tPvRmT3_T4_T5_T6_T7_T9_mT8_P12ihipStream_tbDpT10_ENKUlT_T0_E_clISt17integral_constantIbLb1EES1B_EEDaS16_S17_EUlS16_E_NS1_11comp_targetILNS1_3genE4ELNS1_11target_archE910ELNS1_3gpuE8ELNS1_3repE0EEENS1_30default_config_static_selectorELNS0_4arch9wavefront6targetE0EEEvT1_.num_agpr, 0
	.set _ZN7rocprim17ROCPRIM_400000_NS6detail17trampoline_kernelINS0_14default_configENS1_25partition_config_selectorILNS1_17partition_subalgoE6EfNS0_10empty_typeEbEEZZNS1_14partition_implILS5_6ELb0ES3_mN6thrust23THRUST_200600_302600_NS6detail15normal_iteratorINSA_10device_ptrIfEEEEPS6_SG_NS0_5tupleIJNSA_16discard_iteratorINSA_11use_defaultEEES6_EEENSH_IJSG_SG_EEES6_PlJNSB_9not_fun_tI7is_trueIfEEEEEE10hipError_tPvRmT3_T4_T5_T6_T7_T9_mT8_P12ihipStream_tbDpT10_ENKUlT_T0_E_clISt17integral_constantIbLb1EES1B_EEDaS16_S17_EUlS16_E_NS1_11comp_targetILNS1_3genE4ELNS1_11target_archE910ELNS1_3gpuE8ELNS1_3repE0EEENS1_30default_config_static_selectorELNS0_4arch9wavefront6targetE0EEEvT1_.numbered_sgpr, 0
	.set _ZN7rocprim17ROCPRIM_400000_NS6detail17trampoline_kernelINS0_14default_configENS1_25partition_config_selectorILNS1_17partition_subalgoE6EfNS0_10empty_typeEbEEZZNS1_14partition_implILS5_6ELb0ES3_mN6thrust23THRUST_200600_302600_NS6detail15normal_iteratorINSA_10device_ptrIfEEEEPS6_SG_NS0_5tupleIJNSA_16discard_iteratorINSA_11use_defaultEEES6_EEENSH_IJSG_SG_EEES6_PlJNSB_9not_fun_tI7is_trueIfEEEEEE10hipError_tPvRmT3_T4_T5_T6_T7_T9_mT8_P12ihipStream_tbDpT10_ENKUlT_T0_E_clISt17integral_constantIbLb1EES1B_EEDaS16_S17_EUlS16_E_NS1_11comp_targetILNS1_3genE4ELNS1_11target_archE910ELNS1_3gpuE8ELNS1_3repE0EEENS1_30default_config_static_selectorELNS0_4arch9wavefront6targetE0EEEvT1_.num_named_barrier, 0
	.set _ZN7rocprim17ROCPRIM_400000_NS6detail17trampoline_kernelINS0_14default_configENS1_25partition_config_selectorILNS1_17partition_subalgoE6EfNS0_10empty_typeEbEEZZNS1_14partition_implILS5_6ELb0ES3_mN6thrust23THRUST_200600_302600_NS6detail15normal_iteratorINSA_10device_ptrIfEEEEPS6_SG_NS0_5tupleIJNSA_16discard_iteratorINSA_11use_defaultEEES6_EEENSH_IJSG_SG_EEES6_PlJNSB_9not_fun_tI7is_trueIfEEEEEE10hipError_tPvRmT3_T4_T5_T6_T7_T9_mT8_P12ihipStream_tbDpT10_ENKUlT_T0_E_clISt17integral_constantIbLb1EES1B_EEDaS16_S17_EUlS16_E_NS1_11comp_targetILNS1_3genE4ELNS1_11target_archE910ELNS1_3gpuE8ELNS1_3repE0EEENS1_30default_config_static_selectorELNS0_4arch9wavefront6targetE0EEEvT1_.private_seg_size, 0
	.set _ZN7rocprim17ROCPRIM_400000_NS6detail17trampoline_kernelINS0_14default_configENS1_25partition_config_selectorILNS1_17partition_subalgoE6EfNS0_10empty_typeEbEEZZNS1_14partition_implILS5_6ELb0ES3_mN6thrust23THRUST_200600_302600_NS6detail15normal_iteratorINSA_10device_ptrIfEEEEPS6_SG_NS0_5tupleIJNSA_16discard_iteratorINSA_11use_defaultEEES6_EEENSH_IJSG_SG_EEES6_PlJNSB_9not_fun_tI7is_trueIfEEEEEE10hipError_tPvRmT3_T4_T5_T6_T7_T9_mT8_P12ihipStream_tbDpT10_ENKUlT_T0_E_clISt17integral_constantIbLb1EES1B_EEDaS16_S17_EUlS16_E_NS1_11comp_targetILNS1_3genE4ELNS1_11target_archE910ELNS1_3gpuE8ELNS1_3repE0EEENS1_30default_config_static_selectorELNS0_4arch9wavefront6targetE0EEEvT1_.uses_vcc, 0
	.set _ZN7rocprim17ROCPRIM_400000_NS6detail17trampoline_kernelINS0_14default_configENS1_25partition_config_selectorILNS1_17partition_subalgoE6EfNS0_10empty_typeEbEEZZNS1_14partition_implILS5_6ELb0ES3_mN6thrust23THRUST_200600_302600_NS6detail15normal_iteratorINSA_10device_ptrIfEEEEPS6_SG_NS0_5tupleIJNSA_16discard_iteratorINSA_11use_defaultEEES6_EEENSH_IJSG_SG_EEES6_PlJNSB_9not_fun_tI7is_trueIfEEEEEE10hipError_tPvRmT3_T4_T5_T6_T7_T9_mT8_P12ihipStream_tbDpT10_ENKUlT_T0_E_clISt17integral_constantIbLb1EES1B_EEDaS16_S17_EUlS16_E_NS1_11comp_targetILNS1_3genE4ELNS1_11target_archE910ELNS1_3gpuE8ELNS1_3repE0EEENS1_30default_config_static_selectorELNS0_4arch9wavefront6targetE0EEEvT1_.uses_flat_scratch, 0
	.set _ZN7rocprim17ROCPRIM_400000_NS6detail17trampoline_kernelINS0_14default_configENS1_25partition_config_selectorILNS1_17partition_subalgoE6EfNS0_10empty_typeEbEEZZNS1_14partition_implILS5_6ELb0ES3_mN6thrust23THRUST_200600_302600_NS6detail15normal_iteratorINSA_10device_ptrIfEEEEPS6_SG_NS0_5tupleIJNSA_16discard_iteratorINSA_11use_defaultEEES6_EEENSH_IJSG_SG_EEES6_PlJNSB_9not_fun_tI7is_trueIfEEEEEE10hipError_tPvRmT3_T4_T5_T6_T7_T9_mT8_P12ihipStream_tbDpT10_ENKUlT_T0_E_clISt17integral_constantIbLb1EES1B_EEDaS16_S17_EUlS16_E_NS1_11comp_targetILNS1_3genE4ELNS1_11target_archE910ELNS1_3gpuE8ELNS1_3repE0EEENS1_30default_config_static_selectorELNS0_4arch9wavefront6targetE0EEEvT1_.has_dyn_sized_stack, 0
	.set _ZN7rocprim17ROCPRIM_400000_NS6detail17trampoline_kernelINS0_14default_configENS1_25partition_config_selectorILNS1_17partition_subalgoE6EfNS0_10empty_typeEbEEZZNS1_14partition_implILS5_6ELb0ES3_mN6thrust23THRUST_200600_302600_NS6detail15normal_iteratorINSA_10device_ptrIfEEEEPS6_SG_NS0_5tupleIJNSA_16discard_iteratorINSA_11use_defaultEEES6_EEENSH_IJSG_SG_EEES6_PlJNSB_9not_fun_tI7is_trueIfEEEEEE10hipError_tPvRmT3_T4_T5_T6_T7_T9_mT8_P12ihipStream_tbDpT10_ENKUlT_T0_E_clISt17integral_constantIbLb1EES1B_EEDaS16_S17_EUlS16_E_NS1_11comp_targetILNS1_3genE4ELNS1_11target_archE910ELNS1_3gpuE8ELNS1_3repE0EEENS1_30default_config_static_selectorELNS0_4arch9wavefront6targetE0EEEvT1_.has_recursion, 0
	.set _ZN7rocprim17ROCPRIM_400000_NS6detail17trampoline_kernelINS0_14default_configENS1_25partition_config_selectorILNS1_17partition_subalgoE6EfNS0_10empty_typeEbEEZZNS1_14partition_implILS5_6ELb0ES3_mN6thrust23THRUST_200600_302600_NS6detail15normal_iteratorINSA_10device_ptrIfEEEEPS6_SG_NS0_5tupleIJNSA_16discard_iteratorINSA_11use_defaultEEES6_EEENSH_IJSG_SG_EEES6_PlJNSB_9not_fun_tI7is_trueIfEEEEEE10hipError_tPvRmT3_T4_T5_T6_T7_T9_mT8_P12ihipStream_tbDpT10_ENKUlT_T0_E_clISt17integral_constantIbLb1EES1B_EEDaS16_S17_EUlS16_E_NS1_11comp_targetILNS1_3genE4ELNS1_11target_archE910ELNS1_3gpuE8ELNS1_3repE0EEENS1_30default_config_static_selectorELNS0_4arch9wavefront6targetE0EEEvT1_.has_indirect_call, 0
	.section	.AMDGPU.csdata,"",@progbits
; Kernel info:
; codeLenInByte = 0
; TotalNumSgprs: 0
; NumVgprs: 0
; ScratchSize: 0
; MemoryBound: 0
; FloatMode: 240
; IeeeMode: 1
; LDSByteSize: 0 bytes/workgroup (compile time only)
; SGPRBlocks: 0
; VGPRBlocks: 0
; NumSGPRsForWavesPerEU: 1
; NumVGPRsForWavesPerEU: 1
; Occupancy: 16
; WaveLimiterHint : 0
; COMPUTE_PGM_RSRC2:SCRATCH_EN: 0
; COMPUTE_PGM_RSRC2:USER_SGPR: 2
; COMPUTE_PGM_RSRC2:TRAP_HANDLER: 0
; COMPUTE_PGM_RSRC2:TGID_X_EN: 1
; COMPUTE_PGM_RSRC2:TGID_Y_EN: 0
; COMPUTE_PGM_RSRC2:TGID_Z_EN: 0
; COMPUTE_PGM_RSRC2:TIDIG_COMP_CNT: 0
	.section	.text._ZN7rocprim17ROCPRIM_400000_NS6detail17trampoline_kernelINS0_14default_configENS1_25partition_config_selectorILNS1_17partition_subalgoE6EfNS0_10empty_typeEbEEZZNS1_14partition_implILS5_6ELb0ES3_mN6thrust23THRUST_200600_302600_NS6detail15normal_iteratorINSA_10device_ptrIfEEEEPS6_SG_NS0_5tupleIJNSA_16discard_iteratorINSA_11use_defaultEEES6_EEENSH_IJSG_SG_EEES6_PlJNSB_9not_fun_tI7is_trueIfEEEEEE10hipError_tPvRmT3_T4_T5_T6_T7_T9_mT8_P12ihipStream_tbDpT10_ENKUlT_T0_E_clISt17integral_constantIbLb1EES1B_EEDaS16_S17_EUlS16_E_NS1_11comp_targetILNS1_3genE3ELNS1_11target_archE908ELNS1_3gpuE7ELNS1_3repE0EEENS1_30default_config_static_selectorELNS0_4arch9wavefront6targetE0EEEvT1_,"axG",@progbits,_ZN7rocprim17ROCPRIM_400000_NS6detail17trampoline_kernelINS0_14default_configENS1_25partition_config_selectorILNS1_17partition_subalgoE6EfNS0_10empty_typeEbEEZZNS1_14partition_implILS5_6ELb0ES3_mN6thrust23THRUST_200600_302600_NS6detail15normal_iteratorINSA_10device_ptrIfEEEEPS6_SG_NS0_5tupleIJNSA_16discard_iteratorINSA_11use_defaultEEES6_EEENSH_IJSG_SG_EEES6_PlJNSB_9not_fun_tI7is_trueIfEEEEEE10hipError_tPvRmT3_T4_T5_T6_T7_T9_mT8_P12ihipStream_tbDpT10_ENKUlT_T0_E_clISt17integral_constantIbLb1EES1B_EEDaS16_S17_EUlS16_E_NS1_11comp_targetILNS1_3genE3ELNS1_11target_archE908ELNS1_3gpuE7ELNS1_3repE0EEENS1_30default_config_static_selectorELNS0_4arch9wavefront6targetE0EEEvT1_,comdat
	.protected	_ZN7rocprim17ROCPRIM_400000_NS6detail17trampoline_kernelINS0_14default_configENS1_25partition_config_selectorILNS1_17partition_subalgoE6EfNS0_10empty_typeEbEEZZNS1_14partition_implILS5_6ELb0ES3_mN6thrust23THRUST_200600_302600_NS6detail15normal_iteratorINSA_10device_ptrIfEEEEPS6_SG_NS0_5tupleIJNSA_16discard_iteratorINSA_11use_defaultEEES6_EEENSH_IJSG_SG_EEES6_PlJNSB_9not_fun_tI7is_trueIfEEEEEE10hipError_tPvRmT3_T4_T5_T6_T7_T9_mT8_P12ihipStream_tbDpT10_ENKUlT_T0_E_clISt17integral_constantIbLb1EES1B_EEDaS16_S17_EUlS16_E_NS1_11comp_targetILNS1_3genE3ELNS1_11target_archE908ELNS1_3gpuE7ELNS1_3repE0EEENS1_30default_config_static_selectorELNS0_4arch9wavefront6targetE0EEEvT1_ ; -- Begin function _ZN7rocprim17ROCPRIM_400000_NS6detail17trampoline_kernelINS0_14default_configENS1_25partition_config_selectorILNS1_17partition_subalgoE6EfNS0_10empty_typeEbEEZZNS1_14partition_implILS5_6ELb0ES3_mN6thrust23THRUST_200600_302600_NS6detail15normal_iteratorINSA_10device_ptrIfEEEEPS6_SG_NS0_5tupleIJNSA_16discard_iteratorINSA_11use_defaultEEES6_EEENSH_IJSG_SG_EEES6_PlJNSB_9not_fun_tI7is_trueIfEEEEEE10hipError_tPvRmT3_T4_T5_T6_T7_T9_mT8_P12ihipStream_tbDpT10_ENKUlT_T0_E_clISt17integral_constantIbLb1EES1B_EEDaS16_S17_EUlS16_E_NS1_11comp_targetILNS1_3genE3ELNS1_11target_archE908ELNS1_3gpuE7ELNS1_3repE0EEENS1_30default_config_static_selectorELNS0_4arch9wavefront6targetE0EEEvT1_
	.globl	_ZN7rocprim17ROCPRIM_400000_NS6detail17trampoline_kernelINS0_14default_configENS1_25partition_config_selectorILNS1_17partition_subalgoE6EfNS0_10empty_typeEbEEZZNS1_14partition_implILS5_6ELb0ES3_mN6thrust23THRUST_200600_302600_NS6detail15normal_iteratorINSA_10device_ptrIfEEEEPS6_SG_NS0_5tupleIJNSA_16discard_iteratorINSA_11use_defaultEEES6_EEENSH_IJSG_SG_EEES6_PlJNSB_9not_fun_tI7is_trueIfEEEEEE10hipError_tPvRmT3_T4_T5_T6_T7_T9_mT8_P12ihipStream_tbDpT10_ENKUlT_T0_E_clISt17integral_constantIbLb1EES1B_EEDaS16_S17_EUlS16_E_NS1_11comp_targetILNS1_3genE3ELNS1_11target_archE908ELNS1_3gpuE7ELNS1_3repE0EEENS1_30default_config_static_selectorELNS0_4arch9wavefront6targetE0EEEvT1_
	.p2align	8
	.type	_ZN7rocprim17ROCPRIM_400000_NS6detail17trampoline_kernelINS0_14default_configENS1_25partition_config_selectorILNS1_17partition_subalgoE6EfNS0_10empty_typeEbEEZZNS1_14partition_implILS5_6ELb0ES3_mN6thrust23THRUST_200600_302600_NS6detail15normal_iteratorINSA_10device_ptrIfEEEEPS6_SG_NS0_5tupleIJNSA_16discard_iteratorINSA_11use_defaultEEES6_EEENSH_IJSG_SG_EEES6_PlJNSB_9not_fun_tI7is_trueIfEEEEEE10hipError_tPvRmT3_T4_T5_T6_T7_T9_mT8_P12ihipStream_tbDpT10_ENKUlT_T0_E_clISt17integral_constantIbLb1EES1B_EEDaS16_S17_EUlS16_E_NS1_11comp_targetILNS1_3genE3ELNS1_11target_archE908ELNS1_3gpuE7ELNS1_3repE0EEENS1_30default_config_static_selectorELNS0_4arch9wavefront6targetE0EEEvT1_,@function
_ZN7rocprim17ROCPRIM_400000_NS6detail17trampoline_kernelINS0_14default_configENS1_25partition_config_selectorILNS1_17partition_subalgoE6EfNS0_10empty_typeEbEEZZNS1_14partition_implILS5_6ELb0ES3_mN6thrust23THRUST_200600_302600_NS6detail15normal_iteratorINSA_10device_ptrIfEEEEPS6_SG_NS0_5tupleIJNSA_16discard_iteratorINSA_11use_defaultEEES6_EEENSH_IJSG_SG_EEES6_PlJNSB_9not_fun_tI7is_trueIfEEEEEE10hipError_tPvRmT3_T4_T5_T6_T7_T9_mT8_P12ihipStream_tbDpT10_ENKUlT_T0_E_clISt17integral_constantIbLb1EES1B_EEDaS16_S17_EUlS16_E_NS1_11comp_targetILNS1_3genE3ELNS1_11target_archE908ELNS1_3gpuE7ELNS1_3repE0EEENS1_30default_config_static_selectorELNS0_4arch9wavefront6targetE0EEEvT1_: ; @_ZN7rocprim17ROCPRIM_400000_NS6detail17trampoline_kernelINS0_14default_configENS1_25partition_config_selectorILNS1_17partition_subalgoE6EfNS0_10empty_typeEbEEZZNS1_14partition_implILS5_6ELb0ES3_mN6thrust23THRUST_200600_302600_NS6detail15normal_iteratorINSA_10device_ptrIfEEEEPS6_SG_NS0_5tupleIJNSA_16discard_iteratorINSA_11use_defaultEEES6_EEENSH_IJSG_SG_EEES6_PlJNSB_9not_fun_tI7is_trueIfEEEEEE10hipError_tPvRmT3_T4_T5_T6_T7_T9_mT8_P12ihipStream_tbDpT10_ENKUlT_T0_E_clISt17integral_constantIbLb1EES1B_EEDaS16_S17_EUlS16_E_NS1_11comp_targetILNS1_3genE3ELNS1_11target_archE908ELNS1_3gpuE7ELNS1_3repE0EEENS1_30default_config_static_selectorELNS0_4arch9wavefront6targetE0EEEvT1_
; %bb.0:
	.section	.rodata,"a",@progbits
	.p2align	6, 0x0
	.amdhsa_kernel _ZN7rocprim17ROCPRIM_400000_NS6detail17trampoline_kernelINS0_14default_configENS1_25partition_config_selectorILNS1_17partition_subalgoE6EfNS0_10empty_typeEbEEZZNS1_14partition_implILS5_6ELb0ES3_mN6thrust23THRUST_200600_302600_NS6detail15normal_iteratorINSA_10device_ptrIfEEEEPS6_SG_NS0_5tupleIJNSA_16discard_iteratorINSA_11use_defaultEEES6_EEENSH_IJSG_SG_EEES6_PlJNSB_9not_fun_tI7is_trueIfEEEEEE10hipError_tPvRmT3_T4_T5_T6_T7_T9_mT8_P12ihipStream_tbDpT10_ENKUlT_T0_E_clISt17integral_constantIbLb1EES1B_EEDaS16_S17_EUlS16_E_NS1_11comp_targetILNS1_3genE3ELNS1_11target_archE908ELNS1_3gpuE7ELNS1_3repE0EEENS1_30default_config_static_selectorELNS0_4arch9wavefront6targetE0EEEvT1_
		.amdhsa_group_segment_fixed_size 0
		.amdhsa_private_segment_fixed_size 0
		.amdhsa_kernarg_size 136
		.amdhsa_user_sgpr_count 2
		.amdhsa_user_sgpr_dispatch_ptr 0
		.amdhsa_user_sgpr_queue_ptr 0
		.amdhsa_user_sgpr_kernarg_segment_ptr 1
		.amdhsa_user_sgpr_dispatch_id 0
		.amdhsa_user_sgpr_private_segment_size 0
		.amdhsa_wavefront_size32 1
		.amdhsa_uses_dynamic_stack 0
		.amdhsa_enable_private_segment 0
		.amdhsa_system_sgpr_workgroup_id_x 1
		.amdhsa_system_sgpr_workgroup_id_y 0
		.amdhsa_system_sgpr_workgroup_id_z 0
		.amdhsa_system_sgpr_workgroup_info 0
		.amdhsa_system_vgpr_workitem_id 0
		.amdhsa_next_free_vgpr 1
		.amdhsa_next_free_sgpr 1
		.amdhsa_reserve_vcc 0
		.amdhsa_float_round_mode_32 0
		.amdhsa_float_round_mode_16_64 0
		.amdhsa_float_denorm_mode_32 3
		.amdhsa_float_denorm_mode_16_64 3
		.amdhsa_fp16_overflow 0
		.amdhsa_workgroup_processor_mode 1
		.amdhsa_memory_ordered 1
		.amdhsa_forward_progress 1
		.amdhsa_inst_pref_size 0
		.amdhsa_round_robin_scheduling 0
		.amdhsa_exception_fp_ieee_invalid_op 0
		.amdhsa_exception_fp_denorm_src 0
		.amdhsa_exception_fp_ieee_div_zero 0
		.amdhsa_exception_fp_ieee_overflow 0
		.amdhsa_exception_fp_ieee_underflow 0
		.amdhsa_exception_fp_ieee_inexact 0
		.amdhsa_exception_int_div_zero 0
	.end_amdhsa_kernel
	.section	.text._ZN7rocprim17ROCPRIM_400000_NS6detail17trampoline_kernelINS0_14default_configENS1_25partition_config_selectorILNS1_17partition_subalgoE6EfNS0_10empty_typeEbEEZZNS1_14partition_implILS5_6ELb0ES3_mN6thrust23THRUST_200600_302600_NS6detail15normal_iteratorINSA_10device_ptrIfEEEEPS6_SG_NS0_5tupleIJNSA_16discard_iteratorINSA_11use_defaultEEES6_EEENSH_IJSG_SG_EEES6_PlJNSB_9not_fun_tI7is_trueIfEEEEEE10hipError_tPvRmT3_T4_T5_T6_T7_T9_mT8_P12ihipStream_tbDpT10_ENKUlT_T0_E_clISt17integral_constantIbLb1EES1B_EEDaS16_S17_EUlS16_E_NS1_11comp_targetILNS1_3genE3ELNS1_11target_archE908ELNS1_3gpuE7ELNS1_3repE0EEENS1_30default_config_static_selectorELNS0_4arch9wavefront6targetE0EEEvT1_,"axG",@progbits,_ZN7rocprim17ROCPRIM_400000_NS6detail17trampoline_kernelINS0_14default_configENS1_25partition_config_selectorILNS1_17partition_subalgoE6EfNS0_10empty_typeEbEEZZNS1_14partition_implILS5_6ELb0ES3_mN6thrust23THRUST_200600_302600_NS6detail15normal_iteratorINSA_10device_ptrIfEEEEPS6_SG_NS0_5tupleIJNSA_16discard_iteratorINSA_11use_defaultEEES6_EEENSH_IJSG_SG_EEES6_PlJNSB_9not_fun_tI7is_trueIfEEEEEE10hipError_tPvRmT3_T4_T5_T6_T7_T9_mT8_P12ihipStream_tbDpT10_ENKUlT_T0_E_clISt17integral_constantIbLb1EES1B_EEDaS16_S17_EUlS16_E_NS1_11comp_targetILNS1_3genE3ELNS1_11target_archE908ELNS1_3gpuE7ELNS1_3repE0EEENS1_30default_config_static_selectorELNS0_4arch9wavefront6targetE0EEEvT1_,comdat
.Lfunc_end2120:
	.size	_ZN7rocprim17ROCPRIM_400000_NS6detail17trampoline_kernelINS0_14default_configENS1_25partition_config_selectorILNS1_17partition_subalgoE6EfNS0_10empty_typeEbEEZZNS1_14partition_implILS5_6ELb0ES3_mN6thrust23THRUST_200600_302600_NS6detail15normal_iteratorINSA_10device_ptrIfEEEEPS6_SG_NS0_5tupleIJNSA_16discard_iteratorINSA_11use_defaultEEES6_EEENSH_IJSG_SG_EEES6_PlJNSB_9not_fun_tI7is_trueIfEEEEEE10hipError_tPvRmT3_T4_T5_T6_T7_T9_mT8_P12ihipStream_tbDpT10_ENKUlT_T0_E_clISt17integral_constantIbLb1EES1B_EEDaS16_S17_EUlS16_E_NS1_11comp_targetILNS1_3genE3ELNS1_11target_archE908ELNS1_3gpuE7ELNS1_3repE0EEENS1_30default_config_static_selectorELNS0_4arch9wavefront6targetE0EEEvT1_, .Lfunc_end2120-_ZN7rocprim17ROCPRIM_400000_NS6detail17trampoline_kernelINS0_14default_configENS1_25partition_config_selectorILNS1_17partition_subalgoE6EfNS0_10empty_typeEbEEZZNS1_14partition_implILS5_6ELb0ES3_mN6thrust23THRUST_200600_302600_NS6detail15normal_iteratorINSA_10device_ptrIfEEEEPS6_SG_NS0_5tupleIJNSA_16discard_iteratorINSA_11use_defaultEEES6_EEENSH_IJSG_SG_EEES6_PlJNSB_9not_fun_tI7is_trueIfEEEEEE10hipError_tPvRmT3_T4_T5_T6_T7_T9_mT8_P12ihipStream_tbDpT10_ENKUlT_T0_E_clISt17integral_constantIbLb1EES1B_EEDaS16_S17_EUlS16_E_NS1_11comp_targetILNS1_3genE3ELNS1_11target_archE908ELNS1_3gpuE7ELNS1_3repE0EEENS1_30default_config_static_selectorELNS0_4arch9wavefront6targetE0EEEvT1_
                                        ; -- End function
	.set _ZN7rocprim17ROCPRIM_400000_NS6detail17trampoline_kernelINS0_14default_configENS1_25partition_config_selectorILNS1_17partition_subalgoE6EfNS0_10empty_typeEbEEZZNS1_14partition_implILS5_6ELb0ES3_mN6thrust23THRUST_200600_302600_NS6detail15normal_iteratorINSA_10device_ptrIfEEEEPS6_SG_NS0_5tupleIJNSA_16discard_iteratorINSA_11use_defaultEEES6_EEENSH_IJSG_SG_EEES6_PlJNSB_9not_fun_tI7is_trueIfEEEEEE10hipError_tPvRmT3_T4_T5_T6_T7_T9_mT8_P12ihipStream_tbDpT10_ENKUlT_T0_E_clISt17integral_constantIbLb1EES1B_EEDaS16_S17_EUlS16_E_NS1_11comp_targetILNS1_3genE3ELNS1_11target_archE908ELNS1_3gpuE7ELNS1_3repE0EEENS1_30default_config_static_selectorELNS0_4arch9wavefront6targetE0EEEvT1_.num_vgpr, 0
	.set _ZN7rocprim17ROCPRIM_400000_NS6detail17trampoline_kernelINS0_14default_configENS1_25partition_config_selectorILNS1_17partition_subalgoE6EfNS0_10empty_typeEbEEZZNS1_14partition_implILS5_6ELb0ES3_mN6thrust23THRUST_200600_302600_NS6detail15normal_iteratorINSA_10device_ptrIfEEEEPS6_SG_NS0_5tupleIJNSA_16discard_iteratorINSA_11use_defaultEEES6_EEENSH_IJSG_SG_EEES6_PlJNSB_9not_fun_tI7is_trueIfEEEEEE10hipError_tPvRmT3_T4_T5_T6_T7_T9_mT8_P12ihipStream_tbDpT10_ENKUlT_T0_E_clISt17integral_constantIbLb1EES1B_EEDaS16_S17_EUlS16_E_NS1_11comp_targetILNS1_3genE3ELNS1_11target_archE908ELNS1_3gpuE7ELNS1_3repE0EEENS1_30default_config_static_selectorELNS0_4arch9wavefront6targetE0EEEvT1_.num_agpr, 0
	.set _ZN7rocprim17ROCPRIM_400000_NS6detail17trampoline_kernelINS0_14default_configENS1_25partition_config_selectorILNS1_17partition_subalgoE6EfNS0_10empty_typeEbEEZZNS1_14partition_implILS5_6ELb0ES3_mN6thrust23THRUST_200600_302600_NS6detail15normal_iteratorINSA_10device_ptrIfEEEEPS6_SG_NS0_5tupleIJNSA_16discard_iteratorINSA_11use_defaultEEES6_EEENSH_IJSG_SG_EEES6_PlJNSB_9not_fun_tI7is_trueIfEEEEEE10hipError_tPvRmT3_T4_T5_T6_T7_T9_mT8_P12ihipStream_tbDpT10_ENKUlT_T0_E_clISt17integral_constantIbLb1EES1B_EEDaS16_S17_EUlS16_E_NS1_11comp_targetILNS1_3genE3ELNS1_11target_archE908ELNS1_3gpuE7ELNS1_3repE0EEENS1_30default_config_static_selectorELNS0_4arch9wavefront6targetE0EEEvT1_.numbered_sgpr, 0
	.set _ZN7rocprim17ROCPRIM_400000_NS6detail17trampoline_kernelINS0_14default_configENS1_25partition_config_selectorILNS1_17partition_subalgoE6EfNS0_10empty_typeEbEEZZNS1_14partition_implILS5_6ELb0ES3_mN6thrust23THRUST_200600_302600_NS6detail15normal_iteratorINSA_10device_ptrIfEEEEPS6_SG_NS0_5tupleIJNSA_16discard_iteratorINSA_11use_defaultEEES6_EEENSH_IJSG_SG_EEES6_PlJNSB_9not_fun_tI7is_trueIfEEEEEE10hipError_tPvRmT3_T4_T5_T6_T7_T9_mT8_P12ihipStream_tbDpT10_ENKUlT_T0_E_clISt17integral_constantIbLb1EES1B_EEDaS16_S17_EUlS16_E_NS1_11comp_targetILNS1_3genE3ELNS1_11target_archE908ELNS1_3gpuE7ELNS1_3repE0EEENS1_30default_config_static_selectorELNS0_4arch9wavefront6targetE0EEEvT1_.num_named_barrier, 0
	.set _ZN7rocprim17ROCPRIM_400000_NS6detail17trampoline_kernelINS0_14default_configENS1_25partition_config_selectorILNS1_17partition_subalgoE6EfNS0_10empty_typeEbEEZZNS1_14partition_implILS5_6ELb0ES3_mN6thrust23THRUST_200600_302600_NS6detail15normal_iteratorINSA_10device_ptrIfEEEEPS6_SG_NS0_5tupleIJNSA_16discard_iteratorINSA_11use_defaultEEES6_EEENSH_IJSG_SG_EEES6_PlJNSB_9not_fun_tI7is_trueIfEEEEEE10hipError_tPvRmT3_T4_T5_T6_T7_T9_mT8_P12ihipStream_tbDpT10_ENKUlT_T0_E_clISt17integral_constantIbLb1EES1B_EEDaS16_S17_EUlS16_E_NS1_11comp_targetILNS1_3genE3ELNS1_11target_archE908ELNS1_3gpuE7ELNS1_3repE0EEENS1_30default_config_static_selectorELNS0_4arch9wavefront6targetE0EEEvT1_.private_seg_size, 0
	.set _ZN7rocprim17ROCPRIM_400000_NS6detail17trampoline_kernelINS0_14default_configENS1_25partition_config_selectorILNS1_17partition_subalgoE6EfNS0_10empty_typeEbEEZZNS1_14partition_implILS5_6ELb0ES3_mN6thrust23THRUST_200600_302600_NS6detail15normal_iteratorINSA_10device_ptrIfEEEEPS6_SG_NS0_5tupleIJNSA_16discard_iteratorINSA_11use_defaultEEES6_EEENSH_IJSG_SG_EEES6_PlJNSB_9not_fun_tI7is_trueIfEEEEEE10hipError_tPvRmT3_T4_T5_T6_T7_T9_mT8_P12ihipStream_tbDpT10_ENKUlT_T0_E_clISt17integral_constantIbLb1EES1B_EEDaS16_S17_EUlS16_E_NS1_11comp_targetILNS1_3genE3ELNS1_11target_archE908ELNS1_3gpuE7ELNS1_3repE0EEENS1_30default_config_static_selectorELNS0_4arch9wavefront6targetE0EEEvT1_.uses_vcc, 0
	.set _ZN7rocprim17ROCPRIM_400000_NS6detail17trampoline_kernelINS0_14default_configENS1_25partition_config_selectorILNS1_17partition_subalgoE6EfNS0_10empty_typeEbEEZZNS1_14partition_implILS5_6ELb0ES3_mN6thrust23THRUST_200600_302600_NS6detail15normal_iteratorINSA_10device_ptrIfEEEEPS6_SG_NS0_5tupleIJNSA_16discard_iteratorINSA_11use_defaultEEES6_EEENSH_IJSG_SG_EEES6_PlJNSB_9not_fun_tI7is_trueIfEEEEEE10hipError_tPvRmT3_T4_T5_T6_T7_T9_mT8_P12ihipStream_tbDpT10_ENKUlT_T0_E_clISt17integral_constantIbLb1EES1B_EEDaS16_S17_EUlS16_E_NS1_11comp_targetILNS1_3genE3ELNS1_11target_archE908ELNS1_3gpuE7ELNS1_3repE0EEENS1_30default_config_static_selectorELNS0_4arch9wavefront6targetE0EEEvT1_.uses_flat_scratch, 0
	.set _ZN7rocprim17ROCPRIM_400000_NS6detail17trampoline_kernelINS0_14default_configENS1_25partition_config_selectorILNS1_17partition_subalgoE6EfNS0_10empty_typeEbEEZZNS1_14partition_implILS5_6ELb0ES3_mN6thrust23THRUST_200600_302600_NS6detail15normal_iteratorINSA_10device_ptrIfEEEEPS6_SG_NS0_5tupleIJNSA_16discard_iteratorINSA_11use_defaultEEES6_EEENSH_IJSG_SG_EEES6_PlJNSB_9not_fun_tI7is_trueIfEEEEEE10hipError_tPvRmT3_T4_T5_T6_T7_T9_mT8_P12ihipStream_tbDpT10_ENKUlT_T0_E_clISt17integral_constantIbLb1EES1B_EEDaS16_S17_EUlS16_E_NS1_11comp_targetILNS1_3genE3ELNS1_11target_archE908ELNS1_3gpuE7ELNS1_3repE0EEENS1_30default_config_static_selectorELNS0_4arch9wavefront6targetE0EEEvT1_.has_dyn_sized_stack, 0
	.set _ZN7rocprim17ROCPRIM_400000_NS6detail17trampoline_kernelINS0_14default_configENS1_25partition_config_selectorILNS1_17partition_subalgoE6EfNS0_10empty_typeEbEEZZNS1_14partition_implILS5_6ELb0ES3_mN6thrust23THRUST_200600_302600_NS6detail15normal_iteratorINSA_10device_ptrIfEEEEPS6_SG_NS0_5tupleIJNSA_16discard_iteratorINSA_11use_defaultEEES6_EEENSH_IJSG_SG_EEES6_PlJNSB_9not_fun_tI7is_trueIfEEEEEE10hipError_tPvRmT3_T4_T5_T6_T7_T9_mT8_P12ihipStream_tbDpT10_ENKUlT_T0_E_clISt17integral_constantIbLb1EES1B_EEDaS16_S17_EUlS16_E_NS1_11comp_targetILNS1_3genE3ELNS1_11target_archE908ELNS1_3gpuE7ELNS1_3repE0EEENS1_30default_config_static_selectorELNS0_4arch9wavefront6targetE0EEEvT1_.has_recursion, 0
	.set _ZN7rocprim17ROCPRIM_400000_NS6detail17trampoline_kernelINS0_14default_configENS1_25partition_config_selectorILNS1_17partition_subalgoE6EfNS0_10empty_typeEbEEZZNS1_14partition_implILS5_6ELb0ES3_mN6thrust23THRUST_200600_302600_NS6detail15normal_iteratorINSA_10device_ptrIfEEEEPS6_SG_NS0_5tupleIJNSA_16discard_iteratorINSA_11use_defaultEEES6_EEENSH_IJSG_SG_EEES6_PlJNSB_9not_fun_tI7is_trueIfEEEEEE10hipError_tPvRmT3_T4_T5_T6_T7_T9_mT8_P12ihipStream_tbDpT10_ENKUlT_T0_E_clISt17integral_constantIbLb1EES1B_EEDaS16_S17_EUlS16_E_NS1_11comp_targetILNS1_3genE3ELNS1_11target_archE908ELNS1_3gpuE7ELNS1_3repE0EEENS1_30default_config_static_selectorELNS0_4arch9wavefront6targetE0EEEvT1_.has_indirect_call, 0
	.section	.AMDGPU.csdata,"",@progbits
; Kernel info:
; codeLenInByte = 0
; TotalNumSgprs: 0
; NumVgprs: 0
; ScratchSize: 0
; MemoryBound: 0
; FloatMode: 240
; IeeeMode: 1
; LDSByteSize: 0 bytes/workgroup (compile time only)
; SGPRBlocks: 0
; VGPRBlocks: 0
; NumSGPRsForWavesPerEU: 1
; NumVGPRsForWavesPerEU: 1
; Occupancy: 16
; WaveLimiterHint : 0
; COMPUTE_PGM_RSRC2:SCRATCH_EN: 0
; COMPUTE_PGM_RSRC2:USER_SGPR: 2
; COMPUTE_PGM_RSRC2:TRAP_HANDLER: 0
; COMPUTE_PGM_RSRC2:TGID_X_EN: 1
; COMPUTE_PGM_RSRC2:TGID_Y_EN: 0
; COMPUTE_PGM_RSRC2:TGID_Z_EN: 0
; COMPUTE_PGM_RSRC2:TIDIG_COMP_CNT: 0
	.section	.text._ZN7rocprim17ROCPRIM_400000_NS6detail17trampoline_kernelINS0_14default_configENS1_25partition_config_selectorILNS1_17partition_subalgoE6EfNS0_10empty_typeEbEEZZNS1_14partition_implILS5_6ELb0ES3_mN6thrust23THRUST_200600_302600_NS6detail15normal_iteratorINSA_10device_ptrIfEEEEPS6_SG_NS0_5tupleIJNSA_16discard_iteratorINSA_11use_defaultEEES6_EEENSH_IJSG_SG_EEES6_PlJNSB_9not_fun_tI7is_trueIfEEEEEE10hipError_tPvRmT3_T4_T5_T6_T7_T9_mT8_P12ihipStream_tbDpT10_ENKUlT_T0_E_clISt17integral_constantIbLb1EES1B_EEDaS16_S17_EUlS16_E_NS1_11comp_targetILNS1_3genE2ELNS1_11target_archE906ELNS1_3gpuE6ELNS1_3repE0EEENS1_30default_config_static_selectorELNS0_4arch9wavefront6targetE0EEEvT1_,"axG",@progbits,_ZN7rocprim17ROCPRIM_400000_NS6detail17trampoline_kernelINS0_14default_configENS1_25partition_config_selectorILNS1_17partition_subalgoE6EfNS0_10empty_typeEbEEZZNS1_14partition_implILS5_6ELb0ES3_mN6thrust23THRUST_200600_302600_NS6detail15normal_iteratorINSA_10device_ptrIfEEEEPS6_SG_NS0_5tupleIJNSA_16discard_iteratorINSA_11use_defaultEEES6_EEENSH_IJSG_SG_EEES6_PlJNSB_9not_fun_tI7is_trueIfEEEEEE10hipError_tPvRmT3_T4_T5_T6_T7_T9_mT8_P12ihipStream_tbDpT10_ENKUlT_T0_E_clISt17integral_constantIbLb1EES1B_EEDaS16_S17_EUlS16_E_NS1_11comp_targetILNS1_3genE2ELNS1_11target_archE906ELNS1_3gpuE6ELNS1_3repE0EEENS1_30default_config_static_selectorELNS0_4arch9wavefront6targetE0EEEvT1_,comdat
	.protected	_ZN7rocprim17ROCPRIM_400000_NS6detail17trampoline_kernelINS0_14default_configENS1_25partition_config_selectorILNS1_17partition_subalgoE6EfNS0_10empty_typeEbEEZZNS1_14partition_implILS5_6ELb0ES3_mN6thrust23THRUST_200600_302600_NS6detail15normal_iteratorINSA_10device_ptrIfEEEEPS6_SG_NS0_5tupleIJNSA_16discard_iteratorINSA_11use_defaultEEES6_EEENSH_IJSG_SG_EEES6_PlJNSB_9not_fun_tI7is_trueIfEEEEEE10hipError_tPvRmT3_T4_T5_T6_T7_T9_mT8_P12ihipStream_tbDpT10_ENKUlT_T0_E_clISt17integral_constantIbLb1EES1B_EEDaS16_S17_EUlS16_E_NS1_11comp_targetILNS1_3genE2ELNS1_11target_archE906ELNS1_3gpuE6ELNS1_3repE0EEENS1_30default_config_static_selectorELNS0_4arch9wavefront6targetE0EEEvT1_ ; -- Begin function _ZN7rocprim17ROCPRIM_400000_NS6detail17trampoline_kernelINS0_14default_configENS1_25partition_config_selectorILNS1_17partition_subalgoE6EfNS0_10empty_typeEbEEZZNS1_14partition_implILS5_6ELb0ES3_mN6thrust23THRUST_200600_302600_NS6detail15normal_iteratorINSA_10device_ptrIfEEEEPS6_SG_NS0_5tupleIJNSA_16discard_iteratorINSA_11use_defaultEEES6_EEENSH_IJSG_SG_EEES6_PlJNSB_9not_fun_tI7is_trueIfEEEEEE10hipError_tPvRmT3_T4_T5_T6_T7_T9_mT8_P12ihipStream_tbDpT10_ENKUlT_T0_E_clISt17integral_constantIbLb1EES1B_EEDaS16_S17_EUlS16_E_NS1_11comp_targetILNS1_3genE2ELNS1_11target_archE906ELNS1_3gpuE6ELNS1_3repE0EEENS1_30default_config_static_selectorELNS0_4arch9wavefront6targetE0EEEvT1_
	.globl	_ZN7rocprim17ROCPRIM_400000_NS6detail17trampoline_kernelINS0_14default_configENS1_25partition_config_selectorILNS1_17partition_subalgoE6EfNS0_10empty_typeEbEEZZNS1_14partition_implILS5_6ELb0ES3_mN6thrust23THRUST_200600_302600_NS6detail15normal_iteratorINSA_10device_ptrIfEEEEPS6_SG_NS0_5tupleIJNSA_16discard_iteratorINSA_11use_defaultEEES6_EEENSH_IJSG_SG_EEES6_PlJNSB_9not_fun_tI7is_trueIfEEEEEE10hipError_tPvRmT3_T4_T5_T6_T7_T9_mT8_P12ihipStream_tbDpT10_ENKUlT_T0_E_clISt17integral_constantIbLb1EES1B_EEDaS16_S17_EUlS16_E_NS1_11comp_targetILNS1_3genE2ELNS1_11target_archE906ELNS1_3gpuE6ELNS1_3repE0EEENS1_30default_config_static_selectorELNS0_4arch9wavefront6targetE0EEEvT1_
	.p2align	8
	.type	_ZN7rocprim17ROCPRIM_400000_NS6detail17trampoline_kernelINS0_14default_configENS1_25partition_config_selectorILNS1_17partition_subalgoE6EfNS0_10empty_typeEbEEZZNS1_14partition_implILS5_6ELb0ES3_mN6thrust23THRUST_200600_302600_NS6detail15normal_iteratorINSA_10device_ptrIfEEEEPS6_SG_NS0_5tupleIJNSA_16discard_iteratorINSA_11use_defaultEEES6_EEENSH_IJSG_SG_EEES6_PlJNSB_9not_fun_tI7is_trueIfEEEEEE10hipError_tPvRmT3_T4_T5_T6_T7_T9_mT8_P12ihipStream_tbDpT10_ENKUlT_T0_E_clISt17integral_constantIbLb1EES1B_EEDaS16_S17_EUlS16_E_NS1_11comp_targetILNS1_3genE2ELNS1_11target_archE906ELNS1_3gpuE6ELNS1_3repE0EEENS1_30default_config_static_selectorELNS0_4arch9wavefront6targetE0EEEvT1_,@function
_ZN7rocprim17ROCPRIM_400000_NS6detail17trampoline_kernelINS0_14default_configENS1_25partition_config_selectorILNS1_17partition_subalgoE6EfNS0_10empty_typeEbEEZZNS1_14partition_implILS5_6ELb0ES3_mN6thrust23THRUST_200600_302600_NS6detail15normal_iteratorINSA_10device_ptrIfEEEEPS6_SG_NS0_5tupleIJNSA_16discard_iteratorINSA_11use_defaultEEES6_EEENSH_IJSG_SG_EEES6_PlJNSB_9not_fun_tI7is_trueIfEEEEEE10hipError_tPvRmT3_T4_T5_T6_T7_T9_mT8_P12ihipStream_tbDpT10_ENKUlT_T0_E_clISt17integral_constantIbLb1EES1B_EEDaS16_S17_EUlS16_E_NS1_11comp_targetILNS1_3genE2ELNS1_11target_archE906ELNS1_3gpuE6ELNS1_3repE0EEENS1_30default_config_static_selectorELNS0_4arch9wavefront6targetE0EEEvT1_: ; @_ZN7rocprim17ROCPRIM_400000_NS6detail17trampoline_kernelINS0_14default_configENS1_25partition_config_selectorILNS1_17partition_subalgoE6EfNS0_10empty_typeEbEEZZNS1_14partition_implILS5_6ELb0ES3_mN6thrust23THRUST_200600_302600_NS6detail15normal_iteratorINSA_10device_ptrIfEEEEPS6_SG_NS0_5tupleIJNSA_16discard_iteratorINSA_11use_defaultEEES6_EEENSH_IJSG_SG_EEES6_PlJNSB_9not_fun_tI7is_trueIfEEEEEE10hipError_tPvRmT3_T4_T5_T6_T7_T9_mT8_P12ihipStream_tbDpT10_ENKUlT_T0_E_clISt17integral_constantIbLb1EES1B_EEDaS16_S17_EUlS16_E_NS1_11comp_targetILNS1_3genE2ELNS1_11target_archE906ELNS1_3gpuE6ELNS1_3repE0EEENS1_30default_config_static_selectorELNS0_4arch9wavefront6targetE0EEEvT1_
; %bb.0:
	.section	.rodata,"a",@progbits
	.p2align	6, 0x0
	.amdhsa_kernel _ZN7rocprim17ROCPRIM_400000_NS6detail17trampoline_kernelINS0_14default_configENS1_25partition_config_selectorILNS1_17partition_subalgoE6EfNS0_10empty_typeEbEEZZNS1_14partition_implILS5_6ELb0ES3_mN6thrust23THRUST_200600_302600_NS6detail15normal_iteratorINSA_10device_ptrIfEEEEPS6_SG_NS0_5tupleIJNSA_16discard_iteratorINSA_11use_defaultEEES6_EEENSH_IJSG_SG_EEES6_PlJNSB_9not_fun_tI7is_trueIfEEEEEE10hipError_tPvRmT3_T4_T5_T6_T7_T9_mT8_P12ihipStream_tbDpT10_ENKUlT_T0_E_clISt17integral_constantIbLb1EES1B_EEDaS16_S17_EUlS16_E_NS1_11comp_targetILNS1_3genE2ELNS1_11target_archE906ELNS1_3gpuE6ELNS1_3repE0EEENS1_30default_config_static_selectorELNS0_4arch9wavefront6targetE0EEEvT1_
		.amdhsa_group_segment_fixed_size 0
		.amdhsa_private_segment_fixed_size 0
		.amdhsa_kernarg_size 136
		.amdhsa_user_sgpr_count 2
		.amdhsa_user_sgpr_dispatch_ptr 0
		.amdhsa_user_sgpr_queue_ptr 0
		.amdhsa_user_sgpr_kernarg_segment_ptr 1
		.amdhsa_user_sgpr_dispatch_id 0
		.amdhsa_user_sgpr_private_segment_size 0
		.amdhsa_wavefront_size32 1
		.amdhsa_uses_dynamic_stack 0
		.amdhsa_enable_private_segment 0
		.amdhsa_system_sgpr_workgroup_id_x 1
		.amdhsa_system_sgpr_workgroup_id_y 0
		.amdhsa_system_sgpr_workgroup_id_z 0
		.amdhsa_system_sgpr_workgroup_info 0
		.amdhsa_system_vgpr_workitem_id 0
		.amdhsa_next_free_vgpr 1
		.amdhsa_next_free_sgpr 1
		.amdhsa_reserve_vcc 0
		.amdhsa_float_round_mode_32 0
		.amdhsa_float_round_mode_16_64 0
		.amdhsa_float_denorm_mode_32 3
		.amdhsa_float_denorm_mode_16_64 3
		.amdhsa_fp16_overflow 0
		.amdhsa_workgroup_processor_mode 1
		.amdhsa_memory_ordered 1
		.amdhsa_forward_progress 1
		.amdhsa_inst_pref_size 0
		.amdhsa_round_robin_scheduling 0
		.amdhsa_exception_fp_ieee_invalid_op 0
		.amdhsa_exception_fp_denorm_src 0
		.amdhsa_exception_fp_ieee_div_zero 0
		.amdhsa_exception_fp_ieee_overflow 0
		.amdhsa_exception_fp_ieee_underflow 0
		.amdhsa_exception_fp_ieee_inexact 0
		.amdhsa_exception_int_div_zero 0
	.end_amdhsa_kernel
	.section	.text._ZN7rocprim17ROCPRIM_400000_NS6detail17trampoline_kernelINS0_14default_configENS1_25partition_config_selectorILNS1_17partition_subalgoE6EfNS0_10empty_typeEbEEZZNS1_14partition_implILS5_6ELb0ES3_mN6thrust23THRUST_200600_302600_NS6detail15normal_iteratorINSA_10device_ptrIfEEEEPS6_SG_NS0_5tupleIJNSA_16discard_iteratorINSA_11use_defaultEEES6_EEENSH_IJSG_SG_EEES6_PlJNSB_9not_fun_tI7is_trueIfEEEEEE10hipError_tPvRmT3_T4_T5_T6_T7_T9_mT8_P12ihipStream_tbDpT10_ENKUlT_T0_E_clISt17integral_constantIbLb1EES1B_EEDaS16_S17_EUlS16_E_NS1_11comp_targetILNS1_3genE2ELNS1_11target_archE906ELNS1_3gpuE6ELNS1_3repE0EEENS1_30default_config_static_selectorELNS0_4arch9wavefront6targetE0EEEvT1_,"axG",@progbits,_ZN7rocprim17ROCPRIM_400000_NS6detail17trampoline_kernelINS0_14default_configENS1_25partition_config_selectorILNS1_17partition_subalgoE6EfNS0_10empty_typeEbEEZZNS1_14partition_implILS5_6ELb0ES3_mN6thrust23THRUST_200600_302600_NS6detail15normal_iteratorINSA_10device_ptrIfEEEEPS6_SG_NS0_5tupleIJNSA_16discard_iteratorINSA_11use_defaultEEES6_EEENSH_IJSG_SG_EEES6_PlJNSB_9not_fun_tI7is_trueIfEEEEEE10hipError_tPvRmT3_T4_T5_T6_T7_T9_mT8_P12ihipStream_tbDpT10_ENKUlT_T0_E_clISt17integral_constantIbLb1EES1B_EEDaS16_S17_EUlS16_E_NS1_11comp_targetILNS1_3genE2ELNS1_11target_archE906ELNS1_3gpuE6ELNS1_3repE0EEENS1_30default_config_static_selectorELNS0_4arch9wavefront6targetE0EEEvT1_,comdat
.Lfunc_end2121:
	.size	_ZN7rocprim17ROCPRIM_400000_NS6detail17trampoline_kernelINS0_14default_configENS1_25partition_config_selectorILNS1_17partition_subalgoE6EfNS0_10empty_typeEbEEZZNS1_14partition_implILS5_6ELb0ES3_mN6thrust23THRUST_200600_302600_NS6detail15normal_iteratorINSA_10device_ptrIfEEEEPS6_SG_NS0_5tupleIJNSA_16discard_iteratorINSA_11use_defaultEEES6_EEENSH_IJSG_SG_EEES6_PlJNSB_9not_fun_tI7is_trueIfEEEEEE10hipError_tPvRmT3_T4_T5_T6_T7_T9_mT8_P12ihipStream_tbDpT10_ENKUlT_T0_E_clISt17integral_constantIbLb1EES1B_EEDaS16_S17_EUlS16_E_NS1_11comp_targetILNS1_3genE2ELNS1_11target_archE906ELNS1_3gpuE6ELNS1_3repE0EEENS1_30default_config_static_selectorELNS0_4arch9wavefront6targetE0EEEvT1_, .Lfunc_end2121-_ZN7rocprim17ROCPRIM_400000_NS6detail17trampoline_kernelINS0_14default_configENS1_25partition_config_selectorILNS1_17partition_subalgoE6EfNS0_10empty_typeEbEEZZNS1_14partition_implILS5_6ELb0ES3_mN6thrust23THRUST_200600_302600_NS6detail15normal_iteratorINSA_10device_ptrIfEEEEPS6_SG_NS0_5tupleIJNSA_16discard_iteratorINSA_11use_defaultEEES6_EEENSH_IJSG_SG_EEES6_PlJNSB_9not_fun_tI7is_trueIfEEEEEE10hipError_tPvRmT3_T4_T5_T6_T7_T9_mT8_P12ihipStream_tbDpT10_ENKUlT_T0_E_clISt17integral_constantIbLb1EES1B_EEDaS16_S17_EUlS16_E_NS1_11comp_targetILNS1_3genE2ELNS1_11target_archE906ELNS1_3gpuE6ELNS1_3repE0EEENS1_30default_config_static_selectorELNS0_4arch9wavefront6targetE0EEEvT1_
                                        ; -- End function
	.set _ZN7rocprim17ROCPRIM_400000_NS6detail17trampoline_kernelINS0_14default_configENS1_25partition_config_selectorILNS1_17partition_subalgoE6EfNS0_10empty_typeEbEEZZNS1_14partition_implILS5_6ELb0ES3_mN6thrust23THRUST_200600_302600_NS6detail15normal_iteratorINSA_10device_ptrIfEEEEPS6_SG_NS0_5tupleIJNSA_16discard_iteratorINSA_11use_defaultEEES6_EEENSH_IJSG_SG_EEES6_PlJNSB_9not_fun_tI7is_trueIfEEEEEE10hipError_tPvRmT3_T4_T5_T6_T7_T9_mT8_P12ihipStream_tbDpT10_ENKUlT_T0_E_clISt17integral_constantIbLb1EES1B_EEDaS16_S17_EUlS16_E_NS1_11comp_targetILNS1_3genE2ELNS1_11target_archE906ELNS1_3gpuE6ELNS1_3repE0EEENS1_30default_config_static_selectorELNS0_4arch9wavefront6targetE0EEEvT1_.num_vgpr, 0
	.set _ZN7rocprim17ROCPRIM_400000_NS6detail17trampoline_kernelINS0_14default_configENS1_25partition_config_selectorILNS1_17partition_subalgoE6EfNS0_10empty_typeEbEEZZNS1_14partition_implILS5_6ELb0ES3_mN6thrust23THRUST_200600_302600_NS6detail15normal_iteratorINSA_10device_ptrIfEEEEPS6_SG_NS0_5tupleIJNSA_16discard_iteratorINSA_11use_defaultEEES6_EEENSH_IJSG_SG_EEES6_PlJNSB_9not_fun_tI7is_trueIfEEEEEE10hipError_tPvRmT3_T4_T5_T6_T7_T9_mT8_P12ihipStream_tbDpT10_ENKUlT_T0_E_clISt17integral_constantIbLb1EES1B_EEDaS16_S17_EUlS16_E_NS1_11comp_targetILNS1_3genE2ELNS1_11target_archE906ELNS1_3gpuE6ELNS1_3repE0EEENS1_30default_config_static_selectorELNS0_4arch9wavefront6targetE0EEEvT1_.num_agpr, 0
	.set _ZN7rocprim17ROCPRIM_400000_NS6detail17trampoline_kernelINS0_14default_configENS1_25partition_config_selectorILNS1_17partition_subalgoE6EfNS0_10empty_typeEbEEZZNS1_14partition_implILS5_6ELb0ES3_mN6thrust23THRUST_200600_302600_NS6detail15normal_iteratorINSA_10device_ptrIfEEEEPS6_SG_NS0_5tupleIJNSA_16discard_iteratorINSA_11use_defaultEEES6_EEENSH_IJSG_SG_EEES6_PlJNSB_9not_fun_tI7is_trueIfEEEEEE10hipError_tPvRmT3_T4_T5_T6_T7_T9_mT8_P12ihipStream_tbDpT10_ENKUlT_T0_E_clISt17integral_constantIbLb1EES1B_EEDaS16_S17_EUlS16_E_NS1_11comp_targetILNS1_3genE2ELNS1_11target_archE906ELNS1_3gpuE6ELNS1_3repE0EEENS1_30default_config_static_selectorELNS0_4arch9wavefront6targetE0EEEvT1_.numbered_sgpr, 0
	.set _ZN7rocprim17ROCPRIM_400000_NS6detail17trampoline_kernelINS0_14default_configENS1_25partition_config_selectorILNS1_17partition_subalgoE6EfNS0_10empty_typeEbEEZZNS1_14partition_implILS5_6ELb0ES3_mN6thrust23THRUST_200600_302600_NS6detail15normal_iteratorINSA_10device_ptrIfEEEEPS6_SG_NS0_5tupleIJNSA_16discard_iteratorINSA_11use_defaultEEES6_EEENSH_IJSG_SG_EEES6_PlJNSB_9not_fun_tI7is_trueIfEEEEEE10hipError_tPvRmT3_T4_T5_T6_T7_T9_mT8_P12ihipStream_tbDpT10_ENKUlT_T0_E_clISt17integral_constantIbLb1EES1B_EEDaS16_S17_EUlS16_E_NS1_11comp_targetILNS1_3genE2ELNS1_11target_archE906ELNS1_3gpuE6ELNS1_3repE0EEENS1_30default_config_static_selectorELNS0_4arch9wavefront6targetE0EEEvT1_.num_named_barrier, 0
	.set _ZN7rocprim17ROCPRIM_400000_NS6detail17trampoline_kernelINS0_14default_configENS1_25partition_config_selectorILNS1_17partition_subalgoE6EfNS0_10empty_typeEbEEZZNS1_14partition_implILS5_6ELb0ES3_mN6thrust23THRUST_200600_302600_NS6detail15normal_iteratorINSA_10device_ptrIfEEEEPS6_SG_NS0_5tupleIJNSA_16discard_iteratorINSA_11use_defaultEEES6_EEENSH_IJSG_SG_EEES6_PlJNSB_9not_fun_tI7is_trueIfEEEEEE10hipError_tPvRmT3_T4_T5_T6_T7_T9_mT8_P12ihipStream_tbDpT10_ENKUlT_T0_E_clISt17integral_constantIbLb1EES1B_EEDaS16_S17_EUlS16_E_NS1_11comp_targetILNS1_3genE2ELNS1_11target_archE906ELNS1_3gpuE6ELNS1_3repE0EEENS1_30default_config_static_selectorELNS0_4arch9wavefront6targetE0EEEvT1_.private_seg_size, 0
	.set _ZN7rocprim17ROCPRIM_400000_NS6detail17trampoline_kernelINS0_14default_configENS1_25partition_config_selectorILNS1_17partition_subalgoE6EfNS0_10empty_typeEbEEZZNS1_14partition_implILS5_6ELb0ES3_mN6thrust23THRUST_200600_302600_NS6detail15normal_iteratorINSA_10device_ptrIfEEEEPS6_SG_NS0_5tupleIJNSA_16discard_iteratorINSA_11use_defaultEEES6_EEENSH_IJSG_SG_EEES6_PlJNSB_9not_fun_tI7is_trueIfEEEEEE10hipError_tPvRmT3_T4_T5_T6_T7_T9_mT8_P12ihipStream_tbDpT10_ENKUlT_T0_E_clISt17integral_constantIbLb1EES1B_EEDaS16_S17_EUlS16_E_NS1_11comp_targetILNS1_3genE2ELNS1_11target_archE906ELNS1_3gpuE6ELNS1_3repE0EEENS1_30default_config_static_selectorELNS0_4arch9wavefront6targetE0EEEvT1_.uses_vcc, 0
	.set _ZN7rocprim17ROCPRIM_400000_NS6detail17trampoline_kernelINS0_14default_configENS1_25partition_config_selectorILNS1_17partition_subalgoE6EfNS0_10empty_typeEbEEZZNS1_14partition_implILS5_6ELb0ES3_mN6thrust23THRUST_200600_302600_NS6detail15normal_iteratorINSA_10device_ptrIfEEEEPS6_SG_NS0_5tupleIJNSA_16discard_iteratorINSA_11use_defaultEEES6_EEENSH_IJSG_SG_EEES6_PlJNSB_9not_fun_tI7is_trueIfEEEEEE10hipError_tPvRmT3_T4_T5_T6_T7_T9_mT8_P12ihipStream_tbDpT10_ENKUlT_T0_E_clISt17integral_constantIbLb1EES1B_EEDaS16_S17_EUlS16_E_NS1_11comp_targetILNS1_3genE2ELNS1_11target_archE906ELNS1_3gpuE6ELNS1_3repE0EEENS1_30default_config_static_selectorELNS0_4arch9wavefront6targetE0EEEvT1_.uses_flat_scratch, 0
	.set _ZN7rocprim17ROCPRIM_400000_NS6detail17trampoline_kernelINS0_14default_configENS1_25partition_config_selectorILNS1_17partition_subalgoE6EfNS0_10empty_typeEbEEZZNS1_14partition_implILS5_6ELb0ES3_mN6thrust23THRUST_200600_302600_NS6detail15normal_iteratorINSA_10device_ptrIfEEEEPS6_SG_NS0_5tupleIJNSA_16discard_iteratorINSA_11use_defaultEEES6_EEENSH_IJSG_SG_EEES6_PlJNSB_9not_fun_tI7is_trueIfEEEEEE10hipError_tPvRmT3_T4_T5_T6_T7_T9_mT8_P12ihipStream_tbDpT10_ENKUlT_T0_E_clISt17integral_constantIbLb1EES1B_EEDaS16_S17_EUlS16_E_NS1_11comp_targetILNS1_3genE2ELNS1_11target_archE906ELNS1_3gpuE6ELNS1_3repE0EEENS1_30default_config_static_selectorELNS0_4arch9wavefront6targetE0EEEvT1_.has_dyn_sized_stack, 0
	.set _ZN7rocprim17ROCPRIM_400000_NS6detail17trampoline_kernelINS0_14default_configENS1_25partition_config_selectorILNS1_17partition_subalgoE6EfNS0_10empty_typeEbEEZZNS1_14partition_implILS5_6ELb0ES3_mN6thrust23THRUST_200600_302600_NS6detail15normal_iteratorINSA_10device_ptrIfEEEEPS6_SG_NS0_5tupleIJNSA_16discard_iteratorINSA_11use_defaultEEES6_EEENSH_IJSG_SG_EEES6_PlJNSB_9not_fun_tI7is_trueIfEEEEEE10hipError_tPvRmT3_T4_T5_T6_T7_T9_mT8_P12ihipStream_tbDpT10_ENKUlT_T0_E_clISt17integral_constantIbLb1EES1B_EEDaS16_S17_EUlS16_E_NS1_11comp_targetILNS1_3genE2ELNS1_11target_archE906ELNS1_3gpuE6ELNS1_3repE0EEENS1_30default_config_static_selectorELNS0_4arch9wavefront6targetE0EEEvT1_.has_recursion, 0
	.set _ZN7rocprim17ROCPRIM_400000_NS6detail17trampoline_kernelINS0_14default_configENS1_25partition_config_selectorILNS1_17partition_subalgoE6EfNS0_10empty_typeEbEEZZNS1_14partition_implILS5_6ELb0ES3_mN6thrust23THRUST_200600_302600_NS6detail15normal_iteratorINSA_10device_ptrIfEEEEPS6_SG_NS0_5tupleIJNSA_16discard_iteratorINSA_11use_defaultEEES6_EEENSH_IJSG_SG_EEES6_PlJNSB_9not_fun_tI7is_trueIfEEEEEE10hipError_tPvRmT3_T4_T5_T6_T7_T9_mT8_P12ihipStream_tbDpT10_ENKUlT_T0_E_clISt17integral_constantIbLb1EES1B_EEDaS16_S17_EUlS16_E_NS1_11comp_targetILNS1_3genE2ELNS1_11target_archE906ELNS1_3gpuE6ELNS1_3repE0EEENS1_30default_config_static_selectorELNS0_4arch9wavefront6targetE0EEEvT1_.has_indirect_call, 0
	.section	.AMDGPU.csdata,"",@progbits
; Kernel info:
; codeLenInByte = 0
; TotalNumSgprs: 0
; NumVgprs: 0
; ScratchSize: 0
; MemoryBound: 0
; FloatMode: 240
; IeeeMode: 1
; LDSByteSize: 0 bytes/workgroup (compile time only)
; SGPRBlocks: 0
; VGPRBlocks: 0
; NumSGPRsForWavesPerEU: 1
; NumVGPRsForWavesPerEU: 1
; Occupancy: 16
; WaveLimiterHint : 0
; COMPUTE_PGM_RSRC2:SCRATCH_EN: 0
; COMPUTE_PGM_RSRC2:USER_SGPR: 2
; COMPUTE_PGM_RSRC2:TRAP_HANDLER: 0
; COMPUTE_PGM_RSRC2:TGID_X_EN: 1
; COMPUTE_PGM_RSRC2:TGID_Y_EN: 0
; COMPUTE_PGM_RSRC2:TGID_Z_EN: 0
; COMPUTE_PGM_RSRC2:TIDIG_COMP_CNT: 0
	.section	.text._ZN7rocprim17ROCPRIM_400000_NS6detail17trampoline_kernelINS0_14default_configENS1_25partition_config_selectorILNS1_17partition_subalgoE6EfNS0_10empty_typeEbEEZZNS1_14partition_implILS5_6ELb0ES3_mN6thrust23THRUST_200600_302600_NS6detail15normal_iteratorINSA_10device_ptrIfEEEEPS6_SG_NS0_5tupleIJNSA_16discard_iteratorINSA_11use_defaultEEES6_EEENSH_IJSG_SG_EEES6_PlJNSB_9not_fun_tI7is_trueIfEEEEEE10hipError_tPvRmT3_T4_T5_T6_T7_T9_mT8_P12ihipStream_tbDpT10_ENKUlT_T0_E_clISt17integral_constantIbLb1EES1B_EEDaS16_S17_EUlS16_E_NS1_11comp_targetILNS1_3genE10ELNS1_11target_archE1200ELNS1_3gpuE4ELNS1_3repE0EEENS1_30default_config_static_selectorELNS0_4arch9wavefront6targetE0EEEvT1_,"axG",@progbits,_ZN7rocprim17ROCPRIM_400000_NS6detail17trampoline_kernelINS0_14default_configENS1_25partition_config_selectorILNS1_17partition_subalgoE6EfNS0_10empty_typeEbEEZZNS1_14partition_implILS5_6ELb0ES3_mN6thrust23THRUST_200600_302600_NS6detail15normal_iteratorINSA_10device_ptrIfEEEEPS6_SG_NS0_5tupleIJNSA_16discard_iteratorINSA_11use_defaultEEES6_EEENSH_IJSG_SG_EEES6_PlJNSB_9not_fun_tI7is_trueIfEEEEEE10hipError_tPvRmT3_T4_T5_T6_T7_T9_mT8_P12ihipStream_tbDpT10_ENKUlT_T0_E_clISt17integral_constantIbLb1EES1B_EEDaS16_S17_EUlS16_E_NS1_11comp_targetILNS1_3genE10ELNS1_11target_archE1200ELNS1_3gpuE4ELNS1_3repE0EEENS1_30default_config_static_selectorELNS0_4arch9wavefront6targetE0EEEvT1_,comdat
	.protected	_ZN7rocprim17ROCPRIM_400000_NS6detail17trampoline_kernelINS0_14default_configENS1_25partition_config_selectorILNS1_17partition_subalgoE6EfNS0_10empty_typeEbEEZZNS1_14partition_implILS5_6ELb0ES3_mN6thrust23THRUST_200600_302600_NS6detail15normal_iteratorINSA_10device_ptrIfEEEEPS6_SG_NS0_5tupleIJNSA_16discard_iteratorINSA_11use_defaultEEES6_EEENSH_IJSG_SG_EEES6_PlJNSB_9not_fun_tI7is_trueIfEEEEEE10hipError_tPvRmT3_T4_T5_T6_T7_T9_mT8_P12ihipStream_tbDpT10_ENKUlT_T0_E_clISt17integral_constantIbLb1EES1B_EEDaS16_S17_EUlS16_E_NS1_11comp_targetILNS1_3genE10ELNS1_11target_archE1200ELNS1_3gpuE4ELNS1_3repE0EEENS1_30default_config_static_selectorELNS0_4arch9wavefront6targetE0EEEvT1_ ; -- Begin function _ZN7rocprim17ROCPRIM_400000_NS6detail17trampoline_kernelINS0_14default_configENS1_25partition_config_selectorILNS1_17partition_subalgoE6EfNS0_10empty_typeEbEEZZNS1_14partition_implILS5_6ELb0ES3_mN6thrust23THRUST_200600_302600_NS6detail15normal_iteratorINSA_10device_ptrIfEEEEPS6_SG_NS0_5tupleIJNSA_16discard_iteratorINSA_11use_defaultEEES6_EEENSH_IJSG_SG_EEES6_PlJNSB_9not_fun_tI7is_trueIfEEEEEE10hipError_tPvRmT3_T4_T5_T6_T7_T9_mT8_P12ihipStream_tbDpT10_ENKUlT_T0_E_clISt17integral_constantIbLb1EES1B_EEDaS16_S17_EUlS16_E_NS1_11comp_targetILNS1_3genE10ELNS1_11target_archE1200ELNS1_3gpuE4ELNS1_3repE0EEENS1_30default_config_static_selectorELNS0_4arch9wavefront6targetE0EEEvT1_
	.globl	_ZN7rocprim17ROCPRIM_400000_NS6detail17trampoline_kernelINS0_14default_configENS1_25partition_config_selectorILNS1_17partition_subalgoE6EfNS0_10empty_typeEbEEZZNS1_14partition_implILS5_6ELb0ES3_mN6thrust23THRUST_200600_302600_NS6detail15normal_iteratorINSA_10device_ptrIfEEEEPS6_SG_NS0_5tupleIJNSA_16discard_iteratorINSA_11use_defaultEEES6_EEENSH_IJSG_SG_EEES6_PlJNSB_9not_fun_tI7is_trueIfEEEEEE10hipError_tPvRmT3_T4_T5_T6_T7_T9_mT8_P12ihipStream_tbDpT10_ENKUlT_T0_E_clISt17integral_constantIbLb1EES1B_EEDaS16_S17_EUlS16_E_NS1_11comp_targetILNS1_3genE10ELNS1_11target_archE1200ELNS1_3gpuE4ELNS1_3repE0EEENS1_30default_config_static_selectorELNS0_4arch9wavefront6targetE0EEEvT1_
	.p2align	8
	.type	_ZN7rocprim17ROCPRIM_400000_NS6detail17trampoline_kernelINS0_14default_configENS1_25partition_config_selectorILNS1_17partition_subalgoE6EfNS0_10empty_typeEbEEZZNS1_14partition_implILS5_6ELb0ES3_mN6thrust23THRUST_200600_302600_NS6detail15normal_iteratorINSA_10device_ptrIfEEEEPS6_SG_NS0_5tupleIJNSA_16discard_iteratorINSA_11use_defaultEEES6_EEENSH_IJSG_SG_EEES6_PlJNSB_9not_fun_tI7is_trueIfEEEEEE10hipError_tPvRmT3_T4_T5_T6_T7_T9_mT8_P12ihipStream_tbDpT10_ENKUlT_T0_E_clISt17integral_constantIbLb1EES1B_EEDaS16_S17_EUlS16_E_NS1_11comp_targetILNS1_3genE10ELNS1_11target_archE1200ELNS1_3gpuE4ELNS1_3repE0EEENS1_30default_config_static_selectorELNS0_4arch9wavefront6targetE0EEEvT1_,@function
_ZN7rocprim17ROCPRIM_400000_NS6detail17trampoline_kernelINS0_14default_configENS1_25partition_config_selectorILNS1_17partition_subalgoE6EfNS0_10empty_typeEbEEZZNS1_14partition_implILS5_6ELb0ES3_mN6thrust23THRUST_200600_302600_NS6detail15normal_iteratorINSA_10device_ptrIfEEEEPS6_SG_NS0_5tupleIJNSA_16discard_iteratorINSA_11use_defaultEEES6_EEENSH_IJSG_SG_EEES6_PlJNSB_9not_fun_tI7is_trueIfEEEEEE10hipError_tPvRmT3_T4_T5_T6_T7_T9_mT8_P12ihipStream_tbDpT10_ENKUlT_T0_E_clISt17integral_constantIbLb1EES1B_EEDaS16_S17_EUlS16_E_NS1_11comp_targetILNS1_3genE10ELNS1_11target_archE1200ELNS1_3gpuE4ELNS1_3repE0EEENS1_30default_config_static_selectorELNS0_4arch9wavefront6targetE0EEEvT1_: ; @_ZN7rocprim17ROCPRIM_400000_NS6detail17trampoline_kernelINS0_14default_configENS1_25partition_config_selectorILNS1_17partition_subalgoE6EfNS0_10empty_typeEbEEZZNS1_14partition_implILS5_6ELb0ES3_mN6thrust23THRUST_200600_302600_NS6detail15normal_iteratorINSA_10device_ptrIfEEEEPS6_SG_NS0_5tupleIJNSA_16discard_iteratorINSA_11use_defaultEEES6_EEENSH_IJSG_SG_EEES6_PlJNSB_9not_fun_tI7is_trueIfEEEEEE10hipError_tPvRmT3_T4_T5_T6_T7_T9_mT8_P12ihipStream_tbDpT10_ENKUlT_T0_E_clISt17integral_constantIbLb1EES1B_EEDaS16_S17_EUlS16_E_NS1_11comp_targetILNS1_3genE10ELNS1_11target_archE1200ELNS1_3gpuE4ELNS1_3repE0EEENS1_30default_config_static_selectorELNS0_4arch9wavefront6targetE0EEEvT1_
; %bb.0:
	s_endpgm
	.section	.rodata,"a",@progbits
	.p2align	6, 0x0
	.amdhsa_kernel _ZN7rocprim17ROCPRIM_400000_NS6detail17trampoline_kernelINS0_14default_configENS1_25partition_config_selectorILNS1_17partition_subalgoE6EfNS0_10empty_typeEbEEZZNS1_14partition_implILS5_6ELb0ES3_mN6thrust23THRUST_200600_302600_NS6detail15normal_iteratorINSA_10device_ptrIfEEEEPS6_SG_NS0_5tupleIJNSA_16discard_iteratorINSA_11use_defaultEEES6_EEENSH_IJSG_SG_EEES6_PlJNSB_9not_fun_tI7is_trueIfEEEEEE10hipError_tPvRmT3_T4_T5_T6_T7_T9_mT8_P12ihipStream_tbDpT10_ENKUlT_T0_E_clISt17integral_constantIbLb1EES1B_EEDaS16_S17_EUlS16_E_NS1_11comp_targetILNS1_3genE10ELNS1_11target_archE1200ELNS1_3gpuE4ELNS1_3repE0EEENS1_30default_config_static_selectorELNS0_4arch9wavefront6targetE0EEEvT1_
		.amdhsa_group_segment_fixed_size 0
		.amdhsa_private_segment_fixed_size 0
		.amdhsa_kernarg_size 136
		.amdhsa_user_sgpr_count 2
		.amdhsa_user_sgpr_dispatch_ptr 0
		.amdhsa_user_sgpr_queue_ptr 0
		.amdhsa_user_sgpr_kernarg_segment_ptr 1
		.amdhsa_user_sgpr_dispatch_id 0
		.amdhsa_user_sgpr_private_segment_size 0
		.amdhsa_wavefront_size32 1
		.amdhsa_uses_dynamic_stack 0
		.amdhsa_enable_private_segment 0
		.amdhsa_system_sgpr_workgroup_id_x 1
		.amdhsa_system_sgpr_workgroup_id_y 0
		.amdhsa_system_sgpr_workgroup_id_z 0
		.amdhsa_system_sgpr_workgroup_info 0
		.amdhsa_system_vgpr_workitem_id 0
		.amdhsa_next_free_vgpr 1
		.amdhsa_next_free_sgpr 1
		.amdhsa_reserve_vcc 0
		.amdhsa_float_round_mode_32 0
		.amdhsa_float_round_mode_16_64 0
		.amdhsa_float_denorm_mode_32 3
		.amdhsa_float_denorm_mode_16_64 3
		.amdhsa_fp16_overflow 0
		.amdhsa_workgroup_processor_mode 1
		.amdhsa_memory_ordered 1
		.amdhsa_forward_progress 1
		.amdhsa_inst_pref_size 1
		.amdhsa_round_robin_scheduling 0
		.amdhsa_exception_fp_ieee_invalid_op 0
		.amdhsa_exception_fp_denorm_src 0
		.amdhsa_exception_fp_ieee_div_zero 0
		.amdhsa_exception_fp_ieee_overflow 0
		.amdhsa_exception_fp_ieee_underflow 0
		.amdhsa_exception_fp_ieee_inexact 0
		.amdhsa_exception_int_div_zero 0
	.end_amdhsa_kernel
	.section	.text._ZN7rocprim17ROCPRIM_400000_NS6detail17trampoline_kernelINS0_14default_configENS1_25partition_config_selectorILNS1_17partition_subalgoE6EfNS0_10empty_typeEbEEZZNS1_14partition_implILS5_6ELb0ES3_mN6thrust23THRUST_200600_302600_NS6detail15normal_iteratorINSA_10device_ptrIfEEEEPS6_SG_NS0_5tupleIJNSA_16discard_iteratorINSA_11use_defaultEEES6_EEENSH_IJSG_SG_EEES6_PlJNSB_9not_fun_tI7is_trueIfEEEEEE10hipError_tPvRmT3_T4_T5_T6_T7_T9_mT8_P12ihipStream_tbDpT10_ENKUlT_T0_E_clISt17integral_constantIbLb1EES1B_EEDaS16_S17_EUlS16_E_NS1_11comp_targetILNS1_3genE10ELNS1_11target_archE1200ELNS1_3gpuE4ELNS1_3repE0EEENS1_30default_config_static_selectorELNS0_4arch9wavefront6targetE0EEEvT1_,"axG",@progbits,_ZN7rocprim17ROCPRIM_400000_NS6detail17trampoline_kernelINS0_14default_configENS1_25partition_config_selectorILNS1_17partition_subalgoE6EfNS0_10empty_typeEbEEZZNS1_14partition_implILS5_6ELb0ES3_mN6thrust23THRUST_200600_302600_NS6detail15normal_iteratorINSA_10device_ptrIfEEEEPS6_SG_NS0_5tupleIJNSA_16discard_iteratorINSA_11use_defaultEEES6_EEENSH_IJSG_SG_EEES6_PlJNSB_9not_fun_tI7is_trueIfEEEEEE10hipError_tPvRmT3_T4_T5_T6_T7_T9_mT8_P12ihipStream_tbDpT10_ENKUlT_T0_E_clISt17integral_constantIbLb1EES1B_EEDaS16_S17_EUlS16_E_NS1_11comp_targetILNS1_3genE10ELNS1_11target_archE1200ELNS1_3gpuE4ELNS1_3repE0EEENS1_30default_config_static_selectorELNS0_4arch9wavefront6targetE0EEEvT1_,comdat
.Lfunc_end2122:
	.size	_ZN7rocprim17ROCPRIM_400000_NS6detail17trampoline_kernelINS0_14default_configENS1_25partition_config_selectorILNS1_17partition_subalgoE6EfNS0_10empty_typeEbEEZZNS1_14partition_implILS5_6ELb0ES3_mN6thrust23THRUST_200600_302600_NS6detail15normal_iteratorINSA_10device_ptrIfEEEEPS6_SG_NS0_5tupleIJNSA_16discard_iteratorINSA_11use_defaultEEES6_EEENSH_IJSG_SG_EEES6_PlJNSB_9not_fun_tI7is_trueIfEEEEEE10hipError_tPvRmT3_T4_T5_T6_T7_T9_mT8_P12ihipStream_tbDpT10_ENKUlT_T0_E_clISt17integral_constantIbLb1EES1B_EEDaS16_S17_EUlS16_E_NS1_11comp_targetILNS1_3genE10ELNS1_11target_archE1200ELNS1_3gpuE4ELNS1_3repE0EEENS1_30default_config_static_selectorELNS0_4arch9wavefront6targetE0EEEvT1_, .Lfunc_end2122-_ZN7rocprim17ROCPRIM_400000_NS6detail17trampoline_kernelINS0_14default_configENS1_25partition_config_selectorILNS1_17partition_subalgoE6EfNS0_10empty_typeEbEEZZNS1_14partition_implILS5_6ELb0ES3_mN6thrust23THRUST_200600_302600_NS6detail15normal_iteratorINSA_10device_ptrIfEEEEPS6_SG_NS0_5tupleIJNSA_16discard_iteratorINSA_11use_defaultEEES6_EEENSH_IJSG_SG_EEES6_PlJNSB_9not_fun_tI7is_trueIfEEEEEE10hipError_tPvRmT3_T4_T5_T6_T7_T9_mT8_P12ihipStream_tbDpT10_ENKUlT_T0_E_clISt17integral_constantIbLb1EES1B_EEDaS16_S17_EUlS16_E_NS1_11comp_targetILNS1_3genE10ELNS1_11target_archE1200ELNS1_3gpuE4ELNS1_3repE0EEENS1_30default_config_static_selectorELNS0_4arch9wavefront6targetE0EEEvT1_
                                        ; -- End function
	.set _ZN7rocprim17ROCPRIM_400000_NS6detail17trampoline_kernelINS0_14default_configENS1_25partition_config_selectorILNS1_17partition_subalgoE6EfNS0_10empty_typeEbEEZZNS1_14partition_implILS5_6ELb0ES3_mN6thrust23THRUST_200600_302600_NS6detail15normal_iteratorINSA_10device_ptrIfEEEEPS6_SG_NS0_5tupleIJNSA_16discard_iteratorINSA_11use_defaultEEES6_EEENSH_IJSG_SG_EEES6_PlJNSB_9not_fun_tI7is_trueIfEEEEEE10hipError_tPvRmT3_T4_T5_T6_T7_T9_mT8_P12ihipStream_tbDpT10_ENKUlT_T0_E_clISt17integral_constantIbLb1EES1B_EEDaS16_S17_EUlS16_E_NS1_11comp_targetILNS1_3genE10ELNS1_11target_archE1200ELNS1_3gpuE4ELNS1_3repE0EEENS1_30default_config_static_selectorELNS0_4arch9wavefront6targetE0EEEvT1_.num_vgpr, 0
	.set _ZN7rocprim17ROCPRIM_400000_NS6detail17trampoline_kernelINS0_14default_configENS1_25partition_config_selectorILNS1_17partition_subalgoE6EfNS0_10empty_typeEbEEZZNS1_14partition_implILS5_6ELb0ES3_mN6thrust23THRUST_200600_302600_NS6detail15normal_iteratorINSA_10device_ptrIfEEEEPS6_SG_NS0_5tupleIJNSA_16discard_iteratorINSA_11use_defaultEEES6_EEENSH_IJSG_SG_EEES6_PlJNSB_9not_fun_tI7is_trueIfEEEEEE10hipError_tPvRmT3_T4_T5_T6_T7_T9_mT8_P12ihipStream_tbDpT10_ENKUlT_T0_E_clISt17integral_constantIbLb1EES1B_EEDaS16_S17_EUlS16_E_NS1_11comp_targetILNS1_3genE10ELNS1_11target_archE1200ELNS1_3gpuE4ELNS1_3repE0EEENS1_30default_config_static_selectorELNS0_4arch9wavefront6targetE0EEEvT1_.num_agpr, 0
	.set _ZN7rocprim17ROCPRIM_400000_NS6detail17trampoline_kernelINS0_14default_configENS1_25partition_config_selectorILNS1_17partition_subalgoE6EfNS0_10empty_typeEbEEZZNS1_14partition_implILS5_6ELb0ES3_mN6thrust23THRUST_200600_302600_NS6detail15normal_iteratorINSA_10device_ptrIfEEEEPS6_SG_NS0_5tupleIJNSA_16discard_iteratorINSA_11use_defaultEEES6_EEENSH_IJSG_SG_EEES6_PlJNSB_9not_fun_tI7is_trueIfEEEEEE10hipError_tPvRmT3_T4_T5_T6_T7_T9_mT8_P12ihipStream_tbDpT10_ENKUlT_T0_E_clISt17integral_constantIbLb1EES1B_EEDaS16_S17_EUlS16_E_NS1_11comp_targetILNS1_3genE10ELNS1_11target_archE1200ELNS1_3gpuE4ELNS1_3repE0EEENS1_30default_config_static_selectorELNS0_4arch9wavefront6targetE0EEEvT1_.numbered_sgpr, 0
	.set _ZN7rocprim17ROCPRIM_400000_NS6detail17trampoline_kernelINS0_14default_configENS1_25partition_config_selectorILNS1_17partition_subalgoE6EfNS0_10empty_typeEbEEZZNS1_14partition_implILS5_6ELb0ES3_mN6thrust23THRUST_200600_302600_NS6detail15normal_iteratorINSA_10device_ptrIfEEEEPS6_SG_NS0_5tupleIJNSA_16discard_iteratorINSA_11use_defaultEEES6_EEENSH_IJSG_SG_EEES6_PlJNSB_9not_fun_tI7is_trueIfEEEEEE10hipError_tPvRmT3_T4_T5_T6_T7_T9_mT8_P12ihipStream_tbDpT10_ENKUlT_T0_E_clISt17integral_constantIbLb1EES1B_EEDaS16_S17_EUlS16_E_NS1_11comp_targetILNS1_3genE10ELNS1_11target_archE1200ELNS1_3gpuE4ELNS1_3repE0EEENS1_30default_config_static_selectorELNS0_4arch9wavefront6targetE0EEEvT1_.num_named_barrier, 0
	.set _ZN7rocprim17ROCPRIM_400000_NS6detail17trampoline_kernelINS0_14default_configENS1_25partition_config_selectorILNS1_17partition_subalgoE6EfNS0_10empty_typeEbEEZZNS1_14partition_implILS5_6ELb0ES3_mN6thrust23THRUST_200600_302600_NS6detail15normal_iteratorINSA_10device_ptrIfEEEEPS6_SG_NS0_5tupleIJNSA_16discard_iteratorINSA_11use_defaultEEES6_EEENSH_IJSG_SG_EEES6_PlJNSB_9not_fun_tI7is_trueIfEEEEEE10hipError_tPvRmT3_T4_T5_T6_T7_T9_mT8_P12ihipStream_tbDpT10_ENKUlT_T0_E_clISt17integral_constantIbLb1EES1B_EEDaS16_S17_EUlS16_E_NS1_11comp_targetILNS1_3genE10ELNS1_11target_archE1200ELNS1_3gpuE4ELNS1_3repE0EEENS1_30default_config_static_selectorELNS0_4arch9wavefront6targetE0EEEvT1_.private_seg_size, 0
	.set _ZN7rocprim17ROCPRIM_400000_NS6detail17trampoline_kernelINS0_14default_configENS1_25partition_config_selectorILNS1_17partition_subalgoE6EfNS0_10empty_typeEbEEZZNS1_14partition_implILS5_6ELb0ES3_mN6thrust23THRUST_200600_302600_NS6detail15normal_iteratorINSA_10device_ptrIfEEEEPS6_SG_NS0_5tupleIJNSA_16discard_iteratorINSA_11use_defaultEEES6_EEENSH_IJSG_SG_EEES6_PlJNSB_9not_fun_tI7is_trueIfEEEEEE10hipError_tPvRmT3_T4_T5_T6_T7_T9_mT8_P12ihipStream_tbDpT10_ENKUlT_T0_E_clISt17integral_constantIbLb1EES1B_EEDaS16_S17_EUlS16_E_NS1_11comp_targetILNS1_3genE10ELNS1_11target_archE1200ELNS1_3gpuE4ELNS1_3repE0EEENS1_30default_config_static_selectorELNS0_4arch9wavefront6targetE0EEEvT1_.uses_vcc, 0
	.set _ZN7rocprim17ROCPRIM_400000_NS6detail17trampoline_kernelINS0_14default_configENS1_25partition_config_selectorILNS1_17partition_subalgoE6EfNS0_10empty_typeEbEEZZNS1_14partition_implILS5_6ELb0ES3_mN6thrust23THRUST_200600_302600_NS6detail15normal_iteratorINSA_10device_ptrIfEEEEPS6_SG_NS0_5tupleIJNSA_16discard_iteratorINSA_11use_defaultEEES6_EEENSH_IJSG_SG_EEES6_PlJNSB_9not_fun_tI7is_trueIfEEEEEE10hipError_tPvRmT3_T4_T5_T6_T7_T9_mT8_P12ihipStream_tbDpT10_ENKUlT_T0_E_clISt17integral_constantIbLb1EES1B_EEDaS16_S17_EUlS16_E_NS1_11comp_targetILNS1_3genE10ELNS1_11target_archE1200ELNS1_3gpuE4ELNS1_3repE0EEENS1_30default_config_static_selectorELNS0_4arch9wavefront6targetE0EEEvT1_.uses_flat_scratch, 0
	.set _ZN7rocprim17ROCPRIM_400000_NS6detail17trampoline_kernelINS0_14default_configENS1_25partition_config_selectorILNS1_17partition_subalgoE6EfNS0_10empty_typeEbEEZZNS1_14partition_implILS5_6ELb0ES3_mN6thrust23THRUST_200600_302600_NS6detail15normal_iteratorINSA_10device_ptrIfEEEEPS6_SG_NS0_5tupleIJNSA_16discard_iteratorINSA_11use_defaultEEES6_EEENSH_IJSG_SG_EEES6_PlJNSB_9not_fun_tI7is_trueIfEEEEEE10hipError_tPvRmT3_T4_T5_T6_T7_T9_mT8_P12ihipStream_tbDpT10_ENKUlT_T0_E_clISt17integral_constantIbLb1EES1B_EEDaS16_S17_EUlS16_E_NS1_11comp_targetILNS1_3genE10ELNS1_11target_archE1200ELNS1_3gpuE4ELNS1_3repE0EEENS1_30default_config_static_selectorELNS0_4arch9wavefront6targetE0EEEvT1_.has_dyn_sized_stack, 0
	.set _ZN7rocprim17ROCPRIM_400000_NS6detail17trampoline_kernelINS0_14default_configENS1_25partition_config_selectorILNS1_17partition_subalgoE6EfNS0_10empty_typeEbEEZZNS1_14partition_implILS5_6ELb0ES3_mN6thrust23THRUST_200600_302600_NS6detail15normal_iteratorINSA_10device_ptrIfEEEEPS6_SG_NS0_5tupleIJNSA_16discard_iteratorINSA_11use_defaultEEES6_EEENSH_IJSG_SG_EEES6_PlJNSB_9not_fun_tI7is_trueIfEEEEEE10hipError_tPvRmT3_T4_T5_T6_T7_T9_mT8_P12ihipStream_tbDpT10_ENKUlT_T0_E_clISt17integral_constantIbLb1EES1B_EEDaS16_S17_EUlS16_E_NS1_11comp_targetILNS1_3genE10ELNS1_11target_archE1200ELNS1_3gpuE4ELNS1_3repE0EEENS1_30default_config_static_selectorELNS0_4arch9wavefront6targetE0EEEvT1_.has_recursion, 0
	.set _ZN7rocprim17ROCPRIM_400000_NS6detail17trampoline_kernelINS0_14default_configENS1_25partition_config_selectorILNS1_17partition_subalgoE6EfNS0_10empty_typeEbEEZZNS1_14partition_implILS5_6ELb0ES3_mN6thrust23THRUST_200600_302600_NS6detail15normal_iteratorINSA_10device_ptrIfEEEEPS6_SG_NS0_5tupleIJNSA_16discard_iteratorINSA_11use_defaultEEES6_EEENSH_IJSG_SG_EEES6_PlJNSB_9not_fun_tI7is_trueIfEEEEEE10hipError_tPvRmT3_T4_T5_T6_T7_T9_mT8_P12ihipStream_tbDpT10_ENKUlT_T0_E_clISt17integral_constantIbLb1EES1B_EEDaS16_S17_EUlS16_E_NS1_11comp_targetILNS1_3genE10ELNS1_11target_archE1200ELNS1_3gpuE4ELNS1_3repE0EEENS1_30default_config_static_selectorELNS0_4arch9wavefront6targetE0EEEvT1_.has_indirect_call, 0
	.section	.AMDGPU.csdata,"",@progbits
; Kernel info:
; codeLenInByte = 4
; TotalNumSgprs: 0
; NumVgprs: 0
; ScratchSize: 0
; MemoryBound: 0
; FloatMode: 240
; IeeeMode: 1
; LDSByteSize: 0 bytes/workgroup (compile time only)
; SGPRBlocks: 0
; VGPRBlocks: 0
; NumSGPRsForWavesPerEU: 1
; NumVGPRsForWavesPerEU: 1
; Occupancy: 16
; WaveLimiterHint : 0
; COMPUTE_PGM_RSRC2:SCRATCH_EN: 0
; COMPUTE_PGM_RSRC2:USER_SGPR: 2
; COMPUTE_PGM_RSRC2:TRAP_HANDLER: 0
; COMPUTE_PGM_RSRC2:TGID_X_EN: 1
; COMPUTE_PGM_RSRC2:TGID_Y_EN: 0
; COMPUTE_PGM_RSRC2:TGID_Z_EN: 0
; COMPUTE_PGM_RSRC2:TIDIG_COMP_CNT: 0
	.section	.text._ZN7rocprim17ROCPRIM_400000_NS6detail17trampoline_kernelINS0_14default_configENS1_25partition_config_selectorILNS1_17partition_subalgoE6EfNS0_10empty_typeEbEEZZNS1_14partition_implILS5_6ELb0ES3_mN6thrust23THRUST_200600_302600_NS6detail15normal_iteratorINSA_10device_ptrIfEEEEPS6_SG_NS0_5tupleIJNSA_16discard_iteratorINSA_11use_defaultEEES6_EEENSH_IJSG_SG_EEES6_PlJNSB_9not_fun_tI7is_trueIfEEEEEE10hipError_tPvRmT3_T4_T5_T6_T7_T9_mT8_P12ihipStream_tbDpT10_ENKUlT_T0_E_clISt17integral_constantIbLb1EES1B_EEDaS16_S17_EUlS16_E_NS1_11comp_targetILNS1_3genE9ELNS1_11target_archE1100ELNS1_3gpuE3ELNS1_3repE0EEENS1_30default_config_static_selectorELNS0_4arch9wavefront6targetE0EEEvT1_,"axG",@progbits,_ZN7rocprim17ROCPRIM_400000_NS6detail17trampoline_kernelINS0_14default_configENS1_25partition_config_selectorILNS1_17partition_subalgoE6EfNS0_10empty_typeEbEEZZNS1_14partition_implILS5_6ELb0ES3_mN6thrust23THRUST_200600_302600_NS6detail15normal_iteratorINSA_10device_ptrIfEEEEPS6_SG_NS0_5tupleIJNSA_16discard_iteratorINSA_11use_defaultEEES6_EEENSH_IJSG_SG_EEES6_PlJNSB_9not_fun_tI7is_trueIfEEEEEE10hipError_tPvRmT3_T4_T5_T6_T7_T9_mT8_P12ihipStream_tbDpT10_ENKUlT_T0_E_clISt17integral_constantIbLb1EES1B_EEDaS16_S17_EUlS16_E_NS1_11comp_targetILNS1_3genE9ELNS1_11target_archE1100ELNS1_3gpuE3ELNS1_3repE0EEENS1_30default_config_static_selectorELNS0_4arch9wavefront6targetE0EEEvT1_,comdat
	.protected	_ZN7rocprim17ROCPRIM_400000_NS6detail17trampoline_kernelINS0_14default_configENS1_25partition_config_selectorILNS1_17partition_subalgoE6EfNS0_10empty_typeEbEEZZNS1_14partition_implILS5_6ELb0ES3_mN6thrust23THRUST_200600_302600_NS6detail15normal_iteratorINSA_10device_ptrIfEEEEPS6_SG_NS0_5tupleIJNSA_16discard_iteratorINSA_11use_defaultEEES6_EEENSH_IJSG_SG_EEES6_PlJNSB_9not_fun_tI7is_trueIfEEEEEE10hipError_tPvRmT3_T4_T5_T6_T7_T9_mT8_P12ihipStream_tbDpT10_ENKUlT_T0_E_clISt17integral_constantIbLb1EES1B_EEDaS16_S17_EUlS16_E_NS1_11comp_targetILNS1_3genE9ELNS1_11target_archE1100ELNS1_3gpuE3ELNS1_3repE0EEENS1_30default_config_static_selectorELNS0_4arch9wavefront6targetE0EEEvT1_ ; -- Begin function _ZN7rocprim17ROCPRIM_400000_NS6detail17trampoline_kernelINS0_14default_configENS1_25partition_config_selectorILNS1_17partition_subalgoE6EfNS0_10empty_typeEbEEZZNS1_14partition_implILS5_6ELb0ES3_mN6thrust23THRUST_200600_302600_NS6detail15normal_iteratorINSA_10device_ptrIfEEEEPS6_SG_NS0_5tupleIJNSA_16discard_iteratorINSA_11use_defaultEEES6_EEENSH_IJSG_SG_EEES6_PlJNSB_9not_fun_tI7is_trueIfEEEEEE10hipError_tPvRmT3_T4_T5_T6_T7_T9_mT8_P12ihipStream_tbDpT10_ENKUlT_T0_E_clISt17integral_constantIbLb1EES1B_EEDaS16_S17_EUlS16_E_NS1_11comp_targetILNS1_3genE9ELNS1_11target_archE1100ELNS1_3gpuE3ELNS1_3repE0EEENS1_30default_config_static_selectorELNS0_4arch9wavefront6targetE0EEEvT1_
	.globl	_ZN7rocprim17ROCPRIM_400000_NS6detail17trampoline_kernelINS0_14default_configENS1_25partition_config_selectorILNS1_17partition_subalgoE6EfNS0_10empty_typeEbEEZZNS1_14partition_implILS5_6ELb0ES3_mN6thrust23THRUST_200600_302600_NS6detail15normal_iteratorINSA_10device_ptrIfEEEEPS6_SG_NS0_5tupleIJNSA_16discard_iteratorINSA_11use_defaultEEES6_EEENSH_IJSG_SG_EEES6_PlJNSB_9not_fun_tI7is_trueIfEEEEEE10hipError_tPvRmT3_T4_T5_T6_T7_T9_mT8_P12ihipStream_tbDpT10_ENKUlT_T0_E_clISt17integral_constantIbLb1EES1B_EEDaS16_S17_EUlS16_E_NS1_11comp_targetILNS1_3genE9ELNS1_11target_archE1100ELNS1_3gpuE3ELNS1_3repE0EEENS1_30default_config_static_selectorELNS0_4arch9wavefront6targetE0EEEvT1_
	.p2align	8
	.type	_ZN7rocprim17ROCPRIM_400000_NS6detail17trampoline_kernelINS0_14default_configENS1_25partition_config_selectorILNS1_17partition_subalgoE6EfNS0_10empty_typeEbEEZZNS1_14partition_implILS5_6ELb0ES3_mN6thrust23THRUST_200600_302600_NS6detail15normal_iteratorINSA_10device_ptrIfEEEEPS6_SG_NS0_5tupleIJNSA_16discard_iteratorINSA_11use_defaultEEES6_EEENSH_IJSG_SG_EEES6_PlJNSB_9not_fun_tI7is_trueIfEEEEEE10hipError_tPvRmT3_T4_T5_T6_T7_T9_mT8_P12ihipStream_tbDpT10_ENKUlT_T0_E_clISt17integral_constantIbLb1EES1B_EEDaS16_S17_EUlS16_E_NS1_11comp_targetILNS1_3genE9ELNS1_11target_archE1100ELNS1_3gpuE3ELNS1_3repE0EEENS1_30default_config_static_selectorELNS0_4arch9wavefront6targetE0EEEvT1_,@function
_ZN7rocprim17ROCPRIM_400000_NS6detail17trampoline_kernelINS0_14default_configENS1_25partition_config_selectorILNS1_17partition_subalgoE6EfNS0_10empty_typeEbEEZZNS1_14partition_implILS5_6ELb0ES3_mN6thrust23THRUST_200600_302600_NS6detail15normal_iteratorINSA_10device_ptrIfEEEEPS6_SG_NS0_5tupleIJNSA_16discard_iteratorINSA_11use_defaultEEES6_EEENSH_IJSG_SG_EEES6_PlJNSB_9not_fun_tI7is_trueIfEEEEEE10hipError_tPvRmT3_T4_T5_T6_T7_T9_mT8_P12ihipStream_tbDpT10_ENKUlT_T0_E_clISt17integral_constantIbLb1EES1B_EEDaS16_S17_EUlS16_E_NS1_11comp_targetILNS1_3genE9ELNS1_11target_archE1100ELNS1_3gpuE3ELNS1_3repE0EEENS1_30default_config_static_selectorELNS0_4arch9wavefront6targetE0EEEvT1_: ; @_ZN7rocprim17ROCPRIM_400000_NS6detail17trampoline_kernelINS0_14default_configENS1_25partition_config_selectorILNS1_17partition_subalgoE6EfNS0_10empty_typeEbEEZZNS1_14partition_implILS5_6ELb0ES3_mN6thrust23THRUST_200600_302600_NS6detail15normal_iteratorINSA_10device_ptrIfEEEEPS6_SG_NS0_5tupleIJNSA_16discard_iteratorINSA_11use_defaultEEES6_EEENSH_IJSG_SG_EEES6_PlJNSB_9not_fun_tI7is_trueIfEEEEEE10hipError_tPvRmT3_T4_T5_T6_T7_T9_mT8_P12ihipStream_tbDpT10_ENKUlT_T0_E_clISt17integral_constantIbLb1EES1B_EEDaS16_S17_EUlS16_E_NS1_11comp_targetILNS1_3genE9ELNS1_11target_archE1100ELNS1_3gpuE3ELNS1_3repE0EEENS1_30default_config_static_selectorELNS0_4arch9wavefront6targetE0EEEvT1_
; %bb.0:
	.section	.rodata,"a",@progbits
	.p2align	6, 0x0
	.amdhsa_kernel _ZN7rocprim17ROCPRIM_400000_NS6detail17trampoline_kernelINS0_14default_configENS1_25partition_config_selectorILNS1_17partition_subalgoE6EfNS0_10empty_typeEbEEZZNS1_14partition_implILS5_6ELb0ES3_mN6thrust23THRUST_200600_302600_NS6detail15normal_iteratorINSA_10device_ptrIfEEEEPS6_SG_NS0_5tupleIJNSA_16discard_iteratorINSA_11use_defaultEEES6_EEENSH_IJSG_SG_EEES6_PlJNSB_9not_fun_tI7is_trueIfEEEEEE10hipError_tPvRmT3_T4_T5_T6_T7_T9_mT8_P12ihipStream_tbDpT10_ENKUlT_T0_E_clISt17integral_constantIbLb1EES1B_EEDaS16_S17_EUlS16_E_NS1_11comp_targetILNS1_3genE9ELNS1_11target_archE1100ELNS1_3gpuE3ELNS1_3repE0EEENS1_30default_config_static_selectorELNS0_4arch9wavefront6targetE0EEEvT1_
		.amdhsa_group_segment_fixed_size 0
		.amdhsa_private_segment_fixed_size 0
		.amdhsa_kernarg_size 136
		.amdhsa_user_sgpr_count 2
		.amdhsa_user_sgpr_dispatch_ptr 0
		.amdhsa_user_sgpr_queue_ptr 0
		.amdhsa_user_sgpr_kernarg_segment_ptr 1
		.amdhsa_user_sgpr_dispatch_id 0
		.amdhsa_user_sgpr_private_segment_size 0
		.amdhsa_wavefront_size32 1
		.amdhsa_uses_dynamic_stack 0
		.amdhsa_enable_private_segment 0
		.amdhsa_system_sgpr_workgroup_id_x 1
		.amdhsa_system_sgpr_workgroup_id_y 0
		.amdhsa_system_sgpr_workgroup_id_z 0
		.amdhsa_system_sgpr_workgroup_info 0
		.amdhsa_system_vgpr_workitem_id 0
		.amdhsa_next_free_vgpr 1
		.amdhsa_next_free_sgpr 1
		.amdhsa_reserve_vcc 0
		.amdhsa_float_round_mode_32 0
		.amdhsa_float_round_mode_16_64 0
		.amdhsa_float_denorm_mode_32 3
		.amdhsa_float_denorm_mode_16_64 3
		.amdhsa_fp16_overflow 0
		.amdhsa_workgroup_processor_mode 1
		.amdhsa_memory_ordered 1
		.amdhsa_forward_progress 1
		.amdhsa_inst_pref_size 0
		.amdhsa_round_robin_scheduling 0
		.amdhsa_exception_fp_ieee_invalid_op 0
		.amdhsa_exception_fp_denorm_src 0
		.amdhsa_exception_fp_ieee_div_zero 0
		.amdhsa_exception_fp_ieee_overflow 0
		.amdhsa_exception_fp_ieee_underflow 0
		.amdhsa_exception_fp_ieee_inexact 0
		.amdhsa_exception_int_div_zero 0
	.end_amdhsa_kernel
	.section	.text._ZN7rocprim17ROCPRIM_400000_NS6detail17trampoline_kernelINS0_14default_configENS1_25partition_config_selectorILNS1_17partition_subalgoE6EfNS0_10empty_typeEbEEZZNS1_14partition_implILS5_6ELb0ES3_mN6thrust23THRUST_200600_302600_NS6detail15normal_iteratorINSA_10device_ptrIfEEEEPS6_SG_NS0_5tupleIJNSA_16discard_iteratorINSA_11use_defaultEEES6_EEENSH_IJSG_SG_EEES6_PlJNSB_9not_fun_tI7is_trueIfEEEEEE10hipError_tPvRmT3_T4_T5_T6_T7_T9_mT8_P12ihipStream_tbDpT10_ENKUlT_T0_E_clISt17integral_constantIbLb1EES1B_EEDaS16_S17_EUlS16_E_NS1_11comp_targetILNS1_3genE9ELNS1_11target_archE1100ELNS1_3gpuE3ELNS1_3repE0EEENS1_30default_config_static_selectorELNS0_4arch9wavefront6targetE0EEEvT1_,"axG",@progbits,_ZN7rocprim17ROCPRIM_400000_NS6detail17trampoline_kernelINS0_14default_configENS1_25partition_config_selectorILNS1_17partition_subalgoE6EfNS0_10empty_typeEbEEZZNS1_14partition_implILS5_6ELb0ES3_mN6thrust23THRUST_200600_302600_NS6detail15normal_iteratorINSA_10device_ptrIfEEEEPS6_SG_NS0_5tupleIJNSA_16discard_iteratorINSA_11use_defaultEEES6_EEENSH_IJSG_SG_EEES6_PlJNSB_9not_fun_tI7is_trueIfEEEEEE10hipError_tPvRmT3_T4_T5_T6_T7_T9_mT8_P12ihipStream_tbDpT10_ENKUlT_T0_E_clISt17integral_constantIbLb1EES1B_EEDaS16_S17_EUlS16_E_NS1_11comp_targetILNS1_3genE9ELNS1_11target_archE1100ELNS1_3gpuE3ELNS1_3repE0EEENS1_30default_config_static_selectorELNS0_4arch9wavefront6targetE0EEEvT1_,comdat
.Lfunc_end2123:
	.size	_ZN7rocprim17ROCPRIM_400000_NS6detail17trampoline_kernelINS0_14default_configENS1_25partition_config_selectorILNS1_17partition_subalgoE6EfNS0_10empty_typeEbEEZZNS1_14partition_implILS5_6ELb0ES3_mN6thrust23THRUST_200600_302600_NS6detail15normal_iteratorINSA_10device_ptrIfEEEEPS6_SG_NS0_5tupleIJNSA_16discard_iteratorINSA_11use_defaultEEES6_EEENSH_IJSG_SG_EEES6_PlJNSB_9not_fun_tI7is_trueIfEEEEEE10hipError_tPvRmT3_T4_T5_T6_T7_T9_mT8_P12ihipStream_tbDpT10_ENKUlT_T0_E_clISt17integral_constantIbLb1EES1B_EEDaS16_S17_EUlS16_E_NS1_11comp_targetILNS1_3genE9ELNS1_11target_archE1100ELNS1_3gpuE3ELNS1_3repE0EEENS1_30default_config_static_selectorELNS0_4arch9wavefront6targetE0EEEvT1_, .Lfunc_end2123-_ZN7rocprim17ROCPRIM_400000_NS6detail17trampoline_kernelINS0_14default_configENS1_25partition_config_selectorILNS1_17partition_subalgoE6EfNS0_10empty_typeEbEEZZNS1_14partition_implILS5_6ELb0ES3_mN6thrust23THRUST_200600_302600_NS6detail15normal_iteratorINSA_10device_ptrIfEEEEPS6_SG_NS0_5tupleIJNSA_16discard_iteratorINSA_11use_defaultEEES6_EEENSH_IJSG_SG_EEES6_PlJNSB_9not_fun_tI7is_trueIfEEEEEE10hipError_tPvRmT3_T4_T5_T6_T7_T9_mT8_P12ihipStream_tbDpT10_ENKUlT_T0_E_clISt17integral_constantIbLb1EES1B_EEDaS16_S17_EUlS16_E_NS1_11comp_targetILNS1_3genE9ELNS1_11target_archE1100ELNS1_3gpuE3ELNS1_3repE0EEENS1_30default_config_static_selectorELNS0_4arch9wavefront6targetE0EEEvT1_
                                        ; -- End function
	.set _ZN7rocprim17ROCPRIM_400000_NS6detail17trampoline_kernelINS0_14default_configENS1_25partition_config_selectorILNS1_17partition_subalgoE6EfNS0_10empty_typeEbEEZZNS1_14partition_implILS5_6ELb0ES3_mN6thrust23THRUST_200600_302600_NS6detail15normal_iteratorINSA_10device_ptrIfEEEEPS6_SG_NS0_5tupleIJNSA_16discard_iteratorINSA_11use_defaultEEES6_EEENSH_IJSG_SG_EEES6_PlJNSB_9not_fun_tI7is_trueIfEEEEEE10hipError_tPvRmT3_T4_T5_T6_T7_T9_mT8_P12ihipStream_tbDpT10_ENKUlT_T0_E_clISt17integral_constantIbLb1EES1B_EEDaS16_S17_EUlS16_E_NS1_11comp_targetILNS1_3genE9ELNS1_11target_archE1100ELNS1_3gpuE3ELNS1_3repE0EEENS1_30default_config_static_selectorELNS0_4arch9wavefront6targetE0EEEvT1_.num_vgpr, 0
	.set _ZN7rocprim17ROCPRIM_400000_NS6detail17trampoline_kernelINS0_14default_configENS1_25partition_config_selectorILNS1_17partition_subalgoE6EfNS0_10empty_typeEbEEZZNS1_14partition_implILS5_6ELb0ES3_mN6thrust23THRUST_200600_302600_NS6detail15normal_iteratorINSA_10device_ptrIfEEEEPS6_SG_NS0_5tupleIJNSA_16discard_iteratorINSA_11use_defaultEEES6_EEENSH_IJSG_SG_EEES6_PlJNSB_9not_fun_tI7is_trueIfEEEEEE10hipError_tPvRmT3_T4_T5_T6_T7_T9_mT8_P12ihipStream_tbDpT10_ENKUlT_T0_E_clISt17integral_constantIbLb1EES1B_EEDaS16_S17_EUlS16_E_NS1_11comp_targetILNS1_3genE9ELNS1_11target_archE1100ELNS1_3gpuE3ELNS1_3repE0EEENS1_30default_config_static_selectorELNS0_4arch9wavefront6targetE0EEEvT1_.num_agpr, 0
	.set _ZN7rocprim17ROCPRIM_400000_NS6detail17trampoline_kernelINS0_14default_configENS1_25partition_config_selectorILNS1_17partition_subalgoE6EfNS0_10empty_typeEbEEZZNS1_14partition_implILS5_6ELb0ES3_mN6thrust23THRUST_200600_302600_NS6detail15normal_iteratorINSA_10device_ptrIfEEEEPS6_SG_NS0_5tupleIJNSA_16discard_iteratorINSA_11use_defaultEEES6_EEENSH_IJSG_SG_EEES6_PlJNSB_9not_fun_tI7is_trueIfEEEEEE10hipError_tPvRmT3_T4_T5_T6_T7_T9_mT8_P12ihipStream_tbDpT10_ENKUlT_T0_E_clISt17integral_constantIbLb1EES1B_EEDaS16_S17_EUlS16_E_NS1_11comp_targetILNS1_3genE9ELNS1_11target_archE1100ELNS1_3gpuE3ELNS1_3repE0EEENS1_30default_config_static_selectorELNS0_4arch9wavefront6targetE0EEEvT1_.numbered_sgpr, 0
	.set _ZN7rocprim17ROCPRIM_400000_NS6detail17trampoline_kernelINS0_14default_configENS1_25partition_config_selectorILNS1_17partition_subalgoE6EfNS0_10empty_typeEbEEZZNS1_14partition_implILS5_6ELb0ES3_mN6thrust23THRUST_200600_302600_NS6detail15normal_iteratorINSA_10device_ptrIfEEEEPS6_SG_NS0_5tupleIJNSA_16discard_iteratorINSA_11use_defaultEEES6_EEENSH_IJSG_SG_EEES6_PlJNSB_9not_fun_tI7is_trueIfEEEEEE10hipError_tPvRmT3_T4_T5_T6_T7_T9_mT8_P12ihipStream_tbDpT10_ENKUlT_T0_E_clISt17integral_constantIbLb1EES1B_EEDaS16_S17_EUlS16_E_NS1_11comp_targetILNS1_3genE9ELNS1_11target_archE1100ELNS1_3gpuE3ELNS1_3repE0EEENS1_30default_config_static_selectorELNS0_4arch9wavefront6targetE0EEEvT1_.num_named_barrier, 0
	.set _ZN7rocprim17ROCPRIM_400000_NS6detail17trampoline_kernelINS0_14default_configENS1_25partition_config_selectorILNS1_17partition_subalgoE6EfNS0_10empty_typeEbEEZZNS1_14partition_implILS5_6ELb0ES3_mN6thrust23THRUST_200600_302600_NS6detail15normal_iteratorINSA_10device_ptrIfEEEEPS6_SG_NS0_5tupleIJNSA_16discard_iteratorINSA_11use_defaultEEES6_EEENSH_IJSG_SG_EEES6_PlJNSB_9not_fun_tI7is_trueIfEEEEEE10hipError_tPvRmT3_T4_T5_T6_T7_T9_mT8_P12ihipStream_tbDpT10_ENKUlT_T0_E_clISt17integral_constantIbLb1EES1B_EEDaS16_S17_EUlS16_E_NS1_11comp_targetILNS1_3genE9ELNS1_11target_archE1100ELNS1_3gpuE3ELNS1_3repE0EEENS1_30default_config_static_selectorELNS0_4arch9wavefront6targetE0EEEvT1_.private_seg_size, 0
	.set _ZN7rocprim17ROCPRIM_400000_NS6detail17trampoline_kernelINS0_14default_configENS1_25partition_config_selectorILNS1_17partition_subalgoE6EfNS0_10empty_typeEbEEZZNS1_14partition_implILS5_6ELb0ES3_mN6thrust23THRUST_200600_302600_NS6detail15normal_iteratorINSA_10device_ptrIfEEEEPS6_SG_NS0_5tupleIJNSA_16discard_iteratorINSA_11use_defaultEEES6_EEENSH_IJSG_SG_EEES6_PlJNSB_9not_fun_tI7is_trueIfEEEEEE10hipError_tPvRmT3_T4_T5_T6_T7_T9_mT8_P12ihipStream_tbDpT10_ENKUlT_T0_E_clISt17integral_constantIbLb1EES1B_EEDaS16_S17_EUlS16_E_NS1_11comp_targetILNS1_3genE9ELNS1_11target_archE1100ELNS1_3gpuE3ELNS1_3repE0EEENS1_30default_config_static_selectorELNS0_4arch9wavefront6targetE0EEEvT1_.uses_vcc, 0
	.set _ZN7rocprim17ROCPRIM_400000_NS6detail17trampoline_kernelINS0_14default_configENS1_25partition_config_selectorILNS1_17partition_subalgoE6EfNS0_10empty_typeEbEEZZNS1_14partition_implILS5_6ELb0ES3_mN6thrust23THRUST_200600_302600_NS6detail15normal_iteratorINSA_10device_ptrIfEEEEPS6_SG_NS0_5tupleIJNSA_16discard_iteratorINSA_11use_defaultEEES6_EEENSH_IJSG_SG_EEES6_PlJNSB_9not_fun_tI7is_trueIfEEEEEE10hipError_tPvRmT3_T4_T5_T6_T7_T9_mT8_P12ihipStream_tbDpT10_ENKUlT_T0_E_clISt17integral_constantIbLb1EES1B_EEDaS16_S17_EUlS16_E_NS1_11comp_targetILNS1_3genE9ELNS1_11target_archE1100ELNS1_3gpuE3ELNS1_3repE0EEENS1_30default_config_static_selectorELNS0_4arch9wavefront6targetE0EEEvT1_.uses_flat_scratch, 0
	.set _ZN7rocprim17ROCPRIM_400000_NS6detail17trampoline_kernelINS0_14default_configENS1_25partition_config_selectorILNS1_17partition_subalgoE6EfNS0_10empty_typeEbEEZZNS1_14partition_implILS5_6ELb0ES3_mN6thrust23THRUST_200600_302600_NS6detail15normal_iteratorINSA_10device_ptrIfEEEEPS6_SG_NS0_5tupleIJNSA_16discard_iteratorINSA_11use_defaultEEES6_EEENSH_IJSG_SG_EEES6_PlJNSB_9not_fun_tI7is_trueIfEEEEEE10hipError_tPvRmT3_T4_T5_T6_T7_T9_mT8_P12ihipStream_tbDpT10_ENKUlT_T0_E_clISt17integral_constantIbLb1EES1B_EEDaS16_S17_EUlS16_E_NS1_11comp_targetILNS1_3genE9ELNS1_11target_archE1100ELNS1_3gpuE3ELNS1_3repE0EEENS1_30default_config_static_selectorELNS0_4arch9wavefront6targetE0EEEvT1_.has_dyn_sized_stack, 0
	.set _ZN7rocprim17ROCPRIM_400000_NS6detail17trampoline_kernelINS0_14default_configENS1_25partition_config_selectorILNS1_17partition_subalgoE6EfNS0_10empty_typeEbEEZZNS1_14partition_implILS5_6ELb0ES3_mN6thrust23THRUST_200600_302600_NS6detail15normal_iteratorINSA_10device_ptrIfEEEEPS6_SG_NS0_5tupleIJNSA_16discard_iteratorINSA_11use_defaultEEES6_EEENSH_IJSG_SG_EEES6_PlJNSB_9not_fun_tI7is_trueIfEEEEEE10hipError_tPvRmT3_T4_T5_T6_T7_T9_mT8_P12ihipStream_tbDpT10_ENKUlT_T0_E_clISt17integral_constantIbLb1EES1B_EEDaS16_S17_EUlS16_E_NS1_11comp_targetILNS1_3genE9ELNS1_11target_archE1100ELNS1_3gpuE3ELNS1_3repE0EEENS1_30default_config_static_selectorELNS0_4arch9wavefront6targetE0EEEvT1_.has_recursion, 0
	.set _ZN7rocprim17ROCPRIM_400000_NS6detail17trampoline_kernelINS0_14default_configENS1_25partition_config_selectorILNS1_17partition_subalgoE6EfNS0_10empty_typeEbEEZZNS1_14partition_implILS5_6ELb0ES3_mN6thrust23THRUST_200600_302600_NS6detail15normal_iteratorINSA_10device_ptrIfEEEEPS6_SG_NS0_5tupleIJNSA_16discard_iteratorINSA_11use_defaultEEES6_EEENSH_IJSG_SG_EEES6_PlJNSB_9not_fun_tI7is_trueIfEEEEEE10hipError_tPvRmT3_T4_T5_T6_T7_T9_mT8_P12ihipStream_tbDpT10_ENKUlT_T0_E_clISt17integral_constantIbLb1EES1B_EEDaS16_S17_EUlS16_E_NS1_11comp_targetILNS1_3genE9ELNS1_11target_archE1100ELNS1_3gpuE3ELNS1_3repE0EEENS1_30default_config_static_selectorELNS0_4arch9wavefront6targetE0EEEvT1_.has_indirect_call, 0
	.section	.AMDGPU.csdata,"",@progbits
; Kernel info:
; codeLenInByte = 0
; TotalNumSgprs: 0
; NumVgprs: 0
; ScratchSize: 0
; MemoryBound: 0
; FloatMode: 240
; IeeeMode: 1
; LDSByteSize: 0 bytes/workgroup (compile time only)
; SGPRBlocks: 0
; VGPRBlocks: 0
; NumSGPRsForWavesPerEU: 1
; NumVGPRsForWavesPerEU: 1
; Occupancy: 16
; WaveLimiterHint : 0
; COMPUTE_PGM_RSRC2:SCRATCH_EN: 0
; COMPUTE_PGM_RSRC2:USER_SGPR: 2
; COMPUTE_PGM_RSRC2:TRAP_HANDLER: 0
; COMPUTE_PGM_RSRC2:TGID_X_EN: 1
; COMPUTE_PGM_RSRC2:TGID_Y_EN: 0
; COMPUTE_PGM_RSRC2:TGID_Z_EN: 0
; COMPUTE_PGM_RSRC2:TIDIG_COMP_CNT: 0
	.section	.text._ZN7rocprim17ROCPRIM_400000_NS6detail17trampoline_kernelINS0_14default_configENS1_25partition_config_selectorILNS1_17partition_subalgoE6EfNS0_10empty_typeEbEEZZNS1_14partition_implILS5_6ELb0ES3_mN6thrust23THRUST_200600_302600_NS6detail15normal_iteratorINSA_10device_ptrIfEEEEPS6_SG_NS0_5tupleIJNSA_16discard_iteratorINSA_11use_defaultEEES6_EEENSH_IJSG_SG_EEES6_PlJNSB_9not_fun_tI7is_trueIfEEEEEE10hipError_tPvRmT3_T4_T5_T6_T7_T9_mT8_P12ihipStream_tbDpT10_ENKUlT_T0_E_clISt17integral_constantIbLb1EES1B_EEDaS16_S17_EUlS16_E_NS1_11comp_targetILNS1_3genE8ELNS1_11target_archE1030ELNS1_3gpuE2ELNS1_3repE0EEENS1_30default_config_static_selectorELNS0_4arch9wavefront6targetE0EEEvT1_,"axG",@progbits,_ZN7rocprim17ROCPRIM_400000_NS6detail17trampoline_kernelINS0_14default_configENS1_25partition_config_selectorILNS1_17partition_subalgoE6EfNS0_10empty_typeEbEEZZNS1_14partition_implILS5_6ELb0ES3_mN6thrust23THRUST_200600_302600_NS6detail15normal_iteratorINSA_10device_ptrIfEEEEPS6_SG_NS0_5tupleIJNSA_16discard_iteratorINSA_11use_defaultEEES6_EEENSH_IJSG_SG_EEES6_PlJNSB_9not_fun_tI7is_trueIfEEEEEE10hipError_tPvRmT3_T4_T5_T6_T7_T9_mT8_P12ihipStream_tbDpT10_ENKUlT_T0_E_clISt17integral_constantIbLb1EES1B_EEDaS16_S17_EUlS16_E_NS1_11comp_targetILNS1_3genE8ELNS1_11target_archE1030ELNS1_3gpuE2ELNS1_3repE0EEENS1_30default_config_static_selectorELNS0_4arch9wavefront6targetE0EEEvT1_,comdat
	.protected	_ZN7rocprim17ROCPRIM_400000_NS6detail17trampoline_kernelINS0_14default_configENS1_25partition_config_selectorILNS1_17partition_subalgoE6EfNS0_10empty_typeEbEEZZNS1_14partition_implILS5_6ELb0ES3_mN6thrust23THRUST_200600_302600_NS6detail15normal_iteratorINSA_10device_ptrIfEEEEPS6_SG_NS0_5tupleIJNSA_16discard_iteratorINSA_11use_defaultEEES6_EEENSH_IJSG_SG_EEES6_PlJNSB_9not_fun_tI7is_trueIfEEEEEE10hipError_tPvRmT3_T4_T5_T6_T7_T9_mT8_P12ihipStream_tbDpT10_ENKUlT_T0_E_clISt17integral_constantIbLb1EES1B_EEDaS16_S17_EUlS16_E_NS1_11comp_targetILNS1_3genE8ELNS1_11target_archE1030ELNS1_3gpuE2ELNS1_3repE0EEENS1_30default_config_static_selectorELNS0_4arch9wavefront6targetE0EEEvT1_ ; -- Begin function _ZN7rocprim17ROCPRIM_400000_NS6detail17trampoline_kernelINS0_14default_configENS1_25partition_config_selectorILNS1_17partition_subalgoE6EfNS0_10empty_typeEbEEZZNS1_14partition_implILS5_6ELb0ES3_mN6thrust23THRUST_200600_302600_NS6detail15normal_iteratorINSA_10device_ptrIfEEEEPS6_SG_NS0_5tupleIJNSA_16discard_iteratorINSA_11use_defaultEEES6_EEENSH_IJSG_SG_EEES6_PlJNSB_9not_fun_tI7is_trueIfEEEEEE10hipError_tPvRmT3_T4_T5_T6_T7_T9_mT8_P12ihipStream_tbDpT10_ENKUlT_T0_E_clISt17integral_constantIbLb1EES1B_EEDaS16_S17_EUlS16_E_NS1_11comp_targetILNS1_3genE8ELNS1_11target_archE1030ELNS1_3gpuE2ELNS1_3repE0EEENS1_30default_config_static_selectorELNS0_4arch9wavefront6targetE0EEEvT1_
	.globl	_ZN7rocprim17ROCPRIM_400000_NS6detail17trampoline_kernelINS0_14default_configENS1_25partition_config_selectorILNS1_17partition_subalgoE6EfNS0_10empty_typeEbEEZZNS1_14partition_implILS5_6ELb0ES3_mN6thrust23THRUST_200600_302600_NS6detail15normal_iteratorINSA_10device_ptrIfEEEEPS6_SG_NS0_5tupleIJNSA_16discard_iteratorINSA_11use_defaultEEES6_EEENSH_IJSG_SG_EEES6_PlJNSB_9not_fun_tI7is_trueIfEEEEEE10hipError_tPvRmT3_T4_T5_T6_T7_T9_mT8_P12ihipStream_tbDpT10_ENKUlT_T0_E_clISt17integral_constantIbLb1EES1B_EEDaS16_S17_EUlS16_E_NS1_11comp_targetILNS1_3genE8ELNS1_11target_archE1030ELNS1_3gpuE2ELNS1_3repE0EEENS1_30default_config_static_selectorELNS0_4arch9wavefront6targetE0EEEvT1_
	.p2align	8
	.type	_ZN7rocprim17ROCPRIM_400000_NS6detail17trampoline_kernelINS0_14default_configENS1_25partition_config_selectorILNS1_17partition_subalgoE6EfNS0_10empty_typeEbEEZZNS1_14partition_implILS5_6ELb0ES3_mN6thrust23THRUST_200600_302600_NS6detail15normal_iteratorINSA_10device_ptrIfEEEEPS6_SG_NS0_5tupleIJNSA_16discard_iteratorINSA_11use_defaultEEES6_EEENSH_IJSG_SG_EEES6_PlJNSB_9not_fun_tI7is_trueIfEEEEEE10hipError_tPvRmT3_T4_T5_T6_T7_T9_mT8_P12ihipStream_tbDpT10_ENKUlT_T0_E_clISt17integral_constantIbLb1EES1B_EEDaS16_S17_EUlS16_E_NS1_11comp_targetILNS1_3genE8ELNS1_11target_archE1030ELNS1_3gpuE2ELNS1_3repE0EEENS1_30default_config_static_selectorELNS0_4arch9wavefront6targetE0EEEvT1_,@function
_ZN7rocprim17ROCPRIM_400000_NS6detail17trampoline_kernelINS0_14default_configENS1_25partition_config_selectorILNS1_17partition_subalgoE6EfNS0_10empty_typeEbEEZZNS1_14partition_implILS5_6ELb0ES3_mN6thrust23THRUST_200600_302600_NS6detail15normal_iteratorINSA_10device_ptrIfEEEEPS6_SG_NS0_5tupleIJNSA_16discard_iteratorINSA_11use_defaultEEES6_EEENSH_IJSG_SG_EEES6_PlJNSB_9not_fun_tI7is_trueIfEEEEEE10hipError_tPvRmT3_T4_T5_T6_T7_T9_mT8_P12ihipStream_tbDpT10_ENKUlT_T0_E_clISt17integral_constantIbLb1EES1B_EEDaS16_S17_EUlS16_E_NS1_11comp_targetILNS1_3genE8ELNS1_11target_archE1030ELNS1_3gpuE2ELNS1_3repE0EEENS1_30default_config_static_selectorELNS0_4arch9wavefront6targetE0EEEvT1_: ; @_ZN7rocprim17ROCPRIM_400000_NS6detail17trampoline_kernelINS0_14default_configENS1_25partition_config_selectorILNS1_17partition_subalgoE6EfNS0_10empty_typeEbEEZZNS1_14partition_implILS5_6ELb0ES3_mN6thrust23THRUST_200600_302600_NS6detail15normal_iteratorINSA_10device_ptrIfEEEEPS6_SG_NS0_5tupleIJNSA_16discard_iteratorINSA_11use_defaultEEES6_EEENSH_IJSG_SG_EEES6_PlJNSB_9not_fun_tI7is_trueIfEEEEEE10hipError_tPvRmT3_T4_T5_T6_T7_T9_mT8_P12ihipStream_tbDpT10_ENKUlT_T0_E_clISt17integral_constantIbLb1EES1B_EEDaS16_S17_EUlS16_E_NS1_11comp_targetILNS1_3genE8ELNS1_11target_archE1030ELNS1_3gpuE2ELNS1_3repE0EEENS1_30default_config_static_selectorELNS0_4arch9wavefront6targetE0EEEvT1_
; %bb.0:
	.section	.rodata,"a",@progbits
	.p2align	6, 0x0
	.amdhsa_kernel _ZN7rocprim17ROCPRIM_400000_NS6detail17trampoline_kernelINS0_14default_configENS1_25partition_config_selectorILNS1_17partition_subalgoE6EfNS0_10empty_typeEbEEZZNS1_14partition_implILS5_6ELb0ES3_mN6thrust23THRUST_200600_302600_NS6detail15normal_iteratorINSA_10device_ptrIfEEEEPS6_SG_NS0_5tupleIJNSA_16discard_iteratorINSA_11use_defaultEEES6_EEENSH_IJSG_SG_EEES6_PlJNSB_9not_fun_tI7is_trueIfEEEEEE10hipError_tPvRmT3_T4_T5_T6_T7_T9_mT8_P12ihipStream_tbDpT10_ENKUlT_T0_E_clISt17integral_constantIbLb1EES1B_EEDaS16_S17_EUlS16_E_NS1_11comp_targetILNS1_3genE8ELNS1_11target_archE1030ELNS1_3gpuE2ELNS1_3repE0EEENS1_30default_config_static_selectorELNS0_4arch9wavefront6targetE0EEEvT1_
		.amdhsa_group_segment_fixed_size 0
		.amdhsa_private_segment_fixed_size 0
		.amdhsa_kernarg_size 136
		.amdhsa_user_sgpr_count 2
		.amdhsa_user_sgpr_dispatch_ptr 0
		.amdhsa_user_sgpr_queue_ptr 0
		.amdhsa_user_sgpr_kernarg_segment_ptr 1
		.amdhsa_user_sgpr_dispatch_id 0
		.amdhsa_user_sgpr_private_segment_size 0
		.amdhsa_wavefront_size32 1
		.amdhsa_uses_dynamic_stack 0
		.amdhsa_enable_private_segment 0
		.amdhsa_system_sgpr_workgroup_id_x 1
		.amdhsa_system_sgpr_workgroup_id_y 0
		.amdhsa_system_sgpr_workgroup_id_z 0
		.amdhsa_system_sgpr_workgroup_info 0
		.amdhsa_system_vgpr_workitem_id 0
		.amdhsa_next_free_vgpr 1
		.amdhsa_next_free_sgpr 1
		.amdhsa_reserve_vcc 0
		.amdhsa_float_round_mode_32 0
		.amdhsa_float_round_mode_16_64 0
		.amdhsa_float_denorm_mode_32 3
		.amdhsa_float_denorm_mode_16_64 3
		.amdhsa_fp16_overflow 0
		.amdhsa_workgroup_processor_mode 1
		.amdhsa_memory_ordered 1
		.amdhsa_forward_progress 1
		.amdhsa_inst_pref_size 0
		.amdhsa_round_robin_scheduling 0
		.amdhsa_exception_fp_ieee_invalid_op 0
		.amdhsa_exception_fp_denorm_src 0
		.amdhsa_exception_fp_ieee_div_zero 0
		.amdhsa_exception_fp_ieee_overflow 0
		.amdhsa_exception_fp_ieee_underflow 0
		.amdhsa_exception_fp_ieee_inexact 0
		.amdhsa_exception_int_div_zero 0
	.end_amdhsa_kernel
	.section	.text._ZN7rocprim17ROCPRIM_400000_NS6detail17trampoline_kernelINS0_14default_configENS1_25partition_config_selectorILNS1_17partition_subalgoE6EfNS0_10empty_typeEbEEZZNS1_14partition_implILS5_6ELb0ES3_mN6thrust23THRUST_200600_302600_NS6detail15normal_iteratorINSA_10device_ptrIfEEEEPS6_SG_NS0_5tupleIJNSA_16discard_iteratorINSA_11use_defaultEEES6_EEENSH_IJSG_SG_EEES6_PlJNSB_9not_fun_tI7is_trueIfEEEEEE10hipError_tPvRmT3_T4_T5_T6_T7_T9_mT8_P12ihipStream_tbDpT10_ENKUlT_T0_E_clISt17integral_constantIbLb1EES1B_EEDaS16_S17_EUlS16_E_NS1_11comp_targetILNS1_3genE8ELNS1_11target_archE1030ELNS1_3gpuE2ELNS1_3repE0EEENS1_30default_config_static_selectorELNS0_4arch9wavefront6targetE0EEEvT1_,"axG",@progbits,_ZN7rocprim17ROCPRIM_400000_NS6detail17trampoline_kernelINS0_14default_configENS1_25partition_config_selectorILNS1_17partition_subalgoE6EfNS0_10empty_typeEbEEZZNS1_14partition_implILS5_6ELb0ES3_mN6thrust23THRUST_200600_302600_NS6detail15normal_iteratorINSA_10device_ptrIfEEEEPS6_SG_NS0_5tupleIJNSA_16discard_iteratorINSA_11use_defaultEEES6_EEENSH_IJSG_SG_EEES6_PlJNSB_9not_fun_tI7is_trueIfEEEEEE10hipError_tPvRmT3_T4_T5_T6_T7_T9_mT8_P12ihipStream_tbDpT10_ENKUlT_T0_E_clISt17integral_constantIbLb1EES1B_EEDaS16_S17_EUlS16_E_NS1_11comp_targetILNS1_3genE8ELNS1_11target_archE1030ELNS1_3gpuE2ELNS1_3repE0EEENS1_30default_config_static_selectorELNS0_4arch9wavefront6targetE0EEEvT1_,comdat
.Lfunc_end2124:
	.size	_ZN7rocprim17ROCPRIM_400000_NS6detail17trampoline_kernelINS0_14default_configENS1_25partition_config_selectorILNS1_17partition_subalgoE6EfNS0_10empty_typeEbEEZZNS1_14partition_implILS5_6ELb0ES3_mN6thrust23THRUST_200600_302600_NS6detail15normal_iteratorINSA_10device_ptrIfEEEEPS6_SG_NS0_5tupleIJNSA_16discard_iteratorINSA_11use_defaultEEES6_EEENSH_IJSG_SG_EEES6_PlJNSB_9not_fun_tI7is_trueIfEEEEEE10hipError_tPvRmT3_T4_T5_T6_T7_T9_mT8_P12ihipStream_tbDpT10_ENKUlT_T0_E_clISt17integral_constantIbLb1EES1B_EEDaS16_S17_EUlS16_E_NS1_11comp_targetILNS1_3genE8ELNS1_11target_archE1030ELNS1_3gpuE2ELNS1_3repE0EEENS1_30default_config_static_selectorELNS0_4arch9wavefront6targetE0EEEvT1_, .Lfunc_end2124-_ZN7rocprim17ROCPRIM_400000_NS6detail17trampoline_kernelINS0_14default_configENS1_25partition_config_selectorILNS1_17partition_subalgoE6EfNS0_10empty_typeEbEEZZNS1_14partition_implILS5_6ELb0ES3_mN6thrust23THRUST_200600_302600_NS6detail15normal_iteratorINSA_10device_ptrIfEEEEPS6_SG_NS0_5tupleIJNSA_16discard_iteratorINSA_11use_defaultEEES6_EEENSH_IJSG_SG_EEES6_PlJNSB_9not_fun_tI7is_trueIfEEEEEE10hipError_tPvRmT3_T4_T5_T6_T7_T9_mT8_P12ihipStream_tbDpT10_ENKUlT_T0_E_clISt17integral_constantIbLb1EES1B_EEDaS16_S17_EUlS16_E_NS1_11comp_targetILNS1_3genE8ELNS1_11target_archE1030ELNS1_3gpuE2ELNS1_3repE0EEENS1_30default_config_static_selectorELNS0_4arch9wavefront6targetE0EEEvT1_
                                        ; -- End function
	.set _ZN7rocprim17ROCPRIM_400000_NS6detail17trampoline_kernelINS0_14default_configENS1_25partition_config_selectorILNS1_17partition_subalgoE6EfNS0_10empty_typeEbEEZZNS1_14partition_implILS5_6ELb0ES3_mN6thrust23THRUST_200600_302600_NS6detail15normal_iteratorINSA_10device_ptrIfEEEEPS6_SG_NS0_5tupleIJNSA_16discard_iteratorINSA_11use_defaultEEES6_EEENSH_IJSG_SG_EEES6_PlJNSB_9not_fun_tI7is_trueIfEEEEEE10hipError_tPvRmT3_T4_T5_T6_T7_T9_mT8_P12ihipStream_tbDpT10_ENKUlT_T0_E_clISt17integral_constantIbLb1EES1B_EEDaS16_S17_EUlS16_E_NS1_11comp_targetILNS1_3genE8ELNS1_11target_archE1030ELNS1_3gpuE2ELNS1_3repE0EEENS1_30default_config_static_selectorELNS0_4arch9wavefront6targetE0EEEvT1_.num_vgpr, 0
	.set _ZN7rocprim17ROCPRIM_400000_NS6detail17trampoline_kernelINS0_14default_configENS1_25partition_config_selectorILNS1_17partition_subalgoE6EfNS0_10empty_typeEbEEZZNS1_14partition_implILS5_6ELb0ES3_mN6thrust23THRUST_200600_302600_NS6detail15normal_iteratorINSA_10device_ptrIfEEEEPS6_SG_NS0_5tupleIJNSA_16discard_iteratorINSA_11use_defaultEEES6_EEENSH_IJSG_SG_EEES6_PlJNSB_9not_fun_tI7is_trueIfEEEEEE10hipError_tPvRmT3_T4_T5_T6_T7_T9_mT8_P12ihipStream_tbDpT10_ENKUlT_T0_E_clISt17integral_constantIbLb1EES1B_EEDaS16_S17_EUlS16_E_NS1_11comp_targetILNS1_3genE8ELNS1_11target_archE1030ELNS1_3gpuE2ELNS1_3repE0EEENS1_30default_config_static_selectorELNS0_4arch9wavefront6targetE0EEEvT1_.num_agpr, 0
	.set _ZN7rocprim17ROCPRIM_400000_NS6detail17trampoline_kernelINS0_14default_configENS1_25partition_config_selectorILNS1_17partition_subalgoE6EfNS0_10empty_typeEbEEZZNS1_14partition_implILS5_6ELb0ES3_mN6thrust23THRUST_200600_302600_NS6detail15normal_iteratorINSA_10device_ptrIfEEEEPS6_SG_NS0_5tupleIJNSA_16discard_iteratorINSA_11use_defaultEEES6_EEENSH_IJSG_SG_EEES6_PlJNSB_9not_fun_tI7is_trueIfEEEEEE10hipError_tPvRmT3_T4_T5_T6_T7_T9_mT8_P12ihipStream_tbDpT10_ENKUlT_T0_E_clISt17integral_constantIbLb1EES1B_EEDaS16_S17_EUlS16_E_NS1_11comp_targetILNS1_3genE8ELNS1_11target_archE1030ELNS1_3gpuE2ELNS1_3repE0EEENS1_30default_config_static_selectorELNS0_4arch9wavefront6targetE0EEEvT1_.numbered_sgpr, 0
	.set _ZN7rocprim17ROCPRIM_400000_NS6detail17trampoline_kernelINS0_14default_configENS1_25partition_config_selectorILNS1_17partition_subalgoE6EfNS0_10empty_typeEbEEZZNS1_14partition_implILS5_6ELb0ES3_mN6thrust23THRUST_200600_302600_NS6detail15normal_iteratorINSA_10device_ptrIfEEEEPS6_SG_NS0_5tupleIJNSA_16discard_iteratorINSA_11use_defaultEEES6_EEENSH_IJSG_SG_EEES6_PlJNSB_9not_fun_tI7is_trueIfEEEEEE10hipError_tPvRmT3_T4_T5_T6_T7_T9_mT8_P12ihipStream_tbDpT10_ENKUlT_T0_E_clISt17integral_constantIbLb1EES1B_EEDaS16_S17_EUlS16_E_NS1_11comp_targetILNS1_3genE8ELNS1_11target_archE1030ELNS1_3gpuE2ELNS1_3repE0EEENS1_30default_config_static_selectorELNS0_4arch9wavefront6targetE0EEEvT1_.num_named_barrier, 0
	.set _ZN7rocprim17ROCPRIM_400000_NS6detail17trampoline_kernelINS0_14default_configENS1_25partition_config_selectorILNS1_17partition_subalgoE6EfNS0_10empty_typeEbEEZZNS1_14partition_implILS5_6ELb0ES3_mN6thrust23THRUST_200600_302600_NS6detail15normal_iteratorINSA_10device_ptrIfEEEEPS6_SG_NS0_5tupleIJNSA_16discard_iteratorINSA_11use_defaultEEES6_EEENSH_IJSG_SG_EEES6_PlJNSB_9not_fun_tI7is_trueIfEEEEEE10hipError_tPvRmT3_T4_T5_T6_T7_T9_mT8_P12ihipStream_tbDpT10_ENKUlT_T0_E_clISt17integral_constantIbLb1EES1B_EEDaS16_S17_EUlS16_E_NS1_11comp_targetILNS1_3genE8ELNS1_11target_archE1030ELNS1_3gpuE2ELNS1_3repE0EEENS1_30default_config_static_selectorELNS0_4arch9wavefront6targetE0EEEvT1_.private_seg_size, 0
	.set _ZN7rocprim17ROCPRIM_400000_NS6detail17trampoline_kernelINS0_14default_configENS1_25partition_config_selectorILNS1_17partition_subalgoE6EfNS0_10empty_typeEbEEZZNS1_14partition_implILS5_6ELb0ES3_mN6thrust23THRUST_200600_302600_NS6detail15normal_iteratorINSA_10device_ptrIfEEEEPS6_SG_NS0_5tupleIJNSA_16discard_iteratorINSA_11use_defaultEEES6_EEENSH_IJSG_SG_EEES6_PlJNSB_9not_fun_tI7is_trueIfEEEEEE10hipError_tPvRmT3_T4_T5_T6_T7_T9_mT8_P12ihipStream_tbDpT10_ENKUlT_T0_E_clISt17integral_constantIbLb1EES1B_EEDaS16_S17_EUlS16_E_NS1_11comp_targetILNS1_3genE8ELNS1_11target_archE1030ELNS1_3gpuE2ELNS1_3repE0EEENS1_30default_config_static_selectorELNS0_4arch9wavefront6targetE0EEEvT1_.uses_vcc, 0
	.set _ZN7rocprim17ROCPRIM_400000_NS6detail17trampoline_kernelINS0_14default_configENS1_25partition_config_selectorILNS1_17partition_subalgoE6EfNS0_10empty_typeEbEEZZNS1_14partition_implILS5_6ELb0ES3_mN6thrust23THRUST_200600_302600_NS6detail15normal_iteratorINSA_10device_ptrIfEEEEPS6_SG_NS0_5tupleIJNSA_16discard_iteratorINSA_11use_defaultEEES6_EEENSH_IJSG_SG_EEES6_PlJNSB_9not_fun_tI7is_trueIfEEEEEE10hipError_tPvRmT3_T4_T5_T6_T7_T9_mT8_P12ihipStream_tbDpT10_ENKUlT_T0_E_clISt17integral_constantIbLb1EES1B_EEDaS16_S17_EUlS16_E_NS1_11comp_targetILNS1_3genE8ELNS1_11target_archE1030ELNS1_3gpuE2ELNS1_3repE0EEENS1_30default_config_static_selectorELNS0_4arch9wavefront6targetE0EEEvT1_.uses_flat_scratch, 0
	.set _ZN7rocprim17ROCPRIM_400000_NS6detail17trampoline_kernelINS0_14default_configENS1_25partition_config_selectorILNS1_17partition_subalgoE6EfNS0_10empty_typeEbEEZZNS1_14partition_implILS5_6ELb0ES3_mN6thrust23THRUST_200600_302600_NS6detail15normal_iteratorINSA_10device_ptrIfEEEEPS6_SG_NS0_5tupleIJNSA_16discard_iteratorINSA_11use_defaultEEES6_EEENSH_IJSG_SG_EEES6_PlJNSB_9not_fun_tI7is_trueIfEEEEEE10hipError_tPvRmT3_T4_T5_T6_T7_T9_mT8_P12ihipStream_tbDpT10_ENKUlT_T0_E_clISt17integral_constantIbLb1EES1B_EEDaS16_S17_EUlS16_E_NS1_11comp_targetILNS1_3genE8ELNS1_11target_archE1030ELNS1_3gpuE2ELNS1_3repE0EEENS1_30default_config_static_selectorELNS0_4arch9wavefront6targetE0EEEvT1_.has_dyn_sized_stack, 0
	.set _ZN7rocprim17ROCPRIM_400000_NS6detail17trampoline_kernelINS0_14default_configENS1_25partition_config_selectorILNS1_17partition_subalgoE6EfNS0_10empty_typeEbEEZZNS1_14partition_implILS5_6ELb0ES3_mN6thrust23THRUST_200600_302600_NS6detail15normal_iteratorINSA_10device_ptrIfEEEEPS6_SG_NS0_5tupleIJNSA_16discard_iteratorINSA_11use_defaultEEES6_EEENSH_IJSG_SG_EEES6_PlJNSB_9not_fun_tI7is_trueIfEEEEEE10hipError_tPvRmT3_T4_T5_T6_T7_T9_mT8_P12ihipStream_tbDpT10_ENKUlT_T0_E_clISt17integral_constantIbLb1EES1B_EEDaS16_S17_EUlS16_E_NS1_11comp_targetILNS1_3genE8ELNS1_11target_archE1030ELNS1_3gpuE2ELNS1_3repE0EEENS1_30default_config_static_selectorELNS0_4arch9wavefront6targetE0EEEvT1_.has_recursion, 0
	.set _ZN7rocprim17ROCPRIM_400000_NS6detail17trampoline_kernelINS0_14default_configENS1_25partition_config_selectorILNS1_17partition_subalgoE6EfNS0_10empty_typeEbEEZZNS1_14partition_implILS5_6ELb0ES3_mN6thrust23THRUST_200600_302600_NS6detail15normal_iteratorINSA_10device_ptrIfEEEEPS6_SG_NS0_5tupleIJNSA_16discard_iteratorINSA_11use_defaultEEES6_EEENSH_IJSG_SG_EEES6_PlJNSB_9not_fun_tI7is_trueIfEEEEEE10hipError_tPvRmT3_T4_T5_T6_T7_T9_mT8_P12ihipStream_tbDpT10_ENKUlT_T0_E_clISt17integral_constantIbLb1EES1B_EEDaS16_S17_EUlS16_E_NS1_11comp_targetILNS1_3genE8ELNS1_11target_archE1030ELNS1_3gpuE2ELNS1_3repE0EEENS1_30default_config_static_selectorELNS0_4arch9wavefront6targetE0EEEvT1_.has_indirect_call, 0
	.section	.AMDGPU.csdata,"",@progbits
; Kernel info:
; codeLenInByte = 0
; TotalNumSgprs: 0
; NumVgprs: 0
; ScratchSize: 0
; MemoryBound: 0
; FloatMode: 240
; IeeeMode: 1
; LDSByteSize: 0 bytes/workgroup (compile time only)
; SGPRBlocks: 0
; VGPRBlocks: 0
; NumSGPRsForWavesPerEU: 1
; NumVGPRsForWavesPerEU: 1
; Occupancy: 16
; WaveLimiterHint : 0
; COMPUTE_PGM_RSRC2:SCRATCH_EN: 0
; COMPUTE_PGM_RSRC2:USER_SGPR: 2
; COMPUTE_PGM_RSRC2:TRAP_HANDLER: 0
; COMPUTE_PGM_RSRC2:TGID_X_EN: 1
; COMPUTE_PGM_RSRC2:TGID_Y_EN: 0
; COMPUTE_PGM_RSRC2:TGID_Z_EN: 0
; COMPUTE_PGM_RSRC2:TIDIG_COMP_CNT: 0
	.section	.text._ZN7rocprim17ROCPRIM_400000_NS6detail17trampoline_kernelINS0_14default_configENS1_25partition_config_selectorILNS1_17partition_subalgoE6EfNS0_10empty_typeEbEEZZNS1_14partition_implILS5_6ELb0ES3_mN6thrust23THRUST_200600_302600_NS6detail15normal_iteratorINSA_10device_ptrIfEEEEPS6_SG_NS0_5tupleIJNSA_16discard_iteratorINSA_11use_defaultEEES6_EEENSH_IJSG_SG_EEES6_PlJNSB_9not_fun_tI7is_trueIfEEEEEE10hipError_tPvRmT3_T4_T5_T6_T7_T9_mT8_P12ihipStream_tbDpT10_ENKUlT_T0_E_clISt17integral_constantIbLb1EES1A_IbLb0EEEEDaS16_S17_EUlS16_E_NS1_11comp_targetILNS1_3genE0ELNS1_11target_archE4294967295ELNS1_3gpuE0ELNS1_3repE0EEENS1_30default_config_static_selectorELNS0_4arch9wavefront6targetE0EEEvT1_,"axG",@progbits,_ZN7rocprim17ROCPRIM_400000_NS6detail17trampoline_kernelINS0_14default_configENS1_25partition_config_selectorILNS1_17partition_subalgoE6EfNS0_10empty_typeEbEEZZNS1_14partition_implILS5_6ELb0ES3_mN6thrust23THRUST_200600_302600_NS6detail15normal_iteratorINSA_10device_ptrIfEEEEPS6_SG_NS0_5tupleIJNSA_16discard_iteratorINSA_11use_defaultEEES6_EEENSH_IJSG_SG_EEES6_PlJNSB_9not_fun_tI7is_trueIfEEEEEE10hipError_tPvRmT3_T4_T5_T6_T7_T9_mT8_P12ihipStream_tbDpT10_ENKUlT_T0_E_clISt17integral_constantIbLb1EES1A_IbLb0EEEEDaS16_S17_EUlS16_E_NS1_11comp_targetILNS1_3genE0ELNS1_11target_archE4294967295ELNS1_3gpuE0ELNS1_3repE0EEENS1_30default_config_static_selectorELNS0_4arch9wavefront6targetE0EEEvT1_,comdat
	.protected	_ZN7rocprim17ROCPRIM_400000_NS6detail17trampoline_kernelINS0_14default_configENS1_25partition_config_selectorILNS1_17partition_subalgoE6EfNS0_10empty_typeEbEEZZNS1_14partition_implILS5_6ELb0ES3_mN6thrust23THRUST_200600_302600_NS6detail15normal_iteratorINSA_10device_ptrIfEEEEPS6_SG_NS0_5tupleIJNSA_16discard_iteratorINSA_11use_defaultEEES6_EEENSH_IJSG_SG_EEES6_PlJNSB_9not_fun_tI7is_trueIfEEEEEE10hipError_tPvRmT3_T4_T5_T6_T7_T9_mT8_P12ihipStream_tbDpT10_ENKUlT_T0_E_clISt17integral_constantIbLb1EES1A_IbLb0EEEEDaS16_S17_EUlS16_E_NS1_11comp_targetILNS1_3genE0ELNS1_11target_archE4294967295ELNS1_3gpuE0ELNS1_3repE0EEENS1_30default_config_static_selectorELNS0_4arch9wavefront6targetE0EEEvT1_ ; -- Begin function _ZN7rocprim17ROCPRIM_400000_NS6detail17trampoline_kernelINS0_14default_configENS1_25partition_config_selectorILNS1_17partition_subalgoE6EfNS0_10empty_typeEbEEZZNS1_14partition_implILS5_6ELb0ES3_mN6thrust23THRUST_200600_302600_NS6detail15normal_iteratorINSA_10device_ptrIfEEEEPS6_SG_NS0_5tupleIJNSA_16discard_iteratorINSA_11use_defaultEEES6_EEENSH_IJSG_SG_EEES6_PlJNSB_9not_fun_tI7is_trueIfEEEEEE10hipError_tPvRmT3_T4_T5_T6_T7_T9_mT8_P12ihipStream_tbDpT10_ENKUlT_T0_E_clISt17integral_constantIbLb1EES1A_IbLb0EEEEDaS16_S17_EUlS16_E_NS1_11comp_targetILNS1_3genE0ELNS1_11target_archE4294967295ELNS1_3gpuE0ELNS1_3repE0EEENS1_30default_config_static_selectorELNS0_4arch9wavefront6targetE0EEEvT1_
	.globl	_ZN7rocprim17ROCPRIM_400000_NS6detail17trampoline_kernelINS0_14default_configENS1_25partition_config_selectorILNS1_17partition_subalgoE6EfNS0_10empty_typeEbEEZZNS1_14partition_implILS5_6ELb0ES3_mN6thrust23THRUST_200600_302600_NS6detail15normal_iteratorINSA_10device_ptrIfEEEEPS6_SG_NS0_5tupleIJNSA_16discard_iteratorINSA_11use_defaultEEES6_EEENSH_IJSG_SG_EEES6_PlJNSB_9not_fun_tI7is_trueIfEEEEEE10hipError_tPvRmT3_T4_T5_T6_T7_T9_mT8_P12ihipStream_tbDpT10_ENKUlT_T0_E_clISt17integral_constantIbLb1EES1A_IbLb0EEEEDaS16_S17_EUlS16_E_NS1_11comp_targetILNS1_3genE0ELNS1_11target_archE4294967295ELNS1_3gpuE0ELNS1_3repE0EEENS1_30default_config_static_selectorELNS0_4arch9wavefront6targetE0EEEvT1_
	.p2align	8
	.type	_ZN7rocprim17ROCPRIM_400000_NS6detail17trampoline_kernelINS0_14default_configENS1_25partition_config_selectorILNS1_17partition_subalgoE6EfNS0_10empty_typeEbEEZZNS1_14partition_implILS5_6ELb0ES3_mN6thrust23THRUST_200600_302600_NS6detail15normal_iteratorINSA_10device_ptrIfEEEEPS6_SG_NS0_5tupleIJNSA_16discard_iteratorINSA_11use_defaultEEES6_EEENSH_IJSG_SG_EEES6_PlJNSB_9not_fun_tI7is_trueIfEEEEEE10hipError_tPvRmT3_T4_T5_T6_T7_T9_mT8_P12ihipStream_tbDpT10_ENKUlT_T0_E_clISt17integral_constantIbLb1EES1A_IbLb0EEEEDaS16_S17_EUlS16_E_NS1_11comp_targetILNS1_3genE0ELNS1_11target_archE4294967295ELNS1_3gpuE0ELNS1_3repE0EEENS1_30default_config_static_selectorELNS0_4arch9wavefront6targetE0EEEvT1_,@function
_ZN7rocprim17ROCPRIM_400000_NS6detail17trampoline_kernelINS0_14default_configENS1_25partition_config_selectorILNS1_17partition_subalgoE6EfNS0_10empty_typeEbEEZZNS1_14partition_implILS5_6ELb0ES3_mN6thrust23THRUST_200600_302600_NS6detail15normal_iteratorINSA_10device_ptrIfEEEEPS6_SG_NS0_5tupleIJNSA_16discard_iteratorINSA_11use_defaultEEES6_EEENSH_IJSG_SG_EEES6_PlJNSB_9not_fun_tI7is_trueIfEEEEEE10hipError_tPvRmT3_T4_T5_T6_T7_T9_mT8_P12ihipStream_tbDpT10_ENKUlT_T0_E_clISt17integral_constantIbLb1EES1A_IbLb0EEEEDaS16_S17_EUlS16_E_NS1_11comp_targetILNS1_3genE0ELNS1_11target_archE4294967295ELNS1_3gpuE0ELNS1_3repE0EEENS1_30default_config_static_selectorELNS0_4arch9wavefront6targetE0EEEvT1_: ; @_ZN7rocprim17ROCPRIM_400000_NS6detail17trampoline_kernelINS0_14default_configENS1_25partition_config_selectorILNS1_17partition_subalgoE6EfNS0_10empty_typeEbEEZZNS1_14partition_implILS5_6ELb0ES3_mN6thrust23THRUST_200600_302600_NS6detail15normal_iteratorINSA_10device_ptrIfEEEEPS6_SG_NS0_5tupleIJNSA_16discard_iteratorINSA_11use_defaultEEES6_EEENSH_IJSG_SG_EEES6_PlJNSB_9not_fun_tI7is_trueIfEEEEEE10hipError_tPvRmT3_T4_T5_T6_T7_T9_mT8_P12ihipStream_tbDpT10_ENKUlT_T0_E_clISt17integral_constantIbLb1EES1A_IbLb0EEEEDaS16_S17_EUlS16_E_NS1_11comp_targetILNS1_3genE0ELNS1_11target_archE4294967295ELNS1_3gpuE0ELNS1_3repE0EEENS1_30default_config_static_selectorELNS0_4arch9wavefront6targetE0EEEvT1_
; %bb.0:
	.section	.rodata,"a",@progbits
	.p2align	6, 0x0
	.amdhsa_kernel _ZN7rocprim17ROCPRIM_400000_NS6detail17trampoline_kernelINS0_14default_configENS1_25partition_config_selectorILNS1_17partition_subalgoE6EfNS0_10empty_typeEbEEZZNS1_14partition_implILS5_6ELb0ES3_mN6thrust23THRUST_200600_302600_NS6detail15normal_iteratorINSA_10device_ptrIfEEEEPS6_SG_NS0_5tupleIJNSA_16discard_iteratorINSA_11use_defaultEEES6_EEENSH_IJSG_SG_EEES6_PlJNSB_9not_fun_tI7is_trueIfEEEEEE10hipError_tPvRmT3_T4_T5_T6_T7_T9_mT8_P12ihipStream_tbDpT10_ENKUlT_T0_E_clISt17integral_constantIbLb1EES1A_IbLb0EEEEDaS16_S17_EUlS16_E_NS1_11comp_targetILNS1_3genE0ELNS1_11target_archE4294967295ELNS1_3gpuE0ELNS1_3repE0EEENS1_30default_config_static_selectorELNS0_4arch9wavefront6targetE0EEEvT1_
		.amdhsa_group_segment_fixed_size 0
		.amdhsa_private_segment_fixed_size 0
		.amdhsa_kernarg_size 120
		.amdhsa_user_sgpr_count 2
		.amdhsa_user_sgpr_dispatch_ptr 0
		.amdhsa_user_sgpr_queue_ptr 0
		.amdhsa_user_sgpr_kernarg_segment_ptr 1
		.amdhsa_user_sgpr_dispatch_id 0
		.amdhsa_user_sgpr_private_segment_size 0
		.amdhsa_wavefront_size32 1
		.amdhsa_uses_dynamic_stack 0
		.amdhsa_enable_private_segment 0
		.amdhsa_system_sgpr_workgroup_id_x 1
		.amdhsa_system_sgpr_workgroup_id_y 0
		.amdhsa_system_sgpr_workgroup_id_z 0
		.amdhsa_system_sgpr_workgroup_info 0
		.amdhsa_system_vgpr_workitem_id 0
		.amdhsa_next_free_vgpr 1
		.amdhsa_next_free_sgpr 1
		.amdhsa_reserve_vcc 0
		.amdhsa_float_round_mode_32 0
		.amdhsa_float_round_mode_16_64 0
		.amdhsa_float_denorm_mode_32 3
		.amdhsa_float_denorm_mode_16_64 3
		.amdhsa_fp16_overflow 0
		.amdhsa_workgroup_processor_mode 1
		.amdhsa_memory_ordered 1
		.amdhsa_forward_progress 1
		.amdhsa_inst_pref_size 0
		.amdhsa_round_robin_scheduling 0
		.amdhsa_exception_fp_ieee_invalid_op 0
		.amdhsa_exception_fp_denorm_src 0
		.amdhsa_exception_fp_ieee_div_zero 0
		.amdhsa_exception_fp_ieee_overflow 0
		.amdhsa_exception_fp_ieee_underflow 0
		.amdhsa_exception_fp_ieee_inexact 0
		.amdhsa_exception_int_div_zero 0
	.end_amdhsa_kernel
	.section	.text._ZN7rocprim17ROCPRIM_400000_NS6detail17trampoline_kernelINS0_14default_configENS1_25partition_config_selectorILNS1_17partition_subalgoE6EfNS0_10empty_typeEbEEZZNS1_14partition_implILS5_6ELb0ES3_mN6thrust23THRUST_200600_302600_NS6detail15normal_iteratorINSA_10device_ptrIfEEEEPS6_SG_NS0_5tupleIJNSA_16discard_iteratorINSA_11use_defaultEEES6_EEENSH_IJSG_SG_EEES6_PlJNSB_9not_fun_tI7is_trueIfEEEEEE10hipError_tPvRmT3_T4_T5_T6_T7_T9_mT8_P12ihipStream_tbDpT10_ENKUlT_T0_E_clISt17integral_constantIbLb1EES1A_IbLb0EEEEDaS16_S17_EUlS16_E_NS1_11comp_targetILNS1_3genE0ELNS1_11target_archE4294967295ELNS1_3gpuE0ELNS1_3repE0EEENS1_30default_config_static_selectorELNS0_4arch9wavefront6targetE0EEEvT1_,"axG",@progbits,_ZN7rocprim17ROCPRIM_400000_NS6detail17trampoline_kernelINS0_14default_configENS1_25partition_config_selectorILNS1_17partition_subalgoE6EfNS0_10empty_typeEbEEZZNS1_14partition_implILS5_6ELb0ES3_mN6thrust23THRUST_200600_302600_NS6detail15normal_iteratorINSA_10device_ptrIfEEEEPS6_SG_NS0_5tupleIJNSA_16discard_iteratorINSA_11use_defaultEEES6_EEENSH_IJSG_SG_EEES6_PlJNSB_9not_fun_tI7is_trueIfEEEEEE10hipError_tPvRmT3_T4_T5_T6_T7_T9_mT8_P12ihipStream_tbDpT10_ENKUlT_T0_E_clISt17integral_constantIbLb1EES1A_IbLb0EEEEDaS16_S17_EUlS16_E_NS1_11comp_targetILNS1_3genE0ELNS1_11target_archE4294967295ELNS1_3gpuE0ELNS1_3repE0EEENS1_30default_config_static_selectorELNS0_4arch9wavefront6targetE0EEEvT1_,comdat
.Lfunc_end2125:
	.size	_ZN7rocprim17ROCPRIM_400000_NS6detail17trampoline_kernelINS0_14default_configENS1_25partition_config_selectorILNS1_17partition_subalgoE6EfNS0_10empty_typeEbEEZZNS1_14partition_implILS5_6ELb0ES3_mN6thrust23THRUST_200600_302600_NS6detail15normal_iteratorINSA_10device_ptrIfEEEEPS6_SG_NS0_5tupleIJNSA_16discard_iteratorINSA_11use_defaultEEES6_EEENSH_IJSG_SG_EEES6_PlJNSB_9not_fun_tI7is_trueIfEEEEEE10hipError_tPvRmT3_T4_T5_T6_T7_T9_mT8_P12ihipStream_tbDpT10_ENKUlT_T0_E_clISt17integral_constantIbLb1EES1A_IbLb0EEEEDaS16_S17_EUlS16_E_NS1_11comp_targetILNS1_3genE0ELNS1_11target_archE4294967295ELNS1_3gpuE0ELNS1_3repE0EEENS1_30default_config_static_selectorELNS0_4arch9wavefront6targetE0EEEvT1_, .Lfunc_end2125-_ZN7rocprim17ROCPRIM_400000_NS6detail17trampoline_kernelINS0_14default_configENS1_25partition_config_selectorILNS1_17partition_subalgoE6EfNS0_10empty_typeEbEEZZNS1_14partition_implILS5_6ELb0ES3_mN6thrust23THRUST_200600_302600_NS6detail15normal_iteratorINSA_10device_ptrIfEEEEPS6_SG_NS0_5tupleIJNSA_16discard_iteratorINSA_11use_defaultEEES6_EEENSH_IJSG_SG_EEES6_PlJNSB_9not_fun_tI7is_trueIfEEEEEE10hipError_tPvRmT3_T4_T5_T6_T7_T9_mT8_P12ihipStream_tbDpT10_ENKUlT_T0_E_clISt17integral_constantIbLb1EES1A_IbLb0EEEEDaS16_S17_EUlS16_E_NS1_11comp_targetILNS1_3genE0ELNS1_11target_archE4294967295ELNS1_3gpuE0ELNS1_3repE0EEENS1_30default_config_static_selectorELNS0_4arch9wavefront6targetE0EEEvT1_
                                        ; -- End function
	.set _ZN7rocprim17ROCPRIM_400000_NS6detail17trampoline_kernelINS0_14default_configENS1_25partition_config_selectorILNS1_17partition_subalgoE6EfNS0_10empty_typeEbEEZZNS1_14partition_implILS5_6ELb0ES3_mN6thrust23THRUST_200600_302600_NS6detail15normal_iteratorINSA_10device_ptrIfEEEEPS6_SG_NS0_5tupleIJNSA_16discard_iteratorINSA_11use_defaultEEES6_EEENSH_IJSG_SG_EEES6_PlJNSB_9not_fun_tI7is_trueIfEEEEEE10hipError_tPvRmT3_T4_T5_T6_T7_T9_mT8_P12ihipStream_tbDpT10_ENKUlT_T0_E_clISt17integral_constantIbLb1EES1A_IbLb0EEEEDaS16_S17_EUlS16_E_NS1_11comp_targetILNS1_3genE0ELNS1_11target_archE4294967295ELNS1_3gpuE0ELNS1_3repE0EEENS1_30default_config_static_selectorELNS0_4arch9wavefront6targetE0EEEvT1_.num_vgpr, 0
	.set _ZN7rocprim17ROCPRIM_400000_NS6detail17trampoline_kernelINS0_14default_configENS1_25partition_config_selectorILNS1_17partition_subalgoE6EfNS0_10empty_typeEbEEZZNS1_14partition_implILS5_6ELb0ES3_mN6thrust23THRUST_200600_302600_NS6detail15normal_iteratorINSA_10device_ptrIfEEEEPS6_SG_NS0_5tupleIJNSA_16discard_iteratorINSA_11use_defaultEEES6_EEENSH_IJSG_SG_EEES6_PlJNSB_9not_fun_tI7is_trueIfEEEEEE10hipError_tPvRmT3_T4_T5_T6_T7_T9_mT8_P12ihipStream_tbDpT10_ENKUlT_T0_E_clISt17integral_constantIbLb1EES1A_IbLb0EEEEDaS16_S17_EUlS16_E_NS1_11comp_targetILNS1_3genE0ELNS1_11target_archE4294967295ELNS1_3gpuE0ELNS1_3repE0EEENS1_30default_config_static_selectorELNS0_4arch9wavefront6targetE0EEEvT1_.num_agpr, 0
	.set _ZN7rocprim17ROCPRIM_400000_NS6detail17trampoline_kernelINS0_14default_configENS1_25partition_config_selectorILNS1_17partition_subalgoE6EfNS0_10empty_typeEbEEZZNS1_14partition_implILS5_6ELb0ES3_mN6thrust23THRUST_200600_302600_NS6detail15normal_iteratorINSA_10device_ptrIfEEEEPS6_SG_NS0_5tupleIJNSA_16discard_iteratorINSA_11use_defaultEEES6_EEENSH_IJSG_SG_EEES6_PlJNSB_9not_fun_tI7is_trueIfEEEEEE10hipError_tPvRmT3_T4_T5_T6_T7_T9_mT8_P12ihipStream_tbDpT10_ENKUlT_T0_E_clISt17integral_constantIbLb1EES1A_IbLb0EEEEDaS16_S17_EUlS16_E_NS1_11comp_targetILNS1_3genE0ELNS1_11target_archE4294967295ELNS1_3gpuE0ELNS1_3repE0EEENS1_30default_config_static_selectorELNS0_4arch9wavefront6targetE0EEEvT1_.numbered_sgpr, 0
	.set _ZN7rocprim17ROCPRIM_400000_NS6detail17trampoline_kernelINS0_14default_configENS1_25partition_config_selectorILNS1_17partition_subalgoE6EfNS0_10empty_typeEbEEZZNS1_14partition_implILS5_6ELb0ES3_mN6thrust23THRUST_200600_302600_NS6detail15normal_iteratorINSA_10device_ptrIfEEEEPS6_SG_NS0_5tupleIJNSA_16discard_iteratorINSA_11use_defaultEEES6_EEENSH_IJSG_SG_EEES6_PlJNSB_9not_fun_tI7is_trueIfEEEEEE10hipError_tPvRmT3_T4_T5_T6_T7_T9_mT8_P12ihipStream_tbDpT10_ENKUlT_T0_E_clISt17integral_constantIbLb1EES1A_IbLb0EEEEDaS16_S17_EUlS16_E_NS1_11comp_targetILNS1_3genE0ELNS1_11target_archE4294967295ELNS1_3gpuE0ELNS1_3repE0EEENS1_30default_config_static_selectorELNS0_4arch9wavefront6targetE0EEEvT1_.num_named_barrier, 0
	.set _ZN7rocprim17ROCPRIM_400000_NS6detail17trampoline_kernelINS0_14default_configENS1_25partition_config_selectorILNS1_17partition_subalgoE6EfNS0_10empty_typeEbEEZZNS1_14partition_implILS5_6ELb0ES3_mN6thrust23THRUST_200600_302600_NS6detail15normal_iteratorINSA_10device_ptrIfEEEEPS6_SG_NS0_5tupleIJNSA_16discard_iteratorINSA_11use_defaultEEES6_EEENSH_IJSG_SG_EEES6_PlJNSB_9not_fun_tI7is_trueIfEEEEEE10hipError_tPvRmT3_T4_T5_T6_T7_T9_mT8_P12ihipStream_tbDpT10_ENKUlT_T0_E_clISt17integral_constantIbLb1EES1A_IbLb0EEEEDaS16_S17_EUlS16_E_NS1_11comp_targetILNS1_3genE0ELNS1_11target_archE4294967295ELNS1_3gpuE0ELNS1_3repE0EEENS1_30default_config_static_selectorELNS0_4arch9wavefront6targetE0EEEvT1_.private_seg_size, 0
	.set _ZN7rocprim17ROCPRIM_400000_NS6detail17trampoline_kernelINS0_14default_configENS1_25partition_config_selectorILNS1_17partition_subalgoE6EfNS0_10empty_typeEbEEZZNS1_14partition_implILS5_6ELb0ES3_mN6thrust23THRUST_200600_302600_NS6detail15normal_iteratorINSA_10device_ptrIfEEEEPS6_SG_NS0_5tupleIJNSA_16discard_iteratorINSA_11use_defaultEEES6_EEENSH_IJSG_SG_EEES6_PlJNSB_9not_fun_tI7is_trueIfEEEEEE10hipError_tPvRmT3_T4_T5_T6_T7_T9_mT8_P12ihipStream_tbDpT10_ENKUlT_T0_E_clISt17integral_constantIbLb1EES1A_IbLb0EEEEDaS16_S17_EUlS16_E_NS1_11comp_targetILNS1_3genE0ELNS1_11target_archE4294967295ELNS1_3gpuE0ELNS1_3repE0EEENS1_30default_config_static_selectorELNS0_4arch9wavefront6targetE0EEEvT1_.uses_vcc, 0
	.set _ZN7rocprim17ROCPRIM_400000_NS6detail17trampoline_kernelINS0_14default_configENS1_25partition_config_selectorILNS1_17partition_subalgoE6EfNS0_10empty_typeEbEEZZNS1_14partition_implILS5_6ELb0ES3_mN6thrust23THRUST_200600_302600_NS6detail15normal_iteratorINSA_10device_ptrIfEEEEPS6_SG_NS0_5tupleIJNSA_16discard_iteratorINSA_11use_defaultEEES6_EEENSH_IJSG_SG_EEES6_PlJNSB_9not_fun_tI7is_trueIfEEEEEE10hipError_tPvRmT3_T4_T5_T6_T7_T9_mT8_P12ihipStream_tbDpT10_ENKUlT_T0_E_clISt17integral_constantIbLb1EES1A_IbLb0EEEEDaS16_S17_EUlS16_E_NS1_11comp_targetILNS1_3genE0ELNS1_11target_archE4294967295ELNS1_3gpuE0ELNS1_3repE0EEENS1_30default_config_static_selectorELNS0_4arch9wavefront6targetE0EEEvT1_.uses_flat_scratch, 0
	.set _ZN7rocprim17ROCPRIM_400000_NS6detail17trampoline_kernelINS0_14default_configENS1_25partition_config_selectorILNS1_17partition_subalgoE6EfNS0_10empty_typeEbEEZZNS1_14partition_implILS5_6ELb0ES3_mN6thrust23THRUST_200600_302600_NS6detail15normal_iteratorINSA_10device_ptrIfEEEEPS6_SG_NS0_5tupleIJNSA_16discard_iteratorINSA_11use_defaultEEES6_EEENSH_IJSG_SG_EEES6_PlJNSB_9not_fun_tI7is_trueIfEEEEEE10hipError_tPvRmT3_T4_T5_T6_T7_T9_mT8_P12ihipStream_tbDpT10_ENKUlT_T0_E_clISt17integral_constantIbLb1EES1A_IbLb0EEEEDaS16_S17_EUlS16_E_NS1_11comp_targetILNS1_3genE0ELNS1_11target_archE4294967295ELNS1_3gpuE0ELNS1_3repE0EEENS1_30default_config_static_selectorELNS0_4arch9wavefront6targetE0EEEvT1_.has_dyn_sized_stack, 0
	.set _ZN7rocprim17ROCPRIM_400000_NS6detail17trampoline_kernelINS0_14default_configENS1_25partition_config_selectorILNS1_17partition_subalgoE6EfNS0_10empty_typeEbEEZZNS1_14partition_implILS5_6ELb0ES3_mN6thrust23THRUST_200600_302600_NS6detail15normal_iteratorINSA_10device_ptrIfEEEEPS6_SG_NS0_5tupleIJNSA_16discard_iteratorINSA_11use_defaultEEES6_EEENSH_IJSG_SG_EEES6_PlJNSB_9not_fun_tI7is_trueIfEEEEEE10hipError_tPvRmT3_T4_T5_T6_T7_T9_mT8_P12ihipStream_tbDpT10_ENKUlT_T0_E_clISt17integral_constantIbLb1EES1A_IbLb0EEEEDaS16_S17_EUlS16_E_NS1_11comp_targetILNS1_3genE0ELNS1_11target_archE4294967295ELNS1_3gpuE0ELNS1_3repE0EEENS1_30default_config_static_selectorELNS0_4arch9wavefront6targetE0EEEvT1_.has_recursion, 0
	.set _ZN7rocprim17ROCPRIM_400000_NS6detail17trampoline_kernelINS0_14default_configENS1_25partition_config_selectorILNS1_17partition_subalgoE6EfNS0_10empty_typeEbEEZZNS1_14partition_implILS5_6ELb0ES3_mN6thrust23THRUST_200600_302600_NS6detail15normal_iteratorINSA_10device_ptrIfEEEEPS6_SG_NS0_5tupleIJNSA_16discard_iteratorINSA_11use_defaultEEES6_EEENSH_IJSG_SG_EEES6_PlJNSB_9not_fun_tI7is_trueIfEEEEEE10hipError_tPvRmT3_T4_T5_T6_T7_T9_mT8_P12ihipStream_tbDpT10_ENKUlT_T0_E_clISt17integral_constantIbLb1EES1A_IbLb0EEEEDaS16_S17_EUlS16_E_NS1_11comp_targetILNS1_3genE0ELNS1_11target_archE4294967295ELNS1_3gpuE0ELNS1_3repE0EEENS1_30default_config_static_selectorELNS0_4arch9wavefront6targetE0EEEvT1_.has_indirect_call, 0
	.section	.AMDGPU.csdata,"",@progbits
; Kernel info:
; codeLenInByte = 0
; TotalNumSgprs: 0
; NumVgprs: 0
; ScratchSize: 0
; MemoryBound: 0
; FloatMode: 240
; IeeeMode: 1
; LDSByteSize: 0 bytes/workgroup (compile time only)
; SGPRBlocks: 0
; VGPRBlocks: 0
; NumSGPRsForWavesPerEU: 1
; NumVGPRsForWavesPerEU: 1
; Occupancy: 16
; WaveLimiterHint : 0
; COMPUTE_PGM_RSRC2:SCRATCH_EN: 0
; COMPUTE_PGM_RSRC2:USER_SGPR: 2
; COMPUTE_PGM_RSRC2:TRAP_HANDLER: 0
; COMPUTE_PGM_RSRC2:TGID_X_EN: 1
; COMPUTE_PGM_RSRC2:TGID_Y_EN: 0
; COMPUTE_PGM_RSRC2:TGID_Z_EN: 0
; COMPUTE_PGM_RSRC2:TIDIG_COMP_CNT: 0
	.section	.text._ZN7rocprim17ROCPRIM_400000_NS6detail17trampoline_kernelINS0_14default_configENS1_25partition_config_selectorILNS1_17partition_subalgoE6EfNS0_10empty_typeEbEEZZNS1_14partition_implILS5_6ELb0ES3_mN6thrust23THRUST_200600_302600_NS6detail15normal_iteratorINSA_10device_ptrIfEEEEPS6_SG_NS0_5tupleIJNSA_16discard_iteratorINSA_11use_defaultEEES6_EEENSH_IJSG_SG_EEES6_PlJNSB_9not_fun_tI7is_trueIfEEEEEE10hipError_tPvRmT3_T4_T5_T6_T7_T9_mT8_P12ihipStream_tbDpT10_ENKUlT_T0_E_clISt17integral_constantIbLb1EES1A_IbLb0EEEEDaS16_S17_EUlS16_E_NS1_11comp_targetILNS1_3genE5ELNS1_11target_archE942ELNS1_3gpuE9ELNS1_3repE0EEENS1_30default_config_static_selectorELNS0_4arch9wavefront6targetE0EEEvT1_,"axG",@progbits,_ZN7rocprim17ROCPRIM_400000_NS6detail17trampoline_kernelINS0_14default_configENS1_25partition_config_selectorILNS1_17partition_subalgoE6EfNS0_10empty_typeEbEEZZNS1_14partition_implILS5_6ELb0ES3_mN6thrust23THRUST_200600_302600_NS6detail15normal_iteratorINSA_10device_ptrIfEEEEPS6_SG_NS0_5tupleIJNSA_16discard_iteratorINSA_11use_defaultEEES6_EEENSH_IJSG_SG_EEES6_PlJNSB_9not_fun_tI7is_trueIfEEEEEE10hipError_tPvRmT3_T4_T5_T6_T7_T9_mT8_P12ihipStream_tbDpT10_ENKUlT_T0_E_clISt17integral_constantIbLb1EES1A_IbLb0EEEEDaS16_S17_EUlS16_E_NS1_11comp_targetILNS1_3genE5ELNS1_11target_archE942ELNS1_3gpuE9ELNS1_3repE0EEENS1_30default_config_static_selectorELNS0_4arch9wavefront6targetE0EEEvT1_,comdat
	.protected	_ZN7rocprim17ROCPRIM_400000_NS6detail17trampoline_kernelINS0_14default_configENS1_25partition_config_selectorILNS1_17partition_subalgoE6EfNS0_10empty_typeEbEEZZNS1_14partition_implILS5_6ELb0ES3_mN6thrust23THRUST_200600_302600_NS6detail15normal_iteratorINSA_10device_ptrIfEEEEPS6_SG_NS0_5tupleIJNSA_16discard_iteratorINSA_11use_defaultEEES6_EEENSH_IJSG_SG_EEES6_PlJNSB_9not_fun_tI7is_trueIfEEEEEE10hipError_tPvRmT3_T4_T5_T6_T7_T9_mT8_P12ihipStream_tbDpT10_ENKUlT_T0_E_clISt17integral_constantIbLb1EES1A_IbLb0EEEEDaS16_S17_EUlS16_E_NS1_11comp_targetILNS1_3genE5ELNS1_11target_archE942ELNS1_3gpuE9ELNS1_3repE0EEENS1_30default_config_static_selectorELNS0_4arch9wavefront6targetE0EEEvT1_ ; -- Begin function _ZN7rocprim17ROCPRIM_400000_NS6detail17trampoline_kernelINS0_14default_configENS1_25partition_config_selectorILNS1_17partition_subalgoE6EfNS0_10empty_typeEbEEZZNS1_14partition_implILS5_6ELb0ES3_mN6thrust23THRUST_200600_302600_NS6detail15normal_iteratorINSA_10device_ptrIfEEEEPS6_SG_NS0_5tupleIJNSA_16discard_iteratorINSA_11use_defaultEEES6_EEENSH_IJSG_SG_EEES6_PlJNSB_9not_fun_tI7is_trueIfEEEEEE10hipError_tPvRmT3_T4_T5_T6_T7_T9_mT8_P12ihipStream_tbDpT10_ENKUlT_T0_E_clISt17integral_constantIbLb1EES1A_IbLb0EEEEDaS16_S17_EUlS16_E_NS1_11comp_targetILNS1_3genE5ELNS1_11target_archE942ELNS1_3gpuE9ELNS1_3repE0EEENS1_30default_config_static_selectorELNS0_4arch9wavefront6targetE0EEEvT1_
	.globl	_ZN7rocprim17ROCPRIM_400000_NS6detail17trampoline_kernelINS0_14default_configENS1_25partition_config_selectorILNS1_17partition_subalgoE6EfNS0_10empty_typeEbEEZZNS1_14partition_implILS5_6ELb0ES3_mN6thrust23THRUST_200600_302600_NS6detail15normal_iteratorINSA_10device_ptrIfEEEEPS6_SG_NS0_5tupleIJNSA_16discard_iteratorINSA_11use_defaultEEES6_EEENSH_IJSG_SG_EEES6_PlJNSB_9not_fun_tI7is_trueIfEEEEEE10hipError_tPvRmT3_T4_T5_T6_T7_T9_mT8_P12ihipStream_tbDpT10_ENKUlT_T0_E_clISt17integral_constantIbLb1EES1A_IbLb0EEEEDaS16_S17_EUlS16_E_NS1_11comp_targetILNS1_3genE5ELNS1_11target_archE942ELNS1_3gpuE9ELNS1_3repE0EEENS1_30default_config_static_selectorELNS0_4arch9wavefront6targetE0EEEvT1_
	.p2align	8
	.type	_ZN7rocprim17ROCPRIM_400000_NS6detail17trampoline_kernelINS0_14default_configENS1_25partition_config_selectorILNS1_17partition_subalgoE6EfNS0_10empty_typeEbEEZZNS1_14partition_implILS5_6ELb0ES3_mN6thrust23THRUST_200600_302600_NS6detail15normal_iteratorINSA_10device_ptrIfEEEEPS6_SG_NS0_5tupleIJNSA_16discard_iteratorINSA_11use_defaultEEES6_EEENSH_IJSG_SG_EEES6_PlJNSB_9not_fun_tI7is_trueIfEEEEEE10hipError_tPvRmT3_T4_T5_T6_T7_T9_mT8_P12ihipStream_tbDpT10_ENKUlT_T0_E_clISt17integral_constantIbLb1EES1A_IbLb0EEEEDaS16_S17_EUlS16_E_NS1_11comp_targetILNS1_3genE5ELNS1_11target_archE942ELNS1_3gpuE9ELNS1_3repE0EEENS1_30default_config_static_selectorELNS0_4arch9wavefront6targetE0EEEvT1_,@function
_ZN7rocprim17ROCPRIM_400000_NS6detail17trampoline_kernelINS0_14default_configENS1_25partition_config_selectorILNS1_17partition_subalgoE6EfNS0_10empty_typeEbEEZZNS1_14partition_implILS5_6ELb0ES3_mN6thrust23THRUST_200600_302600_NS6detail15normal_iteratorINSA_10device_ptrIfEEEEPS6_SG_NS0_5tupleIJNSA_16discard_iteratorINSA_11use_defaultEEES6_EEENSH_IJSG_SG_EEES6_PlJNSB_9not_fun_tI7is_trueIfEEEEEE10hipError_tPvRmT3_T4_T5_T6_T7_T9_mT8_P12ihipStream_tbDpT10_ENKUlT_T0_E_clISt17integral_constantIbLb1EES1A_IbLb0EEEEDaS16_S17_EUlS16_E_NS1_11comp_targetILNS1_3genE5ELNS1_11target_archE942ELNS1_3gpuE9ELNS1_3repE0EEENS1_30default_config_static_selectorELNS0_4arch9wavefront6targetE0EEEvT1_: ; @_ZN7rocprim17ROCPRIM_400000_NS6detail17trampoline_kernelINS0_14default_configENS1_25partition_config_selectorILNS1_17partition_subalgoE6EfNS0_10empty_typeEbEEZZNS1_14partition_implILS5_6ELb0ES3_mN6thrust23THRUST_200600_302600_NS6detail15normal_iteratorINSA_10device_ptrIfEEEEPS6_SG_NS0_5tupleIJNSA_16discard_iteratorINSA_11use_defaultEEES6_EEENSH_IJSG_SG_EEES6_PlJNSB_9not_fun_tI7is_trueIfEEEEEE10hipError_tPvRmT3_T4_T5_T6_T7_T9_mT8_P12ihipStream_tbDpT10_ENKUlT_T0_E_clISt17integral_constantIbLb1EES1A_IbLb0EEEEDaS16_S17_EUlS16_E_NS1_11comp_targetILNS1_3genE5ELNS1_11target_archE942ELNS1_3gpuE9ELNS1_3repE0EEENS1_30default_config_static_selectorELNS0_4arch9wavefront6targetE0EEEvT1_
; %bb.0:
	.section	.rodata,"a",@progbits
	.p2align	6, 0x0
	.amdhsa_kernel _ZN7rocprim17ROCPRIM_400000_NS6detail17trampoline_kernelINS0_14default_configENS1_25partition_config_selectorILNS1_17partition_subalgoE6EfNS0_10empty_typeEbEEZZNS1_14partition_implILS5_6ELb0ES3_mN6thrust23THRUST_200600_302600_NS6detail15normal_iteratorINSA_10device_ptrIfEEEEPS6_SG_NS0_5tupleIJNSA_16discard_iteratorINSA_11use_defaultEEES6_EEENSH_IJSG_SG_EEES6_PlJNSB_9not_fun_tI7is_trueIfEEEEEE10hipError_tPvRmT3_T4_T5_T6_T7_T9_mT8_P12ihipStream_tbDpT10_ENKUlT_T0_E_clISt17integral_constantIbLb1EES1A_IbLb0EEEEDaS16_S17_EUlS16_E_NS1_11comp_targetILNS1_3genE5ELNS1_11target_archE942ELNS1_3gpuE9ELNS1_3repE0EEENS1_30default_config_static_selectorELNS0_4arch9wavefront6targetE0EEEvT1_
		.amdhsa_group_segment_fixed_size 0
		.amdhsa_private_segment_fixed_size 0
		.amdhsa_kernarg_size 120
		.amdhsa_user_sgpr_count 2
		.amdhsa_user_sgpr_dispatch_ptr 0
		.amdhsa_user_sgpr_queue_ptr 0
		.amdhsa_user_sgpr_kernarg_segment_ptr 1
		.amdhsa_user_sgpr_dispatch_id 0
		.amdhsa_user_sgpr_private_segment_size 0
		.amdhsa_wavefront_size32 1
		.amdhsa_uses_dynamic_stack 0
		.amdhsa_enable_private_segment 0
		.amdhsa_system_sgpr_workgroup_id_x 1
		.amdhsa_system_sgpr_workgroup_id_y 0
		.amdhsa_system_sgpr_workgroup_id_z 0
		.amdhsa_system_sgpr_workgroup_info 0
		.amdhsa_system_vgpr_workitem_id 0
		.amdhsa_next_free_vgpr 1
		.amdhsa_next_free_sgpr 1
		.amdhsa_reserve_vcc 0
		.amdhsa_float_round_mode_32 0
		.amdhsa_float_round_mode_16_64 0
		.amdhsa_float_denorm_mode_32 3
		.amdhsa_float_denorm_mode_16_64 3
		.amdhsa_fp16_overflow 0
		.amdhsa_workgroup_processor_mode 1
		.amdhsa_memory_ordered 1
		.amdhsa_forward_progress 1
		.amdhsa_inst_pref_size 0
		.amdhsa_round_robin_scheduling 0
		.amdhsa_exception_fp_ieee_invalid_op 0
		.amdhsa_exception_fp_denorm_src 0
		.amdhsa_exception_fp_ieee_div_zero 0
		.amdhsa_exception_fp_ieee_overflow 0
		.amdhsa_exception_fp_ieee_underflow 0
		.amdhsa_exception_fp_ieee_inexact 0
		.amdhsa_exception_int_div_zero 0
	.end_amdhsa_kernel
	.section	.text._ZN7rocprim17ROCPRIM_400000_NS6detail17trampoline_kernelINS0_14default_configENS1_25partition_config_selectorILNS1_17partition_subalgoE6EfNS0_10empty_typeEbEEZZNS1_14partition_implILS5_6ELb0ES3_mN6thrust23THRUST_200600_302600_NS6detail15normal_iteratorINSA_10device_ptrIfEEEEPS6_SG_NS0_5tupleIJNSA_16discard_iteratorINSA_11use_defaultEEES6_EEENSH_IJSG_SG_EEES6_PlJNSB_9not_fun_tI7is_trueIfEEEEEE10hipError_tPvRmT3_T4_T5_T6_T7_T9_mT8_P12ihipStream_tbDpT10_ENKUlT_T0_E_clISt17integral_constantIbLb1EES1A_IbLb0EEEEDaS16_S17_EUlS16_E_NS1_11comp_targetILNS1_3genE5ELNS1_11target_archE942ELNS1_3gpuE9ELNS1_3repE0EEENS1_30default_config_static_selectorELNS0_4arch9wavefront6targetE0EEEvT1_,"axG",@progbits,_ZN7rocprim17ROCPRIM_400000_NS6detail17trampoline_kernelINS0_14default_configENS1_25partition_config_selectorILNS1_17partition_subalgoE6EfNS0_10empty_typeEbEEZZNS1_14partition_implILS5_6ELb0ES3_mN6thrust23THRUST_200600_302600_NS6detail15normal_iteratorINSA_10device_ptrIfEEEEPS6_SG_NS0_5tupleIJNSA_16discard_iteratorINSA_11use_defaultEEES6_EEENSH_IJSG_SG_EEES6_PlJNSB_9not_fun_tI7is_trueIfEEEEEE10hipError_tPvRmT3_T4_T5_T6_T7_T9_mT8_P12ihipStream_tbDpT10_ENKUlT_T0_E_clISt17integral_constantIbLb1EES1A_IbLb0EEEEDaS16_S17_EUlS16_E_NS1_11comp_targetILNS1_3genE5ELNS1_11target_archE942ELNS1_3gpuE9ELNS1_3repE0EEENS1_30default_config_static_selectorELNS0_4arch9wavefront6targetE0EEEvT1_,comdat
.Lfunc_end2126:
	.size	_ZN7rocprim17ROCPRIM_400000_NS6detail17trampoline_kernelINS0_14default_configENS1_25partition_config_selectorILNS1_17partition_subalgoE6EfNS0_10empty_typeEbEEZZNS1_14partition_implILS5_6ELb0ES3_mN6thrust23THRUST_200600_302600_NS6detail15normal_iteratorINSA_10device_ptrIfEEEEPS6_SG_NS0_5tupleIJNSA_16discard_iteratorINSA_11use_defaultEEES6_EEENSH_IJSG_SG_EEES6_PlJNSB_9not_fun_tI7is_trueIfEEEEEE10hipError_tPvRmT3_T4_T5_T6_T7_T9_mT8_P12ihipStream_tbDpT10_ENKUlT_T0_E_clISt17integral_constantIbLb1EES1A_IbLb0EEEEDaS16_S17_EUlS16_E_NS1_11comp_targetILNS1_3genE5ELNS1_11target_archE942ELNS1_3gpuE9ELNS1_3repE0EEENS1_30default_config_static_selectorELNS0_4arch9wavefront6targetE0EEEvT1_, .Lfunc_end2126-_ZN7rocprim17ROCPRIM_400000_NS6detail17trampoline_kernelINS0_14default_configENS1_25partition_config_selectorILNS1_17partition_subalgoE6EfNS0_10empty_typeEbEEZZNS1_14partition_implILS5_6ELb0ES3_mN6thrust23THRUST_200600_302600_NS6detail15normal_iteratorINSA_10device_ptrIfEEEEPS6_SG_NS0_5tupleIJNSA_16discard_iteratorINSA_11use_defaultEEES6_EEENSH_IJSG_SG_EEES6_PlJNSB_9not_fun_tI7is_trueIfEEEEEE10hipError_tPvRmT3_T4_T5_T6_T7_T9_mT8_P12ihipStream_tbDpT10_ENKUlT_T0_E_clISt17integral_constantIbLb1EES1A_IbLb0EEEEDaS16_S17_EUlS16_E_NS1_11comp_targetILNS1_3genE5ELNS1_11target_archE942ELNS1_3gpuE9ELNS1_3repE0EEENS1_30default_config_static_selectorELNS0_4arch9wavefront6targetE0EEEvT1_
                                        ; -- End function
	.set _ZN7rocprim17ROCPRIM_400000_NS6detail17trampoline_kernelINS0_14default_configENS1_25partition_config_selectorILNS1_17partition_subalgoE6EfNS0_10empty_typeEbEEZZNS1_14partition_implILS5_6ELb0ES3_mN6thrust23THRUST_200600_302600_NS6detail15normal_iteratorINSA_10device_ptrIfEEEEPS6_SG_NS0_5tupleIJNSA_16discard_iteratorINSA_11use_defaultEEES6_EEENSH_IJSG_SG_EEES6_PlJNSB_9not_fun_tI7is_trueIfEEEEEE10hipError_tPvRmT3_T4_T5_T6_T7_T9_mT8_P12ihipStream_tbDpT10_ENKUlT_T0_E_clISt17integral_constantIbLb1EES1A_IbLb0EEEEDaS16_S17_EUlS16_E_NS1_11comp_targetILNS1_3genE5ELNS1_11target_archE942ELNS1_3gpuE9ELNS1_3repE0EEENS1_30default_config_static_selectorELNS0_4arch9wavefront6targetE0EEEvT1_.num_vgpr, 0
	.set _ZN7rocprim17ROCPRIM_400000_NS6detail17trampoline_kernelINS0_14default_configENS1_25partition_config_selectorILNS1_17partition_subalgoE6EfNS0_10empty_typeEbEEZZNS1_14partition_implILS5_6ELb0ES3_mN6thrust23THRUST_200600_302600_NS6detail15normal_iteratorINSA_10device_ptrIfEEEEPS6_SG_NS0_5tupleIJNSA_16discard_iteratorINSA_11use_defaultEEES6_EEENSH_IJSG_SG_EEES6_PlJNSB_9not_fun_tI7is_trueIfEEEEEE10hipError_tPvRmT3_T4_T5_T6_T7_T9_mT8_P12ihipStream_tbDpT10_ENKUlT_T0_E_clISt17integral_constantIbLb1EES1A_IbLb0EEEEDaS16_S17_EUlS16_E_NS1_11comp_targetILNS1_3genE5ELNS1_11target_archE942ELNS1_3gpuE9ELNS1_3repE0EEENS1_30default_config_static_selectorELNS0_4arch9wavefront6targetE0EEEvT1_.num_agpr, 0
	.set _ZN7rocprim17ROCPRIM_400000_NS6detail17trampoline_kernelINS0_14default_configENS1_25partition_config_selectorILNS1_17partition_subalgoE6EfNS0_10empty_typeEbEEZZNS1_14partition_implILS5_6ELb0ES3_mN6thrust23THRUST_200600_302600_NS6detail15normal_iteratorINSA_10device_ptrIfEEEEPS6_SG_NS0_5tupleIJNSA_16discard_iteratorINSA_11use_defaultEEES6_EEENSH_IJSG_SG_EEES6_PlJNSB_9not_fun_tI7is_trueIfEEEEEE10hipError_tPvRmT3_T4_T5_T6_T7_T9_mT8_P12ihipStream_tbDpT10_ENKUlT_T0_E_clISt17integral_constantIbLb1EES1A_IbLb0EEEEDaS16_S17_EUlS16_E_NS1_11comp_targetILNS1_3genE5ELNS1_11target_archE942ELNS1_3gpuE9ELNS1_3repE0EEENS1_30default_config_static_selectorELNS0_4arch9wavefront6targetE0EEEvT1_.numbered_sgpr, 0
	.set _ZN7rocprim17ROCPRIM_400000_NS6detail17trampoline_kernelINS0_14default_configENS1_25partition_config_selectorILNS1_17partition_subalgoE6EfNS0_10empty_typeEbEEZZNS1_14partition_implILS5_6ELb0ES3_mN6thrust23THRUST_200600_302600_NS6detail15normal_iteratorINSA_10device_ptrIfEEEEPS6_SG_NS0_5tupleIJNSA_16discard_iteratorINSA_11use_defaultEEES6_EEENSH_IJSG_SG_EEES6_PlJNSB_9not_fun_tI7is_trueIfEEEEEE10hipError_tPvRmT3_T4_T5_T6_T7_T9_mT8_P12ihipStream_tbDpT10_ENKUlT_T0_E_clISt17integral_constantIbLb1EES1A_IbLb0EEEEDaS16_S17_EUlS16_E_NS1_11comp_targetILNS1_3genE5ELNS1_11target_archE942ELNS1_3gpuE9ELNS1_3repE0EEENS1_30default_config_static_selectorELNS0_4arch9wavefront6targetE0EEEvT1_.num_named_barrier, 0
	.set _ZN7rocprim17ROCPRIM_400000_NS6detail17trampoline_kernelINS0_14default_configENS1_25partition_config_selectorILNS1_17partition_subalgoE6EfNS0_10empty_typeEbEEZZNS1_14partition_implILS5_6ELb0ES3_mN6thrust23THRUST_200600_302600_NS6detail15normal_iteratorINSA_10device_ptrIfEEEEPS6_SG_NS0_5tupleIJNSA_16discard_iteratorINSA_11use_defaultEEES6_EEENSH_IJSG_SG_EEES6_PlJNSB_9not_fun_tI7is_trueIfEEEEEE10hipError_tPvRmT3_T4_T5_T6_T7_T9_mT8_P12ihipStream_tbDpT10_ENKUlT_T0_E_clISt17integral_constantIbLb1EES1A_IbLb0EEEEDaS16_S17_EUlS16_E_NS1_11comp_targetILNS1_3genE5ELNS1_11target_archE942ELNS1_3gpuE9ELNS1_3repE0EEENS1_30default_config_static_selectorELNS0_4arch9wavefront6targetE0EEEvT1_.private_seg_size, 0
	.set _ZN7rocprim17ROCPRIM_400000_NS6detail17trampoline_kernelINS0_14default_configENS1_25partition_config_selectorILNS1_17partition_subalgoE6EfNS0_10empty_typeEbEEZZNS1_14partition_implILS5_6ELb0ES3_mN6thrust23THRUST_200600_302600_NS6detail15normal_iteratorINSA_10device_ptrIfEEEEPS6_SG_NS0_5tupleIJNSA_16discard_iteratorINSA_11use_defaultEEES6_EEENSH_IJSG_SG_EEES6_PlJNSB_9not_fun_tI7is_trueIfEEEEEE10hipError_tPvRmT3_T4_T5_T6_T7_T9_mT8_P12ihipStream_tbDpT10_ENKUlT_T0_E_clISt17integral_constantIbLb1EES1A_IbLb0EEEEDaS16_S17_EUlS16_E_NS1_11comp_targetILNS1_3genE5ELNS1_11target_archE942ELNS1_3gpuE9ELNS1_3repE0EEENS1_30default_config_static_selectorELNS0_4arch9wavefront6targetE0EEEvT1_.uses_vcc, 0
	.set _ZN7rocprim17ROCPRIM_400000_NS6detail17trampoline_kernelINS0_14default_configENS1_25partition_config_selectorILNS1_17partition_subalgoE6EfNS0_10empty_typeEbEEZZNS1_14partition_implILS5_6ELb0ES3_mN6thrust23THRUST_200600_302600_NS6detail15normal_iteratorINSA_10device_ptrIfEEEEPS6_SG_NS0_5tupleIJNSA_16discard_iteratorINSA_11use_defaultEEES6_EEENSH_IJSG_SG_EEES6_PlJNSB_9not_fun_tI7is_trueIfEEEEEE10hipError_tPvRmT3_T4_T5_T6_T7_T9_mT8_P12ihipStream_tbDpT10_ENKUlT_T0_E_clISt17integral_constantIbLb1EES1A_IbLb0EEEEDaS16_S17_EUlS16_E_NS1_11comp_targetILNS1_3genE5ELNS1_11target_archE942ELNS1_3gpuE9ELNS1_3repE0EEENS1_30default_config_static_selectorELNS0_4arch9wavefront6targetE0EEEvT1_.uses_flat_scratch, 0
	.set _ZN7rocprim17ROCPRIM_400000_NS6detail17trampoline_kernelINS0_14default_configENS1_25partition_config_selectorILNS1_17partition_subalgoE6EfNS0_10empty_typeEbEEZZNS1_14partition_implILS5_6ELb0ES3_mN6thrust23THRUST_200600_302600_NS6detail15normal_iteratorINSA_10device_ptrIfEEEEPS6_SG_NS0_5tupleIJNSA_16discard_iteratorINSA_11use_defaultEEES6_EEENSH_IJSG_SG_EEES6_PlJNSB_9not_fun_tI7is_trueIfEEEEEE10hipError_tPvRmT3_T4_T5_T6_T7_T9_mT8_P12ihipStream_tbDpT10_ENKUlT_T0_E_clISt17integral_constantIbLb1EES1A_IbLb0EEEEDaS16_S17_EUlS16_E_NS1_11comp_targetILNS1_3genE5ELNS1_11target_archE942ELNS1_3gpuE9ELNS1_3repE0EEENS1_30default_config_static_selectorELNS0_4arch9wavefront6targetE0EEEvT1_.has_dyn_sized_stack, 0
	.set _ZN7rocprim17ROCPRIM_400000_NS6detail17trampoline_kernelINS0_14default_configENS1_25partition_config_selectorILNS1_17partition_subalgoE6EfNS0_10empty_typeEbEEZZNS1_14partition_implILS5_6ELb0ES3_mN6thrust23THRUST_200600_302600_NS6detail15normal_iteratorINSA_10device_ptrIfEEEEPS6_SG_NS0_5tupleIJNSA_16discard_iteratorINSA_11use_defaultEEES6_EEENSH_IJSG_SG_EEES6_PlJNSB_9not_fun_tI7is_trueIfEEEEEE10hipError_tPvRmT3_T4_T5_T6_T7_T9_mT8_P12ihipStream_tbDpT10_ENKUlT_T0_E_clISt17integral_constantIbLb1EES1A_IbLb0EEEEDaS16_S17_EUlS16_E_NS1_11comp_targetILNS1_3genE5ELNS1_11target_archE942ELNS1_3gpuE9ELNS1_3repE0EEENS1_30default_config_static_selectorELNS0_4arch9wavefront6targetE0EEEvT1_.has_recursion, 0
	.set _ZN7rocprim17ROCPRIM_400000_NS6detail17trampoline_kernelINS0_14default_configENS1_25partition_config_selectorILNS1_17partition_subalgoE6EfNS0_10empty_typeEbEEZZNS1_14partition_implILS5_6ELb0ES3_mN6thrust23THRUST_200600_302600_NS6detail15normal_iteratorINSA_10device_ptrIfEEEEPS6_SG_NS0_5tupleIJNSA_16discard_iteratorINSA_11use_defaultEEES6_EEENSH_IJSG_SG_EEES6_PlJNSB_9not_fun_tI7is_trueIfEEEEEE10hipError_tPvRmT3_T4_T5_T6_T7_T9_mT8_P12ihipStream_tbDpT10_ENKUlT_T0_E_clISt17integral_constantIbLb1EES1A_IbLb0EEEEDaS16_S17_EUlS16_E_NS1_11comp_targetILNS1_3genE5ELNS1_11target_archE942ELNS1_3gpuE9ELNS1_3repE0EEENS1_30default_config_static_selectorELNS0_4arch9wavefront6targetE0EEEvT1_.has_indirect_call, 0
	.section	.AMDGPU.csdata,"",@progbits
; Kernel info:
; codeLenInByte = 0
; TotalNumSgprs: 0
; NumVgprs: 0
; ScratchSize: 0
; MemoryBound: 0
; FloatMode: 240
; IeeeMode: 1
; LDSByteSize: 0 bytes/workgroup (compile time only)
; SGPRBlocks: 0
; VGPRBlocks: 0
; NumSGPRsForWavesPerEU: 1
; NumVGPRsForWavesPerEU: 1
; Occupancy: 16
; WaveLimiterHint : 0
; COMPUTE_PGM_RSRC2:SCRATCH_EN: 0
; COMPUTE_PGM_RSRC2:USER_SGPR: 2
; COMPUTE_PGM_RSRC2:TRAP_HANDLER: 0
; COMPUTE_PGM_RSRC2:TGID_X_EN: 1
; COMPUTE_PGM_RSRC2:TGID_Y_EN: 0
; COMPUTE_PGM_RSRC2:TGID_Z_EN: 0
; COMPUTE_PGM_RSRC2:TIDIG_COMP_CNT: 0
	.section	.text._ZN7rocprim17ROCPRIM_400000_NS6detail17trampoline_kernelINS0_14default_configENS1_25partition_config_selectorILNS1_17partition_subalgoE6EfNS0_10empty_typeEbEEZZNS1_14partition_implILS5_6ELb0ES3_mN6thrust23THRUST_200600_302600_NS6detail15normal_iteratorINSA_10device_ptrIfEEEEPS6_SG_NS0_5tupleIJNSA_16discard_iteratorINSA_11use_defaultEEES6_EEENSH_IJSG_SG_EEES6_PlJNSB_9not_fun_tI7is_trueIfEEEEEE10hipError_tPvRmT3_T4_T5_T6_T7_T9_mT8_P12ihipStream_tbDpT10_ENKUlT_T0_E_clISt17integral_constantIbLb1EES1A_IbLb0EEEEDaS16_S17_EUlS16_E_NS1_11comp_targetILNS1_3genE4ELNS1_11target_archE910ELNS1_3gpuE8ELNS1_3repE0EEENS1_30default_config_static_selectorELNS0_4arch9wavefront6targetE0EEEvT1_,"axG",@progbits,_ZN7rocprim17ROCPRIM_400000_NS6detail17trampoline_kernelINS0_14default_configENS1_25partition_config_selectorILNS1_17partition_subalgoE6EfNS0_10empty_typeEbEEZZNS1_14partition_implILS5_6ELb0ES3_mN6thrust23THRUST_200600_302600_NS6detail15normal_iteratorINSA_10device_ptrIfEEEEPS6_SG_NS0_5tupleIJNSA_16discard_iteratorINSA_11use_defaultEEES6_EEENSH_IJSG_SG_EEES6_PlJNSB_9not_fun_tI7is_trueIfEEEEEE10hipError_tPvRmT3_T4_T5_T6_T7_T9_mT8_P12ihipStream_tbDpT10_ENKUlT_T0_E_clISt17integral_constantIbLb1EES1A_IbLb0EEEEDaS16_S17_EUlS16_E_NS1_11comp_targetILNS1_3genE4ELNS1_11target_archE910ELNS1_3gpuE8ELNS1_3repE0EEENS1_30default_config_static_selectorELNS0_4arch9wavefront6targetE0EEEvT1_,comdat
	.protected	_ZN7rocprim17ROCPRIM_400000_NS6detail17trampoline_kernelINS0_14default_configENS1_25partition_config_selectorILNS1_17partition_subalgoE6EfNS0_10empty_typeEbEEZZNS1_14partition_implILS5_6ELb0ES3_mN6thrust23THRUST_200600_302600_NS6detail15normal_iteratorINSA_10device_ptrIfEEEEPS6_SG_NS0_5tupleIJNSA_16discard_iteratorINSA_11use_defaultEEES6_EEENSH_IJSG_SG_EEES6_PlJNSB_9not_fun_tI7is_trueIfEEEEEE10hipError_tPvRmT3_T4_T5_T6_T7_T9_mT8_P12ihipStream_tbDpT10_ENKUlT_T0_E_clISt17integral_constantIbLb1EES1A_IbLb0EEEEDaS16_S17_EUlS16_E_NS1_11comp_targetILNS1_3genE4ELNS1_11target_archE910ELNS1_3gpuE8ELNS1_3repE0EEENS1_30default_config_static_selectorELNS0_4arch9wavefront6targetE0EEEvT1_ ; -- Begin function _ZN7rocprim17ROCPRIM_400000_NS6detail17trampoline_kernelINS0_14default_configENS1_25partition_config_selectorILNS1_17partition_subalgoE6EfNS0_10empty_typeEbEEZZNS1_14partition_implILS5_6ELb0ES3_mN6thrust23THRUST_200600_302600_NS6detail15normal_iteratorINSA_10device_ptrIfEEEEPS6_SG_NS0_5tupleIJNSA_16discard_iteratorINSA_11use_defaultEEES6_EEENSH_IJSG_SG_EEES6_PlJNSB_9not_fun_tI7is_trueIfEEEEEE10hipError_tPvRmT3_T4_T5_T6_T7_T9_mT8_P12ihipStream_tbDpT10_ENKUlT_T0_E_clISt17integral_constantIbLb1EES1A_IbLb0EEEEDaS16_S17_EUlS16_E_NS1_11comp_targetILNS1_3genE4ELNS1_11target_archE910ELNS1_3gpuE8ELNS1_3repE0EEENS1_30default_config_static_selectorELNS0_4arch9wavefront6targetE0EEEvT1_
	.globl	_ZN7rocprim17ROCPRIM_400000_NS6detail17trampoline_kernelINS0_14default_configENS1_25partition_config_selectorILNS1_17partition_subalgoE6EfNS0_10empty_typeEbEEZZNS1_14partition_implILS5_6ELb0ES3_mN6thrust23THRUST_200600_302600_NS6detail15normal_iteratorINSA_10device_ptrIfEEEEPS6_SG_NS0_5tupleIJNSA_16discard_iteratorINSA_11use_defaultEEES6_EEENSH_IJSG_SG_EEES6_PlJNSB_9not_fun_tI7is_trueIfEEEEEE10hipError_tPvRmT3_T4_T5_T6_T7_T9_mT8_P12ihipStream_tbDpT10_ENKUlT_T0_E_clISt17integral_constantIbLb1EES1A_IbLb0EEEEDaS16_S17_EUlS16_E_NS1_11comp_targetILNS1_3genE4ELNS1_11target_archE910ELNS1_3gpuE8ELNS1_3repE0EEENS1_30default_config_static_selectorELNS0_4arch9wavefront6targetE0EEEvT1_
	.p2align	8
	.type	_ZN7rocprim17ROCPRIM_400000_NS6detail17trampoline_kernelINS0_14default_configENS1_25partition_config_selectorILNS1_17partition_subalgoE6EfNS0_10empty_typeEbEEZZNS1_14partition_implILS5_6ELb0ES3_mN6thrust23THRUST_200600_302600_NS6detail15normal_iteratorINSA_10device_ptrIfEEEEPS6_SG_NS0_5tupleIJNSA_16discard_iteratorINSA_11use_defaultEEES6_EEENSH_IJSG_SG_EEES6_PlJNSB_9not_fun_tI7is_trueIfEEEEEE10hipError_tPvRmT3_T4_T5_T6_T7_T9_mT8_P12ihipStream_tbDpT10_ENKUlT_T0_E_clISt17integral_constantIbLb1EES1A_IbLb0EEEEDaS16_S17_EUlS16_E_NS1_11comp_targetILNS1_3genE4ELNS1_11target_archE910ELNS1_3gpuE8ELNS1_3repE0EEENS1_30default_config_static_selectorELNS0_4arch9wavefront6targetE0EEEvT1_,@function
_ZN7rocprim17ROCPRIM_400000_NS6detail17trampoline_kernelINS0_14default_configENS1_25partition_config_selectorILNS1_17partition_subalgoE6EfNS0_10empty_typeEbEEZZNS1_14partition_implILS5_6ELb0ES3_mN6thrust23THRUST_200600_302600_NS6detail15normal_iteratorINSA_10device_ptrIfEEEEPS6_SG_NS0_5tupleIJNSA_16discard_iteratorINSA_11use_defaultEEES6_EEENSH_IJSG_SG_EEES6_PlJNSB_9not_fun_tI7is_trueIfEEEEEE10hipError_tPvRmT3_T4_T5_T6_T7_T9_mT8_P12ihipStream_tbDpT10_ENKUlT_T0_E_clISt17integral_constantIbLb1EES1A_IbLb0EEEEDaS16_S17_EUlS16_E_NS1_11comp_targetILNS1_3genE4ELNS1_11target_archE910ELNS1_3gpuE8ELNS1_3repE0EEENS1_30default_config_static_selectorELNS0_4arch9wavefront6targetE0EEEvT1_: ; @_ZN7rocprim17ROCPRIM_400000_NS6detail17trampoline_kernelINS0_14default_configENS1_25partition_config_selectorILNS1_17partition_subalgoE6EfNS0_10empty_typeEbEEZZNS1_14partition_implILS5_6ELb0ES3_mN6thrust23THRUST_200600_302600_NS6detail15normal_iteratorINSA_10device_ptrIfEEEEPS6_SG_NS0_5tupleIJNSA_16discard_iteratorINSA_11use_defaultEEES6_EEENSH_IJSG_SG_EEES6_PlJNSB_9not_fun_tI7is_trueIfEEEEEE10hipError_tPvRmT3_T4_T5_T6_T7_T9_mT8_P12ihipStream_tbDpT10_ENKUlT_T0_E_clISt17integral_constantIbLb1EES1A_IbLb0EEEEDaS16_S17_EUlS16_E_NS1_11comp_targetILNS1_3genE4ELNS1_11target_archE910ELNS1_3gpuE8ELNS1_3repE0EEENS1_30default_config_static_selectorELNS0_4arch9wavefront6targetE0EEEvT1_
; %bb.0:
	.section	.rodata,"a",@progbits
	.p2align	6, 0x0
	.amdhsa_kernel _ZN7rocprim17ROCPRIM_400000_NS6detail17trampoline_kernelINS0_14default_configENS1_25partition_config_selectorILNS1_17partition_subalgoE6EfNS0_10empty_typeEbEEZZNS1_14partition_implILS5_6ELb0ES3_mN6thrust23THRUST_200600_302600_NS6detail15normal_iteratorINSA_10device_ptrIfEEEEPS6_SG_NS0_5tupleIJNSA_16discard_iteratorINSA_11use_defaultEEES6_EEENSH_IJSG_SG_EEES6_PlJNSB_9not_fun_tI7is_trueIfEEEEEE10hipError_tPvRmT3_T4_T5_T6_T7_T9_mT8_P12ihipStream_tbDpT10_ENKUlT_T0_E_clISt17integral_constantIbLb1EES1A_IbLb0EEEEDaS16_S17_EUlS16_E_NS1_11comp_targetILNS1_3genE4ELNS1_11target_archE910ELNS1_3gpuE8ELNS1_3repE0EEENS1_30default_config_static_selectorELNS0_4arch9wavefront6targetE0EEEvT1_
		.amdhsa_group_segment_fixed_size 0
		.amdhsa_private_segment_fixed_size 0
		.amdhsa_kernarg_size 120
		.amdhsa_user_sgpr_count 2
		.amdhsa_user_sgpr_dispatch_ptr 0
		.amdhsa_user_sgpr_queue_ptr 0
		.amdhsa_user_sgpr_kernarg_segment_ptr 1
		.amdhsa_user_sgpr_dispatch_id 0
		.amdhsa_user_sgpr_private_segment_size 0
		.amdhsa_wavefront_size32 1
		.amdhsa_uses_dynamic_stack 0
		.amdhsa_enable_private_segment 0
		.amdhsa_system_sgpr_workgroup_id_x 1
		.amdhsa_system_sgpr_workgroup_id_y 0
		.amdhsa_system_sgpr_workgroup_id_z 0
		.amdhsa_system_sgpr_workgroup_info 0
		.amdhsa_system_vgpr_workitem_id 0
		.amdhsa_next_free_vgpr 1
		.amdhsa_next_free_sgpr 1
		.amdhsa_reserve_vcc 0
		.amdhsa_float_round_mode_32 0
		.amdhsa_float_round_mode_16_64 0
		.amdhsa_float_denorm_mode_32 3
		.amdhsa_float_denorm_mode_16_64 3
		.amdhsa_fp16_overflow 0
		.amdhsa_workgroup_processor_mode 1
		.amdhsa_memory_ordered 1
		.amdhsa_forward_progress 1
		.amdhsa_inst_pref_size 0
		.amdhsa_round_robin_scheduling 0
		.amdhsa_exception_fp_ieee_invalid_op 0
		.amdhsa_exception_fp_denorm_src 0
		.amdhsa_exception_fp_ieee_div_zero 0
		.amdhsa_exception_fp_ieee_overflow 0
		.amdhsa_exception_fp_ieee_underflow 0
		.amdhsa_exception_fp_ieee_inexact 0
		.amdhsa_exception_int_div_zero 0
	.end_amdhsa_kernel
	.section	.text._ZN7rocprim17ROCPRIM_400000_NS6detail17trampoline_kernelINS0_14default_configENS1_25partition_config_selectorILNS1_17partition_subalgoE6EfNS0_10empty_typeEbEEZZNS1_14partition_implILS5_6ELb0ES3_mN6thrust23THRUST_200600_302600_NS6detail15normal_iteratorINSA_10device_ptrIfEEEEPS6_SG_NS0_5tupleIJNSA_16discard_iteratorINSA_11use_defaultEEES6_EEENSH_IJSG_SG_EEES6_PlJNSB_9not_fun_tI7is_trueIfEEEEEE10hipError_tPvRmT3_T4_T5_T6_T7_T9_mT8_P12ihipStream_tbDpT10_ENKUlT_T0_E_clISt17integral_constantIbLb1EES1A_IbLb0EEEEDaS16_S17_EUlS16_E_NS1_11comp_targetILNS1_3genE4ELNS1_11target_archE910ELNS1_3gpuE8ELNS1_3repE0EEENS1_30default_config_static_selectorELNS0_4arch9wavefront6targetE0EEEvT1_,"axG",@progbits,_ZN7rocprim17ROCPRIM_400000_NS6detail17trampoline_kernelINS0_14default_configENS1_25partition_config_selectorILNS1_17partition_subalgoE6EfNS0_10empty_typeEbEEZZNS1_14partition_implILS5_6ELb0ES3_mN6thrust23THRUST_200600_302600_NS6detail15normal_iteratorINSA_10device_ptrIfEEEEPS6_SG_NS0_5tupleIJNSA_16discard_iteratorINSA_11use_defaultEEES6_EEENSH_IJSG_SG_EEES6_PlJNSB_9not_fun_tI7is_trueIfEEEEEE10hipError_tPvRmT3_T4_T5_T6_T7_T9_mT8_P12ihipStream_tbDpT10_ENKUlT_T0_E_clISt17integral_constantIbLb1EES1A_IbLb0EEEEDaS16_S17_EUlS16_E_NS1_11comp_targetILNS1_3genE4ELNS1_11target_archE910ELNS1_3gpuE8ELNS1_3repE0EEENS1_30default_config_static_selectorELNS0_4arch9wavefront6targetE0EEEvT1_,comdat
.Lfunc_end2127:
	.size	_ZN7rocprim17ROCPRIM_400000_NS6detail17trampoline_kernelINS0_14default_configENS1_25partition_config_selectorILNS1_17partition_subalgoE6EfNS0_10empty_typeEbEEZZNS1_14partition_implILS5_6ELb0ES3_mN6thrust23THRUST_200600_302600_NS6detail15normal_iteratorINSA_10device_ptrIfEEEEPS6_SG_NS0_5tupleIJNSA_16discard_iteratorINSA_11use_defaultEEES6_EEENSH_IJSG_SG_EEES6_PlJNSB_9not_fun_tI7is_trueIfEEEEEE10hipError_tPvRmT3_T4_T5_T6_T7_T9_mT8_P12ihipStream_tbDpT10_ENKUlT_T0_E_clISt17integral_constantIbLb1EES1A_IbLb0EEEEDaS16_S17_EUlS16_E_NS1_11comp_targetILNS1_3genE4ELNS1_11target_archE910ELNS1_3gpuE8ELNS1_3repE0EEENS1_30default_config_static_selectorELNS0_4arch9wavefront6targetE0EEEvT1_, .Lfunc_end2127-_ZN7rocprim17ROCPRIM_400000_NS6detail17trampoline_kernelINS0_14default_configENS1_25partition_config_selectorILNS1_17partition_subalgoE6EfNS0_10empty_typeEbEEZZNS1_14partition_implILS5_6ELb0ES3_mN6thrust23THRUST_200600_302600_NS6detail15normal_iteratorINSA_10device_ptrIfEEEEPS6_SG_NS0_5tupleIJNSA_16discard_iteratorINSA_11use_defaultEEES6_EEENSH_IJSG_SG_EEES6_PlJNSB_9not_fun_tI7is_trueIfEEEEEE10hipError_tPvRmT3_T4_T5_T6_T7_T9_mT8_P12ihipStream_tbDpT10_ENKUlT_T0_E_clISt17integral_constantIbLb1EES1A_IbLb0EEEEDaS16_S17_EUlS16_E_NS1_11comp_targetILNS1_3genE4ELNS1_11target_archE910ELNS1_3gpuE8ELNS1_3repE0EEENS1_30default_config_static_selectorELNS0_4arch9wavefront6targetE0EEEvT1_
                                        ; -- End function
	.set _ZN7rocprim17ROCPRIM_400000_NS6detail17trampoline_kernelINS0_14default_configENS1_25partition_config_selectorILNS1_17partition_subalgoE6EfNS0_10empty_typeEbEEZZNS1_14partition_implILS5_6ELb0ES3_mN6thrust23THRUST_200600_302600_NS6detail15normal_iteratorINSA_10device_ptrIfEEEEPS6_SG_NS0_5tupleIJNSA_16discard_iteratorINSA_11use_defaultEEES6_EEENSH_IJSG_SG_EEES6_PlJNSB_9not_fun_tI7is_trueIfEEEEEE10hipError_tPvRmT3_T4_T5_T6_T7_T9_mT8_P12ihipStream_tbDpT10_ENKUlT_T0_E_clISt17integral_constantIbLb1EES1A_IbLb0EEEEDaS16_S17_EUlS16_E_NS1_11comp_targetILNS1_3genE4ELNS1_11target_archE910ELNS1_3gpuE8ELNS1_3repE0EEENS1_30default_config_static_selectorELNS0_4arch9wavefront6targetE0EEEvT1_.num_vgpr, 0
	.set _ZN7rocprim17ROCPRIM_400000_NS6detail17trampoline_kernelINS0_14default_configENS1_25partition_config_selectorILNS1_17partition_subalgoE6EfNS0_10empty_typeEbEEZZNS1_14partition_implILS5_6ELb0ES3_mN6thrust23THRUST_200600_302600_NS6detail15normal_iteratorINSA_10device_ptrIfEEEEPS6_SG_NS0_5tupleIJNSA_16discard_iteratorINSA_11use_defaultEEES6_EEENSH_IJSG_SG_EEES6_PlJNSB_9not_fun_tI7is_trueIfEEEEEE10hipError_tPvRmT3_T4_T5_T6_T7_T9_mT8_P12ihipStream_tbDpT10_ENKUlT_T0_E_clISt17integral_constantIbLb1EES1A_IbLb0EEEEDaS16_S17_EUlS16_E_NS1_11comp_targetILNS1_3genE4ELNS1_11target_archE910ELNS1_3gpuE8ELNS1_3repE0EEENS1_30default_config_static_selectorELNS0_4arch9wavefront6targetE0EEEvT1_.num_agpr, 0
	.set _ZN7rocprim17ROCPRIM_400000_NS6detail17trampoline_kernelINS0_14default_configENS1_25partition_config_selectorILNS1_17partition_subalgoE6EfNS0_10empty_typeEbEEZZNS1_14partition_implILS5_6ELb0ES3_mN6thrust23THRUST_200600_302600_NS6detail15normal_iteratorINSA_10device_ptrIfEEEEPS6_SG_NS0_5tupleIJNSA_16discard_iteratorINSA_11use_defaultEEES6_EEENSH_IJSG_SG_EEES6_PlJNSB_9not_fun_tI7is_trueIfEEEEEE10hipError_tPvRmT3_T4_T5_T6_T7_T9_mT8_P12ihipStream_tbDpT10_ENKUlT_T0_E_clISt17integral_constantIbLb1EES1A_IbLb0EEEEDaS16_S17_EUlS16_E_NS1_11comp_targetILNS1_3genE4ELNS1_11target_archE910ELNS1_3gpuE8ELNS1_3repE0EEENS1_30default_config_static_selectorELNS0_4arch9wavefront6targetE0EEEvT1_.numbered_sgpr, 0
	.set _ZN7rocprim17ROCPRIM_400000_NS6detail17trampoline_kernelINS0_14default_configENS1_25partition_config_selectorILNS1_17partition_subalgoE6EfNS0_10empty_typeEbEEZZNS1_14partition_implILS5_6ELb0ES3_mN6thrust23THRUST_200600_302600_NS6detail15normal_iteratorINSA_10device_ptrIfEEEEPS6_SG_NS0_5tupleIJNSA_16discard_iteratorINSA_11use_defaultEEES6_EEENSH_IJSG_SG_EEES6_PlJNSB_9not_fun_tI7is_trueIfEEEEEE10hipError_tPvRmT3_T4_T5_T6_T7_T9_mT8_P12ihipStream_tbDpT10_ENKUlT_T0_E_clISt17integral_constantIbLb1EES1A_IbLb0EEEEDaS16_S17_EUlS16_E_NS1_11comp_targetILNS1_3genE4ELNS1_11target_archE910ELNS1_3gpuE8ELNS1_3repE0EEENS1_30default_config_static_selectorELNS0_4arch9wavefront6targetE0EEEvT1_.num_named_barrier, 0
	.set _ZN7rocprim17ROCPRIM_400000_NS6detail17trampoline_kernelINS0_14default_configENS1_25partition_config_selectorILNS1_17partition_subalgoE6EfNS0_10empty_typeEbEEZZNS1_14partition_implILS5_6ELb0ES3_mN6thrust23THRUST_200600_302600_NS6detail15normal_iteratorINSA_10device_ptrIfEEEEPS6_SG_NS0_5tupleIJNSA_16discard_iteratorINSA_11use_defaultEEES6_EEENSH_IJSG_SG_EEES6_PlJNSB_9not_fun_tI7is_trueIfEEEEEE10hipError_tPvRmT3_T4_T5_T6_T7_T9_mT8_P12ihipStream_tbDpT10_ENKUlT_T0_E_clISt17integral_constantIbLb1EES1A_IbLb0EEEEDaS16_S17_EUlS16_E_NS1_11comp_targetILNS1_3genE4ELNS1_11target_archE910ELNS1_3gpuE8ELNS1_3repE0EEENS1_30default_config_static_selectorELNS0_4arch9wavefront6targetE0EEEvT1_.private_seg_size, 0
	.set _ZN7rocprim17ROCPRIM_400000_NS6detail17trampoline_kernelINS0_14default_configENS1_25partition_config_selectorILNS1_17partition_subalgoE6EfNS0_10empty_typeEbEEZZNS1_14partition_implILS5_6ELb0ES3_mN6thrust23THRUST_200600_302600_NS6detail15normal_iteratorINSA_10device_ptrIfEEEEPS6_SG_NS0_5tupleIJNSA_16discard_iteratorINSA_11use_defaultEEES6_EEENSH_IJSG_SG_EEES6_PlJNSB_9not_fun_tI7is_trueIfEEEEEE10hipError_tPvRmT3_T4_T5_T6_T7_T9_mT8_P12ihipStream_tbDpT10_ENKUlT_T0_E_clISt17integral_constantIbLb1EES1A_IbLb0EEEEDaS16_S17_EUlS16_E_NS1_11comp_targetILNS1_3genE4ELNS1_11target_archE910ELNS1_3gpuE8ELNS1_3repE0EEENS1_30default_config_static_selectorELNS0_4arch9wavefront6targetE0EEEvT1_.uses_vcc, 0
	.set _ZN7rocprim17ROCPRIM_400000_NS6detail17trampoline_kernelINS0_14default_configENS1_25partition_config_selectorILNS1_17partition_subalgoE6EfNS0_10empty_typeEbEEZZNS1_14partition_implILS5_6ELb0ES3_mN6thrust23THRUST_200600_302600_NS6detail15normal_iteratorINSA_10device_ptrIfEEEEPS6_SG_NS0_5tupleIJNSA_16discard_iteratorINSA_11use_defaultEEES6_EEENSH_IJSG_SG_EEES6_PlJNSB_9not_fun_tI7is_trueIfEEEEEE10hipError_tPvRmT3_T4_T5_T6_T7_T9_mT8_P12ihipStream_tbDpT10_ENKUlT_T0_E_clISt17integral_constantIbLb1EES1A_IbLb0EEEEDaS16_S17_EUlS16_E_NS1_11comp_targetILNS1_3genE4ELNS1_11target_archE910ELNS1_3gpuE8ELNS1_3repE0EEENS1_30default_config_static_selectorELNS0_4arch9wavefront6targetE0EEEvT1_.uses_flat_scratch, 0
	.set _ZN7rocprim17ROCPRIM_400000_NS6detail17trampoline_kernelINS0_14default_configENS1_25partition_config_selectorILNS1_17partition_subalgoE6EfNS0_10empty_typeEbEEZZNS1_14partition_implILS5_6ELb0ES3_mN6thrust23THRUST_200600_302600_NS6detail15normal_iteratorINSA_10device_ptrIfEEEEPS6_SG_NS0_5tupleIJNSA_16discard_iteratorINSA_11use_defaultEEES6_EEENSH_IJSG_SG_EEES6_PlJNSB_9not_fun_tI7is_trueIfEEEEEE10hipError_tPvRmT3_T4_T5_T6_T7_T9_mT8_P12ihipStream_tbDpT10_ENKUlT_T0_E_clISt17integral_constantIbLb1EES1A_IbLb0EEEEDaS16_S17_EUlS16_E_NS1_11comp_targetILNS1_3genE4ELNS1_11target_archE910ELNS1_3gpuE8ELNS1_3repE0EEENS1_30default_config_static_selectorELNS0_4arch9wavefront6targetE0EEEvT1_.has_dyn_sized_stack, 0
	.set _ZN7rocprim17ROCPRIM_400000_NS6detail17trampoline_kernelINS0_14default_configENS1_25partition_config_selectorILNS1_17partition_subalgoE6EfNS0_10empty_typeEbEEZZNS1_14partition_implILS5_6ELb0ES3_mN6thrust23THRUST_200600_302600_NS6detail15normal_iteratorINSA_10device_ptrIfEEEEPS6_SG_NS0_5tupleIJNSA_16discard_iteratorINSA_11use_defaultEEES6_EEENSH_IJSG_SG_EEES6_PlJNSB_9not_fun_tI7is_trueIfEEEEEE10hipError_tPvRmT3_T4_T5_T6_T7_T9_mT8_P12ihipStream_tbDpT10_ENKUlT_T0_E_clISt17integral_constantIbLb1EES1A_IbLb0EEEEDaS16_S17_EUlS16_E_NS1_11comp_targetILNS1_3genE4ELNS1_11target_archE910ELNS1_3gpuE8ELNS1_3repE0EEENS1_30default_config_static_selectorELNS0_4arch9wavefront6targetE0EEEvT1_.has_recursion, 0
	.set _ZN7rocprim17ROCPRIM_400000_NS6detail17trampoline_kernelINS0_14default_configENS1_25partition_config_selectorILNS1_17partition_subalgoE6EfNS0_10empty_typeEbEEZZNS1_14partition_implILS5_6ELb0ES3_mN6thrust23THRUST_200600_302600_NS6detail15normal_iteratorINSA_10device_ptrIfEEEEPS6_SG_NS0_5tupleIJNSA_16discard_iteratorINSA_11use_defaultEEES6_EEENSH_IJSG_SG_EEES6_PlJNSB_9not_fun_tI7is_trueIfEEEEEE10hipError_tPvRmT3_T4_T5_T6_T7_T9_mT8_P12ihipStream_tbDpT10_ENKUlT_T0_E_clISt17integral_constantIbLb1EES1A_IbLb0EEEEDaS16_S17_EUlS16_E_NS1_11comp_targetILNS1_3genE4ELNS1_11target_archE910ELNS1_3gpuE8ELNS1_3repE0EEENS1_30default_config_static_selectorELNS0_4arch9wavefront6targetE0EEEvT1_.has_indirect_call, 0
	.section	.AMDGPU.csdata,"",@progbits
; Kernel info:
; codeLenInByte = 0
; TotalNumSgprs: 0
; NumVgprs: 0
; ScratchSize: 0
; MemoryBound: 0
; FloatMode: 240
; IeeeMode: 1
; LDSByteSize: 0 bytes/workgroup (compile time only)
; SGPRBlocks: 0
; VGPRBlocks: 0
; NumSGPRsForWavesPerEU: 1
; NumVGPRsForWavesPerEU: 1
; Occupancy: 16
; WaveLimiterHint : 0
; COMPUTE_PGM_RSRC2:SCRATCH_EN: 0
; COMPUTE_PGM_RSRC2:USER_SGPR: 2
; COMPUTE_PGM_RSRC2:TRAP_HANDLER: 0
; COMPUTE_PGM_RSRC2:TGID_X_EN: 1
; COMPUTE_PGM_RSRC2:TGID_Y_EN: 0
; COMPUTE_PGM_RSRC2:TGID_Z_EN: 0
; COMPUTE_PGM_RSRC2:TIDIG_COMP_CNT: 0
	.section	.text._ZN7rocprim17ROCPRIM_400000_NS6detail17trampoline_kernelINS0_14default_configENS1_25partition_config_selectorILNS1_17partition_subalgoE6EfNS0_10empty_typeEbEEZZNS1_14partition_implILS5_6ELb0ES3_mN6thrust23THRUST_200600_302600_NS6detail15normal_iteratorINSA_10device_ptrIfEEEEPS6_SG_NS0_5tupleIJNSA_16discard_iteratorINSA_11use_defaultEEES6_EEENSH_IJSG_SG_EEES6_PlJNSB_9not_fun_tI7is_trueIfEEEEEE10hipError_tPvRmT3_T4_T5_T6_T7_T9_mT8_P12ihipStream_tbDpT10_ENKUlT_T0_E_clISt17integral_constantIbLb1EES1A_IbLb0EEEEDaS16_S17_EUlS16_E_NS1_11comp_targetILNS1_3genE3ELNS1_11target_archE908ELNS1_3gpuE7ELNS1_3repE0EEENS1_30default_config_static_selectorELNS0_4arch9wavefront6targetE0EEEvT1_,"axG",@progbits,_ZN7rocprim17ROCPRIM_400000_NS6detail17trampoline_kernelINS0_14default_configENS1_25partition_config_selectorILNS1_17partition_subalgoE6EfNS0_10empty_typeEbEEZZNS1_14partition_implILS5_6ELb0ES3_mN6thrust23THRUST_200600_302600_NS6detail15normal_iteratorINSA_10device_ptrIfEEEEPS6_SG_NS0_5tupleIJNSA_16discard_iteratorINSA_11use_defaultEEES6_EEENSH_IJSG_SG_EEES6_PlJNSB_9not_fun_tI7is_trueIfEEEEEE10hipError_tPvRmT3_T4_T5_T6_T7_T9_mT8_P12ihipStream_tbDpT10_ENKUlT_T0_E_clISt17integral_constantIbLb1EES1A_IbLb0EEEEDaS16_S17_EUlS16_E_NS1_11comp_targetILNS1_3genE3ELNS1_11target_archE908ELNS1_3gpuE7ELNS1_3repE0EEENS1_30default_config_static_selectorELNS0_4arch9wavefront6targetE0EEEvT1_,comdat
	.protected	_ZN7rocprim17ROCPRIM_400000_NS6detail17trampoline_kernelINS0_14default_configENS1_25partition_config_selectorILNS1_17partition_subalgoE6EfNS0_10empty_typeEbEEZZNS1_14partition_implILS5_6ELb0ES3_mN6thrust23THRUST_200600_302600_NS6detail15normal_iteratorINSA_10device_ptrIfEEEEPS6_SG_NS0_5tupleIJNSA_16discard_iteratorINSA_11use_defaultEEES6_EEENSH_IJSG_SG_EEES6_PlJNSB_9not_fun_tI7is_trueIfEEEEEE10hipError_tPvRmT3_T4_T5_T6_T7_T9_mT8_P12ihipStream_tbDpT10_ENKUlT_T0_E_clISt17integral_constantIbLb1EES1A_IbLb0EEEEDaS16_S17_EUlS16_E_NS1_11comp_targetILNS1_3genE3ELNS1_11target_archE908ELNS1_3gpuE7ELNS1_3repE0EEENS1_30default_config_static_selectorELNS0_4arch9wavefront6targetE0EEEvT1_ ; -- Begin function _ZN7rocprim17ROCPRIM_400000_NS6detail17trampoline_kernelINS0_14default_configENS1_25partition_config_selectorILNS1_17partition_subalgoE6EfNS0_10empty_typeEbEEZZNS1_14partition_implILS5_6ELb0ES3_mN6thrust23THRUST_200600_302600_NS6detail15normal_iteratorINSA_10device_ptrIfEEEEPS6_SG_NS0_5tupleIJNSA_16discard_iteratorINSA_11use_defaultEEES6_EEENSH_IJSG_SG_EEES6_PlJNSB_9not_fun_tI7is_trueIfEEEEEE10hipError_tPvRmT3_T4_T5_T6_T7_T9_mT8_P12ihipStream_tbDpT10_ENKUlT_T0_E_clISt17integral_constantIbLb1EES1A_IbLb0EEEEDaS16_S17_EUlS16_E_NS1_11comp_targetILNS1_3genE3ELNS1_11target_archE908ELNS1_3gpuE7ELNS1_3repE0EEENS1_30default_config_static_selectorELNS0_4arch9wavefront6targetE0EEEvT1_
	.globl	_ZN7rocprim17ROCPRIM_400000_NS6detail17trampoline_kernelINS0_14default_configENS1_25partition_config_selectorILNS1_17partition_subalgoE6EfNS0_10empty_typeEbEEZZNS1_14partition_implILS5_6ELb0ES3_mN6thrust23THRUST_200600_302600_NS6detail15normal_iteratorINSA_10device_ptrIfEEEEPS6_SG_NS0_5tupleIJNSA_16discard_iteratorINSA_11use_defaultEEES6_EEENSH_IJSG_SG_EEES6_PlJNSB_9not_fun_tI7is_trueIfEEEEEE10hipError_tPvRmT3_T4_T5_T6_T7_T9_mT8_P12ihipStream_tbDpT10_ENKUlT_T0_E_clISt17integral_constantIbLb1EES1A_IbLb0EEEEDaS16_S17_EUlS16_E_NS1_11comp_targetILNS1_3genE3ELNS1_11target_archE908ELNS1_3gpuE7ELNS1_3repE0EEENS1_30default_config_static_selectorELNS0_4arch9wavefront6targetE0EEEvT1_
	.p2align	8
	.type	_ZN7rocprim17ROCPRIM_400000_NS6detail17trampoline_kernelINS0_14default_configENS1_25partition_config_selectorILNS1_17partition_subalgoE6EfNS0_10empty_typeEbEEZZNS1_14partition_implILS5_6ELb0ES3_mN6thrust23THRUST_200600_302600_NS6detail15normal_iteratorINSA_10device_ptrIfEEEEPS6_SG_NS0_5tupleIJNSA_16discard_iteratorINSA_11use_defaultEEES6_EEENSH_IJSG_SG_EEES6_PlJNSB_9not_fun_tI7is_trueIfEEEEEE10hipError_tPvRmT3_T4_T5_T6_T7_T9_mT8_P12ihipStream_tbDpT10_ENKUlT_T0_E_clISt17integral_constantIbLb1EES1A_IbLb0EEEEDaS16_S17_EUlS16_E_NS1_11comp_targetILNS1_3genE3ELNS1_11target_archE908ELNS1_3gpuE7ELNS1_3repE0EEENS1_30default_config_static_selectorELNS0_4arch9wavefront6targetE0EEEvT1_,@function
_ZN7rocprim17ROCPRIM_400000_NS6detail17trampoline_kernelINS0_14default_configENS1_25partition_config_selectorILNS1_17partition_subalgoE6EfNS0_10empty_typeEbEEZZNS1_14partition_implILS5_6ELb0ES3_mN6thrust23THRUST_200600_302600_NS6detail15normal_iteratorINSA_10device_ptrIfEEEEPS6_SG_NS0_5tupleIJNSA_16discard_iteratorINSA_11use_defaultEEES6_EEENSH_IJSG_SG_EEES6_PlJNSB_9not_fun_tI7is_trueIfEEEEEE10hipError_tPvRmT3_T4_T5_T6_T7_T9_mT8_P12ihipStream_tbDpT10_ENKUlT_T0_E_clISt17integral_constantIbLb1EES1A_IbLb0EEEEDaS16_S17_EUlS16_E_NS1_11comp_targetILNS1_3genE3ELNS1_11target_archE908ELNS1_3gpuE7ELNS1_3repE0EEENS1_30default_config_static_selectorELNS0_4arch9wavefront6targetE0EEEvT1_: ; @_ZN7rocprim17ROCPRIM_400000_NS6detail17trampoline_kernelINS0_14default_configENS1_25partition_config_selectorILNS1_17partition_subalgoE6EfNS0_10empty_typeEbEEZZNS1_14partition_implILS5_6ELb0ES3_mN6thrust23THRUST_200600_302600_NS6detail15normal_iteratorINSA_10device_ptrIfEEEEPS6_SG_NS0_5tupleIJNSA_16discard_iteratorINSA_11use_defaultEEES6_EEENSH_IJSG_SG_EEES6_PlJNSB_9not_fun_tI7is_trueIfEEEEEE10hipError_tPvRmT3_T4_T5_T6_T7_T9_mT8_P12ihipStream_tbDpT10_ENKUlT_T0_E_clISt17integral_constantIbLb1EES1A_IbLb0EEEEDaS16_S17_EUlS16_E_NS1_11comp_targetILNS1_3genE3ELNS1_11target_archE908ELNS1_3gpuE7ELNS1_3repE0EEENS1_30default_config_static_selectorELNS0_4arch9wavefront6targetE0EEEvT1_
; %bb.0:
	.section	.rodata,"a",@progbits
	.p2align	6, 0x0
	.amdhsa_kernel _ZN7rocprim17ROCPRIM_400000_NS6detail17trampoline_kernelINS0_14default_configENS1_25partition_config_selectorILNS1_17partition_subalgoE6EfNS0_10empty_typeEbEEZZNS1_14partition_implILS5_6ELb0ES3_mN6thrust23THRUST_200600_302600_NS6detail15normal_iteratorINSA_10device_ptrIfEEEEPS6_SG_NS0_5tupleIJNSA_16discard_iteratorINSA_11use_defaultEEES6_EEENSH_IJSG_SG_EEES6_PlJNSB_9not_fun_tI7is_trueIfEEEEEE10hipError_tPvRmT3_T4_T5_T6_T7_T9_mT8_P12ihipStream_tbDpT10_ENKUlT_T0_E_clISt17integral_constantIbLb1EES1A_IbLb0EEEEDaS16_S17_EUlS16_E_NS1_11comp_targetILNS1_3genE3ELNS1_11target_archE908ELNS1_3gpuE7ELNS1_3repE0EEENS1_30default_config_static_selectorELNS0_4arch9wavefront6targetE0EEEvT1_
		.amdhsa_group_segment_fixed_size 0
		.amdhsa_private_segment_fixed_size 0
		.amdhsa_kernarg_size 120
		.amdhsa_user_sgpr_count 2
		.amdhsa_user_sgpr_dispatch_ptr 0
		.amdhsa_user_sgpr_queue_ptr 0
		.amdhsa_user_sgpr_kernarg_segment_ptr 1
		.amdhsa_user_sgpr_dispatch_id 0
		.amdhsa_user_sgpr_private_segment_size 0
		.amdhsa_wavefront_size32 1
		.amdhsa_uses_dynamic_stack 0
		.amdhsa_enable_private_segment 0
		.amdhsa_system_sgpr_workgroup_id_x 1
		.amdhsa_system_sgpr_workgroup_id_y 0
		.amdhsa_system_sgpr_workgroup_id_z 0
		.amdhsa_system_sgpr_workgroup_info 0
		.amdhsa_system_vgpr_workitem_id 0
		.amdhsa_next_free_vgpr 1
		.amdhsa_next_free_sgpr 1
		.amdhsa_reserve_vcc 0
		.amdhsa_float_round_mode_32 0
		.amdhsa_float_round_mode_16_64 0
		.amdhsa_float_denorm_mode_32 3
		.amdhsa_float_denorm_mode_16_64 3
		.amdhsa_fp16_overflow 0
		.amdhsa_workgroup_processor_mode 1
		.amdhsa_memory_ordered 1
		.amdhsa_forward_progress 1
		.amdhsa_inst_pref_size 0
		.amdhsa_round_robin_scheduling 0
		.amdhsa_exception_fp_ieee_invalid_op 0
		.amdhsa_exception_fp_denorm_src 0
		.amdhsa_exception_fp_ieee_div_zero 0
		.amdhsa_exception_fp_ieee_overflow 0
		.amdhsa_exception_fp_ieee_underflow 0
		.amdhsa_exception_fp_ieee_inexact 0
		.amdhsa_exception_int_div_zero 0
	.end_amdhsa_kernel
	.section	.text._ZN7rocprim17ROCPRIM_400000_NS6detail17trampoline_kernelINS0_14default_configENS1_25partition_config_selectorILNS1_17partition_subalgoE6EfNS0_10empty_typeEbEEZZNS1_14partition_implILS5_6ELb0ES3_mN6thrust23THRUST_200600_302600_NS6detail15normal_iteratorINSA_10device_ptrIfEEEEPS6_SG_NS0_5tupleIJNSA_16discard_iteratorINSA_11use_defaultEEES6_EEENSH_IJSG_SG_EEES6_PlJNSB_9not_fun_tI7is_trueIfEEEEEE10hipError_tPvRmT3_T4_T5_T6_T7_T9_mT8_P12ihipStream_tbDpT10_ENKUlT_T0_E_clISt17integral_constantIbLb1EES1A_IbLb0EEEEDaS16_S17_EUlS16_E_NS1_11comp_targetILNS1_3genE3ELNS1_11target_archE908ELNS1_3gpuE7ELNS1_3repE0EEENS1_30default_config_static_selectorELNS0_4arch9wavefront6targetE0EEEvT1_,"axG",@progbits,_ZN7rocprim17ROCPRIM_400000_NS6detail17trampoline_kernelINS0_14default_configENS1_25partition_config_selectorILNS1_17partition_subalgoE6EfNS0_10empty_typeEbEEZZNS1_14partition_implILS5_6ELb0ES3_mN6thrust23THRUST_200600_302600_NS6detail15normal_iteratorINSA_10device_ptrIfEEEEPS6_SG_NS0_5tupleIJNSA_16discard_iteratorINSA_11use_defaultEEES6_EEENSH_IJSG_SG_EEES6_PlJNSB_9not_fun_tI7is_trueIfEEEEEE10hipError_tPvRmT3_T4_T5_T6_T7_T9_mT8_P12ihipStream_tbDpT10_ENKUlT_T0_E_clISt17integral_constantIbLb1EES1A_IbLb0EEEEDaS16_S17_EUlS16_E_NS1_11comp_targetILNS1_3genE3ELNS1_11target_archE908ELNS1_3gpuE7ELNS1_3repE0EEENS1_30default_config_static_selectorELNS0_4arch9wavefront6targetE0EEEvT1_,comdat
.Lfunc_end2128:
	.size	_ZN7rocprim17ROCPRIM_400000_NS6detail17trampoline_kernelINS0_14default_configENS1_25partition_config_selectorILNS1_17partition_subalgoE6EfNS0_10empty_typeEbEEZZNS1_14partition_implILS5_6ELb0ES3_mN6thrust23THRUST_200600_302600_NS6detail15normal_iteratorINSA_10device_ptrIfEEEEPS6_SG_NS0_5tupleIJNSA_16discard_iteratorINSA_11use_defaultEEES6_EEENSH_IJSG_SG_EEES6_PlJNSB_9not_fun_tI7is_trueIfEEEEEE10hipError_tPvRmT3_T4_T5_T6_T7_T9_mT8_P12ihipStream_tbDpT10_ENKUlT_T0_E_clISt17integral_constantIbLb1EES1A_IbLb0EEEEDaS16_S17_EUlS16_E_NS1_11comp_targetILNS1_3genE3ELNS1_11target_archE908ELNS1_3gpuE7ELNS1_3repE0EEENS1_30default_config_static_selectorELNS0_4arch9wavefront6targetE0EEEvT1_, .Lfunc_end2128-_ZN7rocprim17ROCPRIM_400000_NS6detail17trampoline_kernelINS0_14default_configENS1_25partition_config_selectorILNS1_17partition_subalgoE6EfNS0_10empty_typeEbEEZZNS1_14partition_implILS5_6ELb0ES3_mN6thrust23THRUST_200600_302600_NS6detail15normal_iteratorINSA_10device_ptrIfEEEEPS6_SG_NS0_5tupleIJNSA_16discard_iteratorINSA_11use_defaultEEES6_EEENSH_IJSG_SG_EEES6_PlJNSB_9not_fun_tI7is_trueIfEEEEEE10hipError_tPvRmT3_T4_T5_T6_T7_T9_mT8_P12ihipStream_tbDpT10_ENKUlT_T0_E_clISt17integral_constantIbLb1EES1A_IbLb0EEEEDaS16_S17_EUlS16_E_NS1_11comp_targetILNS1_3genE3ELNS1_11target_archE908ELNS1_3gpuE7ELNS1_3repE0EEENS1_30default_config_static_selectorELNS0_4arch9wavefront6targetE0EEEvT1_
                                        ; -- End function
	.set _ZN7rocprim17ROCPRIM_400000_NS6detail17trampoline_kernelINS0_14default_configENS1_25partition_config_selectorILNS1_17partition_subalgoE6EfNS0_10empty_typeEbEEZZNS1_14partition_implILS5_6ELb0ES3_mN6thrust23THRUST_200600_302600_NS6detail15normal_iteratorINSA_10device_ptrIfEEEEPS6_SG_NS0_5tupleIJNSA_16discard_iteratorINSA_11use_defaultEEES6_EEENSH_IJSG_SG_EEES6_PlJNSB_9not_fun_tI7is_trueIfEEEEEE10hipError_tPvRmT3_T4_T5_T6_T7_T9_mT8_P12ihipStream_tbDpT10_ENKUlT_T0_E_clISt17integral_constantIbLb1EES1A_IbLb0EEEEDaS16_S17_EUlS16_E_NS1_11comp_targetILNS1_3genE3ELNS1_11target_archE908ELNS1_3gpuE7ELNS1_3repE0EEENS1_30default_config_static_selectorELNS0_4arch9wavefront6targetE0EEEvT1_.num_vgpr, 0
	.set _ZN7rocprim17ROCPRIM_400000_NS6detail17trampoline_kernelINS0_14default_configENS1_25partition_config_selectorILNS1_17partition_subalgoE6EfNS0_10empty_typeEbEEZZNS1_14partition_implILS5_6ELb0ES3_mN6thrust23THRUST_200600_302600_NS6detail15normal_iteratorINSA_10device_ptrIfEEEEPS6_SG_NS0_5tupleIJNSA_16discard_iteratorINSA_11use_defaultEEES6_EEENSH_IJSG_SG_EEES6_PlJNSB_9not_fun_tI7is_trueIfEEEEEE10hipError_tPvRmT3_T4_T5_T6_T7_T9_mT8_P12ihipStream_tbDpT10_ENKUlT_T0_E_clISt17integral_constantIbLb1EES1A_IbLb0EEEEDaS16_S17_EUlS16_E_NS1_11comp_targetILNS1_3genE3ELNS1_11target_archE908ELNS1_3gpuE7ELNS1_3repE0EEENS1_30default_config_static_selectorELNS0_4arch9wavefront6targetE0EEEvT1_.num_agpr, 0
	.set _ZN7rocprim17ROCPRIM_400000_NS6detail17trampoline_kernelINS0_14default_configENS1_25partition_config_selectorILNS1_17partition_subalgoE6EfNS0_10empty_typeEbEEZZNS1_14partition_implILS5_6ELb0ES3_mN6thrust23THRUST_200600_302600_NS6detail15normal_iteratorINSA_10device_ptrIfEEEEPS6_SG_NS0_5tupleIJNSA_16discard_iteratorINSA_11use_defaultEEES6_EEENSH_IJSG_SG_EEES6_PlJNSB_9not_fun_tI7is_trueIfEEEEEE10hipError_tPvRmT3_T4_T5_T6_T7_T9_mT8_P12ihipStream_tbDpT10_ENKUlT_T0_E_clISt17integral_constantIbLb1EES1A_IbLb0EEEEDaS16_S17_EUlS16_E_NS1_11comp_targetILNS1_3genE3ELNS1_11target_archE908ELNS1_3gpuE7ELNS1_3repE0EEENS1_30default_config_static_selectorELNS0_4arch9wavefront6targetE0EEEvT1_.numbered_sgpr, 0
	.set _ZN7rocprim17ROCPRIM_400000_NS6detail17trampoline_kernelINS0_14default_configENS1_25partition_config_selectorILNS1_17partition_subalgoE6EfNS0_10empty_typeEbEEZZNS1_14partition_implILS5_6ELb0ES3_mN6thrust23THRUST_200600_302600_NS6detail15normal_iteratorINSA_10device_ptrIfEEEEPS6_SG_NS0_5tupleIJNSA_16discard_iteratorINSA_11use_defaultEEES6_EEENSH_IJSG_SG_EEES6_PlJNSB_9not_fun_tI7is_trueIfEEEEEE10hipError_tPvRmT3_T4_T5_T6_T7_T9_mT8_P12ihipStream_tbDpT10_ENKUlT_T0_E_clISt17integral_constantIbLb1EES1A_IbLb0EEEEDaS16_S17_EUlS16_E_NS1_11comp_targetILNS1_3genE3ELNS1_11target_archE908ELNS1_3gpuE7ELNS1_3repE0EEENS1_30default_config_static_selectorELNS0_4arch9wavefront6targetE0EEEvT1_.num_named_barrier, 0
	.set _ZN7rocprim17ROCPRIM_400000_NS6detail17trampoline_kernelINS0_14default_configENS1_25partition_config_selectorILNS1_17partition_subalgoE6EfNS0_10empty_typeEbEEZZNS1_14partition_implILS5_6ELb0ES3_mN6thrust23THRUST_200600_302600_NS6detail15normal_iteratorINSA_10device_ptrIfEEEEPS6_SG_NS0_5tupleIJNSA_16discard_iteratorINSA_11use_defaultEEES6_EEENSH_IJSG_SG_EEES6_PlJNSB_9not_fun_tI7is_trueIfEEEEEE10hipError_tPvRmT3_T4_T5_T6_T7_T9_mT8_P12ihipStream_tbDpT10_ENKUlT_T0_E_clISt17integral_constantIbLb1EES1A_IbLb0EEEEDaS16_S17_EUlS16_E_NS1_11comp_targetILNS1_3genE3ELNS1_11target_archE908ELNS1_3gpuE7ELNS1_3repE0EEENS1_30default_config_static_selectorELNS0_4arch9wavefront6targetE0EEEvT1_.private_seg_size, 0
	.set _ZN7rocprim17ROCPRIM_400000_NS6detail17trampoline_kernelINS0_14default_configENS1_25partition_config_selectorILNS1_17partition_subalgoE6EfNS0_10empty_typeEbEEZZNS1_14partition_implILS5_6ELb0ES3_mN6thrust23THRUST_200600_302600_NS6detail15normal_iteratorINSA_10device_ptrIfEEEEPS6_SG_NS0_5tupleIJNSA_16discard_iteratorINSA_11use_defaultEEES6_EEENSH_IJSG_SG_EEES6_PlJNSB_9not_fun_tI7is_trueIfEEEEEE10hipError_tPvRmT3_T4_T5_T6_T7_T9_mT8_P12ihipStream_tbDpT10_ENKUlT_T0_E_clISt17integral_constantIbLb1EES1A_IbLb0EEEEDaS16_S17_EUlS16_E_NS1_11comp_targetILNS1_3genE3ELNS1_11target_archE908ELNS1_3gpuE7ELNS1_3repE0EEENS1_30default_config_static_selectorELNS0_4arch9wavefront6targetE0EEEvT1_.uses_vcc, 0
	.set _ZN7rocprim17ROCPRIM_400000_NS6detail17trampoline_kernelINS0_14default_configENS1_25partition_config_selectorILNS1_17partition_subalgoE6EfNS0_10empty_typeEbEEZZNS1_14partition_implILS5_6ELb0ES3_mN6thrust23THRUST_200600_302600_NS6detail15normal_iteratorINSA_10device_ptrIfEEEEPS6_SG_NS0_5tupleIJNSA_16discard_iteratorINSA_11use_defaultEEES6_EEENSH_IJSG_SG_EEES6_PlJNSB_9not_fun_tI7is_trueIfEEEEEE10hipError_tPvRmT3_T4_T5_T6_T7_T9_mT8_P12ihipStream_tbDpT10_ENKUlT_T0_E_clISt17integral_constantIbLb1EES1A_IbLb0EEEEDaS16_S17_EUlS16_E_NS1_11comp_targetILNS1_3genE3ELNS1_11target_archE908ELNS1_3gpuE7ELNS1_3repE0EEENS1_30default_config_static_selectorELNS0_4arch9wavefront6targetE0EEEvT1_.uses_flat_scratch, 0
	.set _ZN7rocprim17ROCPRIM_400000_NS6detail17trampoline_kernelINS0_14default_configENS1_25partition_config_selectorILNS1_17partition_subalgoE6EfNS0_10empty_typeEbEEZZNS1_14partition_implILS5_6ELb0ES3_mN6thrust23THRUST_200600_302600_NS6detail15normal_iteratorINSA_10device_ptrIfEEEEPS6_SG_NS0_5tupleIJNSA_16discard_iteratorINSA_11use_defaultEEES6_EEENSH_IJSG_SG_EEES6_PlJNSB_9not_fun_tI7is_trueIfEEEEEE10hipError_tPvRmT3_T4_T5_T6_T7_T9_mT8_P12ihipStream_tbDpT10_ENKUlT_T0_E_clISt17integral_constantIbLb1EES1A_IbLb0EEEEDaS16_S17_EUlS16_E_NS1_11comp_targetILNS1_3genE3ELNS1_11target_archE908ELNS1_3gpuE7ELNS1_3repE0EEENS1_30default_config_static_selectorELNS0_4arch9wavefront6targetE0EEEvT1_.has_dyn_sized_stack, 0
	.set _ZN7rocprim17ROCPRIM_400000_NS6detail17trampoline_kernelINS0_14default_configENS1_25partition_config_selectorILNS1_17partition_subalgoE6EfNS0_10empty_typeEbEEZZNS1_14partition_implILS5_6ELb0ES3_mN6thrust23THRUST_200600_302600_NS6detail15normal_iteratorINSA_10device_ptrIfEEEEPS6_SG_NS0_5tupleIJNSA_16discard_iteratorINSA_11use_defaultEEES6_EEENSH_IJSG_SG_EEES6_PlJNSB_9not_fun_tI7is_trueIfEEEEEE10hipError_tPvRmT3_T4_T5_T6_T7_T9_mT8_P12ihipStream_tbDpT10_ENKUlT_T0_E_clISt17integral_constantIbLb1EES1A_IbLb0EEEEDaS16_S17_EUlS16_E_NS1_11comp_targetILNS1_3genE3ELNS1_11target_archE908ELNS1_3gpuE7ELNS1_3repE0EEENS1_30default_config_static_selectorELNS0_4arch9wavefront6targetE0EEEvT1_.has_recursion, 0
	.set _ZN7rocprim17ROCPRIM_400000_NS6detail17trampoline_kernelINS0_14default_configENS1_25partition_config_selectorILNS1_17partition_subalgoE6EfNS0_10empty_typeEbEEZZNS1_14partition_implILS5_6ELb0ES3_mN6thrust23THRUST_200600_302600_NS6detail15normal_iteratorINSA_10device_ptrIfEEEEPS6_SG_NS0_5tupleIJNSA_16discard_iteratorINSA_11use_defaultEEES6_EEENSH_IJSG_SG_EEES6_PlJNSB_9not_fun_tI7is_trueIfEEEEEE10hipError_tPvRmT3_T4_T5_T6_T7_T9_mT8_P12ihipStream_tbDpT10_ENKUlT_T0_E_clISt17integral_constantIbLb1EES1A_IbLb0EEEEDaS16_S17_EUlS16_E_NS1_11comp_targetILNS1_3genE3ELNS1_11target_archE908ELNS1_3gpuE7ELNS1_3repE0EEENS1_30default_config_static_selectorELNS0_4arch9wavefront6targetE0EEEvT1_.has_indirect_call, 0
	.section	.AMDGPU.csdata,"",@progbits
; Kernel info:
; codeLenInByte = 0
; TotalNumSgprs: 0
; NumVgprs: 0
; ScratchSize: 0
; MemoryBound: 0
; FloatMode: 240
; IeeeMode: 1
; LDSByteSize: 0 bytes/workgroup (compile time only)
; SGPRBlocks: 0
; VGPRBlocks: 0
; NumSGPRsForWavesPerEU: 1
; NumVGPRsForWavesPerEU: 1
; Occupancy: 16
; WaveLimiterHint : 0
; COMPUTE_PGM_RSRC2:SCRATCH_EN: 0
; COMPUTE_PGM_RSRC2:USER_SGPR: 2
; COMPUTE_PGM_RSRC2:TRAP_HANDLER: 0
; COMPUTE_PGM_RSRC2:TGID_X_EN: 1
; COMPUTE_PGM_RSRC2:TGID_Y_EN: 0
; COMPUTE_PGM_RSRC2:TGID_Z_EN: 0
; COMPUTE_PGM_RSRC2:TIDIG_COMP_CNT: 0
	.section	.text._ZN7rocprim17ROCPRIM_400000_NS6detail17trampoline_kernelINS0_14default_configENS1_25partition_config_selectorILNS1_17partition_subalgoE6EfNS0_10empty_typeEbEEZZNS1_14partition_implILS5_6ELb0ES3_mN6thrust23THRUST_200600_302600_NS6detail15normal_iteratorINSA_10device_ptrIfEEEEPS6_SG_NS0_5tupleIJNSA_16discard_iteratorINSA_11use_defaultEEES6_EEENSH_IJSG_SG_EEES6_PlJNSB_9not_fun_tI7is_trueIfEEEEEE10hipError_tPvRmT3_T4_T5_T6_T7_T9_mT8_P12ihipStream_tbDpT10_ENKUlT_T0_E_clISt17integral_constantIbLb1EES1A_IbLb0EEEEDaS16_S17_EUlS16_E_NS1_11comp_targetILNS1_3genE2ELNS1_11target_archE906ELNS1_3gpuE6ELNS1_3repE0EEENS1_30default_config_static_selectorELNS0_4arch9wavefront6targetE0EEEvT1_,"axG",@progbits,_ZN7rocprim17ROCPRIM_400000_NS6detail17trampoline_kernelINS0_14default_configENS1_25partition_config_selectorILNS1_17partition_subalgoE6EfNS0_10empty_typeEbEEZZNS1_14partition_implILS5_6ELb0ES3_mN6thrust23THRUST_200600_302600_NS6detail15normal_iteratorINSA_10device_ptrIfEEEEPS6_SG_NS0_5tupleIJNSA_16discard_iteratorINSA_11use_defaultEEES6_EEENSH_IJSG_SG_EEES6_PlJNSB_9not_fun_tI7is_trueIfEEEEEE10hipError_tPvRmT3_T4_T5_T6_T7_T9_mT8_P12ihipStream_tbDpT10_ENKUlT_T0_E_clISt17integral_constantIbLb1EES1A_IbLb0EEEEDaS16_S17_EUlS16_E_NS1_11comp_targetILNS1_3genE2ELNS1_11target_archE906ELNS1_3gpuE6ELNS1_3repE0EEENS1_30default_config_static_selectorELNS0_4arch9wavefront6targetE0EEEvT1_,comdat
	.protected	_ZN7rocprim17ROCPRIM_400000_NS6detail17trampoline_kernelINS0_14default_configENS1_25partition_config_selectorILNS1_17partition_subalgoE6EfNS0_10empty_typeEbEEZZNS1_14partition_implILS5_6ELb0ES3_mN6thrust23THRUST_200600_302600_NS6detail15normal_iteratorINSA_10device_ptrIfEEEEPS6_SG_NS0_5tupleIJNSA_16discard_iteratorINSA_11use_defaultEEES6_EEENSH_IJSG_SG_EEES6_PlJNSB_9not_fun_tI7is_trueIfEEEEEE10hipError_tPvRmT3_T4_T5_T6_T7_T9_mT8_P12ihipStream_tbDpT10_ENKUlT_T0_E_clISt17integral_constantIbLb1EES1A_IbLb0EEEEDaS16_S17_EUlS16_E_NS1_11comp_targetILNS1_3genE2ELNS1_11target_archE906ELNS1_3gpuE6ELNS1_3repE0EEENS1_30default_config_static_selectorELNS0_4arch9wavefront6targetE0EEEvT1_ ; -- Begin function _ZN7rocprim17ROCPRIM_400000_NS6detail17trampoline_kernelINS0_14default_configENS1_25partition_config_selectorILNS1_17partition_subalgoE6EfNS0_10empty_typeEbEEZZNS1_14partition_implILS5_6ELb0ES3_mN6thrust23THRUST_200600_302600_NS6detail15normal_iteratorINSA_10device_ptrIfEEEEPS6_SG_NS0_5tupleIJNSA_16discard_iteratorINSA_11use_defaultEEES6_EEENSH_IJSG_SG_EEES6_PlJNSB_9not_fun_tI7is_trueIfEEEEEE10hipError_tPvRmT3_T4_T5_T6_T7_T9_mT8_P12ihipStream_tbDpT10_ENKUlT_T0_E_clISt17integral_constantIbLb1EES1A_IbLb0EEEEDaS16_S17_EUlS16_E_NS1_11comp_targetILNS1_3genE2ELNS1_11target_archE906ELNS1_3gpuE6ELNS1_3repE0EEENS1_30default_config_static_selectorELNS0_4arch9wavefront6targetE0EEEvT1_
	.globl	_ZN7rocprim17ROCPRIM_400000_NS6detail17trampoline_kernelINS0_14default_configENS1_25partition_config_selectorILNS1_17partition_subalgoE6EfNS0_10empty_typeEbEEZZNS1_14partition_implILS5_6ELb0ES3_mN6thrust23THRUST_200600_302600_NS6detail15normal_iteratorINSA_10device_ptrIfEEEEPS6_SG_NS0_5tupleIJNSA_16discard_iteratorINSA_11use_defaultEEES6_EEENSH_IJSG_SG_EEES6_PlJNSB_9not_fun_tI7is_trueIfEEEEEE10hipError_tPvRmT3_T4_T5_T6_T7_T9_mT8_P12ihipStream_tbDpT10_ENKUlT_T0_E_clISt17integral_constantIbLb1EES1A_IbLb0EEEEDaS16_S17_EUlS16_E_NS1_11comp_targetILNS1_3genE2ELNS1_11target_archE906ELNS1_3gpuE6ELNS1_3repE0EEENS1_30default_config_static_selectorELNS0_4arch9wavefront6targetE0EEEvT1_
	.p2align	8
	.type	_ZN7rocprim17ROCPRIM_400000_NS6detail17trampoline_kernelINS0_14default_configENS1_25partition_config_selectorILNS1_17partition_subalgoE6EfNS0_10empty_typeEbEEZZNS1_14partition_implILS5_6ELb0ES3_mN6thrust23THRUST_200600_302600_NS6detail15normal_iteratorINSA_10device_ptrIfEEEEPS6_SG_NS0_5tupleIJNSA_16discard_iteratorINSA_11use_defaultEEES6_EEENSH_IJSG_SG_EEES6_PlJNSB_9not_fun_tI7is_trueIfEEEEEE10hipError_tPvRmT3_T4_T5_T6_T7_T9_mT8_P12ihipStream_tbDpT10_ENKUlT_T0_E_clISt17integral_constantIbLb1EES1A_IbLb0EEEEDaS16_S17_EUlS16_E_NS1_11comp_targetILNS1_3genE2ELNS1_11target_archE906ELNS1_3gpuE6ELNS1_3repE0EEENS1_30default_config_static_selectorELNS0_4arch9wavefront6targetE0EEEvT1_,@function
_ZN7rocprim17ROCPRIM_400000_NS6detail17trampoline_kernelINS0_14default_configENS1_25partition_config_selectorILNS1_17partition_subalgoE6EfNS0_10empty_typeEbEEZZNS1_14partition_implILS5_6ELb0ES3_mN6thrust23THRUST_200600_302600_NS6detail15normal_iteratorINSA_10device_ptrIfEEEEPS6_SG_NS0_5tupleIJNSA_16discard_iteratorINSA_11use_defaultEEES6_EEENSH_IJSG_SG_EEES6_PlJNSB_9not_fun_tI7is_trueIfEEEEEE10hipError_tPvRmT3_T4_T5_T6_T7_T9_mT8_P12ihipStream_tbDpT10_ENKUlT_T0_E_clISt17integral_constantIbLb1EES1A_IbLb0EEEEDaS16_S17_EUlS16_E_NS1_11comp_targetILNS1_3genE2ELNS1_11target_archE906ELNS1_3gpuE6ELNS1_3repE0EEENS1_30default_config_static_selectorELNS0_4arch9wavefront6targetE0EEEvT1_: ; @_ZN7rocprim17ROCPRIM_400000_NS6detail17trampoline_kernelINS0_14default_configENS1_25partition_config_selectorILNS1_17partition_subalgoE6EfNS0_10empty_typeEbEEZZNS1_14partition_implILS5_6ELb0ES3_mN6thrust23THRUST_200600_302600_NS6detail15normal_iteratorINSA_10device_ptrIfEEEEPS6_SG_NS0_5tupleIJNSA_16discard_iteratorINSA_11use_defaultEEES6_EEENSH_IJSG_SG_EEES6_PlJNSB_9not_fun_tI7is_trueIfEEEEEE10hipError_tPvRmT3_T4_T5_T6_T7_T9_mT8_P12ihipStream_tbDpT10_ENKUlT_T0_E_clISt17integral_constantIbLb1EES1A_IbLb0EEEEDaS16_S17_EUlS16_E_NS1_11comp_targetILNS1_3genE2ELNS1_11target_archE906ELNS1_3gpuE6ELNS1_3repE0EEENS1_30default_config_static_selectorELNS0_4arch9wavefront6targetE0EEEvT1_
; %bb.0:
	.section	.rodata,"a",@progbits
	.p2align	6, 0x0
	.amdhsa_kernel _ZN7rocprim17ROCPRIM_400000_NS6detail17trampoline_kernelINS0_14default_configENS1_25partition_config_selectorILNS1_17partition_subalgoE6EfNS0_10empty_typeEbEEZZNS1_14partition_implILS5_6ELb0ES3_mN6thrust23THRUST_200600_302600_NS6detail15normal_iteratorINSA_10device_ptrIfEEEEPS6_SG_NS0_5tupleIJNSA_16discard_iteratorINSA_11use_defaultEEES6_EEENSH_IJSG_SG_EEES6_PlJNSB_9not_fun_tI7is_trueIfEEEEEE10hipError_tPvRmT3_T4_T5_T6_T7_T9_mT8_P12ihipStream_tbDpT10_ENKUlT_T0_E_clISt17integral_constantIbLb1EES1A_IbLb0EEEEDaS16_S17_EUlS16_E_NS1_11comp_targetILNS1_3genE2ELNS1_11target_archE906ELNS1_3gpuE6ELNS1_3repE0EEENS1_30default_config_static_selectorELNS0_4arch9wavefront6targetE0EEEvT1_
		.amdhsa_group_segment_fixed_size 0
		.amdhsa_private_segment_fixed_size 0
		.amdhsa_kernarg_size 120
		.amdhsa_user_sgpr_count 2
		.amdhsa_user_sgpr_dispatch_ptr 0
		.amdhsa_user_sgpr_queue_ptr 0
		.amdhsa_user_sgpr_kernarg_segment_ptr 1
		.amdhsa_user_sgpr_dispatch_id 0
		.amdhsa_user_sgpr_private_segment_size 0
		.amdhsa_wavefront_size32 1
		.amdhsa_uses_dynamic_stack 0
		.amdhsa_enable_private_segment 0
		.amdhsa_system_sgpr_workgroup_id_x 1
		.amdhsa_system_sgpr_workgroup_id_y 0
		.amdhsa_system_sgpr_workgroup_id_z 0
		.amdhsa_system_sgpr_workgroup_info 0
		.amdhsa_system_vgpr_workitem_id 0
		.amdhsa_next_free_vgpr 1
		.amdhsa_next_free_sgpr 1
		.amdhsa_reserve_vcc 0
		.amdhsa_float_round_mode_32 0
		.amdhsa_float_round_mode_16_64 0
		.amdhsa_float_denorm_mode_32 3
		.amdhsa_float_denorm_mode_16_64 3
		.amdhsa_fp16_overflow 0
		.amdhsa_workgroup_processor_mode 1
		.amdhsa_memory_ordered 1
		.amdhsa_forward_progress 1
		.amdhsa_inst_pref_size 0
		.amdhsa_round_robin_scheduling 0
		.amdhsa_exception_fp_ieee_invalid_op 0
		.amdhsa_exception_fp_denorm_src 0
		.amdhsa_exception_fp_ieee_div_zero 0
		.amdhsa_exception_fp_ieee_overflow 0
		.amdhsa_exception_fp_ieee_underflow 0
		.amdhsa_exception_fp_ieee_inexact 0
		.amdhsa_exception_int_div_zero 0
	.end_amdhsa_kernel
	.section	.text._ZN7rocprim17ROCPRIM_400000_NS6detail17trampoline_kernelINS0_14default_configENS1_25partition_config_selectorILNS1_17partition_subalgoE6EfNS0_10empty_typeEbEEZZNS1_14partition_implILS5_6ELb0ES3_mN6thrust23THRUST_200600_302600_NS6detail15normal_iteratorINSA_10device_ptrIfEEEEPS6_SG_NS0_5tupleIJNSA_16discard_iteratorINSA_11use_defaultEEES6_EEENSH_IJSG_SG_EEES6_PlJNSB_9not_fun_tI7is_trueIfEEEEEE10hipError_tPvRmT3_T4_T5_T6_T7_T9_mT8_P12ihipStream_tbDpT10_ENKUlT_T0_E_clISt17integral_constantIbLb1EES1A_IbLb0EEEEDaS16_S17_EUlS16_E_NS1_11comp_targetILNS1_3genE2ELNS1_11target_archE906ELNS1_3gpuE6ELNS1_3repE0EEENS1_30default_config_static_selectorELNS0_4arch9wavefront6targetE0EEEvT1_,"axG",@progbits,_ZN7rocprim17ROCPRIM_400000_NS6detail17trampoline_kernelINS0_14default_configENS1_25partition_config_selectorILNS1_17partition_subalgoE6EfNS0_10empty_typeEbEEZZNS1_14partition_implILS5_6ELb0ES3_mN6thrust23THRUST_200600_302600_NS6detail15normal_iteratorINSA_10device_ptrIfEEEEPS6_SG_NS0_5tupleIJNSA_16discard_iteratorINSA_11use_defaultEEES6_EEENSH_IJSG_SG_EEES6_PlJNSB_9not_fun_tI7is_trueIfEEEEEE10hipError_tPvRmT3_T4_T5_T6_T7_T9_mT8_P12ihipStream_tbDpT10_ENKUlT_T0_E_clISt17integral_constantIbLb1EES1A_IbLb0EEEEDaS16_S17_EUlS16_E_NS1_11comp_targetILNS1_3genE2ELNS1_11target_archE906ELNS1_3gpuE6ELNS1_3repE0EEENS1_30default_config_static_selectorELNS0_4arch9wavefront6targetE0EEEvT1_,comdat
.Lfunc_end2129:
	.size	_ZN7rocprim17ROCPRIM_400000_NS6detail17trampoline_kernelINS0_14default_configENS1_25partition_config_selectorILNS1_17partition_subalgoE6EfNS0_10empty_typeEbEEZZNS1_14partition_implILS5_6ELb0ES3_mN6thrust23THRUST_200600_302600_NS6detail15normal_iteratorINSA_10device_ptrIfEEEEPS6_SG_NS0_5tupleIJNSA_16discard_iteratorINSA_11use_defaultEEES6_EEENSH_IJSG_SG_EEES6_PlJNSB_9not_fun_tI7is_trueIfEEEEEE10hipError_tPvRmT3_T4_T5_T6_T7_T9_mT8_P12ihipStream_tbDpT10_ENKUlT_T0_E_clISt17integral_constantIbLb1EES1A_IbLb0EEEEDaS16_S17_EUlS16_E_NS1_11comp_targetILNS1_3genE2ELNS1_11target_archE906ELNS1_3gpuE6ELNS1_3repE0EEENS1_30default_config_static_selectorELNS0_4arch9wavefront6targetE0EEEvT1_, .Lfunc_end2129-_ZN7rocprim17ROCPRIM_400000_NS6detail17trampoline_kernelINS0_14default_configENS1_25partition_config_selectorILNS1_17partition_subalgoE6EfNS0_10empty_typeEbEEZZNS1_14partition_implILS5_6ELb0ES3_mN6thrust23THRUST_200600_302600_NS6detail15normal_iteratorINSA_10device_ptrIfEEEEPS6_SG_NS0_5tupleIJNSA_16discard_iteratorINSA_11use_defaultEEES6_EEENSH_IJSG_SG_EEES6_PlJNSB_9not_fun_tI7is_trueIfEEEEEE10hipError_tPvRmT3_T4_T5_T6_T7_T9_mT8_P12ihipStream_tbDpT10_ENKUlT_T0_E_clISt17integral_constantIbLb1EES1A_IbLb0EEEEDaS16_S17_EUlS16_E_NS1_11comp_targetILNS1_3genE2ELNS1_11target_archE906ELNS1_3gpuE6ELNS1_3repE0EEENS1_30default_config_static_selectorELNS0_4arch9wavefront6targetE0EEEvT1_
                                        ; -- End function
	.set _ZN7rocprim17ROCPRIM_400000_NS6detail17trampoline_kernelINS0_14default_configENS1_25partition_config_selectorILNS1_17partition_subalgoE6EfNS0_10empty_typeEbEEZZNS1_14partition_implILS5_6ELb0ES3_mN6thrust23THRUST_200600_302600_NS6detail15normal_iteratorINSA_10device_ptrIfEEEEPS6_SG_NS0_5tupleIJNSA_16discard_iteratorINSA_11use_defaultEEES6_EEENSH_IJSG_SG_EEES6_PlJNSB_9not_fun_tI7is_trueIfEEEEEE10hipError_tPvRmT3_T4_T5_T6_T7_T9_mT8_P12ihipStream_tbDpT10_ENKUlT_T0_E_clISt17integral_constantIbLb1EES1A_IbLb0EEEEDaS16_S17_EUlS16_E_NS1_11comp_targetILNS1_3genE2ELNS1_11target_archE906ELNS1_3gpuE6ELNS1_3repE0EEENS1_30default_config_static_selectorELNS0_4arch9wavefront6targetE0EEEvT1_.num_vgpr, 0
	.set _ZN7rocprim17ROCPRIM_400000_NS6detail17trampoline_kernelINS0_14default_configENS1_25partition_config_selectorILNS1_17partition_subalgoE6EfNS0_10empty_typeEbEEZZNS1_14partition_implILS5_6ELb0ES3_mN6thrust23THRUST_200600_302600_NS6detail15normal_iteratorINSA_10device_ptrIfEEEEPS6_SG_NS0_5tupleIJNSA_16discard_iteratorINSA_11use_defaultEEES6_EEENSH_IJSG_SG_EEES6_PlJNSB_9not_fun_tI7is_trueIfEEEEEE10hipError_tPvRmT3_T4_T5_T6_T7_T9_mT8_P12ihipStream_tbDpT10_ENKUlT_T0_E_clISt17integral_constantIbLb1EES1A_IbLb0EEEEDaS16_S17_EUlS16_E_NS1_11comp_targetILNS1_3genE2ELNS1_11target_archE906ELNS1_3gpuE6ELNS1_3repE0EEENS1_30default_config_static_selectorELNS0_4arch9wavefront6targetE0EEEvT1_.num_agpr, 0
	.set _ZN7rocprim17ROCPRIM_400000_NS6detail17trampoline_kernelINS0_14default_configENS1_25partition_config_selectorILNS1_17partition_subalgoE6EfNS0_10empty_typeEbEEZZNS1_14partition_implILS5_6ELb0ES3_mN6thrust23THRUST_200600_302600_NS6detail15normal_iteratorINSA_10device_ptrIfEEEEPS6_SG_NS0_5tupleIJNSA_16discard_iteratorINSA_11use_defaultEEES6_EEENSH_IJSG_SG_EEES6_PlJNSB_9not_fun_tI7is_trueIfEEEEEE10hipError_tPvRmT3_T4_T5_T6_T7_T9_mT8_P12ihipStream_tbDpT10_ENKUlT_T0_E_clISt17integral_constantIbLb1EES1A_IbLb0EEEEDaS16_S17_EUlS16_E_NS1_11comp_targetILNS1_3genE2ELNS1_11target_archE906ELNS1_3gpuE6ELNS1_3repE0EEENS1_30default_config_static_selectorELNS0_4arch9wavefront6targetE0EEEvT1_.numbered_sgpr, 0
	.set _ZN7rocprim17ROCPRIM_400000_NS6detail17trampoline_kernelINS0_14default_configENS1_25partition_config_selectorILNS1_17partition_subalgoE6EfNS0_10empty_typeEbEEZZNS1_14partition_implILS5_6ELb0ES3_mN6thrust23THRUST_200600_302600_NS6detail15normal_iteratorINSA_10device_ptrIfEEEEPS6_SG_NS0_5tupleIJNSA_16discard_iteratorINSA_11use_defaultEEES6_EEENSH_IJSG_SG_EEES6_PlJNSB_9not_fun_tI7is_trueIfEEEEEE10hipError_tPvRmT3_T4_T5_T6_T7_T9_mT8_P12ihipStream_tbDpT10_ENKUlT_T0_E_clISt17integral_constantIbLb1EES1A_IbLb0EEEEDaS16_S17_EUlS16_E_NS1_11comp_targetILNS1_3genE2ELNS1_11target_archE906ELNS1_3gpuE6ELNS1_3repE0EEENS1_30default_config_static_selectorELNS0_4arch9wavefront6targetE0EEEvT1_.num_named_barrier, 0
	.set _ZN7rocprim17ROCPRIM_400000_NS6detail17trampoline_kernelINS0_14default_configENS1_25partition_config_selectorILNS1_17partition_subalgoE6EfNS0_10empty_typeEbEEZZNS1_14partition_implILS5_6ELb0ES3_mN6thrust23THRUST_200600_302600_NS6detail15normal_iteratorINSA_10device_ptrIfEEEEPS6_SG_NS0_5tupleIJNSA_16discard_iteratorINSA_11use_defaultEEES6_EEENSH_IJSG_SG_EEES6_PlJNSB_9not_fun_tI7is_trueIfEEEEEE10hipError_tPvRmT3_T4_T5_T6_T7_T9_mT8_P12ihipStream_tbDpT10_ENKUlT_T0_E_clISt17integral_constantIbLb1EES1A_IbLb0EEEEDaS16_S17_EUlS16_E_NS1_11comp_targetILNS1_3genE2ELNS1_11target_archE906ELNS1_3gpuE6ELNS1_3repE0EEENS1_30default_config_static_selectorELNS0_4arch9wavefront6targetE0EEEvT1_.private_seg_size, 0
	.set _ZN7rocprim17ROCPRIM_400000_NS6detail17trampoline_kernelINS0_14default_configENS1_25partition_config_selectorILNS1_17partition_subalgoE6EfNS0_10empty_typeEbEEZZNS1_14partition_implILS5_6ELb0ES3_mN6thrust23THRUST_200600_302600_NS6detail15normal_iteratorINSA_10device_ptrIfEEEEPS6_SG_NS0_5tupleIJNSA_16discard_iteratorINSA_11use_defaultEEES6_EEENSH_IJSG_SG_EEES6_PlJNSB_9not_fun_tI7is_trueIfEEEEEE10hipError_tPvRmT3_T4_T5_T6_T7_T9_mT8_P12ihipStream_tbDpT10_ENKUlT_T0_E_clISt17integral_constantIbLb1EES1A_IbLb0EEEEDaS16_S17_EUlS16_E_NS1_11comp_targetILNS1_3genE2ELNS1_11target_archE906ELNS1_3gpuE6ELNS1_3repE0EEENS1_30default_config_static_selectorELNS0_4arch9wavefront6targetE0EEEvT1_.uses_vcc, 0
	.set _ZN7rocprim17ROCPRIM_400000_NS6detail17trampoline_kernelINS0_14default_configENS1_25partition_config_selectorILNS1_17partition_subalgoE6EfNS0_10empty_typeEbEEZZNS1_14partition_implILS5_6ELb0ES3_mN6thrust23THRUST_200600_302600_NS6detail15normal_iteratorINSA_10device_ptrIfEEEEPS6_SG_NS0_5tupleIJNSA_16discard_iteratorINSA_11use_defaultEEES6_EEENSH_IJSG_SG_EEES6_PlJNSB_9not_fun_tI7is_trueIfEEEEEE10hipError_tPvRmT3_T4_T5_T6_T7_T9_mT8_P12ihipStream_tbDpT10_ENKUlT_T0_E_clISt17integral_constantIbLb1EES1A_IbLb0EEEEDaS16_S17_EUlS16_E_NS1_11comp_targetILNS1_3genE2ELNS1_11target_archE906ELNS1_3gpuE6ELNS1_3repE0EEENS1_30default_config_static_selectorELNS0_4arch9wavefront6targetE0EEEvT1_.uses_flat_scratch, 0
	.set _ZN7rocprim17ROCPRIM_400000_NS6detail17trampoline_kernelINS0_14default_configENS1_25partition_config_selectorILNS1_17partition_subalgoE6EfNS0_10empty_typeEbEEZZNS1_14partition_implILS5_6ELb0ES3_mN6thrust23THRUST_200600_302600_NS6detail15normal_iteratorINSA_10device_ptrIfEEEEPS6_SG_NS0_5tupleIJNSA_16discard_iteratorINSA_11use_defaultEEES6_EEENSH_IJSG_SG_EEES6_PlJNSB_9not_fun_tI7is_trueIfEEEEEE10hipError_tPvRmT3_T4_T5_T6_T7_T9_mT8_P12ihipStream_tbDpT10_ENKUlT_T0_E_clISt17integral_constantIbLb1EES1A_IbLb0EEEEDaS16_S17_EUlS16_E_NS1_11comp_targetILNS1_3genE2ELNS1_11target_archE906ELNS1_3gpuE6ELNS1_3repE0EEENS1_30default_config_static_selectorELNS0_4arch9wavefront6targetE0EEEvT1_.has_dyn_sized_stack, 0
	.set _ZN7rocprim17ROCPRIM_400000_NS6detail17trampoline_kernelINS0_14default_configENS1_25partition_config_selectorILNS1_17partition_subalgoE6EfNS0_10empty_typeEbEEZZNS1_14partition_implILS5_6ELb0ES3_mN6thrust23THRUST_200600_302600_NS6detail15normal_iteratorINSA_10device_ptrIfEEEEPS6_SG_NS0_5tupleIJNSA_16discard_iteratorINSA_11use_defaultEEES6_EEENSH_IJSG_SG_EEES6_PlJNSB_9not_fun_tI7is_trueIfEEEEEE10hipError_tPvRmT3_T4_T5_T6_T7_T9_mT8_P12ihipStream_tbDpT10_ENKUlT_T0_E_clISt17integral_constantIbLb1EES1A_IbLb0EEEEDaS16_S17_EUlS16_E_NS1_11comp_targetILNS1_3genE2ELNS1_11target_archE906ELNS1_3gpuE6ELNS1_3repE0EEENS1_30default_config_static_selectorELNS0_4arch9wavefront6targetE0EEEvT1_.has_recursion, 0
	.set _ZN7rocprim17ROCPRIM_400000_NS6detail17trampoline_kernelINS0_14default_configENS1_25partition_config_selectorILNS1_17partition_subalgoE6EfNS0_10empty_typeEbEEZZNS1_14partition_implILS5_6ELb0ES3_mN6thrust23THRUST_200600_302600_NS6detail15normal_iteratorINSA_10device_ptrIfEEEEPS6_SG_NS0_5tupleIJNSA_16discard_iteratorINSA_11use_defaultEEES6_EEENSH_IJSG_SG_EEES6_PlJNSB_9not_fun_tI7is_trueIfEEEEEE10hipError_tPvRmT3_T4_T5_T6_T7_T9_mT8_P12ihipStream_tbDpT10_ENKUlT_T0_E_clISt17integral_constantIbLb1EES1A_IbLb0EEEEDaS16_S17_EUlS16_E_NS1_11comp_targetILNS1_3genE2ELNS1_11target_archE906ELNS1_3gpuE6ELNS1_3repE0EEENS1_30default_config_static_selectorELNS0_4arch9wavefront6targetE0EEEvT1_.has_indirect_call, 0
	.section	.AMDGPU.csdata,"",@progbits
; Kernel info:
; codeLenInByte = 0
; TotalNumSgprs: 0
; NumVgprs: 0
; ScratchSize: 0
; MemoryBound: 0
; FloatMode: 240
; IeeeMode: 1
; LDSByteSize: 0 bytes/workgroup (compile time only)
; SGPRBlocks: 0
; VGPRBlocks: 0
; NumSGPRsForWavesPerEU: 1
; NumVGPRsForWavesPerEU: 1
; Occupancy: 16
; WaveLimiterHint : 0
; COMPUTE_PGM_RSRC2:SCRATCH_EN: 0
; COMPUTE_PGM_RSRC2:USER_SGPR: 2
; COMPUTE_PGM_RSRC2:TRAP_HANDLER: 0
; COMPUTE_PGM_RSRC2:TGID_X_EN: 1
; COMPUTE_PGM_RSRC2:TGID_Y_EN: 0
; COMPUTE_PGM_RSRC2:TGID_Z_EN: 0
; COMPUTE_PGM_RSRC2:TIDIG_COMP_CNT: 0
	.section	.text._ZN7rocprim17ROCPRIM_400000_NS6detail17trampoline_kernelINS0_14default_configENS1_25partition_config_selectorILNS1_17partition_subalgoE6EfNS0_10empty_typeEbEEZZNS1_14partition_implILS5_6ELb0ES3_mN6thrust23THRUST_200600_302600_NS6detail15normal_iteratorINSA_10device_ptrIfEEEEPS6_SG_NS0_5tupleIJNSA_16discard_iteratorINSA_11use_defaultEEES6_EEENSH_IJSG_SG_EEES6_PlJNSB_9not_fun_tI7is_trueIfEEEEEE10hipError_tPvRmT3_T4_T5_T6_T7_T9_mT8_P12ihipStream_tbDpT10_ENKUlT_T0_E_clISt17integral_constantIbLb1EES1A_IbLb0EEEEDaS16_S17_EUlS16_E_NS1_11comp_targetILNS1_3genE10ELNS1_11target_archE1200ELNS1_3gpuE4ELNS1_3repE0EEENS1_30default_config_static_selectorELNS0_4arch9wavefront6targetE0EEEvT1_,"axG",@progbits,_ZN7rocprim17ROCPRIM_400000_NS6detail17trampoline_kernelINS0_14default_configENS1_25partition_config_selectorILNS1_17partition_subalgoE6EfNS0_10empty_typeEbEEZZNS1_14partition_implILS5_6ELb0ES3_mN6thrust23THRUST_200600_302600_NS6detail15normal_iteratorINSA_10device_ptrIfEEEEPS6_SG_NS0_5tupleIJNSA_16discard_iteratorINSA_11use_defaultEEES6_EEENSH_IJSG_SG_EEES6_PlJNSB_9not_fun_tI7is_trueIfEEEEEE10hipError_tPvRmT3_T4_T5_T6_T7_T9_mT8_P12ihipStream_tbDpT10_ENKUlT_T0_E_clISt17integral_constantIbLb1EES1A_IbLb0EEEEDaS16_S17_EUlS16_E_NS1_11comp_targetILNS1_3genE10ELNS1_11target_archE1200ELNS1_3gpuE4ELNS1_3repE0EEENS1_30default_config_static_selectorELNS0_4arch9wavefront6targetE0EEEvT1_,comdat
	.protected	_ZN7rocprim17ROCPRIM_400000_NS6detail17trampoline_kernelINS0_14default_configENS1_25partition_config_selectorILNS1_17partition_subalgoE6EfNS0_10empty_typeEbEEZZNS1_14partition_implILS5_6ELb0ES3_mN6thrust23THRUST_200600_302600_NS6detail15normal_iteratorINSA_10device_ptrIfEEEEPS6_SG_NS0_5tupleIJNSA_16discard_iteratorINSA_11use_defaultEEES6_EEENSH_IJSG_SG_EEES6_PlJNSB_9not_fun_tI7is_trueIfEEEEEE10hipError_tPvRmT3_T4_T5_T6_T7_T9_mT8_P12ihipStream_tbDpT10_ENKUlT_T0_E_clISt17integral_constantIbLb1EES1A_IbLb0EEEEDaS16_S17_EUlS16_E_NS1_11comp_targetILNS1_3genE10ELNS1_11target_archE1200ELNS1_3gpuE4ELNS1_3repE0EEENS1_30default_config_static_selectorELNS0_4arch9wavefront6targetE0EEEvT1_ ; -- Begin function _ZN7rocprim17ROCPRIM_400000_NS6detail17trampoline_kernelINS0_14default_configENS1_25partition_config_selectorILNS1_17partition_subalgoE6EfNS0_10empty_typeEbEEZZNS1_14partition_implILS5_6ELb0ES3_mN6thrust23THRUST_200600_302600_NS6detail15normal_iteratorINSA_10device_ptrIfEEEEPS6_SG_NS0_5tupleIJNSA_16discard_iteratorINSA_11use_defaultEEES6_EEENSH_IJSG_SG_EEES6_PlJNSB_9not_fun_tI7is_trueIfEEEEEE10hipError_tPvRmT3_T4_T5_T6_T7_T9_mT8_P12ihipStream_tbDpT10_ENKUlT_T0_E_clISt17integral_constantIbLb1EES1A_IbLb0EEEEDaS16_S17_EUlS16_E_NS1_11comp_targetILNS1_3genE10ELNS1_11target_archE1200ELNS1_3gpuE4ELNS1_3repE0EEENS1_30default_config_static_selectorELNS0_4arch9wavefront6targetE0EEEvT1_
	.globl	_ZN7rocprim17ROCPRIM_400000_NS6detail17trampoline_kernelINS0_14default_configENS1_25partition_config_selectorILNS1_17partition_subalgoE6EfNS0_10empty_typeEbEEZZNS1_14partition_implILS5_6ELb0ES3_mN6thrust23THRUST_200600_302600_NS6detail15normal_iteratorINSA_10device_ptrIfEEEEPS6_SG_NS0_5tupleIJNSA_16discard_iteratorINSA_11use_defaultEEES6_EEENSH_IJSG_SG_EEES6_PlJNSB_9not_fun_tI7is_trueIfEEEEEE10hipError_tPvRmT3_T4_T5_T6_T7_T9_mT8_P12ihipStream_tbDpT10_ENKUlT_T0_E_clISt17integral_constantIbLb1EES1A_IbLb0EEEEDaS16_S17_EUlS16_E_NS1_11comp_targetILNS1_3genE10ELNS1_11target_archE1200ELNS1_3gpuE4ELNS1_3repE0EEENS1_30default_config_static_selectorELNS0_4arch9wavefront6targetE0EEEvT1_
	.p2align	8
	.type	_ZN7rocprim17ROCPRIM_400000_NS6detail17trampoline_kernelINS0_14default_configENS1_25partition_config_selectorILNS1_17partition_subalgoE6EfNS0_10empty_typeEbEEZZNS1_14partition_implILS5_6ELb0ES3_mN6thrust23THRUST_200600_302600_NS6detail15normal_iteratorINSA_10device_ptrIfEEEEPS6_SG_NS0_5tupleIJNSA_16discard_iteratorINSA_11use_defaultEEES6_EEENSH_IJSG_SG_EEES6_PlJNSB_9not_fun_tI7is_trueIfEEEEEE10hipError_tPvRmT3_T4_T5_T6_T7_T9_mT8_P12ihipStream_tbDpT10_ENKUlT_T0_E_clISt17integral_constantIbLb1EES1A_IbLb0EEEEDaS16_S17_EUlS16_E_NS1_11comp_targetILNS1_3genE10ELNS1_11target_archE1200ELNS1_3gpuE4ELNS1_3repE0EEENS1_30default_config_static_selectorELNS0_4arch9wavefront6targetE0EEEvT1_,@function
_ZN7rocprim17ROCPRIM_400000_NS6detail17trampoline_kernelINS0_14default_configENS1_25partition_config_selectorILNS1_17partition_subalgoE6EfNS0_10empty_typeEbEEZZNS1_14partition_implILS5_6ELb0ES3_mN6thrust23THRUST_200600_302600_NS6detail15normal_iteratorINSA_10device_ptrIfEEEEPS6_SG_NS0_5tupleIJNSA_16discard_iteratorINSA_11use_defaultEEES6_EEENSH_IJSG_SG_EEES6_PlJNSB_9not_fun_tI7is_trueIfEEEEEE10hipError_tPvRmT3_T4_T5_T6_T7_T9_mT8_P12ihipStream_tbDpT10_ENKUlT_T0_E_clISt17integral_constantIbLb1EES1A_IbLb0EEEEDaS16_S17_EUlS16_E_NS1_11comp_targetILNS1_3genE10ELNS1_11target_archE1200ELNS1_3gpuE4ELNS1_3repE0EEENS1_30default_config_static_selectorELNS0_4arch9wavefront6targetE0EEEvT1_: ; @_ZN7rocprim17ROCPRIM_400000_NS6detail17trampoline_kernelINS0_14default_configENS1_25partition_config_selectorILNS1_17partition_subalgoE6EfNS0_10empty_typeEbEEZZNS1_14partition_implILS5_6ELb0ES3_mN6thrust23THRUST_200600_302600_NS6detail15normal_iteratorINSA_10device_ptrIfEEEEPS6_SG_NS0_5tupleIJNSA_16discard_iteratorINSA_11use_defaultEEES6_EEENSH_IJSG_SG_EEES6_PlJNSB_9not_fun_tI7is_trueIfEEEEEE10hipError_tPvRmT3_T4_T5_T6_T7_T9_mT8_P12ihipStream_tbDpT10_ENKUlT_T0_E_clISt17integral_constantIbLb1EES1A_IbLb0EEEEDaS16_S17_EUlS16_E_NS1_11comp_targetILNS1_3genE10ELNS1_11target_archE1200ELNS1_3gpuE4ELNS1_3repE0EEENS1_30default_config_static_selectorELNS0_4arch9wavefront6targetE0EEEvT1_
; %bb.0:
	s_endpgm
	.section	.rodata,"a",@progbits
	.p2align	6, 0x0
	.amdhsa_kernel _ZN7rocprim17ROCPRIM_400000_NS6detail17trampoline_kernelINS0_14default_configENS1_25partition_config_selectorILNS1_17partition_subalgoE6EfNS0_10empty_typeEbEEZZNS1_14partition_implILS5_6ELb0ES3_mN6thrust23THRUST_200600_302600_NS6detail15normal_iteratorINSA_10device_ptrIfEEEEPS6_SG_NS0_5tupleIJNSA_16discard_iteratorINSA_11use_defaultEEES6_EEENSH_IJSG_SG_EEES6_PlJNSB_9not_fun_tI7is_trueIfEEEEEE10hipError_tPvRmT3_T4_T5_T6_T7_T9_mT8_P12ihipStream_tbDpT10_ENKUlT_T0_E_clISt17integral_constantIbLb1EES1A_IbLb0EEEEDaS16_S17_EUlS16_E_NS1_11comp_targetILNS1_3genE10ELNS1_11target_archE1200ELNS1_3gpuE4ELNS1_3repE0EEENS1_30default_config_static_selectorELNS0_4arch9wavefront6targetE0EEEvT1_
		.amdhsa_group_segment_fixed_size 0
		.amdhsa_private_segment_fixed_size 0
		.amdhsa_kernarg_size 120
		.amdhsa_user_sgpr_count 2
		.amdhsa_user_sgpr_dispatch_ptr 0
		.amdhsa_user_sgpr_queue_ptr 0
		.amdhsa_user_sgpr_kernarg_segment_ptr 1
		.amdhsa_user_sgpr_dispatch_id 0
		.amdhsa_user_sgpr_private_segment_size 0
		.amdhsa_wavefront_size32 1
		.amdhsa_uses_dynamic_stack 0
		.amdhsa_enable_private_segment 0
		.amdhsa_system_sgpr_workgroup_id_x 1
		.amdhsa_system_sgpr_workgroup_id_y 0
		.amdhsa_system_sgpr_workgroup_id_z 0
		.amdhsa_system_sgpr_workgroup_info 0
		.amdhsa_system_vgpr_workitem_id 0
		.amdhsa_next_free_vgpr 1
		.amdhsa_next_free_sgpr 1
		.amdhsa_reserve_vcc 0
		.amdhsa_float_round_mode_32 0
		.amdhsa_float_round_mode_16_64 0
		.amdhsa_float_denorm_mode_32 3
		.amdhsa_float_denorm_mode_16_64 3
		.amdhsa_fp16_overflow 0
		.amdhsa_workgroup_processor_mode 1
		.amdhsa_memory_ordered 1
		.amdhsa_forward_progress 1
		.amdhsa_inst_pref_size 1
		.amdhsa_round_robin_scheduling 0
		.amdhsa_exception_fp_ieee_invalid_op 0
		.amdhsa_exception_fp_denorm_src 0
		.amdhsa_exception_fp_ieee_div_zero 0
		.amdhsa_exception_fp_ieee_overflow 0
		.amdhsa_exception_fp_ieee_underflow 0
		.amdhsa_exception_fp_ieee_inexact 0
		.amdhsa_exception_int_div_zero 0
	.end_amdhsa_kernel
	.section	.text._ZN7rocprim17ROCPRIM_400000_NS6detail17trampoline_kernelINS0_14default_configENS1_25partition_config_selectorILNS1_17partition_subalgoE6EfNS0_10empty_typeEbEEZZNS1_14partition_implILS5_6ELb0ES3_mN6thrust23THRUST_200600_302600_NS6detail15normal_iteratorINSA_10device_ptrIfEEEEPS6_SG_NS0_5tupleIJNSA_16discard_iteratorINSA_11use_defaultEEES6_EEENSH_IJSG_SG_EEES6_PlJNSB_9not_fun_tI7is_trueIfEEEEEE10hipError_tPvRmT3_T4_T5_T6_T7_T9_mT8_P12ihipStream_tbDpT10_ENKUlT_T0_E_clISt17integral_constantIbLb1EES1A_IbLb0EEEEDaS16_S17_EUlS16_E_NS1_11comp_targetILNS1_3genE10ELNS1_11target_archE1200ELNS1_3gpuE4ELNS1_3repE0EEENS1_30default_config_static_selectorELNS0_4arch9wavefront6targetE0EEEvT1_,"axG",@progbits,_ZN7rocprim17ROCPRIM_400000_NS6detail17trampoline_kernelINS0_14default_configENS1_25partition_config_selectorILNS1_17partition_subalgoE6EfNS0_10empty_typeEbEEZZNS1_14partition_implILS5_6ELb0ES3_mN6thrust23THRUST_200600_302600_NS6detail15normal_iteratorINSA_10device_ptrIfEEEEPS6_SG_NS0_5tupleIJNSA_16discard_iteratorINSA_11use_defaultEEES6_EEENSH_IJSG_SG_EEES6_PlJNSB_9not_fun_tI7is_trueIfEEEEEE10hipError_tPvRmT3_T4_T5_T6_T7_T9_mT8_P12ihipStream_tbDpT10_ENKUlT_T0_E_clISt17integral_constantIbLb1EES1A_IbLb0EEEEDaS16_S17_EUlS16_E_NS1_11comp_targetILNS1_3genE10ELNS1_11target_archE1200ELNS1_3gpuE4ELNS1_3repE0EEENS1_30default_config_static_selectorELNS0_4arch9wavefront6targetE0EEEvT1_,comdat
.Lfunc_end2130:
	.size	_ZN7rocprim17ROCPRIM_400000_NS6detail17trampoline_kernelINS0_14default_configENS1_25partition_config_selectorILNS1_17partition_subalgoE6EfNS0_10empty_typeEbEEZZNS1_14partition_implILS5_6ELb0ES3_mN6thrust23THRUST_200600_302600_NS6detail15normal_iteratorINSA_10device_ptrIfEEEEPS6_SG_NS0_5tupleIJNSA_16discard_iteratorINSA_11use_defaultEEES6_EEENSH_IJSG_SG_EEES6_PlJNSB_9not_fun_tI7is_trueIfEEEEEE10hipError_tPvRmT3_T4_T5_T6_T7_T9_mT8_P12ihipStream_tbDpT10_ENKUlT_T0_E_clISt17integral_constantIbLb1EES1A_IbLb0EEEEDaS16_S17_EUlS16_E_NS1_11comp_targetILNS1_3genE10ELNS1_11target_archE1200ELNS1_3gpuE4ELNS1_3repE0EEENS1_30default_config_static_selectorELNS0_4arch9wavefront6targetE0EEEvT1_, .Lfunc_end2130-_ZN7rocprim17ROCPRIM_400000_NS6detail17trampoline_kernelINS0_14default_configENS1_25partition_config_selectorILNS1_17partition_subalgoE6EfNS0_10empty_typeEbEEZZNS1_14partition_implILS5_6ELb0ES3_mN6thrust23THRUST_200600_302600_NS6detail15normal_iteratorINSA_10device_ptrIfEEEEPS6_SG_NS0_5tupleIJNSA_16discard_iteratorINSA_11use_defaultEEES6_EEENSH_IJSG_SG_EEES6_PlJNSB_9not_fun_tI7is_trueIfEEEEEE10hipError_tPvRmT3_T4_T5_T6_T7_T9_mT8_P12ihipStream_tbDpT10_ENKUlT_T0_E_clISt17integral_constantIbLb1EES1A_IbLb0EEEEDaS16_S17_EUlS16_E_NS1_11comp_targetILNS1_3genE10ELNS1_11target_archE1200ELNS1_3gpuE4ELNS1_3repE0EEENS1_30default_config_static_selectorELNS0_4arch9wavefront6targetE0EEEvT1_
                                        ; -- End function
	.set _ZN7rocprim17ROCPRIM_400000_NS6detail17trampoline_kernelINS0_14default_configENS1_25partition_config_selectorILNS1_17partition_subalgoE6EfNS0_10empty_typeEbEEZZNS1_14partition_implILS5_6ELb0ES3_mN6thrust23THRUST_200600_302600_NS6detail15normal_iteratorINSA_10device_ptrIfEEEEPS6_SG_NS0_5tupleIJNSA_16discard_iteratorINSA_11use_defaultEEES6_EEENSH_IJSG_SG_EEES6_PlJNSB_9not_fun_tI7is_trueIfEEEEEE10hipError_tPvRmT3_T4_T5_T6_T7_T9_mT8_P12ihipStream_tbDpT10_ENKUlT_T0_E_clISt17integral_constantIbLb1EES1A_IbLb0EEEEDaS16_S17_EUlS16_E_NS1_11comp_targetILNS1_3genE10ELNS1_11target_archE1200ELNS1_3gpuE4ELNS1_3repE0EEENS1_30default_config_static_selectorELNS0_4arch9wavefront6targetE0EEEvT1_.num_vgpr, 0
	.set _ZN7rocprim17ROCPRIM_400000_NS6detail17trampoline_kernelINS0_14default_configENS1_25partition_config_selectorILNS1_17partition_subalgoE6EfNS0_10empty_typeEbEEZZNS1_14partition_implILS5_6ELb0ES3_mN6thrust23THRUST_200600_302600_NS6detail15normal_iteratorINSA_10device_ptrIfEEEEPS6_SG_NS0_5tupleIJNSA_16discard_iteratorINSA_11use_defaultEEES6_EEENSH_IJSG_SG_EEES6_PlJNSB_9not_fun_tI7is_trueIfEEEEEE10hipError_tPvRmT3_T4_T5_T6_T7_T9_mT8_P12ihipStream_tbDpT10_ENKUlT_T0_E_clISt17integral_constantIbLb1EES1A_IbLb0EEEEDaS16_S17_EUlS16_E_NS1_11comp_targetILNS1_3genE10ELNS1_11target_archE1200ELNS1_3gpuE4ELNS1_3repE0EEENS1_30default_config_static_selectorELNS0_4arch9wavefront6targetE0EEEvT1_.num_agpr, 0
	.set _ZN7rocprim17ROCPRIM_400000_NS6detail17trampoline_kernelINS0_14default_configENS1_25partition_config_selectorILNS1_17partition_subalgoE6EfNS0_10empty_typeEbEEZZNS1_14partition_implILS5_6ELb0ES3_mN6thrust23THRUST_200600_302600_NS6detail15normal_iteratorINSA_10device_ptrIfEEEEPS6_SG_NS0_5tupleIJNSA_16discard_iteratorINSA_11use_defaultEEES6_EEENSH_IJSG_SG_EEES6_PlJNSB_9not_fun_tI7is_trueIfEEEEEE10hipError_tPvRmT3_T4_T5_T6_T7_T9_mT8_P12ihipStream_tbDpT10_ENKUlT_T0_E_clISt17integral_constantIbLb1EES1A_IbLb0EEEEDaS16_S17_EUlS16_E_NS1_11comp_targetILNS1_3genE10ELNS1_11target_archE1200ELNS1_3gpuE4ELNS1_3repE0EEENS1_30default_config_static_selectorELNS0_4arch9wavefront6targetE0EEEvT1_.numbered_sgpr, 0
	.set _ZN7rocprim17ROCPRIM_400000_NS6detail17trampoline_kernelINS0_14default_configENS1_25partition_config_selectorILNS1_17partition_subalgoE6EfNS0_10empty_typeEbEEZZNS1_14partition_implILS5_6ELb0ES3_mN6thrust23THRUST_200600_302600_NS6detail15normal_iteratorINSA_10device_ptrIfEEEEPS6_SG_NS0_5tupleIJNSA_16discard_iteratorINSA_11use_defaultEEES6_EEENSH_IJSG_SG_EEES6_PlJNSB_9not_fun_tI7is_trueIfEEEEEE10hipError_tPvRmT3_T4_T5_T6_T7_T9_mT8_P12ihipStream_tbDpT10_ENKUlT_T0_E_clISt17integral_constantIbLb1EES1A_IbLb0EEEEDaS16_S17_EUlS16_E_NS1_11comp_targetILNS1_3genE10ELNS1_11target_archE1200ELNS1_3gpuE4ELNS1_3repE0EEENS1_30default_config_static_selectorELNS0_4arch9wavefront6targetE0EEEvT1_.num_named_barrier, 0
	.set _ZN7rocprim17ROCPRIM_400000_NS6detail17trampoline_kernelINS0_14default_configENS1_25partition_config_selectorILNS1_17partition_subalgoE6EfNS0_10empty_typeEbEEZZNS1_14partition_implILS5_6ELb0ES3_mN6thrust23THRUST_200600_302600_NS6detail15normal_iteratorINSA_10device_ptrIfEEEEPS6_SG_NS0_5tupleIJNSA_16discard_iteratorINSA_11use_defaultEEES6_EEENSH_IJSG_SG_EEES6_PlJNSB_9not_fun_tI7is_trueIfEEEEEE10hipError_tPvRmT3_T4_T5_T6_T7_T9_mT8_P12ihipStream_tbDpT10_ENKUlT_T0_E_clISt17integral_constantIbLb1EES1A_IbLb0EEEEDaS16_S17_EUlS16_E_NS1_11comp_targetILNS1_3genE10ELNS1_11target_archE1200ELNS1_3gpuE4ELNS1_3repE0EEENS1_30default_config_static_selectorELNS0_4arch9wavefront6targetE0EEEvT1_.private_seg_size, 0
	.set _ZN7rocprim17ROCPRIM_400000_NS6detail17trampoline_kernelINS0_14default_configENS1_25partition_config_selectorILNS1_17partition_subalgoE6EfNS0_10empty_typeEbEEZZNS1_14partition_implILS5_6ELb0ES3_mN6thrust23THRUST_200600_302600_NS6detail15normal_iteratorINSA_10device_ptrIfEEEEPS6_SG_NS0_5tupleIJNSA_16discard_iteratorINSA_11use_defaultEEES6_EEENSH_IJSG_SG_EEES6_PlJNSB_9not_fun_tI7is_trueIfEEEEEE10hipError_tPvRmT3_T4_T5_T6_T7_T9_mT8_P12ihipStream_tbDpT10_ENKUlT_T0_E_clISt17integral_constantIbLb1EES1A_IbLb0EEEEDaS16_S17_EUlS16_E_NS1_11comp_targetILNS1_3genE10ELNS1_11target_archE1200ELNS1_3gpuE4ELNS1_3repE0EEENS1_30default_config_static_selectorELNS0_4arch9wavefront6targetE0EEEvT1_.uses_vcc, 0
	.set _ZN7rocprim17ROCPRIM_400000_NS6detail17trampoline_kernelINS0_14default_configENS1_25partition_config_selectorILNS1_17partition_subalgoE6EfNS0_10empty_typeEbEEZZNS1_14partition_implILS5_6ELb0ES3_mN6thrust23THRUST_200600_302600_NS6detail15normal_iteratorINSA_10device_ptrIfEEEEPS6_SG_NS0_5tupleIJNSA_16discard_iteratorINSA_11use_defaultEEES6_EEENSH_IJSG_SG_EEES6_PlJNSB_9not_fun_tI7is_trueIfEEEEEE10hipError_tPvRmT3_T4_T5_T6_T7_T9_mT8_P12ihipStream_tbDpT10_ENKUlT_T0_E_clISt17integral_constantIbLb1EES1A_IbLb0EEEEDaS16_S17_EUlS16_E_NS1_11comp_targetILNS1_3genE10ELNS1_11target_archE1200ELNS1_3gpuE4ELNS1_3repE0EEENS1_30default_config_static_selectorELNS0_4arch9wavefront6targetE0EEEvT1_.uses_flat_scratch, 0
	.set _ZN7rocprim17ROCPRIM_400000_NS6detail17trampoline_kernelINS0_14default_configENS1_25partition_config_selectorILNS1_17partition_subalgoE6EfNS0_10empty_typeEbEEZZNS1_14partition_implILS5_6ELb0ES3_mN6thrust23THRUST_200600_302600_NS6detail15normal_iteratorINSA_10device_ptrIfEEEEPS6_SG_NS0_5tupleIJNSA_16discard_iteratorINSA_11use_defaultEEES6_EEENSH_IJSG_SG_EEES6_PlJNSB_9not_fun_tI7is_trueIfEEEEEE10hipError_tPvRmT3_T4_T5_T6_T7_T9_mT8_P12ihipStream_tbDpT10_ENKUlT_T0_E_clISt17integral_constantIbLb1EES1A_IbLb0EEEEDaS16_S17_EUlS16_E_NS1_11comp_targetILNS1_3genE10ELNS1_11target_archE1200ELNS1_3gpuE4ELNS1_3repE0EEENS1_30default_config_static_selectorELNS0_4arch9wavefront6targetE0EEEvT1_.has_dyn_sized_stack, 0
	.set _ZN7rocprim17ROCPRIM_400000_NS6detail17trampoline_kernelINS0_14default_configENS1_25partition_config_selectorILNS1_17partition_subalgoE6EfNS0_10empty_typeEbEEZZNS1_14partition_implILS5_6ELb0ES3_mN6thrust23THRUST_200600_302600_NS6detail15normal_iteratorINSA_10device_ptrIfEEEEPS6_SG_NS0_5tupleIJNSA_16discard_iteratorINSA_11use_defaultEEES6_EEENSH_IJSG_SG_EEES6_PlJNSB_9not_fun_tI7is_trueIfEEEEEE10hipError_tPvRmT3_T4_T5_T6_T7_T9_mT8_P12ihipStream_tbDpT10_ENKUlT_T0_E_clISt17integral_constantIbLb1EES1A_IbLb0EEEEDaS16_S17_EUlS16_E_NS1_11comp_targetILNS1_3genE10ELNS1_11target_archE1200ELNS1_3gpuE4ELNS1_3repE0EEENS1_30default_config_static_selectorELNS0_4arch9wavefront6targetE0EEEvT1_.has_recursion, 0
	.set _ZN7rocprim17ROCPRIM_400000_NS6detail17trampoline_kernelINS0_14default_configENS1_25partition_config_selectorILNS1_17partition_subalgoE6EfNS0_10empty_typeEbEEZZNS1_14partition_implILS5_6ELb0ES3_mN6thrust23THRUST_200600_302600_NS6detail15normal_iteratorINSA_10device_ptrIfEEEEPS6_SG_NS0_5tupleIJNSA_16discard_iteratorINSA_11use_defaultEEES6_EEENSH_IJSG_SG_EEES6_PlJNSB_9not_fun_tI7is_trueIfEEEEEE10hipError_tPvRmT3_T4_T5_T6_T7_T9_mT8_P12ihipStream_tbDpT10_ENKUlT_T0_E_clISt17integral_constantIbLb1EES1A_IbLb0EEEEDaS16_S17_EUlS16_E_NS1_11comp_targetILNS1_3genE10ELNS1_11target_archE1200ELNS1_3gpuE4ELNS1_3repE0EEENS1_30default_config_static_selectorELNS0_4arch9wavefront6targetE0EEEvT1_.has_indirect_call, 0
	.section	.AMDGPU.csdata,"",@progbits
; Kernel info:
; codeLenInByte = 4
; TotalNumSgprs: 0
; NumVgprs: 0
; ScratchSize: 0
; MemoryBound: 0
; FloatMode: 240
; IeeeMode: 1
; LDSByteSize: 0 bytes/workgroup (compile time only)
; SGPRBlocks: 0
; VGPRBlocks: 0
; NumSGPRsForWavesPerEU: 1
; NumVGPRsForWavesPerEU: 1
; Occupancy: 16
; WaveLimiterHint : 0
; COMPUTE_PGM_RSRC2:SCRATCH_EN: 0
; COMPUTE_PGM_RSRC2:USER_SGPR: 2
; COMPUTE_PGM_RSRC2:TRAP_HANDLER: 0
; COMPUTE_PGM_RSRC2:TGID_X_EN: 1
; COMPUTE_PGM_RSRC2:TGID_Y_EN: 0
; COMPUTE_PGM_RSRC2:TGID_Z_EN: 0
; COMPUTE_PGM_RSRC2:TIDIG_COMP_CNT: 0
	.section	.text._ZN7rocprim17ROCPRIM_400000_NS6detail17trampoline_kernelINS0_14default_configENS1_25partition_config_selectorILNS1_17partition_subalgoE6EfNS0_10empty_typeEbEEZZNS1_14partition_implILS5_6ELb0ES3_mN6thrust23THRUST_200600_302600_NS6detail15normal_iteratorINSA_10device_ptrIfEEEEPS6_SG_NS0_5tupleIJNSA_16discard_iteratorINSA_11use_defaultEEES6_EEENSH_IJSG_SG_EEES6_PlJNSB_9not_fun_tI7is_trueIfEEEEEE10hipError_tPvRmT3_T4_T5_T6_T7_T9_mT8_P12ihipStream_tbDpT10_ENKUlT_T0_E_clISt17integral_constantIbLb1EES1A_IbLb0EEEEDaS16_S17_EUlS16_E_NS1_11comp_targetILNS1_3genE9ELNS1_11target_archE1100ELNS1_3gpuE3ELNS1_3repE0EEENS1_30default_config_static_selectorELNS0_4arch9wavefront6targetE0EEEvT1_,"axG",@progbits,_ZN7rocprim17ROCPRIM_400000_NS6detail17trampoline_kernelINS0_14default_configENS1_25partition_config_selectorILNS1_17partition_subalgoE6EfNS0_10empty_typeEbEEZZNS1_14partition_implILS5_6ELb0ES3_mN6thrust23THRUST_200600_302600_NS6detail15normal_iteratorINSA_10device_ptrIfEEEEPS6_SG_NS0_5tupleIJNSA_16discard_iteratorINSA_11use_defaultEEES6_EEENSH_IJSG_SG_EEES6_PlJNSB_9not_fun_tI7is_trueIfEEEEEE10hipError_tPvRmT3_T4_T5_T6_T7_T9_mT8_P12ihipStream_tbDpT10_ENKUlT_T0_E_clISt17integral_constantIbLb1EES1A_IbLb0EEEEDaS16_S17_EUlS16_E_NS1_11comp_targetILNS1_3genE9ELNS1_11target_archE1100ELNS1_3gpuE3ELNS1_3repE0EEENS1_30default_config_static_selectorELNS0_4arch9wavefront6targetE0EEEvT1_,comdat
	.protected	_ZN7rocprim17ROCPRIM_400000_NS6detail17trampoline_kernelINS0_14default_configENS1_25partition_config_selectorILNS1_17partition_subalgoE6EfNS0_10empty_typeEbEEZZNS1_14partition_implILS5_6ELb0ES3_mN6thrust23THRUST_200600_302600_NS6detail15normal_iteratorINSA_10device_ptrIfEEEEPS6_SG_NS0_5tupleIJNSA_16discard_iteratorINSA_11use_defaultEEES6_EEENSH_IJSG_SG_EEES6_PlJNSB_9not_fun_tI7is_trueIfEEEEEE10hipError_tPvRmT3_T4_T5_T6_T7_T9_mT8_P12ihipStream_tbDpT10_ENKUlT_T0_E_clISt17integral_constantIbLb1EES1A_IbLb0EEEEDaS16_S17_EUlS16_E_NS1_11comp_targetILNS1_3genE9ELNS1_11target_archE1100ELNS1_3gpuE3ELNS1_3repE0EEENS1_30default_config_static_selectorELNS0_4arch9wavefront6targetE0EEEvT1_ ; -- Begin function _ZN7rocprim17ROCPRIM_400000_NS6detail17trampoline_kernelINS0_14default_configENS1_25partition_config_selectorILNS1_17partition_subalgoE6EfNS0_10empty_typeEbEEZZNS1_14partition_implILS5_6ELb0ES3_mN6thrust23THRUST_200600_302600_NS6detail15normal_iteratorINSA_10device_ptrIfEEEEPS6_SG_NS0_5tupleIJNSA_16discard_iteratorINSA_11use_defaultEEES6_EEENSH_IJSG_SG_EEES6_PlJNSB_9not_fun_tI7is_trueIfEEEEEE10hipError_tPvRmT3_T4_T5_T6_T7_T9_mT8_P12ihipStream_tbDpT10_ENKUlT_T0_E_clISt17integral_constantIbLb1EES1A_IbLb0EEEEDaS16_S17_EUlS16_E_NS1_11comp_targetILNS1_3genE9ELNS1_11target_archE1100ELNS1_3gpuE3ELNS1_3repE0EEENS1_30default_config_static_selectorELNS0_4arch9wavefront6targetE0EEEvT1_
	.globl	_ZN7rocprim17ROCPRIM_400000_NS6detail17trampoline_kernelINS0_14default_configENS1_25partition_config_selectorILNS1_17partition_subalgoE6EfNS0_10empty_typeEbEEZZNS1_14partition_implILS5_6ELb0ES3_mN6thrust23THRUST_200600_302600_NS6detail15normal_iteratorINSA_10device_ptrIfEEEEPS6_SG_NS0_5tupleIJNSA_16discard_iteratorINSA_11use_defaultEEES6_EEENSH_IJSG_SG_EEES6_PlJNSB_9not_fun_tI7is_trueIfEEEEEE10hipError_tPvRmT3_T4_T5_T6_T7_T9_mT8_P12ihipStream_tbDpT10_ENKUlT_T0_E_clISt17integral_constantIbLb1EES1A_IbLb0EEEEDaS16_S17_EUlS16_E_NS1_11comp_targetILNS1_3genE9ELNS1_11target_archE1100ELNS1_3gpuE3ELNS1_3repE0EEENS1_30default_config_static_selectorELNS0_4arch9wavefront6targetE0EEEvT1_
	.p2align	8
	.type	_ZN7rocprim17ROCPRIM_400000_NS6detail17trampoline_kernelINS0_14default_configENS1_25partition_config_selectorILNS1_17partition_subalgoE6EfNS0_10empty_typeEbEEZZNS1_14partition_implILS5_6ELb0ES3_mN6thrust23THRUST_200600_302600_NS6detail15normal_iteratorINSA_10device_ptrIfEEEEPS6_SG_NS0_5tupleIJNSA_16discard_iteratorINSA_11use_defaultEEES6_EEENSH_IJSG_SG_EEES6_PlJNSB_9not_fun_tI7is_trueIfEEEEEE10hipError_tPvRmT3_T4_T5_T6_T7_T9_mT8_P12ihipStream_tbDpT10_ENKUlT_T0_E_clISt17integral_constantIbLb1EES1A_IbLb0EEEEDaS16_S17_EUlS16_E_NS1_11comp_targetILNS1_3genE9ELNS1_11target_archE1100ELNS1_3gpuE3ELNS1_3repE0EEENS1_30default_config_static_selectorELNS0_4arch9wavefront6targetE0EEEvT1_,@function
_ZN7rocprim17ROCPRIM_400000_NS6detail17trampoline_kernelINS0_14default_configENS1_25partition_config_selectorILNS1_17partition_subalgoE6EfNS0_10empty_typeEbEEZZNS1_14partition_implILS5_6ELb0ES3_mN6thrust23THRUST_200600_302600_NS6detail15normal_iteratorINSA_10device_ptrIfEEEEPS6_SG_NS0_5tupleIJNSA_16discard_iteratorINSA_11use_defaultEEES6_EEENSH_IJSG_SG_EEES6_PlJNSB_9not_fun_tI7is_trueIfEEEEEE10hipError_tPvRmT3_T4_T5_T6_T7_T9_mT8_P12ihipStream_tbDpT10_ENKUlT_T0_E_clISt17integral_constantIbLb1EES1A_IbLb0EEEEDaS16_S17_EUlS16_E_NS1_11comp_targetILNS1_3genE9ELNS1_11target_archE1100ELNS1_3gpuE3ELNS1_3repE0EEENS1_30default_config_static_selectorELNS0_4arch9wavefront6targetE0EEEvT1_: ; @_ZN7rocprim17ROCPRIM_400000_NS6detail17trampoline_kernelINS0_14default_configENS1_25partition_config_selectorILNS1_17partition_subalgoE6EfNS0_10empty_typeEbEEZZNS1_14partition_implILS5_6ELb0ES3_mN6thrust23THRUST_200600_302600_NS6detail15normal_iteratorINSA_10device_ptrIfEEEEPS6_SG_NS0_5tupleIJNSA_16discard_iteratorINSA_11use_defaultEEES6_EEENSH_IJSG_SG_EEES6_PlJNSB_9not_fun_tI7is_trueIfEEEEEE10hipError_tPvRmT3_T4_T5_T6_T7_T9_mT8_P12ihipStream_tbDpT10_ENKUlT_T0_E_clISt17integral_constantIbLb1EES1A_IbLb0EEEEDaS16_S17_EUlS16_E_NS1_11comp_targetILNS1_3genE9ELNS1_11target_archE1100ELNS1_3gpuE3ELNS1_3repE0EEENS1_30default_config_static_selectorELNS0_4arch9wavefront6targetE0EEEvT1_
; %bb.0:
	.section	.rodata,"a",@progbits
	.p2align	6, 0x0
	.amdhsa_kernel _ZN7rocprim17ROCPRIM_400000_NS6detail17trampoline_kernelINS0_14default_configENS1_25partition_config_selectorILNS1_17partition_subalgoE6EfNS0_10empty_typeEbEEZZNS1_14partition_implILS5_6ELb0ES3_mN6thrust23THRUST_200600_302600_NS6detail15normal_iteratorINSA_10device_ptrIfEEEEPS6_SG_NS0_5tupleIJNSA_16discard_iteratorINSA_11use_defaultEEES6_EEENSH_IJSG_SG_EEES6_PlJNSB_9not_fun_tI7is_trueIfEEEEEE10hipError_tPvRmT3_T4_T5_T6_T7_T9_mT8_P12ihipStream_tbDpT10_ENKUlT_T0_E_clISt17integral_constantIbLb1EES1A_IbLb0EEEEDaS16_S17_EUlS16_E_NS1_11comp_targetILNS1_3genE9ELNS1_11target_archE1100ELNS1_3gpuE3ELNS1_3repE0EEENS1_30default_config_static_selectorELNS0_4arch9wavefront6targetE0EEEvT1_
		.amdhsa_group_segment_fixed_size 0
		.amdhsa_private_segment_fixed_size 0
		.amdhsa_kernarg_size 120
		.amdhsa_user_sgpr_count 2
		.amdhsa_user_sgpr_dispatch_ptr 0
		.amdhsa_user_sgpr_queue_ptr 0
		.amdhsa_user_sgpr_kernarg_segment_ptr 1
		.amdhsa_user_sgpr_dispatch_id 0
		.amdhsa_user_sgpr_private_segment_size 0
		.amdhsa_wavefront_size32 1
		.amdhsa_uses_dynamic_stack 0
		.amdhsa_enable_private_segment 0
		.amdhsa_system_sgpr_workgroup_id_x 1
		.amdhsa_system_sgpr_workgroup_id_y 0
		.amdhsa_system_sgpr_workgroup_id_z 0
		.amdhsa_system_sgpr_workgroup_info 0
		.amdhsa_system_vgpr_workitem_id 0
		.amdhsa_next_free_vgpr 1
		.amdhsa_next_free_sgpr 1
		.amdhsa_reserve_vcc 0
		.amdhsa_float_round_mode_32 0
		.amdhsa_float_round_mode_16_64 0
		.amdhsa_float_denorm_mode_32 3
		.amdhsa_float_denorm_mode_16_64 3
		.amdhsa_fp16_overflow 0
		.amdhsa_workgroup_processor_mode 1
		.amdhsa_memory_ordered 1
		.amdhsa_forward_progress 1
		.amdhsa_inst_pref_size 0
		.amdhsa_round_robin_scheduling 0
		.amdhsa_exception_fp_ieee_invalid_op 0
		.amdhsa_exception_fp_denorm_src 0
		.amdhsa_exception_fp_ieee_div_zero 0
		.amdhsa_exception_fp_ieee_overflow 0
		.amdhsa_exception_fp_ieee_underflow 0
		.amdhsa_exception_fp_ieee_inexact 0
		.amdhsa_exception_int_div_zero 0
	.end_amdhsa_kernel
	.section	.text._ZN7rocprim17ROCPRIM_400000_NS6detail17trampoline_kernelINS0_14default_configENS1_25partition_config_selectorILNS1_17partition_subalgoE6EfNS0_10empty_typeEbEEZZNS1_14partition_implILS5_6ELb0ES3_mN6thrust23THRUST_200600_302600_NS6detail15normal_iteratorINSA_10device_ptrIfEEEEPS6_SG_NS0_5tupleIJNSA_16discard_iteratorINSA_11use_defaultEEES6_EEENSH_IJSG_SG_EEES6_PlJNSB_9not_fun_tI7is_trueIfEEEEEE10hipError_tPvRmT3_T4_T5_T6_T7_T9_mT8_P12ihipStream_tbDpT10_ENKUlT_T0_E_clISt17integral_constantIbLb1EES1A_IbLb0EEEEDaS16_S17_EUlS16_E_NS1_11comp_targetILNS1_3genE9ELNS1_11target_archE1100ELNS1_3gpuE3ELNS1_3repE0EEENS1_30default_config_static_selectorELNS0_4arch9wavefront6targetE0EEEvT1_,"axG",@progbits,_ZN7rocprim17ROCPRIM_400000_NS6detail17trampoline_kernelINS0_14default_configENS1_25partition_config_selectorILNS1_17partition_subalgoE6EfNS0_10empty_typeEbEEZZNS1_14partition_implILS5_6ELb0ES3_mN6thrust23THRUST_200600_302600_NS6detail15normal_iteratorINSA_10device_ptrIfEEEEPS6_SG_NS0_5tupleIJNSA_16discard_iteratorINSA_11use_defaultEEES6_EEENSH_IJSG_SG_EEES6_PlJNSB_9not_fun_tI7is_trueIfEEEEEE10hipError_tPvRmT3_T4_T5_T6_T7_T9_mT8_P12ihipStream_tbDpT10_ENKUlT_T0_E_clISt17integral_constantIbLb1EES1A_IbLb0EEEEDaS16_S17_EUlS16_E_NS1_11comp_targetILNS1_3genE9ELNS1_11target_archE1100ELNS1_3gpuE3ELNS1_3repE0EEENS1_30default_config_static_selectorELNS0_4arch9wavefront6targetE0EEEvT1_,comdat
.Lfunc_end2131:
	.size	_ZN7rocprim17ROCPRIM_400000_NS6detail17trampoline_kernelINS0_14default_configENS1_25partition_config_selectorILNS1_17partition_subalgoE6EfNS0_10empty_typeEbEEZZNS1_14partition_implILS5_6ELb0ES3_mN6thrust23THRUST_200600_302600_NS6detail15normal_iteratorINSA_10device_ptrIfEEEEPS6_SG_NS0_5tupleIJNSA_16discard_iteratorINSA_11use_defaultEEES6_EEENSH_IJSG_SG_EEES6_PlJNSB_9not_fun_tI7is_trueIfEEEEEE10hipError_tPvRmT3_T4_T5_T6_T7_T9_mT8_P12ihipStream_tbDpT10_ENKUlT_T0_E_clISt17integral_constantIbLb1EES1A_IbLb0EEEEDaS16_S17_EUlS16_E_NS1_11comp_targetILNS1_3genE9ELNS1_11target_archE1100ELNS1_3gpuE3ELNS1_3repE0EEENS1_30default_config_static_selectorELNS0_4arch9wavefront6targetE0EEEvT1_, .Lfunc_end2131-_ZN7rocprim17ROCPRIM_400000_NS6detail17trampoline_kernelINS0_14default_configENS1_25partition_config_selectorILNS1_17partition_subalgoE6EfNS0_10empty_typeEbEEZZNS1_14partition_implILS5_6ELb0ES3_mN6thrust23THRUST_200600_302600_NS6detail15normal_iteratorINSA_10device_ptrIfEEEEPS6_SG_NS0_5tupleIJNSA_16discard_iteratorINSA_11use_defaultEEES6_EEENSH_IJSG_SG_EEES6_PlJNSB_9not_fun_tI7is_trueIfEEEEEE10hipError_tPvRmT3_T4_T5_T6_T7_T9_mT8_P12ihipStream_tbDpT10_ENKUlT_T0_E_clISt17integral_constantIbLb1EES1A_IbLb0EEEEDaS16_S17_EUlS16_E_NS1_11comp_targetILNS1_3genE9ELNS1_11target_archE1100ELNS1_3gpuE3ELNS1_3repE0EEENS1_30default_config_static_selectorELNS0_4arch9wavefront6targetE0EEEvT1_
                                        ; -- End function
	.set _ZN7rocprim17ROCPRIM_400000_NS6detail17trampoline_kernelINS0_14default_configENS1_25partition_config_selectorILNS1_17partition_subalgoE6EfNS0_10empty_typeEbEEZZNS1_14partition_implILS5_6ELb0ES3_mN6thrust23THRUST_200600_302600_NS6detail15normal_iteratorINSA_10device_ptrIfEEEEPS6_SG_NS0_5tupleIJNSA_16discard_iteratorINSA_11use_defaultEEES6_EEENSH_IJSG_SG_EEES6_PlJNSB_9not_fun_tI7is_trueIfEEEEEE10hipError_tPvRmT3_T4_T5_T6_T7_T9_mT8_P12ihipStream_tbDpT10_ENKUlT_T0_E_clISt17integral_constantIbLb1EES1A_IbLb0EEEEDaS16_S17_EUlS16_E_NS1_11comp_targetILNS1_3genE9ELNS1_11target_archE1100ELNS1_3gpuE3ELNS1_3repE0EEENS1_30default_config_static_selectorELNS0_4arch9wavefront6targetE0EEEvT1_.num_vgpr, 0
	.set _ZN7rocprim17ROCPRIM_400000_NS6detail17trampoline_kernelINS0_14default_configENS1_25partition_config_selectorILNS1_17partition_subalgoE6EfNS0_10empty_typeEbEEZZNS1_14partition_implILS5_6ELb0ES3_mN6thrust23THRUST_200600_302600_NS6detail15normal_iteratorINSA_10device_ptrIfEEEEPS6_SG_NS0_5tupleIJNSA_16discard_iteratorINSA_11use_defaultEEES6_EEENSH_IJSG_SG_EEES6_PlJNSB_9not_fun_tI7is_trueIfEEEEEE10hipError_tPvRmT3_T4_T5_T6_T7_T9_mT8_P12ihipStream_tbDpT10_ENKUlT_T0_E_clISt17integral_constantIbLb1EES1A_IbLb0EEEEDaS16_S17_EUlS16_E_NS1_11comp_targetILNS1_3genE9ELNS1_11target_archE1100ELNS1_3gpuE3ELNS1_3repE0EEENS1_30default_config_static_selectorELNS0_4arch9wavefront6targetE0EEEvT1_.num_agpr, 0
	.set _ZN7rocprim17ROCPRIM_400000_NS6detail17trampoline_kernelINS0_14default_configENS1_25partition_config_selectorILNS1_17partition_subalgoE6EfNS0_10empty_typeEbEEZZNS1_14partition_implILS5_6ELb0ES3_mN6thrust23THRUST_200600_302600_NS6detail15normal_iteratorINSA_10device_ptrIfEEEEPS6_SG_NS0_5tupleIJNSA_16discard_iteratorINSA_11use_defaultEEES6_EEENSH_IJSG_SG_EEES6_PlJNSB_9not_fun_tI7is_trueIfEEEEEE10hipError_tPvRmT3_T4_T5_T6_T7_T9_mT8_P12ihipStream_tbDpT10_ENKUlT_T0_E_clISt17integral_constantIbLb1EES1A_IbLb0EEEEDaS16_S17_EUlS16_E_NS1_11comp_targetILNS1_3genE9ELNS1_11target_archE1100ELNS1_3gpuE3ELNS1_3repE0EEENS1_30default_config_static_selectorELNS0_4arch9wavefront6targetE0EEEvT1_.numbered_sgpr, 0
	.set _ZN7rocprim17ROCPRIM_400000_NS6detail17trampoline_kernelINS0_14default_configENS1_25partition_config_selectorILNS1_17partition_subalgoE6EfNS0_10empty_typeEbEEZZNS1_14partition_implILS5_6ELb0ES3_mN6thrust23THRUST_200600_302600_NS6detail15normal_iteratorINSA_10device_ptrIfEEEEPS6_SG_NS0_5tupleIJNSA_16discard_iteratorINSA_11use_defaultEEES6_EEENSH_IJSG_SG_EEES6_PlJNSB_9not_fun_tI7is_trueIfEEEEEE10hipError_tPvRmT3_T4_T5_T6_T7_T9_mT8_P12ihipStream_tbDpT10_ENKUlT_T0_E_clISt17integral_constantIbLb1EES1A_IbLb0EEEEDaS16_S17_EUlS16_E_NS1_11comp_targetILNS1_3genE9ELNS1_11target_archE1100ELNS1_3gpuE3ELNS1_3repE0EEENS1_30default_config_static_selectorELNS0_4arch9wavefront6targetE0EEEvT1_.num_named_barrier, 0
	.set _ZN7rocprim17ROCPRIM_400000_NS6detail17trampoline_kernelINS0_14default_configENS1_25partition_config_selectorILNS1_17partition_subalgoE6EfNS0_10empty_typeEbEEZZNS1_14partition_implILS5_6ELb0ES3_mN6thrust23THRUST_200600_302600_NS6detail15normal_iteratorINSA_10device_ptrIfEEEEPS6_SG_NS0_5tupleIJNSA_16discard_iteratorINSA_11use_defaultEEES6_EEENSH_IJSG_SG_EEES6_PlJNSB_9not_fun_tI7is_trueIfEEEEEE10hipError_tPvRmT3_T4_T5_T6_T7_T9_mT8_P12ihipStream_tbDpT10_ENKUlT_T0_E_clISt17integral_constantIbLb1EES1A_IbLb0EEEEDaS16_S17_EUlS16_E_NS1_11comp_targetILNS1_3genE9ELNS1_11target_archE1100ELNS1_3gpuE3ELNS1_3repE0EEENS1_30default_config_static_selectorELNS0_4arch9wavefront6targetE0EEEvT1_.private_seg_size, 0
	.set _ZN7rocprim17ROCPRIM_400000_NS6detail17trampoline_kernelINS0_14default_configENS1_25partition_config_selectorILNS1_17partition_subalgoE6EfNS0_10empty_typeEbEEZZNS1_14partition_implILS5_6ELb0ES3_mN6thrust23THRUST_200600_302600_NS6detail15normal_iteratorINSA_10device_ptrIfEEEEPS6_SG_NS0_5tupleIJNSA_16discard_iteratorINSA_11use_defaultEEES6_EEENSH_IJSG_SG_EEES6_PlJNSB_9not_fun_tI7is_trueIfEEEEEE10hipError_tPvRmT3_T4_T5_T6_T7_T9_mT8_P12ihipStream_tbDpT10_ENKUlT_T0_E_clISt17integral_constantIbLb1EES1A_IbLb0EEEEDaS16_S17_EUlS16_E_NS1_11comp_targetILNS1_3genE9ELNS1_11target_archE1100ELNS1_3gpuE3ELNS1_3repE0EEENS1_30default_config_static_selectorELNS0_4arch9wavefront6targetE0EEEvT1_.uses_vcc, 0
	.set _ZN7rocprim17ROCPRIM_400000_NS6detail17trampoline_kernelINS0_14default_configENS1_25partition_config_selectorILNS1_17partition_subalgoE6EfNS0_10empty_typeEbEEZZNS1_14partition_implILS5_6ELb0ES3_mN6thrust23THRUST_200600_302600_NS6detail15normal_iteratorINSA_10device_ptrIfEEEEPS6_SG_NS0_5tupleIJNSA_16discard_iteratorINSA_11use_defaultEEES6_EEENSH_IJSG_SG_EEES6_PlJNSB_9not_fun_tI7is_trueIfEEEEEE10hipError_tPvRmT3_T4_T5_T6_T7_T9_mT8_P12ihipStream_tbDpT10_ENKUlT_T0_E_clISt17integral_constantIbLb1EES1A_IbLb0EEEEDaS16_S17_EUlS16_E_NS1_11comp_targetILNS1_3genE9ELNS1_11target_archE1100ELNS1_3gpuE3ELNS1_3repE0EEENS1_30default_config_static_selectorELNS0_4arch9wavefront6targetE0EEEvT1_.uses_flat_scratch, 0
	.set _ZN7rocprim17ROCPRIM_400000_NS6detail17trampoline_kernelINS0_14default_configENS1_25partition_config_selectorILNS1_17partition_subalgoE6EfNS0_10empty_typeEbEEZZNS1_14partition_implILS5_6ELb0ES3_mN6thrust23THRUST_200600_302600_NS6detail15normal_iteratorINSA_10device_ptrIfEEEEPS6_SG_NS0_5tupleIJNSA_16discard_iteratorINSA_11use_defaultEEES6_EEENSH_IJSG_SG_EEES6_PlJNSB_9not_fun_tI7is_trueIfEEEEEE10hipError_tPvRmT3_T4_T5_T6_T7_T9_mT8_P12ihipStream_tbDpT10_ENKUlT_T0_E_clISt17integral_constantIbLb1EES1A_IbLb0EEEEDaS16_S17_EUlS16_E_NS1_11comp_targetILNS1_3genE9ELNS1_11target_archE1100ELNS1_3gpuE3ELNS1_3repE0EEENS1_30default_config_static_selectorELNS0_4arch9wavefront6targetE0EEEvT1_.has_dyn_sized_stack, 0
	.set _ZN7rocprim17ROCPRIM_400000_NS6detail17trampoline_kernelINS0_14default_configENS1_25partition_config_selectorILNS1_17partition_subalgoE6EfNS0_10empty_typeEbEEZZNS1_14partition_implILS5_6ELb0ES3_mN6thrust23THRUST_200600_302600_NS6detail15normal_iteratorINSA_10device_ptrIfEEEEPS6_SG_NS0_5tupleIJNSA_16discard_iteratorINSA_11use_defaultEEES6_EEENSH_IJSG_SG_EEES6_PlJNSB_9not_fun_tI7is_trueIfEEEEEE10hipError_tPvRmT3_T4_T5_T6_T7_T9_mT8_P12ihipStream_tbDpT10_ENKUlT_T0_E_clISt17integral_constantIbLb1EES1A_IbLb0EEEEDaS16_S17_EUlS16_E_NS1_11comp_targetILNS1_3genE9ELNS1_11target_archE1100ELNS1_3gpuE3ELNS1_3repE0EEENS1_30default_config_static_selectorELNS0_4arch9wavefront6targetE0EEEvT1_.has_recursion, 0
	.set _ZN7rocprim17ROCPRIM_400000_NS6detail17trampoline_kernelINS0_14default_configENS1_25partition_config_selectorILNS1_17partition_subalgoE6EfNS0_10empty_typeEbEEZZNS1_14partition_implILS5_6ELb0ES3_mN6thrust23THRUST_200600_302600_NS6detail15normal_iteratorINSA_10device_ptrIfEEEEPS6_SG_NS0_5tupleIJNSA_16discard_iteratorINSA_11use_defaultEEES6_EEENSH_IJSG_SG_EEES6_PlJNSB_9not_fun_tI7is_trueIfEEEEEE10hipError_tPvRmT3_T4_T5_T6_T7_T9_mT8_P12ihipStream_tbDpT10_ENKUlT_T0_E_clISt17integral_constantIbLb1EES1A_IbLb0EEEEDaS16_S17_EUlS16_E_NS1_11comp_targetILNS1_3genE9ELNS1_11target_archE1100ELNS1_3gpuE3ELNS1_3repE0EEENS1_30default_config_static_selectorELNS0_4arch9wavefront6targetE0EEEvT1_.has_indirect_call, 0
	.section	.AMDGPU.csdata,"",@progbits
; Kernel info:
; codeLenInByte = 0
; TotalNumSgprs: 0
; NumVgprs: 0
; ScratchSize: 0
; MemoryBound: 0
; FloatMode: 240
; IeeeMode: 1
; LDSByteSize: 0 bytes/workgroup (compile time only)
; SGPRBlocks: 0
; VGPRBlocks: 0
; NumSGPRsForWavesPerEU: 1
; NumVGPRsForWavesPerEU: 1
; Occupancy: 16
; WaveLimiterHint : 0
; COMPUTE_PGM_RSRC2:SCRATCH_EN: 0
; COMPUTE_PGM_RSRC2:USER_SGPR: 2
; COMPUTE_PGM_RSRC2:TRAP_HANDLER: 0
; COMPUTE_PGM_RSRC2:TGID_X_EN: 1
; COMPUTE_PGM_RSRC2:TGID_Y_EN: 0
; COMPUTE_PGM_RSRC2:TGID_Z_EN: 0
; COMPUTE_PGM_RSRC2:TIDIG_COMP_CNT: 0
	.section	.text._ZN7rocprim17ROCPRIM_400000_NS6detail17trampoline_kernelINS0_14default_configENS1_25partition_config_selectorILNS1_17partition_subalgoE6EfNS0_10empty_typeEbEEZZNS1_14partition_implILS5_6ELb0ES3_mN6thrust23THRUST_200600_302600_NS6detail15normal_iteratorINSA_10device_ptrIfEEEEPS6_SG_NS0_5tupleIJNSA_16discard_iteratorINSA_11use_defaultEEES6_EEENSH_IJSG_SG_EEES6_PlJNSB_9not_fun_tI7is_trueIfEEEEEE10hipError_tPvRmT3_T4_T5_T6_T7_T9_mT8_P12ihipStream_tbDpT10_ENKUlT_T0_E_clISt17integral_constantIbLb1EES1A_IbLb0EEEEDaS16_S17_EUlS16_E_NS1_11comp_targetILNS1_3genE8ELNS1_11target_archE1030ELNS1_3gpuE2ELNS1_3repE0EEENS1_30default_config_static_selectorELNS0_4arch9wavefront6targetE0EEEvT1_,"axG",@progbits,_ZN7rocprim17ROCPRIM_400000_NS6detail17trampoline_kernelINS0_14default_configENS1_25partition_config_selectorILNS1_17partition_subalgoE6EfNS0_10empty_typeEbEEZZNS1_14partition_implILS5_6ELb0ES3_mN6thrust23THRUST_200600_302600_NS6detail15normal_iteratorINSA_10device_ptrIfEEEEPS6_SG_NS0_5tupleIJNSA_16discard_iteratorINSA_11use_defaultEEES6_EEENSH_IJSG_SG_EEES6_PlJNSB_9not_fun_tI7is_trueIfEEEEEE10hipError_tPvRmT3_T4_T5_T6_T7_T9_mT8_P12ihipStream_tbDpT10_ENKUlT_T0_E_clISt17integral_constantIbLb1EES1A_IbLb0EEEEDaS16_S17_EUlS16_E_NS1_11comp_targetILNS1_3genE8ELNS1_11target_archE1030ELNS1_3gpuE2ELNS1_3repE0EEENS1_30default_config_static_selectorELNS0_4arch9wavefront6targetE0EEEvT1_,comdat
	.protected	_ZN7rocprim17ROCPRIM_400000_NS6detail17trampoline_kernelINS0_14default_configENS1_25partition_config_selectorILNS1_17partition_subalgoE6EfNS0_10empty_typeEbEEZZNS1_14partition_implILS5_6ELb0ES3_mN6thrust23THRUST_200600_302600_NS6detail15normal_iteratorINSA_10device_ptrIfEEEEPS6_SG_NS0_5tupleIJNSA_16discard_iteratorINSA_11use_defaultEEES6_EEENSH_IJSG_SG_EEES6_PlJNSB_9not_fun_tI7is_trueIfEEEEEE10hipError_tPvRmT3_T4_T5_T6_T7_T9_mT8_P12ihipStream_tbDpT10_ENKUlT_T0_E_clISt17integral_constantIbLb1EES1A_IbLb0EEEEDaS16_S17_EUlS16_E_NS1_11comp_targetILNS1_3genE8ELNS1_11target_archE1030ELNS1_3gpuE2ELNS1_3repE0EEENS1_30default_config_static_selectorELNS0_4arch9wavefront6targetE0EEEvT1_ ; -- Begin function _ZN7rocprim17ROCPRIM_400000_NS6detail17trampoline_kernelINS0_14default_configENS1_25partition_config_selectorILNS1_17partition_subalgoE6EfNS0_10empty_typeEbEEZZNS1_14partition_implILS5_6ELb0ES3_mN6thrust23THRUST_200600_302600_NS6detail15normal_iteratorINSA_10device_ptrIfEEEEPS6_SG_NS0_5tupleIJNSA_16discard_iteratorINSA_11use_defaultEEES6_EEENSH_IJSG_SG_EEES6_PlJNSB_9not_fun_tI7is_trueIfEEEEEE10hipError_tPvRmT3_T4_T5_T6_T7_T9_mT8_P12ihipStream_tbDpT10_ENKUlT_T0_E_clISt17integral_constantIbLb1EES1A_IbLb0EEEEDaS16_S17_EUlS16_E_NS1_11comp_targetILNS1_3genE8ELNS1_11target_archE1030ELNS1_3gpuE2ELNS1_3repE0EEENS1_30default_config_static_selectorELNS0_4arch9wavefront6targetE0EEEvT1_
	.globl	_ZN7rocprim17ROCPRIM_400000_NS6detail17trampoline_kernelINS0_14default_configENS1_25partition_config_selectorILNS1_17partition_subalgoE6EfNS0_10empty_typeEbEEZZNS1_14partition_implILS5_6ELb0ES3_mN6thrust23THRUST_200600_302600_NS6detail15normal_iteratorINSA_10device_ptrIfEEEEPS6_SG_NS0_5tupleIJNSA_16discard_iteratorINSA_11use_defaultEEES6_EEENSH_IJSG_SG_EEES6_PlJNSB_9not_fun_tI7is_trueIfEEEEEE10hipError_tPvRmT3_T4_T5_T6_T7_T9_mT8_P12ihipStream_tbDpT10_ENKUlT_T0_E_clISt17integral_constantIbLb1EES1A_IbLb0EEEEDaS16_S17_EUlS16_E_NS1_11comp_targetILNS1_3genE8ELNS1_11target_archE1030ELNS1_3gpuE2ELNS1_3repE0EEENS1_30default_config_static_selectorELNS0_4arch9wavefront6targetE0EEEvT1_
	.p2align	8
	.type	_ZN7rocprim17ROCPRIM_400000_NS6detail17trampoline_kernelINS0_14default_configENS1_25partition_config_selectorILNS1_17partition_subalgoE6EfNS0_10empty_typeEbEEZZNS1_14partition_implILS5_6ELb0ES3_mN6thrust23THRUST_200600_302600_NS6detail15normal_iteratorINSA_10device_ptrIfEEEEPS6_SG_NS0_5tupleIJNSA_16discard_iteratorINSA_11use_defaultEEES6_EEENSH_IJSG_SG_EEES6_PlJNSB_9not_fun_tI7is_trueIfEEEEEE10hipError_tPvRmT3_T4_T5_T6_T7_T9_mT8_P12ihipStream_tbDpT10_ENKUlT_T0_E_clISt17integral_constantIbLb1EES1A_IbLb0EEEEDaS16_S17_EUlS16_E_NS1_11comp_targetILNS1_3genE8ELNS1_11target_archE1030ELNS1_3gpuE2ELNS1_3repE0EEENS1_30default_config_static_selectorELNS0_4arch9wavefront6targetE0EEEvT1_,@function
_ZN7rocprim17ROCPRIM_400000_NS6detail17trampoline_kernelINS0_14default_configENS1_25partition_config_selectorILNS1_17partition_subalgoE6EfNS0_10empty_typeEbEEZZNS1_14partition_implILS5_6ELb0ES3_mN6thrust23THRUST_200600_302600_NS6detail15normal_iteratorINSA_10device_ptrIfEEEEPS6_SG_NS0_5tupleIJNSA_16discard_iteratorINSA_11use_defaultEEES6_EEENSH_IJSG_SG_EEES6_PlJNSB_9not_fun_tI7is_trueIfEEEEEE10hipError_tPvRmT3_T4_T5_T6_T7_T9_mT8_P12ihipStream_tbDpT10_ENKUlT_T0_E_clISt17integral_constantIbLb1EES1A_IbLb0EEEEDaS16_S17_EUlS16_E_NS1_11comp_targetILNS1_3genE8ELNS1_11target_archE1030ELNS1_3gpuE2ELNS1_3repE0EEENS1_30default_config_static_selectorELNS0_4arch9wavefront6targetE0EEEvT1_: ; @_ZN7rocprim17ROCPRIM_400000_NS6detail17trampoline_kernelINS0_14default_configENS1_25partition_config_selectorILNS1_17partition_subalgoE6EfNS0_10empty_typeEbEEZZNS1_14partition_implILS5_6ELb0ES3_mN6thrust23THRUST_200600_302600_NS6detail15normal_iteratorINSA_10device_ptrIfEEEEPS6_SG_NS0_5tupleIJNSA_16discard_iteratorINSA_11use_defaultEEES6_EEENSH_IJSG_SG_EEES6_PlJNSB_9not_fun_tI7is_trueIfEEEEEE10hipError_tPvRmT3_T4_T5_T6_T7_T9_mT8_P12ihipStream_tbDpT10_ENKUlT_T0_E_clISt17integral_constantIbLb1EES1A_IbLb0EEEEDaS16_S17_EUlS16_E_NS1_11comp_targetILNS1_3genE8ELNS1_11target_archE1030ELNS1_3gpuE2ELNS1_3repE0EEENS1_30default_config_static_selectorELNS0_4arch9wavefront6targetE0EEEvT1_
; %bb.0:
	.section	.rodata,"a",@progbits
	.p2align	6, 0x0
	.amdhsa_kernel _ZN7rocprim17ROCPRIM_400000_NS6detail17trampoline_kernelINS0_14default_configENS1_25partition_config_selectorILNS1_17partition_subalgoE6EfNS0_10empty_typeEbEEZZNS1_14partition_implILS5_6ELb0ES3_mN6thrust23THRUST_200600_302600_NS6detail15normal_iteratorINSA_10device_ptrIfEEEEPS6_SG_NS0_5tupleIJNSA_16discard_iteratorINSA_11use_defaultEEES6_EEENSH_IJSG_SG_EEES6_PlJNSB_9not_fun_tI7is_trueIfEEEEEE10hipError_tPvRmT3_T4_T5_T6_T7_T9_mT8_P12ihipStream_tbDpT10_ENKUlT_T0_E_clISt17integral_constantIbLb1EES1A_IbLb0EEEEDaS16_S17_EUlS16_E_NS1_11comp_targetILNS1_3genE8ELNS1_11target_archE1030ELNS1_3gpuE2ELNS1_3repE0EEENS1_30default_config_static_selectorELNS0_4arch9wavefront6targetE0EEEvT1_
		.amdhsa_group_segment_fixed_size 0
		.amdhsa_private_segment_fixed_size 0
		.amdhsa_kernarg_size 120
		.amdhsa_user_sgpr_count 2
		.amdhsa_user_sgpr_dispatch_ptr 0
		.amdhsa_user_sgpr_queue_ptr 0
		.amdhsa_user_sgpr_kernarg_segment_ptr 1
		.amdhsa_user_sgpr_dispatch_id 0
		.amdhsa_user_sgpr_private_segment_size 0
		.amdhsa_wavefront_size32 1
		.amdhsa_uses_dynamic_stack 0
		.amdhsa_enable_private_segment 0
		.amdhsa_system_sgpr_workgroup_id_x 1
		.amdhsa_system_sgpr_workgroup_id_y 0
		.amdhsa_system_sgpr_workgroup_id_z 0
		.amdhsa_system_sgpr_workgroup_info 0
		.amdhsa_system_vgpr_workitem_id 0
		.amdhsa_next_free_vgpr 1
		.amdhsa_next_free_sgpr 1
		.amdhsa_reserve_vcc 0
		.amdhsa_float_round_mode_32 0
		.amdhsa_float_round_mode_16_64 0
		.amdhsa_float_denorm_mode_32 3
		.amdhsa_float_denorm_mode_16_64 3
		.amdhsa_fp16_overflow 0
		.amdhsa_workgroup_processor_mode 1
		.amdhsa_memory_ordered 1
		.amdhsa_forward_progress 1
		.amdhsa_inst_pref_size 0
		.amdhsa_round_robin_scheduling 0
		.amdhsa_exception_fp_ieee_invalid_op 0
		.amdhsa_exception_fp_denorm_src 0
		.amdhsa_exception_fp_ieee_div_zero 0
		.amdhsa_exception_fp_ieee_overflow 0
		.amdhsa_exception_fp_ieee_underflow 0
		.amdhsa_exception_fp_ieee_inexact 0
		.amdhsa_exception_int_div_zero 0
	.end_amdhsa_kernel
	.section	.text._ZN7rocprim17ROCPRIM_400000_NS6detail17trampoline_kernelINS0_14default_configENS1_25partition_config_selectorILNS1_17partition_subalgoE6EfNS0_10empty_typeEbEEZZNS1_14partition_implILS5_6ELb0ES3_mN6thrust23THRUST_200600_302600_NS6detail15normal_iteratorINSA_10device_ptrIfEEEEPS6_SG_NS0_5tupleIJNSA_16discard_iteratorINSA_11use_defaultEEES6_EEENSH_IJSG_SG_EEES6_PlJNSB_9not_fun_tI7is_trueIfEEEEEE10hipError_tPvRmT3_T4_T5_T6_T7_T9_mT8_P12ihipStream_tbDpT10_ENKUlT_T0_E_clISt17integral_constantIbLb1EES1A_IbLb0EEEEDaS16_S17_EUlS16_E_NS1_11comp_targetILNS1_3genE8ELNS1_11target_archE1030ELNS1_3gpuE2ELNS1_3repE0EEENS1_30default_config_static_selectorELNS0_4arch9wavefront6targetE0EEEvT1_,"axG",@progbits,_ZN7rocprim17ROCPRIM_400000_NS6detail17trampoline_kernelINS0_14default_configENS1_25partition_config_selectorILNS1_17partition_subalgoE6EfNS0_10empty_typeEbEEZZNS1_14partition_implILS5_6ELb0ES3_mN6thrust23THRUST_200600_302600_NS6detail15normal_iteratorINSA_10device_ptrIfEEEEPS6_SG_NS0_5tupleIJNSA_16discard_iteratorINSA_11use_defaultEEES6_EEENSH_IJSG_SG_EEES6_PlJNSB_9not_fun_tI7is_trueIfEEEEEE10hipError_tPvRmT3_T4_T5_T6_T7_T9_mT8_P12ihipStream_tbDpT10_ENKUlT_T0_E_clISt17integral_constantIbLb1EES1A_IbLb0EEEEDaS16_S17_EUlS16_E_NS1_11comp_targetILNS1_3genE8ELNS1_11target_archE1030ELNS1_3gpuE2ELNS1_3repE0EEENS1_30default_config_static_selectorELNS0_4arch9wavefront6targetE0EEEvT1_,comdat
.Lfunc_end2132:
	.size	_ZN7rocprim17ROCPRIM_400000_NS6detail17trampoline_kernelINS0_14default_configENS1_25partition_config_selectorILNS1_17partition_subalgoE6EfNS0_10empty_typeEbEEZZNS1_14partition_implILS5_6ELb0ES3_mN6thrust23THRUST_200600_302600_NS6detail15normal_iteratorINSA_10device_ptrIfEEEEPS6_SG_NS0_5tupleIJNSA_16discard_iteratorINSA_11use_defaultEEES6_EEENSH_IJSG_SG_EEES6_PlJNSB_9not_fun_tI7is_trueIfEEEEEE10hipError_tPvRmT3_T4_T5_T6_T7_T9_mT8_P12ihipStream_tbDpT10_ENKUlT_T0_E_clISt17integral_constantIbLb1EES1A_IbLb0EEEEDaS16_S17_EUlS16_E_NS1_11comp_targetILNS1_3genE8ELNS1_11target_archE1030ELNS1_3gpuE2ELNS1_3repE0EEENS1_30default_config_static_selectorELNS0_4arch9wavefront6targetE0EEEvT1_, .Lfunc_end2132-_ZN7rocprim17ROCPRIM_400000_NS6detail17trampoline_kernelINS0_14default_configENS1_25partition_config_selectorILNS1_17partition_subalgoE6EfNS0_10empty_typeEbEEZZNS1_14partition_implILS5_6ELb0ES3_mN6thrust23THRUST_200600_302600_NS6detail15normal_iteratorINSA_10device_ptrIfEEEEPS6_SG_NS0_5tupleIJNSA_16discard_iteratorINSA_11use_defaultEEES6_EEENSH_IJSG_SG_EEES6_PlJNSB_9not_fun_tI7is_trueIfEEEEEE10hipError_tPvRmT3_T4_T5_T6_T7_T9_mT8_P12ihipStream_tbDpT10_ENKUlT_T0_E_clISt17integral_constantIbLb1EES1A_IbLb0EEEEDaS16_S17_EUlS16_E_NS1_11comp_targetILNS1_3genE8ELNS1_11target_archE1030ELNS1_3gpuE2ELNS1_3repE0EEENS1_30default_config_static_selectorELNS0_4arch9wavefront6targetE0EEEvT1_
                                        ; -- End function
	.set _ZN7rocprim17ROCPRIM_400000_NS6detail17trampoline_kernelINS0_14default_configENS1_25partition_config_selectorILNS1_17partition_subalgoE6EfNS0_10empty_typeEbEEZZNS1_14partition_implILS5_6ELb0ES3_mN6thrust23THRUST_200600_302600_NS6detail15normal_iteratorINSA_10device_ptrIfEEEEPS6_SG_NS0_5tupleIJNSA_16discard_iteratorINSA_11use_defaultEEES6_EEENSH_IJSG_SG_EEES6_PlJNSB_9not_fun_tI7is_trueIfEEEEEE10hipError_tPvRmT3_T4_T5_T6_T7_T9_mT8_P12ihipStream_tbDpT10_ENKUlT_T0_E_clISt17integral_constantIbLb1EES1A_IbLb0EEEEDaS16_S17_EUlS16_E_NS1_11comp_targetILNS1_3genE8ELNS1_11target_archE1030ELNS1_3gpuE2ELNS1_3repE0EEENS1_30default_config_static_selectorELNS0_4arch9wavefront6targetE0EEEvT1_.num_vgpr, 0
	.set _ZN7rocprim17ROCPRIM_400000_NS6detail17trampoline_kernelINS0_14default_configENS1_25partition_config_selectorILNS1_17partition_subalgoE6EfNS0_10empty_typeEbEEZZNS1_14partition_implILS5_6ELb0ES3_mN6thrust23THRUST_200600_302600_NS6detail15normal_iteratorINSA_10device_ptrIfEEEEPS6_SG_NS0_5tupleIJNSA_16discard_iteratorINSA_11use_defaultEEES6_EEENSH_IJSG_SG_EEES6_PlJNSB_9not_fun_tI7is_trueIfEEEEEE10hipError_tPvRmT3_T4_T5_T6_T7_T9_mT8_P12ihipStream_tbDpT10_ENKUlT_T0_E_clISt17integral_constantIbLb1EES1A_IbLb0EEEEDaS16_S17_EUlS16_E_NS1_11comp_targetILNS1_3genE8ELNS1_11target_archE1030ELNS1_3gpuE2ELNS1_3repE0EEENS1_30default_config_static_selectorELNS0_4arch9wavefront6targetE0EEEvT1_.num_agpr, 0
	.set _ZN7rocprim17ROCPRIM_400000_NS6detail17trampoline_kernelINS0_14default_configENS1_25partition_config_selectorILNS1_17partition_subalgoE6EfNS0_10empty_typeEbEEZZNS1_14partition_implILS5_6ELb0ES3_mN6thrust23THRUST_200600_302600_NS6detail15normal_iteratorINSA_10device_ptrIfEEEEPS6_SG_NS0_5tupleIJNSA_16discard_iteratorINSA_11use_defaultEEES6_EEENSH_IJSG_SG_EEES6_PlJNSB_9not_fun_tI7is_trueIfEEEEEE10hipError_tPvRmT3_T4_T5_T6_T7_T9_mT8_P12ihipStream_tbDpT10_ENKUlT_T0_E_clISt17integral_constantIbLb1EES1A_IbLb0EEEEDaS16_S17_EUlS16_E_NS1_11comp_targetILNS1_3genE8ELNS1_11target_archE1030ELNS1_3gpuE2ELNS1_3repE0EEENS1_30default_config_static_selectorELNS0_4arch9wavefront6targetE0EEEvT1_.numbered_sgpr, 0
	.set _ZN7rocprim17ROCPRIM_400000_NS6detail17trampoline_kernelINS0_14default_configENS1_25partition_config_selectorILNS1_17partition_subalgoE6EfNS0_10empty_typeEbEEZZNS1_14partition_implILS5_6ELb0ES3_mN6thrust23THRUST_200600_302600_NS6detail15normal_iteratorINSA_10device_ptrIfEEEEPS6_SG_NS0_5tupleIJNSA_16discard_iteratorINSA_11use_defaultEEES6_EEENSH_IJSG_SG_EEES6_PlJNSB_9not_fun_tI7is_trueIfEEEEEE10hipError_tPvRmT3_T4_T5_T6_T7_T9_mT8_P12ihipStream_tbDpT10_ENKUlT_T0_E_clISt17integral_constantIbLb1EES1A_IbLb0EEEEDaS16_S17_EUlS16_E_NS1_11comp_targetILNS1_3genE8ELNS1_11target_archE1030ELNS1_3gpuE2ELNS1_3repE0EEENS1_30default_config_static_selectorELNS0_4arch9wavefront6targetE0EEEvT1_.num_named_barrier, 0
	.set _ZN7rocprim17ROCPRIM_400000_NS6detail17trampoline_kernelINS0_14default_configENS1_25partition_config_selectorILNS1_17partition_subalgoE6EfNS0_10empty_typeEbEEZZNS1_14partition_implILS5_6ELb0ES3_mN6thrust23THRUST_200600_302600_NS6detail15normal_iteratorINSA_10device_ptrIfEEEEPS6_SG_NS0_5tupleIJNSA_16discard_iteratorINSA_11use_defaultEEES6_EEENSH_IJSG_SG_EEES6_PlJNSB_9not_fun_tI7is_trueIfEEEEEE10hipError_tPvRmT3_T4_T5_T6_T7_T9_mT8_P12ihipStream_tbDpT10_ENKUlT_T0_E_clISt17integral_constantIbLb1EES1A_IbLb0EEEEDaS16_S17_EUlS16_E_NS1_11comp_targetILNS1_3genE8ELNS1_11target_archE1030ELNS1_3gpuE2ELNS1_3repE0EEENS1_30default_config_static_selectorELNS0_4arch9wavefront6targetE0EEEvT1_.private_seg_size, 0
	.set _ZN7rocprim17ROCPRIM_400000_NS6detail17trampoline_kernelINS0_14default_configENS1_25partition_config_selectorILNS1_17partition_subalgoE6EfNS0_10empty_typeEbEEZZNS1_14partition_implILS5_6ELb0ES3_mN6thrust23THRUST_200600_302600_NS6detail15normal_iteratorINSA_10device_ptrIfEEEEPS6_SG_NS0_5tupleIJNSA_16discard_iteratorINSA_11use_defaultEEES6_EEENSH_IJSG_SG_EEES6_PlJNSB_9not_fun_tI7is_trueIfEEEEEE10hipError_tPvRmT3_T4_T5_T6_T7_T9_mT8_P12ihipStream_tbDpT10_ENKUlT_T0_E_clISt17integral_constantIbLb1EES1A_IbLb0EEEEDaS16_S17_EUlS16_E_NS1_11comp_targetILNS1_3genE8ELNS1_11target_archE1030ELNS1_3gpuE2ELNS1_3repE0EEENS1_30default_config_static_selectorELNS0_4arch9wavefront6targetE0EEEvT1_.uses_vcc, 0
	.set _ZN7rocprim17ROCPRIM_400000_NS6detail17trampoline_kernelINS0_14default_configENS1_25partition_config_selectorILNS1_17partition_subalgoE6EfNS0_10empty_typeEbEEZZNS1_14partition_implILS5_6ELb0ES3_mN6thrust23THRUST_200600_302600_NS6detail15normal_iteratorINSA_10device_ptrIfEEEEPS6_SG_NS0_5tupleIJNSA_16discard_iteratorINSA_11use_defaultEEES6_EEENSH_IJSG_SG_EEES6_PlJNSB_9not_fun_tI7is_trueIfEEEEEE10hipError_tPvRmT3_T4_T5_T6_T7_T9_mT8_P12ihipStream_tbDpT10_ENKUlT_T0_E_clISt17integral_constantIbLb1EES1A_IbLb0EEEEDaS16_S17_EUlS16_E_NS1_11comp_targetILNS1_3genE8ELNS1_11target_archE1030ELNS1_3gpuE2ELNS1_3repE0EEENS1_30default_config_static_selectorELNS0_4arch9wavefront6targetE0EEEvT1_.uses_flat_scratch, 0
	.set _ZN7rocprim17ROCPRIM_400000_NS6detail17trampoline_kernelINS0_14default_configENS1_25partition_config_selectorILNS1_17partition_subalgoE6EfNS0_10empty_typeEbEEZZNS1_14partition_implILS5_6ELb0ES3_mN6thrust23THRUST_200600_302600_NS6detail15normal_iteratorINSA_10device_ptrIfEEEEPS6_SG_NS0_5tupleIJNSA_16discard_iteratorINSA_11use_defaultEEES6_EEENSH_IJSG_SG_EEES6_PlJNSB_9not_fun_tI7is_trueIfEEEEEE10hipError_tPvRmT3_T4_T5_T6_T7_T9_mT8_P12ihipStream_tbDpT10_ENKUlT_T0_E_clISt17integral_constantIbLb1EES1A_IbLb0EEEEDaS16_S17_EUlS16_E_NS1_11comp_targetILNS1_3genE8ELNS1_11target_archE1030ELNS1_3gpuE2ELNS1_3repE0EEENS1_30default_config_static_selectorELNS0_4arch9wavefront6targetE0EEEvT1_.has_dyn_sized_stack, 0
	.set _ZN7rocprim17ROCPRIM_400000_NS6detail17trampoline_kernelINS0_14default_configENS1_25partition_config_selectorILNS1_17partition_subalgoE6EfNS0_10empty_typeEbEEZZNS1_14partition_implILS5_6ELb0ES3_mN6thrust23THRUST_200600_302600_NS6detail15normal_iteratorINSA_10device_ptrIfEEEEPS6_SG_NS0_5tupleIJNSA_16discard_iteratorINSA_11use_defaultEEES6_EEENSH_IJSG_SG_EEES6_PlJNSB_9not_fun_tI7is_trueIfEEEEEE10hipError_tPvRmT3_T4_T5_T6_T7_T9_mT8_P12ihipStream_tbDpT10_ENKUlT_T0_E_clISt17integral_constantIbLb1EES1A_IbLb0EEEEDaS16_S17_EUlS16_E_NS1_11comp_targetILNS1_3genE8ELNS1_11target_archE1030ELNS1_3gpuE2ELNS1_3repE0EEENS1_30default_config_static_selectorELNS0_4arch9wavefront6targetE0EEEvT1_.has_recursion, 0
	.set _ZN7rocprim17ROCPRIM_400000_NS6detail17trampoline_kernelINS0_14default_configENS1_25partition_config_selectorILNS1_17partition_subalgoE6EfNS0_10empty_typeEbEEZZNS1_14partition_implILS5_6ELb0ES3_mN6thrust23THRUST_200600_302600_NS6detail15normal_iteratorINSA_10device_ptrIfEEEEPS6_SG_NS0_5tupleIJNSA_16discard_iteratorINSA_11use_defaultEEES6_EEENSH_IJSG_SG_EEES6_PlJNSB_9not_fun_tI7is_trueIfEEEEEE10hipError_tPvRmT3_T4_T5_T6_T7_T9_mT8_P12ihipStream_tbDpT10_ENKUlT_T0_E_clISt17integral_constantIbLb1EES1A_IbLb0EEEEDaS16_S17_EUlS16_E_NS1_11comp_targetILNS1_3genE8ELNS1_11target_archE1030ELNS1_3gpuE2ELNS1_3repE0EEENS1_30default_config_static_selectorELNS0_4arch9wavefront6targetE0EEEvT1_.has_indirect_call, 0
	.section	.AMDGPU.csdata,"",@progbits
; Kernel info:
; codeLenInByte = 0
; TotalNumSgprs: 0
; NumVgprs: 0
; ScratchSize: 0
; MemoryBound: 0
; FloatMode: 240
; IeeeMode: 1
; LDSByteSize: 0 bytes/workgroup (compile time only)
; SGPRBlocks: 0
; VGPRBlocks: 0
; NumSGPRsForWavesPerEU: 1
; NumVGPRsForWavesPerEU: 1
; Occupancy: 16
; WaveLimiterHint : 0
; COMPUTE_PGM_RSRC2:SCRATCH_EN: 0
; COMPUTE_PGM_RSRC2:USER_SGPR: 2
; COMPUTE_PGM_RSRC2:TRAP_HANDLER: 0
; COMPUTE_PGM_RSRC2:TGID_X_EN: 1
; COMPUTE_PGM_RSRC2:TGID_Y_EN: 0
; COMPUTE_PGM_RSRC2:TGID_Z_EN: 0
; COMPUTE_PGM_RSRC2:TIDIG_COMP_CNT: 0
	.section	.text._ZN7rocprim17ROCPRIM_400000_NS6detail17trampoline_kernelINS0_14default_configENS1_25partition_config_selectorILNS1_17partition_subalgoE6EfNS0_10empty_typeEbEEZZNS1_14partition_implILS5_6ELb0ES3_mN6thrust23THRUST_200600_302600_NS6detail15normal_iteratorINSA_10device_ptrIfEEEEPS6_SG_NS0_5tupleIJNSA_16discard_iteratorINSA_11use_defaultEEES6_EEENSH_IJSG_SG_EEES6_PlJNSB_9not_fun_tI7is_trueIfEEEEEE10hipError_tPvRmT3_T4_T5_T6_T7_T9_mT8_P12ihipStream_tbDpT10_ENKUlT_T0_E_clISt17integral_constantIbLb0EES1A_IbLb1EEEEDaS16_S17_EUlS16_E_NS1_11comp_targetILNS1_3genE0ELNS1_11target_archE4294967295ELNS1_3gpuE0ELNS1_3repE0EEENS1_30default_config_static_selectorELNS0_4arch9wavefront6targetE0EEEvT1_,"axG",@progbits,_ZN7rocprim17ROCPRIM_400000_NS6detail17trampoline_kernelINS0_14default_configENS1_25partition_config_selectorILNS1_17partition_subalgoE6EfNS0_10empty_typeEbEEZZNS1_14partition_implILS5_6ELb0ES3_mN6thrust23THRUST_200600_302600_NS6detail15normal_iteratorINSA_10device_ptrIfEEEEPS6_SG_NS0_5tupleIJNSA_16discard_iteratorINSA_11use_defaultEEES6_EEENSH_IJSG_SG_EEES6_PlJNSB_9not_fun_tI7is_trueIfEEEEEE10hipError_tPvRmT3_T4_T5_T6_T7_T9_mT8_P12ihipStream_tbDpT10_ENKUlT_T0_E_clISt17integral_constantIbLb0EES1A_IbLb1EEEEDaS16_S17_EUlS16_E_NS1_11comp_targetILNS1_3genE0ELNS1_11target_archE4294967295ELNS1_3gpuE0ELNS1_3repE0EEENS1_30default_config_static_selectorELNS0_4arch9wavefront6targetE0EEEvT1_,comdat
	.protected	_ZN7rocprim17ROCPRIM_400000_NS6detail17trampoline_kernelINS0_14default_configENS1_25partition_config_selectorILNS1_17partition_subalgoE6EfNS0_10empty_typeEbEEZZNS1_14partition_implILS5_6ELb0ES3_mN6thrust23THRUST_200600_302600_NS6detail15normal_iteratorINSA_10device_ptrIfEEEEPS6_SG_NS0_5tupleIJNSA_16discard_iteratorINSA_11use_defaultEEES6_EEENSH_IJSG_SG_EEES6_PlJNSB_9not_fun_tI7is_trueIfEEEEEE10hipError_tPvRmT3_T4_T5_T6_T7_T9_mT8_P12ihipStream_tbDpT10_ENKUlT_T0_E_clISt17integral_constantIbLb0EES1A_IbLb1EEEEDaS16_S17_EUlS16_E_NS1_11comp_targetILNS1_3genE0ELNS1_11target_archE4294967295ELNS1_3gpuE0ELNS1_3repE0EEENS1_30default_config_static_selectorELNS0_4arch9wavefront6targetE0EEEvT1_ ; -- Begin function _ZN7rocprim17ROCPRIM_400000_NS6detail17trampoline_kernelINS0_14default_configENS1_25partition_config_selectorILNS1_17partition_subalgoE6EfNS0_10empty_typeEbEEZZNS1_14partition_implILS5_6ELb0ES3_mN6thrust23THRUST_200600_302600_NS6detail15normal_iteratorINSA_10device_ptrIfEEEEPS6_SG_NS0_5tupleIJNSA_16discard_iteratorINSA_11use_defaultEEES6_EEENSH_IJSG_SG_EEES6_PlJNSB_9not_fun_tI7is_trueIfEEEEEE10hipError_tPvRmT3_T4_T5_T6_T7_T9_mT8_P12ihipStream_tbDpT10_ENKUlT_T0_E_clISt17integral_constantIbLb0EES1A_IbLb1EEEEDaS16_S17_EUlS16_E_NS1_11comp_targetILNS1_3genE0ELNS1_11target_archE4294967295ELNS1_3gpuE0ELNS1_3repE0EEENS1_30default_config_static_selectorELNS0_4arch9wavefront6targetE0EEEvT1_
	.globl	_ZN7rocprim17ROCPRIM_400000_NS6detail17trampoline_kernelINS0_14default_configENS1_25partition_config_selectorILNS1_17partition_subalgoE6EfNS0_10empty_typeEbEEZZNS1_14partition_implILS5_6ELb0ES3_mN6thrust23THRUST_200600_302600_NS6detail15normal_iteratorINSA_10device_ptrIfEEEEPS6_SG_NS0_5tupleIJNSA_16discard_iteratorINSA_11use_defaultEEES6_EEENSH_IJSG_SG_EEES6_PlJNSB_9not_fun_tI7is_trueIfEEEEEE10hipError_tPvRmT3_T4_T5_T6_T7_T9_mT8_P12ihipStream_tbDpT10_ENKUlT_T0_E_clISt17integral_constantIbLb0EES1A_IbLb1EEEEDaS16_S17_EUlS16_E_NS1_11comp_targetILNS1_3genE0ELNS1_11target_archE4294967295ELNS1_3gpuE0ELNS1_3repE0EEENS1_30default_config_static_selectorELNS0_4arch9wavefront6targetE0EEEvT1_
	.p2align	8
	.type	_ZN7rocprim17ROCPRIM_400000_NS6detail17trampoline_kernelINS0_14default_configENS1_25partition_config_selectorILNS1_17partition_subalgoE6EfNS0_10empty_typeEbEEZZNS1_14partition_implILS5_6ELb0ES3_mN6thrust23THRUST_200600_302600_NS6detail15normal_iteratorINSA_10device_ptrIfEEEEPS6_SG_NS0_5tupleIJNSA_16discard_iteratorINSA_11use_defaultEEES6_EEENSH_IJSG_SG_EEES6_PlJNSB_9not_fun_tI7is_trueIfEEEEEE10hipError_tPvRmT3_T4_T5_T6_T7_T9_mT8_P12ihipStream_tbDpT10_ENKUlT_T0_E_clISt17integral_constantIbLb0EES1A_IbLb1EEEEDaS16_S17_EUlS16_E_NS1_11comp_targetILNS1_3genE0ELNS1_11target_archE4294967295ELNS1_3gpuE0ELNS1_3repE0EEENS1_30default_config_static_selectorELNS0_4arch9wavefront6targetE0EEEvT1_,@function
_ZN7rocprim17ROCPRIM_400000_NS6detail17trampoline_kernelINS0_14default_configENS1_25partition_config_selectorILNS1_17partition_subalgoE6EfNS0_10empty_typeEbEEZZNS1_14partition_implILS5_6ELb0ES3_mN6thrust23THRUST_200600_302600_NS6detail15normal_iteratorINSA_10device_ptrIfEEEEPS6_SG_NS0_5tupleIJNSA_16discard_iteratorINSA_11use_defaultEEES6_EEENSH_IJSG_SG_EEES6_PlJNSB_9not_fun_tI7is_trueIfEEEEEE10hipError_tPvRmT3_T4_T5_T6_T7_T9_mT8_P12ihipStream_tbDpT10_ENKUlT_T0_E_clISt17integral_constantIbLb0EES1A_IbLb1EEEEDaS16_S17_EUlS16_E_NS1_11comp_targetILNS1_3genE0ELNS1_11target_archE4294967295ELNS1_3gpuE0ELNS1_3repE0EEENS1_30default_config_static_selectorELNS0_4arch9wavefront6targetE0EEEvT1_: ; @_ZN7rocprim17ROCPRIM_400000_NS6detail17trampoline_kernelINS0_14default_configENS1_25partition_config_selectorILNS1_17partition_subalgoE6EfNS0_10empty_typeEbEEZZNS1_14partition_implILS5_6ELb0ES3_mN6thrust23THRUST_200600_302600_NS6detail15normal_iteratorINSA_10device_ptrIfEEEEPS6_SG_NS0_5tupleIJNSA_16discard_iteratorINSA_11use_defaultEEES6_EEENSH_IJSG_SG_EEES6_PlJNSB_9not_fun_tI7is_trueIfEEEEEE10hipError_tPvRmT3_T4_T5_T6_T7_T9_mT8_P12ihipStream_tbDpT10_ENKUlT_T0_E_clISt17integral_constantIbLb0EES1A_IbLb1EEEEDaS16_S17_EUlS16_E_NS1_11comp_targetILNS1_3genE0ELNS1_11target_archE4294967295ELNS1_3gpuE0ELNS1_3repE0EEENS1_30default_config_static_selectorELNS0_4arch9wavefront6targetE0EEEvT1_
; %bb.0:
	.section	.rodata,"a",@progbits
	.p2align	6, 0x0
	.amdhsa_kernel _ZN7rocprim17ROCPRIM_400000_NS6detail17trampoline_kernelINS0_14default_configENS1_25partition_config_selectorILNS1_17partition_subalgoE6EfNS0_10empty_typeEbEEZZNS1_14partition_implILS5_6ELb0ES3_mN6thrust23THRUST_200600_302600_NS6detail15normal_iteratorINSA_10device_ptrIfEEEEPS6_SG_NS0_5tupleIJNSA_16discard_iteratorINSA_11use_defaultEEES6_EEENSH_IJSG_SG_EEES6_PlJNSB_9not_fun_tI7is_trueIfEEEEEE10hipError_tPvRmT3_T4_T5_T6_T7_T9_mT8_P12ihipStream_tbDpT10_ENKUlT_T0_E_clISt17integral_constantIbLb0EES1A_IbLb1EEEEDaS16_S17_EUlS16_E_NS1_11comp_targetILNS1_3genE0ELNS1_11target_archE4294967295ELNS1_3gpuE0ELNS1_3repE0EEENS1_30default_config_static_selectorELNS0_4arch9wavefront6targetE0EEEvT1_
		.amdhsa_group_segment_fixed_size 0
		.amdhsa_private_segment_fixed_size 0
		.amdhsa_kernarg_size 136
		.amdhsa_user_sgpr_count 2
		.amdhsa_user_sgpr_dispatch_ptr 0
		.amdhsa_user_sgpr_queue_ptr 0
		.amdhsa_user_sgpr_kernarg_segment_ptr 1
		.amdhsa_user_sgpr_dispatch_id 0
		.amdhsa_user_sgpr_private_segment_size 0
		.amdhsa_wavefront_size32 1
		.amdhsa_uses_dynamic_stack 0
		.amdhsa_enable_private_segment 0
		.amdhsa_system_sgpr_workgroup_id_x 1
		.amdhsa_system_sgpr_workgroup_id_y 0
		.amdhsa_system_sgpr_workgroup_id_z 0
		.amdhsa_system_sgpr_workgroup_info 0
		.amdhsa_system_vgpr_workitem_id 0
		.amdhsa_next_free_vgpr 1
		.amdhsa_next_free_sgpr 1
		.amdhsa_reserve_vcc 0
		.amdhsa_float_round_mode_32 0
		.amdhsa_float_round_mode_16_64 0
		.amdhsa_float_denorm_mode_32 3
		.amdhsa_float_denorm_mode_16_64 3
		.amdhsa_fp16_overflow 0
		.amdhsa_workgroup_processor_mode 1
		.amdhsa_memory_ordered 1
		.amdhsa_forward_progress 1
		.amdhsa_inst_pref_size 0
		.amdhsa_round_robin_scheduling 0
		.amdhsa_exception_fp_ieee_invalid_op 0
		.amdhsa_exception_fp_denorm_src 0
		.amdhsa_exception_fp_ieee_div_zero 0
		.amdhsa_exception_fp_ieee_overflow 0
		.amdhsa_exception_fp_ieee_underflow 0
		.amdhsa_exception_fp_ieee_inexact 0
		.amdhsa_exception_int_div_zero 0
	.end_amdhsa_kernel
	.section	.text._ZN7rocprim17ROCPRIM_400000_NS6detail17trampoline_kernelINS0_14default_configENS1_25partition_config_selectorILNS1_17partition_subalgoE6EfNS0_10empty_typeEbEEZZNS1_14partition_implILS5_6ELb0ES3_mN6thrust23THRUST_200600_302600_NS6detail15normal_iteratorINSA_10device_ptrIfEEEEPS6_SG_NS0_5tupleIJNSA_16discard_iteratorINSA_11use_defaultEEES6_EEENSH_IJSG_SG_EEES6_PlJNSB_9not_fun_tI7is_trueIfEEEEEE10hipError_tPvRmT3_T4_T5_T6_T7_T9_mT8_P12ihipStream_tbDpT10_ENKUlT_T0_E_clISt17integral_constantIbLb0EES1A_IbLb1EEEEDaS16_S17_EUlS16_E_NS1_11comp_targetILNS1_3genE0ELNS1_11target_archE4294967295ELNS1_3gpuE0ELNS1_3repE0EEENS1_30default_config_static_selectorELNS0_4arch9wavefront6targetE0EEEvT1_,"axG",@progbits,_ZN7rocprim17ROCPRIM_400000_NS6detail17trampoline_kernelINS0_14default_configENS1_25partition_config_selectorILNS1_17partition_subalgoE6EfNS0_10empty_typeEbEEZZNS1_14partition_implILS5_6ELb0ES3_mN6thrust23THRUST_200600_302600_NS6detail15normal_iteratorINSA_10device_ptrIfEEEEPS6_SG_NS0_5tupleIJNSA_16discard_iteratorINSA_11use_defaultEEES6_EEENSH_IJSG_SG_EEES6_PlJNSB_9not_fun_tI7is_trueIfEEEEEE10hipError_tPvRmT3_T4_T5_T6_T7_T9_mT8_P12ihipStream_tbDpT10_ENKUlT_T0_E_clISt17integral_constantIbLb0EES1A_IbLb1EEEEDaS16_S17_EUlS16_E_NS1_11comp_targetILNS1_3genE0ELNS1_11target_archE4294967295ELNS1_3gpuE0ELNS1_3repE0EEENS1_30default_config_static_selectorELNS0_4arch9wavefront6targetE0EEEvT1_,comdat
.Lfunc_end2133:
	.size	_ZN7rocprim17ROCPRIM_400000_NS6detail17trampoline_kernelINS0_14default_configENS1_25partition_config_selectorILNS1_17partition_subalgoE6EfNS0_10empty_typeEbEEZZNS1_14partition_implILS5_6ELb0ES3_mN6thrust23THRUST_200600_302600_NS6detail15normal_iteratorINSA_10device_ptrIfEEEEPS6_SG_NS0_5tupleIJNSA_16discard_iteratorINSA_11use_defaultEEES6_EEENSH_IJSG_SG_EEES6_PlJNSB_9not_fun_tI7is_trueIfEEEEEE10hipError_tPvRmT3_T4_T5_T6_T7_T9_mT8_P12ihipStream_tbDpT10_ENKUlT_T0_E_clISt17integral_constantIbLb0EES1A_IbLb1EEEEDaS16_S17_EUlS16_E_NS1_11comp_targetILNS1_3genE0ELNS1_11target_archE4294967295ELNS1_3gpuE0ELNS1_3repE0EEENS1_30default_config_static_selectorELNS0_4arch9wavefront6targetE0EEEvT1_, .Lfunc_end2133-_ZN7rocprim17ROCPRIM_400000_NS6detail17trampoline_kernelINS0_14default_configENS1_25partition_config_selectorILNS1_17partition_subalgoE6EfNS0_10empty_typeEbEEZZNS1_14partition_implILS5_6ELb0ES3_mN6thrust23THRUST_200600_302600_NS6detail15normal_iteratorINSA_10device_ptrIfEEEEPS6_SG_NS0_5tupleIJNSA_16discard_iteratorINSA_11use_defaultEEES6_EEENSH_IJSG_SG_EEES6_PlJNSB_9not_fun_tI7is_trueIfEEEEEE10hipError_tPvRmT3_T4_T5_T6_T7_T9_mT8_P12ihipStream_tbDpT10_ENKUlT_T0_E_clISt17integral_constantIbLb0EES1A_IbLb1EEEEDaS16_S17_EUlS16_E_NS1_11comp_targetILNS1_3genE0ELNS1_11target_archE4294967295ELNS1_3gpuE0ELNS1_3repE0EEENS1_30default_config_static_selectorELNS0_4arch9wavefront6targetE0EEEvT1_
                                        ; -- End function
	.set _ZN7rocprim17ROCPRIM_400000_NS6detail17trampoline_kernelINS0_14default_configENS1_25partition_config_selectorILNS1_17partition_subalgoE6EfNS0_10empty_typeEbEEZZNS1_14partition_implILS5_6ELb0ES3_mN6thrust23THRUST_200600_302600_NS6detail15normal_iteratorINSA_10device_ptrIfEEEEPS6_SG_NS0_5tupleIJNSA_16discard_iteratorINSA_11use_defaultEEES6_EEENSH_IJSG_SG_EEES6_PlJNSB_9not_fun_tI7is_trueIfEEEEEE10hipError_tPvRmT3_T4_T5_T6_T7_T9_mT8_P12ihipStream_tbDpT10_ENKUlT_T0_E_clISt17integral_constantIbLb0EES1A_IbLb1EEEEDaS16_S17_EUlS16_E_NS1_11comp_targetILNS1_3genE0ELNS1_11target_archE4294967295ELNS1_3gpuE0ELNS1_3repE0EEENS1_30default_config_static_selectorELNS0_4arch9wavefront6targetE0EEEvT1_.num_vgpr, 0
	.set _ZN7rocprim17ROCPRIM_400000_NS6detail17trampoline_kernelINS0_14default_configENS1_25partition_config_selectorILNS1_17partition_subalgoE6EfNS0_10empty_typeEbEEZZNS1_14partition_implILS5_6ELb0ES3_mN6thrust23THRUST_200600_302600_NS6detail15normal_iteratorINSA_10device_ptrIfEEEEPS6_SG_NS0_5tupleIJNSA_16discard_iteratorINSA_11use_defaultEEES6_EEENSH_IJSG_SG_EEES6_PlJNSB_9not_fun_tI7is_trueIfEEEEEE10hipError_tPvRmT3_T4_T5_T6_T7_T9_mT8_P12ihipStream_tbDpT10_ENKUlT_T0_E_clISt17integral_constantIbLb0EES1A_IbLb1EEEEDaS16_S17_EUlS16_E_NS1_11comp_targetILNS1_3genE0ELNS1_11target_archE4294967295ELNS1_3gpuE0ELNS1_3repE0EEENS1_30default_config_static_selectorELNS0_4arch9wavefront6targetE0EEEvT1_.num_agpr, 0
	.set _ZN7rocprim17ROCPRIM_400000_NS6detail17trampoline_kernelINS0_14default_configENS1_25partition_config_selectorILNS1_17partition_subalgoE6EfNS0_10empty_typeEbEEZZNS1_14partition_implILS5_6ELb0ES3_mN6thrust23THRUST_200600_302600_NS6detail15normal_iteratorINSA_10device_ptrIfEEEEPS6_SG_NS0_5tupleIJNSA_16discard_iteratorINSA_11use_defaultEEES6_EEENSH_IJSG_SG_EEES6_PlJNSB_9not_fun_tI7is_trueIfEEEEEE10hipError_tPvRmT3_T4_T5_T6_T7_T9_mT8_P12ihipStream_tbDpT10_ENKUlT_T0_E_clISt17integral_constantIbLb0EES1A_IbLb1EEEEDaS16_S17_EUlS16_E_NS1_11comp_targetILNS1_3genE0ELNS1_11target_archE4294967295ELNS1_3gpuE0ELNS1_3repE0EEENS1_30default_config_static_selectorELNS0_4arch9wavefront6targetE0EEEvT1_.numbered_sgpr, 0
	.set _ZN7rocprim17ROCPRIM_400000_NS6detail17trampoline_kernelINS0_14default_configENS1_25partition_config_selectorILNS1_17partition_subalgoE6EfNS0_10empty_typeEbEEZZNS1_14partition_implILS5_6ELb0ES3_mN6thrust23THRUST_200600_302600_NS6detail15normal_iteratorINSA_10device_ptrIfEEEEPS6_SG_NS0_5tupleIJNSA_16discard_iteratorINSA_11use_defaultEEES6_EEENSH_IJSG_SG_EEES6_PlJNSB_9not_fun_tI7is_trueIfEEEEEE10hipError_tPvRmT3_T4_T5_T6_T7_T9_mT8_P12ihipStream_tbDpT10_ENKUlT_T0_E_clISt17integral_constantIbLb0EES1A_IbLb1EEEEDaS16_S17_EUlS16_E_NS1_11comp_targetILNS1_3genE0ELNS1_11target_archE4294967295ELNS1_3gpuE0ELNS1_3repE0EEENS1_30default_config_static_selectorELNS0_4arch9wavefront6targetE0EEEvT1_.num_named_barrier, 0
	.set _ZN7rocprim17ROCPRIM_400000_NS6detail17trampoline_kernelINS0_14default_configENS1_25partition_config_selectorILNS1_17partition_subalgoE6EfNS0_10empty_typeEbEEZZNS1_14partition_implILS5_6ELb0ES3_mN6thrust23THRUST_200600_302600_NS6detail15normal_iteratorINSA_10device_ptrIfEEEEPS6_SG_NS0_5tupleIJNSA_16discard_iteratorINSA_11use_defaultEEES6_EEENSH_IJSG_SG_EEES6_PlJNSB_9not_fun_tI7is_trueIfEEEEEE10hipError_tPvRmT3_T4_T5_T6_T7_T9_mT8_P12ihipStream_tbDpT10_ENKUlT_T0_E_clISt17integral_constantIbLb0EES1A_IbLb1EEEEDaS16_S17_EUlS16_E_NS1_11comp_targetILNS1_3genE0ELNS1_11target_archE4294967295ELNS1_3gpuE0ELNS1_3repE0EEENS1_30default_config_static_selectorELNS0_4arch9wavefront6targetE0EEEvT1_.private_seg_size, 0
	.set _ZN7rocprim17ROCPRIM_400000_NS6detail17trampoline_kernelINS0_14default_configENS1_25partition_config_selectorILNS1_17partition_subalgoE6EfNS0_10empty_typeEbEEZZNS1_14partition_implILS5_6ELb0ES3_mN6thrust23THRUST_200600_302600_NS6detail15normal_iteratorINSA_10device_ptrIfEEEEPS6_SG_NS0_5tupleIJNSA_16discard_iteratorINSA_11use_defaultEEES6_EEENSH_IJSG_SG_EEES6_PlJNSB_9not_fun_tI7is_trueIfEEEEEE10hipError_tPvRmT3_T4_T5_T6_T7_T9_mT8_P12ihipStream_tbDpT10_ENKUlT_T0_E_clISt17integral_constantIbLb0EES1A_IbLb1EEEEDaS16_S17_EUlS16_E_NS1_11comp_targetILNS1_3genE0ELNS1_11target_archE4294967295ELNS1_3gpuE0ELNS1_3repE0EEENS1_30default_config_static_selectorELNS0_4arch9wavefront6targetE0EEEvT1_.uses_vcc, 0
	.set _ZN7rocprim17ROCPRIM_400000_NS6detail17trampoline_kernelINS0_14default_configENS1_25partition_config_selectorILNS1_17partition_subalgoE6EfNS0_10empty_typeEbEEZZNS1_14partition_implILS5_6ELb0ES3_mN6thrust23THRUST_200600_302600_NS6detail15normal_iteratorINSA_10device_ptrIfEEEEPS6_SG_NS0_5tupleIJNSA_16discard_iteratorINSA_11use_defaultEEES6_EEENSH_IJSG_SG_EEES6_PlJNSB_9not_fun_tI7is_trueIfEEEEEE10hipError_tPvRmT3_T4_T5_T6_T7_T9_mT8_P12ihipStream_tbDpT10_ENKUlT_T0_E_clISt17integral_constantIbLb0EES1A_IbLb1EEEEDaS16_S17_EUlS16_E_NS1_11comp_targetILNS1_3genE0ELNS1_11target_archE4294967295ELNS1_3gpuE0ELNS1_3repE0EEENS1_30default_config_static_selectorELNS0_4arch9wavefront6targetE0EEEvT1_.uses_flat_scratch, 0
	.set _ZN7rocprim17ROCPRIM_400000_NS6detail17trampoline_kernelINS0_14default_configENS1_25partition_config_selectorILNS1_17partition_subalgoE6EfNS0_10empty_typeEbEEZZNS1_14partition_implILS5_6ELb0ES3_mN6thrust23THRUST_200600_302600_NS6detail15normal_iteratorINSA_10device_ptrIfEEEEPS6_SG_NS0_5tupleIJNSA_16discard_iteratorINSA_11use_defaultEEES6_EEENSH_IJSG_SG_EEES6_PlJNSB_9not_fun_tI7is_trueIfEEEEEE10hipError_tPvRmT3_T4_T5_T6_T7_T9_mT8_P12ihipStream_tbDpT10_ENKUlT_T0_E_clISt17integral_constantIbLb0EES1A_IbLb1EEEEDaS16_S17_EUlS16_E_NS1_11comp_targetILNS1_3genE0ELNS1_11target_archE4294967295ELNS1_3gpuE0ELNS1_3repE0EEENS1_30default_config_static_selectorELNS0_4arch9wavefront6targetE0EEEvT1_.has_dyn_sized_stack, 0
	.set _ZN7rocprim17ROCPRIM_400000_NS6detail17trampoline_kernelINS0_14default_configENS1_25partition_config_selectorILNS1_17partition_subalgoE6EfNS0_10empty_typeEbEEZZNS1_14partition_implILS5_6ELb0ES3_mN6thrust23THRUST_200600_302600_NS6detail15normal_iteratorINSA_10device_ptrIfEEEEPS6_SG_NS0_5tupleIJNSA_16discard_iteratorINSA_11use_defaultEEES6_EEENSH_IJSG_SG_EEES6_PlJNSB_9not_fun_tI7is_trueIfEEEEEE10hipError_tPvRmT3_T4_T5_T6_T7_T9_mT8_P12ihipStream_tbDpT10_ENKUlT_T0_E_clISt17integral_constantIbLb0EES1A_IbLb1EEEEDaS16_S17_EUlS16_E_NS1_11comp_targetILNS1_3genE0ELNS1_11target_archE4294967295ELNS1_3gpuE0ELNS1_3repE0EEENS1_30default_config_static_selectorELNS0_4arch9wavefront6targetE0EEEvT1_.has_recursion, 0
	.set _ZN7rocprim17ROCPRIM_400000_NS6detail17trampoline_kernelINS0_14default_configENS1_25partition_config_selectorILNS1_17partition_subalgoE6EfNS0_10empty_typeEbEEZZNS1_14partition_implILS5_6ELb0ES3_mN6thrust23THRUST_200600_302600_NS6detail15normal_iteratorINSA_10device_ptrIfEEEEPS6_SG_NS0_5tupleIJNSA_16discard_iteratorINSA_11use_defaultEEES6_EEENSH_IJSG_SG_EEES6_PlJNSB_9not_fun_tI7is_trueIfEEEEEE10hipError_tPvRmT3_T4_T5_T6_T7_T9_mT8_P12ihipStream_tbDpT10_ENKUlT_T0_E_clISt17integral_constantIbLb0EES1A_IbLb1EEEEDaS16_S17_EUlS16_E_NS1_11comp_targetILNS1_3genE0ELNS1_11target_archE4294967295ELNS1_3gpuE0ELNS1_3repE0EEENS1_30default_config_static_selectorELNS0_4arch9wavefront6targetE0EEEvT1_.has_indirect_call, 0
	.section	.AMDGPU.csdata,"",@progbits
; Kernel info:
; codeLenInByte = 0
; TotalNumSgprs: 0
; NumVgprs: 0
; ScratchSize: 0
; MemoryBound: 0
; FloatMode: 240
; IeeeMode: 1
; LDSByteSize: 0 bytes/workgroup (compile time only)
; SGPRBlocks: 0
; VGPRBlocks: 0
; NumSGPRsForWavesPerEU: 1
; NumVGPRsForWavesPerEU: 1
; Occupancy: 16
; WaveLimiterHint : 0
; COMPUTE_PGM_RSRC2:SCRATCH_EN: 0
; COMPUTE_PGM_RSRC2:USER_SGPR: 2
; COMPUTE_PGM_RSRC2:TRAP_HANDLER: 0
; COMPUTE_PGM_RSRC2:TGID_X_EN: 1
; COMPUTE_PGM_RSRC2:TGID_Y_EN: 0
; COMPUTE_PGM_RSRC2:TGID_Z_EN: 0
; COMPUTE_PGM_RSRC2:TIDIG_COMP_CNT: 0
	.section	.text._ZN7rocprim17ROCPRIM_400000_NS6detail17trampoline_kernelINS0_14default_configENS1_25partition_config_selectorILNS1_17partition_subalgoE6EfNS0_10empty_typeEbEEZZNS1_14partition_implILS5_6ELb0ES3_mN6thrust23THRUST_200600_302600_NS6detail15normal_iteratorINSA_10device_ptrIfEEEEPS6_SG_NS0_5tupleIJNSA_16discard_iteratorINSA_11use_defaultEEES6_EEENSH_IJSG_SG_EEES6_PlJNSB_9not_fun_tI7is_trueIfEEEEEE10hipError_tPvRmT3_T4_T5_T6_T7_T9_mT8_P12ihipStream_tbDpT10_ENKUlT_T0_E_clISt17integral_constantIbLb0EES1A_IbLb1EEEEDaS16_S17_EUlS16_E_NS1_11comp_targetILNS1_3genE5ELNS1_11target_archE942ELNS1_3gpuE9ELNS1_3repE0EEENS1_30default_config_static_selectorELNS0_4arch9wavefront6targetE0EEEvT1_,"axG",@progbits,_ZN7rocprim17ROCPRIM_400000_NS6detail17trampoline_kernelINS0_14default_configENS1_25partition_config_selectorILNS1_17partition_subalgoE6EfNS0_10empty_typeEbEEZZNS1_14partition_implILS5_6ELb0ES3_mN6thrust23THRUST_200600_302600_NS6detail15normal_iteratorINSA_10device_ptrIfEEEEPS6_SG_NS0_5tupleIJNSA_16discard_iteratorINSA_11use_defaultEEES6_EEENSH_IJSG_SG_EEES6_PlJNSB_9not_fun_tI7is_trueIfEEEEEE10hipError_tPvRmT3_T4_T5_T6_T7_T9_mT8_P12ihipStream_tbDpT10_ENKUlT_T0_E_clISt17integral_constantIbLb0EES1A_IbLb1EEEEDaS16_S17_EUlS16_E_NS1_11comp_targetILNS1_3genE5ELNS1_11target_archE942ELNS1_3gpuE9ELNS1_3repE0EEENS1_30default_config_static_selectorELNS0_4arch9wavefront6targetE0EEEvT1_,comdat
	.protected	_ZN7rocprim17ROCPRIM_400000_NS6detail17trampoline_kernelINS0_14default_configENS1_25partition_config_selectorILNS1_17partition_subalgoE6EfNS0_10empty_typeEbEEZZNS1_14partition_implILS5_6ELb0ES3_mN6thrust23THRUST_200600_302600_NS6detail15normal_iteratorINSA_10device_ptrIfEEEEPS6_SG_NS0_5tupleIJNSA_16discard_iteratorINSA_11use_defaultEEES6_EEENSH_IJSG_SG_EEES6_PlJNSB_9not_fun_tI7is_trueIfEEEEEE10hipError_tPvRmT3_T4_T5_T6_T7_T9_mT8_P12ihipStream_tbDpT10_ENKUlT_T0_E_clISt17integral_constantIbLb0EES1A_IbLb1EEEEDaS16_S17_EUlS16_E_NS1_11comp_targetILNS1_3genE5ELNS1_11target_archE942ELNS1_3gpuE9ELNS1_3repE0EEENS1_30default_config_static_selectorELNS0_4arch9wavefront6targetE0EEEvT1_ ; -- Begin function _ZN7rocprim17ROCPRIM_400000_NS6detail17trampoline_kernelINS0_14default_configENS1_25partition_config_selectorILNS1_17partition_subalgoE6EfNS0_10empty_typeEbEEZZNS1_14partition_implILS5_6ELb0ES3_mN6thrust23THRUST_200600_302600_NS6detail15normal_iteratorINSA_10device_ptrIfEEEEPS6_SG_NS0_5tupleIJNSA_16discard_iteratorINSA_11use_defaultEEES6_EEENSH_IJSG_SG_EEES6_PlJNSB_9not_fun_tI7is_trueIfEEEEEE10hipError_tPvRmT3_T4_T5_T6_T7_T9_mT8_P12ihipStream_tbDpT10_ENKUlT_T0_E_clISt17integral_constantIbLb0EES1A_IbLb1EEEEDaS16_S17_EUlS16_E_NS1_11comp_targetILNS1_3genE5ELNS1_11target_archE942ELNS1_3gpuE9ELNS1_3repE0EEENS1_30default_config_static_selectorELNS0_4arch9wavefront6targetE0EEEvT1_
	.globl	_ZN7rocprim17ROCPRIM_400000_NS6detail17trampoline_kernelINS0_14default_configENS1_25partition_config_selectorILNS1_17partition_subalgoE6EfNS0_10empty_typeEbEEZZNS1_14partition_implILS5_6ELb0ES3_mN6thrust23THRUST_200600_302600_NS6detail15normal_iteratorINSA_10device_ptrIfEEEEPS6_SG_NS0_5tupleIJNSA_16discard_iteratorINSA_11use_defaultEEES6_EEENSH_IJSG_SG_EEES6_PlJNSB_9not_fun_tI7is_trueIfEEEEEE10hipError_tPvRmT3_T4_T5_T6_T7_T9_mT8_P12ihipStream_tbDpT10_ENKUlT_T0_E_clISt17integral_constantIbLb0EES1A_IbLb1EEEEDaS16_S17_EUlS16_E_NS1_11comp_targetILNS1_3genE5ELNS1_11target_archE942ELNS1_3gpuE9ELNS1_3repE0EEENS1_30default_config_static_selectorELNS0_4arch9wavefront6targetE0EEEvT1_
	.p2align	8
	.type	_ZN7rocprim17ROCPRIM_400000_NS6detail17trampoline_kernelINS0_14default_configENS1_25partition_config_selectorILNS1_17partition_subalgoE6EfNS0_10empty_typeEbEEZZNS1_14partition_implILS5_6ELb0ES3_mN6thrust23THRUST_200600_302600_NS6detail15normal_iteratorINSA_10device_ptrIfEEEEPS6_SG_NS0_5tupleIJNSA_16discard_iteratorINSA_11use_defaultEEES6_EEENSH_IJSG_SG_EEES6_PlJNSB_9not_fun_tI7is_trueIfEEEEEE10hipError_tPvRmT3_T4_T5_T6_T7_T9_mT8_P12ihipStream_tbDpT10_ENKUlT_T0_E_clISt17integral_constantIbLb0EES1A_IbLb1EEEEDaS16_S17_EUlS16_E_NS1_11comp_targetILNS1_3genE5ELNS1_11target_archE942ELNS1_3gpuE9ELNS1_3repE0EEENS1_30default_config_static_selectorELNS0_4arch9wavefront6targetE0EEEvT1_,@function
_ZN7rocprim17ROCPRIM_400000_NS6detail17trampoline_kernelINS0_14default_configENS1_25partition_config_selectorILNS1_17partition_subalgoE6EfNS0_10empty_typeEbEEZZNS1_14partition_implILS5_6ELb0ES3_mN6thrust23THRUST_200600_302600_NS6detail15normal_iteratorINSA_10device_ptrIfEEEEPS6_SG_NS0_5tupleIJNSA_16discard_iteratorINSA_11use_defaultEEES6_EEENSH_IJSG_SG_EEES6_PlJNSB_9not_fun_tI7is_trueIfEEEEEE10hipError_tPvRmT3_T4_T5_T6_T7_T9_mT8_P12ihipStream_tbDpT10_ENKUlT_T0_E_clISt17integral_constantIbLb0EES1A_IbLb1EEEEDaS16_S17_EUlS16_E_NS1_11comp_targetILNS1_3genE5ELNS1_11target_archE942ELNS1_3gpuE9ELNS1_3repE0EEENS1_30default_config_static_selectorELNS0_4arch9wavefront6targetE0EEEvT1_: ; @_ZN7rocprim17ROCPRIM_400000_NS6detail17trampoline_kernelINS0_14default_configENS1_25partition_config_selectorILNS1_17partition_subalgoE6EfNS0_10empty_typeEbEEZZNS1_14partition_implILS5_6ELb0ES3_mN6thrust23THRUST_200600_302600_NS6detail15normal_iteratorINSA_10device_ptrIfEEEEPS6_SG_NS0_5tupleIJNSA_16discard_iteratorINSA_11use_defaultEEES6_EEENSH_IJSG_SG_EEES6_PlJNSB_9not_fun_tI7is_trueIfEEEEEE10hipError_tPvRmT3_T4_T5_T6_T7_T9_mT8_P12ihipStream_tbDpT10_ENKUlT_T0_E_clISt17integral_constantIbLb0EES1A_IbLb1EEEEDaS16_S17_EUlS16_E_NS1_11comp_targetILNS1_3genE5ELNS1_11target_archE942ELNS1_3gpuE9ELNS1_3repE0EEENS1_30default_config_static_selectorELNS0_4arch9wavefront6targetE0EEEvT1_
; %bb.0:
	.section	.rodata,"a",@progbits
	.p2align	6, 0x0
	.amdhsa_kernel _ZN7rocprim17ROCPRIM_400000_NS6detail17trampoline_kernelINS0_14default_configENS1_25partition_config_selectorILNS1_17partition_subalgoE6EfNS0_10empty_typeEbEEZZNS1_14partition_implILS5_6ELb0ES3_mN6thrust23THRUST_200600_302600_NS6detail15normal_iteratorINSA_10device_ptrIfEEEEPS6_SG_NS0_5tupleIJNSA_16discard_iteratorINSA_11use_defaultEEES6_EEENSH_IJSG_SG_EEES6_PlJNSB_9not_fun_tI7is_trueIfEEEEEE10hipError_tPvRmT3_T4_T5_T6_T7_T9_mT8_P12ihipStream_tbDpT10_ENKUlT_T0_E_clISt17integral_constantIbLb0EES1A_IbLb1EEEEDaS16_S17_EUlS16_E_NS1_11comp_targetILNS1_3genE5ELNS1_11target_archE942ELNS1_3gpuE9ELNS1_3repE0EEENS1_30default_config_static_selectorELNS0_4arch9wavefront6targetE0EEEvT1_
		.amdhsa_group_segment_fixed_size 0
		.amdhsa_private_segment_fixed_size 0
		.amdhsa_kernarg_size 136
		.amdhsa_user_sgpr_count 2
		.amdhsa_user_sgpr_dispatch_ptr 0
		.amdhsa_user_sgpr_queue_ptr 0
		.amdhsa_user_sgpr_kernarg_segment_ptr 1
		.amdhsa_user_sgpr_dispatch_id 0
		.amdhsa_user_sgpr_private_segment_size 0
		.amdhsa_wavefront_size32 1
		.amdhsa_uses_dynamic_stack 0
		.amdhsa_enable_private_segment 0
		.amdhsa_system_sgpr_workgroup_id_x 1
		.amdhsa_system_sgpr_workgroup_id_y 0
		.amdhsa_system_sgpr_workgroup_id_z 0
		.amdhsa_system_sgpr_workgroup_info 0
		.amdhsa_system_vgpr_workitem_id 0
		.amdhsa_next_free_vgpr 1
		.amdhsa_next_free_sgpr 1
		.amdhsa_reserve_vcc 0
		.amdhsa_float_round_mode_32 0
		.amdhsa_float_round_mode_16_64 0
		.amdhsa_float_denorm_mode_32 3
		.amdhsa_float_denorm_mode_16_64 3
		.amdhsa_fp16_overflow 0
		.amdhsa_workgroup_processor_mode 1
		.amdhsa_memory_ordered 1
		.amdhsa_forward_progress 1
		.amdhsa_inst_pref_size 0
		.amdhsa_round_robin_scheduling 0
		.amdhsa_exception_fp_ieee_invalid_op 0
		.amdhsa_exception_fp_denorm_src 0
		.amdhsa_exception_fp_ieee_div_zero 0
		.amdhsa_exception_fp_ieee_overflow 0
		.amdhsa_exception_fp_ieee_underflow 0
		.amdhsa_exception_fp_ieee_inexact 0
		.amdhsa_exception_int_div_zero 0
	.end_amdhsa_kernel
	.section	.text._ZN7rocprim17ROCPRIM_400000_NS6detail17trampoline_kernelINS0_14default_configENS1_25partition_config_selectorILNS1_17partition_subalgoE6EfNS0_10empty_typeEbEEZZNS1_14partition_implILS5_6ELb0ES3_mN6thrust23THRUST_200600_302600_NS6detail15normal_iteratorINSA_10device_ptrIfEEEEPS6_SG_NS0_5tupleIJNSA_16discard_iteratorINSA_11use_defaultEEES6_EEENSH_IJSG_SG_EEES6_PlJNSB_9not_fun_tI7is_trueIfEEEEEE10hipError_tPvRmT3_T4_T5_T6_T7_T9_mT8_P12ihipStream_tbDpT10_ENKUlT_T0_E_clISt17integral_constantIbLb0EES1A_IbLb1EEEEDaS16_S17_EUlS16_E_NS1_11comp_targetILNS1_3genE5ELNS1_11target_archE942ELNS1_3gpuE9ELNS1_3repE0EEENS1_30default_config_static_selectorELNS0_4arch9wavefront6targetE0EEEvT1_,"axG",@progbits,_ZN7rocprim17ROCPRIM_400000_NS6detail17trampoline_kernelINS0_14default_configENS1_25partition_config_selectorILNS1_17partition_subalgoE6EfNS0_10empty_typeEbEEZZNS1_14partition_implILS5_6ELb0ES3_mN6thrust23THRUST_200600_302600_NS6detail15normal_iteratorINSA_10device_ptrIfEEEEPS6_SG_NS0_5tupleIJNSA_16discard_iteratorINSA_11use_defaultEEES6_EEENSH_IJSG_SG_EEES6_PlJNSB_9not_fun_tI7is_trueIfEEEEEE10hipError_tPvRmT3_T4_T5_T6_T7_T9_mT8_P12ihipStream_tbDpT10_ENKUlT_T0_E_clISt17integral_constantIbLb0EES1A_IbLb1EEEEDaS16_S17_EUlS16_E_NS1_11comp_targetILNS1_3genE5ELNS1_11target_archE942ELNS1_3gpuE9ELNS1_3repE0EEENS1_30default_config_static_selectorELNS0_4arch9wavefront6targetE0EEEvT1_,comdat
.Lfunc_end2134:
	.size	_ZN7rocprim17ROCPRIM_400000_NS6detail17trampoline_kernelINS0_14default_configENS1_25partition_config_selectorILNS1_17partition_subalgoE6EfNS0_10empty_typeEbEEZZNS1_14partition_implILS5_6ELb0ES3_mN6thrust23THRUST_200600_302600_NS6detail15normal_iteratorINSA_10device_ptrIfEEEEPS6_SG_NS0_5tupleIJNSA_16discard_iteratorINSA_11use_defaultEEES6_EEENSH_IJSG_SG_EEES6_PlJNSB_9not_fun_tI7is_trueIfEEEEEE10hipError_tPvRmT3_T4_T5_T6_T7_T9_mT8_P12ihipStream_tbDpT10_ENKUlT_T0_E_clISt17integral_constantIbLb0EES1A_IbLb1EEEEDaS16_S17_EUlS16_E_NS1_11comp_targetILNS1_3genE5ELNS1_11target_archE942ELNS1_3gpuE9ELNS1_3repE0EEENS1_30default_config_static_selectorELNS0_4arch9wavefront6targetE0EEEvT1_, .Lfunc_end2134-_ZN7rocprim17ROCPRIM_400000_NS6detail17trampoline_kernelINS0_14default_configENS1_25partition_config_selectorILNS1_17partition_subalgoE6EfNS0_10empty_typeEbEEZZNS1_14partition_implILS5_6ELb0ES3_mN6thrust23THRUST_200600_302600_NS6detail15normal_iteratorINSA_10device_ptrIfEEEEPS6_SG_NS0_5tupleIJNSA_16discard_iteratorINSA_11use_defaultEEES6_EEENSH_IJSG_SG_EEES6_PlJNSB_9not_fun_tI7is_trueIfEEEEEE10hipError_tPvRmT3_T4_T5_T6_T7_T9_mT8_P12ihipStream_tbDpT10_ENKUlT_T0_E_clISt17integral_constantIbLb0EES1A_IbLb1EEEEDaS16_S17_EUlS16_E_NS1_11comp_targetILNS1_3genE5ELNS1_11target_archE942ELNS1_3gpuE9ELNS1_3repE0EEENS1_30default_config_static_selectorELNS0_4arch9wavefront6targetE0EEEvT1_
                                        ; -- End function
	.set _ZN7rocprim17ROCPRIM_400000_NS6detail17trampoline_kernelINS0_14default_configENS1_25partition_config_selectorILNS1_17partition_subalgoE6EfNS0_10empty_typeEbEEZZNS1_14partition_implILS5_6ELb0ES3_mN6thrust23THRUST_200600_302600_NS6detail15normal_iteratorINSA_10device_ptrIfEEEEPS6_SG_NS0_5tupleIJNSA_16discard_iteratorINSA_11use_defaultEEES6_EEENSH_IJSG_SG_EEES6_PlJNSB_9not_fun_tI7is_trueIfEEEEEE10hipError_tPvRmT3_T4_T5_T6_T7_T9_mT8_P12ihipStream_tbDpT10_ENKUlT_T0_E_clISt17integral_constantIbLb0EES1A_IbLb1EEEEDaS16_S17_EUlS16_E_NS1_11comp_targetILNS1_3genE5ELNS1_11target_archE942ELNS1_3gpuE9ELNS1_3repE0EEENS1_30default_config_static_selectorELNS0_4arch9wavefront6targetE0EEEvT1_.num_vgpr, 0
	.set _ZN7rocprim17ROCPRIM_400000_NS6detail17trampoline_kernelINS0_14default_configENS1_25partition_config_selectorILNS1_17partition_subalgoE6EfNS0_10empty_typeEbEEZZNS1_14partition_implILS5_6ELb0ES3_mN6thrust23THRUST_200600_302600_NS6detail15normal_iteratorINSA_10device_ptrIfEEEEPS6_SG_NS0_5tupleIJNSA_16discard_iteratorINSA_11use_defaultEEES6_EEENSH_IJSG_SG_EEES6_PlJNSB_9not_fun_tI7is_trueIfEEEEEE10hipError_tPvRmT3_T4_T5_T6_T7_T9_mT8_P12ihipStream_tbDpT10_ENKUlT_T0_E_clISt17integral_constantIbLb0EES1A_IbLb1EEEEDaS16_S17_EUlS16_E_NS1_11comp_targetILNS1_3genE5ELNS1_11target_archE942ELNS1_3gpuE9ELNS1_3repE0EEENS1_30default_config_static_selectorELNS0_4arch9wavefront6targetE0EEEvT1_.num_agpr, 0
	.set _ZN7rocprim17ROCPRIM_400000_NS6detail17trampoline_kernelINS0_14default_configENS1_25partition_config_selectorILNS1_17partition_subalgoE6EfNS0_10empty_typeEbEEZZNS1_14partition_implILS5_6ELb0ES3_mN6thrust23THRUST_200600_302600_NS6detail15normal_iteratorINSA_10device_ptrIfEEEEPS6_SG_NS0_5tupleIJNSA_16discard_iteratorINSA_11use_defaultEEES6_EEENSH_IJSG_SG_EEES6_PlJNSB_9not_fun_tI7is_trueIfEEEEEE10hipError_tPvRmT3_T4_T5_T6_T7_T9_mT8_P12ihipStream_tbDpT10_ENKUlT_T0_E_clISt17integral_constantIbLb0EES1A_IbLb1EEEEDaS16_S17_EUlS16_E_NS1_11comp_targetILNS1_3genE5ELNS1_11target_archE942ELNS1_3gpuE9ELNS1_3repE0EEENS1_30default_config_static_selectorELNS0_4arch9wavefront6targetE0EEEvT1_.numbered_sgpr, 0
	.set _ZN7rocprim17ROCPRIM_400000_NS6detail17trampoline_kernelINS0_14default_configENS1_25partition_config_selectorILNS1_17partition_subalgoE6EfNS0_10empty_typeEbEEZZNS1_14partition_implILS5_6ELb0ES3_mN6thrust23THRUST_200600_302600_NS6detail15normal_iteratorINSA_10device_ptrIfEEEEPS6_SG_NS0_5tupleIJNSA_16discard_iteratorINSA_11use_defaultEEES6_EEENSH_IJSG_SG_EEES6_PlJNSB_9not_fun_tI7is_trueIfEEEEEE10hipError_tPvRmT3_T4_T5_T6_T7_T9_mT8_P12ihipStream_tbDpT10_ENKUlT_T0_E_clISt17integral_constantIbLb0EES1A_IbLb1EEEEDaS16_S17_EUlS16_E_NS1_11comp_targetILNS1_3genE5ELNS1_11target_archE942ELNS1_3gpuE9ELNS1_3repE0EEENS1_30default_config_static_selectorELNS0_4arch9wavefront6targetE0EEEvT1_.num_named_barrier, 0
	.set _ZN7rocprim17ROCPRIM_400000_NS6detail17trampoline_kernelINS0_14default_configENS1_25partition_config_selectorILNS1_17partition_subalgoE6EfNS0_10empty_typeEbEEZZNS1_14partition_implILS5_6ELb0ES3_mN6thrust23THRUST_200600_302600_NS6detail15normal_iteratorINSA_10device_ptrIfEEEEPS6_SG_NS0_5tupleIJNSA_16discard_iteratorINSA_11use_defaultEEES6_EEENSH_IJSG_SG_EEES6_PlJNSB_9not_fun_tI7is_trueIfEEEEEE10hipError_tPvRmT3_T4_T5_T6_T7_T9_mT8_P12ihipStream_tbDpT10_ENKUlT_T0_E_clISt17integral_constantIbLb0EES1A_IbLb1EEEEDaS16_S17_EUlS16_E_NS1_11comp_targetILNS1_3genE5ELNS1_11target_archE942ELNS1_3gpuE9ELNS1_3repE0EEENS1_30default_config_static_selectorELNS0_4arch9wavefront6targetE0EEEvT1_.private_seg_size, 0
	.set _ZN7rocprim17ROCPRIM_400000_NS6detail17trampoline_kernelINS0_14default_configENS1_25partition_config_selectorILNS1_17partition_subalgoE6EfNS0_10empty_typeEbEEZZNS1_14partition_implILS5_6ELb0ES3_mN6thrust23THRUST_200600_302600_NS6detail15normal_iteratorINSA_10device_ptrIfEEEEPS6_SG_NS0_5tupleIJNSA_16discard_iteratorINSA_11use_defaultEEES6_EEENSH_IJSG_SG_EEES6_PlJNSB_9not_fun_tI7is_trueIfEEEEEE10hipError_tPvRmT3_T4_T5_T6_T7_T9_mT8_P12ihipStream_tbDpT10_ENKUlT_T0_E_clISt17integral_constantIbLb0EES1A_IbLb1EEEEDaS16_S17_EUlS16_E_NS1_11comp_targetILNS1_3genE5ELNS1_11target_archE942ELNS1_3gpuE9ELNS1_3repE0EEENS1_30default_config_static_selectorELNS0_4arch9wavefront6targetE0EEEvT1_.uses_vcc, 0
	.set _ZN7rocprim17ROCPRIM_400000_NS6detail17trampoline_kernelINS0_14default_configENS1_25partition_config_selectorILNS1_17partition_subalgoE6EfNS0_10empty_typeEbEEZZNS1_14partition_implILS5_6ELb0ES3_mN6thrust23THRUST_200600_302600_NS6detail15normal_iteratorINSA_10device_ptrIfEEEEPS6_SG_NS0_5tupleIJNSA_16discard_iteratorINSA_11use_defaultEEES6_EEENSH_IJSG_SG_EEES6_PlJNSB_9not_fun_tI7is_trueIfEEEEEE10hipError_tPvRmT3_T4_T5_T6_T7_T9_mT8_P12ihipStream_tbDpT10_ENKUlT_T0_E_clISt17integral_constantIbLb0EES1A_IbLb1EEEEDaS16_S17_EUlS16_E_NS1_11comp_targetILNS1_3genE5ELNS1_11target_archE942ELNS1_3gpuE9ELNS1_3repE0EEENS1_30default_config_static_selectorELNS0_4arch9wavefront6targetE0EEEvT1_.uses_flat_scratch, 0
	.set _ZN7rocprim17ROCPRIM_400000_NS6detail17trampoline_kernelINS0_14default_configENS1_25partition_config_selectorILNS1_17partition_subalgoE6EfNS0_10empty_typeEbEEZZNS1_14partition_implILS5_6ELb0ES3_mN6thrust23THRUST_200600_302600_NS6detail15normal_iteratorINSA_10device_ptrIfEEEEPS6_SG_NS0_5tupleIJNSA_16discard_iteratorINSA_11use_defaultEEES6_EEENSH_IJSG_SG_EEES6_PlJNSB_9not_fun_tI7is_trueIfEEEEEE10hipError_tPvRmT3_T4_T5_T6_T7_T9_mT8_P12ihipStream_tbDpT10_ENKUlT_T0_E_clISt17integral_constantIbLb0EES1A_IbLb1EEEEDaS16_S17_EUlS16_E_NS1_11comp_targetILNS1_3genE5ELNS1_11target_archE942ELNS1_3gpuE9ELNS1_3repE0EEENS1_30default_config_static_selectorELNS0_4arch9wavefront6targetE0EEEvT1_.has_dyn_sized_stack, 0
	.set _ZN7rocprim17ROCPRIM_400000_NS6detail17trampoline_kernelINS0_14default_configENS1_25partition_config_selectorILNS1_17partition_subalgoE6EfNS0_10empty_typeEbEEZZNS1_14partition_implILS5_6ELb0ES3_mN6thrust23THRUST_200600_302600_NS6detail15normal_iteratorINSA_10device_ptrIfEEEEPS6_SG_NS0_5tupleIJNSA_16discard_iteratorINSA_11use_defaultEEES6_EEENSH_IJSG_SG_EEES6_PlJNSB_9not_fun_tI7is_trueIfEEEEEE10hipError_tPvRmT3_T4_T5_T6_T7_T9_mT8_P12ihipStream_tbDpT10_ENKUlT_T0_E_clISt17integral_constantIbLb0EES1A_IbLb1EEEEDaS16_S17_EUlS16_E_NS1_11comp_targetILNS1_3genE5ELNS1_11target_archE942ELNS1_3gpuE9ELNS1_3repE0EEENS1_30default_config_static_selectorELNS0_4arch9wavefront6targetE0EEEvT1_.has_recursion, 0
	.set _ZN7rocprim17ROCPRIM_400000_NS6detail17trampoline_kernelINS0_14default_configENS1_25partition_config_selectorILNS1_17partition_subalgoE6EfNS0_10empty_typeEbEEZZNS1_14partition_implILS5_6ELb0ES3_mN6thrust23THRUST_200600_302600_NS6detail15normal_iteratorINSA_10device_ptrIfEEEEPS6_SG_NS0_5tupleIJNSA_16discard_iteratorINSA_11use_defaultEEES6_EEENSH_IJSG_SG_EEES6_PlJNSB_9not_fun_tI7is_trueIfEEEEEE10hipError_tPvRmT3_T4_T5_T6_T7_T9_mT8_P12ihipStream_tbDpT10_ENKUlT_T0_E_clISt17integral_constantIbLb0EES1A_IbLb1EEEEDaS16_S17_EUlS16_E_NS1_11comp_targetILNS1_3genE5ELNS1_11target_archE942ELNS1_3gpuE9ELNS1_3repE0EEENS1_30default_config_static_selectorELNS0_4arch9wavefront6targetE0EEEvT1_.has_indirect_call, 0
	.section	.AMDGPU.csdata,"",@progbits
; Kernel info:
; codeLenInByte = 0
; TotalNumSgprs: 0
; NumVgprs: 0
; ScratchSize: 0
; MemoryBound: 0
; FloatMode: 240
; IeeeMode: 1
; LDSByteSize: 0 bytes/workgroup (compile time only)
; SGPRBlocks: 0
; VGPRBlocks: 0
; NumSGPRsForWavesPerEU: 1
; NumVGPRsForWavesPerEU: 1
; Occupancy: 16
; WaveLimiterHint : 0
; COMPUTE_PGM_RSRC2:SCRATCH_EN: 0
; COMPUTE_PGM_RSRC2:USER_SGPR: 2
; COMPUTE_PGM_RSRC2:TRAP_HANDLER: 0
; COMPUTE_PGM_RSRC2:TGID_X_EN: 1
; COMPUTE_PGM_RSRC2:TGID_Y_EN: 0
; COMPUTE_PGM_RSRC2:TGID_Z_EN: 0
; COMPUTE_PGM_RSRC2:TIDIG_COMP_CNT: 0
	.section	.text._ZN7rocprim17ROCPRIM_400000_NS6detail17trampoline_kernelINS0_14default_configENS1_25partition_config_selectorILNS1_17partition_subalgoE6EfNS0_10empty_typeEbEEZZNS1_14partition_implILS5_6ELb0ES3_mN6thrust23THRUST_200600_302600_NS6detail15normal_iteratorINSA_10device_ptrIfEEEEPS6_SG_NS0_5tupleIJNSA_16discard_iteratorINSA_11use_defaultEEES6_EEENSH_IJSG_SG_EEES6_PlJNSB_9not_fun_tI7is_trueIfEEEEEE10hipError_tPvRmT3_T4_T5_T6_T7_T9_mT8_P12ihipStream_tbDpT10_ENKUlT_T0_E_clISt17integral_constantIbLb0EES1A_IbLb1EEEEDaS16_S17_EUlS16_E_NS1_11comp_targetILNS1_3genE4ELNS1_11target_archE910ELNS1_3gpuE8ELNS1_3repE0EEENS1_30default_config_static_selectorELNS0_4arch9wavefront6targetE0EEEvT1_,"axG",@progbits,_ZN7rocprim17ROCPRIM_400000_NS6detail17trampoline_kernelINS0_14default_configENS1_25partition_config_selectorILNS1_17partition_subalgoE6EfNS0_10empty_typeEbEEZZNS1_14partition_implILS5_6ELb0ES3_mN6thrust23THRUST_200600_302600_NS6detail15normal_iteratorINSA_10device_ptrIfEEEEPS6_SG_NS0_5tupleIJNSA_16discard_iteratorINSA_11use_defaultEEES6_EEENSH_IJSG_SG_EEES6_PlJNSB_9not_fun_tI7is_trueIfEEEEEE10hipError_tPvRmT3_T4_T5_T6_T7_T9_mT8_P12ihipStream_tbDpT10_ENKUlT_T0_E_clISt17integral_constantIbLb0EES1A_IbLb1EEEEDaS16_S17_EUlS16_E_NS1_11comp_targetILNS1_3genE4ELNS1_11target_archE910ELNS1_3gpuE8ELNS1_3repE0EEENS1_30default_config_static_selectorELNS0_4arch9wavefront6targetE0EEEvT1_,comdat
	.protected	_ZN7rocprim17ROCPRIM_400000_NS6detail17trampoline_kernelINS0_14default_configENS1_25partition_config_selectorILNS1_17partition_subalgoE6EfNS0_10empty_typeEbEEZZNS1_14partition_implILS5_6ELb0ES3_mN6thrust23THRUST_200600_302600_NS6detail15normal_iteratorINSA_10device_ptrIfEEEEPS6_SG_NS0_5tupleIJNSA_16discard_iteratorINSA_11use_defaultEEES6_EEENSH_IJSG_SG_EEES6_PlJNSB_9not_fun_tI7is_trueIfEEEEEE10hipError_tPvRmT3_T4_T5_T6_T7_T9_mT8_P12ihipStream_tbDpT10_ENKUlT_T0_E_clISt17integral_constantIbLb0EES1A_IbLb1EEEEDaS16_S17_EUlS16_E_NS1_11comp_targetILNS1_3genE4ELNS1_11target_archE910ELNS1_3gpuE8ELNS1_3repE0EEENS1_30default_config_static_selectorELNS0_4arch9wavefront6targetE0EEEvT1_ ; -- Begin function _ZN7rocprim17ROCPRIM_400000_NS6detail17trampoline_kernelINS0_14default_configENS1_25partition_config_selectorILNS1_17partition_subalgoE6EfNS0_10empty_typeEbEEZZNS1_14partition_implILS5_6ELb0ES3_mN6thrust23THRUST_200600_302600_NS6detail15normal_iteratorINSA_10device_ptrIfEEEEPS6_SG_NS0_5tupleIJNSA_16discard_iteratorINSA_11use_defaultEEES6_EEENSH_IJSG_SG_EEES6_PlJNSB_9not_fun_tI7is_trueIfEEEEEE10hipError_tPvRmT3_T4_T5_T6_T7_T9_mT8_P12ihipStream_tbDpT10_ENKUlT_T0_E_clISt17integral_constantIbLb0EES1A_IbLb1EEEEDaS16_S17_EUlS16_E_NS1_11comp_targetILNS1_3genE4ELNS1_11target_archE910ELNS1_3gpuE8ELNS1_3repE0EEENS1_30default_config_static_selectorELNS0_4arch9wavefront6targetE0EEEvT1_
	.globl	_ZN7rocprim17ROCPRIM_400000_NS6detail17trampoline_kernelINS0_14default_configENS1_25partition_config_selectorILNS1_17partition_subalgoE6EfNS0_10empty_typeEbEEZZNS1_14partition_implILS5_6ELb0ES3_mN6thrust23THRUST_200600_302600_NS6detail15normal_iteratorINSA_10device_ptrIfEEEEPS6_SG_NS0_5tupleIJNSA_16discard_iteratorINSA_11use_defaultEEES6_EEENSH_IJSG_SG_EEES6_PlJNSB_9not_fun_tI7is_trueIfEEEEEE10hipError_tPvRmT3_T4_T5_T6_T7_T9_mT8_P12ihipStream_tbDpT10_ENKUlT_T0_E_clISt17integral_constantIbLb0EES1A_IbLb1EEEEDaS16_S17_EUlS16_E_NS1_11comp_targetILNS1_3genE4ELNS1_11target_archE910ELNS1_3gpuE8ELNS1_3repE0EEENS1_30default_config_static_selectorELNS0_4arch9wavefront6targetE0EEEvT1_
	.p2align	8
	.type	_ZN7rocprim17ROCPRIM_400000_NS6detail17trampoline_kernelINS0_14default_configENS1_25partition_config_selectorILNS1_17partition_subalgoE6EfNS0_10empty_typeEbEEZZNS1_14partition_implILS5_6ELb0ES3_mN6thrust23THRUST_200600_302600_NS6detail15normal_iteratorINSA_10device_ptrIfEEEEPS6_SG_NS0_5tupleIJNSA_16discard_iteratorINSA_11use_defaultEEES6_EEENSH_IJSG_SG_EEES6_PlJNSB_9not_fun_tI7is_trueIfEEEEEE10hipError_tPvRmT3_T4_T5_T6_T7_T9_mT8_P12ihipStream_tbDpT10_ENKUlT_T0_E_clISt17integral_constantIbLb0EES1A_IbLb1EEEEDaS16_S17_EUlS16_E_NS1_11comp_targetILNS1_3genE4ELNS1_11target_archE910ELNS1_3gpuE8ELNS1_3repE0EEENS1_30default_config_static_selectorELNS0_4arch9wavefront6targetE0EEEvT1_,@function
_ZN7rocprim17ROCPRIM_400000_NS6detail17trampoline_kernelINS0_14default_configENS1_25partition_config_selectorILNS1_17partition_subalgoE6EfNS0_10empty_typeEbEEZZNS1_14partition_implILS5_6ELb0ES3_mN6thrust23THRUST_200600_302600_NS6detail15normal_iteratorINSA_10device_ptrIfEEEEPS6_SG_NS0_5tupleIJNSA_16discard_iteratorINSA_11use_defaultEEES6_EEENSH_IJSG_SG_EEES6_PlJNSB_9not_fun_tI7is_trueIfEEEEEE10hipError_tPvRmT3_T4_T5_T6_T7_T9_mT8_P12ihipStream_tbDpT10_ENKUlT_T0_E_clISt17integral_constantIbLb0EES1A_IbLb1EEEEDaS16_S17_EUlS16_E_NS1_11comp_targetILNS1_3genE4ELNS1_11target_archE910ELNS1_3gpuE8ELNS1_3repE0EEENS1_30default_config_static_selectorELNS0_4arch9wavefront6targetE0EEEvT1_: ; @_ZN7rocprim17ROCPRIM_400000_NS6detail17trampoline_kernelINS0_14default_configENS1_25partition_config_selectorILNS1_17partition_subalgoE6EfNS0_10empty_typeEbEEZZNS1_14partition_implILS5_6ELb0ES3_mN6thrust23THRUST_200600_302600_NS6detail15normal_iteratorINSA_10device_ptrIfEEEEPS6_SG_NS0_5tupleIJNSA_16discard_iteratorINSA_11use_defaultEEES6_EEENSH_IJSG_SG_EEES6_PlJNSB_9not_fun_tI7is_trueIfEEEEEE10hipError_tPvRmT3_T4_T5_T6_T7_T9_mT8_P12ihipStream_tbDpT10_ENKUlT_T0_E_clISt17integral_constantIbLb0EES1A_IbLb1EEEEDaS16_S17_EUlS16_E_NS1_11comp_targetILNS1_3genE4ELNS1_11target_archE910ELNS1_3gpuE8ELNS1_3repE0EEENS1_30default_config_static_selectorELNS0_4arch9wavefront6targetE0EEEvT1_
; %bb.0:
	.section	.rodata,"a",@progbits
	.p2align	6, 0x0
	.amdhsa_kernel _ZN7rocprim17ROCPRIM_400000_NS6detail17trampoline_kernelINS0_14default_configENS1_25partition_config_selectorILNS1_17partition_subalgoE6EfNS0_10empty_typeEbEEZZNS1_14partition_implILS5_6ELb0ES3_mN6thrust23THRUST_200600_302600_NS6detail15normal_iteratorINSA_10device_ptrIfEEEEPS6_SG_NS0_5tupleIJNSA_16discard_iteratorINSA_11use_defaultEEES6_EEENSH_IJSG_SG_EEES6_PlJNSB_9not_fun_tI7is_trueIfEEEEEE10hipError_tPvRmT3_T4_T5_T6_T7_T9_mT8_P12ihipStream_tbDpT10_ENKUlT_T0_E_clISt17integral_constantIbLb0EES1A_IbLb1EEEEDaS16_S17_EUlS16_E_NS1_11comp_targetILNS1_3genE4ELNS1_11target_archE910ELNS1_3gpuE8ELNS1_3repE0EEENS1_30default_config_static_selectorELNS0_4arch9wavefront6targetE0EEEvT1_
		.amdhsa_group_segment_fixed_size 0
		.amdhsa_private_segment_fixed_size 0
		.amdhsa_kernarg_size 136
		.amdhsa_user_sgpr_count 2
		.amdhsa_user_sgpr_dispatch_ptr 0
		.amdhsa_user_sgpr_queue_ptr 0
		.amdhsa_user_sgpr_kernarg_segment_ptr 1
		.amdhsa_user_sgpr_dispatch_id 0
		.amdhsa_user_sgpr_private_segment_size 0
		.amdhsa_wavefront_size32 1
		.amdhsa_uses_dynamic_stack 0
		.amdhsa_enable_private_segment 0
		.amdhsa_system_sgpr_workgroup_id_x 1
		.amdhsa_system_sgpr_workgroup_id_y 0
		.amdhsa_system_sgpr_workgroup_id_z 0
		.amdhsa_system_sgpr_workgroup_info 0
		.amdhsa_system_vgpr_workitem_id 0
		.amdhsa_next_free_vgpr 1
		.amdhsa_next_free_sgpr 1
		.amdhsa_reserve_vcc 0
		.amdhsa_float_round_mode_32 0
		.amdhsa_float_round_mode_16_64 0
		.amdhsa_float_denorm_mode_32 3
		.amdhsa_float_denorm_mode_16_64 3
		.amdhsa_fp16_overflow 0
		.amdhsa_workgroup_processor_mode 1
		.amdhsa_memory_ordered 1
		.amdhsa_forward_progress 1
		.amdhsa_inst_pref_size 0
		.amdhsa_round_robin_scheduling 0
		.amdhsa_exception_fp_ieee_invalid_op 0
		.amdhsa_exception_fp_denorm_src 0
		.amdhsa_exception_fp_ieee_div_zero 0
		.amdhsa_exception_fp_ieee_overflow 0
		.amdhsa_exception_fp_ieee_underflow 0
		.amdhsa_exception_fp_ieee_inexact 0
		.amdhsa_exception_int_div_zero 0
	.end_amdhsa_kernel
	.section	.text._ZN7rocprim17ROCPRIM_400000_NS6detail17trampoline_kernelINS0_14default_configENS1_25partition_config_selectorILNS1_17partition_subalgoE6EfNS0_10empty_typeEbEEZZNS1_14partition_implILS5_6ELb0ES3_mN6thrust23THRUST_200600_302600_NS6detail15normal_iteratorINSA_10device_ptrIfEEEEPS6_SG_NS0_5tupleIJNSA_16discard_iteratorINSA_11use_defaultEEES6_EEENSH_IJSG_SG_EEES6_PlJNSB_9not_fun_tI7is_trueIfEEEEEE10hipError_tPvRmT3_T4_T5_T6_T7_T9_mT8_P12ihipStream_tbDpT10_ENKUlT_T0_E_clISt17integral_constantIbLb0EES1A_IbLb1EEEEDaS16_S17_EUlS16_E_NS1_11comp_targetILNS1_3genE4ELNS1_11target_archE910ELNS1_3gpuE8ELNS1_3repE0EEENS1_30default_config_static_selectorELNS0_4arch9wavefront6targetE0EEEvT1_,"axG",@progbits,_ZN7rocprim17ROCPRIM_400000_NS6detail17trampoline_kernelINS0_14default_configENS1_25partition_config_selectorILNS1_17partition_subalgoE6EfNS0_10empty_typeEbEEZZNS1_14partition_implILS5_6ELb0ES3_mN6thrust23THRUST_200600_302600_NS6detail15normal_iteratorINSA_10device_ptrIfEEEEPS6_SG_NS0_5tupleIJNSA_16discard_iteratorINSA_11use_defaultEEES6_EEENSH_IJSG_SG_EEES6_PlJNSB_9not_fun_tI7is_trueIfEEEEEE10hipError_tPvRmT3_T4_T5_T6_T7_T9_mT8_P12ihipStream_tbDpT10_ENKUlT_T0_E_clISt17integral_constantIbLb0EES1A_IbLb1EEEEDaS16_S17_EUlS16_E_NS1_11comp_targetILNS1_3genE4ELNS1_11target_archE910ELNS1_3gpuE8ELNS1_3repE0EEENS1_30default_config_static_selectorELNS0_4arch9wavefront6targetE0EEEvT1_,comdat
.Lfunc_end2135:
	.size	_ZN7rocprim17ROCPRIM_400000_NS6detail17trampoline_kernelINS0_14default_configENS1_25partition_config_selectorILNS1_17partition_subalgoE6EfNS0_10empty_typeEbEEZZNS1_14partition_implILS5_6ELb0ES3_mN6thrust23THRUST_200600_302600_NS6detail15normal_iteratorINSA_10device_ptrIfEEEEPS6_SG_NS0_5tupleIJNSA_16discard_iteratorINSA_11use_defaultEEES6_EEENSH_IJSG_SG_EEES6_PlJNSB_9not_fun_tI7is_trueIfEEEEEE10hipError_tPvRmT3_T4_T5_T6_T7_T9_mT8_P12ihipStream_tbDpT10_ENKUlT_T0_E_clISt17integral_constantIbLb0EES1A_IbLb1EEEEDaS16_S17_EUlS16_E_NS1_11comp_targetILNS1_3genE4ELNS1_11target_archE910ELNS1_3gpuE8ELNS1_3repE0EEENS1_30default_config_static_selectorELNS0_4arch9wavefront6targetE0EEEvT1_, .Lfunc_end2135-_ZN7rocprim17ROCPRIM_400000_NS6detail17trampoline_kernelINS0_14default_configENS1_25partition_config_selectorILNS1_17partition_subalgoE6EfNS0_10empty_typeEbEEZZNS1_14partition_implILS5_6ELb0ES3_mN6thrust23THRUST_200600_302600_NS6detail15normal_iteratorINSA_10device_ptrIfEEEEPS6_SG_NS0_5tupleIJNSA_16discard_iteratorINSA_11use_defaultEEES6_EEENSH_IJSG_SG_EEES6_PlJNSB_9not_fun_tI7is_trueIfEEEEEE10hipError_tPvRmT3_T4_T5_T6_T7_T9_mT8_P12ihipStream_tbDpT10_ENKUlT_T0_E_clISt17integral_constantIbLb0EES1A_IbLb1EEEEDaS16_S17_EUlS16_E_NS1_11comp_targetILNS1_3genE4ELNS1_11target_archE910ELNS1_3gpuE8ELNS1_3repE0EEENS1_30default_config_static_selectorELNS0_4arch9wavefront6targetE0EEEvT1_
                                        ; -- End function
	.set _ZN7rocprim17ROCPRIM_400000_NS6detail17trampoline_kernelINS0_14default_configENS1_25partition_config_selectorILNS1_17partition_subalgoE6EfNS0_10empty_typeEbEEZZNS1_14partition_implILS5_6ELb0ES3_mN6thrust23THRUST_200600_302600_NS6detail15normal_iteratorINSA_10device_ptrIfEEEEPS6_SG_NS0_5tupleIJNSA_16discard_iteratorINSA_11use_defaultEEES6_EEENSH_IJSG_SG_EEES6_PlJNSB_9not_fun_tI7is_trueIfEEEEEE10hipError_tPvRmT3_T4_T5_T6_T7_T9_mT8_P12ihipStream_tbDpT10_ENKUlT_T0_E_clISt17integral_constantIbLb0EES1A_IbLb1EEEEDaS16_S17_EUlS16_E_NS1_11comp_targetILNS1_3genE4ELNS1_11target_archE910ELNS1_3gpuE8ELNS1_3repE0EEENS1_30default_config_static_selectorELNS0_4arch9wavefront6targetE0EEEvT1_.num_vgpr, 0
	.set _ZN7rocprim17ROCPRIM_400000_NS6detail17trampoline_kernelINS0_14default_configENS1_25partition_config_selectorILNS1_17partition_subalgoE6EfNS0_10empty_typeEbEEZZNS1_14partition_implILS5_6ELb0ES3_mN6thrust23THRUST_200600_302600_NS6detail15normal_iteratorINSA_10device_ptrIfEEEEPS6_SG_NS0_5tupleIJNSA_16discard_iteratorINSA_11use_defaultEEES6_EEENSH_IJSG_SG_EEES6_PlJNSB_9not_fun_tI7is_trueIfEEEEEE10hipError_tPvRmT3_T4_T5_T6_T7_T9_mT8_P12ihipStream_tbDpT10_ENKUlT_T0_E_clISt17integral_constantIbLb0EES1A_IbLb1EEEEDaS16_S17_EUlS16_E_NS1_11comp_targetILNS1_3genE4ELNS1_11target_archE910ELNS1_3gpuE8ELNS1_3repE0EEENS1_30default_config_static_selectorELNS0_4arch9wavefront6targetE0EEEvT1_.num_agpr, 0
	.set _ZN7rocprim17ROCPRIM_400000_NS6detail17trampoline_kernelINS0_14default_configENS1_25partition_config_selectorILNS1_17partition_subalgoE6EfNS0_10empty_typeEbEEZZNS1_14partition_implILS5_6ELb0ES3_mN6thrust23THRUST_200600_302600_NS6detail15normal_iteratorINSA_10device_ptrIfEEEEPS6_SG_NS0_5tupleIJNSA_16discard_iteratorINSA_11use_defaultEEES6_EEENSH_IJSG_SG_EEES6_PlJNSB_9not_fun_tI7is_trueIfEEEEEE10hipError_tPvRmT3_T4_T5_T6_T7_T9_mT8_P12ihipStream_tbDpT10_ENKUlT_T0_E_clISt17integral_constantIbLb0EES1A_IbLb1EEEEDaS16_S17_EUlS16_E_NS1_11comp_targetILNS1_3genE4ELNS1_11target_archE910ELNS1_3gpuE8ELNS1_3repE0EEENS1_30default_config_static_selectorELNS0_4arch9wavefront6targetE0EEEvT1_.numbered_sgpr, 0
	.set _ZN7rocprim17ROCPRIM_400000_NS6detail17trampoline_kernelINS0_14default_configENS1_25partition_config_selectorILNS1_17partition_subalgoE6EfNS0_10empty_typeEbEEZZNS1_14partition_implILS5_6ELb0ES3_mN6thrust23THRUST_200600_302600_NS6detail15normal_iteratorINSA_10device_ptrIfEEEEPS6_SG_NS0_5tupleIJNSA_16discard_iteratorINSA_11use_defaultEEES6_EEENSH_IJSG_SG_EEES6_PlJNSB_9not_fun_tI7is_trueIfEEEEEE10hipError_tPvRmT3_T4_T5_T6_T7_T9_mT8_P12ihipStream_tbDpT10_ENKUlT_T0_E_clISt17integral_constantIbLb0EES1A_IbLb1EEEEDaS16_S17_EUlS16_E_NS1_11comp_targetILNS1_3genE4ELNS1_11target_archE910ELNS1_3gpuE8ELNS1_3repE0EEENS1_30default_config_static_selectorELNS0_4arch9wavefront6targetE0EEEvT1_.num_named_barrier, 0
	.set _ZN7rocprim17ROCPRIM_400000_NS6detail17trampoline_kernelINS0_14default_configENS1_25partition_config_selectorILNS1_17partition_subalgoE6EfNS0_10empty_typeEbEEZZNS1_14partition_implILS5_6ELb0ES3_mN6thrust23THRUST_200600_302600_NS6detail15normal_iteratorINSA_10device_ptrIfEEEEPS6_SG_NS0_5tupleIJNSA_16discard_iteratorINSA_11use_defaultEEES6_EEENSH_IJSG_SG_EEES6_PlJNSB_9not_fun_tI7is_trueIfEEEEEE10hipError_tPvRmT3_T4_T5_T6_T7_T9_mT8_P12ihipStream_tbDpT10_ENKUlT_T0_E_clISt17integral_constantIbLb0EES1A_IbLb1EEEEDaS16_S17_EUlS16_E_NS1_11comp_targetILNS1_3genE4ELNS1_11target_archE910ELNS1_3gpuE8ELNS1_3repE0EEENS1_30default_config_static_selectorELNS0_4arch9wavefront6targetE0EEEvT1_.private_seg_size, 0
	.set _ZN7rocprim17ROCPRIM_400000_NS6detail17trampoline_kernelINS0_14default_configENS1_25partition_config_selectorILNS1_17partition_subalgoE6EfNS0_10empty_typeEbEEZZNS1_14partition_implILS5_6ELb0ES3_mN6thrust23THRUST_200600_302600_NS6detail15normal_iteratorINSA_10device_ptrIfEEEEPS6_SG_NS0_5tupleIJNSA_16discard_iteratorINSA_11use_defaultEEES6_EEENSH_IJSG_SG_EEES6_PlJNSB_9not_fun_tI7is_trueIfEEEEEE10hipError_tPvRmT3_T4_T5_T6_T7_T9_mT8_P12ihipStream_tbDpT10_ENKUlT_T0_E_clISt17integral_constantIbLb0EES1A_IbLb1EEEEDaS16_S17_EUlS16_E_NS1_11comp_targetILNS1_3genE4ELNS1_11target_archE910ELNS1_3gpuE8ELNS1_3repE0EEENS1_30default_config_static_selectorELNS0_4arch9wavefront6targetE0EEEvT1_.uses_vcc, 0
	.set _ZN7rocprim17ROCPRIM_400000_NS6detail17trampoline_kernelINS0_14default_configENS1_25partition_config_selectorILNS1_17partition_subalgoE6EfNS0_10empty_typeEbEEZZNS1_14partition_implILS5_6ELb0ES3_mN6thrust23THRUST_200600_302600_NS6detail15normal_iteratorINSA_10device_ptrIfEEEEPS6_SG_NS0_5tupleIJNSA_16discard_iteratorINSA_11use_defaultEEES6_EEENSH_IJSG_SG_EEES6_PlJNSB_9not_fun_tI7is_trueIfEEEEEE10hipError_tPvRmT3_T4_T5_T6_T7_T9_mT8_P12ihipStream_tbDpT10_ENKUlT_T0_E_clISt17integral_constantIbLb0EES1A_IbLb1EEEEDaS16_S17_EUlS16_E_NS1_11comp_targetILNS1_3genE4ELNS1_11target_archE910ELNS1_3gpuE8ELNS1_3repE0EEENS1_30default_config_static_selectorELNS0_4arch9wavefront6targetE0EEEvT1_.uses_flat_scratch, 0
	.set _ZN7rocprim17ROCPRIM_400000_NS6detail17trampoline_kernelINS0_14default_configENS1_25partition_config_selectorILNS1_17partition_subalgoE6EfNS0_10empty_typeEbEEZZNS1_14partition_implILS5_6ELb0ES3_mN6thrust23THRUST_200600_302600_NS6detail15normal_iteratorINSA_10device_ptrIfEEEEPS6_SG_NS0_5tupleIJNSA_16discard_iteratorINSA_11use_defaultEEES6_EEENSH_IJSG_SG_EEES6_PlJNSB_9not_fun_tI7is_trueIfEEEEEE10hipError_tPvRmT3_T4_T5_T6_T7_T9_mT8_P12ihipStream_tbDpT10_ENKUlT_T0_E_clISt17integral_constantIbLb0EES1A_IbLb1EEEEDaS16_S17_EUlS16_E_NS1_11comp_targetILNS1_3genE4ELNS1_11target_archE910ELNS1_3gpuE8ELNS1_3repE0EEENS1_30default_config_static_selectorELNS0_4arch9wavefront6targetE0EEEvT1_.has_dyn_sized_stack, 0
	.set _ZN7rocprim17ROCPRIM_400000_NS6detail17trampoline_kernelINS0_14default_configENS1_25partition_config_selectorILNS1_17partition_subalgoE6EfNS0_10empty_typeEbEEZZNS1_14partition_implILS5_6ELb0ES3_mN6thrust23THRUST_200600_302600_NS6detail15normal_iteratorINSA_10device_ptrIfEEEEPS6_SG_NS0_5tupleIJNSA_16discard_iteratorINSA_11use_defaultEEES6_EEENSH_IJSG_SG_EEES6_PlJNSB_9not_fun_tI7is_trueIfEEEEEE10hipError_tPvRmT3_T4_T5_T6_T7_T9_mT8_P12ihipStream_tbDpT10_ENKUlT_T0_E_clISt17integral_constantIbLb0EES1A_IbLb1EEEEDaS16_S17_EUlS16_E_NS1_11comp_targetILNS1_3genE4ELNS1_11target_archE910ELNS1_3gpuE8ELNS1_3repE0EEENS1_30default_config_static_selectorELNS0_4arch9wavefront6targetE0EEEvT1_.has_recursion, 0
	.set _ZN7rocprim17ROCPRIM_400000_NS6detail17trampoline_kernelINS0_14default_configENS1_25partition_config_selectorILNS1_17partition_subalgoE6EfNS0_10empty_typeEbEEZZNS1_14partition_implILS5_6ELb0ES3_mN6thrust23THRUST_200600_302600_NS6detail15normal_iteratorINSA_10device_ptrIfEEEEPS6_SG_NS0_5tupleIJNSA_16discard_iteratorINSA_11use_defaultEEES6_EEENSH_IJSG_SG_EEES6_PlJNSB_9not_fun_tI7is_trueIfEEEEEE10hipError_tPvRmT3_T4_T5_T6_T7_T9_mT8_P12ihipStream_tbDpT10_ENKUlT_T0_E_clISt17integral_constantIbLb0EES1A_IbLb1EEEEDaS16_S17_EUlS16_E_NS1_11comp_targetILNS1_3genE4ELNS1_11target_archE910ELNS1_3gpuE8ELNS1_3repE0EEENS1_30default_config_static_selectorELNS0_4arch9wavefront6targetE0EEEvT1_.has_indirect_call, 0
	.section	.AMDGPU.csdata,"",@progbits
; Kernel info:
; codeLenInByte = 0
; TotalNumSgprs: 0
; NumVgprs: 0
; ScratchSize: 0
; MemoryBound: 0
; FloatMode: 240
; IeeeMode: 1
; LDSByteSize: 0 bytes/workgroup (compile time only)
; SGPRBlocks: 0
; VGPRBlocks: 0
; NumSGPRsForWavesPerEU: 1
; NumVGPRsForWavesPerEU: 1
; Occupancy: 16
; WaveLimiterHint : 0
; COMPUTE_PGM_RSRC2:SCRATCH_EN: 0
; COMPUTE_PGM_RSRC2:USER_SGPR: 2
; COMPUTE_PGM_RSRC2:TRAP_HANDLER: 0
; COMPUTE_PGM_RSRC2:TGID_X_EN: 1
; COMPUTE_PGM_RSRC2:TGID_Y_EN: 0
; COMPUTE_PGM_RSRC2:TGID_Z_EN: 0
; COMPUTE_PGM_RSRC2:TIDIG_COMP_CNT: 0
	.section	.text._ZN7rocprim17ROCPRIM_400000_NS6detail17trampoline_kernelINS0_14default_configENS1_25partition_config_selectorILNS1_17partition_subalgoE6EfNS0_10empty_typeEbEEZZNS1_14partition_implILS5_6ELb0ES3_mN6thrust23THRUST_200600_302600_NS6detail15normal_iteratorINSA_10device_ptrIfEEEEPS6_SG_NS0_5tupleIJNSA_16discard_iteratorINSA_11use_defaultEEES6_EEENSH_IJSG_SG_EEES6_PlJNSB_9not_fun_tI7is_trueIfEEEEEE10hipError_tPvRmT3_T4_T5_T6_T7_T9_mT8_P12ihipStream_tbDpT10_ENKUlT_T0_E_clISt17integral_constantIbLb0EES1A_IbLb1EEEEDaS16_S17_EUlS16_E_NS1_11comp_targetILNS1_3genE3ELNS1_11target_archE908ELNS1_3gpuE7ELNS1_3repE0EEENS1_30default_config_static_selectorELNS0_4arch9wavefront6targetE0EEEvT1_,"axG",@progbits,_ZN7rocprim17ROCPRIM_400000_NS6detail17trampoline_kernelINS0_14default_configENS1_25partition_config_selectorILNS1_17partition_subalgoE6EfNS0_10empty_typeEbEEZZNS1_14partition_implILS5_6ELb0ES3_mN6thrust23THRUST_200600_302600_NS6detail15normal_iteratorINSA_10device_ptrIfEEEEPS6_SG_NS0_5tupleIJNSA_16discard_iteratorINSA_11use_defaultEEES6_EEENSH_IJSG_SG_EEES6_PlJNSB_9not_fun_tI7is_trueIfEEEEEE10hipError_tPvRmT3_T4_T5_T6_T7_T9_mT8_P12ihipStream_tbDpT10_ENKUlT_T0_E_clISt17integral_constantIbLb0EES1A_IbLb1EEEEDaS16_S17_EUlS16_E_NS1_11comp_targetILNS1_3genE3ELNS1_11target_archE908ELNS1_3gpuE7ELNS1_3repE0EEENS1_30default_config_static_selectorELNS0_4arch9wavefront6targetE0EEEvT1_,comdat
	.protected	_ZN7rocprim17ROCPRIM_400000_NS6detail17trampoline_kernelINS0_14default_configENS1_25partition_config_selectorILNS1_17partition_subalgoE6EfNS0_10empty_typeEbEEZZNS1_14partition_implILS5_6ELb0ES3_mN6thrust23THRUST_200600_302600_NS6detail15normal_iteratorINSA_10device_ptrIfEEEEPS6_SG_NS0_5tupleIJNSA_16discard_iteratorINSA_11use_defaultEEES6_EEENSH_IJSG_SG_EEES6_PlJNSB_9not_fun_tI7is_trueIfEEEEEE10hipError_tPvRmT3_T4_T5_T6_T7_T9_mT8_P12ihipStream_tbDpT10_ENKUlT_T0_E_clISt17integral_constantIbLb0EES1A_IbLb1EEEEDaS16_S17_EUlS16_E_NS1_11comp_targetILNS1_3genE3ELNS1_11target_archE908ELNS1_3gpuE7ELNS1_3repE0EEENS1_30default_config_static_selectorELNS0_4arch9wavefront6targetE0EEEvT1_ ; -- Begin function _ZN7rocprim17ROCPRIM_400000_NS6detail17trampoline_kernelINS0_14default_configENS1_25partition_config_selectorILNS1_17partition_subalgoE6EfNS0_10empty_typeEbEEZZNS1_14partition_implILS5_6ELb0ES3_mN6thrust23THRUST_200600_302600_NS6detail15normal_iteratorINSA_10device_ptrIfEEEEPS6_SG_NS0_5tupleIJNSA_16discard_iteratorINSA_11use_defaultEEES6_EEENSH_IJSG_SG_EEES6_PlJNSB_9not_fun_tI7is_trueIfEEEEEE10hipError_tPvRmT3_T4_T5_T6_T7_T9_mT8_P12ihipStream_tbDpT10_ENKUlT_T0_E_clISt17integral_constantIbLb0EES1A_IbLb1EEEEDaS16_S17_EUlS16_E_NS1_11comp_targetILNS1_3genE3ELNS1_11target_archE908ELNS1_3gpuE7ELNS1_3repE0EEENS1_30default_config_static_selectorELNS0_4arch9wavefront6targetE0EEEvT1_
	.globl	_ZN7rocprim17ROCPRIM_400000_NS6detail17trampoline_kernelINS0_14default_configENS1_25partition_config_selectorILNS1_17partition_subalgoE6EfNS0_10empty_typeEbEEZZNS1_14partition_implILS5_6ELb0ES3_mN6thrust23THRUST_200600_302600_NS6detail15normal_iteratorINSA_10device_ptrIfEEEEPS6_SG_NS0_5tupleIJNSA_16discard_iteratorINSA_11use_defaultEEES6_EEENSH_IJSG_SG_EEES6_PlJNSB_9not_fun_tI7is_trueIfEEEEEE10hipError_tPvRmT3_T4_T5_T6_T7_T9_mT8_P12ihipStream_tbDpT10_ENKUlT_T0_E_clISt17integral_constantIbLb0EES1A_IbLb1EEEEDaS16_S17_EUlS16_E_NS1_11comp_targetILNS1_3genE3ELNS1_11target_archE908ELNS1_3gpuE7ELNS1_3repE0EEENS1_30default_config_static_selectorELNS0_4arch9wavefront6targetE0EEEvT1_
	.p2align	8
	.type	_ZN7rocprim17ROCPRIM_400000_NS6detail17trampoline_kernelINS0_14default_configENS1_25partition_config_selectorILNS1_17partition_subalgoE6EfNS0_10empty_typeEbEEZZNS1_14partition_implILS5_6ELb0ES3_mN6thrust23THRUST_200600_302600_NS6detail15normal_iteratorINSA_10device_ptrIfEEEEPS6_SG_NS0_5tupleIJNSA_16discard_iteratorINSA_11use_defaultEEES6_EEENSH_IJSG_SG_EEES6_PlJNSB_9not_fun_tI7is_trueIfEEEEEE10hipError_tPvRmT3_T4_T5_T6_T7_T9_mT8_P12ihipStream_tbDpT10_ENKUlT_T0_E_clISt17integral_constantIbLb0EES1A_IbLb1EEEEDaS16_S17_EUlS16_E_NS1_11comp_targetILNS1_3genE3ELNS1_11target_archE908ELNS1_3gpuE7ELNS1_3repE0EEENS1_30default_config_static_selectorELNS0_4arch9wavefront6targetE0EEEvT1_,@function
_ZN7rocprim17ROCPRIM_400000_NS6detail17trampoline_kernelINS0_14default_configENS1_25partition_config_selectorILNS1_17partition_subalgoE6EfNS0_10empty_typeEbEEZZNS1_14partition_implILS5_6ELb0ES3_mN6thrust23THRUST_200600_302600_NS6detail15normal_iteratorINSA_10device_ptrIfEEEEPS6_SG_NS0_5tupleIJNSA_16discard_iteratorINSA_11use_defaultEEES6_EEENSH_IJSG_SG_EEES6_PlJNSB_9not_fun_tI7is_trueIfEEEEEE10hipError_tPvRmT3_T4_T5_T6_T7_T9_mT8_P12ihipStream_tbDpT10_ENKUlT_T0_E_clISt17integral_constantIbLb0EES1A_IbLb1EEEEDaS16_S17_EUlS16_E_NS1_11comp_targetILNS1_3genE3ELNS1_11target_archE908ELNS1_3gpuE7ELNS1_3repE0EEENS1_30default_config_static_selectorELNS0_4arch9wavefront6targetE0EEEvT1_: ; @_ZN7rocprim17ROCPRIM_400000_NS6detail17trampoline_kernelINS0_14default_configENS1_25partition_config_selectorILNS1_17partition_subalgoE6EfNS0_10empty_typeEbEEZZNS1_14partition_implILS5_6ELb0ES3_mN6thrust23THRUST_200600_302600_NS6detail15normal_iteratorINSA_10device_ptrIfEEEEPS6_SG_NS0_5tupleIJNSA_16discard_iteratorINSA_11use_defaultEEES6_EEENSH_IJSG_SG_EEES6_PlJNSB_9not_fun_tI7is_trueIfEEEEEE10hipError_tPvRmT3_T4_T5_T6_T7_T9_mT8_P12ihipStream_tbDpT10_ENKUlT_T0_E_clISt17integral_constantIbLb0EES1A_IbLb1EEEEDaS16_S17_EUlS16_E_NS1_11comp_targetILNS1_3genE3ELNS1_11target_archE908ELNS1_3gpuE7ELNS1_3repE0EEENS1_30default_config_static_selectorELNS0_4arch9wavefront6targetE0EEEvT1_
; %bb.0:
	.section	.rodata,"a",@progbits
	.p2align	6, 0x0
	.amdhsa_kernel _ZN7rocprim17ROCPRIM_400000_NS6detail17trampoline_kernelINS0_14default_configENS1_25partition_config_selectorILNS1_17partition_subalgoE6EfNS0_10empty_typeEbEEZZNS1_14partition_implILS5_6ELb0ES3_mN6thrust23THRUST_200600_302600_NS6detail15normal_iteratorINSA_10device_ptrIfEEEEPS6_SG_NS0_5tupleIJNSA_16discard_iteratorINSA_11use_defaultEEES6_EEENSH_IJSG_SG_EEES6_PlJNSB_9not_fun_tI7is_trueIfEEEEEE10hipError_tPvRmT3_T4_T5_T6_T7_T9_mT8_P12ihipStream_tbDpT10_ENKUlT_T0_E_clISt17integral_constantIbLb0EES1A_IbLb1EEEEDaS16_S17_EUlS16_E_NS1_11comp_targetILNS1_3genE3ELNS1_11target_archE908ELNS1_3gpuE7ELNS1_3repE0EEENS1_30default_config_static_selectorELNS0_4arch9wavefront6targetE0EEEvT1_
		.amdhsa_group_segment_fixed_size 0
		.amdhsa_private_segment_fixed_size 0
		.amdhsa_kernarg_size 136
		.amdhsa_user_sgpr_count 2
		.amdhsa_user_sgpr_dispatch_ptr 0
		.amdhsa_user_sgpr_queue_ptr 0
		.amdhsa_user_sgpr_kernarg_segment_ptr 1
		.amdhsa_user_sgpr_dispatch_id 0
		.amdhsa_user_sgpr_private_segment_size 0
		.amdhsa_wavefront_size32 1
		.amdhsa_uses_dynamic_stack 0
		.amdhsa_enable_private_segment 0
		.amdhsa_system_sgpr_workgroup_id_x 1
		.amdhsa_system_sgpr_workgroup_id_y 0
		.amdhsa_system_sgpr_workgroup_id_z 0
		.amdhsa_system_sgpr_workgroup_info 0
		.amdhsa_system_vgpr_workitem_id 0
		.amdhsa_next_free_vgpr 1
		.amdhsa_next_free_sgpr 1
		.amdhsa_reserve_vcc 0
		.amdhsa_float_round_mode_32 0
		.amdhsa_float_round_mode_16_64 0
		.amdhsa_float_denorm_mode_32 3
		.amdhsa_float_denorm_mode_16_64 3
		.amdhsa_fp16_overflow 0
		.amdhsa_workgroup_processor_mode 1
		.amdhsa_memory_ordered 1
		.amdhsa_forward_progress 1
		.amdhsa_inst_pref_size 0
		.amdhsa_round_robin_scheduling 0
		.amdhsa_exception_fp_ieee_invalid_op 0
		.amdhsa_exception_fp_denorm_src 0
		.amdhsa_exception_fp_ieee_div_zero 0
		.amdhsa_exception_fp_ieee_overflow 0
		.amdhsa_exception_fp_ieee_underflow 0
		.amdhsa_exception_fp_ieee_inexact 0
		.amdhsa_exception_int_div_zero 0
	.end_amdhsa_kernel
	.section	.text._ZN7rocprim17ROCPRIM_400000_NS6detail17trampoline_kernelINS0_14default_configENS1_25partition_config_selectorILNS1_17partition_subalgoE6EfNS0_10empty_typeEbEEZZNS1_14partition_implILS5_6ELb0ES3_mN6thrust23THRUST_200600_302600_NS6detail15normal_iteratorINSA_10device_ptrIfEEEEPS6_SG_NS0_5tupleIJNSA_16discard_iteratorINSA_11use_defaultEEES6_EEENSH_IJSG_SG_EEES6_PlJNSB_9not_fun_tI7is_trueIfEEEEEE10hipError_tPvRmT3_T4_T5_T6_T7_T9_mT8_P12ihipStream_tbDpT10_ENKUlT_T0_E_clISt17integral_constantIbLb0EES1A_IbLb1EEEEDaS16_S17_EUlS16_E_NS1_11comp_targetILNS1_3genE3ELNS1_11target_archE908ELNS1_3gpuE7ELNS1_3repE0EEENS1_30default_config_static_selectorELNS0_4arch9wavefront6targetE0EEEvT1_,"axG",@progbits,_ZN7rocprim17ROCPRIM_400000_NS6detail17trampoline_kernelINS0_14default_configENS1_25partition_config_selectorILNS1_17partition_subalgoE6EfNS0_10empty_typeEbEEZZNS1_14partition_implILS5_6ELb0ES3_mN6thrust23THRUST_200600_302600_NS6detail15normal_iteratorINSA_10device_ptrIfEEEEPS6_SG_NS0_5tupleIJNSA_16discard_iteratorINSA_11use_defaultEEES6_EEENSH_IJSG_SG_EEES6_PlJNSB_9not_fun_tI7is_trueIfEEEEEE10hipError_tPvRmT3_T4_T5_T6_T7_T9_mT8_P12ihipStream_tbDpT10_ENKUlT_T0_E_clISt17integral_constantIbLb0EES1A_IbLb1EEEEDaS16_S17_EUlS16_E_NS1_11comp_targetILNS1_3genE3ELNS1_11target_archE908ELNS1_3gpuE7ELNS1_3repE0EEENS1_30default_config_static_selectorELNS0_4arch9wavefront6targetE0EEEvT1_,comdat
.Lfunc_end2136:
	.size	_ZN7rocprim17ROCPRIM_400000_NS6detail17trampoline_kernelINS0_14default_configENS1_25partition_config_selectorILNS1_17partition_subalgoE6EfNS0_10empty_typeEbEEZZNS1_14partition_implILS5_6ELb0ES3_mN6thrust23THRUST_200600_302600_NS6detail15normal_iteratorINSA_10device_ptrIfEEEEPS6_SG_NS0_5tupleIJNSA_16discard_iteratorINSA_11use_defaultEEES6_EEENSH_IJSG_SG_EEES6_PlJNSB_9not_fun_tI7is_trueIfEEEEEE10hipError_tPvRmT3_T4_T5_T6_T7_T9_mT8_P12ihipStream_tbDpT10_ENKUlT_T0_E_clISt17integral_constantIbLb0EES1A_IbLb1EEEEDaS16_S17_EUlS16_E_NS1_11comp_targetILNS1_3genE3ELNS1_11target_archE908ELNS1_3gpuE7ELNS1_3repE0EEENS1_30default_config_static_selectorELNS0_4arch9wavefront6targetE0EEEvT1_, .Lfunc_end2136-_ZN7rocprim17ROCPRIM_400000_NS6detail17trampoline_kernelINS0_14default_configENS1_25partition_config_selectorILNS1_17partition_subalgoE6EfNS0_10empty_typeEbEEZZNS1_14partition_implILS5_6ELb0ES3_mN6thrust23THRUST_200600_302600_NS6detail15normal_iteratorINSA_10device_ptrIfEEEEPS6_SG_NS0_5tupleIJNSA_16discard_iteratorINSA_11use_defaultEEES6_EEENSH_IJSG_SG_EEES6_PlJNSB_9not_fun_tI7is_trueIfEEEEEE10hipError_tPvRmT3_T4_T5_T6_T7_T9_mT8_P12ihipStream_tbDpT10_ENKUlT_T0_E_clISt17integral_constantIbLb0EES1A_IbLb1EEEEDaS16_S17_EUlS16_E_NS1_11comp_targetILNS1_3genE3ELNS1_11target_archE908ELNS1_3gpuE7ELNS1_3repE0EEENS1_30default_config_static_selectorELNS0_4arch9wavefront6targetE0EEEvT1_
                                        ; -- End function
	.set _ZN7rocprim17ROCPRIM_400000_NS6detail17trampoline_kernelINS0_14default_configENS1_25partition_config_selectorILNS1_17partition_subalgoE6EfNS0_10empty_typeEbEEZZNS1_14partition_implILS5_6ELb0ES3_mN6thrust23THRUST_200600_302600_NS6detail15normal_iteratorINSA_10device_ptrIfEEEEPS6_SG_NS0_5tupleIJNSA_16discard_iteratorINSA_11use_defaultEEES6_EEENSH_IJSG_SG_EEES6_PlJNSB_9not_fun_tI7is_trueIfEEEEEE10hipError_tPvRmT3_T4_T5_T6_T7_T9_mT8_P12ihipStream_tbDpT10_ENKUlT_T0_E_clISt17integral_constantIbLb0EES1A_IbLb1EEEEDaS16_S17_EUlS16_E_NS1_11comp_targetILNS1_3genE3ELNS1_11target_archE908ELNS1_3gpuE7ELNS1_3repE0EEENS1_30default_config_static_selectorELNS0_4arch9wavefront6targetE0EEEvT1_.num_vgpr, 0
	.set _ZN7rocprim17ROCPRIM_400000_NS6detail17trampoline_kernelINS0_14default_configENS1_25partition_config_selectorILNS1_17partition_subalgoE6EfNS0_10empty_typeEbEEZZNS1_14partition_implILS5_6ELb0ES3_mN6thrust23THRUST_200600_302600_NS6detail15normal_iteratorINSA_10device_ptrIfEEEEPS6_SG_NS0_5tupleIJNSA_16discard_iteratorINSA_11use_defaultEEES6_EEENSH_IJSG_SG_EEES6_PlJNSB_9not_fun_tI7is_trueIfEEEEEE10hipError_tPvRmT3_T4_T5_T6_T7_T9_mT8_P12ihipStream_tbDpT10_ENKUlT_T0_E_clISt17integral_constantIbLb0EES1A_IbLb1EEEEDaS16_S17_EUlS16_E_NS1_11comp_targetILNS1_3genE3ELNS1_11target_archE908ELNS1_3gpuE7ELNS1_3repE0EEENS1_30default_config_static_selectorELNS0_4arch9wavefront6targetE0EEEvT1_.num_agpr, 0
	.set _ZN7rocprim17ROCPRIM_400000_NS6detail17trampoline_kernelINS0_14default_configENS1_25partition_config_selectorILNS1_17partition_subalgoE6EfNS0_10empty_typeEbEEZZNS1_14partition_implILS5_6ELb0ES3_mN6thrust23THRUST_200600_302600_NS6detail15normal_iteratorINSA_10device_ptrIfEEEEPS6_SG_NS0_5tupleIJNSA_16discard_iteratorINSA_11use_defaultEEES6_EEENSH_IJSG_SG_EEES6_PlJNSB_9not_fun_tI7is_trueIfEEEEEE10hipError_tPvRmT3_T4_T5_T6_T7_T9_mT8_P12ihipStream_tbDpT10_ENKUlT_T0_E_clISt17integral_constantIbLb0EES1A_IbLb1EEEEDaS16_S17_EUlS16_E_NS1_11comp_targetILNS1_3genE3ELNS1_11target_archE908ELNS1_3gpuE7ELNS1_3repE0EEENS1_30default_config_static_selectorELNS0_4arch9wavefront6targetE0EEEvT1_.numbered_sgpr, 0
	.set _ZN7rocprim17ROCPRIM_400000_NS6detail17trampoline_kernelINS0_14default_configENS1_25partition_config_selectorILNS1_17partition_subalgoE6EfNS0_10empty_typeEbEEZZNS1_14partition_implILS5_6ELb0ES3_mN6thrust23THRUST_200600_302600_NS6detail15normal_iteratorINSA_10device_ptrIfEEEEPS6_SG_NS0_5tupleIJNSA_16discard_iteratorINSA_11use_defaultEEES6_EEENSH_IJSG_SG_EEES6_PlJNSB_9not_fun_tI7is_trueIfEEEEEE10hipError_tPvRmT3_T4_T5_T6_T7_T9_mT8_P12ihipStream_tbDpT10_ENKUlT_T0_E_clISt17integral_constantIbLb0EES1A_IbLb1EEEEDaS16_S17_EUlS16_E_NS1_11comp_targetILNS1_3genE3ELNS1_11target_archE908ELNS1_3gpuE7ELNS1_3repE0EEENS1_30default_config_static_selectorELNS0_4arch9wavefront6targetE0EEEvT1_.num_named_barrier, 0
	.set _ZN7rocprim17ROCPRIM_400000_NS6detail17trampoline_kernelINS0_14default_configENS1_25partition_config_selectorILNS1_17partition_subalgoE6EfNS0_10empty_typeEbEEZZNS1_14partition_implILS5_6ELb0ES3_mN6thrust23THRUST_200600_302600_NS6detail15normal_iteratorINSA_10device_ptrIfEEEEPS6_SG_NS0_5tupleIJNSA_16discard_iteratorINSA_11use_defaultEEES6_EEENSH_IJSG_SG_EEES6_PlJNSB_9not_fun_tI7is_trueIfEEEEEE10hipError_tPvRmT3_T4_T5_T6_T7_T9_mT8_P12ihipStream_tbDpT10_ENKUlT_T0_E_clISt17integral_constantIbLb0EES1A_IbLb1EEEEDaS16_S17_EUlS16_E_NS1_11comp_targetILNS1_3genE3ELNS1_11target_archE908ELNS1_3gpuE7ELNS1_3repE0EEENS1_30default_config_static_selectorELNS0_4arch9wavefront6targetE0EEEvT1_.private_seg_size, 0
	.set _ZN7rocprim17ROCPRIM_400000_NS6detail17trampoline_kernelINS0_14default_configENS1_25partition_config_selectorILNS1_17partition_subalgoE6EfNS0_10empty_typeEbEEZZNS1_14partition_implILS5_6ELb0ES3_mN6thrust23THRUST_200600_302600_NS6detail15normal_iteratorINSA_10device_ptrIfEEEEPS6_SG_NS0_5tupleIJNSA_16discard_iteratorINSA_11use_defaultEEES6_EEENSH_IJSG_SG_EEES6_PlJNSB_9not_fun_tI7is_trueIfEEEEEE10hipError_tPvRmT3_T4_T5_T6_T7_T9_mT8_P12ihipStream_tbDpT10_ENKUlT_T0_E_clISt17integral_constantIbLb0EES1A_IbLb1EEEEDaS16_S17_EUlS16_E_NS1_11comp_targetILNS1_3genE3ELNS1_11target_archE908ELNS1_3gpuE7ELNS1_3repE0EEENS1_30default_config_static_selectorELNS0_4arch9wavefront6targetE0EEEvT1_.uses_vcc, 0
	.set _ZN7rocprim17ROCPRIM_400000_NS6detail17trampoline_kernelINS0_14default_configENS1_25partition_config_selectorILNS1_17partition_subalgoE6EfNS0_10empty_typeEbEEZZNS1_14partition_implILS5_6ELb0ES3_mN6thrust23THRUST_200600_302600_NS6detail15normal_iteratorINSA_10device_ptrIfEEEEPS6_SG_NS0_5tupleIJNSA_16discard_iteratorINSA_11use_defaultEEES6_EEENSH_IJSG_SG_EEES6_PlJNSB_9not_fun_tI7is_trueIfEEEEEE10hipError_tPvRmT3_T4_T5_T6_T7_T9_mT8_P12ihipStream_tbDpT10_ENKUlT_T0_E_clISt17integral_constantIbLb0EES1A_IbLb1EEEEDaS16_S17_EUlS16_E_NS1_11comp_targetILNS1_3genE3ELNS1_11target_archE908ELNS1_3gpuE7ELNS1_3repE0EEENS1_30default_config_static_selectorELNS0_4arch9wavefront6targetE0EEEvT1_.uses_flat_scratch, 0
	.set _ZN7rocprim17ROCPRIM_400000_NS6detail17trampoline_kernelINS0_14default_configENS1_25partition_config_selectorILNS1_17partition_subalgoE6EfNS0_10empty_typeEbEEZZNS1_14partition_implILS5_6ELb0ES3_mN6thrust23THRUST_200600_302600_NS6detail15normal_iteratorINSA_10device_ptrIfEEEEPS6_SG_NS0_5tupleIJNSA_16discard_iteratorINSA_11use_defaultEEES6_EEENSH_IJSG_SG_EEES6_PlJNSB_9not_fun_tI7is_trueIfEEEEEE10hipError_tPvRmT3_T4_T5_T6_T7_T9_mT8_P12ihipStream_tbDpT10_ENKUlT_T0_E_clISt17integral_constantIbLb0EES1A_IbLb1EEEEDaS16_S17_EUlS16_E_NS1_11comp_targetILNS1_3genE3ELNS1_11target_archE908ELNS1_3gpuE7ELNS1_3repE0EEENS1_30default_config_static_selectorELNS0_4arch9wavefront6targetE0EEEvT1_.has_dyn_sized_stack, 0
	.set _ZN7rocprim17ROCPRIM_400000_NS6detail17trampoline_kernelINS0_14default_configENS1_25partition_config_selectorILNS1_17partition_subalgoE6EfNS0_10empty_typeEbEEZZNS1_14partition_implILS5_6ELb0ES3_mN6thrust23THRUST_200600_302600_NS6detail15normal_iteratorINSA_10device_ptrIfEEEEPS6_SG_NS0_5tupleIJNSA_16discard_iteratorINSA_11use_defaultEEES6_EEENSH_IJSG_SG_EEES6_PlJNSB_9not_fun_tI7is_trueIfEEEEEE10hipError_tPvRmT3_T4_T5_T6_T7_T9_mT8_P12ihipStream_tbDpT10_ENKUlT_T0_E_clISt17integral_constantIbLb0EES1A_IbLb1EEEEDaS16_S17_EUlS16_E_NS1_11comp_targetILNS1_3genE3ELNS1_11target_archE908ELNS1_3gpuE7ELNS1_3repE0EEENS1_30default_config_static_selectorELNS0_4arch9wavefront6targetE0EEEvT1_.has_recursion, 0
	.set _ZN7rocprim17ROCPRIM_400000_NS6detail17trampoline_kernelINS0_14default_configENS1_25partition_config_selectorILNS1_17partition_subalgoE6EfNS0_10empty_typeEbEEZZNS1_14partition_implILS5_6ELb0ES3_mN6thrust23THRUST_200600_302600_NS6detail15normal_iteratorINSA_10device_ptrIfEEEEPS6_SG_NS0_5tupleIJNSA_16discard_iteratorINSA_11use_defaultEEES6_EEENSH_IJSG_SG_EEES6_PlJNSB_9not_fun_tI7is_trueIfEEEEEE10hipError_tPvRmT3_T4_T5_T6_T7_T9_mT8_P12ihipStream_tbDpT10_ENKUlT_T0_E_clISt17integral_constantIbLb0EES1A_IbLb1EEEEDaS16_S17_EUlS16_E_NS1_11comp_targetILNS1_3genE3ELNS1_11target_archE908ELNS1_3gpuE7ELNS1_3repE0EEENS1_30default_config_static_selectorELNS0_4arch9wavefront6targetE0EEEvT1_.has_indirect_call, 0
	.section	.AMDGPU.csdata,"",@progbits
; Kernel info:
; codeLenInByte = 0
; TotalNumSgprs: 0
; NumVgprs: 0
; ScratchSize: 0
; MemoryBound: 0
; FloatMode: 240
; IeeeMode: 1
; LDSByteSize: 0 bytes/workgroup (compile time only)
; SGPRBlocks: 0
; VGPRBlocks: 0
; NumSGPRsForWavesPerEU: 1
; NumVGPRsForWavesPerEU: 1
; Occupancy: 16
; WaveLimiterHint : 0
; COMPUTE_PGM_RSRC2:SCRATCH_EN: 0
; COMPUTE_PGM_RSRC2:USER_SGPR: 2
; COMPUTE_PGM_RSRC2:TRAP_HANDLER: 0
; COMPUTE_PGM_RSRC2:TGID_X_EN: 1
; COMPUTE_PGM_RSRC2:TGID_Y_EN: 0
; COMPUTE_PGM_RSRC2:TGID_Z_EN: 0
; COMPUTE_PGM_RSRC2:TIDIG_COMP_CNT: 0
	.section	.text._ZN7rocprim17ROCPRIM_400000_NS6detail17trampoline_kernelINS0_14default_configENS1_25partition_config_selectorILNS1_17partition_subalgoE6EfNS0_10empty_typeEbEEZZNS1_14partition_implILS5_6ELb0ES3_mN6thrust23THRUST_200600_302600_NS6detail15normal_iteratorINSA_10device_ptrIfEEEEPS6_SG_NS0_5tupleIJNSA_16discard_iteratorINSA_11use_defaultEEES6_EEENSH_IJSG_SG_EEES6_PlJNSB_9not_fun_tI7is_trueIfEEEEEE10hipError_tPvRmT3_T4_T5_T6_T7_T9_mT8_P12ihipStream_tbDpT10_ENKUlT_T0_E_clISt17integral_constantIbLb0EES1A_IbLb1EEEEDaS16_S17_EUlS16_E_NS1_11comp_targetILNS1_3genE2ELNS1_11target_archE906ELNS1_3gpuE6ELNS1_3repE0EEENS1_30default_config_static_selectorELNS0_4arch9wavefront6targetE0EEEvT1_,"axG",@progbits,_ZN7rocprim17ROCPRIM_400000_NS6detail17trampoline_kernelINS0_14default_configENS1_25partition_config_selectorILNS1_17partition_subalgoE6EfNS0_10empty_typeEbEEZZNS1_14partition_implILS5_6ELb0ES3_mN6thrust23THRUST_200600_302600_NS6detail15normal_iteratorINSA_10device_ptrIfEEEEPS6_SG_NS0_5tupleIJNSA_16discard_iteratorINSA_11use_defaultEEES6_EEENSH_IJSG_SG_EEES6_PlJNSB_9not_fun_tI7is_trueIfEEEEEE10hipError_tPvRmT3_T4_T5_T6_T7_T9_mT8_P12ihipStream_tbDpT10_ENKUlT_T0_E_clISt17integral_constantIbLb0EES1A_IbLb1EEEEDaS16_S17_EUlS16_E_NS1_11comp_targetILNS1_3genE2ELNS1_11target_archE906ELNS1_3gpuE6ELNS1_3repE0EEENS1_30default_config_static_selectorELNS0_4arch9wavefront6targetE0EEEvT1_,comdat
	.protected	_ZN7rocprim17ROCPRIM_400000_NS6detail17trampoline_kernelINS0_14default_configENS1_25partition_config_selectorILNS1_17partition_subalgoE6EfNS0_10empty_typeEbEEZZNS1_14partition_implILS5_6ELb0ES3_mN6thrust23THRUST_200600_302600_NS6detail15normal_iteratorINSA_10device_ptrIfEEEEPS6_SG_NS0_5tupleIJNSA_16discard_iteratorINSA_11use_defaultEEES6_EEENSH_IJSG_SG_EEES6_PlJNSB_9not_fun_tI7is_trueIfEEEEEE10hipError_tPvRmT3_T4_T5_T6_T7_T9_mT8_P12ihipStream_tbDpT10_ENKUlT_T0_E_clISt17integral_constantIbLb0EES1A_IbLb1EEEEDaS16_S17_EUlS16_E_NS1_11comp_targetILNS1_3genE2ELNS1_11target_archE906ELNS1_3gpuE6ELNS1_3repE0EEENS1_30default_config_static_selectorELNS0_4arch9wavefront6targetE0EEEvT1_ ; -- Begin function _ZN7rocprim17ROCPRIM_400000_NS6detail17trampoline_kernelINS0_14default_configENS1_25partition_config_selectorILNS1_17partition_subalgoE6EfNS0_10empty_typeEbEEZZNS1_14partition_implILS5_6ELb0ES3_mN6thrust23THRUST_200600_302600_NS6detail15normal_iteratorINSA_10device_ptrIfEEEEPS6_SG_NS0_5tupleIJNSA_16discard_iteratorINSA_11use_defaultEEES6_EEENSH_IJSG_SG_EEES6_PlJNSB_9not_fun_tI7is_trueIfEEEEEE10hipError_tPvRmT3_T4_T5_T6_T7_T9_mT8_P12ihipStream_tbDpT10_ENKUlT_T0_E_clISt17integral_constantIbLb0EES1A_IbLb1EEEEDaS16_S17_EUlS16_E_NS1_11comp_targetILNS1_3genE2ELNS1_11target_archE906ELNS1_3gpuE6ELNS1_3repE0EEENS1_30default_config_static_selectorELNS0_4arch9wavefront6targetE0EEEvT1_
	.globl	_ZN7rocprim17ROCPRIM_400000_NS6detail17trampoline_kernelINS0_14default_configENS1_25partition_config_selectorILNS1_17partition_subalgoE6EfNS0_10empty_typeEbEEZZNS1_14partition_implILS5_6ELb0ES3_mN6thrust23THRUST_200600_302600_NS6detail15normal_iteratorINSA_10device_ptrIfEEEEPS6_SG_NS0_5tupleIJNSA_16discard_iteratorINSA_11use_defaultEEES6_EEENSH_IJSG_SG_EEES6_PlJNSB_9not_fun_tI7is_trueIfEEEEEE10hipError_tPvRmT3_T4_T5_T6_T7_T9_mT8_P12ihipStream_tbDpT10_ENKUlT_T0_E_clISt17integral_constantIbLb0EES1A_IbLb1EEEEDaS16_S17_EUlS16_E_NS1_11comp_targetILNS1_3genE2ELNS1_11target_archE906ELNS1_3gpuE6ELNS1_3repE0EEENS1_30default_config_static_selectorELNS0_4arch9wavefront6targetE0EEEvT1_
	.p2align	8
	.type	_ZN7rocprim17ROCPRIM_400000_NS6detail17trampoline_kernelINS0_14default_configENS1_25partition_config_selectorILNS1_17partition_subalgoE6EfNS0_10empty_typeEbEEZZNS1_14partition_implILS5_6ELb0ES3_mN6thrust23THRUST_200600_302600_NS6detail15normal_iteratorINSA_10device_ptrIfEEEEPS6_SG_NS0_5tupleIJNSA_16discard_iteratorINSA_11use_defaultEEES6_EEENSH_IJSG_SG_EEES6_PlJNSB_9not_fun_tI7is_trueIfEEEEEE10hipError_tPvRmT3_T4_T5_T6_T7_T9_mT8_P12ihipStream_tbDpT10_ENKUlT_T0_E_clISt17integral_constantIbLb0EES1A_IbLb1EEEEDaS16_S17_EUlS16_E_NS1_11comp_targetILNS1_3genE2ELNS1_11target_archE906ELNS1_3gpuE6ELNS1_3repE0EEENS1_30default_config_static_selectorELNS0_4arch9wavefront6targetE0EEEvT1_,@function
_ZN7rocprim17ROCPRIM_400000_NS6detail17trampoline_kernelINS0_14default_configENS1_25partition_config_selectorILNS1_17partition_subalgoE6EfNS0_10empty_typeEbEEZZNS1_14partition_implILS5_6ELb0ES3_mN6thrust23THRUST_200600_302600_NS6detail15normal_iteratorINSA_10device_ptrIfEEEEPS6_SG_NS0_5tupleIJNSA_16discard_iteratorINSA_11use_defaultEEES6_EEENSH_IJSG_SG_EEES6_PlJNSB_9not_fun_tI7is_trueIfEEEEEE10hipError_tPvRmT3_T4_T5_T6_T7_T9_mT8_P12ihipStream_tbDpT10_ENKUlT_T0_E_clISt17integral_constantIbLb0EES1A_IbLb1EEEEDaS16_S17_EUlS16_E_NS1_11comp_targetILNS1_3genE2ELNS1_11target_archE906ELNS1_3gpuE6ELNS1_3repE0EEENS1_30default_config_static_selectorELNS0_4arch9wavefront6targetE0EEEvT1_: ; @_ZN7rocprim17ROCPRIM_400000_NS6detail17trampoline_kernelINS0_14default_configENS1_25partition_config_selectorILNS1_17partition_subalgoE6EfNS0_10empty_typeEbEEZZNS1_14partition_implILS5_6ELb0ES3_mN6thrust23THRUST_200600_302600_NS6detail15normal_iteratorINSA_10device_ptrIfEEEEPS6_SG_NS0_5tupleIJNSA_16discard_iteratorINSA_11use_defaultEEES6_EEENSH_IJSG_SG_EEES6_PlJNSB_9not_fun_tI7is_trueIfEEEEEE10hipError_tPvRmT3_T4_T5_T6_T7_T9_mT8_P12ihipStream_tbDpT10_ENKUlT_T0_E_clISt17integral_constantIbLb0EES1A_IbLb1EEEEDaS16_S17_EUlS16_E_NS1_11comp_targetILNS1_3genE2ELNS1_11target_archE906ELNS1_3gpuE6ELNS1_3repE0EEENS1_30default_config_static_selectorELNS0_4arch9wavefront6targetE0EEEvT1_
; %bb.0:
	.section	.rodata,"a",@progbits
	.p2align	6, 0x0
	.amdhsa_kernel _ZN7rocprim17ROCPRIM_400000_NS6detail17trampoline_kernelINS0_14default_configENS1_25partition_config_selectorILNS1_17partition_subalgoE6EfNS0_10empty_typeEbEEZZNS1_14partition_implILS5_6ELb0ES3_mN6thrust23THRUST_200600_302600_NS6detail15normal_iteratorINSA_10device_ptrIfEEEEPS6_SG_NS0_5tupleIJNSA_16discard_iteratorINSA_11use_defaultEEES6_EEENSH_IJSG_SG_EEES6_PlJNSB_9not_fun_tI7is_trueIfEEEEEE10hipError_tPvRmT3_T4_T5_T6_T7_T9_mT8_P12ihipStream_tbDpT10_ENKUlT_T0_E_clISt17integral_constantIbLb0EES1A_IbLb1EEEEDaS16_S17_EUlS16_E_NS1_11comp_targetILNS1_3genE2ELNS1_11target_archE906ELNS1_3gpuE6ELNS1_3repE0EEENS1_30default_config_static_selectorELNS0_4arch9wavefront6targetE0EEEvT1_
		.amdhsa_group_segment_fixed_size 0
		.amdhsa_private_segment_fixed_size 0
		.amdhsa_kernarg_size 136
		.amdhsa_user_sgpr_count 2
		.amdhsa_user_sgpr_dispatch_ptr 0
		.amdhsa_user_sgpr_queue_ptr 0
		.amdhsa_user_sgpr_kernarg_segment_ptr 1
		.amdhsa_user_sgpr_dispatch_id 0
		.amdhsa_user_sgpr_private_segment_size 0
		.amdhsa_wavefront_size32 1
		.amdhsa_uses_dynamic_stack 0
		.amdhsa_enable_private_segment 0
		.amdhsa_system_sgpr_workgroup_id_x 1
		.amdhsa_system_sgpr_workgroup_id_y 0
		.amdhsa_system_sgpr_workgroup_id_z 0
		.amdhsa_system_sgpr_workgroup_info 0
		.amdhsa_system_vgpr_workitem_id 0
		.amdhsa_next_free_vgpr 1
		.amdhsa_next_free_sgpr 1
		.amdhsa_reserve_vcc 0
		.amdhsa_float_round_mode_32 0
		.amdhsa_float_round_mode_16_64 0
		.amdhsa_float_denorm_mode_32 3
		.amdhsa_float_denorm_mode_16_64 3
		.amdhsa_fp16_overflow 0
		.amdhsa_workgroup_processor_mode 1
		.amdhsa_memory_ordered 1
		.amdhsa_forward_progress 1
		.amdhsa_inst_pref_size 0
		.amdhsa_round_robin_scheduling 0
		.amdhsa_exception_fp_ieee_invalid_op 0
		.amdhsa_exception_fp_denorm_src 0
		.amdhsa_exception_fp_ieee_div_zero 0
		.amdhsa_exception_fp_ieee_overflow 0
		.amdhsa_exception_fp_ieee_underflow 0
		.amdhsa_exception_fp_ieee_inexact 0
		.amdhsa_exception_int_div_zero 0
	.end_amdhsa_kernel
	.section	.text._ZN7rocprim17ROCPRIM_400000_NS6detail17trampoline_kernelINS0_14default_configENS1_25partition_config_selectorILNS1_17partition_subalgoE6EfNS0_10empty_typeEbEEZZNS1_14partition_implILS5_6ELb0ES3_mN6thrust23THRUST_200600_302600_NS6detail15normal_iteratorINSA_10device_ptrIfEEEEPS6_SG_NS0_5tupleIJNSA_16discard_iteratorINSA_11use_defaultEEES6_EEENSH_IJSG_SG_EEES6_PlJNSB_9not_fun_tI7is_trueIfEEEEEE10hipError_tPvRmT3_T4_T5_T6_T7_T9_mT8_P12ihipStream_tbDpT10_ENKUlT_T0_E_clISt17integral_constantIbLb0EES1A_IbLb1EEEEDaS16_S17_EUlS16_E_NS1_11comp_targetILNS1_3genE2ELNS1_11target_archE906ELNS1_3gpuE6ELNS1_3repE0EEENS1_30default_config_static_selectorELNS0_4arch9wavefront6targetE0EEEvT1_,"axG",@progbits,_ZN7rocprim17ROCPRIM_400000_NS6detail17trampoline_kernelINS0_14default_configENS1_25partition_config_selectorILNS1_17partition_subalgoE6EfNS0_10empty_typeEbEEZZNS1_14partition_implILS5_6ELb0ES3_mN6thrust23THRUST_200600_302600_NS6detail15normal_iteratorINSA_10device_ptrIfEEEEPS6_SG_NS0_5tupleIJNSA_16discard_iteratorINSA_11use_defaultEEES6_EEENSH_IJSG_SG_EEES6_PlJNSB_9not_fun_tI7is_trueIfEEEEEE10hipError_tPvRmT3_T4_T5_T6_T7_T9_mT8_P12ihipStream_tbDpT10_ENKUlT_T0_E_clISt17integral_constantIbLb0EES1A_IbLb1EEEEDaS16_S17_EUlS16_E_NS1_11comp_targetILNS1_3genE2ELNS1_11target_archE906ELNS1_3gpuE6ELNS1_3repE0EEENS1_30default_config_static_selectorELNS0_4arch9wavefront6targetE0EEEvT1_,comdat
.Lfunc_end2137:
	.size	_ZN7rocprim17ROCPRIM_400000_NS6detail17trampoline_kernelINS0_14default_configENS1_25partition_config_selectorILNS1_17partition_subalgoE6EfNS0_10empty_typeEbEEZZNS1_14partition_implILS5_6ELb0ES3_mN6thrust23THRUST_200600_302600_NS6detail15normal_iteratorINSA_10device_ptrIfEEEEPS6_SG_NS0_5tupleIJNSA_16discard_iteratorINSA_11use_defaultEEES6_EEENSH_IJSG_SG_EEES6_PlJNSB_9not_fun_tI7is_trueIfEEEEEE10hipError_tPvRmT3_T4_T5_T6_T7_T9_mT8_P12ihipStream_tbDpT10_ENKUlT_T0_E_clISt17integral_constantIbLb0EES1A_IbLb1EEEEDaS16_S17_EUlS16_E_NS1_11comp_targetILNS1_3genE2ELNS1_11target_archE906ELNS1_3gpuE6ELNS1_3repE0EEENS1_30default_config_static_selectorELNS0_4arch9wavefront6targetE0EEEvT1_, .Lfunc_end2137-_ZN7rocprim17ROCPRIM_400000_NS6detail17trampoline_kernelINS0_14default_configENS1_25partition_config_selectorILNS1_17partition_subalgoE6EfNS0_10empty_typeEbEEZZNS1_14partition_implILS5_6ELb0ES3_mN6thrust23THRUST_200600_302600_NS6detail15normal_iteratorINSA_10device_ptrIfEEEEPS6_SG_NS0_5tupleIJNSA_16discard_iteratorINSA_11use_defaultEEES6_EEENSH_IJSG_SG_EEES6_PlJNSB_9not_fun_tI7is_trueIfEEEEEE10hipError_tPvRmT3_T4_T5_T6_T7_T9_mT8_P12ihipStream_tbDpT10_ENKUlT_T0_E_clISt17integral_constantIbLb0EES1A_IbLb1EEEEDaS16_S17_EUlS16_E_NS1_11comp_targetILNS1_3genE2ELNS1_11target_archE906ELNS1_3gpuE6ELNS1_3repE0EEENS1_30default_config_static_selectorELNS0_4arch9wavefront6targetE0EEEvT1_
                                        ; -- End function
	.set _ZN7rocprim17ROCPRIM_400000_NS6detail17trampoline_kernelINS0_14default_configENS1_25partition_config_selectorILNS1_17partition_subalgoE6EfNS0_10empty_typeEbEEZZNS1_14partition_implILS5_6ELb0ES3_mN6thrust23THRUST_200600_302600_NS6detail15normal_iteratorINSA_10device_ptrIfEEEEPS6_SG_NS0_5tupleIJNSA_16discard_iteratorINSA_11use_defaultEEES6_EEENSH_IJSG_SG_EEES6_PlJNSB_9not_fun_tI7is_trueIfEEEEEE10hipError_tPvRmT3_T4_T5_T6_T7_T9_mT8_P12ihipStream_tbDpT10_ENKUlT_T0_E_clISt17integral_constantIbLb0EES1A_IbLb1EEEEDaS16_S17_EUlS16_E_NS1_11comp_targetILNS1_3genE2ELNS1_11target_archE906ELNS1_3gpuE6ELNS1_3repE0EEENS1_30default_config_static_selectorELNS0_4arch9wavefront6targetE0EEEvT1_.num_vgpr, 0
	.set _ZN7rocprim17ROCPRIM_400000_NS6detail17trampoline_kernelINS0_14default_configENS1_25partition_config_selectorILNS1_17partition_subalgoE6EfNS0_10empty_typeEbEEZZNS1_14partition_implILS5_6ELb0ES3_mN6thrust23THRUST_200600_302600_NS6detail15normal_iteratorINSA_10device_ptrIfEEEEPS6_SG_NS0_5tupleIJNSA_16discard_iteratorINSA_11use_defaultEEES6_EEENSH_IJSG_SG_EEES6_PlJNSB_9not_fun_tI7is_trueIfEEEEEE10hipError_tPvRmT3_T4_T5_T6_T7_T9_mT8_P12ihipStream_tbDpT10_ENKUlT_T0_E_clISt17integral_constantIbLb0EES1A_IbLb1EEEEDaS16_S17_EUlS16_E_NS1_11comp_targetILNS1_3genE2ELNS1_11target_archE906ELNS1_3gpuE6ELNS1_3repE0EEENS1_30default_config_static_selectorELNS0_4arch9wavefront6targetE0EEEvT1_.num_agpr, 0
	.set _ZN7rocprim17ROCPRIM_400000_NS6detail17trampoline_kernelINS0_14default_configENS1_25partition_config_selectorILNS1_17partition_subalgoE6EfNS0_10empty_typeEbEEZZNS1_14partition_implILS5_6ELb0ES3_mN6thrust23THRUST_200600_302600_NS6detail15normal_iteratorINSA_10device_ptrIfEEEEPS6_SG_NS0_5tupleIJNSA_16discard_iteratorINSA_11use_defaultEEES6_EEENSH_IJSG_SG_EEES6_PlJNSB_9not_fun_tI7is_trueIfEEEEEE10hipError_tPvRmT3_T4_T5_T6_T7_T9_mT8_P12ihipStream_tbDpT10_ENKUlT_T0_E_clISt17integral_constantIbLb0EES1A_IbLb1EEEEDaS16_S17_EUlS16_E_NS1_11comp_targetILNS1_3genE2ELNS1_11target_archE906ELNS1_3gpuE6ELNS1_3repE0EEENS1_30default_config_static_selectorELNS0_4arch9wavefront6targetE0EEEvT1_.numbered_sgpr, 0
	.set _ZN7rocprim17ROCPRIM_400000_NS6detail17trampoline_kernelINS0_14default_configENS1_25partition_config_selectorILNS1_17partition_subalgoE6EfNS0_10empty_typeEbEEZZNS1_14partition_implILS5_6ELb0ES3_mN6thrust23THRUST_200600_302600_NS6detail15normal_iteratorINSA_10device_ptrIfEEEEPS6_SG_NS0_5tupleIJNSA_16discard_iteratorINSA_11use_defaultEEES6_EEENSH_IJSG_SG_EEES6_PlJNSB_9not_fun_tI7is_trueIfEEEEEE10hipError_tPvRmT3_T4_T5_T6_T7_T9_mT8_P12ihipStream_tbDpT10_ENKUlT_T0_E_clISt17integral_constantIbLb0EES1A_IbLb1EEEEDaS16_S17_EUlS16_E_NS1_11comp_targetILNS1_3genE2ELNS1_11target_archE906ELNS1_3gpuE6ELNS1_3repE0EEENS1_30default_config_static_selectorELNS0_4arch9wavefront6targetE0EEEvT1_.num_named_barrier, 0
	.set _ZN7rocprim17ROCPRIM_400000_NS6detail17trampoline_kernelINS0_14default_configENS1_25partition_config_selectorILNS1_17partition_subalgoE6EfNS0_10empty_typeEbEEZZNS1_14partition_implILS5_6ELb0ES3_mN6thrust23THRUST_200600_302600_NS6detail15normal_iteratorINSA_10device_ptrIfEEEEPS6_SG_NS0_5tupleIJNSA_16discard_iteratorINSA_11use_defaultEEES6_EEENSH_IJSG_SG_EEES6_PlJNSB_9not_fun_tI7is_trueIfEEEEEE10hipError_tPvRmT3_T4_T5_T6_T7_T9_mT8_P12ihipStream_tbDpT10_ENKUlT_T0_E_clISt17integral_constantIbLb0EES1A_IbLb1EEEEDaS16_S17_EUlS16_E_NS1_11comp_targetILNS1_3genE2ELNS1_11target_archE906ELNS1_3gpuE6ELNS1_3repE0EEENS1_30default_config_static_selectorELNS0_4arch9wavefront6targetE0EEEvT1_.private_seg_size, 0
	.set _ZN7rocprim17ROCPRIM_400000_NS6detail17trampoline_kernelINS0_14default_configENS1_25partition_config_selectorILNS1_17partition_subalgoE6EfNS0_10empty_typeEbEEZZNS1_14partition_implILS5_6ELb0ES3_mN6thrust23THRUST_200600_302600_NS6detail15normal_iteratorINSA_10device_ptrIfEEEEPS6_SG_NS0_5tupleIJNSA_16discard_iteratorINSA_11use_defaultEEES6_EEENSH_IJSG_SG_EEES6_PlJNSB_9not_fun_tI7is_trueIfEEEEEE10hipError_tPvRmT3_T4_T5_T6_T7_T9_mT8_P12ihipStream_tbDpT10_ENKUlT_T0_E_clISt17integral_constantIbLb0EES1A_IbLb1EEEEDaS16_S17_EUlS16_E_NS1_11comp_targetILNS1_3genE2ELNS1_11target_archE906ELNS1_3gpuE6ELNS1_3repE0EEENS1_30default_config_static_selectorELNS0_4arch9wavefront6targetE0EEEvT1_.uses_vcc, 0
	.set _ZN7rocprim17ROCPRIM_400000_NS6detail17trampoline_kernelINS0_14default_configENS1_25partition_config_selectorILNS1_17partition_subalgoE6EfNS0_10empty_typeEbEEZZNS1_14partition_implILS5_6ELb0ES3_mN6thrust23THRUST_200600_302600_NS6detail15normal_iteratorINSA_10device_ptrIfEEEEPS6_SG_NS0_5tupleIJNSA_16discard_iteratorINSA_11use_defaultEEES6_EEENSH_IJSG_SG_EEES6_PlJNSB_9not_fun_tI7is_trueIfEEEEEE10hipError_tPvRmT3_T4_T5_T6_T7_T9_mT8_P12ihipStream_tbDpT10_ENKUlT_T0_E_clISt17integral_constantIbLb0EES1A_IbLb1EEEEDaS16_S17_EUlS16_E_NS1_11comp_targetILNS1_3genE2ELNS1_11target_archE906ELNS1_3gpuE6ELNS1_3repE0EEENS1_30default_config_static_selectorELNS0_4arch9wavefront6targetE0EEEvT1_.uses_flat_scratch, 0
	.set _ZN7rocprim17ROCPRIM_400000_NS6detail17trampoline_kernelINS0_14default_configENS1_25partition_config_selectorILNS1_17partition_subalgoE6EfNS0_10empty_typeEbEEZZNS1_14partition_implILS5_6ELb0ES3_mN6thrust23THRUST_200600_302600_NS6detail15normal_iteratorINSA_10device_ptrIfEEEEPS6_SG_NS0_5tupleIJNSA_16discard_iteratorINSA_11use_defaultEEES6_EEENSH_IJSG_SG_EEES6_PlJNSB_9not_fun_tI7is_trueIfEEEEEE10hipError_tPvRmT3_T4_T5_T6_T7_T9_mT8_P12ihipStream_tbDpT10_ENKUlT_T0_E_clISt17integral_constantIbLb0EES1A_IbLb1EEEEDaS16_S17_EUlS16_E_NS1_11comp_targetILNS1_3genE2ELNS1_11target_archE906ELNS1_3gpuE6ELNS1_3repE0EEENS1_30default_config_static_selectorELNS0_4arch9wavefront6targetE0EEEvT1_.has_dyn_sized_stack, 0
	.set _ZN7rocprim17ROCPRIM_400000_NS6detail17trampoline_kernelINS0_14default_configENS1_25partition_config_selectorILNS1_17partition_subalgoE6EfNS0_10empty_typeEbEEZZNS1_14partition_implILS5_6ELb0ES3_mN6thrust23THRUST_200600_302600_NS6detail15normal_iteratorINSA_10device_ptrIfEEEEPS6_SG_NS0_5tupleIJNSA_16discard_iteratorINSA_11use_defaultEEES6_EEENSH_IJSG_SG_EEES6_PlJNSB_9not_fun_tI7is_trueIfEEEEEE10hipError_tPvRmT3_T4_T5_T6_T7_T9_mT8_P12ihipStream_tbDpT10_ENKUlT_T0_E_clISt17integral_constantIbLb0EES1A_IbLb1EEEEDaS16_S17_EUlS16_E_NS1_11comp_targetILNS1_3genE2ELNS1_11target_archE906ELNS1_3gpuE6ELNS1_3repE0EEENS1_30default_config_static_selectorELNS0_4arch9wavefront6targetE0EEEvT1_.has_recursion, 0
	.set _ZN7rocprim17ROCPRIM_400000_NS6detail17trampoline_kernelINS0_14default_configENS1_25partition_config_selectorILNS1_17partition_subalgoE6EfNS0_10empty_typeEbEEZZNS1_14partition_implILS5_6ELb0ES3_mN6thrust23THRUST_200600_302600_NS6detail15normal_iteratorINSA_10device_ptrIfEEEEPS6_SG_NS0_5tupleIJNSA_16discard_iteratorINSA_11use_defaultEEES6_EEENSH_IJSG_SG_EEES6_PlJNSB_9not_fun_tI7is_trueIfEEEEEE10hipError_tPvRmT3_T4_T5_T6_T7_T9_mT8_P12ihipStream_tbDpT10_ENKUlT_T0_E_clISt17integral_constantIbLb0EES1A_IbLb1EEEEDaS16_S17_EUlS16_E_NS1_11comp_targetILNS1_3genE2ELNS1_11target_archE906ELNS1_3gpuE6ELNS1_3repE0EEENS1_30default_config_static_selectorELNS0_4arch9wavefront6targetE0EEEvT1_.has_indirect_call, 0
	.section	.AMDGPU.csdata,"",@progbits
; Kernel info:
; codeLenInByte = 0
; TotalNumSgprs: 0
; NumVgprs: 0
; ScratchSize: 0
; MemoryBound: 0
; FloatMode: 240
; IeeeMode: 1
; LDSByteSize: 0 bytes/workgroup (compile time only)
; SGPRBlocks: 0
; VGPRBlocks: 0
; NumSGPRsForWavesPerEU: 1
; NumVGPRsForWavesPerEU: 1
; Occupancy: 16
; WaveLimiterHint : 0
; COMPUTE_PGM_RSRC2:SCRATCH_EN: 0
; COMPUTE_PGM_RSRC2:USER_SGPR: 2
; COMPUTE_PGM_RSRC2:TRAP_HANDLER: 0
; COMPUTE_PGM_RSRC2:TGID_X_EN: 1
; COMPUTE_PGM_RSRC2:TGID_Y_EN: 0
; COMPUTE_PGM_RSRC2:TGID_Z_EN: 0
; COMPUTE_PGM_RSRC2:TIDIG_COMP_CNT: 0
	.section	.text._ZN7rocprim17ROCPRIM_400000_NS6detail17trampoline_kernelINS0_14default_configENS1_25partition_config_selectorILNS1_17partition_subalgoE6EfNS0_10empty_typeEbEEZZNS1_14partition_implILS5_6ELb0ES3_mN6thrust23THRUST_200600_302600_NS6detail15normal_iteratorINSA_10device_ptrIfEEEEPS6_SG_NS0_5tupleIJNSA_16discard_iteratorINSA_11use_defaultEEES6_EEENSH_IJSG_SG_EEES6_PlJNSB_9not_fun_tI7is_trueIfEEEEEE10hipError_tPvRmT3_T4_T5_T6_T7_T9_mT8_P12ihipStream_tbDpT10_ENKUlT_T0_E_clISt17integral_constantIbLb0EES1A_IbLb1EEEEDaS16_S17_EUlS16_E_NS1_11comp_targetILNS1_3genE10ELNS1_11target_archE1200ELNS1_3gpuE4ELNS1_3repE0EEENS1_30default_config_static_selectorELNS0_4arch9wavefront6targetE0EEEvT1_,"axG",@progbits,_ZN7rocprim17ROCPRIM_400000_NS6detail17trampoline_kernelINS0_14default_configENS1_25partition_config_selectorILNS1_17partition_subalgoE6EfNS0_10empty_typeEbEEZZNS1_14partition_implILS5_6ELb0ES3_mN6thrust23THRUST_200600_302600_NS6detail15normal_iteratorINSA_10device_ptrIfEEEEPS6_SG_NS0_5tupleIJNSA_16discard_iteratorINSA_11use_defaultEEES6_EEENSH_IJSG_SG_EEES6_PlJNSB_9not_fun_tI7is_trueIfEEEEEE10hipError_tPvRmT3_T4_T5_T6_T7_T9_mT8_P12ihipStream_tbDpT10_ENKUlT_T0_E_clISt17integral_constantIbLb0EES1A_IbLb1EEEEDaS16_S17_EUlS16_E_NS1_11comp_targetILNS1_3genE10ELNS1_11target_archE1200ELNS1_3gpuE4ELNS1_3repE0EEENS1_30default_config_static_selectorELNS0_4arch9wavefront6targetE0EEEvT1_,comdat
	.protected	_ZN7rocprim17ROCPRIM_400000_NS6detail17trampoline_kernelINS0_14default_configENS1_25partition_config_selectorILNS1_17partition_subalgoE6EfNS0_10empty_typeEbEEZZNS1_14partition_implILS5_6ELb0ES3_mN6thrust23THRUST_200600_302600_NS6detail15normal_iteratorINSA_10device_ptrIfEEEEPS6_SG_NS0_5tupleIJNSA_16discard_iteratorINSA_11use_defaultEEES6_EEENSH_IJSG_SG_EEES6_PlJNSB_9not_fun_tI7is_trueIfEEEEEE10hipError_tPvRmT3_T4_T5_T6_T7_T9_mT8_P12ihipStream_tbDpT10_ENKUlT_T0_E_clISt17integral_constantIbLb0EES1A_IbLb1EEEEDaS16_S17_EUlS16_E_NS1_11comp_targetILNS1_3genE10ELNS1_11target_archE1200ELNS1_3gpuE4ELNS1_3repE0EEENS1_30default_config_static_selectorELNS0_4arch9wavefront6targetE0EEEvT1_ ; -- Begin function _ZN7rocprim17ROCPRIM_400000_NS6detail17trampoline_kernelINS0_14default_configENS1_25partition_config_selectorILNS1_17partition_subalgoE6EfNS0_10empty_typeEbEEZZNS1_14partition_implILS5_6ELb0ES3_mN6thrust23THRUST_200600_302600_NS6detail15normal_iteratorINSA_10device_ptrIfEEEEPS6_SG_NS0_5tupleIJNSA_16discard_iteratorINSA_11use_defaultEEES6_EEENSH_IJSG_SG_EEES6_PlJNSB_9not_fun_tI7is_trueIfEEEEEE10hipError_tPvRmT3_T4_T5_T6_T7_T9_mT8_P12ihipStream_tbDpT10_ENKUlT_T0_E_clISt17integral_constantIbLb0EES1A_IbLb1EEEEDaS16_S17_EUlS16_E_NS1_11comp_targetILNS1_3genE10ELNS1_11target_archE1200ELNS1_3gpuE4ELNS1_3repE0EEENS1_30default_config_static_selectorELNS0_4arch9wavefront6targetE0EEEvT1_
	.globl	_ZN7rocprim17ROCPRIM_400000_NS6detail17trampoline_kernelINS0_14default_configENS1_25partition_config_selectorILNS1_17partition_subalgoE6EfNS0_10empty_typeEbEEZZNS1_14partition_implILS5_6ELb0ES3_mN6thrust23THRUST_200600_302600_NS6detail15normal_iteratorINSA_10device_ptrIfEEEEPS6_SG_NS0_5tupleIJNSA_16discard_iteratorINSA_11use_defaultEEES6_EEENSH_IJSG_SG_EEES6_PlJNSB_9not_fun_tI7is_trueIfEEEEEE10hipError_tPvRmT3_T4_T5_T6_T7_T9_mT8_P12ihipStream_tbDpT10_ENKUlT_T0_E_clISt17integral_constantIbLb0EES1A_IbLb1EEEEDaS16_S17_EUlS16_E_NS1_11comp_targetILNS1_3genE10ELNS1_11target_archE1200ELNS1_3gpuE4ELNS1_3repE0EEENS1_30default_config_static_selectorELNS0_4arch9wavefront6targetE0EEEvT1_
	.p2align	8
	.type	_ZN7rocprim17ROCPRIM_400000_NS6detail17trampoline_kernelINS0_14default_configENS1_25partition_config_selectorILNS1_17partition_subalgoE6EfNS0_10empty_typeEbEEZZNS1_14partition_implILS5_6ELb0ES3_mN6thrust23THRUST_200600_302600_NS6detail15normal_iteratorINSA_10device_ptrIfEEEEPS6_SG_NS0_5tupleIJNSA_16discard_iteratorINSA_11use_defaultEEES6_EEENSH_IJSG_SG_EEES6_PlJNSB_9not_fun_tI7is_trueIfEEEEEE10hipError_tPvRmT3_T4_T5_T6_T7_T9_mT8_P12ihipStream_tbDpT10_ENKUlT_T0_E_clISt17integral_constantIbLb0EES1A_IbLb1EEEEDaS16_S17_EUlS16_E_NS1_11comp_targetILNS1_3genE10ELNS1_11target_archE1200ELNS1_3gpuE4ELNS1_3repE0EEENS1_30default_config_static_selectorELNS0_4arch9wavefront6targetE0EEEvT1_,@function
_ZN7rocprim17ROCPRIM_400000_NS6detail17trampoline_kernelINS0_14default_configENS1_25partition_config_selectorILNS1_17partition_subalgoE6EfNS0_10empty_typeEbEEZZNS1_14partition_implILS5_6ELb0ES3_mN6thrust23THRUST_200600_302600_NS6detail15normal_iteratorINSA_10device_ptrIfEEEEPS6_SG_NS0_5tupleIJNSA_16discard_iteratorINSA_11use_defaultEEES6_EEENSH_IJSG_SG_EEES6_PlJNSB_9not_fun_tI7is_trueIfEEEEEE10hipError_tPvRmT3_T4_T5_T6_T7_T9_mT8_P12ihipStream_tbDpT10_ENKUlT_T0_E_clISt17integral_constantIbLb0EES1A_IbLb1EEEEDaS16_S17_EUlS16_E_NS1_11comp_targetILNS1_3genE10ELNS1_11target_archE1200ELNS1_3gpuE4ELNS1_3repE0EEENS1_30default_config_static_selectorELNS0_4arch9wavefront6targetE0EEEvT1_: ; @_ZN7rocprim17ROCPRIM_400000_NS6detail17trampoline_kernelINS0_14default_configENS1_25partition_config_selectorILNS1_17partition_subalgoE6EfNS0_10empty_typeEbEEZZNS1_14partition_implILS5_6ELb0ES3_mN6thrust23THRUST_200600_302600_NS6detail15normal_iteratorINSA_10device_ptrIfEEEEPS6_SG_NS0_5tupleIJNSA_16discard_iteratorINSA_11use_defaultEEES6_EEENSH_IJSG_SG_EEES6_PlJNSB_9not_fun_tI7is_trueIfEEEEEE10hipError_tPvRmT3_T4_T5_T6_T7_T9_mT8_P12ihipStream_tbDpT10_ENKUlT_T0_E_clISt17integral_constantIbLb0EES1A_IbLb1EEEEDaS16_S17_EUlS16_E_NS1_11comp_targetILNS1_3genE10ELNS1_11target_archE1200ELNS1_3gpuE4ELNS1_3repE0EEENS1_30default_config_static_selectorELNS0_4arch9wavefront6targetE0EEEvT1_
; %bb.0:
	s_clause 0x2
	s_load_b64 s[14:15], s[0:1], 0x58
	s_load_b128 s[8:11], s[0:1], 0x48
	s_load_b64 s[12:13], s[0:1], 0x68
	v_cmp_eq_u32_e64 s2, 0, v0
	s_and_saveexec_b32 s3, s2
	s_cbranch_execz .LBB2138_4
; %bb.1:
	s_mov_b32 s5, exec_lo
	s_mov_b32 s4, exec_lo
	v_mbcnt_lo_u32_b32 v1, s5, 0
                                        ; implicit-def: $vgpr2
	s_delay_alu instid0(VALU_DEP_1)
	v_cmpx_eq_u32_e32 0, v1
	s_cbranch_execz .LBB2138_3
; %bb.2:
	s_load_b64 s[6:7], s[0:1], 0x78
	s_bcnt1_i32_b32 s5, s5
	s_wait_alu 0xfffe
	v_dual_mov_b32 v2, 0 :: v_dual_mov_b32 v3, s5
	s_wait_kmcnt 0x0
	global_atomic_add_u32 v2, v2, v3, s[6:7] th:TH_ATOMIC_RETURN scope:SCOPE_DEV
.LBB2138_3:
	s_or_b32 exec_lo, exec_lo, s4
	s_wait_loadcnt 0x0
	v_readfirstlane_b32 s4, v2
	s_wait_alu 0xf1ff
	s_delay_alu instid0(VALU_DEP_1)
	v_dual_mov_b32 v2, 0 :: v_dual_add_nc_u32 v1, s4, v1
	ds_store_b32 v2, v1
.LBB2138_4:
	s_or_b32 exec_lo, exec_lo, s3
	v_mov_b32_e32 v2, 0
	s_clause 0x1
	s_load_b128 s[4:7], s[0:1], 0x8
	s_load_b32 s0, s[0:1], 0x70
	s_wait_dscnt 0x0
	s_barrier_signal -1
	s_barrier_wait -1
	global_inv scope:SCOPE_SE
	ds_load_b32 v3, v2
	s_wait_loadcnt_dscnt 0x0
	s_barrier_signal -1
	s_barrier_wait -1
	global_inv scope:SCOPE_SE
	s_wait_kmcnt 0x0
	global_load_b64 v[9:10], v2, s[10:11]
	s_mov_b32 s1, 0
	v_lshlrev_b32_e32 v8, 2, v0
	s_lshl_b64 s[16:17], s[6:7], 2
	s_add_co_i32 s3, s0, -1
	s_mulk_i32 s0, 0xa80
	s_add_nc_u64 s[4:5], s[4:5], s[16:17]
	s_add_co_i32 s10, s0, s6
	s_add_nc_u64 s[6:7], s[6:7], s[0:1]
	v_mul_lo_u32 v1, 0xa80, v3
	v_readfirstlane_b32 s11, v3
	v_cmp_gt_u64_e64 s1, s[14:15], s[6:7]
	v_cmp_ne_u32_e32 vcc_lo, s3, v3
	s_sub_co_i32 s0, s14, s10
	s_cmp_eq_u32 s11, s3
	v_lshlrev_b64_e32 v[1:2], 2, v[1:2]
	s_cselect_b32 s7, -1, 0
	s_or_b32 s15, s1, vcc_lo
	s_mov_b32 s1, -1
	s_wait_alu 0xfffe
	s_delay_alu instid0(VALU_DEP_1) | instskip(NEXT) | instid1(VALU_DEP_1)
	v_add_co_u32 v11, vcc_lo, s4, v1
	v_add_co_ci_u32_e64 v12, null, s5, v2, vcc_lo
	s_and_b32 vcc_lo, exec_lo, s15
	s_wait_alu 0xfffe
	s_cbranch_vccz .LBB2138_6
; %bb.5:
	v_add_co_u32 v1, vcc_lo, v11, v8
	s_wait_alu 0xfffd
	v_add_co_ci_u32_e64 v2, null, 0, v12, vcc_lo
	s_mov_b32 s1, 0
	s_clause 0x6
	flat_load_b32 v3, v[1:2]
	flat_load_b32 v4, v[1:2] offset:1536
	flat_load_b32 v5, v[1:2] offset:3072
	flat_load_b32 v6, v[1:2] offset:4608
	flat_load_b32 v7, v[1:2] offset:6144
	flat_load_b32 v13, v[1:2] offset:7680
	flat_load_b32 v1, v[1:2] offset:9216
	s_wait_loadcnt_dscnt 0x505
	ds_store_2addr_stride64_b32 v8, v3, v4 offset1:6
	s_wait_loadcnt_dscnt 0x304
	ds_store_2addr_stride64_b32 v8, v5, v6 offset0:12 offset1:18
	s_wait_loadcnt_dscnt 0x103
	ds_store_2addr_stride64_b32 v8, v7, v13 offset0:24 offset1:30
	s_wait_loadcnt_dscnt 0x3
	ds_store_b32 v8, v1 offset:9216
	s_wait_dscnt 0x0
	s_barrier_signal -1
	s_barrier_wait -1
.LBB2138_6:
	s_and_not1_b32 vcc_lo, exec_lo, s1
	s_add_co_i32 s14, s0, 0xa80
	s_wait_alu 0xfffe
	s_cbranch_vccnz .LBB2138_22
; %bb.7:
	v_mov_b32_e32 v1, 0
	s_mov_b32 s0, exec_lo
	s_delay_alu instid0(VALU_DEP_1)
	v_dual_mov_b32 v2, v1 :: v_dual_mov_b32 v3, v1
	v_dual_mov_b32 v4, v1 :: v_dual_mov_b32 v5, v1
	;; [unrolled: 1-line block ×3, first 2 shown]
	v_cmpx_gt_u32_e64 s14, v0
	s_cbranch_execz .LBB2138_9
; %bb.8:
	v_add_co_u32 v2, vcc_lo, v11, v8
	s_wait_alu 0xfffd
	v_add_co_ci_u32_e64 v3, null, 0, v12, vcc_lo
	v_dual_mov_b32 v14, v1 :: v_dual_mov_b32 v15, v1
	v_dual_mov_b32 v16, v1 :: v_dual_mov_b32 v17, v1
	flat_load_b32 v13, v[2:3]
	v_dual_mov_b32 v18, v1 :: v_dual_mov_b32 v19, v1
	s_wait_loadcnt_dscnt 0x0
	v_dual_mov_b32 v1, v13 :: v_dual_mov_b32 v2, v14
	v_dual_mov_b32 v3, v15 :: v_dual_mov_b32 v4, v16
	s_delay_alu instid0(VALU_DEP_3)
	v_dual_mov_b32 v5, v17 :: v_dual_mov_b32 v6, v18
	v_mov_b32_e32 v7, v19
.LBB2138_9:
	s_or_b32 exec_lo, exec_lo, s0
	v_add_nc_u32_e32 v13, 0x180, v0
	s_mov_b32 s0, exec_lo
	s_delay_alu instid0(VALU_DEP_1)
	v_cmpx_gt_u32_e64 s14, v13
	s_cbranch_execz .LBB2138_11
; %bb.10:
	v_add_co_u32 v13, vcc_lo, v11, v8
	s_wait_alu 0xfffd
	v_add_co_ci_u32_e64 v14, null, 0, v12, vcc_lo
	flat_load_b32 v2, v[13:14] offset:1536
.LBB2138_11:
	s_or_b32 exec_lo, exec_lo, s0
	v_add_nc_u32_e32 v13, 0x300, v0
	s_mov_b32 s0, exec_lo
	s_delay_alu instid0(VALU_DEP_1)
	v_cmpx_gt_u32_e64 s14, v13
	s_cbranch_execz .LBB2138_13
; %bb.12:
	v_add_co_u32 v13, vcc_lo, v11, v8
	s_wait_alu 0xfffd
	v_add_co_ci_u32_e64 v14, null, 0, v12, vcc_lo
	flat_load_b32 v3, v[13:14] offset:3072
.LBB2138_13:
	;; [unrolled: 12-line block ×3, first 2 shown]
	s_or_b32 exec_lo, exec_lo, s0
	v_or_b32_e32 v13, 0x600, v0
	s_mov_b32 s0, exec_lo
	s_delay_alu instid0(VALU_DEP_1)
	v_cmpx_gt_u32_e64 s14, v13
	s_cbranch_execz .LBB2138_17
; %bb.16:
	v_add_co_u32 v13, vcc_lo, v11, v8
	s_wait_alu 0xfffd
	v_add_co_ci_u32_e64 v14, null, 0, v12, vcc_lo
	flat_load_b32 v5, v[13:14] offset:6144
.LBB2138_17:
	s_or_b32 exec_lo, exec_lo, s0
	v_add_nc_u32_e32 v13, 0x780, v0
	s_mov_b32 s0, exec_lo
	s_delay_alu instid0(VALU_DEP_1)
	v_cmpx_gt_u32_e64 s14, v13
	s_cbranch_execz .LBB2138_19
; %bb.18:
	v_add_co_u32 v13, vcc_lo, v11, v8
	s_wait_alu 0xfffd
	v_add_co_ci_u32_e64 v14, null, 0, v12, vcc_lo
	flat_load_b32 v6, v[13:14] offset:7680
.LBB2138_19:
	s_or_b32 exec_lo, exec_lo, s0
	v_add_nc_u32_e32 v13, 0x900, v0
	s_mov_b32 s0, exec_lo
	s_delay_alu instid0(VALU_DEP_1)
	v_cmpx_gt_u32_e64 s14, v13
	s_cbranch_execz .LBB2138_21
; %bb.20:
	v_add_co_u32 v11, vcc_lo, v11, v8
	s_wait_alu 0xfffd
	v_add_co_ci_u32_e64 v12, null, 0, v12, vcc_lo
	flat_load_b32 v7, v[11:12] offset:9216
.LBB2138_21:
	s_or_b32 exec_lo, exec_lo, s0
	s_wait_loadcnt_dscnt 0x0
	ds_store_2addr_stride64_b32 v8, v1, v2 offset1:6
	ds_store_2addr_stride64_b32 v8, v3, v4 offset0:12 offset1:18
	ds_store_2addr_stride64_b32 v8, v5, v6 offset0:24 offset1:30
	ds_store_b32 v8, v7 offset:9216
	s_wait_dscnt 0x0
	s_barrier_signal -1
	s_barrier_wait -1
.LBB2138_22:
	v_mul_u32_u24_e32 v1, 7, v0
	s_wait_loadcnt 0x0
	global_inv scope:SCOPE_SE
	s_and_not1_b32 vcc_lo, exec_lo, s15
	v_lshlrev_b32_e32 v29, 2, v1
	ds_load_2addr_b32 v[11:12], v29 offset0:4 offset1:5
	ds_load_b32 v25, v29 offset:24
	ds_load_2addr_b32 v[15:16], v29 offset1:1
	ds_load_2addr_b32 v[13:14], v29 offset0:2 offset1:3
	s_wait_loadcnt_dscnt 0x0
	s_barrier_signal -1
	s_barrier_wait -1
	global_inv scope:SCOPE_SE
	v_cmp_eq_f32_e64 s0, 0, v11
	v_cmp_eq_f32_e64 s1, 0, v12
	;; [unrolled: 1-line block ×7, first 2 shown]
	s_wait_alu 0xfffe
	s_cbranch_vccnz .LBB2138_24
; %bb.23:
	s_wait_alu 0xf1ff
	v_cndmask_b32_e64 v2, 0, 1, s5
	v_cndmask_b32_e64 v3, 0, 1, s6
	;; [unrolled: 1-line block ×5, first 2 shown]
	v_lshlrev_b16 v2, 8, v2
	v_lshlrev_b16 v3, 8, v3
	v_cndmask_b32_e64 v26, 0, 1, s1
	s_delay_alu instid0(VALU_DEP_3) | instskip(NEXT) | instid1(VALU_DEP_3)
	v_or_b32_e32 v2, v4, v2
	v_or_b32_e32 v3, v5, v3
	s_delay_alu instid0(VALU_DEP_2) | instskip(NEXT) | instid1(VALU_DEP_2)
	v_and_b32_e32 v2, 0xffff, v2
	v_lshlrev_b32_e32 v3, 16, v3
	s_delay_alu instid0(VALU_DEP_1)
	v_or_b32_e32 v28, v2, v3
	s_cbranch_execz .LBB2138_25
	s_branch .LBB2138_26
.LBB2138_24:
                                        ; implicit-def: $sgpr10
                                        ; implicit-def: $vgpr26
                                        ; implicit-def: $vgpr27
                                        ; implicit-def: $vgpr28
.LBB2138_25:
	v_add_nc_u32_e32 v2, 1, v1
	v_cmp_eq_f32_e32 vcc_lo, 0, v16
	v_add_nc_u32_e32 v3, 3, v1
	v_cmp_eq_f32_e64 s0, 0, v15
	v_cmp_eq_f32_e64 s3, 0, v14
	v_cmp_gt_u32_e64 s1, s14, v2
	v_add_nc_u32_e32 v2, 2, v1
	v_cmp_gt_u32_e64 s5, s14, v3
	v_cmp_eq_f32_e64 s4, 0, v13
	v_add_nc_u32_e32 v5, 5, v1
	s_and_b32 s1, s1, vcc_lo
	v_cmp_gt_u32_e32 vcc_lo, s14, v1
	s_wait_alu 0xfffe
	v_cndmask_b32_e64 v3, 0, 1, s1
	v_cmp_gt_u32_e64 s1, s14, v2
	s_and_b32 s3, s5, s3
	s_and_b32 s0, vcc_lo, s0
	v_lshlrev_b16 v3, 8, v3
	s_wait_alu 0xfffe
	v_cndmask_b32_e64 v4, 0, 1, s0
	v_cndmask_b32_e64 v2, 0, 1, s3
	s_and_b32 s0, s1, s4
	v_cmp_eq_f32_e32 vcc_lo, 0, v12
	s_wait_alu 0xfffe
	v_cndmask_b32_e64 v6, 0, 1, s0
	v_cmp_gt_u32_e64 s0, s14, v5
	v_or_b32_e32 v3, v4, v3
	v_add_nc_u32_e32 v4, 4, v1
	v_lshlrev_b16 v2, 8, v2
	v_cmp_eq_f32_e64 s1, 0, v11
	s_and_b32 s0, s0, vcc_lo
	v_add_nc_u32_e32 v1, 6, v1
	v_cmp_gt_u32_e32 vcc_lo, s14, v4
	v_or_b32_e32 v2, v6, v2
	s_wait_alu 0xfffe
	v_cndmask_b32_e64 v26, 0, 1, s0
	v_and_b32_e32 v3, 0xffff, v3
	s_and_b32 s0, vcc_lo, s1
	v_cmp_gt_u32_e32 vcc_lo, s14, v1
	s_wait_alu 0xfffe
	v_cndmask_b32_e64 v5, 0, 1, s0
	v_cmp_eq_f32_e64 s0, 0, v25
	v_lshlrev_b32_e32 v2, 16, v2
	v_lshlrev_b16 v4, 8, v26
	s_and_not1_b32 s1, s10, exec_lo
	s_and_b32 s0, vcc_lo, s0
	s_delay_alu instid0(VALU_DEP_2) | instskip(NEXT) | instid1(VALU_DEP_2)
	v_or_b32_e32 v28, v3, v2
	v_or_b32_e32 v27, v5, v4
	s_wait_alu 0xfffe
	s_and_b32 s0, s0, exec_lo
	s_wait_alu 0xfffe
	s_or_b32 s10, s1, s0
.LBB2138_26:
	s_delay_alu instid0(VALU_DEP_1)
	v_dual_mov_b32 v2, 0 :: v_dual_and_b32 v33, 0xff, v28
	v_bfe_u32 v32, v28, 8, 8
	v_cndmask_b32_e64 v1, 0, 1, s10
	v_bfe_u32 v35, v28, 16, 8
	v_lshrrev_b32_e32 v30, 24, v28
	v_and_b32_e32 v34, 0xff, v27
	v_mbcnt_lo_u32_b32 v36, -1, 0
	v_add3_u32 v1, v33, v1, v32
	v_and_b32_e32 v31, 0xff, v26
	s_cmp_lg_u32 s11, 0
	s_mov_b32 s1, -1
	v_and_b32_e32 v37, 15, v36
	v_add_co_u32 v1, s0, v1, v35
	s_wait_alu 0xf1ff
	v_add_co_ci_u32_e64 v3, null, 0, 0, s0
	s_delay_alu instid0(VALU_DEP_3) | instskip(NEXT) | instid1(VALU_DEP_3)
	v_cmp_ne_u32_e64 s0, 0, v37
	v_add_co_u32 v1, vcc_lo, v1, v30
	s_wait_alu 0xfffd
	s_delay_alu instid0(VALU_DEP_3) | instskip(NEXT) | instid1(VALU_DEP_2)
	v_add_co_ci_u32_e64 v3, null, 0, v3, vcc_lo
	v_add_co_u32 v1, vcc_lo, v1, v34
	s_wait_alu 0xfffd
	s_delay_alu instid0(VALU_DEP_2) | instskip(NEXT) | instid1(VALU_DEP_2)
	v_add_co_ci_u32_e64 v3, null, 0, v3, vcc_lo
	v_add_co_u32 v17, vcc_lo, v1, v31
	s_wait_alu 0xfffd
	s_delay_alu instid0(VALU_DEP_2)
	v_add_co_ci_u32_e64 v18, null, 0, v3, vcc_lo
	s_cbranch_scc0 .LBB2138_85
; %bb.27:
	v_mov_b32_e32 v3, v17
	v_mov_b32_dpp v1, v17 row_shr:1 row_mask:0xf bank_mask:0xf
	v_mov_b32_dpp v6, v2 row_shr:1 row_mask:0xf bank_mask:0xf
	v_dual_mov_b32 v5, v17 :: v_dual_mov_b32 v4, v18
	s_and_saveexec_b32 s1, s0
; %bb.28:
	s_delay_alu instid0(VALU_DEP_3) | instskip(SKIP_2) | instid1(VALU_DEP_2)
	v_add_co_u32 v5, vcc_lo, v17, v1
	s_wait_alu 0xfffd
	v_add_co_ci_u32_e64 v2, null, 0, v18, vcc_lo
	v_add_co_u32 v1, vcc_lo, 0, v5
	s_wait_alu 0xfffd
	s_delay_alu instid0(VALU_DEP_2) | instskip(NEXT) | instid1(VALU_DEP_1)
	v_add_co_ci_u32_e64 v2, null, v6, v2, vcc_lo
	v_dual_mov_b32 v4, v2 :: v_dual_mov_b32 v3, v1
; %bb.29:
	s_wait_alu 0xfffe
	s_or_b32 exec_lo, exec_lo, s1
	v_mov_b32_dpp v1, v5 row_shr:2 row_mask:0xf bank_mask:0xf
	v_mov_b32_dpp v6, v2 row_shr:2 row_mask:0xf bank_mask:0xf
	v_cmp_lt_u32_e32 vcc_lo, 1, v37
	s_and_saveexec_b32 s3, vcc_lo
; %bb.30:
	s_delay_alu instid0(VALU_DEP_3) | instskip(SKIP_2) | instid1(VALU_DEP_2)
	v_add_co_u32 v5, s1, v3, v1
	s_wait_alu 0xf1ff
	v_add_co_ci_u32_e64 v2, null, 0, v4, s1
	v_add_co_u32 v1, s1, 0, v5
	s_wait_alu 0xf1ff
	s_delay_alu instid0(VALU_DEP_2) | instskip(NEXT) | instid1(VALU_DEP_1)
	v_add_co_ci_u32_e64 v2, null, v6, v2, s1
	v_dual_mov_b32 v4, v2 :: v_dual_mov_b32 v3, v1
; %bb.31:
	s_wait_alu 0xfffe
	s_or_b32 exec_lo, exec_lo, s3
	v_mov_b32_dpp v1, v5 row_shr:4 row_mask:0xf bank_mask:0xf
	v_mov_b32_dpp v6, v2 row_shr:4 row_mask:0xf bank_mask:0xf
	v_cmp_lt_u32_e64 s1, 3, v37
	s_and_saveexec_b32 s4, s1
; %bb.32:
	v_add_co_u32 v5, s3, v3, v1
	s_wait_alu 0xf1ff
	v_add_co_ci_u32_e64 v2, null, 0, v4, s3
	s_delay_alu instid0(VALU_DEP_2) | instskip(SKIP_1) | instid1(VALU_DEP_2)
	v_add_co_u32 v1, s3, 0, v5
	s_wait_alu 0xf1ff
	v_add_co_ci_u32_e64 v2, null, v6, v2, s3
	s_delay_alu instid0(VALU_DEP_1)
	v_dual_mov_b32 v4, v2 :: v_dual_mov_b32 v3, v1
; %bb.33:
	s_wait_alu 0xfffe
	s_or_b32 exec_lo, exec_lo, s4
	v_mov_b32_dpp v6, v5 row_shr:8 row_mask:0xf bank_mask:0xf
	v_mov_b32_dpp v1, v2 row_shr:8 row_mask:0xf bank_mask:0xf
	v_cmp_lt_u32_e64 s3, 7, v37
	s_and_saveexec_b32 s5, s3
; %bb.34:
	v_add_co_u32 v5, s4, v3, v6
	s_wait_alu 0xf1ff
	v_add_co_ci_u32_e64 v2, null, 0, v4, s4
	s_delay_alu instid0(VALU_DEP_2) | instskip(SKIP_1) | instid1(VALU_DEP_2)
	v_add_co_u32 v3, s4, 0, v5
	s_wait_alu 0xf1ff
	v_add_co_ci_u32_e64 v4, null, v1, v2, s4
	s_delay_alu instid0(VALU_DEP_1)
	v_mov_b32_e32 v2, v4
; %bb.35:
	s_wait_alu 0xfffe
	s_or_b32 exec_lo, exec_lo, s5
	ds_swizzle_b32 v6, v5 offset:swizzle(BROADCAST,32,15)
	ds_swizzle_b32 v1, v2 offset:swizzle(BROADCAST,32,15)
	v_and_b32_e32 v2, 16, v36
	s_mov_b32 s5, exec_lo
	s_delay_alu instid0(VALU_DEP_1)
	v_cmpx_ne_u32_e32 0, v2
	s_cbranch_execz .LBB2138_37
; %bb.36:
	s_wait_dscnt 0x1
	v_add_co_u32 v5, s4, v3, v6
	s_wait_alu 0xf1ff
	v_add_co_ci_u32_e64 v2, null, 0, v4, s4
	s_delay_alu instid0(VALU_DEP_2) | instskip(SKIP_2) | instid1(VALU_DEP_2)
	v_add_co_u32 v3, s4, 0, v5
	s_wait_dscnt 0x0
	s_wait_alu 0xf1ff
	v_add_co_ci_u32_e64 v4, null, v1, v2, s4
.LBB2138_37:
	s_wait_alu 0xfffe
	s_or_b32 exec_lo, exec_lo, s5
	s_wait_dscnt 0x0
	v_and_b32_e32 v1, 0x1e0, v0
	v_lshrrev_b32_e32 v6, 5, v0
	s_mov_b32 s5, exec_lo
	s_delay_alu instid0(VALU_DEP_2) | instskip(NEXT) | instid1(VALU_DEP_1)
	v_min_u32_e32 v1, 0x160, v1
	v_or_b32_e32 v1, 31, v1
	s_delay_alu instid0(VALU_DEP_1)
	v_cmpx_eq_u32_e64 v0, v1
; %bb.38:
	v_lshlrev_b32_e32 v1, 3, v6
	ds_store_b64 v1, v[3:4]
; %bb.39:
	s_wait_alu 0xfffe
	s_or_b32 exec_lo, exec_lo, s5
	s_delay_alu instid0(SALU_CYCLE_1)
	s_mov_b32 s5, exec_lo
	s_wait_loadcnt_dscnt 0x0
	s_barrier_signal -1
	s_barrier_wait -1
	global_inv scope:SCOPE_SE
	v_cmpx_gt_u32_e32 12, v0
	s_cbranch_execz .LBB2138_49
; %bb.40:
	v_lshlrev_b32_e32 v3, 3, v0
	ds_load_b64 v[1:2], v3
	s_wait_dscnt 0x0
	v_mov_b32_dpp v8, v1 row_shr:1 row_mask:0xf bank_mask:0xf
	v_mov_b32_dpp v7, v2 row_shr:1 row_mask:0xf bank_mask:0xf
	v_mov_b32_e32 v4, v1
	s_and_saveexec_b32 s6, s0
; %bb.41:
	s_delay_alu instid0(VALU_DEP_3) | instskip(SKIP_2) | instid1(VALU_DEP_2)
	v_add_co_u32 v4, s4, v1, v8
	s_wait_alu 0xf1ff
	v_add_co_ci_u32_e64 v2, null, 0, v2, s4
	v_add_co_u32 v1, s4, 0, v4
	s_wait_alu 0xf1ff
	s_delay_alu instid0(VALU_DEP_2)
	v_add_co_ci_u32_e64 v2, null, v7, v2, s4
; %bb.42:
	s_wait_alu 0xfffe
	s_or_b32 exec_lo, exec_lo, s6
	v_mov_b32_dpp v8, v4 row_shr:2 row_mask:0xf bank_mask:0xf
	s_delay_alu instid0(VALU_DEP_2)
	v_mov_b32_dpp v7, v2 row_shr:2 row_mask:0xf bank_mask:0xf
	s_and_saveexec_b32 s4, vcc_lo
; %bb.43:
	s_delay_alu instid0(VALU_DEP_2) | instskip(SKIP_2) | instid1(VALU_DEP_2)
	v_add_co_u32 v4, vcc_lo, v1, v8
	s_wait_alu 0xfffd
	v_add_co_ci_u32_e64 v2, null, 0, v2, vcc_lo
	v_add_co_u32 v1, vcc_lo, 0, v4
	s_wait_alu 0xfffd
	s_delay_alu instid0(VALU_DEP_2)
	v_add_co_ci_u32_e64 v2, null, v7, v2, vcc_lo
; %bb.44:
	s_wait_alu 0xfffe
	s_or_b32 exec_lo, exec_lo, s4
	v_mov_b32_dpp v8, v4 row_shr:4 row_mask:0xf bank_mask:0xf
	s_delay_alu instid0(VALU_DEP_2)
	v_mov_b32_dpp v7, v2 row_shr:4 row_mask:0xf bank_mask:0xf
	s_and_saveexec_b32 s4, s1
; %bb.45:
	s_delay_alu instid0(VALU_DEP_2) | instskip(SKIP_2) | instid1(VALU_DEP_2)
	v_add_co_u32 v4, vcc_lo, v1, v8
	s_wait_alu 0xfffd
	v_add_co_ci_u32_e64 v2, null, 0, v2, vcc_lo
	v_add_co_u32 v1, vcc_lo, 0, v4
	s_wait_alu 0xfffd
	s_delay_alu instid0(VALU_DEP_2)
	v_add_co_ci_u32_e64 v2, null, v7, v2, vcc_lo
; %bb.46:
	s_wait_alu 0xfffe
	s_or_b32 exec_lo, exec_lo, s4
	v_mov_b32_dpp v7, v4 row_shr:8 row_mask:0xf bank_mask:0xf
	s_delay_alu instid0(VALU_DEP_2)
	v_mov_b32_dpp v4, v2 row_shr:8 row_mask:0xf bank_mask:0xf
	s_and_saveexec_b32 s1, s3
; %bb.47:
	s_delay_alu instid0(VALU_DEP_2) | instskip(SKIP_2) | instid1(VALU_DEP_2)
	v_add_co_u32 v1, vcc_lo, v1, v7
	s_wait_alu 0xfffd
	v_add_co_ci_u32_e64 v2, null, 0, v2, vcc_lo
	v_add_co_u32 v1, vcc_lo, v1, 0
	s_wait_alu 0xfffd
	s_delay_alu instid0(VALU_DEP_2)
	v_add_co_ci_u32_e64 v2, null, v2, v4, vcc_lo
; %bb.48:
	s_wait_alu 0xfffe
	s_or_b32 exec_lo, exec_lo, s1
	ds_store_b64 v3, v[1:2]
.LBB2138_49:
	s_wait_alu 0xfffe
	s_or_b32 exec_lo, exec_lo, s5
	s_delay_alu instid0(SALU_CYCLE_1)
	s_mov_b32 s3, exec_lo
	v_cmp_gt_u32_e32 vcc_lo, 32, v0
	s_wait_loadcnt_dscnt 0x0
	s_barrier_signal -1
	s_barrier_wait -1
	global_inv scope:SCOPE_SE
                                        ; implicit-def: $vgpr19_vgpr20
	v_cmpx_lt_u32_e32 31, v0
	s_cbranch_execz .LBB2138_51
; %bb.50:
	v_lshl_add_u32 v1, v6, 3, -8
	ds_load_b64 v[19:20], v1
	s_wait_dscnt 0x0
	v_add_nc_u32_e32 v5, v5, v19
.LBB2138_51:
	s_wait_alu 0xfffe
	s_or_b32 exec_lo, exec_lo, s3
	v_sub_co_u32 v1, s1, v36, 1
	s_delay_alu instid0(VALU_DEP_1) | instskip(SKIP_1) | instid1(VALU_DEP_1)
	v_cmp_gt_i32_e64 s3, 0, v1
	s_wait_alu 0xf1ff
	v_cndmask_b32_e64 v1, v1, v36, s3
	s_delay_alu instid0(VALU_DEP_1)
	v_lshlrev_b32_e32 v1, 2, v1
	ds_bpermute_b32 v38, v1, v5
	s_and_saveexec_b32 s3, vcc_lo
	s_cbranch_execz .LBB2138_90
; %bb.52:
	v_mov_b32_e32 v4, 0
	ds_load_b64 v[1:2], v4 offset:88
	s_and_saveexec_b32 s4, s1
	s_cbranch_execz .LBB2138_54
; %bb.53:
	s_add_co_i32 s14, s11, 32
	s_mov_b32 s15, 0
	s_wait_alu 0xfffe
	s_lshl_b64 s[14:15], s[14:15], 4
	s_wait_alu 0xfffe
	s_add_nc_u64 s[14:15], s[12:13], s[14:15]
	v_mov_b32_e32 v3, 1
	s_wait_alu 0xfffe
	v_dual_mov_b32 v5, s14 :: v_dual_mov_b32 v6, s15
	s_wait_dscnt 0x0
	;;#ASMSTART
	global_store_b128 v[5:6], v[1:4] off scope:SCOPE_DEV	
s_wait_storecnt 0x0
	;;#ASMEND
.LBB2138_54:
	s_wait_alu 0xfffe
	s_or_b32 exec_lo, exec_lo, s4
	v_xad_u32 v21, v36, -1, s11
	s_mov_b32 s5, 0
	s_mov_b32 s4, exec_lo
	s_delay_alu instid0(VALU_DEP_1) | instskip(NEXT) | instid1(VALU_DEP_1)
	v_add_nc_u32_e32 v3, 32, v21
	v_lshlrev_b64_e32 v[3:4], 4, v[3:4]
	s_delay_alu instid0(VALU_DEP_1) | instskip(SKIP_1) | instid1(VALU_DEP_2)
	v_add_co_u32 v3, vcc_lo, s12, v3
	s_wait_alu 0xfffd
	v_add_co_ci_u32_e64 v4, null, s13, v4, vcc_lo
	;;#ASMSTART
	global_load_b128 v[5:8], v[3:4] off scope:SCOPE_DEV	
s_wait_loadcnt 0x0
	;;#ASMEND
	v_and_b32_e32 v8, 0xff, v7
	s_delay_alu instid0(VALU_DEP_1)
	v_cmpx_eq_u16_e32 0, v8
	s_cbranch_execz .LBB2138_57
.LBB2138_55:                            ; =>This Inner Loop Header: Depth=1
	;;#ASMSTART
	global_load_b128 v[5:8], v[3:4] off scope:SCOPE_DEV	
s_wait_loadcnt 0x0
	;;#ASMEND
	v_and_b32_e32 v8, 0xff, v7
	s_delay_alu instid0(VALU_DEP_1)
	v_cmp_ne_u16_e32 vcc_lo, 0, v8
	s_wait_alu 0xfffe
	s_or_b32 s5, vcc_lo, s5
	s_wait_alu 0xfffe
	s_and_not1_b32 exec_lo, exec_lo, s5
	s_cbranch_execnz .LBB2138_55
; %bb.56:
	s_or_b32 exec_lo, exec_lo, s5
.LBB2138_57:
	s_wait_alu 0xfffe
	s_or_b32 exec_lo, exec_lo, s4
	v_cmp_ne_u32_e32 vcc_lo, 31, v36
	v_and_b32_e32 v4, 0xff, v7
	v_lshlrev_b32_e64 v40, v36, -1
	s_mov_b32 s4, exec_lo
	s_wait_alu 0xfffd
	v_add_co_ci_u32_e64 v3, null, 0, v36, vcc_lo
	v_cmp_eq_u16_e32 vcc_lo, 2, v4
	s_delay_alu instid0(VALU_DEP_2)
	v_dual_mov_b32 v4, v5 :: v_dual_lshlrev_b32 v39, 2, v3
	s_wait_alu 0xfffd
	v_and_or_b32 v3, vcc_lo, v40, 0x80000000
	ds_bpermute_b32 v22, v39, v5
	ds_bpermute_b32 v8, v39, v6
	v_ctz_i32_b32_e32 v3, v3
	s_delay_alu instid0(VALU_DEP_1)
	v_cmpx_lt_u32_e64 v36, v3
	s_cbranch_execz .LBB2138_59
; %bb.58:
	s_wait_dscnt 0x1
	v_add_co_u32 v4, vcc_lo, v5, v22
	s_wait_alu 0xfffd
	v_add_co_ci_u32_e64 v6, null, 0, v6, vcc_lo
	s_delay_alu instid0(VALU_DEP_2) | instskip(SKIP_2) | instid1(VALU_DEP_2)
	v_add_co_u32 v5, vcc_lo, 0, v4
	s_wait_dscnt 0x0
	s_wait_alu 0xfffd
	v_add_co_ci_u32_e64 v6, null, v8, v6, vcc_lo
.LBB2138_59:
	s_wait_alu 0xfffe
	s_or_b32 exec_lo, exec_lo, s4
	v_cmp_gt_u32_e32 vcc_lo, 30, v36
	v_add_nc_u32_e32 v42, 2, v36
	s_mov_b32 s4, exec_lo
	s_wait_dscnt 0x0
	s_wait_alu 0xfffd
	v_cndmask_b32_e64 v8, 0, 2, vcc_lo
	s_delay_alu instid0(VALU_DEP_1)
	v_add_lshl_u32 v41, v8, v36, 2
	ds_bpermute_b32 v22, v41, v4
	ds_bpermute_b32 v8, v41, v6
	v_cmpx_le_u32_e64 v42, v3
	s_cbranch_execz .LBB2138_61
; %bb.60:
	s_wait_dscnt 0x1
	v_add_co_u32 v4, vcc_lo, v5, v22
	s_wait_alu 0xfffd
	v_add_co_ci_u32_e64 v6, null, 0, v6, vcc_lo
	s_delay_alu instid0(VALU_DEP_2) | instskip(SKIP_2) | instid1(VALU_DEP_2)
	v_add_co_u32 v5, vcc_lo, 0, v4
	s_wait_dscnt 0x0
	s_wait_alu 0xfffd
	v_add_co_ci_u32_e64 v6, null, v8, v6, vcc_lo
.LBB2138_61:
	s_wait_alu 0xfffe
	s_or_b32 exec_lo, exec_lo, s4
	v_cmp_gt_u32_e32 vcc_lo, 28, v36
	v_add_nc_u32_e32 v44, 4, v36
	s_mov_b32 s4, exec_lo
	s_wait_dscnt 0x0
	s_wait_alu 0xfffd
	v_cndmask_b32_e64 v8, 0, 4, vcc_lo
	s_delay_alu instid0(VALU_DEP_1)
	v_add_lshl_u32 v43, v8, v36, 2
	ds_bpermute_b32 v22, v43, v4
	ds_bpermute_b32 v8, v43, v6
	v_cmpx_le_u32_e64 v44, v3
	s_cbranch_execz .LBB2138_63
; %bb.62:
	s_wait_dscnt 0x1
	v_add_co_u32 v4, vcc_lo, v5, v22
	s_wait_alu 0xfffd
	v_add_co_ci_u32_e64 v6, null, 0, v6, vcc_lo
	s_delay_alu instid0(VALU_DEP_2) | instskip(SKIP_2) | instid1(VALU_DEP_2)
	v_add_co_u32 v5, vcc_lo, 0, v4
	s_wait_dscnt 0x0
	s_wait_alu 0xfffd
	v_add_co_ci_u32_e64 v6, null, v8, v6, vcc_lo
.LBB2138_63:
	s_wait_alu 0xfffe
	s_or_b32 exec_lo, exec_lo, s4
	v_cmp_gt_u32_e32 vcc_lo, 24, v36
	v_add_nc_u32_e32 v46, 8, v36
	s_mov_b32 s4, exec_lo
	s_wait_dscnt 0x0
	s_wait_alu 0xfffd
	v_cndmask_b32_e64 v8, 0, 8, vcc_lo
	s_delay_alu instid0(VALU_DEP_1)
	v_add_lshl_u32 v45, v8, v36, 2
	ds_bpermute_b32 v22, v45, v4
	ds_bpermute_b32 v8, v45, v6
	v_cmpx_le_u32_e64 v46, v3
	s_cbranch_execz .LBB2138_65
; %bb.64:
	s_wait_dscnt 0x1
	v_add_co_u32 v4, vcc_lo, v5, v22
	s_wait_alu 0xfffd
	v_add_co_ci_u32_e64 v6, null, 0, v6, vcc_lo
	s_delay_alu instid0(VALU_DEP_2) | instskip(SKIP_2) | instid1(VALU_DEP_2)
	v_add_co_u32 v5, vcc_lo, 0, v4
	s_wait_dscnt 0x0
	s_wait_alu 0xfffd
	v_add_co_ci_u32_e64 v6, null, v8, v6, vcc_lo
.LBB2138_65:
	s_wait_alu 0xfffe
	s_or_b32 exec_lo, exec_lo, s4
	v_lshl_or_b32 v47, v36, 2, 64
	v_add_nc_u32_e32 v48, 16, v36
	s_mov_b32 s4, exec_lo
	s_wait_dscnt 0x0
	ds_bpermute_b32 v8, v47, v4
	ds_bpermute_b32 v4, v47, v6
	v_cmpx_le_u32_e64 v48, v3
	s_cbranch_execz .LBB2138_67
; %bb.66:
	s_wait_dscnt 0x1
	v_add_co_u32 v3, vcc_lo, v5, v8
	s_wait_alu 0xfffd
	v_add_co_ci_u32_e64 v6, null, 0, v6, vcc_lo
	s_delay_alu instid0(VALU_DEP_2) | instskip(SKIP_2) | instid1(VALU_DEP_2)
	v_add_co_u32 v5, vcc_lo, v3, 0
	s_wait_dscnt 0x0
	s_wait_alu 0xfffd
	v_add_co_ci_u32_e64 v6, null, v6, v4, vcc_lo
.LBB2138_67:
	s_wait_alu 0xfffe
	s_or_b32 exec_lo, exec_lo, s4
	v_mov_b32_e32 v22, 0
	s_branch .LBB2138_70
.LBB2138_68:                            ;   in Loop: Header=BB2138_70 Depth=1
	s_wait_alu 0xfffe
	s_or_b32 exec_lo, exec_lo, s4
	v_add_co_u32 v5, vcc_lo, v5, v3
	v_subrev_nc_u32_e32 v21, 32, v21
	s_wait_alu 0xfffd
	v_add_co_ci_u32_e64 v6, null, v6, v4, vcc_lo
	s_mov_b32 s4, 0
.LBB2138_69:                            ;   in Loop: Header=BB2138_70 Depth=1
	s_wait_alu 0xfffe
	s_and_b32 vcc_lo, exec_lo, s4
	s_wait_alu 0xfffe
	s_cbranch_vccnz .LBB2138_86
.LBB2138_70:                            ; =>This Loop Header: Depth=1
                                        ;     Child Loop BB2138_73 Depth 2
	v_and_b32_e32 v3, 0xff, v7
	s_mov_b32 s4, -1
	s_delay_alu instid0(VALU_DEP_1)
	v_cmp_ne_u16_e32 vcc_lo, 2, v3
	s_wait_dscnt 0x0
	v_dual_mov_b32 v3, v5 :: v_dual_mov_b32 v4, v6
                                        ; implicit-def: $vgpr5_vgpr6
	s_cmp_lg_u32 vcc_lo, exec_lo
	s_cbranch_scc1 .LBB2138_69
; %bb.71:                               ;   in Loop: Header=BB2138_70 Depth=1
	v_lshlrev_b64_e32 v[5:6], 4, v[21:22]
	s_mov_b32 s4, exec_lo
	s_delay_alu instid0(VALU_DEP_1) | instskip(SKIP_1) | instid1(VALU_DEP_2)
	v_add_co_u32 v23, vcc_lo, s12, v5
	s_wait_alu 0xfffd
	v_add_co_ci_u32_e64 v24, null, s13, v6, vcc_lo
	;;#ASMSTART
	global_load_b128 v[5:8], v[23:24] off scope:SCOPE_DEV	
s_wait_loadcnt 0x0
	;;#ASMEND
	v_and_b32_e32 v8, 0xff, v7
	s_delay_alu instid0(VALU_DEP_1)
	v_cmpx_eq_u16_e32 0, v8
	s_cbranch_execz .LBB2138_75
; %bb.72:                               ;   in Loop: Header=BB2138_70 Depth=1
	s_mov_b32 s5, 0
.LBB2138_73:                            ;   Parent Loop BB2138_70 Depth=1
                                        ; =>  This Inner Loop Header: Depth=2
	;;#ASMSTART
	global_load_b128 v[5:8], v[23:24] off scope:SCOPE_DEV	
s_wait_loadcnt 0x0
	;;#ASMEND
	v_and_b32_e32 v8, 0xff, v7
	s_delay_alu instid0(VALU_DEP_1)
	v_cmp_ne_u16_e32 vcc_lo, 0, v8
	s_wait_alu 0xfffe
	s_or_b32 s5, vcc_lo, s5
	s_wait_alu 0xfffe
	s_and_not1_b32 exec_lo, exec_lo, s5
	s_cbranch_execnz .LBB2138_73
; %bb.74:                               ;   in Loop: Header=BB2138_70 Depth=1
	s_or_b32 exec_lo, exec_lo, s5
.LBB2138_75:                            ;   in Loop: Header=BB2138_70 Depth=1
	s_wait_alu 0xfffe
	s_or_b32 exec_lo, exec_lo, s4
	v_dual_mov_b32 v23, v5 :: v_dual_and_b32 v8, 0xff, v7
	ds_bpermute_b32 v49, v39, v5
	ds_bpermute_b32 v24, v39, v6
	s_mov_b32 s4, exec_lo
	v_cmp_eq_u16_e32 vcc_lo, 2, v8
	s_wait_alu 0xfffd
	v_and_or_b32 v8, vcc_lo, v40, 0x80000000
	s_delay_alu instid0(VALU_DEP_1) | instskip(NEXT) | instid1(VALU_DEP_1)
	v_ctz_i32_b32_e32 v8, v8
	v_cmpx_lt_u32_e64 v36, v8
	s_cbranch_execz .LBB2138_77
; %bb.76:                               ;   in Loop: Header=BB2138_70 Depth=1
	s_wait_dscnt 0x1
	v_add_co_u32 v23, vcc_lo, v5, v49
	s_wait_alu 0xfffd
	v_add_co_ci_u32_e64 v6, null, 0, v6, vcc_lo
	s_delay_alu instid0(VALU_DEP_2) | instskip(SKIP_2) | instid1(VALU_DEP_2)
	v_add_co_u32 v5, vcc_lo, 0, v23
	s_wait_dscnt 0x0
	s_wait_alu 0xfffd
	v_add_co_ci_u32_e64 v6, null, v24, v6, vcc_lo
.LBB2138_77:                            ;   in Loop: Header=BB2138_70 Depth=1
	s_wait_alu 0xfffe
	s_or_b32 exec_lo, exec_lo, s4
	s_wait_dscnt 0x1
	ds_bpermute_b32 v49, v41, v23
	s_wait_dscnt 0x1
	ds_bpermute_b32 v24, v41, v6
	s_mov_b32 s4, exec_lo
	v_cmpx_le_u32_e64 v42, v8
	s_cbranch_execz .LBB2138_79
; %bb.78:                               ;   in Loop: Header=BB2138_70 Depth=1
	s_wait_dscnt 0x1
	v_add_co_u32 v23, vcc_lo, v5, v49
	s_wait_alu 0xfffd
	v_add_co_ci_u32_e64 v6, null, 0, v6, vcc_lo
	s_delay_alu instid0(VALU_DEP_2) | instskip(SKIP_2) | instid1(VALU_DEP_2)
	v_add_co_u32 v5, vcc_lo, 0, v23
	s_wait_dscnt 0x0
	s_wait_alu 0xfffd
	v_add_co_ci_u32_e64 v6, null, v24, v6, vcc_lo
.LBB2138_79:                            ;   in Loop: Header=BB2138_70 Depth=1
	s_wait_alu 0xfffe
	s_or_b32 exec_lo, exec_lo, s4
	s_wait_dscnt 0x1
	ds_bpermute_b32 v49, v43, v23
	s_wait_dscnt 0x1
	ds_bpermute_b32 v24, v43, v6
	s_mov_b32 s4, exec_lo
	v_cmpx_le_u32_e64 v44, v8
	;; [unrolled: 20-line block ×3, first 2 shown]
	s_cbranch_execz .LBB2138_83
; %bb.82:                               ;   in Loop: Header=BB2138_70 Depth=1
	s_wait_dscnt 0x1
	v_add_co_u32 v23, vcc_lo, v5, v49
	s_wait_alu 0xfffd
	v_add_co_ci_u32_e64 v6, null, 0, v6, vcc_lo
	s_delay_alu instid0(VALU_DEP_2) | instskip(SKIP_2) | instid1(VALU_DEP_2)
	v_add_co_u32 v5, vcc_lo, 0, v23
	s_wait_dscnt 0x0
	s_wait_alu 0xfffd
	v_add_co_ci_u32_e64 v6, null, v24, v6, vcc_lo
.LBB2138_83:                            ;   in Loop: Header=BB2138_70 Depth=1
	s_wait_alu 0xfffe
	s_or_b32 exec_lo, exec_lo, s4
	s_wait_dscnt 0x0
	ds_bpermute_b32 v24, v47, v23
	ds_bpermute_b32 v23, v47, v6
	s_mov_b32 s4, exec_lo
	v_cmpx_le_u32_e64 v48, v8
	s_cbranch_execz .LBB2138_68
; %bb.84:                               ;   in Loop: Header=BB2138_70 Depth=1
	s_wait_dscnt 0x1
	v_add_co_u32 v5, vcc_lo, v5, v24
	s_wait_alu 0xfffd
	v_add_co_ci_u32_e64 v6, null, 0, v6, vcc_lo
	s_delay_alu instid0(VALU_DEP_2) | instskip(SKIP_2) | instid1(VALU_DEP_2)
	v_add_co_u32 v5, vcc_lo, v5, 0
	s_wait_dscnt 0x0
	s_wait_alu 0xfffd
	v_add_co_ci_u32_e64 v6, null, v6, v23, vcc_lo
	s_branch .LBB2138_68
.LBB2138_85:
                                        ; implicit-def: $vgpr19_vgpr20
                                        ; implicit-def: $vgpr7_vgpr8
                                        ; implicit-def: $vgpr5_vgpr6
                                        ; implicit-def: $vgpr3_vgpr4
                                        ; implicit-def: $vgpr20_vgpr21
                                        ; implicit-def: $vgpr21_vgpr22
                                        ; implicit-def: $vgpr22_vgpr23
                                        ; implicit-def: $vgpr23_vgpr24
	s_wait_alu 0xfffe
	s_and_b32 vcc_lo, exec_lo, s1
	s_wait_alu 0xfffe
	s_cbranch_vccnz .LBB2138_91
	s_branch .LBB2138_118
.LBB2138_86:
	s_and_saveexec_b32 s4, s1
	s_cbranch_execz .LBB2138_88
; %bb.87:
	s_add_co_i32 s14, s11, 32
	s_mov_b32 s15, 0
	v_add_co_u32 v5, vcc_lo, v3, v1
	s_wait_alu 0xfffe
	s_lshl_b64 s[14:15], s[14:15], 4
	v_dual_mov_b32 v7, 2 :: v_dual_mov_b32 v8, 0
	s_wait_alu 0xfffe
	s_add_nc_u64 s[14:15], s[12:13], s[14:15]
	s_wait_alu 0xfffd
	v_add_co_ci_u32_e64 v6, null, v4, v2, vcc_lo
	s_wait_alu 0xfffe
	v_dual_mov_b32 v22, s15 :: v_dual_mov_b32 v21, s14
	;;#ASMSTART
	global_store_b128 v[21:22], v[5:8] off scope:SCOPE_DEV	
s_wait_storecnt 0x0
	;;#ASMEND
	ds_store_b128 v8, v[1:4] offset:10752
.LBB2138_88:
	s_wait_alu 0xfffe
	s_or_b32 exec_lo, exec_lo, s4
	s_delay_alu instid0(SALU_CYCLE_1)
	s_and_b32 exec_lo, exec_lo, s2
; %bb.89:
	v_mov_b32_e32 v1, 0
	ds_store_b64 v1, v[3:4] offset:88
.LBB2138_90:
	s_wait_alu 0xfffe
	s_or_b32 exec_lo, exec_lo, s3
	v_mov_b32_e32 v3, 0
	s_wait_loadcnt_dscnt 0x0
	s_barrier_signal -1
	s_barrier_wait -1
	global_inv scope:SCOPE_SE
	ds_load_b64 v[1:2], v3 offset:88
	v_cndmask_b32_e64 v4, v38, v19, s1
	v_cndmask_b32_e64 v5, 0, v20, s1
	s_wait_loadcnt_dscnt 0x0
	s_barrier_signal -1
	s_barrier_wait -1
	v_cndmask_b32_e64 v4, v4, 0, s2
	v_cndmask_b32_e64 v5, v5, 0, s2
	global_inv scope:SCOPE_SE
	v_add_co_u32 v23, vcc_lo, v1, v4
	s_wait_alu 0xfffd
	v_add_co_ci_u32_e64 v1, null, v2, v5, vcc_lo
	s_delay_alu instid0(VALU_DEP_2) | instskip(SKIP_1) | instid1(VALU_DEP_2)
	v_add_co_u32 v22, vcc_lo, v23, v33
	s_wait_alu 0xfffd
	v_add_co_ci_u32_e64 v1, null, 0, v1, vcc_lo
	s_delay_alu instid0(VALU_DEP_2) | instskip(SKIP_1) | instid1(VALU_DEP_2)
	v_add_co_u32 v21, vcc_lo, v22, v32
	s_wait_alu 0xfffd
	v_add_co_ci_u32_e64 v5, null, 0, v1, vcc_lo
	ds_load_b128 v[1:4], v3 offset:10752
	v_add_co_u32 v20, vcc_lo, v21, v35
	s_wait_alu 0xfffd
	v_add_co_ci_u32_e64 v5, null, 0, v5, vcc_lo
	s_delay_alu instid0(VALU_DEP_2) | instskip(SKIP_1) | instid1(VALU_DEP_2)
	v_add_co_u32 v19, vcc_lo, v20, v30
	s_wait_alu 0xfffd
	v_add_co_ci_u32_e64 v6, null, 0, v5, vcc_lo
	s_delay_alu instid0(VALU_DEP_2) | instskip(SKIP_1) | instid1(VALU_DEP_2)
	;; [unrolled: 4-line block ×3, first 2 shown]
	v_add_co_u32 v7, vcc_lo, v5, v31
	s_wait_alu 0xfffd
	v_add_co_ci_u32_e64 v6, null, 0, v6, vcc_lo
	s_branch .LBB2138_118
.LBB2138_91:
	s_wait_dscnt 0x0
	v_dual_mov_b32 v2, 0 :: v_dual_mov_b32 v3, v17
	v_mov_b32_dpp v4, v17 row_shr:1 row_mask:0xf bank_mask:0xf
	s_delay_alu instid0(VALU_DEP_2)
	v_mov_b32_dpp v1, v2 row_shr:1 row_mask:0xf bank_mask:0xf
	s_and_saveexec_b32 s1, s0
; %bb.92:
	s_delay_alu instid0(VALU_DEP_2) | instskip(SKIP_2) | instid1(VALU_DEP_2)
	v_add_co_u32 v3, vcc_lo, v17, v4
	s_wait_alu 0xfffd
	v_add_co_ci_u32_e64 v2, null, 0, v18, vcc_lo
	v_add_co_u32 v17, vcc_lo, 0, v3
	s_wait_alu 0xfffd
	s_delay_alu instid0(VALU_DEP_2) | instskip(NEXT) | instid1(VALU_DEP_1)
	v_add_co_ci_u32_e64 v18, null, v1, v2, vcc_lo
	v_mov_b32_e32 v2, v18
; %bb.93:
	s_wait_alu 0xfffe
	s_or_b32 exec_lo, exec_lo, s1
	v_mov_b32_dpp v1, v3 row_shr:2 row_mask:0xf bank_mask:0xf
	s_delay_alu instid0(VALU_DEP_2)
	v_mov_b32_dpp v4, v2 row_shr:2 row_mask:0xf bank_mask:0xf
	v_cmp_lt_u32_e32 vcc_lo, 1, v37
	s_and_saveexec_b32 s3, vcc_lo
; %bb.94:
	s_delay_alu instid0(VALU_DEP_3) | instskip(SKIP_2) | instid1(VALU_DEP_2)
	v_add_co_u32 v3, s1, v17, v1
	s_wait_alu 0xf1ff
	v_add_co_ci_u32_e64 v2, null, 0, v18, s1
	v_add_co_u32 v1, s1, 0, v3
	s_wait_alu 0xf1ff
	s_delay_alu instid0(VALU_DEP_2) | instskip(NEXT) | instid1(VALU_DEP_1)
	v_add_co_ci_u32_e64 v2, null, v4, v2, s1
	v_dual_mov_b32 v18, v2 :: v_dual_mov_b32 v17, v1
; %bb.95:
	s_wait_alu 0xfffe
	s_or_b32 exec_lo, exec_lo, s3
	v_mov_b32_dpp v1, v3 row_shr:4 row_mask:0xf bank_mask:0xf
	v_mov_b32_dpp v4, v2 row_shr:4 row_mask:0xf bank_mask:0xf
	v_cmp_lt_u32_e64 s1, 3, v37
	s_and_saveexec_b32 s4, s1
; %bb.96:
	v_add_co_u32 v3, s3, v17, v1
	s_wait_alu 0xf1ff
	v_add_co_ci_u32_e64 v2, null, 0, v18, s3
	s_delay_alu instid0(VALU_DEP_2) | instskip(SKIP_1) | instid1(VALU_DEP_2)
	v_add_co_u32 v1, s3, 0, v3
	s_wait_alu 0xf1ff
	v_add_co_ci_u32_e64 v2, null, v4, v2, s3
	s_delay_alu instid0(VALU_DEP_1)
	v_dual_mov_b32 v18, v2 :: v_dual_mov_b32 v17, v1
; %bb.97:
	s_wait_alu 0xfffe
	s_or_b32 exec_lo, exec_lo, s4
	v_mov_b32_dpp v4, v3 row_shr:8 row_mask:0xf bank_mask:0xf
	v_mov_b32_dpp v1, v2 row_shr:8 row_mask:0xf bank_mask:0xf
	v_cmp_lt_u32_e64 s3, 7, v37
	s_and_saveexec_b32 s5, s3
; %bb.98:
	v_add_co_u32 v3, s4, v17, v4
	s_wait_alu 0xf1ff
	v_add_co_ci_u32_e64 v2, null, 0, v18, s4
	s_delay_alu instid0(VALU_DEP_2) | instskip(SKIP_1) | instid1(VALU_DEP_2)
	v_add_co_u32 v17, s4, 0, v3
	s_wait_alu 0xf1ff
	v_add_co_ci_u32_e64 v18, null, v1, v2, s4
	s_delay_alu instid0(VALU_DEP_1)
	v_mov_b32_e32 v2, v18
; %bb.99:
	s_wait_alu 0xfffe
	s_or_b32 exec_lo, exec_lo, s5
	ds_swizzle_b32 v3, v3 offset:swizzle(BROADCAST,32,15)
	ds_swizzle_b32 v1, v2 offset:swizzle(BROADCAST,32,15)
	v_and_b32_e32 v2, 16, v36
	s_mov_b32 s5, exec_lo
	s_delay_alu instid0(VALU_DEP_1)
	v_cmpx_ne_u32_e32 0, v2
	s_cbranch_execz .LBB2138_101
; %bb.100:
	s_wait_dscnt 0x1
	v_add_co_u32 v2, s4, v17, v3
	s_wait_alu 0xf1ff
	v_add_co_ci_u32_e64 v3, null, 0, v18, s4
	s_delay_alu instid0(VALU_DEP_2) | instskip(SKIP_2) | instid1(VALU_DEP_2)
	v_add_co_u32 v17, s4, v2, 0
	s_wait_dscnt 0x0
	s_wait_alu 0xf1ff
	v_add_co_ci_u32_e64 v18, null, v3, v1, s4
.LBB2138_101:
	s_wait_alu 0xfffe
	s_or_b32 exec_lo, exec_lo, s5
	s_wait_dscnt 0x0
	v_and_b32_e32 v1, 0x1e0, v0
	v_lshrrev_b32_e32 v3, 5, v0
	s_mov_b32 s5, exec_lo
	s_delay_alu instid0(VALU_DEP_2) | instskip(NEXT) | instid1(VALU_DEP_1)
	v_min_u32_e32 v1, 0x160, v1
	v_or_b32_e32 v1, 31, v1
	s_delay_alu instid0(VALU_DEP_1)
	v_cmpx_eq_u32_e64 v0, v1
; %bb.102:
	v_lshlrev_b32_e32 v1, 3, v3
	ds_store_b64 v1, v[17:18]
; %bb.103:
	s_wait_alu 0xfffe
	s_or_b32 exec_lo, exec_lo, s5
	s_delay_alu instid0(SALU_CYCLE_1)
	s_mov_b32 s5, exec_lo
	s_wait_loadcnt_dscnt 0x0
	s_barrier_signal -1
	s_barrier_wait -1
	global_inv scope:SCOPE_SE
	v_cmpx_gt_u32_e32 12, v0
	s_cbranch_execz .LBB2138_113
; %bb.104:
	v_mad_i32_i24 v1, 0xffffffec, v0, v29
	ds_load_b64 v[1:2], v1
	s_wait_dscnt 0x0
	v_mov_b32_dpp v6, v1 row_shr:1 row_mask:0xf bank_mask:0xf
	v_mov_b32_dpp v5, v2 row_shr:1 row_mask:0xf bank_mask:0xf
	v_mov_b32_e32 v4, v1
	s_and_saveexec_b32 s4, s0
; %bb.105:
	s_delay_alu instid0(VALU_DEP_3) | instskip(SKIP_2) | instid1(VALU_DEP_2)
	v_add_co_u32 v4, s0, v1, v6
	s_wait_alu 0xf1ff
	v_add_co_ci_u32_e64 v2, null, 0, v2, s0
	v_add_co_u32 v1, s0, 0, v4
	s_wait_alu 0xf1ff
	s_delay_alu instid0(VALU_DEP_2)
	v_add_co_ci_u32_e64 v2, null, v5, v2, s0
; %bb.106:
	s_wait_alu 0xfffe
	s_or_b32 exec_lo, exec_lo, s4
	v_mov_b32_dpp v6, v4 row_shr:2 row_mask:0xf bank_mask:0xf
	s_delay_alu instid0(VALU_DEP_2)
	v_mov_b32_dpp v5, v2 row_shr:2 row_mask:0xf bank_mask:0xf
	s_and_saveexec_b32 s0, vcc_lo
; %bb.107:
	s_delay_alu instid0(VALU_DEP_2) | instskip(SKIP_2) | instid1(VALU_DEP_2)
	v_add_co_u32 v4, vcc_lo, v1, v6
	s_wait_alu 0xfffd
	v_add_co_ci_u32_e64 v2, null, 0, v2, vcc_lo
	v_add_co_u32 v1, vcc_lo, 0, v4
	s_wait_alu 0xfffd
	s_delay_alu instid0(VALU_DEP_2)
	v_add_co_ci_u32_e64 v2, null, v5, v2, vcc_lo
; %bb.108:
	s_wait_alu 0xfffe
	s_or_b32 exec_lo, exec_lo, s0
	v_mov_b32_dpp v6, v4 row_shr:4 row_mask:0xf bank_mask:0xf
	s_delay_alu instid0(VALU_DEP_2)
	v_mov_b32_dpp v5, v2 row_shr:4 row_mask:0xf bank_mask:0xf
	s_and_saveexec_b32 s0, s1
; %bb.109:
	s_delay_alu instid0(VALU_DEP_2) | instskip(SKIP_2) | instid1(VALU_DEP_2)
	v_add_co_u32 v4, vcc_lo, v1, v6
	s_wait_alu 0xfffd
	v_add_co_ci_u32_e64 v2, null, 0, v2, vcc_lo
	v_add_co_u32 v1, vcc_lo, 0, v4
	s_wait_alu 0xfffd
	s_delay_alu instid0(VALU_DEP_2)
	v_add_co_ci_u32_e64 v2, null, v5, v2, vcc_lo
; %bb.110:
	s_wait_alu 0xfffe
	s_or_b32 exec_lo, exec_lo, s0
	v_mul_i32_i24_e32 v5, 0xffffffec, v0
	v_mov_b32_dpp v6, v4 row_shr:8 row_mask:0xf bank_mask:0xf
	v_mov_b32_dpp v4, v2 row_shr:8 row_mask:0xf bank_mask:0xf
	s_and_saveexec_b32 s0, s3
; %bb.111:
	s_delay_alu instid0(VALU_DEP_2) | instskip(SKIP_2) | instid1(VALU_DEP_2)
	v_add_co_u32 v1, vcc_lo, v1, v6
	s_wait_alu 0xfffd
	v_add_co_ci_u32_e64 v2, null, 0, v2, vcc_lo
	v_add_co_u32 v1, vcc_lo, v1, 0
	s_wait_alu 0xfffd
	s_delay_alu instid0(VALU_DEP_2)
	v_add_co_ci_u32_e64 v2, null, v2, v4, vcc_lo
; %bb.112:
	s_wait_alu 0xfffe
	s_or_b32 exec_lo, exec_lo, s0
	v_add_nc_u32_e32 v4, v29, v5
	ds_store_b64 v4, v[1:2]
.LBB2138_113:
	s_wait_alu 0xfffe
	s_or_b32 exec_lo, exec_lo, s5
	v_mov_b32_e32 v5, 0
	v_mov_b32_e32 v6, 0
	s_mov_b32 s0, exec_lo
	s_wait_loadcnt_dscnt 0x0
	s_barrier_signal -1
	s_barrier_wait -1
	global_inv scope:SCOPE_SE
	v_cmpx_lt_u32_e32 31, v0
; %bb.114:
	v_lshl_add_u32 v0, v3, 3, -8
	ds_load_b64 v[5:6], v0
; %bb.115:
	s_wait_alu 0xfffe
	s_or_b32 exec_lo, exec_lo, s0
	v_sub_co_u32 v0, vcc_lo, v36, 1
	s_wait_dscnt 0x0
	v_dual_mov_b32 v4, 0 :: v_dual_add_nc_u32 v1, v5, v17
	s_delay_alu instid0(VALU_DEP_2) | instskip(SKIP_1) | instid1(VALU_DEP_1)
	v_cmp_gt_i32_e64 s0, 0, v0
	s_wait_alu 0xf1ff
	v_cndmask_b32_e64 v0, v0, v36, s0
	s_delay_alu instid0(VALU_DEP_1)
	v_lshlrev_b32_e32 v0, 2, v0
	ds_bpermute_b32 v0, v0, v1
	ds_load_b64 v[1:2], v4 offset:88
	s_and_saveexec_b32 s0, s2
	s_cbranch_execz .LBB2138_117
; %bb.116:
	s_add_nc_u64 s[4:5], s[12:13], 0x200
	s_wait_alu 0xfffe
	v_dual_mov_b32 v3, 2 :: v_dual_mov_b32 v8, s5
	v_mov_b32_e32 v7, s4
	s_wait_dscnt 0x0
	;;#ASMSTART
	global_store_b128 v[7:8], v[1:4] off scope:SCOPE_DEV	
s_wait_storecnt 0x0
	;;#ASMEND
.LBB2138_117:
	s_wait_alu 0xfffe
	s_or_b32 exec_lo, exec_lo, s0
	s_wait_dscnt 0x1
	s_wait_alu 0xfffd
	v_dual_cndmask_b32 v0, v0, v5 :: v_dual_cndmask_b32 v3, 0, v6
	s_wait_loadcnt_dscnt 0x0
	s_barrier_signal -1
	s_barrier_wait -1
	s_delay_alu instid0(VALU_DEP_1)
	v_cndmask_b32_e64 v23, v0, 0, s2
	v_cndmask_b32_e64 v0, v3, 0, s2
	v_mov_b32_e32 v3, 0
	v_mov_b32_e32 v4, 0
	global_inv scope:SCOPE_SE
	v_add_co_u32 v22, vcc_lo, v23, v33
	s_wait_alu 0xfffd
	v_add_co_ci_u32_e64 v0, null, 0, v0, vcc_lo
	s_delay_alu instid0(VALU_DEP_2) | instskip(SKIP_1) | instid1(VALU_DEP_2)
	v_add_co_u32 v21, vcc_lo, v22, v32
	s_wait_alu 0xfffd
	v_add_co_ci_u32_e64 v0, null, 0, v0, vcc_lo
	s_delay_alu instid0(VALU_DEP_2) | instskip(SKIP_1) | instid1(VALU_DEP_2)
	;; [unrolled: 4-line block ×5, first 2 shown]
	v_add_co_u32 v7, vcc_lo, v5, v31
	s_wait_alu 0xfffd
	v_add_co_ci_u32_e64 v0, null, 0, v0, vcc_lo
.LBB2138_118:
	s_wait_dscnt 0x0
	v_cmp_gt_u64_e32 vcc_lo, 0x181, v[1:2]
	v_lshrrev_b32_e32 v6, 8, v28
	v_lshrrev_b32_e32 v0, 16, v28
	s_cbranch_vccz .LBB2138_121
; %bb.119:
	s_and_b32 s0, s2, s7
	s_wait_alu 0xfffe
	s_and_saveexec_b32 s1, s0
	s_cbranch_execnz .LBB2138_136
.LBB2138_120:
	s_endpgm
.LBB2138_121:
	v_and_b32_e32 v8, 1, v28
	s_mov_b32 s0, exec_lo
	s_delay_alu instid0(VALU_DEP_1)
	v_cmpx_eq_u32_e32 1, v8
; %bb.122:
	v_sub_nc_u32_e32 v8, v23, v3
	s_delay_alu instid0(VALU_DEP_1)
	v_lshlrev_b32_e32 v8, 2, v8
	ds_store_b32 v8, v15
; %bb.123:
	s_wait_alu 0xfffe
	s_or_b32 exec_lo, exec_lo, s0
	v_and_b32_e32 v6, 1, v6
	s_mov_b32 s0, exec_lo
	s_delay_alu instid0(VALU_DEP_1)
	v_cmpx_eq_u32_e32 1, v6
; %bb.124:
	v_sub_nc_u32_e32 v6, v22, v3
	s_delay_alu instid0(VALU_DEP_1)
	v_lshlrev_b32_e32 v6, 2, v6
	ds_store_b32 v6, v16
; %bb.125:
	s_wait_alu 0xfffe
	s_or_b32 exec_lo, exec_lo, s0
	;; [unrolled: 12-line block ×6, first 2 shown]
	s_and_saveexec_b32 s0, s10
; %bb.134:
	v_sub_nc_u32_e32 v0, v7, v3
	s_delay_alu instid0(VALU_DEP_1)
	v_lshlrev_b32_e32 v0, 2, v0
	ds_store_b32 v0, v25
; %bb.135:
	s_wait_alu 0xfffe
	s_or_b32 exec_lo, exec_lo, s0
	s_wait_loadcnt_dscnt 0x0
	s_barrier_signal -1
	s_barrier_wait -1
	global_inv scope:SCOPE_SE
	s_and_b32 s0, s2, s7
	s_wait_alu 0xfffe
	s_and_saveexec_b32 s1, s0
	s_cbranch_execz .LBB2138_120
.LBB2138_136:
	v_add_co_u32 v0, vcc_lo, v1, v9
	s_wait_alu 0xfffd
	v_add_co_ci_u32_e64 v1, null, v2, v10, vcc_lo
	v_mov_b32_e32 v2, 0
	s_delay_alu instid0(VALU_DEP_3) | instskip(SKIP_1) | instid1(VALU_DEP_3)
	v_add_co_u32 v0, vcc_lo, v0, v3
	s_wait_alu 0xfffd
	v_add_co_ci_u32_e64 v1, null, v1, v4, vcc_lo
	global_store_b64 v2, v[0:1], s[8:9]
	s_endpgm
	.section	.rodata,"a",@progbits
	.p2align	6, 0x0
	.amdhsa_kernel _ZN7rocprim17ROCPRIM_400000_NS6detail17trampoline_kernelINS0_14default_configENS1_25partition_config_selectorILNS1_17partition_subalgoE6EfNS0_10empty_typeEbEEZZNS1_14partition_implILS5_6ELb0ES3_mN6thrust23THRUST_200600_302600_NS6detail15normal_iteratorINSA_10device_ptrIfEEEEPS6_SG_NS0_5tupleIJNSA_16discard_iteratorINSA_11use_defaultEEES6_EEENSH_IJSG_SG_EEES6_PlJNSB_9not_fun_tI7is_trueIfEEEEEE10hipError_tPvRmT3_T4_T5_T6_T7_T9_mT8_P12ihipStream_tbDpT10_ENKUlT_T0_E_clISt17integral_constantIbLb0EES1A_IbLb1EEEEDaS16_S17_EUlS16_E_NS1_11comp_targetILNS1_3genE10ELNS1_11target_archE1200ELNS1_3gpuE4ELNS1_3repE0EEENS1_30default_config_static_selectorELNS0_4arch9wavefront6targetE0EEEvT1_
		.amdhsa_group_segment_fixed_size 10768
		.amdhsa_private_segment_fixed_size 0
		.amdhsa_kernarg_size 136
		.amdhsa_user_sgpr_count 2
		.amdhsa_user_sgpr_dispatch_ptr 0
		.amdhsa_user_sgpr_queue_ptr 0
		.amdhsa_user_sgpr_kernarg_segment_ptr 1
		.amdhsa_user_sgpr_dispatch_id 0
		.amdhsa_user_sgpr_private_segment_size 0
		.amdhsa_wavefront_size32 1
		.amdhsa_uses_dynamic_stack 0
		.amdhsa_enable_private_segment 0
		.amdhsa_system_sgpr_workgroup_id_x 1
		.amdhsa_system_sgpr_workgroup_id_y 0
		.amdhsa_system_sgpr_workgroup_id_z 0
		.amdhsa_system_sgpr_workgroup_info 0
		.amdhsa_system_vgpr_workitem_id 0
		.amdhsa_next_free_vgpr 50
		.amdhsa_next_free_sgpr 18
		.amdhsa_reserve_vcc 1
		.amdhsa_float_round_mode_32 0
		.amdhsa_float_round_mode_16_64 0
		.amdhsa_float_denorm_mode_32 3
		.amdhsa_float_denorm_mode_16_64 3
		.amdhsa_fp16_overflow 0
		.amdhsa_workgroup_processor_mode 1
		.amdhsa_memory_ordered 1
		.amdhsa_forward_progress 1
		.amdhsa_inst_pref_size 53
		.amdhsa_round_robin_scheduling 0
		.amdhsa_exception_fp_ieee_invalid_op 0
		.amdhsa_exception_fp_denorm_src 0
		.amdhsa_exception_fp_ieee_div_zero 0
		.amdhsa_exception_fp_ieee_overflow 0
		.amdhsa_exception_fp_ieee_underflow 0
		.amdhsa_exception_fp_ieee_inexact 0
		.amdhsa_exception_int_div_zero 0
	.end_amdhsa_kernel
	.section	.text._ZN7rocprim17ROCPRIM_400000_NS6detail17trampoline_kernelINS0_14default_configENS1_25partition_config_selectorILNS1_17partition_subalgoE6EfNS0_10empty_typeEbEEZZNS1_14partition_implILS5_6ELb0ES3_mN6thrust23THRUST_200600_302600_NS6detail15normal_iteratorINSA_10device_ptrIfEEEEPS6_SG_NS0_5tupleIJNSA_16discard_iteratorINSA_11use_defaultEEES6_EEENSH_IJSG_SG_EEES6_PlJNSB_9not_fun_tI7is_trueIfEEEEEE10hipError_tPvRmT3_T4_T5_T6_T7_T9_mT8_P12ihipStream_tbDpT10_ENKUlT_T0_E_clISt17integral_constantIbLb0EES1A_IbLb1EEEEDaS16_S17_EUlS16_E_NS1_11comp_targetILNS1_3genE10ELNS1_11target_archE1200ELNS1_3gpuE4ELNS1_3repE0EEENS1_30default_config_static_selectorELNS0_4arch9wavefront6targetE0EEEvT1_,"axG",@progbits,_ZN7rocprim17ROCPRIM_400000_NS6detail17trampoline_kernelINS0_14default_configENS1_25partition_config_selectorILNS1_17partition_subalgoE6EfNS0_10empty_typeEbEEZZNS1_14partition_implILS5_6ELb0ES3_mN6thrust23THRUST_200600_302600_NS6detail15normal_iteratorINSA_10device_ptrIfEEEEPS6_SG_NS0_5tupleIJNSA_16discard_iteratorINSA_11use_defaultEEES6_EEENSH_IJSG_SG_EEES6_PlJNSB_9not_fun_tI7is_trueIfEEEEEE10hipError_tPvRmT3_T4_T5_T6_T7_T9_mT8_P12ihipStream_tbDpT10_ENKUlT_T0_E_clISt17integral_constantIbLb0EES1A_IbLb1EEEEDaS16_S17_EUlS16_E_NS1_11comp_targetILNS1_3genE10ELNS1_11target_archE1200ELNS1_3gpuE4ELNS1_3repE0EEENS1_30default_config_static_selectorELNS0_4arch9wavefront6targetE0EEEvT1_,comdat
.Lfunc_end2138:
	.size	_ZN7rocprim17ROCPRIM_400000_NS6detail17trampoline_kernelINS0_14default_configENS1_25partition_config_selectorILNS1_17partition_subalgoE6EfNS0_10empty_typeEbEEZZNS1_14partition_implILS5_6ELb0ES3_mN6thrust23THRUST_200600_302600_NS6detail15normal_iteratorINSA_10device_ptrIfEEEEPS6_SG_NS0_5tupleIJNSA_16discard_iteratorINSA_11use_defaultEEES6_EEENSH_IJSG_SG_EEES6_PlJNSB_9not_fun_tI7is_trueIfEEEEEE10hipError_tPvRmT3_T4_T5_T6_T7_T9_mT8_P12ihipStream_tbDpT10_ENKUlT_T0_E_clISt17integral_constantIbLb0EES1A_IbLb1EEEEDaS16_S17_EUlS16_E_NS1_11comp_targetILNS1_3genE10ELNS1_11target_archE1200ELNS1_3gpuE4ELNS1_3repE0EEENS1_30default_config_static_selectorELNS0_4arch9wavefront6targetE0EEEvT1_, .Lfunc_end2138-_ZN7rocprim17ROCPRIM_400000_NS6detail17trampoline_kernelINS0_14default_configENS1_25partition_config_selectorILNS1_17partition_subalgoE6EfNS0_10empty_typeEbEEZZNS1_14partition_implILS5_6ELb0ES3_mN6thrust23THRUST_200600_302600_NS6detail15normal_iteratorINSA_10device_ptrIfEEEEPS6_SG_NS0_5tupleIJNSA_16discard_iteratorINSA_11use_defaultEEES6_EEENSH_IJSG_SG_EEES6_PlJNSB_9not_fun_tI7is_trueIfEEEEEE10hipError_tPvRmT3_T4_T5_T6_T7_T9_mT8_P12ihipStream_tbDpT10_ENKUlT_T0_E_clISt17integral_constantIbLb0EES1A_IbLb1EEEEDaS16_S17_EUlS16_E_NS1_11comp_targetILNS1_3genE10ELNS1_11target_archE1200ELNS1_3gpuE4ELNS1_3repE0EEENS1_30default_config_static_selectorELNS0_4arch9wavefront6targetE0EEEvT1_
                                        ; -- End function
	.set _ZN7rocprim17ROCPRIM_400000_NS6detail17trampoline_kernelINS0_14default_configENS1_25partition_config_selectorILNS1_17partition_subalgoE6EfNS0_10empty_typeEbEEZZNS1_14partition_implILS5_6ELb0ES3_mN6thrust23THRUST_200600_302600_NS6detail15normal_iteratorINSA_10device_ptrIfEEEEPS6_SG_NS0_5tupleIJNSA_16discard_iteratorINSA_11use_defaultEEES6_EEENSH_IJSG_SG_EEES6_PlJNSB_9not_fun_tI7is_trueIfEEEEEE10hipError_tPvRmT3_T4_T5_T6_T7_T9_mT8_P12ihipStream_tbDpT10_ENKUlT_T0_E_clISt17integral_constantIbLb0EES1A_IbLb1EEEEDaS16_S17_EUlS16_E_NS1_11comp_targetILNS1_3genE10ELNS1_11target_archE1200ELNS1_3gpuE4ELNS1_3repE0EEENS1_30default_config_static_selectorELNS0_4arch9wavefront6targetE0EEEvT1_.num_vgpr, 50
	.set _ZN7rocprim17ROCPRIM_400000_NS6detail17trampoline_kernelINS0_14default_configENS1_25partition_config_selectorILNS1_17partition_subalgoE6EfNS0_10empty_typeEbEEZZNS1_14partition_implILS5_6ELb0ES3_mN6thrust23THRUST_200600_302600_NS6detail15normal_iteratorINSA_10device_ptrIfEEEEPS6_SG_NS0_5tupleIJNSA_16discard_iteratorINSA_11use_defaultEEES6_EEENSH_IJSG_SG_EEES6_PlJNSB_9not_fun_tI7is_trueIfEEEEEE10hipError_tPvRmT3_T4_T5_T6_T7_T9_mT8_P12ihipStream_tbDpT10_ENKUlT_T0_E_clISt17integral_constantIbLb0EES1A_IbLb1EEEEDaS16_S17_EUlS16_E_NS1_11comp_targetILNS1_3genE10ELNS1_11target_archE1200ELNS1_3gpuE4ELNS1_3repE0EEENS1_30default_config_static_selectorELNS0_4arch9wavefront6targetE0EEEvT1_.num_agpr, 0
	.set _ZN7rocprim17ROCPRIM_400000_NS6detail17trampoline_kernelINS0_14default_configENS1_25partition_config_selectorILNS1_17partition_subalgoE6EfNS0_10empty_typeEbEEZZNS1_14partition_implILS5_6ELb0ES3_mN6thrust23THRUST_200600_302600_NS6detail15normal_iteratorINSA_10device_ptrIfEEEEPS6_SG_NS0_5tupleIJNSA_16discard_iteratorINSA_11use_defaultEEES6_EEENSH_IJSG_SG_EEES6_PlJNSB_9not_fun_tI7is_trueIfEEEEEE10hipError_tPvRmT3_T4_T5_T6_T7_T9_mT8_P12ihipStream_tbDpT10_ENKUlT_T0_E_clISt17integral_constantIbLb0EES1A_IbLb1EEEEDaS16_S17_EUlS16_E_NS1_11comp_targetILNS1_3genE10ELNS1_11target_archE1200ELNS1_3gpuE4ELNS1_3repE0EEENS1_30default_config_static_selectorELNS0_4arch9wavefront6targetE0EEEvT1_.numbered_sgpr, 18
	.set _ZN7rocprim17ROCPRIM_400000_NS6detail17trampoline_kernelINS0_14default_configENS1_25partition_config_selectorILNS1_17partition_subalgoE6EfNS0_10empty_typeEbEEZZNS1_14partition_implILS5_6ELb0ES3_mN6thrust23THRUST_200600_302600_NS6detail15normal_iteratorINSA_10device_ptrIfEEEEPS6_SG_NS0_5tupleIJNSA_16discard_iteratorINSA_11use_defaultEEES6_EEENSH_IJSG_SG_EEES6_PlJNSB_9not_fun_tI7is_trueIfEEEEEE10hipError_tPvRmT3_T4_T5_T6_T7_T9_mT8_P12ihipStream_tbDpT10_ENKUlT_T0_E_clISt17integral_constantIbLb0EES1A_IbLb1EEEEDaS16_S17_EUlS16_E_NS1_11comp_targetILNS1_3genE10ELNS1_11target_archE1200ELNS1_3gpuE4ELNS1_3repE0EEENS1_30default_config_static_selectorELNS0_4arch9wavefront6targetE0EEEvT1_.num_named_barrier, 0
	.set _ZN7rocprim17ROCPRIM_400000_NS6detail17trampoline_kernelINS0_14default_configENS1_25partition_config_selectorILNS1_17partition_subalgoE6EfNS0_10empty_typeEbEEZZNS1_14partition_implILS5_6ELb0ES3_mN6thrust23THRUST_200600_302600_NS6detail15normal_iteratorINSA_10device_ptrIfEEEEPS6_SG_NS0_5tupleIJNSA_16discard_iteratorINSA_11use_defaultEEES6_EEENSH_IJSG_SG_EEES6_PlJNSB_9not_fun_tI7is_trueIfEEEEEE10hipError_tPvRmT3_T4_T5_T6_T7_T9_mT8_P12ihipStream_tbDpT10_ENKUlT_T0_E_clISt17integral_constantIbLb0EES1A_IbLb1EEEEDaS16_S17_EUlS16_E_NS1_11comp_targetILNS1_3genE10ELNS1_11target_archE1200ELNS1_3gpuE4ELNS1_3repE0EEENS1_30default_config_static_selectorELNS0_4arch9wavefront6targetE0EEEvT1_.private_seg_size, 0
	.set _ZN7rocprim17ROCPRIM_400000_NS6detail17trampoline_kernelINS0_14default_configENS1_25partition_config_selectorILNS1_17partition_subalgoE6EfNS0_10empty_typeEbEEZZNS1_14partition_implILS5_6ELb0ES3_mN6thrust23THRUST_200600_302600_NS6detail15normal_iteratorINSA_10device_ptrIfEEEEPS6_SG_NS0_5tupleIJNSA_16discard_iteratorINSA_11use_defaultEEES6_EEENSH_IJSG_SG_EEES6_PlJNSB_9not_fun_tI7is_trueIfEEEEEE10hipError_tPvRmT3_T4_T5_T6_T7_T9_mT8_P12ihipStream_tbDpT10_ENKUlT_T0_E_clISt17integral_constantIbLb0EES1A_IbLb1EEEEDaS16_S17_EUlS16_E_NS1_11comp_targetILNS1_3genE10ELNS1_11target_archE1200ELNS1_3gpuE4ELNS1_3repE0EEENS1_30default_config_static_selectorELNS0_4arch9wavefront6targetE0EEEvT1_.uses_vcc, 1
	.set _ZN7rocprim17ROCPRIM_400000_NS6detail17trampoline_kernelINS0_14default_configENS1_25partition_config_selectorILNS1_17partition_subalgoE6EfNS0_10empty_typeEbEEZZNS1_14partition_implILS5_6ELb0ES3_mN6thrust23THRUST_200600_302600_NS6detail15normal_iteratorINSA_10device_ptrIfEEEEPS6_SG_NS0_5tupleIJNSA_16discard_iteratorINSA_11use_defaultEEES6_EEENSH_IJSG_SG_EEES6_PlJNSB_9not_fun_tI7is_trueIfEEEEEE10hipError_tPvRmT3_T4_T5_T6_T7_T9_mT8_P12ihipStream_tbDpT10_ENKUlT_T0_E_clISt17integral_constantIbLb0EES1A_IbLb1EEEEDaS16_S17_EUlS16_E_NS1_11comp_targetILNS1_3genE10ELNS1_11target_archE1200ELNS1_3gpuE4ELNS1_3repE0EEENS1_30default_config_static_selectorELNS0_4arch9wavefront6targetE0EEEvT1_.uses_flat_scratch, 1
	.set _ZN7rocprim17ROCPRIM_400000_NS6detail17trampoline_kernelINS0_14default_configENS1_25partition_config_selectorILNS1_17partition_subalgoE6EfNS0_10empty_typeEbEEZZNS1_14partition_implILS5_6ELb0ES3_mN6thrust23THRUST_200600_302600_NS6detail15normal_iteratorINSA_10device_ptrIfEEEEPS6_SG_NS0_5tupleIJNSA_16discard_iteratorINSA_11use_defaultEEES6_EEENSH_IJSG_SG_EEES6_PlJNSB_9not_fun_tI7is_trueIfEEEEEE10hipError_tPvRmT3_T4_T5_T6_T7_T9_mT8_P12ihipStream_tbDpT10_ENKUlT_T0_E_clISt17integral_constantIbLb0EES1A_IbLb1EEEEDaS16_S17_EUlS16_E_NS1_11comp_targetILNS1_3genE10ELNS1_11target_archE1200ELNS1_3gpuE4ELNS1_3repE0EEENS1_30default_config_static_selectorELNS0_4arch9wavefront6targetE0EEEvT1_.has_dyn_sized_stack, 0
	.set _ZN7rocprim17ROCPRIM_400000_NS6detail17trampoline_kernelINS0_14default_configENS1_25partition_config_selectorILNS1_17partition_subalgoE6EfNS0_10empty_typeEbEEZZNS1_14partition_implILS5_6ELb0ES3_mN6thrust23THRUST_200600_302600_NS6detail15normal_iteratorINSA_10device_ptrIfEEEEPS6_SG_NS0_5tupleIJNSA_16discard_iteratorINSA_11use_defaultEEES6_EEENSH_IJSG_SG_EEES6_PlJNSB_9not_fun_tI7is_trueIfEEEEEE10hipError_tPvRmT3_T4_T5_T6_T7_T9_mT8_P12ihipStream_tbDpT10_ENKUlT_T0_E_clISt17integral_constantIbLb0EES1A_IbLb1EEEEDaS16_S17_EUlS16_E_NS1_11comp_targetILNS1_3genE10ELNS1_11target_archE1200ELNS1_3gpuE4ELNS1_3repE0EEENS1_30default_config_static_selectorELNS0_4arch9wavefront6targetE0EEEvT1_.has_recursion, 0
	.set _ZN7rocprim17ROCPRIM_400000_NS6detail17trampoline_kernelINS0_14default_configENS1_25partition_config_selectorILNS1_17partition_subalgoE6EfNS0_10empty_typeEbEEZZNS1_14partition_implILS5_6ELb0ES3_mN6thrust23THRUST_200600_302600_NS6detail15normal_iteratorINSA_10device_ptrIfEEEEPS6_SG_NS0_5tupleIJNSA_16discard_iteratorINSA_11use_defaultEEES6_EEENSH_IJSG_SG_EEES6_PlJNSB_9not_fun_tI7is_trueIfEEEEEE10hipError_tPvRmT3_T4_T5_T6_T7_T9_mT8_P12ihipStream_tbDpT10_ENKUlT_T0_E_clISt17integral_constantIbLb0EES1A_IbLb1EEEEDaS16_S17_EUlS16_E_NS1_11comp_targetILNS1_3genE10ELNS1_11target_archE1200ELNS1_3gpuE4ELNS1_3repE0EEENS1_30default_config_static_selectorELNS0_4arch9wavefront6targetE0EEEvT1_.has_indirect_call, 0
	.section	.AMDGPU.csdata,"",@progbits
; Kernel info:
; codeLenInByte = 6676
; TotalNumSgprs: 20
; NumVgprs: 50
; ScratchSize: 0
; MemoryBound: 0
; FloatMode: 240
; IeeeMode: 1
; LDSByteSize: 10768 bytes/workgroup (compile time only)
; SGPRBlocks: 0
; VGPRBlocks: 6
; NumSGPRsForWavesPerEU: 20
; NumVGPRsForWavesPerEU: 50
; Occupancy: 15
; WaveLimiterHint : 1
; COMPUTE_PGM_RSRC2:SCRATCH_EN: 0
; COMPUTE_PGM_RSRC2:USER_SGPR: 2
; COMPUTE_PGM_RSRC2:TRAP_HANDLER: 0
; COMPUTE_PGM_RSRC2:TGID_X_EN: 1
; COMPUTE_PGM_RSRC2:TGID_Y_EN: 0
; COMPUTE_PGM_RSRC2:TGID_Z_EN: 0
; COMPUTE_PGM_RSRC2:TIDIG_COMP_CNT: 0
	.section	.text._ZN7rocprim17ROCPRIM_400000_NS6detail17trampoline_kernelINS0_14default_configENS1_25partition_config_selectorILNS1_17partition_subalgoE6EfNS0_10empty_typeEbEEZZNS1_14partition_implILS5_6ELb0ES3_mN6thrust23THRUST_200600_302600_NS6detail15normal_iteratorINSA_10device_ptrIfEEEEPS6_SG_NS0_5tupleIJNSA_16discard_iteratorINSA_11use_defaultEEES6_EEENSH_IJSG_SG_EEES6_PlJNSB_9not_fun_tI7is_trueIfEEEEEE10hipError_tPvRmT3_T4_T5_T6_T7_T9_mT8_P12ihipStream_tbDpT10_ENKUlT_T0_E_clISt17integral_constantIbLb0EES1A_IbLb1EEEEDaS16_S17_EUlS16_E_NS1_11comp_targetILNS1_3genE9ELNS1_11target_archE1100ELNS1_3gpuE3ELNS1_3repE0EEENS1_30default_config_static_selectorELNS0_4arch9wavefront6targetE0EEEvT1_,"axG",@progbits,_ZN7rocprim17ROCPRIM_400000_NS6detail17trampoline_kernelINS0_14default_configENS1_25partition_config_selectorILNS1_17partition_subalgoE6EfNS0_10empty_typeEbEEZZNS1_14partition_implILS5_6ELb0ES3_mN6thrust23THRUST_200600_302600_NS6detail15normal_iteratorINSA_10device_ptrIfEEEEPS6_SG_NS0_5tupleIJNSA_16discard_iteratorINSA_11use_defaultEEES6_EEENSH_IJSG_SG_EEES6_PlJNSB_9not_fun_tI7is_trueIfEEEEEE10hipError_tPvRmT3_T4_T5_T6_T7_T9_mT8_P12ihipStream_tbDpT10_ENKUlT_T0_E_clISt17integral_constantIbLb0EES1A_IbLb1EEEEDaS16_S17_EUlS16_E_NS1_11comp_targetILNS1_3genE9ELNS1_11target_archE1100ELNS1_3gpuE3ELNS1_3repE0EEENS1_30default_config_static_selectorELNS0_4arch9wavefront6targetE0EEEvT1_,comdat
	.protected	_ZN7rocprim17ROCPRIM_400000_NS6detail17trampoline_kernelINS0_14default_configENS1_25partition_config_selectorILNS1_17partition_subalgoE6EfNS0_10empty_typeEbEEZZNS1_14partition_implILS5_6ELb0ES3_mN6thrust23THRUST_200600_302600_NS6detail15normal_iteratorINSA_10device_ptrIfEEEEPS6_SG_NS0_5tupleIJNSA_16discard_iteratorINSA_11use_defaultEEES6_EEENSH_IJSG_SG_EEES6_PlJNSB_9not_fun_tI7is_trueIfEEEEEE10hipError_tPvRmT3_T4_T5_T6_T7_T9_mT8_P12ihipStream_tbDpT10_ENKUlT_T0_E_clISt17integral_constantIbLb0EES1A_IbLb1EEEEDaS16_S17_EUlS16_E_NS1_11comp_targetILNS1_3genE9ELNS1_11target_archE1100ELNS1_3gpuE3ELNS1_3repE0EEENS1_30default_config_static_selectorELNS0_4arch9wavefront6targetE0EEEvT1_ ; -- Begin function _ZN7rocprim17ROCPRIM_400000_NS6detail17trampoline_kernelINS0_14default_configENS1_25partition_config_selectorILNS1_17partition_subalgoE6EfNS0_10empty_typeEbEEZZNS1_14partition_implILS5_6ELb0ES3_mN6thrust23THRUST_200600_302600_NS6detail15normal_iteratorINSA_10device_ptrIfEEEEPS6_SG_NS0_5tupleIJNSA_16discard_iteratorINSA_11use_defaultEEES6_EEENSH_IJSG_SG_EEES6_PlJNSB_9not_fun_tI7is_trueIfEEEEEE10hipError_tPvRmT3_T4_T5_T6_T7_T9_mT8_P12ihipStream_tbDpT10_ENKUlT_T0_E_clISt17integral_constantIbLb0EES1A_IbLb1EEEEDaS16_S17_EUlS16_E_NS1_11comp_targetILNS1_3genE9ELNS1_11target_archE1100ELNS1_3gpuE3ELNS1_3repE0EEENS1_30default_config_static_selectorELNS0_4arch9wavefront6targetE0EEEvT1_
	.globl	_ZN7rocprim17ROCPRIM_400000_NS6detail17trampoline_kernelINS0_14default_configENS1_25partition_config_selectorILNS1_17partition_subalgoE6EfNS0_10empty_typeEbEEZZNS1_14partition_implILS5_6ELb0ES3_mN6thrust23THRUST_200600_302600_NS6detail15normal_iteratorINSA_10device_ptrIfEEEEPS6_SG_NS0_5tupleIJNSA_16discard_iteratorINSA_11use_defaultEEES6_EEENSH_IJSG_SG_EEES6_PlJNSB_9not_fun_tI7is_trueIfEEEEEE10hipError_tPvRmT3_T4_T5_T6_T7_T9_mT8_P12ihipStream_tbDpT10_ENKUlT_T0_E_clISt17integral_constantIbLb0EES1A_IbLb1EEEEDaS16_S17_EUlS16_E_NS1_11comp_targetILNS1_3genE9ELNS1_11target_archE1100ELNS1_3gpuE3ELNS1_3repE0EEENS1_30default_config_static_selectorELNS0_4arch9wavefront6targetE0EEEvT1_
	.p2align	8
	.type	_ZN7rocprim17ROCPRIM_400000_NS6detail17trampoline_kernelINS0_14default_configENS1_25partition_config_selectorILNS1_17partition_subalgoE6EfNS0_10empty_typeEbEEZZNS1_14partition_implILS5_6ELb0ES3_mN6thrust23THRUST_200600_302600_NS6detail15normal_iteratorINSA_10device_ptrIfEEEEPS6_SG_NS0_5tupleIJNSA_16discard_iteratorINSA_11use_defaultEEES6_EEENSH_IJSG_SG_EEES6_PlJNSB_9not_fun_tI7is_trueIfEEEEEE10hipError_tPvRmT3_T4_T5_T6_T7_T9_mT8_P12ihipStream_tbDpT10_ENKUlT_T0_E_clISt17integral_constantIbLb0EES1A_IbLb1EEEEDaS16_S17_EUlS16_E_NS1_11comp_targetILNS1_3genE9ELNS1_11target_archE1100ELNS1_3gpuE3ELNS1_3repE0EEENS1_30default_config_static_selectorELNS0_4arch9wavefront6targetE0EEEvT1_,@function
_ZN7rocprim17ROCPRIM_400000_NS6detail17trampoline_kernelINS0_14default_configENS1_25partition_config_selectorILNS1_17partition_subalgoE6EfNS0_10empty_typeEbEEZZNS1_14partition_implILS5_6ELb0ES3_mN6thrust23THRUST_200600_302600_NS6detail15normal_iteratorINSA_10device_ptrIfEEEEPS6_SG_NS0_5tupleIJNSA_16discard_iteratorINSA_11use_defaultEEES6_EEENSH_IJSG_SG_EEES6_PlJNSB_9not_fun_tI7is_trueIfEEEEEE10hipError_tPvRmT3_T4_T5_T6_T7_T9_mT8_P12ihipStream_tbDpT10_ENKUlT_T0_E_clISt17integral_constantIbLb0EES1A_IbLb1EEEEDaS16_S17_EUlS16_E_NS1_11comp_targetILNS1_3genE9ELNS1_11target_archE1100ELNS1_3gpuE3ELNS1_3repE0EEENS1_30default_config_static_selectorELNS0_4arch9wavefront6targetE0EEEvT1_: ; @_ZN7rocprim17ROCPRIM_400000_NS6detail17trampoline_kernelINS0_14default_configENS1_25partition_config_selectorILNS1_17partition_subalgoE6EfNS0_10empty_typeEbEEZZNS1_14partition_implILS5_6ELb0ES3_mN6thrust23THRUST_200600_302600_NS6detail15normal_iteratorINSA_10device_ptrIfEEEEPS6_SG_NS0_5tupleIJNSA_16discard_iteratorINSA_11use_defaultEEES6_EEENSH_IJSG_SG_EEES6_PlJNSB_9not_fun_tI7is_trueIfEEEEEE10hipError_tPvRmT3_T4_T5_T6_T7_T9_mT8_P12ihipStream_tbDpT10_ENKUlT_T0_E_clISt17integral_constantIbLb0EES1A_IbLb1EEEEDaS16_S17_EUlS16_E_NS1_11comp_targetILNS1_3genE9ELNS1_11target_archE1100ELNS1_3gpuE3ELNS1_3repE0EEENS1_30default_config_static_selectorELNS0_4arch9wavefront6targetE0EEEvT1_
; %bb.0:
	.section	.rodata,"a",@progbits
	.p2align	6, 0x0
	.amdhsa_kernel _ZN7rocprim17ROCPRIM_400000_NS6detail17trampoline_kernelINS0_14default_configENS1_25partition_config_selectorILNS1_17partition_subalgoE6EfNS0_10empty_typeEbEEZZNS1_14partition_implILS5_6ELb0ES3_mN6thrust23THRUST_200600_302600_NS6detail15normal_iteratorINSA_10device_ptrIfEEEEPS6_SG_NS0_5tupleIJNSA_16discard_iteratorINSA_11use_defaultEEES6_EEENSH_IJSG_SG_EEES6_PlJNSB_9not_fun_tI7is_trueIfEEEEEE10hipError_tPvRmT3_T4_T5_T6_T7_T9_mT8_P12ihipStream_tbDpT10_ENKUlT_T0_E_clISt17integral_constantIbLb0EES1A_IbLb1EEEEDaS16_S17_EUlS16_E_NS1_11comp_targetILNS1_3genE9ELNS1_11target_archE1100ELNS1_3gpuE3ELNS1_3repE0EEENS1_30default_config_static_selectorELNS0_4arch9wavefront6targetE0EEEvT1_
		.amdhsa_group_segment_fixed_size 0
		.amdhsa_private_segment_fixed_size 0
		.amdhsa_kernarg_size 136
		.amdhsa_user_sgpr_count 2
		.amdhsa_user_sgpr_dispatch_ptr 0
		.amdhsa_user_sgpr_queue_ptr 0
		.amdhsa_user_sgpr_kernarg_segment_ptr 1
		.amdhsa_user_sgpr_dispatch_id 0
		.amdhsa_user_sgpr_private_segment_size 0
		.amdhsa_wavefront_size32 1
		.amdhsa_uses_dynamic_stack 0
		.amdhsa_enable_private_segment 0
		.amdhsa_system_sgpr_workgroup_id_x 1
		.amdhsa_system_sgpr_workgroup_id_y 0
		.amdhsa_system_sgpr_workgroup_id_z 0
		.amdhsa_system_sgpr_workgroup_info 0
		.amdhsa_system_vgpr_workitem_id 0
		.amdhsa_next_free_vgpr 1
		.amdhsa_next_free_sgpr 1
		.amdhsa_reserve_vcc 0
		.amdhsa_float_round_mode_32 0
		.amdhsa_float_round_mode_16_64 0
		.amdhsa_float_denorm_mode_32 3
		.amdhsa_float_denorm_mode_16_64 3
		.amdhsa_fp16_overflow 0
		.amdhsa_workgroup_processor_mode 1
		.amdhsa_memory_ordered 1
		.amdhsa_forward_progress 1
		.amdhsa_inst_pref_size 0
		.amdhsa_round_robin_scheduling 0
		.amdhsa_exception_fp_ieee_invalid_op 0
		.amdhsa_exception_fp_denorm_src 0
		.amdhsa_exception_fp_ieee_div_zero 0
		.amdhsa_exception_fp_ieee_overflow 0
		.amdhsa_exception_fp_ieee_underflow 0
		.amdhsa_exception_fp_ieee_inexact 0
		.amdhsa_exception_int_div_zero 0
	.end_amdhsa_kernel
	.section	.text._ZN7rocprim17ROCPRIM_400000_NS6detail17trampoline_kernelINS0_14default_configENS1_25partition_config_selectorILNS1_17partition_subalgoE6EfNS0_10empty_typeEbEEZZNS1_14partition_implILS5_6ELb0ES3_mN6thrust23THRUST_200600_302600_NS6detail15normal_iteratorINSA_10device_ptrIfEEEEPS6_SG_NS0_5tupleIJNSA_16discard_iteratorINSA_11use_defaultEEES6_EEENSH_IJSG_SG_EEES6_PlJNSB_9not_fun_tI7is_trueIfEEEEEE10hipError_tPvRmT3_T4_T5_T6_T7_T9_mT8_P12ihipStream_tbDpT10_ENKUlT_T0_E_clISt17integral_constantIbLb0EES1A_IbLb1EEEEDaS16_S17_EUlS16_E_NS1_11comp_targetILNS1_3genE9ELNS1_11target_archE1100ELNS1_3gpuE3ELNS1_3repE0EEENS1_30default_config_static_selectorELNS0_4arch9wavefront6targetE0EEEvT1_,"axG",@progbits,_ZN7rocprim17ROCPRIM_400000_NS6detail17trampoline_kernelINS0_14default_configENS1_25partition_config_selectorILNS1_17partition_subalgoE6EfNS0_10empty_typeEbEEZZNS1_14partition_implILS5_6ELb0ES3_mN6thrust23THRUST_200600_302600_NS6detail15normal_iteratorINSA_10device_ptrIfEEEEPS6_SG_NS0_5tupleIJNSA_16discard_iteratorINSA_11use_defaultEEES6_EEENSH_IJSG_SG_EEES6_PlJNSB_9not_fun_tI7is_trueIfEEEEEE10hipError_tPvRmT3_T4_T5_T6_T7_T9_mT8_P12ihipStream_tbDpT10_ENKUlT_T0_E_clISt17integral_constantIbLb0EES1A_IbLb1EEEEDaS16_S17_EUlS16_E_NS1_11comp_targetILNS1_3genE9ELNS1_11target_archE1100ELNS1_3gpuE3ELNS1_3repE0EEENS1_30default_config_static_selectorELNS0_4arch9wavefront6targetE0EEEvT1_,comdat
.Lfunc_end2139:
	.size	_ZN7rocprim17ROCPRIM_400000_NS6detail17trampoline_kernelINS0_14default_configENS1_25partition_config_selectorILNS1_17partition_subalgoE6EfNS0_10empty_typeEbEEZZNS1_14partition_implILS5_6ELb0ES3_mN6thrust23THRUST_200600_302600_NS6detail15normal_iteratorINSA_10device_ptrIfEEEEPS6_SG_NS0_5tupleIJNSA_16discard_iteratorINSA_11use_defaultEEES6_EEENSH_IJSG_SG_EEES6_PlJNSB_9not_fun_tI7is_trueIfEEEEEE10hipError_tPvRmT3_T4_T5_T6_T7_T9_mT8_P12ihipStream_tbDpT10_ENKUlT_T0_E_clISt17integral_constantIbLb0EES1A_IbLb1EEEEDaS16_S17_EUlS16_E_NS1_11comp_targetILNS1_3genE9ELNS1_11target_archE1100ELNS1_3gpuE3ELNS1_3repE0EEENS1_30default_config_static_selectorELNS0_4arch9wavefront6targetE0EEEvT1_, .Lfunc_end2139-_ZN7rocprim17ROCPRIM_400000_NS6detail17trampoline_kernelINS0_14default_configENS1_25partition_config_selectorILNS1_17partition_subalgoE6EfNS0_10empty_typeEbEEZZNS1_14partition_implILS5_6ELb0ES3_mN6thrust23THRUST_200600_302600_NS6detail15normal_iteratorINSA_10device_ptrIfEEEEPS6_SG_NS0_5tupleIJNSA_16discard_iteratorINSA_11use_defaultEEES6_EEENSH_IJSG_SG_EEES6_PlJNSB_9not_fun_tI7is_trueIfEEEEEE10hipError_tPvRmT3_T4_T5_T6_T7_T9_mT8_P12ihipStream_tbDpT10_ENKUlT_T0_E_clISt17integral_constantIbLb0EES1A_IbLb1EEEEDaS16_S17_EUlS16_E_NS1_11comp_targetILNS1_3genE9ELNS1_11target_archE1100ELNS1_3gpuE3ELNS1_3repE0EEENS1_30default_config_static_selectorELNS0_4arch9wavefront6targetE0EEEvT1_
                                        ; -- End function
	.set _ZN7rocprim17ROCPRIM_400000_NS6detail17trampoline_kernelINS0_14default_configENS1_25partition_config_selectorILNS1_17partition_subalgoE6EfNS0_10empty_typeEbEEZZNS1_14partition_implILS5_6ELb0ES3_mN6thrust23THRUST_200600_302600_NS6detail15normal_iteratorINSA_10device_ptrIfEEEEPS6_SG_NS0_5tupleIJNSA_16discard_iteratorINSA_11use_defaultEEES6_EEENSH_IJSG_SG_EEES6_PlJNSB_9not_fun_tI7is_trueIfEEEEEE10hipError_tPvRmT3_T4_T5_T6_T7_T9_mT8_P12ihipStream_tbDpT10_ENKUlT_T0_E_clISt17integral_constantIbLb0EES1A_IbLb1EEEEDaS16_S17_EUlS16_E_NS1_11comp_targetILNS1_3genE9ELNS1_11target_archE1100ELNS1_3gpuE3ELNS1_3repE0EEENS1_30default_config_static_selectorELNS0_4arch9wavefront6targetE0EEEvT1_.num_vgpr, 0
	.set _ZN7rocprim17ROCPRIM_400000_NS6detail17trampoline_kernelINS0_14default_configENS1_25partition_config_selectorILNS1_17partition_subalgoE6EfNS0_10empty_typeEbEEZZNS1_14partition_implILS5_6ELb0ES3_mN6thrust23THRUST_200600_302600_NS6detail15normal_iteratorINSA_10device_ptrIfEEEEPS6_SG_NS0_5tupleIJNSA_16discard_iteratorINSA_11use_defaultEEES6_EEENSH_IJSG_SG_EEES6_PlJNSB_9not_fun_tI7is_trueIfEEEEEE10hipError_tPvRmT3_T4_T5_T6_T7_T9_mT8_P12ihipStream_tbDpT10_ENKUlT_T0_E_clISt17integral_constantIbLb0EES1A_IbLb1EEEEDaS16_S17_EUlS16_E_NS1_11comp_targetILNS1_3genE9ELNS1_11target_archE1100ELNS1_3gpuE3ELNS1_3repE0EEENS1_30default_config_static_selectorELNS0_4arch9wavefront6targetE0EEEvT1_.num_agpr, 0
	.set _ZN7rocprim17ROCPRIM_400000_NS6detail17trampoline_kernelINS0_14default_configENS1_25partition_config_selectorILNS1_17partition_subalgoE6EfNS0_10empty_typeEbEEZZNS1_14partition_implILS5_6ELb0ES3_mN6thrust23THRUST_200600_302600_NS6detail15normal_iteratorINSA_10device_ptrIfEEEEPS6_SG_NS0_5tupleIJNSA_16discard_iteratorINSA_11use_defaultEEES6_EEENSH_IJSG_SG_EEES6_PlJNSB_9not_fun_tI7is_trueIfEEEEEE10hipError_tPvRmT3_T4_T5_T6_T7_T9_mT8_P12ihipStream_tbDpT10_ENKUlT_T0_E_clISt17integral_constantIbLb0EES1A_IbLb1EEEEDaS16_S17_EUlS16_E_NS1_11comp_targetILNS1_3genE9ELNS1_11target_archE1100ELNS1_3gpuE3ELNS1_3repE0EEENS1_30default_config_static_selectorELNS0_4arch9wavefront6targetE0EEEvT1_.numbered_sgpr, 0
	.set _ZN7rocprim17ROCPRIM_400000_NS6detail17trampoline_kernelINS0_14default_configENS1_25partition_config_selectorILNS1_17partition_subalgoE6EfNS0_10empty_typeEbEEZZNS1_14partition_implILS5_6ELb0ES3_mN6thrust23THRUST_200600_302600_NS6detail15normal_iteratorINSA_10device_ptrIfEEEEPS6_SG_NS0_5tupleIJNSA_16discard_iteratorINSA_11use_defaultEEES6_EEENSH_IJSG_SG_EEES6_PlJNSB_9not_fun_tI7is_trueIfEEEEEE10hipError_tPvRmT3_T4_T5_T6_T7_T9_mT8_P12ihipStream_tbDpT10_ENKUlT_T0_E_clISt17integral_constantIbLb0EES1A_IbLb1EEEEDaS16_S17_EUlS16_E_NS1_11comp_targetILNS1_3genE9ELNS1_11target_archE1100ELNS1_3gpuE3ELNS1_3repE0EEENS1_30default_config_static_selectorELNS0_4arch9wavefront6targetE0EEEvT1_.num_named_barrier, 0
	.set _ZN7rocprim17ROCPRIM_400000_NS6detail17trampoline_kernelINS0_14default_configENS1_25partition_config_selectorILNS1_17partition_subalgoE6EfNS0_10empty_typeEbEEZZNS1_14partition_implILS5_6ELb0ES3_mN6thrust23THRUST_200600_302600_NS6detail15normal_iteratorINSA_10device_ptrIfEEEEPS6_SG_NS0_5tupleIJNSA_16discard_iteratorINSA_11use_defaultEEES6_EEENSH_IJSG_SG_EEES6_PlJNSB_9not_fun_tI7is_trueIfEEEEEE10hipError_tPvRmT3_T4_T5_T6_T7_T9_mT8_P12ihipStream_tbDpT10_ENKUlT_T0_E_clISt17integral_constantIbLb0EES1A_IbLb1EEEEDaS16_S17_EUlS16_E_NS1_11comp_targetILNS1_3genE9ELNS1_11target_archE1100ELNS1_3gpuE3ELNS1_3repE0EEENS1_30default_config_static_selectorELNS0_4arch9wavefront6targetE0EEEvT1_.private_seg_size, 0
	.set _ZN7rocprim17ROCPRIM_400000_NS6detail17trampoline_kernelINS0_14default_configENS1_25partition_config_selectorILNS1_17partition_subalgoE6EfNS0_10empty_typeEbEEZZNS1_14partition_implILS5_6ELb0ES3_mN6thrust23THRUST_200600_302600_NS6detail15normal_iteratorINSA_10device_ptrIfEEEEPS6_SG_NS0_5tupleIJNSA_16discard_iteratorINSA_11use_defaultEEES6_EEENSH_IJSG_SG_EEES6_PlJNSB_9not_fun_tI7is_trueIfEEEEEE10hipError_tPvRmT3_T4_T5_T6_T7_T9_mT8_P12ihipStream_tbDpT10_ENKUlT_T0_E_clISt17integral_constantIbLb0EES1A_IbLb1EEEEDaS16_S17_EUlS16_E_NS1_11comp_targetILNS1_3genE9ELNS1_11target_archE1100ELNS1_3gpuE3ELNS1_3repE0EEENS1_30default_config_static_selectorELNS0_4arch9wavefront6targetE0EEEvT1_.uses_vcc, 0
	.set _ZN7rocprim17ROCPRIM_400000_NS6detail17trampoline_kernelINS0_14default_configENS1_25partition_config_selectorILNS1_17partition_subalgoE6EfNS0_10empty_typeEbEEZZNS1_14partition_implILS5_6ELb0ES3_mN6thrust23THRUST_200600_302600_NS6detail15normal_iteratorINSA_10device_ptrIfEEEEPS6_SG_NS0_5tupleIJNSA_16discard_iteratorINSA_11use_defaultEEES6_EEENSH_IJSG_SG_EEES6_PlJNSB_9not_fun_tI7is_trueIfEEEEEE10hipError_tPvRmT3_T4_T5_T6_T7_T9_mT8_P12ihipStream_tbDpT10_ENKUlT_T0_E_clISt17integral_constantIbLb0EES1A_IbLb1EEEEDaS16_S17_EUlS16_E_NS1_11comp_targetILNS1_3genE9ELNS1_11target_archE1100ELNS1_3gpuE3ELNS1_3repE0EEENS1_30default_config_static_selectorELNS0_4arch9wavefront6targetE0EEEvT1_.uses_flat_scratch, 0
	.set _ZN7rocprim17ROCPRIM_400000_NS6detail17trampoline_kernelINS0_14default_configENS1_25partition_config_selectorILNS1_17partition_subalgoE6EfNS0_10empty_typeEbEEZZNS1_14partition_implILS5_6ELb0ES3_mN6thrust23THRUST_200600_302600_NS6detail15normal_iteratorINSA_10device_ptrIfEEEEPS6_SG_NS0_5tupleIJNSA_16discard_iteratorINSA_11use_defaultEEES6_EEENSH_IJSG_SG_EEES6_PlJNSB_9not_fun_tI7is_trueIfEEEEEE10hipError_tPvRmT3_T4_T5_T6_T7_T9_mT8_P12ihipStream_tbDpT10_ENKUlT_T0_E_clISt17integral_constantIbLb0EES1A_IbLb1EEEEDaS16_S17_EUlS16_E_NS1_11comp_targetILNS1_3genE9ELNS1_11target_archE1100ELNS1_3gpuE3ELNS1_3repE0EEENS1_30default_config_static_selectorELNS0_4arch9wavefront6targetE0EEEvT1_.has_dyn_sized_stack, 0
	.set _ZN7rocprim17ROCPRIM_400000_NS6detail17trampoline_kernelINS0_14default_configENS1_25partition_config_selectorILNS1_17partition_subalgoE6EfNS0_10empty_typeEbEEZZNS1_14partition_implILS5_6ELb0ES3_mN6thrust23THRUST_200600_302600_NS6detail15normal_iteratorINSA_10device_ptrIfEEEEPS6_SG_NS0_5tupleIJNSA_16discard_iteratorINSA_11use_defaultEEES6_EEENSH_IJSG_SG_EEES6_PlJNSB_9not_fun_tI7is_trueIfEEEEEE10hipError_tPvRmT3_T4_T5_T6_T7_T9_mT8_P12ihipStream_tbDpT10_ENKUlT_T0_E_clISt17integral_constantIbLb0EES1A_IbLb1EEEEDaS16_S17_EUlS16_E_NS1_11comp_targetILNS1_3genE9ELNS1_11target_archE1100ELNS1_3gpuE3ELNS1_3repE0EEENS1_30default_config_static_selectorELNS0_4arch9wavefront6targetE0EEEvT1_.has_recursion, 0
	.set _ZN7rocprim17ROCPRIM_400000_NS6detail17trampoline_kernelINS0_14default_configENS1_25partition_config_selectorILNS1_17partition_subalgoE6EfNS0_10empty_typeEbEEZZNS1_14partition_implILS5_6ELb0ES3_mN6thrust23THRUST_200600_302600_NS6detail15normal_iteratorINSA_10device_ptrIfEEEEPS6_SG_NS0_5tupleIJNSA_16discard_iteratorINSA_11use_defaultEEES6_EEENSH_IJSG_SG_EEES6_PlJNSB_9not_fun_tI7is_trueIfEEEEEE10hipError_tPvRmT3_T4_T5_T6_T7_T9_mT8_P12ihipStream_tbDpT10_ENKUlT_T0_E_clISt17integral_constantIbLb0EES1A_IbLb1EEEEDaS16_S17_EUlS16_E_NS1_11comp_targetILNS1_3genE9ELNS1_11target_archE1100ELNS1_3gpuE3ELNS1_3repE0EEENS1_30default_config_static_selectorELNS0_4arch9wavefront6targetE0EEEvT1_.has_indirect_call, 0
	.section	.AMDGPU.csdata,"",@progbits
; Kernel info:
; codeLenInByte = 0
; TotalNumSgprs: 0
; NumVgprs: 0
; ScratchSize: 0
; MemoryBound: 0
; FloatMode: 240
; IeeeMode: 1
; LDSByteSize: 0 bytes/workgroup (compile time only)
; SGPRBlocks: 0
; VGPRBlocks: 0
; NumSGPRsForWavesPerEU: 1
; NumVGPRsForWavesPerEU: 1
; Occupancy: 16
; WaveLimiterHint : 0
; COMPUTE_PGM_RSRC2:SCRATCH_EN: 0
; COMPUTE_PGM_RSRC2:USER_SGPR: 2
; COMPUTE_PGM_RSRC2:TRAP_HANDLER: 0
; COMPUTE_PGM_RSRC2:TGID_X_EN: 1
; COMPUTE_PGM_RSRC2:TGID_Y_EN: 0
; COMPUTE_PGM_RSRC2:TGID_Z_EN: 0
; COMPUTE_PGM_RSRC2:TIDIG_COMP_CNT: 0
	.section	.text._ZN7rocprim17ROCPRIM_400000_NS6detail17trampoline_kernelINS0_14default_configENS1_25partition_config_selectorILNS1_17partition_subalgoE6EfNS0_10empty_typeEbEEZZNS1_14partition_implILS5_6ELb0ES3_mN6thrust23THRUST_200600_302600_NS6detail15normal_iteratorINSA_10device_ptrIfEEEEPS6_SG_NS0_5tupleIJNSA_16discard_iteratorINSA_11use_defaultEEES6_EEENSH_IJSG_SG_EEES6_PlJNSB_9not_fun_tI7is_trueIfEEEEEE10hipError_tPvRmT3_T4_T5_T6_T7_T9_mT8_P12ihipStream_tbDpT10_ENKUlT_T0_E_clISt17integral_constantIbLb0EES1A_IbLb1EEEEDaS16_S17_EUlS16_E_NS1_11comp_targetILNS1_3genE8ELNS1_11target_archE1030ELNS1_3gpuE2ELNS1_3repE0EEENS1_30default_config_static_selectorELNS0_4arch9wavefront6targetE0EEEvT1_,"axG",@progbits,_ZN7rocprim17ROCPRIM_400000_NS6detail17trampoline_kernelINS0_14default_configENS1_25partition_config_selectorILNS1_17partition_subalgoE6EfNS0_10empty_typeEbEEZZNS1_14partition_implILS5_6ELb0ES3_mN6thrust23THRUST_200600_302600_NS6detail15normal_iteratorINSA_10device_ptrIfEEEEPS6_SG_NS0_5tupleIJNSA_16discard_iteratorINSA_11use_defaultEEES6_EEENSH_IJSG_SG_EEES6_PlJNSB_9not_fun_tI7is_trueIfEEEEEE10hipError_tPvRmT3_T4_T5_T6_T7_T9_mT8_P12ihipStream_tbDpT10_ENKUlT_T0_E_clISt17integral_constantIbLb0EES1A_IbLb1EEEEDaS16_S17_EUlS16_E_NS1_11comp_targetILNS1_3genE8ELNS1_11target_archE1030ELNS1_3gpuE2ELNS1_3repE0EEENS1_30default_config_static_selectorELNS0_4arch9wavefront6targetE0EEEvT1_,comdat
	.protected	_ZN7rocprim17ROCPRIM_400000_NS6detail17trampoline_kernelINS0_14default_configENS1_25partition_config_selectorILNS1_17partition_subalgoE6EfNS0_10empty_typeEbEEZZNS1_14partition_implILS5_6ELb0ES3_mN6thrust23THRUST_200600_302600_NS6detail15normal_iteratorINSA_10device_ptrIfEEEEPS6_SG_NS0_5tupleIJNSA_16discard_iteratorINSA_11use_defaultEEES6_EEENSH_IJSG_SG_EEES6_PlJNSB_9not_fun_tI7is_trueIfEEEEEE10hipError_tPvRmT3_T4_T5_T6_T7_T9_mT8_P12ihipStream_tbDpT10_ENKUlT_T0_E_clISt17integral_constantIbLb0EES1A_IbLb1EEEEDaS16_S17_EUlS16_E_NS1_11comp_targetILNS1_3genE8ELNS1_11target_archE1030ELNS1_3gpuE2ELNS1_3repE0EEENS1_30default_config_static_selectorELNS0_4arch9wavefront6targetE0EEEvT1_ ; -- Begin function _ZN7rocprim17ROCPRIM_400000_NS6detail17trampoline_kernelINS0_14default_configENS1_25partition_config_selectorILNS1_17partition_subalgoE6EfNS0_10empty_typeEbEEZZNS1_14partition_implILS5_6ELb0ES3_mN6thrust23THRUST_200600_302600_NS6detail15normal_iteratorINSA_10device_ptrIfEEEEPS6_SG_NS0_5tupleIJNSA_16discard_iteratorINSA_11use_defaultEEES6_EEENSH_IJSG_SG_EEES6_PlJNSB_9not_fun_tI7is_trueIfEEEEEE10hipError_tPvRmT3_T4_T5_T6_T7_T9_mT8_P12ihipStream_tbDpT10_ENKUlT_T0_E_clISt17integral_constantIbLb0EES1A_IbLb1EEEEDaS16_S17_EUlS16_E_NS1_11comp_targetILNS1_3genE8ELNS1_11target_archE1030ELNS1_3gpuE2ELNS1_3repE0EEENS1_30default_config_static_selectorELNS0_4arch9wavefront6targetE0EEEvT1_
	.globl	_ZN7rocprim17ROCPRIM_400000_NS6detail17trampoline_kernelINS0_14default_configENS1_25partition_config_selectorILNS1_17partition_subalgoE6EfNS0_10empty_typeEbEEZZNS1_14partition_implILS5_6ELb0ES3_mN6thrust23THRUST_200600_302600_NS6detail15normal_iteratorINSA_10device_ptrIfEEEEPS6_SG_NS0_5tupleIJNSA_16discard_iteratorINSA_11use_defaultEEES6_EEENSH_IJSG_SG_EEES6_PlJNSB_9not_fun_tI7is_trueIfEEEEEE10hipError_tPvRmT3_T4_T5_T6_T7_T9_mT8_P12ihipStream_tbDpT10_ENKUlT_T0_E_clISt17integral_constantIbLb0EES1A_IbLb1EEEEDaS16_S17_EUlS16_E_NS1_11comp_targetILNS1_3genE8ELNS1_11target_archE1030ELNS1_3gpuE2ELNS1_3repE0EEENS1_30default_config_static_selectorELNS0_4arch9wavefront6targetE0EEEvT1_
	.p2align	8
	.type	_ZN7rocprim17ROCPRIM_400000_NS6detail17trampoline_kernelINS0_14default_configENS1_25partition_config_selectorILNS1_17partition_subalgoE6EfNS0_10empty_typeEbEEZZNS1_14partition_implILS5_6ELb0ES3_mN6thrust23THRUST_200600_302600_NS6detail15normal_iteratorINSA_10device_ptrIfEEEEPS6_SG_NS0_5tupleIJNSA_16discard_iteratorINSA_11use_defaultEEES6_EEENSH_IJSG_SG_EEES6_PlJNSB_9not_fun_tI7is_trueIfEEEEEE10hipError_tPvRmT3_T4_T5_T6_T7_T9_mT8_P12ihipStream_tbDpT10_ENKUlT_T0_E_clISt17integral_constantIbLb0EES1A_IbLb1EEEEDaS16_S17_EUlS16_E_NS1_11comp_targetILNS1_3genE8ELNS1_11target_archE1030ELNS1_3gpuE2ELNS1_3repE0EEENS1_30default_config_static_selectorELNS0_4arch9wavefront6targetE0EEEvT1_,@function
_ZN7rocprim17ROCPRIM_400000_NS6detail17trampoline_kernelINS0_14default_configENS1_25partition_config_selectorILNS1_17partition_subalgoE6EfNS0_10empty_typeEbEEZZNS1_14partition_implILS5_6ELb0ES3_mN6thrust23THRUST_200600_302600_NS6detail15normal_iteratorINSA_10device_ptrIfEEEEPS6_SG_NS0_5tupleIJNSA_16discard_iteratorINSA_11use_defaultEEES6_EEENSH_IJSG_SG_EEES6_PlJNSB_9not_fun_tI7is_trueIfEEEEEE10hipError_tPvRmT3_T4_T5_T6_T7_T9_mT8_P12ihipStream_tbDpT10_ENKUlT_T0_E_clISt17integral_constantIbLb0EES1A_IbLb1EEEEDaS16_S17_EUlS16_E_NS1_11comp_targetILNS1_3genE8ELNS1_11target_archE1030ELNS1_3gpuE2ELNS1_3repE0EEENS1_30default_config_static_selectorELNS0_4arch9wavefront6targetE0EEEvT1_: ; @_ZN7rocprim17ROCPRIM_400000_NS6detail17trampoline_kernelINS0_14default_configENS1_25partition_config_selectorILNS1_17partition_subalgoE6EfNS0_10empty_typeEbEEZZNS1_14partition_implILS5_6ELb0ES3_mN6thrust23THRUST_200600_302600_NS6detail15normal_iteratorINSA_10device_ptrIfEEEEPS6_SG_NS0_5tupleIJNSA_16discard_iteratorINSA_11use_defaultEEES6_EEENSH_IJSG_SG_EEES6_PlJNSB_9not_fun_tI7is_trueIfEEEEEE10hipError_tPvRmT3_T4_T5_T6_T7_T9_mT8_P12ihipStream_tbDpT10_ENKUlT_T0_E_clISt17integral_constantIbLb0EES1A_IbLb1EEEEDaS16_S17_EUlS16_E_NS1_11comp_targetILNS1_3genE8ELNS1_11target_archE1030ELNS1_3gpuE2ELNS1_3repE0EEENS1_30default_config_static_selectorELNS0_4arch9wavefront6targetE0EEEvT1_
; %bb.0:
	.section	.rodata,"a",@progbits
	.p2align	6, 0x0
	.amdhsa_kernel _ZN7rocprim17ROCPRIM_400000_NS6detail17trampoline_kernelINS0_14default_configENS1_25partition_config_selectorILNS1_17partition_subalgoE6EfNS0_10empty_typeEbEEZZNS1_14partition_implILS5_6ELb0ES3_mN6thrust23THRUST_200600_302600_NS6detail15normal_iteratorINSA_10device_ptrIfEEEEPS6_SG_NS0_5tupleIJNSA_16discard_iteratorINSA_11use_defaultEEES6_EEENSH_IJSG_SG_EEES6_PlJNSB_9not_fun_tI7is_trueIfEEEEEE10hipError_tPvRmT3_T4_T5_T6_T7_T9_mT8_P12ihipStream_tbDpT10_ENKUlT_T0_E_clISt17integral_constantIbLb0EES1A_IbLb1EEEEDaS16_S17_EUlS16_E_NS1_11comp_targetILNS1_3genE8ELNS1_11target_archE1030ELNS1_3gpuE2ELNS1_3repE0EEENS1_30default_config_static_selectorELNS0_4arch9wavefront6targetE0EEEvT1_
		.amdhsa_group_segment_fixed_size 0
		.amdhsa_private_segment_fixed_size 0
		.amdhsa_kernarg_size 136
		.amdhsa_user_sgpr_count 2
		.amdhsa_user_sgpr_dispatch_ptr 0
		.amdhsa_user_sgpr_queue_ptr 0
		.amdhsa_user_sgpr_kernarg_segment_ptr 1
		.amdhsa_user_sgpr_dispatch_id 0
		.amdhsa_user_sgpr_private_segment_size 0
		.amdhsa_wavefront_size32 1
		.amdhsa_uses_dynamic_stack 0
		.amdhsa_enable_private_segment 0
		.amdhsa_system_sgpr_workgroup_id_x 1
		.amdhsa_system_sgpr_workgroup_id_y 0
		.amdhsa_system_sgpr_workgroup_id_z 0
		.amdhsa_system_sgpr_workgroup_info 0
		.amdhsa_system_vgpr_workitem_id 0
		.amdhsa_next_free_vgpr 1
		.amdhsa_next_free_sgpr 1
		.amdhsa_reserve_vcc 0
		.amdhsa_float_round_mode_32 0
		.amdhsa_float_round_mode_16_64 0
		.amdhsa_float_denorm_mode_32 3
		.amdhsa_float_denorm_mode_16_64 3
		.amdhsa_fp16_overflow 0
		.amdhsa_workgroup_processor_mode 1
		.amdhsa_memory_ordered 1
		.amdhsa_forward_progress 1
		.amdhsa_inst_pref_size 0
		.amdhsa_round_robin_scheduling 0
		.amdhsa_exception_fp_ieee_invalid_op 0
		.amdhsa_exception_fp_denorm_src 0
		.amdhsa_exception_fp_ieee_div_zero 0
		.amdhsa_exception_fp_ieee_overflow 0
		.amdhsa_exception_fp_ieee_underflow 0
		.amdhsa_exception_fp_ieee_inexact 0
		.amdhsa_exception_int_div_zero 0
	.end_amdhsa_kernel
	.section	.text._ZN7rocprim17ROCPRIM_400000_NS6detail17trampoline_kernelINS0_14default_configENS1_25partition_config_selectorILNS1_17partition_subalgoE6EfNS0_10empty_typeEbEEZZNS1_14partition_implILS5_6ELb0ES3_mN6thrust23THRUST_200600_302600_NS6detail15normal_iteratorINSA_10device_ptrIfEEEEPS6_SG_NS0_5tupleIJNSA_16discard_iteratorINSA_11use_defaultEEES6_EEENSH_IJSG_SG_EEES6_PlJNSB_9not_fun_tI7is_trueIfEEEEEE10hipError_tPvRmT3_T4_T5_T6_T7_T9_mT8_P12ihipStream_tbDpT10_ENKUlT_T0_E_clISt17integral_constantIbLb0EES1A_IbLb1EEEEDaS16_S17_EUlS16_E_NS1_11comp_targetILNS1_3genE8ELNS1_11target_archE1030ELNS1_3gpuE2ELNS1_3repE0EEENS1_30default_config_static_selectorELNS0_4arch9wavefront6targetE0EEEvT1_,"axG",@progbits,_ZN7rocprim17ROCPRIM_400000_NS6detail17trampoline_kernelINS0_14default_configENS1_25partition_config_selectorILNS1_17partition_subalgoE6EfNS0_10empty_typeEbEEZZNS1_14partition_implILS5_6ELb0ES3_mN6thrust23THRUST_200600_302600_NS6detail15normal_iteratorINSA_10device_ptrIfEEEEPS6_SG_NS0_5tupleIJNSA_16discard_iteratorINSA_11use_defaultEEES6_EEENSH_IJSG_SG_EEES6_PlJNSB_9not_fun_tI7is_trueIfEEEEEE10hipError_tPvRmT3_T4_T5_T6_T7_T9_mT8_P12ihipStream_tbDpT10_ENKUlT_T0_E_clISt17integral_constantIbLb0EES1A_IbLb1EEEEDaS16_S17_EUlS16_E_NS1_11comp_targetILNS1_3genE8ELNS1_11target_archE1030ELNS1_3gpuE2ELNS1_3repE0EEENS1_30default_config_static_selectorELNS0_4arch9wavefront6targetE0EEEvT1_,comdat
.Lfunc_end2140:
	.size	_ZN7rocprim17ROCPRIM_400000_NS6detail17trampoline_kernelINS0_14default_configENS1_25partition_config_selectorILNS1_17partition_subalgoE6EfNS0_10empty_typeEbEEZZNS1_14partition_implILS5_6ELb0ES3_mN6thrust23THRUST_200600_302600_NS6detail15normal_iteratorINSA_10device_ptrIfEEEEPS6_SG_NS0_5tupleIJNSA_16discard_iteratorINSA_11use_defaultEEES6_EEENSH_IJSG_SG_EEES6_PlJNSB_9not_fun_tI7is_trueIfEEEEEE10hipError_tPvRmT3_T4_T5_T6_T7_T9_mT8_P12ihipStream_tbDpT10_ENKUlT_T0_E_clISt17integral_constantIbLb0EES1A_IbLb1EEEEDaS16_S17_EUlS16_E_NS1_11comp_targetILNS1_3genE8ELNS1_11target_archE1030ELNS1_3gpuE2ELNS1_3repE0EEENS1_30default_config_static_selectorELNS0_4arch9wavefront6targetE0EEEvT1_, .Lfunc_end2140-_ZN7rocprim17ROCPRIM_400000_NS6detail17trampoline_kernelINS0_14default_configENS1_25partition_config_selectorILNS1_17partition_subalgoE6EfNS0_10empty_typeEbEEZZNS1_14partition_implILS5_6ELb0ES3_mN6thrust23THRUST_200600_302600_NS6detail15normal_iteratorINSA_10device_ptrIfEEEEPS6_SG_NS0_5tupleIJNSA_16discard_iteratorINSA_11use_defaultEEES6_EEENSH_IJSG_SG_EEES6_PlJNSB_9not_fun_tI7is_trueIfEEEEEE10hipError_tPvRmT3_T4_T5_T6_T7_T9_mT8_P12ihipStream_tbDpT10_ENKUlT_T0_E_clISt17integral_constantIbLb0EES1A_IbLb1EEEEDaS16_S17_EUlS16_E_NS1_11comp_targetILNS1_3genE8ELNS1_11target_archE1030ELNS1_3gpuE2ELNS1_3repE0EEENS1_30default_config_static_selectorELNS0_4arch9wavefront6targetE0EEEvT1_
                                        ; -- End function
	.set _ZN7rocprim17ROCPRIM_400000_NS6detail17trampoline_kernelINS0_14default_configENS1_25partition_config_selectorILNS1_17partition_subalgoE6EfNS0_10empty_typeEbEEZZNS1_14partition_implILS5_6ELb0ES3_mN6thrust23THRUST_200600_302600_NS6detail15normal_iteratorINSA_10device_ptrIfEEEEPS6_SG_NS0_5tupleIJNSA_16discard_iteratorINSA_11use_defaultEEES6_EEENSH_IJSG_SG_EEES6_PlJNSB_9not_fun_tI7is_trueIfEEEEEE10hipError_tPvRmT3_T4_T5_T6_T7_T9_mT8_P12ihipStream_tbDpT10_ENKUlT_T0_E_clISt17integral_constantIbLb0EES1A_IbLb1EEEEDaS16_S17_EUlS16_E_NS1_11comp_targetILNS1_3genE8ELNS1_11target_archE1030ELNS1_3gpuE2ELNS1_3repE0EEENS1_30default_config_static_selectorELNS0_4arch9wavefront6targetE0EEEvT1_.num_vgpr, 0
	.set _ZN7rocprim17ROCPRIM_400000_NS6detail17trampoline_kernelINS0_14default_configENS1_25partition_config_selectorILNS1_17partition_subalgoE6EfNS0_10empty_typeEbEEZZNS1_14partition_implILS5_6ELb0ES3_mN6thrust23THRUST_200600_302600_NS6detail15normal_iteratorINSA_10device_ptrIfEEEEPS6_SG_NS0_5tupleIJNSA_16discard_iteratorINSA_11use_defaultEEES6_EEENSH_IJSG_SG_EEES6_PlJNSB_9not_fun_tI7is_trueIfEEEEEE10hipError_tPvRmT3_T4_T5_T6_T7_T9_mT8_P12ihipStream_tbDpT10_ENKUlT_T0_E_clISt17integral_constantIbLb0EES1A_IbLb1EEEEDaS16_S17_EUlS16_E_NS1_11comp_targetILNS1_3genE8ELNS1_11target_archE1030ELNS1_3gpuE2ELNS1_3repE0EEENS1_30default_config_static_selectorELNS0_4arch9wavefront6targetE0EEEvT1_.num_agpr, 0
	.set _ZN7rocprim17ROCPRIM_400000_NS6detail17trampoline_kernelINS0_14default_configENS1_25partition_config_selectorILNS1_17partition_subalgoE6EfNS0_10empty_typeEbEEZZNS1_14partition_implILS5_6ELb0ES3_mN6thrust23THRUST_200600_302600_NS6detail15normal_iteratorINSA_10device_ptrIfEEEEPS6_SG_NS0_5tupleIJNSA_16discard_iteratorINSA_11use_defaultEEES6_EEENSH_IJSG_SG_EEES6_PlJNSB_9not_fun_tI7is_trueIfEEEEEE10hipError_tPvRmT3_T4_T5_T6_T7_T9_mT8_P12ihipStream_tbDpT10_ENKUlT_T0_E_clISt17integral_constantIbLb0EES1A_IbLb1EEEEDaS16_S17_EUlS16_E_NS1_11comp_targetILNS1_3genE8ELNS1_11target_archE1030ELNS1_3gpuE2ELNS1_3repE0EEENS1_30default_config_static_selectorELNS0_4arch9wavefront6targetE0EEEvT1_.numbered_sgpr, 0
	.set _ZN7rocprim17ROCPRIM_400000_NS6detail17trampoline_kernelINS0_14default_configENS1_25partition_config_selectorILNS1_17partition_subalgoE6EfNS0_10empty_typeEbEEZZNS1_14partition_implILS5_6ELb0ES3_mN6thrust23THRUST_200600_302600_NS6detail15normal_iteratorINSA_10device_ptrIfEEEEPS6_SG_NS0_5tupleIJNSA_16discard_iteratorINSA_11use_defaultEEES6_EEENSH_IJSG_SG_EEES6_PlJNSB_9not_fun_tI7is_trueIfEEEEEE10hipError_tPvRmT3_T4_T5_T6_T7_T9_mT8_P12ihipStream_tbDpT10_ENKUlT_T0_E_clISt17integral_constantIbLb0EES1A_IbLb1EEEEDaS16_S17_EUlS16_E_NS1_11comp_targetILNS1_3genE8ELNS1_11target_archE1030ELNS1_3gpuE2ELNS1_3repE0EEENS1_30default_config_static_selectorELNS0_4arch9wavefront6targetE0EEEvT1_.num_named_barrier, 0
	.set _ZN7rocprim17ROCPRIM_400000_NS6detail17trampoline_kernelINS0_14default_configENS1_25partition_config_selectorILNS1_17partition_subalgoE6EfNS0_10empty_typeEbEEZZNS1_14partition_implILS5_6ELb0ES3_mN6thrust23THRUST_200600_302600_NS6detail15normal_iteratorINSA_10device_ptrIfEEEEPS6_SG_NS0_5tupleIJNSA_16discard_iteratorINSA_11use_defaultEEES6_EEENSH_IJSG_SG_EEES6_PlJNSB_9not_fun_tI7is_trueIfEEEEEE10hipError_tPvRmT3_T4_T5_T6_T7_T9_mT8_P12ihipStream_tbDpT10_ENKUlT_T0_E_clISt17integral_constantIbLb0EES1A_IbLb1EEEEDaS16_S17_EUlS16_E_NS1_11comp_targetILNS1_3genE8ELNS1_11target_archE1030ELNS1_3gpuE2ELNS1_3repE0EEENS1_30default_config_static_selectorELNS0_4arch9wavefront6targetE0EEEvT1_.private_seg_size, 0
	.set _ZN7rocprim17ROCPRIM_400000_NS6detail17trampoline_kernelINS0_14default_configENS1_25partition_config_selectorILNS1_17partition_subalgoE6EfNS0_10empty_typeEbEEZZNS1_14partition_implILS5_6ELb0ES3_mN6thrust23THRUST_200600_302600_NS6detail15normal_iteratorINSA_10device_ptrIfEEEEPS6_SG_NS0_5tupleIJNSA_16discard_iteratorINSA_11use_defaultEEES6_EEENSH_IJSG_SG_EEES6_PlJNSB_9not_fun_tI7is_trueIfEEEEEE10hipError_tPvRmT3_T4_T5_T6_T7_T9_mT8_P12ihipStream_tbDpT10_ENKUlT_T0_E_clISt17integral_constantIbLb0EES1A_IbLb1EEEEDaS16_S17_EUlS16_E_NS1_11comp_targetILNS1_3genE8ELNS1_11target_archE1030ELNS1_3gpuE2ELNS1_3repE0EEENS1_30default_config_static_selectorELNS0_4arch9wavefront6targetE0EEEvT1_.uses_vcc, 0
	.set _ZN7rocprim17ROCPRIM_400000_NS6detail17trampoline_kernelINS0_14default_configENS1_25partition_config_selectorILNS1_17partition_subalgoE6EfNS0_10empty_typeEbEEZZNS1_14partition_implILS5_6ELb0ES3_mN6thrust23THRUST_200600_302600_NS6detail15normal_iteratorINSA_10device_ptrIfEEEEPS6_SG_NS0_5tupleIJNSA_16discard_iteratorINSA_11use_defaultEEES6_EEENSH_IJSG_SG_EEES6_PlJNSB_9not_fun_tI7is_trueIfEEEEEE10hipError_tPvRmT3_T4_T5_T6_T7_T9_mT8_P12ihipStream_tbDpT10_ENKUlT_T0_E_clISt17integral_constantIbLb0EES1A_IbLb1EEEEDaS16_S17_EUlS16_E_NS1_11comp_targetILNS1_3genE8ELNS1_11target_archE1030ELNS1_3gpuE2ELNS1_3repE0EEENS1_30default_config_static_selectorELNS0_4arch9wavefront6targetE0EEEvT1_.uses_flat_scratch, 0
	.set _ZN7rocprim17ROCPRIM_400000_NS6detail17trampoline_kernelINS0_14default_configENS1_25partition_config_selectorILNS1_17partition_subalgoE6EfNS0_10empty_typeEbEEZZNS1_14partition_implILS5_6ELb0ES3_mN6thrust23THRUST_200600_302600_NS6detail15normal_iteratorINSA_10device_ptrIfEEEEPS6_SG_NS0_5tupleIJNSA_16discard_iteratorINSA_11use_defaultEEES6_EEENSH_IJSG_SG_EEES6_PlJNSB_9not_fun_tI7is_trueIfEEEEEE10hipError_tPvRmT3_T4_T5_T6_T7_T9_mT8_P12ihipStream_tbDpT10_ENKUlT_T0_E_clISt17integral_constantIbLb0EES1A_IbLb1EEEEDaS16_S17_EUlS16_E_NS1_11comp_targetILNS1_3genE8ELNS1_11target_archE1030ELNS1_3gpuE2ELNS1_3repE0EEENS1_30default_config_static_selectorELNS0_4arch9wavefront6targetE0EEEvT1_.has_dyn_sized_stack, 0
	.set _ZN7rocprim17ROCPRIM_400000_NS6detail17trampoline_kernelINS0_14default_configENS1_25partition_config_selectorILNS1_17partition_subalgoE6EfNS0_10empty_typeEbEEZZNS1_14partition_implILS5_6ELb0ES3_mN6thrust23THRUST_200600_302600_NS6detail15normal_iteratorINSA_10device_ptrIfEEEEPS6_SG_NS0_5tupleIJNSA_16discard_iteratorINSA_11use_defaultEEES6_EEENSH_IJSG_SG_EEES6_PlJNSB_9not_fun_tI7is_trueIfEEEEEE10hipError_tPvRmT3_T4_T5_T6_T7_T9_mT8_P12ihipStream_tbDpT10_ENKUlT_T0_E_clISt17integral_constantIbLb0EES1A_IbLb1EEEEDaS16_S17_EUlS16_E_NS1_11comp_targetILNS1_3genE8ELNS1_11target_archE1030ELNS1_3gpuE2ELNS1_3repE0EEENS1_30default_config_static_selectorELNS0_4arch9wavefront6targetE0EEEvT1_.has_recursion, 0
	.set _ZN7rocprim17ROCPRIM_400000_NS6detail17trampoline_kernelINS0_14default_configENS1_25partition_config_selectorILNS1_17partition_subalgoE6EfNS0_10empty_typeEbEEZZNS1_14partition_implILS5_6ELb0ES3_mN6thrust23THRUST_200600_302600_NS6detail15normal_iteratorINSA_10device_ptrIfEEEEPS6_SG_NS0_5tupleIJNSA_16discard_iteratorINSA_11use_defaultEEES6_EEENSH_IJSG_SG_EEES6_PlJNSB_9not_fun_tI7is_trueIfEEEEEE10hipError_tPvRmT3_T4_T5_T6_T7_T9_mT8_P12ihipStream_tbDpT10_ENKUlT_T0_E_clISt17integral_constantIbLb0EES1A_IbLb1EEEEDaS16_S17_EUlS16_E_NS1_11comp_targetILNS1_3genE8ELNS1_11target_archE1030ELNS1_3gpuE2ELNS1_3repE0EEENS1_30default_config_static_selectorELNS0_4arch9wavefront6targetE0EEEvT1_.has_indirect_call, 0
	.section	.AMDGPU.csdata,"",@progbits
; Kernel info:
; codeLenInByte = 0
; TotalNumSgprs: 0
; NumVgprs: 0
; ScratchSize: 0
; MemoryBound: 0
; FloatMode: 240
; IeeeMode: 1
; LDSByteSize: 0 bytes/workgroup (compile time only)
; SGPRBlocks: 0
; VGPRBlocks: 0
; NumSGPRsForWavesPerEU: 1
; NumVGPRsForWavesPerEU: 1
; Occupancy: 16
; WaveLimiterHint : 0
; COMPUTE_PGM_RSRC2:SCRATCH_EN: 0
; COMPUTE_PGM_RSRC2:USER_SGPR: 2
; COMPUTE_PGM_RSRC2:TRAP_HANDLER: 0
; COMPUTE_PGM_RSRC2:TGID_X_EN: 1
; COMPUTE_PGM_RSRC2:TGID_Y_EN: 0
; COMPUTE_PGM_RSRC2:TGID_Z_EN: 0
; COMPUTE_PGM_RSRC2:TIDIG_COMP_CNT: 0
	.section	.text._ZN7rocprim17ROCPRIM_400000_NS6detail17trampoline_kernelINS0_14default_configENS1_25partition_config_selectorILNS1_17partition_subalgoE6EyNS0_10empty_typeEbEEZZNS1_14partition_implILS5_6ELb0ES3_mN6thrust23THRUST_200600_302600_NS6detail15normal_iteratorINSA_10device_ptrIyEEEEPS6_SG_NS0_5tupleIJNSA_16discard_iteratorINSA_11use_defaultEEES6_EEENSH_IJSG_SG_EEES6_PlJNSB_9not_fun_tI7is_trueIyEEEEEE10hipError_tPvRmT3_T4_T5_T6_T7_T9_mT8_P12ihipStream_tbDpT10_ENKUlT_T0_E_clISt17integral_constantIbLb0EES1B_EEDaS16_S17_EUlS16_E_NS1_11comp_targetILNS1_3genE0ELNS1_11target_archE4294967295ELNS1_3gpuE0ELNS1_3repE0EEENS1_30default_config_static_selectorELNS0_4arch9wavefront6targetE0EEEvT1_,"axG",@progbits,_ZN7rocprim17ROCPRIM_400000_NS6detail17trampoline_kernelINS0_14default_configENS1_25partition_config_selectorILNS1_17partition_subalgoE6EyNS0_10empty_typeEbEEZZNS1_14partition_implILS5_6ELb0ES3_mN6thrust23THRUST_200600_302600_NS6detail15normal_iteratorINSA_10device_ptrIyEEEEPS6_SG_NS0_5tupleIJNSA_16discard_iteratorINSA_11use_defaultEEES6_EEENSH_IJSG_SG_EEES6_PlJNSB_9not_fun_tI7is_trueIyEEEEEE10hipError_tPvRmT3_T4_T5_T6_T7_T9_mT8_P12ihipStream_tbDpT10_ENKUlT_T0_E_clISt17integral_constantIbLb0EES1B_EEDaS16_S17_EUlS16_E_NS1_11comp_targetILNS1_3genE0ELNS1_11target_archE4294967295ELNS1_3gpuE0ELNS1_3repE0EEENS1_30default_config_static_selectorELNS0_4arch9wavefront6targetE0EEEvT1_,comdat
	.protected	_ZN7rocprim17ROCPRIM_400000_NS6detail17trampoline_kernelINS0_14default_configENS1_25partition_config_selectorILNS1_17partition_subalgoE6EyNS0_10empty_typeEbEEZZNS1_14partition_implILS5_6ELb0ES3_mN6thrust23THRUST_200600_302600_NS6detail15normal_iteratorINSA_10device_ptrIyEEEEPS6_SG_NS0_5tupleIJNSA_16discard_iteratorINSA_11use_defaultEEES6_EEENSH_IJSG_SG_EEES6_PlJNSB_9not_fun_tI7is_trueIyEEEEEE10hipError_tPvRmT3_T4_T5_T6_T7_T9_mT8_P12ihipStream_tbDpT10_ENKUlT_T0_E_clISt17integral_constantIbLb0EES1B_EEDaS16_S17_EUlS16_E_NS1_11comp_targetILNS1_3genE0ELNS1_11target_archE4294967295ELNS1_3gpuE0ELNS1_3repE0EEENS1_30default_config_static_selectorELNS0_4arch9wavefront6targetE0EEEvT1_ ; -- Begin function _ZN7rocprim17ROCPRIM_400000_NS6detail17trampoline_kernelINS0_14default_configENS1_25partition_config_selectorILNS1_17partition_subalgoE6EyNS0_10empty_typeEbEEZZNS1_14partition_implILS5_6ELb0ES3_mN6thrust23THRUST_200600_302600_NS6detail15normal_iteratorINSA_10device_ptrIyEEEEPS6_SG_NS0_5tupleIJNSA_16discard_iteratorINSA_11use_defaultEEES6_EEENSH_IJSG_SG_EEES6_PlJNSB_9not_fun_tI7is_trueIyEEEEEE10hipError_tPvRmT3_T4_T5_T6_T7_T9_mT8_P12ihipStream_tbDpT10_ENKUlT_T0_E_clISt17integral_constantIbLb0EES1B_EEDaS16_S17_EUlS16_E_NS1_11comp_targetILNS1_3genE0ELNS1_11target_archE4294967295ELNS1_3gpuE0ELNS1_3repE0EEENS1_30default_config_static_selectorELNS0_4arch9wavefront6targetE0EEEvT1_
	.globl	_ZN7rocprim17ROCPRIM_400000_NS6detail17trampoline_kernelINS0_14default_configENS1_25partition_config_selectorILNS1_17partition_subalgoE6EyNS0_10empty_typeEbEEZZNS1_14partition_implILS5_6ELb0ES3_mN6thrust23THRUST_200600_302600_NS6detail15normal_iteratorINSA_10device_ptrIyEEEEPS6_SG_NS0_5tupleIJNSA_16discard_iteratorINSA_11use_defaultEEES6_EEENSH_IJSG_SG_EEES6_PlJNSB_9not_fun_tI7is_trueIyEEEEEE10hipError_tPvRmT3_T4_T5_T6_T7_T9_mT8_P12ihipStream_tbDpT10_ENKUlT_T0_E_clISt17integral_constantIbLb0EES1B_EEDaS16_S17_EUlS16_E_NS1_11comp_targetILNS1_3genE0ELNS1_11target_archE4294967295ELNS1_3gpuE0ELNS1_3repE0EEENS1_30default_config_static_selectorELNS0_4arch9wavefront6targetE0EEEvT1_
	.p2align	8
	.type	_ZN7rocprim17ROCPRIM_400000_NS6detail17trampoline_kernelINS0_14default_configENS1_25partition_config_selectorILNS1_17partition_subalgoE6EyNS0_10empty_typeEbEEZZNS1_14partition_implILS5_6ELb0ES3_mN6thrust23THRUST_200600_302600_NS6detail15normal_iteratorINSA_10device_ptrIyEEEEPS6_SG_NS0_5tupleIJNSA_16discard_iteratorINSA_11use_defaultEEES6_EEENSH_IJSG_SG_EEES6_PlJNSB_9not_fun_tI7is_trueIyEEEEEE10hipError_tPvRmT3_T4_T5_T6_T7_T9_mT8_P12ihipStream_tbDpT10_ENKUlT_T0_E_clISt17integral_constantIbLb0EES1B_EEDaS16_S17_EUlS16_E_NS1_11comp_targetILNS1_3genE0ELNS1_11target_archE4294967295ELNS1_3gpuE0ELNS1_3repE0EEENS1_30default_config_static_selectorELNS0_4arch9wavefront6targetE0EEEvT1_,@function
_ZN7rocprim17ROCPRIM_400000_NS6detail17trampoline_kernelINS0_14default_configENS1_25partition_config_selectorILNS1_17partition_subalgoE6EyNS0_10empty_typeEbEEZZNS1_14partition_implILS5_6ELb0ES3_mN6thrust23THRUST_200600_302600_NS6detail15normal_iteratorINSA_10device_ptrIyEEEEPS6_SG_NS0_5tupleIJNSA_16discard_iteratorINSA_11use_defaultEEES6_EEENSH_IJSG_SG_EEES6_PlJNSB_9not_fun_tI7is_trueIyEEEEEE10hipError_tPvRmT3_T4_T5_T6_T7_T9_mT8_P12ihipStream_tbDpT10_ENKUlT_T0_E_clISt17integral_constantIbLb0EES1B_EEDaS16_S17_EUlS16_E_NS1_11comp_targetILNS1_3genE0ELNS1_11target_archE4294967295ELNS1_3gpuE0ELNS1_3repE0EEENS1_30default_config_static_selectorELNS0_4arch9wavefront6targetE0EEEvT1_: ; @_ZN7rocprim17ROCPRIM_400000_NS6detail17trampoline_kernelINS0_14default_configENS1_25partition_config_selectorILNS1_17partition_subalgoE6EyNS0_10empty_typeEbEEZZNS1_14partition_implILS5_6ELb0ES3_mN6thrust23THRUST_200600_302600_NS6detail15normal_iteratorINSA_10device_ptrIyEEEEPS6_SG_NS0_5tupleIJNSA_16discard_iteratorINSA_11use_defaultEEES6_EEENSH_IJSG_SG_EEES6_PlJNSB_9not_fun_tI7is_trueIyEEEEEE10hipError_tPvRmT3_T4_T5_T6_T7_T9_mT8_P12ihipStream_tbDpT10_ENKUlT_T0_E_clISt17integral_constantIbLb0EES1B_EEDaS16_S17_EUlS16_E_NS1_11comp_targetILNS1_3genE0ELNS1_11target_archE4294967295ELNS1_3gpuE0ELNS1_3repE0EEENS1_30default_config_static_selectorELNS0_4arch9wavefront6targetE0EEEvT1_
; %bb.0:
	.section	.rodata,"a",@progbits
	.p2align	6, 0x0
	.amdhsa_kernel _ZN7rocprim17ROCPRIM_400000_NS6detail17trampoline_kernelINS0_14default_configENS1_25partition_config_selectorILNS1_17partition_subalgoE6EyNS0_10empty_typeEbEEZZNS1_14partition_implILS5_6ELb0ES3_mN6thrust23THRUST_200600_302600_NS6detail15normal_iteratorINSA_10device_ptrIyEEEEPS6_SG_NS0_5tupleIJNSA_16discard_iteratorINSA_11use_defaultEEES6_EEENSH_IJSG_SG_EEES6_PlJNSB_9not_fun_tI7is_trueIyEEEEEE10hipError_tPvRmT3_T4_T5_T6_T7_T9_mT8_P12ihipStream_tbDpT10_ENKUlT_T0_E_clISt17integral_constantIbLb0EES1B_EEDaS16_S17_EUlS16_E_NS1_11comp_targetILNS1_3genE0ELNS1_11target_archE4294967295ELNS1_3gpuE0ELNS1_3repE0EEENS1_30default_config_static_selectorELNS0_4arch9wavefront6targetE0EEEvT1_
		.amdhsa_group_segment_fixed_size 0
		.amdhsa_private_segment_fixed_size 0
		.amdhsa_kernarg_size 120
		.amdhsa_user_sgpr_count 2
		.amdhsa_user_sgpr_dispatch_ptr 0
		.amdhsa_user_sgpr_queue_ptr 0
		.amdhsa_user_sgpr_kernarg_segment_ptr 1
		.amdhsa_user_sgpr_dispatch_id 0
		.amdhsa_user_sgpr_private_segment_size 0
		.amdhsa_wavefront_size32 1
		.amdhsa_uses_dynamic_stack 0
		.amdhsa_enable_private_segment 0
		.amdhsa_system_sgpr_workgroup_id_x 1
		.amdhsa_system_sgpr_workgroup_id_y 0
		.amdhsa_system_sgpr_workgroup_id_z 0
		.amdhsa_system_sgpr_workgroup_info 0
		.amdhsa_system_vgpr_workitem_id 0
		.amdhsa_next_free_vgpr 1
		.amdhsa_next_free_sgpr 1
		.amdhsa_reserve_vcc 0
		.amdhsa_float_round_mode_32 0
		.amdhsa_float_round_mode_16_64 0
		.amdhsa_float_denorm_mode_32 3
		.amdhsa_float_denorm_mode_16_64 3
		.amdhsa_fp16_overflow 0
		.amdhsa_workgroup_processor_mode 1
		.amdhsa_memory_ordered 1
		.amdhsa_forward_progress 1
		.amdhsa_inst_pref_size 0
		.amdhsa_round_robin_scheduling 0
		.amdhsa_exception_fp_ieee_invalid_op 0
		.amdhsa_exception_fp_denorm_src 0
		.amdhsa_exception_fp_ieee_div_zero 0
		.amdhsa_exception_fp_ieee_overflow 0
		.amdhsa_exception_fp_ieee_underflow 0
		.amdhsa_exception_fp_ieee_inexact 0
		.amdhsa_exception_int_div_zero 0
	.end_amdhsa_kernel
	.section	.text._ZN7rocprim17ROCPRIM_400000_NS6detail17trampoline_kernelINS0_14default_configENS1_25partition_config_selectorILNS1_17partition_subalgoE6EyNS0_10empty_typeEbEEZZNS1_14partition_implILS5_6ELb0ES3_mN6thrust23THRUST_200600_302600_NS6detail15normal_iteratorINSA_10device_ptrIyEEEEPS6_SG_NS0_5tupleIJNSA_16discard_iteratorINSA_11use_defaultEEES6_EEENSH_IJSG_SG_EEES6_PlJNSB_9not_fun_tI7is_trueIyEEEEEE10hipError_tPvRmT3_T4_T5_T6_T7_T9_mT8_P12ihipStream_tbDpT10_ENKUlT_T0_E_clISt17integral_constantIbLb0EES1B_EEDaS16_S17_EUlS16_E_NS1_11comp_targetILNS1_3genE0ELNS1_11target_archE4294967295ELNS1_3gpuE0ELNS1_3repE0EEENS1_30default_config_static_selectorELNS0_4arch9wavefront6targetE0EEEvT1_,"axG",@progbits,_ZN7rocprim17ROCPRIM_400000_NS6detail17trampoline_kernelINS0_14default_configENS1_25partition_config_selectorILNS1_17partition_subalgoE6EyNS0_10empty_typeEbEEZZNS1_14partition_implILS5_6ELb0ES3_mN6thrust23THRUST_200600_302600_NS6detail15normal_iteratorINSA_10device_ptrIyEEEEPS6_SG_NS0_5tupleIJNSA_16discard_iteratorINSA_11use_defaultEEES6_EEENSH_IJSG_SG_EEES6_PlJNSB_9not_fun_tI7is_trueIyEEEEEE10hipError_tPvRmT3_T4_T5_T6_T7_T9_mT8_P12ihipStream_tbDpT10_ENKUlT_T0_E_clISt17integral_constantIbLb0EES1B_EEDaS16_S17_EUlS16_E_NS1_11comp_targetILNS1_3genE0ELNS1_11target_archE4294967295ELNS1_3gpuE0ELNS1_3repE0EEENS1_30default_config_static_selectorELNS0_4arch9wavefront6targetE0EEEvT1_,comdat
.Lfunc_end2141:
	.size	_ZN7rocprim17ROCPRIM_400000_NS6detail17trampoline_kernelINS0_14default_configENS1_25partition_config_selectorILNS1_17partition_subalgoE6EyNS0_10empty_typeEbEEZZNS1_14partition_implILS5_6ELb0ES3_mN6thrust23THRUST_200600_302600_NS6detail15normal_iteratorINSA_10device_ptrIyEEEEPS6_SG_NS0_5tupleIJNSA_16discard_iteratorINSA_11use_defaultEEES6_EEENSH_IJSG_SG_EEES6_PlJNSB_9not_fun_tI7is_trueIyEEEEEE10hipError_tPvRmT3_T4_T5_T6_T7_T9_mT8_P12ihipStream_tbDpT10_ENKUlT_T0_E_clISt17integral_constantIbLb0EES1B_EEDaS16_S17_EUlS16_E_NS1_11comp_targetILNS1_3genE0ELNS1_11target_archE4294967295ELNS1_3gpuE0ELNS1_3repE0EEENS1_30default_config_static_selectorELNS0_4arch9wavefront6targetE0EEEvT1_, .Lfunc_end2141-_ZN7rocprim17ROCPRIM_400000_NS6detail17trampoline_kernelINS0_14default_configENS1_25partition_config_selectorILNS1_17partition_subalgoE6EyNS0_10empty_typeEbEEZZNS1_14partition_implILS5_6ELb0ES3_mN6thrust23THRUST_200600_302600_NS6detail15normal_iteratorINSA_10device_ptrIyEEEEPS6_SG_NS0_5tupleIJNSA_16discard_iteratorINSA_11use_defaultEEES6_EEENSH_IJSG_SG_EEES6_PlJNSB_9not_fun_tI7is_trueIyEEEEEE10hipError_tPvRmT3_T4_T5_T6_T7_T9_mT8_P12ihipStream_tbDpT10_ENKUlT_T0_E_clISt17integral_constantIbLb0EES1B_EEDaS16_S17_EUlS16_E_NS1_11comp_targetILNS1_3genE0ELNS1_11target_archE4294967295ELNS1_3gpuE0ELNS1_3repE0EEENS1_30default_config_static_selectorELNS0_4arch9wavefront6targetE0EEEvT1_
                                        ; -- End function
	.set _ZN7rocprim17ROCPRIM_400000_NS6detail17trampoline_kernelINS0_14default_configENS1_25partition_config_selectorILNS1_17partition_subalgoE6EyNS0_10empty_typeEbEEZZNS1_14partition_implILS5_6ELb0ES3_mN6thrust23THRUST_200600_302600_NS6detail15normal_iteratorINSA_10device_ptrIyEEEEPS6_SG_NS0_5tupleIJNSA_16discard_iteratorINSA_11use_defaultEEES6_EEENSH_IJSG_SG_EEES6_PlJNSB_9not_fun_tI7is_trueIyEEEEEE10hipError_tPvRmT3_T4_T5_T6_T7_T9_mT8_P12ihipStream_tbDpT10_ENKUlT_T0_E_clISt17integral_constantIbLb0EES1B_EEDaS16_S17_EUlS16_E_NS1_11comp_targetILNS1_3genE0ELNS1_11target_archE4294967295ELNS1_3gpuE0ELNS1_3repE0EEENS1_30default_config_static_selectorELNS0_4arch9wavefront6targetE0EEEvT1_.num_vgpr, 0
	.set _ZN7rocprim17ROCPRIM_400000_NS6detail17trampoline_kernelINS0_14default_configENS1_25partition_config_selectorILNS1_17partition_subalgoE6EyNS0_10empty_typeEbEEZZNS1_14partition_implILS5_6ELb0ES3_mN6thrust23THRUST_200600_302600_NS6detail15normal_iteratorINSA_10device_ptrIyEEEEPS6_SG_NS0_5tupleIJNSA_16discard_iteratorINSA_11use_defaultEEES6_EEENSH_IJSG_SG_EEES6_PlJNSB_9not_fun_tI7is_trueIyEEEEEE10hipError_tPvRmT3_T4_T5_T6_T7_T9_mT8_P12ihipStream_tbDpT10_ENKUlT_T0_E_clISt17integral_constantIbLb0EES1B_EEDaS16_S17_EUlS16_E_NS1_11comp_targetILNS1_3genE0ELNS1_11target_archE4294967295ELNS1_3gpuE0ELNS1_3repE0EEENS1_30default_config_static_selectorELNS0_4arch9wavefront6targetE0EEEvT1_.num_agpr, 0
	.set _ZN7rocprim17ROCPRIM_400000_NS6detail17trampoline_kernelINS0_14default_configENS1_25partition_config_selectorILNS1_17partition_subalgoE6EyNS0_10empty_typeEbEEZZNS1_14partition_implILS5_6ELb0ES3_mN6thrust23THRUST_200600_302600_NS6detail15normal_iteratorINSA_10device_ptrIyEEEEPS6_SG_NS0_5tupleIJNSA_16discard_iteratorINSA_11use_defaultEEES6_EEENSH_IJSG_SG_EEES6_PlJNSB_9not_fun_tI7is_trueIyEEEEEE10hipError_tPvRmT3_T4_T5_T6_T7_T9_mT8_P12ihipStream_tbDpT10_ENKUlT_T0_E_clISt17integral_constantIbLb0EES1B_EEDaS16_S17_EUlS16_E_NS1_11comp_targetILNS1_3genE0ELNS1_11target_archE4294967295ELNS1_3gpuE0ELNS1_3repE0EEENS1_30default_config_static_selectorELNS0_4arch9wavefront6targetE0EEEvT1_.numbered_sgpr, 0
	.set _ZN7rocprim17ROCPRIM_400000_NS6detail17trampoline_kernelINS0_14default_configENS1_25partition_config_selectorILNS1_17partition_subalgoE6EyNS0_10empty_typeEbEEZZNS1_14partition_implILS5_6ELb0ES3_mN6thrust23THRUST_200600_302600_NS6detail15normal_iteratorINSA_10device_ptrIyEEEEPS6_SG_NS0_5tupleIJNSA_16discard_iteratorINSA_11use_defaultEEES6_EEENSH_IJSG_SG_EEES6_PlJNSB_9not_fun_tI7is_trueIyEEEEEE10hipError_tPvRmT3_T4_T5_T6_T7_T9_mT8_P12ihipStream_tbDpT10_ENKUlT_T0_E_clISt17integral_constantIbLb0EES1B_EEDaS16_S17_EUlS16_E_NS1_11comp_targetILNS1_3genE0ELNS1_11target_archE4294967295ELNS1_3gpuE0ELNS1_3repE0EEENS1_30default_config_static_selectorELNS0_4arch9wavefront6targetE0EEEvT1_.num_named_barrier, 0
	.set _ZN7rocprim17ROCPRIM_400000_NS6detail17trampoline_kernelINS0_14default_configENS1_25partition_config_selectorILNS1_17partition_subalgoE6EyNS0_10empty_typeEbEEZZNS1_14partition_implILS5_6ELb0ES3_mN6thrust23THRUST_200600_302600_NS6detail15normal_iteratorINSA_10device_ptrIyEEEEPS6_SG_NS0_5tupleIJNSA_16discard_iteratorINSA_11use_defaultEEES6_EEENSH_IJSG_SG_EEES6_PlJNSB_9not_fun_tI7is_trueIyEEEEEE10hipError_tPvRmT3_T4_T5_T6_T7_T9_mT8_P12ihipStream_tbDpT10_ENKUlT_T0_E_clISt17integral_constantIbLb0EES1B_EEDaS16_S17_EUlS16_E_NS1_11comp_targetILNS1_3genE0ELNS1_11target_archE4294967295ELNS1_3gpuE0ELNS1_3repE0EEENS1_30default_config_static_selectorELNS0_4arch9wavefront6targetE0EEEvT1_.private_seg_size, 0
	.set _ZN7rocprim17ROCPRIM_400000_NS6detail17trampoline_kernelINS0_14default_configENS1_25partition_config_selectorILNS1_17partition_subalgoE6EyNS0_10empty_typeEbEEZZNS1_14partition_implILS5_6ELb0ES3_mN6thrust23THRUST_200600_302600_NS6detail15normal_iteratorINSA_10device_ptrIyEEEEPS6_SG_NS0_5tupleIJNSA_16discard_iteratorINSA_11use_defaultEEES6_EEENSH_IJSG_SG_EEES6_PlJNSB_9not_fun_tI7is_trueIyEEEEEE10hipError_tPvRmT3_T4_T5_T6_T7_T9_mT8_P12ihipStream_tbDpT10_ENKUlT_T0_E_clISt17integral_constantIbLb0EES1B_EEDaS16_S17_EUlS16_E_NS1_11comp_targetILNS1_3genE0ELNS1_11target_archE4294967295ELNS1_3gpuE0ELNS1_3repE0EEENS1_30default_config_static_selectorELNS0_4arch9wavefront6targetE0EEEvT1_.uses_vcc, 0
	.set _ZN7rocprim17ROCPRIM_400000_NS6detail17trampoline_kernelINS0_14default_configENS1_25partition_config_selectorILNS1_17partition_subalgoE6EyNS0_10empty_typeEbEEZZNS1_14partition_implILS5_6ELb0ES3_mN6thrust23THRUST_200600_302600_NS6detail15normal_iteratorINSA_10device_ptrIyEEEEPS6_SG_NS0_5tupleIJNSA_16discard_iteratorINSA_11use_defaultEEES6_EEENSH_IJSG_SG_EEES6_PlJNSB_9not_fun_tI7is_trueIyEEEEEE10hipError_tPvRmT3_T4_T5_T6_T7_T9_mT8_P12ihipStream_tbDpT10_ENKUlT_T0_E_clISt17integral_constantIbLb0EES1B_EEDaS16_S17_EUlS16_E_NS1_11comp_targetILNS1_3genE0ELNS1_11target_archE4294967295ELNS1_3gpuE0ELNS1_3repE0EEENS1_30default_config_static_selectorELNS0_4arch9wavefront6targetE0EEEvT1_.uses_flat_scratch, 0
	.set _ZN7rocprim17ROCPRIM_400000_NS6detail17trampoline_kernelINS0_14default_configENS1_25partition_config_selectorILNS1_17partition_subalgoE6EyNS0_10empty_typeEbEEZZNS1_14partition_implILS5_6ELb0ES3_mN6thrust23THRUST_200600_302600_NS6detail15normal_iteratorINSA_10device_ptrIyEEEEPS6_SG_NS0_5tupleIJNSA_16discard_iteratorINSA_11use_defaultEEES6_EEENSH_IJSG_SG_EEES6_PlJNSB_9not_fun_tI7is_trueIyEEEEEE10hipError_tPvRmT3_T4_T5_T6_T7_T9_mT8_P12ihipStream_tbDpT10_ENKUlT_T0_E_clISt17integral_constantIbLb0EES1B_EEDaS16_S17_EUlS16_E_NS1_11comp_targetILNS1_3genE0ELNS1_11target_archE4294967295ELNS1_3gpuE0ELNS1_3repE0EEENS1_30default_config_static_selectorELNS0_4arch9wavefront6targetE0EEEvT1_.has_dyn_sized_stack, 0
	.set _ZN7rocprim17ROCPRIM_400000_NS6detail17trampoline_kernelINS0_14default_configENS1_25partition_config_selectorILNS1_17partition_subalgoE6EyNS0_10empty_typeEbEEZZNS1_14partition_implILS5_6ELb0ES3_mN6thrust23THRUST_200600_302600_NS6detail15normal_iteratorINSA_10device_ptrIyEEEEPS6_SG_NS0_5tupleIJNSA_16discard_iteratorINSA_11use_defaultEEES6_EEENSH_IJSG_SG_EEES6_PlJNSB_9not_fun_tI7is_trueIyEEEEEE10hipError_tPvRmT3_T4_T5_T6_T7_T9_mT8_P12ihipStream_tbDpT10_ENKUlT_T0_E_clISt17integral_constantIbLb0EES1B_EEDaS16_S17_EUlS16_E_NS1_11comp_targetILNS1_3genE0ELNS1_11target_archE4294967295ELNS1_3gpuE0ELNS1_3repE0EEENS1_30default_config_static_selectorELNS0_4arch9wavefront6targetE0EEEvT1_.has_recursion, 0
	.set _ZN7rocprim17ROCPRIM_400000_NS6detail17trampoline_kernelINS0_14default_configENS1_25partition_config_selectorILNS1_17partition_subalgoE6EyNS0_10empty_typeEbEEZZNS1_14partition_implILS5_6ELb0ES3_mN6thrust23THRUST_200600_302600_NS6detail15normal_iteratorINSA_10device_ptrIyEEEEPS6_SG_NS0_5tupleIJNSA_16discard_iteratorINSA_11use_defaultEEES6_EEENSH_IJSG_SG_EEES6_PlJNSB_9not_fun_tI7is_trueIyEEEEEE10hipError_tPvRmT3_T4_T5_T6_T7_T9_mT8_P12ihipStream_tbDpT10_ENKUlT_T0_E_clISt17integral_constantIbLb0EES1B_EEDaS16_S17_EUlS16_E_NS1_11comp_targetILNS1_3genE0ELNS1_11target_archE4294967295ELNS1_3gpuE0ELNS1_3repE0EEENS1_30default_config_static_selectorELNS0_4arch9wavefront6targetE0EEEvT1_.has_indirect_call, 0
	.section	.AMDGPU.csdata,"",@progbits
; Kernel info:
; codeLenInByte = 0
; TotalNumSgprs: 0
; NumVgprs: 0
; ScratchSize: 0
; MemoryBound: 0
; FloatMode: 240
; IeeeMode: 1
; LDSByteSize: 0 bytes/workgroup (compile time only)
; SGPRBlocks: 0
; VGPRBlocks: 0
; NumSGPRsForWavesPerEU: 1
; NumVGPRsForWavesPerEU: 1
; Occupancy: 16
; WaveLimiterHint : 0
; COMPUTE_PGM_RSRC2:SCRATCH_EN: 0
; COMPUTE_PGM_RSRC2:USER_SGPR: 2
; COMPUTE_PGM_RSRC2:TRAP_HANDLER: 0
; COMPUTE_PGM_RSRC2:TGID_X_EN: 1
; COMPUTE_PGM_RSRC2:TGID_Y_EN: 0
; COMPUTE_PGM_RSRC2:TGID_Z_EN: 0
; COMPUTE_PGM_RSRC2:TIDIG_COMP_CNT: 0
	.section	.text._ZN7rocprim17ROCPRIM_400000_NS6detail17trampoline_kernelINS0_14default_configENS1_25partition_config_selectorILNS1_17partition_subalgoE6EyNS0_10empty_typeEbEEZZNS1_14partition_implILS5_6ELb0ES3_mN6thrust23THRUST_200600_302600_NS6detail15normal_iteratorINSA_10device_ptrIyEEEEPS6_SG_NS0_5tupleIJNSA_16discard_iteratorINSA_11use_defaultEEES6_EEENSH_IJSG_SG_EEES6_PlJNSB_9not_fun_tI7is_trueIyEEEEEE10hipError_tPvRmT3_T4_T5_T6_T7_T9_mT8_P12ihipStream_tbDpT10_ENKUlT_T0_E_clISt17integral_constantIbLb0EES1B_EEDaS16_S17_EUlS16_E_NS1_11comp_targetILNS1_3genE5ELNS1_11target_archE942ELNS1_3gpuE9ELNS1_3repE0EEENS1_30default_config_static_selectorELNS0_4arch9wavefront6targetE0EEEvT1_,"axG",@progbits,_ZN7rocprim17ROCPRIM_400000_NS6detail17trampoline_kernelINS0_14default_configENS1_25partition_config_selectorILNS1_17partition_subalgoE6EyNS0_10empty_typeEbEEZZNS1_14partition_implILS5_6ELb0ES3_mN6thrust23THRUST_200600_302600_NS6detail15normal_iteratorINSA_10device_ptrIyEEEEPS6_SG_NS0_5tupleIJNSA_16discard_iteratorINSA_11use_defaultEEES6_EEENSH_IJSG_SG_EEES6_PlJNSB_9not_fun_tI7is_trueIyEEEEEE10hipError_tPvRmT3_T4_T5_T6_T7_T9_mT8_P12ihipStream_tbDpT10_ENKUlT_T0_E_clISt17integral_constantIbLb0EES1B_EEDaS16_S17_EUlS16_E_NS1_11comp_targetILNS1_3genE5ELNS1_11target_archE942ELNS1_3gpuE9ELNS1_3repE0EEENS1_30default_config_static_selectorELNS0_4arch9wavefront6targetE0EEEvT1_,comdat
	.protected	_ZN7rocprim17ROCPRIM_400000_NS6detail17trampoline_kernelINS0_14default_configENS1_25partition_config_selectorILNS1_17partition_subalgoE6EyNS0_10empty_typeEbEEZZNS1_14partition_implILS5_6ELb0ES3_mN6thrust23THRUST_200600_302600_NS6detail15normal_iteratorINSA_10device_ptrIyEEEEPS6_SG_NS0_5tupleIJNSA_16discard_iteratorINSA_11use_defaultEEES6_EEENSH_IJSG_SG_EEES6_PlJNSB_9not_fun_tI7is_trueIyEEEEEE10hipError_tPvRmT3_T4_T5_T6_T7_T9_mT8_P12ihipStream_tbDpT10_ENKUlT_T0_E_clISt17integral_constantIbLb0EES1B_EEDaS16_S17_EUlS16_E_NS1_11comp_targetILNS1_3genE5ELNS1_11target_archE942ELNS1_3gpuE9ELNS1_3repE0EEENS1_30default_config_static_selectorELNS0_4arch9wavefront6targetE0EEEvT1_ ; -- Begin function _ZN7rocprim17ROCPRIM_400000_NS6detail17trampoline_kernelINS0_14default_configENS1_25partition_config_selectorILNS1_17partition_subalgoE6EyNS0_10empty_typeEbEEZZNS1_14partition_implILS5_6ELb0ES3_mN6thrust23THRUST_200600_302600_NS6detail15normal_iteratorINSA_10device_ptrIyEEEEPS6_SG_NS0_5tupleIJNSA_16discard_iteratorINSA_11use_defaultEEES6_EEENSH_IJSG_SG_EEES6_PlJNSB_9not_fun_tI7is_trueIyEEEEEE10hipError_tPvRmT3_T4_T5_T6_T7_T9_mT8_P12ihipStream_tbDpT10_ENKUlT_T0_E_clISt17integral_constantIbLb0EES1B_EEDaS16_S17_EUlS16_E_NS1_11comp_targetILNS1_3genE5ELNS1_11target_archE942ELNS1_3gpuE9ELNS1_3repE0EEENS1_30default_config_static_selectorELNS0_4arch9wavefront6targetE0EEEvT1_
	.globl	_ZN7rocprim17ROCPRIM_400000_NS6detail17trampoline_kernelINS0_14default_configENS1_25partition_config_selectorILNS1_17partition_subalgoE6EyNS0_10empty_typeEbEEZZNS1_14partition_implILS5_6ELb0ES3_mN6thrust23THRUST_200600_302600_NS6detail15normal_iteratorINSA_10device_ptrIyEEEEPS6_SG_NS0_5tupleIJNSA_16discard_iteratorINSA_11use_defaultEEES6_EEENSH_IJSG_SG_EEES6_PlJNSB_9not_fun_tI7is_trueIyEEEEEE10hipError_tPvRmT3_T4_T5_T6_T7_T9_mT8_P12ihipStream_tbDpT10_ENKUlT_T0_E_clISt17integral_constantIbLb0EES1B_EEDaS16_S17_EUlS16_E_NS1_11comp_targetILNS1_3genE5ELNS1_11target_archE942ELNS1_3gpuE9ELNS1_3repE0EEENS1_30default_config_static_selectorELNS0_4arch9wavefront6targetE0EEEvT1_
	.p2align	8
	.type	_ZN7rocprim17ROCPRIM_400000_NS6detail17trampoline_kernelINS0_14default_configENS1_25partition_config_selectorILNS1_17partition_subalgoE6EyNS0_10empty_typeEbEEZZNS1_14partition_implILS5_6ELb0ES3_mN6thrust23THRUST_200600_302600_NS6detail15normal_iteratorINSA_10device_ptrIyEEEEPS6_SG_NS0_5tupleIJNSA_16discard_iteratorINSA_11use_defaultEEES6_EEENSH_IJSG_SG_EEES6_PlJNSB_9not_fun_tI7is_trueIyEEEEEE10hipError_tPvRmT3_T4_T5_T6_T7_T9_mT8_P12ihipStream_tbDpT10_ENKUlT_T0_E_clISt17integral_constantIbLb0EES1B_EEDaS16_S17_EUlS16_E_NS1_11comp_targetILNS1_3genE5ELNS1_11target_archE942ELNS1_3gpuE9ELNS1_3repE0EEENS1_30default_config_static_selectorELNS0_4arch9wavefront6targetE0EEEvT1_,@function
_ZN7rocprim17ROCPRIM_400000_NS6detail17trampoline_kernelINS0_14default_configENS1_25partition_config_selectorILNS1_17partition_subalgoE6EyNS0_10empty_typeEbEEZZNS1_14partition_implILS5_6ELb0ES3_mN6thrust23THRUST_200600_302600_NS6detail15normal_iteratorINSA_10device_ptrIyEEEEPS6_SG_NS0_5tupleIJNSA_16discard_iteratorINSA_11use_defaultEEES6_EEENSH_IJSG_SG_EEES6_PlJNSB_9not_fun_tI7is_trueIyEEEEEE10hipError_tPvRmT3_T4_T5_T6_T7_T9_mT8_P12ihipStream_tbDpT10_ENKUlT_T0_E_clISt17integral_constantIbLb0EES1B_EEDaS16_S17_EUlS16_E_NS1_11comp_targetILNS1_3genE5ELNS1_11target_archE942ELNS1_3gpuE9ELNS1_3repE0EEENS1_30default_config_static_selectorELNS0_4arch9wavefront6targetE0EEEvT1_: ; @_ZN7rocprim17ROCPRIM_400000_NS6detail17trampoline_kernelINS0_14default_configENS1_25partition_config_selectorILNS1_17partition_subalgoE6EyNS0_10empty_typeEbEEZZNS1_14partition_implILS5_6ELb0ES3_mN6thrust23THRUST_200600_302600_NS6detail15normal_iteratorINSA_10device_ptrIyEEEEPS6_SG_NS0_5tupleIJNSA_16discard_iteratorINSA_11use_defaultEEES6_EEENSH_IJSG_SG_EEES6_PlJNSB_9not_fun_tI7is_trueIyEEEEEE10hipError_tPvRmT3_T4_T5_T6_T7_T9_mT8_P12ihipStream_tbDpT10_ENKUlT_T0_E_clISt17integral_constantIbLb0EES1B_EEDaS16_S17_EUlS16_E_NS1_11comp_targetILNS1_3genE5ELNS1_11target_archE942ELNS1_3gpuE9ELNS1_3repE0EEENS1_30default_config_static_selectorELNS0_4arch9wavefront6targetE0EEEvT1_
; %bb.0:
	.section	.rodata,"a",@progbits
	.p2align	6, 0x0
	.amdhsa_kernel _ZN7rocprim17ROCPRIM_400000_NS6detail17trampoline_kernelINS0_14default_configENS1_25partition_config_selectorILNS1_17partition_subalgoE6EyNS0_10empty_typeEbEEZZNS1_14partition_implILS5_6ELb0ES3_mN6thrust23THRUST_200600_302600_NS6detail15normal_iteratorINSA_10device_ptrIyEEEEPS6_SG_NS0_5tupleIJNSA_16discard_iteratorINSA_11use_defaultEEES6_EEENSH_IJSG_SG_EEES6_PlJNSB_9not_fun_tI7is_trueIyEEEEEE10hipError_tPvRmT3_T4_T5_T6_T7_T9_mT8_P12ihipStream_tbDpT10_ENKUlT_T0_E_clISt17integral_constantIbLb0EES1B_EEDaS16_S17_EUlS16_E_NS1_11comp_targetILNS1_3genE5ELNS1_11target_archE942ELNS1_3gpuE9ELNS1_3repE0EEENS1_30default_config_static_selectorELNS0_4arch9wavefront6targetE0EEEvT1_
		.amdhsa_group_segment_fixed_size 0
		.amdhsa_private_segment_fixed_size 0
		.amdhsa_kernarg_size 120
		.amdhsa_user_sgpr_count 2
		.amdhsa_user_sgpr_dispatch_ptr 0
		.amdhsa_user_sgpr_queue_ptr 0
		.amdhsa_user_sgpr_kernarg_segment_ptr 1
		.amdhsa_user_sgpr_dispatch_id 0
		.amdhsa_user_sgpr_private_segment_size 0
		.amdhsa_wavefront_size32 1
		.amdhsa_uses_dynamic_stack 0
		.amdhsa_enable_private_segment 0
		.amdhsa_system_sgpr_workgroup_id_x 1
		.amdhsa_system_sgpr_workgroup_id_y 0
		.amdhsa_system_sgpr_workgroup_id_z 0
		.amdhsa_system_sgpr_workgroup_info 0
		.amdhsa_system_vgpr_workitem_id 0
		.amdhsa_next_free_vgpr 1
		.amdhsa_next_free_sgpr 1
		.amdhsa_reserve_vcc 0
		.amdhsa_float_round_mode_32 0
		.amdhsa_float_round_mode_16_64 0
		.amdhsa_float_denorm_mode_32 3
		.amdhsa_float_denorm_mode_16_64 3
		.amdhsa_fp16_overflow 0
		.amdhsa_workgroup_processor_mode 1
		.amdhsa_memory_ordered 1
		.amdhsa_forward_progress 1
		.amdhsa_inst_pref_size 0
		.amdhsa_round_robin_scheduling 0
		.amdhsa_exception_fp_ieee_invalid_op 0
		.amdhsa_exception_fp_denorm_src 0
		.amdhsa_exception_fp_ieee_div_zero 0
		.amdhsa_exception_fp_ieee_overflow 0
		.amdhsa_exception_fp_ieee_underflow 0
		.amdhsa_exception_fp_ieee_inexact 0
		.amdhsa_exception_int_div_zero 0
	.end_amdhsa_kernel
	.section	.text._ZN7rocprim17ROCPRIM_400000_NS6detail17trampoline_kernelINS0_14default_configENS1_25partition_config_selectorILNS1_17partition_subalgoE6EyNS0_10empty_typeEbEEZZNS1_14partition_implILS5_6ELb0ES3_mN6thrust23THRUST_200600_302600_NS6detail15normal_iteratorINSA_10device_ptrIyEEEEPS6_SG_NS0_5tupleIJNSA_16discard_iteratorINSA_11use_defaultEEES6_EEENSH_IJSG_SG_EEES6_PlJNSB_9not_fun_tI7is_trueIyEEEEEE10hipError_tPvRmT3_T4_T5_T6_T7_T9_mT8_P12ihipStream_tbDpT10_ENKUlT_T0_E_clISt17integral_constantIbLb0EES1B_EEDaS16_S17_EUlS16_E_NS1_11comp_targetILNS1_3genE5ELNS1_11target_archE942ELNS1_3gpuE9ELNS1_3repE0EEENS1_30default_config_static_selectorELNS0_4arch9wavefront6targetE0EEEvT1_,"axG",@progbits,_ZN7rocprim17ROCPRIM_400000_NS6detail17trampoline_kernelINS0_14default_configENS1_25partition_config_selectorILNS1_17partition_subalgoE6EyNS0_10empty_typeEbEEZZNS1_14partition_implILS5_6ELb0ES3_mN6thrust23THRUST_200600_302600_NS6detail15normal_iteratorINSA_10device_ptrIyEEEEPS6_SG_NS0_5tupleIJNSA_16discard_iteratorINSA_11use_defaultEEES6_EEENSH_IJSG_SG_EEES6_PlJNSB_9not_fun_tI7is_trueIyEEEEEE10hipError_tPvRmT3_T4_T5_T6_T7_T9_mT8_P12ihipStream_tbDpT10_ENKUlT_T0_E_clISt17integral_constantIbLb0EES1B_EEDaS16_S17_EUlS16_E_NS1_11comp_targetILNS1_3genE5ELNS1_11target_archE942ELNS1_3gpuE9ELNS1_3repE0EEENS1_30default_config_static_selectorELNS0_4arch9wavefront6targetE0EEEvT1_,comdat
.Lfunc_end2142:
	.size	_ZN7rocprim17ROCPRIM_400000_NS6detail17trampoline_kernelINS0_14default_configENS1_25partition_config_selectorILNS1_17partition_subalgoE6EyNS0_10empty_typeEbEEZZNS1_14partition_implILS5_6ELb0ES3_mN6thrust23THRUST_200600_302600_NS6detail15normal_iteratorINSA_10device_ptrIyEEEEPS6_SG_NS0_5tupleIJNSA_16discard_iteratorINSA_11use_defaultEEES6_EEENSH_IJSG_SG_EEES6_PlJNSB_9not_fun_tI7is_trueIyEEEEEE10hipError_tPvRmT3_T4_T5_T6_T7_T9_mT8_P12ihipStream_tbDpT10_ENKUlT_T0_E_clISt17integral_constantIbLb0EES1B_EEDaS16_S17_EUlS16_E_NS1_11comp_targetILNS1_3genE5ELNS1_11target_archE942ELNS1_3gpuE9ELNS1_3repE0EEENS1_30default_config_static_selectorELNS0_4arch9wavefront6targetE0EEEvT1_, .Lfunc_end2142-_ZN7rocprim17ROCPRIM_400000_NS6detail17trampoline_kernelINS0_14default_configENS1_25partition_config_selectorILNS1_17partition_subalgoE6EyNS0_10empty_typeEbEEZZNS1_14partition_implILS5_6ELb0ES3_mN6thrust23THRUST_200600_302600_NS6detail15normal_iteratorINSA_10device_ptrIyEEEEPS6_SG_NS0_5tupleIJNSA_16discard_iteratorINSA_11use_defaultEEES6_EEENSH_IJSG_SG_EEES6_PlJNSB_9not_fun_tI7is_trueIyEEEEEE10hipError_tPvRmT3_T4_T5_T6_T7_T9_mT8_P12ihipStream_tbDpT10_ENKUlT_T0_E_clISt17integral_constantIbLb0EES1B_EEDaS16_S17_EUlS16_E_NS1_11comp_targetILNS1_3genE5ELNS1_11target_archE942ELNS1_3gpuE9ELNS1_3repE0EEENS1_30default_config_static_selectorELNS0_4arch9wavefront6targetE0EEEvT1_
                                        ; -- End function
	.set _ZN7rocprim17ROCPRIM_400000_NS6detail17trampoline_kernelINS0_14default_configENS1_25partition_config_selectorILNS1_17partition_subalgoE6EyNS0_10empty_typeEbEEZZNS1_14partition_implILS5_6ELb0ES3_mN6thrust23THRUST_200600_302600_NS6detail15normal_iteratorINSA_10device_ptrIyEEEEPS6_SG_NS0_5tupleIJNSA_16discard_iteratorINSA_11use_defaultEEES6_EEENSH_IJSG_SG_EEES6_PlJNSB_9not_fun_tI7is_trueIyEEEEEE10hipError_tPvRmT3_T4_T5_T6_T7_T9_mT8_P12ihipStream_tbDpT10_ENKUlT_T0_E_clISt17integral_constantIbLb0EES1B_EEDaS16_S17_EUlS16_E_NS1_11comp_targetILNS1_3genE5ELNS1_11target_archE942ELNS1_3gpuE9ELNS1_3repE0EEENS1_30default_config_static_selectorELNS0_4arch9wavefront6targetE0EEEvT1_.num_vgpr, 0
	.set _ZN7rocprim17ROCPRIM_400000_NS6detail17trampoline_kernelINS0_14default_configENS1_25partition_config_selectorILNS1_17partition_subalgoE6EyNS0_10empty_typeEbEEZZNS1_14partition_implILS5_6ELb0ES3_mN6thrust23THRUST_200600_302600_NS6detail15normal_iteratorINSA_10device_ptrIyEEEEPS6_SG_NS0_5tupleIJNSA_16discard_iteratorINSA_11use_defaultEEES6_EEENSH_IJSG_SG_EEES6_PlJNSB_9not_fun_tI7is_trueIyEEEEEE10hipError_tPvRmT3_T4_T5_T6_T7_T9_mT8_P12ihipStream_tbDpT10_ENKUlT_T0_E_clISt17integral_constantIbLb0EES1B_EEDaS16_S17_EUlS16_E_NS1_11comp_targetILNS1_3genE5ELNS1_11target_archE942ELNS1_3gpuE9ELNS1_3repE0EEENS1_30default_config_static_selectorELNS0_4arch9wavefront6targetE0EEEvT1_.num_agpr, 0
	.set _ZN7rocprim17ROCPRIM_400000_NS6detail17trampoline_kernelINS0_14default_configENS1_25partition_config_selectorILNS1_17partition_subalgoE6EyNS0_10empty_typeEbEEZZNS1_14partition_implILS5_6ELb0ES3_mN6thrust23THRUST_200600_302600_NS6detail15normal_iteratorINSA_10device_ptrIyEEEEPS6_SG_NS0_5tupleIJNSA_16discard_iteratorINSA_11use_defaultEEES6_EEENSH_IJSG_SG_EEES6_PlJNSB_9not_fun_tI7is_trueIyEEEEEE10hipError_tPvRmT3_T4_T5_T6_T7_T9_mT8_P12ihipStream_tbDpT10_ENKUlT_T0_E_clISt17integral_constantIbLb0EES1B_EEDaS16_S17_EUlS16_E_NS1_11comp_targetILNS1_3genE5ELNS1_11target_archE942ELNS1_3gpuE9ELNS1_3repE0EEENS1_30default_config_static_selectorELNS0_4arch9wavefront6targetE0EEEvT1_.numbered_sgpr, 0
	.set _ZN7rocprim17ROCPRIM_400000_NS6detail17trampoline_kernelINS0_14default_configENS1_25partition_config_selectorILNS1_17partition_subalgoE6EyNS0_10empty_typeEbEEZZNS1_14partition_implILS5_6ELb0ES3_mN6thrust23THRUST_200600_302600_NS6detail15normal_iteratorINSA_10device_ptrIyEEEEPS6_SG_NS0_5tupleIJNSA_16discard_iteratorINSA_11use_defaultEEES6_EEENSH_IJSG_SG_EEES6_PlJNSB_9not_fun_tI7is_trueIyEEEEEE10hipError_tPvRmT3_T4_T5_T6_T7_T9_mT8_P12ihipStream_tbDpT10_ENKUlT_T0_E_clISt17integral_constantIbLb0EES1B_EEDaS16_S17_EUlS16_E_NS1_11comp_targetILNS1_3genE5ELNS1_11target_archE942ELNS1_3gpuE9ELNS1_3repE0EEENS1_30default_config_static_selectorELNS0_4arch9wavefront6targetE0EEEvT1_.num_named_barrier, 0
	.set _ZN7rocprim17ROCPRIM_400000_NS6detail17trampoline_kernelINS0_14default_configENS1_25partition_config_selectorILNS1_17partition_subalgoE6EyNS0_10empty_typeEbEEZZNS1_14partition_implILS5_6ELb0ES3_mN6thrust23THRUST_200600_302600_NS6detail15normal_iteratorINSA_10device_ptrIyEEEEPS6_SG_NS0_5tupleIJNSA_16discard_iteratorINSA_11use_defaultEEES6_EEENSH_IJSG_SG_EEES6_PlJNSB_9not_fun_tI7is_trueIyEEEEEE10hipError_tPvRmT3_T4_T5_T6_T7_T9_mT8_P12ihipStream_tbDpT10_ENKUlT_T0_E_clISt17integral_constantIbLb0EES1B_EEDaS16_S17_EUlS16_E_NS1_11comp_targetILNS1_3genE5ELNS1_11target_archE942ELNS1_3gpuE9ELNS1_3repE0EEENS1_30default_config_static_selectorELNS0_4arch9wavefront6targetE0EEEvT1_.private_seg_size, 0
	.set _ZN7rocprim17ROCPRIM_400000_NS6detail17trampoline_kernelINS0_14default_configENS1_25partition_config_selectorILNS1_17partition_subalgoE6EyNS0_10empty_typeEbEEZZNS1_14partition_implILS5_6ELb0ES3_mN6thrust23THRUST_200600_302600_NS6detail15normal_iteratorINSA_10device_ptrIyEEEEPS6_SG_NS0_5tupleIJNSA_16discard_iteratorINSA_11use_defaultEEES6_EEENSH_IJSG_SG_EEES6_PlJNSB_9not_fun_tI7is_trueIyEEEEEE10hipError_tPvRmT3_T4_T5_T6_T7_T9_mT8_P12ihipStream_tbDpT10_ENKUlT_T0_E_clISt17integral_constantIbLb0EES1B_EEDaS16_S17_EUlS16_E_NS1_11comp_targetILNS1_3genE5ELNS1_11target_archE942ELNS1_3gpuE9ELNS1_3repE0EEENS1_30default_config_static_selectorELNS0_4arch9wavefront6targetE0EEEvT1_.uses_vcc, 0
	.set _ZN7rocprim17ROCPRIM_400000_NS6detail17trampoline_kernelINS0_14default_configENS1_25partition_config_selectorILNS1_17partition_subalgoE6EyNS0_10empty_typeEbEEZZNS1_14partition_implILS5_6ELb0ES3_mN6thrust23THRUST_200600_302600_NS6detail15normal_iteratorINSA_10device_ptrIyEEEEPS6_SG_NS0_5tupleIJNSA_16discard_iteratorINSA_11use_defaultEEES6_EEENSH_IJSG_SG_EEES6_PlJNSB_9not_fun_tI7is_trueIyEEEEEE10hipError_tPvRmT3_T4_T5_T6_T7_T9_mT8_P12ihipStream_tbDpT10_ENKUlT_T0_E_clISt17integral_constantIbLb0EES1B_EEDaS16_S17_EUlS16_E_NS1_11comp_targetILNS1_3genE5ELNS1_11target_archE942ELNS1_3gpuE9ELNS1_3repE0EEENS1_30default_config_static_selectorELNS0_4arch9wavefront6targetE0EEEvT1_.uses_flat_scratch, 0
	.set _ZN7rocprim17ROCPRIM_400000_NS6detail17trampoline_kernelINS0_14default_configENS1_25partition_config_selectorILNS1_17partition_subalgoE6EyNS0_10empty_typeEbEEZZNS1_14partition_implILS5_6ELb0ES3_mN6thrust23THRUST_200600_302600_NS6detail15normal_iteratorINSA_10device_ptrIyEEEEPS6_SG_NS0_5tupleIJNSA_16discard_iteratorINSA_11use_defaultEEES6_EEENSH_IJSG_SG_EEES6_PlJNSB_9not_fun_tI7is_trueIyEEEEEE10hipError_tPvRmT3_T4_T5_T6_T7_T9_mT8_P12ihipStream_tbDpT10_ENKUlT_T0_E_clISt17integral_constantIbLb0EES1B_EEDaS16_S17_EUlS16_E_NS1_11comp_targetILNS1_3genE5ELNS1_11target_archE942ELNS1_3gpuE9ELNS1_3repE0EEENS1_30default_config_static_selectorELNS0_4arch9wavefront6targetE0EEEvT1_.has_dyn_sized_stack, 0
	.set _ZN7rocprim17ROCPRIM_400000_NS6detail17trampoline_kernelINS0_14default_configENS1_25partition_config_selectorILNS1_17partition_subalgoE6EyNS0_10empty_typeEbEEZZNS1_14partition_implILS5_6ELb0ES3_mN6thrust23THRUST_200600_302600_NS6detail15normal_iteratorINSA_10device_ptrIyEEEEPS6_SG_NS0_5tupleIJNSA_16discard_iteratorINSA_11use_defaultEEES6_EEENSH_IJSG_SG_EEES6_PlJNSB_9not_fun_tI7is_trueIyEEEEEE10hipError_tPvRmT3_T4_T5_T6_T7_T9_mT8_P12ihipStream_tbDpT10_ENKUlT_T0_E_clISt17integral_constantIbLb0EES1B_EEDaS16_S17_EUlS16_E_NS1_11comp_targetILNS1_3genE5ELNS1_11target_archE942ELNS1_3gpuE9ELNS1_3repE0EEENS1_30default_config_static_selectorELNS0_4arch9wavefront6targetE0EEEvT1_.has_recursion, 0
	.set _ZN7rocprim17ROCPRIM_400000_NS6detail17trampoline_kernelINS0_14default_configENS1_25partition_config_selectorILNS1_17partition_subalgoE6EyNS0_10empty_typeEbEEZZNS1_14partition_implILS5_6ELb0ES3_mN6thrust23THRUST_200600_302600_NS6detail15normal_iteratorINSA_10device_ptrIyEEEEPS6_SG_NS0_5tupleIJNSA_16discard_iteratorINSA_11use_defaultEEES6_EEENSH_IJSG_SG_EEES6_PlJNSB_9not_fun_tI7is_trueIyEEEEEE10hipError_tPvRmT3_T4_T5_T6_T7_T9_mT8_P12ihipStream_tbDpT10_ENKUlT_T0_E_clISt17integral_constantIbLb0EES1B_EEDaS16_S17_EUlS16_E_NS1_11comp_targetILNS1_3genE5ELNS1_11target_archE942ELNS1_3gpuE9ELNS1_3repE0EEENS1_30default_config_static_selectorELNS0_4arch9wavefront6targetE0EEEvT1_.has_indirect_call, 0
	.section	.AMDGPU.csdata,"",@progbits
; Kernel info:
; codeLenInByte = 0
; TotalNumSgprs: 0
; NumVgprs: 0
; ScratchSize: 0
; MemoryBound: 0
; FloatMode: 240
; IeeeMode: 1
; LDSByteSize: 0 bytes/workgroup (compile time only)
; SGPRBlocks: 0
; VGPRBlocks: 0
; NumSGPRsForWavesPerEU: 1
; NumVGPRsForWavesPerEU: 1
; Occupancy: 16
; WaveLimiterHint : 0
; COMPUTE_PGM_RSRC2:SCRATCH_EN: 0
; COMPUTE_PGM_RSRC2:USER_SGPR: 2
; COMPUTE_PGM_RSRC2:TRAP_HANDLER: 0
; COMPUTE_PGM_RSRC2:TGID_X_EN: 1
; COMPUTE_PGM_RSRC2:TGID_Y_EN: 0
; COMPUTE_PGM_RSRC2:TGID_Z_EN: 0
; COMPUTE_PGM_RSRC2:TIDIG_COMP_CNT: 0
	.section	.text._ZN7rocprim17ROCPRIM_400000_NS6detail17trampoline_kernelINS0_14default_configENS1_25partition_config_selectorILNS1_17partition_subalgoE6EyNS0_10empty_typeEbEEZZNS1_14partition_implILS5_6ELb0ES3_mN6thrust23THRUST_200600_302600_NS6detail15normal_iteratorINSA_10device_ptrIyEEEEPS6_SG_NS0_5tupleIJNSA_16discard_iteratorINSA_11use_defaultEEES6_EEENSH_IJSG_SG_EEES6_PlJNSB_9not_fun_tI7is_trueIyEEEEEE10hipError_tPvRmT3_T4_T5_T6_T7_T9_mT8_P12ihipStream_tbDpT10_ENKUlT_T0_E_clISt17integral_constantIbLb0EES1B_EEDaS16_S17_EUlS16_E_NS1_11comp_targetILNS1_3genE4ELNS1_11target_archE910ELNS1_3gpuE8ELNS1_3repE0EEENS1_30default_config_static_selectorELNS0_4arch9wavefront6targetE0EEEvT1_,"axG",@progbits,_ZN7rocprim17ROCPRIM_400000_NS6detail17trampoline_kernelINS0_14default_configENS1_25partition_config_selectorILNS1_17partition_subalgoE6EyNS0_10empty_typeEbEEZZNS1_14partition_implILS5_6ELb0ES3_mN6thrust23THRUST_200600_302600_NS6detail15normal_iteratorINSA_10device_ptrIyEEEEPS6_SG_NS0_5tupleIJNSA_16discard_iteratorINSA_11use_defaultEEES6_EEENSH_IJSG_SG_EEES6_PlJNSB_9not_fun_tI7is_trueIyEEEEEE10hipError_tPvRmT3_T4_T5_T6_T7_T9_mT8_P12ihipStream_tbDpT10_ENKUlT_T0_E_clISt17integral_constantIbLb0EES1B_EEDaS16_S17_EUlS16_E_NS1_11comp_targetILNS1_3genE4ELNS1_11target_archE910ELNS1_3gpuE8ELNS1_3repE0EEENS1_30default_config_static_selectorELNS0_4arch9wavefront6targetE0EEEvT1_,comdat
	.protected	_ZN7rocprim17ROCPRIM_400000_NS6detail17trampoline_kernelINS0_14default_configENS1_25partition_config_selectorILNS1_17partition_subalgoE6EyNS0_10empty_typeEbEEZZNS1_14partition_implILS5_6ELb0ES3_mN6thrust23THRUST_200600_302600_NS6detail15normal_iteratorINSA_10device_ptrIyEEEEPS6_SG_NS0_5tupleIJNSA_16discard_iteratorINSA_11use_defaultEEES6_EEENSH_IJSG_SG_EEES6_PlJNSB_9not_fun_tI7is_trueIyEEEEEE10hipError_tPvRmT3_T4_T5_T6_T7_T9_mT8_P12ihipStream_tbDpT10_ENKUlT_T0_E_clISt17integral_constantIbLb0EES1B_EEDaS16_S17_EUlS16_E_NS1_11comp_targetILNS1_3genE4ELNS1_11target_archE910ELNS1_3gpuE8ELNS1_3repE0EEENS1_30default_config_static_selectorELNS0_4arch9wavefront6targetE0EEEvT1_ ; -- Begin function _ZN7rocprim17ROCPRIM_400000_NS6detail17trampoline_kernelINS0_14default_configENS1_25partition_config_selectorILNS1_17partition_subalgoE6EyNS0_10empty_typeEbEEZZNS1_14partition_implILS5_6ELb0ES3_mN6thrust23THRUST_200600_302600_NS6detail15normal_iteratorINSA_10device_ptrIyEEEEPS6_SG_NS0_5tupleIJNSA_16discard_iteratorINSA_11use_defaultEEES6_EEENSH_IJSG_SG_EEES6_PlJNSB_9not_fun_tI7is_trueIyEEEEEE10hipError_tPvRmT3_T4_T5_T6_T7_T9_mT8_P12ihipStream_tbDpT10_ENKUlT_T0_E_clISt17integral_constantIbLb0EES1B_EEDaS16_S17_EUlS16_E_NS1_11comp_targetILNS1_3genE4ELNS1_11target_archE910ELNS1_3gpuE8ELNS1_3repE0EEENS1_30default_config_static_selectorELNS0_4arch9wavefront6targetE0EEEvT1_
	.globl	_ZN7rocprim17ROCPRIM_400000_NS6detail17trampoline_kernelINS0_14default_configENS1_25partition_config_selectorILNS1_17partition_subalgoE6EyNS0_10empty_typeEbEEZZNS1_14partition_implILS5_6ELb0ES3_mN6thrust23THRUST_200600_302600_NS6detail15normal_iteratorINSA_10device_ptrIyEEEEPS6_SG_NS0_5tupleIJNSA_16discard_iteratorINSA_11use_defaultEEES6_EEENSH_IJSG_SG_EEES6_PlJNSB_9not_fun_tI7is_trueIyEEEEEE10hipError_tPvRmT3_T4_T5_T6_T7_T9_mT8_P12ihipStream_tbDpT10_ENKUlT_T0_E_clISt17integral_constantIbLb0EES1B_EEDaS16_S17_EUlS16_E_NS1_11comp_targetILNS1_3genE4ELNS1_11target_archE910ELNS1_3gpuE8ELNS1_3repE0EEENS1_30default_config_static_selectorELNS0_4arch9wavefront6targetE0EEEvT1_
	.p2align	8
	.type	_ZN7rocprim17ROCPRIM_400000_NS6detail17trampoline_kernelINS0_14default_configENS1_25partition_config_selectorILNS1_17partition_subalgoE6EyNS0_10empty_typeEbEEZZNS1_14partition_implILS5_6ELb0ES3_mN6thrust23THRUST_200600_302600_NS6detail15normal_iteratorINSA_10device_ptrIyEEEEPS6_SG_NS0_5tupleIJNSA_16discard_iteratorINSA_11use_defaultEEES6_EEENSH_IJSG_SG_EEES6_PlJNSB_9not_fun_tI7is_trueIyEEEEEE10hipError_tPvRmT3_T4_T5_T6_T7_T9_mT8_P12ihipStream_tbDpT10_ENKUlT_T0_E_clISt17integral_constantIbLb0EES1B_EEDaS16_S17_EUlS16_E_NS1_11comp_targetILNS1_3genE4ELNS1_11target_archE910ELNS1_3gpuE8ELNS1_3repE0EEENS1_30default_config_static_selectorELNS0_4arch9wavefront6targetE0EEEvT1_,@function
_ZN7rocprim17ROCPRIM_400000_NS6detail17trampoline_kernelINS0_14default_configENS1_25partition_config_selectorILNS1_17partition_subalgoE6EyNS0_10empty_typeEbEEZZNS1_14partition_implILS5_6ELb0ES3_mN6thrust23THRUST_200600_302600_NS6detail15normal_iteratorINSA_10device_ptrIyEEEEPS6_SG_NS0_5tupleIJNSA_16discard_iteratorINSA_11use_defaultEEES6_EEENSH_IJSG_SG_EEES6_PlJNSB_9not_fun_tI7is_trueIyEEEEEE10hipError_tPvRmT3_T4_T5_T6_T7_T9_mT8_P12ihipStream_tbDpT10_ENKUlT_T0_E_clISt17integral_constantIbLb0EES1B_EEDaS16_S17_EUlS16_E_NS1_11comp_targetILNS1_3genE4ELNS1_11target_archE910ELNS1_3gpuE8ELNS1_3repE0EEENS1_30default_config_static_selectorELNS0_4arch9wavefront6targetE0EEEvT1_: ; @_ZN7rocprim17ROCPRIM_400000_NS6detail17trampoline_kernelINS0_14default_configENS1_25partition_config_selectorILNS1_17partition_subalgoE6EyNS0_10empty_typeEbEEZZNS1_14partition_implILS5_6ELb0ES3_mN6thrust23THRUST_200600_302600_NS6detail15normal_iteratorINSA_10device_ptrIyEEEEPS6_SG_NS0_5tupleIJNSA_16discard_iteratorINSA_11use_defaultEEES6_EEENSH_IJSG_SG_EEES6_PlJNSB_9not_fun_tI7is_trueIyEEEEEE10hipError_tPvRmT3_T4_T5_T6_T7_T9_mT8_P12ihipStream_tbDpT10_ENKUlT_T0_E_clISt17integral_constantIbLb0EES1B_EEDaS16_S17_EUlS16_E_NS1_11comp_targetILNS1_3genE4ELNS1_11target_archE910ELNS1_3gpuE8ELNS1_3repE0EEENS1_30default_config_static_selectorELNS0_4arch9wavefront6targetE0EEEvT1_
; %bb.0:
	.section	.rodata,"a",@progbits
	.p2align	6, 0x0
	.amdhsa_kernel _ZN7rocprim17ROCPRIM_400000_NS6detail17trampoline_kernelINS0_14default_configENS1_25partition_config_selectorILNS1_17partition_subalgoE6EyNS0_10empty_typeEbEEZZNS1_14partition_implILS5_6ELb0ES3_mN6thrust23THRUST_200600_302600_NS6detail15normal_iteratorINSA_10device_ptrIyEEEEPS6_SG_NS0_5tupleIJNSA_16discard_iteratorINSA_11use_defaultEEES6_EEENSH_IJSG_SG_EEES6_PlJNSB_9not_fun_tI7is_trueIyEEEEEE10hipError_tPvRmT3_T4_T5_T6_T7_T9_mT8_P12ihipStream_tbDpT10_ENKUlT_T0_E_clISt17integral_constantIbLb0EES1B_EEDaS16_S17_EUlS16_E_NS1_11comp_targetILNS1_3genE4ELNS1_11target_archE910ELNS1_3gpuE8ELNS1_3repE0EEENS1_30default_config_static_selectorELNS0_4arch9wavefront6targetE0EEEvT1_
		.amdhsa_group_segment_fixed_size 0
		.amdhsa_private_segment_fixed_size 0
		.amdhsa_kernarg_size 120
		.amdhsa_user_sgpr_count 2
		.amdhsa_user_sgpr_dispatch_ptr 0
		.amdhsa_user_sgpr_queue_ptr 0
		.amdhsa_user_sgpr_kernarg_segment_ptr 1
		.amdhsa_user_sgpr_dispatch_id 0
		.amdhsa_user_sgpr_private_segment_size 0
		.amdhsa_wavefront_size32 1
		.amdhsa_uses_dynamic_stack 0
		.amdhsa_enable_private_segment 0
		.amdhsa_system_sgpr_workgroup_id_x 1
		.amdhsa_system_sgpr_workgroup_id_y 0
		.amdhsa_system_sgpr_workgroup_id_z 0
		.amdhsa_system_sgpr_workgroup_info 0
		.amdhsa_system_vgpr_workitem_id 0
		.amdhsa_next_free_vgpr 1
		.amdhsa_next_free_sgpr 1
		.amdhsa_reserve_vcc 0
		.amdhsa_float_round_mode_32 0
		.amdhsa_float_round_mode_16_64 0
		.amdhsa_float_denorm_mode_32 3
		.amdhsa_float_denorm_mode_16_64 3
		.amdhsa_fp16_overflow 0
		.amdhsa_workgroup_processor_mode 1
		.amdhsa_memory_ordered 1
		.amdhsa_forward_progress 1
		.amdhsa_inst_pref_size 0
		.amdhsa_round_robin_scheduling 0
		.amdhsa_exception_fp_ieee_invalid_op 0
		.amdhsa_exception_fp_denorm_src 0
		.amdhsa_exception_fp_ieee_div_zero 0
		.amdhsa_exception_fp_ieee_overflow 0
		.amdhsa_exception_fp_ieee_underflow 0
		.amdhsa_exception_fp_ieee_inexact 0
		.amdhsa_exception_int_div_zero 0
	.end_amdhsa_kernel
	.section	.text._ZN7rocprim17ROCPRIM_400000_NS6detail17trampoline_kernelINS0_14default_configENS1_25partition_config_selectorILNS1_17partition_subalgoE6EyNS0_10empty_typeEbEEZZNS1_14partition_implILS5_6ELb0ES3_mN6thrust23THRUST_200600_302600_NS6detail15normal_iteratorINSA_10device_ptrIyEEEEPS6_SG_NS0_5tupleIJNSA_16discard_iteratorINSA_11use_defaultEEES6_EEENSH_IJSG_SG_EEES6_PlJNSB_9not_fun_tI7is_trueIyEEEEEE10hipError_tPvRmT3_T4_T5_T6_T7_T9_mT8_P12ihipStream_tbDpT10_ENKUlT_T0_E_clISt17integral_constantIbLb0EES1B_EEDaS16_S17_EUlS16_E_NS1_11comp_targetILNS1_3genE4ELNS1_11target_archE910ELNS1_3gpuE8ELNS1_3repE0EEENS1_30default_config_static_selectorELNS0_4arch9wavefront6targetE0EEEvT1_,"axG",@progbits,_ZN7rocprim17ROCPRIM_400000_NS6detail17trampoline_kernelINS0_14default_configENS1_25partition_config_selectorILNS1_17partition_subalgoE6EyNS0_10empty_typeEbEEZZNS1_14partition_implILS5_6ELb0ES3_mN6thrust23THRUST_200600_302600_NS6detail15normal_iteratorINSA_10device_ptrIyEEEEPS6_SG_NS0_5tupleIJNSA_16discard_iteratorINSA_11use_defaultEEES6_EEENSH_IJSG_SG_EEES6_PlJNSB_9not_fun_tI7is_trueIyEEEEEE10hipError_tPvRmT3_T4_T5_T6_T7_T9_mT8_P12ihipStream_tbDpT10_ENKUlT_T0_E_clISt17integral_constantIbLb0EES1B_EEDaS16_S17_EUlS16_E_NS1_11comp_targetILNS1_3genE4ELNS1_11target_archE910ELNS1_3gpuE8ELNS1_3repE0EEENS1_30default_config_static_selectorELNS0_4arch9wavefront6targetE0EEEvT1_,comdat
.Lfunc_end2143:
	.size	_ZN7rocprim17ROCPRIM_400000_NS6detail17trampoline_kernelINS0_14default_configENS1_25partition_config_selectorILNS1_17partition_subalgoE6EyNS0_10empty_typeEbEEZZNS1_14partition_implILS5_6ELb0ES3_mN6thrust23THRUST_200600_302600_NS6detail15normal_iteratorINSA_10device_ptrIyEEEEPS6_SG_NS0_5tupleIJNSA_16discard_iteratorINSA_11use_defaultEEES6_EEENSH_IJSG_SG_EEES6_PlJNSB_9not_fun_tI7is_trueIyEEEEEE10hipError_tPvRmT3_T4_T5_T6_T7_T9_mT8_P12ihipStream_tbDpT10_ENKUlT_T0_E_clISt17integral_constantIbLb0EES1B_EEDaS16_S17_EUlS16_E_NS1_11comp_targetILNS1_3genE4ELNS1_11target_archE910ELNS1_3gpuE8ELNS1_3repE0EEENS1_30default_config_static_selectorELNS0_4arch9wavefront6targetE0EEEvT1_, .Lfunc_end2143-_ZN7rocprim17ROCPRIM_400000_NS6detail17trampoline_kernelINS0_14default_configENS1_25partition_config_selectorILNS1_17partition_subalgoE6EyNS0_10empty_typeEbEEZZNS1_14partition_implILS5_6ELb0ES3_mN6thrust23THRUST_200600_302600_NS6detail15normal_iteratorINSA_10device_ptrIyEEEEPS6_SG_NS0_5tupleIJNSA_16discard_iteratorINSA_11use_defaultEEES6_EEENSH_IJSG_SG_EEES6_PlJNSB_9not_fun_tI7is_trueIyEEEEEE10hipError_tPvRmT3_T4_T5_T6_T7_T9_mT8_P12ihipStream_tbDpT10_ENKUlT_T0_E_clISt17integral_constantIbLb0EES1B_EEDaS16_S17_EUlS16_E_NS1_11comp_targetILNS1_3genE4ELNS1_11target_archE910ELNS1_3gpuE8ELNS1_3repE0EEENS1_30default_config_static_selectorELNS0_4arch9wavefront6targetE0EEEvT1_
                                        ; -- End function
	.set _ZN7rocprim17ROCPRIM_400000_NS6detail17trampoline_kernelINS0_14default_configENS1_25partition_config_selectorILNS1_17partition_subalgoE6EyNS0_10empty_typeEbEEZZNS1_14partition_implILS5_6ELb0ES3_mN6thrust23THRUST_200600_302600_NS6detail15normal_iteratorINSA_10device_ptrIyEEEEPS6_SG_NS0_5tupleIJNSA_16discard_iteratorINSA_11use_defaultEEES6_EEENSH_IJSG_SG_EEES6_PlJNSB_9not_fun_tI7is_trueIyEEEEEE10hipError_tPvRmT3_T4_T5_T6_T7_T9_mT8_P12ihipStream_tbDpT10_ENKUlT_T0_E_clISt17integral_constantIbLb0EES1B_EEDaS16_S17_EUlS16_E_NS1_11comp_targetILNS1_3genE4ELNS1_11target_archE910ELNS1_3gpuE8ELNS1_3repE0EEENS1_30default_config_static_selectorELNS0_4arch9wavefront6targetE0EEEvT1_.num_vgpr, 0
	.set _ZN7rocprim17ROCPRIM_400000_NS6detail17trampoline_kernelINS0_14default_configENS1_25partition_config_selectorILNS1_17partition_subalgoE6EyNS0_10empty_typeEbEEZZNS1_14partition_implILS5_6ELb0ES3_mN6thrust23THRUST_200600_302600_NS6detail15normal_iteratorINSA_10device_ptrIyEEEEPS6_SG_NS0_5tupleIJNSA_16discard_iteratorINSA_11use_defaultEEES6_EEENSH_IJSG_SG_EEES6_PlJNSB_9not_fun_tI7is_trueIyEEEEEE10hipError_tPvRmT3_T4_T5_T6_T7_T9_mT8_P12ihipStream_tbDpT10_ENKUlT_T0_E_clISt17integral_constantIbLb0EES1B_EEDaS16_S17_EUlS16_E_NS1_11comp_targetILNS1_3genE4ELNS1_11target_archE910ELNS1_3gpuE8ELNS1_3repE0EEENS1_30default_config_static_selectorELNS0_4arch9wavefront6targetE0EEEvT1_.num_agpr, 0
	.set _ZN7rocprim17ROCPRIM_400000_NS6detail17trampoline_kernelINS0_14default_configENS1_25partition_config_selectorILNS1_17partition_subalgoE6EyNS0_10empty_typeEbEEZZNS1_14partition_implILS5_6ELb0ES3_mN6thrust23THRUST_200600_302600_NS6detail15normal_iteratorINSA_10device_ptrIyEEEEPS6_SG_NS0_5tupleIJNSA_16discard_iteratorINSA_11use_defaultEEES6_EEENSH_IJSG_SG_EEES6_PlJNSB_9not_fun_tI7is_trueIyEEEEEE10hipError_tPvRmT3_T4_T5_T6_T7_T9_mT8_P12ihipStream_tbDpT10_ENKUlT_T0_E_clISt17integral_constantIbLb0EES1B_EEDaS16_S17_EUlS16_E_NS1_11comp_targetILNS1_3genE4ELNS1_11target_archE910ELNS1_3gpuE8ELNS1_3repE0EEENS1_30default_config_static_selectorELNS0_4arch9wavefront6targetE0EEEvT1_.numbered_sgpr, 0
	.set _ZN7rocprim17ROCPRIM_400000_NS6detail17trampoline_kernelINS0_14default_configENS1_25partition_config_selectorILNS1_17partition_subalgoE6EyNS0_10empty_typeEbEEZZNS1_14partition_implILS5_6ELb0ES3_mN6thrust23THRUST_200600_302600_NS6detail15normal_iteratorINSA_10device_ptrIyEEEEPS6_SG_NS0_5tupleIJNSA_16discard_iteratorINSA_11use_defaultEEES6_EEENSH_IJSG_SG_EEES6_PlJNSB_9not_fun_tI7is_trueIyEEEEEE10hipError_tPvRmT3_T4_T5_T6_T7_T9_mT8_P12ihipStream_tbDpT10_ENKUlT_T0_E_clISt17integral_constantIbLb0EES1B_EEDaS16_S17_EUlS16_E_NS1_11comp_targetILNS1_3genE4ELNS1_11target_archE910ELNS1_3gpuE8ELNS1_3repE0EEENS1_30default_config_static_selectorELNS0_4arch9wavefront6targetE0EEEvT1_.num_named_barrier, 0
	.set _ZN7rocprim17ROCPRIM_400000_NS6detail17trampoline_kernelINS0_14default_configENS1_25partition_config_selectorILNS1_17partition_subalgoE6EyNS0_10empty_typeEbEEZZNS1_14partition_implILS5_6ELb0ES3_mN6thrust23THRUST_200600_302600_NS6detail15normal_iteratorINSA_10device_ptrIyEEEEPS6_SG_NS0_5tupleIJNSA_16discard_iteratorINSA_11use_defaultEEES6_EEENSH_IJSG_SG_EEES6_PlJNSB_9not_fun_tI7is_trueIyEEEEEE10hipError_tPvRmT3_T4_T5_T6_T7_T9_mT8_P12ihipStream_tbDpT10_ENKUlT_T0_E_clISt17integral_constantIbLb0EES1B_EEDaS16_S17_EUlS16_E_NS1_11comp_targetILNS1_3genE4ELNS1_11target_archE910ELNS1_3gpuE8ELNS1_3repE0EEENS1_30default_config_static_selectorELNS0_4arch9wavefront6targetE0EEEvT1_.private_seg_size, 0
	.set _ZN7rocprim17ROCPRIM_400000_NS6detail17trampoline_kernelINS0_14default_configENS1_25partition_config_selectorILNS1_17partition_subalgoE6EyNS0_10empty_typeEbEEZZNS1_14partition_implILS5_6ELb0ES3_mN6thrust23THRUST_200600_302600_NS6detail15normal_iteratorINSA_10device_ptrIyEEEEPS6_SG_NS0_5tupleIJNSA_16discard_iteratorINSA_11use_defaultEEES6_EEENSH_IJSG_SG_EEES6_PlJNSB_9not_fun_tI7is_trueIyEEEEEE10hipError_tPvRmT3_T4_T5_T6_T7_T9_mT8_P12ihipStream_tbDpT10_ENKUlT_T0_E_clISt17integral_constantIbLb0EES1B_EEDaS16_S17_EUlS16_E_NS1_11comp_targetILNS1_3genE4ELNS1_11target_archE910ELNS1_3gpuE8ELNS1_3repE0EEENS1_30default_config_static_selectorELNS0_4arch9wavefront6targetE0EEEvT1_.uses_vcc, 0
	.set _ZN7rocprim17ROCPRIM_400000_NS6detail17trampoline_kernelINS0_14default_configENS1_25partition_config_selectorILNS1_17partition_subalgoE6EyNS0_10empty_typeEbEEZZNS1_14partition_implILS5_6ELb0ES3_mN6thrust23THRUST_200600_302600_NS6detail15normal_iteratorINSA_10device_ptrIyEEEEPS6_SG_NS0_5tupleIJNSA_16discard_iteratorINSA_11use_defaultEEES6_EEENSH_IJSG_SG_EEES6_PlJNSB_9not_fun_tI7is_trueIyEEEEEE10hipError_tPvRmT3_T4_T5_T6_T7_T9_mT8_P12ihipStream_tbDpT10_ENKUlT_T0_E_clISt17integral_constantIbLb0EES1B_EEDaS16_S17_EUlS16_E_NS1_11comp_targetILNS1_3genE4ELNS1_11target_archE910ELNS1_3gpuE8ELNS1_3repE0EEENS1_30default_config_static_selectorELNS0_4arch9wavefront6targetE0EEEvT1_.uses_flat_scratch, 0
	.set _ZN7rocprim17ROCPRIM_400000_NS6detail17trampoline_kernelINS0_14default_configENS1_25partition_config_selectorILNS1_17partition_subalgoE6EyNS0_10empty_typeEbEEZZNS1_14partition_implILS5_6ELb0ES3_mN6thrust23THRUST_200600_302600_NS6detail15normal_iteratorINSA_10device_ptrIyEEEEPS6_SG_NS0_5tupleIJNSA_16discard_iteratorINSA_11use_defaultEEES6_EEENSH_IJSG_SG_EEES6_PlJNSB_9not_fun_tI7is_trueIyEEEEEE10hipError_tPvRmT3_T4_T5_T6_T7_T9_mT8_P12ihipStream_tbDpT10_ENKUlT_T0_E_clISt17integral_constantIbLb0EES1B_EEDaS16_S17_EUlS16_E_NS1_11comp_targetILNS1_3genE4ELNS1_11target_archE910ELNS1_3gpuE8ELNS1_3repE0EEENS1_30default_config_static_selectorELNS0_4arch9wavefront6targetE0EEEvT1_.has_dyn_sized_stack, 0
	.set _ZN7rocprim17ROCPRIM_400000_NS6detail17trampoline_kernelINS0_14default_configENS1_25partition_config_selectorILNS1_17partition_subalgoE6EyNS0_10empty_typeEbEEZZNS1_14partition_implILS5_6ELb0ES3_mN6thrust23THRUST_200600_302600_NS6detail15normal_iteratorINSA_10device_ptrIyEEEEPS6_SG_NS0_5tupleIJNSA_16discard_iteratorINSA_11use_defaultEEES6_EEENSH_IJSG_SG_EEES6_PlJNSB_9not_fun_tI7is_trueIyEEEEEE10hipError_tPvRmT3_T4_T5_T6_T7_T9_mT8_P12ihipStream_tbDpT10_ENKUlT_T0_E_clISt17integral_constantIbLb0EES1B_EEDaS16_S17_EUlS16_E_NS1_11comp_targetILNS1_3genE4ELNS1_11target_archE910ELNS1_3gpuE8ELNS1_3repE0EEENS1_30default_config_static_selectorELNS0_4arch9wavefront6targetE0EEEvT1_.has_recursion, 0
	.set _ZN7rocprim17ROCPRIM_400000_NS6detail17trampoline_kernelINS0_14default_configENS1_25partition_config_selectorILNS1_17partition_subalgoE6EyNS0_10empty_typeEbEEZZNS1_14partition_implILS5_6ELb0ES3_mN6thrust23THRUST_200600_302600_NS6detail15normal_iteratorINSA_10device_ptrIyEEEEPS6_SG_NS0_5tupleIJNSA_16discard_iteratorINSA_11use_defaultEEES6_EEENSH_IJSG_SG_EEES6_PlJNSB_9not_fun_tI7is_trueIyEEEEEE10hipError_tPvRmT3_T4_T5_T6_T7_T9_mT8_P12ihipStream_tbDpT10_ENKUlT_T0_E_clISt17integral_constantIbLb0EES1B_EEDaS16_S17_EUlS16_E_NS1_11comp_targetILNS1_3genE4ELNS1_11target_archE910ELNS1_3gpuE8ELNS1_3repE0EEENS1_30default_config_static_selectorELNS0_4arch9wavefront6targetE0EEEvT1_.has_indirect_call, 0
	.section	.AMDGPU.csdata,"",@progbits
; Kernel info:
; codeLenInByte = 0
; TotalNumSgprs: 0
; NumVgprs: 0
; ScratchSize: 0
; MemoryBound: 0
; FloatMode: 240
; IeeeMode: 1
; LDSByteSize: 0 bytes/workgroup (compile time only)
; SGPRBlocks: 0
; VGPRBlocks: 0
; NumSGPRsForWavesPerEU: 1
; NumVGPRsForWavesPerEU: 1
; Occupancy: 16
; WaveLimiterHint : 0
; COMPUTE_PGM_RSRC2:SCRATCH_EN: 0
; COMPUTE_PGM_RSRC2:USER_SGPR: 2
; COMPUTE_PGM_RSRC2:TRAP_HANDLER: 0
; COMPUTE_PGM_RSRC2:TGID_X_EN: 1
; COMPUTE_PGM_RSRC2:TGID_Y_EN: 0
; COMPUTE_PGM_RSRC2:TGID_Z_EN: 0
; COMPUTE_PGM_RSRC2:TIDIG_COMP_CNT: 0
	.section	.text._ZN7rocprim17ROCPRIM_400000_NS6detail17trampoline_kernelINS0_14default_configENS1_25partition_config_selectorILNS1_17partition_subalgoE6EyNS0_10empty_typeEbEEZZNS1_14partition_implILS5_6ELb0ES3_mN6thrust23THRUST_200600_302600_NS6detail15normal_iteratorINSA_10device_ptrIyEEEEPS6_SG_NS0_5tupleIJNSA_16discard_iteratorINSA_11use_defaultEEES6_EEENSH_IJSG_SG_EEES6_PlJNSB_9not_fun_tI7is_trueIyEEEEEE10hipError_tPvRmT3_T4_T5_T6_T7_T9_mT8_P12ihipStream_tbDpT10_ENKUlT_T0_E_clISt17integral_constantIbLb0EES1B_EEDaS16_S17_EUlS16_E_NS1_11comp_targetILNS1_3genE3ELNS1_11target_archE908ELNS1_3gpuE7ELNS1_3repE0EEENS1_30default_config_static_selectorELNS0_4arch9wavefront6targetE0EEEvT1_,"axG",@progbits,_ZN7rocprim17ROCPRIM_400000_NS6detail17trampoline_kernelINS0_14default_configENS1_25partition_config_selectorILNS1_17partition_subalgoE6EyNS0_10empty_typeEbEEZZNS1_14partition_implILS5_6ELb0ES3_mN6thrust23THRUST_200600_302600_NS6detail15normal_iteratorINSA_10device_ptrIyEEEEPS6_SG_NS0_5tupleIJNSA_16discard_iteratorINSA_11use_defaultEEES6_EEENSH_IJSG_SG_EEES6_PlJNSB_9not_fun_tI7is_trueIyEEEEEE10hipError_tPvRmT3_T4_T5_T6_T7_T9_mT8_P12ihipStream_tbDpT10_ENKUlT_T0_E_clISt17integral_constantIbLb0EES1B_EEDaS16_S17_EUlS16_E_NS1_11comp_targetILNS1_3genE3ELNS1_11target_archE908ELNS1_3gpuE7ELNS1_3repE0EEENS1_30default_config_static_selectorELNS0_4arch9wavefront6targetE0EEEvT1_,comdat
	.protected	_ZN7rocprim17ROCPRIM_400000_NS6detail17trampoline_kernelINS0_14default_configENS1_25partition_config_selectorILNS1_17partition_subalgoE6EyNS0_10empty_typeEbEEZZNS1_14partition_implILS5_6ELb0ES3_mN6thrust23THRUST_200600_302600_NS6detail15normal_iteratorINSA_10device_ptrIyEEEEPS6_SG_NS0_5tupleIJNSA_16discard_iteratorINSA_11use_defaultEEES6_EEENSH_IJSG_SG_EEES6_PlJNSB_9not_fun_tI7is_trueIyEEEEEE10hipError_tPvRmT3_T4_T5_T6_T7_T9_mT8_P12ihipStream_tbDpT10_ENKUlT_T0_E_clISt17integral_constantIbLb0EES1B_EEDaS16_S17_EUlS16_E_NS1_11comp_targetILNS1_3genE3ELNS1_11target_archE908ELNS1_3gpuE7ELNS1_3repE0EEENS1_30default_config_static_selectorELNS0_4arch9wavefront6targetE0EEEvT1_ ; -- Begin function _ZN7rocprim17ROCPRIM_400000_NS6detail17trampoline_kernelINS0_14default_configENS1_25partition_config_selectorILNS1_17partition_subalgoE6EyNS0_10empty_typeEbEEZZNS1_14partition_implILS5_6ELb0ES3_mN6thrust23THRUST_200600_302600_NS6detail15normal_iteratorINSA_10device_ptrIyEEEEPS6_SG_NS0_5tupleIJNSA_16discard_iteratorINSA_11use_defaultEEES6_EEENSH_IJSG_SG_EEES6_PlJNSB_9not_fun_tI7is_trueIyEEEEEE10hipError_tPvRmT3_T4_T5_T6_T7_T9_mT8_P12ihipStream_tbDpT10_ENKUlT_T0_E_clISt17integral_constantIbLb0EES1B_EEDaS16_S17_EUlS16_E_NS1_11comp_targetILNS1_3genE3ELNS1_11target_archE908ELNS1_3gpuE7ELNS1_3repE0EEENS1_30default_config_static_selectorELNS0_4arch9wavefront6targetE0EEEvT1_
	.globl	_ZN7rocprim17ROCPRIM_400000_NS6detail17trampoline_kernelINS0_14default_configENS1_25partition_config_selectorILNS1_17partition_subalgoE6EyNS0_10empty_typeEbEEZZNS1_14partition_implILS5_6ELb0ES3_mN6thrust23THRUST_200600_302600_NS6detail15normal_iteratorINSA_10device_ptrIyEEEEPS6_SG_NS0_5tupleIJNSA_16discard_iteratorINSA_11use_defaultEEES6_EEENSH_IJSG_SG_EEES6_PlJNSB_9not_fun_tI7is_trueIyEEEEEE10hipError_tPvRmT3_T4_T5_T6_T7_T9_mT8_P12ihipStream_tbDpT10_ENKUlT_T0_E_clISt17integral_constantIbLb0EES1B_EEDaS16_S17_EUlS16_E_NS1_11comp_targetILNS1_3genE3ELNS1_11target_archE908ELNS1_3gpuE7ELNS1_3repE0EEENS1_30default_config_static_selectorELNS0_4arch9wavefront6targetE0EEEvT1_
	.p2align	8
	.type	_ZN7rocprim17ROCPRIM_400000_NS6detail17trampoline_kernelINS0_14default_configENS1_25partition_config_selectorILNS1_17partition_subalgoE6EyNS0_10empty_typeEbEEZZNS1_14partition_implILS5_6ELb0ES3_mN6thrust23THRUST_200600_302600_NS6detail15normal_iteratorINSA_10device_ptrIyEEEEPS6_SG_NS0_5tupleIJNSA_16discard_iteratorINSA_11use_defaultEEES6_EEENSH_IJSG_SG_EEES6_PlJNSB_9not_fun_tI7is_trueIyEEEEEE10hipError_tPvRmT3_T4_T5_T6_T7_T9_mT8_P12ihipStream_tbDpT10_ENKUlT_T0_E_clISt17integral_constantIbLb0EES1B_EEDaS16_S17_EUlS16_E_NS1_11comp_targetILNS1_3genE3ELNS1_11target_archE908ELNS1_3gpuE7ELNS1_3repE0EEENS1_30default_config_static_selectorELNS0_4arch9wavefront6targetE0EEEvT1_,@function
_ZN7rocprim17ROCPRIM_400000_NS6detail17trampoline_kernelINS0_14default_configENS1_25partition_config_selectorILNS1_17partition_subalgoE6EyNS0_10empty_typeEbEEZZNS1_14partition_implILS5_6ELb0ES3_mN6thrust23THRUST_200600_302600_NS6detail15normal_iteratorINSA_10device_ptrIyEEEEPS6_SG_NS0_5tupleIJNSA_16discard_iteratorINSA_11use_defaultEEES6_EEENSH_IJSG_SG_EEES6_PlJNSB_9not_fun_tI7is_trueIyEEEEEE10hipError_tPvRmT3_T4_T5_T6_T7_T9_mT8_P12ihipStream_tbDpT10_ENKUlT_T0_E_clISt17integral_constantIbLb0EES1B_EEDaS16_S17_EUlS16_E_NS1_11comp_targetILNS1_3genE3ELNS1_11target_archE908ELNS1_3gpuE7ELNS1_3repE0EEENS1_30default_config_static_selectorELNS0_4arch9wavefront6targetE0EEEvT1_: ; @_ZN7rocprim17ROCPRIM_400000_NS6detail17trampoline_kernelINS0_14default_configENS1_25partition_config_selectorILNS1_17partition_subalgoE6EyNS0_10empty_typeEbEEZZNS1_14partition_implILS5_6ELb0ES3_mN6thrust23THRUST_200600_302600_NS6detail15normal_iteratorINSA_10device_ptrIyEEEEPS6_SG_NS0_5tupleIJNSA_16discard_iteratorINSA_11use_defaultEEES6_EEENSH_IJSG_SG_EEES6_PlJNSB_9not_fun_tI7is_trueIyEEEEEE10hipError_tPvRmT3_T4_T5_T6_T7_T9_mT8_P12ihipStream_tbDpT10_ENKUlT_T0_E_clISt17integral_constantIbLb0EES1B_EEDaS16_S17_EUlS16_E_NS1_11comp_targetILNS1_3genE3ELNS1_11target_archE908ELNS1_3gpuE7ELNS1_3repE0EEENS1_30default_config_static_selectorELNS0_4arch9wavefront6targetE0EEEvT1_
; %bb.0:
	.section	.rodata,"a",@progbits
	.p2align	6, 0x0
	.amdhsa_kernel _ZN7rocprim17ROCPRIM_400000_NS6detail17trampoline_kernelINS0_14default_configENS1_25partition_config_selectorILNS1_17partition_subalgoE6EyNS0_10empty_typeEbEEZZNS1_14partition_implILS5_6ELb0ES3_mN6thrust23THRUST_200600_302600_NS6detail15normal_iteratorINSA_10device_ptrIyEEEEPS6_SG_NS0_5tupleIJNSA_16discard_iteratorINSA_11use_defaultEEES6_EEENSH_IJSG_SG_EEES6_PlJNSB_9not_fun_tI7is_trueIyEEEEEE10hipError_tPvRmT3_T4_T5_T6_T7_T9_mT8_P12ihipStream_tbDpT10_ENKUlT_T0_E_clISt17integral_constantIbLb0EES1B_EEDaS16_S17_EUlS16_E_NS1_11comp_targetILNS1_3genE3ELNS1_11target_archE908ELNS1_3gpuE7ELNS1_3repE0EEENS1_30default_config_static_selectorELNS0_4arch9wavefront6targetE0EEEvT1_
		.amdhsa_group_segment_fixed_size 0
		.amdhsa_private_segment_fixed_size 0
		.amdhsa_kernarg_size 120
		.amdhsa_user_sgpr_count 2
		.amdhsa_user_sgpr_dispatch_ptr 0
		.amdhsa_user_sgpr_queue_ptr 0
		.amdhsa_user_sgpr_kernarg_segment_ptr 1
		.amdhsa_user_sgpr_dispatch_id 0
		.amdhsa_user_sgpr_private_segment_size 0
		.amdhsa_wavefront_size32 1
		.amdhsa_uses_dynamic_stack 0
		.amdhsa_enable_private_segment 0
		.amdhsa_system_sgpr_workgroup_id_x 1
		.amdhsa_system_sgpr_workgroup_id_y 0
		.amdhsa_system_sgpr_workgroup_id_z 0
		.amdhsa_system_sgpr_workgroup_info 0
		.amdhsa_system_vgpr_workitem_id 0
		.amdhsa_next_free_vgpr 1
		.amdhsa_next_free_sgpr 1
		.amdhsa_reserve_vcc 0
		.amdhsa_float_round_mode_32 0
		.amdhsa_float_round_mode_16_64 0
		.amdhsa_float_denorm_mode_32 3
		.amdhsa_float_denorm_mode_16_64 3
		.amdhsa_fp16_overflow 0
		.amdhsa_workgroup_processor_mode 1
		.amdhsa_memory_ordered 1
		.amdhsa_forward_progress 1
		.amdhsa_inst_pref_size 0
		.amdhsa_round_robin_scheduling 0
		.amdhsa_exception_fp_ieee_invalid_op 0
		.amdhsa_exception_fp_denorm_src 0
		.amdhsa_exception_fp_ieee_div_zero 0
		.amdhsa_exception_fp_ieee_overflow 0
		.amdhsa_exception_fp_ieee_underflow 0
		.amdhsa_exception_fp_ieee_inexact 0
		.amdhsa_exception_int_div_zero 0
	.end_amdhsa_kernel
	.section	.text._ZN7rocprim17ROCPRIM_400000_NS6detail17trampoline_kernelINS0_14default_configENS1_25partition_config_selectorILNS1_17partition_subalgoE6EyNS0_10empty_typeEbEEZZNS1_14partition_implILS5_6ELb0ES3_mN6thrust23THRUST_200600_302600_NS6detail15normal_iteratorINSA_10device_ptrIyEEEEPS6_SG_NS0_5tupleIJNSA_16discard_iteratorINSA_11use_defaultEEES6_EEENSH_IJSG_SG_EEES6_PlJNSB_9not_fun_tI7is_trueIyEEEEEE10hipError_tPvRmT3_T4_T5_T6_T7_T9_mT8_P12ihipStream_tbDpT10_ENKUlT_T0_E_clISt17integral_constantIbLb0EES1B_EEDaS16_S17_EUlS16_E_NS1_11comp_targetILNS1_3genE3ELNS1_11target_archE908ELNS1_3gpuE7ELNS1_3repE0EEENS1_30default_config_static_selectorELNS0_4arch9wavefront6targetE0EEEvT1_,"axG",@progbits,_ZN7rocprim17ROCPRIM_400000_NS6detail17trampoline_kernelINS0_14default_configENS1_25partition_config_selectorILNS1_17partition_subalgoE6EyNS0_10empty_typeEbEEZZNS1_14partition_implILS5_6ELb0ES3_mN6thrust23THRUST_200600_302600_NS6detail15normal_iteratorINSA_10device_ptrIyEEEEPS6_SG_NS0_5tupleIJNSA_16discard_iteratorINSA_11use_defaultEEES6_EEENSH_IJSG_SG_EEES6_PlJNSB_9not_fun_tI7is_trueIyEEEEEE10hipError_tPvRmT3_T4_T5_T6_T7_T9_mT8_P12ihipStream_tbDpT10_ENKUlT_T0_E_clISt17integral_constantIbLb0EES1B_EEDaS16_S17_EUlS16_E_NS1_11comp_targetILNS1_3genE3ELNS1_11target_archE908ELNS1_3gpuE7ELNS1_3repE0EEENS1_30default_config_static_selectorELNS0_4arch9wavefront6targetE0EEEvT1_,comdat
.Lfunc_end2144:
	.size	_ZN7rocprim17ROCPRIM_400000_NS6detail17trampoline_kernelINS0_14default_configENS1_25partition_config_selectorILNS1_17partition_subalgoE6EyNS0_10empty_typeEbEEZZNS1_14partition_implILS5_6ELb0ES3_mN6thrust23THRUST_200600_302600_NS6detail15normal_iteratorINSA_10device_ptrIyEEEEPS6_SG_NS0_5tupleIJNSA_16discard_iteratorINSA_11use_defaultEEES6_EEENSH_IJSG_SG_EEES6_PlJNSB_9not_fun_tI7is_trueIyEEEEEE10hipError_tPvRmT3_T4_T5_T6_T7_T9_mT8_P12ihipStream_tbDpT10_ENKUlT_T0_E_clISt17integral_constantIbLb0EES1B_EEDaS16_S17_EUlS16_E_NS1_11comp_targetILNS1_3genE3ELNS1_11target_archE908ELNS1_3gpuE7ELNS1_3repE0EEENS1_30default_config_static_selectorELNS0_4arch9wavefront6targetE0EEEvT1_, .Lfunc_end2144-_ZN7rocprim17ROCPRIM_400000_NS6detail17trampoline_kernelINS0_14default_configENS1_25partition_config_selectorILNS1_17partition_subalgoE6EyNS0_10empty_typeEbEEZZNS1_14partition_implILS5_6ELb0ES3_mN6thrust23THRUST_200600_302600_NS6detail15normal_iteratorINSA_10device_ptrIyEEEEPS6_SG_NS0_5tupleIJNSA_16discard_iteratorINSA_11use_defaultEEES6_EEENSH_IJSG_SG_EEES6_PlJNSB_9not_fun_tI7is_trueIyEEEEEE10hipError_tPvRmT3_T4_T5_T6_T7_T9_mT8_P12ihipStream_tbDpT10_ENKUlT_T0_E_clISt17integral_constantIbLb0EES1B_EEDaS16_S17_EUlS16_E_NS1_11comp_targetILNS1_3genE3ELNS1_11target_archE908ELNS1_3gpuE7ELNS1_3repE0EEENS1_30default_config_static_selectorELNS0_4arch9wavefront6targetE0EEEvT1_
                                        ; -- End function
	.set _ZN7rocprim17ROCPRIM_400000_NS6detail17trampoline_kernelINS0_14default_configENS1_25partition_config_selectorILNS1_17partition_subalgoE6EyNS0_10empty_typeEbEEZZNS1_14partition_implILS5_6ELb0ES3_mN6thrust23THRUST_200600_302600_NS6detail15normal_iteratorINSA_10device_ptrIyEEEEPS6_SG_NS0_5tupleIJNSA_16discard_iteratorINSA_11use_defaultEEES6_EEENSH_IJSG_SG_EEES6_PlJNSB_9not_fun_tI7is_trueIyEEEEEE10hipError_tPvRmT3_T4_T5_T6_T7_T9_mT8_P12ihipStream_tbDpT10_ENKUlT_T0_E_clISt17integral_constantIbLb0EES1B_EEDaS16_S17_EUlS16_E_NS1_11comp_targetILNS1_3genE3ELNS1_11target_archE908ELNS1_3gpuE7ELNS1_3repE0EEENS1_30default_config_static_selectorELNS0_4arch9wavefront6targetE0EEEvT1_.num_vgpr, 0
	.set _ZN7rocprim17ROCPRIM_400000_NS6detail17trampoline_kernelINS0_14default_configENS1_25partition_config_selectorILNS1_17partition_subalgoE6EyNS0_10empty_typeEbEEZZNS1_14partition_implILS5_6ELb0ES3_mN6thrust23THRUST_200600_302600_NS6detail15normal_iteratorINSA_10device_ptrIyEEEEPS6_SG_NS0_5tupleIJNSA_16discard_iteratorINSA_11use_defaultEEES6_EEENSH_IJSG_SG_EEES6_PlJNSB_9not_fun_tI7is_trueIyEEEEEE10hipError_tPvRmT3_T4_T5_T6_T7_T9_mT8_P12ihipStream_tbDpT10_ENKUlT_T0_E_clISt17integral_constantIbLb0EES1B_EEDaS16_S17_EUlS16_E_NS1_11comp_targetILNS1_3genE3ELNS1_11target_archE908ELNS1_3gpuE7ELNS1_3repE0EEENS1_30default_config_static_selectorELNS0_4arch9wavefront6targetE0EEEvT1_.num_agpr, 0
	.set _ZN7rocprim17ROCPRIM_400000_NS6detail17trampoline_kernelINS0_14default_configENS1_25partition_config_selectorILNS1_17partition_subalgoE6EyNS0_10empty_typeEbEEZZNS1_14partition_implILS5_6ELb0ES3_mN6thrust23THRUST_200600_302600_NS6detail15normal_iteratorINSA_10device_ptrIyEEEEPS6_SG_NS0_5tupleIJNSA_16discard_iteratorINSA_11use_defaultEEES6_EEENSH_IJSG_SG_EEES6_PlJNSB_9not_fun_tI7is_trueIyEEEEEE10hipError_tPvRmT3_T4_T5_T6_T7_T9_mT8_P12ihipStream_tbDpT10_ENKUlT_T0_E_clISt17integral_constantIbLb0EES1B_EEDaS16_S17_EUlS16_E_NS1_11comp_targetILNS1_3genE3ELNS1_11target_archE908ELNS1_3gpuE7ELNS1_3repE0EEENS1_30default_config_static_selectorELNS0_4arch9wavefront6targetE0EEEvT1_.numbered_sgpr, 0
	.set _ZN7rocprim17ROCPRIM_400000_NS6detail17trampoline_kernelINS0_14default_configENS1_25partition_config_selectorILNS1_17partition_subalgoE6EyNS0_10empty_typeEbEEZZNS1_14partition_implILS5_6ELb0ES3_mN6thrust23THRUST_200600_302600_NS6detail15normal_iteratorINSA_10device_ptrIyEEEEPS6_SG_NS0_5tupleIJNSA_16discard_iteratorINSA_11use_defaultEEES6_EEENSH_IJSG_SG_EEES6_PlJNSB_9not_fun_tI7is_trueIyEEEEEE10hipError_tPvRmT3_T4_T5_T6_T7_T9_mT8_P12ihipStream_tbDpT10_ENKUlT_T0_E_clISt17integral_constantIbLb0EES1B_EEDaS16_S17_EUlS16_E_NS1_11comp_targetILNS1_3genE3ELNS1_11target_archE908ELNS1_3gpuE7ELNS1_3repE0EEENS1_30default_config_static_selectorELNS0_4arch9wavefront6targetE0EEEvT1_.num_named_barrier, 0
	.set _ZN7rocprim17ROCPRIM_400000_NS6detail17trampoline_kernelINS0_14default_configENS1_25partition_config_selectorILNS1_17partition_subalgoE6EyNS0_10empty_typeEbEEZZNS1_14partition_implILS5_6ELb0ES3_mN6thrust23THRUST_200600_302600_NS6detail15normal_iteratorINSA_10device_ptrIyEEEEPS6_SG_NS0_5tupleIJNSA_16discard_iteratorINSA_11use_defaultEEES6_EEENSH_IJSG_SG_EEES6_PlJNSB_9not_fun_tI7is_trueIyEEEEEE10hipError_tPvRmT3_T4_T5_T6_T7_T9_mT8_P12ihipStream_tbDpT10_ENKUlT_T0_E_clISt17integral_constantIbLb0EES1B_EEDaS16_S17_EUlS16_E_NS1_11comp_targetILNS1_3genE3ELNS1_11target_archE908ELNS1_3gpuE7ELNS1_3repE0EEENS1_30default_config_static_selectorELNS0_4arch9wavefront6targetE0EEEvT1_.private_seg_size, 0
	.set _ZN7rocprim17ROCPRIM_400000_NS6detail17trampoline_kernelINS0_14default_configENS1_25partition_config_selectorILNS1_17partition_subalgoE6EyNS0_10empty_typeEbEEZZNS1_14partition_implILS5_6ELb0ES3_mN6thrust23THRUST_200600_302600_NS6detail15normal_iteratorINSA_10device_ptrIyEEEEPS6_SG_NS0_5tupleIJNSA_16discard_iteratorINSA_11use_defaultEEES6_EEENSH_IJSG_SG_EEES6_PlJNSB_9not_fun_tI7is_trueIyEEEEEE10hipError_tPvRmT3_T4_T5_T6_T7_T9_mT8_P12ihipStream_tbDpT10_ENKUlT_T0_E_clISt17integral_constantIbLb0EES1B_EEDaS16_S17_EUlS16_E_NS1_11comp_targetILNS1_3genE3ELNS1_11target_archE908ELNS1_3gpuE7ELNS1_3repE0EEENS1_30default_config_static_selectorELNS0_4arch9wavefront6targetE0EEEvT1_.uses_vcc, 0
	.set _ZN7rocprim17ROCPRIM_400000_NS6detail17trampoline_kernelINS0_14default_configENS1_25partition_config_selectorILNS1_17partition_subalgoE6EyNS0_10empty_typeEbEEZZNS1_14partition_implILS5_6ELb0ES3_mN6thrust23THRUST_200600_302600_NS6detail15normal_iteratorINSA_10device_ptrIyEEEEPS6_SG_NS0_5tupleIJNSA_16discard_iteratorINSA_11use_defaultEEES6_EEENSH_IJSG_SG_EEES6_PlJNSB_9not_fun_tI7is_trueIyEEEEEE10hipError_tPvRmT3_T4_T5_T6_T7_T9_mT8_P12ihipStream_tbDpT10_ENKUlT_T0_E_clISt17integral_constantIbLb0EES1B_EEDaS16_S17_EUlS16_E_NS1_11comp_targetILNS1_3genE3ELNS1_11target_archE908ELNS1_3gpuE7ELNS1_3repE0EEENS1_30default_config_static_selectorELNS0_4arch9wavefront6targetE0EEEvT1_.uses_flat_scratch, 0
	.set _ZN7rocprim17ROCPRIM_400000_NS6detail17trampoline_kernelINS0_14default_configENS1_25partition_config_selectorILNS1_17partition_subalgoE6EyNS0_10empty_typeEbEEZZNS1_14partition_implILS5_6ELb0ES3_mN6thrust23THRUST_200600_302600_NS6detail15normal_iteratorINSA_10device_ptrIyEEEEPS6_SG_NS0_5tupleIJNSA_16discard_iteratorINSA_11use_defaultEEES6_EEENSH_IJSG_SG_EEES6_PlJNSB_9not_fun_tI7is_trueIyEEEEEE10hipError_tPvRmT3_T4_T5_T6_T7_T9_mT8_P12ihipStream_tbDpT10_ENKUlT_T0_E_clISt17integral_constantIbLb0EES1B_EEDaS16_S17_EUlS16_E_NS1_11comp_targetILNS1_3genE3ELNS1_11target_archE908ELNS1_3gpuE7ELNS1_3repE0EEENS1_30default_config_static_selectorELNS0_4arch9wavefront6targetE0EEEvT1_.has_dyn_sized_stack, 0
	.set _ZN7rocprim17ROCPRIM_400000_NS6detail17trampoline_kernelINS0_14default_configENS1_25partition_config_selectorILNS1_17partition_subalgoE6EyNS0_10empty_typeEbEEZZNS1_14partition_implILS5_6ELb0ES3_mN6thrust23THRUST_200600_302600_NS6detail15normal_iteratorINSA_10device_ptrIyEEEEPS6_SG_NS0_5tupleIJNSA_16discard_iteratorINSA_11use_defaultEEES6_EEENSH_IJSG_SG_EEES6_PlJNSB_9not_fun_tI7is_trueIyEEEEEE10hipError_tPvRmT3_T4_T5_T6_T7_T9_mT8_P12ihipStream_tbDpT10_ENKUlT_T0_E_clISt17integral_constantIbLb0EES1B_EEDaS16_S17_EUlS16_E_NS1_11comp_targetILNS1_3genE3ELNS1_11target_archE908ELNS1_3gpuE7ELNS1_3repE0EEENS1_30default_config_static_selectorELNS0_4arch9wavefront6targetE0EEEvT1_.has_recursion, 0
	.set _ZN7rocprim17ROCPRIM_400000_NS6detail17trampoline_kernelINS0_14default_configENS1_25partition_config_selectorILNS1_17partition_subalgoE6EyNS0_10empty_typeEbEEZZNS1_14partition_implILS5_6ELb0ES3_mN6thrust23THRUST_200600_302600_NS6detail15normal_iteratorINSA_10device_ptrIyEEEEPS6_SG_NS0_5tupleIJNSA_16discard_iteratorINSA_11use_defaultEEES6_EEENSH_IJSG_SG_EEES6_PlJNSB_9not_fun_tI7is_trueIyEEEEEE10hipError_tPvRmT3_T4_T5_T6_T7_T9_mT8_P12ihipStream_tbDpT10_ENKUlT_T0_E_clISt17integral_constantIbLb0EES1B_EEDaS16_S17_EUlS16_E_NS1_11comp_targetILNS1_3genE3ELNS1_11target_archE908ELNS1_3gpuE7ELNS1_3repE0EEENS1_30default_config_static_selectorELNS0_4arch9wavefront6targetE0EEEvT1_.has_indirect_call, 0
	.section	.AMDGPU.csdata,"",@progbits
; Kernel info:
; codeLenInByte = 0
; TotalNumSgprs: 0
; NumVgprs: 0
; ScratchSize: 0
; MemoryBound: 0
; FloatMode: 240
; IeeeMode: 1
; LDSByteSize: 0 bytes/workgroup (compile time only)
; SGPRBlocks: 0
; VGPRBlocks: 0
; NumSGPRsForWavesPerEU: 1
; NumVGPRsForWavesPerEU: 1
; Occupancy: 16
; WaveLimiterHint : 0
; COMPUTE_PGM_RSRC2:SCRATCH_EN: 0
; COMPUTE_PGM_RSRC2:USER_SGPR: 2
; COMPUTE_PGM_RSRC2:TRAP_HANDLER: 0
; COMPUTE_PGM_RSRC2:TGID_X_EN: 1
; COMPUTE_PGM_RSRC2:TGID_Y_EN: 0
; COMPUTE_PGM_RSRC2:TGID_Z_EN: 0
; COMPUTE_PGM_RSRC2:TIDIG_COMP_CNT: 0
	.section	.text._ZN7rocprim17ROCPRIM_400000_NS6detail17trampoline_kernelINS0_14default_configENS1_25partition_config_selectorILNS1_17partition_subalgoE6EyNS0_10empty_typeEbEEZZNS1_14partition_implILS5_6ELb0ES3_mN6thrust23THRUST_200600_302600_NS6detail15normal_iteratorINSA_10device_ptrIyEEEEPS6_SG_NS0_5tupleIJNSA_16discard_iteratorINSA_11use_defaultEEES6_EEENSH_IJSG_SG_EEES6_PlJNSB_9not_fun_tI7is_trueIyEEEEEE10hipError_tPvRmT3_T4_T5_T6_T7_T9_mT8_P12ihipStream_tbDpT10_ENKUlT_T0_E_clISt17integral_constantIbLb0EES1B_EEDaS16_S17_EUlS16_E_NS1_11comp_targetILNS1_3genE2ELNS1_11target_archE906ELNS1_3gpuE6ELNS1_3repE0EEENS1_30default_config_static_selectorELNS0_4arch9wavefront6targetE0EEEvT1_,"axG",@progbits,_ZN7rocprim17ROCPRIM_400000_NS6detail17trampoline_kernelINS0_14default_configENS1_25partition_config_selectorILNS1_17partition_subalgoE6EyNS0_10empty_typeEbEEZZNS1_14partition_implILS5_6ELb0ES3_mN6thrust23THRUST_200600_302600_NS6detail15normal_iteratorINSA_10device_ptrIyEEEEPS6_SG_NS0_5tupleIJNSA_16discard_iteratorINSA_11use_defaultEEES6_EEENSH_IJSG_SG_EEES6_PlJNSB_9not_fun_tI7is_trueIyEEEEEE10hipError_tPvRmT3_T4_T5_T6_T7_T9_mT8_P12ihipStream_tbDpT10_ENKUlT_T0_E_clISt17integral_constantIbLb0EES1B_EEDaS16_S17_EUlS16_E_NS1_11comp_targetILNS1_3genE2ELNS1_11target_archE906ELNS1_3gpuE6ELNS1_3repE0EEENS1_30default_config_static_selectorELNS0_4arch9wavefront6targetE0EEEvT1_,comdat
	.protected	_ZN7rocprim17ROCPRIM_400000_NS6detail17trampoline_kernelINS0_14default_configENS1_25partition_config_selectorILNS1_17partition_subalgoE6EyNS0_10empty_typeEbEEZZNS1_14partition_implILS5_6ELb0ES3_mN6thrust23THRUST_200600_302600_NS6detail15normal_iteratorINSA_10device_ptrIyEEEEPS6_SG_NS0_5tupleIJNSA_16discard_iteratorINSA_11use_defaultEEES6_EEENSH_IJSG_SG_EEES6_PlJNSB_9not_fun_tI7is_trueIyEEEEEE10hipError_tPvRmT3_T4_T5_T6_T7_T9_mT8_P12ihipStream_tbDpT10_ENKUlT_T0_E_clISt17integral_constantIbLb0EES1B_EEDaS16_S17_EUlS16_E_NS1_11comp_targetILNS1_3genE2ELNS1_11target_archE906ELNS1_3gpuE6ELNS1_3repE0EEENS1_30default_config_static_selectorELNS0_4arch9wavefront6targetE0EEEvT1_ ; -- Begin function _ZN7rocprim17ROCPRIM_400000_NS6detail17trampoline_kernelINS0_14default_configENS1_25partition_config_selectorILNS1_17partition_subalgoE6EyNS0_10empty_typeEbEEZZNS1_14partition_implILS5_6ELb0ES3_mN6thrust23THRUST_200600_302600_NS6detail15normal_iteratorINSA_10device_ptrIyEEEEPS6_SG_NS0_5tupleIJNSA_16discard_iteratorINSA_11use_defaultEEES6_EEENSH_IJSG_SG_EEES6_PlJNSB_9not_fun_tI7is_trueIyEEEEEE10hipError_tPvRmT3_T4_T5_T6_T7_T9_mT8_P12ihipStream_tbDpT10_ENKUlT_T0_E_clISt17integral_constantIbLb0EES1B_EEDaS16_S17_EUlS16_E_NS1_11comp_targetILNS1_3genE2ELNS1_11target_archE906ELNS1_3gpuE6ELNS1_3repE0EEENS1_30default_config_static_selectorELNS0_4arch9wavefront6targetE0EEEvT1_
	.globl	_ZN7rocprim17ROCPRIM_400000_NS6detail17trampoline_kernelINS0_14default_configENS1_25partition_config_selectorILNS1_17partition_subalgoE6EyNS0_10empty_typeEbEEZZNS1_14partition_implILS5_6ELb0ES3_mN6thrust23THRUST_200600_302600_NS6detail15normal_iteratorINSA_10device_ptrIyEEEEPS6_SG_NS0_5tupleIJNSA_16discard_iteratorINSA_11use_defaultEEES6_EEENSH_IJSG_SG_EEES6_PlJNSB_9not_fun_tI7is_trueIyEEEEEE10hipError_tPvRmT3_T4_T5_T6_T7_T9_mT8_P12ihipStream_tbDpT10_ENKUlT_T0_E_clISt17integral_constantIbLb0EES1B_EEDaS16_S17_EUlS16_E_NS1_11comp_targetILNS1_3genE2ELNS1_11target_archE906ELNS1_3gpuE6ELNS1_3repE0EEENS1_30default_config_static_selectorELNS0_4arch9wavefront6targetE0EEEvT1_
	.p2align	8
	.type	_ZN7rocprim17ROCPRIM_400000_NS6detail17trampoline_kernelINS0_14default_configENS1_25partition_config_selectorILNS1_17partition_subalgoE6EyNS0_10empty_typeEbEEZZNS1_14partition_implILS5_6ELb0ES3_mN6thrust23THRUST_200600_302600_NS6detail15normal_iteratorINSA_10device_ptrIyEEEEPS6_SG_NS0_5tupleIJNSA_16discard_iteratorINSA_11use_defaultEEES6_EEENSH_IJSG_SG_EEES6_PlJNSB_9not_fun_tI7is_trueIyEEEEEE10hipError_tPvRmT3_T4_T5_T6_T7_T9_mT8_P12ihipStream_tbDpT10_ENKUlT_T0_E_clISt17integral_constantIbLb0EES1B_EEDaS16_S17_EUlS16_E_NS1_11comp_targetILNS1_3genE2ELNS1_11target_archE906ELNS1_3gpuE6ELNS1_3repE0EEENS1_30default_config_static_selectorELNS0_4arch9wavefront6targetE0EEEvT1_,@function
_ZN7rocprim17ROCPRIM_400000_NS6detail17trampoline_kernelINS0_14default_configENS1_25partition_config_selectorILNS1_17partition_subalgoE6EyNS0_10empty_typeEbEEZZNS1_14partition_implILS5_6ELb0ES3_mN6thrust23THRUST_200600_302600_NS6detail15normal_iteratorINSA_10device_ptrIyEEEEPS6_SG_NS0_5tupleIJNSA_16discard_iteratorINSA_11use_defaultEEES6_EEENSH_IJSG_SG_EEES6_PlJNSB_9not_fun_tI7is_trueIyEEEEEE10hipError_tPvRmT3_T4_T5_T6_T7_T9_mT8_P12ihipStream_tbDpT10_ENKUlT_T0_E_clISt17integral_constantIbLb0EES1B_EEDaS16_S17_EUlS16_E_NS1_11comp_targetILNS1_3genE2ELNS1_11target_archE906ELNS1_3gpuE6ELNS1_3repE0EEENS1_30default_config_static_selectorELNS0_4arch9wavefront6targetE0EEEvT1_: ; @_ZN7rocprim17ROCPRIM_400000_NS6detail17trampoline_kernelINS0_14default_configENS1_25partition_config_selectorILNS1_17partition_subalgoE6EyNS0_10empty_typeEbEEZZNS1_14partition_implILS5_6ELb0ES3_mN6thrust23THRUST_200600_302600_NS6detail15normal_iteratorINSA_10device_ptrIyEEEEPS6_SG_NS0_5tupleIJNSA_16discard_iteratorINSA_11use_defaultEEES6_EEENSH_IJSG_SG_EEES6_PlJNSB_9not_fun_tI7is_trueIyEEEEEE10hipError_tPvRmT3_T4_T5_T6_T7_T9_mT8_P12ihipStream_tbDpT10_ENKUlT_T0_E_clISt17integral_constantIbLb0EES1B_EEDaS16_S17_EUlS16_E_NS1_11comp_targetILNS1_3genE2ELNS1_11target_archE906ELNS1_3gpuE6ELNS1_3repE0EEENS1_30default_config_static_selectorELNS0_4arch9wavefront6targetE0EEEvT1_
; %bb.0:
	.section	.rodata,"a",@progbits
	.p2align	6, 0x0
	.amdhsa_kernel _ZN7rocprim17ROCPRIM_400000_NS6detail17trampoline_kernelINS0_14default_configENS1_25partition_config_selectorILNS1_17partition_subalgoE6EyNS0_10empty_typeEbEEZZNS1_14partition_implILS5_6ELb0ES3_mN6thrust23THRUST_200600_302600_NS6detail15normal_iteratorINSA_10device_ptrIyEEEEPS6_SG_NS0_5tupleIJNSA_16discard_iteratorINSA_11use_defaultEEES6_EEENSH_IJSG_SG_EEES6_PlJNSB_9not_fun_tI7is_trueIyEEEEEE10hipError_tPvRmT3_T4_T5_T6_T7_T9_mT8_P12ihipStream_tbDpT10_ENKUlT_T0_E_clISt17integral_constantIbLb0EES1B_EEDaS16_S17_EUlS16_E_NS1_11comp_targetILNS1_3genE2ELNS1_11target_archE906ELNS1_3gpuE6ELNS1_3repE0EEENS1_30default_config_static_selectorELNS0_4arch9wavefront6targetE0EEEvT1_
		.amdhsa_group_segment_fixed_size 0
		.amdhsa_private_segment_fixed_size 0
		.amdhsa_kernarg_size 120
		.amdhsa_user_sgpr_count 2
		.amdhsa_user_sgpr_dispatch_ptr 0
		.amdhsa_user_sgpr_queue_ptr 0
		.amdhsa_user_sgpr_kernarg_segment_ptr 1
		.amdhsa_user_sgpr_dispatch_id 0
		.amdhsa_user_sgpr_private_segment_size 0
		.amdhsa_wavefront_size32 1
		.amdhsa_uses_dynamic_stack 0
		.amdhsa_enable_private_segment 0
		.amdhsa_system_sgpr_workgroup_id_x 1
		.amdhsa_system_sgpr_workgroup_id_y 0
		.amdhsa_system_sgpr_workgroup_id_z 0
		.amdhsa_system_sgpr_workgroup_info 0
		.amdhsa_system_vgpr_workitem_id 0
		.amdhsa_next_free_vgpr 1
		.amdhsa_next_free_sgpr 1
		.amdhsa_reserve_vcc 0
		.amdhsa_float_round_mode_32 0
		.amdhsa_float_round_mode_16_64 0
		.amdhsa_float_denorm_mode_32 3
		.amdhsa_float_denorm_mode_16_64 3
		.amdhsa_fp16_overflow 0
		.amdhsa_workgroup_processor_mode 1
		.amdhsa_memory_ordered 1
		.amdhsa_forward_progress 1
		.amdhsa_inst_pref_size 0
		.amdhsa_round_robin_scheduling 0
		.amdhsa_exception_fp_ieee_invalid_op 0
		.amdhsa_exception_fp_denorm_src 0
		.amdhsa_exception_fp_ieee_div_zero 0
		.amdhsa_exception_fp_ieee_overflow 0
		.amdhsa_exception_fp_ieee_underflow 0
		.amdhsa_exception_fp_ieee_inexact 0
		.amdhsa_exception_int_div_zero 0
	.end_amdhsa_kernel
	.section	.text._ZN7rocprim17ROCPRIM_400000_NS6detail17trampoline_kernelINS0_14default_configENS1_25partition_config_selectorILNS1_17partition_subalgoE6EyNS0_10empty_typeEbEEZZNS1_14partition_implILS5_6ELb0ES3_mN6thrust23THRUST_200600_302600_NS6detail15normal_iteratorINSA_10device_ptrIyEEEEPS6_SG_NS0_5tupleIJNSA_16discard_iteratorINSA_11use_defaultEEES6_EEENSH_IJSG_SG_EEES6_PlJNSB_9not_fun_tI7is_trueIyEEEEEE10hipError_tPvRmT3_T4_T5_T6_T7_T9_mT8_P12ihipStream_tbDpT10_ENKUlT_T0_E_clISt17integral_constantIbLb0EES1B_EEDaS16_S17_EUlS16_E_NS1_11comp_targetILNS1_3genE2ELNS1_11target_archE906ELNS1_3gpuE6ELNS1_3repE0EEENS1_30default_config_static_selectorELNS0_4arch9wavefront6targetE0EEEvT1_,"axG",@progbits,_ZN7rocprim17ROCPRIM_400000_NS6detail17trampoline_kernelINS0_14default_configENS1_25partition_config_selectorILNS1_17partition_subalgoE6EyNS0_10empty_typeEbEEZZNS1_14partition_implILS5_6ELb0ES3_mN6thrust23THRUST_200600_302600_NS6detail15normal_iteratorINSA_10device_ptrIyEEEEPS6_SG_NS0_5tupleIJNSA_16discard_iteratorINSA_11use_defaultEEES6_EEENSH_IJSG_SG_EEES6_PlJNSB_9not_fun_tI7is_trueIyEEEEEE10hipError_tPvRmT3_T4_T5_T6_T7_T9_mT8_P12ihipStream_tbDpT10_ENKUlT_T0_E_clISt17integral_constantIbLb0EES1B_EEDaS16_S17_EUlS16_E_NS1_11comp_targetILNS1_3genE2ELNS1_11target_archE906ELNS1_3gpuE6ELNS1_3repE0EEENS1_30default_config_static_selectorELNS0_4arch9wavefront6targetE0EEEvT1_,comdat
.Lfunc_end2145:
	.size	_ZN7rocprim17ROCPRIM_400000_NS6detail17trampoline_kernelINS0_14default_configENS1_25partition_config_selectorILNS1_17partition_subalgoE6EyNS0_10empty_typeEbEEZZNS1_14partition_implILS5_6ELb0ES3_mN6thrust23THRUST_200600_302600_NS6detail15normal_iteratorINSA_10device_ptrIyEEEEPS6_SG_NS0_5tupleIJNSA_16discard_iteratorINSA_11use_defaultEEES6_EEENSH_IJSG_SG_EEES6_PlJNSB_9not_fun_tI7is_trueIyEEEEEE10hipError_tPvRmT3_T4_T5_T6_T7_T9_mT8_P12ihipStream_tbDpT10_ENKUlT_T0_E_clISt17integral_constantIbLb0EES1B_EEDaS16_S17_EUlS16_E_NS1_11comp_targetILNS1_3genE2ELNS1_11target_archE906ELNS1_3gpuE6ELNS1_3repE0EEENS1_30default_config_static_selectorELNS0_4arch9wavefront6targetE0EEEvT1_, .Lfunc_end2145-_ZN7rocprim17ROCPRIM_400000_NS6detail17trampoline_kernelINS0_14default_configENS1_25partition_config_selectorILNS1_17partition_subalgoE6EyNS0_10empty_typeEbEEZZNS1_14partition_implILS5_6ELb0ES3_mN6thrust23THRUST_200600_302600_NS6detail15normal_iteratorINSA_10device_ptrIyEEEEPS6_SG_NS0_5tupleIJNSA_16discard_iteratorINSA_11use_defaultEEES6_EEENSH_IJSG_SG_EEES6_PlJNSB_9not_fun_tI7is_trueIyEEEEEE10hipError_tPvRmT3_T4_T5_T6_T7_T9_mT8_P12ihipStream_tbDpT10_ENKUlT_T0_E_clISt17integral_constantIbLb0EES1B_EEDaS16_S17_EUlS16_E_NS1_11comp_targetILNS1_3genE2ELNS1_11target_archE906ELNS1_3gpuE6ELNS1_3repE0EEENS1_30default_config_static_selectorELNS0_4arch9wavefront6targetE0EEEvT1_
                                        ; -- End function
	.set _ZN7rocprim17ROCPRIM_400000_NS6detail17trampoline_kernelINS0_14default_configENS1_25partition_config_selectorILNS1_17partition_subalgoE6EyNS0_10empty_typeEbEEZZNS1_14partition_implILS5_6ELb0ES3_mN6thrust23THRUST_200600_302600_NS6detail15normal_iteratorINSA_10device_ptrIyEEEEPS6_SG_NS0_5tupleIJNSA_16discard_iteratorINSA_11use_defaultEEES6_EEENSH_IJSG_SG_EEES6_PlJNSB_9not_fun_tI7is_trueIyEEEEEE10hipError_tPvRmT3_T4_T5_T6_T7_T9_mT8_P12ihipStream_tbDpT10_ENKUlT_T0_E_clISt17integral_constantIbLb0EES1B_EEDaS16_S17_EUlS16_E_NS1_11comp_targetILNS1_3genE2ELNS1_11target_archE906ELNS1_3gpuE6ELNS1_3repE0EEENS1_30default_config_static_selectorELNS0_4arch9wavefront6targetE0EEEvT1_.num_vgpr, 0
	.set _ZN7rocprim17ROCPRIM_400000_NS6detail17trampoline_kernelINS0_14default_configENS1_25partition_config_selectorILNS1_17partition_subalgoE6EyNS0_10empty_typeEbEEZZNS1_14partition_implILS5_6ELb0ES3_mN6thrust23THRUST_200600_302600_NS6detail15normal_iteratorINSA_10device_ptrIyEEEEPS6_SG_NS0_5tupleIJNSA_16discard_iteratorINSA_11use_defaultEEES6_EEENSH_IJSG_SG_EEES6_PlJNSB_9not_fun_tI7is_trueIyEEEEEE10hipError_tPvRmT3_T4_T5_T6_T7_T9_mT8_P12ihipStream_tbDpT10_ENKUlT_T0_E_clISt17integral_constantIbLb0EES1B_EEDaS16_S17_EUlS16_E_NS1_11comp_targetILNS1_3genE2ELNS1_11target_archE906ELNS1_3gpuE6ELNS1_3repE0EEENS1_30default_config_static_selectorELNS0_4arch9wavefront6targetE0EEEvT1_.num_agpr, 0
	.set _ZN7rocprim17ROCPRIM_400000_NS6detail17trampoline_kernelINS0_14default_configENS1_25partition_config_selectorILNS1_17partition_subalgoE6EyNS0_10empty_typeEbEEZZNS1_14partition_implILS5_6ELb0ES3_mN6thrust23THRUST_200600_302600_NS6detail15normal_iteratorINSA_10device_ptrIyEEEEPS6_SG_NS0_5tupleIJNSA_16discard_iteratorINSA_11use_defaultEEES6_EEENSH_IJSG_SG_EEES6_PlJNSB_9not_fun_tI7is_trueIyEEEEEE10hipError_tPvRmT3_T4_T5_T6_T7_T9_mT8_P12ihipStream_tbDpT10_ENKUlT_T0_E_clISt17integral_constantIbLb0EES1B_EEDaS16_S17_EUlS16_E_NS1_11comp_targetILNS1_3genE2ELNS1_11target_archE906ELNS1_3gpuE6ELNS1_3repE0EEENS1_30default_config_static_selectorELNS0_4arch9wavefront6targetE0EEEvT1_.numbered_sgpr, 0
	.set _ZN7rocprim17ROCPRIM_400000_NS6detail17trampoline_kernelINS0_14default_configENS1_25partition_config_selectorILNS1_17partition_subalgoE6EyNS0_10empty_typeEbEEZZNS1_14partition_implILS5_6ELb0ES3_mN6thrust23THRUST_200600_302600_NS6detail15normal_iteratorINSA_10device_ptrIyEEEEPS6_SG_NS0_5tupleIJNSA_16discard_iteratorINSA_11use_defaultEEES6_EEENSH_IJSG_SG_EEES6_PlJNSB_9not_fun_tI7is_trueIyEEEEEE10hipError_tPvRmT3_T4_T5_T6_T7_T9_mT8_P12ihipStream_tbDpT10_ENKUlT_T0_E_clISt17integral_constantIbLb0EES1B_EEDaS16_S17_EUlS16_E_NS1_11comp_targetILNS1_3genE2ELNS1_11target_archE906ELNS1_3gpuE6ELNS1_3repE0EEENS1_30default_config_static_selectorELNS0_4arch9wavefront6targetE0EEEvT1_.num_named_barrier, 0
	.set _ZN7rocprim17ROCPRIM_400000_NS6detail17trampoline_kernelINS0_14default_configENS1_25partition_config_selectorILNS1_17partition_subalgoE6EyNS0_10empty_typeEbEEZZNS1_14partition_implILS5_6ELb0ES3_mN6thrust23THRUST_200600_302600_NS6detail15normal_iteratorINSA_10device_ptrIyEEEEPS6_SG_NS0_5tupleIJNSA_16discard_iteratorINSA_11use_defaultEEES6_EEENSH_IJSG_SG_EEES6_PlJNSB_9not_fun_tI7is_trueIyEEEEEE10hipError_tPvRmT3_T4_T5_T6_T7_T9_mT8_P12ihipStream_tbDpT10_ENKUlT_T0_E_clISt17integral_constantIbLb0EES1B_EEDaS16_S17_EUlS16_E_NS1_11comp_targetILNS1_3genE2ELNS1_11target_archE906ELNS1_3gpuE6ELNS1_3repE0EEENS1_30default_config_static_selectorELNS0_4arch9wavefront6targetE0EEEvT1_.private_seg_size, 0
	.set _ZN7rocprim17ROCPRIM_400000_NS6detail17trampoline_kernelINS0_14default_configENS1_25partition_config_selectorILNS1_17partition_subalgoE6EyNS0_10empty_typeEbEEZZNS1_14partition_implILS5_6ELb0ES3_mN6thrust23THRUST_200600_302600_NS6detail15normal_iteratorINSA_10device_ptrIyEEEEPS6_SG_NS0_5tupleIJNSA_16discard_iteratorINSA_11use_defaultEEES6_EEENSH_IJSG_SG_EEES6_PlJNSB_9not_fun_tI7is_trueIyEEEEEE10hipError_tPvRmT3_T4_T5_T6_T7_T9_mT8_P12ihipStream_tbDpT10_ENKUlT_T0_E_clISt17integral_constantIbLb0EES1B_EEDaS16_S17_EUlS16_E_NS1_11comp_targetILNS1_3genE2ELNS1_11target_archE906ELNS1_3gpuE6ELNS1_3repE0EEENS1_30default_config_static_selectorELNS0_4arch9wavefront6targetE0EEEvT1_.uses_vcc, 0
	.set _ZN7rocprim17ROCPRIM_400000_NS6detail17trampoline_kernelINS0_14default_configENS1_25partition_config_selectorILNS1_17partition_subalgoE6EyNS0_10empty_typeEbEEZZNS1_14partition_implILS5_6ELb0ES3_mN6thrust23THRUST_200600_302600_NS6detail15normal_iteratorINSA_10device_ptrIyEEEEPS6_SG_NS0_5tupleIJNSA_16discard_iteratorINSA_11use_defaultEEES6_EEENSH_IJSG_SG_EEES6_PlJNSB_9not_fun_tI7is_trueIyEEEEEE10hipError_tPvRmT3_T4_T5_T6_T7_T9_mT8_P12ihipStream_tbDpT10_ENKUlT_T0_E_clISt17integral_constantIbLb0EES1B_EEDaS16_S17_EUlS16_E_NS1_11comp_targetILNS1_3genE2ELNS1_11target_archE906ELNS1_3gpuE6ELNS1_3repE0EEENS1_30default_config_static_selectorELNS0_4arch9wavefront6targetE0EEEvT1_.uses_flat_scratch, 0
	.set _ZN7rocprim17ROCPRIM_400000_NS6detail17trampoline_kernelINS0_14default_configENS1_25partition_config_selectorILNS1_17partition_subalgoE6EyNS0_10empty_typeEbEEZZNS1_14partition_implILS5_6ELb0ES3_mN6thrust23THRUST_200600_302600_NS6detail15normal_iteratorINSA_10device_ptrIyEEEEPS6_SG_NS0_5tupleIJNSA_16discard_iteratorINSA_11use_defaultEEES6_EEENSH_IJSG_SG_EEES6_PlJNSB_9not_fun_tI7is_trueIyEEEEEE10hipError_tPvRmT3_T4_T5_T6_T7_T9_mT8_P12ihipStream_tbDpT10_ENKUlT_T0_E_clISt17integral_constantIbLb0EES1B_EEDaS16_S17_EUlS16_E_NS1_11comp_targetILNS1_3genE2ELNS1_11target_archE906ELNS1_3gpuE6ELNS1_3repE0EEENS1_30default_config_static_selectorELNS0_4arch9wavefront6targetE0EEEvT1_.has_dyn_sized_stack, 0
	.set _ZN7rocprim17ROCPRIM_400000_NS6detail17trampoline_kernelINS0_14default_configENS1_25partition_config_selectorILNS1_17partition_subalgoE6EyNS0_10empty_typeEbEEZZNS1_14partition_implILS5_6ELb0ES3_mN6thrust23THRUST_200600_302600_NS6detail15normal_iteratorINSA_10device_ptrIyEEEEPS6_SG_NS0_5tupleIJNSA_16discard_iteratorINSA_11use_defaultEEES6_EEENSH_IJSG_SG_EEES6_PlJNSB_9not_fun_tI7is_trueIyEEEEEE10hipError_tPvRmT3_T4_T5_T6_T7_T9_mT8_P12ihipStream_tbDpT10_ENKUlT_T0_E_clISt17integral_constantIbLb0EES1B_EEDaS16_S17_EUlS16_E_NS1_11comp_targetILNS1_3genE2ELNS1_11target_archE906ELNS1_3gpuE6ELNS1_3repE0EEENS1_30default_config_static_selectorELNS0_4arch9wavefront6targetE0EEEvT1_.has_recursion, 0
	.set _ZN7rocprim17ROCPRIM_400000_NS6detail17trampoline_kernelINS0_14default_configENS1_25partition_config_selectorILNS1_17partition_subalgoE6EyNS0_10empty_typeEbEEZZNS1_14partition_implILS5_6ELb0ES3_mN6thrust23THRUST_200600_302600_NS6detail15normal_iteratorINSA_10device_ptrIyEEEEPS6_SG_NS0_5tupleIJNSA_16discard_iteratorINSA_11use_defaultEEES6_EEENSH_IJSG_SG_EEES6_PlJNSB_9not_fun_tI7is_trueIyEEEEEE10hipError_tPvRmT3_T4_T5_T6_T7_T9_mT8_P12ihipStream_tbDpT10_ENKUlT_T0_E_clISt17integral_constantIbLb0EES1B_EEDaS16_S17_EUlS16_E_NS1_11comp_targetILNS1_3genE2ELNS1_11target_archE906ELNS1_3gpuE6ELNS1_3repE0EEENS1_30default_config_static_selectorELNS0_4arch9wavefront6targetE0EEEvT1_.has_indirect_call, 0
	.section	.AMDGPU.csdata,"",@progbits
; Kernel info:
; codeLenInByte = 0
; TotalNumSgprs: 0
; NumVgprs: 0
; ScratchSize: 0
; MemoryBound: 0
; FloatMode: 240
; IeeeMode: 1
; LDSByteSize: 0 bytes/workgroup (compile time only)
; SGPRBlocks: 0
; VGPRBlocks: 0
; NumSGPRsForWavesPerEU: 1
; NumVGPRsForWavesPerEU: 1
; Occupancy: 16
; WaveLimiterHint : 0
; COMPUTE_PGM_RSRC2:SCRATCH_EN: 0
; COMPUTE_PGM_RSRC2:USER_SGPR: 2
; COMPUTE_PGM_RSRC2:TRAP_HANDLER: 0
; COMPUTE_PGM_RSRC2:TGID_X_EN: 1
; COMPUTE_PGM_RSRC2:TGID_Y_EN: 0
; COMPUTE_PGM_RSRC2:TGID_Z_EN: 0
; COMPUTE_PGM_RSRC2:TIDIG_COMP_CNT: 0
	.section	.text._ZN7rocprim17ROCPRIM_400000_NS6detail17trampoline_kernelINS0_14default_configENS1_25partition_config_selectorILNS1_17partition_subalgoE6EyNS0_10empty_typeEbEEZZNS1_14partition_implILS5_6ELb0ES3_mN6thrust23THRUST_200600_302600_NS6detail15normal_iteratorINSA_10device_ptrIyEEEEPS6_SG_NS0_5tupleIJNSA_16discard_iteratorINSA_11use_defaultEEES6_EEENSH_IJSG_SG_EEES6_PlJNSB_9not_fun_tI7is_trueIyEEEEEE10hipError_tPvRmT3_T4_T5_T6_T7_T9_mT8_P12ihipStream_tbDpT10_ENKUlT_T0_E_clISt17integral_constantIbLb0EES1B_EEDaS16_S17_EUlS16_E_NS1_11comp_targetILNS1_3genE10ELNS1_11target_archE1200ELNS1_3gpuE4ELNS1_3repE0EEENS1_30default_config_static_selectorELNS0_4arch9wavefront6targetE0EEEvT1_,"axG",@progbits,_ZN7rocprim17ROCPRIM_400000_NS6detail17trampoline_kernelINS0_14default_configENS1_25partition_config_selectorILNS1_17partition_subalgoE6EyNS0_10empty_typeEbEEZZNS1_14partition_implILS5_6ELb0ES3_mN6thrust23THRUST_200600_302600_NS6detail15normal_iteratorINSA_10device_ptrIyEEEEPS6_SG_NS0_5tupleIJNSA_16discard_iteratorINSA_11use_defaultEEES6_EEENSH_IJSG_SG_EEES6_PlJNSB_9not_fun_tI7is_trueIyEEEEEE10hipError_tPvRmT3_T4_T5_T6_T7_T9_mT8_P12ihipStream_tbDpT10_ENKUlT_T0_E_clISt17integral_constantIbLb0EES1B_EEDaS16_S17_EUlS16_E_NS1_11comp_targetILNS1_3genE10ELNS1_11target_archE1200ELNS1_3gpuE4ELNS1_3repE0EEENS1_30default_config_static_selectorELNS0_4arch9wavefront6targetE0EEEvT1_,comdat
	.protected	_ZN7rocprim17ROCPRIM_400000_NS6detail17trampoline_kernelINS0_14default_configENS1_25partition_config_selectorILNS1_17partition_subalgoE6EyNS0_10empty_typeEbEEZZNS1_14partition_implILS5_6ELb0ES3_mN6thrust23THRUST_200600_302600_NS6detail15normal_iteratorINSA_10device_ptrIyEEEEPS6_SG_NS0_5tupleIJNSA_16discard_iteratorINSA_11use_defaultEEES6_EEENSH_IJSG_SG_EEES6_PlJNSB_9not_fun_tI7is_trueIyEEEEEE10hipError_tPvRmT3_T4_T5_T6_T7_T9_mT8_P12ihipStream_tbDpT10_ENKUlT_T0_E_clISt17integral_constantIbLb0EES1B_EEDaS16_S17_EUlS16_E_NS1_11comp_targetILNS1_3genE10ELNS1_11target_archE1200ELNS1_3gpuE4ELNS1_3repE0EEENS1_30default_config_static_selectorELNS0_4arch9wavefront6targetE0EEEvT1_ ; -- Begin function _ZN7rocprim17ROCPRIM_400000_NS6detail17trampoline_kernelINS0_14default_configENS1_25partition_config_selectorILNS1_17partition_subalgoE6EyNS0_10empty_typeEbEEZZNS1_14partition_implILS5_6ELb0ES3_mN6thrust23THRUST_200600_302600_NS6detail15normal_iteratorINSA_10device_ptrIyEEEEPS6_SG_NS0_5tupleIJNSA_16discard_iteratorINSA_11use_defaultEEES6_EEENSH_IJSG_SG_EEES6_PlJNSB_9not_fun_tI7is_trueIyEEEEEE10hipError_tPvRmT3_T4_T5_T6_T7_T9_mT8_P12ihipStream_tbDpT10_ENKUlT_T0_E_clISt17integral_constantIbLb0EES1B_EEDaS16_S17_EUlS16_E_NS1_11comp_targetILNS1_3genE10ELNS1_11target_archE1200ELNS1_3gpuE4ELNS1_3repE0EEENS1_30default_config_static_selectorELNS0_4arch9wavefront6targetE0EEEvT1_
	.globl	_ZN7rocprim17ROCPRIM_400000_NS6detail17trampoline_kernelINS0_14default_configENS1_25partition_config_selectorILNS1_17partition_subalgoE6EyNS0_10empty_typeEbEEZZNS1_14partition_implILS5_6ELb0ES3_mN6thrust23THRUST_200600_302600_NS6detail15normal_iteratorINSA_10device_ptrIyEEEEPS6_SG_NS0_5tupleIJNSA_16discard_iteratorINSA_11use_defaultEEES6_EEENSH_IJSG_SG_EEES6_PlJNSB_9not_fun_tI7is_trueIyEEEEEE10hipError_tPvRmT3_T4_T5_T6_T7_T9_mT8_P12ihipStream_tbDpT10_ENKUlT_T0_E_clISt17integral_constantIbLb0EES1B_EEDaS16_S17_EUlS16_E_NS1_11comp_targetILNS1_3genE10ELNS1_11target_archE1200ELNS1_3gpuE4ELNS1_3repE0EEENS1_30default_config_static_selectorELNS0_4arch9wavefront6targetE0EEEvT1_
	.p2align	8
	.type	_ZN7rocprim17ROCPRIM_400000_NS6detail17trampoline_kernelINS0_14default_configENS1_25partition_config_selectorILNS1_17partition_subalgoE6EyNS0_10empty_typeEbEEZZNS1_14partition_implILS5_6ELb0ES3_mN6thrust23THRUST_200600_302600_NS6detail15normal_iteratorINSA_10device_ptrIyEEEEPS6_SG_NS0_5tupleIJNSA_16discard_iteratorINSA_11use_defaultEEES6_EEENSH_IJSG_SG_EEES6_PlJNSB_9not_fun_tI7is_trueIyEEEEEE10hipError_tPvRmT3_T4_T5_T6_T7_T9_mT8_P12ihipStream_tbDpT10_ENKUlT_T0_E_clISt17integral_constantIbLb0EES1B_EEDaS16_S17_EUlS16_E_NS1_11comp_targetILNS1_3genE10ELNS1_11target_archE1200ELNS1_3gpuE4ELNS1_3repE0EEENS1_30default_config_static_selectorELNS0_4arch9wavefront6targetE0EEEvT1_,@function
_ZN7rocprim17ROCPRIM_400000_NS6detail17trampoline_kernelINS0_14default_configENS1_25partition_config_selectorILNS1_17partition_subalgoE6EyNS0_10empty_typeEbEEZZNS1_14partition_implILS5_6ELb0ES3_mN6thrust23THRUST_200600_302600_NS6detail15normal_iteratorINSA_10device_ptrIyEEEEPS6_SG_NS0_5tupleIJNSA_16discard_iteratorINSA_11use_defaultEEES6_EEENSH_IJSG_SG_EEES6_PlJNSB_9not_fun_tI7is_trueIyEEEEEE10hipError_tPvRmT3_T4_T5_T6_T7_T9_mT8_P12ihipStream_tbDpT10_ENKUlT_T0_E_clISt17integral_constantIbLb0EES1B_EEDaS16_S17_EUlS16_E_NS1_11comp_targetILNS1_3genE10ELNS1_11target_archE1200ELNS1_3gpuE4ELNS1_3repE0EEENS1_30default_config_static_selectorELNS0_4arch9wavefront6targetE0EEEvT1_: ; @_ZN7rocprim17ROCPRIM_400000_NS6detail17trampoline_kernelINS0_14default_configENS1_25partition_config_selectorILNS1_17partition_subalgoE6EyNS0_10empty_typeEbEEZZNS1_14partition_implILS5_6ELb0ES3_mN6thrust23THRUST_200600_302600_NS6detail15normal_iteratorINSA_10device_ptrIyEEEEPS6_SG_NS0_5tupleIJNSA_16discard_iteratorINSA_11use_defaultEEES6_EEENSH_IJSG_SG_EEES6_PlJNSB_9not_fun_tI7is_trueIyEEEEEE10hipError_tPvRmT3_T4_T5_T6_T7_T9_mT8_P12ihipStream_tbDpT10_ENKUlT_T0_E_clISt17integral_constantIbLb0EES1B_EEDaS16_S17_EUlS16_E_NS1_11comp_targetILNS1_3genE10ELNS1_11target_archE1200ELNS1_3gpuE4ELNS1_3repE0EEENS1_30default_config_static_selectorELNS0_4arch9wavefront6targetE0EEEvT1_
; %bb.0:
	s_clause 0x3
	s_load_b128 s[4:7], s[0:1], 0x8
	s_load_b128 s[8:11], s[0:1], 0x48
	s_load_b32 s15, s[0:1], 0x70
	s_load_b64 s[12:13], s[0:1], 0x58
	s_mov_b32 s17, 0
	s_lshl_b32 s2, ttmp9, 10
	s_mov_b32 s3, s17
	v_lshrrev_b32_e32 v9, 2, v0
	v_or_b32_e32 v12, 0x100, v0
	v_or_b32_e32 v11, 0x200, v0
	;; [unrolled: 1-line block ×3, first 2 shown]
	s_mov_b32 s14, -1
	s_wait_kmcnt 0x0
	s_lshl_b64 s[18:19], s[6:7], 3
	s_load_b64 s[10:11], s[10:11], 0x0
	s_add_co_i32 s20, s15, -1
	s_lshl_b32 s16, s15, 10
	s_lshl_b32 s15, s20, 10
	s_add_nc_u64 s[16:17], s[6:7], s[16:17]
	s_add_co_i32 s6, s6, s15
	s_cmp_eq_u32 ttmp9, s20
	v_cmp_gt_u64_e64 s13, s[12:13], s[16:17]
	s_cselect_b32 s7, -1, 0
	s_cmp_lg_u32 ttmp9, s20
	s_add_nc_u64 s[16:17], s[4:5], s[18:19]
	s_cselect_b32 s15, -1, 0
	s_lshl_b64 s[2:3], s[2:3], 3
	s_or_b32 s4, s15, s13
	s_wait_alu 0xfffe
	s_add_nc_u64 s[2:3], s[16:17], s[2:3]
	s_and_b32 vcc_lo, exec_lo, s4
	s_cbranch_vccz .LBB2146_2
; %bb.1:
	v_lshlrev_b32_e32 v13, 3, v0
	v_lshrrev_b32_e32 v14, 2, v12
	v_lshrrev_b32_e32 v15, 2, v11
	;; [unrolled: 1-line block ×3, first 2 shown]
	v_and_b32_e32 v17, 56, v9
	v_add_co_u32 v1, s5, s2, v13
	s_delay_alu instid0(VALU_DEP_1)
	v_add_co_ci_u32_e64 v2, null, s3, 0, s5
	v_and_b32_e32 v14, 0x78, v14
	v_and_b32_e32 v15, 0xb8, v15
	;; [unrolled: 1-line block ×3, first 2 shown]
	s_clause 0x3
	flat_load_b64 v[3:4], v[1:2]
	flat_load_b64 v[5:6], v[1:2] offset:2048
	flat_load_b64 v[7:8], v[1:2] offset:4096
	;; [unrolled: 1-line block ×3, first 2 shown]
	v_add_nc_u32_e32 v17, v17, v13
	v_add_nc_u32_e32 v14, v14, v13
	;; [unrolled: 1-line block ×4, first 2 shown]
	s_mov_b32 s14, 0
	s_wait_loadcnt_dscnt 0x303
	ds_store_b64 v17, v[3:4]
	s_wait_loadcnt_dscnt 0x203
	ds_store_b64 v14, v[5:6] offset:2048
	s_wait_loadcnt_dscnt 0x103
	ds_store_b64 v15, v[7:8] offset:4096
	;; [unrolled: 2-line block ×3, first 2 shown]
	s_wait_dscnt 0x0
	s_barrier_signal -1
	s_barrier_wait -1
.LBB2146_2:
	s_and_not1_b32 vcc_lo, exec_lo, s14
	s_sub_co_i32 s13, s12, s6
	s_cbranch_vccnz .LBB2146_9
; %bb.3:
	v_mov_b32_e32 v1, 0
	s_mov_b32 s5, exec_lo
	s_delay_alu instid0(VALU_DEP_1)
	v_dual_mov_b32 v2, v1 :: v_dual_mov_b32 v3, v1
	v_dual_mov_b32 v4, v1 :: v_dual_mov_b32 v5, v1
	;; [unrolled: 1-line block ×3, first 2 shown]
	v_mov_b32_e32 v8, v1
	s_wait_alu 0xfffe
	v_cmpx_gt_u32_e64 s13, v0
	s_cbranch_execnz .LBB2146_114
; %bb.4:
	s_or_b32 exec_lo, exec_lo, s5
	s_delay_alu instid0(SALU_CYCLE_1)
	s_mov_b32 s5, exec_lo
	v_cmpx_gt_u32_e64 s13, v12
	s_cbranch_execnz .LBB2146_115
.LBB2146_5:
	s_wait_alu 0xfffe
	s_or_b32 exec_lo, exec_lo, s5
	s_delay_alu instid0(SALU_CYCLE_1)
	s_mov_b32 s5, exec_lo
	v_cmpx_gt_u32_e64 s13, v11
	s_cbranch_execnz .LBB2146_116
.LBB2146_6:
	s_wait_alu 0xfffe
	s_or_b32 exec_lo, exec_lo, s5
	s_delay_alu instid0(SALU_CYCLE_1)
	s_mov_b32 s5, exec_lo
	v_cmpx_gt_u32_e64 s13, v10
	s_cbranch_execz .LBB2146_8
.LBB2146_7:
	v_lshlrev_b32_e32 v7, 3, v0
	s_delay_alu instid0(VALU_DEP_1)
	v_add_co_u32 v7, s2, s2, v7
	s_wait_alu 0xf1ff
	v_add_co_ci_u32_e64 v8, null, s3, 0, s2
	flat_load_b64 v[7:8], v[7:8] offset:6144
.LBB2146_8:
	s_wait_alu 0xfffe
	s_or_b32 exec_lo, exec_lo, s5
	v_lshrrev_b32_e32 v12, 2, v12
	v_lshrrev_b32_e32 v11, 2, v11
	;; [unrolled: 1-line block ×3, first 2 shown]
	v_and_b32_e32 v9, 56, v9
	v_lshlrev_b32_e32 v13, 3, v0
	v_and_b32_e32 v12, 0x78, v12
	v_and_b32_e32 v11, 0xf8, v11
	;; [unrolled: 1-line block ×3, first 2 shown]
	s_delay_alu instid0(VALU_DEP_4) | instskip(NEXT) | instid1(VALU_DEP_4)
	v_add_nc_u32_e32 v9, v9, v13
	v_add_nc_u32_e32 v12, v12, v13
	s_delay_alu instid0(VALU_DEP_4) | instskip(NEXT) | instid1(VALU_DEP_4)
	v_add_nc_u32_e32 v11, v11, v13
	v_add_nc_u32_e32 v10, v10, v13
	ds_store_b64 v9, v[1:2]
	s_wait_loadcnt_dscnt 0x1
	ds_store_b64 v12, v[3:4] offset:2048
	ds_store_b64 v11, v[5:6] offset:4096
	;; [unrolled: 1-line block ×3, first 2 shown]
	s_wait_dscnt 0x0
	s_barrier_signal -1
	s_barrier_wait -1
.LBB2146_9:
	v_and_b32_e32 v1, 0xf8, v0
	global_inv scope:SCOPE_SE
	s_and_not1_b32 vcc_lo, exec_lo, s4
	v_lshl_add_u32 v5, v0, 5, v1
	ds_load_2addr_b64 v[1:4], v5 offset1:3
	ds_load_2addr_b64 v[5:8], v5 offset0:1 offset1:2
	s_wait_loadcnt_dscnt 0x0
	s_barrier_signal -1
	s_barrier_wait -1
	global_inv scope:SCOPE_SE
	v_cmp_eq_u64_e64 s2, 0, v[1:2]
	v_cmp_eq_u64_e64 s12, 0, v[3:4]
	s_cbranch_vccnz .LBB2146_11
; %bb.10:
	v_cmp_eq_u64_e32 vcc_lo, 0, v[7:8]
	s_wait_alu 0xf1ff
	v_cndmask_b32_e64 v27, 0, 1, s2
	v_cndmask_b32_e64 v25, 0, 1, vcc_lo
	v_cmp_eq_u64_e32 vcc_lo, 0, v[5:6]
	s_delay_alu instid0(VALU_DEP_2) | instskip(SKIP_2) | instid1(VALU_DEP_1)
	v_lshlrev_b16 v10, 8, v25
	s_wait_alu 0xfffd
	v_cndmask_b32_e64 v9, 0, 1, vcc_lo
	v_or_b32_e32 v26, v9, v10
	s_cbranch_execz .LBB2146_12
	s_branch .LBB2146_13
.LBB2146_11:
                                        ; implicit-def: $sgpr12
                                        ; implicit-def: $vgpr27
                                        ; implicit-def: $vgpr26
                                        ; implicit-def: $vgpr25
.LBB2146_12:
	v_lshlrev_b32_e32 v9, 2, v0
	v_cmp_eq_u64_e64 s2, 0, v[7:8]
	v_cmp_eq_u64_e64 s4, 0, v[5:6]
	v_cmp_eq_u64_e32 vcc_lo, 0, v[1:2]
	v_cmp_eq_u64_e64 s5, 0, v[3:4]
	v_or_b32_e32 v10, 2, v9
	v_or_b32_e32 v11, 1, v9
	s_wait_alu 0xfffe
	s_delay_alu instid0(VALU_DEP_2) | instskip(NEXT) | instid1(VALU_DEP_2)
	v_cmp_gt_u32_e64 s3, s13, v10
	v_cmp_gt_u32_e64 s6, s13, v11
	v_or_b32_e32 v10, 3, v9
	s_and_b32 s2, s3, s2
	s_and_b32 s4, s6, s4
	s_wait_alu 0xfffe
	v_cndmask_b32_e64 v25, 0, 1, s2
	v_cmp_gt_u32_e64 s2, s13, v9
	v_cmp_gt_u32_e64 s3, s13, v10
	v_cndmask_b32_e64 v9, 0, 1, s4
	s_delay_alu instid0(VALU_DEP_4)
	v_lshlrev_b16 v10, 8, v25
	s_and_b32 s2, s2, vcc_lo
	s_wait_alu 0xfffe
	v_cndmask_b32_e64 v27, 0, 1, s2
	s_and_b32 s2, s3, s5
	v_or_b32_e32 v26, v9, v10
	s_and_not1_b32 s3, s12, exec_lo
	s_wait_alu 0xfffe
	s_and_b32 s2, s2, exec_lo
	s_wait_alu 0xfffe
	s_or_b32 s12, s3, s2
.LBB2146_13:
	s_load_b64 s[4:5], s[0:1], 0x68
	v_and_b32_e32 v29, 0xff, v27
	v_dual_mov_b32 v11, 0 :: v_dual_and_b32 v28, 0xff, v26
	v_cndmask_b32_e64 v9, 0, 1, s12
	v_mbcnt_lo_u32_b32 v31, -1, 0
	v_and_b32_e32 v30, 0xff, v25
	s_cmp_lg_u32 ttmp9, 0
	s_mov_b32 s1, -1
	v_add3_u32 v9, v29, v9, v28
	v_and_b32_e32 v32, 15, v31
	s_delay_alu instid0(VALU_DEP_2) | instskip(NEXT) | instid1(VALU_DEP_1)
	v_add_co_u32 v17, s0, v9, v30
	v_add_co_ci_u32_e64 v18, null, 0, 0, s0
	s_delay_alu instid0(VALU_DEP_3)
	v_cmp_ne_u32_e64 s0, 0, v32
	s_cbranch_scc0 .LBB2146_70
; %bb.14:
	v_dual_mov_b32 v12, v17 :: v_dual_mov_b32 v9, v17
	v_mov_b32_dpp v14, v17 row_shr:1 row_mask:0xf bank_mask:0xf
	v_mov_b32_dpp v13, v11 row_shr:1 row_mask:0xf bank_mask:0xf
	v_mov_b32_e32 v10, v18
	s_and_saveexec_b32 s1, s0
; %bb.15:
	s_delay_alu instid0(VALU_DEP_3) | instskip(SKIP_2) | instid1(VALU_DEP_2)
	v_add_co_u32 v12, vcc_lo, v17, v14
	s_wait_alu 0xfffd
	v_add_co_ci_u32_e64 v9, null, 0, v18, vcc_lo
	v_add_co_u32 v10, vcc_lo, 0, v12
	s_wait_alu 0xfffd
	s_delay_alu instid0(VALU_DEP_2) | instskip(NEXT) | instid1(VALU_DEP_2)
	v_add_co_ci_u32_e64 v11, null, v13, v9, vcc_lo
	v_mov_b32_e32 v9, v10
	s_delay_alu instid0(VALU_DEP_2)
	v_mov_b32_e32 v10, v11
; %bb.16:
	s_wait_alu 0xfffe
	s_or_b32 exec_lo, exec_lo, s1
	v_mov_b32_dpp v14, v12 row_shr:2 row_mask:0xf bank_mask:0xf
	v_mov_b32_dpp v13, v11 row_shr:2 row_mask:0xf bank_mask:0xf
	s_mov_b32 s1, exec_lo
	v_cmpx_lt_u32_e32 1, v32
; %bb.17:
	s_delay_alu instid0(VALU_DEP_3) | instskip(SKIP_2) | instid1(VALU_DEP_2)
	v_add_co_u32 v12, vcc_lo, v9, v14
	s_wait_alu 0xfffd
	v_add_co_ci_u32_e64 v9, null, 0, v10, vcc_lo
	v_add_co_u32 v10, vcc_lo, 0, v12
	s_wait_alu 0xfffd
	s_delay_alu instid0(VALU_DEP_2) | instskip(NEXT) | instid1(VALU_DEP_2)
	v_add_co_ci_u32_e64 v11, null, v13, v9, vcc_lo
	v_mov_b32_e32 v9, v10
	s_delay_alu instid0(VALU_DEP_2)
	v_mov_b32_e32 v10, v11
; %bb.18:
	s_wait_alu 0xfffe
	s_or_b32 exec_lo, exec_lo, s1
	v_mov_b32_dpp v14, v12 row_shr:4 row_mask:0xf bank_mask:0xf
	v_mov_b32_dpp v13, v11 row_shr:4 row_mask:0xf bank_mask:0xf
	s_mov_b32 s1, exec_lo
	v_cmpx_lt_u32_e32 3, v32
	;; [unrolled: 19-line block ×3, first 2 shown]
; %bb.21:
	s_delay_alu instid0(VALU_DEP_3) | instskip(SKIP_2) | instid1(VALU_DEP_2)
	v_add_co_u32 v12, vcc_lo, v9, v14
	s_wait_alu 0xfffd
	v_add_co_ci_u32_e64 v10, null, 0, v10, vcc_lo
	v_add_co_u32 v9, vcc_lo, 0, v12
	s_wait_alu 0xfffd
	s_delay_alu instid0(VALU_DEP_2) | instskip(NEXT) | instid1(VALU_DEP_1)
	v_add_co_ci_u32_e64 v10, null, v13, v10, vcc_lo
	v_mov_b32_e32 v11, v10
; %bb.22:
	s_wait_alu 0xfffe
	s_or_b32 exec_lo, exec_lo, s1
	ds_swizzle_b32 v13, v12 offset:swizzle(BROADCAST,32,15)
	ds_swizzle_b32 v11, v11 offset:swizzle(BROADCAST,32,15)
	v_and_b32_e32 v14, 16, v31
	s_mov_b32 s1, exec_lo
	s_delay_alu instid0(VALU_DEP_1)
	v_cmpx_ne_u32_e32 0, v14
	s_cbranch_execz .LBB2146_24
; %bb.23:
	s_wait_dscnt 0x1
	v_add_co_u32 v12, vcc_lo, v9, v13
	s_wait_alu 0xfffd
	v_add_co_ci_u32_e64 v10, null, 0, v10, vcc_lo
	s_delay_alu instid0(VALU_DEP_2) | instskip(SKIP_2) | instid1(VALU_DEP_2)
	v_add_co_u32 v9, vcc_lo, 0, v12
	s_wait_dscnt 0x0
	s_wait_alu 0xfffd
	v_add_co_ci_u32_e64 v10, null, v11, v10, vcc_lo
.LBB2146_24:
	s_wait_alu 0xfffe
	s_or_b32 exec_lo, exec_lo, s1
	s_wait_dscnt 0x1
	v_or_b32_e32 v13, 31, v0
	s_wait_dscnt 0x0
	v_lshrrev_b32_e32 v11, 5, v0
	s_mov_b32 s1, exec_lo
	s_delay_alu instid0(VALU_DEP_2)
	v_cmpx_eq_u32_e64 v0, v13
; %bb.25:
	s_delay_alu instid0(VALU_DEP_2)
	v_lshlrev_b32_e32 v13, 3, v11
	ds_store_b64 v13, v[9:10]
; %bb.26:
	s_wait_alu 0xfffe
	s_or_b32 exec_lo, exec_lo, s1
	s_delay_alu instid0(SALU_CYCLE_1)
	s_mov_b32 s1, exec_lo
	s_wait_loadcnt_dscnt 0x0
	s_barrier_signal -1
	s_barrier_wait -1
	global_inv scope:SCOPE_SE
	v_cmpx_gt_u32_e32 8, v0
	s_cbranch_execz .LBB2146_34
; %bb.27:
	v_lshlrev_b32_e32 v13, 3, v0
	s_mov_b32 s2, exec_lo
	ds_load_b64 v[9:10], v13
	s_wait_dscnt 0x0
	v_dual_mov_b32 v15, v9 :: v_dual_and_b32 v14, 7, v31
	v_mov_b32_dpp v19, v9 row_shr:1 row_mask:0xf bank_mask:0xf
	v_mov_b32_dpp v16, v10 row_shr:1 row_mask:0xf bank_mask:0xf
	s_delay_alu instid0(VALU_DEP_3)
	v_cmpx_ne_u32_e32 0, v14
; %bb.28:
	s_delay_alu instid0(VALU_DEP_3) | instskip(SKIP_2) | instid1(VALU_DEP_2)
	v_add_co_u32 v15, vcc_lo, v9, v19
	s_wait_alu 0xfffd
	v_add_co_ci_u32_e64 v10, null, 0, v10, vcc_lo
	v_add_co_u32 v9, vcc_lo, 0, v15
	s_wait_alu 0xfffd
	s_delay_alu instid0(VALU_DEP_2)
	v_add_co_ci_u32_e64 v10, null, v16, v10, vcc_lo
; %bb.29:
	s_wait_alu 0xfffe
	s_or_b32 exec_lo, exec_lo, s2
	v_mov_b32_dpp v19, v15 row_shr:2 row_mask:0xf bank_mask:0xf
	s_delay_alu instid0(VALU_DEP_2)
	v_mov_b32_dpp v16, v10 row_shr:2 row_mask:0xf bank_mask:0xf
	s_mov_b32 s2, exec_lo
	v_cmpx_lt_u32_e32 1, v14
; %bb.30:
	s_delay_alu instid0(VALU_DEP_3) | instskip(SKIP_2) | instid1(VALU_DEP_2)
	v_add_co_u32 v15, vcc_lo, v9, v19
	s_wait_alu 0xfffd
	v_add_co_ci_u32_e64 v10, null, 0, v10, vcc_lo
	v_add_co_u32 v9, vcc_lo, 0, v15
	s_wait_alu 0xfffd
	s_delay_alu instid0(VALU_DEP_2)
	v_add_co_ci_u32_e64 v10, null, v16, v10, vcc_lo
; %bb.31:
	s_wait_alu 0xfffe
	s_or_b32 exec_lo, exec_lo, s2
	v_mov_b32_dpp v16, v15 row_shr:4 row_mask:0xf bank_mask:0xf
	s_delay_alu instid0(VALU_DEP_2)
	v_mov_b32_dpp v15, v10 row_shr:4 row_mask:0xf bank_mask:0xf
	s_mov_b32 s2, exec_lo
	v_cmpx_lt_u32_e32 3, v14
; %bb.32:
	s_delay_alu instid0(VALU_DEP_3) | instskip(SKIP_2) | instid1(VALU_DEP_2)
	v_add_co_u32 v9, vcc_lo, v9, v16
	s_wait_alu 0xfffd
	v_add_co_ci_u32_e64 v10, null, 0, v10, vcc_lo
	v_add_co_u32 v9, vcc_lo, v9, 0
	s_wait_alu 0xfffd
	s_delay_alu instid0(VALU_DEP_2)
	v_add_co_ci_u32_e64 v10, null, v10, v15, vcc_lo
; %bb.33:
	s_wait_alu 0xfffe
	s_or_b32 exec_lo, exec_lo, s2
	ds_store_b64 v13, v[9:10]
.LBB2146_34:
	s_wait_alu 0xfffe
	s_or_b32 exec_lo, exec_lo, s1
	s_delay_alu instid0(SALU_CYCLE_1)
	s_mov_b32 s2, exec_lo
	v_cmp_gt_u32_e32 vcc_lo, 32, v0
	s_wait_loadcnt_dscnt 0x0
	s_barrier_signal -1
	s_barrier_wait -1
	global_inv scope:SCOPE_SE
                                        ; implicit-def: $vgpr19_vgpr20
	v_cmpx_lt_u32_e32 31, v0
	s_cbranch_execz .LBB2146_36
; %bb.35:
	v_lshl_add_u32 v9, v11, 3, -8
	ds_load_b64 v[19:20], v9
	s_wait_dscnt 0x0
	v_add_nc_u32_e32 v12, v12, v19
.LBB2146_36:
	s_wait_alu 0xfffe
	s_or_b32 exec_lo, exec_lo, s2
	v_sub_co_u32 v9, s1, v31, 1
	s_delay_alu instid0(VALU_DEP_1) | instskip(SKIP_1) | instid1(VALU_DEP_1)
	v_cmp_gt_i32_e64 s2, 0, v9
	s_wait_alu 0xf1ff
	v_cndmask_b32_e64 v9, v9, v31, s2
	s_delay_alu instid0(VALU_DEP_1)
	v_lshlrev_b32_e32 v9, 2, v9
	ds_bpermute_b32 v33, v9, v12
	s_and_saveexec_b32 s2, vcc_lo
	s_cbranch_execz .LBB2146_75
; %bb.37:
	v_mov_b32_e32 v12, 0
	ds_load_b64 v[9:10], v12 offset:56
	s_and_saveexec_b32 s3, s1
	s_cbranch_execz .LBB2146_39
; %bb.38:
	s_add_co_i32 s14, ttmp9, 32
	s_mov_b32 s15, 0
	s_delay_alu instid0(SALU_CYCLE_1)
	s_lshl_b64 s[14:15], s[14:15], 4
	s_wait_kmcnt 0x0
	s_add_nc_u64 s[14:15], s[4:5], s[14:15]
	v_mov_b32_e32 v11, 1
	v_dual_mov_b32 v13, s14 :: v_dual_mov_b32 v14, s15
	s_wait_dscnt 0x0
	;;#ASMSTART
	global_store_b128 v[13:14], v[9:12] off scope:SCOPE_DEV	
s_wait_storecnt 0x0
	;;#ASMEND
.LBB2146_39:
	s_wait_alu 0xfffe
	s_or_b32 exec_lo, exec_lo, s3
	v_xad_u32 v21, v31, -1, ttmp9
	s_mov_b32 s6, 0
	s_mov_b32 s3, exec_lo
	s_delay_alu instid0(VALU_DEP_1) | instskip(NEXT) | instid1(VALU_DEP_1)
	v_add_nc_u32_e32 v11, 32, v21
	v_lshlrev_b64_e32 v[11:12], 4, v[11:12]
	s_wait_kmcnt 0x0
	s_delay_alu instid0(VALU_DEP_1) | instskip(SKIP_1) | instid1(VALU_DEP_2)
	v_add_co_u32 v11, vcc_lo, s4, v11
	s_wait_alu 0xfffd
	v_add_co_ci_u32_e64 v12, null, s5, v12, vcc_lo
	;;#ASMSTART
	global_load_b128 v[13:16], v[11:12] off scope:SCOPE_DEV	
s_wait_loadcnt 0x0
	;;#ASMEND
	v_and_b32_e32 v16, 0xff, v15
	s_delay_alu instid0(VALU_DEP_1)
	v_cmpx_eq_u16_e32 0, v16
	s_cbranch_execz .LBB2146_42
.LBB2146_40:                            ; =>This Inner Loop Header: Depth=1
	;;#ASMSTART
	global_load_b128 v[13:16], v[11:12] off scope:SCOPE_DEV	
s_wait_loadcnt 0x0
	;;#ASMEND
	v_and_b32_e32 v16, 0xff, v15
	s_delay_alu instid0(VALU_DEP_1)
	v_cmp_ne_u16_e32 vcc_lo, 0, v16
	s_wait_alu 0xfffe
	s_or_b32 s6, vcc_lo, s6
	s_wait_alu 0xfffe
	s_and_not1_b32 exec_lo, exec_lo, s6
	s_cbranch_execnz .LBB2146_40
; %bb.41:
	s_or_b32 exec_lo, exec_lo, s6
.LBB2146_42:
	s_wait_alu 0xfffe
	s_or_b32 exec_lo, exec_lo, s3
	v_cmp_ne_u32_e32 vcc_lo, 31, v31
	v_and_b32_e32 v12, 0xff, v15
	v_lshlrev_b32_e64 v35, v31, -1
	s_mov_b32 s3, exec_lo
	s_wait_alu 0xfffd
	v_add_co_ci_u32_e64 v11, null, 0, v31, vcc_lo
	v_cmp_eq_u16_e32 vcc_lo, 2, v12
	v_mov_b32_e32 v12, v13
	s_delay_alu instid0(VALU_DEP_3)
	v_lshlrev_b32_e32 v34, 2, v11
	s_wait_alu 0xfffd
	v_and_or_b32 v11, vcc_lo, v35, 0x80000000
	ds_bpermute_b32 v22, v34, v13
	ds_bpermute_b32 v16, v34, v14
	v_ctz_i32_b32_e32 v11, v11
	s_delay_alu instid0(VALU_DEP_1)
	v_cmpx_lt_u32_e64 v31, v11
	s_cbranch_execz .LBB2146_44
; %bb.43:
	s_wait_dscnt 0x1
	v_add_co_u32 v12, vcc_lo, v13, v22
	s_wait_alu 0xfffd
	v_add_co_ci_u32_e64 v14, null, 0, v14, vcc_lo
	s_delay_alu instid0(VALU_DEP_2) | instskip(SKIP_2) | instid1(VALU_DEP_2)
	v_add_co_u32 v13, vcc_lo, 0, v12
	s_wait_dscnt 0x0
	s_wait_alu 0xfffd
	v_add_co_ci_u32_e64 v14, null, v16, v14, vcc_lo
.LBB2146_44:
	s_wait_alu 0xfffe
	s_or_b32 exec_lo, exec_lo, s3
	v_cmp_gt_u32_e32 vcc_lo, 30, v31
	v_add_nc_u32_e32 v37, 2, v31
	s_mov_b32 s3, exec_lo
	s_wait_dscnt 0x0
	s_wait_alu 0xfffd
	v_cndmask_b32_e64 v16, 0, 2, vcc_lo
	s_delay_alu instid0(VALU_DEP_1)
	v_add_lshl_u32 v36, v16, v31, 2
	ds_bpermute_b32 v22, v36, v12
	ds_bpermute_b32 v16, v36, v14
	v_cmpx_le_u32_e64 v37, v11
	s_cbranch_execz .LBB2146_46
; %bb.45:
	s_wait_dscnt 0x1
	v_add_co_u32 v12, vcc_lo, v13, v22
	s_wait_alu 0xfffd
	v_add_co_ci_u32_e64 v14, null, 0, v14, vcc_lo
	s_delay_alu instid0(VALU_DEP_2) | instskip(SKIP_2) | instid1(VALU_DEP_2)
	v_add_co_u32 v13, vcc_lo, 0, v12
	s_wait_dscnt 0x0
	s_wait_alu 0xfffd
	v_add_co_ci_u32_e64 v14, null, v16, v14, vcc_lo
.LBB2146_46:
	s_wait_alu 0xfffe
	s_or_b32 exec_lo, exec_lo, s3
	v_cmp_gt_u32_e32 vcc_lo, 28, v31
	v_add_nc_u32_e32 v39, 4, v31
	s_mov_b32 s3, exec_lo
	s_wait_dscnt 0x0
	s_wait_alu 0xfffd
	v_cndmask_b32_e64 v16, 0, 4, vcc_lo
	s_delay_alu instid0(VALU_DEP_1)
	v_add_lshl_u32 v38, v16, v31, 2
	ds_bpermute_b32 v22, v38, v12
	ds_bpermute_b32 v16, v38, v14
	v_cmpx_le_u32_e64 v39, v11
	;; [unrolled: 25-line block ×3, first 2 shown]
	s_cbranch_execz .LBB2146_50
; %bb.49:
	s_wait_dscnt 0x1
	v_add_co_u32 v12, vcc_lo, v13, v22
	s_wait_alu 0xfffd
	v_add_co_ci_u32_e64 v14, null, 0, v14, vcc_lo
	s_delay_alu instid0(VALU_DEP_2) | instskip(SKIP_2) | instid1(VALU_DEP_2)
	v_add_co_u32 v13, vcc_lo, 0, v12
	s_wait_dscnt 0x0
	s_wait_alu 0xfffd
	v_add_co_ci_u32_e64 v14, null, v16, v14, vcc_lo
.LBB2146_50:
	s_wait_alu 0xfffe
	s_or_b32 exec_lo, exec_lo, s3
	v_lshl_or_b32 v42, v31, 2, 64
	v_add_nc_u32_e32 v43, 16, v31
	s_mov_b32 s3, exec_lo
	s_wait_dscnt 0x0
	ds_bpermute_b32 v16, v42, v12
	ds_bpermute_b32 v12, v42, v14
	v_cmpx_le_u32_e64 v43, v11
	s_cbranch_execz .LBB2146_52
; %bb.51:
	s_wait_dscnt 0x1
	v_add_co_u32 v11, vcc_lo, v13, v16
	s_wait_alu 0xfffd
	v_add_co_ci_u32_e64 v14, null, 0, v14, vcc_lo
	s_delay_alu instid0(VALU_DEP_2) | instskip(SKIP_2) | instid1(VALU_DEP_2)
	v_add_co_u32 v13, vcc_lo, v11, 0
	s_wait_dscnt 0x0
	s_wait_alu 0xfffd
	v_add_co_ci_u32_e64 v14, null, v14, v12, vcc_lo
.LBB2146_52:
	s_wait_alu 0xfffe
	s_or_b32 exec_lo, exec_lo, s3
	v_mov_b32_e32 v22, 0
	s_branch .LBB2146_55
.LBB2146_53:                            ;   in Loop: Header=BB2146_55 Depth=1
	s_wait_alu 0xfffe
	s_or_b32 exec_lo, exec_lo, s3
	v_add_co_u32 v13, vcc_lo, v13, v11
	v_subrev_nc_u32_e32 v21, 32, v21
	s_wait_alu 0xfffd
	v_add_co_ci_u32_e64 v14, null, v14, v12, vcc_lo
	s_mov_b32 s3, 0
.LBB2146_54:                            ;   in Loop: Header=BB2146_55 Depth=1
	s_wait_alu 0xfffe
	s_and_b32 vcc_lo, exec_lo, s3
	s_wait_alu 0xfffe
	s_cbranch_vccnz .LBB2146_71
.LBB2146_55:                            ; =>This Loop Header: Depth=1
                                        ;     Child Loop BB2146_58 Depth 2
	v_and_b32_e32 v11, 0xff, v15
	s_mov_b32 s3, -1
	s_delay_alu instid0(VALU_DEP_1)
	v_cmp_ne_u16_e32 vcc_lo, 2, v11
	s_wait_dscnt 0x0
	v_dual_mov_b32 v11, v13 :: v_dual_mov_b32 v12, v14
                                        ; implicit-def: $vgpr13_vgpr14
	s_cmp_lg_u32 vcc_lo, exec_lo
	s_cbranch_scc1 .LBB2146_54
; %bb.56:                               ;   in Loop: Header=BB2146_55 Depth=1
	v_lshlrev_b64_e32 v[13:14], 4, v[21:22]
	s_mov_b32 s3, exec_lo
	s_delay_alu instid0(VALU_DEP_1) | instskip(SKIP_1) | instid1(VALU_DEP_2)
	v_add_co_u32 v23, vcc_lo, s4, v13
	s_wait_alu 0xfffd
	v_add_co_ci_u32_e64 v24, null, s5, v14, vcc_lo
	;;#ASMSTART
	global_load_b128 v[13:16], v[23:24] off scope:SCOPE_DEV	
s_wait_loadcnt 0x0
	;;#ASMEND
	v_and_b32_e32 v16, 0xff, v15
	s_delay_alu instid0(VALU_DEP_1)
	v_cmpx_eq_u16_e32 0, v16
	s_cbranch_execz .LBB2146_60
; %bb.57:                               ;   in Loop: Header=BB2146_55 Depth=1
	s_mov_b32 s6, 0
.LBB2146_58:                            ;   Parent Loop BB2146_55 Depth=1
                                        ; =>  This Inner Loop Header: Depth=2
	;;#ASMSTART
	global_load_b128 v[13:16], v[23:24] off scope:SCOPE_DEV	
s_wait_loadcnt 0x0
	;;#ASMEND
	v_and_b32_e32 v16, 0xff, v15
	s_delay_alu instid0(VALU_DEP_1)
	v_cmp_ne_u16_e32 vcc_lo, 0, v16
	s_wait_alu 0xfffe
	s_or_b32 s6, vcc_lo, s6
	s_wait_alu 0xfffe
	s_and_not1_b32 exec_lo, exec_lo, s6
	s_cbranch_execnz .LBB2146_58
; %bb.59:                               ;   in Loop: Header=BB2146_55 Depth=1
	s_or_b32 exec_lo, exec_lo, s6
.LBB2146_60:                            ;   in Loop: Header=BB2146_55 Depth=1
	s_wait_alu 0xfffe
	s_or_b32 exec_lo, exec_lo, s3
	v_dual_mov_b32 v23, v13 :: v_dual_and_b32 v16, 0xff, v15
	ds_bpermute_b32 v44, v34, v13
	ds_bpermute_b32 v24, v34, v14
	s_mov_b32 s3, exec_lo
	v_cmp_eq_u16_e32 vcc_lo, 2, v16
	s_wait_alu 0xfffd
	v_and_or_b32 v16, vcc_lo, v35, 0x80000000
	s_delay_alu instid0(VALU_DEP_1) | instskip(NEXT) | instid1(VALU_DEP_1)
	v_ctz_i32_b32_e32 v16, v16
	v_cmpx_lt_u32_e64 v31, v16
	s_cbranch_execz .LBB2146_62
; %bb.61:                               ;   in Loop: Header=BB2146_55 Depth=1
	s_wait_dscnt 0x1
	v_add_co_u32 v23, vcc_lo, v13, v44
	s_wait_alu 0xfffd
	v_add_co_ci_u32_e64 v14, null, 0, v14, vcc_lo
	s_delay_alu instid0(VALU_DEP_2) | instskip(SKIP_2) | instid1(VALU_DEP_2)
	v_add_co_u32 v13, vcc_lo, 0, v23
	s_wait_dscnt 0x0
	s_wait_alu 0xfffd
	v_add_co_ci_u32_e64 v14, null, v24, v14, vcc_lo
.LBB2146_62:                            ;   in Loop: Header=BB2146_55 Depth=1
	s_wait_alu 0xfffe
	s_or_b32 exec_lo, exec_lo, s3
	s_wait_dscnt 0x1
	ds_bpermute_b32 v44, v36, v23
	s_wait_dscnt 0x1
	ds_bpermute_b32 v24, v36, v14
	s_mov_b32 s3, exec_lo
	v_cmpx_le_u32_e64 v37, v16
	s_cbranch_execz .LBB2146_64
; %bb.63:                               ;   in Loop: Header=BB2146_55 Depth=1
	s_wait_dscnt 0x1
	v_add_co_u32 v23, vcc_lo, v13, v44
	s_wait_alu 0xfffd
	v_add_co_ci_u32_e64 v14, null, 0, v14, vcc_lo
	s_delay_alu instid0(VALU_DEP_2) | instskip(SKIP_2) | instid1(VALU_DEP_2)
	v_add_co_u32 v13, vcc_lo, 0, v23
	s_wait_dscnt 0x0
	s_wait_alu 0xfffd
	v_add_co_ci_u32_e64 v14, null, v24, v14, vcc_lo
.LBB2146_64:                            ;   in Loop: Header=BB2146_55 Depth=1
	s_wait_alu 0xfffe
	s_or_b32 exec_lo, exec_lo, s3
	s_wait_dscnt 0x1
	ds_bpermute_b32 v44, v38, v23
	s_wait_dscnt 0x1
	ds_bpermute_b32 v24, v38, v14
	s_mov_b32 s3, exec_lo
	v_cmpx_le_u32_e64 v39, v16
	;; [unrolled: 20-line block ×3, first 2 shown]
	s_cbranch_execz .LBB2146_68
; %bb.67:                               ;   in Loop: Header=BB2146_55 Depth=1
	s_wait_dscnt 0x1
	v_add_co_u32 v23, vcc_lo, v13, v44
	s_wait_alu 0xfffd
	v_add_co_ci_u32_e64 v14, null, 0, v14, vcc_lo
	s_delay_alu instid0(VALU_DEP_2) | instskip(SKIP_2) | instid1(VALU_DEP_2)
	v_add_co_u32 v13, vcc_lo, 0, v23
	s_wait_dscnt 0x0
	s_wait_alu 0xfffd
	v_add_co_ci_u32_e64 v14, null, v24, v14, vcc_lo
.LBB2146_68:                            ;   in Loop: Header=BB2146_55 Depth=1
	s_wait_alu 0xfffe
	s_or_b32 exec_lo, exec_lo, s3
	s_wait_dscnt 0x0
	ds_bpermute_b32 v24, v42, v23
	ds_bpermute_b32 v23, v42, v14
	s_mov_b32 s3, exec_lo
	v_cmpx_le_u32_e64 v43, v16
	s_cbranch_execz .LBB2146_53
; %bb.69:                               ;   in Loop: Header=BB2146_55 Depth=1
	s_wait_dscnt 0x1
	v_add_co_u32 v13, vcc_lo, v13, v24
	s_wait_alu 0xfffd
	v_add_co_ci_u32_e64 v14, null, 0, v14, vcc_lo
	s_delay_alu instid0(VALU_DEP_2) | instskip(SKIP_2) | instid1(VALU_DEP_2)
	v_add_co_u32 v13, vcc_lo, v13, 0
	s_wait_dscnt 0x0
	s_wait_alu 0xfffd
	v_add_co_ci_u32_e64 v14, null, v14, v23, vcc_lo
	s_branch .LBB2146_53
.LBB2146_70:
                                        ; implicit-def: $vgpr13_vgpr14
                                        ; implicit-def: $vgpr19_vgpr20
                                        ; implicit-def: $vgpr11_vgpr12
                                        ; implicit-def: $vgpr14_vgpr15
                                        ; implicit-def: $vgpr15_vgpr16
	s_and_b32 vcc_lo, exec_lo, s1
	s_wait_alu 0xfffe
	s_cbranch_vccnz .LBB2146_76
	s_branch .LBB2146_101
.LBB2146_71:
	s_and_saveexec_b32 s3, s1
	s_cbranch_execz .LBB2146_73
; %bb.72:
	s_add_co_i32 s14, ttmp9, 32
	s_mov_b32 s15, 0
	v_add_co_u32 v13, vcc_lo, v11, v9
	s_wait_alu 0xfffe
	s_lshl_b64 s[14:15], s[14:15], 4
	v_dual_mov_b32 v15, 2 :: v_dual_mov_b32 v16, 0
	s_wait_alu 0xfffe
	s_add_nc_u64 s[14:15], s[4:5], s[14:15]
	s_wait_alu 0xfffd
	v_add_co_ci_u32_e64 v14, null, v12, v10, vcc_lo
	s_wait_alu 0xfffe
	v_dual_mov_b32 v22, s15 :: v_dual_mov_b32 v21, s14
	;;#ASMSTART
	global_store_b128 v[21:22], v[13:16] off scope:SCOPE_DEV	
s_wait_storecnt 0x0
	;;#ASMEND
	ds_store_b128 v16, v[9:12] offset:8448
.LBB2146_73:
	s_wait_alu 0xfffe
	s_or_b32 exec_lo, exec_lo, s3
	v_cmp_eq_u32_e32 vcc_lo, 0, v0
	s_and_b32 exec_lo, exec_lo, vcc_lo
; %bb.74:
	v_mov_b32_e32 v9, 0
	ds_store_b64 v9, v[11:12] offset:56
.LBB2146_75:
	s_wait_alu 0xfffe
	s_or_b32 exec_lo, exec_lo, s2
	s_wait_dscnt 0x0
	v_cndmask_b32_e64 v10, v33, v19, s1
	v_cmp_ne_u32_e32 vcc_lo, 0, v0
	v_mov_b32_e32 v9, 0
	s_wait_loadcnt 0x0
	s_barrier_signal -1
	s_barrier_wait -1
	global_inv scope:SCOPE_SE
	s_wait_alu 0xfffd
	v_cndmask_b32_e32 v16, 0, v10, vcc_lo
	ds_load_b64 v[13:14], v9 offset:56
	v_cndmask_b32_e64 v11, 0, v20, s1
	s_wait_loadcnt_dscnt 0x0
	s_barrier_signal -1
	s_barrier_wait -1
	global_inv scope:SCOPE_SE
	v_cndmask_b32_e32 v15, 0, v11, vcc_lo
	ds_load_b128 v[9:12], v9 offset:8448
	v_add_co_u32 v19, vcc_lo, v13, v16
	s_wait_alu 0xfffd
	v_add_co_ci_u32_e64 v13, null, v14, v15, vcc_lo
	s_delay_alu instid0(VALU_DEP_2) | instskip(SKIP_1) | instid1(VALU_DEP_2)
	v_add_co_u32 v15, vcc_lo, v19, v29
	s_wait_alu 0xfffd
	v_add_co_ci_u32_e64 v13, null, 0, v13, vcc_lo
	s_delay_alu instid0(VALU_DEP_2) | instskip(SKIP_1) | instid1(VALU_DEP_2)
	;; [unrolled: 4-line block ×3, first 2 shown]
	v_add_co_u32 v13, vcc_lo, v14, v30
	s_wait_alu 0xfffd
	v_add_co_ci_u32_e64 v16, null, 0, v16, vcc_lo
	s_branch .LBB2146_101
.LBB2146_76:
	s_wait_dscnt 0x0
	v_dual_mov_b32 v10, 0 :: v_dual_mov_b32 v11, v17
	v_mov_b32_dpp v12, v17 row_shr:1 row_mask:0xf bank_mask:0xf
	s_delay_alu instid0(VALU_DEP_2)
	v_mov_b32_dpp v9, v10 row_shr:1 row_mask:0xf bank_mask:0xf
	s_and_saveexec_b32 s1, s0
; %bb.77:
	s_delay_alu instid0(VALU_DEP_2) | instskip(SKIP_2) | instid1(VALU_DEP_2)
	v_add_co_u32 v11, vcc_lo, v17, v12
	s_wait_alu 0xfffd
	v_add_co_ci_u32_e64 v10, null, 0, v18, vcc_lo
	v_add_co_u32 v17, vcc_lo, 0, v11
	s_wait_alu 0xfffd
	s_delay_alu instid0(VALU_DEP_2) | instskip(NEXT) | instid1(VALU_DEP_1)
	v_add_co_ci_u32_e64 v18, null, v9, v10, vcc_lo
	v_mov_b32_e32 v10, v18
; %bb.78:
	s_wait_alu 0xfffe
	s_or_b32 exec_lo, exec_lo, s1
	v_mov_b32_dpp v9, v11 row_shr:2 row_mask:0xf bank_mask:0xf
	s_delay_alu instid0(VALU_DEP_2)
	v_mov_b32_dpp v12, v10 row_shr:2 row_mask:0xf bank_mask:0xf
	s_mov_b32 s0, exec_lo
	v_cmpx_lt_u32_e32 1, v32
; %bb.79:
	s_delay_alu instid0(VALU_DEP_3) | instskip(SKIP_2) | instid1(VALU_DEP_2)
	v_add_co_u32 v11, vcc_lo, v17, v9
	s_wait_alu 0xfffd
	v_add_co_ci_u32_e64 v10, null, 0, v18, vcc_lo
	v_add_co_u32 v9, vcc_lo, 0, v11
	s_wait_alu 0xfffd
	s_delay_alu instid0(VALU_DEP_2) | instskip(NEXT) | instid1(VALU_DEP_1)
	v_add_co_ci_u32_e64 v10, null, v12, v10, vcc_lo
	v_dual_mov_b32 v18, v10 :: v_dual_mov_b32 v17, v9
; %bb.80:
	s_wait_alu 0xfffe
	s_or_b32 exec_lo, exec_lo, s0
	v_mov_b32_dpp v9, v11 row_shr:4 row_mask:0xf bank_mask:0xf
	v_mov_b32_dpp v12, v10 row_shr:4 row_mask:0xf bank_mask:0xf
	s_mov_b32 s0, exec_lo
	v_cmpx_lt_u32_e32 3, v32
; %bb.81:
	s_delay_alu instid0(VALU_DEP_3) | instskip(SKIP_2) | instid1(VALU_DEP_2)
	v_add_co_u32 v11, vcc_lo, v17, v9
	s_wait_alu 0xfffd
	v_add_co_ci_u32_e64 v10, null, 0, v18, vcc_lo
	v_add_co_u32 v9, vcc_lo, 0, v11
	s_wait_alu 0xfffd
	s_delay_alu instid0(VALU_DEP_2) | instskip(NEXT) | instid1(VALU_DEP_1)
	v_add_co_ci_u32_e64 v10, null, v12, v10, vcc_lo
	v_dual_mov_b32 v18, v10 :: v_dual_mov_b32 v17, v9
; %bb.82:
	s_wait_alu 0xfffe
	s_or_b32 exec_lo, exec_lo, s0
	v_mov_b32_dpp v12, v11 row_shr:8 row_mask:0xf bank_mask:0xf
	v_mov_b32_dpp v9, v10 row_shr:8 row_mask:0xf bank_mask:0xf
	s_mov_b32 s0, exec_lo
	v_cmpx_lt_u32_e32 7, v32
; %bb.83:
	s_delay_alu instid0(VALU_DEP_3) | instskip(SKIP_2) | instid1(VALU_DEP_2)
	v_add_co_u32 v11, vcc_lo, v17, v12
	s_wait_alu 0xfffd
	v_add_co_ci_u32_e64 v10, null, 0, v18, vcc_lo
	v_add_co_u32 v17, vcc_lo, 0, v11
	s_wait_alu 0xfffd
	s_delay_alu instid0(VALU_DEP_2) | instskip(NEXT) | instid1(VALU_DEP_1)
	v_add_co_ci_u32_e64 v18, null, v9, v10, vcc_lo
	v_mov_b32_e32 v10, v18
; %bb.84:
	s_wait_alu 0xfffe
	s_or_b32 exec_lo, exec_lo, s0
	ds_swizzle_b32 v11, v11 offset:swizzle(BROADCAST,32,15)
	ds_swizzle_b32 v9, v10 offset:swizzle(BROADCAST,32,15)
	v_and_b32_e32 v10, 16, v31
	s_mov_b32 s0, exec_lo
	s_delay_alu instid0(VALU_DEP_1)
	v_cmpx_ne_u32_e32 0, v10
	s_cbranch_execz .LBB2146_86
; %bb.85:
	s_wait_dscnt 0x1
	v_add_co_u32 v10, vcc_lo, v17, v11
	s_wait_alu 0xfffd
	v_add_co_ci_u32_e64 v11, null, 0, v18, vcc_lo
	s_delay_alu instid0(VALU_DEP_2) | instskip(SKIP_2) | instid1(VALU_DEP_2)
	v_add_co_u32 v17, vcc_lo, v10, 0
	s_wait_dscnt 0x0
	s_wait_alu 0xfffd
	v_add_co_ci_u32_e64 v18, null, v11, v9, vcc_lo
.LBB2146_86:
	s_wait_alu 0xfffe
	s_or_b32 exec_lo, exec_lo, s0
	s_wait_dscnt 0x0
	v_or_b32_e32 v9, 31, v0
	v_lshrrev_b32_e32 v11, 5, v0
	s_mov_b32 s0, exec_lo
	s_delay_alu instid0(VALU_DEP_2)
	v_cmpx_eq_u32_e64 v0, v9
; %bb.87:
	s_delay_alu instid0(VALU_DEP_2)
	v_lshlrev_b32_e32 v9, 3, v11
	ds_store_b64 v9, v[17:18]
; %bb.88:
	s_wait_alu 0xfffe
	s_or_b32 exec_lo, exec_lo, s0
	s_delay_alu instid0(SALU_CYCLE_1)
	s_mov_b32 s0, exec_lo
	s_wait_loadcnt_dscnt 0x0
	s_barrier_signal -1
	s_barrier_wait -1
	global_inv scope:SCOPE_SE
	v_cmpx_gt_u32_e32 8, v0
	s_cbranch_execz .LBB2146_96
; %bb.89:
	v_lshlrev_b32_e32 v12, 3, v0
	s_mov_b32 s1, exec_lo
	ds_load_b64 v[9:10], v12
	s_wait_dscnt 0x0
	v_dual_mov_b32 v14, v9 :: v_dual_and_b32 v13, 7, v31
	v_mov_b32_dpp v16, v9 row_shr:1 row_mask:0xf bank_mask:0xf
	v_mov_b32_dpp v15, v10 row_shr:1 row_mask:0xf bank_mask:0xf
	s_delay_alu instid0(VALU_DEP_3)
	v_cmpx_ne_u32_e32 0, v13
; %bb.90:
	s_delay_alu instid0(VALU_DEP_3) | instskip(SKIP_2) | instid1(VALU_DEP_2)
	v_add_co_u32 v14, vcc_lo, v9, v16
	s_wait_alu 0xfffd
	v_add_co_ci_u32_e64 v10, null, 0, v10, vcc_lo
	v_add_co_u32 v9, vcc_lo, 0, v14
	s_wait_alu 0xfffd
	s_delay_alu instid0(VALU_DEP_2)
	v_add_co_ci_u32_e64 v10, null, v15, v10, vcc_lo
; %bb.91:
	s_wait_alu 0xfffe
	s_or_b32 exec_lo, exec_lo, s1
	v_mov_b32_dpp v16, v14 row_shr:2 row_mask:0xf bank_mask:0xf
	s_delay_alu instid0(VALU_DEP_2)
	v_mov_b32_dpp v15, v10 row_shr:2 row_mask:0xf bank_mask:0xf
	s_mov_b32 s1, exec_lo
	v_cmpx_lt_u32_e32 1, v13
; %bb.92:
	s_delay_alu instid0(VALU_DEP_3) | instskip(SKIP_2) | instid1(VALU_DEP_2)
	v_add_co_u32 v14, vcc_lo, v9, v16
	s_wait_alu 0xfffd
	v_add_co_ci_u32_e64 v10, null, 0, v10, vcc_lo
	v_add_co_u32 v9, vcc_lo, 0, v14
	s_wait_alu 0xfffd
	s_delay_alu instid0(VALU_DEP_2)
	v_add_co_ci_u32_e64 v10, null, v15, v10, vcc_lo
; %bb.93:
	s_wait_alu 0xfffe
	s_or_b32 exec_lo, exec_lo, s1
	v_mov_b32_dpp v15, v14 row_shr:4 row_mask:0xf bank_mask:0xf
	s_delay_alu instid0(VALU_DEP_2)
	v_mov_b32_dpp v14, v10 row_shr:4 row_mask:0xf bank_mask:0xf
	s_mov_b32 s1, exec_lo
	v_cmpx_lt_u32_e32 3, v13
; %bb.94:
	s_delay_alu instid0(VALU_DEP_3) | instskip(SKIP_2) | instid1(VALU_DEP_2)
	v_add_co_u32 v9, vcc_lo, v9, v15
	s_wait_alu 0xfffd
	v_add_co_ci_u32_e64 v10, null, 0, v10, vcc_lo
	v_add_co_u32 v9, vcc_lo, v9, 0
	s_wait_alu 0xfffd
	s_delay_alu instid0(VALU_DEP_2)
	v_add_co_ci_u32_e64 v10, null, v10, v14, vcc_lo
; %bb.95:
	s_wait_alu 0xfffe
	s_or_b32 exec_lo, exec_lo, s1
	ds_store_b64 v12, v[9:10]
.LBB2146_96:
	s_wait_alu 0xfffe
	s_or_b32 exec_lo, exec_lo, s0
	v_mov_b32_e32 v13, 0
	v_mov_b32_e32 v14, 0
	s_mov_b32 s0, exec_lo
	s_wait_loadcnt_dscnt 0x0
	s_barrier_signal -1
	s_barrier_wait -1
	global_inv scope:SCOPE_SE
	v_cmpx_lt_u32_e32 31, v0
; %bb.97:
	v_lshl_add_u32 v9, v11, 3, -8
	ds_load_b64 v[13:14], v9
; %bb.98:
	s_wait_alu 0xfffe
	s_or_b32 exec_lo, exec_lo, s0
	v_sub_co_u32 v9, vcc_lo, v31, 1
	s_wait_dscnt 0x0
	v_add_nc_u32_e32 v10, v13, v17
	v_mov_b32_e32 v12, 0
	s_delay_alu instid0(VALU_DEP_3) | instskip(SKIP_1) | instid1(VALU_DEP_1)
	v_cmp_gt_i32_e64 s0, 0, v9
	s_wait_alu 0xf1ff
	v_cndmask_b32_e64 v9, v9, v31, s0
	v_cmp_eq_u32_e64 s0, 0, v0
	s_delay_alu instid0(VALU_DEP_2)
	v_lshlrev_b32_e32 v9, 2, v9
	ds_bpermute_b32 v15, v9, v10
	ds_load_b64 v[9:10], v12 offset:56
	s_and_saveexec_b32 s1, s0
	s_cbranch_execz .LBB2146_100
; %bb.99:
	s_wait_kmcnt 0x0
	s_add_nc_u64 s[2:3], s[4:5], 0x200
	v_mov_b32_e32 v11, 2
	s_wait_alu 0xfffe
	v_dual_mov_b32 v17, s3 :: v_dual_mov_b32 v16, s2
	s_wait_dscnt 0x0
	;;#ASMSTART
	global_store_b128 v[16:17], v[9:12] off scope:SCOPE_DEV	
s_wait_storecnt 0x0
	;;#ASMEND
.LBB2146_100:
	s_wait_alu 0xfffe
	s_or_b32 exec_lo, exec_lo, s1
	s_wait_dscnt 0x1
	s_wait_alu 0xfffd
	v_dual_cndmask_b32 v11, v15, v13 :: v_dual_cndmask_b32 v12, 0, v14
	s_wait_loadcnt_dscnt 0x0
	s_barrier_signal -1
	s_barrier_wait -1
	s_delay_alu instid0(VALU_DEP_1)
	v_cndmask_b32_e64 v19, v11, 0, s0
	v_cndmask_b32_e64 v11, v12, 0, s0
	global_inv scope:SCOPE_SE
	v_add_co_u32 v15, vcc_lo, v19, v29
	s_wait_alu 0xfffd
	v_add_co_ci_u32_e64 v11, null, 0, v11, vcc_lo
	s_delay_alu instid0(VALU_DEP_2) | instskip(SKIP_1) | instid1(VALU_DEP_2)
	v_add_co_u32 v14, vcc_lo, v15, v28
	s_wait_alu 0xfffd
	v_add_co_ci_u32_e64 v16, null, 0, v11, vcc_lo
	v_mov_b32_e32 v11, 0
	v_mov_b32_e32 v12, 0
	v_add_co_u32 v13, vcc_lo, v14, v30
	s_wait_alu 0xfffd
	v_add_co_ci_u32_e64 v16, null, 0, v16, vcc_lo
.LBB2146_101:
	s_wait_dscnt 0x0
	v_cmp_gt_u64_e32 vcc_lo, 0x101, v[9:10]
	s_cbranch_vccz .LBB2146_104
; %bb.102:
	v_cmp_eq_u32_e32 vcc_lo, 0, v0
	s_and_b32 s0, vcc_lo, s7
	s_wait_alu 0xfffe
	s_and_saveexec_b32 s1, s0
	s_cbranch_execnz .LBB2146_113
.LBB2146_103:
	s_endpgm
.LBB2146_104:
	v_and_b32_e32 v16, 1, v27
	s_mov_b32 s0, exec_lo
	s_delay_alu instid0(VALU_DEP_1)
	v_cmpx_eq_u32_e32 1, v16
; %bb.105:
	v_sub_nc_u32_e32 v16, v19, v11
	s_delay_alu instid0(VALU_DEP_1)
	v_lshlrev_b32_e32 v16, 3, v16
	ds_store_b64 v16, v[1:2]
; %bb.106:
	s_wait_alu 0xfffe
	s_or_b32 exec_lo, exec_lo, s0
	v_and_b32_e32 v1, 1, v26
	s_mov_b32 s0, exec_lo
	s_delay_alu instid0(VALU_DEP_1)
	v_cmpx_eq_u32_e32 1, v1
; %bb.107:
	v_sub_nc_u32_e32 v1, v15, v11
	s_delay_alu instid0(VALU_DEP_1)
	v_lshlrev_b32_e32 v1, 3, v1
	ds_store_b64 v1, v[5:6]
; %bb.108:
	s_wait_alu 0xfffe
	s_or_b32 exec_lo, exec_lo, s0
	;; [unrolled: 12-line block ×3, first 2 shown]
	s_and_saveexec_b32 s0, s12
; %bb.111:
	v_sub_nc_u32_e32 v1, v13, v11
	s_delay_alu instid0(VALU_DEP_1)
	v_lshlrev_b32_e32 v1, 3, v1
	ds_store_b64 v1, v[3:4]
; %bb.112:
	s_wait_alu 0xfffe
	s_or_b32 exec_lo, exec_lo, s0
	s_wait_loadcnt_dscnt 0x0
	s_barrier_signal -1
	s_barrier_wait -1
	global_inv scope:SCOPE_SE
	v_cmp_eq_u32_e32 vcc_lo, 0, v0
	s_and_b32 s0, vcc_lo, s7
	s_wait_alu 0xfffe
	s_and_saveexec_b32 s1, s0
	s_cbranch_execz .LBB2146_103
.LBB2146_113:
	s_wait_kmcnt 0x0
	v_add_co_u32 v0, vcc_lo, v9, s10
	s_wait_alu 0xfffd
	v_add_co_ci_u32_e64 v1, null, s11, v10, vcc_lo
	v_mov_b32_e32 v2, 0
	s_delay_alu instid0(VALU_DEP_3) | instskip(SKIP_1) | instid1(VALU_DEP_3)
	v_add_co_u32 v0, vcc_lo, v0, v11
	s_wait_alu 0xfffd
	v_add_co_ci_u32_e64 v1, null, v1, v12, vcc_lo
	global_store_b64 v2, v[0:1], s[8:9]
	s_endpgm
.LBB2146_114:
	v_dual_mov_b32 v15, v1 :: v_dual_lshlrev_b32 v2, 3, v0
	v_dual_mov_b32 v16, v1 :: v_dual_mov_b32 v17, v1
	v_dual_mov_b32 v18, v1 :: v_dual_mov_b32 v19, v1
	s_delay_alu instid0(VALU_DEP_3) | instskip(NEXT) | instid1(VALU_DEP_1)
	v_add_co_u32 v2, s6, s2, v2
	v_add_co_ci_u32_e64 v3, null, s3, 0, s6
	v_mov_b32_e32 v20, v1
	flat_load_b64 v[13:14], v[2:3]
	s_wait_loadcnt_dscnt 0x0
	v_dual_mov_b32 v1, v13 :: v_dual_mov_b32 v2, v14
	v_dual_mov_b32 v3, v15 :: v_dual_mov_b32 v4, v16
	;; [unrolled: 1-line block ×4, first 2 shown]
	s_or_b32 exec_lo, exec_lo, s5
	s_delay_alu instid0(SALU_CYCLE_1)
	s_mov_b32 s5, exec_lo
	v_cmpx_gt_u32_e64 s13, v12
	s_cbranch_execz .LBB2146_5
.LBB2146_115:
	v_lshlrev_b32_e32 v3, 3, v0
	s_delay_alu instid0(VALU_DEP_1)
	v_add_co_u32 v3, s6, s2, v3
	s_wait_alu 0xf1ff
	v_add_co_ci_u32_e64 v4, null, s3, 0, s6
	flat_load_b64 v[3:4], v[3:4] offset:2048
	s_wait_alu 0xfffe
	s_or_b32 exec_lo, exec_lo, s5
	s_delay_alu instid0(SALU_CYCLE_1)
	s_mov_b32 s5, exec_lo
	v_cmpx_gt_u32_e64 s13, v11
	s_cbranch_execz .LBB2146_6
.LBB2146_116:
	v_lshlrev_b32_e32 v5, 3, v0
	s_delay_alu instid0(VALU_DEP_1)
	v_add_co_u32 v5, s6, s2, v5
	s_wait_alu 0xf1ff
	v_add_co_ci_u32_e64 v6, null, s3, 0, s6
	flat_load_b64 v[5:6], v[5:6] offset:4096
	s_wait_alu 0xfffe
	s_or_b32 exec_lo, exec_lo, s5
	s_delay_alu instid0(SALU_CYCLE_1)
	s_mov_b32 s5, exec_lo
	v_cmpx_gt_u32_e64 s13, v10
	s_cbranch_execnz .LBB2146_7
	s_branch .LBB2146_8
	.section	.rodata,"a",@progbits
	.p2align	6, 0x0
	.amdhsa_kernel _ZN7rocprim17ROCPRIM_400000_NS6detail17trampoline_kernelINS0_14default_configENS1_25partition_config_selectorILNS1_17partition_subalgoE6EyNS0_10empty_typeEbEEZZNS1_14partition_implILS5_6ELb0ES3_mN6thrust23THRUST_200600_302600_NS6detail15normal_iteratorINSA_10device_ptrIyEEEEPS6_SG_NS0_5tupleIJNSA_16discard_iteratorINSA_11use_defaultEEES6_EEENSH_IJSG_SG_EEES6_PlJNSB_9not_fun_tI7is_trueIyEEEEEE10hipError_tPvRmT3_T4_T5_T6_T7_T9_mT8_P12ihipStream_tbDpT10_ENKUlT_T0_E_clISt17integral_constantIbLb0EES1B_EEDaS16_S17_EUlS16_E_NS1_11comp_targetILNS1_3genE10ELNS1_11target_archE1200ELNS1_3gpuE4ELNS1_3repE0EEENS1_30default_config_static_selectorELNS0_4arch9wavefront6targetE0EEEvT1_
		.amdhsa_group_segment_fixed_size 8464
		.amdhsa_private_segment_fixed_size 0
		.amdhsa_kernarg_size 120
		.amdhsa_user_sgpr_count 2
		.amdhsa_user_sgpr_dispatch_ptr 0
		.amdhsa_user_sgpr_queue_ptr 0
		.amdhsa_user_sgpr_kernarg_segment_ptr 1
		.amdhsa_user_sgpr_dispatch_id 0
		.amdhsa_user_sgpr_private_segment_size 0
		.amdhsa_wavefront_size32 1
		.amdhsa_uses_dynamic_stack 0
		.amdhsa_enable_private_segment 0
		.amdhsa_system_sgpr_workgroup_id_x 1
		.amdhsa_system_sgpr_workgroup_id_y 0
		.amdhsa_system_sgpr_workgroup_id_z 0
		.amdhsa_system_sgpr_workgroup_info 0
		.amdhsa_system_vgpr_workitem_id 0
		.amdhsa_next_free_vgpr 45
		.amdhsa_next_free_sgpr 21
		.amdhsa_reserve_vcc 1
		.amdhsa_float_round_mode_32 0
		.amdhsa_float_round_mode_16_64 0
		.amdhsa_float_denorm_mode_32 3
		.amdhsa_float_denorm_mode_16_64 3
		.amdhsa_fp16_overflow 0
		.amdhsa_workgroup_processor_mode 1
		.amdhsa_memory_ordered 1
		.amdhsa_forward_progress 1
		.amdhsa_inst_pref_size 45
		.amdhsa_round_robin_scheduling 0
		.amdhsa_exception_fp_ieee_invalid_op 0
		.amdhsa_exception_fp_denorm_src 0
		.amdhsa_exception_fp_ieee_div_zero 0
		.amdhsa_exception_fp_ieee_overflow 0
		.amdhsa_exception_fp_ieee_underflow 0
		.amdhsa_exception_fp_ieee_inexact 0
		.amdhsa_exception_int_div_zero 0
	.end_amdhsa_kernel
	.section	.text._ZN7rocprim17ROCPRIM_400000_NS6detail17trampoline_kernelINS0_14default_configENS1_25partition_config_selectorILNS1_17partition_subalgoE6EyNS0_10empty_typeEbEEZZNS1_14partition_implILS5_6ELb0ES3_mN6thrust23THRUST_200600_302600_NS6detail15normal_iteratorINSA_10device_ptrIyEEEEPS6_SG_NS0_5tupleIJNSA_16discard_iteratorINSA_11use_defaultEEES6_EEENSH_IJSG_SG_EEES6_PlJNSB_9not_fun_tI7is_trueIyEEEEEE10hipError_tPvRmT3_T4_T5_T6_T7_T9_mT8_P12ihipStream_tbDpT10_ENKUlT_T0_E_clISt17integral_constantIbLb0EES1B_EEDaS16_S17_EUlS16_E_NS1_11comp_targetILNS1_3genE10ELNS1_11target_archE1200ELNS1_3gpuE4ELNS1_3repE0EEENS1_30default_config_static_selectorELNS0_4arch9wavefront6targetE0EEEvT1_,"axG",@progbits,_ZN7rocprim17ROCPRIM_400000_NS6detail17trampoline_kernelINS0_14default_configENS1_25partition_config_selectorILNS1_17partition_subalgoE6EyNS0_10empty_typeEbEEZZNS1_14partition_implILS5_6ELb0ES3_mN6thrust23THRUST_200600_302600_NS6detail15normal_iteratorINSA_10device_ptrIyEEEEPS6_SG_NS0_5tupleIJNSA_16discard_iteratorINSA_11use_defaultEEES6_EEENSH_IJSG_SG_EEES6_PlJNSB_9not_fun_tI7is_trueIyEEEEEE10hipError_tPvRmT3_T4_T5_T6_T7_T9_mT8_P12ihipStream_tbDpT10_ENKUlT_T0_E_clISt17integral_constantIbLb0EES1B_EEDaS16_S17_EUlS16_E_NS1_11comp_targetILNS1_3genE10ELNS1_11target_archE1200ELNS1_3gpuE4ELNS1_3repE0EEENS1_30default_config_static_selectorELNS0_4arch9wavefront6targetE0EEEvT1_,comdat
.Lfunc_end2146:
	.size	_ZN7rocprim17ROCPRIM_400000_NS6detail17trampoline_kernelINS0_14default_configENS1_25partition_config_selectorILNS1_17partition_subalgoE6EyNS0_10empty_typeEbEEZZNS1_14partition_implILS5_6ELb0ES3_mN6thrust23THRUST_200600_302600_NS6detail15normal_iteratorINSA_10device_ptrIyEEEEPS6_SG_NS0_5tupleIJNSA_16discard_iteratorINSA_11use_defaultEEES6_EEENSH_IJSG_SG_EEES6_PlJNSB_9not_fun_tI7is_trueIyEEEEEE10hipError_tPvRmT3_T4_T5_T6_T7_T9_mT8_P12ihipStream_tbDpT10_ENKUlT_T0_E_clISt17integral_constantIbLb0EES1B_EEDaS16_S17_EUlS16_E_NS1_11comp_targetILNS1_3genE10ELNS1_11target_archE1200ELNS1_3gpuE4ELNS1_3repE0EEENS1_30default_config_static_selectorELNS0_4arch9wavefront6targetE0EEEvT1_, .Lfunc_end2146-_ZN7rocprim17ROCPRIM_400000_NS6detail17trampoline_kernelINS0_14default_configENS1_25partition_config_selectorILNS1_17partition_subalgoE6EyNS0_10empty_typeEbEEZZNS1_14partition_implILS5_6ELb0ES3_mN6thrust23THRUST_200600_302600_NS6detail15normal_iteratorINSA_10device_ptrIyEEEEPS6_SG_NS0_5tupleIJNSA_16discard_iteratorINSA_11use_defaultEEES6_EEENSH_IJSG_SG_EEES6_PlJNSB_9not_fun_tI7is_trueIyEEEEEE10hipError_tPvRmT3_T4_T5_T6_T7_T9_mT8_P12ihipStream_tbDpT10_ENKUlT_T0_E_clISt17integral_constantIbLb0EES1B_EEDaS16_S17_EUlS16_E_NS1_11comp_targetILNS1_3genE10ELNS1_11target_archE1200ELNS1_3gpuE4ELNS1_3repE0EEENS1_30default_config_static_selectorELNS0_4arch9wavefront6targetE0EEEvT1_
                                        ; -- End function
	.set _ZN7rocprim17ROCPRIM_400000_NS6detail17trampoline_kernelINS0_14default_configENS1_25partition_config_selectorILNS1_17partition_subalgoE6EyNS0_10empty_typeEbEEZZNS1_14partition_implILS5_6ELb0ES3_mN6thrust23THRUST_200600_302600_NS6detail15normal_iteratorINSA_10device_ptrIyEEEEPS6_SG_NS0_5tupleIJNSA_16discard_iteratorINSA_11use_defaultEEES6_EEENSH_IJSG_SG_EEES6_PlJNSB_9not_fun_tI7is_trueIyEEEEEE10hipError_tPvRmT3_T4_T5_T6_T7_T9_mT8_P12ihipStream_tbDpT10_ENKUlT_T0_E_clISt17integral_constantIbLb0EES1B_EEDaS16_S17_EUlS16_E_NS1_11comp_targetILNS1_3genE10ELNS1_11target_archE1200ELNS1_3gpuE4ELNS1_3repE0EEENS1_30default_config_static_selectorELNS0_4arch9wavefront6targetE0EEEvT1_.num_vgpr, 45
	.set _ZN7rocprim17ROCPRIM_400000_NS6detail17trampoline_kernelINS0_14default_configENS1_25partition_config_selectorILNS1_17partition_subalgoE6EyNS0_10empty_typeEbEEZZNS1_14partition_implILS5_6ELb0ES3_mN6thrust23THRUST_200600_302600_NS6detail15normal_iteratorINSA_10device_ptrIyEEEEPS6_SG_NS0_5tupleIJNSA_16discard_iteratorINSA_11use_defaultEEES6_EEENSH_IJSG_SG_EEES6_PlJNSB_9not_fun_tI7is_trueIyEEEEEE10hipError_tPvRmT3_T4_T5_T6_T7_T9_mT8_P12ihipStream_tbDpT10_ENKUlT_T0_E_clISt17integral_constantIbLb0EES1B_EEDaS16_S17_EUlS16_E_NS1_11comp_targetILNS1_3genE10ELNS1_11target_archE1200ELNS1_3gpuE4ELNS1_3repE0EEENS1_30default_config_static_selectorELNS0_4arch9wavefront6targetE0EEEvT1_.num_agpr, 0
	.set _ZN7rocprim17ROCPRIM_400000_NS6detail17trampoline_kernelINS0_14default_configENS1_25partition_config_selectorILNS1_17partition_subalgoE6EyNS0_10empty_typeEbEEZZNS1_14partition_implILS5_6ELb0ES3_mN6thrust23THRUST_200600_302600_NS6detail15normal_iteratorINSA_10device_ptrIyEEEEPS6_SG_NS0_5tupleIJNSA_16discard_iteratorINSA_11use_defaultEEES6_EEENSH_IJSG_SG_EEES6_PlJNSB_9not_fun_tI7is_trueIyEEEEEE10hipError_tPvRmT3_T4_T5_T6_T7_T9_mT8_P12ihipStream_tbDpT10_ENKUlT_T0_E_clISt17integral_constantIbLb0EES1B_EEDaS16_S17_EUlS16_E_NS1_11comp_targetILNS1_3genE10ELNS1_11target_archE1200ELNS1_3gpuE4ELNS1_3repE0EEENS1_30default_config_static_selectorELNS0_4arch9wavefront6targetE0EEEvT1_.numbered_sgpr, 21
	.set _ZN7rocprim17ROCPRIM_400000_NS6detail17trampoline_kernelINS0_14default_configENS1_25partition_config_selectorILNS1_17partition_subalgoE6EyNS0_10empty_typeEbEEZZNS1_14partition_implILS5_6ELb0ES3_mN6thrust23THRUST_200600_302600_NS6detail15normal_iteratorINSA_10device_ptrIyEEEEPS6_SG_NS0_5tupleIJNSA_16discard_iteratorINSA_11use_defaultEEES6_EEENSH_IJSG_SG_EEES6_PlJNSB_9not_fun_tI7is_trueIyEEEEEE10hipError_tPvRmT3_T4_T5_T6_T7_T9_mT8_P12ihipStream_tbDpT10_ENKUlT_T0_E_clISt17integral_constantIbLb0EES1B_EEDaS16_S17_EUlS16_E_NS1_11comp_targetILNS1_3genE10ELNS1_11target_archE1200ELNS1_3gpuE4ELNS1_3repE0EEENS1_30default_config_static_selectorELNS0_4arch9wavefront6targetE0EEEvT1_.num_named_barrier, 0
	.set _ZN7rocprim17ROCPRIM_400000_NS6detail17trampoline_kernelINS0_14default_configENS1_25partition_config_selectorILNS1_17partition_subalgoE6EyNS0_10empty_typeEbEEZZNS1_14partition_implILS5_6ELb0ES3_mN6thrust23THRUST_200600_302600_NS6detail15normal_iteratorINSA_10device_ptrIyEEEEPS6_SG_NS0_5tupleIJNSA_16discard_iteratorINSA_11use_defaultEEES6_EEENSH_IJSG_SG_EEES6_PlJNSB_9not_fun_tI7is_trueIyEEEEEE10hipError_tPvRmT3_T4_T5_T6_T7_T9_mT8_P12ihipStream_tbDpT10_ENKUlT_T0_E_clISt17integral_constantIbLb0EES1B_EEDaS16_S17_EUlS16_E_NS1_11comp_targetILNS1_3genE10ELNS1_11target_archE1200ELNS1_3gpuE4ELNS1_3repE0EEENS1_30default_config_static_selectorELNS0_4arch9wavefront6targetE0EEEvT1_.private_seg_size, 0
	.set _ZN7rocprim17ROCPRIM_400000_NS6detail17trampoline_kernelINS0_14default_configENS1_25partition_config_selectorILNS1_17partition_subalgoE6EyNS0_10empty_typeEbEEZZNS1_14partition_implILS5_6ELb0ES3_mN6thrust23THRUST_200600_302600_NS6detail15normal_iteratorINSA_10device_ptrIyEEEEPS6_SG_NS0_5tupleIJNSA_16discard_iteratorINSA_11use_defaultEEES6_EEENSH_IJSG_SG_EEES6_PlJNSB_9not_fun_tI7is_trueIyEEEEEE10hipError_tPvRmT3_T4_T5_T6_T7_T9_mT8_P12ihipStream_tbDpT10_ENKUlT_T0_E_clISt17integral_constantIbLb0EES1B_EEDaS16_S17_EUlS16_E_NS1_11comp_targetILNS1_3genE10ELNS1_11target_archE1200ELNS1_3gpuE4ELNS1_3repE0EEENS1_30default_config_static_selectorELNS0_4arch9wavefront6targetE0EEEvT1_.uses_vcc, 1
	.set _ZN7rocprim17ROCPRIM_400000_NS6detail17trampoline_kernelINS0_14default_configENS1_25partition_config_selectorILNS1_17partition_subalgoE6EyNS0_10empty_typeEbEEZZNS1_14partition_implILS5_6ELb0ES3_mN6thrust23THRUST_200600_302600_NS6detail15normal_iteratorINSA_10device_ptrIyEEEEPS6_SG_NS0_5tupleIJNSA_16discard_iteratorINSA_11use_defaultEEES6_EEENSH_IJSG_SG_EEES6_PlJNSB_9not_fun_tI7is_trueIyEEEEEE10hipError_tPvRmT3_T4_T5_T6_T7_T9_mT8_P12ihipStream_tbDpT10_ENKUlT_T0_E_clISt17integral_constantIbLb0EES1B_EEDaS16_S17_EUlS16_E_NS1_11comp_targetILNS1_3genE10ELNS1_11target_archE1200ELNS1_3gpuE4ELNS1_3repE0EEENS1_30default_config_static_selectorELNS0_4arch9wavefront6targetE0EEEvT1_.uses_flat_scratch, 1
	.set _ZN7rocprim17ROCPRIM_400000_NS6detail17trampoline_kernelINS0_14default_configENS1_25partition_config_selectorILNS1_17partition_subalgoE6EyNS0_10empty_typeEbEEZZNS1_14partition_implILS5_6ELb0ES3_mN6thrust23THRUST_200600_302600_NS6detail15normal_iteratorINSA_10device_ptrIyEEEEPS6_SG_NS0_5tupleIJNSA_16discard_iteratorINSA_11use_defaultEEES6_EEENSH_IJSG_SG_EEES6_PlJNSB_9not_fun_tI7is_trueIyEEEEEE10hipError_tPvRmT3_T4_T5_T6_T7_T9_mT8_P12ihipStream_tbDpT10_ENKUlT_T0_E_clISt17integral_constantIbLb0EES1B_EEDaS16_S17_EUlS16_E_NS1_11comp_targetILNS1_3genE10ELNS1_11target_archE1200ELNS1_3gpuE4ELNS1_3repE0EEENS1_30default_config_static_selectorELNS0_4arch9wavefront6targetE0EEEvT1_.has_dyn_sized_stack, 0
	.set _ZN7rocprim17ROCPRIM_400000_NS6detail17trampoline_kernelINS0_14default_configENS1_25partition_config_selectorILNS1_17partition_subalgoE6EyNS0_10empty_typeEbEEZZNS1_14partition_implILS5_6ELb0ES3_mN6thrust23THRUST_200600_302600_NS6detail15normal_iteratorINSA_10device_ptrIyEEEEPS6_SG_NS0_5tupleIJNSA_16discard_iteratorINSA_11use_defaultEEES6_EEENSH_IJSG_SG_EEES6_PlJNSB_9not_fun_tI7is_trueIyEEEEEE10hipError_tPvRmT3_T4_T5_T6_T7_T9_mT8_P12ihipStream_tbDpT10_ENKUlT_T0_E_clISt17integral_constantIbLb0EES1B_EEDaS16_S17_EUlS16_E_NS1_11comp_targetILNS1_3genE10ELNS1_11target_archE1200ELNS1_3gpuE4ELNS1_3repE0EEENS1_30default_config_static_selectorELNS0_4arch9wavefront6targetE0EEEvT1_.has_recursion, 0
	.set _ZN7rocprim17ROCPRIM_400000_NS6detail17trampoline_kernelINS0_14default_configENS1_25partition_config_selectorILNS1_17partition_subalgoE6EyNS0_10empty_typeEbEEZZNS1_14partition_implILS5_6ELb0ES3_mN6thrust23THRUST_200600_302600_NS6detail15normal_iteratorINSA_10device_ptrIyEEEEPS6_SG_NS0_5tupleIJNSA_16discard_iteratorINSA_11use_defaultEEES6_EEENSH_IJSG_SG_EEES6_PlJNSB_9not_fun_tI7is_trueIyEEEEEE10hipError_tPvRmT3_T4_T5_T6_T7_T9_mT8_P12ihipStream_tbDpT10_ENKUlT_T0_E_clISt17integral_constantIbLb0EES1B_EEDaS16_S17_EUlS16_E_NS1_11comp_targetILNS1_3genE10ELNS1_11target_archE1200ELNS1_3gpuE4ELNS1_3repE0EEENS1_30default_config_static_selectorELNS0_4arch9wavefront6targetE0EEEvT1_.has_indirect_call, 0
	.section	.AMDGPU.csdata,"",@progbits
; Kernel info:
; codeLenInByte = 5736
; TotalNumSgprs: 23
; NumVgprs: 45
; ScratchSize: 0
; MemoryBound: 0
; FloatMode: 240
; IeeeMode: 1
; LDSByteSize: 8464 bytes/workgroup (compile time only)
; SGPRBlocks: 0
; VGPRBlocks: 5
; NumSGPRsForWavesPerEU: 23
; NumVGPRsForWavesPerEU: 45
; Occupancy: 16
; WaveLimiterHint : 1
; COMPUTE_PGM_RSRC2:SCRATCH_EN: 0
; COMPUTE_PGM_RSRC2:USER_SGPR: 2
; COMPUTE_PGM_RSRC2:TRAP_HANDLER: 0
; COMPUTE_PGM_RSRC2:TGID_X_EN: 1
; COMPUTE_PGM_RSRC2:TGID_Y_EN: 0
; COMPUTE_PGM_RSRC2:TGID_Z_EN: 0
; COMPUTE_PGM_RSRC2:TIDIG_COMP_CNT: 0
	.section	.text._ZN7rocprim17ROCPRIM_400000_NS6detail17trampoline_kernelINS0_14default_configENS1_25partition_config_selectorILNS1_17partition_subalgoE6EyNS0_10empty_typeEbEEZZNS1_14partition_implILS5_6ELb0ES3_mN6thrust23THRUST_200600_302600_NS6detail15normal_iteratorINSA_10device_ptrIyEEEEPS6_SG_NS0_5tupleIJNSA_16discard_iteratorINSA_11use_defaultEEES6_EEENSH_IJSG_SG_EEES6_PlJNSB_9not_fun_tI7is_trueIyEEEEEE10hipError_tPvRmT3_T4_T5_T6_T7_T9_mT8_P12ihipStream_tbDpT10_ENKUlT_T0_E_clISt17integral_constantIbLb0EES1B_EEDaS16_S17_EUlS16_E_NS1_11comp_targetILNS1_3genE9ELNS1_11target_archE1100ELNS1_3gpuE3ELNS1_3repE0EEENS1_30default_config_static_selectorELNS0_4arch9wavefront6targetE0EEEvT1_,"axG",@progbits,_ZN7rocprim17ROCPRIM_400000_NS6detail17trampoline_kernelINS0_14default_configENS1_25partition_config_selectorILNS1_17partition_subalgoE6EyNS0_10empty_typeEbEEZZNS1_14partition_implILS5_6ELb0ES3_mN6thrust23THRUST_200600_302600_NS6detail15normal_iteratorINSA_10device_ptrIyEEEEPS6_SG_NS0_5tupleIJNSA_16discard_iteratorINSA_11use_defaultEEES6_EEENSH_IJSG_SG_EEES6_PlJNSB_9not_fun_tI7is_trueIyEEEEEE10hipError_tPvRmT3_T4_T5_T6_T7_T9_mT8_P12ihipStream_tbDpT10_ENKUlT_T0_E_clISt17integral_constantIbLb0EES1B_EEDaS16_S17_EUlS16_E_NS1_11comp_targetILNS1_3genE9ELNS1_11target_archE1100ELNS1_3gpuE3ELNS1_3repE0EEENS1_30default_config_static_selectorELNS0_4arch9wavefront6targetE0EEEvT1_,comdat
	.protected	_ZN7rocprim17ROCPRIM_400000_NS6detail17trampoline_kernelINS0_14default_configENS1_25partition_config_selectorILNS1_17partition_subalgoE6EyNS0_10empty_typeEbEEZZNS1_14partition_implILS5_6ELb0ES3_mN6thrust23THRUST_200600_302600_NS6detail15normal_iteratorINSA_10device_ptrIyEEEEPS6_SG_NS0_5tupleIJNSA_16discard_iteratorINSA_11use_defaultEEES6_EEENSH_IJSG_SG_EEES6_PlJNSB_9not_fun_tI7is_trueIyEEEEEE10hipError_tPvRmT3_T4_T5_T6_T7_T9_mT8_P12ihipStream_tbDpT10_ENKUlT_T0_E_clISt17integral_constantIbLb0EES1B_EEDaS16_S17_EUlS16_E_NS1_11comp_targetILNS1_3genE9ELNS1_11target_archE1100ELNS1_3gpuE3ELNS1_3repE0EEENS1_30default_config_static_selectorELNS0_4arch9wavefront6targetE0EEEvT1_ ; -- Begin function _ZN7rocprim17ROCPRIM_400000_NS6detail17trampoline_kernelINS0_14default_configENS1_25partition_config_selectorILNS1_17partition_subalgoE6EyNS0_10empty_typeEbEEZZNS1_14partition_implILS5_6ELb0ES3_mN6thrust23THRUST_200600_302600_NS6detail15normal_iteratorINSA_10device_ptrIyEEEEPS6_SG_NS0_5tupleIJNSA_16discard_iteratorINSA_11use_defaultEEES6_EEENSH_IJSG_SG_EEES6_PlJNSB_9not_fun_tI7is_trueIyEEEEEE10hipError_tPvRmT3_T4_T5_T6_T7_T9_mT8_P12ihipStream_tbDpT10_ENKUlT_T0_E_clISt17integral_constantIbLb0EES1B_EEDaS16_S17_EUlS16_E_NS1_11comp_targetILNS1_3genE9ELNS1_11target_archE1100ELNS1_3gpuE3ELNS1_3repE0EEENS1_30default_config_static_selectorELNS0_4arch9wavefront6targetE0EEEvT1_
	.globl	_ZN7rocprim17ROCPRIM_400000_NS6detail17trampoline_kernelINS0_14default_configENS1_25partition_config_selectorILNS1_17partition_subalgoE6EyNS0_10empty_typeEbEEZZNS1_14partition_implILS5_6ELb0ES3_mN6thrust23THRUST_200600_302600_NS6detail15normal_iteratorINSA_10device_ptrIyEEEEPS6_SG_NS0_5tupleIJNSA_16discard_iteratorINSA_11use_defaultEEES6_EEENSH_IJSG_SG_EEES6_PlJNSB_9not_fun_tI7is_trueIyEEEEEE10hipError_tPvRmT3_T4_T5_T6_T7_T9_mT8_P12ihipStream_tbDpT10_ENKUlT_T0_E_clISt17integral_constantIbLb0EES1B_EEDaS16_S17_EUlS16_E_NS1_11comp_targetILNS1_3genE9ELNS1_11target_archE1100ELNS1_3gpuE3ELNS1_3repE0EEENS1_30default_config_static_selectorELNS0_4arch9wavefront6targetE0EEEvT1_
	.p2align	8
	.type	_ZN7rocprim17ROCPRIM_400000_NS6detail17trampoline_kernelINS0_14default_configENS1_25partition_config_selectorILNS1_17partition_subalgoE6EyNS0_10empty_typeEbEEZZNS1_14partition_implILS5_6ELb0ES3_mN6thrust23THRUST_200600_302600_NS6detail15normal_iteratorINSA_10device_ptrIyEEEEPS6_SG_NS0_5tupleIJNSA_16discard_iteratorINSA_11use_defaultEEES6_EEENSH_IJSG_SG_EEES6_PlJNSB_9not_fun_tI7is_trueIyEEEEEE10hipError_tPvRmT3_T4_T5_T6_T7_T9_mT8_P12ihipStream_tbDpT10_ENKUlT_T0_E_clISt17integral_constantIbLb0EES1B_EEDaS16_S17_EUlS16_E_NS1_11comp_targetILNS1_3genE9ELNS1_11target_archE1100ELNS1_3gpuE3ELNS1_3repE0EEENS1_30default_config_static_selectorELNS0_4arch9wavefront6targetE0EEEvT1_,@function
_ZN7rocprim17ROCPRIM_400000_NS6detail17trampoline_kernelINS0_14default_configENS1_25partition_config_selectorILNS1_17partition_subalgoE6EyNS0_10empty_typeEbEEZZNS1_14partition_implILS5_6ELb0ES3_mN6thrust23THRUST_200600_302600_NS6detail15normal_iteratorINSA_10device_ptrIyEEEEPS6_SG_NS0_5tupleIJNSA_16discard_iteratorINSA_11use_defaultEEES6_EEENSH_IJSG_SG_EEES6_PlJNSB_9not_fun_tI7is_trueIyEEEEEE10hipError_tPvRmT3_T4_T5_T6_T7_T9_mT8_P12ihipStream_tbDpT10_ENKUlT_T0_E_clISt17integral_constantIbLb0EES1B_EEDaS16_S17_EUlS16_E_NS1_11comp_targetILNS1_3genE9ELNS1_11target_archE1100ELNS1_3gpuE3ELNS1_3repE0EEENS1_30default_config_static_selectorELNS0_4arch9wavefront6targetE0EEEvT1_: ; @_ZN7rocprim17ROCPRIM_400000_NS6detail17trampoline_kernelINS0_14default_configENS1_25partition_config_selectorILNS1_17partition_subalgoE6EyNS0_10empty_typeEbEEZZNS1_14partition_implILS5_6ELb0ES3_mN6thrust23THRUST_200600_302600_NS6detail15normal_iteratorINSA_10device_ptrIyEEEEPS6_SG_NS0_5tupleIJNSA_16discard_iteratorINSA_11use_defaultEEES6_EEENSH_IJSG_SG_EEES6_PlJNSB_9not_fun_tI7is_trueIyEEEEEE10hipError_tPvRmT3_T4_T5_T6_T7_T9_mT8_P12ihipStream_tbDpT10_ENKUlT_T0_E_clISt17integral_constantIbLb0EES1B_EEDaS16_S17_EUlS16_E_NS1_11comp_targetILNS1_3genE9ELNS1_11target_archE1100ELNS1_3gpuE3ELNS1_3repE0EEENS1_30default_config_static_selectorELNS0_4arch9wavefront6targetE0EEEvT1_
; %bb.0:
	.section	.rodata,"a",@progbits
	.p2align	6, 0x0
	.amdhsa_kernel _ZN7rocprim17ROCPRIM_400000_NS6detail17trampoline_kernelINS0_14default_configENS1_25partition_config_selectorILNS1_17partition_subalgoE6EyNS0_10empty_typeEbEEZZNS1_14partition_implILS5_6ELb0ES3_mN6thrust23THRUST_200600_302600_NS6detail15normal_iteratorINSA_10device_ptrIyEEEEPS6_SG_NS0_5tupleIJNSA_16discard_iteratorINSA_11use_defaultEEES6_EEENSH_IJSG_SG_EEES6_PlJNSB_9not_fun_tI7is_trueIyEEEEEE10hipError_tPvRmT3_T4_T5_T6_T7_T9_mT8_P12ihipStream_tbDpT10_ENKUlT_T0_E_clISt17integral_constantIbLb0EES1B_EEDaS16_S17_EUlS16_E_NS1_11comp_targetILNS1_3genE9ELNS1_11target_archE1100ELNS1_3gpuE3ELNS1_3repE0EEENS1_30default_config_static_selectorELNS0_4arch9wavefront6targetE0EEEvT1_
		.amdhsa_group_segment_fixed_size 0
		.amdhsa_private_segment_fixed_size 0
		.amdhsa_kernarg_size 120
		.amdhsa_user_sgpr_count 2
		.amdhsa_user_sgpr_dispatch_ptr 0
		.amdhsa_user_sgpr_queue_ptr 0
		.amdhsa_user_sgpr_kernarg_segment_ptr 1
		.amdhsa_user_sgpr_dispatch_id 0
		.amdhsa_user_sgpr_private_segment_size 0
		.amdhsa_wavefront_size32 1
		.amdhsa_uses_dynamic_stack 0
		.amdhsa_enable_private_segment 0
		.amdhsa_system_sgpr_workgroup_id_x 1
		.amdhsa_system_sgpr_workgroup_id_y 0
		.amdhsa_system_sgpr_workgroup_id_z 0
		.amdhsa_system_sgpr_workgroup_info 0
		.amdhsa_system_vgpr_workitem_id 0
		.amdhsa_next_free_vgpr 1
		.amdhsa_next_free_sgpr 1
		.amdhsa_reserve_vcc 0
		.amdhsa_float_round_mode_32 0
		.amdhsa_float_round_mode_16_64 0
		.amdhsa_float_denorm_mode_32 3
		.amdhsa_float_denorm_mode_16_64 3
		.amdhsa_fp16_overflow 0
		.amdhsa_workgroup_processor_mode 1
		.amdhsa_memory_ordered 1
		.amdhsa_forward_progress 1
		.amdhsa_inst_pref_size 0
		.amdhsa_round_robin_scheduling 0
		.amdhsa_exception_fp_ieee_invalid_op 0
		.amdhsa_exception_fp_denorm_src 0
		.amdhsa_exception_fp_ieee_div_zero 0
		.amdhsa_exception_fp_ieee_overflow 0
		.amdhsa_exception_fp_ieee_underflow 0
		.amdhsa_exception_fp_ieee_inexact 0
		.amdhsa_exception_int_div_zero 0
	.end_amdhsa_kernel
	.section	.text._ZN7rocprim17ROCPRIM_400000_NS6detail17trampoline_kernelINS0_14default_configENS1_25partition_config_selectorILNS1_17partition_subalgoE6EyNS0_10empty_typeEbEEZZNS1_14partition_implILS5_6ELb0ES3_mN6thrust23THRUST_200600_302600_NS6detail15normal_iteratorINSA_10device_ptrIyEEEEPS6_SG_NS0_5tupleIJNSA_16discard_iteratorINSA_11use_defaultEEES6_EEENSH_IJSG_SG_EEES6_PlJNSB_9not_fun_tI7is_trueIyEEEEEE10hipError_tPvRmT3_T4_T5_T6_T7_T9_mT8_P12ihipStream_tbDpT10_ENKUlT_T0_E_clISt17integral_constantIbLb0EES1B_EEDaS16_S17_EUlS16_E_NS1_11comp_targetILNS1_3genE9ELNS1_11target_archE1100ELNS1_3gpuE3ELNS1_3repE0EEENS1_30default_config_static_selectorELNS0_4arch9wavefront6targetE0EEEvT1_,"axG",@progbits,_ZN7rocprim17ROCPRIM_400000_NS6detail17trampoline_kernelINS0_14default_configENS1_25partition_config_selectorILNS1_17partition_subalgoE6EyNS0_10empty_typeEbEEZZNS1_14partition_implILS5_6ELb0ES3_mN6thrust23THRUST_200600_302600_NS6detail15normal_iteratorINSA_10device_ptrIyEEEEPS6_SG_NS0_5tupleIJNSA_16discard_iteratorINSA_11use_defaultEEES6_EEENSH_IJSG_SG_EEES6_PlJNSB_9not_fun_tI7is_trueIyEEEEEE10hipError_tPvRmT3_T4_T5_T6_T7_T9_mT8_P12ihipStream_tbDpT10_ENKUlT_T0_E_clISt17integral_constantIbLb0EES1B_EEDaS16_S17_EUlS16_E_NS1_11comp_targetILNS1_3genE9ELNS1_11target_archE1100ELNS1_3gpuE3ELNS1_3repE0EEENS1_30default_config_static_selectorELNS0_4arch9wavefront6targetE0EEEvT1_,comdat
.Lfunc_end2147:
	.size	_ZN7rocprim17ROCPRIM_400000_NS6detail17trampoline_kernelINS0_14default_configENS1_25partition_config_selectorILNS1_17partition_subalgoE6EyNS0_10empty_typeEbEEZZNS1_14partition_implILS5_6ELb0ES3_mN6thrust23THRUST_200600_302600_NS6detail15normal_iteratorINSA_10device_ptrIyEEEEPS6_SG_NS0_5tupleIJNSA_16discard_iteratorINSA_11use_defaultEEES6_EEENSH_IJSG_SG_EEES6_PlJNSB_9not_fun_tI7is_trueIyEEEEEE10hipError_tPvRmT3_T4_T5_T6_T7_T9_mT8_P12ihipStream_tbDpT10_ENKUlT_T0_E_clISt17integral_constantIbLb0EES1B_EEDaS16_S17_EUlS16_E_NS1_11comp_targetILNS1_3genE9ELNS1_11target_archE1100ELNS1_3gpuE3ELNS1_3repE0EEENS1_30default_config_static_selectorELNS0_4arch9wavefront6targetE0EEEvT1_, .Lfunc_end2147-_ZN7rocprim17ROCPRIM_400000_NS6detail17trampoline_kernelINS0_14default_configENS1_25partition_config_selectorILNS1_17partition_subalgoE6EyNS0_10empty_typeEbEEZZNS1_14partition_implILS5_6ELb0ES3_mN6thrust23THRUST_200600_302600_NS6detail15normal_iteratorINSA_10device_ptrIyEEEEPS6_SG_NS0_5tupleIJNSA_16discard_iteratorINSA_11use_defaultEEES6_EEENSH_IJSG_SG_EEES6_PlJNSB_9not_fun_tI7is_trueIyEEEEEE10hipError_tPvRmT3_T4_T5_T6_T7_T9_mT8_P12ihipStream_tbDpT10_ENKUlT_T0_E_clISt17integral_constantIbLb0EES1B_EEDaS16_S17_EUlS16_E_NS1_11comp_targetILNS1_3genE9ELNS1_11target_archE1100ELNS1_3gpuE3ELNS1_3repE0EEENS1_30default_config_static_selectorELNS0_4arch9wavefront6targetE0EEEvT1_
                                        ; -- End function
	.set _ZN7rocprim17ROCPRIM_400000_NS6detail17trampoline_kernelINS0_14default_configENS1_25partition_config_selectorILNS1_17partition_subalgoE6EyNS0_10empty_typeEbEEZZNS1_14partition_implILS5_6ELb0ES3_mN6thrust23THRUST_200600_302600_NS6detail15normal_iteratorINSA_10device_ptrIyEEEEPS6_SG_NS0_5tupleIJNSA_16discard_iteratorINSA_11use_defaultEEES6_EEENSH_IJSG_SG_EEES6_PlJNSB_9not_fun_tI7is_trueIyEEEEEE10hipError_tPvRmT3_T4_T5_T6_T7_T9_mT8_P12ihipStream_tbDpT10_ENKUlT_T0_E_clISt17integral_constantIbLb0EES1B_EEDaS16_S17_EUlS16_E_NS1_11comp_targetILNS1_3genE9ELNS1_11target_archE1100ELNS1_3gpuE3ELNS1_3repE0EEENS1_30default_config_static_selectorELNS0_4arch9wavefront6targetE0EEEvT1_.num_vgpr, 0
	.set _ZN7rocprim17ROCPRIM_400000_NS6detail17trampoline_kernelINS0_14default_configENS1_25partition_config_selectorILNS1_17partition_subalgoE6EyNS0_10empty_typeEbEEZZNS1_14partition_implILS5_6ELb0ES3_mN6thrust23THRUST_200600_302600_NS6detail15normal_iteratorINSA_10device_ptrIyEEEEPS6_SG_NS0_5tupleIJNSA_16discard_iteratorINSA_11use_defaultEEES6_EEENSH_IJSG_SG_EEES6_PlJNSB_9not_fun_tI7is_trueIyEEEEEE10hipError_tPvRmT3_T4_T5_T6_T7_T9_mT8_P12ihipStream_tbDpT10_ENKUlT_T0_E_clISt17integral_constantIbLb0EES1B_EEDaS16_S17_EUlS16_E_NS1_11comp_targetILNS1_3genE9ELNS1_11target_archE1100ELNS1_3gpuE3ELNS1_3repE0EEENS1_30default_config_static_selectorELNS0_4arch9wavefront6targetE0EEEvT1_.num_agpr, 0
	.set _ZN7rocprim17ROCPRIM_400000_NS6detail17trampoline_kernelINS0_14default_configENS1_25partition_config_selectorILNS1_17partition_subalgoE6EyNS0_10empty_typeEbEEZZNS1_14partition_implILS5_6ELb0ES3_mN6thrust23THRUST_200600_302600_NS6detail15normal_iteratorINSA_10device_ptrIyEEEEPS6_SG_NS0_5tupleIJNSA_16discard_iteratorINSA_11use_defaultEEES6_EEENSH_IJSG_SG_EEES6_PlJNSB_9not_fun_tI7is_trueIyEEEEEE10hipError_tPvRmT3_T4_T5_T6_T7_T9_mT8_P12ihipStream_tbDpT10_ENKUlT_T0_E_clISt17integral_constantIbLb0EES1B_EEDaS16_S17_EUlS16_E_NS1_11comp_targetILNS1_3genE9ELNS1_11target_archE1100ELNS1_3gpuE3ELNS1_3repE0EEENS1_30default_config_static_selectorELNS0_4arch9wavefront6targetE0EEEvT1_.numbered_sgpr, 0
	.set _ZN7rocprim17ROCPRIM_400000_NS6detail17trampoline_kernelINS0_14default_configENS1_25partition_config_selectorILNS1_17partition_subalgoE6EyNS0_10empty_typeEbEEZZNS1_14partition_implILS5_6ELb0ES3_mN6thrust23THRUST_200600_302600_NS6detail15normal_iteratorINSA_10device_ptrIyEEEEPS6_SG_NS0_5tupleIJNSA_16discard_iteratorINSA_11use_defaultEEES6_EEENSH_IJSG_SG_EEES6_PlJNSB_9not_fun_tI7is_trueIyEEEEEE10hipError_tPvRmT3_T4_T5_T6_T7_T9_mT8_P12ihipStream_tbDpT10_ENKUlT_T0_E_clISt17integral_constantIbLb0EES1B_EEDaS16_S17_EUlS16_E_NS1_11comp_targetILNS1_3genE9ELNS1_11target_archE1100ELNS1_3gpuE3ELNS1_3repE0EEENS1_30default_config_static_selectorELNS0_4arch9wavefront6targetE0EEEvT1_.num_named_barrier, 0
	.set _ZN7rocprim17ROCPRIM_400000_NS6detail17trampoline_kernelINS0_14default_configENS1_25partition_config_selectorILNS1_17partition_subalgoE6EyNS0_10empty_typeEbEEZZNS1_14partition_implILS5_6ELb0ES3_mN6thrust23THRUST_200600_302600_NS6detail15normal_iteratorINSA_10device_ptrIyEEEEPS6_SG_NS0_5tupleIJNSA_16discard_iteratorINSA_11use_defaultEEES6_EEENSH_IJSG_SG_EEES6_PlJNSB_9not_fun_tI7is_trueIyEEEEEE10hipError_tPvRmT3_T4_T5_T6_T7_T9_mT8_P12ihipStream_tbDpT10_ENKUlT_T0_E_clISt17integral_constantIbLb0EES1B_EEDaS16_S17_EUlS16_E_NS1_11comp_targetILNS1_3genE9ELNS1_11target_archE1100ELNS1_3gpuE3ELNS1_3repE0EEENS1_30default_config_static_selectorELNS0_4arch9wavefront6targetE0EEEvT1_.private_seg_size, 0
	.set _ZN7rocprim17ROCPRIM_400000_NS6detail17trampoline_kernelINS0_14default_configENS1_25partition_config_selectorILNS1_17partition_subalgoE6EyNS0_10empty_typeEbEEZZNS1_14partition_implILS5_6ELb0ES3_mN6thrust23THRUST_200600_302600_NS6detail15normal_iteratorINSA_10device_ptrIyEEEEPS6_SG_NS0_5tupleIJNSA_16discard_iteratorINSA_11use_defaultEEES6_EEENSH_IJSG_SG_EEES6_PlJNSB_9not_fun_tI7is_trueIyEEEEEE10hipError_tPvRmT3_T4_T5_T6_T7_T9_mT8_P12ihipStream_tbDpT10_ENKUlT_T0_E_clISt17integral_constantIbLb0EES1B_EEDaS16_S17_EUlS16_E_NS1_11comp_targetILNS1_3genE9ELNS1_11target_archE1100ELNS1_3gpuE3ELNS1_3repE0EEENS1_30default_config_static_selectorELNS0_4arch9wavefront6targetE0EEEvT1_.uses_vcc, 0
	.set _ZN7rocprim17ROCPRIM_400000_NS6detail17trampoline_kernelINS0_14default_configENS1_25partition_config_selectorILNS1_17partition_subalgoE6EyNS0_10empty_typeEbEEZZNS1_14partition_implILS5_6ELb0ES3_mN6thrust23THRUST_200600_302600_NS6detail15normal_iteratorINSA_10device_ptrIyEEEEPS6_SG_NS0_5tupleIJNSA_16discard_iteratorINSA_11use_defaultEEES6_EEENSH_IJSG_SG_EEES6_PlJNSB_9not_fun_tI7is_trueIyEEEEEE10hipError_tPvRmT3_T4_T5_T6_T7_T9_mT8_P12ihipStream_tbDpT10_ENKUlT_T0_E_clISt17integral_constantIbLb0EES1B_EEDaS16_S17_EUlS16_E_NS1_11comp_targetILNS1_3genE9ELNS1_11target_archE1100ELNS1_3gpuE3ELNS1_3repE0EEENS1_30default_config_static_selectorELNS0_4arch9wavefront6targetE0EEEvT1_.uses_flat_scratch, 0
	.set _ZN7rocprim17ROCPRIM_400000_NS6detail17trampoline_kernelINS0_14default_configENS1_25partition_config_selectorILNS1_17partition_subalgoE6EyNS0_10empty_typeEbEEZZNS1_14partition_implILS5_6ELb0ES3_mN6thrust23THRUST_200600_302600_NS6detail15normal_iteratorINSA_10device_ptrIyEEEEPS6_SG_NS0_5tupleIJNSA_16discard_iteratorINSA_11use_defaultEEES6_EEENSH_IJSG_SG_EEES6_PlJNSB_9not_fun_tI7is_trueIyEEEEEE10hipError_tPvRmT3_T4_T5_T6_T7_T9_mT8_P12ihipStream_tbDpT10_ENKUlT_T0_E_clISt17integral_constantIbLb0EES1B_EEDaS16_S17_EUlS16_E_NS1_11comp_targetILNS1_3genE9ELNS1_11target_archE1100ELNS1_3gpuE3ELNS1_3repE0EEENS1_30default_config_static_selectorELNS0_4arch9wavefront6targetE0EEEvT1_.has_dyn_sized_stack, 0
	.set _ZN7rocprim17ROCPRIM_400000_NS6detail17trampoline_kernelINS0_14default_configENS1_25partition_config_selectorILNS1_17partition_subalgoE6EyNS0_10empty_typeEbEEZZNS1_14partition_implILS5_6ELb0ES3_mN6thrust23THRUST_200600_302600_NS6detail15normal_iteratorINSA_10device_ptrIyEEEEPS6_SG_NS0_5tupleIJNSA_16discard_iteratorINSA_11use_defaultEEES6_EEENSH_IJSG_SG_EEES6_PlJNSB_9not_fun_tI7is_trueIyEEEEEE10hipError_tPvRmT3_T4_T5_T6_T7_T9_mT8_P12ihipStream_tbDpT10_ENKUlT_T0_E_clISt17integral_constantIbLb0EES1B_EEDaS16_S17_EUlS16_E_NS1_11comp_targetILNS1_3genE9ELNS1_11target_archE1100ELNS1_3gpuE3ELNS1_3repE0EEENS1_30default_config_static_selectorELNS0_4arch9wavefront6targetE0EEEvT1_.has_recursion, 0
	.set _ZN7rocprim17ROCPRIM_400000_NS6detail17trampoline_kernelINS0_14default_configENS1_25partition_config_selectorILNS1_17partition_subalgoE6EyNS0_10empty_typeEbEEZZNS1_14partition_implILS5_6ELb0ES3_mN6thrust23THRUST_200600_302600_NS6detail15normal_iteratorINSA_10device_ptrIyEEEEPS6_SG_NS0_5tupleIJNSA_16discard_iteratorINSA_11use_defaultEEES6_EEENSH_IJSG_SG_EEES6_PlJNSB_9not_fun_tI7is_trueIyEEEEEE10hipError_tPvRmT3_T4_T5_T6_T7_T9_mT8_P12ihipStream_tbDpT10_ENKUlT_T0_E_clISt17integral_constantIbLb0EES1B_EEDaS16_S17_EUlS16_E_NS1_11comp_targetILNS1_3genE9ELNS1_11target_archE1100ELNS1_3gpuE3ELNS1_3repE0EEENS1_30default_config_static_selectorELNS0_4arch9wavefront6targetE0EEEvT1_.has_indirect_call, 0
	.section	.AMDGPU.csdata,"",@progbits
; Kernel info:
; codeLenInByte = 0
; TotalNumSgprs: 0
; NumVgprs: 0
; ScratchSize: 0
; MemoryBound: 0
; FloatMode: 240
; IeeeMode: 1
; LDSByteSize: 0 bytes/workgroup (compile time only)
; SGPRBlocks: 0
; VGPRBlocks: 0
; NumSGPRsForWavesPerEU: 1
; NumVGPRsForWavesPerEU: 1
; Occupancy: 16
; WaveLimiterHint : 0
; COMPUTE_PGM_RSRC2:SCRATCH_EN: 0
; COMPUTE_PGM_RSRC2:USER_SGPR: 2
; COMPUTE_PGM_RSRC2:TRAP_HANDLER: 0
; COMPUTE_PGM_RSRC2:TGID_X_EN: 1
; COMPUTE_PGM_RSRC2:TGID_Y_EN: 0
; COMPUTE_PGM_RSRC2:TGID_Z_EN: 0
; COMPUTE_PGM_RSRC2:TIDIG_COMP_CNT: 0
	.section	.text._ZN7rocprim17ROCPRIM_400000_NS6detail17trampoline_kernelINS0_14default_configENS1_25partition_config_selectorILNS1_17partition_subalgoE6EyNS0_10empty_typeEbEEZZNS1_14partition_implILS5_6ELb0ES3_mN6thrust23THRUST_200600_302600_NS6detail15normal_iteratorINSA_10device_ptrIyEEEEPS6_SG_NS0_5tupleIJNSA_16discard_iteratorINSA_11use_defaultEEES6_EEENSH_IJSG_SG_EEES6_PlJNSB_9not_fun_tI7is_trueIyEEEEEE10hipError_tPvRmT3_T4_T5_T6_T7_T9_mT8_P12ihipStream_tbDpT10_ENKUlT_T0_E_clISt17integral_constantIbLb0EES1B_EEDaS16_S17_EUlS16_E_NS1_11comp_targetILNS1_3genE8ELNS1_11target_archE1030ELNS1_3gpuE2ELNS1_3repE0EEENS1_30default_config_static_selectorELNS0_4arch9wavefront6targetE0EEEvT1_,"axG",@progbits,_ZN7rocprim17ROCPRIM_400000_NS6detail17trampoline_kernelINS0_14default_configENS1_25partition_config_selectorILNS1_17partition_subalgoE6EyNS0_10empty_typeEbEEZZNS1_14partition_implILS5_6ELb0ES3_mN6thrust23THRUST_200600_302600_NS6detail15normal_iteratorINSA_10device_ptrIyEEEEPS6_SG_NS0_5tupleIJNSA_16discard_iteratorINSA_11use_defaultEEES6_EEENSH_IJSG_SG_EEES6_PlJNSB_9not_fun_tI7is_trueIyEEEEEE10hipError_tPvRmT3_T4_T5_T6_T7_T9_mT8_P12ihipStream_tbDpT10_ENKUlT_T0_E_clISt17integral_constantIbLb0EES1B_EEDaS16_S17_EUlS16_E_NS1_11comp_targetILNS1_3genE8ELNS1_11target_archE1030ELNS1_3gpuE2ELNS1_3repE0EEENS1_30default_config_static_selectorELNS0_4arch9wavefront6targetE0EEEvT1_,comdat
	.protected	_ZN7rocprim17ROCPRIM_400000_NS6detail17trampoline_kernelINS0_14default_configENS1_25partition_config_selectorILNS1_17partition_subalgoE6EyNS0_10empty_typeEbEEZZNS1_14partition_implILS5_6ELb0ES3_mN6thrust23THRUST_200600_302600_NS6detail15normal_iteratorINSA_10device_ptrIyEEEEPS6_SG_NS0_5tupleIJNSA_16discard_iteratorINSA_11use_defaultEEES6_EEENSH_IJSG_SG_EEES6_PlJNSB_9not_fun_tI7is_trueIyEEEEEE10hipError_tPvRmT3_T4_T5_T6_T7_T9_mT8_P12ihipStream_tbDpT10_ENKUlT_T0_E_clISt17integral_constantIbLb0EES1B_EEDaS16_S17_EUlS16_E_NS1_11comp_targetILNS1_3genE8ELNS1_11target_archE1030ELNS1_3gpuE2ELNS1_3repE0EEENS1_30default_config_static_selectorELNS0_4arch9wavefront6targetE0EEEvT1_ ; -- Begin function _ZN7rocprim17ROCPRIM_400000_NS6detail17trampoline_kernelINS0_14default_configENS1_25partition_config_selectorILNS1_17partition_subalgoE6EyNS0_10empty_typeEbEEZZNS1_14partition_implILS5_6ELb0ES3_mN6thrust23THRUST_200600_302600_NS6detail15normal_iteratorINSA_10device_ptrIyEEEEPS6_SG_NS0_5tupleIJNSA_16discard_iteratorINSA_11use_defaultEEES6_EEENSH_IJSG_SG_EEES6_PlJNSB_9not_fun_tI7is_trueIyEEEEEE10hipError_tPvRmT3_T4_T5_T6_T7_T9_mT8_P12ihipStream_tbDpT10_ENKUlT_T0_E_clISt17integral_constantIbLb0EES1B_EEDaS16_S17_EUlS16_E_NS1_11comp_targetILNS1_3genE8ELNS1_11target_archE1030ELNS1_3gpuE2ELNS1_3repE0EEENS1_30default_config_static_selectorELNS0_4arch9wavefront6targetE0EEEvT1_
	.globl	_ZN7rocprim17ROCPRIM_400000_NS6detail17trampoline_kernelINS0_14default_configENS1_25partition_config_selectorILNS1_17partition_subalgoE6EyNS0_10empty_typeEbEEZZNS1_14partition_implILS5_6ELb0ES3_mN6thrust23THRUST_200600_302600_NS6detail15normal_iteratorINSA_10device_ptrIyEEEEPS6_SG_NS0_5tupleIJNSA_16discard_iteratorINSA_11use_defaultEEES6_EEENSH_IJSG_SG_EEES6_PlJNSB_9not_fun_tI7is_trueIyEEEEEE10hipError_tPvRmT3_T4_T5_T6_T7_T9_mT8_P12ihipStream_tbDpT10_ENKUlT_T0_E_clISt17integral_constantIbLb0EES1B_EEDaS16_S17_EUlS16_E_NS1_11comp_targetILNS1_3genE8ELNS1_11target_archE1030ELNS1_3gpuE2ELNS1_3repE0EEENS1_30default_config_static_selectorELNS0_4arch9wavefront6targetE0EEEvT1_
	.p2align	8
	.type	_ZN7rocprim17ROCPRIM_400000_NS6detail17trampoline_kernelINS0_14default_configENS1_25partition_config_selectorILNS1_17partition_subalgoE6EyNS0_10empty_typeEbEEZZNS1_14partition_implILS5_6ELb0ES3_mN6thrust23THRUST_200600_302600_NS6detail15normal_iteratorINSA_10device_ptrIyEEEEPS6_SG_NS0_5tupleIJNSA_16discard_iteratorINSA_11use_defaultEEES6_EEENSH_IJSG_SG_EEES6_PlJNSB_9not_fun_tI7is_trueIyEEEEEE10hipError_tPvRmT3_T4_T5_T6_T7_T9_mT8_P12ihipStream_tbDpT10_ENKUlT_T0_E_clISt17integral_constantIbLb0EES1B_EEDaS16_S17_EUlS16_E_NS1_11comp_targetILNS1_3genE8ELNS1_11target_archE1030ELNS1_3gpuE2ELNS1_3repE0EEENS1_30default_config_static_selectorELNS0_4arch9wavefront6targetE0EEEvT1_,@function
_ZN7rocprim17ROCPRIM_400000_NS6detail17trampoline_kernelINS0_14default_configENS1_25partition_config_selectorILNS1_17partition_subalgoE6EyNS0_10empty_typeEbEEZZNS1_14partition_implILS5_6ELb0ES3_mN6thrust23THRUST_200600_302600_NS6detail15normal_iteratorINSA_10device_ptrIyEEEEPS6_SG_NS0_5tupleIJNSA_16discard_iteratorINSA_11use_defaultEEES6_EEENSH_IJSG_SG_EEES6_PlJNSB_9not_fun_tI7is_trueIyEEEEEE10hipError_tPvRmT3_T4_T5_T6_T7_T9_mT8_P12ihipStream_tbDpT10_ENKUlT_T0_E_clISt17integral_constantIbLb0EES1B_EEDaS16_S17_EUlS16_E_NS1_11comp_targetILNS1_3genE8ELNS1_11target_archE1030ELNS1_3gpuE2ELNS1_3repE0EEENS1_30default_config_static_selectorELNS0_4arch9wavefront6targetE0EEEvT1_: ; @_ZN7rocprim17ROCPRIM_400000_NS6detail17trampoline_kernelINS0_14default_configENS1_25partition_config_selectorILNS1_17partition_subalgoE6EyNS0_10empty_typeEbEEZZNS1_14partition_implILS5_6ELb0ES3_mN6thrust23THRUST_200600_302600_NS6detail15normal_iteratorINSA_10device_ptrIyEEEEPS6_SG_NS0_5tupleIJNSA_16discard_iteratorINSA_11use_defaultEEES6_EEENSH_IJSG_SG_EEES6_PlJNSB_9not_fun_tI7is_trueIyEEEEEE10hipError_tPvRmT3_T4_T5_T6_T7_T9_mT8_P12ihipStream_tbDpT10_ENKUlT_T0_E_clISt17integral_constantIbLb0EES1B_EEDaS16_S17_EUlS16_E_NS1_11comp_targetILNS1_3genE8ELNS1_11target_archE1030ELNS1_3gpuE2ELNS1_3repE0EEENS1_30default_config_static_selectorELNS0_4arch9wavefront6targetE0EEEvT1_
; %bb.0:
	.section	.rodata,"a",@progbits
	.p2align	6, 0x0
	.amdhsa_kernel _ZN7rocprim17ROCPRIM_400000_NS6detail17trampoline_kernelINS0_14default_configENS1_25partition_config_selectorILNS1_17partition_subalgoE6EyNS0_10empty_typeEbEEZZNS1_14partition_implILS5_6ELb0ES3_mN6thrust23THRUST_200600_302600_NS6detail15normal_iteratorINSA_10device_ptrIyEEEEPS6_SG_NS0_5tupleIJNSA_16discard_iteratorINSA_11use_defaultEEES6_EEENSH_IJSG_SG_EEES6_PlJNSB_9not_fun_tI7is_trueIyEEEEEE10hipError_tPvRmT3_T4_T5_T6_T7_T9_mT8_P12ihipStream_tbDpT10_ENKUlT_T0_E_clISt17integral_constantIbLb0EES1B_EEDaS16_S17_EUlS16_E_NS1_11comp_targetILNS1_3genE8ELNS1_11target_archE1030ELNS1_3gpuE2ELNS1_3repE0EEENS1_30default_config_static_selectorELNS0_4arch9wavefront6targetE0EEEvT1_
		.amdhsa_group_segment_fixed_size 0
		.amdhsa_private_segment_fixed_size 0
		.amdhsa_kernarg_size 120
		.amdhsa_user_sgpr_count 2
		.amdhsa_user_sgpr_dispatch_ptr 0
		.amdhsa_user_sgpr_queue_ptr 0
		.amdhsa_user_sgpr_kernarg_segment_ptr 1
		.amdhsa_user_sgpr_dispatch_id 0
		.amdhsa_user_sgpr_private_segment_size 0
		.amdhsa_wavefront_size32 1
		.amdhsa_uses_dynamic_stack 0
		.amdhsa_enable_private_segment 0
		.amdhsa_system_sgpr_workgroup_id_x 1
		.amdhsa_system_sgpr_workgroup_id_y 0
		.amdhsa_system_sgpr_workgroup_id_z 0
		.amdhsa_system_sgpr_workgroup_info 0
		.amdhsa_system_vgpr_workitem_id 0
		.amdhsa_next_free_vgpr 1
		.amdhsa_next_free_sgpr 1
		.amdhsa_reserve_vcc 0
		.amdhsa_float_round_mode_32 0
		.amdhsa_float_round_mode_16_64 0
		.amdhsa_float_denorm_mode_32 3
		.amdhsa_float_denorm_mode_16_64 3
		.amdhsa_fp16_overflow 0
		.amdhsa_workgroup_processor_mode 1
		.amdhsa_memory_ordered 1
		.amdhsa_forward_progress 1
		.amdhsa_inst_pref_size 0
		.amdhsa_round_robin_scheduling 0
		.amdhsa_exception_fp_ieee_invalid_op 0
		.amdhsa_exception_fp_denorm_src 0
		.amdhsa_exception_fp_ieee_div_zero 0
		.amdhsa_exception_fp_ieee_overflow 0
		.amdhsa_exception_fp_ieee_underflow 0
		.amdhsa_exception_fp_ieee_inexact 0
		.amdhsa_exception_int_div_zero 0
	.end_amdhsa_kernel
	.section	.text._ZN7rocprim17ROCPRIM_400000_NS6detail17trampoline_kernelINS0_14default_configENS1_25partition_config_selectorILNS1_17partition_subalgoE6EyNS0_10empty_typeEbEEZZNS1_14partition_implILS5_6ELb0ES3_mN6thrust23THRUST_200600_302600_NS6detail15normal_iteratorINSA_10device_ptrIyEEEEPS6_SG_NS0_5tupleIJNSA_16discard_iteratorINSA_11use_defaultEEES6_EEENSH_IJSG_SG_EEES6_PlJNSB_9not_fun_tI7is_trueIyEEEEEE10hipError_tPvRmT3_T4_T5_T6_T7_T9_mT8_P12ihipStream_tbDpT10_ENKUlT_T0_E_clISt17integral_constantIbLb0EES1B_EEDaS16_S17_EUlS16_E_NS1_11comp_targetILNS1_3genE8ELNS1_11target_archE1030ELNS1_3gpuE2ELNS1_3repE0EEENS1_30default_config_static_selectorELNS0_4arch9wavefront6targetE0EEEvT1_,"axG",@progbits,_ZN7rocprim17ROCPRIM_400000_NS6detail17trampoline_kernelINS0_14default_configENS1_25partition_config_selectorILNS1_17partition_subalgoE6EyNS0_10empty_typeEbEEZZNS1_14partition_implILS5_6ELb0ES3_mN6thrust23THRUST_200600_302600_NS6detail15normal_iteratorINSA_10device_ptrIyEEEEPS6_SG_NS0_5tupleIJNSA_16discard_iteratorINSA_11use_defaultEEES6_EEENSH_IJSG_SG_EEES6_PlJNSB_9not_fun_tI7is_trueIyEEEEEE10hipError_tPvRmT3_T4_T5_T6_T7_T9_mT8_P12ihipStream_tbDpT10_ENKUlT_T0_E_clISt17integral_constantIbLb0EES1B_EEDaS16_S17_EUlS16_E_NS1_11comp_targetILNS1_3genE8ELNS1_11target_archE1030ELNS1_3gpuE2ELNS1_3repE0EEENS1_30default_config_static_selectorELNS0_4arch9wavefront6targetE0EEEvT1_,comdat
.Lfunc_end2148:
	.size	_ZN7rocprim17ROCPRIM_400000_NS6detail17trampoline_kernelINS0_14default_configENS1_25partition_config_selectorILNS1_17partition_subalgoE6EyNS0_10empty_typeEbEEZZNS1_14partition_implILS5_6ELb0ES3_mN6thrust23THRUST_200600_302600_NS6detail15normal_iteratorINSA_10device_ptrIyEEEEPS6_SG_NS0_5tupleIJNSA_16discard_iteratorINSA_11use_defaultEEES6_EEENSH_IJSG_SG_EEES6_PlJNSB_9not_fun_tI7is_trueIyEEEEEE10hipError_tPvRmT3_T4_T5_T6_T7_T9_mT8_P12ihipStream_tbDpT10_ENKUlT_T0_E_clISt17integral_constantIbLb0EES1B_EEDaS16_S17_EUlS16_E_NS1_11comp_targetILNS1_3genE8ELNS1_11target_archE1030ELNS1_3gpuE2ELNS1_3repE0EEENS1_30default_config_static_selectorELNS0_4arch9wavefront6targetE0EEEvT1_, .Lfunc_end2148-_ZN7rocprim17ROCPRIM_400000_NS6detail17trampoline_kernelINS0_14default_configENS1_25partition_config_selectorILNS1_17partition_subalgoE6EyNS0_10empty_typeEbEEZZNS1_14partition_implILS5_6ELb0ES3_mN6thrust23THRUST_200600_302600_NS6detail15normal_iteratorINSA_10device_ptrIyEEEEPS6_SG_NS0_5tupleIJNSA_16discard_iteratorINSA_11use_defaultEEES6_EEENSH_IJSG_SG_EEES6_PlJNSB_9not_fun_tI7is_trueIyEEEEEE10hipError_tPvRmT3_T4_T5_T6_T7_T9_mT8_P12ihipStream_tbDpT10_ENKUlT_T0_E_clISt17integral_constantIbLb0EES1B_EEDaS16_S17_EUlS16_E_NS1_11comp_targetILNS1_3genE8ELNS1_11target_archE1030ELNS1_3gpuE2ELNS1_3repE0EEENS1_30default_config_static_selectorELNS0_4arch9wavefront6targetE0EEEvT1_
                                        ; -- End function
	.set _ZN7rocprim17ROCPRIM_400000_NS6detail17trampoline_kernelINS0_14default_configENS1_25partition_config_selectorILNS1_17partition_subalgoE6EyNS0_10empty_typeEbEEZZNS1_14partition_implILS5_6ELb0ES3_mN6thrust23THRUST_200600_302600_NS6detail15normal_iteratorINSA_10device_ptrIyEEEEPS6_SG_NS0_5tupleIJNSA_16discard_iteratorINSA_11use_defaultEEES6_EEENSH_IJSG_SG_EEES6_PlJNSB_9not_fun_tI7is_trueIyEEEEEE10hipError_tPvRmT3_T4_T5_T6_T7_T9_mT8_P12ihipStream_tbDpT10_ENKUlT_T0_E_clISt17integral_constantIbLb0EES1B_EEDaS16_S17_EUlS16_E_NS1_11comp_targetILNS1_3genE8ELNS1_11target_archE1030ELNS1_3gpuE2ELNS1_3repE0EEENS1_30default_config_static_selectorELNS0_4arch9wavefront6targetE0EEEvT1_.num_vgpr, 0
	.set _ZN7rocprim17ROCPRIM_400000_NS6detail17trampoline_kernelINS0_14default_configENS1_25partition_config_selectorILNS1_17partition_subalgoE6EyNS0_10empty_typeEbEEZZNS1_14partition_implILS5_6ELb0ES3_mN6thrust23THRUST_200600_302600_NS6detail15normal_iteratorINSA_10device_ptrIyEEEEPS6_SG_NS0_5tupleIJNSA_16discard_iteratorINSA_11use_defaultEEES6_EEENSH_IJSG_SG_EEES6_PlJNSB_9not_fun_tI7is_trueIyEEEEEE10hipError_tPvRmT3_T4_T5_T6_T7_T9_mT8_P12ihipStream_tbDpT10_ENKUlT_T0_E_clISt17integral_constantIbLb0EES1B_EEDaS16_S17_EUlS16_E_NS1_11comp_targetILNS1_3genE8ELNS1_11target_archE1030ELNS1_3gpuE2ELNS1_3repE0EEENS1_30default_config_static_selectorELNS0_4arch9wavefront6targetE0EEEvT1_.num_agpr, 0
	.set _ZN7rocprim17ROCPRIM_400000_NS6detail17trampoline_kernelINS0_14default_configENS1_25partition_config_selectorILNS1_17partition_subalgoE6EyNS0_10empty_typeEbEEZZNS1_14partition_implILS5_6ELb0ES3_mN6thrust23THRUST_200600_302600_NS6detail15normal_iteratorINSA_10device_ptrIyEEEEPS6_SG_NS0_5tupleIJNSA_16discard_iteratorINSA_11use_defaultEEES6_EEENSH_IJSG_SG_EEES6_PlJNSB_9not_fun_tI7is_trueIyEEEEEE10hipError_tPvRmT3_T4_T5_T6_T7_T9_mT8_P12ihipStream_tbDpT10_ENKUlT_T0_E_clISt17integral_constantIbLb0EES1B_EEDaS16_S17_EUlS16_E_NS1_11comp_targetILNS1_3genE8ELNS1_11target_archE1030ELNS1_3gpuE2ELNS1_3repE0EEENS1_30default_config_static_selectorELNS0_4arch9wavefront6targetE0EEEvT1_.numbered_sgpr, 0
	.set _ZN7rocprim17ROCPRIM_400000_NS6detail17trampoline_kernelINS0_14default_configENS1_25partition_config_selectorILNS1_17partition_subalgoE6EyNS0_10empty_typeEbEEZZNS1_14partition_implILS5_6ELb0ES3_mN6thrust23THRUST_200600_302600_NS6detail15normal_iteratorINSA_10device_ptrIyEEEEPS6_SG_NS0_5tupleIJNSA_16discard_iteratorINSA_11use_defaultEEES6_EEENSH_IJSG_SG_EEES6_PlJNSB_9not_fun_tI7is_trueIyEEEEEE10hipError_tPvRmT3_T4_T5_T6_T7_T9_mT8_P12ihipStream_tbDpT10_ENKUlT_T0_E_clISt17integral_constantIbLb0EES1B_EEDaS16_S17_EUlS16_E_NS1_11comp_targetILNS1_3genE8ELNS1_11target_archE1030ELNS1_3gpuE2ELNS1_3repE0EEENS1_30default_config_static_selectorELNS0_4arch9wavefront6targetE0EEEvT1_.num_named_barrier, 0
	.set _ZN7rocprim17ROCPRIM_400000_NS6detail17trampoline_kernelINS0_14default_configENS1_25partition_config_selectorILNS1_17partition_subalgoE6EyNS0_10empty_typeEbEEZZNS1_14partition_implILS5_6ELb0ES3_mN6thrust23THRUST_200600_302600_NS6detail15normal_iteratorINSA_10device_ptrIyEEEEPS6_SG_NS0_5tupleIJNSA_16discard_iteratorINSA_11use_defaultEEES6_EEENSH_IJSG_SG_EEES6_PlJNSB_9not_fun_tI7is_trueIyEEEEEE10hipError_tPvRmT3_T4_T5_T6_T7_T9_mT8_P12ihipStream_tbDpT10_ENKUlT_T0_E_clISt17integral_constantIbLb0EES1B_EEDaS16_S17_EUlS16_E_NS1_11comp_targetILNS1_3genE8ELNS1_11target_archE1030ELNS1_3gpuE2ELNS1_3repE0EEENS1_30default_config_static_selectorELNS0_4arch9wavefront6targetE0EEEvT1_.private_seg_size, 0
	.set _ZN7rocprim17ROCPRIM_400000_NS6detail17trampoline_kernelINS0_14default_configENS1_25partition_config_selectorILNS1_17partition_subalgoE6EyNS0_10empty_typeEbEEZZNS1_14partition_implILS5_6ELb0ES3_mN6thrust23THRUST_200600_302600_NS6detail15normal_iteratorINSA_10device_ptrIyEEEEPS6_SG_NS0_5tupleIJNSA_16discard_iteratorINSA_11use_defaultEEES6_EEENSH_IJSG_SG_EEES6_PlJNSB_9not_fun_tI7is_trueIyEEEEEE10hipError_tPvRmT3_T4_T5_T6_T7_T9_mT8_P12ihipStream_tbDpT10_ENKUlT_T0_E_clISt17integral_constantIbLb0EES1B_EEDaS16_S17_EUlS16_E_NS1_11comp_targetILNS1_3genE8ELNS1_11target_archE1030ELNS1_3gpuE2ELNS1_3repE0EEENS1_30default_config_static_selectorELNS0_4arch9wavefront6targetE0EEEvT1_.uses_vcc, 0
	.set _ZN7rocprim17ROCPRIM_400000_NS6detail17trampoline_kernelINS0_14default_configENS1_25partition_config_selectorILNS1_17partition_subalgoE6EyNS0_10empty_typeEbEEZZNS1_14partition_implILS5_6ELb0ES3_mN6thrust23THRUST_200600_302600_NS6detail15normal_iteratorINSA_10device_ptrIyEEEEPS6_SG_NS0_5tupleIJNSA_16discard_iteratorINSA_11use_defaultEEES6_EEENSH_IJSG_SG_EEES6_PlJNSB_9not_fun_tI7is_trueIyEEEEEE10hipError_tPvRmT3_T4_T5_T6_T7_T9_mT8_P12ihipStream_tbDpT10_ENKUlT_T0_E_clISt17integral_constantIbLb0EES1B_EEDaS16_S17_EUlS16_E_NS1_11comp_targetILNS1_3genE8ELNS1_11target_archE1030ELNS1_3gpuE2ELNS1_3repE0EEENS1_30default_config_static_selectorELNS0_4arch9wavefront6targetE0EEEvT1_.uses_flat_scratch, 0
	.set _ZN7rocprim17ROCPRIM_400000_NS6detail17trampoline_kernelINS0_14default_configENS1_25partition_config_selectorILNS1_17partition_subalgoE6EyNS0_10empty_typeEbEEZZNS1_14partition_implILS5_6ELb0ES3_mN6thrust23THRUST_200600_302600_NS6detail15normal_iteratorINSA_10device_ptrIyEEEEPS6_SG_NS0_5tupleIJNSA_16discard_iteratorINSA_11use_defaultEEES6_EEENSH_IJSG_SG_EEES6_PlJNSB_9not_fun_tI7is_trueIyEEEEEE10hipError_tPvRmT3_T4_T5_T6_T7_T9_mT8_P12ihipStream_tbDpT10_ENKUlT_T0_E_clISt17integral_constantIbLb0EES1B_EEDaS16_S17_EUlS16_E_NS1_11comp_targetILNS1_3genE8ELNS1_11target_archE1030ELNS1_3gpuE2ELNS1_3repE0EEENS1_30default_config_static_selectorELNS0_4arch9wavefront6targetE0EEEvT1_.has_dyn_sized_stack, 0
	.set _ZN7rocprim17ROCPRIM_400000_NS6detail17trampoline_kernelINS0_14default_configENS1_25partition_config_selectorILNS1_17partition_subalgoE6EyNS0_10empty_typeEbEEZZNS1_14partition_implILS5_6ELb0ES3_mN6thrust23THRUST_200600_302600_NS6detail15normal_iteratorINSA_10device_ptrIyEEEEPS6_SG_NS0_5tupleIJNSA_16discard_iteratorINSA_11use_defaultEEES6_EEENSH_IJSG_SG_EEES6_PlJNSB_9not_fun_tI7is_trueIyEEEEEE10hipError_tPvRmT3_T4_T5_T6_T7_T9_mT8_P12ihipStream_tbDpT10_ENKUlT_T0_E_clISt17integral_constantIbLb0EES1B_EEDaS16_S17_EUlS16_E_NS1_11comp_targetILNS1_3genE8ELNS1_11target_archE1030ELNS1_3gpuE2ELNS1_3repE0EEENS1_30default_config_static_selectorELNS0_4arch9wavefront6targetE0EEEvT1_.has_recursion, 0
	.set _ZN7rocprim17ROCPRIM_400000_NS6detail17trampoline_kernelINS0_14default_configENS1_25partition_config_selectorILNS1_17partition_subalgoE6EyNS0_10empty_typeEbEEZZNS1_14partition_implILS5_6ELb0ES3_mN6thrust23THRUST_200600_302600_NS6detail15normal_iteratorINSA_10device_ptrIyEEEEPS6_SG_NS0_5tupleIJNSA_16discard_iteratorINSA_11use_defaultEEES6_EEENSH_IJSG_SG_EEES6_PlJNSB_9not_fun_tI7is_trueIyEEEEEE10hipError_tPvRmT3_T4_T5_T6_T7_T9_mT8_P12ihipStream_tbDpT10_ENKUlT_T0_E_clISt17integral_constantIbLb0EES1B_EEDaS16_S17_EUlS16_E_NS1_11comp_targetILNS1_3genE8ELNS1_11target_archE1030ELNS1_3gpuE2ELNS1_3repE0EEENS1_30default_config_static_selectorELNS0_4arch9wavefront6targetE0EEEvT1_.has_indirect_call, 0
	.section	.AMDGPU.csdata,"",@progbits
; Kernel info:
; codeLenInByte = 0
; TotalNumSgprs: 0
; NumVgprs: 0
; ScratchSize: 0
; MemoryBound: 0
; FloatMode: 240
; IeeeMode: 1
; LDSByteSize: 0 bytes/workgroup (compile time only)
; SGPRBlocks: 0
; VGPRBlocks: 0
; NumSGPRsForWavesPerEU: 1
; NumVGPRsForWavesPerEU: 1
; Occupancy: 16
; WaveLimiterHint : 0
; COMPUTE_PGM_RSRC2:SCRATCH_EN: 0
; COMPUTE_PGM_RSRC2:USER_SGPR: 2
; COMPUTE_PGM_RSRC2:TRAP_HANDLER: 0
; COMPUTE_PGM_RSRC2:TGID_X_EN: 1
; COMPUTE_PGM_RSRC2:TGID_Y_EN: 0
; COMPUTE_PGM_RSRC2:TGID_Z_EN: 0
; COMPUTE_PGM_RSRC2:TIDIG_COMP_CNT: 0
	.section	.text._ZN7rocprim17ROCPRIM_400000_NS6detail17trampoline_kernelINS0_14default_configENS1_25partition_config_selectorILNS1_17partition_subalgoE6EyNS0_10empty_typeEbEEZZNS1_14partition_implILS5_6ELb0ES3_mN6thrust23THRUST_200600_302600_NS6detail15normal_iteratorINSA_10device_ptrIyEEEEPS6_SG_NS0_5tupleIJNSA_16discard_iteratorINSA_11use_defaultEEES6_EEENSH_IJSG_SG_EEES6_PlJNSB_9not_fun_tI7is_trueIyEEEEEE10hipError_tPvRmT3_T4_T5_T6_T7_T9_mT8_P12ihipStream_tbDpT10_ENKUlT_T0_E_clISt17integral_constantIbLb1EES1B_EEDaS16_S17_EUlS16_E_NS1_11comp_targetILNS1_3genE0ELNS1_11target_archE4294967295ELNS1_3gpuE0ELNS1_3repE0EEENS1_30default_config_static_selectorELNS0_4arch9wavefront6targetE0EEEvT1_,"axG",@progbits,_ZN7rocprim17ROCPRIM_400000_NS6detail17trampoline_kernelINS0_14default_configENS1_25partition_config_selectorILNS1_17partition_subalgoE6EyNS0_10empty_typeEbEEZZNS1_14partition_implILS5_6ELb0ES3_mN6thrust23THRUST_200600_302600_NS6detail15normal_iteratorINSA_10device_ptrIyEEEEPS6_SG_NS0_5tupleIJNSA_16discard_iteratorINSA_11use_defaultEEES6_EEENSH_IJSG_SG_EEES6_PlJNSB_9not_fun_tI7is_trueIyEEEEEE10hipError_tPvRmT3_T4_T5_T6_T7_T9_mT8_P12ihipStream_tbDpT10_ENKUlT_T0_E_clISt17integral_constantIbLb1EES1B_EEDaS16_S17_EUlS16_E_NS1_11comp_targetILNS1_3genE0ELNS1_11target_archE4294967295ELNS1_3gpuE0ELNS1_3repE0EEENS1_30default_config_static_selectorELNS0_4arch9wavefront6targetE0EEEvT1_,comdat
	.protected	_ZN7rocprim17ROCPRIM_400000_NS6detail17trampoline_kernelINS0_14default_configENS1_25partition_config_selectorILNS1_17partition_subalgoE6EyNS0_10empty_typeEbEEZZNS1_14partition_implILS5_6ELb0ES3_mN6thrust23THRUST_200600_302600_NS6detail15normal_iteratorINSA_10device_ptrIyEEEEPS6_SG_NS0_5tupleIJNSA_16discard_iteratorINSA_11use_defaultEEES6_EEENSH_IJSG_SG_EEES6_PlJNSB_9not_fun_tI7is_trueIyEEEEEE10hipError_tPvRmT3_T4_T5_T6_T7_T9_mT8_P12ihipStream_tbDpT10_ENKUlT_T0_E_clISt17integral_constantIbLb1EES1B_EEDaS16_S17_EUlS16_E_NS1_11comp_targetILNS1_3genE0ELNS1_11target_archE4294967295ELNS1_3gpuE0ELNS1_3repE0EEENS1_30default_config_static_selectorELNS0_4arch9wavefront6targetE0EEEvT1_ ; -- Begin function _ZN7rocprim17ROCPRIM_400000_NS6detail17trampoline_kernelINS0_14default_configENS1_25partition_config_selectorILNS1_17partition_subalgoE6EyNS0_10empty_typeEbEEZZNS1_14partition_implILS5_6ELb0ES3_mN6thrust23THRUST_200600_302600_NS6detail15normal_iteratorINSA_10device_ptrIyEEEEPS6_SG_NS0_5tupleIJNSA_16discard_iteratorINSA_11use_defaultEEES6_EEENSH_IJSG_SG_EEES6_PlJNSB_9not_fun_tI7is_trueIyEEEEEE10hipError_tPvRmT3_T4_T5_T6_T7_T9_mT8_P12ihipStream_tbDpT10_ENKUlT_T0_E_clISt17integral_constantIbLb1EES1B_EEDaS16_S17_EUlS16_E_NS1_11comp_targetILNS1_3genE0ELNS1_11target_archE4294967295ELNS1_3gpuE0ELNS1_3repE0EEENS1_30default_config_static_selectorELNS0_4arch9wavefront6targetE0EEEvT1_
	.globl	_ZN7rocprim17ROCPRIM_400000_NS6detail17trampoline_kernelINS0_14default_configENS1_25partition_config_selectorILNS1_17partition_subalgoE6EyNS0_10empty_typeEbEEZZNS1_14partition_implILS5_6ELb0ES3_mN6thrust23THRUST_200600_302600_NS6detail15normal_iteratorINSA_10device_ptrIyEEEEPS6_SG_NS0_5tupleIJNSA_16discard_iteratorINSA_11use_defaultEEES6_EEENSH_IJSG_SG_EEES6_PlJNSB_9not_fun_tI7is_trueIyEEEEEE10hipError_tPvRmT3_T4_T5_T6_T7_T9_mT8_P12ihipStream_tbDpT10_ENKUlT_T0_E_clISt17integral_constantIbLb1EES1B_EEDaS16_S17_EUlS16_E_NS1_11comp_targetILNS1_3genE0ELNS1_11target_archE4294967295ELNS1_3gpuE0ELNS1_3repE0EEENS1_30default_config_static_selectorELNS0_4arch9wavefront6targetE0EEEvT1_
	.p2align	8
	.type	_ZN7rocprim17ROCPRIM_400000_NS6detail17trampoline_kernelINS0_14default_configENS1_25partition_config_selectorILNS1_17partition_subalgoE6EyNS0_10empty_typeEbEEZZNS1_14partition_implILS5_6ELb0ES3_mN6thrust23THRUST_200600_302600_NS6detail15normal_iteratorINSA_10device_ptrIyEEEEPS6_SG_NS0_5tupleIJNSA_16discard_iteratorINSA_11use_defaultEEES6_EEENSH_IJSG_SG_EEES6_PlJNSB_9not_fun_tI7is_trueIyEEEEEE10hipError_tPvRmT3_T4_T5_T6_T7_T9_mT8_P12ihipStream_tbDpT10_ENKUlT_T0_E_clISt17integral_constantIbLb1EES1B_EEDaS16_S17_EUlS16_E_NS1_11comp_targetILNS1_3genE0ELNS1_11target_archE4294967295ELNS1_3gpuE0ELNS1_3repE0EEENS1_30default_config_static_selectorELNS0_4arch9wavefront6targetE0EEEvT1_,@function
_ZN7rocprim17ROCPRIM_400000_NS6detail17trampoline_kernelINS0_14default_configENS1_25partition_config_selectorILNS1_17partition_subalgoE6EyNS0_10empty_typeEbEEZZNS1_14partition_implILS5_6ELb0ES3_mN6thrust23THRUST_200600_302600_NS6detail15normal_iteratorINSA_10device_ptrIyEEEEPS6_SG_NS0_5tupleIJNSA_16discard_iteratorINSA_11use_defaultEEES6_EEENSH_IJSG_SG_EEES6_PlJNSB_9not_fun_tI7is_trueIyEEEEEE10hipError_tPvRmT3_T4_T5_T6_T7_T9_mT8_P12ihipStream_tbDpT10_ENKUlT_T0_E_clISt17integral_constantIbLb1EES1B_EEDaS16_S17_EUlS16_E_NS1_11comp_targetILNS1_3genE0ELNS1_11target_archE4294967295ELNS1_3gpuE0ELNS1_3repE0EEENS1_30default_config_static_selectorELNS0_4arch9wavefront6targetE0EEEvT1_: ; @_ZN7rocprim17ROCPRIM_400000_NS6detail17trampoline_kernelINS0_14default_configENS1_25partition_config_selectorILNS1_17partition_subalgoE6EyNS0_10empty_typeEbEEZZNS1_14partition_implILS5_6ELb0ES3_mN6thrust23THRUST_200600_302600_NS6detail15normal_iteratorINSA_10device_ptrIyEEEEPS6_SG_NS0_5tupleIJNSA_16discard_iteratorINSA_11use_defaultEEES6_EEENSH_IJSG_SG_EEES6_PlJNSB_9not_fun_tI7is_trueIyEEEEEE10hipError_tPvRmT3_T4_T5_T6_T7_T9_mT8_P12ihipStream_tbDpT10_ENKUlT_T0_E_clISt17integral_constantIbLb1EES1B_EEDaS16_S17_EUlS16_E_NS1_11comp_targetILNS1_3genE0ELNS1_11target_archE4294967295ELNS1_3gpuE0ELNS1_3repE0EEENS1_30default_config_static_selectorELNS0_4arch9wavefront6targetE0EEEvT1_
; %bb.0:
	.section	.rodata,"a",@progbits
	.p2align	6, 0x0
	.amdhsa_kernel _ZN7rocprim17ROCPRIM_400000_NS6detail17trampoline_kernelINS0_14default_configENS1_25partition_config_selectorILNS1_17partition_subalgoE6EyNS0_10empty_typeEbEEZZNS1_14partition_implILS5_6ELb0ES3_mN6thrust23THRUST_200600_302600_NS6detail15normal_iteratorINSA_10device_ptrIyEEEEPS6_SG_NS0_5tupleIJNSA_16discard_iteratorINSA_11use_defaultEEES6_EEENSH_IJSG_SG_EEES6_PlJNSB_9not_fun_tI7is_trueIyEEEEEE10hipError_tPvRmT3_T4_T5_T6_T7_T9_mT8_P12ihipStream_tbDpT10_ENKUlT_T0_E_clISt17integral_constantIbLb1EES1B_EEDaS16_S17_EUlS16_E_NS1_11comp_targetILNS1_3genE0ELNS1_11target_archE4294967295ELNS1_3gpuE0ELNS1_3repE0EEENS1_30default_config_static_selectorELNS0_4arch9wavefront6targetE0EEEvT1_
		.amdhsa_group_segment_fixed_size 0
		.amdhsa_private_segment_fixed_size 0
		.amdhsa_kernarg_size 136
		.amdhsa_user_sgpr_count 2
		.amdhsa_user_sgpr_dispatch_ptr 0
		.amdhsa_user_sgpr_queue_ptr 0
		.amdhsa_user_sgpr_kernarg_segment_ptr 1
		.amdhsa_user_sgpr_dispatch_id 0
		.amdhsa_user_sgpr_private_segment_size 0
		.amdhsa_wavefront_size32 1
		.amdhsa_uses_dynamic_stack 0
		.amdhsa_enable_private_segment 0
		.amdhsa_system_sgpr_workgroup_id_x 1
		.amdhsa_system_sgpr_workgroup_id_y 0
		.amdhsa_system_sgpr_workgroup_id_z 0
		.amdhsa_system_sgpr_workgroup_info 0
		.amdhsa_system_vgpr_workitem_id 0
		.amdhsa_next_free_vgpr 1
		.amdhsa_next_free_sgpr 1
		.amdhsa_reserve_vcc 0
		.amdhsa_float_round_mode_32 0
		.amdhsa_float_round_mode_16_64 0
		.amdhsa_float_denorm_mode_32 3
		.amdhsa_float_denorm_mode_16_64 3
		.amdhsa_fp16_overflow 0
		.amdhsa_workgroup_processor_mode 1
		.amdhsa_memory_ordered 1
		.amdhsa_forward_progress 1
		.amdhsa_inst_pref_size 0
		.amdhsa_round_robin_scheduling 0
		.amdhsa_exception_fp_ieee_invalid_op 0
		.amdhsa_exception_fp_denorm_src 0
		.amdhsa_exception_fp_ieee_div_zero 0
		.amdhsa_exception_fp_ieee_overflow 0
		.amdhsa_exception_fp_ieee_underflow 0
		.amdhsa_exception_fp_ieee_inexact 0
		.amdhsa_exception_int_div_zero 0
	.end_amdhsa_kernel
	.section	.text._ZN7rocprim17ROCPRIM_400000_NS6detail17trampoline_kernelINS0_14default_configENS1_25partition_config_selectorILNS1_17partition_subalgoE6EyNS0_10empty_typeEbEEZZNS1_14partition_implILS5_6ELb0ES3_mN6thrust23THRUST_200600_302600_NS6detail15normal_iteratorINSA_10device_ptrIyEEEEPS6_SG_NS0_5tupleIJNSA_16discard_iteratorINSA_11use_defaultEEES6_EEENSH_IJSG_SG_EEES6_PlJNSB_9not_fun_tI7is_trueIyEEEEEE10hipError_tPvRmT3_T4_T5_T6_T7_T9_mT8_P12ihipStream_tbDpT10_ENKUlT_T0_E_clISt17integral_constantIbLb1EES1B_EEDaS16_S17_EUlS16_E_NS1_11comp_targetILNS1_3genE0ELNS1_11target_archE4294967295ELNS1_3gpuE0ELNS1_3repE0EEENS1_30default_config_static_selectorELNS0_4arch9wavefront6targetE0EEEvT1_,"axG",@progbits,_ZN7rocprim17ROCPRIM_400000_NS6detail17trampoline_kernelINS0_14default_configENS1_25partition_config_selectorILNS1_17partition_subalgoE6EyNS0_10empty_typeEbEEZZNS1_14partition_implILS5_6ELb0ES3_mN6thrust23THRUST_200600_302600_NS6detail15normal_iteratorINSA_10device_ptrIyEEEEPS6_SG_NS0_5tupleIJNSA_16discard_iteratorINSA_11use_defaultEEES6_EEENSH_IJSG_SG_EEES6_PlJNSB_9not_fun_tI7is_trueIyEEEEEE10hipError_tPvRmT3_T4_T5_T6_T7_T9_mT8_P12ihipStream_tbDpT10_ENKUlT_T0_E_clISt17integral_constantIbLb1EES1B_EEDaS16_S17_EUlS16_E_NS1_11comp_targetILNS1_3genE0ELNS1_11target_archE4294967295ELNS1_3gpuE0ELNS1_3repE0EEENS1_30default_config_static_selectorELNS0_4arch9wavefront6targetE0EEEvT1_,comdat
.Lfunc_end2149:
	.size	_ZN7rocprim17ROCPRIM_400000_NS6detail17trampoline_kernelINS0_14default_configENS1_25partition_config_selectorILNS1_17partition_subalgoE6EyNS0_10empty_typeEbEEZZNS1_14partition_implILS5_6ELb0ES3_mN6thrust23THRUST_200600_302600_NS6detail15normal_iteratorINSA_10device_ptrIyEEEEPS6_SG_NS0_5tupleIJNSA_16discard_iteratorINSA_11use_defaultEEES6_EEENSH_IJSG_SG_EEES6_PlJNSB_9not_fun_tI7is_trueIyEEEEEE10hipError_tPvRmT3_T4_T5_T6_T7_T9_mT8_P12ihipStream_tbDpT10_ENKUlT_T0_E_clISt17integral_constantIbLb1EES1B_EEDaS16_S17_EUlS16_E_NS1_11comp_targetILNS1_3genE0ELNS1_11target_archE4294967295ELNS1_3gpuE0ELNS1_3repE0EEENS1_30default_config_static_selectorELNS0_4arch9wavefront6targetE0EEEvT1_, .Lfunc_end2149-_ZN7rocprim17ROCPRIM_400000_NS6detail17trampoline_kernelINS0_14default_configENS1_25partition_config_selectorILNS1_17partition_subalgoE6EyNS0_10empty_typeEbEEZZNS1_14partition_implILS5_6ELb0ES3_mN6thrust23THRUST_200600_302600_NS6detail15normal_iteratorINSA_10device_ptrIyEEEEPS6_SG_NS0_5tupleIJNSA_16discard_iteratorINSA_11use_defaultEEES6_EEENSH_IJSG_SG_EEES6_PlJNSB_9not_fun_tI7is_trueIyEEEEEE10hipError_tPvRmT3_T4_T5_T6_T7_T9_mT8_P12ihipStream_tbDpT10_ENKUlT_T0_E_clISt17integral_constantIbLb1EES1B_EEDaS16_S17_EUlS16_E_NS1_11comp_targetILNS1_3genE0ELNS1_11target_archE4294967295ELNS1_3gpuE0ELNS1_3repE0EEENS1_30default_config_static_selectorELNS0_4arch9wavefront6targetE0EEEvT1_
                                        ; -- End function
	.set _ZN7rocprim17ROCPRIM_400000_NS6detail17trampoline_kernelINS0_14default_configENS1_25partition_config_selectorILNS1_17partition_subalgoE6EyNS0_10empty_typeEbEEZZNS1_14partition_implILS5_6ELb0ES3_mN6thrust23THRUST_200600_302600_NS6detail15normal_iteratorINSA_10device_ptrIyEEEEPS6_SG_NS0_5tupleIJNSA_16discard_iteratorINSA_11use_defaultEEES6_EEENSH_IJSG_SG_EEES6_PlJNSB_9not_fun_tI7is_trueIyEEEEEE10hipError_tPvRmT3_T4_T5_T6_T7_T9_mT8_P12ihipStream_tbDpT10_ENKUlT_T0_E_clISt17integral_constantIbLb1EES1B_EEDaS16_S17_EUlS16_E_NS1_11comp_targetILNS1_3genE0ELNS1_11target_archE4294967295ELNS1_3gpuE0ELNS1_3repE0EEENS1_30default_config_static_selectorELNS0_4arch9wavefront6targetE0EEEvT1_.num_vgpr, 0
	.set _ZN7rocprim17ROCPRIM_400000_NS6detail17trampoline_kernelINS0_14default_configENS1_25partition_config_selectorILNS1_17partition_subalgoE6EyNS0_10empty_typeEbEEZZNS1_14partition_implILS5_6ELb0ES3_mN6thrust23THRUST_200600_302600_NS6detail15normal_iteratorINSA_10device_ptrIyEEEEPS6_SG_NS0_5tupleIJNSA_16discard_iteratorINSA_11use_defaultEEES6_EEENSH_IJSG_SG_EEES6_PlJNSB_9not_fun_tI7is_trueIyEEEEEE10hipError_tPvRmT3_T4_T5_T6_T7_T9_mT8_P12ihipStream_tbDpT10_ENKUlT_T0_E_clISt17integral_constantIbLb1EES1B_EEDaS16_S17_EUlS16_E_NS1_11comp_targetILNS1_3genE0ELNS1_11target_archE4294967295ELNS1_3gpuE0ELNS1_3repE0EEENS1_30default_config_static_selectorELNS0_4arch9wavefront6targetE0EEEvT1_.num_agpr, 0
	.set _ZN7rocprim17ROCPRIM_400000_NS6detail17trampoline_kernelINS0_14default_configENS1_25partition_config_selectorILNS1_17partition_subalgoE6EyNS0_10empty_typeEbEEZZNS1_14partition_implILS5_6ELb0ES3_mN6thrust23THRUST_200600_302600_NS6detail15normal_iteratorINSA_10device_ptrIyEEEEPS6_SG_NS0_5tupleIJNSA_16discard_iteratorINSA_11use_defaultEEES6_EEENSH_IJSG_SG_EEES6_PlJNSB_9not_fun_tI7is_trueIyEEEEEE10hipError_tPvRmT3_T4_T5_T6_T7_T9_mT8_P12ihipStream_tbDpT10_ENKUlT_T0_E_clISt17integral_constantIbLb1EES1B_EEDaS16_S17_EUlS16_E_NS1_11comp_targetILNS1_3genE0ELNS1_11target_archE4294967295ELNS1_3gpuE0ELNS1_3repE0EEENS1_30default_config_static_selectorELNS0_4arch9wavefront6targetE0EEEvT1_.numbered_sgpr, 0
	.set _ZN7rocprim17ROCPRIM_400000_NS6detail17trampoline_kernelINS0_14default_configENS1_25partition_config_selectorILNS1_17partition_subalgoE6EyNS0_10empty_typeEbEEZZNS1_14partition_implILS5_6ELb0ES3_mN6thrust23THRUST_200600_302600_NS6detail15normal_iteratorINSA_10device_ptrIyEEEEPS6_SG_NS0_5tupleIJNSA_16discard_iteratorINSA_11use_defaultEEES6_EEENSH_IJSG_SG_EEES6_PlJNSB_9not_fun_tI7is_trueIyEEEEEE10hipError_tPvRmT3_T4_T5_T6_T7_T9_mT8_P12ihipStream_tbDpT10_ENKUlT_T0_E_clISt17integral_constantIbLb1EES1B_EEDaS16_S17_EUlS16_E_NS1_11comp_targetILNS1_3genE0ELNS1_11target_archE4294967295ELNS1_3gpuE0ELNS1_3repE0EEENS1_30default_config_static_selectorELNS0_4arch9wavefront6targetE0EEEvT1_.num_named_barrier, 0
	.set _ZN7rocprim17ROCPRIM_400000_NS6detail17trampoline_kernelINS0_14default_configENS1_25partition_config_selectorILNS1_17partition_subalgoE6EyNS0_10empty_typeEbEEZZNS1_14partition_implILS5_6ELb0ES3_mN6thrust23THRUST_200600_302600_NS6detail15normal_iteratorINSA_10device_ptrIyEEEEPS6_SG_NS0_5tupleIJNSA_16discard_iteratorINSA_11use_defaultEEES6_EEENSH_IJSG_SG_EEES6_PlJNSB_9not_fun_tI7is_trueIyEEEEEE10hipError_tPvRmT3_T4_T5_T6_T7_T9_mT8_P12ihipStream_tbDpT10_ENKUlT_T0_E_clISt17integral_constantIbLb1EES1B_EEDaS16_S17_EUlS16_E_NS1_11comp_targetILNS1_3genE0ELNS1_11target_archE4294967295ELNS1_3gpuE0ELNS1_3repE0EEENS1_30default_config_static_selectorELNS0_4arch9wavefront6targetE0EEEvT1_.private_seg_size, 0
	.set _ZN7rocprim17ROCPRIM_400000_NS6detail17trampoline_kernelINS0_14default_configENS1_25partition_config_selectorILNS1_17partition_subalgoE6EyNS0_10empty_typeEbEEZZNS1_14partition_implILS5_6ELb0ES3_mN6thrust23THRUST_200600_302600_NS6detail15normal_iteratorINSA_10device_ptrIyEEEEPS6_SG_NS0_5tupleIJNSA_16discard_iteratorINSA_11use_defaultEEES6_EEENSH_IJSG_SG_EEES6_PlJNSB_9not_fun_tI7is_trueIyEEEEEE10hipError_tPvRmT3_T4_T5_T6_T7_T9_mT8_P12ihipStream_tbDpT10_ENKUlT_T0_E_clISt17integral_constantIbLb1EES1B_EEDaS16_S17_EUlS16_E_NS1_11comp_targetILNS1_3genE0ELNS1_11target_archE4294967295ELNS1_3gpuE0ELNS1_3repE0EEENS1_30default_config_static_selectorELNS0_4arch9wavefront6targetE0EEEvT1_.uses_vcc, 0
	.set _ZN7rocprim17ROCPRIM_400000_NS6detail17trampoline_kernelINS0_14default_configENS1_25partition_config_selectorILNS1_17partition_subalgoE6EyNS0_10empty_typeEbEEZZNS1_14partition_implILS5_6ELb0ES3_mN6thrust23THRUST_200600_302600_NS6detail15normal_iteratorINSA_10device_ptrIyEEEEPS6_SG_NS0_5tupleIJNSA_16discard_iteratorINSA_11use_defaultEEES6_EEENSH_IJSG_SG_EEES6_PlJNSB_9not_fun_tI7is_trueIyEEEEEE10hipError_tPvRmT3_T4_T5_T6_T7_T9_mT8_P12ihipStream_tbDpT10_ENKUlT_T0_E_clISt17integral_constantIbLb1EES1B_EEDaS16_S17_EUlS16_E_NS1_11comp_targetILNS1_3genE0ELNS1_11target_archE4294967295ELNS1_3gpuE0ELNS1_3repE0EEENS1_30default_config_static_selectorELNS0_4arch9wavefront6targetE0EEEvT1_.uses_flat_scratch, 0
	.set _ZN7rocprim17ROCPRIM_400000_NS6detail17trampoline_kernelINS0_14default_configENS1_25partition_config_selectorILNS1_17partition_subalgoE6EyNS0_10empty_typeEbEEZZNS1_14partition_implILS5_6ELb0ES3_mN6thrust23THRUST_200600_302600_NS6detail15normal_iteratorINSA_10device_ptrIyEEEEPS6_SG_NS0_5tupleIJNSA_16discard_iteratorINSA_11use_defaultEEES6_EEENSH_IJSG_SG_EEES6_PlJNSB_9not_fun_tI7is_trueIyEEEEEE10hipError_tPvRmT3_T4_T5_T6_T7_T9_mT8_P12ihipStream_tbDpT10_ENKUlT_T0_E_clISt17integral_constantIbLb1EES1B_EEDaS16_S17_EUlS16_E_NS1_11comp_targetILNS1_3genE0ELNS1_11target_archE4294967295ELNS1_3gpuE0ELNS1_3repE0EEENS1_30default_config_static_selectorELNS0_4arch9wavefront6targetE0EEEvT1_.has_dyn_sized_stack, 0
	.set _ZN7rocprim17ROCPRIM_400000_NS6detail17trampoline_kernelINS0_14default_configENS1_25partition_config_selectorILNS1_17partition_subalgoE6EyNS0_10empty_typeEbEEZZNS1_14partition_implILS5_6ELb0ES3_mN6thrust23THRUST_200600_302600_NS6detail15normal_iteratorINSA_10device_ptrIyEEEEPS6_SG_NS0_5tupleIJNSA_16discard_iteratorINSA_11use_defaultEEES6_EEENSH_IJSG_SG_EEES6_PlJNSB_9not_fun_tI7is_trueIyEEEEEE10hipError_tPvRmT3_T4_T5_T6_T7_T9_mT8_P12ihipStream_tbDpT10_ENKUlT_T0_E_clISt17integral_constantIbLb1EES1B_EEDaS16_S17_EUlS16_E_NS1_11comp_targetILNS1_3genE0ELNS1_11target_archE4294967295ELNS1_3gpuE0ELNS1_3repE0EEENS1_30default_config_static_selectorELNS0_4arch9wavefront6targetE0EEEvT1_.has_recursion, 0
	.set _ZN7rocprim17ROCPRIM_400000_NS6detail17trampoline_kernelINS0_14default_configENS1_25partition_config_selectorILNS1_17partition_subalgoE6EyNS0_10empty_typeEbEEZZNS1_14partition_implILS5_6ELb0ES3_mN6thrust23THRUST_200600_302600_NS6detail15normal_iteratorINSA_10device_ptrIyEEEEPS6_SG_NS0_5tupleIJNSA_16discard_iteratorINSA_11use_defaultEEES6_EEENSH_IJSG_SG_EEES6_PlJNSB_9not_fun_tI7is_trueIyEEEEEE10hipError_tPvRmT3_T4_T5_T6_T7_T9_mT8_P12ihipStream_tbDpT10_ENKUlT_T0_E_clISt17integral_constantIbLb1EES1B_EEDaS16_S17_EUlS16_E_NS1_11comp_targetILNS1_3genE0ELNS1_11target_archE4294967295ELNS1_3gpuE0ELNS1_3repE0EEENS1_30default_config_static_selectorELNS0_4arch9wavefront6targetE0EEEvT1_.has_indirect_call, 0
	.section	.AMDGPU.csdata,"",@progbits
; Kernel info:
; codeLenInByte = 0
; TotalNumSgprs: 0
; NumVgprs: 0
; ScratchSize: 0
; MemoryBound: 0
; FloatMode: 240
; IeeeMode: 1
; LDSByteSize: 0 bytes/workgroup (compile time only)
; SGPRBlocks: 0
; VGPRBlocks: 0
; NumSGPRsForWavesPerEU: 1
; NumVGPRsForWavesPerEU: 1
; Occupancy: 16
; WaveLimiterHint : 0
; COMPUTE_PGM_RSRC2:SCRATCH_EN: 0
; COMPUTE_PGM_RSRC2:USER_SGPR: 2
; COMPUTE_PGM_RSRC2:TRAP_HANDLER: 0
; COMPUTE_PGM_RSRC2:TGID_X_EN: 1
; COMPUTE_PGM_RSRC2:TGID_Y_EN: 0
; COMPUTE_PGM_RSRC2:TGID_Z_EN: 0
; COMPUTE_PGM_RSRC2:TIDIG_COMP_CNT: 0
	.section	.text._ZN7rocprim17ROCPRIM_400000_NS6detail17trampoline_kernelINS0_14default_configENS1_25partition_config_selectorILNS1_17partition_subalgoE6EyNS0_10empty_typeEbEEZZNS1_14partition_implILS5_6ELb0ES3_mN6thrust23THRUST_200600_302600_NS6detail15normal_iteratorINSA_10device_ptrIyEEEEPS6_SG_NS0_5tupleIJNSA_16discard_iteratorINSA_11use_defaultEEES6_EEENSH_IJSG_SG_EEES6_PlJNSB_9not_fun_tI7is_trueIyEEEEEE10hipError_tPvRmT3_T4_T5_T6_T7_T9_mT8_P12ihipStream_tbDpT10_ENKUlT_T0_E_clISt17integral_constantIbLb1EES1B_EEDaS16_S17_EUlS16_E_NS1_11comp_targetILNS1_3genE5ELNS1_11target_archE942ELNS1_3gpuE9ELNS1_3repE0EEENS1_30default_config_static_selectorELNS0_4arch9wavefront6targetE0EEEvT1_,"axG",@progbits,_ZN7rocprim17ROCPRIM_400000_NS6detail17trampoline_kernelINS0_14default_configENS1_25partition_config_selectorILNS1_17partition_subalgoE6EyNS0_10empty_typeEbEEZZNS1_14partition_implILS5_6ELb0ES3_mN6thrust23THRUST_200600_302600_NS6detail15normal_iteratorINSA_10device_ptrIyEEEEPS6_SG_NS0_5tupleIJNSA_16discard_iteratorINSA_11use_defaultEEES6_EEENSH_IJSG_SG_EEES6_PlJNSB_9not_fun_tI7is_trueIyEEEEEE10hipError_tPvRmT3_T4_T5_T6_T7_T9_mT8_P12ihipStream_tbDpT10_ENKUlT_T0_E_clISt17integral_constantIbLb1EES1B_EEDaS16_S17_EUlS16_E_NS1_11comp_targetILNS1_3genE5ELNS1_11target_archE942ELNS1_3gpuE9ELNS1_3repE0EEENS1_30default_config_static_selectorELNS0_4arch9wavefront6targetE0EEEvT1_,comdat
	.protected	_ZN7rocprim17ROCPRIM_400000_NS6detail17trampoline_kernelINS0_14default_configENS1_25partition_config_selectorILNS1_17partition_subalgoE6EyNS0_10empty_typeEbEEZZNS1_14partition_implILS5_6ELb0ES3_mN6thrust23THRUST_200600_302600_NS6detail15normal_iteratorINSA_10device_ptrIyEEEEPS6_SG_NS0_5tupleIJNSA_16discard_iteratorINSA_11use_defaultEEES6_EEENSH_IJSG_SG_EEES6_PlJNSB_9not_fun_tI7is_trueIyEEEEEE10hipError_tPvRmT3_T4_T5_T6_T7_T9_mT8_P12ihipStream_tbDpT10_ENKUlT_T0_E_clISt17integral_constantIbLb1EES1B_EEDaS16_S17_EUlS16_E_NS1_11comp_targetILNS1_3genE5ELNS1_11target_archE942ELNS1_3gpuE9ELNS1_3repE0EEENS1_30default_config_static_selectorELNS0_4arch9wavefront6targetE0EEEvT1_ ; -- Begin function _ZN7rocprim17ROCPRIM_400000_NS6detail17trampoline_kernelINS0_14default_configENS1_25partition_config_selectorILNS1_17partition_subalgoE6EyNS0_10empty_typeEbEEZZNS1_14partition_implILS5_6ELb0ES3_mN6thrust23THRUST_200600_302600_NS6detail15normal_iteratorINSA_10device_ptrIyEEEEPS6_SG_NS0_5tupleIJNSA_16discard_iteratorINSA_11use_defaultEEES6_EEENSH_IJSG_SG_EEES6_PlJNSB_9not_fun_tI7is_trueIyEEEEEE10hipError_tPvRmT3_T4_T5_T6_T7_T9_mT8_P12ihipStream_tbDpT10_ENKUlT_T0_E_clISt17integral_constantIbLb1EES1B_EEDaS16_S17_EUlS16_E_NS1_11comp_targetILNS1_3genE5ELNS1_11target_archE942ELNS1_3gpuE9ELNS1_3repE0EEENS1_30default_config_static_selectorELNS0_4arch9wavefront6targetE0EEEvT1_
	.globl	_ZN7rocprim17ROCPRIM_400000_NS6detail17trampoline_kernelINS0_14default_configENS1_25partition_config_selectorILNS1_17partition_subalgoE6EyNS0_10empty_typeEbEEZZNS1_14partition_implILS5_6ELb0ES3_mN6thrust23THRUST_200600_302600_NS6detail15normal_iteratorINSA_10device_ptrIyEEEEPS6_SG_NS0_5tupleIJNSA_16discard_iteratorINSA_11use_defaultEEES6_EEENSH_IJSG_SG_EEES6_PlJNSB_9not_fun_tI7is_trueIyEEEEEE10hipError_tPvRmT3_T4_T5_T6_T7_T9_mT8_P12ihipStream_tbDpT10_ENKUlT_T0_E_clISt17integral_constantIbLb1EES1B_EEDaS16_S17_EUlS16_E_NS1_11comp_targetILNS1_3genE5ELNS1_11target_archE942ELNS1_3gpuE9ELNS1_3repE0EEENS1_30default_config_static_selectorELNS0_4arch9wavefront6targetE0EEEvT1_
	.p2align	8
	.type	_ZN7rocprim17ROCPRIM_400000_NS6detail17trampoline_kernelINS0_14default_configENS1_25partition_config_selectorILNS1_17partition_subalgoE6EyNS0_10empty_typeEbEEZZNS1_14partition_implILS5_6ELb0ES3_mN6thrust23THRUST_200600_302600_NS6detail15normal_iteratorINSA_10device_ptrIyEEEEPS6_SG_NS0_5tupleIJNSA_16discard_iteratorINSA_11use_defaultEEES6_EEENSH_IJSG_SG_EEES6_PlJNSB_9not_fun_tI7is_trueIyEEEEEE10hipError_tPvRmT3_T4_T5_T6_T7_T9_mT8_P12ihipStream_tbDpT10_ENKUlT_T0_E_clISt17integral_constantIbLb1EES1B_EEDaS16_S17_EUlS16_E_NS1_11comp_targetILNS1_3genE5ELNS1_11target_archE942ELNS1_3gpuE9ELNS1_3repE0EEENS1_30default_config_static_selectorELNS0_4arch9wavefront6targetE0EEEvT1_,@function
_ZN7rocprim17ROCPRIM_400000_NS6detail17trampoline_kernelINS0_14default_configENS1_25partition_config_selectorILNS1_17partition_subalgoE6EyNS0_10empty_typeEbEEZZNS1_14partition_implILS5_6ELb0ES3_mN6thrust23THRUST_200600_302600_NS6detail15normal_iteratorINSA_10device_ptrIyEEEEPS6_SG_NS0_5tupleIJNSA_16discard_iteratorINSA_11use_defaultEEES6_EEENSH_IJSG_SG_EEES6_PlJNSB_9not_fun_tI7is_trueIyEEEEEE10hipError_tPvRmT3_T4_T5_T6_T7_T9_mT8_P12ihipStream_tbDpT10_ENKUlT_T0_E_clISt17integral_constantIbLb1EES1B_EEDaS16_S17_EUlS16_E_NS1_11comp_targetILNS1_3genE5ELNS1_11target_archE942ELNS1_3gpuE9ELNS1_3repE0EEENS1_30default_config_static_selectorELNS0_4arch9wavefront6targetE0EEEvT1_: ; @_ZN7rocprim17ROCPRIM_400000_NS6detail17trampoline_kernelINS0_14default_configENS1_25partition_config_selectorILNS1_17partition_subalgoE6EyNS0_10empty_typeEbEEZZNS1_14partition_implILS5_6ELb0ES3_mN6thrust23THRUST_200600_302600_NS6detail15normal_iteratorINSA_10device_ptrIyEEEEPS6_SG_NS0_5tupleIJNSA_16discard_iteratorINSA_11use_defaultEEES6_EEENSH_IJSG_SG_EEES6_PlJNSB_9not_fun_tI7is_trueIyEEEEEE10hipError_tPvRmT3_T4_T5_T6_T7_T9_mT8_P12ihipStream_tbDpT10_ENKUlT_T0_E_clISt17integral_constantIbLb1EES1B_EEDaS16_S17_EUlS16_E_NS1_11comp_targetILNS1_3genE5ELNS1_11target_archE942ELNS1_3gpuE9ELNS1_3repE0EEENS1_30default_config_static_selectorELNS0_4arch9wavefront6targetE0EEEvT1_
; %bb.0:
	.section	.rodata,"a",@progbits
	.p2align	6, 0x0
	.amdhsa_kernel _ZN7rocprim17ROCPRIM_400000_NS6detail17trampoline_kernelINS0_14default_configENS1_25partition_config_selectorILNS1_17partition_subalgoE6EyNS0_10empty_typeEbEEZZNS1_14partition_implILS5_6ELb0ES3_mN6thrust23THRUST_200600_302600_NS6detail15normal_iteratorINSA_10device_ptrIyEEEEPS6_SG_NS0_5tupleIJNSA_16discard_iteratorINSA_11use_defaultEEES6_EEENSH_IJSG_SG_EEES6_PlJNSB_9not_fun_tI7is_trueIyEEEEEE10hipError_tPvRmT3_T4_T5_T6_T7_T9_mT8_P12ihipStream_tbDpT10_ENKUlT_T0_E_clISt17integral_constantIbLb1EES1B_EEDaS16_S17_EUlS16_E_NS1_11comp_targetILNS1_3genE5ELNS1_11target_archE942ELNS1_3gpuE9ELNS1_3repE0EEENS1_30default_config_static_selectorELNS0_4arch9wavefront6targetE0EEEvT1_
		.amdhsa_group_segment_fixed_size 0
		.amdhsa_private_segment_fixed_size 0
		.amdhsa_kernarg_size 136
		.amdhsa_user_sgpr_count 2
		.amdhsa_user_sgpr_dispatch_ptr 0
		.amdhsa_user_sgpr_queue_ptr 0
		.amdhsa_user_sgpr_kernarg_segment_ptr 1
		.amdhsa_user_sgpr_dispatch_id 0
		.amdhsa_user_sgpr_private_segment_size 0
		.amdhsa_wavefront_size32 1
		.amdhsa_uses_dynamic_stack 0
		.amdhsa_enable_private_segment 0
		.amdhsa_system_sgpr_workgroup_id_x 1
		.amdhsa_system_sgpr_workgroup_id_y 0
		.amdhsa_system_sgpr_workgroup_id_z 0
		.amdhsa_system_sgpr_workgroup_info 0
		.amdhsa_system_vgpr_workitem_id 0
		.amdhsa_next_free_vgpr 1
		.amdhsa_next_free_sgpr 1
		.amdhsa_reserve_vcc 0
		.amdhsa_float_round_mode_32 0
		.amdhsa_float_round_mode_16_64 0
		.amdhsa_float_denorm_mode_32 3
		.amdhsa_float_denorm_mode_16_64 3
		.amdhsa_fp16_overflow 0
		.amdhsa_workgroup_processor_mode 1
		.amdhsa_memory_ordered 1
		.amdhsa_forward_progress 1
		.amdhsa_inst_pref_size 0
		.amdhsa_round_robin_scheduling 0
		.amdhsa_exception_fp_ieee_invalid_op 0
		.amdhsa_exception_fp_denorm_src 0
		.amdhsa_exception_fp_ieee_div_zero 0
		.amdhsa_exception_fp_ieee_overflow 0
		.amdhsa_exception_fp_ieee_underflow 0
		.amdhsa_exception_fp_ieee_inexact 0
		.amdhsa_exception_int_div_zero 0
	.end_amdhsa_kernel
	.section	.text._ZN7rocprim17ROCPRIM_400000_NS6detail17trampoline_kernelINS0_14default_configENS1_25partition_config_selectorILNS1_17partition_subalgoE6EyNS0_10empty_typeEbEEZZNS1_14partition_implILS5_6ELb0ES3_mN6thrust23THRUST_200600_302600_NS6detail15normal_iteratorINSA_10device_ptrIyEEEEPS6_SG_NS0_5tupleIJNSA_16discard_iteratorINSA_11use_defaultEEES6_EEENSH_IJSG_SG_EEES6_PlJNSB_9not_fun_tI7is_trueIyEEEEEE10hipError_tPvRmT3_T4_T5_T6_T7_T9_mT8_P12ihipStream_tbDpT10_ENKUlT_T0_E_clISt17integral_constantIbLb1EES1B_EEDaS16_S17_EUlS16_E_NS1_11comp_targetILNS1_3genE5ELNS1_11target_archE942ELNS1_3gpuE9ELNS1_3repE0EEENS1_30default_config_static_selectorELNS0_4arch9wavefront6targetE0EEEvT1_,"axG",@progbits,_ZN7rocprim17ROCPRIM_400000_NS6detail17trampoline_kernelINS0_14default_configENS1_25partition_config_selectorILNS1_17partition_subalgoE6EyNS0_10empty_typeEbEEZZNS1_14partition_implILS5_6ELb0ES3_mN6thrust23THRUST_200600_302600_NS6detail15normal_iteratorINSA_10device_ptrIyEEEEPS6_SG_NS0_5tupleIJNSA_16discard_iteratorINSA_11use_defaultEEES6_EEENSH_IJSG_SG_EEES6_PlJNSB_9not_fun_tI7is_trueIyEEEEEE10hipError_tPvRmT3_T4_T5_T6_T7_T9_mT8_P12ihipStream_tbDpT10_ENKUlT_T0_E_clISt17integral_constantIbLb1EES1B_EEDaS16_S17_EUlS16_E_NS1_11comp_targetILNS1_3genE5ELNS1_11target_archE942ELNS1_3gpuE9ELNS1_3repE0EEENS1_30default_config_static_selectorELNS0_4arch9wavefront6targetE0EEEvT1_,comdat
.Lfunc_end2150:
	.size	_ZN7rocprim17ROCPRIM_400000_NS6detail17trampoline_kernelINS0_14default_configENS1_25partition_config_selectorILNS1_17partition_subalgoE6EyNS0_10empty_typeEbEEZZNS1_14partition_implILS5_6ELb0ES3_mN6thrust23THRUST_200600_302600_NS6detail15normal_iteratorINSA_10device_ptrIyEEEEPS6_SG_NS0_5tupleIJNSA_16discard_iteratorINSA_11use_defaultEEES6_EEENSH_IJSG_SG_EEES6_PlJNSB_9not_fun_tI7is_trueIyEEEEEE10hipError_tPvRmT3_T4_T5_T6_T7_T9_mT8_P12ihipStream_tbDpT10_ENKUlT_T0_E_clISt17integral_constantIbLb1EES1B_EEDaS16_S17_EUlS16_E_NS1_11comp_targetILNS1_3genE5ELNS1_11target_archE942ELNS1_3gpuE9ELNS1_3repE0EEENS1_30default_config_static_selectorELNS0_4arch9wavefront6targetE0EEEvT1_, .Lfunc_end2150-_ZN7rocprim17ROCPRIM_400000_NS6detail17trampoline_kernelINS0_14default_configENS1_25partition_config_selectorILNS1_17partition_subalgoE6EyNS0_10empty_typeEbEEZZNS1_14partition_implILS5_6ELb0ES3_mN6thrust23THRUST_200600_302600_NS6detail15normal_iteratorINSA_10device_ptrIyEEEEPS6_SG_NS0_5tupleIJNSA_16discard_iteratorINSA_11use_defaultEEES6_EEENSH_IJSG_SG_EEES6_PlJNSB_9not_fun_tI7is_trueIyEEEEEE10hipError_tPvRmT3_T4_T5_T6_T7_T9_mT8_P12ihipStream_tbDpT10_ENKUlT_T0_E_clISt17integral_constantIbLb1EES1B_EEDaS16_S17_EUlS16_E_NS1_11comp_targetILNS1_3genE5ELNS1_11target_archE942ELNS1_3gpuE9ELNS1_3repE0EEENS1_30default_config_static_selectorELNS0_4arch9wavefront6targetE0EEEvT1_
                                        ; -- End function
	.set _ZN7rocprim17ROCPRIM_400000_NS6detail17trampoline_kernelINS0_14default_configENS1_25partition_config_selectorILNS1_17partition_subalgoE6EyNS0_10empty_typeEbEEZZNS1_14partition_implILS5_6ELb0ES3_mN6thrust23THRUST_200600_302600_NS6detail15normal_iteratorINSA_10device_ptrIyEEEEPS6_SG_NS0_5tupleIJNSA_16discard_iteratorINSA_11use_defaultEEES6_EEENSH_IJSG_SG_EEES6_PlJNSB_9not_fun_tI7is_trueIyEEEEEE10hipError_tPvRmT3_T4_T5_T6_T7_T9_mT8_P12ihipStream_tbDpT10_ENKUlT_T0_E_clISt17integral_constantIbLb1EES1B_EEDaS16_S17_EUlS16_E_NS1_11comp_targetILNS1_3genE5ELNS1_11target_archE942ELNS1_3gpuE9ELNS1_3repE0EEENS1_30default_config_static_selectorELNS0_4arch9wavefront6targetE0EEEvT1_.num_vgpr, 0
	.set _ZN7rocprim17ROCPRIM_400000_NS6detail17trampoline_kernelINS0_14default_configENS1_25partition_config_selectorILNS1_17partition_subalgoE6EyNS0_10empty_typeEbEEZZNS1_14partition_implILS5_6ELb0ES3_mN6thrust23THRUST_200600_302600_NS6detail15normal_iteratorINSA_10device_ptrIyEEEEPS6_SG_NS0_5tupleIJNSA_16discard_iteratorINSA_11use_defaultEEES6_EEENSH_IJSG_SG_EEES6_PlJNSB_9not_fun_tI7is_trueIyEEEEEE10hipError_tPvRmT3_T4_T5_T6_T7_T9_mT8_P12ihipStream_tbDpT10_ENKUlT_T0_E_clISt17integral_constantIbLb1EES1B_EEDaS16_S17_EUlS16_E_NS1_11comp_targetILNS1_3genE5ELNS1_11target_archE942ELNS1_3gpuE9ELNS1_3repE0EEENS1_30default_config_static_selectorELNS0_4arch9wavefront6targetE0EEEvT1_.num_agpr, 0
	.set _ZN7rocprim17ROCPRIM_400000_NS6detail17trampoline_kernelINS0_14default_configENS1_25partition_config_selectorILNS1_17partition_subalgoE6EyNS0_10empty_typeEbEEZZNS1_14partition_implILS5_6ELb0ES3_mN6thrust23THRUST_200600_302600_NS6detail15normal_iteratorINSA_10device_ptrIyEEEEPS6_SG_NS0_5tupleIJNSA_16discard_iteratorINSA_11use_defaultEEES6_EEENSH_IJSG_SG_EEES6_PlJNSB_9not_fun_tI7is_trueIyEEEEEE10hipError_tPvRmT3_T4_T5_T6_T7_T9_mT8_P12ihipStream_tbDpT10_ENKUlT_T0_E_clISt17integral_constantIbLb1EES1B_EEDaS16_S17_EUlS16_E_NS1_11comp_targetILNS1_3genE5ELNS1_11target_archE942ELNS1_3gpuE9ELNS1_3repE0EEENS1_30default_config_static_selectorELNS0_4arch9wavefront6targetE0EEEvT1_.numbered_sgpr, 0
	.set _ZN7rocprim17ROCPRIM_400000_NS6detail17trampoline_kernelINS0_14default_configENS1_25partition_config_selectorILNS1_17partition_subalgoE6EyNS0_10empty_typeEbEEZZNS1_14partition_implILS5_6ELb0ES3_mN6thrust23THRUST_200600_302600_NS6detail15normal_iteratorINSA_10device_ptrIyEEEEPS6_SG_NS0_5tupleIJNSA_16discard_iteratorINSA_11use_defaultEEES6_EEENSH_IJSG_SG_EEES6_PlJNSB_9not_fun_tI7is_trueIyEEEEEE10hipError_tPvRmT3_T4_T5_T6_T7_T9_mT8_P12ihipStream_tbDpT10_ENKUlT_T0_E_clISt17integral_constantIbLb1EES1B_EEDaS16_S17_EUlS16_E_NS1_11comp_targetILNS1_3genE5ELNS1_11target_archE942ELNS1_3gpuE9ELNS1_3repE0EEENS1_30default_config_static_selectorELNS0_4arch9wavefront6targetE0EEEvT1_.num_named_barrier, 0
	.set _ZN7rocprim17ROCPRIM_400000_NS6detail17trampoline_kernelINS0_14default_configENS1_25partition_config_selectorILNS1_17partition_subalgoE6EyNS0_10empty_typeEbEEZZNS1_14partition_implILS5_6ELb0ES3_mN6thrust23THRUST_200600_302600_NS6detail15normal_iteratorINSA_10device_ptrIyEEEEPS6_SG_NS0_5tupleIJNSA_16discard_iteratorINSA_11use_defaultEEES6_EEENSH_IJSG_SG_EEES6_PlJNSB_9not_fun_tI7is_trueIyEEEEEE10hipError_tPvRmT3_T4_T5_T6_T7_T9_mT8_P12ihipStream_tbDpT10_ENKUlT_T0_E_clISt17integral_constantIbLb1EES1B_EEDaS16_S17_EUlS16_E_NS1_11comp_targetILNS1_3genE5ELNS1_11target_archE942ELNS1_3gpuE9ELNS1_3repE0EEENS1_30default_config_static_selectorELNS0_4arch9wavefront6targetE0EEEvT1_.private_seg_size, 0
	.set _ZN7rocprim17ROCPRIM_400000_NS6detail17trampoline_kernelINS0_14default_configENS1_25partition_config_selectorILNS1_17partition_subalgoE6EyNS0_10empty_typeEbEEZZNS1_14partition_implILS5_6ELb0ES3_mN6thrust23THRUST_200600_302600_NS6detail15normal_iteratorINSA_10device_ptrIyEEEEPS6_SG_NS0_5tupleIJNSA_16discard_iteratorINSA_11use_defaultEEES6_EEENSH_IJSG_SG_EEES6_PlJNSB_9not_fun_tI7is_trueIyEEEEEE10hipError_tPvRmT3_T4_T5_T6_T7_T9_mT8_P12ihipStream_tbDpT10_ENKUlT_T0_E_clISt17integral_constantIbLb1EES1B_EEDaS16_S17_EUlS16_E_NS1_11comp_targetILNS1_3genE5ELNS1_11target_archE942ELNS1_3gpuE9ELNS1_3repE0EEENS1_30default_config_static_selectorELNS0_4arch9wavefront6targetE0EEEvT1_.uses_vcc, 0
	.set _ZN7rocprim17ROCPRIM_400000_NS6detail17trampoline_kernelINS0_14default_configENS1_25partition_config_selectorILNS1_17partition_subalgoE6EyNS0_10empty_typeEbEEZZNS1_14partition_implILS5_6ELb0ES3_mN6thrust23THRUST_200600_302600_NS6detail15normal_iteratorINSA_10device_ptrIyEEEEPS6_SG_NS0_5tupleIJNSA_16discard_iteratorINSA_11use_defaultEEES6_EEENSH_IJSG_SG_EEES6_PlJNSB_9not_fun_tI7is_trueIyEEEEEE10hipError_tPvRmT3_T4_T5_T6_T7_T9_mT8_P12ihipStream_tbDpT10_ENKUlT_T0_E_clISt17integral_constantIbLb1EES1B_EEDaS16_S17_EUlS16_E_NS1_11comp_targetILNS1_3genE5ELNS1_11target_archE942ELNS1_3gpuE9ELNS1_3repE0EEENS1_30default_config_static_selectorELNS0_4arch9wavefront6targetE0EEEvT1_.uses_flat_scratch, 0
	.set _ZN7rocprim17ROCPRIM_400000_NS6detail17trampoline_kernelINS0_14default_configENS1_25partition_config_selectorILNS1_17partition_subalgoE6EyNS0_10empty_typeEbEEZZNS1_14partition_implILS5_6ELb0ES3_mN6thrust23THRUST_200600_302600_NS6detail15normal_iteratorINSA_10device_ptrIyEEEEPS6_SG_NS0_5tupleIJNSA_16discard_iteratorINSA_11use_defaultEEES6_EEENSH_IJSG_SG_EEES6_PlJNSB_9not_fun_tI7is_trueIyEEEEEE10hipError_tPvRmT3_T4_T5_T6_T7_T9_mT8_P12ihipStream_tbDpT10_ENKUlT_T0_E_clISt17integral_constantIbLb1EES1B_EEDaS16_S17_EUlS16_E_NS1_11comp_targetILNS1_3genE5ELNS1_11target_archE942ELNS1_3gpuE9ELNS1_3repE0EEENS1_30default_config_static_selectorELNS0_4arch9wavefront6targetE0EEEvT1_.has_dyn_sized_stack, 0
	.set _ZN7rocprim17ROCPRIM_400000_NS6detail17trampoline_kernelINS0_14default_configENS1_25partition_config_selectorILNS1_17partition_subalgoE6EyNS0_10empty_typeEbEEZZNS1_14partition_implILS5_6ELb0ES3_mN6thrust23THRUST_200600_302600_NS6detail15normal_iteratorINSA_10device_ptrIyEEEEPS6_SG_NS0_5tupleIJNSA_16discard_iteratorINSA_11use_defaultEEES6_EEENSH_IJSG_SG_EEES6_PlJNSB_9not_fun_tI7is_trueIyEEEEEE10hipError_tPvRmT3_T4_T5_T6_T7_T9_mT8_P12ihipStream_tbDpT10_ENKUlT_T0_E_clISt17integral_constantIbLb1EES1B_EEDaS16_S17_EUlS16_E_NS1_11comp_targetILNS1_3genE5ELNS1_11target_archE942ELNS1_3gpuE9ELNS1_3repE0EEENS1_30default_config_static_selectorELNS0_4arch9wavefront6targetE0EEEvT1_.has_recursion, 0
	.set _ZN7rocprim17ROCPRIM_400000_NS6detail17trampoline_kernelINS0_14default_configENS1_25partition_config_selectorILNS1_17partition_subalgoE6EyNS0_10empty_typeEbEEZZNS1_14partition_implILS5_6ELb0ES3_mN6thrust23THRUST_200600_302600_NS6detail15normal_iteratorINSA_10device_ptrIyEEEEPS6_SG_NS0_5tupleIJNSA_16discard_iteratorINSA_11use_defaultEEES6_EEENSH_IJSG_SG_EEES6_PlJNSB_9not_fun_tI7is_trueIyEEEEEE10hipError_tPvRmT3_T4_T5_T6_T7_T9_mT8_P12ihipStream_tbDpT10_ENKUlT_T0_E_clISt17integral_constantIbLb1EES1B_EEDaS16_S17_EUlS16_E_NS1_11comp_targetILNS1_3genE5ELNS1_11target_archE942ELNS1_3gpuE9ELNS1_3repE0EEENS1_30default_config_static_selectorELNS0_4arch9wavefront6targetE0EEEvT1_.has_indirect_call, 0
	.section	.AMDGPU.csdata,"",@progbits
; Kernel info:
; codeLenInByte = 0
; TotalNumSgprs: 0
; NumVgprs: 0
; ScratchSize: 0
; MemoryBound: 0
; FloatMode: 240
; IeeeMode: 1
; LDSByteSize: 0 bytes/workgroup (compile time only)
; SGPRBlocks: 0
; VGPRBlocks: 0
; NumSGPRsForWavesPerEU: 1
; NumVGPRsForWavesPerEU: 1
; Occupancy: 16
; WaveLimiterHint : 0
; COMPUTE_PGM_RSRC2:SCRATCH_EN: 0
; COMPUTE_PGM_RSRC2:USER_SGPR: 2
; COMPUTE_PGM_RSRC2:TRAP_HANDLER: 0
; COMPUTE_PGM_RSRC2:TGID_X_EN: 1
; COMPUTE_PGM_RSRC2:TGID_Y_EN: 0
; COMPUTE_PGM_RSRC2:TGID_Z_EN: 0
; COMPUTE_PGM_RSRC2:TIDIG_COMP_CNT: 0
	.section	.text._ZN7rocprim17ROCPRIM_400000_NS6detail17trampoline_kernelINS0_14default_configENS1_25partition_config_selectorILNS1_17partition_subalgoE6EyNS0_10empty_typeEbEEZZNS1_14partition_implILS5_6ELb0ES3_mN6thrust23THRUST_200600_302600_NS6detail15normal_iteratorINSA_10device_ptrIyEEEEPS6_SG_NS0_5tupleIJNSA_16discard_iteratorINSA_11use_defaultEEES6_EEENSH_IJSG_SG_EEES6_PlJNSB_9not_fun_tI7is_trueIyEEEEEE10hipError_tPvRmT3_T4_T5_T6_T7_T9_mT8_P12ihipStream_tbDpT10_ENKUlT_T0_E_clISt17integral_constantIbLb1EES1B_EEDaS16_S17_EUlS16_E_NS1_11comp_targetILNS1_3genE4ELNS1_11target_archE910ELNS1_3gpuE8ELNS1_3repE0EEENS1_30default_config_static_selectorELNS0_4arch9wavefront6targetE0EEEvT1_,"axG",@progbits,_ZN7rocprim17ROCPRIM_400000_NS6detail17trampoline_kernelINS0_14default_configENS1_25partition_config_selectorILNS1_17partition_subalgoE6EyNS0_10empty_typeEbEEZZNS1_14partition_implILS5_6ELb0ES3_mN6thrust23THRUST_200600_302600_NS6detail15normal_iteratorINSA_10device_ptrIyEEEEPS6_SG_NS0_5tupleIJNSA_16discard_iteratorINSA_11use_defaultEEES6_EEENSH_IJSG_SG_EEES6_PlJNSB_9not_fun_tI7is_trueIyEEEEEE10hipError_tPvRmT3_T4_T5_T6_T7_T9_mT8_P12ihipStream_tbDpT10_ENKUlT_T0_E_clISt17integral_constantIbLb1EES1B_EEDaS16_S17_EUlS16_E_NS1_11comp_targetILNS1_3genE4ELNS1_11target_archE910ELNS1_3gpuE8ELNS1_3repE0EEENS1_30default_config_static_selectorELNS0_4arch9wavefront6targetE0EEEvT1_,comdat
	.protected	_ZN7rocprim17ROCPRIM_400000_NS6detail17trampoline_kernelINS0_14default_configENS1_25partition_config_selectorILNS1_17partition_subalgoE6EyNS0_10empty_typeEbEEZZNS1_14partition_implILS5_6ELb0ES3_mN6thrust23THRUST_200600_302600_NS6detail15normal_iteratorINSA_10device_ptrIyEEEEPS6_SG_NS0_5tupleIJNSA_16discard_iteratorINSA_11use_defaultEEES6_EEENSH_IJSG_SG_EEES6_PlJNSB_9not_fun_tI7is_trueIyEEEEEE10hipError_tPvRmT3_T4_T5_T6_T7_T9_mT8_P12ihipStream_tbDpT10_ENKUlT_T0_E_clISt17integral_constantIbLb1EES1B_EEDaS16_S17_EUlS16_E_NS1_11comp_targetILNS1_3genE4ELNS1_11target_archE910ELNS1_3gpuE8ELNS1_3repE0EEENS1_30default_config_static_selectorELNS0_4arch9wavefront6targetE0EEEvT1_ ; -- Begin function _ZN7rocprim17ROCPRIM_400000_NS6detail17trampoline_kernelINS0_14default_configENS1_25partition_config_selectorILNS1_17partition_subalgoE6EyNS0_10empty_typeEbEEZZNS1_14partition_implILS5_6ELb0ES3_mN6thrust23THRUST_200600_302600_NS6detail15normal_iteratorINSA_10device_ptrIyEEEEPS6_SG_NS0_5tupleIJNSA_16discard_iteratorINSA_11use_defaultEEES6_EEENSH_IJSG_SG_EEES6_PlJNSB_9not_fun_tI7is_trueIyEEEEEE10hipError_tPvRmT3_T4_T5_T6_T7_T9_mT8_P12ihipStream_tbDpT10_ENKUlT_T0_E_clISt17integral_constantIbLb1EES1B_EEDaS16_S17_EUlS16_E_NS1_11comp_targetILNS1_3genE4ELNS1_11target_archE910ELNS1_3gpuE8ELNS1_3repE0EEENS1_30default_config_static_selectorELNS0_4arch9wavefront6targetE0EEEvT1_
	.globl	_ZN7rocprim17ROCPRIM_400000_NS6detail17trampoline_kernelINS0_14default_configENS1_25partition_config_selectorILNS1_17partition_subalgoE6EyNS0_10empty_typeEbEEZZNS1_14partition_implILS5_6ELb0ES3_mN6thrust23THRUST_200600_302600_NS6detail15normal_iteratorINSA_10device_ptrIyEEEEPS6_SG_NS0_5tupleIJNSA_16discard_iteratorINSA_11use_defaultEEES6_EEENSH_IJSG_SG_EEES6_PlJNSB_9not_fun_tI7is_trueIyEEEEEE10hipError_tPvRmT3_T4_T5_T6_T7_T9_mT8_P12ihipStream_tbDpT10_ENKUlT_T0_E_clISt17integral_constantIbLb1EES1B_EEDaS16_S17_EUlS16_E_NS1_11comp_targetILNS1_3genE4ELNS1_11target_archE910ELNS1_3gpuE8ELNS1_3repE0EEENS1_30default_config_static_selectorELNS0_4arch9wavefront6targetE0EEEvT1_
	.p2align	8
	.type	_ZN7rocprim17ROCPRIM_400000_NS6detail17trampoline_kernelINS0_14default_configENS1_25partition_config_selectorILNS1_17partition_subalgoE6EyNS0_10empty_typeEbEEZZNS1_14partition_implILS5_6ELb0ES3_mN6thrust23THRUST_200600_302600_NS6detail15normal_iteratorINSA_10device_ptrIyEEEEPS6_SG_NS0_5tupleIJNSA_16discard_iteratorINSA_11use_defaultEEES6_EEENSH_IJSG_SG_EEES6_PlJNSB_9not_fun_tI7is_trueIyEEEEEE10hipError_tPvRmT3_T4_T5_T6_T7_T9_mT8_P12ihipStream_tbDpT10_ENKUlT_T0_E_clISt17integral_constantIbLb1EES1B_EEDaS16_S17_EUlS16_E_NS1_11comp_targetILNS1_3genE4ELNS1_11target_archE910ELNS1_3gpuE8ELNS1_3repE0EEENS1_30default_config_static_selectorELNS0_4arch9wavefront6targetE0EEEvT1_,@function
_ZN7rocprim17ROCPRIM_400000_NS6detail17trampoline_kernelINS0_14default_configENS1_25partition_config_selectorILNS1_17partition_subalgoE6EyNS0_10empty_typeEbEEZZNS1_14partition_implILS5_6ELb0ES3_mN6thrust23THRUST_200600_302600_NS6detail15normal_iteratorINSA_10device_ptrIyEEEEPS6_SG_NS0_5tupleIJNSA_16discard_iteratorINSA_11use_defaultEEES6_EEENSH_IJSG_SG_EEES6_PlJNSB_9not_fun_tI7is_trueIyEEEEEE10hipError_tPvRmT3_T4_T5_T6_T7_T9_mT8_P12ihipStream_tbDpT10_ENKUlT_T0_E_clISt17integral_constantIbLb1EES1B_EEDaS16_S17_EUlS16_E_NS1_11comp_targetILNS1_3genE4ELNS1_11target_archE910ELNS1_3gpuE8ELNS1_3repE0EEENS1_30default_config_static_selectorELNS0_4arch9wavefront6targetE0EEEvT1_: ; @_ZN7rocprim17ROCPRIM_400000_NS6detail17trampoline_kernelINS0_14default_configENS1_25partition_config_selectorILNS1_17partition_subalgoE6EyNS0_10empty_typeEbEEZZNS1_14partition_implILS5_6ELb0ES3_mN6thrust23THRUST_200600_302600_NS6detail15normal_iteratorINSA_10device_ptrIyEEEEPS6_SG_NS0_5tupleIJNSA_16discard_iteratorINSA_11use_defaultEEES6_EEENSH_IJSG_SG_EEES6_PlJNSB_9not_fun_tI7is_trueIyEEEEEE10hipError_tPvRmT3_T4_T5_T6_T7_T9_mT8_P12ihipStream_tbDpT10_ENKUlT_T0_E_clISt17integral_constantIbLb1EES1B_EEDaS16_S17_EUlS16_E_NS1_11comp_targetILNS1_3genE4ELNS1_11target_archE910ELNS1_3gpuE8ELNS1_3repE0EEENS1_30default_config_static_selectorELNS0_4arch9wavefront6targetE0EEEvT1_
; %bb.0:
	.section	.rodata,"a",@progbits
	.p2align	6, 0x0
	.amdhsa_kernel _ZN7rocprim17ROCPRIM_400000_NS6detail17trampoline_kernelINS0_14default_configENS1_25partition_config_selectorILNS1_17partition_subalgoE6EyNS0_10empty_typeEbEEZZNS1_14partition_implILS5_6ELb0ES3_mN6thrust23THRUST_200600_302600_NS6detail15normal_iteratorINSA_10device_ptrIyEEEEPS6_SG_NS0_5tupleIJNSA_16discard_iteratorINSA_11use_defaultEEES6_EEENSH_IJSG_SG_EEES6_PlJNSB_9not_fun_tI7is_trueIyEEEEEE10hipError_tPvRmT3_T4_T5_T6_T7_T9_mT8_P12ihipStream_tbDpT10_ENKUlT_T0_E_clISt17integral_constantIbLb1EES1B_EEDaS16_S17_EUlS16_E_NS1_11comp_targetILNS1_3genE4ELNS1_11target_archE910ELNS1_3gpuE8ELNS1_3repE0EEENS1_30default_config_static_selectorELNS0_4arch9wavefront6targetE0EEEvT1_
		.amdhsa_group_segment_fixed_size 0
		.amdhsa_private_segment_fixed_size 0
		.amdhsa_kernarg_size 136
		.amdhsa_user_sgpr_count 2
		.amdhsa_user_sgpr_dispatch_ptr 0
		.amdhsa_user_sgpr_queue_ptr 0
		.amdhsa_user_sgpr_kernarg_segment_ptr 1
		.amdhsa_user_sgpr_dispatch_id 0
		.amdhsa_user_sgpr_private_segment_size 0
		.amdhsa_wavefront_size32 1
		.amdhsa_uses_dynamic_stack 0
		.amdhsa_enable_private_segment 0
		.amdhsa_system_sgpr_workgroup_id_x 1
		.amdhsa_system_sgpr_workgroup_id_y 0
		.amdhsa_system_sgpr_workgroup_id_z 0
		.amdhsa_system_sgpr_workgroup_info 0
		.amdhsa_system_vgpr_workitem_id 0
		.amdhsa_next_free_vgpr 1
		.amdhsa_next_free_sgpr 1
		.amdhsa_reserve_vcc 0
		.amdhsa_float_round_mode_32 0
		.amdhsa_float_round_mode_16_64 0
		.amdhsa_float_denorm_mode_32 3
		.amdhsa_float_denorm_mode_16_64 3
		.amdhsa_fp16_overflow 0
		.amdhsa_workgroup_processor_mode 1
		.amdhsa_memory_ordered 1
		.amdhsa_forward_progress 1
		.amdhsa_inst_pref_size 0
		.amdhsa_round_robin_scheduling 0
		.amdhsa_exception_fp_ieee_invalid_op 0
		.amdhsa_exception_fp_denorm_src 0
		.amdhsa_exception_fp_ieee_div_zero 0
		.amdhsa_exception_fp_ieee_overflow 0
		.amdhsa_exception_fp_ieee_underflow 0
		.amdhsa_exception_fp_ieee_inexact 0
		.amdhsa_exception_int_div_zero 0
	.end_amdhsa_kernel
	.section	.text._ZN7rocprim17ROCPRIM_400000_NS6detail17trampoline_kernelINS0_14default_configENS1_25partition_config_selectorILNS1_17partition_subalgoE6EyNS0_10empty_typeEbEEZZNS1_14partition_implILS5_6ELb0ES3_mN6thrust23THRUST_200600_302600_NS6detail15normal_iteratorINSA_10device_ptrIyEEEEPS6_SG_NS0_5tupleIJNSA_16discard_iteratorINSA_11use_defaultEEES6_EEENSH_IJSG_SG_EEES6_PlJNSB_9not_fun_tI7is_trueIyEEEEEE10hipError_tPvRmT3_T4_T5_T6_T7_T9_mT8_P12ihipStream_tbDpT10_ENKUlT_T0_E_clISt17integral_constantIbLb1EES1B_EEDaS16_S17_EUlS16_E_NS1_11comp_targetILNS1_3genE4ELNS1_11target_archE910ELNS1_3gpuE8ELNS1_3repE0EEENS1_30default_config_static_selectorELNS0_4arch9wavefront6targetE0EEEvT1_,"axG",@progbits,_ZN7rocprim17ROCPRIM_400000_NS6detail17trampoline_kernelINS0_14default_configENS1_25partition_config_selectorILNS1_17partition_subalgoE6EyNS0_10empty_typeEbEEZZNS1_14partition_implILS5_6ELb0ES3_mN6thrust23THRUST_200600_302600_NS6detail15normal_iteratorINSA_10device_ptrIyEEEEPS6_SG_NS0_5tupleIJNSA_16discard_iteratorINSA_11use_defaultEEES6_EEENSH_IJSG_SG_EEES6_PlJNSB_9not_fun_tI7is_trueIyEEEEEE10hipError_tPvRmT3_T4_T5_T6_T7_T9_mT8_P12ihipStream_tbDpT10_ENKUlT_T0_E_clISt17integral_constantIbLb1EES1B_EEDaS16_S17_EUlS16_E_NS1_11comp_targetILNS1_3genE4ELNS1_11target_archE910ELNS1_3gpuE8ELNS1_3repE0EEENS1_30default_config_static_selectorELNS0_4arch9wavefront6targetE0EEEvT1_,comdat
.Lfunc_end2151:
	.size	_ZN7rocprim17ROCPRIM_400000_NS6detail17trampoline_kernelINS0_14default_configENS1_25partition_config_selectorILNS1_17partition_subalgoE6EyNS0_10empty_typeEbEEZZNS1_14partition_implILS5_6ELb0ES3_mN6thrust23THRUST_200600_302600_NS6detail15normal_iteratorINSA_10device_ptrIyEEEEPS6_SG_NS0_5tupleIJNSA_16discard_iteratorINSA_11use_defaultEEES6_EEENSH_IJSG_SG_EEES6_PlJNSB_9not_fun_tI7is_trueIyEEEEEE10hipError_tPvRmT3_T4_T5_T6_T7_T9_mT8_P12ihipStream_tbDpT10_ENKUlT_T0_E_clISt17integral_constantIbLb1EES1B_EEDaS16_S17_EUlS16_E_NS1_11comp_targetILNS1_3genE4ELNS1_11target_archE910ELNS1_3gpuE8ELNS1_3repE0EEENS1_30default_config_static_selectorELNS0_4arch9wavefront6targetE0EEEvT1_, .Lfunc_end2151-_ZN7rocprim17ROCPRIM_400000_NS6detail17trampoline_kernelINS0_14default_configENS1_25partition_config_selectorILNS1_17partition_subalgoE6EyNS0_10empty_typeEbEEZZNS1_14partition_implILS5_6ELb0ES3_mN6thrust23THRUST_200600_302600_NS6detail15normal_iteratorINSA_10device_ptrIyEEEEPS6_SG_NS0_5tupleIJNSA_16discard_iteratorINSA_11use_defaultEEES6_EEENSH_IJSG_SG_EEES6_PlJNSB_9not_fun_tI7is_trueIyEEEEEE10hipError_tPvRmT3_T4_T5_T6_T7_T9_mT8_P12ihipStream_tbDpT10_ENKUlT_T0_E_clISt17integral_constantIbLb1EES1B_EEDaS16_S17_EUlS16_E_NS1_11comp_targetILNS1_3genE4ELNS1_11target_archE910ELNS1_3gpuE8ELNS1_3repE0EEENS1_30default_config_static_selectorELNS0_4arch9wavefront6targetE0EEEvT1_
                                        ; -- End function
	.set _ZN7rocprim17ROCPRIM_400000_NS6detail17trampoline_kernelINS0_14default_configENS1_25partition_config_selectorILNS1_17partition_subalgoE6EyNS0_10empty_typeEbEEZZNS1_14partition_implILS5_6ELb0ES3_mN6thrust23THRUST_200600_302600_NS6detail15normal_iteratorINSA_10device_ptrIyEEEEPS6_SG_NS0_5tupleIJNSA_16discard_iteratorINSA_11use_defaultEEES6_EEENSH_IJSG_SG_EEES6_PlJNSB_9not_fun_tI7is_trueIyEEEEEE10hipError_tPvRmT3_T4_T5_T6_T7_T9_mT8_P12ihipStream_tbDpT10_ENKUlT_T0_E_clISt17integral_constantIbLb1EES1B_EEDaS16_S17_EUlS16_E_NS1_11comp_targetILNS1_3genE4ELNS1_11target_archE910ELNS1_3gpuE8ELNS1_3repE0EEENS1_30default_config_static_selectorELNS0_4arch9wavefront6targetE0EEEvT1_.num_vgpr, 0
	.set _ZN7rocprim17ROCPRIM_400000_NS6detail17trampoline_kernelINS0_14default_configENS1_25partition_config_selectorILNS1_17partition_subalgoE6EyNS0_10empty_typeEbEEZZNS1_14partition_implILS5_6ELb0ES3_mN6thrust23THRUST_200600_302600_NS6detail15normal_iteratorINSA_10device_ptrIyEEEEPS6_SG_NS0_5tupleIJNSA_16discard_iteratorINSA_11use_defaultEEES6_EEENSH_IJSG_SG_EEES6_PlJNSB_9not_fun_tI7is_trueIyEEEEEE10hipError_tPvRmT3_T4_T5_T6_T7_T9_mT8_P12ihipStream_tbDpT10_ENKUlT_T0_E_clISt17integral_constantIbLb1EES1B_EEDaS16_S17_EUlS16_E_NS1_11comp_targetILNS1_3genE4ELNS1_11target_archE910ELNS1_3gpuE8ELNS1_3repE0EEENS1_30default_config_static_selectorELNS0_4arch9wavefront6targetE0EEEvT1_.num_agpr, 0
	.set _ZN7rocprim17ROCPRIM_400000_NS6detail17trampoline_kernelINS0_14default_configENS1_25partition_config_selectorILNS1_17partition_subalgoE6EyNS0_10empty_typeEbEEZZNS1_14partition_implILS5_6ELb0ES3_mN6thrust23THRUST_200600_302600_NS6detail15normal_iteratorINSA_10device_ptrIyEEEEPS6_SG_NS0_5tupleIJNSA_16discard_iteratorINSA_11use_defaultEEES6_EEENSH_IJSG_SG_EEES6_PlJNSB_9not_fun_tI7is_trueIyEEEEEE10hipError_tPvRmT3_T4_T5_T6_T7_T9_mT8_P12ihipStream_tbDpT10_ENKUlT_T0_E_clISt17integral_constantIbLb1EES1B_EEDaS16_S17_EUlS16_E_NS1_11comp_targetILNS1_3genE4ELNS1_11target_archE910ELNS1_3gpuE8ELNS1_3repE0EEENS1_30default_config_static_selectorELNS0_4arch9wavefront6targetE0EEEvT1_.numbered_sgpr, 0
	.set _ZN7rocprim17ROCPRIM_400000_NS6detail17trampoline_kernelINS0_14default_configENS1_25partition_config_selectorILNS1_17partition_subalgoE6EyNS0_10empty_typeEbEEZZNS1_14partition_implILS5_6ELb0ES3_mN6thrust23THRUST_200600_302600_NS6detail15normal_iteratorINSA_10device_ptrIyEEEEPS6_SG_NS0_5tupleIJNSA_16discard_iteratorINSA_11use_defaultEEES6_EEENSH_IJSG_SG_EEES6_PlJNSB_9not_fun_tI7is_trueIyEEEEEE10hipError_tPvRmT3_T4_T5_T6_T7_T9_mT8_P12ihipStream_tbDpT10_ENKUlT_T0_E_clISt17integral_constantIbLb1EES1B_EEDaS16_S17_EUlS16_E_NS1_11comp_targetILNS1_3genE4ELNS1_11target_archE910ELNS1_3gpuE8ELNS1_3repE0EEENS1_30default_config_static_selectorELNS0_4arch9wavefront6targetE0EEEvT1_.num_named_barrier, 0
	.set _ZN7rocprim17ROCPRIM_400000_NS6detail17trampoline_kernelINS0_14default_configENS1_25partition_config_selectorILNS1_17partition_subalgoE6EyNS0_10empty_typeEbEEZZNS1_14partition_implILS5_6ELb0ES3_mN6thrust23THRUST_200600_302600_NS6detail15normal_iteratorINSA_10device_ptrIyEEEEPS6_SG_NS0_5tupleIJNSA_16discard_iteratorINSA_11use_defaultEEES6_EEENSH_IJSG_SG_EEES6_PlJNSB_9not_fun_tI7is_trueIyEEEEEE10hipError_tPvRmT3_T4_T5_T6_T7_T9_mT8_P12ihipStream_tbDpT10_ENKUlT_T0_E_clISt17integral_constantIbLb1EES1B_EEDaS16_S17_EUlS16_E_NS1_11comp_targetILNS1_3genE4ELNS1_11target_archE910ELNS1_3gpuE8ELNS1_3repE0EEENS1_30default_config_static_selectorELNS0_4arch9wavefront6targetE0EEEvT1_.private_seg_size, 0
	.set _ZN7rocprim17ROCPRIM_400000_NS6detail17trampoline_kernelINS0_14default_configENS1_25partition_config_selectorILNS1_17partition_subalgoE6EyNS0_10empty_typeEbEEZZNS1_14partition_implILS5_6ELb0ES3_mN6thrust23THRUST_200600_302600_NS6detail15normal_iteratorINSA_10device_ptrIyEEEEPS6_SG_NS0_5tupleIJNSA_16discard_iteratorINSA_11use_defaultEEES6_EEENSH_IJSG_SG_EEES6_PlJNSB_9not_fun_tI7is_trueIyEEEEEE10hipError_tPvRmT3_T4_T5_T6_T7_T9_mT8_P12ihipStream_tbDpT10_ENKUlT_T0_E_clISt17integral_constantIbLb1EES1B_EEDaS16_S17_EUlS16_E_NS1_11comp_targetILNS1_3genE4ELNS1_11target_archE910ELNS1_3gpuE8ELNS1_3repE0EEENS1_30default_config_static_selectorELNS0_4arch9wavefront6targetE0EEEvT1_.uses_vcc, 0
	.set _ZN7rocprim17ROCPRIM_400000_NS6detail17trampoline_kernelINS0_14default_configENS1_25partition_config_selectorILNS1_17partition_subalgoE6EyNS0_10empty_typeEbEEZZNS1_14partition_implILS5_6ELb0ES3_mN6thrust23THRUST_200600_302600_NS6detail15normal_iteratorINSA_10device_ptrIyEEEEPS6_SG_NS0_5tupleIJNSA_16discard_iteratorINSA_11use_defaultEEES6_EEENSH_IJSG_SG_EEES6_PlJNSB_9not_fun_tI7is_trueIyEEEEEE10hipError_tPvRmT3_T4_T5_T6_T7_T9_mT8_P12ihipStream_tbDpT10_ENKUlT_T0_E_clISt17integral_constantIbLb1EES1B_EEDaS16_S17_EUlS16_E_NS1_11comp_targetILNS1_3genE4ELNS1_11target_archE910ELNS1_3gpuE8ELNS1_3repE0EEENS1_30default_config_static_selectorELNS0_4arch9wavefront6targetE0EEEvT1_.uses_flat_scratch, 0
	.set _ZN7rocprim17ROCPRIM_400000_NS6detail17trampoline_kernelINS0_14default_configENS1_25partition_config_selectorILNS1_17partition_subalgoE6EyNS0_10empty_typeEbEEZZNS1_14partition_implILS5_6ELb0ES3_mN6thrust23THRUST_200600_302600_NS6detail15normal_iteratorINSA_10device_ptrIyEEEEPS6_SG_NS0_5tupleIJNSA_16discard_iteratorINSA_11use_defaultEEES6_EEENSH_IJSG_SG_EEES6_PlJNSB_9not_fun_tI7is_trueIyEEEEEE10hipError_tPvRmT3_T4_T5_T6_T7_T9_mT8_P12ihipStream_tbDpT10_ENKUlT_T0_E_clISt17integral_constantIbLb1EES1B_EEDaS16_S17_EUlS16_E_NS1_11comp_targetILNS1_3genE4ELNS1_11target_archE910ELNS1_3gpuE8ELNS1_3repE0EEENS1_30default_config_static_selectorELNS0_4arch9wavefront6targetE0EEEvT1_.has_dyn_sized_stack, 0
	.set _ZN7rocprim17ROCPRIM_400000_NS6detail17trampoline_kernelINS0_14default_configENS1_25partition_config_selectorILNS1_17partition_subalgoE6EyNS0_10empty_typeEbEEZZNS1_14partition_implILS5_6ELb0ES3_mN6thrust23THRUST_200600_302600_NS6detail15normal_iteratorINSA_10device_ptrIyEEEEPS6_SG_NS0_5tupleIJNSA_16discard_iteratorINSA_11use_defaultEEES6_EEENSH_IJSG_SG_EEES6_PlJNSB_9not_fun_tI7is_trueIyEEEEEE10hipError_tPvRmT3_T4_T5_T6_T7_T9_mT8_P12ihipStream_tbDpT10_ENKUlT_T0_E_clISt17integral_constantIbLb1EES1B_EEDaS16_S17_EUlS16_E_NS1_11comp_targetILNS1_3genE4ELNS1_11target_archE910ELNS1_3gpuE8ELNS1_3repE0EEENS1_30default_config_static_selectorELNS0_4arch9wavefront6targetE0EEEvT1_.has_recursion, 0
	.set _ZN7rocprim17ROCPRIM_400000_NS6detail17trampoline_kernelINS0_14default_configENS1_25partition_config_selectorILNS1_17partition_subalgoE6EyNS0_10empty_typeEbEEZZNS1_14partition_implILS5_6ELb0ES3_mN6thrust23THRUST_200600_302600_NS6detail15normal_iteratorINSA_10device_ptrIyEEEEPS6_SG_NS0_5tupleIJNSA_16discard_iteratorINSA_11use_defaultEEES6_EEENSH_IJSG_SG_EEES6_PlJNSB_9not_fun_tI7is_trueIyEEEEEE10hipError_tPvRmT3_T4_T5_T6_T7_T9_mT8_P12ihipStream_tbDpT10_ENKUlT_T0_E_clISt17integral_constantIbLb1EES1B_EEDaS16_S17_EUlS16_E_NS1_11comp_targetILNS1_3genE4ELNS1_11target_archE910ELNS1_3gpuE8ELNS1_3repE0EEENS1_30default_config_static_selectorELNS0_4arch9wavefront6targetE0EEEvT1_.has_indirect_call, 0
	.section	.AMDGPU.csdata,"",@progbits
; Kernel info:
; codeLenInByte = 0
; TotalNumSgprs: 0
; NumVgprs: 0
; ScratchSize: 0
; MemoryBound: 0
; FloatMode: 240
; IeeeMode: 1
; LDSByteSize: 0 bytes/workgroup (compile time only)
; SGPRBlocks: 0
; VGPRBlocks: 0
; NumSGPRsForWavesPerEU: 1
; NumVGPRsForWavesPerEU: 1
; Occupancy: 16
; WaveLimiterHint : 0
; COMPUTE_PGM_RSRC2:SCRATCH_EN: 0
; COMPUTE_PGM_RSRC2:USER_SGPR: 2
; COMPUTE_PGM_RSRC2:TRAP_HANDLER: 0
; COMPUTE_PGM_RSRC2:TGID_X_EN: 1
; COMPUTE_PGM_RSRC2:TGID_Y_EN: 0
; COMPUTE_PGM_RSRC2:TGID_Z_EN: 0
; COMPUTE_PGM_RSRC2:TIDIG_COMP_CNT: 0
	.section	.text._ZN7rocprim17ROCPRIM_400000_NS6detail17trampoline_kernelINS0_14default_configENS1_25partition_config_selectorILNS1_17partition_subalgoE6EyNS0_10empty_typeEbEEZZNS1_14partition_implILS5_6ELb0ES3_mN6thrust23THRUST_200600_302600_NS6detail15normal_iteratorINSA_10device_ptrIyEEEEPS6_SG_NS0_5tupleIJNSA_16discard_iteratorINSA_11use_defaultEEES6_EEENSH_IJSG_SG_EEES6_PlJNSB_9not_fun_tI7is_trueIyEEEEEE10hipError_tPvRmT3_T4_T5_T6_T7_T9_mT8_P12ihipStream_tbDpT10_ENKUlT_T0_E_clISt17integral_constantIbLb1EES1B_EEDaS16_S17_EUlS16_E_NS1_11comp_targetILNS1_3genE3ELNS1_11target_archE908ELNS1_3gpuE7ELNS1_3repE0EEENS1_30default_config_static_selectorELNS0_4arch9wavefront6targetE0EEEvT1_,"axG",@progbits,_ZN7rocprim17ROCPRIM_400000_NS6detail17trampoline_kernelINS0_14default_configENS1_25partition_config_selectorILNS1_17partition_subalgoE6EyNS0_10empty_typeEbEEZZNS1_14partition_implILS5_6ELb0ES3_mN6thrust23THRUST_200600_302600_NS6detail15normal_iteratorINSA_10device_ptrIyEEEEPS6_SG_NS0_5tupleIJNSA_16discard_iteratorINSA_11use_defaultEEES6_EEENSH_IJSG_SG_EEES6_PlJNSB_9not_fun_tI7is_trueIyEEEEEE10hipError_tPvRmT3_T4_T5_T6_T7_T9_mT8_P12ihipStream_tbDpT10_ENKUlT_T0_E_clISt17integral_constantIbLb1EES1B_EEDaS16_S17_EUlS16_E_NS1_11comp_targetILNS1_3genE3ELNS1_11target_archE908ELNS1_3gpuE7ELNS1_3repE0EEENS1_30default_config_static_selectorELNS0_4arch9wavefront6targetE0EEEvT1_,comdat
	.protected	_ZN7rocprim17ROCPRIM_400000_NS6detail17trampoline_kernelINS0_14default_configENS1_25partition_config_selectorILNS1_17partition_subalgoE6EyNS0_10empty_typeEbEEZZNS1_14partition_implILS5_6ELb0ES3_mN6thrust23THRUST_200600_302600_NS6detail15normal_iteratorINSA_10device_ptrIyEEEEPS6_SG_NS0_5tupleIJNSA_16discard_iteratorINSA_11use_defaultEEES6_EEENSH_IJSG_SG_EEES6_PlJNSB_9not_fun_tI7is_trueIyEEEEEE10hipError_tPvRmT3_T4_T5_T6_T7_T9_mT8_P12ihipStream_tbDpT10_ENKUlT_T0_E_clISt17integral_constantIbLb1EES1B_EEDaS16_S17_EUlS16_E_NS1_11comp_targetILNS1_3genE3ELNS1_11target_archE908ELNS1_3gpuE7ELNS1_3repE0EEENS1_30default_config_static_selectorELNS0_4arch9wavefront6targetE0EEEvT1_ ; -- Begin function _ZN7rocprim17ROCPRIM_400000_NS6detail17trampoline_kernelINS0_14default_configENS1_25partition_config_selectorILNS1_17partition_subalgoE6EyNS0_10empty_typeEbEEZZNS1_14partition_implILS5_6ELb0ES3_mN6thrust23THRUST_200600_302600_NS6detail15normal_iteratorINSA_10device_ptrIyEEEEPS6_SG_NS0_5tupleIJNSA_16discard_iteratorINSA_11use_defaultEEES6_EEENSH_IJSG_SG_EEES6_PlJNSB_9not_fun_tI7is_trueIyEEEEEE10hipError_tPvRmT3_T4_T5_T6_T7_T9_mT8_P12ihipStream_tbDpT10_ENKUlT_T0_E_clISt17integral_constantIbLb1EES1B_EEDaS16_S17_EUlS16_E_NS1_11comp_targetILNS1_3genE3ELNS1_11target_archE908ELNS1_3gpuE7ELNS1_3repE0EEENS1_30default_config_static_selectorELNS0_4arch9wavefront6targetE0EEEvT1_
	.globl	_ZN7rocprim17ROCPRIM_400000_NS6detail17trampoline_kernelINS0_14default_configENS1_25partition_config_selectorILNS1_17partition_subalgoE6EyNS0_10empty_typeEbEEZZNS1_14partition_implILS5_6ELb0ES3_mN6thrust23THRUST_200600_302600_NS6detail15normal_iteratorINSA_10device_ptrIyEEEEPS6_SG_NS0_5tupleIJNSA_16discard_iteratorINSA_11use_defaultEEES6_EEENSH_IJSG_SG_EEES6_PlJNSB_9not_fun_tI7is_trueIyEEEEEE10hipError_tPvRmT3_T4_T5_T6_T7_T9_mT8_P12ihipStream_tbDpT10_ENKUlT_T0_E_clISt17integral_constantIbLb1EES1B_EEDaS16_S17_EUlS16_E_NS1_11comp_targetILNS1_3genE3ELNS1_11target_archE908ELNS1_3gpuE7ELNS1_3repE0EEENS1_30default_config_static_selectorELNS0_4arch9wavefront6targetE0EEEvT1_
	.p2align	8
	.type	_ZN7rocprim17ROCPRIM_400000_NS6detail17trampoline_kernelINS0_14default_configENS1_25partition_config_selectorILNS1_17partition_subalgoE6EyNS0_10empty_typeEbEEZZNS1_14partition_implILS5_6ELb0ES3_mN6thrust23THRUST_200600_302600_NS6detail15normal_iteratorINSA_10device_ptrIyEEEEPS6_SG_NS0_5tupleIJNSA_16discard_iteratorINSA_11use_defaultEEES6_EEENSH_IJSG_SG_EEES6_PlJNSB_9not_fun_tI7is_trueIyEEEEEE10hipError_tPvRmT3_T4_T5_T6_T7_T9_mT8_P12ihipStream_tbDpT10_ENKUlT_T0_E_clISt17integral_constantIbLb1EES1B_EEDaS16_S17_EUlS16_E_NS1_11comp_targetILNS1_3genE3ELNS1_11target_archE908ELNS1_3gpuE7ELNS1_3repE0EEENS1_30default_config_static_selectorELNS0_4arch9wavefront6targetE0EEEvT1_,@function
_ZN7rocprim17ROCPRIM_400000_NS6detail17trampoline_kernelINS0_14default_configENS1_25partition_config_selectorILNS1_17partition_subalgoE6EyNS0_10empty_typeEbEEZZNS1_14partition_implILS5_6ELb0ES3_mN6thrust23THRUST_200600_302600_NS6detail15normal_iteratorINSA_10device_ptrIyEEEEPS6_SG_NS0_5tupleIJNSA_16discard_iteratorINSA_11use_defaultEEES6_EEENSH_IJSG_SG_EEES6_PlJNSB_9not_fun_tI7is_trueIyEEEEEE10hipError_tPvRmT3_T4_T5_T6_T7_T9_mT8_P12ihipStream_tbDpT10_ENKUlT_T0_E_clISt17integral_constantIbLb1EES1B_EEDaS16_S17_EUlS16_E_NS1_11comp_targetILNS1_3genE3ELNS1_11target_archE908ELNS1_3gpuE7ELNS1_3repE0EEENS1_30default_config_static_selectorELNS0_4arch9wavefront6targetE0EEEvT1_: ; @_ZN7rocprim17ROCPRIM_400000_NS6detail17trampoline_kernelINS0_14default_configENS1_25partition_config_selectorILNS1_17partition_subalgoE6EyNS0_10empty_typeEbEEZZNS1_14partition_implILS5_6ELb0ES3_mN6thrust23THRUST_200600_302600_NS6detail15normal_iteratorINSA_10device_ptrIyEEEEPS6_SG_NS0_5tupleIJNSA_16discard_iteratorINSA_11use_defaultEEES6_EEENSH_IJSG_SG_EEES6_PlJNSB_9not_fun_tI7is_trueIyEEEEEE10hipError_tPvRmT3_T4_T5_T6_T7_T9_mT8_P12ihipStream_tbDpT10_ENKUlT_T0_E_clISt17integral_constantIbLb1EES1B_EEDaS16_S17_EUlS16_E_NS1_11comp_targetILNS1_3genE3ELNS1_11target_archE908ELNS1_3gpuE7ELNS1_3repE0EEENS1_30default_config_static_selectorELNS0_4arch9wavefront6targetE0EEEvT1_
; %bb.0:
	.section	.rodata,"a",@progbits
	.p2align	6, 0x0
	.amdhsa_kernel _ZN7rocprim17ROCPRIM_400000_NS6detail17trampoline_kernelINS0_14default_configENS1_25partition_config_selectorILNS1_17partition_subalgoE6EyNS0_10empty_typeEbEEZZNS1_14partition_implILS5_6ELb0ES3_mN6thrust23THRUST_200600_302600_NS6detail15normal_iteratorINSA_10device_ptrIyEEEEPS6_SG_NS0_5tupleIJNSA_16discard_iteratorINSA_11use_defaultEEES6_EEENSH_IJSG_SG_EEES6_PlJNSB_9not_fun_tI7is_trueIyEEEEEE10hipError_tPvRmT3_T4_T5_T6_T7_T9_mT8_P12ihipStream_tbDpT10_ENKUlT_T0_E_clISt17integral_constantIbLb1EES1B_EEDaS16_S17_EUlS16_E_NS1_11comp_targetILNS1_3genE3ELNS1_11target_archE908ELNS1_3gpuE7ELNS1_3repE0EEENS1_30default_config_static_selectorELNS0_4arch9wavefront6targetE0EEEvT1_
		.amdhsa_group_segment_fixed_size 0
		.amdhsa_private_segment_fixed_size 0
		.amdhsa_kernarg_size 136
		.amdhsa_user_sgpr_count 2
		.amdhsa_user_sgpr_dispatch_ptr 0
		.amdhsa_user_sgpr_queue_ptr 0
		.amdhsa_user_sgpr_kernarg_segment_ptr 1
		.amdhsa_user_sgpr_dispatch_id 0
		.amdhsa_user_sgpr_private_segment_size 0
		.amdhsa_wavefront_size32 1
		.amdhsa_uses_dynamic_stack 0
		.amdhsa_enable_private_segment 0
		.amdhsa_system_sgpr_workgroup_id_x 1
		.amdhsa_system_sgpr_workgroup_id_y 0
		.amdhsa_system_sgpr_workgroup_id_z 0
		.amdhsa_system_sgpr_workgroup_info 0
		.amdhsa_system_vgpr_workitem_id 0
		.amdhsa_next_free_vgpr 1
		.amdhsa_next_free_sgpr 1
		.amdhsa_reserve_vcc 0
		.amdhsa_float_round_mode_32 0
		.amdhsa_float_round_mode_16_64 0
		.amdhsa_float_denorm_mode_32 3
		.amdhsa_float_denorm_mode_16_64 3
		.amdhsa_fp16_overflow 0
		.amdhsa_workgroup_processor_mode 1
		.amdhsa_memory_ordered 1
		.amdhsa_forward_progress 1
		.amdhsa_inst_pref_size 0
		.amdhsa_round_robin_scheduling 0
		.amdhsa_exception_fp_ieee_invalid_op 0
		.amdhsa_exception_fp_denorm_src 0
		.amdhsa_exception_fp_ieee_div_zero 0
		.amdhsa_exception_fp_ieee_overflow 0
		.amdhsa_exception_fp_ieee_underflow 0
		.amdhsa_exception_fp_ieee_inexact 0
		.amdhsa_exception_int_div_zero 0
	.end_amdhsa_kernel
	.section	.text._ZN7rocprim17ROCPRIM_400000_NS6detail17trampoline_kernelINS0_14default_configENS1_25partition_config_selectorILNS1_17partition_subalgoE6EyNS0_10empty_typeEbEEZZNS1_14partition_implILS5_6ELb0ES3_mN6thrust23THRUST_200600_302600_NS6detail15normal_iteratorINSA_10device_ptrIyEEEEPS6_SG_NS0_5tupleIJNSA_16discard_iteratorINSA_11use_defaultEEES6_EEENSH_IJSG_SG_EEES6_PlJNSB_9not_fun_tI7is_trueIyEEEEEE10hipError_tPvRmT3_T4_T5_T6_T7_T9_mT8_P12ihipStream_tbDpT10_ENKUlT_T0_E_clISt17integral_constantIbLb1EES1B_EEDaS16_S17_EUlS16_E_NS1_11comp_targetILNS1_3genE3ELNS1_11target_archE908ELNS1_3gpuE7ELNS1_3repE0EEENS1_30default_config_static_selectorELNS0_4arch9wavefront6targetE0EEEvT1_,"axG",@progbits,_ZN7rocprim17ROCPRIM_400000_NS6detail17trampoline_kernelINS0_14default_configENS1_25partition_config_selectorILNS1_17partition_subalgoE6EyNS0_10empty_typeEbEEZZNS1_14partition_implILS5_6ELb0ES3_mN6thrust23THRUST_200600_302600_NS6detail15normal_iteratorINSA_10device_ptrIyEEEEPS6_SG_NS0_5tupleIJNSA_16discard_iteratorINSA_11use_defaultEEES6_EEENSH_IJSG_SG_EEES6_PlJNSB_9not_fun_tI7is_trueIyEEEEEE10hipError_tPvRmT3_T4_T5_T6_T7_T9_mT8_P12ihipStream_tbDpT10_ENKUlT_T0_E_clISt17integral_constantIbLb1EES1B_EEDaS16_S17_EUlS16_E_NS1_11comp_targetILNS1_3genE3ELNS1_11target_archE908ELNS1_3gpuE7ELNS1_3repE0EEENS1_30default_config_static_selectorELNS0_4arch9wavefront6targetE0EEEvT1_,comdat
.Lfunc_end2152:
	.size	_ZN7rocprim17ROCPRIM_400000_NS6detail17trampoline_kernelINS0_14default_configENS1_25partition_config_selectorILNS1_17partition_subalgoE6EyNS0_10empty_typeEbEEZZNS1_14partition_implILS5_6ELb0ES3_mN6thrust23THRUST_200600_302600_NS6detail15normal_iteratorINSA_10device_ptrIyEEEEPS6_SG_NS0_5tupleIJNSA_16discard_iteratorINSA_11use_defaultEEES6_EEENSH_IJSG_SG_EEES6_PlJNSB_9not_fun_tI7is_trueIyEEEEEE10hipError_tPvRmT3_T4_T5_T6_T7_T9_mT8_P12ihipStream_tbDpT10_ENKUlT_T0_E_clISt17integral_constantIbLb1EES1B_EEDaS16_S17_EUlS16_E_NS1_11comp_targetILNS1_3genE3ELNS1_11target_archE908ELNS1_3gpuE7ELNS1_3repE0EEENS1_30default_config_static_selectorELNS0_4arch9wavefront6targetE0EEEvT1_, .Lfunc_end2152-_ZN7rocprim17ROCPRIM_400000_NS6detail17trampoline_kernelINS0_14default_configENS1_25partition_config_selectorILNS1_17partition_subalgoE6EyNS0_10empty_typeEbEEZZNS1_14partition_implILS5_6ELb0ES3_mN6thrust23THRUST_200600_302600_NS6detail15normal_iteratorINSA_10device_ptrIyEEEEPS6_SG_NS0_5tupleIJNSA_16discard_iteratorINSA_11use_defaultEEES6_EEENSH_IJSG_SG_EEES6_PlJNSB_9not_fun_tI7is_trueIyEEEEEE10hipError_tPvRmT3_T4_T5_T6_T7_T9_mT8_P12ihipStream_tbDpT10_ENKUlT_T0_E_clISt17integral_constantIbLb1EES1B_EEDaS16_S17_EUlS16_E_NS1_11comp_targetILNS1_3genE3ELNS1_11target_archE908ELNS1_3gpuE7ELNS1_3repE0EEENS1_30default_config_static_selectorELNS0_4arch9wavefront6targetE0EEEvT1_
                                        ; -- End function
	.set _ZN7rocprim17ROCPRIM_400000_NS6detail17trampoline_kernelINS0_14default_configENS1_25partition_config_selectorILNS1_17partition_subalgoE6EyNS0_10empty_typeEbEEZZNS1_14partition_implILS5_6ELb0ES3_mN6thrust23THRUST_200600_302600_NS6detail15normal_iteratorINSA_10device_ptrIyEEEEPS6_SG_NS0_5tupleIJNSA_16discard_iteratorINSA_11use_defaultEEES6_EEENSH_IJSG_SG_EEES6_PlJNSB_9not_fun_tI7is_trueIyEEEEEE10hipError_tPvRmT3_T4_T5_T6_T7_T9_mT8_P12ihipStream_tbDpT10_ENKUlT_T0_E_clISt17integral_constantIbLb1EES1B_EEDaS16_S17_EUlS16_E_NS1_11comp_targetILNS1_3genE3ELNS1_11target_archE908ELNS1_3gpuE7ELNS1_3repE0EEENS1_30default_config_static_selectorELNS0_4arch9wavefront6targetE0EEEvT1_.num_vgpr, 0
	.set _ZN7rocprim17ROCPRIM_400000_NS6detail17trampoline_kernelINS0_14default_configENS1_25partition_config_selectorILNS1_17partition_subalgoE6EyNS0_10empty_typeEbEEZZNS1_14partition_implILS5_6ELb0ES3_mN6thrust23THRUST_200600_302600_NS6detail15normal_iteratorINSA_10device_ptrIyEEEEPS6_SG_NS0_5tupleIJNSA_16discard_iteratorINSA_11use_defaultEEES6_EEENSH_IJSG_SG_EEES6_PlJNSB_9not_fun_tI7is_trueIyEEEEEE10hipError_tPvRmT3_T4_T5_T6_T7_T9_mT8_P12ihipStream_tbDpT10_ENKUlT_T0_E_clISt17integral_constantIbLb1EES1B_EEDaS16_S17_EUlS16_E_NS1_11comp_targetILNS1_3genE3ELNS1_11target_archE908ELNS1_3gpuE7ELNS1_3repE0EEENS1_30default_config_static_selectorELNS0_4arch9wavefront6targetE0EEEvT1_.num_agpr, 0
	.set _ZN7rocprim17ROCPRIM_400000_NS6detail17trampoline_kernelINS0_14default_configENS1_25partition_config_selectorILNS1_17partition_subalgoE6EyNS0_10empty_typeEbEEZZNS1_14partition_implILS5_6ELb0ES3_mN6thrust23THRUST_200600_302600_NS6detail15normal_iteratorINSA_10device_ptrIyEEEEPS6_SG_NS0_5tupleIJNSA_16discard_iteratorINSA_11use_defaultEEES6_EEENSH_IJSG_SG_EEES6_PlJNSB_9not_fun_tI7is_trueIyEEEEEE10hipError_tPvRmT3_T4_T5_T6_T7_T9_mT8_P12ihipStream_tbDpT10_ENKUlT_T0_E_clISt17integral_constantIbLb1EES1B_EEDaS16_S17_EUlS16_E_NS1_11comp_targetILNS1_3genE3ELNS1_11target_archE908ELNS1_3gpuE7ELNS1_3repE0EEENS1_30default_config_static_selectorELNS0_4arch9wavefront6targetE0EEEvT1_.numbered_sgpr, 0
	.set _ZN7rocprim17ROCPRIM_400000_NS6detail17trampoline_kernelINS0_14default_configENS1_25partition_config_selectorILNS1_17partition_subalgoE6EyNS0_10empty_typeEbEEZZNS1_14partition_implILS5_6ELb0ES3_mN6thrust23THRUST_200600_302600_NS6detail15normal_iteratorINSA_10device_ptrIyEEEEPS6_SG_NS0_5tupleIJNSA_16discard_iteratorINSA_11use_defaultEEES6_EEENSH_IJSG_SG_EEES6_PlJNSB_9not_fun_tI7is_trueIyEEEEEE10hipError_tPvRmT3_T4_T5_T6_T7_T9_mT8_P12ihipStream_tbDpT10_ENKUlT_T0_E_clISt17integral_constantIbLb1EES1B_EEDaS16_S17_EUlS16_E_NS1_11comp_targetILNS1_3genE3ELNS1_11target_archE908ELNS1_3gpuE7ELNS1_3repE0EEENS1_30default_config_static_selectorELNS0_4arch9wavefront6targetE0EEEvT1_.num_named_barrier, 0
	.set _ZN7rocprim17ROCPRIM_400000_NS6detail17trampoline_kernelINS0_14default_configENS1_25partition_config_selectorILNS1_17partition_subalgoE6EyNS0_10empty_typeEbEEZZNS1_14partition_implILS5_6ELb0ES3_mN6thrust23THRUST_200600_302600_NS6detail15normal_iteratorINSA_10device_ptrIyEEEEPS6_SG_NS0_5tupleIJNSA_16discard_iteratorINSA_11use_defaultEEES6_EEENSH_IJSG_SG_EEES6_PlJNSB_9not_fun_tI7is_trueIyEEEEEE10hipError_tPvRmT3_T4_T5_T6_T7_T9_mT8_P12ihipStream_tbDpT10_ENKUlT_T0_E_clISt17integral_constantIbLb1EES1B_EEDaS16_S17_EUlS16_E_NS1_11comp_targetILNS1_3genE3ELNS1_11target_archE908ELNS1_3gpuE7ELNS1_3repE0EEENS1_30default_config_static_selectorELNS0_4arch9wavefront6targetE0EEEvT1_.private_seg_size, 0
	.set _ZN7rocprim17ROCPRIM_400000_NS6detail17trampoline_kernelINS0_14default_configENS1_25partition_config_selectorILNS1_17partition_subalgoE6EyNS0_10empty_typeEbEEZZNS1_14partition_implILS5_6ELb0ES3_mN6thrust23THRUST_200600_302600_NS6detail15normal_iteratorINSA_10device_ptrIyEEEEPS6_SG_NS0_5tupleIJNSA_16discard_iteratorINSA_11use_defaultEEES6_EEENSH_IJSG_SG_EEES6_PlJNSB_9not_fun_tI7is_trueIyEEEEEE10hipError_tPvRmT3_T4_T5_T6_T7_T9_mT8_P12ihipStream_tbDpT10_ENKUlT_T0_E_clISt17integral_constantIbLb1EES1B_EEDaS16_S17_EUlS16_E_NS1_11comp_targetILNS1_3genE3ELNS1_11target_archE908ELNS1_3gpuE7ELNS1_3repE0EEENS1_30default_config_static_selectorELNS0_4arch9wavefront6targetE0EEEvT1_.uses_vcc, 0
	.set _ZN7rocprim17ROCPRIM_400000_NS6detail17trampoline_kernelINS0_14default_configENS1_25partition_config_selectorILNS1_17partition_subalgoE6EyNS0_10empty_typeEbEEZZNS1_14partition_implILS5_6ELb0ES3_mN6thrust23THRUST_200600_302600_NS6detail15normal_iteratorINSA_10device_ptrIyEEEEPS6_SG_NS0_5tupleIJNSA_16discard_iteratorINSA_11use_defaultEEES6_EEENSH_IJSG_SG_EEES6_PlJNSB_9not_fun_tI7is_trueIyEEEEEE10hipError_tPvRmT3_T4_T5_T6_T7_T9_mT8_P12ihipStream_tbDpT10_ENKUlT_T0_E_clISt17integral_constantIbLb1EES1B_EEDaS16_S17_EUlS16_E_NS1_11comp_targetILNS1_3genE3ELNS1_11target_archE908ELNS1_3gpuE7ELNS1_3repE0EEENS1_30default_config_static_selectorELNS0_4arch9wavefront6targetE0EEEvT1_.uses_flat_scratch, 0
	.set _ZN7rocprim17ROCPRIM_400000_NS6detail17trampoline_kernelINS0_14default_configENS1_25partition_config_selectorILNS1_17partition_subalgoE6EyNS0_10empty_typeEbEEZZNS1_14partition_implILS5_6ELb0ES3_mN6thrust23THRUST_200600_302600_NS6detail15normal_iteratorINSA_10device_ptrIyEEEEPS6_SG_NS0_5tupleIJNSA_16discard_iteratorINSA_11use_defaultEEES6_EEENSH_IJSG_SG_EEES6_PlJNSB_9not_fun_tI7is_trueIyEEEEEE10hipError_tPvRmT3_T4_T5_T6_T7_T9_mT8_P12ihipStream_tbDpT10_ENKUlT_T0_E_clISt17integral_constantIbLb1EES1B_EEDaS16_S17_EUlS16_E_NS1_11comp_targetILNS1_3genE3ELNS1_11target_archE908ELNS1_3gpuE7ELNS1_3repE0EEENS1_30default_config_static_selectorELNS0_4arch9wavefront6targetE0EEEvT1_.has_dyn_sized_stack, 0
	.set _ZN7rocprim17ROCPRIM_400000_NS6detail17trampoline_kernelINS0_14default_configENS1_25partition_config_selectorILNS1_17partition_subalgoE6EyNS0_10empty_typeEbEEZZNS1_14partition_implILS5_6ELb0ES3_mN6thrust23THRUST_200600_302600_NS6detail15normal_iteratorINSA_10device_ptrIyEEEEPS6_SG_NS0_5tupleIJNSA_16discard_iteratorINSA_11use_defaultEEES6_EEENSH_IJSG_SG_EEES6_PlJNSB_9not_fun_tI7is_trueIyEEEEEE10hipError_tPvRmT3_T4_T5_T6_T7_T9_mT8_P12ihipStream_tbDpT10_ENKUlT_T0_E_clISt17integral_constantIbLb1EES1B_EEDaS16_S17_EUlS16_E_NS1_11comp_targetILNS1_3genE3ELNS1_11target_archE908ELNS1_3gpuE7ELNS1_3repE0EEENS1_30default_config_static_selectorELNS0_4arch9wavefront6targetE0EEEvT1_.has_recursion, 0
	.set _ZN7rocprim17ROCPRIM_400000_NS6detail17trampoline_kernelINS0_14default_configENS1_25partition_config_selectorILNS1_17partition_subalgoE6EyNS0_10empty_typeEbEEZZNS1_14partition_implILS5_6ELb0ES3_mN6thrust23THRUST_200600_302600_NS6detail15normal_iteratorINSA_10device_ptrIyEEEEPS6_SG_NS0_5tupleIJNSA_16discard_iteratorINSA_11use_defaultEEES6_EEENSH_IJSG_SG_EEES6_PlJNSB_9not_fun_tI7is_trueIyEEEEEE10hipError_tPvRmT3_T4_T5_T6_T7_T9_mT8_P12ihipStream_tbDpT10_ENKUlT_T0_E_clISt17integral_constantIbLb1EES1B_EEDaS16_S17_EUlS16_E_NS1_11comp_targetILNS1_3genE3ELNS1_11target_archE908ELNS1_3gpuE7ELNS1_3repE0EEENS1_30default_config_static_selectorELNS0_4arch9wavefront6targetE0EEEvT1_.has_indirect_call, 0
	.section	.AMDGPU.csdata,"",@progbits
; Kernel info:
; codeLenInByte = 0
; TotalNumSgprs: 0
; NumVgprs: 0
; ScratchSize: 0
; MemoryBound: 0
; FloatMode: 240
; IeeeMode: 1
; LDSByteSize: 0 bytes/workgroup (compile time only)
; SGPRBlocks: 0
; VGPRBlocks: 0
; NumSGPRsForWavesPerEU: 1
; NumVGPRsForWavesPerEU: 1
; Occupancy: 16
; WaveLimiterHint : 0
; COMPUTE_PGM_RSRC2:SCRATCH_EN: 0
; COMPUTE_PGM_RSRC2:USER_SGPR: 2
; COMPUTE_PGM_RSRC2:TRAP_HANDLER: 0
; COMPUTE_PGM_RSRC2:TGID_X_EN: 1
; COMPUTE_PGM_RSRC2:TGID_Y_EN: 0
; COMPUTE_PGM_RSRC2:TGID_Z_EN: 0
; COMPUTE_PGM_RSRC2:TIDIG_COMP_CNT: 0
	.section	.text._ZN7rocprim17ROCPRIM_400000_NS6detail17trampoline_kernelINS0_14default_configENS1_25partition_config_selectorILNS1_17partition_subalgoE6EyNS0_10empty_typeEbEEZZNS1_14partition_implILS5_6ELb0ES3_mN6thrust23THRUST_200600_302600_NS6detail15normal_iteratorINSA_10device_ptrIyEEEEPS6_SG_NS0_5tupleIJNSA_16discard_iteratorINSA_11use_defaultEEES6_EEENSH_IJSG_SG_EEES6_PlJNSB_9not_fun_tI7is_trueIyEEEEEE10hipError_tPvRmT3_T4_T5_T6_T7_T9_mT8_P12ihipStream_tbDpT10_ENKUlT_T0_E_clISt17integral_constantIbLb1EES1B_EEDaS16_S17_EUlS16_E_NS1_11comp_targetILNS1_3genE2ELNS1_11target_archE906ELNS1_3gpuE6ELNS1_3repE0EEENS1_30default_config_static_selectorELNS0_4arch9wavefront6targetE0EEEvT1_,"axG",@progbits,_ZN7rocprim17ROCPRIM_400000_NS6detail17trampoline_kernelINS0_14default_configENS1_25partition_config_selectorILNS1_17partition_subalgoE6EyNS0_10empty_typeEbEEZZNS1_14partition_implILS5_6ELb0ES3_mN6thrust23THRUST_200600_302600_NS6detail15normal_iteratorINSA_10device_ptrIyEEEEPS6_SG_NS0_5tupleIJNSA_16discard_iteratorINSA_11use_defaultEEES6_EEENSH_IJSG_SG_EEES6_PlJNSB_9not_fun_tI7is_trueIyEEEEEE10hipError_tPvRmT3_T4_T5_T6_T7_T9_mT8_P12ihipStream_tbDpT10_ENKUlT_T0_E_clISt17integral_constantIbLb1EES1B_EEDaS16_S17_EUlS16_E_NS1_11comp_targetILNS1_3genE2ELNS1_11target_archE906ELNS1_3gpuE6ELNS1_3repE0EEENS1_30default_config_static_selectorELNS0_4arch9wavefront6targetE0EEEvT1_,comdat
	.protected	_ZN7rocprim17ROCPRIM_400000_NS6detail17trampoline_kernelINS0_14default_configENS1_25partition_config_selectorILNS1_17partition_subalgoE6EyNS0_10empty_typeEbEEZZNS1_14partition_implILS5_6ELb0ES3_mN6thrust23THRUST_200600_302600_NS6detail15normal_iteratorINSA_10device_ptrIyEEEEPS6_SG_NS0_5tupleIJNSA_16discard_iteratorINSA_11use_defaultEEES6_EEENSH_IJSG_SG_EEES6_PlJNSB_9not_fun_tI7is_trueIyEEEEEE10hipError_tPvRmT3_T4_T5_T6_T7_T9_mT8_P12ihipStream_tbDpT10_ENKUlT_T0_E_clISt17integral_constantIbLb1EES1B_EEDaS16_S17_EUlS16_E_NS1_11comp_targetILNS1_3genE2ELNS1_11target_archE906ELNS1_3gpuE6ELNS1_3repE0EEENS1_30default_config_static_selectorELNS0_4arch9wavefront6targetE0EEEvT1_ ; -- Begin function _ZN7rocprim17ROCPRIM_400000_NS6detail17trampoline_kernelINS0_14default_configENS1_25partition_config_selectorILNS1_17partition_subalgoE6EyNS0_10empty_typeEbEEZZNS1_14partition_implILS5_6ELb0ES3_mN6thrust23THRUST_200600_302600_NS6detail15normal_iteratorINSA_10device_ptrIyEEEEPS6_SG_NS0_5tupleIJNSA_16discard_iteratorINSA_11use_defaultEEES6_EEENSH_IJSG_SG_EEES6_PlJNSB_9not_fun_tI7is_trueIyEEEEEE10hipError_tPvRmT3_T4_T5_T6_T7_T9_mT8_P12ihipStream_tbDpT10_ENKUlT_T0_E_clISt17integral_constantIbLb1EES1B_EEDaS16_S17_EUlS16_E_NS1_11comp_targetILNS1_3genE2ELNS1_11target_archE906ELNS1_3gpuE6ELNS1_3repE0EEENS1_30default_config_static_selectorELNS0_4arch9wavefront6targetE0EEEvT1_
	.globl	_ZN7rocprim17ROCPRIM_400000_NS6detail17trampoline_kernelINS0_14default_configENS1_25partition_config_selectorILNS1_17partition_subalgoE6EyNS0_10empty_typeEbEEZZNS1_14partition_implILS5_6ELb0ES3_mN6thrust23THRUST_200600_302600_NS6detail15normal_iteratorINSA_10device_ptrIyEEEEPS6_SG_NS0_5tupleIJNSA_16discard_iteratorINSA_11use_defaultEEES6_EEENSH_IJSG_SG_EEES6_PlJNSB_9not_fun_tI7is_trueIyEEEEEE10hipError_tPvRmT3_T4_T5_T6_T7_T9_mT8_P12ihipStream_tbDpT10_ENKUlT_T0_E_clISt17integral_constantIbLb1EES1B_EEDaS16_S17_EUlS16_E_NS1_11comp_targetILNS1_3genE2ELNS1_11target_archE906ELNS1_3gpuE6ELNS1_3repE0EEENS1_30default_config_static_selectorELNS0_4arch9wavefront6targetE0EEEvT1_
	.p2align	8
	.type	_ZN7rocprim17ROCPRIM_400000_NS6detail17trampoline_kernelINS0_14default_configENS1_25partition_config_selectorILNS1_17partition_subalgoE6EyNS0_10empty_typeEbEEZZNS1_14partition_implILS5_6ELb0ES3_mN6thrust23THRUST_200600_302600_NS6detail15normal_iteratorINSA_10device_ptrIyEEEEPS6_SG_NS0_5tupleIJNSA_16discard_iteratorINSA_11use_defaultEEES6_EEENSH_IJSG_SG_EEES6_PlJNSB_9not_fun_tI7is_trueIyEEEEEE10hipError_tPvRmT3_T4_T5_T6_T7_T9_mT8_P12ihipStream_tbDpT10_ENKUlT_T0_E_clISt17integral_constantIbLb1EES1B_EEDaS16_S17_EUlS16_E_NS1_11comp_targetILNS1_3genE2ELNS1_11target_archE906ELNS1_3gpuE6ELNS1_3repE0EEENS1_30default_config_static_selectorELNS0_4arch9wavefront6targetE0EEEvT1_,@function
_ZN7rocprim17ROCPRIM_400000_NS6detail17trampoline_kernelINS0_14default_configENS1_25partition_config_selectorILNS1_17partition_subalgoE6EyNS0_10empty_typeEbEEZZNS1_14partition_implILS5_6ELb0ES3_mN6thrust23THRUST_200600_302600_NS6detail15normal_iteratorINSA_10device_ptrIyEEEEPS6_SG_NS0_5tupleIJNSA_16discard_iteratorINSA_11use_defaultEEES6_EEENSH_IJSG_SG_EEES6_PlJNSB_9not_fun_tI7is_trueIyEEEEEE10hipError_tPvRmT3_T4_T5_T6_T7_T9_mT8_P12ihipStream_tbDpT10_ENKUlT_T0_E_clISt17integral_constantIbLb1EES1B_EEDaS16_S17_EUlS16_E_NS1_11comp_targetILNS1_3genE2ELNS1_11target_archE906ELNS1_3gpuE6ELNS1_3repE0EEENS1_30default_config_static_selectorELNS0_4arch9wavefront6targetE0EEEvT1_: ; @_ZN7rocprim17ROCPRIM_400000_NS6detail17trampoline_kernelINS0_14default_configENS1_25partition_config_selectorILNS1_17partition_subalgoE6EyNS0_10empty_typeEbEEZZNS1_14partition_implILS5_6ELb0ES3_mN6thrust23THRUST_200600_302600_NS6detail15normal_iteratorINSA_10device_ptrIyEEEEPS6_SG_NS0_5tupleIJNSA_16discard_iteratorINSA_11use_defaultEEES6_EEENSH_IJSG_SG_EEES6_PlJNSB_9not_fun_tI7is_trueIyEEEEEE10hipError_tPvRmT3_T4_T5_T6_T7_T9_mT8_P12ihipStream_tbDpT10_ENKUlT_T0_E_clISt17integral_constantIbLb1EES1B_EEDaS16_S17_EUlS16_E_NS1_11comp_targetILNS1_3genE2ELNS1_11target_archE906ELNS1_3gpuE6ELNS1_3repE0EEENS1_30default_config_static_selectorELNS0_4arch9wavefront6targetE0EEEvT1_
; %bb.0:
	.section	.rodata,"a",@progbits
	.p2align	6, 0x0
	.amdhsa_kernel _ZN7rocprim17ROCPRIM_400000_NS6detail17trampoline_kernelINS0_14default_configENS1_25partition_config_selectorILNS1_17partition_subalgoE6EyNS0_10empty_typeEbEEZZNS1_14partition_implILS5_6ELb0ES3_mN6thrust23THRUST_200600_302600_NS6detail15normal_iteratorINSA_10device_ptrIyEEEEPS6_SG_NS0_5tupleIJNSA_16discard_iteratorINSA_11use_defaultEEES6_EEENSH_IJSG_SG_EEES6_PlJNSB_9not_fun_tI7is_trueIyEEEEEE10hipError_tPvRmT3_T4_T5_T6_T7_T9_mT8_P12ihipStream_tbDpT10_ENKUlT_T0_E_clISt17integral_constantIbLb1EES1B_EEDaS16_S17_EUlS16_E_NS1_11comp_targetILNS1_3genE2ELNS1_11target_archE906ELNS1_3gpuE6ELNS1_3repE0EEENS1_30default_config_static_selectorELNS0_4arch9wavefront6targetE0EEEvT1_
		.amdhsa_group_segment_fixed_size 0
		.amdhsa_private_segment_fixed_size 0
		.amdhsa_kernarg_size 136
		.amdhsa_user_sgpr_count 2
		.amdhsa_user_sgpr_dispatch_ptr 0
		.amdhsa_user_sgpr_queue_ptr 0
		.amdhsa_user_sgpr_kernarg_segment_ptr 1
		.amdhsa_user_sgpr_dispatch_id 0
		.amdhsa_user_sgpr_private_segment_size 0
		.amdhsa_wavefront_size32 1
		.amdhsa_uses_dynamic_stack 0
		.amdhsa_enable_private_segment 0
		.amdhsa_system_sgpr_workgroup_id_x 1
		.amdhsa_system_sgpr_workgroup_id_y 0
		.amdhsa_system_sgpr_workgroup_id_z 0
		.amdhsa_system_sgpr_workgroup_info 0
		.amdhsa_system_vgpr_workitem_id 0
		.amdhsa_next_free_vgpr 1
		.amdhsa_next_free_sgpr 1
		.amdhsa_reserve_vcc 0
		.amdhsa_float_round_mode_32 0
		.amdhsa_float_round_mode_16_64 0
		.amdhsa_float_denorm_mode_32 3
		.amdhsa_float_denorm_mode_16_64 3
		.amdhsa_fp16_overflow 0
		.amdhsa_workgroup_processor_mode 1
		.amdhsa_memory_ordered 1
		.amdhsa_forward_progress 1
		.amdhsa_inst_pref_size 0
		.amdhsa_round_robin_scheduling 0
		.amdhsa_exception_fp_ieee_invalid_op 0
		.amdhsa_exception_fp_denorm_src 0
		.amdhsa_exception_fp_ieee_div_zero 0
		.amdhsa_exception_fp_ieee_overflow 0
		.amdhsa_exception_fp_ieee_underflow 0
		.amdhsa_exception_fp_ieee_inexact 0
		.amdhsa_exception_int_div_zero 0
	.end_amdhsa_kernel
	.section	.text._ZN7rocprim17ROCPRIM_400000_NS6detail17trampoline_kernelINS0_14default_configENS1_25partition_config_selectorILNS1_17partition_subalgoE6EyNS0_10empty_typeEbEEZZNS1_14partition_implILS5_6ELb0ES3_mN6thrust23THRUST_200600_302600_NS6detail15normal_iteratorINSA_10device_ptrIyEEEEPS6_SG_NS0_5tupleIJNSA_16discard_iteratorINSA_11use_defaultEEES6_EEENSH_IJSG_SG_EEES6_PlJNSB_9not_fun_tI7is_trueIyEEEEEE10hipError_tPvRmT3_T4_T5_T6_T7_T9_mT8_P12ihipStream_tbDpT10_ENKUlT_T0_E_clISt17integral_constantIbLb1EES1B_EEDaS16_S17_EUlS16_E_NS1_11comp_targetILNS1_3genE2ELNS1_11target_archE906ELNS1_3gpuE6ELNS1_3repE0EEENS1_30default_config_static_selectorELNS0_4arch9wavefront6targetE0EEEvT1_,"axG",@progbits,_ZN7rocprim17ROCPRIM_400000_NS6detail17trampoline_kernelINS0_14default_configENS1_25partition_config_selectorILNS1_17partition_subalgoE6EyNS0_10empty_typeEbEEZZNS1_14partition_implILS5_6ELb0ES3_mN6thrust23THRUST_200600_302600_NS6detail15normal_iteratorINSA_10device_ptrIyEEEEPS6_SG_NS0_5tupleIJNSA_16discard_iteratorINSA_11use_defaultEEES6_EEENSH_IJSG_SG_EEES6_PlJNSB_9not_fun_tI7is_trueIyEEEEEE10hipError_tPvRmT3_T4_T5_T6_T7_T9_mT8_P12ihipStream_tbDpT10_ENKUlT_T0_E_clISt17integral_constantIbLb1EES1B_EEDaS16_S17_EUlS16_E_NS1_11comp_targetILNS1_3genE2ELNS1_11target_archE906ELNS1_3gpuE6ELNS1_3repE0EEENS1_30default_config_static_selectorELNS0_4arch9wavefront6targetE0EEEvT1_,comdat
.Lfunc_end2153:
	.size	_ZN7rocprim17ROCPRIM_400000_NS6detail17trampoline_kernelINS0_14default_configENS1_25partition_config_selectorILNS1_17partition_subalgoE6EyNS0_10empty_typeEbEEZZNS1_14partition_implILS5_6ELb0ES3_mN6thrust23THRUST_200600_302600_NS6detail15normal_iteratorINSA_10device_ptrIyEEEEPS6_SG_NS0_5tupleIJNSA_16discard_iteratorINSA_11use_defaultEEES6_EEENSH_IJSG_SG_EEES6_PlJNSB_9not_fun_tI7is_trueIyEEEEEE10hipError_tPvRmT3_T4_T5_T6_T7_T9_mT8_P12ihipStream_tbDpT10_ENKUlT_T0_E_clISt17integral_constantIbLb1EES1B_EEDaS16_S17_EUlS16_E_NS1_11comp_targetILNS1_3genE2ELNS1_11target_archE906ELNS1_3gpuE6ELNS1_3repE0EEENS1_30default_config_static_selectorELNS0_4arch9wavefront6targetE0EEEvT1_, .Lfunc_end2153-_ZN7rocprim17ROCPRIM_400000_NS6detail17trampoline_kernelINS0_14default_configENS1_25partition_config_selectorILNS1_17partition_subalgoE6EyNS0_10empty_typeEbEEZZNS1_14partition_implILS5_6ELb0ES3_mN6thrust23THRUST_200600_302600_NS6detail15normal_iteratorINSA_10device_ptrIyEEEEPS6_SG_NS0_5tupleIJNSA_16discard_iteratorINSA_11use_defaultEEES6_EEENSH_IJSG_SG_EEES6_PlJNSB_9not_fun_tI7is_trueIyEEEEEE10hipError_tPvRmT3_T4_T5_T6_T7_T9_mT8_P12ihipStream_tbDpT10_ENKUlT_T0_E_clISt17integral_constantIbLb1EES1B_EEDaS16_S17_EUlS16_E_NS1_11comp_targetILNS1_3genE2ELNS1_11target_archE906ELNS1_3gpuE6ELNS1_3repE0EEENS1_30default_config_static_selectorELNS0_4arch9wavefront6targetE0EEEvT1_
                                        ; -- End function
	.set _ZN7rocprim17ROCPRIM_400000_NS6detail17trampoline_kernelINS0_14default_configENS1_25partition_config_selectorILNS1_17partition_subalgoE6EyNS0_10empty_typeEbEEZZNS1_14partition_implILS5_6ELb0ES3_mN6thrust23THRUST_200600_302600_NS6detail15normal_iteratorINSA_10device_ptrIyEEEEPS6_SG_NS0_5tupleIJNSA_16discard_iteratorINSA_11use_defaultEEES6_EEENSH_IJSG_SG_EEES6_PlJNSB_9not_fun_tI7is_trueIyEEEEEE10hipError_tPvRmT3_T4_T5_T6_T7_T9_mT8_P12ihipStream_tbDpT10_ENKUlT_T0_E_clISt17integral_constantIbLb1EES1B_EEDaS16_S17_EUlS16_E_NS1_11comp_targetILNS1_3genE2ELNS1_11target_archE906ELNS1_3gpuE6ELNS1_3repE0EEENS1_30default_config_static_selectorELNS0_4arch9wavefront6targetE0EEEvT1_.num_vgpr, 0
	.set _ZN7rocprim17ROCPRIM_400000_NS6detail17trampoline_kernelINS0_14default_configENS1_25partition_config_selectorILNS1_17partition_subalgoE6EyNS0_10empty_typeEbEEZZNS1_14partition_implILS5_6ELb0ES3_mN6thrust23THRUST_200600_302600_NS6detail15normal_iteratorINSA_10device_ptrIyEEEEPS6_SG_NS0_5tupleIJNSA_16discard_iteratorINSA_11use_defaultEEES6_EEENSH_IJSG_SG_EEES6_PlJNSB_9not_fun_tI7is_trueIyEEEEEE10hipError_tPvRmT3_T4_T5_T6_T7_T9_mT8_P12ihipStream_tbDpT10_ENKUlT_T0_E_clISt17integral_constantIbLb1EES1B_EEDaS16_S17_EUlS16_E_NS1_11comp_targetILNS1_3genE2ELNS1_11target_archE906ELNS1_3gpuE6ELNS1_3repE0EEENS1_30default_config_static_selectorELNS0_4arch9wavefront6targetE0EEEvT1_.num_agpr, 0
	.set _ZN7rocprim17ROCPRIM_400000_NS6detail17trampoline_kernelINS0_14default_configENS1_25partition_config_selectorILNS1_17partition_subalgoE6EyNS0_10empty_typeEbEEZZNS1_14partition_implILS5_6ELb0ES3_mN6thrust23THRUST_200600_302600_NS6detail15normal_iteratorINSA_10device_ptrIyEEEEPS6_SG_NS0_5tupleIJNSA_16discard_iteratorINSA_11use_defaultEEES6_EEENSH_IJSG_SG_EEES6_PlJNSB_9not_fun_tI7is_trueIyEEEEEE10hipError_tPvRmT3_T4_T5_T6_T7_T9_mT8_P12ihipStream_tbDpT10_ENKUlT_T0_E_clISt17integral_constantIbLb1EES1B_EEDaS16_S17_EUlS16_E_NS1_11comp_targetILNS1_3genE2ELNS1_11target_archE906ELNS1_3gpuE6ELNS1_3repE0EEENS1_30default_config_static_selectorELNS0_4arch9wavefront6targetE0EEEvT1_.numbered_sgpr, 0
	.set _ZN7rocprim17ROCPRIM_400000_NS6detail17trampoline_kernelINS0_14default_configENS1_25partition_config_selectorILNS1_17partition_subalgoE6EyNS0_10empty_typeEbEEZZNS1_14partition_implILS5_6ELb0ES3_mN6thrust23THRUST_200600_302600_NS6detail15normal_iteratorINSA_10device_ptrIyEEEEPS6_SG_NS0_5tupleIJNSA_16discard_iteratorINSA_11use_defaultEEES6_EEENSH_IJSG_SG_EEES6_PlJNSB_9not_fun_tI7is_trueIyEEEEEE10hipError_tPvRmT3_T4_T5_T6_T7_T9_mT8_P12ihipStream_tbDpT10_ENKUlT_T0_E_clISt17integral_constantIbLb1EES1B_EEDaS16_S17_EUlS16_E_NS1_11comp_targetILNS1_3genE2ELNS1_11target_archE906ELNS1_3gpuE6ELNS1_3repE0EEENS1_30default_config_static_selectorELNS0_4arch9wavefront6targetE0EEEvT1_.num_named_barrier, 0
	.set _ZN7rocprim17ROCPRIM_400000_NS6detail17trampoline_kernelINS0_14default_configENS1_25partition_config_selectorILNS1_17partition_subalgoE6EyNS0_10empty_typeEbEEZZNS1_14partition_implILS5_6ELb0ES3_mN6thrust23THRUST_200600_302600_NS6detail15normal_iteratorINSA_10device_ptrIyEEEEPS6_SG_NS0_5tupleIJNSA_16discard_iteratorINSA_11use_defaultEEES6_EEENSH_IJSG_SG_EEES6_PlJNSB_9not_fun_tI7is_trueIyEEEEEE10hipError_tPvRmT3_T4_T5_T6_T7_T9_mT8_P12ihipStream_tbDpT10_ENKUlT_T0_E_clISt17integral_constantIbLb1EES1B_EEDaS16_S17_EUlS16_E_NS1_11comp_targetILNS1_3genE2ELNS1_11target_archE906ELNS1_3gpuE6ELNS1_3repE0EEENS1_30default_config_static_selectorELNS0_4arch9wavefront6targetE0EEEvT1_.private_seg_size, 0
	.set _ZN7rocprim17ROCPRIM_400000_NS6detail17trampoline_kernelINS0_14default_configENS1_25partition_config_selectorILNS1_17partition_subalgoE6EyNS0_10empty_typeEbEEZZNS1_14partition_implILS5_6ELb0ES3_mN6thrust23THRUST_200600_302600_NS6detail15normal_iteratorINSA_10device_ptrIyEEEEPS6_SG_NS0_5tupleIJNSA_16discard_iteratorINSA_11use_defaultEEES6_EEENSH_IJSG_SG_EEES6_PlJNSB_9not_fun_tI7is_trueIyEEEEEE10hipError_tPvRmT3_T4_T5_T6_T7_T9_mT8_P12ihipStream_tbDpT10_ENKUlT_T0_E_clISt17integral_constantIbLb1EES1B_EEDaS16_S17_EUlS16_E_NS1_11comp_targetILNS1_3genE2ELNS1_11target_archE906ELNS1_3gpuE6ELNS1_3repE0EEENS1_30default_config_static_selectorELNS0_4arch9wavefront6targetE0EEEvT1_.uses_vcc, 0
	.set _ZN7rocprim17ROCPRIM_400000_NS6detail17trampoline_kernelINS0_14default_configENS1_25partition_config_selectorILNS1_17partition_subalgoE6EyNS0_10empty_typeEbEEZZNS1_14partition_implILS5_6ELb0ES3_mN6thrust23THRUST_200600_302600_NS6detail15normal_iteratorINSA_10device_ptrIyEEEEPS6_SG_NS0_5tupleIJNSA_16discard_iteratorINSA_11use_defaultEEES6_EEENSH_IJSG_SG_EEES6_PlJNSB_9not_fun_tI7is_trueIyEEEEEE10hipError_tPvRmT3_T4_T5_T6_T7_T9_mT8_P12ihipStream_tbDpT10_ENKUlT_T0_E_clISt17integral_constantIbLb1EES1B_EEDaS16_S17_EUlS16_E_NS1_11comp_targetILNS1_3genE2ELNS1_11target_archE906ELNS1_3gpuE6ELNS1_3repE0EEENS1_30default_config_static_selectorELNS0_4arch9wavefront6targetE0EEEvT1_.uses_flat_scratch, 0
	.set _ZN7rocprim17ROCPRIM_400000_NS6detail17trampoline_kernelINS0_14default_configENS1_25partition_config_selectorILNS1_17partition_subalgoE6EyNS0_10empty_typeEbEEZZNS1_14partition_implILS5_6ELb0ES3_mN6thrust23THRUST_200600_302600_NS6detail15normal_iteratorINSA_10device_ptrIyEEEEPS6_SG_NS0_5tupleIJNSA_16discard_iteratorINSA_11use_defaultEEES6_EEENSH_IJSG_SG_EEES6_PlJNSB_9not_fun_tI7is_trueIyEEEEEE10hipError_tPvRmT3_T4_T5_T6_T7_T9_mT8_P12ihipStream_tbDpT10_ENKUlT_T0_E_clISt17integral_constantIbLb1EES1B_EEDaS16_S17_EUlS16_E_NS1_11comp_targetILNS1_3genE2ELNS1_11target_archE906ELNS1_3gpuE6ELNS1_3repE0EEENS1_30default_config_static_selectorELNS0_4arch9wavefront6targetE0EEEvT1_.has_dyn_sized_stack, 0
	.set _ZN7rocprim17ROCPRIM_400000_NS6detail17trampoline_kernelINS0_14default_configENS1_25partition_config_selectorILNS1_17partition_subalgoE6EyNS0_10empty_typeEbEEZZNS1_14partition_implILS5_6ELb0ES3_mN6thrust23THRUST_200600_302600_NS6detail15normal_iteratorINSA_10device_ptrIyEEEEPS6_SG_NS0_5tupleIJNSA_16discard_iteratorINSA_11use_defaultEEES6_EEENSH_IJSG_SG_EEES6_PlJNSB_9not_fun_tI7is_trueIyEEEEEE10hipError_tPvRmT3_T4_T5_T6_T7_T9_mT8_P12ihipStream_tbDpT10_ENKUlT_T0_E_clISt17integral_constantIbLb1EES1B_EEDaS16_S17_EUlS16_E_NS1_11comp_targetILNS1_3genE2ELNS1_11target_archE906ELNS1_3gpuE6ELNS1_3repE0EEENS1_30default_config_static_selectorELNS0_4arch9wavefront6targetE0EEEvT1_.has_recursion, 0
	.set _ZN7rocprim17ROCPRIM_400000_NS6detail17trampoline_kernelINS0_14default_configENS1_25partition_config_selectorILNS1_17partition_subalgoE6EyNS0_10empty_typeEbEEZZNS1_14partition_implILS5_6ELb0ES3_mN6thrust23THRUST_200600_302600_NS6detail15normal_iteratorINSA_10device_ptrIyEEEEPS6_SG_NS0_5tupleIJNSA_16discard_iteratorINSA_11use_defaultEEES6_EEENSH_IJSG_SG_EEES6_PlJNSB_9not_fun_tI7is_trueIyEEEEEE10hipError_tPvRmT3_T4_T5_T6_T7_T9_mT8_P12ihipStream_tbDpT10_ENKUlT_T0_E_clISt17integral_constantIbLb1EES1B_EEDaS16_S17_EUlS16_E_NS1_11comp_targetILNS1_3genE2ELNS1_11target_archE906ELNS1_3gpuE6ELNS1_3repE0EEENS1_30default_config_static_selectorELNS0_4arch9wavefront6targetE0EEEvT1_.has_indirect_call, 0
	.section	.AMDGPU.csdata,"",@progbits
; Kernel info:
; codeLenInByte = 0
; TotalNumSgprs: 0
; NumVgprs: 0
; ScratchSize: 0
; MemoryBound: 0
; FloatMode: 240
; IeeeMode: 1
; LDSByteSize: 0 bytes/workgroup (compile time only)
; SGPRBlocks: 0
; VGPRBlocks: 0
; NumSGPRsForWavesPerEU: 1
; NumVGPRsForWavesPerEU: 1
; Occupancy: 16
; WaveLimiterHint : 0
; COMPUTE_PGM_RSRC2:SCRATCH_EN: 0
; COMPUTE_PGM_RSRC2:USER_SGPR: 2
; COMPUTE_PGM_RSRC2:TRAP_HANDLER: 0
; COMPUTE_PGM_RSRC2:TGID_X_EN: 1
; COMPUTE_PGM_RSRC2:TGID_Y_EN: 0
; COMPUTE_PGM_RSRC2:TGID_Z_EN: 0
; COMPUTE_PGM_RSRC2:TIDIG_COMP_CNT: 0
	.section	.text._ZN7rocprim17ROCPRIM_400000_NS6detail17trampoline_kernelINS0_14default_configENS1_25partition_config_selectorILNS1_17partition_subalgoE6EyNS0_10empty_typeEbEEZZNS1_14partition_implILS5_6ELb0ES3_mN6thrust23THRUST_200600_302600_NS6detail15normal_iteratorINSA_10device_ptrIyEEEEPS6_SG_NS0_5tupleIJNSA_16discard_iteratorINSA_11use_defaultEEES6_EEENSH_IJSG_SG_EEES6_PlJNSB_9not_fun_tI7is_trueIyEEEEEE10hipError_tPvRmT3_T4_T5_T6_T7_T9_mT8_P12ihipStream_tbDpT10_ENKUlT_T0_E_clISt17integral_constantIbLb1EES1B_EEDaS16_S17_EUlS16_E_NS1_11comp_targetILNS1_3genE10ELNS1_11target_archE1200ELNS1_3gpuE4ELNS1_3repE0EEENS1_30default_config_static_selectorELNS0_4arch9wavefront6targetE0EEEvT1_,"axG",@progbits,_ZN7rocprim17ROCPRIM_400000_NS6detail17trampoline_kernelINS0_14default_configENS1_25partition_config_selectorILNS1_17partition_subalgoE6EyNS0_10empty_typeEbEEZZNS1_14partition_implILS5_6ELb0ES3_mN6thrust23THRUST_200600_302600_NS6detail15normal_iteratorINSA_10device_ptrIyEEEEPS6_SG_NS0_5tupleIJNSA_16discard_iteratorINSA_11use_defaultEEES6_EEENSH_IJSG_SG_EEES6_PlJNSB_9not_fun_tI7is_trueIyEEEEEE10hipError_tPvRmT3_T4_T5_T6_T7_T9_mT8_P12ihipStream_tbDpT10_ENKUlT_T0_E_clISt17integral_constantIbLb1EES1B_EEDaS16_S17_EUlS16_E_NS1_11comp_targetILNS1_3genE10ELNS1_11target_archE1200ELNS1_3gpuE4ELNS1_3repE0EEENS1_30default_config_static_selectorELNS0_4arch9wavefront6targetE0EEEvT1_,comdat
	.protected	_ZN7rocprim17ROCPRIM_400000_NS6detail17trampoline_kernelINS0_14default_configENS1_25partition_config_selectorILNS1_17partition_subalgoE6EyNS0_10empty_typeEbEEZZNS1_14partition_implILS5_6ELb0ES3_mN6thrust23THRUST_200600_302600_NS6detail15normal_iteratorINSA_10device_ptrIyEEEEPS6_SG_NS0_5tupleIJNSA_16discard_iteratorINSA_11use_defaultEEES6_EEENSH_IJSG_SG_EEES6_PlJNSB_9not_fun_tI7is_trueIyEEEEEE10hipError_tPvRmT3_T4_T5_T6_T7_T9_mT8_P12ihipStream_tbDpT10_ENKUlT_T0_E_clISt17integral_constantIbLb1EES1B_EEDaS16_S17_EUlS16_E_NS1_11comp_targetILNS1_3genE10ELNS1_11target_archE1200ELNS1_3gpuE4ELNS1_3repE0EEENS1_30default_config_static_selectorELNS0_4arch9wavefront6targetE0EEEvT1_ ; -- Begin function _ZN7rocprim17ROCPRIM_400000_NS6detail17trampoline_kernelINS0_14default_configENS1_25partition_config_selectorILNS1_17partition_subalgoE6EyNS0_10empty_typeEbEEZZNS1_14partition_implILS5_6ELb0ES3_mN6thrust23THRUST_200600_302600_NS6detail15normal_iteratorINSA_10device_ptrIyEEEEPS6_SG_NS0_5tupleIJNSA_16discard_iteratorINSA_11use_defaultEEES6_EEENSH_IJSG_SG_EEES6_PlJNSB_9not_fun_tI7is_trueIyEEEEEE10hipError_tPvRmT3_T4_T5_T6_T7_T9_mT8_P12ihipStream_tbDpT10_ENKUlT_T0_E_clISt17integral_constantIbLb1EES1B_EEDaS16_S17_EUlS16_E_NS1_11comp_targetILNS1_3genE10ELNS1_11target_archE1200ELNS1_3gpuE4ELNS1_3repE0EEENS1_30default_config_static_selectorELNS0_4arch9wavefront6targetE0EEEvT1_
	.globl	_ZN7rocprim17ROCPRIM_400000_NS6detail17trampoline_kernelINS0_14default_configENS1_25partition_config_selectorILNS1_17partition_subalgoE6EyNS0_10empty_typeEbEEZZNS1_14partition_implILS5_6ELb0ES3_mN6thrust23THRUST_200600_302600_NS6detail15normal_iteratorINSA_10device_ptrIyEEEEPS6_SG_NS0_5tupleIJNSA_16discard_iteratorINSA_11use_defaultEEES6_EEENSH_IJSG_SG_EEES6_PlJNSB_9not_fun_tI7is_trueIyEEEEEE10hipError_tPvRmT3_T4_T5_T6_T7_T9_mT8_P12ihipStream_tbDpT10_ENKUlT_T0_E_clISt17integral_constantIbLb1EES1B_EEDaS16_S17_EUlS16_E_NS1_11comp_targetILNS1_3genE10ELNS1_11target_archE1200ELNS1_3gpuE4ELNS1_3repE0EEENS1_30default_config_static_selectorELNS0_4arch9wavefront6targetE0EEEvT1_
	.p2align	8
	.type	_ZN7rocprim17ROCPRIM_400000_NS6detail17trampoline_kernelINS0_14default_configENS1_25partition_config_selectorILNS1_17partition_subalgoE6EyNS0_10empty_typeEbEEZZNS1_14partition_implILS5_6ELb0ES3_mN6thrust23THRUST_200600_302600_NS6detail15normal_iteratorINSA_10device_ptrIyEEEEPS6_SG_NS0_5tupleIJNSA_16discard_iteratorINSA_11use_defaultEEES6_EEENSH_IJSG_SG_EEES6_PlJNSB_9not_fun_tI7is_trueIyEEEEEE10hipError_tPvRmT3_T4_T5_T6_T7_T9_mT8_P12ihipStream_tbDpT10_ENKUlT_T0_E_clISt17integral_constantIbLb1EES1B_EEDaS16_S17_EUlS16_E_NS1_11comp_targetILNS1_3genE10ELNS1_11target_archE1200ELNS1_3gpuE4ELNS1_3repE0EEENS1_30default_config_static_selectorELNS0_4arch9wavefront6targetE0EEEvT1_,@function
_ZN7rocprim17ROCPRIM_400000_NS6detail17trampoline_kernelINS0_14default_configENS1_25partition_config_selectorILNS1_17partition_subalgoE6EyNS0_10empty_typeEbEEZZNS1_14partition_implILS5_6ELb0ES3_mN6thrust23THRUST_200600_302600_NS6detail15normal_iteratorINSA_10device_ptrIyEEEEPS6_SG_NS0_5tupleIJNSA_16discard_iteratorINSA_11use_defaultEEES6_EEENSH_IJSG_SG_EEES6_PlJNSB_9not_fun_tI7is_trueIyEEEEEE10hipError_tPvRmT3_T4_T5_T6_T7_T9_mT8_P12ihipStream_tbDpT10_ENKUlT_T0_E_clISt17integral_constantIbLb1EES1B_EEDaS16_S17_EUlS16_E_NS1_11comp_targetILNS1_3genE10ELNS1_11target_archE1200ELNS1_3gpuE4ELNS1_3repE0EEENS1_30default_config_static_selectorELNS0_4arch9wavefront6targetE0EEEvT1_: ; @_ZN7rocprim17ROCPRIM_400000_NS6detail17trampoline_kernelINS0_14default_configENS1_25partition_config_selectorILNS1_17partition_subalgoE6EyNS0_10empty_typeEbEEZZNS1_14partition_implILS5_6ELb0ES3_mN6thrust23THRUST_200600_302600_NS6detail15normal_iteratorINSA_10device_ptrIyEEEEPS6_SG_NS0_5tupleIJNSA_16discard_iteratorINSA_11use_defaultEEES6_EEENSH_IJSG_SG_EEES6_PlJNSB_9not_fun_tI7is_trueIyEEEEEE10hipError_tPvRmT3_T4_T5_T6_T7_T9_mT8_P12ihipStream_tbDpT10_ENKUlT_T0_E_clISt17integral_constantIbLb1EES1B_EEDaS16_S17_EUlS16_E_NS1_11comp_targetILNS1_3genE10ELNS1_11target_archE1200ELNS1_3gpuE4ELNS1_3repE0EEENS1_30default_config_static_selectorELNS0_4arch9wavefront6targetE0EEEvT1_
; %bb.0:
	s_endpgm
	.section	.rodata,"a",@progbits
	.p2align	6, 0x0
	.amdhsa_kernel _ZN7rocprim17ROCPRIM_400000_NS6detail17trampoline_kernelINS0_14default_configENS1_25partition_config_selectorILNS1_17partition_subalgoE6EyNS0_10empty_typeEbEEZZNS1_14partition_implILS5_6ELb0ES3_mN6thrust23THRUST_200600_302600_NS6detail15normal_iteratorINSA_10device_ptrIyEEEEPS6_SG_NS0_5tupleIJNSA_16discard_iteratorINSA_11use_defaultEEES6_EEENSH_IJSG_SG_EEES6_PlJNSB_9not_fun_tI7is_trueIyEEEEEE10hipError_tPvRmT3_T4_T5_T6_T7_T9_mT8_P12ihipStream_tbDpT10_ENKUlT_T0_E_clISt17integral_constantIbLb1EES1B_EEDaS16_S17_EUlS16_E_NS1_11comp_targetILNS1_3genE10ELNS1_11target_archE1200ELNS1_3gpuE4ELNS1_3repE0EEENS1_30default_config_static_selectorELNS0_4arch9wavefront6targetE0EEEvT1_
		.amdhsa_group_segment_fixed_size 0
		.amdhsa_private_segment_fixed_size 0
		.amdhsa_kernarg_size 136
		.amdhsa_user_sgpr_count 2
		.amdhsa_user_sgpr_dispatch_ptr 0
		.amdhsa_user_sgpr_queue_ptr 0
		.amdhsa_user_sgpr_kernarg_segment_ptr 1
		.amdhsa_user_sgpr_dispatch_id 0
		.amdhsa_user_sgpr_private_segment_size 0
		.amdhsa_wavefront_size32 1
		.amdhsa_uses_dynamic_stack 0
		.amdhsa_enable_private_segment 0
		.amdhsa_system_sgpr_workgroup_id_x 1
		.amdhsa_system_sgpr_workgroup_id_y 0
		.amdhsa_system_sgpr_workgroup_id_z 0
		.amdhsa_system_sgpr_workgroup_info 0
		.amdhsa_system_vgpr_workitem_id 0
		.amdhsa_next_free_vgpr 1
		.amdhsa_next_free_sgpr 1
		.amdhsa_reserve_vcc 0
		.amdhsa_float_round_mode_32 0
		.amdhsa_float_round_mode_16_64 0
		.amdhsa_float_denorm_mode_32 3
		.amdhsa_float_denorm_mode_16_64 3
		.amdhsa_fp16_overflow 0
		.amdhsa_workgroup_processor_mode 1
		.amdhsa_memory_ordered 1
		.amdhsa_forward_progress 1
		.amdhsa_inst_pref_size 1
		.amdhsa_round_robin_scheduling 0
		.amdhsa_exception_fp_ieee_invalid_op 0
		.amdhsa_exception_fp_denorm_src 0
		.amdhsa_exception_fp_ieee_div_zero 0
		.amdhsa_exception_fp_ieee_overflow 0
		.amdhsa_exception_fp_ieee_underflow 0
		.amdhsa_exception_fp_ieee_inexact 0
		.amdhsa_exception_int_div_zero 0
	.end_amdhsa_kernel
	.section	.text._ZN7rocprim17ROCPRIM_400000_NS6detail17trampoline_kernelINS0_14default_configENS1_25partition_config_selectorILNS1_17partition_subalgoE6EyNS0_10empty_typeEbEEZZNS1_14partition_implILS5_6ELb0ES3_mN6thrust23THRUST_200600_302600_NS6detail15normal_iteratorINSA_10device_ptrIyEEEEPS6_SG_NS0_5tupleIJNSA_16discard_iteratorINSA_11use_defaultEEES6_EEENSH_IJSG_SG_EEES6_PlJNSB_9not_fun_tI7is_trueIyEEEEEE10hipError_tPvRmT3_T4_T5_T6_T7_T9_mT8_P12ihipStream_tbDpT10_ENKUlT_T0_E_clISt17integral_constantIbLb1EES1B_EEDaS16_S17_EUlS16_E_NS1_11comp_targetILNS1_3genE10ELNS1_11target_archE1200ELNS1_3gpuE4ELNS1_3repE0EEENS1_30default_config_static_selectorELNS0_4arch9wavefront6targetE0EEEvT1_,"axG",@progbits,_ZN7rocprim17ROCPRIM_400000_NS6detail17trampoline_kernelINS0_14default_configENS1_25partition_config_selectorILNS1_17partition_subalgoE6EyNS0_10empty_typeEbEEZZNS1_14partition_implILS5_6ELb0ES3_mN6thrust23THRUST_200600_302600_NS6detail15normal_iteratorINSA_10device_ptrIyEEEEPS6_SG_NS0_5tupleIJNSA_16discard_iteratorINSA_11use_defaultEEES6_EEENSH_IJSG_SG_EEES6_PlJNSB_9not_fun_tI7is_trueIyEEEEEE10hipError_tPvRmT3_T4_T5_T6_T7_T9_mT8_P12ihipStream_tbDpT10_ENKUlT_T0_E_clISt17integral_constantIbLb1EES1B_EEDaS16_S17_EUlS16_E_NS1_11comp_targetILNS1_3genE10ELNS1_11target_archE1200ELNS1_3gpuE4ELNS1_3repE0EEENS1_30default_config_static_selectorELNS0_4arch9wavefront6targetE0EEEvT1_,comdat
.Lfunc_end2154:
	.size	_ZN7rocprim17ROCPRIM_400000_NS6detail17trampoline_kernelINS0_14default_configENS1_25partition_config_selectorILNS1_17partition_subalgoE6EyNS0_10empty_typeEbEEZZNS1_14partition_implILS5_6ELb0ES3_mN6thrust23THRUST_200600_302600_NS6detail15normal_iteratorINSA_10device_ptrIyEEEEPS6_SG_NS0_5tupleIJNSA_16discard_iteratorINSA_11use_defaultEEES6_EEENSH_IJSG_SG_EEES6_PlJNSB_9not_fun_tI7is_trueIyEEEEEE10hipError_tPvRmT3_T4_T5_T6_T7_T9_mT8_P12ihipStream_tbDpT10_ENKUlT_T0_E_clISt17integral_constantIbLb1EES1B_EEDaS16_S17_EUlS16_E_NS1_11comp_targetILNS1_3genE10ELNS1_11target_archE1200ELNS1_3gpuE4ELNS1_3repE0EEENS1_30default_config_static_selectorELNS0_4arch9wavefront6targetE0EEEvT1_, .Lfunc_end2154-_ZN7rocprim17ROCPRIM_400000_NS6detail17trampoline_kernelINS0_14default_configENS1_25partition_config_selectorILNS1_17partition_subalgoE6EyNS0_10empty_typeEbEEZZNS1_14partition_implILS5_6ELb0ES3_mN6thrust23THRUST_200600_302600_NS6detail15normal_iteratorINSA_10device_ptrIyEEEEPS6_SG_NS0_5tupleIJNSA_16discard_iteratorINSA_11use_defaultEEES6_EEENSH_IJSG_SG_EEES6_PlJNSB_9not_fun_tI7is_trueIyEEEEEE10hipError_tPvRmT3_T4_T5_T6_T7_T9_mT8_P12ihipStream_tbDpT10_ENKUlT_T0_E_clISt17integral_constantIbLb1EES1B_EEDaS16_S17_EUlS16_E_NS1_11comp_targetILNS1_3genE10ELNS1_11target_archE1200ELNS1_3gpuE4ELNS1_3repE0EEENS1_30default_config_static_selectorELNS0_4arch9wavefront6targetE0EEEvT1_
                                        ; -- End function
	.set _ZN7rocprim17ROCPRIM_400000_NS6detail17trampoline_kernelINS0_14default_configENS1_25partition_config_selectorILNS1_17partition_subalgoE6EyNS0_10empty_typeEbEEZZNS1_14partition_implILS5_6ELb0ES3_mN6thrust23THRUST_200600_302600_NS6detail15normal_iteratorINSA_10device_ptrIyEEEEPS6_SG_NS0_5tupleIJNSA_16discard_iteratorINSA_11use_defaultEEES6_EEENSH_IJSG_SG_EEES6_PlJNSB_9not_fun_tI7is_trueIyEEEEEE10hipError_tPvRmT3_T4_T5_T6_T7_T9_mT8_P12ihipStream_tbDpT10_ENKUlT_T0_E_clISt17integral_constantIbLb1EES1B_EEDaS16_S17_EUlS16_E_NS1_11comp_targetILNS1_3genE10ELNS1_11target_archE1200ELNS1_3gpuE4ELNS1_3repE0EEENS1_30default_config_static_selectorELNS0_4arch9wavefront6targetE0EEEvT1_.num_vgpr, 0
	.set _ZN7rocprim17ROCPRIM_400000_NS6detail17trampoline_kernelINS0_14default_configENS1_25partition_config_selectorILNS1_17partition_subalgoE6EyNS0_10empty_typeEbEEZZNS1_14partition_implILS5_6ELb0ES3_mN6thrust23THRUST_200600_302600_NS6detail15normal_iteratorINSA_10device_ptrIyEEEEPS6_SG_NS0_5tupleIJNSA_16discard_iteratorINSA_11use_defaultEEES6_EEENSH_IJSG_SG_EEES6_PlJNSB_9not_fun_tI7is_trueIyEEEEEE10hipError_tPvRmT3_T4_T5_T6_T7_T9_mT8_P12ihipStream_tbDpT10_ENKUlT_T0_E_clISt17integral_constantIbLb1EES1B_EEDaS16_S17_EUlS16_E_NS1_11comp_targetILNS1_3genE10ELNS1_11target_archE1200ELNS1_3gpuE4ELNS1_3repE0EEENS1_30default_config_static_selectorELNS0_4arch9wavefront6targetE0EEEvT1_.num_agpr, 0
	.set _ZN7rocprim17ROCPRIM_400000_NS6detail17trampoline_kernelINS0_14default_configENS1_25partition_config_selectorILNS1_17partition_subalgoE6EyNS0_10empty_typeEbEEZZNS1_14partition_implILS5_6ELb0ES3_mN6thrust23THRUST_200600_302600_NS6detail15normal_iteratorINSA_10device_ptrIyEEEEPS6_SG_NS0_5tupleIJNSA_16discard_iteratorINSA_11use_defaultEEES6_EEENSH_IJSG_SG_EEES6_PlJNSB_9not_fun_tI7is_trueIyEEEEEE10hipError_tPvRmT3_T4_T5_T6_T7_T9_mT8_P12ihipStream_tbDpT10_ENKUlT_T0_E_clISt17integral_constantIbLb1EES1B_EEDaS16_S17_EUlS16_E_NS1_11comp_targetILNS1_3genE10ELNS1_11target_archE1200ELNS1_3gpuE4ELNS1_3repE0EEENS1_30default_config_static_selectorELNS0_4arch9wavefront6targetE0EEEvT1_.numbered_sgpr, 0
	.set _ZN7rocprim17ROCPRIM_400000_NS6detail17trampoline_kernelINS0_14default_configENS1_25partition_config_selectorILNS1_17partition_subalgoE6EyNS0_10empty_typeEbEEZZNS1_14partition_implILS5_6ELb0ES3_mN6thrust23THRUST_200600_302600_NS6detail15normal_iteratorINSA_10device_ptrIyEEEEPS6_SG_NS0_5tupleIJNSA_16discard_iteratorINSA_11use_defaultEEES6_EEENSH_IJSG_SG_EEES6_PlJNSB_9not_fun_tI7is_trueIyEEEEEE10hipError_tPvRmT3_T4_T5_T6_T7_T9_mT8_P12ihipStream_tbDpT10_ENKUlT_T0_E_clISt17integral_constantIbLb1EES1B_EEDaS16_S17_EUlS16_E_NS1_11comp_targetILNS1_3genE10ELNS1_11target_archE1200ELNS1_3gpuE4ELNS1_3repE0EEENS1_30default_config_static_selectorELNS0_4arch9wavefront6targetE0EEEvT1_.num_named_barrier, 0
	.set _ZN7rocprim17ROCPRIM_400000_NS6detail17trampoline_kernelINS0_14default_configENS1_25partition_config_selectorILNS1_17partition_subalgoE6EyNS0_10empty_typeEbEEZZNS1_14partition_implILS5_6ELb0ES3_mN6thrust23THRUST_200600_302600_NS6detail15normal_iteratorINSA_10device_ptrIyEEEEPS6_SG_NS0_5tupleIJNSA_16discard_iteratorINSA_11use_defaultEEES6_EEENSH_IJSG_SG_EEES6_PlJNSB_9not_fun_tI7is_trueIyEEEEEE10hipError_tPvRmT3_T4_T5_T6_T7_T9_mT8_P12ihipStream_tbDpT10_ENKUlT_T0_E_clISt17integral_constantIbLb1EES1B_EEDaS16_S17_EUlS16_E_NS1_11comp_targetILNS1_3genE10ELNS1_11target_archE1200ELNS1_3gpuE4ELNS1_3repE0EEENS1_30default_config_static_selectorELNS0_4arch9wavefront6targetE0EEEvT1_.private_seg_size, 0
	.set _ZN7rocprim17ROCPRIM_400000_NS6detail17trampoline_kernelINS0_14default_configENS1_25partition_config_selectorILNS1_17partition_subalgoE6EyNS0_10empty_typeEbEEZZNS1_14partition_implILS5_6ELb0ES3_mN6thrust23THRUST_200600_302600_NS6detail15normal_iteratorINSA_10device_ptrIyEEEEPS6_SG_NS0_5tupleIJNSA_16discard_iteratorINSA_11use_defaultEEES6_EEENSH_IJSG_SG_EEES6_PlJNSB_9not_fun_tI7is_trueIyEEEEEE10hipError_tPvRmT3_T4_T5_T6_T7_T9_mT8_P12ihipStream_tbDpT10_ENKUlT_T0_E_clISt17integral_constantIbLb1EES1B_EEDaS16_S17_EUlS16_E_NS1_11comp_targetILNS1_3genE10ELNS1_11target_archE1200ELNS1_3gpuE4ELNS1_3repE0EEENS1_30default_config_static_selectorELNS0_4arch9wavefront6targetE0EEEvT1_.uses_vcc, 0
	.set _ZN7rocprim17ROCPRIM_400000_NS6detail17trampoline_kernelINS0_14default_configENS1_25partition_config_selectorILNS1_17partition_subalgoE6EyNS0_10empty_typeEbEEZZNS1_14partition_implILS5_6ELb0ES3_mN6thrust23THRUST_200600_302600_NS6detail15normal_iteratorINSA_10device_ptrIyEEEEPS6_SG_NS0_5tupleIJNSA_16discard_iteratorINSA_11use_defaultEEES6_EEENSH_IJSG_SG_EEES6_PlJNSB_9not_fun_tI7is_trueIyEEEEEE10hipError_tPvRmT3_T4_T5_T6_T7_T9_mT8_P12ihipStream_tbDpT10_ENKUlT_T0_E_clISt17integral_constantIbLb1EES1B_EEDaS16_S17_EUlS16_E_NS1_11comp_targetILNS1_3genE10ELNS1_11target_archE1200ELNS1_3gpuE4ELNS1_3repE0EEENS1_30default_config_static_selectorELNS0_4arch9wavefront6targetE0EEEvT1_.uses_flat_scratch, 0
	.set _ZN7rocprim17ROCPRIM_400000_NS6detail17trampoline_kernelINS0_14default_configENS1_25partition_config_selectorILNS1_17partition_subalgoE6EyNS0_10empty_typeEbEEZZNS1_14partition_implILS5_6ELb0ES3_mN6thrust23THRUST_200600_302600_NS6detail15normal_iteratorINSA_10device_ptrIyEEEEPS6_SG_NS0_5tupleIJNSA_16discard_iteratorINSA_11use_defaultEEES6_EEENSH_IJSG_SG_EEES6_PlJNSB_9not_fun_tI7is_trueIyEEEEEE10hipError_tPvRmT3_T4_T5_T6_T7_T9_mT8_P12ihipStream_tbDpT10_ENKUlT_T0_E_clISt17integral_constantIbLb1EES1B_EEDaS16_S17_EUlS16_E_NS1_11comp_targetILNS1_3genE10ELNS1_11target_archE1200ELNS1_3gpuE4ELNS1_3repE0EEENS1_30default_config_static_selectorELNS0_4arch9wavefront6targetE0EEEvT1_.has_dyn_sized_stack, 0
	.set _ZN7rocprim17ROCPRIM_400000_NS6detail17trampoline_kernelINS0_14default_configENS1_25partition_config_selectorILNS1_17partition_subalgoE6EyNS0_10empty_typeEbEEZZNS1_14partition_implILS5_6ELb0ES3_mN6thrust23THRUST_200600_302600_NS6detail15normal_iteratorINSA_10device_ptrIyEEEEPS6_SG_NS0_5tupleIJNSA_16discard_iteratorINSA_11use_defaultEEES6_EEENSH_IJSG_SG_EEES6_PlJNSB_9not_fun_tI7is_trueIyEEEEEE10hipError_tPvRmT3_T4_T5_T6_T7_T9_mT8_P12ihipStream_tbDpT10_ENKUlT_T0_E_clISt17integral_constantIbLb1EES1B_EEDaS16_S17_EUlS16_E_NS1_11comp_targetILNS1_3genE10ELNS1_11target_archE1200ELNS1_3gpuE4ELNS1_3repE0EEENS1_30default_config_static_selectorELNS0_4arch9wavefront6targetE0EEEvT1_.has_recursion, 0
	.set _ZN7rocprim17ROCPRIM_400000_NS6detail17trampoline_kernelINS0_14default_configENS1_25partition_config_selectorILNS1_17partition_subalgoE6EyNS0_10empty_typeEbEEZZNS1_14partition_implILS5_6ELb0ES3_mN6thrust23THRUST_200600_302600_NS6detail15normal_iteratorINSA_10device_ptrIyEEEEPS6_SG_NS0_5tupleIJNSA_16discard_iteratorINSA_11use_defaultEEES6_EEENSH_IJSG_SG_EEES6_PlJNSB_9not_fun_tI7is_trueIyEEEEEE10hipError_tPvRmT3_T4_T5_T6_T7_T9_mT8_P12ihipStream_tbDpT10_ENKUlT_T0_E_clISt17integral_constantIbLb1EES1B_EEDaS16_S17_EUlS16_E_NS1_11comp_targetILNS1_3genE10ELNS1_11target_archE1200ELNS1_3gpuE4ELNS1_3repE0EEENS1_30default_config_static_selectorELNS0_4arch9wavefront6targetE0EEEvT1_.has_indirect_call, 0
	.section	.AMDGPU.csdata,"",@progbits
; Kernel info:
; codeLenInByte = 4
; TotalNumSgprs: 0
; NumVgprs: 0
; ScratchSize: 0
; MemoryBound: 0
; FloatMode: 240
; IeeeMode: 1
; LDSByteSize: 0 bytes/workgroup (compile time only)
; SGPRBlocks: 0
; VGPRBlocks: 0
; NumSGPRsForWavesPerEU: 1
; NumVGPRsForWavesPerEU: 1
; Occupancy: 16
; WaveLimiterHint : 0
; COMPUTE_PGM_RSRC2:SCRATCH_EN: 0
; COMPUTE_PGM_RSRC2:USER_SGPR: 2
; COMPUTE_PGM_RSRC2:TRAP_HANDLER: 0
; COMPUTE_PGM_RSRC2:TGID_X_EN: 1
; COMPUTE_PGM_RSRC2:TGID_Y_EN: 0
; COMPUTE_PGM_RSRC2:TGID_Z_EN: 0
; COMPUTE_PGM_RSRC2:TIDIG_COMP_CNT: 0
	.section	.text._ZN7rocprim17ROCPRIM_400000_NS6detail17trampoline_kernelINS0_14default_configENS1_25partition_config_selectorILNS1_17partition_subalgoE6EyNS0_10empty_typeEbEEZZNS1_14partition_implILS5_6ELb0ES3_mN6thrust23THRUST_200600_302600_NS6detail15normal_iteratorINSA_10device_ptrIyEEEEPS6_SG_NS0_5tupleIJNSA_16discard_iteratorINSA_11use_defaultEEES6_EEENSH_IJSG_SG_EEES6_PlJNSB_9not_fun_tI7is_trueIyEEEEEE10hipError_tPvRmT3_T4_T5_T6_T7_T9_mT8_P12ihipStream_tbDpT10_ENKUlT_T0_E_clISt17integral_constantIbLb1EES1B_EEDaS16_S17_EUlS16_E_NS1_11comp_targetILNS1_3genE9ELNS1_11target_archE1100ELNS1_3gpuE3ELNS1_3repE0EEENS1_30default_config_static_selectorELNS0_4arch9wavefront6targetE0EEEvT1_,"axG",@progbits,_ZN7rocprim17ROCPRIM_400000_NS6detail17trampoline_kernelINS0_14default_configENS1_25partition_config_selectorILNS1_17partition_subalgoE6EyNS0_10empty_typeEbEEZZNS1_14partition_implILS5_6ELb0ES3_mN6thrust23THRUST_200600_302600_NS6detail15normal_iteratorINSA_10device_ptrIyEEEEPS6_SG_NS0_5tupleIJNSA_16discard_iteratorINSA_11use_defaultEEES6_EEENSH_IJSG_SG_EEES6_PlJNSB_9not_fun_tI7is_trueIyEEEEEE10hipError_tPvRmT3_T4_T5_T6_T7_T9_mT8_P12ihipStream_tbDpT10_ENKUlT_T0_E_clISt17integral_constantIbLb1EES1B_EEDaS16_S17_EUlS16_E_NS1_11comp_targetILNS1_3genE9ELNS1_11target_archE1100ELNS1_3gpuE3ELNS1_3repE0EEENS1_30default_config_static_selectorELNS0_4arch9wavefront6targetE0EEEvT1_,comdat
	.protected	_ZN7rocprim17ROCPRIM_400000_NS6detail17trampoline_kernelINS0_14default_configENS1_25partition_config_selectorILNS1_17partition_subalgoE6EyNS0_10empty_typeEbEEZZNS1_14partition_implILS5_6ELb0ES3_mN6thrust23THRUST_200600_302600_NS6detail15normal_iteratorINSA_10device_ptrIyEEEEPS6_SG_NS0_5tupleIJNSA_16discard_iteratorINSA_11use_defaultEEES6_EEENSH_IJSG_SG_EEES6_PlJNSB_9not_fun_tI7is_trueIyEEEEEE10hipError_tPvRmT3_T4_T5_T6_T7_T9_mT8_P12ihipStream_tbDpT10_ENKUlT_T0_E_clISt17integral_constantIbLb1EES1B_EEDaS16_S17_EUlS16_E_NS1_11comp_targetILNS1_3genE9ELNS1_11target_archE1100ELNS1_3gpuE3ELNS1_3repE0EEENS1_30default_config_static_selectorELNS0_4arch9wavefront6targetE0EEEvT1_ ; -- Begin function _ZN7rocprim17ROCPRIM_400000_NS6detail17trampoline_kernelINS0_14default_configENS1_25partition_config_selectorILNS1_17partition_subalgoE6EyNS0_10empty_typeEbEEZZNS1_14partition_implILS5_6ELb0ES3_mN6thrust23THRUST_200600_302600_NS6detail15normal_iteratorINSA_10device_ptrIyEEEEPS6_SG_NS0_5tupleIJNSA_16discard_iteratorINSA_11use_defaultEEES6_EEENSH_IJSG_SG_EEES6_PlJNSB_9not_fun_tI7is_trueIyEEEEEE10hipError_tPvRmT3_T4_T5_T6_T7_T9_mT8_P12ihipStream_tbDpT10_ENKUlT_T0_E_clISt17integral_constantIbLb1EES1B_EEDaS16_S17_EUlS16_E_NS1_11comp_targetILNS1_3genE9ELNS1_11target_archE1100ELNS1_3gpuE3ELNS1_3repE0EEENS1_30default_config_static_selectorELNS0_4arch9wavefront6targetE0EEEvT1_
	.globl	_ZN7rocprim17ROCPRIM_400000_NS6detail17trampoline_kernelINS0_14default_configENS1_25partition_config_selectorILNS1_17partition_subalgoE6EyNS0_10empty_typeEbEEZZNS1_14partition_implILS5_6ELb0ES3_mN6thrust23THRUST_200600_302600_NS6detail15normal_iteratorINSA_10device_ptrIyEEEEPS6_SG_NS0_5tupleIJNSA_16discard_iteratorINSA_11use_defaultEEES6_EEENSH_IJSG_SG_EEES6_PlJNSB_9not_fun_tI7is_trueIyEEEEEE10hipError_tPvRmT3_T4_T5_T6_T7_T9_mT8_P12ihipStream_tbDpT10_ENKUlT_T0_E_clISt17integral_constantIbLb1EES1B_EEDaS16_S17_EUlS16_E_NS1_11comp_targetILNS1_3genE9ELNS1_11target_archE1100ELNS1_3gpuE3ELNS1_3repE0EEENS1_30default_config_static_selectorELNS0_4arch9wavefront6targetE0EEEvT1_
	.p2align	8
	.type	_ZN7rocprim17ROCPRIM_400000_NS6detail17trampoline_kernelINS0_14default_configENS1_25partition_config_selectorILNS1_17partition_subalgoE6EyNS0_10empty_typeEbEEZZNS1_14partition_implILS5_6ELb0ES3_mN6thrust23THRUST_200600_302600_NS6detail15normal_iteratorINSA_10device_ptrIyEEEEPS6_SG_NS0_5tupleIJNSA_16discard_iteratorINSA_11use_defaultEEES6_EEENSH_IJSG_SG_EEES6_PlJNSB_9not_fun_tI7is_trueIyEEEEEE10hipError_tPvRmT3_T4_T5_T6_T7_T9_mT8_P12ihipStream_tbDpT10_ENKUlT_T0_E_clISt17integral_constantIbLb1EES1B_EEDaS16_S17_EUlS16_E_NS1_11comp_targetILNS1_3genE9ELNS1_11target_archE1100ELNS1_3gpuE3ELNS1_3repE0EEENS1_30default_config_static_selectorELNS0_4arch9wavefront6targetE0EEEvT1_,@function
_ZN7rocprim17ROCPRIM_400000_NS6detail17trampoline_kernelINS0_14default_configENS1_25partition_config_selectorILNS1_17partition_subalgoE6EyNS0_10empty_typeEbEEZZNS1_14partition_implILS5_6ELb0ES3_mN6thrust23THRUST_200600_302600_NS6detail15normal_iteratorINSA_10device_ptrIyEEEEPS6_SG_NS0_5tupleIJNSA_16discard_iteratorINSA_11use_defaultEEES6_EEENSH_IJSG_SG_EEES6_PlJNSB_9not_fun_tI7is_trueIyEEEEEE10hipError_tPvRmT3_T4_T5_T6_T7_T9_mT8_P12ihipStream_tbDpT10_ENKUlT_T0_E_clISt17integral_constantIbLb1EES1B_EEDaS16_S17_EUlS16_E_NS1_11comp_targetILNS1_3genE9ELNS1_11target_archE1100ELNS1_3gpuE3ELNS1_3repE0EEENS1_30default_config_static_selectorELNS0_4arch9wavefront6targetE0EEEvT1_: ; @_ZN7rocprim17ROCPRIM_400000_NS6detail17trampoline_kernelINS0_14default_configENS1_25partition_config_selectorILNS1_17partition_subalgoE6EyNS0_10empty_typeEbEEZZNS1_14partition_implILS5_6ELb0ES3_mN6thrust23THRUST_200600_302600_NS6detail15normal_iteratorINSA_10device_ptrIyEEEEPS6_SG_NS0_5tupleIJNSA_16discard_iteratorINSA_11use_defaultEEES6_EEENSH_IJSG_SG_EEES6_PlJNSB_9not_fun_tI7is_trueIyEEEEEE10hipError_tPvRmT3_T4_T5_T6_T7_T9_mT8_P12ihipStream_tbDpT10_ENKUlT_T0_E_clISt17integral_constantIbLb1EES1B_EEDaS16_S17_EUlS16_E_NS1_11comp_targetILNS1_3genE9ELNS1_11target_archE1100ELNS1_3gpuE3ELNS1_3repE0EEENS1_30default_config_static_selectorELNS0_4arch9wavefront6targetE0EEEvT1_
; %bb.0:
	.section	.rodata,"a",@progbits
	.p2align	6, 0x0
	.amdhsa_kernel _ZN7rocprim17ROCPRIM_400000_NS6detail17trampoline_kernelINS0_14default_configENS1_25partition_config_selectorILNS1_17partition_subalgoE6EyNS0_10empty_typeEbEEZZNS1_14partition_implILS5_6ELb0ES3_mN6thrust23THRUST_200600_302600_NS6detail15normal_iteratorINSA_10device_ptrIyEEEEPS6_SG_NS0_5tupleIJNSA_16discard_iteratorINSA_11use_defaultEEES6_EEENSH_IJSG_SG_EEES6_PlJNSB_9not_fun_tI7is_trueIyEEEEEE10hipError_tPvRmT3_T4_T5_T6_T7_T9_mT8_P12ihipStream_tbDpT10_ENKUlT_T0_E_clISt17integral_constantIbLb1EES1B_EEDaS16_S17_EUlS16_E_NS1_11comp_targetILNS1_3genE9ELNS1_11target_archE1100ELNS1_3gpuE3ELNS1_3repE0EEENS1_30default_config_static_selectorELNS0_4arch9wavefront6targetE0EEEvT1_
		.amdhsa_group_segment_fixed_size 0
		.amdhsa_private_segment_fixed_size 0
		.amdhsa_kernarg_size 136
		.amdhsa_user_sgpr_count 2
		.amdhsa_user_sgpr_dispatch_ptr 0
		.amdhsa_user_sgpr_queue_ptr 0
		.amdhsa_user_sgpr_kernarg_segment_ptr 1
		.amdhsa_user_sgpr_dispatch_id 0
		.amdhsa_user_sgpr_private_segment_size 0
		.amdhsa_wavefront_size32 1
		.amdhsa_uses_dynamic_stack 0
		.amdhsa_enable_private_segment 0
		.amdhsa_system_sgpr_workgroup_id_x 1
		.amdhsa_system_sgpr_workgroup_id_y 0
		.amdhsa_system_sgpr_workgroup_id_z 0
		.amdhsa_system_sgpr_workgroup_info 0
		.amdhsa_system_vgpr_workitem_id 0
		.amdhsa_next_free_vgpr 1
		.amdhsa_next_free_sgpr 1
		.amdhsa_reserve_vcc 0
		.amdhsa_float_round_mode_32 0
		.amdhsa_float_round_mode_16_64 0
		.amdhsa_float_denorm_mode_32 3
		.amdhsa_float_denorm_mode_16_64 3
		.amdhsa_fp16_overflow 0
		.amdhsa_workgroup_processor_mode 1
		.amdhsa_memory_ordered 1
		.amdhsa_forward_progress 1
		.amdhsa_inst_pref_size 0
		.amdhsa_round_robin_scheduling 0
		.amdhsa_exception_fp_ieee_invalid_op 0
		.amdhsa_exception_fp_denorm_src 0
		.amdhsa_exception_fp_ieee_div_zero 0
		.amdhsa_exception_fp_ieee_overflow 0
		.amdhsa_exception_fp_ieee_underflow 0
		.amdhsa_exception_fp_ieee_inexact 0
		.amdhsa_exception_int_div_zero 0
	.end_amdhsa_kernel
	.section	.text._ZN7rocprim17ROCPRIM_400000_NS6detail17trampoline_kernelINS0_14default_configENS1_25partition_config_selectorILNS1_17partition_subalgoE6EyNS0_10empty_typeEbEEZZNS1_14partition_implILS5_6ELb0ES3_mN6thrust23THRUST_200600_302600_NS6detail15normal_iteratorINSA_10device_ptrIyEEEEPS6_SG_NS0_5tupleIJNSA_16discard_iteratorINSA_11use_defaultEEES6_EEENSH_IJSG_SG_EEES6_PlJNSB_9not_fun_tI7is_trueIyEEEEEE10hipError_tPvRmT3_T4_T5_T6_T7_T9_mT8_P12ihipStream_tbDpT10_ENKUlT_T0_E_clISt17integral_constantIbLb1EES1B_EEDaS16_S17_EUlS16_E_NS1_11comp_targetILNS1_3genE9ELNS1_11target_archE1100ELNS1_3gpuE3ELNS1_3repE0EEENS1_30default_config_static_selectorELNS0_4arch9wavefront6targetE0EEEvT1_,"axG",@progbits,_ZN7rocprim17ROCPRIM_400000_NS6detail17trampoline_kernelINS0_14default_configENS1_25partition_config_selectorILNS1_17partition_subalgoE6EyNS0_10empty_typeEbEEZZNS1_14partition_implILS5_6ELb0ES3_mN6thrust23THRUST_200600_302600_NS6detail15normal_iteratorINSA_10device_ptrIyEEEEPS6_SG_NS0_5tupleIJNSA_16discard_iteratorINSA_11use_defaultEEES6_EEENSH_IJSG_SG_EEES6_PlJNSB_9not_fun_tI7is_trueIyEEEEEE10hipError_tPvRmT3_T4_T5_T6_T7_T9_mT8_P12ihipStream_tbDpT10_ENKUlT_T0_E_clISt17integral_constantIbLb1EES1B_EEDaS16_S17_EUlS16_E_NS1_11comp_targetILNS1_3genE9ELNS1_11target_archE1100ELNS1_3gpuE3ELNS1_3repE0EEENS1_30default_config_static_selectorELNS0_4arch9wavefront6targetE0EEEvT1_,comdat
.Lfunc_end2155:
	.size	_ZN7rocprim17ROCPRIM_400000_NS6detail17trampoline_kernelINS0_14default_configENS1_25partition_config_selectorILNS1_17partition_subalgoE6EyNS0_10empty_typeEbEEZZNS1_14partition_implILS5_6ELb0ES3_mN6thrust23THRUST_200600_302600_NS6detail15normal_iteratorINSA_10device_ptrIyEEEEPS6_SG_NS0_5tupleIJNSA_16discard_iteratorINSA_11use_defaultEEES6_EEENSH_IJSG_SG_EEES6_PlJNSB_9not_fun_tI7is_trueIyEEEEEE10hipError_tPvRmT3_T4_T5_T6_T7_T9_mT8_P12ihipStream_tbDpT10_ENKUlT_T0_E_clISt17integral_constantIbLb1EES1B_EEDaS16_S17_EUlS16_E_NS1_11comp_targetILNS1_3genE9ELNS1_11target_archE1100ELNS1_3gpuE3ELNS1_3repE0EEENS1_30default_config_static_selectorELNS0_4arch9wavefront6targetE0EEEvT1_, .Lfunc_end2155-_ZN7rocprim17ROCPRIM_400000_NS6detail17trampoline_kernelINS0_14default_configENS1_25partition_config_selectorILNS1_17partition_subalgoE6EyNS0_10empty_typeEbEEZZNS1_14partition_implILS5_6ELb0ES3_mN6thrust23THRUST_200600_302600_NS6detail15normal_iteratorINSA_10device_ptrIyEEEEPS6_SG_NS0_5tupleIJNSA_16discard_iteratorINSA_11use_defaultEEES6_EEENSH_IJSG_SG_EEES6_PlJNSB_9not_fun_tI7is_trueIyEEEEEE10hipError_tPvRmT3_T4_T5_T6_T7_T9_mT8_P12ihipStream_tbDpT10_ENKUlT_T0_E_clISt17integral_constantIbLb1EES1B_EEDaS16_S17_EUlS16_E_NS1_11comp_targetILNS1_3genE9ELNS1_11target_archE1100ELNS1_3gpuE3ELNS1_3repE0EEENS1_30default_config_static_selectorELNS0_4arch9wavefront6targetE0EEEvT1_
                                        ; -- End function
	.set _ZN7rocprim17ROCPRIM_400000_NS6detail17trampoline_kernelINS0_14default_configENS1_25partition_config_selectorILNS1_17partition_subalgoE6EyNS0_10empty_typeEbEEZZNS1_14partition_implILS5_6ELb0ES3_mN6thrust23THRUST_200600_302600_NS6detail15normal_iteratorINSA_10device_ptrIyEEEEPS6_SG_NS0_5tupleIJNSA_16discard_iteratorINSA_11use_defaultEEES6_EEENSH_IJSG_SG_EEES6_PlJNSB_9not_fun_tI7is_trueIyEEEEEE10hipError_tPvRmT3_T4_T5_T6_T7_T9_mT8_P12ihipStream_tbDpT10_ENKUlT_T0_E_clISt17integral_constantIbLb1EES1B_EEDaS16_S17_EUlS16_E_NS1_11comp_targetILNS1_3genE9ELNS1_11target_archE1100ELNS1_3gpuE3ELNS1_3repE0EEENS1_30default_config_static_selectorELNS0_4arch9wavefront6targetE0EEEvT1_.num_vgpr, 0
	.set _ZN7rocprim17ROCPRIM_400000_NS6detail17trampoline_kernelINS0_14default_configENS1_25partition_config_selectorILNS1_17partition_subalgoE6EyNS0_10empty_typeEbEEZZNS1_14partition_implILS5_6ELb0ES3_mN6thrust23THRUST_200600_302600_NS6detail15normal_iteratorINSA_10device_ptrIyEEEEPS6_SG_NS0_5tupleIJNSA_16discard_iteratorINSA_11use_defaultEEES6_EEENSH_IJSG_SG_EEES6_PlJNSB_9not_fun_tI7is_trueIyEEEEEE10hipError_tPvRmT3_T4_T5_T6_T7_T9_mT8_P12ihipStream_tbDpT10_ENKUlT_T0_E_clISt17integral_constantIbLb1EES1B_EEDaS16_S17_EUlS16_E_NS1_11comp_targetILNS1_3genE9ELNS1_11target_archE1100ELNS1_3gpuE3ELNS1_3repE0EEENS1_30default_config_static_selectorELNS0_4arch9wavefront6targetE0EEEvT1_.num_agpr, 0
	.set _ZN7rocprim17ROCPRIM_400000_NS6detail17trampoline_kernelINS0_14default_configENS1_25partition_config_selectorILNS1_17partition_subalgoE6EyNS0_10empty_typeEbEEZZNS1_14partition_implILS5_6ELb0ES3_mN6thrust23THRUST_200600_302600_NS6detail15normal_iteratorINSA_10device_ptrIyEEEEPS6_SG_NS0_5tupleIJNSA_16discard_iteratorINSA_11use_defaultEEES6_EEENSH_IJSG_SG_EEES6_PlJNSB_9not_fun_tI7is_trueIyEEEEEE10hipError_tPvRmT3_T4_T5_T6_T7_T9_mT8_P12ihipStream_tbDpT10_ENKUlT_T0_E_clISt17integral_constantIbLb1EES1B_EEDaS16_S17_EUlS16_E_NS1_11comp_targetILNS1_3genE9ELNS1_11target_archE1100ELNS1_3gpuE3ELNS1_3repE0EEENS1_30default_config_static_selectorELNS0_4arch9wavefront6targetE0EEEvT1_.numbered_sgpr, 0
	.set _ZN7rocprim17ROCPRIM_400000_NS6detail17trampoline_kernelINS0_14default_configENS1_25partition_config_selectorILNS1_17partition_subalgoE6EyNS0_10empty_typeEbEEZZNS1_14partition_implILS5_6ELb0ES3_mN6thrust23THRUST_200600_302600_NS6detail15normal_iteratorINSA_10device_ptrIyEEEEPS6_SG_NS0_5tupleIJNSA_16discard_iteratorINSA_11use_defaultEEES6_EEENSH_IJSG_SG_EEES6_PlJNSB_9not_fun_tI7is_trueIyEEEEEE10hipError_tPvRmT3_T4_T5_T6_T7_T9_mT8_P12ihipStream_tbDpT10_ENKUlT_T0_E_clISt17integral_constantIbLb1EES1B_EEDaS16_S17_EUlS16_E_NS1_11comp_targetILNS1_3genE9ELNS1_11target_archE1100ELNS1_3gpuE3ELNS1_3repE0EEENS1_30default_config_static_selectorELNS0_4arch9wavefront6targetE0EEEvT1_.num_named_barrier, 0
	.set _ZN7rocprim17ROCPRIM_400000_NS6detail17trampoline_kernelINS0_14default_configENS1_25partition_config_selectorILNS1_17partition_subalgoE6EyNS0_10empty_typeEbEEZZNS1_14partition_implILS5_6ELb0ES3_mN6thrust23THRUST_200600_302600_NS6detail15normal_iteratorINSA_10device_ptrIyEEEEPS6_SG_NS0_5tupleIJNSA_16discard_iteratorINSA_11use_defaultEEES6_EEENSH_IJSG_SG_EEES6_PlJNSB_9not_fun_tI7is_trueIyEEEEEE10hipError_tPvRmT3_T4_T5_T6_T7_T9_mT8_P12ihipStream_tbDpT10_ENKUlT_T0_E_clISt17integral_constantIbLb1EES1B_EEDaS16_S17_EUlS16_E_NS1_11comp_targetILNS1_3genE9ELNS1_11target_archE1100ELNS1_3gpuE3ELNS1_3repE0EEENS1_30default_config_static_selectorELNS0_4arch9wavefront6targetE0EEEvT1_.private_seg_size, 0
	.set _ZN7rocprim17ROCPRIM_400000_NS6detail17trampoline_kernelINS0_14default_configENS1_25partition_config_selectorILNS1_17partition_subalgoE6EyNS0_10empty_typeEbEEZZNS1_14partition_implILS5_6ELb0ES3_mN6thrust23THRUST_200600_302600_NS6detail15normal_iteratorINSA_10device_ptrIyEEEEPS6_SG_NS0_5tupleIJNSA_16discard_iteratorINSA_11use_defaultEEES6_EEENSH_IJSG_SG_EEES6_PlJNSB_9not_fun_tI7is_trueIyEEEEEE10hipError_tPvRmT3_T4_T5_T6_T7_T9_mT8_P12ihipStream_tbDpT10_ENKUlT_T0_E_clISt17integral_constantIbLb1EES1B_EEDaS16_S17_EUlS16_E_NS1_11comp_targetILNS1_3genE9ELNS1_11target_archE1100ELNS1_3gpuE3ELNS1_3repE0EEENS1_30default_config_static_selectorELNS0_4arch9wavefront6targetE0EEEvT1_.uses_vcc, 0
	.set _ZN7rocprim17ROCPRIM_400000_NS6detail17trampoline_kernelINS0_14default_configENS1_25partition_config_selectorILNS1_17partition_subalgoE6EyNS0_10empty_typeEbEEZZNS1_14partition_implILS5_6ELb0ES3_mN6thrust23THRUST_200600_302600_NS6detail15normal_iteratorINSA_10device_ptrIyEEEEPS6_SG_NS0_5tupleIJNSA_16discard_iteratorINSA_11use_defaultEEES6_EEENSH_IJSG_SG_EEES6_PlJNSB_9not_fun_tI7is_trueIyEEEEEE10hipError_tPvRmT3_T4_T5_T6_T7_T9_mT8_P12ihipStream_tbDpT10_ENKUlT_T0_E_clISt17integral_constantIbLb1EES1B_EEDaS16_S17_EUlS16_E_NS1_11comp_targetILNS1_3genE9ELNS1_11target_archE1100ELNS1_3gpuE3ELNS1_3repE0EEENS1_30default_config_static_selectorELNS0_4arch9wavefront6targetE0EEEvT1_.uses_flat_scratch, 0
	.set _ZN7rocprim17ROCPRIM_400000_NS6detail17trampoline_kernelINS0_14default_configENS1_25partition_config_selectorILNS1_17partition_subalgoE6EyNS0_10empty_typeEbEEZZNS1_14partition_implILS5_6ELb0ES3_mN6thrust23THRUST_200600_302600_NS6detail15normal_iteratorINSA_10device_ptrIyEEEEPS6_SG_NS0_5tupleIJNSA_16discard_iteratorINSA_11use_defaultEEES6_EEENSH_IJSG_SG_EEES6_PlJNSB_9not_fun_tI7is_trueIyEEEEEE10hipError_tPvRmT3_T4_T5_T6_T7_T9_mT8_P12ihipStream_tbDpT10_ENKUlT_T0_E_clISt17integral_constantIbLb1EES1B_EEDaS16_S17_EUlS16_E_NS1_11comp_targetILNS1_3genE9ELNS1_11target_archE1100ELNS1_3gpuE3ELNS1_3repE0EEENS1_30default_config_static_selectorELNS0_4arch9wavefront6targetE0EEEvT1_.has_dyn_sized_stack, 0
	.set _ZN7rocprim17ROCPRIM_400000_NS6detail17trampoline_kernelINS0_14default_configENS1_25partition_config_selectorILNS1_17partition_subalgoE6EyNS0_10empty_typeEbEEZZNS1_14partition_implILS5_6ELb0ES3_mN6thrust23THRUST_200600_302600_NS6detail15normal_iteratorINSA_10device_ptrIyEEEEPS6_SG_NS0_5tupleIJNSA_16discard_iteratorINSA_11use_defaultEEES6_EEENSH_IJSG_SG_EEES6_PlJNSB_9not_fun_tI7is_trueIyEEEEEE10hipError_tPvRmT3_T4_T5_T6_T7_T9_mT8_P12ihipStream_tbDpT10_ENKUlT_T0_E_clISt17integral_constantIbLb1EES1B_EEDaS16_S17_EUlS16_E_NS1_11comp_targetILNS1_3genE9ELNS1_11target_archE1100ELNS1_3gpuE3ELNS1_3repE0EEENS1_30default_config_static_selectorELNS0_4arch9wavefront6targetE0EEEvT1_.has_recursion, 0
	.set _ZN7rocprim17ROCPRIM_400000_NS6detail17trampoline_kernelINS0_14default_configENS1_25partition_config_selectorILNS1_17partition_subalgoE6EyNS0_10empty_typeEbEEZZNS1_14partition_implILS5_6ELb0ES3_mN6thrust23THRUST_200600_302600_NS6detail15normal_iteratorINSA_10device_ptrIyEEEEPS6_SG_NS0_5tupleIJNSA_16discard_iteratorINSA_11use_defaultEEES6_EEENSH_IJSG_SG_EEES6_PlJNSB_9not_fun_tI7is_trueIyEEEEEE10hipError_tPvRmT3_T4_T5_T6_T7_T9_mT8_P12ihipStream_tbDpT10_ENKUlT_T0_E_clISt17integral_constantIbLb1EES1B_EEDaS16_S17_EUlS16_E_NS1_11comp_targetILNS1_3genE9ELNS1_11target_archE1100ELNS1_3gpuE3ELNS1_3repE0EEENS1_30default_config_static_selectorELNS0_4arch9wavefront6targetE0EEEvT1_.has_indirect_call, 0
	.section	.AMDGPU.csdata,"",@progbits
; Kernel info:
; codeLenInByte = 0
; TotalNumSgprs: 0
; NumVgprs: 0
; ScratchSize: 0
; MemoryBound: 0
; FloatMode: 240
; IeeeMode: 1
; LDSByteSize: 0 bytes/workgroup (compile time only)
; SGPRBlocks: 0
; VGPRBlocks: 0
; NumSGPRsForWavesPerEU: 1
; NumVGPRsForWavesPerEU: 1
; Occupancy: 16
; WaveLimiterHint : 0
; COMPUTE_PGM_RSRC2:SCRATCH_EN: 0
; COMPUTE_PGM_RSRC2:USER_SGPR: 2
; COMPUTE_PGM_RSRC2:TRAP_HANDLER: 0
; COMPUTE_PGM_RSRC2:TGID_X_EN: 1
; COMPUTE_PGM_RSRC2:TGID_Y_EN: 0
; COMPUTE_PGM_RSRC2:TGID_Z_EN: 0
; COMPUTE_PGM_RSRC2:TIDIG_COMP_CNT: 0
	.section	.text._ZN7rocprim17ROCPRIM_400000_NS6detail17trampoline_kernelINS0_14default_configENS1_25partition_config_selectorILNS1_17partition_subalgoE6EyNS0_10empty_typeEbEEZZNS1_14partition_implILS5_6ELb0ES3_mN6thrust23THRUST_200600_302600_NS6detail15normal_iteratorINSA_10device_ptrIyEEEEPS6_SG_NS0_5tupleIJNSA_16discard_iteratorINSA_11use_defaultEEES6_EEENSH_IJSG_SG_EEES6_PlJNSB_9not_fun_tI7is_trueIyEEEEEE10hipError_tPvRmT3_T4_T5_T6_T7_T9_mT8_P12ihipStream_tbDpT10_ENKUlT_T0_E_clISt17integral_constantIbLb1EES1B_EEDaS16_S17_EUlS16_E_NS1_11comp_targetILNS1_3genE8ELNS1_11target_archE1030ELNS1_3gpuE2ELNS1_3repE0EEENS1_30default_config_static_selectorELNS0_4arch9wavefront6targetE0EEEvT1_,"axG",@progbits,_ZN7rocprim17ROCPRIM_400000_NS6detail17trampoline_kernelINS0_14default_configENS1_25partition_config_selectorILNS1_17partition_subalgoE6EyNS0_10empty_typeEbEEZZNS1_14partition_implILS5_6ELb0ES3_mN6thrust23THRUST_200600_302600_NS6detail15normal_iteratorINSA_10device_ptrIyEEEEPS6_SG_NS0_5tupleIJNSA_16discard_iteratorINSA_11use_defaultEEES6_EEENSH_IJSG_SG_EEES6_PlJNSB_9not_fun_tI7is_trueIyEEEEEE10hipError_tPvRmT3_T4_T5_T6_T7_T9_mT8_P12ihipStream_tbDpT10_ENKUlT_T0_E_clISt17integral_constantIbLb1EES1B_EEDaS16_S17_EUlS16_E_NS1_11comp_targetILNS1_3genE8ELNS1_11target_archE1030ELNS1_3gpuE2ELNS1_3repE0EEENS1_30default_config_static_selectorELNS0_4arch9wavefront6targetE0EEEvT1_,comdat
	.protected	_ZN7rocprim17ROCPRIM_400000_NS6detail17trampoline_kernelINS0_14default_configENS1_25partition_config_selectorILNS1_17partition_subalgoE6EyNS0_10empty_typeEbEEZZNS1_14partition_implILS5_6ELb0ES3_mN6thrust23THRUST_200600_302600_NS6detail15normal_iteratorINSA_10device_ptrIyEEEEPS6_SG_NS0_5tupleIJNSA_16discard_iteratorINSA_11use_defaultEEES6_EEENSH_IJSG_SG_EEES6_PlJNSB_9not_fun_tI7is_trueIyEEEEEE10hipError_tPvRmT3_T4_T5_T6_T7_T9_mT8_P12ihipStream_tbDpT10_ENKUlT_T0_E_clISt17integral_constantIbLb1EES1B_EEDaS16_S17_EUlS16_E_NS1_11comp_targetILNS1_3genE8ELNS1_11target_archE1030ELNS1_3gpuE2ELNS1_3repE0EEENS1_30default_config_static_selectorELNS0_4arch9wavefront6targetE0EEEvT1_ ; -- Begin function _ZN7rocprim17ROCPRIM_400000_NS6detail17trampoline_kernelINS0_14default_configENS1_25partition_config_selectorILNS1_17partition_subalgoE6EyNS0_10empty_typeEbEEZZNS1_14partition_implILS5_6ELb0ES3_mN6thrust23THRUST_200600_302600_NS6detail15normal_iteratorINSA_10device_ptrIyEEEEPS6_SG_NS0_5tupleIJNSA_16discard_iteratorINSA_11use_defaultEEES6_EEENSH_IJSG_SG_EEES6_PlJNSB_9not_fun_tI7is_trueIyEEEEEE10hipError_tPvRmT3_T4_T5_T6_T7_T9_mT8_P12ihipStream_tbDpT10_ENKUlT_T0_E_clISt17integral_constantIbLb1EES1B_EEDaS16_S17_EUlS16_E_NS1_11comp_targetILNS1_3genE8ELNS1_11target_archE1030ELNS1_3gpuE2ELNS1_3repE0EEENS1_30default_config_static_selectorELNS0_4arch9wavefront6targetE0EEEvT1_
	.globl	_ZN7rocprim17ROCPRIM_400000_NS6detail17trampoline_kernelINS0_14default_configENS1_25partition_config_selectorILNS1_17partition_subalgoE6EyNS0_10empty_typeEbEEZZNS1_14partition_implILS5_6ELb0ES3_mN6thrust23THRUST_200600_302600_NS6detail15normal_iteratorINSA_10device_ptrIyEEEEPS6_SG_NS0_5tupleIJNSA_16discard_iteratorINSA_11use_defaultEEES6_EEENSH_IJSG_SG_EEES6_PlJNSB_9not_fun_tI7is_trueIyEEEEEE10hipError_tPvRmT3_T4_T5_T6_T7_T9_mT8_P12ihipStream_tbDpT10_ENKUlT_T0_E_clISt17integral_constantIbLb1EES1B_EEDaS16_S17_EUlS16_E_NS1_11comp_targetILNS1_3genE8ELNS1_11target_archE1030ELNS1_3gpuE2ELNS1_3repE0EEENS1_30default_config_static_selectorELNS0_4arch9wavefront6targetE0EEEvT1_
	.p2align	8
	.type	_ZN7rocprim17ROCPRIM_400000_NS6detail17trampoline_kernelINS0_14default_configENS1_25partition_config_selectorILNS1_17partition_subalgoE6EyNS0_10empty_typeEbEEZZNS1_14partition_implILS5_6ELb0ES3_mN6thrust23THRUST_200600_302600_NS6detail15normal_iteratorINSA_10device_ptrIyEEEEPS6_SG_NS0_5tupleIJNSA_16discard_iteratorINSA_11use_defaultEEES6_EEENSH_IJSG_SG_EEES6_PlJNSB_9not_fun_tI7is_trueIyEEEEEE10hipError_tPvRmT3_T4_T5_T6_T7_T9_mT8_P12ihipStream_tbDpT10_ENKUlT_T0_E_clISt17integral_constantIbLb1EES1B_EEDaS16_S17_EUlS16_E_NS1_11comp_targetILNS1_3genE8ELNS1_11target_archE1030ELNS1_3gpuE2ELNS1_3repE0EEENS1_30default_config_static_selectorELNS0_4arch9wavefront6targetE0EEEvT1_,@function
_ZN7rocprim17ROCPRIM_400000_NS6detail17trampoline_kernelINS0_14default_configENS1_25partition_config_selectorILNS1_17partition_subalgoE6EyNS0_10empty_typeEbEEZZNS1_14partition_implILS5_6ELb0ES3_mN6thrust23THRUST_200600_302600_NS6detail15normal_iteratorINSA_10device_ptrIyEEEEPS6_SG_NS0_5tupleIJNSA_16discard_iteratorINSA_11use_defaultEEES6_EEENSH_IJSG_SG_EEES6_PlJNSB_9not_fun_tI7is_trueIyEEEEEE10hipError_tPvRmT3_T4_T5_T6_T7_T9_mT8_P12ihipStream_tbDpT10_ENKUlT_T0_E_clISt17integral_constantIbLb1EES1B_EEDaS16_S17_EUlS16_E_NS1_11comp_targetILNS1_3genE8ELNS1_11target_archE1030ELNS1_3gpuE2ELNS1_3repE0EEENS1_30default_config_static_selectorELNS0_4arch9wavefront6targetE0EEEvT1_: ; @_ZN7rocprim17ROCPRIM_400000_NS6detail17trampoline_kernelINS0_14default_configENS1_25partition_config_selectorILNS1_17partition_subalgoE6EyNS0_10empty_typeEbEEZZNS1_14partition_implILS5_6ELb0ES3_mN6thrust23THRUST_200600_302600_NS6detail15normal_iteratorINSA_10device_ptrIyEEEEPS6_SG_NS0_5tupleIJNSA_16discard_iteratorINSA_11use_defaultEEES6_EEENSH_IJSG_SG_EEES6_PlJNSB_9not_fun_tI7is_trueIyEEEEEE10hipError_tPvRmT3_T4_T5_T6_T7_T9_mT8_P12ihipStream_tbDpT10_ENKUlT_T0_E_clISt17integral_constantIbLb1EES1B_EEDaS16_S17_EUlS16_E_NS1_11comp_targetILNS1_3genE8ELNS1_11target_archE1030ELNS1_3gpuE2ELNS1_3repE0EEENS1_30default_config_static_selectorELNS0_4arch9wavefront6targetE0EEEvT1_
; %bb.0:
	.section	.rodata,"a",@progbits
	.p2align	6, 0x0
	.amdhsa_kernel _ZN7rocprim17ROCPRIM_400000_NS6detail17trampoline_kernelINS0_14default_configENS1_25partition_config_selectorILNS1_17partition_subalgoE6EyNS0_10empty_typeEbEEZZNS1_14partition_implILS5_6ELb0ES3_mN6thrust23THRUST_200600_302600_NS6detail15normal_iteratorINSA_10device_ptrIyEEEEPS6_SG_NS0_5tupleIJNSA_16discard_iteratorINSA_11use_defaultEEES6_EEENSH_IJSG_SG_EEES6_PlJNSB_9not_fun_tI7is_trueIyEEEEEE10hipError_tPvRmT3_T4_T5_T6_T7_T9_mT8_P12ihipStream_tbDpT10_ENKUlT_T0_E_clISt17integral_constantIbLb1EES1B_EEDaS16_S17_EUlS16_E_NS1_11comp_targetILNS1_3genE8ELNS1_11target_archE1030ELNS1_3gpuE2ELNS1_3repE0EEENS1_30default_config_static_selectorELNS0_4arch9wavefront6targetE0EEEvT1_
		.amdhsa_group_segment_fixed_size 0
		.amdhsa_private_segment_fixed_size 0
		.amdhsa_kernarg_size 136
		.amdhsa_user_sgpr_count 2
		.amdhsa_user_sgpr_dispatch_ptr 0
		.amdhsa_user_sgpr_queue_ptr 0
		.amdhsa_user_sgpr_kernarg_segment_ptr 1
		.amdhsa_user_sgpr_dispatch_id 0
		.amdhsa_user_sgpr_private_segment_size 0
		.amdhsa_wavefront_size32 1
		.amdhsa_uses_dynamic_stack 0
		.amdhsa_enable_private_segment 0
		.amdhsa_system_sgpr_workgroup_id_x 1
		.amdhsa_system_sgpr_workgroup_id_y 0
		.amdhsa_system_sgpr_workgroup_id_z 0
		.amdhsa_system_sgpr_workgroup_info 0
		.amdhsa_system_vgpr_workitem_id 0
		.amdhsa_next_free_vgpr 1
		.amdhsa_next_free_sgpr 1
		.amdhsa_reserve_vcc 0
		.amdhsa_float_round_mode_32 0
		.amdhsa_float_round_mode_16_64 0
		.amdhsa_float_denorm_mode_32 3
		.amdhsa_float_denorm_mode_16_64 3
		.amdhsa_fp16_overflow 0
		.amdhsa_workgroup_processor_mode 1
		.amdhsa_memory_ordered 1
		.amdhsa_forward_progress 1
		.amdhsa_inst_pref_size 0
		.amdhsa_round_robin_scheduling 0
		.amdhsa_exception_fp_ieee_invalid_op 0
		.amdhsa_exception_fp_denorm_src 0
		.amdhsa_exception_fp_ieee_div_zero 0
		.amdhsa_exception_fp_ieee_overflow 0
		.amdhsa_exception_fp_ieee_underflow 0
		.amdhsa_exception_fp_ieee_inexact 0
		.amdhsa_exception_int_div_zero 0
	.end_amdhsa_kernel
	.section	.text._ZN7rocprim17ROCPRIM_400000_NS6detail17trampoline_kernelINS0_14default_configENS1_25partition_config_selectorILNS1_17partition_subalgoE6EyNS0_10empty_typeEbEEZZNS1_14partition_implILS5_6ELb0ES3_mN6thrust23THRUST_200600_302600_NS6detail15normal_iteratorINSA_10device_ptrIyEEEEPS6_SG_NS0_5tupleIJNSA_16discard_iteratorINSA_11use_defaultEEES6_EEENSH_IJSG_SG_EEES6_PlJNSB_9not_fun_tI7is_trueIyEEEEEE10hipError_tPvRmT3_T4_T5_T6_T7_T9_mT8_P12ihipStream_tbDpT10_ENKUlT_T0_E_clISt17integral_constantIbLb1EES1B_EEDaS16_S17_EUlS16_E_NS1_11comp_targetILNS1_3genE8ELNS1_11target_archE1030ELNS1_3gpuE2ELNS1_3repE0EEENS1_30default_config_static_selectorELNS0_4arch9wavefront6targetE0EEEvT1_,"axG",@progbits,_ZN7rocprim17ROCPRIM_400000_NS6detail17trampoline_kernelINS0_14default_configENS1_25partition_config_selectorILNS1_17partition_subalgoE6EyNS0_10empty_typeEbEEZZNS1_14partition_implILS5_6ELb0ES3_mN6thrust23THRUST_200600_302600_NS6detail15normal_iteratorINSA_10device_ptrIyEEEEPS6_SG_NS0_5tupleIJNSA_16discard_iteratorINSA_11use_defaultEEES6_EEENSH_IJSG_SG_EEES6_PlJNSB_9not_fun_tI7is_trueIyEEEEEE10hipError_tPvRmT3_T4_T5_T6_T7_T9_mT8_P12ihipStream_tbDpT10_ENKUlT_T0_E_clISt17integral_constantIbLb1EES1B_EEDaS16_S17_EUlS16_E_NS1_11comp_targetILNS1_3genE8ELNS1_11target_archE1030ELNS1_3gpuE2ELNS1_3repE0EEENS1_30default_config_static_selectorELNS0_4arch9wavefront6targetE0EEEvT1_,comdat
.Lfunc_end2156:
	.size	_ZN7rocprim17ROCPRIM_400000_NS6detail17trampoline_kernelINS0_14default_configENS1_25partition_config_selectorILNS1_17partition_subalgoE6EyNS0_10empty_typeEbEEZZNS1_14partition_implILS5_6ELb0ES3_mN6thrust23THRUST_200600_302600_NS6detail15normal_iteratorINSA_10device_ptrIyEEEEPS6_SG_NS0_5tupleIJNSA_16discard_iteratorINSA_11use_defaultEEES6_EEENSH_IJSG_SG_EEES6_PlJNSB_9not_fun_tI7is_trueIyEEEEEE10hipError_tPvRmT3_T4_T5_T6_T7_T9_mT8_P12ihipStream_tbDpT10_ENKUlT_T0_E_clISt17integral_constantIbLb1EES1B_EEDaS16_S17_EUlS16_E_NS1_11comp_targetILNS1_3genE8ELNS1_11target_archE1030ELNS1_3gpuE2ELNS1_3repE0EEENS1_30default_config_static_selectorELNS0_4arch9wavefront6targetE0EEEvT1_, .Lfunc_end2156-_ZN7rocprim17ROCPRIM_400000_NS6detail17trampoline_kernelINS0_14default_configENS1_25partition_config_selectorILNS1_17partition_subalgoE6EyNS0_10empty_typeEbEEZZNS1_14partition_implILS5_6ELb0ES3_mN6thrust23THRUST_200600_302600_NS6detail15normal_iteratorINSA_10device_ptrIyEEEEPS6_SG_NS0_5tupleIJNSA_16discard_iteratorINSA_11use_defaultEEES6_EEENSH_IJSG_SG_EEES6_PlJNSB_9not_fun_tI7is_trueIyEEEEEE10hipError_tPvRmT3_T4_T5_T6_T7_T9_mT8_P12ihipStream_tbDpT10_ENKUlT_T0_E_clISt17integral_constantIbLb1EES1B_EEDaS16_S17_EUlS16_E_NS1_11comp_targetILNS1_3genE8ELNS1_11target_archE1030ELNS1_3gpuE2ELNS1_3repE0EEENS1_30default_config_static_selectorELNS0_4arch9wavefront6targetE0EEEvT1_
                                        ; -- End function
	.set _ZN7rocprim17ROCPRIM_400000_NS6detail17trampoline_kernelINS0_14default_configENS1_25partition_config_selectorILNS1_17partition_subalgoE6EyNS0_10empty_typeEbEEZZNS1_14partition_implILS5_6ELb0ES3_mN6thrust23THRUST_200600_302600_NS6detail15normal_iteratorINSA_10device_ptrIyEEEEPS6_SG_NS0_5tupleIJNSA_16discard_iteratorINSA_11use_defaultEEES6_EEENSH_IJSG_SG_EEES6_PlJNSB_9not_fun_tI7is_trueIyEEEEEE10hipError_tPvRmT3_T4_T5_T6_T7_T9_mT8_P12ihipStream_tbDpT10_ENKUlT_T0_E_clISt17integral_constantIbLb1EES1B_EEDaS16_S17_EUlS16_E_NS1_11comp_targetILNS1_3genE8ELNS1_11target_archE1030ELNS1_3gpuE2ELNS1_3repE0EEENS1_30default_config_static_selectorELNS0_4arch9wavefront6targetE0EEEvT1_.num_vgpr, 0
	.set _ZN7rocprim17ROCPRIM_400000_NS6detail17trampoline_kernelINS0_14default_configENS1_25partition_config_selectorILNS1_17partition_subalgoE6EyNS0_10empty_typeEbEEZZNS1_14partition_implILS5_6ELb0ES3_mN6thrust23THRUST_200600_302600_NS6detail15normal_iteratorINSA_10device_ptrIyEEEEPS6_SG_NS0_5tupleIJNSA_16discard_iteratorINSA_11use_defaultEEES6_EEENSH_IJSG_SG_EEES6_PlJNSB_9not_fun_tI7is_trueIyEEEEEE10hipError_tPvRmT3_T4_T5_T6_T7_T9_mT8_P12ihipStream_tbDpT10_ENKUlT_T0_E_clISt17integral_constantIbLb1EES1B_EEDaS16_S17_EUlS16_E_NS1_11comp_targetILNS1_3genE8ELNS1_11target_archE1030ELNS1_3gpuE2ELNS1_3repE0EEENS1_30default_config_static_selectorELNS0_4arch9wavefront6targetE0EEEvT1_.num_agpr, 0
	.set _ZN7rocprim17ROCPRIM_400000_NS6detail17trampoline_kernelINS0_14default_configENS1_25partition_config_selectorILNS1_17partition_subalgoE6EyNS0_10empty_typeEbEEZZNS1_14partition_implILS5_6ELb0ES3_mN6thrust23THRUST_200600_302600_NS6detail15normal_iteratorINSA_10device_ptrIyEEEEPS6_SG_NS0_5tupleIJNSA_16discard_iteratorINSA_11use_defaultEEES6_EEENSH_IJSG_SG_EEES6_PlJNSB_9not_fun_tI7is_trueIyEEEEEE10hipError_tPvRmT3_T4_T5_T6_T7_T9_mT8_P12ihipStream_tbDpT10_ENKUlT_T0_E_clISt17integral_constantIbLb1EES1B_EEDaS16_S17_EUlS16_E_NS1_11comp_targetILNS1_3genE8ELNS1_11target_archE1030ELNS1_3gpuE2ELNS1_3repE0EEENS1_30default_config_static_selectorELNS0_4arch9wavefront6targetE0EEEvT1_.numbered_sgpr, 0
	.set _ZN7rocprim17ROCPRIM_400000_NS6detail17trampoline_kernelINS0_14default_configENS1_25partition_config_selectorILNS1_17partition_subalgoE6EyNS0_10empty_typeEbEEZZNS1_14partition_implILS5_6ELb0ES3_mN6thrust23THRUST_200600_302600_NS6detail15normal_iteratorINSA_10device_ptrIyEEEEPS6_SG_NS0_5tupleIJNSA_16discard_iteratorINSA_11use_defaultEEES6_EEENSH_IJSG_SG_EEES6_PlJNSB_9not_fun_tI7is_trueIyEEEEEE10hipError_tPvRmT3_T4_T5_T6_T7_T9_mT8_P12ihipStream_tbDpT10_ENKUlT_T0_E_clISt17integral_constantIbLb1EES1B_EEDaS16_S17_EUlS16_E_NS1_11comp_targetILNS1_3genE8ELNS1_11target_archE1030ELNS1_3gpuE2ELNS1_3repE0EEENS1_30default_config_static_selectorELNS0_4arch9wavefront6targetE0EEEvT1_.num_named_barrier, 0
	.set _ZN7rocprim17ROCPRIM_400000_NS6detail17trampoline_kernelINS0_14default_configENS1_25partition_config_selectorILNS1_17partition_subalgoE6EyNS0_10empty_typeEbEEZZNS1_14partition_implILS5_6ELb0ES3_mN6thrust23THRUST_200600_302600_NS6detail15normal_iteratorINSA_10device_ptrIyEEEEPS6_SG_NS0_5tupleIJNSA_16discard_iteratorINSA_11use_defaultEEES6_EEENSH_IJSG_SG_EEES6_PlJNSB_9not_fun_tI7is_trueIyEEEEEE10hipError_tPvRmT3_T4_T5_T6_T7_T9_mT8_P12ihipStream_tbDpT10_ENKUlT_T0_E_clISt17integral_constantIbLb1EES1B_EEDaS16_S17_EUlS16_E_NS1_11comp_targetILNS1_3genE8ELNS1_11target_archE1030ELNS1_3gpuE2ELNS1_3repE0EEENS1_30default_config_static_selectorELNS0_4arch9wavefront6targetE0EEEvT1_.private_seg_size, 0
	.set _ZN7rocprim17ROCPRIM_400000_NS6detail17trampoline_kernelINS0_14default_configENS1_25partition_config_selectorILNS1_17partition_subalgoE6EyNS0_10empty_typeEbEEZZNS1_14partition_implILS5_6ELb0ES3_mN6thrust23THRUST_200600_302600_NS6detail15normal_iteratorINSA_10device_ptrIyEEEEPS6_SG_NS0_5tupleIJNSA_16discard_iteratorINSA_11use_defaultEEES6_EEENSH_IJSG_SG_EEES6_PlJNSB_9not_fun_tI7is_trueIyEEEEEE10hipError_tPvRmT3_T4_T5_T6_T7_T9_mT8_P12ihipStream_tbDpT10_ENKUlT_T0_E_clISt17integral_constantIbLb1EES1B_EEDaS16_S17_EUlS16_E_NS1_11comp_targetILNS1_3genE8ELNS1_11target_archE1030ELNS1_3gpuE2ELNS1_3repE0EEENS1_30default_config_static_selectorELNS0_4arch9wavefront6targetE0EEEvT1_.uses_vcc, 0
	.set _ZN7rocprim17ROCPRIM_400000_NS6detail17trampoline_kernelINS0_14default_configENS1_25partition_config_selectorILNS1_17partition_subalgoE6EyNS0_10empty_typeEbEEZZNS1_14partition_implILS5_6ELb0ES3_mN6thrust23THRUST_200600_302600_NS6detail15normal_iteratorINSA_10device_ptrIyEEEEPS6_SG_NS0_5tupleIJNSA_16discard_iteratorINSA_11use_defaultEEES6_EEENSH_IJSG_SG_EEES6_PlJNSB_9not_fun_tI7is_trueIyEEEEEE10hipError_tPvRmT3_T4_T5_T6_T7_T9_mT8_P12ihipStream_tbDpT10_ENKUlT_T0_E_clISt17integral_constantIbLb1EES1B_EEDaS16_S17_EUlS16_E_NS1_11comp_targetILNS1_3genE8ELNS1_11target_archE1030ELNS1_3gpuE2ELNS1_3repE0EEENS1_30default_config_static_selectorELNS0_4arch9wavefront6targetE0EEEvT1_.uses_flat_scratch, 0
	.set _ZN7rocprim17ROCPRIM_400000_NS6detail17trampoline_kernelINS0_14default_configENS1_25partition_config_selectorILNS1_17partition_subalgoE6EyNS0_10empty_typeEbEEZZNS1_14partition_implILS5_6ELb0ES3_mN6thrust23THRUST_200600_302600_NS6detail15normal_iteratorINSA_10device_ptrIyEEEEPS6_SG_NS0_5tupleIJNSA_16discard_iteratorINSA_11use_defaultEEES6_EEENSH_IJSG_SG_EEES6_PlJNSB_9not_fun_tI7is_trueIyEEEEEE10hipError_tPvRmT3_T4_T5_T6_T7_T9_mT8_P12ihipStream_tbDpT10_ENKUlT_T0_E_clISt17integral_constantIbLb1EES1B_EEDaS16_S17_EUlS16_E_NS1_11comp_targetILNS1_3genE8ELNS1_11target_archE1030ELNS1_3gpuE2ELNS1_3repE0EEENS1_30default_config_static_selectorELNS0_4arch9wavefront6targetE0EEEvT1_.has_dyn_sized_stack, 0
	.set _ZN7rocprim17ROCPRIM_400000_NS6detail17trampoline_kernelINS0_14default_configENS1_25partition_config_selectorILNS1_17partition_subalgoE6EyNS0_10empty_typeEbEEZZNS1_14partition_implILS5_6ELb0ES3_mN6thrust23THRUST_200600_302600_NS6detail15normal_iteratorINSA_10device_ptrIyEEEEPS6_SG_NS0_5tupleIJNSA_16discard_iteratorINSA_11use_defaultEEES6_EEENSH_IJSG_SG_EEES6_PlJNSB_9not_fun_tI7is_trueIyEEEEEE10hipError_tPvRmT3_T4_T5_T6_T7_T9_mT8_P12ihipStream_tbDpT10_ENKUlT_T0_E_clISt17integral_constantIbLb1EES1B_EEDaS16_S17_EUlS16_E_NS1_11comp_targetILNS1_3genE8ELNS1_11target_archE1030ELNS1_3gpuE2ELNS1_3repE0EEENS1_30default_config_static_selectorELNS0_4arch9wavefront6targetE0EEEvT1_.has_recursion, 0
	.set _ZN7rocprim17ROCPRIM_400000_NS6detail17trampoline_kernelINS0_14default_configENS1_25partition_config_selectorILNS1_17partition_subalgoE6EyNS0_10empty_typeEbEEZZNS1_14partition_implILS5_6ELb0ES3_mN6thrust23THRUST_200600_302600_NS6detail15normal_iteratorINSA_10device_ptrIyEEEEPS6_SG_NS0_5tupleIJNSA_16discard_iteratorINSA_11use_defaultEEES6_EEENSH_IJSG_SG_EEES6_PlJNSB_9not_fun_tI7is_trueIyEEEEEE10hipError_tPvRmT3_T4_T5_T6_T7_T9_mT8_P12ihipStream_tbDpT10_ENKUlT_T0_E_clISt17integral_constantIbLb1EES1B_EEDaS16_S17_EUlS16_E_NS1_11comp_targetILNS1_3genE8ELNS1_11target_archE1030ELNS1_3gpuE2ELNS1_3repE0EEENS1_30default_config_static_selectorELNS0_4arch9wavefront6targetE0EEEvT1_.has_indirect_call, 0
	.section	.AMDGPU.csdata,"",@progbits
; Kernel info:
; codeLenInByte = 0
; TotalNumSgprs: 0
; NumVgprs: 0
; ScratchSize: 0
; MemoryBound: 0
; FloatMode: 240
; IeeeMode: 1
; LDSByteSize: 0 bytes/workgroup (compile time only)
; SGPRBlocks: 0
; VGPRBlocks: 0
; NumSGPRsForWavesPerEU: 1
; NumVGPRsForWavesPerEU: 1
; Occupancy: 16
; WaveLimiterHint : 0
; COMPUTE_PGM_RSRC2:SCRATCH_EN: 0
; COMPUTE_PGM_RSRC2:USER_SGPR: 2
; COMPUTE_PGM_RSRC2:TRAP_HANDLER: 0
; COMPUTE_PGM_RSRC2:TGID_X_EN: 1
; COMPUTE_PGM_RSRC2:TGID_Y_EN: 0
; COMPUTE_PGM_RSRC2:TGID_Z_EN: 0
; COMPUTE_PGM_RSRC2:TIDIG_COMP_CNT: 0
	.section	.text._ZN7rocprim17ROCPRIM_400000_NS6detail17trampoline_kernelINS0_14default_configENS1_25partition_config_selectorILNS1_17partition_subalgoE6EyNS0_10empty_typeEbEEZZNS1_14partition_implILS5_6ELb0ES3_mN6thrust23THRUST_200600_302600_NS6detail15normal_iteratorINSA_10device_ptrIyEEEEPS6_SG_NS0_5tupleIJNSA_16discard_iteratorINSA_11use_defaultEEES6_EEENSH_IJSG_SG_EEES6_PlJNSB_9not_fun_tI7is_trueIyEEEEEE10hipError_tPvRmT3_T4_T5_T6_T7_T9_mT8_P12ihipStream_tbDpT10_ENKUlT_T0_E_clISt17integral_constantIbLb1EES1A_IbLb0EEEEDaS16_S17_EUlS16_E_NS1_11comp_targetILNS1_3genE0ELNS1_11target_archE4294967295ELNS1_3gpuE0ELNS1_3repE0EEENS1_30default_config_static_selectorELNS0_4arch9wavefront6targetE0EEEvT1_,"axG",@progbits,_ZN7rocprim17ROCPRIM_400000_NS6detail17trampoline_kernelINS0_14default_configENS1_25partition_config_selectorILNS1_17partition_subalgoE6EyNS0_10empty_typeEbEEZZNS1_14partition_implILS5_6ELb0ES3_mN6thrust23THRUST_200600_302600_NS6detail15normal_iteratorINSA_10device_ptrIyEEEEPS6_SG_NS0_5tupleIJNSA_16discard_iteratorINSA_11use_defaultEEES6_EEENSH_IJSG_SG_EEES6_PlJNSB_9not_fun_tI7is_trueIyEEEEEE10hipError_tPvRmT3_T4_T5_T6_T7_T9_mT8_P12ihipStream_tbDpT10_ENKUlT_T0_E_clISt17integral_constantIbLb1EES1A_IbLb0EEEEDaS16_S17_EUlS16_E_NS1_11comp_targetILNS1_3genE0ELNS1_11target_archE4294967295ELNS1_3gpuE0ELNS1_3repE0EEENS1_30default_config_static_selectorELNS0_4arch9wavefront6targetE0EEEvT1_,comdat
	.protected	_ZN7rocprim17ROCPRIM_400000_NS6detail17trampoline_kernelINS0_14default_configENS1_25partition_config_selectorILNS1_17partition_subalgoE6EyNS0_10empty_typeEbEEZZNS1_14partition_implILS5_6ELb0ES3_mN6thrust23THRUST_200600_302600_NS6detail15normal_iteratorINSA_10device_ptrIyEEEEPS6_SG_NS0_5tupleIJNSA_16discard_iteratorINSA_11use_defaultEEES6_EEENSH_IJSG_SG_EEES6_PlJNSB_9not_fun_tI7is_trueIyEEEEEE10hipError_tPvRmT3_T4_T5_T6_T7_T9_mT8_P12ihipStream_tbDpT10_ENKUlT_T0_E_clISt17integral_constantIbLb1EES1A_IbLb0EEEEDaS16_S17_EUlS16_E_NS1_11comp_targetILNS1_3genE0ELNS1_11target_archE4294967295ELNS1_3gpuE0ELNS1_3repE0EEENS1_30default_config_static_selectorELNS0_4arch9wavefront6targetE0EEEvT1_ ; -- Begin function _ZN7rocprim17ROCPRIM_400000_NS6detail17trampoline_kernelINS0_14default_configENS1_25partition_config_selectorILNS1_17partition_subalgoE6EyNS0_10empty_typeEbEEZZNS1_14partition_implILS5_6ELb0ES3_mN6thrust23THRUST_200600_302600_NS6detail15normal_iteratorINSA_10device_ptrIyEEEEPS6_SG_NS0_5tupleIJNSA_16discard_iteratorINSA_11use_defaultEEES6_EEENSH_IJSG_SG_EEES6_PlJNSB_9not_fun_tI7is_trueIyEEEEEE10hipError_tPvRmT3_T4_T5_T6_T7_T9_mT8_P12ihipStream_tbDpT10_ENKUlT_T0_E_clISt17integral_constantIbLb1EES1A_IbLb0EEEEDaS16_S17_EUlS16_E_NS1_11comp_targetILNS1_3genE0ELNS1_11target_archE4294967295ELNS1_3gpuE0ELNS1_3repE0EEENS1_30default_config_static_selectorELNS0_4arch9wavefront6targetE0EEEvT1_
	.globl	_ZN7rocprim17ROCPRIM_400000_NS6detail17trampoline_kernelINS0_14default_configENS1_25partition_config_selectorILNS1_17partition_subalgoE6EyNS0_10empty_typeEbEEZZNS1_14partition_implILS5_6ELb0ES3_mN6thrust23THRUST_200600_302600_NS6detail15normal_iteratorINSA_10device_ptrIyEEEEPS6_SG_NS0_5tupleIJNSA_16discard_iteratorINSA_11use_defaultEEES6_EEENSH_IJSG_SG_EEES6_PlJNSB_9not_fun_tI7is_trueIyEEEEEE10hipError_tPvRmT3_T4_T5_T6_T7_T9_mT8_P12ihipStream_tbDpT10_ENKUlT_T0_E_clISt17integral_constantIbLb1EES1A_IbLb0EEEEDaS16_S17_EUlS16_E_NS1_11comp_targetILNS1_3genE0ELNS1_11target_archE4294967295ELNS1_3gpuE0ELNS1_3repE0EEENS1_30default_config_static_selectorELNS0_4arch9wavefront6targetE0EEEvT1_
	.p2align	8
	.type	_ZN7rocprim17ROCPRIM_400000_NS6detail17trampoline_kernelINS0_14default_configENS1_25partition_config_selectorILNS1_17partition_subalgoE6EyNS0_10empty_typeEbEEZZNS1_14partition_implILS5_6ELb0ES3_mN6thrust23THRUST_200600_302600_NS6detail15normal_iteratorINSA_10device_ptrIyEEEEPS6_SG_NS0_5tupleIJNSA_16discard_iteratorINSA_11use_defaultEEES6_EEENSH_IJSG_SG_EEES6_PlJNSB_9not_fun_tI7is_trueIyEEEEEE10hipError_tPvRmT3_T4_T5_T6_T7_T9_mT8_P12ihipStream_tbDpT10_ENKUlT_T0_E_clISt17integral_constantIbLb1EES1A_IbLb0EEEEDaS16_S17_EUlS16_E_NS1_11comp_targetILNS1_3genE0ELNS1_11target_archE4294967295ELNS1_3gpuE0ELNS1_3repE0EEENS1_30default_config_static_selectorELNS0_4arch9wavefront6targetE0EEEvT1_,@function
_ZN7rocprim17ROCPRIM_400000_NS6detail17trampoline_kernelINS0_14default_configENS1_25partition_config_selectorILNS1_17partition_subalgoE6EyNS0_10empty_typeEbEEZZNS1_14partition_implILS5_6ELb0ES3_mN6thrust23THRUST_200600_302600_NS6detail15normal_iteratorINSA_10device_ptrIyEEEEPS6_SG_NS0_5tupleIJNSA_16discard_iteratorINSA_11use_defaultEEES6_EEENSH_IJSG_SG_EEES6_PlJNSB_9not_fun_tI7is_trueIyEEEEEE10hipError_tPvRmT3_T4_T5_T6_T7_T9_mT8_P12ihipStream_tbDpT10_ENKUlT_T0_E_clISt17integral_constantIbLb1EES1A_IbLb0EEEEDaS16_S17_EUlS16_E_NS1_11comp_targetILNS1_3genE0ELNS1_11target_archE4294967295ELNS1_3gpuE0ELNS1_3repE0EEENS1_30default_config_static_selectorELNS0_4arch9wavefront6targetE0EEEvT1_: ; @_ZN7rocprim17ROCPRIM_400000_NS6detail17trampoline_kernelINS0_14default_configENS1_25partition_config_selectorILNS1_17partition_subalgoE6EyNS0_10empty_typeEbEEZZNS1_14partition_implILS5_6ELb0ES3_mN6thrust23THRUST_200600_302600_NS6detail15normal_iteratorINSA_10device_ptrIyEEEEPS6_SG_NS0_5tupleIJNSA_16discard_iteratorINSA_11use_defaultEEES6_EEENSH_IJSG_SG_EEES6_PlJNSB_9not_fun_tI7is_trueIyEEEEEE10hipError_tPvRmT3_T4_T5_T6_T7_T9_mT8_P12ihipStream_tbDpT10_ENKUlT_T0_E_clISt17integral_constantIbLb1EES1A_IbLb0EEEEDaS16_S17_EUlS16_E_NS1_11comp_targetILNS1_3genE0ELNS1_11target_archE4294967295ELNS1_3gpuE0ELNS1_3repE0EEENS1_30default_config_static_selectorELNS0_4arch9wavefront6targetE0EEEvT1_
; %bb.0:
	.section	.rodata,"a",@progbits
	.p2align	6, 0x0
	.amdhsa_kernel _ZN7rocprim17ROCPRIM_400000_NS6detail17trampoline_kernelINS0_14default_configENS1_25partition_config_selectorILNS1_17partition_subalgoE6EyNS0_10empty_typeEbEEZZNS1_14partition_implILS5_6ELb0ES3_mN6thrust23THRUST_200600_302600_NS6detail15normal_iteratorINSA_10device_ptrIyEEEEPS6_SG_NS0_5tupleIJNSA_16discard_iteratorINSA_11use_defaultEEES6_EEENSH_IJSG_SG_EEES6_PlJNSB_9not_fun_tI7is_trueIyEEEEEE10hipError_tPvRmT3_T4_T5_T6_T7_T9_mT8_P12ihipStream_tbDpT10_ENKUlT_T0_E_clISt17integral_constantIbLb1EES1A_IbLb0EEEEDaS16_S17_EUlS16_E_NS1_11comp_targetILNS1_3genE0ELNS1_11target_archE4294967295ELNS1_3gpuE0ELNS1_3repE0EEENS1_30default_config_static_selectorELNS0_4arch9wavefront6targetE0EEEvT1_
		.amdhsa_group_segment_fixed_size 0
		.amdhsa_private_segment_fixed_size 0
		.amdhsa_kernarg_size 120
		.amdhsa_user_sgpr_count 2
		.amdhsa_user_sgpr_dispatch_ptr 0
		.amdhsa_user_sgpr_queue_ptr 0
		.amdhsa_user_sgpr_kernarg_segment_ptr 1
		.amdhsa_user_sgpr_dispatch_id 0
		.amdhsa_user_sgpr_private_segment_size 0
		.amdhsa_wavefront_size32 1
		.amdhsa_uses_dynamic_stack 0
		.amdhsa_enable_private_segment 0
		.amdhsa_system_sgpr_workgroup_id_x 1
		.amdhsa_system_sgpr_workgroup_id_y 0
		.amdhsa_system_sgpr_workgroup_id_z 0
		.amdhsa_system_sgpr_workgroup_info 0
		.amdhsa_system_vgpr_workitem_id 0
		.amdhsa_next_free_vgpr 1
		.amdhsa_next_free_sgpr 1
		.amdhsa_reserve_vcc 0
		.amdhsa_float_round_mode_32 0
		.amdhsa_float_round_mode_16_64 0
		.amdhsa_float_denorm_mode_32 3
		.amdhsa_float_denorm_mode_16_64 3
		.amdhsa_fp16_overflow 0
		.amdhsa_workgroup_processor_mode 1
		.amdhsa_memory_ordered 1
		.amdhsa_forward_progress 1
		.amdhsa_inst_pref_size 0
		.amdhsa_round_robin_scheduling 0
		.amdhsa_exception_fp_ieee_invalid_op 0
		.amdhsa_exception_fp_denorm_src 0
		.amdhsa_exception_fp_ieee_div_zero 0
		.amdhsa_exception_fp_ieee_overflow 0
		.amdhsa_exception_fp_ieee_underflow 0
		.amdhsa_exception_fp_ieee_inexact 0
		.amdhsa_exception_int_div_zero 0
	.end_amdhsa_kernel
	.section	.text._ZN7rocprim17ROCPRIM_400000_NS6detail17trampoline_kernelINS0_14default_configENS1_25partition_config_selectorILNS1_17partition_subalgoE6EyNS0_10empty_typeEbEEZZNS1_14partition_implILS5_6ELb0ES3_mN6thrust23THRUST_200600_302600_NS6detail15normal_iteratorINSA_10device_ptrIyEEEEPS6_SG_NS0_5tupleIJNSA_16discard_iteratorINSA_11use_defaultEEES6_EEENSH_IJSG_SG_EEES6_PlJNSB_9not_fun_tI7is_trueIyEEEEEE10hipError_tPvRmT3_T4_T5_T6_T7_T9_mT8_P12ihipStream_tbDpT10_ENKUlT_T0_E_clISt17integral_constantIbLb1EES1A_IbLb0EEEEDaS16_S17_EUlS16_E_NS1_11comp_targetILNS1_3genE0ELNS1_11target_archE4294967295ELNS1_3gpuE0ELNS1_3repE0EEENS1_30default_config_static_selectorELNS0_4arch9wavefront6targetE0EEEvT1_,"axG",@progbits,_ZN7rocprim17ROCPRIM_400000_NS6detail17trampoline_kernelINS0_14default_configENS1_25partition_config_selectorILNS1_17partition_subalgoE6EyNS0_10empty_typeEbEEZZNS1_14partition_implILS5_6ELb0ES3_mN6thrust23THRUST_200600_302600_NS6detail15normal_iteratorINSA_10device_ptrIyEEEEPS6_SG_NS0_5tupleIJNSA_16discard_iteratorINSA_11use_defaultEEES6_EEENSH_IJSG_SG_EEES6_PlJNSB_9not_fun_tI7is_trueIyEEEEEE10hipError_tPvRmT3_T4_T5_T6_T7_T9_mT8_P12ihipStream_tbDpT10_ENKUlT_T0_E_clISt17integral_constantIbLb1EES1A_IbLb0EEEEDaS16_S17_EUlS16_E_NS1_11comp_targetILNS1_3genE0ELNS1_11target_archE4294967295ELNS1_3gpuE0ELNS1_3repE0EEENS1_30default_config_static_selectorELNS0_4arch9wavefront6targetE0EEEvT1_,comdat
.Lfunc_end2157:
	.size	_ZN7rocprim17ROCPRIM_400000_NS6detail17trampoline_kernelINS0_14default_configENS1_25partition_config_selectorILNS1_17partition_subalgoE6EyNS0_10empty_typeEbEEZZNS1_14partition_implILS5_6ELb0ES3_mN6thrust23THRUST_200600_302600_NS6detail15normal_iteratorINSA_10device_ptrIyEEEEPS6_SG_NS0_5tupleIJNSA_16discard_iteratorINSA_11use_defaultEEES6_EEENSH_IJSG_SG_EEES6_PlJNSB_9not_fun_tI7is_trueIyEEEEEE10hipError_tPvRmT3_T4_T5_T6_T7_T9_mT8_P12ihipStream_tbDpT10_ENKUlT_T0_E_clISt17integral_constantIbLb1EES1A_IbLb0EEEEDaS16_S17_EUlS16_E_NS1_11comp_targetILNS1_3genE0ELNS1_11target_archE4294967295ELNS1_3gpuE0ELNS1_3repE0EEENS1_30default_config_static_selectorELNS0_4arch9wavefront6targetE0EEEvT1_, .Lfunc_end2157-_ZN7rocprim17ROCPRIM_400000_NS6detail17trampoline_kernelINS0_14default_configENS1_25partition_config_selectorILNS1_17partition_subalgoE6EyNS0_10empty_typeEbEEZZNS1_14partition_implILS5_6ELb0ES3_mN6thrust23THRUST_200600_302600_NS6detail15normal_iteratorINSA_10device_ptrIyEEEEPS6_SG_NS0_5tupleIJNSA_16discard_iteratorINSA_11use_defaultEEES6_EEENSH_IJSG_SG_EEES6_PlJNSB_9not_fun_tI7is_trueIyEEEEEE10hipError_tPvRmT3_T4_T5_T6_T7_T9_mT8_P12ihipStream_tbDpT10_ENKUlT_T0_E_clISt17integral_constantIbLb1EES1A_IbLb0EEEEDaS16_S17_EUlS16_E_NS1_11comp_targetILNS1_3genE0ELNS1_11target_archE4294967295ELNS1_3gpuE0ELNS1_3repE0EEENS1_30default_config_static_selectorELNS0_4arch9wavefront6targetE0EEEvT1_
                                        ; -- End function
	.set _ZN7rocprim17ROCPRIM_400000_NS6detail17trampoline_kernelINS0_14default_configENS1_25partition_config_selectorILNS1_17partition_subalgoE6EyNS0_10empty_typeEbEEZZNS1_14partition_implILS5_6ELb0ES3_mN6thrust23THRUST_200600_302600_NS6detail15normal_iteratorINSA_10device_ptrIyEEEEPS6_SG_NS0_5tupleIJNSA_16discard_iteratorINSA_11use_defaultEEES6_EEENSH_IJSG_SG_EEES6_PlJNSB_9not_fun_tI7is_trueIyEEEEEE10hipError_tPvRmT3_T4_T5_T6_T7_T9_mT8_P12ihipStream_tbDpT10_ENKUlT_T0_E_clISt17integral_constantIbLb1EES1A_IbLb0EEEEDaS16_S17_EUlS16_E_NS1_11comp_targetILNS1_3genE0ELNS1_11target_archE4294967295ELNS1_3gpuE0ELNS1_3repE0EEENS1_30default_config_static_selectorELNS0_4arch9wavefront6targetE0EEEvT1_.num_vgpr, 0
	.set _ZN7rocprim17ROCPRIM_400000_NS6detail17trampoline_kernelINS0_14default_configENS1_25partition_config_selectorILNS1_17partition_subalgoE6EyNS0_10empty_typeEbEEZZNS1_14partition_implILS5_6ELb0ES3_mN6thrust23THRUST_200600_302600_NS6detail15normal_iteratorINSA_10device_ptrIyEEEEPS6_SG_NS0_5tupleIJNSA_16discard_iteratorINSA_11use_defaultEEES6_EEENSH_IJSG_SG_EEES6_PlJNSB_9not_fun_tI7is_trueIyEEEEEE10hipError_tPvRmT3_T4_T5_T6_T7_T9_mT8_P12ihipStream_tbDpT10_ENKUlT_T0_E_clISt17integral_constantIbLb1EES1A_IbLb0EEEEDaS16_S17_EUlS16_E_NS1_11comp_targetILNS1_3genE0ELNS1_11target_archE4294967295ELNS1_3gpuE0ELNS1_3repE0EEENS1_30default_config_static_selectorELNS0_4arch9wavefront6targetE0EEEvT1_.num_agpr, 0
	.set _ZN7rocprim17ROCPRIM_400000_NS6detail17trampoline_kernelINS0_14default_configENS1_25partition_config_selectorILNS1_17partition_subalgoE6EyNS0_10empty_typeEbEEZZNS1_14partition_implILS5_6ELb0ES3_mN6thrust23THRUST_200600_302600_NS6detail15normal_iteratorINSA_10device_ptrIyEEEEPS6_SG_NS0_5tupleIJNSA_16discard_iteratorINSA_11use_defaultEEES6_EEENSH_IJSG_SG_EEES6_PlJNSB_9not_fun_tI7is_trueIyEEEEEE10hipError_tPvRmT3_T4_T5_T6_T7_T9_mT8_P12ihipStream_tbDpT10_ENKUlT_T0_E_clISt17integral_constantIbLb1EES1A_IbLb0EEEEDaS16_S17_EUlS16_E_NS1_11comp_targetILNS1_3genE0ELNS1_11target_archE4294967295ELNS1_3gpuE0ELNS1_3repE0EEENS1_30default_config_static_selectorELNS0_4arch9wavefront6targetE0EEEvT1_.numbered_sgpr, 0
	.set _ZN7rocprim17ROCPRIM_400000_NS6detail17trampoline_kernelINS0_14default_configENS1_25partition_config_selectorILNS1_17partition_subalgoE6EyNS0_10empty_typeEbEEZZNS1_14partition_implILS5_6ELb0ES3_mN6thrust23THRUST_200600_302600_NS6detail15normal_iteratorINSA_10device_ptrIyEEEEPS6_SG_NS0_5tupleIJNSA_16discard_iteratorINSA_11use_defaultEEES6_EEENSH_IJSG_SG_EEES6_PlJNSB_9not_fun_tI7is_trueIyEEEEEE10hipError_tPvRmT3_T4_T5_T6_T7_T9_mT8_P12ihipStream_tbDpT10_ENKUlT_T0_E_clISt17integral_constantIbLb1EES1A_IbLb0EEEEDaS16_S17_EUlS16_E_NS1_11comp_targetILNS1_3genE0ELNS1_11target_archE4294967295ELNS1_3gpuE0ELNS1_3repE0EEENS1_30default_config_static_selectorELNS0_4arch9wavefront6targetE0EEEvT1_.num_named_barrier, 0
	.set _ZN7rocprim17ROCPRIM_400000_NS6detail17trampoline_kernelINS0_14default_configENS1_25partition_config_selectorILNS1_17partition_subalgoE6EyNS0_10empty_typeEbEEZZNS1_14partition_implILS5_6ELb0ES3_mN6thrust23THRUST_200600_302600_NS6detail15normal_iteratorINSA_10device_ptrIyEEEEPS6_SG_NS0_5tupleIJNSA_16discard_iteratorINSA_11use_defaultEEES6_EEENSH_IJSG_SG_EEES6_PlJNSB_9not_fun_tI7is_trueIyEEEEEE10hipError_tPvRmT3_T4_T5_T6_T7_T9_mT8_P12ihipStream_tbDpT10_ENKUlT_T0_E_clISt17integral_constantIbLb1EES1A_IbLb0EEEEDaS16_S17_EUlS16_E_NS1_11comp_targetILNS1_3genE0ELNS1_11target_archE4294967295ELNS1_3gpuE0ELNS1_3repE0EEENS1_30default_config_static_selectorELNS0_4arch9wavefront6targetE0EEEvT1_.private_seg_size, 0
	.set _ZN7rocprim17ROCPRIM_400000_NS6detail17trampoline_kernelINS0_14default_configENS1_25partition_config_selectorILNS1_17partition_subalgoE6EyNS0_10empty_typeEbEEZZNS1_14partition_implILS5_6ELb0ES3_mN6thrust23THRUST_200600_302600_NS6detail15normal_iteratorINSA_10device_ptrIyEEEEPS6_SG_NS0_5tupleIJNSA_16discard_iteratorINSA_11use_defaultEEES6_EEENSH_IJSG_SG_EEES6_PlJNSB_9not_fun_tI7is_trueIyEEEEEE10hipError_tPvRmT3_T4_T5_T6_T7_T9_mT8_P12ihipStream_tbDpT10_ENKUlT_T0_E_clISt17integral_constantIbLb1EES1A_IbLb0EEEEDaS16_S17_EUlS16_E_NS1_11comp_targetILNS1_3genE0ELNS1_11target_archE4294967295ELNS1_3gpuE0ELNS1_3repE0EEENS1_30default_config_static_selectorELNS0_4arch9wavefront6targetE0EEEvT1_.uses_vcc, 0
	.set _ZN7rocprim17ROCPRIM_400000_NS6detail17trampoline_kernelINS0_14default_configENS1_25partition_config_selectorILNS1_17partition_subalgoE6EyNS0_10empty_typeEbEEZZNS1_14partition_implILS5_6ELb0ES3_mN6thrust23THRUST_200600_302600_NS6detail15normal_iteratorINSA_10device_ptrIyEEEEPS6_SG_NS0_5tupleIJNSA_16discard_iteratorINSA_11use_defaultEEES6_EEENSH_IJSG_SG_EEES6_PlJNSB_9not_fun_tI7is_trueIyEEEEEE10hipError_tPvRmT3_T4_T5_T6_T7_T9_mT8_P12ihipStream_tbDpT10_ENKUlT_T0_E_clISt17integral_constantIbLb1EES1A_IbLb0EEEEDaS16_S17_EUlS16_E_NS1_11comp_targetILNS1_3genE0ELNS1_11target_archE4294967295ELNS1_3gpuE0ELNS1_3repE0EEENS1_30default_config_static_selectorELNS0_4arch9wavefront6targetE0EEEvT1_.uses_flat_scratch, 0
	.set _ZN7rocprim17ROCPRIM_400000_NS6detail17trampoline_kernelINS0_14default_configENS1_25partition_config_selectorILNS1_17partition_subalgoE6EyNS0_10empty_typeEbEEZZNS1_14partition_implILS5_6ELb0ES3_mN6thrust23THRUST_200600_302600_NS6detail15normal_iteratorINSA_10device_ptrIyEEEEPS6_SG_NS0_5tupleIJNSA_16discard_iteratorINSA_11use_defaultEEES6_EEENSH_IJSG_SG_EEES6_PlJNSB_9not_fun_tI7is_trueIyEEEEEE10hipError_tPvRmT3_T4_T5_T6_T7_T9_mT8_P12ihipStream_tbDpT10_ENKUlT_T0_E_clISt17integral_constantIbLb1EES1A_IbLb0EEEEDaS16_S17_EUlS16_E_NS1_11comp_targetILNS1_3genE0ELNS1_11target_archE4294967295ELNS1_3gpuE0ELNS1_3repE0EEENS1_30default_config_static_selectorELNS0_4arch9wavefront6targetE0EEEvT1_.has_dyn_sized_stack, 0
	.set _ZN7rocprim17ROCPRIM_400000_NS6detail17trampoline_kernelINS0_14default_configENS1_25partition_config_selectorILNS1_17partition_subalgoE6EyNS0_10empty_typeEbEEZZNS1_14partition_implILS5_6ELb0ES3_mN6thrust23THRUST_200600_302600_NS6detail15normal_iteratorINSA_10device_ptrIyEEEEPS6_SG_NS0_5tupleIJNSA_16discard_iteratorINSA_11use_defaultEEES6_EEENSH_IJSG_SG_EEES6_PlJNSB_9not_fun_tI7is_trueIyEEEEEE10hipError_tPvRmT3_T4_T5_T6_T7_T9_mT8_P12ihipStream_tbDpT10_ENKUlT_T0_E_clISt17integral_constantIbLb1EES1A_IbLb0EEEEDaS16_S17_EUlS16_E_NS1_11comp_targetILNS1_3genE0ELNS1_11target_archE4294967295ELNS1_3gpuE0ELNS1_3repE0EEENS1_30default_config_static_selectorELNS0_4arch9wavefront6targetE0EEEvT1_.has_recursion, 0
	.set _ZN7rocprim17ROCPRIM_400000_NS6detail17trampoline_kernelINS0_14default_configENS1_25partition_config_selectorILNS1_17partition_subalgoE6EyNS0_10empty_typeEbEEZZNS1_14partition_implILS5_6ELb0ES3_mN6thrust23THRUST_200600_302600_NS6detail15normal_iteratorINSA_10device_ptrIyEEEEPS6_SG_NS0_5tupleIJNSA_16discard_iteratorINSA_11use_defaultEEES6_EEENSH_IJSG_SG_EEES6_PlJNSB_9not_fun_tI7is_trueIyEEEEEE10hipError_tPvRmT3_T4_T5_T6_T7_T9_mT8_P12ihipStream_tbDpT10_ENKUlT_T0_E_clISt17integral_constantIbLb1EES1A_IbLb0EEEEDaS16_S17_EUlS16_E_NS1_11comp_targetILNS1_3genE0ELNS1_11target_archE4294967295ELNS1_3gpuE0ELNS1_3repE0EEENS1_30default_config_static_selectorELNS0_4arch9wavefront6targetE0EEEvT1_.has_indirect_call, 0
	.section	.AMDGPU.csdata,"",@progbits
; Kernel info:
; codeLenInByte = 0
; TotalNumSgprs: 0
; NumVgprs: 0
; ScratchSize: 0
; MemoryBound: 0
; FloatMode: 240
; IeeeMode: 1
; LDSByteSize: 0 bytes/workgroup (compile time only)
; SGPRBlocks: 0
; VGPRBlocks: 0
; NumSGPRsForWavesPerEU: 1
; NumVGPRsForWavesPerEU: 1
; Occupancy: 16
; WaveLimiterHint : 0
; COMPUTE_PGM_RSRC2:SCRATCH_EN: 0
; COMPUTE_PGM_RSRC2:USER_SGPR: 2
; COMPUTE_PGM_RSRC2:TRAP_HANDLER: 0
; COMPUTE_PGM_RSRC2:TGID_X_EN: 1
; COMPUTE_PGM_RSRC2:TGID_Y_EN: 0
; COMPUTE_PGM_RSRC2:TGID_Z_EN: 0
; COMPUTE_PGM_RSRC2:TIDIG_COMP_CNT: 0
	.section	.text._ZN7rocprim17ROCPRIM_400000_NS6detail17trampoline_kernelINS0_14default_configENS1_25partition_config_selectorILNS1_17partition_subalgoE6EyNS0_10empty_typeEbEEZZNS1_14partition_implILS5_6ELb0ES3_mN6thrust23THRUST_200600_302600_NS6detail15normal_iteratorINSA_10device_ptrIyEEEEPS6_SG_NS0_5tupleIJNSA_16discard_iteratorINSA_11use_defaultEEES6_EEENSH_IJSG_SG_EEES6_PlJNSB_9not_fun_tI7is_trueIyEEEEEE10hipError_tPvRmT3_T4_T5_T6_T7_T9_mT8_P12ihipStream_tbDpT10_ENKUlT_T0_E_clISt17integral_constantIbLb1EES1A_IbLb0EEEEDaS16_S17_EUlS16_E_NS1_11comp_targetILNS1_3genE5ELNS1_11target_archE942ELNS1_3gpuE9ELNS1_3repE0EEENS1_30default_config_static_selectorELNS0_4arch9wavefront6targetE0EEEvT1_,"axG",@progbits,_ZN7rocprim17ROCPRIM_400000_NS6detail17trampoline_kernelINS0_14default_configENS1_25partition_config_selectorILNS1_17partition_subalgoE6EyNS0_10empty_typeEbEEZZNS1_14partition_implILS5_6ELb0ES3_mN6thrust23THRUST_200600_302600_NS6detail15normal_iteratorINSA_10device_ptrIyEEEEPS6_SG_NS0_5tupleIJNSA_16discard_iteratorINSA_11use_defaultEEES6_EEENSH_IJSG_SG_EEES6_PlJNSB_9not_fun_tI7is_trueIyEEEEEE10hipError_tPvRmT3_T4_T5_T6_T7_T9_mT8_P12ihipStream_tbDpT10_ENKUlT_T0_E_clISt17integral_constantIbLb1EES1A_IbLb0EEEEDaS16_S17_EUlS16_E_NS1_11comp_targetILNS1_3genE5ELNS1_11target_archE942ELNS1_3gpuE9ELNS1_3repE0EEENS1_30default_config_static_selectorELNS0_4arch9wavefront6targetE0EEEvT1_,comdat
	.protected	_ZN7rocprim17ROCPRIM_400000_NS6detail17trampoline_kernelINS0_14default_configENS1_25partition_config_selectorILNS1_17partition_subalgoE6EyNS0_10empty_typeEbEEZZNS1_14partition_implILS5_6ELb0ES3_mN6thrust23THRUST_200600_302600_NS6detail15normal_iteratorINSA_10device_ptrIyEEEEPS6_SG_NS0_5tupleIJNSA_16discard_iteratorINSA_11use_defaultEEES6_EEENSH_IJSG_SG_EEES6_PlJNSB_9not_fun_tI7is_trueIyEEEEEE10hipError_tPvRmT3_T4_T5_T6_T7_T9_mT8_P12ihipStream_tbDpT10_ENKUlT_T0_E_clISt17integral_constantIbLb1EES1A_IbLb0EEEEDaS16_S17_EUlS16_E_NS1_11comp_targetILNS1_3genE5ELNS1_11target_archE942ELNS1_3gpuE9ELNS1_3repE0EEENS1_30default_config_static_selectorELNS0_4arch9wavefront6targetE0EEEvT1_ ; -- Begin function _ZN7rocprim17ROCPRIM_400000_NS6detail17trampoline_kernelINS0_14default_configENS1_25partition_config_selectorILNS1_17partition_subalgoE6EyNS0_10empty_typeEbEEZZNS1_14partition_implILS5_6ELb0ES3_mN6thrust23THRUST_200600_302600_NS6detail15normal_iteratorINSA_10device_ptrIyEEEEPS6_SG_NS0_5tupleIJNSA_16discard_iteratorINSA_11use_defaultEEES6_EEENSH_IJSG_SG_EEES6_PlJNSB_9not_fun_tI7is_trueIyEEEEEE10hipError_tPvRmT3_T4_T5_T6_T7_T9_mT8_P12ihipStream_tbDpT10_ENKUlT_T0_E_clISt17integral_constantIbLb1EES1A_IbLb0EEEEDaS16_S17_EUlS16_E_NS1_11comp_targetILNS1_3genE5ELNS1_11target_archE942ELNS1_3gpuE9ELNS1_3repE0EEENS1_30default_config_static_selectorELNS0_4arch9wavefront6targetE0EEEvT1_
	.globl	_ZN7rocprim17ROCPRIM_400000_NS6detail17trampoline_kernelINS0_14default_configENS1_25partition_config_selectorILNS1_17partition_subalgoE6EyNS0_10empty_typeEbEEZZNS1_14partition_implILS5_6ELb0ES3_mN6thrust23THRUST_200600_302600_NS6detail15normal_iteratorINSA_10device_ptrIyEEEEPS6_SG_NS0_5tupleIJNSA_16discard_iteratorINSA_11use_defaultEEES6_EEENSH_IJSG_SG_EEES6_PlJNSB_9not_fun_tI7is_trueIyEEEEEE10hipError_tPvRmT3_T4_T5_T6_T7_T9_mT8_P12ihipStream_tbDpT10_ENKUlT_T0_E_clISt17integral_constantIbLb1EES1A_IbLb0EEEEDaS16_S17_EUlS16_E_NS1_11comp_targetILNS1_3genE5ELNS1_11target_archE942ELNS1_3gpuE9ELNS1_3repE0EEENS1_30default_config_static_selectorELNS0_4arch9wavefront6targetE0EEEvT1_
	.p2align	8
	.type	_ZN7rocprim17ROCPRIM_400000_NS6detail17trampoline_kernelINS0_14default_configENS1_25partition_config_selectorILNS1_17partition_subalgoE6EyNS0_10empty_typeEbEEZZNS1_14partition_implILS5_6ELb0ES3_mN6thrust23THRUST_200600_302600_NS6detail15normal_iteratorINSA_10device_ptrIyEEEEPS6_SG_NS0_5tupleIJNSA_16discard_iteratorINSA_11use_defaultEEES6_EEENSH_IJSG_SG_EEES6_PlJNSB_9not_fun_tI7is_trueIyEEEEEE10hipError_tPvRmT3_T4_T5_T6_T7_T9_mT8_P12ihipStream_tbDpT10_ENKUlT_T0_E_clISt17integral_constantIbLb1EES1A_IbLb0EEEEDaS16_S17_EUlS16_E_NS1_11comp_targetILNS1_3genE5ELNS1_11target_archE942ELNS1_3gpuE9ELNS1_3repE0EEENS1_30default_config_static_selectorELNS0_4arch9wavefront6targetE0EEEvT1_,@function
_ZN7rocprim17ROCPRIM_400000_NS6detail17trampoline_kernelINS0_14default_configENS1_25partition_config_selectorILNS1_17partition_subalgoE6EyNS0_10empty_typeEbEEZZNS1_14partition_implILS5_6ELb0ES3_mN6thrust23THRUST_200600_302600_NS6detail15normal_iteratorINSA_10device_ptrIyEEEEPS6_SG_NS0_5tupleIJNSA_16discard_iteratorINSA_11use_defaultEEES6_EEENSH_IJSG_SG_EEES6_PlJNSB_9not_fun_tI7is_trueIyEEEEEE10hipError_tPvRmT3_T4_T5_T6_T7_T9_mT8_P12ihipStream_tbDpT10_ENKUlT_T0_E_clISt17integral_constantIbLb1EES1A_IbLb0EEEEDaS16_S17_EUlS16_E_NS1_11comp_targetILNS1_3genE5ELNS1_11target_archE942ELNS1_3gpuE9ELNS1_3repE0EEENS1_30default_config_static_selectorELNS0_4arch9wavefront6targetE0EEEvT1_: ; @_ZN7rocprim17ROCPRIM_400000_NS6detail17trampoline_kernelINS0_14default_configENS1_25partition_config_selectorILNS1_17partition_subalgoE6EyNS0_10empty_typeEbEEZZNS1_14partition_implILS5_6ELb0ES3_mN6thrust23THRUST_200600_302600_NS6detail15normal_iteratorINSA_10device_ptrIyEEEEPS6_SG_NS0_5tupleIJNSA_16discard_iteratorINSA_11use_defaultEEES6_EEENSH_IJSG_SG_EEES6_PlJNSB_9not_fun_tI7is_trueIyEEEEEE10hipError_tPvRmT3_T4_T5_T6_T7_T9_mT8_P12ihipStream_tbDpT10_ENKUlT_T0_E_clISt17integral_constantIbLb1EES1A_IbLb0EEEEDaS16_S17_EUlS16_E_NS1_11comp_targetILNS1_3genE5ELNS1_11target_archE942ELNS1_3gpuE9ELNS1_3repE0EEENS1_30default_config_static_selectorELNS0_4arch9wavefront6targetE0EEEvT1_
; %bb.0:
	.section	.rodata,"a",@progbits
	.p2align	6, 0x0
	.amdhsa_kernel _ZN7rocprim17ROCPRIM_400000_NS6detail17trampoline_kernelINS0_14default_configENS1_25partition_config_selectorILNS1_17partition_subalgoE6EyNS0_10empty_typeEbEEZZNS1_14partition_implILS5_6ELb0ES3_mN6thrust23THRUST_200600_302600_NS6detail15normal_iteratorINSA_10device_ptrIyEEEEPS6_SG_NS0_5tupleIJNSA_16discard_iteratorINSA_11use_defaultEEES6_EEENSH_IJSG_SG_EEES6_PlJNSB_9not_fun_tI7is_trueIyEEEEEE10hipError_tPvRmT3_T4_T5_T6_T7_T9_mT8_P12ihipStream_tbDpT10_ENKUlT_T0_E_clISt17integral_constantIbLb1EES1A_IbLb0EEEEDaS16_S17_EUlS16_E_NS1_11comp_targetILNS1_3genE5ELNS1_11target_archE942ELNS1_3gpuE9ELNS1_3repE0EEENS1_30default_config_static_selectorELNS0_4arch9wavefront6targetE0EEEvT1_
		.amdhsa_group_segment_fixed_size 0
		.amdhsa_private_segment_fixed_size 0
		.amdhsa_kernarg_size 120
		.amdhsa_user_sgpr_count 2
		.amdhsa_user_sgpr_dispatch_ptr 0
		.amdhsa_user_sgpr_queue_ptr 0
		.amdhsa_user_sgpr_kernarg_segment_ptr 1
		.amdhsa_user_sgpr_dispatch_id 0
		.amdhsa_user_sgpr_private_segment_size 0
		.amdhsa_wavefront_size32 1
		.amdhsa_uses_dynamic_stack 0
		.amdhsa_enable_private_segment 0
		.amdhsa_system_sgpr_workgroup_id_x 1
		.amdhsa_system_sgpr_workgroup_id_y 0
		.amdhsa_system_sgpr_workgroup_id_z 0
		.amdhsa_system_sgpr_workgroup_info 0
		.amdhsa_system_vgpr_workitem_id 0
		.amdhsa_next_free_vgpr 1
		.amdhsa_next_free_sgpr 1
		.amdhsa_reserve_vcc 0
		.amdhsa_float_round_mode_32 0
		.amdhsa_float_round_mode_16_64 0
		.amdhsa_float_denorm_mode_32 3
		.amdhsa_float_denorm_mode_16_64 3
		.amdhsa_fp16_overflow 0
		.amdhsa_workgroup_processor_mode 1
		.amdhsa_memory_ordered 1
		.amdhsa_forward_progress 1
		.amdhsa_inst_pref_size 0
		.amdhsa_round_robin_scheduling 0
		.amdhsa_exception_fp_ieee_invalid_op 0
		.amdhsa_exception_fp_denorm_src 0
		.amdhsa_exception_fp_ieee_div_zero 0
		.amdhsa_exception_fp_ieee_overflow 0
		.amdhsa_exception_fp_ieee_underflow 0
		.amdhsa_exception_fp_ieee_inexact 0
		.amdhsa_exception_int_div_zero 0
	.end_amdhsa_kernel
	.section	.text._ZN7rocprim17ROCPRIM_400000_NS6detail17trampoline_kernelINS0_14default_configENS1_25partition_config_selectorILNS1_17partition_subalgoE6EyNS0_10empty_typeEbEEZZNS1_14partition_implILS5_6ELb0ES3_mN6thrust23THRUST_200600_302600_NS6detail15normal_iteratorINSA_10device_ptrIyEEEEPS6_SG_NS0_5tupleIJNSA_16discard_iteratorINSA_11use_defaultEEES6_EEENSH_IJSG_SG_EEES6_PlJNSB_9not_fun_tI7is_trueIyEEEEEE10hipError_tPvRmT3_T4_T5_T6_T7_T9_mT8_P12ihipStream_tbDpT10_ENKUlT_T0_E_clISt17integral_constantIbLb1EES1A_IbLb0EEEEDaS16_S17_EUlS16_E_NS1_11comp_targetILNS1_3genE5ELNS1_11target_archE942ELNS1_3gpuE9ELNS1_3repE0EEENS1_30default_config_static_selectorELNS0_4arch9wavefront6targetE0EEEvT1_,"axG",@progbits,_ZN7rocprim17ROCPRIM_400000_NS6detail17trampoline_kernelINS0_14default_configENS1_25partition_config_selectorILNS1_17partition_subalgoE6EyNS0_10empty_typeEbEEZZNS1_14partition_implILS5_6ELb0ES3_mN6thrust23THRUST_200600_302600_NS6detail15normal_iteratorINSA_10device_ptrIyEEEEPS6_SG_NS0_5tupleIJNSA_16discard_iteratorINSA_11use_defaultEEES6_EEENSH_IJSG_SG_EEES6_PlJNSB_9not_fun_tI7is_trueIyEEEEEE10hipError_tPvRmT3_T4_T5_T6_T7_T9_mT8_P12ihipStream_tbDpT10_ENKUlT_T0_E_clISt17integral_constantIbLb1EES1A_IbLb0EEEEDaS16_S17_EUlS16_E_NS1_11comp_targetILNS1_3genE5ELNS1_11target_archE942ELNS1_3gpuE9ELNS1_3repE0EEENS1_30default_config_static_selectorELNS0_4arch9wavefront6targetE0EEEvT1_,comdat
.Lfunc_end2158:
	.size	_ZN7rocprim17ROCPRIM_400000_NS6detail17trampoline_kernelINS0_14default_configENS1_25partition_config_selectorILNS1_17partition_subalgoE6EyNS0_10empty_typeEbEEZZNS1_14partition_implILS5_6ELb0ES3_mN6thrust23THRUST_200600_302600_NS6detail15normal_iteratorINSA_10device_ptrIyEEEEPS6_SG_NS0_5tupleIJNSA_16discard_iteratorINSA_11use_defaultEEES6_EEENSH_IJSG_SG_EEES6_PlJNSB_9not_fun_tI7is_trueIyEEEEEE10hipError_tPvRmT3_T4_T5_T6_T7_T9_mT8_P12ihipStream_tbDpT10_ENKUlT_T0_E_clISt17integral_constantIbLb1EES1A_IbLb0EEEEDaS16_S17_EUlS16_E_NS1_11comp_targetILNS1_3genE5ELNS1_11target_archE942ELNS1_3gpuE9ELNS1_3repE0EEENS1_30default_config_static_selectorELNS0_4arch9wavefront6targetE0EEEvT1_, .Lfunc_end2158-_ZN7rocprim17ROCPRIM_400000_NS6detail17trampoline_kernelINS0_14default_configENS1_25partition_config_selectorILNS1_17partition_subalgoE6EyNS0_10empty_typeEbEEZZNS1_14partition_implILS5_6ELb0ES3_mN6thrust23THRUST_200600_302600_NS6detail15normal_iteratorINSA_10device_ptrIyEEEEPS6_SG_NS0_5tupleIJNSA_16discard_iteratorINSA_11use_defaultEEES6_EEENSH_IJSG_SG_EEES6_PlJNSB_9not_fun_tI7is_trueIyEEEEEE10hipError_tPvRmT3_T4_T5_T6_T7_T9_mT8_P12ihipStream_tbDpT10_ENKUlT_T0_E_clISt17integral_constantIbLb1EES1A_IbLb0EEEEDaS16_S17_EUlS16_E_NS1_11comp_targetILNS1_3genE5ELNS1_11target_archE942ELNS1_3gpuE9ELNS1_3repE0EEENS1_30default_config_static_selectorELNS0_4arch9wavefront6targetE0EEEvT1_
                                        ; -- End function
	.set _ZN7rocprim17ROCPRIM_400000_NS6detail17trampoline_kernelINS0_14default_configENS1_25partition_config_selectorILNS1_17partition_subalgoE6EyNS0_10empty_typeEbEEZZNS1_14partition_implILS5_6ELb0ES3_mN6thrust23THRUST_200600_302600_NS6detail15normal_iteratorINSA_10device_ptrIyEEEEPS6_SG_NS0_5tupleIJNSA_16discard_iteratorINSA_11use_defaultEEES6_EEENSH_IJSG_SG_EEES6_PlJNSB_9not_fun_tI7is_trueIyEEEEEE10hipError_tPvRmT3_T4_T5_T6_T7_T9_mT8_P12ihipStream_tbDpT10_ENKUlT_T0_E_clISt17integral_constantIbLb1EES1A_IbLb0EEEEDaS16_S17_EUlS16_E_NS1_11comp_targetILNS1_3genE5ELNS1_11target_archE942ELNS1_3gpuE9ELNS1_3repE0EEENS1_30default_config_static_selectorELNS0_4arch9wavefront6targetE0EEEvT1_.num_vgpr, 0
	.set _ZN7rocprim17ROCPRIM_400000_NS6detail17trampoline_kernelINS0_14default_configENS1_25partition_config_selectorILNS1_17partition_subalgoE6EyNS0_10empty_typeEbEEZZNS1_14partition_implILS5_6ELb0ES3_mN6thrust23THRUST_200600_302600_NS6detail15normal_iteratorINSA_10device_ptrIyEEEEPS6_SG_NS0_5tupleIJNSA_16discard_iteratorINSA_11use_defaultEEES6_EEENSH_IJSG_SG_EEES6_PlJNSB_9not_fun_tI7is_trueIyEEEEEE10hipError_tPvRmT3_T4_T5_T6_T7_T9_mT8_P12ihipStream_tbDpT10_ENKUlT_T0_E_clISt17integral_constantIbLb1EES1A_IbLb0EEEEDaS16_S17_EUlS16_E_NS1_11comp_targetILNS1_3genE5ELNS1_11target_archE942ELNS1_3gpuE9ELNS1_3repE0EEENS1_30default_config_static_selectorELNS0_4arch9wavefront6targetE0EEEvT1_.num_agpr, 0
	.set _ZN7rocprim17ROCPRIM_400000_NS6detail17trampoline_kernelINS0_14default_configENS1_25partition_config_selectorILNS1_17partition_subalgoE6EyNS0_10empty_typeEbEEZZNS1_14partition_implILS5_6ELb0ES3_mN6thrust23THRUST_200600_302600_NS6detail15normal_iteratorINSA_10device_ptrIyEEEEPS6_SG_NS0_5tupleIJNSA_16discard_iteratorINSA_11use_defaultEEES6_EEENSH_IJSG_SG_EEES6_PlJNSB_9not_fun_tI7is_trueIyEEEEEE10hipError_tPvRmT3_T4_T5_T6_T7_T9_mT8_P12ihipStream_tbDpT10_ENKUlT_T0_E_clISt17integral_constantIbLb1EES1A_IbLb0EEEEDaS16_S17_EUlS16_E_NS1_11comp_targetILNS1_3genE5ELNS1_11target_archE942ELNS1_3gpuE9ELNS1_3repE0EEENS1_30default_config_static_selectorELNS0_4arch9wavefront6targetE0EEEvT1_.numbered_sgpr, 0
	.set _ZN7rocprim17ROCPRIM_400000_NS6detail17trampoline_kernelINS0_14default_configENS1_25partition_config_selectorILNS1_17partition_subalgoE6EyNS0_10empty_typeEbEEZZNS1_14partition_implILS5_6ELb0ES3_mN6thrust23THRUST_200600_302600_NS6detail15normal_iteratorINSA_10device_ptrIyEEEEPS6_SG_NS0_5tupleIJNSA_16discard_iteratorINSA_11use_defaultEEES6_EEENSH_IJSG_SG_EEES6_PlJNSB_9not_fun_tI7is_trueIyEEEEEE10hipError_tPvRmT3_T4_T5_T6_T7_T9_mT8_P12ihipStream_tbDpT10_ENKUlT_T0_E_clISt17integral_constantIbLb1EES1A_IbLb0EEEEDaS16_S17_EUlS16_E_NS1_11comp_targetILNS1_3genE5ELNS1_11target_archE942ELNS1_3gpuE9ELNS1_3repE0EEENS1_30default_config_static_selectorELNS0_4arch9wavefront6targetE0EEEvT1_.num_named_barrier, 0
	.set _ZN7rocprim17ROCPRIM_400000_NS6detail17trampoline_kernelINS0_14default_configENS1_25partition_config_selectorILNS1_17partition_subalgoE6EyNS0_10empty_typeEbEEZZNS1_14partition_implILS5_6ELb0ES3_mN6thrust23THRUST_200600_302600_NS6detail15normal_iteratorINSA_10device_ptrIyEEEEPS6_SG_NS0_5tupleIJNSA_16discard_iteratorINSA_11use_defaultEEES6_EEENSH_IJSG_SG_EEES6_PlJNSB_9not_fun_tI7is_trueIyEEEEEE10hipError_tPvRmT3_T4_T5_T6_T7_T9_mT8_P12ihipStream_tbDpT10_ENKUlT_T0_E_clISt17integral_constantIbLb1EES1A_IbLb0EEEEDaS16_S17_EUlS16_E_NS1_11comp_targetILNS1_3genE5ELNS1_11target_archE942ELNS1_3gpuE9ELNS1_3repE0EEENS1_30default_config_static_selectorELNS0_4arch9wavefront6targetE0EEEvT1_.private_seg_size, 0
	.set _ZN7rocprim17ROCPRIM_400000_NS6detail17trampoline_kernelINS0_14default_configENS1_25partition_config_selectorILNS1_17partition_subalgoE6EyNS0_10empty_typeEbEEZZNS1_14partition_implILS5_6ELb0ES3_mN6thrust23THRUST_200600_302600_NS6detail15normal_iteratorINSA_10device_ptrIyEEEEPS6_SG_NS0_5tupleIJNSA_16discard_iteratorINSA_11use_defaultEEES6_EEENSH_IJSG_SG_EEES6_PlJNSB_9not_fun_tI7is_trueIyEEEEEE10hipError_tPvRmT3_T4_T5_T6_T7_T9_mT8_P12ihipStream_tbDpT10_ENKUlT_T0_E_clISt17integral_constantIbLb1EES1A_IbLb0EEEEDaS16_S17_EUlS16_E_NS1_11comp_targetILNS1_3genE5ELNS1_11target_archE942ELNS1_3gpuE9ELNS1_3repE0EEENS1_30default_config_static_selectorELNS0_4arch9wavefront6targetE0EEEvT1_.uses_vcc, 0
	.set _ZN7rocprim17ROCPRIM_400000_NS6detail17trampoline_kernelINS0_14default_configENS1_25partition_config_selectorILNS1_17partition_subalgoE6EyNS0_10empty_typeEbEEZZNS1_14partition_implILS5_6ELb0ES3_mN6thrust23THRUST_200600_302600_NS6detail15normal_iteratorINSA_10device_ptrIyEEEEPS6_SG_NS0_5tupleIJNSA_16discard_iteratorINSA_11use_defaultEEES6_EEENSH_IJSG_SG_EEES6_PlJNSB_9not_fun_tI7is_trueIyEEEEEE10hipError_tPvRmT3_T4_T5_T6_T7_T9_mT8_P12ihipStream_tbDpT10_ENKUlT_T0_E_clISt17integral_constantIbLb1EES1A_IbLb0EEEEDaS16_S17_EUlS16_E_NS1_11comp_targetILNS1_3genE5ELNS1_11target_archE942ELNS1_3gpuE9ELNS1_3repE0EEENS1_30default_config_static_selectorELNS0_4arch9wavefront6targetE0EEEvT1_.uses_flat_scratch, 0
	.set _ZN7rocprim17ROCPRIM_400000_NS6detail17trampoline_kernelINS0_14default_configENS1_25partition_config_selectorILNS1_17partition_subalgoE6EyNS0_10empty_typeEbEEZZNS1_14partition_implILS5_6ELb0ES3_mN6thrust23THRUST_200600_302600_NS6detail15normal_iteratorINSA_10device_ptrIyEEEEPS6_SG_NS0_5tupleIJNSA_16discard_iteratorINSA_11use_defaultEEES6_EEENSH_IJSG_SG_EEES6_PlJNSB_9not_fun_tI7is_trueIyEEEEEE10hipError_tPvRmT3_T4_T5_T6_T7_T9_mT8_P12ihipStream_tbDpT10_ENKUlT_T0_E_clISt17integral_constantIbLb1EES1A_IbLb0EEEEDaS16_S17_EUlS16_E_NS1_11comp_targetILNS1_3genE5ELNS1_11target_archE942ELNS1_3gpuE9ELNS1_3repE0EEENS1_30default_config_static_selectorELNS0_4arch9wavefront6targetE0EEEvT1_.has_dyn_sized_stack, 0
	.set _ZN7rocprim17ROCPRIM_400000_NS6detail17trampoline_kernelINS0_14default_configENS1_25partition_config_selectorILNS1_17partition_subalgoE6EyNS0_10empty_typeEbEEZZNS1_14partition_implILS5_6ELb0ES3_mN6thrust23THRUST_200600_302600_NS6detail15normal_iteratorINSA_10device_ptrIyEEEEPS6_SG_NS0_5tupleIJNSA_16discard_iteratorINSA_11use_defaultEEES6_EEENSH_IJSG_SG_EEES6_PlJNSB_9not_fun_tI7is_trueIyEEEEEE10hipError_tPvRmT3_T4_T5_T6_T7_T9_mT8_P12ihipStream_tbDpT10_ENKUlT_T0_E_clISt17integral_constantIbLb1EES1A_IbLb0EEEEDaS16_S17_EUlS16_E_NS1_11comp_targetILNS1_3genE5ELNS1_11target_archE942ELNS1_3gpuE9ELNS1_3repE0EEENS1_30default_config_static_selectorELNS0_4arch9wavefront6targetE0EEEvT1_.has_recursion, 0
	.set _ZN7rocprim17ROCPRIM_400000_NS6detail17trampoline_kernelINS0_14default_configENS1_25partition_config_selectorILNS1_17partition_subalgoE6EyNS0_10empty_typeEbEEZZNS1_14partition_implILS5_6ELb0ES3_mN6thrust23THRUST_200600_302600_NS6detail15normal_iteratorINSA_10device_ptrIyEEEEPS6_SG_NS0_5tupleIJNSA_16discard_iteratorINSA_11use_defaultEEES6_EEENSH_IJSG_SG_EEES6_PlJNSB_9not_fun_tI7is_trueIyEEEEEE10hipError_tPvRmT3_T4_T5_T6_T7_T9_mT8_P12ihipStream_tbDpT10_ENKUlT_T0_E_clISt17integral_constantIbLb1EES1A_IbLb0EEEEDaS16_S17_EUlS16_E_NS1_11comp_targetILNS1_3genE5ELNS1_11target_archE942ELNS1_3gpuE9ELNS1_3repE0EEENS1_30default_config_static_selectorELNS0_4arch9wavefront6targetE0EEEvT1_.has_indirect_call, 0
	.section	.AMDGPU.csdata,"",@progbits
; Kernel info:
; codeLenInByte = 0
; TotalNumSgprs: 0
; NumVgprs: 0
; ScratchSize: 0
; MemoryBound: 0
; FloatMode: 240
; IeeeMode: 1
; LDSByteSize: 0 bytes/workgroup (compile time only)
; SGPRBlocks: 0
; VGPRBlocks: 0
; NumSGPRsForWavesPerEU: 1
; NumVGPRsForWavesPerEU: 1
; Occupancy: 16
; WaveLimiterHint : 0
; COMPUTE_PGM_RSRC2:SCRATCH_EN: 0
; COMPUTE_PGM_RSRC2:USER_SGPR: 2
; COMPUTE_PGM_RSRC2:TRAP_HANDLER: 0
; COMPUTE_PGM_RSRC2:TGID_X_EN: 1
; COMPUTE_PGM_RSRC2:TGID_Y_EN: 0
; COMPUTE_PGM_RSRC2:TGID_Z_EN: 0
; COMPUTE_PGM_RSRC2:TIDIG_COMP_CNT: 0
	.section	.text._ZN7rocprim17ROCPRIM_400000_NS6detail17trampoline_kernelINS0_14default_configENS1_25partition_config_selectorILNS1_17partition_subalgoE6EyNS0_10empty_typeEbEEZZNS1_14partition_implILS5_6ELb0ES3_mN6thrust23THRUST_200600_302600_NS6detail15normal_iteratorINSA_10device_ptrIyEEEEPS6_SG_NS0_5tupleIJNSA_16discard_iteratorINSA_11use_defaultEEES6_EEENSH_IJSG_SG_EEES6_PlJNSB_9not_fun_tI7is_trueIyEEEEEE10hipError_tPvRmT3_T4_T5_T6_T7_T9_mT8_P12ihipStream_tbDpT10_ENKUlT_T0_E_clISt17integral_constantIbLb1EES1A_IbLb0EEEEDaS16_S17_EUlS16_E_NS1_11comp_targetILNS1_3genE4ELNS1_11target_archE910ELNS1_3gpuE8ELNS1_3repE0EEENS1_30default_config_static_selectorELNS0_4arch9wavefront6targetE0EEEvT1_,"axG",@progbits,_ZN7rocprim17ROCPRIM_400000_NS6detail17trampoline_kernelINS0_14default_configENS1_25partition_config_selectorILNS1_17partition_subalgoE6EyNS0_10empty_typeEbEEZZNS1_14partition_implILS5_6ELb0ES3_mN6thrust23THRUST_200600_302600_NS6detail15normal_iteratorINSA_10device_ptrIyEEEEPS6_SG_NS0_5tupleIJNSA_16discard_iteratorINSA_11use_defaultEEES6_EEENSH_IJSG_SG_EEES6_PlJNSB_9not_fun_tI7is_trueIyEEEEEE10hipError_tPvRmT3_T4_T5_T6_T7_T9_mT8_P12ihipStream_tbDpT10_ENKUlT_T0_E_clISt17integral_constantIbLb1EES1A_IbLb0EEEEDaS16_S17_EUlS16_E_NS1_11comp_targetILNS1_3genE4ELNS1_11target_archE910ELNS1_3gpuE8ELNS1_3repE0EEENS1_30default_config_static_selectorELNS0_4arch9wavefront6targetE0EEEvT1_,comdat
	.protected	_ZN7rocprim17ROCPRIM_400000_NS6detail17trampoline_kernelINS0_14default_configENS1_25partition_config_selectorILNS1_17partition_subalgoE6EyNS0_10empty_typeEbEEZZNS1_14partition_implILS5_6ELb0ES3_mN6thrust23THRUST_200600_302600_NS6detail15normal_iteratorINSA_10device_ptrIyEEEEPS6_SG_NS0_5tupleIJNSA_16discard_iteratorINSA_11use_defaultEEES6_EEENSH_IJSG_SG_EEES6_PlJNSB_9not_fun_tI7is_trueIyEEEEEE10hipError_tPvRmT3_T4_T5_T6_T7_T9_mT8_P12ihipStream_tbDpT10_ENKUlT_T0_E_clISt17integral_constantIbLb1EES1A_IbLb0EEEEDaS16_S17_EUlS16_E_NS1_11comp_targetILNS1_3genE4ELNS1_11target_archE910ELNS1_3gpuE8ELNS1_3repE0EEENS1_30default_config_static_selectorELNS0_4arch9wavefront6targetE0EEEvT1_ ; -- Begin function _ZN7rocprim17ROCPRIM_400000_NS6detail17trampoline_kernelINS0_14default_configENS1_25partition_config_selectorILNS1_17partition_subalgoE6EyNS0_10empty_typeEbEEZZNS1_14partition_implILS5_6ELb0ES3_mN6thrust23THRUST_200600_302600_NS6detail15normal_iteratorINSA_10device_ptrIyEEEEPS6_SG_NS0_5tupleIJNSA_16discard_iteratorINSA_11use_defaultEEES6_EEENSH_IJSG_SG_EEES6_PlJNSB_9not_fun_tI7is_trueIyEEEEEE10hipError_tPvRmT3_T4_T5_T6_T7_T9_mT8_P12ihipStream_tbDpT10_ENKUlT_T0_E_clISt17integral_constantIbLb1EES1A_IbLb0EEEEDaS16_S17_EUlS16_E_NS1_11comp_targetILNS1_3genE4ELNS1_11target_archE910ELNS1_3gpuE8ELNS1_3repE0EEENS1_30default_config_static_selectorELNS0_4arch9wavefront6targetE0EEEvT1_
	.globl	_ZN7rocprim17ROCPRIM_400000_NS6detail17trampoline_kernelINS0_14default_configENS1_25partition_config_selectorILNS1_17partition_subalgoE6EyNS0_10empty_typeEbEEZZNS1_14partition_implILS5_6ELb0ES3_mN6thrust23THRUST_200600_302600_NS6detail15normal_iteratorINSA_10device_ptrIyEEEEPS6_SG_NS0_5tupleIJNSA_16discard_iteratorINSA_11use_defaultEEES6_EEENSH_IJSG_SG_EEES6_PlJNSB_9not_fun_tI7is_trueIyEEEEEE10hipError_tPvRmT3_T4_T5_T6_T7_T9_mT8_P12ihipStream_tbDpT10_ENKUlT_T0_E_clISt17integral_constantIbLb1EES1A_IbLb0EEEEDaS16_S17_EUlS16_E_NS1_11comp_targetILNS1_3genE4ELNS1_11target_archE910ELNS1_3gpuE8ELNS1_3repE0EEENS1_30default_config_static_selectorELNS0_4arch9wavefront6targetE0EEEvT1_
	.p2align	8
	.type	_ZN7rocprim17ROCPRIM_400000_NS6detail17trampoline_kernelINS0_14default_configENS1_25partition_config_selectorILNS1_17partition_subalgoE6EyNS0_10empty_typeEbEEZZNS1_14partition_implILS5_6ELb0ES3_mN6thrust23THRUST_200600_302600_NS6detail15normal_iteratorINSA_10device_ptrIyEEEEPS6_SG_NS0_5tupleIJNSA_16discard_iteratorINSA_11use_defaultEEES6_EEENSH_IJSG_SG_EEES6_PlJNSB_9not_fun_tI7is_trueIyEEEEEE10hipError_tPvRmT3_T4_T5_T6_T7_T9_mT8_P12ihipStream_tbDpT10_ENKUlT_T0_E_clISt17integral_constantIbLb1EES1A_IbLb0EEEEDaS16_S17_EUlS16_E_NS1_11comp_targetILNS1_3genE4ELNS1_11target_archE910ELNS1_3gpuE8ELNS1_3repE0EEENS1_30default_config_static_selectorELNS0_4arch9wavefront6targetE0EEEvT1_,@function
_ZN7rocprim17ROCPRIM_400000_NS6detail17trampoline_kernelINS0_14default_configENS1_25partition_config_selectorILNS1_17partition_subalgoE6EyNS0_10empty_typeEbEEZZNS1_14partition_implILS5_6ELb0ES3_mN6thrust23THRUST_200600_302600_NS6detail15normal_iteratorINSA_10device_ptrIyEEEEPS6_SG_NS0_5tupleIJNSA_16discard_iteratorINSA_11use_defaultEEES6_EEENSH_IJSG_SG_EEES6_PlJNSB_9not_fun_tI7is_trueIyEEEEEE10hipError_tPvRmT3_T4_T5_T6_T7_T9_mT8_P12ihipStream_tbDpT10_ENKUlT_T0_E_clISt17integral_constantIbLb1EES1A_IbLb0EEEEDaS16_S17_EUlS16_E_NS1_11comp_targetILNS1_3genE4ELNS1_11target_archE910ELNS1_3gpuE8ELNS1_3repE0EEENS1_30default_config_static_selectorELNS0_4arch9wavefront6targetE0EEEvT1_: ; @_ZN7rocprim17ROCPRIM_400000_NS6detail17trampoline_kernelINS0_14default_configENS1_25partition_config_selectorILNS1_17partition_subalgoE6EyNS0_10empty_typeEbEEZZNS1_14partition_implILS5_6ELb0ES3_mN6thrust23THRUST_200600_302600_NS6detail15normal_iteratorINSA_10device_ptrIyEEEEPS6_SG_NS0_5tupleIJNSA_16discard_iteratorINSA_11use_defaultEEES6_EEENSH_IJSG_SG_EEES6_PlJNSB_9not_fun_tI7is_trueIyEEEEEE10hipError_tPvRmT3_T4_T5_T6_T7_T9_mT8_P12ihipStream_tbDpT10_ENKUlT_T0_E_clISt17integral_constantIbLb1EES1A_IbLb0EEEEDaS16_S17_EUlS16_E_NS1_11comp_targetILNS1_3genE4ELNS1_11target_archE910ELNS1_3gpuE8ELNS1_3repE0EEENS1_30default_config_static_selectorELNS0_4arch9wavefront6targetE0EEEvT1_
; %bb.0:
	.section	.rodata,"a",@progbits
	.p2align	6, 0x0
	.amdhsa_kernel _ZN7rocprim17ROCPRIM_400000_NS6detail17trampoline_kernelINS0_14default_configENS1_25partition_config_selectorILNS1_17partition_subalgoE6EyNS0_10empty_typeEbEEZZNS1_14partition_implILS5_6ELb0ES3_mN6thrust23THRUST_200600_302600_NS6detail15normal_iteratorINSA_10device_ptrIyEEEEPS6_SG_NS0_5tupleIJNSA_16discard_iteratorINSA_11use_defaultEEES6_EEENSH_IJSG_SG_EEES6_PlJNSB_9not_fun_tI7is_trueIyEEEEEE10hipError_tPvRmT3_T4_T5_T6_T7_T9_mT8_P12ihipStream_tbDpT10_ENKUlT_T0_E_clISt17integral_constantIbLb1EES1A_IbLb0EEEEDaS16_S17_EUlS16_E_NS1_11comp_targetILNS1_3genE4ELNS1_11target_archE910ELNS1_3gpuE8ELNS1_3repE0EEENS1_30default_config_static_selectorELNS0_4arch9wavefront6targetE0EEEvT1_
		.amdhsa_group_segment_fixed_size 0
		.amdhsa_private_segment_fixed_size 0
		.amdhsa_kernarg_size 120
		.amdhsa_user_sgpr_count 2
		.amdhsa_user_sgpr_dispatch_ptr 0
		.amdhsa_user_sgpr_queue_ptr 0
		.amdhsa_user_sgpr_kernarg_segment_ptr 1
		.amdhsa_user_sgpr_dispatch_id 0
		.amdhsa_user_sgpr_private_segment_size 0
		.amdhsa_wavefront_size32 1
		.amdhsa_uses_dynamic_stack 0
		.amdhsa_enable_private_segment 0
		.amdhsa_system_sgpr_workgroup_id_x 1
		.amdhsa_system_sgpr_workgroup_id_y 0
		.amdhsa_system_sgpr_workgroup_id_z 0
		.amdhsa_system_sgpr_workgroup_info 0
		.amdhsa_system_vgpr_workitem_id 0
		.amdhsa_next_free_vgpr 1
		.amdhsa_next_free_sgpr 1
		.amdhsa_reserve_vcc 0
		.amdhsa_float_round_mode_32 0
		.amdhsa_float_round_mode_16_64 0
		.amdhsa_float_denorm_mode_32 3
		.amdhsa_float_denorm_mode_16_64 3
		.amdhsa_fp16_overflow 0
		.amdhsa_workgroup_processor_mode 1
		.amdhsa_memory_ordered 1
		.amdhsa_forward_progress 1
		.amdhsa_inst_pref_size 0
		.amdhsa_round_robin_scheduling 0
		.amdhsa_exception_fp_ieee_invalid_op 0
		.amdhsa_exception_fp_denorm_src 0
		.amdhsa_exception_fp_ieee_div_zero 0
		.amdhsa_exception_fp_ieee_overflow 0
		.amdhsa_exception_fp_ieee_underflow 0
		.amdhsa_exception_fp_ieee_inexact 0
		.amdhsa_exception_int_div_zero 0
	.end_amdhsa_kernel
	.section	.text._ZN7rocprim17ROCPRIM_400000_NS6detail17trampoline_kernelINS0_14default_configENS1_25partition_config_selectorILNS1_17partition_subalgoE6EyNS0_10empty_typeEbEEZZNS1_14partition_implILS5_6ELb0ES3_mN6thrust23THRUST_200600_302600_NS6detail15normal_iteratorINSA_10device_ptrIyEEEEPS6_SG_NS0_5tupleIJNSA_16discard_iteratorINSA_11use_defaultEEES6_EEENSH_IJSG_SG_EEES6_PlJNSB_9not_fun_tI7is_trueIyEEEEEE10hipError_tPvRmT3_T4_T5_T6_T7_T9_mT8_P12ihipStream_tbDpT10_ENKUlT_T0_E_clISt17integral_constantIbLb1EES1A_IbLb0EEEEDaS16_S17_EUlS16_E_NS1_11comp_targetILNS1_3genE4ELNS1_11target_archE910ELNS1_3gpuE8ELNS1_3repE0EEENS1_30default_config_static_selectorELNS0_4arch9wavefront6targetE0EEEvT1_,"axG",@progbits,_ZN7rocprim17ROCPRIM_400000_NS6detail17trampoline_kernelINS0_14default_configENS1_25partition_config_selectorILNS1_17partition_subalgoE6EyNS0_10empty_typeEbEEZZNS1_14partition_implILS5_6ELb0ES3_mN6thrust23THRUST_200600_302600_NS6detail15normal_iteratorINSA_10device_ptrIyEEEEPS6_SG_NS0_5tupleIJNSA_16discard_iteratorINSA_11use_defaultEEES6_EEENSH_IJSG_SG_EEES6_PlJNSB_9not_fun_tI7is_trueIyEEEEEE10hipError_tPvRmT3_T4_T5_T6_T7_T9_mT8_P12ihipStream_tbDpT10_ENKUlT_T0_E_clISt17integral_constantIbLb1EES1A_IbLb0EEEEDaS16_S17_EUlS16_E_NS1_11comp_targetILNS1_3genE4ELNS1_11target_archE910ELNS1_3gpuE8ELNS1_3repE0EEENS1_30default_config_static_selectorELNS0_4arch9wavefront6targetE0EEEvT1_,comdat
.Lfunc_end2159:
	.size	_ZN7rocprim17ROCPRIM_400000_NS6detail17trampoline_kernelINS0_14default_configENS1_25partition_config_selectorILNS1_17partition_subalgoE6EyNS0_10empty_typeEbEEZZNS1_14partition_implILS5_6ELb0ES3_mN6thrust23THRUST_200600_302600_NS6detail15normal_iteratorINSA_10device_ptrIyEEEEPS6_SG_NS0_5tupleIJNSA_16discard_iteratorINSA_11use_defaultEEES6_EEENSH_IJSG_SG_EEES6_PlJNSB_9not_fun_tI7is_trueIyEEEEEE10hipError_tPvRmT3_T4_T5_T6_T7_T9_mT8_P12ihipStream_tbDpT10_ENKUlT_T0_E_clISt17integral_constantIbLb1EES1A_IbLb0EEEEDaS16_S17_EUlS16_E_NS1_11comp_targetILNS1_3genE4ELNS1_11target_archE910ELNS1_3gpuE8ELNS1_3repE0EEENS1_30default_config_static_selectorELNS0_4arch9wavefront6targetE0EEEvT1_, .Lfunc_end2159-_ZN7rocprim17ROCPRIM_400000_NS6detail17trampoline_kernelINS0_14default_configENS1_25partition_config_selectorILNS1_17partition_subalgoE6EyNS0_10empty_typeEbEEZZNS1_14partition_implILS5_6ELb0ES3_mN6thrust23THRUST_200600_302600_NS6detail15normal_iteratorINSA_10device_ptrIyEEEEPS6_SG_NS0_5tupleIJNSA_16discard_iteratorINSA_11use_defaultEEES6_EEENSH_IJSG_SG_EEES6_PlJNSB_9not_fun_tI7is_trueIyEEEEEE10hipError_tPvRmT3_T4_T5_T6_T7_T9_mT8_P12ihipStream_tbDpT10_ENKUlT_T0_E_clISt17integral_constantIbLb1EES1A_IbLb0EEEEDaS16_S17_EUlS16_E_NS1_11comp_targetILNS1_3genE4ELNS1_11target_archE910ELNS1_3gpuE8ELNS1_3repE0EEENS1_30default_config_static_selectorELNS0_4arch9wavefront6targetE0EEEvT1_
                                        ; -- End function
	.set _ZN7rocprim17ROCPRIM_400000_NS6detail17trampoline_kernelINS0_14default_configENS1_25partition_config_selectorILNS1_17partition_subalgoE6EyNS0_10empty_typeEbEEZZNS1_14partition_implILS5_6ELb0ES3_mN6thrust23THRUST_200600_302600_NS6detail15normal_iteratorINSA_10device_ptrIyEEEEPS6_SG_NS0_5tupleIJNSA_16discard_iteratorINSA_11use_defaultEEES6_EEENSH_IJSG_SG_EEES6_PlJNSB_9not_fun_tI7is_trueIyEEEEEE10hipError_tPvRmT3_T4_T5_T6_T7_T9_mT8_P12ihipStream_tbDpT10_ENKUlT_T0_E_clISt17integral_constantIbLb1EES1A_IbLb0EEEEDaS16_S17_EUlS16_E_NS1_11comp_targetILNS1_3genE4ELNS1_11target_archE910ELNS1_3gpuE8ELNS1_3repE0EEENS1_30default_config_static_selectorELNS0_4arch9wavefront6targetE0EEEvT1_.num_vgpr, 0
	.set _ZN7rocprim17ROCPRIM_400000_NS6detail17trampoline_kernelINS0_14default_configENS1_25partition_config_selectorILNS1_17partition_subalgoE6EyNS0_10empty_typeEbEEZZNS1_14partition_implILS5_6ELb0ES3_mN6thrust23THRUST_200600_302600_NS6detail15normal_iteratorINSA_10device_ptrIyEEEEPS6_SG_NS0_5tupleIJNSA_16discard_iteratorINSA_11use_defaultEEES6_EEENSH_IJSG_SG_EEES6_PlJNSB_9not_fun_tI7is_trueIyEEEEEE10hipError_tPvRmT3_T4_T5_T6_T7_T9_mT8_P12ihipStream_tbDpT10_ENKUlT_T0_E_clISt17integral_constantIbLb1EES1A_IbLb0EEEEDaS16_S17_EUlS16_E_NS1_11comp_targetILNS1_3genE4ELNS1_11target_archE910ELNS1_3gpuE8ELNS1_3repE0EEENS1_30default_config_static_selectorELNS0_4arch9wavefront6targetE0EEEvT1_.num_agpr, 0
	.set _ZN7rocprim17ROCPRIM_400000_NS6detail17trampoline_kernelINS0_14default_configENS1_25partition_config_selectorILNS1_17partition_subalgoE6EyNS0_10empty_typeEbEEZZNS1_14partition_implILS5_6ELb0ES3_mN6thrust23THRUST_200600_302600_NS6detail15normal_iteratorINSA_10device_ptrIyEEEEPS6_SG_NS0_5tupleIJNSA_16discard_iteratorINSA_11use_defaultEEES6_EEENSH_IJSG_SG_EEES6_PlJNSB_9not_fun_tI7is_trueIyEEEEEE10hipError_tPvRmT3_T4_T5_T6_T7_T9_mT8_P12ihipStream_tbDpT10_ENKUlT_T0_E_clISt17integral_constantIbLb1EES1A_IbLb0EEEEDaS16_S17_EUlS16_E_NS1_11comp_targetILNS1_3genE4ELNS1_11target_archE910ELNS1_3gpuE8ELNS1_3repE0EEENS1_30default_config_static_selectorELNS0_4arch9wavefront6targetE0EEEvT1_.numbered_sgpr, 0
	.set _ZN7rocprim17ROCPRIM_400000_NS6detail17trampoline_kernelINS0_14default_configENS1_25partition_config_selectorILNS1_17partition_subalgoE6EyNS0_10empty_typeEbEEZZNS1_14partition_implILS5_6ELb0ES3_mN6thrust23THRUST_200600_302600_NS6detail15normal_iteratorINSA_10device_ptrIyEEEEPS6_SG_NS0_5tupleIJNSA_16discard_iteratorINSA_11use_defaultEEES6_EEENSH_IJSG_SG_EEES6_PlJNSB_9not_fun_tI7is_trueIyEEEEEE10hipError_tPvRmT3_T4_T5_T6_T7_T9_mT8_P12ihipStream_tbDpT10_ENKUlT_T0_E_clISt17integral_constantIbLb1EES1A_IbLb0EEEEDaS16_S17_EUlS16_E_NS1_11comp_targetILNS1_3genE4ELNS1_11target_archE910ELNS1_3gpuE8ELNS1_3repE0EEENS1_30default_config_static_selectorELNS0_4arch9wavefront6targetE0EEEvT1_.num_named_barrier, 0
	.set _ZN7rocprim17ROCPRIM_400000_NS6detail17trampoline_kernelINS0_14default_configENS1_25partition_config_selectorILNS1_17partition_subalgoE6EyNS0_10empty_typeEbEEZZNS1_14partition_implILS5_6ELb0ES3_mN6thrust23THRUST_200600_302600_NS6detail15normal_iteratorINSA_10device_ptrIyEEEEPS6_SG_NS0_5tupleIJNSA_16discard_iteratorINSA_11use_defaultEEES6_EEENSH_IJSG_SG_EEES6_PlJNSB_9not_fun_tI7is_trueIyEEEEEE10hipError_tPvRmT3_T4_T5_T6_T7_T9_mT8_P12ihipStream_tbDpT10_ENKUlT_T0_E_clISt17integral_constantIbLb1EES1A_IbLb0EEEEDaS16_S17_EUlS16_E_NS1_11comp_targetILNS1_3genE4ELNS1_11target_archE910ELNS1_3gpuE8ELNS1_3repE0EEENS1_30default_config_static_selectorELNS0_4arch9wavefront6targetE0EEEvT1_.private_seg_size, 0
	.set _ZN7rocprim17ROCPRIM_400000_NS6detail17trampoline_kernelINS0_14default_configENS1_25partition_config_selectorILNS1_17partition_subalgoE6EyNS0_10empty_typeEbEEZZNS1_14partition_implILS5_6ELb0ES3_mN6thrust23THRUST_200600_302600_NS6detail15normal_iteratorINSA_10device_ptrIyEEEEPS6_SG_NS0_5tupleIJNSA_16discard_iteratorINSA_11use_defaultEEES6_EEENSH_IJSG_SG_EEES6_PlJNSB_9not_fun_tI7is_trueIyEEEEEE10hipError_tPvRmT3_T4_T5_T6_T7_T9_mT8_P12ihipStream_tbDpT10_ENKUlT_T0_E_clISt17integral_constantIbLb1EES1A_IbLb0EEEEDaS16_S17_EUlS16_E_NS1_11comp_targetILNS1_3genE4ELNS1_11target_archE910ELNS1_3gpuE8ELNS1_3repE0EEENS1_30default_config_static_selectorELNS0_4arch9wavefront6targetE0EEEvT1_.uses_vcc, 0
	.set _ZN7rocprim17ROCPRIM_400000_NS6detail17trampoline_kernelINS0_14default_configENS1_25partition_config_selectorILNS1_17partition_subalgoE6EyNS0_10empty_typeEbEEZZNS1_14partition_implILS5_6ELb0ES3_mN6thrust23THRUST_200600_302600_NS6detail15normal_iteratorINSA_10device_ptrIyEEEEPS6_SG_NS0_5tupleIJNSA_16discard_iteratorINSA_11use_defaultEEES6_EEENSH_IJSG_SG_EEES6_PlJNSB_9not_fun_tI7is_trueIyEEEEEE10hipError_tPvRmT3_T4_T5_T6_T7_T9_mT8_P12ihipStream_tbDpT10_ENKUlT_T0_E_clISt17integral_constantIbLb1EES1A_IbLb0EEEEDaS16_S17_EUlS16_E_NS1_11comp_targetILNS1_3genE4ELNS1_11target_archE910ELNS1_3gpuE8ELNS1_3repE0EEENS1_30default_config_static_selectorELNS0_4arch9wavefront6targetE0EEEvT1_.uses_flat_scratch, 0
	.set _ZN7rocprim17ROCPRIM_400000_NS6detail17trampoline_kernelINS0_14default_configENS1_25partition_config_selectorILNS1_17partition_subalgoE6EyNS0_10empty_typeEbEEZZNS1_14partition_implILS5_6ELb0ES3_mN6thrust23THRUST_200600_302600_NS6detail15normal_iteratorINSA_10device_ptrIyEEEEPS6_SG_NS0_5tupleIJNSA_16discard_iteratorINSA_11use_defaultEEES6_EEENSH_IJSG_SG_EEES6_PlJNSB_9not_fun_tI7is_trueIyEEEEEE10hipError_tPvRmT3_T4_T5_T6_T7_T9_mT8_P12ihipStream_tbDpT10_ENKUlT_T0_E_clISt17integral_constantIbLb1EES1A_IbLb0EEEEDaS16_S17_EUlS16_E_NS1_11comp_targetILNS1_3genE4ELNS1_11target_archE910ELNS1_3gpuE8ELNS1_3repE0EEENS1_30default_config_static_selectorELNS0_4arch9wavefront6targetE0EEEvT1_.has_dyn_sized_stack, 0
	.set _ZN7rocprim17ROCPRIM_400000_NS6detail17trampoline_kernelINS0_14default_configENS1_25partition_config_selectorILNS1_17partition_subalgoE6EyNS0_10empty_typeEbEEZZNS1_14partition_implILS5_6ELb0ES3_mN6thrust23THRUST_200600_302600_NS6detail15normal_iteratorINSA_10device_ptrIyEEEEPS6_SG_NS0_5tupleIJNSA_16discard_iteratorINSA_11use_defaultEEES6_EEENSH_IJSG_SG_EEES6_PlJNSB_9not_fun_tI7is_trueIyEEEEEE10hipError_tPvRmT3_T4_T5_T6_T7_T9_mT8_P12ihipStream_tbDpT10_ENKUlT_T0_E_clISt17integral_constantIbLb1EES1A_IbLb0EEEEDaS16_S17_EUlS16_E_NS1_11comp_targetILNS1_3genE4ELNS1_11target_archE910ELNS1_3gpuE8ELNS1_3repE0EEENS1_30default_config_static_selectorELNS0_4arch9wavefront6targetE0EEEvT1_.has_recursion, 0
	.set _ZN7rocprim17ROCPRIM_400000_NS6detail17trampoline_kernelINS0_14default_configENS1_25partition_config_selectorILNS1_17partition_subalgoE6EyNS0_10empty_typeEbEEZZNS1_14partition_implILS5_6ELb0ES3_mN6thrust23THRUST_200600_302600_NS6detail15normal_iteratorINSA_10device_ptrIyEEEEPS6_SG_NS0_5tupleIJNSA_16discard_iteratorINSA_11use_defaultEEES6_EEENSH_IJSG_SG_EEES6_PlJNSB_9not_fun_tI7is_trueIyEEEEEE10hipError_tPvRmT3_T4_T5_T6_T7_T9_mT8_P12ihipStream_tbDpT10_ENKUlT_T0_E_clISt17integral_constantIbLb1EES1A_IbLb0EEEEDaS16_S17_EUlS16_E_NS1_11comp_targetILNS1_3genE4ELNS1_11target_archE910ELNS1_3gpuE8ELNS1_3repE0EEENS1_30default_config_static_selectorELNS0_4arch9wavefront6targetE0EEEvT1_.has_indirect_call, 0
	.section	.AMDGPU.csdata,"",@progbits
; Kernel info:
; codeLenInByte = 0
; TotalNumSgprs: 0
; NumVgprs: 0
; ScratchSize: 0
; MemoryBound: 0
; FloatMode: 240
; IeeeMode: 1
; LDSByteSize: 0 bytes/workgroup (compile time only)
; SGPRBlocks: 0
; VGPRBlocks: 0
; NumSGPRsForWavesPerEU: 1
; NumVGPRsForWavesPerEU: 1
; Occupancy: 16
; WaveLimiterHint : 0
; COMPUTE_PGM_RSRC2:SCRATCH_EN: 0
; COMPUTE_PGM_RSRC2:USER_SGPR: 2
; COMPUTE_PGM_RSRC2:TRAP_HANDLER: 0
; COMPUTE_PGM_RSRC2:TGID_X_EN: 1
; COMPUTE_PGM_RSRC2:TGID_Y_EN: 0
; COMPUTE_PGM_RSRC2:TGID_Z_EN: 0
; COMPUTE_PGM_RSRC2:TIDIG_COMP_CNT: 0
	.section	.text._ZN7rocprim17ROCPRIM_400000_NS6detail17trampoline_kernelINS0_14default_configENS1_25partition_config_selectorILNS1_17partition_subalgoE6EyNS0_10empty_typeEbEEZZNS1_14partition_implILS5_6ELb0ES3_mN6thrust23THRUST_200600_302600_NS6detail15normal_iteratorINSA_10device_ptrIyEEEEPS6_SG_NS0_5tupleIJNSA_16discard_iteratorINSA_11use_defaultEEES6_EEENSH_IJSG_SG_EEES6_PlJNSB_9not_fun_tI7is_trueIyEEEEEE10hipError_tPvRmT3_T4_T5_T6_T7_T9_mT8_P12ihipStream_tbDpT10_ENKUlT_T0_E_clISt17integral_constantIbLb1EES1A_IbLb0EEEEDaS16_S17_EUlS16_E_NS1_11comp_targetILNS1_3genE3ELNS1_11target_archE908ELNS1_3gpuE7ELNS1_3repE0EEENS1_30default_config_static_selectorELNS0_4arch9wavefront6targetE0EEEvT1_,"axG",@progbits,_ZN7rocprim17ROCPRIM_400000_NS6detail17trampoline_kernelINS0_14default_configENS1_25partition_config_selectorILNS1_17partition_subalgoE6EyNS0_10empty_typeEbEEZZNS1_14partition_implILS5_6ELb0ES3_mN6thrust23THRUST_200600_302600_NS6detail15normal_iteratorINSA_10device_ptrIyEEEEPS6_SG_NS0_5tupleIJNSA_16discard_iteratorINSA_11use_defaultEEES6_EEENSH_IJSG_SG_EEES6_PlJNSB_9not_fun_tI7is_trueIyEEEEEE10hipError_tPvRmT3_T4_T5_T6_T7_T9_mT8_P12ihipStream_tbDpT10_ENKUlT_T0_E_clISt17integral_constantIbLb1EES1A_IbLb0EEEEDaS16_S17_EUlS16_E_NS1_11comp_targetILNS1_3genE3ELNS1_11target_archE908ELNS1_3gpuE7ELNS1_3repE0EEENS1_30default_config_static_selectorELNS0_4arch9wavefront6targetE0EEEvT1_,comdat
	.protected	_ZN7rocprim17ROCPRIM_400000_NS6detail17trampoline_kernelINS0_14default_configENS1_25partition_config_selectorILNS1_17partition_subalgoE6EyNS0_10empty_typeEbEEZZNS1_14partition_implILS5_6ELb0ES3_mN6thrust23THRUST_200600_302600_NS6detail15normal_iteratorINSA_10device_ptrIyEEEEPS6_SG_NS0_5tupleIJNSA_16discard_iteratorINSA_11use_defaultEEES6_EEENSH_IJSG_SG_EEES6_PlJNSB_9not_fun_tI7is_trueIyEEEEEE10hipError_tPvRmT3_T4_T5_T6_T7_T9_mT8_P12ihipStream_tbDpT10_ENKUlT_T0_E_clISt17integral_constantIbLb1EES1A_IbLb0EEEEDaS16_S17_EUlS16_E_NS1_11comp_targetILNS1_3genE3ELNS1_11target_archE908ELNS1_3gpuE7ELNS1_3repE0EEENS1_30default_config_static_selectorELNS0_4arch9wavefront6targetE0EEEvT1_ ; -- Begin function _ZN7rocprim17ROCPRIM_400000_NS6detail17trampoline_kernelINS0_14default_configENS1_25partition_config_selectorILNS1_17partition_subalgoE6EyNS0_10empty_typeEbEEZZNS1_14partition_implILS5_6ELb0ES3_mN6thrust23THRUST_200600_302600_NS6detail15normal_iteratorINSA_10device_ptrIyEEEEPS6_SG_NS0_5tupleIJNSA_16discard_iteratorINSA_11use_defaultEEES6_EEENSH_IJSG_SG_EEES6_PlJNSB_9not_fun_tI7is_trueIyEEEEEE10hipError_tPvRmT3_T4_T5_T6_T7_T9_mT8_P12ihipStream_tbDpT10_ENKUlT_T0_E_clISt17integral_constantIbLb1EES1A_IbLb0EEEEDaS16_S17_EUlS16_E_NS1_11comp_targetILNS1_3genE3ELNS1_11target_archE908ELNS1_3gpuE7ELNS1_3repE0EEENS1_30default_config_static_selectorELNS0_4arch9wavefront6targetE0EEEvT1_
	.globl	_ZN7rocprim17ROCPRIM_400000_NS6detail17trampoline_kernelINS0_14default_configENS1_25partition_config_selectorILNS1_17partition_subalgoE6EyNS0_10empty_typeEbEEZZNS1_14partition_implILS5_6ELb0ES3_mN6thrust23THRUST_200600_302600_NS6detail15normal_iteratorINSA_10device_ptrIyEEEEPS6_SG_NS0_5tupleIJNSA_16discard_iteratorINSA_11use_defaultEEES6_EEENSH_IJSG_SG_EEES6_PlJNSB_9not_fun_tI7is_trueIyEEEEEE10hipError_tPvRmT3_T4_T5_T6_T7_T9_mT8_P12ihipStream_tbDpT10_ENKUlT_T0_E_clISt17integral_constantIbLb1EES1A_IbLb0EEEEDaS16_S17_EUlS16_E_NS1_11comp_targetILNS1_3genE3ELNS1_11target_archE908ELNS1_3gpuE7ELNS1_3repE0EEENS1_30default_config_static_selectorELNS0_4arch9wavefront6targetE0EEEvT1_
	.p2align	8
	.type	_ZN7rocprim17ROCPRIM_400000_NS6detail17trampoline_kernelINS0_14default_configENS1_25partition_config_selectorILNS1_17partition_subalgoE6EyNS0_10empty_typeEbEEZZNS1_14partition_implILS5_6ELb0ES3_mN6thrust23THRUST_200600_302600_NS6detail15normal_iteratorINSA_10device_ptrIyEEEEPS6_SG_NS0_5tupleIJNSA_16discard_iteratorINSA_11use_defaultEEES6_EEENSH_IJSG_SG_EEES6_PlJNSB_9not_fun_tI7is_trueIyEEEEEE10hipError_tPvRmT3_T4_T5_T6_T7_T9_mT8_P12ihipStream_tbDpT10_ENKUlT_T0_E_clISt17integral_constantIbLb1EES1A_IbLb0EEEEDaS16_S17_EUlS16_E_NS1_11comp_targetILNS1_3genE3ELNS1_11target_archE908ELNS1_3gpuE7ELNS1_3repE0EEENS1_30default_config_static_selectorELNS0_4arch9wavefront6targetE0EEEvT1_,@function
_ZN7rocprim17ROCPRIM_400000_NS6detail17trampoline_kernelINS0_14default_configENS1_25partition_config_selectorILNS1_17partition_subalgoE6EyNS0_10empty_typeEbEEZZNS1_14partition_implILS5_6ELb0ES3_mN6thrust23THRUST_200600_302600_NS6detail15normal_iteratorINSA_10device_ptrIyEEEEPS6_SG_NS0_5tupleIJNSA_16discard_iteratorINSA_11use_defaultEEES6_EEENSH_IJSG_SG_EEES6_PlJNSB_9not_fun_tI7is_trueIyEEEEEE10hipError_tPvRmT3_T4_T5_T6_T7_T9_mT8_P12ihipStream_tbDpT10_ENKUlT_T0_E_clISt17integral_constantIbLb1EES1A_IbLb0EEEEDaS16_S17_EUlS16_E_NS1_11comp_targetILNS1_3genE3ELNS1_11target_archE908ELNS1_3gpuE7ELNS1_3repE0EEENS1_30default_config_static_selectorELNS0_4arch9wavefront6targetE0EEEvT1_: ; @_ZN7rocprim17ROCPRIM_400000_NS6detail17trampoline_kernelINS0_14default_configENS1_25partition_config_selectorILNS1_17partition_subalgoE6EyNS0_10empty_typeEbEEZZNS1_14partition_implILS5_6ELb0ES3_mN6thrust23THRUST_200600_302600_NS6detail15normal_iteratorINSA_10device_ptrIyEEEEPS6_SG_NS0_5tupleIJNSA_16discard_iteratorINSA_11use_defaultEEES6_EEENSH_IJSG_SG_EEES6_PlJNSB_9not_fun_tI7is_trueIyEEEEEE10hipError_tPvRmT3_T4_T5_T6_T7_T9_mT8_P12ihipStream_tbDpT10_ENKUlT_T0_E_clISt17integral_constantIbLb1EES1A_IbLb0EEEEDaS16_S17_EUlS16_E_NS1_11comp_targetILNS1_3genE3ELNS1_11target_archE908ELNS1_3gpuE7ELNS1_3repE0EEENS1_30default_config_static_selectorELNS0_4arch9wavefront6targetE0EEEvT1_
; %bb.0:
	.section	.rodata,"a",@progbits
	.p2align	6, 0x0
	.amdhsa_kernel _ZN7rocprim17ROCPRIM_400000_NS6detail17trampoline_kernelINS0_14default_configENS1_25partition_config_selectorILNS1_17partition_subalgoE6EyNS0_10empty_typeEbEEZZNS1_14partition_implILS5_6ELb0ES3_mN6thrust23THRUST_200600_302600_NS6detail15normal_iteratorINSA_10device_ptrIyEEEEPS6_SG_NS0_5tupleIJNSA_16discard_iteratorINSA_11use_defaultEEES6_EEENSH_IJSG_SG_EEES6_PlJNSB_9not_fun_tI7is_trueIyEEEEEE10hipError_tPvRmT3_T4_T5_T6_T7_T9_mT8_P12ihipStream_tbDpT10_ENKUlT_T0_E_clISt17integral_constantIbLb1EES1A_IbLb0EEEEDaS16_S17_EUlS16_E_NS1_11comp_targetILNS1_3genE3ELNS1_11target_archE908ELNS1_3gpuE7ELNS1_3repE0EEENS1_30default_config_static_selectorELNS0_4arch9wavefront6targetE0EEEvT1_
		.amdhsa_group_segment_fixed_size 0
		.amdhsa_private_segment_fixed_size 0
		.amdhsa_kernarg_size 120
		.amdhsa_user_sgpr_count 2
		.amdhsa_user_sgpr_dispatch_ptr 0
		.amdhsa_user_sgpr_queue_ptr 0
		.amdhsa_user_sgpr_kernarg_segment_ptr 1
		.amdhsa_user_sgpr_dispatch_id 0
		.amdhsa_user_sgpr_private_segment_size 0
		.amdhsa_wavefront_size32 1
		.amdhsa_uses_dynamic_stack 0
		.amdhsa_enable_private_segment 0
		.amdhsa_system_sgpr_workgroup_id_x 1
		.amdhsa_system_sgpr_workgroup_id_y 0
		.amdhsa_system_sgpr_workgroup_id_z 0
		.amdhsa_system_sgpr_workgroup_info 0
		.amdhsa_system_vgpr_workitem_id 0
		.amdhsa_next_free_vgpr 1
		.amdhsa_next_free_sgpr 1
		.amdhsa_reserve_vcc 0
		.amdhsa_float_round_mode_32 0
		.amdhsa_float_round_mode_16_64 0
		.amdhsa_float_denorm_mode_32 3
		.amdhsa_float_denorm_mode_16_64 3
		.amdhsa_fp16_overflow 0
		.amdhsa_workgroup_processor_mode 1
		.amdhsa_memory_ordered 1
		.amdhsa_forward_progress 1
		.amdhsa_inst_pref_size 0
		.amdhsa_round_robin_scheduling 0
		.amdhsa_exception_fp_ieee_invalid_op 0
		.amdhsa_exception_fp_denorm_src 0
		.amdhsa_exception_fp_ieee_div_zero 0
		.amdhsa_exception_fp_ieee_overflow 0
		.amdhsa_exception_fp_ieee_underflow 0
		.amdhsa_exception_fp_ieee_inexact 0
		.amdhsa_exception_int_div_zero 0
	.end_amdhsa_kernel
	.section	.text._ZN7rocprim17ROCPRIM_400000_NS6detail17trampoline_kernelINS0_14default_configENS1_25partition_config_selectorILNS1_17partition_subalgoE6EyNS0_10empty_typeEbEEZZNS1_14partition_implILS5_6ELb0ES3_mN6thrust23THRUST_200600_302600_NS6detail15normal_iteratorINSA_10device_ptrIyEEEEPS6_SG_NS0_5tupleIJNSA_16discard_iteratorINSA_11use_defaultEEES6_EEENSH_IJSG_SG_EEES6_PlJNSB_9not_fun_tI7is_trueIyEEEEEE10hipError_tPvRmT3_T4_T5_T6_T7_T9_mT8_P12ihipStream_tbDpT10_ENKUlT_T0_E_clISt17integral_constantIbLb1EES1A_IbLb0EEEEDaS16_S17_EUlS16_E_NS1_11comp_targetILNS1_3genE3ELNS1_11target_archE908ELNS1_3gpuE7ELNS1_3repE0EEENS1_30default_config_static_selectorELNS0_4arch9wavefront6targetE0EEEvT1_,"axG",@progbits,_ZN7rocprim17ROCPRIM_400000_NS6detail17trampoline_kernelINS0_14default_configENS1_25partition_config_selectorILNS1_17partition_subalgoE6EyNS0_10empty_typeEbEEZZNS1_14partition_implILS5_6ELb0ES3_mN6thrust23THRUST_200600_302600_NS6detail15normal_iteratorINSA_10device_ptrIyEEEEPS6_SG_NS0_5tupleIJNSA_16discard_iteratorINSA_11use_defaultEEES6_EEENSH_IJSG_SG_EEES6_PlJNSB_9not_fun_tI7is_trueIyEEEEEE10hipError_tPvRmT3_T4_T5_T6_T7_T9_mT8_P12ihipStream_tbDpT10_ENKUlT_T0_E_clISt17integral_constantIbLb1EES1A_IbLb0EEEEDaS16_S17_EUlS16_E_NS1_11comp_targetILNS1_3genE3ELNS1_11target_archE908ELNS1_3gpuE7ELNS1_3repE0EEENS1_30default_config_static_selectorELNS0_4arch9wavefront6targetE0EEEvT1_,comdat
.Lfunc_end2160:
	.size	_ZN7rocprim17ROCPRIM_400000_NS6detail17trampoline_kernelINS0_14default_configENS1_25partition_config_selectorILNS1_17partition_subalgoE6EyNS0_10empty_typeEbEEZZNS1_14partition_implILS5_6ELb0ES3_mN6thrust23THRUST_200600_302600_NS6detail15normal_iteratorINSA_10device_ptrIyEEEEPS6_SG_NS0_5tupleIJNSA_16discard_iteratorINSA_11use_defaultEEES6_EEENSH_IJSG_SG_EEES6_PlJNSB_9not_fun_tI7is_trueIyEEEEEE10hipError_tPvRmT3_T4_T5_T6_T7_T9_mT8_P12ihipStream_tbDpT10_ENKUlT_T0_E_clISt17integral_constantIbLb1EES1A_IbLb0EEEEDaS16_S17_EUlS16_E_NS1_11comp_targetILNS1_3genE3ELNS1_11target_archE908ELNS1_3gpuE7ELNS1_3repE0EEENS1_30default_config_static_selectorELNS0_4arch9wavefront6targetE0EEEvT1_, .Lfunc_end2160-_ZN7rocprim17ROCPRIM_400000_NS6detail17trampoline_kernelINS0_14default_configENS1_25partition_config_selectorILNS1_17partition_subalgoE6EyNS0_10empty_typeEbEEZZNS1_14partition_implILS5_6ELb0ES3_mN6thrust23THRUST_200600_302600_NS6detail15normal_iteratorINSA_10device_ptrIyEEEEPS6_SG_NS0_5tupleIJNSA_16discard_iteratorINSA_11use_defaultEEES6_EEENSH_IJSG_SG_EEES6_PlJNSB_9not_fun_tI7is_trueIyEEEEEE10hipError_tPvRmT3_T4_T5_T6_T7_T9_mT8_P12ihipStream_tbDpT10_ENKUlT_T0_E_clISt17integral_constantIbLb1EES1A_IbLb0EEEEDaS16_S17_EUlS16_E_NS1_11comp_targetILNS1_3genE3ELNS1_11target_archE908ELNS1_3gpuE7ELNS1_3repE0EEENS1_30default_config_static_selectorELNS0_4arch9wavefront6targetE0EEEvT1_
                                        ; -- End function
	.set _ZN7rocprim17ROCPRIM_400000_NS6detail17trampoline_kernelINS0_14default_configENS1_25partition_config_selectorILNS1_17partition_subalgoE6EyNS0_10empty_typeEbEEZZNS1_14partition_implILS5_6ELb0ES3_mN6thrust23THRUST_200600_302600_NS6detail15normal_iteratorINSA_10device_ptrIyEEEEPS6_SG_NS0_5tupleIJNSA_16discard_iteratorINSA_11use_defaultEEES6_EEENSH_IJSG_SG_EEES6_PlJNSB_9not_fun_tI7is_trueIyEEEEEE10hipError_tPvRmT3_T4_T5_T6_T7_T9_mT8_P12ihipStream_tbDpT10_ENKUlT_T0_E_clISt17integral_constantIbLb1EES1A_IbLb0EEEEDaS16_S17_EUlS16_E_NS1_11comp_targetILNS1_3genE3ELNS1_11target_archE908ELNS1_3gpuE7ELNS1_3repE0EEENS1_30default_config_static_selectorELNS0_4arch9wavefront6targetE0EEEvT1_.num_vgpr, 0
	.set _ZN7rocprim17ROCPRIM_400000_NS6detail17trampoline_kernelINS0_14default_configENS1_25partition_config_selectorILNS1_17partition_subalgoE6EyNS0_10empty_typeEbEEZZNS1_14partition_implILS5_6ELb0ES3_mN6thrust23THRUST_200600_302600_NS6detail15normal_iteratorINSA_10device_ptrIyEEEEPS6_SG_NS0_5tupleIJNSA_16discard_iteratorINSA_11use_defaultEEES6_EEENSH_IJSG_SG_EEES6_PlJNSB_9not_fun_tI7is_trueIyEEEEEE10hipError_tPvRmT3_T4_T5_T6_T7_T9_mT8_P12ihipStream_tbDpT10_ENKUlT_T0_E_clISt17integral_constantIbLb1EES1A_IbLb0EEEEDaS16_S17_EUlS16_E_NS1_11comp_targetILNS1_3genE3ELNS1_11target_archE908ELNS1_3gpuE7ELNS1_3repE0EEENS1_30default_config_static_selectorELNS0_4arch9wavefront6targetE0EEEvT1_.num_agpr, 0
	.set _ZN7rocprim17ROCPRIM_400000_NS6detail17trampoline_kernelINS0_14default_configENS1_25partition_config_selectorILNS1_17partition_subalgoE6EyNS0_10empty_typeEbEEZZNS1_14partition_implILS5_6ELb0ES3_mN6thrust23THRUST_200600_302600_NS6detail15normal_iteratorINSA_10device_ptrIyEEEEPS6_SG_NS0_5tupleIJNSA_16discard_iteratorINSA_11use_defaultEEES6_EEENSH_IJSG_SG_EEES6_PlJNSB_9not_fun_tI7is_trueIyEEEEEE10hipError_tPvRmT3_T4_T5_T6_T7_T9_mT8_P12ihipStream_tbDpT10_ENKUlT_T0_E_clISt17integral_constantIbLb1EES1A_IbLb0EEEEDaS16_S17_EUlS16_E_NS1_11comp_targetILNS1_3genE3ELNS1_11target_archE908ELNS1_3gpuE7ELNS1_3repE0EEENS1_30default_config_static_selectorELNS0_4arch9wavefront6targetE0EEEvT1_.numbered_sgpr, 0
	.set _ZN7rocprim17ROCPRIM_400000_NS6detail17trampoline_kernelINS0_14default_configENS1_25partition_config_selectorILNS1_17partition_subalgoE6EyNS0_10empty_typeEbEEZZNS1_14partition_implILS5_6ELb0ES3_mN6thrust23THRUST_200600_302600_NS6detail15normal_iteratorINSA_10device_ptrIyEEEEPS6_SG_NS0_5tupleIJNSA_16discard_iteratorINSA_11use_defaultEEES6_EEENSH_IJSG_SG_EEES6_PlJNSB_9not_fun_tI7is_trueIyEEEEEE10hipError_tPvRmT3_T4_T5_T6_T7_T9_mT8_P12ihipStream_tbDpT10_ENKUlT_T0_E_clISt17integral_constantIbLb1EES1A_IbLb0EEEEDaS16_S17_EUlS16_E_NS1_11comp_targetILNS1_3genE3ELNS1_11target_archE908ELNS1_3gpuE7ELNS1_3repE0EEENS1_30default_config_static_selectorELNS0_4arch9wavefront6targetE0EEEvT1_.num_named_barrier, 0
	.set _ZN7rocprim17ROCPRIM_400000_NS6detail17trampoline_kernelINS0_14default_configENS1_25partition_config_selectorILNS1_17partition_subalgoE6EyNS0_10empty_typeEbEEZZNS1_14partition_implILS5_6ELb0ES3_mN6thrust23THRUST_200600_302600_NS6detail15normal_iteratorINSA_10device_ptrIyEEEEPS6_SG_NS0_5tupleIJNSA_16discard_iteratorINSA_11use_defaultEEES6_EEENSH_IJSG_SG_EEES6_PlJNSB_9not_fun_tI7is_trueIyEEEEEE10hipError_tPvRmT3_T4_T5_T6_T7_T9_mT8_P12ihipStream_tbDpT10_ENKUlT_T0_E_clISt17integral_constantIbLb1EES1A_IbLb0EEEEDaS16_S17_EUlS16_E_NS1_11comp_targetILNS1_3genE3ELNS1_11target_archE908ELNS1_3gpuE7ELNS1_3repE0EEENS1_30default_config_static_selectorELNS0_4arch9wavefront6targetE0EEEvT1_.private_seg_size, 0
	.set _ZN7rocprim17ROCPRIM_400000_NS6detail17trampoline_kernelINS0_14default_configENS1_25partition_config_selectorILNS1_17partition_subalgoE6EyNS0_10empty_typeEbEEZZNS1_14partition_implILS5_6ELb0ES3_mN6thrust23THRUST_200600_302600_NS6detail15normal_iteratorINSA_10device_ptrIyEEEEPS6_SG_NS0_5tupleIJNSA_16discard_iteratorINSA_11use_defaultEEES6_EEENSH_IJSG_SG_EEES6_PlJNSB_9not_fun_tI7is_trueIyEEEEEE10hipError_tPvRmT3_T4_T5_T6_T7_T9_mT8_P12ihipStream_tbDpT10_ENKUlT_T0_E_clISt17integral_constantIbLb1EES1A_IbLb0EEEEDaS16_S17_EUlS16_E_NS1_11comp_targetILNS1_3genE3ELNS1_11target_archE908ELNS1_3gpuE7ELNS1_3repE0EEENS1_30default_config_static_selectorELNS0_4arch9wavefront6targetE0EEEvT1_.uses_vcc, 0
	.set _ZN7rocprim17ROCPRIM_400000_NS6detail17trampoline_kernelINS0_14default_configENS1_25partition_config_selectorILNS1_17partition_subalgoE6EyNS0_10empty_typeEbEEZZNS1_14partition_implILS5_6ELb0ES3_mN6thrust23THRUST_200600_302600_NS6detail15normal_iteratorINSA_10device_ptrIyEEEEPS6_SG_NS0_5tupleIJNSA_16discard_iteratorINSA_11use_defaultEEES6_EEENSH_IJSG_SG_EEES6_PlJNSB_9not_fun_tI7is_trueIyEEEEEE10hipError_tPvRmT3_T4_T5_T6_T7_T9_mT8_P12ihipStream_tbDpT10_ENKUlT_T0_E_clISt17integral_constantIbLb1EES1A_IbLb0EEEEDaS16_S17_EUlS16_E_NS1_11comp_targetILNS1_3genE3ELNS1_11target_archE908ELNS1_3gpuE7ELNS1_3repE0EEENS1_30default_config_static_selectorELNS0_4arch9wavefront6targetE0EEEvT1_.uses_flat_scratch, 0
	.set _ZN7rocprim17ROCPRIM_400000_NS6detail17trampoline_kernelINS0_14default_configENS1_25partition_config_selectorILNS1_17partition_subalgoE6EyNS0_10empty_typeEbEEZZNS1_14partition_implILS5_6ELb0ES3_mN6thrust23THRUST_200600_302600_NS6detail15normal_iteratorINSA_10device_ptrIyEEEEPS6_SG_NS0_5tupleIJNSA_16discard_iteratorINSA_11use_defaultEEES6_EEENSH_IJSG_SG_EEES6_PlJNSB_9not_fun_tI7is_trueIyEEEEEE10hipError_tPvRmT3_T4_T5_T6_T7_T9_mT8_P12ihipStream_tbDpT10_ENKUlT_T0_E_clISt17integral_constantIbLb1EES1A_IbLb0EEEEDaS16_S17_EUlS16_E_NS1_11comp_targetILNS1_3genE3ELNS1_11target_archE908ELNS1_3gpuE7ELNS1_3repE0EEENS1_30default_config_static_selectorELNS0_4arch9wavefront6targetE0EEEvT1_.has_dyn_sized_stack, 0
	.set _ZN7rocprim17ROCPRIM_400000_NS6detail17trampoline_kernelINS0_14default_configENS1_25partition_config_selectorILNS1_17partition_subalgoE6EyNS0_10empty_typeEbEEZZNS1_14partition_implILS5_6ELb0ES3_mN6thrust23THRUST_200600_302600_NS6detail15normal_iteratorINSA_10device_ptrIyEEEEPS6_SG_NS0_5tupleIJNSA_16discard_iteratorINSA_11use_defaultEEES6_EEENSH_IJSG_SG_EEES6_PlJNSB_9not_fun_tI7is_trueIyEEEEEE10hipError_tPvRmT3_T4_T5_T6_T7_T9_mT8_P12ihipStream_tbDpT10_ENKUlT_T0_E_clISt17integral_constantIbLb1EES1A_IbLb0EEEEDaS16_S17_EUlS16_E_NS1_11comp_targetILNS1_3genE3ELNS1_11target_archE908ELNS1_3gpuE7ELNS1_3repE0EEENS1_30default_config_static_selectorELNS0_4arch9wavefront6targetE0EEEvT1_.has_recursion, 0
	.set _ZN7rocprim17ROCPRIM_400000_NS6detail17trampoline_kernelINS0_14default_configENS1_25partition_config_selectorILNS1_17partition_subalgoE6EyNS0_10empty_typeEbEEZZNS1_14partition_implILS5_6ELb0ES3_mN6thrust23THRUST_200600_302600_NS6detail15normal_iteratorINSA_10device_ptrIyEEEEPS6_SG_NS0_5tupleIJNSA_16discard_iteratorINSA_11use_defaultEEES6_EEENSH_IJSG_SG_EEES6_PlJNSB_9not_fun_tI7is_trueIyEEEEEE10hipError_tPvRmT3_T4_T5_T6_T7_T9_mT8_P12ihipStream_tbDpT10_ENKUlT_T0_E_clISt17integral_constantIbLb1EES1A_IbLb0EEEEDaS16_S17_EUlS16_E_NS1_11comp_targetILNS1_3genE3ELNS1_11target_archE908ELNS1_3gpuE7ELNS1_3repE0EEENS1_30default_config_static_selectorELNS0_4arch9wavefront6targetE0EEEvT1_.has_indirect_call, 0
	.section	.AMDGPU.csdata,"",@progbits
; Kernel info:
; codeLenInByte = 0
; TotalNumSgprs: 0
; NumVgprs: 0
; ScratchSize: 0
; MemoryBound: 0
; FloatMode: 240
; IeeeMode: 1
; LDSByteSize: 0 bytes/workgroup (compile time only)
; SGPRBlocks: 0
; VGPRBlocks: 0
; NumSGPRsForWavesPerEU: 1
; NumVGPRsForWavesPerEU: 1
; Occupancy: 16
; WaveLimiterHint : 0
; COMPUTE_PGM_RSRC2:SCRATCH_EN: 0
; COMPUTE_PGM_RSRC2:USER_SGPR: 2
; COMPUTE_PGM_RSRC2:TRAP_HANDLER: 0
; COMPUTE_PGM_RSRC2:TGID_X_EN: 1
; COMPUTE_PGM_RSRC2:TGID_Y_EN: 0
; COMPUTE_PGM_RSRC2:TGID_Z_EN: 0
; COMPUTE_PGM_RSRC2:TIDIG_COMP_CNT: 0
	.section	.text._ZN7rocprim17ROCPRIM_400000_NS6detail17trampoline_kernelINS0_14default_configENS1_25partition_config_selectorILNS1_17partition_subalgoE6EyNS0_10empty_typeEbEEZZNS1_14partition_implILS5_6ELb0ES3_mN6thrust23THRUST_200600_302600_NS6detail15normal_iteratorINSA_10device_ptrIyEEEEPS6_SG_NS0_5tupleIJNSA_16discard_iteratorINSA_11use_defaultEEES6_EEENSH_IJSG_SG_EEES6_PlJNSB_9not_fun_tI7is_trueIyEEEEEE10hipError_tPvRmT3_T4_T5_T6_T7_T9_mT8_P12ihipStream_tbDpT10_ENKUlT_T0_E_clISt17integral_constantIbLb1EES1A_IbLb0EEEEDaS16_S17_EUlS16_E_NS1_11comp_targetILNS1_3genE2ELNS1_11target_archE906ELNS1_3gpuE6ELNS1_3repE0EEENS1_30default_config_static_selectorELNS0_4arch9wavefront6targetE0EEEvT1_,"axG",@progbits,_ZN7rocprim17ROCPRIM_400000_NS6detail17trampoline_kernelINS0_14default_configENS1_25partition_config_selectorILNS1_17partition_subalgoE6EyNS0_10empty_typeEbEEZZNS1_14partition_implILS5_6ELb0ES3_mN6thrust23THRUST_200600_302600_NS6detail15normal_iteratorINSA_10device_ptrIyEEEEPS6_SG_NS0_5tupleIJNSA_16discard_iteratorINSA_11use_defaultEEES6_EEENSH_IJSG_SG_EEES6_PlJNSB_9not_fun_tI7is_trueIyEEEEEE10hipError_tPvRmT3_T4_T5_T6_T7_T9_mT8_P12ihipStream_tbDpT10_ENKUlT_T0_E_clISt17integral_constantIbLb1EES1A_IbLb0EEEEDaS16_S17_EUlS16_E_NS1_11comp_targetILNS1_3genE2ELNS1_11target_archE906ELNS1_3gpuE6ELNS1_3repE0EEENS1_30default_config_static_selectorELNS0_4arch9wavefront6targetE0EEEvT1_,comdat
	.protected	_ZN7rocprim17ROCPRIM_400000_NS6detail17trampoline_kernelINS0_14default_configENS1_25partition_config_selectorILNS1_17partition_subalgoE6EyNS0_10empty_typeEbEEZZNS1_14partition_implILS5_6ELb0ES3_mN6thrust23THRUST_200600_302600_NS6detail15normal_iteratorINSA_10device_ptrIyEEEEPS6_SG_NS0_5tupleIJNSA_16discard_iteratorINSA_11use_defaultEEES6_EEENSH_IJSG_SG_EEES6_PlJNSB_9not_fun_tI7is_trueIyEEEEEE10hipError_tPvRmT3_T4_T5_T6_T7_T9_mT8_P12ihipStream_tbDpT10_ENKUlT_T0_E_clISt17integral_constantIbLb1EES1A_IbLb0EEEEDaS16_S17_EUlS16_E_NS1_11comp_targetILNS1_3genE2ELNS1_11target_archE906ELNS1_3gpuE6ELNS1_3repE0EEENS1_30default_config_static_selectorELNS0_4arch9wavefront6targetE0EEEvT1_ ; -- Begin function _ZN7rocprim17ROCPRIM_400000_NS6detail17trampoline_kernelINS0_14default_configENS1_25partition_config_selectorILNS1_17partition_subalgoE6EyNS0_10empty_typeEbEEZZNS1_14partition_implILS5_6ELb0ES3_mN6thrust23THRUST_200600_302600_NS6detail15normal_iteratorINSA_10device_ptrIyEEEEPS6_SG_NS0_5tupleIJNSA_16discard_iteratorINSA_11use_defaultEEES6_EEENSH_IJSG_SG_EEES6_PlJNSB_9not_fun_tI7is_trueIyEEEEEE10hipError_tPvRmT3_T4_T5_T6_T7_T9_mT8_P12ihipStream_tbDpT10_ENKUlT_T0_E_clISt17integral_constantIbLb1EES1A_IbLb0EEEEDaS16_S17_EUlS16_E_NS1_11comp_targetILNS1_3genE2ELNS1_11target_archE906ELNS1_3gpuE6ELNS1_3repE0EEENS1_30default_config_static_selectorELNS0_4arch9wavefront6targetE0EEEvT1_
	.globl	_ZN7rocprim17ROCPRIM_400000_NS6detail17trampoline_kernelINS0_14default_configENS1_25partition_config_selectorILNS1_17partition_subalgoE6EyNS0_10empty_typeEbEEZZNS1_14partition_implILS5_6ELb0ES3_mN6thrust23THRUST_200600_302600_NS6detail15normal_iteratorINSA_10device_ptrIyEEEEPS6_SG_NS0_5tupleIJNSA_16discard_iteratorINSA_11use_defaultEEES6_EEENSH_IJSG_SG_EEES6_PlJNSB_9not_fun_tI7is_trueIyEEEEEE10hipError_tPvRmT3_T4_T5_T6_T7_T9_mT8_P12ihipStream_tbDpT10_ENKUlT_T0_E_clISt17integral_constantIbLb1EES1A_IbLb0EEEEDaS16_S17_EUlS16_E_NS1_11comp_targetILNS1_3genE2ELNS1_11target_archE906ELNS1_3gpuE6ELNS1_3repE0EEENS1_30default_config_static_selectorELNS0_4arch9wavefront6targetE0EEEvT1_
	.p2align	8
	.type	_ZN7rocprim17ROCPRIM_400000_NS6detail17trampoline_kernelINS0_14default_configENS1_25partition_config_selectorILNS1_17partition_subalgoE6EyNS0_10empty_typeEbEEZZNS1_14partition_implILS5_6ELb0ES3_mN6thrust23THRUST_200600_302600_NS6detail15normal_iteratorINSA_10device_ptrIyEEEEPS6_SG_NS0_5tupleIJNSA_16discard_iteratorINSA_11use_defaultEEES6_EEENSH_IJSG_SG_EEES6_PlJNSB_9not_fun_tI7is_trueIyEEEEEE10hipError_tPvRmT3_T4_T5_T6_T7_T9_mT8_P12ihipStream_tbDpT10_ENKUlT_T0_E_clISt17integral_constantIbLb1EES1A_IbLb0EEEEDaS16_S17_EUlS16_E_NS1_11comp_targetILNS1_3genE2ELNS1_11target_archE906ELNS1_3gpuE6ELNS1_3repE0EEENS1_30default_config_static_selectorELNS0_4arch9wavefront6targetE0EEEvT1_,@function
_ZN7rocprim17ROCPRIM_400000_NS6detail17trampoline_kernelINS0_14default_configENS1_25partition_config_selectorILNS1_17partition_subalgoE6EyNS0_10empty_typeEbEEZZNS1_14partition_implILS5_6ELb0ES3_mN6thrust23THRUST_200600_302600_NS6detail15normal_iteratorINSA_10device_ptrIyEEEEPS6_SG_NS0_5tupleIJNSA_16discard_iteratorINSA_11use_defaultEEES6_EEENSH_IJSG_SG_EEES6_PlJNSB_9not_fun_tI7is_trueIyEEEEEE10hipError_tPvRmT3_T4_T5_T6_T7_T9_mT8_P12ihipStream_tbDpT10_ENKUlT_T0_E_clISt17integral_constantIbLb1EES1A_IbLb0EEEEDaS16_S17_EUlS16_E_NS1_11comp_targetILNS1_3genE2ELNS1_11target_archE906ELNS1_3gpuE6ELNS1_3repE0EEENS1_30default_config_static_selectorELNS0_4arch9wavefront6targetE0EEEvT1_: ; @_ZN7rocprim17ROCPRIM_400000_NS6detail17trampoline_kernelINS0_14default_configENS1_25partition_config_selectorILNS1_17partition_subalgoE6EyNS0_10empty_typeEbEEZZNS1_14partition_implILS5_6ELb0ES3_mN6thrust23THRUST_200600_302600_NS6detail15normal_iteratorINSA_10device_ptrIyEEEEPS6_SG_NS0_5tupleIJNSA_16discard_iteratorINSA_11use_defaultEEES6_EEENSH_IJSG_SG_EEES6_PlJNSB_9not_fun_tI7is_trueIyEEEEEE10hipError_tPvRmT3_T4_T5_T6_T7_T9_mT8_P12ihipStream_tbDpT10_ENKUlT_T0_E_clISt17integral_constantIbLb1EES1A_IbLb0EEEEDaS16_S17_EUlS16_E_NS1_11comp_targetILNS1_3genE2ELNS1_11target_archE906ELNS1_3gpuE6ELNS1_3repE0EEENS1_30default_config_static_selectorELNS0_4arch9wavefront6targetE0EEEvT1_
; %bb.0:
	.section	.rodata,"a",@progbits
	.p2align	6, 0x0
	.amdhsa_kernel _ZN7rocprim17ROCPRIM_400000_NS6detail17trampoline_kernelINS0_14default_configENS1_25partition_config_selectorILNS1_17partition_subalgoE6EyNS0_10empty_typeEbEEZZNS1_14partition_implILS5_6ELb0ES3_mN6thrust23THRUST_200600_302600_NS6detail15normal_iteratorINSA_10device_ptrIyEEEEPS6_SG_NS0_5tupleIJNSA_16discard_iteratorINSA_11use_defaultEEES6_EEENSH_IJSG_SG_EEES6_PlJNSB_9not_fun_tI7is_trueIyEEEEEE10hipError_tPvRmT3_T4_T5_T6_T7_T9_mT8_P12ihipStream_tbDpT10_ENKUlT_T0_E_clISt17integral_constantIbLb1EES1A_IbLb0EEEEDaS16_S17_EUlS16_E_NS1_11comp_targetILNS1_3genE2ELNS1_11target_archE906ELNS1_3gpuE6ELNS1_3repE0EEENS1_30default_config_static_selectorELNS0_4arch9wavefront6targetE0EEEvT1_
		.amdhsa_group_segment_fixed_size 0
		.amdhsa_private_segment_fixed_size 0
		.amdhsa_kernarg_size 120
		.amdhsa_user_sgpr_count 2
		.amdhsa_user_sgpr_dispatch_ptr 0
		.amdhsa_user_sgpr_queue_ptr 0
		.amdhsa_user_sgpr_kernarg_segment_ptr 1
		.amdhsa_user_sgpr_dispatch_id 0
		.amdhsa_user_sgpr_private_segment_size 0
		.amdhsa_wavefront_size32 1
		.amdhsa_uses_dynamic_stack 0
		.amdhsa_enable_private_segment 0
		.amdhsa_system_sgpr_workgroup_id_x 1
		.amdhsa_system_sgpr_workgroup_id_y 0
		.amdhsa_system_sgpr_workgroup_id_z 0
		.amdhsa_system_sgpr_workgroup_info 0
		.amdhsa_system_vgpr_workitem_id 0
		.amdhsa_next_free_vgpr 1
		.amdhsa_next_free_sgpr 1
		.amdhsa_reserve_vcc 0
		.amdhsa_float_round_mode_32 0
		.amdhsa_float_round_mode_16_64 0
		.amdhsa_float_denorm_mode_32 3
		.amdhsa_float_denorm_mode_16_64 3
		.amdhsa_fp16_overflow 0
		.amdhsa_workgroup_processor_mode 1
		.amdhsa_memory_ordered 1
		.amdhsa_forward_progress 1
		.amdhsa_inst_pref_size 0
		.amdhsa_round_robin_scheduling 0
		.amdhsa_exception_fp_ieee_invalid_op 0
		.amdhsa_exception_fp_denorm_src 0
		.amdhsa_exception_fp_ieee_div_zero 0
		.amdhsa_exception_fp_ieee_overflow 0
		.amdhsa_exception_fp_ieee_underflow 0
		.amdhsa_exception_fp_ieee_inexact 0
		.amdhsa_exception_int_div_zero 0
	.end_amdhsa_kernel
	.section	.text._ZN7rocprim17ROCPRIM_400000_NS6detail17trampoline_kernelINS0_14default_configENS1_25partition_config_selectorILNS1_17partition_subalgoE6EyNS0_10empty_typeEbEEZZNS1_14partition_implILS5_6ELb0ES3_mN6thrust23THRUST_200600_302600_NS6detail15normal_iteratorINSA_10device_ptrIyEEEEPS6_SG_NS0_5tupleIJNSA_16discard_iteratorINSA_11use_defaultEEES6_EEENSH_IJSG_SG_EEES6_PlJNSB_9not_fun_tI7is_trueIyEEEEEE10hipError_tPvRmT3_T4_T5_T6_T7_T9_mT8_P12ihipStream_tbDpT10_ENKUlT_T0_E_clISt17integral_constantIbLb1EES1A_IbLb0EEEEDaS16_S17_EUlS16_E_NS1_11comp_targetILNS1_3genE2ELNS1_11target_archE906ELNS1_3gpuE6ELNS1_3repE0EEENS1_30default_config_static_selectorELNS0_4arch9wavefront6targetE0EEEvT1_,"axG",@progbits,_ZN7rocprim17ROCPRIM_400000_NS6detail17trampoline_kernelINS0_14default_configENS1_25partition_config_selectorILNS1_17partition_subalgoE6EyNS0_10empty_typeEbEEZZNS1_14partition_implILS5_6ELb0ES3_mN6thrust23THRUST_200600_302600_NS6detail15normal_iteratorINSA_10device_ptrIyEEEEPS6_SG_NS0_5tupleIJNSA_16discard_iteratorINSA_11use_defaultEEES6_EEENSH_IJSG_SG_EEES6_PlJNSB_9not_fun_tI7is_trueIyEEEEEE10hipError_tPvRmT3_T4_T5_T6_T7_T9_mT8_P12ihipStream_tbDpT10_ENKUlT_T0_E_clISt17integral_constantIbLb1EES1A_IbLb0EEEEDaS16_S17_EUlS16_E_NS1_11comp_targetILNS1_3genE2ELNS1_11target_archE906ELNS1_3gpuE6ELNS1_3repE0EEENS1_30default_config_static_selectorELNS0_4arch9wavefront6targetE0EEEvT1_,comdat
.Lfunc_end2161:
	.size	_ZN7rocprim17ROCPRIM_400000_NS6detail17trampoline_kernelINS0_14default_configENS1_25partition_config_selectorILNS1_17partition_subalgoE6EyNS0_10empty_typeEbEEZZNS1_14partition_implILS5_6ELb0ES3_mN6thrust23THRUST_200600_302600_NS6detail15normal_iteratorINSA_10device_ptrIyEEEEPS6_SG_NS0_5tupleIJNSA_16discard_iteratorINSA_11use_defaultEEES6_EEENSH_IJSG_SG_EEES6_PlJNSB_9not_fun_tI7is_trueIyEEEEEE10hipError_tPvRmT3_T4_T5_T6_T7_T9_mT8_P12ihipStream_tbDpT10_ENKUlT_T0_E_clISt17integral_constantIbLb1EES1A_IbLb0EEEEDaS16_S17_EUlS16_E_NS1_11comp_targetILNS1_3genE2ELNS1_11target_archE906ELNS1_3gpuE6ELNS1_3repE0EEENS1_30default_config_static_selectorELNS0_4arch9wavefront6targetE0EEEvT1_, .Lfunc_end2161-_ZN7rocprim17ROCPRIM_400000_NS6detail17trampoline_kernelINS0_14default_configENS1_25partition_config_selectorILNS1_17partition_subalgoE6EyNS0_10empty_typeEbEEZZNS1_14partition_implILS5_6ELb0ES3_mN6thrust23THRUST_200600_302600_NS6detail15normal_iteratorINSA_10device_ptrIyEEEEPS6_SG_NS0_5tupleIJNSA_16discard_iteratorINSA_11use_defaultEEES6_EEENSH_IJSG_SG_EEES6_PlJNSB_9not_fun_tI7is_trueIyEEEEEE10hipError_tPvRmT3_T4_T5_T6_T7_T9_mT8_P12ihipStream_tbDpT10_ENKUlT_T0_E_clISt17integral_constantIbLb1EES1A_IbLb0EEEEDaS16_S17_EUlS16_E_NS1_11comp_targetILNS1_3genE2ELNS1_11target_archE906ELNS1_3gpuE6ELNS1_3repE0EEENS1_30default_config_static_selectorELNS0_4arch9wavefront6targetE0EEEvT1_
                                        ; -- End function
	.set _ZN7rocprim17ROCPRIM_400000_NS6detail17trampoline_kernelINS0_14default_configENS1_25partition_config_selectorILNS1_17partition_subalgoE6EyNS0_10empty_typeEbEEZZNS1_14partition_implILS5_6ELb0ES3_mN6thrust23THRUST_200600_302600_NS6detail15normal_iteratorINSA_10device_ptrIyEEEEPS6_SG_NS0_5tupleIJNSA_16discard_iteratorINSA_11use_defaultEEES6_EEENSH_IJSG_SG_EEES6_PlJNSB_9not_fun_tI7is_trueIyEEEEEE10hipError_tPvRmT3_T4_T5_T6_T7_T9_mT8_P12ihipStream_tbDpT10_ENKUlT_T0_E_clISt17integral_constantIbLb1EES1A_IbLb0EEEEDaS16_S17_EUlS16_E_NS1_11comp_targetILNS1_3genE2ELNS1_11target_archE906ELNS1_3gpuE6ELNS1_3repE0EEENS1_30default_config_static_selectorELNS0_4arch9wavefront6targetE0EEEvT1_.num_vgpr, 0
	.set _ZN7rocprim17ROCPRIM_400000_NS6detail17trampoline_kernelINS0_14default_configENS1_25partition_config_selectorILNS1_17partition_subalgoE6EyNS0_10empty_typeEbEEZZNS1_14partition_implILS5_6ELb0ES3_mN6thrust23THRUST_200600_302600_NS6detail15normal_iteratorINSA_10device_ptrIyEEEEPS6_SG_NS0_5tupleIJNSA_16discard_iteratorINSA_11use_defaultEEES6_EEENSH_IJSG_SG_EEES6_PlJNSB_9not_fun_tI7is_trueIyEEEEEE10hipError_tPvRmT3_T4_T5_T6_T7_T9_mT8_P12ihipStream_tbDpT10_ENKUlT_T0_E_clISt17integral_constantIbLb1EES1A_IbLb0EEEEDaS16_S17_EUlS16_E_NS1_11comp_targetILNS1_3genE2ELNS1_11target_archE906ELNS1_3gpuE6ELNS1_3repE0EEENS1_30default_config_static_selectorELNS0_4arch9wavefront6targetE0EEEvT1_.num_agpr, 0
	.set _ZN7rocprim17ROCPRIM_400000_NS6detail17trampoline_kernelINS0_14default_configENS1_25partition_config_selectorILNS1_17partition_subalgoE6EyNS0_10empty_typeEbEEZZNS1_14partition_implILS5_6ELb0ES3_mN6thrust23THRUST_200600_302600_NS6detail15normal_iteratorINSA_10device_ptrIyEEEEPS6_SG_NS0_5tupleIJNSA_16discard_iteratorINSA_11use_defaultEEES6_EEENSH_IJSG_SG_EEES6_PlJNSB_9not_fun_tI7is_trueIyEEEEEE10hipError_tPvRmT3_T4_T5_T6_T7_T9_mT8_P12ihipStream_tbDpT10_ENKUlT_T0_E_clISt17integral_constantIbLb1EES1A_IbLb0EEEEDaS16_S17_EUlS16_E_NS1_11comp_targetILNS1_3genE2ELNS1_11target_archE906ELNS1_3gpuE6ELNS1_3repE0EEENS1_30default_config_static_selectorELNS0_4arch9wavefront6targetE0EEEvT1_.numbered_sgpr, 0
	.set _ZN7rocprim17ROCPRIM_400000_NS6detail17trampoline_kernelINS0_14default_configENS1_25partition_config_selectorILNS1_17partition_subalgoE6EyNS0_10empty_typeEbEEZZNS1_14partition_implILS5_6ELb0ES3_mN6thrust23THRUST_200600_302600_NS6detail15normal_iteratorINSA_10device_ptrIyEEEEPS6_SG_NS0_5tupleIJNSA_16discard_iteratorINSA_11use_defaultEEES6_EEENSH_IJSG_SG_EEES6_PlJNSB_9not_fun_tI7is_trueIyEEEEEE10hipError_tPvRmT3_T4_T5_T6_T7_T9_mT8_P12ihipStream_tbDpT10_ENKUlT_T0_E_clISt17integral_constantIbLb1EES1A_IbLb0EEEEDaS16_S17_EUlS16_E_NS1_11comp_targetILNS1_3genE2ELNS1_11target_archE906ELNS1_3gpuE6ELNS1_3repE0EEENS1_30default_config_static_selectorELNS0_4arch9wavefront6targetE0EEEvT1_.num_named_barrier, 0
	.set _ZN7rocprim17ROCPRIM_400000_NS6detail17trampoline_kernelINS0_14default_configENS1_25partition_config_selectorILNS1_17partition_subalgoE6EyNS0_10empty_typeEbEEZZNS1_14partition_implILS5_6ELb0ES3_mN6thrust23THRUST_200600_302600_NS6detail15normal_iteratorINSA_10device_ptrIyEEEEPS6_SG_NS0_5tupleIJNSA_16discard_iteratorINSA_11use_defaultEEES6_EEENSH_IJSG_SG_EEES6_PlJNSB_9not_fun_tI7is_trueIyEEEEEE10hipError_tPvRmT3_T4_T5_T6_T7_T9_mT8_P12ihipStream_tbDpT10_ENKUlT_T0_E_clISt17integral_constantIbLb1EES1A_IbLb0EEEEDaS16_S17_EUlS16_E_NS1_11comp_targetILNS1_3genE2ELNS1_11target_archE906ELNS1_3gpuE6ELNS1_3repE0EEENS1_30default_config_static_selectorELNS0_4arch9wavefront6targetE0EEEvT1_.private_seg_size, 0
	.set _ZN7rocprim17ROCPRIM_400000_NS6detail17trampoline_kernelINS0_14default_configENS1_25partition_config_selectorILNS1_17partition_subalgoE6EyNS0_10empty_typeEbEEZZNS1_14partition_implILS5_6ELb0ES3_mN6thrust23THRUST_200600_302600_NS6detail15normal_iteratorINSA_10device_ptrIyEEEEPS6_SG_NS0_5tupleIJNSA_16discard_iteratorINSA_11use_defaultEEES6_EEENSH_IJSG_SG_EEES6_PlJNSB_9not_fun_tI7is_trueIyEEEEEE10hipError_tPvRmT3_T4_T5_T6_T7_T9_mT8_P12ihipStream_tbDpT10_ENKUlT_T0_E_clISt17integral_constantIbLb1EES1A_IbLb0EEEEDaS16_S17_EUlS16_E_NS1_11comp_targetILNS1_3genE2ELNS1_11target_archE906ELNS1_3gpuE6ELNS1_3repE0EEENS1_30default_config_static_selectorELNS0_4arch9wavefront6targetE0EEEvT1_.uses_vcc, 0
	.set _ZN7rocprim17ROCPRIM_400000_NS6detail17trampoline_kernelINS0_14default_configENS1_25partition_config_selectorILNS1_17partition_subalgoE6EyNS0_10empty_typeEbEEZZNS1_14partition_implILS5_6ELb0ES3_mN6thrust23THRUST_200600_302600_NS6detail15normal_iteratorINSA_10device_ptrIyEEEEPS6_SG_NS0_5tupleIJNSA_16discard_iteratorINSA_11use_defaultEEES6_EEENSH_IJSG_SG_EEES6_PlJNSB_9not_fun_tI7is_trueIyEEEEEE10hipError_tPvRmT3_T4_T5_T6_T7_T9_mT8_P12ihipStream_tbDpT10_ENKUlT_T0_E_clISt17integral_constantIbLb1EES1A_IbLb0EEEEDaS16_S17_EUlS16_E_NS1_11comp_targetILNS1_3genE2ELNS1_11target_archE906ELNS1_3gpuE6ELNS1_3repE0EEENS1_30default_config_static_selectorELNS0_4arch9wavefront6targetE0EEEvT1_.uses_flat_scratch, 0
	.set _ZN7rocprim17ROCPRIM_400000_NS6detail17trampoline_kernelINS0_14default_configENS1_25partition_config_selectorILNS1_17partition_subalgoE6EyNS0_10empty_typeEbEEZZNS1_14partition_implILS5_6ELb0ES3_mN6thrust23THRUST_200600_302600_NS6detail15normal_iteratorINSA_10device_ptrIyEEEEPS6_SG_NS0_5tupleIJNSA_16discard_iteratorINSA_11use_defaultEEES6_EEENSH_IJSG_SG_EEES6_PlJNSB_9not_fun_tI7is_trueIyEEEEEE10hipError_tPvRmT3_T4_T5_T6_T7_T9_mT8_P12ihipStream_tbDpT10_ENKUlT_T0_E_clISt17integral_constantIbLb1EES1A_IbLb0EEEEDaS16_S17_EUlS16_E_NS1_11comp_targetILNS1_3genE2ELNS1_11target_archE906ELNS1_3gpuE6ELNS1_3repE0EEENS1_30default_config_static_selectorELNS0_4arch9wavefront6targetE0EEEvT1_.has_dyn_sized_stack, 0
	.set _ZN7rocprim17ROCPRIM_400000_NS6detail17trampoline_kernelINS0_14default_configENS1_25partition_config_selectorILNS1_17partition_subalgoE6EyNS0_10empty_typeEbEEZZNS1_14partition_implILS5_6ELb0ES3_mN6thrust23THRUST_200600_302600_NS6detail15normal_iteratorINSA_10device_ptrIyEEEEPS6_SG_NS0_5tupleIJNSA_16discard_iteratorINSA_11use_defaultEEES6_EEENSH_IJSG_SG_EEES6_PlJNSB_9not_fun_tI7is_trueIyEEEEEE10hipError_tPvRmT3_T4_T5_T6_T7_T9_mT8_P12ihipStream_tbDpT10_ENKUlT_T0_E_clISt17integral_constantIbLb1EES1A_IbLb0EEEEDaS16_S17_EUlS16_E_NS1_11comp_targetILNS1_3genE2ELNS1_11target_archE906ELNS1_3gpuE6ELNS1_3repE0EEENS1_30default_config_static_selectorELNS0_4arch9wavefront6targetE0EEEvT1_.has_recursion, 0
	.set _ZN7rocprim17ROCPRIM_400000_NS6detail17trampoline_kernelINS0_14default_configENS1_25partition_config_selectorILNS1_17partition_subalgoE6EyNS0_10empty_typeEbEEZZNS1_14partition_implILS5_6ELb0ES3_mN6thrust23THRUST_200600_302600_NS6detail15normal_iteratorINSA_10device_ptrIyEEEEPS6_SG_NS0_5tupleIJNSA_16discard_iteratorINSA_11use_defaultEEES6_EEENSH_IJSG_SG_EEES6_PlJNSB_9not_fun_tI7is_trueIyEEEEEE10hipError_tPvRmT3_T4_T5_T6_T7_T9_mT8_P12ihipStream_tbDpT10_ENKUlT_T0_E_clISt17integral_constantIbLb1EES1A_IbLb0EEEEDaS16_S17_EUlS16_E_NS1_11comp_targetILNS1_3genE2ELNS1_11target_archE906ELNS1_3gpuE6ELNS1_3repE0EEENS1_30default_config_static_selectorELNS0_4arch9wavefront6targetE0EEEvT1_.has_indirect_call, 0
	.section	.AMDGPU.csdata,"",@progbits
; Kernel info:
; codeLenInByte = 0
; TotalNumSgprs: 0
; NumVgprs: 0
; ScratchSize: 0
; MemoryBound: 0
; FloatMode: 240
; IeeeMode: 1
; LDSByteSize: 0 bytes/workgroup (compile time only)
; SGPRBlocks: 0
; VGPRBlocks: 0
; NumSGPRsForWavesPerEU: 1
; NumVGPRsForWavesPerEU: 1
; Occupancy: 16
; WaveLimiterHint : 0
; COMPUTE_PGM_RSRC2:SCRATCH_EN: 0
; COMPUTE_PGM_RSRC2:USER_SGPR: 2
; COMPUTE_PGM_RSRC2:TRAP_HANDLER: 0
; COMPUTE_PGM_RSRC2:TGID_X_EN: 1
; COMPUTE_PGM_RSRC2:TGID_Y_EN: 0
; COMPUTE_PGM_RSRC2:TGID_Z_EN: 0
; COMPUTE_PGM_RSRC2:TIDIG_COMP_CNT: 0
	.section	.text._ZN7rocprim17ROCPRIM_400000_NS6detail17trampoline_kernelINS0_14default_configENS1_25partition_config_selectorILNS1_17partition_subalgoE6EyNS0_10empty_typeEbEEZZNS1_14partition_implILS5_6ELb0ES3_mN6thrust23THRUST_200600_302600_NS6detail15normal_iteratorINSA_10device_ptrIyEEEEPS6_SG_NS0_5tupleIJNSA_16discard_iteratorINSA_11use_defaultEEES6_EEENSH_IJSG_SG_EEES6_PlJNSB_9not_fun_tI7is_trueIyEEEEEE10hipError_tPvRmT3_T4_T5_T6_T7_T9_mT8_P12ihipStream_tbDpT10_ENKUlT_T0_E_clISt17integral_constantIbLb1EES1A_IbLb0EEEEDaS16_S17_EUlS16_E_NS1_11comp_targetILNS1_3genE10ELNS1_11target_archE1200ELNS1_3gpuE4ELNS1_3repE0EEENS1_30default_config_static_selectorELNS0_4arch9wavefront6targetE0EEEvT1_,"axG",@progbits,_ZN7rocprim17ROCPRIM_400000_NS6detail17trampoline_kernelINS0_14default_configENS1_25partition_config_selectorILNS1_17partition_subalgoE6EyNS0_10empty_typeEbEEZZNS1_14partition_implILS5_6ELb0ES3_mN6thrust23THRUST_200600_302600_NS6detail15normal_iteratorINSA_10device_ptrIyEEEEPS6_SG_NS0_5tupleIJNSA_16discard_iteratorINSA_11use_defaultEEES6_EEENSH_IJSG_SG_EEES6_PlJNSB_9not_fun_tI7is_trueIyEEEEEE10hipError_tPvRmT3_T4_T5_T6_T7_T9_mT8_P12ihipStream_tbDpT10_ENKUlT_T0_E_clISt17integral_constantIbLb1EES1A_IbLb0EEEEDaS16_S17_EUlS16_E_NS1_11comp_targetILNS1_3genE10ELNS1_11target_archE1200ELNS1_3gpuE4ELNS1_3repE0EEENS1_30default_config_static_selectorELNS0_4arch9wavefront6targetE0EEEvT1_,comdat
	.protected	_ZN7rocprim17ROCPRIM_400000_NS6detail17trampoline_kernelINS0_14default_configENS1_25partition_config_selectorILNS1_17partition_subalgoE6EyNS0_10empty_typeEbEEZZNS1_14partition_implILS5_6ELb0ES3_mN6thrust23THRUST_200600_302600_NS6detail15normal_iteratorINSA_10device_ptrIyEEEEPS6_SG_NS0_5tupleIJNSA_16discard_iteratorINSA_11use_defaultEEES6_EEENSH_IJSG_SG_EEES6_PlJNSB_9not_fun_tI7is_trueIyEEEEEE10hipError_tPvRmT3_T4_T5_T6_T7_T9_mT8_P12ihipStream_tbDpT10_ENKUlT_T0_E_clISt17integral_constantIbLb1EES1A_IbLb0EEEEDaS16_S17_EUlS16_E_NS1_11comp_targetILNS1_3genE10ELNS1_11target_archE1200ELNS1_3gpuE4ELNS1_3repE0EEENS1_30default_config_static_selectorELNS0_4arch9wavefront6targetE0EEEvT1_ ; -- Begin function _ZN7rocprim17ROCPRIM_400000_NS6detail17trampoline_kernelINS0_14default_configENS1_25partition_config_selectorILNS1_17partition_subalgoE6EyNS0_10empty_typeEbEEZZNS1_14partition_implILS5_6ELb0ES3_mN6thrust23THRUST_200600_302600_NS6detail15normal_iteratorINSA_10device_ptrIyEEEEPS6_SG_NS0_5tupleIJNSA_16discard_iteratorINSA_11use_defaultEEES6_EEENSH_IJSG_SG_EEES6_PlJNSB_9not_fun_tI7is_trueIyEEEEEE10hipError_tPvRmT3_T4_T5_T6_T7_T9_mT8_P12ihipStream_tbDpT10_ENKUlT_T0_E_clISt17integral_constantIbLb1EES1A_IbLb0EEEEDaS16_S17_EUlS16_E_NS1_11comp_targetILNS1_3genE10ELNS1_11target_archE1200ELNS1_3gpuE4ELNS1_3repE0EEENS1_30default_config_static_selectorELNS0_4arch9wavefront6targetE0EEEvT1_
	.globl	_ZN7rocprim17ROCPRIM_400000_NS6detail17trampoline_kernelINS0_14default_configENS1_25partition_config_selectorILNS1_17partition_subalgoE6EyNS0_10empty_typeEbEEZZNS1_14partition_implILS5_6ELb0ES3_mN6thrust23THRUST_200600_302600_NS6detail15normal_iteratorINSA_10device_ptrIyEEEEPS6_SG_NS0_5tupleIJNSA_16discard_iteratorINSA_11use_defaultEEES6_EEENSH_IJSG_SG_EEES6_PlJNSB_9not_fun_tI7is_trueIyEEEEEE10hipError_tPvRmT3_T4_T5_T6_T7_T9_mT8_P12ihipStream_tbDpT10_ENKUlT_T0_E_clISt17integral_constantIbLb1EES1A_IbLb0EEEEDaS16_S17_EUlS16_E_NS1_11comp_targetILNS1_3genE10ELNS1_11target_archE1200ELNS1_3gpuE4ELNS1_3repE0EEENS1_30default_config_static_selectorELNS0_4arch9wavefront6targetE0EEEvT1_
	.p2align	8
	.type	_ZN7rocprim17ROCPRIM_400000_NS6detail17trampoline_kernelINS0_14default_configENS1_25partition_config_selectorILNS1_17partition_subalgoE6EyNS0_10empty_typeEbEEZZNS1_14partition_implILS5_6ELb0ES3_mN6thrust23THRUST_200600_302600_NS6detail15normal_iteratorINSA_10device_ptrIyEEEEPS6_SG_NS0_5tupleIJNSA_16discard_iteratorINSA_11use_defaultEEES6_EEENSH_IJSG_SG_EEES6_PlJNSB_9not_fun_tI7is_trueIyEEEEEE10hipError_tPvRmT3_T4_T5_T6_T7_T9_mT8_P12ihipStream_tbDpT10_ENKUlT_T0_E_clISt17integral_constantIbLb1EES1A_IbLb0EEEEDaS16_S17_EUlS16_E_NS1_11comp_targetILNS1_3genE10ELNS1_11target_archE1200ELNS1_3gpuE4ELNS1_3repE0EEENS1_30default_config_static_selectorELNS0_4arch9wavefront6targetE0EEEvT1_,@function
_ZN7rocprim17ROCPRIM_400000_NS6detail17trampoline_kernelINS0_14default_configENS1_25partition_config_selectorILNS1_17partition_subalgoE6EyNS0_10empty_typeEbEEZZNS1_14partition_implILS5_6ELb0ES3_mN6thrust23THRUST_200600_302600_NS6detail15normal_iteratorINSA_10device_ptrIyEEEEPS6_SG_NS0_5tupleIJNSA_16discard_iteratorINSA_11use_defaultEEES6_EEENSH_IJSG_SG_EEES6_PlJNSB_9not_fun_tI7is_trueIyEEEEEE10hipError_tPvRmT3_T4_T5_T6_T7_T9_mT8_P12ihipStream_tbDpT10_ENKUlT_T0_E_clISt17integral_constantIbLb1EES1A_IbLb0EEEEDaS16_S17_EUlS16_E_NS1_11comp_targetILNS1_3genE10ELNS1_11target_archE1200ELNS1_3gpuE4ELNS1_3repE0EEENS1_30default_config_static_selectorELNS0_4arch9wavefront6targetE0EEEvT1_: ; @_ZN7rocprim17ROCPRIM_400000_NS6detail17trampoline_kernelINS0_14default_configENS1_25partition_config_selectorILNS1_17partition_subalgoE6EyNS0_10empty_typeEbEEZZNS1_14partition_implILS5_6ELb0ES3_mN6thrust23THRUST_200600_302600_NS6detail15normal_iteratorINSA_10device_ptrIyEEEEPS6_SG_NS0_5tupleIJNSA_16discard_iteratorINSA_11use_defaultEEES6_EEENSH_IJSG_SG_EEES6_PlJNSB_9not_fun_tI7is_trueIyEEEEEE10hipError_tPvRmT3_T4_T5_T6_T7_T9_mT8_P12ihipStream_tbDpT10_ENKUlT_T0_E_clISt17integral_constantIbLb1EES1A_IbLb0EEEEDaS16_S17_EUlS16_E_NS1_11comp_targetILNS1_3genE10ELNS1_11target_archE1200ELNS1_3gpuE4ELNS1_3repE0EEENS1_30default_config_static_selectorELNS0_4arch9wavefront6targetE0EEEvT1_
; %bb.0:
	s_endpgm
	.section	.rodata,"a",@progbits
	.p2align	6, 0x0
	.amdhsa_kernel _ZN7rocprim17ROCPRIM_400000_NS6detail17trampoline_kernelINS0_14default_configENS1_25partition_config_selectorILNS1_17partition_subalgoE6EyNS0_10empty_typeEbEEZZNS1_14partition_implILS5_6ELb0ES3_mN6thrust23THRUST_200600_302600_NS6detail15normal_iteratorINSA_10device_ptrIyEEEEPS6_SG_NS0_5tupleIJNSA_16discard_iteratorINSA_11use_defaultEEES6_EEENSH_IJSG_SG_EEES6_PlJNSB_9not_fun_tI7is_trueIyEEEEEE10hipError_tPvRmT3_T4_T5_T6_T7_T9_mT8_P12ihipStream_tbDpT10_ENKUlT_T0_E_clISt17integral_constantIbLb1EES1A_IbLb0EEEEDaS16_S17_EUlS16_E_NS1_11comp_targetILNS1_3genE10ELNS1_11target_archE1200ELNS1_3gpuE4ELNS1_3repE0EEENS1_30default_config_static_selectorELNS0_4arch9wavefront6targetE0EEEvT1_
		.amdhsa_group_segment_fixed_size 0
		.amdhsa_private_segment_fixed_size 0
		.amdhsa_kernarg_size 120
		.amdhsa_user_sgpr_count 2
		.amdhsa_user_sgpr_dispatch_ptr 0
		.amdhsa_user_sgpr_queue_ptr 0
		.amdhsa_user_sgpr_kernarg_segment_ptr 1
		.amdhsa_user_sgpr_dispatch_id 0
		.amdhsa_user_sgpr_private_segment_size 0
		.amdhsa_wavefront_size32 1
		.amdhsa_uses_dynamic_stack 0
		.amdhsa_enable_private_segment 0
		.amdhsa_system_sgpr_workgroup_id_x 1
		.amdhsa_system_sgpr_workgroup_id_y 0
		.amdhsa_system_sgpr_workgroup_id_z 0
		.amdhsa_system_sgpr_workgroup_info 0
		.amdhsa_system_vgpr_workitem_id 0
		.amdhsa_next_free_vgpr 1
		.amdhsa_next_free_sgpr 1
		.amdhsa_reserve_vcc 0
		.amdhsa_float_round_mode_32 0
		.amdhsa_float_round_mode_16_64 0
		.amdhsa_float_denorm_mode_32 3
		.amdhsa_float_denorm_mode_16_64 3
		.amdhsa_fp16_overflow 0
		.amdhsa_workgroup_processor_mode 1
		.amdhsa_memory_ordered 1
		.amdhsa_forward_progress 1
		.amdhsa_inst_pref_size 1
		.amdhsa_round_robin_scheduling 0
		.amdhsa_exception_fp_ieee_invalid_op 0
		.amdhsa_exception_fp_denorm_src 0
		.amdhsa_exception_fp_ieee_div_zero 0
		.amdhsa_exception_fp_ieee_overflow 0
		.amdhsa_exception_fp_ieee_underflow 0
		.amdhsa_exception_fp_ieee_inexact 0
		.amdhsa_exception_int_div_zero 0
	.end_amdhsa_kernel
	.section	.text._ZN7rocprim17ROCPRIM_400000_NS6detail17trampoline_kernelINS0_14default_configENS1_25partition_config_selectorILNS1_17partition_subalgoE6EyNS0_10empty_typeEbEEZZNS1_14partition_implILS5_6ELb0ES3_mN6thrust23THRUST_200600_302600_NS6detail15normal_iteratorINSA_10device_ptrIyEEEEPS6_SG_NS0_5tupleIJNSA_16discard_iteratorINSA_11use_defaultEEES6_EEENSH_IJSG_SG_EEES6_PlJNSB_9not_fun_tI7is_trueIyEEEEEE10hipError_tPvRmT3_T4_T5_T6_T7_T9_mT8_P12ihipStream_tbDpT10_ENKUlT_T0_E_clISt17integral_constantIbLb1EES1A_IbLb0EEEEDaS16_S17_EUlS16_E_NS1_11comp_targetILNS1_3genE10ELNS1_11target_archE1200ELNS1_3gpuE4ELNS1_3repE0EEENS1_30default_config_static_selectorELNS0_4arch9wavefront6targetE0EEEvT1_,"axG",@progbits,_ZN7rocprim17ROCPRIM_400000_NS6detail17trampoline_kernelINS0_14default_configENS1_25partition_config_selectorILNS1_17partition_subalgoE6EyNS0_10empty_typeEbEEZZNS1_14partition_implILS5_6ELb0ES3_mN6thrust23THRUST_200600_302600_NS6detail15normal_iteratorINSA_10device_ptrIyEEEEPS6_SG_NS0_5tupleIJNSA_16discard_iteratorINSA_11use_defaultEEES6_EEENSH_IJSG_SG_EEES6_PlJNSB_9not_fun_tI7is_trueIyEEEEEE10hipError_tPvRmT3_T4_T5_T6_T7_T9_mT8_P12ihipStream_tbDpT10_ENKUlT_T0_E_clISt17integral_constantIbLb1EES1A_IbLb0EEEEDaS16_S17_EUlS16_E_NS1_11comp_targetILNS1_3genE10ELNS1_11target_archE1200ELNS1_3gpuE4ELNS1_3repE0EEENS1_30default_config_static_selectorELNS0_4arch9wavefront6targetE0EEEvT1_,comdat
.Lfunc_end2162:
	.size	_ZN7rocprim17ROCPRIM_400000_NS6detail17trampoline_kernelINS0_14default_configENS1_25partition_config_selectorILNS1_17partition_subalgoE6EyNS0_10empty_typeEbEEZZNS1_14partition_implILS5_6ELb0ES3_mN6thrust23THRUST_200600_302600_NS6detail15normal_iteratorINSA_10device_ptrIyEEEEPS6_SG_NS0_5tupleIJNSA_16discard_iteratorINSA_11use_defaultEEES6_EEENSH_IJSG_SG_EEES6_PlJNSB_9not_fun_tI7is_trueIyEEEEEE10hipError_tPvRmT3_T4_T5_T6_T7_T9_mT8_P12ihipStream_tbDpT10_ENKUlT_T0_E_clISt17integral_constantIbLb1EES1A_IbLb0EEEEDaS16_S17_EUlS16_E_NS1_11comp_targetILNS1_3genE10ELNS1_11target_archE1200ELNS1_3gpuE4ELNS1_3repE0EEENS1_30default_config_static_selectorELNS0_4arch9wavefront6targetE0EEEvT1_, .Lfunc_end2162-_ZN7rocprim17ROCPRIM_400000_NS6detail17trampoline_kernelINS0_14default_configENS1_25partition_config_selectorILNS1_17partition_subalgoE6EyNS0_10empty_typeEbEEZZNS1_14partition_implILS5_6ELb0ES3_mN6thrust23THRUST_200600_302600_NS6detail15normal_iteratorINSA_10device_ptrIyEEEEPS6_SG_NS0_5tupleIJNSA_16discard_iteratorINSA_11use_defaultEEES6_EEENSH_IJSG_SG_EEES6_PlJNSB_9not_fun_tI7is_trueIyEEEEEE10hipError_tPvRmT3_T4_T5_T6_T7_T9_mT8_P12ihipStream_tbDpT10_ENKUlT_T0_E_clISt17integral_constantIbLb1EES1A_IbLb0EEEEDaS16_S17_EUlS16_E_NS1_11comp_targetILNS1_3genE10ELNS1_11target_archE1200ELNS1_3gpuE4ELNS1_3repE0EEENS1_30default_config_static_selectorELNS0_4arch9wavefront6targetE0EEEvT1_
                                        ; -- End function
	.set _ZN7rocprim17ROCPRIM_400000_NS6detail17trampoline_kernelINS0_14default_configENS1_25partition_config_selectorILNS1_17partition_subalgoE6EyNS0_10empty_typeEbEEZZNS1_14partition_implILS5_6ELb0ES3_mN6thrust23THRUST_200600_302600_NS6detail15normal_iteratorINSA_10device_ptrIyEEEEPS6_SG_NS0_5tupleIJNSA_16discard_iteratorINSA_11use_defaultEEES6_EEENSH_IJSG_SG_EEES6_PlJNSB_9not_fun_tI7is_trueIyEEEEEE10hipError_tPvRmT3_T4_T5_T6_T7_T9_mT8_P12ihipStream_tbDpT10_ENKUlT_T0_E_clISt17integral_constantIbLb1EES1A_IbLb0EEEEDaS16_S17_EUlS16_E_NS1_11comp_targetILNS1_3genE10ELNS1_11target_archE1200ELNS1_3gpuE4ELNS1_3repE0EEENS1_30default_config_static_selectorELNS0_4arch9wavefront6targetE0EEEvT1_.num_vgpr, 0
	.set _ZN7rocprim17ROCPRIM_400000_NS6detail17trampoline_kernelINS0_14default_configENS1_25partition_config_selectorILNS1_17partition_subalgoE6EyNS0_10empty_typeEbEEZZNS1_14partition_implILS5_6ELb0ES3_mN6thrust23THRUST_200600_302600_NS6detail15normal_iteratorINSA_10device_ptrIyEEEEPS6_SG_NS0_5tupleIJNSA_16discard_iteratorINSA_11use_defaultEEES6_EEENSH_IJSG_SG_EEES6_PlJNSB_9not_fun_tI7is_trueIyEEEEEE10hipError_tPvRmT3_T4_T5_T6_T7_T9_mT8_P12ihipStream_tbDpT10_ENKUlT_T0_E_clISt17integral_constantIbLb1EES1A_IbLb0EEEEDaS16_S17_EUlS16_E_NS1_11comp_targetILNS1_3genE10ELNS1_11target_archE1200ELNS1_3gpuE4ELNS1_3repE0EEENS1_30default_config_static_selectorELNS0_4arch9wavefront6targetE0EEEvT1_.num_agpr, 0
	.set _ZN7rocprim17ROCPRIM_400000_NS6detail17trampoline_kernelINS0_14default_configENS1_25partition_config_selectorILNS1_17partition_subalgoE6EyNS0_10empty_typeEbEEZZNS1_14partition_implILS5_6ELb0ES3_mN6thrust23THRUST_200600_302600_NS6detail15normal_iteratorINSA_10device_ptrIyEEEEPS6_SG_NS0_5tupleIJNSA_16discard_iteratorINSA_11use_defaultEEES6_EEENSH_IJSG_SG_EEES6_PlJNSB_9not_fun_tI7is_trueIyEEEEEE10hipError_tPvRmT3_T4_T5_T6_T7_T9_mT8_P12ihipStream_tbDpT10_ENKUlT_T0_E_clISt17integral_constantIbLb1EES1A_IbLb0EEEEDaS16_S17_EUlS16_E_NS1_11comp_targetILNS1_3genE10ELNS1_11target_archE1200ELNS1_3gpuE4ELNS1_3repE0EEENS1_30default_config_static_selectorELNS0_4arch9wavefront6targetE0EEEvT1_.numbered_sgpr, 0
	.set _ZN7rocprim17ROCPRIM_400000_NS6detail17trampoline_kernelINS0_14default_configENS1_25partition_config_selectorILNS1_17partition_subalgoE6EyNS0_10empty_typeEbEEZZNS1_14partition_implILS5_6ELb0ES3_mN6thrust23THRUST_200600_302600_NS6detail15normal_iteratorINSA_10device_ptrIyEEEEPS6_SG_NS0_5tupleIJNSA_16discard_iteratorINSA_11use_defaultEEES6_EEENSH_IJSG_SG_EEES6_PlJNSB_9not_fun_tI7is_trueIyEEEEEE10hipError_tPvRmT3_T4_T5_T6_T7_T9_mT8_P12ihipStream_tbDpT10_ENKUlT_T0_E_clISt17integral_constantIbLb1EES1A_IbLb0EEEEDaS16_S17_EUlS16_E_NS1_11comp_targetILNS1_3genE10ELNS1_11target_archE1200ELNS1_3gpuE4ELNS1_3repE0EEENS1_30default_config_static_selectorELNS0_4arch9wavefront6targetE0EEEvT1_.num_named_barrier, 0
	.set _ZN7rocprim17ROCPRIM_400000_NS6detail17trampoline_kernelINS0_14default_configENS1_25partition_config_selectorILNS1_17partition_subalgoE6EyNS0_10empty_typeEbEEZZNS1_14partition_implILS5_6ELb0ES3_mN6thrust23THRUST_200600_302600_NS6detail15normal_iteratorINSA_10device_ptrIyEEEEPS6_SG_NS0_5tupleIJNSA_16discard_iteratorINSA_11use_defaultEEES6_EEENSH_IJSG_SG_EEES6_PlJNSB_9not_fun_tI7is_trueIyEEEEEE10hipError_tPvRmT3_T4_T5_T6_T7_T9_mT8_P12ihipStream_tbDpT10_ENKUlT_T0_E_clISt17integral_constantIbLb1EES1A_IbLb0EEEEDaS16_S17_EUlS16_E_NS1_11comp_targetILNS1_3genE10ELNS1_11target_archE1200ELNS1_3gpuE4ELNS1_3repE0EEENS1_30default_config_static_selectorELNS0_4arch9wavefront6targetE0EEEvT1_.private_seg_size, 0
	.set _ZN7rocprim17ROCPRIM_400000_NS6detail17trampoline_kernelINS0_14default_configENS1_25partition_config_selectorILNS1_17partition_subalgoE6EyNS0_10empty_typeEbEEZZNS1_14partition_implILS5_6ELb0ES3_mN6thrust23THRUST_200600_302600_NS6detail15normal_iteratorINSA_10device_ptrIyEEEEPS6_SG_NS0_5tupleIJNSA_16discard_iteratorINSA_11use_defaultEEES6_EEENSH_IJSG_SG_EEES6_PlJNSB_9not_fun_tI7is_trueIyEEEEEE10hipError_tPvRmT3_T4_T5_T6_T7_T9_mT8_P12ihipStream_tbDpT10_ENKUlT_T0_E_clISt17integral_constantIbLb1EES1A_IbLb0EEEEDaS16_S17_EUlS16_E_NS1_11comp_targetILNS1_3genE10ELNS1_11target_archE1200ELNS1_3gpuE4ELNS1_3repE0EEENS1_30default_config_static_selectorELNS0_4arch9wavefront6targetE0EEEvT1_.uses_vcc, 0
	.set _ZN7rocprim17ROCPRIM_400000_NS6detail17trampoline_kernelINS0_14default_configENS1_25partition_config_selectorILNS1_17partition_subalgoE6EyNS0_10empty_typeEbEEZZNS1_14partition_implILS5_6ELb0ES3_mN6thrust23THRUST_200600_302600_NS6detail15normal_iteratorINSA_10device_ptrIyEEEEPS6_SG_NS0_5tupleIJNSA_16discard_iteratorINSA_11use_defaultEEES6_EEENSH_IJSG_SG_EEES6_PlJNSB_9not_fun_tI7is_trueIyEEEEEE10hipError_tPvRmT3_T4_T5_T6_T7_T9_mT8_P12ihipStream_tbDpT10_ENKUlT_T0_E_clISt17integral_constantIbLb1EES1A_IbLb0EEEEDaS16_S17_EUlS16_E_NS1_11comp_targetILNS1_3genE10ELNS1_11target_archE1200ELNS1_3gpuE4ELNS1_3repE0EEENS1_30default_config_static_selectorELNS0_4arch9wavefront6targetE0EEEvT1_.uses_flat_scratch, 0
	.set _ZN7rocprim17ROCPRIM_400000_NS6detail17trampoline_kernelINS0_14default_configENS1_25partition_config_selectorILNS1_17partition_subalgoE6EyNS0_10empty_typeEbEEZZNS1_14partition_implILS5_6ELb0ES3_mN6thrust23THRUST_200600_302600_NS6detail15normal_iteratorINSA_10device_ptrIyEEEEPS6_SG_NS0_5tupleIJNSA_16discard_iteratorINSA_11use_defaultEEES6_EEENSH_IJSG_SG_EEES6_PlJNSB_9not_fun_tI7is_trueIyEEEEEE10hipError_tPvRmT3_T4_T5_T6_T7_T9_mT8_P12ihipStream_tbDpT10_ENKUlT_T0_E_clISt17integral_constantIbLb1EES1A_IbLb0EEEEDaS16_S17_EUlS16_E_NS1_11comp_targetILNS1_3genE10ELNS1_11target_archE1200ELNS1_3gpuE4ELNS1_3repE0EEENS1_30default_config_static_selectorELNS0_4arch9wavefront6targetE0EEEvT1_.has_dyn_sized_stack, 0
	.set _ZN7rocprim17ROCPRIM_400000_NS6detail17trampoline_kernelINS0_14default_configENS1_25partition_config_selectorILNS1_17partition_subalgoE6EyNS0_10empty_typeEbEEZZNS1_14partition_implILS5_6ELb0ES3_mN6thrust23THRUST_200600_302600_NS6detail15normal_iteratorINSA_10device_ptrIyEEEEPS6_SG_NS0_5tupleIJNSA_16discard_iteratorINSA_11use_defaultEEES6_EEENSH_IJSG_SG_EEES6_PlJNSB_9not_fun_tI7is_trueIyEEEEEE10hipError_tPvRmT3_T4_T5_T6_T7_T9_mT8_P12ihipStream_tbDpT10_ENKUlT_T0_E_clISt17integral_constantIbLb1EES1A_IbLb0EEEEDaS16_S17_EUlS16_E_NS1_11comp_targetILNS1_3genE10ELNS1_11target_archE1200ELNS1_3gpuE4ELNS1_3repE0EEENS1_30default_config_static_selectorELNS0_4arch9wavefront6targetE0EEEvT1_.has_recursion, 0
	.set _ZN7rocprim17ROCPRIM_400000_NS6detail17trampoline_kernelINS0_14default_configENS1_25partition_config_selectorILNS1_17partition_subalgoE6EyNS0_10empty_typeEbEEZZNS1_14partition_implILS5_6ELb0ES3_mN6thrust23THRUST_200600_302600_NS6detail15normal_iteratorINSA_10device_ptrIyEEEEPS6_SG_NS0_5tupleIJNSA_16discard_iteratorINSA_11use_defaultEEES6_EEENSH_IJSG_SG_EEES6_PlJNSB_9not_fun_tI7is_trueIyEEEEEE10hipError_tPvRmT3_T4_T5_T6_T7_T9_mT8_P12ihipStream_tbDpT10_ENKUlT_T0_E_clISt17integral_constantIbLb1EES1A_IbLb0EEEEDaS16_S17_EUlS16_E_NS1_11comp_targetILNS1_3genE10ELNS1_11target_archE1200ELNS1_3gpuE4ELNS1_3repE0EEENS1_30default_config_static_selectorELNS0_4arch9wavefront6targetE0EEEvT1_.has_indirect_call, 0
	.section	.AMDGPU.csdata,"",@progbits
; Kernel info:
; codeLenInByte = 4
; TotalNumSgprs: 0
; NumVgprs: 0
; ScratchSize: 0
; MemoryBound: 0
; FloatMode: 240
; IeeeMode: 1
; LDSByteSize: 0 bytes/workgroup (compile time only)
; SGPRBlocks: 0
; VGPRBlocks: 0
; NumSGPRsForWavesPerEU: 1
; NumVGPRsForWavesPerEU: 1
; Occupancy: 16
; WaveLimiterHint : 0
; COMPUTE_PGM_RSRC2:SCRATCH_EN: 0
; COMPUTE_PGM_RSRC2:USER_SGPR: 2
; COMPUTE_PGM_RSRC2:TRAP_HANDLER: 0
; COMPUTE_PGM_RSRC2:TGID_X_EN: 1
; COMPUTE_PGM_RSRC2:TGID_Y_EN: 0
; COMPUTE_PGM_RSRC2:TGID_Z_EN: 0
; COMPUTE_PGM_RSRC2:TIDIG_COMP_CNT: 0
	.section	.text._ZN7rocprim17ROCPRIM_400000_NS6detail17trampoline_kernelINS0_14default_configENS1_25partition_config_selectorILNS1_17partition_subalgoE6EyNS0_10empty_typeEbEEZZNS1_14partition_implILS5_6ELb0ES3_mN6thrust23THRUST_200600_302600_NS6detail15normal_iteratorINSA_10device_ptrIyEEEEPS6_SG_NS0_5tupleIJNSA_16discard_iteratorINSA_11use_defaultEEES6_EEENSH_IJSG_SG_EEES6_PlJNSB_9not_fun_tI7is_trueIyEEEEEE10hipError_tPvRmT3_T4_T5_T6_T7_T9_mT8_P12ihipStream_tbDpT10_ENKUlT_T0_E_clISt17integral_constantIbLb1EES1A_IbLb0EEEEDaS16_S17_EUlS16_E_NS1_11comp_targetILNS1_3genE9ELNS1_11target_archE1100ELNS1_3gpuE3ELNS1_3repE0EEENS1_30default_config_static_selectorELNS0_4arch9wavefront6targetE0EEEvT1_,"axG",@progbits,_ZN7rocprim17ROCPRIM_400000_NS6detail17trampoline_kernelINS0_14default_configENS1_25partition_config_selectorILNS1_17partition_subalgoE6EyNS0_10empty_typeEbEEZZNS1_14partition_implILS5_6ELb0ES3_mN6thrust23THRUST_200600_302600_NS6detail15normal_iteratorINSA_10device_ptrIyEEEEPS6_SG_NS0_5tupleIJNSA_16discard_iteratorINSA_11use_defaultEEES6_EEENSH_IJSG_SG_EEES6_PlJNSB_9not_fun_tI7is_trueIyEEEEEE10hipError_tPvRmT3_T4_T5_T6_T7_T9_mT8_P12ihipStream_tbDpT10_ENKUlT_T0_E_clISt17integral_constantIbLb1EES1A_IbLb0EEEEDaS16_S17_EUlS16_E_NS1_11comp_targetILNS1_3genE9ELNS1_11target_archE1100ELNS1_3gpuE3ELNS1_3repE0EEENS1_30default_config_static_selectorELNS0_4arch9wavefront6targetE0EEEvT1_,comdat
	.protected	_ZN7rocprim17ROCPRIM_400000_NS6detail17trampoline_kernelINS0_14default_configENS1_25partition_config_selectorILNS1_17partition_subalgoE6EyNS0_10empty_typeEbEEZZNS1_14partition_implILS5_6ELb0ES3_mN6thrust23THRUST_200600_302600_NS6detail15normal_iteratorINSA_10device_ptrIyEEEEPS6_SG_NS0_5tupleIJNSA_16discard_iteratorINSA_11use_defaultEEES6_EEENSH_IJSG_SG_EEES6_PlJNSB_9not_fun_tI7is_trueIyEEEEEE10hipError_tPvRmT3_T4_T5_T6_T7_T9_mT8_P12ihipStream_tbDpT10_ENKUlT_T0_E_clISt17integral_constantIbLb1EES1A_IbLb0EEEEDaS16_S17_EUlS16_E_NS1_11comp_targetILNS1_3genE9ELNS1_11target_archE1100ELNS1_3gpuE3ELNS1_3repE0EEENS1_30default_config_static_selectorELNS0_4arch9wavefront6targetE0EEEvT1_ ; -- Begin function _ZN7rocprim17ROCPRIM_400000_NS6detail17trampoline_kernelINS0_14default_configENS1_25partition_config_selectorILNS1_17partition_subalgoE6EyNS0_10empty_typeEbEEZZNS1_14partition_implILS5_6ELb0ES3_mN6thrust23THRUST_200600_302600_NS6detail15normal_iteratorINSA_10device_ptrIyEEEEPS6_SG_NS0_5tupleIJNSA_16discard_iteratorINSA_11use_defaultEEES6_EEENSH_IJSG_SG_EEES6_PlJNSB_9not_fun_tI7is_trueIyEEEEEE10hipError_tPvRmT3_T4_T5_T6_T7_T9_mT8_P12ihipStream_tbDpT10_ENKUlT_T0_E_clISt17integral_constantIbLb1EES1A_IbLb0EEEEDaS16_S17_EUlS16_E_NS1_11comp_targetILNS1_3genE9ELNS1_11target_archE1100ELNS1_3gpuE3ELNS1_3repE0EEENS1_30default_config_static_selectorELNS0_4arch9wavefront6targetE0EEEvT1_
	.globl	_ZN7rocprim17ROCPRIM_400000_NS6detail17trampoline_kernelINS0_14default_configENS1_25partition_config_selectorILNS1_17partition_subalgoE6EyNS0_10empty_typeEbEEZZNS1_14partition_implILS5_6ELb0ES3_mN6thrust23THRUST_200600_302600_NS6detail15normal_iteratorINSA_10device_ptrIyEEEEPS6_SG_NS0_5tupleIJNSA_16discard_iteratorINSA_11use_defaultEEES6_EEENSH_IJSG_SG_EEES6_PlJNSB_9not_fun_tI7is_trueIyEEEEEE10hipError_tPvRmT3_T4_T5_T6_T7_T9_mT8_P12ihipStream_tbDpT10_ENKUlT_T0_E_clISt17integral_constantIbLb1EES1A_IbLb0EEEEDaS16_S17_EUlS16_E_NS1_11comp_targetILNS1_3genE9ELNS1_11target_archE1100ELNS1_3gpuE3ELNS1_3repE0EEENS1_30default_config_static_selectorELNS0_4arch9wavefront6targetE0EEEvT1_
	.p2align	8
	.type	_ZN7rocprim17ROCPRIM_400000_NS6detail17trampoline_kernelINS0_14default_configENS1_25partition_config_selectorILNS1_17partition_subalgoE6EyNS0_10empty_typeEbEEZZNS1_14partition_implILS5_6ELb0ES3_mN6thrust23THRUST_200600_302600_NS6detail15normal_iteratorINSA_10device_ptrIyEEEEPS6_SG_NS0_5tupleIJNSA_16discard_iteratorINSA_11use_defaultEEES6_EEENSH_IJSG_SG_EEES6_PlJNSB_9not_fun_tI7is_trueIyEEEEEE10hipError_tPvRmT3_T4_T5_T6_T7_T9_mT8_P12ihipStream_tbDpT10_ENKUlT_T0_E_clISt17integral_constantIbLb1EES1A_IbLb0EEEEDaS16_S17_EUlS16_E_NS1_11comp_targetILNS1_3genE9ELNS1_11target_archE1100ELNS1_3gpuE3ELNS1_3repE0EEENS1_30default_config_static_selectorELNS0_4arch9wavefront6targetE0EEEvT1_,@function
_ZN7rocprim17ROCPRIM_400000_NS6detail17trampoline_kernelINS0_14default_configENS1_25partition_config_selectorILNS1_17partition_subalgoE6EyNS0_10empty_typeEbEEZZNS1_14partition_implILS5_6ELb0ES3_mN6thrust23THRUST_200600_302600_NS6detail15normal_iteratorINSA_10device_ptrIyEEEEPS6_SG_NS0_5tupleIJNSA_16discard_iteratorINSA_11use_defaultEEES6_EEENSH_IJSG_SG_EEES6_PlJNSB_9not_fun_tI7is_trueIyEEEEEE10hipError_tPvRmT3_T4_T5_T6_T7_T9_mT8_P12ihipStream_tbDpT10_ENKUlT_T0_E_clISt17integral_constantIbLb1EES1A_IbLb0EEEEDaS16_S17_EUlS16_E_NS1_11comp_targetILNS1_3genE9ELNS1_11target_archE1100ELNS1_3gpuE3ELNS1_3repE0EEENS1_30default_config_static_selectorELNS0_4arch9wavefront6targetE0EEEvT1_: ; @_ZN7rocprim17ROCPRIM_400000_NS6detail17trampoline_kernelINS0_14default_configENS1_25partition_config_selectorILNS1_17partition_subalgoE6EyNS0_10empty_typeEbEEZZNS1_14partition_implILS5_6ELb0ES3_mN6thrust23THRUST_200600_302600_NS6detail15normal_iteratorINSA_10device_ptrIyEEEEPS6_SG_NS0_5tupleIJNSA_16discard_iteratorINSA_11use_defaultEEES6_EEENSH_IJSG_SG_EEES6_PlJNSB_9not_fun_tI7is_trueIyEEEEEE10hipError_tPvRmT3_T4_T5_T6_T7_T9_mT8_P12ihipStream_tbDpT10_ENKUlT_T0_E_clISt17integral_constantIbLb1EES1A_IbLb0EEEEDaS16_S17_EUlS16_E_NS1_11comp_targetILNS1_3genE9ELNS1_11target_archE1100ELNS1_3gpuE3ELNS1_3repE0EEENS1_30default_config_static_selectorELNS0_4arch9wavefront6targetE0EEEvT1_
; %bb.0:
	.section	.rodata,"a",@progbits
	.p2align	6, 0x0
	.amdhsa_kernel _ZN7rocprim17ROCPRIM_400000_NS6detail17trampoline_kernelINS0_14default_configENS1_25partition_config_selectorILNS1_17partition_subalgoE6EyNS0_10empty_typeEbEEZZNS1_14partition_implILS5_6ELb0ES3_mN6thrust23THRUST_200600_302600_NS6detail15normal_iteratorINSA_10device_ptrIyEEEEPS6_SG_NS0_5tupleIJNSA_16discard_iteratorINSA_11use_defaultEEES6_EEENSH_IJSG_SG_EEES6_PlJNSB_9not_fun_tI7is_trueIyEEEEEE10hipError_tPvRmT3_T4_T5_T6_T7_T9_mT8_P12ihipStream_tbDpT10_ENKUlT_T0_E_clISt17integral_constantIbLb1EES1A_IbLb0EEEEDaS16_S17_EUlS16_E_NS1_11comp_targetILNS1_3genE9ELNS1_11target_archE1100ELNS1_3gpuE3ELNS1_3repE0EEENS1_30default_config_static_selectorELNS0_4arch9wavefront6targetE0EEEvT1_
		.amdhsa_group_segment_fixed_size 0
		.amdhsa_private_segment_fixed_size 0
		.amdhsa_kernarg_size 120
		.amdhsa_user_sgpr_count 2
		.amdhsa_user_sgpr_dispatch_ptr 0
		.amdhsa_user_sgpr_queue_ptr 0
		.amdhsa_user_sgpr_kernarg_segment_ptr 1
		.amdhsa_user_sgpr_dispatch_id 0
		.amdhsa_user_sgpr_private_segment_size 0
		.amdhsa_wavefront_size32 1
		.amdhsa_uses_dynamic_stack 0
		.amdhsa_enable_private_segment 0
		.amdhsa_system_sgpr_workgroup_id_x 1
		.amdhsa_system_sgpr_workgroup_id_y 0
		.amdhsa_system_sgpr_workgroup_id_z 0
		.amdhsa_system_sgpr_workgroup_info 0
		.amdhsa_system_vgpr_workitem_id 0
		.amdhsa_next_free_vgpr 1
		.amdhsa_next_free_sgpr 1
		.amdhsa_reserve_vcc 0
		.amdhsa_float_round_mode_32 0
		.amdhsa_float_round_mode_16_64 0
		.amdhsa_float_denorm_mode_32 3
		.amdhsa_float_denorm_mode_16_64 3
		.amdhsa_fp16_overflow 0
		.amdhsa_workgroup_processor_mode 1
		.amdhsa_memory_ordered 1
		.amdhsa_forward_progress 1
		.amdhsa_inst_pref_size 0
		.amdhsa_round_robin_scheduling 0
		.amdhsa_exception_fp_ieee_invalid_op 0
		.amdhsa_exception_fp_denorm_src 0
		.amdhsa_exception_fp_ieee_div_zero 0
		.amdhsa_exception_fp_ieee_overflow 0
		.amdhsa_exception_fp_ieee_underflow 0
		.amdhsa_exception_fp_ieee_inexact 0
		.amdhsa_exception_int_div_zero 0
	.end_amdhsa_kernel
	.section	.text._ZN7rocprim17ROCPRIM_400000_NS6detail17trampoline_kernelINS0_14default_configENS1_25partition_config_selectorILNS1_17partition_subalgoE6EyNS0_10empty_typeEbEEZZNS1_14partition_implILS5_6ELb0ES3_mN6thrust23THRUST_200600_302600_NS6detail15normal_iteratorINSA_10device_ptrIyEEEEPS6_SG_NS0_5tupleIJNSA_16discard_iteratorINSA_11use_defaultEEES6_EEENSH_IJSG_SG_EEES6_PlJNSB_9not_fun_tI7is_trueIyEEEEEE10hipError_tPvRmT3_T4_T5_T6_T7_T9_mT8_P12ihipStream_tbDpT10_ENKUlT_T0_E_clISt17integral_constantIbLb1EES1A_IbLb0EEEEDaS16_S17_EUlS16_E_NS1_11comp_targetILNS1_3genE9ELNS1_11target_archE1100ELNS1_3gpuE3ELNS1_3repE0EEENS1_30default_config_static_selectorELNS0_4arch9wavefront6targetE0EEEvT1_,"axG",@progbits,_ZN7rocprim17ROCPRIM_400000_NS6detail17trampoline_kernelINS0_14default_configENS1_25partition_config_selectorILNS1_17partition_subalgoE6EyNS0_10empty_typeEbEEZZNS1_14partition_implILS5_6ELb0ES3_mN6thrust23THRUST_200600_302600_NS6detail15normal_iteratorINSA_10device_ptrIyEEEEPS6_SG_NS0_5tupleIJNSA_16discard_iteratorINSA_11use_defaultEEES6_EEENSH_IJSG_SG_EEES6_PlJNSB_9not_fun_tI7is_trueIyEEEEEE10hipError_tPvRmT3_T4_T5_T6_T7_T9_mT8_P12ihipStream_tbDpT10_ENKUlT_T0_E_clISt17integral_constantIbLb1EES1A_IbLb0EEEEDaS16_S17_EUlS16_E_NS1_11comp_targetILNS1_3genE9ELNS1_11target_archE1100ELNS1_3gpuE3ELNS1_3repE0EEENS1_30default_config_static_selectorELNS0_4arch9wavefront6targetE0EEEvT1_,comdat
.Lfunc_end2163:
	.size	_ZN7rocprim17ROCPRIM_400000_NS6detail17trampoline_kernelINS0_14default_configENS1_25partition_config_selectorILNS1_17partition_subalgoE6EyNS0_10empty_typeEbEEZZNS1_14partition_implILS5_6ELb0ES3_mN6thrust23THRUST_200600_302600_NS6detail15normal_iteratorINSA_10device_ptrIyEEEEPS6_SG_NS0_5tupleIJNSA_16discard_iteratorINSA_11use_defaultEEES6_EEENSH_IJSG_SG_EEES6_PlJNSB_9not_fun_tI7is_trueIyEEEEEE10hipError_tPvRmT3_T4_T5_T6_T7_T9_mT8_P12ihipStream_tbDpT10_ENKUlT_T0_E_clISt17integral_constantIbLb1EES1A_IbLb0EEEEDaS16_S17_EUlS16_E_NS1_11comp_targetILNS1_3genE9ELNS1_11target_archE1100ELNS1_3gpuE3ELNS1_3repE0EEENS1_30default_config_static_selectorELNS0_4arch9wavefront6targetE0EEEvT1_, .Lfunc_end2163-_ZN7rocprim17ROCPRIM_400000_NS6detail17trampoline_kernelINS0_14default_configENS1_25partition_config_selectorILNS1_17partition_subalgoE6EyNS0_10empty_typeEbEEZZNS1_14partition_implILS5_6ELb0ES3_mN6thrust23THRUST_200600_302600_NS6detail15normal_iteratorINSA_10device_ptrIyEEEEPS6_SG_NS0_5tupleIJNSA_16discard_iteratorINSA_11use_defaultEEES6_EEENSH_IJSG_SG_EEES6_PlJNSB_9not_fun_tI7is_trueIyEEEEEE10hipError_tPvRmT3_T4_T5_T6_T7_T9_mT8_P12ihipStream_tbDpT10_ENKUlT_T0_E_clISt17integral_constantIbLb1EES1A_IbLb0EEEEDaS16_S17_EUlS16_E_NS1_11comp_targetILNS1_3genE9ELNS1_11target_archE1100ELNS1_3gpuE3ELNS1_3repE0EEENS1_30default_config_static_selectorELNS0_4arch9wavefront6targetE0EEEvT1_
                                        ; -- End function
	.set _ZN7rocprim17ROCPRIM_400000_NS6detail17trampoline_kernelINS0_14default_configENS1_25partition_config_selectorILNS1_17partition_subalgoE6EyNS0_10empty_typeEbEEZZNS1_14partition_implILS5_6ELb0ES3_mN6thrust23THRUST_200600_302600_NS6detail15normal_iteratorINSA_10device_ptrIyEEEEPS6_SG_NS0_5tupleIJNSA_16discard_iteratorINSA_11use_defaultEEES6_EEENSH_IJSG_SG_EEES6_PlJNSB_9not_fun_tI7is_trueIyEEEEEE10hipError_tPvRmT3_T4_T5_T6_T7_T9_mT8_P12ihipStream_tbDpT10_ENKUlT_T0_E_clISt17integral_constantIbLb1EES1A_IbLb0EEEEDaS16_S17_EUlS16_E_NS1_11comp_targetILNS1_3genE9ELNS1_11target_archE1100ELNS1_3gpuE3ELNS1_3repE0EEENS1_30default_config_static_selectorELNS0_4arch9wavefront6targetE0EEEvT1_.num_vgpr, 0
	.set _ZN7rocprim17ROCPRIM_400000_NS6detail17trampoline_kernelINS0_14default_configENS1_25partition_config_selectorILNS1_17partition_subalgoE6EyNS0_10empty_typeEbEEZZNS1_14partition_implILS5_6ELb0ES3_mN6thrust23THRUST_200600_302600_NS6detail15normal_iteratorINSA_10device_ptrIyEEEEPS6_SG_NS0_5tupleIJNSA_16discard_iteratorINSA_11use_defaultEEES6_EEENSH_IJSG_SG_EEES6_PlJNSB_9not_fun_tI7is_trueIyEEEEEE10hipError_tPvRmT3_T4_T5_T6_T7_T9_mT8_P12ihipStream_tbDpT10_ENKUlT_T0_E_clISt17integral_constantIbLb1EES1A_IbLb0EEEEDaS16_S17_EUlS16_E_NS1_11comp_targetILNS1_3genE9ELNS1_11target_archE1100ELNS1_3gpuE3ELNS1_3repE0EEENS1_30default_config_static_selectorELNS0_4arch9wavefront6targetE0EEEvT1_.num_agpr, 0
	.set _ZN7rocprim17ROCPRIM_400000_NS6detail17trampoline_kernelINS0_14default_configENS1_25partition_config_selectorILNS1_17partition_subalgoE6EyNS0_10empty_typeEbEEZZNS1_14partition_implILS5_6ELb0ES3_mN6thrust23THRUST_200600_302600_NS6detail15normal_iteratorINSA_10device_ptrIyEEEEPS6_SG_NS0_5tupleIJNSA_16discard_iteratorINSA_11use_defaultEEES6_EEENSH_IJSG_SG_EEES6_PlJNSB_9not_fun_tI7is_trueIyEEEEEE10hipError_tPvRmT3_T4_T5_T6_T7_T9_mT8_P12ihipStream_tbDpT10_ENKUlT_T0_E_clISt17integral_constantIbLb1EES1A_IbLb0EEEEDaS16_S17_EUlS16_E_NS1_11comp_targetILNS1_3genE9ELNS1_11target_archE1100ELNS1_3gpuE3ELNS1_3repE0EEENS1_30default_config_static_selectorELNS0_4arch9wavefront6targetE0EEEvT1_.numbered_sgpr, 0
	.set _ZN7rocprim17ROCPRIM_400000_NS6detail17trampoline_kernelINS0_14default_configENS1_25partition_config_selectorILNS1_17partition_subalgoE6EyNS0_10empty_typeEbEEZZNS1_14partition_implILS5_6ELb0ES3_mN6thrust23THRUST_200600_302600_NS6detail15normal_iteratorINSA_10device_ptrIyEEEEPS6_SG_NS0_5tupleIJNSA_16discard_iteratorINSA_11use_defaultEEES6_EEENSH_IJSG_SG_EEES6_PlJNSB_9not_fun_tI7is_trueIyEEEEEE10hipError_tPvRmT3_T4_T5_T6_T7_T9_mT8_P12ihipStream_tbDpT10_ENKUlT_T0_E_clISt17integral_constantIbLb1EES1A_IbLb0EEEEDaS16_S17_EUlS16_E_NS1_11comp_targetILNS1_3genE9ELNS1_11target_archE1100ELNS1_3gpuE3ELNS1_3repE0EEENS1_30default_config_static_selectorELNS0_4arch9wavefront6targetE0EEEvT1_.num_named_barrier, 0
	.set _ZN7rocprim17ROCPRIM_400000_NS6detail17trampoline_kernelINS0_14default_configENS1_25partition_config_selectorILNS1_17partition_subalgoE6EyNS0_10empty_typeEbEEZZNS1_14partition_implILS5_6ELb0ES3_mN6thrust23THRUST_200600_302600_NS6detail15normal_iteratorINSA_10device_ptrIyEEEEPS6_SG_NS0_5tupleIJNSA_16discard_iteratorINSA_11use_defaultEEES6_EEENSH_IJSG_SG_EEES6_PlJNSB_9not_fun_tI7is_trueIyEEEEEE10hipError_tPvRmT3_T4_T5_T6_T7_T9_mT8_P12ihipStream_tbDpT10_ENKUlT_T0_E_clISt17integral_constantIbLb1EES1A_IbLb0EEEEDaS16_S17_EUlS16_E_NS1_11comp_targetILNS1_3genE9ELNS1_11target_archE1100ELNS1_3gpuE3ELNS1_3repE0EEENS1_30default_config_static_selectorELNS0_4arch9wavefront6targetE0EEEvT1_.private_seg_size, 0
	.set _ZN7rocprim17ROCPRIM_400000_NS6detail17trampoline_kernelINS0_14default_configENS1_25partition_config_selectorILNS1_17partition_subalgoE6EyNS0_10empty_typeEbEEZZNS1_14partition_implILS5_6ELb0ES3_mN6thrust23THRUST_200600_302600_NS6detail15normal_iteratorINSA_10device_ptrIyEEEEPS6_SG_NS0_5tupleIJNSA_16discard_iteratorINSA_11use_defaultEEES6_EEENSH_IJSG_SG_EEES6_PlJNSB_9not_fun_tI7is_trueIyEEEEEE10hipError_tPvRmT3_T4_T5_T6_T7_T9_mT8_P12ihipStream_tbDpT10_ENKUlT_T0_E_clISt17integral_constantIbLb1EES1A_IbLb0EEEEDaS16_S17_EUlS16_E_NS1_11comp_targetILNS1_3genE9ELNS1_11target_archE1100ELNS1_3gpuE3ELNS1_3repE0EEENS1_30default_config_static_selectorELNS0_4arch9wavefront6targetE0EEEvT1_.uses_vcc, 0
	.set _ZN7rocprim17ROCPRIM_400000_NS6detail17trampoline_kernelINS0_14default_configENS1_25partition_config_selectorILNS1_17partition_subalgoE6EyNS0_10empty_typeEbEEZZNS1_14partition_implILS5_6ELb0ES3_mN6thrust23THRUST_200600_302600_NS6detail15normal_iteratorINSA_10device_ptrIyEEEEPS6_SG_NS0_5tupleIJNSA_16discard_iteratorINSA_11use_defaultEEES6_EEENSH_IJSG_SG_EEES6_PlJNSB_9not_fun_tI7is_trueIyEEEEEE10hipError_tPvRmT3_T4_T5_T6_T7_T9_mT8_P12ihipStream_tbDpT10_ENKUlT_T0_E_clISt17integral_constantIbLb1EES1A_IbLb0EEEEDaS16_S17_EUlS16_E_NS1_11comp_targetILNS1_3genE9ELNS1_11target_archE1100ELNS1_3gpuE3ELNS1_3repE0EEENS1_30default_config_static_selectorELNS0_4arch9wavefront6targetE0EEEvT1_.uses_flat_scratch, 0
	.set _ZN7rocprim17ROCPRIM_400000_NS6detail17trampoline_kernelINS0_14default_configENS1_25partition_config_selectorILNS1_17partition_subalgoE6EyNS0_10empty_typeEbEEZZNS1_14partition_implILS5_6ELb0ES3_mN6thrust23THRUST_200600_302600_NS6detail15normal_iteratorINSA_10device_ptrIyEEEEPS6_SG_NS0_5tupleIJNSA_16discard_iteratorINSA_11use_defaultEEES6_EEENSH_IJSG_SG_EEES6_PlJNSB_9not_fun_tI7is_trueIyEEEEEE10hipError_tPvRmT3_T4_T5_T6_T7_T9_mT8_P12ihipStream_tbDpT10_ENKUlT_T0_E_clISt17integral_constantIbLb1EES1A_IbLb0EEEEDaS16_S17_EUlS16_E_NS1_11comp_targetILNS1_3genE9ELNS1_11target_archE1100ELNS1_3gpuE3ELNS1_3repE0EEENS1_30default_config_static_selectorELNS0_4arch9wavefront6targetE0EEEvT1_.has_dyn_sized_stack, 0
	.set _ZN7rocprim17ROCPRIM_400000_NS6detail17trampoline_kernelINS0_14default_configENS1_25partition_config_selectorILNS1_17partition_subalgoE6EyNS0_10empty_typeEbEEZZNS1_14partition_implILS5_6ELb0ES3_mN6thrust23THRUST_200600_302600_NS6detail15normal_iteratorINSA_10device_ptrIyEEEEPS6_SG_NS0_5tupleIJNSA_16discard_iteratorINSA_11use_defaultEEES6_EEENSH_IJSG_SG_EEES6_PlJNSB_9not_fun_tI7is_trueIyEEEEEE10hipError_tPvRmT3_T4_T5_T6_T7_T9_mT8_P12ihipStream_tbDpT10_ENKUlT_T0_E_clISt17integral_constantIbLb1EES1A_IbLb0EEEEDaS16_S17_EUlS16_E_NS1_11comp_targetILNS1_3genE9ELNS1_11target_archE1100ELNS1_3gpuE3ELNS1_3repE0EEENS1_30default_config_static_selectorELNS0_4arch9wavefront6targetE0EEEvT1_.has_recursion, 0
	.set _ZN7rocprim17ROCPRIM_400000_NS6detail17trampoline_kernelINS0_14default_configENS1_25partition_config_selectorILNS1_17partition_subalgoE6EyNS0_10empty_typeEbEEZZNS1_14partition_implILS5_6ELb0ES3_mN6thrust23THRUST_200600_302600_NS6detail15normal_iteratorINSA_10device_ptrIyEEEEPS6_SG_NS0_5tupleIJNSA_16discard_iteratorINSA_11use_defaultEEES6_EEENSH_IJSG_SG_EEES6_PlJNSB_9not_fun_tI7is_trueIyEEEEEE10hipError_tPvRmT3_T4_T5_T6_T7_T9_mT8_P12ihipStream_tbDpT10_ENKUlT_T0_E_clISt17integral_constantIbLb1EES1A_IbLb0EEEEDaS16_S17_EUlS16_E_NS1_11comp_targetILNS1_3genE9ELNS1_11target_archE1100ELNS1_3gpuE3ELNS1_3repE0EEENS1_30default_config_static_selectorELNS0_4arch9wavefront6targetE0EEEvT1_.has_indirect_call, 0
	.section	.AMDGPU.csdata,"",@progbits
; Kernel info:
; codeLenInByte = 0
; TotalNumSgprs: 0
; NumVgprs: 0
; ScratchSize: 0
; MemoryBound: 0
; FloatMode: 240
; IeeeMode: 1
; LDSByteSize: 0 bytes/workgroup (compile time only)
; SGPRBlocks: 0
; VGPRBlocks: 0
; NumSGPRsForWavesPerEU: 1
; NumVGPRsForWavesPerEU: 1
; Occupancy: 16
; WaveLimiterHint : 0
; COMPUTE_PGM_RSRC2:SCRATCH_EN: 0
; COMPUTE_PGM_RSRC2:USER_SGPR: 2
; COMPUTE_PGM_RSRC2:TRAP_HANDLER: 0
; COMPUTE_PGM_RSRC2:TGID_X_EN: 1
; COMPUTE_PGM_RSRC2:TGID_Y_EN: 0
; COMPUTE_PGM_RSRC2:TGID_Z_EN: 0
; COMPUTE_PGM_RSRC2:TIDIG_COMP_CNT: 0
	.section	.text._ZN7rocprim17ROCPRIM_400000_NS6detail17trampoline_kernelINS0_14default_configENS1_25partition_config_selectorILNS1_17partition_subalgoE6EyNS0_10empty_typeEbEEZZNS1_14partition_implILS5_6ELb0ES3_mN6thrust23THRUST_200600_302600_NS6detail15normal_iteratorINSA_10device_ptrIyEEEEPS6_SG_NS0_5tupleIJNSA_16discard_iteratorINSA_11use_defaultEEES6_EEENSH_IJSG_SG_EEES6_PlJNSB_9not_fun_tI7is_trueIyEEEEEE10hipError_tPvRmT3_T4_T5_T6_T7_T9_mT8_P12ihipStream_tbDpT10_ENKUlT_T0_E_clISt17integral_constantIbLb1EES1A_IbLb0EEEEDaS16_S17_EUlS16_E_NS1_11comp_targetILNS1_3genE8ELNS1_11target_archE1030ELNS1_3gpuE2ELNS1_3repE0EEENS1_30default_config_static_selectorELNS0_4arch9wavefront6targetE0EEEvT1_,"axG",@progbits,_ZN7rocprim17ROCPRIM_400000_NS6detail17trampoline_kernelINS0_14default_configENS1_25partition_config_selectorILNS1_17partition_subalgoE6EyNS0_10empty_typeEbEEZZNS1_14partition_implILS5_6ELb0ES3_mN6thrust23THRUST_200600_302600_NS6detail15normal_iteratorINSA_10device_ptrIyEEEEPS6_SG_NS0_5tupleIJNSA_16discard_iteratorINSA_11use_defaultEEES6_EEENSH_IJSG_SG_EEES6_PlJNSB_9not_fun_tI7is_trueIyEEEEEE10hipError_tPvRmT3_T4_T5_T6_T7_T9_mT8_P12ihipStream_tbDpT10_ENKUlT_T0_E_clISt17integral_constantIbLb1EES1A_IbLb0EEEEDaS16_S17_EUlS16_E_NS1_11comp_targetILNS1_3genE8ELNS1_11target_archE1030ELNS1_3gpuE2ELNS1_3repE0EEENS1_30default_config_static_selectorELNS0_4arch9wavefront6targetE0EEEvT1_,comdat
	.protected	_ZN7rocprim17ROCPRIM_400000_NS6detail17trampoline_kernelINS0_14default_configENS1_25partition_config_selectorILNS1_17partition_subalgoE6EyNS0_10empty_typeEbEEZZNS1_14partition_implILS5_6ELb0ES3_mN6thrust23THRUST_200600_302600_NS6detail15normal_iteratorINSA_10device_ptrIyEEEEPS6_SG_NS0_5tupleIJNSA_16discard_iteratorINSA_11use_defaultEEES6_EEENSH_IJSG_SG_EEES6_PlJNSB_9not_fun_tI7is_trueIyEEEEEE10hipError_tPvRmT3_T4_T5_T6_T7_T9_mT8_P12ihipStream_tbDpT10_ENKUlT_T0_E_clISt17integral_constantIbLb1EES1A_IbLb0EEEEDaS16_S17_EUlS16_E_NS1_11comp_targetILNS1_3genE8ELNS1_11target_archE1030ELNS1_3gpuE2ELNS1_3repE0EEENS1_30default_config_static_selectorELNS0_4arch9wavefront6targetE0EEEvT1_ ; -- Begin function _ZN7rocprim17ROCPRIM_400000_NS6detail17trampoline_kernelINS0_14default_configENS1_25partition_config_selectorILNS1_17partition_subalgoE6EyNS0_10empty_typeEbEEZZNS1_14partition_implILS5_6ELb0ES3_mN6thrust23THRUST_200600_302600_NS6detail15normal_iteratorINSA_10device_ptrIyEEEEPS6_SG_NS0_5tupleIJNSA_16discard_iteratorINSA_11use_defaultEEES6_EEENSH_IJSG_SG_EEES6_PlJNSB_9not_fun_tI7is_trueIyEEEEEE10hipError_tPvRmT3_T4_T5_T6_T7_T9_mT8_P12ihipStream_tbDpT10_ENKUlT_T0_E_clISt17integral_constantIbLb1EES1A_IbLb0EEEEDaS16_S17_EUlS16_E_NS1_11comp_targetILNS1_3genE8ELNS1_11target_archE1030ELNS1_3gpuE2ELNS1_3repE0EEENS1_30default_config_static_selectorELNS0_4arch9wavefront6targetE0EEEvT1_
	.globl	_ZN7rocprim17ROCPRIM_400000_NS6detail17trampoline_kernelINS0_14default_configENS1_25partition_config_selectorILNS1_17partition_subalgoE6EyNS0_10empty_typeEbEEZZNS1_14partition_implILS5_6ELb0ES3_mN6thrust23THRUST_200600_302600_NS6detail15normal_iteratorINSA_10device_ptrIyEEEEPS6_SG_NS0_5tupleIJNSA_16discard_iteratorINSA_11use_defaultEEES6_EEENSH_IJSG_SG_EEES6_PlJNSB_9not_fun_tI7is_trueIyEEEEEE10hipError_tPvRmT3_T4_T5_T6_T7_T9_mT8_P12ihipStream_tbDpT10_ENKUlT_T0_E_clISt17integral_constantIbLb1EES1A_IbLb0EEEEDaS16_S17_EUlS16_E_NS1_11comp_targetILNS1_3genE8ELNS1_11target_archE1030ELNS1_3gpuE2ELNS1_3repE0EEENS1_30default_config_static_selectorELNS0_4arch9wavefront6targetE0EEEvT1_
	.p2align	8
	.type	_ZN7rocprim17ROCPRIM_400000_NS6detail17trampoline_kernelINS0_14default_configENS1_25partition_config_selectorILNS1_17partition_subalgoE6EyNS0_10empty_typeEbEEZZNS1_14partition_implILS5_6ELb0ES3_mN6thrust23THRUST_200600_302600_NS6detail15normal_iteratorINSA_10device_ptrIyEEEEPS6_SG_NS0_5tupleIJNSA_16discard_iteratorINSA_11use_defaultEEES6_EEENSH_IJSG_SG_EEES6_PlJNSB_9not_fun_tI7is_trueIyEEEEEE10hipError_tPvRmT3_T4_T5_T6_T7_T9_mT8_P12ihipStream_tbDpT10_ENKUlT_T0_E_clISt17integral_constantIbLb1EES1A_IbLb0EEEEDaS16_S17_EUlS16_E_NS1_11comp_targetILNS1_3genE8ELNS1_11target_archE1030ELNS1_3gpuE2ELNS1_3repE0EEENS1_30default_config_static_selectorELNS0_4arch9wavefront6targetE0EEEvT1_,@function
_ZN7rocprim17ROCPRIM_400000_NS6detail17trampoline_kernelINS0_14default_configENS1_25partition_config_selectorILNS1_17partition_subalgoE6EyNS0_10empty_typeEbEEZZNS1_14partition_implILS5_6ELb0ES3_mN6thrust23THRUST_200600_302600_NS6detail15normal_iteratorINSA_10device_ptrIyEEEEPS6_SG_NS0_5tupleIJNSA_16discard_iteratorINSA_11use_defaultEEES6_EEENSH_IJSG_SG_EEES6_PlJNSB_9not_fun_tI7is_trueIyEEEEEE10hipError_tPvRmT3_T4_T5_T6_T7_T9_mT8_P12ihipStream_tbDpT10_ENKUlT_T0_E_clISt17integral_constantIbLb1EES1A_IbLb0EEEEDaS16_S17_EUlS16_E_NS1_11comp_targetILNS1_3genE8ELNS1_11target_archE1030ELNS1_3gpuE2ELNS1_3repE0EEENS1_30default_config_static_selectorELNS0_4arch9wavefront6targetE0EEEvT1_: ; @_ZN7rocprim17ROCPRIM_400000_NS6detail17trampoline_kernelINS0_14default_configENS1_25partition_config_selectorILNS1_17partition_subalgoE6EyNS0_10empty_typeEbEEZZNS1_14partition_implILS5_6ELb0ES3_mN6thrust23THRUST_200600_302600_NS6detail15normal_iteratorINSA_10device_ptrIyEEEEPS6_SG_NS0_5tupleIJNSA_16discard_iteratorINSA_11use_defaultEEES6_EEENSH_IJSG_SG_EEES6_PlJNSB_9not_fun_tI7is_trueIyEEEEEE10hipError_tPvRmT3_T4_T5_T6_T7_T9_mT8_P12ihipStream_tbDpT10_ENKUlT_T0_E_clISt17integral_constantIbLb1EES1A_IbLb0EEEEDaS16_S17_EUlS16_E_NS1_11comp_targetILNS1_3genE8ELNS1_11target_archE1030ELNS1_3gpuE2ELNS1_3repE0EEENS1_30default_config_static_selectorELNS0_4arch9wavefront6targetE0EEEvT1_
; %bb.0:
	.section	.rodata,"a",@progbits
	.p2align	6, 0x0
	.amdhsa_kernel _ZN7rocprim17ROCPRIM_400000_NS6detail17trampoline_kernelINS0_14default_configENS1_25partition_config_selectorILNS1_17partition_subalgoE6EyNS0_10empty_typeEbEEZZNS1_14partition_implILS5_6ELb0ES3_mN6thrust23THRUST_200600_302600_NS6detail15normal_iteratorINSA_10device_ptrIyEEEEPS6_SG_NS0_5tupleIJNSA_16discard_iteratorINSA_11use_defaultEEES6_EEENSH_IJSG_SG_EEES6_PlJNSB_9not_fun_tI7is_trueIyEEEEEE10hipError_tPvRmT3_T4_T5_T6_T7_T9_mT8_P12ihipStream_tbDpT10_ENKUlT_T0_E_clISt17integral_constantIbLb1EES1A_IbLb0EEEEDaS16_S17_EUlS16_E_NS1_11comp_targetILNS1_3genE8ELNS1_11target_archE1030ELNS1_3gpuE2ELNS1_3repE0EEENS1_30default_config_static_selectorELNS0_4arch9wavefront6targetE0EEEvT1_
		.amdhsa_group_segment_fixed_size 0
		.amdhsa_private_segment_fixed_size 0
		.amdhsa_kernarg_size 120
		.amdhsa_user_sgpr_count 2
		.amdhsa_user_sgpr_dispatch_ptr 0
		.amdhsa_user_sgpr_queue_ptr 0
		.amdhsa_user_sgpr_kernarg_segment_ptr 1
		.amdhsa_user_sgpr_dispatch_id 0
		.amdhsa_user_sgpr_private_segment_size 0
		.amdhsa_wavefront_size32 1
		.amdhsa_uses_dynamic_stack 0
		.amdhsa_enable_private_segment 0
		.amdhsa_system_sgpr_workgroup_id_x 1
		.amdhsa_system_sgpr_workgroup_id_y 0
		.amdhsa_system_sgpr_workgroup_id_z 0
		.amdhsa_system_sgpr_workgroup_info 0
		.amdhsa_system_vgpr_workitem_id 0
		.amdhsa_next_free_vgpr 1
		.amdhsa_next_free_sgpr 1
		.amdhsa_reserve_vcc 0
		.amdhsa_float_round_mode_32 0
		.amdhsa_float_round_mode_16_64 0
		.amdhsa_float_denorm_mode_32 3
		.amdhsa_float_denorm_mode_16_64 3
		.amdhsa_fp16_overflow 0
		.amdhsa_workgroup_processor_mode 1
		.amdhsa_memory_ordered 1
		.amdhsa_forward_progress 1
		.amdhsa_inst_pref_size 0
		.amdhsa_round_robin_scheduling 0
		.amdhsa_exception_fp_ieee_invalid_op 0
		.amdhsa_exception_fp_denorm_src 0
		.amdhsa_exception_fp_ieee_div_zero 0
		.amdhsa_exception_fp_ieee_overflow 0
		.amdhsa_exception_fp_ieee_underflow 0
		.amdhsa_exception_fp_ieee_inexact 0
		.amdhsa_exception_int_div_zero 0
	.end_amdhsa_kernel
	.section	.text._ZN7rocprim17ROCPRIM_400000_NS6detail17trampoline_kernelINS0_14default_configENS1_25partition_config_selectorILNS1_17partition_subalgoE6EyNS0_10empty_typeEbEEZZNS1_14partition_implILS5_6ELb0ES3_mN6thrust23THRUST_200600_302600_NS6detail15normal_iteratorINSA_10device_ptrIyEEEEPS6_SG_NS0_5tupleIJNSA_16discard_iteratorINSA_11use_defaultEEES6_EEENSH_IJSG_SG_EEES6_PlJNSB_9not_fun_tI7is_trueIyEEEEEE10hipError_tPvRmT3_T4_T5_T6_T7_T9_mT8_P12ihipStream_tbDpT10_ENKUlT_T0_E_clISt17integral_constantIbLb1EES1A_IbLb0EEEEDaS16_S17_EUlS16_E_NS1_11comp_targetILNS1_3genE8ELNS1_11target_archE1030ELNS1_3gpuE2ELNS1_3repE0EEENS1_30default_config_static_selectorELNS0_4arch9wavefront6targetE0EEEvT1_,"axG",@progbits,_ZN7rocprim17ROCPRIM_400000_NS6detail17trampoline_kernelINS0_14default_configENS1_25partition_config_selectorILNS1_17partition_subalgoE6EyNS0_10empty_typeEbEEZZNS1_14partition_implILS5_6ELb0ES3_mN6thrust23THRUST_200600_302600_NS6detail15normal_iteratorINSA_10device_ptrIyEEEEPS6_SG_NS0_5tupleIJNSA_16discard_iteratorINSA_11use_defaultEEES6_EEENSH_IJSG_SG_EEES6_PlJNSB_9not_fun_tI7is_trueIyEEEEEE10hipError_tPvRmT3_T4_T5_T6_T7_T9_mT8_P12ihipStream_tbDpT10_ENKUlT_T0_E_clISt17integral_constantIbLb1EES1A_IbLb0EEEEDaS16_S17_EUlS16_E_NS1_11comp_targetILNS1_3genE8ELNS1_11target_archE1030ELNS1_3gpuE2ELNS1_3repE0EEENS1_30default_config_static_selectorELNS0_4arch9wavefront6targetE0EEEvT1_,comdat
.Lfunc_end2164:
	.size	_ZN7rocprim17ROCPRIM_400000_NS6detail17trampoline_kernelINS0_14default_configENS1_25partition_config_selectorILNS1_17partition_subalgoE6EyNS0_10empty_typeEbEEZZNS1_14partition_implILS5_6ELb0ES3_mN6thrust23THRUST_200600_302600_NS6detail15normal_iteratorINSA_10device_ptrIyEEEEPS6_SG_NS0_5tupleIJNSA_16discard_iteratorINSA_11use_defaultEEES6_EEENSH_IJSG_SG_EEES6_PlJNSB_9not_fun_tI7is_trueIyEEEEEE10hipError_tPvRmT3_T4_T5_T6_T7_T9_mT8_P12ihipStream_tbDpT10_ENKUlT_T0_E_clISt17integral_constantIbLb1EES1A_IbLb0EEEEDaS16_S17_EUlS16_E_NS1_11comp_targetILNS1_3genE8ELNS1_11target_archE1030ELNS1_3gpuE2ELNS1_3repE0EEENS1_30default_config_static_selectorELNS0_4arch9wavefront6targetE0EEEvT1_, .Lfunc_end2164-_ZN7rocprim17ROCPRIM_400000_NS6detail17trampoline_kernelINS0_14default_configENS1_25partition_config_selectorILNS1_17partition_subalgoE6EyNS0_10empty_typeEbEEZZNS1_14partition_implILS5_6ELb0ES3_mN6thrust23THRUST_200600_302600_NS6detail15normal_iteratorINSA_10device_ptrIyEEEEPS6_SG_NS0_5tupleIJNSA_16discard_iteratorINSA_11use_defaultEEES6_EEENSH_IJSG_SG_EEES6_PlJNSB_9not_fun_tI7is_trueIyEEEEEE10hipError_tPvRmT3_T4_T5_T6_T7_T9_mT8_P12ihipStream_tbDpT10_ENKUlT_T0_E_clISt17integral_constantIbLb1EES1A_IbLb0EEEEDaS16_S17_EUlS16_E_NS1_11comp_targetILNS1_3genE8ELNS1_11target_archE1030ELNS1_3gpuE2ELNS1_3repE0EEENS1_30default_config_static_selectorELNS0_4arch9wavefront6targetE0EEEvT1_
                                        ; -- End function
	.set _ZN7rocprim17ROCPRIM_400000_NS6detail17trampoline_kernelINS0_14default_configENS1_25partition_config_selectorILNS1_17partition_subalgoE6EyNS0_10empty_typeEbEEZZNS1_14partition_implILS5_6ELb0ES3_mN6thrust23THRUST_200600_302600_NS6detail15normal_iteratorINSA_10device_ptrIyEEEEPS6_SG_NS0_5tupleIJNSA_16discard_iteratorINSA_11use_defaultEEES6_EEENSH_IJSG_SG_EEES6_PlJNSB_9not_fun_tI7is_trueIyEEEEEE10hipError_tPvRmT3_T4_T5_T6_T7_T9_mT8_P12ihipStream_tbDpT10_ENKUlT_T0_E_clISt17integral_constantIbLb1EES1A_IbLb0EEEEDaS16_S17_EUlS16_E_NS1_11comp_targetILNS1_3genE8ELNS1_11target_archE1030ELNS1_3gpuE2ELNS1_3repE0EEENS1_30default_config_static_selectorELNS0_4arch9wavefront6targetE0EEEvT1_.num_vgpr, 0
	.set _ZN7rocprim17ROCPRIM_400000_NS6detail17trampoline_kernelINS0_14default_configENS1_25partition_config_selectorILNS1_17partition_subalgoE6EyNS0_10empty_typeEbEEZZNS1_14partition_implILS5_6ELb0ES3_mN6thrust23THRUST_200600_302600_NS6detail15normal_iteratorINSA_10device_ptrIyEEEEPS6_SG_NS0_5tupleIJNSA_16discard_iteratorINSA_11use_defaultEEES6_EEENSH_IJSG_SG_EEES6_PlJNSB_9not_fun_tI7is_trueIyEEEEEE10hipError_tPvRmT3_T4_T5_T6_T7_T9_mT8_P12ihipStream_tbDpT10_ENKUlT_T0_E_clISt17integral_constantIbLb1EES1A_IbLb0EEEEDaS16_S17_EUlS16_E_NS1_11comp_targetILNS1_3genE8ELNS1_11target_archE1030ELNS1_3gpuE2ELNS1_3repE0EEENS1_30default_config_static_selectorELNS0_4arch9wavefront6targetE0EEEvT1_.num_agpr, 0
	.set _ZN7rocprim17ROCPRIM_400000_NS6detail17trampoline_kernelINS0_14default_configENS1_25partition_config_selectorILNS1_17partition_subalgoE6EyNS0_10empty_typeEbEEZZNS1_14partition_implILS5_6ELb0ES3_mN6thrust23THRUST_200600_302600_NS6detail15normal_iteratorINSA_10device_ptrIyEEEEPS6_SG_NS0_5tupleIJNSA_16discard_iteratorINSA_11use_defaultEEES6_EEENSH_IJSG_SG_EEES6_PlJNSB_9not_fun_tI7is_trueIyEEEEEE10hipError_tPvRmT3_T4_T5_T6_T7_T9_mT8_P12ihipStream_tbDpT10_ENKUlT_T0_E_clISt17integral_constantIbLb1EES1A_IbLb0EEEEDaS16_S17_EUlS16_E_NS1_11comp_targetILNS1_3genE8ELNS1_11target_archE1030ELNS1_3gpuE2ELNS1_3repE0EEENS1_30default_config_static_selectorELNS0_4arch9wavefront6targetE0EEEvT1_.numbered_sgpr, 0
	.set _ZN7rocprim17ROCPRIM_400000_NS6detail17trampoline_kernelINS0_14default_configENS1_25partition_config_selectorILNS1_17partition_subalgoE6EyNS0_10empty_typeEbEEZZNS1_14partition_implILS5_6ELb0ES3_mN6thrust23THRUST_200600_302600_NS6detail15normal_iteratorINSA_10device_ptrIyEEEEPS6_SG_NS0_5tupleIJNSA_16discard_iteratorINSA_11use_defaultEEES6_EEENSH_IJSG_SG_EEES6_PlJNSB_9not_fun_tI7is_trueIyEEEEEE10hipError_tPvRmT3_T4_T5_T6_T7_T9_mT8_P12ihipStream_tbDpT10_ENKUlT_T0_E_clISt17integral_constantIbLb1EES1A_IbLb0EEEEDaS16_S17_EUlS16_E_NS1_11comp_targetILNS1_3genE8ELNS1_11target_archE1030ELNS1_3gpuE2ELNS1_3repE0EEENS1_30default_config_static_selectorELNS0_4arch9wavefront6targetE0EEEvT1_.num_named_barrier, 0
	.set _ZN7rocprim17ROCPRIM_400000_NS6detail17trampoline_kernelINS0_14default_configENS1_25partition_config_selectorILNS1_17partition_subalgoE6EyNS0_10empty_typeEbEEZZNS1_14partition_implILS5_6ELb0ES3_mN6thrust23THRUST_200600_302600_NS6detail15normal_iteratorINSA_10device_ptrIyEEEEPS6_SG_NS0_5tupleIJNSA_16discard_iteratorINSA_11use_defaultEEES6_EEENSH_IJSG_SG_EEES6_PlJNSB_9not_fun_tI7is_trueIyEEEEEE10hipError_tPvRmT3_T4_T5_T6_T7_T9_mT8_P12ihipStream_tbDpT10_ENKUlT_T0_E_clISt17integral_constantIbLb1EES1A_IbLb0EEEEDaS16_S17_EUlS16_E_NS1_11comp_targetILNS1_3genE8ELNS1_11target_archE1030ELNS1_3gpuE2ELNS1_3repE0EEENS1_30default_config_static_selectorELNS0_4arch9wavefront6targetE0EEEvT1_.private_seg_size, 0
	.set _ZN7rocprim17ROCPRIM_400000_NS6detail17trampoline_kernelINS0_14default_configENS1_25partition_config_selectorILNS1_17partition_subalgoE6EyNS0_10empty_typeEbEEZZNS1_14partition_implILS5_6ELb0ES3_mN6thrust23THRUST_200600_302600_NS6detail15normal_iteratorINSA_10device_ptrIyEEEEPS6_SG_NS0_5tupleIJNSA_16discard_iteratorINSA_11use_defaultEEES6_EEENSH_IJSG_SG_EEES6_PlJNSB_9not_fun_tI7is_trueIyEEEEEE10hipError_tPvRmT3_T4_T5_T6_T7_T9_mT8_P12ihipStream_tbDpT10_ENKUlT_T0_E_clISt17integral_constantIbLb1EES1A_IbLb0EEEEDaS16_S17_EUlS16_E_NS1_11comp_targetILNS1_3genE8ELNS1_11target_archE1030ELNS1_3gpuE2ELNS1_3repE0EEENS1_30default_config_static_selectorELNS0_4arch9wavefront6targetE0EEEvT1_.uses_vcc, 0
	.set _ZN7rocprim17ROCPRIM_400000_NS6detail17trampoline_kernelINS0_14default_configENS1_25partition_config_selectorILNS1_17partition_subalgoE6EyNS0_10empty_typeEbEEZZNS1_14partition_implILS5_6ELb0ES3_mN6thrust23THRUST_200600_302600_NS6detail15normal_iteratorINSA_10device_ptrIyEEEEPS6_SG_NS0_5tupleIJNSA_16discard_iteratorINSA_11use_defaultEEES6_EEENSH_IJSG_SG_EEES6_PlJNSB_9not_fun_tI7is_trueIyEEEEEE10hipError_tPvRmT3_T4_T5_T6_T7_T9_mT8_P12ihipStream_tbDpT10_ENKUlT_T0_E_clISt17integral_constantIbLb1EES1A_IbLb0EEEEDaS16_S17_EUlS16_E_NS1_11comp_targetILNS1_3genE8ELNS1_11target_archE1030ELNS1_3gpuE2ELNS1_3repE0EEENS1_30default_config_static_selectorELNS0_4arch9wavefront6targetE0EEEvT1_.uses_flat_scratch, 0
	.set _ZN7rocprim17ROCPRIM_400000_NS6detail17trampoline_kernelINS0_14default_configENS1_25partition_config_selectorILNS1_17partition_subalgoE6EyNS0_10empty_typeEbEEZZNS1_14partition_implILS5_6ELb0ES3_mN6thrust23THRUST_200600_302600_NS6detail15normal_iteratorINSA_10device_ptrIyEEEEPS6_SG_NS0_5tupleIJNSA_16discard_iteratorINSA_11use_defaultEEES6_EEENSH_IJSG_SG_EEES6_PlJNSB_9not_fun_tI7is_trueIyEEEEEE10hipError_tPvRmT3_T4_T5_T6_T7_T9_mT8_P12ihipStream_tbDpT10_ENKUlT_T0_E_clISt17integral_constantIbLb1EES1A_IbLb0EEEEDaS16_S17_EUlS16_E_NS1_11comp_targetILNS1_3genE8ELNS1_11target_archE1030ELNS1_3gpuE2ELNS1_3repE0EEENS1_30default_config_static_selectorELNS0_4arch9wavefront6targetE0EEEvT1_.has_dyn_sized_stack, 0
	.set _ZN7rocprim17ROCPRIM_400000_NS6detail17trampoline_kernelINS0_14default_configENS1_25partition_config_selectorILNS1_17partition_subalgoE6EyNS0_10empty_typeEbEEZZNS1_14partition_implILS5_6ELb0ES3_mN6thrust23THRUST_200600_302600_NS6detail15normal_iteratorINSA_10device_ptrIyEEEEPS6_SG_NS0_5tupleIJNSA_16discard_iteratorINSA_11use_defaultEEES6_EEENSH_IJSG_SG_EEES6_PlJNSB_9not_fun_tI7is_trueIyEEEEEE10hipError_tPvRmT3_T4_T5_T6_T7_T9_mT8_P12ihipStream_tbDpT10_ENKUlT_T0_E_clISt17integral_constantIbLb1EES1A_IbLb0EEEEDaS16_S17_EUlS16_E_NS1_11comp_targetILNS1_3genE8ELNS1_11target_archE1030ELNS1_3gpuE2ELNS1_3repE0EEENS1_30default_config_static_selectorELNS0_4arch9wavefront6targetE0EEEvT1_.has_recursion, 0
	.set _ZN7rocprim17ROCPRIM_400000_NS6detail17trampoline_kernelINS0_14default_configENS1_25partition_config_selectorILNS1_17partition_subalgoE6EyNS0_10empty_typeEbEEZZNS1_14partition_implILS5_6ELb0ES3_mN6thrust23THRUST_200600_302600_NS6detail15normal_iteratorINSA_10device_ptrIyEEEEPS6_SG_NS0_5tupleIJNSA_16discard_iteratorINSA_11use_defaultEEES6_EEENSH_IJSG_SG_EEES6_PlJNSB_9not_fun_tI7is_trueIyEEEEEE10hipError_tPvRmT3_T4_T5_T6_T7_T9_mT8_P12ihipStream_tbDpT10_ENKUlT_T0_E_clISt17integral_constantIbLb1EES1A_IbLb0EEEEDaS16_S17_EUlS16_E_NS1_11comp_targetILNS1_3genE8ELNS1_11target_archE1030ELNS1_3gpuE2ELNS1_3repE0EEENS1_30default_config_static_selectorELNS0_4arch9wavefront6targetE0EEEvT1_.has_indirect_call, 0
	.section	.AMDGPU.csdata,"",@progbits
; Kernel info:
; codeLenInByte = 0
; TotalNumSgprs: 0
; NumVgprs: 0
; ScratchSize: 0
; MemoryBound: 0
; FloatMode: 240
; IeeeMode: 1
; LDSByteSize: 0 bytes/workgroup (compile time only)
; SGPRBlocks: 0
; VGPRBlocks: 0
; NumSGPRsForWavesPerEU: 1
; NumVGPRsForWavesPerEU: 1
; Occupancy: 16
; WaveLimiterHint : 0
; COMPUTE_PGM_RSRC2:SCRATCH_EN: 0
; COMPUTE_PGM_RSRC2:USER_SGPR: 2
; COMPUTE_PGM_RSRC2:TRAP_HANDLER: 0
; COMPUTE_PGM_RSRC2:TGID_X_EN: 1
; COMPUTE_PGM_RSRC2:TGID_Y_EN: 0
; COMPUTE_PGM_RSRC2:TGID_Z_EN: 0
; COMPUTE_PGM_RSRC2:TIDIG_COMP_CNT: 0
	.section	.text._ZN7rocprim17ROCPRIM_400000_NS6detail17trampoline_kernelINS0_14default_configENS1_25partition_config_selectorILNS1_17partition_subalgoE6EyNS0_10empty_typeEbEEZZNS1_14partition_implILS5_6ELb0ES3_mN6thrust23THRUST_200600_302600_NS6detail15normal_iteratorINSA_10device_ptrIyEEEEPS6_SG_NS0_5tupleIJNSA_16discard_iteratorINSA_11use_defaultEEES6_EEENSH_IJSG_SG_EEES6_PlJNSB_9not_fun_tI7is_trueIyEEEEEE10hipError_tPvRmT3_T4_T5_T6_T7_T9_mT8_P12ihipStream_tbDpT10_ENKUlT_T0_E_clISt17integral_constantIbLb0EES1A_IbLb1EEEEDaS16_S17_EUlS16_E_NS1_11comp_targetILNS1_3genE0ELNS1_11target_archE4294967295ELNS1_3gpuE0ELNS1_3repE0EEENS1_30default_config_static_selectorELNS0_4arch9wavefront6targetE0EEEvT1_,"axG",@progbits,_ZN7rocprim17ROCPRIM_400000_NS6detail17trampoline_kernelINS0_14default_configENS1_25partition_config_selectorILNS1_17partition_subalgoE6EyNS0_10empty_typeEbEEZZNS1_14partition_implILS5_6ELb0ES3_mN6thrust23THRUST_200600_302600_NS6detail15normal_iteratorINSA_10device_ptrIyEEEEPS6_SG_NS0_5tupleIJNSA_16discard_iteratorINSA_11use_defaultEEES6_EEENSH_IJSG_SG_EEES6_PlJNSB_9not_fun_tI7is_trueIyEEEEEE10hipError_tPvRmT3_T4_T5_T6_T7_T9_mT8_P12ihipStream_tbDpT10_ENKUlT_T0_E_clISt17integral_constantIbLb0EES1A_IbLb1EEEEDaS16_S17_EUlS16_E_NS1_11comp_targetILNS1_3genE0ELNS1_11target_archE4294967295ELNS1_3gpuE0ELNS1_3repE0EEENS1_30default_config_static_selectorELNS0_4arch9wavefront6targetE0EEEvT1_,comdat
	.protected	_ZN7rocprim17ROCPRIM_400000_NS6detail17trampoline_kernelINS0_14default_configENS1_25partition_config_selectorILNS1_17partition_subalgoE6EyNS0_10empty_typeEbEEZZNS1_14partition_implILS5_6ELb0ES3_mN6thrust23THRUST_200600_302600_NS6detail15normal_iteratorINSA_10device_ptrIyEEEEPS6_SG_NS0_5tupleIJNSA_16discard_iteratorINSA_11use_defaultEEES6_EEENSH_IJSG_SG_EEES6_PlJNSB_9not_fun_tI7is_trueIyEEEEEE10hipError_tPvRmT3_T4_T5_T6_T7_T9_mT8_P12ihipStream_tbDpT10_ENKUlT_T0_E_clISt17integral_constantIbLb0EES1A_IbLb1EEEEDaS16_S17_EUlS16_E_NS1_11comp_targetILNS1_3genE0ELNS1_11target_archE4294967295ELNS1_3gpuE0ELNS1_3repE0EEENS1_30default_config_static_selectorELNS0_4arch9wavefront6targetE0EEEvT1_ ; -- Begin function _ZN7rocprim17ROCPRIM_400000_NS6detail17trampoline_kernelINS0_14default_configENS1_25partition_config_selectorILNS1_17partition_subalgoE6EyNS0_10empty_typeEbEEZZNS1_14partition_implILS5_6ELb0ES3_mN6thrust23THRUST_200600_302600_NS6detail15normal_iteratorINSA_10device_ptrIyEEEEPS6_SG_NS0_5tupleIJNSA_16discard_iteratorINSA_11use_defaultEEES6_EEENSH_IJSG_SG_EEES6_PlJNSB_9not_fun_tI7is_trueIyEEEEEE10hipError_tPvRmT3_T4_T5_T6_T7_T9_mT8_P12ihipStream_tbDpT10_ENKUlT_T0_E_clISt17integral_constantIbLb0EES1A_IbLb1EEEEDaS16_S17_EUlS16_E_NS1_11comp_targetILNS1_3genE0ELNS1_11target_archE4294967295ELNS1_3gpuE0ELNS1_3repE0EEENS1_30default_config_static_selectorELNS0_4arch9wavefront6targetE0EEEvT1_
	.globl	_ZN7rocprim17ROCPRIM_400000_NS6detail17trampoline_kernelINS0_14default_configENS1_25partition_config_selectorILNS1_17partition_subalgoE6EyNS0_10empty_typeEbEEZZNS1_14partition_implILS5_6ELb0ES3_mN6thrust23THRUST_200600_302600_NS6detail15normal_iteratorINSA_10device_ptrIyEEEEPS6_SG_NS0_5tupleIJNSA_16discard_iteratorINSA_11use_defaultEEES6_EEENSH_IJSG_SG_EEES6_PlJNSB_9not_fun_tI7is_trueIyEEEEEE10hipError_tPvRmT3_T4_T5_T6_T7_T9_mT8_P12ihipStream_tbDpT10_ENKUlT_T0_E_clISt17integral_constantIbLb0EES1A_IbLb1EEEEDaS16_S17_EUlS16_E_NS1_11comp_targetILNS1_3genE0ELNS1_11target_archE4294967295ELNS1_3gpuE0ELNS1_3repE0EEENS1_30default_config_static_selectorELNS0_4arch9wavefront6targetE0EEEvT1_
	.p2align	8
	.type	_ZN7rocprim17ROCPRIM_400000_NS6detail17trampoline_kernelINS0_14default_configENS1_25partition_config_selectorILNS1_17partition_subalgoE6EyNS0_10empty_typeEbEEZZNS1_14partition_implILS5_6ELb0ES3_mN6thrust23THRUST_200600_302600_NS6detail15normal_iteratorINSA_10device_ptrIyEEEEPS6_SG_NS0_5tupleIJNSA_16discard_iteratorINSA_11use_defaultEEES6_EEENSH_IJSG_SG_EEES6_PlJNSB_9not_fun_tI7is_trueIyEEEEEE10hipError_tPvRmT3_T4_T5_T6_T7_T9_mT8_P12ihipStream_tbDpT10_ENKUlT_T0_E_clISt17integral_constantIbLb0EES1A_IbLb1EEEEDaS16_S17_EUlS16_E_NS1_11comp_targetILNS1_3genE0ELNS1_11target_archE4294967295ELNS1_3gpuE0ELNS1_3repE0EEENS1_30default_config_static_selectorELNS0_4arch9wavefront6targetE0EEEvT1_,@function
_ZN7rocprim17ROCPRIM_400000_NS6detail17trampoline_kernelINS0_14default_configENS1_25partition_config_selectorILNS1_17partition_subalgoE6EyNS0_10empty_typeEbEEZZNS1_14partition_implILS5_6ELb0ES3_mN6thrust23THRUST_200600_302600_NS6detail15normal_iteratorINSA_10device_ptrIyEEEEPS6_SG_NS0_5tupleIJNSA_16discard_iteratorINSA_11use_defaultEEES6_EEENSH_IJSG_SG_EEES6_PlJNSB_9not_fun_tI7is_trueIyEEEEEE10hipError_tPvRmT3_T4_T5_T6_T7_T9_mT8_P12ihipStream_tbDpT10_ENKUlT_T0_E_clISt17integral_constantIbLb0EES1A_IbLb1EEEEDaS16_S17_EUlS16_E_NS1_11comp_targetILNS1_3genE0ELNS1_11target_archE4294967295ELNS1_3gpuE0ELNS1_3repE0EEENS1_30default_config_static_selectorELNS0_4arch9wavefront6targetE0EEEvT1_: ; @_ZN7rocprim17ROCPRIM_400000_NS6detail17trampoline_kernelINS0_14default_configENS1_25partition_config_selectorILNS1_17partition_subalgoE6EyNS0_10empty_typeEbEEZZNS1_14partition_implILS5_6ELb0ES3_mN6thrust23THRUST_200600_302600_NS6detail15normal_iteratorINSA_10device_ptrIyEEEEPS6_SG_NS0_5tupleIJNSA_16discard_iteratorINSA_11use_defaultEEES6_EEENSH_IJSG_SG_EEES6_PlJNSB_9not_fun_tI7is_trueIyEEEEEE10hipError_tPvRmT3_T4_T5_T6_T7_T9_mT8_P12ihipStream_tbDpT10_ENKUlT_T0_E_clISt17integral_constantIbLb0EES1A_IbLb1EEEEDaS16_S17_EUlS16_E_NS1_11comp_targetILNS1_3genE0ELNS1_11target_archE4294967295ELNS1_3gpuE0ELNS1_3repE0EEENS1_30default_config_static_selectorELNS0_4arch9wavefront6targetE0EEEvT1_
; %bb.0:
	.section	.rodata,"a",@progbits
	.p2align	6, 0x0
	.amdhsa_kernel _ZN7rocprim17ROCPRIM_400000_NS6detail17trampoline_kernelINS0_14default_configENS1_25partition_config_selectorILNS1_17partition_subalgoE6EyNS0_10empty_typeEbEEZZNS1_14partition_implILS5_6ELb0ES3_mN6thrust23THRUST_200600_302600_NS6detail15normal_iteratorINSA_10device_ptrIyEEEEPS6_SG_NS0_5tupleIJNSA_16discard_iteratorINSA_11use_defaultEEES6_EEENSH_IJSG_SG_EEES6_PlJNSB_9not_fun_tI7is_trueIyEEEEEE10hipError_tPvRmT3_T4_T5_T6_T7_T9_mT8_P12ihipStream_tbDpT10_ENKUlT_T0_E_clISt17integral_constantIbLb0EES1A_IbLb1EEEEDaS16_S17_EUlS16_E_NS1_11comp_targetILNS1_3genE0ELNS1_11target_archE4294967295ELNS1_3gpuE0ELNS1_3repE0EEENS1_30default_config_static_selectorELNS0_4arch9wavefront6targetE0EEEvT1_
		.amdhsa_group_segment_fixed_size 0
		.amdhsa_private_segment_fixed_size 0
		.amdhsa_kernarg_size 136
		.amdhsa_user_sgpr_count 2
		.amdhsa_user_sgpr_dispatch_ptr 0
		.amdhsa_user_sgpr_queue_ptr 0
		.amdhsa_user_sgpr_kernarg_segment_ptr 1
		.amdhsa_user_sgpr_dispatch_id 0
		.amdhsa_user_sgpr_private_segment_size 0
		.amdhsa_wavefront_size32 1
		.amdhsa_uses_dynamic_stack 0
		.amdhsa_enable_private_segment 0
		.amdhsa_system_sgpr_workgroup_id_x 1
		.amdhsa_system_sgpr_workgroup_id_y 0
		.amdhsa_system_sgpr_workgroup_id_z 0
		.amdhsa_system_sgpr_workgroup_info 0
		.amdhsa_system_vgpr_workitem_id 0
		.amdhsa_next_free_vgpr 1
		.amdhsa_next_free_sgpr 1
		.amdhsa_reserve_vcc 0
		.amdhsa_float_round_mode_32 0
		.amdhsa_float_round_mode_16_64 0
		.amdhsa_float_denorm_mode_32 3
		.amdhsa_float_denorm_mode_16_64 3
		.amdhsa_fp16_overflow 0
		.amdhsa_workgroup_processor_mode 1
		.amdhsa_memory_ordered 1
		.amdhsa_forward_progress 1
		.amdhsa_inst_pref_size 0
		.amdhsa_round_robin_scheduling 0
		.amdhsa_exception_fp_ieee_invalid_op 0
		.amdhsa_exception_fp_denorm_src 0
		.amdhsa_exception_fp_ieee_div_zero 0
		.amdhsa_exception_fp_ieee_overflow 0
		.amdhsa_exception_fp_ieee_underflow 0
		.amdhsa_exception_fp_ieee_inexact 0
		.amdhsa_exception_int_div_zero 0
	.end_amdhsa_kernel
	.section	.text._ZN7rocprim17ROCPRIM_400000_NS6detail17trampoline_kernelINS0_14default_configENS1_25partition_config_selectorILNS1_17partition_subalgoE6EyNS0_10empty_typeEbEEZZNS1_14partition_implILS5_6ELb0ES3_mN6thrust23THRUST_200600_302600_NS6detail15normal_iteratorINSA_10device_ptrIyEEEEPS6_SG_NS0_5tupleIJNSA_16discard_iteratorINSA_11use_defaultEEES6_EEENSH_IJSG_SG_EEES6_PlJNSB_9not_fun_tI7is_trueIyEEEEEE10hipError_tPvRmT3_T4_T5_T6_T7_T9_mT8_P12ihipStream_tbDpT10_ENKUlT_T0_E_clISt17integral_constantIbLb0EES1A_IbLb1EEEEDaS16_S17_EUlS16_E_NS1_11comp_targetILNS1_3genE0ELNS1_11target_archE4294967295ELNS1_3gpuE0ELNS1_3repE0EEENS1_30default_config_static_selectorELNS0_4arch9wavefront6targetE0EEEvT1_,"axG",@progbits,_ZN7rocprim17ROCPRIM_400000_NS6detail17trampoline_kernelINS0_14default_configENS1_25partition_config_selectorILNS1_17partition_subalgoE6EyNS0_10empty_typeEbEEZZNS1_14partition_implILS5_6ELb0ES3_mN6thrust23THRUST_200600_302600_NS6detail15normal_iteratorINSA_10device_ptrIyEEEEPS6_SG_NS0_5tupleIJNSA_16discard_iteratorINSA_11use_defaultEEES6_EEENSH_IJSG_SG_EEES6_PlJNSB_9not_fun_tI7is_trueIyEEEEEE10hipError_tPvRmT3_T4_T5_T6_T7_T9_mT8_P12ihipStream_tbDpT10_ENKUlT_T0_E_clISt17integral_constantIbLb0EES1A_IbLb1EEEEDaS16_S17_EUlS16_E_NS1_11comp_targetILNS1_3genE0ELNS1_11target_archE4294967295ELNS1_3gpuE0ELNS1_3repE0EEENS1_30default_config_static_selectorELNS0_4arch9wavefront6targetE0EEEvT1_,comdat
.Lfunc_end2165:
	.size	_ZN7rocprim17ROCPRIM_400000_NS6detail17trampoline_kernelINS0_14default_configENS1_25partition_config_selectorILNS1_17partition_subalgoE6EyNS0_10empty_typeEbEEZZNS1_14partition_implILS5_6ELb0ES3_mN6thrust23THRUST_200600_302600_NS6detail15normal_iteratorINSA_10device_ptrIyEEEEPS6_SG_NS0_5tupleIJNSA_16discard_iteratorINSA_11use_defaultEEES6_EEENSH_IJSG_SG_EEES6_PlJNSB_9not_fun_tI7is_trueIyEEEEEE10hipError_tPvRmT3_T4_T5_T6_T7_T9_mT8_P12ihipStream_tbDpT10_ENKUlT_T0_E_clISt17integral_constantIbLb0EES1A_IbLb1EEEEDaS16_S17_EUlS16_E_NS1_11comp_targetILNS1_3genE0ELNS1_11target_archE4294967295ELNS1_3gpuE0ELNS1_3repE0EEENS1_30default_config_static_selectorELNS0_4arch9wavefront6targetE0EEEvT1_, .Lfunc_end2165-_ZN7rocprim17ROCPRIM_400000_NS6detail17trampoline_kernelINS0_14default_configENS1_25partition_config_selectorILNS1_17partition_subalgoE6EyNS0_10empty_typeEbEEZZNS1_14partition_implILS5_6ELb0ES3_mN6thrust23THRUST_200600_302600_NS6detail15normal_iteratorINSA_10device_ptrIyEEEEPS6_SG_NS0_5tupleIJNSA_16discard_iteratorINSA_11use_defaultEEES6_EEENSH_IJSG_SG_EEES6_PlJNSB_9not_fun_tI7is_trueIyEEEEEE10hipError_tPvRmT3_T4_T5_T6_T7_T9_mT8_P12ihipStream_tbDpT10_ENKUlT_T0_E_clISt17integral_constantIbLb0EES1A_IbLb1EEEEDaS16_S17_EUlS16_E_NS1_11comp_targetILNS1_3genE0ELNS1_11target_archE4294967295ELNS1_3gpuE0ELNS1_3repE0EEENS1_30default_config_static_selectorELNS0_4arch9wavefront6targetE0EEEvT1_
                                        ; -- End function
	.set _ZN7rocprim17ROCPRIM_400000_NS6detail17trampoline_kernelINS0_14default_configENS1_25partition_config_selectorILNS1_17partition_subalgoE6EyNS0_10empty_typeEbEEZZNS1_14partition_implILS5_6ELb0ES3_mN6thrust23THRUST_200600_302600_NS6detail15normal_iteratorINSA_10device_ptrIyEEEEPS6_SG_NS0_5tupleIJNSA_16discard_iteratorINSA_11use_defaultEEES6_EEENSH_IJSG_SG_EEES6_PlJNSB_9not_fun_tI7is_trueIyEEEEEE10hipError_tPvRmT3_T4_T5_T6_T7_T9_mT8_P12ihipStream_tbDpT10_ENKUlT_T0_E_clISt17integral_constantIbLb0EES1A_IbLb1EEEEDaS16_S17_EUlS16_E_NS1_11comp_targetILNS1_3genE0ELNS1_11target_archE4294967295ELNS1_3gpuE0ELNS1_3repE0EEENS1_30default_config_static_selectorELNS0_4arch9wavefront6targetE0EEEvT1_.num_vgpr, 0
	.set _ZN7rocprim17ROCPRIM_400000_NS6detail17trampoline_kernelINS0_14default_configENS1_25partition_config_selectorILNS1_17partition_subalgoE6EyNS0_10empty_typeEbEEZZNS1_14partition_implILS5_6ELb0ES3_mN6thrust23THRUST_200600_302600_NS6detail15normal_iteratorINSA_10device_ptrIyEEEEPS6_SG_NS0_5tupleIJNSA_16discard_iteratorINSA_11use_defaultEEES6_EEENSH_IJSG_SG_EEES6_PlJNSB_9not_fun_tI7is_trueIyEEEEEE10hipError_tPvRmT3_T4_T5_T6_T7_T9_mT8_P12ihipStream_tbDpT10_ENKUlT_T0_E_clISt17integral_constantIbLb0EES1A_IbLb1EEEEDaS16_S17_EUlS16_E_NS1_11comp_targetILNS1_3genE0ELNS1_11target_archE4294967295ELNS1_3gpuE0ELNS1_3repE0EEENS1_30default_config_static_selectorELNS0_4arch9wavefront6targetE0EEEvT1_.num_agpr, 0
	.set _ZN7rocprim17ROCPRIM_400000_NS6detail17trampoline_kernelINS0_14default_configENS1_25partition_config_selectorILNS1_17partition_subalgoE6EyNS0_10empty_typeEbEEZZNS1_14partition_implILS5_6ELb0ES3_mN6thrust23THRUST_200600_302600_NS6detail15normal_iteratorINSA_10device_ptrIyEEEEPS6_SG_NS0_5tupleIJNSA_16discard_iteratorINSA_11use_defaultEEES6_EEENSH_IJSG_SG_EEES6_PlJNSB_9not_fun_tI7is_trueIyEEEEEE10hipError_tPvRmT3_T4_T5_T6_T7_T9_mT8_P12ihipStream_tbDpT10_ENKUlT_T0_E_clISt17integral_constantIbLb0EES1A_IbLb1EEEEDaS16_S17_EUlS16_E_NS1_11comp_targetILNS1_3genE0ELNS1_11target_archE4294967295ELNS1_3gpuE0ELNS1_3repE0EEENS1_30default_config_static_selectorELNS0_4arch9wavefront6targetE0EEEvT1_.numbered_sgpr, 0
	.set _ZN7rocprim17ROCPRIM_400000_NS6detail17trampoline_kernelINS0_14default_configENS1_25partition_config_selectorILNS1_17partition_subalgoE6EyNS0_10empty_typeEbEEZZNS1_14partition_implILS5_6ELb0ES3_mN6thrust23THRUST_200600_302600_NS6detail15normal_iteratorINSA_10device_ptrIyEEEEPS6_SG_NS0_5tupleIJNSA_16discard_iteratorINSA_11use_defaultEEES6_EEENSH_IJSG_SG_EEES6_PlJNSB_9not_fun_tI7is_trueIyEEEEEE10hipError_tPvRmT3_T4_T5_T6_T7_T9_mT8_P12ihipStream_tbDpT10_ENKUlT_T0_E_clISt17integral_constantIbLb0EES1A_IbLb1EEEEDaS16_S17_EUlS16_E_NS1_11comp_targetILNS1_3genE0ELNS1_11target_archE4294967295ELNS1_3gpuE0ELNS1_3repE0EEENS1_30default_config_static_selectorELNS0_4arch9wavefront6targetE0EEEvT1_.num_named_barrier, 0
	.set _ZN7rocprim17ROCPRIM_400000_NS6detail17trampoline_kernelINS0_14default_configENS1_25partition_config_selectorILNS1_17partition_subalgoE6EyNS0_10empty_typeEbEEZZNS1_14partition_implILS5_6ELb0ES3_mN6thrust23THRUST_200600_302600_NS6detail15normal_iteratorINSA_10device_ptrIyEEEEPS6_SG_NS0_5tupleIJNSA_16discard_iteratorINSA_11use_defaultEEES6_EEENSH_IJSG_SG_EEES6_PlJNSB_9not_fun_tI7is_trueIyEEEEEE10hipError_tPvRmT3_T4_T5_T6_T7_T9_mT8_P12ihipStream_tbDpT10_ENKUlT_T0_E_clISt17integral_constantIbLb0EES1A_IbLb1EEEEDaS16_S17_EUlS16_E_NS1_11comp_targetILNS1_3genE0ELNS1_11target_archE4294967295ELNS1_3gpuE0ELNS1_3repE0EEENS1_30default_config_static_selectorELNS0_4arch9wavefront6targetE0EEEvT1_.private_seg_size, 0
	.set _ZN7rocprim17ROCPRIM_400000_NS6detail17trampoline_kernelINS0_14default_configENS1_25partition_config_selectorILNS1_17partition_subalgoE6EyNS0_10empty_typeEbEEZZNS1_14partition_implILS5_6ELb0ES3_mN6thrust23THRUST_200600_302600_NS6detail15normal_iteratorINSA_10device_ptrIyEEEEPS6_SG_NS0_5tupleIJNSA_16discard_iteratorINSA_11use_defaultEEES6_EEENSH_IJSG_SG_EEES6_PlJNSB_9not_fun_tI7is_trueIyEEEEEE10hipError_tPvRmT3_T4_T5_T6_T7_T9_mT8_P12ihipStream_tbDpT10_ENKUlT_T0_E_clISt17integral_constantIbLb0EES1A_IbLb1EEEEDaS16_S17_EUlS16_E_NS1_11comp_targetILNS1_3genE0ELNS1_11target_archE4294967295ELNS1_3gpuE0ELNS1_3repE0EEENS1_30default_config_static_selectorELNS0_4arch9wavefront6targetE0EEEvT1_.uses_vcc, 0
	.set _ZN7rocprim17ROCPRIM_400000_NS6detail17trampoline_kernelINS0_14default_configENS1_25partition_config_selectorILNS1_17partition_subalgoE6EyNS0_10empty_typeEbEEZZNS1_14partition_implILS5_6ELb0ES3_mN6thrust23THRUST_200600_302600_NS6detail15normal_iteratorINSA_10device_ptrIyEEEEPS6_SG_NS0_5tupleIJNSA_16discard_iteratorINSA_11use_defaultEEES6_EEENSH_IJSG_SG_EEES6_PlJNSB_9not_fun_tI7is_trueIyEEEEEE10hipError_tPvRmT3_T4_T5_T6_T7_T9_mT8_P12ihipStream_tbDpT10_ENKUlT_T0_E_clISt17integral_constantIbLb0EES1A_IbLb1EEEEDaS16_S17_EUlS16_E_NS1_11comp_targetILNS1_3genE0ELNS1_11target_archE4294967295ELNS1_3gpuE0ELNS1_3repE0EEENS1_30default_config_static_selectorELNS0_4arch9wavefront6targetE0EEEvT1_.uses_flat_scratch, 0
	.set _ZN7rocprim17ROCPRIM_400000_NS6detail17trampoline_kernelINS0_14default_configENS1_25partition_config_selectorILNS1_17partition_subalgoE6EyNS0_10empty_typeEbEEZZNS1_14partition_implILS5_6ELb0ES3_mN6thrust23THRUST_200600_302600_NS6detail15normal_iteratorINSA_10device_ptrIyEEEEPS6_SG_NS0_5tupleIJNSA_16discard_iteratorINSA_11use_defaultEEES6_EEENSH_IJSG_SG_EEES6_PlJNSB_9not_fun_tI7is_trueIyEEEEEE10hipError_tPvRmT3_T4_T5_T6_T7_T9_mT8_P12ihipStream_tbDpT10_ENKUlT_T0_E_clISt17integral_constantIbLb0EES1A_IbLb1EEEEDaS16_S17_EUlS16_E_NS1_11comp_targetILNS1_3genE0ELNS1_11target_archE4294967295ELNS1_3gpuE0ELNS1_3repE0EEENS1_30default_config_static_selectorELNS0_4arch9wavefront6targetE0EEEvT1_.has_dyn_sized_stack, 0
	.set _ZN7rocprim17ROCPRIM_400000_NS6detail17trampoline_kernelINS0_14default_configENS1_25partition_config_selectorILNS1_17partition_subalgoE6EyNS0_10empty_typeEbEEZZNS1_14partition_implILS5_6ELb0ES3_mN6thrust23THRUST_200600_302600_NS6detail15normal_iteratorINSA_10device_ptrIyEEEEPS6_SG_NS0_5tupleIJNSA_16discard_iteratorINSA_11use_defaultEEES6_EEENSH_IJSG_SG_EEES6_PlJNSB_9not_fun_tI7is_trueIyEEEEEE10hipError_tPvRmT3_T4_T5_T6_T7_T9_mT8_P12ihipStream_tbDpT10_ENKUlT_T0_E_clISt17integral_constantIbLb0EES1A_IbLb1EEEEDaS16_S17_EUlS16_E_NS1_11comp_targetILNS1_3genE0ELNS1_11target_archE4294967295ELNS1_3gpuE0ELNS1_3repE0EEENS1_30default_config_static_selectorELNS0_4arch9wavefront6targetE0EEEvT1_.has_recursion, 0
	.set _ZN7rocprim17ROCPRIM_400000_NS6detail17trampoline_kernelINS0_14default_configENS1_25partition_config_selectorILNS1_17partition_subalgoE6EyNS0_10empty_typeEbEEZZNS1_14partition_implILS5_6ELb0ES3_mN6thrust23THRUST_200600_302600_NS6detail15normal_iteratorINSA_10device_ptrIyEEEEPS6_SG_NS0_5tupleIJNSA_16discard_iteratorINSA_11use_defaultEEES6_EEENSH_IJSG_SG_EEES6_PlJNSB_9not_fun_tI7is_trueIyEEEEEE10hipError_tPvRmT3_T4_T5_T6_T7_T9_mT8_P12ihipStream_tbDpT10_ENKUlT_T0_E_clISt17integral_constantIbLb0EES1A_IbLb1EEEEDaS16_S17_EUlS16_E_NS1_11comp_targetILNS1_3genE0ELNS1_11target_archE4294967295ELNS1_3gpuE0ELNS1_3repE0EEENS1_30default_config_static_selectorELNS0_4arch9wavefront6targetE0EEEvT1_.has_indirect_call, 0
	.section	.AMDGPU.csdata,"",@progbits
; Kernel info:
; codeLenInByte = 0
; TotalNumSgprs: 0
; NumVgprs: 0
; ScratchSize: 0
; MemoryBound: 0
; FloatMode: 240
; IeeeMode: 1
; LDSByteSize: 0 bytes/workgroup (compile time only)
; SGPRBlocks: 0
; VGPRBlocks: 0
; NumSGPRsForWavesPerEU: 1
; NumVGPRsForWavesPerEU: 1
; Occupancy: 16
; WaveLimiterHint : 0
; COMPUTE_PGM_RSRC2:SCRATCH_EN: 0
; COMPUTE_PGM_RSRC2:USER_SGPR: 2
; COMPUTE_PGM_RSRC2:TRAP_HANDLER: 0
; COMPUTE_PGM_RSRC2:TGID_X_EN: 1
; COMPUTE_PGM_RSRC2:TGID_Y_EN: 0
; COMPUTE_PGM_RSRC2:TGID_Z_EN: 0
; COMPUTE_PGM_RSRC2:TIDIG_COMP_CNT: 0
	.section	.text._ZN7rocprim17ROCPRIM_400000_NS6detail17trampoline_kernelINS0_14default_configENS1_25partition_config_selectorILNS1_17partition_subalgoE6EyNS0_10empty_typeEbEEZZNS1_14partition_implILS5_6ELb0ES3_mN6thrust23THRUST_200600_302600_NS6detail15normal_iteratorINSA_10device_ptrIyEEEEPS6_SG_NS0_5tupleIJNSA_16discard_iteratorINSA_11use_defaultEEES6_EEENSH_IJSG_SG_EEES6_PlJNSB_9not_fun_tI7is_trueIyEEEEEE10hipError_tPvRmT3_T4_T5_T6_T7_T9_mT8_P12ihipStream_tbDpT10_ENKUlT_T0_E_clISt17integral_constantIbLb0EES1A_IbLb1EEEEDaS16_S17_EUlS16_E_NS1_11comp_targetILNS1_3genE5ELNS1_11target_archE942ELNS1_3gpuE9ELNS1_3repE0EEENS1_30default_config_static_selectorELNS0_4arch9wavefront6targetE0EEEvT1_,"axG",@progbits,_ZN7rocprim17ROCPRIM_400000_NS6detail17trampoline_kernelINS0_14default_configENS1_25partition_config_selectorILNS1_17partition_subalgoE6EyNS0_10empty_typeEbEEZZNS1_14partition_implILS5_6ELb0ES3_mN6thrust23THRUST_200600_302600_NS6detail15normal_iteratorINSA_10device_ptrIyEEEEPS6_SG_NS0_5tupleIJNSA_16discard_iteratorINSA_11use_defaultEEES6_EEENSH_IJSG_SG_EEES6_PlJNSB_9not_fun_tI7is_trueIyEEEEEE10hipError_tPvRmT3_T4_T5_T6_T7_T9_mT8_P12ihipStream_tbDpT10_ENKUlT_T0_E_clISt17integral_constantIbLb0EES1A_IbLb1EEEEDaS16_S17_EUlS16_E_NS1_11comp_targetILNS1_3genE5ELNS1_11target_archE942ELNS1_3gpuE9ELNS1_3repE0EEENS1_30default_config_static_selectorELNS0_4arch9wavefront6targetE0EEEvT1_,comdat
	.protected	_ZN7rocprim17ROCPRIM_400000_NS6detail17trampoline_kernelINS0_14default_configENS1_25partition_config_selectorILNS1_17partition_subalgoE6EyNS0_10empty_typeEbEEZZNS1_14partition_implILS5_6ELb0ES3_mN6thrust23THRUST_200600_302600_NS6detail15normal_iteratorINSA_10device_ptrIyEEEEPS6_SG_NS0_5tupleIJNSA_16discard_iteratorINSA_11use_defaultEEES6_EEENSH_IJSG_SG_EEES6_PlJNSB_9not_fun_tI7is_trueIyEEEEEE10hipError_tPvRmT3_T4_T5_T6_T7_T9_mT8_P12ihipStream_tbDpT10_ENKUlT_T0_E_clISt17integral_constantIbLb0EES1A_IbLb1EEEEDaS16_S17_EUlS16_E_NS1_11comp_targetILNS1_3genE5ELNS1_11target_archE942ELNS1_3gpuE9ELNS1_3repE0EEENS1_30default_config_static_selectorELNS0_4arch9wavefront6targetE0EEEvT1_ ; -- Begin function _ZN7rocprim17ROCPRIM_400000_NS6detail17trampoline_kernelINS0_14default_configENS1_25partition_config_selectorILNS1_17partition_subalgoE6EyNS0_10empty_typeEbEEZZNS1_14partition_implILS5_6ELb0ES3_mN6thrust23THRUST_200600_302600_NS6detail15normal_iteratorINSA_10device_ptrIyEEEEPS6_SG_NS0_5tupleIJNSA_16discard_iteratorINSA_11use_defaultEEES6_EEENSH_IJSG_SG_EEES6_PlJNSB_9not_fun_tI7is_trueIyEEEEEE10hipError_tPvRmT3_T4_T5_T6_T7_T9_mT8_P12ihipStream_tbDpT10_ENKUlT_T0_E_clISt17integral_constantIbLb0EES1A_IbLb1EEEEDaS16_S17_EUlS16_E_NS1_11comp_targetILNS1_3genE5ELNS1_11target_archE942ELNS1_3gpuE9ELNS1_3repE0EEENS1_30default_config_static_selectorELNS0_4arch9wavefront6targetE0EEEvT1_
	.globl	_ZN7rocprim17ROCPRIM_400000_NS6detail17trampoline_kernelINS0_14default_configENS1_25partition_config_selectorILNS1_17partition_subalgoE6EyNS0_10empty_typeEbEEZZNS1_14partition_implILS5_6ELb0ES3_mN6thrust23THRUST_200600_302600_NS6detail15normal_iteratorINSA_10device_ptrIyEEEEPS6_SG_NS0_5tupleIJNSA_16discard_iteratorINSA_11use_defaultEEES6_EEENSH_IJSG_SG_EEES6_PlJNSB_9not_fun_tI7is_trueIyEEEEEE10hipError_tPvRmT3_T4_T5_T6_T7_T9_mT8_P12ihipStream_tbDpT10_ENKUlT_T0_E_clISt17integral_constantIbLb0EES1A_IbLb1EEEEDaS16_S17_EUlS16_E_NS1_11comp_targetILNS1_3genE5ELNS1_11target_archE942ELNS1_3gpuE9ELNS1_3repE0EEENS1_30default_config_static_selectorELNS0_4arch9wavefront6targetE0EEEvT1_
	.p2align	8
	.type	_ZN7rocprim17ROCPRIM_400000_NS6detail17trampoline_kernelINS0_14default_configENS1_25partition_config_selectorILNS1_17partition_subalgoE6EyNS0_10empty_typeEbEEZZNS1_14partition_implILS5_6ELb0ES3_mN6thrust23THRUST_200600_302600_NS6detail15normal_iteratorINSA_10device_ptrIyEEEEPS6_SG_NS0_5tupleIJNSA_16discard_iteratorINSA_11use_defaultEEES6_EEENSH_IJSG_SG_EEES6_PlJNSB_9not_fun_tI7is_trueIyEEEEEE10hipError_tPvRmT3_T4_T5_T6_T7_T9_mT8_P12ihipStream_tbDpT10_ENKUlT_T0_E_clISt17integral_constantIbLb0EES1A_IbLb1EEEEDaS16_S17_EUlS16_E_NS1_11comp_targetILNS1_3genE5ELNS1_11target_archE942ELNS1_3gpuE9ELNS1_3repE0EEENS1_30default_config_static_selectorELNS0_4arch9wavefront6targetE0EEEvT1_,@function
_ZN7rocprim17ROCPRIM_400000_NS6detail17trampoline_kernelINS0_14default_configENS1_25partition_config_selectorILNS1_17partition_subalgoE6EyNS0_10empty_typeEbEEZZNS1_14partition_implILS5_6ELb0ES3_mN6thrust23THRUST_200600_302600_NS6detail15normal_iteratorINSA_10device_ptrIyEEEEPS6_SG_NS0_5tupleIJNSA_16discard_iteratorINSA_11use_defaultEEES6_EEENSH_IJSG_SG_EEES6_PlJNSB_9not_fun_tI7is_trueIyEEEEEE10hipError_tPvRmT3_T4_T5_T6_T7_T9_mT8_P12ihipStream_tbDpT10_ENKUlT_T0_E_clISt17integral_constantIbLb0EES1A_IbLb1EEEEDaS16_S17_EUlS16_E_NS1_11comp_targetILNS1_3genE5ELNS1_11target_archE942ELNS1_3gpuE9ELNS1_3repE0EEENS1_30default_config_static_selectorELNS0_4arch9wavefront6targetE0EEEvT1_: ; @_ZN7rocprim17ROCPRIM_400000_NS6detail17trampoline_kernelINS0_14default_configENS1_25partition_config_selectorILNS1_17partition_subalgoE6EyNS0_10empty_typeEbEEZZNS1_14partition_implILS5_6ELb0ES3_mN6thrust23THRUST_200600_302600_NS6detail15normal_iteratorINSA_10device_ptrIyEEEEPS6_SG_NS0_5tupleIJNSA_16discard_iteratorINSA_11use_defaultEEES6_EEENSH_IJSG_SG_EEES6_PlJNSB_9not_fun_tI7is_trueIyEEEEEE10hipError_tPvRmT3_T4_T5_T6_T7_T9_mT8_P12ihipStream_tbDpT10_ENKUlT_T0_E_clISt17integral_constantIbLb0EES1A_IbLb1EEEEDaS16_S17_EUlS16_E_NS1_11comp_targetILNS1_3genE5ELNS1_11target_archE942ELNS1_3gpuE9ELNS1_3repE0EEENS1_30default_config_static_selectorELNS0_4arch9wavefront6targetE0EEEvT1_
; %bb.0:
	.section	.rodata,"a",@progbits
	.p2align	6, 0x0
	.amdhsa_kernel _ZN7rocprim17ROCPRIM_400000_NS6detail17trampoline_kernelINS0_14default_configENS1_25partition_config_selectorILNS1_17partition_subalgoE6EyNS0_10empty_typeEbEEZZNS1_14partition_implILS5_6ELb0ES3_mN6thrust23THRUST_200600_302600_NS6detail15normal_iteratorINSA_10device_ptrIyEEEEPS6_SG_NS0_5tupleIJNSA_16discard_iteratorINSA_11use_defaultEEES6_EEENSH_IJSG_SG_EEES6_PlJNSB_9not_fun_tI7is_trueIyEEEEEE10hipError_tPvRmT3_T4_T5_T6_T7_T9_mT8_P12ihipStream_tbDpT10_ENKUlT_T0_E_clISt17integral_constantIbLb0EES1A_IbLb1EEEEDaS16_S17_EUlS16_E_NS1_11comp_targetILNS1_3genE5ELNS1_11target_archE942ELNS1_3gpuE9ELNS1_3repE0EEENS1_30default_config_static_selectorELNS0_4arch9wavefront6targetE0EEEvT1_
		.amdhsa_group_segment_fixed_size 0
		.amdhsa_private_segment_fixed_size 0
		.amdhsa_kernarg_size 136
		.amdhsa_user_sgpr_count 2
		.amdhsa_user_sgpr_dispatch_ptr 0
		.amdhsa_user_sgpr_queue_ptr 0
		.amdhsa_user_sgpr_kernarg_segment_ptr 1
		.amdhsa_user_sgpr_dispatch_id 0
		.amdhsa_user_sgpr_private_segment_size 0
		.amdhsa_wavefront_size32 1
		.amdhsa_uses_dynamic_stack 0
		.amdhsa_enable_private_segment 0
		.amdhsa_system_sgpr_workgroup_id_x 1
		.amdhsa_system_sgpr_workgroup_id_y 0
		.amdhsa_system_sgpr_workgroup_id_z 0
		.amdhsa_system_sgpr_workgroup_info 0
		.amdhsa_system_vgpr_workitem_id 0
		.amdhsa_next_free_vgpr 1
		.amdhsa_next_free_sgpr 1
		.amdhsa_reserve_vcc 0
		.amdhsa_float_round_mode_32 0
		.amdhsa_float_round_mode_16_64 0
		.amdhsa_float_denorm_mode_32 3
		.amdhsa_float_denorm_mode_16_64 3
		.amdhsa_fp16_overflow 0
		.amdhsa_workgroup_processor_mode 1
		.amdhsa_memory_ordered 1
		.amdhsa_forward_progress 1
		.amdhsa_inst_pref_size 0
		.amdhsa_round_robin_scheduling 0
		.amdhsa_exception_fp_ieee_invalid_op 0
		.amdhsa_exception_fp_denorm_src 0
		.amdhsa_exception_fp_ieee_div_zero 0
		.amdhsa_exception_fp_ieee_overflow 0
		.amdhsa_exception_fp_ieee_underflow 0
		.amdhsa_exception_fp_ieee_inexact 0
		.amdhsa_exception_int_div_zero 0
	.end_amdhsa_kernel
	.section	.text._ZN7rocprim17ROCPRIM_400000_NS6detail17trampoline_kernelINS0_14default_configENS1_25partition_config_selectorILNS1_17partition_subalgoE6EyNS0_10empty_typeEbEEZZNS1_14partition_implILS5_6ELb0ES3_mN6thrust23THRUST_200600_302600_NS6detail15normal_iteratorINSA_10device_ptrIyEEEEPS6_SG_NS0_5tupleIJNSA_16discard_iteratorINSA_11use_defaultEEES6_EEENSH_IJSG_SG_EEES6_PlJNSB_9not_fun_tI7is_trueIyEEEEEE10hipError_tPvRmT3_T4_T5_T6_T7_T9_mT8_P12ihipStream_tbDpT10_ENKUlT_T0_E_clISt17integral_constantIbLb0EES1A_IbLb1EEEEDaS16_S17_EUlS16_E_NS1_11comp_targetILNS1_3genE5ELNS1_11target_archE942ELNS1_3gpuE9ELNS1_3repE0EEENS1_30default_config_static_selectorELNS0_4arch9wavefront6targetE0EEEvT1_,"axG",@progbits,_ZN7rocprim17ROCPRIM_400000_NS6detail17trampoline_kernelINS0_14default_configENS1_25partition_config_selectorILNS1_17partition_subalgoE6EyNS0_10empty_typeEbEEZZNS1_14partition_implILS5_6ELb0ES3_mN6thrust23THRUST_200600_302600_NS6detail15normal_iteratorINSA_10device_ptrIyEEEEPS6_SG_NS0_5tupleIJNSA_16discard_iteratorINSA_11use_defaultEEES6_EEENSH_IJSG_SG_EEES6_PlJNSB_9not_fun_tI7is_trueIyEEEEEE10hipError_tPvRmT3_T4_T5_T6_T7_T9_mT8_P12ihipStream_tbDpT10_ENKUlT_T0_E_clISt17integral_constantIbLb0EES1A_IbLb1EEEEDaS16_S17_EUlS16_E_NS1_11comp_targetILNS1_3genE5ELNS1_11target_archE942ELNS1_3gpuE9ELNS1_3repE0EEENS1_30default_config_static_selectorELNS0_4arch9wavefront6targetE0EEEvT1_,comdat
.Lfunc_end2166:
	.size	_ZN7rocprim17ROCPRIM_400000_NS6detail17trampoline_kernelINS0_14default_configENS1_25partition_config_selectorILNS1_17partition_subalgoE6EyNS0_10empty_typeEbEEZZNS1_14partition_implILS5_6ELb0ES3_mN6thrust23THRUST_200600_302600_NS6detail15normal_iteratorINSA_10device_ptrIyEEEEPS6_SG_NS0_5tupleIJNSA_16discard_iteratorINSA_11use_defaultEEES6_EEENSH_IJSG_SG_EEES6_PlJNSB_9not_fun_tI7is_trueIyEEEEEE10hipError_tPvRmT3_T4_T5_T6_T7_T9_mT8_P12ihipStream_tbDpT10_ENKUlT_T0_E_clISt17integral_constantIbLb0EES1A_IbLb1EEEEDaS16_S17_EUlS16_E_NS1_11comp_targetILNS1_3genE5ELNS1_11target_archE942ELNS1_3gpuE9ELNS1_3repE0EEENS1_30default_config_static_selectorELNS0_4arch9wavefront6targetE0EEEvT1_, .Lfunc_end2166-_ZN7rocprim17ROCPRIM_400000_NS6detail17trampoline_kernelINS0_14default_configENS1_25partition_config_selectorILNS1_17partition_subalgoE6EyNS0_10empty_typeEbEEZZNS1_14partition_implILS5_6ELb0ES3_mN6thrust23THRUST_200600_302600_NS6detail15normal_iteratorINSA_10device_ptrIyEEEEPS6_SG_NS0_5tupleIJNSA_16discard_iteratorINSA_11use_defaultEEES6_EEENSH_IJSG_SG_EEES6_PlJNSB_9not_fun_tI7is_trueIyEEEEEE10hipError_tPvRmT3_T4_T5_T6_T7_T9_mT8_P12ihipStream_tbDpT10_ENKUlT_T0_E_clISt17integral_constantIbLb0EES1A_IbLb1EEEEDaS16_S17_EUlS16_E_NS1_11comp_targetILNS1_3genE5ELNS1_11target_archE942ELNS1_3gpuE9ELNS1_3repE0EEENS1_30default_config_static_selectorELNS0_4arch9wavefront6targetE0EEEvT1_
                                        ; -- End function
	.set _ZN7rocprim17ROCPRIM_400000_NS6detail17trampoline_kernelINS0_14default_configENS1_25partition_config_selectorILNS1_17partition_subalgoE6EyNS0_10empty_typeEbEEZZNS1_14partition_implILS5_6ELb0ES3_mN6thrust23THRUST_200600_302600_NS6detail15normal_iteratorINSA_10device_ptrIyEEEEPS6_SG_NS0_5tupleIJNSA_16discard_iteratorINSA_11use_defaultEEES6_EEENSH_IJSG_SG_EEES6_PlJNSB_9not_fun_tI7is_trueIyEEEEEE10hipError_tPvRmT3_T4_T5_T6_T7_T9_mT8_P12ihipStream_tbDpT10_ENKUlT_T0_E_clISt17integral_constantIbLb0EES1A_IbLb1EEEEDaS16_S17_EUlS16_E_NS1_11comp_targetILNS1_3genE5ELNS1_11target_archE942ELNS1_3gpuE9ELNS1_3repE0EEENS1_30default_config_static_selectorELNS0_4arch9wavefront6targetE0EEEvT1_.num_vgpr, 0
	.set _ZN7rocprim17ROCPRIM_400000_NS6detail17trampoline_kernelINS0_14default_configENS1_25partition_config_selectorILNS1_17partition_subalgoE6EyNS0_10empty_typeEbEEZZNS1_14partition_implILS5_6ELb0ES3_mN6thrust23THRUST_200600_302600_NS6detail15normal_iteratorINSA_10device_ptrIyEEEEPS6_SG_NS0_5tupleIJNSA_16discard_iteratorINSA_11use_defaultEEES6_EEENSH_IJSG_SG_EEES6_PlJNSB_9not_fun_tI7is_trueIyEEEEEE10hipError_tPvRmT3_T4_T5_T6_T7_T9_mT8_P12ihipStream_tbDpT10_ENKUlT_T0_E_clISt17integral_constantIbLb0EES1A_IbLb1EEEEDaS16_S17_EUlS16_E_NS1_11comp_targetILNS1_3genE5ELNS1_11target_archE942ELNS1_3gpuE9ELNS1_3repE0EEENS1_30default_config_static_selectorELNS0_4arch9wavefront6targetE0EEEvT1_.num_agpr, 0
	.set _ZN7rocprim17ROCPRIM_400000_NS6detail17trampoline_kernelINS0_14default_configENS1_25partition_config_selectorILNS1_17partition_subalgoE6EyNS0_10empty_typeEbEEZZNS1_14partition_implILS5_6ELb0ES3_mN6thrust23THRUST_200600_302600_NS6detail15normal_iteratorINSA_10device_ptrIyEEEEPS6_SG_NS0_5tupleIJNSA_16discard_iteratorINSA_11use_defaultEEES6_EEENSH_IJSG_SG_EEES6_PlJNSB_9not_fun_tI7is_trueIyEEEEEE10hipError_tPvRmT3_T4_T5_T6_T7_T9_mT8_P12ihipStream_tbDpT10_ENKUlT_T0_E_clISt17integral_constantIbLb0EES1A_IbLb1EEEEDaS16_S17_EUlS16_E_NS1_11comp_targetILNS1_3genE5ELNS1_11target_archE942ELNS1_3gpuE9ELNS1_3repE0EEENS1_30default_config_static_selectorELNS0_4arch9wavefront6targetE0EEEvT1_.numbered_sgpr, 0
	.set _ZN7rocprim17ROCPRIM_400000_NS6detail17trampoline_kernelINS0_14default_configENS1_25partition_config_selectorILNS1_17partition_subalgoE6EyNS0_10empty_typeEbEEZZNS1_14partition_implILS5_6ELb0ES3_mN6thrust23THRUST_200600_302600_NS6detail15normal_iteratorINSA_10device_ptrIyEEEEPS6_SG_NS0_5tupleIJNSA_16discard_iteratorINSA_11use_defaultEEES6_EEENSH_IJSG_SG_EEES6_PlJNSB_9not_fun_tI7is_trueIyEEEEEE10hipError_tPvRmT3_T4_T5_T6_T7_T9_mT8_P12ihipStream_tbDpT10_ENKUlT_T0_E_clISt17integral_constantIbLb0EES1A_IbLb1EEEEDaS16_S17_EUlS16_E_NS1_11comp_targetILNS1_3genE5ELNS1_11target_archE942ELNS1_3gpuE9ELNS1_3repE0EEENS1_30default_config_static_selectorELNS0_4arch9wavefront6targetE0EEEvT1_.num_named_barrier, 0
	.set _ZN7rocprim17ROCPRIM_400000_NS6detail17trampoline_kernelINS0_14default_configENS1_25partition_config_selectorILNS1_17partition_subalgoE6EyNS0_10empty_typeEbEEZZNS1_14partition_implILS5_6ELb0ES3_mN6thrust23THRUST_200600_302600_NS6detail15normal_iteratorINSA_10device_ptrIyEEEEPS6_SG_NS0_5tupleIJNSA_16discard_iteratorINSA_11use_defaultEEES6_EEENSH_IJSG_SG_EEES6_PlJNSB_9not_fun_tI7is_trueIyEEEEEE10hipError_tPvRmT3_T4_T5_T6_T7_T9_mT8_P12ihipStream_tbDpT10_ENKUlT_T0_E_clISt17integral_constantIbLb0EES1A_IbLb1EEEEDaS16_S17_EUlS16_E_NS1_11comp_targetILNS1_3genE5ELNS1_11target_archE942ELNS1_3gpuE9ELNS1_3repE0EEENS1_30default_config_static_selectorELNS0_4arch9wavefront6targetE0EEEvT1_.private_seg_size, 0
	.set _ZN7rocprim17ROCPRIM_400000_NS6detail17trampoline_kernelINS0_14default_configENS1_25partition_config_selectorILNS1_17partition_subalgoE6EyNS0_10empty_typeEbEEZZNS1_14partition_implILS5_6ELb0ES3_mN6thrust23THRUST_200600_302600_NS6detail15normal_iteratorINSA_10device_ptrIyEEEEPS6_SG_NS0_5tupleIJNSA_16discard_iteratorINSA_11use_defaultEEES6_EEENSH_IJSG_SG_EEES6_PlJNSB_9not_fun_tI7is_trueIyEEEEEE10hipError_tPvRmT3_T4_T5_T6_T7_T9_mT8_P12ihipStream_tbDpT10_ENKUlT_T0_E_clISt17integral_constantIbLb0EES1A_IbLb1EEEEDaS16_S17_EUlS16_E_NS1_11comp_targetILNS1_3genE5ELNS1_11target_archE942ELNS1_3gpuE9ELNS1_3repE0EEENS1_30default_config_static_selectorELNS0_4arch9wavefront6targetE0EEEvT1_.uses_vcc, 0
	.set _ZN7rocprim17ROCPRIM_400000_NS6detail17trampoline_kernelINS0_14default_configENS1_25partition_config_selectorILNS1_17partition_subalgoE6EyNS0_10empty_typeEbEEZZNS1_14partition_implILS5_6ELb0ES3_mN6thrust23THRUST_200600_302600_NS6detail15normal_iteratorINSA_10device_ptrIyEEEEPS6_SG_NS0_5tupleIJNSA_16discard_iteratorINSA_11use_defaultEEES6_EEENSH_IJSG_SG_EEES6_PlJNSB_9not_fun_tI7is_trueIyEEEEEE10hipError_tPvRmT3_T4_T5_T6_T7_T9_mT8_P12ihipStream_tbDpT10_ENKUlT_T0_E_clISt17integral_constantIbLb0EES1A_IbLb1EEEEDaS16_S17_EUlS16_E_NS1_11comp_targetILNS1_3genE5ELNS1_11target_archE942ELNS1_3gpuE9ELNS1_3repE0EEENS1_30default_config_static_selectorELNS0_4arch9wavefront6targetE0EEEvT1_.uses_flat_scratch, 0
	.set _ZN7rocprim17ROCPRIM_400000_NS6detail17trampoline_kernelINS0_14default_configENS1_25partition_config_selectorILNS1_17partition_subalgoE6EyNS0_10empty_typeEbEEZZNS1_14partition_implILS5_6ELb0ES3_mN6thrust23THRUST_200600_302600_NS6detail15normal_iteratorINSA_10device_ptrIyEEEEPS6_SG_NS0_5tupleIJNSA_16discard_iteratorINSA_11use_defaultEEES6_EEENSH_IJSG_SG_EEES6_PlJNSB_9not_fun_tI7is_trueIyEEEEEE10hipError_tPvRmT3_T4_T5_T6_T7_T9_mT8_P12ihipStream_tbDpT10_ENKUlT_T0_E_clISt17integral_constantIbLb0EES1A_IbLb1EEEEDaS16_S17_EUlS16_E_NS1_11comp_targetILNS1_3genE5ELNS1_11target_archE942ELNS1_3gpuE9ELNS1_3repE0EEENS1_30default_config_static_selectorELNS0_4arch9wavefront6targetE0EEEvT1_.has_dyn_sized_stack, 0
	.set _ZN7rocprim17ROCPRIM_400000_NS6detail17trampoline_kernelINS0_14default_configENS1_25partition_config_selectorILNS1_17partition_subalgoE6EyNS0_10empty_typeEbEEZZNS1_14partition_implILS5_6ELb0ES3_mN6thrust23THRUST_200600_302600_NS6detail15normal_iteratorINSA_10device_ptrIyEEEEPS6_SG_NS0_5tupleIJNSA_16discard_iteratorINSA_11use_defaultEEES6_EEENSH_IJSG_SG_EEES6_PlJNSB_9not_fun_tI7is_trueIyEEEEEE10hipError_tPvRmT3_T4_T5_T6_T7_T9_mT8_P12ihipStream_tbDpT10_ENKUlT_T0_E_clISt17integral_constantIbLb0EES1A_IbLb1EEEEDaS16_S17_EUlS16_E_NS1_11comp_targetILNS1_3genE5ELNS1_11target_archE942ELNS1_3gpuE9ELNS1_3repE0EEENS1_30default_config_static_selectorELNS0_4arch9wavefront6targetE0EEEvT1_.has_recursion, 0
	.set _ZN7rocprim17ROCPRIM_400000_NS6detail17trampoline_kernelINS0_14default_configENS1_25partition_config_selectorILNS1_17partition_subalgoE6EyNS0_10empty_typeEbEEZZNS1_14partition_implILS5_6ELb0ES3_mN6thrust23THRUST_200600_302600_NS6detail15normal_iteratorINSA_10device_ptrIyEEEEPS6_SG_NS0_5tupleIJNSA_16discard_iteratorINSA_11use_defaultEEES6_EEENSH_IJSG_SG_EEES6_PlJNSB_9not_fun_tI7is_trueIyEEEEEE10hipError_tPvRmT3_T4_T5_T6_T7_T9_mT8_P12ihipStream_tbDpT10_ENKUlT_T0_E_clISt17integral_constantIbLb0EES1A_IbLb1EEEEDaS16_S17_EUlS16_E_NS1_11comp_targetILNS1_3genE5ELNS1_11target_archE942ELNS1_3gpuE9ELNS1_3repE0EEENS1_30default_config_static_selectorELNS0_4arch9wavefront6targetE0EEEvT1_.has_indirect_call, 0
	.section	.AMDGPU.csdata,"",@progbits
; Kernel info:
; codeLenInByte = 0
; TotalNumSgprs: 0
; NumVgprs: 0
; ScratchSize: 0
; MemoryBound: 0
; FloatMode: 240
; IeeeMode: 1
; LDSByteSize: 0 bytes/workgroup (compile time only)
; SGPRBlocks: 0
; VGPRBlocks: 0
; NumSGPRsForWavesPerEU: 1
; NumVGPRsForWavesPerEU: 1
; Occupancy: 16
; WaveLimiterHint : 0
; COMPUTE_PGM_RSRC2:SCRATCH_EN: 0
; COMPUTE_PGM_RSRC2:USER_SGPR: 2
; COMPUTE_PGM_RSRC2:TRAP_HANDLER: 0
; COMPUTE_PGM_RSRC2:TGID_X_EN: 1
; COMPUTE_PGM_RSRC2:TGID_Y_EN: 0
; COMPUTE_PGM_RSRC2:TGID_Z_EN: 0
; COMPUTE_PGM_RSRC2:TIDIG_COMP_CNT: 0
	.section	.text._ZN7rocprim17ROCPRIM_400000_NS6detail17trampoline_kernelINS0_14default_configENS1_25partition_config_selectorILNS1_17partition_subalgoE6EyNS0_10empty_typeEbEEZZNS1_14partition_implILS5_6ELb0ES3_mN6thrust23THRUST_200600_302600_NS6detail15normal_iteratorINSA_10device_ptrIyEEEEPS6_SG_NS0_5tupleIJNSA_16discard_iteratorINSA_11use_defaultEEES6_EEENSH_IJSG_SG_EEES6_PlJNSB_9not_fun_tI7is_trueIyEEEEEE10hipError_tPvRmT3_T4_T5_T6_T7_T9_mT8_P12ihipStream_tbDpT10_ENKUlT_T0_E_clISt17integral_constantIbLb0EES1A_IbLb1EEEEDaS16_S17_EUlS16_E_NS1_11comp_targetILNS1_3genE4ELNS1_11target_archE910ELNS1_3gpuE8ELNS1_3repE0EEENS1_30default_config_static_selectorELNS0_4arch9wavefront6targetE0EEEvT1_,"axG",@progbits,_ZN7rocprim17ROCPRIM_400000_NS6detail17trampoline_kernelINS0_14default_configENS1_25partition_config_selectorILNS1_17partition_subalgoE6EyNS0_10empty_typeEbEEZZNS1_14partition_implILS5_6ELb0ES3_mN6thrust23THRUST_200600_302600_NS6detail15normal_iteratorINSA_10device_ptrIyEEEEPS6_SG_NS0_5tupleIJNSA_16discard_iteratorINSA_11use_defaultEEES6_EEENSH_IJSG_SG_EEES6_PlJNSB_9not_fun_tI7is_trueIyEEEEEE10hipError_tPvRmT3_T4_T5_T6_T7_T9_mT8_P12ihipStream_tbDpT10_ENKUlT_T0_E_clISt17integral_constantIbLb0EES1A_IbLb1EEEEDaS16_S17_EUlS16_E_NS1_11comp_targetILNS1_3genE4ELNS1_11target_archE910ELNS1_3gpuE8ELNS1_3repE0EEENS1_30default_config_static_selectorELNS0_4arch9wavefront6targetE0EEEvT1_,comdat
	.protected	_ZN7rocprim17ROCPRIM_400000_NS6detail17trampoline_kernelINS0_14default_configENS1_25partition_config_selectorILNS1_17partition_subalgoE6EyNS0_10empty_typeEbEEZZNS1_14partition_implILS5_6ELb0ES3_mN6thrust23THRUST_200600_302600_NS6detail15normal_iteratorINSA_10device_ptrIyEEEEPS6_SG_NS0_5tupleIJNSA_16discard_iteratorINSA_11use_defaultEEES6_EEENSH_IJSG_SG_EEES6_PlJNSB_9not_fun_tI7is_trueIyEEEEEE10hipError_tPvRmT3_T4_T5_T6_T7_T9_mT8_P12ihipStream_tbDpT10_ENKUlT_T0_E_clISt17integral_constantIbLb0EES1A_IbLb1EEEEDaS16_S17_EUlS16_E_NS1_11comp_targetILNS1_3genE4ELNS1_11target_archE910ELNS1_3gpuE8ELNS1_3repE0EEENS1_30default_config_static_selectorELNS0_4arch9wavefront6targetE0EEEvT1_ ; -- Begin function _ZN7rocprim17ROCPRIM_400000_NS6detail17trampoline_kernelINS0_14default_configENS1_25partition_config_selectorILNS1_17partition_subalgoE6EyNS0_10empty_typeEbEEZZNS1_14partition_implILS5_6ELb0ES3_mN6thrust23THRUST_200600_302600_NS6detail15normal_iteratorINSA_10device_ptrIyEEEEPS6_SG_NS0_5tupleIJNSA_16discard_iteratorINSA_11use_defaultEEES6_EEENSH_IJSG_SG_EEES6_PlJNSB_9not_fun_tI7is_trueIyEEEEEE10hipError_tPvRmT3_T4_T5_T6_T7_T9_mT8_P12ihipStream_tbDpT10_ENKUlT_T0_E_clISt17integral_constantIbLb0EES1A_IbLb1EEEEDaS16_S17_EUlS16_E_NS1_11comp_targetILNS1_3genE4ELNS1_11target_archE910ELNS1_3gpuE8ELNS1_3repE0EEENS1_30default_config_static_selectorELNS0_4arch9wavefront6targetE0EEEvT1_
	.globl	_ZN7rocprim17ROCPRIM_400000_NS6detail17trampoline_kernelINS0_14default_configENS1_25partition_config_selectorILNS1_17partition_subalgoE6EyNS0_10empty_typeEbEEZZNS1_14partition_implILS5_6ELb0ES3_mN6thrust23THRUST_200600_302600_NS6detail15normal_iteratorINSA_10device_ptrIyEEEEPS6_SG_NS0_5tupleIJNSA_16discard_iteratorINSA_11use_defaultEEES6_EEENSH_IJSG_SG_EEES6_PlJNSB_9not_fun_tI7is_trueIyEEEEEE10hipError_tPvRmT3_T4_T5_T6_T7_T9_mT8_P12ihipStream_tbDpT10_ENKUlT_T0_E_clISt17integral_constantIbLb0EES1A_IbLb1EEEEDaS16_S17_EUlS16_E_NS1_11comp_targetILNS1_3genE4ELNS1_11target_archE910ELNS1_3gpuE8ELNS1_3repE0EEENS1_30default_config_static_selectorELNS0_4arch9wavefront6targetE0EEEvT1_
	.p2align	8
	.type	_ZN7rocprim17ROCPRIM_400000_NS6detail17trampoline_kernelINS0_14default_configENS1_25partition_config_selectorILNS1_17partition_subalgoE6EyNS0_10empty_typeEbEEZZNS1_14partition_implILS5_6ELb0ES3_mN6thrust23THRUST_200600_302600_NS6detail15normal_iteratorINSA_10device_ptrIyEEEEPS6_SG_NS0_5tupleIJNSA_16discard_iteratorINSA_11use_defaultEEES6_EEENSH_IJSG_SG_EEES6_PlJNSB_9not_fun_tI7is_trueIyEEEEEE10hipError_tPvRmT3_T4_T5_T6_T7_T9_mT8_P12ihipStream_tbDpT10_ENKUlT_T0_E_clISt17integral_constantIbLb0EES1A_IbLb1EEEEDaS16_S17_EUlS16_E_NS1_11comp_targetILNS1_3genE4ELNS1_11target_archE910ELNS1_3gpuE8ELNS1_3repE0EEENS1_30default_config_static_selectorELNS0_4arch9wavefront6targetE0EEEvT1_,@function
_ZN7rocprim17ROCPRIM_400000_NS6detail17trampoline_kernelINS0_14default_configENS1_25partition_config_selectorILNS1_17partition_subalgoE6EyNS0_10empty_typeEbEEZZNS1_14partition_implILS5_6ELb0ES3_mN6thrust23THRUST_200600_302600_NS6detail15normal_iteratorINSA_10device_ptrIyEEEEPS6_SG_NS0_5tupleIJNSA_16discard_iteratorINSA_11use_defaultEEES6_EEENSH_IJSG_SG_EEES6_PlJNSB_9not_fun_tI7is_trueIyEEEEEE10hipError_tPvRmT3_T4_T5_T6_T7_T9_mT8_P12ihipStream_tbDpT10_ENKUlT_T0_E_clISt17integral_constantIbLb0EES1A_IbLb1EEEEDaS16_S17_EUlS16_E_NS1_11comp_targetILNS1_3genE4ELNS1_11target_archE910ELNS1_3gpuE8ELNS1_3repE0EEENS1_30default_config_static_selectorELNS0_4arch9wavefront6targetE0EEEvT1_: ; @_ZN7rocprim17ROCPRIM_400000_NS6detail17trampoline_kernelINS0_14default_configENS1_25partition_config_selectorILNS1_17partition_subalgoE6EyNS0_10empty_typeEbEEZZNS1_14partition_implILS5_6ELb0ES3_mN6thrust23THRUST_200600_302600_NS6detail15normal_iteratorINSA_10device_ptrIyEEEEPS6_SG_NS0_5tupleIJNSA_16discard_iteratorINSA_11use_defaultEEES6_EEENSH_IJSG_SG_EEES6_PlJNSB_9not_fun_tI7is_trueIyEEEEEE10hipError_tPvRmT3_T4_T5_T6_T7_T9_mT8_P12ihipStream_tbDpT10_ENKUlT_T0_E_clISt17integral_constantIbLb0EES1A_IbLb1EEEEDaS16_S17_EUlS16_E_NS1_11comp_targetILNS1_3genE4ELNS1_11target_archE910ELNS1_3gpuE8ELNS1_3repE0EEENS1_30default_config_static_selectorELNS0_4arch9wavefront6targetE0EEEvT1_
; %bb.0:
	.section	.rodata,"a",@progbits
	.p2align	6, 0x0
	.amdhsa_kernel _ZN7rocprim17ROCPRIM_400000_NS6detail17trampoline_kernelINS0_14default_configENS1_25partition_config_selectorILNS1_17partition_subalgoE6EyNS0_10empty_typeEbEEZZNS1_14partition_implILS5_6ELb0ES3_mN6thrust23THRUST_200600_302600_NS6detail15normal_iteratorINSA_10device_ptrIyEEEEPS6_SG_NS0_5tupleIJNSA_16discard_iteratorINSA_11use_defaultEEES6_EEENSH_IJSG_SG_EEES6_PlJNSB_9not_fun_tI7is_trueIyEEEEEE10hipError_tPvRmT3_T4_T5_T6_T7_T9_mT8_P12ihipStream_tbDpT10_ENKUlT_T0_E_clISt17integral_constantIbLb0EES1A_IbLb1EEEEDaS16_S17_EUlS16_E_NS1_11comp_targetILNS1_3genE4ELNS1_11target_archE910ELNS1_3gpuE8ELNS1_3repE0EEENS1_30default_config_static_selectorELNS0_4arch9wavefront6targetE0EEEvT1_
		.amdhsa_group_segment_fixed_size 0
		.amdhsa_private_segment_fixed_size 0
		.amdhsa_kernarg_size 136
		.amdhsa_user_sgpr_count 2
		.amdhsa_user_sgpr_dispatch_ptr 0
		.amdhsa_user_sgpr_queue_ptr 0
		.amdhsa_user_sgpr_kernarg_segment_ptr 1
		.amdhsa_user_sgpr_dispatch_id 0
		.amdhsa_user_sgpr_private_segment_size 0
		.amdhsa_wavefront_size32 1
		.amdhsa_uses_dynamic_stack 0
		.amdhsa_enable_private_segment 0
		.amdhsa_system_sgpr_workgroup_id_x 1
		.amdhsa_system_sgpr_workgroup_id_y 0
		.amdhsa_system_sgpr_workgroup_id_z 0
		.amdhsa_system_sgpr_workgroup_info 0
		.amdhsa_system_vgpr_workitem_id 0
		.amdhsa_next_free_vgpr 1
		.amdhsa_next_free_sgpr 1
		.amdhsa_reserve_vcc 0
		.amdhsa_float_round_mode_32 0
		.amdhsa_float_round_mode_16_64 0
		.amdhsa_float_denorm_mode_32 3
		.amdhsa_float_denorm_mode_16_64 3
		.amdhsa_fp16_overflow 0
		.amdhsa_workgroup_processor_mode 1
		.amdhsa_memory_ordered 1
		.amdhsa_forward_progress 1
		.amdhsa_inst_pref_size 0
		.amdhsa_round_robin_scheduling 0
		.amdhsa_exception_fp_ieee_invalid_op 0
		.amdhsa_exception_fp_denorm_src 0
		.amdhsa_exception_fp_ieee_div_zero 0
		.amdhsa_exception_fp_ieee_overflow 0
		.amdhsa_exception_fp_ieee_underflow 0
		.amdhsa_exception_fp_ieee_inexact 0
		.amdhsa_exception_int_div_zero 0
	.end_amdhsa_kernel
	.section	.text._ZN7rocprim17ROCPRIM_400000_NS6detail17trampoline_kernelINS0_14default_configENS1_25partition_config_selectorILNS1_17partition_subalgoE6EyNS0_10empty_typeEbEEZZNS1_14partition_implILS5_6ELb0ES3_mN6thrust23THRUST_200600_302600_NS6detail15normal_iteratorINSA_10device_ptrIyEEEEPS6_SG_NS0_5tupleIJNSA_16discard_iteratorINSA_11use_defaultEEES6_EEENSH_IJSG_SG_EEES6_PlJNSB_9not_fun_tI7is_trueIyEEEEEE10hipError_tPvRmT3_T4_T5_T6_T7_T9_mT8_P12ihipStream_tbDpT10_ENKUlT_T0_E_clISt17integral_constantIbLb0EES1A_IbLb1EEEEDaS16_S17_EUlS16_E_NS1_11comp_targetILNS1_3genE4ELNS1_11target_archE910ELNS1_3gpuE8ELNS1_3repE0EEENS1_30default_config_static_selectorELNS0_4arch9wavefront6targetE0EEEvT1_,"axG",@progbits,_ZN7rocprim17ROCPRIM_400000_NS6detail17trampoline_kernelINS0_14default_configENS1_25partition_config_selectorILNS1_17partition_subalgoE6EyNS0_10empty_typeEbEEZZNS1_14partition_implILS5_6ELb0ES3_mN6thrust23THRUST_200600_302600_NS6detail15normal_iteratorINSA_10device_ptrIyEEEEPS6_SG_NS0_5tupleIJNSA_16discard_iteratorINSA_11use_defaultEEES6_EEENSH_IJSG_SG_EEES6_PlJNSB_9not_fun_tI7is_trueIyEEEEEE10hipError_tPvRmT3_T4_T5_T6_T7_T9_mT8_P12ihipStream_tbDpT10_ENKUlT_T0_E_clISt17integral_constantIbLb0EES1A_IbLb1EEEEDaS16_S17_EUlS16_E_NS1_11comp_targetILNS1_3genE4ELNS1_11target_archE910ELNS1_3gpuE8ELNS1_3repE0EEENS1_30default_config_static_selectorELNS0_4arch9wavefront6targetE0EEEvT1_,comdat
.Lfunc_end2167:
	.size	_ZN7rocprim17ROCPRIM_400000_NS6detail17trampoline_kernelINS0_14default_configENS1_25partition_config_selectorILNS1_17partition_subalgoE6EyNS0_10empty_typeEbEEZZNS1_14partition_implILS5_6ELb0ES3_mN6thrust23THRUST_200600_302600_NS6detail15normal_iteratorINSA_10device_ptrIyEEEEPS6_SG_NS0_5tupleIJNSA_16discard_iteratorINSA_11use_defaultEEES6_EEENSH_IJSG_SG_EEES6_PlJNSB_9not_fun_tI7is_trueIyEEEEEE10hipError_tPvRmT3_T4_T5_T6_T7_T9_mT8_P12ihipStream_tbDpT10_ENKUlT_T0_E_clISt17integral_constantIbLb0EES1A_IbLb1EEEEDaS16_S17_EUlS16_E_NS1_11comp_targetILNS1_3genE4ELNS1_11target_archE910ELNS1_3gpuE8ELNS1_3repE0EEENS1_30default_config_static_selectorELNS0_4arch9wavefront6targetE0EEEvT1_, .Lfunc_end2167-_ZN7rocprim17ROCPRIM_400000_NS6detail17trampoline_kernelINS0_14default_configENS1_25partition_config_selectorILNS1_17partition_subalgoE6EyNS0_10empty_typeEbEEZZNS1_14partition_implILS5_6ELb0ES3_mN6thrust23THRUST_200600_302600_NS6detail15normal_iteratorINSA_10device_ptrIyEEEEPS6_SG_NS0_5tupleIJNSA_16discard_iteratorINSA_11use_defaultEEES6_EEENSH_IJSG_SG_EEES6_PlJNSB_9not_fun_tI7is_trueIyEEEEEE10hipError_tPvRmT3_T4_T5_T6_T7_T9_mT8_P12ihipStream_tbDpT10_ENKUlT_T0_E_clISt17integral_constantIbLb0EES1A_IbLb1EEEEDaS16_S17_EUlS16_E_NS1_11comp_targetILNS1_3genE4ELNS1_11target_archE910ELNS1_3gpuE8ELNS1_3repE0EEENS1_30default_config_static_selectorELNS0_4arch9wavefront6targetE0EEEvT1_
                                        ; -- End function
	.set _ZN7rocprim17ROCPRIM_400000_NS6detail17trampoline_kernelINS0_14default_configENS1_25partition_config_selectorILNS1_17partition_subalgoE6EyNS0_10empty_typeEbEEZZNS1_14partition_implILS5_6ELb0ES3_mN6thrust23THRUST_200600_302600_NS6detail15normal_iteratorINSA_10device_ptrIyEEEEPS6_SG_NS0_5tupleIJNSA_16discard_iteratorINSA_11use_defaultEEES6_EEENSH_IJSG_SG_EEES6_PlJNSB_9not_fun_tI7is_trueIyEEEEEE10hipError_tPvRmT3_T4_T5_T6_T7_T9_mT8_P12ihipStream_tbDpT10_ENKUlT_T0_E_clISt17integral_constantIbLb0EES1A_IbLb1EEEEDaS16_S17_EUlS16_E_NS1_11comp_targetILNS1_3genE4ELNS1_11target_archE910ELNS1_3gpuE8ELNS1_3repE0EEENS1_30default_config_static_selectorELNS0_4arch9wavefront6targetE0EEEvT1_.num_vgpr, 0
	.set _ZN7rocprim17ROCPRIM_400000_NS6detail17trampoline_kernelINS0_14default_configENS1_25partition_config_selectorILNS1_17partition_subalgoE6EyNS0_10empty_typeEbEEZZNS1_14partition_implILS5_6ELb0ES3_mN6thrust23THRUST_200600_302600_NS6detail15normal_iteratorINSA_10device_ptrIyEEEEPS6_SG_NS0_5tupleIJNSA_16discard_iteratorINSA_11use_defaultEEES6_EEENSH_IJSG_SG_EEES6_PlJNSB_9not_fun_tI7is_trueIyEEEEEE10hipError_tPvRmT3_T4_T5_T6_T7_T9_mT8_P12ihipStream_tbDpT10_ENKUlT_T0_E_clISt17integral_constantIbLb0EES1A_IbLb1EEEEDaS16_S17_EUlS16_E_NS1_11comp_targetILNS1_3genE4ELNS1_11target_archE910ELNS1_3gpuE8ELNS1_3repE0EEENS1_30default_config_static_selectorELNS0_4arch9wavefront6targetE0EEEvT1_.num_agpr, 0
	.set _ZN7rocprim17ROCPRIM_400000_NS6detail17trampoline_kernelINS0_14default_configENS1_25partition_config_selectorILNS1_17partition_subalgoE6EyNS0_10empty_typeEbEEZZNS1_14partition_implILS5_6ELb0ES3_mN6thrust23THRUST_200600_302600_NS6detail15normal_iteratorINSA_10device_ptrIyEEEEPS6_SG_NS0_5tupleIJNSA_16discard_iteratorINSA_11use_defaultEEES6_EEENSH_IJSG_SG_EEES6_PlJNSB_9not_fun_tI7is_trueIyEEEEEE10hipError_tPvRmT3_T4_T5_T6_T7_T9_mT8_P12ihipStream_tbDpT10_ENKUlT_T0_E_clISt17integral_constantIbLb0EES1A_IbLb1EEEEDaS16_S17_EUlS16_E_NS1_11comp_targetILNS1_3genE4ELNS1_11target_archE910ELNS1_3gpuE8ELNS1_3repE0EEENS1_30default_config_static_selectorELNS0_4arch9wavefront6targetE0EEEvT1_.numbered_sgpr, 0
	.set _ZN7rocprim17ROCPRIM_400000_NS6detail17trampoline_kernelINS0_14default_configENS1_25partition_config_selectorILNS1_17partition_subalgoE6EyNS0_10empty_typeEbEEZZNS1_14partition_implILS5_6ELb0ES3_mN6thrust23THRUST_200600_302600_NS6detail15normal_iteratorINSA_10device_ptrIyEEEEPS6_SG_NS0_5tupleIJNSA_16discard_iteratorINSA_11use_defaultEEES6_EEENSH_IJSG_SG_EEES6_PlJNSB_9not_fun_tI7is_trueIyEEEEEE10hipError_tPvRmT3_T4_T5_T6_T7_T9_mT8_P12ihipStream_tbDpT10_ENKUlT_T0_E_clISt17integral_constantIbLb0EES1A_IbLb1EEEEDaS16_S17_EUlS16_E_NS1_11comp_targetILNS1_3genE4ELNS1_11target_archE910ELNS1_3gpuE8ELNS1_3repE0EEENS1_30default_config_static_selectorELNS0_4arch9wavefront6targetE0EEEvT1_.num_named_barrier, 0
	.set _ZN7rocprim17ROCPRIM_400000_NS6detail17trampoline_kernelINS0_14default_configENS1_25partition_config_selectorILNS1_17partition_subalgoE6EyNS0_10empty_typeEbEEZZNS1_14partition_implILS5_6ELb0ES3_mN6thrust23THRUST_200600_302600_NS6detail15normal_iteratorINSA_10device_ptrIyEEEEPS6_SG_NS0_5tupleIJNSA_16discard_iteratorINSA_11use_defaultEEES6_EEENSH_IJSG_SG_EEES6_PlJNSB_9not_fun_tI7is_trueIyEEEEEE10hipError_tPvRmT3_T4_T5_T6_T7_T9_mT8_P12ihipStream_tbDpT10_ENKUlT_T0_E_clISt17integral_constantIbLb0EES1A_IbLb1EEEEDaS16_S17_EUlS16_E_NS1_11comp_targetILNS1_3genE4ELNS1_11target_archE910ELNS1_3gpuE8ELNS1_3repE0EEENS1_30default_config_static_selectorELNS0_4arch9wavefront6targetE0EEEvT1_.private_seg_size, 0
	.set _ZN7rocprim17ROCPRIM_400000_NS6detail17trampoline_kernelINS0_14default_configENS1_25partition_config_selectorILNS1_17partition_subalgoE6EyNS0_10empty_typeEbEEZZNS1_14partition_implILS5_6ELb0ES3_mN6thrust23THRUST_200600_302600_NS6detail15normal_iteratorINSA_10device_ptrIyEEEEPS6_SG_NS0_5tupleIJNSA_16discard_iteratorINSA_11use_defaultEEES6_EEENSH_IJSG_SG_EEES6_PlJNSB_9not_fun_tI7is_trueIyEEEEEE10hipError_tPvRmT3_T4_T5_T6_T7_T9_mT8_P12ihipStream_tbDpT10_ENKUlT_T0_E_clISt17integral_constantIbLb0EES1A_IbLb1EEEEDaS16_S17_EUlS16_E_NS1_11comp_targetILNS1_3genE4ELNS1_11target_archE910ELNS1_3gpuE8ELNS1_3repE0EEENS1_30default_config_static_selectorELNS0_4arch9wavefront6targetE0EEEvT1_.uses_vcc, 0
	.set _ZN7rocprim17ROCPRIM_400000_NS6detail17trampoline_kernelINS0_14default_configENS1_25partition_config_selectorILNS1_17partition_subalgoE6EyNS0_10empty_typeEbEEZZNS1_14partition_implILS5_6ELb0ES3_mN6thrust23THRUST_200600_302600_NS6detail15normal_iteratorINSA_10device_ptrIyEEEEPS6_SG_NS0_5tupleIJNSA_16discard_iteratorINSA_11use_defaultEEES6_EEENSH_IJSG_SG_EEES6_PlJNSB_9not_fun_tI7is_trueIyEEEEEE10hipError_tPvRmT3_T4_T5_T6_T7_T9_mT8_P12ihipStream_tbDpT10_ENKUlT_T0_E_clISt17integral_constantIbLb0EES1A_IbLb1EEEEDaS16_S17_EUlS16_E_NS1_11comp_targetILNS1_3genE4ELNS1_11target_archE910ELNS1_3gpuE8ELNS1_3repE0EEENS1_30default_config_static_selectorELNS0_4arch9wavefront6targetE0EEEvT1_.uses_flat_scratch, 0
	.set _ZN7rocprim17ROCPRIM_400000_NS6detail17trampoline_kernelINS0_14default_configENS1_25partition_config_selectorILNS1_17partition_subalgoE6EyNS0_10empty_typeEbEEZZNS1_14partition_implILS5_6ELb0ES3_mN6thrust23THRUST_200600_302600_NS6detail15normal_iteratorINSA_10device_ptrIyEEEEPS6_SG_NS0_5tupleIJNSA_16discard_iteratorINSA_11use_defaultEEES6_EEENSH_IJSG_SG_EEES6_PlJNSB_9not_fun_tI7is_trueIyEEEEEE10hipError_tPvRmT3_T4_T5_T6_T7_T9_mT8_P12ihipStream_tbDpT10_ENKUlT_T0_E_clISt17integral_constantIbLb0EES1A_IbLb1EEEEDaS16_S17_EUlS16_E_NS1_11comp_targetILNS1_3genE4ELNS1_11target_archE910ELNS1_3gpuE8ELNS1_3repE0EEENS1_30default_config_static_selectorELNS0_4arch9wavefront6targetE0EEEvT1_.has_dyn_sized_stack, 0
	.set _ZN7rocprim17ROCPRIM_400000_NS6detail17trampoline_kernelINS0_14default_configENS1_25partition_config_selectorILNS1_17partition_subalgoE6EyNS0_10empty_typeEbEEZZNS1_14partition_implILS5_6ELb0ES3_mN6thrust23THRUST_200600_302600_NS6detail15normal_iteratorINSA_10device_ptrIyEEEEPS6_SG_NS0_5tupleIJNSA_16discard_iteratorINSA_11use_defaultEEES6_EEENSH_IJSG_SG_EEES6_PlJNSB_9not_fun_tI7is_trueIyEEEEEE10hipError_tPvRmT3_T4_T5_T6_T7_T9_mT8_P12ihipStream_tbDpT10_ENKUlT_T0_E_clISt17integral_constantIbLb0EES1A_IbLb1EEEEDaS16_S17_EUlS16_E_NS1_11comp_targetILNS1_3genE4ELNS1_11target_archE910ELNS1_3gpuE8ELNS1_3repE0EEENS1_30default_config_static_selectorELNS0_4arch9wavefront6targetE0EEEvT1_.has_recursion, 0
	.set _ZN7rocprim17ROCPRIM_400000_NS6detail17trampoline_kernelINS0_14default_configENS1_25partition_config_selectorILNS1_17partition_subalgoE6EyNS0_10empty_typeEbEEZZNS1_14partition_implILS5_6ELb0ES3_mN6thrust23THRUST_200600_302600_NS6detail15normal_iteratorINSA_10device_ptrIyEEEEPS6_SG_NS0_5tupleIJNSA_16discard_iteratorINSA_11use_defaultEEES6_EEENSH_IJSG_SG_EEES6_PlJNSB_9not_fun_tI7is_trueIyEEEEEE10hipError_tPvRmT3_T4_T5_T6_T7_T9_mT8_P12ihipStream_tbDpT10_ENKUlT_T0_E_clISt17integral_constantIbLb0EES1A_IbLb1EEEEDaS16_S17_EUlS16_E_NS1_11comp_targetILNS1_3genE4ELNS1_11target_archE910ELNS1_3gpuE8ELNS1_3repE0EEENS1_30default_config_static_selectorELNS0_4arch9wavefront6targetE0EEEvT1_.has_indirect_call, 0
	.section	.AMDGPU.csdata,"",@progbits
; Kernel info:
; codeLenInByte = 0
; TotalNumSgprs: 0
; NumVgprs: 0
; ScratchSize: 0
; MemoryBound: 0
; FloatMode: 240
; IeeeMode: 1
; LDSByteSize: 0 bytes/workgroup (compile time only)
; SGPRBlocks: 0
; VGPRBlocks: 0
; NumSGPRsForWavesPerEU: 1
; NumVGPRsForWavesPerEU: 1
; Occupancy: 16
; WaveLimiterHint : 0
; COMPUTE_PGM_RSRC2:SCRATCH_EN: 0
; COMPUTE_PGM_RSRC2:USER_SGPR: 2
; COMPUTE_PGM_RSRC2:TRAP_HANDLER: 0
; COMPUTE_PGM_RSRC2:TGID_X_EN: 1
; COMPUTE_PGM_RSRC2:TGID_Y_EN: 0
; COMPUTE_PGM_RSRC2:TGID_Z_EN: 0
; COMPUTE_PGM_RSRC2:TIDIG_COMP_CNT: 0
	.section	.text._ZN7rocprim17ROCPRIM_400000_NS6detail17trampoline_kernelINS0_14default_configENS1_25partition_config_selectorILNS1_17partition_subalgoE6EyNS0_10empty_typeEbEEZZNS1_14partition_implILS5_6ELb0ES3_mN6thrust23THRUST_200600_302600_NS6detail15normal_iteratorINSA_10device_ptrIyEEEEPS6_SG_NS0_5tupleIJNSA_16discard_iteratorINSA_11use_defaultEEES6_EEENSH_IJSG_SG_EEES6_PlJNSB_9not_fun_tI7is_trueIyEEEEEE10hipError_tPvRmT3_T4_T5_T6_T7_T9_mT8_P12ihipStream_tbDpT10_ENKUlT_T0_E_clISt17integral_constantIbLb0EES1A_IbLb1EEEEDaS16_S17_EUlS16_E_NS1_11comp_targetILNS1_3genE3ELNS1_11target_archE908ELNS1_3gpuE7ELNS1_3repE0EEENS1_30default_config_static_selectorELNS0_4arch9wavefront6targetE0EEEvT1_,"axG",@progbits,_ZN7rocprim17ROCPRIM_400000_NS6detail17trampoline_kernelINS0_14default_configENS1_25partition_config_selectorILNS1_17partition_subalgoE6EyNS0_10empty_typeEbEEZZNS1_14partition_implILS5_6ELb0ES3_mN6thrust23THRUST_200600_302600_NS6detail15normal_iteratorINSA_10device_ptrIyEEEEPS6_SG_NS0_5tupleIJNSA_16discard_iteratorINSA_11use_defaultEEES6_EEENSH_IJSG_SG_EEES6_PlJNSB_9not_fun_tI7is_trueIyEEEEEE10hipError_tPvRmT3_T4_T5_T6_T7_T9_mT8_P12ihipStream_tbDpT10_ENKUlT_T0_E_clISt17integral_constantIbLb0EES1A_IbLb1EEEEDaS16_S17_EUlS16_E_NS1_11comp_targetILNS1_3genE3ELNS1_11target_archE908ELNS1_3gpuE7ELNS1_3repE0EEENS1_30default_config_static_selectorELNS0_4arch9wavefront6targetE0EEEvT1_,comdat
	.protected	_ZN7rocprim17ROCPRIM_400000_NS6detail17trampoline_kernelINS0_14default_configENS1_25partition_config_selectorILNS1_17partition_subalgoE6EyNS0_10empty_typeEbEEZZNS1_14partition_implILS5_6ELb0ES3_mN6thrust23THRUST_200600_302600_NS6detail15normal_iteratorINSA_10device_ptrIyEEEEPS6_SG_NS0_5tupleIJNSA_16discard_iteratorINSA_11use_defaultEEES6_EEENSH_IJSG_SG_EEES6_PlJNSB_9not_fun_tI7is_trueIyEEEEEE10hipError_tPvRmT3_T4_T5_T6_T7_T9_mT8_P12ihipStream_tbDpT10_ENKUlT_T0_E_clISt17integral_constantIbLb0EES1A_IbLb1EEEEDaS16_S17_EUlS16_E_NS1_11comp_targetILNS1_3genE3ELNS1_11target_archE908ELNS1_3gpuE7ELNS1_3repE0EEENS1_30default_config_static_selectorELNS0_4arch9wavefront6targetE0EEEvT1_ ; -- Begin function _ZN7rocprim17ROCPRIM_400000_NS6detail17trampoline_kernelINS0_14default_configENS1_25partition_config_selectorILNS1_17partition_subalgoE6EyNS0_10empty_typeEbEEZZNS1_14partition_implILS5_6ELb0ES3_mN6thrust23THRUST_200600_302600_NS6detail15normal_iteratorINSA_10device_ptrIyEEEEPS6_SG_NS0_5tupleIJNSA_16discard_iteratorINSA_11use_defaultEEES6_EEENSH_IJSG_SG_EEES6_PlJNSB_9not_fun_tI7is_trueIyEEEEEE10hipError_tPvRmT3_T4_T5_T6_T7_T9_mT8_P12ihipStream_tbDpT10_ENKUlT_T0_E_clISt17integral_constantIbLb0EES1A_IbLb1EEEEDaS16_S17_EUlS16_E_NS1_11comp_targetILNS1_3genE3ELNS1_11target_archE908ELNS1_3gpuE7ELNS1_3repE0EEENS1_30default_config_static_selectorELNS0_4arch9wavefront6targetE0EEEvT1_
	.globl	_ZN7rocprim17ROCPRIM_400000_NS6detail17trampoline_kernelINS0_14default_configENS1_25partition_config_selectorILNS1_17partition_subalgoE6EyNS0_10empty_typeEbEEZZNS1_14partition_implILS5_6ELb0ES3_mN6thrust23THRUST_200600_302600_NS6detail15normal_iteratorINSA_10device_ptrIyEEEEPS6_SG_NS0_5tupleIJNSA_16discard_iteratorINSA_11use_defaultEEES6_EEENSH_IJSG_SG_EEES6_PlJNSB_9not_fun_tI7is_trueIyEEEEEE10hipError_tPvRmT3_T4_T5_T6_T7_T9_mT8_P12ihipStream_tbDpT10_ENKUlT_T0_E_clISt17integral_constantIbLb0EES1A_IbLb1EEEEDaS16_S17_EUlS16_E_NS1_11comp_targetILNS1_3genE3ELNS1_11target_archE908ELNS1_3gpuE7ELNS1_3repE0EEENS1_30default_config_static_selectorELNS0_4arch9wavefront6targetE0EEEvT1_
	.p2align	8
	.type	_ZN7rocprim17ROCPRIM_400000_NS6detail17trampoline_kernelINS0_14default_configENS1_25partition_config_selectorILNS1_17partition_subalgoE6EyNS0_10empty_typeEbEEZZNS1_14partition_implILS5_6ELb0ES3_mN6thrust23THRUST_200600_302600_NS6detail15normal_iteratorINSA_10device_ptrIyEEEEPS6_SG_NS0_5tupleIJNSA_16discard_iteratorINSA_11use_defaultEEES6_EEENSH_IJSG_SG_EEES6_PlJNSB_9not_fun_tI7is_trueIyEEEEEE10hipError_tPvRmT3_T4_T5_T6_T7_T9_mT8_P12ihipStream_tbDpT10_ENKUlT_T0_E_clISt17integral_constantIbLb0EES1A_IbLb1EEEEDaS16_S17_EUlS16_E_NS1_11comp_targetILNS1_3genE3ELNS1_11target_archE908ELNS1_3gpuE7ELNS1_3repE0EEENS1_30default_config_static_selectorELNS0_4arch9wavefront6targetE0EEEvT1_,@function
_ZN7rocprim17ROCPRIM_400000_NS6detail17trampoline_kernelINS0_14default_configENS1_25partition_config_selectorILNS1_17partition_subalgoE6EyNS0_10empty_typeEbEEZZNS1_14partition_implILS5_6ELb0ES3_mN6thrust23THRUST_200600_302600_NS6detail15normal_iteratorINSA_10device_ptrIyEEEEPS6_SG_NS0_5tupleIJNSA_16discard_iteratorINSA_11use_defaultEEES6_EEENSH_IJSG_SG_EEES6_PlJNSB_9not_fun_tI7is_trueIyEEEEEE10hipError_tPvRmT3_T4_T5_T6_T7_T9_mT8_P12ihipStream_tbDpT10_ENKUlT_T0_E_clISt17integral_constantIbLb0EES1A_IbLb1EEEEDaS16_S17_EUlS16_E_NS1_11comp_targetILNS1_3genE3ELNS1_11target_archE908ELNS1_3gpuE7ELNS1_3repE0EEENS1_30default_config_static_selectorELNS0_4arch9wavefront6targetE0EEEvT1_: ; @_ZN7rocprim17ROCPRIM_400000_NS6detail17trampoline_kernelINS0_14default_configENS1_25partition_config_selectorILNS1_17partition_subalgoE6EyNS0_10empty_typeEbEEZZNS1_14partition_implILS5_6ELb0ES3_mN6thrust23THRUST_200600_302600_NS6detail15normal_iteratorINSA_10device_ptrIyEEEEPS6_SG_NS0_5tupleIJNSA_16discard_iteratorINSA_11use_defaultEEES6_EEENSH_IJSG_SG_EEES6_PlJNSB_9not_fun_tI7is_trueIyEEEEEE10hipError_tPvRmT3_T4_T5_T6_T7_T9_mT8_P12ihipStream_tbDpT10_ENKUlT_T0_E_clISt17integral_constantIbLb0EES1A_IbLb1EEEEDaS16_S17_EUlS16_E_NS1_11comp_targetILNS1_3genE3ELNS1_11target_archE908ELNS1_3gpuE7ELNS1_3repE0EEENS1_30default_config_static_selectorELNS0_4arch9wavefront6targetE0EEEvT1_
; %bb.0:
	.section	.rodata,"a",@progbits
	.p2align	6, 0x0
	.amdhsa_kernel _ZN7rocprim17ROCPRIM_400000_NS6detail17trampoline_kernelINS0_14default_configENS1_25partition_config_selectorILNS1_17partition_subalgoE6EyNS0_10empty_typeEbEEZZNS1_14partition_implILS5_6ELb0ES3_mN6thrust23THRUST_200600_302600_NS6detail15normal_iteratorINSA_10device_ptrIyEEEEPS6_SG_NS0_5tupleIJNSA_16discard_iteratorINSA_11use_defaultEEES6_EEENSH_IJSG_SG_EEES6_PlJNSB_9not_fun_tI7is_trueIyEEEEEE10hipError_tPvRmT3_T4_T5_T6_T7_T9_mT8_P12ihipStream_tbDpT10_ENKUlT_T0_E_clISt17integral_constantIbLb0EES1A_IbLb1EEEEDaS16_S17_EUlS16_E_NS1_11comp_targetILNS1_3genE3ELNS1_11target_archE908ELNS1_3gpuE7ELNS1_3repE0EEENS1_30default_config_static_selectorELNS0_4arch9wavefront6targetE0EEEvT1_
		.amdhsa_group_segment_fixed_size 0
		.amdhsa_private_segment_fixed_size 0
		.amdhsa_kernarg_size 136
		.amdhsa_user_sgpr_count 2
		.amdhsa_user_sgpr_dispatch_ptr 0
		.amdhsa_user_sgpr_queue_ptr 0
		.amdhsa_user_sgpr_kernarg_segment_ptr 1
		.amdhsa_user_sgpr_dispatch_id 0
		.amdhsa_user_sgpr_private_segment_size 0
		.amdhsa_wavefront_size32 1
		.amdhsa_uses_dynamic_stack 0
		.amdhsa_enable_private_segment 0
		.amdhsa_system_sgpr_workgroup_id_x 1
		.amdhsa_system_sgpr_workgroup_id_y 0
		.amdhsa_system_sgpr_workgroup_id_z 0
		.amdhsa_system_sgpr_workgroup_info 0
		.amdhsa_system_vgpr_workitem_id 0
		.amdhsa_next_free_vgpr 1
		.amdhsa_next_free_sgpr 1
		.amdhsa_reserve_vcc 0
		.amdhsa_float_round_mode_32 0
		.amdhsa_float_round_mode_16_64 0
		.amdhsa_float_denorm_mode_32 3
		.amdhsa_float_denorm_mode_16_64 3
		.amdhsa_fp16_overflow 0
		.amdhsa_workgroup_processor_mode 1
		.amdhsa_memory_ordered 1
		.amdhsa_forward_progress 1
		.amdhsa_inst_pref_size 0
		.amdhsa_round_robin_scheduling 0
		.amdhsa_exception_fp_ieee_invalid_op 0
		.amdhsa_exception_fp_denorm_src 0
		.amdhsa_exception_fp_ieee_div_zero 0
		.amdhsa_exception_fp_ieee_overflow 0
		.amdhsa_exception_fp_ieee_underflow 0
		.amdhsa_exception_fp_ieee_inexact 0
		.amdhsa_exception_int_div_zero 0
	.end_amdhsa_kernel
	.section	.text._ZN7rocprim17ROCPRIM_400000_NS6detail17trampoline_kernelINS0_14default_configENS1_25partition_config_selectorILNS1_17partition_subalgoE6EyNS0_10empty_typeEbEEZZNS1_14partition_implILS5_6ELb0ES3_mN6thrust23THRUST_200600_302600_NS6detail15normal_iteratorINSA_10device_ptrIyEEEEPS6_SG_NS0_5tupleIJNSA_16discard_iteratorINSA_11use_defaultEEES6_EEENSH_IJSG_SG_EEES6_PlJNSB_9not_fun_tI7is_trueIyEEEEEE10hipError_tPvRmT3_T4_T5_T6_T7_T9_mT8_P12ihipStream_tbDpT10_ENKUlT_T0_E_clISt17integral_constantIbLb0EES1A_IbLb1EEEEDaS16_S17_EUlS16_E_NS1_11comp_targetILNS1_3genE3ELNS1_11target_archE908ELNS1_3gpuE7ELNS1_3repE0EEENS1_30default_config_static_selectorELNS0_4arch9wavefront6targetE0EEEvT1_,"axG",@progbits,_ZN7rocprim17ROCPRIM_400000_NS6detail17trampoline_kernelINS0_14default_configENS1_25partition_config_selectorILNS1_17partition_subalgoE6EyNS0_10empty_typeEbEEZZNS1_14partition_implILS5_6ELb0ES3_mN6thrust23THRUST_200600_302600_NS6detail15normal_iteratorINSA_10device_ptrIyEEEEPS6_SG_NS0_5tupleIJNSA_16discard_iteratorINSA_11use_defaultEEES6_EEENSH_IJSG_SG_EEES6_PlJNSB_9not_fun_tI7is_trueIyEEEEEE10hipError_tPvRmT3_T4_T5_T6_T7_T9_mT8_P12ihipStream_tbDpT10_ENKUlT_T0_E_clISt17integral_constantIbLb0EES1A_IbLb1EEEEDaS16_S17_EUlS16_E_NS1_11comp_targetILNS1_3genE3ELNS1_11target_archE908ELNS1_3gpuE7ELNS1_3repE0EEENS1_30default_config_static_selectorELNS0_4arch9wavefront6targetE0EEEvT1_,comdat
.Lfunc_end2168:
	.size	_ZN7rocprim17ROCPRIM_400000_NS6detail17trampoline_kernelINS0_14default_configENS1_25partition_config_selectorILNS1_17partition_subalgoE6EyNS0_10empty_typeEbEEZZNS1_14partition_implILS5_6ELb0ES3_mN6thrust23THRUST_200600_302600_NS6detail15normal_iteratorINSA_10device_ptrIyEEEEPS6_SG_NS0_5tupleIJNSA_16discard_iteratorINSA_11use_defaultEEES6_EEENSH_IJSG_SG_EEES6_PlJNSB_9not_fun_tI7is_trueIyEEEEEE10hipError_tPvRmT3_T4_T5_T6_T7_T9_mT8_P12ihipStream_tbDpT10_ENKUlT_T0_E_clISt17integral_constantIbLb0EES1A_IbLb1EEEEDaS16_S17_EUlS16_E_NS1_11comp_targetILNS1_3genE3ELNS1_11target_archE908ELNS1_3gpuE7ELNS1_3repE0EEENS1_30default_config_static_selectorELNS0_4arch9wavefront6targetE0EEEvT1_, .Lfunc_end2168-_ZN7rocprim17ROCPRIM_400000_NS6detail17trampoline_kernelINS0_14default_configENS1_25partition_config_selectorILNS1_17partition_subalgoE6EyNS0_10empty_typeEbEEZZNS1_14partition_implILS5_6ELb0ES3_mN6thrust23THRUST_200600_302600_NS6detail15normal_iteratorINSA_10device_ptrIyEEEEPS6_SG_NS0_5tupleIJNSA_16discard_iteratorINSA_11use_defaultEEES6_EEENSH_IJSG_SG_EEES6_PlJNSB_9not_fun_tI7is_trueIyEEEEEE10hipError_tPvRmT3_T4_T5_T6_T7_T9_mT8_P12ihipStream_tbDpT10_ENKUlT_T0_E_clISt17integral_constantIbLb0EES1A_IbLb1EEEEDaS16_S17_EUlS16_E_NS1_11comp_targetILNS1_3genE3ELNS1_11target_archE908ELNS1_3gpuE7ELNS1_3repE0EEENS1_30default_config_static_selectorELNS0_4arch9wavefront6targetE0EEEvT1_
                                        ; -- End function
	.set _ZN7rocprim17ROCPRIM_400000_NS6detail17trampoline_kernelINS0_14default_configENS1_25partition_config_selectorILNS1_17partition_subalgoE6EyNS0_10empty_typeEbEEZZNS1_14partition_implILS5_6ELb0ES3_mN6thrust23THRUST_200600_302600_NS6detail15normal_iteratorINSA_10device_ptrIyEEEEPS6_SG_NS0_5tupleIJNSA_16discard_iteratorINSA_11use_defaultEEES6_EEENSH_IJSG_SG_EEES6_PlJNSB_9not_fun_tI7is_trueIyEEEEEE10hipError_tPvRmT3_T4_T5_T6_T7_T9_mT8_P12ihipStream_tbDpT10_ENKUlT_T0_E_clISt17integral_constantIbLb0EES1A_IbLb1EEEEDaS16_S17_EUlS16_E_NS1_11comp_targetILNS1_3genE3ELNS1_11target_archE908ELNS1_3gpuE7ELNS1_3repE0EEENS1_30default_config_static_selectorELNS0_4arch9wavefront6targetE0EEEvT1_.num_vgpr, 0
	.set _ZN7rocprim17ROCPRIM_400000_NS6detail17trampoline_kernelINS0_14default_configENS1_25partition_config_selectorILNS1_17partition_subalgoE6EyNS0_10empty_typeEbEEZZNS1_14partition_implILS5_6ELb0ES3_mN6thrust23THRUST_200600_302600_NS6detail15normal_iteratorINSA_10device_ptrIyEEEEPS6_SG_NS0_5tupleIJNSA_16discard_iteratorINSA_11use_defaultEEES6_EEENSH_IJSG_SG_EEES6_PlJNSB_9not_fun_tI7is_trueIyEEEEEE10hipError_tPvRmT3_T4_T5_T6_T7_T9_mT8_P12ihipStream_tbDpT10_ENKUlT_T0_E_clISt17integral_constantIbLb0EES1A_IbLb1EEEEDaS16_S17_EUlS16_E_NS1_11comp_targetILNS1_3genE3ELNS1_11target_archE908ELNS1_3gpuE7ELNS1_3repE0EEENS1_30default_config_static_selectorELNS0_4arch9wavefront6targetE0EEEvT1_.num_agpr, 0
	.set _ZN7rocprim17ROCPRIM_400000_NS6detail17trampoline_kernelINS0_14default_configENS1_25partition_config_selectorILNS1_17partition_subalgoE6EyNS0_10empty_typeEbEEZZNS1_14partition_implILS5_6ELb0ES3_mN6thrust23THRUST_200600_302600_NS6detail15normal_iteratorINSA_10device_ptrIyEEEEPS6_SG_NS0_5tupleIJNSA_16discard_iteratorINSA_11use_defaultEEES6_EEENSH_IJSG_SG_EEES6_PlJNSB_9not_fun_tI7is_trueIyEEEEEE10hipError_tPvRmT3_T4_T5_T6_T7_T9_mT8_P12ihipStream_tbDpT10_ENKUlT_T0_E_clISt17integral_constantIbLb0EES1A_IbLb1EEEEDaS16_S17_EUlS16_E_NS1_11comp_targetILNS1_3genE3ELNS1_11target_archE908ELNS1_3gpuE7ELNS1_3repE0EEENS1_30default_config_static_selectorELNS0_4arch9wavefront6targetE0EEEvT1_.numbered_sgpr, 0
	.set _ZN7rocprim17ROCPRIM_400000_NS6detail17trampoline_kernelINS0_14default_configENS1_25partition_config_selectorILNS1_17partition_subalgoE6EyNS0_10empty_typeEbEEZZNS1_14partition_implILS5_6ELb0ES3_mN6thrust23THRUST_200600_302600_NS6detail15normal_iteratorINSA_10device_ptrIyEEEEPS6_SG_NS0_5tupleIJNSA_16discard_iteratorINSA_11use_defaultEEES6_EEENSH_IJSG_SG_EEES6_PlJNSB_9not_fun_tI7is_trueIyEEEEEE10hipError_tPvRmT3_T4_T5_T6_T7_T9_mT8_P12ihipStream_tbDpT10_ENKUlT_T0_E_clISt17integral_constantIbLb0EES1A_IbLb1EEEEDaS16_S17_EUlS16_E_NS1_11comp_targetILNS1_3genE3ELNS1_11target_archE908ELNS1_3gpuE7ELNS1_3repE0EEENS1_30default_config_static_selectorELNS0_4arch9wavefront6targetE0EEEvT1_.num_named_barrier, 0
	.set _ZN7rocprim17ROCPRIM_400000_NS6detail17trampoline_kernelINS0_14default_configENS1_25partition_config_selectorILNS1_17partition_subalgoE6EyNS0_10empty_typeEbEEZZNS1_14partition_implILS5_6ELb0ES3_mN6thrust23THRUST_200600_302600_NS6detail15normal_iteratorINSA_10device_ptrIyEEEEPS6_SG_NS0_5tupleIJNSA_16discard_iteratorINSA_11use_defaultEEES6_EEENSH_IJSG_SG_EEES6_PlJNSB_9not_fun_tI7is_trueIyEEEEEE10hipError_tPvRmT3_T4_T5_T6_T7_T9_mT8_P12ihipStream_tbDpT10_ENKUlT_T0_E_clISt17integral_constantIbLb0EES1A_IbLb1EEEEDaS16_S17_EUlS16_E_NS1_11comp_targetILNS1_3genE3ELNS1_11target_archE908ELNS1_3gpuE7ELNS1_3repE0EEENS1_30default_config_static_selectorELNS0_4arch9wavefront6targetE0EEEvT1_.private_seg_size, 0
	.set _ZN7rocprim17ROCPRIM_400000_NS6detail17trampoline_kernelINS0_14default_configENS1_25partition_config_selectorILNS1_17partition_subalgoE6EyNS0_10empty_typeEbEEZZNS1_14partition_implILS5_6ELb0ES3_mN6thrust23THRUST_200600_302600_NS6detail15normal_iteratorINSA_10device_ptrIyEEEEPS6_SG_NS0_5tupleIJNSA_16discard_iteratorINSA_11use_defaultEEES6_EEENSH_IJSG_SG_EEES6_PlJNSB_9not_fun_tI7is_trueIyEEEEEE10hipError_tPvRmT3_T4_T5_T6_T7_T9_mT8_P12ihipStream_tbDpT10_ENKUlT_T0_E_clISt17integral_constantIbLb0EES1A_IbLb1EEEEDaS16_S17_EUlS16_E_NS1_11comp_targetILNS1_3genE3ELNS1_11target_archE908ELNS1_3gpuE7ELNS1_3repE0EEENS1_30default_config_static_selectorELNS0_4arch9wavefront6targetE0EEEvT1_.uses_vcc, 0
	.set _ZN7rocprim17ROCPRIM_400000_NS6detail17trampoline_kernelINS0_14default_configENS1_25partition_config_selectorILNS1_17partition_subalgoE6EyNS0_10empty_typeEbEEZZNS1_14partition_implILS5_6ELb0ES3_mN6thrust23THRUST_200600_302600_NS6detail15normal_iteratorINSA_10device_ptrIyEEEEPS6_SG_NS0_5tupleIJNSA_16discard_iteratorINSA_11use_defaultEEES6_EEENSH_IJSG_SG_EEES6_PlJNSB_9not_fun_tI7is_trueIyEEEEEE10hipError_tPvRmT3_T4_T5_T6_T7_T9_mT8_P12ihipStream_tbDpT10_ENKUlT_T0_E_clISt17integral_constantIbLb0EES1A_IbLb1EEEEDaS16_S17_EUlS16_E_NS1_11comp_targetILNS1_3genE3ELNS1_11target_archE908ELNS1_3gpuE7ELNS1_3repE0EEENS1_30default_config_static_selectorELNS0_4arch9wavefront6targetE0EEEvT1_.uses_flat_scratch, 0
	.set _ZN7rocprim17ROCPRIM_400000_NS6detail17trampoline_kernelINS0_14default_configENS1_25partition_config_selectorILNS1_17partition_subalgoE6EyNS0_10empty_typeEbEEZZNS1_14partition_implILS5_6ELb0ES3_mN6thrust23THRUST_200600_302600_NS6detail15normal_iteratorINSA_10device_ptrIyEEEEPS6_SG_NS0_5tupleIJNSA_16discard_iteratorINSA_11use_defaultEEES6_EEENSH_IJSG_SG_EEES6_PlJNSB_9not_fun_tI7is_trueIyEEEEEE10hipError_tPvRmT3_T4_T5_T6_T7_T9_mT8_P12ihipStream_tbDpT10_ENKUlT_T0_E_clISt17integral_constantIbLb0EES1A_IbLb1EEEEDaS16_S17_EUlS16_E_NS1_11comp_targetILNS1_3genE3ELNS1_11target_archE908ELNS1_3gpuE7ELNS1_3repE0EEENS1_30default_config_static_selectorELNS0_4arch9wavefront6targetE0EEEvT1_.has_dyn_sized_stack, 0
	.set _ZN7rocprim17ROCPRIM_400000_NS6detail17trampoline_kernelINS0_14default_configENS1_25partition_config_selectorILNS1_17partition_subalgoE6EyNS0_10empty_typeEbEEZZNS1_14partition_implILS5_6ELb0ES3_mN6thrust23THRUST_200600_302600_NS6detail15normal_iteratorINSA_10device_ptrIyEEEEPS6_SG_NS0_5tupleIJNSA_16discard_iteratorINSA_11use_defaultEEES6_EEENSH_IJSG_SG_EEES6_PlJNSB_9not_fun_tI7is_trueIyEEEEEE10hipError_tPvRmT3_T4_T5_T6_T7_T9_mT8_P12ihipStream_tbDpT10_ENKUlT_T0_E_clISt17integral_constantIbLb0EES1A_IbLb1EEEEDaS16_S17_EUlS16_E_NS1_11comp_targetILNS1_3genE3ELNS1_11target_archE908ELNS1_3gpuE7ELNS1_3repE0EEENS1_30default_config_static_selectorELNS0_4arch9wavefront6targetE0EEEvT1_.has_recursion, 0
	.set _ZN7rocprim17ROCPRIM_400000_NS6detail17trampoline_kernelINS0_14default_configENS1_25partition_config_selectorILNS1_17partition_subalgoE6EyNS0_10empty_typeEbEEZZNS1_14partition_implILS5_6ELb0ES3_mN6thrust23THRUST_200600_302600_NS6detail15normal_iteratorINSA_10device_ptrIyEEEEPS6_SG_NS0_5tupleIJNSA_16discard_iteratorINSA_11use_defaultEEES6_EEENSH_IJSG_SG_EEES6_PlJNSB_9not_fun_tI7is_trueIyEEEEEE10hipError_tPvRmT3_T4_T5_T6_T7_T9_mT8_P12ihipStream_tbDpT10_ENKUlT_T0_E_clISt17integral_constantIbLb0EES1A_IbLb1EEEEDaS16_S17_EUlS16_E_NS1_11comp_targetILNS1_3genE3ELNS1_11target_archE908ELNS1_3gpuE7ELNS1_3repE0EEENS1_30default_config_static_selectorELNS0_4arch9wavefront6targetE0EEEvT1_.has_indirect_call, 0
	.section	.AMDGPU.csdata,"",@progbits
; Kernel info:
; codeLenInByte = 0
; TotalNumSgprs: 0
; NumVgprs: 0
; ScratchSize: 0
; MemoryBound: 0
; FloatMode: 240
; IeeeMode: 1
; LDSByteSize: 0 bytes/workgroup (compile time only)
; SGPRBlocks: 0
; VGPRBlocks: 0
; NumSGPRsForWavesPerEU: 1
; NumVGPRsForWavesPerEU: 1
; Occupancy: 16
; WaveLimiterHint : 0
; COMPUTE_PGM_RSRC2:SCRATCH_EN: 0
; COMPUTE_PGM_RSRC2:USER_SGPR: 2
; COMPUTE_PGM_RSRC2:TRAP_HANDLER: 0
; COMPUTE_PGM_RSRC2:TGID_X_EN: 1
; COMPUTE_PGM_RSRC2:TGID_Y_EN: 0
; COMPUTE_PGM_RSRC2:TGID_Z_EN: 0
; COMPUTE_PGM_RSRC2:TIDIG_COMP_CNT: 0
	.section	.text._ZN7rocprim17ROCPRIM_400000_NS6detail17trampoline_kernelINS0_14default_configENS1_25partition_config_selectorILNS1_17partition_subalgoE6EyNS0_10empty_typeEbEEZZNS1_14partition_implILS5_6ELb0ES3_mN6thrust23THRUST_200600_302600_NS6detail15normal_iteratorINSA_10device_ptrIyEEEEPS6_SG_NS0_5tupleIJNSA_16discard_iteratorINSA_11use_defaultEEES6_EEENSH_IJSG_SG_EEES6_PlJNSB_9not_fun_tI7is_trueIyEEEEEE10hipError_tPvRmT3_T4_T5_T6_T7_T9_mT8_P12ihipStream_tbDpT10_ENKUlT_T0_E_clISt17integral_constantIbLb0EES1A_IbLb1EEEEDaS16_S17_EUlS16_E_NS1_11comp_targetILNS1_3genE2ELNS1_11target_archE906ELNS1_3gpuE6ELNS1_3repE0EEENS1_30default_config_static_selectorELNS0_4arch9wavefront6targetE0EEEvT1_,"axG",@progbits,_ZN7rocprim17ROCPRIM_400000_NS6detail17trampoline_kernelINS0_14default_configENS1_25partition_config_selectorILNS1_17partition_subalgoE6EyNS0_10empty_typeEbEEZZNS1_14partition_implILS5_6ELb0ES3_mN6thrust23THRUST_200600_302600_NS6detail15normal_iteratorINSA_10device_ptrIyEEEEPS6_SG_NS0_5tupleIJNSA_16discard_iteratorINSA_11use_defaultEEES6_EEENSH_IJSG_SG_EEES6_PlJNSB_9not_fun_tI7is_trueIyEEEEEE10hipError_tPvRmT3_T4_T5_T6_T7_T9_mT8_P12ihipStream_tbDpT10_ENKUlT_T0_E_clISt17integral_constantIbLb0EES1A_IbLb1EEEEDaS16_S17_EUlS16_E_NS1_11comp_targetILNS1_3genE2ELNS1_11target_archE906ELNS1_3gpuE6ELNS1_3repE0EEENS1_30default_config_static_selectorELNS0_4arch9wavefront6targetE0EEEvT1_,comdat
	.protected	_ZN7rocprim17ROCPRIM_400000_NS6detail17trampoline_kernelINS0_14default_configENS1_25partition_config_selectorILNS1_17partition_subalgoE6EyNS0_10empty_typeEbEEZZNS1_14partition_implILS5_6ELb0ES3_mN6thrust23THRUST_200600_302600_NS6detail15normal_iteratorINSA_10device_ptrIyEEEEPS6_SG_NS0_5tupleIJNSA_16discard_iteratorINSA_11use_defaultEEES6_EEENSH_IJSG_SG_EEES6_PlJNSB_9not_fun_tI7is_trueIyEEEEEE10hipError_tPvRmT3_T4_T5_T6_T7_T9_mT8_P12ihipStream_tbDpT10_ENKUlT_T0_E_clISt17integral_constantIbLb0EES1A_IbLb1EEEEDaS16_S17_EUlS16_E_NS1_11comp_targetILNS1_3genE2ELNS1_11target_archE906ELNS1_3gpuE6ELNS1_3repE0EEENS1_30default_config_static_selectorELNS0_4arch9wavefront6targetE0EEEvT1_ ; -- Begin function _ZN7rocprim17ROCPRIM_400000_NS6detail17trampoline_kernelINS0_14default_configENS1_25partition_config_selectorILNS1_17partition_subalgoE6EyNS0_10empty_typeEbEEZZNS1_14partition_implILS5_6ELb0ES3_mN6thrust23THRUST_200600_302600_NS6detail15normal_iteratorINSA_10device_ptrIyEEEEPS6_SG_NS0_5tupleIJNSA_16discard_iteratorINSA_11use_defaultEEES6_EEENSH_IJSG_SG_EEES6_PlJNSB_9not_fun_tI7is_trueIyEEEEEE10hipError_tPvRmT3_T4_T5_T6_T7_T9_mT8_P12ihipStream_tbDpT10_ENKUlT_T0_E_clISt17integral_constantIbLb0EES1A_IbLb1EEEEDaS16_S17_EUlS16_E_NS1_11comp_targetILNS1_3genE2ELNS1_11target_archE906ELNS1_3gpuE6ELNS1_3repE0EEENS1_30default_config_static_selectorELNS0_4arch9wavefront6targetE0EEEvT1_
	.globl	_ZN7rocprim17ROCPRIM_400000_NS6detail17trampoline_kernelINS0_14default_configENS1_25partition_config_selectorILNS1_17partition_subalgoE6EyNS0_10empty_typeEbEEZZNS1_14partition_implILS5_6ELb0ES3_mN6thrust23THRUST_200600_302600_NS6detail15normal_iteratorINSA_10device_ptrIyEEEEPS6_SG_NS0_5tupleIJNSA_16discard_iteratorINSA_11use_defaultEEES6_EEENSH_IJSG_SG_EEES6_PlJNSB_9not_fun_tI7is_trueIyEEEEEE10hipError_tPvRmT3_T4_T5_T6_T7_T9_mT8_P12ihipStream_tbDpT10_ENKUlT_T0_E_clISt17integral_constantIbLb0EES1A_IbLb1EEEEDaS16_S17_EUlS16_E_NS1_11comp_targetILNS1_3genE2ELNS1_11target_archE906ELNS1_3gpuE6ELNS1_3repE0EEENS1_30default_config_static_selectorELNS0_4arch9wavefront6targetE0EEEvT1_
	.p2align	8
	.type	_ZN7rocprim17ROCPRIM_400000_NS6detail17trampoline_kernelINS0_14default_configENS1_25partition_config_selectorILNS1_17partition_subalgoE6EyNS0_10empty_typeEbEEZZNS1_14partition_implILS5_6ELb0ES3_mN6thrust23THRUST_200600_302600_NS6detail15normal_iteratorINSA_10device_ptrIyEEEEPS6_SG_NS0_5tupleIJNSA_16discard_iteratorINSA_11use_defaultEEES6_EEENSH_IJSG_SG_EEES6_PlJNSB_9not_fun_tI7is_trueIyEEEEEE10hipError_tPvRmT3_T4_T5_T6_T7_T9_mT8_P12ihipStream_tbDpT10_ENKUlT_T0_E_clISt17integral_constantIbLb0EES1A_IbLb1EEEEDaS16_S17_EUlS16_E_NS1_11comp_targetILNS1_3genE2ELNS1_11target_archE906ELNS1_3gpuE6ELNS1_3repE0EEENS1_30default_config_static_selectorELNS0_4arch9wavefront6targetE0EEEvT1_,@function
_ZN7rocprim17ROCPRIM_400000_NS6detail17trampoline_kernelINS0_14default_configENS1_25partition_config_selectorILNS1_17partition_subalgoE6EyNS0_10empty_typeEbEEZZNS1_14partition_implILS5_6ELb0ES3_mN6thrust23THRUST_200600_302600_NS6detail15normal_iteratorINSA_10device_ptrIyEEEEPS6_SG_NS0_5tupleIJNSA_16discard_iteratorINSA_11use_defaultEEES6_EEENSH_IJSG_SG_EEES6_PlJNSB_9not_fun_tI7is_trueIyEEEEEE10hipError_tPvRmT3_T4_T5_T6_T7_T9_mT8_P12ihipStream_tbDpT10_ENKUlT_T0_E_clISt17integral_constantIbLb0EES1A_IbLb1EEEEDaS16_S17_EUlS16_E_NS1_11comp_targetILNS1_3genE2ELNS1_11target_archE906ELNS1_3gpuE6ELNS1_3repE0EEENS1_30default_config_static_selectorELNS0_4arch9wavefront6targetE0EEEvT1_: ; @_ZN7rocprim17ROCPRIM_400000_NS6detail17trampoline_kernelINS0_14default_configENS1_25partition_config_selectorILNS1_17partition_subalgoE6EyNS0_10empty_typeEbEEZZNS1_14partition_implILS5_6ELb0ES3_mN6thrust23THRUST_200600_302600_NS6detail15normal_iteratorINSA_10device_ptrIyEEEEPS6_SG_NS0_5tupleIJNSA_16discard_iteratorINSA_11use_defaultEEES6_EEENSH_IJSG_SG_EEES6_PlJNSB_9not_fun_tI7is_trueIyEEEEEE10hipError_tPvRmT3_T4_T5_T6_T7_T9_mT8_P12ihipStream_tbDpT10_ENKUlT_T0_E_clISt17integral_constantIbLb0EES1A_IbLb1EEEEDaS16_S17_EUlS16_E_NS1_11comp_targetILNS1_3genE2ELNS1_11target_archE906ELNS1_3gpuE6ELNS1_3repE0EEENS1_30default_config_static_selectorELNS0_4arch9wavefront6targetE0EEEvT1_
; %bb.0:
	.section	.rodata,"a",@progbits
	.p2align	6, 0x0
	.amdhsa_kernel _ZN7rocprim17ROCPRIM_400000_NS6detail17trampoline_kernelINS0_14default_configENS1_25partition_config_selectorILNS1_17partition_subalgoE6EyNS0_10empty_typeEbEEZZNS1_14partition_implILS5_6ELb0ES3_mN6thrust23THRUST_200600_302600_NS6detail15normal_iteratorINSA_10device_ptrIyEEEEPS6_SG_NS0_5tupleIJNSA_16discard_iteratorINSA_11use_defaultEEES6_EEENSH_IJSG_SG_EEES6_PlJNSB_9not_fun_tI7is_trueIyEEEEEE10hipError_tPvRmT3_T4_T5_T6_T7_T9_mT8_P12ihipStream_tbDpT10_ENKUlT_T0_E_clISt17integral_constantIbLb0EES1A_IbLb1EEEEDaS16_S17_EUlS16_E_NS1_11comp_targetILNS1_3genE2ELNS1_11target_archE906ELNS1_3gpuE6ELNS1_3repE0EEENS1_30default_config_static_selectorELNS0_4arch9wavefront6targetE0EEEvT1_
		.amdhsa_group_segment_fixed_size 0
		.amdhsa_private_segment_fixed_size 0
		.amdhsa_kernarg_size 136
		.amdhsa_user_sgpr_count 2
		.amdhsa_user_sgpr_dispatch_ptr 0
		.amdhsa_user_sgpr_queue_ptr 0
		.amdhsa_user_sgpr_kernarg_segment_ptr 1
		.amdhsa_user_sgpr_dispatch_id 0
		.amdhsa_user_sgpr_private_segment_size 0
		.amdhsa_wavefront_size32 1
		.amdhsa_uses_dynamic_stack 0
		.amdhsa_enable_private_segment 0
		.amdhsa_system_sgpr_workgroup_id_x 1
		.amdhsa_system_sgpr_workgroup_id_y 0
		.amdhsa_system_sgpr_workgroup_id_z 0
		.amdhsa_system_sgpr_workgroup_info 0
		.amdhsa_system_vgpr_workitem_id 0
		.amdhsa_next_free_vgpr 1
		.amdhsa_next_free_sgpr 1
		.amdhsa_reserve_vcc 0
		.amdhsa_float_round_mode_32 0
		.amdhsa_float_round_mode_16_64 0
		.amdhsa_float_denorm_mode_32 3
		.amdhsa_float_denorm_mode_16_64 3
		.amdhsa_fp16_overflow 0
		.amdhsa_workgroup_processor_mode 1
		.amdhsa_memory_ordered 1
		.amdhsa_forward_progress 1
		.amdhsa_inst_pref_size 0
		.amdhsa_round_robin_scheduling 0
		.amdhsa_exception_fp_ieee_invalid_op 0
		.amdhsa_exception_fp_denorm_src 0
		.amdhsa_exception_fp_ieee_div_zero 0
		.amdhsa_exception_fp_ieee_overflow 0
		.amdhsa_exception_fp_ieee_underflow 0
		.amdhsa_exception_fp_ieee_inexact 0
		.amdhsa_exception_int_div_zero 0
	.end_amdhsa_kernel
	.section	.text._ZN7rocprim17ROCPRIM_400000_NS6detail17trampoline_kernelINS0_14default_configENS1_25partition_config_selectorILNS1_17partition_subalgoE6EyNS0_10empty_typeEbEEZZNS1_14partition_implILS5_6ELb0ES3_mN6thrust23THRUST_200600_302600_NS6detail15normal_iteratorINSA_10device_ptrIyEEEEPS6_SG_NS0_5tupleIJNSA_16discard_iteratorINSA_11use_defaultEEES6_EEENSH_IJSG_SG_EEES6_PlJNSB_9not_fun_tI7is_trueIyEEEEEE10hipError_tPvRmT3_T4_T5_T6_T7_T9_mT8_P12ihipStream_tbDpT10_ENKUlT_T0_E_clISt17integral_constantIbLb0EES1A_IbLb1EEEEDaS16_S17_EUlS16_E_NS1_11comp_targetILNS1_3genE2ELNS1_11target_archE906ELNS1_3gpuE6ELNS1_3repE0EEENS1_30default_config_static_selectorELNS0_4arch9wavefront6targetE0EEEvT1_,"axG",@progbits,_ZN7rocprim17ROCPRIM_400000_NS6detail17trampoline_kernelINS0_14default_configENS1_25partition_config_selectorILNS1_17partition_subalgoE6EyNS0_10empty_typeEbEEZZNS1_14partition_implILS5_6ELb0ES3_mN6thrust23THRUST_200600_302600_NS6detail15normal_iteratorINSA_10device_ptrIyEEEEPS6_SG_NS0_5tupleIJNSA_16discard_iteratorINSA_11use_defaultEEES6_EEENSH_IJSG_SG_EEES6_PlJNSB_9not_fun_tI7is_trueIyEEEEEE10hipError_tPvRmT3_T4_T5_T6_T7_T9_mT8_P12ihipStream_tbDpT10_ENKUlT_T0_E_clISt17integral_constantIbLb0EES1A_IbLb1EEEEDaS16_S17_EUlS16_E_NS1_11comp_targetILNS1_3genE2ELNS1_11target_archE906ELNS1_3gpuE6ELNS1_3repE0EEENS1_30default_config_static_selectorELNS0_4arch9wavefront6targetE0EEEvT1_,comdat
.Lfunc_end2169:
	.size	_ZN7rocprim17ROCPRIM_400000_NS6detail17trampoline_kernelINS0_14default_configENS1_25partition_config_selectorILNS1_17partition_subalgoE6EyNS0_10empty_typeEbEEZZNS1_14partition_implILS5_6ELb0ES3_mN6thrust23THRUST_200600_302600_NS6detail15normal_iteratorINSA_10device_ptrIyEEEEPS6_SG_NS0_5tupleIJNSA_16discard_iteratorINSA_11use_defaultEEES6_EEENSH_IJSG_SG_EEES6_PlJNSB_9not_fun_tI7is_trueIyEEEEEE10hipError_tPvRmT3_T4_T5_T6_T7_T9_mT8_P12ihipStream_tbDpT10_ENKUlT_T0_E_clISt17integral_constantIbLb0EES1A_IbLb1EEEEDaS16_S17_EUlS16_E_NS1_11comp_targetILNS1_3genE2ELNS1_11target_archE906ELNS1_3gpuE6ELNS1_3repE0EEENS1_30default_config_static_selectorELNS0_4arch9wavefront6targetE0EEEvT1_, .Lfunc_end2169-_ZN7rocprim17ROCPRIM_400000_NS6detail17trampoline_kernelINS0_14default_configENS1_25partition_config_selectorILNS1_17partition_subalgoE6EyNS0_10empty_typeEbEEZZNS1_14partition_implILS5_6ELb0ES3_mN6thrust23THRUST_200600_302600_NS6detail15normal_iteratorINSA_10device_ptrIyEEEEPS6_SG_NS0_5tupleIJNSA_16discard_iteratorINSA_11use_defaultEEES6_EEENSH_IJSG_SG_EEES6_PlJNSB_9not_fun_tI7is_trueIyEEEEEE10hipError_tPvRmT3_T4_T5_T6_T7_T9_mT8_P12ihipStream_tbDpT10_ENKUlT_T0_E_clISt17integral_constantIbLb0EES1A_IbLb1EEEEDaS16_S17_EUlS16_E_NS1_11comp_targetILNS1_3genE2ELNS1_11target_archE906ELNS1_3gpuE6ELNS1_3repE0EEENS1_30default_config_static_selectorELNS0_4arch9wavefront6targetE0EEEvT1_
                                        ; -- End function
	.set _ZN7rocprim17ROCPRIM_400000_NS6detail17trampoline_kernelINS0_14default_configENS1_25partition_config_selectorILNS1_17partition_subalgoE6EyNS0_10empty_typeEbEEZZNS1_14partition_implILS5_6ELb0ES3_mN6thrust23THRUST_200600_302600_NS6detail15normal_iteratorINSA_10device_ptrIyEEEEPS6_SG_NS0_5tupleIJNSA_16discard_iteratorINSA_11use_defaultEEES6_EEENSH_IJSG_SG_EEES6_PlJNSB_9not_fun_tI7is_trueIyEEEEEE10hipError_tPvRmT3_T4_T5_T6_T7_T9_mT8_P12ihipStream_tbDpT10_ENKUlT_T0_E_clISt17integral_constantIbLb0EES1A_IbLb1EEEEDaS16_S17_EUlS16_E_NS1_11comp_targetILNS1_3genE2ELNS1_11target_archE906ELNS1_3gpuE6ELNS1_3repE0EEENS1_30default_config_static_selectorELNS0_4arch9wavefront6targetE0EEEvT1_.num_vgpr, 0
	.set _ZN7rocprim17ROCPRIM_400000_NS6detail17trampoline_kernelINS0_14default_configENS1_25partition_config_selectorILNS1_17partition_subalgoE6EyNS0_10empty_typeEbEEZZNS1_14partition_implILS5_6ELb0ES3_mN6thrust23THRUST_200600_302600_NS6detail15normal_iteratorINSA_10device_ptrIyEEEEPS6_SG_NS0_5tupleIJNSA_16discard_iteratorINSA_11use_defaultEEES6_EEENSH_IJSG_SG_EEES6_PlJNSB_9not_fun_tI7is_trueIyEEEEEE10hipError_tPvRmT3_T4_T5_T6_T7_T9_mT8_P12ihipStream_tbDpT10_ENKUlT_T0_E_clISt17integral_constantIbLb0EES1A_IbLb1EEEEDaS16_S17_EUlS16_E_NS1_11comp_targetILNS1_3genE2ELNS1_11target_archE906ELNS1_3gpuE6ELNS1_3repE0EEENS1_30default_config_static_selectorELNS0_4arch9wavefront6targetE0EEEvT1_.num_agpr, 0
	.set _ZN7rocprim17ROCPRIM_400000_NS6detail17trampoline_kernelINS0_14default_configENS1_25partition_config_selectorILNS1_17partition_subalgoE6EyNS0_10empty_typeEbEEZZNS1_14partition_implILS5_6ELb0ES3_mN6thrust23THRUST_200600_302600_NS6detail15normal_iteratorINSA_10device_ptrIyEEEEPS6_SG_NS0_5tupleIJNSA_16discard_iteratorINSA_11use_defaultEEES6_EEENSH_IJSG_SG_EEES6_PlJNSB_9not_fun_tI7is_trueIyEEEEEE10hipError_tPvRmT3_T4_T5_T6_T7_T9_mT8_P12ihipStream_tbDpT10_ENKUlT_T0_E_clISt17integral_constantIbLb0EES1A_IbLb1EEEEDaS16_S17_EUlS16_E_NS1_11comp_targetILNS1_3genE2ELNS1_11target_archE906ELNS1_3gpuE6ELNS1_3repE0EEENS1_30default_config_static_selectorELNS0_4arch9wavefront6targetE0EEEvT1_.numbered_sgpr, 0
	.set _ZN7rocprim17ROCPRIM_400000_NS6detail17trampoline_kernelINS0_14default_configENS1_25partition_config_selectorILNS1_17partition_subalgoE6EyNS0_10empty_typeEbEEZZNS1_14partition_implILS5_6ELb0ES3_mN6thrust23THRUST_200600_302600_NS6detail15normal_iteratorINSA_10device_ptrIyEEEEPS6_SG_NS0_5tupleIJNSA_16discard_iteratorINSA_11use_defaultEEES6_EEENSH_IJSG_SG_EEES6_PlJNSB_9not_fun_tI7is_trueIyEEEEEE10hipError_tPvRmT3_T4_T5_T6_T7_T9_mT8_P12ihipStream_tbDpT10_ENKUlT_T0_E_clISt17integral_constantIbLb0EES1A_IbLb1EEEEDaS16_S17_EUlS16_E_NS1_11comp_targetILNS1_3genE2ELNS1_11target_archE906ELNS1_3gpuE6ELNS1_3repE0EEENS1_30default_config_static_selectorELNS0_4arch9wavefront6targetE0EEEvT1_.num_named_barrier, 0
	.set _ZN7rocprim17ROCPRIM_400000_NS6detail17trampoline_kernelINS0_14default_configENS1_25partition_config_selectorILNS1_17partition_subalgoE6EyNS0_10empty_typeEbEEZZNS1_14partition_implILS5_6ELb0ES3_mN6thrust23THRUST_200600_302600_NS6detail15normal_iteratorINSA_10device_ptrIyEEEEPS6_SG_NS0_5tupleIJNSA_16discard_iteratorINSA_11use_defaultEEES6_EEENSH_IJSG_SG_EEES6_PlJNSB_9not_fun_tI7is_trueIyEEEEEE10hipError_tPvRmT3_T4_T5_T6_T7_T9_mT8_P12ihipStream_tbDpT10_ENKUlT_T0_E_clISt17integral_constantIbLb0EES1A_IbLb1EEEEDaS16_S17_EUlS16_E_NS1_11comp_targetILNS1_3genE2ELNS1_11target_archE906ELNS1_3gpuE6ELNS1_3repE0EEENS1_30default_config_static_selectorELNS0_4arch9wavefront6targetE0EEEvT1_.private_seg_size, 0
	.set _ZN7rocprim17ROCPRIM_400000_NS6detail17trampoline_kernelINS0_14default_configENS1_25partition_config_selectorILNS1_17partition_subalgoE6EyNS0_10empty_typeEbEEZZNS1_14partition_implILS5_6ELb0ES3_mN6thrust23THRUST_200600_302600_NS6detail15normal_iteratorINSA_10device_ptrIyEEEEPS6_SG_NS0_5tupleIJNSA_16discard_iteratorINSA_11use_defaultEEES6_EEENSH_IJSG_SG_EEES6_PlJNSB_9not_fun_tI7is_trueIyEEEEEE10hipError_tPvRmT3_T4_T5_T6_T7_T9_mT8_P12ihipStream_tbDpT10_ENKUlT_T0_E_clISt17integral_constantIbLb0EES1A_IbLb1EEEEDaS16_S17_EUlS16_E_NS1_11comp_targetILNS1_3genE2ELNS1_11target_archE906ELNS1_3gpuE6ELNS1_3repE0EEENS1_30default_config_static_selectorELNS0_4arch9wavefront6targetE0EEEvT1_.uses_vcc, 0
	.set _ZN7rocprim17ROCPRIM_400000_NS6detail17trampoline_kernelINS0_14default_configENS1_25partition_config_selectorILNS1_17partition_subalgoE6EyNS0_10empty_typeEbEEZZNS1_14partition_implILS5_6ELb0ES3_mN6thrust23THRUST_200600_302600_NS6detail15normal_iteratorINSA_10device_ptrIyEEEEPS6_SG_NS0_5tupleIJNSA_16discard_iteratorINSA_11use_defaultEEES6_EEENSH_IJSG_SG_EEES6_PlJNSB_9not_fun_tI7is_trueIyEEEEEE10hipError_tPvRmT3_T4_T5_T6_T7_T9_mT8_P12ihipStream_tbDpT10_ENKUlT_T0_E_clISt17integral_constantIbLb0EES1A_IbLb1EEEEDaS16_S17_EUlS16_E_NS1_11comp_targetILNS1_3genE2ELNS1_11target_archE906ELNS1_3gpuE6ELNS1_3repE0EEENS1_30default_config_static_selectorELNS0_4arch9wavefront6targetE0EEEvT1_.uses_flat_scratch, 0
	.set _ZN7rocprim17ROCPRIM_400000_NS6detail17trampoline_kernelINS0_14default_configENS1_25partition_config_selectorILNS1_17partition_subalgoE6EyNS0_10empty_typeEbEEZZNS1_14partition_implILS5_6ELb0ES3_mN6thrust23THRUST_200600_302600_NS6detail15normal_iteratorINSA_10device_ptrIyEEEEPS6_SG_NS0_5tupleIJNSA_16discard_iteratorINSA_11use_defaultEEES6_EEENSH_IJSG_SG_EEES6_PlJNSB_9not_fun_tI7is_trueIyEEEEEE10hipError_tPvRmT3_T4_T5_T6_T7_T9_mT8_P12ihipStream_tbDpT10_ENKUlT_T0_E_clISt17integral_constantIbLb0EES1A_IbLb1EEEEDaS16_S17_EUlS16_E_NS1_11comp_targetILNS1_3genE2ELNS1_11target_archE906ELNS1_3gpuE6ELNS1_3repE0EEENS1_30default_config_static_selectorELNS0_4arch9wavefront6targetE0EEEvT1_.has_dyn_sized_stack, 0
	.set _ZN7rocprim17ROCPRIM_400000_NS6detail17trampoline_kernelINS0_14default_configENS1_25partition_config_selectorILNS1_17partition_subalgoE6EyNS0_10empty_typeEbEEZZNS1_14partition_implILS5_6ELb0ES3_mN6thrust23THRUST_200600_302600_NS6detail15normal_iteratorINSA_10device_ptrIyEEEEPS6_SG_NS0_5tupleIJNSA_16discard_iteratorINSA_11use_defaultEEES6_EEENSH_IJSG_SG_EEES6_PlJNSB_9not_fun_tI7is_trueIyEEEEEE10hipError_tPvRmT3_T4_T5_T6_T7_T9_mT8_P12ihipStream_tbDpT10_ENKUlT_T0_E_clISt17integral_constantIbLb0EES1A_IbLb1EEEEDaS16_S17_EUlS16_E_NS1_11comp_targetILNS1_3genE2ELNS1_11target_archE906ELNS1_3gpuE6ELNS1_3repE0EEENS1_30default_config_static_selectorELNS0_4arch9wavefront6targetE0EEEvT1_.has_recursion, 0
	.set _ZN7rocprim17ROCPRIM_400000_NS6detail17trampoline_kernelINS0_14default_configENS1_25partition_config_selectorILNS1_17partition_subalgoE6EyNS0_10empty_typeEbEEZZNS1_14partition_implILS5_6ELb0ES3_mN6thrust23THRUST_200600_302600_NS6detail15normal_iteratorINSA_10device_ptrIyEEEEPS6_SG_NS0_5tupleIJNSA_16discard_iteratorINSA_11use_defaultEEES6_EEENSH_IJSG_SG_EEES6_PlJNSB_9not_fun_tI7is_trueIyEEEEEE10hipError_tPvRmT3_T4_T5_T6_T7_T9_mT8_P12ihipStream_tbDpT10_ENKUlT_T0_E_clISt17integral_constantIbLb0EES1A_IbLb1EEEEDaS16_S17_EUlS16_E_NS1_11comp_targetILNS1_3genE2ELNS1_11target_archE906ELNS1_3gpuE6ELNS1_3repE0EEENS1_30default_config_static_selectorELNS0_4arch9wavefront6targetE0EEEvT1_.has_indirect_call, 0
	.section	.AMDGPU.csdata,"",@progbits
; Kernel info:
; codeLenInByte = 0
; TotalNumSgprs: 0
; NumVgprs: 0
; ScratchSize: 0
; MemoryBound: 0
; FloatMode: 240
; IeeeMode: 1
; LDSByteSize: 0 bytes/workgroup (compile time only)
; SGPRBlocks: 0
; VGPRBlocks: 0
; NumSGPRsForWavesPerEU: 1
; NumVGPRsForWavesPerEU: 1
; Occupancy: 16
; WaveLimiterHint : 0
; COMPUTE_PGM_RSRC2:SCRATCH_EN: 0
; COMPUTE_PGM_RSRC2:USER_SGPR: 2
; COMPUTE_PGM_RSRC2:TRAP_HANDLER: 0
; COMPUTE_PGM_RSRC2:TGID_X_EN: 1
; COMPUTE_PGM_RSRC2:TGID_Y_EN: 0
; COMPUTE_PGM_RSRC2:TGID_Z_EN: 0
; COMPUTE_PGM_RSRC2:TIDIG_COMP_CNT: 0
	.section	.text._ZN7rocprim17ROCPRIM_400000_NS6detail17trampoline_kernelINS0_14default_configENS1_25partition_config_selectorILNS1_17partition_subalgoE6EyNS0_10empty_typeEbEEZZNS1_14partition_implILS5_6ELb0ES3_mN6thrust23THRUST_200600_302600_NS6detail15normal_iteratorINSA_10device_ptrIyEEEEPS6_SG_NS0_5tupleIJNSA_16discard_iteratorINSA_11use_defaultEEES6_EEENSH_IJSG_SG_EEES6_PlJNSB_9not_fun_tI7is_trueIyEEEEEE10hipError_tPvRmT3_T4_T5_T6_T7_T9_mT8_P12ihipStream_tbDpT10_ENKUlT_T0_E_clISt17integral_constantIbLb0EES1A_IbLb1EEEEDaS16_S17_EUlS16_E_NS1_11comp_targetILNS1_3genE10ELNS1_11target_archE1200ELNS1_3gpuE4ELNS1_3repE0EEENS1_30default_config_static_selectorELNS0_4arch9wavefront6targetE0EEEvT1_,"axG",@progbits,_ZN7rocprim17ROCPRIM_400000_NS6detail17trampoline_kernelINS0_14default_configENS1_25partition_config_selectorILNS1_17partition_subalgoE6EyNS0_10empty_typeEbEEZZNS1_14partition_implILS5_6ELb0ES3_mN6thrust23THRUST_200600_302600_NS6detail15normal_iteratorINSA_10device_ptrIyEEEEPS6_SG_NS0_5tupleIJNSA_16discard_iteratorINSA_11use_defaultEEES6_EEENSH_IJSG_SG_EEES6_PlJNSB_9not_fun_tI7is_trueIyEEEEEE10hipError_tPvRmT3_T4_T5_T6_T7_T9_mT8_P12ihipStream_tbDpT10_ENKUlT_T0_E_clISt17integral_constantIbLb0EES1A_IbLb1EEEEDaS16_S17_EUlS16_E_NS1_11comp_targetILNS1_3genE10ELNS1_11target_archE1200ELNS1_3gpuE4ELNS1_3repE0EEENS1_30default_config_static_selectorELNS0_4arch9wavefront6targetE0EEEvT1_,comdat
	.protected	_ZN7rocprim17ROCPRIM_400000_NS6detail17trampoline_kernelINS0_14default_configENS1_25partition_config_selectorILNS1_17partition_subalgoE6EyNS0_10empty_typeEbEEZZNS1_14partition_implILS5_6ELb0ES3_mN6thrust23THRUST_200600_302600_NS6detail15normal_iteratorINSA_10device_ptrIyEEEEPS6_SG_NS0_5tupleIJNSA_16discard_iteratorINSA_11use_defaultEEES6_EEENSH_IJSG_SG_EEES6_PlJNSB_9not_fun_tI7is_trueIyEEEEEE10hipError_tPvRmT3_T4_T5_T6_T7_T9_mT8_P12ihipStream_tbDpT10_ENKUlT_T0_E_clISt17integral_constantIbLb0EES1A_IbLb1EEEEDaS16_S17_EUlS16_E_NS1_11comp_targetILNS1_3genE10ELNS1_11target_archE1200ELNS1_3gpuE4ELNS1_3repE0EEENS1_30default_config_static_selectorELNS0_4arch9wavefront6targetE0EEEvT1_ ; -- Begin function _ZN7rocprim17ROCPRIM_400000_NS6detail17trampoline_kernelINS0_14default_configENS1_25partition_config_selectorILNS1_17partition_subalgoE6EyNS0_10empty_typeEbEEZZNS1_14partition_implILS5_6ELb0ES3_mN6thrust23THRUST_200600_302600_NS6detail15normal_iteratorINSA_10device_ptrIyEEEEPS6_SG_NS0_5tupleIJNSA_16discard_iteratorINSA_11use_defaultEEES6_EEENSH_IJSG_SG_EEES6_PlJNSB_9not_fun_tI7is_trueIyEEEEEE10hipError_tPvRmT3_T4_T5_T6_T7_T9_mT8_P12ihipStream_tbDpT10_ENKUlT_T0_E_clISt17integral_constantIbLb0EES1A_IbLb1EEEEDaS16_S17_EUlS16_E_NS1_11comp_targetILNS1_3genE10ELNS1_11target_archE1200ELNS1_3gpuE4ELNS1_3repE0EEENS1_30default_config_static_selectorELNS0_4arch9wavefront6targetE0EEEvT1_
	.globl	_ZN7rocprim17ROCPRIM_400000_NS6detail17trampoline_kernelINS0_14default_configENS1_25partition_config_selectorILNS1_17partition_subalgoE6EyNS0_10empty_typeEbEEZZNS1_14partition_implILS5_6ELb0ES3_mN6thrust23THRUST_200600_302600_NS6detail15normal_iteratorINSA_10device_ptrIyEEEEPS6_SG_NS0_5tupleIJNSA_16discard_iteratorINSA_11use_defaultEEES6_EEENSH_IJSG_SG_EEES6_PlJNSB_9not_fun_tI7is_trueIyEEEEEE10hipError_tPvRmT3_T4_T5_T6_T7_T9_mT8_P12ihipStream_tbDpT10_ENKUlT_T0_E_clISt17integral_constantIbLb0EES1A_IbLb1EEEEDaS16_S17_EUlS16_E_NS1_11comp_targetILNS1_3genE10ELNS1_11target_archE1200ELNS1_3gpuE4ELNS1_3repE0EEENS1_30default_config_static_selectorELNS0_4arch9wavefront6targetE0EEEvT1_
	.p2align	8
	.type	_ZN7rocprim17ROCPRIM_400000_NS6detail17trampoline_kernelINS0_14default_configENS1_25partition_config_selectorILNS1_17partition_subalgoE6EyNS0_10empty_typeEbEEZZNS1_14partition_implILS5_6ELb0ES3_mN6thrust23THRUST_200600_302600_NS6detail15normal_iteratorINSA_10device_ptrIyEEEEPS6_SG_NS0_5tupleIJNSA_16discard_iteratorINSA_11use_defaultEEES6_EEENSH_IJSG_SG_EEES6_PlJNSB_9not_fun_tI7is_trueIyEEEEEE10hipError_tPvRmT3_T4_T5_T6_T7_T9_mT8_P12ihipStream_tbDpT10_ENKUlT_T0_E_clISt17integral_constantIbLb0EES1A_IbLb1EEEEDaS16_S17_EUlS16_E_NS1_11comp_targetILNS1_3genE10ELNS1_11target_archE1200ELNS1_3gpuE4ELNS1_3repE0EEENS1_30default_config_static_selectorELNS0_4arch9wavefront6targetE0EEEvT1_,@function
_ZN7rocprim17ROCPRIM_400000_NS6detail17trampoline_kernelINS0_14default_configENS1_25partition_config_selectorILNS1_17partition_subalgoE6EyNS0_10empty_typeEbEEZZNS1_14partition_implILS5_6ELb0ES3_mN6thrust23THRUST_200600_302600_NS6detail15normal_iteratorINSA_10device_ptrIyEEEEPS6_SG_NS0_5tupleIJNSA_16discard_iteratorINSA_11use_defaultEEES6_EEENSH_IJSG_SG_EEES6_PlJNSB_9not_fun_tI7is_trueIyEEEEEE10hipError_tPvRmT3_T4_T5_T6_T7_T9_mT8_P12ihipStream_tbDpT10_ENKUlT_T0_E_clISt17integral_constantIbLb0EES1A_IbLb1EEEEDaS16_S17_EUlS16_E_NS1_11comp_targetILNS1_3genE10ELNS1_11target_archE1200ELNS1_3gpuE4ELNS1_3repE0EEENS1_30default_config_static_selectorELNS0_4arch9wavefront6targetE0EEEvT1_: ; @_ZN7rocprim17ROCPRIM_400000_NS6detail17trampoline_kernelINS0_14default_configENS1_25partition_config_selectorILNS1_17partition_subalgoE6EyNS0_10empty_typeEbEEZZNS1_14partition_implILS5_6ELb0ES3_mN6thrust23THRUST_200600_302600_NS6detail15normal_iteratorINSA_10device_ptrIyEEEEPS6_SG_NS0_5tupleIJNSA_16discard_iteratorINSA_11use_defaultEEES6_EEENSH_IJSG_SG_EEES6_PlJNSB_9not_fun_tI7is_trueIyEEEEEE10hipError_tPvRmT3_T4_T5_T6_T7_T9_mT8_P12ihipStream_tbDpT10_ENKUlT_T0_E_clISt17integral_constantIbLb0EES1A_IbLb1EEEEDaS16_S17_EUlS16_E_NS1_11comp_targetILNS1_3genE10ELNS1_11target_archE1200ELNS1_3gpuE4ELNS1_3repE0EEENS1_30default_config_static_selectorELNS0_4arch9wavefront6targetE0EEEvT1_
; %bb.0:
	s_clause 0x2
	s_load_b64 s[14:15], s[0:1], 0x58
	s_load_b128 s[8:11], s[0:1], 0x48
	s_load_b64 s[12:13], s[0:1], 0x68
	v_cmp_eq_u32_e64 s2, 0, v0
	s_and_saveexec_b32 s3, s2
	s_cbranch_execz .LBB2170_4
; %bb.1:
	s_mov_b32 s5, exec_lo
	s_mov_b32 s4, exec_lo
	v_mbcnt_lo_u32_b32 v1, s5, 0
                                        ; implicit-def: $vgpr2
	s_delay_alu instid0(VALU_DEP_1)
	v_cmpx_eq_u32_e32 0, v1
	s_cbranch_execz .LBB2170_3
; %bb.2:
	s_load_b64 s[6:7], s[0:1], 0x78
	s_bcnt1_i32_b32 s5, s5
	s_wait_alu 0xfffe
	v_dual_mov_b32 v2, 0 :: v_dual_mov_b32 v3, s5
	s_wait_kmcnt 0x0
	global_atomic_add_u32 v2, v2, v3, s[6:7] th:TH_ATOMIC_RETURN scope:SCOPE_DEV
.LBB2170_3:
	s_or_b32 exec_lo, exec_lo, s4
	s_wait_loadcnt 0x0
	v_readfirstlane_b32 s4, v2
	s_wait_alu 0xf1ff
	s_delay_alu instid0(VALU_DEP_1)
	v_dual_mov_b32 v2, 0 :: v_dual_add_nc_u32 v1, s4, v1
	ds_store_b32 v2, v1
.LBB2170_4:
	s_or_b32 exec_lo, exec_lo, s3
	v_mov_b32_e32 v2, 0
	s_clause 0x1
	s_load_b128 s[4:7], s[0:1], 0x8
	s_load_b32 s0, s[0:1], 0x70
	s_wait_dscnt 0x0
	s_barrier_signal -1
	s_barrier_wait -1
	global_inv scope:SCOPE_SE
	ds_load_b32 v3, v2
	s_wait_loadcnt_dscnt 0x0
	s_barrier_signal -1
	s_barrier_wait -1
	global_inv scope:SCOPE_SE
	s_mov_b32 s1, 0
	v_lshrrev_b32_e32 v9, 2, v0
	v_or_b32_e32 v12, 0x100, v0
	v_or_b32_e32 v11, 0x200, v0
	;; [unrolled: 1-line block ×3, first 2 shown]
	s_wait_kmcnt 0x0
	s_lshl_b64 s[16:17], s[6:7], 3
	s_add_co_i32 s3, s0, -1
	s_lshl_b32 s0, s0, 10
	s_add_nc_u64 s[4:5], s[4:5], s[16:17]
	s_add_nc_u64 s[18:19], s[6:7], s[0:1]
	v_lshlrev_b32_e32 v1, 10, v3
	global_load_b64 v[17:18], v2, s[10:11]
	v_readfirstlane_b32 s10, v3
	v_cmp_gt_u64_e64 s1, s[14:15], s[18:19]
	s_lshl_b32 s11, s3, 10
	v_lshlrev_b64_e32 v[1:2], 3, v[1:2]
	v_cmp_ne_u32_e32 vcc_lo, s3, v3
	s_add_co_i32 s0, s6, s11
	s_cmp_eq_u32 s10, s3
	s_mov_b32 s3, -1
	s_cselect_b32 s6, -1, 0
	s_or_b32 s1, s1, vcc_lo
	s_wait_alu 0xfffe
	v_add_co_u32 v13, vcc_lo, s4, v1
	s_delay_alu instid0(VALU_DEP_1)
	v_add_co_ci_u32_e64 v14, null, s5, v2, vcc_lo
	s_and_b32 vcc_lo, exec_lo, s1
	s_wait_alu 0xfffe
	s_cbranch_vccz .LBB2170_6
; %bb.5:
	v_lshlrev_b32_e32 v15, 3, v0
	v_lshrrev_b32_e32 v16, 2, v12
	v_lshrrev_b32_e32 v19, 2, v11
	;; [unrolled: 1-line block ×3, first 2 shown]
	v_and_b32_e32 v21, 56, v9
	v_add_co_u32 v1, vcc_lo, v13, v15
	s_wait_alu 0xfffd
	v_add_co_ci_u32_e64 v2, null, 0, v14, vcc_lo
	v_and_b32_e32 v16, 0x78, v16
	v_and_b32_e32 v19, 0xb8, v19
	;; [unrolled: 1-line block ×3, first 2 shown]
	s_clause 0x3
	flat_load_b64 v[3:4], v[1:2]
	flat_load_b64 v[5:6], v[1:2] offset:2048
	flat_load_b64 v[7:8], v[1:2] offset:4096
	;; [unrolled: 1-line block ×3, first 2 shown]
	v_add_nc_u32_e32 v21, v21, v15
	v_add_nc_u32_e32 v16, v16, v15
	;; [unrolled: 1-line block ×4, first 2 shown]
	s_mov_b32 s3, 0
	s_wait_loadcnt_dscnt 0x303
	ds_store_b64 v21, v[3:4]
	s_wait_loadcnt_dscnt 0x203
	ds_store_b64 v16, v[5:6] offset:2048
	s_wait_loadcnt_dscnt 0x103
	ds_store_b64 v19, v[7:8] offset:4096
	;; [unrolled: 2-line block ×3, first 2 shown]
	s_wait_dscnt 0x0
	s_barrier_signal -1
	s_barrier_wait -1
.LBB2170_6:
	s_wait_alu 0xfffe
	s_and_not1_b32 vcc_lo, exec_lo, s3
	s_sub_co_i32 s11, s14, s0
	s_wait_alu 0xfffe
	s_cbranch_vccnz .LBB2170_13
; %bb.7:
	v_mov_b32_e32 v1, 0
	s_mov_b32 s0, exec_lo
	s_delay_alu instid0(VALU_DEP_1)
	v_dual_mov_b32 v2, v1 :: v_dual_mov_b32 v3, v1
	v_dual_mov_b32 v4, v1 :: v_dual_mov_b32 v5, v1
	;; [unrolled: 1-line block ×3, first 2 shown]
	v_mov_b32_e32 v8, v1
	v_cmpx_gt_u32_e64 s11, v0
	s_cbranch_execnz .LBB2170_118
; %bb.8:
	s_or_b32 exec_lo, exec_lo, s0
	s_delay_alu instid0(SALU_CYCLE_1)
	s_mov_b32 s0, exec_lo
	v_cmpx_gt_u32_e64 s11, v12
	s_cbranch_execnz .LBB2170_119
.LBB2170_9:
	s_or_b32 exec_lo, exec_lo, s0
	s_delay_alu instid0(SALU_CYCLE_1)
	s_mov_b32 s0, exec_lo
	v_cmpx_gt_u32_e64 s11, v11
	s_cbranch_execnz .LBB2170_120
.LBB2170_10:
	s_or_b32 exec_lo, exec_lo, s0
	s_delay_alu instid0(SALU_CYCLE_1)
	s_mov_b32 s0, exec_lo
	v_cmpx_gt_u32_e64 s11, v10
	s_cbranch_execz .LBB2170_12
.LBB2170_11:
	v_lshlrev_b32_e32 v7, 3, v0
	s_delay_alu instid0(VALU_DEP_1)
	v_add_co_u32 v7, vcc_lo, v13, v7
	s_wait_alu 0xfffd
	v_add_co_ci_u32_e64 v8, null, 0, v14, vcc_lo
	flat_load_b64 v[7:8], v[7:8] offset:6144
.LBB2170_12:
	s_or_b32 exec_lo, exec_lo, s0
	v_lshrrev_b32_e32 v12, 2, v12
	v_lshrrev_b32_e32 v11, 2, v11
	;; [unrolled: 1-line block ×3, first 2 shown]
	v_and_b32_e32 v9, 56, v9
	v_lshlrev_b32_e32 v13, 3, v0
	v_and_b32_e32 v12, 0x78, v12
	v_and_b32_e32 v11, 0xf8, v11
	;; [unrolled: 1-line block ×3, first 2 shown]
	s_delay_alu instid0(VALU_DEP_4) | instskip(NEXT) | instid1(VALU_DEP_4)
	v_add_nc_u32_e32 v9, v9, v13
	v_add_nc_u32_e32 v12, v12, v13
	s_delay_alu instid0(VALU_DEP_4) | instskip(NEXT) | instid1(VALU_DEP_4)
	v_add_nc_u32_e32 v11, v11, v13
	v_add_nc_u32_e32 v10, v10, v13
	ds_store_b64 v9, v[1:2]
	s_wait_loadcnt_dscnt 0x1
	ds_store_b64 v12, v[3:4] offset:2048
	ds_store_b64 v11, v[5:6] offset:4096
	;; [unrolled: 1-line block ×3, first 2 shown]
	s_wait_dscnt 0x0
	s_barrier_signal -1
	s_barrier_wait -1
.LBB2170_13:
	v_and_b32_e32 v1, 0xf8, v0
	s_wait_loadcnt 0x0
	global_inv scope:SCOPE_SE
	s_and_not1_b32 vcc_lo, exec_lo, s1
	v_lshl_add_u32 v5, v0, 5, v1
	ds_load_2addr_b64 v[1:4], v5 offset1:3
	ds_load_2addr_b64 v[5:8], v5 offset0:1 offset1:2
	s_wait_loadcnt_dscnt 0x0
	s_barrier_signal -1
	s_barrier_wait -1
	global_inv scope:SCOPE_SE
	v_cmp_eq_u64_e64 s0, 0, v[1:2]
	v_cmp_eq_u64_e64 s7, 0, v[3:4]
	s_wait_alu 0xfffe
	s_cbranch_vccnz .LBB2170_15
; %bb.14:
	v_cmp_eq_u64_e32 vcc_lo, 0, v[7:8]
	v_cndmask_b32_e64 v29, 0, 1, s0
	s_wait_alu 0xfffd
	v_cndmask_b32_e64 v27, 0, 1, vcc_lo
	v_cmp_eq_u64_e32 vcc_lo, 0, v[5:6]
	s_delay_alu instid0(VALU_DEP_2) | instskip(SKIP_2) | instid1(VALU_DEP_1)
	v_lshlrev_b16 v10, 8, v27
	s_wait_alu 0xfffd
	v_cndmask_b32_e64 v9, 0, 1, vcc_lo
	v_or_b32_e32 v28, v9, v10
	s_cbranch_execz .LBB2170_16
	s_branch .LBB2170_17
.LBB2170_15:
                                        ; implicit-def: $sgpr7
                                        ; implicit-def: $vgpr29
                                        ; implicit-def: $vgpr28
                                        ; implicit-def: $vgpr27
.LBB2170_16:
	v_lshlrev_b32_e32 v9, 2, v0
	v_cmp_eq_u64_e64 s0, 0, v[7:8]
	v_cmp_eq_u64_e64 s3, 0, v[5:6]
	v_cmp_eq_u64_e32 vcc_lo, 0, v[1:2]
	v_cmp_eq_u64_e64 s4, 0, v[3:4]
	v_or_b32_e32 v10, 2, v9
	v_or_b32_e32 v11, 1, v9
	s_delay_alu instid0(VALU_DEP_2) | instskip(NEXT) | instid1(VALU_DEP_2)
	v_cmp_gt_u32_e64 s1, s11, v10
	v_cmp_gt_u32_e64 s5, s11, v11
	v_or_b32_e32 v10, 3, v9
	s_and_b32 s0, s1, s0
	s_and_b32 s3, s5, s3
	s_wait_alu 0xfffe
	v_cndmask_b32_e64 v27, 0, 1, s0
	v_cmp_gt_u32_e64 s0, s11, v9
	v_cmp_gt_u32_e64 s1, s11, v10
	v_cndmask_b32_e64 v9, 0, 1, s3
	s_delay_alu instid0(VALU_DEP_4)
	v_lshlrev_b16 v10, 8, v27
	s_and_b32 s0, s0, vcc_lo
	s_wait_alu 0xfffe
	v_cndmask_b32_e64 v29, 0, 1, s0
	s_and_b32 s0, s1, s4
	v_or_b32_e32 v28, v9, v10
	s_and_not1_b32 s1, s7, exec_lo
	s_wait_alu 0xfffe
	s_and_b32 s0, s0, exec_lo
	s_wait_alu 0xfffe
	s_or_b32 s7, s1, s0
.LBB2170_17:
	v_and_b32_e32 v31, 0xff, v29
	s_delay_alu instid0(VALU_DEP_2)
	v_dual_mov_b32 v11, 0 :: v_dual_and_b32 v30, 0xff, v28
	v_cndmask_b32_e64 v9, 0, 1, s7
	v_mbcnt_lo_u32_b32 v33, -1, 0
	v_and_b32_e32 v32, 0xff, v27
	s_cmp_lg_u32 s10, 0
	s_mov_b32 s1, -1
	v_add3_u32 v9, v31, v9, v30
	v_and_b32_e32 v34, 15, v33
	s_delay_alu instid0(VALU_DEP_2) | instskip(SKIP_2) | instid1(VALU_DEP_3)
	v_add_co_u32 v19, s0, v9, v32
	s_wait_alu 0xf1ff
	v_add_co_ci_u32_e64 v20, null, 0, 0, s0
	v_cmp_ne_u32_e64 s0, 0, v34
	s_cbranch_scc0 .LBB2170_74
; %bb.18:
	v_dual_mov_b32 v12, v19 :: v_dual_mov_b32 v9, v19
	v_mov_b32_dpp v14, v19 row_shr:1 row_mask:0xf bank_mask:0xf
	v_mov_b32_dpp v13, v11 row_shr:1 row_mask:0xf bank_mask:0xf
	v_mov_b32_e32 v10, v20
	s_and_saveexec_b32 s1, s0
; %bb.19:
	s_delay_alu instid0(VALU_DEP_3) | instskip(SKIP_2) | instid1(VALU_DEP_2)
	v_add_co_u32 v12, vcc_lo, v19, v14
	s_wait_alu 0xfffd
	v_add_co_ci_u32_e64 v9, null, 0, v20, vcc_lo
	v_add_co_u32 v10, vcc_lo, 0, v12
	s_wait_alu 0xfffd
	s_delay_alu instid0(VALU_DEP_2) | instskip(NEXT) | instid1(VALU_DEP_2)
	v_add_co_ci_u32_e64 v11, null, v13, v9, vcc_lo
	v_mov_b32_e32 v9, v10
	s_delay_alu instid0(VALU_DEP_2)
	v_mov_b32_e32 v10, v11
; %bb.20:
	s_wait_alu 0xfffe
	s_or_b32 exec_lo, exec_lo, s1
	v_mov_b32_dpp v14, v12 row_shr:2 row_mask:0xf bank_mask:0xf
	v_mov_b32_dpp v13, v11 row_shr:2 row_mask:0xf bank_mask:0xf
	s_mov_b32 s1, exec_lo
	v_cmpx_lt_u32_e32 1, v34
; %bb.21:
	s_delay_alu instid0(VALU_DEP_3) | instskip(SKIP_2) | instid1(VALU_DEP_2)
	v_add_co_u32 v12, vcc_lo, v9, v14
	s_wait_alu 0xfffd
	v_add_co_ci_u32_e64 v9, null, 0, v10, vcc_lo
	v_add_co_u32 v10, vcc_lo, 0, v12
	s_wait_alu 0xfffd
	s_delay_alu instid0(VALU_DEP_2) | instskip(NEXT) | instid1(VALU_DEP_2)
	v_add_co_ci_u32_e64 v11, null, v13, v9, vcc_lo
	v_mov_b32_e32 v9, v10
	s_delay_alu instid0(VALU_DEP_2)
	v_mov_b32_e32 v10, v11
; %bb.22:
	s_wait_alu 0xfffe
	s_or_b32 exec_lo, exec_lo, s1
	v_mov_b32_dpp v14, v12 row_shr:4 row_mask:0xf bank_mask:0xf
	v_mov_b32_dpp v13, v11 row_shr:4 row_mask:0xf bank_mask:0xf
	s_mov_b32 s1, exec_lo
	v_cmpx_lt_u32_e32 3, v34
	;; [unrolled: 19-line block ×3, first 2 shown]
; %bb.25:
	s_delay_alu instid0(VALU_DEP_3) | instskip(SKIP_2) | instid1(VALU_DEP_2)
	v_add_co_u32 v12, vcc_lo, v9, v14
	s_wait_alu 0xfffd
	v_add_co_ci_u32_e64 v10, null, 0, v10, vcc_lo
	v_add_co_u32 v9, vcc_lo, 0, v12
	s_wait_alu 0xfffd
	s_delay_alu instid0(VALU_DEP_2) | instskip(NEXT) | instid1(VALU_DEP_1)
	v_add_co_ci_u32_e64 v10, null, v13, v10, vcc_lo
	v_mov_b32_e32 v11, v10
; %bb.26:
	s_wait_alu 0xfffe
	s_or_b32 exec_lo, exec_lo, s1
	ds_swizzle_b32 v13, v12 offset:swizzle(BROADCAST,32,15)
	ds_swizzle_b32 v11, v11 offset:swizzle(BROADCAST,32,15)
	v_and_b32_e32 v14, 16, v33
	s_mov_b32 s1, exec_lo
	s_delay_alu instid0(VALU_DEP_1)
	v_cmpx_ne_u32_e32 0, v14
	s_cbranch_execz .LBB2170_28
; %bb.27:
	s_wait_dscnt 0x1
	v_add_co_u32 v12, vcc_lo, v9, v13
	s_wait_alu 0xfffd
	v_add_co_ci_u32_e64 v10, null, 0, v10, vcc_lo
	s_delay_alu instid0(VALU_DEP_2) | instskip(SKIP_2) | instid1(VALU_DEP_2)
	v_add_co_u32 v9, vcc_lo, 0, v12
	s_wait_dscnt 0x0
	s_wait_alu 0xfffd
	v_add_co_ci_u32_e64 v10, null, v11, v10, vcc_lo
.LBB2170_28:
	s_wait_alu 0xfffe
	s_or_b32 exec_lo, exec_lo, s1
	s_wait_dscnt 0x1
	v_or_b32_e32 v13, 31, v0
	s_wait_dscnt 0x0
	v_lshrrev_b32_e32 v11, 5, v0
	s_mov_b32 s1, exec_lo
	s_delay_alu instid0(VALU_DEP_2)
	v_cmpx_eq_u32_e64 v0, v13
; %bb.29:
	s_delay_alu instid0(VALU_DEP_2)
	v_lshlrev_b32_e32 v13, 3, v11
	ds_store_b64 v13, v[9:10]
; %bb.30:
	s_wait_alu 0xfffe
	s_or_b32 exec_lo, exec_lo, s1
	s_delay_alu instid0(SALU_CYCLE_1)
	s_mov_b32 s1, exec_lo
	s_wait_loadcnt_dscnt 0x0
	s_barrier_signal -1
	s_barrier_wait -1
	global_inv scope:SCOPE_SE
	v_cmpx_gt_u32_e32 8, v0
	s_cbranch_execz .LBB2170_38
; %bb.31:
	v_lshlrev_b32_e32 v13, 3, v0
	s_mov_b32 s3, exec_lo
	ds_load_b64 v[9:10], v13
	s_wait_dscnt 0x0
	v_dual_mov_b32 v15, v9 :: v_dual_and_b32 v14, 7, v33
	v_mov_b32_dpp v21, v9 row_shr:1 row_mask:0xf bank_mask:0xf
	v_mov_b32_dpp v16, v10 row_shr:1 row_mask:0xf bank_mask:0xf
	s_delay_alu instid0(VALU_DEP_3)
	v_cmpx_ne_u32_e32 0, v14
; %bb.32:
	s_delay_alu instid0(VALU_DEP_3) | instskip(SKIP_2) | instid1(VALU_DEP_2)
	v_add_co_u32 v15, vcc_lo, v9, v21
	s_wait_alu 0xfffd
	v_add_co_ci_u32_e64 v10, null, 0, v10, vcc_lo
	v_add_co_u32 v9, vcc_lo, 0, v15
	s_wait_alu 0xfffd
	s_delay_alu instid0(VALU_DEP_2)
	v_add_co_ci_u32_e64 v10, null, v16, v10, vcc_lo
; %bb.33:
	s_wait_alu 0xfffe
	s_or_b32 exec_lo, exec_lo, s3
	v_mov_b32_dpp v21, v15 row_shr:2 row_mask:0xf bank_mask:0xf
	s_delay_alu instid0(VALU_DEP_2)
	v_mov_b32_dpp v16, v10 row_shr:2 row_mask:0xf bank_mask:0xf
	s_mov_b32 s3, exec_lo
	v_cmpx_lt_u32_e32 1, v14
; %bb.34:
	s_delay_alu instid0(VALU_DEP_3) | instskip(SKIP_2) | instid1(VALU_DEP_2)
	v_add_co_u32 v15, vcc_lo, v9, v21
	s_wait_alu 0xfffd
	v_add_co_ci_u32_e64 v10, null, 0, v10, vcc_lo
	v_add_co_u32 v9, vcc_lo, 0, v15
	s_wait_alu 0xfffd
	s_delay_alu instid0(VALU_DEP_2)
	v_add_co_ci_u32_e64 v10, null, v16, v10, vcc_lo
; %bb.35:
	s_wait_alu 0xfffe
	s_or_b32 exec_lo, exec_lo, s3
	v_mov_b32_dpp v16, v15 row_shr:4 row_mask:0xf bank_mask:0xf
	s_delay_alu instid0(VALU_DEP_2)
	v_mov_b32_dpp v15, v10 row_shr:4 row_mask:0xf bank_mask:0xf
	s_mov_b32 s3, exec_lo
	v_cmpx_lt_u32_e32 3, v14
; %bb.36:
	s_delay_alu instid0(VALU_DEP_3) | instskip(SKIP_2) | instid1(VALU_DEP_2)
	v_add_co_u32 v9, vcc_lo, v9, v16
	s_wait_alu 0xfffd
	v_add_co_ci_u32_e64 v10, null, 0, v10, vcc_lo
	v_add_co_u32 v9, vcc_lo, v9, 0
	s_wait_alu 0xfffd
	s_delay_alu instid0(VALU_DEP_2)
	v_add_co_ci_u32_e64 v10, null, v10, v15, vcc_lo
; %bb.37:
	s_wait_alu 0xfffe
	s_or_b32 exec_lo, exec_lo, s3
	ds_store_b64 v13, v[9:10]
.LBB2170_38:
	s_wait_alu 0xfffe
	s_or_b32 exec_lo, exec_lo, s1
	s_delay_alu instid0(SALU_CYCLE_1)
	s_mov_b32 s3, exec_lo
	v_cmp_gt_u32_e32 vcc_lo, 32, v0
	s_wait_loadcnt_dscnt 0x0
	s_barrier_signal -1
	s_barrier_wait -1
	global_inv scope:SCOPE_SE
                                        ; implicit-def: $vgpr21_vgpr22
	v_cmpx_lt_u32_e32 31, v0
	s_cbranch_execz .LBB2170_40
; %bb.39:
	v_lshl_add_u32 v9, v11, 3, -8
	ds_load_b64 v[21:22], v9
	s_wait_dscnt 0x0
	v_add_nc_u32_e32 v12, v12, v21
.LBB2170_40:
	s_wait_alu 0xfffe
	s_or_b32 exec_lo, exec_lo, s3
	v_sub_co_u32 v9, s1, v33, 1
	s_delay_alu instid0(VALU_DEP_1) | instskip(SKIP_1) | instid1(VALU_DEP_1)
	v_cmp_gt_i32_e64 s3, 0, v9
	s_wait_alu 0xf1ff
	v_cndmask_b32_e64 v9, v9, v33, s3
	s_delay_alu instid0(VALU_DEP_1)
	v_lshlrev_b32_e32 v9, 2, v9
	ds_bpermute_b32 v35, v9, v12
	s_and_saveexec_b32 s3, vcc_lo
	s_cbranch_execz .LBB2170_79
; %bb.41:
	v_mov_b32_e32 v12, 0
	ds_load_b64 v[9:10], v12 offset:56
	s_and_saveexec_b32 s4, s1
	s_cbranch_execz .LBB2170_43
; %bb.42:
	s_add_co_i32 s14, s10, 32
	s_mov_b32 s15, 0
	s_wait_alu 0xfffe
	s_lshl_b64 s[14:15], s[14:15], 4
	s_wait_alu 0xfffe
	s_add_nc_u64 s[14:15], s[12:13], s[14:15]
	v_mov_b32_e32 v11, 1
	s_wait_alu 0xfffe
	v_dual_mov_b32 v13, s14 :: v_dual_mov_b32 v14, s15
	s_wait_dscnt 0x0
	;;#ASMSTART
	global_store_b128 v[13:14], v[9:12] off scope:SCOPE_DEV	
s_wait_storecnt 0x0
	;;#ASMEND
.LBB2170_43:
	s_wait_alu 0xfffe
	s_or_b32 exec_lo, exec_lo, s4
	v_xad_u32 v23, v33, -1, s10
	s_mov_b32 s5, 0
	s_mov_b32 s4, exec_lo
	s_delay_alu instid0(VALU_DEP_1) | instskip(NEXT) | instid1(VALU_DEP_1)
	v_add_nc_u32_e32 v11, 32, v23
	v_lshlrev_b64_e32 v[11:12], 4, v[11:12]
	s_delay_alu instid0(VALU_DEP_1) | instskip(SKIP_1) | instid1(VALU_DEP_2)
	v_add_co_u32 v11, vcc_lo, s12, v11
	s_wait_alu 0xfffd
	v_add_co_ci_u32_e64 v12, null, s13, v12, vcc_lo
	;;#ASMSTART
	global_load_b128 v[13:16], v[11:12] off scope:SCOPE_DEV	
s_wait_loadcnt 0x0
	;;#ASMEND
	v_and_b32_e32 v16, 0xff, v15
	s_delay_alu instid0(VALU_DEP_1)
	v_cmpx_eq_u16_e32 0, v16
	s_cbranch_execz .LBB2170_46
.LBB2170_44:                            ; =>This Inner Loop Header: Depth=1
	;;#ASMSTART
	global_load_b128 v[13:16], v[11:12] off scope:SCOPE_DEV	
s_wait_loadcnt 0x0
	;;#ASMEND
	v_and_b32_e32 v16, 0xff, v15
	s_delay_alu instid0(VALU_DEP_1)
	v_cmp_ne_u16_e32 vcc_lo, 0, v16
	s_wait_alu 0xfffe
	s_or_b32 s5, vcc_lo, s5
	s_wait_alu 0xfffe
	s_and_not1_b32 exec_lo, exec_lo, s5
	s_cbranch_execnz .LBB2170_44
; %bb.45:
	s_or_b32 exec_lo, exec_lo, s5
.LBB2170_46:
	s_wait_alu 0xfffe
	s_or_b32 exec_lo, exec_lo, s4
	v_cmp_ne_u32_e32 vcc_lo, 31, v33
	v_and_b32_e32 v12, 0xff, v15
	v_lshlrev_b32_e64 v37, v33, -1
	s_mov_b32 s4, exec_lo
	s_wait_alu 0xfffd
	v_add_co_ci_u32_e64 v11, null, 0, v33, vcc_lo
	v_cmp_eq_u16_e32 vcc_lo, 2, v12
	v_mov_b32_e32 v12, v13
	s_delay_alu instid0(VALU_DEP_3)
	v_lshlrev_b32_e32 v36, 2, v11
	s_wait_alu 0xfffd
	v_and_or_b32 v11, vcc_lo, v37, 0x80000000
	ds_bpermute_b32 v24, v36, v13
	ds_bpermute_b32 v16, v36, v14
	v_ctz_i32_b32_e32 v11, v11
	s_delay_alu instid0(VALU_DEP_1)
	v_cmpx_lt_u32_e64 v33, v11
	s_cbranch_execz .LBB2170_48
; %bb.47:
	s_wait_dscnt 0x1
	v_add_co_u32 v12, vcc_lo, v13, v24
	s_wait_alu 0xfffd
	v_add_co_ci_u32_e64 v14, null, 0, v14, vcc_lo
	s_delay_alu instid0(VALU_DEP_2) | instskip(SKIP_2) | instid1(VALU_DEP_2)
	v_add_co_u32 v13, vcc_lo, 0, v12
	s_wait_dscnt 0x0
	s_wait_alu 0xfffd
	v_add_co_ci_u32_e64 v14, null, v16, v14, vcc_lo
.LBB2170_48:
	s_wait_alu 0xfffe
	s_or_b32 exec_lo, exec_lo, s4
	v_cmp_gt_u32_e32 vcc_lo, 30, v33
	v_add_nc_u32_e32 v39, 2, v33
	s_mov_b32 s4, exec_lo
	s_wait_dscnt 0x0
	s_wait_alu 0xfffd
	v_cndmask_b32_e64 v16, 0, 2, vcc_lo
	s_delay_alu instid0(VALU_DEP_1)
	v_add_lshl_u32 v38, v16, v33, 2
	ds_bpermute_b32 v24, v38, v12
	ds_bpermute_b32 v16, v38, v14
	v_cmpx_le_u32_e64 v39, v11
	s_cbranch_execz .LBB2170_50
; %bb.49:
	s_wait_dscnt 0x1
	v_add_co_u32 v12, vcc_lo, v13, v24
	s_wait_alu 0xfffd
	v_add_co_ci_u32_e64 v14, null, 0, v14, vcc_lo
	s_delay_alu instid0(VALU_DEP_2) | instskip(SKIP_2) | instid1(VALU_DEP_2)
	v_add_co_u32 v13, vcc_lo, 0, v12
	s_wait_dscnt 0x0
	s_wait_alu 0xfffd
	v_add_co_ci_u32_e64 v14, null, v16, v14, vcc_lo
.LBB2170_50:
	s_wait_alu 0xfffe
	s_or_b32 exec_lo, exec_lo, s4
	v_cmp_gt_u32_e32 vcc_lo, 28, v33
	v_add_nc_u32_e32 v41, 4, v33
	s_mov_b32 s4, exec_lo
	s_wait_dscnt 0x0
	s_wait_alu 0xfffd
	v_cndmask_b32_e64 v16, 0, 4, vcc_lo
	s_delay_alu instid0(VALU_DEP_1)
	v_add_lshl_u32 v40, v16, v33, 2
	ds_bpermute_b32 v24, v40, v12
	ds_bpermute_b32 v16, v40, v14
	v_cmpx_le_u32_e64 v41, v11
	;; [unrolled: 25-line block ×3, first 2 shown]
	s_cbranch_execz .LBB2170_54
; %bb.53:
	s_wait_dscnt 0x1
	v_add_co_u32 v12, vcc_lo, v13, v24
	s_wait_alu 0xfffd
	v_add_co_ci_u32_e64 v14, null, 0, v14, vcc_lo
	s_delay_alu instid0(VALU_DEP_2) | instskip(SKIP_2) | instid1(VALU_DEP_2)
	v_add_co_u32 v13, vcc_lo, 0, v12
	s_wait_dscnt 0x0
	s_wait_alu 0xfffd
	v_add_co_ci_u32_e64 v14, null, v16, v14, vcc_lo
.LBB2170_54:
	s_wait_alu 0xfffe
	s_or_b32 exec_lo, exec_lo, s4
	v_lshl_or_b32 v44, v33, 2, 64
	v_add_nc_u32_e32 v45, 16, v33
	s_mov_b32 s4, exec_lo
	s_wait_dscnt 0x0
	ds_bpermute_b32 v16, v44, v12
	ds_bpermute_b32 v12, v44, v14
	v_cmpx_le_u32_e64 v45, v11
	s_cbranch_execz .LBB2170_56
; %bb.55:
	s_wait_dscnt 0x1
	v_add_co_u32 v11, vcc_lo, v13, v16
	s_wait_alu 0xfffd
	v_add_co_ci_u32_e64 v14, null, 0, v14, vcc_lo
	s_delay_alu instid0(VALU_DEP_2) | instskip(SKIP_2) | instid1(VALU_DEP_2)
	v_add_co_u32 v13, vcc_lo, v11, 0
	s_wait_dscnt 0x0
	s_wait_alu 0xfffd
	v_add_co_ci_u32_e64 v14, null, v14, v12, vcc_lo
.LBB2170_56:
	s_wait_alu 0xfffe
	s_or_b32 exec_lo, exec_lo, s4
	v_mov_b32_e32 v24, 0
	s_branch .LBB2170_59
.LBB2170_57:                            ;   in Loop: Header=BB2170_59 Depth=1
	s_wait_alu 0xfffe
	s_or_b32 exec_lo, exec_lo, s4
	v_add_co_u32 v13, vcc_lo, v13, v11
	v_subrev_nc_u32_e32 v23, 32, v23
	s_wait_alu 0xfffd
	v_add_co_ci_u32_e64 v14, null, v14, v12, vcc_lo
	s_mov_b32 s4, 0
.LBB2170_58:                            ;   in Loop: Header=BB2170_59 Depth=1
	s_wait_alu 0xfffe
	s_and_b32 vcc_lo, exec_lo, s4
	s_wait_alu 0xfffe
	s_cbranch_vccnz .LBB2170_75
.LBB2170_59:                            ; =>This Loop Header: Depth=1
                                        ;     Child Loop BB2170_62 Depth 2
	v_and_b32_e32 v11, 0xff, v15
	s_mov_b32 s4, -1
	s_delay_alu instid0(VALU_DEP_1)
	v_cmp_ne_u16_e32 vcc_lo, 2, v11
	s_wait_dscnt 0x0
	v_dual_mov_b32 v11, v13 :: v_dual_mov_b32 v12, v14
                                        ; implicit-def: $vgpr13_vgpr14
	s_cmp_lg_u32 vcc_lo, exec_lo
	s_cbranch_scc1 .LBB2170_58
; %bb.60:                               ;   in Loop: Header=BB2170_59 Depth=1
	v_lshlrev_b64_e32 v[13:14], 4, v[23:24]
	s_mov_b32 s4, exec_lo
	s_delay_alu instid0(VALU_DEP_1) | instskip(SKIP_1) | instid1(VALU_DEP_2)
	v_add_co_u32 v25, vcc_lo, s12, v13
	s_wait_alu 0xfffd
	v_add_co_ci_u32_e64 v26, null, s13, v14, vcc_lo
	;;#ASMSTART
	global_load_b128 v[13:16], v[25:26] off scope:SCOPE_DEV	
s_wait_loadcnt 0x0
	;;#ASMEND
	v_and_b32_e32 v16, 0xff, v15
	s_delay_alu instid0(VALU_DEP_1)
	v_cmpx_eq_u16_e32 0, v16
	s_cbranch_execz .LBB2170_64
; %bb.61:                               ;   in Loop: Header=BB2170_59 Depth=1
	s_mov_b32 s5, 0
.LBB2170_62:                            ;   Parent Loop BB2170_59 Depth=1
                                        ; =>  This Inner Loop Header: Depth=2
	;;#ASMSTART
	global_load_b128 v[13:16], v[25:26] off scope:SCOPE_DEV	
s_wait_loadcnt 0x0
	;;#ASMEND
	v_and_b32_e32 v16, 0xff, v15
	s_delay_alu instid0(VALU_DEP_1)
	v_cmp_ne_u16_e32 vcc_lo, 0, v16
	s_wait_alu 0xfffe
	s_or_b32 s5, vcc_lo, s5
	s_wait_alu 0xfffe
	s_and_not1_b32 exec_lo, exec_lo, s5
	s_cbranch_execnz .LBB2170_62
; %bb.63:                               ;   in Loop: Header=BB2170_59 Depth=1
	s_or_b32 exec_lo, exec_lo, s5
.LBB2170_64:                            ;   in Loop: Header=BB2170_59 Depth=1
	s_wait_alu 0xfffe
	s_or_b32 exec_lo, exec_lo, s4
	v_dual_mov_b32 v25, v13 :: v_dual_and_b32 v16, 0xff, v15
	ds_bpermute_b32 v46, v36, v13
	ds_bpermute_b32 v26, v36, v14
	s_mov_b32 s4, exec_lo
	v_cmp_eq_u16_e32 vcc_lo, 2, v16
	s_wait_alu 0xfffd
	v_and_or_b32 v16, vcc_lo, v37, 0x80000000
	s_delay_alu instid0(VALU_DEP_1) | instskip(NEXT) | instid1(VALU_DEP_1)
	v_ctz_i32_b32_e32 v16, v16
	v_cmpx_lt_u32_e64 v33, v16
	s_cbranch_execz .LBB2170_66
; %bb.65:                               ;   in Loop: Header=BB2170_59 Depth=1
	s_wait_dscnt 0x1
	v_add_co_u32 v25, vcc_lo, v13, v46
	s_wait_alu 0xfffd
	v_add_co_ci_u32_e64 v14, null, 0, v14, vcc_lo
	s_delay_alu instid0(VALU_DEP_2) | instskip(SKIP_2) | instid1(VALU_DEP_2)
	v_add_co_u32 v13, vcc_lo, 0, v25
	s_wait_dscnt 0x0
	s_wait_alu 0xfffd
	v_add_co_ci_u32_e64 v14, null, v26, v14, vcc_lo
.LBB2170_66:                            ;   in Loop: Header=BB2170_59 Depth=1
	s_wait_alu 0xfffe
	s_or_b32 exec_lo, exec_lo, s4
	s_wait_dscnt 0x1
	ds_bpermute_b32 v46, v38, v25
	s_wait_dscnt 0x1
	ds_bpermute_b32 v26, v38, v14
	s_mov_b32 s4, exec_lo
	v_cmpx_le_u32_e64 v39, v16
	s_cbranch_execz .LBB2170_68
; %bb.67:                               ;   in Loop: Header=BB2170_59 Depth=1
	s_wait_dscnt 0x1
	v_add_co_u32 v25, vcc_lo, v13, v46
	s_wait_alu 0xfffd
	v_add_co_ci_u32_e64 v14, null, 0, v14, vcc_lo
	s_delay_alu instid0(VALU_DEP_2) | instskip(SKIP_2) | instid1(VALU_DEP_2)
	v_add_co_u32 v13, vcc_lo, 0, v25
	s_wait_dscnt 0x0
	s_wait_alu 0xfffd
	v_add_co_ci_u32_e64 v14, null, v26, v14, vcc_lo
.LBB2170_68:                            ;   in Loop: Header=BB2170_59 Depth=1
	s_wait_alu 0xfffe
	s_or_b32 exec_lo, exec_lo, s4
	s_wait_dscnt 0x1
	ds_bpermute_b32 v46, v40, v25
	s_wait_dscnt 0x1
	ds_bpermute_b32 v26, v40, v14
	s_mov_b32 s4, exec_lo
	v_cmpx_le_u32_e64 v41, v16
	;; [unrolled: 20-line block ×3, first 2 shown]
	s_cbranch_execz .LBB2170_72
; %bb.71:                               ;   in Loop: Header=BB2170_59 Depth=1
	s_wait_dscnt 0x1
	v_add_co_u32 v25, vcc_lo, v13, v46
	s_wait_alu 0xfffd
	v_add_co_ci_u32_e64 v14, null, 0, v14, vcc_lo
	s_delay_alu instid0(VALU_DEP_2) | instskip(SKIP_2) | instid1(VALU_DEP_2)
	v_add_co_u32 v13, vcc_lo, 0, v25
	s_wait_dscnt 0x0
	s_wait_alu 0xfffd
	v_add_co_ci_u32_e64 v14, null, v26, v14, vcc_lo
.LBB2170_72:                            ;   in Loop: Header=BB2170_59 Depth=1
	s_wait_alu 0xfffe
	s_or_b32 exec_lo, exec_lo, s4
	s_wait_dscnt 0x0
	ds_bpermute_b32 v26, v44, v25
	ds_bpermute_b32 v25, v44, v14
	s_mov_b32 s4, exec_lo
	v_cmpx_le_u32_e64 v45, v16
	s_cbranch_execz .LBB2170_57
; %bb.73:                               ;   in Loop: Header=BB2170_59 Depth=1
	s_wait_dscnt 0x1
	v_add_co_u32 v13, vcc_lo, v13, v26
	s_wait_alu 0xfffd
	v_add_co_ci_u32_e64 v14, null, 0, v14, vcc_lo
	s_delay_alu instid0(VALU_DEP_2) | instskip(SKIP_2) | instid1(VALU_DEP_2)
	v_add_co_u32 v13, vcc_lo, v13, 0
	s_wait_dscnt 0x0
	s_wait_alu 0xfffd
	v_add_co_ci_u32_e64 v14, null, v14, v25, vcc_lo
	s_branch .LBB2170_57
.LBB2170_74:
                                        ; implicit-def: $vgpr13_vgpr14
                                        ; implicit-def: $vgpr21_vgpr22
                                        ; implicit-def: $vgpr11_vgpr12
                                        ; implicit-def: $vgpr14_vgpr15
                                        ; implicit-def: $vgpr15_vgpr16
	s_wait_alu 0xfffe
	s_and_b32 vcc_lo, exec_lo, s1
	s_wait_alu 0xfffe
	s_cbranch_vccnz .LBB2170_80
	s_branch .LBB2170_105
.LBB2170_75:
	s_and_saveexec_b32 s4, s1
	s_cbranch_execz .LBB2170_77
; %bb.76:
	s_add_co_i32 s10, s10, 32
	s_mov_b32 s11, 0
	v_add_co_u32 v13, vcc_lo, v11, v9
	s_wait_alu 0xfffe
	s_lshl_b64 s[10:11], s[10:11], 4
	v_dual_mov_b32 v15, 2 :: v_dual_mov_b32 v16, 0
	s_wait_alu 0xfffe
	s_add_nc_u64 s[10:11], s[12:13], s[10:11]
	s_wait_alu 0xfffd
	v_add_co_ci_u32_e64 v14, null, v12, v10, vcc_lo
	s_wait_alu 0xfffe
	v_dual_mov_b32 v24, s11 :: v_dual_mov_b32 v23, s10
	;;#ASMSTART
	global_store_b128 v[23:24], v[13:16] off scope:SCOPE_DEV	
s_wait_storecnt 0x0
	;;#ASMEND
	ds_store_b128 v16, v[9:12] offset:8448
.LBB2170_77:
	s_wait_alu 0xfffe
	s_or_b32 exec_lo, exec_lo, s4
	s_delay_alu instid0(SALU_CYCLE_1)
	s_and_b32 exec_lo, exec_lo, s2
; %bb.78:
	v_mov_b32_e32 v9, 0
	ds_store_b64 v9, v[11:12] offset:56
.LBB2170_79:
	s_wait_alu 0xfffe
	s_or_b32 exec_lo, exec_lo, s3
	v_mov_b32_e32 v9, 0
	s_wait_loadcnt_dscnt 0x0
	s_barrier_signal -1
	s_barrier_wait -1
	global_inv scope:SCOPE_SE
	ds_load_b64 v[13:14], v9 offset:56
	v_cndmask_b32_e64 v11, v35, v21, s1
	v_cndmask_b32_e64 v10, 0, v22, s1
	s_wait_loadcnt_dscnt 0x0
	s_barrier_signal -1
	s_barrier_wait -1
	v_cndmask_b32_e64 v16, v11, 0, s2
	v_cndmask_b32_e64 v15, v10, 0, s2
	global_inv scope:SCOPE_SE
	ds_load_b128 v[9:12], v9 offset:8448
	v_add_co_u32 v21, vcc_lo, v13, v16
	s_wait_alu 0xfffd
	v_add_co_ci_u32_e64 v13, null, v14, v15, vcc_lo
	s_delay_alu instid0(VALU_DEP_2) | instskip(SKIP_1) | instid1(VALU_DEP_2)
	v_add_co_u32 v15, vcc_lo, v21, v31
	s_wait_alu 0xfffd
	v_add_co_ci_u32_e64 v13, null, 0, v13, vcc_lo
	s_delay_alu instid0(VALU_DEP_2) | instskip(SKIP_1) | instid1(VALU_DEP_2)
	;; [unrolled: 4-line block ×3, first 2 shown]
	v_add_co_u32 v13, vcc_lo, v14, v32
	s_wait_alu 0xfffd
	v_add_co_ci_u32_e64 v16, null, 0, v16, vcc_lo
	s_branch .LBB2170_105
.LBB2170_80:
	s_wait_dscnt 0x0
	v_dual_mov_b32 v10, 0 :: v_dual_mov_b32 v11, v19
	v_mov_b32_dpp v12, v19 row_shr:1 row_mask:0xf bank_mask:0xf
	s_delay_alu instid0(VALU_DEP_2)
	v_mov_b32_dpp v9, v10 row_shr:1 row_mask:0xf bank_mask:0xf
	s_and_saveexec_b32 s1, s0
; %bb.81:
	s_delay_alu instid0(VALU_DEP_2) | instskip(SKIP_2) | instid1(VALU_DEP_2)
	v_add_co_u32 v11, vcc_lo, v19, v12
	s_wait_alu 0xfffd
	v_add_co_ci_u32_e64 v10, null, 0, v20, vcc_lo
	v_add_co_u32 v19, vcc_lo, 0, v11
	s_wait_alu 0xfffd
	s_delay_alu instid0(VALU_DEP_2) | instskip(NEXT) | instid1(VALU_DEP_1)
	v_add_co_ci_u32_e64 v20, null, v9, v10, vcc_lo
	v_mov_b32_e32 v10, v20
; %bb.82:
	s_wait_alu 0xfffe
	s_or_b32 exec_lo, exec_lo, s1
	v_mov_b32_dpp v9, v11 row_shr:2 row_mask:0xf bank_mask:0xf
	s_delay_alu instid0(VALU_DEP_2)
	v_mov_b32_dpp v12, v10 row_shr:2 row_mask:0xf bank_mask:0xf
	s_mov_b32 s0, exec_lo
	v_cmpx_lt_u32_e32 1, v34
; %bb.83:
	s_delay_alu instid0(VALU_DEP_3) | instskip(SKIP_2) | instid1(VALU_DEP_2)
	v_add_co_u32 v11, vcc_lo, v19, v9
	s_wait_alu 0xfffd
	v_add_co_ci_u32_e64 v10, null, 0, v20, vcc_lo
	v_add_co_u32 v9, vcc_lo, 0, v11
	s_wait_alu 0xfffd
	s_delay_alu instid0(VALU_DEP_2) | instskip(NEXT) | instid1(VALU_DEP_1)
	v_add_co_ci_u32_e64 v10, null, v12, v10, vcc_lo
	v_dual_mov_b32 v20, v10 :: v_dual_mov_b32 v19, v9
; %bb.84:
	s_wait_alu 0xfffe
	s_or_b32 exec_lo, exec_lo, s0
	v_mov_b32_dpp v9, v11 row_shr:4 row_mask:0xf bank_mask:0xf
	v_mov_b32_dpp v12, v10 row_shr:4 row_mask:0xf bank_mask:0xf
	s_mov_b32 s0, exec_lo
	v_cmpx_lt_u32_e32 3, v34
; %bb.85:
	s_delay_alu instid0(VALU_DEP_3) | instskip(SKIP_2) | instid1(VALU_DEP_2)
	v_add_co_u32 v11, vcc_lo, v19, v9
	s_wait_alu 0xfffd
	v_add_co_ci_u32_e64 v10, null, 0, v20, vcc_lo
	v_add_co_u32 v9, vcc_lo, 0, v11
	s_wait_alu 0xfffd
	s_delay_alu instid0(VALU_DEP_2) | instskip(NEXT) | instid1(VALU_DEP_1)
	v_add_co_ci_u32_e64 v10, null, v12, v10, vcc_lo
	v_dual_mov_b32 v20, v10 :: v_dual_mov_b32 v19, v9
; %bb.86:
	s_wait_alu 0xfffe
	s_or_b32 exec_lo, exec_lo, s0
	v_mov_b32_dpp v12, v11 row_shr:8 row_mask:0xf bank_mask:0xf
	v_mov_b32_dpp v9, v10 row_shr:8 row_mask:0xf bank_mask:0xf
	s_mov_b32 s0, exec_lo
	v_cmpx_lt_u32_e32 7, v34
; %bb.87:
	s_delay_alu instid0(VALU_DEP_3) | instskip(SKIP_2) | instid1(VALU_DEP_2)
	v_add_co_u32 v11, vcc_lo, v19, v12
	s_wait_alu 0xfffd
	v_add_co_ci_u32_e64 v10, null, 0, v20, vcc_lo
	v_add_co_u32 v19, vcc_lo, 0, v11
	s_wait_alu 0xfffd
	s_delay_alu instid0(VALU_DEP_2) | instskip(NEXT) | instid1(VALU_DEP_1)
	v_add_co_ci_u32_e64 v20, null, v9, v10, vcc_lo
	v_mov_b32_e32 v10, v20
; %bb.88:
	s_wait_alu 0xfffe
	s_or_b32 exec_lo, exec_lo, s0
	ds_swizzle_b32 v11, v11 offset:swizzle(BROADCAST,32,15)
	ds_swizzle_b32 v9, v10 offset:swizzle(BROADCAST,32,15)
	v_and_b32_e32 v10, 16, v33
	s_mov_b32 s0, exec_lo
	s_delay_alu instid0(VALU_DEP_1)
	v_cmpx_ne_u32_e32 0, v10
	s_cbranch_execz .LBB2170_90
; %bb.89:
	s_wait_dscnt 0x1
	v_add_co_u32 v10, vcc_lo, v19, v11
	s_wait_alu 0xfffd
	v_add_co_ci_u32_e64 v11, null, 0, v20, vcc_lo
	s_delay_alu instid0(VALU_DEP_2) | instskip(SKIP_2) | instid1(VALU_DEP_2)
	v_add_co_u32 v19, vcc_lo, v10, 0
	s_wait_dscnt 0x0
	s_wait_alu 0xfffd
	v_add_co_ci_u32_e64 v20, null, v11, v9, vcc_lo
.LBB2170_90:
	s_wait_alu 0xfffe
	s_or_b32 exec_lo, exec_lo, s0
	s_wait_dscnt 0x0
	v_or_b32_e32 v9, 31, v0
	v_lshrrev_b32_e32 v11, 5, v0
	s_mov_b32 s0, exec_lo
	s_delay_alu instid0(VALU_DEP_2)
	v_cmpx_eq_u32_e64 v0, v9
; %bb.91:
	s_delay_alu instid0(VALU_DEP_2)
	v_lshlrev_b32_e32 v9, 3, v11
	ds_store_b64 v9, v[19:20]
; %bb.92:
	s_wait_alu 0xfffe
	s_or_b32 exec_lo, exec_lo, s0
	s_delay_alu instid0(SALU_CYCLE_1)
	s_mov_b32 s0, exec_lo
	s_wait_loadcnt_dscnt 0x0
	s_barrier_signal -1
	s_barrier_wait -1
	global_inv scope:SCOPE_SE
	v_cmpx_gt_u32_e32 8, v0
	s_cbranch_execz .LBB2170_100
; %bb.93:
	v_lshlrev_b32_e32 v12, 3, v0
	s_mov_b32 s1, exec_lo
	ds_load_b64 v[9:10], v12
	s_wait_dscnt 0x0
	v_dual_mov_b32 v14, v9 :: v_dual_and_b32 v13, 7, v33
	v_mov_b32_dpp v16, v9 row_shr:1 row_mask:0xf bank_mask:0xf
	v_mov_b32_dpp v15, v10 row_shr:1 row_mask:0xf bank_mask:0xf
	s_delay_alu instid0(VALU_DEP_3)
	v_cmpx_ne_u32_e32 0, v13
; %bb.94:
	s_delay_alu instid0(VALU_DEP_3) | instskip(SKIP_2) | instid1(VALU_DEP_2)
	v_add_co_u32 v14, vcc_lo, v9, v16
	s_wait_alu 0xfffd
	v_add_co_ci_u32_e64 v10, null, 0, v10, vcc_lo
	v_add_co_u32 v9, vcc_lo, 0, v14
	s_wait_alu 0xfffd
	s_delay_alu instid0(VALU_DEP_2)
	v_add_co_ci_u32_e64 v10, null, v15, v10, vcc_lo
; %bb.95:
	s_wait_alu 0xfffe
	s_or_b32 exec_lo, exec_lo, s1
	v_mov_b32_dpp v16, v14 row_shr:2 row_mask:0xf bank_mask:0xf
	s_delay_alu instid0(VALU_DEP_2)
	v_mov_b32_dpp v15, v10 row_shr:2 row_mask:0xf bank_mask:0xf
	s_mov_b32 s1, exec_lo
	v_cmpx_lt_u32_e32 1, v13
; %bb.96:
	s_delay_alu instid0(VALU_DEP_3) | instskip(SKIP_2) | instid1(VALU_DEP_2)
	v_add_co_u32 v14, vcc_lo, v9, v16
	s_wait_alu 0xfffd
	v_add_co_ci_u32_e64 v10, null, 0, v10, vcc_lo
	v_add_co_u32 v9, vcc_lo, 0, v14
	s_wait_alu 0xfffd
	s_delay_alu instid0(VALU_DEP_2)
	v_add_co_ci_u32_e64 v10, null, v15, v10, vcc_lo
; %bb.97:
	s_wait_alu 0xfffe
	s_or_b32 exec_lo, exec_lo, s1
	v_mov_b32_dpp v15, v14 row_shr:4 row_mask:0xf bank_mask:0xf
	s_delay_alu instid0(VALU_DEP_2)
	v_mov_b32_dpp v14, v10 row_shr:4 row_mask:0xf bank_mask:0xf
	s_mov_b32 s1, exec_lo
	v_cmpx_lt_u32_e32 3, v13
; %bb.98:
	s_delay_alu instid0(VALU_DEP_3) | instskip(SKIP_2) | instid1(VALU_DEP_2)
	v_add_co_u32 v9, vcc_lo, v9, v15
	s_wait_alu 0xfffd
	v_add_co_ci_u32_e64 v10, null, 0, v10, vcc_lo
	v_add_co_u32 v9, vcc_lo, v9, 0
	s_wait_alu 0xfffd
	s_delay_alu instid0(VALU_DEP_2)
	v_add_co_ci_u32_e64 v10, null, v10, v14, vcc_lo
; %bb.99:
	s_wait_alu 0xfffe
	s_or_b32 exec_lo, exec_lo, s1
	ds_store_b64 v12, v[9:10]
.LBB2170_100:
	s_wait_alu 0xfffe
	s_or_b32 exec_lo, exec_lo, s0
	v_mov_b32_e32 v13, 0
	v_mov_b32_e32 v14, 0
	s_mov_b32 s0, exec_lo
	s_wait_loadcnt_dscnt 0x0
	s_barrier_signal -1
	s_barrier_wait -1
	global_inv scope:SCOPE_SE
	v_cmpx_lt_u32_e32 31, v0
; %bb.101:
	v_lshl_add_u32 v0, v11, 3, -8
	ds_load_b64 v[13:14], v0
; %bb.102:
	s_wait_alu 0xfffe
	s_or_b32 exec_lo, exec_lo, s0
	v_sub_co_u32 v0, vcc_lo, v33, 1
	s_wait_dscnt 0x0
	v_dual_mov_b32 v12, 0 :: v_dual_add_nc_u32 v9, v13, v19
	s_delay_alu instid0(VALU_DEP_2) | instskip(SKIP_1) | instid1(VALU_DEP_1)
	v_cmp_gt_i32_e64 s0, 0, v0
	s_wait_alu 0xf1ff
	v_cndmask_b32_e64 v0, v0, v33, s0
	s_delay_alu instid0(VALU_DEP_1)
	v_lshlrev_b32_e32 v0, 2, v0
	ds_bpermute_b32 v0, v0, v9
	ds_load_b64 v[9:10], v12 offset:56
	s_and_saveexec_b32 s0, s2
	s_cbranch_execz .LBB2170_104
; %bb.103:
	s_add_nc_u64 s[4:5], s[12:13], 0x200
	s_wait_alu 0xfffe
	v_dual_mov_b32 v11, 2 :: v_dual_mov_b32 v16, s5
	v_mov_b32_e32 v15, s4
	s_wait_dscnt 0x0
	;;#ASMSTART
	global_store_b128 v[15:16], v[9:12] off scope:SCOPE_DEV	
s_wait_storecnt 0x0
	;;#ASMEND
.LBB2170_104:
	s_wait_alu 0xfffe
	s_or_b32 exec_lo, exec_lo, s0
	s_wait_dscnt 0x1
	s_wait_alu 0xfffd
	v_dual_cndmask_b32 v0, v0, v13 :: v_dual_cndmask_b32 v11, 0, v14
	s_wait_loadcnt_dscnt 0x0
	s_barrier_signal -1
	s_barrier_wait -1
	s_delay_alu instid0(VALU_DEP_1)
	v_cndmask_b32_e64 v21, v0, 0, s2
	v_cndmask_b32_e64 v0, v11, 0, s2
	v_mov_b32_e32 v11, 0
	v_mov_b32_e32 v12, 0
	global_inv scope:SCOPE_SE
	v_add_co_u32 v15, vcc_lo, v21, v31
	s_wait_alu 0xfffd
	v_add_co_ci_u32_e64 v0, null, 0, v0, vcc_lo
	s_delay_alu instid0(VALU_DEP_2) | instskip(SKIP_1) | instid1(VALU_DEP_2)
	v_add_co_u32 v14, vcc_lo, v15, v30
	s_wait_alu 0xfffd
	v_add_co_ci_u32_e64 v0, null, 0, v0, vcc_lo
	s_delay_alu instid0(VALU_DEP_2) | instskip(SKIP_1) | instid1(VALU_DEP_2)
	v_add_co_u32 v13, vcc_lo, v14, v32
	s_wait_alu 0xfffd
	v_add_co_ci_u32_e64 v0, null, 0, v0, vcc_lo
.LBB2170_105:
	s_wait_dscnt 0x0
	v_cmp_gt_u64_e32 vcc_lo, 0x101, v[9:10]
	s_cbranch_vccz .LBB2170_108
; %bb.106:
	s_and_b32 s0, s2, s6
	s_wait_alu 0xfffe
	s_and_saveexec_b32 s1, s0
	s_cbranch_execnz .LBB2170_117
.LBB2170_107:
	s_endpgm
.LBB2170_108:
	v_and_b32_e32 v0, 1, v29
	s_mov_b32 s0, exec_lo
	s_delay_alu instid0(VALU_DEP_1)
	v_cmpx_eq_u32_e32 1, v0
; %bb.109:
	v_sub_nc_u32_e32 v0, v21, v11
	s_delay_alu instid0(VALU_DEP_1)
	v_lshlrev_b32_e32 v0, 3, v0
	ds_store_b64 v0, v[1:2]
; %bb.110:
	s_wait_alu 0xfffe
	s_or_b32 exec_lo, exec_lo, s0
	v_and_b32_e32 v0, 1, v28
	s_mov_b32 s0, exec_lo
	s_delay_alu instid0(VALU_DEP_1)
	v_cmpx_eq_u32_e32 1, v0
; %bb.111:
	v_sub_nc_u32_e32 v0, v15, v11
	s_delay_alu instid0(VALU_DEP_1)
	v_lshlrev_b32_e32 v0, 3, v0
	ds_store_b64 v0, v[5:6]
; %bb.112:
	s_wait_alu 0xfffe
	s_or_b32 exec_lo, exec_lo, s0
	;; [unrolled: 12-line block ×3, first 2 shown]
	s_and_saveexec_b32 s0, s7
; %bb.115:
	v_sub_nc_u32_e32 v0, v13, v11
	s_delay_alu instid0(VALU_DEP_1)
	v_lshlrev_b32_e32 v0, 3, v0
	ds_store_b64 v0, v[3:4]
; %bb.116:
	s_wait_alu 0xfffe
	s_or_b32 exec_lo, exec_lo, s0
	s_wait_loadcnt_dscnt 0x0
	s_barrier_signal -1
	s_barrier_wait -1
	global_inv scope:SCOPE_SE
	s_and_b32 s0, s2, s6
	s_wait_alu 0xfffe
	s_and_saveexec_b32 s1, s0
	s_cbranch_execz .LBB2170_107
.LBB2170_117:
	v_add_co_u32 v0, vcc_lo, v9, v17
	s_wait_alu 0xfffd
	v_add_co_ci_u32_e64 v1, null, v10, v18, vcc_lo
	v_mov_b32_e32 v2, 0
	s_delay_alu instid0(VALU_DEP_3) | instskip(SKIP_1) | instid1(VALU_DEP_3)
	v_add_co_u32 v0, vcc_lo, v0, v11
	s_wait_alu 0xfffd
	v_add_co_ci_u32_e64 v1, null, v1, v12, vcc_lo
	global_store_b64 v2, v[0:1], s[8:9]
	s_endpgm
.LBB2170_118:
	v_dual_mov_b32 v21, v1 :: v_dual_lshlrev_b32 v2, 3, v0
	v_dual_mov_b32 v22, v1 :: v_dual_mov_b32 v23, v1
	v_dual_mov_b32 v24, v1 :: v_dual_mov_b32 v25, v1
	s_delay_alu instid0(VALU_DEP_3)
	v_add_co_u32 v2, vcc_lo, v13, v2
	s_wait_alu 0xfffd
	v_add_co_ci_u32_e64 v3, null, 0, v14, vcc_lo
	v_mov_b32_e32 v26, v1
	flat_load_b64 v[19:20], v[2:3]
	s_wait_loadcnt_dscnt 0x0
	v_dual_mov_b32 v1, v19 :: v_dual_mov_b32 v2, v20
	v_dual_mov_b32 v3, v21 :: v_dual_mov_b32 v4, v22
	;; [unrolled: 1-line block ×4, first 2 shown]
	s_or_b32 exec_lo, exec_lo, s0
	s_delay_alu instid0(SALU_CYCLE_1)
	s_mov_b32 s0, exec_lo
	v_cmpx_gt_u32_e64 s11, v12
	s_cbranch_execz .LBB2170_9
.LBB2170_119:
	v_lshlrev_b32_e32 v3, 3, v0
	s_delay_alu instid0(VALU_DEP_1) | instskip(SKIP_4) | instid1(SALU_CYCLE_1)
	v_add_co_u32 v3, vcc_lo, v13, v3
	s_wait_alu 0xfffd
	v_add_co_ci_u32_e64 v4, null, 0, v14, vcc_lo
	flat_load_b64 v[3:4], v[3:4] offset:2048
	s_or_b32 exec_lo, exec_lo, s0
	s_mov_b32 s0, exec_lo
	v_cmpx_gt_u32_e64 s11, v11
	s_cbranch_execz .LBB2170_10
.LBB2170_120:
	v_lshlrev_b32_e32 v5, 3, v0
	s_delay_alu instid0(VALU_DEP_1) | instskip(SKIP_4) | instid1(SALU_CYCLE_1)
	v_add_co_u32 v5, vcc_lo, v13, v5
	s_wait_alu 0xfffd
	v_add_co_ci_u32_e64 v6, null, 0, v14, vcc_lo
	flat_load_b64 v[5:6], v[5:6] offset:4096
	s_or_b32 exec_lo, exec_lo, s0
	s_mov_b32 s0, exec_lo
	v_cmpx_gt_u32_e64 s11, v10
	s_cbranch_execnz .LBB2170_11
	s_branch .LBB2170_12
	.section	.rodata,"a",@progbits
	.p2align	6, 0x0
	.amdhsa_kernel _ZN7rocprim17ROCPRIM_400000_NS6detail17trampoline_kernelINS0_14default_configENS1_25partition_config_selectorILNS1_17partition_subalgoE6EyNS0_10empty_typeEbEEZZNS1_14partition_implILS5_6ELb0ES3_mN6thrust23THRUST_200600_302600_NS6detail15normal_iteratorINSA_10device_ptrIyEEEEPS6_SG_NS0_5tupleIJNSA_16discard_iteratorINSA_11use_defaultEEES6_EEENSH_IJSG_SG_EEES6_PlJNSB_9not_fun_tI7is_trueIyEEEEEE10hipError_tPvRmT3_T4_T5_T6_T7_T9_mT8_P12ihipStream_tbDpT10_ENKUlT_T0_E_clISt17integral_constantIbLb0EES1A_IbLb1EEEEDaS16_S17_EUlS16_E_NS1_11comp_targetILNS1_3genE10ELNS1_11target_archE1200ELNS1_3gpuE4ELNS1_3repE0EEENS1_30default_config_static_selectorELNS0_4arch9wavefront6targetE0EEEvT1_
		.amdhsa_group_segment_fixed_size 8464
		.amdhsa_private_segment_fixed_size 0
		.amdhsa_kernarg_size 136
		.amdhsa_user_sgpr_count 2
		.amdhsa_user_sgpr_dispatch_ptr 0
		.amdhsa_user_sgpr_queue_ptr 0
		.amdhsa_user_sgpr_kernarg_segment_ptr 1
		.amdhsa_user_sgpr_dispatch_id 0
		.amdhsa_user_sgpr_private_segment_size 0
		.amdhsa_wavefront_size32 1
		.amdhsa_uses_dynamic_stack 0
		.amdhsa_enable_private_segment 0
		.amdhsa_system_sgpr_workgroup_id_x 1
		.amdhsa_system_sgpr_workgroup_id_y 0
		.amdhsa_system_sgpr_workgroup_id_z 0
		.amdhsa_system_sgpr_workgroup_info 0
		.amdhsa_system_vgpr_workitem_id 0
		.amdhsa_next_free_vgpr 47
		.amdhsa_next_free_sgpr 20
		.amdhsa_reserve_vcc 1
		.amdhsa_float_round_mode_32 0
		.amdhsa_float_round_mode_16_64 0
		.amdhsa_float_denorm_mode_32 3
		.amdhsa_float_denorm_mode_16_64 3
		.amdhsa_fp16_overflow 0
		.amdhsa_workgroup_processor_mode 1
		.amdhsa_memory_ordered 1
		.amdhsa_forward_progress 1
		.amdhsa_inst_pref_size 47
		.amdhsa_round_robin_scheduling 0
		.amdhsa_exception_fp_ieee_invalid_op 0
		.amdhsa_exception_fp_denorm_src 0
		.amdhsa_exception_fp_ieee_div_zero 0
		.amdhsa_exception_fp_ieee_overflow 0
		.amdhsa_exception_fp_ieee_underflow 0
		.amdhsa_exception_fp_ieee_inexact 0
		.amdhsa_exception_int_div_zero 0
	.end_amdhsa_kernel
	.section	.text._ZN7rocprim17ROCPRIM_400000_NS6detail17trampoline_kernelINS0_14default_configENS1_25partition_config_selectorILNS1_17partition_subalgoE6EyNS0_10empty_typeEbEEZZNS1_14partition_implILS5_6ELb0ES3_mN6thrust23THRUST_200600_302600_NS6detail15normal_iteratorINSA_10device_ptrIyEEEEPS6_SG_NS0_5tupleIJNSA_16discard_iteratorINSA_11use_defaultEEES6_EEENSH_IJSG_SG_EEES6_PlJNSB_9not_fun_tI7is_trueIyEEEEEE10hipError_tPvRmT3_T4_T5_T6_T7_T9_mT8_P12ihipStream_tbDpT10_ENKUlT_T0_E_clISt17integral_constantIbLb0EES1A_IbLb1EEEEDaS16_S17_EUlS16_E_NS1_11comp_targetILNS1_3genE10ELNS1_11target_archE1200ELNS1_3gpuE4ELNS1_3repE0EEENS1_30default_config_static_selectorELNS0_4arch9wavefront6targetE0EEEvT1_,"axG",@progbits,_ZN7rocprim17ROCPRIM_400000_NS6detail17trampoline_kernelINS0_14default_configENS1_25partition_config_selectorILNS1_17partition_subalgoE6EyNS0_10empty_typeEbEEZZNS1_14partition_implILS5_6ELb0ES3_mN6thrust23THRUST_200600_302600_NS6detail15normal_iteratorINSA_10device_ptrIyEEEEPS6_SG_NS0_5tupleIJNSA_16discard_iteratorINSA_11use_defaultEEES6_EEENSH_IJSG_SG_EEES6_PlJNSB_9not_fun_tI7is_trueIyEEEEEE10hipError_tPvRmT3_T4_T5_T6_T7_T9_mT8_P12ihipStream_tbDpT10_ENKUlT_T0_E_clISt17integral_constantIbLb0EES1A_IbLb1EEEEDaS16_S17_EUlS16_E_NS1_11comp_targetILNS1_3genE10ELNS1_11target_archE1200ELNS1_3gpuE4ELNS1_3repE0EEENS1_30default_config_static_selectorELNS0_4arch9wavefront6targetE0EEEvT1_,comdat
.Lfunc_end2170:
	.size	_ZN7rocprim17ROCPRIM_400000_NS6detail17trampoline_kernelINS0_14default_configENS1_25partition_config_selectorILNS1_17partition_subalgoE6EyNS0_10empty_typeEbEEZZNS1_14partition_implILS5_6ELb0ES3_mN6thrust23THRUST_200600_302600_NS6detail15normal_iteratorINSA_10device_ptrIyEEEEPS6_SG_NS0_5tupleIJNSA_16discard_iteratorINSA_11use_defaultEEES6_EEENSH_IJSG_SG_EEES6_PlJNSB_9not_fun_tI7is_trueIyEEEEEE10hipError_tPvRmT3_T4_T5_T6_T7_T9_mT8_P12ihipStream_tbDpT10_ENKUlT_T0_E_clISt17integral_constantIbLb0EES1A_IbLb1EEEEDaS16_S17_EUlS16_E_NS1_11comp_targetILNS1_3genE10ELNS1_11target_archE1200ELNS1_3gpuE4ELNS1_3repE0EEENS1_30default_config_static_selectorELNS0_4arch9wavefront6targetE0EEEvT1_, .Lfunc_end2170-_ZN7rocprim17ROCPRIM_400000_NS6detail17trampoline_kernelINS0_14default_configENS1_25partition_config_selectorILNS1_17partition_subalgoE6EyNS0_10empty_typeEbEEZZNS1_14partition_implILS5_6ELb0ES3_mN6thrust23THRUST_200600_302600_NS6detail15normal_iteratorINSA_10device_ptrIyEEEEPS6_SG_NS0_5tupleIJNSA_16discard_iteratorINSA_11use_defaultEEES6_EEENSH_IJSG_SG_EEES6_PlJNSB_9not_fun_tI7is_trueIyEEEEEE10hipError_tPvRmT3_T4_T5_T6_T7_T9_mT8_P12ihipStream_tbDpT10_ENKUlT_T0_E_clISt17integral_constantIbLb0EES1A_IbLb1EEEEDaS16_S17_EUlS16_E_NS1_11comp_targetILNS1_3genE10ELNS1_11target_archE1200ELNS1_3gpuE4ELNS1_3repE0EEENS1_30default_config_static_selectorELNS0_4arch9wavefront6targetE0EEEvT1_
                                        ; -- End function
	.set _ZN7rocprim17ROCPRIM_400000_NS6detail17trampoline_kernelINS0_14default_configENS1_25partition_config_selectorILNS1_17partition_subalgoE6EyNS0_10empty_typeEbEEZZNS1_14partition_implILS5_6ELb0ES3_mN6thrust23THRUST_200600_302600_NS6detail15normal_iteratorINSA_10device_ptrIyEEEEPS6_SG_NS0_5tupleIJNSA_16discard_iteratorINSA_11use_defaultEEES6_EEENSH_IJSG_SG_EEES6_PlJNSB_9not_fun_tI7is_trueIyEEEEEE10hipError_tPvRmT3_T4_T5_T6_T7_T9_mT8_P12ihipStream_tbDpT10_ENKUlT_T0_E_clISt17integral_constantIbLb0EES1A_IbLb1EEEEDaS16_S17_EUlS16_E_NS1_11comp_targetILNS1_3genE10ELNS1_11target_archE1200ELNS1_3gpuE4ELNS1_3repE0EEENS1_30default_config_static_selectorELNS0_4arch9wavefront6targetE0EEEvT1_.num_vgpr, 47
	.set _ZN7rocprim17ROCPRIM_400000_NS6detail17trampoline_kernelINS0_14default_configENS1_25partition_config_selectorILNS1_17partition_subalgoE6EyNS0_10empty_typeEbEEZZNS1_14partition_implILS5_6ELb0ES3_mN6thrust23THRUST_200600_302600_NS6detail15normal_iteratorINSA_10device_ptrIyEEEEPS6_SG_NS0_5tupleIJNSA_16discard_iteratorINSA_11use_defaultEEES6_EEENSH_IJSG_SG_EEES6_PlJNSB_9not_fun_tI7is_trueIyEEEEEE10hipError_tPvRmT3_T4_T5_T6_T7_T9_mT8_P12ihipStream_tbDpT10_ENKUlT_T0_E_clISt17integral_constantIbLb0EES1A_IbLb1EEEEDaS16_S17_EUlS16_E_NS1_11comp_targetILNS1_3genE10ELNS1_11target_archE1200ELNS1_3gpuE4ELNS1_3repE0EEENS1_30default_config_static_selectorELNS0_4arch9wavefront6targetE0EEEvT1_.num_agpr, 0
	.set _ZN7rocprim17ROCPRIM_400000_NS6detail17trampoline_kernelINS0_14default_configENS1_25partition_config_selectorILNS1_17partition_subalgoE6EyNS0_10empty_typeEbEEZZNS1_14partition_implILS5_6ELb0ES3_mN6thrust23THRUST_200600_302600_NS6detail15normal_iteratorINSA_10device_ptrIyEEEEPS6_SG_NS0_5tupleIJNSA_16discard_iteratorINSA_11use_defaultEEES6_EEENSH_IJSG_SG_EEES6_PlJNSB_9not_fun_tI7is_trueIyEEEEEE10hipError_tPvRmT3_T4_T5_T6_T7_T9_mT8_P12ihipStream_tbDpT10_ENKUlT_T0_E_clISt17integral_constantIbLb0EES1A_IbLb1EEEEDaS16_S17_EUlS16_E_NS1_11comp_targetILNS1_3genE10ELNS1_11target_archE1200ELNS1_3gpuE4ELNS1_3repE0EEENS1_30default_config_static_selectorELNS0_4arch9wavefront6targetE0EEEvT1_.numbered_sgpr, 20
	.set _ZN7rocprim17ROCPRIM_400000_NS6detail17trampoline_kernelINS0_14default_configENS1_25partition_config_selectorILNS1_17partition_subalgoE6EyNS0_10empty_typeEbEEZZNS1_14partition_implILS5_6ELb0ES3_mN6thrust23THRUST_200600_302600_NS6detail15normal_iteratorINSA_10device_ptrIyEEEEPS6_SG_NS0_5tupleIJNSA_16discard_iteratorINSA_11use_defaultEEES6_EEENSH_IJSG_SG_EEES6_PlJNSB_9not_fun_tI7is_trueIyEEEEEE10hipError_tPvRmT3_T4_T5_T6_T7_T9_mT8_P12ihipStream_tbDpT10_ENKUlT_T0_E_clISt17integral_constantIbLb0EES1A_IbLb1EEEEDaS16_S17_EUlS16_E_NS1_11comp_targetILNS1_3genE10ELNS1_11target_archE1200ELNS1_3gpuE4ELNS1_3repE0EEENS1_30default_config_static_selectorELNS0_4arch9wavefront6targetE0EEEvT1_.num_named_barrier, 0
	.set _ZN7rocprim17ROCPRIM_400000_NS6detail17trampoline_kernelINS0_14default_configENS1_25partition_config_selectorILNS1_17partition_subalgoE6EyNS0_10empty_typeEbEEZZNS1_14partition_implILS5_6ELb0ES3_mN6thrust23THRUST_200600_302600_NS6detail15normal_iteratorINSA_10device_ptrIyEEEEPS6_SG_NS0_5tupleIJNSA_16discard_iteratorINSA_11use_defaultEEES6_EEENSH_IJSG_SG_EEES6_PlJNSB_9not_fun_tI7is_trueIyEEEEEE10hipError_tPvRmT3_T4_T5_T6_T7_T9_mT8_P12ihipStream_tbDpT10_ENKUlT_T0_E_clISt17integral_constantIbLb0EES1A_IbLb1EEEEDaS16_S17_EUlS16_E_NS1_11comp_targetILNS1_3genE10ELNS1_11target_archE1200ELNS1_3gpuE4ELNS1_3repE0EEENS1_30default_config_static_selectorELNS0_4arch9wavefront6targetE0EEEvT1_.private_seg_size, 0
	.set _ZN7rocprim17ROCPRIM_400000_NS6detail17trampoline_kernelINS0_14default_configENS1_25partition_config_selectorILNS1_17partition_subalgoE6EyNS0_10empty_typeEbEEZZNS1_14partition_implILS5_6ELb0ES3_mN6thrust23THRUST_200600_302600_NS6detail15normal_iteratorINSA_10device_ptrIyEEEEPS6_SG_NS0_5tupleIJNSA_16discard_iteratorINSA_11use_defaultEEES6_EEENSH_IJSG_SG_EEES6_PlJNSB_9not_fun_tI7is_trueIyEEEEEE10hipError_tPvRmT3_T4_T5_T6_T7_T9_mT8_P12ihipStream_tbDpT10_ENKUlT_T0_E_clISt17integral_constantIbLb0EES1A_IbLb1EEEEDaS16_S17_EUlS16_E_NS1_11comp_targetILNS1_3genE10ELNS1_11target_archE1200ELNS1_3gpuE4ELNS1_3repE0EEENS1_30default_config_static_selectorELNS0_4arch9wavefront6targetE0EEEvT1_.uses_vcc, 1
	.set _ZN7rocprim17ROCPRIM_400000_NS6detail17trampoline_kernelINS0_14default_configENS1_25partition_config_selectorILNS1_17partition_subalgoE6EyNS0_10empty_typeEbEEZZNS1_14partition_implILS5_6ELb0ES3_mN6thrust23THRUST_200600_302600_NS6detail15normal_iteratorINSA_10device_ptrIyEEEEPS6_SG_NS0_5tupleIJNSA_16discard_iteratorINSA_11use_defaultEEES6_EEENSH_IJSG_SG_EEES6_PlJNSB_9not_fun_tI7is_trueIyEEEEEE10hipError_tPvRmT3_T4_T5_T6_T7_T9_mT8_P12ihipStream_tbDpT10_ENKUlT_T0_E_clISt17integral_constantIbLb0EES1A_IbLb1EEEEDaS16_S17_EUlS16_E_NS1_11comp_targetILNS1_3genE10ELNS1_11target_archE1200ELNS1_3gpuE4ELNS1_3repE0EEENS1_30default_config_static_selectorELNS0_4arch9wavefront6targetE0EEEvT1_.uses_flat_scratch, 1
	.set _ZN7rocprim17ROCPRIM_400000_NS6detail17trampoline_kernelINS0_14default_configENS1_25partition_config_selectorILNS1_17partition_subalgoE6EyNS0_10empty_typeEbEEZZNS1_14partition_implILS5_6ELb0ES3_mN6thrust23THRUST_200600_302600_NS6detail15normal_iteratorINSA_10device_ptrIyEEEEPS6_SG_NS0_5tupleIJNSA_16discard_iteratorINSA_11use_defaultEEES6_EEENSH_IJSG_SG_EEES6_PlJNSB_9not_fun_tI7is_trueIyEEEEEE10hipError_tPvRmT3_T4_T5_T6_T7_T9_mT8_P12ihipStream_tbDpT10_ENKUlT_T0_E_clISt17integral_constantIbLb0EES1A_IbLb1EEEEDaS16_S17_EUlS16_E_NS1_11comp_targetILNS1_3genE10ELNS1_11target_archE1200ELNS1_3gpuE4ELNS1_3repE0EEENS1_30default_config_static_selectorELNS0_4arch9wavefront6targetE0EEEvT1_.has_dyn_sized_stack, 0
	.set _ZN7rocprim17ROCPRIM_400000_NS6detail17trampoline_kernelINS0_14default_configENS1_25partition_config_selectorILNS1_17partition_subalgoE6EyNS0_10empty_typeEbEEZZNS1_14partition_implILS5_6ELb0ES3_mN6thrust23THRUST_200600_302600_NS6detail15normal_iteratorINSA_10device_ptrIyEEEEPS6_SG_NS0_5tupleIJNSA_16discard_iteratorINSA_11use_defaultEEES6_EEENSH_IJSG_SG_EEES6_PlJNSB_9not_fun_tI7is_trueIyEEEEEE10hipError_tPvRmT3_T4_T5_T6_T7_T9_mT8_P12ihipStream_tbDpT10_ENKUlT_T0_E_clISt17integral_constantIbLb0EES1A_IbLb1EEEEDaS16_S17_EUlS16_E_NS1_11comp_targetILNS1_3genE10ELNS1_11target_archE1200ELNS1_3gpuE4ELNS1_3repE0EEENS1_30default_config_static_selectorELNS0_4arch9wavefront6targetE0EEEvT1_.has_recursion, 0
	.set _ZN7rocprim17ROCPRIM_400000_NS6detail17trampoline_kernelINS0_14default_configENS1_25partition_config_selectorILNS1_17partition_subalgoE6EyNS0_10empty_typeEbEEZZNS1_14partition_implILS5_6ELb0ES3_mN6thrust23THRUST_200600_302600_NS6detail15normal_iteratorINSA_10device_ptrIyEEEEPS6_SG_NS0_5tupleIJNSA_16discard_iteratorINSA_11use_defaultEEES6_EEENSH_IJSG_SG_EEES6_PlJNSB_9not_fun_tI7is_trueIyEEEEEE10hipError_tPvRmT3_T4_T5_T6_T7_T9_mT8_P12ihipStream_tbDpT10_ENKUlT_T0_E_clISt17integral_constantIbLb0EES1A_IbLb1EEEEDaS16_S17_EUlS16_E_NS1_11comp_targetILNS1_3genE10ELNS1_11target_archE1200ELNS1_3gpuE4ELNS1_3repE0EEENS1_30default_config_static_selectorELNS0_4arch9wavefront6targetE0EEEvT1_.has_indirect_call, 0
	.section	.AMDGPU.csdata,"",@progbits
; Kernel info:
; codeLenInByte = 5912
; TotalNumSgprs: 22
; NumVgprs: 47
; ScratchSize: 0
; MemoryBound: 0
; FloatMode: 240
; IeeeMode: 1
; LDSByteSize: 8464 bytes/workgroup (compile time only)
; SGPRBlocks: 0
; VGPRBlocks: 5
; NumSGPRsForWavesPerEU: 22
; NumVGPRsForWavesPerEU: 47
; Occupancy: 16
; WaveLimiterHint : 1
; COMPUTE_PGM_RSRC2:SCRATCH_EN: 0
; COMPUTE_PGM_RSRC2:USER_SGPR: 2
; COMPUTE_PGM_RSRC2:TRAP_HANDLER: 0
; COMPUTE_PGM_RSRC2:TGID_X_EN: 1
; COMPUTE_PGM_RSRC2:TGID_Y_EN: 0
; COMPUTE_PGM_RSRC2:TGID_Z_EN: 0
; COMPUTE_PGM_RSRC2:TIDIG_COMP_CNT: 0
	.section	.text._ZN7rocprim17ROCPRIM_400000_NS6detail17trampoline_kernelINS0_14default_configENS1_25partition_config_selectorILNS1_17partition_subalgoE6EyNS0_10empty_typeEbEEZZNS1_14partition_implILS5_6ELb0ES3_mN6thrust23THRUST_200600_302600_NS6detail15normal_iteratorINSA_10device_ptrIyEEEEPS6_SG_NS0_5tupleIJNSA_16discard_iteratorINSA_11use_defaultEEES6_EEENSH_IJSG_SG_EEES6_PlJNSB_9not_fun_tI7is_trueIyEEEEEE10hipError_tPvRmT3_T4_T5_T6_T7_T9_mT8_P12ihipStream_tbDpT10_ENKUlT_T0_E_clISt17integral_constantIbLb0EES1A_IbLb1EEEEDaS16_S17_EUlS16_E_NS1_11comp_targetILNS1_3genE9ELNS1_11target_archE1100ELNS1_3gpuE3ELNS1_3repE0EEENS1_30default_config_static_selectorELNS0_4arch9wavefront6targetE0EEEvT1_,"axG",@progbits,_ZN7rocprim17ROCPRIM_400000_NS6detail17trampoline_kernelINS0_14default_configENS1_25partition_config_selectorILNS1_17partition_subalgoE6EyNS0_10empty_typeEbEEZZNS1_14partition_implILS5_6ELb0ES3_mN6thrust23THRUST_200600_302600_NS6detail15normal_iteratorINSA_10device_ptrIyEEEEPS6_SG_NS0_5tupleIJNSA_16discard_iteratorINSA_11use_defaultEEES6_EEENSH_IJSG_SG_EEES6_PlJNSB_9not_fun_tI7is_trueIyEEEEEE10hipError_tPvRmT3_T4_T5_T6_T7_T9_mT8_P12ihipStream_tbDpT10_ENKUlT_T0_E_clISt17integral_constantIbLb0EES1A_IbLb1EEEEDaS16_S17_EUlS16_E_NS1_11comp_targetILNS1_3genE9ELNS1_11target_archE1100ELNS1_3gpuE3ELNS1_3repE0EEENS1_30default_config_static_selectorELNS0_4arch9wavefront6targetE0EEEvT1_,comdat
	.protected	_ZN7rocprim17ROCPRIM_400000_NS6detail17trampoline_kernelINS0_14default_configENS1_25partition_config_selectorILNS1_17partition_subalgoE6EyNS0_10empty_typeEbEEZZNS1_14partition_implILS5_6ELb0ES3_mN6thrust23THRUST_200600_302600_NS6detail15normal_iteratorINSA_10device_ptrIyEEEEPS6_SG_NS0_5tupleIJNSA_16discard_iteratorINSA_11use_defaultEEES6_EEENSH_IJSG_SG_EEES6_PlJNSB_9not_fun_tI7is_trueIyEEEEEE10hipError_tPvRmT3_T4_T5_T6_T7_T9_mT8_P12ihipStream_tbDpT10_ENKUlT_T0_E_clISt17integral_constantIbLb0EES1A_IbLb1EEEEDaS16_S17_EUlS16_E_NS1_11comp_targetILNS1_3genE9ELNS1_11target_archE1100ELNS1_3gpuE3ELNS1_3repE0EEENS1_30default_config_static_selectorELNS0_4arch9wavefront6targetE0EEEvT1_ ; -- Begin function _ZN7rocprim17ROCPRIM_400000_NS6detail17trampoline_kernelINS0_14default_configENS1_25partition_config_selectorILNS1_17partition_subalgoE6EyNS0_10empty_typeEbEEZZNS1_14partition_implILS5_6ELb0ES3_mN6thrust23THRUST_200600_302600_NS6detail15normal_iteratorINSA_10device_ptrIyEEEEPS6_SG_NS0_5tupleIJNSA_16discard_iteratorINSA_11use_defaultEEES6_EEENSH_IJSG_SG_EEES6_PlJNSB_9not_fun_tI7is_trueIyEEEEEE10hipError_tPvRmT3_T4_T5_T6_T7_T9_mT8_P12ihipStream_tbDpT10_ENKUlT_T0_E_clISt17integral_constantIbLb0EES1A_IbLb1EEEEDaS16_S17_EUlS16_E_NS1_11comp_targetILNS1_3genE9ELNS1_11target_archE1100ELNS1_3gpuE3ELNS1_3repE0EEENS1_30default_config_static_selectorELNS0_4arch9wavefront6targetE0EEEvT1_
	.globl	_ZN7rocprim17ROCPRIM_400000_NS6detail17trampoline_kernelINS0_14default_configENS1_25partition_config_selectorILNS1_17partition_subalgoE6EyNS0_10empty_typeEbEEZZNS1_14partition_implILS5_6ELb0ES3_mN6thrust23THRUST_200600_302600_NS6detail15normal_iteratorINSA_10device_ptrIyEEEEPS6_SG_NS0_5tupleIJNSA_16discard_iteratorINSA_11use_defaultEEES6_EEENSH_IJSG_SG_EEES6_PlJNSB_9not_fun_tI7is_trueIyEEEEEE10hipError_tPvRmT3_T4_T5_T6_T7_T9_mT8_P12ihipStream_tbDpT10_ENKUlT_T0_E_clISt17integral_constantIbLb0EES1A_IbLb1EEEEDaS16_S17_EUlS16_E_NS1_11comp_targetILNS1_3genE9ELNS1_11target_archE1100ELNS1_3gpuE3ELNS1_3repE0EEENS1_30default_config_static_selectorELNS0_4arch9wavefront6targetE0EEEvT1_
	.p2align	8
	.type	_ZN7rocprim17ROCPRIM_400000_NS6detail17trampoline_kernelINS0_14default_configENS1_25partition_config_selectorILNS1_17partition_subalgoE6EyNS0_10empty_typeEbEEZZNS1_14partition_implILS5_6ELb0ES3_mN6thrust23THRUST_200600_302600_NS6detail15normal_iteratorINSA_10device_ptrIyEEEEPS6_SG_NS0_5tupleIJNSA_16discard_iteratorINSA_11use_defaultEEES6_EEENSH_IJSG_SG_EEES6_PlJNSB_9not_fun_tI7is_trueIyEEEEEE10hipError_tPvRmT3_T4_T5_T6_T7_T9_mT8_P12ihipStream_tbDpT10_ENKUlT_T0_E_clISt17integral_constantIbLb0EES1A_IbLb1EEEEDaS16_S17_EUlS16_E_NS1_11comp_targetILNS1_3genE9ELNS1_11target_archE1100ELNS1_3gpuE3ELNS1_3repE0EEENS1_30default_config_static_selectorELNS0_4arch9wavefront6targetE0EEEvT1_,@function
_ZN7rocprim17ROCPRIM_400000_NS6detail17trampoline_kernelINS0_14default_configENS1_25partition_config_selectorILNS1_17partition_subalgoE6EyNS0_10empty_typeEbEEZZNS1_14partition_implILS5_6ELb0ES3_mN6thrust23THRUST_200600_302600_NS6detail15normal_iteratorINSA_10device_ptrIyEEEEPS6_SG_NS0_5tupleIJNSA_16discard_iteratorINSA_11use_defaultEEES6_EEENSH_IJSG_SG_EEES6_PlJNSB_9not_fun_tI7is_trueIyEEEEEE10hipError_tPvRmT3_T4_T5_T6_T7_T9_mT8_P12ihipStream_tbDpT10_ENKUlT_T0_E_clISt17integral_constantIbLb0EES1A_IbLb1EEEEDaS16_S17_EUlS16_E_NS1_11comp_targetILNS1_3genE9ELNS1_11target_archE1100ELNS1_3gpuE3ELNS1_3repE0EEENS1_30default_config_static_selectorELNS0_4arch9wavefront6targetE0EEEvT1_: ; @_ZN7rocprim17ROCPRIM_400000_NS6detail17trampoline_kernelINS0_14default_configENS1_25partition_config_selectorILNS1_17partition_subalgoE6EyNS0_10empty_typeEbEEZZNS1_14partition_implILS5_6ELb0ES3_mN6thrust23THRUST_200600_302600_NS6detail15normal_iteratorINSA_10device_ptrIyEEEEPS6_SG_NS0_5tupleIJNSA_16discard_iteratorINSA_11use_defaultEEES6_EEENSH_IJSG_SG_EEES6_PlJNSB_9not_fun_tI7is_trueIyEEEEEE10hipError_tPvRmT3_T4_T5_T6_T7_T9_mT8_P12ihipStream_tbDpT10_ENKUlT_T0_E_clISt17integral_constantIbLb0EES1A_IbLb1EEEEDaS16_S17_EUlS16_E_NS1_11comp_targetILNS1_3genE9ELNS1_11target_archE1100ELNS1_3gpuE3ELNS1_3repE0EEENS1_30default_config_static_selectorELNS0_4arch9wavefront6targetE0EEEvT1_
; %bb.0:
	.section	.rodata,"a",@progbits
	.p2align	6, 0x0
	.amdhsa_kernel _ZN7rocprim17ROCPRIM_400000_NS6detail17trampoline_kernelINS0_14default_configENS1_25partition_config_selectorILNS1_17partition_subalgoE6EyNS0_10empty_typeEbEEZZNS1_14partition_implILS5_6ELb0ES3_mN6thrust23THRUST_200600_302600_NS6detail15normal_iteratorINSA_10device_ptrIyEEEEPS6_SG_NS0_5tupleIJNSA_16discard_iteratorINSA_11use_defaultEEES6_EEENSH_IJSG_SG_EEES6_PlJNSB_9not_fun_tI7is_trueIyEEEEEE10hipError_tPvRmT3_T4_T5_T6_T7_T9_mT8_P12ihipStream_tbDpT10_ENKUlT_T0_E_clISt17integral_constantIbLb0EES1A_IbLb1EEEEDaS16_S17_EUlS16_E_NS1_11comp_targetILNS1_3genE9ELNS1_11target_archE1100ELNS1_3gpuE3ELNS1_3repE0EEENS1_30default_config_static_selectorELNS0_4arch9wavefront6targetE0EEEvT1_
		.amdhsa_group_segment_fixed_size 0
		.amdhsa_private_segment_fixed_size 0
		.amdhsa_kernarg_size 136
		.amdhsa_user_sgpr_count 2
		.amdhsa_user_sgpr_dispatch_ptr 0
		.amdhsa_user_sgpr_queue_ptr 0
		.amdhsa_user_sgpr_kernarg_segment_ptr 1
		.amdhsa_user_sgpr_dispatch_id 0
		.amdhsa_user_sgpr_private_segment_size 0
		.amdhsa_wavefront_size32 1
		.amdhsa_uses_dynamic_stack 0
		.amdhsa_enable_private_segment 0
		.amdhsa_system_sgpr_workgroup_id_x 1
		.amdhsa_system_sgpr_workgroup_id_y 0
		.amdhsa_system_sgpr_workgroup_id_z 0
		.amdhsa_system_sgpr_workgroup_info 0
		.amdhsa_system_vgpr_workitem_id 0
		.amdhsa_next_free_vgpr 1
		.amdhsa_next_free_sgpr 1
		.amdhsa_reserve_vcc 0
		.amdhsa_float_round_mode_32 0
		.amdhsa_float_round_mode_16_64 0
		.amdhsa_float_denorm_mode_32 3
		.amdhsa_float_denorm_mode_16_64 3
		.amdhsa_fp16_overflow 0
		.amdhsa_workgroup_processor_mode 1
		.amdhsa_memory_ordered 1
		.amdhsa_forward_progress 1
		.amdhsa_inst_pref_size 0
		.amdhsa_round_robin_scheduling 0
		.amdhsa_exception_fp_ieee_invalid_op 0
		.amdhsa_exception_fp_denorm_src 0
		.amdhsa_exception_fp_ieee_div_zero 0
		.amdhsa_exception_fp_ieee_overflow 0
		.amdhsa_exception_fp_ieee_underflow 0
		.amdhsa_exception_fp_ieee_inexact 0
		.amdhsa_exception_int_div_zero 0
	.end_amdhsa_kernel
	.section	.text._ZN7rocprim17ROCPRIM_400000_NS6detail17trampoline_kernelINS0_14default_configENS1_25partition_config_selectorILNS1_17partition_subalgoE6EyNS0_10empty_typeEbEEZZNS1_14partition_implILS5_6ELb0ES3_mN6thrust23THRUST_200600_302600_NS6detail15normal_iteratorINSA_10device_ptrIyEEEEPS6_SG_NS0_5tupleIJNSA_16discard_iteratorINSA_11use_defaultEEES6_EEENSH_IJSG_SG_EEES6_PlJNSB_9not_fun_tI7is_trueIyEEEEEE10hipError_tPvRmT3_T4_T5_T6_T7_T9_mT8_P12ihipStream_tbDpT10_ENKUlT_T0_E_clISt17integral_constantIbLb0EES1A_IbLb1EEEEDaS16_S17_EUlS16_E_NS1_11comp_targetILNS1_3genE9ELNS1_11target_archE1100ELNS1_3gpuE3ELNS1_3repE0EEENS1_30default_config_static_selectorELNS0_4arch9wavefront6targetE0EEEvT1_,"axG",@progbits,_ZN7rocprim17ROCPRIM_400000_NS6detail17trampoline_kernelINS0_14default_configENS1_25partition_config_selectorILNS1_17partition_subalgoE6EyNS0_10empty_typeEbEEZZNS1_14partition_implILS5_6ELb0ES3_mN6thrust23THRUST_200600_302600_NS6detail15normal_iteratorINSA_10device_ptrIyEEEEPS6_SG_NS0_5tupleIJNSA_16discard_iteratorINSA_11use_defaultEEES6_EEENSH_IJSG_SG_EEES6_PlJNSB_9not_fun_tI7is_trueIyEEEEEE10hipError_tPvRmT3_T4_T5_T6_T7_T9_mT8_P12ihipStream_tbDpT10_ENKUlT_T0_E_clISt17integral_constantIbLb0EES1A_IbLb1EEEEDaS16_S17_EUlS16_E_NS1_11comp_targetILNS1_3genE9ELNS1_11target_archE1100ELNS1_3gpuE3ELNS1_3repE0EEENS1_30default_config_static_selectorELNS0_4arch9wavefront6targetE0EEEvT1_,comdat
.Lfunc_end2171:
	.size	_ZN7rocprim17ROCPRIM_400000_NS6detail17trampoline_kernelINS0_14default_configENS1_25partition_config_selectorILNS1_17partition_subalgoE6EyNS0_10empty_typeEbEEZZNS1_14partition_implILS5_6ELb0ES3_mN6thrust23THRUST_200600_302600_NS6detail15normal_iteratorINSA_10device_ptrIyEEEEPS6_SG_NS0_5tupleIJNSA_16discard_iteratorINSA_11use_defaultEEES6_EEENSH_IJSG_SG_EEES6_PlJNSB_9not_fun_tI7is_trueIyEEEEEE10hipError_tPvRmT3_T4_T5_T6_T7_T9_mT8_P12ihipStream_tbDpT10_ENKUlT_T0_E_clISt17integral_constantIbLb0EES1A_IbLb1EEEEDaS16_S17_EUlS16_E_NS1_11comp_targetILNS1_3genE9ELNS1_11target_archE1100ELNS1_3gpuE3ELNS1_3repE0EEENS1_30default_config_static_selectorELNS0_4arch9wavefront6targetE0EEEvT1_, .Lfunc_end2171-_ZN7rocprim17ROCPRIM_400000_NS6detail17trampoline_kernelINS0_14default_configENS1_25partition_config_selectorILNS1_17partition_subalgoE6EyNS0_10empty_typeEbEEZZNS1_14partition_implILS5_6ELb0ES3_mN6thrust23THRUST_200600_302600_NS6detail15normal_iteratorINSA_10device_ptrIyEEEEPS6_SG_NS0_5tupleIJNSA_16discard_iteratorINSA_11use_defaultEEES6_EEENSH_IJSG_SG_EEES6_PlJNSB_9not_fun_tI7is_trueIyEEEEEE10hipError_tPvRmT3_T4_T5_T6_T7_T9_mT8_P12ihipStream_tbDpT10_ENKUlT_T0_E_clISt17integral_constantIbLb0EES1A_IbLb1EEEEDaS16_S17_EUlS16_E_NS1_11comp_targetILNS1_3genE9ELNS1_11target_archE1100ELNS1_3gpuE3ELNS1_3repE0EEENS1_30default_config_static_selectorELNS0_4arch9wavefront6targetE0EEEvT1_
                                        ; -- End function
	.set _ZN7rocprim17ROCPRIM_400000_NS6detail17trampoline_kernelINS0_14default_configENS1_25partition_config_selectorILNS1_17partition_subalgoE6EyNS0_10empty_typeEbEEZZNS1_14partition_implILS5_6ELb0ES3_mN6thrust23THRUST_200600_302600_NS6detail15normal_iteratorINSA_10device_ptrIyEEEEPS6_SG_NS0_5tupleIJNSA_16discard_iteratorINSA_11use_defaultEEES6_EEENSH_IJSG_SG_EEES6_PlJNSB_9not_fun_tI7is_trueIyEEEEEE10hipError_tPvRmT3_T4_T5_T6_T7_T9_mT8_P12ihipStream_tbDpT10_ENKUlT_T0_E_clISt17integral_constantIbLb0EES1A_IbLb1EEEEDaS16_S17_EUlS16_E_NS1_11comp_targetILNS1_3genE9ELNS1_11target_archE1100ELNS1_3gpuE3ELNS1_3repE0EEENS1_30default_config_static_selectorELNS0_4arch9wavefront6targetE0EEEvT1_.num_vgpr, 0
	.set _ZN7rocprim17ROCPRIM_400000_NS6detail17trampoline_kernelINS0_14default_configENS1_25partition_config_selectorILNS1_17partition_subalgoE6EyNS0_10empty_typeEbEEZZNS1_14partition_implILS5_6ELb0ES3_mN6thrust23THRUST_200600_302600_NS6detail15normal_iteratorINSA_10device_ptrIyEEEEPS6_SG_NS0_5tupleIJNSA_16discard_iteratorINSA_11use_defaultEEES6_EEENSH_IJSG_SG_EEES6_PlJNSB_9not_fun_tI7is_trueIyEEEEEE10hipError_tPvRmT3_T4_T5_T6_T7_T9_mT8_P12ihipStream_tbDpT10_ENKUlT_T0_E_clISt17integral_constantIbLb0EES1A_IbLb1EEEEDaS16_S17_EUlS16_E_NS1_11comp_targetILNS1_3genE9ELNS1_11target_archE1100ELNS1_3gpuE3ELNS1_3repE0EEENS1_30default_config_static_selectorELNS0_4arch9wavefront6targetE0EEEvT1_.num_agpr, 0
	.set _ZN7rocprim17ROCPRIM_400000_NS6detail17trampoline_kernelINS0_14default_configENS1_25partition_config_selectorILNS1_17partition_subalgoE6EyNS0_10empty_typeEbEEZZNS1_14partition_implILS5_6ELb0ES3_mN6thrust23THRUST_200600_302600_NS6detail15normal_iteratorINSA_10device_ptrIyEEEEPS6_SG_NS0_5tupleIJNSA_16discard_iteratorINSA_11use_defaultEEES6_EEENSH_IJSG_SG_EEES6_PlJNSB_9not_fun_tI7is_trueIyEEEEEE10hipError_tPvRmT3_T4_T5_T6_T7_T9_mT8_P12ihipStream_tbDpT10_ENKUlT_T0_E_clISt17integral_constantIbLb0EES1A_IbLb1EEEEDaS16_S17_EUlS16_E_NS1_11comp_targetILNS1_3genE9ELNS1_11target_archE1100ELNS1_3gpuE3ELNS1_3repE0EEENS1_30default_config_static_selectorELNS0_4arch9wavefront6targetE0EEEvT1_.numbered_sgpr, 0
	.set _ZN7rocprim17ROCPRIM_400000_NS6detail17trampoline_kernelINS0_14default_configENS1_25partition_config_selectorILNS1_17partition_subalgoE6EyNS0_10empty_typeEbEEZZNS1_14partition_implILS5_6ELb0ES3_mN6thrust23THRUST_200600_302600_NS6detail15normal_iteratorINSA_10device_ptrIyEEEEPS6_SG_NS0_5tupleIJNSA_16discard_iteratorINSA_11use_defaultEEES6_EEENSH_IJSG_SG_EEES6_PlJNSB_9not_fun_tI7is_trueIyEEEEEE10hipError_tPvRmT3_T4_T5_T6_T7_T9_mT8_P12ihipStream_tbDpT10_ENKUlT_T0_E_clISt17integral_constantIbLb0EES1A_IbLb1EEEEDaS16_S17_EUlS16_E_NS1_11comp_targetILNS1_3genE9ELNS1_11target_archE1100ELNS1_3gpuE3ELNS1_3repE0EEENS1_30default_config_static_selectorELNS0_4arch9wavefront6targetE0EEEvT1_.num_named_barrier, 0
	.set _ZN7rocprim17ROCPRIM_400000_NS6detail17trampoline_kernelINS0_14default_configENS1_25partition_config_selectorILNS1_17partition_subalgoE6EyNS0_10empty_typeEbEEZZNS1_14partition_implILS5_6ELb0ES3_mN6thrust23THRUST_200600_302600_NS6detail15normal_iteratorINSA_10device_ptrIyEEEEPS6_SG_NS0_5tupleIJNSA_16discard_iteratorINSA_11use_defaultEEES6_EEENSH_IJSG_SG_EEES6_PlJNSB_9not_fun_tI7is_trueIyEEEEEE10hipError_tPvRmT3_T4_T5_T6_T7_T9_mT8_P12ihipStream_tbDpT10_ENKUlT_T0_E_clISt17integral_constantIbLb0EES1A_IbLb1EEEEDaS16_S17_EUlS16_E_NS1_11comp_targetILNS1_3genE9ELNS1_11target_archE1100ELNS1_3gpuE3ELNS1_3repE0EEENS1_30default_config_static_selectorELNS0_4arch9wavefront6targetE0EEEvT1_.private_seg_size, 0
	.set _ZN7rocprim17ROCPRIM_400000_NS6detail17trampoline_kernelINS0_14default_configENS1_25partition_config_selectorILNS1_17partition_subalgoE6EyNS0_10empty_typeEbEEZZNS1_14partition_implILS5_6ELb0ES3_mN6thrust23THRUST_200600_302600_NS6detail15normal_iteratorINSA_10device_ptrIyEEEEPS6_SG_NS0_5tupleIJNSA_16discard_iteratorINSA_11use_defaultEEES6_EEENSH_IJSG_SG_EEES6_PlJNSB_9not_fun_tI7is_trueIyEEEEEE10hipError_tPvRmT3_T4_T5_T6_T7_T9_mT8_P12ihipStream_tbDpT10_ENKUlT_T0_E_clISt17integral_constantIbLb0EES1A_IbLb1EEEEDaS16_S17_EUlS16_E_NS1_11comp_targetILNS1_3genE9ELNS1_11target_archE1100ELNS1_3gpuE3ELNS1_3repE0EEENS1_30default_config_static_selectorELNS0_4arch9wavefront6targetE0EEEvT1_.uses_vcc, 0
	.set _ZN7rocprim17ROCPRIM_400000_NS6detail17trampoline_kernelINS0_14default_configENS1_25partition_config_selectorILNS1_17partition_subalgoE6EyNS0_10empty_typeEbEEZZNS1_14partition_implILS5_6ELb0ES3_mN6thrust23THRUST_200600_302600_NS6detail15normal_iteratorINSA_10device_ptrIyEEEEPS6_SG_NS0_5tupleIJNSA_16discard_iteratorINSA_11use_defaultEEES6_EEENSH_IJSG_SG_EEES6_PlJNSB_9not_fun_tI7is_trueIyEEEEEE10hipError_tPvRmT3_T4_T5_T6_T7_T9_mT8_P12ihipStream_tbDpT10_ENKUlT_T0_E_clISt17integral_constantIbLb0EES1A_IbLb1EEEEDaS16_S17_EUlS16_E_NS1_11comp_targetILNS1_3genE9ELNS1_11target_archE1100ELNS1_3gpuE3ELNS1_3repE0EEENS1_30default_config_static_selectorELNS0_4arch9wavefront6targetE0EEEvT1_.uses_flat_scratch, 0
	.set _ZN7rocprim17ROCPRIM_400000_NS6detail17trampoline_kernelINS0_14default_configENS1_25partition_config_selectorILNS1_17partition_subalgoE6EyNS0_10empty_typeEbEEZZNS1_14partition_implILS5_6ELb0ES3_mN6thrust23THRUST_200600_302600_NS6detail15normal_iteratorINSA_10device_ptrIyEEEEPS6_SG_NS0_5tupleIJNSA_16discard_iteratorINSA_11use_defaultEEES6_EEENSH_IJSG_SG_EEES6_PlJNSB_9not_fun_tI7is_trueIyEEEEEE10hipError_tPvRmT3_T4_T5_T6_T7_T9_mT8_P12ihipStream_tbDpT10_ENKUlT_T0_E_clISt17integral_constantIbLb0EES1A_IbLb1EEEEDaS16_S17_EUlS16_E_NS1_11comp_targetILNS1_3genE9ELNS1_11target_archE1100ELNS1_3gpuE3ELNS1_3repE0EEENS1_30default_config_static_selectorELNS0_4arch9wavefront6targetE0EEEvT1_.has_dyn_sized_stack, 0
	.set _ZN7rocprim17ROCPRIM_400000_NS6detail17trampoline_kernelINS0_14default_configENS1_25partition_config_selectorILNS1_17partition_subalgoE6EyNS0_10empty_typeEbEEZZNS1_14partition_implILS5_6ELb0ES3_mN6thrust23THRUST_200600_302600_NS6detail15normal_iteratorINSA_10device_ptrIyEEEEPS6_SG_NS0_5tupleIJNSA_16discard_iteratorINSA_11use_defaultEEES6_EEENSH_IJSG_SG_EEES6_PlJNSB_9not_fun_tI7is_trueIyEEEEEE10hipError_tPvRmT3_T4_T5_T6_T7_T9_mT8_P12ihipStream_tbDpT10_ENKUlT_T0_E_clISt17integral_constantIbLb0EES1A_IbLb1EEEEDaS16_S17_EUlS16_E_NS1_11comp_targetILNS1_3genE9ELNS1_11target_archE1100ELNS1_3gpuE3ELNS1_3repE0EEENS1_30default_config_static_selectorELNS0_4arch9wavefront6targetE0EEEvT1_.has_recursion, 0
	.set _ZN7rocprim17ROCPRIM_400000_NS6detail17trampoline_kernelINS0_14default_configENS1_25partition_config_selectorILNS1_17partition_subalgoE6EyNS0_10empty_typeEbEEZZNS1_14partition_implILS5_6ELb0ES3_mN6thrust23THRUST_200600_302600_NS6detail15normal_iteratorINSA_10device_ptrIyEEEEPS6_SG_NS0_5tupleIJNSA_16discard_iteratorINSA_11use_defaultEEES6_EEENSH_IJSG_SG_EEES6_PlJNSB_9not_fun_tI7is_trueIyEEEEEE10hipError_tPvRmT3_T4_T5_T6_T7_T9_mT8_P12ihipStream_tbDpT10_ENKUlT_T0_E_clISt17integral_constantIbLb0EES1A_IbLb1EEEEDaS16_S17_EUlS16_E_NS1_11comp_targetILNS1_3genE9ELNS1_11target_archE1100ELNS1_3gpuE3ELNS1_3repE0EEENS1_30default_config_static_selectorELNS0_4arch9wavefront6targetE0EEEvT1_.has_indirect_call, 0
	.section	.AMDGPU.csdata,"",@progbits
; Kernel info:
; codeLenInByte = 0
; TotalNumSgprs: 0
; NumVgprs: 0
; ScratchSize: 0
; MemoryBound: 0
; FloatMode: 240
; IeeeMode: 1
; LDSByteSize: 0 bytes/workgroup (compile time only)
; SGPRBlocks: 0
; VGPRBlocks: 0
; NumSGPRsForWavesPerEU: 1
; NumVGPRsForWavesPerEU: 1
; Occupancy: 16
; WaveLimiterHint : 0
; COMPUTE_PGM_RSRC2:SCRATCH_EN: 0
; COMPUTE_PGM_RSRC2:USER_SGPR: 2
; COMPUTE_PGM_RSRC2:TRAP_HANDLER: 0
; COMPUTE_PGM_RSRC2:TGID_X_EN: 1
; COMPUTE_PGM_RSRC2:TGID_Y_EN: 0
; COMPUTE_PGM_RSRC2:TGID_Z_EN: 0
; COMPUTE_PGM_RSRC2:TIDIG_COMP_CNT: 0
	.section	.text._ZN7rocprim17ROCPRIM_400000_NS6detail17trampoline_kernelINS0_14default_configENS1_25partition_config_selectorILNS1_17partition_subalgoE6EyNS0_10empty_typeEbEEZZNS1_14partition_implILS5_6ELb0ES3_mN6thrust23THRUST_200600_302600_NS6detail15normal_iteratorINSA_10device_ptrIyEEEEPS6_SG_NS0_5tupleIJNSA_16discard_iteratorINSA_11use_defaultEEES6_EEENSH_IJSG_SG_EEES6_PlJNSB_9not_fun_tI7is_trueIyEEEEEE10hipError_tPvRmT3_T4_T5_T6_T7_T9_mT8_P12ihipStream_tbDpT10_ENKUlT_T0_E_clISt17integral_constantIbLb0EES1A_IbLb1EEEEDaS16_S17_EUlS16_E_NS1_11comp_targetILNS1_3genE8ELNS1_11target_archE1030ELNS1_3gpuE2ELNS1_3repE0EEENS1_30default_config_static_selectorELNS0_4arch9wavefront6targetE0EEEvT1_,"axG",@progbits,_ZN7rocprim17ROCPRIM_400000_NS6detail17trampoline_kernelINS0_14default_configENS1_25partition_config_selectorILNS1_17partition_subalgoE6EyNS0_10empty_typeEbEEZZNS1_14partition_implILS5_6ELb0ES3_mN6thrust23THRUST_200600_302600_NS6detail15normal_iteratorINSA_10device_ptrIyEEEEPS6_SG_NS0_5tupleIJNSA_16discard_iteratorINSA_11use_defaultEEES6_EEENSH_IJSG_SG_EEES6_PlJNSB_9not_fun_tI7is_trueIyEEEEEE10hipError_tPvRmT3_T4_T5_T6_T7_T9_mT8_P12ihipStream_tbDpT10_ENKUlT_T0_E_clISt17integral_constantIbLb0EES1A_IbLb1EEEEDaS16_S17_EUlS16_E_NS1_11comp_targetILNS1_3genE8ELNS1_11target_archE1030ELNS1_3gpuE2ELNS1_3repE0EEENS1_30default_config_static_selectorELNS0_4arch9wavefront6targetE0EEEvT1_,comdat
	.protected	_ZN7rocprim17ROCPRIM_400000_NS6detail17trampoline_kernelINS0_14default_configENS1_25partition_config_selectorILNS1_17partition_subalgoE6EyNS0_10empty_typeEbEEZZNS1_14partition_implILS5_6ELb0ES3_mN6thrust23THRUST_200600_302600_NS6detail15normal_iteratorINSA_10device_ptrIyEEEEPS6_SG_NS0_5tupleIJNSA_16discard_iteratorINSA_11use_defaultEEES6_EEENSH_IJSG_SG_EEES6_PlJNSB_9not_fun_tI7is_trueIyEEEEEE10hipError_tPvRmT3_T4_T5_T6_T7_T9_mT8_P12ihipStream_tbDpT10_ENKUlT_T0_E_clISt17integral_constantIbLb0EES1A_IbLb1EEEEDaS16_S17_EUlS16_E_NS1_11comp_targetILNS1_3genE8ELNS1_11target_archE1030ELNS1_3gpuE2ELNS1_3repE0EEENS1_30default_config_static_selectorELNS0_4arch9wavefront6targetE0EEEvT1_ ; -- Begin function _ZN7rocprim17ROCPRIM_400000_NS6detail17trampoline_kernelINS0_14default_configENS1_25partition_config_selectorILNS1_17partition_subalgoE6EyNS0_10empty_typeEbEEZZNS1_14partition_implILS5_6ELb0ES3_mN6thrust23THRUST_200600_302600_NS6detail15normal_iteratorINSA_10device_ptrIyEEEEPS6_SG_NS0_5tupleIJNSA_16discard_iteratorINSA_11use_defaultEEES6_EEENSH_IJSG_SG_EEES6_PlJNSB_9not_fun_tI7is_trueIyEEEEEE10hipError_tPvRmT3_T4_T5_T6_T7_T9_mT8_P12ihipStream_tbDpT10_ENKUlT_T0_E_clISt17integral_constantIbLb0EES1A_IbLb1EEEEDaS16_S17_EUlS16_E_NS1_11comp_targetILNS1_3genE8ELNS1_11target_archE1030ELNS1_3gpuE2ELNS1_3repE0EEENS1_30default_config_static_selectorELNS0_4arch9wavefront6targetE0EEEvT1_
	.globl	_ZN7rocprim17ROCPRIM_400000_NS6detail17trampoline_kernelINS0_14default_configENS1_25partition_config_selectorILNS1_17partition_subalgoE6EyNS0_10empty_typeEbEEZZNS1_14partition_implILS5_6ELb0ES3_mN6thrust23THRUST_200600_302600_NS6detail15normal_iteratorINSA_10device_ptrIyEEEEPS6_SG_NS0_5tupleIJNSA_16discard_iteratorINSA_11use_defaultEEES6_EEENSH_IJSG_SG_EEES6_PlJNSB_9not_fun_tI7is_trueIyEEEEEE10hipError_tPvRmT3_T4_T5_T6_T7_T9_mT8_P12ihipStream_tbDpT10_ENKUlT_T0_E_clISt17integral_constantIbLb0EES1A_IbLb1EEEEDaS16_S17_EUlS16_E_NS1_11comp_targetILNS1_3genE8ELNS1_11target_archE1030ELNS1_3gpuE2ELNS1_3repE0EEENS1_30default_config_static_selectorELNS0_4arch9wavefront6targetE0EEEvT1_
	.p2align	8
	.type	_ZN7rocprim17ROCPRIM_400000_NS6detail17trampoline_kernelINS0_14default_configENS1_25partition_config_selectorILNS1_17partition_subalgoE6EyNS0_10empty_typeEbEEZZNS1_14partition_implILS5_6ELb0ES3_mN6thrust23THRUST_200600_302600_NS6detail15normal_iteratorINSA_10device_ptrIyEEEEPS6_SG_NS0_5tupleIJNSA_16discard_iteratorINSA_11use_defaultEEES6_EEENSH_IJSG_SG_EEES6_PlJNSB_9not_fun_tI7is_trueIyEEEEEE10hipError_tPvRmT3_T4_T5_T6_T7_T9_mT8_P12ihipStream_tbDpT10_ENKUlT_T0_E_clISt17integral_constantIbLb0EES1A_IbLb1EEEEDaS16_S17_EUlS16_E_NS1_11comp_targetILNS1_3genE8ELNS1_11target_archE1030ELNS1_3gpuE2ELNS1_3repE0EEENS1_30default_config_static_selectorELNS0_4arch9wavefront6targetE0EEEvT1_,@function
_ZN7rocprim17ROCPRIM_400000_NS6detail17trampoline_kernelINS0_14default_configENS1_25partition_config_selectorILNS1_17partition_subalgoE6EyNS0_10empty_typeEbEEZZNS1_14partition_implILS5_6ELb0ES3_mN6thrust23THRUST_200600_302600_NS6detail15normal_iteratorINSA_10device_ptrIyEEEEPS6_SG_NS0_5tupleIJNSA_16discard_iteratorINSA_11use_defaultEEES6_EEENSH_IJSG_SG_EEES6_PlJNSB_9not_fun_tI7is_trueIyEEEEEE10hipError_tPvRmT3_T4_T5_T6_T7_T9_mT8_P12ihipStream_tbDpT10_ENKUlT_T0_E_clISt17integral_constantIbLb0EES1A_IbLb1EEEEDaS16_S17_EUlS16_E_NS1_11comp_targetILNS1_3genE8ELNS1_11target_archE1030ELNS1_3gpuE2ELNS1_3repE0EEENS1_30default_config_static_selectorELNS0_4arch9wavefront6targetE0EEEvT1_: ; @_ZN7rocprim17ROCPRIM_400000_NS6detail17trampoline_kernelINS0_14default_configENS1_25partition_config_selectorILNS1_17partition_subalgoE6EyNS0_10empty_typeEbEEZZNS1_14partition_implILS5_6ELb0ES3_mN6thrust23THRUST_200600_302600_NS6detail15normal_iteratorINSA_10device_ptrIyEEEEPS6_SG_NS0_5tupleIJNSA_16discard_iteratorINSA_11use_defaultEEES6_EEENSH_IJSG_SG_EEES6_PlJNSB_9not_fun_tI7is_trueIyEEEEEE10hipError_tPvRmT3_T4_T5_T6_T7_T9_mT8_P12ihipStream_tbDpT10_ENKUlT_T0_E_clISt17integral_constantIbLb0EES1A_IbLb1EEEEDaS16_S17_EUlS16_E_NS1_11comp_targetILNS1_3genE8ELNS1_11target_archE1030ELNS1_3gpuE2ELNS1_3repE0EEENS1_30default_config_static_selectorELNS0_4arch9wavefront6targetE0EEEvT1_
; %bb.0:
	.section	.rodata,"a",@progbits
	.p2align	6, 0x0
	.amdhsa_kernel _ZN7rocprim17ROCPRIM_400000_NS6detail17trampoline_kernelINS0_14default_configENS1_25partition_config_selectorILNS1_17partition_subalgoE6EyNS0_10empty_typeEbEEZZNS1_14partition_implILS5_6ELb0ES3_mN6thrust23THRUST_200600_302600_NS6detail15normal_iteratorINSA_10device_ptrIyEEEEPS6_SG_NS0_5tupleIJNSA_16discard_iteratorINSA_11use_defaultEEES6_EEENSH_IJSG_SG_EEES6_PlJNSB_9not_fun_tI7is_trueIyEEEEEE10hipError_tPvRmT3_T4_T5_T6_T7_T9_mT8_P12ihipStream_tbDpT10_ENKUlT_T0_E_clISt17integral_constantIbLb0EES1A_IbLb1EEEEDaS16_S17_EUlS16_E_NS1_11comp_targetILNS1_3genE8ELNS1_11target_archE1030ELNS1_3gpuE2ELNS1_3repE0EEENS1_30default_config_static_selectorELNS0_4arch9wavefront6targetE0EEEvT1_
		.amdhsa_group_segment_fixed_size 0
		.amdhsa_private_segment_fixed_size 0
		.amdhsa_kernarg_size 136
		.amdhsa_user_sgpr_count 2
		.amdhsa_user_sgpr_dispatch_ptr 0
		.amdhsa_user_sgpr_queue_ptr 0
		.amdhsa_user_sgpr_kernarg_segment_ptr 1
		.amdhsa_user_sgpr_dispatch_id 0
		.amdhsa_user_sgpr_private_segment_size 0
		.amdhsa_wavefront_size32 1
		.amdhsa_uses_dynamic_stack 0
		.amdhsa_enable_private_segment 0
		.amdhsa_system_sgpr_workgroup_id_x 1
		.amdhsa_system_sgpr_workgroup_id_y 0
		.amdhsa_system_sgpr_workgroup_id_z 0
		.amdhsa_system_sgpr_workgroup_info 0
		.amdhsa_system_vgpr_workitem_id 0
		.amdhsa_next_free_vgpr 1
		.amdhsa_next_free_sgpr 1
		.amdhsa_reserve_vcc 0
		.amdhsa_float_round_mode_32 0
		.amdhsa_float_round_mode_16_64 0
		.amdhsa_float_denorm_mode_32 3
		.amdhsa_float_denorm_mode_16_64 3
		.amdhsa_fp16_overflow 0
		.amdhsa_workgroup_processor_mode 1
		.amdhsa_memory_ordered 1
		.amdhsa_forward_progress 1
		.amdhsa_inst_pref_size 0
		.amdhsa_round_robin_scheduling 0
		.amdhsa_exception_fp_ieee_invalid_op 0
		.amdhsa_exception_fp_denorm_src 0
		.amdhsa_exception_fp_ieee_div_zero 0
		.amdhsa_exception_fp_ieee_overflow 0
		.amdhsa_exception_fp_ieee_underflow 0
		.amdhsa_exception_fp_ieee_inexact 0
		.amdhsa_exception_int_div_zero 0
	.end_amdhsa_kernel
	.section	.text._ZN7rocprim17ROCPRIM_400000_NS6detail17trampoline_kernelINS0_14default_configENS1_25partition_config_selectorILNS1_17partition_subalgoE6EyNS0_10empty_typeEbEEZZNS1_14partition_implILS5_6ELb0ES3_mN6thrust23THRUST_200600_302600_NS6detail15normal_iteratorINSA_10device_ptrIyEEEEPS6_SG_NS0_5tupleIJNSA_16discard_iteratorINSA_11use_defaultEEES6_EEENSH_IJSG_SG_EEES6_PlJNSB_9not_fun_tI7is_trueIyEEEEEE10hipError_tPvRmT3_T4_T5_T6_T7_T9_mT8_P12ihipStream_tbDpT10_ENKUlT_T0_E_clISt17integral_constantIbLb0EES1A_IbLb1EEEEDaS16_S17_EUlS16_E_NS1_11comp_targetILNS1_3genE8ELNS1_11target_archE1030ELNS1_3gpuE2ELNS1_3repE0EEENS1_30default_config_static_selectorELNS0_4arch9wavefront6targetE0EEEvT1_,"axG",@progbits,_ZN7rocprim17ROCPRIM_400000_NS6detail17trampoline_kernelINS0_14default_configENS1_25partition_config_selectorILNS1_17partition_subalgoE6EyNS0_10empty_typeEbEEZZNS1_14partition_implILS5_6ELb0ES3_mN6thrust23THRUST_200600_302600_NS6detail15normal_iteratorINSA_10device_ptrIyEEEEPS6_SG_NS0_5tupleIJNSA_16discard_iteratorINSA_11use_defaultEEES6_EEENSH_IJSG_SG_EEES6_PlJNSB_9not_fun_tI7is_trueIyEEEEEE10hipError_tPvRmT3_T4_T5_T6_T7_T9_mT8_P12ihipStream_tbDpT10_ENKUlT_T0_E_clISt17integral_constantIbLb0EES1A_IbLb1EEEEDaS16_S17_EUlS16_E_NS1_11comp_targetILNS1_3genE8ELNS1_11target_archE1030ELNS1_3gpuE2ELNS1_3repE0EEENS1_30default_config_static_selectorELNS0_4arch9wavefront6targetE0EEEvT1_,comdat
.Lfunc_end2172:
	.size	_ZN7rocprim17ROCPRIM_400000_NS6detail17trampoline_kernelINS0_14default_configENS1_25partition_config_selectorILNS1_17partition_subalgoE6EyNS0_10empty_typeEbEEZZNS1_14partition_implILS5_6ELb0ES3_mN6thrust23THRUST_200600_302600_NS6detail15normal_iteratorINSA_10device_ptrIyEEEEPS6_SG_NS0_5tupleIJNSA_16discard_iteratorINSA_11use_defaultEEES6_EEENSH_IJSG_SG_EEES6_PlJNSB_9not_fun_tI7is_trueIyEEEEEE10hipError_tPvRmT3_T4_T5_T6_T7_T9_mT8_P12ihipStream_tbDpT10_ENKUlT_T0_E_clISt17integral_constantIbLb0EES1A_IbLb1EEEEDaS16_S17_EUlS16_E_NS1_11comp_targetILNS1_3genE8ELNS1_11target_archE1030ELNS1_3gpuE2ELNS1_3repE0EEENS1_30default_config_static_selectorELNS0_4arch9wavefront6targetE0EEEvT1_, .Lfunc_end2172-_ZN7rocprim17ROCPRIM_400000_NS6detail17trampoline_kernelINS0_14default_configENS1_25partition_config_selectorILNS1_17partition_subalgoE6EyNS0_10empty_typeEbEEZZNS1_14partition_implILS5_6ELb0ES3_mN6thrust23THRUST_200600_302600_NS6detail15normal_iteratorINSA_10device_ptrIyEEEEPS6_SG_NS0_5tupleIJNSA_16discard_iteratorINSA_11use_defaultEEES6_EEENSH_IJSG_SG_EEES6_PlJNSB_9not_fun_tI7is_trueIyEEEEEE10hipError_tPvRmT3_T4_T5_T6_T7_T9_mT8_P12ihipStream_tbDpT10_ENKUlT_T0_E_clISt17integral_constantIbLb0EES1A_IbLb1EEEEDaS16_S17_EUlS16_E_NS1_11comp_targetILNS1_3genE8ELNS1_11target_archE1030ELNS1_3gpuE2ELNS1_3repE0EEENS1_30default_config_static_selectorELNS0_4arch9wavefront6targetE0EEEvT1_
                                        ; -- End function
	.set _ZN7rocprim17ROCPRIM_400000_NS6detail17trampoline_kernelINS0_14default_configENS1_25partition_config_selectorILNS1_17partition_subalgoE6EyNS0_10empty_typeEbEEZZNS1_14partition_implILS5_6ELb0ES3_mN6thrust23THRUST_200600_302600_NS6detail15normal_iteratorINSA_10device_ptrIyEEEEPS6_SG_NS0_5tupleIJNSA_16discard_iteratorINSA_11use_defaultEEES6_EEENSH_IJSG_SG_EEES6_PlJNSB_9not_fun_tI7is_trueIyEEEEEE10hipError_tPvRmT3_T4_T5_T6_T7_T9_mT8_P12ihipStream_tbDpT10_ENKUlT_T0_E_clISt17integral_constantIbLb0EES1A_IbLb1EEEEDaS16_S17_EUlS16_E_NS1_11comp_targetILNS1_3genE8ELNS1_11target_archE1030ELNS1_3gpuE2ELNS1_3repE0EEENS1_30default_config_static_selectorELNS0_4arch9wavefront6targetE0EEEvT1_.num_vgpr, 0
	.set _ZN7rocprim17ROCPRIM_400000_NS6detail17trampoline_kernelINS0_14default_configENS1_25partition_config_selectorILNS1_17partition_subalgoE6EyNS0_10empty_typeEbEEZZNS1_14partition_implILS5_6ELb0ES3_mN6thrust23THRUST_200600_302600_NS6detail15normal_iteratorINSA_10device_ptrIyEEEEPS6_SG_NS0_5tupleIJNSA_16discard_iteratorINSA_11use_defaultEEES6_EEENSH_IJSG_SG_EEES6_PlJNSB_9not_fun_tI7is_trueIyEEEEEE10hipError_tPvRmT3_T4_T5_T6_T7_T9_mT8_P12ihipStream_tbDpT10_ENKUlT_T0_E_clISt17integral_constantIbLb0EES1A_IbLb1EEEEDaS16_S17_EUlS16_E_NS1_11comp_targetILNS1_3genE8ELNS1_11target_archE1030ELNS1_3gpuE2ELNS1_3repE0EEENS1_30default_config_static_selectorELNS0_4arch9wavefront6targetE0EEEvT1_.num_agpr, 0
	.set _ZN7rocprim17ROCPRIM_400000_NS6detail17trampoline_kernelINS0_14default_configENS1_25partition_config_selectorILNS1_17partition_subalgoE6EyNS0_10empty_typeEbEEZZNS1_14partition_implILS5_6ELb0ES3_mN6thrust23THRUST_200600_302600_NS6detail15normal_iteratorINSA_10device_ptrIyEEEEPS6_SG_NS0_5tupleIJNSA_16discard_iteratorINSA_11use_defaultEEES6_EEENSH_IJSG_SG_EEES6_PlJNSB_9not_fun_tI7is_trueIyEEEEEE10hipError_tPvRmT3_T4_T5_T6_T7_T9_mT8_P12ihipStream_tbDpT10_ENKUlT_T0_E_clISt17integral_constantIbLb0EES1A_IbLb1EEEEDaS16_S17_EUlS16_E_NS1_11comp_targetILNS1_3genE8ELNS1_11target_archE1030ELNS1_3gpuE2ELNS1_3repE0EEENS1_30default_config_static_selectorELNS0_4arch9wavefront6targetE0EEEvT1_.numbered_sgpr, 0
	.set _ZN7rocprim17ROCPRIM_400000_NS6detail17trampoline_kernelINS0_14default_configENS1_25partition_config_selectorILNS1_17partition_subalgoE6EyNS0_10empty_typeEbEEZZNS1_14partition_implILS5_6ELb0ES3_mN6thrust23THRUST_200600_302600_NS6detail15normal_iteratorINSA_10device_ptrIyEEEEPS6_SG_NS0_5tupleIJNSA_16discard_iteratorINSA_11use_defaultEEES6_EEENSH_IJSG_SG_EEES6_PlJNSB_9not_fun_tI7is_trueIyEEEEEE10hipError_tPvRmT3_T4_T5_T6_T7_T9_mT8_P12ihipStream_tbDpT10_ENKUlT_T0_E_clISt17integral_constantIbLb0EES1A_IbLb1EEEEDaS16_S17_EUlS16_E_NS1_11comp_targetILNS1_3genE8ELNS1_11target_archE1030ELNS1_3gpuE2ELNS1_3repE0EEENS1_30default_config_static_selectorELNS0_4arch9wavefront6targetE0EEEvT1_.num_named_barrier, 0
	.set _ZN7rocprim17ROCPRIM_400000_NS6detail17trampoline_kernelINS0_14default_configENS1_25partition_config_selectorILNS1_17partition_subalgoE6EyNS0_10empty_typeEbEEZZNS1_14partition_implILS5_6ELb0ES3_mN6thrust23THRUST_200600_302600_NS6detail15normal_iteratorINSA_10device_ptrIyEEEEPS6_SG_NS0_5tupleIJNSA_16discard_iteratorINSA_11use_defaultEEES6_EEENSH_IJSG_SG_EEES6_PlJNSB_9not_fun_tI7is_trueIyEEEEEE10hipError_tPvRmT3_T4_T5_T6_T7_T9_mT8_P12ihipStream_tbDpT10_ENKUlT_T0_E_clISt17integral_constantIbLb0EES1A_IbLb1EEEEDaS16_S17_EUlS16_E_NS1_11comp_targetILNS1_3genE8ELNS1_11target_archE1030ELNS1_3gpuE2ELNS1_3repE0EEENS1_30default_config_static_selectorELNS0_4arch9wavefront6targetE0EEEvT1_.private_seg_size, 0
	.set _ZN7rocprim17ROCPRIM_400000_NS6detail17trampoline_kernelINS0_14default_configENS1_25partition_config_selectorILNS1_17partition_subalgoE6EyNS0_10empty_typeEbEEZZNS1_14partition_implILS5_6ELb0ES3_mN6thrust23THRUST_200600_302600_NS6detail15normal_iteratorINSA_10device_ptrIyEEEEPS6_SG_NS0_5tupleIJNSA_16discard_iteratorINSA_11use_defaultEEES6_EEENSH_IJSG_SG_EEES6_PlJNSB_9not_fun_tI7is_trueIyEEEEEE10hipError_tPvRmT3_T4_T5_T6_T7_T9_mT8_P12ihipStream_tbDpT10_ENKUlT_T0_E_clISt17integral_constantIbLb0EES1A_IbLb1EEEEDaS16_S17_EUlS16_E_NS1_11comp_targetILNS1_3genE8ELNS1_11target_archE1030ELNS1_3gpuE2ELNS1_3repE0EEENS1_30default_config_static_selectorELNS0_4arch9wavefront6targetE0EEEvT1_.uses_vcc, 0
	.set _ZN7rocprim17ROCPRIM_400000_NS6detail17trampoline_kernelINS0_14default_configENS1_25partition_config_selectorILNS1_17partition_subalgoE6EyNS0_10empty_typeEbEEZZNS1_14partition_implILS5_6ELb0ES3_mN6thrust23THRUST_200600_302600_NS6detail15normal_iteratorINSA_10device_ptrIyEEEEPS6_SG_NS0_5tupleIJNSA_16discard_iteratorINSA_11use_defaultEEES6_EEENSH_IJSG_SG_EEES6_PlJNSB_9not_fun_tI7is_trueIyEEEEEE10hipError_tPvRmT3_T4_T5_T6_T7_T9_mT8_P12ihipStream_tbDpT10_ENKUlT_T0_E_clISt17integral_constantIbLb0EES1A_IbLb1EEEEDaS16_S17_EUlS16_E_NS1_11comp_targetILNS1_3genE8ELNS1_11target_archE1030ELNS1_3gpuE2ELNS1_3repE0EEENS1_30default_config_static_selectorELNS0_4arch9wavefront6targetE0EEEvT1_.uses_flat_scratch, 0
	.set _ZN7rocprim17ROCPRIM_400000_NS6detail17trampoline_kernelINS0_14default_configENS1_25partition_config_selectorILNS1_17partition_subalgoE6EyNS0_10empty_typeEbEEZZNS1_14partition_implILS5_6ELb0ES3_mN6thrust23THRUST_200600_302600_NS6detail15normal_iteratorINSA_10device_ptrIyEEEEPS6_SG_NS0_5tupleIJNSA_16discard_iteratorINSA_11use_defaultEEES6_EEENSH_IJSG_SG_EEES6_PlJNSB_9not_fun_tI7is_trueIyEEEEEE10hipError_tPvRmT3_T4_T5_T6_T7_T9_mT8_P12ihipStream_tbDpT10_ENKUlT_T0_E_clISt17integral_constantIbLb0EES1A_IbLb1EEEEDaS16_S17_EUlS16_E_NS1_11comp_targetILNS1_3genE8ELNS1_11target_archE1030ELNS1_3gpuE2ELNS1_3repE0EEENS1_30default_config_static_selectorELNS0_4arch9wavefront6targetE0EEEvT1_.has_dyn_sized_stack, 0
	.set _ZN7rocprim17ROCPRIM_400000_NS6detail17trampoline_kernelINS0_14default_configENS1_25partition_config_selectorILNS1_17partition_subalgoE6EyNS0_10empty_typeEbEEZZNS1_14partition_implILS5_6ELb0ES3_mN6thrust23THRUST_200600_302600_NS6detail15normal_iteratorINSA_10device_ptrIyEEEEPS6_SG_NS0_5tupleIJNSA_16discard_iteratorINSA_11use_defaultEEES6_EEENSH_IJSG_SG_EEES6_PlJNSB_9not_fun_tI7is_trueIyEEEEEE10hipError_tPvRmT3_T4_T5_T6_T7_T9_mT8_P12ihipStream_tbDpT10_ENKUlT_T0_E_clISt17integral_constantIbLb0EES1A_IbLb1EEEEDaS16_S17_EUlS16_E_NS1_11comp_targetILNS1_3genE8ELNS1_11target_archE1030ELNS1_3gpuE2ELNS1_3repE0EEENS1_30default_config_static_selectorELNS0_4arch9wavefront6targetE0EEEvT1_.has_recursion, 0
	.set _ZN7rocprim17ROCPRIM_400000_NS6detail17trampoline_kernelINS0_14default_configENS1_25partition_config_selectorILNS1_17partition_subalgoE6EyNS0_10empty_typeEbEEZZNS1_14partition_implILS5_6ELb0ES3_mN6thrust23THRUST_200600_302600_NS6detail15normal_iteratorINSA_10device_ptrIyEEEEPS6_SG_NS0_5tupleIJNSA_16discard_iteratorINSA_11use_defaultEEES6_EEENSH_IJSG_SG_EEES6_PlJNSB_9not_fun_tI7is_trueIyEEEEEE10hipError_tPvRmT3_T4_T5_T6_T7_T9_mT8_P12ihipStream_tbDpT10_ENKUlT_T0_E_clISt17integral_constantIbLb0EES1A_IbLb1EEEEDaS16_S17_EUlS16_E_NS1_11comp_targetILNS1_3genE8ELNS1_11target_archE1030ELNS1_3gpuE2ELNS1_3repE0EEENS1_30default_config_static_selectorELNS0_4arch9wavefront6targetE0EEEvT1_.has_indirect_call, 0
	.section	.AMDGPU.csdata,"",@progbits
; Kernel info:
; codeLenInByte = 0
; TotalNumSgprs: 0
; NumVgprs: 0
; ScratchSize: 0
; MemoryBound: 0
; FloatMode: 240
; IeeeMode: 1
; LDSByteSize: 0 bytes/workgroup (compile time only)
; SGPRBlocks: 0
; VGPRBlocks: 0
; NumSGPRsForWavesPerEU: 1
; NumVGPRsForWavesPerEU: 1
; Occupancy: 16
; WaveLimiterHint : 0
; COMPUTE_PGM_RSRC2:SCRATCH_EN: 0
; COMPUTE_PGM_RSRC2:USER_SGPR: 2
; COMPUTE_PGM_RSRC2:TRAP_HANDLER: 0
; COMPUTE_PGM_RSRC2:TGID_X_EN: 1
; COMPUTE_PGM_RSRC2:TGID_Y_EN: 0
; COMPUTE_PGM_RSRC2:TGID_Z_EN: 0
; COMPUTE_PGM_RSRC2:TIDIG_COMP_CNT: 0
	.section	.text._ZN7rocprim17ROCPRIM_400000_NS6detail17trampoline_kernelINS0_14default_configENS1_25partition_config_selectorILNS1_17partition_subalgoE6EjNS0_10empty_typeEbEEZZNS1_14partition_implILS5_6ELb0ES3_mN6thrust23THRUST_200600_302600_NS6detail15normal_iteratorINSA_10device_ptrIjEEEEPS6_SG_NS0_5tupleIJNSA_16discard_iteratorINSA_11use_defaultEEES6_EEENSH_IJSG_SG_EEES6_PlJNSB_9not_fun_tI7is_trueIjEEEEEE10hipError_tPvRmT3_T4_T5_T6_T7_T9_mT8_P12ihipStream_tbDpT10_ENKUlT_T0_E_clISt17integral_constantIbLb0EES1B_EEDaS16_S17_EUlS16_E_NS1_11comp_targetILNS1_3genE0ELNS1_11target_archE4294967295ELNS1_3gpuE0ELNS1_3repE0EEENS1_30default_config_static_selectorELNS0_4arch9wavefront6targetE0EEEvT1_,"axG",@progbits,_ZN7rocprim17ROCPRIM_400000_NS6detail17trampoline_kernelINS0_14default_configENS1_25partition_config_selectorILNS1_17partition_subalgoE6EjNS0_10empty_typeEbEEZZNS1_14partition_implILS5_6ELb0ES3_mN6thrust23THRUST_200600_302600_NS6detail15normal_iteratorINSA_10device_ptrIjEEEEPS6_SG_NS0_5tupleIJNSA_16discard_iteratorINSA_11use_defaultEEES6_EEENSH_IJSG_SG_EEES6_PlJNSB_9not_fun_tI7is_trueIjEEEEEE10hipError_tPvRmT3_T4_T5_T6_T7_T9_mT8_P12ihipStream_tbDpT10_ENKUlT_T0_E_clISt17integral_constantIbLb0EES1B_EEDaS16_S17_EUlS16_E_NS1_11comp_targetILNS1_3genE0ELNS1_11target_archE4294967295ELNS1_3gpuE0ELNS1_3repE0EEENS1_30default_config_static_selectorELNS0_4arch9wavefront6targetE0EEEvT1_,comdat
	.protected	_ZN7rocprim17ROCPRIM_400000_NS6detail17trampoline_kernelINS0_14default_configENS1_25partition_config_selectorILNS1_17partition_subalgoE6EjNS0_10empty_typeEbEEZZNS1_14partition_implILS5_6ELb0ES3_mN6thrust23THRUST_200600_302600_NS6detail15normal_iteratorINSA_10device_ptrIjEEEEPS6_SG_NS0_5tupleIJNSA_16discard_iteratorINSA_11use_defaultEEES6_EEENSH_IJSG_SG_EEES6_PlJNSB_9not_fun_tI7is_trueIjEEEEEE10hipError_tPvRmT3_T4_T5_T6_T7_T9_mT8_P12ihipStream_tbDpT10_ENKUlT_T0_E_clISt17integral_constantIbLb0EES1B_EEDaS16_S17_EUlS16_E_NS1_11comp_targetILNS1_3genE0ELNS1_11target_archE4294967295ELNS1_3gpuE0ELNS1_3repE0EEENS1_30default_config_static_selectorELNS0_4arch9wavefront6targetE0EEEvT1_ ; -- Begin function _ZN7rocprim17ROCPRIM_400000_NS6detail17trampoline_kernelINS0_14default_configENS1_25partition_config_selectorILNS1_17partition_subalgoE6EjNS0_10empty_typeEbEEZZNS1_14partition_implILS5_6ELb0ES3_mN6thrust23THRUST_200600_302600_NS6detail15normal_iteratorINSA_10device_ptrIjEEEEPS6_SG_NS0_5tupleIJNSA_16discard_iteratorINSA_11use_defaultEEES6_EEENSH_IJSG_SG_EEES6_PlJNSB_9not_fun_tI7is_trueIjEEEEEE10hipError_tPvRmT3_T4_T5_T6_T7_T9_mT8_P12ihipStream_tbDpT10_ENKUlT_T0_E_clISt17integral_constantIbLb0EES1B_EEDaS16_S17_EUlS16_E_NS1_11comp_targetILNS1_3genE0ELNS1_11target_archE4294967295ELNS1_3gpuE0ELNS1_3repE0EEENS1_30default_config_static_selectorELNS0_4arch9wavefront6targetE0EEEvT1_
	.globl	_ZN7rocprim17ROCPRIM_400000_NS6detail17trampoline_kernelINS0_14default_configENS1_25partition_config_selectorILNS1_17partition_subalgoE6EjNS0_10empty_typeEbEEZZNS1_14partition_implILS5_6ELb0ES3_mN6thrust23THRUST_200600_302600_NS6detail15normal_iteratorINSA_10device_ptrIjEEEEPS6_SG_NS0_5tupleIJNSA_16discard_iteratorINSA_11use_defaultEEES6_EEENSH_IJSG_SG_EEES6_PlJNSB_9not_fun_tI7is_trueIjEEEEEE10hipError_tPvRmT3_T4_T5_T6_T7_T9_mT8_P12ihipStream_tbDpT10_ENKUlT_T0_E_clISt17integral_constantIbLb0EES1B_EEDaS16_S17_EUlS16_E_NS1_11comp_targetILNS1_3genE0ELNS1_11target_archE4294967295ELNS1_3gpuE0ELNS1_3repE0EEENS1_30default_config_static_selectorELNS0_4arch9wavefront6targetE0EEEvT1_
	.p2align	8
	.type	_ZN7rocprim17ROCPRIM_400000_NS6detail17trampoline_kernelINS0_14default_configENS1_25partition_config_selectorILNS1_17partition_subalgoE6EjNS0_10empty_typeEbEEZZNS1_14partition_implILS5_6ELb0ES3_mN6thrust23THRUST_200600_302600_NS6detail15normal_iteratorINSA_10device_ptrIjEEEEPS6_SG_NS0_5tupleIJNSA_16discard_iteratorINSA_11use_defaultEEES6_EEENSH_IJSG_SG_EEES6_PlJNSB_9not_fun_tI7is_trueIjEEEEEE10hipError_tPvRmT3_T4_T5_T6_T7_T9_mT8_P12ihipStream_tbDpT10_ENKUlT_T0_E_clISt17integral_constantIbLb0EES1B_EEDaS16_S17_EUlS16_E_NS1_11comp_targetILNS1_3genE0ELNS1_11target_archE4294967295ELNS1_3gpuE0ELNS1_3repE0EEENS1_30default_config_static_selectorELNS0_4arch9wavefront6targetE0EEEvT1_,@function
_ZN7rocprim17ROCPRIM_400000_NS6detail17trampoline_kernelINS0_14default_configENS1_25partition_config_selectorILNS1_17partition_subalgoE6EjNS0_10empty_typeEbEEZZNS1_14partition_implILS5_6ELb0ES3_mN6thrust23THRUST_200600_302600_NS6detail15normal_iteratorINSA_10device_ptrIjEEEEPS6_SG_NS0_5tupleIJNSA_16discard_iteratorINSA_11use_defaultEEES6_EEENSH_IJSG_SG_EEES6_PlJNSB_9not_fun_tI7is_trueIjEEEEEE10hipError_tPvRmT3_T4_T5_T6_T7_T9_mT8_P12ihipStream_tbDpT10_ENKUlT_T0_E_clISt17integral_constantIbLb0EES1B_EEDaS16_S17_EUlS16_E_NS1_11comp_targetILNS1_3genE0ELNS1_11target_archE4294967295ELNS1_3gpuE0ELNS1_3repE0EEENS1_30default_config_static_selectorELNS0_4arch9wavefront6targetE0EEEvT1_: ; @_ZN7rocprim17ROCPRIM_400000_NS6detail17trampoline_kernelINS0_14default_configENS1_25partition_config_selectorILNS1_17partition_subalgoE6EjNS0_10empty_typeEbEEZZNS1_14partition_implILS5_6ELb0ES3_mN6thrust23THRUST_200600_302600_NS6detail15normal_iteratorINSA_10device_ptrIjEEEEPS6_SG_NS0_5tupleIJNSA_16discard_iteratorINSA_11use_defaultEEES6_EEENSH_IJSG_SG_EEES6_PlJNSB_9not_fun_tI7is_trueIjEEEEEE10hipError_tPvRmT3_T4_T5_T6_T7_T9_mT8_P12ihipStream_tbDpT10_ENKUlT_T0_E_clISt17integral_constantIbLb0EES1B_EEDaS16_S17_EUlS16_E_NS1_11comp_targetILNS1_3genE0ELNS1_11target_archE4294967295ELNS1_3gpuE0ELNS1_3repE0EEENS1_30default_config_static_selectorELNS0_4arch9wavefront6targetE0EEEvT1_
; %bb.0:
	.section	.rodata,"a",@progbits
	.p2align	6, 0x0
	.amdhsa_kernel _ZN7rocprim17ROCPRIM_400000_NS6detail17trampoline_kernelINS0_14default_configENS1_25partition_config_selectorILNS1_17partition_subalgoE6EjNS0_10empty_typeEbEEZZNS1_14partition_implILS5_6ELb0ES3_mN6thrust23THRUST_200600_302600_NS6detail15normal_iteratorINSA_10device_ptrIjEEEEPS6_SG_NS0_5tupleIJNSA_16discard_iteratorINSA_11use_defaultEEES6_EEENSH_IJSG_SG_EEES6_PlJNSB_9not_fun_tI7is_trueIjEEEEEE10hipError_tPvRmT3_T4_T5_T6_T7_T9_mT8_P12ihipStream_tbDpT10_ENKUlT_T0_E_clISt17integral_constantIbLb0EES1B_EEDaS16_S17_EUlS16_E_NS1_11comp_targetILNS1_3genE0ELNS1_11target_archE4294967295ELNS1_3gpuE0ELNS1_3repE0EEENS1_30default_config_static_selectorELNS0_4arch9wavefront6targetE0EEEvT1_
		.amdhsa_group_segment_fixed_size 0
		.amdhsa_private_segment_fixed_size 0
		.amdhsa_kernarg_size 120
		.amdhsa_user_sgpr_count 2
		.amdhsa_user_sgpr_dispatch_ptr 0
		.amdhsa_user_sgpr_queue_ptr 0
		.amdhsa_user_sgpr_kernarg_segment_ptr 1
		.amdhsa_user_sgpr_dispatch_id 0
		.amdhsa_user_sgpr_private_segment_size 0
		.amdhsa_wavefront_size32 1
		.amdhsa_uses_dynamic_stack 0
		.amdhsa_enable_private_segment 0
		.amdhsa_system_sgpr_workgroup_id_x 1
		.amdhsa_system_sgpr_workgroup_id_y 0
		.amdhsa_system_sgpr_workgroup_id_z 0
		.amdhsa_system_sgpr_workgroup_info 0
		.amdhsa_system_vgpr_workitem_id 0
		.amdhsa_next_free_vgpr 1
		.amdhsa_next_free_sgpr 1
		.amdhsa_reserve_vcc 0
		.amdhsa_float_round_mode_32 0
		.amdhsa_float_round_mode_16_64 0
		.amdhsa_float_denorm_mode_32 3
		.amdhsa_float_denorm_mode_16_64 3
		.amdhsa_fp16_overflow 0
		.amdhsa_workgroup_processor_mode 1
		.amdhsa_memory_ordered 1
		.amdhsa_forward_progress 1
		.amdhsa_inst_pref_size 0
		.amdhsa_round_robin_scheduling 0
		.amdhsa_exception_fp_ieee_invalid_op 0
		.amdhsa_exception_fp_denorm_src 0
		.amdhsa_exception_fp_ieee_div_zero 0
		.amdhsa_exception_fp_ieee_overflow 0
		.amdhsa_exception_fp_ieee_underflow 0
		.amdhsa_exception_fp_ieee_inexact 0
		.amdhsa_exception_int_div_zero 0
	.end_amdhsa_kernel
	.section	.text._ZN7rocprim17ROCPRIM_400000_NS6detail17trampoline_kernelINS0_14default_configENS1_25partition_config_selectorILNS1_17partition_subalgoE6EjNS0_10empty_typeEbEEZZNS1_14partition_implILS5_6ELb0ES3_mN6thrust23THRUST_200600_302600_NS6detail15normal_iteratorINSA_10device_ptrIjEEEEPS6_SG_NS0_5tupleIJNSA_16discard_iteratorINSA_11use_defaultEEES6_EEENSH_IJSG_SG_EEES6_PlJNSB_9not_fun_tI7is_trueIjEEEEEE10hipError_tPvRmT3_T4_T5_T6_T7_T9_mT8_P12ihipStream_tbDpT10_ENKUlT_T0_E_clISt17integral_constantIbLb0EES1B_EEDaS16_S17_EUlS16_E_NS1_11comp_targetILNS1_3genE0ELNS1_11target_archE4294967295ELNS1_3gpuE0ELNS1_3repE0EEENS1_30default_config_static_selectorELNS0_4arch9wavefront6targetE0EEEvT1_,"axG",@progbits,_ZN7rocprim17ROCPRIM_400000_NS6detail17trampoline_kernelINS0_14default_configENS1_25partition_config_selectorILNS1_17partition_subalgoE6EjNS0_10empty_typeEbEEZZNS1_14partition_implILS5_6ELb0ES3_mN6thrust23THRUST_200600_302600_NS6detail15normal_iteratorINSA_10device_ptrIjEEEEPS6_SG_NS0_5tupleIJNSA_16discard_iteratorINSA_11use_defaultEEES6_EEENSH_IJSG_SG_EEES6_PlJNSB_9not_fun_tI7is_trueIjEEEEEE10hipError_tPvRmT3_T4_T5_T6_T7_T9_mT8_P12ihipStream_tbDpT10_ENKUlT_T0_E_clISt17integral_constantIbLb0EES1B_EEDaS16_S17_EUlS16_E_NS1_11comp_targetILNS1_3genE0ELNS1_11target_archE4294967295ELNS1_3gpuE0ELNS1_3repE0EEENS1_30default_config_static_selectorELNS0_4arch9wavefront6targetE0EEEvT1_,comdat
.Lfunc_end2173:
	.size	_ZN7rocprim17ROCPRIM_400000_NS6detail17trampoline_kernelINS0_14default_configENS1_25partition_config_selectorILNS1_17partition_subalgoE6EjNS0_10empty_typeEbEEZZNS1_14partition_implILS5_6ELb0ES3_mN6thrust23THRUST_200600_302600_NS6detail15normal_iteratorINSA_10device_ptrIjEEEEPS6_SG_NS0_5tupleIJNSA_16discard_iteratorINSA_11use_defaultEEES6_EEENSH_IJSG_SG_EEES6_PlJNSB_9not_fun_tI7is_trueIjEEEEEE10hipError_tPvRmT3_T4_T5_T6_T7_T9_mT8_P12ihipStream_tbDpT10_ENKUlT_T0_E_clISt17integral_constantIbLb0EES1B_EEDaS16_S17_EUlS16_E_NS1_11comp_targetILNS1_3genE0ELNS1_11target_archE4294967295ELNS1_3gpuE0ELNS1_3repE0EEENS1_30default_config_static_selectorELNS0_4arch9wavefront6targetE0EEEvT1_, .Lfunc_end2173-_ZN7rocprim17ROCPRIM_400000_NS6detail17trampoline_kernelINS0_14default_configENS1_25partition_config_selectorILNS1_17partition_subalgoE6EjNS0_10empty_typeEbEEZZNS1_14partition_implILS5_6ELb0ES3_mN6thrust23THRUST_200600_302600_NS6detail15normal_iteratorINSA_10device_ptrIjEEEEPS6_SG_NS0_5tupleIJNSA_16discard_iteratorINSA_11use_defaultEEES6_EEENSH_IJSG_SG_EEES6_PlJNSB_9not_fun_tI7is_trueIjEEEEEE10hipError_tPvRmT3_T4_T5_T6_T7_T9_mT8_P12ihipStream_tbDpT10_ENKUlT_T0_E_clISt17integral_constantIbLb0EES1B_EEDaS16_S17_EUlS16_E_NS1_11comp_targetILNS1_3genE0ELNS1_11target_archE4294967295ELNS1_3gpuE0ELNS1_3repE0EEENS1_30default_config_static_selectorELNS0_4arch9wavefront6targetE0EEEvT1_
                                        ; -- End function
	.set _ZN7rocprim17ROCPRIM_400000_NS6detail17trampoline_kernelINS0_14default_configENS1_25partition_config_selectorILNS1_17partition_subalgoE6EjNS0_10empty_typeEbEEZZNS1_14partition_implILS5_6ELb0ES3_mN6thrust23THRUST_200600_302600_NS6detail15normal_iteratorINSA_10device_ptrIjEEEEPS6_SG_NS0_5tupleIJNSA_16discard_iteratorINSA_11use_defaultEEES6_EEENSH_IJSG_SG_EEES6_PlJNSB_9not_fun_tI7is_trueIjEEEEEE10hipError_tPvRmT3_T4_T5_T6_T7_T9_mT8_P12ihipStream_tbDpT10_ENKUlT_T0_E_clISt17integral_constantIbLb0EES1B_EEDaS16_S17_EUlS16_E_NS1_11comp_targetILNS1_3genE0ELNS1_11target_archE4294967295ELNS1_3gpuE0ELNS1_3repE0EEENS1_30default_config_static_selectorELNS0_4arch9wavefront6targetE0EEEvT1_.num_vgpr, 0
	.set _ZN7rocprim17ROCPRIM_400000_NS6detail17trampoline_kernelINS0_14default_configENS1_25partition_config_selectorILNS1_17partition_subalgoE6EjNS0_10empty_typeEbEEZZNS1_14partition_implILS5_6ELb0ES3_mN6thrust23THRUST_200600_302600_NS6detail15normal_iteratorINSA_10device_ptrIjEEEEPS6_SG_NS0_5tupleIJNSA_16discard_iteratorINSA_11use_defaultEEES6_EEENSH_IJSG_SG_EEES6_PlJNSB_9not_fun_tI7is_trueIjEEEEEE10hipError_tPvRmT3_T4_T5_T6_T7_T9_mT8_P12ihipStream_tbDpT10_ENKUlT_T0_E_clISt17integral_constantIbLb0EES1B_EEDaS16_S17_EUlS16_E_NS1_11comp_targetILNS1_3genE0ELNS1_11target_archE4294967295ELNS1_3gpuE0ELNS1_3repE0EEENS1_30default_config_static_selectorELNS0_4arch9wavefront6targetE0EEEvT1_.num_agpr, 0
	.set _ZN7rocprim17ROCPRIM_400000_NS6detail17trampoline_kernelINS0_14default_configENS1_25partition_config_selectorILNS1_17partition_subalgoE6EjNS0_10empty_typeEbEEZZNS1_14partition_implILS5_6ELb0ES3_mN6thrust23THRUST_200600_302600_NS6detail15normal_iteratorINSA_10device_ptrIjEEEEPS6_SG_NS0_5tupleIJNSA_16discard_iteratorINSA_11use_defaultEEES6_EEENSH_IJSG_SG_EEES6_PlJNSB_9not_fun_tI7is_trueIjEEEEEE10hipError_tPvRmT3_T4_T5_T6_T7_T9_mT8_P12ihipStream_tbDpT10_ENKUlT_T0_E_clISt17integral_constantIbLb0EES1B_EEDaS16_S17_EUlS16_E_NS1_11comp_targetILNS1_3genE0ELNS1_11target_archE4294967295ELNS1_3gpuE0ELNS1_3repE0EEENS1_30default_config_static_selectorELNS0_4arch9wavefront6targetE0EEEvT1_.numbered_sgpr, 0
	.set _ZN7rocprim17ROCPRIM_400000_NS6detail17trampoline_kernelINS0_14default_configENS1_25partition_config_selectorILNS1_17partition_subalgoE6EjNS0_10empty_typeEbEEZZNS1_14partition_implILS5_6ELb0ES3_mN6thrust23THRUST_200600_302600_NS6detail15normal_iteratorINSA_10device_ptrIjEEEEPS6_SG_NS0_5tupleIJNSA_16discard_iteratorINSA_11use_defaultEEES6_EEENSH_IJSG_SG_EEES6_PlJNSB_9not_fun_tI7is_trueIjEEEEEE10hipError_tPvRmT3_T4_T5_T6_T7_T9_mT8_P12ihipStream_tbDpT10_ENKUlT_T0_E_clISt17integral_constantIbLb0EES1B_EEDaS16_S17_EUlS16_E_NS1_11comp_targetILNS1_3genE0ELNS1_11target_archE4294967295ELNS1_3gpuE0ELNS1_3repE0EEENS1_30default_config_static_selectorELNS0_4arch9wavefront6targetE0EEEvT1_.num_named_barrier, 0
	.set _ZN7rocprim17ROCPRIM_400000_NS6detail17trampoline_kernelINS0_14default_configENS1_25partition_config_selectorILNS1_17partition_subalgoE6EjNS0_10empty_typeEbEEZZNS1_14partition_implILS5_6ELb0ES3_mN6thrust23THRUST_200600_302600_NS6detail15normal_iteratorINSA_10device_ptrIjEEEEPS6_SG_NS0_5tupleIJNSA_16discard_iteratorINSA_11use_defaultEEES6_EEENSH_IJSG_SG_EEES6_PlJNSB_9not_fun_tI7is_trueIjEEEEEE10hipError_tPvRmT3_T4_T5_T6_T7_T9_mT8_P12ihipStream_tbDpT10_ENKUlT_T0_E_clISt17integral_constantIbLb0EES1B_EEDaS16_S17_EUlS16_E_NS1_11comp_targetILNS1_3genE0ELNS1_11target_archE4294967295ELNS1_3gpuE0ELNS1_3repE0EEENS1_30default_config_static_selectorELNS0_4arch9wavefront6targetE0EEEvT1_.private_seg_size, 0
	.set _ZN7rocprim17ROCPRIM_400000_NS6detail17trampoline_kernelINS0_14default_configENS1_25partition_config_selectorILNS1_17partition_subalgoE6EjNS0_10empty_typeEbEEZZNS1_14partition_implILS5_6ELb0ES3_mN6thrust23THRUST_200600_302600_NS6detail15normal_iteratorINSA_10device_ptrIjEEEEPS6_SG_NS0_5tupleIJNSA_16discard_iteratorINSA_11use_defaultEEES6_EEENSH_IJSG_SG_EEES6_PlJNSB_9not_fun_tI7is_trueIjEEEEEE10hipError_tPvRmT3_T4_T5_T6_T7_T9_mT8_P12ihipStream_tbDpT10_ENKUlT_T0_E_clISt17integral_constantIbLb0EES1B_EEDaS16_S17_EUlS16_E_NS1_11comp_targetILNS1_3genE0ELNS1_11target_archE4294967295ELNS1_3gpuE0ELNS1_3repE0EEENS1_30default_config_static_selectorELNS0_4arch9wavefront6targetE0EEEvT1_.uses_vcc, 0
	.set _ZN7rocprim17ROCPRIM_400000_NS6detail17trampoline_kernelINS0_14default_configENS1_25partition_config_selectorILNS1_17partition_subalgoE6EjNS0_10empty_typeEbEEZZNS1_14partition_implILS5_6ELb0ES3_mN6thrust23THRUST_200600_302600_NS6detail15normal_iteratorINSA_10device_ptrIjEEEEPS6_SG_NS0_5tupleIJNSA_16discard_iteratorINSA_11use_defaultEEES6_EEENSH_IJSG_SG_EEES6_PlJNSB_9not_fun_tI7is_trueIjEEEEEE10hipError_tPvRmT3_T4_T5_T6_T7_T9_mT8_P12ihipStream_tbDpT10_ENKUlT_T0_E_clISt17integral_constantIbLb0EES1B_EEDaS16_S17_EUlS16_E_NS1_11comp_targetILNS1_3genE0ELNS1_11target_archE4294967295ELNS1_3gpuE0ELNS1_3repE0EEENS1_30default_config_static_selectorELNS0_4arch9wavefront6targetE0EEEvT1_.uses_flat_scratch, 0
	.set _ZN7rocprim17ROCPRIM_400000_NS6detail17trampoline_kernelINS0_14default_configENS1_25partition_config_selectorILNS1_17partition_subalgoE6EjNS0_10empty_typeEbEEZZNS1_14partition_implILS5_6ELb0ES3_mN6thrust23THRUST_200600_302600_NS6detail15normal_iteratorINSA_10device_ptrIjEEEEPS6_SG_NS0_5tupleIJNSA_16discard_iteratorINSA_11use_defaultEEES6_EEENSH_IJSG_SG_EEES6_PlJNSB_9not_fun_tI7is_trueIjEEEEEE10hipError_tPvRmT3_T4_T5_T6_T7_T9_mT8_P12ihipStream_tbDpT10_ENKUlT_T0_E_clISt17integral_constantIbLb0EES1B_EEDaS16_S17_EUlS16_E_NS1_11comp_targetILNS1_3genE0ELNS1_11target_archE4294967295ELNS1_3gpuE0ELNS1_3repE0EEENS1_30default_config_static_selectorELNS0_4arch9wavefront6targetE0EEEvT1_.has_dyn_sized_stack, 0
	.set _ZN7rocprim17ROCPRIM_400000_NS6detail17trampoline_kernelINS0_14default_configENS1_25partition_config_selectorILNS1_17partition_subalgoE6EjNS0_10empty_typeEbEEZZNS1_14partition_implILS5_6ELb0ES3_mN6thrust23THRUST_200600_302600_NS6detail15normal_iteratorINSA_10device_ptrIjEEEEPS6_SG_NS0_5tupleIJNSA_16discard_iteratorINSA_11use_defaultEEES6_EEENSH_IJSG_SG_EEES6_PlJNSB_9not_fun_tI7is_trueIjEEEEEE10hipError_tPvRmT3_T4_T5_T6_T7_T9_mT8_P12ihipStream_tbDpT10_ENKUlT_T0_E_clISt17integral_constantIbLb0EES1B_EEDaS16_S17_EUlS16_E_NS1_11comp_targetILNS1_3genE0ELNS1_11target_archE4294967295ELNS1_3gpuE0ELNS1_3repE0EEENS1_30default_config_static_selectorELNS0_4arch9wavefront6targetE0EEEvT1_.has_recursion, 0
	.set _ZN7rocprim17ROCPRIM_400000_NS6detail17trampoline_kernelINS0_14default_configENS1_25partition_config_selectorILNS1_17partition_subalgoE6EjNS0_10empty_typeEbEEZZNS1_14partition_implILS5_6ELb0ES3_mN6thrust23THRUST_200600_302600_NS6detail15normal_iteratorINSA_10device_ptrIjEEEEPS6_SG_NS0_5tupleIJNSA_16discard_iteratorINSA_11use_defaultEEES6_EEENSH_IJSG_SG_EEES6_PlJNSB_9not_fun_tI7is_trueIjEEEEEE10hipError_tPvRmT3_T4_T5_T6_T7_T9_mT8_P12ihipStream_tbDpT10_ENKUlT_T0_E_clISt17integral_constantIbLb0EES1B_EEDaS16_S17_EUlS16_E_NS1_11comp_targetILNS1_3genE0ELNS1_11target_archE4294967295ELNS1_3gpuE0ELNS1_3repE0EEENS1_30default_config_static_selectorELNS0_4arch9wavefront6targetE0EEEvT1_.has_indirect_call, 0
	.section	.AMDGPU.csdata,"",@progbits
; Kernel info:
; codeLenInByte = 0
; TotalNumSgprs: 0
; NumVgprs: 0
; ScratchSize: 0
; MemoryBound: 0
; FloatMode: 240
; IeeeMode: 1
; LDSByteSize: 0 bytes/workgroup (compile time only)
; SGPRBlocks: 0
; VGPRBlocks: 0
; NumSGPRsForWavesPerEU: 1
; NumVGPRsForWavesPerEU: 1
; Occupancy: 16
; WaveLimiterHint : 0
; COMPUTE_PGM_RSRC2:SCRATCH_EN: 0
; COMPUTE_PGM_RSRC2:USER_SGPR: 2
; COMPUTE_PGM_RSRC2:TRAP_HANDLER: 0
; COMPUTE_PGM_RSRC2:TGID_X_EN: 1
; COMPUTE_PGM_RSRC2:TGID_Y_EN: 0
; COMPUTE_PGM_RSRC2:TGID_Z_EN: 0
; COMPUTE_PGM_RSRC2:TIDIG_COMP_CNT: 0
	.section	.text._ZN7rocprim17ROCPRIM_400000_NS6detail17trampoline_kernelINS0_14default_configENS1_25partition_config_selectorILNS1_17partition_subalgoE6EjNS0_10empty_typeEbEEZZNS1_14partition_implILS5_6ELb0ES3_mN6thrust23THRUST_200600_302600_NS6detail15normal_iteratorINSA_10device_ptrIjEEEEPS6_SG_NS0_5tupleIJNSA_16discard_iteratorINSA_11use_defaultEEES6_EEENSH_IJSG_SG_EEES6_PlJNSB_9not_fun_tI7is_trueIjEEEEEE10hipError_tPvRmT3_T4_T5_T6_T7_T9_mT8_P12ihipStream_tbDpT10_ENKUlT_T0_E_clISt17integral_constantIbLb0EES1B_EEDaS16_S17_EUlS16_E_NS1_11comp_targetILNS1_3genE5ELNS1_11target_archE942ELNS1_3gpuE9ELNS1_3repE0EEENS1_30default_config_static_selectorELNS0_4arch9wavefront6targetE0EEEvT1_,"axG",@progbits,_ZN7rocprim17ROCPRIM_400000_NS6detail17trampoline_kernelINS0_14default_configENS1_25partition_config_selectorILNS1_17partition_subalgoE6EjNS0_10empty_typeEbEEZZNS1_14partition_implILS5_6ELb0ES3_mN6thrust23THRUST_200600_302600_NS6detail15normal_iteratorINSA_10device_ptrIjEEEEPS6_SG_NS0_5tupleIJNSA_16discard_iteratorINSA_11use_defaultEEES6_EEENSH_IJSG_SG_EEES6_PlJNSB_9not_fun_tI7is_trueIjEEEEEE10hipError_tPvRmT3_T4_T5_T6_T7_T9_mT8_P12ihipStream_tbDpT10_ENKUlT_T0_E_clISt17integral_constantIbLb0EES1B_EEDaS16_S17_EUlS16_E_NS1_11comp_targetILNS1_3genE5ELNS1_11target_archE942ELNS1_3gpuE9ELNS1_3repE0EEENS1_30default_config_static_selectorELNS0_4arch9wavefront6targetE0EEEvT1_,comdat
	.protected	_ZN7rocprim17ROCPRIM_400000_NS6detail17trampoline_kernelINS0_14default_configENS1_25partition_config_selectorILNS1_17partition_subalgoE6EjNS0_10empty_typeEbEEZZNS1_14partition_implILS5_6ELb0ES3_mN6thrust23THRUST_200600_302600_NS6detail15normal_iteratorINSA_10device_ptrIjEEEEPS6_SG_NS0_5tupleIJNSA_16discard_iteratorINSA_11use_defaultEEES6_EEENSH_IJSG_SG_EEES6_PlJNSB_9not_fun_tI7is_trueIjEEEEEE10hipError_tPvRmT3_T4_T5_T6_T7_T9_mT8_P12ihipStream_tbDpT10_ENKUlT_T0_E_clISt17integral_constantIbLb0EES1B_EEDaS16_S17_EUlS16_E_NS1_11comp_targetILNS1_3genE5ELNS1_11target_archE942ELNS1_3gpuE9ELNS1_3repE0EEENS1_30default_config_static_selectorELNS0_4arch9wavefront6targetE0EEEvT1_ ; -- Begin function _ZN7rocprim17ROCPRIM_400000_NS6detail17trampoline_kernelINS0_14default_configENS1_25partition_config_selectorILNS1_17partition_subalgoE6EjNS0_10empty_typeEbEEZZNS1_14partition_implILS5_6ELb0ES3_mN6thrust23THRUST_200600_302600_NS6detail15normal_iteratorINSA_10device_ptrIjEEEEPS6_SG_NS0_5tupleIJNSA_16discard_iteratorINSA_11use_defaultEEES6_EEENSH_IJSG_SG_EEES6_PlJNSB_9not_fun_tI7is_trueIjEEEEEE10hipError_tPvRmT3_T4_T5_T6_T7_T9_mT8_P12ihipStream_tbDpT10_ENKUlT_T0_E_clISt17integral_constantIbLb0EES1B_EEDaS16_S17_EUlS16_E_NS1_11comp_targetILNS1_3genE5ELNS1_11target_archE942ELNS1_3gpuE9ELNS1_3repE0EEENS1_30default_config_static_selectorELNS0_4arch9wavefront6targetE0EEEvT1_
	.globl	_ZN7rocprim17ROCPRIM_400000_NS6detail17trampoline_kernelINS0_14default_configENS1_25partition_config_selectorILNS1_17partition_subalgoE6EjNS0_10empty_typeEbEEZZNS1_14partition_implILS5_6ELb0ES3_mN6thrust23THRUST_200600_302600_NS6detail15normal_iteratorINSA_10device_ptrIjEEEEPS6_SG_NS0_5tupleIJNSA_16discard_iteratorINSA_11use_defaultEEES6_EEENSH_IJSG_SG_EEES6_PlJNSB_9not_fun_tI7is_trueIjEEEEEE10hipError_tPvRmT3_T4_T5_T6_T7_T9_mT8_P12ihipStream_tbDpT10_ENKUlT_T0_E_clISt17integral_constantIbLb0EES1B_EEDaS16_S17_EUlS16_E_NS1_11comp_targetILNS1_3genE5ELNS1_11target_archE942ELNS1_3gpuE9ELNS1_3repE0EEENS1_30default_config_static_selectorELNS0_4arch9wavefront6targetE0EEEvT1_
	.p2align	8
	.type	_ZN7rocprim17ROCPRIM_400000_NS6detail17trampoline_kernelINS0_14default_configENS1_25partition_config_selectorILNS1_17partition_subalgoE6EjNS0_10empty_typeEbEEZZNS1_14partition_implILS5_6ELb0ES3_mN6thrust23THRUST_200600_302600_NS6detail15normal_iteratorINSA_10device_ptrIjEEEEPS6_SG_NS0_5tupleIJNSA_16discard_iteratorINSA_11use_defaultEEES6_EEENSH_IJSG_SG_EEES6_PlJNSB_9not_fun_tI7is_trueIjEEEEEE10hipError_tPvRmT3_T4_T5_T6_T7_T9_mT8_P12ihipStream_tbDpT10_ENKUlT_T0_E_clISt17integral_constantIbLb0EES1B_EEDaS16_S17_EUlS16_E_NS1_11comp_targetILNS1_3genE5ELNS1_11target_archE942ELNS1_3gpuE9ELNS1_3repE0EEENS1_30default_config_static_selectorELNS0_4arch9wavefront6targetE0EEEvT1_,@function
_ZN7rocprim17ROCPRIM_400000_NS6detail17trampoline_kernelINS0_14default_configENS1_25partition_config_selectorILNS1_17partition_subalgoE6EjNS0_10empty_typeEbEEZZNS1_14partition_implILS5_6ELb0ES3_mN6thrust23THRUST_200600_302600_NS6detail15normal_iteratorINSA_10device_ptrIjEEEEPS6_SG_NS0_5tupleIJNSA_16discard_iteratorINSA_11use_defaultEEES6_EEENSH_IJSG_SG_EEES6_PlJNSB_9not_fun_tI7is_trueIjEEEEEE10hipError_tPvRmT3_T4_T5_T6_T7_T9_mT8_P12ihipStream_tbDpT10_ENKUlT_T0_E_clISt17integral_constantIbLb0EES1B_EEDaS16_S17_EUlS16_E_NS1_11comp_targetILNS1_3genE5ELNS1_11target_archE942ELNS1_3gpuE9ELNS1_3repE0EEENS1_30default_config_static_selectorELNS0_4arch9wavefront6targetE0EEEvT1_: ; @_ZN7rocprim17ROCPRIM_400000_NS6detail17trampoline_kernelINS0_14default_configENS1_25partition_config_selectorILNS1_17partition_subalgoE6EjNS0_10empty_typeEbEEZZNS1_14partition_implILS5_6ELb0ES3_mN6thrust23THRUST_200600_302600_NS6detail15normal_iteratorINSA_10device_ptrIjEEEEPS6_SG_NS0_5tupleIJNSA_16discard_iteratorINSA_11use_defaultEEES6_EEENSH_IJSG_SG_EEES6_PlJNSB_9not_fun_tI7is_trueIjEEEEEE10hipError_tPvRmT3_T4_T5_T6_T7_T9_mT8_P12ihipStream_tbDpT10_ENKUlT_T0_E_clISt17integral_constantIbLb0EES1B_EEDaS16_S17_EUlS16_E_NS1_11comp_targetILNS1_3genE5ELNS1_11target_archE942ELNS1_3gpuE9ELNS1_3repE0EEENS1_30default_config_static_selectorELNS0_4arch9wavefront6targetE0EEEvT1_
; %bb.0:
	.section	.rodata,"a",@progbits
	.p2align	6, 0x0
	.amdhsa_kernel _ZN7rocprim17ROCPRIM_400000_NS6detail17trampoline_kernelINS0_14default_configENS1_25partition_config_selectorILNS1_17partition_subalgoE6EjNS0_10empty_typeEbEEZZNS1_14partition_implILS5_6ELb0ES3_mN6thrust23THRUST_200600_302600_NS6detail15normal_iteratorINSA_10device_ptrIjEEEEPS6_SG_NS0_5tupleIJNSA_16discard_iteratorINSA_11use_defaultEEES6_EEENSH_IJSG_SG_EEES6_PlJNSB_9not_fun_tI7is_trueIjEEEEEE10hipError_tPvRmT3_T4_T5_T6_T7_T9_mT8_P12ihipStream_tbDpT10_ENKUlT_T0_E_clISt17integral_constantIbLb0EES1B_EEDaS16_S17_EUlS16_E_NS1_11comp_targetILNS1_3genE5ELNS1_11target_archE942ELNS1_3gpuE9ELNS1_3repE0EEENS1_30default_config_static_selectorELNS0_4arch9wavefront6targetE0EEEvT1_
		.amdhsa_group_segment_fixed_size 0
		.amdhsa_private_segment_fixed_size 0
		.amdhsa_kernarg_size 120
		.amdhsa_user_sgpr_count 2
		.amdhsa_user_sgpr_dispatch_ptr 0
		.amdhsa_user_sgpr_queue_ptr 0
		.amdhsa_user_sgpr_kernarg_segment_ptr 1
		.amdhsa_user_sgpr_dispatch_id 0
		.amdhsa_user_sgpr_private_segment_size 0
		.amdhsa_wavefront_size32 1
		.amdhsa_uses_dynamic_stack 0
		.amdhsa_enable_private_segment 0
		.amdhsa_system_sgpr_workgroup_id_x 1
		.amdhsa_system_sgpr_workgroup_id_y 0
		.amdhsa_system_sgpr_workgroup_id_z 0
		.amdhsa_system_sgpr_workgroup_info 0
		.amdhsa_system_vgpr_workitem_id 0
		.amdhsa_next_free_vgpr 1
		.amdhsa_next_free_sgpr 1
		.amdhsa_reserve_vcc 0
		.amdhsa_float_round_mode_32 0
		.amdhsa_float_round_mode_16_64 0
		.amdhsa_float_denorm_mode_32 3
		.amdhsa_float_denorm_mode_16_64 3
		.amdhsa_fp16_overflow 0
		.amdhsa_workgroup_processor_mode 1
		.amdhsa_memory_ordered 1
		.amdhsa_forward_progress 1
		.amdhsa_inst_pref_size 0
		.amdhsa_round_robin_scheduling 0
		.amdhsa_exception_fp_ieee_invalid_op 0
		.amdhsa_exception_fp_denorm_src 0
		.amdhsa_exception_fp_ieee_div_zero 0
		.amdhsa_exception_fp_ieee_overflow 0
		.amdhsa_exception_fp_ieee_underflow 0
		.amdhsa_exception_fp_ieee_inexact 0
		.amdhsa_exception_int_div_zero 0
	.end_amdhsa_kernel
	.section	.text._ZN7rocprim17ROCPRIM_400000_NS6detail17trampoline_kernelINS0_14default_configENS1_25partition_config_selectorILNS1_17partition_subalgoE6EjNS0_10empty_typeEbEEZZNS1_14partition_implILS5_6ELb0ES3_mN6thrust23THRUST_200600_302600_NS6detail15normal_iteratorINSA_10device_ptrIjEEEEPS6_SG_NS0_5tupleIJNSA_16discard_iteratorINSA_11use_defaultEEES6_EEENSH_IJSG_SG_EEES6_PlJNSB_9not_fun_tI7is_trueIjEEEEEE10hipError_tPvRmT3_T4_T5_T6_T7_T9_mT8_P12ihipStream_tbDpT10_ENKUlT_T0_E_clISt17integral_constantIbLb0EES1B_EEDaS16_S17_EUlS16_E_NS1_11comp_targetILNS1_3genE5ELNS1_11target_archE942ELNS1_3gpuE9ELNS1_3repE0EEENS1_30default_config_static_selectorELNS0_4arch9wavefront6targetE0EEEvT1_,"axG",@progbits,_ZN7rocprim17ROCPRIM_400000_NS6detail17trampoline_kernelINS0_14default_configENS1_25partition_config_selectorILNS1_17partition_subalgoE6EjNS0_10empty_typeEbEEZZNS1_14partition_implILS5_6ELb0ES3_mN6thrust23THRUST_200600_302600_NS6detail15normal_iteratorINSA_10device_ptrIjEEEEPS6_SG_NS0_5tupleIJNSA_16discard_iteratorINSA_11use_defaultEEES6_EEENSH_IJSG_SG_EEES6_PlJNSB_9not_fun_tI7is_trueIjEEEEEE10hipError_tPvRmT3_T4_T5_T6_T7_T9_mT8_P12ihipStream_tbDpT10_ENKUlT_T0_E_clISt17integral_constantIbLb0EES1B_EEDaS16_S17_EUlS16_E_NS1_11comp_targetILNS1_3genE5ELNS1_11target_archE942ELNS1_3gpuE9ELNS1_3repE0EEENS1_30default_config_static_selectorELNS0_4arch9wavefront6targetE0EEEvT1_,comdat
.Lfunc_end2174:
	.size	_ZN7rocprim17ROCPRIM_400000_NS6detail17trampoline_kernelINS0_14default_configENS1_25partition_config_selectorILNS1_17partition_subalgoE6EjNS0_10empty_typeEbEEZZNS1_14partition_implILS5_6ELb0ES3_mN6thrust23THRUST_200600_302600_NS6detail15normal_iteratorINSA_10device_ptrIjEEEEPS6_SG_NS0_5tupleIJNSA_16discard_iteratorINSA_11use_defaultEEES6_EEENSH_IJSG_SG_EEES6_PlJNSB_9not_fun_tI7is_trueIjEEEEEE10hipError_tPvRmT3_T4_T5_T6_T7_T9_mT8_P12ihipStream_tbDpT10_ENKUlT_T0_E_clISt17integral_constantIbLb0EES1B_EEDaS16_S17_EUlS16_E_NS1_11comp_targetILNS1_3genE5ELNS1_11target_archE942ELNS1_3gpuE9ELNS1_3repE0EEENS1_30default_config_static_selectorELNS0_4arch9wavefront6targetE0EEEvT1_, .Lfunc_end2174-_ZN7rocprim17ROCPRIM_400000_NS6detail17trampoline_kernelINS0_14default_configENS1_25partition_config_selectorILNS1_17partition_subalgoE6EjNS0_10empty_typeEbEEZZNS1_14partition_implILS5_6ELb0ES3_mN6thrust23THRUST_200600_302600_NS6detail15normal_iteratorINSA_10device_ptrIjEEEEPS6_SG_NS0_5tupleIJNSA_16discard_iteratorINSA_11use_defaultEEES6_EEENSH_IJSG_SG_EEES6_PlJNSB_9not_fun_tI7is_trueIjEEEEEE10hipError_tPvRmT3_T4_T5_T6_T7_T9_mT8_P12ihipStream_tbDpT10_ENKUlT_T0_E_clISt17integral_constantIbLb0EES1B_EEDaS16_S17_EUlS16_E_NS1_11comp_targetILNS1_3genE5ELNS1_11target_archE942ELNS1_3gpuE9ELNS1_3repE0EEENS1_30default_config_static_selectorELNS0_4arch9wavefront6targetE0EEEvT1_
                                        ; -- End function
	.set _ZN7rocprim17ROCPRIM_400000_NS6detail17trampoline_kernelINS0_14default_configENS1_25partition_config_selectorILNS1_17partition_subalgoE6EjNS0_10empty_typeEbEEZZNS1_14partition_implILS5_6ELb0ES3_mN6thrust23THRUST_200600_302600_NS6detail15normal_iteratorINSA_10device_ptrIjEEEEPS6_SG_NS0_5tupleIJNSA_16discard_iteratorINSA_11use_defaultEEES6_EEENSH_IJSG_SG_EEES6_PlJNSB_9not_fun_tI7is_trueIjEEEEEE10hipError_tPvRmT3_T4_T5_T6_T7_T9_mT8_P12ihipStream_tbDpT10_ENKUlT_T0_E_clISt17integral_constantIbLb0EES1B_EEDaS16_S17_EUlS16_E_NS1_11comp_targetILNS1_3genE5ELNS1_11target_archE942ELNS1_3gpuE9ELNS1_3repE0EEENS1_30default_config_static_selectorELNS0_4arch9wavefront6targetE0EEEvT1_.num_vgpr, 0
	.set _ZN7rocprim17ROCPRIM_400000_NS6detail17trampoline_kernelINS0_14default_configENS1_25partition_config_selectorILNS1_17partition_subalgoE6EjNS0_10empty_typeEbEEZZNS1_14partition_implILS5_6ELb0ES3_mN6thrust23THRUST_200600_302600_NS6detail15normal_iteratorINSA_10device_ptrIjEEEEPS6_SG_NS0_5tupleIJNSA_16discard_iteratorINSA_11use_defaultEEES6_EEENSH_IJSG_SG_EEES6_PlJNSB_9not_fun_tI7is_trueIjEEEEEE10hipError_tPvRmT3_T4_T5_T6_T7_T9_mT8_P12ihipStream_tbDpT10_ENKUlT_T0_E_clISt17integral_constantIbLb0EES1B_EEDaS16_S17_EUlS16_E_NS1_11comp_targetILNS1_3genE5ELNS1_11target_archE942ELNS1_3gpuE9ELNS1_3repE0EEENS1_30default_config_static_selectorELNS0_4arch9wavefront6targetE0EEEvT1_.num_agpr, 0
	.set _ZN7rocprim17ROCPRIM_400000_NS6detail17trampoline_kernelINS0_14default_configENS1_25partition_config_selectorILNS1_17partition_subalgoE6EjNS0_10empty_typeEbEEZZNS1_14partition_implILS5_6ELb0ES3_mN6thrust23THRUST_200600_302600_NS6detail15normal_iteratorINSA_10device_ptrIjEEEEPS6_SG_NS0_5tupleIJNSA_16discard_iteratorINSA_11use_defaultEEES6_EEENSH_IJSG_SG_EEES6_PlJNSB_9not_fun_tI7is_trueIjEEEEEE10hipError_tPvRmT3_T4_T5_T6_T7_T9_mT8_P12ihipStream_tbDpT10_ENKUlT_T0_E_clISt17integral_constantIbLb0EES1B_EEDaS16_S17_EUlS16_E_NS1_11comp_targetILNS1_3genE5ELNS1_11target_archE942ELNS1_3gpuE9ELNS1_3repE0EEENS1_30default_config_static_selectorELNS0_4arch9wavefront6targetE0EEEvT1_.numbered_sgpr, 0
	.set _ZN7rocprim17ROCPRIM_400000_NS6detail17trampoline_kernelINS0_14default_configENS1_25partition_config_selectorILNS1_17partition_subalgoE6EjNS0_10empty_typeEbEEZZNS1_14partition_implILS5_6ELb0ES3_mN6thrust23THRUST_200600_302600_NS6detail15normal_iteratorINSA_10device_ptrIjEEEEPS6_SG_NS0_5tupleIJNSA_16discard_iteratorINSA_11use_defaultEEES6_EEENSH_IJSG_SG_EEES6_PlJNSB_9not_fun_tI7is_trueIjEEEEEE10hipError_tPvRmT3_T4_T5_T6_T7_T9_mT8_P12ihipStream_tbDpT10_ENKUlT_T0_E_clISt17integral_constantIbLb0EES1B_EEDaS16_S17_EUlS16_E_NS1_11comp_targetILNS1_3genE5ELNS1_11target_archE942ELNS1_3gpuE9ELNS1_3repE0EEENS1_30default_config_static_selectorELNS0_4arch9wavefront6targetE0EEEvT1_.num_named_barrier, 0
	.set _ZN7rocprim17ROCPRIM_400000_NS6detail17trampoline_kernelINS0_14default_configENS1_25partition_config_selectorILNS1_17partition_subalgoE6EjNS0_10empty_typeEbEEZZNS1_14partition_implILS5_6ELb0ES3_mN6thrust23THRUST_200600_302600_NS6detail15normal_iteratorINSA_10device_ptrIjEEEEPS6_SG_NS0_5tupleIJNSA_16discard_iteratorINSA_11use_defaultEEES6_EEENSH_IJSG_SG_EEES6_PlJNSB_9not_fun_tI7is_trueIjEEEEEE10hipError_tPvRmT3_T4_T5_T6_T7_T9_mT8_P12ihipStream_tbDpT10_ENKUlT_T0_E_clISt17integral_constantIbLb0EES1B_EEDaS16_S17_EUlS16_E_NS1_11comp_targetILNS1_3genE5ELNS1_11target_archE942ELNS1_3gpuE9ELNS1_3repE0EEENS1_30default_config_static_selectorELNS0_4arch9wavefront6targetE0EEEvT1_.private_seg_size, 0
	.set _ZN7rocprim17ROCPRIM_400000_NS6detail17trampoline_kernelINS0_14default_configENS1_25partition_config_selectorILNS1_17partition_subalgoE6EjNS0_10empty_typeEbEEZZNS1_14partition_implILS5_6ELb0ES3_mN6thrust23THRUST_200600_302600_NS6detail15normal_iteratorINSA_10device_ptrIjEEEEPS6_SG_NS0_5tupleIJNSA_16discard_iteratorINSA_11use_defaultEEES6_EEENSH_IJSG_SG_EEES6_PlJNSB_9not_fun_tI7is_trueIjEEEEEE10hipError_tPvRmT3_T4_T5_T6_T7_T9_mT8_P12ihipStream_tbDpT10_ENKUlT_T0_E_clISt17integral_constantIbLb0EES1B_EEDaS16_S17_EUlS16_E_NS1_11comp_targetILNS1_3genE5ELNS1_11target_archE942ELNS1_3gpuE9ELNS1_3repE0EEENS1_30default_config_static_selectorELNS0_4arch9wavefront6targetE0EEEvT1_.uses_vcc, 0
	.set _ZN7rocprim17ROCPRIM_400000_NS6detail17trampoline_kernelINS0_14default_configENS1_25partition_config_selectorILNS1_17partition_subalgoE6EjNS0_10empty_typeEbEEZZNS1_14partition_implILS5_6ELb0ES3_mN6thrust23THRUST_200600_302600_NS6detail15normal_iteratorINSA_10device_ptrIjEEEEPS6_SG_NS0_5tupleIJNSA_16discard_iteratorINSA_11use_defaultEEES6_EEENSH_IJSG_SG_EEES6_PlJNSB_9not_fun_tI7is_trueIjEEEEEE10hipError_tPvRmT3_T4_T5_T6_T7_T9_mT8_P12ihipStream_tbDpT10_ENKUlT_T0_E_clISt17integral_constantIbLb0EES1B_EEDaS16_S17_EUlS16_E_NS1_11comp_targetILNS1_3genE5ELNS1_11target_archE942ELNS1_3gpuE9ELNS1_3repE0EEENS1_30default_config_static_selectorELNS0_4arch9wavefront6targetE0EEEvT1_.uses_flat_scratch, 0
	.set _ZN7rocprim17ROCPRIM_400000_NS6detail17trampoline_kernelINS0_14default_configENS1_25partition_config_selectorILNS1_17partition_subalgoE6EjNS0_10empty_typeEbEEZZNS1_14partition_implILS5_6ELb0ES3_mN6thrust23THRUST_200600_302600_NS6detail15normal_iteratorINSA_10device_ptrIjEEEEPS6_SG_NS0_5tupleIJNSA_16discard_iteratorINSA_11use_defaultEEES6_EEENSH_IJSG_SG_EEES6_PlJNSB_9not_fun_tI7is_trueIjEEEEEE10hipError_tPvRmT3_T4_T5_T6_T7_T9_mT8_P12ihipStream_tbDpT10_ENKUlT_T0_E_clISt17integral_constantIbLb0EES1B_EEDaS16_S17_EUlS16_E_NS1_11comp_targetILNS1_3genE5ELNS1_11target_archE942ELNS1_3gpuE9ELNS1_3repE0EEENS1_30default_config_static_selectorELNS0_4arch9wavefront6targetE0EEEvT1_.has_dyn_sized_stack, 0
	.set _ZN7rocprim17ROCPRIM_400000_NS6detail17trampoline_kernelINS0_14default_configENS1_25partition_config_selectorILNS1_17partition_subalgoE6EjNS0_10empty_typeEbEEZZNS1_14partition_implILS5_6ELb0ES3_mN6thrust23THRUST_200600_302600_NS6detail15normal_iteratorINSA_10device_ptrIjEEEEPS6_SG_NS0_5tupleIJNSA_16discard_iteratorINSA_11use_defaultEEES6_EEENSH_IJSG_SG_EEES6_PlJNSB_9not_fun_tI7is_trueIjEEEEEE10hipError_tPvRmT3_T4_T5_T6_T7_T9_mT8_P12ihipStream_tbDpT10_ENKUlT_T0_E_clISt17integral_constantIbLb0EES1B_EEDaS16_S17_EUlS16_E_NS1_11comp_targetILNS1_3genE5ELNS1_11target_archE942ELNS1_3gpuE9ELNS1_3repE0EEENS1_30default_config_static_selectorELNS0_4arch9wavefront6targetE0EEEvT1_.has_recursion, 0
	.set _ZN7rocprim17ROCPRIM_400000_NS6detail17trampoline_kernelINS0_14default_configENS1_25partition_config_selectorILNS1_17partition_subalgoE6EjNS0_10empty_typeEbEEZZNS1_14partition_implILS5_6ELb0ES3_mN6thrust23THRUST_200600_302600_NS6detail15normal_iteratorINSA_10device_ptrIjEEEEPS6_SG_NS0_5tupleIJNSA_16discard_iteratorINSA_11use_defaultEEES6_EEENSH_IJSG_SG_EEES6_PlJNSB_9not_fun_tI7is_trueIjEEEEEE10hipError_tPvRmT3_T4_T5_T6_T7_T9_mT8_P12ihipStream_tbDpT10_ENKUlT_T0_E_clISt17integral_constantIbLb0EES1B_EEDaS16_S17_EUlS16_E_NS1_11comp_targetILNS1_3genE5ELNS1_11target_archE942ELNS1_3gpuE9ELNS1_3repE0EEENS1_30default_config_static_selectorELNS0_4arch9wavefront6targetE0EEEvT1_.has_indirect_call, 0
	.section	.AMDGPU.csdata,"",@progbits
; Kernel info:
; codeLenInByte = 0
; TotalNumSgprs: 0
; NumVgprs: 0
; ScratchSize: 0
; MemoryBound: 0
; FloatMode: 240
; IeeeMode: 1
; LDSByteSize: 0 bytes/workgroup (compile time only)
; SGPRBlocks: 0
; VGPRBlocks: 0
; NumSGPRsForWavesPerEU: 1
; NumVGPRsForWavesPerEU: 1
; Occupancy: 16
; WaveLimiterHint : 0
; COMPUTE_PGM_RSRC2:SCRATCH_EN: 0
; COMPUTE_PGM_RSRC2:USER_SGPR: 2
; COMPUTE_PGM_RSRC2:TRAP_HANDLER: 0
; COMPUTE_PGM_RSRC2:TGID_X_EN: 1
; COMPUTE_PGM_RSRC2:TGID_Y_EN: 0
; COMPUTE_PGM_RSRC2:TGID_Z_EN: 0
; COMPUTE_PGM_RSRC2:TIDIG_COMP_CNT: 0
	.section	.text._ZN7rocprim17ROCPRIM_400000_NS6detail17trampoline_kernelINS0_14default_configENS1_25partition_config_selectorILNS1_17partition_subalgoE6EjNS0_10empty_typeEbEEZZNS1_14partition_implILS5_6ELb0ES3_mN6thrust23THRUST_200600_302600_NS6detail15normal_iteratorINSA_10device_ptrIjEEEEPS6_SG_NS0_5tupleIJNSA_16discard_iteratorINSA_11use_defaultEEES6_EEENSH_IJSG_SG_EEES6_PlJNSB_9not_fun_tI7is_trueIjEEEEEE10hipError_tPvRmT3_T4_T5_T6_T7_T9_mT8_P12ihipStream_tbDpT10_ENKUlT_T0_E_clISt17integral_constantIbLb0EES1B_EEDaS16_S17_EUlS16_E_NS1_11comp_targetILNS1_3genE4ELNS1_11target_archE910ELNS1_3gpuE8ELNS1_3repE0EEENS1_30default_config_static_selectorELNS0_4arch9wavefront6targetE0EEEvT1_,"axG",@progbits,_ZN7rocprim17ROCPRIM_400000_NS6detail17trampoline_kernelINS0_14default_configENS1_25partition_config_selectorILNS1_17partition_subalgoE6EjNS0_10empty_typeEbEEZZNS1_14partition_implILS5_6ELb0ES3_mN6thrust23THRUST_200600_302600_NS6detail15normal_iteratorINSA_10device_ptrIjEEEEPS6_SG_NS0_5tupleIJNSA_16discard_iteratorINSA_11use_defaultEEES6_EEENSH_IJSG_SG_EEES6_PlJNSB_9not_fun_tI7is_trueIjEEEEEE10hipError_tPvRmT3_T4_T5_T6_T7_T9_mT8_P12ihipStream_tbDpT10_ENKUlT_T0_E_clISt17integral_constantIbLb0EES1B_EEDaS16_S17_EUlS16_E_NS1_11comp_targetILNS1_3genE4ELNS1_11target_archE910ELNS1_3gpuE8ELNS1_3repE0EEENS1_30default_config_static_selectorELNS0_4arch9wavefront6targetE0EEEvT1_,comdat
	.protected	_ZN7rocprim17ROCPRIM_400000_NS6detail17trampoline_kernelINS0_14default_configENS1_25partition_config_selectorILNS1_17partition_subalgoE6EjNS0_10empty_typeEbEEZZNS1_14partition_implILS5_6ELb0ES3_mN6thrust23THRUST_200600_302600_NS6detail15normal_iteratorINSA_10device_ptrIjEEEEPS6_SG_NS0_5tupleIJNSA_16discard_iteratorINSA_11use_defaultEEES6_EEENSH_IJSG_SG_EEES6_PlJNSB_9not_fun_tI7is_trueIjEEEEEE10hipError_tPvRmT3_T4_T5_T6_T7_T9_mT8_P12ihipStream_tbDpT10_ENKUlT_T0_E_clISt17integral_constantIbLb0EES1B_EEDaS16_S17_EUlS16_E_NS1_11comp_targetILNS1_3genE4ELNS1_11target_archE910ELNS1_3gpuE8ELNS1_3repE0EEENS1_30default_config_static_selectorELNS0_4arch9wavefront6targetE0EEEvT1_ ; -- Begin function _ZN7rocprim17ROCPRIM_400000_NS6detail17trampoline_kernelINS0_14default_configENS1_25partition_config_selectorILNS1_17partition_subalgoE6EjNS0_10empty_typeEbEEZZNS1_14partition_implILS5_6ELb0ES3_mN6thrust23THRUST_200600_302600_NS6detail15normal_iteratorINSA_10device_ptrIjEEEEPS6_SG_NS0_5tupleIJNSA_16discard_iteratorINSA_11use_defaultEEES6_EEENSH_IJSG_SG_EEES6_PlJNSB_9not_fun_tI7is_trueIjEEEEEE10hipError_tPvRmT3_T4_T5_T6_T7_T9_mT8_P12ihipStream_tbDpT10_ENKUlT_T0_E_clISt17integral_constantIbLb0EES1B_EEDaS16_S17_EUlS16_E_NS1_11comp_targetILNS1_3genE4ELNS1_11target_archE910ELNS1_3gpuE8ELNS1_3repE0EEENS1_30default_config_static_selectorELNS0_4arch9wavefront6targetE0EEEvT1_
	.globl	_ZN7rocprim17ROCPRIM_400000_NS6detail17trampoline_kernelINS0_14default_configENS1_25partition_config_selectorILNS1_17partition_subalgoE6EjNS0_10empty_typeEbEEZZNS1_14partition_implILS5_6ELb0ES3_mN6thrust23THRUST_200600_302600_NS6detail15normal_iteratorINSA_10device_ptrIjEEEEPS6_SG_NS0_5tupleIJNSA_16discard_iteratorINSA_11use_defaultEEES6_EEENSH_IJSG_SG_EEES6_PlJNSB_9not_fun_tI7is_trueIjEEEEEE10hipError_tPvRmT3_T4_T5_T6_T7_T9_mT8_P12ihipStream_tbDpT10_ENKUlT_T0_E_clISt17integral_constantIbLb0EES1B_EEDaS16_S17_EUlS16_E_NS1_11comp_targetILNS1_3genE4ELNS1_11target_archE910ELNS1_3gpuE8ELNS1_3repE0EEENS1_30default_config_static_selectorELNS0_4arch9wavefront6targetE0EEEvT1_
	.p2align	8
	.type	_ZN7rocprim17ROCPRIM_400000_NS6detail17trampoline_kernelINS0_14default_configENS1_25partition_config_selectorILNS1_17partition_subalgoE6EjNS0_10empty_typeEbEEZZNS1_14partition_implILS5_6ELb0ES3_mN6thrust23THRUST_200600_302600_NS6detail15normal_iteratorINSA_10device_ptrIjEEEEPS6_SG_NS0_5tupleIJNSA_16discard_iteratorINSA_11use_defaultEEES6_EEENSH_IJSG_SG_EEES6_PlJNSB_9not_fun_tI7is_trueIjEEEEEE10hipError_tPvRmT3_T4_T5_T6_T7_T9_mT8_P12ihipStream_tbDpT10_ENKUlT_T0_E_clISt17integral_constantIbLb0EES1B_EEDaS16_S17_EUlS16_E_NS1_11comp_targetILNS1_3genE4ELNS1_11target_archE910ELNS1_3gpuE8ELNS1_3repE0EEENS1_30default_config_static_selectorELNS0_4arch9wavefront6targetE0EEEvT1_,@function
_ZN7rocprim17ROCPRIM_400000_NS6detail17trampoline_kernelINS0_14default_configENS1_25partition_config_selectorILNS1_17partition_subalgoE6EjNS0_10empty_typeEbEEZZNS1_14partition_implILS5_6ELb0ES3_mN6thrust23THRUST_200600_302600_NS6detail15normal_iteratorINSA_10device_ptrIjEEEEPS6_SG_NS0_5tupleIJNSA_16discard_iteratorINSA_11use_defaultEEES6_EEENSH_IJSG_SG_EEES6_PlJNSB_9not_fun_tI7is_trueIjEEEEEE10hipError_tPvRmT3_T4_T5_T6_T7_T9_mT8_P12ihipStream_tbDpT10_ENKUlT_T0_E_clISt17integral_constantIbLb0EES1B_EEDaS16_S17_EUlS16_E_NS1_11comp_targetILNS1_3genE4ELNS1_11target_archE910ELNS1_3gpuE8ELNS1_3repE0EEENS1_30default_config_static_selectorELNS0_4arch9wavefront6targetE0EEEvT1_: ; @_ZN7rocprim17ROCPRIM_400000_NS6detail17trampoline_kernelINS0_14default_configENS1_25partition_config_selectorILNS1_17partition_subalgoE6EjNS0_10empty_typeEbEEZZNS1_14partition_implILS5_6ELb0ES3_mN6thrust23THRUST_200600_302600_NS6detail15normal_iteratorINSA_10device_ptrIjEEEEPS6_SG_NS0_5tupleIJNSA_16discard_iteratorINSA_11use_defaultEEES6_EEENSH_IJSG_SG_EEES6_PlJNSB_9not_fun_tI7is_trueIjEEEEEE10hipError_tPvRmT3_T4_T5_T6_T7_T9_mT8_P12ihipStream_tbDpT10_ENKUlT_T0_E_clISt17integral_constantIbLb0EES1B_EEDaS16_S17_EUlS16_E_NS1_11comp_targetILNS1_3genE4ELNS1_11target_archE910ELNS1_3gpuE8ELNS1_3repE0EEENS1_30default_config_static_selectorELNS0_4arch9wavefront6targetE0EEEvT1_
; %bb.0:
	.section	.rodata,"a",@progbits
	.p2align	6, 0x0
	.amdhsa_kernel _ZN7rocprim17ROCPRIM_400000_NS6detail17trampoline_kernelINS0_14default_configENS1_25partition_config_selectorILNS1_17partition_subalgoE6EjNS0_10empty_typeEbEEZZNS1_14partition_implILS5_6ELb0ES3_mN6thrust23THRUST_200600_302600_NS6detail15normal_iteratorINSA_10device_ptrIjEEEEPS6_SG_NS0_5tupleIJNSA_16discard_iteratorINSA_11use_defaultEEES6_EEENSH_IJSG_SG_EEES6_PlJNSB_9not_fun_tI7is_trueIjEEEEEE10hipError_tPvRmT3_T4_T5_T6_T7_T9_mT8_P12ihipStream_tbDpT10_ENKUlT_T0_E_clISt17integral_constantIbLb0EES1B_EEDaS16_S17_EUlS16_E_NS1_11comp_targetILNS1_3genE4ELNS1_11target_archE910ELNS1_3gpuE8ELNS1_3repE0EEENS1_30default_config_static_selectorELNS0_4arch9wavefront6targetE0EEEvT1_
		.amdhsa_group_segment_fixed_size 0
		.amdhsa_private_segment_fixed_size 0
		.amdhsa_kernarg_size 120
		.amdhsa_user_sgpr_count 2
		.amdhsa_user_sgpr_dispatch_ptr 0
		.amdhsa_user_sgpr_queue_ptr 0
		.amdhsa_user_sgpr_kernarg_segment_ptr 1
		.amdhsa_user_sgpr_dispatch_id 0
		.amdhsa_user_sgpr_private_segment_size 0
		.amdhsa_wavefront_size32 1
		.amdhsa_uses_dynamic_stack 0
		.amdhsa_enable_private_segment 0
		.amdhsa_system_sgpr_workgroup_id_x 1
		.amdhsa_system_sgpr_workgroup_id_y 0
		.amdhsa_system_sgpr_workgroup_id_z 0
		.amdhsa_system_sgpr_workgroup_info 0
		.amdhsa_system_vgpr_workitem_id 0
		.amdhsa_next_free_vgpr 1
		.amdhsa_next_free_sgpr 1
		.amdhsa_reserve_vcc 0
		.amdhsa_float_round_mode_32 0
		.amdhsa_float_round_mode_16_64 0
		.amdhsa_float_denorm_mode_32 3
		.amdhsa_float_denorm_mode_16_64 3
		.amdhsa_fp16_overflow 0
		.amdhsa_workgroup_processor_mode 1
		.amdhsa_memory_ordered 1
		.amdhsa_forward_progress 1
		.amdhsa_inst_pref_size 0
		.amdhsa_round_robin_scheduling 0
		.amdhsa_exception_fp_ieee_invalid_op 0
		.amdhsa_exception_fp_denorm_src 0
		.amdhsa_exception_fp_ieee_div_zero 0
		.amdhsa_exception_fp_ieee_overflow 0
		.amdhsa_exception_fp_ieee_underflow 0
		.amdhsa_exception_fp_ieee_inexact 0
		.amdhsa_exception_int_div_zero 0
	.end_amdhsa_kernel
	.section	.text._ZN7rocprim17ROCPRIM_400000_NS6detail17trampoline_kernelINS0_14default_configENS1_25partition_config_selectorILNS1_17partition_subalgoE6EjNS0_10empty_typeEbEEZZNS1_14partition_implILS5_6ELb0ES3_mN6thrust23THRUST_200600_302600_NS6detail15normal_iteratorINSA_10device_ptrIjEEEEPS6_SG_NS0_5tupleIJNSA_16discard_iteratorINSA_11use_defaultEEES6_EEENSH_IJSG_SG_EEES6_PlJNSB_9not_fun_tI7is_trueIjEEEEEE10hipError_tPvRmT3_T4_T5_T6_T7_T9_mT8_P12ihipStream_tbDpT10_ENKUlT_T0_E_clISt17integral_constantIbLb0EES1B_EEDaS16_S17_EUlS16_E_NS1_11comp_targetILNS1_3genE4ELNS1_11target_archE910ELNS1_3gpuE8ELNS1_3repE0EEENS1_30default_config_static_selectorELNS0_4arch9wavefront6targetE0EEEvT1_,"axG",@progbits,_ZN7rocprim17ROCPRIM_400000_NS6detail17trampoline_kernelINS0_14default_configENS1_25partition_config_selectorILNS1_17partition_subalgoE6EjNS0_10empty_typeEbEEZZNS1_14partition_implILS5_6ELb0ES3_mN6thrust23THRUST_200600_302600_NS6detail15normal_iteratorINSA_10device_ptrIjEEEEPS6_SG_NS0_5tupleIJNSA_16discard_iteratorINSA_11use_defaultEEES6_EEENSH_IJSG_SG_EEES6_PlJNSB_9not_fun_tI7is_trueIjEEEEEE10hipError_tPvRmT3_T4_T5_T6_T7_T9_mT8_P12ihipStream_tbDpT10_ENKUlT_T0_E_clISt17integral_constantIbLb0EES1B_EEDaS16_S17_EUlS16_E_NS1_11comp_targetILNS1_3genE4ELNS1_11target_archE910ELNS1_3gpuE8ELNS1_3repE0EEENS1_30default_config_static_selectorELNS0_4arch9wavefront6targetE0EEEvT1_,comdat
.Lfunc_end2175:
	.size	_ZN7rocprim17ROCPRIM_400000_NS6detail17trampoline_kernelINS0_14default_configENS1_25partition_config_selectorILNS1_17partition_subalgoE6EjNS0_10empty_typeEbEEZZNS1_14partition_implILS5_6ELb0ES3_mN6thrust23THRUST_200600_302600_NS6detail15normal_iteratorINSA_10device_ptrIjEEEEPS6_SG_NS0_5tupleIJNSA_16discard_iteratorINSA_11use_defaultEEES6_EEENSH_IJSG_SG_EEES6_PlJNSB_9not_fun_tI7is_trueIjEEEEEE10hipError_tPvRmT3_T4_T5_T6_T7_T9_mT8_P12ihipStream_tbDpT10_ENKUlT_T0_E_clISt17integral_constantIbLb0EES1B_EEDaS16_S17_EUlS16_E_NS1_11comp_targetILNS1_3genE4ELNS1_11target_archE910ELNS1_3gpuE8ELNS1_3repE0EEENS1_30default_config_static_selectorELNS0_4arch9wavefront6targetE0EEEvT1_, .Lfunc_end2175-_ZN7rocprim17ROCPRIM_400000_NS6detail17trampoline_kernelINS0_14default_configENS1_25partition_config_selectorILNS1_17partition_subalgoE6EjNS0_10empty_typeEbEEZZNS1_14partition_implILS5_6ELb0ES3_mN6thrust23THRUST_200600_302600_NS6detail15normal_iteratorINSA_10device_ptrIjEEEEPS6_SG_NS0_5tupleIJNSA_16discard_iteratorINSA_11use_defaultEEES6_EEENSH_IJSG_SG_EEES6_PlJNSB_9not_fun_tI7is_trueIjEEEEEE10hipError_tPvRmT3_T4_T5_T6_T7_T9_mT8_P12ihipStream_tbDpT10_ENKUlT_T0_E_clISt17integral_constantIbLb0EES1B_EEDaS16_S17_EUlS16_E_NS1_11comp_targetILNS1_3genE4ELNS1_11target_archE910ELNS1_3gpuE8ELNS1_3repE0EEENS1_30default_config_static_selectorELNS0_4arch9wavefront6targetE0EEEvT1_
                                        ; -- End function
	.set _ZN7rocprim17ROCPRIM_400000_NS6detail17trampoline_kernelINS0_14default_configENS1_25partition_config_selectorILNS1_17partition_subalgoE6EjNS0_10empty_typeEbEEZZNS1_14partition_implILS5_6ELb0ES3_mN6thrust23THRUST_200600_302600_NS6detail15normal_iteratorINSA_10device_ptrIjEEEEPS6_SG_NS0_5tupleIJNSA_16discard_iteratorINSA_11use_defaultEEES6_EEENSH_IJSG_SG_EEES6_PlJNSB_9not_fun_tI7is_trueIjEEEEEE10hipError_tPvRmT3_T4_T5_T6_T7_T9_mT8_P12ihipStream_tbDpT10_ENKUlT_T0_E_clISt17integral_constantIbLb0EES1B_EEDaS16_S17_EUlS16_E_NS1_11comp_targetILNS1_3genE4ELNS1_11target_archE910ELNS1_3gpuE8ELNS1_3repE0EEENS1_30default_config_static_selectorELNS0_4arch9wavefront6targetE0EEEvT1_.num_vgpr, 0
	.set _ZN7rocprim17ROCPRIM_400000_NS6detail17trampoline_kernelINS0_14default_configENS1_25partition_config_selectorILNS1_17partition_subalgoE6EjNS0_10empty_typeEbEEZZNS1_14partition_implILS5_6ELb0ES3_mN6thrust23THRUST_200600_302600_NS6detail15normal_iteratorINSA_10device_ptrIjEEEEPS6_SG_NS0_5tupleIJNSA_16discard_iteratorINSA_11use_defaultEEES6_EEENSH_IJSG_SG_EEES6_PlJNSB_9not_fun_tI7is_trueIjEEEEEE10hipError_tPvRmT3_T4_T5_T6_T7_T9_mT8_P12ihipStream_tbDpT10_ENKUlT_T0_E_clISt17integral_constantIbLb0EES1B_EEDaS16_S17_EUlS16_E_NS1_11comp_targetILNS1_3genE4ELNS1_11target_archE910ELNS1_3gpuE8ELNS1_3repE0EEENS1_30default_config_static_selectorELNS0_4arch9wavefront6targetE0EEEvT1_.num_agpr, 0
	.set _ZN7rocprim17ROCPRIM_400000_NS6detail17trampoline_kernelINS0_14default_configENS1_25partition_config_selectorILNS1_17partition_subalgoE6EjNS0_10empty_typeEbEEZZNS1_14partition_implILS5_6ELb0ES3_mN6thrust23THRUST_200600_302600_NS6detail15normal_iteratorINSA_10device_ptrIjEEEEPS6_SG_NS0_5tupleIJNSA_16discard_iteratorINSA_11use_defaultEEES6_EEENSH_IJSG_SG_EEES6_PlJNSB_9not_fun_tI7is_trueIjEEEEEE10hipError_tPvRmT3_T4_T5_T6_T7_T9_mT8_P12ihipStream_tbDpT10_ENKUlT_T0_E_clISt17integral_constantIbLb0EES1B_EEDaS16_S17_EUlS16_E_NS1_11comp_targetILNS1_3genE4ELNS1_11target_archE910ELNS1_3gpuE8ELNS1_3repE0EEENS1_30default_config_static_selectorELNS0_4arch9wavefront6targetE0EEEvT1_.numbered_sgpr, 0
	.set _ZN7rocprim17ROCPRIM_400000_NS6detail17trampoline_kernelINS0_14default_configENS1_25partition_config_selectorILNS1_17partition_subalgoE6EjNS0_10empty_typeEbEEZZNS1_14partition_implILS5_6ELb0ES3_mN6thrust23THRUST_200600_302600_NS6detail15normal_iteratorINSA_10device_ptrIjEEEEPS6_SG_NS0_5tupleIJNSA_16discard_iteratorINSA_11use_defaultEEES6_EEENSH_IJSG_SG_EEES6_PlJNSB_9not_fun_tI7is_trueIjEEEEEE10hipError_tPvRmT3_T4_T5_T6_T7_T9_mT8_P12ihipStream_tbDpT10_ENKUlT_T0_E_clISt17integral_constantIbLb0EES1B_EEDaS16_S17_EUlS16_E_NS1_11comp_targetILNS1_3genE4ELNS1_11target_archE910ELNS1_3gpuE8ELNS1_3repE0EEENS1_30default_config_static_selectorELNS0_4arch9wavefront6targetE0EEEvT1_.num_named_barrier, 0
	.set _ZN7rocprim17ROCPRIM_400000_NS6detail17trampoline_kernelINS0_14default_configENS1_25partition_config_selectorILNS1_17partition_subalgoE6EjNS0_10empty_typeEbEEZZNS1_14partition_implILS5_6ELb0ES3_mN6thrust23THRUST_200600_302600_NS6detail15normal_iteratorINSA_10device_ptrIjEEEEPS6_SG_NS0_5tupleIJNSA_16discard_iteratorINSA_11use_defaultEEES6_EEENSH_IJSG_SG_EEES6_PlJNSB_9not_fun_tI7is_trueIjEEEEEE10hipError_tPvRmT3_T4_T5_T6_T7_T9_mT8_P12ihipStream_tbDpT10_ENKUlT_T0_E_clISt17integral_constantIbLb0EES1B_EEDaS16_S17_EUlS16_E_NS1_11comp_targetILNS1_3genE4ELNS1_11target_archE910ELNS1_3gpuE8ELNS1_3repE0EEENS1_30default_config_static_selectorELNS0_4arch9wavefront6targetE0EEEvT1_.private_seg_size, 0
	.set _ZN7rocprim17ROCPRIM_400000_NS6detail17trampoline_kernelINS0_14default_configENS1_25partition_config_selectorILNS1_17partition_subalgoE6EjNS0_10empty_typeEbEEZZNS1_14partition_implILS5_6ELb0ES3_mN6thrust23THRUST_200600_302600_NS6detail15normal_iteratorINSA_10device_ptrIjEEEEPS6_SG_NS0_5tupleIJNSA_16discard_iteratorINSA_11use_defaultEEES6_EEENSH_IJSG_SG_EEES6_PlJNSB_9not_fun_tI7is_trueIjEEEEEE10hipError_tPvRmT3_T4_T5_T6_T7_T9_mT8_P12ihipStream_tbDpT10_ENKUlT_T0_E_clISt17integral_constantIbLb0EES1B_EEDaS16_S17_EUlS16_E_NS1_11comp_targetILNS1_3genE4ELNS1_11target_archE910ELNS1_3gpuE8ELNS1_3repE0EEENS1_30default_config_static_selectorELNS0_4arch9wavefront6targetE0EEEvT1_.uses_vcc, 0
	.set _ZN7rocprim17ROCPRIM_400000_NS6detail17trampoline_kernelINS0_14default_configENS1_25partition_config_selectorILNS1_17partition_subalgoE6EjNS0_10empty_typeEbEEZZNS1_14partition_implILS5_6ELb0ES3_mN6thrust23THRUST_200600_302600_NS6detail15normal_iteratorINSA_10device_ptrIjEEEEPS6_SG_NS0_5tupleIJNSA_16discard_iteratorINSA_11use_defaultEEES6_EEENSH_IJSG_SG_EEES6_PlJNSB_9not_fun_tI7is_trueIjEEEEEE10hipError_tPvRmT3_T4_T5_T6_T7_T9_mT8_P12ihipStream_tbDpT10_ENKUlT_T0_E_clISt17integral_constantIbLb0EES1B_EEDaS16_S17_EUlS16_E_NS1_11comp_targetILNS1_3genE4ELNS1_11target_archE910ELNS1_3gpuE8ELNS1_3repE0EEENS1_30default_config_static_selectorELNS0_4arch9wavefront6targetE0EEEvT1_.uses_flat_scratch, 0
	.set _ZN7rocprim17ROCPRIM_400000_NS6detail17trampoline_kernelINS0_14default_configENS1_25partition_config_selectorILNS1_17partition_subalgoE6EjNS0_10empty_typeEbEEZZNS1_14partition_implILS5_6ELb0ES3_mN6thrust23THRUST_200600_302600_NS6detail15normal_iteratorINSA_10device_ptrIjEEEEPS6_SG_NS0_5tupleIJNSA_16discard_iteratorINSA_11use_defaultEEES6_EEENSH_IJSG_SG_EEES6_PlJNSB_9not_fun_tI7is_trueIjEEEEEE10hipError_tPvRmT3_T4_T5_T6_T7_T9_mT8_P12ihipStream_tbDpT10_ENKUlT_T0_E_clISt17integral_constantIbLb0EES1B_EEDaS16_S17_EUlS16_E_NS1_11comp_targetILNS1_3genE4ELNS1_11target_archE910ELNS1_3gpuE8ELNS1_3repE0EEENS1_30default_config_static_selectorELNS0_4arch9wavefront6targetE0EEEvT1_.has_dyn_sized_stack, 0
	.set _ZN7rocprim17ROCPRIM_400000_NS6detail17trampoline_kernelINS0_14default_configENS1_25partition_config_selectorILNS1_17partition_subalgoE6EjNS0_10empty_typeEbEEZZNS1_14partition_implILS5_6ELb0ES3_mN6thrust23THRUST_200600_302600_NS6detail15normal_iteratorINSA_10device_ptrIjEEEEPS6_SG_NS0_5tupleIJNSA_16discard_iteratorINSA_11use_defaultEEES6_EEENSH_IJSG_SG_EEES6_PlJNSB_9not_fun_tI7is_trueIjEEEEEE10hipError_tPvRmT3_T4_T5_T6_T7_T9_mT8_P12ihipStream_tbDpT10_ENKUlT_T0_E_clISt17integral_constantIbLb0EES1B_EEDaS16_S17_EUlS16_E_NS1_11comp_targetILNS1_3genE4ELNS1_11target_archE910ELNS1_3gpuE8ELNS1_3repE0EEENS1_30default_config_static_selectorELNS0_4arch9wavefront6targetE0EEEvT1_.has_recursion, 0
	.set _ZN7rocprim17ROCPRIM_400000_NS6detail17trampoline_kernelINS0_14default_configENS1_25partition_config_selectorILNS1_17partition_subalgoE6EjNS0_10empty_typeEbEEZZNS1_14partition_implILS5_6ELb0ES3_mN6thrust23THRUST_200600_302600_NS6detail15normal_iteratorINSA_10device_ptrIjEEEEPS6_SG_NS0_5tupleIJNSA_16discard_iteratorINSA_11use_defaultEEES6_EEENSH_IJSG_SG_EEES6_PlJNSB_9not_fun_tI7is_trueIjEEEEEE10hipError_tPvRmT3_T4_T5_T6_T7_T9_mT8_P12ihipStream_tbDpT10_ENKUlT_T0_E_clISt17integral_constantIbLb0EES1B_EEDaS16_S17_EUlS16_E_NS1_11comp_targetILNS1_3genE4ELNS1_11target_archE910ELNS1_3gpuE8ELNS1_3repE0EEENS1_30default_config_static_selectorELNS0_4arch9wavefront6targetE0EEEvT1_.has_indirect_call, 0
	.section	.AMDGPU.csdata,"",@progbits
; Kernel info:
; codeLenInByte = 0
; TotalNumSgprs: 0
; NumVgprs: 0
; ScratchSize: 0
; MemoryBound: 0
; FloatMode: 240
; IeeeMode: 1
; LDSByteSize: 0 bytes/workgroup (compile time only)
; SGPRBlocks: 0
; VGPRBlocks: 0
; NumSGPRsForWavesPerEU: 1
; NumVGPRsForWavesPerEU: 1
; Occupancy: 16
; WaveLimiterHint : 0
; COMPUTE_PGM_RSRC2:SCRATCH_EN: 0
; COMPUTE_PGM_RSRC2:USER_SGPR: 2
; COMPUTE_PGM_RSRC2:TRAP_HANDLER: 0
; COMPUTE_PGM_RSRC2:TGID_X_EN: 1
; COMPUTE_PGM_RSRC2:TGID_Y_EN: 0
; COMPUTE_PGM_RSRC2:TGID_Z_EN: 0
; COMPUTE_PGM_RSRC2:TIDIG_COMP_CNT: 0
	.section	.text._ZN7rocprim17ROCPRIM_400000_NS6detail17trampoline_kernelINS0_14default_configENS1_25partition_config_selectorILNS1_17partition_subalgoE6EjNS0_10empty_typeEbEEZZNS1_14partition_implILS5_6ELb0ES3_mN6thrust23THRUST_200600_302600_NS6detail15normal_iteratorINSA_10device_ptrIjEEEEPS6_SG_NS0_5tupleIJNSA_16discard_iteratorINSA_11use_defaultEEES6_EEENSH_IJSG_SG_EEES6_PlJNSB_9not_fun_tI7is_trueIjEEEEEE10hipError_tPvRmT3_T4_T5_T6_T7_T9_mT8_P12ihipStream_tbDpT10_ENKUlT_T0_E_clISt17integral_constantIbLb0EES1B_EEDaS16_S17_EUlS16_E_NS1_11comp_targetILNS1_3genE3ELNS1_11target_archE908ELNS1_3gpuE7ELNS1_3repE0EEENS1_30default_config_static_selectorELNS0_4arch9wavefront6targetE0EEEvT1_,"axG",@progbits,_ZN7rocprim17ROCPRIM_400000_NS6detail17trampoline_kernelINS0_14default_configENS1_25partition_config_selectorILNS1_17partition_subalgoE6EjNS0_10empty_typeEbEEZZNS1_14partition_implILS5_6ELb0ES3_mN6thrust23THRUST_200600_302600_NS6detail15normal_iteratorINSA_10device_ptrIjEEEEPS6_SG_NS0_5tupleIJNSA_16discard_iteratorINSA_11use_defaultEEES6_EEENSH_IJSG_SG_EEES6_PlJNSB_9not_fun_tI7is_trueIjEEEEEE10hipError_tPvRmT3_T4_T5_T6_T7_T9_mT8_P12ihipStream_tbDpT10_ENKUlT_T0_E_clISt17integral_constantIbLb0EES1B_EEDaS16_S17_EUlS16_E_NS1_11comp_targetILNS1_3genE3ELNS1_11target_archE908ELNS1_3gpuE7ELNS1_3repE0EEENS1_30default_config_static_selectorELNS0_4arch9wavefront6targetE0EEEvT1_,comdat
	.protected	_ZN7rocprim17ROCPRIM_400000_NS6detail17trampoline_kernelINS0_14default_configENS1_25partition_config_selectorILNS1_17partition_subalgoE6EjNS0_10empty_typeEbEEZZNS1_14partition_implILS5_6ELb0ES3_mN6thrust23THRUST_200600_302600_NS6detail15normal_iteratorINSA_10device_ptrIjEEEEPS6_SG_NS0_5tupleIJNSA_16discard_iteratorINSA_11use_defaultEEES6_EEENSH_IJSG_SG_EEES6_PlJNSB_9not_fun_tI7is_trueIjEEEEEE10hipError_tPvRmT3_T4_T5_T6_T7_T9_mT8_P12ihipStream_tbDpT10_ENKUlT_T0_E_clISt17integral_constantIbLb0EES1B_EEDaS16_S17_EUlS16_E_NS1_11comp_targetILNS1_3genE3ELNS1_11target_archE908ELNS1_3gpuE7ELNS1_3repE0EEENS1_30default_config_static_selectorELNS0_4arch9wavefront6targetE0EEEvT1_ ; -- Begin function _ZN7rocprim17ROCPRIM_400000_NS6detail17trampoline_kernelINS0_14default_configENS1_25partition_config_selectorILNS1_17partition_subalgoE6EjNS0_10empty_typeEbEEZZNS1_14partition_implILS5_6ELb0ES3_mN6thrust23THRUST_200600_302600_NS6detail15normal_iteratorINSA_10device_ptrIjEEEEPS6_SG_NS0_5tupleIJNSA_16discard_iteratorINSA_11use_defaultEEES6_EEENSH_IJSG_SG_EEES6_PlJNSB_9not_fun_tI7is_trueIjEEEEEE10hipError_tPvRmT3_T4_T5_T6_T7_T9_mT8_P12ihipStream_tbDpT10_ENKUlT_T0_E_clISt17integral_constantIbLb0EES1B_EEDaS16_S17_EUlS16_E_NS1_11comp_targetILNS1_3genE3ELNS1_11target_archE908ELNS1_3gpuE7ELNS1_3repE0EEENS1_30default_config_static_selectorELNS0_4arch9wavefront6targetE0EEEvT1_
	.globl	_ZN7rocprim17ROCPRIM_400000_NS6detail17trampoline_kernelINS0_14default_configENS1_25partition_config_selectorILNS1_17partition_subalgoE6EjNS0_10empty_typeEbEEZZNS1_14partition_implILS5_6ELb0ES3_mN6thrust23THRUST_200600_302600_NS6detail15normal_iteratorINSA_10device_ptrIjEEEEPS6_SG_NS0_5tupleIJNSA_16discard_iteratorINSA_11use_defaultEEES6_EEENSH_IJSG_SG_EEES6_PlJNSB_9not_fun_tI7is_trueIjEEEEEE10hipError_tPvRmT3_T4_T5_T6_T7_T9_mT8_P12ihipStream_tbDpT10_ENKUlT_T0_E_clISt17integral_constantIbLb0EES1B_EEDaS16_S17_EUlS16_E_NS1_11comp_targetILNS1_3genE3ELNS1_11target_archE908ELNS1_3gpuE7ELNS1_3repE0EEENS1_30default_config_static_selectorELNS0_4arch9wavefront6targetE0EEEvT1_
	.p2align	8
	.type	_ZN7rocprim17ROCPRIM_400000_NS6detail17trampoline_kernelINS0_14default_configENS1_25partition_config_selectorILNS1_17partition_subalgoE6EjNS0_10empty_typeEbEEZZNS1_14partition_implILS5_6ELb0ES3_mN6thrust23THRUST_200600_302600_NS6detail15normal_iteratorINSA_10device_ptrIjEEEEPS6_SG_NS0_5tupleIJNSA_16discard_iteratorINSA_11use_defaultEEES6_EEENSH_IJSG_SG_EEES6_PlJNSB_9not_fun_tI7is_trueIjEEEEEE10hipError_tPvRmT3_T4_T5_T6_T7_T9_mT8_P12ihipStream_tbDpT10_ENKUlT_T0_E_clISt17integral_constantIbLb0EES1B_EEDaS16_S17_EUlS16_E_NS1_11comp_targetILNS1_3genE3ELNS1_11target_archE908ELNS1_3gpuE7ELNS1_3repE0EEENS1_30default_config_static_selectorELNS0_4arch9wavefront6targetE0EEEvT1_,@function
_ZN7rocprim17ROCPRIM_400000_NS6detail17trampoline_kernelINS0_14default_configENS1_25partition_config_selectorILNS1_17partition_subalgoE6EjNS0_10empty_typeEbEEZZNS1_14partition_implILS5_6ELb0ES3_mN6thrust23THRUST_200600_302600_NS6detail15normal_iteratorINSA_10device_ptrIjEEEEPS6_SG_NS0_5tupleIJNSA_16discard_iteratorINSA_11use_defaultEEES6_EEENSH_IJSG_SG_EEES6_PlJNSB_9not_fun_tI7is_trueIjEEEEEE10hipError_tPvRmT3_T4_T5_T6_T7_T9_mT8_P12ihipStream_tbDpT10_ENKUlT_T0_E_clISt17integral_constantIbLb0EES1B_EEDaS16_S17_EUlS16_E_NS1_11comp_targetILNS1_3genE3ELNS1_11target_archE908ELNS1_3gpuE7ELNS1_3repE0EEENS1_30default_config_static_selectorELNS0_4arch9wavefront6targetE0EEEvT1_: ; @_ZN7rocprim17ROCPRIM_400000_NS6detail17trampoline_kernelINS0_14default_configENS1_25partition_config_selectorILNS1_17partition_subalgoE6EjNS0_10empty_typeEbEEZZNS1_14partition_implILS5_6ELb0ES3_mN6thrust23THRUST_200600_302600_NS6detail15normal_iteratorINSA_10device_ptrIjEEEEPS6_SG_NS0_5tupleIJNSA_16discard_iteratorINSA_11use_defaultEEES6_EEENSH_IJSG_SG_EEES6_PlJNSB_9not_fun_tI7is_trueIjEEEEEE10hipError_tPvRmT3_T4_T5_T6_T7_T9_mT8_P12ihipStream_tbDpT10_ENKUlT_T0_E_clISt17integral_constantIbLb0EES1B_EEDaS16_S17_EUlS16_E_NS1_11comp_targetILNS1_3genE3ELNS1_11target_archE908ELNS1_3gpuE7ELNS1_3repE0EEENS1_30default_config_static_selectorELNS0_4arch9wavefront6targetE0EEEvT1_
; %bb.0:
	.section	.rodata,"a",@progbits
	.p2align	6, 0x0
	.amdhsa_kernel _ZN7rocprim17ROCPRIM_400000_NS6detail17trampoline_kernelINS0_14default_configENS1_25partition_config_selectorILNS1_17partition_subalgoE6EjNS0_10empty_typeEbEEZZNS1_14partition_implILS5_6ELb0ES3_mN6thrust23THRUST_200600_302600_NS6detail15normal_iteratorINSA_10device_ptrIjEEEEPS6_SG_NS0_5tupleIJNSA_16discard_iteratorINSA_11use_defaultEEES6_EEENSH_IJSG_SG_EEES6_PlJNSB_9not_fun_tI7is_trueIjEEEEEE10hipError_tPvRmT3_T4_T5_T6_T7_T9_mT8_P12ihipStream_tbDpT10_ENKUlT_T0_E_clISt17integral_constantIbLb0EES1B_EEDaS16_S17_EUlS16_E_NS1_11comp_targetILNS1_3genE3ELNS1_11target_archE908ELNS1_3gpuE7ELNS1_3repE0EEENS1_30default_config_static_selectorELNS0_4arch9wavefront6targetE0EEEvT1_
		.amdhsa_group_segment_fixed_size 0
		.amdhsa_private_segment_fixed_size 0
		.amdhsa_kernarg_size 120
		.amdhsa_user_sgpr_count 2
		.amdhsa_user_sgpr_dispatch_ptr 0
		.amdhsa_user_sgpr_queue_ptr 0
		.amdhsa_user_sgpr_kernarg_segment_ptr 1
		.amdhsa_user_sgpr_dispatch_id 0
		.amdhsa_user_sgpr_private_segment_size 0
		.amdhsa_wavefront_size32 1
		.amdhsa_uses_dynamic_stack 0
		.amdhsa_enable_private_segment 0
		.amdhsa_system_sgpr_workgroup_id_x 1
		.amdhsa_system_sgpr_workgroup_id_y 0
		.amdhsa_system_sgpr_workgroup_id_z 0
		.amdhsa_system_sgpr_workgroup_info 0
		.amdhsa_system_vgpr_workitem_id 0
		.amdhsa_next_free_vgpr 1
		.amdhsa_next_free_sgpr 1
		.amdhsa_reserve_vcc 0
		.amdhsa_float_round_mode_32 0
		.amdhsa_float_round_mode_16_64 0
		.amdhsa_float_denorm_mode_32 3
		.amdhsa_float_denorm_mode_16_64 3
		.amdhsa_fp16_overflow 0
		.amdhsa_workgroup_processor_mode 1
		.amdhsa_memory_ordered 1
		.amdhsa_forward_progress 1
		.amdhsa_inst_pref_size 0
		.amdhsa_round_robin_scheduling 0
		.amdhsa_exception_fp_ieee_invalid_op 0
		.amdhsa_exception_fp_denorm_src 0
		.amdhsa_exception_fp_ieee_div_zero 0
		.amdhsa_exception_fp_ieee_overflow 0
		.amdhsa_exception_fp_ieee_underflow 0
		.amdhsa_exception_fp_ieee_inexact 0
		.amdhsa_exception_int_div_zero 0
	.end_amdhsa_kernel
	.section	.text._ZN7rocprim17ROCPRIM_400000_NS6detail17trampoline_kernelINS0_14default_configENS1_25partition_config_selectorILNS1_17partition_subalgoE6EjNS0_10empty_typeEbEEZZNS1_14partition_implILS5_6ELb0ES3_mN6thrust23THRUST_200600_302600_NS6detail15normal_iteratorINSA_10device_ptrIjEEEEPS6_SG_NS0_5tupleIJNSA_16discard_iteratorINSA_11use_defaultEEES6_EEENSH_IJSG_SG_EEES6_PlJNSB_9not_fun_tI7is_trueIjEEEEEE10hipError_tPvRmT3_T4_T5_T6_T7_T9_mT8_P12ihipStream_tbDpT10_ENKUlT_T0_E_clISt17integral_constantIbLb0EES1B_EEDaS16_S17_EUlS16_E_NS1_11comp_targetILNS1_3genE3ELNS1_11target_archE908ELNS1_3gpuE7ELNS1_3repE0EEENS1_30default_config_static_selectorELNS0_4arch9wavefront6targetE0EEEvT1_,"axG",@progbits,_ZN7rocprim17ROCPRIM_400000_NS6detail17trampoline_kernelINS0_14default_configENS1_25partition_config_selectorILNS1_17partition_subalgoE6EjNS0_10empty_typeEbEEZZNS1_14partition_implILS5_6ELb0ES3_mN6thrust23THRUST_200600_302600_NS6detail15normal_iteratorINSA_10device_ptrIjEEEEPS6_SG_NS0_5tupleIJNSA_16discard_iteratorINSA_11use_defaultEEES6_EEENSH_IJSG_SG_EEES6_PlJNSB_9not_fun_tI7is_trueIjEEEEEE10hipError_tPvRmT3_T4_T5_T6_T7_T9_mT8_P12ihipStream_tbDpT10_ENKUlT_T0_E_clISt17integral_constantIbLb0EES1B_EEDaS16_S17_EUlS16_E_NS1_11comp_targetILNS1_3genE3ELNS1_11target_archE908ELNS1_3gpuE7ELNS1_3repE0EEENS1_30default_config_static_selectorELNS0_4arch9wavefront6targetE0EEEvT1_,comdat
.Lfunc_end2176:
	.size	_ZN7rocprim17ROCPRIM_400000_NS6detail17trampoline_kernelINS0_14default_configENS1_25partition_config_selectorILNS1_17partition_subalgoE6EjNS0_10empty_typeEbEEZZNS1_14partition_implILS5_6ELb0ES3_mN6thrust23THRUST_200600_302600_NS6detail15normal_iteratorINSA_10device_ptrIjEEEEPS6_SG_NS0_5tupleIJNSA_16discard_iteratorINSA_11use_defaultEEES6_EEENSH_IJSG_SG_EEES6_PlJNSB_9not_fun_tI7is_trueIjEEEEEE10hipError_tPvRmT3_T4_T5_T6_T7_T9_mT8_P12ihipStream_tbDpT10_ENKUlT_T0_E_clISt17integral_constantIbLb0EES1B_EEDaS16_S17_EUlS16_E_NS1_11comp_targetILNS1_3genE3ELNS1_11target_archE908ELNS1_3gpuE7ELNS1_3repE0EEENS1_30default_config_static_selectorELNS0_4arch9wavefront6targetE0EEEvT1_, .Lfunc_end2176-_ZN7rocprim17ROCPRIM_400000_NS6detail17trampoline_kernelINS0_14default_configENS1_25partition_config_selectorILNS1_17partition_subalgoE6EjNS0_10empty_typeEbEEZZNS1_14partition_implILS5_6ELb0ES3_mN6thrust23THRUST_200600_302600_NS6detail15normal_iteratorINSA_10device_ptrIjEEEEPS6_SG_NS0_5tupleIJNSA_16discard_iteratorINSA_11use_defaultEEES6_EEENSH_IJSG_SG_EEES6_PlJNSB_9not_fun_tI7is_trueIjEEEEEE10hipError_tPvRmT3_T4_T5_T6_T7_T9_mT8_P12ihipStream_tbDpT10_ENKUlT_T0_E_clISt17integral_constantIbLb0EES1B_EEDaS16_S17_EUlS16_E_NS1_11comp_targetILNS1_3genE3ELNS1_11target_archE908ELNS1_3gpuE7ELNS1_3repE0EEENS1_30default_config_static_selectorELNS0_4arch9wavefront6targetE0EEEvT1_
                                        ; -- End function
	.set _ZN7rocprim17ROCPRIM_400000_NS6detail17trampoline_kernelINS0_14default_configENS1_25partition_config_selectorILNS1_17partition_subalgoE6EjNS0_10empty_typeEbEEZZNS1_14partition_implILS5_6ELb0ES3_mN6thrust23THRUST_200600_302600_NS6detail15normal_iteratorINSA_10device_ptrIjEEEEPS6_SG_NS0_5tupleIJNSA_16discard_iteratorINSA_11use_defaultEEES6_EEENSH_IJSG_SG_EEES6_PlJNSB_9not_fun_tI7is_trueIjEEEEEE10hipError_tPvRmT3_T4_T5_T6_T7_T9_mT8_P12ihipStream_tbDpT10_ENKUlT_T0_E_clISt17integral_constantIbLb0EES1B_EEDaS16_S17_EUlS16_E_NS1_11comp_targetILNS1_3genE3ELNS1_11target_archE908ELNS1_3gpuE7ELNS1_3repE0EEENS1_30default_config_static_selectorELNS0_4arch9wavefront6targetE0EEEvT1_.num_vgpr, 0
	.set _ZN7rocprim17ROCPRIM_400000_NS6detail17trampoline_kernelINS0_14default_configENS1_25partition_config_selectorILNS1_17partition_subalgoE6EjNS0_10empty_typeEbEEZZNS1_14partition_implILS5_6ELb0ES3_mN6thrust23THRUST_200600_302600_NS6detail15normal_iteratorINSA_10device_ptrIjEEEEPS6_SG_NS0_5tupleIJNSA_16discard_iteratorINSA_11use_defaultEEES6_EEENSH_IJSG_SG_EEES6_PlJNSB_9not_fun_tI7is_trueIjEEEEEE10hipError_tPvRmT3_T4_T5_T6_T7_T9_mT8_P12ihipStream_tbDpT10_ENKUlT_T0_E_clISt17integral_constantIbLb0EES1B_EEDaS16_S17_EUlS16_E_NS1_11comp_targetILNS1_3genE3ELNS1_11target_archE908ELNS1_3gpuE7ELNS1_3repE0EEENS1_30default_config_static_selectorELNS0_4arch9wavefront6targetE0EEEvT1_.num_agpr, 0
	.set _ZN7rocprim17ROCPRIM_400000_NS6detail17trampoline_kernelINS0_14default_configENS1_25partition_config_selectorILNS1_17partition_subalgoE6EjNS0_10empty_typeEbEEZZNS1_14partition_implILS5_6ELb0ES3_mN6thrust23THRUST_200600_302600_NS6detail15normal_iteratorINSA_10device_ptrIjEEEEPS6_SG_NS0_5tupleIJNSA_16discard_iteratorINSA_11use_defaultEEES6_EEENSH_IJSG_SG_EEES6_PlJNSB_9not_fun_tI7is_trueIjEEEEEE10hipError_tPvRmT3_T4_T5_T6_T7_T9_mT8_P12ihipStream_tbDpT10_ENKUlT_T0_E_clISt17integral_constantIbLb0EES1B_EEDaS16_S17_EUlS16_E_NS1_11comp_targetILNS1_3genE3ELNS1_11target_archE908ELNS1_3gpuE7ELNS1_3repE0EEENS1_30default_config_static_selectorELNS0_4arch9wavefront6targetE0EEEvT1_.numbered_sgpr, 0
	.set _ZN7rocprim17ROCPRIM_400000_NS6detail17trampoline_kernelINS0_14default_configENS1_25partition_config_selectorILNS1_17partition_subalgoE6EjNS0_10empty_typeEbEEZZNS1_14partition_implILS5_6ELb0ES3_mN6thrust23THRUST_200600_302600_NS6detail15normal_iteratorINSA_10device_ptrIjEEEEPS6_SG_NS0_5tupleIJNSA_16discard_iteratorINSA_11use_defaultEEES6_EEENSH_IJSG_SG_EEES6_PlJNSB_9not_fun_tI7is_trueIjEEEEEE10hipError_tPvRmT3_T4_T5_T6_T7_T9_mT8_P12ihipStream_tbDpT10_ENKUlT_T0_E_clISt17integral_constantIbLb0EES1B_EEDaS16_S17_EUlS16_E_NS1_11comp_targetILNS1_3genE3ELNS1_11target_archE908ELNS1_3gpuE7ELNS1_3repE0EEENS1_30default_config_static_selectorELNS0_4arch9wavefront6targetE0EEEvT1_.num_named_barrier, 0
	.set _ZN7rocprim17ROCPRIM_400000_NS6detail17trampoline_kernelINS0_14default_configENS1_25partition_config_selectorILNS1_17partition_subalgoE6EjNS0_10empty_typeEbEEZZNS1_14partition_implILS5_6ELb0ES3_mN6thrust23THRUST_200600_302600_NS6detail15normal_iteratorINSA_10device_ptrIjEEEEPS6_SG_NS0_5tupleIJNSA_16discard_iteratorINSA_11use_defaultEEES6_EEENSH_IJSG_SG_EEES6_PlJNSB_9not_fun_tI7is_trueIjEEEEEE10hipError_tPvRmT3_T4_T5_T6_T7_T9_mT8_P12ihipStream_tbDpT10_ENKUlT_T0_E_clISt17integral_constantIbLb0EES1B_EEDaS16_S17_EUlS16_E_NS1_11comp_targetILNS1_3genE3ELNS1_11target_archE908ELNS1_3gpuE7ELNS1_3repE0EEENS1_30default_config_static_selectorELNS0_4arch9wavefront6targetE0EEEvT1_.private_seg_size, 0
	.set _ZN7rocprim17ROCPRIM_400000_NS6detail17trampoline_kernelINS0_14default_configENS1_25partition_config_selectorILNS1_17partition_subalgoE6EjNS0_10empty_typeEbEEZZNS1_14partition_implILS5_6ELb0ES3_mN6thrust23THRUST_200600_302600_NS6detail15normal_iteratorINSA_10device_ptrIjEEEEPS6_SG_NS0_5tupleIJNSA_16discard_iteratorINSA_11use_defaultEEES6_EEENSH_IJSG_SG_EEES6_PlJNSB_9not_fun_tI7is_trueIjEEEEEE10hipError_tPvRmT3_T4_T5_T6_T7_T9_mT8_P12ihipStream_tbDpT10_ENKUlT_T0_E_clISt17integral_constantIbLb0EES1B_EEDaS16_S17_EUlS16_E_NS1_11comp_targetILNS1_3genE3ELNS1_11target_archE908ELNS1_3gpuE7ELNS1_3repE0EEENS1_30default_config_static_selectorELNS0_4arch9wavefront6targetE0EEEvT1_.uses_vcc, 0
	.set _ZN7rocprim17ROCPRIM_400000_NS6detail17trampoline_kernelINS0_14default_configENS1_25partition_config_selectorILNS1_17partition_subalgoE6EjNS0_10empty_typeEbEEZZNS1_14partition_implILS5_6ELb0ES3_mN6thrust23THRUST_200600_302600_NS6detail15normal_iteratorINSA_10device_ptrIjEEEEPS6_SG_NS0_5tupleIJNSA_16discard_iteratorINSA_11use_defaultEEES6_EEENSH_IJSG_SG_EEES6_PlJNSB_9not_fun_tI7is_trueIjEEEEEE10hipError_tPvRmT3_T4_T5_T6_T7_T9_mT8_P12ihipStream_tbDpT10_ENKUlT_T0_E_clISt17integral_constantIbLb0EES1B_EEDaS16_S17_EUlS16_E_NS1_11comp_targetILNS1_3genE3ELNS1_11target_archE908ELNS1_3gpuE7ELNS1_3repE0EEENS1_30default_config_static_selectorELNS0_4arch9wavefront6targetE0EEEvT1_.uses_flat_scratch, 0
	.set _ZN7rocprim17ROCPRIM_400000_NS6detail17trampoline_kernelINS0_14default_configENS1_25partition_config_selectorILNS1_17partition_subalgoE6EjNS0_10empty_typeEbEEZZNS1_14partition_implILS5_6ELb0ES3_mN6thrust23THRUST_200600_302600_NS6detail15normal_iteratorINSA_10device_ptrIjEEEEPS6_SG_NS0_5tupleIJNSA_16discard_iteratorINSA_11use_defaultEEES6_EEENSH_IJSG_SG_EEES6_PlJNSB_9not_fun_tI7is_trueIjEEEEEE10hipError_tPvRmT3_T4_T5_T6_T7_T9_mT8_P12ihipStream_tbDpT10_ENKUlT_T0_E_clISt17integral_constantIbLb0EES1B_EEDaS16_S17_EUlS16_E_NS1_11comp_targetILNS1_3genE3ELNS1_11target_archE908ELNS1_3gpuE7ELNS1_3repE0EEENS1_30default_config_static_selectorELNS0_4arch9wavefront6targetE0EEEvT1_.has_dyn_sized_stack, 0
	.set _ZN7rocprim17ROCPRIM_400000_NS6detail17trampoline_kernelINS0_14default_configENS1_25partition_config_selectorILNS1_17partition_subalgoE6EjNS0_10empty_typeEbEEZZNS1_14partition_implILS5_6ELb0ES3_mN6thrust23THRUST_200600_302600_NS6detail15normal_iteratorINSA_10device_ptrIjEEEEPS6_SG_NS0_5tupleIJNSA_16discard_iteratorINSA_11use_defaultEEES6_EEENSH_IJSG_SG_EEES6_PlJNSB_9not_fun_tI7is_trueIjEEEEEE10hipError_tPvRmT3_T4_T5_T6_T7_T9_mT8_P12ihipStream_tbDpT10_ENKUlT_T0_E_clISt17integral_constantIbLb0EES1B_EEDaS16_S17_EUlS16_E_NS1_11comp_targetILNS1_3genE3ELNS1_11target_archE908ELNS1_3gpuE7ELNS1_3repE0EEENS1_30default_config_static_selectorELNS0_4arch9wavefront6targetE0EEEvT1_.has_recursion, 0
	.set _ZN7rocprim17ROCPRIM_400000_NS6detail17trampoline_kernelINS0_14default_configENS1_25partition_config_selectorILNS1_17partition_subalgoE6EjNS0_10empty_typeEbEEZZNS1_14partition_implILS5_6ELb0ES3_mN6thrust23THRUST_200600_302600_NS6detail15normal_iteratorINSA_10device_ptrIjEEEEPS6_SG_NS0_5tupleIJNSA_16discard_iteratorINSA_11use_defaultEEES6_EEENSH_IJSG_SG_EEES6_PlJNSB_9not_fun_tI7is_trueIjEEEEEE10hipError_tPvRmT3_T4_T5_T6_T7_T9_mT8_P12ihipStream_tbDpT10_ENKUlT_T0_E_clISt17integral_constantIbLb0EES1B_EEDaS16_S17_EUlS16_E_NS1_11comp_targetILNS1_3genE3ELNS1_11target_archE908ELNS1_3gpuE7ELNS1_3repE0EEENS1_30default_config_static_selectorELNS0_4arch9wavefront6targetE0EEEvT1_.has_indirect_call, 0
	.section	.AMDGPU.csdata,"",@progbits
; Kernel info:
; codeLenInByte = 0
; TotalNumSgprs: 0
; NumVgprs: 0
; ScratchSize: 0
; MemoryBound: 0
; FloatMode: 240
; IeeeMode: 1
; LDSByteSize: 0 bytes/workgroup (compile time only)
; SGPRBlocks: 0
; VGPRBlocks: 0
; NumSGPRsForWavesPerEU: 1
; NumVGPRsForWavesPerEU: 1
; Occupancy: 16
; WaveLimiterHint : 0
; COMPUTE_PGM_RSRC2:SCRATCH_EN: 0
; COMPUTE_PGM_RSRC2:USER_SGPR: 2
; COMPUTE_PGM_RSRC2:TRAP_HANDLER: 0
; COMPUTE_PGM_RSRC2:TGID_X_EN: 1
; COMPUTE_PGM_RSRC2:TGID_Y_EN: 0
; COMPUTE_PGM_RSRC2:TGID_Z_EN: 0
; COMPUTE_PGM_RSRC2:TIDIG_COMP_CNT: 0
	.section	.text._ZN7rocprim17ROCPRIM_400000_NS6detail17trampoline_kernelINS0_14default_configENS1_25partition_config_selectorILNS1_17partition_subalgoE6EjNS0_10empty_typeEbEEZZNS1_14partition_implILS5_6ELb0ES3_mN6thrust23THRUST_200600_302600_NS6detail15normal_iteratorINSA_10device_ptrIjEEEEPS6_SG_NS0_5tupleIJNSA_16discard_iteratorINSA_11use_defaultEEES6_EEENSH_IJSG_SG_EEES6_PlJNSB_9not_fun_tI7is_trueIjEEEEEE10hipError_tPvRmT3_T4_T5_T6_T7_T9_mT8_P12ihipStream_tbDpT10_ENKUlT_T0_E_clISt17integral_constantIbLb0EES1B_EEDaS16_S17_EUlS16_E_NS1_11comp_targetILNS1_3genE2ELNS1_11target_archE906ELNS1_3gpuE6ELNS1_3repE0EEENS1_30default_config_static_selectorELNS0_4arch9wavefront6targetE0EEEvT1_,"axG",@progbits,_ZN7rocprim17ROCPRIM_400000_NS6detail17trampoline_kernelINS0_14default_configENS1_25partition_config_selectorILNS1_17partition_subalgoE6EjNS0_10empty_typeEbEEZZNS1_14partition_implILS5_6ELb0ES3_mN6thrust23THRUST_200600_302600_NS6detail15normal_iteratorINSA_10device_ptrIjEEEEPS6_SG_NS0_5tupleIJNSA_16discard_iteratorINSA_11use_defaultEEES6_EEENSH_IJSG_SG_EEES6_PlJNSB_9not_fun_tI7is_trueIjEEEEEE10hipError_tPvRmT3_T4_T5_T6_T7_T9_mT8_P12ihipStream_tbDpT10_ENKUlT_T0_E_clISt17integral_constantIbLb0EES1B_EEDaS16_S17_EUlS16_E_NS1_11comp_targetILNS1_3genE2ELNS1_11target_archE906ELNS1_3gpuE6ELNS1_3repE0EEENS1_30default_config_static_selectorELNS0_4arch9wavefront6targetE0EEEvT1_,comdat
	.protected	_ZN7rocprim17ROCPRIM_400000_NS6detail17trampoline_kernelINS0_14default_configENS1_25partition_config_selectorILNS1_17partition_subalgoE6EjNS0_10empty_typeEbEEZZNS1_14partition_implILS5_6ELb0ES3_mN6thrust23THRUST_200600_302600_NS6detail15normal_iteratorINSA_10device_ptrIjEEEEPS6_SG_NS0_5tupleIJNSA_16discard_iteratorINSA_11use_defaultEEES6_EEENSH_IJSG_SG_EEES6_PlJNSB_9not_fun_tI7is_trueIjEEEEEE10hipError_tPvRmT3_T4_T5_T6_T7_T9_mT8_P12ihipStream_tbDpT10_ENKUlT_T0_E_clISt17integral_constantIbLb0EES1B_EEDaS16_S17_EUlS16_E_NS1_11comp_targetILNS1_3genE2ELNS1_11target_archE906ELNS1_3gpuE6ELNS1_3repE0EEENS1_30default_config_static_selectorELNS0_4arch9wavefront6targetE0EEEvT1_ ; -- Begin function _ZN7rocprim17ROCPRIM_400000_NS6detail17trampoline_kernelINS0_14default_configENS1_25partition_config_selectorILNS1_17partition_subalgoE6EjNS0_10empty_typeEbEEZZNS1_14partition_implILS5_6ELb0ES3_mN6thrust23THRUST_200600_302600_NS6detail15normal_iteratorINSA_10device_ptrIjEEEEPS6_SG_NS0_5tupleIJNSA_16discard_iteratorINSA_11use_defaultEEES6_EEENSH_IJSG_SG_EEES6_PlJNSB_9not_fun_tI7is_trueIjEEEEEE10hipError_tPvRmT3_T4_T5_T6_T7_T9_mT8_P12ihipStream_tbDpT10_ENKUlT_T0_E_clISt17integral_constantIbLb0EES1B_EEDaS16_S17_EUlS16_E_NS1_11comp_targetILNS1_3genE2ELNS1_11target_archE906ELNS1_3gpuE6ELNS1_3repE0EEENS1_30default_config_static_selectorELNS0_4arch9wavefront6targetE0EEEvT1_
	.globl	_ZN7rocprim17ROCPRIM_400000_NS6detail17trampoline_kernelINS0_14default_configENS1_25partition_config_selectorILNS1_17partition_subalgoE6EjNS0_10empty_typeEbEEZZNS1_14partition_implILS5_6ELb0ES3_mN6thrust23THRUST_200600_302600_NS6detail15normal_iteratorINSA_10device_ptrIjEEEEPS6_SG_NS0_5tupleIJNSA_16discard_iteratorINSA_11use_defaultEEES6_EEENSH_IJSG_SG_EEES6_PlJNSB_9not_fun_tI7is_trueIjEEEEEE10hipError_tPvRmT3_T4_T5_T6_T7_T9_mT8_P12ihipStream_tbDpT10_ENKUlT_T0_E_clISt17integral_constantIbLb0EES1B_EEDaS16_S17_EUlS16_E_NS1_11comp_targetILNS1_3genE2ELNS1_11target_archE906ELNS1_3gpuE6ELNS1_3repE0EEENS1_30default_config_static_selectorELNS0_4arch9wavefront6targetE0EEEvT1_
	.p2align	8
	.type	_ZN7rocprim17ROCPRIM_400000_NS6detail17trampoline_kernelINS0_14default_configENS1_25partition_config_selectorILNS1_17partition_subalgoE6EjNS0_10empty_typeEbEEZZNS1_14partition_implILS5_6ELb0ES3_mN6thrust23THRUST_200600_302600_NS6detail15normal_iteratorINSA_10device_ptrIjEEEEPS6_SG_NS0_5tupleIJNSA_16discard_iteratorINSA_11use_defaultEEES6_EEENSH_IJSG_SG_EEES6_PlJNSB_9not_fun_tI7is_trueIjEEEEEE10hipError_tPvRmT3_T4_T5_T6_T7_T9_mT8_P12ihipStream_tbDpT10_ENKUlT_T0_E_clISt17integral_constantIbLb0EES1B_EEDaS16_S17_EUlS16_E_NS1_11comp_targetILNS1_3genE2ELNS1_11target_archE906ELNS1_3gpuE6ELNS1_3repE0EEENS1_30default_config_static_selectorELNS0_4arch9wavefront6targetE0EEEvT1_,@function
_ZN7rocprim17ROCPRIM_400000_NS6detail17trampoline_kernelINS0_14default_configENS1_25partition_config_selectorILNS1_17partition_subalgoE6EjNS0_10empty_typeEbEEZZNS1_14partition_implILS5_6ELb0ES3_mN6thrust23THRUST_200600_302600_NS6detail15normal_iteratorINSA_10device_ptrIjEEEEPS6_SG_NS0_5tupleIJNSA_16discard_iteratorINSA_11use_defaultEEES6_EEENSH_IJSG_SG_EEES6_PlJNSB_9not_fun_tI7is_trueIjEEEEEE10hipError_tPvRmT3_T4_T5_T6_T7_T9_mT8_P12ihipStream_tbDpT10_ENKUlT_T0_E_clISt17integral_constantIbLb0EES1B_EEDaS16_S17_EUlS16_E_NS1_11comp_targetILNS1_3genE2ELNS1_11target_archE906ELNS1_3gpuE6ELNS1_3repE0EEENS1_30default_config_static_selectorELNS0_4arch9wavefront6targetE0EEEvT1_: ; @_ZN7rocprim17ROCPRIM_400000_NS6detail17trampoline_kernelINS0_14default_configENS1_25partition_config_selectorILNS1_17partition_subalgoE6EjNS0_10empty_typeEbEEZZNS1_14partition_implILS5_6ELb0ES3_mN6thrust23THRUST_200600_302600_NS6detail15normal_iteratorINSA_10device_ptrIjEEEEPS6_SG_NS0_5tupleIJNSA_16discard_iteratorINSA_11use_defaultEEES6_EEENSH_IJSG_SG_EEES6_PlJNSB_9not_fun_tI7is_trueIjEEEEEE10hipError_tPvRmT3_T4_T5_T6_T7_T9_mT8_P12ihipStream_tbDpT10_ENKUlT_T0_E_clISt17integral_constantIbLb0EES1B_EEDaS16_S17_EUlS16_E_NS1_11comp_targetILNS1_3genE2ELNS1_11target_archE906ELNS1_3gpuE6ELNS1_3repE0EEENS1_30default_config_static_selectorELNS0_4arch9wavefront6targetE0EEEvT1_
; %bb.0:
	.section	.rodata,"a",@progbits
	.p2align	6, 0x0
	.amdhsa_kernel _ZN7rocprim17ROCPRIM_400000_NS6detail17trampoline_kernelINS0_14default_configENS1_25partition_config_selectorILNS1_17partition_subalgoE6EjNS0_10empty_typeEbEEZZNS1_14partition_implILS5_6ELb0ES3_mN6thrust23THRUST_200600_302600_NS6detail15normal_iteratorINSA_10device_ptrIjEEEEPS6_SG_NS0_5tupleIJNSA_16discard_iteratorINSA_11use_defaultEEES6_EEENSH_IJSG_SG_EEES6_PlJNSB_9not_fun_tI7is_trueIjEEEEEE10hipError_tPvRmT3_T4_T5_T6_T7_T9_mT8_P12ihipStream_tbDpT10_ENKUlT_T0_E_clISt17integral_constantIbLb0EES1B_EEDaS16_S17_EUlS16_E_NS1_11comp_targetILNS1_3genE2ELNS1_11target_archE906ELNS1_3gpuE6ELNS1_3repE0EEENS1_30default_config_static_selectorELNS0_4arch9wavefront6targetE0EEEvT1_
		.amdhsa_group_segment_fixed_size 0
		.amdhsa_private_segment_fixed_size 0
		.amdhsa_kernarg_size 120
		.amdhsa_user_sgpr_count 2
		.amdhsa_user_sgpr_dispatch_ptr 0
		.amdhsa_user_sgpr_queue_ptr 0
		.amdhsa_user_sgpr_kernarg_segment_ptr 1
		.amdhsa_user_sgpr_dispatch_id 0
		.amdhsa_user_sgpr_private_segment_size 0
		.amdhsa_wavefront_size32 1
		.amdhsa_uses_dynamic_stack 0
		.amdhsa_enable_private_segment 0
		.amdhsa_system_sgpr_workgroup_id_x 1
		.amdhsa_system_sgpr_workgroup_id_y 0
		.amdhsa_system_sgpr_workgroup_id_z 0
		.amdhsa_system_sgpr_workgroup_info 0
		.amdhsa_system_vgpr_workitem_id 0
		.amdhsa_next_free_vgpr 1
		.amdhsa_next_free_sgpr 1
		.amdhsa_reserve_vcc 0
		.amdhsa_float_round_mode_32 0
		.amdhsa_float_round_mode_16_64 0
		.amdhsa_float_denorm_mode_32 3
		.amdhsa_float_denorm_mode_16_64 3
		.amdhsa_fp16_overflow 0
		.amdhsa_workgroup_processor_mode 1
		.amdhsa_memory_ordered 1
		.amdhsa_forward_progress 1
		.amdhsa_inst_pref_size 0
		.amdhsa_round_robin_scheduling 0
		.amdhsa_exception_fp_ieee_invalid_op 0
		.amdhsa_exception_fp_denorm_src 0
		.amdhsa_exception_fp_ieee_div_zero 0
		.amdhsa_exception_fp_ieee_overflow 0
		.amdhsa_exception_fp_ieee_underflow 0
		.amdhsa_exception_fp_ieee_inexact 0
		.amdhsa_exception_int_div_zero 0
	.end_amdhsa_kernel
	.section	.text._ZN7rocprim17ROCPRIM_400000_NS6detail17trampoline_kernelINS0_14default_configENS1_25partition_config_selectorILNS1_17partition_subalgoE6EjNS0_10empty_typeEbEEZZNS1_14partition_implILS5_6ELb0ES3_mN6thrust23THRUST_200600_302600_NS6detail15normal_iteratorINSA_10device_ptrIjEEEEPS6_SG_NS0_5tupleIJNSA_16discard_iteratorINSA_11use_defaultEEES6_EEENSH_IJSG_SG_EEES6_PlJNSB_9not_fun_tI7is_trueIjEEEEEE10hipError_tPvRmT3_T4_T5_T6_T7_T9_mT8_P12ihipStream_tbDpT10_ENKUlT_T0_E_clISt17integral_constantIbLb0EES1B_EEDaS16_S17_EUlS16_E_NS1_11comp_targetILNS1_3genE2ELNS1_11target_archE906ELNS1_3gpuE6ELNS1_3repE0EEENS1_30default_config_static_selectorELNS0_4arch9wavefront6targetE0EEEvT1_,"axG",@progbits,_ZN7rocprim17ROCPRIM_400000_NS6detail17trampoline_kernelINS0_14default_configENS1_25partition_config_selectorILNS1_17partition_subalgoE6EjNS0_10empty_typeEbEEZZNS1_14partition_implILS5_6ELb0ES3_mN6thrust23THRUST_200600_302600_NS6detail15normal_iteratorINSA_10device_ptrIjEEEEPS6_SG_NS0_5tupleIJNSA_16discard_iteratorINSA_11use_defaultEEES6_EEENSH_IJSG_SG_EEES6_PlJNSB_9not_fun_tI7is_trueIjEEEEEE10hipError_tPvRmT3_T4_T5_T6_T7_T9_mT8_P12ihipStream_tbDpT10_ENKUlT_T0_E_clISt17integral_constantIbLb0EES1B_EEDaS16_S17_EUlS16_E_NS1_11comp_targetILNS1_3genE2ELNS1_11target_archE906ELNS1_3gpuE6ELNS1_3repE0EEENS1_30default_config_static_selectorELNS0_4arch9wavefront6targetE0EEEvT1_,comdat
.Lfunc_end2177:
	.size	_ZN7rocprim17ROCPRIM_400000_NS6detail17trampoline_kernelINS0_14default_configENS1_25partition_config_selectorILNS1_17partition_subalgoE6EjNS0_10empty_typeEbEEZZNS1_14partition_implILS5_6ELb0ES3_mN6thrust23THRUST_200600_302600_NS6detail15normal_iteratorINSA_10device_ptrIjEEEEPS6_SG_NS0_5tupleIJNSA_16discard_iteratorINSA_11use_defaultEEES6_EEENSH_IJSG_SG_EEES6_PlJNSB_9not_fun_tI7is_trueIjEEEEEE10hipError_tPvRmT3_T4_T5_T6_T7_T9_mT8_P12ihipStream_tbDpT10_ENKUlT_T0_E_clISt17integral_constantIbLb0EES1B_EEDaS16_S17_EUlS16_E_NS1_11comp_targetILNS1_3genE2ELNS1_11target_archE906ELNS1_3gpuE6ELNS1_3repE0EEENS1_30default_config_static_selectorELNS0_4arch9wavefront6targetE0EEEvT1_, .Lfunc_end2177-_ZN7rocprim17ROCPRIM_400000_NS6detail17trampoline_kernelINS0_14default_configENS1_25partition_config_selectorILNS1_17partition_subalgoE6EjNS0_10empty_typeEbEEZZNS1_14partition_implILS5_6ELb0ES3_mN6thrust23THRUST_200600_302600_NS6detail15normal_iteratorINSA_10device_ptrIjEEEEPS6_SG_NS0_5tupleIJNSA_16discard_iteratorINSA_11use_defaultEEES6_EEENSH_IJSG_SG_EEES6_PlJNSB_9not_fun_tI7is_trueIjEEEEEE10hipError_tPvRmT3_T4_T5_T6_T7_T9_mT8_P12ihipStream_tbDpT10_ENKUlT_T0_E_clISt17integral_constantIbLb0EES1B_EEDaS16_S17_EUlS16_E_NS1_11comp_targetILNS1_3genE2ELNS1_11target_archE906ELNS1_3gpuE6ELNS1_3repE0EEENS1_30default_config_static_selectorELNS0_4arch9wavefront6targetE0EEEvT1_
                                        ; -- End function
	.set _ZN7rocprim17ROCPRIM_400000_NS6detail17trampoline_kernelINS0_14default_configENS1_25partition_config_selectorILNS1_17partition_subalgoE6EjNS0_10empty_typeEbEEZZNS1_14partition_implILS5_6ELb0ES3_mN6thrust23THRUST_200600_302600_NS6detail15normal_iteratorINSA_10device_ptrIjEEEEPS6_SG_NS0_5tupleIJNSA_16discard_iteratorINSA_11use_defaultEEES6_EEENSH_IJSG_SG_EEES6_PlJNSB_9not_fun_tI7is_trueIjEEEEEE10hipError_tPvRmT3_T4_T5_T6_T7_T9_mT8_P12ihipStream_tbDpT10_ENKUlT_T0_E_clISt17integral_constantIbLb0EES1B_EEDaS16_S17_EUlS16_E_NS1_11comp_targetILNS1_3genE2ELNS1_11target_archE906ELNS1_3gpuE6ELNS1_3repE0EEENS1_30default_config_static_selectorELNS0_4arch9wavefront6targetE0EEEvT1_.num_vgpr, 0
	.set _ZN7rocprim17ROCPRIM_400000_NS6detail17trampoline_kernelINS0_14default_configENS1_25partition_config_selectorILNS1_17partition_subalgoE6EjNS0_10empty_typeEbEEZZNS1_14partition_implILS5_6ELb0ES3_mN6thrust23THRUST_200600_302600_NS6detail15normal_iteratorINSA_10device_ptrIjEEEEPS6_SG_NS0_5tupleIJNSA_16discard_iteratorINSA_11use_defaultEEES6_EEENSH_IJSG_SG_EEES6_PlJNSB_9not_fun_tI7is_trueIjEEEEEE10hipError_tPvRmT3_T4_T5_T6_T7_T9_mT8_P12ihipStream_tbDpT10_ENKUlT_T0_E_clISt17integral_constantIbLb0EES1B_EEDaS16_S17_EUlS16_E_NS1_11comp_targetILNS1_3genE2ELNS1_11target_archE906ELNS1_3gpuE6ELNS1_3repE0EEENS1_30default_config_static_selectorELNS0_4arch9wavefront6targetE0EEEvT1_.num_agpr, 0
	.set _ZN7rocprim17ROCPRIM_400000_NS6detail17trampoline_kernelINS0_14default_configENS1_25partition_config_selectorILNS1_17partition_subalgoE6EjNS0_10empty_typeEbEEZZNS1_14partition_implILS5_6ELb0ES3_mN6thrust23THRUST_200600_302600_NS6detail15normal_iteratorINSA_10device_ptrIjEEEEPS6_SG_NS0_5tupleIJNSA_16discard_iteratorINSA_11use_defaultEEES6_EEENSH_IJSG_SG_EEES6_PlJNSB_9not_fun_tI7is_trueIjEEEEEE10hipError_tPvRmT3_T4_T5_T6_T7_T9_mT8_P12ihipStream_tbDpT10_ENKUlT_T0_E_clISt17integral_constantIbLb0EES1B_EEDaS16_S17_EUlS16_E_NS1_11comp_targetILNS1_3genE2ELNS1_11target_archE906ELNS1_3gpuE6ELNS1_3repE0EEENS1_30default_config_static_selectorELNS0_4arch9wavefront6targetE0EEEvT1_.numbered_sgpr, 0
	.set _ZN7rocprim17ROCPRIM_400000_NS6detail17trampoline_kernelINS0_14default_configENS1_25partition_config_selectorILNS1_17partition_subalgoE6EjNS0_10empty_typeEbEEZZNS1_14partition_implILS5_6ELb0ES3_mN6thrust23THRUST_200600_302600_NS6detail15normal_iteratorINSA_10device_ptrIjEEEEPS6_SG_NS0_5tupleIJNSA_16discard_iteratorINSA_11use_defaultEEES6_EEENSH_IJSG_SG_EEES6_PlJNSB_9not_fun_tI7is_trueIjEEEEEE10hipError_tPvRmT3_T4_T5_T6_T7_T9_mT8_P12ihipStream_tbDpT10_ENKUlT_T0_E_clISt17integral_constantIbLb0EES1B_EEDaS16_S17_EUlS16_E_NS1_11comp_targetILNS1_3genE2ELNS1_11target_archE906ELNS1_3gpuE6ELNS1_3repE0EEENS1_30default_config_static_selectorELNS0_4arch9wavefront6targetE0EEEvT1_.num_named_barrier, 0
	.set _ZN7rocprim17ROCPRIM_400000_NS6detail17trampoline_kernelINS0_14default_configENS1_25partition_config_selectorILNS1_17partition_subalgoE6EjNS0_10empty_typeEbEEZZNS1_14partition_implILS5_6ELb0ES3_mN6thrust23THRUST_200600_302600_NS6detail15normal_iteratorINSA_10device_ptrIjEEEEPS6_SG_NS0_5tupleIJNSA_16discard_iteratorINSA_11use_defaultEEES6_EEENSH_IJSG_SG_EEES6_PlJNSB_9not_fun_tI7is_trueIjEEEEEE10hipError_tPvRmT3_T4_T5_T6_T7_T9_mT8_P12ihipStream_tbDpT10_ENKUlT_T0_E_clISt17integral_constantIbLb0EES1B_EEDaS16_S17_EUlS16_E_NS1_11comp_targetILNS1_3genE2ELNS1_11target_archE906ELNS1_3gpuE6ELNS1_3repE0EEENS1_30default_config_static_selectorELNS0_4arch9wavefront6targetE0EEEvT1_.private_seg_size, 0
	.set _ZN7rocprim17ROCPRIM_400000_NS6detail17trampoline_kernelINS0_14default_configENS1_25partition_config_selectorILNS1_17partition_subalgoE6EjNS0_10empty_typeEbEEZZNS1_14partition_implILS5_6ELb0ES3_mN6thrust23THRUST_200600_302600_NS6detail15normal_iteratorINSA_10device_ptrIjEEEEPS6_SG_NS0_5tupleIJNSA_16discard_iteratorINSA_11use_defaultEEES6_EEENSH_IJSG_SG_EEES6_PlJNSB_9not_fun_tI7is_trueIjEEEEEE10hipError_tPvRmT3_T4_T5_T6_T7_T9_mT8_P12ihipStream_tbDpT10_ENKUlT_T0_E_clISt17integral_constantIbLb0EES1B_EEDaS16_S17_EUlS16_E_NS1_11comp_targetILNS1_3genE2ELNS1_11target_archE906ELNS1_3gpuE6ELNS1_3repE0EEENS1_30default_config_static_selectorELNS0_4arch9wavefront6targetE0EEEvT1_.uses_vcc, 0
	.set _ZN7rocprim17ROCPRIM_400000_NS6detail17trampoline_kernelINS0_14default_configENS1_25partition_config_selectorILNS1_17partition_subalgoE6EjNS0_10empty_typeEbEEZZNS1_14partition_implILS5_6ELb0ES3_mN6thrust23THRUST_200600_302600_NS6detail15normal_iteratorINSA_10device_ptrIjEEEEPS6_SG_NS0_5tupleIJNSA_16discard_iteratorINSA_11use_defaultEEES6_EEENSH_IJSG_SG_EEES6_PlJNSB_9not_fun_tI7is_trueIjEEEEEE10hipError_tPvRmT3_T4_T5_T6_T7_T9_mT8_P12ihipStream_tbDpT10_ENKUlT_T0_E_clISt17integral_constantIbLb0EES1B_EEDaS16_S17_EUlS16_E_NS1_11comp_targetILNS1_3genE2ELNS1_11target_archE906ELNS1_3gpuE6ELNS1_3repE0EEENS1_30default_config_static_selectorELNS0_4arch9wavefront6targetE0EEEvT1_.uses_flat_scratch, 0
	.set _ZN7rocprim17ROCPRIM_400000_NS6detail17trampoline_kernelINS0_14default_configENS1_25partition_config_selectorILNS1_17partition_subalgoE6EjNS0_10empty_typeEbEEZZNS1_14partition_implILS5_6ELb0ES3_mN6thrust23THRUST_200600_302600_NS6detail15normal_iteratorINSA_10device_ptrIjEEEEPS6_SG_NS0_5tupleIJNSA_16discard_iteratorINSA_11use_defaultEEES6_EEENSH_IJSG_SG_EEES6_PlJNSB_9not_fun_tI7is_trueIjEEEEEE10hipError_tPvRmT3_T4_T5_T6_T7_T9_mT8_P12ihipStream_tbDpT10_ENKUlT_T0_E_clISt17integral_constantIbLb0EES1B_EEDaS16_S17_EUlS16_E_NS1_11comp_targetILNS1_3genE2ELNS1_11target_archE906ELNS1_3gpuE6ELNS1_3repE0EEENS1_30default_config_static_selectorELNS0_4arch9wavefront6targetE0EEEvT1_.has_dyn_sized_stack, 0
	.set _ZN7rocprim17ROCPRIM_400000_NS6detail17trampoline_kernelINS0_14default_configENS1_25partition_config_selectorILNS1_17partition_subalgoE6EjNS0_10empty_typeEbEEZZNS1_14partition_implILS5_6ELb0ES3_mN6thrust23THRUST_200600_302600_NS6detail15normal_iteratorINSA_10device_ptrIjEEEEPS6_SG_NS0_5tupleIJNSA_16discard_iteratorINSA_11use_defaultEEES6_EEENSH_IJSG_SG_EEES6_PlJNSB_9not_fun_tI7is_trueIjEEEEEE10hipError_tPvRmT3_T4_T5_T6_T7_T9_mT8_P12ihipStream_tbDpT10_ENKUlT_T0_E_clISt17integral_constantIbLb0EES1B_EEDaS16_S17_EUlS16_E_NS1_11comp_targetILNS1_3genE2ELNS1_11target_archE906ELNS1_3gpuE6ELNS1_3repE0EEENS1_30default_config_static_selectorELNS0_4arch9wavefront6targetE0EEEvT1_.has_recursion, 0
	.set _ZN7rocprim17ROCPRIM_400000_NS6detail17trampoline_kernelINS0_14default_configENS1_25partition_config_selectorILNS1_17partition_subalgoE6EjNS0_10empty_typeEbEEZZNS1_14partition_implILS5_6ELb0ES3_mN6thrust23THRUST_200600_302600_NS6detail15normal_iteratorINSA_10device_ptrIjEEEEPS6_SG_NS0_5tupleIJNSA_16discard_iteratorINSA_11use_defaultEEES6_EEENSH_IJSG_SG_EEES6_PlJNSB_9not_fun_tI7is_trueIjEEEEEE10hipError_tPvRmT3_T4_T5_T6_T7_T9_mT8_P12ihipStream_tbDpT10_ENKUlT_T0_E_clISt17integral_constantIbLb0EES1B_EEDaS16_S17_EUlS16_E_NS1_11comp_targetILNS1_3genE2ELNS1_11target_archE906ELNS1_3gpuE6ELNS1_3repE0EEENS1_30default_config_static_selectorELNS0_4arch9wavefront6targetE0EEEvT1_.has_indirect_call, 0
	.section	.AMDGPU.csdata,"",@progbits
; Kernel info:
; codeLenInByte = 0
; TotalNumSgprs: 0
; NumVgprs: 0
; ScratchSize: 0
; MemoryBound: 0
; FloatMode: 240
; IeeeMode: 1
; LDSByteSize: 0 bytes/workgroup (compile time only)
; SGPRBlocks: 0
; VGPRBlocks: 0
; NumSGPRsForWavesPerEU: 1
; NumVGPRsForWavesPerEU: 1
; Occupancy: 16
; WaveLimiterHint : 0
; COMPUTE_PGM_RSRC2:SCRATCH_EN: 0
; COMPUTE_PGM_RSRC2:USER_SGPR: 2
; COMPUTE_PGM_RSRC2:TRAP_HANDLER: 0
; COMPUTE_PGM_RSRC2:TGID_X_EN: 1
; COMPUTE_PGM_RSRC2:TGID_Y_EN: 0
; COMPUTE_PGM_RSRC2:TGID_Z_EN: 0
; COMPUTE_PGM_RSRC2:TIDIG_COMP_CNT: 0
	.section	.text._ZN7rocprim17ROCPRIM_400000_NS6detail17trampoline_kernelINS0_14default_configENS1_25partition_config_selectorILNS1_17partition_subalgoE6EjNS0_10empty_typeEbEEZZNS1_14partition_implILS5_6ELb0ES3_mN6thrust23THRUST_200600_302600_NS6detail15normal_iteratorINSA_10device_ptrIjEEEEPS6_SG_NS0_5tupleIJNSA_16discard_iteratorINSA_11use_defaultEEES6_EEENSH_IJSG_SG_EEES6_PlJNSB_9not_fun_tI7is_trueIjEEEEEE10hipError_tPvRmT3_T4_T5_T6_T7_T9_mT8_P12ihipStream_tbDpT10_ENKUlT_T0_E_clISt17integral_constantIbLb0EES1B_EEDaS16_S17_EUlS16_E_NS1_11comp_targetILNS1_3genE10ELNS1_11target_archE1200ELNS1_3gpuE4ELNS1_3repE0EEENS1_30default_config_static_selectorELNS0_4arch9wavefront6targetE0EEEvT1_,"axG",@progbits,_ZN7rocprim17ROCPRIM_400000_NS6detail17trampoline_kernelINS0_14default_configENS1_25partition_config_selectorILNS1_17partition_subalgoE6EjNS0_10empty_typeEbEEZZNS1_14partition_implILS5_6ELb0ES3_mN6thrust23THRUST_200600_302600_NS6detail15normal_iteratorINSA_10device_ptrIjEEEEPS6_SG_NS0_5tupleIJNSA_16discard_iteratorINSA_11use_defaultEEES6_EEENSH_IJSG_SG_EEES6_PlJNSB_9not_fun_tI7is_trueIjEEEEEE10hipError_tPvRmT3_T4_T5_T6_T7_T9_mT8_P12ihipStream_tbDpT10_ENKUlT_T0_E_clISt17integral_constantIbLb0EES1B_EEDaS16_S17_EUlS16_E_NS1_11comp_targetILNS1_3genE10ELNS1_11target_archE1200ELNS1_3gpuE4ELNS1_3repE0EEENS1_30default_config_static_selectorELNS0_4arch9wavefront6targetE0EEEvT1_,comdat
	.protected	_ZN7rocprim17ROCPRIM_400000_NS6detail17trampoline_kernelINS0_14default_configENS1_25partition_config_selectorILNS1_17partition_subalgoE6EjNS0_10empty_typeEbEEZZNS1_14partition_implILS5_6ELb0ES3_mN6thrust23THRUST_200600_302600_NS6detail15normal_iteratorINSA_10device_ptrIjEEEEPS6_SG_NS0_5tupleIJNSA_16discard_iteratorINSA_11use_defaultEEES6_EEENSH_IJSG_SG_EEES6_PlJNSB_9not_fun_tI7is_trueIjEEEEEE10hipError_tPvRmT3_T4_T5_T6_T7_T9_mT8_P12ihipStream_tbDpT10_ENKUlT_T0_E_clISt17integral_constantIbLb0EES1B_EEDaS16_S17_EUlS16_E_NS1_11comp_targetILNS1_3genE10ELNS1_11target_archE1200ELNS1_3gpuE4ELNS1_3repE0EEENS1_30default_config_static_selectorELNS0_4arch9wavefront6targetE0EEEvT1_ ; -- Begin function _ZN7rocprim17ROCPRIM_400000_NS6detail17trampoline_kernelINS0_14default_configENS1_25partition_config_selectorILNS1_17partition_subalgoE6EjNS0_10empty_typeEbEEZZNS1_14partition_implILS5_6ELb0ES3_mN6thrust23THRUST_200600_302600_NS6detail15normal_iteratorINSA_10device_ptrIjEEEEPS6_SG_NS0_5tupleIJNSA_16discard_iteratorINSA_11use_defaultEEES6_EEENSH_IJSG_SG_EEES6_PlJNSB_9not_fun_tI7is_trueIjEEEEEE10hipError_tPvRmT3_T4_T5_T6_T7_T9_mT8_P12ihipStream_tbDpT10_ENKUlT_T0_E_clISt17integral_constantIbLb0EES1B_EEDaS16_S17_EUlS16_E_NS1_11comp_targetILNS1_3genE10ELNS1_11target_archE1200ELNS1_3gpuE4ELNS1_3repE0EEENS1_30default_config_static_selectorELNS0_4arch9wavefront6targetE0EEEvT1_
	.globl	_ZN7rocprim17ROCPRIM_400000_NS6detail17trampoline_kernelINS0_14default_configENS1_25partition_config_selectorILNS1_17partition_subalgoE6EjNS0_10empty_typeEbEEZZNS1_14partition_implILS5_6ELb0ES3_mN6thrust23THRUST_200600_302600_NS6detail15normal_iteratorINSA_10device_ptrIjEEEEPS6_SG_NS0_5tupleIJNSA_16discard_iteratorINSA_11use_defaultEEES6_EEENSH_IJSG_SG_EEES6_PlJNSB_9not_fun_tI7is_trueIjEEEEEE10hipError_tPvRmT3_T4_T5_T6_T7_T9_mT8_P12ihipStream_tbDpT10_ENKUlT_T0_E_clISt17integral_constantIbLb0EES1B_EEDaS16_S17_EUlS16_E_NS1_11comp_targetILNS1_3genE10ELNS1_11target_archE1200ELNS1_3gpuE4ELNS1_3repE0EEENS1_30default_config_static_selectorELNS0_4arch9wavefront6targetE0EEEvT1_
	.p2align	8
	.type	_ZN7rocprim17ROCPRIM_400000_NS6detail17trampoline_kernelINS0_14default_configENS1_25partition_config_selectorILNS1_17partition_subalgoE6EjNS0_10empty_typeEbEEZZNS1_14partition_implILS5_6ELb0ES3_mN6thrust23THRUST_200600_302600_NS6detail15normal_iteratorINSA_10device_ptrIjEEEEPS6_SG_NS0_5tupleIJNSA_16discard_iteratorINSA_11use_defaultEEES6_EEENSH_IJSG_SG_EEES6_PlJNSB_9not_fun_tI7is_trueIjEEEEEE10hipError_tPvRmT3_T4_T5_T6_T7_T9_mT8_P12ihipStream_tbDpT10_ENKUlT_T0_E_clISt17integral_constantIbLb0EES1B_EEDaS16_S17_EUlS16_E_NS1_11comp_targetILNS1_3genE10ELNS1_11target_archE1200ELNS1_3gpuE4ELNS1_3repE0EEENS1_30default_config_static_selectorELNS0_4arch9wavefront6targetE0EEEvT1_,@function
_ZN7rocprim17ROCPRIM_400000_NS6detail17trampoline_kernelINS0_14default_configENS1_25partition_config_selectorILNS1_17partition_subalgoE6EjNS0_10empty_typeEbEEZZNS1_14partition_implILS5_6ELb0ES3_mN6thrust23THRUST_200600_302600_NS6detail15normal_iteratorINSA_10device_ptrIjEEEEPS6_SG_NS0_5tupleIJNSA_16discard_iteratorINSA_11use_defaultEEES6_EEENSH_IJSG_SG_EEES6_PlJNSB_9not_fun_tI7is_trueIjEEEEEE10hipError_tPvRmT3_T4_T5_T6_T7_T9_mT8_P12ihipStream_tbDpT10_ENKUlT_T0_E_clISt17integral_constantIbLb0EES1B_EEDaS16_S17_EUlS16_E_NS1_11comp_targetILNS1_3genE10ELNS1_11target_archE1200ELNS1_3gpuE4ELNS1_3repE0EEENS1_30default_config_static_selectorELNS0_4arch9wavefront6targetE0EEEvT1_: ; @_ZN7rocprim17ROCPRIM_400000_NS6detail17trampoline_kernelINS0_14default_configENS1_25partition_config_selectorILNS1_17partition_subalgoE6EjNS0_10empty_typeEbEEZZNS1_14partition_implILS5_6ELb0ES3_mN6thrust23THRUST_200600_302600_NS6detail15normal_iteratorINSA_10device_ptrIjEEEEPS6_SG_NS0_5tupleIJNSA_16discard_iteratorINSA_11use_defaultEEES6_EEENSH_IJSG_SG_EEES6_PlJNSB_9not_fun_tI7is_trueIjEEEEEE10hipError_tPvRmT3_T4_T5_T6_T7_T9_mT8_P12ihipStream_tbDpT10_ENKUlT_T0_E_clISt17integral_constantIbLb0EES1B_EEDaS16_S17_EUlS16_E_NS1_11comp_targetILNS1_3genE10ELNS1_11target_archE1200ELNS1_3gpuE4ELNS1_3repE0EEENS1_30default_config_static_selectorELNS0_4arch9wavefront6targetE0EEEvT1_
; %bb.0:
	s_clause 0x3
	s_load_b128 s[4:7], s[0:1], 0x8
	s_load_b128 s[8:11], s[0:1], 0x48
	s_load_b32 s17, s[0:1], 0x70
	s_load_b64 s[2:3], s[0:1], 0x58
	s_mov_b32 s13, 0
	s_mul_i32 s16, ttmp9, 0xa80
	v_lshlrev_b32_e32 v8, 2, v0
	s_wait_kmcnt 0x0
	s_lshl_b64 s[14:15], s[6:7], 2
	s_load_b64 s[10:11], s[10:11], 0x0
	s_mul_i32 s12, s17, 0xa80
	s_add_co_i32 s17, s17, -1
	s_add_co_i32 s20, s12, s6
	s_add_nc_u64 s[18:19], s[4:5], s[14:15]
	s_add_nc_u64 s[4:5], s[6:7], s[12:13]
	s_sub_co_i32 s14, s2, s20
	s_cmp_eq_u32 ttmp9, s17
	v_cmp_gt_u64_e64 s2, s[2:3], s[4:5]
	s_cselect_b32 s12, -1, 0
	s_cmp_lg_u32 ttmp9, s17
	s_mov_b32 s17, s13
	s_cselect_b32 s3, -1, 0
	s_mov_b32 s4, -1
	s_wait_alu 0xfffe
	s_or_b32 s15, s3, s2
	s_lshl_b64 s[2:3], s[16:17], 2
	s_and_b32 vcc_lo, exec_lo, s15
	s_wait_alu 0xfffe
	s_add_nc_u64 s[2:3], s[18:19], s[2:3]
	s_cbranch_vccz .LBB2178_2
; %bb.1:
	s_wait_alu 0xfffe
	v_add_co_u32 v1, s4, s2, v8
	s_wait_alu 0xf1ff
	v_add_co_ci_u32_e64 v2, null, s3, 0, s4
	s_mov_b32 s4, 0
	s_clause 0x6
	flat_load_b32 v3, v[1:2]
	flat_load_b32 v4, v[1:2] offset:1536
	flat_load_b32 v5, v[1:2] offset:3072
	;; [unrolled: 1-line block ×6, first 2 shown]
	s_wait_loadcnt_dscnt 0x505
	ds_store_2addr_stride64_b32 v8, v3, v4 offset1:6
	s_wait_loadcnt_dscnt 0x304
	ds_store_2addr_stride64_b32 v8, v5, v6 offset0:12 offset1:18
	s_wait_loadcnt_dscnt 0x103
	ds_store_2addr_stride64_b32 v8, v7, v9 offset0:24 offset1:30
	s_wait_loadcnt_dscnt 0x3
	ds_store_b32 v8, v1 offset:9216
	s_wait_dscnt 0x0
	s_barrier_signal -1
	s_barrier_wait -1
.LBB2178_2:
	s_wait_alu 0xfffe
	s_and_not1_b32 vcc_lo, exec_lo, s4
	s_addk_co_i32 s14, 0xa80
	s_cbranch_vccnz .LBB2178_18
; %bb.3:
	v_mov_b32_e32 v1, 0
	s_mov_b32 s4, exec_lo
	s_delay_alu instid0(VALU_DEP_1)
	v_dual_mov_b32 v2, v1 :: v_dual_mov_b32 v3, v1
	v_dual_mov_b32 v4, v1 :: v_dual_mov_b32 v5, v1
	v_dual_mov_b32 v6, v1 :: v_dual_mov_b32 v7, v1
	v_cmpx_gt_u32_e64 s14, v0
	s_cbranch_execz .LBB2178_5
; %bb.4:
	v_add_co_u32 v2, s5, s2, v8
	s_wait_alu 0xf1ff
	v_add_co_ci_u32_e64 v3, null, s3, 0, s5
	v_dual_mov_b32 v10, v1 :: v_dual_mov_b32 v11, v1
	v_dual_mov_b32 v12, v1 :: v_dual_mov_b32 v13, v1
	flat_load_b32 v9, v[2:3]
	v_dual_mov_b32 v14, v1 :: v_dual_mov_b32 v15, v1
	s_wait_loadcnt_dscnt 0x0
	v_dual_mov_b32 v1, v9 :: v_dual_mov_b32 v2, v10
	v_dual_mov_b32 v3, v11 :: v_dual_mov_b32 v4, v12
	s_delay_alu instid0(VALU_DEP_3)
	v_dual_mov_b32 v5, v13 :: v_dual_mov_b32 v6, v14
	v_mov_b32_e32 v7, v15
.LBB2178_5:
	s_wait_alu 0xfffe
	s_or_b32 exec_lo, exec_lo, s4
	v_add_nc_u32_e32 v9, 0x180, v0
	s_mov_b32 s4, exec_lo
	s_delay_alu instid0(VALU_DEP_1)
	v_cmpx_gt_u32_e64 s14, v9
	s_cbranch_execz .LBB2178_7
; %bb.6:
	v_add_co_u32 v9, s5, s2, v8
	s_wait_alu 0xf1ff
	v_add_co_ci_u32_e64 v10, null, s3, 0, s5
	flat_load_b32 v2, v[9:10] offset:1536
.LBB2178_7:
	s_wait_alu 0xfffe
	s_or_b32 exec_lo, exec_lo, s4
	v_add_nc_u32_e32 v9, 0x300, v0
	s_mov_b32 s4, exec_lo
	s_delay_alu instid0(VALU_DEP_1)
	v_cmpx_gt_u32_e64 s14, v9
	s_cbranch_execz .LBB2178_9
; %bb.8:
	v_add_co_u32 v9, s5, s2, v8
	s_wait_alu 0xf1ff
	v_add_co_ci_u32_e64 v10, null, s3, 0, s5
	flat_load_b32 v3, v[9:10] offset:3072
.LBB2178_9:
	;; [unrolled: 13-line block ×3, first 2 shown]
	s_wait_alu 0xfffe
	s_or_b32 exec_lo, exec_lo, s4
	v_or_b32_e32 v9, 0x600, v0
	s_mov_b32 s4, exec_lo
	s_delay_alu instid0(VALU_DEP_1)
	v_cmpx_gt_u32_e64 s14, v9
	s_cbranch_execz .LBB2178_13
; %bb.12:
	v_add_co_u32 v9, s5, s2, v8
	s_wait_alu 0xf1ff
	v_add_co_ci_u32_e64 v10, null, s3, 0, s5
	flat_load_b32 v5, v[9:10] offset:6144
.LBB2178_13:
	s_wait_alu 0xfffe
	s_or_b32 exec_lo, exec_lo, s4
	v_add_nc_u32_e32 v9, 0x780, v0
	s_mov_b32 s4, exec_lo
	s_delay_alu instid0(VALU_DEP_1)
	v_cmpx_gt_u32_e64 s14, v9
	s_cbranch_execz .LBB2178_15
; %bb.14:
	v_add_co_u32 v9, s5, s2, v8
	s_wait_alu 0xf1ff
	v_add_co_ci_u32_e64 v10, null, s3, 0, s5
	flat_load_b32 v6, v[9:10] offset:7680
.LBB2178_15:
	s_wait_alu 0xfffe
	s_or_b32 exec_lo, exec_lo, s4
	v_add_nc_u32_e32 v9, 0x900, v0
	s_mov_b32 s4, exec_lo
	s_delay_alu instid0(VALU_DEP_1)
	v_cmpx_gt_u32_e64 s14, v9
	s_cbranch_execz .LBB2178_17
; %bb.16:
	v_add_co_u32 v9, s2, s2, v8
	s_wait_alu 0xf1ff
	v_add_co_ci_u32_e64 v10, null, s3, 0, s2
	flat_load_b32 v7, v[9:10] offset:9216
.LBB2178_17:
	s_wait_alu 0xfffe
	s_or_b32 exec_lo, exec_lo, s4
	s_wait_loadcnt_dscnt 0x0
	ds_store_2addr_stride64_b32 v8, v1, v2 offset1:6
	ds_store_2addr_stride64_b32 v8, v3, v4 offset0:12 offset1:18
	ds_store_2addr_stride64_b32 v8, v5, v6 offset0:24 offset1:30
	ds_store_b32 v8, v7 offset:9216
	s_wait_dscnt 0x0
	s_barrier_signal -1
	s_barrier_wait -1
.LBB2178_18:
	v_mul_u32_u24_e32 v1, 7, v0
	global_inv scope:SCOPE_SE
	s_and_not1_b32 vcc_lo, exec_lo, s15
	v_lshlrev_b32_e32 v27, 2, v1
	ds_load_2addr_b32 v[9:10], v27 offset0:4 offset1:5
	ds_load_b32 v23, v27 offset:24
	ds_load_2addr_b32 v[13:14], v27 offset1:1
	ds_load_2addr_b32 v[11:12], v27 offset0:2 offset1:3
	s_wait_loadcnt_dscnt 0x0
	s_barrier_signal -1
	s_barrier_wait -1
	global_inv scope:SCOPE_SE
	v_cmp_eq_u32_e64 s2, 0, v9
	v_cmp_eq_u32_e64 s3, 0, v10
	;; [unrolled: 1-line block ×7, first 2 shown]
	s_cbranch_vccnz .LBB2178_20
; %bb.19:
	v_cndmask_b32_e64 v2, 0, 1, s6
	v_cndmask_b32_e64 v3, 0, 1, s7
	s_wait_alu 0xf1ff
	v_cndmask_b32_e64 v4, 0, 1, s4
	v_cndmask_b32_e64 v5, 0, 1, s5
	;; [unrolled: 1-line block ×3, first 2 shown]
	v_lshlrev_b16 v2, 8, v2
	v_lshlrev_b16 v3, 8, v3
	v_cndmask_b32_e64 v24, 0, 1, s3
	s_delay_alu instid0(VALU_DEP_3) | instskip(NEXT) | instid1(VALU_DEP_3)
	v_or_b32_e32 v2, v4, v2
	v_or_b32_e32 v3, v5, v3
	s_delay_alu instid0(VALU_DEP_2) | instskip(NEXT) | instid1(VALU_DEP_2)
	v_and_b32_e32 v2, 0xffff, v2
	v_lshlrev_b32_e32 v3, 16, v3
	s_delay_alu instid0(VALU_DEP_1)
	v_or_b32_e32 v26, v2, v3
	s_cbranch_execz .LBB2178_21
	s_branch .LBB2178_22
.LBB2178_20:
                                        ; implicit-def: $sgpr13
                                        ; implicit-def: $vgpr24
                                        ; implicit-def: $vgpr25
                                        ; implicit-def: $vgpr26
.LBB2178_21:
	v_add_nc_u32_e32 v2, 1, v1
	v_cmp_eq_u32_e32 vcc_lo, 0, v14
	v_add_nc_u32_e32 v3, 3, v1
	v_cmp_eq_u32_e64 s2, 0, v13
	v_cmp_eq_u32_e64 s4, 0, v12
	v_cmp_gt_u32_e64 s3, s14, v2
	v_add_nc_u32_e32 v2, 2, v1
	v_cmp_gt_u32_e64 s6, s14, v3
	v_cmp_eq_u32_e64 s5, 0, v11
	v_add_nc_u32_e32 v5, 5, v1
	s_and_b32 s3, s3, vcc_lo
	v_cmp_gt_u32_e32 vcc_lo, s14, v1
	s_wait_alu 0xfffe
	v_cndmask_b32_e64 v3, 0, 1, s3
	v_cmp_gt_u32_e64 s3, s14, v2
	s_and_b32 s4, s6, s4
	s_and_b32 s2, vcc_lo, s2
	v_lshlrev_b16 v3, 8, v3
	s_wait_alu 0xfffe
	v_cndmask_b32_e64 v4, 0, 1, s2
	v_cndmask_b32_e64 v2, 0, 1, s4
	s_and_b32 s2, s3, s5
	v_cmp_eq_u32_e32 vcc_lo, 0, v10
	s_wait_alu 0xfffe
	v_cndmask_b32_e64 v6, 0, 1, s2
	v_cmp_gt_u32_e64 s2, s14, v5
	v_or_b32_e32 v3, v4, v3
	v_add_nc_u32_e32 v4, 4, v1
	v_lshlrev_b16 v2, 8, v2
	v_cmp_eq_u32_e64 s3, 0, v9
	s_and_b32 s2, s2, vcc_lo
	v_add_nc_u32_e32 v1, 6, v1
	v_cmp_gt_u32_e32 vcc_lo, s14, v4
	v_or_b32_e32 v2, v6, v2
	s_wait_alu 0xfffe
	v_cndmask_b32_e64 v24, 0, 1, s2
	v_and_b32_e32 v3, 0xffff, v3
	s_and_b32 s2, vcc_lo, s3
	v_cmp_gt_u32_e32 vcc_lo, s14, v1
	s_wait_alu 0xfffe
	v_cndmask_b32_e64 v5, 0, 1, s2
	v_cmp_eq_u32_e64 s2, 0, v23
	v_lshlrev_b32_e32 v2, 16, v2
	v_lshlrev_b16 v4, 8, v24
	s_and_not1_b32 s3, s13, exec_lo
	s_and_b32 s2, vcc_lo, s2
	s_delay_alu instid0(VALU_DEP_2) | instskip(NEXT) | instid1(VALU_DEP_2)
	v_or_b32_e32 v26, v3, v2
	v_or_b32_e32 v25, v5, v4
	s_wait_alu 0xfffe
	s_and_b32 s2, s2, exec_lo
	s_wait_alu 0xfffe
	s_or_b32 s13, s3, s2
.LBB2178_22:
	s_delay_alu instid0(VALU_DEP_1)
	v_dual_mov_b32 v2, 0 :: v_dual_and_b32 v31, 0xff, v26
	v_bfe_u32 v30, v26, 8, 8
	v_cndmask_b32_e64 v1, 0, 1, s13
	v_bfe_u32 v33, v26, 16, 8
	s_load_b64 s[4:5], s[0:1], 0x68
	v_lshrrev_b32_e32 v28, 24, v26
	v_and_b32_e32 v32, 0xff, v25
	v_add3_u32 v1, v31, v1, v30
	v_mbcnt_lo_u32_b32 v34, -1, 0
	v_and_b32_e32 v29, 0xff, v24
	s_cmp_lg_u32 ttmp9, 0
	s_mov_b32 s1, -1
	v_add_co_u32 v1, s0, v1, v33
	s_delay_alu instid0(VALU_DEP_1) | instskip(SKIP_1) | instid1(VALU_DEP_3)
	v_add_co_ci_u32_e64 v3, null, 0, 0, s0
	v_and_b32_e32 v35, 15, v34
	v_add_co_u32 v1, vcc_lo, v1, v28
	s_delay_alu instid0(VALU_DEP_1) | instskip(NEXT) | instid1(VALU_DEP_3)
	v_add_co_ci_u32_e64 v3, null, 0, v3, vcc_lo
	v_cmp_ne_u32_e64 s0, 0, v35
	s_delay_alu instid0(VALU_DEP_3) | instskip(SKIP_1) | instid1(VALU_DEP_3)
	v_add_co_u32 v1, vcc_lo, v1, v32
	s_wait_alu 0xfffd
	v_add_co_ci_u32_e64 v3, null, 0, v3, vcc_lo
	s_delay_alu instid0(VALU_DEP_2) | instskip(SKIP_1) | instid1(VALU_DEP_2)
	v_add_co_u32 v15, vcc_lo, v1, v29
	s_wait_alu 0xfffd
	v_add_co_ci_u32_e64 v16, null, 0, v3, vcc_lo
	s_cbranch_scc0 .LBB2178_81
; %bb.23:
	v_mov_b32_e32 v3, v15
	v_mov_b32_dpp v1, v15 row_shr:1 row_mask:0xf bank_mask:0xf
	v_mov_b32_dpp v6, v2 row_shr:1 row_mask:0xf bank_mask:0xf
	v_dual_mov_b32 v5, v15 :: v_dual_mov_b32 v4, v16
	s_and_saveexec_b32 s1, s0
; %bb.24:
	s_delay_alu instid0(VALU_DEP_3) | instskip(SKIP_2) | instid1(VALU_DEP_2)
	v_add_co_u32 v5, vcc_lo, v15, v1
	s_wait_alu 0xfffd
	v_add_co_ci_u32_e64 v2, null, 0, v16, vcc_lo
	v_add_co_u32 v1, vcc_lo, 0, v5
	s_wait_alu 0xfffd
	s_delay_alu instid0(VALU_DEP_2) | instskip(NEXT) | instid1(VALU_DEP_1)
	v_add_co_ci_u32_e64 v2, null, v6, v2, vcc_lo
	v_dual_mov_b32 v4, v2 :: v_dual_mov_b32 v3, v1
; %bb.25:
	s_wait_alu 0xfffe
	s_or_b32 exec_lo, exec_lo, s1
	v_mov_b32_dpp v1, v5 row_shr:2 row_mask:0xf bank_mask:0xf
	v_mov_b32_dpp v6, v2 row_shr:2 row_mask:0xf bank_mask:0xf
	v_cmp_lt_u32_e32 vcc_lo, 1, v35
	s_and_saveexec_b32 s2, vcc_lo
; %bb.26:
	s_delay_alu instid0(VALU_DEP_3) | instskip(SKIP_2) | instid1(VALU_DEP_2)
	v_add_co_u32 v5, s1, v3, v1
	s_wait_alu 0xf1ff
	v_add_co_ci_u32_e64 v2, null, 0, v4, s1
	v_add_co_u32 v1, s1, 0, v5
	s_wait_alu 0xf1ff
	s_delay_alu instid0(VALU_DEP_2) | instskip(NEXT) | instid1(VALU_DEP_1)
	v_add_co_ci_u32_e64 v2, null, v6, v2, s1
	v_dual_mov_b32 v4, v2 :: v_dual_mov_b32 v3, v1
; %bb.27:
	s_wait_alu 0xfffe
	s_or_b32 exec_lo, exec_lo, s2
	v_mov_b32_dpp v1, v5 row_shr:4 row_mask:0xf bank_mask:0xf
	v_mov_b32_dpp v6, v2 row_shr:4 row_mask:0xf bank_mask:0xf
	v_cmp_lt_u32_e64 s1, 3, v35
	s_and_saveexec_b32 s3, s1
; %bb.28:
	v_add_co_u32 v5, s2, v3, v1
	s_wait_alu 0xf1ff
	v_add_co_ci_u32_e64 v2, null, 0, v4, s2
	s_delay_alu instid0(VALU_DEP_2) | instskip(SKIP_1) | instid1(VALU_DEP_2)
	v_add_co_u32 v1, s2, 0, v5
	s_wait_alu 0xf1ff
	v_add_co_ci_u32_e64 v2, null, v6, v2, s2
	s_delay_alu instid0(VALU_DEP_1)
	v_dual_mov_b32 v4, v2 :: v_dual_mov_b32 v3, v1
; %bb.29:
	s_wait_alu 0xfffe
	s_or_b32 exec_lo, exec_lo, s3
	v_mov_b32_dpp v6, v5 row_shr:8 row_mask:0xf bank_mask:0xf
	v_mov_b32_dpp v1, v2 row_shr:8 row_mask:0xf bank_mask:0xf
	v_cmp_lt_u32_e64 s2, 7, v35
	s_and_saveexec_b32 s6, s2
; %bb.30:
	v_add_co_u32 v5, s3, v3, v6
	s_wait_alu 0xf1ff
	v_add_co_ci_u32_e64 v2, null, 0, v4, s3
	s_delay_alu instid0(VALU_DEP_2) | instskip(SKIP_1) | instid1(VALU_DEP_2)
	v_add_co_u32 v3, s3, 0, v5
	s_wait_alu 0xf1ff
	v_add_co_ci_u32_e64 v4, null, v1, v2, s3
	s_delay_alu instid0(VALU_DEP_1)
	v_mov_b32_e32 v2, v4
; %bb.31:
	s_wait_alu 0xfffe
	s_or_b32 exec_lo, exec_lo, s6
	ds_swizzle_b32 v6, v5 offset:swizzle(BROADCAST,32,15)
	ds_swizzle_b32 v1, v2 offset:swizzle(BROADCAST,32,15)
	v_and_b32_e32 v2, 16, v34
	s_mov_b32 s6, exec_lo
	s_delay_alu instid0(VALU_DEP_1)
	v_cmpx_ne_u32_e32 0, v2
	s_cbranch_execz .LBB2178_33
; %bb.32:
	s_wait_dscnt 0x1
	v_add_co_u32 v5, s3, v3, v6
	s_wait_alu 0xf1ff
	v_add_co_ci_u32_e64 v2, null, 0, v4, s3
	s_delay_alu instid0(VALU_DEP_2) | instskip(SKIP_2) | instid1(VALU_DEP_2)
	v_add_co_u32 v3, s3, 0, v5
	s_wait_dscnt 0x0
	s_wait_alu 0xf1ff
	v_add_co_ci_u32_e64 v4, null, v1, v2, s3
.LBB2178_33:
	s_wait_alu 0xfffe
	s_or_b32 exec_lo, exec_lo, s6
	s_wait_dscnt 0x0
	v_and_b32_e32 v1, 0x1e0, v0
	v_lshrrev_b32_e32 v6, 5, v0
	s_mov_b32 s6, exec_lo
	s_delay_alu instid0(VALU_DEP_2) | instskip(NEXT) | instid1(VALU_DEP_1)
	v_min_u32_e32 v1, 0x160, v1
	v_or_b32_e32 v1, 31, v1
	s_delay_alu instid0(VALU_DEP_1)
	v_cmpx_eq_u32_e64 v0, v1
; %bb.34:
	v_lshlrev_b32_e32 v1, 3, v6
	ds_store_b64 v1, v[3:4]
; %bb.35:
	s_wait_alu 0xfffe
	s_or_b32 exec_lo, exec_lo, s6
	s_delay_alu instid0(SALU_CYCLE_1)
	s_mov_b32 s6, exec_lo
	s_wait_loadcnt_dscnt 0x0
	s_barrier_signal -1
	s_barrier_wait -1
	global_inv scope:SCOPE_SE
	v_cmpx_gt_u32_e32 12, v0
	s_cbranch_execz .LBB2178_45
; %bb.36:
	v_lshlrev_b32_e32 v3, 3, v0
	ds_load_b64 v[1:2], v3
	s_wait_dscnt 0x0
	v_mov_b32_dpp v8, v1 row_shr:1 row_mask:0xf bank_mask:0xf
	v_mov_b32_dpp v7, v2 row_shr:1 row_mask:0xf bank_mask:0xf
	v_mov_b32_e32 v4, v1
	s_and_saveexec_b32 s7, s0
; %bb.37:
	s_delay_alu instid0(VALU_DEP_3) | instskip(SKIP_2) | instid1(VALU_DEP_2)
	v_add_co_u32 v4, s3, v1, v8
	s_wait_alu 0xf1ff
	v_add_co_ci_u32_e64 v2, null, 0, v2, s3
	v_add_co_u32 v1, s3, 0, v4
	s_wait_alu 0xf1ff
	s_delay_alu instid0(VALU_DEP_2)
	v_add_co_ci_u32_e64 v2, null, v7, v2, s3
; %bb.38:
	s_wait_alu 0xfffe
	s_or_b32 exec_lo, exec_lo, s7
	v_mov_b32_dpp v8, v4 row_shr:2 row_mask:0xf bank_mask:0xf
	s_delay_alu instid0(VALU_DEP_2)
	v_mov_b32_dpp v7, v2 row_shr:2 row_mask:0xf bank_mask:0xf
	s_and_saveexec_b32 s3, vcc_lo
; %bb.39:
	s_delay_alu instid0(VALU_DEP_2) | instskip(SKIP_2) | instid1(VALU_DEP_2)
	v_add_co_u32 v4, vcc_lo, v1, v8
	s_wait_alu 0xfffd
	v_add_co_ci_u32_e64 v2, null, 0, v2, vcc_lo
	v_add_co_u32 v1, vcc_lo, 0, v4
	s_wait_alu 0xfffd
	s_delay_alu instid0(VALU_DEP_2)
	v_add_co_ci_u32_e64 v2, null, v7, v2, vcc_lo
; %bb.40:
	s_wait_alu 0xfffe
	s_or_b32 exec_lo, exec_lo, s3
	v_mov_b32_dpp v8, v4 row_shr:4 row_mask:0xf bank_mask:0xf
	s_delay_alu instid0(VALU_DEP_2)
	v_mov_b32_dpp v7, v2 row_shr:4 row_mask:0xf bank_mask:0xf
	s_and_saveexec_b32 s3, s1
; %bb.41:
	s_delay_alu instid0(VALU_DEP_2) | instskip(SKIP_2) | instid1(VALU_DEP_2)
	v_add_co_u32 v4, vcc_lo, v1, v8
	s_wait_alu 0xfffd
	v_add_co_ci_u32_e64 v2, null, 0, v2, vcc_lo
	v_add_co_u32 v1, vcc_lo, 0, v4
	s_wait_alu 0xfffd
	s_delay_alu instid0(VALU_DEP_2)
	v_add_co_ci_u32_e64 v2, null, v7, v2, vcc_lo
; %bb.42:
	s_wait_alu 0xfffe
	s_or_b32 exec_lo, exec_lo, s3
	v_mov_b32_dpp v7, v4 row_shr:8 row_mask:0xf bank_mask:0xf
	s_delay_alu instid0(VALU_DEP_2)
	v_mov_b32_dpp v4, v2 row_shr:8 row_mask:0xf bank_mask:0xf
	s_and_saveexec_b32 s1, s2
; %bb.43:
	s_delay_alu instid0(VALU_DEP_2) | instskip(SKIP_2) | instid1(VALU_DEP_2)
	v_add_co_u32 v1, vcc_lo, v1, v7
	s_wait_alu 0xfffd
	v_add_co_ci_u32_e64 v2, null, 0, v2, vcc_lo
	v_add_co_u32 v1, vcc_lo, v1, 0
	s_wait_alu 0xfffd
	s_delay_alu instid0(VALU_DEP_2)
	v_add_co_ci_u32_e64 v2, null, v2, v4, vcc_lo
; %bb.44:
	s_wait_alu 0xfffe
	s_or_b32 exec_lo, exec_lo, s1
	ds_store_b64 v3, v[1:2]
.LBB2178_45:
	s_wait_alu 0xfffe
	s_or_b32 exec_lo, exec_lo, s6
	s_delay_alu instid0(SALU_CYCLE_1)
	s_mov_b32 s2, exec_lo
	v_cmp_gt_u32_e32 vcc_lo, 32, v0
	s_wait_loadcnt_dscnt 0x0
	s_barrier_signal -1
	s_barrier_wait -1
	global_inv scope:SCOPE_SE
                                        ; implicit-def: $vgpr17_vgpr18
	v_cmpx_lt_u32_e32 31, v0
	s_cbranch_execz .LBB2178_47
; %bb.46:
	v_lshl_add_u32 v1, v6, 3, -8
	ds_load_b64 v[17:18], v1
	s_wait_dscnt 0x0
	v_add_nc_u32_e32 v5, v5, v17
.LBB2178_47:
	s_wait_alu 0xfffe
	s_or_b32 exec_lo, exec_lo, s2
	v_sub_co_u32 v1, s1, v34, 1
	s_delay_alu instid0(VALU_DEP_1) | instskip(SKIP_1) | instid1(VALU_DEP_1)
	v_cmp_gt_i32_e64 s2, 0, v1
	s_wait_alu 0xf1ff
	v_cndmask_b32_e64 v1, v1, v34, s2
	s_delay_alu instid0(VALU_DEP_1)
	v_lshlrev_b32_e32 v1, 2, v1
	ds_bpermute_b32 v36, v1, v5
	s_and_saveexec_b32 s2, vcc_lo
	s_cbranch_execz .LBB2178_86
; %bb.48:
	v_mov_b32_e32 v4, 0
	ds_load_b64 v[1:2], v4 offset:88
	s_and_saveexec_b32 s3, s1
	s_cbranch_execz .LBB2178_50
; %bb.49:
	s_add_co_i32 s6, ttmp9, 32
	s_mov_b32 s7, 0
	s_wait_alu 0xfffe
	s_lshl_b64 s[6:7], s[6:7], 4
	s_wait_kmcnt 0x0
	s_wait_alu 0xfffe
	s_add_nc_u64 s[6:7], s[4:5], s[6:7]
	v_mov_b32_e32 v3, 1
	s_wait_alu 0xfffe
	v_dual_mov_b32 v5, s6 :: v_dual_mov_b32 v6, s7
	s_wait_dscnt 0x0
	;;#ASMSTART
	global_store_b128 v[5:6], v[1:4] off scope:SCOPE_DEV	
s_wait_storecnt 0x0
	;;#ASMEND
.LBB2178_50:
	s_wait_alu 0xfffe
	s_or_b32 exec_lo, exec_lo, s3
	v_xad_u32 v19, v34, -1, ttmp9
	s_mov_b32 s6, 0
	s_mov_b32 s3, exec_lo
	s_delay_alu instid0(VALU_DEP_1) | instskip(NEXT) | instid1(VALU_DEP_1)
	v_add_nc_u32_e32 v3, 32, v19
	v_lshlrev_b64_e32 v[3:4], 4, v[3:4]
	s_wait_kmcnt 0x0
	s_delay_alu instid0(VALU_DEP_1) | instskip(SKIP_1) | instid1(VALU_DEP_2)
	v_add_co_u32 v3, vcc_lo, s4, v3
	s_wait_alu 0xfffd
	v_add_co_ci_u32_e64 v4, null, s5, v4, vcc_lo
	;;#ASMSTART
	global_load_b128 v[5:8], v[3:4] off scope:SCOPE_DEV	
s_wait_loadcnt 0x0
	;;#ASMEND
	v_and_b32_e32 v8, 0xff, v7
	s_delay_alu instid0(VALU_DEP_1)
	v_cmpx_eq_u16_e32 0, v8
	s_cbranch_execz .LBB2178_53
.LBB2178_51:                            ; =>This Inner Loop Header: Depth=1
	;;#ASMSTART
	global_load_b128 v[5:8], v[3:4] off scope:SCOPE_DEV	
s_wait_loadcnt 0x0
	;;#ASMEND
	v_and_b32_e32 v8, 0xff, v7
	s_delay_alu instid0(VALU_DEP_1)
	v_cmp_ne_u16_e32 vcc_lo, 0, v8
	s_wait_alu 0xfffe
	s_or_b32 s6, vcc_lo, s6
	s_wait_alu 0xfffe
	s_and_not1_b32 exec_lo, exec_lo, s6
	s_cbranch_execnz .LBB2178_51
; %bb.52:
	s_or_b32 exec_lo, exec_lo, s6
.LBB2178_53:
	s_wait_alu 0xfffe
	s_or_b32 exec_lo, exec_lo, s3
	v_cmp_ne_u32_e32 vcc_lo, 31, v34
	v_and_b32_e32 v4, 0xff, v7
	v_lshlrev_b32_e64 v38, v34, -1
	s_mov_b32 s3, exec_lo
	s_wait_alu 0xfffd
	v_add_co_ci_u32_e64 v3, null, 0, v34, vcc_lo
	v_cmp_eq_u16_e32 vcc_lo, 2, v4
	s_delay_alu instid0(VALU_DEP_2)
	v_dual_mov_b32 v4, v5 :: v_dual_lshlrev_b32 v37, 2, v3
	s_wait_alu 0xfffd
	v_and_or_b32 v3, vcc_lo, v38, 0x80000000
	ds_bpermute_b32 v20, v37, v5
	ds_bpermute_b32 v8, v37, v6
	v_ctz_i32_b32_e32 v3, v3
	s_delay_alu instid0(VALU_DEP_1)
	v_cmpx_lt_u32_e64 v34, v3
	s_cbranch_execz .LBB2178_55
; %bb.54:
	s_wait_dscnt 0x1
	v_add_co_u32 v4, vcc_lo, v5, v20
	s_wait_alu 0xfffd
	v_add_co_ci_u32_e64 v6, null, 0, v6, vcc_lo
	s_delay_alu instid0(VALU_DEP_2) | instskip(SKIP_2) | instid1(VALU_DEP_2)
	v_add_co_u32 v5, vcc_lo, 0, v4
	s_wait_dscnt 0x0
	s_wait_alu 0xfffd
	v_add_co_ci_u32_e64 v6, null, v8, v6, vcc_lo
.LBB2178_55:
	s_wait_alu 0xfffe
	s_or_b32 exec_lo, exec_lo, s3
	v_cmp_gt_u32_e32 vcc_lo, 30, v34
	v_add_nc_u32_e32 v40, 2, v34
	s_mov_b32 s3, exec_lo
	s_wait_dscnt 0x0
	s_wait_alu 0xfffd
	v_cndmask_b32_e64 v8, 0, 2, vcc_lo
	s_delay_alu instid0(VALU_DEP_1)
	v_add_lshl_u32 v39, v8, v34, 2
	ds_bpermute_b32 v20, v39, v4
	ds_bpermute_b32 v8, v39, v6
	v_cmpx_le_u32_e64 v40, v3
	s_cbranch_execz .LBB2178_57
; %bb.56:
	s_wait_dscnt 0x1
	v_add_co_u32 v4, vcc_lo, v5, v20
	s_wait_alu 0xfffd
	v_add_co_ci_u32_e64 v6, null, 0, v6, vcc_lo
	s_delay_alu instid0(VALU_DEP_2) | instskip(SKIP_2) | instid1(VALU_DEP_2)
	v_add_co_u32 v5, vcc_lo, 0, v4
	s_wait_dscnt 0x0
	s_wait_alu 0xfffd
	v_add_co_ci_u32_e64 v6, null, v8, v6, vcc_lo
.LBB2178_57:
	s_wait_alu 0xfffe
	s_or_b32 exec_lo, exec_lo, s3
	v_cmp_gt_u32_e32 vcc_lo, 28, v34
	v_add_nc_u32_e32 v42, 4, v34
	s_mov_b32 s3, exec_lo
	s_wait_dscnt 0x0
	s_wait_alu 0xfffd
	v_cndmask_b32_e64 v8, 0, 4, vcc_lo
	s_delay_alu instid0(VALU_DEP_1)
	v_add_lshl_u32 v41, v8, v34, 2
	ds_bpermute_b32 v20, v41, v4
	ds_bpermute_b32 v8, v41, v6
	v_cmpx_le_u32_e64 v42, v3
	;; [unrolled: 25-line block ×3, first 2 shown]
	s_cbranch_execz .LBB2178_61
; %bb.60:
	s_wait_dscnt 0x1
	v_add_co_u32 v4, vcc_lo, v5, v20
	s_wait_alu 0xfffd
	v_add_co_ci_u32_e64 v6, null, 0, v6, vcc_lo
	s_delay_alu instid0(VALU_DEP_2) | instskip(SKIP_2) | instid1(VALU_DEP_2)
	v_add_co_u32 v5, vcc_lo, 0, v4
	s_wait_dscnt 0x0
	s_wait_alu 0xfffd
	v_add_co_ci_u32_e64 v6, null, v8, v6, vcc_lo
.LBB2178_61:
	s_wait_alu 0xfffe
	s_or_b32 exec_lo, exec_lo, s3
	v_lshl_or_b32 v45, v34, 2, 64
	v_add_nc_u32_e32 v46, 16, v34
	s_mov_b32 s3, exec_lo
	s_wait_dscnt 0x0
	ds_bpermute_b32 v8, v45, v4
	ds_bpermute_b32 v4, v45, v6
	v_cmpx_le_u32_e64 v46, v3
	s_cbranch_execz .LBB2178_63
; %bb.62:
	s_wait_dscnt 0x1
	v_add_co_u32 v3, vcc_lo, v5, v8
	s_wait_alu 0xfffd
	v_add_co_ci_u32_e64 v6, null, 0, v6, vcc_lo
	s_delay_alu instid0(VALU_DEP_2) | instskip(SKIP_2) | instid1(VALU_DEP_2)
	v_add_co_u32 v5, vcc_lo, v3, 0
	s_wait_dscnt 0x0
	s_wait_alu 0xfffd
	v_add_co_ci_u32_e64 v6, null, v6, v4, vcc_lo
.LBB2178_63:
	s_wait_alu 0xfffe
	s_or_b32 exec_lo, exec_lo, s3
	v_mov_b32_e32 v20, 0
	s_branch .LBB2178_66
.LBB2178_64:                            ;   in Loop: Header=BB2178_66 Depth=1
	s_wait_alu 0xfffe
	s_or_b32 exec_lo, exec_lo, s3
	v_add_co_u32 v5, vcc_lo, v5, v3
	v_subrev_nc_u32_e32 v19, 32, v19
	s_wait_alu 0xfffd
	v_add_co_ci_u32_e64 v6, null, v6, v4, vcc_lo
	s_mov_b32 s3, 0
.LBB2178_65:                            ;   in Loop: Header=BB2178_66 Depth=1
	s_wait_alu 0xfffe
	s_and_b32 vcc_lo, exec_lo, s3
	s_wait_alu 0xfffe
	s_cbranch_vccnz .LBB2178_82
.LBB2178_66:                            ; =>This Loop Header: Depth=1
                                        ;     Child Loop BB2178_69 Depth 2
	v_and_b32_e32 v3, 0xff, v7
	s_mov_b32 s3, -1
	s_delay_alu instid0(VALU_DEP_1)
	v_cmp_ne_u16_e32 vcc_lo, 2, v3
	s_wait_dscnt 0x0
	v_dual_mov_b32 v3, v5 :: v_dual_mov_b32 v4, v6
                                        ; implicit-def: $vgpr5_vgpr6
	s_cmp_lg_u32 vcc_lo, exec_lo
	s_cbranch_scc1 .LBB2178_65
; %bb.67:                               ;   in Loop: Header=BB2178_66 Depth=1
	v_lshlrev_b64_e32 v[5:6], 4, v[19:20]
	s_mov_b32 s3, exec_lo
	s_delay_alu instid0(VALU_DEP_1) | instskip(SKIP_1) | instid1(VALU_DEP_2)
	v_add_co_u32 v21, vcc_lo, s4, v5
	s_wait_alu 0xfffd
	v_add_co_ci_u32_e64 v22, null, s5, v6, vcc_lo
	;;#ASMSTART
	global_load_b128 v[5:8], v[21:22] off scope:SCOPE_DEV	
s_wait_loadcnt 0x0
	;;#ASMEND
	v_and_b32_e32 v8, 0xff, v7
	s_delay_alu instid0(VALU_DEP_1)
	v_cmpx_eq_u16_e32 0, v8
	s_cbranch_execz .LBB2178_71
; %bb.68:                               ;   in Loop: Header=BB2178_66 Depth=1
	s_mov_b32 s6, 0
.LBB2178_69:                            ;   Parent Loop BB2178_66 Depth=1
                                        ; =>  This Inner Loop Header: Depth=2
	;;#ASMSTART
	global_load_b128 v[5:8], v[21:22] off scope:SCOPE_DEV	
s_wait_loadcnt 0x0
	;;#ASMEND
	v_and_b32_e32 v8, 0xff, v7
	s_delay_alu instid0(VALU_DEP_1)
	v_cmp_ne_u16_e32 vcc_lo, 0, v8
	s_wait_alu 0xfffe
	s_or_b32 s6, vcc_lo, s6
	s_wait_alu 0xfffe
	s_and_not1_b32 exec_lo, exec_lo, s6
	s_cbranch_execnz .LBB2178_69
; %bb.70:                               ;   in Loop: Header=BB2178_66 Depth=1
	s_or_b32 exec_lo, exec_lo, s6
.LBB2178_71:                            ;   in Loop: Header=BB2178_66 Depth=1
	s_wait_alu 0xfffe
	s_or_b32 exec_lo, exec_lo, s3
	v_dual_mov_b32 v21, v5 :: v_dual_and_b32 v8, 0xff, v7
	ds_bpermute_b32 v47, v37, v5
	ds_bpermute_b32 v22, v37, v6
	s_mov_b32 s3, exec_lo
	v_cmp_eq_u16_e32 vcc_lo, 2, v8
	s_wait_alu 0xfffd
	v_and_or_b32 v8, vcc_lo, v38, 0x80000000
	s_delay_alu instid0(VALU_DEP_1) | instskip(NEXT) | instid1(VALU_DEP_1)
	v_ctz_i32_b32_e32 v8, v8
	v_cmpx_lt_u32_e64 v34, v8
	s_cbranch_execz .LBB2178_73
; %bb.72:                               ;   in Loop: Header=BB2178_66 Depth=1
	s_wait_dscnt 0x1
	v_add_co_u32 v21, vcc_lo, v5, v47
	s_wait_alu 0xfffd
	v_add_co_ci_u32_e64 v6, null, 0, v6, vcc_lo
	s_delay_alu instid0(VALU_DEP_2) | instskip(SKIP_2) | instid1(VALU_DEP_2)
	v_add_co_u32 v5, vcc_lo, 0, v21
	s_wait_dscnt 0x0
	s_wait_alu 0xfffd
	v_add_co_ci_u32_e64 v6, null, v22, v6, vcc_lo
.LBB2178_73:                            ;   in Loop: Header=BB2178_66 Depth=1
	s_wait_alu 0xfffe
	s_or_b32 exec_lo, exec_lo, s3
	s_wait_dscnt 0x1
	ds_bpermute_b32 v47, v39, v21
	s_wait_dscnt 0x1
	ds_bpermute_b32 v22, v39, v6
	s_mov_b32 s3, exec_lo
	v_cmpx_le_u32_e64 v40, v8
	s_cbranch_execz .LBB2178_75
; %bb.74:                               ;   in Loop: Header=BB2178_66 Depth=1
	s_wait_dscnt 0x1
	v_add_co_u32 v21, vcc_lo, v5, v47
	s_wait_alu 0xfffd
	v_add_co_ci_u32_e64 v6, null, 0, v6, vcc_lo
	s_delay_alu instid0(VALU_DEP_2) | instskip(SKIP_2) | instid1(VALU_DEP_2)
	v_add_co_u32 v5, vcc_lo, 0, v21
	s_wait_dscnt 0x0
	s_wait_alu 0xfffd
	v_add_co_ci_u32_e64 v6, null, v22, v6, vcc_lo
.LBB2178_75:                            ;   in Loop: Header=BB2178_66 Depth=1
	s_wait_alu 0xfffe
	s_or_b32 exec_lo, exec_lo, s3
	s_wait_dscnt 0x1
	ds_bpermute_b32 v47, v41, v21
	s_wait_dscnt 0x1
	ds_bpermute_b32 v22, v41, v6
	s_mov_b32 s3, exec_lo
	v_cmpx_le_u32_e64 v42, v8
	;; [unrolled: 20-line block ×3, first 2 shown]
	s_cbranch_execz .LBB2178_79
; %bb.78:                               ;   in Loop: Header=BB2178_66 Depth=1
	s_wait_dscnt 0x1
	v_add_co_u32 v21, vcc_lo, v5, v47
	s_wait_alu 0xfffd
	v_add_co_ci_u32_e64 v6, null, 0, v6, vcc_lo
	s_delay_alu instid0(VALU_DEP_2) | instskip(SKIP_2) | instid1(VALU_DEP_2)
	v_add_co_u32 v5, vcc_lo, 0, v21
	s_wait_dscnt 0x0
	s_wait_alu 0xfffd
	v_add_co_ci_u32_e64 v6, null, v22, v6, vcc_lo
.LBB2178_79:                            ;   in Loop: Header=BB2178_66 Depth=1
	s_wait_alu 0xfffe
	s_or_b32 exec_lo, exec_lo, s3
	s_wait_dscnt 0x0
	ds_bpermute_b32 v22, v45, v21
	ds_bpermute_b32 v21, v45, v6
	s_mov_b32 s3, exec_lo
	v_cmpx_le_u32_e64 v46, v8
	s_cbranch_execz .LBB2178_64
; %bb.80:                               ;   in Loop: Header=BB2178_66 Depth=1
	s_wait_dscnt 0x1
	v_add_co_u32 v5, vcc_lo, v5, v22
	s_wait_alu 0xfffd
	v_add_co_ci_u32_e64 v6, null, 0, v6, vcc_lo
	s_delay_alu instid0(VALU_DEP_2) | instskip(SKIP_2) | instid1(VALU_DEP_2)
	v_add_co_u32 v5, vcc_lo, v5, 0
	s_wait_dscnt 0x0
	s_wait_alu 0xfffd
	v_add_co_ci_u32_e64 v6, null, v6, v21, vcc_lo
	s_branch .LBB2178_64
.LBB2178_81:
                                        ; implicit-def: $vgpr17_vgpr18
                                        ; implicit-def: $vgpr7_vgpr8
                                        ; implicit-def: $vgpr5_vgpr6
                                        ; implicit-def: $vgpr3_vgpr4
                                        ; implicit-def: $vgpr18_vgpr19
                                        ; implicit-def: $vgpr19_vgpr20
                                        ; implicit-def: $vgpr20_vgpr21
                                        ; implicit-def: $vgpr21_vgpr22
	s_and_b32 vcc_lo, exec_lo, s1
	s_wait_alu 0xfffe
	s_cbranch_vccnz .LBB2178_87
	s_branch .LBB2178_114
.LBB2178_82:
	s_and_saveexec_b32 s3, s1
	s_cbranch_execz .LBB2178_84
; %bb.83:
	s_add_co_i32 s6, ttmp9, 32
	s_mov_b32 s7, 0
	v_add_co_u32 v5, vcc_lo, v3, v1
	s_wait_alu 0xfffe
	s_lshl_b64 s[6:7], s[6:7], 4
	v_dual_mov_b32 v7, 2 :: v_dual_mov_b32 v8, 0
	s_wait_alu 0xfffe
	s_add_nc_u64 s[6:7], s[4:5], s[6:7]
	s_wait_alu 0xfffd
	v_add_co_ci_u32_e64 v6, null, v4, v2, vcc_lo
	s_wait_alu 0xfffe
	v_dual_mov_b32 v20, s7 :: v_dual_mov_b32 v19, s6
	;;#ASMSTART
	global_store_b128 v[19:20], v[5:8] off scope:SCOPE_DEV	
s_wait_storecnt 0x0
	;;#ASMEND
	ds_store_b128 v8, v[1:4] offset:10752
.LBB2178_84:
	s_wait_alu 0xfffe
	s_or_b32 exec_lo, exec_lo, s3
	v_cmp_eq_u32_e32 vcc_lo, 0, v0
	s_and_b32 exec_lo, exec_lo, vcc_lo
; %bb.85:
	v_mov_b32_e32 v1, 0
	ds_store_b64 v1, v[3:4] offset:88
.LBB2178_86:
	s_wait_alu 0xfffe
	s_or_b32 exec_lo, exec_lo, s2
	s_wait_dscnt 0x0
	v_cndmask_b32_e64 v4, v36, v17, s1
	v_cmp_ne_u32_e32 vcc_lo, 0, v0
	v_mov_b32_e32 v3, 0
	s_wait_loadcnt 0x0
	s_barrier_signal -1
	s_barrier_wait -1
	global_inv scope:SCOPE_SE
	s_wait_alu 0xfffd
	v_cndmask_b32_e32 v4, 0, v4, vcc_lo
	ds_load_b64 v[1:2], v3 offset:88
	v_cndmask_b32_e64 v5, 0, v18, s1
	s_wait_loadcnt_dscnt 0x0
	s_barrier_signal -1
	s_barrier_wait -1
	global_inv scope:SCOPE_SE
	v_cndmask_b32_e32 v5, 0, v5, vcc_lo
	v_add_co_u32 v21, vcc_lo, v1, v4
	s_wait_alu 0xfffd
	s_delay_alu instid0(VALU_DEP_2) | instskip(NEXT) | instid1(VALU_DEP_2)
	v_add_co_ci_u32_e64 v1, null, v2, v5, vcc_lo
	v_add_co_u32 v20, vcc_lo, v21, v31
	s_wait_alu 0xfffd
	s_delay_alu instid0(VALU_DEP_2) | instskip(NEXT) | instid1(VALU_DEP_2)
	v_add_co_ci_u32_e64 v1, null, 0, v1, vcc_lo
	v_add_co_u32 v19, vcc_lo, v20, v30
	s_wait_alu 0xfffd
	s_delay_alu instid0(VALU_DEP_2) | instskip(SKIP_4) | instid1(VALU_DEP_2)
	v_add_co_ci_u32_e64 v5, null, 0, v1, vcc_lo
	ds_load_b128 v[1:4], v3 offset:10752
	v_add_co_u32 v18, vcc_lo, v19, v33
	s_wait_alu 0xfffd
	v_add_co_ci_u32_e64 v5, null, 0, v5, vcc_lo
	v_add_co_u32 v17, vcc_lo, v18, v28
	s_wait_alu 0xfffd
	s_delay_alu instid0(VALU_DEP_2) | instskip(NEXT) | instid1(VALU_DEP_2)
	v_add_co_ci_u32_e64 v6, null, 0, v5, vcc_lo
	v_add_co_u32 v5, vcc_lo, v17, v32
	s_wait_alu 0xfffd
	s_delay_alu instid0(VALU_DEP_2) | instskip(NEXT) | instid1(VALU_DEP_2)
	v_add_co_ci_u32_e64 v6, null, 0, v6, vcc_lo
	v_add_co_u32 v7, vcc_lo, v5, v29
	s_wait_alu 0xfffd
	s_delay_alu instid0(VALU_DEP_2)
	v_add_co_ci_u32_e64 v6, null, 0, v6, vcc_lo
	s_branch .LBB2178_114
.LBB2178_87:
	s_wait_dscnt 0x0
	v_dual_mov_b32 v2, 0 :: v_dual_mov_b32 v3, v15
	v_mov_b32_dpp v4, v15 row_shr:1 row_mask:0xf bank_mask:0xf
	s_delay_alu instid0(VALU_DEP_2)
	v_mov_b32_dpp v1, v2 row_shr:1 row_mask:0xf bank_mask:0xf
	s_and_saveexec_b32 s1, s0
; %bb.88:
	s_delay_alu instid0(VALU_DEP_2) | instskip(SKIP_2) | instid1(VALU_DEP_2)
	v_add_co_u32 v3, vcc_lo, v15, v4
	s_wait_alu 0xfffd
	v_add_co_ci_u32_e64 v2, null, 0, v16, vcc_lo
	v_add_co_u32 v15, vcc_lo, 0, v3
	s_wait_alu 0xfffd
	s_delay_alu instid0(VALU_DEP_2) | instskip(NEXT) | instid1(VALU_DEP_1)
	v_add_co_ci_u32_e64 v16, null, v1, v2, vcc_lo
	v_mov_b32_e32 v2, v16
; %bb.89:
	s_wait_alu 0xfffe
	s_or_b32 exec_lo, exec_lo, s1
	v_mov_b32_dpp v1, v3 row_shr:2 row_mask:0xf bank_mask:0xf
	s_delay_alu instid0(VALU_DEP_2)
	v_mov_b32_dpp v4, v2 row_shr:2 row_mask:0xf bank_mask:0xf
	v_cmp_lt_u32_e32 vcc_lo, 1, v35
	s_and_saveexec_b32 s2, vcc_lo
; %bb.90:
	s_delay_alu instid0(VALU_DEP_3) | instskip(SKIP_2) | instid1(VALU_DEP_2)
	v_add_co_u32 v3, s1, v15, v1
	s_wait_alu 0xf1ff
	v_add_co_ci_u32_e64 v2, null, 0, v16, s1
	v_add_co_u32 v1, s1, 0, v3
	s_wait_alu 0xf1ff
	s_delay_alu instid0(VALU_DEP_2) | instskip(NEXT) | instid1(VALU_DEP_1)
	v_add_co_ci_u32_e64 v2, null, v4, v2, s1
	v_dual_mov_b32 v16, v2 :: v_dual_mov_b32 v15, v1
; %bb.91:
	s_wait_alu 0xfffe
	s_or_b32 exec_lo, exec_lo, s2
	v_mov_b32_dpp v1, v3 row_shr:4 row_mask:0xf bank_mask:0xf
	v_mov_b32_dpp v4, v2 row_shr:4 row_mask:0xf bank_mask:0xf
	v_cmp_lt_u32_e64 s1, 3, v35
	s_and_saveexec_b32 s3, s1
; %bb.92:
	v_add_co_u32 v3, s2, v15, v1
	s_wait_alu 0xf1ff
	v_add_co_ci_u32_e64 v2, null, 0, v16, s2
	s_delay_alu instid0(VALU_DEP_2) | instskip(SKIP_1) | instid1(VALU_DEP_2)
	v_add_co_u32 v1, s2, 0, v3
	s_wait_alu 0xf1ff
	v_add_co_ci_u32_e64 v2, null, v4, v2, s2
	s_delay_alu instid0(VALU_DEP_1)
	v_dual_mov_b32 v16, v2 :: v_dual_mov_b32 v15, v1
; %bb.93:
	s_wait_alu 0xfffe
	s_or_b32 exec_lo, exec_lo, s3
	v_mov_b32_dpp v4, v3 row_shr:8 row_mask:0xf bank_mask:0xf
	v_mov_b32_dpp v1, v2 row_shr:8 row_mask:0xf bank_mask:0xf
	v_cmp_lt_u32_e64 s2, 7, v35
	s_and_saveexec_b32 s6, s2
; %bb.94:
	v_add_co_u32 v3, s3, v15, v4
	s_wait_alu 0xf1ff
	v_add_co_ci_u32_e64 v2, null, 0, v16, s3
	s_delay_alu instid0(VALU_DEP_2) | instskip(SKIP_1) | instid1(VALU_DEP_2)
	v_add_co_u32 v15, s3, 0, v3
	s_wait_alu 0xf1ff
	v_add_co_ci_u32_e64 v16, null, v1, v2, s3
	s_delay_alu instid0(VALU_DEP_1)
	v_mov_b32_e32 v2, v16
; %bb.95:
	s_wait_alu 0xfffe
	s_or_b32 exec_lo, exec_lo, s6
	ds_swizzle_b32 v3, v3 offset:swizzle(BROADCAST,32,15)
	ds_swizzle_b32 v1, v2 offset:swizzle(BROADCAST,32,15)
	v_and_b32_e32 v2, 16, v34
	s_mov_b32 s6, exec_lo
	s_delay_alu instid0(VALU_DEP_1)
	v_cmpx_ne_u32_e32 0, v2
	s_cbranch_execz .LBB2178_97
; %bb.96:
	s_wait_dscnt 0x1
	v_add_co_u32 v2, s3, v15, v3
	s_wait_alu 0xf1ff
	v_add_co_ci_u32_e64 v3, null, 0, v16, s3
	s_delay_alu instid0(VALU_DEP_2) | instskip(SKIP_2) | instid1(VALU_DEP_2)
	v_add_co_u32 v15, s3, v2, 0
	s_wait_dscnt 0x0
	s_wait_alu 0xf1ff
	v_add_co_ci_u32_e64 v16, null, v3, v1, s3
.LBB2178_97:
	s_wait_alu 0xfffe
	s_or_b32 exec_lo, exec_lo, s6
	s_wait_dscnt 0x0
	v_and_b32_e32 v1, 0x1e0, v0
	v_lshrrev_b32_e32 v3, 5, v0
	s_mov_b32 s6, exec_lo
	s_delay_alu instid0(VALU_DEP_2) | instskip(NEXT) | instid1(VALU_DEP_1)
	v_min_u32_e32 v1, 0x160, v1
	v_or_b32_e32 v1, 31, v1
	s_delay_alu instid0(VALU_DEP_1)
	v_cmpx_eq_u32_e64 v0, v1
; %bb.98:
	v_lshlrev_b32_e32 v1, 3, v3
	ds_store_b64 v1, v[15:16]
; %bb.99:
	s_wait_alu 0xfffe
	s_or_b32 exec_lo, exec_lo, s6
	s_delay_alu instid0(SALU_CYCLE_1)
	s_mov_b32 s6, exec_lo
	s_wait_loadcnt_dscnt 0x0
	s_barrier_signal -1
	s_barrier_wait -1
	global_inv scope:SCOPE_SE
	v_cmpx_gt_u32_e32 12, v0
	s_cbranch_execz .LBB2178_109
; %bb.100:
	v_mad_i32_i24 v1, 0xffffffec, v0, v27
	ds_load_b64 v[1:2], v1
	s_wait_dscnt 0x0
	v_mov_b32_dpp v6, v1 row_shr:1 row_mask:0xf bank_mask:0xf
	v_mov_b32_dpp v5, v2 row_shr:1 row_mask:0xf bank_mask:0xf
	v_mov_b32_e32 v4, v1
	s_and_saveexec_b32 s3, s0
; %bb.101:
	s_delay_alu instid0(VALU_DEP_3) | instskip(SKIP_2) | instid1(VALU_DEP_2)
	v_add_co_u32 v4, s0, v1, v6
	s_wait_alu 0xf1ff
	v_add_co_ci_u32_e64 v2, null, 0, v2, s0
	v_add_co_u32 v1, s0, 0, v4
	s_wait_alu 0xf1ff
	s_delay_alu instid0(VALU_DEP_2)
	v_add_co_ci_u32_e64 v2, null, v5, v2, s0
; %bb.102:
	s_wait_alu 0xfffe
	s_or_b32 exec_lo, exec_lo, s3
	v_mov_b32_dpp v6, v4 row_shr:2 row_mask:0xf bank_mask:0xf
	s_delay_alu instid0(VALU_DEP_2)
	v_mov_b32_dpp v5, v2 row_shr:2 row_mask:0xf bank_mask:0xf
	s_and_saveexec_b32 s0, vcc_lo
; %bb.103:
	s_delay_alu instid0(VALU_DEP_2) | instskip(SKIP_2) | instid1(VALU_DEP_2)
	v_add_co_u32 v4, vcc_lo, v1, v6
	s_wait_alu 0xfffd
	v_add_co_ci_u32_e64 v2, null, 0, v2, vcc_lo
	v_add_co_u32 v1, vcc_lo, 0, v4
	s_wait_alu 0xfffd
	s_delay_alu instid0(VALU_DEP_2)
	v_add_co_ci_u32_e64 v2, null, v5, v2, vcc_lo
; %bb.104:
	s_wait_alu 0xfffe
	s_or_b32 exec_lo, exec_lo, s0
	v_mov_b32_dpp v6, v4 row_shr:4 row_mask:0xf bank_mask:0xf
	s_delay_alu instid0(VALU_DEP_2)
	v_mov_b32_dpp v5, v2 row_shr:4 row_mask:0xf bank_mask:0xf
	s_and_saveexec_b32 s0, s1
; %bb.105:
	s_delay_alu instid0(VALU_DEP_2) | instskip(SKIP_2) | instid1(VALU_DEP_2)
	v_add_co_u32 v4, vcc_lo, v1, v6
	s_wait_alu 0xfffd
	v_add_co_ci_u32_e64 v2, null, 0, v2, vcc_lo
	v_add_co_u32 v1, vcc_lo, 0, v4
	s_wait_alu 0xfffd
	s_delay_alu instid0(VALU_DEP_2)
	v_add_co_ci_u32_e64 v2, null, v5, v2, vcc_lo
; %bb.106:
	s_wait_alu 0xfffe
	s_or_b32 exec_lo, exec_lo, s0
	v_mul_i32_i24_e32 v5, 0xffffffec, v0
	v_mov_b32_dpp v6, v4 row_shr:8 row_mask:0xf bank_mask:0xf
	v_mov_b32_dpp v4, v2 row_shr:8 row_mask:0xf bank_mask:0xf
	s_and_saveexec_b32 s0, s2
; %bb.107:
	s_delay_alu instid0(VALU_DEP_2) | instskip(SKIP_2) | instid1(VALU_DEP_2)
	v_add_co_u32 v1, vcc_lo, v1, v6
	s_wait_alu 0xfffd
	v_add_co_ci_u32_e64 v2, null, 0, v2, vcc_lo
	v_add_co_u32 v1, vcc_lo, v1, 0
	s_wait_alu 0xfffd
	s_delay_alu instid0(VALU_DEP_2)
	v_add_co_ci_u32_e64 v2, null, v2, v4, vcc_lo
; %bb.108:
	s_wait_alu 0xfffe
	s_or_b32 exec_lo, exec_lo, s0
	v_add_nc_u32_e32 v4, v27, v5
	ds_store_b64 v4, v[1:2]
.LBB2178_109:
	s_wait_alu 0xfffe
	s_or_b32 exec_lo, exec_lo, s6
	v_mov_b32_e32 v5, 0
	v_mov_b32_e32 v6, 0
	s_mov_b32 s0, exec_lo
	s_wait_loadcnt_dscnt 0x0
	s_barrier_signal -1
	s_barrier_wait -1
	global_inv scope:SCOPE_SE
	v_cmpx_lt_u32_e32 31, v0
; %bb.110:
	v_lshl_add_u32 v1, v3, 3, -8
	ds_load_b64 v[5:6], v1
; %bb.111:
	s_wait_alu 0xfffe
	s_or_b32 exec_lo, exec_lo, s0
	v_sub_co_u32 v1, vcc_lo, v34, 1
	s_wait_dscnt 0x0
	v_add_nc_u32_e32 v2, v5, v15
	v_mov_b32_e32 v4, 0
	s_delay_alu instid0(VALU_DEP_3) | instskip(SKIP_1) | instid1(VALU_DEP_1)
	v_cmp_gt_i32_e64 s0, 0, v1
	s_wait_alu 0xf1ff
	v_cndmask_b32_e64 v1, v1, v34, s0
	v_cmp_eq_u32_e64 s0, 0, v0
	s_delay_alu instid0(VALU_DEP_2)
	v_lshlrev_b32_e32 v1, 2, v1
	ds_bpermute_b32 v7, v1, v2
	ds_load_b64 v[1:2], v4 offset:88
	s_and_saveexec_b32 s1, s0
	s_cbranch_execz .LBB2178_113
; %bb.112:
	s_wait_kmcnt 0x0
	s_add_nc_u64 s[2:3], s[4:5], 0x200
	s_wait_alu 0xfffe
	v_dual_mov_b32 v3, 2 :: v_dual_mov_b32 v16, s3
	v_mov_b32_e32 v15, s2
	s_wait_dscnt 0x0
	;;#ASMSTART
	global_store_b128 v[15:16], v[1:4] off scope:SCOPE_DEV	
s_wait_storecnt 0x0
	;;#ASMEND
.LBB2178_113:
	s_wait_alu 0xfffe
	s_or_b32 exec_lo, exec_lo, s1
	s_wait_dscnt 0x1
	s_wait_alu 0xfffd
	v_dual_cndmask_b32 v3, v7, v5 :: v_dual_cndmask_b32 v4, 0, v6
	s_wait_loadcnt_dscnt 0x0
	s_barrier_signal -1
	s_barrier_wait -1
	s_delay_alu instid0(VALU_DEP_1)
	v_cndmask_b32_e64 v21, v3, 0, s0
	v_cndmask_b32_e64 v3, v4, 0, s0
	global_inv scope:SCOPE_SE
	v_add_co_u32 v20, vcc_lo, v21, v31
	s_wait_alu 0xfffd
	v_add_co_ci_u32_e64 v3, null, 0, v3, vcc_lo
	s_delay_alu instid0(VALU_DEP_2) | instskip(SKIP_1) | instid1(VALU_DEP_2)
	v_add_co_u32 v19, vcc_lo, v20, v30
	s_wait_alu 0xfffd
	v_add_co_ci_u32_e64 v3, null, 0, v3, vcc_lo
	s_delay_alu instid0(VALU_DEP_2) | instskip(SKIP_1) | instid1(VALU_DEP_2)
	;; [unrolled: 4-line block ×4, first 2 shown]
	v_add_co_u32 v5, vcc_lo, v17, v32
	s_wait_alu 0xfffd
	v_add_co_ci_u32_e64 v6, null, 0, v3, vcc_lo
	v_mov_b32_e32 v3, 0
	v_mov_b32_e32 v4, 0
	v_add_co_u32 v7, vcc_lo, v5, v29
	s_wait_alu 0xfffd
	v_add_co_ci_u32_e64 v6, null, 0, v6, vcc_lo
.LBB2178_114:
	s_wait_dscnt 0x0
	v_cmp_gt_u64_e32 vcc_lo, 0x181, v[1:2]
	v_lshrrev_b32_e32 v8, 8, v26
	v_lshrrev_b32_e32 v6, 16, v26
	s_cbranch_vccz .LBB2178_117
; %bb.115:
	v_cmp_eq_u32_e32 vcc_lo, 0, v0
	s_and_b32 s0, vcc_lo, s12
	s_wait_alu 0xfffe
	s_and_saveexec_b32 s1, s0
	s_cbranch_execnz .LBB2178_132
.LBB2178_116:
	s_endpgm
.LBB2178_117:
	v_and_b32_e32 v15, 1, v26
	s_mov_b32 s0, exec_lo
	s_delay_alu instid0(VALU_DEP_1)
	v_cmpx_eq_u32_e32 1, v15
; %bb.118:
	v_sub_nc_u32_e32 v15, v21, v3
	s_delay_alu instid0(VALU_DEP_1)
	v_lshlrev_b32_e32 v15, 2, v15
	ds_store_b32 v15, v13
; %bb.119:
	s_wait_alu 0xfffe
	s_or_b32 exec_lo, exec_lo, s0
	v_and_b32_e32 v8, 1, v8
	s_mov_b32 s0, exec_lo
	s_delay_alu instid0(VALU_DEP_1)
	v_cmpx_eq_u32_e32 1, v8
; %bb.120:
	v_sub_nc_u32_e32 v8, v20, v3
	s_delay_alu instid0(VALU_DEP_1)
	v_lshlrev_b32_e32 v8, 2, v8
	ds_store_b32 v8, v14
; %bb.121:
	s_wait_alu 0xfffe
	s_or_b32 exec_lo, exec_lo, s0
	;; [unrolled: 12-line block ×6, first 2 shown]
	s_and_saveexec_b32 s0, s13
; %bb.130:
	v_sub_nc_u32_e32 v5, v7, v3
	s_delay_alu instid0(VALU_DEP_1)
	v_lshlrev_b32_e32 v5, 2, v5
	ds_store_b32 v5, v23
; %bb.131:
	s_wait_alu 0xfffe
	s_or_b32 exec_lo, exec_lo, s0
	s_wait_loadcnt_dscnt 0x0
	s_barrier_signal -1
	s_barrier_wait -1
	global_inv scope:SCOPE_SE
	v_cmp_eq_u32_e32 vcc_lo, 0, v0
	s_and_b32 s0, vcc_lo, s12
	s_wait_alu 0xfffe
	s_and_saveexec_b32 s1, s0
	s_cbranch_execz .LBB2178_116
.LBB2178_132:
	s_wait_kmcnt 0x0
	v_add_co_u32 v0, vcc_lo, v1, s10
	s_wait_alu 0xfffd
	v_add_co_ci_u32_e64 v1, null, s11, v2, vcc_lo
	v_mov_b32_e32 v2, 0
	s_delay_alu instid0(VALU_DEP_3) | instskip(SKIP_1) | instid1(VALU_DEP_3)
	v_add_co_u32 v0, vcc_lo, v0, v3
	s_wait_alu 0xfffd
	v_add_co_ci_u32_e64 v1, null, v1, v4, vcc_lo
	global_store_b64 v2, v[0:1], s[8:9]
	s_endpgm
	.section	.rodata,"a",@progbits
	.p2align	6, 0x0
	.amdhsa_kernel _ZN7rocprim17ROCPRIM_400000_NS6detail17trampoline_kernelINS0_14default_configENS1_25partition_config_selectorILNS1_17partition_subalgoE6EjNS0_10empty_typeEbEEZZNS1_14partition_implILS5_6ELb0ES3_mN6thrust23THRUST_200600_302600_NS6detail15normal_iteratorINSA_10device_ptrIjEEEEPS6_SG_NS0_5tupleIJNSA_16discard_iteratorINSA_11use_defaultEEES6_EEENSH_IJSG_SG_EEES6_PlJNSB_9not_fun_tI7is_trueIjEEEEEE10hipError_tPvRmT3_T4_T5_T6_T7_T9_mT8_P12ihipStream_tbDpT10_ENKUlT_T0_E_clISt17integral_constantIbLb0EES1B_EEDaS16_S17_EUlS16_E_NS1_11comp_targetILNS1_3genE10ELNS1_11target_archE1200ELNS1_3gpuE4ELNS1_3repE0EEENS1_30default_config_static_selectorELNS0_4arch9wavefront6targetE0EEEvT1_
		.amdhsa_group_segment_fixed_size 10768
		.amdhsa_private_segment_fixed_size 0
		.amdhsa_kernarg_size 120
		.amdhsa_user_sgpr_count 2
		.amdhsa_user_sgpr_dispatch_ptr 0
		.amdhsa_user_sgpr_queue_ptr 0
		.amdhsa_user_sgpr_kernarg_segment_ptr 1
		.amdhsa_user_sgpr_dispatch_id 0
		.amdhsa_user_sgpr_private_segment_size 0
		.amdhsa_wavefront_size32 1
		.amdhsa_uses_dynamic_stack 0
		.amdhsa_enable_private_segment 0
		.amdhsa_system_sgpr_workgroup_id_x 1
		.amdhsa_system_sgpr_workgroup_id_y 0
		.amdhsa_system_sgpr_workgroup_id_z 0
		.amdhsa_system_sgpr_workgroup_info 0
		.amdhsa_system_vgpr_workitem_id 0
		.amdhsa_next_free_vgpr 48
		.amdhsa_next_free_sgpr 21
		.amdhsa_reserve_vcc 1
		.amdhsa_float_round_mode_32 0
		.amdhsa_float_round_mode_16_64 0
		.amdhsa_float_denorm_mode_32 3
		.amdhsa_float_denorm_mode_16_64 3
		.amdhsa_fp16_overflow 0
		.amdhsa_workgroup_processor_mode 1
		.amdhsa_memory_ordered 1
		.amdhsa_forward_progress 1
		.amdhsa_inst_pref_size 51
		.amdhsa_round_robin_scheduling 0
		.amdhsa_exception_fp_ieee_invalid_op 0
		.amdhsa_exception_fp_denorm_src 0
		.amdhsa_exception_fp_ieee_div_zero 0
		.amdhsa_exception_fp_ieee_overflow 0
		.amdhsa_exception_fp_ieee_underflow 0
		.amdhsa_exception_fp_ieee_inexact 0
		.amdhsa_exception_int_div_zero 0
	.end_amdhsa_kernel
	.section	.text._ZN7rocprim17ROCPRIM_400000_NS6detail17trampoline_kernelINS0_14default_configENS1_25partition_config_selectorILNS1_17partition_subalgoE6EjNS0_10empty_typeEbEEZZNS1_14partition_implILS5_6ELb0ES3_mN6thrust23THRUST_200600_302600_NS6detail15normal_iteratorINSA_10device_ptrIjEEEEPS6_SG_NS0_5tupleIJNSA_16discard_iteratorINSA_11use_defaultEEES6_EEENSH_IJSG_SG_EEES6_PlJNSB_9not_fun_tI7is_trueIjEEEEEE10hipError_tPvRmT3_T4_T5_T6_T7_T9_mT8_P12ihipStream_tbDpT10_ENKUlT_T0_E_clISt17integral_constantIbLb0EES1B_EEDaS16_S17_EUlS16_E_NS1_11comp_targetILNS1_3genE10ELNS1_11target_archE1200ELNS1_3gpuE4ELNS1_3repE0EEENS1_30default_config_static_selectorELNS0_4arch9wavefront6targetE0EEEvT1_,"axG",@progbits,_ZN7rocprim17ROCPRIM_400000_NS6detail17trampoline_kernelINS0_14default_configENS1_25partition_config_selectorILNS1_17partition_subalgoE6EjNS0_10empty_typeEbEEZZNS1_14partition_implILS5_6ELb0ES3_mN6thrust23THRUST_200600_302600_NS6detail15normal_iteratorINSA_10device_ptrIjEEEEPS6_SG_NS0_5tupleIJNSA_16discard_iteratorINSA_11use_defaultEEES6_EEENSH_IJSG_SG_EEES6_PlJNSB_9not_fun_tI7is_trueIjEEEEEE10hipError_tPvRmT3_T4_T5_T6_T7_T9_mT8_P12ihipStream_tbDpT10_ENKUlT_T0_E_clISt17integral_constantIbLb0EES1B_EEDaS16_S17_EUlS16_E_NS1_11comp_targetILNS1_3genE10ELNS1_11target_archE1200ELNS1_3gpuE4ELNS1_3repE0EEENS1_30default_config_static_selectorELNS0_4arch9wavefront6targetE0EEEvT1_,comdat
.Lfunc_end2178:
	.size	_ZN7rocprim17ROCPRIM_400000_NS6detail17trampoline_kernelINS0_14default_configENS1_25partition_config_selectorILNS1_17partition_subalgoE6EjNS0_10empty_typeEbEEZZNS1_14partition_implILS5_6ELb0ES3_mN6thrust23THRUST_200600_302600_NS6detail15normal_iteratorINSA_10device_ptrIjEEEEPS6_SG_NS0_5tupleIJNSA_16discard_iteratorINSA_11use_defaultEEES6_EEENSH_IJSG_SG_EEES6_PlJNSB_9not_fun_tI7is_trueIjEEEEEE10hipError_tPvRmT3_T4_T5_T6_T7_T9_mT8_P12ihipStream_tbDpT10_ENKUlT_T0_E_clISt17integral_constantIbLb0EES1B_EEDaS16_S17_EUlS16_E_NS1_11comp_targetILNS1_3genE10ELNS1_11target_archE1200ELNS1_3gpuE4ELNS1_3repE0EEENS1_30default_config_static_selectorELNS0_4arch9wavefront6targetE0EEEvT1_, .Lfunc_end2178-_ZN7rocprim17ROCPRIM_400000_NS6detail17trampoline_kernelINS0_14default_configENS1_25partition_config_selectorILNS1_17partition_subalgoE6EjNS0_10empty_typeEbEEZZNS1_14partition_implILS5_6ELb0ES3_mN6thrust23THRUST_200600_302600_NS6detail15normal_iteratorINSA_10device_ptrIjEEEEPS6_SG_NS0_5tupleIJNSA_16discard_iteratorINSA_11use_defaultEEES6_EEENSH_IJSG_SG_EEES6_PlJNSB_9not_fun_tI7is_trueIjEEEEEE10hipError_tPvRmT3_T4_T5_T6_T7_T9_mT8_P12ihipStream_tbDpT10_ENKUlT_T0_E_clISt17integral_constantIbLb0EES1B_EEDaS16_S17_EUlS16_E_NS1_11comp_targetILNS1_3genE10ELNS1_11target_archE1200ELNS1_3gpuE4ELNS1_3repE0EEENS1_30default_config_static_selectorELNS0_4arch9wavefront6targetE0EEEvT1_
                                        ; -- End function
	.set _ZN7rocprim17ROCPRIM_400000_NS6detail17trampoline_kernelINS0_14default_configENS1_25partition_config_selectorILNS1_17partition_subalgoE6EjNS0_10empty_typeEbEEZZNS1_14partition_implILS5_6ELb0ES3_mN6thrust23THRUST_200600_302600_NS6detail15normal_iteratorINSA_10device_ptrIjEEEEPS6_SG_NS0_5tupleIJNSA_16discard_iteratorINSA_11use_defaultEEES6_EEENSH_IJSG_SG_EEES6_PlJNSB_9not_fun_tI7is_trueIjEEEEEE10hipError_tPvRmT3_T4_T5_T6_T7_T9_mT8_P12ihipStream_tbDpT10_ENKUlT_T0_E_clISt17integral_constantIbLb0EES1B_EEDaS16_S17_EUlS16_E_NS1_11comp_targetILNS1_3genE10ELNS1_11target_archE1200ELNS1_3gpuE4ELNS1_3repE0EEENS1_30default_config_static_selectorELNS0_4arch9wavefront6targetE0EEEvT1_.num_vgpr, 48
	.set _ZN7rocprim17ROCPRIM_400000_NS6detail17trampoline_kernelINS0_14default_configENS1_25partition_config_selectorILNS1_17partition_subalgoE6EjNS0_10empty_typeEbEEZZNS1_14partition_implILS5_6ELb0ES3_mN6thrust23THRUST_200600_302600_NS6detail15normal_iteratorINSA_10device_ptrIjEEEEPS6_SG_NS0_5tupleIJNSA_16discard_iteratorINSA_11use_defaultEEES6_EEENSH_IJSG_SG_EEES6_PlJNSB_9not_fun_tI7is_trueIjEEEEEE10hipError_tPvRmT3_T4_T5_T6_T7_T9_mT8_P12ihipStream_tbDpT10_ENKUlT_T0_E_clISt17integral_constantIbLb0EES1B_EEDaS16_S17_EUlS16_E_NS1_11comp_targetILNS1_3genE10ELNS1_11target_archE1200ELNS1_3gpuE4ELNS1_3repE0EEENS1_30default_config_static_selectorELNS0_4arch9wavefront6targetE0EEEvT1_.num_agpr, 0
	.set _ZN7rocprim17ROCPRIM_400000_NS6detail17trampoline_kernelINS0_14default_configENS1_25partition_config_selectorILNS1_17partition_subalgoE6EjNS0_10empty_typeEbEEZZNS1_14partition_implILS5_6ELb0ES3_mN6thrust23THRUST_200600_302600_NS6detail15normal_iteratorINSA_10device_ptrIjEEEEPS6_SG_NS0_5tupleIJNSA_16discard_iteratorINSA_11use_defaultEEES6_EEENSH_IJSG_SG_EEES6_PlJNSB_9not_fun_tI7is_trueIjEEEEEE10hipError_tPvRmT3_T4_T5_T6_T7_T9_mT8_P12ihipStream_tbDpT10_ENKUlT_T0_E_clISt17integral_constantIbLb0EES1B_EEDaS16_S17_EUlS16_E_NS1_11comp_targetILNS1_3genE10ELNS1_11target_archE1200ELNS1_3gpuE4ELNS1_3repE0EEENS1_30default_config_static_selectorELNS0_4arch9wavefront6targetE0EEEvT1_.numbered_sgpr, 21
	.set _ZN7rocprim17ROCPRIM_400000_NS6detail17trampoline_kernelINS0_14default_configENS1_25partition_config_selectorILNS1_17partition_subalgoE6EjNS0_10empty_typeEbEEZZNS1_14partition_implILS5_6ELb0ES3_mN6thrust23THRUST_200600_302600_NS6detail15normal_iteratorINSA_10device_ptrIjEEEEPS6_SG_NS0_5tupleIJNSA_16discard_iteratorINSA_11use_defaultEEES6_EEENSH_IJSG_SG_EEES6_PlJNSB_9not_fun_tI7is_trueIjEEEEEE10hipError_tPvRmT3_T4_T5_T6_T7_T9_mT8_P12ihipStream_tbDpT10_ENKUlT_T0_E_clISt17integral_constantIbLb0EES1B_EEDaS16_S17_EUlS16_E_NS1_11comp_targetILNS1_3genE10ELNS1_11target_archE1200ELNS1_3gpuE4ELNS1_3repE0EEENS1_30default_config_static_selectorELNS0_4arch9wavefront6targetE0EEEvT1_.num_named_barrier, 0
	.set _ZN7rocprim17ROCPRIM_400000_NS6detail17trampoline_kernelINS0_14default_configENS1_25partition_config_selectorILNS1_17partition_subalgoE6EjNS0_10empty_typeEbEEZZNS1_14partition_implILS5_6ELb0ES3_mN6thrust23THRUST_200600_302600_NS6detail15normal_iteratorINSA_10device_ptrIjEEEEPS6_SG_NS0_5tupleIJNSA_16discard_iteratorINSA_11use_defaultEEES6_EEENSH_IJSG_SG_EEES6_PlJNSB_9not_fun_tI7is_trueIjEEEEEE10hipError_tPvRmT3_T4_T5_T6_T7_T9_mT8_P12ihipStream_tbDpT10_ENKUlT_T0_E_clISt17integral_constantIbLb0EES1B_EEDaS16_S17_EUlS16_E_NS1_11comp_targetILNS1_3genE10ELNS1_11target_archE1200ELNS1_3gpuE4ELNS1_3repE0EEENS1_30default_config_static_selectorELNS0_4arch9wavefront6targetE0EEEvT1_.private_seg_size, 0
	.set _ZN7rocprim17ROCPRIM_400000_NS6detail17trampoline_kernelINS0_14default_configENS1_25partition_config_selectorILNS1_17partition_subalgoE6EjNS0_10empty_typeEbEEZZNS1_14partition_implILS5_6ELb0ES3_mN6thrust23THRUST_200600_302600_NS6detail15normal_iteratorINSA_10device_ptrIjEEEEPS6_SG_NS0_5tupleIJNSA_16discard_iteratorINSA_11use_defaultEEES6_EEENSH_IJSG_SG_EEES6_PlJNSB_9not_fun_tI7is_trueIjEEEEEE10hipError_tPvRmT3_T4_T5_T6_T7_T9_mT8_P12ihipStream_tbDpT10_ENKUlT_T0_E_clISt17integral_constantIbLb0EES1B_EEDaS16_S17_EUlS16_E_NS1_11comp_targetILNS1_3genE10ELNS1_11target_archE1200ELNS1_3gpuE4ELNS1_3repE0EEENS1_30default_config_static_selectorELNS0_4arch9wavefront6targetE0EEEvT1_.uses_vcc, 1
	.set _ZN7rocprim17ROCPRIM_400000_NS6detail17trampoline_kernelINS0_14default_configENS1_25partition_config_selectorILNS1_17partition_subalgoE6EjNS0_10empty_typeEbEEZZNS1_14partition_implILS5_6ELb0ES3_mN6thrust23THRUST_200600_302600_NS6detail15normal_iteratorINSA_10device_ptrIjEEEEPS6_SG_NS0_5tupleIJNSA_16discard_iteratorINSA_11use_defaultEEES6_EEENSH_IJSG_SG_EEES6_PlJNSB_9not_fun_tI7is_trueIjEEEEEE10hipError_tPvRmT3_T4_T5_T6_T7_T9_mT8_P12ihipStream_tbDpT10_ENKUlT_T0_E_clISt17integral_constantIbLb0EES1B_EEDaS16_S17_EUlS16_E_NS1_11comp_targetILNS1_3genE10ELNS1_11target_archE1200ELNS1_3gpuE4ELNS1_3repE0EEENS1_30default_config_static_selectorELNS0_4arch9wavefront6targetE0EEEvT1_.uses_flat_scratch, 1
	.set _ZN7rocprim17ROCPRIM_400000_NS6detail17trampoline_kernelINS0_14default_configENS1_25partition_config_selectorILNS1_17partition_subalgoE6EjNS0_10empty_typeEbEEZZNS1_14partition_implILS5_6ELb0ES3_mN6thrust23THRUST_200600_302600_NS6detail15normal_iteratorINSA_10device_ptrIjEEEEPS6_SG_NS0_5tupleIJNSA_16discard_iteratorINSA_11use_defaultEEES6_EEENSH_IJSG_SG_EEES6_PlJNSB_9not_fun_tI7is_trueIjEEEEEE10hipError_tPvRmT3_T4_T5_T6_T7_T9_mT8_P12ihipStream_tbDpT10_ENKUlT_T0_E_clISt17integral_constantIbLb0EES1B_EEDaS16_S17_EUlS16_E_NS1_11comp_targetILNS1_3genE10ELNS1_11target_archE1200ELNS1_3gpuE4ELNS1_3repE0EEENS1_30default_config_static_selectorELNS0_4arch9wavefront6targetE0EEEvT1_.has_dyn_sized_stack, 0
	.set _ZN7rocprim17ROCPRIM_400000_NS6detail17trampoline_kernelINS0_14default_configENS1_25partition_config_selectorILNS1_17partition_subalgoE6EjNS0_10empty_typeEbEEZZNS1_14partition_implILS5_6ELb0ES3_mN6thrust23THRUST_200600_302600_NS6detail15normal_iteratorINSA_10device_ptrIjEEEEPS6_SG_NS0_5tupleIJNSA_16discard_iteratorINSA_11use_defaultEEES6_EEENSH_IJSG_SG_EEES6_PlJNSB_9not_fun_tI7is_trueIjEEEEEE10hipError_tPvRmT3_T4_T5_T6_T7_T9_mT8_P12ihipStream_tbDpT10_ENKUlT_T0_E_clISt17integral_constantIbLb0EES1B_EEDaS16_S17_EUlS16_E_NS1_11comp_targetILNS1_3genE10ELNS1_11target_archE1200ELNS1_3gpuE4ELNS1_3repE0EEENS1_30default_config_static_selectorELNS0_4arch9wavefront6targetE0EEEvT1_.has_recursion, 0
	.set _ZN7rocprim17ROCPRIM_400000_NS6detail17trampoline_kernelINS0_14default_configENS1_25partition_config_selectorILNS1_17partition_subalgoE6EjNS0_10empty_typeEbEEZZNS1_14partition_implILS5_6ELb0ES3_mN6thrust23THRUST_200600_302600_NS6detail15normal_iteratorINSA_10device_ptrIjEEEEPS6_SG_NS0_5tupleIJNSA_16discard_iteratorINSA_11use_defaultEEES6_EEENSH_IJSG_SG_EEES6_PlJNSB_9not_fun_tI7is_trueIjEEEEEE10hipError_tPvRmT3_T4_T5_T6_T7_T9_mT8_P12ihipStream_tbDpT10_ENKUlT_T0_E_clISt17integral_constantIbLb0EES1B_EEDaS16_S17_EUlS16_E_NS1_11comp_targetILNS1_3genE10ELNS1_11target_archE1200ELNS1_3gpuE4ELNS1_3repE0EEENS1_30default_config_static_selectorELNS0_4arch9wavefront6targetE0EEEvT1_.has_indirect_call, 0
	.section	.AMDGPU.csdata,"",@progbits
; Kernel info:
; codeLenInByte = 6516
; TotalNumSgprs: 23
; NumVgprs: 48
; ScratchSize: 0
; MemoryBound: 0
; FloatMode: 240
; IeeeMode: 1
; LDSByteSize: 10768 bytes/workgroup (compile time only)
; SGPRBlocks: 0
; VGPRBlocks: 5
; NumSGPRsForWavesPerEU: 23
; NumVGPRsForWavesPerEU: 48
; Occupancy: 15
; WaveLimiterHint : 1
; COMPUTE_PGM_RSRC2:SCRATCH_EN: 0
; COMPUTE_PGM_RSRC2:USER_SGPR: 2
; COMPUTE_PGM_RSRC2:TRAP_HANDLER: 0
; COMPUTE_PGM_RSRC2:TGID_X_EN: 1
; COMPUTE_PGM_RSRC2:TGID_Y_EN: 0
; COMPUTE_PGM_RSRC2:TGID_Z_EN: 0
; COMPUTE_PGM_RSRC2:TIDIG_COMP_CNT: 0
	.section	.text._ZN7rocprim17ROCPRIM_400000_NS6detail17trampoline_kernelINS0_14default_configENS1_25partition_config_selectorILNS1_17partition_subalgoE6EjNS0_10empty_typeEbEEZZNS1_14partition_implILS5_6ELb0ES3_mN6thrust23THRUST_200600_302600_NS6detail15normal_iteratorINSA_10device_ptrIjEEEEPS6_SG_NS0_5tupleIJNSA_16discard_iteratorINSA_11use_defaultEEES6_EEENSH_IJSG_SG_EEES6_PlJNSB_9not_fun_tI7is_trueIjEEEEEE10hipError_tPvRmT3_T4_T5_T6_T7_T9_mT8_P12ihipStream_tbDpT10_ENKUlT_T0_E_clISt17integral_constantIbLb0EES1B_EEDaS16_S17_EUlS16_E_NS1_11comp_targetILNS1_3genE9ELNS1_11target_archE1100ELNS1_3gpuE3ELNS1_3repE0EEENS1_30default_config_static_selectorELNS0_4arch9wavefront6targetE0EEEvT1_,"axG",@progbits,_ZN7rocprim17ROCPRIM_400000_NS6detail17trampoline_kernelINS0_14default_configENS1_25partition_config_selectorILNS1_17partition_subalgoE6EjNS0_10empty_typeEbEEZZNS1_14partition_implILS5_6ELb0ES3_mN6thrust23THRUST_200600_302600_NS6detail15normal_iteratorINSA_10device_ptrIjEEEEPS6_SG_NS0_5tupleIJNSA_16discard_iteratorINSA_11use_defaultEEES6_EEENSH_IJSG_SG_EEES6_PlJNSB_9not_fun_tI7is_trueIjEEEEEE10hipError_tPvRmT3_T4_T5_T6_T7_T9_mT8_P12ihipStream_tbDpT10_ENKUlT_T0_E_clISt17integral_constantIbLb0EES1B_EEDaS16_S17_EUlS16_E_NS1_11comp_targetILNS1_3genE9ELNS1_11target_archE1100ELNS1_3gpuE3ELNS1_3repE0EEENS1_30default_config_static_selectorELNS0_4arch9wavefront6targetE0EEEvT1_,comdat
	.protected	_ZN7rocprim17ROCPRIM_400000_NS6detail17trampoline_kernelINS0_14default_configENS1_25partition_config_selectorILNS1_17partition_subalgoE6EjNS0_10empty_typeEbEEZZNS1_14partition_implILS5_6ELb0ES3_mN6thrust23THRUST_200600_302600_NS6detail15normal_iteratorINSA_10device_ptrIjEEEEPS6_SG_NS0_5tupleIJNSA_16discard_iteratorINSA_11use_defaultEEES6_EEENSH_IJSG_SG_EEES6_PlJNSB_9not_fun_tI7is_trueIjEEEEEE10hipError_tPvRmT3_T4_T5_T6_T7_T9_mT8_P12ihipStream_tbDpT10_ENKUlT_T0_E_clISt17integral_constantIbLb0EES1B_EEDaS16_S17_EUlS16_E_NS1_11comp_targetILNS1_3genE9ELNS1_11target_archE1100ELNS1_3gpuE3ELNS1_3repE0EEENS1_30default_config_static_selectorELNS0_4arch9wavefront6targetE0EEEvT1_ ; -- Begin function _ZN7rocprim17ROCPRIM_400000_NS6detail17trampoline_kernelINS0_14default_configENS1_25partition_config_selectorILNS1_17partition_subalgoE6EjNS0_10empty_typeEbEEZZNS1_14partition_implILS5_6ELb0ES3_mN6thrust23THRUST_200600_302600_NS6detail15normal_iteratorINSA_10device_ptrIjEEEEPS6_SG_NS0_5tupleIJNSA_16discard_iteratorINSA_11use_defaultEEES6_EEENSH_IJSG_SG_EEES6_PlJNSB_9not_fun_tI7is_trueIjEEEEEE10hipError_tPvRmT3_T4_T5_T6_T7_T9_mT8_P12ihipStream_tbDpT10_ENKUlT_T0_E_clISt17integral_constantIbLb0EES1B_EEDaS16_S17_EUlS16_E_NS1_11comp_targetILNS1_3genE9ELNS1_11target_archE1100ELNS1_3gpuE3ELNS1_3repE0EEENS1_30default_config_static_selectorELNS0_4arch9wavefront6targetE0EEEvT1_
	.globl	_ZN7rocprim17ROCPRIM_400000_NS6detail17trampoline_kernelINS0_14default_configENS1_25partition_config_selectorILNS1_17partition_subalgoE6EjNS0_10empty_typeEbEEZZNS1_14partition_implILS5_6ELb0ES3_mN6thrust23THRUST_200600_302600_NS6detail15normal_iteratorINSA_10device_ptrIjEEEEPS6_SG_NS0_5tupleIJNSA_16discard_iteratorINSA_11use_defaultEEES6_EEENSH_IJSG_SG_EEES6_PlJNSB_9not_fun_tI7is_trueIjEEEEEE10hipError_tPvRmT3_T4_T5_T6_T7_T9_mT8_P12ihipStream_tbDpT10_ENKUlT_T0_E_clISt17integral_constantIbLb0EES1B_EEDaS16_S17_EUlS16_E_NS1_11comp_targetILNS1_3genE9ELNS1_11target_archE1100ELNS1_3gpuE3ELNS1_3repE0EEENS1_30default_config_static_selectorELNS0_4arch9wavefront6targetE0EEEvT1_
	.p2align	8
	.type	_ZN7rocprim17ROCPRIM_400000_NS6detail17trampoline_kernelINS0_14default_configENS1_25partition_config_selectorILNS1_17partition_subalgoE6EjNS0_10empty_typeEbEEZZNS1_14partition_implILS5_6ELb0ES3_mN6thrust23THRUST_200600_302600_NS6detail15normal_iteratorINSA_10device_ptrIjEEEEPS6_SG_NS0_5tupleIJNSA_16discard_iteratorINSA_11use_defaultEEES6_EEENSH_IJSG_SG_EEES6_PlJNSB_9not_fun_tI7is_trueIjEEEEEE10hipError_tPvRmT3_T4_T5_T6_T7_T9_mT8_P12ihipStream_tbDpT10_ENKUlT_T0_E_clISt17integral_constantIbLb0EES1B_EEDaS16_S17_EUlS16_E_NS1_11comp_targetILNS1_3genE9ELNS1_11target_archE1100ELNS1_3gpuE3ELNS1_3repE0EEENS1_30default_config_static_selectorELNS0_4arch9wavefront6targetE0EEEvT1_,@function
_ZN7rocprim17ROCPRIM_400000_NS6detail17trampoline_kernelINS0_14default_configENS1_25partition_config_selectorILNS1_17partition_subalgoE6EjNS0_10empty_typeEbEEZZNS1_14partition_implILS5_6ELb0ES3_mN6thrust23THRUST_200600_302600_NS6detail15normal_iteratorINSA_10device_ptrIjEEEEPS6_SG_NS0_5tupleIJNSA_16discard_iteratorINSA_11use_defaultEEES6_EEENSH_IJSG_SG_EEES6_PlJNSB_9not_fun_tI7is_trueIjEEEEEE10hipError_tPvRmT3_T4_T5_T6_T7_T9_mT8_P12ihipStream_tbDpT10_ENKUlT_T0_E_clISt17integral_constantIbLb0EES1B_EEDaS16_S17_EUlS16_E_NS1_11comp_targetILNS1_3genE9ELNS1_11target_archE1100ELNS1_3gpuE3ELNS1_3repE0EEENS1_30default_config_static_selectorELNS0_4arch9wavefront6targetE0EEEvT1_: ; @_ZN7rocprim17ROCPRIM_400000_NS6detail17trampoline_kernelINS0_14default_configENS1_25partition_config_selectorILNS1_17partition_subalgoE6EjNS0_10empty_typeEbEEZZNS1_14partition_implILS5_6ELb0ES3_mN6thrust23THRUST_200600_302600_NS6detail15normal_iteratorINSA_10device_ptrIjEEEEPS6_SG_NS0_5tupleIJNSA_16discard_iteratorINSA_11use_defaultEEES6_EEENSH_IJSG_SG_EEES6_PlJNSB_9not_fun_tI7is_trueIjEEEEEE10hipError_tPvRmT3_T4_T5_T6_T7_T9_mT8_P12ihipStream_tbDpT10_ENKUlT_T0_E_clISt17integral_constantIbLb0EES1B_EEDaS16_S17_EUlS16_E_NS1_11comp_targetILNS1_3genE9ELNS1_11target_archE1100ELNS1_3gpuE3ELNS1_3repE0EEENS1_30default_config_static_selectorELNS0_4arch9wavefront6targetE0EEEvT1_
; %bb.0:
	.section	.rodata,"a",@progbits
	.p2align	6, 0x0
	.amdhsa_kernel _ZN7rocprim17ROCPRIM_400000_NS6detail17trampoline_kernelINS0_14default_configENS1_25partition_config_selectorILNS1_17partition_subalgoE6EjNS0_10empty_typeEbEEZZNS1_14partition_implILS5_6ELb0ES3_mN6thrust23THRUST_200600_302600_NS6detail15normal_iteratorINSA_10device_ptrIjEEEEPS6_SG_NS0_5tupleIJNSA_16discard_iteratorINSA_11use_defaultEEES6_EEENSH_IJSG_SG_EEES6_PlJNSB_9not_fun_tI7is_trueIjEEEEEE10hipError_tPvRmT3_T4_T5_T6_T7_T9_mT8_P12ihipStream_tbDpT10_ENKUlT_T0_E_clISt17integral_constantIbLb0EES1B_EEDaS16_S17_EUlS16_E_NS1_11comp_targetILNS1_3genE9ELNS1_11target_archE1100ELNS1_3gpuE3ELNS1_3repE0EEENS1_30default_config_static_selectorELNS0_4arch9wavefront6targetE0EEEvT1_
		.amdhsa_group_segment_fixed_size 0
		.amdhsa_private_segment_fixed_size 0
		.amdhsa_kernarg_size 120
		.amdhsa_user_sgpr_count 2
		.amdhsa_user_sgpr_dispatch_ptr 0
		.amdhsa_user_sgpr_queue_ptr 0
		.amdhsa_user_sgpr_kernarg_segment_ptr 1
		.amdhsa_user_sgpr_dispatch_id 0
		.amdhsa_user_sgpr_private_segment_size 0
		.amdhsa_wavefront_size32 1
		.amdhsa_uses_dynamic_stack 0
		.amdhsa_enable_private_segment 0
		.amdhsa_system_sgpr_workgroup_id_x 1
		.amdhsa_system_sgpr_workgroup_id_y 0
		.amdhsa_system_sgpr_workgroup_id_z 0
		.amdhsa_system_sgpr_workgroup_info 0
		.amdhsa_system_vgpr_workitem_id 0
		.amdhsa_next_free_vgpr 1
		.amdhsa_next_free_sgpr 1
		.amdhsa_reserve_vcc 0
		.amdhsa_float_round_mode_32 0
		.amdhsa_float_round_mode_16_64 0
		.amdhsa_float_denorm_mode_32 3
		.amdhsa_float_denorm_mode_16_64 3
		.amdhsa_fp16_overflow 0
		.amdhsa_workgroup_processor_mode 1
		.amdhsa_memory_ordered 1
		.amdhsa_forward_progress 1
		.amdhsa_inst_pref_size 0
		.amdhsa_round_robin_scheduling 0
		.amdhsa_exception_fp_ieee_invalid_op 0
		.amdhsa_exception_fp_denorm_src 0
		.amdhsa_exception_fp_ieee_div_zero 0
		.amdhsa_exception_fp_ieee_overflow 0
		.amdhsa_exception_fp_ieee_underflow 0
		.amdhsa_exception_fp_ieee_inexact 0
		.amdhsa_exception_int_div_zero 0
	.end_amdhsa_kernel
	.section	.text._ZN7rocprim17ROCPRIM_400000_NS6detail17trampoline_kernelINS0_14default_configENS1_25partition_config_selectorILNS1_17partition_subalgoE6EjNS0_10empty_typeEbEEZZNS1_14partition_implILS5_6ELb0ES3_mN6thrust23THRUST_200600_302600_NS6detail15normal_iteratorINSA_10device_ptrIjEEEEPS6_SG_NS0_5tupleIJNSA_16discard_iteratorINSA_11use_defaultEEES6_EEENSH_IJSG_SG_EEES6_PlJNSB_9not_fun_tI7is_trueIjEEEEEE10hipError_tPvRmT3_T4_T5_T6_T7_T9_mT8_P12ihipStream_tbDpT10_ENKUlT_T0_E_clISt17integral_constantIbLb0EES1B_EEDaS16_S17_EUlS16_E_NS1_11comp_targetILNS1_3genE9ELNS1_11target_archE1100ELNS1_3gpuE3ELNS1_3repE0EEENS1_30default_config_static_selectorELNS0_4arch9wavefront6targetE0EEEvT1_,"axG",@progbits,_ZN7rocprim17ROCPRIM_400000_NS6detail17trampoline_kernelINS0_14default_configENS1_25partition_config_selectorILNS1_17partition_subalgoE6EjNS0_10empty_typeEbEEZZNS1_14partition_implILS5_6ELb0ES3_mN6thrust23THRUST_200600_302600_NS6detail15normal_iteratorINSA_10device_ptrIjEEEEPS6_SG_NS0_5tupleIJNSA_16discard_iteratorINSA_11use_defaultEEES6_EEENSH_IJSG_SG_EEES6_PlJNSB_9not_fun_tI7is_trueIjEEEEEE10hipError_tPvRmT3_T4_T5_T6_T7_T9_mT8_P12ihipStream_tbDpT10_ENKUlT_T0_E_clISt17integral_constantIbLb0EES1B_EEDaS16_S17_EUlS16_E_NS1_11comp_targetILNS1_3genE9ELNS1_11target_archE1100ELNS1_3gpuE3ELNS1_3repE0EEENS1_30default_config_static_selectorELNS0_4arch9wavefront6targetE0EEEvT1_,comdat
.Lfunc_end2179:
	.size	_ZN7rocprim17ROCPRIM_400000_NS6detail17trampoline_kernelINS0_14default_configENS1_25partition_config_selectorILNS1_17partition_subalgoE6EjNS0_10empty_typeEbEEZZNS1_14partition_implILS5_6ELb0ES3_mN6thrust23THRUST_200600_302600_NS6detail15normal_iteratorINSA_10device_ptrIjEEEEPS6_SG_NS0_5tupleIJNSA_16discard_iteratorINSA_11use_defaultEEES6_EEENSH_IJSG_SG_EEES6_PlJNSB_9not_fun_tI7is_trueIjEEEEEE10hipError_tPvRmT3_T4_T5_T6_T7_T9_mT8_P12ihipStream_tbDpT10_ENKUlT_T0_E_clISt17integral_constantIbLb0EES1B_EEDaS16_S17_EUlS16_E_NS1_11comp_targetILNS1_3genE9ELNS1_11target_archE1100ELNS1_3gpuE3ELNS1_3repE0EEENS1_30default_config_static_selectorELNS0_4arch9wavefront6targetE0EEEvT1_, .Lfunc_end2179-_ZN7rocprim17ROCPRIM_400000_NS6detail17trampoline_kernelINS0_14default_configENS1_25partition_config_selectorILNS1_17partition_subalgoE6EjNS0_10empty_typeEbEEZZNS1_14partition_implILS5_6ELb0ES3_mN6thrust23THRUST_200600_302600_NS6detail15normal_iteratorINSA_10device_ptrIjEEEEPS6_SG_NS0_5tupleIJNSA_16discard_iteratorINSA_11use_defaultEEES6_EEENSH_IJSG_SG_EEES6_PlJNSB_9not_fun_tI7is_trueIjEEEEEE10hipError_tPvRmT3_T4_T5_T6_T7_T9_mT8_P12ihipStream_tbDpT10_ENKUlT_T0_E_clISt17integral_constantIbLb0EES1B_EEDaS16_S17_EUlS16_E_NS1_11comp_targetILNS1_3genE9ELNS1_11target_archE1100ELNS1_3gpuE3ELNS1_3repE0EEENS1_30default_config_static_selectorELNS0_4arch9wavefront6targetE0EEEvT1_
                                        ; -- End function
	.set _ZN7rocprim17ROCPRIM_400000_NS6detail17trampoline_kernelINS0_14default_configENS1_25partition_config_selectorILNS1_17partition_subalgoE6EjNS0_10empty_typeEbEEZZNS1_14partition_implILS5_6ELb0ES3_mN6thrust23THRUST_200600_302600_NS6detail15normal_iteratorINSA_10device_ptrIjEEEEPS6_SG_NS0_5tupleIJNSA_16discard_iteratorINSA_11use_defaultEEES6_EEENSH_IJSG_SG_EEES6_PlJNSB_9not_fun_tI7is_trueIjEEEEEE10hipError_tPvRmT3_T4_T5_T6_T7_T9_mT8_P12ihipStream_tbDpT10_ENKUlT_T0_E_clISt17integral_constantIbLb0EES1B_EEDaS16_S17_EUlS16_E_NS1_11comp_targetILNS1_3genE9ELNS1_11target_archE1100ELNS1_3gpuE3ELNS1_3repE0EEENS1_30default_config_static_selectorELNS0_4arch9wavefront6targetE0EEEvT1_.num_vgpr, 0
	.set _ZN7rocprim17ROCPRIM_400000_NS6detail17trampoline_kernelINS0_14default_configENS1_25partition_config_selectorILNS1_17partition_subalgoE6EjNS0_10empty_typeEbEEZZNS1_14partition_implILS5_6ELb0ES3_mN6thrust23THRUST_200600_302600_NS6detail15normal_iteratorINSA_10device_ptrIjEEEEPS6_SG_NS0_5tupleIJNSA_16discard_iteratorINSA_11use_defaultEEES6_EEENSH_IJSG_SG_EEES6_PlJNSB_9not_fun_tI7is_trueIjEEEEEE10hipError_tPvRmT3_T4_T5_T6_T7_T9_mT8_P12ihipStream_tbDpT10_ENKUlT_T0_E_clISt17integral_constantIbLb0EES1B_EEDaS16_S17_EUlS16_E_NS1_11comp_targetILNS1_3genE9ELNS1_11target_archE1100ELNS1_3gpuE3ELNS1_3repE0EEENS1_30default_config_static_selectorELNS0_4arch9wavefront6targetE0EEEvT1_.num_agpr, 0
	.set _ZN7rocprim17ROCPRIM_400000_NS6detail17trampoline_kernelINS0_14default_configENS1_25partition_config_selectorILNS1_17partition_subalgoE6EjNS0_10empty_typeEbEEZZNS1_14partition_implILS5_6ELb0ES3_mN6thrust23THRUST_200600_302600_NS6detail15normal_iteratorINSA_10device_ptrIjEEEEPS6_SG_NS0_5tupleIJNSA_16discard_iteratorINSA_11use_defaultEEES6_EEENSH_IJSG_SG_EEES6_PlJNSB_9not_fun_tI7is_trueIjEEEEEE10hipError_tPvRmT3_T4_T5_T6_T7_T9_mT8_P12ihipStream_tbDpT10_ENKUlT_T0_E_clISt17integral_constantIbLb0EES1B_EEDaS16_S17_EUlS16_E_NS1_11comp_targetILNS1_3genE9ELNS1_11target_archE1100ELNS1_3gpuE3ELNS1_3repE0EEENS1_30default_config_static_selectorELNS0_4arch9wavefront6targetE0EEEvT1_.numbered_sgpr, 0
	.set _ZN7rocprim17ROCPRIM_400000_NS6detail17trampoline_kernelINS0_14default_configENS1_25partition_config_selectorILNS1_17partition_subalgoE6EjNS0_10empty_typeEbEEZZNS1_14partition_implILS5_6ELb0ES3_mN6thrust23THRUST_200600_302600_NS6detail15normal_iteratorINSA_10device_ptrIjEEEEPS6_SG_NS0_5tupleIJNSA_16discard_iteratorINSA_11use_defaultEEES6_EEENSH_IJSG_SG_EEES6_PlJNSB_9not_fun_tI7is_trueIjEEEEEE10hipError_tPvRmT3_T4_T5_T6_T7_T9_mT8_P12ihipStream_tbDpT10_ENKUlT_T0_E_clISt17integral_constantIbLb0EES1B_EEDaS16_S17_EUlS16_E_NS1_11comp_targetILNS1_3genE9ELNS1_11target_archE1100ELNS1_3gpuE3ELNS1_3repE0EEENS1_30default_config_static_selectorELNS0_4arch9wavefront6targetE0EEEvT1_.num_named_barrier, 0
	.set _ZN7rocprim17ROCPRIM_400000_NS6detail17trampoline_kernelINS0_14default_configENS1_25partition_config_selectorILNS1_17partition_subalgoE6EjNS0_10empty_typeEbEEZZNS1_14partition_implILS5_6ELb0ES3_mN6thrust23THRUST_200600_302600_NS6detail15normal_iteratorINSA_10device_ptrIjEEEEPS6_SG_NS0_5tupleIJNSA_16discard_iteratorINSA_11use_defaultEEES6_EEENSH_IJSG_SG_EEES6_PlJNSB_9not_fun_tI7is_trueIjEEEEEE10hipError_tPvRmT3_T4_T5_T6_T7_T9_mT8_P12ihipStream_tbDpT10_ENKUlT_T0_E_clISt17integral_constantIbLb0EES1B_EEDaS16_S17_EUlS16_E_NS1_11comp_targetILNS1_3genE9ELNS1_11target_archE1100ELNS1_3gpuE3ELNS1_3repE0EEENS1_30default_config_static_selectorELNS0_4arch9wavefront6targetE0EEEvT1_.private_seg_size, 0
	.set _ZN7rocprim17ROCPRIM_400000_NS6detail17trampoline_kernelINS0_14default_configENS1_25partition_config_selectorILNS1_17partition_subalgoE6EjNS0_10empty_typeEbEEZZNS1_14partition_implILS5_6ELb0ES3_mN6thrust23THRUST_200600_302600_NS6detail15normal_iteratorINSA_10device_ptrIjEEEEPS6_SG_NS0_5tupleIJNSA_16discard_iteratorINSA_11use_defaultEEES6_EEENSH_IJSG_SG_EEES6_PlJNSB_9not_fun_tI7is_trueIjEEEEEE10hipError_tPvRmT3_T4_T5_T6_T7_T9_mT8_P12ihipStream_tbDpT10_ENKUlT_T0_E_clISt17integral_constantIbLb0EES1B_EEDaS16_S17_EUlS16_E_NS1_11comp_targetILNS1_3genE9ELNS1_11target_archE1100ELNS1_3gpuE3ELNS1_3repE0EEENS1_30default_config_static_selectorELNS0_4arch9wavefront6targetE0EEEvT1_.uses_vcc, 0
	.set _ZN7rocprim17ROCPRIM_400000_NS6detail17trampoline_kernelINS0_14default_configENS1_25partition_config_selectorILNS1_17partition_subalgoE6EjNS0_10empty_typeEbEEZZNS1_14partition_implILS5_6ELb0ES3_mN6thrust23THRUST_200600_302600_NS6detail15normal_iteratorINSA_10device_ptrIjEEEEPS6_SG_NS0_5tupleIJNSA_16discard_iteratorINSA_11use_defaultEEES6_EEENSH_IJSG_SG_EEES6_PlJNSB_9not_fun_tI7is_trueIjEEEEEE10hipError_tPvRmT3_T4_T5_T6_T7_T9_mT8_P12ihipStream_tbDpT10_ENKUlT_T0_E_clISt17integral_constantIbLb0EES1B_EEDaS16_S17_EUlS16_E_NS1_11comp_targetILNS1_3genE9ELNS1_11target_archE1100ELNS1_3gpuE3ELNS1_3repE0EEENS1_30default_config_static_selectorELNS0_4arch9wavefront6targetE0EEEvT1_.uses_flat_scratch, 0
	.set _ZN7rocprim17ROCPRIM_400000_NS6detail17trampoline_kernelINS0_14default_configENS1_25partition_config_selectorILNS1_17partition_subalgoE6EjNS0_10empty_typeEbEEZZNS1_14partition_implILS5_6ELb0ES3_mN6thrust23THRUST_200600_302600_NS6detail15normal_iteratorINSA_10device_ptrIjEEEEPS6_SG_NS0_5tupleIJNSA_16discard_iteratorINSA_11use_defaultEEES6_EEENSH_IJSG_SG_EEES6_PlJNSB_9not_fun_tI7is_trueIjEEEEEE10hipError_tPvRmT3_T4_T5_T6_T7_T9_mT8_P12ihipStream_tbDpT10_ENKUlT_T0_E_clISt17integral_constantIbLb0EES1B_EEDaS16_S17_EUlS16_E_NS1_11comp_targetILNS1_3genE9ELNS1_11target_archE1100ELNS1_3gpuE3ELNS1_3repE0EEENS1_30default_config_static_selectorELNS0_4arch9wavefront6targetE0EEEvT1_.has_dyn_sized_stack, 0
	.set _ZN7rocprim17ROCPRIM_400000_NS6detail17trampoline_kernelINS0_14default_configENS1_25partition_config_selectorILNS1_17partition_subalgoE6EjNS0_10empty_typeEbEEZZNS1_14partition_implILS5_6ELb0ES3_mN6thrust23THRUST_200600_302600_NS6detail15normal_iteratorINSA_10device_ptrIjEEEEPS6_SG_NS0_5tupleIJNSA_16discard_iteratorINSA_11use_defaultEEES6_EEENSH_IJSG_SG_EEES6_PlJNSB_9not_fun_tI7is_trueIjEEEEEE10hipError_tPvRmT3_T4_T5_T6_T7_T9_mT8_P12ihipStream_tbDpT10_ENKUlT_T0_E_clISt17integral_constantIbLb0EES1B_EEDaS16_S17_EUlS16_E_NS1_11comp_targetILNS1_3genE9ELNS1_11target_archE1100ELNS1_3gpuE3ELNS1_3repE0EEENS1_30default_config_static_selectorELNS0_4arch9wavefront6targetE0EEEvT1_.has_recursion, 0
	.set _ZN7rocprim17ROCPRIM_400000_NS6detail17trampoline_kernelINS0_14default_configENS1_25partition_config_selectorILNS1_17partition_subalgoE6EjNS0_10empty_typeEbEEZZNS1_14partition_implILS5_6ELb0ES3_mN6thrust23THRUST_200600_302600_NS6detail15normal_iteratorINSA_10device_ptrIjEEEEPS6_SG_NS0_5tupleIJNSA_16discard_iteratorINSA_11use_defaultEEES6_EEENSH_IJSG_SG_EEES6_PlJNSB_9not_fun_tI7is_trueIjEEEEEE10hipError_tPvRmT3_T4_T5_T6_T7_T9_mT8_P12ihipStream_tbDpT10_ENKUlT_T0_E_clISt17integral_constantIbLb0EES1B_EEDaS16_S17_EUlS16_E_NS1_11comp_targetILNS1_3genE9ELNS1_11target_archE1100ELNS1_3gpuE3ELNS1_3repE0EEENS1_30default_config_static_selectorELNS0_4arch9wavefront6targetE0EEEvT1_.has_indirect_call, 0
	.section	.AMDGPU.csdata,"",@progbits
; Kernel info:
; codeLenInByte = 0
; TotalNumSgprs: 0
; NumVgprs: 0
; ScratchSize: 0
; MemoryBound: 0
; FloatMode: 240
; IeeeMode: 1
; LDSByteSize: 0 bytes/workgroup (compile time only)
; SGPRBlocks: 0
; VGPRBlocks: 0
; NumSGPRsForWavesPerEU: 1
; NumVGPRsForWavesPerEU: 1
; Occupancy: 16
; WaveLimiterHint : 0
; COMPUTE_PGM_RSRC2:SCRATCH_EN: 0
; COMPUTE_PGM_RSRC2:USER_SGPR: 2
; COMPUTE_PGM_RSRC2:TRAP_HANDLER: 0
; COMPUTE_PGM_RSRC2:TGID_X_EN: 1
; COMPUTE_PGM_RSRC2:TGID_Y_EN: 0
; COMPUTE_PGM_RSRC2:TGID_Z_EN: 0
; COMPUTE_PGM_RSRC2:TIDIG_COMP_CNT: 0
	.section	.text._ZN7rocprim17ROCPRIM_400000_NS6detail17trampoline_kernelINS0_14default_configENS1_25partition_config_selectorILNS1_17partition_subalgoE6EjNS0_10empty_typeEbEEZZNS1_14partition_implILS5_6ELb0ES3_mN6thrust23THRUST_200600_302600_NS6detail15normal_iteratorINSA_10device_ptrIjEEEEPS6_SG_NS0_5tupleIJNSA_16discard_iteratorINSA_11use_defaultEEES6_EEENSH_IJSG_SG_EEES6_PlJNSB_9not_fun_tI7is_trueIjEEEEEE10hipError_tPvRmT3_T4_T5_T6_T7_T9_mT8_P12ihipStream_tbDpT10_ENKUlT_T0_E_clISt17integral_constantIbLb0EES1B_EEDaS16_S17_EUlS16_E_NS1_11comp_targetILNS1_3genE8ELNS1_11target_archE1030ELNS1_3gpuE2ELNS1_3repE0EEENS1_30default_config_static_selectorELNS0_4arch9wavefront6targetE0EEEvT1_,"axG",@progbits,_ZN7rocprim17ROCPRIM_400000_NS6detail17trampoline_kernelINS0_14default_configENS1_25partition_config_selectorILNS1_17partition_subalgoE6EjNS0_10empty_typeEbEEZZNS1_14partition_implILS5_6ELb0ES3_mN6thrust23THRUST_200600_302600_NS6detail15normal_iteratorINSA_10device_ptrIjEEEEPS6_SG_NS0_5tupleIJNSA_16discard_iteratorINSA_11use_defaultEEES6_EEENSH_IJSG_SG_EEES6_PlJNSB_9not_fun_tI7is_trueIjEEEEEE10hipError_tPvRmT3_T4_T5_T6_T7_T9_mT8_P12ihipStream_tbDpT10_ENKUlT_T0_E_clISt17integral_constantIbLb0EES1B_EEDaS16_S17_EUlS16_E_NS1_11comp_targetILNS1_3genE8ELNS1_11target_archE1030ELNS1_3gpuE2ELNS1_3repE0EEENS1_30default_config_static_selectorELNS0_4arch9wavefront6targetE0EEEvT1_,comdat
	.protected	_ZN7rocprim17ROCPRIM_400000_NS6detail17trampoline_kernelINS0_14default_configENS1_25partition_config_selectorILNS1_17partition_subalgoE6EjNS0_10empty_typeEbEEZZNS1_14partition_implILS5_6ELb0ES3_mN6thrust23THRUST_200600_302600_NS6detail15normal_iteratorINSA_10device_ptrIjEEEEPS6_SG_NS0_5tupleIJNSA_16discard_iteratorINSA_11use_defaultEEES6_EEENSH_IJSG_SG_EEES6_PlJNSB_9not_fun_tI7is_trueIjEEEEEE10hipError_tPvRmT3_T4_T5_T6_T7_T9_mT8_P12ihipStream_tbDpT10_ENKUlT_T0_E_clISt17integral_constantIbLb0EES1B_EEDaS16_S17_EUlS16_E_NS1_11comp_targetILNS1_3genE8ELNS1_11target_archE1030ELNS1_3gpuE2ELNS1_3repE0EEENS1_30default_config_static_selectorELNS0_4arch9wavefront6targetE0EEEvT1_ ; -- Begin function _ZN7rocprim17ROCPRIM_400000_NS6detail17trampoline_kernelINS0_14default_configENS1_25partition_config_selectorILNS1_17partition_subalgoE6EjNS0_10empty_typeEbEEZZNS1_14partition_implILS5_6ELb0ES3_mN6thrust23THRUST_200600_302600_NS6detail15normal_iteratorINSA_10device_ptrIjEEEEPS6_SG_NS0_5tupleIJNSA_16discard_iteratorINSA_11use_defaultEEES6_EEENSH_IJSG_SG_EEES6_PlJNSB_9not_fun_tI7is_trueIjEEEEEE10hipError_tPvRmT3_T4_T5_T6_T7_T9_mT8_P12ihipStream_tbDpT10_ENKUlT_T0_E_clISt17integral_constantIbLb0EES1B_EEDaS16_S17_EUlS16_E_NS1_11comp_targetILNS1_3genE8ELNS1_11target_archE1030ELNS1_3gpuE2ELNS1_3repE0EEENS1_30default_config_static_selectorELNS0_4arch9wavefront6targetE0EEEvT1_
	.globl	_ZN7rocprim17ROCPRIM_400000_NS6detail17trampoline_kernelINS0_14default_configENS1_25partition_config_selectorILNS1_17partition_subalgoE6EjNS0_10empty_typeEbEEZZNS1_14partition_implILS5_6ELb0ES3_mN6thrust23THRUST_200600_302600_NS6detail15normal_iteratorINSA_10device_ptrIjEEEEPS6_SG_NS0_5tupleIJNSA_16discard_iteratorINSA_11use_defaultEEES6_EEENSH_IJSG_SG_EEES6_PlJNSB_9not_fun_tI7is_trueIjEEEEEE10hipError_tPvRmT3_T4_T5_T6_T7_T9_mT8_P12ihipStream_tbDpT10_ENKUlT_T0_E_clISt17integral_constantIbLb0EES1B_EEDaS16_S17_EUlS16_E_NS1_11comp_targetILNS1_3genE8ELNS1_11target_archE1030ELNS1_3gpuE2ELNS1_3repE0EEENS1_30default_config_static_selectorELNS0_4arch9wavefront6targetE0EEEvT1_
	.p2align	8
	.type	_ZN7rocprim17ROCPRIM_400000_NS6detail17trampoline_kernelINS0_14default_configENS1_25partition_config_selectorILNS1_17partition_subalgoE6EjNS0_10empty_typeEbEEZZNS1_14partition_implILS5_6ELb0ES3_mN6thrust23THRUST_200600_302600_NS6detail15normal_iteratorINSA_10device_ptrIjEEEEPS6_SG_NS0_5tupleIJNSA_16discard_iteratorINSA_11use_defaultEEES6_EEENSH_IJSG_SG_EEES6_PlJNSB_9not_fun_tI7is_trueIjEEEEEE10hipError_tPvRmT3_T4_T5_T6_T7_T9_mT8_P12ihipStream_tbDpT10_ENKUlT_T0_E_clISt17integral_constantIbLb0EES1B_EEDaS16_S17_EUlS16_E_NS1_11comp_targetILNS1_3genE8ELNS1_11target_archE1030ELNS1_3gpuE2ELNS1_3repE0EEENS1_30default_config_static_selectorELNS0_4arch9wavefront6targetE0EEEvT1_,@function
_ZN7rocprim17ROCPRIM_400000_NS6detail17trampoline_kernelINS0_14default_configENS1_25partition_config_selectorILNS1_17partition_subalgoE6EjNS0_10empty_typeEbEEZZNS1_14partition_implILS5_6ELb0ES3_mN6thrust23THRUST_200600_302600_NS6detail15normal_iteratorINSA_10device_ptrIjEEEEPS6_SG_NS0_5tupleIJNSA_16discard_iteratorINSA_11use_defaultEEES6_EEENSH_IJSG_SG_EEES6_PlJNSB_9not_fun_tI7is_trueIjEEEEEE10hipError_tPvRmT3_T4_T5_T6_T7_T9_mT8_P12ihipStream_tbDpT10_ENKUlT_T0_E_clISt17integral_constantIbLb0EES1B_EEDaS16_S17_EUlS16_E_NS1_11comp_targetILNS1_3genE8ELNS1_11target_archE1030ELNS1_3gpuE2ELNS1_3repE0EEENS1_30default_config_static_selectorELNS0_4arch9wavefront6targetE0EEEvT1_: ; @_ZN7rocprim17ROCPRIM_400000_NS6detail17trampoline_kernelINS0_14default_configENS1_25partition_config_selectorILNS1_17partition_subalgoE6EjNS0_10empty_typeEbEEZZNS1_14partition_implILS5_6ELb0ES3_mN6thrust23THRUST_200600_302600_NS6detail15normal_iteratorINSA_10device_ptrIjEEEEPS6_SG_NS0_5tupleIJNSA_16discard_iteratorINSA_11use_defaultEEES6_EEENSH_IJSG_SG_EEES6_PlJNSB_9not_fun_tI7is_trueIjEEEEEE10hipError_tPvRmT3_T4_T5_T6_T7_T9_mT8_P12ihipStream_tbDpT10_ENKUlT_T0_E_clISt17integral_constantIbLb0EES1B_EEDaS16_S17_EUlS16_E_NS1_11comp_targetILNS1_3genE8ELNS1_11target_archE1030ELNS1_3gpuE2ELNS1_3repE0EEENS1_30default_config_static_selectorELNS0_4arch9wavefront6targetE0EEEvT1_
; %bb.0:
	.section	.rodata,"a",@progbits
	.p2align	6, 0x0
	.amdhsa_kernel _ZN7rocprim17ROCPRIM_400000_NS6detail17trampoline_kernelINS0_14default_configENS1_25partition_config_selectorILNS1_17partition_subalgoE6EjNS0_10empty_typeEbEEZZNS1_14partition_implILS5_6ELb0ES3_mN6thrust23THRUST_200600_302600_NS6detail15normal_iteratorINSA_10device_ptrIjEEEEPS6_SG_NS0_5tupleIJNSA_16discard_iteratorINSA_11use_defaultEEES6_EEENSH_IJSG_SG_EEES6_PlJNSB_9not_fun_tI7is_trueIjEEEEEE10hipError_tPvRmT3_T4_T5_T6_T7_T9_mT8_P12ihipStream_tbDpT10_ENKUlT_T0_E_clISt17integral_constantIbLb0EES1B_EEDaS16_S17_EUlS16_E_NS1_11comp_targetILNS1_3genE8ELNS1_11target_archE1030ELNS1_3gpuE2ELNS1_3repE0EEENS1_30default_config_static_selectorELNS0_4arch9wavefront6targetE0EEEvT1_
		.amdhsa_group_segment_fixed_size 0
		.amdhsa_private_segment_fixed_size 0
		.amdhsa_kernarg_size 120
		.amdhsa_user_sgpr_count 2
		.amdhsa_user_sgpr_dispatch_ptr 0
		.amdhsa_user_sgpr_queue_ptr 0
		.amdhsa_user_sgpr_kernarg_segment_ptr 1
		.amdhsa_user_sgpr_dispatch_id 0
		.amdhsa_user_sgpr_private_segment_size 0
		.amdhsa_wavefront_size32 1
		.amdhsa_uses_dynamic_stack 0
		.amdhsa_enable_private_segment 0
		.amdhsa_system_sgpr_workgroup_id_x 1
		.amdhsa_system_sgpr_workgroup_id_y 0
		.amdhsa_system_sgpr_workgroup_id_z 0
		.amdhsa_system_sgpr_workgroup_info 0
		.amdhsa_system_vgpr_workitem_id 0
		.amdhsa_next_free_vgpr 1
		.amdhsa_next_free_sgpr 1
		.amdhsa_reserve_vcc 0
		.amdhsa_float_round_mode_32 0
		.amdhsa_float_round_mode_16_64 0
		.amdhsa_float_denorm_mode_32 3
		.amdhsa_float_denorm_mode_16_64 3
		.amdhsa_fp16_overflow 0
		.amdhsa_workgroup_processor_mode 1
		.amdhsa_memory_ordered 1
		.amdhsa_forward_progress 1
		.amdhsa_inst_pref_size 0
		.amdhsa_round_robin_scheduling 0
		.amdhsa_exception_fp_ieee_invalid_op 0
		.amdhsa_exception_fp_denorm_src 0
		.amdhsa_exception_fp_ieee_div_zero 0
		.amdhsa_exception_fp_ieee_overflow 0
		.amdhsa_exception_fp_ieee_underflow 0
		.amdhsa_exception_fp_ieee_inexact 0
		.amdhsa_exception_int_div_zero 0
	.end_amdhsa_kernel
	.section	.text._ZN7rocprim17ROCPRIM_400000_NS6detail17trampoline_kernelINS0_14default_configENS1_25partition_config_selectorILNS1_17partition_subalgoE6EjNS0_10empty_typeEbEEZZNS1_14partition_implILS5_6ELb0ES3_mN6thrust23THRUST_200600_302600_NS6detail15normal_iteratorINSA_10device_ptrIjEEEEPS6_SG_NS0_5tupleIJNSA_16discard_iteratorINSA_11use_defaultEEES6_EEENSH_IJSG_SG_EEES6_PlJNSB_9not_fun_tI7is_trueIjEEEEEE10hipError_tPvRmT3_T4_T5_T6_T7_T9_mT8_P12ihipStream_tbDpT10_ENKUlT_T0_E_clISt17integral_constantIbLb0EES1B_EEDaS16_S17_EUlS16_E_NS1_11comp_targetILNS1_3genE8ELNS1_11target_archE1030ELNS1_3gpuE2ELNS1_3repE0EEENS1_30default_config_static_selectorELNS0_4arch9wavefront6targetE0EEEvT1_,"axG",@progbits,_ZN7rocprim17ROCPRIM_400000_NS6detail17trampoline_kernelINS0_14default_configENS1_25partition_config_selectorILNS1_17partition_subalgoE6EjNS0_10empty_typeEbEEZZNS1_14partition_implILS5_6ELb0ES3_mN6thrust23THRUST_200600_302600_NS6detail15normal_iteratorINSA_10device_ptrIjEEEEPS6_SG_NS0_5tupleIJNSA_16discard_iteratorINSA_11use_defaultEEES6_EEENSH_IJSG_SG_EEES6_PlJNSB_9not_fun_tI7is_trueIjEEEEEE10hipError_tPvRmT3_T4_T5_T6_T7_T9_mT8_P12ihipStream_tbDpT10_ENKUlT_T0_E_clISt17integral_constantIbLb0EES1B_EEDaS16_S17_EUlS16_E_NS1_11comp_targetILNS1_3genE8ELNS1_11target_archE1030ELNS1_3gpuE2ELNS1_3repE0EEENS1_30default_config_static_selectorELNS0_4arch9wavefront6targetE0EEEvT1_,comdat
.Lfunc_end2180:
	.size	_ZN7rocprim17ROCPRIM_400000_NS6detail17trampoline_kernelINS0_14default_configENS1_25partition_config_selectorILNS1_17partition_subalgoE6EjNS0_10empty_typeEbEEZZNS1_14partition_implILS5_6ELb0ES3_mN6thrust23THRUST_200600_302600_NS6detail15normal_iteratorINSA_10device_ptrIjEEEEPS6_SG_NS0_5tupleIJNSA_16discard_iteratorINSA_11use_defaultEEES6_EEENSH_IJSG_SG_EEES6_PlJNSB_9not_fun_tI7is_trueIjEEEEEE10hipError_tPvRmT3_T4_T5_T6_T7_T9_mT8_P12ihipStream_tbDpT10_ENKUlT_T0_E_clISt17integral_constantIbLb0EES1B_EEDaS16_S17_EUlS16_E_NS1_11comp_targetILNS1_3genE8ELNS1_11target_archE1030ELNS1_3gpuE2ELNS1_3repE0EEENS1_30default_config_static_selectorELNS0_4arch9wavefront6targetE0EEEvT1_, .Lfunc_end2180-_ZN7rocprim17ROCPRIM_400000_NS6detail17trampoline_kernelINS0_14default_configENS1_25partition_config_selectorILNS1_17partition_subalgoE6EjNS0_10empty_typeEbEEZZNS1_14partition_implILS5_6ELb0ES3_mN6thrust23THRUST_200600_302600_NS6detail15normal_iteratorINSA_10device_ptrIjEEEEPS6_SG_NS0_5tupleIJNSA_16discard_iteratorINSA_11use_defaultEEES6_EEENSH_IJSG_SG_EEES6_PlJNSB_9not_fun_tI7is_trueIjEEEEEE10hipError_tPvRmT3_T4_T5_T6_T7_T9_mT8_P12ihipStream_tbDpT10_ENKUlT_T0_E_clISt17integral_constantIbLb0EES1B_EEDaS16_S17_EUlS16_E_NS1_11comp_targetILNS1_3genE8ELNS1_11target_archE1030ELNS1_3gpuE2ELNS1_3repE0EEENS1_30default_config_static_selectorELNS0_4arch9wavefront6targetE0EEEvT1_
                                        ; -- End function
	.set _ZN7rocprim17ROCPRIM_400000_NS6detail17trampoline_kernelINS0_14default_configENS1_25partition_config_selectorILNS1_17partition_subalgoE6EjNS0_10empty_typeEbEEZZNS1_14partition_implILS5_6ELb0ES3_mN6thrust23THRUST_200600_302600_NS6detail15normal_iteratorINSA_10device_ptrIjEEEEPS6_SG_NS0_5tupleIJNSA_16discard_iteratorINSA_11use_defaultEEES6_EEENSH_IJSG_SG_EEES6_PlJNSB_9not_fun_tI7is_trueIjEEEEEE10hipError_tPvRmT3_T4_T5_T6_T7_T9_mT8_P12ihipStream_tbDpT10_ENKUlT_T0_E_clISt17integral_constantIbLb0EES1B_EEDaS16_S17_EUlS16_E_NS1_11comp_targetILNS1_3genE8ELNS1_11target_archE1030ELNS1_3gpuE2ELNS1_3repE0EEENS1_30default_config_static_selectorELNS0_4arch9wavefront6targetE0EEEvT1_.num_vgpr, 0
	.set _ZN7rocprim17ROCPRIM_400000_NS6detail17trampoline_kernelINS0_14default_configENS1_25partition_config_selectorILNS1_17partition_subalgoE6EjNS0_10empty_typeEbEEZZNS1_14partition_implILS5_6ELb0ES3_mN6thrust23THRUST_200600_302600_NS6detail15normal_iteratorINSA_10device_ptrIjEEEEPS6_SG_NS0_5tupleIJNSA_16discard_iteratorINSA_11use_defaultEEES6_EEENSH_IJSG_SG_EEES6_PlJNSB_9not_fun_tI7is_trueIjEEEEEE10hipError_tPvRmT3_T4_T5_T6_T7_T9_mT8_P12ihipStream_tbDpT10_ENKUlT_T0_E_clISt17integral_constantIbLb0EES1B_EEDaS16_S17_EUlS16_E_NS1_11comp_targetILNS1_3genE8ELNS1_11target_archE1030ELNS1_3gpuE2ELNS1_3repE0EEENS1_30default_config_static_selectorELNS0_4arch9wavefront6targetE0EEEvT1_.num_agpr, 0
	.set _ZN7rocprim17ROCPRIM_400000_NS6detail17trampoline_kernelINS0_14default_configENS1_25partition_config_selectorILNS1_17partition_subalgoE6EjNS0_10empty_typeEbEEZZNS1_14partition_implILS5_6ELb0ES3_mN6thrust23THRUST_200600_302600_NS6detail15normal_iteratorINSA_10device_ptrIjEEEEPS6_SG_NS0_5tupleIJNSA_16discard_iteratorINSA_11use_defaultEEES6_EEENSH_IJSG_SG_EEES6_PlJNSB_9not_fun_tI7is_trueIjEEEEEE10hipError_tPvRmT3_T4_T5_T6_T7_T9_mT8_P12ihipStream_tbDpT10_ENKUlT_T0_E_clISt17integral_constantIbLb0EES1B_EEDaS16_S17_EUlS16_E_NS1_11comp_targetILNS1_3genE8ELNS1_11target_archE1030ELNS1_3gpuE2ELNS1_3repE0EEENS1_30default_config_static_selectorELNS0_4arch9wavefront6targetE0EEEvT1_.numbered_sgpr, 0
	.set _ZN7rocprim17ROCPRIM_400000_NS6detail17trampoline_kernelINS0_14default_configENS1_25partition_config_selectorILNS1_17partition_subalgoE6EjNS0_10empty_typeEbEEZZNS1_14partition_implILS5_6ELb0ES3_mN6thrust23THRUST_200600_302600_NS6detail15normal_iteratorINSA_10device_ptrIjEEEEPS6_SG_NS0_5tupleIJNSA_16discard_iteratorINSA_11use_defaultEEES6_EEENSH_IJSG_SG_EEES6_PlJNSB_9not_fun_tI7is_trueIjEEEEEE10hipError_tPvRmT3_T4_T5_T6_T7_T9_mT8_P12ihipStream_tbDpT10_ENKUlT_T0_E_clISt17integral_constantIbLb0EES1B_EEDaS16_S17_EUlS16_E_NS1_11comp_targetILNS1_3genE8ELNS1_11target_archE1030ELNS1_3gpuE2ELNS1_3repE0EEENS1_30default_config_static_selectorELNS0_4arch9wavefront6targetE0EEEvT1_.num_named_barrier, 0
	.set _ZN7rocprim17ROCPRIM_400000_NS6detail17trampoline_kernelINS0_14default_configENS1_25partition_config_selectorILNS1_17partition_subalgoE6EjNS0_10empty_typeEbEEZZNS1_14partition_implILS5_6ELb0ES3_mN6thrust23THRUST_200600_302600_NS6detail15normal_iteratorINSA_10device_ptrIjEEEEPS6_SG_NS0_5tupleIJNSA_16discard_iteratorINSA_11use_defaultEEES6_EEENSH_IJSG_SG_EEES6_PlJNSB_9not_fun_tI7is_trueIjEEEEEE10hipError_tPvRmT3_T4_T5_T6_T7_T9_mT8_P12ihipStream_tbDpT10_ENKUlT_T0_E_clISt17integral_constantIbLb0EES1B_EEDaS16_S17_EUlS16_E_NS1_11comp_targetILNS1_3genE8ELNS1_11target_archE1030ELNS1_3gpuE2ELNS1_3repE0EEENS1_30default_config_static_selectorELNS0_4arch9wavefront6targetE0EEEvT1_.private_seg_size, 0
	.set _ZN7rocprim17ROCPRIM_400000_NS6detail17trampoline_kernelINS0_14default_configENS1_25partition_config_selectorILNS1_17partition_subalgoE6EjNS0_10empty_typeEbEEZZNS1_14partition_implILS5_6ELb0ES3_mN6thrust23THRUST_200600_302600_NS6detail15normal_iteratorINSA_10device_ptrIjEEEEPS6_SG_NS0_5tupleIJNSA_16discard_iteratorINSA_11use_defaultEEES6_EEENSH_IJSG_SG_EEES6_PlJNSB_9not_fun_tI7is_trueIjEEEEEE10hipError_tPvRmT3_T4_T5_T6_T7_T9_mT8_P12ihipStream_tbDpT10_ENKUlT_T0_E_clISt17integral_constantIbLb0EES1B_EEDaS16_S17_EUlS16_E_NS1_11comp_targetILNS1_3genE8ELNS1_11target_archE1030ELNS1_3gpuE2ELNS1_3repE0EEENS1_30default_config_static_selectorELNS0_4arch9wavefront6targetE0EEEvT1_.uses_vcc, 0
	.set _ZN7rocprim17ROCPRIM_400000_NS6detail17trampoline_kernelINS0_14default_configENS1_25partition_config_selectorILNS1_17partition_subalgoE6EjNS0_10empty_typeEbEEZZNS1_14partition_implILS5_6ELb0ES3_mN6thrust23THRUST_200600_302600_NS6detail15normal_iteratorINSA_10device_ptrIjEEEEPS6_SG_NS0_5tupleIJNSA_16discard_iteratorINSA_11use_defaultEEES6_EEENSH_IJSG_SG_EEES6_PlJNSB_9not_fun_tI7is_trueIjEEEEEE10hipError_tPvRmT3_T4_T5_T6_T7_T9_mT8_P12ihipStream_tbDpT10_ENKUlT_T0_E_clISt17integral_constantIbLb0EES1B_EEDaS16_S17_EUlS16_E_NS1_11comp_targetILNS1_3genE8ELNS1_11target_archE1030ELNS1_3gpuE2ELNS1_3repE0EEENS1_30default_config_static_selectorELNS0_4arch9wavefront6targetE0EEEvT1_.uses_flat_scratch, 0
	.set _ZN7rocprim17ROCPRIM_400000_NS6detail17trampoline_kernelINS0_14default_configENS1_25partition_config_selectorILNS1_17partition_subalgoE6EjNS0_10empty_typeEbEEZZNS1_14partition_implILS5_6ELb0ES3_mN6thrust23THRUST_200600_302600_NS6detail15normal_iteratorINSA_10device_ptrIjEEEEPS6_SG_NS0_5tupleIJNSA_16discard_iteratorINSA_11use_defaultEEES6_EEENSH_IJSG_SG_EEES6_PlJNSB_9not_fun_tI7is_trueIjEEEEEE10hipError_tPvRmT3_T4_T5_T6_T7_T9_mT8_P12ihipStream_tbDpT10_ENKUlT_T0_E_clISt17integral_constantIbLb0EES1B_EEDaS16_S17_EUlS16_E_NS1_11comp_targetILNS1_3genE8ELNS1_11target_archE1030ELNS1_3gpuE2ELNS1_3repE0EEENS1_30default_config_static_selectorELNS0_4arch9wavefront6targetE0EEEvT1_.has_dyn_sized_stack, 0
	.set _ZN7rocprim17ROCPRIM_400000_NS6detail17trampoline_kernelINS0_14default_configENS1_25partition_config_selectorILNS1_17partition_subalgoE6EjNS0_10empty_typeEbEEZZNS1_14partition_implILS5_6ELb0ES3_mN6thrust23THRUST_200600_302600_NS6detail15normal_iteratorINSA_10device_ptrIjEEEEPS6_SG_NS0_5tupleIJNSA_16discard_iteratorINSA_11use_defaultEEES6_EEENSH_IJSG_SG_EEES6_PlJNSB_9not_fun_tI7is_trueIjEEEEEE10hipError_tPvRmT3_T4_T5_T6_T7_T9_mT8_P12ihipStream_tbDpT10_ENKUlT_T0_E_clISt17integral_constantIbLb0EES1B_EEDaS16_S17_EUlS16_E_NS1_11comp_targetILNS1_3genE8ELNS1_11target_archE1030ELNS1_3gpuE2ELNS1_3repE0EEENS1_30default_config_static_selectorELNS0_4arch9wavefront6targetE0EEEvT1_.has_recursion, 0
	.set _ZN7rocprim17ROCPRIM_400000_NS6detail17trampoline_kernelINS0_14default_configENS1_25partition_config_selectorILNS1_17partition_subalgoE6EjNS0_10empty_typeEbEEZZNS1_14partition_implILS5_6ELb0ES3_mN6thrust23THRUST_200600_302600_NS6detail15normal_iteratorINSA_10device_ptrIjEEEEPS6_SG_NS0_5tupleIJNSA_16discard_iteratorINSA_11use_defaultEEES6_EEENSH_IJSG_SG_EEES6_PlJNSB_9not_fun_tI7is_trueIjEEEEEE10hipError_tPvRmT3_T4_T5_T6_T7_T9_mT8_P12ihipStream_tbDpT10_ENKUlT_T0_E_clISt17integral_constantIbLb0EES1B_EEDaS16_S17_EUlS16_E_NS1_11comp_targetILNS1_3genE8ELNS1_11target_archE1030ELNS1_3gpuE2ELNS1_3repE0EEENS1_30default_config_static_selectorELNS0_4arch9wavefront6targetE0EEEvT1_.has_indirect_call, 0
	.section	.AMDGPU.csdata,"",@progbits
; Kernel info:
; codeLenInByte = 0
; TotalNumSgprs: 0
; NumVgprs: 0
; ScratchSize: 0
; MemoryBound: 0
; FloatMode: 240
; IeeeMode: 1
; LDSByteSize: 0 bytes/workgroup (compile time only)
; SGPRBlocks: 0
; VGPRBlocks: 0
; NumSGPRsForWavesPerEU: 1
; NumVGPRsForWavesPerEU: 1
; Occupancy: 16
; WaveLimiterHint : 0
; COMPUTE_PGM_RSRC2:SCRATCH_EN: 0
; COMPUTE_PGM_RSRC2:USER_SGPR: 2
; COMPUTE_PGM_RSRC2:TRAP_HANDLER: 0
; COMPUTE_PGM_RSRC2:TGID_X_EN: 1
; COMPUTE_PGM_RSRC2:TGID_Y_EN: 0
; COMPUTE_PGM_RSRC2:TGID_Z_EN: 0
; COMPUTE_PGM_RSRC2:TIDIG_COMP_CNT: 0
	.section	.text._ZN7rocprim17ROCPRIM_400000_NS6detail17trampoline_kernelINS0_14default_configENS1_25partition_config_selectorILNS1_17partition_subalgoE6EjNS0_10empty_typeEbEEZZNS1_14partition_implILS5_6ELb0ES3_mN6thrust23THRUST_200600_302600_NS6detail15normal_iteratorINSA_10device_ptrIjEEEEPS6_SG_NS0_5tupleIJNSA_16discard_iteratorINSA_11use_defaultEEES6_EEENSH_IJSG_SG_EEES6_PlJNSB_9not_fun_tI7is_trueIjEEEEEE10hipError_tPvRmT3_T4_T5_T6_T7_T9_mT8_P12ihipStream_tbDpT10_ENKUlT_T0_E_clISt17integral_constantIbLb1EES1B_EEDaS16_S17_EUlS16_E_NS1_11comp_targetILNS1_3genE0ELNS1_11target_archE4294967295ELNS1_3gpuE0ELNS1_3repE0EEENS1_30default_config_static_selectorELNS0_4arch9wavefront6targetE0EEEvT1_,"axG",@progbits,_ZN7rocprim17ROCPRIM_400000_NS6detail17trampoline_kernelINS0_14default_configENS1_25partition_config_selectorILNS1_17partition_subalgoE6EjNS0_10empty_typeEbEEZZNS1_14partition_implILS5_6ELb0ES3_mN6thrust23THRUST_200600_302600_NS6detail15normal_iteratorINSA_10device_ptrIjEEEEPS6_SG_NS0_5tupleIJNSA_16discard_iteratorINSA_11use_defaultEEES6_EEENSH_IJSG_SG_EEES6_PlJNSB_9not_fun_tI7is_trueIjEEEEEE10hipError_tPvRmT3_T4_T5_T6_T7_T9_mT8_P12ihipStream_tbDpT10_ENKUlT_T0_E_clISt17integral_constantIbLb1EES1B_EEDaS16_S17_EUlS16_E_NS1_11comp_targetILNS1_3genE0ELNS1_11target_archE4294967295ELNS1_3gpuE0ELNS1_3repE0EEENS1_30default_config_static_selectorELNS0_4arch9wavefront6targetE0EEEvT1_,comdat
	.protected	_ZN7rocprim17ROCPRIM_400000_NS6detail17trampoline_kernelINS0_14default_configENS1_25partition_config_selectorILNS1_17partition_subalgoE6EjNS0_10empty_typeEbEEZZNS1_14partition_implILS5_6ELb0ES3_mN6thrust23THRUST_200600_302600_NS6detail15normal_iteratorINSA_10device_ptrIjEEEEPS6_SG_NS0_5tupleIJNSA_16discard_iteratorINSA_11use_defaultEEES6_EEENSH_IJSG_SG_EEES6_PlJNSB_9not_fun_tI7is_trueIjEEEEEE10hipError_tPvRmT3_T4_T5_T6_T7_T9_mT8_P12ihipStream_tbDpT10_ENKUlT_T0_E_clISt17integral_constantIbLb1EES1B_EEDaS16_S17_EUlS16_E_NS1_11comp_targetILNS1_3genE0ELNS1_11target_archE4294967295ELNS1_3gpuE0ELNS1_3repE0EEENS1_30default_config_static_selectorELNS0_4arch9wavefront6targetE0EEEvT1_ ; -- Begin function _ZN7rocprim17ROCPRIM_400000_NS6detail17trampoline_kernelINS0_14default_configENS1_25partition_config_selectorILNS1_17partition_subalgoE6EjNS0_10empty_typeEbEEZZNS1_14partition_implILS5_6ELb0ES3_mN6thrust23THRUST_200600_302600_NS6detail15normal_iteratorINSA_10device_ptrIjEEEEPS6_SG_NS0_5tupleIJNSA_16discard_iteratorINSA_11use_defaultEEES6_EEENSH_IJSG_SG_EEES6_PlJNSB_9not_fun_tI7is_trueIjEEEEEE10hipError_tPvRmT3_T4_T5_T6_T7_T9_mT8_P12ihipStream_tbDpT10_ENKUlT_T0_E_clISt17integral_constantIbLb1EES1B_EEDaS16_S17_EUlS16_E_NS1_11comp_targetILNS1_3genE0ELNS1_11target_archE4294967295ELNS1_3gpuE0ELNS1_3repE0EEENS1_30default_config_static_selectorELNS0_4arch9wavefront6targetE0EEEvT1_
	.globl	_ZN7rocprim17ROCPRIM_400000_NS6detail17trampoline_kernelINS0_14default_configENS1_25partition_config_selectorILNS1_17partition_subalgoE6EjNS0_10empty_typeEbEEZZNS1_14partition_implILS5_6ELb0ES3_mN6thrust23THRUST_200600_302600_NS6detail15normal_iteratorINSA_10device_ptrIjEEEEPS6_SG_NS0_5tupleIJNSA_16discard_iteratorINSA_11use_defaultEEES6_EEENSH_IJSG_SG_EEES6_PlJNSB_9not_fun_tI7is_trueIjEEEEEE10hipError_tPvRmT3_T4_T5_T6_T7_T9_mT8_P12ihipStream_tbDpT10_ENKUlT_T0_E_clISt17integral_constantIbLb1EES1B_EEDaS16_S17_EUlS16_E_NS1_11comp_targetILNS1_3genE0ELNS1_11target_archE4294967295ELNS1_3gpuE0ELNS1_3repE0EEENS1_30default_config_static_selectorELNS0_4arch9wavefront6targetE0EEEvT1_
	.p2align	8
	.type	_ZN7rocprim17ROCPRIM_400000_NS6detail17trampoline_kernelINS0_14default_configENS1_25partition_config_selectorILNS1_17partition_subalgoE6EjNS0_10empty_typeEbEEZZNS1_14partition_implILS5_6ELb0ES3_mN6thrust23THRUST_200600_302600_NS6detail15normal_iteratorINSA_10device_ptrIjEEEEPS6_SG_NS0_5tupleIJNSA_16discard_iteratorINSA_11use_defaultEEES6_EEENSH_IJSG_SG_EEES6_PlJNSB_9not_fun_tI7is_trueIjEEEEEE10hipError_tPvRmT3_T4_T5_T6_T7_T9_mT8_P12ihipStream_tbDpT10_ENKUlT_T0_E_clISt17integral_constantIbLb1EES1B_EEDaS16_S17_EUlS16_E_NS1_11comp_targetILNS1_3genE0ELNS1_11target_archE4294967295ELNS1_3gpuE0ELNS1_3repE0EEENS1_30default_config_static_selectorELNS0_4arch9wavefront6targetE0EEEvT1_,@function
_ZN7rocprim17ROCPRIM_400000_NS6detail17trampoline_kernelINS0_14default_configENS1_25partition_config_selectorILNS1_17partition_subalgoE6EjNS0_10empty_typeEbEEZZNS1_14partition_implILS5_6ELb0ES3_mN6thrust23THRUST_200600_302600_NS6detail15normal_iteratorINSA_10device_ptrIjEEEEPS6_SG_NS0_5tupleIJNSA_16discard_iteratorINSA_11use_defaultEEES6_EEENSH_IJSG_SG_EEES6_PlJNSB_9not_fun_tI7is_trueIjEEEEEE10hipError_tPvRmT3_T4_T5_T6_T7_T9_mT8_P12ihipStream_tbDpT10_ENKUlT_T0_E_clISt17integral_constantIbLb1EES1B_EEDaS16_S17_EUlS16_E_NS1_11comp_targetILNS1_3genE0ELNS1_11target_archE4294967295ELNS1_3gpuE0ELNS1_3repE0EEENS1_30default_config_static_selectorELNS0_4arch9wavefront6targetE0EEEvT1_: ; @_ZN7rocprim17ROCPRIM_400000_NS6detail17trampoline_kernelINS0_14default_configENS1_25partition_config_selectorILNS1_17partition_subalgoE6EjNS0_10empty_typeEbEEZZNS1_14partition_implILS5_6ELb0ES3_mN6thrust23THRUST_200600_302600_NS6detail15normal_iteratorINSA_10device_ptrIjEEEEPS6_SG_NS0_5tupleIJNSA_16discard_iteratorINSA_11use_defaultEEES6_EEENSH_IJSG_SG_EEES6_PlJNSB_9not_fun_tI7is_trueIjEEEEEE10hipError_tPvRmT3_T4_T5_T6_T7_T9_mT8_P12ihipStream_tbDpT10_ENKUlT_T0_E_clISt17integral_constantIbLb1EES1B_EEDaS16_S17_EUlS16_E_NS1_11comp_targetILNS1_3genE0ELNS1_11target_archE4294967295ELNS1_3gpuE0ELNS1_3repE0EEENS1_30default_config_static_selectorELNS0_4arch9wavefront6targetE0EEEvT1_
; %bb.0:
	.section	.rodata,"a",@progbits
	.p2align	6, 0x0
	.amdhsa_kernel _ZN7rocprim17ROCPRIM_400000_NS6detail17trampoline_kernelINS0_14default_configENS1_25partition_config_selectorILNS1_17partition_subalgoE6EjNS0_10empty_typeEbEEZZNS1_14partition_implILS5_6ELb0ES3_mN6thrust23THRUST_200600_302600_NS6detail15normal_iteratorINSA_10device_ptrIjEEEEPS6_SG_NS0_5tupleIJNSA_16discard_iteratorINSA_11use_defaultEEES6_EEENSH_IJSG_SG_EEES6_PlJNSB_9not_fun_tI7is_trueIjEEEEEE10hipError_tPvRmT3_T4_T5_T6_T7_T9_mT8_P12ihipStream_tbDpT10_ENKUlT_T0_E_clISt17integral_constantIbLb1EES1B_EEDaS16_S17_EUlS16_E_NS1_11comp_targetILNS1_3genE0ELNS1_11target_archE4294967295ELNS1_3gpuE0ELNS1_3repE0EEENS1_30default_config_static_selectorELNS0_4arch9wavefront6targetE0EEEvT1_
		.amdhsa_group_segment_fixed_size 0
		.amdhsa_private_segment_fixed_size 0
		.amdhsa_kernarg_size 136
		.amdhsa_user_sgpr_count 2
		.amdhsa_user_sgpr_dispatch_ptr 0
		.amdhsa_user_sgpr_queue_ptr 0
		.amdhsa_user_sgpr_kernarg_segment_ptr 1
		.amdhsa_user_sgpr_dispatch_id 0
		.amdhsa_user_sgpr_private_segment_size 0
		.amdhsa_wavefront_size32 1
		.amdhsa_uses_dynamic_stack 0
		.amdhsa_enable_private_segment 0
		.amdhsa_system_sgpr_workgroup_id_x 1
		.amdhsa_system_sgpr_workgroup_id_y 0
		.amdhsa_system_sgpr_workgroup_id_z 0
		.amdhsa_system_sgpr_workgroup_info 0
		.amdhsa_system_vgpr_workitem_id 0
		.amdhsa_next_free_vgpr 1
		.amdhsa_next_free_sgpr 1
		.amdhsa_reserve_vcc 0
		.amdhsa_float_round_mode_32 0
		.amdhsa_float_round_mode_16_64 0
		.amdhsa_float_denorm_mode_32 3
		.amdhsa_float_denorm_mode_16_64 3
		.amdhsa_fp16_overflow 0
		.amdhsa_workgroup_processor_mode 1
		.amdhsa_memory_ordered 1
		.amdhsa_forward_progress 1
		.amdhsa_inst_pref_size 0
		.amdhsa_round_robin_scheduling 0
		.amdhsa_exception_fp_ieee_invalid_op 0
		.amdhsa_exception_fp_denorm_src 0
		.amdhsa_exception_fp_ieee_div_zero 0
		.amdhsa_exception_fp_ieee_overflow 0
		.amdhsa_exception_fp_ieee_underflow 0
		.amdhsa_exception_fp_ieee_inexact 0
		.amdhsa_exception_int_div_zero 0
	.end_amdhsa_kernel
	.section	.text._ZN7rocprim17ROCPRIM_400000_NS6detail17trampoline_kernelINS0_14default_configENS1_25partition_config_selectorILNS1_17partition_subalgoE6EjNS0_10empty_typeEbEEZZNS1_14partition_implILS5_6ELb0ES3_mN6thrust23THRUST_200600_302600_NS6detail15normal_iteratorINSA_10device_ptrIjEEEEPS6_SG_NS0_5tupleIJNSA_16discard_iteratorINSA_11use_defaultEEES6_EEENSH_IJSG_SG_EEES6_PlJNSB_9not_fun_tI7is_trueIjEEEEEE10hipError_tPvRmT3_T4_T5_T6_T7_T9_mT8_P12ihipStream_tbDpT10_ENKUlT_T0_E_clISt17integral_constantIbLb1EES1B_EEDaS16_S17_EUlS16_E_NS1_11comp_targetILNS1_3genE0ELNS1_11target_archE4294967295ELNS1_3gpuE0ELNS1_3repE0EEENS1_30default_config_static_selectorELNS0_4arch9wavefront6targetE0EEEvT1_,"axG",@progbits,_ZN7rocprim17ROCPRIM_400000_NS6detail17trampoline_kernelINS0_14default_configENS1_25partition_config_selectorILNS1_17partition_subalgoE6EjNS0_10empty_typeEbEEZZNS1_14partition_implILS5_6ELb0ES3_mN6thrust23THRUST_200600_302600_NS6detail15normal_iteratorINSA_10device_ptrIjEEEEPS6_SG_NS0_5tupleIJNSA_16discard_iteratorINSA_11use_defaultEEES6_EEENSH_IJSG_SG_EEES6_PlJNSB_9not_fun_tI7is_trueIjEEEEEE10hipError_tPvRmT3_T4_T5_T6_T7_T9_mT8_P12ihipStream_tbDpT10_ENKUlT_T0_E_clISt17integral_constantIbLb1EES1B_EEDaS16_S17_EUlS16_E_NS1_11comp_targetILNS1_3genE0ELNS1_11target_archE4294967295ELNS1_3gpuE0ELNS1_3repE0EEENS1_30default_config_static_selectorELNS0_4arch9wavefront6targetE0EEEvT1_,comdat
.Lfunc_end2181:
	.size	_ZN7rocprim17ROCPRIM_400000_NS6detail17trampoline_kernelINS0_14default_configENS1_25partition_config_selectorILNS1_17partition_subalgoE6EjNS0_10empty_typeEbEEZZNS1_14partition_implILS5_6ELb0ES3_mN6thrust23THRUST_200600_302600_NS6detail15normal_iteratorINSA_10device_ptrIjEEEEPS6_SG_NS0_5tupleIJNSA_16discard_iteratorINSA_11use_defaultEEES6_EEENSH_IJSG_SG_EEES6_PlJNSB_9not_fun_tI7is_trueIjEEEEEE10hipError_tPvRmT3_T4_T5_T6_T7_T9_mT8_P12ihipStream_tbDpT10_ENKUlT_T0_E_clISt17integral_constantIbLb1EES1B_EEDaS16_S17_EUlS16_E_NS1_11comp_targetILNS1_3genE0ELNS1_11target_archE4294967295ELNS1_3gpuE0ELNS1_3repE0EEENS1_30default_config_static_selectorELNS0_4arch9wavefront6targetE0EEEvT1_, .Lfunc_end2181-_ZN7rocprim17ROCPRIM_400000_NS6detail17trampoline_kernelINS0_14default_configENS1_25partition_config_selectorILNS1_17partition_subalgoE6EjNS0_10empty_typeEbEEZZNS1_14partition_implILS5_6ELb0ES3_mN6thrust23THRUST_200600_302600_NS6detail15normal_iteratorINSA_10device_ptrIjEEEEPS6_SG_NS0_5tupleIJNSA_16discard_iteratorINSA_11use_defaultEEES6_EEENSH_IJSG_SG_EEES6_PlJNSB_9not_fun_tI7is_trueIjEEEEEE10hipError_tPvRmT3_T4_T5_T6_T7_T9_mT8_P12ihipStream_tbDpT10_ENKUlT_T0_E_clISt17integral_constantIbLb1EES1B_EEDaS16_S17_EUlS16_E_NS1_11comp_targetILNS1_3genE0ELNS1_11target_archE4294967295ELNS1_3gpuE0ELNS1_3repE0EEENS1_30default_config_static_selectorELNS0_4arch9wavefront6targetE0EEEvT1_
                                        ; -- End function
	.set _ZN7rocprim17ROCPRIM_400000_NS6detail17trampoline_kernelINS0_14default_configENS1_25partition_config_selectorILNS1_17partition_subalgoE6EjNS0_10empty_typeEbEEZZNS1_14partition_implILS5_6ELb0ES3_mN6thrust23THRUST_200600_302600_NS6detail15normal_iteratorINSA_10device_ptrIjEEEEPS6_SG_NS0_5tupleIJNSA_16discard_iteratorINSA_11use_defaultEEES6_EEENSH_IJSG_SG_EEES6_PlJNSB_9not_fun_tI7is_trueIjEEEEEE10hipError_tPvRmT3_T4_T5_T6_T7_T9_mT8_P12ihipStream_tbDpT10_ENKUlT_T0_E_clISt17integral_constantIbLb1EES1B_EEDaS16_S17_EUlS16_E_NS1_11comp_targetILNS1_3genE0ELNS1_11target_archE4294967295ELNS1_3gpuE0ELNS1_3repE0EEENS1_30default_config_static_selectorELNS0_4arch9wavefront6targetE0EEEvT1_.num_vgpr, 0
	.set _ZN7rocprim17ROCPRIM_400000_NS6detail17trampoline_kernelINS0_14default_configENS1_25partition_config_selectorILNS1_17partition_subalgoE6EjNS0_10empty_typeEbEEZZNS1_14partition_implILS5_6ELb0ES3_mN6thrust23THRUST_200600_302600_NS6detail15normal_iteratorINSA_10device_ptrIjEEEEPS6_SG_NS0_5tupleIJNSA_16discard_iteratorINSA_11use_defaultEEES6_EEENSH_IJSG_SG_EEES6_PlJNSB_9not_fun_tI7is_trueIjEEEEEE10hipError_tPvRmT3_T4_T5_T6_T7_T9_mT8_P12ihipStream_tbDpT10_ENKUlT_T0_E_clISt17integral_constantIbLb1EES1B_EEDaS16_S17_EUlS16_E_NS1_11comp_targetILNS1_3genE0ELNS1_11target_archE4294967295ELNS1_3gpuE0ELNS1_3repE0EEENS1_30default_config_static_selectorELNS0_4arch9wavefront6targetE0EEEvT1_.num_agpr, 0
	.set _ZN7rocprim17ROCPRIM_400000_NS6detail17trampoline_kernelINS0_14default_configENS1_25partition_config_selectorILNS1_17partition_subalgoE6EjNS0_10empty_typeEbEEZZNS1_14partition_implILS5_6ELb0ES3_mN6thrust23THRUST_200600_302600_NS6detail15normal_iteratorINSA_10device_ptrIjEEEEPS6_SG_NS0_5tupleIJNSA_16discard_iteratorINSA_11use_defaultEEES6_EEENSH_IJSG_SG_EEES6_PlJNSB_9not_fun_tI7is_trueIjEEEEEE10hipError_tPvRmT3_T4_T5_T6_T7_T9_mT8_P12ihipStream_tbDpT10_ENKUlT_T0_E_clISt17integral_constantIbLb1EES1B_EEDaS16_S17_EUlS16_E_NS1_11comp_targetILNS1_3genE0ELNS1_11target_archE4294967295ELNS1_3gpuE0ELNS1_3repE0EEENS1_30default_config_static_selectorELNS0_4arch9wavefront6targetE0EEEvT1_.numbered_sgpr, 0
	.set _ZN7rocprim17ROCPRIM_400000_NS6detail17trampoline_kernelINS0_14default_configENS1_25partition_config_selectorILNS1_17partition_subalgoE6EjNS0_10empty_typeEbEEZZNS1_14partition_implILS5_6ELb0ES3_mN6thrust23THRUST_200600_302600_NS6detail15normal_iteratorINSA_10device_ptrIjEEEEPS6_SG_NS0_5tupleIJNSA_16discard_iteratorINSA_11use_defaultEEES6_EEENSH_IJSG_SG_EEES6_PlJNSB_9not_fun_tI7is_trueIjEEEEEE10hipError_tPvRmT3_T4_T5_T6_T7_T9_mT8_P12ihipStream_tbDpT10_ENKUlT_T0_E_clISt17integral_constantIbLb1EES1B_EEDaS16_S17_EUlS16_E_NS1_11comp_targetILNS1_3genE0ELNS1_11target_archE4294967295ELNS1_3gpuE0ELNS1_3repE0EEENS1_30default_config_static_selectorELNS0_4arch9wavefront6targetE0EEEvT1_.num_named_barrier, 0
	.set _ZN7rocprim17ROCPRIM_400000_NS6detail17trampoline_kernelINS0_14default_configENS1_25partition_config_selectorILNS1_17partition_subalgoE6EjNS0_10empty_typeEbEEZZNS1_14partition_implILS5_6ELb0ES3_mN6thrust23THRUST_200600_302600_NS6detail15normal_iteratorINSA_10device_ptrIjEEEEPS6_SG_NS0_5tupleIJNSA_16discard_iteratorINSA_11use_defaultEEES6_EEENSH_IJSG_SG_EEES6_PlJNSB_9not_fun_tI7is_trueIjEEEEEE10hipError_tPvRmT3_T4_T5_T6_T7_T9_mT8_P12ihipStream_tbDpT10_ENKUlT_T0_E_clISt17integral_constantIbLb1EES1B_EEDaS16_S17_EUlS16_E_NS1_11comp_targetILNS1_3genE0ELNS1_11target_archE4294967295ELNS1_3gpuE0ELNS1_3repE0EEENS1_30default_config_static_selectorELNS0_4arch9wavefront6targetE0EEEvT1_.private_seg_size, 0
	.set _ZN7rocprim17ROCPRIM_400000_NS6detail17trampoline_kernelINS0_14default_configENS1_25partition_config_selectorILNS1_17partition_subalgoE6EjNS0_10empty_typeEbEEZZNS1_14partition_implILS5_6ELb0ES3_mN6thrust23THRUST_200600_302600_NS6detail15normal_iteratorINSA_10device_ptrIjEEEEPS6_SG_NS0_5tupleIJNSA_16discard_iteratorINSA_11use_defaultEEES6_EEENSH_IJSG_SG_EEES6_PlJNSB_9not_fun_tI7is_trueIjEEEEEE10hipError_tPvRmT3_T4_T5_T6_T7_T9_mT8_P12ihipStream_tbDpT10_ENKUlT_T0_E_clISt17integral_constantIbLb1EES1B_EEDaS16_S17_EUlS16_E_NS1_11comp_targetILNS1_3genE0ELNS1_11target_archE4294967295ELNS1_3gpuE0ELNS1_3repE0EEENS1_30default_config_static_selectorELNS0_4arch9wavefront6targetE0EEEvT1_.uses_vcc, 0
	.set _ZN7rocprim17ROCPRIM_400000_NS6detail17trampoline_kernelINS0_14default_configENS1_25partition_config_selectorILNS1_17partition_subalgoE6EjNS0_10empty_typeEbEEZZNS1_14partition_implILS5_6ELb0ES3_mN6thrust23THRUST_200600_302600_NS6detail15normal_iteratorINSA_10device_ptrIjEEEEPS6_SG_NS0_5tupleIJNSA_16discard_iteratorINSA_11use_defaultEEES6_EEENSH_IJSG_SG_EEES6_PlJNSB_9not_fun_tI7is_trueIjEEEEEE10hipError_tPvRmT3_T4_T5_T6_T7_T9_mT8_P12ihipStream_tbDpT10_ENKUlT_T0_E_clISt17integral_constantIbLb1EES1B_EEDaS16_S17_EUlS16_E_NS1_11comp_targetILNS1_3genE0ELNS1_11target_archE4294967295ELNS1_3gpuE0ELNS1_3repE0EEENS1_30default_config_static_selectorELNS0_4arch9wavefront6targetE0EEEvT1_.uses_flat_scratch, 0
	.set _ZN7rocprim17ROCPRIM_400000_NS6detail17trampoline_kernelINS0_14default_configENS1_25partition_config_selectorILNS1_17partition_subalgoE6EjNS0_10empty_typeEbEEZZNS1_14partition_implILS5_6ELb0ES3_mN6thrust23THRUST_200600_302600_NS6detail15normal_iteratorINSA_10device_ptrIjEEEEPS6_SG_NS0_5tupleIJNSA_16discard_iteratorINSA_11use_defaultEEES6_EEENSH_IJSG_SG_EEES6_PlJNSB_9not_fun_tI7is_trueIjEEEEEE10hipError_tPvRmT3_T4_T5_T6_T7_T9_mT8_P12ihipStream_tbDpT10_ENKUlT_T0_E_clISt17integral_constantIbLb1EES1B_EEDaS16_S17_EUlS16_E_NS1_11comp_targetILNS1_3genE0ELNS1_11target_archE4294967295ELNS1_3gpuE0ELNS1_3repE0EEENS1_30default_config_static_selectorELNS0_4arch9wavefront6targetE0EEEvT1_.has_dyn_sized_stack, 0
	.set _ZN7rocprim17ROCPRIM_400000_NS6detail17trampoline_kernelINS0_14default_configENS1_25partition_config_selectorILNS1_17partition_subalgoE6EjNS0_10empty_typeEbEEZZNS1_14partition_implILS5_6ELb0ES3_mN6thrust23THRUST_200600_302600_NS6detail15normal_iteratorINSA_10device_ptrIjEEEEPS6_SG_NS0_5tupleIJNSA_16discard_iteratorINSA_11use_defaultEEES6_EEENSH_IJSG_SG_EEES6_PlJNSB_9not_fun_tI7is_trueIjEEEEEE10hipError_tPvRmT3_T4_T5_T6_T7_T9_mT8_P12ihipStream_tbDpT10_ENKUlT_T0_E_clISt17integral_constantIbLb1EES1B_EEDaS16_S17_EUlS16_E_NS1_11comp_targetILNS1_3genE0ELNS1_11target_archE4294967295ELNS1_3gpuE0ELNS1_3repE0EEENS1_30default_config_static_selectorELNS0_4arch9wavefront6targetE0EEEvT1_.has_recursion, 0
	.set _ZN7rocprim17ROCPRIM_400000_NS6detail17trampoline_kernelINS0_14default_configENS1_25partition_config_selectorILNS1_17partition_subalgoE6EjNS0_10empty_typeEbEEZZNS1_14partition_implILS5_6ELb0ES3_mN6thrust23THRUST_200600_302600_NS6detail15normal_iteratorINSA_10device_ptrIjEEEEPS6_SG_NS0_5tupleIJNSA_16discard_iteratorINSA_11use_defaultEEES6_EEENSH_IJSG_SG_EEES6_PlJNSB_9not_fun_tI7is_trueIjEEEEEE10hipError_tPvRmT3_T4_T5_T6_T7_T9_mT8_P12ihipStream_tbDpT10_ENKUlT_T0_E_clISt17integral_constantIbLb1EES1B_EEDaS16_S17_EUlS16_E_NS1_11comp_targetILNS1_3genE0ELNS1_11target_archE4294967295ELNS1_3gpuE0ELNS1_3repE0EEENS1_30default_config_static_selectorELNS0_4arch9wavefront6targetE0EEEvT1_.has_indirect_call, 0
	.section	.AMDGPU.csdata,"",@progbits
; Kernel info:
; codeLenInByte = 0
; TotalNumSgprs: 0
; NumVgprs: 0
; ScratchSize: 0
; MemoryBound: 0
; FloatMode: 240
; IeeeMode: 1
; LDSByteSize: 0 bytes/workgroup (compile time only)
; SGPRBlocks: 0
; VGPRBlocks: 0
; NumSGPRsForWavesPerEU: 1
; NumVGPRsForWavesPerEU: 1
; Occupancy: 16
; WaveLimiterHint : 0
; COMPUTE_PGM_RSRC2:SCRATCH_EN: 0
; COMPUTE_PGM_RSRC2:USER_SGPR: 2
; COMPUTE_PGM_RSRC2:TRAP_HANDLER: 0
; COMPUTE_PGM_RSRC2:TGID_X_EN: 1
; COMPUTE_PGM_RSRC2:TGID_Y_EN: 0
; COMPUTE_PGM_RSRC2:TGID_Z_EN: 0
; COMPUTE_PGM_RSRC2:TIDIG_COMP_CNT: 0
	.section	.text._ZN7rocprim17ROCPRIM_400000_NS6detail17trampoline_kernelINS0_14default_configENS1_25partition_config_selectorILNS1_17partition_subalgoE6EjNS0_10empty_typeEbEEZZNS1_14partition_implILS5_6ELb0ES3_mN6thrust23THRUST_200600_302600_NS6detail15normal_iteratorINSA_10device_ptrIjEEEEPS6_SG_NS0_5tupleIJNSA_16discard_iteratorINSA_11use_defaultEEES6_EEENSH_IJSG_SG_EEES6_PlJNSB_9not_fun_tI7is_trueIjEEEEEE10hipError_tPvRmT3_T4_T5_T6_T7_T9_mT8_P12ihipStream_tbDpT10_ENKUlT_T0_E_clISt17integral_constantIbLb1EES1B_EEDaS16_S17_EUlS16_E_NS1_11comp_targetILNS1_3genE5ELNS1_11target_archE942ELNS1_3gpuE9ELNS1_3repE0EEENS1_30default_config_static_selectorELNS0_4arch9wavefront6targetE0EEEvT1_,"axG",@progbits,_ZN7rocprim17ROCPRIM_400000_NS6detail17trampoline_kernelINS0_14default_configENS1_25partition_config_selectorILNS1_17partition_subalgoE6EjNS0_10empty_typeEbEEZZNS1_14partition_implILS5_6ELb0ES3_mN6thrust23THRUST_200600_302600_NS6detail15normal_iteratorINSA_10device_ptrIjEEEEPS6_SG_NS0_5tupleIJNSA_16discard_iteratorINSA_11use_defaultEEES6_EEENSH_IJSG_SG_EEES6_PlJNSB_9not_fun_tI7is_trueIjEEEEEE10hipError_tPvRmT3_T4_T5_T6_T7_T9_mT8_P12ihipStream_tbDpT10_ENKUlT_T0_E_clISt17integral_constantIbLb1EES1B_EEDaS16_S17_EUlS16_E_NS1_11comp_targetILNS1_3genE5ELNS1_11target_archE942ELNS1_3gpuE9ELNS1_3repE0EEENS1_30default_config_static_selectorELNS0_4arch9wavefront6targetE0EEEvT1_,comdat
	.protected	_ZN7rocprim17ROCPRIM_400000_NS6detail17trampoline_kernelINS0_14default_configENS1_25partition_config_selectorILNS1_17partition_subalgoE6EjNS0_10empty_typeEbEEZZNS1_14partition_implILS5_6ELb0ES3_mN6thrust23THRUST_200600_302600_NS6detail15normal_iteratorINSA_10device_ptrIjEEEEPS6_SG_NS0_5tupleIJNSA_16discard_iteratorINSA_11use_defaultEEES6_EEENSH_IJSG_SG_EEES6_PlJNSB_9not_fun_tI7is_trueIjEEEEEE10hipError_tPvRmT3_T4_T5_T6_T7_T9_mT8_P12ihipStream_tbDpT10_ENKUlT_T0_E_clISt17integral_constantIbLb1EES1B_EEDaS16_S17_EUlS16_E_NS1_11comp_targetILNS1_3genE5ELNS1_11target_archE942ELNS1_3gpuE9ELNS1_3repE0EEENS1_30default_config_static_selectorELNS0_4arch9wavefront6targetE0EEEvT1_ ; -- Begin function _ZN7rocprim17ROCPRIM_400000_NS6detail17trampoline_kernelINS0_14default_configENS1_25partition_config_selectorILNS1_17partition_subalgoE6EjNS0_10empty_typeEbEEZZNS1_14partition_implILS5_6ELb0ES3_mN6thrust23THRUST_200600_302600_NS6detail15normal_iteratorINSA_10device_ptrIjEEEEPS6_SG_NS0_5tupleIJNSA_16discard_iteratorINSA_11use_defaultEEES6_EEENSH_IJSG_SG_EEES6_PlJNSB_9not_fun_tI7is_trueIjEEEEEE10hipError_tPvRmT3_T4_T5_T6_T7_T9_mT8_P12ihipStream_tbDpT10_ENKUlT_T0_E_clISt17integral_constantIbLb1EES1B_EEDaS16_S17_EUlS16_E_NS1_11comp_targetILNS1_3genE5ELNS1_11target_archE942ELNS1_3gpuE9ELNS1_3repE0EEENS1_30default_config_static_selectorELNS0_4arch9wavefront6targetE0EEEvT1_
	.globl	_ZN7rocprim17ROCPRIM_400000_NS6detail17trampoline_kernelINS0_14default_configENS1_25partition_config_selectorILNS1_17partition_subalgoE6EjNS0_10empty_typeEbEEZZNS1_14partition_implILS5_6ELb0ES3_mN6thrust23THRUST_200600_302600_NS6detail15normal_iteratorINSA_10device_ptrIjEEEEPS6_SG_NS0_5tupleIJNSA_16discard_iteratorINSA_11use_defaultEEES6_EEENSH_IJSG_SG_EEES6_PlJNSB_9not_fun_tI7is_trueIjEEEEEE10hipError_tPvRmT3_T4_T5_T6_T7_T9_mT8_P12ihipStream_tbDpT10_ENKUlT_T0_E_clISt17integral_constantIbLb1EES1B_EEDaS16_S17_EUlS16_E_NS1_11comp_targetILNS1_3genE5ELNS1_11target_archE942ELNS1_3gpuE9ELNS1_3repE0EEENS1_30default_config_static_selectorELNS0_4arch9wavefront6targetE0EEEvT1_
	.p2align	8
	.type	_ZN7rocprim17ROCPRIM_400000_NS6detail17trampoline_kernelINS0_14default_configENS1_25partition_config_selectorILNS1_17partition_subalgoE6EjNS0_10empty_typeEbEEZZNS1_14partition_implILS5_6ELb0ES3_mN6thrust23THRUST_200600_302600_NS6detail15normal_iteratorINSA_10device_ptrIjEEEEPS6_SG_NS0_5tupleIJNSA_16discard_iteratorINSA_11use_defaultEEES6_EEENSH_IJSG_SG_EEES6_PlJNSB_9not_fun_tI7is_trueIjEEEEEE10hipError_tPvRmT3_T4_T5_T6_T7_T9_mT8_P12ihipStream_tbDpT10_ENKUlT_T0_E_clISt17integral_constantIbLb1EES1B_EEDaS16_S17_EUlS16_E_NS1_11comp_targetILNS1_3genE5ELNS1_11target_archE942ELNS1_3gpuE9ELNS1_3repE0EEENS1_30default_config_static_selectorELNS0_4arch9wavefront6targetE0EEEvT1_,@function
_ZN7rocprim17ROCPRIM_400000_NS6detail17trampoline_kernelINS0_14default_configENS1_25partition_config_selectorILNS1_17partition_subalgoE6EjNS0_10empty_typeEbEEZZNS1_14partition_implILS5_6ELb0ES3_mN6thrust23THRUST_200600_302600_NS6detail15normal_iteratorINSA_10device_ptrIjEEEEPS6_SG_NS0_5tupleIJNSA_16discard_iteratorINSA_11use_defaultEEES6_EEENSH_IJSG_SG_EEES6_PlJNSB_9not_fun_tI7is_trueIjEEEEEE10hipError_tPvRmT3_T4_T5_T6_T7_T9_mT8_P12ihipStream_tbDpT10_ENKUlT_T0_E_clISt17integral_constantIbLb1EES1B_EEDaS16_S17_EUlS16_E_NS1_11comp_targetILNS1_3genE5ELNS1_11target_archE942ELNS1_3gpuE9ELNS1_3repE0EEENS1_30default_config_static_selectorELNS0_4arch9wavefront6targetE0EEEvT1_: ; @_ZN7rocprim17ROCPRIM_400000_NS6detail17trampoline_kernelINS0_14default_configENS1_25partition_config_selectorILNS1_17partition_subalgoE6EjNS0_10empty_typeEbEEZZNS1_14partition_implILS5_6ELb0ES3_mN6thrust23THRUST_200600_302600_NS6detail15normal_iteratorINSA_10device_ptrIjEEEEPS6_SG_NS0_5tupleIJNSA_16discard_iteratorINSA_11use_defaultEEES6_EEENSH_IJSG_SG_EEES6_PlJNSB_9not_fun_tI7is_trueIjEEEEEE10hipError_tPvRmT3_T4_T5_T6_T7_T9_mT8_P12ihipStream_tbDpT10_ENKUlT_T0_E_clISt17integral_constantIbLb1EES1B_EEDaS16_S17_EUlS16_E_NS1_11comp_targetILNS1_3genE5ELNS1_11target_archE942ELNS1_3gpuE9ELNS1_3repE0EEENS1_30default_config_static_selectorELNS0_4arch9wavefront6targetE0EEEvT1_
; %bb.0:
	.section	.rodata,"a",@progbits
	.p2align	6, 0x0
	.amdhsa_kernel _ZN7rocprim17ROCPRIM_400000_NS6detail17trampoline_kernelINS0_14default_configENS1_25partition_config_selectorILNS1_17partition_subalgoE6EjNS0_10empty_typeEbEEZZNS1_14partition_implILS5_6ELb0ES3_mN6thrust23THRUST_200600_302600_NS6detail15normal_iteratorINSA_10device_ptrIjEEEEPS6_SG_NS0_5tupleIJNSA_16discard_iteratorINSA_11use_defaultEEES6_EEENSH_IJSG_SG_EEES6_PlJNSB_9not_fun_tI7is_trueIjEEEEEE10hipError_tPvRmT3_T4_T5_T6_T7_T9_mT8_P12ihipStream_tbDpT10_ENKUlT_T0_E_clISt17integral_constantIbLb1EES1B_EEDaS16_S17_EUlS16_E_NS1_11comp_targetILNS1_3genE5ELNS1_11target_archE942ELNS1_3gpuE9ELNS1_3repE0EEENS1_30default_config_static_selectorELNS0_4arch9wavefront6targetE0EEEvT1_
		.amdhsa_group_segment_fixed_size 0
		.amdhsa_private_segment_fixed_size 0
		.amdhsa_kernarg_size 136
		.amdhsa_user_sgpr_count 2
		.amdhsa_user_sgpr_dispatch_ptr 0
		.amdhsa_user_sgpr_queue_ptr 0
		.amdhsa_user_sgpr_kernarg_segment_ptr 1
		.amdhsa_user_sgpr_dispatch_id 0
		.amdhsa_user_sgpr_private_segment_size 0
		.amdhsa_wavefront_size32 1
		.amdhsa_uses_dynamic_stack 0
		.amdhsa_enable_private_segment 0
		.amdhsa_system_sgpr_workgroup_id_x 1
		.amdhsa_system_sgpr_workgroup_id_y 0
		.amdhsa_system_sgpr_workgroup_id_z 0
		.amdhsa_system_sgpr_workgroup_info 0
		.amdhsa_system_vgpr_workitem_id 0
		.amdhsa_next_free_vgpr 1
		.amdhsa_next_free_sgpr 1
		.amdhsa_reserve_vcc 0
		.amdhsa_float_round_mode_32 0
		.amdhsa_float_round_mode_16_64 0
		.amdhsa_float_denorm_mode_32 3
		.amdhsa_float_denorm_mode_16_64 3
		.amdhsa_fp16_overflow 0
		.amdhsa_workgroup_processor_mode 1
		.amdhsa_memory_ordered 1
		.amdhsa_forward_progress 1
		.amdhsa_inst_pref_size 0
		.amdhsa_round_robin_scheduling 0
		.amdhsa_exception_fp_ieee_invalid_op 0
		.amdhsa_exception_fp_denorm_src 0
		.amdhsa_exception_fp_ieee_div_zero 0
		.amdhsa_exception_fp_ieee_overflow 0
		.amdhsa_exception_fp_ieee_underflow 0
		.amdhsa_exception_fp_ieee_inexact 0
		.amdhsa_exception_int_div_zero 0
	.end_amdhsa_kernel
	.section	.text._ZN7rocprim17ROCPRIM_400000_NS6detail17trampoline_kernelINS0_14default_configENS1_25partition_config_selectorILNS1_17partition_subalgoE6EjNS0_10empty_typeEbEEZZNS1_14partition_implILS5_6ELb0ES3_mN6thrust23THRUST_200600_302600_NS6detail15normal_iteratorINSA_10device_ptrIjEEEEPS6_SG_NS0_5tupleIJNSA_16discard_iteratorINSA_11use_defaultEEES6_EEENSH_IJSG_SG_EEES6_PlJNSB_9not_fun_tI7is_trueIjEEEEEE10hipError_tPvRmT3_T4_T5_T6_T7_T9_mT8_P12ihipStream_tbDpT10_ENKUlT_T0_E_clISt17integral_constantIbLb1EES1B_EEDaS16_S17_EUlS16_E_NS1_11comp_targetILNS1_3genE5ELNS1_11target_archE942ELNS1_3gpuE9ELNS1_3repE0EEENS1_30default_config_static_selectorELNS0_4arch9wavefront6targetE0EEEvT1_,"axG",@progbits,_ZN7rocprim17ROCPRIM_400000_NS6detail17trampoline_kernelINS0_14default_configENS1_25partition_config_selectorILNS1_17partition_subalgoE6EjNS0_10empty_typeEbEEZZNS1_14partition_implILS5_6ELb0ES3_mN6thrust23THRUST_200600_302600_NS6detail15normal_iteratorINSA_10device_ptrIjEEEEPS6_SG_NS0_5tupleIJNSA_16discard_iteratorINSA_11use_defaultEEES6_EEENSH_IJSG_SG_EEES6_PlJNSB_9not_fun_tI7is_trueIjEEEEEE10hipError_tPvRmT3_T4_T5_T6_T7_T9_mT8_P12ihipStream_tbDpT10_ENKUlT_T0_E_clISt17integral_constantIbLb1EES1B_EEDaS16_S17_EUlS16_E_NS1_11comp_targetILNS1_3genE5ELNS1_11target_archE942ELNS1_3gpuE9ELNS1_3repE0EEENS1_30default_config_static_selectorELNS0_4arch9wavefront6targetE0EEEvT1_,comdat
.Lfunc_end2182:
	.size	_ZN7rocprim17ROCPRIM_400000_NS6detail17trampoline_kernelINS0_14default_configENS1_25partition_config_selectorILNS1_17partition_subalgoE6EjNS0_10empty_typeEbEEZZNS1_14partition_implILS5_6ELb0ES3_mN6thrust23THRUST_200600_302600_NS6detail15normal_iteratorINSA_10device_ptrIjEEEEPS6_SG_NS0_5tupleIJNSA_16discard_iteratorINSA_11use_defaultEEES6_EEENSH_IJSG_SG_EEES6_PlJNSB_9not_fun_tI7is_trueIjEEEEEE10hipError_tPvRmT3_T4_T5_T6_T7_T9_mT8_P12ihipStream_tbDpT10_ENKUlT_T0_E_clISt17integral_constantIbLb1EES1B_EEDaS16_S17_EUlS16_E_NS1_11comp_targetILNS1_3genE5ELNS1_11target_archE942ELNS1_3gpuE9ELNS1_3repE0EEENS1_30default_config_static_selectorELNS0_4arch9wavefront6targetE0EEEvT1_, .Lfunc_end2182-_ZN7rocprim17ROCPRIM_400000_NS6detail17trampoline_kernelINS0_14default_configENS1_25partition_config_selectorILNS1_17partition_subalgoE6EjNS0_10empty_typeEbEEZZNS1_14partition_implILS5_6ELb0ES3_mN6thrust23THRUST_200600_302600_NS6detail15normal_iteratorINSA_10device_ptrIjEEEEPS6_SG_NS0_5tupleIJNSA_16discard_iteratorINSA_11use_defaultEEES6_EEENSH_IJSG_SG_EEES6_PlJNSB_9not_fun_tI7is_trueIjEEEEEE10hipError_tPvRmT3_T4_T5_T6_T7_T9_mT8_P12ihipStream_tbDpT10_ENKUlT_T0_E_clISt17integral_constantIbLb1EES1B_EEDaS16_S17_EUlS16_E_NS1_11comp_targetILNS1_3genE5ELNS1_11target_archE942ELNS1_3gpuE9ELNS1_3repE0EEENS1_30default_config_static_selectorELNS0_4arch9wavefront6targetE0EEEvT1_
                                        ; -- End function
	.set _ZN7rocprim17ROCPRIM_400000_NS6detail17trampoline_kernelINS0_14default_configENS1_25partition_config_selectorILNS1_17partition_subalgoE6EjNS0_10empty_typeEbEEZZNS1_14partition_implILS5_6ELb0ES3_mN6thrust23THRUST_200600_302600_NS6detail15normal_iteratorINSA_10device_ptrIjEEEEPS6_SG_NS0_5tupleIJNSA_16discard_iteratorINSA_11use_defaultEEES6_EEENSH_IJSG_SG_EEES6_PlJNSB_9not_fun_tI7is_trueIjEEEEEE10hipError_tPvRmT3_T4_T5_T6_T7_T9_mT8_P12ihipStream_tbDpT10_ENKUlT_T0_E_clISt17integral_constantIbLb1EES1B_EEDaS16_S17_EUlS16_E_NS1_11comp_targetILNS1_3genE5ELNS1_11target_archE942ELNS1_3gpuE9ELNS1_3repE0EEENS1_30default_config_static_selectorELNS0_4arch9wavefront6targetE0EEEvT1_.num_vgpr, 0
	.set _ZN7rocprim17ROCPRIM_400000_NS6detail17trampoline_kernelINS0_14default_configENS1_25partition_config_selectorILNS1_17partition_subalgoE6EjNS0_10empty_typeEbEEZZNS1_14partition_implILS5_6ELb0ES3_mN6thrust23THRUST_200600_302600_NS6detail15normal_iteratorINSA_10device_ptrIjEEEEPS6_SG_NS0_5tupleIJNSA_16discard_iteratorINSA_11use_defaultEEES6_EEENSH_IJSG_SG_EEES6_PlJNSB_9not_fun_tI7is_trueIjEEEEEE10hipError_tPvRmT3_T4_T5_T6_T7_T9_mT8_P12ihipStream_tbDpT10_ENKUlT_T0_E_clISt17integral_constantIbLb1EES1B_EEDaS16_S17_EUlS16_E_NS1_11comp_targetILNS1_3genE5ELNS1_11target_archE942ELNS1_3gpuE9ELNS1_3repE0EEENS1_30default_config_static_selectorELNS0_4arch9wavefront6targetE0EEEvT1_.num_agpr, 0
	.set _ZN7rocprim17ROCPRIM_400000_NS6detail17trampoline_kernelINS0_14default_configENS1_25partition_config_selectorILNS1_17partition_subalgoE6EjNS0_10empty_typeEbEEZZNS1_14partition_implILS5_6ELb0ES3_mN6thrust23THRUST_200600_302600_NS6detail15normal_iteratorINSA_10device_ptrIjEEEEPS6_SG_NS0_5tupleIJNSA_16discard_iteratorINSA_11use_defaultEEES6_EEENSH_IJSG_SG_EEES6_PlJNSB_9not_fun_tI7is_trueIjEEEEEE10hipError_tPvRmT3_T4_T5_T6_T7_T9_mT8_P12ihipStream_tbDpT10_ENKUlT_T0_E_clISt17integral_constantIbLb1EES1B_EEDaS16_S17_EUlS16_E_NS1_11comp_targetILNS1_3genE5ELNS1_11target_archE942ELNS1_3gpuE9ELNS1_3repE0EEENS1_30default_config_static_selectorELNS0_4arch9wavefront6targetE0EEEvT1_.numbered_sgpr, 0
	.set _ZN7rocprim17ROCPRIM_400000_NS6detail17trampoline_kernelINS0_14default_configENS1_25partition_config_selectorILNS1_17partition_subalgoE6EjNS0_10empty_typeEbEEZZNS1_14partition_implILS5_6ELb0ES3_mN6thrust23THRUST_200600_302600_NS6detail15normal_iteratorINSA_10device_ptrIjEEEEPS6_SG_NS0_5tupleIJNSA_16discard_iteratorINSA_11use_defaultEEES6_EEENSH_IJSG_SG_EEES6_PlJNSB_9not_fun_tI7is_trueIjEEEEEE10hipError_tPvRmT3_T4_T5_T6_T7_T9_mT8_P12ihipStream_tbDpT10_ENKUlT_T0_E_clISt17integral_constantIbLb1EES1B_EEDaS16_S17_EUlS16_E_NS1_11comp_targetILNS1_3genE5ELNS1_11target_archE942ELNS1_3gpuE9ELNS1_3repE0EEENS1_30default_config_static_selectorELNS0_4arch9wavefront6targetE0EEEvT1_.num_named_barrier, 0
	.set _ZN7rocprim17ROCPRIM_400000_NS6detail17trampoline_kernelINS0_14default_configENS1_25partition_config_selectorILNS1_17partition_subalgoE6EjNS0_10empty_typeEbEEZZNS1_14partition_implILS5_6ELb0ES3_mN6thrust23THRUST_200600_302600_NS6detail15normal_iteratorINSA_10device_ptrIjEEEEPS6_SG_NS0_5tupleIJNSA_16discard_iteratorINSA_11use_defaultEEES6_EEENSH_IJSG_SG_EEES6_PlJNSB_9not_fun_tI7is_trueIjEEEEEE10hipError_tPvRmT3_T4_T5_T6_T7_T9_mT8_P12ihipStream_tbDpT10_ENKUlT_T0_E_clISt17integral_constantIbLb1EES1B_EEDaS16_S17_EUlS16_E_NS1_11comp_targetILNS1_3genE5ELNS1_11target_archE942ELNS1_3gpuE9ELNS1_3repE0EEENS1_30default_config_static_selectorELNS0_4arch9wavefront6targetE0EEEvT1_.private_seg_size, 0
	.set _ZN7rocprim17ROCPRIM_400000_NS6detail17trampoline_kernelINS0_14default_configENS1_25partition_config_selectorILNS1_17partition_subalgoE6EjNS0_10empty_typeEbEEZZNS1_14partition_implILS5_6ELb0ES3_mN6thrust23THRUST_200600_302600_NS6detail15normal_iteratorINSA_10device_ptrIjEEEEPS6_SG_NS0_5tupleIJNSA_16discard_iteratorINSA_11use_defaultEEES6_EEENSH_IJSG_SG_EEES6_PlJNSB_9not_fun_tI7is_trueIjEEEEEE10hipError_tPvRmT3_T4_T5_T6_T7_T9_mT8_P12ihipStream_tbDpT10_ENKUlT_T0_E_clISt17integral_constantIbLb1EES1B_EEDaS16_S17_EUlS16_E_NS1_11comp_targetILNS1_3genE5ELNS1_11target_archE942ELNS1_3gpuE9ELNS1_3repE0EEENS1_30default_config_static_selectorELNS0_4arch9wavefront6targetE0EEEvT1_.uses_vcc, 0
	.set _ZN7rocprim17ROCPRIM_400000_NS6detail17trampoline_kernelINS0_14default_configENS1_25partition_config_selectorILNS1_17partition_subalgoE6EjNS0_10empty_typeEbEEZZNS1_14partition_implILS5_6ELb0ES3_mN6thrust23THRUST_200600_302600_NS6detail15normal_iteratorINSA_10device_ptrIjEEEEPS6_SG_NS0_5tupleIJNSA_16discard_iteratorINSA_11use_defaultEEES6_EEENSH_IJSG_SG_EEES6_PlJNSB_9not_fun_tI7is_trueIjEEEEEE10hipError_tPvRmT3_T4_T5_T6_T7_T9_mT8_P12ihipStream_tbDpT10_ENKUlT_T0_E_clISt17integral_constantIbLb1EES1B_EEDaS16_S17_EUlS16_E_NS1_11comp_targetILNS1_3genE5ELNS1_11target_archE942ELNS1_3gpuE9ELNS1_3repE0EEENS1_30default_config_static_selectorELNS0_4arch9wavefront6targetE0EEEvT1_.uses_flat_scratch, 0
	.set _ZN7rocprim17ROCPRIM_400000_NS6detail17trampoline_kernelINS0_14default_configENS1_25partition_config_selectorILNS1_17partition_subalgoE6EjNS0_10empty_typeEbEEZZNS1_14partition_implILS5_6ELb0ES3_mN6thrust23THRUST_200600_302600_NS6detail15normal_iteratorINSA_10device_ptrIjEEEEPS6_SG_NS0_5tupleIJNSA_16discard_iteratorINSA_11use_defaultEEES6_EEENSH_IJSG_SG_EEES6_PlJNSB_9not_fun_tI7is_trueIjEEEEEE10hipError_tPvRmT3_T4_T5_T6_T7_T9_mT8_P12ihipStream_tbDpT10_ENKUlT_T0_E_clISt17integral_constantIbLb1EES1B_EEDaS16_S17_EUlS16_E_NS1_11comp_targetILNS1_3genE5ELNS1_11target_archE942ELNS1_3gpuE9ELNS1_3repE0EEENS1_30default_config_static_selectorELNS0_4arch9wavefront6targetE0EEEvT1_.has_dyn_sized_stack, 0
	.set _ZN7rocprim17ROCPRIM_400000_NS6detail17trampoline_kernelINS0_14default_configENS1_25partition_config_selectorILNS1_17partition_subalgoE6EjNS0_10empty_typeEbEEZZNS1_14partition_implILS5_6ELb0ES3_mN6thrust23THRUST_200600_302600_NS6detail15normal_iteratorINSA_10device_ptrIjEEEEPS6_SG_NS0_5tupleIJNSA_16discard_iteratorINSA_11use_defaultEEES6_EEENSH_IJSG_SG_EEES6_PlJNSB_9not_fun_tI7is_trueIjEEEEEE10hipError_tPvRmT3_T4_T5_T6_T7_T9_mT8_P12ihipStream_tbDpT10_ENKUlT_T0_E_clISt17integral_constantIbLb1EES1B_EEDaS16_S17_EUlS16_E_NS1_11comp_targetILNS1_3genE5ELNS1_11target_archE942ELNS1_3gpuE9ELNS1_3repE0EEENS1_30default_config_static_selectorELNS0_4arch9wavefront6targetE0EEEvT1_.has_recursion, 0
	.set _ZN7rocprim17ROCPRIM_400000_NS6detail17trampoline_kernelINS0_14default_configENS1_25partition_config_selectorILNS1_17partition_subalgoE6EjNS0_10empty_typeEbEEZZNS1_14partition_implILS5_6ELb0ES3_mN6thrust23THRUST_200600_302600_NS6detail15normal_iteratorINSA_10device_ptrIjEEEEPS6_SG_NS0_5tupleIJNSA_16discard_iteratorINSA_11use_defaultEEES6_EEENSH_IJSG_SG_EEES6_PlJNSB_9not_fun_tI7is_trueIjEEEEEE10hipError_tPvRmT3_T4_T5_T6_T7_T9_mT8_P12ihipStream_tbDpT10_ENKUlT_T0_E_clISt17integral_constantIbLb1EES1B_EEDaS16_S17_EUlS16_E_NS1_11comp_targetILNS1_3genE5ELNS1_11target_archE942ELNS1_3gpuE9ELNS1_3repE0EEENS1_30default_config_static_selectorELNS0_4arch9wavefront6targetE0EEEvT1_.has_indirect_call, 0
	.section	.AMDGPU.csdata,"",@progbits
; Kernel info:
; codeLenInByte = 0
; TotalNumSgprs: 0
; NumVgprs: 0
; ScratchSize: 0
; MemoryBound: 0
; FloatMode: 240
; IeeeMode: 1
; LDSByteSize: 0 bytes/workgroup (compile time only)
; SGPRBlocks: 0
; VGPRBlocks: 0
; NumSGPRsForWavesPerEU: 1
; NumVGPRsForWavesPerEU: 1
; Occupancy: 16
; WaveLimiterHint : 0
; COMPUTE_PGM_RSRC2:SCRATCH_EN: 0
; COMPUTE_PGM_RSRC2:USER_SGPR: 2
; COMPUTE_PGM_RSRC2:TRAP_HANDLER: 0
; COMPUTE_PGM_RSRC2:TGID_X_EN: 1
; COMPUTE_PGM_RSRC2:TGID_Y_EN: 0
; COMPUTE_PGM_RSRC2:TGID_Z_EN: 0
; COMPUTE_PGM_RSRC2:TIDIG_COMP_CNT: 0
	.section	.text._ZN7rocprim17ROCPRIM_400000_NS6detail17trampoline_kernelINS0_14default_configENS1_25partition_config_selectorILNS1_17partition_subalgoE6EjNS0_10empty_typeEbEEZZNS1_14partition_implILS5_6ELb0ES3_mN6thrust23THRUST_200600_302600_NS6detail15normal_iteratorINSA_10device_ptrIjEEEEPS6_SG_NS0_5tupleIJNSA_16discard_iteratorINSA_11use_defaultEEES6_EEENSH_IJSG_SG_EEES6_PlJNSB_9not_fun_tI7is_trueIjEEEEEE10hipError_tPvRmT3_T4_T5_T6_T7_T9_mT8_P12ihipStream_tbDpT10_ENKUlT_T0_E_clISt17integral_constantIbLb1EES1B_EEDaS16_S17_EUlS16_E_NS1_11comp_targetILNS1_3genE4ELNS1_11target_archE910ELNS1_3gpuE8ELNS1_3repE0EEENS1_30default_config_static_selectorELNS0_4arch9wavefront6targetE0EEEvT1_,"axG",@progbits,_ZN7rocprim17ROCPRIM_400000_NS6detail17trampoline_kernelINS0_14default_configENS1_25partition_config_selectorILNS1_17partition_subalgoE6EjNS0_10empty_typeEbEEZZNS1_14partition_implILS5_6ELb0ES3_mN6thrust23THRUST_200600_302600_NS6detail15normal_iteratorINSA_10device_ptrIjEEEEPS6_SG_NS0_5tupleIJNSA_16discard_iteratorINSA_11use_defaultEEES6_EEENSH_IJSG_SG_EEES6_PlJNSB_9not_fun_tI7is_trueIjEEEEEE10hipError_tPvRmT3_T4_T5_T6_T7_T9_mT8_P12ihipStream_tbDpT10_ENKUlT_T0_E_clISt17integral_constantIbLb1EES1B_EEDaS16_S17_EUlS16_E_NS1_11comp_targetILNS1_3genE4ELNS1_11target_archE910ELNS1_3gpuE8ELNS1_3repE0EEENS1_30default_config_static_selectorELNS0_4arch9wavefront6targetE0EEEvT1_,comdat
	.protected	_ZN7rocprim17ROCPRIM_400000_NS6detail17trampoline_kernelINS0_14default_configENS1_25partition_config_selectorILNS1_17partition_subalgoE6EjNS0_10empty_typeEbEEZZNS1_14partition_implILS5_6ELb0ES3_mN6thrust23THRUST_200600_302600_NS6detail15normal_iteratorINSA_10device_ptrIjEEEEPS6_SG_NS0_5tupleIJNSA_16discard_iteratorINSA_11use_defaultEEES6_EEENSH_IJSG_SG_EEES6_PlJNSB_9not_fun_tI7is_trueIjEEEEEE10hipError_tPvRmT3_T4_T5_T6_T7_T9_mT8_P12ihipStream_tbDpT10_ENKUlT_T0_E_clISt17integral_constantIbLb1EES1B_EEDaS16_S17_EUlS16_E_NS1_11comp_targetILNS1_3genE4ELNS1_11target_archE910ELNS1_3gpuE8ELNS1_3repE0EEENS1_30default_config_static_selectorELNS0_4arch9wavefront6targetE0EEEvT1_ ; -- Begin function _ZN7rocprim17ROCPRIM_400000_NS6detail17trampoline_kernelINS0_14default_configENS1_25partition_config_selectorILNS1_17partition_subalgoE6EjNS0_10empty_typeEbEEZZNS1_14partition_implILS5_6ELb0ES3_mN6thrust23THRUST_200600_302600_NS6detail15normal_iteratorINSA_10device_ptrIjEEEEPS6_SG_NS0_5tupleIJNSA_16discard_iteratorINSA_11use_defaultEEES6_EEENSH_IJSG_SG_EEES6_PlJNSB_9not_fun_tI7is_trueIjEEEEEE10hipError_tPvRmT3_T4_T5_T6_T7_T9_mT8_P12ihipStream_tbDpT10_ENKUlT_T0_E_clISt17integral_constantIbLb1EES1B_EEDaS16_S17_EUlS16_E_NS1_11comp_targetILNS1_3genE4ELNS1_11target_archE910ELNS1_3gpuE8ELNS1_3repE0EEENS1_30default_config_static_selectorELNS0_4arch9wavefront6targetE0EEEvT1_
	.globl	_ZN7rocprim17ROCPRIM_400000_NS6detail17trampoline_kernelINS0_14default_configENS1_25partition_config_selectorILNS1_17partition_subalgoE6EjNS0_10empty_typeEbEEZZNS1_14partition_implILS5_6ELb0ES3_mN6thrust23THRUST_200600_302600_NS6detail15normal_iteratorINSA_10device_ptrIjEEEEPS6_SG_NS0_5tupleIJNSA_16discard_iteratorINSA_11use_defaultEEES6_EEENSH_IJSG_SG_EEES6_PlJNSB_9not_fun_tI7is_trueIjEEEEEE10hipError_tPvRmT3_T4_T5_T6_T7_T9_mT8_P12ihipStream_tbDpT10_ENKUlT_T0_E_clISt17integral_constantIbLb1EES1B_EEDaS16_S17_EUlS16_E_NS1_11comp_targetILNS1_3genE4ELNS1_11target_archE910ELNS1_3gpuE8ELNS1_3repE0EEENS1_30default_config_static_selectorELNS0_4arch9wavefront6targetE0EEEvT1_
	.p2align	8
	.type	_ZN7rocprim17ROCPRIM_400000_NS6detail17trampoline_kernelINS0_14default_configENS1_25partition_config_selectorILNS1_17partition_subalgoE6EjNS0_10empty_typeEbEEZZNS1_14partition_implILS5_6ELb0ES3_mN6thrust23THRUST_200600_302600_NS6detail15normal_iteratorINSA_10device_ptrIjEEEEPS6_SG_NS0_5tupleIJNSA_16discard_iteratorINSA_11use_defaultEEES6_EEENSH_IJSG_SG_EEES6_PlJNSB_9not_fun_tI7is_trueIjEEEEEE10hipError_tPvRmT3_T4_T5_T6_T7_T9_mT8_P12ihipStream_tbDpT10_ENKUlT_T0_E_clISt17integral_constantIbLb1EES1B_EEDaS16_S17_EUlS16_E_NS1_11comp_targetILNS1_3genE4ELNS1_11target_archE910ELNS1_3gpuE8ELNS1_3repE0EEENS1_30default_config_static_selectorELNS0_4arch9wavefront6targetE0EEEvT1_,@function
_ZN7rocprim17ROCPRIM_400000_NS6detail17trampoline_kernelINS0_14default_configENS1_25partition_config_selectorILNS1_17partition_subalgoE6EjNS0_10empty_typeEbEEZZNS1_14partition_implILS5_6ELb0ES3_mN6thrust23THRUST_200600_302600_NS6detail15normal_iteratorINSA_10device_ptrIjEEEEPS6_SG_NS0_5tupleIJNSA_16discard_iteratorINSA_11use_defaultEEES6_EEENSH_IJSG_SG_EEES6_PlJNSB_9not_fun_tI7is_trueIjEEEEEE10hipError_tPvRmT3_T4_T5_T6_T7_T9_mT8_P12ihipStream_tbDpT10_ENKUlT_T0_E_clISt17integral_constantIbLb1EES1B_EEDaS16_S17_EUlS16_E_NS1_11comp_targetILNS1_3genE4ELNS1_11target_archE910ELNS1_3gpuE8ELNS1_3repE0EEENS1_30default_config_static_selectorELNS0_4arch9wavefront6targetE0EEEvT1_: ; @_ZN7rocprim17ROCPRIM_400000_NS6detail17trampoline_kernelINS0_14default_configENS1_25partition_config_selectorILNS1_17partition_subalgoE6EjNS0_10empty_typeEbEEZZNS1_14partition_implILS5_6ELb0ES3_mN6thrust23THRUST_200600_302600_NS6detail15normal_iteratorINSA_10device_ptrIjEEEEPS6_SG_NS0_5tupleIJNSA_16discard_iteratorINSA_11use_defaultEEES6_EEENSH_IJSG_SG_EEES6_PlJNSB_9not_fun_tI7is_trueIjEEEEEE10hipError_tPvRmT3_T4_T5_T6_T7_T9_mT8_P12ihipStream_tbDpT10_ENKUlT_T0_E_clISt17integral_constantIbLb1EES1B_EEDaS16_S17_EUlS16_E_NS1_11comp_targetILNS1_3genE4ELNS1_11target_archE910ELNS1_3gpuE8ELNS1_3repE0EEENS1_30default_config_static_selectorELNS0_4arch9wavefront6targetE0EEEvT1_
; %bb.0:
	.section	.rodata,"a",@progbits
	.p2align	6, 0x0
	.amdhsa_kernel _ZN7rocprim17ROCPRIM_400000_NS6detail17trampoline_kernelINS0_14default_configENS1_25partition_config_selectorILNS1_17partition_subalgoE6EjNS0_10empty_typeEbEEZZNS1_14partition_implILS5_6ELb0ES3_mN6thrust23THRUST_200600_302600_NS6detail15normal_iteratorINSA_10device_ptrIjEEEEPS6_SG_NS0_5tupleIJNSA_16discard_iteratorINSA_11use_defaultEEES6_EEENSH_IJSG_SG_EEES6_PlJNSB_9not_fun_tI7is_trueIjEEEEEE10hipError_tPvRmT3_T4_T5_T6_T7_T9_mT8_P12ihipStream_tbDpT10_ENKUlT_T0_E_clISt17integral_constantIbLb1EES1B_EEDaS16_S17_EUlS16_E_NS1_11comp_targetILNS1_3genE4ELNS1_11target_archE910ELNS1_3gpuE8ELNS1_3repE0EEENS1_30default_config_static_selectorELNS0_4arch9wavefront6targetE0EEEvT1_
		.amdhsa_group_segment_fixed_size 0
		.amdhsa_private_segment_fixed_size 0
		.amdhsa_kernarg_size 136
		.amdhsa_user_sgpr_count 2
		.amdhsa_user_sgpr_dispatch_ptr 0
		.amdhsa_user_sgpr_queue_ptr 0
		.amdhsa_user_sgpr_kernarg_segment_ptr 1
		.amdhsa_user_sgpr_dispatch_id 0
		.amdhsa_user_sgpr_private_segment_size 0
		.amdhsa_wavefront_size32 1
		.amdhsa_uses_dynamic_stack 0
		.amdhsa_enable_private_segment 0
		.amdhsa_system_sgpr_workgroup_id_x 1
		.amdhsa_system_sgpr_workgroup_id_y 0
		.amdhsa_system_sgpr_workgroup_id_z 0
		.amdhsa_system_sgpr_workgroup_info 0
		.amdhsa_system_vgpr_workitem_id 0
		.amdhsa_next_free_vgpr 1
		.amdhsa_next_free_sgpr 1
		.amdhsa_reserve_vcc 0
		.amdhsa_float_round_mode_32 0
		.amdhsa_float_round_mode_16_64 0
		.amdhsa_float_denorm_mode_32 3
		.amdhsa_float_denorm_mode_16_64 3
		.amdhsa_fp16_overflow 0
		.amdhsa_workgroup_processor_mode 1
		.amdhsa_memory_ordered 1
		.amdhsa_forward_progress 1
		.amdhsa_inst_pref_size 0
		.amdhsa_round_robin_scheduling 0
		.amdhsa_exception_fp_ieee_invalid_op 0
		.amdhsa_exception_fp_denorm_src 0
		.amdhsa_exception_fp_ieee_div_zero 0
		.amdhsa_exception_fp_ieee_overflow 0
		.amdhsa_exception_fp_ieee_underflow 0
		.amdhsa_exception_fp_ieee_inexact 0
		.amdhsa_exception_int_div_zero 0
	.end_amdhsa_kernel
	.section	.text._ZN7rocprim17ROCPRIM_400000_NS6detail17trampoline_kernelINS0_14default_configENS1_25partition_config_selectorILNS1_17partition_subalgoE6EjNS0_10empty_typeEbEEZZNS1_14partition_implILS5_6ELb0ES3_mN6thrust23THRUST_200600_302600_NS6detail15normal_iteratorINSA_10device_ptrIjEEEEPS6_SG_NS0_5tupleIJNSA_16discard_iteratorINSA_11use_defaultEEES6_EEENSH_IJSG_SG_EEES6_PlJNSB_9not_fun_tI7is_trueIjEEEEEE10hipError_tPvRmT3_T4_T5_T6_T7_T9_mT8_P12ihipStream_tbDpT10_ENKUlT_T0_E_clISt17integral_constantIbLb1EES1B_EEDaS16_S17_EUlS16_E_NS1_11comp_targetILNS1_3genE4ELNS1_11target_archE910ELNS1_3gpuE8ELNS1_3repE0EEENS1_30default_config_static_selectorELNS0_4arch9wavefront6targetE0EEEvT1_,"axG",@progbits,_ZN7rocprim17ROCPRIM_400000_NS6detail17trampoline_kernelINS0_14default_configENS1_25partition_config_selectorILNS1_17partition_subalgoE6EjNS0_10empty_typeEbEEZZNS1_14partition_implILS5_6ELb0ES3_mN6thrust23THRUST_200600_302600_NS6detail15normal_iteratorINSA_10device_ptrIjEEEEPS6_SG_NS0_5tupleIJNSA_16discard_iteratorINSA_11use_defaultEEES6_EEENSH_IJSG_SG_EEES6_PlJNSB_9not_fun_tI7is_trueIjEEEEEE10hipError_tPvRmT3_T4_T5_T6_T7_T9_mT8_P12ihipStream_tbDpT10_ENKUlT_T0_E_clISt17integral_constantIbLb1EES1B_EEDaS16_S17_EUlS16_E_NS1_11comp_targetILNS1_3genE4ELNS1_11target_archE910ELNS1_3gpuE8ELNS1_3repE0EEENS1_30default_config_static_selectorELNS0_4arch9wavefront6targetE0EEEvT1_,comdat
.Lfunc_end2183:
	.size	_ZN7rocprim17ROCPRIM_400000_NS6detail17trampoline_kernelINS0_14default_configENS1_25partition_config_selectorILNS1_17partition_subalgoE6EjNS0_10empty_typeEbEEZZNS1_14partition_implILS5_6ELb0ES3_mN6thrust23THRUST_200600_302600_NS6detail15normal_iteratorINSA_10device_ptrIjEEEEPS6_SG_NS0_5tupleIJNSA_16discard_iteratorINSA_11use_defaultEEES6_EEENSH_IJSG_SG_EEES6_PlJNSB_9not_fun_tI7is_trueIjEEEEEE10hipError_tPvRmT3_T4_T5_T6_T7_T9_mT8_P12ihipStream_tbDpT10_ENKUlT_T0_E_clISt17integral_constantIbLb1EES1B_EEDaS16_S17_EUlS16_E_NS1_11comp_targetILNS1_3genE4ELNS1_11target_archE910ELNS1_3gpuE8ELNS1_3repE0EEENS1_30default_config_static_selectorELNS0_4arch9wavefront6targetE0EEEvT1_, .Lfunc_end2183-_ZN7rocprim17ROCPRIM_400000_NS6detail17trampoline_kernelINS0_14default_configENS1_25partition_config_selectorILNS1_17partition_subalgoE6EjNS0_10empty_typeEbEEZZNS1_14partition_implILS5_6ELb0ES3_mN6thrust23THRUST_200600_302600_NS6detail15normal_iteratorINSA_10device_ptrIjEEEEPS6_SG_NS0_5tupleIJNSA_16discard_iteratorINSA_11use_defaultEEES6_EEENSH_IJSG_SG_EEES6_PlJNSB_9not_fun_tI7is_trueIjEEEEEE10hipError_tPvRmT3_T4_T5_T6_T7_T9_mT8_P12ihipStream_tbDpT10_ENKUlT_T0_E_clISt17integral_constantIbLb1EES1B_EEDaS16_S17_EUlS16_E_NS1_11comp_targetILNS1_3genE4ELNS1_11target_archE910ELNS1_3gpuE8ELNS1_3repE0EEENS1_30default_config_static_selectorELNS0_4arch9wavefront6targetE0EEEvT1_
                                        ; -- End function
	.set _ZN7rocprim17ROCPRIM_400000_NS6detail17trampoline_kernelINS0_14default_configENS1_25partition_config_selectorILNS1_17partition_subalgoE6EjNS0_10empty_typeEbEEZZNS1_14partition_implILS5_6ELb0ES3_mN6thrust23THRUST_200600_302600_NS6detail15normal_iteratorINSA_10device_ptrIjEEEEPS6_SG_NS0_5tupleIJNSA_16discard_iteratorINSA_11use_defaultEEES6_EEENSH_IJSG_SG_EEES6_PlJNSB_9not_fun_tI7is_trueIjEEEEEE10hipError_tPvRmT3_T4_T5_T6_T7_T9_mT8_P12ihipStream_tbDpT10_ENKUlT_T0_E_clISt17integral_constantIbLb1EES1B_EEDaS16_S17_EUlS16_E_NS1_11comp_targetILNS1_3genE4ELNS1_11target_archE910ELNS1_3gpuE8ELNS1_3repE0EEENS1_30default_config_static_selectorELNS0_4arch9wavefront6targetE0EEEvT1_.num_vgpr, 0
	.set _ZN7rocprim17ROCPRIM_400000_NS6detail17trampoline_kernelINS0_14default_configENS1_25partition_config_selectorILNS1_17partition_subalgoE6EjNS0_10empty_typeEbEEZZNS1_14partition_implILS5_6ELb0ES3_mN6thrust23THRUST_200600_302600_NS6detail15normal_iteratorINSA_10device_ptrIjEEEEPS6_SG_NS0_5tupleIJNSA_16discard_iteratorINSA_11use_defaultEEES6_EEENSH_IJSG_SG_EEES6_PlJNSB_9not_fun_tI7is_trueIjEEEEEE10hipError_tPvRmT3_T4_T5_T6_T7_T9_mT8_P12ihipStream_tbDpT10_ENKUlT_T0_E_clISt17integral_constantIbLb1EES1B_EEDaS16_S17_EUlS16_E_NS1_11comp_targetILNS1_3genE4ELNS1_11target_archE910ELNS1_3gpuE8ELNS1_3repE0EEENS1_30default_config_static_selectorELNS0_4arch9wavefront6targetE0EEEvT1_.num_agpr, 0
	.set _ZN7rocprim17ROCPRIM_400000_NS6detail17trampoline_kernelINS0_14default_configENS1_25partition_config_selectorILNS1_17partition_subalgoE6EjNS0_10empty_typeEbEEZZNS1_14partition_implILS5_6ELb0ES3_mN6thrust23THRUST_200600_302600_NS6detail15normal_iteratorINSA_10device_ptrIjEEEEPS6_SG_NS0_5tupleIJNSA_16discard_iteratorINSA_11use_defaultEEES6_EEENSH_IJSG_SG_EEES6_PlJNSB_9not_fun_tI7is_trueIjEEEEEE10hipError_tPvRmT3_T4_T5_T6_T7_T9_mT8_P12ihipStream_tbDpT10_ENKUlT_T0_E_clISt17integral_constantIbLb1EES1B_EEDaS16_S17_EUlS16_E_NS1_11comp_targetILNS1_3genE4ELNS1_11target_archE910ELNS1_3gpuE8ELNS1_3repE0EEENS1_30default_config_static_selectorELNS0_4arch9wavefront6targetE0EEEvT1_.numbered_sgpr, 0
	.set _ZN7rocprim17ROCPRIM_400000_NS6detail17trampoline_kernelINS0_14default_configENS1_25partition_config_selectorILNS1_17partition_subalgoE6EjNS0_10empty_typeEbEEZZNS1_14partition_implILS5_6ELb0ES3_mN6thrust23THRUST_200600_302600_NS6detail15normal_iteratorINSA_10device_ptrIjEEEEPS6_SG_NS0_5tupleIJNSA_16discard_iteratorINSA_11use_defaultEEES6_EEENSH_IJSG_SG_EEES6_PlJNSB_9not_fun_tI7is_trueIjEEEEEE10hipError_tPvRmT3_T4_T5_T6_T7_T9_mT8_P12ihipStream_tbDpT10_ENKUlT_T0_E_clISt17integral_constantIbLb1EES1B_EEDaS16_S17_EUlS16_E_NS1_11comp_targetILNS1_3genE4ELNS1_11target_archE910ELNS1_3gpuE8ELNS1_3repE0EEENS1_30default_config_static_selectorELNS0_4arch9wavefront6targetE0EEEvT1_.num_named_barrier, 0
	.set _ZN7rocprim17ROCPRIM_400000_NS6detail17trampoline_kernelINS0_14default_configENS1_25partition_config_selectorILNS1_17partition_subalgoE6EjNS0_10empty_typeEbEEZZNS1_14partition_implILS5_6ELb0ES3_mN6thrust23THRUST_200600_302600_NS6detail15normal_iteratorINSA_10device_ptrIjEEEEPS6_SG_NS0_5tupleIJNSA_16discard_iteratorINSA_11use_defaultEEES6_EEENSH_IJSG_SG_EEES6_PlJNSB_9not_fun_tI7is_trueIjEEEEEE10hipError_tPvRmT3_T4_T5_T6_T7_T9_mT8_P12ihipStream_tbDpT10_ENKUlT_T0_E_clISt17integral_constantIbLb1EES1B_EEDaS16_S17_EUlS16_E_NS1_11comp_targetILNS1_3genE4ELNS1_11target_archE910ELNS1_3gpuE8ELNS1_3repE0EEENS1_30default_config_static_selectorELNS0_4arch9wavefront6targetE0EEEvT1_.private_seg_size, 0
	.set _ZN7rocprim17ROCPRIM_400000_NS6detail17trampoline_kernelINS0_14default_configENS1_25partition_config_selectorILNS1_17partition_subalgoE6EjNS0_10empty_typeEbEEZZNS1_14partition_implILS5_6ELb0ES3_mN6thrust23THRUST_200600_302600_NS6detail15normal_iteratorINSA_10device_ptrIjEEEEPS6_SG_NS0_5tupleIJNSA_16discard_iteratorINSA_11use_defaultEEES6_EEENSH_IJSG_SG_EEES6_PlJNSB_9not_fun_tI7is_trueIjEEEEEE10hipError_tPvRmT3_T4_T5_T6_T7_T9_mT8_P12ihipStream_tbDpT10_ENKUlT_T0_E_clISt17integral_constantIbLb1EES1B_EEDaS16_S17_EUlS16_E_NS1_11comp_targetILNS1_3genE4ELNS1_11target_archE910ELNS1_3gpuE8ELNS1_3repE0EEENS1_30default_config_static_selectorELNS0_4arch9wavefront6targetE0EEEvT1_.uses_vcc, 0
	.set _ZN7rocprim17ROCPRIM_400000_NS6detail17trampoline_kernelINS0_14default_configENS1_25partition_config_selectorILNS1_17partition_subalgoE6EjNS0_10empty_typeEbEEZZNS1_14partition_implILS5_6ELb0ES3_mN6thrust23THRUST_200600_302600_NS6detail15normal_iteratorINSA_10device_ptrIjEEEEPS6_SG_NS0_5tupleIJNSA_16discard_iteratorINSA_11use_defaultEEES6_EEENSH_IJSG_SG_EEES6_PlJNSB_9not_fun_tI7is_trueIjEEEEEE10hipError_tPvRmT3_T4_T5_T6_T7_T9_mT8_P12ihipStream_tbDpT10_ENKUlT_T0_E_clISt17integral_constantIbLb1EES1B_EEDaS16_S17_EUlS16_E_NS1_11comp_targetILNS1_3genE4ELNS1_11target_archE910ELNS1_3gpuE8ELNS1_3repE0EEENS1_30default_config_static_selectorELNS0_4arch9wavefront6targetE0EEEvT1_.uses_flat_scratch, 0
	.set _ZN7rocprim17ROCPRIM_400000_NS6detail17trampoline_kernelINS0_14default_configENS1_25partition_config_selectorILNS1_17partition_subalgoE6EjNS0_10empty_typeEbEEZZNS1_14partition_implILS5_6ELb0ES3_mN6thrust23THRUST_200600_302600_NS6detail15normal_iteratorINSA_10device_ptrIjEEEEPS6_SG_NS0_5tupleIJNSA_16discard_iteratorINSA_11use_defaultEEES6_EEENSH_IJSG_SG_EEES6_PlJNSB_9not_fun_tI7is_trueIjEEEEEE10hipError_tPvRmT3_T4_T5_T6_T7_T9_mT8_P12ihipStream_tbDpT10_ENKUlT_T0_E_clISt17integral_constantIbLb1EES1B_EEDaS16_S17_EUlS16_E_NS1_11comp_targetILNS1_3genE4ELNS1_11target_archE910ELNS1_3gpuE8ELNS1_3repE0EEENS1_30default_config_static_selectorELNS0_4arch9wavefront6targetE0EEEvT1_.has_dyn_sized_stack, 0
	.set _ZN7rocprim17ROCPRIM_400000_NS6detail17trampoline_kernelINS0_14default_configENS1_25partition_config_selectorILNS1_17partition_subalgoE6EjNS0_10empty_typeEbEEZZNS1_14partition_implILS5_6ELb0ES3_mN6thrust23THRUST_200600_302600_NS6detail15normal_iteratorINSA_10device_ptrIjEEEEPS6_SG_NS0_5tupleIJNSA_16discard_iteratorINSA_11use_defaultEEES6_EEENSH_IJSG_SG_EEES6_PlJNSB_9not_fun_tI7is_trueIjEEEEEE10hipError_tPvRmT3_T4_T5_T6_T7_T9_mT8_P12ihipStream_tbDpT10_ENKUlT_T0_E_clISt17integral_constantIbLb1EES1B_EEDaS16_S17_EUlS16_E_NS1_11comp_targetILNS1_3genE4ELNS1_11target_archE910ELNS1_3gpuE8ELNS1_3repE0EEENS1_30default_config_static_selectorELNS0_4arch9wavefront6targetE0EEEvT1_.has_recursion, 0
	.set _ZN7rocprim17ROCPRIM_400000_NS6detail17trampoline_kernelINS0_14default_configENS1_25partition_config_selectorILNS1_17partition_subalgoE6EjNS0_10empty_typeEbEEZZNS1_14partition_implILS5_6ELb0ES3_mN6thrust23THRUST_200600_302600_NS6detail15normal_iteratorINSA_10device_ptrIjEEEEPS6_SG_NS0_5tupleIJNSA_16discard_iteratorINSA_11use_defaultEEES6_EEENSH_IJSG_SG_EEES6_PlJNSB_9not_fun_tI7is_trueIjEEEEEE10hipError_tPvRmT3_T4_T5_T6_T7_T9_mT8_P12ihipStream_tbDpT10_ENKUlT_T0_E_clISt17integral_constantIbLb1EES1B_EEDaS16_S17_EUlS16_E_NS1_11comp_targetILNS1_3genE4ELNS1_11target_archE910ELNS1_3gpuE8ELNS1_3repE0EEENS1_30default_config_static_selectorELNS0_4arch9wavefront6targetE0EEEvT1_.has_indirect_call, 0
	.section	.AMDGPU.csdata,"",@progbits
; Kernel info:
; codeLenInByte = 0
; TotalNumSgprs: 0
; NumVgprs: 0
; ScratchSize: 0
; MemoryBound: 0
; FloatMode: 240
; IeeeMode: 1
; LDSByteSize: 0 bytes/workgroup (compile time only)
; SGPRBlocks: 0
; VGPRBlocks: 0
; NumSGPRsForWavesPerEU: 1
; NumVGPRsForWavesPerEU: 1
; Occupancy: 16
; WaveLimiterHint : 0
; COMPUTE_PGM_RSRC2:SCRATCH_EN: 0
; COMPUTE_PGM_RSRC2:USER_SGPR: 2
; COMPUTE_PGM_RSRC2:TRAP_HANDLER: 0
; COMPUTE_PGM_RSRC2:TGID_X_EN: 1
; COMPUTE_PGM_RSRC2:TGID_Y_EN: 0
; COMPUTE_PGM_RSRC2:TGID_Z_EN: 0
; COMPUTE_PGM_RSRC2:TIDIG_COMP_CNT: 0
	.section	.text._ZN7rocprim17ROCPRIM_400000_NS6detail17trampoline_kernelINS0_14default_configENS1_25partition_config_selectorILNS1_17partition_subalgoE6EjNS0_10empty_typeEbEEZZNS1_14partition_implILS5_6ELb0ES3_mN6thrust23THRUST_200600_302600_NS6detail15normal_iteratorINSA_10device_ptrIjEEEEPS6_SG_NS0_5tupleIJNSA_16discard_iteratorINSA_11use_defaultEEES6_EEENSH_IJSG_SG_EEES6_PlJNSB_9not_fun_tI7is_trueIjEEEEEE10hipError_tPvRmT3_T4_T5_T6_T7_T9_mT8_P12ihipStream_tbDpT10_ENKUlT_T0_E_clISt17integral_constantIbLb1EES1B_EEDaS16_S17_EUlS16_E_NS1_11comp_targetILNS1_3genE3ELNS1_11target_archE908ELNS1_3gpuE7ELNS1_3repE0EEENS1_30default_config_static_selectorELNS0_4arch9wavefront6targetE0EEEvT1_,"axG",@progbits,_ZN7rocprim17ROCPRIM_400000_NS6detail17trampoline_kernelINS0_14default_configENS1_25partition_config_selectorILNS1_17partition_subalgoE6EjNS0_10empty_typeEbEEZZNS1_14partition_implILS5_6ELb0ES3_mN6thrust23THRUST_200600_302600_NS6detail15normal_iteratorINSA_10device_ptrIjEEEEPS6_SG_NS0_5tupleIJNSA_16discard_iteratorINSA_11use_defaultEEES6_EEENSH_IJSG_SG_EEES6_PlJNSB_9not_fun_tI7is_trueIjEEEEEE10hipError_tPvRmT3_T4_T5_T6_T7_T9_mT8_P12ihipStream_tbDpT10_ENKUlT_T0_E_clISt17integral_constantIbLb1EES1B_EEDaS16_S17_EUlS16_E_NS1_11comp_targetILNS1_3genE3ELNS1_11target_archE908ELNS1_3gpuE7ELNS1_3repE0EEENS1_30default_config_static_selectorELNS0_4arch9wavefront6targetE0EEEvT1_,comdat
	.protected	_ZN7rocprim17ROCPRIM_400000_NS6detail17trampoline_kernelINS0_14default_configENS1_25partition_config_selectorILNS1_17partition_subalgoE6EjNS0_10empty_typeEbEEZZNS1_14partition_implILS5_6ELb0ES3_mN6thrust23THRUST_200600_302600_NS6detail15normal_iteratorINSA_10device_ptrIjEEEEPS6_SG_NS0_5tupleIJNSA_16discard_iteratorINSA_11use_defaultEEES6_EEENSH_IJSG_SG_EEES6_PlJNSB_9not_fun_tI7is_trueIjEEEEEE10hipError_tPvRmT3_T4_T5_T6_T7_T9_mT8_P12ihipStream_tbDpT10_ENKUlT_T0_E_clISt17integral_constantIbLb1EES1B_EEDaS16_S17_EUlS16_E_NS1_11comp_targetILNS1_3genE3ELNS1_11target_archE908ELNS1_3gpuE7ELNS1_3repE0EEENS1_30default_config_static_selectorELNS0_4arch9wavefront6targetE0EEEvT1_ ; -- Begin function _ZN7rocprim17ROCPRIM_400000_NS6detail17trampoline_kernelINS0_14default_configENS1_25partition_config_selectorILNS1_17partition_subalgoE6EjNS0_10empty_typeEbEEZZNS1_14partition_implILS5_6ELb0ES3_mN6thrust23THRUST_200600_302600_NS6detail15normal_iteratorINSA_10device_ptrIjEEEEPS6_SG_NS0_5tupleIJNSA_16discard_iteratorINSA_11use_defaultEEES6_EEENSH_IJSG_SG_EEES6_PlJNSB_9not_fun_tI7is_trueIjEEEEEE10hipError_tPvRmT3_T4_T5_T6_T7_T9_mT8_P12ihipStream_tbDpT10_ENKUlT_T0_E_clISt17integral_constantIbLb1EES1B_EEDaS16_S17_EUlS16_E_NS1_11comp_targetILNS1_3genE3ELNS1_11target_archE908ELNS1_3gpuE7ELNS1_3repE0EEENS1_30default_config_static_selectorELNS0_4arch9wavefront6targetE0EEEvT1_
	.globl	_ZN7rocprim17ROCPRIM_400000_NS6detail17trampoline_kernelINS0_14default_configENS1_25partition_config_selectorILNS1_17partition_subalgoE6EjNS0_10empty_typeEbEEZZNS1_14partition_implILS5_6ELb0ES3_mN6thrust23THRUST_200600_302600_NS6detail15normal_iteratorINSA_10device_ptrIjEEEEPS6_SG_NS0_5tupleIJNSA_16discard_iteratorINSA_11use_defaultEEES6_EEENSH_IJSG_SG_EEES6_PlJNSB_9not_fun_tI7is_trueIjEEEEEE10hipError_tPvRmT3_T4_T5_T6_T7_T9_mT8_P12ihipStream_tbDpT10_ENKUlT_T0_E_clISt17integral_constantIbLb1EES1B_EEDaS16_S17_EUlS16_E_NS1_11comp_targetILNS1_3genE3ELNS1_11target_archE908ELNS1_3gpuE7ELNS1_3repE0EEENS1_30default_config_static_selectorELNS0_4arch9wavefront6targetE0EEEvT1_
	.p2align	8
	.type	_ZN7rocprim17ROCPRIM_400000_NS6detail17trampoline_kernelINS0_14default_configENS1_25partition_config_selectorILNS1_17partition_subalgoE6EjNS0_10empty_typeEbEEZZNS1_14partition_implILS5_6ELb0ES3_mN6thrust23THRUST_200600_302600_NS6detail15normal_iteratorINSA_10device_ptrIjEEEEPS6_SG_NS0_5tupleIJNSA_16discard_iteratorINSA_11use_defaultEEES6_EEENSH_IJSG_SG_EEES6_PlJNSB_9not_fun_tI7is_trueIjEEEEEE10hipError_tPvRmT3_T4_T5_T6_T7_T9_mT8_P12ihipStream_tbDpT10_ENKUlT_T0_E_clISt17integral_constantIbLb1EES1B_EEDaS16_S17_EUlS16_E_NS1_11comp_targetILNS1_3genE3ELNS1_11target_archE908ELNS1_3gpuE7ELNS1_3repE0EEENS1_30default_config_static_selectorELNS0_4arch9wavefront6targetE0EEEvT1_,@function
_ZN7rocprim17ROCPRIM_400000_NS6detail17trampoline_kernelINS0_14default_configENS1_25partition_config_selectorILNS1_17partition_subalgoE6EjNS0_10empty_typeEbEEZZNS1_14partition_implILS5_6ELb0ES3_mN6thrust23THRUST_200600_302600_NS6detail15normal_iteratorINSA_10device_ptrIjEEEEPS6_SG_NS0_5tupleIJNSA_16discard_iteratorINSA_11use_defaultEEES6_EEENSH_IJSG_SG_EEES6_PlJNSB_9not_fun_tI7is_trueIjEEEEEE10hipError_tPvRmT3_T4_T5_T6_T7_T9_mT8_P12ihipStream_tbDpT10_ENKUlT_T0_E_clISt17integral_constantIbLb1EES1B_EEDaS16_S17_EUlS16_E_NS1_11comp_targetILNS1_3genE3ELNS1_11target_archE908ELNS1_3gpuE7ELNS1_3repE0EEENS1_30default_config_static_selectorELNS0_4arch9wavefront6targetE0EEEvT1_: ; @_ZN7rocprim17ROCPRIM_400000_NS6detail17trampoline_kernelINS0_14default_configENS1_25partition_config_selectorILNS1_17partition_subalgoE6EjNS0_10empty_typeEbEEZZNS1_14partition_implILS5_6ELb0ES3_mN6thrust23THRUST_200600_302600_NS6detail15normal_iteratorINSA_10device_ptrIjEEEEPS6_SG_NS0_5tupleIJNSA_16discard_iteratorINSA_11use_defaultEEES6_EEENSH_IJSG_SG_EEES6_PlJNSB_9not_fun_tI7is_trueIjEEEEEE10hipError_tPvRmT3_T4_T5_T6_T7_T9_mT8_P12ihipStream_tbDpT10_ENKUlT_T0_E_clISt17integral_constantIbLb1EES1B_EEDaS16_S17_EUlS16_E_NS1_11comp_targetILNS1_3genE3ELNS1_11target_archE908ELNS1_3gpuE7ELNS1_3repE0EEENS1_30default_config_static_selectorELNS0_4arch9wavefront6targetE0EEEvT1_
; %bb.0:
	.section	.rodata,"a",@progbits
	.p2align	6, 0x0
	.amdhsa_kernel _ZN7rocprim17ROCPRIM_400000_NS6detail17trampoline_kernelINS0_14default_configENS1_25partition_config_selectorILNS1_17partition_subalgoE6EjNS0_10empty_typeEbEEZZNS1_14partition_implILS5_6ELb0ES3_mN6thrust23THRUST_200600_302600_NS6detail15normal_iteratorINSA_10device_ptrIjEEEEPS6_SG_NS0_5tupleIJNSA_16discard_iteratorINSA_11use_defaultEEES6_EEENSH_IJSG_SG_EEES6_PlJNSB_9not_fun_tI7is_trueIjEEEEEE10hipError_tPvRmT3_T4_T5_T6_T7_T9_mT8_P12ihipStream_tbDpT10_ENKUlT_T0_E_clISt17integral_constantIbLb1EES1B_EEDaS16_S17_EUlS16_E_NS1_11comp_targetILNS1_3genE3ELNS1_11target_archE908ELNS1_3gpuE7ELNS1_3repE0EEENS1_30default_config_static_selectorELNS0_4arch9wavefront6targetE0EEEvT1_
		.amdhsa_group_segment_fixed_size 0
		.amdhsa_private_segment_fixed_size 0
		.amdhsa_kernarg_size 136
		.amdhsa_user_sgpr_count 2
		.amdhsa_user_sgpr_dispatch_ptr 0
		.amdhsa_user_sgpr_queue_ptr 0
		.amdhsa_user_sgpr_kernarg_segment_ptr 1
		.amdhsa_user_sgpr_dispatch_id 0
		.amdhsa_user_sgpr_private_segment_size 0
		.amdhsa_wavefront_size32 1
		.amdhsa_uses_dynamic_stack 0
		.amdhsa_enable_private_segment 0
		.amdhsa_system_sgpr_workgroup_id_x 1
		.amdhsa_system_sgpr_workgroup_id_y 0
		.amdhsa_system_sgpr_workgroup_id_z 0
		.amdhsa_system_sgpr_workgroup_info 0
		.amdhsa_system_vgpr_workitem_id 0
		.amdhsa_next_free_vgpr 1
		.amdhsa_next_free_sgpr 1
		.amdhsa_reserve_vcc 0
		.amdhsa_float_round_mode_32 0
		.amdhsa_float_round_mode_16_64 0
		.amdhsa_float_denorm_mode_32 3
		.amdhsa_float_denorm_mode_16_64 3
		.amdhsa_fp16_overflow 0
		.amdhsa_workgroup_processor_mode 1
		.amdhsa_memory_ordered 1
		.amdhsa_forward_progress 1
		.amdhsa_inst_pref_size 0
		.amdhsa_round_robin_scheduling 0
		.amdhsa_exception_fp_ieee_invalid_op 0
		.amdhsa_exception_fp_denorm_src 0
		.amdhsa_exception_fp_ieee_div_zero 0
		.amdhsa_exception_fp_ieee_overflow 0
		.amdhsa_exception_fp_ieee_underflow 0
		.amdhsa_exception_fp_ieee_inexact 0
		.amdhsa_exception_int_div_zero 0
	.end_amdhsa_kernel
	.section	.text._ZN7rocprim17ROCPRIM_400000_NS6detail17trampoline_kernelINS0_14default_configENS1_25partition_config_selectorILNS1_17partition_subalgoE6EjNS0_10empty_typeEbEEZZNS1_14partition_implILS5_6ELb0ES3_mN6thrust23THRUST_200600_302600_NS6detail15normal_iteratorINSA_10device_ptrIjEEEEPS6_SG_NS0_5tupleIJNSA_16discard_iteratorINSA_11use_defaultEEES6_EEENSH_IJSG_SG_EEES6_PlJNSB_9not_fun_tI7is_trueIjEEEEEE10hipError_tPvRmT3_T4_T5_T6_T7_T9_mT8_P12ihipStream_tbDpT10_ENKUlT_T0_E_clISt17integral_constantIbLb1EES1B_EEDaS16_S17_EUlS16_E_NS1_11comp_targetILNS1_3genE3ELNS1_11target_archE908ELNS1_3gpuE7ELNS1_3repE0EEENS1_30default_config_static_selectorELNS0_4arch9wavefront6targetE0EEEvT1_,"axG",@progbits,_ZN7rocprim17ROCPRIM_400000_NS6detail17trampoline_kernelINS0_14default_configENS1_25partition_config_selectorILNS1_17partition_subalgoE6EjNS0_10empty_typeEbEEZZNS1_14partition_implILS5_6ELb0ES3_mN6thrust23THRUST_200600_302600_NS6detail15normal_iteratorINSA_10device_ptrIjEEEEPS6_SG_NS0_5tupleIJNSA_16discard_iteratorINSA_11use_defaultEEES6_EEENSH_IJSG_SG_EEES6_PlJNSB_9not_fun_tI7is_trueIjEEEEEE10hipError_tPvRmT3_T4_T5_T6_T7_T9_mT8_P12ihipStream_tbDpT10_ENKUlT_T0_E_clISt17integral_constantIbLb1EES1B_EEDaS16_S17_EUlS16_E_NS1_11comp_targetILNS1_3genE3ELNS1_11target_archE908ELNS1_3gpuE7ELNS1_3repE0EEENS1_30default_config_static_selectorELNS0_4arch9wavefront6targetE0EEEvT1_,comdat
.Lfunc_end2184:
	.size	_ZN7rocprim17ROCPRIM_400000_NS6detail17trampoline_kernelINS0_14default_configENS1_25partition_config_selectorILNS1_17partition_subalgoE6EjNS0_10empty_typeEbEEZZNS1_14partition_implILS5_6ELb0ES3_mN6thrust23THRUST_200600_302600_NS6detail15normal_iteratorINSA_10device_ptrIjEEEEPS6_SG_NS0_5tupleIJNSA_16discard_iteratorINSA_11use_defaultEEES6_EEENSH_IJSG_SG_EEES6_PlJNSB_9not_fun_tI7is_trueIjEEEEEE10hipError_tPvRmT3_T4_T5_T6_T7_T9_mT8_P12ihipStream_tbDpT10_ENKUlT_T0_E_clISt17integral_constantIbLb1EES1B_EEDaS16_S17_EUlS16_E_NS1_11comp_targetILNS1_3genE3ELNS1_11target_archE908ELNS1_3gpuE7ELNS1_3repE0EEENS1_30default_config_static_selectorELNS0_4arch9wavefront6targetE0EEEvT1_, .Lfunc_end2184-_ZN7rocprim17ROCPRIM_400000_NS6detail17trampoline_kernelINS0_14default_configENS1_25partition_config_selectorILNS1_17partition_subalgoE6EjNS0_10empty_typeEbEEZZNS1_14partition_implILS5_6ELb0ES3_mN6thrust23THRUST_200600_302600_NS6detail15normal_iteratorINSA_10device_ptrIjEEEEPS6_SG_NS0_5tupleIJNSA_16discard_iteratorINSA_11use_defaultEEES6_EEENSH_IJSG_SG_EEES6_PlJNSB_9not_fun_tI7is_trueIjEEEEEE10hipError_tPvRmT3_T4_T5_T6_T7_T9_mT8_P12ihipStream_tbDpT10_ENKUlT_T0_E_clISt17integral_constantIbLb1EES1B_EEDaS16_S17_EUlS16_E_NS1_11comp_targetILNS1_3genE3ELNS1_11target_archE908ELNS1_3gpuE7ELNS1_3repE0EEENS1_30default_config_static_selectorELNS0_4arch9wavefront6targetE0EEEvT1_
                                        ; -- End function
	.set _ZN7rocprim17ROCPRIM_400000_NS6detail17trampoline_kernelINS0_14default_configENS1_25partition_config_selectorILNS1_17partition_subalgoE6EjNS0_10empty_typeEbEEZZNS1_14partition_implILS5_6ELb0ES3_mN6thrust23THRUST_200600_302600_NS6detail15normal_iteratorINSA_10device_ptrIjEEEEPS6_SG_NS0_5tupleIJNSA_16discard_iteratorINSA_11use_defaultEEES6_EEENSH_IJSG_SG_EEES6_PlJNSB_9not_fun_tI7is_trueIjEEEEEE10hipError_tPvRmT3_T4_T5_T6_T7_T9_mT8_P12ihipStream_tbDpT10_ENKUlT_T0_E_clISt17integral_constantIbLb1EES1B_EEDaS16_S17_EUlS16_E_NS1_11comp_targetILNS1_3genE3ELNS1_11target_archE908ELNS1_3gpuE7ELNS1_3repE0EEENS1_30default_config_static_selectorELNS0_4arch9wavefront6targetE0EEEvT1_.num_vgpr, 0
	.set _ZN7rocprim17ROCPRIM_400000_NS6detail17trampoline_kernelINS0_14default_configENS1_25partition_config_selectorILNS1_17partition_subalgoE6EjNS0_10empty_typeEbEEZZNS1_14partition_implILS5_6ELb0ES3_mN6thrust23THRUST_200600_302600_NS6detail15normal_iteratorINSA_10device_ptrIjEEEEPS6_SG_NS0_5tupleIJNSA_16discard_iteratorINSA_11use_defaultEEES6_EEENSH_IJSG_SG_EEES6_PlJNSB_9not_fun_tI7is_trueIjEEEEEE10hipError_tPvRmT3_T4_T5_T6_T7_T9_mT8_P12ihipStream_tbDpT10_ENKUlT_T0_E_clISt17integral_constantIbLb1EES1B_EEDaS16_S17_EUlS16_E_NS1_11comp_targetILNS1_3genE3ELNS1_11target_archE908ELNS1_3gpuE7ELNS1_3repE0EEENS1_30default_config_static_selectorELNS0_4arch9wavefront6targetE0EEEvT1_.num_agpr, 0
	.set _ZN7rocprim17ROCPRIM_400000_NS6detail17trampoline_kernelINS0_14default_configENS1_25partition_config_selectorILNS1_17partition_subalgoE6EjNS0_10empty_typeEbEEZZNS1_14partition_implILS5_6ELb0ES3_mN6thrust23THRUST_200600_302600_NS6detail15normal_iteratorINSA_10device_ptrIjEEEEPS6_SG_NS0_5tupleIJNSA_16discard_iteratorINSA_11use_defaultEEES6_EEENSH_IJSG_SG_EEES6_PlJNSB_9not_fun_tI7is_trueIjEEEEEE10hipError_tPvRmT3_T4_T5_T6_T7_T9_mT8_P12ihipStream_tbDpT10_ENKUlT_T0_E_clISt17integral_constantIbLb1EES1B_EEDaS16_S17_EUlS16_E_NS1_11comp_targetILNS1_3genE3ELNS1_11target_archE908ELNS1_3gpuE7ELNS1_3repE0EEENS1_30default_config_static_selectorELNS0_4arch9wavefront6targetE0EEEvT1_.numbered_sgpr, 0
	.set _ZN7rocprim17ROCPRIM_400000_NS6detail17trampoline_kernelINS0_14default_configENS1_25partition_config_selectorILNS1_17partition_subalgoE6EjNS0_10empty_typeEbEEZZNS1_14partition_implILS5_6ELb0ES3_mN6thrust23THRUST_200600_302600_NS6detail15normal_iteratorINSA_10device_ptrIjEEEEPS6_SG_NS0_5tupleIJNSA_16discard_iteratorINSA_11use_defaultEEES6_EEENSH_IJSG_SG_EEES6_PlJNSB_9not_fun_tI7is_trueIjEEEEEE10hipError_tPvRmT3_T4_T5_T6_T7_T9_mT8_P12ihipStream_tbDpT10_ENKUlT_T0_E_clISt17integral_constantIbLb1EES1B_EEDaS16_S17_EUlS16_E_NS1_11comp_targetILNS1_3genE3ELNS1_11target_archE908ELNS1_3gpuE7ELNS1_3repE0EEENS1_30default_config_static_selectorELNS0_4arch9wavefront6targetE0EEEvT1_.num_named_barrier, 0
	.set _ZN7rocprim17ROCPRIM_400000_NS6detail17trampoline_kernelINS0_14default_configENS1_25partition_config_selectorILNS1_17partition_subalgoE6EjNS0_10empty_typeEbEEZZNS1_14partition_implILS5_6ELb0ES3_mN6thrust23THRUST_200600_302600_NS6detail15normal_iteratorINSA_10device_ptrIjEEEEPS6_SG_NS0_5tupleIJNSA_16discard_iteratorINSA_11use_defaultEEES6_EEENSH_IJSG_SG_EEES6_PlJNSB_9not_fun_tI7is_trueIjEEEEEE10hipError_tPvRmT3_T4_T5_T6_T7_T9_mT8_P12ihipStream_tbDpT10_ENKUlT_T0_E_clISt17integral_constantIbLb1EES1B_EEDaS16_S17_EUlS16_E_NS1_11comp_targetILNS1_3genE3ELNS1_11target_archE908ELNS1_3gpuE7ELNS1_3repE0EEENS1_30default_config_static_selectorELNS0_4arch9wavefront6targetE0EEEvT1_.private_seg_size, 0
	.set _ZN7rocprim17ROCPRIM_400000_NS6detail17trampoline_kernelINS0_14default_configENS1_25partition_config_selectorILNS1_17partition_subalgoE6EjNS0_10empty_typeEbEEZZNS1_14partition_implILS5_6ELb0ES3_mN6thrust23THRUST_200600_302600_NS6detail15normal_iteratorINSA_10device_ptrIjEEEEPS6_SG_NS0_5tupleIJNSA_16discard_iteratorINSA_11use_defaultEEES6_EEENSH_IJSG_SG_EEES6_PlJNSB_9not_fun_tI7is_trueIjEEEEEE10hipError_tPvRmT3_T4_T5_T6_T7_T9_mT8_P12ihipStream_tbDpT10_ENKUlT_T0_E_clISt17integral_constantIbLb1EES1B_EEDaS16_S17_EUlS16_E_NS1_11comp_targetILNS1_3genE3ELNS1_11target_archE908ELNS1_3gpuE7ELNS1_3repE0EEENS1_30default_config_static_selectorELNS0_4arch9wavefront6targetE0EEEvT1_.uses_vcc, 0
	.set _ZN7rocprim17ROCPRIM_400000_NS6detail17trampoline_kernelINS0_14default_configENS1_25partition_config_selectorILNS1_17partition_subalgoE6EjNS0_10empty_typeEbEEZZNS1_14partition_implILS5_6ELb0ES3_mN6thrust23THRUST_200600_302600_NS6detail15normal_iteratorINSA_10device_ptrIjEEEEPS6_SG_NS0_5tupleIJNSA_16discard_iteratorINSA_11use_defaultEEES6_EEENSH_IJSG_SG_EEES6_PlJNSB_9not_fun_tI7is_trueIjEEEEEE10hipError_tPvRmT3_T4_T5_T6_T7_T9_mT8_P12ihipStream_tbDpT10_ENKUlT_T0_E_clISt17integral_constantIbLb1EES1B_EEDaS16_S17_EUlS16_E_NS1_11comp_targetILNS1_3genE3ELNS1_11target_archE908ELNS1_3gpuE7ELNS1_3repE0EEENS1_30default_config_static_selectorELNS0_4arch9wavefront6targetE0EEEvT1_.uses_flat_scratch, 0
	.set _ZN7rocprim17ROCPRIM_400000_NS6detail17trampoline_kernelINS0_14default_configENS1_25partition_config_selectorILNS1_17partition_subalgoE6EjNS0_10empty_typeEbEEZZNS1_14partition_implILS5_6ELb0ES3_mN6thrust23THRUST_200600_302600_NS6detail15normal_iteratorINSA_10device_ptrIjEEEEPS6_SG_NS0_5tupleIJNSA_16discard_iteratorINSA_11use_defaultEEES6_EEENSH_IJSG_SG_EEES6_PlJNSB_9not_fun_tI7is_trueIjEEEEEE10hipError_tPvRmT3_T4_T5_T6_T7_T9_mT8_P12ihipStream_tbDpT10_ENKUlT_T0_E_clISt17integral_constantIbLb1EES1B_EEDaS16_S17_EUlS16_E_NS1_11comp_targetILNS1_3genE3ELNS1_11target_archE908ELNS1_3gpuE7ELNS1_3repE0EEENS1_30default_config_static_selectorELNS0_4arch9wavefront6targetE0EEEvT1_.has_dyn_sized_stack, 0
	.set _ZN7rocprim17ROCPRIM_400000_NS6detail17trampoline_kernelINS0_14default_configENS1_25partition_config_selectorILNS1_17partition_subalgoE6EjNS0_10empty_typeEbEEZZNS1_14partition_implILS5_6ELb0ES3_mN6thrust23THRUST_200600_302600_NS6detail15normal_iteratorINSA_10device_ptrIjEEEEPS6_SG_NS0_5tupleIJNSA_16discard_iteratorINSA_11use_defaultEEES6_EEENSH_IJSG_SG_EEES6_PlJNSB_9not_fun_tI7is_trueIjEEEEEE10hipError_tPvRmT3_T4_T5_T6_T7_T9_mT8_P12ihipStream_tbDpT10_ENKUlT_T0_E_clISt17integral_constantIbLb1EES1B_EEDaS16_S17_EUlS16_E_NS1_11comp_targetILNS1_3genE3ELNS1_11target_archE908ELNS1_3gpuE7ELNS1_3repE0EEENS1_30default_config_static_selectorELNS0_4arch9wavefront6targetE0EEEvT1_.has_recursion, 0
	.set _ZN7rocprim17ROCPRIM_400000_NS6detail17trampoline_kernelINS0_14default_configENS1_25partition_config_selectorILNS1_17partition_subalgoE6EjNS0_10empty_typeEbEEZZNS1_14partition_implILS5_6ELb0ES3_mN6thrust23THRUST_200600_302600_NS6detail15normal_iteratorINSA_10device_ptrIjEEEEPS6_SG_NS0_5tupleIJNSA_16discard_iteratorINSA_11use_defaultEEES6_EEENSH_IJSG_SG_EEES6_PlJNSB_9not_fun_tI7is_trueIjEEEEEE10hipError_tPvRmT3_T4_T5_T6_T7_T9_mT8_P12ihipStream_tbDpT10_ENKUlT_T0_E_clISt17integral_constantIbLb1EES1B_EEDaS16_S17_EUlS16_E_NS1_11comp_targetILNS1_3genE3ELNS1_11target_archE908ELNS1_3gpuE7ELNS1_3repE0EEENS1_30default_config_static_selectorELNS0_4arch9wavefront6targetE0EEEvT1_.has_indirect_call, 0
	.section	.AMDGPU.csdata,"",@progbits
; Kernel info:
; codeLenInByte = 0
; TotalNumSgprs: 0
; NumVgprs: 0
; ScratchSize: 0
; MemoryBound: 0
; FloatMode: 240
; IeeeMode: 1
; LDSByteSize: 0 bytes/workgroup (compile time only)
; SGPRBlocks: 0
; VGPRBlocks: 0
; NumSGPRsForWavesPerEU: 1
; NumVGPRsForWavesPerEU: 1
; Occupancy: 16
; WaveLimiterHint : 0
; COMPUTE_PGM_RSRC2:SCRATCH_EN: 0
; COMPUTE_PGM_RSRC2:USER_SGPR: 2
; COMPUTE_PGM_RSRC2:TRAP_HANDLER: 0
; COMPUTE_PGM_RSRC2:TGID_X_EN: 1
; COMPUTE_PGM_RSRC2:TGID_Y_EN: 0
; COMPUTE_PGM_RSRC2:TGID_Z_EN: 0
; COMPUTE_PGM_RSRC2:TIDIG_COMP_CNT: 0
	.section	.text._ZN7rocprim17ROCPRIM_400000_NS6detail17trampoline_kernelINS0_14default_configENS1_25partition_config_selectorILNS1_17partition_subalgoE6EjNS0_10empty_typeEbEEZZNS1_14partition_implILS5_6ELb0ES3_mN6thrust23THRUST_200600_302600_NS6detail15normal_iteratorINSA_10device_ptrIjEEEEPS6_SG_NS0_5tupleIJNSA_16discard_iteratorINSA_11use_defaultEEES6_EEENSH_IJSG_SG_EEES6_PlJNSB_9not_fun_tI7is_trueIjEEEEEE10hipError_tPvRmT3_T4_T5_T6_T7_T9_mT8_P12ihipStream_tbDpT10_ENKUlT_T0_E_clISt17integral_constantIbLb1EES1B_EEDaS16_S17_EUlS16_E_NS1_11comp_targetILNS1_3genE2ELNS1_11target_archE906ELNS1_3gpuE6ELNS1_3repE0EEENS1_30default_config_static_selectorELNS0_4arch9wavefront6targetE0EEEvT1_,"axG",@progbits,_ZN7rocprim17ROCPRIM_400000_NS6detail17trampoline_kernelINS0_14default_configENS1_25partition_config_selectorILNS1_17partition_subalgoE6EjNS0_10empty_typeEbEEZZNS1_14partition_implILS5_6ELb0ES3_mN6thrust23THRUST_200600_302600_NS6detail15normal_iteratorINSA_10device_ptrIjEEEEPS6_SG_NS0_5tupleIJNSA_16discard_iteratorINSA_11use_defaultEEES6_EEENSH_IJSG_SG_EEES6_PlJNSB_9not_fun_tI7is_trueIjEEEEEE10hipError_tPvRmT3_T4_T5_T6_T7_T9_mT8_P12ihipStream_tbDpT10_ENKUlT_T0_E_clISt17integral_constantIbLb1EES1B_EEDaS16_S17_EUlS16_E_NS1_11comp_targetILNS1_3genE2ELNS1_11target_archE906ELNS1_3gpuE6ELNS1_3repE0EEENS1_30default_config_static_selectorELNS0_4arch9wavefront6targetE0EEEvT1_,comdat
	.protected	_ZN7rocprim17ROCPRIM_400000_NS6detail17trampoline_kernelINS0_14default_configENS1_25partition_config_selectorILNS1_17partition_subalgoE6EjNS0_10empty_typeEbEEZZNS1_14partition_implILS5_6ELb0ES3_mN6thrust23THRUST_200600_302600_NS6detail15normal_iteratorINSA_10device_ptrIjEEEEPS6_SG_NS0_5tupleIJNSA_16discard_iteratorINSA_11use_defaultEEES6_EEENSH_IJSG_SG_EEES6_PlJNSB_9not_fun_tI7is_trueIjEEEEEE10hipError_tPvRmT3_T4_T5_T6_T7_T9_mT8_P12ihipStream_tbDpT10_ENKUlT_T0_E_clISt17integral_constantIbLb1EES1B_EEDaS16_S17_EUlS16_E_NS1_11comp_targetILNS1_3genE2ELNS1_11target_archE906ELNS1_3gpuE6ELNS1_3repE0EEENS1_30default_config_static_selectorELNS0_4arch9wavefront6targetE0EEEvT1_ ; -- Begin function _ZN7rocprim17ROCPRIM_400000_NS6detail17trampoline_kernelINS0_14default_configENS1_25partition_config_selectorILNS1_17partition_subalgoE6EjNS0_10empty_typeEbEEZZNS1_14partition_implILS5_6ELb0ES3_mN6thrust23THRUST_200600_302600_NS6detail15normal_iteratorINSA_10device_ptrIjEEEEPS6_SG_NS0_5tupleIJNSA_16discard_iteratorINSA_11use_defaultEEES6_EEENSH_IJSG_SG_EEES6_PlJNSB_9not_fun_tI7is_trueIjEEEEEE10hipError_tPvRmT3_T4_T5_T6_T7_T9_mT8_P12ihipStream_tbDpT10_ENKUlT_T0_E_clISt17integral_constantIbLb1EES1B_EEDaS16_S17_EUlS16_E_NS1_11comp_targetILNS1_3genE2ELNS1_11target_archE906ELNS1_3gpuE6ELNS1_3repE0EEENS1_30default_config_static_selectorELNS0_4arch9wavefront6targetE0EEEvT1_
	.globl	_ZN7rocprim17ROCPRIM_400000_NS6detail17trampoline_kernelINS0_14default_configENS1_25partition_config_selectorILNS1_17partition_subalgoE6EjNS0_10empty_typeEbEEZZNS1_14partition_implILS5_6ELb0ES3_mN6thrust23THRUST_200600_302600_NS6detail15normal_iteratorINSA_10device_ptrIjEEEEPS6_SG_NS0_5tupleIJNSA_16discard_iteratorINSA_11use_defaultEEES6_EEENSH_IJSG_SG_EEES6_PlJNSB_9not_fun_tI7is_trueIjEEEEEE10hipError_tPvRmT3_T4_T5_T6_T7_T9_mT8_P12ihipStream_tbDpT10_ENKUlT_T0_E_clISt17integral_constantIbLb1EES1B_EEDaS16_S17_EUlS16_E_NS1_11comp_targetILNS1_3genE2ELNS1_11target_archE906ELNS1_3gpuE6ELNS1_3repE0EEENS1_30default_config_static_selectorELNS0_4arch9wavefront6targetE0EEEvT1_
	.p2align	8
	.type	_ZN7rocprim17ROCPRIM_400000_NS6detail17trampoline_kernelINS0_14default_configENS1_25partition_config_selectorILNS1_17partition_subalgoE6EjNS0_10empty_typeEbEEZZNS1_14partition_implILS5_6ELb0ES3_mN6thrust23THRUST_200600_302600_NS6detail15normal_iteratorINSA_10device_ptrIjEEEEPS6_SG_NS0_5tupleIJNSA_16discard_iteratorINSA_11use_defaultEEES6_EEENSH_IJSG_SG_EEES6_PlJNSB_9not_fun_tI7is_trueIjEEEEEE10hipError_tPvRmT3_T4_T5_T6_T7_T9_mT8_P12ihipStream_tbDpT10_ENKUlT_T0_E_clISt17integral_constantIbLb1EES1B_EEDaS16_S17_EUlS16_E_NS1_11comp_targetILNS1_3genE2ELNS1_11target_archE906ELNS1_3gpuE6ELNS1_3repE0EEENS1_30default_config_static_selectorELNS0_4arch9wavefront6targetE0EEEvT1_,@function
_ZN7rocprim17ROCPRIM_400000_NS6detail17trampoline_kernelINS0_14default_configENS1_25partition_config_selectorILNS1_17partition_subalgoE6EjNS0_10empty_typeEbEEZZNS1_14partition_implILS5_6ELb0ES3_mN6thrust23THRUST_200600_302600_NS6detail15normal_iteratorINSA_10device_ptrIjEEEEPS6_SG_NS0_5tupleIJNSA_16discard_iteratorINSA_11use_defaultEEES6_EEENSH_IJSG_SG_EEES6_PlJNSB_9not_fun_tI7is_trueIjEEEEEE10hipError_tPvRmT3_T4_T5_T6_T7_T9_mT8_P12ihipStream_tbDpT10_ENKUlT_T0_E_clISt17integral_constantIbLb1EES1B_EEDaS16_S17_EUlS16_E_NS1_11comp_targetILNS1_3genE2ELNS1_11target_archE906ELNS1_3gpuE6ELNS1_3repE0EEENS1_30default_config_static_selectorELNS0_4arch9wavefront6targetE0EEEvT1_: ; @_ZN7rocprim17ROCPRIM_400000_NS6detail17trampoline_kernelINS0_14default_configENS1_25partition_config_selectorILNS1_17partition_subalgoE6EjNS0_10empty_typeEbEEZZNS1_14partition_implILS5_6ELb0ES3_mN6thrust23THRUST_200600_302600_NS6detail15normal_iteratorINSA_10device_ptrIjEEEEPS6_SG_NS0_5tupleIJNSA_16discard_iteratorINSA_11use_defaultEEES6_EEENSH_IJSG_SG_EEES6_PlJNSB_9not_fun_tI7is_trueIjEEEEEE10hipError_tPvRmT3_T4_T5_T6_T7_T9_mT8_P12ihipStream_tbDpT10_ENKUlT_T0_E_clISt17integral_constantIbLb1EES1B_EEDaS16_S17_EUlS16_E_NS1_11comp_targetILNS1_3genE2ELNS1_11target_archE906ELNS1_3gpuE6ELNS1_3repE0EEENS1_30default_config_static_selectorELNS0_4arch9wavefront6targetE0EEEvT1_
; %bb.0:
	.section	.rodata,"a",@progbits
	.p2align	6, 0x0
	.amdhsa_kernel _ZN7rocprim17ROCPRIM_400000_NS6detail17trampoline_kernelINS0_14default_configENS1_25partition_config_selectorILNS1_17partition_subalgoE6EjNS0_10empty_typeEbEEZZNS1_14partition_implILS5_6ELb0ES3_mN6thrust23THRUST_200600_302600_NS6detail15normal_iteratorINSA_10device_ptrIjEEEEPS6_SG_NS0_5tupleIJNSA_16discard_iteratorINSA_11use_defaultEEES6_EEENSH_IJSG_SG_EEES6_PlJNSB_9not_fun_tI7is_trueIjEEEEEE10hipError_tPvRmT3_T4_T5_T6_T7_T9_mT8_P12ihipStream_tbDpT10_ENKUlT_T0_E_clISt17integral_constantIbLb1EES1B_EEDaS16_S17_EUlS16_E_NS1_11comp_targetILNS1_3genE2ELNS1_11target_archE906ELNS1_3gpuE6ELNS1_3repE0EEENS1_30default_config_static_selectorELNS0_4arch9wavefront6targetE0EEEvT1_
		.amdhsa_group_segment_fixed_size 0
		.amdhsa_private_segment_fixed_size 0
		.amdhsa_kernarg_size 136
		.amdhsa_user_sgpr_count 2
		.amdhsa_user_sgpr_dispatch_ptr 0
		.amdhsa_user_sgpr_queue_ptr 0
		.amdhsa_user_sgpr_kernarg_segment_ptr 1
		.amdhsa_user_sgpr_dispatch_id 0
		.amdhsa_user_sgpr_private_segment_size 0
		.amdhsa_wavefront_size32 1
		.amdhsa_uses_dynamic_stack 0
		.amdhsa_enable_private_segment 0
		.amdhsa_system_sgpr_workgroup_id_x 1
		.amdhsa_system_sgpr_workgroup_id_y 0
		.amdhsa_system_sgpr_workgroup_id_z 0
		.amdhsa_system_sgpr_workgroup_info 0
		.amdhsa_system_vgpr_workitem_id 0
		.amdhsa_next_free_vgpr 1
		.amdhsa_next_free_sgpr 1
		.amdhsa_reserve_vcc 0
		.amdhsa_float_round_mode_32 0
		.amdhsa_float_round_mode_16_64 0
		.amdhsa_float_denorm_mode_32 3
		.amdhsa_float_denorm_mode_16_64 3
		.amdhsa_fp16_overflow 0
		.amdhsa_workgroup_processor_mode 1
		.amdhsa_memory_ordered 1
		.amdhsa_forward_progress 1
		.amdhsa_inst_pref_size 0
		.amdhsa_round_robin_scheduling 0
		.amdhsa_exception_fp_ieee_invalid_op 0
		.amdhsa_exception_fp_denorm_src 0
		.amdhsa_exception_fp_ieee_div_zero 0
		.amdhsa_exception_fp_ieee_overflow 0
		.amdhsa_exception_fp_ieee_underflow 0
		.amdhsa_exception_fp_ieee_inexact 0
		.amdhsa_exception_int_div_zero 0
	.end_amdhsa_kernel
	.section	.text._ZN7rocprim17ROCPRIM_400000_NS6detail17trampoline_kernelINS0_14default_configENS1_25partition_config_selectorILNS1_17partition_subalgoE6EjNS0_10empty_typeEbEEZZNS1_14partition_implILS5_6ELb0ES3_mN6thrust23THRUST_200600_302600_NS6detail15normal_iteratorINSA_10device_ptrIjEEEEPS6_SG_NS0_5tupleIJNSA_16discard_iteratorINSA_11use_defaultEEES6_EEENSH_IJSG_SG_EEES6_PlJNSB_9not_fun_tI7is_trueIjEEEEEE10hipError_tPvRmT3_T4_T5_T6_T7_T9_mT8_P12ihipStream_tbDpT10_ENKUlT_T0_E_clISt17integral_constantIbLb1EES1B_EEDaS16_S17_EUlS16_E_NS1_11comp_targetILNS1_3genE2ELNS1_11target_archE906ELNS1_3gpuE6ELNS1_3repE0EEENS1_30default_config_static_selectorELNS0_4arch9wavefront6targetE0EEEvT1_,"axG",@progbits,_ZN7rocprim17ROCPRIM_400000_NS6detail17trampoline_kernelINS0_14default_configENS1_25partition_config_selectorILNS1_17partition_subalgoE6EjNS0_10empty_typeEbEEZZNS1_14partition_implILS5_6ELb0ES3_mN6thrust23THRUST_200600_302600_NS6detail15normal_iteratorINSA_10device_ptrIjEEEEPS6_SG_NS0_5tupleIJNSA_16discard_iteratorINSA_11use_defaultEEES6_EEENSH_IJSG_SG_EEES6_PlJNSB_9not_fun_tI7is_trueIjEEEEEE10hipError_tPvRmT3_T4_T5_T6_T7_T9_mT8_P12ihipStream_tbDpT10_ENKUlT_T0_E_clISt17integral_constantIbLb1EES1B_EEDaS16_S17_EUlS16_E_NS1_11comp_targetILNS1_3genE2ELNS1_11target_archE906ELNS1_3gpuE6ELNS1_3repE0EEENS1_30default_config_static_selectorELNS0_4arch9wavefront6targetE0EEEvT1_,comdat
.Lfunc_end2185:
	.size	_ZN7rocprim17ROCPRIM_400000_NS6detail17trampoline_kernelINS0_14default_configENS1_25partition_config_selectorILNS1_17partition_subalgoE6EjNS0_10empty_typeEbEEZZNS1_14partition_implILS5_6ELb0ES3_mN6thrust23THRUST_200600_302600_NS6detail15normal_iteratorINSA_10device_ptrIjEEEEPS6_SG_NS0_5tupleIJNSA_16discard_iteratorINSA_11use_defaultEEES6_EEENSH_IJSG_SG_EEES6_PlJNSB_9not_fun_tI7is_trueIjEEEEEE10hipError_tPvRmT3_T4_T5_T6_T7_T9_mT8_P12ihipStream_tbDpT10_ENKUlT_T0_E_clISt17integral_constantIbLb1EES1B_EEDaS16_S17_EUlS16_E_NS1_11comp_targetILNS1_3genE2ELNS1_11target_archE906ELNS1_3gpuE6ELNS1_3repE0EEENS1_30default_config_static_selectorELNS0_4arch9wavefront6targetE0EEEvT1_, .Lfunc_end2185-_ZN7rocprim17ROCPRIM_400000_NS6detail17trampoline_kernelINS0_14default_configENS1_25partition_config_selectorILNS1_17partition_subalgoE6EjNS0_10empty_typeEbEEZZNS1_14partition_implILS5_6ELb0ES3_mN6thrust23THRUST_200600_302600_NS6detail15normal_iteratorINSA_10device_ptrIjEEEEPS6_SG_NS0_5tupleIJNSA_16discard_iteratorINSA_11use_defaultEEES6_EEENSH_IJSG_SG_EEES6_PlJNSB_9not_fun_tI7is_trueIjEEEEEE10hipError_tPvRmT3_T4_T5_T6_T7_T9_mT8_P12ihipStream_tbDpT10_ENKUlT_T0_E_clISt17integral_constantIbLb1EES1B_EEDaS16_S17_EUlS16_E_NS1_11comp_targetILNS1_3genE2ELNS1_11target_archE906ELNS1_3gpuE6ELNS1_3repE0EEENS1_30default_config_static_selectorELNS0_4arch9wavefront6targetE0EEEvT1_
                                        ; -- End function
	.set _ZN7rocprim17ROCPRIM_400000_NS6detail17trampoline_kernelINS0_14default_configENS1_25partition_config_selectorILNS1_17partition_subalgoE6EjNS0_10empty_typeEbEEZZNS1_14partition_implILS5_6ELb0ES3_mN6thrust23THRUST_200600_302600_NS6detail15normal_iteratorINSA_10device_ptrIjEEEEPS6_SG_NS0_5tupleIJNSA_16discard_iteratorINSA_11use_defaultEEES6_EEENSH_IJSG_SG_EEES6_PlJNSB_9not_fun_tI7is_trueIjEEEEEE10hipError_tPvRmT3_T4_T5_T6_T7_T9_mT8_P12ihipStream_tbDpT10_ENKUlT_T0_E_clISt17integral_constantIbLb1EES1B_EEDaS16_S17_EUlS16_E_NS1_11comp_targetILNS1_3genE2ELNS1_11target_archE906ELNS1_3gpuE6ELNS1_3repE0EEENS1_30default_config_static_selectorELNS0_4arch9wavefront6targetE0EEEvT1_.num_vgpr, 0
	.set _ZN7rocprim17ROCPRIM_400000_NS6detail17trampoline_kernelINS0_14default_configENS1_25partition_config_selectorILNS1_17partition_subalgoE6EjNS0_10empty_typeEbEEZZNS1_14partition_implILS5_6ELb0ES3_mN6thrust23THRUST_200600_302600_NS6detail15normal_iteratorINSA_10device_ptrIjEEEEPS6_SG_NS0_5tupleIJNSA_16discard_iteratorINSA_11use_defaultEEES6_EEENSH_IJSG_SG_EEES6_PlJNSB_9not_fun_tI7is_trueIjEEEEEE10hipError_tPvRmT3_T4_T5_T6_T7_T9_mT8_P12ihipStream_tbDpT10_ENKUlT_T0_E_clISt17integral_constantIbLb1EES1B_EEDaS16_S17_EUlS16_E_NS1_11comp_targetILNS1_3genE2ELNS1_11target_archE906ELNS1_3gpuE6ELNS1_3repE0EEENS1_30default_config_static_selectorELNS0_4arch9wavefront6targetE0EEEvT1_.num_agpr, 0
	.set _ZN7rocprim17ROCPRIM_400000_NS6detail17trampoline_kernelINS0_14default_configENS1_25partition_config_selectorILNS1_17partition_subalgoE6EjNS0_10empty_typeEbEEZZNS1_14partition_implILS5_6ELb0ES3_mN6thrust23THRUST_200600_302600_NS6detail15normal_iteratorINSA_10device_ptrIjEEEEPS6_SG_NS0_5tupleIJNSA_16discard_iteratorINSA_11use_defaultEEES6_EEENSH_IJSG_SG_EEES6_PlJNSB_9not_fun_tI7is_trueIjEEEEEE10hipError_tPvRmT3_T4_T5_T6_T7_T9_mT8_P12ihipStream_tbDpT10_ENKUlT_T0_E_clISt17integral_constantIbLb1EES1B_EEDaS16_S17_EUlS16_E_NS1_11comp_targetILNS1_3genE2ELNS1_11target_archE906ELNS1_3gpuE6ELNS1_3repE0EEENS1_30default_config_static_selectorELNS0_4arch9wavefront6targetE0EEEvT1_.numbered_sgpr, 0
	.set _ZN7rocprim17ROCPRIM_400000_NS6detail17trampoline_kernelINS0_14default_configENS1_25partition_config_selectorILNS1_17partition_subalgoE6EjNS0_10empty_typeEbEEZZNS1_14partition_implILS5_6ELb0ES3_mN6thrust23THRUST_200600_302600_NS6detail15normal_iteratorINSA_10device_ptrIjEEEEPS6_SG_NS0_5tupleIJNSA_16discard_iteratorINSA_11use_defaultEEES6_EEENSH_IJSG_SG_EEES6_PlJNSB_9not_fun_tI7is_trueIjEEEEEE10hipError_tPvRmT3_T4_T5_T6_T7_T9_mT8_P12ihipStream_tbDpT10_ENKUlT_T0_E_clISt17integral_constantIbLb1EES1B_EEDaS16_S17_EUlS16_E_NS1_11comp_targetILNS1_3genE2ELNS1_11target_archE906ELNS1_3gpuE6ELNS1_3repE0EEENS1_30default_config_static_selectorELNS0_4arch9wavefront6targetE0EEEvT1_.num_named_barrier, 0
	.set _ZN7rocprim17ROCPRIM_400000_NS6detail17trampoline_kernelINS0_14default_configENS1_25partition_config_selectorILNS1_17partition_subalgoE6EjNS0_10empty_typeEbEEZZNS1_14partition_implILS5_6ELb0ES3_mN6thrust23THRUST_200600_302600_NS6detail15normal_iteratorINSA_10device_ptrIjEEEEPS6_SG_NS0_5tupleIJNSA_16discard_iteratorINSA_11use_defaultEEES6_EEENSH_IJSG_SG_EEES6_PlJNSB_9not_fun_tI7is_trueIjEEEEEE10hipError_tPvRmT3_T4_T5_T6_T7_T9_mT8_P12ihipStream_tbDpT10_ENKUlT_T0_E_clISt17integral_constantIbLb1EES1B_EEDaS16_S17_EUlS16_E_NS1_11comp_targetILNS1_3genE2ELNS1_11target_archE906ELNS1_3gpuE6ELNS1_3repE0EEENS1_30default_config_static_selectorELNS0_4arch9wavefront6targetE0EEEvT1_.private_seg_size, 0
	.set _ZN7rocprim17ROCPRIM_400000_NS6detail17trampoline_kernelINS0_14default_configENS1_25partition_config_selectorILNS1_17partition_subalgoE6EjNS0_10empty_typeEbEEZZNS1_14partition_implILS5_6ELb0ES3_mN6thrust23THRUST_200600_302600_NS6detail15normal_iteratorINSA_10device_ptrIjEEEEPS6_SG_NS0_5tupleIJNSA_16discard_iteratorINSA_11use_defaultEEES6_EEENSH_IJSG_SG_EEES6_PlJNSB_9not_fun_tI7is_trueIjEEEEEE10hipError_tPvRmT3_T4_T5_T6_T7_T9_mT8_P12ihipStream_tbDpT10_ENKUlT_T0_E_clISt17integral_constantIbLb1EES1B_EEDaS16_S17_EUlS16_E_NS1_11comp_targetILNS1_3genE2ELNS1_11target_archE906ELNS1_3gpuE6ELNS1_3repE0EEENS1_30default_config_static_selectorELNS0_4arch9wavefront6targetE0EEEvT1_.uses_vcc, 0
	.set _ZN7rocprim17ROCPRIM_400000_NS6detail17trampoline_kernelINS0_14default_configENS1_25partition_config_selectorILNS1_17partition_subalgoE6EjNS0_10empty_typeEbEEZZNS1_14partition_implILS5_6ELb0ES3_mN6thrust23THRUST_200600_302600_NS6detail15normal_iteratorINSA_10device_ptrIjEEEEPS6_SG_NS0_5tupleIJNSA_16discard_iteratorINSA_11use_defaultEEES6_EEENSH_IJSG_SG_EEES6_PlJNSB_9not_fun_tI7is_trueIjEEEEEE10hipError_tPvRmT3_T4_T5_T6_T7_T9_mT8_P12ihipStream_tbDpT10_ENKUlT_T0_E_clISt17integral_constantIbLb1EES1B_EEDaS16_S17_EUlS16_E_NS1_11comp_targetILNS1_3genE2ELNS1_11target_archE906ELNS1_3gpuE6ELNS1_3repE0EEENS1_30default_config_static_selectorELNS0_4arch9wavefront6targetE0EEEvT1_.uses_flat_scratch, 0
	.set _ZN7rocprim17ROCPRIM_400000_NS6detail17trampoline_kernelINS0_14default_configENS1_25partition_config_selectorILNS1_17partition_subalgoE6EjNS0_10empty_typeEbEEZZNS1_14partition_implILS5_6ELb0ES3_mN6thrust23THRUST_200600_302600_NS6detail15normal_iteratorINSA_10device_ptrIjEEEEPS6_SG_NS0_5tupleIJNSA_16discard_iteratorINSA_11use_defaultEEES6_EEENSH_IJSG_SG_EEES6_PlJNSB_9not_fun_tI7is_trueIjEEEEEE10hipError_tPvRmT3_T4_T5_T6_T7_T9_mT8_P12ihipStream_tbDpT10_ENKUlT_T0_E_clISt17integral_constantIbLb1EES1B_EEDaS16_S17_EUlS16_E_NS1_11comp_targetILNS1_3genE2ELNS1_11target_archE906ELNS1_3gpuE6ELNS1_3repE0EEENS1_30default_config_static_selectorELNS0_4arch9wavefront6targetE0EEEvT1_.has_dyn_sized_stack, 0
	.set _ZN7rocprim17ROCPRIM_400000_NS6detail17trampoline_kernelINS0_14default_configENS1_25partition_config_selectorILNS1_17partition_subalgoE6EjNS0_10empty_typeEbEEZZNS1_14partition_implILS5_6ELb0ES3_mN6thrust23THRUST_200600_302600_NS6detail15normal_iteratorINSA_10device_ptrIjEEEEPS6_SG_NS0_5tupleIJNSA_16discard_iteratorINSA_11use_defaultEEES6_EEENSH_IJSG_SG_EEES6_PlJNSB_9not_fun_tI7is_trueIjEEEEEE10hipError_tPvRmT3_T4_T5_T6_T7_T9_mT8_P12ihipStream_tbDpT10_ENKUlT_T0_E_clISt17integral_constantIbLb1EES1B_EEDaS16_S17_EUlS16_E_NS1_11comp_targetILNS1_3genE2ELNS1_11target_archE906ELNS1_3gpuE6ELNS1_3repE0EEENS1_30default_config_static_selectorELNS0_4arch9wavefront6targetE0EEEvT1_.has_recursion, 0
	.set _ZN7rocprim17ROCPRIM_400000_NS6detail17trampoline_kernelINS0_14default_configENS1_25partition_config_selectorILNS1_17partition_subalgoE6EjNS0_10empty_typeEbEEZZNS1_14partition_implILS5_6ELb0ES3_mN6thrust23THRUST_200600_302600_NS6detail15normal_iteratorINSA_10device_ptrIjEEEEPS6_SG_NS0_5tupleIJNSA_16discard_iteratorINSA_11use_defaultEEES6_EEENSH_IJSG_SG_EEES6_PlJNSB_9not_fun_tI7is_trueIjEEEEEE10hipError_tPvRmT3_T4_T5_T6_T7_T9_mT8_P12ihipStream_tbDpT10_ENKUlT_T0_E_clISt17integral_constantIbLb1EES1B_EEDaS16_S17_EUlS16_E_NS1_11comp_targetILNS1_3genE2ELNS1_11target_archE906ELNS1_3gpuE6ELNS1_3repE0EEENS1_30default_config_static_selectorELNS0_4arch9wavefront6targetE0EEEvT1_.has_indirect_call, 0
	.section	.AMDGPU.csdata,"",@progbits
; Kernel info:
; codeLenInByte = 0
; TotalNumSgprs: 0
; NumVgprs: 0
; ScratchSize: 0
; MemoryBound: 0
; FloatMode: 240
; IeeeMode: 1
; LDSByteSize: 0 bytes/workgroup (compile time only)
; SGPRBlocks: 0
; VGPRBlocks: 0
; NumSGPRsForWavesPerEU: 1
; NumVGPRsForWavesPerEU: 1
; Occupancy: 16
; WaveLimiterHint : 0
; COMPUTE_PGM_RSRC2:SCRATCH_EN: 0
; COMPUTE_PGM_RSRC2:USER_SGPR: 2
; COMPUTE_PGM_RSRC2:TRAP_HANDLER: 0
; COMPUTE_PGM_RSRC2:TGID_X_EN: 1
; COMPUTE_PGM_RSRC2:TGID_Y_EN: 0
; COMPUTE_PGM_RSRC2:TGID_Z_EN: 0
; COMPUTE_PGM_RSRC2:TIDIG_COMP_CNT: 0
	.section	.text._ZN7rocprim17ROCPRIM_400000_NS6detail17trampoline_kernelINS0_14default_configENS1_25partition_config_selectorILNS1_17partition_subalgoE6EjNS0_10empty_typeEbEEZZNS1_14partition_implILS5_6ELb0ES3_mN6thrust23THRUST_200600_302600_NS6detail15normal_iteratorINSA_10device_ptrIjEEEEPS6_SG_NS0_5tupleIJNSA_16discard_iteratorINSA_11use_defaultEEES6_EEENSH_IJSG_SG_EEES6_PlJNSB_9not_fun_tI7is_trueIjEEEEEE10hipError_tPvRmT3_T4_T5_T6_T7_T9_mT8_P12ihipStream_tbDpT10_ENKUlT_T0_E_clISt17integral_constantIbLb1EES1B_EEDaS16_S17_EUlS16_E_NS1_11comp_targetILNS1_3genE10ELNS1_11target_archE1200ELNS1_3gpuE4ELNS1_3repE0EEENS1_30default_config_static_selectorELNS0_4arch9wavefront6targetE0EEEvT1_,"axG",@progbits,_ZN7rocprim17ROCPRIM_400000_NS6detail17trampoline_kernelINS0_14default_configENS1_25partition_config_selectorILNS1_17partition_subalgoE6EjNS0_10empty_typeEbEEZZNS1_14partition_implILS5_6ELb0ES3_mN6thrust23THRUST_200600_302600_NS6detail15normal_iteratorINSA_10device_ptrIjEEEEPS6_SG_NS0_5tupleIJNSA_16discard_iteratorINSA_11use_defaultEEES6_EEENSH_IJSG_SG_EEES6_PlJNSB_9not_fun_tI7is_trueIjEEEEEE10hipError_tPvRmT3_T4_T5_T6_T7_T9_mT8_P12ihipStream_tbDpT10_ENKUlT_T0_E_clISt17integral_constantIbLb1EES1B_EEDaS16_S17_EUlS16_E_NS1_11comp_targetILNS1_3genE10ELNS1_11target_archE1200ELNS1_3gpuE4ELNS1_3repE0EEENS1_30default_config_static_selectorELNS0_4arch9wavefront6targetE0EEEvT1_,comdat
	.protected	_ZN7rocprim17ROCPRIM_400000_NS6detail17trampoline_kernelINS0_14default_configENS1_25partition_config_selectorILNS1_17partition_subalgoE6EjNS0_10empty_typeEbEEZZNS1_14partition_implILS5_6ELb0ES3_mN6thrust23THRUST_200600_302600_NS6detail15normal_iteratorINSA_10device_ptrIjEEEEPS6_SG_NS0_5tupleIJNSA_16discard_iteratorINSA_11use_defaultEEES6_EEENSH_IJSG_SG_EEES6_PlJNSB_9not_fun_tI7is_trueIjEEEEEE10hipError_tPvRmT3_T4_T5_T6_T7_T9_mT8_P12ihipStream_tbDpT10_ENKUlT_T0_E_clISt17integral_constantIbLb1EES1B_EEDaS16_S17_EUlS16_E_NS1_11comp_targetILNS1_3genE10ELNS1_11target_archE1200ELNS1_3gpuE4ELNS1_3repE0EEENS1_30default_config_static_selectorELNS0_4arch9wavefront6targetE0EEEvT1_ ; -- Begin function _ZN7rocprim17ROCPRIM_400000_NS6detail17trampoline_kernelINS0_14default_configENS1_25partition_config_selectorILNS1_17partition_subalgoE6EjNS0_10empty_typeEbEEZZNS1_14partition_implILS5_6ELb0ES3_mN6thrust23THRUST_200600_302600_NS6detail15normal_iteratorINSA_10device_ptrIjEEEEPS6_SG_NS0_5tupleIJNSA_16discard_iteratorINSA_11use_defaultEEES6_EEENSH_IJSG_SG_EEES6_PlJNSB_9not_fun_tI7is_trueIjEEEEEE10hipError_tPvRmT3_T4_T5_T6_T7_T9_mT8_P12ihipStream_tbDpT10_ENKUlT_T0_E_clISt17integral_constantIbLb1EES1B_EEDaS16_S17_EUlS16_E_NS1_11comp_targetILNS1_3genE10ELNS1_11target_archE1200ELNS1_3gpuE4ELNS1_3repE0EEENS1_30default_config_static_selectorELNS0_4arch9wavefront6targetE0EEEvT1_
	.globl	_ZN7rocprim17ROCPRIM_400000_NS6detail17trampoline_kernelINS0_14default_configENS1_25partition_config_selectorILNS1_17partition_subalgoE6EjNS0_10empty_typeEbEEZZNS1_14partition_implILS5_6ELb0ES3_mN6thrust23THRUST_200600_302600_NS6detail15normal_iteratorINSA_10device_ptrIjEEEEPS6_SG_NS0_5tupleIJNSA_16discard_iteratorINSA_11use_defaultEEES6_EEENSH_IJSG_SG_EEES6_PlJNSB_9not_fun_tI7is_trueIjEEEEEE10hipError_tPvRmT3_T4_T5_T6_T7_T9_mT8_P12ihipStream_tbDpT10_ENKUlT_T0_E_clISt17integral_constantIbLb1EES1B_EEDaS16_S17_EUlS16_E_NS1_11comp_targetILNS1_3genE10ELNS1_11target_archE1200ELNS1_3gpuE4ELNS1_3repE0EEENS1_30default_config_static_selectorELNS0_4arch9wavefront6targetE0EEEvT1_
	.p2align	8
	.type	_ZN7rocprim17ROCPRIM_400000_NS6detail17trampoline_kernelINS0_14default_configENS1_25partition_config_selectorILNS1_17partition_subalgoE6EjNS0_10empty_typeEbEEZZNS1_14partition_implILS5_6ELb0ES3_mN6thrust23THRUST_200600_302600_NS6detail15normal_iteratorINSA_10device_ptrIjEEEEPS6_SG_NS0_5tupleIJNSA_16discard_iteratorINSA_11use_defaultEEES6_EEENSH_IJSG_SG_EEES6_PlJNSB_9not_fun_tI7is_trueIjEEEEEE10hipError_tPvRmT3_T4_T5_T6_T7_T9_mT8_P12ihipStream_tbDpT10_ENKUlT_T0_E_clISt17integral_constantIbLb1EES1B_EEDaS16_S17_EUlS16_E_NS1_11comp_targetILNS1_3genE10ELNS1_11target_archE1200ELNS1_3gpuE4ELNS1_3repE0EEENS1_30default_config_static_selectorELNS0_4arch9wavefront6targetE0EEEvT1_,@function
_ZN7rocprim17ROCPRIM_400000_NS6detail17trampoline_kernelINS0_14default_configENS1_25partition_config_selectorILNS1_17partition_subalgoE6EjNS0_10empty_typeEbEEZZNS1_14partition_implILS5_6ELb0ES3_mN6thrust23THRUST_200600_302600_NS6detail15normal_iteratorINSA_10device_ptrIjEEEEPS6_SG_NS0_5tupleIJNSA_16discard_iteratorINSA_11use_defaultEEES6_EEENSH_IJSG_SG_EEES6_PlJNSB_9not_fun_tI7is_trueIjEEEEEE10hipError_tPvRmT3_T4_T5_T6_T7_T9_mT8_P12ihipStream_tbDpT10_ENKUlT_T0_E_clISt17integral_constantIbLb1EES1B_EEDaS16_S17_EUlS16_E_NS1_11comp_targetILNS1_3genE10ELNS1_11target_archE1200ELNS1_3gpuE4ELNS1_3repE0EEENS1_30default_config_static_selectorELNS0_4arch9wavefront6targetE0EEEvT1_: ; @_ZN7rocprim17ROCPRIM_400000_NS6detail17trampoline_kernelINS0_14default_configENS1_25partition_config_selectorILNS1_17partition_subalgoE6EjNS0_10empty_typeEbEEZZNS1_14partition_implILS5_6ELb0ES3_mN6thrust23THRUST_200600_302600_NS6detail15normal_iteratorINSA_10device_ptrIjEEEEPS6_SG_NS0_5tupleIJNSA_16discard_iteratorINSA_11use_defaultEEES6_EEENSH_IJSG_SG_EEES6_PlJNSB_9not_fun_tI7is_trueIjEEEEEE10hipError_tPvRmT3_T4_T5_T6_T7_T9_mT8_P12ihipStream_tbDpT10_ENKUlT_T0_E_clISt17integral_constantIbLb1EES1B_EEDaS16_S17_EUlS16_E_NS1_11comp_targetILNS1_3genE10ELNS1_11target_archE1200ELNS1_3gpuE4ELNS1_3repE0EEENS1_30default_config_static_selectorELNS0_4arch9wavefront6targetE0EEEvT1_
; %bb.0:
	s_endpgm
	.section	.rodata,"a",@progbits
	.p2align	6, 0x0
	.amdhsa_kernel _ZN7rocprim17ROCPRIM_400000_NS6detail17trampoline_kernelINS0_14default_configENS1_25partition_config_selectorILNS1_17partition_subalgoE6EjNS0_10empty_typeEbEEZZNS1_14partition_implILS5_6ELb0ES3_mN6thrust23THRUST_200600_302600_NS6detail15normal_iteratorINSA_10device_ptrIjEEEEPS6_SG_NS0_5tupleIJNSA_16discard_iteratorINSA_11use_defaultEEES6_EEENSH_IJSG_SG_EEES6_PlJNSB_9not_fun_tI7is_trueIjEEEEEE10hipError_tPvRmT3_T4_T5_T6_T7_T9_mT8_P12ihipStream_tbDpT10_ENKUlT_T0_E_clISt17integral_constantIbLb1EES1B_EEDaS16_S17_EUlS16_E_NS1_11comp_targetILNS1_3genE10ELNS1_11target_archE1200ELNS1_3gpuE4ELNS1_3repE0EEENS1_30default_config_static_selectorELNS0_4arch9wavefront6targetE0EEEvT1_
		.amdhsa_group_segment_fixed_size 0
		.amdhsa_private_segment_fixed_size 0
		.amdhsa_kernarg_size 136
		.amdhsa_user_sgpr_count 2
		.amdhsa_user_sgpr_dispatch_ptr 0
		.amdhsa_user_sgpr_queue_ptr 0
		.amdhsa_user_sgpr_kernarg_segment_ptr 1
		.amdhsa_user_sgpr_dispatch_id 0
		.amdhsa_user_sgpr_private_segment_size 0
		.amdhsa_wavefront_size32 1
		.amdhsa_uses_dynamic_stack 0
		.amdhsa_enable_private_segment 0
		.amdhsa_system_sgpr_workgroup_id_x 1
		.amdhsa_system_sgpr_workgroup_id_y 0
		.amdhsa_system_sgpr_workgroup_id_z 0
		.amdhsa_system_sgpr_workgroup_info 0
		.amdhsa_system_vgpr_workitem_id 0
		.amdhsa_next_free_vgpr 1
		.amdhsa_next_free_sgpr 1
		.amdhsa_reserve_vcc 0
		.amdhsa_float_round_mode_32 0
		.amdhsa_float_round_mode_16_64 0
		.amdhsa_float_denorm_mode_32 3
		.amdhsa_float_denorm_mode_16_64 3
		.amdhsa_fp16_overflow 0
		.amdhsa_workgroup_processor_mode 1
		.amdhsa_memory_ordered 1
		.amdhsa_forward_progress 1
		.amdhsa_inst_pref_size 1
		.amdhsa_round_robin_scheduling 0
		.amdhsa_exception_fp_ieee_invalid_op 0
		.amdhsa_exception_fp_denorm_src 0
		.amdhsa_exception_fp_ieee_div_zero 0
		.amdhsa_exception_fp_ieee_overflow 0
		.amdhsa_exception_fp_ieee_underflow 0
		.amdhsa_exception_fp_ieee_inexact 0
		.amdhsa_exception_int_div_zero 0
	.end_amdhsa_kernel
	.section	.text._ZN7rocprim17ROCPRIM_400000_NS6detail17trampoline_kernelINS0_14default_configENS1_25partition_config_selectorILNS1_17partition_subalgoE6EjNS0_10empty_typeEbEEZZNS1_14partition_implILS5_6ELb0ES3_mN6thrust23THRUST_200600_302600_NS6detail15normal_iteratorINSA_10device_ptrIjEEEEPS6_SG_NS0_5tupleIJNSA_16discard_iteratorINSA_11use_defaultEEES6_EEENSH_IJSG_SG_EEES6_PlJNSB_9not_fun_tI7is_trueIjEEEEEE10hipError_tPvRmT3_T4_T5_T6_T7_T9_mT8_P12ihipStream_tbDpT10_ENKUlT_T0_E_clISt17integral_constantIbLb1EES1B_EEDaS16_S17_EUlS16_E_NS1_11comp_targetILNS1_3genE10ELNS1_11target_archE1200ELNS1_3gpuE4ELNS1_3repE0EEENS1_30default_config_static_selectorELNS0_4arch9wavefront6targetE0EEEvT1_,"axG",@progbits,_ZN7rocprim17ROCPRIM_400000_NS6detail17trampoline_kernelINS0_14default_configENS1_25partition_config_selectorILNS1_17partition_subalgoE6EjNS0_10empty_typeEbEEZZNS1_14partition_implILS5_6ELb0ES3_mN6thrust23THRUST_200600_302600_NS6detail15normal_iteratorINSA_10device_ptrIjEEEEPS6_SG_NS0_5tupleIJNSA_16discard_iteratorINSA_11use_defaultEEES6_EEENSH_IJSG_SG_EEES6_PlJNSB_9not_fun_tI7is_trueIjEEEEEE10hipError_tPvRmT3_T4_T5_T6_T7_T9_mT8_P12ihipStream_tbDpT10_ENKUlT_T0_E_clISt17integral_constantIbLb1EES1B_EEDaS16_S17_EUlS16_E_NS1_11comp_targetILNS1_3genE10ELNS1_11target_archE1200ELNS1_3gpuE4ELNS1_3repE0EEENS1_30default_config_static_selectorELNS0_4arch9wavefront6targetE0EEEvT1_,comdat
.Lfunc_end2186:
	.size	_ZN7rocprim17ROCPRIM_400000_NS6detail17trampoline_kernelINS0_14default_configENS1_25partition_config_selectorILNS1_17partition_subalgoE6EjNS0_10empty_typeEbEEZZNS1_14partition_implILS5_6ELb0ES3_mN6thrust23THRUST_200600_302600_NS6detail15normal_iteratorINSA_10device_ptrIjEEEEPS6_SG_NS0_5tupleIJNSA_16discard_iteratorINSA_11use_defaultEEES6_EEENSH_IJSG_SG_EEES6_PlJNSB_9not_fun_tI7is_trueIjEEEEEE10hipError_tPvRmT3_T4_T5_T6_T7_T9_mT8_P12ihipStream_tbDpT10_ENKUlT_T0_E_clISt17integral_constantIbLb1EES1B_EEDaS16_S17_EUlS16_E_NS1_11comp_targetILNS1_3genE10ELNS1_11target_archE1200ELNS1_3gpuE4ELNS1_3repE0EEENS1_30default_config_static_selectorELNS0_4arch9wavefront6targetE0EEEvT1_, .Lfunc_end2186-_ZN7rocprim17ROCPRIM_400000_NS6detail17trampoline_kernelINS0_14default_configENS1_25partition_config_selectorILNS1_17partition_subalgoE6EjNS0_10empty_typeEbEEZZNS1_14partition_implILS5_6ELb0ES3_mN6thrust23THRUST_200600_302600_NS6detail15normal_iteratorINSA_10device_ptrIjEEEEPS6_SG_NS0_5tupleIJNSA_16discard_iteratorINSA_11use_defaultEEES6_EEENSH_IJSG_SG_EEES6_PlJNSB_9not_fun_tI7is_trueIjEEEEEE10hipError_tPvRmT3_T4_T5_T6_T7_T9_mT8_P12ihipStream_tbDpT10_ENKUlT_T0_E_clISt17integral_constantIbLb1EES1B_EEDaS16_S17_EUlS16_E_NS1_11comp_targetILNS1_3genE10ELNS1_11target_archE1200ELNS1_3gpuE4ELNS1_3repE0EEENS1_30default_config_static_selectorELNS0_4arch9wavefront6targetE0EEEvT1_
                                        ; -- End function
	.set _ZN7rocprim17ROCPRIM_400000_NS6detail17trampoline_kernelINS0_14default_configENS1_25partition_config_selectorILNS1_17partition_subalgoE6EjNS0_10empty_typeEbEEZZNS1_14partition_implILS5_6ELb0ES3_mN6thrust23THRUST_200600_302600_NS6detail15normal_iteratorINSA_10device_ptrIjEEEEPS6_SG_NS0_5tupleIJNSA_16discard_iteratorINSA_11use_defaultEEES6_EEENSH_IJSG_SG_EEES6_PlJNSB_9not_fun_tI7is_trueIjEEEEEE10hipError_tPvRmT3_T4_T5_T6_T7_T9_mT8_P12ihipStream_tbDpT10_ENKUlT_T0_E_clISt17integral_constantIbLb1EES1B_EEDaS16_S17_EUlS16_E_NS1_11comp_targetILNS1_3genE10ELNS1_11target_archE1200ELNS1_3gpuE4ELNS1_3repE0EEENS1_30default_config_static_selectorELNS0_4arch9wavefront6targetE0EEEvT1_.num_vgpr, 0
	.set _ZN7rocprim17ROCPRIM_400000_NS6detail17trampoline_kernelINS0_14default_configENS1_25partition_config_selectorILNS1_17partition_subalgoE6EjNS0_10empty_typeEbEEZZNS1_14partition_implILS5_6ELb0ES3_mN6thrust23THRUST_200600_302600_NS6detail15normal_iteratorINSA_10device_ptrIjEEEEPS6_SG_NS0_5tupleIJNSA_16discard_iteratorINSA_11use_defaultEEES6_EEENSH_IJSG_SG_EEES6_PlJNSB_9not_fun_tI7is_trueIjEEEEEE10hipError_tPvRmT3_T4_T5_T6_T7_T9_mT8_P12ihipStream_tbDpT10_ENKUlT_T0_E_clISt17integral_constantIbLb1EES1B_EEDaS16_S17_EUlS16_E_NS1_11comp_targetILNS1_3genE10ELNS1_11target_archE1200ELNS1_3gpuE4ELNS1_3repE0EEENS1_30default_config_static_selectorELNS0_4arch9wavefront6targetE0EEEvT1_.num_agpr, 0
	.set _ZN7rocprim17ROCPRIM_400000_NS6detail17trampoline_kernelINS0_14default_configENS1_25partition_config_selectorILNS1_17partition_subalgoE6EjNS0_10empty_typeEbEEZZNS1_14partition_implILS5_6ELb0ES3_mN6thrust23THRUST_200600_302600_NS6detail15normal_iteratorINSA_10device_ptrIjEEEEPS6_SG_NS0_5tupleIJNSA_16discard_iteratorINSA_11use_defaultEEES6_EEENSH_IJSG_SG_EEES6_PlJNSB_9not_fun_tI7is_trueIjEEEEEE10hipError_tPvRmT3_T4_T5_T6_T7_T9_mT8_P12ihipStream_tbDpT10_ENKUlT_T0_E_clISt17integral_constantIbLb1EES1B_EEDaS16_S17_EUlS16_E_NS1_11comp_targetILNS1_3genE10ELNS1_11target_archE1200ELNS1_3gpuE4ELNS1_3repE0EEENS1_30default_config_static_selectorELNS0_4arch9wavefront6targetE0EEEvT1_.numbered_sgpr, 0
	.set _ZN7rocprim17ROCPRIM_400000_NS6detail17trampoline_kernelINS0_14default_configENS1_25partition_config_selectorILNS1_17partition_subalgoE6EjNS0_10empty_typeEbEEZZNS1_14partition_implILS5_6ELb0ES3_mN6thrust23THRUST_200600_302600_NS6detail15normal_iteratorINSA_10device_ptrIjEEEEPS6_SG_NS0_5tupleIJNSA_16discard_iteratorINSA_11use_defaultEEES6_EEENSH_IJSG_SG_EEES6_PlJNSB_9not_fun_tI7is_trueIjEEEEEE10hipError_tPvRmT3_T4_T5_T6_T7_T9_mT8_P12ihipStream_tbDpT10_ENKUlT_T0_E_clISt17integral_constantIbLb1EES1B_EEDaS16_S17_EUlS16_E_NS1_11comp_targetILNS1_3genE10ELNS1_11target_archE1200ELNS1_3gpuE4ELNS1_3repE0EEENS1_30default_config_static_selectorELNS0_4arch9wavefront6targetE0EEEvT1_.num_named_barrier, 0
	.set _ZN7rocprim17ROCPRIM_400000_NS6detail17trampoline_kernelINS0_14default_configENS1_25partition_config_selectorILNS1_17partition_subalgoE6EjNS0_10empty_typeEbEEZZNS1_14partition_implILS5_6ELb0ES3_mN6thrust23THRUST_200600_302600_NS6detail15normal_iteratorINSA_10device_ptrIjEEEEPS6_SG_NS0_5tupleIJNSA_16discard_iteratorINSA_11use_defaultEEES6_EEENSH_IJSG_SG_EEES6_PlJNSB_9not_fun_tI7is_trueIjEEEEEE10hipError_tPvRmT3_T4_T5_T6_T7_T9_mT8_P12ihipStream_tbDpT10_ENKUlT_T0_E_clISt17integral_constantIbLb1EES1B_EEDaS16_S17_EUlS16_E_NS1_11comp_targetILNS1_3genE10ELNS1_11target_archE1200ELNS1_3gpuE4ELNS1_3repE0EEENS1_30default_config_static_selectorELNS0_4arch9wavefront6targetE0EEEvT1_.private_seg_size, 0
	.set _ZN7rocprim17ROCPRIM_400000_NS6detail17trampoline_kernelINS0_14default_configENS1_25partition_config_selectorILNS1_17partition_subalgoE6EjNS0_10empty_typeEbEEZZNS1_14partition_implILS5_6ELb0ES3_mN6thrust23THRUST_200600_302600_NS6detail15normal_iteratorINSA_10device_ptrIjEEEEPS6_SG_NS0_5tupleIJNSA_16discard_iteratorINSA_11use_defaultEEES6_EEENSH_IJSG_SG_EEES6_PlJNSB_9not_fun_tI7is_trueIjEEEEEE10hipError_tPvRmT3_T4_T5_T6_T7_T9_mT8_P12ihipStream_tbDpT10_ENKUlT_T0_E_clISt17integral_constantIbLb1EES1B_EEDaS16_S17_EUlS16_E_NS1_11comp_targetILNS1_3genE10ELNS1_11target_archE1200ELNS1_3gpuE4ELNS1_3repE0EEENS1_30default_config_static_selectorELNS0_4arch9wavefront6targetE0EEEvT1_.uses_vcc, 0
	.set _ZN7rocprim17ROCPRIM_400000_NS6detail17trampoline_kernelINS0_14default_configENS1_25partition_config_selectorILNS1_17partition_subalgoE6EjNS0_10empty_typeEbEEZZNS1_14partition_implILS5_6ELb0ES3_mN6thrust23THRUST_200600_302600_NS6detail15normal_iteratorINSA_10device_ptrIjEEEEPS6_SG_NS0_5tupleIJNSA_16discard_iteratorINSA_11use_defaultEEES6_EEENSH_IJSG_SG_EEES6_PlJNSB_9not_fun_tI7is_trueIjEEEEEE10hipError_tPvRmT3_T4_T5_T6_T7_T9_mT8_P12ihipStream_tbDpT10_ENKUlT_T0_E_clISt17integral_constantIbLb1EES1B_EEDaS16_S17_EUlS16_E_NS1_11comp_targetILNS1_3genE10ELNS1_11target_archE1200ELNS1_3gpuE4ELNS1_3repE0EEENS1_30default_config_static_selectorELNS0_4arch9wavefront6targetE0EEEvT1_.uses_flat_scratch, 0
	.set _ZN7rocprim17ROCPRIM_400000_NS6detail17trampoline_kernelINS0_14default_configENS1_25partition_config_selectorILNS1_17partition_subalgoE6EjNS0_10empty_typeEbEEZZNS1_14partition_implILS5_6ELb0ES3_mN6thrust23THRUST_200600_302600_NS6detail15normal_iteratorINSA_10device_ptrIjEEEEPS6_SG_NS0_5tupleIJNSA_16discard_iteratorINSA_11use_defaultEEES6_EEENSH_IJSG_SG_EEES6_PlJNSB_9not_fun_tI7is_trueIjEEEEEE10hipError_tPvRmT3_T4_T5_T6_T7_T9_mT8_P12ihipStream_tbDpT10_ENKUlT_T0_E_clISt17integral_constantIbLb1EES1B_EEDaS16_S17_EUlS16_E_NS1_11comp_targetILNS1_3genE10ELNS1_11target_archE1200ELNS1_3gpuE4ELNS1_3repE0EEENS1_30default_config_static_selectorELNS0_4arch9wavefront6targetE0EEEvT1_.has_dyn_sized_stack, 0
	.set _ZN7rocprim17ROCPRIM_400000_NS6detail17trampoline_kernelINS0_14default_configENS1_25partition_config_selectorILNS1_17partition_subalgoE6EjNS0_10empty_typeEbEEZZNS1_14partition_implILS5_6ELb0ES3_mN6thrust23THRUST_200600_302600_NS6detail15normal_iteratorINSA_10device_ptrIjEEEEPS6_SG_NS0_5tupleIJNSA_16discard_iteratorINSA_11use_defaultEEES6_EEENSH_IJSG_SG_EEES6_PlJNSB_9not_fun_tI7is_trueIjEEEEEE10hipError_tPvRmT3_T4_T5_T6_T7_T9_mT8_P12ihipStream_tbDpT10_ENKUlT_T0_E_clISt17integral_constantIbLb1EES1B_EEDaS16_S17_EUlS16_E_NS1_11comp_targetILNS1_3genE10ELNS1_11target_archE1200ELNS1_3gpuE4ELNS1_3repE0EEENS1_30default_config_static_selectorELNS0_4arch9wavefront6targetE0EEEvT1_.has_recursion, 0
	.set _ZN7rocprim17ROCPRIM_400000_NS6detail17trampoline_kernelINS0_14default_configENS1_25partition_config_selectorILNS1_17partition_subalgoE6EjNS0_10empty_typeEbEEZZNS1_14partition_implILS5_6ELb0ES3_mN6thrust23THRUST_200600_302600_NS6detail15normal_iteratorINSA_10device_ptrIjEEEEPS6_SG_NS0_5tupleIJNSA_16discard_iteratorINSA_11use_defaultEEES6_EEENSH_IJSG_SG_EEES6_PlJNSB_9not_fun_tI7is_trueIjEEEEEE10hipError_tPvRmT3_T4_T5_T6_T7_T9_mT8_P12ihipStream_tbDpT10_ENKUlT_T0_E_clISt17integral_constantIbLb1EES1B_EEDaS16_S17_EUlS16_E_NS1_11comp_targetILNS1_3genE10ELNS1_11target_archE1200ELNS1_3gpuE4ELNS1_3repE0EEENS1_30default_config_static_selectorELNS0_4arch9wavefront6targetE0EEEvT1_.has_indirect_call, 0
	.section	.AMDGPU.csdata,"",@progbits
; Kernel info:
; codeLenInByte = 4
; TotalNumSgprs: 0
; NumVgprs: 0
; ScratchSize: 0
; MemoryBound: 0
; FloatMode: 240
; IeeeMode: 1
; LDSByteSize: 0 bytes/workgroup (compile time only)
; SGPRBlocks: 0
; VGPRBlocks: 0
; NumSGPRsForWavesPerEU: 1
; NumVGPRsForWavesPerEU: 1
; Occupancy: 16
; WaveLimiterHint : 0
; COMPUTE_PGM_RSRC2:SCRATCH_EN: 0
; COMPUTE_PGM_RSRC2:USER_SGPR: 2
; COMPUTE_PGM_RSRC2:TRAP_HANDLER: 0
; COMPUTE_PGM_RSRC2:TGID_X_EN: 1
; COMPUTE_PGM_RSRC2:TGID_Y_EN: 0
; COMPUTE_PGM_RSRC2:TGID_Z_EN: 0
; COMPUTE_PGM_RSRC2:TIDIG_COMP_CNT: 0
	.section	.text._ZN7rocprim17ROCPRIM_400000_NS6detail17trampoline_kernelINS0_14default_configENS1_25partition_config_selectorILNS1_17partition_subalgoE6EjNS0_10empty_typeEbEEZZNS1_14partition_implILS5_6ELb0ES3_mN6thrust23THRUST_200600_302600_NS6detail15normal_iteratorINSA_10device_ptrIjEEEEPS6_SG_NS0_5tupleIJNSA_16discard_iteratorINSA_11use_defaultEEES6_EEENSH_IJSG_SG_EEES6_PlJNSB_9not_fun_tI7is_trueIjEEEEEE10hipError_tPvRmT3_T4_T5_T6_T7_T9_mT8_P12ihipStream_tbDpT10_ENKUlT_T0_E_clISt17integral_constantIbLb1EES1B_EEDaS16_S17_EUlS16_E_NS1_11comp_targetILNS1_3genE9ELNS1_11target_archE1100ELNS1_3gpuE3ELNS1_3repE0EEENS1_30default_config_static_selectorELNS0_4arch9wavefront6targetE0EEEvT1_,"axG",@progbits,_ZN7rocprim17ROCPRIM_400000_NS6detail17trampoline_kernelINS0_14default_configENS1_25partition_config_selectorILNS1_17partition_subalgoE6EjNS0_10empty_typeEbEEZZNS1_14partition_implILS5_6ELb0ES3_mN6thrust23THRUST_200600_302600_NS6detail15normal_iteratorINSA_10device_ptrIjEEEEPS6_SG_NS0_5tupleIJNSA_16discard_iteratorINSA_11use_defaultEEES6_EEENSH_IJSG_SG_EEES6_PlJNSB_9not_fun_tI7is_trueIjEEEEEE10hipError_tPvRmT3_T4_T5_T6_T7_T9_mT8_P12ihipStream_tbDpT10_ENKUlT_T0_E_clISt17integral_constantIbLb1EES1B_EEDaS16_S17_EUlS16_E_NS1_11comp_targetILNS1_3genE9ELNS1_11target_archE1100ELNS1_3gpuE3ELNS1_3repE0EEENS1_30default_config_static_selectorELNS0_4arch9wavefront6targetE0EEEvT1_,comdat
	.protected	_ZN7rocprim17ROCPRIM_400000_NS6detail17trampoline_kernelINS0_14default_configENS1_25partition_config_selectorILNS1_17partition_subalgoE6EjNS0_10empty_typeEbEEZZNS1_14partition_implILS5_6ELb0ES3_mN6thrust23THRUST_200600_302600_NS6detail15normal_iteratorINSA_10device_ptrIjEEEEPS6_SG_NS0_5tupleIJNSA_16discard_iteratorINSA_11use_defaultEEES6_EEENSH_IJSG_SG_EEES6_PlJNSB_9not_fun_tI7is_trueIjEEEEEE10hipError_tPvRmT3_T4_T5_T6_T7_T9_mT8_P12ihipStream_tbDpT10_ENKUlT_T0_E_clISt17integral_constantIbLb1EES1B_EEDaS16_S17_EUlS16_E_NS1_11comp_targetILNS1_3genE9ELNS1_11target_archE1100ELNS1_3gpuE3ELNS1_3repE0EEENS1_30default_config_static_selectorELNS0_4arch9wavefront6targetE0EEEvT1_ ; -- Begin function _ZN7rocprim17ROCPRIM_400000_NS6detail17trampoline_kernelINS0_14default_configENS1_25partition_config_selectorILNS1_17partition_subalgoE6EjNS0_10empty_typeEbEEZZNS1_14partition_implILS5_6ELb0ES3_mN6thrust23THRUST_200600_302600_NS6detail15normal_iteratorINSA_10device_ptrIjEEEEPS6_SG_NS0_5tupleIJNSA_16discard_iteratorINSA_11use_defaultEEES6_EEENSH_IJSG_SG_EEES6_PlJNSB_9not_fun_tI7is_trueIjEEEEEE10hipError_tPvRmT3_T4_T5_T6_T7_T9_mT8_P12ihipStream_tbDpT10_ENKUlT_T0_E_clISt17integral_constantIbLb1EES1B_EEDaS16_S17_EUlS16_E_NS1_11comp_targetILNS1_3genE9ELNS1_11target_archE1100ELNS1_3gpuE3ELNS1_3repE0EEENS1_30default_config_static_selectorELNS0_4arch9wavefront6targetE0EEEvT1_
	.globl	_ZN7rocprim17ROCPRIM_400000_NS6detail17trampoline_kernelINS0_14default_configENS1_25partition_config_selectorILNS1_17partition_subalgoE6EjNS0_10empty_typeEbEEZZNS1_14partition_implILS5_6ELb0ES3_mN6thrust23THRUST_200600_302600_NS6detail15normal_iteratorINSA_10device_ptrIjEEEEPS6_SG_NS0_5tupleIJNSA_16discard_iteratorINSA_11use_defaultEEES6_EEENSH_IJSG_SG_EEES6_PlJNSB_9not_fun_tI7is_trueIjEEEEEE10hipError_tPvRmT3_T4_T5_T6_T7_T9_mT8_P12ihipStream_tbDpT10_ENKUlT_T0_E_clISt17integral_constantIbLb1EES1B_EEDaS16_S17_EUlS16_E_NS1_11comp_targetILNS1_3genE9ELNS1_11target_archE1100ELNS1_3gpuE3ELNS1_3repE0EEENS1_30default_config_static_selectorELNS0_4arch9wavefront6targetE0EEEvT1_
	.p2align	8
	.type	_ZN7rocprim17ROCPRIM_400000_NS6detail17trampoline_kernelINS0_14default_configENS1_25partition_config_selectorILNS1_17partition_subalgoE6EjNS0_10empty_typeEbEEZZNS1_14partition_implILS5_6ELb0ES3_mN6thrust23THRUST_200600_302600_NS6detail15normal_iteratorINSA_10device_ptrIjEEEEPS6_SG_NS0_5tupleIJNSA_16discard_iteratorINSA_11use_defaultEEES6_EEENSH_IJSG_SG_EEES6_PlJNSB_9not_fun_tI7is_trueIjEEEEEE10hipError_tPvRmT3_T4_T5_T6_T7_T9_mT8_P12ihipStream_tbDpT10_ENKUlT_T0_E_clISt17integral_constantIbLb1EES1B_EEDaS16_S17_EUlS16_E_NS1_11comp_targetILNS1_3genE9ELNS1_11target_archE1100ELNS1_3gpuE3ELNS1_3repE0EEENS1_30default_config_static_selectorELNS0_4arch9wavefront6targetE0EEEvT1_,@function
_ZN7rocprim17ROCPRIM_400000_NS6detail17trampoline_kernelINS0_14default_configENS1_25partition_config_selectorILNS1_17partition_subalgoE6EjNS0_10empty_typeEbEEZZNS1_14partition_implILS5_6ELb0ES3_mN6thrust23THRUST_200600_302600_NS6detail15normal_iteratorINSA_10device_ptrIjEEEEPS6_SG_NS0_5tupleIJNSA_16discard_iteratorINSA_11use_defaultEEES6_EEENSH_IJSG_SG_EEES6_PlJNSB_9not_fun_tI7is_trueIjEEEEEE10hipError_tPvRmT3_T4_T5_T6_T7_T9_mT8_P12ihipStream_tbDpT10_ENKUlT_T0_E_clISt17integral_constantIbLb1EES1B_EEDaS16_S17_EUlS16_E_NS1_11comp_targetILNS1_3genE9ELNS1_11target_archE1100ELNS1_3gpuE3ELNS1_3repE0EEENS1_30default_config_static_selectorELNS0_4arch9wavefront6targetE0EEEvT1_: ; @_ZN7rocprim17ROCPRIM_400000_NS6detail17trampoline_kernelINS0_14default_configENS1_25partition_config_selectorILNS1_17partition_subalgoE6EjNS0_10empty_typeEbEEZZNS1_14partition_implILS5_6ELb0ES3_mN6thrust23THRUST_200600_302600_NS6detail15normal_iteratorINSA_10device_ptrIjEEEEPS6_SG_NS0_5tupleIJNSA_16discard_iteratorINSA_11use_defaultEEES6_EEENSH_IJSG_SG_EEES6_PlJNSB_9not_fun_tI7is_trueIjEEEEEE10hipError_tPvRmT3_T4_T5_T6_T7_T9_mT8_P12ihipStream_tbDpT10_ENKUlT_T0_E_clISt17integral_constantIbLb1EES1B_EEDaS16_S17_EUlS16_E_NS1_11comp_targetILNS1_3genE9ELNS1_11target_archE1100ELNS1_3gpuE3ELNS1_3repE0EEENS1_30default_config_static_selectorELNS0_4arch9wavefront6targetE0EEEvT1_
; %bb.0:
	.section	.rodata,"a",@progbits
	.p2align	6, 0x0
	.amdhsa_kernel _ZN7rocprim17ROCPRIM_400000_NS6detail17trampoline_kernelINS0_14default_configENS1_25partition_config_selectorILNS1_17partition_subalgoE6EjNS0_10empty_typeEbEEZZNS1_14partition_implILS5_6ELb0ES3_mN6thrust23THRUST_200600_302600_NS6detail15normal_iteratorINSA_10device_ptrIjEEEEPS6_SG_NS0_5tupleIJNSA_16discard_iteratorINSA_11use_defaultEEES6_EEENSH_IJSG_SG_EEES6_PlJNSB_9not_fun_tI7is_trueIjEEEEEE10hipError_tPvRmT3_T4_T5_T6_T7_T9_mT8_P12ihipStream_tbDpT10_ENKUlT_T0_E_clISt17integral_constantIbLb1EES1B_EEDaS16_S17_EUlS16_E_NS1_11comp_targetILNS1_3genE9ELNS1_11target_archE1100ELNS1_3gpuE3ELNS1_3repE0EEENS1_30default_config_static_selectorELNS0_4arch9wavefront6targetE0EEEvT1_
		.amdhsa_group_segment_fixed_size 0
		.amdhsa_private_segment_fixed_size 0
		.amdhsa_kernarg_size 136
		.amdhsa_user_sgpr_count 2
		.amdhsa_user_sgpr_dispatch_ptr 0
		.amdhsa_user_sgpr_queue_ptr 0
		.amdhsa_user_sgpr_kernarg_segment_ptr 1
		.amdhsa_user_sgpr_dispatch_id 0
		.amdhsa_user_sgpr_private_segment_size 0
		.amdhsa_wavefront_size32 1
		.amdhsa_uses_dynamic_stack 0
		.amdhsa_enable_private_segment 0
		.amdhsa_system_sgpr_workgroup_id_x 1
		.amdhsa_system_sgpr_workgroup_id_y 0
		.amdhsa_system_sgpr_workgroup_id_z 0
		.amdhsa_system_sgpr_workgroup_info 0
		.amdhsa_system_vgpr_workitem_id 0
		.amdhsa_next_free_vgpr 1
		.amdhsa_next_free_sgpr 1
		.amdhsa_reserve_vcc 0
		.amdhsa_float_round_mode_32 0
		.amdhsa_float_round_mode_16_64 0
		.amdhsa_float_denorm_mode_32 3
		.amdhsa_float_denorm_mode_16_64 3
		.amdhsa_fp16_overflow 0
		.amdhsa_workgroup_processor_mode 1
		.amdhsa_memory_ordered 1
		.amdhsa_forward_progress 1
		.amdhsa_inst_pref_size 0
		.amdhsa_round_robin_scheduling 0
		.amdhsa_exception_fp_ieee_invalid_op 0
		.amdhsa_exception_fp_denorm_src 0
		.amdhsa_exception_fp_ieee_div_zero 0
		.amdhsa_exception_fp_ieee_overflow 0
		.amdhsa_exception_fp_ieee_underflow 0
		.amdhsa_exception_fp_ieee_inexact 0
		.amdhsa_exception_int_div_zero 0
	.end_amdhsa_kernel
	.section	.text._ZN7rocprim17ROCPRIM_400000_NS6detail17trampoline_kernelINS0_14default_configENS1_25partition_config_selectorILNS1_17partition_subalgoE6EjNS0_10empty_typeEbEEZZNS1_14partition_implILS5_6ELb0ES3_mN6thrust23THRUST_200600_302600_NS6detail15normal_iteratorINSA_10device_ptrIjEEEEPS6_SG_NS0_5tupleIJNSA_16discard_iteratorINSA_11use_defaultEEES6_EEENSH_IJSG_SG_EEES6_PlJNSB_9not_fun_tI7is_trueIjEEEEEE10hipError_tPvRmT3_T4_T5_T6_T7_T9_mT8_P12ihipStream_tbDpT10_ENKUlT_T0_E_clISt17integral_constantIbLb1EES1B_EEDaS16_S17_EUlS16_E_NS1_11comp_targetILNS1_3genE9ELNS1_11target_archE1100ELNS1_3gpuE3ELNS1_3repE0EEENS1_30default_config_static_selectorELNS0_4arch9wavefront6targetE0EEEvT1_,"axG",@progbits,_ZN7rocprim17ROCPRIM_400000_NS6detail17trampoline_kernelINS0_14default_configENS1_25partition_config_selectorILNS1_17partition_subalgoE6EjNS0_10empty_typeEbEEZZNS1_14partition_implILS5_6ELb0ES3_mN6thrust23THRUST_200600_302600_NS6detail15normal_iteratorINSA_10device_ptrIjEEEEPS6_SG_NS0_5tupleIJNSA_16discard_iteratorINSA_11use_defaultEEES6_EEENSH_IJSG_SG_EEES6_PlJNSB_9not_fun_tI7is_trueIjEEEEEE10hipError_tPvRmT3_T4_T5_T6_T7_T9_mT8_P12ihipStream_tbDpT10_ENKUlT_T0_E_clISt17integral_constantIbLb1EES1B_EEDaS16_S17_EUlS16_E_NS1_11comp_targetILNS1_3genE9ELNS1_11target_archE1100ELNS1_3gpuE3ELNS1_3repE0EEENS1_30default_config_static_selectorELNS0_4arch9wavefront6targetE0EEEvT1_,comdat
.Lfunc_end2187:
	.size	_ZN7rocprim17ROCPRIM_400000_NS6detail17trampoline_kernelINS0_14default_configENS1_25partition_config_selectorILNS1_17partition_subalgoE6EjNS0_10empty_typeEbEEZZNS1_14partition_implILS5_6ELb0ES3_mN6thrust23THRUST_200600_302600_NS6detail15normal_iteratorINSA_10device_ptrIjEEEEPS6_SG_NS0_5tupleIJNSA_16discard_iteratorINSA_11use_defaultEEES6_EEENSH_IJSG_SG_EEES6_PlJNSB_9not_fun_tI7is_trueIjEEEEEE10hipError_tPvRmT3_T4_T5_T6_T7_T9_mT8_P12ihipStream_tbDpT10_ENKUlT_T0_E_clISt17integral_constantIbLb1EES1B_EEDaS16_S17_EUlS16_E_NS1_11comp_targetILNS1_3genE9ELNS1_11target_archE1100ELNS1_3gpuE3ELNS1_3repE0EEENS1_30default_config_static_selectorELNS0_4arch9wavefront6targetE0EEEvT1_, .Lfunc_end2187-_ZN7rocprim17ROCPRIM_400000_NS6detail17trampoline_kernelINS0_14default_configENS1_25partition_config_selectorILNS1_17partition_subalgoE6EjNS0_10empty_typeEbEEZZNS1_14partition_implILS5_6ELb0ES3_mN6thrust23THRUST_200600_302600_NS6detail15normal_iteratorINSA_10device_ptrIjEEEEPS6_SG_NS0_5tupleIJNSA_16discard_iteratorINSA_11use_defaultEEES6_EEENSH_IJSG_SG_EEES6_PlJNSB_9not_fun_tI7is_trueIjEEEEEE10hipError_tPvRmT3_T4_T5_T6_T7_T9_mT8_P12ihipStream_tbDpT10_ENKUlT_T0_E_clISt17integral_constantIbLb1EES1B_EEDaS16_S17_EUlS16_E_NS1_11comp_targetILNS1_3genE9ELNS1_11target_archE1100ELNS1_3gpuE3ELNS1_3repE0EEENS1_30default_config_static_selectorELNS0_4arch9wavefront6targetE0EEEvT1_
                                        ; -- End function
	.set _ZN7rocprim17ROCPRIM_400000_NS6detail17trampoline_kernelINS0_14default_configENS1_25partition_config_selectorILNS1_17partition_subalgoE6EjNS0_10empty_typeEbEEZZNS1_14partition_implILS5_6ELb0ES3_mN6thrust23THRUST_200600_302600_NS6detail15normal_iteratorINSA_10device_ptrIjEEEEPS6_SG_NS0_5tupleIJNSA_16discard_iteratorINSA_11use_defaultEEES6_EEENSH_IJSG_SG_EEES6_PlJNSB_9not_fun_tI7is_trueIjEEEEEE10hipError_tPvRmT3_T4_T5_T6_T7_T9_mT8_P12ihipStream_tbDpT10_ENKUlT_T0_E_clISt17integral_constantIbLb1EES1B_EEDaS16_S17_EUlS16_E_NS1_11comp_targetILNS1_3genE9ELNS1_11target_archE1100ELNS1_3gpuE3ELNS1_3repE0EEENS1_30default_config_static_selectorELNS0_4arch9wavefront6targetE0EEEvT1_.num_vgpr, 0
	.set _ZN7rocprim17ROCPRIM_400000_NS6detail17trampoline_kernelINS0_14default_configENS1_25partition_config_selectorILNS1_17partition_subalgoE6EjNS0_10empty_typeEbEEZZNS1_14partition_implILS5_6ELb0ES3_mN6thrust23THRUST_200600_302600_NS6detail15normal_iteratorINSA_10device_ptrIjEEEEPS6_SG_NS0_5tupleIJNSA_16discard_iteratorINSA_11use_defaultEEES6_EEENSH_IJSG_SG_EEES6_PlJNSB_9not_fun_tI7is_trueIjEEEEEE10hipError_tPvRmT3_T4_T5_T6_T7_T9_mT8_P12ihipStream_tbDpT10_ENKUlT_T0_E_clISt17integral_constantIbLb1EES1B_EEDaS16_S17_EUlS16_E_NS1_11comp_targetILNS1_3genE9ELNS1_11target_archE1100ELNS1_3gpuE3ELNS1_3repE0EEENS1_30default_config_static_selectorELNS0_4arch9wavefront6targetE0EEEvT1_.num_agpr, 0
	.set _ZN7rocprim17ROCPRIM_400000_NS6detail17trampoline_kernelINS0_14default_configENS1_25partition_config_selectorILNS1_17partition_subalgoE6EjNS0_10empty_typeEbEEZZNS1_14partition_implILS5_6ELb0ES3_mN6thrust23THRUST_200600_302600_NS6detail15normal_iteratorINSA_10device_ptrIjEEEEPS6_SG_NS0_5tupleIJNSA_16discard_iteratorINSA_11use_defaultEEES6_EEENSH_IJSG_SG_EEES6_PlJNSB_9not_fun_tI7is_trueIjEEEEEE10hipError_tPvRmT3_T4_T5_T6_T7_T9_mT8_P12ihipStream_tbDpT10_ENKUlT_T0_E_clISt17integral_constantIbLb1EES1B_EEDaS16_S17_EUlS16_E_NS1_11comp_targetILNS1_3genE9ELNS1_11target_archE1100ELNS1_3gpuE3ELNS1_3repE0EEENS1_30default_config_static_selectorELNS0_4arch9wavefront6targetE0EEEvT1_.numbered_sgpr, 0
	.set _ZN7rocprim17ROCPRIM_400000_NS6detail17trampoline_kernelINS0_14default_configENS1_25partition_config_selectorILNS1_17partition_subalgoE6EjNS0_10empty_typeEbEEZZNS1_14partition_implILS5_6ELb0ES3_mN6thrust23THRUST_200600_302600_NS6detail15normal_iteratorINSA_10device_ptrIjEEEEPS6_SG_NS0_5tupleIJNSA_16discard_iteratorINSA_11use_defaultEEES6_EEENSH_IJSG_SG_EEES6_PlJNSB_9not_fun_tI7is_trueIjEEEEEE10hipError_tPvRmT3_T4_T5_T6_T7_T9_mT8_P12ihipStream_tbDpT10_ENKUlT_T0_E_clISt17integral_constantIbLb1EES1B_EEDaS16_S17_EUlS16_E_NS1_11comp_targetILNS1_3genE9ELNS1_11target_archE1100ELNS1_3gpuE3ELNS1_3repE0EEENS1_30default_config_static_selectorELNS0_4arch9wavefront6targetE0EEEvT1_.num_named_barrier, 0
	.set _ZN7rocprim17ROCPRIM_400000_NS6detail17trampoline_kernelINS0_14default_configENS1_25partition_config_selectorILNS1_17partition_subalgoE6EjNS0_10empty_typeEbEEZZNS1_14partition_implILS5_6ELb0ES3_mN6thrust23THRUST_200600_302600_NS6detail15normal_iteratorINSA_10device_ptrIjEEEEPS6_SG_NS0_5tupleIJNSA_16discard_iteratorINSA_11use_defaultEEES6_EEENSH_IJSG_SG_EEES6_PlJNSB_9not_fun_tI7is_trueIjEEEEEE10hipError_tPvRmT3_T4_T5_T6_T7_T9_mT8_P12ihipStream_tbDpT10_ENKUlT_T0_E_clISt17integral_constantIbLb1EES1B_EEDaS16_S17_EUlS16_E_NS1_11comp_targetILNS1_3genE9ELNS1_11target_archE1100ELNS1_3gpuE3ELNS1_3repE0EEENS1_30default_config_static_selectorELNS0_4arch9wavefront6targetE0EEEvT1_.private_seg_size, 0
	.set _ZN7rocprim17ROCPRIM_400000_NS6detail17trampoline_kernelINS0_14default_configENS1_25partition_config_selectorILNS1_17partition_subalgoE6EjNS0_10empty_typeEbEEZZNS1_14partition_implILS5_6ELb0ES3_mN6thrust23THRUST_200600_302600_NS6detail15normal_iteratorINSA_10device_ptrIjEEEEPS6_SG_NS0_5tupleIJNSA_16discard_iteratorINSA_11use_defaultEEES6_EEENSH_IJSG_SG_EEES6_PlJNSB_9not_fun_tI7is_trueIjEEEEEE10hipError_tPvRmT3_T4_T5_T6_T7_T9_mT8_P12ihipStream_tbDpT10_ENKUlT_T0_E_clISt17integral_constantIbLb1EES1B_EEDaS16_S17_EUlS16_E_NS1_11comp_targetILNS1_3genE9ELNS1_11target_archE1100ELNS1_3gpuE3ELNS1_3repE0EEENS1_30default_config_static_selectorELNS0_4arch9wavefront6targetE0EEEvT1_.uses_vcc, 0
	.set _ZN7rocprim17ROCPRIM_400000_NS6detail17trampoline_kernelINS0_14default_configENS1_25partition_config_selectorILNS1_17partition_subalgoE6EjNS0_10empty_typeEbEEZZNS1_14partition_implILS5_6ELb0ES3_mN6thrust23THRUST_200600_302600_NS6detail15normal_iteratorINSA_10device_ptrIjEEEEPS6_SG_NS0_5tupleIJNSA_16discard_iteratorINSA_11use_defaultEEES6_EEENSH_IJSG_SG_EEES6_PlJNSB_9not_fun_tI7is_trueIjEEEEEE10hipError_tPvRmT3_T4_T5_T6_T7_T9_mT8_P12ihipStream_tbDpT10_ENKUlT_T0_E_clISt17integral_constantIbLb1EES1B_EEDaS16_S17_EUlS16_E_NS1_11comp_targetILNS1_3genE9ELNS1_11target_archE1100ELNS1_3gpuE3ELNS1_3repE0EEENS1_30default_config_static_selectorELNS0_4arch9wavefront6targetE0EEEvT1_.uses_flat_scratch, 0
	.set _ZN7rocprim17ROCPRIM_400000_NS6detail17trampoline_kernelINS0_14default_configENS1_25partition_config_selectorILNS1_17partition_subalgoE6EjNS0_10empty_typeEbEEZZNS1_14partition_implILS5_6ELb0ES3_mN6thrust23THRUST_200600_302600_NS6detail15normal_iteratorINSA_10device_ptrIjEEEEPS6_SG_NS0_5tupleIJNSA_16discard_iteratorINSA_11use_defaultEEES6_EEENSH_IJSG_SG_EEES6_PlJNSB_9not_fun_tI7is_trueIjEEEEEE10hipError_tPvRmT3_T4_T5_T6_T7_T9_mT8_P12ihipStream_tbDpT10_ENKUlT_T0_E_clISt17integral_constantIbLb1EES1B_EEDaS16_S17_EUlS16_E_NS1_11comp_targetILNS1_3genE9ELNS1_11target_archE1100ELNS1_3gpuE3ELNS1_3repE0EEENS1_30default_config_static_selectorELNS0_4arch9wavefront6targetE0EEEvT1_.has_dyn_sized_stack, 0
	.set _ZN7rocprim17ROCPRIM_400000_NS6detail17trampoline_kernelINS0_14default_configENS1_25partition_config_selectorILNS1_17partition_subalgoE6EjNS0_10empty_typeEbEEZZNS1_14partition_implILS5_6ELb0ES3_mN6thrust23THRUST_200600_302600_NS6detail15normal_iteratorINSA_10device_ptrIjEEEEPS6_SG_NS0_5tupleIJNSA_16discard_iteratorINSA_11use_defaultEEES6_EEENSH_IJSG_SG_EEES6_PlJNSB_9not_fun_tI7is_trueIjEEEEEE10hipError_tPvRmT3_T4_T5_T6_T7_T9_mT8_P12ihipStream_tbDpT10_ENKUlT_T0_E_clISt17integral_constantIbLb1EES1B_EEDaS16_S17_EUlS16_E_NS1_11comp_targetILNS1_3genE9ELNS1_11target_archE1100ELNS1_3gpuE3ELNS1_3repE0EEENS1_30default_config_static_selectorELNS0_4arch9wavefront6targetE0EEEvT1_.has_recursion, 0
	.set _ZN7rocprim17ROCPRIM_400000_NS6detail17trampoline_kernelINS0_14default_configENS1_25partition_config_selectorILNS1_17partition_subalgoE6EjNS0_10empty_typeEbEEZZNS1_14partition_implILS5_6ELb0ES3_mN6thrust23THRUST_200600_302600_NS6detail15normal_iteratorINSA_10device_ptrIjEEEEPS6_SG_NS0_5tupleIJNSA_16discard_iteratorINSA_11use_defaultEEES6_EEENSH_IJSG_SG_EEES6_PlJNSB_9not_fun_tI7is_trueIjEEEEEE10hipError_tPvRmT3_T4_T5_T6_T7_T9_mT8_P12ihipStream_tbDpT10_ENKUlT_T0_E_clISt17integral_constantIbLb1EES1B_EEDaS16_S17_EUlS16_E_NS1_11comp_targetILNS1_3genE9ELNS1_11target_archE1100ELNS1_3gpuE3ELNS1_3repE0EEENS1_30default_config_static_selectorELNS0_4arch9wavefront6targetE0EEEvT1_.has_indirect_call, 0
	.section	.AMDGPU.csdata,"",@progbits
; Kernel info:
; codeLenInByte = 0
; TotalNumSgprs: 0
; NumVgprs: 0
; ScratchSize: 0
; MemoryBound: 0
; FloatMode: 240
; IeeeMode: 1
; LDSByteSize: 0 bytes/workgroup (compile time only)
; SGPRBlocks: 0
; VGPRBlocks: 0
; NumSGPRsForWavesPerEU: 1
; NumVGPRsForWavesPerEU: 1
; Occupancy: 16
; WaveLimiterHint : 0
; COMPUTE_PGM_RSRC2:SCRATCH_EN: 0
; COMPUTE_PGM_RSRC2:USER_SGPR: 2
; COMPUTE_PGM_RSRC2:TRAP_HANDLER: 0
; COMPUTE_PGM_RSRC2:TGID_X_EN: 1
; COMPUTE_PGM_RSRC2:TGID_Y_EN: 0
; COMPUTE_PGM_RSRC2:TGID_Z_EN: 0
; COMPUTE_PGM_RSRC2:TIDIG_COMP_CNT: 0
	.section	.text._ZN7rocprim17ROCPRIM_400000_NS6detail17trampoline_kernelINS0_14default_configENS1_25partition_config_selectorILNS1_17partition_subalgoE6EjNS0_10empty_typeEbEEZZNS1_14partition_implILS5_6ELb0ES3_mN6thrust23THRUST_200600_302600_NS6detail15normal_iteratorINSA_10device_ptrIjEEEEPS6_SG_NS0_5tupleIJNSA_16discard_iteratorINSA_11use_defaultEEES6_EEENSH_IJSG_SG_EEES6_PlJNSB_9not_fun_tI7is_trueIjEEEEEE10hipError_tPvRmT3_T4_T5_T6_T7_T9_mT8_P12ihipStream_tbDpT10_ENKUlT_T0_E_clISt17integral_constantIbLb1EES1B_EEDaS16_S17_EUlS16_E_NS1_11comp_targetILNS1_3genE8ELNS1_11target_archE1030ELNS1_3gpuE2ELNS1_3repE0EEENS1_30default_config_static_selectorELNS0_4arch9wavefront6targetE0EEEvT1_,"axG",@progbits,_ZN7rocprim17ROCPRIM_400000_NS6detail17trampoline_kernelINS0_14default_configENS1_25partition_config_selectorILNS1_17partition_subalgoE6EjNS0_10empty_typeEbEEZZNS1_14partition_implILS5_6ELb0ES3_mN6thrust23THRUST_200600_302600_NS6detail15normal_iteratorINSA_10device_ptrIjEEEEPS6_SG_NS0_5tupleIJNSA_16discard_iteratorINSA_11use_defaultEEES6_EEENSH_IJSG_SG_EEES6_PlJNSB_9not_fun_tI7is_trueIjEEEEEE10hipError_tPvRmT3_T4_T5_T6_T7_T9_mT8_P12ihipStream_tbDpT10_ENKUlT_T0_E_clISt17integral_constantIbLb1EES1B_EEDaS16_S17_EUlS16_E_NS1_11comp_targetILNS1_3genE8ELNS1_11target_archE1030ELNS1_3gpuE2ELNS1_3repE0EEENS1_30default_config_static_selectorELNS0_4arch9wavefront6targetE0EEEvT1_,comdat
	.protected	_ZN7rocprim17ROCPRIM_400000_NS6detail17trampoline_kernelINS0_14default_configENS1_25partition_config_selectorILNS1_17partition_subalgoE6EjNS0_10empty_typeEbEEZZNS1_14partition_implILS5_6ELb0ES3_mN6thrust23THRUST_200600_302600_NS6detail15normal_iteratorINSA_10device_ptrIjEEEEPS6_SG_NS0_5tupleIJNSA_16discard_iteratorINSA_11use_defaultEEES6_EEENSH_IJSG_SG_EEES6_PlJNSB_9not_fun_tI7is_trueIjEEEEEE10hipError_tPvRmT3_T4_T5_T6_T7_T9_mT8_P12ihipStream_tbDpT10_ENKUlT_T0_E_clISt17integral_constantIbLb1EES1B_EEDaS16_S17_EUlS16_E_NS1_11comp_targetILNS1_3genE8ELNS1_11target_archE1030ELNS1_3gpuE2ELNS1_3repE0EEENS1_30default_config_static_selectorELNS0_4arch9wavefront6targetE0EEEvT1_ ; -- Begin function _ZN7rocprim17ROCPRIM_400000_NS6detail17trampoline_kernelINS0_14default_configENS1_25partition_config_selectorILNS1_17partition_subalgoE6EjNS0_10empty_typeEbEEZZNS1_14partition_implILS5_6ELb0ES3_mN6thrust23THRUST_200600_302600_NS6detail15normal_iteratorINSA_10device_ptrIjEEEEPS6_SG_NS0_5tupleIJNSA_16discard_iteratorINSA_11use_defaultEEES6_EEENSH_IJSG_SG_EEES6_PlJNSB_9not_fun_tI7is_trueIjEEEEEE10hipError_tPvRmT3_T4_T5_T6_T7_T9_mT8_P12ihipStream_tbDpT10_ENKUlT_T0_E_clISt17integral_constantIbLb1EES1B_EEDaS16_S17_EUlS16_E_NS1_11comp_targetILNS1_3genE8ELNS1_11target_archE1030ELNS1_3gpuE2ELNS1_3repE0EEENS1_30default_config_static_selectorELNS0_4arch9wavefront6targetE0EEEvT1_
	.globl	_ZN7rocprim17ROCPRIM_400000_NS6detail17trampoline_kernelINS0_14default_configENS1_25partition_config_selectorILNS1_17partition_subalgoE6EjNS0_10empty_typeEbEEZZNS1_14partition_implILS5_6ELb0ES3_mN6thrust23THRUST_200600_302600_NS6detail15normal_iteratorINSA_10device_ptrIjEEEEPS6_SG_NS0_5tupleIJNSA_16discard_iteratorINSA_11use_defaultEEES6_EEENSH_IJSG_SG_EEES6_PlJNSB_9not_fun_tI7is_trueIjEEEEEE10hipError_tPvRmT3_T4_T5_T6_T7_T9_mT8_P12ihipStream_tbDpT10_ENKUlT_T0_E_clISt17integral_constantIbLb1EES1B_EEDaS16_S17_EUlS16_E_NS1_11comp_targetILNS1_3genE8ELNS1_11target_archE1030ELNS1_3gpuE2ELNS1_3repE0EEENS1_30default_config_static_selectorELNS0_4arch9wavefront6targetE0EEEvT1_
	.p2align	8
	.type	_ZN7rocprim17ROCPRIM_400000_NS6detail17trampoline_kernelINS0_14default_configENS1_25partition_config_selectorILNS1_17partition_subalgoE6EjNS0_10empty_typeEbEEZZNS1_14partition_implILS5_6ELb0ES3_mN6thrust23THRUST_200600_302600_NS6detail15normal_iteratorINSA_10device_ptrIjEEEEPS6_SG_NS0_5tupleIJNSA_16discard_iteratorINSA_11use_defaultEEES6_EEENSH_IJSG_SG_EEES6_PlJNSB_9not_fun_tI7is_trueIjEEEEEE10hipError_tPvRmT3_T4_T5_T6_T7_T9_mT8_P12ihipStream_tbDpT10_ENKUlT_T0_E_clISt17integral_constantIbLb1EES1B_EEDaS16_S17_EUlS16_E_NS1_11comp_targetILNS1_3genE8ELNS1_11target_archE1030ELNS1_3gpuE2ELNS1_3repE0EEENS1_30default_config_static_selectorELNS0_4arch9wavefront6targetE0EEEvT1_,@function
_ZN7rocprim17ROCPRIM_400000_NS6detail17trampoline_kernelINS0_14default_configENS1_25partition_config_selectorILNS1_17partition_subalgoE6EjNS0_10empty_typeEbEEZZNS1_14partition_implILS5_6ELb0ES3_mN6thrust23THRUST_200600_302600_NS6detail15normal_iteratorINSA_10device_ptrIjEEEEPS6_SG_NS0_5tupleIJNSA_16discard_iteratorINSA_11use_defaultEEES6_EEENSH_IJSG_SG_EEES6_PlJNSB_9not_fun_tI7is_trueIjEEEEEE10hipError_tPvRmT3_T4_T5_T6_T7_T9_mT8_P12ihipStream_tbDpT10_ENKUlT_T0_E_clISt17integral_constantIbLb1EES1B_EEDaS16_S17_EUlS16_E_NS1_11comp_targetILNS1_3genE8ELNS1_11target_archE1030ELNS1_3gpuE2ELNS1_3repE0EEENS1_30default_config_static_selectorELNS0_4arch9wavefront6targetE0EEEvT1_: ; @_ZN7rocprim17ROCPRIM_400000_NS6detail17trampoline_kernelINS0_14default_configENS1_25partition_config_selectorILNS1_17partition_subalgoE6EjNS0_10empty_typeEbEEZZNS1_14partition_implILS5_6ELb0ES3_mN6thrust23THRUST_200600_302600_NS6detail15normal_iteratorINSA_10device_ptrIjEEEEPS6_SG_NS0_5tupleIJNSA_16discard_iteratorINSA_11use_defaultEEES6_EEENSH_IJSG_SG_EEES6_PlJNSB_9not_fun_tI7is_trueIjEEEEEE10hipError_tPvRmT3_T4_T5_T6_T7_T9_mT8_P12ihipStream_tbDpT10_ENKUlT_T0_E_clISt17integral_constantIbLb1EES1B_EEDaS16_S17_EUlS16_E_NS1_11comp_targetILNS1_3genE8ELNS1_11target_archE1030ELNS1_3gpuE2ELNS1_3repE0EEENS1_30default_config_static_selectorELNS0_4arch9wavefront6targetE0EEEvT1_
; %bb.0:
	.section	.rodata,"a",@progbits
	.p2align	6, 0x0
	.amdhsa_kernel _ZN7rocprim17ROCPRIM_400000_NS6detail17trampoline_kernelINS0_14default_configENS1_25partition_config_selectorILNS1_17partition_subalgoE6EjNS0_10empty_typeEbEEZZNS1_14partition_implILS5_6ELb0ES3_mN6thrust23THRUST_200600_302600_NS6detail15normal_iteratorINSA_10device_ptrIjEEEEPS6_SG_NS0_5tupleIJNSA_16discard_iteratorINSA_11use_defaultEEES6_EEENSH_IJSG_SG_EEES6_PlJNSB_9not_fun_tI7is_trueIjEEEEEE10hipError_tPvRmT3_T4_T5_T6_T7_T9_mT8_P12ihipStream_tbDpT10_ENKUlT_T0_E_clISt17integral_constantIbLb1EES1B_EEDaS16_S17_EUlS16_E_NS1_11comp_targetILNS1_3genE8ELNS1_11target_archE1030ELNS1_3gpuE2ELNS1_3repE0EEENS1_30default_config_static_selectorELNS0_4arch9wavefront6targetE0EEEvT1_
		.amdhsa_group_segment_fixed_size 0
		.amdhsa_private_segment_fixed_size 0
		.amdhsa_kernarg_size 136
		.amdhsa_user_sgpr_count 2
		.amdhsa_user_sgpr_dispatch_ptr 0
		.amdhsa_user_sgpr_queue_ptr 0
		.amdhsa_user_sgpr_kernarg_segment_ptr 1
		.amdhsa_user_sgpr_dispatch_id 0
		.amdhsa_user_sgpr_private_segment_size 0
		.amdhsa_wavefront_size32 1
		.amdhsa_uses_dynamic_stack 0
		.amdhsa_enable_private_segment 0
		.amdhsa_system_sgpr_workgroup_id_x 1
		.amdhsa_system_sgpr_workgroup_id_y 0
		.amdhsa_system_sgpr_workgroup_id_z 0
		.amdhsa_system_sgpr_workgroup_info 0
		.amdhsa_system_vgpr_workitem_id 0
		.amdhsa_next_free_vgpr 1
		.amdhsa_next_free_sgpr 1
		.amdhsa_reserve_vcc 0
		.amdhsa_float_round_mode_32 0
		.amdhsa_float_round_mode_16_64 0
		.amdhsa_float_denorm_mode_32 3
		.amdhsa_float_denorm_mode_16_64 3
		.amdhsa_fp16_overflow 0
		.amdhsa_workgroup_processor_mode 1
		.amdhsa_memory_ordered 1
		.amdhsa_forward_progress 1
		.amdhsa_inst_pref_size 0
		.amdhsa_round_robin_scheduling 0
		.amdhsa_exception_fp_ieee_invalid_op 0
		.amdhsa_exception_fp_denorm_src 0
		.amdhsa_exception_fp_ieee_div_zero 0
		.amdhsa_exception_fp_ieee_overflow 0
		.amdhsa_exception_fp_ieee_underflow 0
		.amdhsa_exception_fp_ieee_inexact 0
		.amdhsa_exception_int_div_zero 0
	.end_amdhsa_kernel
	.section	.text._ZN7rocprim17ROCPRIM_400000_NS6detail17trampoline_kernelINS0_14default_configENS1_25partition_config_selectorILNS1_17partition_subalgoE6EjNS0_10empty_typeEbEEZZNS1_14partition_implILS5_6ELb0ES3_mN6thrust23THRUST_200600_302600_NS6detail15normal_iteratorINSA_10device_ptrIjEEEEPS6_SG_NS0_5tupleIJNSA_16discard_iteratorINSA_11use_defaultEEES6_EEENSH_IJSG_SG_EEES6_PlJNSB_9not_fun_tI7is_trueIjEEEEEE10hipError_tPvRmT3_T4_T5_T6_T7_T9_mT8_P12ihipStream_tbDpT10_ENKUlT_T0_E_clISt17integral_constantIbLb1EES1B_EEDaS16_S17_EUlS16_E_NS1_11comp_targetILNS1_3genE8ELNS1_11target_archE1030ELNS1_3gpuE2ELNS1_3repE0EEENS1_30default_config_static_selectorELNS0_4arch9wavefront6targetE0EEEvT1_,"axG",@progbits,_ZN7rocprim17ROCPRIM_400000_NS6detail17trampoline_kernelINS0_14default_configENS1_25partition_config_selectorILNS1_17partition_subalgoE6EjNS0_10empty_typeEbEEZZNS1_14partition_implILS5_6ELb0ES3_mN6thrust23THRUST_200600_302600_NS6detail15normal_iteratorINSA_10device_ptrIjEEEEPS6_SG_NS0_5tupleIJNSA_16discard_iteratorINSA_11use_defaultEEES6_EEENSH_IJSG_SG_EEES6_PlJNSB_9not_fun_tI7is_trueIjEEEEEE10hipError_tPvRmT3_T4_T5_T6_T7_T9_mT8_P12ihipStream_tbDpT10_ENKUlT_T0_E_clISt17integral_constantIbLb1EES1B_EEDaS16_S17_EUlS16_E_NS1_11comp_targetILNS1_3genE8ELNS1_11target_archE1030ELNS1_3gpuE2ELNS1_3repE0EEENS1_30default_config_static_selectorELNS0_4arch9wavefront6targetE0EEEvT1_,comdat
.Lfunc_end2188:
	.size	_ZN7rocprim17ROCPRIM_400000_NS6detail17trampoline_kernelINS0_14default_configENS1_25partition_config_selectorILNS1_17partition_subalgoE6EjNS0_10empty_typeEbEEZZNS1_14partition_implILS5_6ELb0ES3_mN6thrust23THRUST_200600_302600_NS6detail15normal_iteratorINSA_10device_ptrIjEEEEPS6_SG_NS0_5tupleIJNSA_16discard_iteratorINSA_11use_defaultEEES6_EEENSH_IJSG_SG_EEES6_PlJNSB_9not_fun_tI7is_trueIjEEEEEE10hipError_tPvRmT3_T4_T5_T6_T7_T9_mT8_P12ihipStream_tbDpT10_ENKUlT_T0_E_clISt17integral_constantIbLb1EES1B_EEDaS16_S17_EUlS16_E_NS1_11comp_targetILNS1_3genE8ELNS1_11target_archE1030ELNS1_3gpuE2ELNS1_3repE0EEENS1_30default_config_static_selectorELNS0_4arch9wavefront6targetE0EEEvT1_, .Lfunc_end2188-_ZN7rocprim17ROCPRIM_400000_NS6detail17trampoline_kernelINS0_14default_configENS1_25partition_config_selectorILNS1_17partition_subalgoE6EjNS0_10empty_typeEbEEZZNS1_14partition_implILS5_6ELb0ES3_mN6thrust23THRUST_200600_302600_NS6detail15normal_iteratorINSA_10device_ptrIjEEEEPS6_SG_NS0_5tupleIJNSA_16discard_iteratorINSA_11use_defaultEEES6_EEENSH_IJSG_SG_EEES6_PlJNSB_9not_fun_tI7is_trueIjEEEEEE10hipError_tPvRmT3_T4_T5_T6_T7_T9_mT8_P12ihipStream_tbDpT10_ENKUlT_T0_E_clISt17integral_constantIbLb1EES1B_EEDaS16_S17_EUlS16_E_NS1_11comp_targetILNS1_3genE8ELNS1_11target_archE1030ELNS1_3gpuE2ELNS1_3repE0EEENS1_30default_config_static_selectorELNS0_4arch9wavefront6targetE0EEEvT1_
                                        ; -- End function
	.set _ZN7rocprim17ROCPRIM_400000_NS6detail17trampoline_kernelINS0_14default_configENS1_25partition_config_selectorILNS1_17partition_subalgoE6EjNS0_10empty_typeEbEEZZNS1_14partition_implILS5_6ELb0ES3_mN6thrust23THRUST_200600_302600_NS6detail15normal_iteratorINSA_10device_ptrIjEEEEPS6_SG_NS0_5tupleIJNSA_16discard_iteratorINSA_11use_defaultEEES6_EEENSH_IJSG_SG_EEES6_PlJNSB_9not_fun_tI7is_trueIjEEEEEE10hipError_tPvRmT3_T4_T5_T6_T7_T9_mT8_P12ihipStream_tbDpT10_ENKUlT_T0_E_clISt17integral_constantIbLb1EES1B_EEDaS16_S17_EUlS16_E_NS1_11comp_targetILNS1_3genE8ELNS1_11target_archE1030ELNS1_3gpuE2ELNS1_3repE0EEENS1_30default_config_static_selectorELNS0_4arch9wavefront6targetE0EEEvT1_.num_vgpr, 0
	.set _ZN7rocprim17ROCPRIM_400000_NS6detail17trampoline_kernelINS0_14default_configENS1_25partition_config_selectorILNS1_17partition_subalgoE6EjNS0_10empty_typeEbEEZZNS1_14partition_implILS5_6ELb0ES3_mN6thrust23THRUST_200600_302600_NS6detail15normal_iteratorINSA_10device_ptrIjEEEEPS6_SG_NS0_5tupleIJNSA_16discard_iteratorINSA_11use_defaultEEES6_EEENSH_IJSG_SG_EEES6_PlJNSB_9not_fun_tI7is_trueIjEEEEEE10hipError_tPvRmT3_T4_T5_T6_T7_T9_mT8_P12ihipStream_tbDpT10_ENKUlT_T0_E_clISt17integral_constantIbLb1EES1B_EEDaS16_S17_EUlS16_E_NS1_11comp_targetILNS1_3genE8ELNS1_11target_archE1030ELNS1_3gpuE2ELNS1_3repE0EEENS1_30default_config_static_selectorELNS0_4arch9wavefront6targetE0EEEvT1_.num_agpr, 0
	.set _ZN7rocprim17ROCPRIM_400000_NS6detail17trampoline_kernelINS0_14default_configENS1_25partition_config_selectorILNS1_17partition_subalgoE6EjNS0_10empty_typeEbEEZZNS1_14partition_implILS5_6ELb0ES3_mN6thrust23THRUST_200600_302600_NS6detail15normal_iteratorINSA_10device_ptrIjEEEEPS6_SG_NS0_5tupleIJNSA_16discard_iteratorINSA_11use_defaultEEES6_EEENSH_IJSG_SG_EEES6_PlJNSB_9not_fun_tI7is_trueIjEEEEEE10hipError_tPvRmT3_T4_T5_T6_T7_T9_mT8_P12ihipStream_tbDpT10_ENKUlT_T0_E_clISt17integral_constantIbLb1EES1B_EEDaS16_S17_EUlS16_E_NS1_11comp_targetILNS1_3genE8ELNS1_11target_archE1030ELNS1_3gpuE2ELNS1_3repE0EEENS1_30default_config_static_selectorELNS0_4arch9wavefront6targetE0EEEvT1_.numbered_sgpr, 0
	.set _ZN7rocprim17ROCPRIM_400000_NS6detail17trampoline_kernelINS0_14default_configENS1_25partition_config_selectorILNS1_17partition_subalgoE6EjNS0_10empty_typeEbEEZZNS1_14partition_implILS5_6ELb0ES3_mN6thrust23THRUST_200600_302600_NS6detail15normal_iteratorINSA_10device_ptrIjEEEEPS6_SG_NS0_5tupleIJNSA_16discard_iteratorINSA_11use_defaultEEES6_EEENSH_IJSG_SG_EEES6_PlJNSB_9not_fun_tI7is_trueIjEEEEEE10hipError_tPvRmT3_T4_T5_T6_T7_T9_mT8_P12ihipStream_tbDpT10_ENKUlT_T0_E_clISt17integral_constantIbLb1EES1B_EEDaS16_S17_EUlS16_E_NS1_11comp_targetILNS1_3genE8ELNS1_11target_archE1030ELNS1_3gpuE2ELNS1_3repE0EEENS1_30default_config_static_selectorELNS0_4arch9wavefront6targetE0EEEvT1_.num_named_barrier, 0
	.set _ZN7rocprim17ROCPRIM_400000_NS6detail17trampoline_kernelINS0_14default_configENS1_25partition_config_selectorILNS1_17partition_subalgoE6EjNS0_10empty_typeEbEEZZNS1_14partition_implILS5_6ELb0ES3_mN6thrust23THRUST_200600_302600_NS6detail15normal_iteratorINSA_10device_ptrIjEEEEPS6_SG_NS0_5tupleIJNSA_16discard_iteratorINSA_11use_defaultEEES6_EEENSH_IJSG_SG_EEES6_PlJNSB_9not_fun_tI7is_trueIjEEEEEE10hipError_tPvRmT3_T4_T5_T6_T7_T9_mT8_P12ihipStream_tbDpT10_ENKUlT_T0_E_clISt17integral_constantIbLb1EES1B_EEDaS16_S17_EUlS16_E_NS1_11comp_targetILNS1_3genE8ELNS1_11target_archE1030ELNS1_3gpuE2ELNS1_3repE0EEENS1_30default_config_static_selectorELNS0_4arch9wavefront6targetE0EEEvT1_.private_seg_size, 0
	.set _ZN7rocprim17ROCPRIM_400000_NS6detail17trampoline_kernelINS0_14default_configENS1_25partition_config_selectorILNS1_17partition_subalgoE6EjNS0_10empty_typeEbEEZZNS1_14partition_implILS5_6ELb0ES3_mN6thrust23THRUST_200600_302600_NS6detail15normal_iteratorINSA_10device_ptrIjEEEEPS6_SG_NS0_5tupleIJNSA_16discard_iteratorINSA_11use_defaultEEES6_EEENSH_IJSG_SG_EEES6_PlJNSB_9not_fun_tI7is_trueIjEEEEEE10hipError_tPvRmT3_T4_T5_T6_T7_T9_mT8_P12ihipStream_tbDpT10_ENKUlT_T0_E_clISt17integral_constantIbLb1EES1B_EEDaS16_S17_EUlS16_E_NS1_11comp_targetILNS1_3genE8ELNS1_11target_archE1030ELNS1_3gpuE2ELNS1_3repE0EEENS1_30default_config_static_selectorELNS0_4arch9wavefront6targetE0EEEvT1_.uses_vcc, 0
	.set _ZN7rocprim17ROCPRIM_400000_NS6detail17trampoline_kernelINS0_14default_configENS1_25partition_config_selectorILNS1_17partition_subalgoE6EjNS0_10empty_typeEbEEZZNS1_14partition_implILS5_6ELb0ES3_mN6thrust23THRUST_200600_302600_NS6detail15normal_iteratorINSA_10device_ptrIjEEEEPS6_SG_NS0_5tupleIJNSA_16discard_iteratorINSA_11use_defaultEEES6_EEENSH_IJSG_SG_EEES6_PlJNSB_9not_fun_tI7is_trueIjEEEEEE10hipError_tPvRmT3_T4_T5_T6_T7_T9_mT8_P12ihipStream_tbDpT10_ENKUlT_T0_E_clISt17integral_constantIbLb1EES1B_EEDaS16_S17_EUlS16_E_NS1_11comp_targetILNS1_3genE8ELNS1_11target_archE1030ELNS1_3gpuE2ELNS1_3repE0EEENS1_30default_config_static_selectorELNS0_4arch9wavefront6targetE0EEEvT1_.uses_flat_scratch, 0
	.set _ZN7rocprim17ROCPRIM_400000_NS6detail17trampoline_kernelINS0_14default_configENS1_25partition_config_selectorILNS1_17partition_subalgoE6EjNS0_10empty_typeEbEEZZNS1_14partition_implILS5_6ELb0ES3_mN6thrust23THRUST_200600_302600_NS6detail15normal_iteratorINSA_10device_ptrIjEEEEPS6_SG_NS0_5tupleIJNSA_16discard_iteratorINSA_11use_defaultEEES6_EEENSH_IJSG_SG_EEES6_PlJNSB_9not_fun_tI7is_trueIjEEEEEE10hipError_tPvRmT3_T4_T5_T6_T7_T9_mT8_P12ihipStream_tbDpT10_ENKUlT_T0_E_clISt17integral_constantIbLb1EES1B_EEDaS16_S17_EUlS16_E_NS1_11comp_targetILNS1_3genE8ELNS1_11target_archE1030ELNS1_3gpuE2ELNS1_3repE0EEENS1_30default_config_static_selectorELNS0_4arch9wavefront6targetE0EEEvT1_.has_dyn_sized_stack, 0
	.set _ZN7rocprim17ROCPRIM_400000_NS6detail17trampoline_kernelINS0_14default_configENS1_25partition_config_selectorILNS1_17partition_subalgoE6EjNS0_10empty_typeEbEEZZNS1_14partition_implILS5_6ELb0ES3_mN6thrust23THRUST_200600_302600_NS6detail15normal_iteratorINSA_10device_ptrIjEEEEPS6_SG_NS0_5tupleIJNSA_16discard_iteratorINSA_11use_defaultEEES6_EEENSH_IJSG_SG_EEES6_PlJNSB_9not_fun_tI7is_trueIjEEEEEE10hipError_tPvRmT3_T4_T5_T6_T7_T9_mT8_P12ihipStream_tbDpT10_ENKUlT_T0_E_clISt17integral_constantIbLb1EES1B_EEDaS16_S17_EUlS16_E_NS1_11comp_targetILNS1_3genE8ELNS1_11target_archE1030ELNS1_3gpuE2ELNS1_3repE0EEENS1_30default_config_static_selectorELNS0_4arch9wavefront6targetE0EEEvT1_.has_recursion, 0
	.set _ZN7rocprim17ROCPRIM_400000_NS6detail17trampoline_kernelINS0_14default_configENS1_25partition_config_selectorILNS1_17partition_subalgoE6EjNS0_10empty_typeEbEEZZNS1_14partition_implILS5_6ELb0ES3_mN6thrust23THRUST_200600_302600_NS6detail15normal_iteratorINSA_10device_ptrIjEEEEPS6_SG_NS0_5tupleIJNSA_16discard_iteratorINSA_11use_defaultEEES6_EEENSH_IJSG_SG_EEES6_PlJNSB_9not_fun_tI7is_trueIjEEEEEE10hipError_tPvRmT3_T4_T5_T6_T7_T9_mT8_P12ihipStream_tbDpT10_ENKUlT_T0_E_clISt17integral_constantIbLb1EES1B_EEDaS16_S17_EUlS16_E_NS1_11comp_targetILNS1_3genE8ELNS1_11target_archE1030ELNS1_3gpuE2ELNS1_3repE0EEENS1_30default_config_static_selectorELNS0_4arch9wavefront6targetE0EEEvT1_.has_indirect_call, 0
	.section	.AMDGPU.csdata,"",@progbits
; Kernel info:
; codeLenInByte = 0
; TotalNumSgprs: 0
; NumVgprs: 0
; ScratchSize: 0
; MemoryBound: 0
; FloatMode: 240
; IeeeMode: 1
; LDSByteSize: 0 bytes/workgroup (compile time only)
; SGPRBlocks: 0
; VGPRBlocks: 0
; NumSGPRsForWavesPerEU: 1
; NumVGPRsForWavesPerEU: 1
; Occupancy: 16
; WaveLimiterHint : 0
; COMPUTE_PGM_RSRC2:SCRATCH_EN: 0
; COMPUTE_PGM_RSRC2:USER_SGPR: 2
; COMPUTE_PGM_RSRC2:TRAP_HANDLER: 0
; COMPUTE_PGM_RSRC2:TGID_X_EN: 1
; COMPUTE_PGM_RSRC2:TGID_Y_EN: 0
; COMPUTE_PGM_RSRC2:TGID_Z_EN: 0
; COMPUTE_PGM_RSRC2:TIDIG_COMP_CNT: 0
	.section	.text._ZN7rocprim17ROCPRIM_400000_NS6detail17trampoline_kernelINS0_14default_configENS1_25partition_config_selectorILNS1_17partition_subalgoE6EjNS0_10empty_typeEbEEZZNS1_14partition_implILS5_6ELb0ES3_mN6thrust23THRUST_200600_302600_NS6detail15normal_iteratorINSA_10device_ptrIjEEEEPS6_SG_NS0_5tupleIJNSA_16discard_iteratorINSA_11use_defaultEEES6_EEENSH_IJSG_SG_EEES6_PlJNSB_9not_fun_tI7is_trueIjEEEEEE10hipError_tPvRmT3_T4_T5_T6_T7_T9_mT8_P12ihipStream_tbDpT10_ENKUlT_T0_E_clISt17integral_constantIbLb1EES1A_IbLb0EEEEDaS16_S17_EUlS16_E_NS1_11comp_targetILNS1_3genE0ELNS1_11target_archE4294967295ELNS1_3gpuE0ELNS1_3repE0EEENS1_30default_config_static_selectorELNS0_4arch9wavefront6targetE0EEEvT1_,"axG",@progbits,_ZN7rocprim17ROCPRIM_400000_NS6detail17trampoline_kernelINS0_14default_configENS1_25partition_config_selectorILNS1_17partition_subalgoE6EjNS0_10empty_typeEbEEZZNS1_14partition_implILS5_6ELb0ES3_mN6thrust23THRUST_200600_302600_NS6detail15normal_iteratorINSA_10device_ptrIjEEEEPS6_SG_NS0_5tupleIJNSA_16discard_iteratorINSA_11use_defaultEEES6_EEENSH_IJSG_SG_EEES6_PlJNSB_9not_fun_tI7is_trueIjEEEEEE10hipError_tPvRmT3_T4_T5_T6_T7_T9_mT8_P12ihipStream_tbDpT10_ENKUlT_T0_E_clISt17integral_constantIbLb1EES1A_IbLb0EEEEDaS16_S17_EUlS16_E_NS1_11comp_targetILNS1_3genE0ELNS1_11target_archE4294967295ELNS1_3gpuE0ELNS1_3repE0EEENS1_30default_config_static_selectorELNS0_4arch9wavefront6targetE0EEEvT1_,comdat
	.protected	_ZN7rocprim17ROCPRIM_400000_NS6detail17trampoline_kernelINS0_14default_configENS1_25partition_config_selectorILNS1_17partition_subalgoE6EjNS0_10empty_typeEbEEZZNS1_14partition_implILS5_6ELb0ES3_mN6thrust23THRUST_200600_302600_NS6detail15normal_iteratorINSA_10device_ptrIjEEEEPS6_SG_NS0_5tupleIJNSA_16discard_iteratorINSA_11use_defaultEEES6_EEENSH_IJSG_SG_EEES6_PlJNSB_9not_fun_tI7is_trueIjEEEEEE10hipError_tPvRmT3_T4_T5_T6_T7_T9_mT8_P12ihipStream_tbDpT10_ENKUlT_T0_E_clISt17integral_constantIbLb1EES1A_IbLb0EEEEDaS16_S17_EUlS16_E_NS1_11comp_targetILNS1_3genE0ELNS1_11target_archE4294967295ELNS1_3gpuE0ELNS1_3repE0EEENS1_30default_config_static_selectorELNS0_4arch9wavefront6targetE0EEEvT1_ ; -- Begin function _ZN7rocprim17ROCPRIM_400000_NS6detail17trampoline_kernelINS0_14default_configENS1_25partition_config_selectorILNS1_17partition_subalgoE6EjNS0_10empty_typeEbEEZZNS1_14partition_implILS5_6ELb0ES3_mN6thrust23THRUST_200600_302600_NS6detail15normal_iteratorINSA_10device_ptrIjEEEEPS6_SG_NS0_5tupleIJNSA_16discard_iteratorINSA_11use_defaultEEES6_EEENSH_IJSG_SG_EEES6_PlJNSB_9not_fun_tI7is_trueIjEEEEEE10hipError_tPvRmT3_T4_T5_T6_T7_T9_mT8_P12ihipStream_tbDpT10_ENKUlT_T0_E_clISt17integral_constantIbLb1EES1A_IbLb0EEEEDaS16_S17_EUlS16_E_NS1_11comp_targetILNS1_3genE0ELNS1_11target_archE4294967295ELNS1_3gpuE0ELNS1_3repE0EEENS1_30default_config_static_selectorELNS0_4arch9wavefront6targetE0EEEvT1_
	.globl	_ZN7rocprim17ROCPRIM_400000_NS6detail17trampoline_kernelINS0_14default_configENS1_25partition_config_selectorILNS1_17partition_subalgoE6EjNS0_10empty_typeEbEEZZNS1_14partition_implILS5_6ELb0ES3_mN6thrust23THRUST_200600_302600_NS6detail15normal_iteratorINSA_10device_ptrIjEEEEPS6_SG_NS0_5tupleIJNSA_16discard_iteratorINSA_11use_defaultEEES6_EEENSH_IJSG_SG_EEES6_PlJNSB_9not_fun_tI7is_trueIjEEEEEE10hipError_tPvRmT3_T4_T5_T6_T7_T9_mT8_P12ihipStream_tbDpT10_ENKUlT_T0_E_clISt17integral_constantIbLb1EES1A_IbLb0EEEEDaS16_S17_EUlS16_E_NS1_11comp_targetILNS1_3genE0ELNS1_11target_archE4294967295ELNS1_3gpuE0ELNS1_3repE0EEENS1_30default_config_static_selectorELNS0_4arch9wavefront6targetE0EEEvT1_
	.p2align	8
	.type	_ZN7rocprim17ROCPRIM_400000_NS6detail17trampoline_kernelINS0_14default_configENS1_25partition_config_selectorILNS1_17partition_subalgoE6EjNS0_10empty_typeEbEEZZNS1_14partition_implILS5_6ELb0ES3_mN6thrust23THRUST_200600_302600_NS6detail15normal_iteratorINSA_10device_ptrIjEEEEPS6_SG_NS0_5tupleIJNSA_16discard_iteratorINSA_11use_defaultEEES6_EEENSH_IJSG_SG_EEES6_PlJNSB_9not_fun_tI7is_trueIjEEEEEE10hipError_tPvRmT3_T4_T5_T6_T7_T9_mT8_P12ihipStream_tbDpT10_ENKUlT_T0_E_clISt17integral_constantIbLb1EES1A_IbLb0EEEEDaS16_S17_EUlS16_E_NS1_11comp_targetILNS1_3genE0ELNS1_11target_archE4294967295ELNS1_3gpuE0ELNS1_3repE0EEENS1_30default_config_static_selectorELNS0_4arch9wavefront6targetE0EEEvT1_,@function
_ZN7rocprim17ROCPRIM_400000_NS6detail17trampoline_kernelINS0_14default_configENS1_25partition_config_selectorILNS1_17partition_subalgoE6EjNS0_10empty_typeEbEEZZNS1_14partition_implILS5_6ELb0ES3_mN6thrust23THRUST_200600_302600_NS6detail15normal_iteratorINSA_10device_ptrIjEEEEPS6_SG_NS0_5tupleIJNSA_16discard_iteratorINSA_11use_defaultEEES6_EEENSH_IJSG_SG_EEES6_PlJNSB_9not_fun_tI7is_trueIjEEEEEE10hipError_tPvRmT3_T4_T5_T6_T7_T9_mT8_P12ihipStream_tbDpT10_ENKUlT_T0_E_clISt17integral_constantIbLb1EES1A_IbLb0EEEEDaS16_S17_EUlS16_E_NS1_11comp_targetILNS1_3genE0ELNS1_11target_archE4294967295ELNS1_3gpuE0ELNS1_3repE0EEENS1_30default_config_static_selectorELNS0_4arch9wavefront6targetE0EEEvT1_: ; @_ZN7rocprim17ROCPRIM_400000_NS6detail17trampoline_kernelINS0_14default_configENS1_25partition_config_selectorILNS1_17partition_subalgoE6EjNS0_10empty_typeEbEEZZNS1_14partition_implILS5_6ELb0ES3_mN6thrust23THRUST_200600_302600_NS6detail15normal_iteratorINSA_10device_ptrIjEEEEPS6_SG_NS0_5tupleIJNSA_16discard_iteratorINSA_11use_defaultEEES6_EEENSH_IJSG_SG_EEES6_PlJNSB_9not_fun_tI7is_trueIjEEEEEE10hipError_tPvRmT3_T4_T5_T6_T7_T9_mT8_P12ihipStream_tbDpT10_ENKUlT_T0_E_clISt17integral_constantIbLb1EES1A_IbLb0EEEEDaS16_S17_EUlS16_E_NS1_11comp_targetILNS1_3genE0ELNS1_11target_archE4294967295ELNS1_3gpuE0ELNS1_3repE0EEENS1_30default_config_static_selectorELNS0_4arch9wavefront6targetE0EEEvT1_
; %bb.0:
	.section	.rodata,"a",@progbits
	.p2align	6, 0x0
	.amdhsa_kernel _ZN7rocprim17ROCPRIM_400000_NS6detail17trampoline_kernelINS0_14default_configENS1_25partition_config_selectorILNS1_17partition_subalgoE6EjNS0_10empty_typeEbEEZZNS1_14partition_implILS5_6ELb0ES3_mN6thrust23THRUST_200600_302600_NS6detail15normal_iteratorINSA_10device_ptrIjEEEEPS6_SG_NS0_5tupleIJNSA_16discard_iteratorINSA_11use_defaultEEES6_EEENSH_IJSG_SG_EEES6_PlJNSB_9not_fun_tI7is_trueIjEEEEEE10hipError_tPvRmT3_T4_T5_T6_T7_T9_mT8_P12ihipStream_tbDpT10_ENKUlT_T0_E_clISt17integral_constantIbLb1EES1A_IbLb0EEEEDaS16_S17_EUlS16_E_NS1_11comp_targetILNS1_3genE0ELNS1_11target_archE4294967295ELNS1_3gpuE0ELNS1_3repE0EEENS1_30default_config_static_selectorELNS0_4arch9wavefront6targetE0EEEvT1_
		.amdhsa_group_segment_fixed_size 0
		.amdhsa_private_segment_fixed_size 0
		.amdhsa_kernarg_size 120
		.amdhsa_user_sgpr_count 2
		.amdhsa_user_sgpr_dispatch_ptr 0
		.amdhsa_user_sgpr_queue_ptr 0
		.amdhsa_user_sgpr_kernarg_segment_ptr 1
		.amdhsa_user_sgpr_dispatch_id 0
		.amdhsa_user_sgpr_private_segment_size 0
		.amdhsa_wavefront_size32 1
		.amdhsa_uses_dynamic_stack 0
		.amdhsa_enable_private_segment 0
		.amdhsa_system_sgpr_workgroup_id_x 1
		.amdhsa_system_sgpr_workgroup_id_y 0
		.amdhsa_system_sgpr_workgroup_id_z 0
		.amdhsa_system_sgpr_workgroup_info 0
		.amdhsa_system_vgpr_workitem_id 0
		.amdhsa_next_free_vgpr 1
		.amdhsa_next_free_sgpr 1
		.amdhsa_reserve_vcc 0
		.amdhsa_float_round_mode_32 0
		.amdhsa_float_round_mode_16_64 0
		.amdhsa_float_denorm_mode_32 3
		.amdhsa_float_denorm_mode_16_64 3
		.amdhsa_fp16_overflow 0
		.amdhsa_workgroup_processor_mode 1
		.amdhsa_memory_ordered 1
		.amdhsa_forward_progress 1
		.amdhsa_inst_pref_size 0
		.amdhsa_round_robin_scheduling 0
		.amdhsa_exception_fp_ieee_invalid_op 0
		.amdhsa_exception_fp_denorm_src 0
		.amdhsa_exception_fp_ieee_div_zero 0
		.amdhsa_exception_fp_ieee_overflow 0
		.amdhsa_exception_fp_ieee_underflow 0
		.amdhsa_exception_fp_ieee_inexact 0
		.amdhsa_exception_int_div_zero 0
	.end_amdhsa_kernel
	.section	.text._ZN7rocprim17ROCPRIM_400000_NS6detail17trampoline_kernelINS0_14default_configENS1_25partition_config_selectorILNS1_17partition_subalgoE6EjNS0_10empty_typeEbEEZZNS1_14partition_implILS5_6ELb0ES3_mN6thrust23THRUST_200600_302600_NS6detail15normal_iteratorINSA_10device_ptrIjEEEEPS6_SG_NS0_5tupleIJNSA_16discard_iteratorINSA_11use_defaultEEES6_EEENSH_IJSG_SG_EEES6_PlJNSB_9not_fun_tI7is_trueIjEEEEEE10hipError_tPvRmT3_T4_T5_T6_T7_T9_mT8_P12ihipStream_tbDpT10_ENKUlT_T0_E_clISt17integral_constantIbLb1EES1A_IbLb0EEEEDaS16_S17_EUlS16_E_NS1_11comp_targetILNS1_3genE0ELNS1_11target_archE4294967295ELNS1_3gpuE0ELNS1_3repE0EEENS1_30default_config_static_selectorELNS0_4arch9wavefront6targetE0EEEvT1_,"axG",@progbits,_ZN7rocprim17ROCPRIM_400000_NS6detail17trampoline_kernelINS0_14default_configENS1_25partition_config_selectorILNS1_17partition_subalgoE6EjNS0_10empty_typeEbEEZZNS1_14partition_implILS5_6ELb0ES3_mN6thrust23THRUST_200600_302600_NS6detail15normal_iteratorINSA_10device_ptrIjEEEEPS6_SG_NS0_5tupleIJNSA_16discard_iteratorINSA_11use_defaultEEES6_EEENSH_IJSG_SG_EEES6_PlJNSB_9not_fun_tI7is_trueIjEEEEEE10hipError_tPvRmT3_T4_T5_T6_T7_T9_mT8_P12ihipStream_tbDpT10_ENKUlT_T0_E_clISt17integral_constantIbLb1EES1A_IbLb0EEEEDaS16_S17_EUlS16_E_NS1_11comp_targetILNS1_3genE0ELNS1_11target_archE4294967295ELNS1_3gpuE0ELNS1_3repE0EEENS1_30default_config_static_selectorELNS0_4arch9wavefront6targetE0EEEvT1_,comdat
.Lfunc_end2189:
	.size	_ZN7rocprim17ROCPRIM_400000_NS6detail17trampoline_kernelINS0_14default_configENS1_25partition_config_selectorILNS1_17partition_subalgoE6EjNS0_10empty_typeEbEEZZNS1_14partition_implILS5_6ELb0ES3_mN6thrust23THRUST_200600_302600_NS6detail15normal_iteratorINSA_10device_ptrIjEEEEPS6_SG_NS0_5tupleIJNSA_16discard_iteratorINSA_11use_defaultEEES6_EEENSH_IJSG_SG_EEES6_PlJNSB_9not_fun_tI7is_trueIjEEEEEE10hipError_tPvRmT3_T4_T5_T6_T7_T9_mT8_P12ihipStream_tbDpT10_ENKUlT_T0_E_clISt17integral_constantIbLb1EES1A_IbLb0EEEEDaS16_S17_EUlS16_E_NS1_11comp_targetILNS1_3genE0ELNS1_11target_archE4294967295ELNS1_3gpuE0ELNS1_3repE0EEENS1_30default_config_static_selectorELNS0_4arch9wavefront6targetE0EEEvT1_, .Lfunc_end2189-_ZN7rocprim17ROCPRIM_400000_NS6detail17trampoline_kernelINS0_14default_configENS1_25partition_config_selectorILNS1_17partition_subalgoE6EjNS0_10empty_typeEbEEZZNS1_14partition_implILS5_6ELb0ES3_mN6thrust23THRUST_200600_302600_NS6detail15normal_iteratorINSA_10device_ptrIjEEEEPS6_SG_NS0_5tupleIJNSA_16discard_iteratorINSA_11use_defaultEEES6_EEENSH_IJSG_SG_EEES6_PlJNSB_9not_fun_tI7is_trueIjEEEEEE10hipError_tPvRmT3_T4_T5_T6_T7_T9_mT8_P12ihipStream_tbDpT10_ENKUlT_T0_E_clISt17integral_constantIbLb1EES1A_IbLb0EEEEDaS16_S17_EUlS16_E_NS1_11comp_targetILNS1_3genE0ELNS1_11target_archE4294967295ELNS1_3gpuE0ELNS1_3repE0EEENS1_30default_config_static_selectorELNS0_4arch9wavefront6targetE0EEEvT1_
                                        ; -- End function
	.set _ZN7rocprim17ROCPRIM_400000_NS6detail17trampoline_kernelINS0_14default_configENS1_25partition_config_selectorILNS1_17partition_subalgoE6EjNS0_10empty_typeEbEEZZNS1_14partition_implILS5_6ELb0ES3_mN6thrust23THRUST_200600_302600_NS6detail15normal_iteratorINSA_10device_ptrIjEEEEPS6_SG_NS0_5tupleIJNSA_16discard_iteratorINSA_11use_defaultEEES6_EEENSH_IJSG_SG_EEES6_PlJNSB_9not_fun_tI7is_trueIjEEEEEE10hipError_tPvRmT3_T4_T5_T6_T7_T9_mT8_P12ihipStream_tbDpT10_ENKUlT_T0_E_clISt17integral_constantIbLb1EES1A_IbLb0EEEEDaS16_S17_EUlS16_E_NS1_11comp_targetILNS1_3genE0ELNS1_11target_archE4294967295ELNS1_3gpuE0ELNS1_3repE0EEENS1_30default_config_static_selectorELNS0_4arch9wavefront6targetE0EEEvT1_.num_vgpr, 0
	.set _ZN7rocprim17ROCPRIM_400000_NS6detail17trampoline_kernelINS0_14default_configENS1_25partition_config_selectorILNS1_17partition_subalgoE6EjNS0_10empty_typeEbEEZZNS1_14partition_implILS5_6ELb0ES3_mN6thrust23THRUST_200600_302600_NS6detail15normal_iteratorINSA_10device_ptrIjEEEEPS6_SG_NS0_5tupleIJNSA_16discard_iteratorINSA_11use_defaultEEES6_EEENSH_IJSG_SG_EEES6_PlJNSB_9not_fun_tI7is_trueIjEEEEEE10hipError_tPvRmT3_T4_T5_T6_T7_T9_mT8_P12ihipStream_tbDpT10_ENKUlT_T0_E_clISt17integral_constantIbLb1EES1A_IbLb0EEEEDaS16_S17_EUlS16_E_NS1_11comp_targetILNS1_3genE0ELNS1_11target_archE4294967295ELNS1_3gpuE0ELNS1_3repE0EEENS1_30default_config_static_selectorELNS0_4arch9wavefront6targetE0EEEvT1_.num_agpr, 0
	.set _ZN7rocprim17ROCPRIM_400000_NS6detail17trampoline_kernelINS0_14default_configENS1_25partition_config_selectorILNS1_17partition_subalgoE6EjNS0_10empty_typeEbEEZZNS1_14partition_implILS5_6ELb0ES3_mN6thrust23THRUST_200600_302600_NS6detail15normal_iteratorINSA_10device_ptrIjEEEEPS6_SG_NS0_5tupleIJNSA_16discard_iteratorINSA_11use_defaultEEES6_EEENSH_IJSG_SG_EEES6_PlJNSB_9not_fun_tI7is_trueIjEEEEEE10hipError_tPvRmT3_T4_T5_T6_T7_T9_mT8_P12ihipStream_tbDpT10_ENKUlT_T0_E_clISt17integral_constantIbLb1EES1A_IbLb0EEEEDaS16_S17_EUlS16_E_NS1_11comp_targetILNS1_3genE0ELNS1_11target_archE4294967295ELNS1_3gpuE0ELNS1_3repE0EEENS1_30default_config_static_selectorELNS0_4arch9wavefront6targetE0EEEvT1_.numbered_sgpr, 0
	.set _ZN7rocprim17ROCPRIM_400000_NS6detail17trampoline_kernelINS0_14default_configENS1_25partition_config_selectorILNS1_17partition_subalgoE6EjNS0_10empty_typeEbEEZZNS1_14partition_implILS5_6ELb0ES3_mN6thrust23THRUST_200600_302600_NS6detail15normal_iteratorINSA_10device_ptrIjEEEEPS6_SG_NS0_5tupleIJNSA_16discard_iteratorINSA_11use_defaultEEES6_EEENSH_IJSG_SG_EEES6_PlJNSB_9not_fun_tI7is_trueIjEEEEEE10hipError_tPvRmT3_T4_T5_T6_T7_T9_mT8_P12ihipStream_tbDpT10_ENKUlT_T0_E_clISt17integral_constantIbLb1EES1A_IbLb0EEEEDaS16_S17_EUlS16_E_NS1_11comp_targetILNS1_3genE0ELNS1_11target_archE4294967295ELNS1_3gpuE0ELNS1_3repE0EEENS1_30default_config_static_selectorELNS0_4arch9wavefront6targetE0EEEvT1_.num_named_barrier, 0
	.set _ZN7rocprim17ROCPRIM_400000_NS6detail17trampoline_kernelINS0_14default_configENS1_25partition_config_selectorILNS1_17partition_subalgoE6EjNS0_10empty_typeEbEEZZNS1_14partition_implILS5_6ELb0ES3_mN6thrust23THRUST_200600_302600_NS6detail15normal_iteratorINSA_10device_ptrIjEEEEPS6_SG_NS0_5tupleIJNSA_16discard_iteratorINSA_11use_defaultEEES6_EEENSH_IJSG_SG_EEES6_PlJNSB_9not_fun_tI7is_trueIjEEEEEE10hipError_tPvRmT3_T4_T5_T6_T7_T9_mT8_P12ihipStream_tbDpT10_ENKUlT_T0_E_clISt17integral_constantIbLb1EES1A_IbLb0EEEEDaS16_S17_EUlS16_E_NS1_11comp_targetILNS1_3genE0ELNS1_11target_archE4294967295ELNS1_3gpuE0ELNS1_3repE0EEENS1_30default_config_static_selectorELNS0_4arch9wavefront6targetE0EEEvT1_.private_seg_size, 0
	.set _ZN7rocprim17ROCPRIM_400000_NS6detail17trampoline_kernelINS0_14default_configENS1_25partition_config_selectorILNS1_17partition_subalgoE6EjNS0_10empty_typeEbEEZZNS1_14partition_implILS5_6ELb0ES3_mN6thrust23THRUST_200600_302600_NS6detail15normal_iteratorINSA_10device_ptrIjEEEEPS6_SG_NS0_5tupleIJNSA_16discard_iteratorINSA_11use_defaultEEES6_EEENSH_IJSG_SG_EEES6_PlJNSB_9not_fun_tI7is_trueIjEEEEEE10hipError_tPvRmT3_T4_T5_T6_T7_T9_mT8_P12ihipStream_tbDpT10_ENKUlT_T0_E_clISt17integral_constantIbLb1EES1A_IbLb0EEEEDaS16_S17_EUlS16_E_NS1_11comp_targetILNS1_3genE0ELNS1_11target_archE4294967295ELNS1_3gpuE0ELNS1_3repE0EEENS1_30default_config_static_selectorELNS0_4arch9wavefront6targetE0EEEvT1_.uses_vcc, 0
	.set _ZN7rocprim17ROCPRIM_400000_NS6detail17trampoline_kernelINS0_14default_configENS1_25partition_config_selectorILNS1_17partition_subalgoE6EjNS0_10empty_typeEbEEZZNS1_14partition_implILS5_6ELb0ES3_mN6thrust23THRUST_200600_302600_NS6detail15normal_iteratorINSA_10device_ptrIjEEEEPS6_SG_NS0_5tupleIJNSA_16discard_iteratorINSA_11use_defaultEEES6_EEENSH_IJSG_SG_EEES6_PlJNSB_9not_fun_tI7is_trueIjEEEEEE10hipError_tPvRmT3_T4_T5_T6_T7_T9_mT8_P12ihipStream_tbDpT10_ENKUlT_T0_E_clISt17integral_constantIbLb1EES1A_IbLb0EEEEDaS16_S17_EUlS16_E_NS1_11comp_targetILNS1_3genE0ELNS1_11target_archE4294967295ELNS1_3gpuE0ELNS1_3repE0EEENS1_30default_config_static_selectorELNS0_4arch9wavefront6targetE0EEEvT1_.uses_flat_scratch, 0
	.set _ZN7rocprim17ROCPRIM_400000_NS6detail17trampoline_kernelINS0_14default_configENS1_25partition_config_selectorILNS1_17partition_subalgoE6EjNS0_10empty_typeEbEEZZNS1_14partition_implILS5_6ELb0ES3_mN6thrust23THRUST_200600_302600_NS6detail15normal_iteratorINSA_10device_ptrIjEEEEPS6_SG_NS0_5tupleIJNSA_16discard_iteratorINSA_11use_defaultEEES6_EEENSH_IJSG_SG_EEES6_PlJNSB_9not_fun_tI7is_trueIjEEEEEE10hipError_tPvRmT3_T4_T5_T6_T7_T9_mT8_P12ihipStream_tbDpT10_ENKUlT_T0_E_clISt17integral_constantIbLb1EES1A_IbLb0EEEEDaS16_S17_EUlS16_E_NS1_11comp_targetILNS1_3genE0ELNS1_11target_archE4294967295ELNS1_3gpuE0ELNS1_3repE0EEENS1_30default_config_static_selectorELNS0_4arch9wavefront6targetE0EEEvT1_.has_dyn_sized_stack, 0
	.set _ZN7rocprim17ROCPRIM_400000_NS6detail17trampoline_kernelINS0_14default_configENS1_25partition_config_selectorILNS1_17partition_subalgoE6EjNS0_10empty_typeEbEEZZNS1_14partition_implILS5_6ELb0ES3_mN6thrust23THRUST_200600_302600_NS6detail15normal_iteratorINSA_10device_ptrIjEEEEPS6_SG_NS0_5tupleIJNSA_16discard_iteratorINSA_11use_defaultEEES6_EEENSH_IJSG_SG_EEES6_PlJNSB_9not_fun_tI7is_trueIjEEEEEE10hipError_tPvRmT3_T4_T5_T6_T7_T9_mT8_P12ihipStream_tbDpT10_ENKUlT_T0_E_clISt17integral_constantIbLb1EES1A_IbLb0EEEEDaS16_S17_EUlS16_E_NS1_11comp_targetILNS1_3genE0ELNS1_11target_archE4294967295ELNS1_3gpuE0ELNS1_3repE0EEENS1_30default_config_static_selectorELNS0_4arch9wavefront6targetE0EEEvT1_.has_recursion, 0
	.set _ZN7rocprim17ROCPRIM_400000_NS6detail17trampoline_kernelINS0_14default_configENS1_25partition_config_selectorILNS1_17partition_subalgoE6EjNS0_10empty_typeEbEEZZNS1_14partition_implILS5_6ELb0ES3_mN6thrust23THRUST_200600_302600_NS6detail15normal_iteratorINSA_10device_ptrIjEEEEPS6_SG_NS0_5tupleIJNSA_16discard_iteratorINSA_11use_defaultEEES6_EEENSH_IJSG_SG_EEES6_PlJNSB_9not_fun_tI7is_trueIjEEEEEE10hipError_tPvRmT3_T4_T5_T6_T7_T9_mT8_P12ihipStream_tbDpT10_ENKUlT_T0_E_clISt17integral_constantIbLb1EES1A_IbLb0EEEEDaS16_S17_EUlS16_E_NS1_11comp_targetILNS1_3genE0ELNS1_11target_archE4294967295ELNS1_3gpuE0ELNS1_3repE0EEENS1_30default_config_static_selectorELNS0_4arch9wavefront6targetE0EEEvT1_.has_indirect_call, 0
	.section	.AMDGPU.csdata,"",@progbits
; Kernel info:
; codeLenInByte = 0
; TotalNumSgprs: 0
; NumVgprs: 0
; ScratchSize: 0
; MemoryBound: 0
; FloatMode: 240
; IeeeMode: 1
; LDSByteSize: 0 bytes/workgroup (compile time only)
; SGPRBlocks: 0
; VGPRBlocks: 0
; NumSGPRsForWavesPerEU: 1
; NumVGPRsForWavesPerEU: 1
; Occupancy: 16
; WaveLimiterHint : 0
; COMPUTE_PGM_RSRC2:SCRATCH_EN: 0
; COMPUTE_PGM_RSRC2:USER_SGPR: 2
; COMPUTE_PGM_RSRC2:TRAP_HANDLER: 0
; COMPUTE_PGM_RSRC2:TGID_X_EN: 1
; COMPUTE_PGM_RSRC2:TGID_Y_EN: 0
; COMPUTE_PGM_RSRC2:TGID_Z_EN: 0
; COMPUTE_PGM_RSRC2:TIDIG_COMP_CNT: 0
	.section	.text._ZN7rocprim17ROCPRIM_400000_NS6detail17trampoline_kernelINS0_14default_configENS1_25partition_config_selectorILNS1_17partition_subalgoE6EjNS0_10empty_typeEbEEZZNS1_14partition_implILS5_6ELb0ES3_mN6thrust23THRUST_200600_302600_NS6detail15normal_iteratorINSA_10device_ptrIjEEEEPS6_SG_NS0_5tupleIJNSA_16discard_iteratorINSA_11use_defaultEEES6_EEENSH_IJSG_SG_EEES6_PlJNSB_9not_fun_tI7is_trueIjEEEEEE10hipError_tPvRmT3_T4_T5_T6_T7_T9_mT8_P12ihipStream_tbDpT10_ENKUlT_T0_E_clISt17integral_constantIbLb1EES1A_IbLb0EEEEDaS16_S17_EUlS16_E_NS1_11comp_targetILNS1_3genE5ELNS1_11target_archE942ELNS1_3gpuE9ELNS1_3repE0EEENS1_30default_config_static_selectorELNS0_4arch9wavefront6targetE0EEEvT1_,"axG",@progbits,_ZN7rocprim17ROCPRIM_400000_NS6detail17trampoline_kernelINS0_14default_configENS1_25partition_config_selectorILNS1_17partition_subalgoE6EjNS0_10empty_typeEbEEZZNS1_14partition_implILS5_6ELb0ES3_mN6thrust23THRUST_200600_302600_NS6detail15normal_iteratorINSA_10device_ptrIjEEEEPS6_SG_NS0_5tupleIJNSA_16discard_iteratorINSA_11use_defaultEEES6_EEENSH_IJSG_SG_EEES6_PlJNSB_9not_fun_tI7is_trueIjEEEEEE10hipError_tPvRmT3_T4_T5_T6_T7_T9_mT8_P12ihipStream_tbDpT10_ENKUlT_T0_E_clISt17integral_constantIbLb1EES1A_IbLb0EEEEDaS16_S17_EUlS16_E_NS1_11comp_targetILNS1_3genE5ELNS1_11target_archE942ELNS1_3gpuE9ELNS1_3repE0EEENS1_30default_config_static_selectorELNS0_4arch9wavefront6targetE0EEEvT1_,comdat
	.protected	_ZN7rocprim17ROCPRIM_400000_NS6detail17trampoline_kernelINS0_14default_configENS1_25partition_config_selectorILNS1_17partition_subalgoE6EjNS0_10empty_typeEbEEZZNS1_14partition_implILS5_6ELb0ES3_mN6thrust23THRUST_200600_302600_NS6detail15normal_iteratorINSA_10device_ptrIjEEEEPS6_SG_NS0_5tupleIJNSA_16discard_iteratorINSA_11use_defaultEEES6_EEENSH_IJSG_SG_EEES6_PlJNSB_9not_fun_tI7is_trueIjEEEEEE10hipError_tPvRmT3_T4_T5_T6_T7_T9_mT8_P12ihipStream_tbDpT10_ENKUlT_T0_E_clISt17integral_constantIbLb1EES1A_IbLb0EEEEDaS16_S17_EUlS16_E_NS1_11comp_targetILNS1_3genE5ELNS1_11target_archE942ELNS1_3gpuE9ELNS1_3repE0EEENS1_30default_config_static_selectorELNS0_4arch9wavefront6targetE0EEEvT1_ ; -- Begin function _ZN7rocprim17ROCPRIM_400000_NS6detail17trampoline_kernelINS0_14default_configENS1_25partition_config_selectorILNS1_17partition_subalgoE6EjNS0_10empty_typeEbEEZZNS1_14partition_implILS5_6ELb0ES3_mN6thrust23THRUST_200600_302600_NS6detail15normal_iteratorINSA_10device_ptrIjEEEEPS6_SG_NS0_5tupleIJNSA_16discard_iteratorINSA_11use_defaultEEES6_EEENSH_IJSG_SG_EEES6_PlJNSB_9not_fun_tI7is_trueIjEEEEEE10hipError_tPvRmT3_T4_T5_T6_T7_T9_mT8_P12ihipStream_tbDpT10_ENKUlT_T0_E_clISt17integral_constantIbLb1EES1A_IbLb0EEEEDaS16_S17_EUlS16_E_NS1_11comp_targetILNS1_3genE5ELNS1_11target_archE942ELNS1_3gpuE9ELNS1_3repE0EEENS1_30default_config_static_selectorELNS0_4arch9wavefront6targetE0EEEvT1_
	.globl	_ZN7rocprim17ROCPRIM_400000_NS6detail17trampoline_kernelINS0_14default_configENS1_25partition_config_selectorILNS1_17partition_subalgoE6EjNS0_10empty_typeEbEEZZNS1_14partition_implILS5_6ELb0ES3_mN6thrust23THRUST_200600_302600_NS6detail15normal_iteratorINSA_10device_ptrIjEEEEPS6_SG_NS0_5tupleIJNSA_16discard_iteratorINSA_11use_defaultEEES6_EEENSH_IJSG_SG_EEES6_PlJNSB_9not_fun_tI7is_trueIjEEEEEE10hipError_tPvRmT3_T4_T5_T6_T7_T9_mT8_P12ihipStream_tbDpT10_ENKUlT_T0_E_clISt17integral_constantIbLb1EES1A_IbLb0EEEEDaS16_S17_EUlS16_E_NS1_11comp_targetILNS1_3genE5ELNS1_11target_archE942ELNS1_3gpuE9ELNS1_3repE0EEENS1_30default_config_static_selectorELNS0_4arch9wavefront6targetE0EEEvT1_
	.p2align	8
	.type	_ZN7rocprim17ROCPRIM_400000_NS6detail17trampoline_kernelINS0_14default_configENS1_25partition_config_selectorILNS1_17partition_subalgoE6EjNS0_10empty_typeEbEEZZNS1_14partition_implILS5_6ELb0ES3_mN6thrust23THRUST_200600_302600_NS6detail15normal_iteratorINSA_10device_ptrIjEEEEPS6_SG_NS0_5tupleIJNSA_16discard_iteratorINSA_11use_defaultEEES6_EEENSH_IJSG_SG_EEES6_PlJNSB_9not_fun_tI7is_trueIjEEEEEE10hipError_tPvRmT3_T4_T5_T6_T7_T9_mT8_P12ihipStream_tbDpT10_ENKUlT_T0_E_clISt17integral_constantIbLb1EES1A_IbLb0EEEEDaS16_S17_EUlS16_E_NS1_11comp_targetILNS1_3genE5ELNS1_11target_archE942ELNS1_3gpuE9ELNS1_3repE0EEENS1_30default_config_static_selectorELNS0_4arch9wavefront6targetE0EEEvT1_,@function
_ZN7rocprim17ROCPRIM_400000_NS6detail17trampoline_kernelINS0_14default_configENS1_25partition_config_selectorILNS1_17partition_subalgoE6EjNS0_10empty_typeEbEEZZNS1_14partition_implILS5_6ELb0ES3_mN6thrust23THRUST_200600_302600_NS6detail15normal_iteratorINSA_10device_ptrIjEEEEPS6_SG_NS0_5tupleIJNSA_16discard_iteratorINSA_11use_defaultEEES6_EEENSH_IJSG_SG_EEES6_PlJNSB_9not_fun_tI7is_trueIjEEEEEE10hipError_tPvRmT3_T4_T5_T6_T7_T9_mT8_P12ihipStream_tbDpT10_ENKUlT_T0_E_clISt17integral_constantIbLb1EES1A_IbLb0EEEEDaS16_S17_EUlS16_E_NS1_11comp_targetILNS1_3genE5ELNS1_11target_archE942ELNS1_3gpuE9ELNS1_3repE0EEENS1_30default_config_static_selectorELNS0_4arch9wavefront6targetE0EEEvT1_: ; @_ZN7rocprim17ROCPRIM_400000_NS6detail17trampoline_kernelINS0_14default_configENS1_25partition_config_selectorILNS1_17partition_subalgoE6EjNS0_10empty_typeEbEEZZNS1_14partition_implILS5_6ELb0ES3_mN6thrust23THRUST_200600_302600_NS6detail15normal_iteratorINSA_10device_ptrIjEEEEPS6_SG_NS0_5tupleIJNSA_16discard_iteratorINSA_11use_defaultEEES6_EEENSH_IJSG_SG_EEES6_PlJNSB_9not_fun_tI7is_trueIjEEEEEE10hipError_tPvRmT3_T4_T5_T6_T7_T9_mT8_P12ihipStream_tbDpT10_ENKUlT_T0_E_clISt17integral_constantIbLb1EES1A_IbLb0EEEEDaS16_S17_EUlS16_E_NS1_11comp_targetILNS1_3genE5ELNS1_11target_archE942ELNS1_3gpuE9ELNS1_3repE0EEENS1_30default_config_static_selectorELNS0_4arch9wavefront6targetE0EEEvT1_
; %bb.0:
	.section	.rodata,"a",@progbits
	.p2align	6, 0x0
	.amdhsa_kernel _ZN7rocprim17ROCPRIM_400000_NS6detail17trampoline_kernelINS0_14default_configENS1_25partition_config_selectorILNS1_17partition_subalgoE6EjNS0_10empty_typeEbEEZZNS1_14partition_implILS5_6ELb0ES3_mN6thrust23THRUST_200600_302600_NS6detail15normal_iteratorINSA_10device_ptrIjEEEEPS6_SG_NS0_5tupleIJNSA_16discard_iteratorINSA_11use_defaultEEES6_EEENSH_IJSG_SG_EEES6_PlJNSB_9not_fun_tI7is_trueIjEEEEEE10hipError_tPvRmT3_T4_T5_T6_T7_T9_mT8_P12ihipStream_tbDpT10_ENKUlT_T0_E_clISt17integral_constantIbLb1EES1A_IbLb0EEEEDaS16_S17_EUlS16_E_NS1_11comp_targetILNS1_3genE5ELNS1_11target_archE942ELNS1_3gpuE9ELNS1_3repE0EEENS1_30default_config_static_selectorELNS0_4arch9wavefront6targetE0EEEvT1_
		.amdhsa_group_segment_fixed_size 0
		.amdhsa_private_segment_fixed_size 0
		.amdhsa_kernarg_size 120
		.amdhsa_user_sgpr_count 2
		.amdhsa_user_sgpr_dispatch_ptr 0
		.amdhsa_user_sgpr_queue_ptr 0
		.amdhsa_user_sgpr_kernarg_segment_ptr 1
		.amdhsa_user_sgpr_dispatch_id 0
		.amdhsa_user_sgpr_private_segment_size 0
		.amdhsa_wavefront_size32 1
		.amdhsa_uses_dynamic_stack 0
		.amdhsa_enable_private_segment 0
		.amdhsa_system_sgpr_workgroup_id_x 1
		.amdhsa_system_sgpr_workgroup_id_y 0
		.amdhsa_system_sgpr_workgroup_id_z 0
		.amdhsa_system_sgpr_workgroup_info 0
		.amdhsa_system_vgpr_workitem_id 0
		.amdhsa_next_free_vgpr 1
		.amdhsa_next_free_sgpr 1
		.amdhsa_reserve_vcc 0
		.amdhsa_float_round_mode_32 0
		.amdhsa_float_round_mode_16_64 0
		.amdhsa_float_denorm_mode_32 3
		.amdhsa_float_denorm_mode_16_64 3
		.amdhsa_fp16_overflow 0
		.amdhsa_workgroup_processor_mode 1
		.amdhsa_memory_ordered 1
		.amdhsa_forward_progress 1
		.amdhsa_inst_pref_size 0
		.amdhsa_round_robin_scheduling 0
		.amdhsa_exception_fp_ieee_invalid_op 0
		.amdhsa_exception_fp_denorm_src 0
		.amdhsa_exception_fp_ieee_div_zero 0
		.amdhsa_exception_fp_ieee_overflow 0
		.amdhsa_exception_fp_ieee_underflow 0
		.amdhsa_exception_fp_ieee_inexact 0
		.amdhsa_exception_int_div_zero 0
	.end_amdhsa_kernel
	.section	.text._ZN7rocprim17ROCPRIM_400000_NS6detail17trampoline_kernelINS0_14default_configENS1_25partition_config_selectorILNS1_17partition_subalgoE6EjNS0_10empty_typeEbEEZZNS1_14partition_implILS5_6ELb0ES3_mN6thrust23THRUST_200600_302600_NS6detail15normal_iteratorINSA_10device_ptrIjEEEEPS6_SG_NS0_5tupleIJNSA_16discard_iteratorINSA_11use_defaultEEES6_EEENSH_IJSG_SG_EEES6_PlJNSB_9not_fun_tI7is_trueIjEEEEEE10hipError_tPvRmT3_T4_T5_T6_T7_T9_mT8_P12ihipStream_tbDpT10_ENKUlT_T0_E_clISt17integral_constantIbLb1EES1A_IbLb0EEEEDaS16_S17_EUlS16_E_NS1_11comp_targetILNS1_3genE5ELNS1_11target_archE942ELNS1_3gpuE9ELNS1_3repE0EEENS1_30default_config_static_selectorELNS0_4arch9wavefront6targetE0EEEvT1_,"axG",@progbits,_ZN7rocprim17ROCPRIM_400000_NS6detail17trampoline_kernelINS0_14default_configENS1_25partition_config_selectorILNS1_17partition_subalgoE6EjNS0_10empty_typeEbEEZZNS1_14partition_implILS5_6ELb0ES3_mN6thrust23THRUST_200600_302600_NS6detail15normal_iteratorINSA_10device_ptrIjEEEEPS6_SG_NS0_5tupleIJNSA_16discard_iteratorINSA_11use_defaultEEES6_EEENSH_IJSG_SG_EEES6_PlJNSB_9not_fun_tI7is_trueIjEEEEEE10hipError_tPvRmT3_T4_T5_T6_T7_T9_mT8_P12ihipStream_tbDpT10_ENKUlT_T0_E_clISt17integral_constantIbLb1EES1A_IbLb0EEEEDaS16_S17_EUlS16_E_NS1_11comp_targetILNS1_3genE5ELNS1_11target_archE942ELNS1_3gpuE9ELNS1_3repE0EEENS1_30default_config_static_selectorELNS0_4arch9wavefront6targetE0EEEvT1_,comdat
.Lfunc_end2190:
	.size	_ZN7rocprim17ROCPRIM_400000_NS6detail17trampoline_kernelINS0_14default_configENS1_25partition_config_selectorILNS1_17partition_subalgoE6EjNS0_10empty_typeEbEEZZNS1_14partition_implILS5_6ELb0ES3_mN6thrust23THRUST_200600_302600_NS6detail15normal_iteratorINSA_10device_ptrIjEEEEPS6_SG_NS0_5tupleIJNSA_16discard_iteratorINSA_11use_defaultEEES6_EEENSH_IJSG_SG_EEES6_PlJNSB_9not_fun_tI7is_trueIjEEEEEE10hipError_tPvRmT3_T4_T5_T6_T7_T9_mT8_P12ihipStream_tbDpT10_ENKUlT_T0_E_clISt17integral_constantIbLb1EES1A_IbLb0EEEEDaS16_S17_EUlS16_E_NS1_11comp_targetILNS1_3genE5ELNS1_11target_archE942ELNS1_3gpuE9ELNS1_3repE0EEENS1_30default_config_static_selectorELNS0_4arch9wavefront6targetE0EEEvT1_, .Lfunc_end2190-_ZN7rocprim17ROCPRIM_400000_NS6detail17trampoline_kernelINS0_14default_configENS1_25partition_config_selectorILNS1_17partition_subalgoE6EjNS0_10empty_typeEbEEZZNS1_14partition_implILS5_6ELb0ES3_mN6thrust23THRUST_200600_302600_NS6detail15normal_iteratorINSA_10device_ptrIjEEEEPS6_SG_NS0_5tupleIJNSA_16discard_iteratorINSA_11use_defaultEEES6_EEENSH_IJSG_SG_EEES6_PlJNSB_9not_fun_tI7is_trueIjEEEEEE10hipError_tPvRmT3_T4_T5_T6_T7_T9_mT8_P12ihipStream_tbDpT10_ENKUlT_T0_E_clISt17integral_constantIbLb1EES1A_IbLb0EEEEDaS16_S17_EUlS16_E_NS1_11comp_targetILNS1_3genE5ELNS1_11target_archE942ELNS1_3gpuE9ELNS1_3repE0EEENS1_30default_config_static_selectorELNS0_4arch9wavefront6targetE0EEEvT1_
                                        ; -- End function
	.set _ZN7rocprim17ROCPRIM_400000_NS6detail17trampoline_kernelINS0_14default_configENS1_25partition_config_selectorILNS1_17partition_subalgoE6EjNS0_10empty_typeEbEEZZNS1_14partition_implILS5_6ELb0ES3_mN6thrust23THRUST_200600_302600_NS6detail15normal_iteratorINSA_10device_ptrIjEEEEPS6_SG_NS0_5tupleIJNSA_16discard_iteratorINSA_11use_defaultEEES6_EEENSH_IJSG_SG_EEES6_PlJNSB_9not_fun_tI7is_trueIjEEEEEE10hipError_tPvRmT3_T4_T5_T6_T7_T9_mT8_P12ihipStream_tbDpT10_ENKUlT_T0_E_clISt17integral_constantIbLb1EES1A_IbLb0EEEEDaS16_S17_EUlS16_E_NS1_11comp_targetILNS1_3genE5ELNS1_11target_archE942ELNS1_3gpuE9ELNS1_3repE0EEENS1_30default_config_static_selectorELNS0_4arch9wavefront6targetE0EEEvT1_.num_vgpr, 0
	.set _ZN7rocprim17ROCPRIM_400000_NS6detail17trampoline_kernelINS0_14default_configENS1_25partition_config_selectorILNS1_17partition_subalgoE6EjNS0_10empty_typeEbEEZZNS1_14partition_implILS5_6ELb0ES3_mN6thrust23THRUST_200600_302600_NS6detail15normal_iteratorINSA_10device_ptrIjEEEEPS6_SG_NS0_5tupleIJNSA_16discard_iteratorINSA_11use_defaultEEES6_EEENSH_IJSG_SG_EEES6_PlJNSB_9not_fun_tI7is_trueIjEEEEEE10hipError_tPvRmT3_T4_T5_T6_T7_T9_mT8_P12ihipStream_tbDpT10_ENKUlT_T0_E_clISt17integral_constantIbLb1EES1A_IbLb0EEEEDaS16_S17_EUlS16_E_NS1_11comp_targetILNS1_3genE5ELNS1_11target_archE942ELNS1_3gpuE9ELNS1_3repE0EEENS1_30default_config_static_selectorELNS0_4arch9wavefront6targetE0EEEvT1_.num_agpr, 0
	.set _ZN7rocprim17ROCPRIM_400000_NS6detail17trampoline_kernelINS0_14default_configENS1_25partition_config_selectorILNS1_17partition_subalgoE6EjNS0_10empty_typeEbEEZZNS1_14partition_implILS5_6ELb0ES3_mN6thrust23THRUST_200600_302600_NS6detail15normal_iteratorINSA_10device_ptrIjEEEEPS6_SG_NS0_5tupleIJNSA_16discard_iteratorINSA_11use_defaultEEES6_EEENSH_IJSG_SG_EEES6_PlJNSB_9not_fun_tI7is_trueIjEEEEEE10hipError_tPvRmT3_T4_T5_T6_T7_T9_mT8_P12ihipStream_tbDpT10_ENKUlT_T0_E_clISt17integral_constantIbLb1EES1A_IbLb0EEEEDaS16_S17_EUlS16_E_NS1_11comp_targetILNS1_3genE5ELNS1_11target_archE942ELNS1_3gpuE9ELNS1_3repE0EEENS1_30default_config_static_selectorELNS0_4arch9wavefront6targetE0EEEvT1_.numbered_sgpr, 0
	.set _ZN7rocprim17ROCPRIM_400000_NS6detail17trampoline_kernelINS0_14default_configENS1_25partition_config_selectorILNS1_17partition_subalgoE6EjNS0_10empty_typeEbEEZZNS1_14partition_implILS5_6ELb0ES3_mN6thrust23THRUST_200600_302600_NS6detail15normal_iteratorINSA_10device_ptrIjEEEEPS6_SG_NS0_5tupleIJNSA_16discard_iteratorINSA_11use_defaultEEES6_EEENSH_IJSG_SG_EEES6_PlJNSB_9not_fun_tI7is_trueIjEEEEEE10hipError_tPvRmT3_T4_T5_T6_T7_T9_mT8_P12ihipStream_tbDpT10_ENKUlT_T0_E_clISt17integral_constantIbLb1EES1A_IbLb0EEEEDaS16_S17_EUlS16_E_NS1_11comp_targetILNS1_3genE5ELNS1_11target_archE942ELNS1_3gpuE9ELNS1_3repE0EEENS1_30default_config_static_selectorELNS0_4arch9wavefront6targetE0EEEvT1_.num_named_barrier, 0
	.set _ZN7rocprim17ROCPRIM_400000_NS6detail17trampoline_kernelINS0_14default_configENS1_25partition_config_selectorILNS1_17partition_subalgoE6EjNS0_10empty_typeEbEEZZNS1_14partition_implILS5_6ELb0ES3_mN6thrust23THRUST_200600_302600_NS6detail15normal_iteratorINSA_10device_ptrIjEEEEPS6_SG_NS0_5tupleIJNSA_16discard_iteratorINSA_11use_defaultEEES6_EEENSH_IJSG_SG_EEES6_PlJNSB_9not_fun_tI7is_trueIjEEEEEE10hipError_tPvRmT3_T4_T5_T6_T7_T9_mT8_P12ihipStream_tbDpT10_ENKUlT_T0_E_clISt17integral_constantIbLb1EES1A_IbLb0EEEEDaS16_S17_EUlS16_E_NS1_11comp_targetILNS1_3genE5ELNS1_11target_archE942ELNS1_3gpuE9ELNS1_3repE0EEENS1_30default_config_static_selectorELNS0_4arch9wavefront6targetE0EEEvT1_.private_seg_size, 0
	.set _ZN7rocprim17ROCPRIM_400000_NS6detail17trampoline_kernelINS0_14default_configENS1_25partition_config_selectorILNS1_17partition_subalgoE6EjNS0_10empty_typeEbEEZZNS1_14partition_implILS5_6ELb0ES3_mN6thrust23THRUST_200600_302600_NS6detail15normal_iteratorINSA_10device_ptrIjEEEEPS6_SG_NS0_5tupleIJNSA_16discard_iteratorINSA_11use_defaultEEES6_EEENSH_IJSG_SG_EEES6_PlJNSB_9not_fun_tI7is_trueIjEEEEEE10hipError_tPvRmT3_T4_T5_T6_T7_T9_mT8_P12ihipStream_tbDpT10_ENKUlT_T0_E_clISt17integral_constantIbLb1EES1A_IbLb0EEEEDaS16_S17_EUlS16_E_NS1_11comp_targetILNS1_3genE5ELNS1_11target_archE942ELNS1_3gpuE9ELNS1_3repE0EEENS1_30default_config_static_selectorELNS0_4arch9wavefront6targetE0EEEvT1_.uses_vcc, 0
	.set _ZN7rocprim17ROCPRIM_400000_NS6detail17trampoline_kernelINS0_14default_configENS1_25partition_config_selectorILNS1_17partition_subalgoE6EjNS0_10empty_typeEbEEZZNS1_14partition_implILS5_6ELb0ES3_mN6thrust23THRUST_200600_302600_NS6detail15normal_iteratorINSA_10device_ptrIjEEEEPS6_SG_NS0_5tupleIJNSA_16discard_iteratorINSA_11use_defaultEEES6_EEENSH_IJSG_SG_EEES6_PlJNSB_9not_fun_tI7is_trueIjEEEEEE10hipError_tPvRmT3_T4_T5_T6_T7_T9_mT8_P12ihipStream_tbDpT10_ENKUlT_T0_E_clISt17integral_constantIbLb1EES1A_IbLb0EEEEDaS16_S17_EUlS16_E_NS1_11comp_targetILNS1_3genE5ELNS1_11target_archE942ELNS1_3gpuE9ELNS1_3repE0EEENS1_30default_config_static_selectorELNS0_4arch9wavefront6targetE0EEEvT1_.uses_flat_scratch, 0
	.set _ZN7rocprim17ROCPRIM_400000_NS6detail17trampoline_kernelINS0_14default_configENS1_25partition_config_selectorILNS1_17partition_subalgoE6EjNS0_10empty_typeEbEEZZNS1_14partition_implILS5_6ELb0ES3_mN6thrust23THRUST_200600_302600_NS6detail15normal_iteratorINSA_10device_ptrIjEEEEPS6_SG_NS0_5tupleIJNSA_16discard_iteratorINSA_11use_defaultEEES6_EEENSH_IJSG_SG_EEES6_PlJNSB_9not_fun_tI7is_trueIjEEEEEE10hipError_tPvRmT3_T4_T5_T6_T7_T9_mT8_P12ihipStream_tbDpT10_ENKUlT_T0_E_clISt17integral_constantIbLb1EES1A_IbLb0EEEEDaS16_S17_EUlS16_E_NS1_11comp_targetILNS1_3genE5ELNS1_11target_archE942ELNS1_3gpuE9ELNS1_3repE0EEENS1_30default_config_static_selectorELNS0_4arch9wavefront6targetE0EEEvT1_.has_dyn_sized_stack, 0
	.set _ZN7rocprim17ROCPRIM_400000_NS6detail17trampoline_kernelINS0_14default_configENS1_25partition_config_selectorILNS1_17partition_subalgoE6EjNS0_10empty_typeEbEEZZNS1_14partition_implILS5_6ELb0ES3_mN6thrust23THRUST_200600_302600_NS6detail15normal_iteratorINSA_10device_ptrIjEEEEPS6_SG_NS0_5tupleIJNSA_16discard_iteratorINSA_11use_defaultEEES6_EEENSH_IJSG_SG_EEES6_PlJNSB_9not_fun_tI7is_trueIjEEEEEE10hipError_tPvRmT3_T4_T5_T6_T7_T9_mT8_P12ihipStream_tbDpT10_ENKUlT_T0_E_clISt17integral_constantIbLb1EES1A_IbLb0EEEEDaS16_S17_EUlS16_E_NS1_11comp_targetILNS1_3genE5ELNS1_11target_archE942ELNS1_3gpuE9ELNS1_3repE0EEENS1_30default_config_static_selectorELNS0_4arch9wavefront6targetE0EEEvT1_.has_recursion, 0
	.set _ZN7rocprim17ROCPRIM_400000_NS6detail17trampoline_kernelINS0_14default_configENS1_25partition_config_selectorILNS1_17partition_subalgoE6EjNS0_10empty_typeEbEEZZNS1_14partition_implILS5_6ELb0ES3_mN6thrust23THRUST_200600_302600_NS6detail15normal_iteratorINSA_10device_ptrIjEEEEPS6_SG_NS0_5tupleIJNSA_16discard_iteratorINSA_11use_defaultEEES6_EEENSH_IJSG_SG_EEES6_PlJNSB_9not_fun_tI7is_trueIjEEEEEE10hipError_tPvRmT3_T4_T5_T6_T7_T9_mT8_P12ihipStream_tbDpT10_ENKUlT_T0_E_clISt17integral_constantIbLb1EES1A_IbLb0EEEEDaS16_S17_EUlS16_E_NS1_11comp_targetILNS1_3genE5ELNS1_11target_archE942ELNS1_3gpuE9ELNS1_3repE0EEENS1_30default_config_static_selectorELNS0_4arch9wavefront6targetE0EEEvT1_.has_indirect_call, 0
	.section	.AMDGPU.csdata,"",@progbits
; Kernel info:
; codeLenInByte = 0
; TotalNumSgprs: 0
; NumVgprs: 0
; ScratchSize: 0
; MemoryBound: 0
; FloatMode: 240
; IeeeMode: 1
; LDSByteSize: 0 bytes/workgroup (compile time only)
; SGPRBlocks: 0
; VGPRBlocks: 0
; NumSGPRsForWavesPerEU: 1
; NumVGPRsForWavesPerEU: 1
; Occupancy: 16
; WaveLimiterHint : 0
; COMPUTE_PGM_RSRC2:SCRATCH_EN: 0
; COMPUTE_PGM_RSRC2:USER_SGPR: 2
; COMPUTE_PGM_RSRC2:TRAP_HANDLER: 0
; COMPUTE_PGM_RSRC2:TGID_X_EN: 1
; COMPUTE_PGM_RSRC2:TGID_Y_EN: 0
; COMPUTE_PGM_RSRC2:TGID_Z_EN: 0
; COMPUTE_PGM_RSRC2:TIDIG_COMP_CNT: 0
	.section	.text._ZN7rocprim17ROCPRIM_400000_NS6detail17trampoline_kernelINS0_14default_configENS1_25partition_config_selectorILNS1_17partition_subalgoE6EjNS0_10empty_typeEbEEZZNS1_14partition_implILS5_6ELb0ES3_mN6thrust23THRUST_200600_302600_NS6detail15normal_iteratorINSA_10device_ptrIjEEEEPS6_SG_NS0_5tupleIJNSA_16discard_iteratorINSA_11use_defaultEEES6_EEENSH_IJSG_SG_EEES6_PlJNSB_9not_fun_tI7is_trueIjEEEEEE10hipError_tPvRmT3_T4_T5_T6_T7_T9_mT8_P12ihipStream_tbDpT10_ENKUlT_T0_E_clISt17integral_constantIbLb1EES1A_IbLb0EEEEDaS16_S17_EUlS16_E_NS1_11comp_targetILNS1_3genE4ELNS1_11target_archE910ELNS1_3gpuE8ELNS1_3repE0EEENS1_30default_config_static_selectorELNS0_4arch9wavefront6targetE0EEEvT1_,"axG",@progbits,_ZN7rocprim17ROCPRIM_400000_NS6detail17trampoline_kernelINS0_14default_configENS1_25partition_config_selectorILNS1_17partition_subalgoE6EjNS0_10empty_typeEbEEZZNS1_14partition_implILS5_6ELb0ES3_mN6thrust23THRUST_200600_302600_NS6detail15normal_iteratorINSA_10device_ptrIjEEEEPS6_SG_NS0_5tupleIJNSA_16discard_iteratorINSA_11use_defaultEEES6_EEENSH_IJSG_SG_EEES6_PlJNSB_9not_fun_tI7is_trueIjEEEEEE10hipError_tPvRmT3_T4_T5_T6_T7_T9_mT8_P12ihipStream_tbDpT10_ENKUlT_T0_E_clISt17integral_constantIbLb1EES1A_IbLb0EEEEDaS16_S17_EUlS16_E_NS1_11comp_targetILNS1_3genE4ELNS1_11target_archE910ELNS1_3gpuE8ELNS1_3repE0EEENS1_30default_config_static_selectorELNS0_4arch9wavefront6targetE0EEEvT1_,comdat
	.protected	_ZN7rocprim17ROCPRIM_400000_NS6detail17trampoline_kernelINS0_14default_configENS1_25partition_config_selectorILNS1_17partition_subalgoE6EjNS0_10empty_typeEbEEZZNS1_14partition_implILS5_6ELb0ES3_mN6thrust23THRUST_200600_302600_NS6detail15normal_iteratorINSA_10device_ptrIjEEEEPS6_SG_NS0_5tupleIJNSA_16discard_iteratorINSA_11use_defaultEEES6_EEENSH_IJSG_SG_EEES6_PlJNSB_9not_fun_tI7is_trueIjEEEEEE10hipError_tPvRmT3_T4_T5_T6_T7_T9_mT8_P12ihipStream_tbDpT10_ENKUlT_T0_E_clISt17integral_constantIbLb1EES1A_IbLb0EEEEDaS16_S17_EUlS16_E_NS1_11comp_targetILNS1_3genE4ELNS1_11target_archE910ELNS1_3gpuE8ELNS1_3repE0EEENS1_30default_config_static_selectorELNS0_4arch9wavefront6targetE0EEEvT1_ ; -- Begin function _ZN7rocprim17ROCPRIM_400000_NS6detail17trampoline_kernelINS0_14default_configENS1_25partition_config_selectorILNS1_17partition_subalgoE6EjNS0_10empty_typeEbEEZZNS1_14partition_implILS5_6ELb0ES3_mN6thrust23THRUST_200600_302600_NS6detail15normal_iteratorINSA_10device_ptrIjEEEEPS6_SG_NS0_5tupleIJNSA_16discard_iteratorINSA_11use_defaultEEES6_EEENSH_IJSG_SG_EEES6_PlJNSB_9not_fun_tI7is_trueIjEEEEEE10hipError_tPvRmT3_T4_T5_T6_T7_T9_mT8_P12ihipStream_tbDpT10_ENKUlT_T0_E_clISt17integral_constantIbLb1EES1A_IbLb0EEEEDaS16_S17_EUlS16_E_NS1_11comp_targetILNS1_3genE4ELNS1_11target_archE910ELNS1_3gpuE8ELNS1_3repE0EEENS1_30default_config_static_selectorELNS0_4arch9wavefront6targetE0EEEvT1_
	.globl	_ZN7rocprim17ROCPRIM_400000_NS6detail17trampoline_kernelINS0_14default_configENS1_25partition_config_selectorILNS1_17partition_subalgoE6EjNS0_10empty_typeEbEEZZNS1_14partition_implILS5_6ELb0ES3_mN6thrust23THRUST_200600_302600_NS6detail15normal_iteratorINSA_10device_ptrIjEEEEPS6_SG_NS0_5tupleIJNSA_16discard_iteratorINSA_11use_defaultEEES6_EEENSH_IJSG_SG_EEES6_PlJNSB_9not_fun_tI7is_trueIjEEEEEE10hipError_tPvRmT3_T4_T5_T6_T7_T9_mT8_P12ihipStream_tbDpT10_ENKUlT_T0_E_clISt17integral_constantIbLb1EES1A_IbLb0EEEEDaS16_S17_EUlS16_E_NS1_11comp_targetILNS1_3genE4ELNS1_11target_archE910ELNS1_3gpuE8ELNS1_3repE0EEENS1_30default_config_static_selectorELNS0_4arch9wavefront6targetE0EEEvT1_
	.p2align	8
	.type	_ZN7rocprim17ROCPRIM_400000_NS6detail17trampoline_kernelINS0_14default_configENS1_25partition_config_selectorILNS1_17partition_subalgoE6EjNS0_10empty_typeEbEEZZNS1_14partition_implILS5_6ELb0ES3_mN6thrust23THRUST_200600_302600_NS6detail15normal_iteratorINSA_10device_ptrIjEEEEPS6_SG_NS0_5tupleIJNSA_16discard_iteratorINSA_11use_defaultEEES6_EEENSH_IJSG_SG_EEES6_PlJNSB_9not_fun_tI7is_trueIjEEEEEE10hipError_tPvRmT3_T4_T5_T6_T7_T9_mT8_P12ihipStream_tbDpT10_ENKUlT_T0_E_clISt17integral_constantIbLb1EES1A_IbLb0EEEEDaS16_S17_EUlS16_E_NS1_11comp_targetILNS1_3genE4ELNS1_11target_archE910ELNS1_3gpuE8ELNS1_3repE0EEENS1_30default_config_static_selectorELNS0_4arch9wavefront6targetE0EEEvT1_,@function
_ZN7rocprim17ROCPRIM_400000_NS6detail17trampoline_kernelINS0_14default_configENS1_25partition_config_selectorILNS1_17partition_subalgoE6EjNS0_10empty_typeEbEEZZNS1_14partition_implILS5_6ELb0ES3_mN6thrust23THRUST_200600_302600_NS6detail15normal_iteratorINSA_10device_ptrIjEEEEPS6_SG_NS0_5tupleIJNSA_16discard_iteratorINSA_11use_defaultEEES6_EEENSH_IJSG_SG_EEES6_PlJNSB_9not_fun_tI7is_trueIjEEEEEE10hipError_tPvRmT3_T4_T5_T6_T7_T9_mT8_P12ihipStream_tbDpT10_ENKUlT_T0_E_clISt17integral_constantIbLb1EES1A_IbLb0EEEEDaS16_S17_EUlS16_E_NS1_11comp_targetILNS1_3genE4ELNS1_11target_archE910ELNS1_3gpuE8ELNS1_3repE0EEENS1_30default_config_static_selectorELNS0_4arch9wavefront6targetE0EEEvT1_: ; @_ZN7rocprim17ROCPRIM_400000_NS6detail17trampoline_kernelINS0_14default_configENS1_25partition_config_selectorILNS1_17partition_subalgoE6EjNS0_10empty_typeEbEEZZNS1_14partition_implILS5_6ELb0ES3_mN6thrust23THRUST_200600_302600_NS6detail15normal_iteratorINSA_10device_ptrIjEEEEPS6_SG_NS0_5tupleIJNSA_16discard_iteratorINSA_11use_defaultEEES6_EEENSH_IJSG_SG_EEES6_PlJNSB_9not_fun_tI7is_trueIjEEEEEE10hipError_tPvRmT3_T4_T5_T6_T7_T9_mT8_P12ihipStream_tbDpT10_ENKUlT_T0_E_clISt17integral_constantIbLb1EES1A_IbLb0EEEEDaS16_S17_EUlS16_E_NS1_11comp_targetILNS1_3genE4ELNS1_11target_archE910ELNS1_3gpuE8ELNS1_3repE0EEENS1_30default_config_static_selectorELNS0_4arch9wavefront6targetE0EEEvT1_
; %bb.0:
	.section	.rodata,"a",@progbits
	.p2align	6, 0x0
	.amdhsa_kernel _ZN7rocprim17ROCPRIM_400000_NS6detail17trampoline_kernelINS0_14default_configENS1_25partition_config_selectorILNS1_17partition_subalgoE6EjNS0_10empty_typeEbEEZZNS1_14partition_implILS5_6ELb0ES3_mN6thrust23THRUST_200600_302600_NS6detail15normal_iteratorINSA_10device_ptrIjEEEEPS6_SG_NS0_5tupleIJNSA_16discard_iteratorINSA_11use_defaultEEES6_EEENSH_IJSG_SG_EEES6_PlJNSB_9not_fun_tI7is_trueIjEEEEEE10hipError_tPvRmT3_T4_T5_T6_T7_T9_mT8_P12ihipStream_tbDpT10_ENKUlT_T0_E_clISt17integral_constantIbLb1EES1A_IbLb0EEEEDaS16_S17_EUlS16_E_NS1_11comp_targetILNS1_3genE4ELNS1_11target_archE910ELNS1_3gpuE8ELNS1_3repE0EEENS1_30default_config_static_selectorELNS0_4arch9wavefront6targetE0EEEvT1_
		.amdhsa_group_segment_fixed_size 0
		.amdhsa_private_segment_fixed_size 0
		.amdhsa_kernarg_size 120
		.amdhsa_user_sgpr_count 2
		.amdhsa_user_sgpr_dispatch_ptr 0
		.amdhsa_user_sgpr_queue_ptr 0
		.amdhsa_user_sgpr_kernarg_segment_ptr 1
		.amdhsa_user_sgpr_dispatch_id 0
		.amdhsa_user_sgpr_private_segment_size 0
		.amdhsa_wavefront_size32 1
		.amdhsa_uses_dynamic_stack 0
		.amdhsa_enable_private_segment 0
		.amdhsa_system_sgpr_workgroup_id_x 1
		.amdhsa_system_sgpr_workgroup_id_y 0
		.amdhsa_system_sgpr_workgroup_id_z 0
		.amdhsa_system_sgpr_workgroup_info 0
		.amdhsa_system_vgpr_workitem_id 0
		.amdhsa_next_free_vgpr 1
		.amdhsa_next_free_sgpr 1
		.amdhsa_reserve_vcc 0
		.amdhsa_float_round_mode_32 0
		.amdhsa_float_round_mode_16_64 0
		.amdhsa_float_denorm_mode_32 3
		.amdhsa_float_denorm_mode_16_64 3
		.amdhsa_fp16_overflow 0
		.amdhsa_workgroup_processor_mode 1
		.amdhsa_memory_ordered 1
		.amdhsa_forward_progress 1
		.amdhsa_inst_pref_size 0
		.amdhsa_round_robin_scheduling 0
		.amdhsa_exception_fp_ieee_invalid_op 0
		.amdhsa_exception_fp_denorm_src 0
		.amdhsa_exception_fp_ieee_div_zero 0
		.amdhsa_exception_fp_ieee_overflow 0
		.amdhsa_exception_fp_ieee_underflow 0
		.amdhsa_exception_fp_ieee_inexact 0
		.amdhsa_exception_int_div_zero 0
	.end_amdhsa_kernel
	.section	.text._ZN7rocprim17ROCPRIM_400000_NS6detail17trampoline_kernelINS0_14default_configENS1_25partition_config_selectorILNS1_17partition_subalgoE6EjNS0_10empty_typeEbEEZZNS1_14partition_implILS5_6ELb0ES3_mN6thrust23THRUST_200600_302600_NS6detail15normal_iteratorINSA_10device_ptrIjEEEEPS6_SG_NS0_5tupleIJNSA_16discard_iteratorINSA_11use_defaultEEES6_EEENSH_IJSG_SG_EEES6_PlJNSB_9not_fun_tI7is_trueIjEEEEEE10hipError_tPvRmT3_T4_T5_T6_T7_T9_mT8_P12ihipStream_tbDpT10_ENKUlT_T0_E_clISt17integral_constantIbLb1EES1A_IbLb0EEEEDaS16_S17_EUlS16_E_NS1_11comp_targetILNS1_3genE4ELNS1_11target_archE910ELNS1_3gpuE8ELNS1_3repE0EEENS1_30default_config_static_selectorELNS0_4arch9wavefront6targetE0EEEvT1_,"axG",@progbits,_ZN7rocprim17ROCPRIM_400000_NS6detail17trampoline_kernelINS0_14default_configENS1_25partition_config_selectorILNS1_17partition_subalgoE6EjNS0_10empty_typeEbEEZZNS1_14partition_implILS5_6ELb0ES3_mN6thrust23THRUST_200600_302600_NS6detail15normal_iteratorINSA_10device_ptrIjEEEEPS6_SG_NS0_5tupleIJNSA_16discard_iteratorINSA_11use_defaultEEES6_EEENSH_IJSG_SG_EEES6_PlJNSB_9not_fun_tI7is_trueIjEEEEEE10hipError_tPvRmT3_T4_T5_T6_T7_T9_mT8_P12ihipStream_tbDpT10_ENKUlT_T0_E_clISt17integral_constantIbLb1EES1A_IbLb0EEEEDaS16_S17_EUlS16_E_NS1_11comp_targetILNS1_3genE4ELNS1_11target_archE910ELNS1_3gpuE8ELNS1_3repE0EEENS1_30default_config_static_selectorELNS0_4arch9wavefront6targetE0EEEvT1_,comdat
.Lfunc_end2191:
	.size	_ZN7rocprim17ROCPRIM_400000_NS6detail17trampoline_kernelINS0_14default_configENS1_25partition_config_selectorILNS1_17partition_subalgoE6EjNS0_10empty_typeEbEEZZNS1_14partition_implILS5_6ELb0ES3_mN6thrust23THRUST_200600_302600_NS6detail15normal_iteratorINSA_10device_ptrIjEEEEPS6_SG_NS0_5tupleIJNSA_16discard_iteratorINSA_11use_defaultEEES6_EEENSH_IJSG_SG_EEES6_PlJNSB_9not_fun_tI7is_trueIjEEEEEE10hipError_tPvRmT3_T4_T5_T6_T7_T9_mT8_P12ihipStream_tbDpT10_ENKUlT_T0_E_clISt17integral_constantIbLb1EES1A_IbLb0EEEEDaS16_S17_EUlS16_E_NS1_11comp_targetILNS1_3genE4ELNS1_11target_archE910ELNS1_3gpuE8ELNS1_3repE0EEENS1_30default_config_static_selectorELNS0_4arch9wavefront6targetE0EEEvT1_, .Lfunc_end2191-_ZN7rocprim17ROCPRIM_400000_NS6detail17trampoline_kernelINS0_14default_configENS1_25partition_config_selectorILNS1_17partition_subalgoE6EjNS0_10empty_typeEbEEZZNS1_14partition_implILS5_6ELb0ES3_mN6thrust23THRUST_200600_302600_NS6detail15normal_iteratorINSA_10device_ptrIjEEEEPS6_SG_NS0_5tupleIJNSA_16discard_iteratorINSA_11use_defaultEEES6_EEENSH_IJSG_SG_EEES6_PlJNSB_9not_fun_tI7is_trueIjEEEEEE10hipError_tPvRmT3_T4_T5_T6_T7_T9_mT8_P12ihipStream_tbDpT10_ENKUlT_T0_E_clISt17integral_constantIbLb1EES1A_IbLb0EEEEDaS16_S17_EUlS16_E_NS1_11comp_targetILNS1_3genE4ELNS1_11target_archE910ELNS1_3gpuE8ELNS1_3repE0EEENS1_30default_config_static_selectorELNS0_4arch9wavefront6targetE0EEEvT1_
                                        ; -- End function
	.set _ZN7rocprim17ROCPRIM_400000_NS6detail17trampoline_kernelINS0_14default_configENS1_25partition_config_selectorILNS1_17partition_subalgoE6EjNS0_10empty_typeEbEEZZNS1_14partition_implILS5_6ELb0ES3_mN6thrust23THRUST_200600_302600_NS6detail15normal_iteratorINSA_10device_ptrIjEEEEPS6_SG_NS0_5tupleIJNSA_16discard_iteratorINSA_11use_defaultEEES6_EEENSH_IJSG_SG_EEES6_PlJNSB_9not_fun_tI7is_trueIjEEEEEE10hipError_tPvRmT3_T4_T5_T6_T7_T9_mT8_P12ihipStream_tbDpT10_ENKUlT_T0_E_clISt17integral_constantIbLb1EES1A_IbLb0EEEEDaS16_S17_EUlS16_E_NS1_11comp_targetILNS1_3genE4ELNS1_11target_archE910ELNS1_3gpuE8ELNS1_3repE0EEENS1_30default_config_static_selectorELNS0_4arch9wavefront6targetE0EEEvT1_.num_vgpr, 0
	.set _ZN7rocprim17ROCPRIM_400000_NS6detail17trampoline_kernelINS0_14default_configENS1_25partition_config_selectorILNS1_17partition_subalgoE6EjNS0_10empty_typeEbEEZZNS1_14partition_implILS5_6ELb0ES3_mN6thrust23THRUST_200600_302600_NS6detail15normal_iteratorINSA_10device_ptrIjEEEEPS6_SG_NS0_5tupleIJNSA_16discard_iteratorINSA_11use_defaultEEES6_EEENSH_IJSG_SG_EEES6_PlJNSB_9not_fun_tI7is_trueIjEEEEEE10hipError_tPvRmT3_T4_T5_T6_T7_T9_mT8_P12ihipStream_tbDpT10_ENKUlT_T0_E_clISt17integral_constantIbLb1EES1A_IbLb0EEEEDaS16_S17_EUlS16_E_NS1_11comp_targetILNS1_3genE4ELNS1_11target_archE910ELNS1_3gpuE8ELNS1_3repE0EEENS1_30default_config_static_selectorELNS0_4arch9wavefront6targetE0EEEvT1_.num_agpr, 0
	.set _ZN7rocprim17ROCPRIM_400000_NS6detail17trampoline_kernelINS0_14default_configENS1_25partition_config_selectorILNS1_17partition_subalgoE6EjNS0_10empty_typeEbEEZZNS1_14partition_implILS5_6ELb0ES3_mN6thrust23THRUST_200600_302600_NS6detail15normal_iteratorINSA_10device_ptrIjEEEEPS6_SG_NS0_5tupleIJNSA_16discard_iteratorINSA_11use_defaultEEES6_EEENSH_IJSG_SG_EEES6_PlJNSB_9not_fun_tI7is_trueIjEEEEEE10hipError_tPvRmT3_T4_T5_T6_T7_T9_mT8_P12ihipStream_tbDpT10_ENKUlT_T0_E_clISt17integral_constantIbLb1EES1A_IbLb0EEEEDaS16_S17_EUlS16_E_NS1_11comp_targetILNS1_3genE4ELNS1_11target_archE910ELNS1_3gpuE8ELNS1_3repE0EEENS1_30default_config_static_selectorELNS0_4arch9wavefront6targetE0EEEvT1_.numbered_sgpr, 0
	.set _ZN7rocprim17ROCPRIM_400000_NS6detail17trampoline_kernelINS0_14default_configENS1_25partition_config_selectorILNS1_17partition_subalgoE6EjNS0_10empty_typeEbEEZZNS1_14partition_implILS5_6ELb0ES3_mN6thrust23THRUST_200600_302600_NS6detail15normal_iteratorINSA_10device_ptrIjEEEEPS6_SG_NS0_5tupleIJNSA_16discard_iteratorINSA_11use_defaultEEES6_EEENSH_IJSG_SG_EEES6_PlJNSB_9not_fun_tI7is_trueIjEEEEEE10hipError_tPvRmT3_T4_T5_T6_T7_T9_mT8_P12ihipStream_tbDpT10_ENKUlT_T0_E_clISt17integral_constantIbLb1EES1A_IbLb0EEEEDaS16_S17_EUlS16_E_NS1_11comp_targetILNS1_3genE4ELNS1_11target_archE910ELNS1_3gpuE8ELNS1_3repE0EEENS1_30default_config_static_selectorELNS0_4arch9wavefront6targetE0EEEvT1_.num_named_barrier, 0
	.set _ZN7rocprim17ROCPRIM_400000_NS6detail17trampoline_kernelINS0_14default_configENS1_25partition_config_selectorILNS1_17partition_subalgoE6EjNS0_10empty_typeEbEEZZNS1_14partition_implILS5_6ELb0ES3_mN6thrust23THRUST_200600_302600_NS6detail15normal_iteratorINSA_10device_ptrIjEEEEPS6_SG_NS0_5tupleIJNSA_16discard_iteratorINSA_11use_defaultEEES6_EEENSH_IJSG_SG_EEES6_PlJNSB_9not_fun_tI7is_trueIjEEEEEE10hipError_tPvRmT3_T4_T5_T6_T7_T9_mT8_P12ihipStream_tbDpT10_ENKUlT_T0_E_clISt17integral_constantIbLb1EES1A_IbLb0EEEEDaS16_S17_EUlS16_E_NS1_11comp_targetILNS1_3genE4ELNS1_11target_archE910ELNS1_3gpuE8ELNS1_3repE0EEENS1_30default_config_static_selectorELNS0_4arch9wavefront6targetE0EEEvT1_.private_seg_size, 0
	.set _ZN7rocprim17ROCPRIM_400000_NS6detail17trampoline_kernelINS0_14default_configENS1_25partition_config_selectorILNS1_17partition_subalgoE6EjNS0_10empty_typeEbEEZZNS1_14partition_implILS5_6ELb0ES3_mN6thrust23THRUST_200600_302600_NS6detail15normal_iteratorINSA_10device_ptrIjEEEEPS6_SG_NS0_5tupleIJNSA_16discard_iteratorINSA_11use_defaultEEES6_EEENSH_IJSG_SG_EEES6_PlJNSB_9not_fun_tI7is_trueIjEEEEEE10hipError_tPvRmT3_T4_T5_T6_T7_T9_mT8_P12ihipStream_tbDpT10_ENKUlT_T0_E_clISt17integral_constantIbLb1EES1A_IbLb0EEEEDaS16_S17_EUlS16_E_NS1_11comp_targetILNS1_3genE4ELNS1_11target_archE910ELNS1_3gpuE8ELNS1_3repE0EEENS1_30default_config_static_selectorELNS0_4arch9wavefront6targetE0EEEvT1_.uses_vcc, 0
	.set _ZN7rocprim17ROCPRIM_400000_NS6detail17trampoline_kernelINS0_14default_configENS1_25partition_config_selectorILNS1_17partition_subalgoE6EjNS0_10empty_typeEbEEZZNS1_14partition_implILS5_6ELb0ES3_mN6thrust23THRUST_200600_302600_NS6detail15normal_iteratorINSA_10device_ptrIjEEEEPS6_SG_NS0_5tupleIJNSA_16discard_iteratorINSA_11use_defaultEEES6_EEENSH_IJSG_SG_EEES6_PlJNSB_9not_fun_tI7is_trueIjEEEEEE10hipError_tPvRmT3_T4_T5_T6_T7_T9_mT8_P12ihipStream_tbDpT10_ENKUlT_T0_E_clISt17integral_constantIbLb1EES1A_IbLb0EEEEDaS16_S17_EUlS16_E_NS1_11comp_targetILNS1_3genE4ELNS1_11target_archE910ELNS1_3gpuE8ELNS1_3repE0EEENS1_30default_config_static_selectorELNS0_4arch9wavefront6targetE0EEEvT1_.uses_flat_scratch, 0
	.set _ZN7rocprim17ROCPRIM_400000_NS6detail17trampoline_kernelINS0_14default_configENS1_25partition_config_selectorILNS1_17partition_subalgoE6EjNS0_10empty_typeEbEEZZNS1_14partition_implILS5_6ELb0ES3_mN6thrust23THRUST_200600_302600_NS6detail15normal_iteratorINSA_10device_ptrIjEEEEPS6_SG_NS0_5tupleIJNSA_16discard_iteratorINSA_11use_defaultEEES6_EEENSH_IJSG_SG_EEES6_PlJNSB_9not_fun_tI7is_trueIjEEEEEE10hipError_tPvRmT3_T4_T5_T6_T7_T9_mT8_P12ihipStream_tbDpT10_ENKUlT_T0_E_clISt17integral_constantIbLb1EES1A_IbLb0EEEEDaS16_S17_EUlS16_E_NS1_11comp_targetILNS1_3genE4ELNS1_11target_archE910ELNS1_3gpuE8ELNS1_3repE0EEENS1_30default_config_static_selectorELNS0_4arch9wavefront6targetE0EEEvT1_.has_dyn_sized_stack, 0
	.set _ZN7rocprim17ROCPRIM_400000_NS6detail17trampoline_kernelINS0_14default_configENS1_25partition_config_selectorILNS1_17partition_subalgoE6EjNS0_10empty_typeEbEEZZNS1_14partition_implILS5_6ELb0ES3_mN6thrust23THRUST_200600_302600_NS6detail15normal_iteratorINSA_10device_ptrIjEEEEPS6_SG_NS0_5tupleIJNSA_16discard_iteratorINSA_11use_defaultEEES6_EEENSH_IJSG_SG_EEES6_PlJNSB_9not_fun_tI7is_trueIjEEEEEE10hipError_tPvRmT3_T4_T5_T6_T7_T9_mT8_P12ihipStream_tbDpT10_ENKUlT_T0_E_clISt17integral_constantIbLb1EES1A_IbLb0EEEEDaS16_S17_EUlS16_E_NS1_11comp_targetILNS1_3genE4ELNS1_11target_archE910ELNS1_3gpuE8ELNS1_3repE0EEENS1_30default_config_static_selectorELNS0_4arch9wavefront6targetE0EEEvT1_.has_recursion, 0
	.set _ZN7rocprim17ROCPRIM_400000_NS6detail17trampoline_kernelINS0_14default_configENS1_25partition_config_selectorILNS1_17partition_subalgoE6EjNS0_10empty_typeEbEEZZNS1_14partition_implILS5_6ELb0ES3_mN6thrust23THRUST_200600_302600_NS6detail15normal_iteratorINSA_10device_ptrIjEEEEPS6_SG_NS0_5tupleIJNSA_16discard_iteratorINSA_11use_defaultEEES6_EEENSH_IJSG_SG_EEES6_PlJNSB_9not_fun_tI7is_trueIjEEEEEE10hipError_tPvRmT3_T4_T5_T6_T7_T9_mT8_P12ihipStream_tbDpT10_ENKUlT_T0_E_clISt17integral_constantIbLb1EES1A_IbLb0EEEEDaS16_S17_EUlS16_E_NS1_11comp_targetILNS1_3genE4ELNS1_11target_archE910ELNS1_3gpuE8ELNS1_3repE0EEENS1_30default_config_static_selectorELNS0_4arch9wavefront6targetE0EEEvT1_.has_indirect_call, 0
	.section	.AMDGPU.csdata,"",@progbits
; Kernel info:
; codeLenInByte = 0
; TotalNumSgprs: 0
; NumVgprs: 0
; ScratchSize: 0
; MemoryBound: 0
; FloatMode: 240
; IeeeMode: 1
; LDSByteSize: 0 bytes/workgroup (compile time only)
; SGPRBlocks: 0
; VGPRBlocks: 0
; NumSGPRsForWavesPerEU: 1
; NumVGPRsForWavesPerEU: 1
; Occupancy: 16
; WaveLimiterHint : 0
; COMPUTE_PGM_RSRC2:SCRATCH_EN: 0
; COMPUTE_PGM_RSRC2:USER_SGPR: 2
; COMPUTE_PGM_RSRC2:TRAP_HANDLER: 0
; COMPUTE_PGM_RSRC2:TGID_X_EN: 1
; COMPUTE_PGM_RSRC2:TGID_Y_EN: 0
; COMPUTE_PGM_RSRC2:TGID_Z_EN: 0
; COMPUTE_PGM_RSRC2:TIDIG_COMP_CNT: 0
	.section	.text._ZN7rocprim17ROCPRIM_400000_NS6detail17trampoline_kernelINS0_14default_configENS1_25partition_config_selectorILNS1_17partition_subalgoE6EjNS0_10empty_typeEbEEZZNS1_14partition_implILS5_6ELb0ES3_mN6thrust23THRUST_200600_302600_NS6detail15normal_iteratorINSA_10device_ptrIjEEEEPS6_SG_NS0_5tupleIJNSA_16discard_iteratorINSA_11use_defaultEEES6_EEENSH_IJSG_SG_EEES6_PlJNSB_9not_fun_tI7is_trueIjEEEEEE10hipError_tPvRmT3_T4_T5_T6_T7_T9_mT8_P12ihipStream_tbDpT10_ENKUlT_T0_E_clISt17integral_constantIbLb1EES1A_IbLb0EEEEDaS16_S17_EUlS16_E_NS1_11comp_targetILNS1_3genE3ELNS1_11target_archE908ELNS1_3gpuE7ELNS1_3repE0EEENS1_30default_config_static_selectorELNS0_4arch9wavefront6targetE0EEEvT1_,"axG",@progbits,_ZN7rocprim17ROCPRIM_400000_NS6detail17trampoline_kernelINS0_14default_configENS1_25partition_config_selectorILNS1_17partition_subalgoE6EjNS0_10empty_typeEbEEZZNS1_14partition_implILS5_6ELb0ES3_mN6thrust23THRUST_200600_302600_NS6detail15normal_iteratorINSA_10device_ptrIjEEEEPS6_SG_NS0_5tupleIJNSA_16discard_iteratorINSA_11use_defaultEEES6_EEENSH_IJSG_SG_EEES6_PlJNSB_9not_fun_tI7is_trueIjEEEEEE10hipError_tPvRmT3_T4_T5_T6_T7_T9_mT8_P12ihipStream_tbDpT10_ENKUlT_T0_E_clISt17integral_constantIbLb1EES1A_IbLb0EEEEDaS16_S17_EUlS16_E_NS1_11comp_targetILNS1_3genE3ELNS1_11target_archE908ELNS1_3gpuE7ELNS1_3repE0EEENS1_30default_config_static_selectorELNS0_4arch9wavefront6targetE0EEEvT1_,comdat
	.protected	_ZN7rocprim17ROCPRIM_400000_NS6detail17trampoline_kernelINS0_14default_configENS1_25partition_config_selectorILNS1_17partition_subalgoE6EjNS0_10empty_typeEbEEZZNS1_14partition_implILS5_6ELb0ES3_mN6thrust23THRUST_200600_302600_NS6detail15normal_iteratorINSA_10device_ptrIjEEEEPS6_SG_NS0_5tupleIJNSA_16discard_iteratorINSA_11use_defaultEEES6_EEENSH_IJSG_SG_EEES6_PlJNSB_9not_fun_tI7is_trueIjEEEEEE10hipError_tPvRmT3_T4_T5_T6_T7_T9_mT8_P12ihipStream_tbDpT10_ENKUlT_T0_E_clISt17integral_constantIbLb1EES1A_IbLb0EEEEDaS16_S17_EUlS16_E_NS1_11comp_targetILNS1_3genE3ELNS1_11target_archE908ELNS1_3gpuE7ELNS1_3repE0EEENS1_30default_config_static_selectorELNS0_4arch9wavefront6targetE0EEEvT1_ ; -- Begin function _ZN7rocprim17ROCPRIM_400000_NS6detail17trampoline_kernelINS0_14default_configENS1_25partition_config_selectorILNS1_17partition_subalgoE6EjNS0_10empty_typeEbEEZZNS1_14partition_implILS5_6ELb0ES3_mN6thrust23THRUST_200600_302600_NS6detail15normal_iteratorINSA_10device_ptrIjEEEEPS6_SG_NS0_5tupleIJNSA_16discard_iteratorINSA_11use_defaultEEES6_EEENSH_IJSG_SG_EEES6_PlJNSB_9not_fun_tI7is_trueIjEEEEEE10hipError_tPvRmT3_T4_T5_T6_T7_T9_mT8_P12ihipStream_tbDpT10_ENKUlT_T0_E_clISt17integral_constantIbLb1EES1A_IbLb0EEEEDaS16_S17_EUlS16_E_NS1_11comp_targetILNS1_3genE3ELNS1_11target_archE908ELNS1_3gpuE7ELNS1_3repE0EEENS1_30default_config_static_selectorELNS0_4arch9wavefront6targetE0EEEvT1_
	.globl	_ZN7rocprim17ROCPRIM_400000_NS6detail17trampoline_kernelINS0_14default_configENS1_25partition_config_selectorILNS1_17partition_subalgoE6EjNS0_10empty_typeEbEEZZNS1_14partition_implILS5_6ELb0ES3_mN6thrust23THRUST_200600_302600_NS6detail15normal_iteratorINSA_10device_ptrIjEEEEPS6_SG_NS0_5tupleIJNSA_16discard_iteratorINSA_11use_defaultEEES6_EEENSH_IJSG_SG_EEES6_PlJNSB_9not_fun_tI7is_trueIjEEEEEE10hipError_tPvRmT3_T4_T5_T6_T7_T9_mT8_P12ihipStream_tbDpT10_ENKUlT_T0_E_clISt17integral_constantIbLb1EES1A_IbLb0EEEEDaS16_S17_EUlS16_E_NS1_11comp_targetILNS1_3genE3ELNS1_11target_archE908ELNS1_3gpuE7ELNS1_3repE0EEENS1_30default_config_static_selectorELNS0_4arch9wavefront6targetE0EEEvT1_
	.p2align	8
	.type	_ZN7rocprim17ROCPRIM_400000_NS6detail17trampoline_kernelINS0_14default_configENS1_25partition_config_selectorILNS1_17partition_subalgoE6EjNS0_10empty_typeEbEEZZNS1_14partition_implILS5_6ELb0ES3_mN6thrust23THRUST_200600_302600_NS6detail15normal_iteratorINSA_10device_ptrIjEEEEPS6_SG_NS0_5tupleIJNSA_16discard_iteratorINSA_11use_defaultEEES6_EEENSH_IJSG_SG_EEES6_PlJNSB_9not_fun_tI7is_trueIjEEEEEE10hipError_tPvRmT3_T4_T5_T6_T7_T9_mT8_P12ihipStream_tbDpT10_ENKUlT_T0_E_clISt17integral_constantIbLb1EES1A_IbLb0EEEEDaS16_S17_EUlS16_E_NS1_11comp_targetILNS1_3genE3ELNS1_11target_archE908ELNS1_3gpuE7ELNS1_3repE0EEENS1_30default_config_static_selectorELNS0_4arch9wavefront6targetE0EEEvT1_,@function
_ZN7rocprim17ROCPRIM_400000_NS6detail17trampoline_kernelINS0_14default_configENS1_25partition_config_selectorILNS1_17partition_subalgoE6EjNS0_10empty_typeEbEEZZNS1_14partition_implILS5_6ELb0ES3_mN6thrust23THRUST_200600_302600_NS6detail15normal_iteratorINSA_10device_ptrIjEEEEPS6_SG_NS0_5tupleIJNSA_16discard_iteratorINSA_11use_defaultEEES6_EEENSH_IJSG_SG_EEES6_PlJNSB_9not_fun_tI7is_trueIjEEEEEE10hipError_tPvRmT3_T4_T5_T6_T7_T9_mT8_P12ihipStream_tbDpT10_ENKUlT_T0_E_clISt17integral_constantIbLb1EES1A_IbLb0EEEEDaS16_S17_EUlS16_E_NS1_11comp_targetILNS1_3genE3ELNS1_11target_archE908ELNS1_3gpuE7ELNS1_3repE0EEENS1_30default_config_static_selectorELNS0_4arch9wavefront6targetE0EEEvT1_: ; @_ZN7rocprim17ROCPRIM_400000_NS6detail17trampoline_kernelINS0_14default_configENS1_25partition_config_selectorILNS1_17partition_subalgoE6EjNS0_10empty_typeEbEEZZNS1_14partition_implILS5_6ELb0ES3_mN6thrust23THRUST_200600_302600_NS6detail15normal_iteratorINSA_10device_ptrIjEEEEPS6_SG_NS0_5tupleIJNSA_16discard_iteratorINSA_11use_defaultEEES6_EEENSH_IJSG_SG_EEES6_PlJNSB_9not_fun_tI7is_trueIjEEEEEE10hipError_tPvRmT3_T4_T5_T6_T7_T9_mT8_P12ihipStream_tbDpT10_ENKUlT_T0_E_clISt17integral_constantIbLb1EES1A_IbLb0EEEEDaS16_S17_EUlS16_E_NS1_11comp_targetILNS1_3genE3ELNS1_11target_archE908ELNS1_3gpuE7ELNS1_3repE0EEENS1_30default_config_static_selectorELNS0_4arch9wavefront6targetE0EEEvT1_
; %bb.0:
	.section	.rodata,"a",@progbits
	.p2align	6, 0x0
	.amdhsa_kernel _ZN7rocprim17ROCPRIM_400000_NS6detail17trampoline_kernelINS0_14default_configENS1_25partition_config_selectorILNS1_17partition_subalgoE6EjNS0_10empty_typeEbEEZZNS1_14partition_implILS5_6ELb0ES3_mN6thrust23THRUST_200600_302600_NS6detail15normal_iteratorINSA_10device_ptrIjEEEEPS6_SG_NS0_5tupleIJNSA_16discard_iteratorINSA_11use_defaultEEES6_EEENSH_IJSG_SG_EEES6_PlJNSB_9not_fun_tI7is_trueIjEEEEEE10hipError_tPvRmT3_T4_T5_T6_T7_T9_mT8_P12ihipStream_tbDpT10_ENKUlT_T0_E_clISt17integral_constantIbLb1EES1A_IbLb0EEEEDaS16_S17_EUlS16_E_NS1_11comp_targetILNS1_3genE3ELNS1_11target_archE908ELNS1_3gpuE7ELNS1_3repE0EEENS1_30default_config_static_selectorELNS0_4arch9wavefront6targetE0EEEvT1_
		.amdhsa_group_segment_fixed_size 0
		.amdhsa_private_segment_fixed_size 0
		.amdhsa_kernarg_size 120
		.amdhsa_user_sgpr_count 2
		.amdhsa_user_sgpr_dispatch_ptr 0
		.amdhsa_user_sgpr_queue_ptr 0
		.amdhsa_user_sgpr_kernarg_segment_ptr 1
		.amdhsa_user_sgpr_dispatch_id 0
		.amdhsa_user_sgpr_private_segment_size 0
		.amdhsa_wavefront_size32 1
		.amdhsa_uses_dynamic_stack 0
		.amdhsa_enable_private_segment 0
		.amdhsa_system_sgpr_workgroup_id_x 1
		.amdhsa_system_sgpr_workgroup_id_y 0
		.amdhsa_system_sgpr_workgroup_id_z 0
		.amdhsa_system_sgpr_workgroup_info 0
		.amdhsa_system_vgpr_workitem_id 0
		.amdhsa_next_free_vgpr 1
		.amdhsa_next_free_sgpr 1
		.amdhsa_reserve_vcc 0
		.amdhsa_float_round_mode_32 0
		.amdhsa_float_round_mode_16_64 0
		.amdhsa_float_denorm_mode_32 3
		.amdhsa_float_denorm_mode_16_64 3
		.amdhsa_fp16_overflow 0
		.amdhsa_workgroup_processor_mode 1
		.amdhsa_memory_ordered 1
		.amdhsa_forward_progress 1
		.amdhsa_inst_pref_size 0
		.amdhsa_round_robin_scheduling 0
		.amdhsa_exception_fp_ieee_invalid_op 0
		.amdhsa_exception_fp_denorm_src 0
		.amdhsa_exception_fp_ieee_div_zero 0
		.amdhsa_exception_fp_ieee_overflow 0
		.amdhsa_exception_fp_ieee_underflow 0
		.amdhsa_exception_fp_ieee_inexact 0
		.amdhsa_exception_int_div_zero 0
	.end_amdhsa_kernel
	.section	.text._ZN7rocprim17ROCPRIM_400000_NS6detail17trampoline_kernelINS0_14default_configENS1_25partition_config_selectorILNS1_17partition_subalgoE6EjNS0_10empty_typeEbEEZZNS1_14partition_implILS5_6ELb0ES3_mN6thrust23THRUST_200600_302600_NS6detail15normal_iteratorINSA_10device_ptrIjEEEEPS6_SG_NS0_5tupleIJNSA_16discard_iteratorINSA_11use_defaultEEES6_EEENSH_IJSG_SG_EEES6_PlJNSB_9not_fun_tI7is_trueIjEEEEEE10hipError_tPvRmT3_T4_T5_T6_T7_T9_mT8_P12ihipStream_tbDpT10_ENKUlT_T0_E_clISt17integral_constantIbLb1EES1A_IbLb0EEEEDaS16_S17_EUlS16_E_NS1_11comp_targetILNS1_3genE3ELNS1_11target_archE908ELNS1_3gpuE7ELNS1_3repE0EEENS1_30default_config_static_selectorELNS0_4arch9wavefront6targetE0EEEvT1_,"axG",@progbits,_ZN7rocprim17ROCPRIM_400000_NS6detail17trampoline_kernelINS0_14default_configENS1_25partition_config_selectorILNS1_17partition_subalgoE6EjNS0_10empty_typeEbEEZZNS1_14partition_implILS5_6ELb0ES3_mN6thrust23THRUST_200600_302600_NS6detail15normal_iteratorINSA_10device_ptrIjEEEEPS6_SG_NS0_5tupleIJNSA_16discard_iteratorINSA_11use_defaultEEES6_EEENSH_IJSG_SG_EEES6_PlJNSB_9not_fun_tI7is_trueIjEEEEEE10hipError_tPvRmT3_T4_T5_T6_T7_T9_mT8_P12ihipStream_tbDpT10_ENKUlT_T0_E_clISt17integral_constantIbLb1EES1A_IbLb0EEEEDaS16_S17_EUlS16_E_NS1_11comp_targetILNS1_3genE3ELNS1_11target_archE908ELNS1_3gpuE7ELNS1_3repE0EEENS1_30default_config_static_selectorELNS0_4arch9wavefront6targetE0EEEvT1_,comdat
.Lfunc_end2192:
	.size	_ZN7rocprim17ROCPRIM_400000_NS6detail17trampoline_kernelINS0_14default_configENS1_25partition_config_selectorILNS1_17partition_subalgoE6EjNS0_10empty_typeEbEEZZNS1_14partition_implILS5_6ELb0ES3_mN6thrust23THRUST_200600_302600_NS6detail15normal_iteratorINSA_10device_ptrIjEEEEPS6_SG_NS0_5tupleIJNSA_16discard_iteratorINSA_11use_defaultEEES6_EEENSH_IJSG_SG_EEES6_PlJNSB_9not_fun_tI7is_trueIjEEEEEE10hipError_tPvRmT3_T4_T5_T6_T7_T9_mT8_P12ihipStream_tbDpT10_ENKUlT_T0_E_clISt17integral_constantIbLb1EES1A_IbLb0EEEEDaS16_S17_EUlS16_E_NS1_11comp_targetILNS1_3genE3ELNS1_11target_archE908ELNS1_3gpuE7ELNS1_3repE0EEENS1_30default_config_static_selectorELNS0_4arch9wavefront6targetE0EEEvT1_, .Lfunc_end2192-_ZN7rocprim17ROCPRIM_400000_NS6detail17trampoline_kernelINS0_14default_configENS1_25partition_config_selectorILNS1_17partition_subalgoE6EjNS0_10empty_typeEbEEZZNS1_14partition_implILS5_6ELb0ES3_mN6thrust23THRUST_200600_302600_NS6detail15normal_iteratorINSA_10device_ptrIjEEEEPS6_SG_NS0_5tupleIJNSA_16discard_iteratorINSA_11use_defaultEEES6_EEENSH_IJSG_SG_EEES6_PlJNSB_9not_fun_tI7is_trueIjEEEEEE10hipError_tPvRmT3_T4_T5_T6_T7_T9_mT8_P12ihipStream_tbDpT10_ENKUlT_T0_E_clISt17integral_constantIbLb1EES1A_IbLb0EEEEDaS16_S17_EUlS16_E_NS1_11comp_targetILNS1_3genE3ELNS1_11target_archE908ELNS1_3gpuE7ELNS1_3repE0EEENS1_30default_config_static_selectorELNS0_4arch9wavefront6targetE0EEEvT1_
                                        ; -- End function
	.set _ZN7rocprim17ROCPRIM_400000_NS6detail17trampoline_kernelINS0_14default_configENS1_25partition_config_selectorILNS1_17partition_subalgoE6EjNS0_10empty_typeEbEEZZNS1_14partition_implILS5_6ELb0ES3_mN6thrust23THRUST_200600_302600_NS6detail15normal_iteratorINSA_10device_ptrIjEEEEPS6_SG_NS0_5tupleIJNSA_16discard_iteratorINSA_11use_defaultEEES6_EEENSH_IJSG_SG_EEES6_PlJNSB_9not_fun_tI7is_trueIjEEEEEE10hipError_tPvRmT3_T4_T5_T6_T7_T9_mT8_P12ihipStream_tbDpT10_ENKUlT_T0_E_clISt17integral_constantIbLb1EES1A_IbLb0EEEEDaS16_S17_EUlS16_E_NS1_11comp_targetILNS1_3genE3ELNS1_11target_archE908ELNS1_3gpuE7ELNS1_3repE0EEENS1_30default_config_static_selectorELNS0_4arch9wavefront6targetE0EEEvT1_.num_vgpr, 0
	.set _ZN7rocprim17ROCPRIM_400000_NS6detail17trampoline_kernelINS0_14default_configENS1_25partition_config_selectorILNS1_17partition_subalgoE6EjNS0_10empty_typeEbEEZZNS1_14partition_implILS5_6ELb0ES3_mN6thrust23THRUST_200600_302600_NS6detail15normal_iteratorINSA_10device_ptrIjEEEEPS6_SG_NS0_5tupleIJNSA_16discard_iteratorINSA_11use_defaultEEES6_EEENSH_IJSG_SG_EEES6_PlJNSB_9not_fun_tI7is_trueIjEEEEEE10hipError_tPvRmT3_T4_T5_T6_T7_T9_mT8_P12ihipStream_tbDpT10_ENKUlT_T0_E_clISt17integral_constantIbLb1EES1A_IbLb0EEEEDaS16_S17_EUlS16_E_NS1_11comp_targetILNS1_3genE3ELNS1_11target_archE908ELNS1_3gpuE7ELNS1_3repE0EEENS1_30default_config_static_selectorELNS0_4arch9wavefront6targetE0EEEvT1_.num_agpr, 0
	.set _ZN7rocprim17ROCPRIM_400000_NS6detail17trampoline_kernelINS0_14default_configENS1_25partition_config_selectorILNS1_17partition_subalgoE6EjNS0_10empty_typeEbEEZZNS1_14partition_implILS5_6ELb0ES3_mN6thrust23THRUST_200600_302600_NS6detail15normal_iteratorINSA_10device_ptrIjEEEEPS6_SG_NS0_5tupleIJNSA_16discard_iteratorINSA_11use_defaultEEES6_EEENSH_IJSG_SG_EEES6_PlJNSB_9not_fun_tI7is_trueIjEEEEEE10hipError_tPvRmT3_T4_T5_T6_T7_T9_mT8_P12ihipStream_tbDpT10_ENKUlT_T0_E_clISt17integral_constantIbLb1EES1A_IbLb0EEEEDaS16_S17_EUlS16_E_NS1_11comp_targetILNS1_3genE3ELNS1_11target_archE908ELNS1_3gpuE7ELNS1_3repE0EEENS1_30default_config_static_selectorELNS0_4arch9wavefront6targetE0EEEvT1_.numbered_sgpr, 0
	.set _ZN7rocprim17ROCPRIM_400000_NS6detail17trampoline_kernelINS0_14default_configENS1_25partition_config_selectorILNS1_17partition_subalgoE6EjNS0_10empty_typeEbEEZZNS1_14partition_implILS5_6ELb0ES3_mN6thrust23THRUST_200600_302600_NS6detail15normal_iteratorINSA_10device_ptrIjEEEEPS6_SG_NS0_5tupleIJNSA_16discard_iteratorINSA_11use_defaultEEES6_EEENSH_IJSG_SG_EEES6_PlJNSB_9not_fun_tI7is_trueIjEEEEEE10hipError_tPvRmT3_T4_T5_T6_T7_T9_mT8_P12ihipStream_tbDpT10_ENKUlT_T0_E_clISt17integral_constantIbLb1EES1A_IbLb0EEEEDaS16_S17_EUlS16_E_NS1_11comp_targetILNS1_3genE3ELNS1_11target_archE908ELNS1_3gpuE7ELNS1_3repE0EEENS1_30default_config_static_selectorELNS0_4arch9wavefront6targetE0EEEvT1_.num_named_barrier, 0
	.set _ZN7rocprim17ROCPRIM_400000_NS6detail17trampoline_kernelINS0_14default_configENS1_25partition_config_selectorILNS1_17partition_subalgoE6EjNS0_10empty_typeEbEEZZNS1_14partition_implILS5_6ELb0ES3_mN6thrust23THRUST_200600_302600_NS6detail15normal_iteratorINSA_10device_ptrIjEEEEPS6_SG_NS0_5tupleIJNSA_16discard_iteratorINSA_11use_defaultEEES6_EEENSH_IJSG_SG_EEES6_PlJNSB_9not_fun_tI7is_trueIjEEEEEE10hipError_tPvRmT3_T4_T5_T6_T7_T9_mT8_P12ihipStream_tbDpT10_ENKUlT_T0_E_clISt17integral_constantIbLb1EES1A_IbLb0EEEEDaS16_S17_EUlS16_E_NS1_11comp_targetILNS1_3genE3ELNS1_11target_archE908ELNS1_3gpuE7ELNS1_3repE0EEENS1_30default_config_static_selectorELNS0_4arch9wavefront6targetE0EEEvT1_.private_seg_size, 0
	.set _ZN7rocprim17ROCPRIM_400000_NS6detail17trampoline_kernelINS0_14default_configENS1_25partition_config_selectorILNS1_17partition_subalgoE6EjNS0_10empty_typeEbEEZZNS1_14partition_implILS5_6ELb0ES3_mN6thrust23THRUST_200600_302600_NS6detail15normal_iteratorINSA_10device_ptrIjEEEEPS6_SG_NS0_5tupleIJNSA_16discard_iteratorINSA_11use_defaultEEES6_EEENSH_IJSG_SG_EEES6_PlJNSB_9not_fun_tI7is_trueIjEEEEEE10hipError_tPvRmT3_T4_T5_T6_T7_T9_mT8_P12ihipStream_tbDpT10_ENKUlT_T0_E_clISt17integral_constantIbLb1EES1A_IbLb0EEEEDaS16_S17_EUlS16_E_NS1_11comp_targetILNS1_3genE3ELNS1_11target_archE908ELNS1_3gpuE7ELNS1_3repE0EEENS1_30default_config_static_selectorELNS0_4arch9wavefront6targetE0EEEvT1_.uses_vcc, 0
	.set _ZN7rocprim17ROCPRIM_400000_NS6detail17trampoline_kernelINS0_14default_configENS1_25partition_config_selectorILNS1_17partition_subalgoE6EjNS0_10empty_typeEbEEZZNS1_14partition_implILS5_6ELb0ES3_mN6thrust23THRUST_200600_302600_NS6detail15normal_iteratorINSA_10device_ptrIjEEEEPS6_SG_NS0_5tupleIJNSA_16discard_iteratorINSA_11use_defaultEEES6_EEENSH_IJSG_SG_EEES6_PlJNSB_9not_fun_tI7is_trueIjEEEEEE10hipError_tPvRmT3_T4_T5_T6_T7_T9_mT8_P12ihipStream_tbDpT10_ENKUlT_T0_E_clISt17integral_constantIbLb1EES1A_IbLb0EEEEDaS16_S17_EUlS16_E_NS1_11comp_targetILNS1_3genE3ELNS1_11target_archE908ELNS1_3gpuE7ELNS1_3repE0EEENS1_30default_config_static_selectorELNS0_4arch9wavefront6targetE0EEEvT1_.uses_flat_scratch, 0
	.set _ZN7rocprim17ROCPRIM_400000_NS6detail17trampoline_kernelINS0_14default_configENS1_25partition_config_selectorILNS1_17partition_subalgoE6EjNS0_10empty_typeEbEEZZNS1_14partition_implILS5_6ELb0ES3_mN6thrust23THRUST_200600_302600_NS6detail15normal_iteratorINSA_10device_ptrIjEEEEPS6_SG_NS0_5tupleIJNSA_16discard_iteratorINSA_11use_defaultEEES6_EEENSH_IJSG_SG_EEES6_PlJNSB_9not_fun_tI7is_trueIjEEEEEE10hipError_tPvRmT3_T4_T5_T6_T7_T9_mT8_P12ihipStream_tbDpT10_ENKUlT_T0_E_clISt17integral_constantIbLb1EES1A_IbLb0EEEEDaS16_S17_EUlS16_E_NS1_11comp_targetILNS1_3genE3ELNS1_11target_archE908ELNS1_3gpuE7ELNS1_3repE0EEENS1_30default_config_static_selectorELNS0_4arch9wavefront6targetE0EEEvT1_.has_dyn_sized_stack, 0
	.set _ZN7rocprim17ROCPRIM_400000_NS6detail17trampoline_kernelINS0_14default_configENS1_25partition_config_selectorILNS1_17partition_subalgoE6EjNS0_10empty_typeEbEEZZNS1_14partition_implILS5_6ELb0ES3_mN6thrust23THRUST_200600_302600_NS6detail15normal_iteratorINSA_10device_ptrIjEEEEPS6_SG_NS0_5tupleIJNSA_16discard_iteratorINSA_11use_defaultEEES6_EEENSH_IJSG_SG_EEES6_PlJNSB_9not_fun_tI7is_trueIjEEEEEE10hipError_tPvRmT3_T4_T5_T6_T7_T9_mT8_P12ihipStream_tbDpT10_ENKUlT_T0_E_clISt17integral_constantIbLb1EES1A_IbLb0EEEEDaS16_S17_EUlS16_E_NS1_11comp_targetILNS1_3genE3ELNS1_11target_archE908ELNS1_3gpuE7ELNS1_3repE0EEENS1_30default_config_static_selectorELNS0_4arch9wavefront6targetE0EEEvT1_.has_recursion, 0
	.set _ZN7rocprim17ROCPRIM_400000_NS6detail17trampoline_kernelINS0_14default_configENS1_25partition_config_selectorILNS1_17partition_subalgoE6EjNS0_10empty_typeEbEEZZNS1_14partition_implILS5_6ELb0ES3_mN6thrust23THRUST_200600_302600_NS6detail15normal_iteratorINSA_10device_ptrIjEEEEPS6_SG_NS0_5tupleIJNSA_16discard_iteratorINSA_11use_defaultEEES6_EEENSH_IJSG_SG_EEES6_PlJNSB_9not_fun_tI7is_trueIjEEEEEE10hipError_tPvRmT3_T4_T5_T6_T7_T9_mT8_P12ihipStream_tbDpT10_ENKUlT_T0_E_clISt17integral_constantIbLb1EES1A_IbLb0EEEEDaS16_S17_EUlS16_E_NS1_11comp_targetILNS1_3genE3ELNS1_11target_archE908ELNS1_3gpuE7ELNS1_3repE0EEENS1_30default_config_static_selectorELNS0_4arch9wavefront6targetE0EEEvT1_.has_indirect_call, 0
	.section	.AMDGPU.csdata,"",@progbits
; Kernel info:
; codeLenInByte = 0
; TotalNumSgprs: 0
; NumVgprs: 0
; ScratchSize: 0
; MemoryBound: 0
; FloatMode: 240
; IeeeMode: 1
; LDSByteSize: 0 bytes/workgroup (compile time only)
; SGPRBlocks: 0
; VGPRBlocks: 0
; NumSGPRsForWavesPerEU: 1
; NumVGPRsForWavesPerEU: 1
; Occupancy: 16
; WaveLimiterHint : 0
; COMPUTE_PGM_RSRC2:SCRATCH_EN: 0
; COMPUTE_PGM_RSRC2:USER_SGPR: 2
; COMPUTE_PGM_RSRC2:TRAP_HANDLER: 0
; COMPUTE_PGM_RSRC2:TGID_X_EN: 1
; COMPUTE_PGM_RSRC2:TGID_Y_EN: 0
; COMPUTE_PGM_RSRC2:TGID_Z_EN: 0
; COMPUTE_PGM_RSRC2:TIDIG_COMP_CNT: 0
	.section	.text._ZN7rocprim17ROCPRIM_400000_NS6detail17trampoline_kernelINS0_14default_configENS1_25partition_config_selectorILNS1_17partition_subalgoE6EjNS0_10empty_typeEbEEZZNS1_14partition_implILS5_6ELb0ES3_mN6thrust23THRUST_200600_302600_NS6detail15normal_iteratorINSA_10device_ptrIjEEEEPS6_SG_NS0_5tupleIJNSA_16discard_iteratorINSA_11use_defaultEEES6_EEENSH_IJSG_SG_EEES6_PlJNSB_9not_fun_tI7is_trueIjEEEEEE10hipError_tPvRmT3_T4_T5_T6_T7_T9_mT8_P12ihipStream_tbDpT10_ENKUlT_T0_E_clISt17integral_constantIbLb1EES1A_IbLb0EEEEDaS16_S17_EUlS16_E_NS1_11comp_targetILNS1_3genE2ELNS1_11target_archE906ELNS1_3gpuE6ELNS1_3repE0EEENS1_30default_config_static_selectorELNS0_4arch9wavefront6targetE0EEEvT1_,"axG",@progbits,_ZN7rocprim17ROCPRIM_400000_NS6detail17trampoline_kernelINS0_14default_configENS1_25partition_config_selectorILNS1_17partition_subalgoE6EjNS0_10empty_typeEbEEZZNS1_14partition_implILS5_6ELb0ES3_mN6thrust23THRUST_200600_302600_NS6detail15normal_iteratorINSA_10device_ptrIjEEEEPS6_SG_NS0_5tupleIJNSA_16discard_iteratorINSA_11use_defaultEEES6_EEENSH_IJSG_SG_EEES6_PlJNSB_9not_fun_tI7is_trueIjEEEEEE10hipError_tPvRmT3_T4_T5_T6_T7_T9_mT8_P12ihipStream_tbDpT10_ENKUlT_T0_E_clISt17integral_constantIbLb1EES1A_IbLb0EEEEDaS16_S17_EUlS16_E_NS1_11comp_targetILNS1_3genE2ELNS1_11target_archE906ELNS1_3gpuE6ELNS1_3repE0EEENS1_30default_config_static_selectorELNS0_4arch9wavefront6targetE0EEEvT1_,comdat
	.protected	_ZN7rocprim17ROCPRIM_400000_NS6detail17trampoline_kernelINS0_14default_configENS1_25partition_config_selectorILNS1_17partition_subalgoE6EjNS0_10empty_typeEbEEZZNS1_14partition_implILS5_6ELb0ES3_mN6thrust23THRUST_200600_302600_NS6detail15normal_iteratorINSA_10device_ptrIjEEEEPS6_SG_NS0_5tupleIJNSA_16discard_iteratorINSA_11use_defaultEEES6_EEENSH_IJSG_SG_EEES6_PlJNSB_9not_fun_tI7is_trueIjEEEEEE10hipError_tPvRmT3_T4_T5_T6_T7_T9_mT8_P12ihipStream_tbDpT10_ENKUlT_T0_E_clISt17integral_constantIbLb1EES1A_IbLb0EEEEDaS16_S17_EUlS16_E_NS1_11comp_targetILNS1_3genE2ELNS1_11target_archE906ELNS1_3gpuE6ELNS1_3repE0EEENS1_30default_config_static_selectorELNS0_4arch9wavefront6targetE0EEEvT1_ ; -- Begin function _ZN7rocprim17ROCPRIM_400000_NS6detail17trampoline_kernelINS0_14default_configENS1_25partition_config_selectorILNS1_17partition_subalgoE6EjNS0_10empty_typeEbEEZZNS1_14partition_implILS5_6ELb0ES3_mN6thrust23THRUST_200600_302600_NS6detail15normal_iteratorINSA_10device_ptrIjEEEEPS6_SG_NS0_5tupleIJNSA_16discard_iteratorINSA_11use_defaultEEES6_EEENSH_IJSG_SG_EEES6_PlJNSB_9not_fun_tI7is_trueIjEEEEEE10hipError_tPvRmT3_T4_T5_T6_T7_T9_mT8_P12ihipStream_tbDpT10_ENKUlT_T0_E_clISt17integral_constantIbLb1EES1A_IbLb0EEEEDaS16_S17_EUlS16_E_NS1_11comp_targetILNS1_3genE2ELNS1_11target_archE906ELNS1_3gpuE6ELNS1_3repE0EEENS1_30default_config_static_selectorELNS0_4arch9wavefront6targetE0EEEvT1_
	.globl	_ZN7rocprim17ROCPRIM_400000_NS6detail17trampoline_kernelINS0_14default_configENS1_25partition_config_selectorILNS1_17partition_subalgoE6EjNS0_10empty_typeEbEEZZNS1_14partition_implILS5_6ELb0ES3_mN6thrust23THRUST_200600_302600_NS6detail15normal_iteratorINSA_10device_ptrIjEEEEPS6_SG_NS0_5tupleIJNSA_16discard_iteratorINSA_11use_defaultEEES6_EEENSH_IJSG_SG_EEES6_PlJNSB_9not_fun_tI7is_trueIjEEEEEE10hipError_tPvRmT3_T4_T5_T6_T7_T9_mT8_P12ihipStream_tbDpT10_ENKUlT_T0_E_clISt17integral_constantIbLb1EES1A_IbLb0EEEEDaS16_S17_EUlS16_E_NS1_11comp_targetILNS1_3genE2ELNS1_11target_archE906ELNS1_3gpuE6ELNS1_3repE0EEENS1_30default_config_static_selectorELNS0_4arch9wavefront6targetE0EEEvT1_
	.p2align	8
	.type	_ZN7rocprim17ROCPRIM_400000_NS6detail17trampoline_kernelINS0_14default_configENS1_25partition_config_selectorILNS1_17partition_subalgoE6EjNS0_10empty_typeEbEEZZNS1_14partition_implILS5_6ELb0ES3_mN6thrust23THRUST_200600_302600_NS6detail15normal_iteratorINSA_10device_ptrIjEEEEPS6_SG_NS0_5tupleIJNSA_16discard_iteratorINSA_11use_defaultEEES6_EEENSH_IJSG_SG_EEES6_PlJNSB_9not_fun_tI7is_trueIjEEEEEE10hipError_tPvRmT3_T4_T5_T6_T7_T9_mT8_P12ihipStream_tbDpT10_ENKUlT_T0_E_clISt17integral_constantIbLb1EES1A_IbLb0EEEEDaS16_S17_EUlS16_E_NS1_11comp_targetILNS1_3genE2ELNS1_11target_archE906ELNS1_3gpuE6ELNS1_3repE0EEENS1_30default_config_static_selectorELNS0_4arch9wavefront6targetE0EEEvT1_,@function
_ZN7rocprim17ROCPRIM_400000_NS6detail17trampoline_kernelINS0_14default_configENS1_25partition_config_selectorILNS1_17partition_subalgoE6EjNS0_10empty_typeEbEEZZNS1_14partition_implILS5_6ELb0ES3_mN6thrust23THRUST_200600_302600_NS6detail15normal_iteratorINSA_10device_ptrIjEEEEPS6_SG_NS0_5tupleIJNSA_16discard_iteratorINSA_11use_defaultEEES6_EEENSH_IJSG_SG_EEES6_PlJNSB_9not_fun_tI7is_trueIjEEEEEE10hipError_tPvRmT3_T4_T5_T6_T7_T9_mT8_P12ihipStream_tbDpT10_ENKUlT_T0_E_clISt17integral_constantIbLb1EES1A_IbLb0EEEEDaS16_S17_EUlS16_E_NS1_11comp_targetILNS1_3genE2ELNS1_11target_archE906ELNS1_3gpuE6ELNS1_3repE0EEENS1_30default_config_static_selectorELNS0_4arch9wavefront6targetE0EEEvT1_: ; @_ZN7rocprim17ROCPRIM_400000_NS6detail17trampoline_kernelINS0_14default_configENS1_25partition_config_selectorILNS1_17partition_subalgoE6EjNS0_10empty_typeEbEEZZNS1_14partition_implILS5_6ELb0ES3_mN6thrust23THRUST_200600_302600_NS6detail15normal_iteratorINSA_10device_ptrIjEEEEPS6_SG_NS0_5tupleIJNSA_16discard_iteratorINSA_11use_defaultEEES6_EEENSH_IJSG_SG_EEES6_PlJNSB_9not_fun_tI7is_trueIjEEEEEE10hipError_tPvRmT3_T4_T5_T6_T7_T9_mT8_P12ihipStream_tbDpT10_ENKUlT_T0_E_clISt17integral_constantIbLb1EES1A_IbLb0EEEEDaS16_S17_EUlS16_E_NS1_11comp_targetILNS1_3genE2ELNS1_11target_archE906ELNS1_3gpuE6ELNS1_3repE0EEENS1_30default_config_static_selectorELNS0_4arch9wavefront6targetE0EEEvT1_
; %bb.0:
	.section	.rodata,"a",@progbits
	.p2align	6, 0x0
	.amdhsa_kernel _ZN7rocprim17ROCPRIM_400000_NS6detail17trampoline_kernelINS0_14default_configENS1_25partition_config_selectorILNS1_17partition_subalgoE6EjNS0_10empty_typeEbEEZZNS1_14partition_implILS5_6ELb0ES3_mN6thrust23THRUST_200600_302600_NS6detail15normal_iteratorINSA_10device_ptrIjEEEEPS6_SG_NS0_5tupleIJNSA_16discard_iteratorINSA_11use_defaultEEES6_EEENSH_IJSG_SG_EEES6_PlJNSB_9not_fun_tI7is_trueIjEEEEEE10hipError_tPvRmT3_T4_T5_T6_T7_T9_mT8_P12ihipStream_tbDpT10_ENKUlT_T0_E_clISt17integral_constantIbLb1EES1A_IbLb0EEEEDaS16_S17_EUlS16_E_NS1_11comp_targetILNS1_3genE2ELNS1_11target_archE906ELNS1_3gpuE6ELNS1_3repE0EEENS1_30default_config_static_selectorELNS0_4arch9wavefront6targetE0EEEvT1_
		.amdhsa_group_segment_fixed_size 0
		.amdhsa_private_segment_fixed_size 0
		.amdhsa_kernarg_size 120
		.amdhsa_user_sgpr_count 2
		.amdhsa_user_sgpr_dispatch_ptr 0
		.amdhsa_user_sgpr_queue_ptr 0
		.amdhsa_user_sgpr_kernarg_segment_ptr 1
		.amdhsa_user_sgpr_dispatch_id 0
		.amdhsa_user_sgpr_private_segment_size 0
		.amdhsa_wavefront_size32 1
		.amdhsa_uses_dynamic_stack 0
		.amdhsa_enable_private_segment 0
		.amdhsa_system_sgpr_workgroup_id_x 1
		.amdhsa_system_sgpr_workgroup_id_y 0
		.amdhsa_system_sgpr_workgroup_id_z 0
		.amdhsa_system_sgpr_workgroup_info 0
		.amdhsa_system_vgpr_workitem_id 0
		.amdhsa_next_free_vgpr 1
		.amdhsa_next_free_sgpr 1
		.amdhsa_reserve_vcc 0
		.amdhsa_float_round_mode_32 0
		.amdhsa_float_round_mode_16_64 0
		.amdhsa_float_denorm_mode_32 3
		.amdhsa_float_denorm_mode_16_64 3
		.amdhsa_fp16_overflow 0
		.amdhsa_workgroup_processor_mode 1
		.amdhsa_memory_ordered 1
		.amdhsa_forward_progress 1
		.amdhsa_inst_pref_size 0
		.amdhsa_round_robin_scheduling 0
		.amdhsa_exception_fp_ieee_invalid_op 0
		.amdhsa_exception_fp_denorm_src 0
		.amdhsa_exception_fp_ieee_div_zero 0
		.amdhsa_exception_fp_ieee_overflow 0
		.amdhsa_exception_fp_ieee_underflow 0
		.amdhsa_exception_fp_ieee_inexact 0
		.amdhsa_exception_int_div_zero 0
	.end_amdhsa_kernel
	.section	.text._ZN7rocprim17ROCPRIM_400000_NS6detail17trampoline_kernelINS0_14default_configENS1_25partition_config_selectorILNS1_17partition_subalgoE6EjNS0_10empty_typeEbEEZZNS1_14partition_implILS5_6ELb0ES3_mN6thrust23THRUST_200600_302600_NS6detail15normal_iteratorINSA_10device_ptrIjEEEEPS6_SG_NS0_5tupleIJNSA_16discard_iteratorINSA_11use_defaultEEES6_EEENSH_IJSG_SG_EEES6_PlJNSB_9not_fun_tI7is_trueIjEEEEEE10hipError_tPvRmT3_T4_T5_T6_T7_T9_mT8_P12ihipStream_tbDpT10_ENKUlT_T0_E_clISt17integral_constantIbLb1EES1A_IbLb0EEEEDaS16_S17_EUlS16_E_NS1_11comp_targetILNS1_3genE2ELNS1_11target_archE906ELNS1_3gpuE6ELNS1_3repE0EEENS1_30default_config_static_selectorELNS0_4arch9wavefront6targetE0EEEvT1_,"axG",@progbits,_ZN7rocprim17ROCPRIM_400000_NS6detail17trampoline_kernelINS0_14default_configENS1_25partition_config_selectorILNS1_17partition_subalgoE6EjNS0_10empty_typeEbEEZZNS1_14partition_implILS5_6ELb0ES3_mN6thrust23THRUST_200600_302600_NS6detail15normal_iteratorINSA_10device_ptrIjEEEEPS6_SG_NS0_5tupleIJNSA_16discard_iteratorINSA_11use_defaultEEES6_EEENSH_IJSG_SG_EEES6_PlJNSB_9not_fun_tI7is_trueIjEEEEEE10hipError_tPvRmT3_T4_T5_T6_T7_T9_mT8_P12ihipStream_tbDpT10_ENKUlT_T0_E_clISt17integral_constantIbLb1EES1A_IbLb0EEEEDaS16_S17_EUlS16_E_NS1_11comp_targetILNS1_3genE2ELNS1_11target_archE906ELNS1_3gpuE6ELNS1_3repE0EEENS1_30default_config_static_selectorELNS0_4arch9wavefront6targetE0EEEvT1_,comdat
.Lfunc_end2193:
	.size	_ZN7rocprim17ROCPRIM_400000_NS6detail17trampoline_kernelINS0_14default_configENS1_25partition_config_selectorILNS1_17partition_subalgoE6EjNS0_10empty_typeEbEEZZNS1_14partition_implILS5_6ELb0ES3_mN6thrust23THRUST_200600_302600_NS6detail15normal_iteratorINSA_10device_ptrIjEEEEPS6_SG_NS0_5tupleIJNSA_16discard_iteratorINSA_11use_defaultEEES6_EEENSH_IJSG_SG_EEES6_PlJNSB_9not_fun_tI7is_trueIjEEEEEE10hipError_tPvRmT3_T4_T5_T6_T7_T9_mT8_P12ihipStream_tbDpT10_ENKUlT_T0_E_clISt17integral_constantIbLb1EES1A_IbLb0EEEEDaS16_S17_EUlS16_E_NS1_11comp_targetILNS1_3genE2ELNS1_11target_archE906ELNS1_3gpuE6ELNS1_3repE0EEENS1_30default_config_static_selectorELNS0_4arch9wavefront6targetE0EEEvT1_, .Lfunc_end2193-_ZN7rocprim17ROCPRIM_400000_NS6detail17trampoline_kernelINS0_14default_configENS1_25partition_config_selectorILNS1_17partition_subalgoE6EjNS0_10empty_typeEbEEZZNS1_14partition_implILS5_6ELb0ES3_mN6thrust23THRUST_200600_302600_NS6detail15normal_iteratorINSA_10device_ptrIjEEEEPS6_SG_NS0_5tupleIJNSA_16discard_iteratorINSA_11use_defaultEEES6_EEENSH_IJSG_SG_EEES6_PlJNSB_9not_fun_tI7is_trueIjEEEEEE10hipError_tPvRmT3_T4_T5_T6_T7_T9_mT8_P12ihipStream_tbDpT10_ENKUlT_T0_E_clISt17integral_constantIbLb1EES1A_IbLb0EEEEDaS16_S17_EUlS16_E_NS1_11comp_targetILNS1_3genE2ELNS1_11target_archE906ELNS1_3gpuE6ELNS1_3repE0EEENS1_30default_config_static_selectorELNS0_4arch9wavefront6targetE0EEEvT1_
                                        ; -- End function
	.set _ZN7rocprim17ROCPRIM_400000_NS6detail17trampoline_kernelINS0_14default_configENS1_25partition_config_selectorILNS1_17partition_subalgoE6EjNS0_10empty_typeEbEEZZNS1_14partition_implILS5_6ELb0ES3_mN6thrust23THRUST_200600_302600_NS6detail15normal_iteratorINSA_10device_ptrIjEEEEPS6_SG_NS0_5tupleIJNSA_16discard_iteratorINSA_11use_defaultEEES6_EEENSH_IJSG_SG_EEES6_PlJNSB_9not_fun_tI7is_trueIjEEEEEE10hipError_tPvRmT3_T4_T5_T6_T7_T9_mT8_P12ihipStream_tbDpT10_ENKUlT_T0_E_clISt17integral_constantIbLb1EES1A_IbLb0EEEEDaS16_S17_EUlS16_E_NS1_11comp_targetILNS1_3genE2ELNS1_11target_archE906ELNS1_3gpuE6ELNS1_3repE0EEENS1_30default_config_static_selectorELNS0_4arch9wavefront6targetE0EEEvT1_.num_vgpr, 0
	.set _ZN7rocprim17ROCPRIM_400000_NS6detail17trampoline_kernelINS0_14default_configENS1_25partition_config_selectorILNS1_17partition_subalgoE6EjNS0_10empty_typeEbEEZZNS1_14partition_implILS5_6ELb0ES3_mN6thrust23THRUST_200600_302600_NS6detail15normal_iteratorINSA_10device_ptrIjEEEEPS6_SG_NS0_5tupleIJNSA_16discard_iteratorINSA_11use_defaultEEES6_EEENSH_IJSG_SG_EEES6_PlJNSB_9not_fun_tI7is_trueIjEEEEEE10hipError_tPvRmT3_T4_T5_T6_T7_T9_mT8_P12ihipStream_tbDpT10_ENKUlT_T0_E_clISt17integral_constantIbLb1EES1A_IbLb0EEEEDaS16_S17_EUlS16_E_NS1_11comp_targetILNS1_3genE2ELNS1_11target_archE906ELNS1_3gpuE6ELNS1_3repE0EEENS1_30default_config_static_selectorELNS0_4arch9wavefront6targetE0EEEvT1_.num_agpr, 0
	.set _ZN7rocprim17ROCPRIM_400000_NS6detail17trampoline_kernelINS0_14default_configENS1_25partition_config_selectorILNS1_17partition_subalgoE6EjNS0_10empty_typeEbEEZZNS1_14partition_implILS5_6ELb0ES3_mN6thrust23THRUST_200600_302600_NS6detail15normal_iteratorINSA_10device_ptrIjEEEEPS6_SG_NS0_5tupleIJNSA_16discard_iteratorINSA_11use_defaultEEES6_EEENSH_IJSG_SG_EEES6_PlJNSB_9not_fun_tI7is_trueIjEEEEEE10hipError_tPvRmT3_T4_T5_T6_T7_T9_mT8_P12ihipStream_tbDpT10_ENKUlT_T0_E_clISt17integral_constantIbLb1EES1A_IbLb0EEEEDaS16_S17_EUlS16_E_NS1_11comp_targetILNS1_3genE2ELNS1_11target_archE906ELNS1_3gpuE6ELNS1_3repE0EEENS1_30default_config_static_selectorELNS0_4arch9wavefront6targetE0EEEvT1_.numbered_sgpr, 0
	.set _ZN7rocprim17ROCPRIM_400000_NS6detail17trampoline_kernelINS0_14default_configENS1_25partition_config_selectorILNS1_17partition_subalgoE6EjNS0_10empty_typeEbEEZZNS1_14partition_implILS5_6ELb0ES3_mN6thrust23THRUST_200600_302600_NS6detail15normal_iteratorINSA_10device_ptrIjEEEEPS6_SG_NS0_5tupleIJNSA_16discard_iteratorINSA_11use_defaultEEES6_EEENSH_IJSG_SG_EEES6_PlJNSB_9not_fun_tI7is_trueIjEEEEEE10hipError_tPvRmT3_T4_T5_T6_T7_T9_mT8_P12ihipStream_tbDpT10_ENKUlT_T0_E_clISt17integral_constantIbLb1EES1A_IbLb0EEEEDaS16_S17_EUlS16_E_NS1_11comp_targetILNS1_3genE2ELNS1_11target_archE906ELNS1_3gpuE6ELNS1_3repE0EEENS1_30default_config_static_selectorELNS0_4arch9wavefront6targetE0EEEvT1_.num_named_barrier, 0
	.set _ZN7rocprim17ROCPRIM_400000_NS6detail17trampoline_kernelINS0_14default_configENS1_25partition_config_selectorILNS1_17partition_subalgoE6EjNS0_10empty_typeEbEEZZNS1_14partition_implILS5_6ELb0ES3_mN6thrust23THRUST_200600_302600_NS6detail15normal_iteratorINSA_10device_ptrIjEEEEPS6_SG_NS0_5tupleIJNSA_16discard_iteratorINSA_11use_defaultEEES6_EEENSH_IJSG_SG_EEES6_PlJNSB_9not_fun_tI7is_trueIjEEEEEE10hipError_tPvRmT3_T4_T5_T6_T7_T9_mT8_P12ihipStream_tbDpT10_ENKUlT_T0_E_clISt17integral_constantIbLb1EES1A_IbLb0EEEEDaS16_S17_EUlS16_E_NS1_11comp_targetILNS1_3genE2ELNS1_11target_archE906ELNS1_3gpuE6ELNS1_3repE0EEENS1_30default_config_static_selectorELNS0_4arch9wavefront6targetE0EEEvT1_.private_seg_size, 0
	.set _ZN7rocprim17ROCPRIM_400000_NS6detail17trampoline_kernelINS0_14default_configENS1_25partition_config_selectorILNS1_17partition_subalgoE6EjNS0_10empty_typeEbEEZZNS1_14partition_implILS5_6ELb0ES3_mN6thrust23THRUST_200600_302600_NS6detail15normal_iteratorINSA_10device_ptrIjEEEEPS6_SG_NS0_5tupleIJNSA_16discard_iteratorINSA_11use_defaultEEES6_EEENSH_IJSG_SG_EEES6_PlJNSB_9not_fun_tI7is_trueIjEEEEEE10hipError_tPvRmT3_T4_T5_T6_T7_T9_mT8_P12ihipStream_tbDpT10_ENKUlT_T0_E_clISt17integral_constantIbLb1EES1A_IbLb0EEEEDaS16_S17_EUlS16_E_NS1_11comp_targetILNS1_3genE2ELNS1_11target_archE906ELNS1_3gpuE6ELNS1_3repE0EEENS1_30default_config_static_selectorELNS0_4arch9wavefront6targetE0EEEvT1_.uses_vcc, 0
	.set _ZN7rocprim17ROCPRIM_400000_NS6detail17trampoline_kernelINS0_14default_configENS1_25partition_config_selectorILNS1_17partition_subalgoE6EjNS0_10empty_typeEbEEZZNS1_14partition_implILS5_6ELb0ES3_mN6thrust23THRUST_200600_302600_NS6detail15normal_iteratorINSA_10device_ptrIjEEEEPS6_SG_NS0_5tupleIJNSA_16discard_iteratorINSA_11use_defaultEEES6_EEENSH_IJSG_SG_EEES6_PlJNSB_9not_fun_tI7is_trueIjEEEEEE10hipError_tPvRmT3_T4_T5_T6_T7_T9_mT8_P12ihipStream_tbDpT10_ENKUlT_T0_E_clISt17integral_constantIbLb1EES1A_IbLb0EEEEDaS16_S17_EUlS16_E_NS1_11comp_targetILNS1_3genE2ELNS1_11target_archE906ELNS1_3gpuE6ELNS1_3repE0EEENS1_30default_config_static_selectorELNS0_4arch9wavefront6targetE0EEEvT1_.uses_flat_scratch, 0
	.set _ZN7rocprim17ROCPRIM_400000_NS6detail17trampoline_kernelINS0_14default_configENS1_25partition_config_selectorILNS1_17partition_subalgoE6EjNS0_10empty_typeEbEEZZNS1_14partition_implILS5_6ELb0ES3_mN6thrust23THRUST_200600_302600_NS6detail15normal_iteratorINSA_10device_ptrIjEEEEPS6_SG_NS0_5tupleIJNSA_16discard_iteratorINSA_11use_defaultEEES6_EEENSH_IJSG_SG_EEES6_PlJNSB_9not_fun_tI7is_trueIjEEEEEE10hipError_tPvRmT3_T4_T5_T6_T7_T9_mT8_P12ihipStream_tbDpT10_ENKUlT_T0_E_clISt17integral_constantIbLb1EES1A_IbLb0EEEEDaS16_S17_EUlS16_E_NS1_11comp_targetILNS1_3genE2ELNS1_11target_archE906ELNS1_3gpuE6ELNS1_3repE0EEENS1_30default_config_static_selectorELNS0_4arch9wavefront6targetE0EEEvT1_.has_dyn_sized_stack, 0
	.set _ZN7rocprim17ROCPRIM_400000_NS6detail17trampoline_kernelINS0_14default_configENS1_25partition_config_selectorILNS1_17partition_subalgoE6EjNS0_10empty_typeEbEEZZNS1_14partition_implILS5_6ELb0ES3_mN6thrust23THRUST_200600_302600_NS6detail15normal_iteratorINSA_10device_ptrIjEEEEPS6_SG_NS0_5tupleIJNSA_16discard_iteratorINSA_11use_defaultEEES6_EEENSH_IJSG_SG_EEES6_PlJNSB_9not_fun_tI7is_trueIjEEEEEE10hipError_tPvRmT3_T4_T5_T6_T7_T9_mT8_P12ihipStream_tbDpT10_ENKUlT_T0_E_clISt17integral_constantIbLb1EES1A_IbLb0EEEEDaS16_S17_EUlS16_E_NS1_11comp_targetILNS1_3genE2ELNS1_11target_archE906ELNS1_3gpuE6ELNS1_3repE0EEENS1_30default_config_static_selectorELNS0_4arch9wavefront6targetE0EEEvT1_.has_recursion, 0
	.set _ZN7rocprim17ROCPRIM_400000_NS6detail17trampoline_kernelINS0_14default_configENS1_25partition_config_selectorILNS1_17partition_subalgoE6EjNS0_10empty_typeEbEEZZNS1_14partition_implILS5_6ELb0ES3_mN6thrust23THRUST_200600_302600_NS6detail15normal_iteratorINSA_10device_ptrIjEEEEPS6_SG_NS0_5tupleIJNSA_16discard_iteratorINSA_11use_defaultEEES6_EEENSH_IJSG_SG_EEES6_PlJNSB_9not_fun_tI7is_trueIjEEEEEE10hipError_tPvRmT3_T4_T5_T6_T7_T9_mT8_P12ihipStream_tbDpT10_ENKUlT_T0_E_clISt17integral_constantIbLb1EES1A_IbLb0EEEEDaS16_S17_EUlS16_E_NS1_11comp_targetILNS1_3genE2ELNS1_11target_archE906ELNS1_3gpuE6ELNS1_3repE0EEENS1_30default_config_static_selectorELNS0_4arch9wavefront6targetE0EEEvT1_.has_indirect_call, 0
	.section	.AMDGPU.csdata,"",@progbits
; Kernel info:
; codeLenInByte = 0
; TotalNumSgprs: 0
; NumVgprs: 0
; ScratchSize: 0
; MemoryBound: 0
; FloatMode: 240
; IeeeMode: 1
; LDSByteSize: 0 bytes/workgroup (compile time only)
; SGPRBlocks: 0
; VGPRBlocks: 0
; NumSGPRsForWavesPerEU: 1
; NumVGPRsForWavesPerEU: 1
; Occupancy: 16
; WaveLimiterHint : 0
; COMPUTE_PGM_RSRC2:SCRATCH_EN: 0
; COMPUTE_PGM_RSRC2:USER_SGPR: 2
; COMPUTE_PGM_RSRC2:TRAP_HANDLER: 0
; COMPUTE_PGM_RSRC2:TGID_X_EN: 1
; COMPUTE_PGM_RSRC2:TGID_Y_EN: 0
; COMPUTE_PGM_RSRC2:TGID_Z_EN: 0
; COMPUTE_PGM_RSRC2:TIDIG_COMP_CNT: 0
	.section	.text._ZN7rocprim17ROCPRIM_400000_NS6detail17trampoline_kernelINS0_14default_configENS1_25partition_config_selectorILNS1_17partition_subalgoE6EjNS0_10empty_typeEbEEZZNS1_14partition_implILS5_6ELb0ES3_mN6thrust23THRUST_200600_302600_NS6detail15normal_iteratorINSA_10device_ptrIjEEEEPS6_SG_NS0_5tupleIJNSA_16discard_iteratorINSA_11use_defaultEEES6_EEENSH_IJSG_SG_EEES6_PlJNSB_9not_fun_tI7is_trueIjEEEEEE10hipError_tPvRmT3_T4_T5_T6_T7_T9_mT8_P12ihipStream_tbDpT10_ENKUlT_T0_E_clISt17integral_constantIbLb1EES1A_IbLb0EEEEDaS16_S17_EUlS16_E_NS1_11comp_targetILNS1_3genE10ELNS1_11target_archE1200ELNS1_3gpuE4ELNS1_3repE0EEENS1_30default_config_static_selectorELNS0_4arch9wavefront6targetE0EEEvT1_,"axG",@progbits,_ZN7rocprim17ROCPRIM_400000_NS6detail17trampoline_kernelINS0_14default_configENS1_25partition_config_selectorILNS1_17partition_subalgoE6EjNS0_10empty_typeEbEEZZNS1_14partition_implILS5_6ELb0ES3_mN6thrust23THRUST_200600_302600_NS6detail15normal_iteratorINSA_10device_ptrIjEEEEPS6_SG_NS0_5tupleIJNSA_16discard_iteratorINSA_11use_defaultEEES6_EEENSH_IJSG_SG_EEES6_PlJNSB_9not_fun_tI7is_trueIjEEEEEE10hipError_tPvRmT3_T4_T5_T6_T7_T9_mT8_P12ihipStream_tbDpT10_ENKUlT_T0_E_clISt17integral_constantIbLb1EES1A_IbLb0EEEEDaS16_S17_EUlS16_E_NS1_11comp_targetILNS1_3genE10ELNS1_11target_archE1200ELNS1_3gpuE4ELNS1_3repE0EEENS1_30default_config_static_selectorELNS0_4arch9wavefront6targetE0EEEvT1_,comdat
	.protected	_ZN7rocprim17ROCPRIM_400000_NS6detail17trampoline_kernelINS0_14default_configENS1_25partition_config_selectorILNS1_17partition_subalgoE6EjNS0_10empty_typeEbEEZZNS1_14partition_implILS5_6ELb0ES3_mN6thrust23THRUST_200600_302600_NS6detail15normal_iteratorINSA_10device_ptrIjEEEEPS6_SG_NS0_5tupleIJNSA_16discard_iteratorINSA_11use_defaultEEES6_EEENSH_IJSG_SG_EEES6_PlJNSB_9not_fun_tI7is_trueIjEEEEEE10hipError_tPvRmT3_T4_T5_T6_T7_T9_mT8_P12ihipStream_tbDpT10_ENKUlT_T0_E_clISt17integral_constantIbLb1EES1A_IbLb0EEEEDaS16_S17_EUlS16_E_NS1_11comp_targetILNS1_3genE10ELNS1_11target_archE1200ELNS1_3gpuE4ELNS1_3repE0EEENS1_30default_config_static_selectorELNS0_4arch9wavefront6targetE0EEEvT1_ ; -- Begin function _ZN7rocprim17ROCPRIM_400000_NS6detail17trampoline_kernelINS0_14default_configENS1_25partition_config_selectorILNS1_17partition_subalgoE6EjNS0_10empty_typeEbEEZZNS1_14partition_implILS5_6ELb0ES3_mN6thrust23THRUST_200600_302600_NS6detail15normal_iteratorINSA_10device_ptrIjEEEEPS6_SG_NS0_5tupleIJNSA_16discard_iteratorINSA_11use_defaultEEES6_EEENSH_IJSG_SG_EEES6_PlJNSB_9not_fun_tI7is_trueIjEEEEEE10hipError_tPvRmT3_T4_T5_T6_T7_T9_mT8_P12ihipStream_tbDpT10_ENKUlT_T0_E_clISt17integral_constantIbLb1EES1A_IbLb0EEEEDaS16_S17_EUlS16_E_NS1_11comp_targetILNS1_3genE10ELNS1_11target_archE1200ELNS1_3gpuE4ELNS1_3repE0EEENS1_30default_config_static_selectorELNS0_4arch9wavefront6targetE0EEEvT1_
	.globl	_ZN7rocprim17ROCPRIM_400000_NS6detail17trampoline_kernelINS0_14default_configENS1_25partition_config_selectorILNS1_17partition_subalgoE6EjNS0_10empty_typeEbEEZZNS1_14partition_implILS5_6ELb0ES3_mN6thrust23THRUST_200600_302600_NS6detail15normal_iteratorINSA_10device_ptrIjEEEEPS6_SG_NS0_5tupleIJNSA_16discard_iteratorINSA_11use_defaultEEES6_EEENSH_IJSG_SG_EEES6_PlJNSB_9not_fun_tI7is_trueIjEEEEEE10hipError_tPvRmT3_T4_T5_T6_T7_T9_mT8_P12ihipStream_tbDpT10_ENKUlT_T0_E_clISt17integral_constantIbLb1EES1A_IbLb0EEEEDaS16_S17_EUlS16_E_NS1_11comp_targetILNS1_3genE10ELNS1_11target_archE1200ELNS1_3gpuE4ELNS1_3repE0EEENS1_30default_config_static_selectorELNS0_4arch9wavefront6targetE0EEEvT1_
	.p2align	8
	.type	_ZN7rocprim17ROCPRIM_400000_NS6detail17trampoline_kernelINS0_14default_configENS1_25partition_config_selectorILNS1_17partition_subalgoE6EjNS0_10empty_typeEbEEZZNS1_14partition_implILS5_6ELb0ES3_mN6thrust23THRUST_200600_302600_NS6detail15normal_iteratorINSA_10device_ptrIjEEEEPS6_SG_NS0_5tupleIJNSA_16discard_iteratorINSA_11use_defaultEEES6_EEENSH_IJSG_SG_EEES6_PlJNSB_9not_fun_tI7is_trueIjEEEEEE10hipError_tPvRmT3_T4_T5_T6_T7_T9_mT8_P12ihipStream_tbDpT10_ENKUlT_T0_E_clISt17integral_constantIbLb1EES1A_IbLb0EEEEDaS16_S17_EUlS16_E_NS1_11comp_targetILNS1_3genE10ELNS1_11target_archE1200ELNS1_3gpuE4ELNS1_3repE0EEENS1_30default_config_static_selectorELNS0_4arch9wavefront6targetE0EEEvT1_,@function
_ZN7rocprim17ROCPRIM_400000_NS6detail17trampoline_kernelINS0_14default_configENS1_25partition_config_selectorILNS1_17partition_subalgoE6EjNS0_10empty_typeEbEEZZNS1_14partition_implILS5_6ELb0ES3_mN6thrust23THRUST_200600_302600_NS6detail15normal_iteratorINSA_10device_ptrIjEEEEPS6_SG_NS0_5tupleIJNSA_16discard_iteratorINSA_11use_defaultEEES6_EEENSH_IJSG_SG_EEES6_PlJNSB_9not_fun_tI7is_trueIjEEEEEE10hipError_tPvRmT3_T4_T5_T6_T7_T9_mT8_P12ihipStream_tbDpT10_ENKUlT_T0_E_clISt17integral_constantIbLb1EES1A_IbLb0EEEEDaS16_S17_EUlS16_E_NS1_11comp_targetILNS1_3genE10ELNS1_11target_archE1200ELNS1_3gpuE4ELNS1_3repE0EEENS1_30default_config_static_selectorELNS0_4arch9wavefront6targetE0EEEvT1_: ; @_ZN7rocprim17ROCPRIM_400000_NS6detail17trampoline_kernelINS0_14default_configENS1_25partition_config_selectorILNS1_17partition_subalgoE6EjNS0_10empty_typeEbEEZZNS1_14partition_implILS5_6ELb0ES3_mN6thrust23THRUST_200600_302600_NS6detail15normal_iteratorINSA_10device_ptrIjEEEEPS6_SG_NS0_5tupleIJNSA_16discard_iteratorINSA_11use_defaultEEES6_EEENSH_IJSG_SG_EEES6_PlJNSB_9not_fun_tI7is_trueIjEEEEEE10hipError_tPvRmT3_T4_T5_T6_T7_T9_mT8_P12ihipStream_tbDpT10_ENKUlT_T0_E_clISt17integral_constantIbLb1EES1A_IbLb0EEEEDaS16_S17_EUlS16_E_NS1_11comp_targetILNS1_3genE10ELNS1_11target_archE1200ELNS1_3gpuE4ELNS1_3repE0EEENS1_30default_config_static_selectorELNS0_4arch9wavefront6targetE0EEEvT1_
; %bb.0:
	s_endpgm
	.section	.rodata,"a",@progbits
	.p2align	6, 0x0
	.amdhsa_kernel _ZN7rocprim17ROCPRIM_400000_NS6detail17trampoline_kernelINS0_14default_configENS1_25partition_config_selectorILNS1_17partition_subalgoE6EjNS0_10empty_typeEbEEZZNS1_14partition_implILS5_6ELb0ES3_mN6thrust23THRUST_200600_302600_NS6detail15normal_iteratorINSA_10device_ptrIjEEEEPS6_SG_NS0_5tupleIJNSA_16discard_iteratorINSA_11use_defaultEEES6_EEENSH_IJSG_SG_EEES6_PlJNSB_9not_fun_tI7is_trueIjEEEEEE10hipError_tPvRmT3_T4_T5_T6_T7_T9_mT8_P12ihipStream_tbDpT10_ENKUlT_T0_E_clISt17integral_constantIbLb1EES1A_IbLb0EEEEDaS16_S17_EUlS16_E_NS1_11comp_targetILNS1_3genE10ELNS1_11target_archE1200ELNS1_3gpuE4ELNS1_3repE0EEENS1_30default_config_static_selectorELNS0_4arch9wavefront6targetE0EEEvT1_
		.amdhsa_group_segment_fixed_size 0
		.amdhsa_private_segment_fixed_size 0
		.amdhsa_kernarg_size 120
		.amdhsa_user_sgpr_count 2
		.amdhsa_user_sgpr_dispatch_ptr 0
		.amdhsa_user_sgpr_queue_ptr 0
		.amdhsa_user_sgpr_kernarg_segment_ptr 1
		.amdhsa_user_sgpr_dispatch_id 0
		.amdhsa_user_sgpr_private_segment_size 0
		.amdhsa_wavefront_size32 1
		.amdhsa_uses_dynamic_stack 0
		.amdhsa_enable_private_segment 0
		.amdhsa_system_sgpr_workgroup_id_x 1
		.amdhsa_system_sgpr_workgroup_id_y 0
		.amdhsa_system_sgpr_workgroup_id_z 0
		.amdhsa_system_sgpr_workgroup_info 0
		.amdhsa_system_vgpr_workitem_id 0
		.amdhsa_next_free_vgpr 1
		.amdhsa_next_free_sgpr 1
		.amdhsa_reserve_vcc 0
		.amdhsa_float_round_mode_32 0
		.amdhsa_float_round_mode_16_64 0
		.amdhsa_float_denorm_mode_32 3
		.amdhsa_float_denorm_mode_16_64 3
		.amdhsa_fp16_overflow 0
		.amdhsa_workgroup_processor_mode 1
		.amdhsa_memory_ordered 1
		.amdhsa_forward_progress 1
		.amdhsa_inst_pref_size 1
		.amdhsa_round_robin_scheduling 0
		.amdhsa_exception_fp_ieee_invalid_op 0
		.amdhsa_exception_fp_denorm_src 0
		.amdhsa_exception_fp_ieee_div_zero 0
		.amdhsa_exception_fp_ieee_overflow 0
		.amdhsa_exception_fp_ieee_underflow 0
		.amdhsa_exception_fp_ieee_inexact 0
		.amdhsa_exception_int_div_zero 0
	.end_amdhsa_kernel
	.section	.text._ZN7rocprim17ROCPRIM_400000_NS6detail17trampoline_kernelINS0_14default_configENS1_25partition_config_selectorILNS1_17partition_subalgoE6EjNS0_10empty_typeEbEEZZNS1_14partition_implILS5_6ELb0ES3_mN6thrust23THRUST_200600_302600_NS6detail15normal_iteratorINSA_10device_ptrIjEEEEPS6_SG_NS0_5tupleIJNSA_16discard_iteratorINSA_11use_defaultEEES6_EEENSH_IJSG_SG_EEES6_PlJNSB_9not_fun_tI7is_trueIjEEEEEE10hipError_tPvRmT3_T4_T5_T6_T7_T9_mT8_P12ihipStream_tbDpT10_ENKUlT_T0_E_clISt17integral_constantIbLb1EES1A_IbLb0EEEEDaS16_S17_EUlS16_E_NS1_11comp_targetILNS1_3genE10ELNS1_11target_archE1200ELNS1_3gpuE4ELNS1_3repE0EEENS1_30default_config_static_selectorELNS0_4arch9wavefront6targetE0EEEvT1_,"axG",@progbits,_ZN7rocprim17ROCPRIM_400000_NS6detail17trampoline_kernelINS0_14default_configENS1_25partition_config_selectorILNS1_17partition_subalgoE6EjNS0_10empty_typeEbEEZZNS1_14partition_implILS5_6ELb0ES3_mN6thrust23THRUST_200600_302600_NS6detail15normal_iteratorINSA_10device_ptrIjEEEEPS6_SG_NS0_5tupleIJNSA_16discard_iteratorINSA_11use_defaultEEES6_EEENSH_IJSG_SG_EEES6_PlJNSB_9not_fun_tI7is_trueIjEEEEEE10hipError_tPvRmT3_T4_T5_T6_T7_T9_mT8_P12ihipStream_tbDpT10_ENKUlT_T0_E_clISt17integral_constantIbLb1EES1A_IbLb0EEEEDaS16_S17_EUlS16_E_NS1_11comp_targetILNS1_3genE10ELNS1_11target_archE1200ELNS1_3gpuE4ELNS1_3repE0EEENS1_30default_config_static_selectorELNS0_4arch9wavefront6targetE0EEEvT1_,comdat
.Lfunc_end2194:
	.size	_ZN7rocprim17ROCPRIM_400000_NS6detail17trampoline_kernelINS0_14default_configENS1_25partition_config_selectorILNS1_17partition_subalgoE6EjNS0_10empty_typeEbEEZZNS1_14partition_implILS5_6ELb0ES3_mN6thrust23THRUST_200600_302600_NS6detail15normal_iteratorINSA_10device_ptrIjEEEEPS6_SG_NS0_5tupleIJNSA_16discard_iteratorINSA_11use_defaultEEES6_EEENSH_IJSG_SG_EEES6_PlJNSB_9not_fun_tI7is_trueIjEEEEEE10hipError_tPvRmT3_T4_T5_T6_T7_T9_mT8_P12ihipStream_tbDpT10_ENKUlT_T0_E_clISt17integral_constantIbLb1EES1A_IbLb0EEEEDaS16_S17_EUlS16_E_NS1_11comp_targetILNS1_3genE10ELNS1_11target_archE1200ELNS1_3gpuE4ELNS1_3repE0EEENS1_30default_config_static_selectorELNS0_4arch9wavefront6targetE0EEEvT1_, .Lfunc_end2194-_ZN7rocprim17ROCPRIM_400000_NS6detail17trampoline_kernelINS0_14default_configENS1_25partition_config_selectorILNS1_17partition_subalgoE6EjNS0_10empty_typeEbEEZZNS1_14partition_implILS5_6ELb0ES3_mN6thrust23THRUST_200600_302600_NS6detail15normal_iteratorINSA_10device_ptrIjEEEEPS6_SG_NS0_5tupleIJNSA_16discard_iteratorINSA_11use_defaultEEES6_EEENSH_IJSG_SG_EEES6_PlJNSB_9not_fun_tI7is_trueIjEEEEEE10hipError_tPvRmT3_T4_T5_T6_T7_T9_mT8_P12ihipStream_tbDpT10_ENKUlT_T0_E_clISt17integral_constantIbLb1EES1A_IbLb0EEEEDaS16_S17_EUlS16_E_NS1_11comp_targetILNS1_3genE10ELNS1_11target_archE1200ELNS1_3gpuE4ELNS1_3repE0EEENS1_30default_config_static_selectorELNS0_4arch9wavefront6targetE0EEEvT1_
                                        ; -- End function
	.set _ZN7rocprim17ROCPRIM_400000_NS6detail17trampoline_kernelINS0_14default_configENS1_25partition_config_selectorILNS1_17partition_subalgoE6EjNS0_10empty_typeEbEEZZNS1_14partition_implILS5_6ELb0ES3_mN6thrust23THRUST_200600_302600_NS6detail15normal_iteratorINSA_10device_ptrIjEEEEPS6_SG_NS0_5tupleIJNSA_16discard_iteratorINSA_11use_defaultEEES6_EEENSH_IJSG_SG_EEES6_PlJNSB_9not_fun_tI7is_trueIjEEEEEE10hipError_tPvRmT3_T4_T5_T6_T7_T9_mT8_P12ihipStream_tbDpT10_ENKUlT_T0_E_clISt17integral_constantIbLb1EES1A_IbLb0EEEEDaS16_S17_EUlS16_E_NS1_11comp_targetILNS1_3genE10ELNS1_11target_archE1200ELNS1_3gpuE4ELNS1_3repE0EEENS1_30default_config_static_selectorELNS0_4arch9wavefront6targetE0EEEvT1_.num_vgpr, 0
	.set _ZN7rocprim17ROCPRIM_400000_NS6detail17trampoline_kernelINS0_14default_configENS1_25partition_config_selectorILNS1_17partition_subalgoE6EjNS0_10empty_typeEbEEZZNS1_14partition_implILS5_6ELb0ES3_mN6thrust23THRUST_200600_302600_NS6detail15normal_iteratorINSA_10device_ptrIjEEEEPS6_SG_NS0_5tupleIJNSA_16discard_iteratorINSA_11use_defaultEEES6_EEENSH_IJSG_SG_EEES6_PlJNSB_9not_fun_tI7is_trueIjEEEEEE10hipError_tPvRmT3_T4_T5_T6_T7_T9_mT8_P12ihipStream_tbDpT10_ENKUlT_T0_E_clISt17integral_constantIbLb1EES1A_IbLb0EEEEDaS16_S17_EUlS16_E_NS1_11comp_targetILNS1_3genE10ELNS1_11target_archE1200ELNS1_3gpuE4ELNS1_3repE0EEENS1_30default_config_static_selectorELNS0_4arch9wavefront6targetE0EEEvT1_.num_agpr, 0
	.set _ZN7rocprim17ROCPRIM_400000_NS6detail17trampoline_kernelINS0_14default_configENS1_25partition_config_selectorILNS1_17partition_subalgoE6EjNS0_10empty_typeEbEEZZNS1_14partition_implILS5_6ELb0ES3_mN6thrust23THRUST_200600_302600_NS6detail15normal_iteratorINSA_10device_ptrIjEEEEPS6_SG_NS0_5tupleIJNSA_16discard_iteratorINSA_11use_defaultEEES6_EEENSH_IJSG_SG_EEES6_PlJNSB_9not_fun_tI7is_trueIjEEEEEE10hipError_tPvRmT3_T4_T5_T6_T7_T9_mT8_P12ihipStream_tbDpT10_ENKUlT_T0_E_clISt17integral_constantIbLb1EES1A_IbLb0EEEEDaS16_S17_EUlS16_E_NS1_11comp_targetILNS1_3genE10ELNS1_11target_archE1200ELNS1_3gpuE4ELNS1_3repE0EEENS1_30default_config_static_selectorELNS0_4arch9wavefront6targetE0EEEvT1_.numbered_sgpr, 0
	.set _ZN7rocprim17ROCPRIM_400000_NS6detail17trampoline_kernelINS0_14default_configENS1_25partition_config_selectorILNS1_17partition_subalgoE6EjNS0_10empty_typeEbEEZZNS1_14partition_implILS5_6ELb0ES3_mN6thrust23THRUST_200600_302600_NS6detail15normal_iteratorINSA_10device_ptrIjEEEEPS6_SG_NS0_5tupleIJNSA_16discard_iteratorINSA_11use_defaultEEES6_EEENSH_IJSG_SG_EEES6_PlJNSB_9not_fun_tI7is_trueIjEEEEEE10hipError_tPvRmT3_T4_T5_T6_T7_T9_mT8_P12ihipStream_tbDpT10_ENKUlT_T0_E_clISt17integral_constantIbLb1EES1A_IbLb0EEEEDaS16_S17_EUlS16_E_NS1_11comp_targetILNS1_3genE10ELNS1_11target_archE1200ELNS1_3gpuE4ELNS1_3repE0EEENS1_30default_config_static_selectorELNS0_4arch9wavefront6targetE0EEEvT1_.num_named_barrier, 0
	.set _ZN7rocprim17ROCPRIM_400000_NS6detail17trampoline_kernelINS0_14default_configENS1_25partition_config_selectorILNS1_17partition_subalgoE6EjNS0_10empty_typeEbEEZZNS1_14partition_implILS5_6ELb0ES3_mN6thrust23THRUST_200600_302600_NS6detail15normal_iteratorINSA_10device_ptrIjEEEEPS6_SG_NS0_5tupleIJNSA_16discard_iteratorINSA_11use_defaultEEES6_EEENSH_IJSG_SG_EEES6_PlJNSB_9not_fun_tI7is_trueIjEEEEEE10hipError_tPvRmT3_T4_T5_T6_T7_T9_mT8_P12ihipStream_tbDpT10_ENKUlT_T0_E_clISt17integral_constantIbLb1EES1A_IbLb0EEEEDaS16_S17_EUlS16_E_NS1_11comp_targetILNS1_3genE10ELNS1_11target_archE1200ELNS1_3gpuE4ELNS1_3repE0EEENS1_30default_config_static_selectorELNS0_4arch9wavefront6targetE0EEEvT1_.private_seg_size, 0
	.set _ZN7rocprim17ROCPRIM_400000_NS6detail17trampoline_kernelINS0_14default_configENS1_25partition_config_selectorILNS1_17partition_subalgoE6EjNS0_10empty_typeEbEEZZNS1_14partition_implILS5_6ELb0ES3_mN6thrust23THRUST_200600_302600_NS6detail15normal_iteratorINSA_10device_ptrIjEEEEPS6_SG_NS0_5tupleIJNSA_16discard_iteratorINSA_11use_defaultEEES6_EEENSH_IJSG_SG_EEES6_PlJNSB_9not_fun_tI7is_trueIjEEEEEE10hipError_tPvRmT3_T4_T5_T6_T7_T9_mT8_P12ihipStream_tbDpT10_ENKUlT_T0_E_clISt17integral_constantIbLb1EES1A_IbLb0EEEEDaS16_S17_EUlS16_E_NS1_11comp_targetILNS1_3genE10ELNS1_11target_archE1200ELNS1_3gpuE4ELNS1_3repE0EEENS1_30default_config_static_selectorELNS0_4arch9wavefront6targetE0EEEvT1_.uses_vcc, 0
	.set _ZN7rocprim17ROCPRIM_400000_NS6detail17trampoline_kernelINS0_14default_configENS1_25partition_config_selectorILNS1_17partition_subalgoE6EjNS0_10empty_typeEbEEZZNS1_14partition_implILS5_6ELb0ES3_mN6thrust23THRUST_200600_302600_NS6detail15normal_iteratorINSA_10device_ptrIjEEEEPS6_SG_NS0_5tupleIJNSA_16discard_iteratorINSA_11use_defaultEEES6_EEENSH_IJSG_SG_EEES6_PlJNSB_9not_fun_tI7is_trueIjEEEEEE10hipError_tPvRmT3_T4_T5_T6_T7_T9_mT8_P12ihipStream_tbDpT10_ENKUlT_T0_E_clISt17integral_constantIbLb1EES1A_IbLb0EEEEDaS16_S17_EUlS16_E_NS1_11comp_targetILNS1_3genE10ELNS1_11target_archE1200ELNS1_3gpuE4ELNS1_3repE0EEENS1_30default_config_static_selectorELNS0_4arch9wavefront6targetE0EEEvT1_.uses_flat_scratch, 0
	.set _ZN7rocprim17ROCPRIM_400000_NS6detail17trampoline_kernelINS0_14default_configENS1_25partition_config_selectorILNS1_17partition_subalgoE6EjNS0_10empty_typeEbEEZZNS1_14partition_implILS5_6ELb0ES3_mN6thrust23THRUST_200600_302600_NS6detail15normal_iteratorINSA_10device_ptrIjEEEEPS6_SG_NS0_5tupleIJNSA_16discard_iteratorINSA_11use_defaultEEES6_EEENSH_IJSG_SG_EEES6_PlJNSB_9not_fun_tI7is_trueIjEEEEEE10hipError_tPvRmT3_T4_T5_T6_T7_T9_mT8_P12ihipStream_tbDpT10_ENKUlT_T0_E_clISt17integral_constantIbLb1EES1A_IbLb0EEEEDaS16_S17_EUlS16_E_NS1_11comp_targetILNS1_3genE10ELNS1_11target_archE1200ELNS1_3gpuE4ELNS1_3repE0EEENS1_30default_config_static_selectorELNS0_4arch9wavefront6targetE0EEEvT1_.has_dyn_sized_stack, 0
	.set _ZN7rocprim17ROCPRIM_400000_NS6detail17trampoline_kernelINS0_14default_configENS1_25partition_config_selectorILNS1_17partition_subalgoE6EjNS0_10empty_typeEbEEZZNS1_14partition_implILS5_6ELb0ES3_mN6thrust23THRUST_200600_302600_NS6detail15normal_iteratorINSA_10device_ptrIjEEEEPS6_SG_NS0_5tupleIJNSA_16discard_iteratorINSA_11use_defaultEEES6_EEENSH_IJSG_SG_EEES6_PlJNSB_9not_fun_tI7is_trueIjEEEEEE10hipError_tPvRmT3_T4_T5_T6_T7_T9_mT8_P12ihipStream_tbDpT10_ENKUlT_T0_E_clISt17integral_constantIbLb1EES1A_IbLb0EEEEDaS16_S17_EUlS16_E_NS1_11comp_targetILNS1_3genE10ELNS1_11target_archE1200ELNS1_3gpuE4ELNS1_3repE0EEENS1_30default_config_static_selectorELNS0_4arch9wavefront6targetE0EEEvT1_.has_recursion, 0
	.set _ZN7rocprim17ROCPRIM_400000_NS6detail17trampoline_kernelINS0_14default_configENS1_25partition_config_selectorILNS1_17partition_subalgoE6EjNS0_10empty_typeEbEEZZNS1_14partition_implILS5_6ELb0ES3_mN6thrust23THRUST_200600_302600_NS6detail15normal_iteratorINSA_10device_ptrIjEEEEPS6_SG_NS0_5tupleIJNSA_16discard_iteratorINSA_11use_defaultEEES6_EEENSH_IJSG_SG_EEES6_PlJNSB_9not_fun_tI7is_trueIjEEEEEE10hipError_tPvRmT3_T4_T5_T6_T7_T9_mT8_P12ihipStream_tbDpT10_ENKUlT_T0_E_clISt17integral_constantIbLb1EES1A_IbLb0EEEEDaS16_S17_EUlS16_E_NS1_11comp_targetILNS1_3genE10ELNS1_11target_archE1200ELNS1_3gpuE4ELNS1_3repE0EEENS1_30default_config_static_selectorELNS0_4arch9wavefront6targetE0EEEvT1_.has_indirect_call, 0
	.section	.AMDGPU.csdata,"",@progbits
; Kernel info:
; codeLenInByte = 4
; TotalNumSgprs: 0
; NumVgprs: 0
; ScratchSize: 0
; MemoryBound: 0
; FloatMode: 240
; IeeeMode: 1
; LDSByteSize: 0 bytes/workgroup (compile time only)
; SGPRBlocks: 0
; VGPRBlocks: 0
; NumSGPRsForWavesPerEU: 1
; NumVGPRsForWavesPerEU: 1
; Occupancy: 16
; WaveLimiterHint : 0
; COMPUTE_PGM_RSRC2:SCRATCH_EN: 0
; COMPUTE_PGM_RSRC2:USER_SGPR: 2
; COMPUTE_PGM_RSRC2:TRAP_HANDLER: 0
; COMPUTE_PGM_RSRC2:TGID_X_EN: 1
; COMPUTE_PGM_RSRC2:TGID_Y_EN: 0
; COMPUTE_PGM_RSRC2:TGID_Z_EN: 0
; COMPUTE_PGM_RSRC2:TIDIG_COMP_CNT: 0
	.section	.text._ZN7rocprim17ROCPRIM_400000_NS6detail17trampoline_kernelINS0_14default_configENS1_25partition_config_selectorILNS1_17partition_subalgoE6EjNS0_10empty_typeEbEEZZNS1_14partition_implILS5_6ELb0ES3_mN6thrust23THRUST_200600_302600_NS6detail15normal_iteratorINSA_10device_ptrIjEEEEPS6_SG_NS0_5tupleIJNSA_16discard_iteratorINSA_11use_defaultEEES6_EEENSH_IJSG_SG_EEES6_PlJNSB_9not_fun_tI7is_trueIjEEEEEE10hipError_tPvRmT3_T4_T5_T6_T7_T9_mT8_P12ihipStream_tbDpT10_ENKUlT_T0_E_clISt17integral_constantIbLb1EES1A_IbLb0EEEEDaS16_S17_EUlS16_E_NS1_11comp_targetILNS1_3genE9ELNS1_11target_archE1100ELNS1_3gpuE3ELNS1_3repE0EEENS1_30default_config_static_selectorELNS0_4arch9wavefront6targetE0EEEvT1_,"axG",@progbits,_ZN7rocprim17ROCPRIM_400000_NS6detail17trampoline_kernelINS0_14default_configENS1_25partition_config_selectorILNS1_17partition_subalgoE6EjNS0_10empty_typeEbEEZZNS1_14partition_implILS5_6ELb0ES3_mN6thrust23THRUST_200600_302600_NS6detail15normal_iteratorINSA_10device_ptrIjEEEEPS6_SG_NS0_5tupleIJNSA_16discard_iteratorINSA_11use_defaultEEES6_EEENSH_IJSG_SG_EEES6_PlJNSB_9not_fun_tI7is_trueIjEEEEEE10hipError_tPvRmT3_T4_T5_T6_T7_T9_mT8_P12ihipStream_tbDpT10_ENKUlT_T0_E_clISt17integral_constantIbLb1EES1A_IbLb0EEEEDaS16_S17_EUlS16_E_NS1_11comp_targetILNS1_3genE9ELNS1_11target_archE1100ELNS1_3gpuE3ELNS1_3repE0EEENS1_30default_config_static_selectorELNS0_4arch9wavefront6targetE0EEEvT1_,comdat
	.protected	_ZN7rocprim17ROCPRIM_400000_NS6detail17trampoline_kernelINS0_14default_configENS1_25partition_config_selectorILNS1_17partition_subalgoE6EjNS0_10empty_typeEbEEZZNS1_14partition_implILS5_6ELb0ES3_mN6thrust23THRUST_200600_302600_NS6detail15normal_iteratorINSA_10device_ptrIjEEEEPS6_SG_NS0_5tupleIJNSA_16discard_iteratorINSA_11use_defaultEEES6_EEENSH_IJSG_SG_EEES6_PlJNSB_9not_fun_tI7is_trueIjEEEEEE10hipError_tPvRmT3_T4_T5_T6_T7_T9_mT8_P12ihipStream_tbDpT10_ENKUlT_T0_E_clISt17integral_constantIbLb1EES1A_IbLb0EEEEDaS16_S17_EUlS16_E_NS1_11comp_targetILNS1_3genE9ELNS1_11target_archE1100ELNS1_3gpuE3ELNS1_3repE0EEENS1_30default_config_static_selectorELNS0_4arch9wavefront6targetE0EEEvT1_ ; -- Begin function _ZN7rocprim17ROCPRIM_400000_NS6detail17trampoline_kernelINS0_14default_configENS1_25partition_config_selectorILNS1_17partition_subalgoE6EjNS0_10empty_typeEbEEZZNS1_14partition_implILS5_6ELb0ES3_mN6thrust23THRUST_200600_302600_NS6detail15normal_iteratorINSA_10device_ptrIjEEEEPS6_SG_NS0_5tupleIJNSA_16discard_iteratorINSA_11use_defaultEEES6_EEENSH_IJSG_SG_EEES6_PlJNSB_9not_fun_tI7is_trueIjEEEEEE10hipError_tPvRmT3_T4_T5_T6_T7_T9_mT8_P12ihipStream_tbDpT10_ENKUlT_T0_E_clISt17integral_constantIbLb1EES1A_IbLb0EEEEDaS16_S17_EUlS16_E_NS1_11comp_targetILNS1_3genE9ELNS1_11target_archE1100ELNS1_3gpuE3ELNS1_3repE0EEENS1_30default_config_static_selectorELNS0_4arch9wavefront6targetE0EEEvT1_
	.globl	_ZN7rocprim17ROCPRIM_400000_NS6detail17trampoline_kernelINS0_14default_configENS1_25partition_config_selectorILNS1_17partition_subalgoE6EjNS0_10empty_typeEbEEZZNS1_14partition_implILS5_6ELb0ES3_mN6thrust23THRUST_200600_302600_NS6detail15normal_iteratorINSA_10device_ptrIjEEEEPS6_SG_NS0_5tupleIJNSA_16discard_iteratorINSA_11use_defaultEEES6_EEENSH_IJSG_SG_EEES6_PlJNSB_9not_fun_tI7is_trueIjEEEEEE10hipError_tPvRmT3_T4_T5_T6_T7_T9_mT8_P12ihipStream_tbDpT10_ENKUlT_T0_E_clISt17integral_constantIbLb1EES1A_IbLb0EEEEDaS16_S17_EUlS16_E_NS1_11comp_targetILNS1_3genE9ELNS1_11target_archE1100ELNS1_3gpuE3ELNS1_3repE0EEENS1_30default_config_static_selectorELNS0_4arch9wavefront6targetE0EEEvT1_
	.p2align	8
	.type	_ZN7rocprim17ROCPRIM_400000_NS6detail17trampoline_kernelINS0_14default_configENS1_25partition_config_selectorILNS1_17partition_subalgoE6EjNS0_10empty_typeEbEEZZNS1_14partition_implILS5_6ELb0ES3_mN6thrust23THRUST_200600_302600_NS6detail15normal_iteratorINSA_10device_ptrIjEEEEPS6_SG_NS0_5tupleIJNSA_16discard_iteratorINSA_11use_defaultEEES6_EEENSH_IJSG_SG_EEES6_PlJNSB_9not_fun_tI7is_trueIjEEEEEE10hipError_tPvRmT3_T4_T5_T6_T7_T9_mT8_P12ihipStream_tbDpT10_ENKUlT_T0_E_clISt17integral_constantIbLb1EES1A_IbLb0EEEEDaS16_S17_EUlS16_E_NS1_11comp_targetILNS1_3genE9ELNS1_11target_archE1100ELNS1_3gpuE3ELNS1_3repE0EEENS1_30default_config_static_selectorELNS0_4arch9wavefront6targetE0EEEvT1_,@function
_ZN7rocprim17ROCPRIM_400000_NS6detail17trampoline_kernelINS0_14default_configENS1_25partition_config_selectorILNS1_17partition_subalgoE6EjNS0_10empty_typeEbEEZZNS1_14partition_implILS5_6ELb0ES3_mN6thrust23THRUST_200600_302600_NS6detail15normal_iteratorINSA_10device_ptrIjEEEEPS6_SG_NS0_5tupleIJNSA_16discard_iteratorINSA_11use_defaultEEES6_EEENSH_IJSG_SG_EEES6_PlJNSB_9not_fun_tI7is_trueIjEEEEEE10hipError_tPvRmT3_T4_T5_T6_T7_T9_mT8_P12ihipStream_tbDpT10_ENKUlT_T0_E_clISt17integral_constantIbLb1EES1A_IbLb0EEEEDaS16_S17_EUlS16_E_NS1_11comp_targetILNS1_3genE9ELNS1_11target_archE1100ELNS1_3gpuE3ELNS1_3repE0EEENS1_30default_config_static_selectorELNS0_4arch9wavefront6targetE0EEEvT1_: ; @_ZN7rocprim17ROCPRIM_400000_NS6detail17trampoline_kernelINS0_14default_configENS1_25partition_config_selectorILNS1_17partition_subalgoE6EjNS0_10empty_typeEbEEZZNS1_14partition_implILS5_6ELb0ES3_mN6thrust23THRUST_200600_302600_NS6detail15normal_iteratorINSA_10device_ptrIjEEEEPS6_SG_NS0_5tupleIJNSA_16discard_iteratorINSA_11use_defaultEEES6_EEENSH_IJSG_SG_EEES6_PlJNSB_9not_fun_tI7is_trueIjEEEEEE10hipError_tPvRmT3_T4_T5_T6_T7_T9_mT8_P12ihipStream_tbDpT10_ENKUlT_T0_E_clISt17integral_constantIbLb1EES1A_IbLb0EEEEDaS16_S17_EUlS16_E_NS1_11comp_targetILNS1_3genE9ELNS1_11target_archE1100ELNS1_3gpuE3ELNS1_3repE0EEENS1_30default_config_static_selectorELNS0_4arch9wavefront6targetE0EEEvT1_
; %bb.0:
	.section	.rodata,"a",@progbits
	.p2align	6, 0x0
	.amdhsa_kernel _ZN7rocprim17ROCPRIM_400000_NS6detail17trampoline_kernelINS0_14default_configENS1_25partition_config_selectorILNS1_17partition_subalgoE6EjNS0_10empty_typeEbEEZZNS1_14partition_implILS5_6ELb0ES3_mN6thrust23THRUST_200600_302600_NS6detail15normal_iteratorINSA_10device_ptrIjEEEEPS6_SG_NS0_5tupleIJNSA_16discard_iteratorINSA_11use_defaultEEES6_EEENSH_IJSG_SG_EEES6_PlJNSB_9not_fun_tI7is_trueIjEEEEEE10hipError_tPvRmT3_T4_T5_T6_T7_T9_mT8_P12ihipStream_tbDpT10_ENKUlT_T0_E_clISt17integral_constantIbLb1EES1A_IbLb0EEEEDaS16_S17_EUlS16_E_NS1_11comp_targetILNS1_3genE9ELNS1_11target_archE1100ELNS1_3gpuE3ELNS1_3repE0EEENS1_30default_config_static_selectorELNS0_4arch9wavefront6targetE0EEEvT1_
		.amdhsa_group_segment_fixed_size 0
		.amdhsa_private_segment_fixed_size 0
		.amdhsa_kernarg_size 120
		.amdhsa_user_sgpr_count 2
		.amdhsa_user_sgpr_dispatch_ptr 0
		.amdhsa_user_sgpr_queue_ptr 0
		.amdhsa_user_sgpr_kernarg_segment_ptr 1
		.amdhsa_user_sgpr_dispatch_id 0
		.amdhsa_user_sgpr_private_segment_size 0
		.amdhsa_wavefront_size32 1
		.amdhsa_uses_dynamic_stack 0
		.amdhsa_enable_private_segment 0
		.amdhsa_system_sgpr_workgroup_id_x 1
		.amdhsa_system_sgpr_workgroup_id_y 0
		.amdhsa_system_sgpr_workgroup_id_z 0
		.amdhsa_system_sgpr_workgroup_info 0
		.amdhsa_system_vgpr_workitem_id 0
		.amdhsa_next_free_vgpr 1
		.amdhsa_next_free_sgpr 1
		.amdhsa_reserve_vcc 0
		.amdhsa_float_round_mode_32 0
		.amdhsa_float_round_mode_16_64 0
		.amdhsa_float_denorm_mode_32 3
		.amdhsa_float_denorm_mode_16_64 3
		.amdhsa_fp16_overflow 0
		.amdhsa_workgroup_processor_mode 1
		.amdhsa_memory_ordered 1
		.amdhsa_forward_progress 1
		.amdhsa_inst_pref_size 0
		.amdhsa_round_robin_scheduling 0
		.amdhsa_exception_fp_ieee_invalid_op 0
		.amdhsa_exception_fp_denorm_src 0
		.amdhsa_exception_fp_ieee_div_zero 0
		.amdhsa_exception_fp_ieee_overflow 0
		.amdhsa_exception_fp_ieee_underflow 0
		.amdhsa_exception_fp_ieee_inexact 0
		.amdhsa_exception_int_div_zero 0
	.end_amdhsa_kernel
	.section	.text._ZN7rocprim17ROCPRIM_400000_NS6detail17trampoline_kernelINS0_14default_configENS1_25partition_config_selectorILNS1_17partition_subalgoE6EjNS0_10empty_typeEbEEZZNS1_14partition_implILS5_6ELb0ES3_mN6thrust23THRUST_200600_302600_NS6detail15normal_iteratorINSA_10device_ptrIjEEEEPS6_SG_NS0_5tupleIJNSA_16discard_iteratorINSA_11use_defaultEEES6_EEENSH_IJSG_SG_EEES6_PlJNSB_9not_fun_tI7is_trueIjEEEEEE10hipError_tPvRmT3_T4_T5_T6_T7_T9_mT8_P12ihipStream_tbDpT10_ENKUlT_T0_E_clISt17integral_constantIbLb1EES1A_IbLb0EEEEDaS16_S17_EUlS16_E_NS1_11comp_targetILNS1_3genE9ELNS1_11target_archE1100ELNS1_3gpuE3ELNS1_3repE0EEENS1_30default_config_static_selectorELNS0_4arch9wavefront6targetE0EEEvT1_,"axG",@progbits,_ZN7rocprim17ROCPRIM_400000_NS6detail17trampoline_kernelINS0_14default_configENS1_25partition_config_selectorILNS1_17partition_subalgoE6EjNS0_10empty_typeEbEEZZNS1_14partition_implILS5_6ELb0ES3_mN6thrust23THRUST_200600_302600_NS6detail15normal_iteratorINSA_10device_ptrIjEEEEPS6_SG_NS0_5tupleIJNSA_16discard_iteratorINSA_11use_defaultEEES6_EEENSH_IJSG_SG_EEES6_PlJNSB_9not_fun_tI7is_trueIjEEEEEE10hipError_tPvRmT3_T4_T5_T6_T7_T9_mT8_P12ihipStream_tbDpT10_ENKUlT_T0_E_clISt17integral_constantIbLb1EES1A_IbLb0EEEEDaS16_S17_EUlS16_E_NS1_11comp_targetILNS1_3genE9ELNS1_11target_archE1100ELNS1_3gpuE3ELNS1_3repE0EEENS1_30default_config_static_selectorELNS0_4arch9wavefront6targetE0EEEvT1_,comdat
.Lfunc_end2195:
	.size	_ZN7rocprim17ROCPRIM_400000_NS6detail17trampoline_kernelINS0_14default_configENS1_25partition_config_selectorILNS1_17partition_subalgoE6EjNS0_10empty_typeEbEEZZNS1_14partition_implILS5_6ELb0ES3_mN6thrust23THRUST_200600_302600_NS6detail15normal_iteratorINSA_10device_ptrIjEEEEPS6_SG_NS0_5tupleIJNSA_16discard_iteratorINSA_11use_defaultEEES6_EEENSH_IJSG_SG_EEES6_PlJNSB_9not_fun_tI7is_trueIjEEEEEE10hipError_tPvRmT3_T4_T5_T6_T7_T9_mT8_P12ihipStream_tbDpT10_ENKUlT_T0_E_clISt17integral_constantIbLb1EES1A_IbLb0EEEEDaS16_S17_EUlS16_E_NS1_11comp_targetILNS1_3genE9ELNS1_11target_archE1100ELNS1_3gpuE3ELNS1_3repE0EEENS1_30default_config_static_selectorELNS0_4arch9wavefront6targetE0EEEvT1_, .Lfunc_end2195-_ZN7rocprim17ROCPRIM_400000_NS6detail17trampoline_kernelINS0_14default_configENS1_25partition_config_selectorILNS1_17partition_subalgoE6EjNS0_10empty_typeEbEEZZNS1_14partition_implILS5_6ELb0ES3_mN6thrust23THRUST_200600_302600_NS6detail15normal_iteratorINSA_10device_ptrIjEEEEPS6_SG_NS0_5tupleIJNSA_16discard_iteratorINSA_11use_defaultEEES6_EEENSH_IJSG_SG_EEES6_PlJNSB_9not_fun_tI7is_trueIjEEEEEE10hipError_tPvRmT3_T4_T5_T6_T7_T9_mT8_P12ihipStream_tbDpT10_ENKUlT_T0_E_clISt17integral_constantIbLb1EES1A_IbLb0EEEEDaS16_S17_EUlS16_E_NS1_11comp_targetILNS1_3genE9ELNS1_11target_archE1100ELNS1_3gpuE3ELNS1_3repE0EEENS1_30default_config_static_selectorELNS0_4arch9wavefront6targetE0EEEvT1_
                                        ; -- End function
	.set _ZN7rocprim17ROCPRIM_400000_NS6detail17trampoline_kernelINS0_14default_configENS1_25partition_config_selectorILNS1_17partition_subalgoE6EjNS0_10empty_typeEbEEZZNS1_14partition_implILS5_6ELb0ES3_mN6thrust23THRUST_200600_302600_NS6detail15normal_iteratorINSA_10device_ptrIjEEEEPS6_SG_NS0_5tupleIJNSA_16discard_iteratorINSA_11use_defaultEEES6_EEENSH_IJSG_SG_EEES6_PlJNSB_9not_fun_tI7is_trueIjEEEEEE10hipError_tPvRmT3_T4_T5_T6_T7_T9_mT8_P12ihipStream_tbDpT10_ENKUlT_T0_E_clISt17integral_constantIbLb1EES1A_IbLb0EEEEDaS16_S17_EUlS16_E_NS1_11comp_targetILNS1_3genE9ELNS1_11target_archE1100ELNS1_3gpuE3ELNS1_3repE0EEENS1_30default_config_static_selectorELNS0_4arch9wavefront6targetE0EEEvT1_.num_vgpr, 0
	.set _ZN7rocprim17ROCPRIM_400000_NS6detail17trampoline_kernelINS0_14default_configENS1_25partition_config_selectorILNS1_17partition_subalgoE6EjNS0_10empty_typeEbEEZZNS1_14partition_implILS5_6ELb0ES3_mN6thrust23THRUST_200600_302600_NS6detail15normal_iteratorINSA_10device_ptrIjEEEEPS6_SG_NS0_5tupleIJNSA_16discard_iteratorINSA_11use_defaultEEES6_EEENSH_IJSG_SG_EEES6_PlJNSB_9not_fun_tI7is_trueIjEEEEEE10hipError_tPvRmT3_T4_T5_T6_T7_T9_mT8_P12ihipStream_tbDpT10_ENKUlT_T0_E_clISt17integral_constantIbLb1EES1A_IbLb0EEEEDaS16_S17_EUlS16_E_NS1_11comp_targetILNS1_3genE9ELNS1_11target_archE1100ELNS1_3gpuE3ELNS1_3repE0EEENS1_30default_config_static_selectorELNS0_4arch9wavefront6targetE0EEEvT1_.num_agpr, 0
	.set _ZN7rocprim17ROCPRIM_400000_NS6detail17trampoline_kernelINS0_14default_configENS1_25partition_config_selectorILNS1_17partition_subalgoE6EjNS0_10empty_typeEbEEZZNS1_14partition_implILS5_6ELb0ES3_mN6thrust23THRUST_200600_302600_NS6detail15normal_iteratorINSA_10device_ptrIjEEEEPS6_SG_NS0_5tupleIJNSA_16discard_iteratorINSA_11use_defaultEEES6_EEENSH_IJSG_SG_EEES6_PlJNSB_9not_fun_tI7is_trueIjEEEEEE10hipError_tPvRmT3_T4_T5_T6_T7_T9_mT8_P12ihipStream_tbDpT10_ENKUlT_T0_E_clISt17integral_constantIbLb1EES1A_IbLb0EEEEDaS16_S17_EUlS16_E_NS1_11comp_targetILNS1_3genE9ELNS1_11target_archE1100ELNS1_3gpuE3ELNS1_3repE0EEENS1_30default_config_static_selectorELNS0_4arch9wavefront6targetE0EEEvT1_.numbered_sgpr, 0
	.set _ZN7rocprim17ROCPRIM_400000_NS6detail17trampoline_kernelINS0_14default_configENS1_25partition_config_selectorILNS1_17partition_subalgoE6EjNS0_10empty_typeEbEEZZNS1_14partition_implILS5_6ELb0ES3_mN6thrust23THRUST_200600_302600_NS6detail15normal_iteratorINSA_10device_ptrIjEEEEPS6_SG_NS0_5tupleIJNSA_16discard_iteratorINSA_11use_defaultEEES6_EEENSH_IJSG_SG_EEES6_PlJNSB_9not_fun_tI7is_trueIjEEEEEE10hipError_tPvRmT3_T4_T5_T6_T7_T9_mT8_P12ihipStream_tbDpT10_ENKUlT_T0_E_clISt17integral_constantIbLb1EES1A_IbLb0EEEEDaS16_S17_EUlS16_E_NS1_11comp_targetILNS1_3genE9ELNS1_11target_archE1100ELNS1_3gpuE3ELNS1_3repE0EEENS1_30default_config_static_selectorELNS0_4arch9wavefront6targetE0EEEvT1_.num_named_barrier, 0
	.set _ZN7rocprim17ROCPRIM_400000_NS6detail17trampoline_kernelINS0_14default_configENS1_25partition_config_selectorILNS1_17partition_subalgoE6EjNS0_10empty_typeEbEEZZNS1_14partition_implILS5_6ELb0ES3_mN6thrust23THRUST_200600_302600_NS6detail15normal_iteratorINSA_10device_ptrIjEEEEPS6_SG_NS0_5tupleIJNSA_16discard_iteratorINSA_11use_defaultEEES6_EEENSH_IJSG_SG_EEES6_PlJNSB_9not_fun_tI7is_trueIjEEEEEE10hipError_tPvRmT3_T4_T5_T6_T7_T9_mT8_P12ihipStream_tbDpT10_ENKUlT_T0_E_clISt17integral_constantIbLb1EES1A_IbLb0EEEEDaS16_S17_EUlS16_E_NS1_11comp_targetILNS1_3genE9ELNS1_11target_archE1100ELNS1_3gpuE3ELNS1_3repE0EEENS1_30default_config_static_selectorELNS0_4arch9wavefront6targetE0EEEvT1_.private_seg_size, 0
	.set _ZN7rocprim17ROCPRIM_400000_NS6detail17trampoline_kernelINS0_14default_configENS1_25partition_config_selectorILNS1_17partition_subalgoE6EjNS0_10empty_typeEbEEZZNS1_14partition_implILS5_6ELb0ES3_mN6thrust23THRUST_200600_302600_NS6detail15normal_iteratorINSA_10device_ptrIjEEEEPS6_SG_NS0_5tupleIJNSA_16discard_iteratorINSA_11use_defaultEEES6_EEENSH_IJSG_SG_EEES6_PlJNSB_9not_fun_tI7is_trueIjEEEEEE10hipError_tPvRmT3_T4_T5_T6_T7_T9_mT8_P12ihipStream_tbDpT10_ENKUlT_T0_E_clISt17integral_constantIbLb1EES1A_IbLb0EEEEDaS16_S17_EUlS16_E_NS1_11comp_targetILNS1_3genE9ELNS1_11target_archE1100ELNS1_3gpuE3ELNS1_3repE0EEENS1_30default_config_static_selectorELNS0_4arch9wavefront6targetE0EEEvT1_.uses_vcc, 0
	.set _ZN7rocprim17ROCPRIM_400000_NS6detail17trampoline_kernelINS0_14default_configENS1_25partition_config_selectorILNS1_17partition_subalgoE6EjNS0_10empty_typeEbEEZZNS1_14partition_implILS5_6ELb0ES3_mN6thrust23THRUST_200600_302600_NS6detail15normal_iteratorINSA_10device_ptrIjEEEEPS6_SG_NS0_5tupleIJNSA_16discard_iteratorINSA_11use_defaultEEES6_EEENSH_IJSG_SG_EEES6_PlJNSB_9not_fun_tI7is_trueIjEEEEEE10hipError_tPvRmT3_T4_T5_T6_T7_T9_mT8_P12ihipStream_tbDpT10_ENKUlT_T0_E_clISt17integral_constantIbLb1EES1A_IbLb0EEEEDaS16_S17_EUlS16_E_NS1_11comp_targetILNS1_3genE9ELNS1_11target_archE1100ELNS1_3gpuE3ELNS1_3repE0EEENS1_30default_config_static_selectorELNS0_4arch9wavefront6targetE0EEEvT1_.uses_flat_scratch, 0
	.set _ZN7rocprim17ROCPRIM_400000_NS6detail17trampoline_kernelINS0_14default_configENS1_25partition_config_selectorILNS1_17partition_subalgoE6EjNS0_10empty_typeEbEEZZNS1_14partition_implILS5_6ELb0ES3_mN6thrust23THRUST_200600_302600_NS6detail15normal_iteratorINSA_10device_ptrIjEEEEPS6_SG_NS0_5tupleIJNSA_16discard_iteratorINSA_11use_defaultEEES6_EEENSH_IJSG_SG_EEES6_PlJNSB_9not_fun_tI7is_trueIjEEEEEE10hipError_tPvRmT3_T4_T5_T6_T7_T9_mT8_P12ihipStream_tbDpT10_ENKUlT_T0_E_clISt17integral_constantIbLb1EES1A_IbLb0EEEEDaS16_S17_EUlS16_E_NS1_11comp_targetILNS1_3genE9ELNS1_11target_archE1100ELNS1_3gpuE3ELNS1_3repE0EEENS1_30default_config_static_selectorELNS0_4arch9wavefront6targetE0EEEvT1_.has_dyn_sized_stack, 0
	.set _ZN7rocprim17ROCPRIM_400000_NS6detail17trampoline_kernelINS0_14default_configENS1_25partition_config_selectorILNS1_17partition_subalgoE6EjNS0_10empty_typeEbEEZZNS1_14partition_implILS5_6ELb0ES3_mN6thrust23THRUST_200600_302600_NS6detail15normal_iteratorINSA_10device_ptrIjEEEEPS6_SG_NS0_5tupleIJNSA_16discard_iteratorINSA_11use_defaultEEES6_EEENSH_IJSG_SG_EEES6_PlJNSB_9not_fun_tI7is_trueIjEEEEEE10hipError_tPvRmT3_T4_T5_T6_T7_T9_mT8_P12ihipStream_tbDpT10_ENKUlT_T0_E_clISt17integral_constantIbLb1EES1A_IbLb0EEEEDaS16_S17_EUlS16_E_NS1_11comp_targetILNS1_3genE9ELNS1_11target_archE1100ELNS1_3gpuE3ELNS1_3repE0EEENS1_30default_config_static_selectorELNS0_4arch9wavefront6targetE0EEEvT1_.has_recursion, 0
	.set _ZN7rocprim17ROCPRIM_400000_NS6detail17trampoline_kernelINS0_14default_configENS1_25partition_config_selectorILNS1_17partition_subalgoE6EjNS0_10empty_typeEbEEZZNS1_14partition_implILS5_6ELb0ES3_mN6thrust23THRUST_200600_302600_NS6detail15normal_iteratorINSA_10device_ptrIjEEEEPS6_SG_NS0_5tupleIJNSA_16discard_iteratorINSA_11use_defaultEEES6_EEENSH_IJSG_SG_EEES6_PlJNSB_9not_fun_tI7is_trueIjEEEEEE10hipError_tPvRmT3_T4_T5_T6_T7_T9_mT8_P12ihipStream_tbDpT10_ENKUlT_T0_E_clISt17integral_constantIbLb1EES1A_IbLb0EEEEDaS16_S17_EUlS16_E_NS1_11comp_targetILNS1_3genE9ELNS1_11target_archE1100ELNS1_3gpuE3ELNS1_3repE0EEENS1_30default_config_static_selectorELNS0_4arch9wavefront6targetE0EEEvT1_.has_indirect_call, 0
	.section	.AMDGPU.csdata,"",@progbits
; Kernel info:
; codeLenInByte = 0
; TotalNumSgprs: 0
; NumVgprs: 0
; ScratchSize: 0
; MemoryBound: 0
; FloatMode: 240
; IeeeMode: 1
; LDSByteSize: 0 bytes/workgroup (compile time only)
; SGPRBlocks: 0
; VGPRBlocks: 0
; NumSGPRsForWavesPerEU: 1
; NumVGPRsForWavesPerEU: 1
; Occupancy: 16
; WaveLimiterHint : 0
; COMPUTE_PGM_RSRC2:SCRATCH_EN: 0
; COMPUTE_PGM_RSRC2:USER_SGPR: 2
; COMPUTE_PGM_RSRC2:TRAP_HANDLER: 0
; COMPUTE_PGM_RSRC2:TGID_X_EN: 1
; COMPUTE_PGM_RSRC2:TGID_Y_EN: 0
; COMPUTE_PGM_RSRC2:TGID_Z_EN: 0
; COMPUTE_PGM_RSRC2:TIDIG_COMP_CNT: 0
	.section	.text._ZN7rocprim17ROCPRIM_400000_NS6detail17trampoline_kernelINS0_14default_configENS1_25partition_config_selectorILNS1_17partition_subalgoE6EjNS0_10empty_typeEbEEZZNS1_14partition_implILS5_6ELb0ES3_mN6thrust23THRUST_200600_302600_NS6detail15normal_iteratorINSA_10device_ptrIjEEEEPS6_SG_NS0_5tupleIJNSA_16discard_iteratorINSA_11use_defaultEEES6_EEENSH_IJSG_SG_EEES6_PlJNSB_9not_fun_tI7is_trueIjEEEEEE10hipError_tPvRmT3_T4_T5_T6_T7_T9_mT8_P12ihipStream_tbDpT10_ENKUlT_T0_E_clISt17integral_constantIbLb1EES1A_IbLb0EEEEDaS16_S17_EUlS16_E_NS1_11comp_targetILNS1_3genE8ELNS1_11target_archE1030ELNS1_3gpuE2ELNS1_3repE0EEENS1_30default_config_static_selectorELNS0_4arch9wavefront6targetE0EEEvT1_,"axG",@progbits,_ZN7rocprim17ROCPRIM_400000_NS6detail17trampoline_kernelINS0_14default_configENS1_25partition_config_selectorILNS1_17partition_subalgoE6EjNS0_10empty_typeEbEEZZNS1_14partition_implILS5_6ELb0ES3_mN6thrust23THRUST_200600_302600_NS6detail15normal_iteratorINSA_10device_ptrIjEEEEPS6_SG_NS0_5tupleIJNSA_16discard_iteratorINSA_11use_defaultEEES6_EEENSH_IJSG_SG_EEES6_PlJNSB_9not_fun_tI7is_trueIjEEEEEE10hipError_tPvRmT3_T4_T5_T6_T7_T9_mT8_P12ihipStream_tbDpT10_ENKUlT_T0_E_clISt17integral_constantIbLb1EES1A_IbLb0EEEEDaS16_S17_EUlS16_E_NS1_11comp_targetILNS1_3genE8ELNS1_11target_archE1030ELNS1_3gpuE2ELNS1_3repE0EEENS1_30default_config_static_selectorELNS0_4arch9wavefront6targetE0EEEvT1_,comdat
	.protected	_ZN7rocprim17ROCPRIM_400000_NS6detail17trampoline_kernelINS0_14default_configENS1_25partition_config_selectorILNS1_17partition_subalgoE6EjNS0_10empty_typeEbEEZZNS1_14partition_implILS5_6ELb0ES3_mN6thrust23THRUST_200600_302600_NS6detail15normal_iteratorINSA_10device_ptrIjEEEEPS6_SG_NS0_5tupleIJNSA_16discard_iteratorINSA_11use_defaultEEES6_EEENSH_IJSG_SG_EEES6_PlJNSB_9not_fun_tI7is_trueIjEEEEEE10hipError_tPvRmT3_T4_T5_T6_T7_T9_mT8_P12ihipStream_tbDpT10_ENKUlT_T0_E_clISt17integral_constantIbLb1EES1A_IbLb0EEEEDaS16_S17_EUlS16_E_NS1_11comp_targetILNS1_3genE8ELNS1_11target_archE1030ELNS1_3gpuE2ELNS1_3repE0EEENS1_30default_config_static_selectorELNS0_4arch9wavefront6targetE0EEEvT1_ ; -- Begin function _ZN7rocprim17ROCPRIM_400000_NS6detail17trampoline_kernelINS0_14default_configENS1_25partition_config_selectorILNS1_17partition_subalgoE6EjNS0_10empty_typeEbEEZZNS1_14partition_implILS5_6ELb0ES3_mN6thrust23THRUST_200600_302600_NS6detail15normal_iteratorINSA_10device_ptrIjEEEEPS6_SG_NS0_5tupleIJNSA_16discard_iteratorINSA_11use_defaultEEES6_EEENSH_IJSG_SG_EEES6_PlJNSB_9not_fun_tI7is_trueIjEEEEEE10hipError_tPvRmT3_T4_T5_T6_T7_T9_mT8_P12ihipStream_tbDpT10_ENKUlT_T0_E_clISt17integral_constantIbLb1EES1A_IbLb0EEEEDaS16_S17_EUlS16_E_NS1_11comp_targetILNS1_3genE8ELNS1_11target_archE1030ELNS1_3gpuE2ELNS1_3repE0EEENS1_30default_config_static_selectorELNS0_4arch9wavefront6targetE0EEEvT1_
	.globl	_ZN7rocprim17ROCPRIM_400000_NS6detail17trampoline_kernelINS0_14default_configENS1_25partition_config_selectorILNS1_17partition_subalgoE6EjNS0_10empty_typeEbEEZZNS1_14partition_implILS5_6ELb0ES3_mN6thrust23THRUST_200600_302600_NS6detail15normal_iteratorINSA_10device_ptrIjEEEEPS6_SG_NS0_5tupleIJNSA_16discard_iteratorINSA_11use_defaultEEES6_EEENSH_IJSG_SG_EEES6_PlJNSB_9not_fun_tI7is_trueIjEEEEEE10hipError_tPvRmT3_T4_T5_T6_T7_T9_mT8_P12ihipStream_tbDpT10_ENKUlT_T0_E_clISt17integral_constantIbLb1EES1A_IbLb0EEEEDaS16_S17_EUlS16_E_NS1_11comp_targetILNS1_3genE8ELNS1_11target_archE1030ELNS1_3gpuE2ELNS1_3repE0EEENS1_30default_config_static_selectorELNS0_4arch9wavefront6targetE0EEEvT1_
	.p2align	8
	.type	_ZN7rocprim17ROCPRIM_400000_NS6detail17trampoline_kernelINS0_14default_configENS1_25partition_config_selectorILNS1_17partition_subalgoE6EjNS0_10empty_typeEbEEZZNS1_14partition_implILS5_6ELb0ES3_mN6thrust23THRUST_200600_302600_NS6detail15normal_iteratorINSA_10device_ptrIjEEEEPS6_SG_NS0_5tupleIJNSA_16discard_iteratorINSA_11use_defaultEEES6_EEENSH_IJSG_SG_EEES6_PlJNSB_9not_fun_tI7is_trueIjEEEEEE10hipError_tPvRmT3_T4_T5_T6_T7_T9_mT8_P12ihipStream_tbDpT10_ENKUlT_T0_E_clISt17integral_constantIbLb1EES1A_IbLb0EEEEDaS16_S17_EUlS16_E_NS1_11comp_targetILNS1_3genE8ELNS1_11target_archE1030ELNS1_3gpuE2ELNS1_3repE0EEENS1_30default_config_static_selectorELNS0_4arch9wavefront6targetE0EEEvT1_,@function
_ZN7rocprim17ROCPRIM_400000_NS6detail17trampoline_kernelINS0_14default_configENS1_25partition_config_selectorILNS1_17partition_subalgoE6EjNS0_10empty_typeEbEEZZNS1_14partition_implILS5_6ELb0ES3_mN6thrust23THRUST_200600_302600_NS6detail15normal_iteratorINSA_10device_ptrIjEEEEPS6_SG_NS0_5tupleIJNSA_16discard_iteratorINSA_11use_defaultEEES6_EEENSH_IJSG_SG_EEES6_PlJNSB_9not_fun_tI7is_trueIjEEEEEE10hipError_tPvRmT3_T4_T5_T6_T7_T9_mT8_P12ihipStream_tbDpT10_ENKUlT_T0_E_clISt17integral_constantIbLb1EES1A_IbLb0EEEEDaS16_S17_EUlS16_E_NS1_11comp_targetILNS1_3genE8ELNS1_11target_archE1030ELNS1_3gpuE2ELNS1_3repE0EEENS1_30default_config_static_selectorELNS0_4arch9wavefront6targetE0EEEvT1_: ; @_ZN7rocprim17ROCPRIM_400000_NS6detail17trampoline_kernelINS0_14default_configENS1_25partition_config_selectorILNS1_17partition_subalgoE6EjNS0_10empty_typeEbEEZZNS1_14partition_implILS5_6ELb0ES3_mN6thrust23THRUST_200600_302600_NS6detail15normal_iteratorINSA_10device_ptrIjEEEEPS6_SG_NS0_5tupleIJNSA_16discard_iteratorINSA_11use_defaultEEES6_EEENSH_IJSG_SG_EEES6_PlJNSB_9not_fun_tI7is_trueIjEEEEEE10hipError_tPvRmT3_T4_T5_T6_T7_T9_mT8_P12ihipStream_tbDpT10_ENKUlT_T0_E_clISt17integral_constantIbLb1EES1A_IbLb0EEEEDaS16_S17_EUlS16_E_NS1_11comp_targetILNS1_3genE8ELNS1_11target_archE1030ELNS1_3gpuE2ELNS1_3repE0EEENS1_30default_config_static_selectorELNS0_4arch9wavefront6targetE0EEEvT1_
; %bb.0:
	.section	.rodata,"a",@progbits
	.p2align	6, 0x0
	.amdhsa_kernel _ZN7rocprim17ROCPRIM_400000_NS6detail17trampoline_kernelINS0_14default_configENS1_25partition_config_selectorILNS1_17partition_subalgoE6EjNS0_10empty_typeEbEEZZNS1_14partition_implILS5_6ELb0ES3_mN6thrust23THRUST_200600_302600_NS6detail15normal_iteratorINSA_10device_ptrIjEEEEPS6_SG_NS0_5tupleIJNSA_16discard_iteratorINSA_11use_defaultEEES6_EEENSH_IJSG_SG_EEES6_PlJNSB_9not_fun_tI7is_trueIjEEEEEE10hipError_tPvRmT3_T4_T5_T6_T7_T9_mT8_P12ihipStream_tbDpT10_ENKUlT_T0_E_clISt17integral_constantIbLb1EES1A_IbLb0EEEEDaS16_S17_EUlS16_E_NS1_11comp_targetILNS1_3genE8ELNS1_11target_archE1030ELNS1_3gpuE2ELNS1_3repE0EEENS1_30default_config_static_selectorELNS0_4arch9wavefront6targetE0EEEvT1_
		.amdhsa_group_segment_fixed_size 0
		.amdhsa_private_segment_fixed_size 0
		.amdhsa_kernarg_size 120
		.amdhsa_user_sgpr_count 2
		.amdhsa_user_sgpr_dispatch_ptr 0
		.amdhsa_user_sgpr_queue_ptr 0
		.amdhsa_user_sgpr_kernarg_segment_ptr 1
		.amdhsa_user_sgpr_dispatch_id 0
		.amdhsa_user_sgpr_private_segment_size 0
		.amdhsa_wavefront_size32 1
		.amdhsa_uses_dynamic_stack 0
		.amdhsa_enable_private_segment 0
		.amdhsa_system_sgpr_workgroup_id_x 1
		.amdhsa_system_sgpr_workgroup_id_y 0
		.amdhsa_system_sgpr_workgroup_id_z 0
		.amdhsa_system_sgpr_workgroup_info 0
		.amdhsa_system_vgpr_workitem_id 0
		.amdhsa_next_free_vgpr 1
		.amdhsa_next_free_sgpr 1
		.amdhsa_reserve_vcc 0
		.amdhsa_float_round_mode_32 0
		.amdhsa_float_round_mode_16_64 0
		.amdhsa_float_denorm_mode_32 3
		.amdhsa_float_denorm_mode_16_64 3
		.amdhsa_fp16_overflow 0
		.amdhsa_workgroup_processor_mode 1
		.amdhsa_memory_ordered 1
		.amdhsa_forward_progress 1
		.amdhsa_inst_pref_size 0
		.amdhsa_round_robin_scheduling 0
		.amdhsa_exception_fp_ieee_invalid_op 0
		.amdhsa_exception_fp_denorm_src 0
		.amdhsa_exception_fp_ieee_div_zero 0
		.amdhsa_exception_fp_ieee_overflow 0
		.amdhsa_exception_fp_ieee_underflow 0
		.amdhsa_exception_fp_ieee_inexact 0
		.amdhsa_exception_int_div_zero 0
	.end_amdhsa_kernel
	.section	.text._ZN7rocprim17ROCPRIM_400000_NS6detail17trampoline_kernelINS0_14default_configENS1_25partition_config_selectorILNS1_17partition_subalgoE6EjNS0_10empty_typeEbEEZZNS1_14partition_implILS5_6ELb0ES3_mN6thrust23THRUST_200600_302600_NS6detail15normal_iteratorINSA_10device_ptrIjEEEEPS6_SG_NS0_5tupleIJNSA_16discard_iteratorINSA_11use_defaultEEES6_EEENSH_IJSG_SG_EEES6_PlJNSB_9not_fun_tI7is_trueIjEEEEEE10hipError_tPvRmT3_T4_T5_T6_T7_T9_mT8_P12ihipStream_tbDpT10_ENKUlT_T0_E_clISt17integral_constantIbLb1EES1A_IbLb0EEEEDaS16_S17_EUlS16_E_NS1_11comp_targetILNS1_3genE8ELNS1_11target_archE1030ELNS1_3gpuE2ELNS1_3repE0EEENS1_30default_config_static_selectorELNS0_4arch9wavefront6targetE0EEEvT1_,"axG",@progbits,_ZN7rocprim17ROCPRIM_400000_NS6detail17trampoline_kernelINS0_14default_configENS1_25partition_config_selectorILNS1_17partition_subalgoE6EjNS0_10empty_typeEbEEZZNS1_14partition_implILS5_6ELb0ES3_mN6thrust23THRUST_200600_302600_NS6detail15normal_iteratorINSA_10device_ptrIjEEEEPS6_SG_NS0_5tupleIJNSA_16discard_iteratorINSA_11use_defaultEEES6_EEENSH_IJSG_SG_EEES6_PlJNSB_9not_fun_tI7is_trueIjEEEEEE10hipError_tPvRmT3_T4_T5_T6_T7_T9_mT8_P12ihipStream_tbDpT10_ENKUlT_T0_E_clISt17integral_constantIbLb1EES1A_IbLb0EEEEDaS16_S17_EUlS16_E_NS1_11comp_targetILNS1_3genE8ELNS1_11target_archE1030ELNS1_3gpuE2ELNS1_3repE0EEENS1_30default_config_static_selectorELNS0_4arch9wavefront6targetE0EEEvT1_,comdat
.Lfunc_end2196:
	.size	_ZN7rocprim17ROCPRIM_400000_NS6detail17trampoline_kernelINS0_14default_configENS1_25partition_config_selectorILNS1_17partition_subalgoE6EjNS0_10empty_typeEbEEZZNS1_14partition_implILS5_6ELb0ES3_mN6thrust23THRUST_200600_302600_NS6detail15normal_iteratorINSA_10device_ptrIjEEEEPS6_SG_NS0_5tupleIJNSA_16discard_iteratorINSA_11use_defaultEEES6_EEENSH_IJSG_SG_EEES6_PlJNSB_9not_fun_tI7is_trueIjEEEEEE10hipError_tPvRmT3_T4_T5_T6_T7_T9_mT8_P12ihipStream_tbDpT10_ENKUlT_T0_E_clISt17integral_constantIbLb1EES1A_IbLb0EEEEDaS16_S17_EUlS16_E_NS1_11comp_targetILNS1_3genE8ELNS1_11target_archE1030ELNS1_3gpuE2ELNS1_3repE0EEENS1_30default_config_static_selectorELNS0_4arch9wavefront6targetE0EEEvT1_, .Lfunc_end2196-_ZN7rocprim17ROCPRIM_400000_NS6detail17trampoline_kernelINS0_14default_configENS1_25partition_config_selectorILNS1_17partition_subalgoE6EjNS0_10empty_typeEbEEZZNS1_14partition_implILS5_6ELb0ES3_mN6thrust23THRUST_200600_302600_NS6detail15normal_iteratorINSA_10device_ptrIjEEEEPS6_SG_NS0_5tupleIJNSA_16discard_iteratorINSA_11use_defaultEEES6_EEENSH_IJSG_SG_EEES6_PlJNSB_9not_fun_tI7is_trueIjEEEEEE10hipError_tPvRmT3_T4_T5_T6_T7_T9_mT8_P12ihipStream_tbDpT10_ENKUlT_T0_E_clISt17integral_constantIbLb1EES1A_IbLb0EEEEDaS16_S17_EUlS16_E_NS1_11comp_targetILNS1_3genE8ELNS1_11target_archE1030ELNS1_3gpuE2ELNS1_3repE0EEENS1_30default_config_static_selectorELNS0_4arch9wavefront6targetE0EEEvT1_
                                        ; -- End function
	.set _ZN7rocprim17ROCPRIM_400000_NS6detail17trampoline_kernelINS0_14default_configENS1_25partition_config_selectorILNS1_17partition_subalgoE6EjNS0_10empty_typeEbEEZZNS1_14partition_implILS5_6ELb0ES3_mN6thrust23THRUST_200600_302600_NS6detail15normal_iteratorINSA_10device_ptrIjEEEEPS6_SG_NS0_5tupleIJNSA_16discard_iteratorINSA_11use_defaultEEES6_EEENSH_IJSG_SG_EEES6_PlJNSB_9not_fun_tI7is_trueIjEEEEEE10hipError_tPvRmT3_T4_T5_T6_T7_T9_mT8_P12ihipStream_tbDpT10_ENKUlT_T0_E_clISt17integral_constantIbLb1EES1A_IbLb0EEEEDaS16_S17_EUlS16_E_NS1_11comp_targetILNS1_3genE8ELNS1_11target_archE1030ELNS1_3gpuE2ELNS1_3repE0EEENS1_30default_config_static_selectorELNS0_4arch9wavefront6targetE0EEEvT1_.num_vgpr, 0
	.set _ZN7rocprim17ROCPRIM_400000_NS6detail17trampoline_kernelINS0_14default_configENS1_25partition_config_selectorILNS1_17partition_subalgoE6EjNS0_10empty_typeEbEEZZNS1_14partition_implILS5_6ELb0ES3_mN6thrust23THRUST_200600_302600_NS6detail15normal_iteratorINSA_10device_ptrIjEEEEPS6_SG_NS0_5tupleIJNSA_16discard_iteratorINSA_11use_defaultEEES6_EEENSH_IJSG_SG_EEES6_PlJNSB_9not_fun_tI7is_trueIjEEEEEE10hipError_tPvRmT3_T4_T5_T6_T7_T9_mT8_P12ihipStream_tbDpT10_ENKUlT_T0_E_clISt17integral_constantIbLb1EES1A_IbLb0EEEEDaS16_S17_EUlS16_E_NS1_11comp_targetILNS1_3genE8ELNS1_11target_archE1030ELNS1_3gpuE2ELNS1_3repE0EEENS1_30default_config_static_selectorELNS0_4arch9wavefront6targetE0EEEvT1_.num_agpr, 0
	.set _ZN7rocprim17ROCPRIM_400000_NS6detail17trampoline_kernelINS0_14default_configENS1_25partition_config_selectorILNS1_17partition_subalgoE6EjNS0_10empty_typeEbEEZZNS1_14partition_implILS5_6ELb0ES3_mN6thrust23THRUST_200600_302600_NS6detail15normal_iteratorINSA_10device_ptrIjEEEEPS6_SG_NS0_5tupleIJNSA_16discard_iteratorINSA_11use_defaultEEES6_EEENSH_IJSG_SG_EEES6_PlJNSB_9not_fun_tI7is_trueIjEEEEEE10hipError_tPvRmT3_T4_T5_T6_T7_T9_mT8_P12ihipStream_tbDpT10_ENKUlT_T0_E_clISt17integral_constantIbLb1EES1A_IbLb0EEEEDaS16_S17_EUlS16_E_NS1_11comp_targetILNS1_3genE8ELNS1_11target_archE1030ELNS1_3gpuE2ELNS1_3repE0EEENS1_30default_config_static_selectorELNS0_4arch9wavefront6targetE0EEEvT1_.numbered_sgpr, 0
	.set _ZN7rocprim17ROCPRIM_400000_NS6detail17trampoline_kernelINS0_14default_configENS1_25partition_config_selectorILNS1_17partition_subalgoE6EjNS0_10empty_typeEbEEZZNS1_14partition_implILS5_6ELb0ES3_mN6thrust23THRUST_200600_302600_NS6detail15normal_iteratorINSA_10device_ptrIjEEEEPS6_SG_NS0_5tupleIJNSA_16discard_iteratorINSA_11use_defaultEEES6_EEENSH_IJSG_SG_EEES6_PlJNSB_9not_fun_tI7is_trueIjEEEEEE10hipError_tPvRmT3_T4_T5_T6_T7_T9_mT8_P12ihipStream_tbDpT10_ENKUlT_T0_E_clISt17integral_constantIbLb1EES1A_IbLb0EEEEDaS16_S17_EUlS16_E_NS1_11comp_targetILNS1_3genE8ELNS1_11target_archE1030ELNS1_3gpuE2ELNS1_3repE0EEENS1_30default_config_static_selectorELNS0_4arch9wavefront6targetE0EEEvT1_.num_named_barrier, 0
	.set _ZN7rocprim17ROCPRIM_400000_NS6detail17trampoline_kernelINS0_14default_configENS1_25partition_config_selectorILNS1_17partition_subalgoE6EjNS0_10empty_typeEbEEZZNS1_14partition_implILS5_6ELb0ES3_mN6thrust23THRUST_200600_302600_NS6detail15normal_iteratorINSA_10device_ptrIjEEEEPS6_SG_NS0_5tupleIJNSA_16discard_iteratorINSA_11use_defaultEEES6_EEENSH_IJSG_SG_EEES6_PlJNSB_9not_fun_tI7is_trueIjEEEEEE10hipError_tPvRmT3_T4_T5_T6_T7_T9_mT8_P12ihipStream_tbDpT10_ENKUlT_T0_E_clISt17integral_constantIbLb1EES1A_IbLb0EEEEDaS16_S17_EUlS16_E_NS1_11comp_targetILNS1_3genE8ELNS1_11target_archE1030ELNS1_3gpuE2ELNS1_3repE0EEENS1_30default_config_static_selectorELNS0_4arch9wavefront6targetE0EEEvT1_.private_seg_size, 0
	.set _ZN7rocprim17ROCPRIM_400000_NS6detail17trampoline_kernelINS0_14default_configENS1_25partition_config_selectorILNS1_17partition_subalgoE6EjNS0_10empty_typeEbEEZZNS1_14partition_implILS5_6ELb0ES3_mN6thrust23THRUST_200600_302600_NS6detail15normal_iteratorINSA_10device_ptrIjEEEEPS6_SG_NS0_5tupleIJNSA_16discard_iteratorINSA_11use_defaultEEES6_EEENSH_IJSG_SG_EEES6_PlJNSB_9not_fun_tI7is_trueIjEEEEEE10hipError_tPvRmT3_T4_T5_T6_T7_T9_mT8_P12ihipStream_tbDpT10_ENKUlT_T0_E_clISt17integral_constantIbLb1EES1A_IbLb0EEEEDaS16_S17_EUlS16_E_NS1_11comp_targetILNS1_3genE8ELNS1_11target_archE1030ELNS1_3gpuE2ELNS1_3repE0EEENS1_30default_config_static_selectorELNS0_4arch9wavefront6targetE0EEEvT1_.uses_vcc, 0
	.set _ZN7rocprim17ROCPRIM_400000_NS6detail17trampoline_kernelINS0_14default_configENS1_25partition_config_selectorILNS1_17partition_subalgoE6EjNS0_10empty_typeEbEEZZNS1_14partition_implILS5_6ELb0ES3_mN6thrust23THRUST_200600_302600_NS6detail15normal_iteratorINSA_10device_ptrIjEEEEPS6_SG_NS0_5tupleIJNSA_16discard_iteratorINSA_11use_defaultEEES6_EEENSH_IJSG_SG_EEES6_PlJNSB_9not_fun_tI7is_trueIjEEEEEE10hipError_tPvRmT3_T4_T5_T6_T7_T9_mT8_P12ihipStream_tbDpT10_ENKUlT_T0_E_clISt17integral_constantIbLb1EES1A_IbLb0EEEEDaS16_S17_EUlS16_E_NS1_11comp_targetILNS1_3genE8ELNS1_11target_archE1030ELNS1_3gpuE2ELNS1_3repE0EEENS1_30default_config_static_selectorELNS0_4arch9wavefront6targetE0EEEvT1_.uses_flat_scratch, 0
	.set _ZN7rocprim17ROCPRIM_400000_NS6detail17trampoline_kernelINS0_14default_configENS1_25partition_config_selectorILNS1_17partition_subalgoE6EjNS0_10empty_typeEbEEZZNS1_14partition_implILS5_6ELb0ES3_mN6thrust23THRUST_200600_302600_NS6detail15normal_iteratorINSA_10device_ptrIjEEEEPS6_SG_NS0_5tupleIJNSA_16discard_iteratorINSA_11use_defaultEEES6_EEENSH_IJSG_SG_EEES6_PlJNSB_9not_fun_tI7is_trueIjEEEEEE10hipError_tPvRmT3_T4_T5_T6_T7_T9_mT8_P12ihipStream_tbDpT10_ENKUlT_T0_E_clISt17integral_constantIbLb1EES1A_IbLb0EEEEDaS16_S17_EUlS16_E_NS1_11comp_targetILNS1_3genE8ELNS1_11target_archE1030ELNS1_3gpuE2ELNS1_3repE0EEENS1_30default_config_static_selectorELNS0_4arch9wavefront6targetE0EEEvT1_.has_dyn_sized_stack, 0
	.set _ZN7rocprim17ROCPRIM_400000_NS6detail17trampoline_kernelINS0_14default_configENS1_25partition_config_selectorILNS1_17partition_subalgoE6EjNS0_10empty_typeEbEEZZNS1_14partition_implILS5_6ELb0ES3_mN6thrust23THRUST_200600_302600_NS6detail15normal_iteratorINSA_10device_ptrIjEEEEPS6_SG_NS0_5tupleIJNSA_16discard_iteratorINSA_11use_defaultEEES6_EEENSH_IJSG_SG_EEES6_PlJNSB_9not_fun_tI7is_trueIjEEEEEE10hipError_tPvRmT3_T4_T5_T6_T7_T9_mT8_P12ihipStream_tbDpT10_ENKUlT_T0_E_clISt17integral_constantIbLb1EES1A_IbLb0EEEEDaS16_S17_EUlS16_E_NS1_11comp_targetILNS1_3genE8ELNS1_11target_archE1030ELNS1_3gpuE2ELNS1_3repE0EEENS1_30default_config_static_selectorELNS0_4arch9wavefront6targetE0EEEvT1_.has_recursion, 0
	.set _ZN7rocprim17ROCPRIM_400000_NS6detail17trampoline_kernelINS0_14default_configENS1_25partition_config_selectorILNS1_17partition_subalgoE6EjNS0_10empty_typeEbEEZZNS1_14partition_implILS5_6ELb0ES3_mN6thrust23THRUST_200600_302600_NS6detail15normal_iteratorINSA_10device_ptrIjEEEEPS6_SG_NS0_5tupleIJNSA_16discard_iteratorINSA_11use_defaultEEES6_EEENSH_IJSG_SG_EEES6_PlJNSB_9not_fun_tI7is_trueIjEEEEEE10hipError_tPvRmT3_T4_T5_T6_T7_T9_mT8_P12ihipStream_tbDpT10_ENKUlT_T0_E_clISt17integral_constantIbLb1EES1A_IbLb0EEEEDaS16_S17_EUlS16_E_NS1_11comp_targetILNS1_3genE8ELNS1_11target_archE1030ELNS1_3gpuE2ELNS1_3repE0EEENS1_30default_config_static_selectorELNS0_4arch9wavefront6targetE0EEEvT1_.has_indirect_call, 0
	.section	.AMDGPU.csdata,"",@progbits
; Kernel info:
; codeLenInByte = 0
; TotalNumSgprs: 0
; NumVgprs: 0
; ScratchSize: 0
; MemoryBound: 0
; FloatMode: 240
; IeeeMode: 1
; LDSByteSize: 0 bytes/workgroup (compile time only)
; SGPRBlocks: 0
; VGPRBlocks: 0
; NumSGPRsForWavesPerEU: 1
; NumVGPRsForWavesPerEU: 1
; Occupancy: 16
; WaveLimiterHint : 0
; COMPUTE_PGM_RSRC2:SCRATCH_EN: 0
; COMPUTE_PGM_RSRC2:USER_SGPR: 2
; COMPUTE_PGM_RSRC2:TRAP_HANDLER: 0
; COMPUTE_PGM_RSRC2:TGID_X_EN: 1
; COMPUTE_PGM_RSRC2:TGID_Y_EN: 0
; COMPUTE_PGM_RSRC2:TGID_Z_EN: 0
; COMPUTE_PGM_RSRC2:TIDIG_COMP_CNT: 0
	.section	.text._ZN7rocprim17ROCPRIM_400000_NS6detail17trampoline_kernelINS0_14default_configENS1_25partition_config_selectorILNS1_17partition_subalgoE6EjNS0_10empty_typeEbEEZZNS1_14partition_implILS5_6ELb0ES3_mN6thrust23THRUST_200600_302600_NS6detail15normal_iteratorINSA_10device_ptrIjEEEEPS6_SG_NS0_5tupleIJNSA_16discard_iteratorINSA_11use_defaultEEES6_EEENSH_IJSG_SG_EEES6_PlJNSB_9not_fun_tI7is_trueIjEEEEEE10hipError_tPvRmT3_T4_T5_T6_T7_T9_mT8_P12ihipStream_tbDpT10_ENKUlT_T0_E_clISt17integral_constantIbLb0EES1A_IbLb1EEEEDaS16_S17_EUlS16_E_NS1_11comp_targetILNS1_3genE0ELNS1_11target_archE4294967295ELNS1_3gpuE0ELNS1_3repE0EEENS1_30default_config_static_selectorELNS0_4arch9wavefront6targetE0EEEvT1_,"axG",@progbits,_ZN7rocprim17ROCPRIM_400000_NS6detail17trampoline_kernelINS0_14default_configENS1_25partition_config_selectorILNS1_17partition_subalgoE6EjNS0_10empty_typeEbEEZZNS1_14partition_implILS5_6ELb0ES3_mN6thrust23THRUST_200600_302600_NS6detail15normal_iteratorINSA_10device_ptrIjEEEEPS6_SG_NS0_5tupleIJNSA_16discard_iteratorINSA_11use_defaultEEES6_EEENSH_IJSG_SG_EEES6_PlJNSB_9not_fun_tI7is_trueIjEEEEEE10hipError_tPvRmT3_T4_T5_T6_T7_T9_mT8_P12ihipStream_tbDpT10_ENKUlT_T0_E_clISt17integral_constantIbLb0EES1A_IbLb1EEEEDaS16_S17_EUlS16_E_NS1_11comp_targetILNS1_3genE0ELNS1_11target_archE4294967295ELNS1_3gpuE0ELNS1_3repE0EEENS1_30default_config_static_selectorELNS0_4arch9wavefront6targetE0EEEvT1_,comdat
	.protected	_ZN7rocprim17ROCPRIM_400000_NS6detail17trampoline_kernelINS0_14default_configENS1_25partition_config_selectorILNS1_17partition_subalgoE6EjNS0_10empty_typeEbEEZZNS1_14partition_implILS5_6ELb0ES3_mN6thrust23THRUST_200600_302600_NS6detail15normal_iteratorINSA_10device_ptrIjEEEEPS6_SG_NS0_5tupleIJNSA_16discard_iteratorINSA_11use_defaultEEES6_EEENSH_IJSG_SG_EEES6_PlJNSB_9not_fun_tI7is_trueIjEEEEEE10hipError_tPvRmT3_T4_T5_T6_T7_T9_mT8_P12ihipStream_tbDpT10_ENKUlT_T0_E_clISt17integral_constantIbLb0EES1A_IbLb1EEEEDaS16_S17_EUlS16_E_NS1_11comp_targetILNS1_3genE0ELNS1_11target_archE4294967295ELNS1_3gpuE0ELNS1_3repE0EEENS1_30default_config_static_selectorELNS0_4arch9wavefront6targetE0EEEvT1_ ; -- Begin function _ZN7rocprim17ROCPRIM_400000_NS6detail17trampoline_kernelINS0_14default_configENS1_25partition_config_selectorILNS1_17partition_subalgoE6EjNS0_10empty_typeEbEEZZNS1_14partition_implILS5_6ELb0ES3_mN6thrust23THRUST_200600_302600_NS6detail15normal_iteratorINSA_10device_ptrIjEEEEPS6_SG_NS0_5tupleIJNSA_16discard_iteratorINSA_11use_defaultEEES6_EEENSH_IJSG_SG_EEES6_PlJNSB_9not_fun_tI7is_trueIjEEEEEE10hipError_tPvRmT3_T4_T5_T6_T7_T9_mT8_P12ihipStream_tbDpT10_ENKUlT_T0_E_clISt17integral_constantIbLb0EES1A_IbLb1EEEEDaS16_S17_EUlS16_E_NS1_11comp_targetILNS1_3genE0ELNS1_11target_archE4294967295ELNS1_3gpuE0ELNS1_3repE0EEENS1_30default_config_static_selectorELNS0_4arch9wavefront6targetE0EEEvT1_
	.globl	_ZN7rocprim17ROCPRIM_400000_NS6detail17trampoline_kernelINS0_14default_configENS1_25partition_config_selectorILNS1_17partition_subalgoE6EjNS0_10empty_typeEbEEZZNS1_14partition_implILS5_6ELb0ES3_mN6thrust23THRUST_200600_302600_NS6detail15normal_iteratorINSA_10device_ptrIjEEEEPS6_SG_NS0_5tupleIJNSA_16discard_iteratorINSA_11use_defaultEEES6_EEENSH_IJSG_SG_EEES6_PlJNSB_9not_fun_tI7is_trueIjEEEEEE10hipError_tPvRmT3_T4_T5_T6_T7_T9_mT8_P12ihipStream_tbDpT10_ENKUlT_T0_E_clISt17integral_constantIbLb0EES1A_IbLb1EEEEDaS16_S17_EUlS16_E_NS1_11comp_targetILNS1_3genE0ELNS1_11target_archE4294967295ELNS1_3gpuE0ELNS1_3repE0EEENS1_30default_config_static_selectorELNS0_4arch9wavefront6targetE0EEEvT1_
	.p2align	8
	.type	_ZN7rocprim17ROCPRIM_400000_NS6detail17trampoline_kernelINS0_14default_configENS1_25partition_config_selectorILNS1_17partition_subalgoE6EjNS0_10empty_typeEbEEZZNS1_14partition_implILS5_6ELb0ES3_mN6thrust23THRUST_200600_302600_NS6detail15normal_iteratorINSA_10device_ptrIjEEEEPS6_SG_NS0_5tupleIJNSA_16discard_iteratorINSA_11use_defaultEEES6_EEENSH_IJSG_SG_EEES6_PlJNSB_9not_fun_tI7is_trueIjEEEEEE10hipError_tPvRmT3_T4_T5_T6_T7_T9_mT8_P12ihipStream_tbDpT10_ENKUlT_T0_E_clISt17integral_constantIbLb0EES1A_IbLb1EEEEDaS16_S17_EUlS16_E_NS1_11comp_targetILNS1_3genE0ELNS1_11target_archE4294967295ELNS1_3gpuE0ELNS1_3repE0EEENS1_30default_config_static_selectorELNS0_4arch9wavefront6targetE0EEEvT1_,@function
_ZN7rocprim17ROCPRIM_400000_NS6detail17trampoline_kernelINS0_14default_configENS1_25partition_config_selectorILNS1_17partition_subalgoE6EjNS0_10empty_typeEbEEZZNS1_14partition_implILS5_6ELb0ES3_mN6thrust23THRUST_200600_302600_NS6detail15normal_iteratorINSA_10device_ptrIjEEEEPS6_SG_NS0_5tupleIJNSA_16discard_iteratorINSA_11use_defaultEEES6_EEENSH_IJSG_SG_EEES6_PlJNSB_9not_fun_tI7is_trueIjEEEEEE10hipError_tPvRmT3_T4_T5_T6_T7_T9_mT8_P12ihipStream_tbDpT10_ENKUlT_T0_E_clISt17integral_constantIbLb0EES1A_IbLb1EEEEDaS16_S17_EUlS16_E_NS1_11comp_targetILNS1_3genE0ELNS1_11target_archE4294967295ELNS1_3gpuE0ELNS1_3repE0EEENS1_30default_config_static_selectorELNS0_4arch9wavefront6targetE0EEEvT1_: ; @_ZN7rocprim17ROCPRIM_400000_NS6detail17trampoline_kernelINS0_14default_configENS1_25partition_config_selectorILNS1_17partition_subalgoE6EjNS0_10empty_typeEbEEZZNS1_14partition_implILS5_6ELb0ES3_mN6thrust23THRUST_200600_302600_NS6detail15normal_iteratorINSA_10device_ptrIjEEEEPS6_SG_NS0_5tupleIJNSA_16discard_iteratorINSA_11use_defaultEEES6_EEENSH_IJSG_SG_EEES6_PlJNSB_9not_fun_tI7is_trueIjEEEEEE10hipError_tPvRmT3_T4_T5_T6_T7_T9_mT8_P12ihipStream_tbDpT10_ENKUlT_T0_E_clISt17integral_constantIbLb0EES1A_IbLb1EEEEDaS16_S17_EUlS16_E_NS1_11comp_targetILNS1_3genE0ELNS1_11target_archE4294967295ELNS1_3gpuE0ELNS1_3repE0EEENS1_30default_config_static_selectorELNS0_4arch9wavefront6targetE0EEEvT1_
; %bb.0:
	.section	.rodata,"a",@progbits
	.p2align	6, 0x0
	.amdhsa_kernel _ZN7rocprim17ROCPRIM_400000_NS6detail17trampoline_kernelINS0_14default_configENS1_25partition_config_selectorILNS1_17partition_subalgoE6EjNS0_10empty_typeEbEEZZNS1_14partition_implILS5_6ELb0ES3_mN6thrust23THRUST_200600_302600_NS6detail15normal_iteratorINSA_10device_ptrIjEEEEPS6_SG_NS0_5tupleIJNSA_16discard_iteratorINSA_11use_defaultEEES6_EEENSH_IJSG_SG_EEES6_PlJNSB_9not_fun_tI7is_trueIjEEEEEE10hipError_tPvRmT3_T4_T5_T6_T7_T9_mT8_P12ihipStream_tbDpT10_ENKUlT_T0_E_clISt17integral_constantIbLb0EES1A_IbLb1EEEEDaS16_S17_EUlS16_E_NS1_11comp_targetILNS1_3genE0ELNS1_11target_archE4294967295ELNS1_3gpuE0ELNS1_3repE0EEENS1_30default_config_static_selectorELNS0_4arch9wavefront6targetE0EEEvT1_
		.amdhsa_group_segment_fixed_size 0
		.amdhsa_private_segment_fixed_size 0
		.amdhsa_kernarg_size 136
		.amdhsa_user_sgpr_count 2
		.amdhsa_user_sgpr_dispatch_ptr 0
		.amdhsa_user_sgpr_queue_ptr 0
		.amdhsa_user_sgpr_kernarg_segment_ptr 1
		.amdhsa_user_sgpr_dispatch_id 0
		.amdhsa_user_sgpr_private_segment_size 0
		.amdhsa_wavefront_size32 1
		.amdhsa_uses_dynamic_stack 0
		.amdhsa_enable_private_segment 0
		.amdhsa_system_sgpr_workgroup_id_x 1
		.amdhsa_system_sgpr_workgroup_id_y 0
		.amdhsa_system_sgpr_workgroup_id_z 0
		.amdhsa_system_sgpr_workgroup_info 0
		.amdhsa_system_vgpr_workitem_id 0
		.amdhsa_next_free_vgpr 1
		.amdhsa_next_free_sgpr 1
		.amdhsa_reserve_vcc 0
		.amdhsa_float_round_mode_32 0
		.amdhsa_float_round_mode_16_64 0
		.amdhsa_float_denorm_mode_32 3
		.amdhsa_float_denorm_mode_16_64 3
		.amdhsa_fp16_overflow 0
		.amdhsa_workgroup_processor_mode 1
		.amdhsa_memory_ordered 1
		.amdhsa_forward_progress 1
		.amdhsa_inst_pref_size 0
		.amdhsa_round_robin_scheduling 0
		.amdhsa_exception_fp_ieee_invalid_op 0
		.amdhsa_exception_fp_denorm_src 0
		.amdhsa_exception_fp_ieee_div_zero 0
		.amdhsa_exception_fp_ieee_overflow 0
		.amdhsa_exception_fp_ieee_underflow 0
		.amdhsa_exception_fp_ieee_inexact 0
		.amdhsa_exception_int_div_zero 0
	.end_amdhsa_kernel
	.section	.text._ZN7rocprim17ROCPRIM_400000_NS6detail17trampoline_kernelINS0_14default_configENS1_25partition_config_selectorILNS1_17partition_subalgoE6EjNS0_10empty_typeEbEEZZNS1_14partition_implILS5_6ELb0ES3_mN6thrust23THRUST_200600_302600_NS6detail15normal_iteratorINSA_10device_ptrIjEEEEPS6_SG_NS0_5tupleIJNSA_16discard_iteratorINSA_11use_defaultEEES6_EEENSH_IJSG_SG_EEES6_PlJNSB_9not_fun_tI7is_trueIjEEEEEE10hipError_tPvRmT3_T4_T5_T6_T7_T9_mT8_P12ihipStream_tbDpT10_ENKUlT_T0_E_clISt17integral_constantIbLb0EES1A_IbLb1EEEEDaS16_S17_EUlS16_E_NS1_11comp_targetILNS1_3genE0ELNS1_11target_archE4294967295ELNS1_3gpuE0ELNS1_3repE0EEENS1_30default_config_static_selectorELNS0_4arch9wavefront6targetE0EEEvT1_,"axG",@progbits,_ZN7rocprim17ROCPRIM_400000_NS6detail17trampoline_kernelINS0_14default_configENS1_25partition_config_selectorILNS1_17partition_subalgoE6EjNS0_10empty_typeEbEEZZNS1_14partition_implILS5_6ELb0ES3_mN6thrust23THRUST_200600_302600_NS6detail15normal_iteratorINSA_10device_ptrIjEEEEPS6_SG_NS0_5tupleIJNSA_16discard_iteratorINSA_11use_defaultEEES6_EEENSH_IJSG_SG_EEES6_PlJNSB_9not_fun_tI7is_trueIjEEEEEE10hipError_tPvRmT3_T4_T5_T6_T7_T9_mT8_P12ihipStream_tbDpT10_ENKUlT_T0_E_clISt17integral_constantIbLb0EES1A_IbLb1EEEEDaS16_S17_EUlS16_E_NS1_11comp_targetILNS1_3genE0ELNS1_11target_archE4294967295ELNS1_3gpuE0ELNS1_3repE0EEENS1_30default_config_static_selectorELNS0_4arch9wavefront6targetE0EEEvT1_,comdat
.Lfunc_end2197:
	.size	_ZN7rocprim17ROCPRIM_400000_NS6detail17trampoline_kernelINS0_14default_configENS1_25partition_config_selectorILNS1_17partition_subalgoE6EjNS0_10empty_typeEbEEZZNS1_14partition_implILS5_6ELb0ES3_mN6thrust23THRUST_200600_302600_NS6detail15normal_iteratorINSA_10device_ptrIjEEEEPS6_SG_NS0_5tupleIJNSA_16discard_iteratorINSA_11use_defaultEEES6_EEENSH_IJSG_SG_EEES6_PlJNSB_9not_fun_tI7is_trueIjEEEEEE10hipError_tPvRmT3_T4_T5_T6_T7_T9_mT8_P12ihipStream_tbDpT10_ENKUlT_T0_E_clISt17integral_constantIbLb0EES1A_IbLb1EEEEDaS16_S17_EUlS16_E_NS1_11comp_targetILNS1_3genE0ELNS1_11target_archE4294967295ELNS1_3gpuE0ELNS1_3repE0EEENS1_30default_config_static_selectorELNS0_4arch9wavefront6targetE0EEEvT1_, .Lfunc_end2197-_ZN7rocprim17ROCPRIM_400000_NS6detail17trampoline_kernelINS0_14default_configENS1_25partition_config_selectorILNS1_17partition_subalgoE6EjNS0_10empty_typeEbEEZZNS1_14partition_implILS5_6ELb0ES3_mN6thrust23THRUST_200600_302600_NS6detail15normal_iteratorINSA_10device_ptrIjEEEEPS6_SG_NS0_5tupleIJNSA_16discard_iteratorINSA_11use_defaultEEES6_EEENSH_IJSG_SG_EEES6_PlJNSB_9not_fun_tI7is_trueIjEEEEEE10hipError_tPvRmT3_T4_T5_T6_T7_T9_mT8_P12ihipStream_tbDpT10_ENKUlT_T0_E_clISt17integral_constantIbLb0EES1A_IbLb1EEEEDaS16_S17_EUlS16_E_NS1_11comp_targetILNS1_3genE0ELNS1_11target_archE4294967295ELNS1_3gpuE0ELNS1_3repE0EEENS1_30default_config_static_selectorELNS0_4arch9wavefront6targetE0EEEvT1_
                                        ; -- End function
	.set _ZN7rocprim17ROCPRIM_400000_NS6detail17trampoline_kernelINS0_14default_configENS1_25partition_config_selectorILNS1_17partition_subalgoE6EjNS0_10empty_typeEbEEZZNS1_14partition_implILS5_6ELb0ES3_mN6thrust23THRUST_200600_302600_NS6detail15normal_iteratorINSA_10device_ptrIjEEEEPS6_SG_NS0_5tupleIJNSA_16discard_iteratorINSA_11use_defaultEEES6_EEENSH_IJSG_SG_EEES6_PlJNSB_9not_fun_tI7is_trueIjEEEEEE10hipError_tPvRmT3_T4_T5_T6_T7_T9_mT8_P12ihipStream_tbDpT10_ENKUlT_T0_E_clISt17integral_constantIbLb0EES1A_IbLb1EEEEDaS16_S17_EUlS16_E_NS1_11comp_targetILNS1_3genE0ELNS1_11target_archE4294967295ELNS1_3gpuE0ELNS1_3repE0EEENS1_30default_config_static_selectorELNS0_4arch9wavefront6targetE0EEEvT1_.num_vgpr, 0
	.set _ZN7rocprim17ROCPRIM_400000_NS6detail17trampoline_kernelINS0_14default_configENS1_25partition_config_selectorILNS1_17partition_subalgoE6EjNS0_10empty_typeEbEEZZNS1_14partition_implILS5_6ELb0ES3_mN6thrust23THRUST_200600_302600_NS6detail15normal_iteratorINSA_10device_ptrIjEEEEPS6_SG_NS0_5tupleIJNSA_16discard_iteratorINSA_11use_defaultEEES6_EEENSH_IJSG_SG_EEES6_PlJNSB_9not_fun_tI7is_trueIjEEEEEE10hipError_tPvRmT3_T4_T5_T6_T7_T9_mT8_P12ihipStream_tbDpT10_ENKUlT_T0_E_clISt17integral_constantIbLb0EES1A_IbLb1EEEEDaS16_S17_EUlS16_E_NS1_11comp_targetILNS1_3genE0ELNS1_11target_archE4294967295ELNS1_3gpuE0ELNS1_3repE0EEENS1_30default_config_static_selectorELNS0_4arch9wavefront6targetE0EEEvT1_.num_agpr, 0
	.set _ZN7rocprim17ROCPRIM_400000_NS6detail17trampoline_kernelINS0_14default_configENS1_25partition_config_selectorILNS1_17partition_subalgoE6EjNS0_10empty_typeEbEEZZNS1_14partition_implILS5_6ELb0ES3_mN6thrust23THRUST_200600_302600_NS6detail15normal_iteratorINSA_10device_ptrIjEEEEPS6_SG_NS0_5tupleIJNSA_16discard_iteratorINSA_11use_defaultEEES6_EEENSH_IJSG_SG_EEES6_PlJNSB_9not_fun_tI7is_trueIjEEEEEE10hipError_tPvRmT3_T4_T5_T6_T7_T9_mT8_P12ihipStream_tbDpT10_ENKUlT_T0_E_clISt17integral_constantIbLb0EES1A_IbLb1EEEEDaS16_S17_EUlS16_E_NS1_11comp_targetILNS1_3genE0ELNS1_11target_archE4294967295ELNS1_3gpuE0ELNS1_3repE0EEENS1_30default_config_static_selectorELNS0_4arch9wavefront6targetE0EEEvT1_.numbered_sgpr, 0
	.set _ZN7rocprim17ROCPRIM_400000_NS6detail17trampoline_kernelINS0_14default_configENS1_25partition_config_selectorILNS1_17partition_subalgoE6EjNS0_10empty_typeEbEEZZNS1_14partition_implILS5_6ELb0ES3_mN6thrust23THRUST_200600_302600_NS6detail15normal_iteratorINSA_10device_ptrIjEEEEPS6_SG_NS0_5tupleIJNSA_16discard_iteratorINSA_11use_defaultEEES6_EEENSH_IJSG_SG_EEES6_PlJNSB_9not_fun_tI7is_trueIjEEEEEE10hipError_tPvRmT3_T4_T5_T6_T7_T9_mT8_P12ihipStream_tbDpT10_ENKUlT_T0_E_clISt17integral_constantIbLb0EES1A_IbLb1EEEEDaS16_S17_EUlS16_E_NS1_11comp_targetILNS1_3genE0ELNS1_11target_archE4294967295ELNS1_3gpuE0ELNS1_3repE0EEENS1_30default_config_static_selectorELNS0_4arch9wavefront6targetE0EEEvT1_.num_named_barrier, 0
	.set _ZN7rocprim17ROCPRIM_400000_NS6detail17trampoline_kernelINS0_14default_configENS1_25partition_config_selectorILNS1_17partition_subalgoE6EjNS0_10empty_typeEbEEZZNS1_14partition_implILS5_6ELb0ES3_mN6thrust23THRUST_200600_302600_NS6detail15normal_iteratorINSA_10device_ptrIjEEEEPS6_SG_NS0_5tupleIJNSA_16discard_iteratorINSA_11use_defaultEEES6_EEENSH_IJSG_SG_EEES6_PlJNSB_9not_fun_tI7is_trueIjEEEEEE10hipError_tPvRmT3_T4_T5_T6_T7_T9_mT8_P12ihipStream_tbDpT10_ENKUlT_T0_E_clISt17integral_constantIbLb0EES1A_IbLb1EEEEDaS16_S17_EUlS16_E_NS1_11comp_targetILNS1_3genE0ELNS1_11target_archE4294967295ELNS1_3gpuE0ELNS1_3repE0EEENS1_30default_config_static_selectorELNS0_4arch9wavefront6targetE0EEEvT1_.private_seg_size, 0
	.set _ZN7rocprim17ROCPRIM_400000_NS6detail17trampoline_kernelINS0_14default_configENS1_25partition_config_selectorILNS1_17partition_subalgoE6EjNS0_10empty_typeEbEEZZNS1_14partition_implILS5_6ELb0ES3_mN6thrust23THRUST_200600_302600_NS6detail15normal_iteratorINSA_10device_ptrIjEEEEPS6_SG_NS0_5tupleIJNSA_16discard_iteratorINSA_11use_defaultEEES6_EEENSH_IJSG_SG_EEES6_PlJNSB_9not_fun_tI7is_trueIjEEEEEE10hipError_tPvRmT3_T4_T5_T6_T7_T9_mT8_P12ihipStream_tbDpT10_ENKUlT_T0_E_clISt17integral_constantIbLb0EES1A_IbLb1EEEEDaS16_S17_EUlS16_E_NS1_11comp_targetILNS1_3genE0ELNS1_11target_archE4294967295ELNS1_3gpuE0ELNS1_3repE0EEENS1_30default_config_static_selectorELNS0_4arch9wavefront6targetE0EEEvT1_.uses_vcc, 0
	.set _ZN7rocprim17ROCPRIM_400000_NS6detail17trampoline_kernelINS0_14default_configENS1_25partition_config_selectorILNS1_17partition_subalgoE6EjNS0_10empty_typeEbEEZZNS1_14partition_implILS5_6ELb0ES3_mN6thrust23THRUST_200600_302600_NS6detail15normal_iteratorINSA_10device_ptrIjEEEEPS6_SG_NS0_5tupleIJNSA_16discard_iteratorINSA_11use_defaultEEES6_EEENSH_IJSG_SG_EEES6_PlJNSB_9not_fun_tI7is_trueIjEEEEEE10hipError_tPvRmT3_T4_T5_T6_T7_T9_mT8_P12ihipStream_tbDpT10_ENKUlT_T0_E_clISt17integral_constantIbLb0EES1A_IbLb1EEEEDaS16_S17_EUlS16_E_NS1_11comp_targetILNS1_3genE0ELNS1_11target_archE4294967295ELNS1_3gpuE0ELNS1_3repE0EEENS1_30default_config_static_selectorELNS0_4arch9wavefront6targetE0EEEvT1_.uses_flat_scratch, 0
	.set _ZN7rocprim17ROCPRIM_400000_NS6detail17trampoline_kernelINS0_14default_configENS1_25partition_config_selectorILNS1_17partition_subalgoE6EjNS0_10empty_typeEbEEZZNS1_14partition_implILS5_6ELb0ES3_mN6thrust23THRUST_200600_302600_NS6detail15normal_iteratorINSA_10device_ptrIjEEEEPS6_SG_NS0_5tupleIJNSA_16discard_iteratorINSA_11use_defaultEEES6_EEENSH_IJSG_SG_EEES6_PlJNSB_9not_fun_tI7is_trueIjEEEEEE10hipError_tPvRmT3_T4_T5_T6_T7_T9_mT8_P12ihipStream_tbDpT10_ENKUlT_T0_E_clISt17integral_constantIbLb0EES1A_IbLb1EEEEDaS16_S17_EUlS16_E_NS1_11comp_targetILNS1_3genE0ELNS1_11target_archE4294967295ELNS1_3gpuE0ELNS1_3repE0EEENS1_30default_config_static_selectorELNS0_4arch9wavefront6targetE0EEEvT1_.has_dyn_sized_stack, 0
	.set _ZN7rocprim17ROCPRIM_400000_NS6detail17trampoline_kernelINS0_14default_configENS1_25partition_config_selectorILNS1_17partition_subalgoE6EjNS0_10empty_typeEbEEZZNS1_14partition_implILS5_6ELb0ES3_mN6thrust23THRUST_200600_302600_NS6detail15normal_iteratorINSA_10device_ptrIjEEEEPS6_SG_NS0_5tupleIJNSA_16discard_iteratorINSA_11use_defaultEEES6_EEENSH_IJSG_SG_EEES6_PlJNSB_9not_fun_tI7is_trueIjEEEEEE10hipError_tPvRmT3_T4_T5_T6_T7_T9_mT8_P12ihipStream_tbDpT10_ENKUlT_T0_E_clISt17integral_constantIbLb0EES1A_IbLb1EEEEDaS16_S17_EUlS16_E_NS1_11comp_targetILNS1_3genE0ELNS1_11target_archE4294967295ELNS1_3gpuE0ELNS1_3repE0EEENS1_30default_config_static_selectorELNS0_4arch9wavefront6targetE0EEEvT1_.has_recursion, 0
	.set _ZN7rocprim17ROCPRIM_400000_NS6detail17trampoline_kernelINS0_14default_configENS1_25partition_config_selectorILNS1_17partition_subalgoE6EjNS0_10empty_typeEbEEZZNS1_14partition_implILS5_6ELb0ES3_mN6thrust23THRUST_200600_302600_NS6detail15normal_iteratorINSA_10device_ptrIjEEEEPS6_SG_NS0_5tupleIJNSA_16discard_iteratorINSA_11use_defaultEEES6_EEENSH_IJSG_SG_EEES6_PlJNSB_9not_fun_tI7is_trueIjEEEEEE10hipError_tPvRmT3_T4_T5_T6_T7_T9_mT8_P12ihipStream_tbDpT10_ENKUlT_T0_E_clISt17integral_constantIbLb0EES1A_IbLb1EEEEDaS16_S17_EUlS16_E_NS1_11comp_targetILNS1_3genE0ELNS1_11target_archE4294967295ELNS1_3gpuE0ELNS1_3repE0EEENS1_30default_config_static_selectorELNS0_4arch9wavefront6targetE0EEEvT1_.has_indirect_call, 0
	.section	.AMDGPU.csdata,"",@progbits
; Kernel info:
; codeLenInByte = 0
; TotalNumSgprs: 0
; NumVgprs: 0
; ScratchSize: 0
; MemoryBound: 0
; FloatMode: 240
; IeeeMode: 1
; LDSByteSize: 0 bytes/workgroup (compile time only)
; SGPRBlocks: 0
; VGPRBlocks: 0
; NumSGPRsForWavesPerEU: 1
; NumVGPRsForWavesPerEU: 1
; Occupancy: 16
; WaveLimiterHint : 0
; COMPUTE_PGM_RSRC2:SCRATCH_EN: 0
; COMPUTE_PGM_RSRC2:USER_SGPR: 2
; COMPUTE_PGM_RSRC2:TRAP_HANDLER: 0
; COMPUTE_PGM_RSRC2:TGID_X_EN: 1
; COMPUTE_PGM_RSRC2:TGID_Y_EN: 0
; COMPUTE_PGM_RSRC2:TGID_Z_EN: 0
; COMPUTE_PGM_RSRC2:TIDIG_COMP_CNT: 0
	.section	.text._ZN7rocprim17ROCPRIM_400000_NS6detail17trampoline_kernelINS0_14default_configENS1_25partition_config_selectorILNS1_17partition_subalgoE6EjNS0_10empty_typeEbEEZZNS1_14partition_implILS5_6ELb0ES3_mN6thrust23THRUST_200600_302600_NS6detail15normal_iteratorINSA_10device_ptrIjEEEEPS6_SG_NS0_5tupleIJNSA_16discard_iteratorINSA_11use_defaultEEES6_EEENSH_IJSG_SG_EEES6_PlJNSB_9not_fun_tI7is_trueIjEEEEEE10hipError_tPvRmT3_T4_T5_T6_T7_T9_mT8_P12ihipStream_tbDpT10_ENKUlT_T0_E_clISt17integral_constantIbLb0EES1A_IbLb1EEEEDaS16_S17_EUlS16_E_NS1_11comp_targetILNS1_3genE5ELNS1_11target_archE942ELNS1_3gpuE9ELNS1_3repE0EEENS1_30default_config_static_selectorELNS0_4arch9wavefront6targetE0EEEvT1_,"axG",@progbits,_ZN7rocprim17ROCPRIM_400000_NS6detail17trampoline_kernelINS0_14default_configENS1_25partition_config_selectorILNS1_17partition_subalgoE6EjNS0_10empty_typeEbEEZZNS1_14partition_implILS5_6ELb0ES3_mN6thrust23THRUST_200600_302600_NS6detail15normal_iteratorINSA_10device_ptrIjEEEEPS6_SG_NS0_5tupleIJNSA_16discard_iteratorINSA_11use_defaultEEES6_EEENSH_IJSG_SG_EEES6_PlJNSB_9not_fun_tI7is_trueIjEEEEEE10hipError_tPvRmT3_T4_T5_T6_T7_T9_mT8_P12ihipStream_tbDpT10_ENKUlT_T0_E_clISt17integral_constantIbLb0EES1A_IbLb1EEEEDaS16_S17_EUlS16_E_NS1_11comp_targetILNS1_3genE5ELNS1_11target_archE942ELNS1_3gpuE9ELNS1_3repE0EEENS1_30default_config_static_selectorELNS0_4arch9wavefront6targetE0EEEvT1_,comdat
	.protected	_ZN7rocprim17ROCPRIM_400000_NS6detail17trampoline_kernelINS0_14default_configENS1_25partition_config_selectorILNS1_17partition_subalgoE6EjNS0_10empty_typeEbEEZZNS1_14partition_implILS5_6ELb0ES3_mN6thrust23THRUST_200600_302600_NS6detail15normal_iteratorINSA_10device_ptrIjEEEEPS6_SG_NS0_5tupleIJNSA_16discard_iteratorINSA_11use_defaultEEES6_EEENSH_IJSG_SG_EEES6_PlJNSB_9not_fun_tI7is_trueIjEEEEEE10hipError_tPvRmT3_T4_T5_T6_T7_T9_mT8_P12ihipStream_tbDpT10_ENKUlT_T0_E_clISt17integral_constantIbLb0EES1A_IbLb1EEEEDaS16_S17_EUlS16_E_NS1_11comp_targetILNS1_3genE5ELNS1_11target_archE942ELNS1_3gpuE9ELNS1_3repE0EEENS1_30default_config_static_selectorELNS0_4arch9wavefront6targetE0EEEvT1_ ; -- Begin function _ZN7rocprim17ROCPRIM_400000_NS6detail17trampoline_kernelINS0_14default_configENS1_25partition_config_selectorILNS1_17partition_subalgoE6EjNS0_10empty_typeEbEEZZNS1_14partition_implILS5_6ELb0ES3_mN6thrust23THRUST_200600_302600_NS6detail15normal_iteratorINSA_10device_ptrIjEEEEPS6_SG_NS0_5tupleIJNSA_16discard_iteratorINSA_11use_defaultEEES6_EEENSH_IJSG_SG_EEES6_PlJNSB_9not_fun_tI7is_trueIjEEEEEE10hipError_tPvRmT3_T4_T5_T6_T7_T9_mT8_P12ihipStream_tbDpT10_ENKUlT_T0_E_clISt17integral_constantIbLb0EES1A_IbLb1EEEEDaS16_S17_EUlS16_E_NS1_11comp_targetILNS1_3genE5ELNS1_11target_archE942ELNS1_3gpuE9ELNS1_3repE0EEENS1_30default_config_static_selectorELNS0_4arch9wavefront6targetE0EEEvT1_
	.globl	_ZN7rocprim17ROCPRIM_400000_NS6detail17trampoline_kernelINS0_14default_configENS1_25partition_config_selectorILNS1_17partition_subalgoE6EjNS0_10empty_typeEbEEZZNS1_14partition_implILS5_6ELb0ES3_mN6thrust23THRUST_200600_302600_NS6detail15normal_iteratorINSA_10device_ptrIjEEEEPS6_SG_NS0_5tupleIJNSA_16discard_iteratorINSA_11use_defaultEEES6_EEENSH_IJSG_SG_EEES6_PlJNSB_9not_fun_tI7is_trueIjEEEEEE10hipError_tPvRmT3_T4_T5_T6_T7_T9_mT8_P12ihipStream_tbDpT10_ENKUlT_T0_E_clISt17integral_constantIbLb0EES1A_IbLb1EEEEDaS16_S17_EUlS16_E_NS1_11comp_targetILNS1_3genE5ELNS1_11target_archE942ELNS1_3gpuE9ELNS1_3repE0EEENS1_30default_config_static_selectorELNS0_4arch9wavefront6targetE0EEEvT1_
	.p2align	8
	.type	_ZN7rocprim17ROCPRIM_400000_NS6detail17trampoline_kernelINS0_14default_configENS1_25partition_config_selectorILNS1_17partition_subalgoE6EjNS0_10empty_typeEbEEZZNS1_14partition_implILS5_6ELb0ES3_mN6thrust23THRUST_200600_302600_NS6detail15normal_iteratorINSA_10device_ptrIjEEEEPS6_SG_NS0_5tupleIJNSA_16discard_iteratorINSA_11use_defaultEEES6_EEENSH_IJSG_SG_EEES6_PlJNSB_9not_fun_tI7is_trueIjEEEEEE10hipError_tPvRmT3_T4_T5_T6_T7_T9_mT8_P12ihipStream_tbDpT10_ENKUlT_T0_E_clISt17integral_constantIbLb0EES1A_IbLb1EEEEDaS16_S17_EUlS16_E_NS1_11comp_targetILNS1_3genE5ELNS1_11target_archE942ELNS1_3gpuE9ELNS1_3repE0EEENS1_30default_config_static_selectorELNS0_4arch9wavefront6targetE0EEEvT1_,@function
_ZN7rocprim17ROCPRIM_400000_NS6detail17trampoline_kernelINS0_14default_configENS1_25partition_config_selectorILNS1_17partition_subalgoE6EjNS0_10empty_typeEbEEZZNS1_14partition_implILS5_6ELb0ES3_mN6thrust23THRUST_200600_302600_NS6detail15normal_iteratorINSA_10device_ptrIjEEEEPS6_SG_NS0_5tupleIJNSA_16discard_iteratorINSA_11use_defaultEEES6_EEENSH_IJSG_SG_EEES6_PlJNSB_9not_fun_tI7is_trueIjEEEEEE10hipError_tPvRmT3_T4_T5_T6_T7_T9_mT8_P12ihipStream_tbDpT10_ENKUlT_T0_E_clISt17integral_constantIbLb0EES1A_IbLb1EEEEDaS16_S17_EUlS16_E_NS1_11comp_targetILNS1_3genE5ELNS1_11target_archE942ELNS1_3gpuE9ELNS1_3repE0EEENS1_30default_config_static_selectorELNS0_4arch9wavefront6targetE0EEEvT1_: ; @_ZN7rocprim17ROCPRIM_400000_NS6detail17trampoline_kernelINS0_14default_configENS1_25partition_config_selectorILNS1_17partition_subalgoE6EjNS0_10empty_typeEbEEZZNS1_14partition_implILS5_6ELb0ES3_mN6thrust23THRUST_200600_302600_NS6detail15normal_iteratorINSA_10device_ptrIjEEEEPS6_SG_NS0_5tupleIJNSA_16discard_iteratorINSA_11use_defaultEEES6_EEENSH_IJSG_SG_EEES6_PlJNSB_9not_fun_tI7is_trueIjEEEEEE10hipError_tPvRmT3_T4_T5_T6_T7_T9_mT8_P12ihipStream_tbDpT10_ENKUlT_T0_E_clISt17integral_constantIbLb0EES1A_IbLb1EEEEDaS16_S17_EUlS16_E_NS1_11comp_targetILNS1_3genE5ELNS1_11target_archE942ELNS1_3gpuE9ELNS1_3repE0EEENS1_30default_config_static_selectorELNS0_4arch9wavefront6targetE0EEEvT1_
; %bb.0:
	.section	.rodata,"a",@progbits
	.p2align	6, 0x0
	.amdhsa_kernel _ZN7rocprim17ROCPRIM_400000_NS6detail17trampoline_kernelINS0_14default_configENS1_25partition_config_selectorILNS1_17partition_subalgoE6EjNS0_10empty_typeEbEEZZNS1_14partition_implILS5_6ELb0ES3_mN6thrust23THRUST_200600_302600_NS6detail15normal_iteratorINSA_10device_ptrIjEEEEPS6_SG_NS0_5tupleIJNSA_16discard_iteratorINSA_11use_defaultEEES6_EEENSH_IJSG_SG_EEES6_PlJNSB_9not_fun_tI7is_trueIjEEEEEE10hipError_tPvRmT3_T4_T5_T6_T7_T9_mT8_P12ihipStream_tbDpT10_ENKUlT_T0_E_clISt17integral_constantIbLb0EES1A_IbLb1EEEEDaS16_S17_EUlS16_E_NS1_11comp_targetILNS1_3genE5ELNS1_11target_archE942ELNS1_3gpuE9ELNS1_3repE0EEENS1_30default_config_static_selectorELNS0_4arch9wavefront6targetE0EEEvT1_
		.amdhsa_group_segment_fixed_size 0
		.amdhsa_private_segment_fixed_size 0
		.amdhsa_kernarg_size 136
		.amdhsa_user_sgpr_count 2
		.amdhsa_user_sgpr_dispatch_ptr 0
		.amdhsa_user_sgpr_queue_ptr 0
		.amdhsa_user_sgpr_kernarg_segment_ptr 1
		.amdhsa_user_sgpr_dispatch_id 0
		.amdhsa_user_sgpr_private_segment_size 0
		.amdhsa_wavefront_size32 1
		.amdhsa_uses_dynamic_stack 0
		.amdhsa_enable_private_segment 0
		.amdhsa_system_sgpr_workgroup_id_x 1
		.amdhsa_system_sgpr_workgroup_id_y 0
		.amdhsa_system_sgpr_workgroup_id_z 0
		.amdhsa_system_sgpr_workgroup_info 0
		.amdhsa_system_vgpr_workitem_id 0
		.amdhsa_next_free_vgpr 1
		.amdhsa_next_free_sgpr 1
		.amdhsa_reserve_vcc 0
		.amdhsa_float_round_mode_32 0
		.amdhsa_float_round_mode_16_64 0
		.amdhsa_float_denorm_mode_32 3
		.amdhsa_float_denorm_mode_16_64 3
		.amdhsa_fp16_overflow 0
		.amdhsa_workgroup_processor_mode 1
		.amdhsa_memory_ordered 1
		.amdhsa_forward_progress 1
		.amdhsa_inst_pref_size 0
		.amdhsa_round_robin_scheduling 0
		.amdhsa_exception_fp_ieee_invalid_op 0
		.amdhsa_exception_fp_denorm_src 0
		.amdhsa_exception_fp_ieee_div_zero 0
		.amdhsa_exception_fp_ieee_overflow 0
		.amdhsa_exception_fp_ieee_underflow 0
		.amdhsa_exception_fp_ieee_inexact 0
		.amdhsa_exception_int_div_zero 0
	.end_amdhsa_kernel
	.section	.text._ZN7rocprim17ROCPRIM_400000_NS6detail17trampoline_kernelINS0_14default_configENS1_25partition_config_selectorILNS1_17partition_subalgoE6EjNS0_10empty_typeEbEEZZNS1_14partition_implILS5_6ELb0ES3_mN6thrust23THRUST_200600_302600_NS6detail15normal_iteratorINSA_10device_ptrIjEEEEPS6_SG_NS0_5tupleIJNSA_16discard_iteratorINSA_11use_defaultEEES6_EEENSH_IJSG_SG_EEES6_PlJNSB_9not_fun_tI7is_trueIjEEEEEE10hipError_tPvRmT3_T4_T5_T6_T7_T9_mT8_P12ihipStream_tbDpT10_ENKUlT_T0_E_clISt17integral_constantIbLb0EES1A_IbLb1EEEEDaS16_S17_EUlS16_E_NS1_11comp_targetILNS1_3genE5ELNS1_11target_archE942ELNS1_3gpuE9ELNS1_3repE0EEENS1_30default_config_static_selectorELNS0_4arch9wavefront6targetE0EEEvT1_,"axG",@progbits,_ZN7rocprim17ROCPRIM_400000_NS6detail17trampoline_kernelINS0_14default_configENS1_25partition_config_selectorILNS1_17partition_subalgoE6EjNS0_10empty_typeEbEEZZNS1_14partition_implILS5_6ELb0ES3_mN6thrust23THRUST_200600_302600_NS6detail15normal_iteratorINSA_10device_ptrIjEEEEPS6_SG_NS0_5tupleIJNSA_16discard_iteratorINSA_11use_defaultEEES6_EEENSH_IJSG_SG_EEES6_PlJNSB_9not_fun_tI7is_trueIjEEEEEE10hipError_tPvRmT3_T4_T5_T6_T7_T9_mT8_P12ihipStream_tbDpT10_ENKUlT_T0_E_clISt17integral_constantIbLb0EES1A_IbLb1EEEEDaS16_S17_EUlS16_E_NS1_11comp_targetILNS1_3genE5ELNS1_11target_archE942ELNS1_3gpuE9ELNS1_3repE0EEENS1_30default_config_static_selectorELNS0_4arch9wavefront6targetE0EEEvT1_,comdat
.Lfunc_end2198:
	.size	_ZN7rocprim17ROCPRIM_400000_NS6detail17trampoline_kernelINS0_14default_configENS1_25partition_config_selectorILNS1_17partition_subalgoE6EjNS0_10empty_typeEbEEZZNS1_14partition_implILS5_6ELb0ES3_mN6thrust23THRUST_200600_302600_NS6detail15normal_iteratorINSA_10device_ptrIjEEEEPS6_SG_NS0_5tupleIJNSA_16discard_iteratorINSA_11use_defaultEEES6_EEENSH_IJSG_SG_EEES6_PlJNSB_9not_fun_tI7is_trueIjEEEEEE10hipError_tPvRmT3_T4_T5_T6_T7_T9_mT8_P12ihipStream_tbDpT10_ENKUlT_T0_E_clISt17integral_constantIbLb0EES1A_IbLb1EEEEDaS16_S17_EUlS16_E_NS1_11comp_targetILNS1_3genE5ELNS1_11target_archE942ELNS1_3gpuE9ELNS1_3repE0EEENS1_30default_config_static_selectorELNS0_4arch9wavefront6targetE0EEEvT1_, .Lfunc_end2198-_ZN7rocprim17ROCPRIM_400000_NS6detail17trampoline_kernelINS0_14default_configENS1_25partition_config_selectorILNS1_17partition_subalgoE6EjNS0_10empty_typeEbEEZZNS1_14partition_implILS5_6ELb0ES3_mN6thrust23THRUST_200600_302600_NS6detail15normal_iteratorINSA_10device_ptrIjEEEEPS6_SG_NS0_5tupleIJNSA_16discard_iteratorINSA_11use_defaultEEES6_EEENSH_IJSG_SG_EEES6_PlJNSB_9not_fun_tI7is_trueIjEEEEEE10hipError_tPvRmT3_T4_T5_T6_T7_T9_mT8_P12ihipStream_tbDpT10_ENKUlT_T0_E_clISt17integral_constantIbLb0EES1A_IbLb1EEEEDaS16_S17_EUlS16_E_NS1_11comp_targetILNS1_3genE5ELNS1_11target_archE942ELNS1_3gpuE9ELNS1_3repE0EEENS1_30default_config_static_selectorELNS0_4arch9wavefront6targetE0EEEvT1_
                                        ; -- End function
	.set _ZN7rocprim17ROCPRIM_400000_NS6detail17trampoline_kernelINS0_14default_configENS1_25partition_config_selectorILNS1_17partition_subalgoE6EjNS0_10empty_typeEbEEZZNS1_14partition_implILS5_6ELb0ES3_mN6thrust23THRUST_200600_302600_NS6detail15normal_iteratorINSA_10device_ptrIjEEEEPS6_SG_NS0_5tupleIJNSA_16discard_iteratorINSA_11use_defaultEEES6_EEENSH_IJSG_SG_EEES6_PlJNSB_9not_fun_tI7is_trueIjEEEEEE10hipError_tPvRmT3_T4_T5_T6_T7_T9_mT8_P12ihipStream_tbDpT10_ENKUlT_T0_E_clISt17integral_constantIbLb0EES1A_IbLb1EEEEDaS16_S17_EUlS16_E_NS1_11comp_targetILNS1_3genE5ELNS1_11target_archE942ELNS1_3gpuE9ELNS1_3repE0EEENS1_30default_config_static_selectorELNS0_4arch9wavefront6targetE0EEEvT1_.num_vgpr, 0
	.set _ZN7rocprim17ROCPRIM_400000_NS6detail17trampoline_kernelINS0_14default_configENS1_25partition_config_selectorILNS1_17partition_subalgoE6EjNS0_10empty_typeEbEEZZNS1_14partition_implILS5_6ELb0ES3_mN6thrust23THRUST_200600_302600_NS6detail15normal_iteratorINSA_10device_ptrIjEEEEPS6_SG_NS0_5tupleIJNSA_16discard_iteratorINSA_11use_defaultEEES6_EEENSH_IJSG_SG_EEES6_PlJNSB_9not_fun_tI7is_trueIjEEEEEE10hipError_tPvRmT3_T4_T5_T6_T7_T9_mT8_P12ihipStream_tbDpT10_ENKUlT_T0_E_clISt17integral_constantIbLb0EES1A_IbLb1EEEEDaS16_S17_EUlS16_E_NS1_11comp_targetILNS1_3genE5ELNS1_11target_archE942ELNS1_3gpuE9ELNS1_3repE0EEENS1_30default_config_static_selectorELNS0_4arch9wavefront6targetE0EEEvT1_.num_agpr, 0
	.set _ZN7rocprim17ROCPRIM_400000_NS6detail17trampoline_kernelINS0_14default_configENS1_25partition_config_selectorILNS1_17partition_subalgoE6EjNS0_10empty_typeEbEEZZNS1_14partition_implILS5_6ELb0ES3_mN6thrust23THRUST_200600_302600_NS6detail15normal_iteratorINSA_10device_ptrIjEEEEPS6_SG_NS0_5tupleIJNSA_16discard_iteratorINSA_11use_defaultEEES6_EEENSH_IJSG_SG_EEES6_PlJNSB_9not_fun_tI7is_trueIjEEEEEE10hipError_tPvRmT3_T4_T5_T6_T7_T9_mT8_P12ihipStream_tbDpT10_ENKUlT_T0_E_clISt17integral_constantIbLb0EES1A_IbLb1EEEEDaS16_S17_EUlS16_E_NS1_11comp_targetILNS1_3genE5ELNS1_11target_archE942ELNS1_3gpuE9ELNS1_3repE0EEENS1_30default_config_static_selectorELNS0_4arch9wavefront6targetE0EEEvT1_.numbered_sgpr, 0
	.set _ZN7rocprim17ROCPRIM_400000_NS6detail17trampoline_kernelINS0_14default_configENS1_25partition_config_selectorILNS1_17partition_subalgoE6EjNS0_10empty_typeEbEEZZNS1_14partition_implILS5_6ELb0ES3_mN6thrust23THRUST_200600_302600_NS6detail15normal_iteratorINSA_10device_ptrIjEEEEPS6_SG_NS0_5tupleIJNSA_16discard_iteratorINSA_11use_defaultEEES6_EEENSH_IJSG_SG_EEES6_PlJNSB_9not_fun_tI7is_trueIjEEEEEE10hipError_tPvRmT3_T4_T5_T6_T7_T9_mT8_P12ihipStream_tbDpT10_ENKUlT_T0_E_clISt17integral_constantIbLb0EES1A_IbLb1EEEEDaS16_S17_EUlS16_E_NS1_11comp_targetILNS1_3genE5ELNS1_11target_archE942ELNS1_3gpuE9ELNS1_3repE0EEENS1_30default_config_static_selectorELNS0_4arch9wavefront6targetE0EEEvT1_.num_named_barrier, 0
	.set _ZN7rocprim17ROCPRIM_400000_NS6detail17trampoline_kernelINS0_14default_configENS1_25partition_config_selectorILNS1_17partition_subalgoE6EjNS0_10empty_typeEbEEZZNS1_14partition_implILS5_6ELb0ES3_mN6thrust23THRUST_200600_302600_NS6detail15normal_iteratorINSA_10device_ptrIjEEEEPS6_SG_NS0_5tupleIJNSA_16discard_iteratorINSA_11use_defaultEEES6_EEENSH_IJSG_SG_EEES6_PlJNSB_9not_fun_tI7is_trueIjEEEEEE10hipError_tPvRmT3_T4_T5_T6_T7_T9_mT8_P12ihipStream_tbDpT10_ENKUlT_T0_E_clISt17integral_constantIbLb0EES1A_IbLb1EEEEDaS16_S17_EUlS16_E_NS1_11comp_targetILNS1_3genE5ELNS1_11target_archE942ELNS1_3gpuE9ELNS1_3repE0EEENS1_30default_config_static_selectorELNS0_4arch9wavefront6targetE0EEEvT1_.private_seg_size, 0
	.set _ZN7rocprim17ROCPRIM_400000_NS6detail17trampoline_kernelINS0_14default_configENS1_25partition_config_selectorILNS1_17partition_subalgoE6EjNS0_10empty_typeEbEEZZNS1_14partition_implILS5_6ELb0ES3_mN6thrust23THRUST_200600_302600_NS6detail15normal_iteratorINSA_10device_ptrIjEEEEPS6_SG_NS0_5tupleIJNSA_16discard_iteratorINSA_11use_defaultEEES6_EEENSH_IJSG_SG_EEES6_PlJNSB_9not_fun_tI7is_trueIjEEEEEE10hipError_tPvRmT3_T4_T5_T6_T7_T9_mT8_P12ihipStream_tbDpT10_ENKUlT_T0_E_clISt17integral_constantIbLb0EES1A_IbLb1EEEEDaS16_S17_EUlS16_E_NS1_11comp_targetILNS1_3genE5ELNS1_11target_archE942ELNS1_3gpuE9ELNS1_3repE0EEENS1_30default_config_static_selectorELNS0_4arch9wavefront6targetE0EEEvT1_.uses_vcc, 0
	.set _ZN7rocprim17ROCPRIM_400000_NS6detail17trampoline_kernelINS0_14default_configENS1_25partition_config_selectorILNS1_17partition_subalgoE6EjNS0_10empty_typeEbEEZZNS1_14partition_implILS5_6ELb0ES3_mN6thrust23THRUST_200600_302600_NS6detail15normal_iteratorINSA_10device_ptrIjEEEEPS6_SG_NS0_5tupleIJNSA_16discard_iteratorINSA_11use_defaultEEES6_EEENSH_IJSG_SG_EEES6_PlJNSB_9not_fun_tI7is_trueIjEEEEEE10hipError_tPvRmT3_T4_T5_T6_T7_T9_mT8_P12ihipStream_tbDpT10_ENKUlT_T0_E_clISt17integral_constantIbLb0EES1A_IbLb1EEEEDaS16_S17_EUlS16_E_NS1_11comp_targetILNS1_3genE5ELNS1_11target_archE942ELNS1_3gpuE9ELNS1_3repE0EEENS1_30default_config_static_selectorELNS0_4arch9wavefront6targetE0EEEvT1_.uses_flat_scratch, 0
	.set _ZN7rocprim17ROCPRIM_400000_NS6detail17trampoline_kernelINS0_14default_configENS1_25partition_config_selectorILNS1_17partition_subalgoE6EjNS0_10empty_typeEbEEZZNS1_14partition_implILS5_6ELb0ES3_mN6thrust23THRUST_200600_302600_NS6detail15normal_iteratorINSA_10device_ptrIjEEEEPS6_SG_NS0_5tupleIJNSA_16discard_iteratorINSA_11use_defaultEEES6_EEENSH_IJSG_SG_EEES6_PlJNSB_9not_fun_tI7is_trueIjEEEEEE10hipError_tPvRmT3_T4_T5_T6_T7_T9_mT8_P12ihipStream_tbDpT10_ENKUlT_T0_E_clISt17integral_constantIbLb0EES1A_IbLb1EEEEDaS16_S17_EUlS16_E_NS1_11comp_targetILNS1_3genE5ELNS1_11target_archE942ELNS1_3gpuE9ELNS1_3repE0EEENS1_30default_config_static_selectorELNS0_4arch9wavefront6targetE0EEEvT1_.has_dyn_sized_stack, 0
	.set _ZN7rocprim17ROCPRIM_400000_NS6detail17trampoline_kernelINS0_14default_configENS1_25partition_config_selectorILNS1_17partition_subalgoE6EjNS0_10empty_typeEbEEZZNS1_14partition_implILS5_6ELb0ES3_mN6thrust23THRUST_200600_302600_NS6detail15normal_iteratorINSA_10device_ptrIjEEEEPS6_SG_NS0_5tupleIJNSA_16discard_iteratorINSA_11use_defaultEEES6_EEENSH_IJSG_SG_EEES6_PlJNSB_9not_fun_tI7is_trueIjEEEEEE10hipError_tPvRmT3_T4_T5_T6_T7_T9_mT8_P12ihipStream_tbDpT10_ENKUlT_T0_E_clISt17integral_constantIbLb0EES1A_IbLb1EEEEDaS16_S17_EUlS16_E_NS1_11comp_targetILNS1_3genE5ELNS1_11target_archE942ELNS1_3gpuE9ELNS1_3repE0EEENS1_30default_config_static_selectorELNS0_4arch9wavefront6targetE0EEEvT1_.has_recursion, 0
	.set _ZN7rocprim17ROCPRIM_400000_NS6detail17trampoline_kernelINS0_14default_configENS1_25partition_config_selectorILNS1_17partition_subalgoE6EjNS0_10empty_typeEbEEZZNS1_14partition_implILS5_6ELb0ES3_mN6thrust23THRUST_200600_302600_NS6detail15normal_iteratorINSA_10device_ptrIjEEEEPS6_SG_NS0_5tupleIJNSA_16discard_iteratorINSA_11use_defaultEEES6_EEENSH_IJSG_SG_EEES6_PlJNSB_9not_fun_tI7is_trueIjEEEEEE10hipError_tPvRmT3_T4_T5_T6_T7_T9_mT8_P12ihipStream_tbDpT10_ENKUlT_T0_E_clISt17integral_constantIbLb0EES1A_IbLb1EEEEDaS16_S17_EUlS16_E_NS1_11comp_targetILNS1_3genE5ELNS1_11target_archE942ELNS1_3gpuE9ELNS1_3repE0EEENS1_30default_config_static_selectorELNS0_4arch9wavefront6targetE0EEEvT1_.has_indirect_call, 0
	.section	.AMDGPU.csdata,"",@progbits
; Kernel info:
; codeLenInByte = 0
; TotalNumSgprs: 0
; NumVgprs: 0
; ScratchSize: 0
; MemoryBound: 0
; FloatMode: 240
; IeeeMode: 1
; LDSByteSize: 0 bytes/workgroup (compile time only)
; SGPRBlocks: 0
; VGPRBlocks: 0
; NumSGPRsForWavesPerEU: 1
; NumVGPRsForWavesPerEU: 1
; Occupancy: 16
; WaveLimiterHint : 0
; COMPUTE_PGM_RSRC2:SCRATCH_EN: 0
; COMPUTE_PGM_RSRC2:USER_SGPR: 2
; COMPUTE_PGM_RSRC2:TRAP_HANDLER: 0
; COMPUTE_PGM_RSRC2:TGID_X_EN: 1
; COMPUTE_PGM_RSRC2:TGID_Y_EN: 0
; COMPUTE_PGM_RSRC2:TGID_Z_EN: 0
; COMPUTE_PGM_RSRC2:TIDIG_COMP_CNT: 0
	.section	.text._ZN7rocprim17ROCPRIM_400000_NS6detail17trampoline_kernelINS0_14default_configENS1_25partition_config_selectorILNS1_17partition_subalgoE6EjNS0_10empty_typeEbEEZZNS1_14partition_implILS5_6ELb0ES3_mN6thrust23THRUST_200600_302600_NS6detail15normal_iteratorINSA_10device_ptrIjEEEEPS6_SG_NS0_5tupleIJNSA_16discard_iteratorINSA_11use_defaultEEES6_EEENSH_IJSG_SG_EEES6_PlJNSB_9not_fun_tI7is_trueIjEEEEEE10hipError_tPvRmT3_T4_T5_T6_T7_T9_mT8_P12ihipStream_tbDpT10_ENKUlT_T0_E_clISt17integral_constantIbLb0EES1A_IbLb1EEEEDaS16_S17_EUlS16_E_NS1_11comp_targetILNS1_3genE4ELNS1_11target_archE910ELNS1_3gpuE8ELNS1_3repE0EEENS1_30default_config_static_selectorELNS0_4arch9wavefront6targetE0EEEvT1_,"axG",@progbits,_ZN7rocprim17ROCPRIM_400000_NS6detail17trampoline_kernelINS0_14default_configENS1_25partition_config_selectorILNS1_17partition_subalgoE6EjNS0_10empty_typeEbEEZZNS1_14partition_implILS5_6ELb0ES3_mN6thrust23THRUST_200600_302600_NS6detail15normal_iteratorINSA_10device_ptrIjEEEEPS6_SG_NS0_5tupleIJNSA_16discard_iteratorINSA_11use_defaultEEES6_EEENSH_IJSG_SG_EEES6_PlJNSB_9not_fun_tI7is_trueIjEEEEEE10hipError_tPvRmT3_T4_T5_T6_T7_T9_mT8_P12ihipStream_tbDpT10_ENKUlT_T0_E_clISt17integral_constantIbLb0EES1A_IbLb1EEEEDaS16_S17_EUlS16_E_NS1_11comp_targetILNS1_3genE4ELNS1_11target_archE910ELNS1_3gpuE8ELNS1_3repE0EEENS1_30default_config_static_selectorELNS0_4arch9wavefront6targetE0EEEvT1_,comdat
	.protected	_ZN7rocprim17ROCPRIM_400000_NS6detail17trampoline_kernelINS0_14default_configENS1_25partition_config_selectorILNS1_17partition_subalgoE6EjNS0_10empty_typeEbEEZZNS1_14partition_implILS5_6ELb0ES3_mN6thrust23THRUST_200600_302600_NS6detail15normal_iteratorINSA_10device_ptrIjEEEEPS6_SG_NS0_5tupleIJNSA_16discard_iteratorINSA_11use_defaultEEES6_EEENSH_IJSG_SG_EEES6_PlJNSB_9not_fun_tI7is_trueIjEEEEEE10hipError_tPvRmT3_T4_T5_T6_T7_T9_mT8_P12ihipStream_tbDpT10_ENKUlT_T0_E_clISt17integral_constantIbLb0EES1A_IbLb1EEEEDaS16_S17_EUlS16_E_NS1_11comp_targetILNS1_3genE4ELNS1_11target_archE910ELNS1_3gpuE8ELNS1_3repE0EEENS1_30default_config_static_selectorELNS0_4arch9wavefront6targetE0EEEvT1_ ; -- Begin function _ZN7rocprim17ROCPRIM_400000_NS6detail17trampoline_kernelINS0_14default_configENS1_25partition_config_selectorILNS1_17partition_subalgoE6EjNS0_10empty_typeEbEEZZNS1_14partition_implILS5_6ELb0ES3_mN6thrust23THRUST_200600_302600_NS6detail15normal_iteratorINSA_10device_ptrIjEEEEPS6_SG_NS0_5tupleIJNSA_16discard_iteratorINSA_11use_defaultEEES6_EEENSH_IJSG_SG_EEES6_PlJNSB_9not_fun_tI7is_trueIjEEEEEE10hipError_tPvRmT3_T4_T5_T6_T7_T9_mT8_P12ihipStream_tbDpT10_ENKUlT_T0_E_clISt17integral_constantIbLb0EES1A_IbLb1EEEEDaS16_S17_EUlS16_E_NS1_11comp_targetILNS1_3genE4ELNS1_11target_archE910ELNS1_3gpuE8ELNS1_3repE0EEENS1_30default_config_static_selectorELNS0_4arch9wavefront6targetE0EEEvT1_
	.globl	_ZN7rocprim17ROCPRIM_400000_NS6detail17trampoline_kernelINS0_14default_configENS1_25partition_config_selectorILNS1_17partition_subalgoE6EjNS0_10empty_typeEbEEZZNS1_14partition_implILS5_6ELb0ES3_mN6thrust23THRUST_200600_302600_NS6detail15normal_iteratorINSA_10device_ptrIjEEEEPS6_SG_NS0_5tupleIJNSA_16discard_iteratorINSA_11use_defaultEEES6_EEENSH_IJSG_SG_EEES6_PlJNSB_9not_fun_tI7is_trueIjEEEEEE10hipError_tPvRmT3_T4_T5_T6_T7_T9_mT8_P12ihipStream_tbDpT10_ENKUlT_T0_E_clISt17integral_constantIbLb0EES1A_IbLb1EEEEDaS16_S17_EUlS16_E_NS1_11comp_targetILNS1_3genE4ELNS1_11target_archE910ELNS1_3gpuE8ELNS1_3repE0EEENS1_30default_config_static_selectorELNS0_4arch9wavefront6targetE0EEEvT1_
	.p2align	8
	.type	_ZN7rocprim17ROCPRIM_400000_NS6detail17trampoline_kernelINS0_14default_configENS1_25partition_config_selectorILNS1_17partition_subalgoE6EjNS0_10empty_typeEbEEZZNS1_14partition_implILS5_6ELb0ES3_mN6thrust23THRUST_200600_302600_NS6detail15normal_iteratorINSA_10device_ptrIjEEEEPS6_SG_NS0_5tupleIJNSA_16discard_iteratorINSA_11use_defaultEEES6_EEENSH_IJSG_SG_EEES6_PlJNSB_9not_fun_tI7is_trueIjEEEEEE10hipError_tPvRmT3_T4_T5_T6_T7_T9_mT8_P12ihipStream_tbDpT10_ENKUlT_T0_E_clISt17integral_constantIbLb0EES1A_IbLb1EEEEDaS16_S17_EUlS16_E_NS1_11comp_targetILNS1_3genE4ELNS1_11target_archE910ELNS1_3gpuE8ELNS1_3repE0EEENS1_30default_config_static_selectorELNS0_4arch9wavefront6targetE0EEEvT1_,@function
_ZN7rocprim17ROCPRIM_400000_NS6detail17trampoline_kernelINS0_14default_configENS1_25partition_config_selectorILNS1_17partition_subalgoE6EjNS0_10empty_typeEbEEZZNS1_14partition_implILS5_6ELb0ES3_mN6thrust23THRUST_200600_302600_NS6detail15normal_iteratorINSA_10device_ptrIjEEEEPS6_SG_NS0_5tupleIJNSA_16discard_iteratorINSA_11use_defaultEEES6_EEENSH_IJSG_SG_EEES6_PlJNSB_9not_fun_tI7is_trueIjEEEEEE10hipError_tPvRmT3_T4_T5_T6_T7_T9_mT8_P12ihipStream_tbDpT10_ENKUlT_T0_E_clISt17integral_constantIbLb0EES1A_IbLb1EEEEDaS16_S17_EUlS16_E_NS1_11comp_targetILNS1_3genE4ELNS1_11target_archE910ELNS1_3gpuE8ELNS1_3repE0EEENS1_30default_config_static_selectorELNS0_4arch9wavefront6targetE0EEEvT1_: ; @_ZN7rocprim17ROCPRIM_400000_NS6detail17trampoline_kernelINS0_14default_configENS1_25partition_config_selectorILNS1_17partition_subalgoE6EjNS0_10empty_typeEbEEZZNS1_14partition_implILS5_6ELb0ES3_mN6thrust23THRUST_200600_302600_NS6detail15normal_iteratorINSA_10device_ptrIjEEEEPS6_SG_NS0_5tupleIJNSA_16discard_iteratorINSA_11use_defaultEEES6_EEENSH_IJSG_SG_EEES6_PlJNSB_9not_fun_tI7is_trueIjEEEEEE10hipError_tPvRmT3_T4_T5_T6_T7_T9_mT8_P12ihipStream_tbDpT10_ENKUlT_T0_E_clISt17integral_constantIbLb0EES1A_IbLb1EEEEDaS16_S17_EUlS16_E_NS1_11comp_targetILNS1_3genE4ELNS1_11target_archE910ELNS1_3gpuE8ELNS1_3repE0EEENS1_30default_config_static_selectorELNS0_4arch9wavefront6targetE0EEEvT1_
; %bb.0:
	.section	.rodata,"a",@progbits
	.p2align	6, 0x0
	.amdhsa_kernel _ZN7rocprim17ROCPRIM_400000_NS6detail17trampoline_kernelINS0_14default_configENS1_25partition_config_selectorILNS1_17partition_subalgoE6EjNS0_10empty_typeEbEEZZNS1_14partition_implILS5_6ELb0ES3_mN6thrust23THRUST_200600_302600_NS6detail15normal_iteratorINSA_10device_ptrIjEEEEPS6_SG_NS0_5tupleIJNSA_16discard_iteratorINSA_11use_defaultEEES6_EEENSH_IJSG_SG_EEES6_PlJNSB_9not_fun_tI7is_trueIjEEEEEE10hipError_tPvRmT3_T4_T5_T6_T7_T9_mT8_P12ihipStream_tbDpT10_ENKUlT_T0_E_clISt17integral_constantIbLb0EES1A_IbLb1EEEEDaS16_S17_EUlS16_E_NS1_11comp_targetILNS1_3genE4ELNS1_11target_archE910ELNS1_3gpuE8ELNS1_3repE0EEENS1_30default_config_static_selectorELNS0_4arch9wavefront6targetE0EEEvT1_
		.amdhsa_group_segment_fixed_size 0
		.amdhsa_private_segment_fixed_size 0
		.amdhsa_kernarg_size 136
		.amdhsa_user_sgpr_count 2
		.amdhsa_user_sgpr_dispatch_ptr 0
		.amdhsa_user_sgpr_queue_ptr 0
		.amdhsa_user_sgpr_kernarg_segment_ptr 1
		.amdhsa_user_sgpr_dispatch_id 0
		.amdhsa_user_sgpr_private_segment_size 0
		.amdhsa_wavefront_size32 1
		.amdhsa_uses_dynamic_stack 0
		.amdhsa_enable_private_segment 0
		.amdhsa_system_sgpr_workgroup_id_x 1
		.amdhsa_system_sgpr_workgroup_id_y 0
		.amdhsa_system_sgpr_workgroup_id_z 0
		.amdhsa_system_sgpr_workgroup_info 0
		.amdhsa_system_vgpr_workitem_id 0
		.amdhsa_next_free_vgpr 1
		.amdhsa_next_free_sgpr 1
		.amdhsa_reserve_vcc 0
		.amdhsa_float_round_mode_32 0
		.amdhsa_float_round_mode_16_64 0
		.amdhsa_float_denorm_mode_32 3
		.amdhsa_float_denorm_mode_16_64 3
		.amdhsa_fp16_overflow 0
		.amdhsa_workgroup_processor_mode 1
		.amdhsa_memory_ordered 1
		.amdhsa_forward_progress 1
		.amdhsa_inst_pref_size 0
		.amdhsa_round_robin_scheduling 0
		.amdhsa_exception_fp_ieee_invalid_op 0
		.amdhsa_exception_fp_denorm_src 0
		.amdhsa_exception_fp_ieee_div_zero 0
		.amdhsa_exception_fp_ieee_overflow 0
		.amdhsa_exception_fp_ieee_underflow 0
		.amdhsa_exception_fp_ieee_inexact 0
		.amdhsa_exception_int_div_zero 0
	.end_amdhsa_kernel
	.section	.text._ZN7rocprim17ROCPRIM_400000_NS6detail17trampoline_kernelINS0_14default_configENS1_25partition_config_selectorILNS1_17partition_subalgoE6EjNS0_10empty_typeEbEEZZNS1_14partition_implILS5_6ELb0ES3_mN6thrust23THRUST_200600_302600_NS6detail15normal_iteratorINSA_10device_ptrIjEEEEPS6_SG_NS0_5tupleIJNSA_16discard_iteratorINSA_11use_defaultEEES6_EEENSH_IJSG_SG_EEES6_PlJNSB_9not_fun_tI7is_trueIjEEEEEE10hipError_tPvRmT3_T4_T5_T6_T7_T9_mT8_P12ihipStream_tbDpT10_ENKUlT_T0_E_clISt17integral_constantIbLb0EES1A_IbLb1EEEEDaS16_S17_EUlS16_E_NS1_11comp_targetILNS1_3genE4ELNS1_11target_archE910ELNS1_3gpuE8ELNS1_3repE0EEENS1_30default_config_static_selectorELNS0_4arch9wavefront6targetE0EEEvT1_,"axG",@progbits,_ZN7rocprim17ROCPRIM_400000_NS6detail17trampoline_kernelINS0_14default_configENS1_25partition_config_selectorILNS1_17partition_subalgoE6EjNS0_10empty_typeEbEEZZNS1_14partition_implILS5_6ELb0ES3_mN6thrust23THRUST_200600_302600_NS6detail15normal_iteratorINSA_10device_ptrIjEEEEPS6_SG_NS0_5tupleIJNSA_16discard_iteratorINSA_11use_defaultEEES6_EEENSH_IJSG_SG_EEES6_PlJNSB_9not_fun_tI7is_trueIjEEEEEE10hipError_tPvRmT3_T4_T5_T6_T7_T9_mT8_P12ihipStream_tbDpT10_ENKUlT_T0_E_clISt17integral_constantIbLb0EES1A_IbLb1EEEEDaS16_S17_EUlS16_E_NS1_11comp_targetILNS1_3genE4ELNS1_11target_archE910ELNS1_3gpuE8ELNS1_3repE0EEENS1_30default_config_static_selectorELNS0_4arch9wavefront6targetE0EEEvT1_,comdat
.Lfunc_end2199:
	.size	_ZN7rocprim17ROCPRIM_400000_NS6detail17trampoline_kernelINS0_14default_configENS1_25partition_config_selectorILNS1_17partition_subalgoE6EjNS0_10empty_typeEbEEZZNS1_14partition_implILS5_6ELb0ES3_mN6thrust23THRUST_200600_302600_NS6detail15normal_iteratorINSA_10device_ptrIjEEEEPS6_SG_NS0_5tupleIJNSA_16discard_iteratorINSA_11use_defaultEEES6_EEENSH_IJSG_SG_EEES6_PlJNSB_9not_fun_tI7is_trueIjEEEEEE10hipError_tPvRmT3_T4_T5_T6_T7_T9_mT8_P12ihipStream_tbDpT10_ENKUlT_T0_E_clISt17integral_constantIbLb0EES1A_IbLb1EEEEDaS16_S17_EUlS16_E_NS1_11comp_targetILNS1_3genE4ELNS1_11target_archE910ELNS1_3gpuE8ELNS1_3repE0EEENS1_30default_config_static_selectorELNS0_4arch9wavefront6targetE0EEEvT1_, .Lfunc_end2199-_ZN7rocprim17ROCPRIM_400000_NS6detail17trampoline_kernelINS0_14default_configENS1_25partition_config_selectorILNS1_17partition_subalgoE6EjNS0_10empty_typeEbEEZZNS1_14partition_implILS5_6ELb0ES3_mN6thrust23THRUST_200600_302600_NS6detail15normal_iteratorINSA_10device_ptrIjEEEEPS6_SG_NS0_5tupleIJNSA_16discard_iteratorINSA_11use_defaultEEES6_EEENSH_IJSG_SG_EEES6_PlJNSB_9not_fun_tI7is_trueIjEEEEEE10hipError_tPvRmT3_T4_T5_T6_T7_T9_mT8_P12ihipStream_tbDpT10_ENKUlT_T0_E_clISt17integral_constantIbLb0EES1A_IbLb1EEEEDaS16_S17_EUlS16_E_NS1_11comp_targetILNS1_3genE4ELNS1_11target_archE910ELNS1_3gpuE8ELNS1_3repE0EEENS1_30default_config_static_selectorELNS0_4arch9wavefront6targetE0EEEvT1_
                                        ; -- End function
	.set _ZN7rocprim17ROCPRIM_400000_NS6detail17trampoline_kernelINS0_14default_configENS1_25partition_config_selectorILNS1_17partition_subalgoE6EjNS0_10empty_typeEbEEZZNS1_14partition_implILS5_6ELb0ES3_mN6thrust23THRUST_200600_302600_NS6detail15normal_iteratorINSA_10device_ptrIjEEEEPS6_SG_NS0_5tupleIJNSA_16discard_iteratorINSA_11use_defaultEEES6_EEENSH_IJSG_SG_EEES6_PlJNSB_9not_fun_tI7is_trueIjEEEEEE10hipError_tPvRmT3_T4_T5_T6_T7_T9_mT8_P12ihipStream_tbDpT10_ENKUlT_T0_E_clISt17integral_constantIbLb0EES1A_IbLb1EEEEDaS16_S17_EUlS16_E_NS1_11comp_targetILNS1_3genE4ELNS1_11target_archE910ELNS1_3gpuE8ELNS1_3repE0EEENS1_30default_config_static_selectorELNS0_4arch9wavefront6targetE0EEEvT1_.num_vgpr, 0
	.set _ZN7rocprim17ROCPRIM_400000_NS6detail17trampoline_kernelINS0_14default_configENS1_25partition_config_selectorILNS1_17partition_subalgoE6EjNS0_10empty_typeEbEEZZNS1_14partition_implILS5_6ELb0ES3_mN6thrust23THRUST_200600_302600_NS6detail15normal_iteratorINSA_10device_ptrIjEEEEPS6_SG_NS0_5tupleIJNSA_16discard_iteratorINSA_11use_defaultEEES6_EEENSH_IJSG_SG_EEES6_PlJNSB_9not_fun_tI7is_trueIjEEEEEE10hipError_tPvRmT3_T4_T5_T6_T7_T9_mT8_P12ihipStream_tbDpT10_ENKUlT_T0_E_clISt17integral_constantIbLb0EES1A_IbLb1EEEEDaS16_S17_EUlS16_E_NS1_11comp_targetILNS1_3genE4ELNS1_11target_archE910ELNS1_3gpuE8ELNS1_3repE0EEENS1_30default_config_static_selectorELNS0_4arch9wavefront6targetE0EEEvT1_.num_agpr, 0
	.set _ZN7rocprim17ROCPRIM_400000_NS6detail17trampoline_kernelINS0_14default_configENS1_25partition_config_selectorILNS1_17partition_subalgoE6EjNS0_10empty_typeEbEEZZNS1_14partition_implILS5_6ELb0ES3_mN6thrust23THRUST_200600_302600_NS6detail15normal_iteratorINSA_10device_ptrIjEEEEPS6_SG_NS0_5tupleIJNSA_16discard_iteratorINSA_11use_defaultEEES6_EEENSH_IJSG_SG_EEES6_PlJNSB_9not_fun_tI7is_trueIjEEEEEE10hipError_tPvRmT3_T4_T5_T6_T7_T9_mT8_P12ihipStream_tbDpT10_ENKUlT_T0_E_clISt17integral_constantIbLb0EES1A_IbLb1EEEEDaS16_S17_EUlS16_E_NS1_11comp_targetILNS1_3genE4ELNS1_11target_archE910ELNS1_3gpuE8ELNS1_3repE0EEENS1_30default_config_static_selectorELNS0_4arch9wavefront6targetE0EEEvT1_.numbered_sgpr, 0
	.set _ZN7rocprim17ROCPRIM_400000_NS6detail17trampoline_kernelINS0_14default_configENS1_25partition_config_selectorILNS1_17partition_subalgoE6EjNS0_10empty_typeEbEEZZNS1_14partition_implILS5_6ELb0ES3_mN6thrust23THRUST_200600_302600_NS6detail15normal_iteratorINSA_10device_ptrIjEEEEPS6_SG_NS0_5tupleIJNSA_16discard_iteratorINSA_11use_defaultEEES6_EEENSH_IJSG_SG_EEES6_PlJNSB_9not_fun_tI7is_trueIjEEEEEE10hipError_tPvRmT3_T4_T5_T6_T7_T9_mT8_P12ihipStream_tbDpT10_ENKUlT_T0_E_clISt17integral_constantIbLb0EES1A_IbLb1EEEEDaS16_S17_EUlS16_E_NS1_11comp_targetILNS1_3genE4ELNS1_11target_archE910ELNS1_3gpuE8ELNS1_3repE0EEENS1_30default_config_static_selectorELNS0_4arch9wavefront6targetE0EEEvT1_.num_named_barrier, 0
	.set _ZN7rocprim17ROCPRIM_400000_NS6detail17trampoline_kernelINS0_14default_configENS1_25partition_config_selectorILNS1_17partition_subalgoE6EjNS0_10empty_typeEbEEZZNS1_14partition_implILS5_6ELb0ES3_mN6thrust23THRUST_200600_302600_NS6detail15normal_iteratorINSA_10device_ptrIjEEEEPS6_SG_NS0_5tupleIJNSA_16discard_iteratorINSA_11use_defaultEEES6_EEENSH_IJSG_SG_EEES6_PlJNSB_9not_fun_tI7is_trueIjEEEEEE10hipError_tPvRmT3_T4_T5_T6_T7_T9_mT8_P12ihipStream_tbDpT10_ENKUlT_T0_E_clISt17integral_constantIbLb0EES1A_IbLb1EEEEDaS16_S17_EUlS16_E_NS1_11comp_targetILNS1_3genE4ELNS1_11target_archE910ELNS1_3gpuE8ELNS1_3repE0EEENS1_30default_config_static_selectorELNS0_4arch9wavefront6targetE0EEEvT1_.private_seg_size, 0
	.set _ZN7rocprim17ROCPRIM_400000_NS6detail17trampoline_kernelINS0_14default_configENS1_25partition_config_selectorILNS1_17partition_subalgoE6EjNS0_10empty_typeEbEEZZNS1_14partition_implILS5_6ELb0ES3_mN6thrust23THRUST_200600_302600_NS6detail15normal_iteratorINSA_10device_ptrIjEEEEPS6_SG_NS0_5tupleIJNSA_16discard_iteratorINSA_11use_defaultEEES6_EEENSH_IJSG_SG_EEES6_PlJNSB_9not_fun_tI7is_trueIjEEEEEE10hipError_tPvRmT3_T4_T5_T6_T7_T9_mT8_P12ihipStream_tbDpT10_ENKUlT_T0_E_clISt17integral_constantIbLb0EES1A_IbLb1EEEEDaS16_S17_EUlS16_E_NS1_11comp_targetILNS1_3genE4ELNS1_11target_archE910ELNS1_3gpuE8ELNS1_3repE0EEENS1_30default_config_static_selectorELNS0_4arch9wavefront6targetE0EEEvT1_.uses_vcc, 0
	.set _ZN7rocprim17ROCPRIM_400000_NS6detail17trampoline_kernelINS0_14default_configENS1_25partition_config_selectorILNS1_17partition_subalgoE6EjNS0_10empty_typeEbEEZZNS1_14partition_implILS5_6ELb0ES3_mN6thrust23THRUST_200600_302600_NS6detail15normal_iteratorINSA_10device_ptrIjEEEEPS6_SG_NS0_5tupleIJNSA_16discard_iteratorINSA_11use_defaultEEES6_EEENSH_IJSG_SG_EEES6_PlJNSB_9not_fun_tI7is_trueIjEEEEEE10hipError_tPvRmT3_T4_T5_T6_T7_T9_mT8_P12ihipStream_tbDpT10_ENKUlT_T0_E_clISt17integral_constantIbLb0EES1A_IbLb1EEEEDaS16_S17_EUlS16_E_NS1_11comp_targetILNS1_3genE4ELNS1_11target_archE910ELNS1_3gpuE8ELNS1_3repE0EEENS1_30default_config_static_selectorELNS0_4arch9wavefront6targetE0EEEvT1_.uses_flat_scratch, 0
	.set _ZN7rocprim17ROCPRIM_400000_NS6detail17trampoline_kernelINS0_14default_configENS1_25partition_config_selectorILNS1_17partition_subalgoE6EjNS0_10empty_typeEbEEZZNS1_14partition_implILS5_6ELb0ES3_mN6thrust23THRUST_200600_302600_NS6detail15normal_iteratorINSA_10device_ptrIjEEEEPS6_SG_NS0_5tupleIJNSA_16discard_iteratorINSA_11use_defaultEEES6_EEENSH_IJSG_SG_EEES6_PlJNSB_9not_fun_tI7is_trueIjEEEEEE10hipError_tPvRmT3_T4_T5_T6_T7_T9_mT8_P12ihipStream_tbDpT10_ENKUlT_T0_E_clISt17integral_constantIbLb0EES1A_IbLb1EEEEDaS16_S17_EUlS16_E_NS1_11comp_targetILNS1_3genE4ELNS1_11target_archE910ELNS1_3gpuE8ELNS1_3repE0EEENS1_30default_config_static_selectorELNS0_4arch9wavefront6targetE0EEEvT1_.has_dyn_sized_stack, 0
	.set _ZN7rocprim17ROCPRIM_400000_NS6detail17trampoline_kernelINS0_14default_configENS1_25partition_config_selectorILNS1_17partition_subalgoE6EjNS0_10empty_typeEbEEZZNS1_14partition_implILS5_6ELb0ES3_mN6thrust23THRUST_200600_302600_NS6detail15normal_iteratorINSA_10device_ptrIjEEEEPS6_SG_NS0_5tupleIJNSA_16discard_iteratorINSA_11use_defaultEEES6_EEENSH_IJSG_SG_EEES6_PlJNSB_9not_fun_tI7is_trueIjEEEEEE10hipError_tPvRmT3_T4_T5_T6_T7_T9_mT8_P12ihipStream_tbDpT10_ENKUlT_T0_E_clISt17integral_constantIbLb0EES1A_IbLb1EEEEDaS16_S17_EUlS16_E_NS1_11comp_targetILNS1_3genE4ELNS1_11target_archE910ELNS1_3gpuE8ELNS1_3repE0EEENS1_30default_config_static_selectorELNS0_4arch9wavefront6targetE0EEEvT1_.has_recursion, 0
	.set _ZN7rocprim17ROCPRIM_400000_NS6detail17trampoline_kernelINS0_14default_configENS1_25partition_config_selectorILNS1_17partition_subalgoE6EjNS0_10empty_typeEbEEZZNS1_14partition_implILS5_6ELb0ES3_mN6thrust23THRUST_200600_302600_NS6detail15normal_iteratorINSA_10device_ptrIjEEEEPS6_SG_NS0_5tupleIJNSA_16discard_iteratorINSA_11use_defaultEEES6_EEENSH_IJSG_SG_EEES6_PlJNSB_9not_fun_tI7is_trueIjEEEEEE10hipError_tPvRmT3_T4_T5_T6_T7_T9_mT8_P12ihipStream_tbDpT10_ENKUlT_T0_E_clISt17integral_constantIbLb0EES1A_IbLb1EEEEDaS16_S17_EUlS16_E_NS1_11comp_targetILNS1_3genE4ELNS1_11target_archE910ELNS1_3gpuE8ELNS1_3repE0EEENS1_30default_config_static_selectorELNS0_4arch9wavefront6targetE0EEEvT1_.has_indirect_call, 0
	.section	.AMDGPU.csdata,"",@progbits
; Kernel info:
; codeLenInByte = 0
; TotalNumSgprs: 0
; NumVgprs: 0
; ScratchSize: 0
; MemoryBound: 0
; FloatMode: 240
; IeeeMode: 1
; LDSByteSize: 0 bytes/workgroup (compile time only)
; SGPRBlocks: 0
; VGPRBlocks: 0
; NumSGPRsForWavesPerEU: 1
; NumVGPRsForWavesPerEU: 1
; Occupancy: 16
; WaveLimiterHint : 0
; COMPUTE_PGM_RSRC2:SCRATCH_EN: 0
; COMPUTE_PGM_RSRC2:USER_SGPR: 2
; COMPUTE_PGM_RSRC2:TRAP_HANDLER: 0
; COMPUTE_PGM_RSRC2:TGID_X_EN: 1
; COMPUTE_PGM_RSRC2:TGID_Y_EN: 0
; COMPUTE_PGM_RSRC2:TGID_Z_EN: 0
; COMPUTE_PGM_RSRC2:TIDIG_COMP_CNT: 0
	.section	.text._ZN7rocprim17ROCPRIM_400000_NS6detail17trampoline_kernelINS0_14default_configENS1_25partition_config_selectorILNS1_17partition_subalgoE6EjNS0_10empty_typeEbEEZZNS1_14partition_implILS5_6ELb0ES3_mN6thrust23THRUST_200600_302600_NS6detail15normal_iteratorINSA_10device_ptrIjEEEEPS6_SG_NS0_5tupleIJNSA_16discard_iteratorINSA_11use_defaultEEES6_EEENSH_IJSG_SG_EEES6_PlJNSB_9not_fun_tI7is_trueIjEEEEEE10hipError_tPvRmT3_T4_T5_T6_T7_T9_mT8_P12ihipStream_tbDpT10_ENKUlT_T0_E_clISt17integral_constantIbLb0EES1A_IbLb1EEEEDaS16_S17_EUlS16_E_NS1_11comp_targetILNS1_3genE3ELNS1_11target_archE908ELNS1_3gpuE7ELNS1_3repE0EEENS1_30default_config_static_selectorELNS0_4arch9wavefront6targetE0EEEvT1_,"axG",@progbits,_ZN7rocprim17ROCPRIM_400000_NS6detail17trampoline_kernelINS0_14default_configENS1_25partition_config_selectorILNS1_17partition_subalgoE6EjNS0_10empty_typeEbEEZZNS1_14partition_implILS5_6ELb0ES3_mN6thrust23THRUST_200600_302600_NS6detail15normal_iteratorINSA_10device_ptrIjEEEEPS6_SG_NS0_5tupleIJNSA_16discard_iteratorINSA_11use_defaultEEES6_EEENSH_IJSG_SG_EEES6_PlJNSB_9not_fun_tI7is_trueIjEEEEEE10hipError_tPvRmT3_T4_T5_T6_T7_T9_mT8_P12ihipStream_tbDpT10_ENKUlT_T0_E_clISt17integral_constantIbLb0EES1A_IbLb1EEEEDaS16_S17_EUlS16_E_NS1_11comp_targetILNS1_3genE3ELNS1_11target_archE908ELNS1_3gpuE7ELNS1_3repE0EEENS1_30default_config_static_selectorELNS0_4arch9wavefront6targetE0EEEvT1_,comdat
	.protected	_ZN7rocprim17ROCPRIM_400000_NS6detail17trampoline_kernelINS0_14default_configENS1_25partition_config_selectorILNS1_17partition_subalgoE6EjNS0_10empty_typeEbEEZZNS1_14partition_implILS5_6ELb0ES3_mN6thrust23THRUST_200600_302600_NS6detail15normal_iteratorINSA_10device_ptrIjEEEEPS6_SG_NS0_5tupleIJNSA_16discard_iteratorINSA_11use_defaultEEES6_EEENSH_IJSG_SG_EEES6_PlJNSB_9not_fun_tI7is_trueIjEEEEEE10hipError_tPvRmT3_T4_T5_T6_T7_T9_mT8_P12ihipStream_tbDpT10_ENKUlT_T0_E_clISt17integral_constantIbLb0EES1A_IbLb1EEEEDaS16_S17_EUlS16_E_NS1_11comp_targetILNS1_3genE3ELNS1_11target_archE908ELNS1_3gpuE7ELNS1_3repE0EEENS1_30default_config_static_selectorELNS0_4arch9wavefront6targetE0EEEvT1_ ; -- Begin function _ZN7rocprim17ROCPRIM_400000_NS6detail17trampoline_kernelINS0_14default_configENS1_25partition_config_selectorILNS1_17partition_subalgoE6EjNS0_10empty_typeEbEEZZNS1_14partition_implILS5_6ELb0ES3_mN6thrust23THRUST_200600_302600_NS6detail15normal_iteratorINSA_10device_ptrIjEEEEPS6_SG_NS0_5tupleIJNSA_16discard_iteratorINSA_11use_defaultEEES6_EEENSH_IJSG_SG_EEES6_PlJNSB_9not_fun_tI7is_trueIjEEEEEE10hipError_tPvRmT3_T4_T5_T6_T7_T9_mT8_P12ihipStream_tbDpT10_ENKUlT_T0_E_clISt17integral_constantIbLb0EES1A_IbLb1EEEEDaS16_S17_EUlS16_E_NS1_11comp_targetILNS1_3genE3ELNS1_11target_archE908ELNS1_3gpuE7ELNS1_3repE0EEENS1_30default_config_static_selectorELNS0_4arch9wavefront6targetE0EEEvT1_
	.globl	_ZN7rocprim17ROCPRIM_400000_NS6detail17trampoline_kernelINS0_14default_configENS1_25partition_config_selectorILNS1_17partition_subalgoE6EjNS0_10empty_typeEbEEZZNS1_14partition_implILS5_6ELb0ES3_mN6thrust23THRUST_200600_302600_NS6detail15normal_iteratorINSA_10device_ptrIjEEEEPS6_SG_NS0_5tupleIJNSA_16discard_iteratorINSA_11use_defaultEEES6_EEENSH_IJSG_SG_EEES6_PlJNSB_9not_fun_tI7is_trueIjEEEEEE10hipError_tPvRmT3_T4_T5_T6_T7_T9_mT8_P12ihipStream_tbDpT10_ENKUlT_T0_E_clISt17integral_constantIbLb0EES1A_IbLb1EEEEDaS16_S17_EUlS16_E_NS1_11comp_targetILNS1_3genE3ELNS1_11target_archE908ELNS1_3gpuE7ELNS1_3repE0EEENS1_30default_config_static_selectorELNS0_4arch9wavefront6targetE0EEEvT1_
	.p2align	8
	.type	_ZN7rocprim17ROCPRIM_400000_NS6detail17trampoline_kernelINS0_14default_configENS1_25partition_config_selectorILNS1_17partition_subalgoE6EjNS0_10empty_typeEbEEZZNS1_14partition_implILS5_6ELb0ES3_mN6thrust23THRUST_200600_302600_NS6detail15normal_iteratorINSA_10device_ptrIjEEEEPS6_SG_NS0_5tupleIJNSA_16discard_iteratorINSA_11use_defaultEEES6_EEENSH_IJSG_SG_EEES6_PlJNSB_9not_fun_tI7is_trueIjEEEEEE10hipError_tPvRmT3_T4_T5_T6_T7_T9_mT8_P12ihipStream_tbDpT10_ENKUlT_T0_E_clISt17integral_constantIbLb0EES1A_IbLb1EEEEDaS16_S17_EUlS16_E_NS1_11comp_targetILNS1_3genE3ELNS1_11target_archE908ELNS1_3gpuE7ELNS1_3repE0EEENS1_30default_config_static_selectorELNS0_4arch9wavefront6targetE0EEEvT1_,@function
_ZN7rocprim17ROCPRIM_400000_NS6detail17trampoline_kernelINS0_14default_configENS1_25partition_config_selectorILNS1_17partition_subalgoE6EjNS0_10empty_typeEbEEZZNS1_14partition_implILS5_6ELb0ES3_mN6thrust23THRUST_200600_302600_NS6detail15normal_iteratorINSA_10device_ptrIjEEEEPS6_SG_NS0_5tupleIJNSA_16discard_iteratorINSA_11use_defaultEEES6_EEENSH_IJSG_SG_EEES6_PlJNSB_9not_fun_tI7is_trueIjEEEEEE10hipError_tPvRmT3_T4_T5_T6_T7_T9_mT8_P12ihipStream_tbDpT10_ENKUlT_T0_E_clISt17integral_constantIbLb0EES1A_IbLb1EEEEDaS16_S17_EUlS16_E_NS1_11comp_targetILNS1_3genE3ELNS1_11target_archE908ELNS1_3gpuE7ELNS1_3repE0EEENS1_30default_config_static_selectorELNS0_4arch9wavefront6targetE0EEEvT1_: ; @_ZN7rocprim17ROCPRIM_400000_NS6detail17trampoline_kernelINS0_14default_configENS1_25partition_config_selectorILNS1_17partition_subalgoE6EjNS0_10empty_typeEbEEZZNS1_14partition_implILS5_6ELb0ES3_mN6thrust23THRUST_200600_302600_NS6detail15normal_iteratorINSA_10device_ptrIjEEEEPS6_SG_NS0_5tupleIJNSA_16discard_iteratorINSA_11use_defaultEEES6_EEENSH_IJSG_SG_EEES6_PlJNSB_9not_fun_tI7is_trueIjEEEEEE10hipError_tPvRmT3_T4_T5_T6_T7_T9_mT8_P12ihipStream_tbDpT10_ENKUlT_T0_E_clISt17integral_constantIbLb0EES1A_IbLb1EEEEDaS16_S17_EUlS16_E_NS1_11comp_targetILNS1_3genE3ELNS1_11target_archE908ELNS1_3gpuE7ELNS1_3repE0EEENS1_30default_config_static_selectorELNS0_4arch9wavefront6targetE0EEEvT1_
; %bb.0:
	.section	.rodata,"a",@progbits
	.p2align	6, 0x0
	.amdhsa_kernel _ZN7rocprim17ROCPRIM_400000_NS6detail17trampoline_kernelINS0_14default_configENS1_25partition_config_selectorILNS1_17partition_subalgoE6EjNS0_10empty_typeEbEEZZNS1_14partition_implILS5_6ELb0ES3_mN6thrust23THRUST_200600_302600_NS6detail15normal_iteratorINSA_10device_ptrIjEEEEPS6_SG_NS0_5tupleIJNSA_16discard_iteratorINSA_11use_defaultEEES6_EEENSH_IJSG_SG_EEES6_PlJNSB_9not_fun_tI7is_trueIjEEEEEE10hipError_tPvRmT3_T4_T5_T6_T7_T9_mT8_P12ihipStream_tbDpT10_ENKUlT_T0_E_clISt17integral_constantIbLb0EES1A_IbLb1EEEEDaS16_S17_EUlS16_E_NS1_11comp_targetILNS1_3genE3ELNS1_11target_archE908ELNS1_3gpuE7ELNS1_3repE0EEENS1_30default_config_static_selectorELNS0_4arch9wavefront6targetE0EEEvT1_
		.amdhsa_group_segment_fixed_size 0
		.amdhsa_private_segment_fixed_size 0
		.amdhsa_kernarg_size 136
		.amdhsa_user_sgpr_count 2
		.amdhsa_user_sgpr_dispatch_ptr 0
		.amdhsa_user_sgpr_queue_ptr 0
		.amdhsa_user_sgpr_kernarg_segment_ptr 1
		.amdhsa_user_sgpr_dispatch_id 0
		.amdhsa_user_sgpr_private_segment_size 0
		.amdhsa_wavefront_size32 1
		.amdhsa_uses_dynamic_stack 0
		.amdhsa_enable_private_segment 0
		.amdhsa_system_sgpr_workgroup_id_x 1
		.amdhsa_system_sgpr_workgroup_id_y 0
		.amdhsa_system_sgpr_workgroup_id_z 0
		.amdhsa_system_sgpr_workgroup_info 0
		.amdhsa_system_vgpr_workitem_id 0
		.amdhsa_next_free_vgpr 1
		.amdhsa_next_free_sgpr 1
		.amdhsa_reserve_vcc 0
		.amdhsa_float_round_mode_32 0
		.amdhsa_float_round_mode_16_64 0
		.amdhsa_float_denorm_mode_32 3
		.amdhsa_float_denorm_mode_16_64 3
		.amdhsa_fp16_overflow 0
		.amdhsa_workgroup_processor_mode 1
		.amdhsa_memory_ordered 1
		.amdhsa_forward_progress 1
		.amdhsa_inst_pref_size 0
		.amdhsa_round_robin_scheduling 0
		.amdhsa_exception_fp_ieee_invalid_op 0
		.amdhsa_exception_fp_denorm_src 0
		.amdhsa_exception_fp_ieee_div_zero 0
		.amdhsa_exception_fp_ieee_overflow 0
		.amdhsa_exception_fp_ieee_underflow 0
		.amdhsa_exception_fp_ieee_inexact 0
		.amdhsa_exception_int_div_zero 0
	.end_amdhsa_kernel
	.section	.text._ZN7rocprim17ROCPRIM_400000_NS6detail17trampoline_kernelINS0_14default_configENS1_25partition_config_selectorILNS1_17partition_subalgoE6EjNS0_10empty_typeEbEEZZNS1_14partition_implILS5_6ELb0ES3_mN6thrust23THRUST_200600_302600_NS6detail15normal_iteratorINSA_10device_ptrIjEEEEPS6_SG_NS0_5tupleIJNSA_16discard_iteratorINSA_11use_defaultEEES6_EEENSH_IJSG_SG_EEES6_PlJNSB_9not_fun_tI7is_trueIjEEEEEE10hipError_tPvRmT3_T4_T5_T6_T7_T9_mT8_P12ihipStream_tbDpT10_ENKUlT_T0_E_clISt17integral_constantIbLb0EES1A_IbLb1EEEEDaS16_S17_EUlS16_E_NS1_11comp_targetILNS1_3genE3ELNS1_11target_archE908ELNS1_3gpuE7ELNS1_3repE0EEENS1_30default_config_static_selectorELNS0_4arch9wavefront6targetE0EEEvT1_,"axG",@progbits,_ZN7rocprim17ROCPRIM_400000_NS6detail17trampoline_kernelINS0_14default_configENS1_25partition_config_selectorILNS1_17partition_subalgoE6EjNS0_10empty_typeEbEEZZNS1_14partition_implILS5_6ELb0ES3_mN6thrust23THRUST_200600_302600_NS6detail15normal_iteratorINSA_10device_ptrIjEEEEPS6_SG_NS0_5tupleIJNSA_16discard_iteratorINSA_11use_defaultEEES6_EEENSH_IJSG_SG_EEES6_PlJNSB_9not_fun_tI7is_trueIjEEEEEE10hipError_tPvRmT3_T4_T5_T6_T7_T9_mT8_P12ihipStream_tbDpT10_ENKUlT_T0_E_clISt17integral_constantIbLb0EES1A_IbLb1EEEEDaS16_S17_EUlS16_E_NS1_11comp_targetILNS1_3genE3ELNS1_11target_archE908ELNS1_3gpuE7ELNS1_3repE0EEENS1_30default_config_static_selectorELNS0_4arch9wavefront6targetE0EEEvT1_,comdat
.Lfunc_end2200:
	.size	_ZN7rocprim17ROCPRIM_400000_NS6detail17trampoline_kernelINS0_14default_configENS1_25partition_config_selectorILNS1_17partition_subalgoE6EjNS0_10empty_typeEbEEZZNS1_14partition_implILS5_6ELb0ES3_mN6thrust23THRUST_200600_302600_NS6detail15normal_iteratorINSA_10device_ptrIjEEEEPS6_SG_NS0_5tupleIJNSA_16discard_iteratorINSA_11use_defaultEEES6_EEENSH_IJSG_SG_EEES6_PlJNSB_9not_fun_tI7is_trueIjEEEEEE10hipError_tPvRmT3_T4_T5_T6_T7_T9_mT8_P12ihipStream_tbDpT10_ENKUlT_T0_E_clISt17integral_constantIbLb0EES1A_IbLb1EEEEDaS16_S17_EUlS16_E_NS1_11comp_targetILNS1_3genE3ELNS1_11target_archE908ELNS1_3gpuE7ELNS1_3repE0EEENS1_30default_config_static_selectorELNS0_4arch9wavefront6targetE0EEEvT1_, .Lfunc_end2200-_ZN7rocprim17ROCPRIM_400000_NS6detail17trampoline_kernelINS0_14default_configENS1_25partition_config_selectorILNS1_17partition_subalgoE6EjNS0_10empty_typeEbEEZZNS1_14partition_implILS5_6ELb0ES3_mN6thrust23THRUST_200600_302600_NS6detail15normal_iteratorINSA_10device_ptrIjEEEEPS6_SG_NS0_5tupleIJNSA_16discard_iteratorINSA_11use_defaultEEES6_EEENSH_IJSG_SG_EEES6_PlJNSB_9not_fun_tI7is_trueIjEEEEEE10hipError_tPvRmT3_T4_T5_T6_T7_T9_mT8_P12ihipStream_tbDpT10_ENKUlT_T0_E_clISt17integral_constantIbLb0EES1A_IbLb1EEEEDaS16_S17_EUlS16_E_NS1_11comp_targetILNS1_3genE3ELNS1_11target_archE908ELNS1_3gpuE7ELNS1_3repE0EEENS1_30default_config_static_selectorELNS0_4arch9wavefront6targetE0EEEvT1_
                                        ; -- End function
	.set _ZN7rocprim17ROCPRIM_400000_NS6detail17trampoline_kernelINS0_14default_configENS1_25partition_config_selectorILNS1_17partition_subalgoE6EjNS0_10empty_typeEbEEZZNS1_14partition_implILS5_6ELb0ES3_mN6thrust23THRUST_200600_302600_NS6detail15normal_iteratorINSA_10device_ptrIjEEEEPS6_SG_NS0_5tupleIJNSA_16discard_iteratorINSA_11use_defaultEEES6_EEENSH_IJSG_SG_EEES6_PlJNSB_9not_fun_tI7is_trueIjEEEEEE10hipError_tPvRmT3_T4_T5_T6_T7_T9_mT8_P12ihipStream_tbDpT10_ENKUlT_T0_E_clISt17integral_constantIbLb0EES1A_IbLb1EEEEDaS16_S17_EUlS16_E_NS1_11comp_targetILNS1_3genE3ELNS1_11target_archE908ELNS1_3gpuE7ELNS1_3repE0EEENS1_30default_config_static_selectorELNS0_4arch9wavefront6targetE0EEEvT1_.num_vgpr, 0
	.set _ZN7rocprim17ROCPRIM_400000_NS6detail17trampoline_kernelINS0_14default_configENS1_25partition_config_selectorILNS1_17partition_subalgoE6EjNS0_10empty_typeEbEEZZNS1_14partition_implILS5_6ELb0ES3_mN6thrust23THRUST_200600_302600_NS6detail15normal_iteratorINSA_10device_ptrIjEEEEPS6_SG_NS0_5tupleIJNSA_16discard_iteratorINSA_11use_defaultEEES6_EEENSH_IJSG_SG_EEES6_PlJNSB_9not_fun_tI7is_trueIjEEEEEE10hipError_tPvRmT3_T4_T5_T6_T7_T9_mT8_P12ihipStream_tbDpT10_ENKUlT_T0_E_clISt17integral_constantIbLb0EES1A_IbLb1EEEEDaS16_S17_EUlS16_E_NS1_11comp_targetILNS1_3genE3ELNS1_11target_archE908ELNS1_3gpuE7ELNS1_3repE0EEENS1_30default_config_static_selectorELNS0_4arch9wavefront6targetE0EEEvT1_.num_agpr, 0
	.set _ZN7rocprim17ROCPRIM_400000_NS6detail17trampoline_kernelINS0_14default_configENS1_25partition_config_selectorILNS1_17partition_subalgoE6EjNS0_10empty_typeEbEEZZNS1_14partition_implILS5_6ELb0ES3_mN6thrust23THRUST_200600_302600_NS6detail15normal_iteratorINSA_10device_ptrIjEEEEPS6_SG_NS0_5tupleIJNSA_16discard_iteratorINSA_11use_defaultEEES6_EEENSH_IJSG_SG_EEES6_PlJNSB_9not_fun_tI7is_trueIjEEEEEE10hipError_tPvRmT3_T4_T5_T6_T7_T9_mT8_P12ihipStream_tbDpT10_ENKUlT_T0_E_clISt17integral_constantIbLb0EES1A_IbLb1EEEEDaS16_S17_EUlS16_E_NS1_11comp_targetILNS1_3genE3ELNS1_11target_archE908ELNS1_3gpuE7ELNS1_3repE0EEENS1_30default_config_static_selectorELNS0_4arch9wavefront6targetE0EEEvT1_.numbered_sgpr, 0
	.set _ZN7rocprim17ROCPRIM_400000_NS6detail17trampoline_kernelINS0_14default_configENS1_25partition_config_selectorILNS1_17partition_subalgoE6EjNS0_10empty_typeEbEEZZNS1_14partition_implILS5_6ELb0ES3_mN6thrust23THRUST_200600_302600_NS6detail15normal_iteratorINSA_10device_ptrIjEEEEPS6_SG_NS0_5tupleIJNSA_16discard_iteratorINSA_11use_defaultEEES6_EEENSH_IJSG_SG_EEES6_PlJNSB_9not_fun_tI7is_trueIjEEEEEE10hipError_tPvRmT3_T4_T5_T6_T7_T9_mT8_P12ihipStream_tbDpT10_ENKUlT_T0_E_clISt17integral_constantIbLb0EES1A_IbLb1EEEEDaS16_S17_EUlS16_E_NS1_11comp_targetILNS1_3genE3ELNS1_11target_archE908ELNS1_3gpuE7ELNS1_3repE0EEENS1_30default_config_static_selectorELNS0_4arch9wavefront6targetE0EEEvT1_.num_named_barrier, 0
	.set _ZN7rocprim17ROCPRIM_400000_NS6detail17trampoline_kernelINS0_14default_configENS1_25partition_config_selectorILNS1_17partition_subalgoE6EjNS0_10empty_typeEbEEZZNS1_14partition_implILS5_6ELb0ES3_mN6thrust23THRUST_200600_302600_NS6detail15normal_iteratorINSA_10device_ptrIjEEEEPS6_SG_NS0_5tupleIJNSA_16discard_iteratorINSA_11use_defaultEEES6_EEENSH_IJSG_SG_EEES6_PlJNSB_9not_fun_tI7is_trueIjEEEEEE10hipError_tPvRmT3_T4_T5_T6_T7_T9_mT8_P12ihipStream_tbDpT10_ENKUlT_T0_E_clISt17integral_constantIbLb0EES1A_IbLb1EEEEDaS16_S17_EUlS16_E_NS1_11comp_targetILNS1_3genE3ELNS1_11target_archE908ELNS1_3gpuE7ELNS1_3repE0EEENS1_30default_config_static_selectorELNS0_4arch9wavefront6targetE0EEEvT1_.private_seg_size, 0
	.set _ZN7rocprim17ROCPRIM_400000_NS6detail17trampoline_kernelINS0_14default_configENS1_25partition_config_selectorILNS1_17partition_subalgoE6EjNS0_10empty_typeEbEEZZNS1_14partition_implILS5_6ELb0ES3_mN6thrust23THRUST_200600_302600_NS6detail15normal_iteratorINSA_10device_ptrIjEEEEPS6_SG_NS0_5tupleIJNSA_16discard_iteratorINSA_11use_defaultEEES6_EEENSH_IJSG_SG_EEES6_PlJNSB_9not_fun_tI7is_trueIjEEEEEE10hipError_tPvRmT3_T4_T5_T6_T7_T9_mT8_P12ihipStream_tbDpT10_ENKUlT_T0_E_clISt17integral_constantIbLb0EES1A_IbLb1EEEEDaS16_S17_EUlS16_E_NS1_11comp_targetILNS1_3genE3ELNS1_11target_archE908ELNS1_3gpuE7ELNS1_3repE0EEENS1_30default_config_static_selectorELNS0_4arch9wavefront6targetE0EEEvT1_.uses_vcc, 0
	.set _ZN7rocprim17ROCPRIM_400000_NS6detail17trampoline_kernelINS0_14default_configENS1_25partition_config_selectorILNS1_17partition_subalgoE6EjNS0_10empty_typeEbEEZZNS1_14partition_implILS5_6ELb0ES3_mN6thrust23THRUST_200600_302600_NS6detail15normal_iteratorINSA_10device_ptrIjEEEEPS6_SG_NS0_5tupleIJNSA_16discard_iteratorINSA_11use_defaultEEES6_EEENSH_IJSG_SG_EEES6_PlJNSB_9not_fun_tI7is_trueIjEEEEEE10hipError_tPvRmT3_T4_T5_T6_T7_T9_mT8_P12ihipStream_tbDpT10_ENKUlT_T0_E_clISt17integral_constantIbLb0EES1A_IbLb1EEEEDaS16_S17_EUlS16_E_NS1_11comp_targetILNS1_3genE3ELNS1_11target_archE908ELNS1_3gpuE7ELNS1_3repE0EEENS1_30default_config_static_selectorELNS0_4arch9wavefront6targetE0EEEvT1_.uses_flat_scratch, 0
	.set _ZN7rocprim17ROCPRIM_400000_NS6detail17trampoline_kernelINS0_14default_configENS1_25partition_config_selectorILNS1_17partition_subalgoE6EjNS0_10empty_typeEbEEZZNS1_14partition_implILS5_6ELb0ES3_mN6thrust23THRUST_200600_302600_NS6detail15normal_iteratorINSA_10device_ptrIjEEEEPS6_SG_NS0_5tupleIJNSA_16discard_iteratorINSA_11use_defaultEEES6_EEENSH_IJSG_SG_EEES6_PlJNSB_9not_fun_tI7is_trueIjEEEEEE10hipError_tPvRmT3_T4_T5_T6_T7_T9_mT8_P12ihipStream_tbDpT10_ENKUlT_T0_E_clISt17integral_constantIbLb0EES1A_IbLb1EEEEDaS16_S17_EUlS16_E_NS1_11comp_targetILNS1_3genE3ELNS1_11target_archE908ELNS1_3gpuE7ELNS1_3repE0EEENS1_30default_config_static_selectorELNS0_4arch9wavefront6targetE0EEEvT1_.has_dyn_sized_stack, 0
	.set _ZN7rocprim17ROCPRIM_400000_NS6detail17trampoline_kernelINS0_14default_configENS1_25partition_config_selectorILNS1_17partition_subalgoE6EjNS0_10empty_typeEbEEZZNS1_14partition_implILS5_6ELb0ES3_mN6thrust23THRUST_200600_302600_NS6detail15normal_iteratorINSA_10device_ptrIjEEEEPS6_SG_NS0_5tupleIJNSA_16discard_iteratorINSA_11use_defaultEEES6_EEENSH_IJSG_SG_EEES6_PlJNSB_9not_fun_tI7is_trueIjEEEEEE10hipError_tPvRmT3_T4_T5_T6_T7_T9_mT8_P12ihipStream_tbDpT10_ENKUlT_T0_E_clISt17integral_constantIbLb0EES1A_IbLb1EEEEDaS16_S17_EUlS16_E_NS1_11comp_targetILNS1_3genE3ELNS1_11target_archE908ELNS1_3gpuE7ELNS1_3repE0EEENS1_30default_config_static_selectorELNS0_4arch9wavefront6targetE0EEEvT1_.has_recursion, 0
	.set _ZN7rocprim17ROCPRIM_400000_NS6detail17trampoline_kernelINS0_14default_configENS1_25partition_config_selectorILNS1_17partition_subalgoE6EjNS0_10empty_typeEbEEZZNS1_14partition_implILS5_6ELb0ES3_mN6thrust23THRUST_200600_302600_NS6detail15normal_iteratorINSA_10device_ptrIjEEEEPS6_SG_NS0_5tupleIJNSA_16discard_iteratorINSA_11use_defaultEEES6_EEENSH_IJSG_SG_EEES6_PlJNSB_9not_fun_tI7is_trueIjEEEEEE10hipError_tPvRmT3_T4_T5_T6_T7_T9_mT8_P12ihipStream_tbDpT10_ENKUlT_T0_E_clISt17integral_constantIbLb0EES1A_IbLb1EEEEDaS16_S17_EUlS16_E_NS1_11comp_targetILNS1_3genE3ELNS1_11target_archE908ELNS1_3gpuE7ELNS1_3repE0EEENS1_30default_config_static_selectorELNS0_4arch9wavefront6targetE0EEEvT1_.has_indirect_call, 0
	.section	.AMDGPU.csdata,"",@progbits
; Kernel info:
; codeLenInByte = 0
; TotalNumSgprs: 0
; NumVgprs: 0
; ScratchSize: 0
; MemoryBound: 0
; FloatMode: 240
; IeeeMode: 1
; LDSByteSize: 0 bytes/workgroup (compile time only)
; SGPRBlocks: 0
; VGPRBlocks: 0
; NumSGPRsForWavesPerEU: 1
; NumVGPRsForWavesPerEU: 1
; Occupancy: 16
; WaveLimiterHint : 0
; COMPUTE_PGM_RSRC2:SCRATCH_EN: 0
; COMPUTE_PGM_RSRC2:USER_SGPR: 2
; COMPUTE_PGM_RSRC2:TRAP_HANDLER: 0
; COMPUTE_PGM_RSRC2:TGID_X_EN: 1
; COMPUTE_PGM_RSRC2:TGID_Y_EN: 0
; COMPUTE_PGM_RSRC2:TGID_Z_EN: 0
; COMPUTE_PGM_RSRC2:TIDIG_COMP_CNT: 0
	.section	.text._ZN7rocprim17ROCPRIM_400000_NS6detail17trampoline_kernelINS0_14default_configENS1_25partition_config_selectorILNS1_17partition_subalgoE6EjNS0_10empty_typeEbEEZZNS1_14partition_implILS5_6ELb0ES3_mN6thrust23THRUST_200600_302600_NS6detail15normal_iteratorINSA_10device_ptrIjEEEEPS6_SG_NS0_5tupleIJNSA_16discard_iteratorINSA_11use_defaultEEES6_EEENSH_IJSG_SG_EEES6_PlJNSB_9not_fun_tI7is_trueIjEEEEEE10hipError_tPvRmT3_T4_T5_T6_T7_T9_mT8_P12ihipStream_tbDpT10_ENKUlT_T0_E_clISt17integral_constantIbLb0EES1A_IbLb1EEEEDaS16_S17_EUlS16_E_NS1_11comp_targetILNS1_3genE2ELNS1_11target_archE906ELNS1_3gpuE6ELNS1_3repE0EEENS1_30default_config_static_selectorELNS0_4arch9wavefront6targetE0EEEvT1_,"axG",@progbits,_ZN7rocprim17ROCPRIM_400000_NS6detail17trampoline_kernelINS0_14default_configENS1_25partition_config_selectorILNS1_17partition_subalgoE6EjNS0_10empty_typeEbEEZZNS1_14partition_implILS5_6ELb0ES3_mN6thrust23THRUST_200600_302600_NS6detail15normal_iteratorINSA_10device_ptrIjEEEEPS6_SG_NS0_5tupleIJNSA_16discard_iteratorINSA_11use_defaultEEES6_EEENSH_IJSG_SG_EEES6_PlJNSB_9not_fun_tI7is_trueIjEEEEEE10hipError_tPvRmT3_T4_T5_T6_T7_T9_mT8_P12ihipStream_tbDpT10_ENKUlT_T0_E_clISt17integral_constantIbLb0EES1A_IbLb1EEEEDaS16_S17_EUlS16_E_NS1_11comp_targetILNS1_3genE2ELNS1_11target_archE906ELNS1_3gpuE6ELNS1_3repE0EEENS1_30default_config_static_selectorELNS0_4arch9wavefront6targetE0EEEvT1_,comdat
	.protected	_ZN7rocprim17ROCPRIM_400000_NS6detail17trampoline_kernelINS0_14default_configENS1_25partition_config_selectorILNS1_17partition_subalgoE6EjNS0_10empty_typeEbEEZZNS1_14partition_implILS5_6ELb0ES3_mN6thrust23THRUST_200600_302600_NS6detail15normal_iteratorINSA_10device_ptrIjEEEEPS6_SG_NS0_5tupleIJNSA_16discard_iteratorINSA_11use_defaultEEES6_EEENSH_IJSG_SG_EEES6_PlJNSB_9not_fun_tI7is_trueIjEEEEEE10hipError_tPvRmT3_T4_T5_T6_T7_T9_mT8_P12ihipStream_tbDpT10_ENKUlT_T0_E_clISt17integral_constantIbLb0EES1A_IbLb1EEEEDaS16_S17_EUlS16_E_NS1_11comp_targetILNS1_3genE2ELNS1_11target_archE906ELNS1_3gpuE6ELNS1_3repE0EEENS1_30default_config_static_selectorELNS0_4arch9wavefront6targetE0EEEvT1_ ; -- Begin function _ZN7rocprim17ROCPRIM_400000_NS6detail17trampoline_kernelINS0_14default_configENS1_25partition_config_selectorILNS1_17partition_subalgoE6EjNS0_10empty_typeEbEEZZNS1_14partition_implILS5_6ELb0ES3_mN6thrust23THRUST_200600_302600_NS6detail15normal_iteratorINSA_10device_ptrIjEEEEPS6_SG_NS0_5tupleIJNSA_16discard_iteratorINSA_11use_defaultEEES6_EEENSH_IJSG_SG_EEES6_PlJNSB_9not_fun_tI7is_trueIjEEEEEE10hipError_tPvRmT3_T4_T5_T6_T7_T9_mT8_P12ihipStream_tbDpT10_ENKUlT_T0_E_clISt17integral_constantIbLb0EES1A_IbLb1EEEEDaS16_S17_EUlS16_E_NS1_11comp_targetILNS1_3genE2ELNS1_11target_archE906ELNS1_3gpuE6ELNS1_3repE0EEENS1_30default_config_static_selectorELNS0_4arch9wavefront6targetE0EEEvT1_
	.globl	_ZN7rocprim17ROCPRIM_400000_NS6detail17trampoline_kernelINS0_14default_configENS1_25partition_config_selectorILNS1_17partition_subalgoE6EjNS0_10empty_typeEbEEZZNS1_14partition_implILS5_6ELb0ES3_mN6thrust23THRUST_200600_302600_NS6detail15normal_iteratorINSA_10device_ptrIjEEEEPS6_SG_NS0_5tupleIJNSA_16discard_iteratorINSA_11use_defaultEEES6_EEENSH_IJSG_SG_EEES6_PlJNSB_9not_fun_tI7is_trueIjEEEEEE10hipError_tPvRmT3_T4_T5_T6_T7_T9_mT8_P12ihipStream_tbDpT10_ENKUlT_T0_E_clISt17integral_constantIbLb0EES1A_IbLb1EEEEDaS16_S17_EUlS16_E_NS1_11comp_targetILNS1_3genE2ELNS1_11target_archE906ELNS1_3gpuE6ELNS1_3repE0EEENS1_30default_config_static_selectorELNS0_4arch9wavefront6targetE0EEEvT1_
	.p2align	8
	.type	_ZN7rocprim17ROCPRIM_400000_NS6detail17trampoline_kernelINS0_14default_configENS1_25partition_config_selectorILNS1_17partition_subalgoE6EjNS0_10empty_typeEbEEZZNS1_14partition_implILS5_6ELb0ES3_mN6thrust23THRUST_200600_302600_NS6detail15normal_iteratorINSA_10device_ptrIjEEEEPS6_SG_NS0_5tupleIJNSA_16discard_iteratorINSA_11use_defaultEEES6_EEENSH_IJSG_SG_EEES6_PlJNSB_9not_fun_tI7is_trueIjEEEEEE10hipError_tPvRmT3_T4_T5_T6_T7_T9_mT8_P12ihipStream_tbDpT10_ENKUlT_T0_E_clISt17integral_constantIbLb0EES1A_IbLb1EEEEDaS16_S17_EUlS16_E_NS1_11comp_targetILNS1_3genE2ELNS1_11target_archE906ELNS1_3gpuE6ELNS1_3repE0EEENS1_30default_config_static_selectorELNS0_4arch9wavefront6targetE0EEEvT1_,@function
_ZN7rocprim17ROCPRIM_400000_NS6detail17trampoline_kernelINS0_14default_configENS1_25partition_config_selectorILNS1_17partition_subalgoE6EjNS0_10empty_typeEbEEZZNS1_14partition_implILS5_6ELb0ES3_mN6thrust23THRUST_200600_302600_NS6detail15normal_iteratorINSA_10device_ptrIjEEEEPS6_SG_NS0_5tupleIJNSA_16discard_iteratorINSA_11use_defaultEEES6_EEENSH_IJSG_SG_EEES6_PlJNSB_9not_fun_tI7is_trueIjEEEEEE10hipError_tPvRmT3_T4_T5_T6_T7_T9_mT8_P12ihipStream_tbDpT10_ENKUlT_T0_E_clISt17integral_constantIbLb0EES1A_IbLb1EEEEDaS16_S17_EUlS16_E_NS1_11comp_targetILNS1_3genE2ELNS1_11target_archE906ELNS1_3gpuE6ELNS1_3repE0EEENS1_30default_config_static_selectorELNS0_4arch9wavefront6targetE0EEEvT1_: ; @_ZN7rocprim17ROCPRIM_400000_NS6detail17trampoline_kernelINS0_14default_configENS1_25partition_config_selectorILNS1_17partition_subalgoE6EjNS0_10empty_typeEbEEZZNS1_14partition_implILS5_6ELb0ES3_mN6thrust23THRUST_200600_302600_NS6detail15normal_iteratorINSA_10device_ptrIjEEEEPS6_SG_NS0_5tupleIJNSA_16discard_iteratorINSA_11use_defaultEEES6_EEENSH_IJSG_SG_EEES6_PlJNSB_9not_fun_tI7is_trueIjEEEEEE10hipError_tPvRmT3_T4_T5_T6_T7_T9_mT8_P12ihipStream_tbDpT10_ENKUlT_T0_E_clISt17integral_constantIbLb0EES1A_IbLb1EEEEDaS16_S17_EUlS16_E_NS1_11comp_targetILNS1_3genE2ELNS1_11target_archE906ELNS1_3gpuE6ELNS1_3repE0EEENS1_30default_config_static_selectorELNS0_4arch9wavefront6targetE0EEEvT1_
; %bb.0:
	.section	.rodata,"a",@progbits
	.p2align	6, 0x0
	.amdhsa_kernel _ZN7rocprim17ROCPRIM_400000_NS6detail17trampoline_kernelINS0_14default_configENS1_25partition_config_selectorILNS1_17partition_subalgoE6EjNS0_10empty_typeEbEEZZNS1_14partition_implILS5_6ELb0ES3_mN6thrust23THRUST_200600_302600_NS6detail15normal_iteratorINSA_10device_ptrIjEEEEPS6_SG_NS0_5tupleIJNSA_16discard_iteratorINSA_11use_defaultEEES6_EEENSH_IJSG_SG_EEES6_PlJNSB_9not_fun_tI7is_trueIjEEEEEE10hipError_tPvRmT3_T4_T5_T6_T7_T9_mT8_P12ihipStream_tbDpT10_ENKUlT_T0_E_clISt17integral_constantIbLb0EES1A_IbLb1EEEEDaS16_S17_EUlS16_E_NS1_11comp_targetILNS1_3genE2ELNS1_11target_archE906ELNS1_3gpuE6ELNS1_3repE0EEENS1_30default_config_static_selectorELNS0_4arch9wavefront6targetE0EEEvT1_
		.amdhsa_group_segment_fixed_size 0
		.amdhsa_private_segment_fixed_size 0
		.amdhsa_kernarg_size 136
		.amdhsa_user_sgpr_count 2
		.amdhsa_user_sgpr_dispatch_ptr 0
		.amdhsa_user_sgpr_queue_ptr 0
		.amdhsa_user_sgpr_kernarg_segment_ptr 1
		.amdhsa_user_sgpr_dispatch_id 0
		.amdhsa_user_sgpr_private_segment_size 0
		.amdhsa_wavefront_size32 1
		.amdhsa_uses_dynamic_stack 0
		.amdhsa_enable_private_segment 0
		.amdhsa_system_sgpr_workgroup_id_x 1
		.amdhsa_system_sgpr_workgroup_id_y 0
		.amdhsa_system_sgpr_workgroup_id_z 0
		.amdhsa_system_sgpr_workgroup_info 0
		.amdhsa_system_vgpr_workitem_id 0
		.amdhsa_next_free_vgpr 1
		.amdhsa_next_free_sgpr 1
		.amdhsa_reserve_vcc 0
		.amdhsa_float_round_mode_32 0
		.amdhsa_float_round_mode_16_64 0
		.amdhsa_float_denorm_mode_32 3
		.amdhsa_float_denorm_mode_16_64 3
		.amdhsa_fp16_overflow 0
		.amdhsa_workgroup_processor_mode 1
		.amdhsa_memory_ordered 1
		.amdhsa_forward_progress 1
		.amdhsa_inst_pref_size 0
		.amdhsa_round_robin_scheduling 0
		.amdhsa_exception_fp_ieee_invalid_op 0
		.amdhsa_exception_fp_denorm_src 0
		.amdhsa_exception_fp_ieee_div_zero 0
		.amdhsa_exception_fp_ieee_overflow 0
		.amdhsa_exception_fp_ieee_underflow 0
		.amdhsa_exception_fp_ieee_inexact 0
		.amdhsa_exception_int_div_zero 0
	.end_amdhsa_kernel
	.section	.text._ZN7rocprim17ROCPRIM_400000_NS6detail17trampoline_kernelINS0_14default_configENS1_25partition_config_selectorILNS1_17partition_subalgoE6EjNS0_10empty_typeEbEEZZNS1_14partition_implILS5_6ELb0ES3_mN6thrust23THRUST_200600_302600_NS6detail15normal_iteratorINSA_10device_ptrIjEEEEPS6_SG_NS0_5tupleIJNSA_16discard_iteratorINSA_11use_defaultEEES6_EEENSH_IJSG_SG_EEES6_PlJNSB_9not_fun_tI7is_trueIjEEEEEE10hipError_tPvRmT3_T4_T5_T6_T7_T9_mT8_P12ihipStream_tbDpT10_ENKUlT_T0_E_clISt17integral_constantIbLb0EES1A_IbLb1EEEEDaS16_S17_EUlS16_E_NS1_11comp_targetILNS1_3genE2ELNS1_11target_archE906ELNS1_3gpuE6ELNS1_3repE0EEENS1_30default_config_static_selectorELNS0_4arch9wavefront6targetE0EEEvT1_,"axG",@progbits,_ZN7rocprim17ROCPRIM_400000_NS6detail17trampoline_kernelINS0_14default_configENS1_25partition_config_selectorILNS1_17partition_subalgoE6EjNS0_10empty_typeEbEEZZNS1_14partition_implILS5_6ELb0ES3_mN6thrust23THRUST_200600_302600_NS6detail15normal_iteratorINSA_10device_ptrIjEEEEPS6_SG_NS0_5tupleIJNSA_16discard_iteratorINSA_11use_defaultEEES6_EEENSH_IJSG_SG_EEES6_PlJNSB_9not_fun_tI7is_trueIjEEEEEE10hipError_tPvRmT3_T4_T5_T6_T7_T9_mT8_P12ihipStream_tbDpT10_ENKUlT_T0_E_clISt17integral_constantIbLb0EES1A_IbLb1EEEEDaS16_S17_EUlS16_E_NS1_11comp_targetILNS1_3genE2ELNS1_11target_archE906ELNS1_3gpuE6ELNS1_3repE0EEENS1_30default_config_static_selectorELNS0_4arch9wavefront6targetE0EEEvT1_,comdat
.Lfunc_end2201:
	.size	_ZN7rocprim17ROCPRIM_400000_NS6detail17trampoline_kernelINS0_14default_configENS1_25partition_config_selectorILNS1_17partition_subalgoE6EjNS0_10empty_typeEbEEZZNS1_14partition_implILS5_6ELb0ES3_mN6thrust23THRUST_200600_302600_NS6detail15normal_iteratorINSA_10device_ptrIjEEEEPS6_SG_NS0_5tupleIJNSA_16discard_iteratorINSA_11use_defaultEEES6_EEENSH_IJSG_SG_EEES6_PlJNSB_9not_fun_tI7is_trueIjEEEEEE10hipError_tPvRmT3_T4_T5_T6_T7_T9_mT8_P12ihipStream_tbDpT10_ENKUlT_T0_E_clISt17integral_constantIbLb0EES1A_IbLb1EEEEDaS16_S17_EUlS16_E_NS1_11comp_targetILNS1_3genE2ELNS1_11target_archE906ELNS1_3gpuE6ELNS1_3repE0EEENS1_30default_config_static_selectorELNS0_4arch9wavefront6targetE0EEEvT1_, .Lfunc_end2201-_ZN7rocprim17ROCPRIM_400000_NS6detail17trampoline_kernelINS0_14default_configENS1_25partition_config_selectorILNS1_17partition_subalgoE6EjNS0_10empty_typeEbEEZZNS1_14partition_implILS5_6ELb0ES3_mN6thrust23THRUST_200600_302600_NS6detail15normal_iteratorINSA_10device_ptrIjEEEEPS6_SG_NS0_5tupleIJNSA_16discard_iteratorINSA_11use_defaultEEES6_EEENSH_IJSG_SG_EEES6_PlJNSB_9not_fun_tI7is_trueIjEEEEEE10hipError_tPvRmT3_T4_T5_T6_T7_T9_mT8_P12ihipStream_tbDpT10_ENKUlT_T0_E_clISt17integral_constantIbLb0EES1A_IbLb1EEEEDaS16_S17_EUlS16_E_NS1_11comp_targetILNS1_3genE2ELNS1_11target_archE906ELNS1_3gpuE6ELNS1_3repE0EEENS1_30default_config_static_selectorELNS0_4arch9wavefront6targetE0EEEvT1_
                                        ; -- End function
	.set _ZN7rocprim17ROCPRIM_400000_NS6detail17trampoline_kernelINS0_14default_configENS1_25partition_config_selectorILNS1_17partition_subalgoE6EjNS0_10empty_typeEbEEZZNS1_14partition_implILS5_6ELb0ES3_mN6thrust23THRUST_200600_302600_NS6detail15normal_iteratorINSA_10device_ptrIjEEEEPS6_SG_NS0_5tupleIJNSA_16discard_iteratorINSA_11use_defaultEEES6_EEENSH_IJSG_SG_EEES6_PlJNSB_9not_fun_tI7is_trueIjEEEEEE10hipError_tPvRmT3_T4_T5_T6_T7_T9_mT8_P12ihipStream_tbDpT10_ENKUlT_T0_E_clISt17integral_constantIbLb0EES1A_IbLb1EEEEDaS16_S17_EUlS16_E_NS1_11comp_targetILNS1_3genE2ELNS1_11target_archE906ELNS1_3gpuE6ELNS1_3repE0EEENS1_30default_config_static_selectorELNS0_4arch9wavefront6targetE0EEEvT1_.num_vgpr, 0
	.set _ZN7rocprim17ROCPRIM_400000_NS6detail17trampoline_kernelINS0_14default_configENS1_25partition_config_selectorILNS1_17partition_subalgoE6EjNS0_10empty_typeEbEEZZNS1_14partition_implILS5_6ELb0ES3_mN6thrust23THRUST_200600_302600_NS6detail15normal_iteratorINSA_10device_ptrIjEEEEPS6_SG_NS0_5tupleIJNSA_16discard_iteratorINSA_11use_defaultEEES6_EEENSH_IJSG_SG_EEES6_PlJNSB_9not_fun_tI7is_trueIjEEEEEE10hipError_tPvRmT3_T4_T5_T6_T7_T9_mT8_P12ihipStream_tbDpT10_ENKUlT_T0_E_clISt17integral_constantIbLb0EES1A_IbLb1EEEEDaS16_S17_EUlS16_E_NS1_11comp_targetILNS1_3genE2ELNS1_11target_archE906ELNS1_3gpuE6ELNS1_3repE0EEENS1_30default_config_static_selectorELNS0_4arch9wavefront6targetE0EEEvT1_.num_agpr, 0
	.set _ZN7rocprim17ROCPRIM_400000_NS6detail17trampoline_kernelINS0_14default_configENS1_25partition_config_selectorILNS1_17partition_subalgoE6EjNS0_10empty_typeEbEEZZNS1_14partition_implILS5_6ELb0ES3_mN6thrust23THRUST_200600_302600_NS6detail15normal_iteratorINSA_10device_ptrIjEEEEPS6_SG_NS0_5tupleIJNSA_16discard_iteratorINSA_11use_defaultEEES6_EEENSH_IJSG_SG_EEES6_PlJNSB_9not_fun_tI7is_trueIjEEEEEE10hipError_tPvRmT3_T4_T5_T6_T7_T9_mT8_P12ihipStream_tbDpT10_ENKUlT_T0_E_clISt17integral_constantIbLb0EES1A_IbLb1EEEEDaS16_S17_EUlS16_E_NS1_11comp_targetILNS1_3genE2ELNS1_11target_archE906ELNS1_3gpuE6ELNS1_3repE0EEENS1_30default_config_static_selectorELNS0_4arch9wavefront6targetE0EEEvT1_.numbered_sgpr, 0
	.set _ZN7rocprim17ROCPRIM_400000_NS6detail17trampoline_kernelINS0_14default_configENS1_25partition_config_selectorILNS1_17partition_subalgoE6EjNS0_10empty_typeEbEEZZNS1_14partition_implILS5_6ELb0ES3_mN6thrust23THRUST_200600_302600_NS6detail15normal_iteratorINSA_10device_ptrIjEEEEPS6_SG_NS0_5tupleIJNSA_16discard_iteratorINSA_11use_defaultEEES6_EEENSH_IJSG_SG_EEES6_PlJNSB_9not_fun_tI7is_trueIjEEEEEE10hipError_tPvRmT3_T4_T5_T6_T7_T9_mT8_P12ihipStream_tbDpT10_ENKUlT_T0_E_clISt17integral_constantIbLb0EES1A_IbLb1EEEEDaS16_S17_EUlS16_E_NS1_11comp_targetILNS1_3genE2ELNS1_11target_archE906ELNS1_3gpuE6ELNS1_3repE0EEENS1_30default_config_static_selectorELNS0_4arch9wavefront6targetE0EEEvT1_.num_named_barrier, 0
	.set _ZN7rocprim17ROCPRIM_400000_NS6detail17trampoline_kernelINS0_14default_configENS1_25partition_config_selectorILNS1_17partition_subalgoE6EjNS0_10empty_typeEbEEZZNS1_14partition_implILS5_6ELb0ES3_mN6thrust23THRUST_200600_302600_NS6detail15normal_iteratorINSA_10device_ptrIjEEEEPS6_SG_NS0_5tupleIJNSA_16discard_iteratorINSA_11use_defaultEEES6_EEENSH_IJSG_SG_EEES6_PlJNSB_9not_fun_tI7is_trueIjEEEEEE10hipError_tPvRmT3_T4_T5_T6_T7_T9_mT8_P12ihipStream_tbDpT10_ENKUlT_T0_E_clISt17integral_constantIbLb0EES1A_IbLb1EEEEDaS16_S17_EUlS16_E_NS1_11comp_targetILNS1_3genE2ELNS1_11target_archE906ELNS1_3gpuE6ELNS1_3repE0EEENS1_30default_config_static_selectorELNS0_4arch9wavefront6targetE0EEEvT1_.private_seg_size, 0
	.set _ZN7rocprim17ROCPRIM_400000_NS6detail17trampoline_kernelINS0_14default_configENS1_25partition_config_selectorILNS1_17partition_subalgoE6EjNS0_10empty_typeEbEEZZNS1_14partition_implILS5_6ELb0ES3_mN6thrust23THRUST_200600_302600_NS6detail15normal_iteratorINSA_10device_ptrIjEEEEPS6_SG_NS0_5tupleIJNSA_16discard_iteratorINSA_11use_defaultEEES6_EEENSH_IJSG_SG_EEES6_PlJNSB_9not_fun_tI7is_trueIjEEEEEE10hipError_tPvRmT3_T4_T5_T6_T7_T9_mT8_P12ihipStream_tbDpT10_ENKUlT_T0_E_clISt17integral_constantIbLb0EES1A_IbLb1EEEEDaS16_S17_EUlS16_E_NS1_11comp_targetILNS1_3genE2ELNS1_11target_archE906ELNS1_3gpuE6ELNS1_3repE0EEENS1_30default_config_static_selectorELNS0_4arch9wavefront6targetE0EEEvT1_.uses_vcc, 0
	.set _ZN7rocprim17ROCPRIM_400000_NS6detail17trampoline_kernelINS0_14default_configENS1_25partition_config_selectorILNS1_17partition_subalgoE6EjNS0_10empty_typeEbEEZZNS1_14partition_implILS5_6ELb0ES3_mN6thrust23THRUST_200600_302600_NS6detail15normal_iteratorINSA_10device_ptrIjEEEEPS6_SG_NS0_5tupleIJNSA_16discard_iteratorINSA_11use_defaultEEES6_EEENSH_IJSG_SG_EEES6_PlJNSB_9not_fun_tI7is_trueIjEEEEEE10hipError_tPvRmT3_T4_T5_T6_T7_T9_mT8_P12ihipStream_tbDpT10_ENKUlT_T0_E_clISt17integral_constantIbLb0EES1A_IbLb1EEEEDaS16_S17_EUlS16_E_NS1_11comp_targetILNS1_3genE2ELNS1_11target_archE906ELNS1_3gpuE6ELNS1_3repE0EEENS1_30default_config_static_selectorELNS0_4arch9wavefront6targetE0EEEvT1_.uses_flat_scratch, 0
	.set _ZN7rocprim17ROCPRIM_400000_NS6detail17trampoline_kernelINS0_14default_configENS1_25partition_config_selectorILNS1_17partition_subalgoE6EjNS0_10empty_typeEbEEZZNS1_14partition_implILS5_6ELb0ES3_mN6thrust23THRUST_200600_302600_NS6detail15normal_iteratorINSA_10device_ptrIjEEEEPS6_SG_NS0_5tupleIJNSA_16discard_iteratorINSA_11use_defaultEEES6_EEENSH_IJSG_SG_EEES6_PlJNSB_9not_fun_tI7is_trueIjEEEEEE10hipError_tPvRmT3_T4_T5_T6_T7_T9_mT8_P12ihipStream_tbDpT10_ENKUlT_T0_E_clISt17integral_constantIbLb0EES1A_IbLb1EEEEDaS16_S17_EUlS16_E_NS1_11comp_targetILNS1_3genE2ELNS1_11target_archE906ELNS1_3gpuE6ELNS1_3repE0EEENS1_30default_config_static_selectorELNS0_4arch9wavefront6targetE0EEEvT1_.has_dyn_sized_stack, 0
	.set _ZN7rocprim17ROCPRIM_400000_NS6detail17trampoline_kernelINS0_14default_configENS1_25partition_config_selectorILNS1_17partition_subalgoE6EjNS0_10empty_typeEbEEZZNS1_14partition_implILS5_6ELb0ES3_mN6thrust23THRUST_200600_302600_NS6detail15normal_iteratorINSA_10device_ptrIjEEEEPS6_SG_NS0_5tupleIJNSA_16discard_iteratorINSA_11use_defaultEEES6_EEENSH_IJSG_SG_EEES6_PlJNSB_9not_fun_tI7is_trueIjEEEEEE10hipError_tPvRmT3_T4_T5_T6_T7_T9_mT8_P12ihipStream_tbDpT10_ENKUlT_T0_E_clISt17integral_constantIbLb0EES1A_IbLb1EEEEDaS16_S17_EUlS16_E_NS1_11comp_targetILNS1_3genE2ELNS1_11target_archE906ELNS1_3gpuE6ELNS1_3repE0EEENS1_30default_config_static_selectorELNS0_4arch9wavefront6targetE0EEEvT1_.has_recursion, 0
	.set _ZN7rocprim17ROCPRIM_400000_NS6detail17trampoline_kernelINS0_14default_configENS1_25partition_config_selectorILNS1_17partition_subalgoE6EjNS0_10empty_typeEbEEZZNS1_14partition_implILS5_6ELb0ES3_mN6thrust23THRUST_200600_302600_NS6detail15normal_iteratorINSA_10device_ptrIjEEEEPS6_SG_NS0_5tupleIJNSA_16discard_iteratorINSA_11use_defaultEEES6_EEENSH_IJSG_SG_EEES6_PlJNSB_9not_fun_tI7is_trueIjEEEEEE10hipError_tPvRmT3_T4_T5_T6_T7_T9_mT8_P12ihipStream_tbDpT10_ENKUlT_T0_E_clISt17integral_constantIbLb0EES1A_IbLb1EEEEDaS16_S17_EUlS16_E_NS1_11comp_targetILNS1_3genE2ELNS1_11target_archE906ELNS1_3gpuE6ELNS1_3repE0EEENS1_30default_config_static_selectorELNS0_4arch9wavefront6targetE0EEEvT1_.has_indirect_call, 0
	.section	.AMDGPU.csdata,"",@progbits
; Kernel info:
; codeLenInByte = 0
; TotalNumSgprs: 0
; NumVgprs: 0
; ScratchSize: 0
; MemoryBound: 0
; FloatMode: 240
; IeeeMode: 1
; LDSByteSize: 0 bytes/workgroup (compile time only)
; SGPRBlocks: 0
; VGPRBlocks: 0
; NumSGPRsForWavesPerEU: 1
; NumVGPRsForWavesPerEU: 1
; Occupancy: 16
; WaveLimiterHint : 0
; COMPUTE_PGM_RSRC2:SCRATCH_EN: 0
; COMPUTE_PGM_RSRC2:USER_SGPR: 2
; COMPUTE_PGM_RSRC2:TRAP_HANDLER: 0
; COMPUTE_PGM_RSRC2:TGID_X_EN: 1
; COMPUTE_PGM_RSRC2:TGID_Y_EN: 0
; COMPUTE_PGM_RSRC2:TGID_Z_EN: 0
; COMPUTE_PGM_RSRC2:TIDIG_COMP_CNT: 0
	.section	.text._ZN7rocprim17ROCPRIM_400000_NS6detail17trampoline_kernelINS0_14default_configENS1_25partition_config_selectorILNS1_17partition_subalgoE6EjNS0_10empty_typeEbEEZZNS1_14partition_implILS5_6ELb0ES3_mN6thrust23THRUST_200600_302600_NS6detail15normal_iteratorINSA_10device_ptrIjEEEEPS6_SG_NS0_5tupleIJNSA_16discard_iteratorINSA_11use_defaultEEES6_EEENSH_IJSG_SG_EEES6_PlJNSB_9not_fun_tI7is_trueIjEEEEEE10hipError_tPvRmT3_T4_T5_T6_T7_T9_mT8_P12ihipStream_tbDpT10_ENKUlT_T0_E_clISt17integral_constantIbLb0EES1A_IbLb1EEEEDaS16_S17_EUlS16_E_NS1_11comp_targetILNS1_3genE10ELNS1_11target_archE1200ELNS1_3gpuE4ELNS1_3repE0EEENS1_30default_config_static_selectorELNS0_4arch9wavefront6targetE0EEEvT1_,"axG",@progbits,_ZN7rocprim17ROCPRIM_400000_NS6detail17trampoline_kernelINS0_14default_configENS1_25partition_config_selectorILNS1_17partition_subalgoE6EjNS0_10empty_typeEbEEZZNS1_14partition_implILS5_6ELb0ES3_mN6thrust23THRUST_200600_302600_NS6detail15normal_iteratorINSA_10device_ptrIjEEEEPS6_SG_NS0_5tupleIJNSA_16discard_iteratorINSA_11use_defaultEEES6_EEENSH_IJSG_SG_EEES6_PlJNSB_9not_fun_tI7is_trueIjEEEEEE10hipError_tPvRmT3_T4_T5_T6_T7_T9_mT8_P12ihipStream_tbDpT10_ENKUlT_T0_E_clISt17integral_constantIbLb0EES1A_IbLb1EEEEDaS16_S17_EUlS16_E_NS1_11comp_targetILNS1_3genE10ELNS1_11target_archE1200ELNS1_3gpuE4ELNS1_3repE0EEENS1_30default_config_static_selectorELNS0_4arch9wavefront6targetE0EEEvT1_,comdat
	.protected	_ZN7rocprim17ROCPRIM_400000_NS6detail17trampoline_kernelINS0_14default_configENS1_25partition_config_selectorILNS1_17partition_subalgoE6EjNS0_10empty_typeEbEEZZNS1_14partition_implILS5_6ELb0ES3_mN6thrust23THRUST_200600_302600_NS6detail15normal_iteratorINSA_10device_ptrIjEEEEPS6_SG_NS0_5tupleIJNSA_16discard_iteratorINSA_11use_defaultEEES6_EEENSH_IJSG_SG_EEES6_PlJNSB_9not_fun_tI7is_trueIjEEEEEE10hipError_tPvRmT3_T4_T5_T6_T7_T9_mT8_P12ihipStream_tbDpT10_ENKUlT_T0_E_clISt17integral_constantIbLb0EES1A_IbLb1EEEEDaS16_S17_EUlS16_E_NS1_11comp_targetILNS1_3genE10ELNS1_11target_archE1200ELNS1_3gpuE4ELNS1_3repE0EEENS1_30default_config_static_selectorELNS0_4arch9wavefront6targetE0EEEvT1_ ; -- Begin function _ZN7rocprim17ROCPRIM_400000_NS6detail17trampoline_kernelINS0_14default_configENS1_25partition_config_selectorILNS1_17partition_subalgoE6EjNS0_10empty_typeEbEEZZNS1_14partition_implILS5_6ELb0ES3_mN6thrust23THRUST_200600_302600_NS6detail15normal_iteratorINSA_10device_ptrIjEEEEPS6_SG_NS0_5tupleIJNSA_16discard_iteratorINSA_11use_defaultEEES6_EEENSH_IJSG_SG_EEES6_PlJNSB_9not_fun_tI7is_trueIjEEEEEE10hipError_tPvRmT3_T4_T5_T6_T7_T9_mT8_P12ihipStream_tbDpT10_ENKUlT_T0_E_clISt17integral_constantIbLb0EES1A_IbLb1EEEEDaS16_S17_EUlS16_E_NS1_11comp_targetILNS1_3genE10ELNS1_11target_archE1200ELNS1_3gpuE4ELNS1_3repE0EEENS1_30default_config_static_selectorELNS0_4arch9wavefront6targetE0EEEvT1_
	.globl	_ZN7rocprim17ROCPRIM_400000_NS6detail17trampoline_kernelINS0_14default_configENS1_25partition_config_selectorILNS1_17partition_subalgoE6EjNS0_10empty_typeEbEEZZNS1_14partition_implILS5_6ELb0ES3_mN6thrust23THRUST_200600_302600_NS6detail15normal_iteratorINSA_10device_ptrIjEEEEPS6_SG_NS0_5tupleIJNSA_16discard_iteratorINSA_11use_defaultEEES6_EEENSH_IJSG_SG_EEES6_PlJNSB_9not_fun_tI7is_trueIjEEEEEE10hipError_tPvRmT3_T4_T5_T6_T7_T9_mT8_P12ihipStream_tbDpT10_ENKUlT_T0_E_clISt17integral_constantIbLb0EES1A_IbLb1EEEEDaS16_S17_EUlS16_E_NS1_11comp_targetILNS1_3genE10ELNS1_11target_archE1200ELNS1_3gpuE4ELNS1_3repE0EEENS1_30default_config_static_selectorELNS0_4arch9wavefront6targetE0EEEvT1_
	.p2align	8
	.type	_ZN7rocprim17ROCPRIM_400000_NS6detail17trampoline_kernelINS0_14default_configENS1_25partition_config_selectorILNS1_17partition_subalgoE6EjNS0_10empty_typeEbEEZZNS1_14partition_implILS5_6ELb0ES3_mN6thrust23THRUST_200600_302600_NS6detail15normal_iteratorINSA_10device_ptrIjEEEEPS6_SG_NS0_5tupleIJNSA_16discard_iteratorINSA_11use_defaultEEES6_EEENSH_IJSG_SG_EEES6_PlJNSB_9not_fun_tI7is_trueIjEEEEEE10hipError_tPvRmT3_T4_T5_T6_T7_T9_mT8_P12ihipStream_tbDpT10_ENKUlT_T0_E_clISt17integral_constantIbLb0EES1A_IbLb1EEEEDaS16_S17_EUlS16_E_NS1_11comp_targetILNS1_3genE10ELNS1_11target_archE1200ELNS1_3gpuE4ELNS1_3repE0EEENS1_30default_config_static_selectorELNS0_4arch9wavefront6targetE0EEEvT1_,@function
_ZN7rocprim17ROCPRIM_400000_NS6detail17trampoline_kernelINS0_14default_configENS1_25partition_config_selectorILNS1_17partition_subalgoE6EjNS0_10empty_typeEbEEZZNS1_14partition_implILS5_6ELb0ES3_mN6thrust23THRUST_200600_302600_NS6detail15normal_iteratorINSA_10device_ptrIjEEEEPS6_SG_NS0_5tupleIJNSA_16discard_iteratorINSA_11use_defaultEEES6_EEENSH_IJSG_SG_EEES6_PlJNSB_9not_fun_tI7is_trueIjEEEEEE10hipError_tPvRmT3_T4_T5_T6_T7_T9_mT8_P12ihipStream_tbDpT10_ENKUlT_T0_E_clISt17integral_constantIbLb0EES1A_IbLb1EEEEDaS16_S17_EUlS16_E_NS1_11comp_targetILNS1_3genE10ELNS1_11target_archE1200ELNS1_3gpuE4ELNS1_3repE0EEENS1_30default_config_static_selectorELNS0_4arch9wavefront6targetE0EEEvT1_: ; @_ZN7rocprim17ROCPRIM_400000_NS6detail17trampoline_kernelINS0_14default_configENS1_25partition_config_selectorILNS1_17partition_subalgoE6EjNS0_10empty_typeEbEEZZNS1_14partition_implILS5_6ELb0ES3_mN6thrust23THRUST_200600_302600_NS6detail15normal_iteratorINSA_10device_ptrIjEEEEPS6_SG_NS0_5tupleIJNSA_16discard_iteratorINSA_11use_defaultEEES6_EEENSH_IJSG_SG_EEES6_PlJNSB_9not_fun_tI7is_trueIjEEEEEE10hipError_tPvRmT3_T4_T5_T6_T7_T9_mT8_P12ihipStream_tbDpT10_ENKUlT_T0_E_clISt17integral_constantIbLb0EES1A_IbLb1EEEEDaS16_S17_EUlS16_E_NS1_11comp_targetILNS1_3genE10ELNS1_11target_archE1200ELNS1_3gpuE4ELNS1_3repE0EEENS1_30default_config_static_selectorELNS0_4arch9wavefront6targetE0EEEvT1_
; %bb.0:
	s_clause 0x2
	s_load_b64 s[14:15], s[0:1], 0x58
	s_load_b128 s[8:11], s[0:1], 0x48
	s_load_b64 s[12:13], s[0:1], 0x68
	v_cmp_eq_u32_e64 s2, 0, v0
	s_and_saveexec_b32 s3, s2
	s_cbranch_execz .LBB2202_4
; %bb.1:
	s_mov_b32 s5, exec_lo
	s_mov_b32 s4, exec_lo
	v_mbcnt_lo_u32_b32 v1, s5, 0
                                        ; implicit-def: $vgpr2
	s_delay_alu instid0(VALU_DEP_1)
	v_cmpx_eq_u32_e32 0, v1
	s_cbranch_execz .LBB2202_3
; %bb.2:
	s_load_b64 s[6:7], s[0:1], 0x78
	s_bcnt1_i32_b32 s5, s5
	s_wait_alu 0xfffe
	v_dual_mov_b32 v2, 0 :: v_dual_mov_b32 v3, s5
	s_wait_kmcnt 0x0
	global_atomic_add_u32 v2, v2, v3, s[6:7] th:TH_ATOMIC_RETURN scope:SCOPE_DEV
.LBB2202_3:
	s_or_b32 exec_lo, exec_lo, s4
	s_wait_loadcnt 0x0
	v_readfirstlane_b32 s4, v2
	s_wait_alu 0xf1ff
	s_delay_alu instid0(VALU_DEP_1)
	v_dual_mov_b32 v2, 0 :: v_dual_add_nc_u32 v1, s4, v1
	ds_store_b32 v2, v1
.LBB2202_4:
	s_or_b32 exec_lo, exec_lo, s3
	v_mov_b32_e32 v2, 0
	s_clause 0x1
	s_load_b128 s[4:7], s[0:1], 0x8
	s_load_b32 s0, s[0:1], 0x70
	s_wait_dscnt 0x0
	s_barrier_signal -1
	s_barrier_wait -1
	global_inv scope:SCOPE_SE
	ds_load_b32 v3, v2
	s_wait_loadcnt_dscnt 0x0
	s_barrier_signal -1
	s_barrier_wait -1
	global_inv scope:SCOPE_SE
	s_wait_kmcnt 0x0
	global_load_b64 v[9:10], v2, s[10:11]
	s_mov_b32 s1, 0
	v_lshlrev_b32_e32 v8, 2, v0
	s_lshl_b64 s[16:17], s[6:7], 2
	s_add_co_i32 s3, s0, -1
	s_mulk_i32 s0, 0xa80
	s_add_nc_u64 s[4:5], s[4:5], s[16:17]
	s_add_co_i32 s10, s0, s6
	s_add_nc_u64 s[6:7], s[6:7], s[0:1]
	v_mul_lo_u32 v1, 0xa80, v3
	v_readfirstlane_b32 s11, v3
	v_cmp_gt_u64_e64 s1, s[14:15], s[6:7]
	v_cmp_ne_u32_e32 vcc_lo, s3, v3
	s_sub_co_i32 s0, s14, s10
	s_cmp_eq_u32 s11, s3
	v_lshlrev_b64_e32 v[1:2], 2, v[1:2]
	s_cselect_b32 s7, -1, 0
	s_or_b32 s15, s1, vcc_lo
	s_mov_b32 s1, -1
	s_wait_alu 0xfffe
	s_delay_alu instid0(VALU_DEP_1) | instskip(NEXT) | instid1(VALU_DEP_1)
	v_add_co_u32 v11, vcc_lo, s4, v1
	v_add_co_ci_u32_e64 v12, null, s5, v2, vcc_lo
	s_and_b32 vcc_lo, exec_lo, s15
	s_wait_alu 0xfffe
	s_cbranch_vccz .LBB2202_6
; %bb.5:
	v_add_co_u32 v1, vcc_lo, v11, v8
	s_wait_alu 0xfffd
	v_add_co_ci_u32_e64 v2, null, 0, v12, vcc_lo
	s_mov_b32 s1, 0
	s_clause 0x6
	flat_load_b32 v3, v[1:2]
	flat_load_b32 v4, v[1:2] offset:1536
	flat_load_b32 v5, v[1:2] offset:3072
	;; [unrolled: 1-line block ×6, first 2 shown]
	s_wait_loadcnt_dscnt 0x505
	ds_store_2addr_stride64_b32 v8, v3, v4 offset1:6
	s_wait_loadcnt_dscnt 0x304
	ds_store_2addr_stride64_b32 v8, v5, v6 offset0:12 offset1:18
	s_wait_loadcnt_dscnt 0x103
	ds_store_2addr_stride64_b32 v8, v7, v13 offset0:24 offset1:30
	s_wait_loadcnt_dscnt 0x3
	ds_store_b32 v8, v1 offset:9216
	s_wait_dscnt 0x0
	s_barrier_signal -1
	s_barrier_wait -1
.LBB2202_6:
	s_and_not1_b32 vcc_lo, exec_lo, s1
	s_add_co_i32 s14, s0, 0xa80
	s_wait_alu 0xfffe
	s_cbranch_vccnz .LBB2202_22
; %bb.7:
	v_mov_b32_e32 v1, 0
	s_mov_b32 s0, exec_lo
	s_delay_alu instid0(VALU_DEP_1)
	v_dual_mov_b32 v2, v1 :: v_dual_mov_b32 v3, v1
	v_dual_mov_b32 v4, v1 :: v_dual_mov_b32 v5, v1
	;; [unrolled: 1-line block ×3, first 2 shown]
	v_cmpx_gt_u32_e64 s14, v0
	s_cbranch_execz .LBB2202_9
; %bb.8:
	v_add_co_u32 v2, vcc_lo, v11, v8
	s_wait_alu 0xfffd
	v_add_co_ci_u32_e64 v3, null, 0, v12, vcc_lo
	v_dual_mov_b32 v14, v1 :: v_dual_mov_b32 v15, v1
	v_dual_mov_b32 v16, v1 :: v_dual_mov_b32 v17, v1
	flat_load_b32 v13, v[2:3]
	v_dual_mov_b32 v18, v1 :: v_dual_mov_b32 v19, v1
	s_wait_loadcnt_dscnt 0x0
	v_dual_mov_b32 v1, v13 :: v_dual_mov_b32 v2, v14
	v_dual_mov_b32 v3, v15 :: v_dual_mov_b32 v4, v16
	s_delay_alu instid0(VALU_DEP_3)
	v_dual_mov_b32 v5, v17 :: v_dual_mov_b32 v6, v18
	v_mov_b32_e32 v7, v19
.LBB2202_9:
	s_or_b32 exec_lo, exec_lo, s0
	v_add_nc_u32_e32 v13, 0x180, v0
	s_mov_b32 s0, exec_lo
	s_delay_alu instid0(VALU_DEP_1)
	v_cmpx_gt_u32_e64 s14, v13
	s_cbranch_execz .LBB2202_11
; %bb.10:
	v_add_co_u32 v13, vcc_lo, v11, v8
	s_wait_alu 0xfffd
	v_add_co_ci_u32_e64 v14, null, 0, v12, vcc_lo
	flat_load_b32 v2, v[13:14] offset:1536
.LBB2202_11:
	s_or_b32 exec_lo, exec_lo, s0
	v_add_nc_u32_e32 v13, 0x300, v0
	s_mov_b32 s0, exec_lo
	s_delay_alu instid0(VALU_DEP_1)
	v_cmpx_gt_u32_e64 s14, v13
	s_cbranch_execz .LBB2202_13
; %bb.12:
	v_add_co_u32 v13, vcc_lo, v11, v8
	s_wait_alu 0xfffd
	v_add_co_ci_u32_e64 v14, null, 0, v12, vcc_lo
	flat_load_b32 v3, v[13:14] offset:3072
.LBB2202_13:
	;; [unrolled: 12-line block ×3, first 2 shown]
	s_or_b32 exec_lo, exec_lo, s0
	v_or_b32_e32 v13, 0x600, v0
	s_mov_b32 s0, exec_lo
	s_delay_alu instid0(VALU_DEP_1)
	v_cmpx_gt_u32_e64 s14, v13
	s_cbranch_execz .LBB2202_17
; %bb.16:
	v_add_co_u32 v13, vcc_lo, v11, v8
	s_wait_alu 0xfffd
	v_add_co_ci_u32_e64 v14, null, 0, v12, vcc_lo
	flat_load_b32 v5, v[13:14] offset:6144
.LBB2202_17:
	s_or_b32 exec_lo, exec_lo, s0
	v_add_nc_u32_e32 v13, 0x780, v0
	s_mov_b32 s0, exec_lo
	s_delay_alu instid0(VALU_DEP_1)
	v_cmpx_gt_u32_e64 s14, v13
	s_cbranch_execz .LBB2202_19
; %bb.18:
	v_add_co_u32 v13, vcc_lo, v11, v8
	s_wait_alu 0xfffd
	v_add_co_ci_u32_e64 v14, null, 0, v12, vcc_lo
	flat_load_b32 v6, v[13:14] offset:7680
.LBB2202_19:
	s_or_b32 exec_lo, exec_lo, s0
	v_add_nc_u32_e32 v13, 0x900, v0
	s_mov_b32 s0, exec_lo
	s_delay_alu instid0(VALU_DEP_1)
	v_cmpx_gt_u32_e64 s14, v13
	s_cbranch_execz .LBB2202_21
; %bb.20:
	v_add_co_u32 v11, vcc_lo, v11, v8
	s_wait_alu 0xfffd
	v_add_co_ci_u32_e64 v12, null, 0, v12, vcc_lo
	flat_load_b32 v7, v[11:12] offset:9216
.LBB2202_21:
	s_or_b32 exec_lo, exec_lo, s0
	s_wait_loadcnt_dscnt 0x0
	ds_store_2addr_stride64_b32 v8, v1, v2 offset1:6
	ds_store_2addr_stride64_b32 v8, v3, v4 offset0:12 offset1:18
	ds_store_2addr_stride64_b32 v8, v5, v6 offset0:24 offset1:30
	ds_store_b32 v8, v7 offset:9216
	s_wait_dscnt 0x0
	s_barrier_signal -1
	s_barrier_wait -1
.LBB2202_22:
	v_mul_u32_u24_e32 v1, 7, v0
	s_wait_loadcnt 0x0
	global_inv scope:SCOPE_SE
	s_and_not1_b32 vcc_lo, exec_lo, s15
	v_lshlrev_b32_e32 v29, 2, v1
	ds_load_2addr_b32 v[11:12], v29 offset0:4 offset1:5
	ds_load_b32 v25, v29 offset:24
	ds_load_2addr_b32 v[15:16], v29 offset1:1
	ds_load_2addr_b32 v[13:14], v29 offset0:2 offset1:3
	s_wait_loadcnt_dscnt 0x0
	s_barrier_signal -1
	s_barrier_wait -1
	global_inv scope:SCOPE_SE
	v_cmp_eq_u32_e64 s0, 0, v11
	v_cmp_eq_u32_e64 s1, 0, v12
	;; [unrolled: 1-line block ×7, first 2 shown]
	s_wait_alu 0xfffe
	s_cbranch_vccnz .LBB2202_24
; %bb.23:
	s_wait_alu 0xf1ff
	v_cndmask_b32_e64 v2, 0, 1, s5
	v_cndmask_b32_e64 v3, 0, 1, s6
	;; [unrolled: 1-line block ×5, first 2 shown]
	v_lshlrev_b16 v2, 8, v2
	v_lshlrev_b16 v3, 8, v3
	v_cndmask_b32_e64 v26, 0, 1, s1
	s_delay_alu instid0(VALU_DEP_3) | instskip(NEXT) | instid1(VALU_DEP_3)
	v_or_b32_e32 v2, v4, v2
	v_or_b32_e32 v3, v5, v3
	s_delay_alu instid0(VALU_DEP_2) | instskip(NEXT) | instid1(VALU_DEP_2)
	v_and_b32_e32 v2, 0xffff, v2
	v_lshlrev_b32_e32 v3, 16, v3
	s_delay_alu instid0(VALU_DEP_1)
	v_or_b32_e32 v28, v2, v3
	s_cbranch_execz .LBB2202_25
	s_branch .LBB2202_26
.LBB2202_24:
                                        ; implicit-def: $sgpr10
                                        ; implicit-def: $vgpr26
                                        ; implicit-def: $vgpr27
                                        ; implicit-def: $vgpr28
.LBB2202_25:
	v_add_nc_u32_e32 v2, 1, v1
	v_cmp_eq_u32_e32 vcc_lo, 0, v16
	v_add_nc_u32_e32 v3, 3, v1
	v_cmp_eq_u32_e64 s0, 0, v15
	v_cmp_eq_u32_e64 s3, 0, v14
	v_cmp_gt_u32_e64 s1, s14, v2
	v_add_nc_u32_e32 v2, 2, v1
	v_cmp_gt_u32_e64 s5, s14, v3
	v_cmp_eq_u32_e64 s4, 0, v13
	v_add_nc_u32_e32 v5, 5, v1
	s_and_b32 s1, s1, vcc_lo
	v_cmp_gt_u32_e32 vcc_lo, s14, v1
	s_wait_alu 0xfffe
	v_cndmask_b32_e64 v3, 0, 1, s1
	v_cmp_gt_u32_e64 s1, s14, v2
	s_and_b32 s3, s5, s3
	s_and_b32 s0, vcc_lo, s0
	v_lshlrev_b16 v3, 8, v3
	s_wait_alu 0xfffe
	v_cndmask_b32_e64 v4, 0, 1, s0
	v_cndmask_b32_e64 v2, 0, 1, s3
	s_and_b32 s0, s1, s4
	v_cmp_eq_u32_e32 vcc_lo, 0, v12
	s_wait_alu 0xfffe
	v_cndmask_b32_e64 v6, 0, 1, s0
	v_cmp_gt_u32_e64 s0, s14, v5
	v_or_b32_e32 v3, v4, v3
	v_add_nc_u32_e32 v4, 4, v1
	v_lshlrev_b16 v2, 8, v2
	v_cmp_eq_u32_e64 s1, 0, v11
	s_and_b32 s0, s0, vcc_lo
	v_add_nc_u32_e32 v1, 6, v1
	v_cmp_gt_u32_e32 vcc_lo, s14, v4
	v_or_b32_e32 v2, v6, v2
	s_wait_alu 0xfffe
	v_cndmask_b32_e64 v26, 0, 1, s0
	v_and_b32_e32 v3, 0xffff, v3
	s_and_b32 s0, vcc_lo, s1
	v_cmp_gt_u32_e32 vcc_lo, s14, v1
	s_wait_alu 0xfffe
	v_cndmask_b32_e64 v5, 0, 1, s0
	v_cmp_eq_u32_e64 s0, 0, v25
	v_lshlrev_b32_e32 v2, 16, v2
	v_lshlrev_b16 v4, 8, v26
	s_and_not1_b32 s1, s10, exec_lo
	s_and_b32 s0, vcc_lo, s0
	s_delay_alu instid0(VALU_DEP_2) | instskip(NEXT) | instid1(VALU_DEP_2)
	v_or_b32_e32 v28, v3, v2
	v_or_b32_e32 v27, v5, v4
	s_wait_alu 0xfffe
	s_and_b32 s0, s0, exec_lo
	s_wait_alu 0xfffe
	s_or_b32 s10, s1, s0
.LBB2202_26:
	s_delay_alu instid0(VALU_DEP_1)
	v_dual_mov_b32 v2, 0 :: v_dual_and_b32 v33, 0xff, v28
	v_bfe_u32 v32, v28, 8, 8
	v_cndmask_b32_e64 v1, 0, 1, s10
	v_bfe_u32 v35, v28, 16, 8
	v_lshrrev_b32_e32 v30, 24, v28
	v_and_b32_e32 v34, 0xff, v27
	v_mbcnt_lo_u32_b32 v36, -1, 0
	v_add3_u32 v1, v33, v1, v32
	v_and_b32_e32 v31, 0xff, v26
	s_cmp_lg_u32 s11, 0
	s_mov_b32 s1, -1
	v_and_b32_e32 v37, 15, v36
	v_add_co_u32 v1, s0, v1, v35
	s_wait_alu 0xf1ff
	v_add_co_ci_u32_e64 v3, null, 0, 0, s0
	s_delay_alu instid0(VALU_DEP_3) | instskip(NEXT) | instid1(VALU_DEP_3)
	v_cmp_ne_u32_e64 s0, 0, v37
	v_add_co_u32 v1, vcc_lo, v1, v30
	s_wait_alu 0xfffd
	s_delay_alu instid0(VALU_DEP_3) | instskip(NEXT) | instid1(VALU_DEP_2)
	v_add_co_ci_u32_e64 v3, null, 0, v3, vcc_lo
	v_add_co_u32 v1, vcc_lo, v1, v34
	s_wait_alu 0xfffd
	s_delay_alu instid0(VALU_DEP_2) | instskip(NEXT) | instid1(VALU_DEP_2)
	v_add_co_ci_u32_e64 v3, null, 0, v3, vcc_lo
	v_add_co_u32 v17, vcc_lo, v1, v31
	s_wait_alu 0xfffd
	s_delay_alu instid0(VALU_DEP_2)
	v_add_co_ci_u32_e64 v18, null, 0, v3, vcc_lo
	s_cbranch_scc0 .LBB2202_85
; %bb.27:
	v_mov_b32_e32 v3, v17
	v_mov_b32_dpp v1, v17 row_shr:1 row_mask:0xf bank_mask:0xf
	v_mov_b32_dpp v6, v2 row_shr:1 row_mask:0xf bank_mask:0xf
	v_dual_mov_b32 v5, v17 :: v_dual_mov_b32 v4, v18
	s_and_saveexec_b32 s1, s0
; %bb.28:
	s_delay_alu instid0(VALU_DEP_3) | instskip(SKIP_2) | instid1(VALU_DEP_2)
	v_add_co_u32 v5, vcc_lo, v17, v1
	s_wait_alu 0xfffd
	v_add_co_ci_u32_e64 v2, null, 0, v18, vcc_lo
	v_add_co_u32 v1, vcc_lo, 0, v5
	s_wait_alu 0xfffd
	s_delay_alu instid0(VALU_DEP_2) | instskip(NEXT) | instid1(VALU_DEP_1)
	v_add_co_ci_u32_e64 v2, null, v6, v2, vcc_lo
	v_dual_mov_b32 v4, v2 :: v_dual_mov_b32 v3, v1
; %bb.29:
	s_wait_alu 0xfffe
	s_or_b32 exec_lo, exec_lo, s1
	v_mov_b32_dpp v1, v5 row_shr:2 row_mask:0xf bank_mask:0xf
	v_mov_b32_dpp v6, v2 row_shr:2 row_mask:0xf bank_mask:0xf
	v_cmp_lt_u32_e32 vcc_lo, 1, v37
	s_and_saveexec_b32 s3, vcc_lo
; %bb.30:
	s_delay_alu instid0(VALU_DEP_3) | instskip(SKIP_2) | instid1(VALU_DEP_2)
	v_add_co_u32 v5, s1, v3, v1
	s_wait_alu 0xf1ff
	v_add_co_ci_u32_e64 v2, null, 0, v4, s1
	v_add_co_u32 v1, s1, 0, v5
	s_wait_alu 0xf1ff
	s_delay_alu instid0(VALU_DEP_2) | instskip(NEXT) | instid1(VALU_DEP_1)
	v_add_co_ci_u32_e64 v2, null, v6, v2, s1
	v_dual_mov_b32 v4, v2 :: v_dual_mov_b32 v3, v1
; %bb.31:
	s_wait_alu 0xfffe
	s_or_b32 exec_lo, exec_lo, s3
	v_mov_b32_dpp v1, v5 row_shr:4 row_mask:0xf bank_mask:0xf
	v_mov_b32_dpp v6, v2 row_shr:4 row_mask:0xf bank_mask:0xf
	v_cmp_lt_u32_e64 s1, 3, v37
	s_and_saveexec_b32 s4, s1
; %bb.32:
	v_add_co_u32 v5, s3, v3, v1
	s_wait_alu 0xf1ff
	v_add_co_ci_u32_e64 v2, null, 0, v4, s3
	s_delay_alu instid0(VALU_DEP_2) | instskip(SKIP_1) | instid1(VALU_DEP_2)
	v_add_co_u32 v1, s3, 0, v5
	s_wait_alu 0xf1ff
	v_add_co_ci_u32_e64 v2, null, v6, v2, s3
	s_delay_alu instid0(VALU_DEP_1)
	v_dual_mov_b32 v4, v2 :: v_dual_mov_b32 v3, v1
; %bb.33:
	s_wait_alu 0xfffe
	s_or_b32 exec_lo, exec_lo, s4
	v_mov_b32_dpp v6, v5 row_shr:8 row_mask:0xf bank_mask:0xf
	v_mov_b32_dpp v1, v2 row_shr:8 row_mask:0xf bank_mask:0xf
	v_cmp_lt_u32_e64 s3, 7, v37
	s_and_saveexec_b32 s5, s3
; %bb.34:
	v_add_co_u32 v5, s4, v3, v6
	s_wait_alu 0xf1ff
	v_add_co_ci_u32_e64 v2, null, 0, v4, s4
	s_delay_alu instid0(VALU_DEP_2) | instskip(SKIP_1) | instid1(VALU_DEP_2)
	v_add_co_u32 v3, s4, 0, v5
	s_wait_alu 0xf1ff
	v_add_co_ci_u32_e64 v4, null, v1, v2, s4
	s_delay_alu instid0(VALU_DEP_1)
	v_mov_b32_e32 v2, v4
; %bb.35:
	s_wait_alu 0xfffe
	s_or_b32 exec_lo, exec_lo, s5
	ds_swizzle_b32 v6, v5 offset:swizzle(BROADCAST,32,15)
	ds_swizzle_b32 v1, v2 offset:swizzle(BROADCAST,32,15)
	v_and_b32_e32 v2, 16, v36
	s_mov_b32 s5, exec_lo
	s_delay_alu instid0(VALU_DEP_1)
	v_cmpx_ne_u32_e32 0, v2
	s_cbranch_execz .LBB2202_37
; %bb.36:
	s_wait_dscnt 0x1
	v_add_co_u32 v5, s4, v3, v6
	s_wait_alu 0xf1ff
	v_add_co_ci_u32_e64 v2, null, 0, v4, s4
	s_delay_alu instid0(VALU_DEP_2) | instskip(SKIP_2) | instid1(VALU_DEP_2)
	v_add_co_u32 v3, s4, 0, v5
	s_wait_dscnt 0x0
	s_wait_alu 0xf1ff
	v_add_co_ci_u32_e64 v4, null, v1, v2, s4
.LBB2202_37:
	s_wait_alu 0xfffe
	s_or_b32 exec_lo, exec_lo, s5
	s_wait_dscnt 0x0
	v_and_b32_e32 v1, 0x1e0, v0
	v_lshrrev_b32_e32 v6, 5, v0
	s_mov_b32 s5, exec_lo
	s_delay_alu instid0(VALU_DEP_2) | instskip(NEXT) | instid1(VALU_DEP_1)
	v_min_u32_e32 v1, 0x160, v1
	v_or_b32_e32 v1, 31, v1
	s_delay_alu instid0(VALU_DEP_1)
	v_cmpx_eq_u32_e64 v0, v1
; %bb.38:
	v_lshlrev_b32_e32 v1, 3, v6
	ds_store_b64 v1, v[3:4]
; %bb.39:
	s_wait_alu 0xfffe
	s_or_b32 exec_lo, exec_lo, s5
	s_delay_alu instid0(SALU_CYCLE_1)
	s_mov_b32 s5, exec_lo
	s_wait_loadcnt_dscnt 0x0
	s_barrier_signal -1
	s_barrier_wait -1
	global_inv scope:SCOPE_SE
	v_cmpx_gt_u32_e32 12, v0
	s_cbranch_execz .LBB2202_49
; %bb.40:
	v_lshlrev_b32_e32 v3, 3, v0
	ds_load_b64 v[1:2], v3
	s_wait_dscnt 0x0
	v_mov_b32_dpp v8, v1 row_shr:1 row_mask:0xf bank_mask:0xf
	v_mov_b32_dpp v7, v2 row_shr:1 row_mask:0xf bank_mask:0xf
	v_mov_b32_e32 v4, v1
	s_and_saveexec_b32 s6, s0
; %bb.41:
	s_delay_alu instid0(VALU_DEP_3) | instskip(SKIP_2) | instid1(VALU_DEP_2)
	v_add_co_u32 v4, s4, v1, v8
	s_wait_alu 0xf1ff
	v_add_co_ci_u32_e64 v2, null, 0, v2, s4
	v_add_co_u32 v1, s4, 0, v4
	s_wait_alu 0xf1ff
	s_delay_alu instid0(VALU_DEP_2)
	v_add_co_ci_u32_e64 v2, null, v7, v2, s4
; %bb.42:
	s_wait_alu 0xfffe
	s_or_b32 exec_lo, exec_lo, s6
	v_mov_b32_dpp v8, v4 row_shr:2 row_mask:0xf bank_mask:0xf
	s_delay_alu instid0(VALU_DEP_2)
	v_mov_b32_dpp v7, v2 row_shr:2 row_mask:0xf bank_mask:0xf
	s_and_saveexec_b32 s4, vcc_lo
; %bb.43:
	s_delay_alu instid0(VALU_DEP_2) | instskip(SKIP_2) | instid1(VALU_DEP_2)
	v_add_co_u32 v4, vcc_lo, v1, v8
	s_wait_alu 0xfffd
	v_add_co_ci_u32_e64 v2, null, 0, v2, vcc_lo
	v_add_co_u32 v1, vcc_lo, 0, v4
	s_wait_alu 0xfffd
	s_delay_alu instid0(VALU_DEP_2)
	v_add_co_ci_u32_e64 v2, null, v7, v2, vcc_lo
; %bb.44:
	s_wait_alu 0xfffe
	s_or_b32 exec_lo, exec_lo, s4
	v_mov_b32_dpp v8, v4 row_shr:4 row_mask:0xf bank_mask:0xf
	s_delay_alu instid0(VALU_DEP_2)
	v_mov_b32_dpp v7, v2 row_shr:4 row_mask:0xf bank_mask:0xf
	s_and_saveexec_b32 s4, s1
; %bb.45:
	s_delay_alu instid0(VALU_DEP_2) | instskip(SKIP_2) | instid1(VALU_DEP_2)
	v_add_co_u32 v4, vcc_lo, v1, v8
	s_wait_alu 0xfffd
	v_add_co_ci_u32_e64 v2, null, 0, v2, vcc_lo
	v_add_co_u32 v1, vcc_lo, 0, v4
	s_wait_alu 0xfffd
	s_delay_alu instid0(VALU_DEP_2)
	v_add_co_ci_u32_e64 v2, null, v7, v2, vcc_lo
; %bb.46:
	s_wait_alu 0xfffe
	s_or_b32 exec_lo, exec_lo, s4
	v_mov_b32_dpp v7, v4 row_shr:8 row_mask:0xf bank_mask:0xf
	s_delay_alu instid0(VALU_DEP_2)
	v_mov_b32_dpp v4, v2 row_shr:8 row_mask:0xf bank_mask:0xf
	s_and_saveexec_b32 s1, s3
; %bb.47:
	s_delay_alu instid0(VALU_DEP_2) | instskip(SKIP_2) | instid1(VALU_DEP_2)
	v_add_co_u32 v1, vcc_lo, v1, v7
	s_wait_alu 0xfffd
	v_add_co_ci_u32_e64 v2, null, 0, v2, vcc_lo
	v_add_co_u32 v1, vcc_lo, v1, 0
	s_wait_alu 0xfffd
	s_delay_alu instid0(VALU_DEP_2)
	v_add_co_ci_u32_e64 v2, null, v2, v4, vcc_lo
; %bb.48:
	s_wait_alu 0xfffe
	s_or_b32 exec_lo, exec_lo, s1
	ds_store_b64 v3, v[1:2]
.LBB2202_49:
	s_wait_alu 0xfffe
	s_or_b32 exec_lo, exec_lo, s5
	s_delay_alu instid0(SALU_CYCLE_1)
	s_mov_b32 s3, exec_lo
	v_cmp_gt_u32_e32 vcc_lo, 32, v0
	s_wait_loadcnt_dscnt 0x0
	s_barrier_signal -1
	s_barrier_wait -1
	global_inv scope:SCOPE_SE
                                        ; implicit-def: $vgpr19_vgpr20
	v_cmpx_lt_u32_e32 31, v0
	s_cbranch_execz .LBB2202_51
; %bb.50:
	v_lshl_add_u32 v1, v6, 3, -8
	ds_load_b64 v[19:20], v1
	s_wait_dscnt 0x0
	v_add_nc_u32_e32 v5, v5, v19
.LBB2202_51:
	s_wait_alu 0xfffe
	s_or_b32 exec_lo, exec_lo, s3
	v_sub_co_u32 v1, s1, v36, 1
	s_delay_alu instid0(VALU_DEP_1) | instskip(SKIP_1) | instid1(VALU_DEP_1)
	v_cmp_gt_i32_e64 s3, 0, v1
	s_wait_alu 0xf1ff
	v_cndmask_b32_e64 v1, v1, v36, s3
	s_delay_alu instid0(VALU_DEP_1)
	v_lshlrev_b32_e32 v1, 2, v1
	ds_bpermute_b32 v38, v1, v5
	s_and_saveexec_b32 s3, vcc_lo
	s_cbranch_execz .LBB2202_90
; %bb.52:
	v_mov_b32_e32 v4, 0
	ds_load_b64 v[1:2], v4 offset:88
	s_and_saveexec_b32 s4, s1
	s_cbranch_execz .LBB2202_54
; %bb.53:
	s_add_co_i32 s14, s11, 32
	s_mov_b32 s15, 0
	s_wait_alu 0xfffe
	s_lshl_b64 s[14:15], s[14:15], 4
	s_wait_alu 0xfffe
	s_add_nc_u64 s[14:15], s[12:13], s[14:15]
	v_mov_b32_e32 v3, 1
	s_wait_alu 0xfffe
	v_dual_mov_b32 v5, s14 :: v_dual_mov_b32 v6, s15
	s_wait_dscnt 0x0
	;;#ASMSTART
	global_store_b128 v[5:6], v[1:4] off scope:SCOPE_DEV	
s_wait_storecnt 0x0
	;;#ASMEND
.LBB2202_54:
	s_wait_alu 0xfffe
	s_or_b32 exec_lo, exec_lo, s4
	v_xad_u32 v21, v36, -1, s11
	s_mov_b32 s5, 0
	s_mov_b32 s4, exec_lo
	s_delay_alu instid0(VALU_DEP_1) | instskip(NEXT) | instid1(VALU_DEP_1)
	v_add_nc_u32_e32 v3, 32, v21
	v_lshlrev_b64_e32 v[3:4], 4, v[3:4]
	s_delay_alu instid0(VALU_DEP_1) | instskip(SKIP_1) | instid1(VALU_DEP_2)
	v_add_co_u32 v3, vcc_lo, s12, v3
	s_wait_alu 0xfffd
	v_add_co_ci_u32_e64 v4, null, s13, v4, vcc_lo
	;;#ASMSTART
	global_load_b128 v[5:8], v[3:4] off scope:SCOPE_DEV	
s_wait_loadcnt 0x0
	;;#ASMEND
	v_and_b32_e32 v8, 0xff, v7
	s_delay_alu instid0(VALU_DEP_1)
	v_cmpx_eq_u16_e32 0, v8
	s_cbranch_execz .LBB2202_57
.LBB2202_55:                            ; =>This Inner Loop Header: Depth=1
	;;#ASMSTART
	global_load_b128 v[5:8], v[3:4] off scope:SCOPE_DEV	
s_wait_loadcnt 0x0
	;;#ASMEND
	v_and_b32_e32 v8, 0xff, v7
	s_delay_alu instid0(VALU_DEP_1)
	v_cmp_ne_u16_e32 vcc_lo, 0, v8
	s_wait_alu 0xfffe
	s_or_b32 s5, vcc_lo, s5
	s_wait_alu 0xfffe
	s_and_not1_b32 exec_lo, exec_lo, s5
	s_cbranch_execnz .LBB2202_55
; %bb.56:
	s_or_b32 exec_lo, exec_lo, s5
.LBB2202_57:
	s_wait_alu 0xfffe
	s_or_b32 exec_lo, exec_lo, s4
	v_cmp_ne_u32_e32 vcc_lo, 31, v36
	v_and_b32_e32 v4, 0xff, v7
	v_lshlrev_b32_e64 v40, v36, -1
	s_mov_b32 s4, exec_lo
	s_wait_alu 0xfffd
	v_add_co_ci_u32_e64 v3, null, 0, v36, vcc_lo
	v_cmp_eq_u16_e32 vcc_lo, 2, v4
	s_delay_alu instid0(VALU_DEP_2)
	v_dual_mov_b32 v4, v5 :: v_dual_lshlrev_b32 v39, 2, v3
	s_wait_alu 0xfffd
	v_and_or_b32 v3, vcc_lo, v40, 0x80000000
	ds_bpermute_b32 v22, v39, v5
	ds_bpermute_b32 v8, v39, v6
	v_ctz_i32_b32_e32 v3, v3
	s_delay_alu instid0(VALU_DEP_1)
	v_cmpx_lt_u32_e64 v36, v3
	s_cbranch_execz .LBB2202_59
; %bb.58:
	s_wait_dscnt 0x1
	v_add_co_u32 v4, vcc_lo, v5, v22
	s_wait_alu 0xfffd
	v_add_co_ci_u32_e64 v6, null, 0, v6, vcc_lo
	s_delay_alu instid0(VALU_DEP_2) | instskip(SKIP_2) | instid1(VALU_DEP_2)
	v_add_co_u32 v5, vcc_lo, 0, v4
	s_wait_dscnt 0x0
	s_wait_alu 0xfffd
	v_add_co_ci_u32_e64 v6, null, v8, v6, vcc_lo
.LBB2202_59:
	s_wait_alu 0xfffe
	s_or_b32 exec_lo, exec_lo, s4
	v_cmp_gt_u32_e32 vcc_lo, 30, v36
	v_add_nc_u32_e32 v42, 2, v36
	s_mov_b32 s4, exec_lo
	s_wait_dscnt 0x0
	s_wait_alu 0xfffd
	v_cndmask_b32_e64 v8, 0, 2, vcc_lo
	s_delay_alu instid0(VALU_DEP_1)
	v_add_lshl_u32 v41, v8, v36, 2
	ds_bpermute_b32 v22, v41, v4
	ds_bpermute_b32 v8, v41, v6
	v_cmpx_le_u32_e64 v42, v3
	s_cbranch_execz .LBB2202_61
; %bb.60:
	s_wait_dscnt 0x1
	v_add_co_u32 v4, vcc_lo, v5, v22
	s_wait_alu 0xfffd
	v_add_co_ci_u32_e64 v6, null, 0, v6, vcc_lo
	s_delay_alu instid0(VALU_DEP_2) | instskip(SKIP_2) | instid1(VALU_DEP_2)
	v_add_co_u32 v5, vcc_lo, 0, v4
	s_wait_dscnt 0x0
	s_wait_alu 0xfffd
	v_add_co_ci_u32_e64 v6, null, v8, v6, vcc_lo
.LBB2202_61:
	s_wait_alu 0xfffe
	s_or_b32 exec_lo, exec_lo, s4
	v_cmp_gt_u32_e32 vcc_lo, 28, v36
	v_add_nc_u32_e32 v44, 4, v36
	s_mov_b32 s4, exec_lo
	s_wait_dscnt 0x0
	s_wait_alu 0xfffd
	v_cndmask_b32_e64 v8, 0, 4, vcc_lo
	s_delay_alu instid0(VALU_DEP_1)
	v_add_lshl_u32 v43, v8, v36, 2
	ds_bpermute_b32 v22, v43, v4
	ds_bpermute_b32 v8, v43, v6
	v_cmpx_le_u32_e64 v44, v3
	s_cbranch_execz .LBB2202_63
; %bb.62:
	s_wait_dscnt 0x1
	v_add_co_u32 v4, vcc_lo, v5, v22
	s_wait_alu 0xfffd
	v_add_co_ci_u32_e64 v6, null, 0, v6, vcc_lo
	s_delay_alu instid0(VALU_DEP_2) | instskip(SKIP_2) | instid1(VALU_DEP_2)
	v_add_co_u32 v5, vcc_lo, 0, v4
	s_wait_dscnt 0x0
	s_wait_alu 0xfffd
	v_add_co_ci_u32_e64 v6, null, v8, v6, vcc_lo
.LBB2202_63:
	s_wait_alu 0xfffe
	s_or_b32 exec_lo, exec_lo, s4
	v_cmp_gt_u32_e32 vcc_lo, 24, v36
	v_add_nc_u32_e32 v46, 8, v36
	s_mov_b32 s4, exec_lo
	s_wait_dscnt 0x0
	s_wait_alu 0xfffd
	v_cndmask_b32_e64 v8, 0, 8, vcc_lo
	s_delay_alu instid0(VALU_DEP_1)
	v_add_lshl_u32 v45, v8, v36, 2
	ds_bpermute_b32 v22, v45, v4
	ds_bpermute_b32 v8, v45, v6
	v_cmpx_le_u32_e64 v46, v3
	s_cbranch_execz .LBB2202_65
; %bb.64:
	s_wait_dscnt 0x1
	v_add_co_u32 v4, vcc_lo, v5, v22
	s_wait_alu 0xfffd
	v_add_co_ci_u32_e64 v6, null, 0, v6, vcc_lo
	s_delay_alu instid0(VALU_DEP_2) | instskip(SKIP_2) | instid1(VALU_DEP_2)
	v_add_co_u32 v5, vcc_lo, 0, v4
	s_wait_dscnt 0x0
	s_wait_alu 0xfffd
	v_add_co_ci_u32_e64 v6, null, v8, v6, vcc_lo
.LBB2202_65:
	s_wait_alu 0xfffe
	s_or_b32 exec_lo, exec_lo, s4
	v_lshl_or_b32 v47, v36, 2, 64
	v_add_nc_u32_e32 v48, 16, v36
	s_mov_b32 s4, exec_lo
	s_wait_dscnt 0x0
	ds_bpermute_b32 v8, v47, v4
	ds_bpermute_b32 v4, v47, v6
	v_cmpx_le_u32_e64 v48, v3
	s_cbranch_execz .LBB2202_67
; %bb.66:
	s_wait_dscnt 0x1
	v_add_co_u32 v3, vcc_lo, v5, v8
	s_wait_alu 0xfffd
	v_add_co_ci_u32_e64 v6, null, 0, v6, vcc_lo
	s_delay_alu instid0(VALU_DEP_2) | instskip(SKIP_2) | instid1(VALU_DEP_2)
	v_add_co_u32 v5, vcc_lo, v3, 0
	s_wait_dscnt 0x0
	s_wait_alu 0xfffd
	v_add_co_ci_u32_e64 v6, null, v6, v4, vcc_lo
.LBB2202_67:
	s_wait_alu 0xfffe
	s_or_b32 exec_lo, exec_lo, s4
	v_mov_b32_e32 v22, 0
	s_branch .LBB2202_70
.LBB2202_68:                            ;   in Loop: Header=BB2202_70 Depth=1
	s_wait_alu 0xfffe
	s_or_b32 exec_lo, exec_lo, s4
	v_add_co_u32 v5, vcc_lo, v5, v3
	v_subrev_nc_u32_e32 v21, 32, v21
	s_wait_alu 0xfffd
	v_add_co_ci_u32_e64 v6, null, v6, v4, vcc_lo
	s_mov_b32 s4, 0
.LBB2202_69:                            ;   in Loop: Header=BB2202_70 Depth=1
	s_wait_alu 0xfffe
	s_and_b32 vcc_lo, exec_lo, s4
	s_wait_alu 0xfffe
	s_cbranch_vccnz .LBB2202_86
.LBB2202_70:                            ; =>This Loop Header: Depth=1
                                        ;     Child Loop BB2202_73 Depth 2
	v_and_b32_e32 v3, 0xff, v7
	s_mov_b32 s4, -1
	s_delay_alu instid0(VALU_DEP_1)
	v_cmp_ne_u16_e32 vcc_lo, 2, v3
	s_wait_dscnt 0x0
	v_dual_mov_b32 v3, v5 :: v_dual_mov_b32 v4, v6
                                        ; implicit-def: $vgpr5_vgpr6
	s_cmp_lg_u32 vcc_lo, exec_lo
	s_cbranch_scc1 .LBB2202_69
; %bb.71:                               ;   in Loop: Header=BB2202_70 Depth=1
	v_lshlrev_b64_e32 v[5:6], 4, v[21:22]
	s_mov_b32 s4, exec_lo
	s_delay_alu instid0(VALU_DEP_1) | instskip(SKIP_1) | instid1(VALU_DEP_2)
	v_add_co_u32 v23, vcc_lo, s12, v5
	s_wait_alu 0xfffd
	v_add_co_ci_u32_e64 v24, null, s13, v6, vcc_lo
	;;#ASMSTART
	global_load_b128 v[5:8], v[23:24] off scope:SCOPE_DEV	
s_wait_loadcnt 0x0
	;;#ASMEND
	v_and_b32_e32 v8, 0xff, v7
	s_delay_alu instid0(VALU_DEP_1)
	v_cmpx_eq_u16_e32 0, v8
	s_cbranch_execz .LBB2202_75
; %bb.72:                               ;   in Loop: Header=BB2202_70 Depth=1
	s_mov_b32 s5, 0
.LBB2202_73:                            ;   Parent Loop BB2202_70 Depth=1
                                        ; =>  This Inner Loop Header: Depth=2
	;;#ASMSTART
	global_load_b128 v[5:8], v[23:24] off scope:SCOPE_DEV	
s_wait_loadcnt 0x0
	;;#ASMEND
	v_and_b32_e32 v8, 0xff, v7
	s_delay_alu instid0(VALU_DEP_1)
	v_cmp_ne_u16_e32 vcc_lo, 0, v8
	s_wait_alu 0xfffe
	s_or_b32 s5, vcc_lo, s5
	s_wait_alu 0xfffe
	s_and_not1_b32 exec_lo, exec_lo, s5
	s_cbranch_execnz .LBB2202_73
; %bb.74:                               ;   in Loop: Header=BB2202_70 Depth=1
	s_or_b32 exec_lo, exec_lo, s5
.LBB2202_75:                            ;   in Loop: Header=BB2202_70 Depth=1
	s_wait_alu 0xfffe
	s_or_b32 exec_lo, exec_lo, s4
	v_dual_mov_b32 v23, v5 :: v_dual_and_b32 v8, 0xff, v7
	ds_bpermute_b32 v49, v39, v5
	ds_bpermute_b32 v24, v39, v6
	s_mov_b32 s4, exec_lo
	v_cmp_eq_u16_e32 vcc_lo, 2, v8
	s_wait_alu 0xfffd
	v_and_or_b32 v8, vcc_lo, v40, 0x80000000
	s_delay_alu instid0(VALU_DEP_1) | instskip(NEXT) | instid1(VALU_DEP_1)
	v_ctz_i32_b32_e32 v8, v8
	v_cmpx_lt_u32_e64 v36, v8
	s_cbranch_execz .LBB2202_77
; %bb.76:                               ;   in Loop: Header=BB2202_70 Depth=1
	s_wait_dscnt 0x1
	v_add_co_u32 v23, vcc_lo, v5, v49
	s_wait_alu 0xfffd
	v_add_co_ci_u32_e64 v6, null, 0, v6, vcc_lo
	s_delay_alu instid0(VALU_DEP_2) | instskip(SKIP_2) | instid1(VALU_DEP_2)
	v_add_co_u32 v5, vcc_lo, 0, v23
	s_wait_dscnt 0x0
	s_wait_alu 0xfffd
	v_add_co_ci_u32_e64 v6, null, v24, v6, vcc_lo
.LBB2202_77:                            ;   in Loop: Header=BB2202_70 Depth=1
	s_wait_alu 0xfffe
	s_or_b32 exec_lo, exec_lo, s4
	s_wait_dscnt 0x1
	ds_bpermute_b32 v49, v41, v23
	s_wait_dscnt 0x1
	ds_bpermute_b32 v24, v41, v6
	s_mov_b32 s4, exec_lo
	v_cmpx_le_u32_e64 v42, v8
	s_cbranch_execz .LBB2202_79
; %bb.78:                               ;   in Loop: Header=BB2202_70 Depth=1
	s_wait_dscnt 0x1
	v_add_co_u32 v23, vcc_lo, v5, v49
	s_wait_alu 0xfffd
	v_add_co_ci_u32_e64 v6, null, 0, v6, vcc_lo
	s_delay_alu instid0(VALU_DEP_2) | instskip(SKIP_2) | instid1(VALU_DEP_2)
	v_add_co_u32 v5, vcc_lo, 0, v23
	s_wait_dscnt 0x0
	s_wait_alu 0xfffd
	v_add_co_ci_u32_e64 v6, null, v24, v6, vcc_lo
.LBB2202_79:                            ;   in Loop: Header=BB2202_70 Depth=1
	s_wait_alu 0xfffe
	s_or_b32 exec_lo, exec_lo, s4
	s_wait_dscnt 0x1
	ds_bpermute_b32 v49, v43, v23
	s_wait_dscnt 0x1
	ds_bpermute_b32 v24, v43, v6
	s_mov_b32 s4, exec_lo
	v_cmpx_le_u32_e64 v44, v8
	s_cbranch_execz .LBB2202_81
; %bb.80:                               ;   in Loop: Header=BB2202_70 Depth=1
	s_wait_dscnt 0x1
	v_add_co_u32 v23, vcc_lo, v5, v49
	s_wait_alu 0xfffd
	v_add_co_ci_u32_e64 v6, null, 0, v6, vcc_lo
	s_delay_alu instid0(VALU_DEP_2) | instskip(SKIP_2) | instid1(VALU_DEP_2)
	v_add_co_u32 v5, vcc_lo, 0, v23
	s_wait_dscnt 0x0
	s_wait_alu 0xfffd
	v_add_co_ci_u32_e64 v6, null, v24, v6, vcc_lo
.LBB2202_81:                            ;   in Loop: Header=BB2202_70 Depth=1
	s_wait_alu 0xfffe
	s_or_b32 exec_lo, exec_lo, s4
	s_wait_dscnt 0x1
	ds_bpermute_b32 v49, v45, v23
	s_wait_dscnt 0x1
	ds_bpermute_b32 v24, v45, v6
	s_mov_b32 s4, exec_lo
	v_cmpx_le_u32_e64 v46, v8
	s_cbranch_execz .LBB2202_83
; %bb.82:                               ;   in Loop: Header=BB2202_70 Depth=1
	s_wait_dscnt 0x1
	v_add_co_u32 v23, vcc_lo, v5, v49
	s_wait_alu 0xfffd
	v_add_co_ci_u32_e64 v6, null, 0, v6, vcc_lo
	s_delay_alu instid0(VALU_DEP_2) | instskip(SKIP_2) | instid1(VALU_DEP_2)
	v_add_co_u32 v5, vcc_lo, 0, v23
	s_wait_dscnt 0x0
	s_wait_alu 0xfffd
	v_add_co_ci_u32_e64 v6, null, v24, v6, vcc_lo
.LBB2202_83:                            ;   in Loop: Header=BB2202_70 Depth=1
	s_wait_alu 0xfffe
	s_or_b32 exec_lo, exec_lo, s4
	s_wait_dscnt 0x0
	ds_bpermute_b32 v24, v47, v23
	ds_bpermute_b32 v23, v47, v6
	s_mov_b32 s4, exec_lo
	v_cmpx_le_u32_e64 v48, v8
	s_cbranch_execz .LBB2202_68
; %bb.84:                               ;   in Loop: Header=BB2202_70 Depth=1
	s_wait_dscnt 0x1
	v_add_co_u32 v5, vcc_lo, v5, v24
	s_wait_alu 0xfffd
	v_add_co_ci_u32_e64 v6, null, 0, v6, vcc_lo
	s_delay_alu instid0(VALU_DEP_2) | instskip(SKIP_2) | instid1(VALU_DEP_2)
	v_add_co_u32 v5, vcc_lo, v5, 0
	s_wait_dscnt 0x0
	s_wait_alu 0xfffd
	v_add_co_ci_u32_e64 v6, null, v6, v23, vcc_lo
	s_branch .LBB2202_68
.LBB2202_85:
                                        ; implicit-def: $vgpr19_vgpr20
                                        ; implicit-def: $vgpr7_vgpr8
                                        ; implicit-def: $vgpr5_vgpr6
                                        ; implicit-def: $vgpr3_vgpr4
                                        ; implicit-def: $vgpr20_vgpr21
                                        ; implicit-def: $vgpr21_vgpr22
                                        ; implicit-def: $vgpr22_vgpr23
                                        ; implicit-def: $vgpr23_vgpr24
	s_wait_alu 0xfffe
	s_and_b32 vcc_lo, exec_lo, s1
	s_wait_alu 0xfffe
	s_cbranch_vccnz .LBB2202_91
	s_branch .LBB2202_118
.LBB2202_86:
	s_and_saveexec_b32 s4, s1
	s_cbranch_execz .LBB2202_88
; %bb.87:
	s_add_co_i32 s14, s11, 32
	s_mov_b32 s15, 0
	v_add_co_u32 v5, vcc_lo, v3, v1
	s_wait_alu 0xfffe
	s_lshl_b64 s[14:15], s[14:15], 4
	v_dual_mov_b32 v7, 2 :: v_dual_mov_b32 v8, 0
	s_wait_alu 0xfffe
	s_add_nc_u64 s[14:15], s[12:13], s[14:15]
	s_wait_alu 0xfffd
	v_add_co_ci_u32_e64 v6, null, v4, v2, vcc_lo
	s_wait_alu 0xfffe
	v_dual_mov_b32 v22, s15 :: v_dual_mov_b32 v21, s14
	;;#ASMSTART
	global_store_b128 v[21:22], v[5:8] off scope:SCOPE_DEV	
s_wait_storecnt 0x0
	;;#ASMEND
	ds_store_b128 v8, v[1:4] offset:10752
.LBB2202_88:
	s_wait_alu 0xfffe
	s_or_b32 exec_lo, exec_lo, s4
	s_delay_alu instid0(SALU_CYCLE_1)
	s_and_b32 exec_lo, exec_lo, s2
; %bb.89:
	v_mov_b32_e32 v1, 0
	ds_store_b64 v1, v[3:4] offset:88
.LBB2202_90:
	s_wait_alu 0xfffe
	s_or_b32 exec_lo, exec_lo, s3
	v_mov_b32_e32 v3, 0
	s_wait_loadcnt_dscnt 0x0
	s_barrier_signal -1
	s_barrier_wait -1
	global_inv scope:SCOPE_SE
	ds_load_b64 v[1:2], v3 offset:88
	v_cndmask_b32_e64 v4, v38, v19, s1
	v_cndmask_b32_e64 v5, 0, v20, s1
	s_wait_loadcnt_dscnt 0x0
	s_barrier_signal -1
	s_barrier_wait -1
	v_cndmask_b32_e64 v4, v4, 0, s2
	v_cndmask_b32_e64 v5, v5, 0, s2
	global_inv scope:SCOPE_SE
	v_add_co_u32 v23, vcc_lo, v1, v4
	s_wait_alu 0xfffd
	v_add_co_ci_u32_e64 v1, null, v2, v5, vcc_lo
	s_delay_alu instid0(VALU_DEP_2) | instskip(SKIP_1) | instid1(VALU_DEP_2)
	v_add_co_u32 v22, vcc_lo, v23, v33
	s_wait_alu 0xfffd
	v_add_co_ci_u32_e64 v1, null, 0, v1, vcc_lo
	s_delay_alu instid0(VALU_DEP_2) | instskip(SKIP_1) | instid1(VALU_DEP_2)
	v_add_co_u32 v21, vcc_lo, v22, v32
	s_wait_alu 0xfffd
	v_add_co_ci_u32_e64 v5, null, 0, v1, vcc_lo
	ds_load_b128 v[1:4], v3 offset:10752
	v_add_co_u32 v20, vcc_lo, v21, v35
	s_wait_alu 0xfffd
	v_add_co_ci_u32_e64 v5, null, 0, v5, vcc_lo
	s_delay_alu instid0(VALU_DEP_2) | instskip(SKIP_1) | instid1(VALU_DEP_2)
	v_add_co_u32 v19, vcc_lo, v20, v30
	s_wait_alu 0xfffd
	v_add_co_ci_u32_e64 v6, null, 0, v5, vcc_lo
	s_delay_alu instid0(VALU_DEP_2) | instskip(SKIP_1) | instid1(VALU_DEP_2)
	;; [unrolled: 4-line block ×3, first 2 shown]
	v_add_co_u32 v7, vcc_lo, v5, v31
	s_wait_alu 0xfffd
	v_add_co_ci_u32_e64 v6, null, 0, v6, vcc_lo
	s_branch .LBB2202_118
.LBB2202_91:
	s_wait_dscnt 0x0
	v_dual_mov_b32 v2, 0 :: v_dual_mov_b32 v3, v17
	v_mov_b32_dpp v4, v17 row_shr:1 row_mask:0xf bank_mask:0xf
	s_delay_alu instid0(VALU_DEP_2)
	v_mov_b32_dpp v1, v2 row_shr:1 row_mask:0xf bank_mask:0xf
	s_and_saveexec_b32 s1, s0
; %bb.92:
	s_delay_alu instid0(VALU_DEP_2) | instskip(SKIP_2) | instid1(VALU_DEP_2)
	v_add_co_u32 v3, vcc_lo, v17, v4
	s_wait_alu 0xfffd
	v_add_co_ci_u32_e64 v2, null, 0, v18, vcc_lo
	v_add_co_u32 v17, vcc_lo, 0, v3
	s_wait_alu 0xfffd
	s_delay_alu instid0(VALU_DEP_2) | instskip(NEXT) | instid1(VALU_DEP_1)
	v_add_co_ci_u32_e64 v18, null, v1, v2, vcc_lo
	v_mov_b32_e32 v2, v18
; %bb.93:
	s_wait_alu 0xfffe
	s_or_b32 exec_lo, exec_lo, s1
	v_mov_b32_dpp v1, v3 row_shr:2 row_mask:0xf bank_mask:0xf
	s_delay_alu instid0(VALU_DEP_2)
	v_mov_b32_dpp v4, v2 row_shr:2 row_mask:0xf bank_mask:0xf
	v_cmp_lt_u32_e32 vcc_lo, 1, v37
	s_and_saveexec_b32 s3, vcc_lo
; %bb.94:
	s_delay_alu instid0(VALU_DEP_3) | instskip(SKIP_2) | instid1(VALU_DEP_2)
	v_add_co_u32 v3, s1, v17, v1
	s_wait_alu 0xf1ff
	v_add_co_ci_u32_e64 v2, null, 0, v18, s1
	v_add_co_u32 v1, s1, 0, v3
	s_wait_alu 0xf1ff
	s_delay_alu instid0(VALU_DEP_2) | instskip(NEXT) | instid1(VALU_DEP_1)
	v_add_co_ci_u32_e64 v2, null, v4, v2, s1
	v_dual_mov_b32 v18, v2 :: v_dual_mov_b32 v17, v1
; %bb.95:
	s_wait_alu 0xfffe
	s_or_b32 exec_lo, exec_lo, s3
	v_mov_b32_dpp v1, v3 row_shr:4 row_mask:0xf bank_mask:0xf
	v_mov_b32_dpp v4, v2 row_shr:4 row_mask:0xf bank_mask:0xf
	v_cmp_lt_u32_e64 s1, 3, v37
	s_and_saveexec_b32 s4, s1
; %bb.96:
	v_add_co_u32 v3, s3, v17, v1
	s_wait_alu 0xf1ff
	v_add_co_ci_u32_e64 v2, null, 0, v18, s3
	s_delay_alu instid0(VALU_DEP_2) | instskip(SKIP_1) | instid1(VALU_DEP_2)
	v_add_co_u32 v1, s3, 0, v3
	s_wait_alu 0xf1ff
	v_add_co_ci_u32_e64 v2, null, v4, v2, s3
	s_delay_alu instid0(VALU_DEP_1)
	v_dual_mov_b32 v18, v2 :: v_dual_mov_b32 v17, v1
; %bb.97:
	s_wait_alu 0xfffe
	s_or_b32 exec_lo, exec_lo, s4
	v_mov_b32_dpp v4, v3 row_shr:8 row_mask:0xf bank_mask:0xf
	v_mov_b32_dpp v1, v2 row_shr:8 row_mask:0xf bank_mask:0xf
	v_cmp_lt_u32_e64 s3, 7, v37
	s_and_saveexec_b32 s5, s3
; %bb.98:
	v_add_co_u32 v3, s4, v17, v4
	s_wait_alu 0xf1ff
	v_add_co_ci_u32_e64 v2, null, 0, v18, s4
	s_delay_alu instid0(VALU_DEP_2) | instskip(SKIP_1) | instid1(VALU_DEP_2)
	v_add_co_u32 v17, s4, 0, v3
	s_wait_alu 0xf1ff
	v_add_co_ci_u32_e64 v18, null, v1, v2, s4
	s_delay_alu instid0(VALU_DEP_1)
	v_mov_b32_e32 v2, v18
; %bb.99:
	s_wait_alu 0xfffe
	s_or_b32 exec_lo, exec_lo, s5
	ds_swizzle_b32 v3, v3 offset:swizzle(BROADCAST,32,15)
	ds_swizzle_b32 v1, v2 offset:swizzle(BROADCAST,32,15)
	v_and_b32_e32 v2, 16, v36
	s_mov_b32 s5, exec_lo
	s_delay_alu instid0(VALU_DEP_1)
	v_cmpx_ne_u32_e32 0, v2
	s_cbranch_execz .LBB2202_101
; %bb.100:
	s_wait_dscnt 0x1
	v_add_co_u32 v2, s4, v17, v3
	s_wait_alu 0xf1ff
	v_add_co_ci_u32_e64 v3, null, 0, v18, s4
	s_delay_alu instid0(VALU_DEP_2) | instskip(SKIP_2) | instid1(VALU_DEP_2)
	v_add_co_u32 v17, s4, v2, 0
	s_wait_dscnt 0x0
	s_wait_alu 0xf1ff
	v_add_co_ci_u32_e64 v18, null, v3, v1, s4
.LBB2202_101:
	s_wait_alu 0xfffe
	s_or_b32 exec_lo, exec_lo, s5
	s_wait_dscnt 0x0
	v_and_b32_e32 v1, 0x1e0, v0
	v_lshrrev_b32_e32 v3, 5, v0
	s_mov_b32 s5, exec_lo
	s_delay_alu instid0(VALU_DEP_2) | instskip(NEXT) | instid1(VALU_DEP_1)
	v_min_u32_e32 v1, 0x160, v1
	v_or_b32_e32 v1, 31, v1
	s_delay_alu instid0(VALU_DEP_1)
	v_cmpx_eq_u32_e64 v0, v1
; %bb.102:
	v_lshlrev_b32_e32 v1, 3, v3
	ds_store_b64 v1, v[17:18]
; %bb.103:
	s_wait_alu 0xfffe
	s_or_b32 exec_lo, exec_lo, s5
	s_delay_alu instid0(SALU_CYCLE_1)
	s_mov_b32 s5, exec_lo
	s_wait_loadcnt_dscnt 0x0
	s_barrier_signal -1
	s_barrier_wait -1
	global_inv scope:SCOPE_SE
	v_cmpx_gt_u32_e32 12, v0
	s_cbranch_execz .LBB2202_113
; %bb.104:
	v_mad_i32_i24 v1, 0xffffffec, v0, v29
	ds_load_b64 v[1:2], v1
	s_wait_dscnt 0x0
	v_mov_b32_dpp v6, v1 row_shr:1 row_mask:0xf bank_mask:0xf
	v_mov_b32_dpp v5, v2 row_shr:1 row_mask:0xf bank_mask:0xf
	v_mov_b32_e32 v4, v1
	s_and_saveexec_b32 s4, s0
; %bb.105:
	s_delay_alu instid0(VALU_DEP_3) | instskip(SKIP_2) | instid1(VALU_DEP_2)
	v_add_co_u32 v4, s0, v1, v6
	s_wait_alu 0xf1ff
	v_add_co_ci_u32_e64 v2, null, 0, v2, s0
	v_add_co_u32 v1, s0, 0, v4
	s_wait_alu 0xf1ff
	s_delay_alu instid0(VALU_DEP_2)
	v_add_co_ci_u32_e64 v2, null, v5, v2, s0
; %bb.106:
	s_wait_alu 0xfffe
	s_or_b32 exec_lo, exec_lo, s4
	v_mov_b32_dpp v6, v4 row_shr:2 row_mask:0xf bank_mask:0xf
	s_delay_alu instid0(VALU_DEP_2)
	v_mov_b32_dpp v5, v2 row_shr:2 row_mask:0xf bank_mask:0xf
	s_and_saveexec_b32 s0, vcc_lo
; %bb.107:
	s_delay_alu instid0(VALU_DEP_2) | instskip(SKIP_2) | instid1(VALU_DEP_2)
	v_add_co_u32 v4, vcc_lo, v1, v6
	s_wait_alu 0xfffd
	v_add_co_ci_u32_e64 v2, null, 0, v2, vcc_lo
	v_add_co_u32 v1, vcc_lo, 0, v4
	s_wait_alu 0xfffd
	s_delay_alu instid0(VALU_DEP_2)
	v_add_co_ci_u32_e64 v2, null, v5, v2, vcc_lo
; %bb.108:
	s_wait_alu 0xfffe
	s_or_b32 exec_lo, exec_lo, s0
	v_mov_b32_dpp v6, v4 row_shr:4 row_mask:0xf bank_mask:0xf
	s_delay_alu instid0(VALU_DEP_2)
	v_mov_b32_dpp v5, v2 row_shr:4 row_mask:0xf bank_mask:0xf
	s_and_saveexec_b32 s0, s1
; %bb.109:
	s_delay_alu instid0(VALU_DEP_2) | instskip(SKIP_2) | instid1(VALU_DEP_2)
	v_add_co_u32 v4, vcc_lo, v1, v6
	s_wait_alu 0xfffd
	v_add_co_ci_u32_e64 v2, null, 0, v2, vcc_lo
	v_add_co_u32 v1, vcc_lo, 0, v4
	s_wait_alu 0xfffd
	s_delay_alu instid0(VALU_DEP_2)
	v_add_co_ci_u32_e64 v2, null, v5, v2, vcc_lo
; %bb.110:
	s_wait_alu 0xfffe
	s_or_b32 exec_lo, exec_lo, s0
	v_mul_i32_i24_e32 v5, 0xffffffec, v0
	v_mov_b32_dpp v6, v4 row_shr:8 row_mask:0xf bank_mask:0xf
	v_mov_b32_dpp v4, v2 row_shr:8 row_mask:0xf bank_mask:0xf
	s_and_saveexec_b32 s0, s3
; %bb.111:
	s_delay_alu instid0(VALU_DEP_2) | instskip(SKIP_2) | instid1(VALU_DEP_2)
	v_add_co_u32 v1, vcc_lo, v1, v6
	s_wait_alu 0xfffd
	v_add_co_ci_u32_e64 v2, null, 0, v2, vcc_lo
	v_add_co_u32 v1, vcc_lo, v1, 0
	s_wait_alu 0xfffd
	s_delay_alu instid0(VALU_DEP_2)
	v_add_co_ci_u32_e64 v2, null, v2, v4, vcc_lo
; %bb.112:
	s_wait_alu 0xfffe
	s_or_b32 exec_lo, exec_lo, s0
	v_add_nc_u32_e32 v4, v29, v5
	ds_store_b64 v4, v[1:2]
.LBB2202_113:
	s_wait_alu 0xfffe
	s_or_b32 exec_lo, exec_lo, s5
	v_mov_b32_e32 v5, 0
	v_mov_b32_e32 v6, 0
	s_mov_b32 s0, exec_lo
	s_wait_loadcnt_dscnt 0x0
	s_barrier_signal -1
	s_barrier_wait -1
	global_inv scope:SCOPE_SE
	v_cmpx_lt_u32_e32 31, v0
; %bb.114:
	v_lshl_add_u32 v0, v3, 3, -8
	ds_load_b64 v[5:6], v0
; %bb.115:
	s_wait_alu 0xfffe
	s_or_b32 exec_lo, exec_lo, s0
	v_sub_co_u32 v0, vcc_lo, v36, 1
	s_wait_dscnt 0x0
	v_dual_mov_b32 v4, 0 :: v_dual_add_nc_u32 v1, v5, v17
	s_delay_alu instid0(VALU_DEP_2) | instskip(SKIP_1) | instid1(VALU_DEP_1)
	v_cmp_gt_i32_e64 s0, 0, v0
	s_wait_alu 0xf1ff
	v_cndmask_b32_e64 v0, v0, v36, s0
	s_delay_alu instid0(VALU_DEP_1)
	v_lshlrev_b32_e32 v0, 2, v0
	ds_bpermute_b32 v0, v0, v1
	ds_load_b64 v[1:2], v4 offset:88
	s_and_saveexec_b32 s0, s2
	s_cbranch_execz .LBB2202_117
; %bb.116:
	s_add_nc_u64 s[4:5], s[12:13], 0x200
	s_wait_alu 0xfffe
	v_dual_mov_b32 v3, 2 :: v_dual_mov_b32 v8, s5
	v_mov_b32_e32 v7, s4
	s_wait_dscnt 0x0
	;;#ASMSTART
	global_store_b128 v[7:8], v[1:4] off scope:SCOPE_DEV	
s_wait_storecnt 0x0
	;;#ASMEND
.LBB2202_117:
	s_wait_alu 0xfffe
	s_or_b32 exec_lo, exec_lo, s0
	s_wait_dscnt 0x1
	s_wait_alu 0xfffd
	v_dual_cndmask_b32 v0, v0, v5 :: v_dual_cndmask_b32 v3, 0, v6
	s_wait_loadcnt_dscnt 0x0
	s_barrier_signal -1
	s_barrier_wait -1
	s_delay_alu instid0(VALU_DEP_1)
	v_cndmask_b32_e64 v23, v0, 0, s2
	v_cndmask_b32_e64 v0, v3, 0, s2
	v_mov_b32_e32 v3, 0
	v_mov_b32_e32 v4, 0
	global_inv scope:SCOPE_SE
	v_add_co_u32 v22, vcc_lo, v23, v33
	s_wait_alu 0xfffd
	v_add_co_ci_u32_e64 v0, null, 0, v0, vcc_lo
	s_delay_alu instid0(VALU_DEP_2) | instskip(SKIP_1) | instid1(VALU_DEP_2)
	v_add_co_u32 v21, vcc_lo, v22, v32
	s_wait_alu 0xfffd
	v_add_co_ci_u32_e64 v0, null, 0, v0, vcc_lo
	s_delay_alu instid0(VALU_DEP_2) | instskip(SKIP_1) | instid1(VALU_DEP_2)
	;; [unrolled: 4-line block ×5, first 2 shown]
	v_add_co_u32 v7, vcc_lo, v5, v31
	s_wait_alu 0xfffd
	v_add_co_ci_u32_e64 v0, null, 0, v0, vcc_lo
.LBB2202_118:
	s_wait_dscnt 0x0
	v_cmp_gt_u64_e32 vcc_lo, 0x181, v[1:2]
	v_lshrrev_b32_e32 v6, 8, v28
	v_lshrrev_b32_e32 v0, 16, v28
	s_cbranch_vccz .LBB2202_121
; %bb.119:
	s_and_b32 s0, s2, s7
	s_wait_alu 0xfffe
	s_and_saveexec_b32 s1, s0
	s_cbranch_execnz .LBB2202_136
.LBB2202_120:
	s_endpgm
.LBB2202_121:
	v_and_b32_e32 v8, 1, v28
	s_mov_b32 s0, exec_lo
	s_delay_alu instid0(VALU_DEP_1)
	v_cmpx_eq_u32_e32 1, v8
; %bb.122:
	v_sub_nc_u32_e32 v8, v23, v3
	s_delay_alu instid0(VALU_DEP_1)
	v_lshlrev_b32_e32 v8, 2, v8
	ds_store_b32 v8, v15
; %bb.123:
	s_wait_alu 0xfffe
	s_or_b32 exec_lo, exec_lo, s0
	v_and_b32_e32 v6, 1, v6
	s_mov_b32 s0, exec_lo
	s_delay_alu instid0(VALU_DEP_1)
	v_cmpx_eq_u32_e32 1, v6
; %bb.124:
	v_sub_nc_u32_e32 v6, v22, v3
	s_delay_alu instid0(VALU_DEP_1)
	v_lshlrev_b32_e32 v6, 2, v6
	ds_store_b32 v6, v16
; %bb.125:
	s_wait_alu 0xfffe
	s_or_b32 exec_lo, exec_lo, s0
	;; [unrolled: 12-line block ×6, first 2 shown]
	s_and_saveexec_b32 s0, s10
; %bb.134:
	v_sub_nc_u32_e32 v0, v7, v3
	s_delay_alu instid0(VALU_DEP_1)
	v_lshlrev_b32_e32 v0, 2, v0
	ds_store_b32 v0, v25
; %bb.135:
	s_wait_alu 0xfffe
	s_or_b32 exec_lo, exec_lo, s0
	s_wait_loadcnt_dscnt 0x0
	s_barrier_signal -1
	s_barrier_wait -1
	global_inv scope:SCOPE_SE
	s_and_b32 s0, s2, s7
	s_wait_alu 0xfffe
	s_and_saveexec_b32 s1, s0
	s_cbranch_execz .LBB2202_120
.LBB2202_136:
	v_add_co_u32 v0, vcc_lo, v1, v9
	s_wait_alu 0xfffd
	v_add_co_ci_u32_e64 v1, null, v2, v10, vcc_lo
	v_mov_b32_e32 v2, 0
	s_delay_alu instid0(VALU_DEP_3) | instskip(SKIP_1) | instid1(VALU_DEP_3)
	v_add_co_u32 v0, vcc_lo, v0, v3
	s_wait_alu 0xfffd
	v_add_co_ci_u32_e64 v1, null, v1, v4, vcc_lo
	global_store_b64 v2, v[0:1], s[8:9]
	s_endpgm
	.section	.rodata,"a",@progbits
	.p2align	6, 0x0
	.amdhsa_kernel _ZN7rocprim17ROCPRIM_400000_NS6detail17trampoline_kernelINS0_14default_configENS1_25partition_config_selectorILNS1_17partition_subalgoE6EjNS0_10empty_typeEbEEZZNS1_14partition_implILS5_6ELb0ES3_mN6thrust23THRUST_200600_302600_NS6detail15normal_iteratorINSA_10device_ptrIjEEEEPS6_SG_NS0_5tupleIJNSA_16discard_iteratorINSA_11use_defaultEEES6_EEENSH_IJSG_SG_EEES6_PlJNSB_9not_fun_tI7is_trueIjEEEEEE10hipError_tPvRmT3_T4_T5_T6_T7_T9_mT8_P12ihipStream_tbDpT10_ENKUlT_T0_E_clISt17integral_constantIbLb0EES1A_IbLb1EEEEDaS16_S17_EUlS16_E_NS1_11comp_targetILNS1_3genE10ELNS1_11target_archE1200ELNS1_3gpuE4ELNS1_3repE0EEENS1_30default_config_static_selectorELNS0_4arch9wavefront6targetE0EEEvT1_
		.amdhsa_group_segment_fixed_size 10768
		.amdhsa_private_segment_fixed_size 0
		.amdhsa_kernarg_size 136
		.amdhsa_user_sgpr_count 2
		.amdhsa_user_sgpr_dispatch_ptr 0
		.amdhsa_user_sgpr_queue_ptr 0
		.amdhsa_user_sgpr_kernarg_segment_ptr 1
		.amdhsa_user_sgpr_dispatch_id 0
		.amdhsa_user_sgpr_private_segment_size 0
		.amdhsa_wavefront_size32 1
		.amdhsa_uses_dynamic_stack 0
		.amdhsa_enable_private_segment 0
		.amdhsa_system_sgpr_workgroup_id_x 1
		.amdhsa_system_sgpr_workgroup_id_y 0
		.amdhsa_system_sgpr_workgroup_id_z 0
		.amdhsa_system_sgpr_workgroup_info 0
		.amdhsa_system_vgpr_workitem_id 0
		.amdhsa_next_free_vgpr 50
		.amdhsa_next_free_sgpr 18
		.amdhsa_reserve_vcc 1
		.amdhsa_float_round_mode_32 0
		.amdhsa_float_round_mode_16_64 0
		.amdhsa_float_denorm_mode_32 3
		.amdhsa_float_denorm_mode_16_64 3
		.amdhsa_fp16_overflow 0
		.amdhsa_workgroup_processor_mode 1
		.amdhsa_memory_ordered 1
		.amdhsa_forward_progress 1
		.amdhsa_inst_pref_size 53
		.amdhsa_round_robin_scheduling 0
		.amdhsa_exception_fp_ieee_invalid_op 0
		.amdhsa_exception_fp_denorm_src 0
		.amdhsa_exception_fp_ieee_div_zero 0
		.amdhsa_exception_fp_ieee_overflow 0
		.amdhsa_exception_fp_ieee_underflow 0
		.amdhsa_exception_fp_ieee_inexact 0
		.amdhsa_exception_int_div_zero 0
	.end_amdhsa_kernel
	.section	.text._ZN7rocprim17ROCPRIM_400000_NS6detail17trampoline_kernelINS0_14default_configENS1_25partition_config_selectorILNS1_17partition_subalgoE6EjNS0_10empty_typeEbEEZZNS1_14partition_implILS5_6ELb0ES3_mN6thrust23THRUST_200600_302600_NS6detail15normal_iteratorINSA_10device_ptrIjEEEEPS6_SG_NS0_5tupleIJNSA_16discard_iteratorINSA_11use_defaultEEES6_EEENSH_IJSG_SG_EEES6_PlJNSB_9not_fun_tI7is_trueIjEEEEEE10hipError_tPvRmT3_T4_T5_T6_T7_T9_mT8_P12ihipStream_tbDpT10_ENKUlT_T0_E_clISt17integral_constantIbLb0EES1A_IbLb1EEEEDaS16_S17_EUlS16_E_NS1_11comp_targetILNS1_3genE10ELNS1_11target_archE1200ELNS1_3gpuE4ELNS1_3repE0EEENS1_30default_config_static_selectorELNS0_4arch9wavefront6targetE0EEEvT1_,"axG",@progbits,_ZN7rocprim17ROCPRIM_400000_NS6detail17trampoline_kernelINS0_14default_configENS1_25partition_config_selectorILNS1_17partition_subalgoE6EjNS0_10empty_typeEbEEZZNS1_14partition_implILS5_6ELb0ES3_mN6thrust23THRUST_200600_302600_NS6detail15normal_iteratorINSA_10device_ptrIjEEEEPS6_SG_NS0_5tupleIJNSA_16discard_iteratorINSA_11use_defaultEEES6_EEENSH_IJSG_SG_EEES6_PlJNSB_9not_fun_tI7is_trueIjEEEEEE10hipError_tPvRmT3_T4_T5_T6_T7_T9_mT8_P12ihipStream_tbDpT10_ENKUlT_T0_E_clISt17integral_constantIbLb0EES1A_IbLb1EEEEDaS16_S17_EUlS16_E_NS1_11comp_targetILNS1_3genE10ELNS1_11target_archE1200ELNS1_3gpuE4ELNS1_3repE0EEENS1_30default_config_static_selectorELNS0_4arch9wavefront6targetE0EEEvT1_,comdat
.Lfunc_end2202:
	.size	_ZN7rocprim17ROCPRIM_400000_NS6detail17trampoline_kernelINS0_14default_configENS1_25partition_config_selectorILNS1_17partition_subalgoE6EjNS0_10empty_typeEbEEZZNS1_14partition_implILS5_6ELb0ES3_mN6thrust23THRUST_200600_302600_NS6detail15normal_iteratorINSA_10device_ptrIjEEEEPS6_SG_NS0_5tupleIJNSA_16discard_iteratorINSA_11use_defaultEEES6_EEENSH_IJSG_SG_EEES6_PlJNSB_9not_fun_tI7is_trueIjEEEEEE10hipError_tPvRmT3_T4_T5_T6_T7_T9_mT8_P12ihipStream_tbDpT10_ENKUlT_T0_E_clISt17integral_constantIbLb0EES1A_IbLb1EEEEDaS16_S17_EUlS16_E_NS1_11comp_targetILNS1_3genE10ELNS1_11target_archE1200ELNS1_3gpuE4ELNS1_3repE0EEENS1_30default_config_static_selectorELNS0_4arch9wavefront6targetE0EEEvT1_, .Lfunc_end2202-_ZN7rocprim17ROCPRIM_400000_NS6detail17trampoline_kernelINS0_14default_configENS1_25partition_config_selectorILNS1_17partition_subalgoE6EjNS0_10empty_typeEbEEZZNS1_14partition_implILS5_6ELb0ES3_mN6thrust23THRUST_200600_302600_NS6detail15normal_iteratorINSA_10device_ptrIjEEEEPS6_SG_NS0_5tupleIJNSA_16discard_iteratorINSA_11use_defaultEEES6_EEENSH_IJSG_SG_EEES6_PlJNSB_9not_fun_tI7is_trueIjEEEEEE10hipError_tPvRmT3_T4_T5_T6_T7_T9_mT8_P12ihipStream_tbDpT10_ENKUlT_T0_E_clISt17integral_constantIbLb0EES1A_IbLb1EEEEDaS16_S17_EUlS16_E_NS1_11comp_targetILNS1_3genE10ELNS1_11target_archE1200ELNS1_3gpuE4ELNS1_3repE0EEENS1_30default_config_static_selectorELNS0_4arch9wavefront6targetE0EEEvT1_
                                        ; -- End function
	.set _ZN7rocprim17ROCPRIM_400000_NS6detail17trampoline_kernelINS0_14default_configENS1_25partition_config_selectorILNS1_17partition_subalgoE6EjNS0_10empty_typeEbEEZZNS1_14partition_implILS5_6ELb0ES3_mN6thrust23THRUST_200600_302600_NS6detail15normal_iteratorINSA_10device_ptrIjEEEEPS6_SG_NS0_5tupleIJNSA_16discard_iteratorINSA_11use_defaultEEES6_EEENSH_IJSG_SG_EEES6_PlJNSB_9not_fun_tI7is_trueIjEEEEEE10hipError_tPvRmT3_T4_T5_T6_T7_T9_mT8_P12ihipStream_tbDpT10_ENKUlT_T0_E_clISt17integral_constantIbLb0EES1A_IbLb1EEEEDaS16_S17_EUlS16_E_NS1_11comp_targetILNS1_3genE10ELNS1_11target_archE1200ELNS1_3gpuE4ELNS1_3repE0EEENS1_30default_config_static_selectorELNS0_4arch9wavefront6targetE0EEEvT1_.num_vgpr, 50
	.set _ZN7rocprim17ROCPRIM_400000_NS6detail17trampoline_kernelINS0_14default_configENS1_25partition_config_selectorILNS1_17partition_subalgoE6EjNS0_10empty_typeEbEEZZNS1_14partition_implILS5_6ELb0ES3_mN6thrust23THRUST_200600_302600_NS6detail15normal_iteratorINSA_10device_ptrIjEEEEPS6_SG_NS0_5tupleIJNSA_16discard_iteratorINSA_11use_defaultEEES6_EEENSH_IJSG_SG_EEES6_PlJNSB_9not_fun_tI7is_trueIjEEEEEE10hipError_tPvRmT3_T4_T5_T6_T7_T9_mT8_P12ihipStream_tbDpT10_ENKUlT_T0_E_clISt17integral_constantIbLb0EES1A_IbLb1EEEEDaS16_S17_EUlS16_E_NS1_11comp_targetILNS1_3genE10ELNS1_11target_archE1200ELNS1_3gpuE4ELNS1_3repE0EEENS1_30default_config_static_selectorELNS0_4arch9wavefront6targetE0EEEvT1_.num_agpr, 0
	.set _ZN7rocprim17ROCPRIM_400000_NS6detail17trampoline_kernelINS0_14default_configENS1_25partition_config_selectorILNS1_17partition_subalgoE6EjNS0_10empty_typeEbEEZZNS1_14partition_implILS5_6ELb0ES3_mN6thrust23THRUST_200600_302600_NS6detail15normal_iteratorINSA_10device_ptrIjEEEEPS6_SG_NS0_5tupleIJNSA_16discard_iteratorINSA_11use_defaultEEES6_EEENSH_IJSG_SG_EEES6_PlJNSB_9not_fun_tI7is_trueIjEEEEEE10hipError_tPvRmT3_T4_T5_T6_T7_T9_mT8_P12ihipStream_tbDpT10_ENKUlT_T0_E_clISt17integral_constantIbLb0EES1A_IbLb1EEEEDaS16_S17_EUlS16_E_NS1_11comp_targetILNS1_3genE10ELNS1_11target_archE1200ELNS1_3gpuE4ELNS1_3repE0EEENS1_30default_config_static_selectorELNS0_4arch9wavefront6targetE0EEEvT1_.numbered_sgpr, 18
	.set _ZN7rocprim17ROCPRIM_400000_NS6detail17trampoline_kernelINS0_14default_configENS1_25partition_config_selectorILNS1_17partition_subalgoE6EjNS0_10empty_typeEbEEZZNS1_14partition_implILS5_6ELb0ES3_mN6thrust23THRUST_200600_302600_NS6detail15normal_iteratorINSA_10device_ptrIjEEEEPS6_SG_NS0_5tupleIJNSA_16discard_iteratorINSA_11use_defaultEEES6_EEENSH_IJSG_SG_EEES6_PlJNSB_9not_fun_tI7is_trueIjEEEEEE10hipError_tPvRmT3_T4_T5_T6_T7_T9_mT8_P12ihipStream_tbDpT10_ENKUlT_T0_E_clISt17integral_constantIbLb0EES1A_IbLb1EEEEDaS16_S17_EUlS16_E_NS1_11comp_targetILNS1_3genE10ELNS1_11target_archE1200ELNS1_3gpuE4ELNS1_3repE0EEENS1_30default_config_static_selectorELNS0_4arch9wavefront6targetE0EEEvT1_.num_named_barrier, 0
	.set _ZN7rocprim17ROCPRIM_400000_NS6detail17trampoline_kernelINS0_14default_configENS1_25partition_config_selectorILNS1_17partition_subalgoE6EjNS0_10empty_typeEbEEZZNS1_14partition_implILS5_6ELb0ES3_mN6thrust23THRUST_200600_302600_NS6detail15normal_iteratorINSA_10device_ptrIjEEEEPS6_SG_NS0_5tupleIJNSA_16discard_iteratorINSA_11use_defaultEEES6_EEENSH_IJSG_SG_EEES6_PlJNSB_9not_fun_tI7is_trueIjEEEEEE10hipError_tPvRmT3_T4_T5_T6_T7_T9_mT8_P12ihipStream_tbDpT10_ENKUlT_T0_E_clISt17integral_constantIbLb0EES1A_IbLb1EEEEDaS16_S17_EUlS16_E_NS1_11comp_targetILNS1_3genE10ELNS1_11target_archE1200ELNS1_3gpuE4ELNS1_3repE0EEENS1_30default_config_static_selectorELNS0_4arch9wavefront6targetE0EEEvT1_.private_seg_size, 0
	.set _ZN7rocprim17ROCPRIM_400000_NS6detail17trampoline_kernelINS0_14default_configENS1_25partition_config_selectorILNS1_17partition_subalgoE6EjNS0_10empty_typeEbEEZZNS1_14partition_implILS5_6ELb0ES3_mN6thrust23THRUST_200600_302600_NS6detail15normal_iteratorINSA_10device_ptrIjEEEEPS6_SG_NS0_5tupleIJNSA_16discard_iteratorINSA_11use_defaultEEES6_EEENSH_IJSG_SG_EEES6_PlJNSB_9not_fun_tI7is_trueIjEEEEEE10hipError_tPvRmT3_T4_T5_T6_T7_T9_mT8_P12ihipStream_tbDpT10_ENKUlT_T0_E_clISt17integral_constantIbLb0EES1A_IbLb1EEEEDaS16_S17_EUlS16_E_NS1_11comp_targetILNS1_3genE10ELNS1_11target_archE1200ELNS1_3gpuE4ELNS1_3repE0EEENS1_30default_config_static_selectorELNS0_4arch9wavefront6targetE0EEEvT1_.uses_vcc, 1
	.set _ZN7rocprim17ROCPRIM_400000_NS6detail17trampoline_kernelINS0_14default_configENS1_25partition_config_selectorILNS1_17partition_subalgoE6EjNS0_10empty_typeEbEEZZNS1_14partition_implILS5_6ELb0ES3_mN6thrust23THRUST_200600_302600_NS6detail15normal_iteratorINSA_10device_ptrIjEEEEPS6_SG_NS0_5tupleIJNSA_16discard_iteratorINSA_11use_defaultEEES6_EEENSH_IJSG_SG_EEES6_PlJNSB_9not_fun_tI7is_trueIjEEEEEE10hipError_tPvRmT3_T4_T5_T6_T7_T9_mT8_P12ihipStream_tbDpT10_ENKUlT_T0_E_clISt17integral_constantIbLb0EES1A_IbLb1EEEEDaS16_S17_EUlS16_E_NS1_11comp_targetILNS1_3genE10ELNS1_11target_archE1200ELNS1_3gpuE4ELNS1_3repE0EEENS1_30default_config_static_selectorELNS0_4arch9wavefront6targetE0EEEvT1_.uses_flat_scratch, 1
	.set _ZN7rocprim17ROCPRIM_400000_NS6detail17trampoline_kernelINS0_14default_configENS1_25partition_config_selectorILNS1_17partition_subalgoE6EjNS0_10empty_typeEbEEZZNS1_14partition_implILS5_6ELb0ES3_mN6thrust23THRUST_200600_302600_NS6detail15normal_iteratorINSA_10device_ptrIjEEEEPS6_SG_NS0_5tupleIJNSA_16discard_iteratorINSA_11use_defaultEEES6_EEENSH_IJSG_SG_EEES6_PlJNSB_9not_fun_tI7is_trueIjEEEEEE10hipError_tPvRmT3_T4_T5_T6_T7_T9_mT8_P12ihipStream_tbDpT10_ENKUlT_T0_E_clISt17integral_constantIbLb0EES1A_IbLb1EEEEDaS16_S17_EUlS16_E_NS1_11comp_targetILNS1_3genE10ELNS1_11target_archE1200ELNS1_3gpuE4ELNS1_3repE0EEENS1_30default_config_static_selectorELNS0_4arch9wavefront6targetE0EEEvT1_.has_dyn_sized_stack, 0
	.set _ZN7rocprim17ROCPRIM_400000_NS6detail17trampoline_kernelINS0_14default_configENS1_25partition_config_selectorILNS1_17partition_subalgoE6EjNS0_10empty_typeEbEEZZNS1_14partition_implILS5_6ELb0ES3_mN6thrust23THRUST_200600_302600_NS6detail15normal_iteratorINSA_10device_ptrIjEEEEPS6_SG_NS0_5tupleIJNSA_16discard_iteratorINSA_11use_defaultEEES6_EEENSH_IJSG_SG_EEES6_PlJNSB_9not_fun_tI7is_trueIjEEEEEE10hipError_tPvRmT3_T4_T5_T6_T7_T9_mT8_P12ihipStream_tbDpT10_ENKUlT_T0_E_clISt17integral_constantIbLb0EES1A_IbLb1EEEEDaS16_S17_EUlS16_E_NS1_11comp_targetILNS1_3genE10ELNS1_11target_archE1200ELNS1_3gpuE4ELNS1_3repE0EEENS1_30default_config_static_selectorELNS0_4arch9wavefront6targetE0EEEvT1_.has_recursion, 0
	.set _ZN7rocprim17ROCPRIM_400000_NS6detail17trampoline_kernelINS0_14default_configENS1_25partition_config_selectorILNS1_17partition_subalgoE6EjNS0_10empty_typeEbEEZZNS1_14partition_implILS5_6ELb0ES3_mN6thrust23THRUST_200600_302600_NS6detail15normal_iteratorINSA_10device_ptrIjEEEEPS6_SG_NS0_5tupleIJNSA_16discard_iteratorINSA_11use_defaultEEES6_EEENSH_IJSG_SG_EEES6_PlJNSB_9not_fun_tI7is_trueIjEEEEEE10hipError_tPvRmT3_T4_T5_T6_T7_T9_mT8_P12ihipStream_tbDpT10_ENKUlT_T0_E_clISt17integral_constantIbLb0EES1A_IbLb1EEEEDaS16_S17_EUlS16_E_NS1_11comp_targetILNS1_3genE10ELNS1_11target_archE1200ELNS1_3gpuE4ELNS1_3repE0EEENS1_30default_config_static_selectorELNS0_4arch9wavefront6targetE0EEEvT1_.has_indirect_call, 0
	.section	.AMDGPU.csdata,"",@progbits
; Kernel info:
; codeLenInByte = 6676
; TotalNumSgprs: 20
; NumVgprs: 50
; ScratchSize: 0
; MemoryBound: 0
; FloatMode: 240
; IeeeMode: 1
; LDSByteSize: 10768 bytes/workgroup (compile time only)
; SGPRBlocks: 0
; VGPRBlocks: 6
; NumSGPRsForWavesPerEU: 20
; NumVGPRsForWavesPerEU: 50
; Occupancy: 15
; WaveLimiterHint : 1
; COMPUTE_PGM_RSRC2:SCRATCH_EN: 0
; COMPUTE_PGM_RSRC2:USER_SGPR: 2
; COMPUTE_PGM_RSRC2:TRAP_HANDLER: 0
; COMPUTE_PGM_RSRC2:TGID_X_EN: 1
; COMPUTE_PGM_RSRC2:TGID_Y_EN: 0
; COMPUTE_PGM_RSRC2:TGID_Z_EN: 0
; COMPUTE_PGM_RSRC2:TIDIG_COMP_CNT: 0
	.section	.text._ZN7rocprim17ROCPRIM_400000_NS6detail17trampoline_kernelINS0_14default_configENS1_25partition_config_selectorILNS1_17partition_subalgoE6EjNS0_10empty_typeEbEEZZNS1_14partition_implILS5_6ELb0ES3_mN6thrust23THRUST_200600_302600_NS6detail15normal_iteratorINSA_10device_ptrIjEEEEPS6_SG_NS0_5tupleIJNSA_16discard_iteratorINSA_11use_defaultEEES6_EEENSH_IJSG_SG_EEES6_PlJNSB_9not_fun_tI7is_trueIjEEEEEE10hipError_tPvRmT3_T4_T5_T6_T7_T9_mT8_P12ihipStream_tbDpT10_ENKUlT_T0_E_clISt17integral_constantIbLb0EES1A_IbLb1EEEEDaS16_S17_EUlS16_E_NS1_11comp_targetILNS1_3genE9ELNS1_11target_archE1100ELNS1_3gpuE3ELNS1_3repE0EEENS1_30default_config_static_selectorELNS0_4arch9wavefront6targetE0EEEvT1_,"axG",@progbits,_ZN7rocprim17ROCPRIM_400000_NS6detail17trampoline_kernelINS0_14default_configENS1_25partition_config_selectorILNS1_17partition_subalgoE6EjNS0_10empty_typeEbEEZZNS1_14partition_implILS5_6ELb0ES3_mN6thrust23THRUST_200600_302600_NS6detail15normal_iteratorINSA_10device_ptrIjEEEEPS6_SG_NS0_5tupleIJNSA_16discard_iteratorINSA_11use_defaultEEES6_EEENSH_IJSG_SG_EEES6_PlJNSB_9not_fun_tI7is_trueIjEEEEEE10hipError_tPvRmT3_T4_T5_T6_T7_T9_mT8_P12ihipStream_tbDpT10_ENKUlT_T0_E_clISt17integral_constantIbLb0EES1A_IbLb1EEEEDaS16_S17_EUlS16_E_NS1_11comp_targetILNS1_3genE9ELNS1_11target_archE1100ELNS1_3gpuE3ELNS1_3repE0EEENS1_30default_config_static_selectorELNS0_4arch9wavefront6targetE0EEEvT1_,comdat
	.protected	_ZN7rocprim17ROCPRIM_400000_NS6detail17trampoline_kernelINS0_14default_configENS1_25partition_config_selectorILNS1_17partition_subalgoE6EjNS0_10empty_typeEbEEZZNS1_14partition_implILS5_6ELb0ES3_mN6thrust23THRUST_200600_302600_NS6detail15normal_iteratorINSA_10device_ptrIjEEEEPS6_SG_NS0_5tupleIJNSA_16discard_iteratorINSA_11use_defaultEEES6_EEENSH_IJSG_SG_EEES6_PlJNSB_9not_fun_tI7is_trueIjEEEEEE10hipError_tPvRmT3_T4_T5_T6_T7_T9_mT8_P12ihipStream_tbDpT10_ENKUlT_T0_E_clISt17integral_constantIbLb0EES1A_IbLb1EEEEDaS16_S17_EUlS16_E_NS1_11comp_targetILNS1_3genE9ELNS1_11target_archE1100ELNS1_3gpuE3ELNS1_3repE0EEENS1_30default_config_static_selectorELNS0_4arch9wavefront6targetE0EEEvT1_ ; -- Begin function _ZN7rocprim17ROCPRIM_400000_NS6detail17trampoline_kernelINS0_14default_configENS1_25partition_config_selectorILNS1_17partition_subalgoE6EjNS0_10empty_typeEbEEZZNS1_14partition_implILS5_6ELb0ES3_mN6thrust23THRUST_200600_302600_NS6detail15normal_iteratorINSA_10device_ptrIjEEEEPS6_SG_NS0_5tupleIJNSA_16discard_iteratorINSA_11use_defaultEEES6_EEENSH_IJSG_SG_EEES6_PlJNSB_9not_fun_tI7is_trueIjEEEEEE10hipError_tPvRmT3_T4_T5_T6_T7_T9_mT8_P12ihipStream_tbDpT10_ENKUlT_T0_E_clISt17integral_constantIbLb0EES1A_IbLb1EEEEDaS16_S17_EUlS16_E_NS1_11comp_targetILNS1_3genE9ELNS1_11target_archE1100ELNS1_3gpuE3ELNS1_3repE0EEENS1_30default_config_static_selectorELNS0_4arch9wavefront6targetE0EEEvT1_
	.globl	_ZN7rocprim17ROCPRIM_400000_NS6detail17trampoline_kernelINS0_14default_configENS1_25partition_config_selectorILNS1_17partition_subalgoE6EjNS0_10empty_typeEbEEZZNS1_14partition_implILS5_6ELb0ES3_mN6thrust23THRUST_200600_302600_NS6detail15normal_iteratorINSA_10device_ptrIjEEEEPS6_SG_NS0_5tupleIJNSA_16discard_iteratorINSA_11use_defaultEEES6_EEENSH_IJSG_SG_EEES6_PlJNSB_9not_fun_tI7is_trueIjEEEEEE10hipError_tPvRmT3_T4_T5_T6_T7_T9_mT8_P12ihipStream_tbDpT10_ENKUlT_T0_E_clISt17integral_constantIbLb0EES1A_IbLb1EEEEDaS16_S17_EUlS16_E_NS1_11comp_targetILNS1_3genE9ELNS1_11target_archE1100ELNS1_3gpuE3ELNS1_3repE0EEENS1_30default_config_static_selectorELNS0_4arch9wavefront6targetE0EEEvT1_
	.p2align	8
	.type	_ZN7rocprim17ROCPRIM_400000_NS6detail17trampoline_kernelINS0_14default_configENS1_25partition_config_selectorILNS1_17partition_subalgoE6EjNS0_10empty_typeEbEEZZNS1_14partition_implILS5_6ELb0ES3_mN6thrust23THRUST_200600_302600_NS6detail15normal_iteratorINSA_10device_ptrIjEEEEPS6_SG_NS0_5tupleIJNSA_16discard_iteratorINSA_11use_defaultEEES6_EEENSH_IJSG_SG_EEES6_PlJNSB_9not_fun_tI7is_trueIjEEEEEE10hipError_tPvRmT3_T4_T5_T6_T7_T9_mT8_P12ihipStream_tbDpT10_ENKUlT_T0_E_clISt17integral_constantIbLb0EES1A_IbLb1EEEEDaS16_S17_EUlS16_E_NS1_11comp_targetILNS1_3genE9ELNS1_11target_archE1100ELNS1_3gpuE3ELNS1_3repE0EEENS1_30default_config_static_selectorELNS0_4arch9wavefront6targetE0EEEvT1_,@function
_ZN7rocprim17ROCPRIM_400000_NS6detail17trampoline_kernelINS0_14default_configENS1_25partition_config_selectorILNS1_17partition_subalgoE6EjNS0_10empty_typeEbEEZZNS1_14partition_implILS5_6ELb0ES3_mN6thrust23THRUST_200600_302600_NS6detail15normal_iteratorINSA_10device_ptrIjEEEEPS6_SG_NS0_5tupleIJNSA_16discard_iteratorINSA_11use_defaultEEES6_EEENSH_IJSG_SG_EEES6_PlJNSB_9not_fun_tI7is_trueIjEEEEEE10hipError_tPvRmT3_T4_T5_T6_T7_T9_mT8_P12ihipStream_tbDpT10_ENKUlT_T0_E_clISt17integral_constantIbLb0EES1A_IbLb1EEEEDaS16_S17_EUlS16_E_NS1_11comp_targetILNS1_3genE9ELNS1_11target_archE1100ELNS1_3gpuE3ELNS1_3repE0EEENS1_30default_config_static_selectorELNS0_4arch9wavefront6targetE0EEEvT1_: ; @_ZN7rocprim17ROCPRIM_400000_NS6detail17trampoline_kernelINS0_14default_configENS1_25partition_config_selectorILNS1_17partition_subalgoE6EjNS0_10empty_typeEbEEZZNS1_14partition_implILS5_6ELb0ES3_mN6thrust23THRUST_200600_302600_NS6detail15normal_iteratorINSA_10device_ptrIjEEEEPS6_SG_NS0_5tupleIJNSA_16discard_iteratorINSA_11use_defaultEEES6_EEENSH_IJSG_SG_EEES6_PlJNSB_9not_fun_tI7is_trueIjEEEEEE10hipError_tPvRmT3_T4_T5_T6_T7_T9_mT8_P12ihipStream_tbDpT10_ENKUlT_T0_E_clISt17integral_constantIbLb0EES1A_IbLb1EEEEDaS16_S17_EUlS16_E_NS1_11comp_targetILNS1_3genE9ELNS1_11target_archE1100ELNS1_3gpuE3ELNS1_3repE0EEENS1_30default_config_static_selectorELNS0_4arch9wavefront6targetE0EEEvT1_
; %bb.0:
	.section	.rodata,"a",@progbits
	.p2align	6, 0x0
	.amdhsa_kernel _ZN7rocprim17ROCPRIM_400000_NS6detail17trampoline_kernelINS0_14default_configENS1_25partition_config_selectorILNS1_17partition_subalgoE6EjNS0_10empty_typeEbEEZZNS1_14partition_implILS5_6ELb0ES3_mN6thrust23THRUST_200600_302600_NS6detail15normal_iteratorINSA_10device_ptrIjEEEEPS6_SG_NS0_5tupleIJNSA_16discard_iteratorINSA_11use_defaultEEES6_EEENSH_IJSG_SG_EEES6_PlJNSB_9not_fun_tI7is_trueIjEEEEEE10hipError_tPvRmT3_T4_T5_T6_T7_T9_mT8_P12ihipStream_tbDpT10_ENKUlT_T0_E_clISt17integral_constantIbLb0EES1A_IbLb1EEEEDaS16_S17_EUlS16_E_NS1_11comp_targetILNS1_3genE9ELNS1_11target_archE1100ELNS1_3gpuE3ELNS1_3repE0EEENS1_30default_config_static_selectorELNS0_4arch9wavefront6targetE0EEEvT1_
		.amdhsa_group_segment_fixed_size 0
		.amdhsa_private_segment_fixed_size 0
		.amdhsa_kernarg_size 136
		.amdhsa_user_sgpr_count 2
		.amdhsa_user_sgpr_dispatch_ptr 0
		.amdhsa_user_sgpr_queue_ptr 0
		.amdhsa_user_sgpr_kernarg_segment_ptr 1
		.amdhsa_user_sgpr_dispatch_id 0
		.amdhsa_user_sgpr_private_segment_size 0
		.amdhsa_wavefront_size32 1
		.amdhsa_uses_dynamic_stack 0
		.amdhsa_enable_private_segment 0
		.amdhsa_system_sgpr_workgroup_id_x 1
		.amdhsa_system_sgpr_workgroup_id_y 0
		.amdhsa_system_sgpr_workgroup_id_z 0
		.amdhsa_system_sgpr_workgroup_info 0
		.amdhsa_system_vgpr_workitem_id 0
		.amdhsa_next_free_vgpr 1
		.amdhsa_next_free_sgpr 1
		.amdhsa_reserve_vcc 0
		.amdhsa_float_round_mode_32 0
		.amdhsa_float_round_mode_16_64 0
		.amdhsa_float_denorm_mode_32 3
		.amdhsa_float_denorm_mode_16_64 3
		.amdhsa_fp16_overflow 0
		.amdhsa_workgroup_processor_mode 1
		.amdhsa_memory_ordered 1
		.amdhsa_forward_progress 1
		.amdhsa_inst_pref_size 0
		.amdhsa_round_robin_scheduling 0
		.amdhsa_exception_fp_ieee_invalid_op 0
		.amdhsa_exception_fp_denorm_src 0
		.amdhsa_exception_fp_ieee_div_zero 0
		.amdhsa_exception_fp_ieee_overflow 0
		.amdhsa_exception_fp_ieee_underflow 0
		.amdhsa_exception_fp_ieee_inexact 0
		.amdhsa_exception_int_div_zero 0
	.end_amdhsa_kernel
	.section	.text._ZN7rocprim17ROCPRIM_400000_NS6detail17trampoline_kernelINS0_14default_configENS1_25partition_config_selectorILNS1_17partition_subalgoE6EjNS0_10empty_typeEbEEZZNS1_14partition_implILS5_6ELb0ES3_mN6thrust23THRUST_200600_302600_NS6detail15normal_iteratorINSA_10device_ptrIjEEEEPS6_SG_NS0_5tupleIJNSA_16discard_iteratorINSA_11use_defaultEEES6_EEENSH_IJSG_SG_EEES6_PlJNSB_9not_fun_tI7is_trueIjEEEEEE10hipError_tPvRmT3_T4_T5_T6_T7_T9_mT8_P12ihipStream_tbDpT10_ENKUlT_T0_E_clISt17integral_constantIbLb0EES1A_IbLb1EEEEDaS16_S17_EUlS16_E_NS1_11comp_targetILNS1_3genE9ELNS1_11target_archE1100ELNS1_3gpuE3ELNS1_3repE0EEENS1_30default_config_static_selectorELNS0_4arch9wavefront6targetE0EEEvT1_,"axG",@progbits,_ZN7rocprim17ROCPRIM_400000_NS6detail17trampoline_kernelINS0_14default_configENS1_25partition_config_selectorILNS1_17partition_subalgoE6EjNS0_10empty_typeEbEEZZNS1_14partition_implILS5_6ELb0ES3_mN6thrust23THRUST_200600_302600_NS6detail15normal_iteratorINSA_10device_ptrIjEEEEPS6_SG_NS0_5tupleIJNSA_16discard_iteratorINSA_11use_defaultEEES6_EEENSH_IJSG_SG_EEES6_PlJNSB_9not_fun_tI7is_trueIjEEEEEE10hipError_tPvRmT3_T4_T5_T6_T7_T9_mT8_P12ihipStream_tbDpT10_ENKUlT_T0_E_clISt17integral_constantIbLb0EES1A_IbLb1EEEEDaS16_S17_EUlS16_E_NS1_11comp_targetILNS1_3genE9ELNS1_11target_archE1100ELNS1_3gpuE3ELNS1_3repE0EEENS1_30default_config_static_selectorELNS0_4arch9wavefront6targetE0EEEvT1_,comdat
.Lfunc_end2203:
	.size	_ZN7rocprim17ROCPRIM_400000_NS6detail17trampoline_kernelINS0_14default_configENS1_25partition_config_selectorILNS1_17partition_subalgoE6EjNS0_10empty_typeEbEEZZNS1_14partition_implILS5_6ELb0ES3_mN6thrust23THRUST_200600_302600_NS6detail15normal_iteratorINSA_10device_ptrIjEEEEPS6_SG_NS0_5tupleIJNSA_16discard_iteratorINSA_11use_defaultEEES6_EEENSH_IJSG_SG_EEES6_PlJNSB_9not_fun_tI7is_trueIjEEEEEE10hipError_tPvRmT3_T4_T5_T6_T7_T9_mT8_P12ihipStream_tbDpT10_ENKUlT_T0_E_clISt17integral_constantIbLb0EES1A_IbLb1EEEEDaS16_S17_EUlS16_E_NS1_11comp_targetILNS1_3genE9ELNS1_11target_archE1100ELNS1_3gpuE3ELNS1_3repE0EEENS1_30default_config_static_selectorELNS0_4arch9wavefront6targetE0EEEvT1_, .Lfunc_end2203-_ZN7rocprim17ROCPRIM_400000_NS6detail17trampoline_kernelINS0_14default_configENS1_25partition_config_selectorILNS1_17partition_subalgoE6EjNS0_10empty_typeEbEEZZNS1_14partition_implILS5_6ELb0ES3_mN6thrust23THRUST_200600_302600_NS6detail15normal_iteratorINSA_10device_ptrIjEEEEPS6_SG_NS0_5tupleIJNSA_16discard_iteratorINSA_11use_defaultEEES6_EEENSH_IJSG_SG_EEES6_PlJNSB_9not_fun_tI7is_trueIjEEEEEE10hipError_tPvRmT3_T4_T5_T6_T7_T9_mT8_P12ihipStream_tbDpT10_ENKUlT_T0_E_clISt17integral_constantIbLb0EES1A_IbLb1EEEEDaS16_S17_EUlS16_E_NS1_11comp_targetILNS1_3genE9ELNS1_11target_archE1100ELNS1_3gpuE3ELNS1_3repE0EEENS1_30default_config_static_selectorELNS0_4arch9wavefront6targetE0EEEvT1_
                                        ; -- End function
	.set _ZN7rocprim17ROCPRIM_400000_NS6detail17trampoline_kernelINS0_14default_configENS1_25partition_config_selectorILNS1_17partition_subalgoE6EjNS0_10empty_typeEbEEZZNS1_14partition_implILS5_6ELb0ES3_mN6thrust23THRUST_200600_302600_NS6detail15normal_iteratorINSA_10device_ptrIjEEEEPS6_SG_NS0_5tupleIJNSA_16discard_iteratorINSA_11use_defaultEEES6_EEENSH_IJSG_SG_EEES6_PlJNSB_9not_fun_tI7is_trueIjEEEEEE10hipError_tPvRmT3_T4_T5_T6_T7_T9_mT8_P12ihipStream_tbDpT10_ENKUlT_T0_E_clISt17integral_constantIbLb0EES1A_IbLb1EEEEDaS16_S17_EUlS16_E_NS1_11comp_targetILNS1_3genE9ELNS1_11target_archE1100ELNS1_3gpuE3ELNS1_3repE0EEENS1_30default_config_static_selectorELNS0_4arch9wavefront6targetE0EEEvT1_.num_vgpr, 0
	.set _ZN7rocprim17ROCPRIM_400000_NS6detail17trampoline_kernelINS0_14default_configENS1_25partition_config_selectorILNS1_17partition_subalgoE6EjNS0_10empty_typeEbEEZZNS1_14partition_implILS5_6ELb0ES3_mN6thrust23THRUST_200600_302600_NS6detail15normal_iteratorINSA_10device_ptrIjEEEEPS6_SG_NS0_5tupleIJNSA_16discard_iteratorINSA_11use_defaultEEES6_EEENSH_IJSG_SG_EEES6_PlJNSB_9not_fun_tI7is_trueIjEEEEEE10hipError_tPvRmT3_T4_T5_T6_T7_T9_mT8_P12ihipStream_tbDpT10_ENKUlT_T0_E_clISt17integral_constantIbLb0EES1A_IbLb1EEEEDaS16_S17_EUlS16_E_NS1_11comp_targetILNS1_3genE9ELNS1_11target_archE1100ELNS1_3gpuE3ELNS1_3repE0EEENS1_30default_config_static_selectorELNS0_4arch9wavefront6targetE0EEEvT1_.num_agpr, 0
	.set _ZN7rocprim17ROCPRIM_400000_NS6detail17trampoline_kernelINS0_14default_configENS1_25partition_config_selectorILNS1_17partition_subalgoE6EjNS0_10empty_typeEbEEZZNS1_14partition_implILS5_6ELb0ES3_mN6thrust23THRUST_200600_302600_NS6detail15normal_iteratorINSA_10device_ptrIjEEEEPS6_SG_NS0_5tupleIJNSA_16discard_iteratorINSA_11use_defaultEEES6_EEENSH_IJSG_SG_EEES6_PlJNSB_9not_fun_tI7is_trueIjEEEEEE10hipError_tPvRmT3_T4_T5_T6_T7_T9_mT8_P12ihipStream_tbDpT10_ENKUlT_T0_E_clISt17integral_constantIbLb0EES1A_IbLb1EEEEDaS16_S17_EUlS16_E_NS1_11comp_targetILNS1_3genE9ELNS1_11target_archE1100ELNS1_3gpuE3ELNS1_3repE0EEENS1_30default_config_static_selectorELNS0_4arch9wavefront6targetE0EEEvT1_.numbered_sgpr, 0
	.set _ZN7rocprim17ROCPRIM_400000_NS6detail17trampoline_kernelINS0_14default_configENS1_25partition_config_selectorILNS1_17partition_subalgoE6EjNS0_10empty_typeEbEEZZNS1_14partition_implILS5_6ELb0ES3_mN6thrust23THRUST_200600_302600_NS6detail15normal_iteratorINSA_10device_ptrIjEEEEPS6_SG_NS0_5tupleIJNSA_16discard_iteratorINSA_11use_defaultEEES6_EEENSH_IJSG_SG_EEES6_PlJNSB_9not_fun_tI7is_trueIjEEEEEE10hipError_tPvRmT3_T4_T5_T6_T7_T9_mT8_P12ihipStream_tbDpT10_ENKUlT_T0_E_clISt17integral_constantIbLb0EES1A_IbLb1EEEEDaS16_S17_EUlS16_E_NS1_11comp_targetILNS1_3genE9ELNS1_11target_archE1100ELNS1_3gpuE3ELNS1_3repE0EEENS1_30default_config_static_selectorELNS0_4arch9wavefront6targetE0EEEvT1_.num_named_barrier, 0
	.set _ZN7rocprim17ROCPRIM_400000_NS6detail17trampoline_kernelINS0_14default_configENS1_25partition_config_selectorILNS1_17partition_subalgoE6EjNS0_10empty_typeEbEEZZNS1_14partition_implILS5_6ELb0ES3_mN6thrust23THRUST_200600_302600_NS6detail15normal_iteratorINSA_10device_ptrIjEEEEPS6_SG_NS0_5tupleIJNSA_16discard_iteratorINSA_11use_defaultEEES6_EEENSH_IJSG_SG_EEES6_PlJNSB_9not_fun_tI7is_trueIjEEEEEE10hipError_tPvRmT3_T4_T5_T6_T7_T9_mT8_P12ihipStream_tbDpT10_ENKUlT_T0_E_clISt17integral_constantIbLb0EES1A_IbLb1EEEEDaS16_S17_EUlS16_E_NS1_11comp_targetILNS1_3genE9ELNS1_11target_archE1100ELNS1_3gpuE3ELNS1_3repE0EEENS1_30default_config_static_selectorELNS0_4arch9wavefront6targetE0EEEvT1_.private_seg_size, 0
	.set _ZN7rocprim17ROCPRIM_400000_NS6detail17trampoline_kernelINS0_14default_configENS1_25partition_config_selectorILNS1_17partition_subalgoE6EjNS0_10empty_typeEbEEZZNS1_14partition_implILS5_6ELb0ES3_mN6thrust23THRUST_200600_302600_NS6detail15normal_iteratorINSA_10device_ptrIjEEEEPS6_SG_NS0_5tupleIJNSA_16discard_iteratorINSA_11use_defaultEEES6_EEENSH_IJSG_SG_EEES6_PlJNSB_9not_fun_tI7is_trueIjEEEEEE10hipError_tPvRmT3_T4_T5_T6_T7_T9_mT8_P12ihipStream_tbDpT10_ENKUlT_T0_E_clISt17integral_constantIbLb0EES1A_IbLb1EEEEDaS16_S17_EUlS16_E_NS1_11comp_targetILNS1_3genE9ELNS1_11target_archE1100ELNS1_3gpuE3ELNS1_3repE0EEENS1_30default_config_static_selectorELNS0_4arch9wavefront6targetE0EEEvT1_.uses_vcc, 0
	.set _ZN7rocprim17ROCPRIM_400000_NS6detail17trampoline_kernelINS0_14default_configENS1_25partition_config_selectorILNS1_17partition_subalgoE6EjNS0_10empty_typeEbEEZZNS1_14partition_implILS5_6ELb0ES3_mN6thrust23THRUST_200600_302600_NS6detail15normal_iteratorINSA_10device_ptrIjEEEEPS6_SG_NS0_5tupleIJNSA_16discard_iteratorINSA_11use_defaultEEES6_EEENSH_IJSG_SG_EEES6_PlJNSB_9not_fun_tI7is_trueIjEEEEEE10hipError_tPvRmT3_T4_T5_T6_T7_T9_mT8_P12ihipStream_tbDpT10_ENKUlT_T0_E_clISt17integral_constantIbLb0EES1A_IbLb1EEEEDaS16_S17_EUlS16_E_NS1_11comp_targetILNS1_3genE9ELNS1_11target_archE1100ELNS1_3gpuE3ELNS1_3repE0EEENS1_30default_config_static_selectorELNS0_4arch9wavefront6targetE0EEEvT1_.uses_flat_scratch, 0
	.set _ZN7rocprim17ROCPRIM_400000_NS6detail17trampoline_kernelINS0_14default_configENS1_25partition_config_selectorILNS1_17partition_subalgoE6EjNS0_10empty_typeEbEEZZNS1_14partition_implILS5_6ELb0ES3_mN6thrust23THRUST_200600_302600_NS6detail15normal_iteratorINSA_10device_ptrIjEEEEPS6_SG_NS0_5tupleIJNSA_16discard_iteratorINSA_11use_defaultEEES6_EEENSH_IJSG_SG_EEES6_PlJNSB_9not_fun_tI7is_trueIjEEEEEE10hipError_tPvRmT3_T4_T5_T6_T7_T9_mT8_P12ihipStream_tbDpT10_ENKUlT_T0_E_clISt17integral_constantIbLb0EES1A_IbLb1EEEEDaS16_S17_EUlS16_E_NS1_11comp_targetILNS1_3genE9ELNS1_11target_archE1100ELNS1_3gpuE3ELNS1_3repE0EEENS1_30default_config_static_selectorELNS0_4arch9wavefront6targetE0EEEvT1_.has_dyn_sized_stack, 0
	.set _ZN7rocprim17ROCPRIM_400000_NS6detail17trampoline_kernelINS0_14default_configENS1_25partition_config_selectorILNS1_17partition_subalgoE6EjNS0_10empty_typeEbEEZZNS1_14partition_implILS5_6ELb0ES3_mN6thrust23THRUST_200600_302600_NS6detail15normal_iteratorINSA_10device_ptrIjEEEEPS6_SG_NS0_5tupleIJNSA_16discard_iteratorINSA_11use_defaultEEES6_EEENSH_IJSG_SG_EEES6_PlJNSB_9not_fun_tI7is_trueIjEEEEEE10hipError_tPvRmT3_T4_T5_T6_T7_T9_mT8_P12ihipStream_tbDpT10_ENKUlT_T0_E_clISt17integral_constantIbLb0EES1A_IbLb1EEEEDaS16_S17_EUlS16_E_NS1_11comp_targetILNS1_3genE9ELNS1_11target_archE1100ELNS1_3gpuE3ELNS1_3repE0EEENS1_30default_config_static_selectorELNS0_4arch9wavefront6targetE0EEEvT1_.has_recursion, 0
	.set _ZN7rocprim17ROCPRIM_400000_NS6detail17trampoline_kernelINS0_14default_configENS1_25partition_config_selectorILNS1_17partition_subalgoE6EjNS0_10empty_typeEbEEZZNS1_14partition_implILS5_6ELb0ES3_mN6thrust23THRUST_200600_302600_NS6detail15normal_iteratorINSA_10device_ptrIjEEEEPS6_SG_NS0_5tupleIJNSA_16discard_iteratorINSA_11use_defaultEEES6_EEENSH_IJSG_SG_EEES6_PlJNSB_9not_fun_tI7is_trueIjEEEEEE10hipError_tPvRmT3_T4_T5_T6_T7_T9_mT8_P12ihipStream_tbDpT10_ENKUlT_T0_E_clISt17integral_constantIbLb0EES1A_IbLb1EEEEDaS16_S17_EUlS16_E_NS1_11comp_targetILNS1_3genE9ELNS1_11target_archE1100ELNS1_3gpuE3ELNS1_3repE0EEENS1_30default_config_static_selectorELNS0_4arch9wavefront6targetE0EEEvT1_.has_indirect_call, 0
	.section	.AMDGPU.csdata,"",@progbits
; Kernel info:
; codeLenInByte = 0
; TotalNumSgprs: 0
; NumVgprs: 0
; ScratchSize: 0
; MemoryBound: 0
; FloatMode: 240
; IeeeMode: 1
; LDSByteSize: 0 bytes/workgroup (compile time only)
; SGPRBlocks: 0
; VGPRBlocks: 0
; NumSGPRsForWavesPerEU: 1
; NumVGPRsForWavesPerEU: 1
; Occupancy: 16
; WaveLimiterHint : 0
; COMPUTE_PGM_RSRC2:SCRATCH_EN: 0
; COMPUTE_PGM_RSRC2:USER_SGPR: 2
; COMPUTE_PGM_RSRC2:TRAP_HANDLER: 0
; COMPUTE_PGM_RSRC2:TGID_X_EN: 1
; COMPUTE_PGM_RSRC2:TGID_Y_EN: 0
; COMPUTE_PGM_RSRC2:TGID_Z_EN: 0
; COMPUTE_PGM_RSRC2:TIDIG_COMP_CNT: 0
	.section	.text._ZN7rocprim17ROCPRIM_400000_NS6detail17trampoline_kernelINS0_14default_configENS1_25partition_config_selectorILNS1_17partition_subalgoE6EjNS0_10empty_typeEbEEZZNS1_14partition_implILS5_6ELb0ES3_mN6thrust23THRUST_200600_302600_NS6detail15normal_iteratorINSA_10device_ptrIjEEEEPS6_SG_NS0_5tupleIJNSA_16discard_iteratorINSA_11use_defaultEEES6_EEENSH_IJSG_SG_EEES6_PlJNSB_9not_fun_tI7is_trueIjEEEEEE10hipError_tPvRmT3_T4_T5_T6_T7_T9_mT8_P12ihipStream_tbDpT10_ENKUlT_T0_E_clISt17integral_constantIbLb0EES1A_IbLb1EEEEDaS16_S17_EUlS16_E_NS1_11comp_targetILNS1_3genE8ELNS1_11target_archE1030ELNS1_3gpuE2ELNS1_3repE0EEENS1_30default_config_static_selectorELNS0_4arch9wavefront6targetE0EEEvT1_,"axG",@progbits,_ZN7rocprim17ROCPRIM_400000_NS6detail17trampoline_kernelINS0_14default_configENS1_25partition_config_selectorILNS1_17partition_subalgoE6EjNS0_10empty_typeEbEEZZNS1_14partition_implILS5_6ELb0ES3_mN6thrust23THRUST_200600_302600_NS6detail15normal_iteratorINSA_10device_ptrIjEEEEPS6_SG_NS0_5tupleIJNSA_16discard_iteratorINSA_11use_defaultEEES6_EEENSH_IJSG_SG_EEES6_PlJNSB_9not_fun_tI7is_trueIjEEEEEE10hipError_tPvRmT3_T4_T5_T6_T7_T9_mT8_P12ihipStream_tbDpT10_ENKUlT_T0_E_clISt17integral_constantIbLb0EES1A_IbLb1EEEEDaS16_S17_EUlS16_E_NS1_11comp_targetILNS1_3genE8ELNS1_11target_archE1030ELNS1_3gpuE2ELNS1_3repE0EEENS1_30default_config_static_selectorELNS0_4arch9wavefront6targetE0EEEvT1_,comdat
	.protected	_ZN7rocprim17ROCPRIM_400000_NS6detail17trampoline_kernelINS0_14default_configENS1_25partition_config_selectorILNS1_17partition_subalgoE6EjNS0_10empty_typeEbEEZZNS1_14partition_implILS5_6ELb0ES3_mN6thrust23THRUST_200600_302600_NS6detail15normal_iteratorINSA_10device_ptrIjEEEEPS6_SG_NS0_5tupleIJNSA_16discard_iteratorINSA_11use_defaultEEES6_EEENSH_IJSG_SG_EEES6_PlJNSB_9not_fun_tI7is_trueIjEEEEEE10hipError_tPvRmT3_T4_T5_T6_T7_T9_mT8_P12ihipStream_tbDpT10_ENKUlT_T0_E_clISt17integral_constantIbLb0EES1A_IbLb1EEEEDaS16_S17_EUlS16_E_NS1_11comp_targetILNS1_3genE8ELNS1_11target_archE1030ELNS1_3gpuE2ELNS1_3repE0EEENS1_30default_config_static_selectorELNS0_4arch9wavefront6targetE0EEEvT1_ ; -- Begin function _ZN7rocprim17ROCPRIM_400000_NS6detail17trampoline_kernelINS0_14default_configENS1_25partition_config_selectorILNS1_17partition_subalgoE6EjNS0_10empty_typeEbEEZZNS1_14partition_implILS5_6ELb0ES3_mN6thrust23THRUST_200600_302600_NS6detail15normal_iteratorINSA_10device_ptrIjEEEEPS6_SG_NS0_5tupleIJNSA_16discard_iteratorINSA_11use_defaultEEES6_EEENSH_IJSG_SG_EEES6_PlJNSB_9not_fun_tI7is_trueIjEEEEEE10hipError_tPvRmT3_T4_T5_T6_T7_T9_mT8_P12ihipStream_tbDpT10_ENKUlT_T0_E_clISt17integral_constantIbLb0EES1A_IbLb1EEEEDaS16_S17_EUlS16_E_NS1_11comp_targetILNS1_3genE8ELNS1_11target_archE1030ELNS1_3gpuE2ELNS1_3repE0EEENS1_30default_config_static_selectorELNS0_4arch9wavefront6targetE0EEEvT1_
	.globl	_ZN7rocprim17ROCPRIM_400000_NS6detail17trampoline_kernelINS0_14default_configENS1_25partition_config_selectorILNS1_17partition_subalgoE6EjNS0_10empty_typeEbEEZZNS1_14partition_implILS5_6ELb0ES3_mN6thrust23THRUST_200600_302600_NS6detail15normal_iteratorINSA_10device_ptrIjEEEEPS6_SG_NS0_5tupleIJNSA_16discard_iteratorINSA_11use_defaultEEES6_EEENSH_IJSG_SG_EEES6_PlJNSB_9not_fun_tI7is_trueIjEEEEEE10hipError_tPvRmT3_T4_T5_T6_T7_T9_mT8_P12ihipStream_tbDpT10_ENKUlT_T0_E_clISt17integral_constantIbLb0EES1A_IbLb1EEEEDaS16_S17_EUlS16_E_NS1_11comp_targetILNS1_3genE8ELNS1_11target_archE1030ELNS1_3gpuE2ELNS1_3repE0EEENS1_30default_config_static_selectorELNS0_4arch9wavefront6targetE0EEEvT1_
	.p2align	8
	.type	_ZN7rocprim17ROCPRIM_400000_NS6detail17trampoline_kernelINS0_14default_configENS1_25partition_config_selectorILNS1_17partition_subalgoE6EjNS0_10empty_typeEbEEZZNS1_14partition_implILS5_6ELb0ES3_mN6thrust23THRUST_200600_302600_NS6detail15normal_iteratorINSA_10device_ptrIjEEEEPS6_SG_NS0_5tupleIJNSA_16discard_iteratorINSA_11use_defaultEEES6_EEENSH_IJSG_SG_EEES6_PlJNSB_9not_fun_tI7is_trueIjEEEEEE10hipError_tPvRmT3_T4_T5_T6_T7_T9_mT8_P12ihipStream_tbDpT10_ENKUlT_T0_E_clISt17integral_constantIbLb0EES1A_IbLb1EEEEDaS16_S17_EUlS16_E_NS1_11comp_targetILNS1_3genE8ELNS1_11target_archE1030ELNS1_3gpuE2ELNS1_3repE0EEENS1_30default_config_static_selectorELNS0_4arch9wavefront6targetE0EEEvT1_,@function
_ZN7rocprim17ROCPRIM_400000_NS6detail17trampoline_kernelINS0_14default_configENS1_25partition_config_selectorILNS1_17partition_subalgoE6EjNS0_10empty_typeEbEEZZNS1_14partition_implILS5_6ELb0ES3_mN6thrust23THRUST_200600_302600_NS6detail15normal_iteratorINSA_10device_ptrIjEEEEPS6_SG_NS0_5tupleIJNSA_16discard_iteratorINSA_11use_defaultEEES6_EEENSH_IJSG_SG_EEES6_PlJNSB_9not_fun_tI7is_trueIjEEEEEE10hipError_tPvRmT3_T4_T5_T6_T7_T9_mT8_P12ihipStream_tbDpT10_ENKUlT_T0_E_clISt17integral_constantIbLb0EES1A_IbLb1EEEEDaS16_S17_EUlS16_E_NS1_11comp_targetILNS1_3genE8ELNS1_11target_archE1030ELNS1_3gpuE2ELNS1_3repE0EEENS1_30default_config_static_selectorELNS0_4arch9wavefront6targetE0EEEvT1_: ; @_ZN7rocprim17ROCPRIM_400000_NS6detail17trampoline_kernelINS0_14default_configENS1_25partition_config_selectorILNS1_17partition_subalgoE6EjNS0_10empty_typeEbEEZZNS1_14partition_implILS5_6ELb0ES3_mN6thrust23THRUST_200600_302600_NS6detail15normal_iteratorINSA_10device_ptrIjEEEEPS6_SG_NS0_5tupleIJNSA_16discard_iteratorINSA_11use_defaultEEES6_EEENSH_IJSG_SG_EEES6_PlJNSB_9not_fun_tI7is_trueIjEEEEEE10hipError_tPvRmT3_T4_T5_T6_T7_T9_mT8_P12ihipStream_tbDpT10_ENKUlT_T0_E_clISt17integral_constantIbLb0EES1A_IbLb1EEEEDaS16_S17_EUlS16_E_NS1_11comp_targetILNS1_3genE8ELNS1_11target_archE1030ELNS1_3gpuE2ELNS1_3repE0EEENS1_30default_config_static_selectorELNS0_4arch9wavefront6targetE0EEEvT1_
; %bb.0:
	.section	.rodata,"a",@progbits
	.p2align	6, 0x0
	.amdhsa_kernel _ZN7rocprim17ROCPRIM_400000_NS6detail17trampoline_kernelINS0_14default_configENS1_25partition_config_selectorILNS1_17partition_subalgoE6EjNS0_10empty_typeEbEEZZNS1_14partition_implILS5_6ELb0ES3_mN6thrust23THRUST_200600_302600_NS6detail15normal_iteratorINSA_10device_ptrIjEEEEPS6_SG_NS0_5tupleIJNSA_16discard_iteratorINSA_11use_defaultEEES6_EEENSH_IJSG_SG_EEES6_PlJNSB_9not_fun_tI7is_trueIjEEEEEE10hipError_tPvRmT3_T4_T5_T6_T7_T9_mT8_P12ihipStream_tbDpT10_ENKUlT_T0_E_clISt17integral_constantIbLb0EES1A_IbLb1EEEEDaS16_S17_EUlS16_E_NS1_11comp_targetILNS1_3genE8ELNS1_11target_archE1030ELNS1_3gpuE2ELNS1_3repE0EEENS1_30default_config_static_selectorELNS0_4arch9wavefront6targetE0EEEvT1_
		.amdhsa_group_segment_fixed_size 0
		.amdhsa_private_segment_fixed_size 0
		.amdhsa_kernarg_size 136
		.amdhsa_user_sgpr_count 2
		.amdhsa_user_sgpr_dispatch_ptr 0
		.amdhsa_user_sgpr_queue_ptr 0
		.amdhsa_user_sgpr_kernarg_segment_ptr 1
		.amdhsa_user_sgpr_dispatch_id 0
		.amdhsa_user_sgpr_private_segment_size 0
		.amdhsa_wavefront_size32 1
		.amdhsa_uses_dynamic_stack 0
		.amdhsa_enable_private_segment 0
		.amdhsa_system_sgpr_workgroup_id_x 1
		.amdhsa_system_sgpr_workgroup_id_y 0
		.amdhsa_system_sgpr_workgroup_id_z 0
		.amdhsa_system_sgpr_workgroup_info 0
		.amdhsa_system_vgpr_workitem_id 0
		.amdhsa_next_free_vgpr 1
		.amdhsa_next_free_sgpr 1
		.amdhsa_reserve_vcc 0
		.amdhsa_float_round_mode_32 0
		.amdhsa_float_round_mode_16_64 0
		.amdhsa_float_denorm_mode_32 3
		.amdhsa_float_denorm_mode_16_64 3
		.amdhsa_fp16_overflow 0
		.amdhsa_workgroup_processor_mode 1
		.amdhsa_memory_ordered 1
		.amdhsa_forward_progress 1
		.amdhsa_inst_pref_size 0
		.amdhsa_round_robin_scheduling 0
		.amdhsa_exception_fp_ieee_invalid_op 0
		.amdhsa_exception_fp_denorm_src 0
		.amdhsa_exception_fp_ieee_div_zero 0
		.amdhsa_exception_fp_ieee_overflow 0
		.amdhsa_exception_fp_ieee_underflow 0
		.amdhsa_exception_fp_ieee_inexact 0
		.amdhsa_exception_int_div_zero 0
	.end_amdhsa_kernel
	.section	.text._ZN7rocprim17ROCPRIM_400000_NS6detail17trampoline_kernelINS0_14default_configENS1_25partition_config_selectorILNS1_17partition_subalgoE6EjNS0_10empty_typeEbEEZZNS1_14partition_implILS5_6ELb0ES3_mN6thrust23THRUST_200600_302600_NS6detail15normal_iteratorINSA_10device_ptrIjEEEEPS6_SG_NS0_5tupleIJNSA_16discard_iteratorINSA_11use_defaultEEES6_EEENSH_IJSG_SG_EEES6_PlJNSB_9not_fun_tI7is_trueIjEEEEEE10hipError_tPvRmT3_T4_T5_T6_T7_T9_mT8_P12ihipStream_tbDpT10_ENKUlT_T0_E_clISt17integral_constantIbLb0EES1A_IbLb1EEEEDaS16_S17_EUlS16_E_NS1_11comp_targetILNS1_3genE8ELNS1_11target_archE1030ELNS1_3gpuE2ELNS1_3repE0EEENS1_30default_config_static_selectorELNS0_4arch9wavefront6targetE0EEEvT1_,"axG",@progbits,_ZN7rocprim17ROCPRIM_400000_NS6detail17trampoline_kernelINS0_14default_configENS1_25partition_config_selectorILNS1_17partition_subalgoE6EjNS0_10empty_typeEbEEZZNS1_14partition_implILS5_6ELb0ES3_mN6thrust23THRUST_200600_302600_NS6detail15normal_iteratorINSA_10device_ptrIjEEEEPS6_SG_NS0_5tupleIJNSA_16discard_iteratorINSA_11use_defaultEEES6_EEENSH_IJSG_SG_EEES6_PlJNSB_9not_fun_tI7is_trueIjEEEEEE10hipError_tPvRmT3_T4_T5_T6_T7_T9_mT8_P12ihipStream_tbDpT10_ENKUlT_T0_E_clISt17integral_constantIbLb0EES1A_IbLb1EEEEDaS16_S17_EUlS16_E_NS1_11comp_targetILNS1_3genE8ELNS1_11target_archE1030ELNS1_3gpuE2ELNS1_3repE0EEENS1_30default_config_static_selectorELNS0_4arch9wavefront6targetE0EEEvT1_,comdat
.Lfunc_end2204:
	.size	_ZN7rocprim17ROCPRIM_400000_NS6detail17trampoline_kernelINS0_14default_configENS1_25partition_config_selectorILNS1_17partition_subalgoE6EjNS0_10empty_typeEbEEZZNS1_14partition_implILS5_6ELb0ES3_mN6thrust23THRUST_200600_302600_NS6detail15normal_iteratorINSA_10device_ptrIjEEEEPS6_SG_NS0_5tupleIJNSA_16discard_iteratorINSA_11use_defaultEEES6_EEENSH_IJSG_SG_EEES6_PlJNSB_9not_fun_tI7is_trueIjEEEEEE10hipError_tPvRmT3_T4_T5_T6_T7_T9_mT8_P12ihipStream_tbDpT10_ENKUlT_T0_E_clISt17integral_constantIbLb0EES1A_IbLb1EEEEDaS16_S17_EUlS16_E_NS1_11comp_targetILNS1_3genE8ELNS1_11target_archE1030ELNS1_3gpuE2ELNS1_3repE0EEENS1_30default_config_static_selectorELNS0_4arch9wavefront6targetE0EEEvT1_, .Lfunc_end2204-_ZN7rocprim17ROCPRIM_400000_NS6detail17trampoline_kernelINS0_14default_configENS1_25partition_config_selectorILNS1_17partition_subalgoE6EjNS0_10empty_typeEbEEZZNS1_14partition_implILS5_6ELb0ES3_mN6thrust23THRUST_200600_302600_NS6detail15normal_iteratorINSA_10device_ptrIjEEEEPS6_SG_NS0_5tupleIJNSA_16discard_iteratorINSA_11use_defaultEEES6_EEENSH_IJSG_SG_EEES6_PlJNSB_9not_fun_tI7is_trueIjEEEEEE10hipError_tPvRmT3_T4_T5_T6_T7_T9_mT8_P12ihipStream_tbDpT10_ENKUlT_T0_E_clISt17integral_constantIbLb0EES1A_IbLb1EEEEDaS16_S17_EUlS16_E_NS1_11comp_targetILNS1_3genE8ELNS1_11target_archE1030ELNS1_3gpuE2ELNS1_3repE0EEENS1_30default_config_static_selectorELNS0_4arch9wavefront6targetE0EEEvT1_
                                        ; -- End function
	.set _ZN7rocprim17ROCPRIM_400000_NS6detail17trampoline_kernelINS0_14default_configENS1_25partition_config_selectorILNS1_17partition_subalgoE6EjNS0_10empty_typeEbEEZZNS1_14partition_implILS5_6ELb0ES3_mN6thrust23THRUST_200600_302600_NS6detail15normal_iteratorINSA_10device_ptrIjEEEEPS6_SG_NS0_5tupleIJNSA_16discard_iteratorINSA_11use_defaultEEES6_EEENSH_IJSG_SG_EEES6_PlJNSB_9not_fun_tI7is_trueIjEEEEEE10hipError_tPvRmT3_T4_T5_T6_T7_T9_mT8_P12ihipStream_tbDpT10_ENKUlT_T0_E_clISt17integral_constantIbLb0EES1A_IbLb1EEEEDaS16_S17_EUlS16_E_NS1_11comp_targetILNS1_3genE8ELNS1_11target_archE1030ELNS1_3gpuE2ELNS1_3repE0EEENS1_30default_config_static_selectorELNS0_4arch9wavefront6targetE0EEEvT1_.num_vgpr, 0
	.set _ZN7rocprim17ROCPRIM_400000_NS6detail17trampoline_kernelINS0_14default_configENS1_25partition_config_selectorILNS1_17partition_subalgoE6EjNS0_10empty_typeEbEEZZNS1_14partition_implILS5_6ELb0ES3_mN6thrust23THRUST_200600_302600_NS6detail15normal_iteratorINSA_10device_ptrIjEEEEPS6_SG_NS0_5tupleIJNSA_16discard_iteratorINSA_11use_defaultEEES6_EEENSH_IJSG_SG_EEES6_PlJNSB_9not_fun_tI7is_trueIjEEEEEE10hipError_tPvRmT3_T4_T5_T6_T7_T9_mT8_P12ihipStream_tbDpT10_ENKUlT_T0_E_clISt17integral_constantIbLb0EES1A_IbLb1EEEEDaS16_S17_EUlS16_E_NS1_11comp_targetILNS1_3genE8ELNS1_11target_archE1030ELNS1_3gpuE2ELNS1_3repE0EEENS1_30default_config_static_selectorELNS0_4arch9wavefront6targetE0EEEvT1_.num_agpr, 0
	.set _ZN7rocprim17ROCPRIM_400000_NS6detail17trampoline_kernelINS0_14default_configENS1_25partition_config_selectorILNS1_17partition_subalgoE6EjNS0_10empty_typeEbEEZZNS1_14partition_implILS5_6ELb0ES3_mN6thrust23THRUST_200600_302600_NS6detail15normal_iteratorINSA_10device_ptrIjEEEEPS6_SG_NS0_5tupleIJNSA_16discard_iteratorINSA_11use_defaultEEES6_EEENSH_IJSG_SG_EEES6_PlJNSB_9not_fun_tI7is_trueIjEEEEEE10hipError_tPvRmT3_T4_T5_T6_T7_T9_mT8_P12ihipStream_tbDpT10_ENKUlT_T0_E_clISt17integral_constantIbLb0EES1A_IbLb1EEEEDaS16_S17_EUlS16_E_NS1_11comp_targetILNS1_3genE8ELNS1_11target_archE1030ELNS1_3gpuE2ELNS1_3repE0EEENS1_30default_config_static_selectorELNS0_4arch9wavefront6targetE0EEEvT1_.numbered_sgpr, 0
	.set _ZN7rocprim17ROCPRIM_400000_NS6detail17trampoline_kernelINS0_14default_configENS1_25partition_config_selectorILNS1_17partition_subalgoE6EjNS0_10empty_typeEbEEZZNS1_14partition_implILS5_6ELb0ES3_mN6thrust23THRUST_200600_302600_NS6detail15normal_iteratorINSA_10device_ptrIjEEEEPS6_SG_NS0_5tupleIJNSA_16discard_iteratorINSA_11use_defaultEEES6_EEENSH_IJSG_SG_EEES6_PlJNSB_9not_fun_tI7is_trueIjEEEEEE10hipError_tPvRmT3_T4_T5_T6_T7_T9_mT8_P12ihipStream_tbDpT10_ENKUlT_T0_E_clISt17integral_constantIbLb0EES1A_IbLb1EEEEDaS16_S17_EUlS16_E_NS1_11comp_targetILNS1_3genE8ELNS1_11target_archE1030ELNS1_3gpuE2ELNS1_3repE0EEENS1_30default_config_static_selectorELNS0_4arch9wavefront6targetE0EEEvT1_.num_named_barrier, 0
	.set _ZN7rocprim17ROCPRIM_400000_NS6detail17trampoline_kernelINS0_14default_configENS1_25partition_config_selectorILNS1_17partition_subalgoE6EjNS0_10empty_typeEbEEZZNS1_14partition_implILS5_6ELb0ES3_mN6thrust23THRUST_200600_302600_NS6detail15normal_iteratorINSA_10device_ptrIjEEEEPS6_SG_NS0_5tupleIJNSA_16discard_iteratorINSA_11use_defaultEEES6_EEENSH_IJSG_SG_EEES6_PlJNSB_9not_fun_tI7is_trueIjEEEEEE10hipError_tPvRmT3_T4_T5_T6_T7_T9_mT8_P12ihipStream_tbDpT10_ENKUlT_T0_E_clISt17integral_constantIbLb0EES1A_IbLb1EEEEDaS16_S17_EUlS16_E_NS1_11comp_targetILNS1_3genE8ELNS1_11target_archE1030ELNS1_3gpuE2ELNS1_3repE0EEENS1_30default_config_static_selectorELNS0_4arch9wavefront6targetE0EEEvT1_.private_seg_size, 0
	.set _ZN7rocprim17ROCPRIM_400000_NS6detail17trampoline_kernelINS0_14default_configENS1_25partition_config_selectorILNS1_17partition_subalgoE6EjNS0_10empty_typeEbEEZZNS1_14partition_implILS5_6ELb0ES3_mN6thrust23THRUST_200600_302600_NS6detail15normal_iteratorINSA_10device_ptrIjEEEEPS6_SG_NS0_5tupleIJNSA_16discard_iteratorINSA_11use_defaultEEES6_EEENSH_IJSG_SG_EEES6_PlJNSB_9not_fun_tI7is_trueIjEEEEEE10hipError_tPvRmT3_T4_T5_T6_T7_T9_mT8_P12ihipStream_tbDpT10_ENKUlT_T0_E_clISt17integral_constantIbLb0EES1A_IbLb1EEEEDaS16_S17_EUlS16_E_NS1_11comp_targetILNS1_3genE8ELNS1_11target_archE1030ELNS1_3gpuE2ELNS1_3repE0EEENS1_30default_config_static_selectorELNS0_4arch9wavefront6targetE0EEEvT1_.uses_vcc, 0
	.set _ZN7rocprim17ROCPRIM_400000_NS6detail17trampoline_kernelINS0_14default_configENS1_25partition_config_selectorILNS1_17partition_subalgoE6EjNS0_10empty_typeEbEEZZNS1_14partition_implILS5_6ELb0ES3_mN6thrust23THRUST_200600_302600_NS6detail15normal_iteratorINSA_10device_ptrIjEEEEPS6_SG_NS0_5tupleIJNSA_16discard_iteratorINSA_11use_defaultEEES6_EEENSH_IJSG_SG_EEES6_PlJNSB_9not_fun_tI7is_trueIjEEEEEE10hipError_tPvRmT3_T4_T5_T6_T7_T9_mT8_P12ihipStream_tbDpT10_ENKUlT_T0_E_clISt17integral_constantIbLb0EES1A_IbLb1EEEEDaS16_S17_EUlS16_E_NS1_11comp_targetILNS1_3genE8ELNS1_11target_archE1030ELNS1_3gpuE2ELNS1_3repE0EEENS1_30default_config_static_selectorELNS0_4arch9wavefront6targetE0EEEvT1_.uses_flat_scratch, 0
	.set _ZN7rocprim17ROCPRIM_400000_NS6detail17trampoline_kernelINS0_14default_configENS1_25partition_config_selectorILNS1_17partition_subalgoE6EjNS0_10empty_typeEbEEZZNS1_14partition_implILS5_6ELb0ES3_mN6thrust23THRUST_200600_302600_NS6detail15normal_iteratorINSA_10device_ptrIjEEEEPS6_SG_NS0_5tupleIJNSA_16discard_iteratorINSA_11use_defaultEEES6_EEENSH_IJSG_SG_EEES6_PlJNSB_9not_fun_tI7is_trueIjEEEEEE10hipError_tPvRmT3_T4_T5_T6_T7_T9_mT8_P12ihipStream_tbDpT10_ENKUlT_T0_E_clISt17integral_constantIbLb0EES1A_IbLb1EEEEDaS16_S17_EUlS16_E_NS1_11comp_targetILNS1_3genE8ELNS1_11target_archE1030ELNS1_3gpuE2ELNS1_3repE0EEENS1_30default_config_static_selectorELNS0_4arch9wavefront6targetE0EEEvT1_.has_dyn_sized_stack, 0
	.set _ZN7rocprim17ROCPRIM_400000_NS6detail17trampoline_kernelINS0_14default_configENS1_25partition_config_selectorILNS1_17partition_subalgoE6EjNS0_10empty_typeEbEEZZNS1_14partition_implILS5_6ELb0ES3_mN6thrust23THRUST_200600_302600_NS6detail15normal_iteratorINSA_10device_ptrIjEEEEPS6_SG_NS0_5tupleIJNSA_16discard_iteratorINSA_11use_defaultEEES6_EEENSH_IJSG_SG_EEES6_PlJNSB_9not_fun_tI7is_trueIjEEEEEE10hipError_tPvRmT3_T4_T5_T6_T7_T9_mT8_P12ihipStream_tbDpT10_ENKUlT_T0_E_clISt17integral_constantIbLb0EES1A_IbLb1EEEEDaS16_S17_EUlS16_E_NS1_11comp_targetILNS1_3genE8ELNS1_11target_archE1030ELNS1_3gpuE2ELNS1_3repE0EEENS1_30default_config_static_selectorELNS0_4arch9wavefront6targetE0EEEvT1_.has_recursion, 0
	.set _ZN7rocprim17ROCPRIM_400000_NS6detail17trampoline_kernelINS0_14default_configENS1_25partition_config_selectorILNS1_17partition_subalgoE6EjNS0_10empty_typeEbEEZZNS1_14partition_implILS5_6ELb0ES3_mN6thrust23THRUST_200600_302600_NS6detail15normal_iteratorINSA_10device_ptrIjEEEEPS6_SG_NS0_5tupleIJNSA_16discard_iteratorINSA_11use_defaultEEES6_EEENSH_IJSG_SG_EEES6_PlJNSB_9not_fun_tI7is_trueIjEEEEEE10hipError_tPvRmT3_T4_T5_T6_T7_T9_mT8_P12ihipStream_tbDpT10_ENKUlT_T0_E_clISt17integral_constantIbLb0EES1A_IbLb1EEEEDaS16_S17_EUlS16_E_NS1_11comp_targetILNS1_3genE8ELNS1_11target_archE1030ELNS1_3gpuE2ELNS1_3repE0EEENS1_30default_config_static_selectorELNS0_4arch9wavefront6targetE0EEEvT1_.has_indirect_call, 0
	.section	.AMDGPU.csdata,"",@progbits
; Kernel info:
; codeLenInByte = 0
; TotalNumSgprs: 0
; NumVgprs: 0
; ScratchSize: 0
; MemoryBound: 0
; FloatMode: 240
; IeeeMode: 1
; LDSByteSize: 0 bytes/workgroup (compile time only)
; SGPRBlocks: 0
; VGPRBlocks: 0
; NumSGPRsForWavesPerEU: 1
; NumVGPRsForWavesPerEU: 1
; Occupancy: 16
; WaveLimiterHint : 0
; COMPUTE_PGM_RSRC2:SCRATCH_EN: 0
; COMPUTE_PGM_RSRC2:USER_SGPR: 2
; COMPUTE_PGM_RSRC2:TRAP_HANDLER: 0
; COMPUTE_PGM_RSRC2:TGID_X_EN: 1
; COMPUTE_PGM_RSRC2:TGID_Y_EN: 0
; COMPUTE_PGM_RSRC2:TGID_Z_EN: 0
; COMPUTE_PGM_RSRC2:TIDIG_COMP_CNT: 0
	.section	.text._ZN7rocprim17ROCPRIM_400000_NS6detail17trampoline_kernelINS0_14default_configENS1_25partition_config_selectorILNS1_17partition_subalgoE6EtNS0_10empty_typeEbEEZZNS1_14partition_implILS5_6ELb0ES3_mN6thrust23THRUST_200600_302600_NS6detail15normal_iteratorINSA_10device_ptrItEEEEPS6_SG_NS0_5tupleIJNSA_16discard_iteratorINSA_11use_defaultEEES6_EEENSH_IJSG_SG_EEES6_PlJNSB_9not_fun_tI7is_trueItEEEEEE10hipError_tPvRmT3_T4_T5_T6_T7_T9_mT8_P12ihipStream_tbDpT10_ENKUlT_T0_E_clISt17integral_constantIbLb0EES1B_EEDaS16_S17_EUlS16_E_NS1_11comp_targetILNS1_3genE0ELNS1_11target_archE4294967295ELNS1_3gpuE0ELNS1_3repE0EEENS1_30default_config_static_selectorELNS0_4arch9wavefront6targetE0EEEvT1_,"axG",@progbits,_ZN7rocprim17ROCPRIM_400000_NS6detail17trampoline_kernelINS0_14default_configENS1_25partition_config_selectorILNS1_17partition_subalgoE6EtNS0_10empty_typeEbEEZZNS1_14partition_implILS5_6ELb0ES3_mN6thrust23THRUST_200600_302600_NS6detail15normal_iteratorINSA_10device_ptrItEEEEPS6_SG_NS0_5tupleIJNSA_16discard_iteratorINSA_11use_defaultEEES6_EEENSH_IJSG_SG_EEES6_PlJNSB_9not_fun_tI7is_trueItEEEEEE10hipError_tPvRmT3_T4_T5_T6_T7_T9_mT8_P12ihipStream_tbDpT10_ENKUlT_T0_E_clISt17integral_constantIbLb0EES1B_EEDaS16_S17_EUlS16_E_NS1_11comp_targetILNS1_3genE0ELNS1_11target_archE4294967295ELNS1_3gpuE0ELNS1_3repE0EEENS1_30default_config_static_selectorELNS0_4arch9wavefront6targetE0EEEvT1_,comdat
	.protected	_ZN7rocprim17ROCPRIM_400000_NS6detail17trampoline_kernelINS0_14default_configENS1_25partition_config_selectorILNS1_17partition_subalgoE6EtNS0_10empty_typeEbEEZZNS1_14partition_implILS5_6ELb0ES3_mN6thrust23THRUST_200600_302600_NS6detail15normal_iteratorINSA_10device_ptrItEEEEPS6_SG_NS0_5tupleIJNSA_16discard_iteratorINSA_11use_defaultEEES6_EEENSH_IJSG_SG_EEES6_PlJNSB_9not_fun_tI7is_trueItEEEEEE10hipError_tPvRmT3_T4_T5_T6_T7_T9_mT8_P12ihipStream_tbDpT10_ENKUlT_T0_E_clISt17integral_constantIbLb0EES1B_EEDaS16_S17_EUlS16_E_NS1_11comp_targetILNS1_3genE0ELNS1_11target_archE4294967295ELNS1_3gpuE0ELNS1_3repE0EEENS1_30default_config_static_selectorELNS0_4arch9wavefront6targetE0EEEvT1_ ; -- Begin function _ZN7rocprim17ROCPRIM_400000_NS6detail17trampoline_kernelINS0_14default_configENS1_25partition_config_selectorILNS1_17partition_subalgoE6EtNS0_10empty_typeEbEEZZNS1_14partition_implILS5_6ELb0ES3_mN6thrust23THRUST_200600_302600_NS6detail15normal_iteratorINSA_10device_ptrItEEEEPS6_SG_NS0_5tupleIJNSA_16discard_iteratorINSA_11use_defaultEEES6_EEENSH_IJSG_SG_EEES6_PlJNSB_9not_fun_tI7is_trueItEEEEEE10hipError_tPvRmT3_T4_T5_T6_T7_T9_mT8_P12ihipStream_tbDpT10_ENKUlT_T0_E_clISt17integral_constantIbLb0EES1B_EEDaS16_S17_EUlS16_E_NS1_11comp_targetILNS1_3genE0ELNS1_11target_archE4294967295ELNS1_3gpuE0ELNS1_3repE0EEENS1_30default_config_static_selectorELNS0_4arch9wavefront6targetE0EEEvT1_
	.globl	_ZN7rocprim17ROCPRIM_400000_NS6detail17trampoline_kernelINS0_14default_configENS1_25partition_config_selectorILNS1_17partition_subalgoE6EtNS0_10empty_typeEbEEZZNS1_14partition_implILS5_6ELb0ES3_mN6thrust23THRUST_200600_302600_NS6detail15normal_iteratorINSA_10device_ptrItEEEEPS6_SG_NS0_5tupleIJNSA_16discard_iteratorINSA_11use_defaultEEES6_EEENSH_IJSG_SG_EEES6_PlJNSB_9not_fun_tI7is_trueItEEEEEE10hipError_tPvRmT3_T4_T5_T6_T7_T9_mT8_P12ihipStream_tbDpT10_ENKUlT_T0_E_clISt17integral_constantIbLb0EES1B_EEDaS16_S17_EUlS16_E_NS1_11comp_targetILNS1_3genE0ELNS1_11target_archE4294967295ELNS1_3gpuE0ELNS1_3repE0EEENS1_30default_config_static_selectorELNS0_4arch9wavefront6targetE0EEEvT1_
	.p2align	8
	.type	_ZN7rocprim17ROCPRIM_400000_NS6detail17trampoline_kernelINS0_14default_configENS1_25partition_config_selectorILNS1_17partition_subalgoE6EtNS0_10empty_typeEbEEZZNS1_14partition_implILS5_6ELb0ES3_mN6thrust23THRUST_200600_302600_NS6detail15normal_iteratorINSA_10device_ptrItEEEEPS6_SG_NS0_5tupleIJNSA_16discard_iteratorINSA_11use_defaultEEES6_EEENSH_IJSG_SG_EEES6_PlJNSB_9not_fun_tI7is_trueItEEEEEE10hipError_tPvRmT3_T4_T5_T6_T7_T9_mT8_P12ihipStream_tbDpT10_ENKUlT_T0_E_clISt17integral_constantIbLb0EES1B_EEDaS16_S17_EUlS16_E_NS1_11comp_targetILNS1_3genE0ELNS1_11target_archE4294967295ELNS1_3gpuE0ELNS1_3repE0EEENS1_30default_config_static_selectorELNS0_4arch9wavefront6targetE0EEEvT1_,@function
_ZN7rocprim17ROCPRIM_400000_NS6detail17trampoline_kernelINS0_14default_configENS1_25partition_config_selectorILNS1_17partition_subalgoE6EtNS0_10empty_typeEbEEZZNS1_14partition_implILS5_6ELb0ES3_mN6thrust23THRUST_200600_302600_NS6detail15normal_iteratorINSA_10device_ptrItEEEEPS6_SG_NS0_5tupleIJNSA_16discard_iteratorINSA_11use_defaultEEES6_EEENSH_IJSG_SG_EEES6_PlJNSB_9not_fun_tI7is_trueItEEEEEE10hipError_tPvRmT3_T4_T5_T6_T7_T9_mT8_P12ihipStream_tbDpT10_ENKUlT_T0_E_clISt17integral_constantIbLb0EES1B_EEDaS16_S17_EUlS16_E_NS1_11comp_targetILNS1_3genE0ELNS1_11target_archE4294967295ELNS1_3gpuE0ELNS1_3repE0EEENS1_30default_config_static_selectorELNS0_4arch9wavefront6targetE0EEEvT1_: ; @_ZN7rocprim17ROCPRIM_400000_NS6detail17trampoline_kernelINS0_14default_configENS1_25partition_config_selectorILNS1_17partition_subalgoE6EtNS0_10empty_typeEbEEZZNS1_14partition_implILS5_6ELb0ES3_mN6thrust23THRUST_200600_302600_NS6detail15normal_iteratorINSA_10device_ptrItEEEEPS6_SG_NS0_5tupleIJNSA_16discard_iteratorINSA_11use_defaultEEES6_EEENSH_IJSG_SG_EEES6_PlJNSB_9not_fun_tI7is_trueItEEEEEE10hipError_tPvRmT3_T4_T5_T6_T7_T9_mT8_P12ihipStream_tbDpT10_ENKUlT_T0_E_clISt17integral_constantIbLb0EES1B_EEDaS16_S17_EUlS16_E_NS1_11comp_targetILNS1_3genE0ELNS1_11target_archE4294967295ELNS1_3gpuE0ELNS1_3repE0EEENS1_30default_config_static_selectorELNS0_4arch9wavefront6targetE0EEEvT1_
; %bb.0:
	.section	.rodata,"a",@progbits
	.p2align	6, 0x0
	.amdhsa_kernel _ZN7rocprim17ROCPRIM_400000_NS6detail17trampoline_kernelINS0_14default_configENS1_25partition_config_selectorILNS1_17partition_subalgoE6EtNS0_10empty_typeEbEEZZNS1_14partition_implILS5_6ELb0ES3_mN6thrust23THRUST_200600_302600_NS6detail15normal_iteratorINSA_10device_ptrItEEEEPS6_SG_NS0_5tupleIJNSA_16discard_iteratorINSA_11use_defaultEEES6_EEENSH_IJSG_SG_EEES6_PlJNSB_9not_fun_tI7is_trueItEEEEEE10hipError_tPvRmT3_T4_T5_T6_T7_T9_mT8_P12ihipStream_tbDpT10_ENKUlT_T0_E_clISt17integral_constantIbLb0EES1B_EEDaS16_S17_EUlS16_E_NS1_11comp_targetILNS1_3genE0ELNS1_11target_archE4294967295ELNS1_3gpuE0ELNS1_3repE0EEENS1_30default_config_static_selectorELNS0_4arch9wavefront6targetE0EEEvT1_
		.amdhsa_group_segment_fixed_size 0
		.amdhsa_private_segment_fixed_size 0
		.amdhsa_kernarg_size 120
		.amdhsa_user_sgpr_count 2
		.amdhsa_user_sgpr_dispatch_ptr 0
		.amdhsa_user_sgpr_queue_ptr 0
		.amdhsa_user_sgpr_kernarg_segment_ptr 1
		.amdhsa_user_sgpr_dispatch_id 0
		.amdhsa_user_sgpr_private_segment_size 0
		.amdhsa_wavefront_size32 1
		.amdhsa_uses_dynamic_stack 0
		.amdhsa_enable_private_segment 0
		.amdhsa_system_sgpr_workgroup_id_x 1
		.amdhsa_system_sgpr_workgroup_id_y 0
		.amdhsa_system_sgpr_workgroup_id_z 0
		.amdhsa_system_sgpr_workgroup_info 0
		.amdhsa_system_vgpr_workitem_id 0
		.amdhsa_next_free_vgpr 1
		.amdhsa_next_free_sgpr 1
		.amdhsa_reserve_vcc 0
		.amdhsa_float_round_mode_32 0
		.amdhsa_float_round_mode_16_64 0
		.amdhsa_float_denorm_mode_32 3
		.amdhsa_float_denorm_mode_16_64 3
		.amdhsa_fp16_overflow 0
		.amdhsa_workgroup_processor_mode 1
		.amdhsa_memory_ordered 1
		.amdhsa_forward_progress 1
		.amdhsa_inst_pref_size 0
		.amdhsa_round_robin_scheduling 0
		.amdhsa_exception_fp_ieee_invalid_op 0
		.amdhsa_exception_fp_denorm_src 0
		.amdhsa_exception_fp_ieee_div_zero 0
		.amdhsa_exception_fp_ieee_overflow 0
		.amdhsa_exception_fp_ieee_underflow 0
		.amdhsa_exception_fp_ieee_inexact 0
		.amdhsa_exception_int_div_zero 0
	.end_amdhsa_kernel
	.section	.text._ZN7rocprim17ROCPRIM_400000_NS6detail17trampoline_kernelINS0_14default_configENS1_25partition_config_selectorILNS1_17partition_subalgoE6EtNS0_10empty_typeEbEEZZNS1_14partition_implILS5_6ELb0ES3_mN6thrust23THRUST_200600_302600_NS6detail15normal_iteratorINSA_10device_ptrItEEEEPS6_SG_NS0_5tupleIJNSA_16discard_iteratorINSA_11use_defaultEEES6_EEENSH_IJSG_SG_EEES6_PlJNSB_9not_fun_tI7is_trueItEEEEEE10hipError_tPvRmT3_T4_T5_T6_T7_T9_mT8_P12ihipStream_tbDpT10_ENKUlT_T0_E_clISt17integral_constantIbLb0EES1B_EEDaS16_S17_EUlS16_E_NS1_11comp_targetILNS1_3genE0ELNS1_11target_archE4294967295ELNS1_3gpuE0ELNS1_3repE0EEENS1_30default_config_static_selectorELNS0_4arch9wavefront6targetE0EEEvT1_,"axG",@progbits,_ZN7rocprim17ROCPRIM_400000_NS6detail17trampoline_kernelINS0_14default_configENS1_25partition_config_selectorILNS1_17partition_subalgoE6EtNS0_10empty_typeEbEEZZNS1_14partition_implILS5_6ELb0ES3_mN6thrust23THRUST_200600_302600_NS6detail15normal_iteratorINSA_10device_ptrItEEEEPS6_SG_NS0_5tupleIJNSA_16discard_iteratorINSA_11use_defaultEEES6_EEENSH_IJSG_SG_EEES6_PlJNSB_9not_fun_tI7is_trueItEEEEEE10hipError_tPvRmT3_T4_T5_T6_T7_T9_mT8_P12ihipStream_tbDpT10_ENKUlT_T0_E_clISt17integral_constantIbLb0EES1B_EEDaS16_S17_EUlS16_E_NS1_11comp_targetILNS1_3genE0ELNS1_11target_archE4294967295ELNS1_3gpuE0ELNS1_3repE0EEENS1_30default_config_static_selectorELNS0_4arch9wavefront6targetE0EEEvT1_,comdat
.Lfunc_end2205:
	.size	_ZN7rocprim17ROCPRIM_400000_NS6detail17trampoline_kernelINS0_14default_configENS1_25partition_config_selectorILNS1_17partition_subalgoE6EtNS0_10empty_typeEbEEZZNS1_14partition_implILS5_6ELb0ES3_mN6thrust23THRUST_200600_302600_NS6detail15normal_iteratorINSA_10device_ptrItEEEEPS6_SG_NS0_5tupleIJNSA_16discard_iteratorINSA_11use_defaultEEES6_EEENSH_IJSG_SG_EEES6_PlJNSB_9not_fun_tI7is_trueItEEEEEE10hipError_tPvRmT3_T4_T5_T6_T7_T9_mT8_P12ihipStream_tbDpT10_ENKUlT_T0_E_clISt17integral_constantIbLb0EES1B_EEDaS16_S17_EUlS16_E_NS1_11comp_targetILNS1_3genE0ELNS1_11target_archE4294967295ELNS1_3gpuE0ELNS1_3repE0EEENS1_30default_config_static_selectorELNS0_4arch9wavefront6targetE0EEEvT1_, .Lfunc_end2205-_ZN7rocprim17ROCPRIM_400000_NS6detail17trampoline_kernelINS0_14default_configENS1_25partition_config_selectorILNS1_17partition_subalgoE6EtNS0_10empty_typeEbEEZZNS1_14partition_implILS5_6ELb0ES3_mN6thrust23THRUST_200600_302600_NS6detail15normal_iteratorINSA_10device_ptrItEEEEPS6_SG_NS0_5tupleIJNSA_16discard_iteratorINSA_11use_defaultEEES6_EEENSH_IJSG_SG_EEES6_PlJNSB_9not_fun_tI7is_trueItEEEEEE10hipError_tPvRmT3_T4_T5_T6_T7_T9_mT8_P12ihipStream_tbDpT10_ENKUlT_T0_E_clISt17integral_constantIbLb0EES1B_EEDaS16_S17_EUlS16_E_NS1_11comp_targetILNS1_3genE0ELNS1_11target_archE4294967295ELNS1_3gpuE0ELNS1_3repE0EEENS1_30default_config_static_selectorELNS0_4arch9wavefront6targetE0EEEvT1_
                                        ; -- End function
	.set _ZN7rocprim17ROCPRIM_400000_NS6detail17trampoline_kernelINS0_14default_configENS1_25partition_config_selectorILNS1_17partition_subalgoE6EtNS0_10empty_typeEbEEZZNS1_14partition_implILS5_6ELb0ES3_mN6thrust23THRUST_200600_302600_NS6detail15normal_iteratorINSA_10device_ptrItEEEEPS6_SG_NS0_5tupleIJNSA_16discard_iteratorINSA_11use_defaultEEES6_EEENSH_IJSG_SG_EEES6_PlJNSB_9not_fun_tI7is_trueItEEEEEE10hipError_tPvRmT3_T4_T5_T6_T7_T9_mT8_P12ihipStream_tbDpT10_ENKUlT_T0_E_clISt17integral_constantIbLb0EES1B_EEDaS16_S17_EUlS16_E_NS1_11comp_targetILNS1_3genE0ELNS1_11target_archE4294967295ELNS1_3gpuE0ELNS1_3repE0EEENS1_30default_config_static_selectorELNS0_4arch9wavefront6targetE0EEEvT1_.num_vgpr, 0
	.set _ZN7rocprim17ROCPRIM_400000_NS6detail17trampoline_kernelINS0_14default_configENS1_25partition_config_selectorILNS1_17partition_subalgoE6EtNS0_10empty_typeEbEEZZNS1_14partition_implILS5_6ELb0ES3_mN6thrust23THRUST_200600_302600_NS6detail15normal_iteratorINSA_10device_ptrItEEEEPS6_SG_NS0_5tupleIJNSA_16discard_iteratorINSA_11use_defaultEEES6_EEENSH_IJSG_SG_EEES6_PlJNSB_9not_fun_tI7is_trueItEEEEEE10hipError_tPvRmT3_T4_T5_T6_T7_T9_mT8_P12ihipStream_tbDpT10_ENKUlT_T0_E_clISt17integral_constantIbLb0EES1B_EEDaS16_S17_EUlS16_E_NS1_11comp_targetILNS1_3genE0ELNS1_11target_archE4294967295ELNS1_3gpuE0ELNS1_3repE0EEENS1_30default_config_static_selectorELNS0_4arch9wavefront6targetE0EEEvT1_.num_agpr, 0
	.set _ZN7rocprim17ROCPRIM_400000_NS6detail17trampoline_kernelINS0_14default_configENS1_25partition_config_selectorILNS1_17partition_subalgoE6EtNS0_10empty_typeEbEEZZNS1_14partition_implILS5_6ELb0ES3_mN6thrust23THRUST_200600_302600_NS6detail15normal_iteratorINSA_10device_ptrItEEEEPS6_SG_NS0_5tupleIJNSA_16discard_iteratorINSA_11use_defaultEEES6_EEENSH_IJSG_SG_EEES6_PlJNSB_9not_fun_tI7is_trueItEEEEEE10hipError_tPvRmT3_T4_T5_T6_T7_T9_mT8_P12ihipStream_tbDpT10_ENKUlT_T0_E_clISt17integral_constantIbLb0EES1B_EEDaS16_S17_EUlS16_E_NS1_11comp_targetILNS1_3genE0ELNS1_11target_archE4294967295ELNS1_3gpuE0ELNS1_3repE0EEENS1_30default_config_static_selectorELNS0_4arch9wavefront6targetE0EEEvT1_.numbered_sgpr, 0
	.set _ZN7rocprim17ROCPRIM_400000_NS6detail17trampoline_kernelINS0_14default_configENS1_25partition_config_selectorILNS1_17partition_subalgoE6EtNS0_10empty_typeEbEEZZNS1_14partition_implILS5_6ELb0ES3_mN6thrust23THRUST_200600_302600_NS6detail15normal_iteratorINSA_10device_ptrItEEEEPS6_SG_NS0_5tupleIJNSA_16discard_iteratorINSA_11use_defaultEEES6_EEENSH_IJSG_SG_EEES6_PlJNSB_9not_fun_tI7is_trueItEEEEEE10hipError_tPvRmT3_T4_T5_T6_T7_T9_mT8_P12ihipStream_tbDpT10_ENKUlT_T0_E_clISt17integral_constantIbLb0EES1B_EEDaS16_S17_EUlS16_E_NS1_11comp_targetILNS1_3genE0ELNS1_11target_archE4294967295ELNS1_3gpuE0ELNS1_3repE0EEENS1_30default_config_static_selectorELNS0_4arch9wavefront6targetE0EEEvT1_.num_named_barrier, 0
	.set _ZN7rocprim17ROCPRIM_400000_NS6detail17trampoline_kernelINS0_14default_configENS1_25partition_config_selectorILNS1_17partition_subalgoE6EtNS0_10empty_typeEbEEZZNS1_14partition_implILS5_6ELb0ES3_mN6thrust23THRUST_200600_302600_NS6detail15normal_iteratorINSA_10device_ptrItEEEEPS6_SG_NS0_5tupleIJNSA_16discard_iteratorINSA_11use_defaultEEES6_EEENSH_IJSG_SG_EEES6_PlJNSB_9not_fun_tI7is_trueItEEEEEE10hipError_tPvRmT3_T4_T5_T6_T7_T9_mT8_P12ihipStream_tbDpT10_ENKUlT_T0_E_clISt17integral_constantIbLb0EES1B_EEDaS16_S17_EUlS16_E_NS1_11comp_targetILNS1_3genE0ELNS1_11target_archE4294967295ELNS1_3gpuE0ELNS1_3repE0EEENS1_30default_config_static_selectorELNS0_4arch9wavefront6targetE0EEEvT1_.private_seg_size, 0
	.set _ZN7rocprim17ROCPRIM_400000_NS6detail17trampoline_kernelINS0_14default_configENS1_25partition_config_selectorILNS1_17partition_subalgoE6EtNS0_10empty_typeEbEEZZNS1_14partition_implILS5_6ELb0ES3_mN6thrust23THRUST_200600_302600_NS6detail15normal_iteratorINSA_10device_ptrItEEEEPS6_SG_NS0_5tupleIJNSA_16discard_iteratorINSA_11use_defaultEEES6_EEENSH_IJSG_SG_EEES6_PlJNSB_9not_fun_tI7is_trueItEEEEEE10hipError_tPvRmT3_T4_T5_T6_T7_T9_mT8_P12ihipStream_tbDpT10_ENKUlT_T0_E_clISt17integral_constantIbLb0EES1B_EEDaS16_S17_EUlS16_E_NS1_11comp_targetILNS1_3genE0ELNS1_11target_archE4294967295ELNS1_3gpuE0ELNS1_3repE0EEENS1_30default_config_static_selectorELNS0_4arch9wavefront6targetE0EEEvT1_.uses_vcc, 0
	.set _ZN7rocprim17ROCPRIM_400000_NS6detail17trampoline_kernelINS0_14default_configENS1_25partition_config_selectorILNS1_17partition_subalgoE6EtNS0_10empty_typeEbEEZZNS1_14partition_implILS5_6ELb0ES3_mN6thrust23THRUST_200600_302600_NS6detail15normal_iteratorINSA_10device_ptrItEEEEPS6_SG_NS0_5tupleIJNSA_16discard_iteratorINSA_11use_defaultEEES6_EEENSH_IJSG_SG_EEES6_PlJNSB_9not_fun_tI7is_trueItEEEEEE10hipError_tPvRmT3_T4_T5_T6_T7_T9_mT8_P12ihipStream_tbDpT10_ENKUlT_T0_E_clISt17integral_constantIbLb0EES1B_EEDaS16_S17_EUlS16_E_NS1_11comp_targetILNS1_3genE0ELNS1_11target_archE4294967295ELNS1_3gpuE0ELNS1_3repE0EEENS1_30default_config_static_selectorELNS0_4arch9wavefront6targetE0EEEvT1_.uses_flat_scratch, 0
	.set _ZN7rocprim17ROCPRIM_400000_NS6detail17trampoline_kernelINS0_14default_configENS1_25partition_config_selectorILNS1_17partition_subalgoE6EtNS0_10empty_typeEbEEZZNS1_14partition_implILS5_6ELb0ES3_mN6thrust23THRUST_200600_302600_NS6detail15normal_iteratorINSA_10device_ptrItEEEEPS6_SG_NS0_5tupleIJNSA_16discard_iteratorINSA_11use_defaultEEES6_EEENSH_IJSG_SG_EEES6_PlJNSB_9not_fun_tI7is_trueItEEEEEE10hipError_tPvRmT3_T4_T5_T6_T7_T9_mT8_P12ihipStream_tbDpT10_ENKUlT_T0_E_clISt17integral_constantIbLb0EES1B_EEDaS16_S17_EUlS16_E_NS1_11comp_targetILNS1_3genE0ELNS1_11target_archE4294967295ELNS1_3gpuE0ELNS1_3repE0EEENS1_30default_config_static_selectorELNS0_4arch9wavefront6targetE0EEEvT1_.has_dyn_sized_stack, 0
	.set _ZN7rocprim17ROCPRIM_400000_NS6detail17trampoline_kernelINS0_14default_configENS1_25partition_config_selectorILNS1_17partition_subalgoE6EtNS0_10empty_typeEbEEZZNS1_14partition_implILS5_6ELb0ES3_mN6thrust23THRUST_200600_302600_NS6detail15normal_iteratorINSA_10device_ptrItEEEEPS6_SG_NS0_5tupleIJNSA_16discard_iteratorINSA_11use_defaultEEES6_EEENSH_IJSG_SG_EEES6_PlJNSB_9not_fun_tI7is_trueItEEEEEE10hipError_tPvRmT3_T4_T5_T6_T7_T9_mT8_P12ihipStream_tbDpT10_ENKUlT_T0_E_clISt17integral_constantIbLb0EES1B_EEDaS16_S17_EUlS16_E_NS1_11comp_targetILNS1_3genE0ELNS1_11target_archE4294967295ELNS1_3gpuE0ELNS1_3repE0EEENS1_30default_config_static_selectorELNS0_4arch9wavefront6targetE0EEEvT1_.has_recursion, 0
	.set _ZN7rocprim17ROCPRIM_400000_NS6detail17trampoline_kernelINS0_14default_configENS1_25partition_config_selectorILNS1_17partition_subalgoE6EtNS0_10empty_typeEbEEZZNS1_14partition_implILS5_6ELb0ES3_mN6thrust23THRUST_200600_302600_NS6detail15normal_iteratorINSA_10device_ptrItEEEEPS6_SG_NS0_5tupleIJNSA_16discard_iteratorINSA_11use_defaultEEES6_EEENSH_IJSG_SG_EEES6_PlJNSB_9not_fun_tI7is_trueItEEEEEE10hipError_tPvRmT3_T4_T5_T6_T7_T9_mT8_P12ihipStream_tbDpT10_ENKUlT_T0_E_clISt17integral_constantIbLb0EES1B_EEDaS16_S17_EUlS16_E_NS1_11comp_targetILNS1_3genE0ELNS1_11target_archE4294967295ELNS1_3gpuE0ELNS1_3repE0EEENS1_30default_config_static_selectorELNS0_4arch9wavefront6targetE0EEEvT1_.has_indirect_call, 0
	.section	.AMDGPU.csdata,"",@progbits
; Kernel info:
; codeLenInByte = 0
; TotalNumSgprs: 0
; NumVgprs: 0
; ScratchSize: 0
; MemoryBound: 0
; FloatMode: 240
; IeeeMode: 1
; LDSByteSize: 0 bytes/workgroup (compile time only)
; SGPRBlocks: 0
; VGPRBlocks: 0
; NumSGPRsForWavesPerEU: 1
; NumVGPRsForWavesPerEU: 1
; Occupancy: 16
; WaveLimiterHint : 0
; COMPUTE_PGM_RSRC2:SCRATCH_EN: 0
; COMPUTE_PGM_RSRC2:USER_SGPR: 2
; COMPUTE_PGM_RSRC2:TRAP_HANDLER: 0
; COMPUTE_PGM_RSRC2:TGID_X_EN: 1
; COMPUTE_PGM_RSRC2:TGID_Y_EN: 0
; COMPUTE_PGM_RSRC2:TGID_Z_EN: 0
; COMPUTE_PGM_RSRC2:TIDIG_COMP_CNT: 0
	.section	.text._ZN7rocprim17ROCPRIM_400000_NS6detail17trampoline_kernelINS0_14default_configENS1_25partition_config_selectorILNS1_17partition_subalgoE6EtNS0_10empty_typeEbEEZZNS1_14partition_implILS5_6ELb0ES3_mN6thrust23THRUST_200600_302600_NS6detail15normal_iteratorINSA_10device_ptrItEEEEPS6_SG_NS0_5tupleIJNSA_16discard_iteratorINSA_11use_defaultEEES6_EEENSH_IJSG_SG_EEES6_PlJNSB_9not_fun_tI7is_trueItEEEEEE10hipError_tPvRmT3_T4_T5_T6_T7_T9_mT8_P12ihipStream_tbDpT10_ENKUlT_T0_E_clISt17integral_constantIbLb0EES1B_EEDaS16_S17_EUlS16_E_NS1_11comp_targetILNS1_3genE5ELNS1_11target_archE942ELNS1_3gpuE9ELNS1_3repE0EEENS1_30default_config_static_selectorELNS0_4arch9wavefront6targetE0EEEvT1_,"axG",@progbits,_ZN7rocprim17ROCPRIM_400000_NS6detail17trampoline_kernelINS0_14default_configENS1_25partition_config_selectorILNS1_17partition_subalgoE6EtNS0_10empty_typeEbEEZZNS1_14partition_implILS5_6ELb0ES3_mN6thrust23THRUST_200600_302600_NS6detail15normal_iteratorINSA_10device_ptrItEEEEPS6_SG_NS0_5tupleIJNSA_16discard_iteratorINSA_11use_defaultEEES6_EEENSH_IJSG_SG_EEES6_PlJNSB_9not_fun_tI7is_trueItEEEEEE10hipError_tPvRmT3_T4_T5_T6_T7_T9_mT8_P12ihipStream_tbDpT10_ENKUlT_T0_E_clISt17integral_constantIbLb0EES1B_EEDaS16_S17_EUlS16_E_NS1_11comp_targetILNS1_3genE5ELNS1_11target_archE942ELNS1_3gpuE9ELNS1_3repE0EEENS1_30default_config_static_selectorELNS0_4arch9wavefront6targetE0EEEvT1_,comdat
	.protected	_ZN7rocprim17ROCPRIM_400000_NS6detail17trampoline_kernelINS0_14default_configENS1_25partition_config_selectorILNS1_17partition_subalgoE6EtNS0_10empty_typeEbEEZZNS1_14partition_implILS5_6ELb0ES3_mN6thrust23THRUST_200600_302600_NS6detail15normal_iteratorINSA_10device_ptrItEEEEPS6_SG_NS0_5tupleIJNSA_16discard_iteratorINSA_11use_defaultEEES6_EEENSH_IJSG_SG_EEES6_PlJNSB_9not_fun_tI7is_trueItEEEEEE10hipError_tPvRmT3_T4_T5_T6_T7_T9_mT8_P12ihipStream_tbDpT10_ENKUlT_T0_E_clISt17integral_constantIbLb0EES1B_EEDaS16_S17_EUlS16_E_NS1_11comp_targetILNS1_3genE5ELNS1_11target_archE942ELNS1_3gpuE9ELNS1_3repE0EEENS1_30default_config_static_selectorELNS0_4arch9wavefront6targetE0EEEvT1_ ; -- Begin function _ZN7rocprim17ROCPRIM_400000_NS6detail17trampoline_kernelINS0_14default_configENS1_25partition_config_selectorILNS1_17partition_subalgoE6EtNS0_10empty_typeEbEEZZNS1_14partition_implILS5_6ELb0ES3_mN6thrust23THRUST_200600_302600_NS6detail15normal_iteratorINSA_10device_ptrItEEEEPS6_SG_NS0_5tupleIJNSA_16discard_iteratorINSA_11use_defaultEEES6_EEENSH_IJSG_SG_EEES6_PlJNSB_9not_fun_tI7is_trueItEEEEEE10hipError_tPvRmT3_T4_T5_T6_T7_T9_mT8_P12ihipStream_tbDpT10_ENKUlT_T0_E_clISt17integral_constantIbLb0EES1B_EEDaS16_S17_EUlS16_E_NS1_11comp_targetILNS1_3genE5ELNS1_11target_archE942ELNS1_3gpuE9ELNS1_3repE0EEENS1_30default_config_static_selectorELNS0_4arch9wavefront6targetE0EEEvT1_
	.globl	_ZN7rocprim17ROCPRIM_400000_NS6detail17trampoline_kernelINS0_14default_configENS1_25partition_config_selectorILNS1_17partition_subalgoE6EtNS0_10empty_typeEbEEZZNS1_14partition_implILS5_6ELb0ES3_mN6thrust23THRUST_200600_302600_NS6detail15normal_iteratorINSA_10device_ptrItEEEEPS6_SG_NS0_5tupleIJNSA_16discard_iteratorINSA_11use_defaultEEES6_EEENSH_IJSG_SG_EEES6_PlJNSB_9not_fun_tI7is_trueItEEEEEE10hipError_tPvRmT3_T4_T5_T6_T7_T9_mT8_P12ihipStream_tbDpT10_ENKUlT_T0_E_clISt17integral_constantIbLb0EES1B_EEDaS16_S17_EUlS16_E_NS1_11comp_targetILNS1_3genE5ELNS1_11target_archE942ELNS1_3gpuE9ELNS1_3repE0EEENS1_30default_config_static_selectorELNS0_4arch9wavefront6targetE0EEEvT1_
	.p2align	8
	.type	_ZN7rocprim17ROCPRIM_400000_NS6detail17trampoline_kernelINS0_14default_configENS1_25partition_config_selectorILNS1_17partition_subalgoE6EtNS0_10empty_typeEbEEZZNS1_14partition_implILS5_6ELb0ES3_mN6thrust23THRUST_200600_302600_NS6detail15normal_iteratorINSA_10device_ptrItEEEEPS6_SG_NS0_5tupleIJNSA_16discard_iteratorINSA_11use_defaultEEES6_EEENSH_IJSG_SG_EEES6_PlJNSB_9not_fun_tI7is_trueItEEEEEE10hipError_tPvRmT3_T4_T5_T6_T7_T9_mT8_P12ihipStream_tbDpT10_ENKUlT_T0_E_clISt17integral_constantIbLb0EES1B_EEDaS16_S17_EUlS16_E_NS1_11comp_targetILNS1_3genE5ELNS1_11target_archE942ELNS1_3gpuE9ELNS1_3repE0EEENS1_30default_config_static_selectorELNS0_4arch9wavefront6targetE0EEEvT1_,@function
_ZN7rocprim17ROCPRIM_400000_NS6detail17trampoline_kernelINS0_14default_configENS1_25partition_config_selectorILNS1_17partition_subalgoE6EtNS0_10empty_typeEbEEZZNS1_14partition_implILS5_6ELb0ES3_mN6thrust23THRUST_200600_302600_NS6detail15normal_iteratorINSA_10device_ptrItEEEEPS6_SG_NS0_5tupleIJNSA_16discard_iteratorINSA_11use_defaultEEES6_EEENSH_IJSG_SG_EEES6_PlJNSB_9not_fun_tI7is_trueItEEEEEE10hipError_tPvRmT3_T4_T5_T6_T7_T9_mT8_P12ihipStream_tbDpT10_ENKUlT_T0_E_clISt17integral_constantIbLb0EES1B_EEDaS16_S17_EUlS16_E_NS1_11comp_targetILNS1_3genE5ELNS1_11target_archE942ELNS1_3gpuE9ELNS1_3repE0EEENS1_30default_config_static_selectorELNS0_4arch9wavefront6targetE0EEEvT1_: ; @_ZN7rocprim17ROCPRIM_400000_NS6detail17trampoline_kernelINS0_14default_configENS1_25partition_config_selectorILNS1_17partition_subalgoE6EtNS0_10empty_typeEbEEZZNS1_14partition_implILS5_6ELb0ES3_mN6thrust23THRUST_200600_302600_NS6detail15normal_iteratorINSA_10device_ptrItEEEEPS6_SG_NS0_5tupleIJNSA_16discard_iteratorINSA_11use_defaultEEES6_EEENSH_IJSG_SG_EEES6_PlJNSB_9not_fun_tI7is_trueItEEEEEE10hipError_tPvRmT3_T4_T5_T6_T7_T9_mT8_P12ihipStream_tbDpT10_ENKUlT_T0_E_clISt17integral_constantIbLb0EES1B_EEDaS16_S17_EUlS16_E_NS1_11comp_targetILNS1_3genE5ELNS1_11target_archE942ELNS1_3gpuE9ELNS1_3repE0EEENS1_30default_config_static_selectorELNS0_4arch9wavefront6targetE0EEEvT1_
; %bb.0:
	.section	.rodata,"a",@progbits
	.p2align	6, 0x0
	.amdhsa_kernel _ZN7rocprim17ROCPRIM_400000_NS6detail17trampoline_kernelINS0_14default_configENS1_25partition_config_selectorILNS1_17partition_subalgoE6EtNS0_10empty_typeEbEEZZNS1_14partition_implILS5_6ELb0ES3_mN6thrust23THRUST_200600_302600_NS6detail15normal_iteratorINSA_10device_ptrItEEEEPS6_SG_NS0_5tupleIJNSA_16discard_iteratorINSA_11use_defaultEEES6_EEENSH_IJSG_SG_EEES6_PlJNSB_9not_fun_tI7is_trueItEEEEEE10hipError_tPvRmT3_T4_T5_T6_T7_T9_mT8_P12ihipStream_tbDpT10_ENKUlT_T0_E_clISt17integral_constantIbLb0EES1B_EEDaS16_S17_EUlS16_E_NS1_11comp_targetILNS1_3genE5ELNS1_11target_archE942ELNS1_3gpuE9ELNS1_3repE0EEENS1_30default_config_static_selectorELNS0_4arch9wavefront6targetE0EEEvT1_
		.amdhsa_group_segment_fixed_size 0
		.amdhsa_private_segment_fixed_size 0
		.amdhsa_kernarg_size 120
		.amdhsa_user_sgpr_count 2
		.amdhsa_user_sgpr_dispatch_ptr 0
		.amdhsa_user_sgpr_queue_ptr 0
		.amdhsa_user_sgpr_kernarg_segment_ptr 1
		.amdhsa_user_sgpr_dispatch_id 0
		.amdhsa_user_sgpr_private_segment_size 0
		.amdhsa_wavefront_size32 1
		.amdhsa_uses_dynamic_stack 0
		.amdhsa_enable_private_segment 0
		.amdhsa_system_sgpr_workgroup_id_x 1
		.amdhsa_system_sgpr_workgroup_id_y 0
		.amdhsa_system_sgpr_workgroup_id_z 0
		.amdhsa_system_sgpr_workgroup_info 0
		.amdhsa_system_vgpr_workitem_id 0
		.amdhsa_next_free_vgpr 1
		.amdhsa_next_free_sgpr 1
		.amdhsa_reserve_vcc 0
		.amdhsa_float_round_mode_32 0
		.amdhsa_float_round_mode_16_64 0
		.amdhsa_float_denorm_mode_32 3
		.amdhsa_float_denorm_mode_16_64 3
		.amdhsa_fp16_overflow 0
		.amdhsa_workgroup_processor_mode 1
		.amdhsa_memory_ordered 1
		.amdhsa_forward_progress 1
		.amdhsa_inst_pref_size 0
		.amdhsa_round_robin_scheduling 0
		.amdhsa_exception_fp_ieee_invalid_op 0
		.amdhsa_exception_fp_denorm_src 0
		.amdhsa_exception_fp_ieee_div_zero 0
		.amdhsa_exception_fp_ieee_overflow 0
		.amdhsa_exception_fp_ieee_underflow 0
		.amdhsa_exception_fp_ieee_inexact 0
		.amdhsa_exception_int_div_zero 0
	.end_amdhsa_kernel
	.section	.text._ZN7rocprim17ROCPRIM_400000_NS6detail17trampoline_kernelINS0_14default_configENS1_25partition_config_selectorILNS1_17partition_subalgoE6EtNS0_10empty_typeEbEEZZNS1_14partition_implILS5_6ELb0ES3_mN6thrust23THRUST_200600_302600_NS6detail15normal_iteratorINSA_10device_ptrItEEEEPS6_SG_NS0_5tupleIJNSA_16discard_iteratorINSA_11use_defaultEEES6_EEENSH_IJSG_SG_EEES6_PlJNSB_9not_fun_tI7is_trueItEEEEEE10hipError_tPvRmT3_T4_T5_T6_T7_T9_mT8_P12ihipStream_tbDpT10_ENKUlT_T0_E_clISt17integral_constantIbLb0EES1B_EEDaS16_S17_EUlS16_E_NS1_11comp_targetILNS1_3genE5ELNS1_11target_archE942ELNS1_3gpuE9ELNS1_3repE0EEENS1_30default_config_static_selectorELNS0_4arch9wavefront6targetE0EEEvT1_,"axG",@progbits,_ZN7rocprim17ROCPRIM_400000_NS6detail17trampoline_kernelINS0_14default_configENS1_25partition_config_selectorILNS1_17partition_subalgoE6EtNS0_10empty_typeEbEEZZNS1_14partition_implILS5_6ELb0ES3_mN6thrust23THRUST_200600_302600_NS6detail15normal_iteratorINSA_10device_ptrItEEEEPS6_SG_NS0_5tupleIJNSA_16discard_iteratorINSA_11use_defaultEEES6_EEENSH_IJSG_SG_EEES6_PlJNSB_9not_fun_tI7is_trueItEEEEEE10hipError_tPvRmT3_T4_T5_T6_T7_T9_mT8_P12ihipStream_tbDpT10_ENKUlT_T0_E_clISt17integral_constantIbLb0EES1B_EEDaS16_S17_EUlS16_E_NS1_11comp_targetILNS1_3genE5ELNS1_11target_archE942ELNS1_3gpuE9ELNS1_3repE0EEENS1_30default_config_static_selectorELNS0_4arch9wavefront6targetE0EEEvT1_,comdat
.Lfunc_end2206:
	.size	_ZN7rocprim17ROCPRIM_400000_NS6detail17trampoline_kernelINS0_14default_configENS1_25partition_config_selectorILNS1_17partition_subalgoE6EtNS0_10empty_typeEbEEZZNS1_14partition_implILS5_6ELb0ES3_mN6thrust23THRUST_200600_302600_NS6detail15normal_iteratorINSA_10device_ptrItEEEEPS6_SG_NS0_5tupleIJNSA_16discard_iteratorINSA_11use_defaultEEES6_EEENSH_IJSG_SG_EEES6_PlJNSB_9not_fun_tI7is_trueItEEEEEE10hipError_tPvRmT3_T4_T5_T6_T7_T9_mT8_P12ihipStream_tbDpT10_ENKUlT_T0_E_clISt17integral_constantIbLb0EES1B_EEDaS16_S17_EUlS16_E_NS1_11comp_targetILNS1_3genE5ELNS1_11target_archE942ELNS1_3gpuE9ELNS1_3repE0EEENS1_30default_config_static_selectorELNS0_4arch9wavefront6targetE0EEEvT1_, .Lfunc_end2206-_ZN7rocprim17ROCPRIM_400000_NS6detail17trampoline_kernelINS0_14default_configENS1_25partition_config_selectorILNS1_17partition_subalgoE6EtNS0_10empty_typeEbEEZZNS1_14partition_implILS5_6ELb0ES3_mN6thrust23THRUST_200600_302600_NS6detail15normal_iteratorINSA_10device_ptrItEEEEPS6_SG_NS0_5tupleIJNSA_16discard_iteratorINSA_11use_defaultEEES6_EEENSH_IJSG_SG_EEES6_PlJNSB_9not_fun_tI7is_trueItEEEEEE10hipError_tPvRmT3_T4_T5_T6_T7_T9_mT8_P12ihipStream_tbDpT10_ENKUlT_T0_E_clISt17integral_constantIbLb0EES1B_EEDaS16_S17_EUlS16_E_NS1_11comp_targetILNS1_3genE5ELNS1_11target_archE942ELNS1_3gpuE9ELNS1_3repE0EEENS1_30default_config_static_selectorELNS0_4arch9wavefront6targetE0EEEvT1_
                                        ; -- End function
	.set _ZN7rocprim17ROCPRIM_400000_NS6detail17trampoline_kernelINS0_14default_configENS1_25partition_config_selectorILNS1_17partition_subalgoE6EtNS0_10empty_typeEbEEZZNS1_14partition_implILS5_6ELb0ES3_mN6thrust23THRUST_200600_302600_NS6detail15normal_iteratorINSA_10device_ptrItEEEEPS6_SG_NS0_5tupleIJNSA_16discard_iteratorINSA_11use_defaultEEES6_EEENSH_IJSG_SG_EEES6_PlJNSB_9not_fun_tI7is_trueItEEEEEE10hipError_tPvRmT3_T4_T5_T6_T7_T9_mT8_P12ihipStream_tbDpT10_ENKUlT_T0_E_clISt17integral_constantIbLb0EES1B_EEDaS16_S17_EUlS16_E_NS1_11comp_targetILNS1_3genE5ELNS1_11target_archE942ELNS1_3gpuE9ELNS1_3repE0EEENS1_30default_config_static_selectorELNS0_4arch9wavefront6targetE0EEEvT1_.num_vgpr, 0
	.set _ZN7rocprim17ROCPRIM_400000_NS6detail17trampoline_kernelINS0_14default_configENS1_25partition_config_selectorILNS1_17partition_subalgoE6EtNS0_10empty_typeEbEEZZNS1_14partition_implILS5_6ELb0ES3_mN6thrust23THRUST_200600_302600_NS6detail15normal_iteratorINSA_10device_ptrItEEEEPS6_SG_NS0_5tupleIJNSA_16discard_iteratorINSA_11use_defaultEEES6_EEENSH_IJSG_SG_EEES6_PlJNSB_9not_fun_tI7is_trueItEEEEEE10hipError_tPvRmT3_T4_T5_T6_T7_T9_mT8_P12ihipStream_tbDpT10_ENKUlT_T0_E_clISt17integral_constantIbLb0EES1B_EEDaS16_S17_EUlS16_E_NS1_11comp_targetILNS1_3genE5ELNS1_11target_archE942ELNS1_3gpuE9ELNS1_3repE0EEENS1_30default_config_static_selectorELNS0_4arch9wavefront6targetE0EEEvT1_.num_agpr, 0
	.set _ZN7rocprim17ROCPRIM_400000_NS6detail17trampoline_kernelINS0_14default_configENS1_25partition_config_selectorILNS1_17partition_subalgoE6EtNS0_10empty_typeEbEEZZNS1_14partition_implILS5_6ELb0ES3_mN6thrust23THRUST_200600_302600_NS6detail15normal_iteratorINSA_10device_ptrItEEEEPS6_SG_NS0_5tupleIJNSA_16discard_iteratorINSA_11use_defaultEEES6_EEENSH_IJSG_SG_EEES6_PlJNSB_9not_fun_tI7is_trueItEEEEEE10hipError_tPvRmT3_T4_T5_T6_T7_T9_mT8_P12ihipStream_tbDpT10_ENKUlT_T0_E_clISt17integral_constantIbLb0EES1B_EEDaS16_S17_EUlS16_E_NS1_11comp_targetILNS1_3genE5ELNS1_11target_archE942ELNS1_3gpuE9ELNS1_3repE0EEENS1_30default_config_static_selectorELNS0_4arch9wavefront6targetE0EEEvT1_.numbered_sgpr, 0
	.set _ZN7rocprim17ROCPRIM_400000_NS6detail17trampoline_kernelINS0_14default_configENS1_25partition_config_selectorILNS1_17partition_subalgoE6EtNS0_10empty_typeEbEEZZNS1_14partition_implILS5_6ELb0ES3_mN6thrust23THRUST_200600_302600_NS6detail15normal_iteratorINSA_10device_ptrItEEEEPS6_SG_NS0_5tupleIJNSA_16discard_iteratorINSA_11use_defaultEEES6_EEENSH_IJSG_SG_EEES6_PlJNSB_9not_fun_tI7is_trueItEEEEEE10hipError_tPvRmT3_T4_T5_T6_T7_T9_mT8_P12ihipStream_tbDpT10_ENKUlT_T0_E_clISt17integral_constantIbLb0EES1B_EEDaS16_S17_EUlS16_E_NS1_11comp_targetILNS1_3genE5ELNS1_11target_archE942ELNS1_3gpuE9ELNS1_3repE0EEENS1_30default_config_static_selectorELNS0_4arch9wavefront6targetE0EEEvT1_.num_named_barrier, 0
	.set _ZN7rocprim17ROCPRIM_400000_NS6detail17trampoline_kernelINS0_14default_configENS1_25partition_config_selectorILNS1_17partition_subalgoE6EtNS0_10empty_typeEbEEZZNS1_14partition_implILS5_6ELb0ES3_mN6thrust23THRUST_200600_302600_NS6detail15normal_iteratorINSA_10device_ptrItEEEEPS6_SG_NS0_5tupleIJNSA_16discard_iteratorINSA_11use_defaultEEES6_EEENSH_IJSG_SG_EEES6_PlJNSB_9not_fun_tI7is_trueItEEEEEE10hipError_tPvRmT3_T4_T5_T6_T7_T9_mT8_P12ihipStream_tbDpT10_ENKUlT_T0_E_clISt17integral_constantIbLb0EES1B_EEDaS16_S17_EUlS16_E_NS1_11comp_targetILNS1_3genE5ELNS1_11target_archE942ELNS1_3gpuE9ELNS1_3repE0EEENS1_30default_config_static_selectorELNS0_4arch9wavefront6targetE0EEEvT1_.private_seg_size, 0
	.set _ZN7rocprim17ROCPRIM_400000_NS6detail17trampoline_kernelINS0_14default_configENS1_25partition_config_selectorILNS1_17partition_subalgoE6EtNS0_10empty_typeEbEEZZNS1_14partition_implILS5_6ELb0ES3_mN6thrust23THRUST_200600_302600_NS6detail15normal_iteratorINSA_10device_ptrItEEEEPS6_SG_NS0_5tupleIJNSA_16discard_iteratorINSA_11use_defaultEEES6_EEENSH_IJSG_SG_EEES6_PlJNSB_9not_fun_tI7is_trueItEEEEEE10hipError_tPvRmT3_T4_T5_T6_T7_T9_mT8_P12ihipStream_tbDpT10_ENKUlT_T0_E_clISt17integral_constantIbLb0EES1B_EEDaS16_S17_EUlS16_E_NS1_11comp_targetILNS1_3genE5ELNS1_11target_archE942ELNS1_3gpuE9ELNS1_3repE0EEENS1_30default_config_static_selectorELNS0_4arch9wavefront6targetE0EEEvT1_.uses_vcc, 0
	.set _ZN7rocprim17ROCPRIM_400000_NS6detail17trampoline_kernelINS0_14default_configENS1_25partition_config_selectorILNS1_17partition_subalgoE6EtNS0_10empty_typeEbEEZZNS1_14partition_implILS5_6ELb0ES3_mN6thrust23THRUST_200600_302600_NS6detail15normal_iteratorINSA_10device_ptrItEEEEPS6_SG_NS0_5tupleIJNSA_16discard_iteratorINSA_11use_defaultEEES6_EEENSH_IJSG_SG_EEES6_PlJNSB_9not_fun_tI7is_trueItEEEEEE10hipError_tPvRmT3_T4_T5_T6_T7_T9_mT8_P12ihipStream_tbDpT10_ENKUlT_T0_E_clISt17integral_constantIbLb0EES1B_EEDaS16_S17_EUlS16_E_NS1_11comp_targetILNS1_3genE5ELNS1_11target_archE942ELNS1_3gpuE9ELNS1_3repE0EEENS1_30default_config_static_selectorELNS0_4arch9wavefront6targetE0EEEvT1_.uses_flat_scratch, 0
	.set _ZN7rocprim17ROCPRIM_400000_NS6detail17trampoline_kernelINS0_14default_configENS1_25partition_config_selectorILNS1_17partition_subalgoE6EtNS0_10empty_typeEbEEZZNS1_14partition_implILS5_6ELb0ES3_mN6thrust23THRUST_200600_302600_NS6detail15normal_iteratorINSA_10device_ptrItEEEEPS6_SG_NS0_5tupleIJNSA_16discard_iteratorINSA_11use_defaultEEES6_EEENSH_IJSG_SG_EEES6_PlJNSB_9not_fun_tI7is_trueItEEEEEE10hipError_tPvRmT3_T4_T5_T6_T7_T9_mT8_P12ihipStream_tbDpT10_ENKUlT_T0_E_clISt17integral_constantIbLb0EES1B_EEDaS16_S17_EUlS16_E_NS1_11comp_targetILNS1_3genE5ELNS1_11target_archE942ELNS1_3gpuE9ELNS1_3repE0EEENS1_30default_config_static_selectorELNS0_4arch9wavefront6targetE0EEEvT1_.has_dyn_sized_stack, 0
	.set _ZN7rocprim17ROCPRIM_400000_NS6detail17trampoline_kernelINS0_14default_configENS1_25partition_config_selectorILNS1_17partition_subalgoE6EtNS0_10empty_typeEbEEZZNS1_14partition_implILS5_6ELb0ES3_mN6thrust23THRUST_200600_302600_NS6detail15normal_iteratorINSA_10device_ptrItEEEEPS6_SG_NS0_5tupleIJNSA_16discard_iteratorINSA_11use_defaultEEES6_EEENSH_IJSG_SG_EEES6_PlJNSB_9not_fun_tI7is_trueItEEEEEE10hipError_tPvRmT3_T4_T5_T6_T7_T9_mT8_P12ihipStream_tbDpT10_ENKUlT_T0_E_clISt17integral_constantIbLb0EES1B_EEDaS16_S17_EUlS16_E_NS1_11comp_targetILNS1_3genE5ELNS1_11target_archE942ELNS1_3gpuE9ELNS1_3repE0EEENS1_30default_config_static_selectorELNS0_4arch9wavefront6targetE0EEEvT1_.has_recursion, 0
	.set _ZN7rocprim17ROCPRIM_400000_NS6detail17trampoline_kernelINS0_14default_configENS1_25partition_config_selectorILNS1_17partition_subalgoE6EtNS0_10empty_typeEbEEZZNS1_14partition_implILS5_6ELb0ES3_mN6thrust23THRUST_200600_302600_NS6detail15normal_iteratorINSA_10device_ptrItEEEEPS6_SG_NS0_5tupleIJNSA_16discard_iteratorINSA_11use_defaultEEES6_EEENSH_IJSG_SG_EEES6_PlJNSB_9not_fun_tI7is_trueItEEEEEE10hipError_tPvRmT3_T4_T5_T6_T7_T9_mT8_P12ihipStream_tbDpT10_ENKUlT_T0_E_clISt17integral_constantIbLb0EES1B_EEDaS16_S17_EUlS16_E_NS1_11comp_targetILNS1_3genE5ELNS1_11target_archE942ELNS1_3gpuE9ELNS1_3repE0EEENS1_30default_config_static_selectorELNS0_4arch9wavefront6targetE0EEEvT1_.has_indirect_call, 0
	.section	.AMDGPU.csdata,"",@progbits
; Kernel info:
; codeLenInByte = 0
; TotalNumSgprs: 0
; NumVgprs: 0
; ScratchSize: 0
; MemoryBound: 0
; FloatMode: 240
; IeeeMode: 1
; LDSByteSize: 0 bytes/workgroup (compile time only)
; SGPRBlocks: 0
; VGPRBlocks: 0
; NumSGPRsForWavesPerEU: 1
; NumVGPRsForWavesPerEU: 1
; Occupancy: 16
; WaveLimiterHint : 0
; COMPUTE_PGM_RSRC2:SCRATCH_EN: 0
; COMPUTE_PGM_RSRC2:USER_SGPR: 2
; COMPUTE_PGM_RSRC2:TRAP_HANDLER: 0
; COMPUTE_PGM_RSRC2:TGID_X_EN: 1
; COMPUTE_PGM_RSRC2:TGID_Y_EN: 0
; COMPUTE_PGM_RSRC2:TGID_Z_EN: 0
; COMPUTE_PGM_RSRC2:TIDIG_COMP_CNT: 0
	.section	.text._ZN7rocprim17ROCPRIM_400000_NS6detail17trampoline_kernelINS0_14default_configENS1_25partition_config_selectorILNS1_17partition_subalgoE6EtNS0_10empty_typeEbEEZZNS1_14partition_implILS5_6ELb0ES3_mN6thrust23THRUST_200600_302600_NS6detail15normal_iteratorINSA_10device_ptrItEEEEPS6_SG_NS0_5tupleIJNSA_16discard_iteratorINSA_11use_defaultEEES6_EEENSH_IJSG_SG_EEES6_PlJNSB_9not_fun_tI7is_trueItEEEEEE10hipError_tPvRmT3_T4_T5_T6_T7_T9_mT8_P12ihipStream_tbDpT10_ENKUlT_T0_E_clISt17integral_constantIbLb0EES1B_EEDaS16_S17_EUlS16_E_NS1_11comp_targetILNS1_3genE4ELNS1_11target_archE910ELNS1_3gpuE8ELNS1_3repE0EEENS1_30default_config_static_selectorELNS0_4arch9wavefront6targetE0EEEvT1_,"axG",@progbits,_ZN7rocprim17ROCPRIM_400000_NS6detail17trampoline_kernelINS0_14default_configENS1_25partition_config_selectorILNS1_17partition_subalgoE6EtNS0_10empty_typeEbEEZZNS1_14partition_implILS5_6ELb0ES3_mN6thrust23THRUST_200600_302600_NS6detail15normal_iteratorINSA_10device_ptrItEEEEPS6_SG_NS0_5tupleIJNSA_16discard_iteratorINSA_11use_defaultEEES6_EEENSH_IJSG_SG_EEES6_PlJNSB_9not_fun_tI7is_trueItEEEEEE10hipError_tPvRmT3_T4_T5_T6_T7_T9_mT8_P12ihipStream_tbDpT10_ENKUlT_T0_E_clISt17integral_constantIbLb0EES1B_EEDaS16_S17_EUlS16_E_NS1_11comp_targetILNS1_3genE4ELNS1_11target_archE910ELNS1_3gpuE8ELNS1_3repE0EEENS1_30default_config_static_selectorELNS0_4arch9wavefront6targetE0EEEvT1_,comdat
	.protected	_ZN7rocprim17ROCPRIM_400000_NS6detail17trampoline_kernelINS0_14default_configENS1_25partition_config_selectorILNS1_17partition_subalgoE6EtNS0_10empty_typeEbEEZZNS1_14partition_implILS5_6ELb0ES3_mN6thrust23THRUST_200600_302600_NS6detail15normal_iteratorINSA_10device_ptrItEEEEPS6_SG_NS0_5tupleIJNSA_16discard_iteratorINSA_11use_defaultEEES6_EEENSH_IJSG_SG_EEES6_PlJNSB_9not_fun_tI7is_trueItEEEEEE10hipError_tPvRmT3_T4_T5_T6_T7_T9_mT8_P12ihipStream_tbDpT10_ENKUlT_T0_E_clISt17integral_constantIbLb0EES1B_EEDaS16_S17_EUlS16_E_NS1_11comp_targetILNS1_3genE4ELNS1_11target_archE910ELNS1_3gpuE8ELNS1_3repE0EEENS1_30default_config_static_selectorELNS0_4arch9wavefront6targetE0EEEvT1_ ; -- Begin function _ZN7rocprim17ROCPRIM_400000_NS6detail17trampoline_kernelINS0_14default_configENS1_25partition_config_selectorILNS1_17partition_subalgoE6EtNS0_10empty_typeEbEEZZNS1_14partition_implILS5_6ELb0ES3_mN6thrust23THRUST_200600_302600_NS6detail15normal_iteratorINSA_10device_ptrItEEEEPS6_SG_NS0_5tupleIJNSA_16discard_iteratorINSA_11use_defaultEEES6_EEENSH_IJSG_SG_EEES6_PlJNSB_9not_fun_tI7is_trueItEEEEEE10hipError_tPvRmT3_T4_T5_T6_T7_T9_mT8_P12ihipStream_tbDpT10_ENKUlT_T0_E_clISt17integral_constantIbLb0EES1B_EEDaS16_S17_EUlS16_E_NS1_11comp_targetILNS1_3genE4ELNS1_11target_archE910ELNS1_3gpuE8ELNS1_3repE0EEENS1_30default_config_static_selectorELNS0_4arch9wavefront6targetE0EEEvT1_
	.globl	_ZN7rocprim17ROCPRIM_400000_NS6detail17trampoline_kernelINS0_14default_configENS1_25partition_config_selectorILNS1_17partition_subalgoE6EtNS0_10empty_typeEbEEZZNS1_14partition_implILS5_6ELb0ES3_mN6thrust23THRUST_200600_302600_NS6detail15normal_iteratorINSA_10device_ptrItEEEEPS6_SG_NS0_5tupleIJNSA_16discard_iteratorINSA_11use_defaultEEES6_EEENSH_IJSG_SG_EEES6_PlJNSB_9not_fun_tI7is_trueItEEEEEE10hipError_tPvRmT3_T4_T5_T6_T7_T9_mT8_P12ihipStream_tbDpT10_ENKUlT_T0_E_clISt17integral_constantIbLb0EES1B_EEDaS16_S17_EUlS16_E_NS1_11comp_targetILNS1_3genE4ELNS1_11target_archE910ELNS1_3gpuE8ELNS1_3repE0EEENS1_30default_config_static_selectorELNS0_4arch9wavefront6targetE0EEEvT1_
	.p2align	8
	.type	_ZN7rocprim17ROCPRIM_400000_NS6detail17trampoline_kernelINS0_14default_configENS1_25partition_config_selectorILNS1_17partition_subalgoE6EtNS0_10empty_typeEbEEZZNS1_14partition_implILS5_6ELb0ES3_mN6thrust23THRUST_200600_302600_NS6detail15normal_iteratorINSA_10device_ptrItEEEEPS6_SG_NS0_5tupleIJNSA_16discard_iteratorINSA_11use_defaultEEES6_EEENSH_IJSG_SG_EEES6_PlJNSB_9not_fun_tI7is_trueItEEEEEE10hipError_tPvRmT3_T4_T5_T6_T7_T9_mT8_P12ihipStream_tbDpT10_ENKUlT_T0_E_clISt17integral_constantIbLb0EES1B_EEDaS16_S17_EUlS16_E_NS1_11comp_targetILNS1_3genE4ELNS1_11target_archE910ELNS1_3gpuE8ELNS1_3repE0EEENS1_30default_config_static_selectorELNS0_4arch9wavefront6targetE0EEEvT1_,@function
_ZN7rocprim17ROCPRIM_400000_NS6detail17trampoline_kernelINS0_14default_configENS1_25partition_config_selectorILNS1_17partition_subalgoE6EtNS0_10empty_typeEbEEZZNS1_14partition_implILS5_6ELb0ES3_mN6thrust23THRUST_200600_302600_NS6detail15normal_iteratorINSA_10device_ptrItEEEEPS6_SG_NS0_5tupleIJNSA_16discard_iteratorINSA_11use_defaultEEES6_EEENSH_IJSG_SG_EEES6_PlJNSB_9not_fun_tI7is_trueItEEEEEE10hipError_tPvRmT3_T4_T5_T6_T7_T9_mT8_P12ihipStream_tbDpT10_ENKUlT_T0_E_clISt17integral_constantIbLb0EES1B_EEDaS16_S17_EUlS16_E_NS1_11comp_targetILNS1_3genE4ELNS1_11target_archE910ELNS1_3gpuE8ELNS1_3repE0EEENS1_30default_config_static_selectorELNS0_4arch9wavefront6targetE0EEEvT1_: ; @_ZN7rocprim17ROCPRIM_400000_NS6detail17trampoline_kernelINS0_14default_configENS1_25partition_config_selectorILNS1_17partition_subalgoE6EtNS0_10empty_typeEbEEZZNS1_14partition_implILS5_6ELb0ES3_mN6thrust23THRUST_200600_302600_NS6detail15normal_iteratorINSA_10device_ptrItEEEEPS6_SG_NS0_5tupleIJNSA_16discard_iteratorINSA_11use_defaultEEES6_EEENSH_IJSG_SG_EEES6_PlJNSB_9not_fun_tI7is_trueItEEEEEE10hipError_tPvRmT3_T4_T5_T6_T7_T9_mT8_P12ihipStream_tbDpT10_ENKUlT_T0_E_clISt17integral_constantIbLb0EES1B_EEDaS16_S17_EUlS16_E_NS1_11comp_targetILNS1_3genE4ELNS1_11target_archE910ELNS1_3gpuE8ELNS1_3repE0EEENS1_30default_config_static_selectorELNS0_4arch9wavefront6targetE0EEEvT1_
; %bb.0:
	.section	.rodata,"a",@progbits
	.p2align	6, 0x0
	.amdhsa_kernel _ZN7rocprim17ROCPRIM_400000_NS6detail17trampoline_kernelINS0_14default_configENS1_25partition_config_selectorILNS1_17partition_subalgoE6EtNS0_10empty_typeEbEEZZNS1_14partition_implILS5_6ELb0ES3_mN6thrust23THRUST_200600_302600_NS6detail15normal_iteratorINSA_10device_ptrItEEEEPS6_SG_NS0_5tupleIJNSA_16discard_iteratorINSA_11use_defaultEEES6_EEENSH_IJSG_SG_EEES6_PlJNSB_9not_fun_tI7is_trueItEEEEEE10hipError_tPvRmT3_T4_T5_T6_T7_T9_mT8_P12ihipStream_tbDpT10_ENKUlT_T0_E_clISt17integral_constantIbLb0EES1B_EEDaS16_S17_EUlS16_E_NS1_11comp_targetILNS1_3genE4ELNS1_11target_archE910ELNS1_3gpuE8ELNS1_3repE0EEENS1_30default_config_static_selectorELNS0_4arch9wavefront6targetE0EEEvT1_
		.amdhsa_group_segment_fixed_size 0
		.amdhsa_private_segment_fixed_size 0
		.amdhsa_kernarg_size 120
		.amdhsa_user_sgpr_count 2
		.amdhsa_user_sgpr_dispatch_ptr 0
		.amdhsa_user_sgpr_queue_ptr 0
		.amdhsa_user_sgpr_kernarg_segment_ptr 1
		.amdhsa_user_sgpr_dispatch_id 0
		.amdhsa_user_sgpr_private_segment_size 0
		.amdhsa_wavefront_size32 1
		.amdhsa_uses_dynamic_stack 0
		.amdhsa_enable_private_segment 0
		.amdhsa_system_sgpr_workgroup_id_x 1
		.amdhsa_system_sgpr_workgroup_id_y 0
		.amdhsa_system_sgpr_workgroup_id_z 0
		.amdhsa_system_sgpr_workgroup_info 0
		.amdhsa_system_vgpr_workitem_id 0
		.amdhsa_next_free_vgpr 1
		.amdhsa_next_free_sgpr 1
		.amdhsa_reserve_vcc 0
		.amdhsa_float_round_mode_32 0
		.amdhsa_float_round_mode_16_64 0
		.amdhsa_float_denorm_mode_32 3
		.amdhsa_float_denorm_mode_16_64 3
		.amdhsa_fp16_overflow 0
		.amdhsa_workgroup_processor_mode 1
		.amdhsa_memory_ordered 1
		.amdhsa_forward_progress 1
		.amdhsa_inst_pref_size 0
		.amdhsa_round_robin_scheduling 0
		.amdhsa_exception_fp_ieee_invalid_op 0
		.amdhsa_exception_fp_denorm_src 0
		.amdhsa_exception_fp_ieee_div_zero 0
		.amdhsa_exception_fp_ieee_overflow 0
		.amdhsa_exception_fp_ieee_underflow 0
		.amdhsa_exception_fp_ieee_inexact 0
		.amdhsa_exception_int_div_zero 0
	.end_amdhsa_kernel
	.section	.text._ZN7rocprim17ROCPRIM_400000_NS6detail17trampoline_kernelINS0_14default_configENS1_25partition_config_selectorILNS1_17partition_subalgoE6EtNS0_10empty_typeEbEEZZNS1_14partition_implILS5_6ELb0ES3_mN6thrust23THRUST_200600_302600_NS6detail15normal_iteratorINSA_10device_ptrItEEEEPS6_SG_NS0_5tupleIJNSA_16discard_iteratorINSA_11use_defaultEEES6_EEENSH_IJSG_SG_EEES6_PlJNSB_9not_fun_tI7is_trueItEEEEEE10hipError_tPvRmT3_T4_T5_T6_T7_T9_mT8_P12ihipStream_tbDpT10_ENKUlT_T0_E_clISt17integral_constantIbLb0EES1B_EEDaS16_S17_EUlS16_E_NS1_11comp_targetILNS1_3genE4ELNS1_11target_archE910ELNS1_3gpuE8ELNS1_3repE0EEENS1_30default_config_static_selectorELNS0_4arch9wavefront6targetE0EEEvT1_,"axG",@progbits,_ZN7rocprim17ROCPRIM_400000_NS6detail17trampoline_kernelINS0_14default_configENS1_25partition_config_selectorILNS1_17partition_subalgoE6EtNS0_10empty_typeEbEEZZNS1_14partition_implILS5_6ELb0ES3_mN6thrust23THRUST_200600_302600_NS6detail15normal_iteratorINSA_10device_ptrItEEEEPS6_SG_NS0_5tupleIJNSA_16discard_iteratorINSA_11use_defaultEEES6_EEENSH_IJSG_SG_EEES6_PlJNSB_9not_fun_tI7is_trueItEEEEEE10hipError_tPvRmT3_T4_T5_T6_T7_T9_mT8_P12ihipStream_tbDpT10_ENKUlT_T0_E_clISt17integral_constantIbLb0EES1B_EEDaS16_S17_EUlS16_E_NS1_11comp_targetILNS1_3genE4ELNS1_11target_archE910ELNS1_3gpuE8ELNS1_3repE0EEENS1_30default_config_static_selectorELNS0_4arch9wavefront6targetE0EEEvT1_,comdat
.Lfunc_end2207:
	.size	_ZN7rocprim17ROCPRIM_400000_NS6detail17trampoline_kernelINS0_14default_configENS1_25partition_config_selectorILNS1_17partition_subalgoE6EtNS0_10empty_typeEbEEZZNS1_14partition_implILS5_6ELb0ES3_mN6thrust23THRUST_200600_302600_NS6detail15normal_iteratorINSA_10device_ptrItEEEEPS6_SG_NS0_5tupleIJNSA_16discard_iteratorINSA_11use_defaultEEES6_EEENSH_IJSG_SG_EEES6_PlJNSB_9not_fun_tI7is_trueItEEEEEE10hipError_tPvRmT3_T4_T5_T6_T7_T9_mT8_P12ihipStream_tbDpT10_ENKUlT_T0_E_clISt17integral_constantIbLb0EES1B_EEDaS16_S17_EUlS16_E_NS1_11comp_targetILNS1_3genE4ELNS1_11target_archE910ELNS1_3gpuE8ELNS1_3repE0EEENS1_30default_config_static_selectorELNS0_4arch9wavefront6targetE0EEEvT1_, .Lfunc_end2207-_ZN7rocprim17ROCPRIM_400000_NS6detail17trampoline_kernelINS0_14default_configENS1_25partition_config_selectorILNS1_17partition_subalgoE6EtNS0_10empty_typeEbEEZZNS1_14partition_implILS5_6ELb0ES3_mN6thrust23THRUST_200600_302600_NS6detail15normal_iteratorINSA_10device_ptrItEEEEPS6_SG_NS0_5tupleIJNSA_16discard_iteratorINSA_11use_defaultEEES6_EEENSH_IJSG_SG_EEES6_PlJNSB_9not_fun_tI7is_trueItEEEEEE10hipError_tPvRmT3_T4_T5_T6_T7_T9_mT8_P12ihipStream_tbDpT10_ENKUlT_T0_E_clISt17integral_constantIbLb0EES1B_EEDaS16_S17_EUlS16_E_NS1_11comp_targetILNS1_3genE4ELNS1_11target_archE910ELNS1_3gpuE8ELNS1_3repE0EEENS1_30default_config_static_selectorELNS0_4arch9wavefront6targetE0EEEvT1_
                                        ; -- End function
	.set _ZN7rocprim17ROCPRIM_400000_NS6detail17trampoline_kernelINS0_14default_configENS1_25partition_config_selectorILNS1_17partition_subalgoE6EtNS0_10empty_typeEbEEZZNS1_14partition_implILS5_6ELb0ES3_mN6thrust23THRUST_200600_302600_NS6detail15normal_iteratorINSA_10device_ptrItEEEEPS6_SG_NS0_5tupleIJNSA_16discard_iteratorINSA_11use_defaultEEES6_EEENSH_IJSG_SG_EEES6_PlJNSB_9not_fun_tI7is_trueItEEEEEE10hipError_tPvRmT3_T4_T5_T6_T7_T9_mT8_P12ihipStream_tbDpT10_ENKUlT_T0_E_clISt17integral_constantIbLb0EES1B_EEDaS16_S17_EUlS16_E_NS1_11comp_targetILNS1_3genE4ELNS1_11target_archE910ELNS1_3gpuE8ELNS1_3repE0EEENS1_30default_config_static_selectorELNS0_4arch9wavefront6targetE0EEEvT1_.num_vgpr, 0
	.set _ZN7rocprim17ROCPRIM_400000_NS6detail17trampoline_kernelINS0_14default_configENS1_25partition_config_selectorILNS1_17partition_subalgoE6EtNS0_10empty_typeEbEEZZNS1_14partition_implILS5_6ELb0ES3_mN6thrust23THRUST_200600_302600_NS6detail15normal_iteratorINSA_10device_ptrItEEEEPS6_SG_NS0_5tupleIJNSA_16discard_iteratorINSA_11use_defaultEEES6_EEENSH_IJSG_SG_EEES6_PlJNSB_9not_fun_tI7is_trueItEEEEEE10hipError_tPvRmT3_T4_T5_T6_T7_T9_mT8_P12ihipStream_tbDpT10_ENKUlT_T0_E_clISt17integral_constantIbLb0EES1B_EEDaS16_S17_EUlS16_E_NS1_11comp_targetILNS1_3genE4ELNS1_11target_archE910ELNS1_3gpuE8ELNS1_3repE0EEENS1_30default_config_static_selectorELNS0_4arch9wavefront6targetE0EEEvT1_.num_agpr, 0
	.set _ZN7rocprim17ROCPRIM_400000_NS6detail17trampoline_kernelINS0_14default_configENS1_25partition_config_selectorILNS1_17partition_subalgoE6EtNS0_10empty_typeEbEEZZNS1_14partition_implILS5_6ELb0ES3_mN6thrust23THRUST_200600_302600_NS6detail15normal_iteratorINSA_10device_ptrItEEEEPS6_SG_NS0_5tupleIJNSA_16discard_iteratorINSA_11use_defaultEEES6_EEENSH_IJSG_SG_EEES6_PlJNSB_9not_fun_tI7is_trueItEEEEEE10hipError_tPvRmT3_T4_T5_T6_T7_T9_mT8_P12ihipStream_tbDpT10_ENKUlT_T0_E_clISt17integral_constantIbLb0EES1B_EEDaS16_S17_EUlS16_E_NS1_11comp_targetILNS1_3genE4ELNS1_11target_archE910ELNS1_3gpuE8ELNS1_3repE0EEENS1_30default_config_static_selectorELNS0_4arch9wavefront6targetE0EEEvT1_.numbered_sgpr, 0
	.set _ZN7rocprim17ROCPRIM_400000_NS6detail17trampoline_kernelINS0_14default_configENS1_25partition_config_selectorILNS1_17partition_subalgoE6EtNS0_10empty_typeEbEEZZNS1_14partition_implILS5_6ELb0ES3_mN6thrust23THRUST_200600_302600_NS6detail15normal_iteratorINSA_10device_ptrItEEEEPS6_SG_NS0_5tupleIJNSA_16discard_iteratorINSA_11use_defaultEEES6_EEENSH_IJSG_SG_EEES6_PlJNSB_9not_fun_tI7is_trueItEEEEEE10hipError_tPvRmT3_T4_T5_T6_T7_T9_mT8_P12ihipStream_tbDpT10_ENKUlT_T0_E_clISt17integral_constantIbLb0EES1B_EEDaS16_S17_EUlS16_E_NS1_11comp_targetILNS1_3genE4ELNS1_11target_archE910ELNS1_3gpuE8ELNS1_3repE0EEENS1_30default_config_static_selectorELNS0_4arch9wavefront6targetE0EEEvT1_.num_named_barrier, 0
	.set _ZN7rocprim17ROCPRIM_400000_NS6detail17trampoline_kernelINS0_14default_configENS1_25partition_config_selectorILNS1_17partition_subalgoE6EtNS0_10empty_typeEbEEZZNS1_14partition_implILS5_6ELb0ES3_mN6thrust23THRUST_200600_302600_NS6detail15normal_iteratorINSA_10device_ptrItEEEEPS6_SG_NS0_5tupleIJNSA_16discard_iteratorINSA_11use_defaultEEES6_EEENSH_IJSG_SG_EEES6_PlJNSB_9not_fun_tI7is_trueItEEEEEE10hipError_tPvRmT3_T4_T5_T6_T7_T9_mT8_P12ihipStream_tbDpT10_ENKUlT_T0_E_clISt17integral_constantIbLb0EES1B_EEDaS16_S17_EUlS16_E_NS1_11comp_targetILNS1_3genE4ELNS1_11target_archE910ELNS1_3gpuE8ELNS1_3repE0EEENS1_30default_config_static_selectorELNS0_4arch9wavefront6targetE0EEEvT1_.private_seg_size, 0
	.set _ZN7rocprim17ROCPRIM_400000_NS6detail17trampoline_kernelINS0_14default_configENS1_25partition_config_selectorILNS1_17partition_subalgoE6EtNS0_10empty_typeEbEEZZNS1_14partition_implILS5_6ELb0ES3_mN6thrust23THRUST_200600_302600_NS6detail15normal_iteratorINSA_10device_ptrItEEEEPS6_SG_NS0_5tupleIJNSA_16discard_iteratorINSA_11use_defaultEEES6_EEENSH_IJSG_SG_EEES6_PlJNSB_9not_fun_tI7is_trueItEEEEEE10hipError_tPvRmT3_T4_T5_T6_T7_T9_mT8_P12ihipStream_tbDpT10_ENKUlT_T0_E_clISt17integral_constantIbLb0EES1B_EEDaS16_S17_EUlS16_E_NS1_11comp_targetILNS1_3genE4ELNS1_11target_archE910ELNS1_3gpuE8ELNS1_3repE0EEENS1_30default_config_static_selectorELNS0_4arch9wavefront6targetE0EEEvT1_.uses_vcc, 0
	.set _ZN7rocprim17ROCPRIM_400000_NS6detail17trampoline_kernelINS0_14default_configENS1_25partition_config_selectorILNS1_17partition_subalgoE6EtNS0_10empty_typeEbEEZZNS1_14partition_implILS5_6ELb0ES3_mN6thrust23THRUST_200600_302600_NS6detail15normal_iteratorINSA_10device_ptrItEEEEPS6_SG_NS0_5tupleIJNSA_16discard_iteratorINSA_11use_defaultEEES6_EEENSH_IJSG_SG_EEES6_PlJNSB_9not_fun_tI7is_trueItEEEEEE10hipError_tPvRmT3_T4_T5_T6_T7_T9_mT8_P12ihipStream_tbDpT10_ENKUlT_T0_E_clISt17integral_constantIbLb0EES1B_EEDaS16_S17_EUlS16_E_NS1_11comp_targetILNS1_3genE4ELNS1_11target_archE910ELNS1_3gpuE8ELNS1_3repE0EEENS1_30default_config_static_selectorELNS0_4arch9wavefront6targetE0EEEvT1_.uses_flat_scratch, 0
	.set _ZN7rocprim17ROCPRIM_400000_NS6detail17trampoline_kernelINS0_14default_configENS1_25partition_config_selectorILNS1_17partition_subalgoE6EtNS0_10empty_typeEbEEZZNS1_14partition_implILS5_6ELb0ES3_mN6thrust23THRUST_200600_302600_NS6detail15normal_iteratorINSA_10device_ptrItEEEEPS6_SG_NS0_5tupleIJNSA_16discard_iteratorINSA_11use_defaultEEES6_EEENSH_IJSG_SG_EEES6_PlJNSB_9not_fun_tI7is_trueItEEEEEE10hipError_tPvRmT3_T4_T5_T6_T7_T9_mT8_P12ihipStream_tbDpT10_ENKUlT_T0_E_clISt17integral_constantIbLb0EES1B_EEDaS16_S17_EUlS16_E_NS1_11comp_targetILNS1_3genE4ELNS1_11target_archE910ELNS1_3gpuE8ELNS1_3repE0EEENS1_30default_config_static_selectorELNS0_4arch9wavefront6targetE0EEEvT1_.has_dyn_sized_stack, 0
	.set _ZN7rocprim17ROCPRIM_400000_NS6detail17trampoline_kernelINS0_14default_configENS1_25partition_config_selectorILNS1_17partition_subalgoE6EtNS0_10empty_typeEbEEZZNS1_14partition_implILS5_6ELb0ES3_mN6thrust23THRUST_200600_302600_NS6detail15normal_iteratorINSA_10device_ptrItEEEEPS6_SG_NS0_5tupleIJNSA_16discard_iteratorINSA_11use_defaultEEES6_EEENSH_IJSG_SG_EEES6_PlJNSB_9not_fun_tI7is_trueItEEEEEE10hipError_tPvRmT3_T4_T5_T6_T7_T9_mT8_P12ihipStream_tbDpT10_ENKUlT_T0_E_clISt17integral_constantIbLb0EES1B_EEDaS16_S17_EUlS16_E_NS1_11comp_targetILNS1_3genE4ELNS1_11target_archE910ELNS1_3gpuE8ELNS1_3repE0EEENS1_30default_config_static_selectorELNS0_4arch9wavefront6targetE0EEEvT1_.has_recursion, 0
	.set _ZN7rocprim17ROCPRIM_400000_NS6detail17trampoline_kernelINS0_14default_configENS1_25partition_config_selectorILNS1_17partition_subalgoE6EtNS0_10empty_typeEbEEZZNS1_14partition_implILS5_6ELb0ES3_mN6thrust23THRUST_200600_302600_NS6detail15normal_iteratorINSA_10device_ptrItEEEEPS6_SG_NS0_5tupleIJNSA_16discard_iteratorINSA_11use_defaultEEES6_EEENSH_IJSG_SG_EEES6_PlJNSB_9not_fun_tI7is_trueItEEEEEE10hipError_tPvRmT3_T4_T5_T6_T7_T9_mT8_P12ihipStream_tbDpT10_ENKUlT_T0_E_clISt17integral_constantIbLb0EES1B_EEDaS16_S17_EUlS16_E_NS1_11comp_targetILNS1_3genE4ELNS1_11target_archE910ELNS1_3gpuE8ELNS1_3repE0EEENS1_30default_config_static_selectorELNS0_4arch9wavefront6targetE0EEEvT1_.has_indirect_call, 0
	.section	.AMDGPU.csdata,"",@progbits
; Kernel info:
; codeLenInByte = 0
; TotalNumSgprs: 0
; NumVgprs: 0
; ScratchSize: 0
; MemoryBound: 0
; FloatMode: 240
; IeeeMode: 1
; LDSByteSize: 0 bytes/workgroup (compile time only)
; SGPRBlocks: 0
; VGPRBlocks: 0
; NumSGPRsForWavesPerEU: 1
; NumVGPRsForWavesPerEU: 1
; Occupancy: 16
; WaveLimiterHint : 0
; COMPUTE_PGM_RSRC2:SCRATCH_EN: 0
; COMPUTE_PGM_RSRC2:USER_SGPR: 2
; COMPUTE_PGM_RSRC2:TRAP_HANDLER: 0
; COMPUTE_PGM_RSRC2:TGID_X_EN: 1
; COMPUTE_PGM_RSRC2:TGID_Y_EN: 0
; COMPUTE_PGM_RSRC2:TGID_Z_EN: 0
; COMPUTE_PGM_RSRC2:TIDIG_COMP_CNT: 0
	.section	.text._ZN7rocprim17ROCPRIM_400000_NS6detail17trampoline_kernelINS0_14default_configENS1_25partition_config_selectorILNS1_17partition_subalgoE6EtNS0_10empty_typeEbEEZZNS1_14partition_implILS5_6ELb0ES3_mN6thrust23THRUST_200600_302600_NS6detail15normal_iteratorINSA_10device_ptrItEEEEPS6_SG_NS0_5tupleIJNSA_16discard_iteratorINSA_11use_defaultEEES6_EEENSH_IJSG_SG_EEES6_PlJNSB_9not_fun_tI7is_trueItEEEEEE10hipError_tPvRmT3_T4_T5_T6_T7_T9_mT8_P12ihipStream_tbDpT10_ENKUlT_T0_E_clISt17integral_constantIbLb0EES1B_EEDaS16_S17_EUlS16_E_NS1_11comp_targetILNS1_3genE3ELNS1_11target_archE908ELNS1_3gpuE7ELNS1_3repE0EEENS1_30default_config_static_selectorELNS0_4arch9wavefront6targetE0EEEvT1_,"axG",@progbits,_ZN7rocprim17ROCPRIM_400000_NS6detail17trampoline_kernelINS0_14default_configENS1_25partition_config_selectorILNS1_17partition_subalgoE6EtNS0_10empty_typeEbEEZZNS1_14partition_implILS5_6ELb0ES3_mN6thrust23THRUST_200600_302600_NS6detail15normal_iteratorINSA_10device_ptrItEEEEPS6_SG_NS0_5tupleIJNSA_16discard_iteratorINSA_11use_defaultEEES6_EEENSH_IJSG_SG_EEES6_PlJNSB_9not_fun_tI7is_trueItEEEEEE10hipError_tPvRmT3_T4_T5_T6_T7_T9_mT8_P12ihipStream_tbDpT10_ENKUlT_T0_E_clISt17integral_constantIbLb0EES1B_EEDaS16_S17_EUlS16_E_NS1_11comp_targetILNS1_3genE3ELNS1_11target_archE908ELNS1_3gpuE7ELNS1_3repE0EEENS1_30default_config_static_selectorELNS0_4arch9wavefront6targetE0EEEvT1_,comdat
	.protected	_ZN7rocprim17ROCPRIM_400000_NS6detail17trampoline_kernelINS0_14default_configENS1_25partition_config_selectorILNS1_17partition_subalgoE6EtNS0_10empty_typeEbEEZZNS1_14partition_implILS5_6ELb0ES3_mN6thrust23THRUST_200600_302600_NS6detail15normal_iteratorINSA_10device_ptrItEEEEPS6_SG_NS0_5tupleIJNSA_16discard_iteratorINSA_11use_defaultEEES6_EEENSH_IJSG_SG_EEES6_PlJNSB_9not_fun_tI7is_trueItEEEEEE10hipError_tPvRmT3_T4_T5_T6_T7_T9_mT8_P12ihipStream_tbDpT10_ENKUlT_T0_E_clISt17integral_constantIbLb0EES1B_EEDaS16_S17_EUlS16_E_NS1_11comp_targetILNS1_3genE3ELNS1_11target_archE908ELNS1_3gpuE7ELNS1_3repE0EEENS1_30default_config_static_selectorELNS0_4arch9wavefront6targetE0EEEvT1_ ; -- Begin function _ZN7rocprim17ROCPRIM_400000_NS6detail17trampoline_kernelINS0_14default_configENS1_25partition_config_selectorILNS1_17partition_subalgoE6EtNS0_10empty_typeEbEEZZNS1_14partition_implILS5_6ELb0ES3_mN6thrust23THRUST_200600_302600_NS6detail15normal_iteratorINSA_10device_ptrItEEEEPS6_SG_NS0_5tupleIJNSA_16discard_iteratorINSA_11use_defaultEEES6_EEENSH_IJSG_SG_EEES6_PlJNSB_9not_fun_tI7is_trueItEEEEEE10hipError_tPvRmT3_T4_T5_T6_T7_T9_mT8_P12ihipStream_tbDpT10_ENKUlT_T0_E_clISt17integral_constantIbLb0EES1B_EEDaS16_S17_EUlS16_E_NS1_11comp_targetILNS1_3genE3ELNS1_11target_archE908ELNS1_3gpuE7ELNS1_3repE0EEENS1_30default_config_static_selectorELNS0_4arch9wavefront6targetE0EEEvT1_
	.globl	_ZN7rocprim17ROCPRIM_400000_NS6detail17trampoline_kernelINS0_14default_configENS1_25partition_config_selectorILNS1_17partition_subalgoE6EtNS0_10empty_typeEbEEZZNS1_14partition_implILS5_6ELb0ES3_mN6thrust23THRUST_200600_302600_NS6detail15normal_iteratorINSA_10device_ptrItEEEEPS6_SG_NS0_5tupleIJNSA_16discard_iteratorINSA_11use_defaultEEES6_EEENSH_IJSG_SG_EEES6_PlJNSB_9not_fun_tI7is_trueItEEEEEE10hipError_tPvRmT3_T4_T5_T6_T7_T9_mT8_P12ihipStream_tbDpT10_ENKUlT_T0_E_clISt17integral_constantIbLb0EES1B_EEDaS16_S17_EUlS16_E_NS1_11comp_targetILNS1_3genE3ELNS1_11target_archE908ELNS1_3gpuE7ELNS1_3repE0EEENS1_30default_config_static_selectorELNS0_4arch9wavefront6targetE0EEEvT1_
	.p2align	8
	.type	_ZN7rocprim17ROCPRIM_400000_NS6detail17trampoline_kernelINS0_14default_configENS1_25partition_config_selectorILNS1_17partition_subalgoE6EtNS0_10empty_typeEbEEZZNS1_14partition_implILS5_6ELb0ES3_mN6thrust23THRUST_200600_302600_NS6detail15normal_iteratorINSA_10device_ptrItEEEEPS6_SG_NS0_5tupleIJNSA_16discard_iteratorINSA_11use_defaultEEES6_EEENSH_IJSG_SG_EEES6_PlJNSB_9not_fun_tI7is_trueItEEEEEE10hipError_tPvRmT3_T4_T5_T6_T7_T9_mT8_P12ihipStream_tbDpT10_ENKUlT_T0_E_clISt17integral_constantIbLb0EES1B_EEDaS16_S17_EUlS16_E_NS1_11comp_targetILNS1_3genE3ELNS1_11target_archE908ELNS1_3gpuE7ELNS1_3repE0EEENS1_30default_config_static_selectorELNS0_4arch9wavefront6targetE0EEEvT1_,@function
_ZN7rocprim17ROCPRIM_400000_NS6detail17trampoline_kernelINS0_14default_configENS1_25partition_config_selectorILNS1_17partition_subalgoE6EtNS0_10empty_typeEbEEZZNS1_14partition_implILS5_6ELb0ES3_mN6thrust23THRUST_200600_302600_NS6detail15normal_iteratorINSA_10device_ptrItEEEEPS6_SG_NS0_5tupleIJNSA_16discard_iteratorINSA_11use_defaultEEES6_EEENSH_IJSG_SG_EEES6_PlJNSB_9not_fun_tI7is_trueItEEEEEE10hipError_tPvRmT3_T4_T5_T6_T7_T9_mT8_P12ihipStream_tbDpT10_ENKUlT_T0_E_clISt17integral_constantIbLb0EES1B_EEDaS16_S17_EUlS16_E_NS1_11comp_targetILNS1_3genE3ELNS1_11target_archE908ELNS1_3gpuE7ELNS1_3repE0EEENS1_30default_config_static_selectorELNS0_4arch9wavefront6targetE0EEEvT1_: ; @_ZN7rocprim17ROCPRIM_400000_NS6detail17trampoline_kernelINS0_14default_configENS1_25partition_config_selectorILNS1_17partition_subalgoE6EtNS0_10empty_typeEbEEZZNS1_14partition_implILS5_6ELb0ES3_mN6thrust23THRUST_200600_302600_NS6detail15normal_iteratorINSA_10device_ptrItEEEEPS6_SG_NS0_5tupleIJNSA_16discard_iteratorINSA_11use_defaultEEES6_EEENSH_IJSG_SG_EEES6_PlJNSB_9not_fun_tI7is_trueItEEEEEE10hipError_tPvRmT3_T4_T5_T6_T7_T9_mT8_P12ihipStream_tbDpT10_ENKUlT_T0_E_clISt17integral_constantIbLb0EES1B_EEDaS16_S17_EUlS16_E_NS1_11comp_targetILNS1_3genE3ELNS1_11target_archE908ELNS1_3gpuE7ELNS1_3repE0EEENS1_30default_config_static_selectorELNS0_4arch9wavefront6targetE0EEEvT1_
; %bb.0:
	.section	.rodata,"a",@progbits
	.p2align	6, 0x0
	.amdhsa_kernel _ZN7rocprim17ROCPRIM_400000_NS6detail17trampoline_kernelINS0_14default_configENS1_25partition_config_selectorILNS1_17partition_subalgoE6EtNS0_10empty_typeEbEEZZNS1_14partition_implILS5_6ELb0ES3_mN6thrust23THRUST_200600_302600_NS6detail15normal_iteratorINSA_10device_ptrItEEEEPS6_SG_NS0_5tupleIJNSA_16discard_iteratorINSA_11use_defaultEEES6_EEENSH_IJSG_SG_EEES6_PlJNSB_9not_fun_tI7is_trueItEEEEEE10hipError_tPvRmT3_T4_T5_T6_T7_T9_mT8_P12ihipStream_tbDpT10_ENKUlT_T0_E_clISt17integral_constantIbLb0EES1B_EEDaS16_S17_EUlS16_E_NS1_11comp_targetILNS1_3genE3ELNS1_11target_archE908ELNS1_3gpuE7ELNS1_3repE0EEENS1_30default_config_static_selectorELNS0_4arch9wavefront6targetE0EEEvT1_
		.amdhsa_group_segment_fixed_size 0
		.amdhsa_private_segment_fixed_size 0
		.amdhsa_kernarg_size 120
		.amdhsa_user_sgpr_count 2
		.amdhsa_user_sgpr_dispatch_ptr 0
		.amdhsa_user_sgpr_queue_ptr 0
		.amdhsa_user_sgpr_kernarg_segment_ptr 1
		.amdhsa_user_sgpr_dispatch_id 0
		.amdhsa_user_sgpr_private_segment_size 0
		.amdhsa_wavefront_size32 1
		.amdhsa_uses_dynamic_stack 0
		.amdhsa_enable_private_segment 0
		.amdhsa_system_sgpr_workgroup_id_x 1
		.amdhsa_system_sgpr_workgroup_id_y 0
		.amdhsa_system_sgpr_workgroup_id_z 0
		.amdhsa_system_sgpr_workgroup_info 0
		.amdhsa_system_vgpr_workitem_id 0
		.amdhsa_next_free_vgpr 1
		.amdhsa_next_free_sgpr 1
		.amdhsa_reserve_vcc 0
		.amdhsa_float_round_mode_32 0
		.amdhsa_float_round_mode_16_64 0
		.amdhsa_float_denorm_mode_32 3
		.amdhsa_float_denorm_mode_16_64 3
		.amdhsa_fp16_overflow 0
		.amdhsa_workgroup_processor_mode 1
		.amdhsa_memory_ordered 1
		.amdhsa_forward_progress 1
		.amdhsa_inst_pref_size 0
		.amdhsa_round_robin_scheduling 0
		.amdhsa_exception_fp_ieee_invalid_op 0
		.amdhsa_exception_fp_denorm_src 0
		.amdhsa_exception_fp_ieee_div_zero 0
		.amdhsa_exception_fp_ieee_overflow 0
		.amdhsa_exception_fp_ieee_underflow 0
		.amdhsa_exception_fp_ieee_inexact 0
		.amdhsa_exception_int_div_zero 0
	.end_amdhsa_kernel
	.section	.text._ZN7rocprim17ROCPRIM_400000_NS6detail17trampoline_kernelINS0_14default_configENS1_25partition_config_selectorILNS1_17partition_subalgoE6EtNS0_10empty_typeEbEEZZNS1_14partition_implILS5_6ELb0ES3_mN6thrust23THRUST_200600_302600_NS6detail15normal_iteratorINSA_10device_ptrItEEEEPS6_SG_NS0_5tupleIJNSA_16discard_iteratorINSA_11use_defaultEEES6_EEENSH_IJSG_SG_EEES6_PlJNSB_9not_fun_tI7is_trueItEEEEEE10hipError_tPvRmT3_T4_T5_T6_T7_T9_mT8_P12ihipStream_tbDpT10_ENKUlT_T0_E_clISt17integral_constantIbLb0EES1B_EEDaS16_S17_EUlS16_E_NS1_11comp_targetILNS1_3genE3ELNS1_11target_archE908ELNS1_3gpuE7ELNS1_3repE0EEENS1_30default_config_static_selectorELNS0_4arch9wavefront6targetE0EEEvT1_,"axG",@progbits,_ZN7rocprim17ROCPRIM_400000_NS6detail17trampoline_kernelINS0_14default_configENS1_25partition_config_selectorILNS1_17partition_subalgoE6EtNS0_10empty_typeEbEEZZNS1_14partition_implILS5_6ELb0ES3_mN6thrust23THRUST_200600_302600_NS6detail15normal_iteratorINSA_10device_ptrItEEEEPS6_SG_NS0_5tupleIJNSA_16discard_iteratorINSA_11use_defaultEEES6_EEENSH_IJSG_SG_EEES6_PlJNSB_9not_fun_tI7is_trueItEEEEEE10hipError_tPvRmT3_T4_T5_T6_T7_T9_mT8_P12ihipStream_tbDpT10_ENKUlT_T0_E_clISt17integral_constantIbLb0EES1B_EEDaS16_S17_EUlS16_E_NS1_11comp_targetILNS1_3genE3ELNS1_11target_archE908ELNS1_3gpuE7ELNS1_3repE0EEENS1_30default_config_static_selectorELNS0_4arch9wavefront6targetE0EEEvT1_,comdat
.Lfunc_end2208:
	.size	_ZN7rocprim17ROCPRIM_400000_NS6detail17trampoline_kernelINS0_14default_configENS1_25partition_config_selectorILNS1_17partition_subalgoE6EtNS0_10empty_typeEbEEZZNS1_14partition_implILS5_6ELb0ES3_mN6thrust23THRUST_200600_302600_NS6detail15normal_iteratorINSA_10device_ptrItEEEEPS6_SG_NS0_5tupleIJNSA_16discard_iteratorINSA_11use_defaultEEES6_EEENSH_IJSG_SG_EEES6_PlJNSB_9not_fun_tI7is_trueItEEEEEE10hipError_tPvRmT3_T4_T5_T6_T7_T9_mT8_P12ihipStream_tbDpT10_ENKUlT_T0_E_clISt17integral_constantIbLb0EES1B_EEDaS16_S17_EUlS16_E_NS1_11comp_targetILNS1_3genE3ELNS1_11target_archE908ELNS1_3gpuE7ELNS1_3repE0EEENS1_30default_config_static_selectorELNS0_4arch9wavefront6targetE0EEEvT1_, .Lfunc_end2208-_ZN7rocprim17ROCPRIM_400000_NS6detail17trampoline_kernelINS0_14default_configENS1_25partition_config_selectorILNS1_17partition_subalgoE6EtNS0_10empty_typeEbEEZZNS1_14partition_implILS5_6ELb0ES3_mN6thrust23THRUST_200600_302600_NS6detail15normal_iteratorINSA_10device_ptrItEEEEPS6_SG_NS0_5tupleIJNSA_16discard_iteratorINSA_11use_defaultEEES6_EEENSH_IJSG_SG_EEES6_PlJNSB_9not_fun_tI7is_trueItEEEEEE10hipError_tPvRmT3_T4_T5_T6_T7_T9_mT8_P12ihipStream_tbDpT10_ENKUlT_T0_E_clISt17integral_constantIbLb0EES1B_EEDaS16_S17_EUlS16_E_NS1_11comp_targetILNS1_3genE3ELNS1_11target_archE908ELNS1_3gpuE7ELNS1_3repE0EEENS1_30default_config_static_selectorELNS0_4arch9wavefront6targetE0EEEvT1_
                                        ; -- End function
	.set _ZN7rocprim17ROCPRIM_400000_NS6detail17trampoline_kernelINS0_14default_configENS1_25partition_config_selectorILNS1_17partition_subalgoE6EtNS0_10empty_typeEbEEZZNS1_14partition_implILS5_6ELb0ES3_mN6thrust23THRUST_200600_302600_NS6detail15normal_iteratorINSA_10device_ptrItEEEEPS6_SG_NS0_5tupleIJNSA_16discard_iteratorINSA_11use_defaultEEES6_EEENSH_IJSG_SG_EEES6_PlJNSB_9not_fun_tI7is_trueItEEEEEE10hipError_tPvRmT3_T4_T5_T6_T7_T9_mT8_P12ihipStream_tbDpT10_ENKUlT_T0_E_clISt17integral_constantIbLb0EES1B_EEDaS16_S17_EUlS16_E_NS1_11comp_targetILNS1_3genE3ELNS1_11target_archE908ELNS1_3gpuE7ELNS1_3repE0EEENS1_30default_config_static_selectorELNS0_4arch9wavefront6targetE0EEEvT1_.num_vgpr, 0
	.set _ZN7rocprim17ROCPRIM_400000_NS6detail17trampoline_kernelINS0_14default_configENS1_25partition_config_selectorILNS1_17partition_subalgoE6EtNS0_10empty_typeEbEEZZNS1_14partition_implILS5_6ELb0ES3_mN6thrust23THRUST_200600_302600_NS6detail15normal_iteratorINSA_10device_ptrItEEEEPS6_SG_NS0_5tupleIJNSA_16discard_iteratorINSA_11use_defaultEEES6_EEENSH_IJSG_SG_EEES6_PlJNSB_9not_fun_tI7is_trueItEEEEEE10hipError_tPvRmT3_T4_T5_T6_T7_T9_mT8_P12ihipStream_tbDpT10_ENKUlT_T0_E_clISt17integral_constantIbLb0EES1B_EEDaS16_S17_EUlS16_E_NS1_11comp_targetILNS1_3genE3ELNS1_11target_archE908ELNS1_3gpuE7ELNS1_3repE0EEENS1_30default_config_static_selectorELNS0_4arch9wavefront6targetE0EEEvT1_.num_agpr, 0
	.set _ZN7rocprim17ROCPRIM_400000_NS6detail17trampoline_kernelINS0_14default_configENS1_25partition_config_selectorILNS1_17partition_subalgoE6EtNS0_10empty_typeEbEEZZNS1_14partition_implILS5_6ELb0ES3_mN6thrust23THRUST_200600_302600_NS6detail15normal_iteratorINSA_10device_ptrItEEEEPS6_SG_NS0_5tupleIJNSA_16discard_iteratorINSA_11use_defaultEEES6_EEENSH_IJSG_SG_EEES6_PlJNSB_9not_fun_tI7is_trueItEEEEEE10hipError_tPvRmT3_T4_T5_T6_T7_T9_mT8_P12ihipStream_tbDpT10_ENKUlT_T0_E_clISt17integral_constantIbLb0EES1B_EEDaS16_S17_EUlS16_E_NS1_11comp_targetILNS1_3genE3ELNS1_11target_archE908ELNS1_3gpuE7ELNS1_3repE0EEENS1_30default_config_static_selectorELNS0_4arch9wavefront6targetE0EEEvT1_.numbered_sgpr, 0
	.set _ZN7rocprim17ROCPRIM_400000_NS6detail17trampoline_kernelINS0_14default_configENS1_25partition_config_selectorILNS1_17partition_subalgoE6EtNS0_10empty_typeEbEEZZNS1_14partition_implILS5_6ELb0ES3_mN6thrust23THRUST_200600_302600_NS6detail15normal_iteratorINSA_10device_ptrItEEEEPS6_SG_NS0_5tupleIJNSA_16discard_iteratorINSA_11use_defaultEEES6_EEENSH_IJSG_SG_EEES6_PlJNSB_9not_fun_tI7is_trueItEEEEEE10hipError_tPvRmT3_T4_T5_T6_T7_T9_mT8_P12ihipStream_tbDpT10_ENKUlT_T0_E_clISt17integral_constantIbLb0EES1B_EEDaS16_S17_EUlS16_E_NS1_11comp_targetILNS1_3genE3ELNS1_11target_archE908ELNS1_3gpuE7ELNS1_3repE0EEENS1_30default_config_static_selectorELNS0_4arch9wavefront6targetE0EEEvT1_.num_named_barrier, 0
	.set _ZN7rocprim17ROCPRIM_400000_NS6detail17trampoline_kernelINS0_14default_configENS1_25partition_config_selectorILNS1_17partition_subalgoE6EtNS0_10empty_typeEbEEZZNS1_14partition_implILS5_6ELb0ES3_mN6thrust23THRUST_200600_302600_NS6detail15normal_iteratorINSA_10device_ptrItEEEEPS6_SG_NS0_5tupleIJNSA_16discard_iteratorINSA_11use_defaultEEES6_EEENSH_IJSG_SG_EEES6_PlJNSB_9not_fun_tI7is_trueItEEEEEE10hipError_tPvRmT3_T4_T5_T6_T7_T9_mT8_P12ihipStream_tbDpT10_ENKUlT_T0_E_clISt17integral_constantIbLb0EES1B_EEDaS16_S17_EUlS16_E_NS1_11comp_targetILNS1_3genE3ELNS1_11target_archE908ELNS1_3gpuE7ELNS1_3repE0EEENS1_30default_config_static_selectorELNS0_4arch9wavefront6targetE0EEEvT1_.private_seg_size, 0
	.set _ZN7rocprim17ROCPRIM_400000_NS6detail17trampoline_kernelINS0_14default_configENS1_25partition_config_selectorILNS1_17partition_subalgoE6EtNS0_10empty_typeEbEEZZNS1_14partition_implILS5_6ELb0ES3_mN6thrust23THRUST_200600_302600_NS6detail15normal_iteratorINSA_10device_ptrItEEEEPS6_SG_NS0_5tupleIJNSA_16discard_iteratorINSA_11use_defaultEEES6_EEENSH_IJSG_SG_EEES6_PlJNSB_9not_fun_tI7is_trueItEEEEEE10hipError_tPvRmT3_T4_T5_T6_T7_T9_mT8_P12ihipStream_tbDpT10_ENKUlT_T0_E_clISt17integral_constantIbLb0EES1B_EEDaS16_S17_EUlS16_E_NS1_11comp_targetILNS1_3genE3ELNS1_11target_archE908ELNS1_3gpuE7ELNS1_3repE0EEENS1_30default_config_static_selectorELNS0_4arch9wavefront6targetE0EEEvT1_.uses_vcc, 0
	.set _ZN7rocprim17ROCPRIM_400000_NS6detail17trampoline_kernelINS0_14default_configENS1_25partition_config_selectorILNS1_17partition_subalgoE6EtNS0_10empty_typeEbEEZZNS1_14partition_implILS5_6ELb0ES3_mN6thrust23THRUST_200600_302600_NS6detail15normal_iteratorINSA_10device_ptrItEEEEPS6_SG_NS0_5tupleIJNSA_16discard_iteratorINSA_11use_defaultEEES6_EEENSH_IJSG_SG_EEES6_PlJNSB_9not_fun_tI7is_trueItEEEEEE10hipError_tPvRmT3_T4_T5_T6_T7_T9_mT8_P12ihipStream_tbDpT10_ENKUlT_T0_E_clISt17integral_constantIbLb0EES1B_EEDaS16_S17_EUlS16_E_NS1_11comp_targetILNS1_3genE3ELNS1_11target_archE908ELNS1_3gpuE7ELNS1_3repE0EEENS1_30default_config_static_selectorELNS0_4arch9wavefront6targetE0EEEvT1_.uses_flat_scratch, 0
	.set _ZN7rocprim17ROCPRIM_400000_NS6detail17trampoline_kernelINS0_14default_configENS1_25partition_config_selectorILNS1_17partition_subalgoE6EtNS0_10empty_typeEbEEZZNS1_14partition_implILS5_6ELb0ES3_mN6thrust23THRUST_200600_302600_NS6detail15normal_iteratorINSA_10device_ptrItEEEEPS6_SG_NS0_5tupleIJNSA_16discard_iteratorINSA_11use_defaultEEES6_EEENSH_IJSG_SG_EEES6_PlJNSB_9not_fun_tI7is_trueItEEEEEE10hipError_tPvRmT3_T4_T5_T6_T7_T9_mT8_P12ihipStream_tbDpT10_ENKUlT_T0_E_clISt17integral_constantIbLb0EES1B_EEDaS16_S17_EUlS16_E_NS1_11comp_targetILNS1_3genE3ELNS1_11target_archE908ELNS1_3gpuE7ELNS1_3repE0EEENS1_30default_config_static_selectorELNS0_4arch9wavefront6targetE0EEEvT1_.has_dyn_sized_stack, 0
	.set _ZN7rocprim17ROCPRIM_400000_NS6detail17trampoline_kernelINS0_14default_configENS1_25partition_config_selectorILNS1_17partition_subalgoE6EtNS0_10empty_typeEbEEZZNS1_14partition_implILS5_6ELb0ES3_mN6thrust23THRUST_200600_302600_NS6detail15normal_iteratorINSA_10device_ptrItEEEEPS6_SG_NS0_5tupleIJNSA_16discard_iteratorINSA_11use_defaultEEES6_EEENSH_IJSG_SG_EEES6_PlJNSB_9not_fun_tI7is_trueItEEEEEE10hipError_tPvRmT3_T4_T5_T6_T7_T9_mT8_P12ihipStream_tbDpT10_ENKUlT_T0_E_clISt17integral_constantIbLb0EES1B_EEDaS16_S17_EUlS16_E_NS1_11comp_targetILNS1_3genE3ELNS1_11target_archE908ELNS1_3gpuE7ELNS1_3repE0EEENS1_30default_config_static_selectorELNS0_4arch9wavefront6targetE0EEEvT1_.has_recursion, 0
	.set _ZN7rocprim17ROCPRIM_400000_NS6detail17trampoline_kernelINS0_14default_configENS1_25partition_config_selectorILNS1_17partition_subalgoE6EtNS0_10empty_typeEbEEZZNS1_14partition_implILS5_6ELb0ES3_mN6thrust23THRUST_200600_302600_NS6detail15normal_iteratorINSA_10device_ptrItEEEEPS6_SG_NS0_5tupleIJNSA_16discard_iteratorINSA_11use_defaultEEES6_EEENSH_IJSG_SG_EEES6_PlJNSB_9not_fun_tI7is_trueItEEEEEE10hipError_tPvRmT3_T4_T5_T6_T7_T9_mT8_P12ihipStream_tbDpT10_ENKUlT_T0_E_clISt17integral_constantIbLb0EES1B_EEDaS16_S17_EUlS16_E_NS1_11comp_targetILNS1_3genE3ELNS1_11target_archE908ELNS1_3gpuE7ELNS1_3repE0EEENS1_30default_config_static_selectorELNS0_4arch9wavefront6targetE0EEEvT1_.has_indirect_call, 0
	.section	.AMDGPU.csdata,"",@progbits
; Kernel info:
; codeLenInByte = 0
; TotalNumSgprs: 0
; NumVgprs: 0
; ScratchSize: 0
; MemoryBound: 0
; FloatMode: 240
; IeeeMode: 1
; LDSByteSize: 0 bytes/workgroup (compile time only)
; SGPRBlocks: 0
; VGPRBlocks: 0
; NumSGPRsForWavesPerEU: 1
; NumVGPRsForWavesPerEU: 1
; Occupancy: 16
; WaveLimiterHint : 0
; COMPUTE_PGM_RSRC2:SCRATCH_EN: 0
; COMPUTE_PGM_RSRC2:USER_SGPR: 2
; COMPUTE_PGM_RSRC2:TRAP_HANDLER: 0
; COMPUTE_PGM_RSRC2:TGID_X_EN: 1
; COMPUTE_PGM_RSRC2:TGID_Y_EN: 0
; COMPUTE_PGM_RSRC2:TGID_Z_EN: 0
; COMPUTE_PGM_RSRC2:TIDIG_COMP_CNT: 0
	.section	.text._ZN7rocprim17ROCPRIM_400000_NS6detail17trampoline_kernelINS0_14default_configENS1_25partition_config_selectorILNS1_17partition_subalgoE6EtNS0_10empty_typeEbEEZZNS1_14partition_implILS5_6ELb0ES3_mN6thrust23THRUST_200600_302600_NS6detail15normal_iteratorINSA_10device_ptrItEEEEPS6_SG_NS0_5tupleIJNSA_16discard_iteratorINSA_11use_defaultEEES6_EEENSH_IJSG_SG_EEES6_PlJNSB_9not_fun_tI7is_trueItEEEEEE10hipError_tPvRmT3_T4_T5_T6_T7_T9_mT8_P12ihipStream_tbDpT10_ENKUlT_T0_E_clISt17integral_constantIbLb0EES1B_EEDaS16_S17_EUlS16_E_NS1_11comp_targetILNS1_3genE2ELNS1_11target_archE906ELNS1_3gpuE6ELNS1_3repE0EEENS1_30default_config_static_selectorELNS0_4arch9wavefront6targetE0EEEvT1_,"axG",@progbits,_ZN7rocprim17ROCPRIM_400000_NS6detail17trampoline_kernelINS0_14default_configENS1_25partition_config_selectorILNS1_17partition_subalgoE6EtNS0_10empty_typeEbEEZZNS1_14partition_implILS5_6ELb0ES3_mN6thrust23THRUST_200600_302600_NS6detail15normal_iteratorINSA_10device_ptrItEEEEPS6_SG_NS0_5tupleIJNSA_16discard_iteratorINSA_11use_defaultEEES6_EEENSH_IJSG_SG_EEES6_PlJNSB_9not_fun_tI7is_trueItEEEEEE10hipError_tPvRmT3_T4_T5_T6_T7_T9_mT8_P12ihipStream_tbDpT10_ENKUlT_T0_E_clISt17integral_constantIbLb0EES1B_EEDaS16_S17_EUlS16_E_NS1_11comp_targetILNS1_3genE2ELNS1_11target_archE906ELNS1_3gpuE6ELNS1_3repE0EEENS1_30default_config_static_selectorELNS0_4arch9wavefront6targetE0EEEvT1_,comdat
	.protected	_ZN7rocprim17ROCPRIM_400000_NS6detail17trampoline_kernelINS0_14default_configENS1_25partition_config_selectorILNS1_17partition_subalgoE6EtNS0_10empty_typeEbEEZZNS1_14partition_implILS5_6ELb0ES3_mN6thrust23THRUST_200600_302600_NS6detail15normal_iteratorINSA_10device_ptrItEEEEPS6_SG_NS0_5tupleIJNSA_16discard_iteratorINSA_11use_defaultEEES6_EEENSH_IJSG_SG_EEES6_PlJNSB_9not_fun_tI7is_trueItEEEEEE10hipError_tPvRmT3_T4_T5_T6_T7_T9_mT8_P12ihipStream_tbDpT10_ENKUlT_T0_E_clISt17integral_constantIbLb0EES1B_EEDaS16_S17_EUlS16_E_NS1_11comp_targetILNS1_3genE2ELNS1_11target_archE906ELNS1_3gpuE6ELNS1_3repE0EEENS1_30default_config_static_selectorELNS0_4arch9wavefront6targetE0EEEvT1_ ; -- Begin function _ZN7rocprim17ROCPRIM_400000_NS6detail17trampoline_kernelINS0_14default_configENS1_25partition_config_selectorILNS1_17partition_subalgoE6EtNS0_10empty_typeEbEEZZNS1_14partition_implILS5_6ELb0ES3_mN6thrust23THRUST_200600_302600_NS6detail15normal_iteratorINSA_10device_ptrItEEEEPS6_SG_NS0_5tupleIJNSA_16discard_iteratorINSA_11use_defaultEEES6_EEENSH_IJSG_SG_EEES6_PlJNSB_9not_fun_tI7is_trueItEEEEEE10hipError_tPvRmT3_T4_T5_T6_T7_T9_mT8_P12ihipStream_tbDpT10_ENKUlT_T0_E_clISt17integral_constantIbLb0EES1B_EEDaS16_S17_EUlS16_E_NS1_11comp_targetILNS1_3genE2ELNS1_11target_archE906ELNS1_3gpuE6ELNS1_3repE0EEENS1_30default_config_static_selectorELNS0_4arch9wavefront6targetE0EEEvT1_
	.globl	_ZN7rocprim17ROCPRIM_400000_NS6detail17trampoline_kernelINS0_14default_configENS1_25partition_config_selectorILNS1_17partition_subalgoE6EtNS0_10empty_typeEbEEZZNS1_14partition_implILS5_6ELb0ES3_mN6thrust23THRUST_200600_302600_NS6detail15normal_iteratorINSA_10device_ptrItEEEEPS6_SG_NS0_5tupleIJNSA_16discard_iteratorINSA_11use_defaultEEES6_EEENSH_IJSG_SG_EEES6_PlJNSB_9not_fun_tI7is_trueItEEEEEE10hipError_tPvRmT3_T4_T5_T6_T7_T9_mT8_P12ihipStream_tbDpT10_ENKUlT_T0_E_clISt17integral_constantIbLb0EES1B_EEDaS16_S17_EUlS16_E_NS1_11comp_targetILNS1_3genE2ELNS1_11target_archE906ELNS1_3gpuE6ELNS1_3repE0EEENS1_30default_config_static_selectorELNS0_4arch9wavefront6targetE0EEEvT1_
	.p2align	8
	.type	_ZN7rocprim17ROCPRIM_400000_NS6detail17trampoline_kernelINS0_14default_configENS1_25partition_config_selectorILNS1_17partition_subalgoE6EtNS0_10empty_typeEbEEZZNS1_14partition_implILS5_6ELb0ES3_mN6thrust23THRUST_200600_302600_NS6detail15normal_iteratorINSA_10device_ptrItEEEEPS6_SG_NS0_5tupleIJNSA_16discard_iteratorINSA_11use_defaultEEES6_EEENSH_IJSG_SG_EEES6_PlJNSB_9not_fun_tI7is_trueItEEEEEE10hipError_tPvRmT3_T4_T5_T6_T7_T9_mT8_P12ihipStream_tbDpT10_ENKUlT_T0_E_clISt17integral_constantIbLb0EES1B_EEDaS16_S17_EUlS16_E_NS1_11comp_targetILNS1_3genE2ELNS1_11target_archE906ELNS1_3gpuE6ELNS1_3repE0EEENS1_30default_config_static_selectorELNS0_4arch9wavefront6targetE0EEEvT1_,@function
_ZN7rocprim17ROCPRIM_400000_NS6detail17trampoline_kernelINS0_14default_configENS1_25partition_config_selectorILNS1_17partition_subalgoE6EtNS0_10empty_typeEbEEZZNS1_14partition_implILS5_6ELb0ES3_mN6thrust23THRUST_200600_302600_NS6detail15normal_iteratorINSA_10device_ptrItEEEEPS6_SG_NS0_5tupleIJNSA_16discard_iteratorINSA_11use_defaultEEES6_EEENSH_IJSG_SG_EEES6_PlJNSB_9not_fun_tI7is_trueItEEEEEE10hipError_tPvRmT3_T4_T5_T6_T7_T9_mT8_P12ihipStream_tbDpT10_ENKUlT_T0_E_clISt17integral_constantIbLb0EES1B_EEDaS16_S17_EUlS16_E_NS1_11comp_targetILNS1_3genE2ELNS1_11target_archE906ELNS1_3gpuE6ELNS1_3repE0EEENS1_30default_config_static_selectorELNS0_4arch9wavefront6targetE0EEEvT1_: ; @_ZN7rocprim17ROCPRIM_400000_NS6detail17trampoline_kernelINS0_14default_configENS1_25partition_config_selectorILNS1_17partition_subalgoE6EtNS0_10empty_typeEbEEZZNS1_14partition_implILS5_6ELb0ES3_mN6thrust23THRUST_200600_302600_NS6detail15normal_iteratorINSA_10device_ptrItEEEEPS6_SG_NS0_5tupleIJNSA_16discard_iteratorINSA_11use_defaultEEES6_EEENSH_IJSG_SG_EEES6_PlJNSB_9not_fun_tI7is_trueItEEEEEE10hipError_tPvRmT3_T4_T5_T6_T7_T9_mT8_P12ihipStream_tbDpT10_ENKUlT_T0_E_clISt17integral_constantIbLb0EES1B_EEDaS16_S17_EUlS16_E_NS1_11comp_targetILNS1_3genE2ELNS1_11target_archE906ELNS1_3gpuE6ELNS1_3repE0EEENS1_30default_config_static_selectorELNS0_4arch9wavefront6targetE0EEEvT1_
; %bb.0:
	.section	.rodata,"a",@progbits
	.p2align	6, 0x0
	.amdhsa_kernel _ZN7rocprim17ROCPRIM_400000_NS6detail17trampoline_kernelINS0_14default_configENS1_25partition_config_selectorILNS1_17partition_subalgoE6EtNS0_10empty_typeEbEEZZNS1_14partition_implILS5_6ELb0ES3_mN6thrust23THRUST_200600_302600_NS6detail15normal_iteratorINSA_10device_ptrItEEEEPS6_SG_NS0_5tupleIJNSA_16discard_iteratorINSA_11use_defaultEEES6_EEENSH_IJSG_SG_EEES6_PlJNSB_9not_fun_tI7is_trueItEEEEEE10hipError_tPvRmT3_T4_T5_T6_T7_T9_mT8_P12ihipStream_tbDpT10_ENKUlT_T0_E_clISt17integral_constantIbLb0EES1B_EEDaS16_S17_EUlS16_E_NS1_11comp_targetILNS1_3genE2ELNS1_11target_archE906ELNS1_3gpuE6ELNS1_3repE0EEENS1_30default_config_static_selectorELNS0_4arch9wavefront6targetE0EEEvT1_
		.amdhsa_group_segment_fixed_size 0
		.amdhsa_private_segment_fixed_size 0
		.amdhsa_kernarg_size 120
		.amdhsa_user_sgpr_count 2
		.amdhsa_user_sgpr_dispatch_ptr 0
		.amdhsa_user_sgpr_queue_ptr 0
		.amdhsa_user_sgpr_kernarg_segment_ptr 1
		.amdhsa_user_sgpr_dispatch_id 0
		.amdhsa_user_sgpr_private_segment_size 0
		.amdhsa_wavefront_size32 1
		.amdhsa_uses_dynamic_stack 0
		.amdhsa_enable_private_segment 0
		.amdhsa_system_sgpr_workgroup_id_x 1
		.amdhsa_system_sgpr_workgroup_id_y 0
		.amdhsa_system_sgpr_workgroup_id_z 0
		.amdhsa_system_sgpr_workgroup_info 0
		.amdhsa_system_vgpr_workitem_id 0
		.amdhsa_next_free_vgpr 1
		.amdhsa_next_free_sgpr 1
		.amdhsa_reserve_vcc 0
		.amdhsa_float_round_mode_32 0
		.amdhsa_float_round_mode_16_64 0
		.amdhsa_float_denorm_mode_32 3
		.amdhsa_float_denorm_mode_16_64 3
		.amdhsa_fp16_overflow 0
		.amdhsa_workgroup_processor_mode 1
		.amdhsa_memory_ordered 1
		.amdhsa_forward_progress 1
		.amdhsa_inst_pref_size 0
		.amdhsa_round_robin_scheduling 0
		.amdhsa_exception_fp_ieee_invalid_op 0
		.amdhsa_exception_fp_denorm_src 0
		.amdhsa_exception_fp_ieee_div_zero 0
		.amdhsa_exception_fp_ieee_overflow 0
		.amdhsa_exception_fp_ieee_underflow 0
		.amdhsa_exception_fp_ieee_inexact 0
		.amdhsa_exception_int_div_zero 0
	.end_amdhsa_kernel
	.section	.text._ZN7rocprim17ROCPRIM_400000_NS6detail17trampoline_kernelINS0_14default_configENS1_25partition_config_selectorILNS1_17partition_subalgoE6EtNS0_10empty_typeEbEEZZNS1_14partition_implILS5_6ELb0ES3_mN6thrust23THRUST_200600_302600_NS6detail15normal_iteratorINSA_10device_ptrItEEEEPS6_SG_NS0_5tupleIJNSA_16discard_iteratorINSA_11use_defaultEEES6_EEENSH_IJSG_SG_EEES6_PlJNSB_9not_fun_tI7is_trueItEEEEEE10hipError_tPvRmT3_T4_T5_T6_T7_T9_mT8_P12ihipStream_tbDpT10_ENKUlT_T0_E_clISt17integral_constantIbLb0EES1B_EEDaS16_S17_EUlS16_E_NS1_11comp_targetILNS1_3genE2ELNS1_11target_archE906ELNS1_3gpuE6ELNS1_3repE0EEENS1_30default_config_static_selectorELNS0_4arch9wavefront6targetE0EEEvT1_,"axG",@progbits,_ZN7rocprim17ROCPRIM_400000_NS6detail17trampoline_kernelINS0_14default_configENS1_25partition_config_selectorILNS1_17partition_subalgoE6EtNS0_10empty_typeEbEEZZNS1_14partition_implILS5_6ELb0ES3_mN6thrust23THRUST_200600_302600_NS6detail15normal_iteratorINSA_10device_ptrItEEEEPS6_SG_NS0_5tupleIJNSA_16discard_iteratorINSA_11use_defaultEEES6_EEENSH_IJSG_SG_EEES6_PlJNSB_9not_fun_tI7is_trueItEEEEEE10hipError_tPvRmT3_T4_T5_T6_T7_T9_mT8_P12ihipStream_tbDpT10_ENKUlT_T0_E_clISt17integral_constantIbLb0EES1B_EEDaS16_S17_EUlS16_E_NS1_11comp_targetILNS1_3genE2ELNS1_11target_archE906ELNS1_3gpuE6ELNS1_3repE0EEENS1_30default_config_static_selectorELNS0_4arch9wavefront6targetE0EEEvT1_,comdat
.Lfunc_end2209:
	.size	_ZN7rocprim17ROCPRIM_400000_NS6detail17trampoline_kernelINS0_14default_configENS1_25partition_config_selectorILNS1_17partition_subalgoE6EtNS0_10empty_typeEbEEZZNS1_14partition_implILS5_6ELb0ES3_mN6thrust23THRUST_200600_302600_NS6detail15normal_iteratorINSA_10device_ptrItEEEEPS6_SG_NS0_5tupleIJNSA_16discard_iteratorINSA_11use_defaultEEES6_EEENSH_IJSG_SG_EEES6_PlJNSB_9not_fun_tI7is_trueItEEEEEE10hipError_tPvRmT3_T4_T5_T6_T7_T9_mT8_P12ihipStream_tbDpT10_ENKUlT_T0_E_clISt17integral_constantIbLb0EES1B_EEDaS16_S17_EUlS16_E_NS1_11comp_targetILNS1_3genE2ELNS1_11target_archE906ELNS1_3gpuE6ELNS1_3repE0EEENS1_30default_config_static_selectorELNS0_4arch9wavefront6targetE0EEEvT1_, .Lfunc_end2209-_ZN7rocprim17ROCPRIM_400000_NS6detail17trampoline_kernelINS0_14default_configENS1_25partition_config_selectorILNS1_17partition_subalgoE6EtNS0_10empty_typeEbEEZZNS1_14partition_implILS5_6ELb0ES3_mN6thrust23THRUST_200600_302600_NS6detail15normal_iteratorINSA_10device_ptrItEEEEPS6_SG_NS0_5tupleIJNSA_16discard_iteratorINSA_11use_defaultEEES6_EEENSH_IJSG_SG_EEES6_PlJNSB_9not_fun_tI7is_trueItEEEEEE10hipError_tPvRmT3_T4_T5_T6_T7_T9_mT8_P12ihipStream_tbDpT10_ENKUlT_T0_E_clISt17integral_constantIbLb0EES1B_EEDaS16_S17_EUlS16_E_NS1_11comp_targetILNS1_3genE2ELNS1_11target_archE906ELNS1_3gpuE6ELNS1_3repE0EEENS1_30default_config_static_selectorELNS0_4arch9wavefront6targetE0EEEvT1_
                                        ; -- End function
	.set _ZN7rocprim17ROCPRIM_400000_NS6detail17trampoline_kernelINS0_14default_configENS1_25partition_config_selectorILNS1_17partition_subalgoE6EtNS0_10empty_typeEbEEZZNS1_14partition_implILS5_6ELb0ES3_mN6thrust23THRUST_200600_302600_NS6detail15normal_iteratorINSA_10device_ptrItEEEEPS6_SG_NS0_5tupleIJNSA_16discard_iteratorINSA_11use_defaultEEES6_EEENSH_IJSG_SG_EEES6_PlJNSB_9not_fun_tI7is_trueItEEEEEE10hipError_tPvRmT3_T4_T5_T6_T7_T9_mT8_P12ihipStream_tbDpT10_ENKUlT_T0_E_clISt17integral_constantIbLb0EES1B_EEDaS16_S17_EUlS16_E_NS1_11comp_targetILNS1_3genE2ELNS1_11target_archE906ELNS1_3gpuE6ELNS1_3repE0EEENS1_30default_config_static_selectorELNS0_4arch9wavefront6targetE0EEEvT1_.num_vgpr, 0
	.set _ZN7rocprim17ROCPRIM_400000_NS6detail17trampoline_kernelINS0_14default_configENS1_25partition_config_selectorILNS1_17partition_subalgoE6EtNS0_10empty_typeEbEEZZNS1_14partition_implILS5_6ELb0ES3_mN6thrust23THRUST_200600_302600_NS6detail15normal_iteratorINSA_10device_ptrItEEEEPS6_SG_NS0_5tupleIJNSA_16discard_iteratorINSA_11use_defaultEEES6_EEENSH_IJSG_SG_EEES6_PlJNSB_9not_fun_tI7is_trueItEEEEEE10hipError_tPvRmT3_T4_T5_T6_T7_T9_mT8_P12ihipStream_tbDpT10_ENKUlT_T0_E_clISt17integral_constantIbLb0EES1B_EEDaS16_S17_EUlS16_E_NS1_11comp_targetILNS1_3genE2ELNS1_11target_archE906ELNS1_3gpuE6ELNS1_3repE0EEENS1_30default_config_static_selectorELNS0_4arch9wavefront6targetE0EEEvT1_.num_agpr, 0
	.set _ZN7rocprim17ROCPRIM_400000_NS6detail17trampoline_kernelINS0_14default_configENS1_25partition_config_selectorILNS1_17partition_subalgoE6EtNS0_10empty_typeEbEEZZNS1_14partition_implILS5_6ELb0ES3_mN6thrust23THRUST_200600_302600_NS6detail15normal_iteratorINSA_10device_ptrItEEEEPS6_SG_NS0_5tupleIJNSA_16discard_iteratorINSA_11use_defaultEEES6_EEENSH_IJSG_SG_EEES6_PlJNSB_9not_fun_tI7is_trueItEEEEEE10hipError_tPvRmT3_T4_T5_T6_T7_T9_mT8_P12ihipStream_tbDpT10_ENKUlT_T0_E_clISt17integral_constantIbLb0EES1B_EEDaS16_S17_EUlS16_E_NS1_11comp_targetILNS1_3genE2ELNS1_11target_archE906ELNS1_3gpuE6ELNS1_3repE0EEENS1_30default_config_static_selectorELNS0_4arch9wavefront6targetE0EEEvT1_.numbered_sgpr, 0
	.set _ZN7rocprim17ROCPRIM_400000_NS6detail17trampoline_kernelINS0_14default_configENS1_25partition_config_selectorILNS1_17partition_subalgoE6EtNS0_10empty_typeEbEEZZNS1_14partition_implILS5_6ELb0ES3_mN6thrust23THRUST_200600_302600_NS6detail15normal_iteratorINSA_10device_ptrItEEEEPS6_SG_NS0_5tupleIJNSA_16discard_iteratorINSA_11use_defaultEEES6_EEENSH_IJSG_SG_EEES6_PlJNSB_9not_fun_tI7is_trueItEEEEEE10hipError_tPvRmT3_T4_T5_T6_T7_T9_mT8_P12ihipStream_tbDpT10_ENKUlT_T0_E_clISt17integral_constantIbLb0EES1B_EEDaS16_S17_EUlS16_E_NS1_11comp_targetILNS1_3genE2ELNS1_11target_archE906ELNS1_3gpuE6ELNS1_3repE0EEENS1_30default_config_static_selectorELNS0_4arch9wavefront6targetE0EEEvT1_.num_named_barrier, 0
	.set _ZN7rocprim17ROCPRIM_400000_NS6detail17trampoline_kernelINS0_14default_configENS1_25partition_config_selectorILNS1_17partition_subalgoE6EtNS0_10empty_typeEbEEZZNS1_14partition_implILS5_6ELb0ES3_mN6thrust23THRUST_200600_302600_NS6detail15normal_iteratorINSA_10device_ptrItEEEEPS6_SG_NS0_5tupleIJNSA_16discard_iteratorINSA_11use_defaultEEES6_EEENSH_IJSG_SG_EEES6_PlJNSB_9not_fun_tI7is_trueItEEEEEE10hipError_tPvRmT3_T4_T5_T6_T7_T9_mT8_P12ihipStream_tbDpT10_ENKUlT_T0_E_clISt17integral_constantIbLb0EES1B_EEDaS16_S17_EUlS16_E_NS1_11comp_targetILNS1_3genE2ELNS1_11target_archE906ELNS1_3gpuE6ELNS1_3repE0EEENS1_30default_config_static_selectorELNS0_4arch9wavefront6targetE0EEEvT1_.private_seg_size, 0
	.set _ZN7rocprim17ROCPRIM_400000_NS6detail17trampoline_kernelINS0_14default_configENS1_25partition_config_selectorILNS1_17partition_subalgoE6EtNS0_10empty_typeEbEEZZNS1_14partition_implILS5_6ELb0ES3_mN6thrust23THRUST_200600_302600_NS6detail15normal_iteratorINSA_10device_ptrItEEEEPS6_SG_NS0_5tupleIJNSA_16discard_iteratorINSA_11use_defaultEEES6_EEENSH_IJSG_SG_EEES6_PlJNSB_9not_fun_tI7is_trueItEEEEEE10hipError_tPvRmT3_T4_T5_T6_T7_T9_mT8_P12ihipStream_tbDpT10_ENKUlT_T0_E_clISt17integral_constantIbLb0EES1B_EEDaS16_S17_EUlS16_E_NS1_11comp_targetILNS1_3genE2ELNS1_11target_archE906ELNS1_3gpuE6ELNS1_3repE0EEENS1_30default_config_static_selectorELNS0_4arch9wavefront6targetE0EEEvT1_.uses_vcc, 0
	.set _ZN7rocprim17ROCPRIM_400000_NS6detail17trampoline_kernelINS0_14default_configENS1_25partition_config_selectorILNS1_17partition_subalgoE6EtNS0_10empty_typeEbEEZZNS1_14partition_implILS5_6ELb0ES3_mN6thrust23THRUST_200600_302600_NS6detail15normal_iteratorINSA_10device_ptrItEEEEPS6_SG_NS0_5tupleIJNSA_16discard_iteratorINSA_11use_defaultEEES6_EEENSH_IJSG_SG_EEES6_PlJNSB_9not_fun_tI7is_trueItEEEEEE10hipError_tPvRmT3_T4_T5_T6_T7_T9_mT8_P12ihipStream_tbDpT10_ENKUlT_T0_E_clISt17integral_constantIbLb0EES1B_EEDaS16_S17_EUlS16_E_NS1_11comp_targetILNS1_3genE2ELNS1_11target_archE906ELNS1_3gpuE6ELNS1_3repE0EEENS1_30default_config_static_selectorELNS0_4arch9wavefront6targetE0EEEvT1_.uses_flat_scratch, 0
	.set _ZN7rocprim17ROCPRIM_400000_NS6detail17trampoline_kernelINS0_14default_configENS1_25partition_config_selectorILNS1_17partition_subalgoE6EtNS0_10empty_typeEbEEZZNS1_14partition_implILS5_6ELb0ES3_mN6thrust23THRUST_200600_302600_NS6detail15normal_iteratorINSA_10device_ptrItEEEEPS6_SG_NS0_5tupleIJNSA_16discard_iteratorINSA_11use_defaultEEES6_EEENSH_IJSG_SG_EEES6_PlJNSB_9not_fun_tI7is_trueItEEEEEE10hipError_tPvRmT3_T4_T5_T6_T7_T9_mT8_P12ihipStream_tbDpT10_ENKUlT_T0_E_clISt17integral_constantIbLb0EES1B_EEDaS16_S17_EUlS16_E_NS1_11comp_targetILNS1_3genE2ELNS1_11target_archE906ELNS1_3gpuE6ELNS1_3repE0EEENS1_30default_config_static_selectorELNS0_4arch9wavefront6targetE0EEEvT1_.has_dyn_sized_stack, 0
	.set _ZN7rocprim17ROCPRIM_400000_NS6detail17trampoline_kernelINS0_14default_configENS1_25partition_config_selectorILNS1_17partition_subalgoE6EtNS0_10empty_typeEbEEZZNS1_14partition_implILS5_6ELb0ES3_mN6thrust23THRUST_200600_302600_NS6detail15normal_iteratorINSA_10device_ptrItEEEEPS6_SG_NS0_5tupleIJNSA_16discard_iteratorINSA_11use_defaultEEES6_EEENSH_IJSG_SG_EEES6_PlJNSB_9not_fun_tI7is_trueItEEEEEE10hipError_tPvRmT3_T4_T5_T6_T7_T9_mT8_P12ihipStream_tbDpT10_ENKUlT_T0_E_clISt17integral_constantIbLb0EES1B_EEDaS16_S17_EUlS16_E_NS1_11comp_targetILNS1_3genE2ELNS1_11target_archE906ELNS1_3gpuE6ELNS1_3repE0EEENS1_30default_config_static_selectorELNS0_4arch9wavefront6targetE0EEEvT1_.has_recursion, 0
	.set _ZN7rocprim17ROCPRIM_400000_NS6detail17trampoline_kernelINS0_14default_configENS1_25partition_config_selectorILNS1_17partition_subalgoE6EtNS0_10empty_typeEbEEZZNS1_14partition_implILS5_6ELb0ES3_mN6thrust23THRUST_200600_302600_NS6detail15normal_iteratorINSA_10device_ptrItEEEEPS6_SG_NS0_5tupleIJNSA_16discard_iteratorINSA_11use_defaultEEES6_EEENSH_IJSG_SG_EEES6_PlJNSB_9not_fun_tI7is_trueItEEEEEE10hipError_tPvRmT3_T4_T5_T6_T7_T9_mT8_P12ihipStream_tbDpT10_ENKUlT_T0_E_clISt17integral_constantIbLb0EES1B_EEDaS16_S17_EUlS16_E_NS1_11comp_targetILNS1_3genE2ELNS1_11target_archE906ELNS1_3gpuE6ELNS1_3repE0EEENS1_30default_config_static_selectorELNS0_4arch9wavefront6targetE0EEEvT1_.has_indirect_call, 0
	.section	.AMDGPU.csdata,"",@progbits
; Kernel info:
; codeLenInByte = 0
; TotalNumSgprs: 0
; NumVgprs: 0
; ScratchSize: 0
; MemoryBound: 0
; FloatMode: 240
; IeeeMode: 1
; LDSByteSize: 0 bytes/workgroup (compile time only)
; SGPRBlocks: 0
; VGPRBlocks: 0
; NumSGPRsForWavesPerEU: 1
; NumVGPRsForWavesPerEU: 1
; Occupancy: 16
; WaveLimiterHint : 0
; COMPUTE_PGM_RSRC2:SCRATCH_EN: 0
; COMPUTE_PGM_RSRC2:USER_SGPR: 2
; COMPUTE_PGM_RSRC2:TRAP_HANDLER: 0
; COMPUTE_PGM_RSRC2:TGID_X_EN: 1
; COMPUTE_PGM_RSRC2:TGID_Y_EN: 0
; COMPUTE_PGM_RSRC2:TGID_Z_EN: 0
; COMPUTE_PGM_RSRC2:TIDIG_COMP_CNT: 0
	.section	.text._ZN7rocprim17ROCPRIM_400000_NS6detail17trampoline_kernelINS0_14default_configENS1_25partition_config_selectorILNS1_17partition_subalgoE6EtNS0_10empty_typeEbEEZZNS1_14partition_implILS5_6ELb0ES3_mN6thrust23THRUST_200600_302600_NS6detail15normal_iteratorINSA_10device_ptrItEEEEPS6_SG_NS0_5tupleIJNSA_16discard_iteratorINSA_11use_defaultEEES6_EEENSH_IJSG_SG_EEES6_PlJNSB_9not_fun_tI7is_trueItEEEEEE10hipError_tPvRmT3_T4_T5_T6_T7_T9_mT8_P12ihipStream_tbDpT10_ENKUlT_T0_E_clISt17integral_constantIbLb0EES1B_EEDaS16_S17_EUlS16_E_NS1_11comp_targetILNS1_3genE10ELNS1_11target_archE1200ELNS1_3gpuE4ELNS1_3repE0EEENS1_30default_config_static_selectorELNS0_4arch9wavefront6targetE0EEEvT1_,"axG",@progbits,_ZN7rocprim17ROCPRIM_400000_NS6detail17trampoline_kernelINS0_14default_configENS1_25partition_config_selectorILNS1_17partition_subalgoE6EtNS0_10empty_typeEbEEZZNS1_14partition_implILS5_6ELb0ES3_mN6thrust23THRUST_200600_302600_NS6detail15normal_iteratorINSA_10device_ptrItEEEEPS6_SG_NS0_5tupleIJNSA_16discard_iteratorINSA_11use_defaultEEES6_EEENSH_IJSG_SG_EEES6_PlJNSB_9not_fun_tI7is_trueItEEEEEE10hipError_tPvRmT3_T4_T5_T6_T7_T9_mT8_P12ihipStream_tbDpT10_ENKUlT_T0_E_clISt17integral_constantIbLb0EES1B_EEDaS16_S17_EUlS16_E_NS1_11comp_targetILNS1_3genE10ELNS1_11target_archE1200ELNS1_3gpuE4ELNS1_3repE0EEENS1_30default_config_static_selectorELNS0_4arch9wavefront6targetE0EEEvT1_,comdat
	.protected	_ZN7rocprim17ROCPRIM_400000_NS6detail17trampoline_kernelINS0_14default_configENS1_25partition_config_selectorILNS1_17partition_subalgoE6EtNS0_10empty_typeEbEEZZNS1_14partition_implILS5_6ELb0ES3_mN6thrust23THRUST_200600_302600_NS6detail15normal_iteratorINSA_10device_ptrItEEEEPS6_SG_NS0_5tupleIJNSA_16discard_iteratorINSA_11use_defaultEEES6_EEENSH_IJSG_SG_EEES6_PlJNSB_9not_fun_tI7is_trueItEEEEEE10hipError_tPvRmT3_T4_T5_T6_T7_T9_mT8_P12ihipStream_tbDpT10_ENKUlT_T0_E_clISt17integral_constantIbLb0EES1B_EEDaS16_S17_EUlS16_E_NS1_11comp_targetILNS1_3genE10ELNS1_11target_archE1200ELNS1_3gpuE4ELNS1_3repE0EEENS1_30default_config_static_selectorELNS0_4arch9wavefront6targetE0EEEvT1_ ; -- Begin function _ZN7rocprim17ROCPRIM_400000_NS6detail17trampoline_kernelINS0_14default_configENS1_25partition_config_selectorILNS1_17partition_subalgoE6EtNS0_10empty_typeEbEEZZNS1_14partition_implILS5_6ELb0ES3_mN6thrust23THRUST_200600_302600_NS6detail15normal_iteratorINSA_10device_ptrItEEEEPS6_SG_NS0_5tupleIJNSA_16discard_iteratorINSA_11use_defaultEEES6_EEENSH_IJSG_SG_EEES6_PlJNSB_9not_fun_tI7is_trueItEEEEEE10hipError_tPvRmT3_T4_T5_T6_T7_T9_mT8_P12ihipStream_tbDpT10_ENKUlT_T0_E_clISt17integral_constantIbLb0EES1B_EEDaS16_S17_EUlS16_E_NS1_11comp_targetILNS1_3genE10ELNS1_11target_archE1200ELNS1_3gpuE4ELNS1_3repE0EEENS1_30default_config_static_selectorELNS0_4arch9wavefront6targetE0EEEvT1_
	.globl	_ZN7rocprim17ROCPRIM_400000_NS6detail17trampoline_kernelINS0_14default_configENS1_25partition_config_selectorILNS1_17partition_subalgoE6EtNS0_10empty_typeEbEEZZNS1_14partition_implILS5_6ELb0ES3_mN6thrust23THRUST_200600_302600_NS6detail15normal_iteratorINSA_10device_ptrItEEEEPS6_SG_NS0_5tupleIJNSA_16discard_iteratorINSA_11use_defaultEEES6_EEENSH_IJSG_SG_EEES6_PlJNSB_9not_fun_tI7is_trueItEEEEEE10hipError_tPvRmT3_T4_T5_T6_T7_T9_mT8_P12ihipStream_tbDpT10_ENKUlT_T0_E_clISt17integral_constantIbLb0EES1B_EEDaS16_S17_EUlS16_E_NS1_11comp_targetILNS1_3genE10ELNS1_11target_archE1200ELNS1_3gpuE4ELNS1_3repE0EEENS1_30default_config_static_selectorELNS0_4arch9wavefront6targetE0EEEvT1_
	.p2align	8
	.type	_ZN7rocprim17ROCPRIM_400000_NS6detail17trampoline_kernelINS0_14default_configENS1_25partition_config_selectorILNS1_17partition_subalgoE6EtNS0_10empty_typeEbEEZZNS1_14partition_implILS5_6ELb0ES3_mN6thrust23THRUST_200600_302600_NS6detail15normal_iteratorINSA_10device_ptrItEEEEPS6_SG_NS0_5tupleIJNSA_16discard_iteratorINSA_11use_defaultEEES6_EEENSH_IJSG_SG_EEES6_PlJNSB_9not_fun_tI7is_trueItEEEEEE10hipError_tPvRmT3_T4_T5_T6_T7_T9_mT8_P12ihipStream_tbDpT10_ENKUlT_T0_E_clISt17integral_constantIbLb0EES1B_EEDaS16_S17_EUlS16_E_NS1_11comp_targetILNS1_3genE10ELNS1_11target_archE1200ELNS1_3gpuE4ELNS1_3repE0EEENS1_30default_config_static_selectorELNS0_4arch9wavefront6targetE0EEEvT1_,@function
_ZN7rocprim17ROCPRIM_400000_NS6detail17trampoline_kernelINS0_14default_configENS1_25partition_config_selectorILNS1_17partition_subalgoE6EtNS0_10empty_typeEbEEZZNS1_14partition_implILS5_6ELb0ES3_mN6thrust23THRUST_200600_302600_NS6detail15normal_iteratorINSA_10device_ptrItEEEEPS6_SG_NS0_5tupleIJNSA_16discard_iteratorINSA_11use_defaultEEES6_EEENSH_IJSG_SG_EEES6_PlJNSB_9not_fun_tI7is_trueItEEEEEE10hipError_tPvRmT3_T4_T5_T6_T7_T9_mT8_P12ihipStream_tbDpT10_ENKUlT_T0_E_clISt17integral_constantIbLb0EES1B_EEDaS16_S17_EUlS16_E_NS1_11comp_targetILNS1_3genE10ELNS1_11target_archE1200ELNS1_3gpuE4ELNS1_3repE0EEENS1_30default_config_static_selectorELNS0_4arch9wavefront6targetE0EEEvT1_: ; @_ZN7rocprim17ROCPRIM_400000_NS6detail17trampoline_kernelINS0_14default_configENS1_25partition_config_selectorILNS1_17partition_subalgoE6EtNS0_10empty_typeEbEEZZNS1_14partition_implILS5_6ELb0ES3_mN6thrust23THRUST_200600_302600_NS6detail15normal_iteratorINSA_10device_ptrItEEEEPS6_SG_NS0_5tupleIJNSA_16discard_iteratorINSA_11use_defaultEEES6_EEENSH_IJSG_SG_EEES6_PlJNSB_9not_fun_tI7is_trueItEEEEEE10hipError_tPvRmT3_T4_T5_T6_T7_T9_mT8_P12ihipStream_tbDpT10_ENKUlT_T0_E_clISt17integral_constantIbLb0EES1B_EEDaS16_S17_EUlS16_E_NS1_11comp_targetILNS1_3genE10ELNS1_11target_archE1200ELNS1_3gpuE4ELNS1_3repE0EEENS1_30default_config_static_selectorELNS0_4arch9wavefront6targetE0EEEvT1_
; %bb.0:
	s_clause 0x3
	s_load_b128 s[4:7], s[0:1], 0x8
	s_load_b128 s[20:23], s[0:1], 0x48
	s_load_b32 s9, s[0:1], 0x70
	s_load_b64 s[2:3], s[0:1], 0x58
	s_mov_b32 s11, 0
	s_mul_i32 s8, ttmp9, 0x1b00
	v_lshlrev_b32_e32 v17, 1, v0
	s_wait_kmcnt 0x0
	s_lshl_b64 s[12:13], s[6:7], 1
	s_load_b64 s[22:23], s[22:23], 0x0
	s_mul_i32 s10, s9, 0x1b00
	s_add_co_i32 s9, s9, -1
	s_add_co_i32 s14, s10, s6
	s_add_nc_u64 s[12:13], s[4:5], s[12:13]
	s_add_nc_u64 s[4:5], s[6:7], s[10:11]
	s_sub_co_i32 s25, s2, s14
	s_cmp_eq_u32 ttmp9, s9
	v_cmp_gt_u64_e64 s2, s[2:3], s[4:5]
	s_cselect_b32 s19, -1, 0
	s_cmp_lg_u32 ttmp9, s9
	s_mov_b32 s9, s11
	s_cselect_b32 s3, -1, 0
	s_mov_b32 s4, -1
	s_wait_alu 0xfffe
	s_or_b32 s11, s3, s2
	s_lshl_b64 s[2:3], s[8:9], 1
	s_and_b32 vcc_lo, exec_lo, s11
	s_wait_alu 0xfffe
	s_add_nc_u64 s[2:3], s[12:13], s[2:3]
	s_cbranch_vccz .LBB2210_2
; %bb.1:
	s_wait_alu 0xfffe
	v_add_co_u32 v1, s4, s2, v17
	s_wait_alu 0xf1ff
	v_add_co_ci_u32_e64 v2, null, s3, 0, s4
	s_mov_b32 s4, 0
	s_clause 0x11
	flat_load_u16 v3, v[1:2]
	flat_load_u16 v4, v[1:2] offset:768
	flat_load_u16 v5, v[1:2] offset:1536
	;; [unrolled: 1-line block ×17, first 2 shown]
	s_wait_loadcnt_dscnt 0x1111
	ds_store_b16 v17, v3
	s_wait_loadcnt_dscnt 0x1011
	ds_store_b16 v17, v4 offset:768
	s_wait_loadcnt_dscnt 0xf11
	ds_store_b16 v17, v5 offset:1536
	;; [unrolled: 2-line block ×17, first 2 shown]
	s_wait_dscnt 0x0
	s_barrier_signal -1
	s_barrier_wait -1
.LBB2210_2:
	s_wait_alu 0xfffe
	s_and_not1_b32 vcc_lo, exec_lo, s4
	s_addk_co_i32 s25, 0x1b00
	s_cbranch_vccnz .LBB2210_40
; %bb.3:
	v_mov_b32_e32 v1, 0
	s_mov_b32 s4, exec_lo
	s_delay_alu instid0(VALU_DEP_1)
	v_dual_mov_b32 v2, v1 :: v_dual_mov_b32 v3, v1
	v_dual_mov_b32 v4, v1 :: v_dual_mov_b32 v5, v1
	;; [unrolled: 1-line block ×4, first 2 shown]
	v_cmpx_gt_u32_e64 s25, v0
	s_cbranch_execz .LBB2210_5
; %bb.4:
	v_add_co_u32 v3, s5, s2, v17
	s_wait_alu 0xf1ff
	v_add_co_ci_u32_e64 v4, null, s3, 0, s5
	v_mov_b32_e32 v2, v1
	v_dual_mov_b32 v6, v1 :: v_dual_mov_b32 v7, v1
	v_dual_mov_b32 v5, v1 :: v_dual_mov_b32 v8, v1
	v_mov_b32_e32 v9, v1
	flat_load_d16_b16 v2, v[3:4]
	v_dual_mov_b32 v3, v1 :: v_dual_mov_b32 v4, v1
	v_mov_b32_e32 v10, v1
	s_wait_loadcnt_dscnt 0x0
	v_mov_b32_e32 v1, v2
	s_delay_alu instid0(VALU_DEP_3)
	v_mov_b32_e32 v2, v3
	v_mov_b32_e32 v3, v4
	;; [unrolled: 1-line block ×15, first 2 shown]
.LBB2210_5:
	s_wait_alu 0xfffe
	s_or_b32 exec_lo, exec_lo, s4
	v_add_nc_u32_e32 v10, 0x180, v0
	s_mov_b32 s4, exec_lo
	s_delay_alu instid0(VALU_DEP_1)
	v_cmpx_gt_u32_e64 s25, v10
	s_cbranch_execz .LBB2210_7
; %bb.6:
	v_add_co_u32 v10, s5, s2, v17
	s_wait_alu 0xf1ff
	v_add_co_ci_u32_e64 v11, null, s3, 0, s5
	flat_load_d16_hi_b16 v1, v[10:11] offset:768
.LBB2210_7:
	s_wait_alu 0xfffe
	s_or_b32 exec_lo, exec_lo, s4
	v_add_nc_u32_e32 v10, 0x300, v0
	s_mov_b32 s4, exec_lo
	s_delay_alu instid0(VALU_DEP_1)
	v_cmpx_gt_u32_e64 s25, v10
	s_cbranch_execz .LBB2210_9
; %bb.8:
	v_add_co_u32 v10, s5, s2, v17
	s_wait_alu 0xf1ff
	v_add_co_ci_u32_e64 v11, null, s3, 0, s5
	flat_load_d16_b16 v2, v[10:11] offset:1536
.LBB2210_9:
	s_wait_alu 0xfffe
	s_or_b32 exec_lo, exec_lo, s4
	v_add_nc_u32_e32 v10, 0x480, v0
	s_mov_b32 s4, exec_lo
	s_delay_alu instid0(VALU_DEP_1)
	v_cmpx_gt_u32_e64 s25, v10
	s_cbranch_execz .LBB2210_11
; %bb.10:
	v_add_co_u32 v10, s5, s2, v17
	s_wait_alu 0xf1ff
	v_add_co_ci_u32_e64 v11, null, s3, 0, s5
	s_wait_loadcnt_dscnt 0x0
	flat_load_d16_hi_b16 v2, v[10:11] offset:2304
.LBB2210_11:
	s_wait_alu 0xfffe
	s_or_b32 exec_lo, exec_lo, s4
	v_or_b32_e32 v10, 0x600, v0
	s_mov_b32 s4, exec_lo
	s_delay_alu instid0(VALU_DEP_1)
	v_cmpx_gt_u32_e64 s25, v10
	s_cbranch_execz .LBB2210_13
; %bb.12:
	v_add_co_u32 v10, s5, s2, v17
	s_wait_alu 0xf1ff
	v_add_co_ci_u32_e64 v11, null, s3, 0, s5
	flat_load_d16_b16 v3, v[10:11] offset:3072
.LBB2210_13:
	s_wait_alu 0xfffe
	s_or_b32 exec_lo, exec_lo, s4
	v_add_nc_u32_e32 v10, 0x780, v0
	s_mov_b32 s4, exec_lo
	s_delay_alu instid0(VALU_DEP_1)
	v_cmpx_gt_u32_e64 s25, v10
	s_cbranch_execz .LBB2210_15
; %bb.14:
	v_add_co_u32 v10, s5, s2, v17
	s_wait_alu 0xf1ff
	v_add_co_ci_u32_e64 v11, null, s3, 0, s5
	s_wait_loadcnt_dscnt 0x0
	flat_load_d16_hi_b16 v3, v[10:11] offset:3840
.LBB2210_15:
	s_wait_alu 0xfffe
	s_or_b32 exec_lo, exec_lo, s4
	v_add_nc_u32_e32 v10, 0x900, v0
	s_mov_b32 s4, exec_lo
	s_delay_alu instid0(VALU_DEP_1)
	v_cmpx_gt_u32_e64 s25, v10
	s_cbranch_execz .LBB2210_17
; %bb.16:
	v_add_co_u32 v10, s5, s2, v17
	s_wait_alu 0xf1ff
	v_add_co_ci_u32_e64 v11, null, s3, 0, s5
	flat_load_d16_b16 v4, v[10:11] offset:4608
.LBB2210_17:
	s_wait_alu 0xfffe
	s_or_b32 exec_lo, exec_lo, s4
	v_add_nc_u32_e32 v10, 0xa80, v0
	s_mov_b32 s4, exec_lo
	s_delay_alu instid0(VALU_DEP_1)
	v_cmpx_gt_u32_e64 s25, v10
	s_cbranch_execz .LBB2210_19
; %bb.18:
	v_add_co_u32 v10, s5, s2, v17
	s_wait_alu 0xf1ff
	v_add_co_ci_u32_e64 v11, null, s3, 0, s5
	s_wait_loadcnt_dscnt 0x0
	flat_load_d16_hi_b16 v4, v[10:11] offset:5376
.LBB2210_19:
	s_wait_alu 0xfffe
	s_or_b32 exec_lo, exec_lo, s4
	v_or_b32_e32 v10, 0xc00, v0
	s_mov_b32 s4, exec_lo
	s_delay_alu instid0(VALU_DEP_1)
	v_cmpx_gt_u32_e64 s25, v10
	s_cbranch_execz .LBB2210_21
; %bb.20:
	v_add_co_u32 v10, s5, s2, v17
	s_wait_alu 0xf1ff
	v_add_co_ci_u32_e64 v11, null, s3, 0, s5
	flat_load_d16_b16 v5, v[10:11] offset:6144
.LBB2210_21:
	s_wait_alu 0xfffe
	s_or_b32 exec_lo, exec_lo, s4
	v_add_nc_u32_e32 v10, 0xd80, v0
	s_mov_b32 s4, exec_lo
	s_delay_alu instid0(VALU_DEP_1)
	v_cmpx_gt_u32_e64 s25, v10
	s_cbranch_execz .LBB2210_23
; %bb.22:
	v_add_co_u32 v10, s5, s2, v17
	s_wait_alu 0xf1ff
	v_add_co_ci_u32_e64 v11, null, s3, 0, s5
	s_wait_loadcnt_dscnt 0x0
	flat_load_d16_hi_b16 v5, v[10:11] offset:6912
.LBB2210_23:
	;; [unrolled: 54-line block ×4, first 2 shown]
	s_wait_alu 0xfffe
	s_or_b32 exec_lo, exec_lo, s4
	s_wait_loadcnt_dscnt 0x0
	ds_store_b16 v17, v1
	ds_store_b16_d16_hi v17, v1 offset:768
	ds_store_b16 v17, v2 offset:1536
	ds_store_b16_d16_hi v17, v2 offset:2304
	ds_store_b16 v17, v3 offset:3072
	;; [unrolled: 2-line block ×8, first 2 shown]
	ds_store_b16_d16_hi v17, v9 offset:13056
	s_wait_dscnt 0x0
	s_barrier_signal -1
	s_barrier_wait -1
.LBB2210_40:
	v_mul_u32_u24_e32 v1, 18, v0
	global_inv scope:SCOPE_SE
	s_and_not1_b32 vcc_lo, exec_lo, s11
	v_lshlrev_b32_e32 v2, 1, v1
	ds_load_2addr_b32 v[9:10], v2 offset0:7 offset1:8
	ds_load_b32 v26, v2
	ds_load_2addr_b32 v[15:16], v2 offset0:1 offset1:2
	ds_load_2addr_b32 v[13:14], v2 offset0:3 offset1:4
	;; [unrolled: 1-line block ×3, first 2 shown]
	s_wait_loadcnt_dscnt 0x0
	s_barrier_signal -1
	s_barrier_wait -1
	global_inv scope:SCOPE_SE
	v_alignbit_b32 v25, v10, v9, 16
	v_lshrrev_b32_e32 v10, 16, v10
	v_cmp_eq_u16_e64 s8, 0, v26
	v_lshrrev_b32_e32 v17, 16, v26
	v_cmp_eq_u16_e64 s9, 0, v15
	;; [unrolled: 2-line block ×8, first 2 shown]
	v_cmp_eq_u16_e64 s10, 0, v25
	v_lshrrev_b32_e32 v2, 16, v25
	v_cmp_eq_u16_e64 s24, 0, v10
	s_cbranch_vccnz .LBB2210_42
; %bb.41:
	v_cmp_eq_u16_e32 vcc_lo, 0, v17
	v_cndmask_b32_e64 v27, 0, 1, s10
	v_cndmask_b32_e64 v28, 0, 1, s8
	;; [unrolled: 1-line block ×4, first 2 shown]
	v_cndmask_b32_e64 v18, 0, 1, vcc_lo
	v_cmp_eq_u16_e32 vcc_lo, 0, v8
	v_lshlrev_b16 v27, 8, v27
	s_wait_alu 0xf1ff
	v_cndmask_b32_e64 v31, 0, 1, s3
	v_cndmask_b32_e64 v32, 0, 1, s2
	v_lshlrev_b16 v18, 8, v18
	s_wait_alu 0xfffd
	v_cndmask_b32_e64 v19, 0, 1, vcc_lo
	v_cmp_eq_u16_e32 vcc_lo, 0, v7
	v_or_b32_e32 v27, v32, v27
	v_lshrrev_b32_e32 v18, 8, v18
	s_delay_alu instid0(VALU_DEP_4)
	v_lshlrev_b16 v19, 8, v19
	s_wait_alu 0xfffd
	v_cndmask_b32_e64 v20, 0, 1, vcc_lo
	v_cmp_eq_u16_e32 vcc_lo, 0, v6
	v_lshlrev_b16 v18, 8, v18
	v_lshrrev_b32_e32 v19, 8, v19
	s_delay_alu instid0(VALU_DEP_4)
	v_lshlrev_b16 v20, 8, v20
	s_wait_alu 0xfffd
	v_cndmask_b32_e64 v21, 0, 1, vcc_lo
	v_cmp_eq_u16_e32 vcc_lo, 0, v5
	v_or_b32_e32 v18, v28, v18
	v_lshlrev_b16 v19, 8, v19
	v_lshrrev_b32_e32 v20, 8, v20
	v_lshlrev_b16 v21, 8, v21
	s_wait_alu 0xfffd
	v_cndmask_b32_e64 v22, 0, 1, vcc_lo
	v_cmp_eq_u16_e32 vcc_lo, 0, v3
	v_or_b32_e32 v19, v30, v19
	v_lshlrev_b16 v20, 8, v20
	v_cndmask_b32_e64 v28, 0, 1, s4
	v_lshlrev_b16 v22, 8, v22
	s_wait_alu 0xfffd
	v_cndmask_b32_e64 v23, 0, 1, vcc_lo
	v_cmp_eq_u16_e32 vcc_lo, 0, v4
	v_or_b32_e32 v20, v29, v20
	v_cndmask_b32_e64 v29, 0, 1, s5
	v_lshrrev_b32_e32 v22, 8, v22
	v_lshlrev_b16 v23, 8, v23
	s_wait_alu 0xfffd
	v_cndmask_b32_e64 v24, 0, 1, vcc_lo
	v_cndmask_b32_e64 v30, 0, 1, s6
	v_or_b32_e32 v21, v28, v21
	v_lshlrev_b16 v22, 8, v22
	v_lshrrev_b32_e32 v23, 8, v23
	v_lshlrev_b16 v24, 8, v24
	v_and_b32_e32 v18, 0xffff, v18
	v_lshlrev_b32_e32 v20, 16, v20
	v_or_b32_e32 v22, v29, v22
	v_lshlrev_b16 v23, 8, v23
	v_lshrrev_b32_e32 v24, 8, v24
	v_and_b32_e32 v19, 0xffff, v19
	v_lshlrev_b32_e32 v21, 16, v21
	v_and_b32_e32 v22, 0xffff, v22
	v_or_b32_e32 v23, v30, v23
	v_lshlrev_b16 v24, 8, v24
	v_lshlrev_b32_e32 v28, 16, v27
	v_cmp_eq_u16_e32 vcc_lo, 0, v2
	v_or_b32_e32 v42, v18, v20
	v_lshlrev_b32_e32 v23, 16, v23
	v_or_b32_e32 v24, v31, v24
	v_or_b32_e32 v36, v19, v21
	s_wait_alu 0xfffd
	v_cndmask_b32_e64 v27, 0, 1, vcc_lo
	v_or_b32_e32 v30, v22, v23
	v_and_b32_e32 v24, 0xffff, v24
	s_delay_alu instid0(VALU_DEP_1)
	v_or_b32_e32 v28, v24, v28
	s_cbranch_execz .LBB2210_43
	s_branch .LBB2210_44
.LBB2210_42:
                                        ; implicit-def: $sgpr24
                                        ; implicit-def: $vgpr27
                                        ; implicit-def: $vgpr28
                                        ; implicit-def: $vgpr30
                                        ; implicit-def: $vgpr36
                                        ; implicit-def: $vgpr42
.LBB2210_43:
	v_or_b32_e32 v18, 1, v1
	v_cmp_eq_u16_e32 vcc_lo, 0, v17
	v_add_nc_u32_e32 v20, 3, v1
	v_add_nc_u32_e32 v19, 5, v1
	;; [unrolled: 1-line block ×3, first 2 shown]
	v_cmp_gt_u32_e64 s4, s25, v18
	v_add_nc_u32_e32 v18, 2, v1
	v_cmp_gt_u32_e64 s6, s25, v20
	v_cmp_gt_u32_e64 s8, s25, v19
	v_add_nc_u32_e32 v19, 9, v1
	s_and_b32 s4, s4, vcc_lo
	v_cmp_eq_u16_e32 vcc_lo, 0, v7
	s_wait_alu 0xfffe
	v_cndmask_b32_e64 v21, 0, 1, s4
	v_cmp_eq_u16_e64 s4, 0, v8
	v_cmp_gt_u32_e64 s9, s25, v18
	v_cmp_gt_u32_e64 s10, s25, v19
	s_and_b32 s6, s6, vcc_lo
	v_cmp_gt_u32_e32 vcc_lo, s25, v17
	v_add_nc_u32_e32 v17, 7, v1
	s_and_b32 s4, s8, s4
	s_wait_alu 0xfffe
	v_cndmask_b32_e64 v8, 0, 1, s6
	v_cndmask_b32_e64 v18, 0, 1, s4
	v_cmp_eq_u16_e64 s4, 0, v6
	v_cmp_gt_u32_e64 s6, s25, v17
	v_cmp_eq_u16_e64 s8, 0, v5
	v_add_nc_u32_e32 v17, 8, v1
	v_lshlrev_b16 v7, 8, v21
	v_add_nc_u32_e32 v21, 13, v1
	s_and_b32 s4, s6, s4
	s_and_b32 s6, s10, s8
	v_cmp_gt_u32_e64 s10, s25, v17
	s_wait_alu 0xfffe
	v_cndmask_b32_e64 v19, 0, 1, s6
	v_cmp_eq_u16_e64 s11, 0, v3
	v_lshlrev_b16 v6, 8, v18
	v_add_nc_u32_e32 v18, 6, v1
	v_cmp_eq_u16_e64 s12, 0, v4
	v_lshlrev_b16 v17, 8, v19
	v_add_nc_u32_e32 v19, 11, v1
	v_cmp_gt_u32_e64 s16, s25, v21
	v_cmp_gt_u32_e64 s8, s25, v18
	v_add_nc_u32_e32 v18, 12, v1
	v_add_nc_u32_e32 v4, 15, v1
	v_cmp_gt_u32_e64 s13, s25, v19
	v_lshlrev_b16 v8, 8, v8
	v_cmp_eq_u16_e64 s2, 0, v26
	v_cmp_gt_u32_e64 s3, s25, v1
	v_cmp_eq_u16_e64 s5, 0, v15
	s_and_b32 s11, s13, s11
	v_cmp_gt_u32_e64 s13, s25, v4
	s_wait_alu 0xfffe
	v_cndmask_b32_e64 v3, 0, 1, s11
	s_and_b32 s11, s16, s12
	v_cmp_eq_u16_e64 s12, 0, v25
	s_wait_alu 0xfffe
	v_cndmask_b32_e64 v19, 0, 1, s11
	v_cmp_gt_u32_e64 s11, s25, v18
	v_add_nc_u32_e32 v18, 16, v1
	v_lshrrev_b32_e32 v7, 8, v7
	v_lshrrev_b32_e32 v8, 8, v8
	v_lshlrev_b16 v4, 8, v19
	v_add_nc_u32_e32 v19, 14, v1
	s_and_b32 s2, s3, s2
	v_add_nc_u32_e32 v20, 10, v1
	s_and_b32 s12, s13, s12
	v_cmp_gt_u32_e64 s13, s25, v18
	s_wait_alu 0xfffe
	v_cndmask_b32_e64 v18, 0, 1, s2
	s_and_b32 s2, s9, s5
	v_cmp_gt_u32_e64 s16, s25, v19
	v_lshlrev_b16 v7, 8, v7
	v_lshlrev_b16 v8, 8, v8
	s_wait_alu 0xfffe
	v_cndmask_b32_e64 v19, 0, 1, s2
	v_cndmask_b32_e64 v5, 0, 1, s4
	v_cmp_eq_u16_e64 s4, 0, v13
	v_cmp_gt_u32_e64 s17, s25, v20
	v_cndmask_b32_e64 v20, 0, 1, s12
	v_cmp_eq_u16_e64 s7, 0, v16
	v_cmp_eq_u16_e64 s6, 0, v14
	v_add_nc_u32_e32 v1, 17, v1
	v_or_b32_e32 v7, v18, v7
	v_or_b32_e32 v8, v19, v8
	v_lshrrev_b32_e32 v6, 8, v6
	v_cmp_eq_u16_e64 s14, 0, v11
	v_lshlrev_b16 v5, 8, v5
	v_lshlrev_b16 v3, 8, v3
	v_cmp_eq_u16_e64 s12, 0, v2
	v_lshlrev_b16 v2, 8, v20
	s_and_b32 s3, s8, s4
	v_cmp_eq_u16_e64 s15, 0, v12
	s_and_b32 s2, vcc_lo, s7
	v_cmp_gt_u32_e32 vcc_lo, s25, v1
	v_and_b32_e32 v1, 0xffff, v7
	v_lshlrev_b32_e32 v7, 16, v8
	v_lshrrev_b32_e32 v8, 8, v17
	s_wait_alu 0xfffe
	v_cndmask_b32_e64 v17, 0, 1, s3
	s_and_b32 s3, s10, s6
	v_cmp_eq_u16_e64 s18, 0, v9
	v_lshlrev_b16 v6, 8, v6
	v_cndmask_b32_e64 v20, 0, 1, s2
	s_wait_alu 0xfffe
	v_cndmask_b32_e64 v18, 0, 1, s3
	s_and_b32 s3, s17, s14
	v_lshrrev_b32_e32 v5, 8, v5
	v_lshrrev_b32_e32 v2, 8, v2
	;; [unrolled: 1-line block ×4, first 2 shown]
	s_wait_alu 0xfffe
	v_cndmask_b32_e64 v19, 0, 1, s3
	s_and_b32 s3, s11, s15
	v_or_b32_e32 v6, v20, v6
	s_wait_alu 0xfffe
	v_cndmask_b32_e64 v20, 0, 1, s3
	s_and_b32 s3, s16, s18
	v_lshlrev_b16 v5, 8, v5
	v_lshlrev_b16 v8, 8, v8
	;; [unrolled: 1-line block ×5, first 2 shown]
	s_wait_alu 0xfffe
	v_cndmask_b32_e64 v21, 0, 1, s3
	v_or_b32_e32 v5, v17, v5
	v_or_b32_e32 v8, v18, v8
	;; [unrolled: 1-line block ×5, first 2 shown]
	v_cmp_eq_u16_e64 s2, 0, v10
	v_and_b32_e32 v6, 0xffff, v6
	v_lshlrev_b32_e32 v5, 16, v5
	v_and_b32_e32 v8, 0xffff, v8
	v_lshlrev_b32_e32 v3, 16, v3
	;; [unrolled: 2-line block ×3, first 2 shown]
	s_and_b32 s12, s13, s12
	s_and_b32 s2, vcc_lo, s2
	s_wait_alu 0xfffe
	v_cndmask_b32_e64 v27, 0, 1, s12
	v_or_b32_e32 v42, v1, v7
	v_or_b32_e32 v36, v6, v5
	;; [unrolled: 1-line block ×4, first 2 shown]
	s_and_not1_b32 s3, s24, exec_lo
	s_and_b32 s2, s2, exec_lo
	s_wait_alu 0xfffe
	s_or_b32 s24, s3, s2
.LBB2210_44:
	v_dual_mov_b32 v2, 0 :: v_dual_and_b32 v47, 0xff, v42
	v_bfe_u32 v45, v42, 8, 8
	s_wait_alu 0xfffe
	v_cndmask_b32_e64 v1, 0, 1, s24
	v_bfe_u32 v48, v42, 16, 8
	s_load_b64 s[4:5], s[0:1], 0x68
	v_lshrrev_b32_e32 v46, 24, v42
	v_and_b32_e32 v44, 0xff, v36
	v_add3_u32 v1, v47, v1, v45
	v_bfe_u32 v43, v36, 8, 8
	v_bfe_u32 v41, v36, 16, 8
	v_lshrrev_b32_e32 v40, 24, v36
	v_and_b32_e32 v39, 0xff, v30
	v_add_co_u32 v1, s0, v1, v48
	s_delay_alu instid0(VALU_DEP_1) | instskip(SKIP_1) | instid1(VALU_DEP_3)
	v_add_co_ci_u32_e64 v3, null, 0, 0, s0
	v_bfe_u32 v38, v30, 8, 8
	v_add_co_u32 v1, vcc_lo, v1, v46
	s_wait_alu 0xfffd
	s_delay_alu instid0(VALU_DEP_3) | instskip(SKIP_1) | instid1(VALU_DEP_3)
	v_add_co_ci_u32_e64 v3, null, 0, v3, vcc_lo
	v_bfe_u32 v37, v30, 16, 8
	v_add_co_u32 v1, vcc_lo, v1, v44
	s_wait_alu 0xfffd
	s_delay_alu instid0(VALU_DEP_3) | instskip(SKIP_1) | instid1(VALU_DEP_3)
	v_add_co_ci_u32_e64 v3, null, 0, v3, vcc_lo
	v_lshrrev_b32_e32 v35, 24, v30
	v_add_co_u32 v1, vcc_lo, v1, v43
	s_wait_alu 0xfffd
	s_delay_alu instid0(VALU_DEP_3) | instskip(SKIP_1) | instid1(VALU_DEP_3)
	v_add_co_ci_u32_e64 v3, null, 0, v3, vcc_lo
	v_and_b32_e32 v34, 0xff, v28
	v_add_co_u32 v1, vcc_lo, v1, v41
	s_wait_alu 0xfffd
	s_delay_alu instid0(VALU_DEP_3) | instskip(SKIP_1) | instid1(VALU_DEP_3)
	v_add_co_ci_u32_e64 v3, null, 0, v3, vcc_lo
	v_bfe_u32 v33, v28, 8, 8
	v_add_co_u32 v1, vcc_lo, v1, v40
	s_wait_alu 0xfffd
	s_delay_alu instid0(VALU_DEP_3) | instskip(SKIP_1) | instid1(VALU_DEP_3)
	v_add_co_ci_u32_e64 v3, null, 0, v3, vcc_lo
	v_bfe_u32 v32, v28, 16, 8
	v_add_co_u32 v1, vcc_lo, v1, v39
	s_wait_alu 0xfffd
	s_delay_alu instid0(VALU_DEP_3) | instskip(SKIP_1) | instid1(VALU_DEP_3)
	v_add_co_ci_u32_e64 v3, null, 0, v3, vcc_lo
	v_lshrrev_b32_e32 v31, 24, v28
	v_add_co_u32 v1, vcc_lo, v1, v38
	s_wait_alu 0xfffd
	s_delay_alu instid0(VALU_DEP_3) | instskip(SKIP_1) | instid1(VALU_DEP_3)
	v_add_co_ci_u32_e64 v3, null, 0, v3, vcc_lo
	v_mbcnt_lo_u32_b32 v49, -1, 0
	v_add_co_u32 v1, vcc_lo, v1, v37
	s_wait_alu 0xfffd
	s_delay_alu instid0(VALU_DEP_3) | instskip(SKIP_1) | instid1(VALU_DEP_3)
	v_add_co_ci_u32_e64 v3, null, 0, v3, vcc_lo
	v_and_b32_e32 v29, 0xff, v27
	v_add_co_u32 v1, vcc_lo, v1, v35
	s_wait_alu 0xfffd
	s_delay_alu instid0(VALU_DEP_3) | instskip(SKIP_1) | instid1(VALU_DEP_3)
	v_add_co_ci_u32_e64 v3, null, 0, v3, vcc_lo
	v_and_b32_e32 v50, 15, v49
	v_add_co_u32 v1, vcc_lo, v1, v34
	s_wait_alu 0xfffd
	s_delay_alu instid0(VALU_DEP_3) | instskip(NEXT) | instid1(VALU_DEP_3)
	v_add_co_ci_u32_e64 v3, null, 0, v3, vcc_lo
	v_cmp_ne_u32_e64 s0, 0, v50
	s_delay_alu instid0(VALU_DEP_3) | instskip(SKIP_1) | instid1(VALU_DEP_3)
	v_add_co_u32 v1, vcc_lo, v1, v33
	s_wait_alu 0xfffd
	v_add_co_ci_u32_e64 v3, null, 0, v3, vcc_lo
	s_cmp_lg_u32 ttmp9, 0
	v_add_co_u32 v1, vcc_lo, v1, v32
	s_wait_alu 0xfffd
	v_add_co_ci_u32_e64 v3, null, 0, v3, vcc_lo
	s_mov_b32 s1, -1
	v_add_co_u32 v1, vcc_lo, v1, v31
	s_wait_alu 0xfffd
	v_add_co_ci_u32_e64 v3, null, 0, v3, vcc_lo
	s_delay_alu instid0(VALU_DEP_2) | instskip(SKIP_1) | instid1(VALU_DEP_2)
	v_add_co_u32 v17, vcc_lo, v1, v29
	s_wait_alu 0xfffd
	v_add_co_ci_u32_e64 v18, null, 0, v3, vcc_lo
	s_cbranch_scc0 .LBB2210_103
; %bb.45:
	v_mov_b32_e32 v3, v17
	v_mov_b32_dpp v1, v17 row_shr:1 row_mask:0xf bank_mask:0xf
	v_mov_b32_dpp v6, v2 row_shr:1 row_mask:0xf bank_mask:0xf
	v_dual_mov_b32 v5, v17 :: v_dual_mov_b32 v4, v18
	s_and_saveexec_b32 s1, s0
; %bb.46:
	s_delay_alu instid0(VALU_DEP_3) | instskip(SKIP_2) | instid1(VALU_DEP_2)
	v_add_co_u32 v5, vcc_lo, v17, v1
	s_wait_alu 0xfffd
	v_add_co_ci_u32_e64 v2, null, 0, v18, vcc_lo
	v_add_co_u32 v1, vcc_lo, 0, v5
	s_wait_alu 0xfffd
	s_delay_alu instid0(VALU_DEP_2) | instskip(NEXT) | instid1(VALU_DEP_1)
	v_add_co_ci_u32_e64 v2, null, v6, v2, vcc_lo
	v_dual_mov_b32 v4, v2 :: v_dual_mov_b32 v3, v1
; %bb.47:
	s_wait_alu 0xfffe
	s_or_b32 exec_lo, exec_lo, s1
	v_mov_b32_dpp v1, v5 row_shr:2 row_mask:0xf bank_mask:0xf
	v_mov_b32_dpp v6, v2 row_shr:2 row_mask:0xf bank_mask:0xf
	v_cmp_lt_u32_e32 vcc_lo, 1, v50
	s_and_saveexec_b32 s2, vcc_lo
; %bb.48:
	s_delay_alu instid0(VALU_DEP_3) | instskip(SKIP_2) | instid1(VALU_DEP_2)
	v_add_co_u32 v5, s1, v3, v1
	s_wait_alu 0xf1ff
	v_add_co_ci_u32_e64 v2, null, 0, v4, s1
	v_add_co_u32 v1, s1, 0, v5
	s_wait_alu 0xf1ff
	s_delay_alu instid0(VALU_DEP_2) | instskip(NEXT) | instid1(VALU_DEP_1)
	v_add_co_ci_u32_e64 v2, null, v6, v2, s1
	v_dual_mov_b32 v4, v2 :: v_dual_mov_b32 v3, v1
; %bb.49:
	s_wait_alu 0xfffe
	s_or_b32 exec_lo, exec_lo, s2
	v_mov_b32_dpp v1, v5 row_shr:4 row_mask:0xf bank_mask:0xf
	v_mov_b32_dpp v6, v2 row_shr:4 row_mask:0xf bank_mask:0xf
	v_cmp_lt_u32_e64 s1, 3, v50
	s_and_saveexec_b32 s3, s1
; %bb.50:
	v_add_co_u32 v5, s2, v3, v1
	s_wait_alu 0xf1ff
	v_add_co_ci_u32_e64 v2, null, 0, v4, s2
	s_delay_alu instid0(VALU_DEP_2) | instskip(SKIP_1) | instid1(VALU_DEP_2)
	v_add_co_u32 v1, s2, 0, v5
	s_wait_alu 0xf1ff
	v_add_co_ci_u32_e64 v2, null, v6, v2, s2
	s_delay_alu instid0(VALU_DEP_1)
	v_dual_mov_b32 v4, v2 :: v_dual_mov_b32 v3, v1
; %bb.51:
	s_wait_alu 0xfffe
	s_or_b32 exec_lo, exec_lo, s3
	v_mov_b32_dpp v6, v5 row_shr:8 row_mask:0xf bank_mask:0xf
	v_mov_b32_dpp v1, v2 row_shr:8 row_mask:0xf bank_mask:0xf
	v_cmp_lt_u32_e64 s2, 7, v50
	s_and_saveexec_b32 s6, s2
; %bb.52:
	v_add_co_u32 v5, s3, v3, v6
	s_wait_alu 0xf1ff
	v_add_co_ci_u32_e64 v2, null, 0, v4, s3
	s_delay_alu instid0(VALU_DEP_2) | instskip(SKIP_1) | instid1(VALU_DEP_2)
	v_add_co_u32 v3, s3, 0, v5
	s_wait_alu 0xf1ff
	v_add_co_ci_u32_e64 v4, null, v1, v2, s3
	s_delay_alu instid0(VALU_DEP_1)
	v_mov_b32_e32 v2, v4
; %bb.53:
	s_wait_alu 0xfffe
	s_or_b32 exec_lo, exec_lo, s6
	ds_swizzle_b32 v6, v5 offset:swizzle(BROADCAST,32,15)
	ds_swizzle_b32 v1, v2 offset:swizzle(BROADCAST,32,15)
	v_and_b32_e32 v2, 16, v49
	s_mov_b32 s6, exec_lo
	s_delay_alu instid0(VALU_DEP_1)
	v_cmpx_ne_u32_e32 0, v2
	s_cbranch_execz .LBB2210_55
; %bb.54:
	s_wait_dscnt 0x1
	v_add_co_u32 v5, s3, v3, v6
	s_wait_alu 0xf1ff
	v_add_co_ci_u32_e64 v2, null, 0, v4, s3
	s_delay_alu instid0(VALU_DEP_2) | instskip(SKIP_2) | instid1(VALU_DEP_2)
	v_add_co_u32 v3, s3, 0, v5
	s_wait_dscnt 0x0
	s_wait_alu 0xf1ff
	v_add_co_ci_u32_e64 v4, null, v1, v2, s3
.LBB2210_55:
	s_wait_alu 0xfffe
	s_or_b32 exec_lo, exec_lo, s6
	s_wait_dscnt 0x0
	v_and_b32_e32 v1, 0x1e0, v0
	v_lshrrev_b32_e32 v6, 5, v0
	s_mov_b32 s6, exec_lo
	s_delay_alu instid0(VALU_DEP_2) | instskip(NEXT) | instid1(VALU_DEP_1)
	v_min_u32_e32 v1, 0x160, v1
	v_or_b32_e32 v1, 31, v1
	s_delay_alu instid0(VALU_DEP_1)
	v_cmpx_eq_u32_e64 v0, v1
; %bb.56:
	v_lshlrev_b32_e32 v1, 3, v6
	ds_store_b64 v1, v[3:4]
; %bb.57:
	s_wait_alu 0xfffe
	s_or_b32 exec_lo, exec_lo, s6
	s_delay_alu instid0(SALU_CYCLE_1)
	s_mov_b32 s6, exec_lo
	s_wait_loadcnt_dscnt 0x0
	s_barrier_signal -1
	s_barrier_wait -1
	global_inv scope:SCOPE_SE
	v_cmpx_gt_u32_e32 12, v0
	s_cbranch_execz .LBB2210_67
; %bb.58:
	v_lshlrev_b32_e32 v3, 3, v0
	ds_load_b64 v[1:2], v3
	s_wait_dscnt 0x0
	v_mov_b32_dpp v8, v1 row_shr:1 row_mask:0xf bank_mask:0xf
	v_mov_b32_dpp v7, v2 row_shr:1 row_mask:0xf bank_mask:0xf
	v_mov_b32_e32 v4, v1
	s_and_saveexec_b32 s7, s0
; %bb.59:
	s_delay_alu instid0(VALU_DEP_3) | instskip(SKIP_2) | instid1(VALU_DEP_2)
	v_add_co_u32 v4, s3, v1, v8
	s_wait_alu 0xf1ff
	v_add_co_ci_u32_e64 v2, null, 0, v2, s3
	v_add_co_u32 v1, s3, 0, v4
	s_wait_alu 0xf1ff
	s_delay_alu instid0(VALU_DEP_2)
	v_add_co_ci_u32_e64 v2, null, v7, v2, s3
; %bb.60:
	s_wait_alu 0xfffe
	s_or_b32 exec_lo, exec_lo, s7
	v_mov_b32_dpp v8, v4 row_shr:2 row_mask:0xf bank_mask:0xf
	s_delay_alu instid0(VALU_DEP_2)
	v_mov_b32_dpp v7, v2 row_shr:2 row_mask:0xf bank_mask:0xf
	s_and_saveexec_b32 s3, vcc_lo
; %bb.61:
	s_delay_alu instid0(VALU_DEP_2) | instskip(SKIP_2) | instid1(VALU_DEP_2)
	v_add_co_u32 v4, vcc_lo, v1, v8
	s_wait_alu 0xfffd
	v_add_co_ci_u32_e64 v2, null, 0, v2, vcc_lo
	v_add_co_u32 v1, vcc_lo, 0, v4
	s_wait_alu 0xfffd
	s_delay_alu instid0(VALU_DEP_2)
	v_add_co_ci_u32_e64 v2, null, v7, v2, vcc_lo
; %bb.62:
	s_wait_alu 0xfffe
	s_or_b32 exec_lo, exec_lo, s3
	v_mov_b32_dpp v8, v4 row_shr:4 row_mask:0xf bank_mask:0xf
	s_delay_alu instid0(VALU_DEP_2)
	v_mov_b32_dpp v7, v2 row_shr:4 row_mask:0xf bank_mask:0xf
	s_and_saveexec_b32 s3, s1
; %bb.63:
	s_delay_alu instid0(VALU_DEP_2) | instskip(SKIP_2) | instid1(VALU_DEP_2)
	v_add_co_u32 v4, vcc_lo, v1, v8
	s_wait_alu 0xfffd
	v_add_co_ci_u32_e64 v2, null, 0, v2, vcc_lo
	v_add_co_u32 v1, vcc_lo, 0, v4
	s_wait_alu 0xfffd
	s_delay_alu instid0(VALU_DEP_2)
	v_add_co_ci_u32_e64 v2, null, v7, v2, vcc_lo
; %bb.64:
	s_wait_alu 0xfffe
	s_or_b32 exec_lo, exec_lo, s3
	v_mov_b32_dpp v7, v4 row_shr:8 row_mask:0xf bank_mask:0xf
	s_delay_alu instid0(VALU_DEP_2)
	v_mov_b32_dpp v4, v2 row_shr:8 row_mask:0xf bank_mask:0xf
	s_and_saveexec_b32 s1, s2
; %bb.65:
	s_delay_alu instid0(VALU_DEP_2) | instskip(SKIP_2) | instid1(VALU_DEP_2)
	v_add_co_u32 v1, vcc_lo, v1, v7
	s_wait_alu 0xfffd
	v_add_co_ci_u32_e64 v2, null, 0, v2, vcc_lo
	v_add_co_u32 v1, vcc_lo, v1, 0
	s_wait_alu 0xfffd
	s_delay_alu instid0(VALU_DEP_2)
	v_add_co_ci_u32_e64 v2, null, v2, v4, vcc_lo
; %bb.66:
	s_wait_alu 0xfffe
	s_or_b32 exec_lo, exec_lo, s1
	ds_store_b64 v3, v[1:2]
.LBB2210_67:
	s_wait_alu 0xfffe
	s_or_b32 exec_lo, exec_lo, s6
	s_delay_alu instid0(SALU_CYCLE_1)
	s_mov_b32 s2, exec_lo
	v_cmp_gt_u32_e32 vcc_lo, 32, v0
	s_wait_loadcnt_dscnt 0x0
	s_barrier_signal -1
	s_barrier_wait -1
	global_inv scope:SCOPE_SE
                                        ; implicit-def: $vgpr19_vgpr20
	v_cmpx_lt_u32_e32 31, v0
	s_cbranch_execz .LBB2210_69
; %bb.68:
	v_lshl_add_u32 v1, v6, 3, -8
	ds_load_b64 v[19:20], v1
	s_wait_dscnt 0x0
	v_add_nc_u32_e32 v5, v5, v19
.LBB2210_69:
	s_wait_alu 0xfffe
	s_or_b32 exec_lo, exec_lo, s2
	v_sub_co_u32 v1, s1, v49, 1
	s_delay_alu instid0(VALU_DEP_1) | instskip(SKIP_1) | instid1(VALU_DEP_1)
	v_cmp_gt_i32_e64 s2, 0, v1
	s_wait_alu 0xf1ff
	v_cndmask_b32_e64 v1, v1, v49, s2
	s_delay_alu instid0(VALU_DEP_1)
	v_lshlrev_b32_e32 v1, 2, v1
	ds_bpermute_b32 v51, v1, v5
	s_and_saveexec_b32 s2, vcc_lo
	s_cbranch_execz .LBB2210_108
; %bb.70:
	v_mov_b32_e32 v4, 0
	ds_load_b64 v[1:2], v4 offset:88
	s_and_saveexec_b32 s3, s1
	s_cbranch_execz .LBB2210_72
; %bb.71:
	s_add_co_i32 s6, ttmp9, 32
	s_mov_b32 s7, 0
	s_wait_alu 0xfffe
	s_lshl_b64 s[6:7], s[6:7], 4
	s_wait_kmcnt 0x0
	s_wait_alu 0xfffe
	s_add_nc_u64 s[6:7], s[4:5], s[6:7]
	v_mov_b32_e32 v3, 1
	s_wait_alu 0xfffe
	v_dual_mov_b32 v5, s6 :: v_dual_mov_b32 v6, s7
	s_wait_dscnt 0x0
	;;#ASMSTART
	global_store_b128 v[5:6], v[1:4] off scope:SCOPE_DEV	
s_wait_storecnt 0x0
	;;#ASMEND
.LBB2210_72:
	s_wait_alu 0xfffe
	s_or_b32 exec_lo, exec_lo, s3
	v_xad_u32 v21, v49, -1, ttmp9
	s_mov_b32 s6, 0
	s_mov_b32 s3, exec_lo
	s_delay_alu instid0(VALU_DEP_1) | instskip(NEXT) | instid1(VALU_DEP_1)
	v_add_nc_u32_e32 v3, 32, v21
	v_lshlrev_b64_e32 v[3:4], 4, v[3:4]
	s_wait_kmcnt 0x0
	s_delay_alu instid0(VALU_DEP_1) | instskip(SKIP_1) | instid1(VALU_DEP_2)
	v_add_co_u32 v3, vcc_lo, s4, v3
	s_wait_alu 0xfffd
	v_add_co_ci_u32_e64 v4, null, s5, v4, vcc_lo
	;;#ASMSTART
	global_load_b128 v[5:8], v[3:4] off scope:SCOPE_DEV	
s_wait_loadcnt 0x0
	;;#ASMEND
	v_and_b32_e32 v8, 0xff, v7
	s_delay_alu instid0(VALU_DEP_1)
	v_cmpx_eq_u16_e32 0, v8
	s_cbranch_execz .LBB2210_75
.LBB2210_73:                            ; =>This Inner Loop Header: Depth=1
	;;#ASMSTART
	global_load_b128 v[5:8], v[3:4] off scope:SCOPE_DEV	
s_wait_loadcnt 0x0
	;;#ASMEND
	v_and_b32_e32 v8, 0xff, v7
	s_delay_alu instid0(VALU_DEP_1)
	v_cmp_ne_u16_e32 vcc_lo, 0, v8
	s_wait_alu 0xfffe
	s_or_b32 s6, vcc_lo, s6
	s_wait_alu 0xfffe
	s_and_not1_b32 exec_lo, exec_lo, s6
	s_cbranch_execnz .LBB2210_73
; %bb.74:
	s_or_b32 exec_lo, exec_lo, s6
.LBB2210_75:
	s_wait_alu 0xfffe
	s_or_b32 exec_lo, exec_lo, s3
	v_cmp_ne_u32_e32 vcc_lo, 31, v49
	v_and_b32_e32 v4, 0xff, v7
	v_lshlrev_b32_e64 v53, v49, -1
	s_mov_b32 s3, exec_lo
	s_wait_alu 0xfffd
	v_add_co_ci_u32_e64 v3, null, 0, v49, vcc_lo
	v_cmp_eq_u16_e32 vcc_lo, 2, v4
	v_mov_b32_e32 v4, v5
	s_delay_alu instid0(VALU_DEP_3)
	v_lshlrev_b32_e32 v52, 2, v3
	s_wait_alu 0xfffd
	v_and_or_b32 v3, vcc_lo, v53, 0x80000000
	ds_bpermute_b32 v22, v52, v5
	ds_bpermute_b32 v8, v52, v6
	v_ctz_i32_b32_e32 v3, v3
	s_delay_alu instid0(VALU_DEP_1)
	v_cmpx_lt_u32_e64 v49, v3
	s_cbranch_execz .LBB2210_77
; %bb.76:
	s_wait_dscnt 0x1
	v_add_co_u32 v4, vcc_lo, v5, v22
	s_wait_alu 0xfffd
	v_add_co_ci_u32_e64 v6, null, 0, v6, vcc_lo
	s_delay_alu instid0(VALU_DEP_2) | instskip(SKIP_2) | instid1(VALU_DEP_2)
	v_add_co_u32 v5, vcc_lo, 0, v4
	s_wait_dscnt 0x0
	s_wait_alu 0xfffd
	v_add_co_ci_u32_e64 v6, null, v8, v6, vcc_lo
.LBB2210_77:
	s_wait_alu 0xfffe
	s_or_b32 exec_lo, exec_lo, s3
	v_cmp_gt_u32_e32 vcc_lo, 30, v49
	v_add_nc_u32_e32 v55, 2, v49
	s_mov_b32 s3, exec_lo
	s_wait_dscnt 0x0
	s_wait_alu 0xfffd
	v_cndmask_b32_e64 v8, 0, 2, vcc_lo
	s_delay_alu instid0(VALU_DEP_1)
	v_add_lshl_u32 v54, v8, v49, 2
	ds_bpermute_b32 v22, v54, v4
	ds_bpermute_b32 v8, v54, v6
	v_cmpx_le_u32_e64 v55, v3
	s_cbranch_execz .LBB2210_79
; %bb.78:
	s_wait_dscnt 0x1
	v_add_co_u32 v4, vcc_lo, v5, v22
	s_wait_alu 0xfffd
	v_add_co_ci_u32_e64 v6, null, 0, v6, vcc_lo
	s_delay_alu instid0(VALU_DEP_2) | instskip(SKIP_2) | instid1(VALU_DEP_2)
	v_add_co_u32 v5, vcc_lo, 0, v4
	s_wait_dscnt 0x0
	s_wait_alu 0xfffd
	v_add_co_ci_u32_e64 v6, null, v8, v6, vcc_lo
.LBB2210_79:
	s_wait_alu 0xfffe
	s_or_b32 exec_lo, exec_lo, s3
	v_cmp_gt_u32_e32 vcc_lo, 28, v49
	v_add_nc_u32_e32 v57, 4, v49
	s_mov_b32 s3, exec_lo
	s_wait_dscnt 0x0
	s_wait_alu 0xfffd
	v_cndmask_b32_e64 v8, 0, 4, vcc_lo
	s_delay_alu instid0(VALU_DEP_1)
	v_add_lshl_u32 v56, v8, v49, 2
	ds_bpermute_b32 v22, v56, v4
	ds_bpermute_b32 v8, v56, v6
	v_cmpx_le_u32_e64 v57, v3
	;; [unrolled: 25-line block ×3, first 2 shown]
	s_cbranch_execz .LBB2210_83
; %bb.82:
	s_wait_dscnt 0x1
	v_add_co_u32 v4, vcc_lo, v5, v22
	s_wait_alu 0xfffd
	v_add_co_ci_u32_e64 v6, null, 0, v6, vcc_lo
	s_delay_alu instid0(VALU_DEP_2) | instskip(SKIP_2) | instid1(VALU_DEP_2)
	v_add_co_u32 v5, vcc_lo, 0, v4
	s_wait_dscnt 0x0
	s_wait_alu 0xfffd
	v_add_co_ci_u32_e64 v6, null, v8, v6, vcc_lo
.LBB2210_83:
	s_wait_alu 0xfffe
	s_or_b32 exec_lo, exec_lo, s3
	v_lshl_or_b32 v60, v49, 2, 64
	v_add_nc_u32_e32 v61, 16, v49
	s_mov_b32 s3, exec_lo
	s_wait_dscnt 0x0
	ds_bpermute_b32 v8, v60, v4
	ds_bpermute_b32 v4, v60, v6
	v_cmpx_le_u32_e64 v61, v3
	s_cbranch_execz .LBB2210_85
; %bb.84:
	s_wait_dscnt 0x1
	v_add_co_u32 v3, vcc_lo, v5, v8
	s_wait_alu 0xfffd
	v_add_co_ci_u32_e64 v6, null, 0, v6, vcc_lo
	s_delay_alu instid0(VALU_DEP_2) | instskip(SKIP_2) | instid1(VALU_DEP_2)
	v_add_co_u32 v5, vcc_lo, v3, 0
	s_wait_dscnt 0x0
	s_wait_alu 0xfffd
	v_add_co_ci_u32_e64 v6, null, v6, v4, vcc_lo
.LBB2210_85:
	s_wait_alu 0xfffe
	s_or_b32 exec_lo, exec_lo, s3
	v_mov_b32_e32 v22, 0
	s_branch .LBB2210_88
.LBB2210_86:                            ;   in Loop: Header=BB2210_88 Depth=1
	s_wait_alu 0xfffe
	s_or_b32 exec_lo, exec_lo, s3
	v_add_co_u32 v5, vcc_lo, v5, v3
	v_subrev_nc_u32_e32 v21, 32, v21
	s_wait_alu 0xfffd
	v_add_co_ci_u32_e64 v6, null, v6, v4, vcc_lo
	s_mov_b32 s3, 0
.LBB2210_87:                            ;   in Loop: Header=BB2210_88 Depth=1
	s_wait_alu 0xfffe
	s_and_b32 vcc_lo, exec_lo, s3
	s_wait_alu 0xfffe
	s_cbranch_vccnz .LBB2210_104
.LBB2210_88:                            ; =>This Loop Header: Depth=1
                                        ;     Child Loop BB2210_91 Depth 2
	v_and_b32_e32 v3, 0xff, v7
	s_mov_b32 s3, -1
	s_delay_alu instid0(VALU_DEP_1)
	v_cmp_ne_u16_e32 vcc_lo, 2, v3
	s_wait_dscnt 0x0
	v_dual_mov_b32 v3, v5 :: v_dual_mov_b32 v4, v6
                                        ; implicit-def: $vgpr5_vgpr6
	s_cmp_lg_u32 vcc_lo, exec_lo
	s_cbranch_scc1 .LBB2210_87
; %bb.89:                               ;   in Loop: Header=BB2210_88 Depth=1
	v_lshlrev_b64_e32 v[5:6], 4, v[21:22]
	s_mov_b32 s3, exec_lo
	s_delay_alu instid0(VALU_DEP_1) | instskip(SKIP_1) | instid1(VALU_DEP_2)
	v_add_co_u32 v23, vcc_lo, s4, v5
	s_wait_alu 0xfffd
	v_add_co_ci_u32_e64 v24, null, s5, v6, vcc_lo
	;;#ASMSTART
	global_load_b128 v[5:8], v[23:24] off scope:SCOPE_DEV	
s_wait_loadcnt 0x0
	;;#ASMEND
	v_and_b32_e32 v8, 0xff, v7
	s_delay_alu instid0(VALU_DEP_1)
	v_cmpx_eq_u16_e32 0, v8
	s_cbranch_execz .LBB2210_93
; %bb.90:                               ;   in Loop: Header=BB2210_88 Depth=1
	s_mov_b32 s6, 0
.LBB2210_91:                            ;   Parent Loop BB2210_88 Depth=1
                                        ; =>  This Inner Loop Header: Depth=2
	;;#ASMSTART
	global_load_b128 v[5:8], v[23:24] off scope:SCOPE_DEV	
s_wait_loadcnt 0x0
	;;#ASMEND
	v_and_b32_e32 v8, 0xff, v7
	s_delay_alu instid0(VALU_DEP_1)
	v_cmp_ne_u16_e32 vcc_lo, 0, v8
	s_wait_alu 0xfffe
	s_or_b32 s6, vcc_lo, s6
	s_wait_alu 0xfffe
	s_and_not1_b32 exec_lo, exec_lo, s6
	s_cbranch_execnz .LBB2210_91
; %bb.92:                               ;   in Loop: Header=BB2210_88 Depth=1
	s_or_b32 exec_lo, exec_lo, s6
.LBB2210_93:                            ;   in Loop: Header=BB2210_88 Depth=1
	s_wait_alu 0xfffe
	s_or_b32 exec_lo, exec_lo, s3
	v_dual_mov_b32 v23, v5 :: v_dual_and_b32 v8, 0xff, v7
	ds_bpermute_b32 v62, v52, v5
	ds_bpermute_b32 v24, v52, v6
	s_mov_b32 s3, exec_lo
	v_cmp_eq_u16_e32 vcc_lo, 2, v8
	s_wait_alu 0xfffd
	v_and_or_b32 v8, vcc_lo, v53, 0x80000000
	s_delay_alu instid0(VALU_DEP_1) | instskip(NEXT) | instid1(VALU_DEP_1)
	v_ctz_i32_b32_e32 v8, v8
	v_cmpx_lt_u32_e64 v49, v8
	s_cbranch_execz .LBB2210_95
; %bb.94:                               ;   in Loop: Header=BB2210_88 Depth=1
	s_wait_dscnt 0x1
	v_add_co_u32 v23, vcc_lo, v5, v62
	s_wait_alu 0xfffd
	v_add_co_ci_u32_e64 v6, null, 0, v6, vcc_lo
	s_delay_alu instid0(VALU_DEP_2) | instskip(SKIP_2) | instid1(VALU_DEP_2)
	v_add_co_u32 v5, vcc_lo, 0, v23
	s_wait_dscnt 0x0
	s_wait_alu 0xfffd
	v_add_co_ci_u32_e64 v6, null, v24, v6, vcc_lo
.LBB2210_95:                            ;   in Loop: Header=BB2210_88 Depth=1
	s_wait_alu 0xfffe
	s_or_b32 exec_lo, exec_lo, s3
	s_wait_dscnt 0x1
	ds_bpermute_b32 v62, v54, v23
	s_wait_dscnt 0x1
	ds_bpermute_b32 v24, v54, v6
	s_mov_b32 s3, exec_lo
	v_cmpx_le_u32_e64 v55, v8
	s_cbranch_execz .LBB2210_97
; %bb.96:                               ;   in Loop: Header=BB2210_88 Depth=1
	s_wait_dscnt 0x1
	v_add_co_u32 v23, vcc_lo, v5, v62
	s_wait_alu 0xfffd
	v_add_co_ci_u32_e64 v6, null, 0, v6, vcc_lo
	s_delay_alu instid0(VALU_DEP_2) | instskip(SKIP_2) | instid1(VALU_DEP_2)
	v_add_co_u32 v5, vcc_lo, 0, v23
	s_wait_dscnt 0x0
	s_wait_alu 0xfffd
	v_add_co_ci_u32_e64 v6, null, v24, v6, vcc_lo
.LBB2210_97:                            ;   in Loop: Header=BB2210_88 Depth=1
	s_wait_alu 0xfffe
	s_or_b32 exec_lo, exec_lo, s3
	s_wait_dscnt 0x1
	ds_bpermute_b32 v62, v56, v23
	s_wait_dscnt 0x1
	ds_bpermute_b32 v24, v56, v6
	s_mov_b32 s3, exec_lo
	v_cmpx_le_u32_e64 v57, v8
	;; [unrolled: 20-line block ×3, first 2 shown]
	s_cbranch_execz .LBB2210_101
; %bb.100:                              ;   in Loop: Header=BB2210_88 Depth=1
	s_wait_dscnt 0x1
	v_add_co_u32 v23, vcc_lo, v5, v62
	s_wait_alu 0xfffd
	v_add_co_ci_u32_e64 v6, null, 0, v6, vcc_lo
	s_delay_alu instid0(VALU_DEP_2) | instskip(SKIP_2) | instid1(VALU_DEP_2)
	v_add_co_u32 v5, vcc_lo, 0, v23
	s_wait_dscnt 0x0
	s_wait_alu 0xfffd
	v_add_co_ci_u32_e64 v6, null, v24, v6, vcc_lo
.LBB2210_101:                           ;   in Loop: Header=BB2210_88 Depth=1
	s_wait_alu 0xfffe
	s_or_b32 exec_lo, exec_lo, s3
	s_wait_dscnt 0x0
	ds_bpermute_b32 v24, v60, v23
	ds_bpermute_b32 v23, v60, v6
	s_mov_b32 s3, exec_lo
	v_cmpx_le_u32_e64 v61, v8
	s_cbranch_execz .LBB2210_86
; %bb.102:                              ;   in Loop: Header=BB2210_88 Depth=1
	s_wait_dscnt 0x1
	v_add_co_u32 v5, vcc_lo, v5, v24
	s_wait_alu 0xfffd
	v_add_co_ci_u32_e64 v6, null, 0, v6, vcc_lo
	s_delay_alu instid0(VALU_DEP_2) | instskip(SKIP_2) | instid1(VALU_DEP_2)
	v_add_co_u32 v5, vcc_lo, v5, 0
	s_wait_dscnt 0x0
	s_wait_alu 0xfffd
	v_add_co_ci_u32_e64 v6, null, v6, v23, vcc_lo
	s_branch .LBB2210_86
.LBB2210_103:
                                        ; implicit-def: $vgpr3_vgpr4
                                        ; implicit-def: $vgpr5_vgpr6
	s_wait_alu 0xfffe
	s_and_b32 vcc_lo, exec_lo, s1
	s_wait_alu 0xfffe
	s_cbranch_vccnz .LBB2210_109
	s_branch .LBB2210_136
.LBB2210_104:
	s_and_saveexec_b32 s3, s1
	s_cbranch_execz .LBB2210_106
; %bb.105:
	s_add_co_i32 s6, ttmp9, 32
	s_mov_b32 s7, 0
	v_add_co_u32 v5, vcc_lo, v3, v1
	s_wait_alu 0xfffe
	s_lshl_b64 s[6:7], s[6:7], 4
	v_dual_mov_b32 v7, 2 :: v_dual_mov_b32 v8, 0
	s_wait_alu 0xfffe
	s_add_nc_u64 s[6:7], s[4:5], s[6:7]
	s_wait_alu 0xfffd
	v_add_co_ci_u32_e64 v6, null, v4, v2, vcc_lo
	s_wait_alu 0xfffe
	v_dual_mov_b32 v22, s7 :: v_dual_mov_b32 v21, s6
	;;#ASMSTART
	global_store_b128 v[21:22], v[5:8] off scope:SCOPE_DEV	
s_wait_storecnt 0x0
	;;#ASMEND
	ds_store_b128 v8, v[1:4] offset:13824
.LBB2210_106:
	s_wait_alu 0xfffe
	s_or_b32 exec_lo, exec_lo, s3
	v_cmp_eq_u32_e32 vcc_lo, 0, v0
	s_and_b32 exec_lo, exec_lo, vcc_lo
; %bb.107:
	v_mov_b32_e32 v1, 0
	ds_store_b64 v1, v[3:4] offset:88
.LBB2210_108:
	s_wait_alu 0xfffe
	s_or_b32 exec_lo, exec_lo, s2
	v_cndmask_b32_e64 v8, 0, v20, s1
	v_cmp_ne_u32_e32 vcc_lo, 0, v0
	v_mov_b32_e32 v1, 0
	s_wait_loadcnt_dscnt 0x0
	s_barrier_signal -1
	s_barrier_wait -1
	global_inv scope:SCOPE_SE
	s_wait_alu 0xfffd
	v_cndmask_b32_e32 v8, 0, v8, vcc_lo
	ds_load_b64 v[5:6], v1 offset:88
	s_wait_loadcnt_dscnt 0x0
	s_barrier_signal -1
	s_barrier_wait -1
	global_inv scope:SCOPE_SE
	ds_load_b128 v[1:4], v1 offset:13824
	v_cndmask_b32_e64 v7, v51, v19, s1
	s_delay_alu instid0(VALU_DEP_1) | instskip(NEXT) | instid1(VALU_DEP_1)
	v_cndmask_b32_e32 v7, 0, v7, vcc_lo
	v_add_co_u32 v5, vcc_lo, v5, v7
	s_wait_alu 0xfffd
	v_add_co_ci_u32_e64 v6, null, v6, v8, vcc_lo
	s_branch .LBB2210_136
.LBB2210_109:
	s_wait_dscnt 0x0
	v_dual_mov_b32 v2, 0 :: v_dual_mov_b32 v3, v17
	v_mov_b32_dpp v4, v17 row_shr:1 row_mask:0xf bank_mask:0xf
	s_delay_alu instid0(VALU_DEP_2)
	v_mov_b32_dpp v1, v2 row_shr:1 row_mask:0xf bank_mask:0xf
	s_and_saveexec_b32 s1, s0
; %bb.110:
	s_delay_alu instid0(VALU_DEP_2) | instskip(SKIP_2) | instid1(VALU_DEP_2)
	v_add_co_u32 v3, vcc_lo, v17, v4
	s_wait_alu 0xfffd
	v_add_co_ci_u32_e64 v2, null, 0, v18, vcc_lo
	v_add_co_u32 v17, vcc_lo, 0, v3
	s_wait_alu 0xfffd
	s_delay_alu instid0(VALU_DEP_2) | instskip(NEXT) | instid1(VALU_DEP_1)
	v_add_co_ci_u32_e64 v18, null, v1, v2, vcc_lo
	v_mov_b32_e32 v2, v18
; %bb.111:
	s_wait_alu 0xfffe
	s_or_b32 exec_lo, exec_lo, s1
	v_mov_b32_dpp v1, v3 row_shr:2 row_mask:0xf bank_mask:0xf
	s_delay_alu instid0(VALU_DEP_2)
	v_mov_b32_dpp v4, v2 row_shr:2 row_mask:0xf bank_mask:0xf
	v_cmp_lt_u32_e32 vcc_lo, 1, v50
	s_and_saveexec_b32 s2, vcc_lo
; %bb.112:
	s_delay_alu instid0(VALU_DEP_3) | instskip(SKIP_2) | instid1(VALU_DEP_2)
	v_add_co_u32 v3, s1, v17, v1
	s_wait_alu 0xf1ff
	v_add_co_ci_u32_e64 v2, null, 0, v18, s1
	v_add_co_u32 v1, s1, 0, v3
	s_wait_alu 0xf1ff
	s_delay_alu instid0(VALU_DEP_2) | instskip(NEXT) | instid1(VALU_DEP_1)
	v_add_co_ci_u32_e64 v2, null, v4, v2, s1
	v_dual_mov_b32 v18, v2 :: v_dual_mov_b32 v17, v1
; %bb.113:
	s_wait_alu 0xfffe
	s_or_b32 exec_lo, exec_lo, s2
	v_mov_b32_dpp v1, v3 row_shr:4 row_mask:0xf bank_mask:0xf
	v_mov_b32_dpp v4, v2 row_shr:4 row_mask:0xf bank_mask:0xf
	v_cmp_lt_u32_e64 s1, 3, v50
	s_and_saveexec_b32 s3, s1
; %bb.114:
	v_add_co_u32 v3, s2, v17, v1
	s_wait_alu 0xf1ff
	v_add_co_ci_u32_e64 v2, null, 0, v18, s2
	s_delay_alu instid0(VALU_DEP_2) | instskip(SKIP_1) | instid1(VALU_DEP_2)
	v_add_co_u32 v1, s2, 0, v3
	s_wait_alu 0xf1ff
	v_add_co_ci_u32_e64 v2, null, v4, v2, s2
	s_delay_alu instid0(VALU_DEP_1)
	v_dual_mov_b32 v18, v2 :: v_dual_mov_b32 v17, v1
; %bb.115:
	s_wait_alu 0xfffe
	s_or_b32 exec_lo, exec_lo, s3
	v_mov_b32_dpp v4, v3 row_shr:8 row_mask:0xf bank_mask:0xf
	v_mov_b32_dpp v1, v2 row_shr:8 row_mask:0xf bank_mask:0xf
	v_cmp_lt_u32_e64 s2, 7, v50
	s_and_saveexec_b32 s6, s2
; %bb.116:
	v_add_co_u32 v3, s3, v17, v4
	s_wait_alu 0xf1ff
	v_add_co_ci_u32_e64 v2, null, 0, v18, s3
	s_delay_alu instid0(VALU_DEP_2) | instskip(SKIP_1) | instid1(VALU_DEP_2)
	v_add_co_u32 v17, s3, 0, v3
	s_wait_alu 0xf1ff
	v_add_co_ci_u32_e64 v18, null, v1, v2, s3
	s_delay_alu instid0(VALU_DEP_1)
	v_mov_b32_e32 v2, v18
; %bb.117:
	s_wait_alu 0xfffe
	s_or_b32 exec_lo, exec_lo, s6
	ds_swizzle_b32 v3, v3 offset:swizzle(BROADCAST,32,15)
	ds_swizzle_b32 v1, v2 offset:swizzle(BROADCAST,32,15)
	v_and_b32_e32 v2, 16, v49
	s_mov_b32 s6, exec_lo
	s_delay_alu instid0(VALU_DEP_1)
	v_cmpx_ne_u32_e32 0, v2
	s_cbranch_execz .LBB2210_119
; %bb.118:
	s_wait_dscnt 0x1
	v_add_co_u32 v2, s3, v17, v3
	s_wait_alu 0xf1ff
	v_add_co_ci_u32_e64 v3, null, 0, v18, s3
	s_delay_alu instid0(VALU_DEP_2) | instskip(SKIP_2) | instid1(VALU_DEP_2)
	v_add_co_u32 v17, s3, v2, 0
	s_wait_dscnt 0x0
	s_wait_alu 0xf1ff
	v_add_co_ci_u32_e64 v18, null, v3, v1, s3
.LBB2210_119:
	s_wait_alu 0xfffe
	s_or_b32 exec_lo, exec_lo, s6
	s_wait_dscnt 0x0
	v_and_b32_e32 v1, 0x1e0, v0
	v_lshrrev_b32_e32 v3, 5, v0
	s_mov_b32 s6, exec_lo
	s_delay_alu instid0(VALU_DEP_2) | instskip(NEXT) | instid1(VALU_DEP_1)
	v_min_u32_e32 v1, 0x160, v1
	v_or_b32_e32 v1, 31, v1
	s_delay_alu instid0(VALU_DEP_1)
	v_cmpx_eq_u32_e64 v0, v1
; %bb.120:
	v_lshlrev_b32_e32 v1, 3, v3
	ds_store_b64 v1, v[17:18]
; %bb.121:
	s_wait_alu 0xfffe
	s_or_b32 exec_lo, exec_lo, s6
	s_delay_alu instid0(SALU_CYCLE_1)
	s_mov_b32 s6, exec_lo
	s_wait_loadcnt_dscnt 0x0
	s_barrier_signal -1
	s_barrier_wait -1
	global_inv scope:SCOPE_SE
	v_cmpx_gt_u32_e32 12, v0
	s_cbranch_execz .LBB2210_131
; %bb.122:
	v_lshlrev_b32_e32 v4, 3, v0
	ds_load_b64 v[1:2], v4
	s_wait_dscnt 0x0
	v_mov_b32_dpp v7, v1 row_shr:1 row_mask:0xf bank_mask:0xf
	v_mov_b32_dpp v6, v2 row_shr:1 row_mask:0xf bank_mask:0xf
	v_mov_b32_e32 v5, v1
	s_and_saveexec_b32 s3, s0
; %bb.123:
	s_delay_alu instid0(VALU_DEP_3) | instskip(SKIP_2) | instid1(VALU_DEP_2)
	v_add_co_u32 v5, s0, v1, v7
	s_wait_alu 0xf1ff
	v_add_co_ci_u32_e64 v2, null, 0, v2, s0
	v_add_co_u32 v1, s0, 0, v5
	s_wait_alu 0xf1ff
	s_delay_alu instid0(VALU_DEP_2)
	v_add_co_ci_u32_e64 v2, null, v6, v2, s0
; %bb.124:
	s_wait_alu 0xfffe
	s_or_b32 exec_lo, exec_lo, s3
	v_mov_b32_dpp v7, v5 row_shr:2 row_mask:0xf bank_mask:0xf
	s_delay_alu instid0(VALU_DEP_2)
	v_mov_b32_dpp v6, v2 row_shr:2 row_mask:0xf bank_mask:0xf
	s_and_saveexec_b32 s0, vcc_lo
; %bb.125:
	s_delay_alu instid0(VALU_DEP_2) | instskip(SKIP_2) | instid1(VALU_DEP_2)
	v_add_co_u32 v5, vcc_lo, v1, v7
	s_wait_alu 0xfffd
	v_add_co_ci_u32_e64 v2, null, 0, v2, vcc_lo
	v_add_co_u32 v1, vcc_lo, 0, v5
	s_wait_alu 0xfffd
	s_delay_alu instid0(VALU_DEP_2)
	v_add_co_ci_u32_e64 v2, null, v6, v2, vcc_lo
; %bb.126:
	s_wait_alu 0xfffe
	s_or_b32 exec_lo, exec_lo, s0
	v_mov_b32_dpp v7, v5 row_shr:4 row_mask:0xf bank_mask:0xf
	s_delay_alu instid0(VALU_DEP_2)
	v_mov_b32_dpp v6, v2 row_shr:4 row_mask:0xf bank_mask:0xf
	s_and_saveexec_b32 s0, s1
; %bb.127:
	s_delay_alu instid0(VALU_DEP_2) | instskip(SKIP_2) | instid1(VALU_DEP_2)
	v_add_co_u32 v5, vcc_lo, v1, v7
	s_wait_alu 0xfffd
	v_add_co_ci_u32_e64 v2, null, 0, v2, vcc_lo
	v_add_co_u32 v1, vcc_lo, 0, v5
	s_wait_alu 0xfffd
	s_delay_alu instid0(VALU_DEP_2)
	v_add_co_ci_u32_e64 v2, null, v6, v2, vcc_lo
; %bb.128:
	s_wait_alu 0xfffe
	s_or_b32 exec_lo, exec_lo, s0
	v_mov_b32_dpp v6, v5 row_shr:8 row_mask:0xf bank_mask:0xf
	s_delay_alu instid0(VALU_DEP_2)
	v_mov_b32_dpp v5, v2 row_shr:8 row_mask:0xf bank_mask:0xf
	s_and_saveexec_b32 s0, s2
; %bb.129:
	s_delay_alu instid0(VALU_DEP_2) | instskip(SKIP_2) | instid1(VALU_DEP_2)
	v_add_co_u32 v1, vcc_lo, v1, v6
	s_wait_alu 0xfffd
	v_add_co_ci_u32_e64 v2, null, 0, v2, vcc_lo
	v_add_co_u32 v1, vcc_lo, v1, 0
	s_wait_alu 0xfffd
	s_delay_alu instid0(VALU_DEP_2)
	v_add_co_ci_u32_e64 v2, null, v2, v5, vcc_lo
; %bb.130:
	s_wait_alu 0xfffe
	s_or_b32 exec_lo, exec_lo, s0
	ds_store_b64 v4, v[1:2]
.LBB2210_131:
	s_wait_alu 0xfffe
	s_or_b32 exec_lo, exec_lo, s6
	s_delay_alu instid0(SALU_CYCLE_1)
	s_mov_b32 s0, exec_lo
	v_mov_b32_e32 v5, 0
	v_mov_b32_e32 v6, 0
	s_wait_loadcnt_dscnt 0x0
	s_barrier_signal -1
	s_barrier_wait -1
	global_inv scope:SCOPE_SE
	v_cmpx_lt_u32_e32 31, v0
; %bb.132:
	v_lshl_add_u32 v1, v3, 3, -8
	ds_load_b64 v[5:6], v1
; %bb.133:
	s_wait_alu 0xfffe
	s_or_b32 exec_lo, exec_lo, s0
	v_sub_co_u32 v1, vcc_lo, v49, 1
	s_wait_dscnt 0x0
	v_add_nc_u32_e32 v2, v5, v17
	v_mov_b32_e32 v4, 0
	s_delay_alu instid0(VALU_DEP_3) | instskip(SKIP_1) | instid1(VALU_DEP_1)
	v_cmp_gt_i32_e64 s0, 0, v1
	s_wait_alu 0xf1ff
	v_cndmask_b32_e64 v1, v1, v49, s0
	v_cmp_eq_u32_e64 s0, 0, v0
	s_delay_alu instid0(VALU_DEP_2)
	v_lshlrev_b32_e32 v1, 2, v1
	ds_bpermute_b32 v6, v1, v2
	ds_load_b64 v[1:2], v4 offset:88
	s_and_saveexec_b32 s1, s0
	s_cbranch_execz .LBB2210_135
; %bb.134:
	s_wait_kmcnt 0x0
	s_add_nc_u64 s[2:3], s[4:5], 0x200
	s_wait_alu 0xfffe
	v_dual_mov_b32 v3, 2 :: v_dual_mov_b32 v8, s3
	v_mov_b32_e32 v7, s2
	s_wait_dscnt 0x0
	;;#ASMSTART
	global_store_b128 v[7:8], v[1:4] off scope:SCOPE_DEV	
s_wait_storecnt 0x0
	;;#ASMEND
.LBB2210_135:
	s_wait_alu 0xfffe
	s_or_b32 exec_lo, exec_lo, s1
	s_wait_dscnt 0x1
	s_wait_alu 0xfffd
	v_cndmask_b32_e32 v5, v6, v5, vcc_lo
	v_mov_b32_e32 v3, 0
	v_mov_b32_e32 v4, 0
	s_wait_loadcnt_dscnt 0x0
	s_barrier_signal -1
	v_cndmask_b32_e64 v5, v5, 0, s0
	s_barrier_wait -1
	global_inv scope:SCOPE_SE
.LBB2210_136:
	s_wait_dscnt 0x0
	v_cmp_gt_u64_e32 vcc_lo, 0x181, v[1:2]
	v_lshrrev_b32_e32 v18, 16, v36
	v_lshrrev_b32_e32 v19, 8, v36
	;; [unrolled: 1-line block ×8, first 2 shown]
	s_cbranch_vccz .LBB2210_139
; %bb.137:
	v_cmp_eq_u32_e32 vcc_lo, 0, v0
	s_and_b32 s0, vcc_lo, s19
	s_wait_alu 0xfffe
	s_and_saveexec_b32 s1, s0
	s_cbranch_execnz .LBB2210_176
.LBB2210_138:
	s_endpgm
.LBB2210_139:
	v_and_b32_e32 v22, 1, v42
	s_mov_b32 s0, exec_lo
	s_delay_alu instid0(VALU_DEP_1)
	v_cmpx_eq_u32_e32 1, v22
; %bb.140:
	v_sub_nc_u32_e32 v22, v5, v3
	s_delay_alu instid0(VALU_DEP_1)
	v_lshlrev_b32_e32 v22, 1, v22
	ds_store_b16 v22, v26
; %bb.141:
	s_wait_alu 0xfffe
	s_or_b32 exec_lo, exec_lo, s0
	v_and_b32_e32 v21, 1, v21
	v_add_co_u32 v5, null, v5, v47
	s_mov_b32 s0, exec_lo
	v_cmpx_eq_u32_e32 1, v21
; %bb.142:
	v_sub_nc_u32_e32 v21, v5, v3
	s_delay_alu instid0(VALU_DEP_1)
	v_lshlrev_b32_e32 v21, 1, v21
	ds_store_b16_d16_hi v21, v26
; %bb.143:
	s_wait_alu 0xfffe
	s_or_b32 exec_lo, exec_lo, s0
	v_and_b32_e32 v20, 1, v20
	v_add_co_u32 v5, null, v5, v45
	s_mov_b32 s0, exec_lo
	v_cmpx_eq_u32_e32 1, v20
; %bb.144:
	v_sub_nc_u32_e32 v20, v5, v3
	s_delay_alu instid0(VALU_DEP_1)
	v_lshlrev_b32_e32 v20, 1, v20
	ds_store_b16 v20, v15
; %bb.145:
	s_wait_alu 0xfffe
	s_or_b32 exec_lo, exec_lo, s0
	v_and_b32_e32 v20, 1, v46
	v_add_co_u32 v5, null, v5, v48
	s_mov_b32 s0, exec_lo
	v_cmpx_eq_u32_e32 1, v20
; %bb.146:
	v_sub_nc_u32_e32 v20, v5, v3
	s_delay_alu instid0(VALU_DEP_1)
	v_lshlrev_b32_e32 v20, 1, v20
	ds_store_b16_d16_hi v20, v15
; %bb.147:
	s_wait_alu 0xfffe
	s_or_b32 exec_lo, exec_lo, s0
	v_and_b32_e32 v15, 1, v36
	v_add_co_u32 v5, null, v5, v46
	s_mov_b32 s0, exec_lo
	v_cmpx_eq_u32_e32 1, v15
; %bb.148:
	v_sub_nc_u32_e32 v15, v5, v3
	s_delay_alu instid0(VALU_DEP_1)
	v_lshlrev_b32_e32 v15, 1, v15
	ds_store_b16 v15, v16
; %bb.149:
	s_wait_alu 0xfffe
	s_or_b32 exec_lo, exec_lo, s0
	v_and_b32_e32 v15, 1, v19
	v_add_co_u32 v5, null, v5, v44
	s_mov_b32 s0, exec_lo
	v_cmpx_eq_u32_e32 1, v15
; %bb.150:
	v_sub_nc_u32_e32 v15, v5, v3
	s_delay_alu instid0(VALU_DEP_1)
	v_lshlrev_b32_e32 v15, 1, v15
	ds_store_b16_d16_hi v15, v16
; %bb.151:
	s_wait_alu 0xfffe
	s_or_b32 exec_lo, exec_lo, s0
	v_and_b32_e32 v15, 1, v18
	v_add_co_u32 v5, null, v5, v43
	s_mov_b32 s0, exec_lo
	v_cmpx_eq_u32_e32 1, v15
; %bb.152:
	v_sub_nc_u32_e32 v15, v5, v3
	s_delay_alu instid0(VALU_DEP_1)
	v_lshlrev_b32_e32 v15, 1, v15
	ds_store_b16 v15, v13
; %bb.153:
	s_wait_alu 0xfffe
	s_or_b32 exec_lo, exec_lo, s0
	v_and_b32_e32 v15, 1, v40
	v_add_co_u32 v5, null, v5, v41
	s_mov_b32 s0, exec_lo
	v_cmpx_eq_u32_e32 1, v15
; %bb.154:
	v_sub_nc_u32_e32 v15, v5, v3
	s_delay_alu instid0(VALU_DEP_1)
	v_lshlrev_b32_e32 v15, 1, v15
	ds_store_b16_d16_hi v15, v13
; %bb.155:
	s_wait_alu 0xfffe
	s_or_b32 exec_lo, exec_lo, s0
	v_and_b32_e32 v13, 1, v30
	v_add_co_u32 v5, null, v5, v40
	s_mov_b32 s0, exec_lo
	v_cmpx_eq_u32_e32 1, v13
; %bb.156:
	v_sub_nc_u32_e32 v13, v5, v3
	s_delay_alu instid0(VALU_DEP_1)
	v_lshlrev_b32_e32 v13, 1, v13
	ds_store_b16 v13, v14
; %bb.157:
	s_wait_alu 0xfffe
	s_or_b32 exec_lo, exec_lo, s0
	v_and_b32_e32 v13, 1, v17
	v_add_co_u32 v5, null, v5, v39
	s_mov_b32 s0, exec_lo
	v_cmpx_eq_u32_e32 1, v13
; %bb.158:
	v_sub_nc_u32_e32 v13, v5, v3
	s_delay_alu instid0(VALU_DEP_1)
	v_lshlrev_b32_e32 v13, 1, v13
	ds_store_b16_d16_hi v13, v14
; %bb.159:
	s_wait_alu 0xfffe
	s_or_b32 exec_lo, exec_lo, s0
	v_and_b32_e32 v8, 1, v8
	v_add_co_u32 v5, null, v5, v38
	s_mov_b32 s0, exec_lo
	v_cmpx_eq_u32_e32 1, v8
; %bb.160:
	v_sub_nc_u32_e32 v8, v5, v3
	s_delay_alu instid0(VALU_DEP_1)
	v_lshlrev_b32_e32 v8, 1, v8
	ds_store_b16 v8, v11
; %bb.161:
	s_wait_alu 0xfffe
	s_or_b32 exec_lo, exec_lo, s0
	v_and_b32_e32 v8, 1, v35
	v_add_co_u32 v5, null, v5, v37
	s_mov_b32 s0, exec_lo
	v_cmpx_eq_u32_e32 1, v8
; %bb.162:
	v_sub_nc_u32_e32 v8, v5, v3
	s_delay_alu instid0(VALU_DEP_1)
	v_lshlrev_b32_e32 v8, 1, v8
	ds_store_b16_d16_hi v8, v11
; %bb.163:
	s_wait_alu 0xfffe
	s_or_b32 exec_lo, exec_lo, s0
	v_and_b32_e32 v8, 1, v28
	v_add_co_u32 v5, null, v5, v35
	s_mov_b32 s0, exec_lo
	v_cmpx_eq_u32_e32 1, v8
; %bb.164:
	v_sub_nc_u32_e32 v8, v5, v3
	s_delay_alu instid0(VALU_DEP_1)
	v_lshlrev_b32_e32 v8, 1, v8
	ds_store_b16 v8, v12
; %bb.165:
	s_wait_alu 0xfffe
	s_or_b32 exec_lo, exec_lo, s0
	v_and_b32_e32 v7, 1, v7
	v_add_co_u32 v5, null, v5, v34
	s_mov_b32 s0, exec_lo
	v_cmpx_eq_u32_e32 1, v7
; %bb.166:
	v_sub_nc_u32_e32 v7, v5, v3
	s_delay_alu instid0(VALU_DEP_1)
	v_lshlrev_b32_e32 v7, 1, v7
	ds_store_b16_d16_hi v7, v12
; %bb.167:
	s_wait_alu 0xfffe
	s_or_b32 exec_lo, exec_lo, s0
	v_and_b32_e32 v6, 1, v6
	v_add_co_u32 v5, null, v5, v33
	s_mov_b32 s0, exec_lo
	v_cmpx_eq_u32_e32 1, v6
; %bb.168:
	v_sub_nc_u32_e32 v6, v5, v3
	s_delay_alu instid0(VALU_DEP_1)
	v_lshlrev_b32_e32 v6, 1, v6
	ds_store_b16 v6, v9
; %bb.169:
	s_wait_alu 0xfffe
	s_or_b32 exec_lo, exec_lo, s0
	v_and_b32_e32 v6, 1, v31
	v_add_co_u32 v5, null, v5, v32
	s_mov_b32 s0, exec_lo
	v_cmpx_eq_u32_e32 1, v6
; %bb.170:
	v_sub_nc_u32_e32 v6, v5, v3
	s_delay_alu instid0(VALU_DEP_1)
	v_lshlrev_b32_e32 v6, 1, v6
	ds_store_b16 v6, v25
; %bb.171:
	s_wait_alu 0xfffe
	s_or_b32 exec_lo, exec_lo, s0
	v_and_b32_e32 v6, 1, v27
	v_add_co_u32 v5, null, v5, v31
	s_mov_b32 s0, exec_lo
	v_cmpx_eq_u32_e32 1, v6
; %bb.172:
	v_sub_nc_u32_e32 v6, v5, v3
	s_delay_alu instid0(VALU_DEP_1)
	v_lshlrev_b32_e32 v6, 1, v6
	ds_store_b16_d16_hi v6, v25
; %bb.173:
	s_wait_alu 0xfffe
	s_or_b32 exec_lo, exec_lo, s0
	s_and_saveexec_b32 s0, s24
; %bb.174:
	v_sub_nc_u32_e32 v6, v29, v3
	s_delay_alu instid0(VALU_DEP_1)
	v_add_lshl_u32 v5, v6, v5, 1
	ds_store_b16 v5, v10
; %bb.175:
	s_wait_alu 0xfffe
	s_or_b32 exec_lo, exec_lo, s0
	s_wait_loadcnt_dscnt 0x0
	s_barrier_signal -1
	s_barrier_wait -1
	global_inv scope:SCOPE_SE
	v_cmp_eq_u32_e32 vcc_lo, 0, v0
	s_and_b32 s0, vcc_lo, s19
	s_wait_alu 0xfffe
	s_and_saveexec_b32 s1, s0
	s_cbranch_execz .LBB2210_138
.LBB2210_176:
	s_wait_kmcnt 0x0
	v_add_co_u32 v0, vcc_lo, v1, s22
	s_wait_alu 0xfffd
	v_add_co_ci_u32_e64 v1, null, s23, v2, vcc_lo
	v_mov_b32_e32 v2, 0
	s_delay_alu instid0(VALU_DEP_3) | instskip(SKIP_1) | instid1(VALU_DEP_3)
	v_add_co_u32 v0, vcc_lo, v0, v3
	s_wait_alu 0xfffd
	v_add_co_ci_u32_e64 v1, null, v1, v4, vcc_lo
	global_store_b64 v2, v[0:1], s[20:21]
	s_endpgm
	.section	.rodata,"a",@progbits
	.p2align	6, 0x0
	.amdhsa_kernel _ZN7rocprim17ROCPRIM_400000_NS6detail17trampoline_kernelINS0_14default_configENS1_25partition_config_selectorILNS1_17partition_subalgoE6EtNS0_10empty_typeEbEEZZNS1_14partition_implILS5_6ELb0ES3_mN6thrust23THRUST_200600_302600_NS6detail15normal_iteratorINSA_10device_ptrItEEEEPS6_SG_NS0_5tupleIJNSA_16discard_iteratorINSA_11use_defaultEEES6_EEENSH_IJSG_SG_EEES6_PlJNSB_9not_fun_tI7is_trueItEEEEEE10hipError_tPvRmT3_T4_T5_T6_T7_T9_mT8_P12ihipStream_tbDpT10_ENKUlT_T0_E_clISt17integral_constantIbLb0EES1B_EEDaS16_S17_EUlS16_E_NS1_11comp_targetILNS1_3genE10ELNS1_11target_archE1200ELNS1_3gpuE4ELNS1_3repE0EEENS1_30default_config_static_selectorELNS0_4arch9wavefront6targetE0EEEvT1_
		.amdhsa_group_segment_fixed_size 13840
		.amdhsa_private_segment_fixed_size 0
		.amdhsa_kernarg_size 120
		.amdhsa_user_sgpr_count 2
		.amdhsa_user_sgpr_dispatch_ptr 0
		.amdhsa_user_sgpr_queue_ptr 0
		.amdhsa_user_sgpr_kernarg_segment_ptr 1
		.amdhsa_user_sgpr_dispatch_id 0
		.amdhsa_user_sgpr_private_segment_size 0
		.amdhsa_wavefront_size32 1
		.amdhsa_uses_dynamic_stack 0
		.amdhsa_enable_private_segment 0
		.amdhsa_system_sgpr_workgroup_id_x 1
		.amdhsa_system_sgpr_workgroup_id_y 0
		.amdhsa_system_sgpr_workgroup_id_z 0
		.amdhsa_system_sgpr_workgroup_info 0
		.amdhsa_system_vgpr_workitem_id 0
		.amdhsa_next_free_vgpr 63
		.amdhsa_next_free_sgpr 26
		.amdhsa_reserve_vcc 1
		.amdhsa_float_round_mode_32 0
		.amdhsa_float_round_mode_16_64 0
		.amdhsa_float_denorm_mode_32 3
		.amdhsa_float_denorm_mode_16_64 3
		.amdhsa_fp16_overflow 0
		.amdhsa_workgroup_processor_mode 1
		.amdhsa_memory_ordered 1
		.amdhsa_forward_progress 1
		.amdhsa_inst_pref_size 74
		.amdhsa_round_robin_scheduling 0
		.amdhsa_exception_fp_ieee_invalid_op 0
		.amdhsa_exception_fp_denorm_src 0
		.amdhsa_exception_fp_ieee_div_zero 0
		.amdhsa_exception_fp_ieee_overflow 0
		.amdhsa_exception_fp_ieee_underflow 0
		.amdhsa_exception_fp_ieee_inexact 0
		.amdhsa_exception_int_div_zero 0
	.end_amdhsa_kernel
	.section	.text._ZN7rocprim17ROCPRIM_400000_NS6detail17trampoline_kernelINS0_14default_configENS1_25partition_config_selectorILNS1_17partition_subalgoE6EtNS0_10empty_typeEbEEZZNS1_14partition_implILS5_6ELb0ES3_mN6thrust23THRUST_200600_302600_NS6detail15normal_iteratorINSA_10device_ptrItEEEEPS6_SG_NS0_5tupleIJNSA_16discard_iteratorINSA_11use_defaultEEES6_EEENSH_IJSG_SG_EEES6_PlJNSB_9not_fun_tI7is_trueItEEEEEE10hipError_tPvRmT3_T4_T5_T6_T7_T9_mT8_P12ihipStream_tbDpT10_ENKUlT_T0_E_clISt17integral_constantIbLb0EES1B_EEDaS16_S17_EUlS16_E_NS1_11comp_targetILNS1_3genE10ELNS1_11target_archE1200ELNS1_3gpuE4ELNS1_3repE0EEENS1_30default_config_static_selectorELNS0_4arch9wavefront6targetE0EEEvT1_,"axG",@progbits,_ZN7rocprim17ROCPRIM_400000_NS6detail17trampoline_kernelINS0_14default_configENS1_25partition_config_selectorILNS1_17partition_subalgoE6EtNS0_10empty_typeEbEEZZNS1_14partition_implILS5_6ELb0ES3_mN6thrust23THRUST_200600_302600_NS6detail15normal_iteratorINSA_10device_ptrItEEEEPS6_SG_NS0_5tupleIJNSA_16discard_iteratorINSA_11use_defaultEEES6_EEENSH_IJSG_SG_EEES6_PlJNSB_9not_fun_tI7is_trueItEEEEEE10hipError_tPvRmT3_T4_T5_T6_T7_T9_mT8_P12ihipStream_tbDpT10_ENKUlT_T0_E_clISt17integral_constantIbLb0EES1B_EEDaS16_S17_EUlS16_E_NS1_11comp_targetILNS1_3genE10ELNS1_11target_archE1200ELNS1_3gpuE4ELNS1_3repE0EEENS1_30default_config_static_selectorELNS0_4arch9wavefront6targetE0EEEvT1_,comdat
.Lfunc_end2210:
	.size	_ZN7rocprim17ROCPRIM_400000_NS6detail17trampoline_kernelINS0_14default_configENS1_25partition_config_selectorILNS1_17partition_subalgoE6EtNS0_10empty_typeEbEEZZNS1_14partition_implILS5_6ELb0ES3_mN6thrust23THRUST_200600_302600_NS6detail15normal_iteratorINSA_10device_ptrItEEEEPS6_SG_NS0_5tupleIJNSA_16discard_iteratorINSA_11use_defaultEEES6_EEENSH_IJSG_SG_EEES6_PlJNSB_9not_fun_tI7is_trueItEEEEEE10hipError_tPvRmT3_T4_T5_T6_T7_T9_mT8_P12ihipStream_tbDpT10_ENKUlT_T0_E_clISt17integral_constantIbLb0EES1B_EEDaS16_S17_EUlS16_E_NS1_11comp_targetILNS1_3genE10ELNS1_11target_archE1200ELNS1_3gpuE4ELNS1_3repE0EEENS1_30default_config_static_selectorELNS0_4arch9wavefront6targetE0EEEvT1_, .Lfunc_end2210-_ZN7rocprim17ROCPRIM_400000_NS6detail17trampoline_kernelINS0_14default_configENS1_25partition_config_selectorILNS1_17partition_subalgoE6EtNS0_10empty_typeEbEEZZNS1_14partition_implILS5_6ELb0ES3_mN6thrust23THRUST_200600_302600_NS6detail15normal_iteratorINSA_10device_ptrItEEEEPS6_SG_NS0_5tupleIJNSA_16discard_iteratorINSA_11use_defaultEEES6_EEENSH_IJSG_SG_EEES6_PlJNSB_9not_fun_tI7is_trueItEEEEEE10hipError_tPvRmT3_T4_T5_T6_T7_T9_mT8_P12ihipStream_tbDpT10_ENKUlT_T0_E_clISt17integral_constantIbLb0EES1B_EEDaS16_S17_EUlS16_E_NS1_11comp_targetILNS1_3genE10ELNS1_11target_archE1200ELNS1_3gpuE4ELNS1_3repE0EEENS1_30default_config_static_selectorELNS0_4arch9wavefront6targetE0EEEvT1_
                                        ; -- End function
	.set _ZN7rocprim17ROCPRIM_400000_NS6detail17trampoline_kernelINS0_14default_configENS1_25partition_config_selectorILNS1_17partition_subalgoE6EtNS0_10empty_typeEbEEZZNS1_14partition_implILS5_6ELb0ES3_mN6thrust23THRUST_200600_302600_NS6detail15normal_iteratorINSA_10device_ptrItEEEEPS6_SG_NS0_5tupleIJNSA_16discard_iteratorINSA_11use_defaultEEES6_EEENSH_IJSG_SG_EEES6_PlJNSB_9not_fun_tI7is_trueItEEEEEE10hipError_tPvRmT3_T4_T5_T6_T7_T9_mT8_P12ihipStream_tbDpT10_ENKUlT_T0_E_clISt17integral_constantIbLb0EES1B_EEDaS16_S17_EUlS16_E_NS1_11comp_targetILNS1_3genE10ELNS1_11target_archE1200ELNS1_3gpuE4ELNS1_3repE0EEENS1_30default_config_static_selectorELNS0_4arch9wavefront6targetE0EEEvT1_.num_vgpr, 63
	.set _ZN7rocprim17ROCPRIM_400000_NS6detail17trampoline_kernelINS0_14default_configENS1_25partition_config_selectorILNS1_17partition_subalgoE6EtNS0_10empty_typeEbEEZZNS1_14partition_implILS5_6ELb0ES3_mN6thrust23THRUST_200600_302600_NS6detail15normal_iteratorINSA_10device_ptrItEEEEPS6_SG_NS0_5tupleIJNSA_16discard_iteratorINSA_11use_defaultEEES6_EEENSH_IJSG_SG_EEES6_PlJNSB_9not_fun_tI7is_trueItEEEEEE10hipError_tPvRmT3_T4_T5_T6_T7_T9_mT8_P12ihipStream_tbDpT10_ENKUlT_T0_E_clISt17integral_constantIbLb0EES1B_EEDaS16_S17_EUlS16_E_NS1_11comp_targetILNS1_3genE10ELNS1_11target_archE1200ELNS1_3gpuE4ELNS1_3repE0EEENS1_30default_config_static_selectorELNS0_4arch9wavefront6targetE0EEEvT1_.num_agpr, 0
	.set _ZN7rocprim17ROCPRIM_400000_NS6detail17trampoline_kernelINS0_14default_configENS1_25partition_config_selectorILNS1_17partition_subalgoE6EtNS0_10empty_typeEbEEZZNS1_14partition_implILS5_6ELb0ES3_mN6thrust23THRUST_200600_302600_NS6detail15normal_iteratorINSA_10device_ptrItEEEEPS6_SG_NS0_5tupleIJNSA_16discard_iteratorINSA_11use_defaultEEES6_EEENSH_IJSG_SG_EEES6_PlJNSB_9not_fun_tI7is_trueItEEEEEE10hipError_tPvRmT3_T4_T5_T6_T7_T9_mT8_P12ihipStream_tbDpT10_ENKUlT_T0_E_clISt17integral_constantIbLb0EES1B_EEDaS16_S17_EUlS16_E_NS1_11comp_targetILNS1_3genE10ELNS1_11target_archE1200ELNS1_3gpuE4ELNS1_3repE0EEENS1_30default_config_static_selectorELNS0_4arch9wavefront6targetE0EEEvT1_.numbered_sgpr, 26
	.set _ZN7rocprim17ROCPRIM_400000_NS6detail17trampoline_kernelINS0_14default_configENS1_25partition_config_selectorILNS1_17partition_subalgoE6EtNS0_10empty_typeEbEEZZNS1_14partition_implILS5_6ELb0ES3_mN6thrust23THRUST_200600_302600_NS6detail15normal_iteratorINSA_10device_ptrItEEEEPS6_SG_NS0_5tupleIJNSA_16discard_iteratorINSA_11use_defaultEEES6_EEENSH_IJSG_SG_EEES6_PlJNSB_9not_fun_tI7is_trueItEEEEEE10hipError_tPvRmT3_T4_T5_T6_T7_T9_mT8_P12ihipStream_tbDpT10_ENKUlT_T0_E_clISt17integral_constantIbLb0EES1B_EEDaS16_S17_EUlS16_E_NS1_11comp_targetILNS1_3genE10ELNS1_11target_archE1200ELNS1_3gpuE4ELNS1_3repE0EEENS1_30default_config_static_selectorELNS0_4arch9wavefront6targetE0EEEvT1_.num_named_barrier, 0
	.set _ZN7rocprim17ROCPRIM_400000_NS6detail17trampoline_kernelINS0_14default_configENS1_25partition_config_selectorILNS1_17partition_subalgoE6EtNS0_10empty_typeEbEEZZNS1_14partition_implILS5_6ELb0ES3_mN6thrust23THRUST_200600_302600_NS6detail15normal_iteratorINSA_10device_ptrItEEEEPS6_SG_NS0_5tupleIJNSA_16discard_iteratorINSA_11use_defaultEEES6_EEENSH_IJSG_SG_EEES6_PlJNSB_9not_fun_tI7is_trueItEEEEEE10hipError_tPvRmT3_T4_T5_T6_T7_T9_mT8_P12ihipStream_tbDpT10_ENKUlT_T0_E_clISt17integral_constantIbLb0EES1B_EEDaS16_S17_EUlS16_E_NS1_11comp_targetILNS1_3genE10ELNS1_11target_archE1200ELNS1_3gpuE4ELNS1_3repE0EEENS1_30default_config_static_selectorELNS0_4arch9wavefront6targetE0EEEvT1_.private_seg_size, 0
	.set _ZN7rocprim17ROCPRIM_400000_NS6detail17trampoline_kernelINS0_14default_configENS1_25partition_config_selectorILNS1_17partition_subalgoE6EtNS0_10empty_typeEbEEZZNS1_14partition_implILS5_6ELb0ES3_mN6thrust23THRUST_200600_302600_NS6detail15normal_iteratorINSA_10device_ptrItEEEEPS6_SG_NS0_5tupleIJNSA_16discard_iteratorINSA_11use_defaultEEES6_EEENSH_IJSG_SG_EEES6_PlJNSB_9not_fun_tI7is_trueItEEEEEE10hipError_tPvRmT3_T4_T5_T6_T7_T9_mT8_P12ihipStream_tbDpT10_ENKUlT_T0_E_clISt17integral_constantIbLb0EES1B_EEDaS16_S17_EUlS16_E_NS1_11comp_targetILNS1_3genE10ELNS1_11target_archE1200ELNS1_3gpuE4ELNS1_3repE0EEENS1_30default_config_static_selectorELNS0_4arch9wavefront6targetE0EEEvT1_.uses_vcc, 1
	.set _ZN7rocprim17ROCPRIM_400000_NS6detail17trampoline_kernelINS0_14default_configENS1_25partition_config_selectorILNS1_17partition_subalgoE6EtNS0_10empty_typeEbEEZZNS1_14partition_implILS5_6ELb0ES3_mN6thrust23THRUST_200600_302600_NS6detail15normal_iteratorINSA_10device_ptrItEEEEPS6_SG_NS0_5tupleIJNSA_16discard_iteratorINSA_11use_defaultEEES6_EEENSH_IJSG_SG_EEES6_PlJNSB_9not_fun_tI7is_trueItEEEEEE10hipError_tPvRmT3_T4_T5_T6_T7_T9_mT8_P12ihipStream_tbDpT10_ENKUlT_T0_E_clISt17integral_constantIbLb0EES1B_EEDaS16_S17_EUlS16_E_NS1_11comp_targetILNS1_3genE10ELNS1_11target_archE1200ELNS1_3gpuE4ELNS1_3repE0EEENS1_30default_config_static_selectorELNS0_4arch9wavefront6targetE0EEEvT1_.uses_flat_scratch, 1
	.set _ZN7rocprim17ROCPRIM_400000_NS6detail17trampoline_kernelINS0_14default_configENS1_25partition_config_selectorILNS1_17partition_subalgoE6EtNS0_10empty_typeEbEEZZNS1_14partition_implILS5_6ELb0ES3_mN6thrust23THRUST_200600_302600_NS6detail15normal_iteratorINSA_10device_ptrItEEEEPS6_SG_NS0_5tupleIJNSA_16discard_iteratorINSA_11use_defaultEEES6_EEENSH_IJSG_SG_EEES6_PlJNSB_9not_fun_tI7is_trueItEEEEEE10hipError_tPvRmT3_T4_T5_T6_T7_T9_mT8_P12ihipStream_tbDpT10_ENKUlT_T0_E_clISt17integral_constantIbLb0EES1B_EEDaS16_S17_EUlS16_E_NS1_11comp_targetILNS1_3genE10ELNS1_11target_archE1200ELNS1_3gpuE4ELNS1_3repE0EEENS1_30default_config_static_selectorELNS0_4arch9wavefront6targetE0EEEvT1_.has_dyn_sized_stack, 0
	.set _ZN7rocprim17ROCPRIM_400000_NS6detail17trampoline_kernelINS0_14default_configENS1_25partition_config_selectorILNS1_17partition_subalgoE6EtNS0_10empty_typeEbEEZZNS1_14partition_implILS5_6ELb0ES3_mN6thrust23THRUST_200600_302600_NS6detail15normal_iteratorINSA_10device_ptrItEEEEPS6_SG_NS0_5tupleIJNSA_16discard_iteratorINSA_11use_defaultEEES6_EEENSH_IJSG_SG_EEES6_PlJNSB_9not_fun_tI7is_trueItEEEEEE10hipError_tPvRmT3_T4_T5_T6_T7_T9_mT8_P12ihipStream_tbDpT10_ENKUlT_T0_E_clISt17integral_constantIbLb0EES1B_EEDaS16_S17_EUlS16_E_NS1_11comp_targetILNS1_3genE10ELNS1_11target_archE1200ELNS1_3gpuE4ELNS1_3repE0EEENS1_30default_config_static_selectorELNS0_4arch9wavefront6targetE0EEEvT1_.has_recursion, 0
	.set _ZN7rocprim17ROCPRIM_400000_NS6detail17trampoline_kernelINS0_14default_configENS1_25partition_config_selectorILNS1_17partition_subalgoE6EtNS0_10empty_typeEbEEZZNS1_14partition_implILS5_6ELb0ES3_mN6thrust23THRUST_200600_302600_NS6detail15normal_iteratorINSA_10device_ptrItEEEEPS6_SG_NS0_5tupleIJNSA_16discard_iteratorINSA_11use_defaultEEES6_EEENSH_IJSG_SG_EEES6_PlJNSB_9not_fun_tI7is_trueItEEEEEE10hipError_tPvRmT3_T4_T5_T6_T7_T9_mT8_P12ihipStream_tbDpT10_ENKUlT_T0_E_clISt17integral_constantIbLb0EES1B_EEDaS16_S17_EUlS16_E_NS1_11comp_targetILNS1_3genE10ELNS1_11target_archE1200ELNS1_3gpuE4ELNS1_3repE0EEENS1_30default_config_static_selectorELNS0_4arch9wavefront6targetE0EEEvT1_.has_indirect_call, 0
	.section	.AMDGPU.csdata,"",@progbits
; Kernel info:
; codeLenInByte = 9372
; TotalNumSgprs: 28
; NumVgprs: 63
; ScratchSize: 0
; MemoryBound: 0
; FloatMode: 240
; IeeeMode: 1
; LDSByteSize: 13840 bytes/workgroup (compile time only)
; SGPRBlocks: 0
; VGPRBlocks: 7
; NumSGPRsForWavesPerEU: 28
; NumVGPRsForWavesPerEU: 63
; Occupancy: 15
; WaveLimiterHint : 1
; COMPUTE_PGM_RSRC2:SCRATCH_EN: 0
; COMPUTE_PGM_RSRC2:USER_SGPR: 2
; COMPUTE_PGM_RSRC2:TRAP_HANDLER: 0
; COMPUTE_PGM_RSRC2:TGID_X_EN: 1
; COMPUTE_PGM_RSRC2:TGID_Y_EN: 0
; COMPUTE_PGM_RSRC2:TGID_Z_EN: 0
; COMPUTE_PGM_RSRC2:TIDIG_COMP_CNT: 0
	.section	.text._ZN7rocprim17ROCPRIM_400000_NS6detail17trampoline_kernelINS0_14default_configENS1_25partition_config_selectorILNS1_17partition_subalgoE6EtNS0_10empty_typeEbEEZZNS1_14partition_implILS5_6ELb0ES3_mN6thrust23THRUST_200600_302600_NS6detail15normal_iteratorINSA_10device_ptrItEEEEPS6_SG_NS0_5tupleIJNSA_16discard_iteratorINSA_11use_defaultEEES6_EEENSH_IJSG_SG_EEES6_PlJNSB_9not_fun_tI7is_trueItEEEEEE10hipError_tPvRmT3_T4_T5_T6_T7_T9_mT8_P12ihipStream_tbDpT10_ENKUlT_T0_E_clISt17integral_constantIbLb0EES1B_EEDaS16_S17_EUlS16_E_NS1_11comp_targetILNS1_3genE9ELNS1_11target_archE1100ELNS1_3gpuE3ELNS1_3repE0EEENS1_30default_config_static_selectorELNS0_4arch9wavefront6targetE0EEEvT1_,"axG",@progbits,_ZN7rocprim17ROCPRIM_400000_NS6detail17trampoline_kernelINS0_14default_configENS1_25partition_config_selectorILNS1_17partition_subalgoE6EtNS0_10empty_typeEbEEZZNS1_14partition_implILS5_6ELb0ES3_mN6thrust23THRUST_200600_302600_NS6detail15normal_iteratorINSA_10device_ptrItEEEEPS6_SG_NS0_5tupleIJNSA_16discard_iteratorINSA_11use_defaultEEES6_EEENSH_IJSG_SG_EEES6_PlJNSB_9not_fun_tI7is_trueItEEEEEE10hipError_tPvRmT3_T4_T5_T6_T7_T9_mT8_P12ihipStream_tbDpT10_ENKUlT_T0_E_clISt17integral_constantIbLb0EES1B_EEDaS16_S17_EUlS16_E_NS1_11comp_targetILNS1_3genE9ELNS1_11target_archE1100ELNS1_3gpuE3ELNS1_3repE0EEENS1_30default_config_static_selectorELNS0_4arch9wavefront6targetE0EEEvT1_,comdat
	.protected	_ZN7rocprim17ROCPRIM_400000_NS6detail17trampoline_kernelINS0_14default_configENS1_25partition_config_selectorILNS1_17partition_subalgoE6EtNS0_10empty_typeEbEEZZNS1_14partition_implILS5_6ELb0ES3_mN6thrust23THRUST_200600_302600_NS6detail15normal_iteratorINSA_10device_ptrItEEEEPS6_SG_NS0_5tupleIJNSA_16discard_iteratorINSA_11use_defaultEEES6_EEENSH_IJSG_SG_EEES6_PlJNSB_9not_fun_tI7is_trueItEEEEEE10hipError_tPvRmT3_T4_T5_T6_T7_T9_mT8_P12ihipStream_tbDpT10_ENKUlT_T0_E_clISt17integral_constantIbLb0EES1B_EEDaS16_S17_EUlS16_E_NS1_11comp_targetILNS1_3genE9ELNS1_11target_archE1100ELNS1_3gpuE3ELNS1_3repE0EEENS1_30default_config_static_selectorELNS0_4arch9wavefront6targetE0EEEvT1_ ; -- Begin function _ZN7rocprim17ROCPRIM_400000_NS6detail17trampoline_kernelINS0_14default_configENS1_25partition_config_selectorILNS1_17partition_subalgoE6EtNS0_10empty_typeEbEEZZNS1_14partition_implILS5_6ELb0ES3_mN6thrust23THRUST_200600_302600_NS6detail15normal_iteratorINSA_10device_ptrItEEEEPS6_SG_NS0_5tupleIJNSA_16discard_iteratorINSA_11use_defaultEEES6_EEENSH_IJSG_SG_EEES6_PlJNSB_9not_fun_tI7is_trueItEEEEEE10hipError_tPvRmT3_T4_T5_T6_T7_T9_mT8_P12ihipStream_tbDpT10_ENKUlT_T0_E_clISt17integral_constantIbLb0EES1B_EEDaS16_S17_EUlS16_E_NS1_11comp_targetILNS1_3genE9ELNS1_11target_archE1100ELNS1_3gpuE3ELNS1_3repE0EEENS1_30default_config_static_selectorELNS0_4arch9wavefront6targetE0EEEvT1_
	.globl	_ZN7rocprim17ROCPRIM_400000_NS6detail17trampoline_kernelINS0_14default_configENS1_25partition_config_selectorILNS1_17partition_subalgoE6EtNS0_10empty_typeEbEEZZNS1_14partition_implILS5_6ELb0ES3_mN6thrust23THRUST_200600_302600_NS6detail15normal_iteratorINSA_10device_ptrItEEEEPS6_SG_NS0_5tupleIJNSA_16discard_iteratorINSA_11use_defaultEEES6_EEENSH_IJSG_SG_EEES6_PlJNSB_9not_fun_tI7is_trueItEEEEEE10hipError_tPvRmT3_T4_T5_T6_T7_T9_mT8_P12ihipStream_tbDpT10_ENKUlT_T0_E_clISt17integral_constantIbLb0EES1B_EEDaS16_S17_EUlS16_E_NS1_11comp_targetILNS1_3genE9ELNS1_11target_archE1100ELNS1_3gpuE3ELNS1_3repE0EEENS1_30default_config_static_selectorELNS0_4arch9wavefront6targetE0EEEvT1_
	.p2align	8
	.type	_ZN7rocprim17ROCPRIM_400000_NS6detail17trampoline_kernelINS0_14default_configENS1_25partition_config_selectorILNS1_17partition_subalgoE6EtNS0_10empty_typeEbEEZZNS1_14partition_implILS5_6ELb0ES3_mN6thrust23THRUST_200600_302600_NS6detail15normal_iteratorINSA_10device_ptrItEEEEPS6_SG_NS0_5tupleIJNSA_16discard_iteratorINSA_11use_defaultEEES6_EEENSH_IJSG_SG_EEES6_PlJNSB_9not_fun_tI7is_trueItEEEEEE10hipError_tPvRmT3_T4_T5_T6_T7_T9_mT8_P12ihipStream_tbDpT10_ENKUlT_T0_E_clISt17integral_constantIbLb0EES1B_EEDaS16_S17_EUlS16_E_NS1_11comp_targetILNS1_3genE9ELNS1_11target_archE1100ELNS1_3gpuE3ELNS1_3repE0EEENS1_30default_config_static_selectorELNS0_4arch9wavefront6targetE0EEEvT1_,@function
_ZN7rocprim17ROCPRIM_400000_NS6detail17trampoline_kernelINS0_14default_configENS1_25partition_config_selectorILNS1_17partition_subalgoE6EtNS0_10empty_typeEbEEZZNS1_14partition_implILS5_6ELb0ES3_mN6thrust23THRUST_200600_302600_NS6detail15normal_iteratorINSA_10device_ptrItEEEEPS6_SG_NS0_5tupleIJNSA_16discard_iteratorINSA_11use_defaultEEES6_EEENSH_IJSG_SG_EEES6_PlJNSB_9not_fun_tI7is_trueItEEEEEE10hipError_tPvRmT3_T4_T5_T6_T7_T9_mT8_P12ihipStream_tbDpT10_ENKUlT_T0_E_clISt17integral_constantIbLb0EES1B_EEDaS16_S17_EUlS16_E_NS1_11comp_targetILNS1_3genE9ELNS1_11target_archE1100ELNS1_3gpuE3ELNS1_3repE0EEENS1_30default_config_static_selectorELNS0_4arch9wavefront6targetE0EEEvT1_: ; @_ZN7rocprim17ROCPRIM_400000_NS6detail17trampoline_kernelINS0_14default_configENS1_25partition_config_selectorILNS1_17partition_subalgoE6EtNS0_10empty_typeEbEEZZNS1_14partition_implILS5_6ELb0ES3_mN6thrust23THRUST_200600_302600_NS6detail15normal_iteratorINSA_10device_ptrItEEEEPS6_SG_NS0_5tupleIJNSA_16discard_iteratorINSA_11use_defaultEEES6_EEENSH_IJSG_SG_EEES6_PlJNSB_9not_fun_tI7is_trueItEEEEEE10hipError_tPvRmT3_T4_T5_T6_T7_T9_mT8_P12ihipStream_tbDpT10_ENKUlT_T0_E_clISt17integral_constantIbLb0EES1B_EEDaS16_S17_EUlS16_E_NS1_11comp_targetILNS1_3genE9ELNS1_11target_archE1100ELNS1_3gpuE3ELNS1_3repE0EEENS1_30default_config_static_selectorELNS0_4arch9wavefront6targetE0EEEvT1_
; %bb.0:
	.section	.rodata,"a",@progbits
	.p2align	6, 0x0
	.amdhsa_kernel _ZN7rocprim17ROCPRIM_400000_NS6detail17trampoline_kernelINS0_14default_configENS1_25partition_config_selectorILNS1_17partition_subalgoE6EtNS0_10empty_typeEbEEZZNS1_14partition_implILS5_6ELb0ES3_mN6thrust23THRUST_200600_302600_NS6detail15normal_iteratorINSA_10device_ptrItEEEEPS6_SG_NS0_5tupleIJNSA_16discard_iteratorINSA_11use_defaultEEES6_EEENSH_IJSG_SG_EEES6_PlJNSB_9not_fun_tI7is_trueItEEEEEE10hipError_tPvRmT3_T4_T5_T6_T7_T9_mT8_P12ihipStream_tbDpT10_ENKUlT_T0_E_clISt17integral_constantIbLb0EES1B_EEDaS16_S17_EUlS16_E_NS1_11comp_targetILNS1_3genE9ELNS1_11target_archE1100ELNS1_3gpuE3ELNS1_3repE0EEENS1_30default_config_static_selectorELNS0_4arch9wavefront6targetE0EEEvT1_
		.amdhsa_group_segment_fixed_size 0
		.amdhsa_private_segment_fixed_size 0
		.amdhsa_kernarg_size 120
		.amdhsa_user_sgpr_count 2
		.amdhsa_user_sgpr_dispatch_ptr 0
		.amdhsa_user_sgpr_queue_ptr 0
		.amdhsa_user_sgpr_kernarg_segment_ptr 1
		.amdhsa_user_sgpr_dispatch_id 0
		.amdhsa_user_sgpr_private_segment_size 0
		.amdhsa_wavefront_size32 1
		.amdhsa_uses_dynamic_stack 0
		.amdhsa_enable_private_segment 0
		.amdhsa_system_sgpr_workgroup_id_x 1
		.amdhsa_system_sgpr_workgroup_id_y 0
		.amdhsa_system_sgpr_workgroup_id_z 0
		.amdhsa_system_sgpr_workgroup_info 0
		.amdhsa_system_vgpr_workitem_id 0
		.amdhsa_next_free_vgpr 1
		.amdhsa_next_free_sgpr 1
		.amdhsa_reserve_vcc 0
		.amdhsa_float_round_mode_32 0
		.amdhsa_float_round_mode_16_64 0
		.amdhsa_float_denorm_mode_32 3
		.amdhsa_float_denorm_mode_16_64 3
		.amdhsa_fp16_overflow 0
		.amdhsa_workgroup_processor_mode 1
		.amdhsa_memory_ordered 1
		.amdhsa_forward_progress 1
		.amdhsa_inst_pref_size 0
		.amdhsa_round_robin_scheduling 0
		.amdhsa_exception_fp_ieee_invalid_op 0
		.amdhsa_exception_fp_denorm_src 0
		.amdhsa_exception_fp_ieee_div_zero 0
		.amdhsa_exception_fp_ieee_overflow 0
		.amdhsa_exception_fp_ieee_underflow 0
		.amdhsa_exception_fp_ieee_inexact 0
		.amdhsa_exception_int_div_zero 0
	.end_amdhsa_kernel
	.section	.text._ZN7rocprim17ROCPRIM_400000_NS6detail17trampoline_kernelINS0_14default_configENS1_25partition_config_selectorILNS1_17partition_subalgoE6EtNS0_10empty_typeEbEEZZNS1_14partition_implILS5_6ELb0ES3_mN6thrust23THRUST_200600_302600_NS6detail15normal_iteratorINSA_10device_ptrItEEEEPS6_SG_NS0_5tupleIJNSA_16discard_iteratorINSA_11use_defaultEEES6_EEENSH_IJSG_SG_EEES6_PlJNSB_9not_fun_tI7is_trueItEEEEEE10hipError_tPvRmT3_T4_T5_T6_T7_T9_mT8_P12ihipStream_tbDpT10_ENKUlT_T0_E_clISt17integral_constantIbLb0EES1B_EEDaS16_S17_EUlS16_E_NS1_11comp_targetILNS1_3genE9ELNS1_11target_archE1100ELNS1_3gpuE3ELNS1_3repE0EEENS1_30default_config_static_selectorELNS0_4arch9wavefront6targetE0EEEvT1_,"axG",@progbits,_ZN7rocprim17ROCPRIM_400000_NS6detail17trampoline_kernelINS0_14default_configENS1_25partition_config_selectorILNS1_17partition_subalgoE6EtNS0_10empty_typeEbEEZZNS1_14partition_implILS5_6ELb0ES3_mN6thrust23THRUST_200600_302600_NS6detail15normal_iteratorINSA_10device_ptrItEEEEPS6_SG_NS0_5tupleIJNSA_16discard_iteratorINSA_11use_defaultEEES6_EEENSH_IJSG_SG_EEES6_PlJNSB_9not_fun_tI7is_trueItEEEEEE10hipError_tPvRmT3_T4_T5_T6_T7_T9_mT8_P12ihipStream_tbDpT10_ENKUlT_T0_E_clISt17integral_constantIbLb0EES1B_EEDaS16_S17_EUlS16_E_NS1_11comp_targetILNS1_3genE9ELNS1_11target_archE1100ELNS1_3gpuE3ELNS1_3repE0EEENS1_30default_config_static_selectorELNS0_4arch9wavefront6targetE0EEEvT1_,comdat
.Lfunc_end2211:
	.size	_ZN7rocprim17ROCPRIM_400000_NS6detail17trampoline_kernelINS0_14default_configENS1_25partition_config_selectorILNS1_17partition_subalgoE6EtNS0_10empty_typeEbEEZZNS1_14partition_implILS5_6ELb0ES3_mN6thrust23THRUST_200600_302600_NS6detail15normal_iteratorINSA_10device_ptrItEEEEPS6_SG_NS0_5tupleIJNSA_16discard_iteratorINSA_11use_defaultEEES6_EEENSH_IJSG_SG_EEES6_PlJNSB_9not_fun_tI7is_trueItEEEEEE10hipError_tPvRmT3_T4_T5_T6_T7_T9_mT8_P12ihipStream_tbDpT10_ENKUlT_T0_E_clISt17integral_constantIbLb0EES1B_EEDaS16_S17_EUlS16_E_NS1_11comp_targetILNS1_3genE9ELNS1_11target_archE1100ELNS1_3gpuE3ELNS1_3repE0EEENS1_30default_config_static_selectorELNS0_4arch9wavefront6targetE0EEEvT1_, .Lfunc_end2211-_ZN7rocprim17ROCPRIM_400000_NS6detail17trampoline_kernelINS0_14default_configENS1_25partition_config_selectorILNS1_17partition_subalgoE6EtNS0_10empty_typeEbEEZZNS1_14partition_implILS5_6ELb0ES3_mN6thrust23THRUST_200600_302600_NS6detail15normal_iteratorINSA_10device_ptrItEEEEPS6_SG_NS0_5tupleIJNSA_16discard_iteratorINSA_11use_defaultEEES6_EEENSH_IJSG_SG_EEES6_PlJNSB_9not_fun_tI7is_trueItEEEEEE10hipError_tPvRmT3_T4_T5_T6_T7_T9_mT8_P12ihipStream_tbDpT10_ENKUlT_T0_E_clISt17integral_constantIbLb0EES1B_EEDaS16_S17_EUlS16_E_NS1_11comp_targetILNS1_3genE9ELNS1_11target_archE1100ELNS1_3gpuE3ELNS1_3repE0EEENS1_30default_config_static_selectorELNS0_4arch9wavefront6targetE0EEEvT1_
                                        ; -- End function
	.set _ZN7rocprim17ROCPRIM_400000_NS6detail17trampoline_kernelINS0_14default_configENS1_25partition_config_selectorILNS1_17partition_subalgoE6EtNS0_10empty_typeEbEEZZNS1_14partition_implILS5_6ELb0ES3_mN6thrust23THRUST_200600_302600_NS6detail15normal_iteratorINSA_10device_ptrItEEEEPS6_SG_NS0_5tupleIJNSA_16discard_iteratorINSA_11use_defaultEEES6_EEENSH_IJSG_SG_EEES6_PlJNSB_9not_fun_tI7is_trueItEEEEEE10hipError_tPvRmT3_T4_T5_T6_T7_T9_mT8_P12ihipStream_tbDpT10_ENKUlT_T0_E_clISt17integral_constantIbLb0EES1B_EEDaS16_S17_EUlS16_E_NS1_11comp_targetILNS1_3genE9ELNS1_11target_archE1100ELNS1_3gpuE3ELNS1_3repE0EEENS1_30default_config_static_selectorELNS0_4arch9wavefront6targetE0EEEvT1_.num_vgpr, 0
	.set _ZN7rocprim17ROCPRIM_400000_NS6detail17trampoline_kernelINS0_14default_configENS1_25partition_config_selectorILNS1_17partition_subalgoE6EtNS0_10empty_typeEbEEZZNS1_14partition_implILS5_6ELb0ES3_mN6thrust23THRUST_200600_302600_NS6detail15normal_iteratorINSA_10device_ptrItEEEEPS6_SG_NS0_5tupleIJNSA_16discard_iteratorINSA_11use_defaultEEES6_EEENSH_IJSG_SG_EEES6_PlJNSB_9not_fun_tI7is_trueItEEEEEE10hipError_tPvRmT3_T4_T5_T6_T7_T9_mT8_P12ihipStream_tbDpT10_ENKUlT_T0_E_clISt17integral_constantIbLb0EES1B_EEDaS16_S17_EUlS16_E_NS1_11comp_targetILNS1_3genE9ELNS1_11target_archE1100ELNS1_3gpuE3ELNS1_3repE0EEENS1_30default_config_static_selectorELNS0_4arch9wavefront6targetE0EEEvT1_.num_agpr, 0
	.set _ZN7rocprim17ROCPRIM_400000_NS6detail17trampoline_kernelINS0_14default_configENS1_25partition_config_selectorILNS1_17partition_subalgoE6EtNS0_10empty_typeEbEEZZNS1_14partition_implILS5_6ELb0ES3_mN6thrust23THRUST_200600_302600_NS6detail15normal_iteratorINSA_10device_ptrItEEEEPS6_SG_NS0_5tupleIJNSA_16discard_iteratorINSA_11use_defaultEEES6_EEENSH_IJSG_SG_EEES6_PlJNSB_9not_fun_tI7is_trueItEEEEEE10hipError_tPvRmT3_T4_T5_T6_T7_T9_mT8_P12ihipStream_tbDpT10_ENKUlT_T0_E_clISt17integral_constantIbLb0EES1B_EEDaS16_S17_EUlS16_E_NS1_11comp_targetILNS1_3genE9ELNS1_11target_archE1100ELNS1_3gpuE3ELNS1_3repE0EEENS1_30default_config_static_selectorELNS0_4arch9wavefront6targetE0EEEvT1_.numbered_sgpr, 0
	.set _ZN7rocprim17ROCPRIM_400000_NS6detail17trampoline_kernelINS0_14default_configENS1_25partition_config_selectorILNS1_17partition_subalgoE6EtNS0_10empty_typeEbEEZZNS1_14partition_implILS5_6ELb0ES3_mN6thrust23THRUST_200600_302600_NS6detail15normal_iteratorINSA_10device_ptrItEEEEPS6_SG_NS0_5tupleIJNSA_16discard_iteratorINSA_11use_defaultEEES6_EEENSH_IJSG_SG_EEES6_PlJNSB_9not_fun_tI7is_trueItEEEEEE10hipError_tPvRmT3_T4_T5_T6_T7_T9_mT8_P12ihipStream_tbDpT10_ENKUlT_T0_E_clISt17integral_constantIbLb0EES1B_EEDaS16_S17_EUlS16_E_NS1_11comp_targetILNS1_3genE9ELNS1_11target_archE1100ELNS1_3gpuE3ELNS1_3repE0EEENS1_30default_config_static_selectorELNS0_4arch9wavefront6targetE0EEEvT1_.num_named_barrier, 0
	.set _ZN7rocprim17ROCPRIM_400000_NS6detail17trampoline_kernelINS0_14default_configENS1_25partition_config_selectorILNS1_17partition_subalgoE6EtNS0_10empty_typeEbEEZZNS1_14partition_implILS5_6ELb0ES3_mN6thrust23THRUST_200600_302600_NS6detail15normal_iteratorINSA_10device_ptrItEEEEPS6_SG_NS0_5tupleIJNSA_16discard_iteratorINSA_11use_defaultEEES6_EEENSH_IJSG_SG_EEES6_PlJNSB_9not_fun_tI7is_trueItEEEEEE10hipError_tPvRmT3_T4_T5_T6_T7_T9_mT8_P12ihipStream_tbDpT10_ENKUlT_T0_E_clISt17integral_constantIbLb0EES1B_EEDaS16_S17_EUlS16_E_NS1_11comp_targetILNS1_3genE9ELNS1_11target_archE1100ELNS1_3gpuE3ELNS1_3repE0EEENS1_30default_config_static_selectorELNS0_4arch9wavefront6targetE0EEEvT1_.private_seg_size, 0
	.set _ZN7rocprim17ROCPRIM_400000_NS6detail17trampoline_kernelINS0_14default_configENS1_25partition_config_selectorILNS1_17partition_subalgoE6EtNS0_10empty_typeEbEEZZNS1_14partition_implILS5_6ELb0ES3_mN6thrust23THRUST_200600_302600_NS6detail15normal_iteratorINSA_10device_ptrItEEEEPS6_SG_NS0_5tupleIJNSA_16discard_iteratorINSA_11use_defaultEEES6_EEENSH_IJSG_SG_EEES6_PlJNSB_9not_fun_tI7is_trueItEEEEEE10hipError_tPvRmT3_T4_T5_T6_T7_T9_mT8_P12ihipStream_tbDpT10_ENKUlT_T0_E_clISt17integral_constantIbLb0EES1B_EEDaS16_S17_EUlS16_E_NS1_11comp_targetILNS1_3genE9ELNS1_11target_archE1100ELNS1_3gpuE3ELNS1_3repE0EEENS1_30default_config_static_selectorELNS0_4arch9wavefront6targetE0EEEvT1_.uses_vcc, 0
	.set _ZN7rocprim17ROCPRIM_400000_NS6detail17trampoline_kernelINS0_14default_configENS1_25partition_config_selectorILNS1_17partition_subalgoE6EtNS0_10empty_typeEbEEZZNS1_14partition_implILS5_6ELb0ES3_mN6thrust23THRUST_200600_302600_NS6detail15normal_iteratorINSA_10device_ptrItEEEEPS6_SG_NS0_5tupleIJNSA_16discard_iteratorINSA_11use_defaultEEES6_EEENSH_IJSG_SG_EEES6_PlJNSB_9not_fun_tI7is_trueItEEEEEE10hipError_tPvRmT3_T4_T5_T6_T7_T9_mT8_P12ihipStream_tbDpT10_ENKUlT_T0_E_clISt17integral_constantIbLb0EES1B_EEDaS16_S17_EUlS16_E_NS1_11comp_targetILNS1_3genE9ELNS1_11target_archE1100ELNS1_3gpuE3ELNS1_3repE0EEENS1_30default_config_static_selectorELNS0_4arch9wavefront6targetE0EEEvT1_.uses_flat_scratch, 0
	.set _ZN7rocprim17ROCPRIM_400000_NS6detail17trampoline_kernelINS0_14default_configENS1_25partition_config_selectorILNS1_17partition_subalgoE6EtNS0_10empty_typeEbEEZZNS1_14partition_implILS5_6ELb0ES3_mN6thrust23THRUST_200600_302600_NS6detail15normal_iteratorINSA_10device_ptrItEEEEPS6_SG_NS0_5tupleIJNSA_16discard_iteratorINSA_11use_defaultEEES6_EEENSH_IJSG_SG_EEES6_PlJNSB_9not_fun_tI7is_trueItEEEEEE10hipError_tPvRmT3_T4_T5_T6_T7_T9_mT8_P12ihipStream_tbDpT10_ENKUlT_T0_E_clISt17integral_constantIbLb0EES1B_EEDaS16_S17_EUlS16_E_NS1_11comp_targetILNS1_3genE9ELNS1_11target_archE1100ELNS1_3gpuE3ELNS1_3repE0EEENS1_30default_config_static_selectorELNS0_4arch9wavefront6targetE0EEEvT1_.has_dyn_sized_stack, 0
	.set _ZN7rocprim17ROCPRIM_400000_NS6detail17trampoline_kernelINS0_14default_configENS1_25partition_config_selectorILNS1_17partition_subalgoE6EtNS0_10empty_typeEbEEZZNS1_14partition_implILS5_6ELb0ES3_mN6thrust23THRUST_200600_302600_NS6detail15normal_iteratorINSA_10device_ptrItEEEEPS6_SG_NS0_5tupleIJNSA_16discard_iteratorINSA_11use_defaultEEES6_EEENSH_IJSG_SG_EEES6_PlJNSB_9not_fun_tI7is_trueItEEEEEE10hipError_tPvRmT3_T4_T5_T6_T7_T9_mT8_P12ihipStream_tbDpT10_ENKUlT_T0_E_clISt17integral_constantIbLb0EES1B_EEDaS16_S17_EUlS16_E_NS1_11comp_targetILNS1_3genE9ELNS1_11target_archE1100ELNS1_3gpuE3ELNS1_3repE0EEENS1_30default_config_static_selectorELNS0_4arch9wavefront6targetE0EEEvT1_.has_recursion, 0
	.set _ZN7rocprim17ROCPRIM_400000_NS6detail17trampoline_kernelINS0_14default_configENS1_25partition_config_selectorILNS1_17partition_subalgoE6EtNS0_10empty_typeEbEEZZNS1_14partition_implILS5_6ELb0ES3_mN6thrust23THRUST_200600_302600_NS6detail15normal_iteratorINSA_10device_ptrItEEEEPS6_SG_NS0_5tupleIJNSA_16discard_iteratorINSA_11use_defaultEEES6_EEENSH_IJSG_SG_EEES6_PlJNSB_9not_fun_tI7is_trueItEEEEEE10hipError_tPvRmT3_T4_T5_T6_T7_T9_mT8_P12ihipStream_tbDpT10_ENKUlT_T0_E_clISt17integral_constantIbLb0EES1B_EEDaS16_S17_EUlS16_E_NS1_11comp_targetILNS1_3genE9ELNS1_11target_archE1100ELNS1_3gpuE3ELNS1_3repE0EEENS1_30default_config_static_selectorELNS0_4arch9wavefront6targetE0EEEvT1_.has_indirect_call, 0
	.section	.AMDGPU.csdata,"",@progbits
; Kernel info:
; codeLenInByte = 0
; TotalNumSgprs: 0
; NumVgprs: 0
; ScratchSize: 0
; MemoryBound: 0
; FloatMode: 240
; IeeeMode: 1
; LDSByteSize: 0 bytes/workgroup (compile time only)
; SGPRBlocks: 0
; VGPRBlocks: 0
; NumSGPRsForWavesPerEU: 1
; NumVGPRsForWavesPerEU: 1
; Occupancy: 16
; WaveLimiterHint : 0
; COMPUTE_PGM_RSRC2:SCRATCH_EN: 0
; COMPUTE_PGM_RSRC2:USER_SGPR: 2
; COMPUTE_PGM_RSRC2:TRAP_HANDLER: 0
; COMPUTE_PGM_RSRC2:TGID_X_EN: 1
; COMPUTE_PGM_RSRC2:TGID_Y_EN: 0
; COMPUTE_PGM_RSRC2:TGID_Z_EN: 0
; COMPUTE_PGM_RSRC2:TIDIG_COMP_CNT: 0
	.section	.text._ZN7rocprim17ROCPRIM_400000_NS6detail17trampoline_kernelINS0_14default_configENS1_25partition_config_selectorILNS1_17partition_subalgoE6EtNS0_10empty_typeEbEEZZNS1_14partition_implILS5_6ELb0ES3_mN6thrust23THRUST_200600_302600_NS6detail15normal_iteratorINSA_10device_ptrItEEEEPS6_SG_NS0_5tupleIJNSA_16discard_iteratorINSA_11use_defaultEEES6_EEENSH_IJSG_SG_EEES6_PlJNSB_9not_fun_tI7is_trueItEEEEEE10hipError_tPvRmT3_T4_T5_T6_T7_T9_mT8_P12ihipStream_tbDpT10_ENKUlT_T0_E_clISt17integral_constantIbLb0EES1B_EEDaS16_S17_EUlS16_E_NS1_11comp_targetILNS1_3genE8ELNS1_11target_archE1030ELNS1_3gpuE2ELNS1_3repE0EEENS1_30default_config_static_selectorELNS0_4arch9wavefront6targetE0EEEvT1_,"axG",@progbits,_ZN7rocprim17ROCPRIM_400000_NS6detail17trampoline_kernelINS0_14default_configENS1_25partition_config_selectorILNS1_17partition_subalgoE6EtNS0_10empty_typeEbEEZZNS1_14partition_implILS5_6ELb0ES3_mN6thrust23THRUST_200600_302600_NS6detail15normal_iteratorINSA_10device_ptrItEEEEPS6_SG_NS0_5tupleIJNSA_16discard_iteratorINSA_11use_defaultEEES6_EEENSH_IJSG_SG_EEES6_PlJNSB_9not_fun_tI7is_trueItEEEEEE10hipError_tPvRmT3_T4_T5_T6_T7_T9_mT8_P12ihipStream_tbDpT10_ENKUlT_T0_E_clISt17integral_constantIbLb0EES1B_EEDaS16_S17_EUlS16_E_NS1_11comp_targetILNS1_3genE8ELNS1_11target_archE1030ELNS1_3gpuE2ELNS1_3repE0EEENS1_30default_config_static_selectorELNS0_4arch9wavefront6targetE0EEEvT1_,comdat
	.protected	_ZN7rocprim17ROCPRIM_400000_NS6detail17trampoline_kernelINS0_14default_configENS1_25partition_config_selectorILNS1_17partition_subalgoE6EtNS0_10empty_typeEbEEZZNS1_14partition_implILS5_6ELb0ES3_mN6thrust23THRUST_200600_302600_NS6detail15normal_iteratorINSA_10device_ptrItEEEEPS6_SG_NS0_5tupleIJNSA_16discard_iteratorINSA_11use_defaultEEES6_EEENSH_IJSG_SG_EEES6_PlJNSB_9not_fun_tI7is_trueItEEEEEE10hipError_tPvRmT3_T4_T5_T6_T7_T9_mT8_P12ihipStream_tbDpT10_ENKUlT_T0_E_clISt17integral_constantIbLb0EES1B_EEDaS16_S17_EUlS16_E_NS1_11comp_targetILNS1_3genE8ELNS1_11target_archE1030ELNS1_3gpuE2ELNS1_3repE0EEENS1_30default_config_static_selectorELNS0_4arch9wavefront6targetE0EEEvT1_ ; -- Begin function _ZN7rocprim17ROCPRIM_400000_NS6detail17trampoline_kernelINS0_14default_configENS1_25partition_config_selectorILNS1_17partition_subalgoE6EtNS0_10empty_typeEbEEZZNS1_14partition_implILS5_6ELb0ES3_mN6thrust23THRUST_200600_302600_NS6detail15normal_iteratorINSA_10device_ptrItEEEEPS6_SG_NS0_5tupleIJNSA_16discard_iteratorINSA_11use_defaultEEES6_EEENSH_IJSG_SG_EEES6_PlJNSB_9not_fun_tI7is_trueItEEEEEE10hipError_tPvRmT3_T4_T5_T6_T7_T9_mT8_P12ihipStream_tbDpT10_ENKUlT_T0_E_clISt17integral_constantIbLb0EES1B_EEDaS16_S17_EUlS16_E_NS1_11comp_targetILNS1_3genE8ELNS1_11target_archE1030ELNS1_3gpuE2ELNS1_3repE0EEENS1_30default_config_static_selectorELNS0_4arch9wavefront6targetE0EEEvT1_
	.globl	_ZN7rocprim17ROCPRIM_400000_NS6detail17trampoline_kernelINS0_14default_configENS1_25partition_config_selectorILNS1_17partition_subalgoE6EtNS0_10empty_typeEbEEZZNS1_14partition_implILS5_6ELb0ES3_mN6thrust23THRUST_200600_302600_NS6detail15normal_iteratorINSA_10device_ptrItEEEEPS6_SG_NS0_5tupleIJNSA_16discard_iteratorINSA_11use_defaultEEES6_EEENSH_IJSG_SG_EEES6_PlJNSB_9not_fun_tI7is_trueItEEEEEE10hipError_tPvRmT3_T4_T5_T6_T7_T9_mT8_P12ihipStream_tbDpT10_ENKUlT_T0_E_clISt17integral_constantIbLb0EES1B_EEDaS16_S17_EUlS16_E_NS1_11comp_targetILNS1_3genE8ELNS1_11target_archE1030ELNS1_3gpuE2ELNS1_3repE0EEENS1_30default_config_static_selectorELNS0_4arch9wavefront6targetE0EEEvT1_
	.p2align	8
	.type	_ZN7rocprim17ROCPRIM_400000_NS6detail17trampoline_kernelINS0_14default_configENS1_25partition_config_selectorILNS1_17partition_subalgoE6EtNS0_10empty_typeEbEEZZNS1_14partition_implILS5_6ELb0ES3_mN6thrust23THRUST_200600_302600_NS6detail15normal_iteratorINSA_10device_ptrItEEEEPS6_SG_NS0_5tupleIJNSA_16discard_iteratorINSA_11use_defaultEEES6_EEENSH_IJSG_SG_EEES6_PlJNSB_9not_fun_tI7is_trueItEEEEEE10hipError_tPvRmT3_T4_T5_T6_T7_T9_mT8_P12ihipStream_tbDpT10_ENKUlT_T0_E_clISt17integral_constantIbLb0EES1B_EEDaS16_S17_EUlS16_E_NS1_11comp_targetILNS1_3genE8ELNS1_11target_archE1030ELNS1_3gpuE2ELNS1_3repE0EEENS1_30default_config_static_selectorELNS0_4arch9wavefront6targetE0EEEvT1_,@function
_ZN7rocprim17ROCPRIM_400000_NS6detail17trampoline_kernelINS0_14default_configENS1_25partition_config_selectorILNS1_17partition_subalgoE6EtNS0_10empty_typeEbEEZZNS1_14partition_implILS5_6ELb0ES3_mN6thrust23THRUST_200600_302600_NS6detail15normal_iteratorINSA_10device_ptrItEEEEPS6_SG_NS0_5tupleIJNSA_16discard_iteratorINSA_11use_defaultEEES6_EEENSH_IJSG_SG_EEES6_PlJNSB_9not_fun_tI7is_trueItEEEEEE10hipError_tPvRmT3_T4_T5_T6_T7_T9_mT8_P12ihipStream_tbDpT10_ENKUlT_T0_E_clISt17integral_constantIbLb0EES1B_EEDaS16_S17_EUlS16_E_NS1_11comp_targetILNS1_3genE8ELNS1_11target_archE1030ELNS1_3gpuE2ELNS1_3repE0EEENS1_30default_config_static_selectorELNS0_4arch9wavefront6targetE0EEEvT1_: ; @_ZN7rocprim17ROCPRIM_400000_NS6detail17trampoline_kernelINS0_14default_configENS1_25partition_config_selectorILNS1_17partition_subalgoE6EtNS0_10empty_typeEbEEZZNS1_14partition_implILS5_6ELb0ES3_mN6thrust23THRUST_200600_302600_NS6detail15normal_iteratorINSA_10device_ptrItEEEEPS6_SG_NS0_5tupleIJNSA_16discard_iteratorINSA_11use_defaultEEES6_EEENSH_IJSG_SG_EEES6_PlJNSB_9not_fun_tI7is_trueItEEEEEE10hipError_tPvRmT3_T4_T5_T6_T7_T9_mT8_P12ihipStream_tbDpT10_ENKUlT_T0_E_clISt17integral_constantIbLb0EES1B_EEDaS16_S17_EUlS16_E_NS1_11comp_targetILNS1_3genE8ELNS1_11target_archE1030ELNS1_3gpuE2ELNS1_3repE0EEENS1_30default_config_static_selectorELNS0_4arch9wavefront6targetE0EEEvT1_
; %bb.0:
	.section	.rodata,"a",@progbits
	.p2align	6, 0x0
	.amdhsa_kernel _ZN7rocprim17ROCPRIM_400000_NS6detail17trampoline_kernelINS0_14default_configENS1_25partition_config_selectorILNS1_17partition_subalgoE6EtNS0_10empty_typeEbEEZZNS1_14partition_implILS5_6ELb0ES3_mN6thrust23THRUST_200600_302600_NS6detail15normal_iteratorINSA_10device_ptrItEEEEPS6_SG_NS0_5tupleIJNSA_16discard_iteratorINSA_11use_defaultEEES6_EEENSH_IJSG_SG_EEES6_PlJNSB_9not_fun_tI7is_trueItEEEEEE10hipError_tPvRmT3_T4_T5_T6_T7_T9_mT8_P12ihipStream_tbDpT10_ENKUlT_T0_E_clISt17integral_constantIbLb0EES1B_EEDaS16_S17_EUlS16_E_NS1_11comp_targetILNS1_3genE8ELNS1_11target_archE1030ELNS1_3gpuE2ELNS1_3repE0EEENS1_30default_config_static_selectorELNS0_4arch9wavefront6targetE0EEEvT1_
		.amdhsa_group_segment_fixed_size 0
		.amdhsa_private_segment_fixed_size 0
		.amdhsa_kernarg_size 120
		.amdhsa_user_sgpr_count 2
		.amdhsa_user_sgpr_dispatch_ptr 0
		.amdhsa_user_sgpr_queue_ptr 0
		.amdhsa_user_sgpr_kernarg_segment_ptr 1
		.amdhsa_user_sgpr_dispatch_id 0
		.amdhsa_user_sgpr_private_segment_size 0
		.amdhsa_wavefront_size32 1
		.amdhsa_uses_dynamic_stack 0
		.amdhsa_enable_private_segment 0
		.amdhsa_system_sgpr_workgroup_id_x 1
		.amdhsa_system_sgpr_workgroup_id_y 0
		.amdhsa_system_sgpr_workgroup_id_z 0
		.amdhsa_system_sgpr_workgroup_info 0
		.amdhsa_system_vgpr_workitem_id 0
		.amdhsa_next_free_vgpr 1
		.amdhsa_next_free_sgpr 1
		.amdhsa_reserve_vcc 0
		.amdhsa_float_round_mode_32 0
		.amdhsa_float_round_mode_16_64 0
		.amdhsa_float_denorm_mode_32 3
		.amdhsa_float_denorm_mode_16_64 3
		.amdhsa_fp16_overflow 0
		.amdhsa_workgroup_processor_mode 1
		.amdhsa_memory_ordered 1
		.amdhsa_forward_progress 1
		.amdhsa_inst_pref_size 0
		.amdhsa_round_robin_scheduling 0
		.amdhsa_exception_fp_ieee_invalid_op 0
		.amdhsa_exception_fp_denorm_src 0
		.amdhsa_exception_fp_ieee_div_zero 0
		.amdhsa_exception_fp_ieee_overflow 0
		.amdhsa_exception_fp_ieee_underflow 0
		.amdhsa_exception_fp_ieee_inexact 0
		.amdhsa_exception_int_div_zero 0
	.end_amdhsa_kernel
	.section	.text._ZN7rocprim17ROCPRIM_400000_NS6detail17trampoline_kernelINS0_14default_configENS1_25partition_config_selectorILNS1_17partition_subalgoE6EtNS0_10empty_typeEbEEZZNS1_14partition_implILS5_6ELb0ES3_mN6thrust23THRUST_200600_302600_NS6detail15normal_iteratorINSA_10device_ptrItEEEEPS6_SG_NS0_5tupleIJNSA_16discard_iteratorINSA_11use_defaultEEES6_EEENSH_IJSG_SG_EEES6_PlJNSB_9not_fun_tI7is_trueItEEEEEE10hipError_tPvRmT3_T4_T5_T6_T7_T9_mT8_P12ihipStream_tbDpT10_ENKUlT_T0_E_clISt17integral_constantIbLb0EES1B_EEDaS16_S17_EUlS16_E_NS1_11comp_targetILNS1_3genE8ELNS1_11target_archE1030ELNS1_3gpuE2ELNS1_3repE0EEENS1_30default_config_static_selectorELNS0_4arch9wavefront6targetE0EEEvT1_,"axG",@progbits,_ZN7rocprim17ROCPRIM_400000_NS6detail17trampoline_kernelINS0_14default_configENS1_25partition_config_selectorILNS1_17partition_subalgoE6EtNS0_10empty_typeEbEEZZNS1_14partition_implILS5_6ELb0ES3_mN6thrust23THRUST_200600_302600_NS6detail15normal_iteratorINSA_10device_ptrItEEEEPS6_SG_NS0_5tupleIJNSA_16discard_iteratorINSA_11use_defaultEEES6_EEENSH_IJSG_SG_EEES6_PlJNSB_9not_fun_tI7is_trueItEEEEEE10hipError_tPvRmT3_T4_T5_T6_T7_T9_mT8_P12ihipStream_tbDpT10_ENKUlT_T0_E_clISt17integral_constantIbLb0EES1B_EEDaS16_S17_EUlS16_E_NS1_11comp_targetILNS1_3genE8ELNS1_11target_archE1030ELNS1_3gpuE2ELNS1_3repE0EEENS1_30default_config_static_selectorELNS0_4arch9wavefront6targetE0EEEvT1_,comdat
.Lfunc_end2212:
	.size	_ZN7rocprim17ROCPRIM_400000_NS6detail17trampoline_kernelINS0_14default_configENS1_25partition_config_selectorILNS1_17partition_subalgoE6EtNS0_10empty_typeEbEEZZNS1_14partition_implILS5_6ELb0ES3_mN6thrust23THRUST_200600_302600_NS6detail15normal_iteratorINSA_10device_ptrItEEEEPS6_SG_NS0_5tupleIJNSA_16discard_iteratorINSA_11use_defaultEEES6_EEENSH_IJSG_SG_EEES6_PlJNSB_9not_fun_tI7is_trueItEEEEEE10hipError_tPvRmT3_T4_T5_T6_T7_T9_mT8_P12ihipStream_tbDpT10_ENKUlT_T0_E_clISt17integral_constantIbLb0EES1B_EEDaS16_S17_EUlS16_E_NS1_11comp_targetILNS1_3genE8ELNS1_11target_archE1030ELNS1_3gpuE2ELNS1_3repE0EEENS1_30default_config_static_selectorELNS0_4arch9wavefront6targetE0EEEvT1_, .Lfunc_end2212-_ZN7rocprim17ROCPRIM_400000_NS6detail17trampoline_kernelINS0_14default_configENS1_25partition_config_selectorILNS1_17partition_subalgoE6EtNS0_10empty_typeEbEEZZNS1_14partition_implILS5_6ELb0ES3_mN6thrust23THRUST_200600_302600_NS6detail15normal_iteratorINSA_10device_ptrItEEEEPS6_SG_NS0_5tupleIJNSA_16discard_iteratorINSA_11use_defaultEEES6_EEENSH_IJSG_SG_EEES6_PlJNSB_9not_fun_tI7is_trueItEEEEEE10hipError_tPvRmT3_T4_T5_T6_T7_T9_mT8_P12ihipStream_tbDpT10_ENKUlT_T0_E_clISt17integral_constantIbLb0EES1B_EEDaS16_S17_EUlS16_E_NS1_11comp_targetILNS1_3genE8ELNS1_11target_archE1030ELNS1_3gpuE2ELNS1_3repE0EEENS1_30default_config_static_selectorELNS0_4arch9wavefront6targetE0EEEvT1_
                                        ; -- End function
	.set _ZN7rocprim17ROCPRIM_400000_NS6detail17trampoline_kernelINS0_14default_configENS1_25partition_config_selectorILNS1_17partition_subalgoE6EtNS0_10empty_typeEbEEZZNS1_14partition_implILS5_6ELb0ES3_mN6thrust23THRUST_200600_302600_NS6detail15normal_iteratorINSA_10device_ptrItEEEEPS6_SG_NS0_5tupleIJNSA_16discard_iteratorINSA_11use_defaultEEES6_EEENSH_IJSG_SG_EEES6_PlJNSB_9not_fun_tI7is_trueItEEEEEE10hipError_tPvRmT3_T4_T5_T6_T7_T9_mT8_P12ihipStream_tbDpT10_ENKUlT_T0_E_clISt17integral_constantIbLb0EES1B_EEDaS16_S17_EUlS16_E_NS1_11comp_targetILNS1_3genE8ELNS1_11target_archE1030ELNS1_3gpuE2ELNS1_3repE0EEENS1_30default_config_static_selectorELNS0_4arch9wavefront6targetE0EEEvT1_.num_vgpr, 0
	.set _ZN7rocprim17ROCPRIM_400000_NS6detail17trampoline_kernelINS0_14default_configENS1_25partition_config_selectorILNS1_17partition_subalgoE6EtNS0_10empty_typeEbEEZZNS1_14partition_implILS5_6ELb0ES3_mN6thrust23THRUST_200600_302600_NS6detail15normal_iteratorINSA_10device_ptrItEEEEPS6_SG_NS0_5tupleIJNSA_16discard_iteratorINSA_11use_defaultEEES6_EEENSH_IJSG_SG_EEES6_PlJNSB_9not_fun_tI7is_trueItEEEEEE10hipError_tPvRmT3_T4_T5_T6_T7_T9_mT8_P12ihipStream_tbDpT10_ENKUlT_T0_E_clISt17integral_constantIbLb0EES1B_EEDaS16_S17_EUlS16_E_NS1_11comp_targetILNS1_3genE8ELNS1_11target_archE1030ELNS1_3gpuE2ELNS1_3repE0EEENS1_30default_config_static_selectorELNS0_4arch9wavefront6targetE0EEEvT1_.num_agpr, 0
	.set _ZN7rocprim17ROCPRIM_400000_NS6detail17trampoline_kernelINS0_14default_configENS1_25partition_config_selectorILNS1_17partition_subalgoE6EtNS0_10empty_typeEbEEZZNS1_14partition_implILS5_6ELb0ES3_mN6thrust23THRUST_200600_302600_NS6detail15normal_iteratorINSA_10device_ptrItEEEEPS6_SG_NS0_5tupleIJNSA_16discard_iteratorINSA_11use_defaultEEES6_EEENSH_IJSG_SG_EEES6_PlJNSB_9not_fun_tI7is_trueItEEEEEE10hipError_tPvRmT3_T4_T5_T6_T7_T9_mT8_P12ihipStream_tbDpT10_ENKUlT_T0_E_clISt17integral_constantIbLb0EES1B_EEDaS16_S17_EUlS16_E_NS1_11comp_targetILNS1_3genE8ELNS1_11target_archE1030ELNS1_3gpuE2ELNS1_3repE0EEENS1_30default_config_static_selectorELNS0_4arch9wavefront6targetE0EEEvT1_.numbered_sgpr, 0
	.set _ZN7rocprim17ROCPRIM_400000_NS6detail17trampoline_kernelINS0_14default_configENS1_25partition_config_selectorILNS1_17partition_subalgoE6EtNS0_10empty_typeEbEEZZNS1_14partition_implILS5_6ELb0ES3_mN6thrust23THRUST_200600_302600_NS6detail15normal_iteratorINSA_10device_ptrItEEEEPS6_SG_NS0_5tupleIJNSA_16discard_iteratorINSA_11use_defaultEEES6_EEENSH_IJSG_SG_EEES6_PlJNSB_9not_fun_tI7is_trueItEEEEEE10hipError_tPvRmT3_T4_T5_T6_T7_T9_mT8_P12ihipStream_tbDpT10_ENKUlT_T0_E_clISt17integral_constantIbLb0EES1B_EEDaS16_S17_EUlS16_E_NS1_11comp_targetILNS1_3genE8ELNS1_11target_archE1030ELNS1_3gpuE2ELNS1_3repE0EEENS1_30default_config_static_selectorELNS0_4arch9wavefront6targetE0EEEvT1_.num_named_barrier, 0
	.set _ZN7rocprim17ROCPRIM_400000_NS6detail17trampoline_kernelINS0_14default_configENS1_25partition_config_selectorILNS1_17partition_subalgoE6EtNS0_10empty_typeEbEEZZNS1_14partition_implILS5_6ELb0ES3_mN6thrust23THRUST_200600_302600_NS6detail15normal_iteratorINSA_10device_ptrItEEEEPS6_SG_NS0_5tupleIJNSA_16discard_iteratorINSA_11use_defaultEEES6_EEENSH_IJSG_SG_EEES6_PlJNSB_9not_fun_tI7is_trueItEEEEEE10hipError_tPvRmT3_T4_T5_T6_T7_T9_mT8_P12ihipStream_tbDpT10_ENKUlT_T0_E_clISt17integral_constantIbLb0EES1B_EEDaS16_S17_EUlS16_E_NS1_11comp_targetILNS1_3genE8ELNS1_11target_archE1030ELNS1_3gpuE2ELNS1_3repE0EEENS1_30default_config_static_selectorELNS0_4arch9wavefront6targetE0EEEvT1_.private_seg_size, 0
	.set _ZN7rocprim17ROCPRIM_400000_NS6detail17trampoline_kernelINS0_14default_configENS1_25partition_config_selectorILNS1_17partition_subalgoE6EtNS0_10empty_typeEbEEZZNS1_14partition_implILS5_6ELb0ES3_mN6thrust23THRUST_200600_302600_NS6detail15normal_iteratorINSA_10device_ptrItEEEEPS6_SG_NS0_5tupleIJNSA_16discard_iteratorINSA_11use_defaultEEES6_EEENSH_IJSG_SG_EEES6_PlJNSB_9not_fun_tI7is_trueItEEEEEE10hipError_tPvRmT3_T4_T5_T6_T7_T9_mT8_P12ihipStream_tbDpT10_ENKUlT_T0_E_clISt17integral_constantIbLb0EES1B_EEDaS16_S17_EUlS16_E_NS1_11comp_targetILNS1_3genE8ELNS1_11target_archE1030ELNS1_3gpuE2ELNS1_3repE0EEENS1_30default_config_static_selectorELNS0_4arch9wavefront6targetE0EEEvT1_.uses_vcc, 0
	.set _ZN7rocprim17ROCPRIM_400000_NS6detail17trampoline_kernelINS0_14default_configENS1_25partition_config_selectorILNS1_17partition_subalgoE6EtNS0_10empty_typeEbEEZZNS1_14partition_implILS5_6ELb0ES3_mN6thrust23THRUST_200600_302600_NS6detail15normal_iteratorINSA_10device_ptrItEEEEPS6_SG_NS0_5tupleIJNSA_16discard_iteratorINSA_11use_defaultEEES6_EEENSH_IJSG_SG_EEES6_PlJNSB_9not_fun_tI7is_trueItEEEEEE10hipError_tPvRmT3_T4_T5_T6_T7_T9_mT8_P12ihipStream_tbDpT10_ENKUlT_T0_E_clISt17integral_constantIbLb0EES1B_EEDaS16_S17_EUlS16_E_NS1_11comp_targetILNS1_3genE8ELNS1_11target_archE1030ELNS1_3gpuE2ELNS1_3repE0EEENS1_30default_config_static_selectorELNS0_4arch9wavefront6targetE0EEEvT1_.uses_flat_scratch, 0
	.set _ZN7rocprim17ROCPRIM_400000_NS6detail17trampoline_kernelINS0_14default_configENS1_25partition_config_selectorILNS1_17partition_subalgoE6EtNS0_10empty_typeEbEEZZNS1_14partition_implILS5_6ELb0ES3_mN6thrust23THRUST_200600_302600_NS6detail15normal_iteratorINSA_10device_ptrItEEEEPS6_SG_NS0_5tupleIJNSA_16discard_iteratorINSA_11use_defaultEEES6_EEENSH_IJSG_SG_EEES6_PlJNSB_9not_fun_tI7is_trueItEEEEEE10hipError_tPvRmT3_T4_T5_T6_T7_T9_mT8_P12ihipStream_tbDpT10_ENKUlT_T0_E_clISt17integral_constantIbLb0EES1B_EEDaS16_S17_EUlS16_E_NS1_11comp_targetILNS1_3genE8ELNS1_11target_archE1030ELNS1_3gpuE2ELNS1_3repE0EEENS1_30default_config_static_selectorELNS0_4arch9wavefront6targetE0EEEvT1_.has_dyn_sized_stack, 0
	.set _ZN7rocprim17ROCPRIM_400000_NS6detail17trampoline_kernelINS0_14default_configENS1_25partition_config_selectorILNS1_17partition_subalgoE6EtNS0_10empty_typeEbEEZZNS1_14partition_implILS5_6ELb0ES3_mN6thrust23THRUST_200600_302600_NS6detail15normal_iteratorINSA_10device_ptrItEEEEPS6_SG_NS0_5tupleIJNSA_16discard_iteratorINSA_11use_defaultEEES6_EEENSH_IJSG_SG_EEES6_PlJNSB_9not_fun_tI7is_trueItEEEEEE10hipError_tPvRmT3_T4_T5_T6_T7_T9_mT8_P12ihipStream_tbDpT10_ENKUlT_T0_E_clISt17integral_constantIbLb0EES1B_EEDaS16_S17_EUlS16_E_NS1_11comp_targetILNS1_3genE8ELNS1_11target_archE1030ELNS1_3gpuE2ELNS1_3repE0EEENS1_30default_config_static_selectorELNS0_4arch9wavefront6targetE0EEEvT1_.has_recursion, 0
	.set _ZN7rocprim17ROCPRIM_400000_NS6detail17trampoline_kernelINS0_14default_configENS1_25partition_config_selectorILNS1_17partition_subalgoE6EtNS0_10empty_typeEbEEZZNS1_14partition_implILS5_6ELb0ES3_mN6thrust23THRUST_200600_302600_NS6detail15normal_iteratorINSA_10device_ptrItEEEEPS6_SG_NS0_5tupleIJNSA_16discard_iteratorINSA_11use_defaultEEES6_EEENSH_IJSG_SG_EEES6_PlJNSB_9not_fun_tI7is_trueItEEEEEE10hipError_tPvRmT3_T4_T5_T6_T7_T9_mT8_P12ihipStream_tbDpT10_ENKUlT_T0_E_clISt17integral_constantIbLb0EES1B_EEDaS16_S17_EUlS16_E_NS1_11comp_targetILNS1_3genE8ELNS1_11target_archE1030ELNS1_3gpuE2ELNS1_3repE0EEENS1_30default_config_static_selectorELNS0_4arch9wavefront6targetE0EEEvT1_.has_indirect_call, 0
	.section	.AMDGPU.csdata,"",@progbits
; Kernel info:
; codeLenInByte = 0
; TotalNumSgprs: 0
; NumVgprs: 0
; ScratchSize: 0
; MemoryBound: 0
; FloatMode: 240
; IeeeMode: 1
; LDSByteSize: 0 bytes/workgroup (compile time only)
; SGPRBlocks: 0
; VGPRBlocks: 0
; NumSGPRsForWavesPerEU: 1
; NumVGPRsForWavesPerEU: 1
; Occupancy: 16
; WaveLimiterHint : 0
; COMPUTE_PGM_RSRC2:SCRATCH_EN: 0
; COMPUTE_PGM_RSRC2:USER_SGPR: 2
; COMPUTE_PGM_RSRC2:TRAP_HANDLER: 0
; COMPUTE_PGM_RSRC2:TGID_X_EN: 1
; COMPUTE_PGM_RSRC2:TGID_Y_EN: 0
; COMPUTE_PGM_RSRC2:TGID_Z_EN: 0
; COMPUTE_PGM_RSRC2:TIDIG_COMP_CNT: 0
	.section	.text._ZN7rocprim17ROCPRIM_400000_NS6detail17trampoline_kernelINS0_14default_configENS1_25partition_config_selectorILNS1_17partition_subalgoE6EtNS0_10empty_typeEbEEZZNS1_14partition_implILS5_6ELb0ES3_mN6thrust23THRUST_200600_302600_NS6detail15normal_iteratorINSA_10device_ptrItEEEEPS6_SG_NS0_5tupleIJNSA_16discard_iteratorINSA_11use_defaultEEES6_EEENSH_IJSG_SG_EEES6_PlJNSB_9not_fun_tI7is_trueItEEEEEE10hipError_tPvRmT3_T4_T5_T6_T7_T9_mT8_P12ihipStream_tbDpT10_ENKUlT_T0_E_clISt17integral_constantIbLb1EES1B_EEDaS16_S17_EUlS16_E_NS1_11comp_targetILNS1_3genE0ELNS1_11target_archE4294967295ELNS1_3gpuE0ELNS1_3repE0EEENS1_30default_config_static_selectorELNS0_4arch9wavefront6targetE0EEEvT1_,"axG",@progbits,_ZN7rocprim17ROCPRIM_400000_NS6detail17trampoline_kernelINS0_14default_configENS1_25partition_config_selectorILNS1_17partition_subalgoE6EtNS0_10empty_typeEbEEZZNS1_14partition_implILS5_6ELb0ES3_mN6thrust23THRUST_200600_302600_NS6detail15normal_iteratorINSA_10device_ptrItEEEEPS6_SG_NS0_5tupleIJNSA_16discard_iteratorINSA_11use_defaultEEES6_EEENSH_IJSG_SG_EEES6_PlJNSB_9not_fun_tI7is_trueItEEEEEE10hipError_tPvRmT3_T4_T5_T6_T7_T9_mT8_P12ihipStream_tbDpT10_ENKUlT_T0_E_clISt17integral_constantIbLb1EES1B_EEDaS16_S17_EUlS16_E_NS1_11comp_targetILNS1_3genE0ELNS1_11target_archE4294967295ELNS1_3gpuE0ELNS1_3repE0EEENS1_30default_config_static_selectorELNS0_4arch9wavefront6targetE0EEEvT1_,comdat
	.protected	_ZN7rocprim17ROCPRIM_400000_NS6detail17trampoline_kernelINS0_14default_configENS1_25partition_config_selectorILNS1_17partition_subalgoE6EtNS0_10empty_typeEbEEZZNS1_14partition_implILS5_6ELb0ES3_mN6thrust23THRUST_200600_302600_NS6detail15normal_iteratorINSA_10device_ptrItEEEEPS6_SG_NS0_5tupleIJNSA_16discard_iteratorINSA_11use_defaultEEES6_EEENSH_IJSG_SG_EEES6_PlJNSB_9not_fun_tI7is_trueItEEEEEE10hipError_tPvRmT3_T4_T5_T6_T7_T9_mT8_P12ihipStream_tbDpT10_ENKUlT_T0_E_clISt17integral_constantIbLb1EES1B_EEDaS16_S17_EUlS16_E_NS1_11comp_targetILNS1_3genE0ELNS1_11target_archE4294967295ELNS1_3gpuE0ELNS1_3repE0EEENS1_30default_config_static_selectorELNS0_4arch9wavefront6targetE0EEEvT1_ ; -- Begin function _ZN7rocprim17ROCPRIM_400000_NS6detail17trampoline_kernelINS0_14default_configENS1_25partition_config_selectorILNS1_17partition_subalgoE6EtNS0_10empty_typeEbEEZZNS1_14partition_implILS5_6ELb0ES3_mN6thrust23THRUST_200600_302600_NS6detail15normal_iteratorINSA_10device_ptrItEEEEPS6_SG_NS0_5tupleIJNSA_16discard_iteratorINSA_11use_defaultEEES6_EEENSH_IJSG_SG_EEES6_PlJNSB_9not_fun_tI7is_trueItEEEEEE10hipError_tPvRmT3_T4_T5_T6_T7_T9_mT8_P12ihipStream_tbDpT10_ENKUlT_T0_E_clISt17integral_constantIbLb1EES1B_EEDaS16_S17_EUlS16_E_NS1_11comp_targetILNS1_3genE0ELNS1_11target_archE4294967295ELNS1_3gpuE0ELNS1_3repE0EEENS1_30default_config_static_selectorELNS0_4arch9wavefront6targetE0EEEvT1_
	.globl	_ZN7rocprim17ROCPRIM_400000_NS6detail17trampoline_kernelINS0_14default_configENS1_25partition_config_selectorILNS1_17partition_subalgoE6EtNS0_10empty_typeEbEEZZNS1_14partition_implILS5_6ELb0ES3_mN6thrust23THRUST_200600_302600_NS6detail15normal_iteratorINSA_10device_ptrItEEEEPS6_SG_NS0_5tupleIJNSA_16discard_iteratorINSA_11use_defaultEEES6_EEENSH_IJSG_SG_EEES6_PlJNSB_9not_fun_tI7is_trueItEEEEEE10hipError_tPvRmT3_T4_T5_T6_T7_T9_mT8_P12ihipStream_tbDpT10_ENKUlT_T0_E_clISt17integral_constantIbLb1EES1B_EEDaS16_S17_EUlS16_E_NS1_11comp_targetILNS1_3genE0ELNS1_11target_archE4294967295ELNS1_3gpuE0ELNS1_3repE0EEENS1_30default_config_static_selectorELNS0_4arch9wavefront6targetE0EEEvT1_
	.p2align	8
	.type	_ZN7rocprim17ROCPRIM_400000_NS6detail17trampoline_kernelINS0_14default_configENS1_25partition_config_selectorILNS1_17partition_subalgoE6EtNS0_10empty_typeEbEEZZNS1_14partition_implILS5_6ELb0ES3_mN6thrust23THRUST_200600_302600_NS6detail15normal_iteratorINSA_10device_ptrItEEEEPS6_SG_NS0_5tupleIJNSA_16discard_iteratorINSA_11use_defaultEEES6_EEENSH_IJSG_SG_EEES6_PlJNSB_9not_fun_tI7is_trueItEEEEEE10hipError_tPvRmT3_T4_T5_T6_T7_T9_mT8_P12ihipStream_tbDpT10_ENKUlT_T0_E_clISt17integral_constantIbLb1EES1B_EEDaS16_S17_EUlS16_E_NS1_11comp_targetILNS1_3genE0ELNS1_11target_archE4294967295ELNS1_3gpuE0ELNS1_3repE0EEENS1_30default_config_static_selectorELNS0_4arch9wavefront6targetE0EEEvT1_,@function
_ZN7rocprim17ROCPRIM_400000_NS6detail17trampoline_kernelINS0_14default_configENS1_25partition_config_selectorILNS1_17partition_subalgoE6EtNS0_10empty_typeEbEEZZNS1_14partition_implILS5_6ELb0ES3_mN6thrust23THRUST_200600_302600_NS6detail15normal_iteratorINSA_10device_ptrItEEEEPS6_SG_NS0_5tupleIJNSA_16discard_iteratorINSA_11use_defaultEEES6_EEENSH_IJSG_SG_EEES6_PlJNSB_9not_fun_tI7is_trueItEEEEEE10hipError_tPvRmT3_T4_T5_T6_T7_T9_mT8_P12ihipStream_tbDpT10_ENKUlT_T0_E_clISt17integral_constantIbLb1EES1B_EEDaS16_S17_EUlS16_E_NS1_11comp_targetILNS1_3genE0ELNS1_11target_archE4294967295ELNS1_3gpuE0ELNS1_3repE0EEENS1_30default_config_static_selectorELNS0_4arch9wavefront6targetE0EEEvT1_: ; @_ZN7rocprim17ROCPRIM_400000_NS6detail17trampoline_kernelINS0_14default_configENS1_25partition_config_selectorILNS1_17partition_subalgoE6EtNS0_10empty_typeEbEEZZNS1_14partition_implILS5_6ELb0ES3_mN6thrust23THRUST_200600_302600_NS6detail15normal_iteratorINSA_10device_ptrItEEEEPS6_SG_NS0_5tupleIJNSA_16discard_iteratorINSA_11use_defaultEEES6_EEENSH_IJSG_SG_EEES6_PlJNSB_9not_fun_tI7is_trueItEEEEEE10hipError_tPvRmT3_T4_T5_T6_T7_T9_mT8_P12ihipStream_tbDpT10_ENKUlT_T0_E_clISt17integral_constantIbLb1EES1B_EEDaS16_S17_EUlS16_E_NS1_11comp_targetILNS1_3genE0ELNS1_11target_archE4294967295ELNS1_3gpuE0ELNS1_3repE0EEENS1_30default_config_static_selectorELNS0_4arch9wavefront6targetE0EEEvT1_
; %bb.0:
	.section	.rodata,"a",@progbits
	.p2align	6, 0x0
	.amdhsa_kernel _ZN7rocprim17ROCPRIM_400000_NS6detail17trampoline_kernelINS0_14default_configENS1_25partition_config_selectorILNS1_17partition_subalgoE6EtNS0_10empty_typeEbEEZZNS1_14partition_implILS5_6ELb0ES3_mN6thrust23THRUST_200600_302600_NS6detail15normal_iteratorINSA_10device_ptrItEEEEPS6_SG_NS0_5tupleIJNSA_16discard_iteratorINSA_11use_defaultEEES6_EEENSH_IJSG_SG_EEES6_PlJNSB_9not_fun_tI7is_trueItEEEEEE10hipError_tPvRmT3_T4_T5_T6_T7_T9_mT8_P12ihipStream_tbDpT10_ENKUlT_T0_E_clISt17integral_constantIbLb1EES1B_EEDaS16_S17_EUlS16_E_NS1_11comp_targetILNS1_3genE0ELNS1_11target_archE4294967295ELNS1_3gpuE0ELNS1_3repE0EEENS1_30default_config_static_selectorELNS0_4arch9wavefront6targetE0EEEvT1_
		.amdhsa_group_segment_fixed_size 0
		.amdhsa_private_segment_fixed_size 0
		.amdhsa_kernarg_size 136
		.amdhsa_user_sgpr_count 2
		.amdhsa_user_sgpr_dispatch_ptr 0
		.amdhsa_user_sgpr_queue_ptr 0
		.amdhsa_user_sgpr_kernarg_segment_ptr 1
		.amdhsa_user_sgpr_dispatch_id 0
		.amdhsa_user_sgpr_private_segment_size 0
		.amdhsa_wavefront_size32 1
		.amdhsa_uses_dynamic_stack 0
		.amdhsa_enable_private_segment 0
		.amdhsa_system_sgpr_workgroup_id_x 1
		.amdhsa_system_sgpr_workgroup_id_y 0
		.amdhsa_system_sgpr_workgroup_id_z 0
		.amdhsa_system_sgpr_workgroup_info 0
		.amdhsa_system_vgpr_workitem_id 0
		.amdhsa_next_free_vgpr 1
		.amdhsa_next_free_sgpr 1
		.amdhsa_reserve_vcc 0
		.amdhsa_float_round_mode_32 0
		.amdhsa_float_round_mode_16_64 0
		.amdhsa_float_denorm_mode_32 3
		.amdhsa_float_denorm_mode_16_64 3
		.amdhsa_fp16_overflow 0
		.amdhsa_workgroup_processor_mode 1
		.amdhsa_memory_ordered 1
		.amdhsa_forward_progress 1
		.amdhsa_inst_pref_size 0
		.amdhsa_round_robin_scheduling 0
		.amdhsa_exception_fp_ieee_invalid_op 0
		.amdhsa_exception_fp_denorm_src 0
		.amdhsa_exception_fp_ieee_div_zero 0
		.amdhsa_exception_fp_ieee_overflow 0
		.amdhsa_exception_fp_ieee_underflow 0
		.amdhsa_exception_fp_ieee_inexact 0
		.amdhsa_exception_int_div_zero 0
	.end_amdhsa_kernel
	.section	.text._ZN7rocprim17ROCPRIM_400000_NS6detail17trampoline_kernelINS0_14default_configENS1_25partition_config_selectorILNS1_17partition_subalgoE6EtNS0_10empty_typeEbEEZZNS1_14partition_implILS5_6ELb0ES3_mN6thrust23THRUST_200600_302600_NS6detail15normal_iteratorINSA_10device_ptrItEEEEPS6_SG_NS0_5tupleIJNSA_16discard_iteratorINSA_11use_defaultEEES6_EEENSH_IJSG_SG_EEES6_PlJNSB_9not_fun_tI7is_trueItEEEEEE10hipError_tPvRmT3_T4_T5_T6_T7_T9_mT8_P12ihipStream_tbDpT10_ENKUlT_T0_E_clISt17integral_constantIbLb1EES1B_EEDaS16_S17_EUlS16_E_NS1_11comp_targetILNS1_3genE0ELNS1_11target_archE4294967295ELNS1_3gpuE0ELNS1_3repE0EEENS1_30default_config_static_selectorELNS0_4arch9wavefront6targetE0EEEvT1_,"axG",@progbits,_ZN7rocprim17ROCPRIM_400000_NS6detail17trampoline_kernelINS0_14default_configENS1_25partition_config_selectorILNS1_17partition_subalgoE6EtNS0_10empty_typeEbEEZZNS1_14partition_implILS5_6ELb0ES3_mN6thrust23THRUST_200600_302600_NS6detail15normal_iteratorINSA_10device_ptrItEEEEPS6_SG_NS0_5tupleIJNSA_16discard_iteratorINSA_11use_defaultEEES6_EEENSH_IJSG_SG_EEES6_PlJNSB_9not_fun_tI7is_trueItEEEEEE10hipError_tPvRmT3_T4_T5_T6_T7_T9_mT8_P12ihipStream_tbDpT10_ENKUlT_T0_E_clISt17integral_constantIbLb1EES1B_EEDaS16_S17_EUlS16_E_NS1_11comp_targetILNS1_3genE0ELNS1_11target_archE4294967295ELNS1_3gpuE0ELNS1_3repE0EEENS1_30default_config_static_selectorELNS0_4arch9wavefront6targetE0EEEvT1_,comdat
.Lfunc_end2213:
	.size	_ZN7rocprim17ROCPRIM_400000_NS6detail17trampoline_kernelINS0_14default_configENS1_25partition_config_selectorILNS1_17partition_subalgoE6EtNS0_10empty_typeEbEEZZNS1_14partition_implILS5_6ELb0ES3_mN6thrust23THRUST_200600_302600_NS6detail15normal_iteratorINSA_10device_ptrItEEEEPS6_SG_NS0_5tupleIJNSA_16discard_iteratorINSA_11use_defaultEEES6_EEENSH_IJSG_SG_EEES6_PlJNSB_9not_fun_tI7is_trueItEEEEEE10hipError_tPvRmT3_T4_T5_T6_T7_T9_mT8_P12ihipStream_tbDpT10_ENKUlT_T0_E_clISt17integral_constantIbLb1EES1B_EEDaS16_S17_EUlS16_E_NS1_11comp_targetILNS1_3genE0ELNS1_11target_archE4294967295ELNS1_3gpuE0ELNS1_3repE0EEENS1_30default_config_static_selectorELNS0_4arch9wavefront6targetE0EEEvT1_, .Lfunc_end2213-_ZN7rocprim17ROCPRIM_400000_NS6detail17trampoline_kernelINS0_14default_configENS1_25partition_config_selectorILNS1_17partition_subalgoE6EtNS0_10empty_typeEbEEZZNS1_14partition_implILS5_6ELb0ES3_mN6thrust23THRUST_200600_302600_NS6detail15normal_iteratorINSA_10device_ptrItEEEEPS6_SG_NS0_5tupleIJNSA_16discard_iteratorINSA_11use_defaultEEES6_EEENSH_IJSG_SG_EEES6_PlJNSB_9not_fun_tI7is_trueItEEEEEE10hipError_tPvRmT3_T4_T5_T6_T7_T9_mT8_P12ihipStream_tbDpT10_ENKUlT_T0_E_clISt17integral_constantIbLb1EES1B_EEDaS16_S17_EUlS16_E_NS1_11comp_targetILNS1_3genE0ELNS1_11target_archE4294967295ELNS1_3gpuE0ELNS1_3repE0EEENS1_30default_config_static_selectorELNS0_4arch9wavefront6targetE0EEEvT1_
                                        ; -- End function
	.set _ZN7rocprim17ROCPRIM_400000_NS6detail17trampoline_kernelINS0_14default_configENS1_25partition_config_selectorILNS1_17partition_subalgoE6EtNS0_10empty_typeEbEEZZNS1_14partition_implILS5_6ELb0ES3_mN6thrust23THRUST_200600_302600_NS6detail15normal_iteratorINSA_10device_ptrItEEEEPS6_SG_NS0_5tupleIJNSA_16discard_iteratorINSA_11use_defaultEEES6_EEENSH_IJSG_SG_EEES6_PlJNSB_9not_fun_tI7is_trueItEEEEEE10hipError_tPvRmT3_T4_T5_T6_T7_T9_mT8_P12ihipStream_tbDpT10_ENKUlT_T0_E_clISt17integral_constantIbLb1EES1B_EEDaS16_S17_EUlS16_E_NS1_11comp_targetILNS1_3genE0ELNS1_11target_archE4294967295ELNS1_3gpuE0ELNS1_3repE0EEENS1_30default_config_static_selectorELNS0_4arch9wavefront6targetE0EEEvT1_.num_vgpr, 0
	.set _ZN7rocprim17ROCPRIM_400000_NS6detail17trampoline_kernelINS0_14default_configENS1_25partition_config_selectorILNS1_17partition_subalgoE6EtNS0_10empty_typeEbEEZZNS1_14partition_implILS5_6ELb0ES3_mN6thrust23THRUST_200600_302600_NS6detail15normal_iteratorINSA_10device_ptrItEEEEPS6_SG_NS0_5tupleIJNSA_16discard_iteratorINSA_11use_defaultEEES6_EEENSH_IJSG_SG_EEES6_PlJNSB_9not_fun_tI7is_trueItEEEEEE10hipError_tPvRmT3_T4_T5_T6_T7_T9_mT8_P12ihipStream_tbDpT10_ENKUlT_T0_E_clISt17integral_constantIbLb1EES1B_EEDaS16_S17_EUlS16_E_NS1_11comp_targetILNS1_3genE0ELNS1_11target_archE4294967295ELNS1_3gpuE0ELNS1_3repE0EEENS1_30default_config_static_selectorELNS0_4arch9wavefront6targetE0EEEvT1_.num_agpr, 0
	.set _ZN7rocprim17ROCPRIM_400000_NS6detail17trampoline_kernelINS0_14default_configENS1_25partition_config_selectorILNS1_17partition_subalgoE6EtNS0_10empty_typeEbEEZZNS1_14partition_implILS5_6ELb0ES3_mN6thrust23THRUST_200600_302600_NS6detail15normal_iteratorINSA_10device_ptrItEEEEPS6_SG_NS0_5tupleIJNSA_16discard_iteratorINSA_11use_defaultEEES6_EEENSH_IJSG_SG_EEES6_PlJNSB_9not_fun_tI7is_trueItEEEEEE10hipError_tPvRmT3_T4_T5_T6_T7_T9_mT8_P12ihipStream_tbDpT10_ENKUlT_T0_E_clISt17integral_constantIbLb1EES1B_EEDaS16_S17_EUlS16_E_NS1_11comp_targetILNS1_3genE0ELNS1_11target_archE4294967295ELNS1_3gpuE0ELNS1_3repE0EEENS1_30default_config_static_selectorELNS0_4arch9wavefront6targetE0EEEvT1_.numbered_sgpr, 0
	.set _ZN7rocprim17ROCPRIM_400000_NS6detail17trampoline_kernelINS0_14default_configENS1_25partition_config_selectorILNS1_17partition_subalgoE6EtNS0_10empty_typeEbEEZZNS1_14partition_implILS5_6ELb0ES3_mN6thrust23THRUST_200600_302600_NS6detail15normal_iteratorINSA_10device_ptrItEEEEPS6_SG_NS0_5tupleIJNSA_16discard_iteratorINSA_11use_defaultEEES6_EEENSH_IJSG_SG_EEES6_PlJNSB_9not_fun_tI7is_trueItEEEEEE10hipError_tPvRmT3_T4_T5_T6_T7_T9_mT8_P12ihipStream_tbDpT10_ENKUlT_T0_E_clISt17integral_constantIbLb1EES1B_EEDaS16_S17_EUlS16_E_NS1_11comp_targetILNS1_3genE0ELNS1_11target_archE4294967295ELNS1_3gpuE0ELNS1_3repE0EEENS1_30default_config_static_selectorELNS0_4arch9wavefront6targetE0EEEvT1_.num_named_barrier, 0
	.set _ZN7rocprim17ROCPRIM_400000_NS6detail17trampoline_kernelINS0_14default_configENS1_25partition_config_selectorILNS1_17partition_subalgoE6EtNS0_10empty_typeEbEEZZNS1_14partition_implILS5_6ELb0ES3_mN6thrust23THRUST_200600_302600_NS6detail15normal_iteratorINSA_10device_ptrItEEEEPS6_SG_NS0_5tupleIJNSA_16discard_iteratorINSA_11use_defaultEEES6_EEENSH_IJSG_SG_EEES6_PlJNSB_9not_fun_tI7is_trueItEEEEEE10hipError_tPvRmT3_T4_T5_T6_T7_T9_mT8_P12ihipStream_tbDpT10_ENKUlT_T0_E_clISt17integral_constantIbLb1EES1B_EEDaS16_S17_EUlS16_E_NS1_11comp_targetILNS1_3genE0ELNS1_11target_archE4294967295ELNS1_3gpuE0ELNS1_3repE0EEENS1_30default_config_static_selectorELNS0_4arch9wavefront6targetE0EEEvT1_.private_seg_size, 0
	.set _ZN7rocprim17ROCPRIM_400000_NS6detail17trampoline_kernelINS0_14default_configENS1_25partition_config_selectorILNS1_17partition_subalgoE6EtNS0_10empty_typeEbEEZZNS1_14partition_implILS5_6ELb0ES3_mN6thrust23THRUST_200600_302600_NS6detail15normal_iteratorINSA_10device_ptrItEEEEPS6_SG_NS0_5tupleIJNSA_16discard_iteratorINSA_11use_defaultEEES6_EEENSH_IJSG_SG_EEES6_PlJNSB_9not_fun_tI7is_trueItEEEEEE10hipError_tPvRmT3_T4_T5_T6_T7_T9_mT8_P12ihipStream_tbDpT10_ENKUlT_T0_E_clISt17integral_constantIbLb1EES1B_EEDaS16_S17_EUlS16_E_NS1_11comp_targetILNS1_3genE0ELNS1_11target_archE4294967295ELNS1_3gpuE0ELNS1_3repE0EEENS1_30default_config_static_selectorELNS0_4arch9wavefront6targetE0EEEvT1_.uses_vcc, 0
	.set _ZN7rocprim17ROCPRIM_400000_NS6detail17trampoline_kernelINS0_14default_configENS1_25partition_config_selectorILNS1_17partition_subalgoE6EtNS0_10empty_typeEbEEZZNS1_14partition_implILS5_6ELb0ES3_mN6thrust23THRUST_200600_302600_NS6detail15normal_iteratorINSA_10device_ptrItEEEEPS6_SG_NS0_5tupleIJNSA_16discard_iteratorINSA_11use_defaultEEES6_EEENSH_IJSG_SG_EEES6_PlJNSB_9not_fun_tI7is_trueItEEEEEE10hipError_tPvRmT3_T4_T5_T6_T7_T9_mT8_P12ihipStream_tbDpT10_ENKUlT_T0_E_clISt17integral_constantIbLb1EES1B_EEDaS16_S17_EUlS16_E_NS1_11comp_targetILNS1_3genE0ELNS1_11target_archE4294967295ELNS1_3gpuE0ELNS1_3repE0EEENS1_30default_config_static_selectorELNS0_4arch9wavefront6targetE0EEEvT1_.uses_flat_scratch, 0
	.set _ZN7rocprim17ROCPRIM_400000_NS6detail17trampoline_kernelINS0_14default_configENS1_25partition_config_selectorILNS1_17partition_subalgoE6EtNS0_10empty_typeEbEEZZNS1_14partition_implILS5_6ELb0ES3_mN6thrust23THRUST_200600_302600_NS6detail15normal_iteratorINSA_10device_ptrItEEEEPS6_SG_NS0_5tupleIJNSA_16discard_iteratorINSA_11use_defaultEEES6_EEENSH_IJSG_SG_EEES6_PlJNSB_9not_fun_tI7is_trueItEEEEEE10hipError_tPvRmT3_T4_T5_T6_T7_T9_mT8_P12ihipStream_tbDpT10_ENKUlT_T0_E_clISt17integral_constantIbLb1EES1B_EEDaS16_S17_EUlS16_E_NS1_11comp_targetILNS1_3genE0ELNS1_11target_archE4294967295ELNS1_3gpuE0ELNS1_3repE0EEENS1_30default_config_static_selectorELNS0_4arch9wavefront6targetE0EEEvT1_.has_dyn_sized_stack, 0
	.set _ZN7rocprim17ROCPRIM_400000_NS6detail17trampoline_kernelINS0_14default_configENS1_25partition_config_selectorILNS1_17partition_subalgoE6EtNS0_10empty_typeEbEEZZNS1_14partition_implILS5_6ELb0ES3_mN6thrust23THRUST_200600_302600_NS6detail15normal_iteratorINSA_10device_ptrItEEEEPS6_SG_NS0_5tupleIJNSA_16discard_iteratorINSA_11use_defaultEEES6_EEENSH_IJSG_SG_EEES6_PlJNSB_9not_fun_tI7is_trueItEEEEEE10hipError_tPvRmT3_T4_T5_T6_T7_T9_mT8_P12ihipStream_tbDpT10_ENKUlT_T0_E_clISt17integral_constantIbLb1EES1B_EEDaS16_S17_EUlS16_E_NS1_11comp_targetILNS1_3genE0ELNS1_11target_archE4294967295ELNS1_3gpuE0ELNS1_3repE0EEENS1_30default_config_static_selectorELNS0_4arch9wavefront6targetE0EEEvT1_.has_recursion, 0
	.set _ZN7rocprim17ROCPRIM_400000_NS6detail17trampoline_kernelINS0_14default_configENS1_25partition_config_selectorILNS1_17partition_subalgoE6EtNS0_10empty_typeEbEEZZNS1_14partition_implILS5_6ELb0ES3_mN6thrust23THRUST_200600_302600_NS6detail15normal_iteratorINSA_10device_ptrItEEEEPS6_SG_NS0_5tupleIJNSA_16discard_iteratorINSA_11use_defaultEEES6_EEENSH_IJSG_SG_EEES6_PlJNSB_9not_fun_tI7is_trueItEEEEEE10hipError_tPvRmT3_T4_T5_T6_T7_T9_mT8_P12ihipStream_tbDpT10_ENKUlT_T0_E_clISt17integral_constantIbLb1EES1B_EEDaS16_S17_EUlS16_E_NS1_11comp_targetILNS1_3genE0ELNS1_11target_archE4294967295ELNS1_3gpuE0ELNS1_3repE0EEENS1_30default_config_static_selectorELNS0_4arch9wavefront6targetE0EEEvT1_.has_indirect_call, 0
	.section	.AMDGPU.csdata,"",@progbits
; Kernel info:
; codeLenInByte = 0
; TotalNumSgprs: 0
; NumVgprs: 0
; ScratchSize: 0
; MemoryBound: 0
; FloatMode: 240
; IeeeMode: 1
; LDSByteSize: 0 bytes/workgroup (compile time only)
; SGPRBlocks: 0
; VGPRBlocks: 0
; NumSGPRsForWavesPerEU: 1
; NumVGPRsForWavesPerEU: 1
; Occupancy: 16
; WaveLimiterHint : 0
; COMPUTE_PGM_RSRC2:SCRATCH_EN: 0
; COMPUTE_PGM_RSRC2:USER_SGPR: 2
; COMPUTE_PGM_RSRC2:TRAP_HANDLER: 0
; COMPUTE_PGM_RSRC2:TGID_X_EN: 1
; COMPUTE_PGM_RSRC2:TGID_Y_EN: 0
; COMPUTE_PGM_RSRC2:TGID_Z_EN: 0
; COMPUTE_PGM_RSRC2:TIDIG_COMP_CNT: 0
	.section	.text._ZN7rocprim17ROCPRIM_400000_NS6detail17trampoline_kernelINS0_14default_configENS1_25partition_config_selectorILNS1_17partition_subalgoE6EtNS0_10empty_typeEbEEZZNS1_14partition_implILS5_6ELb0ES3_mN6thrust23THRUST_200600_302600_NS6detail15normal_iteratorINSA_10device_ptrItEEEEPS6_SG_NS0_5tupleIJNSA_16discard_iteratorINSA_11use_defaultEEES6_EEENSH_IJSG_SG_EEES6_PlJNSB_9not_fun_tI7is_trueItEEEEEE10hipError_tPvRmT3_T4_T5_T6_T7_T9_mT8_P12ihipStream_tbDpT10_ENKUlT_T0_E_clISt17integral_constantIbLb1EES1B_EEDaS16_S17_EUlS16_E_NS1_11comp_targetILNS1_3genE5ELNS1_11target_archE942ELNS1_3gpuE9ELNS1_3repE0EEENS1_30default_config_static_selectorELNS0_4arch9wavefront6targetE0EEEvT1_,"axG",@progbits,_ZN7rocprim17ROCPRIM_400000_NS6detail17trampoline_kernelINS0_14default_configENS1_25partition_config_selectorILNS1_17partition_subalgoE6EtNS0_10empty_typeEbEEZZNS1_14partition_implILS5_6ELb0ES3_mN6thrust23THRUST_200600_302600_NS6detail15normal_iteratorINSA_10device_ptrItEEEEPS6_SG_NS0_5tupleIJNSA_16discard_iteratorINSA_11use_defaultEEES6_EEENSH_IJSG_SG_EEES6_PlJNSB_9not_fun_tI7is_trueItEEEEEE10hipError_tPvRmT3_T4_T5_T6_T7_T9_mT8_P12ihipStream_tbDpT10_ENKUlT_T0_E_clISt17integral_constantIbLb1EES1B_EEDaS16_S17_EUlS16_E_NS1_11comp_targetILNS1_3genE5ELNS1_11target_archE942ELNS1_3gpuE9ELNS1_3repE0EEENS1_30default_config_static_selectorELNS0_4arch9wavefront6targetE0EEEvT1_,comdat
	.protected	_ZN7rocprim17ROCPRIM_400000_NS6detail17trampoline_kernelINS0_14default_configENS1_25partition_config_selectorILNS1_17partition_subalgoE6EtNS0_10empty_typeEbEEZZNS1_14partition_implILS5_6ELb0ES3_mN6thrust23THRUST_200600_302600_NS6detail15normal_iteratorINSA_10device_ptrItEEEEPS6_SG_NS0_5tupleIJNSA_16discard_iteratorINSA_11use_defaultEEES6_EEENSH_IJSG_SG_EEES6_PlJNSB_9not_fun_tI7is_trueItEEEEEE10hipError_tPvRmT3_T4_T5_T6_T7_T9_mT8_P12ihipStream_tbDpT10_ENKUlT_T0_E_clISt17integral_constantIbLb1EES1B_EEDaS16_S17_EUlS16_E_NS1_11comp_targetILNS1_3genE5ELNS1_11target_archE942ELNS1_3gpuE9ELNS1_3repE0EEENS1_30default_config_static_selectorELNS0_4arch9wavefront6targetE0EEEvT1_ ; -- Begin function _ZN7rocprim17ROCPRIM_400000_NS6detail17trampoline_kernelINS0_14default_configENS1_25partition_config_selectorILNS1_17partition_subalgoE6EtNS0_10empty_typeEbEEZZNS1_14partition_implILS5_6ELb0ES3_mN6thrust23THRUST_200600_302600_NS6detail15normal_iteratorINSA_10device_ptrItEEEEPS6_SG_NS0_5tupleIJNSA_16discard_iteratorINSA_11use_defaultEEES6_EEENSH_IJSG_SG_EEES6_PlJNSB_9not_fun_tI7is_trueItEEEEEE10hipError_tPvRmT3_T4_T5_T6_T7_T9_mT8_P12ihipStream_tbDpT10_ENKUlT_T0_E_clISt17integral_constantIbLb1EES1B_EEDaS16_S17_EUlS16_E_NS1_11comp_targetILNS1_3genE5ELNS1_11target_archE942ELNS1_3gpuE9ELNS1_3repE0EEENS1_30default_config_static_selectorELNS0_4arch9wavefront6targetE0EEEvT1_
	.globl	_ZN7rocprim17ROCPRIM_400000_NS6detail17trampoline_kernelINS0_14default_configENS1_25partition_config_selectorILNS1_17partition_subalgoE6EtNS0_10empty_typeEbEEZZNS1_14partition_implILS5_6ELb0ES3_mN6thrust23THRUST_200600_302600_NS6detail15normal_iteratorINSA_10device_ptrItEEEEPS6_SG_NS0_5tupleIJNSA_16discard_iteratorINSA_11use_defaultEEES6_EEENSH_IJSG_SG_EEES6_PlJNSB_9not_fun_tI7is_trueItEEEEEE10hipError_tPvRmT3_T4_T5_T6_T7_T9_mT8_P12ihipStream_tbDpT10_ENKUlT_T0_E_clISt17integral_constantIbLb1EES1B_EEDaS16_S17_EUlS16_E_NS1_11comp_targetILNS1_3genE5ELNS1_11target_archE942ELNS1_3gpuE9ELNS1_3repE0EEENS1_30default_config_static_selectorELNS0_4arch9wavefront6targetE0EEEvT1_
	.p2align	8
	.type	_ZN7rocprim17ROCPRIM_400000_NS6detail17trampoline_kernelINS0_14default_configENS1_25partition_config_selectorILNS1_17partition_subalgoE6EtNS0_10empty_typeEbEEZZNS1_14partition_implILS5_6ELb0ES3_mN6thrust23THRUST_200600_302600_NS6detail15normal_iteratorINSA_10device_ptrItEEEEPS6_SG_NS0_5tupleIJNSA_16discard_iteratorINSA_11use_defaultEEES6_EEENSH_IJSG_SG_EEES6_PlJNSB_9not_fun_tI7is_trueItEEEEEE10hipError_tPvRmT3_T4_T5_T6_T7_T9_mT8_P12ihipStream_tbDpT10_ENKUlT_T0_E_clISt17integral_constantIbLb1EES1B_EEDaS16_S17_EUlS16_E_NS1_11comp_targetILNS1_3genE5ELNS1_11target_archE942ELNS1_3gpuE9ELNS1_3repE0EEENS1_30default_config_static_selectorELNS0_4arch9wavefront6targetE0EEEvT1_,@function
_ZN7rocprim17ROCPRIM_400000_NS6detail17trampoline_kernelINS0_14default_configENS1_25partition_config_selectorILNS1_17partition_subalgoE6EtNS0_10empty_typeEbEEZZNS1_14partition_implILS5_6ELb0ES3_mN6thrust23THRUST_200600_302600_NS6detail15normal_iteratorINSA_10device_ptrItEEEEPS6_SG_NS0_5tupleIJNSA_16discard_iteratorINSA_11use_defaultEEES6_EEENSH_IJSG_SG_EEES6_PlJNSB_9not_fun_tI7is_trueItEEEEEE10hipError_tPvRmT3_T4_T5_T6_T7_T9_mT8_P12ihipStream_tbDpT10_ENKUlT_T0_E_clISt17integral_constantIbLb1EES1B_EEDaS16_S17_EUlS16_E_NS1_11comp_targetILNS1_3genE5ELNS1_11target_archE942ELNS1_3gpuE9ELNS1_3repE0EEENS1_30default_config_static_selectorELNS0_4arch9wavefront6targetE0EEEvT1_: ; @_ZN7rocprim17ROCPRIM_400000_NS6detail17trampoline_kernelINS0_14default_configENS1_25partition_config_selectorILNS1_17partition_subalgoE6EtNS0_10empty_typeEbEEZZNS1_14partition_implILS5_6ELb0ES3_mN6thrust23THRUST_200600_302600_NS6detail15normal_iteratorINSA_10device_ptrItEEEEPS6_SG_NS0_5tupleIJNSA_16discard_iteratorINSA_11use_defaultEEES6_EEENSH_IJSG_SG_EEES6_PlJNSB_9not_fun_tI7is_trueItEEEEEE10hipError_tPvRmT3_T4_T5_T6_T7_T9_mT8_P12ihipStream_tbDpT10_ENKUlT_T0_E_clISt17integral_constantIbLb1EES1B_EEDaS16_S17_EUlS16_E_NS1_11comp_targetILNS1_3genE5ELNS1_11target_archE942ELNS1_3gpuE9ELNS1_3repE0EEENS1_30default_config_static_selectorELNS0_4arch9wavefront6targetE0EEEvT1_
; %bb.0:
	.section	.rodata,"a",@progbits
	.p2align	6, 0x0
	.amdhsa_kernel _ZN7rocprim17ROCPRIM_400000_NS6detail17trampoline_kernelINS0_14default_configENS1_25partition_config_selectorILNS1_17partition_subalgoE6EtNS0_10empty_typeEbEEZZNS1_14partition_implILS5_6ELb0ES3_mN6thrust23THRUST_200600_302600_NS6detail15normal_iteratorINSA_10device_ptrItEEEEPS6_SG_NS0_5tupleIJNSA_16discard_iteratorINSA_11use_defaultEEES6_EEENSH_IJSG_SG_EEES6_PlJNSB_9not_fun_tI7is_trueItEEEEEE10hipError_tPvRmT3_T4_T5_T6_T7_T9_mT8_P12ihipStream_tbDpT10_ENKUlT_T0_E_clISt17integral_constantIbLb1EES1B_EEDaS16_S17_EUlS16_E_NS1_11comp_targetILNS1_3genE5ELNS1_11target_archE942ELNS1_3gpuE9ELNS1_3repE0EEENS1_30default_config_static_selectorELNS0_4arch9wavefront6targetE0EEEvT1_
		.amdhsa_group_segment_fixed_size 0
		.amdhsa_private_segment_fixed_size 0
		.amdhsa_kernarg_size 136
		.amdhsa_user_sgpr_count 2
		.amdhsa_user_sgpr_dispatch_ptr 0
		.amdhsa_user_sgpr_queue_ptr 0
		.amdhsa_user_sgpr_kernarg_segment_ptr 1
		.amdhsa_user_sgpr_dispatch_id 0
		.amdhsa_user_sgpr_private_segment_size 0
		.amdhsa_wavefront_size32 1
		.amdhsa_uses_dynamic_stack 0
		.amdhsa_enable_private_segment 0
		.amdhsa_system_sgpr_workgroup_id_x 1
		.amdhsa_system_sgpr_workgroup_id_y 0
		.amdhsa_system_sgpr_workgroup_id_z 0
		.amdhsa_system_sgpr_workgroup_info 0
		.amdhsa_system_vgpr_workitem_id 0
		.amdhsa_next_free_vgpr 1
		.amdhsa_next_free_sgpr 1
		.amdhsa_reserve_vcc 0
		.amdhsa_float_round_mode_32 0
		.amdhsa_float_round_mode_16_64 0
		.amdhsa_float_denorm_mode_32 3
		.amdhsa_float_denorm_mode_16_64 3
		.amdhsa_fp16_overflow 0
		.amdhsa_workgroup_processor_mode 1
		.amdhsa_memory_ordered 1
		.amdhsa_forward_progress 1
		.amdhsa_inst_pref_size 0
		.amdhsa_round_robin_scheduling 0
		.amdhsa_exception_fp_ieee_invalid_op 0
		.amdhsa_exception_fp_denorm_src 0
		.amdhsa_exception_fp_ieee_div_zero 0
		.amdhsa_exception_fp_ieee_overflow 0
		.amdhsa_exception_fp_ieee_underflow 0
		.amdhsa_exception_fp_ieee_inexact 0
		.amdhsa_exception_int_div_zero 0
	.end_amdhsa_kernel
	.section	.text._ZN7rocprim17ROCPRIM_400000_NS6detail17trampoline_kernelINS0_14default_configENS1_25partition_config_selectorILNS1_17partition_subalgoE6EtNS0_10empty_typeEbEEZZNS1_14partition_implILS5_6ELb0ES3_mN6thrust23THRUST_200600_302600_NS6detail15normal_iteratorINSA_10device_ptrItEEEEPS6_SG_NS0_5tupleIJNSA_16discard_iteratorINSA_11use_defaultEEES6_EEENSH_IJSG_SG_EEES6_PlJNSB_9not_fun_tI7is_trueItEEEEEE10hipError_tPvRmT3_T4_T5_T6_T7_T9_mT8_P12ihipStream_tbDpT10_ENKUlT_T0_E_clISt17integral_constantIbLb1EES1B_EEDaS16_S17_EUlS16_E_NS1_11comp_targetILNS1_3genE5ELNS1_11target_archE942ELNS1_3gpuE9ELNS1_3repE0EEENS1_30default_config_static_selectorELNS0_4arch9wavefront6targetE0EEEvT1_,"axG",@progbits,_ZN7rocprim17ROCPRIM_400000_NS6detail17trampoline_kernelINS0_14default_configENS1_25partition_config_selectorILNS1_17partition_subalgoE6EtNS0_10empty_typeEbEEZZNS1_14partition_implILS5_6ELb0ES3_mN6thrust23THRUST_200600_302600_NS6detail15normal_iteratorINSA_10device_ptrItEEEEPS6_SG_NS0_5tupleIJNSA_16discard_iteratorINSA_11use_defaultEEES6_EEENSH_IJSG_SG_EEES6_PlJNSB_9not_fun_tI7is_trueItEEEEEE10hipError_tPvRmT3_T4_T5_T6_T7_T9_mT8_P12ihipStream_tbDpT10_ENKUlT_T0_E_clISt17integral_constantIbLb1EES1B_EEDaS16_S17_EUlS16_E_NS1_11comp_targetILNS1_3genE5ELNS1_11target_archE942ELNS1_3gpuE9ELNS1_3repE0EEENS1_30default_config_static_selectorELNS0_4arch9wavefront6targetE0EEEvT1_,comdat
.Lfunc_end2214:
	.size	_ZN7rocprim17ROCPRIM_400000_NS6detail17trampoline_kernelINS0_14default_configENS1_25partition_config_selectorILNS1_17partition_subalgoE6EtNS0_10empty_typeEbEEZZNS1_14partition_implILS5_6ELb0ES3_mN6thrust23THRUST_200600_302600_NS6detail15normal_iteratorINSA_10device_ptrItEEEEPS6_SG_NS0_5tupleIJNSA_16discard_iteratorINSA_11use_defaultEEES6_EEENSH_IJSG_SG_EEES6_PlJNSB_9not_fun_tI7is_trueItEEEEEE10hipError_tPvRmT3_T4_T5_T6_T7_T9_mT8_P12ihipStream_tbDpT10_ENKUlT_T0_E_clISt17integral_constantIbLb1EES1B_EEDaS16_S17_EUlS16_E_NS1_11comp_targetILNS1_3genE5ELNS1_11target_archE942ELNS1_3gpuE9ELNS1_3repE0EEENS1_30default_config_static_selectorELNS0_4arch9wavefront6targetE0EEEvT1_, .Lfunc_end2214-_ZN7rocprim17ROCPRIM_400000_NS6detail17trampoline_kernelINS0_14default_configENS1_25partition_config_selectorILNS1_17partition_subalgoE6EtNS0_10empty_typeEbEEZZNS1_14partition_implILS5_6ELb0ES3_mN6thrust23THRUST_200600_302600_NS6detail15normal_iteratorINSA_10device_ptrItEEEEPS6_SG_NS0_5tupleIJNSA_16discard_iteratorINSA_11use_defaultEEES6_EEENSH_IJSG_SG_EEES6_PlJNSB_9not_fun_tI7is_trueItEEEEEE10hipError_tPvRmT3_T4_T5_T6_T7_T9_mT8_P12ihipStream_tbDpT10_ENKUlT_T0_E_clISt17integral_constantIbLb1EES1B_EEDaS16_S17_EUlS16_E_NS1_11comp_targetILNS1_3genE5ELNS1_11target_archE942ELNS1_3gpuE9ELNS1_3repE0EEENS1_30default_config_static_selectorELNS0_4arch9wavefront6targetE0EEEvT1_
                                        ; -- End function
	.set _ZN7rocprim17ROCPRIM_400000_NS6detail17trampoline_kernelINS0_14default_configENS1_25partition_config_selectorILNS1_17partition_subalgoE6EtNS0_10empty_typeEbEEZZNS1_14partition_implILS5_6ELb0ES3_mN6thrust23THRUST_200600_302600_NS6detail15normal_iteratorINSA_10device_ptrItEEEEPS6_SG_NS0_5tupleIJNSA_16discard_iteratorINSA_11use_defaultEEES6_EEENSH_IJSG_SG_EEES6_PlJNSB_9not_fun_tI7is_trueItEEEEEE10hipError_tPvRmT3_T4_T5_T6_T7_T9_mT8_P12ihipStream_tbDpT10_ENKUlT_T0_E_clISt17integral_constantIbLb1EES1B_EEDaS16_S17_EUlS16_E_NS1_11comp_targetILNS1_3genE5ELNS1_11target_archE942ELNS1_3gpuE9ELNS1_3repE0EEENS1_30default_config_static_selectorELNS0_4arch9wavefront6targetE0EEEvT1_.num_vgpr, 0
	.set _ZN7rocprim17ROCPRIM_400000_NS6detail17trampoline_kernelINS0_14default_configENS1_25partition_config_selectorILNS1_17partition_subalgoE6EtNS0_10empty_typeEbEEZZNS1_14partition_implILS5_6ELb0ES3_mN6thrust23THRUST_200600_302600_NS6detail15normal_iteratorINSA_10device_ptrItEEEEPS6_SG_NS0_5tupleIJNSA_16discard_iteratorINSA_11use_defaultEEES6_EEENSH_IJSG_SG_EEES6_PlJNSB_9not_fun_tI7is_trueItEEEEEE10hipError_tPvRmT3_T4_T5_T6_T7_T9_mT8_P12ihipStream_tbDpT10_ENKUlT_T0_E_clISt17integral_constantIbLb1EES1B_EEDaS16_S17_EUlS16_E_NS1_11comp_targetILNS1_3genE5ELNS1_11target_archE942ELNS1_3gpuE9ELNS1_3repE0EEENS1_30default_config_static_selectorELNS0_4arch9wavefront6targetE0EEEvT1_.num_agpr, 0
	.set _ZN7rocprim17ROCPRIM_400000_NS6detail17trampoline_kernelINS0_14default_configENS1_25partition_config_selectorILNS1_17partition_subalgoE6EtNS0_10empty_typeEbEEZZNS1_14partition_implILS5_6ELb0ES3_mN6thrust23THRUST_200600_302600_NS6detail15normal_iteratorINSA_10device_ptrItEEEEPS6_SG_NS0_5tupleIJNSA_16discard_iteratorINSA_11use_defaultEEES6_EEENSH_IJSG_SG_EEES6_PlJNSB_9not_fun_tI7is_trueItEEEEEE10hipError_tPvRmT3_T4_T5_T6_T7_T9_mT8_P12ihipStream_tbDpT10_ENKUlT_T0_E_clISt17integral_constantIbLb1EES1B_EEDaS16_S17_EUlS16_E_NS1_11comp_targetILNS1_3genE5ELNS1_11target_archE942ELNS1_3gpuE9ELNS1_3repE0EEENS1_30default_config_static_selectorELNS0_4arch9wavefront6targetE0EEEvT1_.numbered_sgpr, 0
	.set _ZN7rocprim17ROCPRIM_400000_NS6detail17trampoline_kernelINS0_14default_configENS1_25partition_config_selectorILNS1_17partition_subalgoE6EtNS0_10empty_typeEbEEZZNS1_14partition_implILS5_6ELb0ES3_mN6thrust23THRUST_200600_302600_NS6detail15normal_iteratorINSA_10device_ptrItEEEEPS6_SG_NS0_5tupleIJNSA_16discard_iteratorINSA_11use_defaultEEES6_EEENSH_IJSG_SG_EEES6_PlJNSB_9not_fun_tI7is_trueItEEEEEE10hipError_tPvRmT3_T4_T5_T6_T7_T9_mT8_P12ihipStream_tbDpT10_ENKUlT_T0_E_clISt17integral_constantIbLb1EES1B_EEDaS16_S17_EUlS16_E_NS1_11comp_targetILNS1_3genE5ELNS1_11target_archE942ELNS1_3gpuE9ELNS1_3repE0EEENS1_30default_config_static_selectorELNS0_4arch9wavefront6targetE0EEEvT1_.num_named_barrier, 0
	.set _ZN7rocprim17ROCPRIM_400000_NS6detail17trampoline_kernelINS0_14default_configENS1_25partition_config_selectorILNS1_17partition_subalgoE6EtNS0_10empty_typeEbEEZZNS1_14partition_implILS5_6ELb0ES3_mN6thrust23THRUST_200600_302600_NS6detail15normal_iteratorINSA_10device_ptrItEEEEPS6_SG_NS0_5tupleIJNSA_16discard_iteratorINSA_11use_defaultEEES6_EEENSH_IJSG_SG_EEES6_PlJNSB_9not_fun_tI7is_trueItEEEEEE10hipError_tPvRmT3_T4_T5_T6_T7_T9_mT8_P12ihipStream_tbDpT10_ENKUlT_T0_E_clISt17integral_constantIbLb1EES1B_EEDaS16_S17_EUlS16_E_NS1_11comp_targetILNS1_3genE5ELNS1_11target_archE942ELNS1_3gpuE9ELNS1_3repE0EEENS1_30default_config_static_selectorELNS0_4arch9wavefront6targetE0EEEvT1_.private_seg_size, 0
	.set _ZN7rocprim17ROCPRIM_400000_NS6detail17trampoline_kernelINS0_14default_configENS1_25partition_config_selectorILNS1_17partition_subalgoE6EtNS0_10empty_typeEbEEZZNS1_14partition_implILS5_6ELb0ES3_mN6thrust23THRUST_200600_302600_NS6detail15normal_iteratorINSA_10device_ptrItEEEEPS6_SG_NS0_5tupleIJNSA_16discard_iteratorINSA_11use_defaultEEES6_EEENSH_IJSG_SG_EEES6_PlJNSB_9not_fun_tI7is_trueItEEEEEE10hipError_tPvRmT3_T4_T5_T6_T7_T9_mT8_P12ihipStream_tbDpT10_ENKUlT_T0_E_clISt17integral_constantIbLb1EES1B_EEDaS16_S17_EUlS16_E_NS1_11comp_targetILNS1_3genE5ELNS1_11target_archE942ELNS1_3gpuE9ELNS1_3repE0EEENS1_30default_config_static_selectorELNS0_4arch9wavefront6targetE0EEEvT1_.uses_vcc, 0
	.set _ZN7rocprim17ROCPRIM_400000_NS6detail17trampoline_kernelINS0_14default_configENS1_25partition_config_selectorILNS1_17partition_subalgoE6EtNS0_10empty_typeEbEEZZNS1_14partition_implILS5_6ELb0ES3_mN6thrust23THRUST_200600_302600_NS6detail15normal_iteratorINSA_10device_ptrItEEEEPS6_SG_NS0_5tupleIJNSA_16discard_iteratorINSA_11use_defaultEEES6_EEENSH_IJSG_SG_EEES6_PlJNSB_9not_fun_tI7is_trueItEEEEEE10hipError_tPvRmT3_T4_T5_T6_T7_T9_mT8_P12ihipStream_tbDpT10_ENKUlT_T0_E_clISt17integral_constantIbLb1EES1B_EEDaS16_S17_EUlS16_E_NS1_11comp_targetILNS1_3genE5ELNS1_11target_archE942ELNS1_3gpuE9ELNS1_3repE0EEENS1_30default_config_static_selectorELNS0_4arch9wavefront6targetE0EEEvT1_.uses_flat_scratch, 0
	.set _ZN7rocprim17ROCPRIM_400000_NS6detail17trampoline_kernelINS0_14default_configENS1_25partition_config_selectorILNS1_17partition_subalgoE6EtNS0_10empty_typeEbEEZZNS1_14partition_implILS5_6ELb0ES3_mN6thrust23THRUST_200600_302600_NS6detail15normal_iteratorINSA_10device_ptrItEEEEPS6_SG_NS0_5tupleIJNSA_16discard_iteratorINSA_11use_defaultEEES6_EEENSH_IJSG_SG_EEES6_PlJNSB_9not_fun_tI7is_trueItEEEEEE10hipError_tPvRmT3_T4_T5_T6_T7_T9_mT8_P12ihipStream_tbDpT10_ENKUlT_T0_E_clISt17integral_constantIbLb1EES1B_EEDaS16_S17_EUlS16_E_NS1_11comp_targetILNS1_3genE5ELNS1_11target_archE942ELNS1_3gpuE9ELNS1_3repE0EEENS1_30default_config_static_selectorELNS0_4arch9wavefront6targetE0EEEvT1_.has_dyn_sized_stack, 0
	.set _ZN7rocprim17ROCPRIM_400000_NS6detail17trampoline_kernelINS0_14default_configENS1_25partition_config_selectorILNS1_17partition_subalgoE6EtNS0_10empty_typeEbEEZZNS1_14partition_implILS5_6ELb0ES3_mN6thrust23THRUST_200600_302600_NS6detail15normal_iteratorINSA_10device_ptrItEEEEPS6_SG_NS0_5tupleIJNSA_16discard_iteratorINSA_11use_defaultEEES6_EEENSH_IJSG_SG_EEES6_PlJNSB_9not_fun_tI7is_trueItEEEEEE10hipError_tPvRmT3_T4_T5_T6_T7_T9_mT8_P12ihipStream_tbDpT10_ENKUlT_T0_E_clISt17integral_constantIbLb1EES1B_EEDaS16_S17_EUlS16_E_NS1_11comp_targetILNS1_3genE5ELNS1_11target_archE942ELNS1_3gpuE9ELNS1_3repE0EEENS1_30default_config_static_selectorELNS0_4arch9wavefront6targetE0EEEvT1_.has_recursion, 0
	.set _ZN7rocprim17ROCPRIM_400000_NS6detail17trampoline_kernelINS0_14default_configENS1_25partition_config_selectorILNS1_17partition_subalgoE6EtNS0_10empty_typeEbEEZZNS1_14partition_implILS5_6ELb0ES3_mN6thrust23THRUST_200600_302600_NS6detail15normal_iteratorINSA_10device_ptrItEEEEPS6_SG_NS0_5tupleIJNSA_16discard_iteratorINSA_11use_defaultEEES6_EEENSH_IJSG_SG_EEES6_PlJNSB_9not_fun_tI7is_trueItEEEEEE10hipError_tPvRmT3_T4_T5_T6_T7_T9_mT8_P12ihipStream_tbDpT10_ENKUlT_T0_E_clISt17integral_constantIbLb1EES1B_EEDaS16_S17_EUlS16_E_NS1_11comp_targetILNS1_3genE5ELNS1_11target_archE942ELNS1_3gpuE9ELNS1_3repE0EEENS1_30default_config_static_selectorELNS0_4arch9wavefront6targetE0EEEvT1_.has_indirect_call, 0
	.section	.AMDGPU.csdata,"",@progbits
; Kernel info:
; codeLenInByte = 0
; TotalNumSgprs: 0
; NumVgprs: 0
; ScratchSize: 0
; MemoryBound: 0
; FloatMode: 240
; IeeeMode: 1
; LDSByteSize: 0 bytes/workgroup (compile time only)
; SGPRBlocks: 0
; VGPRBlocks: 0
; NumSGPRsForWavesPerEU: 1
; NumVGPRsForWavesPerEU: 1
; Occupancy: 16
; WaveLimiterHint : 0
; COMPUTE_PGM_RSRC2:SCRATCH_EN: 0
; COMPUTE_PGM_RSRC2:USER_SGPR: 2
; COMPUTE_PGM_RSRC2:TRAP_HANDLER: 0
; COMPUTE_PGM_RSRC2:TGID_X_EN: 1
; COMPUTE_PGM_RSRC2:TGID_Y_EN: 0
; COMPUTE_PGM_RSRC2:TGID_Z_EN: 0
; COMPUTE_PGM_RSRC2:TIDIG_COMP_CNT: 0
	.section	.text._ZN7rocprim17ROCPRIM_400000_NS6detail17trampoline_kernelINS0_14default_configENS1_25partition_config_selectorILNS1_17partition_subalgoE6EtNS0_10empty_typeEbEEZZNS1_14partition_implILS5_6ELb0ES3_mN6thrust23THRUST_200600_302600_NS6detail15normal_iteratorINSA_10device_ptrItEEEEPS6_SG_NS0_5tupleIJNSA_16discard_iteratorINSA_11use_defaultEEES6_EEENSH_IJSG_SG_EEES6_PlJNSB_9not_fun_tI7is_trueItEEEEEE10hipError_tPvRmT3_T4_T5_T6_T7_T9_mT8_P12ihipStream_tbDpT10_ENKUlT_T0_E_clISt17integral_constantIbLb1EES1B_EEDaS16_S17_EUlS16_E_NS1_11comp_targetILNS1_3genE4ELNS1_11target_archE910ELNS1_3gpuE8ELNS1_3repE0EEENS1_30default_config_static_selectorELNS0_4arch9wavefront6targetE0EEEvT1_,"axG",@progbits,_ZN7rocprim17ROCPRIM_400000_NS6detail17trampoline_kernelINS0_14default_configENS1_25partition_config_selectorILNS1_17partition_subalgoE6EtNS0_10empty_typeEbEEZZNS1_14partition_implILS5_6ELb0ES3_mN6thrust23THRUST_200600_302600_NS6detail15normal_iteratorINSA_10device_ptrItEEEEPS6_SG_NS0_5tupleIJNSA_16discard_iteratorINSA_11use_defaultEEES6_EEENSH_IJSG_SG_EEES6_PlJNSB_9not_fun_tI7is_trueItEEEEEE10hipError_tPvRmT3_T4_T5_T6_T7_T9_mT8_P12ihipStream_tbDpT10_ENKUlT_T0_E_clISt17integral_constantIbLb1EES1B_EEDaS16_S17_EUlS16_E_NS1_11comp_targetILNS1_3genE4ELNS1_11target_archE910ELNS1_3gpuE8ELNS1_3repE0EEENS1_30default_config_static_selectorELNS0_4arch9wavefront6targetE0EEEvT1_,comdat
	.protected	_ZN7rocprim17ROCPRIM_400000_NS6detail17trampoline_kernelINS0_14default_configENS1_25partition_config_selectorILNS1_17partition_subalgoE6EtNS0_10empty_typeEbEEZZNS1_14partition_implILS5_6ELb0ES3_mN6thrust23THRUST_200600_302600_NS6detail15normal_iteratorINSA_10device_ptrItEEEEPS6_SG_NS0_5tupleIJNSA_16discard_iteratorINSA_11use_defaultEEES6_EEENSH_IJSG_SG_EEES6_PlJNSB_9not_fun_tI7is_trueItEEEEEE10hipError_tPvRmT3_T4_T5_T6_T7_T9_mT8_P12ihipStream_tbDpT10_ENKUlT_T0_E_clISt17integral_constantIbLb1EES1B_EEDaS16_S17_EUlS16_E_NS1_11comp_targetILNS1_3genE4ELNS1_11target_archE910ELNS1_3gpuE8ELNS1_3repE0EEENS1_30default_config_static_selectorELNS0_4arch9wavefront6targetE0EEEvT1_ ; -- Begin function _ZN7rocprim17ROCPRIM_400000_NS6detail17trampoline_kernelINS0_14default_configENS1_25partition_config_selectorILNS1_17partition_subalgoE6EtNS0_10empty_typeEbEEZZNS1_14partition_implILS5_6ELb0ES3_mN6thrust23THRUST_200600_302600_NS6detail15normal_iteratorINSA_10device_ptrItEEEEPS6_SG_NS0_5tupleIJNSA_16discard_iteratorINSA_11use_defaultEEES6_EEENSH_IJSG_SG_EEES6_PlJNSB_9not_fun_tI7is_trueItEEEEEE10hipError_tPvRmT3_T4_T5_T6_T7_T9_mT8_P12ihipStream_tbDpT10_ENKUlT_T0_E_clISt17integral_constantIbLb1EES1B_EEDaS16_S17_EUlS16_E_NS1_11comp_targetILNS1_3genE4ELNS1_11target_archE910ELNS1_3gpuE8ELNS1_3repE0EEENS1_30default_config_static_selectorELNS0_4arch9wavefront6targetE0EEEvT1_
	.globl	_ZN7rocprim17ROCPRIM_400000_NS6detail17trampoline_kernelINS0_14default_configENS1_25partition_config_selectorILNS1_17partition_subalgoE6EtNS0_10empty_typeEbEEZZNS1_14partition_implILS5_6ELb0ES3_mN6thrust23THRUST_200600_302600_NS6detail15normal_iteratorINSA_10device_ptrItEEEEPS6_SG_NS0_5tupleIJNSA_16discard_iteratorINSA_11use_defaultEEES6_EEENSH_IJSG_SG_EEES6_PlJNSB_9not_fun_tI7is_trueItEEEEEE10hipError_tPvRmT3_T4_T5_T6_T7_T9_mT8_P12ihipStream_tbDpT10_ENKUlT_T0_E_clISt17integral_constantIbLb1EES1B_EEDaS16_S17_EUlS16_E_NS1_11comp_targetILNS1_3genE4ELNS1_11target_archE910ELNS1_3gpuE8ELNS1_3repE0EEENS1_30default_config_static_selectorELNS0_4arch9wavefront6targetE0EEEvT1_
	.p2align	8
	.type	_ZN7rocprim17ROCPRIM_400000_NS6detail17trampoline_kernelINS0_14default_configENS1_25partition_config_selectorILNS1_17partition_subalgoE6EtNS0_10empty_typeEbEEZZNS1_14partition_implILS5_6ELb0ES3_mN6thrust23THRUST_200600_302600_NS6detail15normal_iteratorINSA_10device_ptrItEEEEPS6_SG_NS0_5tupleIJNSA_16discard_iteratorINSA_11use_defaultEEES6_EEENSH_IJSG_SG_EEES6_PlJNSB_9not_fun_tI7is_trueItEEEEEE10hipError_tPvRmT3_T4_T5_T6_T7_T9_mT8_P12ihipStream_tbDpT10_ENKUlT_T0_E_clISt17integral_constantIbLb1EES1B_EEDaS16_S17_EUlS16_E_NS1_11comp_targetILNS1_3genE4ELNS1_11target_archE910ELNS1_3gpuE8ELNS1_3repE0EEENS1_30default_config_static_selectorELNS0_4arch9wavefront6targetE0EEEvT1_,@function
_ZN7rocprim17ROCPRIM_400000_NS6detail17trampoline_kernelINS0_14default_configENS1_25partition_config_selectorILNS1_17partition_subalgoE6EtNS0_10empty_typeEbEEZZNS1_14partition_implILS5_6ELb0ES3_mN6thrust23THRUST_200600_302600_NS6detail15normal_iteratorINSA_10device_ptrItEEEEPS6_SG_NS0_5tupleIJNSA_16discard_iteratorINSA_11use_defaultEEES6_EEENSH_IJSG_SG_EEES6_PlJNSB_9not_fun_tI7is_trueItEEEEEE10hipError_tPvRmT3_T4_T5_T6_T7_T9_mT8_P12ihipStream_tbDpT10_ENKUlT_T0_E_clISt17integral_constantIbLb1EES1B_EEDaS16_S17_EUlS16_E_NS1_11comp_targetILNS1_3genE4ELNS1_11target_archE910ELNS1_3gpuE8ELNS1_3repE0EEENS1_30default_config_static_selectorELNS0_4arch9wavefront6targetE0EEEvT1_: ; @_ZN7rocprim17ROCPRIM_400000_NS6detail17trampoline_kernelINS0_14default_configENS1_25partition_config_selectorILNS1_17partition_subalgoE6EtNS0_10empty_typeEbEEZZNS1_14partition_implILS5_6ELb0ES3_mN6thrust23THRUST_200600_302600_NS6detail15normal_iteratorINSA_10device_ptrItEEEEPS6_SG_NS0_5tupleIJNSA_16discard_iteratorINSA_11use_defaultEEES6_EEENSH_IJSG_SG_EEES6_PlJNSB_9not_fun_tI7is_trueItEEEEEE10hipError_tPvRmT3_T4_T5_T6_T7_T9_mT8_P12ihipStream_tbDpT10_ENKUlT_T0_E_clISt17integral_constantIbLb1EES1B_EEDaS16_S17_EUlS16_E_NS1_11comp_targetILNS1_3genE4ELNS1_11target_archE910ELNS1_3gpuE8ELNS1_3repE0EEENS1_30default_config_static_selectorELNS0_4arch9wavefront6targetE0EEEvT1_
; %bb.0:
	.section	.rodata,"a",@progbits
	.p2align	6, 0x0
	.amdhsa_kernel _ZN7rocprim17ROCPRIM_400000_NS6detail17trampoline_kernelINS0_14default_configENS1_25partition_config_selectorILNS1_17partition_subalgoE6EtNS0_10empty_typeEbEEZZNS1_14partition_implILS5_6ELb0ES3_mN6thrust23THRUST_200600_302600_NS6detail15normal_iteratorINSA_10device_ptrItEEEEPS6_SG_NS0_5tupleIJNSA_16discard_iteratorINSA_11use_defaultEEES6_EEENSH_IJSG_SG_EEES6_PlJNSB_9not_fun_tI7is_trueItEEEEEE10hipError_tPvRmT3_T4_T5_T6_T7_T9_mT8_P12ihipStream_tbDpT10_ENKUlT_T0_E_clISt17integral_constantIbLb1EES1B_EEDaS16_S17_EUlS16_E_NS1_11comp_targetILNS1_3genE4ELNS1_11target_archE910ELNS1_3gpuE8ELNS1_3repE0EEENS1_30default_config_static_selectorELNS0_4arch9wavefront6targetE0EEEvT1_
		.amdhsa_group_segment_fixed_size 0
		.amdhsa_private_segment_fixed_size 0
		.amdhsa_kernarg_size 136
		.amdhsa_user_sgpr_count 2
		.amdhsa_user_sgpr_dispatch_ptr 0
		.amdhsa_user_sgpr_queue_ptr 0
		.amdhsa_user_sgpr_kernarg_segment_ptr 1
		.amdhsa_user_sgpr_dispatch_id 0
		.amdhsa_user_sgpr_private_segment_size 0
		.amdhsa_wavefront_size32 1
		.amdhsa_uses_dynamic_stack 0
		.amdhsa_enable_private_segment 0
		.amdhsa_system_sgpr_workgroup_id_x 1
		.amdhsa_system_sgpr_workgroup_id_y 0
		.amdhsa_system_sgpr_workgroup_id_z 0
		.amdhsa_system_sgpr_workgroup_info 0
		.amdhsa_system_vgpr_workitem_id 0
		.amdhsa_next_free_vgpr 1
		.amdhsa_next_free_sgpr 1
		.amdhsa_reserve_vcc 0
		.amdhsa_float_round_mode_32 0
		.amdhsa_float_round_mode_16_64 0
		.amdhsa_float_denorm_mode_32 3
		.amdhsa_float_denorm_mode_16_64 3
		.amdhsa_fp16_overflow 0
		.amdhsa_workgroup_processor_mode 1
		.amdhsa_memory_ordered 1
		.amdhsa_forward_progress 1
		.amdhsa_inst_pref_size 0
		.amdhsa_round_robin_scheduling 0
		.amdhsa_exception_fp_ieee_invalid_op 0
		.amdhsa_exception_fp_denorm_src 0
		.amdhsa_exception_fp_ieee_div_zero 0
		.amdhsa_exception_fp_ieee_overflow 0
		.amdhsa_exception_fp_ieee_underflow 0
		.amdhsa_exception_fp_ieee_inexact 0
		.amdhsa_exception_int_div_zero 0
	.end_amdhsa_kernel
	.section	.text._ZN7rocprim17ROCPRIM_400000_NS6detail17trampoline_kernelINS0_14default_configENS1_25partition_config_selectorILNS1_17partition_subalgoE6EtNS0_10empty_typeEbEEZZNS1_14partition_implILS5_6ELb0ES3_mN6thrust23THRUST_200600_302600_NS6detail15normal_iteratorINSA_10device_ptrItEEEEPS6_SG_NS0_5tupleIJNSA_16discard_iteratorINSA_11use_defaultEEES6_EEENSH_IJSG_SG_EEES6_PlJNSB_9not_fun_tI7is_trueItEEEEEE10hipError_tPvRmT3_T4_T5_T6_T7_T9_mT8_P12ihipStream_tbDpT10_ENKUlT_T0_E_clISt17integral_constantIbLb1EES1B_EEDaS16_S17_EUlS16_E_NS1_11comp_targetILNS1_3genE4ELNS1_11target_archE910ELNS1_3gpuE8ELNS1_3repE0EEENS1_30default_config_static_selectorELNS0_4arch9wavefront6targetE0EEEvT1_,"axG",@progbits,_ZN7rocprim17ROCPRIM_400000_NS6detail17trampoline_kernelINS0_14default_configENS1_25partition_config_selectorILNS1_17partition_subalgoE6EtNS0_10empty_typeEbEEZZNS1_14partition_implILS5_6ELb0ES3_mN6thrust23THRUST_200600_302600_NS6detail15normal_iteratorINSA_10device_ptrItEEEEPS6_SG_NS0_5tupleIJNSA_16discard_iteratorINSA_11use_defaultEEES6_EEENSH_IJSG_SG_EEES6_PlJNSB_9not_fun_tI7is_trueItEEEEEE10hipError_tPvRmT3_T4_T5_T6_T7_T9_mT8_P12ihipStream_tbDpT10_ENKUlT_T0_E_clISt17integral_constantIbLb1EES1B_EEDaS16_S17_EUlS16_E_NS1_11comp_targetILNS1_3genE4ELNS1_11target_archE910ELNS1_3gpuE8ELNS1_3repE0EEENS1_30default_config_static_selectorELNS0_4arch9wavefront6targetE0EEEvT1_,comdat
.Lfunc_end2215:
	.size	_ZN7rocprim17ROCPRIM_400000_NS6detail17trampoline_kernelINS0_14default_configENS1_25partition_config_selectorILNS1_17partition_subalgoE6EtNS0_10empty_typeEbEEZZNS1_14partition_implILS5_6ELb0ES3_mN6thrust23THRUST_200600_302600_NS6detail15normal_iteratorINSA_10device_ptrItEEEEPS6_SG_NS0_5tupleIJNSA_16discard_iteratorINSA_11use_defaultEEES6_EEENSH_IJSG_SG_EEES6_PlJNSB_9not_fun_tI7is_trueItEEEEEE10hipError_tPvRmT3_T4_T5_T6_T7_T9_mT8_P12ihipStream_tbDpT10_ENKUlT_T0_E_clISt17integral_constantIbLb1EES1B_EEDaS16_S17_EUlS16_E_NS1_11comp_targetILNS1_3genE4ELNS1_11target_archE910ELNS1_3gpuE8ELNS1_3repE0EEENS1_30default_config_static_selectorELNS0_4arch9wavefront6targetE0EEEvT1_, .Lfunc_end2215-_ZN7rocprim17ROCPRIM_400000_NS6detail17trampoline_kernelINS0_14default_configENS1_25partition_config_selectorILNS1_17partition_subalgoE6EtNS0_10empty_typeEbEEZZNS1_14partition_implILS5_6ELb0ES3_mN6thrust23THRUST_200600_302600_NS6detail15normal_iteratorINSA_10device_ptrItEEEEPS6_SG_NS0_5tupleIJNSA_16discard_iteratorINSA_11use_defaultEEES6_EEENSH_IJSG_SG_EEES6_PlJNSB_9not_fun_tI7is_trueItEEEEEE10hipError_tPvRmT3_T4_T5_T6_T7_T9_mT8_P12ihipStream_tbDpT10_ENKUlT_T0_E_clISt17integral_constantIbLb1EES1B_EEDaS16_S17_EUlS16_E_NS1_11comp_targetILNS1_3genE4ELNS1_11target_archE910ELNS1_3gpuE8ELNS1_3repE0EEENS1_30default_config_static_selectorELNS0_4arch9wavefront6targetE0EEEvT1_
                                        ; -- End function
	.set _ZN7rocprim17ROCPRIM_400000_NS6detail17trampoline_kernelINS0_14default_configENS1_25partition_config_selectorILNS1_17partition_subalgoE6EtNS0_10empty_typeEbEEZZNS1_14partition_implILS5_6ELb0ES3_mN6thrust23THRUST_200600_302600_NS6detail15normal_iteratorINSA_10device_ptrItEEEEPS6_SG_NS0_5tupleIJNSA_16discard_iteratorINSA_11use_defaultEEES6_EEENSH_IJSG_SG_EEES6_PlJNSB_9not_fun_tI7is_trueItEEEEEE10hipError_tPvRmT3_T4_T5_T6_T7_T9_mT8_P12ihipStream_tbDpT10_ENKUlT_T0_E_clISt17integral_constantIbLb1EES1B_EEDaS16_S17_EUlS16_E_NS1_11comp_targetILNS1_3genE4ELNS1_11target_archE910ELNS1_3gpuE8ELNS1_3repE0EEENS1_30default_config_static_selectorELNS0_4arch9wavefront6targetE0EEEvT1_.num_vgpr, 0
	.set _ZN7rocprim17ROCPRIM_400000_NS6detail17trampoline_kernelINS0_14default_configENS1_25partition_config_selectorILNS1_17partition_subalgoE6EtNS0_10empty_typeEbEEZZNS1_14partition_implILS5_6ELb0ES3_mN6thrust23THRUST_200600_302600_NS6detail15normal_iteratorINSA_10device_ptrItEEEEPS6_SG_NS0_5tupleIJNSA_16discard_iteratorINSA_11use_defaultEEES6_EEENSH_IJSG_SG_EEES6_PlJNSB_9not_fun_tI7is_trueItEEEEEE10hipError_tPvRmT3_T4_T5_T6_T7_T9_mT8_P12ihipStream_tbDpT10_ENKUlT_T0_E_clISt17integral_constantIbLb1EES1B_EEDaS16_S17_EUlS16_E_NS1_11comp_targetILNS1_3genE4ELNS1_11target_archE910ELNS1_3gpuE8ELNS1_3repE0EEENS1_30default_config_static_selectorELNS0_4arch9wavefront6targetE0EEEvT1_.num_agpr, 0
	.set _ZN7rocprim17ROCPRIM_400000_NS6detail17trampoline_kernelINS0_14default_configENS1_25partition_config_selectorILNS1_17partition_subalgoE6EtNS0_10empty_typeEbEEZZNS1_14partition_implILS5_6ELb0ES3_mN6thrust23THRUST_200600_302600_NS6detail15normal_iteratorINSA_10device_ptrItEEEEPS6_SG_NS0_5tupleIJNSA_16discard_iteratorINSA_11use_defaultEEES6_EEENSH_IJSG_SG_EEES6_PlJNSB_9not_fun_tI7is_trueItEEEEEE10hipError_tPvRmT3_T4_T5_T6_T7_T9_mT8_P12ihipStream_tbDpT10_ENKUlT_T0_E_clISt17integral_constantIbLb1EES1B_EEDaS16_S17_EUlS16_E_NS1_11comp_targetILNS1_3genE4ELNS1_11target_archE910ELNS1_3gpuE8ELNS1_3repE0EEENS1_30default_config_static_selectorELNS0_4arch9wavefront6targetE0EEEvT1_.numbered_sgpr, 0
	.set _ZN7rocprim17ROCPRIM_400000_NS6detail17trampoline_kernelINS0_14default_configENS1_25partition_config_selectorILNS1_17partition_subalgoE6EtNS0_10empty_typeEbEEZZNS1_14partition_implILS5_6ELb0ES3_mN6thrust23THRUST_200600_302600_NS6detail15normal_iteratorINSA_10device_ptrItEEEEPS6_SG_NS0_5tupleIJNSA_16discard_iteratorINSA_11use_defaultEEES6_EEENSH_IJSG_SG_EEES6_PlJNSB_9not_fun_tI7is_trueItEEEEEE10hipError_tPvRmT3_T4_T5_T6_T7_T9_mT8_P12ihipStream_tbDpT10_ENKUlT_T0_E_clISt17integral_constantIbLb1EES1B_EEDaS16_S17_EUlS16_E_NS1_11comp_targetILNS1_3genE4ELNS1_11target_archE910ELNS1_3gpuE8ELNS1_3repE0EEENS1_30default_config_static_selectorELNS0_4arch9wavefront6targetE0EEEvT1_.num_named_barrier, 0
	.set _ZN7rocprim17ROCPRIM_400000_NS6detail17trampoline_kernelINS0_14default_configENS1_25partition_config_selectorILNS1_17partition_subalgoE6EtNS0_10empty_typeEbEEZZNS1_14partition_implILS5_6ELb0ES3_mN6thrust23THRUST_200600_302600_NS6detail15normal_iteratorINSA_10device_ptrItEEEEPS6_SG_NS0_5tupleIJNSA_16discard_iteratorINSA_11use_defaultEEES6_EEENSH_IJSG_SG_EEES6_PlJNSB_9not_fun_tI7is_trueItEEEEEE10hipError_tPvRmT3_T4_T5_T6_T7_T9_mT8_P12ihipStream_tbDpT10_ENKUlT_T0_E_clISt17integral_constantIbLb1EES1B_EEDaS16_S17_EUlS16_E_NS1_11comp_targetILNS1_3genE4ELNS1_11target_archE910ELNS1_3gpuE8ELNS1_3repE0EEENS1_30default_config_static_selectorELNS0_4arch9wavefront6targetE0EEEvT1_.private_seg_size, 0
	.set _ZN7rocprim17ROCPRIM_400000_NS6detail17trampoline_kernelINS0_14default_configENS1_25partition_config_selectorILNS1_17partition_subalgoE6EtNS0_10empty_typeEbEEZZNS1_14partition_implILS5_6ELb0ES3_mN6thrust23THRUST_200600_302600_NS6detail15normal_iteratorINSA_10device_ptrItEEEEPS6_SG_NS0_5tupleIJNSA_16discard_iteratorINSA_11use_defaultEEES6_EEENSH_IJSG_SG_EEES6_PlJNSB_9not_fun_tI7is_trueItEEEEEE10hipError_tPvRmT3_T4_T5_T6_T7_T9_mT8_P12ihipStream_tbDpT10_ENKUlT_T0_E_clISt17integral_constantIbLb1EES1B_EEDaS16_S17_EUlS16_E_NS1_11comp_targetILNS1_3genE4ELNS1_11target_archE910ELNS1_3gpuE8ELNS1_3repE0EEENS1_30default_config_static_selectorELNS0_4arch9wavefront6targetE0EEEvT1_.uses_vcc, 0
	.set _ZN7rocprim17ROCPRIM_400000_NS6detail17trampoline_kernelINS0_14default_configENS1_25partition_config_selectorILNS1_17partition_subalgoE6EtNS0_10empty_typeEbEEZZNS1_14partition_implILS5_6ELb0ES3_mN6thrust23THRUST_200600_302600_NS6detail15normal_iteratorINSA_10device_ptrItEEEEPS6_SG_NS0_5tupleIJNSA_16discard_iteratorINSA_11use_defaultEEES6_EEENSH_IJSG_SG_EEES6_PlJNSB_9not_fun_tI7is_trueItEEEEEE10hipError_tPvRmT3_T4_T5_T6_T7_T9_mT8_P12ihipStream_tbDpT10_ENKUlT_T0_E_clISt17integral_constantIbLb1EES1B_EEDaS16_S17_EUlS16_E_NS1_11comp_targetILNS1_3genE4ELNS1_11target_archE910ELNS1_3gpuE8ELNS1_3repE0EEENS1_30default_config_static_selectorELNS0_4arch9wavefront6targetE0EEEvT1_.uses_flat_scratch, 0
	.set _ZN7rocprim17ROCPRIM_400000_NS6detail17trampoline_kernelINS0_14default_configENS1_25partition_config_selectorILNS1_17partition_subalgoE6EtNS0_10empty_typeEbEEZZNS1_14partition_implILS5_6ELb0ES3_mN6thrust23THRUST_200600_302600_NS6detail15normal_iteratorINSA_10device_ptrItEEEEPS6_SG_NS0_5tupleIJNSA_16discard_iteratorINSA_11use_defaultEEES6_EEENSH_IJSG_SG_EEES6_PlJNSB_9not_fun_tI7is_trueItEEEEEE10hipError_tPvRmT3_T4_T5_T6_T7_T9_mT8_P12ihipStream_tbDpT10_ENKUlT_T0_E_clISt17integral_constantIbLb1EES1B_EEDaS16_S17_EUlS16_E_NS1_11comp_targetILNS1_3genE4ELNS1_11target_archE910ELNS1_3gpuE8ELNS1_3repE0EEENS1_30default_config_static_selectorELNS0_4arch9wavefront6targetE0EEEvT1_.has_dyn_sized_stack, 0
	.set _ZN7rocprim17ROCPRIM_400000_NS6detail17trampoline_kernelINS0_14default_configENS1_25partition_config_selectorILNS1_17partition_subalgoE6EtNS0_10empty_typeEbEEZZNS1_14partition_implILS5_6ELb0ES3_mN6thrust23THRUST_200600_302600_NS6detail15normal_iteratorINSA_10device_ptrItEEEEPS6_SG_NS0_5tupleIJNSA_16discard_iteratorINSA_11use_defaultEEES6_EEENSH_IJSG_SG_EEES6_PlJNSB_9not_fun_tI7is_trueItEEEEEE10hipError_tPvRmT3_T4_T5_T6_T7_T9_mT8_P12ihipStream_tbDpT10_ENKUlT_T0_E_clISt17integral_constantIbLb1EES1B_EEDaS16_S17_EUlS16_E_NS1_11comp_targetILNS1_3genE4ELNS1_11target_archE910ELNS1_3gpuE8ELNS1_3repE0EEENS1_30default_config_static_selectorELNS0_4arch9wavefront6targetE0EEEvT1_.has_recursion, 0
	.set _ZN7rocprim17ROCPRIM_400000_NS6detail17trampoline_kernelINS0_14default_configENS1_25partition_config_selectorILNS1_17partition_subalgoE6EtNS0_10empty_typeEbEEZZNS1_14partition_implILS5_6ELb0ES3_mN6thrust23THRUST_200600_302600_NS6detail15normal_iteratorINSA_10device_ptrItEEEEPS6_SG_NS0_5tupleIJNSA_16discard_iteratorINSA_11use_defaultEEES6_EEENSH_IJSG_SG_EEES6_PlJNSB_9not_fun_tI7is_trueItEEEEEE10hipError_tPvRmT3_T4_T5_T6_T7_T9_mT8_P12ihipStream_tbDpT10_ENKUlT_T0_E_clISt17integral_constantIbLb1EES1B_EEDaS16_S17_EUlS16_E_NS1_11comp_targetILNS1_3genE4ELNS1_11target_archE910ELNS1_3gpuE8ELNS1_3repE0EEENS1_30default_config_static_selectorELNS0_4arch9wavefront6targetE0EEEvT1_.has_indirect_call, 0
	.section	.AMDGPU.csdata,"",@progbits
; Kernel info:
; codeLenInByte = 0
; TotalNumSgprs: 0
; NumVgprs: 0
; ScratchSize: 0
; MemoryBound: 0
; FloatMode: 240
; IeeeMode: 1
; LDSByteSize: 0 bytes/workgroup (compile time only)
; SGPRBlocks: 0
; VGPRBlocks: 0
; NumSGPRsForWavesPerEU: 1
; NumVGPRsForWavesPerEU: 1
; Occupancy: 16
; WaveLimiterHint : 0
; COMPUTE_PGM_RSRC2:SCRATCH_EN: 0
; COMPUTE_PGM_RSRC2:USER_SGPR: 2
; COMPUTE_PGM_RSRC2:TRAP_HANDLER: 0
; COMPUTE_PGM_RSRC2:TGID_X_EN: 1
; COMPUTE_PGM_RSRC2:TGID_Y_EN: 0
; COMPUTE_PGM_RSRC2:TGID_Z_EN: 0
; COMPUTE_PGM_RSRC2:TIDIG_COMP_CNT: 0
	.section	.text._ZN7rocprim17ROCPRIM_400000_NS6detail17trampoline_kernelINS0_14default_configENS1_25partition_config_selectorILNS1_17partition_subalgoE6EtNS0_10empty_typeEbEEZZNS1_14partition_implILS5_6ELb0ES3_mN6thrust23THRUST_200600_302600_NS6detail15normal_iteratorINSA_10device_ptrItEEEEPS6_SG_NS0_5tupleIJNSA_16discard_iteratorINSA_11use_defaultEEES6_EEENSH_IJSG_SG_EEES6_PlJNSB_9not_fun_tI7is_trueItEEEEEE10hipError_tPvRmT3_T4_T5_T6_T7_T9_mT8_P12ihipStream_tbDpT10_ENKUlT_T0_E_clISt17integral_constantIbLb1EES1B_EEDaS16_S17_EUlS16_E_NS1_11comp_targetILNS1_3genE3ELNS1_11target_archE908ELNS1_3gpuE7ELNS1_3repE0EEENS1_30default_config_static_selectorELNS0_4arch9wavefront6targetE0EEEvT1_,"axG",@progbits,_ZN7rocprim17ROCPRIM_400000_NS6detail17trampoline_kernelINS0_14default_configENS1_25partition_config_selectorILNS1_17partition_subalgoE6EtNS0_10empty_typeEbEEZZNS1_14partition_implILS5_6ELb0ES3_mN6thrust23THRUST_200600_302600_NS6detail15normal_iteratorINSA_10device_ptrItEEEEPS6_SG_NS0_5tupleIJNSA_16discard_iteratorINSA_11use_defaultEEES6_EEENSH_IJSG_SG_EEES6_PlJNSB_9not_fun_tI7is_trueItEEEEEE10hipError_tPvRmT3_T4_T5_T6_T7_T9_mT8_P12ihipStream_tbDpT10_ENKUlT_T0_E_clISt17integral_constantIbLb1EES1B_EEDaS16_S17_EUlS16_E_NS1_11comp_targetILNS1_3genE3ELNS1_11target_archE908ELNS1_3gpuE7ELNS1_3repE0EEENS1_30default_config_static_selectorELNS0_4arch9wavefront6targetE0EEEvT1_,comdat
	.protected	_ZN7rocprim17ROCPRIM_400000_NS6detail17trampoline_kernelINS0_14default_configENS1_25partition_config_selectorILNS1_17partition_subalgoE6EtNS0_10empty_typeEbEEZZNS1_14partition_implILS5_6ELb0ES3_mN6thrust23THRUST_200600_302600_NS6detail15normal_iteratorINSA_10device_ptrItEEEEPS6_SG_NS0_5tupleIJNSA_16discard_iteratorINSA_11use_defaultEEES6_EEENSH_IJSG_SG_EEES6_PlJNSB_9not_fun_tI7is_trueItEEEEEE10hipError_tPvRmT3_T4_T5_T6_T7_T9_mT8_P12ihipStream_tbDpT10_ENKUlT_T0_E_clISt17integral_constantIbLb1EES1B_EEDaS16_S17_EUlS16_E_NS1_11comp_targetILNS1_3genE3ELNS1_11target_archE908ELNS1_3gpuE7ELNS1_3repE0EEENS1_30default_config_static_selectorELNS0_4arch9wavefront6targetE0EEEvT1_ ; -- Begin function _ZN7rocprim17ROCPRIM_400000_NS6detail17trampoline_kernelINS0_14default_configENS1_25partition_config_selectorILNS1_17partition_subalgoE6EtNS0_10empty_typeEbEEZZNS1_14partition_implILS5_6ELb0ES3_mN6thrust23THRUST_200600_302600_NS6detail15normal_iteratorINSA_10device_ptrItEEEEPS6_SG_NS0_5tupleIJNSA_16discard_iteratorINSA_11use_defaultEEES6_EEENSH_IJSG_SG_EEES6_PlJNSB_9not_fun_tI7is_trueItEEEEEE10hipError_tPvRmT3_T4_T5_T6_T7_T9_mT8_P12ihipStream_tbDpT10_ENKUlT_T0_E_clISt17integral_constantIbLb1EES1B_EEDaS16_S17_EUlS16_E_NS1_11comp_targetILNS1_3genE3ELNS1_11target_archE908ELNS1_3gpuE7ELNS1_3repE0EEENS1_30default_config_static_selectorELNS0_4arch9wavefront6targetE0EEEvT1_
	.globl	_ZN7rocprim17ROCPRIM_400000_NS6detail17trampoline_kernelINS0_14default_configENS1_25partition_config_selectorILNS1_17partition_subalgoE6EtNS0_10empty_typeEbEEZZNS1_14partition_implILS5_6ELb0ES3_mN6thrust23THRUST_200600_302600_NS6detail15normal_iteratorINSA_10device_ptrItEEEEPS6_SG_NS0_5tupleIJNSA_16discard_iteratorINSA_11use_defaultEEES6_EEENSH_IJSG_SG_EEES6_PlJNSB_9not_fun_tI7is_trueItEEEEEE10hipError_tPvRmT3_T4_T5_T6_T7_T9_mT8_P12ihipStream_tbDpT10_ENKUlT_T0_E_clISt17integral_constantIbLb1EES1B_EEDaS16_S17_EUlS16_E_NS1_11comp_targetILNS1_3genE3ELNS1_11target_archE908ELNS1_3gpuE7ELNS1_3repE0EEENS1_30default_config_static_selectorELNS0_4arch9wavefront6targetE0EEEvT1_
	.p2align	8
	.type	_ZN7rocprim17ROCPRIM_400000_NS6detail17trampoline_kernelINS0_14default_configENS1_25partition_config_selectorILNS1_17partition_subalgoE6EtNS0_10empty_typeEbEEZZNS1_14partition_implILS5_6ELb0ES3_mN6thrust23THRUST_200600_302600_NS6detail15normal_iteratorINSA_10device_ptrItEEEEPS6_SG_NS0_5tupleIJNSA_16discard_iteratorINSA_11use_defaultEEES6_EEENSH_IJSG_SG_EEES6_PlJNSB_9not_fun_tI7is_trueItEEEEEE10hipError_tPvRmT3_T4_T5_T6_T7_T9_mT8_P12ihipStream_tbDpT10_ENKUlT_T0_E_clISt17integral_constantIbLb1EES1B_EEDaS16_S17_EUlS16_E_NS1_11comp_targetILNS1_3genE3ELNS1_11target_archE908ELNS1_3gpuE7ELNS1_3repE0EEENS1_30default_config_static_selectorELNS0_4arch9wavefront6targetE0EEEvT1_,@function
_ZN7rocprim17ROCPRIM_400000_NS6detail17trampoline_kernelINS0_14default_configENS1_25partition_config_selectorILNS1_17partition_subalgoE6EtNS0_10empty_typeEbEEZZNS1_14partition_implILS5_6ELb0ES3_mN6thrust23THRUST_200600_302600_NS6detail15normal_iteratorINSA_10device_ptrItEEEEPS6_SG_NS0_5tupleIJNSA_16discard_iteratorINSA_11use_defaultEEES6_EEENSH_IJSG_SG_EEES6_PlJNSB_9not_fun_tI7is_trueItEEEEEE10hipError_tPvRmT3_T4_T5_T6_T7_T9_mT8_P12ihipStream_tbDpT10_ENKUlT_T0_E_clISt17integral_constantIbLb1EES1B_EEDaS16_S17_EUlS16_E_NS1_11comp_targetILNS1_3genE3ELNS1_11target_archE908ELNS1_3gpuE7ELNS1_3repE0EEENS1_30default_config_static_selectorELNS0_4arch9wavefront6targetE0EEEvT1_: ; @_ZN7rocprim17ROCPRIM_400000_NS6detail17trampoline_kernelINS0_14default_configENS1_25partition_config_selectorILNS1_17partition_subalgoE6EtNS0_10empty_typeEbEEZZNS1_14partition_implILS5_6ELb0ES3_mN6thrust23THRUST_200600_302600_NS6detail15normal_iteratorINSA_10device_ptrItEEEEPS6_SG_NS0_5tupleIJNSA_16discard_iteratorINSA_11use_defaultEEES6_EEENSH_IJSG_SG_EEES6_PlJNSB_9not_fun_tI7is_trueItEEEEEE10hipError_tPvRmT3_T4_T5_T6_T7_T9_mT8_P12ihipStream_tbDpT10_ENKUlT_T0_E_clISt17integral_constantIbLb1EES1B_EEDaS16_S17_EUlS16_E_NS1_11comp_targetILNS1_3genE3ELNS1_11target_archE908ELNS1_3gpuE7ELNS1_3repE0EEENS1_30default_config_static_selectorELNS0_4arch9wavefront6targetE0EEEvT1_
; %bb.0:
	.section	.rodata,"a",@progbits
	.p2align	6, 0x0
	.amdhsa_kernel _ZN7rocprim17ROCPRIM_400000_NS6detail17trampoline_kernelINS0_14default_configENS1_25partition_config_selectorILNS1_17partition_subalgoE6EtNS0_10empty_typeEbEEZZNS1_14partition_implILS5_6ELb0ES3_mN6thrust23THRUST_200600_302600_NS6detail15normal_iteratorINSA_10device_ptrItEEEEPS6_SG_NS0_5tupleIJNSA_16discard_iteratorINSA_11use_defaultEEES6_EEENSH_IJSG_SG_EEES6_PlJNSB_9not_fun_tI7is_trueItEEEEEE10hipError_tPvRmT3_T4_T5_T6_T7_T9_mT8_P12ihipStream_tbDpT10_ENKUlT_T0_E_clISt17integral_constantIbLb1EES1B_EEDaS16_S17_EUlS16_E_NS1_11comp_targetILNS1_3genE3ELNS1_11target_archE908ELNS1_3gpuE7ELNS1_3repE0EEENS1_30default_config_static_selectorELNS0_4arch9wavefront6targetE0EEEvT1_
		.amdhsa_group_segment_fixed_size 0
		.amdhsa_private_segment_fixed_size 0
		.amdhsa_kernarg_size 136
		.amdhsa_user_sgpr_count 2
		.amdhsa_user_sgpr_dispatch_ptr 0
		.amdhsa_user_sgpr_queue_ptr 0
		.amdhsa_user_sgpr_kernarg_segment_ptr 1
		.amdhsa_user_sgpr_dispatch_id 0
		.amdhsa_user_sgpr_private_segment_size 0
		.amdhsa_wavefront_size32 1
		.amdhsa_uses_dynamic_stack 0
		.amdhsa_enable_private_segment 0
		.amdhsa_system_sgpr_workgroup_id_x 1
		.amdhsa_system_sgpr_workgroup_id_y 0
		.amdhsa_system_sgpr_workgroup_id_z 0
		.amdhsa_system_sgpr_workgroup_info 0
		.amdhsa_system_vgpr_workitem_id 0
		.amdhsa_next_free_vgpr 1
		.amdhsa_next_free_sgpr 1
		.amdhsa_reserve_vcc 0
		.amdhsa_float_round_mode_32 0
		.amdhsa_float_round_mode_16_64 0
		.amdhsa_float_denorm_mode_32 3
		.amdhsa_float_denorm_mode_16_64 3
		.amdhsa_fp16_overflow 0
		.amdhsa_workgroup_processor_mode 1
		.amdhsa_memory_ordered 1
		.amdhsa_forward_progress 1
		.amdhsa_inst_pref_size 0
		.amdhsa_round_robin_scheduling 0
		.amdhsa_exception_fp_ieee_invalid_op 0
		.amdhsa_exception_fp_denorm_src 0
		.amdhsa_exception_fp_ieee_div_zero 0
		.amdhsa_exception_fp_ieee_overflow 0
		.amdhsa_exception_fp_ieee_underflow 0
		.amdhsa_exception_fp_ieee_inexact 0
		.amdhsa_exception_int_div_zero 0
	.end_amdhsa_kernel
	.section	.text._ZN7rocprim17ROCPRIM_400000_NS6detail17trampoline_kernelINS0_14default_configENS1_25partition_config_selectorILNS1_17partition_subalgoE6EtNS0_10empty_typeEbEEZZNS1_14partition_implILS5_6ELb0ES3_mN6thrust23THRUST_200600_302600_NS6detail15normal_iteratorINSA_10device_ptrItEEEEPS6_SG_NS0_5tupleIJNSA_16discard_iteratorINSA_11use_defaultEEES6_EEENSH_IJSG_SG_EEES6_PlJNSB_9not_fun_tI7is_trueItEEEEEE10hipError_tPvRmT3_T4_T5_T6_T7_T9_mT8_P12ihipStream_tbDpT10_ENKUlT_T0_E_clISt17integral_constantIbLb1EES1B_EEDaS16_S17_EUlS16_E_NS1_11comp_targetILNS1_3genE3ELNS1_11target_archE908ELNS1_3gpuE7ELNS1_3repE0EEENS1_30default_config_static_selectorELNS0_4arch9wavefront6targetE0EEEvT1_,"axG",@progbits,_ZN7rocprim17ROCPRIM_400000_NS6detail17trampoline_kernelINS0_14default_configENS1_25partition_config_selectorILNS1_17partition_subalgoE6EtNS0_10empty_typeEbEEZZNS1_14partition_implILS5_6ELb0ES3_mN6thrust23THRUST_200600_302600_NS6detail15normal_iteratorINSA_10device_ptrItEEEEPS6_SG_NS0_5tupleIJNSA_16discard_iteratorINSA_11use_defaultEEES6_EEENSH_IJSG_SG_EEES6_PlJNSB_9not_fun_tI7is_trueItEEEEEE10hipError_tPvRmT3_T4_T5_T6_T7_T9_mT8_P12ihipStream_tbDpT10_ENKUlT_T0_E_clISt17integral_constantIbLb1EES1B_EEDaS16_S17_EUlS16_E_NS1_11comp_targetILNS1_3genE3ELNS1_11target_archE908ELNS1_3gpuE7ELNS1_3repE0EEENS1_30default_config_static_selectorELNS0_4arch9wavefront6targetE0EEEvT1_,comdat
.Lfunc_end2216:
	.size	_ZN7rocprim17ROCPRIM_400000_NS6detail17trampoline_kernelINS0_14default_configENS1_25partition_config_selectorILNS1_17partition_subalgoE6EtNS0_10empty_typeEbEEZZNS1_14partition_implILS5_6ELb0ES3_mN6thrust23THRUST_200600_302600_NS6detail15normal_iteratorINSA_10device_ptrItEEEEPS6_SG_NS0_5tupleIJNSA_16discard_iteratorINSA_11use_defaultEEES6_EEENSH_IJSG_SG_EEES6_PlJNSB_9not_fun_tI7is_trueItEEEEEE10hipError_tPvRmT3_T4_T5_T6_T7_T9_mT8_P12ihipStream_tbDpT10_ENKUlT_T0_E_clISt17integral_constantIbLb1EES1B_EEDaS16_S17_EUlS16_E_NS1_11comp_targetILNS1_3genE3ELNS1_11target_archE908ELNS1_3gpuE7ELNS1_3repE0EEENS1_30default_config_static_selectorELNS0_4arch9wavefront6targetE0EEEvT1_, .Lfunc_end2216-_ZN7rocprim17ROCPRIM_400000_NS6detail17trampoline_kernelINS0_14default_configENS1_25partition_config_selectorILNS1_17partition_subalgoE6EtNS0_10empty_typeEbEEZZNS1_14partition_implILS5_6ELb0ES3_mN6thrust23THRUST_200600_302600_NS6detail15normal_iteratorINSA_10device_ptrItEEEEPS6_SG_NS0_5tupleIJNSA_16discard_iteratorINSA_11use_defaultEEES6_EEENSH_IJSG_SG_EEES6_PlJNSB_9not_fun_tI7is_trueItEEEEEE10hipError_tPvRmT3_T4_T5_T6_T7_T9_mT8_P12ihipStream_tbDpT10_ENKUlT_T0_E_clISt17integral_constantIbLb1EES1B_EEDaS16_S17_EUlS16_E_NS1_11comp_targetILNS1_3genE3ELNS1_11target_archE908ELNS1_3gpuE7ELNS1_3repE0EEENS1_30default_config_static_selectorELNS0_4arch9wavefront6targetE0EEEvT1_
                                        ; -- End function
	.set _ZN7rocprim17ROCPRIM_400000_NS6detail17trampoline_kernelINS0_14default_configENS1_25partition_config_selectorILNS1_17partition_subalgoE6EtNS0_10empty_typeEbEEZZNS1_14partition_implILS5_6ELb0ES3_mN6thrust23THRUST_200600_302600_NS6detail15normal_iteratorINSA_10device_ptrItEEEEPS6_SG_NS0_5tupleIJNSA_16discard_iteratorINSA_11use_defaultEEES6_EEENSH_IJSG_SG_EEES6_PlJNSB_9not_fun_tI7is_trueItEEEEEE10hipError_tPvRmT3_T4_T5_T6_T7_T9_mT8_P12ihipStream_tbDpT10_ENKUlT_T0_E_clISt17integral_constantIbLb1EES1B_EEDaS16_S17_EUlS16_E_NS1_11comp_targetILNS1_3genE3ELNS1_11target_archE908ELNS1_3gpuE7ELNS1_3repE0EEENS1_30default_config_static_selectorELNS0_4arch9wavefront6targetE0EEEvT1_.num_vgpr, 0
	.set _ZN7rocprim17ROCPRIM_400000_NS6detail17trampoline_kernelINS0_14default_configENS1_25partition_config_selectorILNS1_17partition_subalgoE6EtNS0_10empty_typeEbEEZZNS1_14partition_implILS5_6ELb0ES3_mN6thrust23THRUST_200600_302600_NS6detail15normal_iteratorINSA_10device_ptrItEEEEPS6_SG_NS0_5tupleIJNSA_16discard_iteratorINSA_11use_defaultEEES6_EEENSH_IJSG_SG_EEES6_PlJNSB_9not_fun_tI7is_trueItEEEEEE10hipError_tPvRmT3_T4_T5_T6_T7_T9_mT8_P12ihipStream_tbDpT10_ENKUlT_T0_E_clISt17integral_constantIbLb1EES1B_EEDaS16_S17_EUlS16_E_NS1_11comp_targetILNS1_3genE3ELNS1_11target_archE908ELNS1_3gpuE7ELNS1_3repE0EEENS1_30default_config_static_selectorELNS0_4arch9wavefront6targetE0EEEvT1_.num_agpr, 0
	.set _ZN7rocprim17ROCPRIM_400000_NS6detail17trampoline_kernelINS0_14default_configENS1_25partition_config_selectorILNS1_17partition_subalgoE6EtNS0_10empty_typeEbEEZZNS1_14partition_implILS5_6ELb0ES3_mN6thrust23THRUST_200600_302600_NS6detail15normal_iteratorINSA_10device_ptrItEEEEPS6_SG_NS0_5tupleIJNSA_16discard_iteratorINSA_11use_defaultEEES6_EEENSH_IJSG_SG_EEES6_PlJNSB_9not_fun_tI7is_trueItEEEEEE10hipError_tPvRmT3_T4_T5_T6_T7_T9_mT8_P12ihipStream_tbDpT10_ENKUlT_T0_E_clISt17integral_constantIbLb1EES1B_EEDaS16_S17_EUlS16_E_NS1_11comp_targetILNS1_3genE3ELNS1_11target_archE908ELNS1_3gpuE7ELNS1_3repE0EEENS1_30default_config_static_selectorELNS0_4arch9wavefront6targetE0EEEvT1_.numbered_sgpr, 0
	.set _ZN7rocprim17ROCPRIM_400000_NS6detail17trampoline_kernelINS0_14default_configENS1_25partition_config_selectorILNS1_17partition_subalgoE6EtNS0_10empty_typeEbEEZZNS1_14partition_implILS5_6ELb0ES3_mN6thrust23THRUST_200600_302600_NS6detail15normal_iteratorINSA_10device_ptrItEEEEPS6_SG_NS0_5tupleIJNSA_16discard_iteratorINSA_11use_defaultEEES6_EEENSH_IJSG_SG_EEES6_PlJNSB_9not_fun_tI7is_trueItEEEEEE10hipError_tPvRmT3_T4_T5_T6_T7_T9_mT8_P12ihipStream_tbDpT10_ENKUlT_T0_E_clISt17integral_constantIbLb1EES1B_EEDaS16_S17_EUlS16_E_NS1_11comp_targetILNS1_3genE3ELNS1_11target_archE908ELNS1_3gpuE7ELNS1_3repE0EEENS1_30default_config_static_selectorELNS0_4arch9wavefront6targetE0EEEvT1_.num_named_barrier, 0
	.set _ZN7rocprim17ROCPRIM_400000_NS6detail17trampoline_kernelINS0_14default_configENS1_25partition_config_selectorILNS1_17partition_subalgoE6EtNS0_10empty_typeEbEEZZNS1_14partition_implILS5_6ELb0ES3_mN6thrust23THRUST_200600_302600_NS6detail15normal_iteratorINSA_10device_ptrItEEEEPS6_SG_NS0_5tupleIJNSA_16discard_iteratorINSA_11use_defaultEEES6_EEENSH_IJSG_SG_EEES6_PlJNSB_9not_fun_tI7is_trueItEEEEEE10hipError_tPvRmT3_T4_T5_T6_T7_T9_mT8_P12ihipStream_tbDpT10_ENKUlT_T0_E_clISt17integral_constantIbLb1EES1B_EEDaS16_S17_EUlS16_E_NS1_11comp_targetILNS1_3genE3ELNS1_11target_archE908ELNS1_3gpuE7ELNS1_3repE0EEENS1_30default_config_static_selectorELNS0_4arch9wavefront6targetE0EEEvT1_.private_seg_size, 0
	.set _ZN7rocprim17ROCPRIM_400000_NS6detail17trampoline_kernelINS0_14default_configENS1_25partition_config_selectorILNS1_17partition_subalgoE6EtNS0_10empty_typeEbEEZZNS1_14partition_implILS5_6ELb0ES3_mN6thrust23THRUST_200600_302600_NS6detail15normal_iteratorINSA_10device_ptrItEEEEPS6_SG_NS0_5tupleIJNSA_16discard_iteratorINSA_11use_defaultEEES6_EEENSH_IJSG_SG_EEES6_PlJNSB_9not_fun_tI7is_trueItEEEEEE10hipError_tPvRmT3_T4_T5_T6_T7_T9_mT8_P12ihipStream_tbDpT10_ENKUlT_T0_E_clISt17integral_constantIbLb1EES1B_EEDaS16_S17_EUlS16_E_NS1_11comp_targetILNS1_3genE3ELNS1_11target_archE908ELNS1_3gpuE7ELNS1_3repE0EEENS1_30default_config_static_selectorELNS0_4arch9wavefront6targetE0EEEvT1_.uses_vcc, 0
	.set _ZN7rocprim17ROCPRIM_400000_NS6detail17trampoline_kernelINS0_14default_configENS1_25partition_config_selectorILNS1_17partition_subalgoE6EtNS0_10empty_typeEbEEZZNS1_14partition_implILS5_6ELb0ES3_mN6thrust23THRUST_200600_302600_NS6detail15normal_iteratorINSA_10device_ptrItEEEEPS6_SG_NS0_5tupleIJNSA_16discard_iteratorINSA_11use_defaultEEES6_EEENSH_IJSG_SG_EEES6_PlJNSB_9not_fun_tI7is_trueItEEEEEE10hipError_tPvRmT3_T4_T5_T6_T7_T9_mT8_P12ihipStream_tbDpT10_ENKUlT_T0_E_clISt17integral_constantIbLb1EES1B_EEDaS16_S17_EUlS16_E_NS1_11comp_targetILNS1_3genE3ELNS1_11target_archE908ELNS1_3gpuE7ELNS1_3repE0EEENS1_30default_config_static_selectorELNS0_4arch9wavefront6targetE0EEEvT1_.uses_flat_scratch, 0
	.set _ZN7rocprim17ROCPRIM_400000_NS6detail17trampoline_kernelINS0_14default_configENS1_25partition_config_selectorILNS1_17partition_subalgoE6EtNS0_10empty_typeEbEEZZNS1_14partition_implILS5_6ELb0ES3_mN6thrust23THRUST_200600_302600_NS6detail15normal_iteratorINSA_10device_ptrItEEEEPS6_SG_NS0_5tupleIJNSA_16discard_iteratorINSA_11use_defaultEEES6_EEENSH_IJSG_SG_EEES6_PlJNSB_9not_fun_tI7is_trueItEEEEEE10hipError_tPvRmT3_T4_T5_T6_T7_T9_mT8_P12ihipStream_tbDpT10_ENKUlT_T0_E_clISt17integral_constantIbLb1EES1B_EEDaS16_S17_EUlS16_E_NS1_11comp_targetILNS1_3genE3ELNS1_11target_archE908ELNS1_3gpuE7ELNS1_3repE0EEENS1_30default_config_static_selectorELNS0_4arch9wavefront6targetE0EEEvT1_.has_dyn_sized_stack, 0
	.set _ZN7rocprim17ROCPRIM_400000_NS6detail17trampoline_kernelINS0_14default_configENS1_25partition_config_selectorILNS1_17partition_subalgoE6EtNS0_10empty_typeEbEEZZNS1_14partition_implILS5_6ELb0ES3_mN6thrust23THRUST_200600_302600_NS6detail15normal_iteratorINSA_10device_ptrItEEEEPS6_SG_NS0_5tupleIJNSA_16discard_iteratorINSA_11use_defaultEEES6_EEENSH_IJSG_SG_EEES6_PlJNSB_9not_fun_tI7is_trueItEEEEEE10hipError_tPvRmT3_T4_T5_T6_T7_T9_mT8_P12ihipStream_tbDpT10_ENKUlT_T0_E_clISt17integral_constantIbLb1EES1B_EEDaS16_S17_EUlS16_E_NS1_11comp_targetILNS1_3genE3ELNS1_11target_archE908ELNS1_3gpuE7ELNS1_3repE0EEENS1_30default_config_static_selectorELNS0_4arch9wavefront6targetE0EEEvT1_.has_recursion, 0
	.set _ZN7rocprim17ROCPRIM_400000_NS6detail17trampoline_kernelINS0_14default_configENS1_25partition_config_selectorILNS1_17partition_subalgoE6EtNS0_10empty_typeEbEEZZNS1_14partition_implILS5_6ELb0ES3_mN6thrust23THRUST_200600_302600_NS6detail15normal_iteratorINSA_10device_ptrItEEEEPS6_SG_NS0_5tupleIJNSA_16discard_iteratorINSA_11use_defaultEEES6_EEENSH_IJSG_SG_EEES6_PlJNSB_9not_fun_tI7is_trueItEEEEEE10hipError_tPvRmT3_T4_T5_T6_T7_T9_mT8_P12ihipStream_tbDpT10_ENKUlT_T0_E_clISt17integral_constantIbLb1EES1B_EEDaS16_S17_EUlS16_E_NS1_11comp_targetILNS1_3genE3ELNS1_11target_archE908ELNS1_3gpuE7ELNS1_3repE0EEENS1_30default_config_static_selectorELNS0_4arch9wavefront6targetE0EEEvT1_.has_indirect_call, 0
	.section	.AMDGPU.csdata,"",@progbits
; Kernel info:
; codeLenInByte = 0
; TotalNumSgprs: 0
; NumVgprs: 0
; ScratchSize: 0
; MemoryBound: 0
; FloatMode: 240
; IeeeMode: 1
; LDSByteSize: 0 bytes/workgroup (compile time only)
; SGPRBlocks: 0
; VGPRBlocks: 0
; NumSGPRsForWavesPerEU: 1
; NumVGPRsForWavesPerEU: 1
; Occupancy: 16
; WaveLimiterHint : 0
; COMPUTE_PGM_RSRC2:SCRATCH_EN: 0
; COMPUTE_PGM_RSRC2:USER_SGPR: 2
; COMPUTE_PGM_RSRC2:TRAP_HANDLER: 0
; COMPUTE_PGM_RSRC2:TGID_X_EN: 1
; COMPUTE_PGM_RSRC2:TGID_Y_EN: 0
; COMPUTE_PGM_RSRC2:TGID_Z_EN: 0
; COMPUTE_PGM_RSRC2:TIDIG_COMP_CNT: 0
	.section	.text._ZN7rocprim17ROCPRIM_400000_NS6detail17trampoline_kernelINS0_14default_configENS1_25partition_config_selectorILNS1_17partition_subalgoE6EtNS0_10empty_typeEbEEZZNS1_14partition_implILS5_6ELb0ES3_mN6thrust23THRUST_200600_302600_NS6detail15normal_iteratorINSA_10device_ptrItEEEEPS6_SG_NS0_5tupleIJNSA_16discard_iteratorINSA_11use_defaultEEES6_EEENSH_IJSG_SG_EEES6_PlJNSB_9not_fun_tI7is_trueItEEEEEE10hipError_tPvRmT3_T4_T5_T6_T7_T9_mT8_P12ihipStream_tbDpT10_ENKUlT_T0_E_clISt17integral_constantIbLb1EES1B_EEDaS16_S17_EUlS16_E_NS1_11comp_targetILNS1_3genE2ELNS1_11target_archE906ELNS1_3gpuE6ELNS1_3repE0EEENS1_30default_config_static_selectorELNS0_4arch9wavefront6targetE0EEEvT1_,"axG",@progbits,_ZN7rocprim17ROCPRIM_400000_NS6detail17trampoline_kernelINS0_14default_configENS1_25partition_config_selectorILNS1_17partition_subalgoE6EtNS0_10empty_typeEbEEZZNS1_14partition_implILS5_6ELb0ES3_mN6thrust23THRUST_200600_302600_NS6detail15normal_iteratorINSA_10device_ptrItEEEEPS6_SG_NS0_5tupleIJNSA_16discard_iteratorINSA_11use_defaultEEES6_EEENSH_IJSG_SG_EEES6_PlJNSB_9not_fun_tI7is_trueItEEEEEE10hipError_tPvRmT3_T4_T5_T6_T7_T9_mT8_P12ihipStream_tbDpT10_ENKUlT_T0_E_clISt17integral_constantIbLb1EES1B_EEDaS16_S17_EUlS16_E_NS1_11comp_targetILNS1_3genE2ELNS1_11target_archE906ELNS1_3gpuE6ELNS1_3repE0EEENS1_30default_config_static_selectorELNS0_4arch9wavefront6targetE0EEEvT1_,comdat
	.protected	_ZN7rocprim17ROCPRIM_400000_NS6detail17trampoline_kernelINS0_14default_configENS1_25partition_config_selectorILNS1_17partition_subalgoE6EtNS0_10empty_typeEbEEZZNS1_14partition_implILS5_6ELb0ES3_mN6thrust23THRUST_200600_302600_NS6detail15normal_iteratorINSA_10device_ptrItEEEEPS6_SG_NS0_5tupleIJNSA_16discard_iteratorINSA_11use_defaultEEES6_EEENSH_IJSG_SG_EEES6_PlJNSB_9not_fun_tI7is_trueItEEEEEE10hipError_tPvRmT3_T4_T5_T6_T7_T9_mT8_P12ihipStream_tbDpT10_ENKUlT_T0_E_clISt17integral_constantIbLb1EES1B_EEDaS16_S17_EUlS16_E_NS1_11comp_targetILNS1_3genE2ELNS1_11target_archE906ELNS1_3gpuE6ELNS1_3repE0EEENS1_30default_config_static_selectorELNS0_4arch9wavefront6targetE0EEEvT1_ ; -- Begin function _ZN7rocprim17ROCPRIM_400000_NS6detail17trampoline_kernelINS0_14default_configENS1_25partition_config_selectorILNS1_17partition_subalgoE6EtNS0_10empty_typeEbEEZZNS1_14partition_implILS5_6ELb0ES3_mN6thrust23THRUST_200600_302600_NS6detail15normal_iteratorINSA_10device_ptrItEEEEPS6_SG_NS0_5tupleIJNSA_16discard_iteratorINSA_11use_defaultEEES6_EEENSH_IJSG_SG_EEES6_PlJNSB_9not_fun_tI7is_trueItEEEEEE10hipError_tPvRmT3_T4_T5_T6_T7_T9_mT8_P12ihipStream_tbDpT10_ENKUlT_T0_E_clISt17integral_constantIbLb1EES1B_EEDaS16_S17_EUlS16_E_NS1_11comp_targetILNS1_3genE2ELNS1_11target_archE906ELNS1_3gpuE6ELNS1_3repE0EEENS1_30default_config_static_selectorELNS0_4arch9wavefront6targetE0EEEvT1_
	.globl	_ZN7rocprim17ROCPRIM_400000_NS6detail17trampoline_kernelINS0_14default_configENS1_25partition_config_selectorILNS1_17partition_subalgoE6EtNS0_10empty_typeEbEEZZNS1_14partition_implILS5_6ELb0ES3_mN6thrust23THRUST_200600_302600_NS6detail15normal_iteratorINSA_10device_ptrItEEEEPS6_SG_NS0_5tupleIJNSA_16discard_iteratorINSA_11use_defaultEEES6_EEENSH_IJSG_SG_EEES6_PlJNSB_9not_fun_tI7is_trueItEEEEEE10hipError_tPvRmT3_T4_T5_T6_T7_T9_mT8_P12ihipStream_tbDpT10_ENKUlT_T0_E_clISt17integral_constantIbLb1EES1B_EEDaS16_S17_EUlS16_E_NS1_11comp_targetILNS1_3genE2ELNS1_11target_archE906ELNS1_3gpuE6ELNS1_3repE0EEENS1_30default_config_static_selectorELNS0_4arch9wavefront6targetE0EEEvT1_
	.p2align	8
	.type	_ZN7rocprim17ROCPRIM_400000_NS6detail17trampoline_kernelINS0_14default_configENS1_25partition_config_selectorILNS1_17partition_subalgoE6EtNS0_10empty_typeEbEEZZNS1_14partition_implILS5_6ELb0ES3_mN6thrust23THRUST_200600_302600_NS6detail15normal_iteratorINSA_10device_ptrItEEEEPS6_SG_NS0_5tupleIJNSA_16discard_iteratorINSA_11use_defaultEEES6_EEENSH_IJSG_SG_EEES6_PlJNSB_9not_fun_tI7is_trueItEEEEEE10hipError_tPvRmT3_T4_T5_T6_T7_T9_mT8_P12ihipStream_tbDpT10_ENKUlT_T0_E_clISt17integral_constantIbLb1EES1B_EEDaS16_S17_EUlS16_E_NS1_11comp_targetILNS1_3genE2ELNS1_11target_archE906ELNS1_3gpuE6ELNS1_3repE0EEENS1_30default_config_static_selectorELNS0_4arch9wavefront6targetE0EEEvT1_,@function
_ZN7rocprim17ROCPRIM_400000_NS6detail17trampoline_kernelINS0_14default_configENS1_25partition_config_selectorILNS1_17partition_subalgoE6EtNS0_10empty_typeEbEEZZNS1_14partition_implILS5_6ELb0ES3_mN6thrust23THRUST_200600_302600_NS6detail15normal_iteratorINSA_10device_ptrItEEEEPS6_SG_NS0_5tupleIJNSA_16discard_iteratorINSA_11use_defaultEEES6_EEENSH_IJSG_SG_EEES6_PlJNSB_9not_fun_tI7is_trueItEEEEEE10hipError_tPvRmT3_T4_T5_T6_T7_T9_mT8_P12ihipStream_tbDpT10_ENKUlT_T0_E_clISt17integral_constantIbLb1EES1B_EEDaS16_S17_EUlS16_E_NS1_11comp_targetILNS1_3genE2ELNS1_11target_archE906ELNS1_3gpuE6ELNS1_3repE0EEENS1_30default_config_static_selectorELNS0_4arch9wavefront6targetE0EEEvT1_: ; @_ZN7rocprim17ROCPRIM_400000_NS6detail17trampoline_kernelINS0_14default_configENS1_25partition_config_selectorILNS1_17partition_subalgoE6EtNS0_10empty_typeEbEEZZNS1_14partition_implILS5_6ELb0ES3_mN6thrust23THRUST_200600_302600_NS6detail15normal_iteratorINSA_10device_ptrItEEEEPS6_SG_NS0_5tupleIJNSA_16discard_iteratorINSA_11use_defaultEEES6_EEENSH_IJSG_SG_EEES6_PlJNSB_9not_fun_tI7is_trueItEEEEEE10hipError_tPvRmT3_T4_T5_T6_T7_T9_mT8_P12ihipStream_tbDpT10_ENKUlT_T0_E_clISt17integral_constantIbLb1EES1B_EEDaS16_S17_EUlS16_E_NS1_11comp_targetILNS1_3genE2ELNS1_11target_archE906ELNS1_3gpuE6ELNS1_3repE0EEENS1_30default_config_static_selectorELNS0_4arch9wavefront6targetE0EEEvT1_
; %bb.0:
	.section	.rodata,"a",@progbits
	.p2align	6, 0x0
	.amdhsa_kernel _ZN7rocprim17ROCPRIM_400000_NS6detail17trampoline_kernelINS0_14default_configENS1_25partition_config_selectorILNS1_17partition_subalgoE6EtNS0_10empty_typeEbEEZZNS1_14partition_implILS5_6ELb0ES3_mN6thrust23THRUST_200600_302600_NS6detail15normal_iteratorINSA_10device_ptrItEEEEPS6_SG_NS0_5tupleIJNSA_16discard_iteratorINSA_11use_defaultEEES6_EEENSH_IJSG_SG_EEES6_PlJNSB_9not_fun_tI7is_trueItEEEEEE10hipError_tPvRmT3_T4_T5_T6_T7_T9_mT8_P12ihipStream_tbDpT10_ENKUlT_T0_E_clISt17integral_constantIbLb1EES1B_EEDaS16_S17_EUlS16_E_NS1_11comp_targetILNS1_3genE2ELNS1_11target_archE906ELNS1_3gpuE6ELNS1_3repE0EEENS1_30default_config_static_selectorELNS0_4arch9wavefront6targetE0EEEvT1_
		.amdhsa_group_segment_fixed_size 0
		.amdhsa_private_segment_fixed_size 0
		.amdhsa_kernarg_size 136
		.amdhsa_user_sgpr_count 2
		.amdhsa_user_sgpr_dispatch_ptr 0
		.amdhsa_user_sgpr_queue_ptr 0
		.amdhsa_user_sgpr_kernarg_segment_ptr 1
		.amdhsa_user_sgpr_dispatch_id 0
		.amdhsa_user_sgpr_private_segment_size 0
		.amdhsa_wavefront_size32 1
		.amdhsa_uses_dynamic_stack 0
		.amdhsa_enable_private_segment 0
		.amdhsa_system_sgpr_workgroup_id_x 1
		.amdhsa_system_sgpr_workgroup_id_y 0
		.amdhsa_system_sgpr_workgroup_id_z 0
		.amdhsa_system_sgpr_workgroup_info 0
		.amdhsa_system_vgpr_workitem_id 0
		.amdhsa_next_free_vgpr 1
		.amdhsa_next_free_sgpr 1
		.amdhsa_reserve_vcc 0
		.amdhsa_float_round_mode_32 0
		.amdhsa_float_round_mode_16_64 0
		.amdhsa_float_denorm_mode_32 3
		.amdhsa_float_denorm_mode_16_64 3
		.amdhsa_fp16_overflow 0
		.amdhsa_workgroup_processor_mode 1
		.amdhsa_memory_ordered 1
		.amdhsa_forward_progress 1
		.amdhsa_inst_pref_size 0
		.amdhsa_round_robin_scheduling 0
		.amdhsa_exception_fp_ieee_invalid_op 0
		.amdhsa_exception_fp_denorm_src 0
		.amdhsa_exception_fp_ieee_div_zero 0
		.amdhsa_exception_fp_ieee_overflow 0
		.amdhsa_exception_fp_ieee_underflow 0
		.amdhsa_exception_fp_ieee_inexact 0
		.amdhsa_exception_int_div_zero 0
	.end_amdhsa_kernel
	.section	.text._ZN7rocprim17ROCPRIM_400000_NS6detail17trampoline_kernelINS0_14default_configENS1_25partition_config_selectorILNS1_17partition_subalgoE6EtNS0_10empty_typeEbEEZZNS1_14partition_implILS5_6ELb0ES3_mN6thrust23THRUST_200600_302600_NS6detail15normal_iteratorINSA_10device_ptrItEEEEPS6_SG_NS0_5tupleIJNSA_16discard_iteratorINSA_11use_defaultEEES6_EEENSH_IJSG_SG_EEES6_PlJNSB_9not_fun_tI7is_trueItEEEEEE10hipError_tPvRmT3_T4_T5_T6_T7_T9_mT8_P12ihipStream_tbDpT10_ENKUlT_T0_E_clISt17integral_constantIbLb1EES1B_EEDaS16_S17_EUlS16_E_NS1_11comp_targetILNS1_3genE2ELNS1_11target_archE906ELNS1_3gpuE6ELNS1_3repE0EEENS1_30default_config_static_selectorELNS0_4arch9wavefront6targetE0EEEvT1_,"axG",@progbits,_ZN7rocprim17ROCPRIM_400000_NS6detail17trampoline_kernelINS0_14default_configENS1_25partition_config_selectorILNS1_17partition_subalgoE6EtNS0_10empty_typeEbEEZZNS1_14partition_implILS5_6ELb0ES3_mN6thrust23THRUST_200600_302600_NS6detail15normal_iteratorINSA_10device_ptrItEEEEPS6_SG_NS0_5tupleIJNSA_16discard_iteratorINSA_11use_defaultEEES6_EEENSH_IJSG_SG_EEES6_PlJNSB_9not_fun_tI7is_trueItEEEEEE10hipError_tPvRmT3_T4_T5_T6_T7_T9_mT8_P12ihipStream_tbDpT10_ENKUlT_T0_E_clISt17integral_constantIbLb1EES1B_EEDaS16_S17_EUlS16_E_NS1_11comp_targetILNS1_3genE2ELNS1_11target_archE906ELNS1_3gpuE6ELNS1_3repE0EEENS1_30default_config_static_selectorELNS0_4arch9wavefront6targetE0EEEvT1_,comdat
.Lfunc_end2217:
	.size	_ZN7rocprim17ROCPRIM_400000_NS6detail17trampoline_kernelINS0_14default_configENS1_25partition_config_selectorILNS1_17partition_subalgoE6EtNS0_10empty_typeEbEEZZNS1_14partition_implILS5_6ELb0ES3_mN6thrust23THRUST_200600_302600_NS6detail15normal_iteratorINSA_10device_ptrItEEEEPS6_SG_NS0_5tupleIJNSA_16discard_iteratorINSA_11use_defaultEEES6_EEENSH_IJSG_SG_EEES6_PlJNSB_9not_fun_tI7is_trueItEEEEEE10hipError_tPvRmT3_T4_T5_T6_T7_T9_mT8_P12ihipStream_tbDpT10_ENKUlT_T0_E_clISt17integral_constantIbLb1EES1B_EEDaS16_S17_EUlS16_E_NS1_11comp_targetILNS1_3genE2ELNS1_11target_archE906ELNS1_3gpuE6ELNS1_3repE0EEENS1_30default_config_static_selectorELNS0_4arch9wavefront6targetE0EEEvT1_, .Lfunc_end2217-_ZN7rocprim17ROCPRIM_400000_NS6detail17trampoline_kernelINS0_14default_configENS1_25partition_config_selectorILNS1_17partition_subalgoE6EtNS0_10empty_typeEbEEZZNS1_14partition_implILS5_6ELb0ES3_mN6thrust23THRUST_200600_302600_NS6detail15normal_iteratorINSA_10device_ptrItEEEEPS6_SG_NS0_5tupleIJNSA_16discard_iteratorINSA_11use_defaultEEES6_EEENSH_IJSG_SG_EEES6_PlJNSB_9not_fun_tI7is_trueItEEEEEE10hipError_tPvRmT3_T4_T5_T6_T7_T9_mT8_P12ihipStream_tbDpT10_ENKUlT_T0_E_clISt17integral_constantIbLb1EES1B_EEDaS16_S17_EUlS16_E_NS1_11comp_targetILNS1_3genE2ELNS1_11target_archE906ELNS1_3gpuE6ELNS1_3repE0EEENS1_30default_config_static_selectorELNS0_4arch9wavefront6targetE0EEEvT1_
                                        ; -- End function
	.set _ZN7rocprim17ROCPRIM_400000_NS6detail17trampoline_kernelINS0_14default_configENS1_25partition_config_selectorILNS1_17partition_subalgoE6EtNS0_10empty_typeEbEEZZNS1_14partition_implILS5_6ELb0ES3_mN6thrust23THRUST_200600_302600_NS6detail15normal_iteratorINSA_10device_ptrItEEEEPS6_SG_NS0_5tupleIJNSA_16discard_iteratorINSA_11use_defaultEEES6_EEENSH_IJSG_SG_EEES6_PlJNSB_9not_fun_tI7is_trueItEEEEEE10hipError_tPvRmT3_T4_T5_T6_T7_T9_mT8_P12ihipStream_tbDpT10_ENKUlT_T0_E_clISt17integral_constantIbLb1EES1B_EEDaS16_S17_EUlS16_E_NS1_11comp_targetILNS1_3genE2ELNS1_11target_archE906ELNS1_3gpuE6ELNS1_3repE0EEENS1_30default_config_static_selectorELNS0_4arch9wavefront6targetE0EEEvT1_.num_vgpr, 0
	.set _ZN7rocprim17ROCPRIM_400000_NS6detail17trampoline_kernelINS0_14default_configENS1_25partition_config_selectorILNS1_17partition_subalgoE6EtNS0_10empty_typeEbEEZZNS1_14partition_implILS5_6ELb0ES3_mN6thrust23THRUST_200600_302600_NS6detail15normal_iteratorINSA_10device_ptrItEEEEPS6_SG_NS0_5tupleIJNSA_16discard_iteratorINSA_11use_defaultEEES6_EEENSH_IJSG_SG_EEES6_PlJNSB_9not_fun_tI7is_trueItEEEEEE10hipError_tPvRmT3_T4_T5_T6_T7_T9_mT8_P12ihipStream_tbDpT10_ENKUlT_T0_E_clISt17integral_constantIbLb1EES1B_EEDaS16_S17_EUlS16_E_NS1_11comp_targetILNS1_3genE2ELNS1_11target_archE906ELNS1_3gpuE6ELNS1_3repE0EEENS1_30default_config_static_selectorELNS0_4arch9wavefront6targetE0EEEvT1_.num_agpr, 0
	.set _ZN7rocprim17ROCPRIM_400000_NS6detail17trampoline_kernelINS0_14default_configENS1_25partition_config_selectorILNS1_17partition_subalgoE6EtNS0_10empty_typeEbEEZZNS1_14partition_implILS5_6ELb0ES3_mN6thrust23THRUST_200600_302600_NS6detail15normal_iteratorINSA_10device_ptrItEEEEPS6_SG_NS0_5tupleIJNSA_16discard_iteratorINSA_11use_defaultEEES6_EEENSH_IJSG_SG_EEES6_PlJNSB_9not_fun_tI7is_trueItEEEEEE10hipError_tPvRmT3_T4_T5_T6_T7_T9_mT8_P12ihipStream_tbDpT10_ENKUlT_T0_E_clISt17integral_constantIbLb1EES1B_EEDaS16_S17_EUlS16_E_NS1_11comp_targetILNS1_3genE2ELNS1_11target_archE906ELNS1_3gpuE6ELNS1_3repE0EEENS1_30default_config_static_selectorELNS0_4arch9wavefront6targetE0EEEvT1_.numbered_sgpr, 0
	.set _ZN7rocprim17ROCPRIM_400000_NS6detail17trampoline_kernelINS0_14default_configENS1_25partition_config_selectorILNS1_17partition_subalgoE6EtNS0_10empty_typeEbEEZZNS1_14partition_implILS5_6ELb0ES3_mN6thrust23THRUST_200600_302600_NS6detail15normal_iteratorINSA_10device_ptrItEEEEPS6_SG_NS0_5tupleIJNSA_16discard_iteratorINSA_11use_defaultEEES6_EEENSH_IJSG_SG_EEES6_PlJNSB_9not_fun_tI7is_trueItEEEEEE10hipError_tPvRmT3_T4_T5_T6_T7_T9_mT8_P12ihipStream_tbDpT10_ENKUlT_T0_E_clISt17integral_constantIbLb1EES1B_EEDaS16_S17_EUlS16_E_NS1_11comp_targetILNS1_3genE2ELNS1_11target_archE906ELNS1_3gpuE6ELNS1_3repE0EEENS1_30default_config_static_selectorELNS0_4arch9wavefront6targetE0EEEvT1_.num_named_barrier, 0
	.set _ZN7rocprim17ROCPRIM_400000_NS6detail17trampoline_kernelINS0_14default_configENS1_25partition_config_selectorILNS1_17partition_subalgoE6EtNS0_10empty_typeEbEEZZNS1_14partition_implILS5_6ELb0ES3_mN6thrust23THRUST_200600_302600_NS6detail15normal_iteratorINSA_10device_ptrItEEEEPS6_SG_NS0_5tupleIJNSA_16discard_iteratorINSA_11use_defaultEEES6_EEENSH_IJSG_SG_EEES6_PlJNSB_9not_fun_tI7is_trueItEEEEEE10hipError_tPvRmT3_T4_T5_T6_T7_T9_mT8_P12ihipStream_tbDpT10_ENKUlT_T0_E_clISt17integral_constantIbLb1EES1B_EEDaS16_S17_EUlS16_E_NS1_11comp_targetILNS1_3genE2ELNS1_11target_archE906ELNS1_3gpuE6ELNS1_3repE0EEENS1_30default_config_static_selectorELNS0_4arch9wavefront6targetE0EEEvT1_.private_seg_size, 0
	.set _ZN7rocprim17ROCPRIM_400000_NS6detail17trampoline_kernelINS0_14default_configENS1_25partition_config_selectorILNS1_17partition_subalgoE6EtNS0_10empty_typeEbEEZZNS1_14partition_implILS5_6ELb0ES3_mN6thrust23THRUST_200600_302600_NS6detail15normal_iteratorINSA_10device_ptrItEEEEPS6_SG_NS0_5tupleIJNSA_16discard_iteratorINSA_11use_defaultEEES6_EEENSH_IJSG_SG_EEES6_PlJNSB_9not_fun_tI7is_trueItEEEEEE10hipError_tPvRmT3_T4_T5_T6_T7_T9_mT8_P12ihipStream_tbDpT10_ENKUlT_T0_E_clISt17integral_constantIbLb1EES1B_EEDaS16_S17_EUlS16_E_NS1_11comp_targetILNS1_3genE2ELNS1_11target_archE906ELNS1_3gpuE6ELNS1_3repE0EEENS1_30default_config_static_selectorELNS0_4arch9wavefront6targetE0EEEvT1_.uses_vcc, 0
	.set _ZN7rocprim17ROCPRIM_400000_NS6detail17trampoline_kernelINS0_14default_configENS1_25partition_config_selectorILNS1_17partition_subalgoE6EtNS0_10empty_typeEbEEZZNS1_14partition_implILS5_6ELb0ES3_mN6thrust23THRUST_200600_302600_NS6detail15normal_iteratorINSA_10device_ptrItEEEEPS6_SG_NS0_5tupleIJNSA_16discard_iteratorINSA_11use_defaultEEES6_EEENSH_IJSG_SG_EEES6_PlJNSB_9not_fun_tI7is_trueItEEEEEE10hipError_tPvRmT3_T4_T5_T6_T7_T9_mT8_P12ihipStream_tbDpT10_ENKUlT_T0_E_clISt17integral_constantIbLb1EES1B_EEDaS16_S17_EUlS16_E_NS1_11comp_targetILNS1_3genE2ELNS1_11target_archE906ELNS1_3gpuE6ELNS1_3repE0EEENS1_30default_config_static_selectorELNS0_4arch9wavefront6targetE0EEEvT1_.uses_flat_scratch, 0
	.set _ZN7rocprim17ROCPRIM_400000_NS6detail17trampoline_kernelINS0_14default_configENS1_25partition_config_selectorILNS1_17partition_subalgoE6EtNS0_10empty_typeEbEEZZNS1_14partition_implILS5_6ELb0ES3_mN6thrust23THRUST_200600_302600_NS6detail15normal_iteratorINSA_10device_ptrItEEEEPS6_SG_NS0_5tupleIJNSA_16discard_iteratorINSA_11use_defaultEEES6_EEENSH_IJSG_SG_EEES6_PlJNSB_9not_fun_tI7is_trueItEEEEEE10hipError_tPvRmT3_T4_T5_T6_T7_T9_mT8_P12ihipStream_tbDpT10_ENKUlT_T0_E_clISt17integral_constantIbLb1EES1B_EEDaS16_S17_EUlS16_E_NS1_11comp_targetILNS1_3genE2ELNS1_11target_archE906ELNS1_3gpuE6ELNS1_3repE0EEENS1_30default_config_static_selectorELNS0_4arch9wavefront6targetE0EEEvT1_.has_dyn_sized_stack, 0
	.set _ZN7rocprim17ROCPRIM_400000_NS6detail17trampoline_kernelINS0_14default_configENS1_25partition_config_selectorILNS1_17partition_subalgoE6EtNS0_10empty_typeEbEEZZNS1_14partition_implILS5_6ELb0ES3_mN6thrust23THRUST_200600_302600_NS6detail15normal_iteratorINSA_10device_ptrItEEEEPS6_SG_NS0_5tupleIJNSA_16discard_iteratorINSA_11use_defaultEEES6_EEENSH_IJSG_SG_EEES6_PlJNSB_9not_fun_tI7is_trueItEEEEEE10hipError_tPvRmT3_T4_T5_T6_T7_T9_mT8_P12ihipStream_tbDpT10_ENKUlT_T0_E_clISt17integral_constantIbLb1EES1B_EEDaS16_S17_EUlS16_E_NS1_11comp_targetILNS1_3genE2ELNS1_11target_archE906ELNS1_3gpuE6ELNS1_3repE0EEENS1_30default_config_static_selectorELNS0_4arch9wavefront6targetE0EEEvT1_.has_recursion, 0
	.set _ZN7rocprim17ROCPRIM_400000_NS6detail17trampoline_kernelINS0_14default_configENS1_25partition_config_selectorILNS1_17partition_subalgoE6EtNS0_10empty_typeEbEEZZNS1_14partition_implILS5_6ELb0ES3_mN6thrust23THRUST_200600_302600_NS6detail15normal_iteratorINSA_10device_ptrItEEEEPS6_SG_NS0_5tupleIJNSA_16discard_iteratorINSA_11use_defaultEEES6_EEENSH_IJSG_SG_EEES6_PlJNSB_9not_fun_tI7is_trueItEEEEEE10hipError_tPvRmT3_T4_T5_T6_T7_T9_mT8_P12ihipStream_tbDpT10_ENKUlT_T0_E_clISt17integral_constantIbLb1EES1B_EEDaS16_S17_EUlS16_E_NS1_11comp_targetILNS1_3genE2ELNS1_11target_archE906ELNS1_3gpuE6ELNS1_3repE0EEENS1_30default_config_static_selectorELNS0_4arch9wavefront6targetE0EEEvT1_.has_indirect_call, 0
	.section	.AMDGPU.csdata,"",@progbits
; Kernel info:
; codeLenInByte = 0
; TotalNumSgprs: 0
; NumVgprs: 0
; ScratchSize: 0
; MemoryBound: 0
; FloatMode: 240
; IeeeMode: 1
; LDSByteSize: 0 bytes/workgroup (compile time only)
; SGPRBlocks: 0
; VGPRBlocks: 0
; NumSGPRsForWavesPerEU: 1
; NumVGPRsForWavesPerEU: 1
; Occupancy: 16
; WaveLimiterHint : 0
; COMPUTE_PGM_RSRC2:SCRATCH_EN: 0
; COMPUTE_PGM_RSRC2:USER_SGPR: 2
; COMPUTE_PGM_RSRC2:TRAP_HANDLER: 0
; COMPUTE_PGM_RSRC2:TGID_X_EN: 1
; COMPUTE_PGM_RSRC2:TGID_Y_EN: 0
; COMPUTE_PGM_RSRC2:TGID_Z_EN: 0
; COMPUTE_PGM_RSRC2:TIDIG_COMP_CNT: 0
	.section	.text._ZN7rocprim17ROCPRIM_400000_NS6detail17trampoline_kernelINS0_14default_configENS1_25partition_config_selectorILNS1_17partition_subalgoE6EtNS0_10empty_typeEbEEZZNS1_14partition_implILS5_6ELb0ES3_mN6thrust23THRUST_200600_302600_NS6detail15normal_iteratorINSA_10device_ptrItEEEEPS6_SG_NS0_5tupleIJNSA_16discard_iteratorINSA_11use_defaultEEES6_EEENSH_IJSG_SG_EEES6_PlJNSB_9not_fun_tI7is_trueItEEEEEE10hipError_tPvRmT3_T4_T5_T6_T7_T9_mT8_P12ihipStream_tbDpT10_ENKUlT_T0_E_clISt17integral_constantIbLb1EES1B_EEDaS16_S17_EUlS16_E_NS1_11comp_targetILNS1_3genE10ELNS1_11target_archE1200ELNS1_3gpuE4ELNS1_3repE0EEENS1_30default_config_static_selectorELNS0_4arch9wavefront6targetE0EEEvT1_,"axG",@progbits,_ZN7rocprim17ROCPRIM_400000_NS6detail17trampoline_kernelINS0_14default_configENS1_25partition_config_selectorILNS1_17partition_subalgoE6EtNS0_10empty_typeEbEEZZNS1_14partition_implILS5_6ELb0ES3_mN6thrust23THRUST_200600_302600_NS6detail15normal_iteratorINSA_10device_ptrItEEEEPS6_SG_NS0_5tupleIJNSA_16discard_iteratorINSA_11use_defaultEEES6_EEENSH_IJSG_SG_EEES6_PlJNSB_9not_fun_tI7is_trueItEEEEEE10hipError_tPvRmT3_T4_T5_T6_T7_T9_mT8_P12ihipStream_tbDpT10_ENKUlT_T0_E_clISt17integral_constantIbLb1EES1B_EEDaS16_S17_EUlS16_E_NS1_11comp_targetILNS1_3genE10ELNS1_11target_archE1200ELNS1_3gpuE4ELNS1_3repE0EEENS1_30default_config_static_selectorELNS0_4arch9wavefront6targetE0EEEvT1_,comdat
	.protected	_ZN7rocprim17ROCPRIM_400000_NS6detail17trampoline_kernelINS0_14default_configENS1_25partition_config_selectorILNS1_17partition_subalgoE6EtNS0_10empty_typeEbEEZZNS1_14partition_implILS5_6ELb0ES3_mN6thrust23THRUST_200600_302600_NS6detail15normal_iteratorINSA_10device_ptrItEEEEPS6_SG_NS0_5tupleIJNSA_16discard_iteratorINSA_11use_defaultEEES6_EEENSH_IJSG_SG_EEES6_PlJNSB_9not_fun_tI7is_trueItEEEEEE10hipError_tPvRmT3_T4_T5_T6_T7_T9_mT8_P12ihipStream_tbDpT10_ENKUlT_T0_E_clISt17integral_constantIbLb1EES1B_EEDaS16_S17_EUlS16_E_NS1_11comp_targetILNS1_3genE10ELNS1_11target_archE1200ELNS1_3gpuE4ELNS1_3repE0EEENS1_30default_config_static_selectorELNS0_4arch9wavefront6targetE0EEEvT1_ ; -- Begin function _ZN7rocprim17ROCPRIM_400000_NS6detail17trampoline_kernelINS0_14default_configENS1_25partition_config_selectorILNS1_17partition_subalgoE6EtNS0_10empty_typeEbEEZZNS1_14partition_implILS5_6ELb0ES3_mN6thrust23THRUST_200600_302600_NS6detail15normal_iteratorINSA_10device_ptrItEEEEPS6_SG_NS0_5tupleIJNSA_16discard_iteratorINSA_11use_defaultEEES6_EEENSH_IJSG_SG_EEES6_PlJNSB_9not_fun_tI7is_trueItEEEEEE10hipError_tPvRmT3_T4_T5_T6_T7_T9_mT8_P12ihipStream_tbDpT10_ENKUlT_T0_E_clISt17integral_constantIbLb1EES1B_EEDaS16_S17_EUlS16_E_NS1_11comp_targetILNS1_3genE10ELNS1_11target_archE1200ELNS1_3gpuE4ELNS1_3repE0EEENS1_30default_config_static_selectorELNS0_4arch9wavefront6targetE0EEEvT1_
	.globl	_ZN7rocprim17ROCPRIM_400000_NS6detail17trampoline_kernelINS0_14default_configENS1_25partition_config_selectorILNS1_17partition_subalgoE6EtNS0_10empty_typeEbEEZZNS1_14partition_implILS5_6ELb0ES3_mN6thrust23THRUST_200600_302600_NS6detail15normal_iteratorINSA_10device_ptrItEEEEPS6_SG_NS0_5tupleIJNSA_16discard_iteratorINSA_11use_defaultEEES6_EEENSH_IJSG_SG_EEES6_PlJNSB_9not_fun_tI7is_trueItEEEEEE10hipError_tPvRmT3_T4_T5_T6_T7_T9_mT8_P12ihipStream_tbDpT10_ENKUlT_T0_E_clISt17integral_constantIbLb1EES1B_EEDaS16_S17_EUlS16_E_NS1_11comp_targetILNS1_3genE10ELNS1_11target_archE1200ELNS1_3gpuE4ELNS1_3repE0EEENS1_30default_config_static_selectorELNS0_4arch9wavefront6targetE0EEEvT1_
	.p2align	8
	.type	_ZN7rocprim17ROCPRIM_400000_NS6detail17trampoline_kernelINS0_14default_configENS1_25partition_config_selectorILNS1_17partition_subalgoE6EtNS0_10empty_typeEbEEZZNS1_14partition_implILS5_6ELb0ES3_mN6thrust23THRUST_200600_302600_NS6detail15normal_iteratorINSA_10device_ptrItEEEEPS6_SG_NS0_5tupleIJNSA_16discard_iteratorINSA_11use_defaultEEES6_EEENSH_IJSG_SG_EEES6_PlJNSB_9not_fun_tI7is_trueItEEEEEE10hipError_tPvRmT3_T4_T5_T6_T7_T9_mT8_P12ihipStream_tbDpT10_ENKUlT_T0_E_clISt17integral_constantIbLb1EES1B_EEDaS16_S17_EUlS16_E_NS1_11comp_targetILNS1_3genE10ELNS1_11target_archE1200ELNS1_3gpuE4ELNS1_3repE0EEENS1_30default_config_static_selectorELNS0_4arch9wavefront6targetE0EEEvT1_,@function
_ZN7rocprim17ROCPRIM_400000_NS6detail17trampoline_kernelINS0_14default_configENS1_25partition_config_selectorILNS1_17partition_subalgoE6EtNS0_10empty_typeEbEEZZNS1_14partition_implILS5_6ELb0ES3_mN6thrust23THRUST_200600_302600_NS6detail15normal_iteratorINSA_10device_ptrItEEEEPS6_SG_NS0_5tupleIJNSA_16discard_iteratorINSA_11use_defaultEEES6_EEENSH_IJSG_SG_EEES6_PlJNSB_9not_fun_tI7is_trueItEEEEEE10hipError_tPvRmT3_T4_T5_T6_T7_T9_mT8_P12ihipStream_tbDpT10_ENKUlT_T0_E_clISt17integral_constantIbLb1EES1B_EEDaS16_S17_EUlS16_E_NS1_11comp_targetILNS1_3genE10ELNS1_11target_archE1200ELNS1_3gpuE4ELNS1_3repE0EEENS1_30default_config_static_selectorELNS0_4arch9wavefront6targetE0EEEvT1_: ; @_ZN7rocprim17ROCPRIM_400000_NS6detail17trampoline_kernelINS0_14default_configENS1_25partition_config_selectorILNS1_17partition_subalgoE6EtNS0_10empty_typeEbEEZZNS1_14partition_implILS5_6ELb0ES3_mN6thrust23THRUST_200600_302600_NS6detail15normal_iteratorINSA_10device_ptrItEEEEPS6_SG_NS0_5tupleIJNSA_16discard_iteratorINSA_11use_defaultEEES6_EEENSH_IJSG_SG_EEES6_PlJNSB_9not_fun_tI7is_trueItEEEEEE10hipError_tPvRmT3_T4_T5_T6_T7_T9_mT8_P12ihipStream_tbDpT10_ENKUlT_T0_E_clISt17integral_constantIbLb1EES1B_EEDaS16_S17_EUlS16_E_NS1_11comp_targetILNS1_3genE10ELNS1_11target_archE1200ELNS1_3gpuE4ELNS1_3repE0EEENS1_30default_config_static_selectorELNS0_4arch9wavefront6targetE0EEEvT1_
; %bb.0:
	s_endpgm
	.section	.rodata,"a",@progbits
	.p2align	6, 0x0
	.amdhsa_kernel _ZN7rocprim17ROCPRIM_400000_NS6detail17trampoline_kernelINS0_14default_configENS1_25partition_config_selectorILNS1_17partition_subalgoE6EtNS0_10empty_typeEbEEZZNS1_14partition_implILS5_6ELb0ES3_mN6thrust23THRUST_200600_302600_NS6detail15normal_iteratorINSA_10device_ptrItEEEEPS6_SG_NS0_5tupleIJNSA_16discard_iteratorINSA_11use_defaultEEES6_EEENSH_IJSG_SG_EEES6_PlJNSB_9not_fun_tI7is_trueItEEEEEE10hipError_tPvRmT3_T4_T5_T6_T7_T9_mT8_P12ihipStream_tbDpT10_ENKUlT_T0_E_clISt17integral_constantIbLb1EES1B_EEDaS16_S17_EUlS16_E_NS1_11comp_targetILNS1_3genE10ELNS1_11target_archE1200ELNS1_3gpuE4ELNS1_3repE0EEENS1_30default_config_static_selectorELNS0_4arch9wavefront6targetE0EEEvT1_
		.amdhsa_group_segment_fixed_size 0
		.amdhsa_private_segment_fixed_size 0
		.amdhsa_kernarg_size 136
		.amdhsa_user_sgpr_count 2
		.amdhsa_user_sgpr_dispatch_ptr 0
		.amdhsa_user_sgpr_queue_ptr 0
		.amdhsa_user_sgpr_kernarg_segment_ptr 1
		.amdhsa_user_sgpr_dispatch_id 0
		.amdhsa_user_sgpr_private_segment_size 0
		.amdhsa_wavefront_size32 1
		.amdhsa_uses_dynamic_stack 0
		.amdhsa_enable_private_segment 0
		.amdhsa_system_sgpr_workgroup_id_x 1
		.amdhsa_system_sgpr_workgroup_id_y 0
		.amdhsa_system_sgpr_workgroup_id_z 0
		.amdhsa_system_sgpr_workgroup_info 0
		.amdhsa_system_vgpr_workitem_id 0
		.amdhsa_next_free_vgpr 1
		.amdhsa_next_free_sgpr 1
		.amdhsa_reserve_vcc 0
		.amdhsa_float_round_mode_32 0
		.amdhsa_float_round_mode_16_64 0
		.amdhsa_float_denorm_mode_32 3
		.amdhsa_float_denorm_mode_16_64 3
		.amdhsa_fp16_overflow 0
		.amdhsa_workgroup_processor_mode 1
		.amdhsa_memory_ordered 1
		.amdhsa_forward_progress 1
		.amdhsa_inst_pref_size 1
		.amdhsa_round_robin_scheduling 0
		.amdhsa_exception_fp_ieee_invalid_op 0
		.amdhsa_exception_fp_denorm_src 0
		.amdhsa_exception_fp_ieee_div_zero 0
		.amdhsa_exception_fp_ieee_overflow 0
		.amdhsa_exception_fp_ieee_underflow 0
		.amdhsa_exception_fp_ieee_inexact 0
		.amdhsa_exception_int_div_zero 0
	.end_amdhsa_kernel
	.section	.text._ZN7rocprim17ROCPRIM_400000_NS6detail17trampoline_kernelINS0_14default_configENS1_25partition_config_selectorILNS1_17partition_subalgoE6EtNS0_10empty_typeEbEEZZNS1_14partition_implILS5_6ELb0ES3_mN6thrust23THRUST_200600_302600_NS6detail15normal_iteratorINSA_10device_ptrItEEEEPS6_SG_NS0_5tupleIJNSA_16discard_iteratorINSA_11use_defaultEEES6_EEENSH_IJSG_SG_EEES6_PlJNSB_9not_fun_tI7is_trueItEEEEEE10hipError_tPvRmT3_T4_T5_T6_T7_T9_mT8_P12ihipStream_tbDpT10_ENKUlT_T0_E_clISt17integral_constantIbLb1EES1B_EEDaS16_S17_EUlS16_E_NS1_11comp_targetILNS1_3genE10ELNS1_11target_archE1200ELNS1_3gpuE4ELNS1_3repE0EEENS1_30default_config_static_selectorELNS0_4arch9wavefront6targetE0EEEvT1_,"axG",@progbits,_ZN7rocprim17ROCPRIM_400000_NS6detail17trampoline_kernelINS0_14default_configENS1_25partition_config_selectorILNS1_17partition_subalgoE6EtNS0_10empty_typeEbEEZZNS1_14partition_implILS5_6ELb0ES3_mN6thrust23THRUST_200600_302600_NS6detail15normal_iteratorINSA_10device_ptrItEEEEPS6_SG_NS0_5tupleIJNSA_16discard_iteratorINSA_11use_defaultEEES6_EEENSH_IJSG_SG_EEES6_PlJNSB_9not_fun_tI7is_trueItEEEEEE10hipError_tPvRmT3_T4_T5_T6_T7_T9_mT8_P12ihipStream_tbDpT10_ENKUlT_T0_E_clISt17integral_constantIbLb1EES1B_EEDaS16_S17_EUlS16_E_NS1_11comp_targetILNS1_3genE10ELNS1_11target_archE1200ELNS1_3gpuE4ELNS1_3repE0EEENS1_30default_config_static_selectorELNS0_4arch9wavefront6targetE0EEEvT1_,comdat
.Lfunc_end2218:
	.size	_ZN7rocprim17ROCPRIM_400000_NS6detail17trampoline_kernelINS0_14default_configENS1_25partition_config_selectorILNS1_17partition_subalgoE6EtNS0_10empty_typeEbEEZZNS1_14partition_implILS5_6ELb0ES3_mN6thrust23THRUST_200600_302600_NS6detail15normal_iteratorINSA_10device_ptrItEEEEPS6_SG_NS0_5tupleIJNSA_16discard_iteratorINSA_11use_defaultEEES6_EEENSH_IJSG_SG_EEES6_PlJNSB_9not_fun_tI7is_trueItEEEEEE10hipError_tPvRmT3_T4_T5_T6_T7_T9_mT8_P12ihipStream_tbDpT10_ENKUlT_T0_E_clISt17integral_constantIbLb1EES1B_EEDaS16_S17_EUlS16_E_NS1_11comp_targetILNS1_3genE10ELNS1_11target_archE1200ELNS1_3gpuE4ELNS1_3repE0EEENS1_30default_config_static_selectorELNS0_4arch9wavefront6targetE0EEEvT1_, .Lfunc_end2218-_ZN7rocprim17ROCPRIM_400000_NS6detail17trampoline_kernelINS0_14default_configENS1_25partition_config_selectorILNS1_17partition_subalgoE6EtNS0_10empty_typeEbEEZZNS1_14partition_implILS5_6ELb0ES3_mN6thrust23THRUST_200600_302600_NS6detail15normal_iteratorINSA_10device_ptrItEEEEPS6_SG_NS0_5tupleIJNSA_16discard_iteratorINSA_11use_defaultEEES6_EEENSH_IJSG_SG_EEES6_PlJNSB_9not_fun_tI7is_trueItEEEEEE10hipError_tPvRmT3_T4_T5_T6_T7_T9_mT8_P12ihipStream_tbDpT10_ENKUlT_T0_E_clISt17integral_constantIbLb1EES1B_EEDaS16_S17_EUlS16_E_NS1_11comp_targetILNS1_3genE10ELNS1_11target_archE1200ELNS1_3gpuE4ELNS1_3repE0EEENS1_30default_config_static_selectorELNS0_4arch9wavefront6targetE0EEEvT1_
                                        ; -- End function
	.set _ZN7rocprim17ROCPRIM_400000_NS6detail17trampoline_kernelINS0_14default_configENS1_25partition_config_selectorILNS1_17partition_subalgoE6EtNS0_10empty_typeEbEEZZNS1_14partition_implILS5_6ELb0ES3_mN6thrust23THRUST_200600_302600_NS6detail15normal_iteratorINSA_10device_ptrItEEEEPS6_SG_NS0_5tupleIJNSA_16discard_iteratorINSA_11use_defaultEEES6_EEENSH_IJSG_SG_EEES6_PlJNSB_9not_fun_tI7is_trueItEEEEEE10hipError_tPvRmT3_T4_T5_T6_T7_T9_mT8_P12ihipStream_tbDpT10_ENKUlT_T0_E_clISt17integral_constantIbLb1EES1B_EEDaS16_S17_EUlS16_E_NS1_11comp_targetILNS1_3genE10ELNS1_11target_archE1200ELNS1_3gpuE4ELNS1_3repE0EEENS1_30default_config_static_selectorELNS0_4arch9wavefront6targetE0EEEvT1_.num_vgpr, 0
	.set _ZN7rocprim17ROCPRIM_400000_NS6detail17trampoline_kernelINS0_14default_configENS1_25partition_config_selectorILNS1_17partition_subalgoE6EtNS0_10empty_typeEbEEZZNS1_14partition_implILS5_6ELb0ES3_mN6thrust23THRUST_200600_302600_NS6detail15normal_iteratorINSA_10device_ptrItEEEEPS6_SG_NS0_5tupleIJNSA_16discard_iteratorINSA_11use_defaultEEES6_EEENSH_IJSG_SG_EEES6_PlJNSB_9not_fun_tI7is_trueItEEEEEE10hipError_tPvRmT3_T4_T5_T6_T7_T9_mT8_P12ihipStream_tbDpT10_ENKUlT_T0_E_clISt17integral_constantIbLb1EES1B_EEDaS16_S17_EUlS16_E_NS1_11comp_targetILNS1_3genE10ELNS1_11target_archE1200ELNS1_3gpuE4ELNS1_3repE0EEENS1_30default_config_static_selectorELNS0_4arch9wavefront6targetE0EEEvT1_.num_agpr, 0
	.set _ZN7rocprim17ROCPRIM_400000_NS6detail17trampoline_kernelINS0_14default_configENS1_25partition_config_selectorILNS1_17partition_subalgoE6EtNS0_10empty_typeEbEEZZNS1_14partition_implILS5_6ELb0ES3_mN6thrust23THRUST_200600_302600_NS6detail15normal_iteratorINSA_10device_ptrItEEEEPS6_SG_NS0_5tupleIJNSA_16discard_iteratorINSA_11use_defaultEEES6_EEENSH_IJSG_SG_EEES6_PlJNSB_9not_fun_tI7is_trueItEEEEEE10hipError_tPvRmT3_T4_T5_T6_T7_T9_mT8_P12ihipStream_tbDpT10_ENKUlT_T0_E_clISt17integral_constantIbLb1EES1B_EEDaS16_S17_EUlS16_E_NS1_11comp_targetILNS1_3genE10ELNS1_11target_archE1200ELNS1_3gpuE4ELNS1_3repE0EEENS1_30default_config_static_selectorELNS0_4arch9wavefront6targetE0EEEvT1_.numbered_sgpr, 0
	.set _ZN7rocprim17ROCPRIM_400000_NS6detail17trampoline_kernelINS0_14default_configENS1_25partition_config_selectorILNS1_17partition_subalgoE6EtNS0_10empty_typeEbEEZZNS1_14partition_implILS5_6ELb0ES3_mN6thrust23THRUST_200600_302600_NS6detail15normal_iteratorINSA_10device_ptrItEEEEPS6_SG_NS0_5tupleIJNSA_16discard_iteratorINSA_11use_defaultEEES6_EEENSH_IJSG_SG_EEES6_PlJNSB_9not_fun_tI7is_trueItEEEEEE10hipError_tPvRmT3_T4_T5_T6_T7_T9_mT8_P12ihipStream_tbDpT10_ENKUlT_T0_E_clISt17integral_constantIbLb1EES1B_EEDaS16_S17_EUlS16_E_NS1_11comp_targetILNS1_3genE10ELNS1_11target_archE1200ELNS1_3gpuE4ELNS1_3repE0EEENS1_30default_config_static_selectorELNS0_4arch9wavefront6targetE0EEEvT1_.num_named_barrier, 0
	.set _ZN7rocprim17ROCPRIM_400000_NS6detail17trampoline_kernelINS0_14default_configENS1_25partition_config_selectorILNS1_17partition_subalgoE6EtNS0_10empty_typeEbEEZZNS1_14partition_implILS5_6ELb0ES3_mN6thrust23THRUST_200600_302600_NS6detail15normal_iteratorINSA_10device_ptrItEEEEPS6_SG_NS0_5tupleIJNSA_16discard_iteratorINSA_11use_defaultEEES6_EEENSH_IJSG_SG_EEES6_PlJNSB_9not_fun_tI7is_trueItEEEEEE10hipError_tPvRmT3_T4_T5_T6_T7_T9_mT8_P12ihipStream_tbDpT10_ENKUlT_T0_E_clISt17integral_constantIbLb1EES1B_EEDaS16_S17_EUlS16_E_NS1_11comp_targetILNS1_3genE10ELNS1_11target_archE1200ELNS1_3gpuE4ELNS1_3repE0EEENS1_30default_config_static_selectorELNS0_4arch9wavefront6targetE0EEEvT1_.private_seg_size, 0
	.set _ZN7rocprim17ROCPRIM_400000_NS6detail17trampoline_kernelINS0_14default_configENS1_25partition_config_selectorILNS1_17partition_subalgoE6EtNS0_10empty_typeEbEEZZNS1_14partition_implILS5_6ELb0ES3_mN6thrust23THRUST_200600_302600_NS6detail15normal_iteratorINSA_10device_ptrItEEEEPS6_SG_NS0_5tupleIJNSA_16discard_iteratorINSA_11use_defaultEEES6_EEENSH_IJSG_SG_EEES6_PlJNSB_9not_fun_tI7is_trueItEEEEEE10hipError_tPvRmT3_T4_T5_T6_T7_T9_mT8_P12ihipStream_tbDpT10_ENKUlT_T0_E_clISt17integral_constantIbLb1EES1B_EEDaS16_S17_EUlS16_E_NS1_11comp_targetILNS1_3genE10ELNS1_11target_archE1200ELNS1_3gpuE4ELNS1_3repE0EEENS1_30default_config_static_selectorELNS0_4arch9wavefront6targetE0EEEvT1_.uses_vcc, 0
	.set _ZN7rocprim17ROCPRIM_400000_NS6detail17trampoline_kernelINS0_14default_configENS1_25partition_config_selectorILNS1_17partition_subalgoE6EtNS0_10empty_typeEbEEZZNS1_14partition_implILS5_6ELb0ES3_mN6thrust23THRUST_200600_302600_NS6detail15normal_iteratorINSA_10device_ptrItEEEEPS6_SG_NS0_5tupleIJNSA_16discard_iteratorINSA_11use_defaultEEES6_EEENSH_IJSG_SG_EEES6_PlJNSB_9not_fun_tI7is_trueItEEEEEE10hipError_tPvRmT3_T4_T5_T6_T7_T9_mT8_P12ihipStream_tbDpT10_ENKUlT_T0_E_clISt17integral_constantIbLb1EES1B_EEDaS16_S17_EUlS16_E_NS1_11comp_targetILNS1_3genE10ELNS1_11target_archE1200ELNS1_3gpuE4ELNS1_3repE0EEENS1_30default_config_static_selectorELNS0_4arch9wavefront6targetE0EEEvT1_.uses_flat_scratch, 0
	.set _ZN7rocprim17ROCPRIM_400000_NS6detail17trampoline_kernelINS0_14default_configENS1_25partition_config_selectorILNS1_17partition_subalgoE6EtNS0_10empty_typeEbEEZZNS1_14partition_implILS5_6ELb0ES3_mN6thrust23THRUST_200600_302600_NS6detail15normal_iteratorINSA_10device_ptrItEEEEPS6_SG_NS0_5tupleIJNSA_16discard_iteratorINSA_11use_defaultEEES6_EEENSH_IJSG_SG_EEES6_PlJNSB_9not_fun_tI7is_trueItEEEEEE10hipError_tPvRmT3_T4_T5_T6_T7_T9_mT8_P12ihipStream_tbDpT10_ENKUlT_T0_E_clISt17integral_constantIbLb1EES1B_EEDaS16_S17_EUlS16_E_NS1_11comp_targetILNS1_3genE10ELNS1_11target_archE1200ELNS1_3gpuE4ELNS1_3repE0EEENS1_30default_config_static_selectorELNS0_4arch9wavefront6targetE0EEEvT1_.has_dyn_sized_stack, 0
	.set _ZN7rocprim17ROCPRIM_400000_NS6detail17trampoline_kernelINS0_14default_configENS1_25partition_config_selectorILNS1_17partition_subalgoE6EtNS0_10empty_typeEbEEZZNS1_14partition_implILS5_6ELb0ES3_mN6thrust23THRUST_200600_302600_NS6detail15normal_iteratorINSA_10device_ptrItEEEEPS6_SG_NS0_5tupleIJNSA_16discard_iteratorINSA_11use_defaultEEES6_EEENSH_IJSG_SG_EEES6_PlJNSB_9not_fun_tI7is_trueItEEEEEE10hipError_tPvRmT3_T4_T5_T6_T7_T9_mT8_P12ihipStream_tbDpT10_ENKUlT_T0_E_clISt17integral_constantIbLb1EES1B_EEDaS16_S17_EUlS16_E_NS1_11comp_targetILNS1_3genE10ELNS1_11target_archE1200ELNS1_3gpuE4ELNS1_3repE0EEENS1_30default_config_static_selectorELNS0_4arch9wavefront6targetE0EEEvT1_.has_recursion, 0
	.set _ZN7rocprim17ROCPRIM_400000_NS6detail17trampoline_kernelINS0_14default_configENS1_25partition_config_selectorILNS1_17partition_subalgoE6EtNS0_10empty_typeEbEEZZNS1_14partition_implILS5_6ELb0ES3_mN6thrust23THRUST_200600_302600_NS6detail15normal_iteratorINSA_10device_ptrItEEEEPS6_SG_NS0_5tupleIJNSA_16discard_iteratorINSA_11use_defaultEEES6_EEENSH_IJSG_SG_EEES6_PlJNSB_9not_fun_tI7is_trueItEEEEEE10hipError_tPvRmT3_T4_T5_T6_T7_T9_mT8_P12ihipStream_tbDpT10_ENKUlT_T0_E_clISt17integral_constantIbLb1EES1B_EEDaS16_S17_EUlS16_E_NS1_11comp_targetILNS1_3genE10ELNS1_11target_archE1200ELNS1_3gpuE4ELNS1_3repE0EEENS1_30default_config_static_selectorELNS0_4arch9wavefront6targetE0EEEvT1_.has_indirect_call, 0
	.section	.AMDGPU.csdata,"",@progbits
; Kernel info:
; codeLenInByte = 4
; TotalNumSgprs: 0
; NumVgprs: 0
; ScratchSize: 0
; MemoryBound: 0
; FloatMode: 240
; IeeeMode: 1
; LDSByteSize: 0 bytes/workgroup (compile time only)
; SGPRBlocks: 0
; VGPRBlocks: 0
; NumSGPRsForWavesPerEU: 1
; NumVGPRsForWavesPerEU: 1
; Occupancy: 16
; WaveLimiterHint : 0
; COMPUTE_PGM_RSRC2:SCRATCH_EN: 0
; COMPUTE_PGM_RSRC2:USER_SGPR: 2
; COMPUTE_PGM_RSRC2:TRAP_HANDLER: 0
; COMPUTE_PGM_RSRC2:TGID_X_EN: 1
; COMPUTE_PGM_RSRC2:TGID_Y_EN: 0
; COMPUTE_PGM_RSRC2:TGID_Z_EN: 0
; COMPUTE_PGM_RSRC2:TIDIG_COMP_CNT: 0
	.section	.text._ZN7rocprim17ROCPRIM_400000_NS6detail17trampoline_kernelINS0_14default_configENS1_25partition_config_selectorILNS1_17partition_subalgoE6EtNS0_10empty_typeEbEEZZNS1_14partition_implILS5_6ELb0ES3_mN6thrust23THRUST_200600_302600_NS6detail15normal_iteratorINSA_10device_ptrItEEEEPS6_SG_NS0_5tupleIJNSA_16discard_iteratorINSA_11use_defaultEEES6_EEENSH_IJSG_SG_EEES6_PlJNSB_9not_fun_tI7is_trueItEEEEEE10hipError_tPvRmT3_T4_T5_T6_T7_T9_mT8_P12ihipStream_tbDpT10_ENKUlT_T0_E_clISt17integral_constantIbLb1EES1B_EEDaS16_S17_EUlS16_E_NS1_11comp_targetILNS1_3genE9ELNS1_11target_archE1100ELNS1_3gpuE3ELNS1_3repE0EEENS1_30default_config_static_selectorELNS0_4arch9wavefront6targetE0EEEvT1_,"axG",@progbits,_ZN7rocprim17ROCPRIM_400000_NS6detail17trampoline_kernelINS0_14default_configENS1_25partition_config_selectorILNS1_17partition_subalgoE6EtNS0_10empty_typeEbEEZZNS1_14partition_implILS5_6ELb0ES3_mN6thrust23THRUST_200600_302600_NS6detail15normal_iteratorINSA_10device_ptrItEEEEPS6_SG_NS0_5tupleIJNSA_16discard_iteratorINSA_11use_defaultEEES6_EEENSH_IJSG_SG_EEES6_PlJNSB_9not_fun_tI7is_trueItEEEEEE10hipError_tPvRmT3_T4_T5_T6_T7_T9_mT8_P12ihipStream_tbDpT10_ENKUlT_T0_E_clISt17integral_constantIbLb1EES1B_EEDaS16_S17_EUlS16_E_NS1_11comp_targetILNS1_3genE9ELNS1_11target_archE1100ELNS1_3gpuE3ELNS1_3repE0EEENS1_30default_config_static_selectorELNS0_4arch9wavefront6targetE0EEEvT1_,comdat
	.protected	_ZN7rocprim17ROCPRIM_400000_NS6detail17trampoline_kernelINS0_14default_configENS1_25partition_config_selectorILNS1_17partition_subalgoE6EtNS0_10empty_typeEbEEZZNS1_14partition_implILS5_6ELb0ES3_mN6thrust23THRUST_200600_302600_NS6detail15normal_iteratorINSA_10device_ptrItEEEEPS6_SG_NS0_5tupleIJNSA_16discard_iteratorINSA_11use_defaultEEES6_EEENSH_IJSG_SG_EEES6_PlJNSB_9not_fun_tI7is_trueItEEEEEE10hipError_tPvRmT3_T4_T5_T6_T7_T9_mT8_P12ihipStream_tbDpT10_ENKUlT_T0_E_clISt17integral_constantIbLb1EES1B_EEDaS16_S17_EUlS16_E_NS1_11comp_targetILNS1_3genE9ELNS1_11target_archE1100ELNS1_3gpuE3ELNS1_3repE0EEENS1_30default_config_static_selectorELNS0_4arch9wavefront6targetE0EEEvT1_ ; -- Begin function _ZN7rocprim17ROCPRIM_400000_NS6detail17trampoline_kernelINS0_14default_configENS1_25partition_config_selectorILNS1_17partition_subalgoE6EtNS0_10empty_typeEbEEZZNS1_14partition_implILS5_6ELb0ES3_mN6thrust23THRUST_200600_302600_NS6detail15normal_iteratorINSA_10device_ptrItEEEEPS6_SG_NS0_5tupleIJNSA_16discard_iteratorINSA_11use_defaultEEES6_EEENSH_IJSG_SG_EEES6_PlJNSB_9not_fun_tI7is_trueItEEEEEE10hipError_tPvRmT3_T4_T5_T6_T7_T9_mT8_P12ihipStream_tbDpT10_ENKUlT_T0_E_clISt17integral_constantIbLb1EES1B_EEDaS16_S17_EUlS16_E_NS1_11comp_targetILNS1_3genE9ELNS1_11target_archE1100ELNS1_3gpuE3ELNS1_3repE0EEENS1_30default_config_static_selectorELNS0_4arch9wavefront6targetE0EEEvT1_
	.globl	_ZN7rocprim17ROCPRIM_400000_NS6detail17trampoline_kernelINS0_14default_configENS1_25partition_config_selectorILNS1_17partition_subalgoE6EtNS0_10empty_typeEbEEZZNS1_14partition_implILS5_6ELb0ES3_mN6thrust23THRUST_200600_302600_NS6detail15normal_iteratorINSA_10device_ptrItEEEEPS6_SG_NS0_5tupleIJNSA_16discard_iteratorINSA_11use_defaultEEES6_EEENSH_IJSG_SG_EEES6_PlJNSB_9not_fun_tI7is_trueItEEEEEE10hipError_tPvRmT3_T4_T5_T6_T7_T9_mT8_P12ihipStream_tbDpT10_ENKUlT_T0_E_clISt17integral_constantIbLb1EES1B_EEDaS16_S17_EUlS16_E_NS1_11comp_targetILNS1_3genE9ELNS1_11target_archE1100ELNS1_3gpuE3ELNS1_3repE0EEENS1_30default_config_static_selectorELNS0_4arch9wavefront6targetE0EEEvT1_
	.p2align	8
	.type	_ZN7rocprim17ROCPRIM_400000_NS6detail17trampoline_kernelINS0_14default_configENS1_25partition_config_selectorILNS1_17partition_subalgoE6EtNS0_10empty_typeEbEEZZNS1_14partition_implILS5_6ELb0ES3_mN6thrust23THRUST_200600_302600_NS6detail15normal_iteratorINSA_10device_ptrItEEEEPS6_SG_NS0_5tupleIJNSA_16discard_iteratorINSA_11use_defaultEEES6_EEENSH_IJSG_SG_EEES6_PlJNSB_9not_fun_tI7is_trueItEEEEEE10hipError_tPvRmT3_T4_T5_T6_T7_T9_mT8_P12ihipStream_tbDpT10_ENKUlT_T0_E_clISt17integral_constantIbLb1EES1B_EEDaS16_S17_EUlS16_E_NS1_11comp_targetILNS1_3genE9ELNS1_11target_archE1100ELNS1_3gpuE3ELNS1_3repE0EEENS1_30default_config_static_selectorELNS0_4arch9wavefront6targetE0EEEvT1_,@function
_ZN7rocprim17ROCPRIM_400000_NS6detail17trampoline_kernelINS0_14default_configENS1_25partition_config_selectorILNS1_17partition_subalgoE6EtNS0_10empty_typeEbEEZZNS1_14partition_implILS5_6ELb0ES3_mN6thrust23THRUST_200600_302600_NS6detail15normal_iteratorINSA_10device_ptrItEEEEPS6_SG_NS0_5tupleIJNSA_16discard_iteratorINSA_11use_defaultEEES6_EEENSH_IJSG_SG_EEES6_PlJNSB_9not_fun_tI7is_trueItEEEEEE10hipError_tPvRmT3_T4_T5_T6_T7_T9_mT8_P12ihipStream_tbDpT10_ENKUlT_T0_E_clISt17integral_constantIbLb1EES1B_EEDaS16_S17_EUlS16_E_NS1_11comp_targetILNS1_3genE9ELNS1_11target_archE1100ELNS1_3gpuE3ELNS1_3repE0EEENS1_30default_config_static_selectorELNS0_4arch9wavefront6targetE0EEEvT1_: ; @_ZN7rocprim17ROCPRIM_400000_NS6detail17trampoline_kernelINS0_14default_configENS1_25partition_config_selectorILNS1_17partition_subalgoE6EtNS0_10empty_typeEbEEZZNS1_14partition_implILS5_6ELb0ES3_mN6thrust23THRUST_200600_302600_NS6detail15normal_iteratorINSA_10device_ptrItEEEEPS6_SG_NS0_5tupleIJNSA_16discard_iteratorINSA_11use_defaultEEES6_EEENSH_IJSG_SG_EEES6_PlJNSB_9not_fun_tI7is_trueItEEEEEE10hipError_tPvRmT3_T4_T5_T6_T7_T9_mT8_P12ihipStream_tbDpT10_ENKUlT_T0_E_clISt17integral_constantIbLb1EES1B_EEDaS16_S17_EUlS16_E_NS1_11comp_targetILNS1_3genE9ELNS1_11target_archE1100ELNS1_3gpuE3ELNS1_3repE0EEENS1_30default_config_static_selectorELNS0_4arch9wavefront6targetE0EEEvT1_
; %bb.0:
	.section	.rodata,"a",@progbits
	.p2align	6, 0x0
	.amdhsa_kernel _ZN7rocprim17ROCPRIM_400000_NS6detail17trampoline_kernelINS0_14default_configENS1_25partition_config_selectorILNS1_17partition_subalgoE6EtNS0_10empty_typeEbEEZZNS1_14partition_implILS5_6ELb0ES3_mN6thrust23THRUST_200600_302600_NS6detail15normal_iteratorINSA_10device_ptrItEEEEPS6_SG_NS0_5tupleIJNSA_16discard_iteratorINSA_11use_defaultEEES6_EEENSH_IJSG_SG_EEES6_PlJNSB_9not_fun_tI7is_trueItEEEEEE10hipError_tPvRmT3_T4_T5_T6_T7_T9_mT8_P12ihipStream_tbDpT10_ENKUlT_T0_E_clISt17integral_constantIbLb1EES1B_EEDaS16_S17_EUlS16_E_NS1_11comp_targetILNS1_3genE9ELNS1_11target_archE1100ELNS1_3gpuE3ELNS1_3repE0EEENS1_30default_config_static_selectorELNS0_4arch9wavefront6targetE0EEEvT1_
		.amdhsa_group_segment_fixed_size 0
		.amdhsa_private_segment_fixed_size 0
		.amdhsa_kernarg_size 136
		.amdhsa_user_sgpr_count 2
		.amdhsa_user_sgpr_dispatch_ptr 0
		.amdhsa_user_sgpr_queue_ptr 0
		.amdhsa_user_sgpr_kernarg_segment_ptr 1
		.amdhsa_user_sgpr_dispatch_id 0
		.amdhsa_user_sgpr_private_segment_size 0
		.amdhsa_wavefront_size32 1
		.amdhsa_uses_dynamic_stack 0
		.amdhsa_enable_private_segment 0
		.amdhsa_system_sgpr_workgroup_id_x 1
		.amdhsa_system_sgpr_workgroup_id_y 0
		.amdhsa_system_sgpr_workgroup_id_z 0
		.amdhsa_system_sgpr_workgroup_info 0
		.amdhsa_system_vgpr_workitem_id 0
		.amdhsa_next_free_vgpr 1
		.amdhsa_next_free_sgpr 1
		.amdhsa_reserve_vcc 0
		.amdhsa_float_round_mode_32 0
		.amdhsa_float_round_mode_16_64 0
		.amdhsa_float_denorm_mode_32 3
		.amdhsa_float_denorm_mode_16_64 3
		.amdhsa_fp16_overflow 0
		.amdhsa_workgroup_processor_mode 1
		.amdhsa_memory_ordered 1
		.amdhsa_forward_progress 1
		.amdhsa_inst_pref_size 0
		.amdhsa_round_robin_scheduling 0
		.amdhsa_exception_fp_ieee_invalid_op 0
		.amdhsa_exception_fp_denorm_src 0
		.amdhsa_exception_fp_ieee_div_zero 0
		.amdhsa_exception_fp_ieee_overflow 0
		.amdhsa_exception_fp_ieee_underflow 0
		.amdhsa_exception_fp_ieee_inexact 0
		.amdhsa_exception_int_div_zero 0
	.end_amdhsa_kernel
	.section	.text._ZN7rocprim17ROCPRIM_400000_NS6detail17trampoline_kernelINS0_14default_configENS1_25partition_config_selectorILNS1_17partition_subalgoE6EtNS0_10empty_typeEbEEZZNS1_14partition_implILS5_6ELb0ES3_mN6thrust23THRUST_200600_302600_NS6detail15normal_iteratorINSA_10device_ptrItEEEEPS6_SG_NS0_5tupleIJNSA_16discard_iteratorINSA_11use_defaultEEES6_EEENSH_IJSG_SG_EEES6_PlJNSB_9not_fun_tI7is_trueItEEEEEE10hipError_tPvRmT3_T4_T5_T6_T7_T9_mT8_P12ihipStream_tbDpT10_ENKUlT_T0_E_clISt17integral_constantIbLb1EES1B_EEDaS16_S17_EUlS16_E_NS1_11comp_targetILNS1_3genE9ELNS1_11target_archE1100ELNS1_3gpuE3ELNS1_3repE0EEENS1_30default_config_static_selectorELNS0_4arch9wavefront6targetE0EEEvT1_,"axG",@progbits,_ZN7rocprim17ROCPRIM_400000_NS6detail17trampoline_kernelINS0_14default_configENS1_25partition_config_selectorILNS1_17partition_subalgoE6EtNS0_10empty_typeEbEEZZNS1_14partition_implILS5_6ELb0ES3_mN6thrust23THRUST_200600_302600_NS6detail15normal_iteratorINSA_10device_ptrItEEEEPS6_SG_NS0_5tupleIJNSA_16discard_iteratorINSA_11use_defaultEEES6_EEENSH_IJSG_SG_EEES6_PlJNSB_9not_fun_tI7is_trueItEEEEEE10hipError_tPvRmT3_T4_T5_T6_T7_T9_mT8_P12ihipStream_tbDpT10_ENKUlT_T0_E_clISt17integral_constantIbLb1EES1B_EEDaS16_S17_EUlS16_E_NS1_11comp_targetILNS1_3genE9ELNS1_11target_archE1100ELNS1_3gpuE3ELNS1_3repE0EEENS1_30default_config_static_selectorELNS0_4arch9wavefront6targetE0EEEvT1_,comdat
.Lfunc_end2219:
	.size	_ZN7rocprim17ROCPRIM_400000_NS6detail17trampoline_kernelINS0_14default_configENS1_25partition_config_selectorILNS1_17partition_subalgoE6EtNS0_10empty_typeEbEEZZNS1_14partition_implILS5_6ELb0ES3_mN6thrust23THRUST_200600_302600_NS6detail15normal_iteratorINSA_10device_ptrItEEEEPS6_SG_NS0_5tupleIJNSA_16discard_iteratorINSA_11use_defaultEEES6_EEENSH_IJSG_SG_EEES6_PlJNSB_9not_fun_tI7is_trueItEEEEEE10hipError_tPvRmT3_T4_T5_T6_T7_T9_mT8_P12ihipStream_tbDpT10_ENKUlT_T0_E_clISt17integral_constantIbLb1EES1B_EEDaS16_S17_EUlS16_E_NS1_11comp_targetILNS1_3genE9ELNS1_11target_archE1100ELNS1_3gpuE3ELNS1_3repE0EEENS1_30default_config_static_selectorELNS0_4arch9wavefront6targetE0EEEvT1_, .Lfunc_end2219-_ZN7rocprim17ROCPRIM_400000_NS6detail17trampoline_kernelINS0_14default_configENS1_25partition_config_selectorILNS1_17partition_subalgoE6EtNS0_10empty_typeEbEEZZNS1_14partition_implILS5_6ELb0ES3_mN6thrust23THRUST_200600_302600_NS6detail15normal_iteratorINSA_10device_ptrItEEEEPS6_SG_NS0_5tupleIJNSA_16discard_iteratorINSA_11use_defaultEEES6_EEENSH_IJSG_SG_EEES6_PlJNSB_9not_fun_tI7is_trueItEEEEEE10hipError_tPvRmT3_T4_T5_T6_T7_T9_mT8_P12ihipStream_tbDpT10_ENKUlT_T0_E_clISt17integral_constantIbLb1EES1B_EEDaS16_S17_EUlS16_E_NS1_11comp_targetILNS1_3genE9ELNS1_11target_archE1100ELNS1_3gpuE3ELNS1_3repE0EEENS1_30default_config_static_selectorELNS0_4arch9wavefront6targetE0EEEvT1_
                                        ; -- End function
	.set _ZN7rocprim17ROCPRIM_400000_NS6detail17trampoline_kernelINS0_14default_configENS1_25partition_config_selectorILNS1_17partition_subalgoE6EtNS0_10empty_typeEbEEZZNS1_14partition_implILS5_6ELb0ES3_mN6thrust23THRUST_200600_302600_NS6detail15normal_iteratorINSA_10device_ptrItEEEEPS6_SG_NS0_5tupleIJNSA_16discard_iteratorINSA_11use_defaultEEES6_EEENSH_IJSG_SG_EEES6_PlJNSB_9not_fun_tI7is_trueItEEEEEE10hipError_tPvRmT3_T4_T5_T6_T7_T9_mT8_P12ihipStream_tbDpT10_ENKUlT_T0_E_clISt17integral_constantIbLb1EES1B_EEDaS16_S17_EUlS16_E_NS1_11comp_targetILNS1_3genE9ELNS1_11target_archE1100ELNS1_3gpuE3ELNS1_3repE0EEENS1_30default_config_static_selectorELNS0_4arch9wavefront6targetE0EEEvT1_.num_vgpr, 0
	.set _ZN7rocprim17ROCPRIM_400000_NS6detail17trampoline_kernelINS0_14default_configENS1_25partition_config_selectorILNS1_17partition_subalgoE6EtNS0_10empty_typeEbEEZZNS1_14partition_implILS5_6ELb0ES3_mN6thrust23THRUST_200600_302600_NS6detail15normal_iteratorINSA_10device_ptrItEEEEPS6_SG_NS0_5tupleIJNSA_16discard_iteratorINSA_11use_defaultEEES6_EEENSH_IJSG_SG_EEES6_PlJNSB_9not_fun_tI7is_trueItEEEEEE10hipError_tPvRmT3_T4_T5_T6_T7_T9_mT8_P12ihipStream_tbDpT10_ENKUlT_T0_E_clISt17integral_constantIbLb1EES1B_EEDaS16_S17_EUlS16_E_NS1_11comp_targetILNS1_3genE9ELNS1_11target_archE1100ELNS1_3gpuE3ELNS1_3repE0EEENS1_30default_config_static_selectorELNS0_4arch9wavefront6targetE0EEEvT1_.num_agpr, 0
	.set _ZN7rocprim17ROCPRIM_400000_NS6detail17trampoline_kernelINS0_14default_configENS1_25partition_config_selectorILNS1_17partition_subalgoE6EtNS0_10empty_typeEbEEZZNS1_14partition_implILS5_6ELb0ES3_mN6thrust23THRUST_200600_302600_NS6detail15normal_iteratorINSA_10device_ptrItEEEEPS6_SG_NS0_5tupleIJNSA_16discard_iteratorINSA_11use_defaultEEES6_EEENSH_IJSG_SG_EEES6_PlJNSB_9not_fun_tI7is_trueItEEEEEE10hipError_tPvRmT3_T4_T5_T6_T7_T9_mT8_P12ihipStream_tbDpT10_ENKUlT_T0_E_clISt17integral_constantIbLb1EES1B_EEDaS16_S17_EUlS16_E_NS1_11comp_targetILNS1_3genE9ELNS1_11target_archE1100ELNS1_3gpuE3ELNS1_3repE0EEENS1_30default_config_static_selectorELNS0_4arch9wavefront6targetE0EEEvT1_.numbered_sgpr, 0
	.set _ZN7rocprim17ROCPRIM_400000_NS6detail17trampoline_kernelINS0_14default_configENS1_25partition_config_selectorILNS1_17partition_subalgoE6EtNS0_10empty_typeEbEEZZNS1_14partition_implILS5_6ELb0ES3_mN6thrust23THRUST_200600_302600_NS6detail15normal_iteratorINSA_10device_ptrItEEEEPS6_SG_NS0_5tupleIJNSA_16discard_iteratorINSA_11use_defaultEEES6_EEENSH_IJSG_SG_EEES6_PlJNSB_9not_fun_tI7is_trueItEEEEEE10hipError_tPvRmT3_T4_T5_T6_T7_T9_mT8_P12ihipStream_tbDpT10_ENKUlT_T0_E_clISt17integral_constantIbLb1EES1B_EEDaS16_S17_EUlS16_E_NS1_11comp_targetILNS1_3genE9ELNS1_11target_archE1100ELNS1_3gpuE3ELNS1_3repE0EEENS1_30default_config_static_selectorELNS0_4arch9wavefront6targetE0EEEvT1_.num_named_barrier, 0
	.set _ZN7rocprim17ROCPRIM_400000_NS6detail17trampoline_kernelINS0_14default_configENS1_25partition_config_selectorILNS1_17partition_subalgoE6EtNS0_10empty_typeEbEEZZNS1_14partition_implILS5_6ELb0ES3_mN6thrust23THRUST_200600_302600_NS6detail15normal_iteratorINSA_10device_ptrItEEEEPS6_SG_NS0_5tupleIJNSA_16discard_iteratorINSA_11use_defaultEEES6_EEENSH_IJSG_SG_EEES6_PlJNSB_9not_fun_tI7is_trueItEEEEEE10hipError_tPvRmT3_T4_T5_T6_T7_T9_mT8_P12ihipStream_tbDpT10_ENKUlT_T0_E_clISt17integral_constantIbLb1EES1B_EEDaS16_S17_EUlS16_E_NS1_11comp_targetILNS1_3genE9ELNS1_11target_archE1100ELNS1_3gpuE3ELNS1_3repE0EEENS1_30default_config_static_selectorELNS0_4arch9wavefront6targetE0EEEvT1_.private_seg_size, 0
	.set _ZN7rocprim17ROCPRIM_400000_NS6detail17trampoline_kernelINS0_14default_configENS1_25partition_config_selectorILNS1_17partition_subalgoE6EtNS0_10empty_typeEbEEZZNS1_14partition_implILS5_6ELb0ES3_mN6thrust23THRUST_200600_302600_NS6detail15normal_iteratorINSA_10device_ptrItEEEEPS6_SG_NS0_5tupleIJNSA_16discard_iteratorINSA_11use_defaultEEES6_EEENSH_IJSG_SG_EEES6_PlJNSB_9not_fun_tI7is_trueItEEEEEE10hipError_tPvRmT3_T4_T5_T6_T7_T9_mT8_P12ihipStream_tbDpT10_ENKUlT_T0_E_clISt17integral_constantIbLb1EES1B_EEDaS16_S17_EUlS16_E_NS1_11comp_targetILNS1_3genE9ELNS1_11target_archE1100ELNS1_3gpuE3ELNS1_3repE0EEENS1_30default_config_static_selectorELNS0_4arch9wavefront6targetE0EEEvT1_.uses_vcc, 0
	.set _ZN7rocprim17ROCPRIM_400000_NS6detail17trampoline_kernelINS0_14default_configENS1_25partition_config_selectorILNS1_17partition_subalgoE6EtNS0_10empty_typeEbEEZZNS1_14partition_implILS5_6ELb0ES3_mN6thrust23THRUST_200600_302600_NS6detail15normal_iteratorINSA_10device_ptrItEEEEPS6_SG_NS0_5tupleIJNSA_16discard_iteratorINSA_11use_defaultEEES6_EEENSH_IJSG_SG_EEES6_PlJNSB_9not_fun_tI7is_trueItEEEEEE10hipError_tPvRmT3_T4_T5_T6_T7_T9_mT8_P12ihipStream_tbDpT10_ENKUlT_T0_E_clISt17integral_constantIbLb1EES1B_EEDaS16_S17_EUlS16_E_NS1_11comp_targetILNS1_3genE9ELNS1_11target_archE1100ELNS1_3gpuE3ELNS1_3repE0EEENS1_30default_config_static_selectorELNS0_4arch9wavefront6targetE0EEEvT1_.uses_flat_scratch, 0
	.set _ZN7rocprim17ROCPRIM_400000_NS6detail17trampoline_kernelINS0_14default_configENS1_25partition_config_selectorILNS1_17partition_subalgoE6EtNS0_10empty_typeEbEEZZNS1_14partition_implILS5_6ELb0ES3_mN6thrust23THRUST_200600_302600_NS6detail15normal_iteratorINSA_10device_ptrItEEEEPS6_SG_NS0_5tupleIJNSA_16discard_iteratorINSA_11use_defaultEEES6_EEENSH_IJSG_SG_EEES6_PlJNSB_9not_fun_tI7is_trueItEEEEEE10hipError_tPvRmT3_T4_T5_T6_T7_T9_mT8_P12ihipStream_tbDpT10_ENKUlT_T0_E_clISt17integral_constantIbLb1EES1B_EEDaS16_S17_EUlS16_E_NS1_11comp_targetILNS1_3genE9ELNS1_11target_archE1100ELNS1_3gpuE3ELNS1_3repE0EEENS1_30default_config_static_selectorELNS0_4arch9wavefront6targetE0EEEvT1_.has_dyn_sized_stack, 0
	.set _ZN7rocprim17ROCPRIM_400000_NS6detail17trampoline_kernelINS0_14default_configENS1_25partition_config_selectorILNS1_17partition_subalgoE6EtNS0_10empty_typeEbEEZZNS1_14partition_implILS5_6ELb0ES3_mN6thrust23THRUST_200600_302600_NS6detail15normal_iteratorINSA_10device_ptrItEEEEPS6_SG_NS0_5tupleIJNSA_16discard_iteratorINSA_11use_defaultEEES6_EEENSH_IJSG_SG_EEES6_PlJNSB_9not_fun_tI7is_trueItEEEEEE10hipError_tPvRmT3_T4_T5_T6_T7_T9_mT8_P12ihipStream_tbDpT10_ENKUlT_T0_E_clISt17integral_constantIbLb1EES1B_EEDaS16_S17_EUlS16_E_NS1_11comp_targetILNS1_3genE9ELNS1_11target_archE1100ELNS1_3gpuE3ELNS1_3repE0EEENS1_30default_config_static_selectorELNS0_4arch9wavefront6targetE0EEEvT1_.has_recursion, 0
	.set _ZN7rocprim17ROCPRIM_400000_NS6detail17trampoline_kernelINS0_14default_configENS1_25partition_config_selectorILNS1_17partition_subalgoE6EtNS0_10empty_typeEbEEZZNS1_14partition_implILS5_6ELb0ES3_mN6thrust23THRUST_200600_302600_NS6detail15normal_iteratorINSA_10device_ptrItEEEEPS6_SG_NS0_5tupleIJNSA_16discard_iteratorINSA_11use_defaultEEES6_EEENSH_IJSG_SG_EEES6_PlJNSB_9not_fun_tI7is_trueItEEEEEE10hipError_tPvRmT3_T4_T5_T6_T7_T9_mT8_P12ihipStream_tbDpT10_ENKUlT_T0_E_clISt17integral_constantIbLb1EES1B_EEDaS16_S17_EUlS16_E_NS1_11comp_targetILNS1_3genE9ELNS1_11target_archE1100ELNS1_3gpuE3ELNS1_3repE0EEENS1_30default_config_static_selectorELNS0_4arch9wavefront6targetE0EEEvT1_.has_indirect_call, 0
	.section	.AMDGPU.csdata,"",@progbits
; Kernel info:
; codeLenInByte = 0
; TotalNumSgprs: 0
; NumVgprs: 0
; ScratchSize: 0
; MemoryBound: 0
; FloatMode: 240
; IeeeMode: 1
; LDSByteSize: 0 bytes/workgroup (compile time only)
; SGPRBlocks: 0
; VGPRBlocks: 0
; NumSGPRsForWavesPerEU: 1
; NumVGPRsForWavesPerEU: 1
; Occupancy: 16
; WaveLimiterHint : 0
; COMPUTE_PGM_RSRC2:SCRATCH_EN: 0
; COMPUTE_PGM_RSRC2:USER_SGPR: 2
; COMPUTE_PGM_RSRC2:TRAP_HANDLER: 0
; COMPUTE_PGM_RSRC2:TGID_X_EN: 1
; COMPUTE_PGM_RSRC2:TGID_Y_EN: 0
; COMPUTE_PGM_RSRC2:TGID_Z_EN: 0
; COMPUTE_PGM_RSRC2:TIDIG_COMP_CNT: 0
	.section	.text._ZN7rocprim17ROCPRIM_400000_NS6detail17trampoline_kernelINS0_14default_configENS1_25partition_config_selectorILNS1_17partition_subalgoE6EtNS0_10empty_typeEbEEZZNS1_14partition_implILS5_6ELb0ES3_mN6thrust23THRUST_200600_302600_NS6detail15normal_iteratorINSA_10device_ptrItEEEEPS6_SG_NS0_5tupleIJNSA_16discard_iteratorINSA_11use_defaultEEES6_EEENSH_IJSG_SG_EEES6_PlJNSB_9not_fun_tI7is_trueItEEEEEE10hipError_tPvRmT3_T4_T5_T6_T7_T9_mT8_P12ihipStream_tbDpT10_ENKUlT_T0_E_clISt17integral_constantIbLb1EES1B_EEDaS16_S17_EUlS16_E_NS1_11comp_targetILNS1_3genE8ELNS1_11target_archE1030ELNS1_3gpuE2ELNS1_3repE0EEENS1_30default_config_static_selectorELNS0_4arch9wavefront6targetE0EEEvT1_,"axG",@progbits,_ZN7rocprim17ROCPRIM_400000_NS6detail17trampoline_kernelINS0_14default_configENS1_25partition_config_selectorILNS1_17partition_subalgoE6EtNS0_10empty_typeEbEEZZNS1_14partition_implILS5_6ELb0ES3_mN6thrust23THRUST_200600_302600_NS6detail15normal_iteratorINSA_10device_ptrItEEEEPS6_SG_NS0_5tupleIJNSA_16discard_iteratorINSA_11use_defaultEEES6_EEENSH_IJSG_SG_EEES6_PlJNSB_9not_fun_tI7is_trueItEEEEEE10hipError_tPvRmT3_T4_T5_T6_T7_T9_mT8_P12ihipStream_tbDpT10_ENKUlT_T0_E_clISt17integral_constantIbLb1EES1B_EEDaS16_S17_EUlS16_E_NS1_11comp_targetILNS1_3genE8ELNS1_11target_archE1030ELNS1_3gpuE2ELNS1_3repE0EEENS1_30default_config_static_selectorELNS0_4arch9wavefront6targetE0EEEvT1_,comdat
	.protected	_ZN7rocprim17ROCPRIM_400000_NS6detail17trampoline_kernelINS0_14default_configENS1_25partition_config_selectorILNS1_17partition_subalgoE6EtNS0_10empty_typeEbEEZZNS1_14partition_implILS5_6ELb0ES3_mN6thrust23THRUST_200600_302600_NS6detail15normal_iteratorINSA_10device_ptrItEEEEPS6_SG_NS0_5tupleIJNSA_16discard_iteratorINSA_11use_defaultEEES6_EEENSH_IJSG_SG_EEES6_PlJNSB_9not_fun_tI7is_trueItEEEEEE10hipError_tPvRmT3_T4_T5_T6_T7_T9_mT8_P12ihipStream_tbDpT10_ENKUlT_T0_E_clISt17integral_constantIbLb1EES1B_EEDaS16_S17_EUlS16_E_NS1_11comp_targetILNS1_3genE8ELNS1_11target_archE1030ELNS1_3gpuE2ELNS1_3repE0EEENS1_30default_config_static_selectorELNS0_4arch9wavefront6targetE0EEEvT1_ ; -- Begin function _ZN7rocprim17ROCPRIM_400000_NS6detail17trampoline_kernelINS0_14default_configENS1_25partition_config_selectorILNS1_17partition_subalgoE6EtNS0_10empty_typeEbEEZZNS1_14partition_implILS5_6ELb0ES3_mN6thrust23THRUST_200600_302600_NS6detail15normal_iteratorINSA_10device_ptrItEEEEPS6_SG_NS0_5tupleIJNSA_16discard_iteratorINSA_11use_defaultEEES6_EEENSH_IJSG_SG_EEES6_PlJNSB_9not_fun_tI7is_trueItEEEEEE10hipError_tPvRmT3_T4_T5_T6_T7_T9_mT8_P12ihipStream_tbDpT10_ENKUlT_T0_E_clISt17integral_constantIbLb1EES1B_EEDaS16_S17_EUlS16_E_NS1_11comp_targetILNS1_3genE8ELNS1_11target_archE1030ELNS1_3gpuE2ELNS1_3repE0EEENS1_30default_config_static_selectorELNS0_4arch9wavefront6targetE0EEEvT1_
	.globl	_ZN7rocprim17ROCPRIM_400000_NS6detail17trampoline_kernelINS0_14default_configENS1_25partition_config_selectorILNS1_17partition_subalgoE6EtNS0_10empty_typeEbEEZZNS1_14partition_implILS5_6ELb0ES3_mN6thrust23THRUST_200600_302600_NS6detail15normal_iteratorINSA_10device_ptrItEEEEPS6_SG_NS0_5tupleIJNSA_16discard_iteratorINSA_11use_defaultEEES6_EEENSH_IJSG_SG_EEES6_PlJNSB_9not_fun_tI7is_trueItEEEEEE10hipError_tPvRmT3_T4_T5_T6_T7_T9_mT8_P12ihipStream_tbDpT10_ENKUlT_T0_E_clISt17integral_constantIbLb1EES1B_EEDaS16_S17_EUlS16_E_NS1_11comp_targetILNS1_3genE8ELNS1_11target_archE1030ELNS1_3gpuE2ELNS1_3repE0EEENS1_30default_config_static_selectorELNS0_4arch9wavefront6targetE0EEEvT1_
	.p2align	8
	.type	_ZN7rocprim17ROCPRIM_400000_NS6detail17trampoline_kernelINS0_14default_configENS1_25partition_config_selectorILNS1_17partition_subalgoE6EtNS0_10empty_typeEbEEZZNS1_14partition_implILS5_6ELb0ES3_mN6thrust23THRUST_200600_302600_NS6detail15normal_iteratorINSA_10device_ptrItEEEEPS6_SG_NS0_5tupleIJNSA_16discard_iteratorINSA_11use_defaultEEES6_EEENSH_IJSG_SG_EEES6_PlJNSB_9not_fun_tI7is_trueItEEEEEE10hipError_tPvRmT3_T4_T5_T6_T7_T9_mT8_P12ihipStream_tbDpT10_ENKUlT_T0_E_clISt17integral_constantIbLb1EES1B_EEDaS16_S17_EUlS16_E_NS1_11comp_targetILNS1_3genE8ELNS1_11target_archE1030ELNS1_3gpuE2ELNS1_3repE0EEENS1_30default_config_static_selectorELNS0_4arch9wavefront6targetE0EEEvT1_,@function
_ZN7rocprim17ROCPRIM_400000_NS6detail17trampoline_kernelINS0_14default_configENS1_25partition_config_selectorILNS1_17partition_subalgoE6EtNS0_10empty_typeEbEEZZNS1_14partition_implILS5_6ELb0ES3_mN6thrust23THRUST_200600_302600_NS6detail15normal_iteratorINSA_10device_ptrItEEEEPS6_SG_NS0_5tupleIJNSA_16discard_iteratorINSA_11use_defaultEEES6_EEENSH_IJSG_SG_EEES6_PlJNSB_9not_fun_tI7is_trueItEEEEEE10hipError_tPvRmT3_T4_T5_T6_T7_T9_mT8_P12ihipStream_tbDpT10_ENKUlT_T0_E_clISt17integral_constantIbLb1EES1B_EEDaS16_S17_EUlS16_E_NS1_11comp_targetILNS1_3genE8ELNS1_11target_archE1030ELNS1_3gpuE2ELNS1_3repE0EEENS1_30default_config_static_selectorELNS0_4arch9wavefront6targetE0EEEvT1_: ; @_ZN7rocprim17ROCPRIM_400000_NS6detail17trampoline_kernelINS0_14default_configENS1_25partition_config_selectorILNS1_17partition_subalgoE6EtNS0_10empty_typeEbEEZZNS1_14partition_implILS5_6ELb0ES3_mN6thrust23THRUST_200600_302600_NS6detail15normal_iteratorINSA_10device_ptrItEEEEPS6_SG_NS0_5tupleIJNSA_16discard_iteratorINSA_11use_defaultEEES6_EEENSH_IJSG_SG_EEES6_PlJNSB_9not_fun_tI7is_trueItEEEEEE10hipError_tPvRmT3_T4_T5_T6_T7_T9_mT8_P12ihipStream_tbDpT10_ENKUlT_T0_E_clISt17integral_constantIbLb1EES1B_EEDaS16_S17_EUlS16_E_NS1_11comp_targetILNS1_3genE8ELNS1_11target_archE1030ELNS1_3gpuE2ELNS1_3repE0EEENS1_30default_config_static_selectorELNS0_4arch9wavefront6targetE0EEEvT1_
; %bb.0:
	.section	.rodata,"a",@progbits
	.p2align	6, 0x0
	.amdhsa_kernel _ZN7rocprim17ROCPRIM_400000_NS6detail17trampoline_kernelINS0_14default_configENS1_25partition_config_selectorILNS1_17partition_subalgoE6EtNS0_10empty_typeEbEEZZNS1_14partition_implILS5_6ELb0ES3_mN6thrust23THRUST_200600_302600_NS6detail15normal_iteratorINSA_10device_ptrItEEEEPS6_SG_NS0_5tupleIJNSA_16discard_iteratorINSA_11use_defaultEEES6_EEENSH_IJSG_SG_EEES6_PlJNSB_9not_fun_tI7is_trueItEEEEEE10hipError_tPvRmT3_T4_T5_T6_T7_T9_mT8_P12ihipStream_tbDpT10_ENKUlT_T0_E_clISt17integral_constantIbLb1EES1B_EEDaS16_S17_EUlS16_E_NS1_11comp_targetILNS1_3genE8ELNS1_11target_archE1030ELNS1_3gpuE2ELNS1_3repE0EEENS1_30default_config_static_selectorELNS0_4arch9wavefront6targetE0EEEvT1_
		.amdhsa_group_segment_fixed_size 0
		.amdhsa_private_segment_fixed_size 0
		.amdhsa_kernarg_size 136
		.amdhsa_user_sgpr_count 2
		.amdhsa_user_sgpr_dispatch_ptr 0
		.amdhsa_user_sgpr_queue_ptr 0
		.amdhsa_user_sgpr_kernarg_segment_ptr 1
		.amdhsa_user_sgpr_dispatch_id 0
		.amdhsa_user_sgpr_private_segment_size 0
		.amdhsa_wavefront_size32 1
		.amdhsa_uses_dynamic_stack 0
		.amdhsa_enable_private_segment 0
		.amdhsa_system_sgpr_workgroup_id_x 1
		.amdhsa_system_sgpr_workgroup_id_y 0
		.amdhsa_system_sgpr_workgroup_id_z 0
		.amdhsa_system_sgpr_workgroup_info 0
		.amdhsa_system_vgpr_workitem_id 0
		.amdhsa_next_free_vgpr 1
		.amdhsa_next_free_sgpr 1
		.amdhsa_reserve_vcc 0
		.amdhsa_float_round_mode_32 0
		.amdhsa_float_round_mode_16_64 0
		.amdhsa_float_denorm_mode_32 3
		.amdhsa_float_denorm_mode_16_64 3
		.amdhsa_fp16_overflow 0
		.amdhsa_workgroup_processor_mode 1
		.amdhsa_memory_ordered 1
		.amdhsa_forward_progress 1
		.amdhsa_inst_pref_size 0
		.amdhsa_round_robin_scheduling 0
		.amdhsa_exception_fp_ieee_invalid_op 0
		.amdhsa_exception_fp_denorm_src 0
		.amdhsa_exception_fp_ieee_div_zero 0
		.amdhsa_exception_fp_ieee_overflow 0
		.amdhsa_exception_fp_ieee_underflow 0
		.amdhsa_exception_fp_ieee_inexact 0
		.amdhsa_exception_int_div_zero 0
	.end_amdhsa_kernel
	.section	.text._ZN7rocprim17ROCPRIM_400000_NS6detail17trampoline_kernelINS0_14default_configENS1_25partition_config_selectorILNS1_17partition_subalgoE6EtNS0_10empty_typeEbEEZZNS1_14partition_implILS5_6ELb0ES3_mN6thrust23THRUST_200600_302600_NS6detail15normal_iteratorINSA_10device_ptrItEEEEPS6_SG_NS0_5tupleIJNSA_16discard_iteratorINSA_11use_defaultEEES6_EEENSH_IJSG_SG_EEES6_PlJNSB_9not_fun_tI7is_trueItEEEEEE10hipError_tPvRmT3_T4_T5_T6_T7_T9_mT8_P12ihipStream_tbDpT10_ENKUlT_T0_E_clISt17integral_constantIbLb1EES1B_EEDaS16_S17_EUlS16_E_NS1_11comp_targetILNS1_3genE8ELNS1_11target_archE1030ELNS1_3gpuE2ELNS1_3repE0EEENS1_30default_config_static_selectorELNS0_4arch9wavefront6targetE0EEEvT1_,"axG",@progbits,_ZN7rocprim17ROCPRIM_400000_NS6detail17trampoline_kernelINS0_14default_configENS1_25partition_config_selectorILNS1_17partition_subalgoE6EtNS0_10empty_typeEbEEZZNS1_14partition_implILS5_6ELb0ES3_mN6thrust23THRUST_200600_302600_NS6detail15normal_iteratorINSA_10device_ptrItEEEEPS6_SG_NS0_5tupleIJNSA_16discard_iteratorINSA_11use_defaultEEES6_EEENSH_IJSG_SG_EEES6_PlJNSB_9not_fun_tI7is_trueItEEEEEE10hipError_tPvRmT3_T4_T5_T6_T7_T9_mT8_P12ihipStream_tbDpT10_ENKUlT_T0_E_clISt17integral_constantIbLb1EES1B_EEDaS16_S17_EUlS16_E_NS1_11comp_targetILNS1_3genE8ELNS1_11target_archE1030ELNS1_3gpuE2ELNS1_3repE0EEENS1_30default_config_static_selectorELNS0_4arch9wavefront6targetE0EEEvT1_,comdat
.Lfunc_end2220:
	.size	_ZN7rocprim17ROCPRIM_400000_NS6detail17trampoline_kernelINS0_14default_configENS1_25partition_config_selectorILNS1_17partition_subalgoE6EtNS0_10empty_typeEbEEZZNS1_14partition_implILS5_6ELb0ES3_mN6thrust23THRUST_200600_302600_NS6detail15normal_iteratorINSA_10device_ptrItEEEEPS6_SG_NS0_5tupleIJNSA_16discard_iteratorINSA_11use_defaultEEES6_EEENSH_IJSG_SG_EEES6_PlJNSB_9not_fun_tI7is_trueItEEEEEE10hipError_tPvRmT3_T4_T5_T6_T7_T9_mT8_P12ihipStream_tbDpT10_ENKUlT_T0_E_clISt17integral_constantIbLb1EES1B_EEDaS16_S17_EUlS16_E_NS1_11comp_targetILNS1_3genE8ELNS1_11target_archE1030ELNS1_3gpuE2ELNS1_3repE0EEENS1_30default_config_static_selectorELNS0_4arch9wavefront6targetE0EEEvT1_, .Lfunc_end2220-_ZN7rocprim17ROCPRIM_400000_NS6detail17trampoline_kernelINS0_14default_configENS1_25partition_config_selectorILNS1_17partition_subalgoE6EtNS0_10empty_typeEbEEZZNS1_14partition_implILS5_6ELb0ES3_mN6thrust23THRUST_200600_302600_NS6detail15normal_iteratorINSA_10device_ptrItEEEEPS6_SG_NS0_5tupleIJNSA_16discard_iteratorINSA_11use_defaultEEES6_EEENSH_IJSG_SG_EEES6_PlJNSB_9not_fun_tI7is_trueItEEEEEE10hipError_tPvRmT3_T4_T5_T6_T7_T9_mT8_P12ihipStream_tbDpT10_ENKUlT_T0_E_clISt17integral_constantIbLb1EES1B_EEDaS16_S17_EUlS16_E_NS1_11comp_targetILNS1_3genE8ELNS1_11target_archE1030ELNS1_3gpuE2ELNS1_3repE0EEENS1_30default_config_static_selectorELNS0_4arch9wavefront6targetE0EEEvT1_
                                        ; -- End function
	.set _ZN7rocprim17ROCPRIM_400000_NS6detail17trampoline_kernelINS0_14default_configENS1_25partition_config_selectorILNS1_17partition_subalgoE6EtNS0_10empty_typeEbEEZZNS1_14partition_implILS5_6ELb0ES3_mN6thrust23THRUST_200600_302600_NS6detail15normal_iteratorINSA_10device_ptrItEEEEPS6_SG_NS0_5tupleIJNSA_16discard_iteratorINSA_11use_defaultEEES6_EEENSH_IJSG_SG_EEES6_PlJNSB_9not_fun_tI7is_trueItEEEEEE10hipError_tPvRmT3_T4_T5_T6_T7_T9_mT8_P12ihipStream_tbDpT10_ENKUlT_T0_E_clISt17integral_constantIbLb1EES1B_EEDaS16_S17_EUlS16_E_NS1_11comp_targetILNS1_3genE8ELNS1_11target_archE1030ELNS1_3gpuE2ELNS1_3repE0EEENS1_30default_config_static_selectorELNS0_4arch9wavefront6targetE0EEEvT1_.num_vgpr, 0
	.set _ZN7rocprim17ROCPRIM_400000_NS6detail17trampoline_kernelINS0_14default_configENS1_25partition_config_selectorILNS1_17partition_subalgoE6EtNS0_10empty_typeEbEEZZNS1_14partition_implILS5_6ELb0ES3_mN6thrust23THRUST_200600_302600_NS6detail15normal_iteratorINSA_10device_ptrItEEEEPS6_SG_NS0_5tupleIJNSA_16discard_iteratorINSA_11use_defaultEEES6_EEENSH_IJSG_SG_EEES6_PlJNSB_9not_fun_tI7is_trueItEEEEEE10hipError_tPvRmT3_T4_T5_T6_T7_T9_mT8_P12ihipStream_tbDpT10_ENKUlT_T0_E_clISt17integral_constantIbLb1EES1B_EEDaS16_S17_EUlS16_E_NS1_11comp_targetILNS1_3genE8ELNS1_11target_archE1030ELNS1_3gpuE2ELNS1_3repE0EEENS1_30default_config_static_selectorELNS0_4arch9wavefront6targetE0EEEvT1_.num_agpr, 0
	.set _ZN7rocprim17ROCPRIM_400000_NS6detail17trampoline_kernelINS0_14default_configENS1_25partition_config_selectorILNS1_17partition_subalgoE6EtNS0_10empty_typeEbEEZZNS1_14partition_implILS5_6ELb0ES3_mN6thrust23THRUST_200600_302600_NS6detail15normal_iteratorINSA_10device_ptrItEEEEPS6_SG_NS0_5tupleIJNSA_16discard_iteratorINSA_11use_defaultEEES6_EEENSH_IJSG_SG_EEES6_PlJNSB_9not_fun_tI7is_trueItEEEEEE10hipError_tPvRmT3_T4_T5_T6_T7_T9_mT8_P12ihipStream_tbDpT10_ENKUlT_T0_E_clISt17integral_constantIbLb1EES1B_EEDaS16_S17_EUlS16_E_NS1_11comp_targetILNS1_3genE8ELNS1_11target_archE1030ELNS1_3gpuE2ELNS1_3repE0EEENS1_30default_config_static_selectorELNS0_4arch9wavefront6targetE0EEEvT1_.numbered_sgpr, 0
	.set _ZN7rocprim17ROCPRIM_400000_NS6detail17trampoline_kernelINS0_14default_configENS1_25partition_config_selectorILNS1_17partition_subalgoE6EtNS0_10empty_typeEbEEZZNS1_14partition_implILS5_6ELb0ES3_mN6thrust23THRUST_200600_302600_NS6detail15normal_iteratorINSA_10device_ptrItEEEEPS6_SG_NS0_5tupleIJNSA_16discard_iteratorINSA_11use_defaultEEES6_EEENSH_IJSG_SG_EEES6_PlJNSB_9not_fun_tI7is_trueItEEEEEE10hipError_tPvRmT3_T4_T5_T6_T7_T9_mT8_P12ihipStream_tbDpT10_ENKUlT_T0_E_clISt17integral_constantIbLb1EES1B_EEDaS16_S17_EUlS16_E_NS1_11comp_targetILNS1_3genE8ELNS1_11target_archE1030ELNS1_3gpuE2ELNS1_3repE0EEENS1_30default_config_static_selectorELNS0_4arch9wavefront6targetE0EEEvT1_.num_named_barrier, 0
	.set _ZN7rocprim17ROCPRIM_400000_NS6detail17trampoline_kernelINS0_14default_configENS1_25partition_config_selectorILNS1_17partition_subalgoE6EtNS0_10empty_typeEbEEZZNS1_14partition_implILS5_6ELb0ES3_mN6thrust23THRUST_200600_302600_NS6detail15normal_iteratorINSA_10device_ptrItEEEEPS6_SG_NS0_5tupleIJNSA_16discard_iteratorINSA_11use_defaultEEES6_EEENSH_IJSG_SG_EEES6_PlJNSB_9not_fun_tI7is_trueItEEEEEE10hipError_tPvRmT3_T4_T5_T6_T7_T9_mT8_P12ihipStream_tbDpT10_ENKUlT_T0_E_clISt17integral_constantIbLb1EES1B_EEDaS16_S17_EUlS16_E_NS1_11comp_targetILNS1_3genE8ELNS1_11target_archE1030ELNS1_3gpuE2ELNS1_3repE0EEENS1_30default_config_static_selectorELNS0_4arch9wavefront6targetE0EEEvT1_.private_seg_size, 0
	.set _ZN7rocprim17ROCPRIM_400000_NS6detail17trampoline_kernelINS0_14default_configENS1_25partition_config_selectorILNS1_17partition_subalgoE6EtNS0_10empty_typeEbEEZZNS1_14partition_implILS5_6ELb0ES3_mN6thrust23THRUST_200600_302600_NS6detail15normal_iteratorINSA_10device_ptrItEEEEPS6_SG_NS0_5tupleIJNSA_16discard_iteratorINSA_11use_defaultEEES6_EEENSH_IJSG_SG_EEES6_PlJNSB_9not_fun_tI7is_trueItEEEEEE10hipError_tPvRmT3_T4_T5_T6_T7_T9_mT8_P12ihipStream_tbDpT10_ENKUlT_T0_E_clISt17integral_constantIbLb1EES1B_EEDaS16_S17_EUlS16_E_NS1_11comp_targetILNS1_3genE8ELNS1_11target_archE1030ELNS1_3gpuE2ELNS1_3repE0EEENS1_30default_config_static_selectorELNS0_4arch9wavefront6targetE0EEEvT1_.uses_vcc, 0
	.set _ZN7rocprim17ROCPRIM_400000_NS6detail17trampoline_kernelINS0_14default_configENS1_25partition_config_selectorILNS1_17partition_subalgoE6EtNS0_10empty_typeEbEEZZNS1_14partition_implILS5_6ELb0ES3_mN6thrust23THRUST_200600_302600_NS6detail15normal_iteratorINSA_10device_ptrItEEEEPS6_SG_NS0_5tupleIJNSA_16discard_iteratorINSA_11use_defaultEEES6_EEENSH_IJSG_SG_EEES6_PlJNSB_9not_fun_tI7is_trueItEEEEEE10hipError_tPvRmT3_T4_T5_T6_T7_T9_mT8_P12ihipStream_tbDpT10_ENKUlT_T0_E_clISt17integral_constantIbLb1EES1B_EEDaS16_S17_EUlS16_E_NS1_11comp_targetILNS1_3genE8ELNS1_11target_archE1030ELNS1_3gpuE2ELNS1_3repE0EEENS1_30default_config_static_selectorELNS0_4arch9wavefront6targetE0EEEvT1_.uses_flat_scratch, 0
	.set _ZN7rocprim17ROCPRIM_400000_NS6detail17trampoline_kernelINS0_14default_configENS1_25partition_config_selectorILNS1_17partition_subalgoE6EtNS0_10empty_typeEbEEZZNS1_14partition_implILS5_6ELb0ES3_mN6thrust23THRUST_200600_302600_NS6detail15normal_iteratorINSA_10device_ptrItEEEEPS6_SG_NS0_5tupleIJNSA_16discard_iteratorINSA_11use_defaultEEES6_EEENSH_IJSG_SG_EEES6_PlJNSB_9not_fun_tI7is_trueItEEEEEE10hipError_tPvRmT3_T4_T5_T6_T7_T9_mT8_P12ihipStream_tbDpT10_ENKUlT_T0_E_clISt17integral_constantIbLb1EES1B_EEDaS16_S17_EUlS16_E_NS1_11comp_targetILNS1_3genE8ELNS1_11target_archE1030ELNS1_3gpuE2ELNS1_3repE0EEENS1_30default_config_static_selectorELNS0_4arch9wavefront6targetE0EEEvT1_.has_dyn_sized_stack, 0
	.set _ZN7rocprim17ROCPRIM_400000_NS6detail17trampoline_kernelINS0_14default_configENS1_25partition_config_selectorILNS1_17partition_subalgoE6EtNS0_10empty_typeEbEEZZNS1_14partition_implILS5_6ELb0ES3_mN6thrust23THRUST_200600_302600_NS6detail15normal_iteratorINSA_10device_ptrItEEEEPS6_SG_NS0_5tupleIJNSA_16discard_iteratorINSA_11use_defaultEEES6_EEENSH_IJSG_SG_EEES6_PlJNSB_9not_fun_tI7is_trueItEEEEEE10hipError_tPvRmT3_T4_T5_T6_T7_T9_mT8_P12ihipStream_tbDpT10_ENKUlT_T0_E_clISt17integral_constantIbLb1EES1B_EEDaS16_S17_EUlS16_E_NS1_11comp_targetILNS1_3genE8ELNS1_11target_archE1030ELNS1_3gpuE2ELNS1_3repE0EEENS1_30default_config_static_selectorELNS0_4arch9wavefront6targetE0EEEvT1_.has_recursion, 0
	.set _ZN7rocprim17ROCPRIM_400000_NS6detail17trampoline_kernelINS0_14default_configENS1_25partition_config_selectorILNS1_17partition_subalgoE6EtNS0_10empty_typeEbEEZZNS1_14partition_implILS5_6ELb0ES3_mN6thrust23THRUST_200600_302600_NS6detail15normal_iteratorINSA_10device_ptrItEEEEPS6_SG_NS0_5tupleIJNSA_16discard_iteratorINSA_11use_defaultEEES6_EEENSH_IJSG_SG_EEES6_PlJNSB_9not_fun_tI7is_trueItEEEEEE10hipError_tPvRmT3_T4_T5_T6_T7_T9_mT8_P12ihipStream_tbDpT10_ENKUlT_T0_E_clISt17integral_constantIbLb1EES1B_EEDaS16_S17_EUlS16_E_NS1_11comp_targetILNS1_3genE8ELNS1_11target_archE1030ELNS1_3gpuE2ELNS1_3repE0EEENS1_30default_config_static_selectorELNS0_4arch9wavefront6targetE0EEEvT1_.has_indirect_call, 0
	.section	.AMDGPU.csdata,"",@progbits
; Kernel info:
; codeLenInByte = 0
; TotalNumSgprs: 0
; NumVgprs: 0
; ScratchSize: 0
; MemoryBound: 0
; FloatMode: 240
; IeeeMode: 1
; LDSByteSize: 0 bytes/workgroup (compile time only)
; SGPRBlocks: 0
; VGPRBlocks: 0
; NumSGPRsForWavesPerEU: 1
; NumVGPRsForWavesPerEU: 1
; Occupancy: 16
; WaveLimiterHint : 0
; COMPUTE_PGM_RSRC2:SCRATCH_EN: 0
; COMPUTE_PGM_RSRC2:USER_SGPR: 2
; COMPUTE_PGM_RSRC2:TRAP_HANDLER: 0
; COMPUTE_PGM_RSRC2:TGID_X_EN: 1
; COMPUTE_PGM_RSRC2:TGID_Y_EN: 0
; COMPUTE_PGM_RSRC2:TGID_Z_EN: 0
; COMPUTE_PGM_RSRC2:TIDIG_COMP_CNT: 0
	.section	.text._ZN7rocprim17ROCPRIM_400000_NS6detail17trampoline_kernelINS0_14default_configENS1_25partition_config_selectorILNS1_17partition_subalgoE6EtNS0_10empty_typeEbEEZZNS1_14partition_implILS5_6ELb0ES3_mN6thrust23THRUST_200600_302600_NS6detail15normal_iteratorINSA_10device_ptrItEEEEPS6_SG_NS0_5tupleIJNSA_16discard_iteratorINSA_11use_defaultEEES6_EEENSH_IJSG_SG_EEES6_PlJNSB_9not_fun_tI7is_trueItEEEEEE10hipError_tPvRmT3_T4_T5_T6_T7_T9_mT8_P12ihipStream_tbDpT10_ENKUlT_T0_E_clISt17integral_constantIbLb1EES1A_IbLb0EEEEDaS16_S17_EUlS16_E_NS1_11comp_targetILNS1_3genE0ELNS1_11target_archE4294967295ELNS1_3gpuE0ELNS1_3repE0EEENS1_30default_config_static_selectorELNS0_4arch9wavefront6targetE0EEEvT1_,"axG",@progbits,_ZN7rocprim17ROCPRIM_400000_NS6detail17trampoline_kernelINS0_14default_configENS1_25partition_config_selectorILNS1_17partition_subalgoE6EtNS0_10empty_typeEbEEZZNS1_14partition_implILS5_6ELb0ES3_mN6thrust23THRUST_200600_302600_NS6detail15normal_iteratorINSA_10device_ptrItEEEEPS6_SG_NS0_5tupleIJNSA_16discard_iteratorINSA_11use_defaultEEES6_EEENSH_IJSG_SG_EEES6_PlJNSB_9not_fun_tI7is_trueItEEEEEE10hipError_tPvRmT3_T4_T5_T6_T7_T9_mT8_P12ihipStream_tbDpT10_ENKUlT_T0_E_clISt17integral_constantIbLb1EES1A_IbLb0EEEEDaS16_S17_EUlS16_E_NS1_11comp_targetILNS1_3genE0ELNS1_11target_archE4294967295ELNS1_3gpuE0ELNS1_3repE0EEENS1_30default_config_static_selectorELNS0_4arch9wavefront6targetE0EEEvT1_,comdat
	.protected	_ZN7rocprim17ROCPRIM_400000_NS6detail17trampoline_kernelINS0_14default_configENS1_25partition_config_selectorILNS1_17partition_subalgoE6EtNS0_10empty_typeEbEEZZNS1_14partition_implILS5_6ELb0ES3_mN6thrust23THRUST_200600_302600_NS6detail15normal_iteratorINSA_10device_ptrItEEEEPS6_SG_NS0_5tupleIJNSA_16discard_iteratorINSA_11use_defaultEEES6_EEENSH_IJSG_SG_EEES6_PlJNSB_9not_fun_tI7is_trueItEEEEEE10hipError_tPvRmT3_T4_T5_T6_T7_T9_mT8_P12ihipStream_tbDpT10_ENKUlT_T0_E_clISt17integral_constantIbLb1EES1A_IbLb0EEEEDaS16_S17_EUlS16_E_NS1_11comp_targetILNS1_3genE0ELNS1_11target_archE4294967295ELNS1_3gpuE0ELNS1_3repE0EEENS1_30default_config_static_selectorELNS0_4arch9wavefront6targetE0EEEvT1_ ; -- Begin function _ZN7rocprim17ROCPRIM_400000_NS6detail17trampoline_kernelINS0_14default_configENS1_25partition_config_selectorILNS1_17partition_subalgoE6EtNS0_10empty_typeEbEEZZNS1_14partition_implILS5_6ELb0ES3_mN6thrust23THRUST_200600_302600_NS6detail15normal_iteratorINSA_10device_ptrItEEEEPS6_SG_NS0_5tupleIJNSA_16discard_iteratorINSA_11use_defaultEEES6_EEENSH_IJSG_SG_EEES6_PlJNSB_9not_fun_tI7is_trueItEEEEEE10hipError_tPvRmT3_T4_T5_T6_T7_T9_mT8_P12ihipStream_tbDpT10_ENKUlT_T0_E_clISt17integral_constantIbLb1EES1A_IbLb0EEEEDaS16_S17_EUlS16_E_NS1_11comp_targetILNS1_3genE0ELNS1_11target_archE4294967295ELNS1_3gpuE0ELNS1_3repE0EEENS1_30default_config_static_selectorELNS0_4arch9wavefront6targetE0EEEvT1_
	.globl	_ZN7rocprim17ROCPRIM_400000_NS6detail17trampoline_kernelINS0_14default_configENS1_25partition_config_selectorILNS1_17partition_subalgoE6EtNS0_10empty_typeEbEEZZNS1_14partition_implILS5_6ELb0ES3_mN6thrust23THRUST_200600_302600_NS6detail15normal_iteratorINSA_10device_ptrItEEEEPS6_SG_NS0_5tupleIJNSA_16discard_iteratorINSA_11use_defaultEEES6_EEENSH_IJSG_SG_EEES6_PlJNSB_9not_fun_tI7is_trueItEEEEEE10hipError_tPvRmT3_T4_T5_T6_T7_T9_mT8_P12ihipStream_tbDpT10_ENKUlT_T0_E_clISt17integral_constantIbLb1EES1A_IbLb0EEEEDaS16_S17_EUlS16_E_NS1_11comp_targetILNS1_3genE0ELNS1_11target_archE4294967295ELNS1_3gpuE0ELNS1_3repE0EEENS1_30default_config_static_selectorELNS0_4arch9wavefront6targetE0EEEvT1_
	.p2align	8
	.type	_ZN7rocprim17ROCPRIM_400000_NS6detail17trampoline_kernelINS0_14default_configENS1_25partition_config_selectorILNS1_17partition_subalgoE6EtNS0_10empty_typeEbEEZZNS1_14partition_implILS5_6ELb0ES3_mN6thrust23THRUST_200600_302600_NS6detail15normal_iteratorINSA_10device_ptrItEEEEPS6_SG_NS0_5tupleIJNSA_16discard_iteratorINSA_11use_defaultEEES6_EEENSH_IJSG_SG_EEES6_PlJNSB_9not_fun_tI7is_trueItEEEEEE10hipError_tPvRmT3_T4_T5_T6_T7_T9_mT8_P12ihipStream_tbDpT10_ENKUlT_T0_E_clISt17integral_constantIbLb1EES1A_IbLb0EEEEDaS16_S17_EUlS16_E_NS1_11comp_targetILNS1_3genE0ELNS1_11target_archE4294967295ELNS1_3gpuE0ELNS1_3repE0EEENS1_30default_config_static_selectorELNS0_4arch9wavefront6targetE0EEEvT1_,@function
_ZN7rocprim17ROCPRIM_400000_NS6detail17trampoline_kernelINS0_14default_configENS1_25partition_config_selectorILNS1_17partition_subalgoE6EtNS0_10empty_typeEbEEZZNS1_14partition_implILS5_6ELb0ES3_mN6thrust23THRUST_200600_302600_NS6detail15normal_iteratorINSA_10device_ptrItEEEEPS6_SG_NS0_5tupleIJNSA_16discard_iteratorINSA_11use_defaultEEES6_EEENSH_IJSG_SG_EEES6_PlJNSB_9not_fun_tI7is_trueItEEEEEE10hipError_tPvRmT3_T4_T5_T6_T7_T9_mT8_P12ihipStream_tbDpT10_ENKUlT_T0_E_clISt17integral_constantIbLb1EES1A_IbLb0EEEEDaS16_S17_EUlS16_E_NS1_11comp_targetILNS1_3genE0ELNS1_11target_archE4294967295ELNS1_3gpuE0ELNS1_3repE0EEENS1_30default_config_static_selectorELNS0_4arch9wavefront6targetE0EEEvT1_: ; @_ZN7rocprim17ROCPRIM_400000_NS6detail17trampoline_kernelINS0_14default_configENS1_25partition_config_selectorILNS1_17partition_subalgoE6EtNS0_10empty_typeEbEEZZNS1_14partition_implILS5_6ELb0ES3_mN6thrust23THRUST_200600_302600_NS6detail15normal_iteratorINSA_10device_ptrItEEEEPS6_SG_NS0_5tupleIJNSA_16discard_iteratorINSA_11use_defaultEEES6_EEENSH_IJSG_SG_EEES6_PlJNSB_9not_fun_tI7is_trueItEEEEEE10hipError_tPvRmT3_T4_T5_T6_T7_T9_mT8_P12ihipStream_tbDpT10_ENKUlT_T0_E_clISt17integral_constantIbLb1EES1A_IbLb0EEEEDaS16_S17_EUlS16_E_NS1_11comp_targetILNS1_3genE0ELNS1_11target_archE4294967295ELNS1_3gpuE0ELNS1_3repE0EEENS1_30default_config_static_selectorELNS0_4arch9wavefront6targetE0EEEvT1_
; %bb.0:
	.section	.rodata,"a",@progbits
	.p2align	6, 0x0
	.amdhsa_kernel _ZN7rocprim17ROCPRIM_400000_NS6detail17trampoline_kernelINS0_14default_configENS1_25partition_config_selectorILNS1_17partition_subalgoE6EtNS0_10empty_typeEbEEZZNS1_14partition_implILS5_6ELb0ES3_mN6thrust23THRUST_200600_302600_NS6detail15normal_iteratorINSA_10device_ptrItEEEEPS6_SG_NS0_5tupleIJNSA_16discard_iteratorINSA_11use_defaultEEES6_EEENSH_IJSG_SG_EEES6_PlJNSB_9not_fun_tI7is_trueItEEEEEE10hipError_tPvRmT3_T4_T5_T6_T7_T9_mT8_P12ihipStream_tbDpT10_ENKUlT_T0_E_clISt17integral_constantIbLb1EES1A_IbLb0EEEEDaS16_S17_EUlS16_E_NS1_11comp_targetILNS1_3genE0ELNS1_11target_archE4294967295ELNS1_3gpuE0ELNS1_3repE0EEENS1_30default_config_static_selectorELNS0_4arch9wavefront6targetE0EEEvT1_
		.amdhsa_group_segment_fixed_size 0
		.amdhsa_private_segment_fixed_size 0
		.amdhsa_kernarg_size 120
		.amdhsa_user_sgpr_count 2
		.amdhsa_user_sgpr_dispatch_ptr 0
		.amdhsa_user_sgpr_queue_ptr 0
		.amdhsa_user_sgpr_kernarg_segment_ptr 1
		.amdhsa_user_sgpr_dispatch_id 0
		.amdhsa_user_sgpr_private_segment_size 0
		.amdhsa_wavefront_size32 1
		.amdhsa_uses_dynamic_stack 0
		.amdhsa_enable_private_segment 0
		.amdhsa_system_sgpr_workgroup_id_x 1
		.amdhsa_system_sgpr_workgroup_id_y 0
		.amdhsa_system_sgpr_workgroup_id_z 0
		.amdhsa_system_sgpr_workgroup_info 0
		.amdhsa_system_vgpr_workitem_id 0
		.amdhsa_next_free_vgpr 1
		.amdhsa_next_free_sgpr 1
		.amdhsa_reserve_vcc 0
		.amdhsa_float_round_mode_32 0
		.amdhsa_float_round_mode_16_64 0
		.amdhsa_float_denorm_mode_32 3
		.amdhsa_float_denorm_mode_16_64 3
		.amdhsa_fp16_overflow 0
		.amdhsa_workgroup_processor_mode 1
		.amdhsa_memory_ordered 1
		.amdhsa_forward_progress 1
		.amdhsa_inst_pref_size 0
		.amdhsa_round_robin_scheduling 0
		.amdhsa_exception_fp_ieee_invalid_op 0
		.amdhsa_exception_fp_denorm_src 0
		.amdhsa_exception_fp_ieee_div_zero 0
		.amdhsa_exception_fp_ieee_overflow 0
		.amdhsa_exception_fp_ieee_underflow 0
		.amdhsa_exception_fp_ieee_inexact 0
		.amdhsa_exception_int_div_zero 0
	.end_amdhsa_kernel
	.section	.text._ZN7rocprim17ROCPRIM_400000_NS6detail17trampoline_kernelINS0_14default_configENS1_25partition_config_selectorILNS1_17partition_subalgoE6EtNS0_10empty_typeEbEEZZNS1_14partition_implILS5_6ELb0ES3_mN6thrust23THRUST_200600_302600_NS6detail15normal_iteratorINSA_10device_ptrItEEEEPS6_SG_NS0_5tupleIJNSA_16discard_iteratorINSA_11use_defaultEEES6_EEENSH_IJSG_SG_EEES6_PlJNSB_9not_fun_tI7is_trueItEEEEEE10hipError_tPvRmT3_T4_T5_T6_T7_T9_mT8_P12ihipStream_tbDpT10_ENKUlT_T0_E_clISt17integral_constantIbLb1EES1A_IbLb0EEEEDaS16_S17_EUlS16_E_NS1_11comp_targetILNS1_3genE0ELNS1_11target_archE4294967295ELNS1_3gpuE0ELNS1_3repE0EEENS1_30default_config_static_selectorELNS0_4arch9wavefront6targetE0EEEvT1_,"axG",@progbits,_ZN7rocprim17ROCPRIM_400000_NS6detail17trampoline_kernelINS0_14default_configENS1_25partition_config_selectorILNS1_17partition_subalgoE6EtNS0_10empty_typeEbEEZZNS1_14partition_implILS5_6ELb0ES3_mN6thrust23THRUST_200600_302600_NS6detail15normal_iteratorINSA_10device_ptrItEEEEPS6_SG_NS0_5tupleIJNSA_16discard_iteratorINSA_11use_defaultEEES6_EEENSH_IJSG_SG_EEES6_PlJNSB_9not_fun_tI7is_trueItEEEEEE10hipError_tPvRmT3_T4_T5_T6_T7_T9_mT8_P12ihipStream_tbDpT10_ENKUlT_T0_E_clISt17integral_constantIbLb1EES1A_IbLb0EEEEDaS16_S17_EUlS16_E_NS1_11comp_targetILNS1_3genE0ELNS1_11target_archE4294967295ELNS1_3gpuE0ELNS1_3repE0EEENS1_30default_config_static_selectorELNS0_4arch9wavefront6targetE0EEEvT1_,comdat
.Lfunc_end2221:
	.size	_ZN7rocprim17ROCPRIM_400000_NS6detail17trampoline_kernelINS0_14default_configENS1_25partition_config_selectorILNS1_17partition_subalgoE6EtNS0_10empty_typeEbEEZZNS1_14partition_implILS5_6ELb0ES3_mN6thrust23THRUST_200600_302600_NS6detail15normal_iteratorINSA_10device_ptrItEEEEPS6_SG_NS0_5tupleIJNSA_16discard_iteratorINSA_11use_defaultEEES6_EEENSH_IJSG_SG_EEES6_PlJNSB_9not_fun_tI7is_trueItEEEEEE10hipError_tPvRmT3_T4_T5_T6_T7_T9_mT8_P12ihipStream_tbDpT10_ENKUlT_T0_E_clISt17integral_constantIbLb1EES1A_IbLb0EEEEDaS16_S17_EUlS16_E_NS1_11comp_targetILNS1_3genE0ELNS1_11target_archE4294967295ELNS1_3gpuE0ELNS1_3repE0EEENS1_30default_config_static_selectorELNS0_4arch9wavefront6targetE0EEEvT1_, .Lfunc_end2221-_ZN7rocprim17ROCPRIM_400000_NS6detail17trampoline_kernelINS0_14default_configENS1_25partition_config_selectorILNS1_17partition_subalgoE6EtNS0_10empty_typeEbEEZZNS1_14partition_implILS5_6ELb0ES3_mN6thrust23THRUST_200600_302600_NS6detail15normal_iteratorINSA_10device_ptrItEEEEPS6_SG_NS0_5tupleIJNSA_16discard_iteratorINSA_11use_defaultEEES6_EEENSH_IJSG_SG_EEES6_PlJNSB_9not_fun_tI7is_trueItEEEEEE10hipError_tPvRmT3_T4_T5_T6_T7_T9_mT8_P12ihipStream_tbDpT10_ENKUlT_T0_E_clISt17integral_constantIbLb1EES1A_IbLb0EEEEDaS16_S17_EUlS16_E_NS1_11comp_targetILNS1_3genE0ELNS1_11target_archE4294967295ELNS1_3gpuE0ELNS1_3repE0EEENS1_30default_config_static_selectorELNS0_4arch9wavefront6targetE0EEEvT1_
                                        ; -- End function
	.set _ZN7rocprim17ROCPRIM_400000_NS6detail17trampoline_kernelINS0_14default_configENS1_25partition_config_selectorILNS1_17partition_subalgoE6EtNS0_10empty_typeEbEEZZNS1_14partition_implILS5_6ELb0ES3_mN6thrust23THRUST_200600_302600_NS6detail15normal_iteratorINSA_10device_ptrItEEEEPS6_SG_NS0_5tupleIJNSA_16discard_iteratorINSA_11use_defaultEEES6_EEENSH_IJSG_SG_EEES6_PlJNSB_9not_fun_tI7is_trueItEEEEEE10hipError_tPvRmT3_T4_T5_T6_T7_T9_mT8_P12ihipStream_tbDpT10_ENKUlT_T0_E_clISt17integral_constantIbLb1EES1A_IbLb0EEEEDaS16_S17_EUlS16_E_NS1_11comp_targetILNS1_3genE0ELNS1_11target_archE4294967295ELNS1_3gpuE0ELNS1_3repE0EEENS1_30default_config_static_selectorELNS0_4arch9wavefront6targetE0EEEvT1_.num_vgpr, 0
	.set _ZN7rocprim17ROCPRIM_400000_NS6detail17trampoline_kernelINS0_14default_configENS1_25partition_config_selectorILNS1_17partition_subalgoE6EtNS0_10empty_typeEbEEZZNS1_14partition_implILS5_6ELb0ES3_mN6thrust23THRUST_200600_302600_NS6detail15normal_iteratorINSA_10device_ptrItEEEEPS6_SG_NS0_5tupleIJNSA_16discard_iteratorINSA_11use_defaultEEES6_EEENSH_IJSG_SG_EEES6_PlJNSB_9not_fun_tI7is_trueItEEEEEE10hipError_tPvRmT3_T4_T5_T6_T7_T9_mT8_P12ihipStream_tbDpT10_ENKUlT_T0_E_clISt17integral_constantIbLb1EES1A_IbLb0EEEEDaS16_S17_EUlS16_E_NS1_11comp_targetILNS1_3genE0ELNS1_11target_archE4294967295ELNS1_3gpuE0ELNS1_3repE0EEENS1_30default_config_static_selectorELNS0_4arch9wavefront6targetE0EEEvT1_.num_agpr, 0
	.set _ZN7rocprim17ROCPRIM_400000_NS6detail17trampoline_kernelINS0_14default_configENS1_25partition_config_selectorILNS1_17partition_subalgoE6EtNS0_10empty_typeEbEEZZNS1_14partition_implILS5_6ELb0ES3_mN6thrust23THRUST_200600_302600_NS6detail15normal_iteratorINSA_10device_ptrItEEEEPS6_SG_NS0_5tupleIJNSA_16discard_iteratorINSA_11use_defaultEEES6_EEENSH_IJSG_SG_EEES6_PlJNSB_9not_fun_tI7is_trueItEEEEEE10hipError_tPvRmT3_T4_T5_T6_T7_T9_mT8_P12ihipStream_tbDpT10_ENKUlT_T0_E_clISt17integral_constantIbLb1EES1A_IbLb0EEEEDaS16_S17_EUlS16_E_NS1_11comp_targetILNS1_3genE0ELNS1_11target_archE4294967295ELNS1_3gpuE0ELNS1_3repE0EEENS1_30default_config_static_selectorELNS0_4arch9wavefront6targetE0EEEvT1_.numbered_sgpr, 0
	.set _ZN7rocprim17ROCPRIM_400000_NS6detail17trampoline_kernelINS0_14default_configENS1_25partition_config_selectorILNS1_17partition_subalgoE6EtNS0_10empty_typeEbEEZZNS1_14partition_implILS5_6ELb0ES3_mN6thrust23THRUST_200600_302600_NS6detail15normal_iteratorINSA_10device_ptrItEEEEPS6_SG_NS0_5tupleIJNSA_16discard_iteratorINSA_11use_defaultEEES6_EEENSH_IJSG_SG_EEES6_PlJNSB_9not_fun_tI7is_trueItEEEEEE10hipError_tPvRmT3_T4_T5_T6_T7_T9_mT8_P12ihipStream_tbDpT10_ENKUlT_T0_E_clISt17integral_constantIbLb1EES1A_IbLb0EEEEDaS16_S17_EUlS16_E_NS1_11comp_targetILNS1_3genE0ELNS1_11target_archE4294967295ELNS1_3gpuE0ELNS1_3repE0EEENS1_30default_config_static_selectorELNS0_4arch9wavefront6targetE0EEEvT1_.num_named_barrier, 0
	.set _ZN7rocprim17ROCPRIM_400000_NS6detail17trampoline_kernelINS0_14default_configENS1_25partition_config_selectorILNS1_17partition_subalgoE6EtNS0_10empty_typeEbEEZZNS1_14partition_implILS5_6ELb0ES3_mN6thrust23THRUST_200600_302600_NS6detail15normal_iteratorINSA_10device_ptrItEEEEPS6_SG_NS0_5tupleIJNSA_16discard_iteratorINSA_11use_defaultEEES6_EEENSH_IJSG_SG_EEES6_PlJNSB_9not_fun_tI7is_trueItEEEEEE10hipError_tPvRmT3_T4_T5_T6_T7_T9_mT8_P12ihipStream_tbDpT10_ENKUlT_T0_E_clISt17integral_constantIbLb1EES1A_IbLb0EEEEDaS16_S17_EUlS16_E_NS1_11comp_targetILNS1_3genE0ELNS1_11target_archE4294967295ELNS1_3gpuE0ELNS1_3repE0EEENS1_30default_config_static_selectorELNS0_4arch9wavefront6targetE0EEEvT1_.private_seg_size, 0
	.set _ZN7rocprim17ROCPRIM_400000_NS6detail17trampoline_kernelINS0_14default_configENS1_25partition_config_selectorILNS1_17partition_subalgoE6EtNS0_10empty_typeEbEEZZNS1_14partition_implILS5_6ELb0ES3_mN6thrust23THRUST_200600_302600_NS6detail15normal_iteratorINSA_10device_ptrItEEEEPS6_SG_NS0_5tupleIJNSA_16discard_iteratorINSA_11use_defaultEEES6_EEENSH_IJSG_SG_EEES6_PlJNSB_9not_fun_tI7is_trueItEEEEEE10hipError_tPvRmT3_T4_T5_T6_T7_T9_mT8_P12ihipStream_tbDpT10_ENKUlT_T0_E_clISt17integral_constantIbLb1EES1A_IbLb0EEEEDaS16_S17_EUlS16_E_NS1_11comp_targetILNS1_3genE0ELNS1_11target_archE4294967295ELNS1_3gpuE0ELNS1_3repE0EEENS1_30default_config_static_selectorELNS0_4arch9wavefront6targetE0EEEvT1_.uses_vcc, 0
	.set _ZN7rocprim17ROCPRIM_400000_NS6detail17trampoline_kernelINS0_14default_configENS1_25partition_config_selectorILNS1_17partition_subalgoE6EtNS0_10empty_typeEbEEZZNS1_14partition_implILS5_6ELb0ES3_mN6thrust23THRUST_200600_302600_NS6detail15normal_iteratorINSA_10device_ptrItEEEEPS6_SG_NS0_5tupleIJNSA_16discard_iteratorINSA_11use_defaultEEES6_EEENSH_IJSG_SG_EEES6_PlJNSB_9not_fun_tI7is_trueItEEEEEE10hipError_tPvRmT3_T4_T5_T6_T7_T9_mT8_P12ihipStream_tbDpT10_ENKUlT_T0_E_clISt17integral_constantIbLb1EES1A_IbLb0EEEEDaS16_S17_EUlS16_E_NS1_11comp_targetILNS1_3genE0ELNS1_11target_archE4294967295ELNS1_3gpuE0ELNS1_3repE0EEENS1_30default_config_static_selectorELNS0_4arch9wavefront6targetE0EEEvT1_.uses_flat_scratch, 0
	.set _ZN7rocprim17ROCPRIM_400000_NS6detail17trampoline_kernelINS0_14default_configENS1_25partition_config_selectorILNS1_17partition_subalgoE6EtNS0_10empty_typeEbEEZZNS1_14partition_implILS5_6ELb0ES3_mN6thrust23THRUST_200600_302600_NS6detail15normal_iteratorINSA_10device_ptrItEEEEPS6_SG_NS0_5tupleIJNSA_16discard_iteratorINSA_11use_defaultEEES6_EEENSH_IJSG_SG_EEES6_PlJNSB_9not_fun_tI7is_trueItEEEEEE10hipError_tPvRmT3_T4_T5_T6_T7_T9_mT8_P12ihipStream_tbDpT10_ENKUlT_T0_E_clISt17integral_constantIbLb1EES1A_IbLb0EEEEDaS16_S17_EUlS16_E_NS1_11comp_targetILNS1_3genE0ELNS1_11target_archE4294967295ELNS1_3gpuE0ELNS1_3repE0EEENS1_30default_config_static_selectorELNS0_4arch9wavefront6targetE0EEEvT1_.has_dyn_sized_stack, 0
	.set _ZN7rocprim17ROCPRIM_400000_NS6detail17trampoline_kernelINS0_14default_configENS1_25partition_config_selectorILNS1_17partition_subalgoE6EtNS0_10empty_typeEbEEZZNS1_14partition_implILS5_6ELb0ES3_mN6thrust23THRUST_200600_302600_NS6detail15normal_iteratorINSA_10device_ptrItEEEEPS6_SG_NS0_5tupleIJNSA_16discard_iteratorINSA_11use_defaultEEES6_EEENSH_IJSG_SG_EEES6_PlJNSB_9not_fun_tI7is_trueItEEEEEE10hipError_tPvRmT3_T4_T5_T6_T7_T9_mT8_P12ihipStream_tbDpT10_ENKUlT_T0_E_clISt17integral_constantIbLb1EES1A_IbLb0EEEEDaS16_S17_EUlS16_E_NS1_11comp_targetILNS1_3genE0ELNS1_11target_archE4294967295ELNS1_3gpuE0ELNS1_3repE0EEENS1_30default_config_static_selectorELNS0_4arch9wavefront6targetE0EEEvT1_.has_recursion, 0
	.set _ZN7rocprim17ROCPRIM_400000_NS6detail17trampoline_kernelINS0_14default_configENS1_25partition_config_selectorILNS1_17partition_subalgoE6EtNS0_10empty_typeEbEEZZNS1_14partition_implILS5_6ELb0ES3_mN6thrust23THRUST_200600_302600_NS6detail15normal_iteratorINSA_10device_ptrItEEEEPS6_SG_NS0_5tupleIJNSA_16discard_iteratorINSA_11use_defaultEEES6_EEENSH_IJSG_SG_EEES6_PlJNSB_9not_fun_tI7is_trueItEEEEEE10hipError_tPvRmT3_T4_T5_T6_T7_T9_mT8_P12ihipStream_tbDpT10_ENKUlT_T0_E_clISt17integral_constantIbLb1EES1A_IbLb0EEEEDaS16_S17_EUlS16_E_NS1_11comp_targetILNS1_3genE0ELNS1_11target_archE4294967295ELNS1_3gpuE0ELNS1_3repE0EEENS1_30default_config_static_selectorELNS0_4arch9wavefront6targetE0EEEvT1_.has_indirect_call, 0
	.section	.AMDGPU.csdata,"",@progbits
; Kernel info:
; codeLenInByte = 0
; TotalNumSgprs: 0
; NumVgprs: 0
; ScratchSize: 0
; MemoryBound: 0
; FloatMode: 240
; IeeeMode: 1
; LDSByteSize: 0 bytes/workgroup (compile time only)
; SGPRBlocks: 0
; VGPRBlocks: 0
; NumSGPRsForWavesPerEU: 1
; NumVGPRsForWavesPerEU: 1
; Occupancy: 16
; WaveLimiterHint : 0
; COMPUTE_PGM_RSRC2:SCRATCH_EN: 0
; COMPUTE_PGM_RSRC2:USER_SGPR: 2
; COMPUTE_PGM_RSRC2:TRAP_HANDLER: 0
; COMPUTE_PGM_RSRC2:TGID_X_EN: 1
; COMPUTE_PGM_RSRC2:TGID_Y_EN: 0
; COMPUTE_PGM_RSRC2:TGID_Z_EN: 0
; COMPUTE_PGM_RSRC2:TIDIG_COMP_CNT: 0
	.section	.text._ZN7rocprim17ROCPRIM_400000_NS6detail17trampoline_kernelINS0_14default_configENS1_25partition_config_selectorILNS1_17partition_subalgoE6EtNS0_10empty_typeEbEEZZNS1_14partition_implILS5_6ELb0ES3_mN6thrust23THRUST_200600_302600_NS6detail15normal_iteratorINSA_10device_ptrItEEEEPS6_SG_NS0_5tupleIJNSA_16discard_iteratorINSA_11use_defaultEEES6_EEENSH_IJSG_SG_EEES6_PlJNSB_9not_fun_tI7is_trueItEEEEEE10hipError_tPvRmT3_T4_T5_T6_T7_T9_mT8_P12ihipStream_tbDpT10_ENKUlT_T0_E_clISt17integral_constantIbLb1EES1A_IbLb0EEEEDaS16_S17_EUlS16_E_NS1_11comp_targetILNS1_3genE5ELNS1_11target_archE942ELNS1_3gpuE9ELNS1_3repE0EEENS1_30default_config_static_selectorELNS0_4arch9wavefront6targetE0EEEvT1_,"axG",@progbits,_ZN7rocprim17ROCPRIM_400000_NS6detail17trampoline_kernelINS0_14default_configENS1_25partition_config_selectorILNS1_17partition_subalgoE6EtNS0_10empty_typeEbEEZZNS1_14partition_implILS5_6ELb0ES3_mN6thrust23THRUST_200600_302600_NS6detail15normal_iteratorINSA_10device_ptrItEEEEPS6_SG_NS0_5tupleIJNSA_16discard_iteratorINSA_11use_defaultEEES6_EEENSH_IJSG_SG_EEES6_PlJNSB_9not_fun_tI7is_trueItEEEEEE10hipError_tPvRmT3_T4_T5_T6_T7_T9_mT8_P12ihipStream_tbDpT10_ENKUlT_T0_E_clISt17integral_constantIbLb1EES1A_IbLb0EEEEDaS16_S17_EUlS16_E_NS1_11comp_targetILNS1_3genE5ELNS1_11target_archE942ELNS1_3gpuE9ELNS1_3repE0EEENS1_30default_config_static_selectorELNS0_4arch9wavefront6targetE0EEEvT1_,comdat
	.protected	_ZN7rocprim17ROCPRIM_400000_NS6detail17trampoline_kernelINS0_14default_configENS1_25partition_config_selectorILNS1_17partition_subalgoE6EtNS0_10empty_typeEbEEZZNS1_14partition_implILS5_6ELb0ES3_mN6thrust23THRUST_200600_302600_NS6detail15normal_iteratorINSA_10device_ptrItEEEEPS6_SG_NS0_5tupleIJNSA_16discard_iteratorINSA_11use_defaultEEES6_EEENSH_IJSG_SG_EEES6_PlJNSB_9not_fun_tI7is_trueItEEEEEE10hipError_tPvRmT3_T4_T5_T6_T7_T9_mT8_P12ihipStream_tbDpT10_ENKUlT_T0_E_clISt17integral_constantIbLb1EES1A_IbLb0EEEEDaS16_S17_EUlS16_E_NS1_11comp_targetILNS1_3genE5ELNS1_11target_archE942ELNS1_3gpuE9ELNS1_3repE0EEENS1_30default_config_static_selectorELNS0_4arch9wavefront6targetE0EEEvT1_ ; -- Begin function _ZN7rocprim17ROCPRIM_400000_NS6detail17trampoline_kernelINS0_14default_configENS1_25partition_config_selectorILNS1_17partition_subalgoE6EtNS0_10empty_typeEbEEZZNS1_14partition_implILS5_6ELb0ES3_mN6thrust23THRUST_200600_302600_NS6detail15normal_iteratorINSA_10device_ptrItEEEEPS6_SG_NS0_5tupleIJNSA_16discard_iteratorINSA_11use_defaultEEES6_EEENSH_IJSG_SG_EEES6_PlJNSB_9not_fun_tI7is_trueItEEEEEE10hipError_tPvRmT3_T4_T5_T6_T7_T9_mT8_P12ihipStream_tbDpT10_ENKUlT_T0_E_clISt17integral_constantIbLb1EES1A_IbLb0EEEEDaS16_S17_EUlS16_E_NS1_11comp_targetILNS1_3genE5ELNS1_11target_archE942ELNS1_3gpuE9ELNS1_3repE0EEENS1_30default_config_static_selectorELNS0_4arch9wavefront6targetE0EEEvT1_
	.globl	_ZN7rocprim17ROCPRIM_400000_NS6detail17trampoline_kernelINS0_14default_configENS1_25partition_config_selectorILNS1_17partition_subalgoE6EtNS0_10empty_typeEbEEZZNS1_14partition_implILS5_6ELb0ES3_mN6thrust23THRUST_200600_302600_NS6detail15normal_iteratorINSA_10device_ptrItEEEEPS6_SG_NS0_5tupleIJNSA_16discard_iteratorINSA_11use_defaultEEES6_EEENSH_IJSG_SG_EEES6_PlJNSB_9not_fun_tI7is_trueItEEEEEE10hipError_tPvRmT3_T4_T5_T6_T7_T9_mT8_P12ihipStream_tbDpT10_ENKUlT_T0_E_clISt17integral_constantIbLb1EES1A_IbLb0EEEEDaS16_S17_EUlS16_E_NS1_11comp_targetILNS1_3genE5ELNS1_11target_archE942ELNS1_3gpuE9ELNS1_3repE0EEENS1_30default_config_static_selectorELNS0_4arch9wavefront6targetE0EEEvT1_
	.p2align	8
	.type	_ZN7rocprim17ROCPRIM_400000_NS6detail17trampoline_kernelINS0_14default_configENS1_25partition_config_selectorILNS1_17partition_subalgoE6EtNS0_10empty_typeEbEEZZNS1_14partition_implILS5_6ELb0ES3_mN6thrust23THRUST_200600_302600_NS6detail15normal_iteratorINSA_10device_ptrItEEEEPS6_SG_NS0_5tupleIJNSA_16discard_iteratorINSA_11use_defaultEEES6_EEENSH_IJSG_SG_EEES6_PlJNSB_9not_fun_tI7is_trueItEEEEEE10hipError_tPvRmT3_T4_T5_T6_T7_T9_mT8_P12ihipStream_tbDpT10_ENKUlT_T0_E_clISt17integral_constantIbLb1EES1A_IbLb0EEEEDaS16_S17_EUlS16_E_NS1_11comp_targetILNS1_3genE5ELNS1_11target_archE942ELNS1_3gpuE9ELNS1_3repE0EEENS1_30default_config_static_selectorELNS0_4arch9wavefront6targetE0EEEvT1_,@function
_ZN7rocprim17ROCPRIM_400000_NS6detail17trampoline_kernelINS0_14default_configENS1_25partition_config_selectorILNS1_17partition_subalgoE6EtNS0_10empty_typeEbEEZZNS1_14partition_implILS5_6ELb0ES3_mN6thrust23THRUST_200600_302600_NS6detail15normal_iteratorINSA_10device_ptrItEEEEPS6_SG_NS0_5tupleIJNSA_16discard_iteratorINSA_11use_defaultEEES6_EEENSH_IJSG_SG_EEES6_PlJNSB_9not_fun_tI7is_trueItEEEEEE10hipError_tPvRmT3_T4_T5_T6_T7_T9_mT8_P12ihipStream_tbDpT10_ENKUlT_T0_E_clISt17integral_constantIbLb1EES1A_IbLb0EEEEDaS16_S17_EUlS16_E_NS1_11comp_targetILNS1_3genE5ELNS1_11target_archE942ELNS1_3gpuE9ELNS1_3repE0EEENS1_30default_config_static_selectorELNS0_4arch9wavefront6targetE0EEEvT1_: ; @_ZN7rocprim17ROCPRIM_400000_NS6detail17trampoline_kernelINS0_14default_configENS1_25partition_config_selectorILNS1_17partition_subalgoE6EtNS0_10empty_typeEbEEZZNS1_14partition_implILS5_6ELb0ES3_mN6thrust23THRUST_200600_302600_NS6detail15normal_iteratorINSA_10device_ptrItEEEEPS6_SG_NS0_5tupleIJNSA_16discard_iteratorINSA_11use_defaultEEES6_EEENSH_IJSG_SG_EEES6_PlJNSB_9not_fun_tI7is_trueItEEEEEE10hipError_tPvRmT3_T4_T5_T6_T7_T9_mT8_P12ihipStream_tbDpT10_ENKUlT_T0_E_clISt17integral_constantIbLb1EES1A_IbLb0EEEEDaS16_S17_EUlS16_E_NS1_11comp_targetILNS1_3genE5ELNS1_11target_archE942ELNS1_3gpuE9ELNS1_3repE0EEENS1_30default_config_static_selectorELNS0_4arch9wavefront6targetE0EEEvT1_
; %bb.0:
	.section	.rodata,"a",@progbits
	.p2align	6, 0x0
	.amdhsa_kernel _ZN7rocprim17ROCPRIM_400000_NS6detail17trampoline_kernelINS0_14default_configENS1_25partition_config_selectorILNS1_17partition_subalgoE6EtNS0_10empty_typeEbEEZZNS1_14partition_implILS5_6ELb0ES3_mN6thrust23THRUST_200600_302600_NS6detail15normal_iteratorINSA_10device_ptrItEEEEPS6_SG_NS0_5tupleIJNSA_16discard_iteratorINSA_11use_defaultEEES6_EEENSH_IJSG_SG_EEES6_PlJNSB_9not_fun_tI7is_trueItEEEEEE10hipError_tPvRmT3_T4_T5_T6_T7_T9_mT8_P12ihipStream_tbDpT10_ENKUlT_T0_E_clISt17integral_constantIbLb1EES1A_IbLb0EEEEDaS16_S17_EUlS16_E_NS1_11comp_targetILNS1_3genE5ELNS1_11target_archE942ELNS1_3gpuE9ELNS1_3repE0EEENS1_30default_config_static_selectorELNS0_4arch9wavefront6targetE0EEEvT1_
		.amdhsa_group_segment_fixed_size 0
		.amdhsa_private_segment_fixed_size 0
		.amdhsa_kernarg_size 120
		.amdhsa_user_sgpr_count 2
		.amdhsa_user_sgpr_dispatch_ptr 0
		.amdhsa_user_sgpr_queue_ptr 0
		.amdhsa_user_sgpr_kernarg_segment_ptr 1
		.amdhsa_user_sgpr_dispatch_id 0
		.amdhsa_user_sgpr_private_segment_size 0
		.amdhsa_wavefront_size32 1
		.amdhsa_uses_dynamic_stack 0
		.amdhsa_enable_private_segment 0
		.amdhsa_system_sgpr_workgroup_id_x 1
		.amdhsa_system_sgpr_workgroup_id_y 0
		.amdhsa_system_sgpr_workgroup_id_z 0
		.amdhsa_system_sgpr_workgroup_info 0
		.amdhsa_system_vgpr_workitem_id 0
		.amdhsa_next_free_vgpr 1
		.amdhsa_next_free_sgpr 1
		.amdhsa_reserve_vcc 0
		.amdhsa_float_round_mode_32 0
		.amdhsa_float_round_mode_16_64 0
		.amdhsa_float_denorm_mode_32 3
		.amdhsa_float_denorm_mode_16_64 3
		.amdhsa_fp16_overflow 0
		.amdhsa_workgroup_processor_mode 1
		.amdhsa_memory_ordered 1
		.amdhsa_forward_progress 1
		.amdhsa_inst_pref_size 0
		.amdhsa_round_robin_scheduling 0
		.amdhsa_exception_fp_ieee_invalid_op 0
		.amdhsa_exception_fp_denorm_src 0
		.amdhsa_exception_fp_ieee_div_zero 0
		.amdhsa_exception_fp_ieee_overflow 0
		.amdhsa_exception_fp_ieee_underflow 0
		.amdhsa_exception_fp_ieee_inexact 0
		.amdhsa_exception_int_div_zero 0
	.end_amdhsa_kernel
	.section	.text._ZN7rocprim17ROCPRIM_400000_NS6detail17trampoline_kernelINS0_14default_configENS1_25partition_config_selectorILNS1_17partition_subalgoE6EtNS0_10empty_typeEbEEZZNS1_14partition_implILS5_6ELb0ES3_mN6thrust23THRUST_200600_302600_NS6detail15normal_iteratorINSA_10device_ptrItEEEEPS6_SG_NS0_5tupleIJNSA_16discard_iteratorINSA_11use_defaultEEES6_EEENSH_IJSG_SG_EEES6_PlJNSB_9not_fun_tI7is_trueItEEEEEE10hipError_tPvRmT3_T4_T5_T6_T7_T9_mT8_P12ihipStream_tbDpT10_ENKUlT_T0_E_clISt17integral_constantIbLb1EES1A_IbLb0EEEEDaS16_S17_EUlS16_E_NS1_11comp_targetILNS1_3genE5ELNS1_11target_archE942ELNS1_3gpuE9ELNS1_3repE0EEENS1_30default_config_static_selectorELNS0_4arch9wavefront6targetE0EEEvT1_,"axG",@progbits,_ZN7rocprim17ROCPRIM_400000_NS6detail17trampoline_kernelINS0_14default_configENS1_25partition_config_selectorILNS1_17partition_subalgoE6EtNS0_10empty_typeEbEEZZNS1_14partition_implILS5_6ELb0ES3_mN6thrust23THRUST_200600_302600_NS6detail15normal_iteratorINSA_10device_ptrItEEEEPS6_SG_NS0_5tupleIJNSA_16discard_iteratorINSA_11use_defaultEEES6_EEENSH_IJSG_SG_EEES6_PlJNSB_9not_fun_tI7is_trueItEEEEEE10hipError_tPvRmT3_T4_T5_T6_T7_T9_mT8_P12ihipStream_tbDpT10_ENKUlT_T0_E_clISt17integral_constantIbLb1EES1A_IbLb0EEEEDaS16_S17_EUlS16_E_NS1_11comp_targetILNS1_3genE5ELNS1_11target_archE942ELNS1_3gpuE9ELNS1_3repE0EEENS1_30default_config_static_selectorELNS0_4arch9wavefront6targetE0EEEvT1_,comdat
.Lfunc_end2222:
	.size	_ZN7rocprim17ROCPRIM_400000_NS6detail17trampoline_kernelINS0_14default_configENS1_25partition_config_selectorILNS1_17partition_subalgoE6EtNS0_10empty_typeEbEEZZNS1_14partition_implILS5_6ELb0ES3_mN6thrust23THRUST_200600_302600_NS6detail15normal_iteratorINSA_10device_ptrItEEEEPS6_SG_NS0_5tupleIJNSA_16discard_iteratorINSA_11use_defaultEEES6_EEENSH_IJSG_SG_EEES6_PlJNSB_9not_fun_tI7is_trueItEEEEEE10hipError_tPvRmT3_T4_T5_T6_T7_T9_mT8_P12ihipStream_tbDpT10_ENKUlT_T0_E_clISt17integral_constantIbLb1EES1A_IbLb0EEEEDaS16_S17_EUlS16_E_NS1_11comp_targetILNS1_3genE5ELNS1_11target_archE942ELNS1_3gpuE9ELNS1_3repE0EEENS1_30default_config_static_selectorELNS0_4arch9wavefront6targetE0EEEvT1_, .Lfunc_end2222-_ZN7rocprim17ROCPRIM_400000_NS6detail17trampoline_kernelINS0_14default_configENS1_25partition_config_selectorILNS1_17partition_subalgoE6EtNS0_10empty_typeEbEEZZNS1_14partition_implILS5_6ELb0ES3_mN6thrust23THRUST_200600_302600_NS6detail15normal_iteratorINSA_10device_ptrItEEEEPS6_SG_NS0_5tupleIJNSA_16discard_iteratorINSA_11use_defaultEEES6_EEENSH_IJSG_SG_EEES6_PlJNSB_9not_fun_tI7is_trueItEEEEEE10hipError_tPvRmT3_T4_T5_T6_T7_T9_mT8_P12ihipStream_tbDpT10_ENKUlT_T0_E_clISt17integral_constantIbLb1EES1A_IbLb0EEEEDaS16_S17_EUlS16_E_NS1_11comp_targetILNS1_3genE5ELNS1_11target_archE942ELNS1_3gpuE9ELNS1_3repE0EEENS1_30default_config_static_selectorELNS0_4arch9wavefront6targetE0EEEvT1_
                                        ; -- End function
	.set _ZN7rocprim17ROCPRIM_400000_NS6detail17trampoline_kernelINS0_14default_configENS1_25partition_config_selectorILNS1_17partition_subalgoE6EtNS0_10empty_typeEbEEZZNS1_14partition_implILS5_6ELb0ES3_mN6thrust23THRUST_200600_302600_NS6detail15normal_iteratorINSA_10device_ptrItEEEEPS6_SG_NS0_5tupleIJNSA_16discard_iteratorINSA_11use_defaultEEES6_EEENSH_IJSG_SG_EEES6_PlJNSB_9not_fun_tI7is_trueItEEEEEE10hipError_tPvRmT3_T4_T5_T6_T7_T9_mT8_P12ihipStream_tbDpT10_ENKUlT_T0_E_clISt17integral_constantIbLb1EES1A_IbLb0EEEEDaS16_S17_EUlS16_E_NS1_11comp_targetILNS1_3genE5ELNS1_11target_archE942ELNS1_3gpuE9ELNS1_3repE0EEENS1_30default_config_static_selectorELNS0_4arch9wavefront6targetE0EEEvT1_.num_vgpr, 0
	.set _ZN7rocprim17ROCPRIM_400000_NS6detail17trampoline_kernelINS0_14default_configENS1_25partition_config_selectorILNS1_17partition_subalgoE6EtNS0_10empty_typeEbEEZZNS1_14partition_implILS5_6ELb0ES3_mN6thrust23THRUST_200600_302600_NS6detail15normal_iteratorINSA_10device_ptrItEEEEPS6_SG_NS0_5tupleIJNSA_16discard_iteratorINSA_11use_defaultEEES6_EEENSH_IJSG_SG_EEES6_PlJNSB_9not_fun_tI7is_trueItEEEEEE10hipError_tPvRmT3_T4_T5_T6_T7_T9_mT8_P12ihipStream_tbDpT10_ENKUlT_T0_E_clISt17integral_constantIbLb1EES1A_IbLb0EEEEDaS16_S17_EUlS16_E_NS1_11comp_targetILNS1_3genE5ELNS1_11target_archE942ELNS1_3gpuE9ELNS1_3repE0EEENS1_30default_config_static_selectorELNS0_4arch9wavefront6targetE0EEEvT1_.num_agpr, 0
	.set _ZN7rocprim17ROCPRIM_400000_NS6detail17trampoline_kernelINS0_14default_configENS1_25partition_config_selectorILNS1_17partition_subalgoE6EtNS0_10empty_typeEbEEZZNS1_14partition_implILS5_6ELb0ES3_mN6thrust23THRUST_200600_302600_NS6detail15normal_iteratorINSA_10device_ptrItEEEEPS6_SG_NS0_5tupleIJNSA_16discard_iteratorINSA_11use_defaultEEES6_EEENSH_IJSG_SG_EEES6_PlJNSB_9not_fun_tI7is_trueItEEEEEE10hipError_tPvRmT3_T4_T5_T6_T7_T9_mT8_P12ihipStream_tbDpT10_ENKUlT_T0_E_clISt17integral_constantIbLb1EES1A_IbLb0EEEEDaS16_S17_EUlS16_E_NS1_11comp_targetILNS1_3genE5ELNS1_11target_archE942ELNS1_3gpuE9ELNS1_3repE0EEENS1_30default_config_static_selectorELNS0_4arch9wavefront6targetE0EEEvT1_.numbered_sgpr, 0
	.set _ZN7rocprim17ROCPRIM_400000_NS6detail17trampoline_kernelINS0_14default_configENS1_25partition_config_selectorILNS1_17partition_subalgoE6EtNS0_10empty_typeEbEEZZNS1_14partition_implILS5_6ELb0ES3_mN6thrust23THRUST_200600_302600_NS6detail15normal_iteratorINSA_10device_ptrItEEEEPS6_SG_NS0_5tupleIJNSA_16discard_iteratorINSA_11use_defaultEEES6_EEENSH_IJSG_SG_EEES6_PlJNSB_9not_fun_tI7is_trueItEEEEEE10hipError_tPvRmT3_T4_T5_T6_T7_T9_mT8_P12ihipStream_tbDpT10_ENKUlT_T0_E_clISt17integral_constantIbLb1EES1A_IbLb0EEEEDaS16_S17_EUlS16_E_NS1_11comp_targetILNS1_3genE5ELNS1_11target_archE942ELNS1_3gpuE9ELNS1_3repE0EEENS1_30default_config_static_selectorELNS0_4arch9wavefront6targetE0EEEvT1_.num_named_barrier, 0
	.set _ZN7rocprim17ROCPRIM_400000_NS6detail17trampoline_kernelINS0_14default_configENS1_25partition_config_selectorILNS1_17partition_subalgoE6EtNS0_10empty_typeEbEEZZNS1_14partition_implILS5_6ELb0ES3_mN6thrust23THRUST_200600_302600_NS6detail15normal_iteratorINSA_10device_ptrItEEEEPS6_SG_NS0_5tupleIJNSA_16discard_iteratorINSA_11use_defaultEEES6_EEENSH_IJSG_SG_EEES6_PlJNSB_9not_fun_tI7is_trueItEEEEEE10hipError_tPvRmT3_T4_T5_T6_T7_T9_mT8_P12ihipStream_tbDpT10_ENKUlT_T0_E_clISt17integral_constantIbLb1EES1A_IbLb0EEEEDaS16_S17_EUlS16_E_NS1_11comp_targetILNS1_3genE5ELNS1_11target_archE942ELNS1_3gpuE9ELNS1_3repE0EEENS1_30default_config_static_selectorELNS0_4arch9wavefront6targetE0EEEvT1_.private_seg_size, 0
	.set _ZN7rocprim17ROCPRIM_400000_NS6detail17trampoline_kernelINS0_14default_configENS1_25partition_config_selectorILNS1_17partition_subalgoE6EtNS0_10empty_typeEbEEZZNS1_14partition_implILS5_6ELb0ES3_mN6thrust23THRUST_200600_302600_NS6detail15normal_iteratorINSA_10device_ptrItEEEEPS6_SG_NS0_5tupleIJNSA_16discard_iteratorINSA_11use_defaultEEES6_EEENSH_IJSG_SG_EEES6_PlJNSB_9not_fun_tI7is_trueItEEEEEE10hipError_tPvRmT3_T4_T5_T6_T7_T9_mT8_P12ihipStream_tbDpT10_ENKUlT_T0_E_clISt17integral_constantIbLb1EES1A_IbLb0EEEEDaS16_S17_EUlS16_E_NS1_11comp_targetILNS1_3genE5ELNS1_11target_archE942ELNS1_3gpuE9ELNS1_3repE0EEENS1_30default_config_static_selectorELNS0_4arch9wavefront6targetE0EEEvT1_.uses_vcc, 0
	.set _ZN7rocprim17ROCPRIM_400000_NS6detail17trampoline_kernelINS0_14default_configENS1_25partition_config_selectorILNS1_17partition_subalgoE6EtNS0_10empty_typeEbEEZZNS1_14partition_implILS5_6ELb0ES3_mN6thrust23THRUST_200600_302600_NS6detail15normal_iteratorINSA_10device_ptrItEEEEPS6_SG_NS0_5tupleIJNSA_16discard_iteratorINSA_11use_defaultEEES6_EEENSH_IJSG_SG_EEES6_PlJNSB_9not_fun_tI7is_trueItEEEEEE10hipError_tPvRmT3_T4_T5_T6_T7_T9_mT8_P12ihipStream_tbDpT10_ENKUlT_T0_E_clISt17integral_constantIbLb1EES1A_IbLb0EEEEDaS16_S17_EUlS16_E_NS1_11comp_targetILNS1_3genE5ELNS1_11target_archE942ELNS1_3gpuE9ELNS1_3repE0EEENS1_30default_config_static_selectorELNS0_4arch9wavefront6targetE0EEEvT1_.uses_flat_scratch, 0
	.set _ZN7rocprim17ROCPRIM_400000_NS6detail17trampoline_kernelINS0_14default_configENS1_25partition_config_selectorILNS1_17partition_subalgoE6EtNS0_10empty_typeEbEEZZNS1_14partition_implILS5_6ELb0ES3_mN6thrust23THRUST_200600_302600_NS6detail15normal_iteratorINSA_10device_ptrItEEEEPS6_SG_NS0_5tupleIJNSA_16discard_iteratorINSA_11use_defaultEEES6_EEENSH_IJSG_SG_EEES6_PlJNSB_9not_fun_tI7is_trueItEEEEEE10hipError_tPvRmT3_T4_T5_T6_T7_T9_mT8_P12ihipStream_tbDpT10_ENKUlT_T0_E_clISt17integral_constantIbLb1EES1A_IbLb0EEEEDaS16_S17_EUlS16_E_NS1_11comp_targetILNS1_3genE5ELNS1_11target_archE942ELNS1_3gpuE9ELNS1_3repE0EEENS1_30default_config_static_selectorELNS0_4arch9wavefront6targetE0EEEvT1_.has_dyn_sized_stack, 0
	.set _ZN7rocprim17ROCPRIM_400000_NS6detail17trampoline_kernelINS0_14default_configENS1_25partition_config_selectorILNS1_17partition_subalgoE6EtNS0_10empty_typeEbEEZZNS1_14partition_implILS5_6ELb0ES3_mN6thrust23THRUST_200600_302600_NS6detail15normal_iteratorINSA_10device_ptrItEEEEPS6_SG_NS0_5tupleIJNSA_16discard_iteratorINSA_11use_defaultEEES6_EEENSH_IJSG_SG_EEES6_PlJNSB_9not_fun_tI7is_trueItEEEEEE10hipError_tPvRmT3_T4_T5_T6_T7_T9_mT8_P12ihipStream_tbDpT10_ENKUlT_T0_E_clISt17integral_constantIbLb1EES1A_IbLb0EEEEDaS16_S17_EUlS16_E_NS1_11comp_targetILNS1_3genE5ELNS1_11target_archE942ELNS1_3gpuE9ELNS1_3repE0EEENS1_30default_config_static_selectorELNS0_4arch9wavefront6targetE0EEEvT1_.has_recursion, 0
	.set _ZN7rocprim17ROCPRIM_400000_NS6detail17trampoline_kernelINS0_14default_configENS1_25partition_config_selectorILNS1_17partition_subalgoE6EtNS0_10empty_typeEbEEZZNS1_14partition_implILS5_6ELb0ES3_mN6thrust23THRUST_200600_302600_NS6detail15normal_iteratorINSA_10device_ptrItEEEEPS6_SG_NS0_5tupleIJNSA_16discard_iteratorINSA_11use_defaultEEES6_EEENSH_IJSG_SG_EEES6_PlJNSB_9not_fun_tI7is_trueItEEEEEE10hipError_tPvRmT3_T4_T5_T6_T7_T9_mT8_P12ihipStream_tbDpT10_ENKUlT_T0_E_clISt17integral_constantIbLb1EES1A_IbLb0EEEEDaS16_S17_EUlS16_E_NS1_11comp_targetILNS1_3genE5ELNS1_11target_archE942ELNS1_3gpuE9ELNS1_3repE0EEENS1_30default_config_static_selectorELNS0_4arch9wavefront6targetE0EEEvT1_.has_indirect_call, 0
	.section	.AMDGPU.csdata,"",@progbits
; Kernel info:
; codeLenInByte = 0
; TotalNumSgprs: 0
; NumVgprs: 0
; ScratchSize: 0
; MemoryBound: 0
; FloatMode: 240
; IeeeMode: 1
; LDSByteSize: 0 bytes/workgroup (compile time only)
; SGPRBlocks: 0
; VGPRBlocks: 0
; NumSGPRsForWavesPerEU: 1
; NumVGPRsForWavesPerEU: 1
; Occupancy: 16
; WaveLimiterHint : 0
; COMPUTE_PGM_RSRC2:SCRATCH_EN: 0
; COMPUTE_PGM_RSRC2:USER_SGPR: 2
; COMPUTE_PGM_RSRC2:TRAP_HANDLER: 0
; COMPUTE_PGM_RSRC2:TGID_X_EN: 1
; COMPUTE_PGM_RSRC2:TGID_Y_EN: 0
; COMPUTE_PGM_RSRC2:TGID_Z_EN: 0
; COMPUTE_PGM_RSRC2:TIDIG_COMP_CNT: 0
	.section	.text._ZN7rocprim17ROCPRIM_400000_NS6detail17trampoline_kernelINS0_14default_configENS1_25partition_config_selectorILNS1_17partition_subalgoE6EtNS0_10empty_typeEbEEZZNS1_14partition_implILS5_6ELb0ES3_mN6thrust23THRUST_200600_302600_NS6detail15normal_iteratorINSA_10device_ptrItEEEEPS6_SG_NS0_5tupleIJNSA_16discard_iteratorINSA_11use_defaultEEES6_EEENSH_IJSG_SG_EEES6_PlJNSB_9not_fun_tI7is_trueItEEEEEE10hipError_tPvRmT3_T4_T5_T6_T7_T9_mT8_P12ihipStream_tbDpT10_ENKUlT_T0_E_clISt17integral_constantIbLb1EES1A_IbLb0EEEEDaS16_S17_EUlS16_E_NS1_11comp_targetILNS1_3genE4ELNS1_11target_archE910ELNS1_3gpuE8ELNS1_3repE0EEENS1_30default_config_static_selectorELNS0_4arch9wavefront6targetE0EEEvT1_,"axG",@progbits,_ZN7rocprim17ROCPRIM_400000_NS6detail17trampoline_kernelINS0_14default_configENS1_25partition_config_selectorILNS1_17partition_subalgoE6EtNS0_10empty_typeEbEEZZNS1_14partition_implILS5_6ELb0ES3_mN6thrust23THRUST_200600_302600_NS6detail15normal_iteratorINSA_10device_ptrItEEEEPS6_SG_NS0_5tupleIJNSA_16discard_iteratorINSA_11use_defaultEEES6_EEENSH_IJSG_SG_EEES6_PlJNSB_9not_fun_tI7is_trueItEEEEEE10hipError_tPvRmT3_T4_T5_T6_T7_T9_mT8_P12ihipStream_tbDpT10_ENKUlT_T0_E_clISt17integral_constantIbLb1EES1A_IbLb0EEEEDaS16_S17_EUlS16_E_NS1_11comp_targetILNS1_3genE4ELNS1_11target_archE910ELNS1_3gpuE8ELNS1_3repE0EEENS1_30default_config_static_selectorELNS0_4arch9wavefront6targetE0EEEvT1_,comdat
	.protected	_ZN7rocprim17ROCPRIM_400000_NS6detail17trampoline_kernelINS0_14default_configENS1_25partition_config_selectorILNS1_17partition_subalgoE6EtNS0_10empty_typeEbEEZZNS1_14partition_implILS5_6ELb0ES3_mN6thrust23THRUST_200600_302600_NS6detail15normal_iteratorINSA_10device_ptrItEEEEPS6_SG_NS0_5tupleIJNSA_16discard_iteratorINSA_11use_defaultEEES6_EEENSH_IJSG_SG_EEES6_PlJNSB_9not_fun_tI7is_trueItEEEEEE10hipError_tPvRmT3_T4_T5_T6_T7_T9_mT8_P12ihipStream_tbDpT10_ENKUlT_T0_E_clISt17integral_constantIbLb1EES1A_IbLb0EEEEDaS16_S17_EUlS16_E_NS1_11comp_targetILNS1_3genE4ELNS1_11target_archE910ELNS1_3gpuE8ELNS1_3repE0EEENS1_30default_config_static_selectorELNS0_4arch9wavefront6targetE0EEEvT1_ ; -- Begin function _ZN7rocprim17ROCPRIM_400000_NS6detail17trampoline_kernelINS0_14default_configENS1_25partition_config_selectorILNS1_17partition_subalgoE6EtNS0_10empty_typeEbEEZZNS1_14partition_implILS5_6ELb0ES3_mN6thrust23THRUST_200600_302600_NS6detail15normal_iteratorINSA_10device_ptrItEEEEPS6_SG_NS0_5tupleIJNSA_16discard_iteratorINSA_11use_defaultEEES6_EEENSH_IJSG_SG_EEES6_PlJNSB_9not_fun_tI7is_trueItEEEEEE10hipError_tPvRmT3_T4_T5_T6_T7_T9_mT8_P12ihipStream_tbDpT10_ENKUlT_T0_E_clISt17integral_constantIbLb1EES1A_IbLb0EEEEDaS16_S17_EUlS16_E_NS1_11comp_targetILNS1_3genE4ELNS1_11target_archE910ELNS1_3gpuE8ELNS1_3repE0EEENS1_30default_config_static_selectorELNS0_4arch9wavefront6targetE0EEEvT1_
	.globl	_ZN7rocprim17ROCPRIM_400000_NS6detail17trampoline_kernelINS0_14default_configENS1_25partition_config_selectorILNS1_17partition_subalgoE6EtNS0_10empty_typeEbEEZZNS1_14partition_implILS5_6ELb0ES3_mN6thrust23THRUST_200600_302600_NS6detail15normal_iteratorINSA_10device_ptrItEEEEPS6_SG_NS0_5tupleIJNSA_16discard_iteratorINSA_11use_defaultEEES6_EEENSH_IJSG_SG_EEES6_PlJNSB_9not_fun_tI7is_trueItEEEEEE10hipError_tPvRmT3_T4_T5_T6_T7_T9_mT8_P12ihipStream_tbDpT10_ENKUlT_T0_E_clISt17integral_constantIbLb1EES1A_IbLb0EEEEDaS16_S17_EUlS16_E_NS1_11comp_targetILNS1_3genE4ELNS1_11target_archE910ELNS1_3gpuE8ELNS1_3repE0EEENS1_30default_config_static_selectorELNS0_4arch9wavefront6targetE0EEEvT1_
	.p2align	8
	.type	_ZN7rocprim17ROCPRIM_400000_NS6detail17trampoline_kernelINS0_14default_configENS1_25partition_config_selectorILNS1_17partition_subalgoE6EtNS0_10empty_typeEbEEZZNS1_14partition_implILS5_6ELb0ES3_mN6thrust23THRUST_200600_302600_NS6detail15normal_iteratorINSA_10device_ptrItEEEEPS6_SG_NS0_5tupleIJNSA_16discard_iteratorINSA_11use_defaultEEES6_EEENSH_IJSG_SG_EEES6_PlJNSB_9not_fun_tI7is_trueItEEEEEE10hipError_tPvRmT3_T4_T5_T6_T7_T9_mT8_P12ihipStream_tbDpT10_ENKUlT_T0_E_clISt17integral_constantIbLb1EES1A_IbLb0EEEEDaS16_S17_EUlS16_E_NS1_11comp_targetILNS1_3genE4ELNS1_11target_archE910ELNS1_3gpuE8ELNS1_3repE0EEENS1_30default_config_static_selectorELNS0_4arch9wavefront6targetE0EEEvT1_,@function
_ZN7rocprim17ROCPRIM_400000_NS6detail17trampoline_kernelINS0_14default_configENS1_25partition_config_selectorILNS1_17partition_subalgoE6EtNS0_10empty_typeEbEEZZNS1_14partition_implILS5_6ELb0ES3_mN6thrust23THRUST_200600_302600_NS6detail15normal_iteratorINSA_10device_ptrItEEEEPS6_SG_NS0_5tupleIJNSA_16discard_iteratorINSA_11use_defaultEEES6_EEENSH_IJSG_SG_EEES6_PlJNSB_9not_fun_tI7is_trueItEEEEEE10hipError_tPvRmT3_T4_T5_T6_T7_T9_mT8_P12ihipStream_tbDpT10_ENKUlT_T0_E_clISt17integral_constantIbLb1EES1A_IbLb0EEEEDaS16_S17_EUlS16_E_NS1_11comp_targetILNS1_3genE4ELNS1_11target_archE910ELNS1_3gpuE8ELNS1_3repE0EEENS1_30default_config_static_selectorELNS0_4arch9wavefront6targetE0EEEvT1_: ; @_ZN7rocprim17ROCPRIM_400000_NS6detail17trampoline_kernelINS0_14default_configENS1_25partition_config_selectorILNS1_17partition_subalgoE6EtNS0_10empty_typeEbEEZZNS1_14partition_implILS5_6ELb0ES3_mN6thrust23THRUST_200600_302600_NS6detail15normal_iteratorINSA_10device_ptrItEEEEPS6_SG_NS0_5tupleIJNSA_16discard_iteratorINSA_11use_defaultEEES6_EEENSH_IJSG_SG_EEES6_PlJNSB_9not_fun_tI7is_trueItEEEEEE10hipError_tPvRmT3_T4_T5_T6_T7_T9_mT8_P12ihipStream_tbDpT10_ENKUlT_T0_E_clISt17integral_constantIbLb1EES1A_IbLb0EEEEDaS16_S17_EUlS16_E_NS1_11comp_targetILNS1_3genE4ELNS1_11target_archE910ELNS1_3gpuE8ELNS1_3repE0EEENS1_30default_config_static_selectorELNS0_4arch9wavefront6targetE0EEEvT1_
; %bb.0:
	.section	.rodata,"a",@progbits
	.p2align	6, 0x0
	.amdhsa_kernel _ZN7rocprim17ROCPRIM_400000_NS6detail17trampoline_kernelINS0_14default_configENS1_25partition_config_selectorILNS1_17partition_subalgoE6EtNS0_10empty_typeEbEEZZNS1_14partition_implILS5_6ELb0ES3_mN6thrust23THRUST_200600_302600_NS6detail15normal_iteratorINSA_10device_ptrItEEEEPS6_SG_NS0_5tupleIJNSA_16discard_iteratorINSA_11use_defaultEEES6_EEENSH_IJSG_SG_EEES6_PlJNSB_9not_fun_tI7is_trueItEEEEEE10hipError_tPvRmT3_T4_T5_T6_T7_T9_mT8_P12ihipStream_tbDpT10_ENKUlT_T0_E_clISt17integral_constantIbLb1EES1A_IbLb0EEEEDaS16_S17_EUlS16_E_NS1_11comp_targetILNS1_3genE4ELNS1_11target_archE910ELNS1_3gpuE8ELNS1_3repE0EEENS1_30default_config_static_selectorELNS0_4arch9wavefront6targetE0EEEvT1_
		.amdhsa_group_segment_fixed_size 0
		.amdhsa_private_segment_fixed_size 0
		.amdhsa_kernarg_size 120
		.amdhsa_user_sgpr_count 2
		.amdhsa_user_sgpr_dispatch_ptr 0
		.amdhsa_user_sgpr_queue_ptr 0
		.amdhsa_user_sgpr_kernarg_segment_ptr 1
		.amdhsa_user_sgpr_dispatch_id 0
		.amdhsa_user_sgpr_private_segment_size 0
		.amdhsa_wavefront_size32 1
		.amdhsa_uses_dynamic_stack 0
		.amdhsa_enable_private_segment 0
		.amdhsa_system_sgpr_workgroup_id_x 1
		.amdhsa_system_sgpr_workgroup_id_y 0
		.amdhsa_system_sgpr_workgroup_id_z 0
		.amdhsa_system_sgpr_workgroup_info 0
		.amdhsa_system_vgpr_workitem_id 0
		.amdhsa_next_free_vgpr 1
		.amdhsa_next_free_sgpr 1
		.amdhsa_reserve_vcc 0
		.amdhsa_float_round_mode_32 0
		.amdhsa_float_round_mode_16_64 0
		.amdhsa_float_denorm_mode_32 3
		.amdhsa_float_denorm_mode_16_64 3
		.amdhsa_fp16_overflow 0
		.amdhsa_workgroup_processor_mode 1
		.amdhsa_memory_ordered 1
		.amdhsa_forward_progress 1
		.amdhsa_inst_pref_size 0
		.amdhsa_round_robin_scheduling 0
		.amdhsa_exception_fp_ieee_invalid_op 0
		.amdhsa_exception_fp_denorm_src 0
		.amdhsa_exception_fp_ieee_div_zero 0
		.amdhsa_exception_fp_ieee_overflow 0
		.amdhsa_exception_fp_ieee_underflow 0
		.amdhsa_exception_fp_ieee_inexact 0
		.amdhsa_exception_int_div_zero 0
	.end_amdhsa_kernel
	.section	.text._ZN7rocprim17ROCPRIM_400000_NS6detail17trampoline_kernelINS0_14default_configENS1_25partition_config_selectorILNS1_17partition_subalgoE6EtNS0_10empty_typeEbEEZZNS1_14partition_implILS5_6ELb0ES3_mN6thrust23THRUST_200600_302600_NS6detail15normal_iteratorINSA_10device_ptrItEEEEPS6_SG_NS0_5tupleIJNSA_16discard_iteratorINSA_11use_defaultEEES6_EEENSH_IJSG_SG_EEES6_PlJNSB_9not_fun_tI7is_trueItEEEEEE10hipError_tPvRmT3_T4_T5_T6_T7_T9_mT8_P12ihipStream_tbDpT10_ENKUlT_T0_E_clISt17integral_constantIbLb1EES1A_IbLb0EEEEDaS16_S17_EUlS16_E_NS1_11comp_targetILNS1_3genE4ELNS1_11target_archE910ELNS1_3gpuE8ELNS1_3repE0EEENS1_30default_config_static_selectorELNS0_4arch9wavefront6targetE0EEEvT1_,"axG",@progbits,_ZN7rocprim17ROCPRIM_400000_NS6detail17trampoline_kernelINS0_14default_configENS1_25partition_config_selectorILNS1_17partition_subalgoE6EtNS0_10empty_typeEbEEZZNS1_14partition_implILS5_6ELb0ES3_mN6thrust23THRUST_200600_302600_NS6detail15normal_iteratorINSA_10device_ptrItEEEEPS6_SG_NS0_5tupleIJNSA_16discard_iteratorINSA_11use_defaultEEES6_EEENSH_IJSG_SG_EEES6_PlJNSB_9not_fun_tI7is_trueItEEEEEE10hipError_tPvRmT3_T4_T5_T6_T7_T9_mT8_P12ihipStream_tbDpT10_ENKUlT_T0_E_clISt17integral_constantIbLb1EES1A_IbLb0EEEEDaS16_S17_EUlS16_E_NS1_11comp_targetILNS1_3genE4ELNS1_11target_archE910ELNS1_3gpuE8ELNS1_3repE0EEENS1_30default_config_static_selectorELNS0_4arch9wavefront6targetE0EEEvT1_,comdat
.Lfunc_end2223:
	.size	_ZN7rocprim17ROCPRIM_400000_NS6detail17trampoline_kernelINS0_14default_configENS1_25partition_config_selectorILNS1_17partition_subalgoE6EtNS0_10empty_typeEbEEZZNS1_14partition_implILS5_6ELb0ES3_mN6thrust23THRUST_200600_302600_NS6detail15normal_iteratorINSA_10device_ptrItEEEEPS6_SG_NS0_5tupleIJNSA_16discard_iteratorINSA_11use_defaultEEES6_EEENSH_IJSG_SG_EEES6_PlJNSB_9not_fun_tI7is_trueItEEEEEE10hipError_tPvRmT3_T4_T5_T6_T7_T9_mT8_P12ihipStream_tbDpT10_ENKUlT_T0_E_clISt17integral_constantIbLb1EES1A_IbLb0EEEEDaS16_S17_EUlS16_E_NS1_11comp_targetILNS1_3genE4ELNS1_11target_archE910ELNS1_3gpuE8ELNS1_3repE0EEENS1_30default_config_static_selectorELNS0_4arch9wavefront6targetE0EEEvT1_, .Lfunc_end2223-_ZN7rocprim17ROCPRIM_400000_NS6detail17trampoline_kernelINS0_14default_configENS1_25partition_config_selectorILNS1_17partition_subalgoE6EtNS0_10empty_typeEbEEZZNS1_14partition_implILS5_6ELb0ES3_mN6thrust23THRUST_200600_302600_NS6detail15normal_iteratorINSA_10device_ptrItEEEEPS6_SG_NS0_5tupleIJNSA_16discard_iteratorINSA_11use_defaultEEES6_EEENSH_IJSG_SG_EEES6_PlJNSB_9not_fun_tI7is_trueItEEEEEE10hipError_tPvRmT3_T4_T5_T6_T7_T9_mT8_P12ihipStream_tbDpT10_ENKUlT_T0_E_clISt17integral_constantIbLb1EES1A_IbLb0EEEEDaS16_S17_EUlS16_E_NS1_11comp_targetILNS1_3genE4ELNS1_11target_archE910ELNS1_3gpuE8ELNS1_3repE0EEENS1_30default_config_static_selectorELNS0_4arch9wavefront6targetE0EEEvT1_
                                        ; -- End function
	.set _ZN7rocprim17ROCPRIM_400000_NS6detail17trampoline_kernelINS0_14default_configENS1_25partition_config_selectorILNS1_17partition_subalgoE6EtNS0_10empty_typeEbEEZZNS1_14partition_implILS5_6ELb0ES3_mN6thrust23THRUST_200600_302600_NS6detail15normal_iteratorINSA_10device_ptrItEEEEPS6_SG_NS0_5tupleIJNSA_16discard_iteratorINSA_11use_defaultEEES6_EEENSH_IJSG_SG_EEES6_PlJNSB_9not_fun_tI7is_trueItEEEEEE10hipError_tPvRmT3_T4_T5_T6_T7_T9_mT8_P12ihipStream_tbDpT10_ENKUlT_T0_E_clISt17integral_constantIbLb1EES1A_IbLb0EEEEDaS16_S17_EUlS16_E_NS1_11comp_targetILNS1_3genE4ELNS1_11target_archE910ELNS1_3gpuE8ELNS1_3repE0EEENS1_30default_config_static_selectorELNS0_4arch9wavefront6targetE0EEEvT1_.num_vgpr, 0
	.set _ZN7rocprim17ROCPRIM_400000_NS6detail17trampoline_kernelINS0_14default_configENS1_25partition_config_selectorILNS1_17partition_subalgoE6EtNS0_10empty_typeEbEEZZNS1_14partition_implILS5_6ELb0ES3_mN6thrust23THRUST_200600_302600_NS6detail15normal_iteratorINSA_10device_ptrItEEEEPS6_SG_NS0_5tupleIJNSA_16discard_iteratorINSA_11use_defaultEEES6_EEENSH_IJSG_SG_EEES6_PlJNSB_9not_fun_tI7is_trueItEEEEEE10hipError_tPvRmT3_T4_T5_T6_T7_T9_mT8_P12ihipStream_tbDpT10_ENKUlT_T0_E_clISt17integral_constantIbLb1EES1A_IbLb0EEEEDaS16_S17_EUlS16_E_NS1_11comp_targetILNS1_3genE4ELNS1_11target_archE910ELNS1_3gpuE8ELNS1_3repE0EEENS1_30default_config_static_selectorELNS0_4arch9wavefront6targetE0EEEvT1_.num_agpr, 0
	.set _ZN7rocprim17ROCPRIM_400000_NS6detail17trampoline_kernelINS0_14default_configENS1_25partition_config_selectorILNS1_17partition_subalgoE6EtNS0_10empty_typeEbEEZZNS1_14partition_implILS5_6ELb0ES3_mN6thrust23THRUST_200600_302600_NS6detail15normal_iteratorINSA_10device_ptrItEEEEPS6_SG_NS0_5tupleIJNSA_16discard_iteratorINSA_11use_defaultEEES6_EEENSH_IJSG_SG_EEES6_PlJNSB_9not_fun_tI7is_trueItEEEEEE10hipError_tPvRmT3_T4_T5_T6_T7_T9_mT8_P12ihipStream_tbDpT10_ENKUlT_T0_E_clISt17integral_constantIbLb1EES1A_IbLb0EEEEDaS16_S17_EUlS16_E_NS1_11comp_targetILNS1_3genE4ELNS1_11target_archE910ELNS1_3gpuE8ELNS1_3repE0EEENS1_30default_config_static_selectorELNS0_4arch9wavefront6targetE0EEEvT1_.numbered_sgpr, 0
	.set _ZN7rocprim17ROCPRIM_400000_NS6detail17trampoline_kernelINS0_14default_configENS1_25partition_config_selectorILNS1_17partition_subalgoE6EtNS0_10empty_typeEbEEZZNS1_14partition_implILS5_6ELb0ES3_mN6thrust23THRUST_200600_302600_NS6detail15normal_iteratorINSA_10device_ptrItEEEEPS6_SG_NS0_5tupleIJNSA_16discard_iteratorINSA_11use_defaultEEES6_EEENSH_IJSG_SG_EEES6_PlJNSB_9not_fun_tI7is_trueItEEEEEE10hipError_tPvRmT3_T4_T5_T6_T7_T9_mT8_P12ihipStream_tbDpT10_ENKUlT_T0_E_clISt17integral_constantIbLb1EES1A_IbLb0EEEEDaS16_S17_EUlS16_E_NS1_11comp_targetILNS1_3genE4ELNS1_11target_archE910ELNS1_3gpuE8ELNS1_3repE0EEENS1_30default_config_static_selectorELNS0_4arch9wavefront6targetE0EEEvT1_.num_named_barrier, 0
	.set _ZN7rocprim17ROCPRIM_400000_NS6detail17trampoline_kernelINS0_14default_configENS1_25partition_config_selectorILNS1_17partition_subalgoE6EtNS0_10empty_typeEbEEZZNS1_14partition_implILS5_6ELb0ES3_mN6thrust23THRUST_200600_302600_NS6detail15normal_iteratorINSA_10device_ptrItEEEEPS6_SG_NS0_5tupleIJNSA_16discard_iteratorINSA_11use_defaultEEES6_EEENSH_IJSG_SG_EEES6_PlJNSB_9not_fun_tI7is_trueItEEEEEE10hipError_tPvRmT3_T4_T5_T6_T7_T9_mT8_P12ihipStream_tbDpT10_ENKUlT_T0_E_clISt17integral_constantIbLb1EES1A_IbLb0EEEEDaS16_S17_EUlS16_E_NS1_11comp_targetILNS1_3genE4ELNS1_11target_archE910ELNS1_3gpuE8ELNS1_3repE0EEENS1_30default_config_static_selectorELNS0_4arch9wavefront6targetE0EEEvT1_.private_seg_size, 0
	.set _ZN7rocprim17ROCPRIM_400000_NS6detail17trampoline_kernelINS0_14default_configENS1_25partition_config_selectorILNS1_17partition_subalgoE6EtNS0_10empty_typeEbEEZZNS1_14partition_implILS5_6ELb0ES3_mN6thrust23THRUST_200600_302600_NS6detail15normal_iteratorINSA_10device_ptrItEEEEPS6_SG_NS0_5tupleIJNSA_16discard_iteratorINSA_11use_defaultEEES6_EEENSH_IJSG_SG_EEES6_PlJNSB_9not_fun_tI7is_trueItEEEEEE10hipError_tPvRmT3_T4_T5_T6_T7_T9_mT8_P12ihipStream_tbDpT10_ENKUlT_T0_E_clISt17integral_constantIbLb1EES1A_IbLb0EEEEDaS16_S17_EUlS16_E_NS1_11comp_targetILNS1_3genE4ELNS1_11target_archE910ELNS1_3gpuE8ELNS1_3repE0EEENS1_30default_config_static_selectorELNS0_4arch9wavefront6targetE0EEEvT1_.uses_vcc, 0
	.set _ZN7rocprim17ROCPRIM_400000_NS6detail17trampoline_kernelINS0_14default_configENS1_25partition_config_selectorILNS1_17partition_subalgoE6EtNS0_10empty_typeEbEEZZNS1_14partition_implILS5_6ELb0ES3_mN6thrust23THRUST_200600_302600_NS6detail15normal_iteratorINSA_10device_ptrItEEEEPS6_SG_NS0_5tupleIJNSA_16discard_iteratorINSA_11use_defaultEEES6_EEENSH_IJSG_SG_EEES6_PlJNSB_9not_fun_tI7is_trueItEEEEEE10hipError_tPvRmT3_T4_T5_T6_T7_T9_mT8_P12ihipStream_tbDpT10_ENKUlT_T0_E_clISt17integral_constantIbLb1EES1A_IbLb0EEEEDaS16_S17_EUlS16_E_NS1_11comp_targetILNS1_3genE4ELNS1_11target_archE910ELNS1_3gpuE8ELNS1_3repE0EEENS1_30default_config_static_selectorELNS0_4arch9wavefront6targetE0EEEvT1_.uses_flat_scratch, 0
	.set _ZN7rocprim17ROCPRIM_400000_NS6detail17trampoline_kernelINS0_14default_configENS1_25partition_config_selectorILNS1_17partition_subalgoE6EtNS0_10empty_typeEbEEZZNS1_14partition_implILS5_6ELb0ES3_mN6thrust23THRUST_200600_302600_NS6detail15normal_iteratorINSA_10device_ptrItEEEEPS6_SG_NS0_5tupleIJNSA_16discard_iteratorINSA_11use_defaultEEES6_EEENSH_IJSG_SG_EEES6_PlJNSB_9not_fun_tI7is_trueItEEEEEE10hipError_tPvRmT3_T4_T5_T6_T7_T9_mT8_P12ihipStream_tbDpT10_ENKUlT_T0_E_clISt17integral_constantIbLb1EES1A_IbLb0EEEEDaS16_S17_EUlS16_E_NS1_11comp_targetILNS1_3genE4ELNS1_11target_archE910ELNS1_3gpuE8ELNS1_3repE0EEENS1_30default_config_static_selectorELNS0_4arch9wavefront6targetE0EEEvT1_.has_dyn_sized_stack, 0
	.set _ZN7rocprim17ROCPRIM_400000_NS6detail17trampoline_kernelINS0_14default_configENS1_25partition_config_selectorILNS1_17partition_subalgoE6EtNS0_10empty_typeEbEEZZNS1_14partition_implILS5_6ELb0ES3_mN6thrust23THRUST_200600_302600_NS6detail15normal_iteratorINSA_10device_ptrItEEEEPS6_SG_NS0_5tupleIJNSA_16discard_iteratorINSA_11use_defaultEEES6_EEENSH_IJSG_SG_EEES6_PlJNSB_9not_fun_tI7is_trueItEEEEEE10hipError_tPvRmT3_T4_T5_T6_T7_T9_mT8_P12ihipStream_tbDpT10_ENKUlT_T0_E_clISt17integral_constantIbLb1EES1A_IbLb0EEEEDaS16_S17_EUlS16_E_NS1_11comp_targetILNS1_3genE4ELNS1_11target_archE910ELNS1_3gpuE8ELNS1_3repE0EEENS1_30default_config_static_selectorELNS0_4arch9wavefront6targetE0EEEvT1_.has_recursion, 0
	.set _ZN7rocprim17ROCPRIM_400000_NS6detail17trampoline_kernelINS0_14default_configENS1_25partition_config_selectorILNS1_17partition_subalgoE6EtNS0_10empty_typeEbEEZZNS1_14partition_implILS5_6ELb0ES3_mN6thrust23THRUST_200600_302600_NS6detail15normal_iteratorINSA_10device_ptrItEEEEPS6_SG_NS0_5tupleIJNSA_16discard_iteratorINSA_11use_defaultEEES6_EEENSH_IJSG_SG_EEES6_PlJNSB_9not_fun_tI7is_trueItEEEEEE10hipError_tPvRmT3_T4_T5_T6_T7_T9_mT8_P12ihipStream_tbDpT10_ENKUlT_T0_E_clISt17integral_constantIbLb1EES1A_IbLb0EEEEDaS16_S17_EUlS16_E_NS1_11comp_targetILNS1_3genE4ELNS1_11target_archE910ELNS1_3gpuE8ELNS1_3repE0EEENS1_30default_config_static_selectorELNS0_4arch9wavefront6targetE0EEEvT1_.has_indirect_call, 0
	.section	.AMDGPU.csdata,"",@progbits
; Kernel info:
; codeLenInByte = 0
; TotalNumSgprs: 0
; NumVgprs: 0
; ScratchSize: 0
; MemoryBound: 0
; FloatMode: 240
; IeeeMode: 1
; LDSByteSize: 0 bytes/workgroup (compile time only)
; SGPRBlocks: 0
; VGPRBlocks: 0
; NumSGPRsForWavesPerEU: 1
; NumVGPRsForWavesPerEU: 1
; Occupancy: 16
; WaveLimiterHint : 0
; COMPUTE_PGM_RSRC2:SCRATCH_EN: 0
; COMPUTE_PGM_RSRC2:USER_SGPR: 2
; COMPUTE_PGM_RSRC2:TRAP_HANDLER: 0
; COMPUTE_PGM_RSRC2:TGID_X_EN: 1
; COMPUTE_PGM_RSRC2:TGID_Y_EN: 0
; COMPUTE_PGM_RSRC2:TGID_Z_EN: 0
; COMPUTE_PGM_RSRC2:TIDIG_COMP_CNT: 0
	.section	.text._ZN7rocprim17ROCPRIM_400000_NS6detail17trampoline_kernelINS0_14default_configENS1_25partition_config_selectorILNS1_17partition_subalgoE6EtNS0_10empty_typeEbEEZZNS1_14partition_implILS5_6ELb0ES3_mN6thrust23THRUST_200600_302600_NS6detail15normal_iteratorINSA_10device_ptrItEEEEPS6_SG_NS0_5tupleIJNSA_16discard_iteratorINSA_11use_defaultEEES6_EEENSH_IJSG_SG_EEES6_PlJNSB_9not_fun_tI7is_trueItEEEEEE10hipError_tPvRmT3_T4_T5_T6_T7_T9_mT8_P12ihipStream_tbDpT10_ENKUlT_T0_E_clISt17integral_constantIbLb1EES1A_IbLb0EEEEDaS16_S17_EUlS16_E_NS1_11comp_targetILNS1_3genE3ELNS1_11target_archE908ELNS1_3gpuE7ELNS1_3repE0EEENS1_30default_config_static_selectorELNS0_4arch9wavefront6targetE0EEEvT1_,"axG",@progbits,_ZN7rocprim17ROCPRIM_400000_NS6detail17trampoline_kernelINS0_14default_configENS1_25partition_config_selectorILNS1_17partition_subalgoE6EtNS0_10empty_typeEbEEZZNS1_14partition_implILS5_6ELb0ES3_mN6thrust23THRUST_200600_302600_NS6detail15normal_iteratorINSA_10device_ptrItEEEEPS6_SG_NS0_5tupleIJNSA_16discard_iteratorINSA_11use_defaultEEES6_EEENSH_IJSG_SG_EEES6_PlJNSB_9not_fun_tI7is_trueItEEEEEE10hipError_tPvRmT3_T4_T5_T6_T7_T9_mT8_P12ihipStream_tbDpT10_ENKUlT_T0_E_clISt17integral_constantIbLb1EES1A_IbLb0EEEEDaS16_S17_EUlS16_E_NS1_11comp_targetILNS1_3genE3ELNS1_11target_archE908ELNS1_3gpuE7ELNS1_3repE0EEENS1_30default_config_static_selectorELNS0_4arch9wavefront6targetE0EEEvT1_,comdat
	.protected	_ZN7rocprim17ROCPRIM_400000_NS6detail17trampoline_kernelINS0_14default_configENS1_25partition_config_selectorILNS1_17partition_subalgoE6EtNS0_10empty_typeEbEEZZNS1_14partition_implILS5_6ELb0ES3_mN6thrust23THRUST_200600_302600_NS6detail15normal_iteratorINSA_10device_ptrItEEEEPS6_SG_NS0_5tupleIJNSA_16discard_iteratorINSA_11use_defaultEEES6_EEENSH_IJSG_SG_EEES6_PlJNSB_9not_fun_tI7is_trueItEEEEEE10hipError_tPvRmT3_T4_T5_T6_T7_T9_mT8_P12ihipStream_tbDpT10_ENKUlT_T0_E_clISt17integral_constantIbLb1EES1A_IbLb0EEEEDaS16_S17_EUlS16_E_NS1_11comp_targetILNS1_3genE3ELNS1_11target_archE908ELNS1_3gpuE7ELNS1_3repE0EEENS1_30default_config_static_selectorELNS0_4arch9wavefront6targetE0EEEvT1_ ; -- Begin function _ZN7rocprim17ROCPRIM_400000_NS6detail17trampoline_kernelINS0_14default_configENS1_25partition_config_selectorILNS1_17partition_subalgoE6EtNS0_10empty_typeEbEEZZNS1_14partition_implILS5_6ELb0ES3_mN6thrust23THRUST_200600_302600_NS6detail15normal_iteratorINSA_10device_ptrItEEEEPS6_SG_NS0_5tupleIJNSA_16discard_iteratorINSA_11use_defaultEEES6_EEENSH_IJSG_SG_EEES6_PlJNSB_9not_fun_tI7is_trueItEEEEEE10hipError_tPvRmT3_T4_T5_T6_T7_T9_mT8_P12ihipStream_tbDpT10_ENKUlT_T0_E_clISt17integral_constantIbLb1EES1A_IbLb0EEEEDaS16_S17_EUlS16_E_NS1_11comp_targetILNS1_3genE3ELNS1_11target_archE908ELNS1_3gpuE7ELNS1_3repE0EEENS1_30default_config_static_selectorELNS0_4arch9wavefront6targetE0EEEvT1_
	.globl	_ZN7rocprim17ROCPRIM_400000_NS6detail17trampoline_kernelINS0_14default_configENS1_25partition_config_selectorILNS1_17partition_subalgoE6EtNS0_10empty_typeEbEEZZNS1_14partition_implILS5_6ELb0ES3_mN6thrust23THRUST_200600_302600_NS6detail15normal_iteratorINSA_10device_ptrItEEEEPS6_SG_NS0_5tupleIJNSA_16discard_iteratorINSA_11use_defaultEEES6_EEENSH_IJSG_SG_EEES6_PlJNSB_9not_fun_tI7is_trueItEEEEEE10hipError_tPvRmT3_T4_T5_T6_T7_T9_mT8_P12ihipStream_tbDpT10_ENKUlT_T0_E_clISt17integral_constantIbLb1EES1A_IbLb0EEEEDaS16_S17_EUlS16_E_NS1_11comp_targetILNS1_3genE3ELNS1_11target_archE908ELNS1_3gpuE7ELNS1_3repE0EEENS1_30default_config_static_selectorELNS0_4arch9wavefront6targetE0EEEvT1_
	.p2align	8
	.type	_ZN7rocprim17ROCPRIM_400000_NS6detail17trampoline_kernelINS0_14default_configENS1_25partition_config_selectorILNS1_17partition_subalgoE6EtNS0_10empty_typeEbEEZZNS1_14partition_implILS5_6ELb0ES3_mN6thrust23THRUST_200600_302600_NS6detail15normal_iteratorINSA_10device_ptrItEEEEPS6_SG_NS0_5tupleIJNSA_16discard_iteratorINSA_11use_defaultEEES6_EEENSH_IJSG_SG_EEES6_PlJNSB_9not_fun_tI7is_trueItEEEEEE10hipError_tPvRmT3_T4_T5_T6_T7_T9_mT8_P12ihipStream_tbDpT10_ENKUlT_T0_E_clISt17integral_constantIbLb1EES1A_IbLb0EEEEDaS16_S17_EUlS16_E_NS1_11comp_targetILNS1_3genE3ELNS1_11target_archE908ELNS1_3gpuE7ELNS1_3repE0EEENS1_30default_config_static_selectorELNS0_4arch9wavefront6targetE0EEEvT1_,@function
_ZN7rocprim17ROCPRIM_400000_NS6detail17trampoline_kernelINS0_14default_configENS1_25partition_config_selectorILNS1_17partition_subalgoE6EtNS0_10empty_typeEbEEZZNS1_14partition_implILS5_6ELb0ES3_mN6thrust23THRUST_200600_302600_NS6detail15normal_iteratorINSA_10device_ptrItEEEEPS6_SG_NS0_5tupleIJNSA_16discard_iteratorINSA_11use_defaultEEES6_EEENSH_IJSG_SG_EEES6_PlJNSB_9not_fun_tI7is_trueItEEEEEE10hipError_tPvRmT3_T4_T5_T6_T7_T9_mT8_P12ihipStream_tbDpT10_ENKUlT_T0_E_clISt17integral_constantIbLb1EES1A_IbLb0EEEEDaS16_S17_EUlS16_E_NS1_11comp_targetILNS1_3genE3ELNS1_11target_archE908ELNS1_3gpuE7ELNS1_3repE0EEENS1_30default_config_static_selectorELNS0_4arch9wavefront6targetE0EEEvT1_: ; @_ZN7rocprim17ROCPRIM_400000_NS6detail17trampoline_kernelINS0_14default_configENS1_25partition_config_selectorILNS1_17partition_subalgoE6EtNS0_10empty_typeEbEEZZNS1_14partition_implILS5_6ELb0ES3_mN6thrust23THRUST_200600_302600_NS6detail15normal_iteratorINSA_10device_ptrItEEEEPS6_SG_NS0_5tupleIJNSA_16discard_iteratorINSA_11use_defaultEEES6_EEENSH_IJSG_SG_EEES6_PlJNSB_9not_fun_tI7is_trueItEEEEEE10hipError_tPvRmT3_T4_T5_T6_T7_T9_mT8_P12ihipStream_tbDpT10_ENKUlT_T0_E_clISt17integral_constantIbLb1EES1A_IbLb0EEEEDaS16_S17_EUlS16_E_NS1_11comp_targetILNS1_3genE3ELNS1_11target_archE908ELNS1_3gpuE7ELNS1_3repE0EEENS1_30default_config_static_selectorELNS0_4arch9wavefront6targetE0EEEvT1_
; %bb.0:
	.section	.rodata,"a",@progbits
	.p2align	6, 0x0
	.amdhsa_kernel _ZN7rocprim17ROCPRIM_400000_NS6detail17trampoline_kernelINS0_14default_configENS1_25partition_config_selectorILNS1_17partition_subalgoE6EtNS0_10empty_typeEbEEZZNS1_14partition_implILS5_6ELb0ES3_mN6thrust23THRUST_200600_302600_NS6detail15normal_iteratorINSA_10device_ptrItEEEEPS6_SG_NS0_5tupleIJNSA_16discard_iteratorINSA_11use_defaultEEES6_EEENSH_IJSG_SG_EEES6_PlJNSB_9not_fun_tI7is_trueItEEEEEE10hipError_tPvRmT3_T4_T5_T6_T7_T9_mT8_P12ihipStream_tbDpT10_ENKUlT_T0_E_clISt17integral_constantIbLb1EES1A_IbLb0EEEEDaS16_S17_EUlS16_E_NS1_11comp_targetILNS1_3genE3ELNS1_11target_archE908ELNS1_3gpuE7ELNS1_3repE0EEENS1_30default_config_static_selectorELNS0_4arch9wavefront6targetE0EEEvT1_
		.amdhsa_group_segment_fixed_size 0
		.amdhsa_private_segment_fixed_size 0
		.amdhsa_kernarg_size 120
		.amdhsa_user_sgpr_count 2
		.amdhsa_user_sgpr_dispatch_ptr 0
		.amdhsa_user_sgpr_queue_ptr 0
		.amdhsa_user_sgpr_kernarg_segment_ptr 1
		.amdhsa_user_sgpr_dispatch_id 0
		.amdhsa_user_sgpr_private_segment_size 0
		.amdhsa_wavefront_size32 1
		.amdhsa_uses_dynamic_stack 0
		.amdhsa_enable_private_segment 0
		.amdhsa_system_sgpr_workgroup_id_x 1
		.amdhsa_system_sgpr_workgroup_id_y 0
		.amdhsa_system_sgpr_workgroup_id_z 0
		.amdhsa_system_sgpr_workgroup_info 0
		.amdhsa_system_vgpr_workitem_id 0
		.amdhsa_next_free_vgpr 1
		.amdhsa_next_free_sgpr 1
		.amdhsa_reserve_vcc 0
		.amdhsa_float_round_mode_32 0
		.amdhsa_float_round_mode_16_64 0
		.amdhsa_float_denorm_mode_32 3
		.amdhsa_float_denorm_mode_16_64 3
		.amdhsa_fp16_overflow 0
		.amdhsa_workgroup_processor_mode 1
		.amdhsa_memory_ordered 1
		.amdhsa_forward_progress 1
		.amdhsa_inst_pref_size 0
		.amdhsa_round_robin_scheduling 0
		.amdhsa_exception_fp_ieee_invalid_op 0
		.amdhsa_exception_fp_denorm_src 0
		.amdhsa_exception_fp_ieee_div_zero 0
		.amdhsa_exception_fp_ieee_overflow 0
		.amdhsa_exception_fp_ieee_underflow 0
		.amdhsa_exception_fp_ieee_inexact 0
		.amdhsa_exception_int_div_zero 0
	.end_amdhsa_kernel
	.section	.text._ZN7rocprim17ROCPRIM_400000_NS6detail17trampoline_kernelINS0_14default_configENS1_25partition_config_selectorILNS1_17partition_subalgoE6EtNS0_10empty_typeEbEEZZNS1_14partition_implILS5_6ELb0ES3_mN6thrust23THRUST_200600_302600_NS6detail15normal_iteratorINSA_10device_ptrItEEEEPS6_SG_NS0_5tupleIJNSA_16discard_iteratorINSA_11use_defaultEEES6_EEENSH_IJSG_SG_EEES6_PlJNSB_9not_fun_tI7is_trueItEEEEEE10hipError_tPvRmT3_T4_T5_T6_T7_T9_mT8_P12ihipStream_tbDpT10_ENKUlT_T0_E_clISt17integral_constantIbLb1EES1A_IbLb0EEEEDaS16_S17_EUlS16_E_NS1_11comp_targetILNS1_3genE3ELNS1_11target_archE908ELNS1_3gpuE7ELNS1_3repE0EEENS1_30default_config_static_selectorELNS0_4arch9wavefront6targetE0EEEvT1_,"axG",@progbits,_ZN7rocprim17ROCPRIM_400000_NS6detail17trampoline_kernelINS0_14default_configENS1_25partition_config_selectorILNS1_17partition_subalgoE6EtNS0_10empty_typeEbEEZZNS1_14partition_implILS5_6ELb0ES3_mN6thrust23THRUST_200600_302600_NS6detail15normal_iteratorINSA_10device_ptrItEEEEPS6_SG_NS0_5tupleIJNSA_16discard_iteratorINSA_11use_defaultEEES6_EEENSH_IJSG_SG_EEES6_PlJNSB_9not_fun_tI7is_trueItEEEEEE10hipError_tPvRmT3_T4_T5_T6_T7_T9_mT8_P12ihipStream_tbDpT10_ENKUlT_T0_E_clISt17integral_constantIbLb1EES1A_IbLb0EEEEDaS16_S17_EUlS16_E_NS1_11comp_targetILNS1_3genE3ELNS1_11target_archE908ELNS1_3gpuE7ELNS1_3repE0EEENS1_30default_config_static_selectorELNS0_4arch9wavefront6targetE0EEEvT1_,comdat
.Lfunc_end2224:
	.size	_ZN7rocprim17ROCPRIM_400000_NS6detail17trampoline_kernelINS0_14default_configENS1_25partition_config_selectorILNS1_17partition_subalgoE6EtNS0_10empty_typeEbEEZZNS1_14partition_implILS5_6ELb0ES3_mN6thrust23THRUST_200600_302600_NS6detail15normal_iteratorINSA_10device_ptrItEEEEPS6_SG_NS0_5tupleIJNSA_16discard_iteratorINSA_11use_defaultEEES6_EEENSH_IJSG_SG_EEES6_PlJNSB_9not_fun_tI7is_trueItEEEEEE10hipError_tPvRmT3_T4_T5_T6_T7_T9_mT8_P12ihipStream_tbDpT10_ENKUlT_T0_E_clISt17integral_constantIbLb1EES1A_IbLb0EEEEDaS16_S17_EUlS16_E_NS1_11comp_targetILNS1_3genE3ELNS1_11target_archE908ELNS1_3gpuE7ELNS1_3repE0EEENS1_30default_config_static_selectorELNS0_4arch9wavefront6targetE0EEEvT1_, .Lfunc_end2224-_ZN7rocprim17ROCPRIM_400000_NS6detail17trampoline_kernelINS0_14default_configENS1_25partition_config_selectorILNS1_17partition_subalgoE6EtNS0_10empty_typeEbEEZZNS1_14partition_implILS5_6ELb0ES3_mN6thrust23THRUST_200600_302600_NS6detail15normal_iteratorINSA_10device_ptrItEEEEPS6_SG_NS0_5tupleIJNSA_16discard_iteratorINSA_11use_defaultEEES6_EEENSH_IJSG_SG_EEES6_PlJNSB_9not_fun_tI7is_trueItEEEEEE10hipError_tPvRmT3_T4_T5_T6_T7_T9_mT8_P12ihipStream_tbDpT10_ENKUlT_T0_E_clISt17integral_constantIbLb1EES1A_IbLb0EEEEDaS16_S17_EUlS16_E_NS1_11comp_targetILNS1_3genE3ELNS1_11target_archE908ELNS1_3gpuE7ELNS1_3repE0EEENS1_30default_config_static_selectorELNS0_4arch9wavefront6targetE0EEEvT1_
                                        ; -- End function
	.set _ZN7rocprim17ROCPRIM_400000_NS6detail17trampoline_kernelINS0_14default_configENS1_25partition_config_selectorILNS1_17partition_subalgoE6EtNS0_10empty_typeEbEEZZNS1_14partition_implILS5_6ELb0ES3_mN6thrust23THRUST_200600_302600_NS6detail15normal_iteratorINSA_10device_ptrItEEEEPS6_SG_NS0_5tupleIJNSA_16discard_iteratorINSA_11use_defaultEEES6_EEENSH_IJSG_SG_EEES6_PlJNSB_9not_fun_tI7is_trueItEEEEEE10hipError_tPvRmT3_T4_T5_T6_T7_T9_mT8_P12ihipStream_tbDpT10_ENKUlT_T0_E_clISt17integral_constantIbLb1EES1A_IbLb0EEEEDaS16_S17_EUlS16_E_NS1_11comp_targetILNS1_3genE3ELNS1_11target_archE908ELNS1_3gpuE7ELNS1_3repE0EEENS1_30default_config_static_selectorELNS0_4arch9wavefront6targetE0EEEvT1_.num_vgpr, 0
	.set _ZN7rocprim17ROCPRIM_400000_NS6detail17trampoline_kernelINS0_14default_configENS1_25partition_config_selectorILNS1_17partition_subalgoE6EtNS0_10empty_typeEbEEZZNS1_14partition_implILS5_6ELb0ES3_mN6thrust23THRUST_200600_302600_NS6detail15normal_iteratorINSA_10device_ptrItEEEEPS6_SG_NS0_5tupleIJNSA_16discard_iteratorINSA_11use_defaultEEES6_EEENSH_IJSG_SG_EEES6_PlJNSB_9not_fun_tI7is_trueItEEEEEE10hipError_tPvRmT3_T4_T5_T6_T7_T9_mT8_P12ihipStream_tbDpT10_ENKUlT_T0_E_clISt17integral_constantIbLb1EES1A_IbLb0EEEEDaS16_S17_EUlS16_E_NS1_11comp_targetILNS1_3genE3ELNS1_11target_archE908ELNS1_3gpuE7ELNS1_3repE0EEENS1_30default_config_static_selectorELNS0_4arch9wavefront6targetE0EEEvT1_.num_agpr, 0
	.set _ZN7rocprim17ROCPRIM_400000_NS6detail17trampoline_kernelINS0_14default_configENS1_25partition_config_selectorILNS1_17partition_subalgoE6EtNS0_10empty_typeEbEEZZNS1_14partition_implILS5_6ELb0ES3_mN6thrust23THRUST_200600_302600_NS6detail15normal_iteratorINSA_10device_ptrItEEEEPS6_SG_NS0_5tupleIJNSA_16discard_iteratorINSA_11use_defaultEEES6_EEENSH_IJSG_SG_EEES6_PlJNSB_9not_fun_tI7is_trueItEEEEEE10hipError_tPvRmT3_T4_T5_T6_T7_T9_mT8_P12ihipStream_tbDpT10_ENKUlT_T0_E_clISt17integral_constantIbLb1EES1A_IbLb0EEEEDaS16_S17_EUlS16_E_NS1_11comp_targetILNS1_3genE3ELNS1_11target_archE908ELNS1_3gpuE7ELNS1_3repE0EEENS1_30default_config_static_selectorELNS0_4arch9wavefront6targetE0EEEvT1_.numbered_sgpr, 0
	.set _ZN7rocprim17ROCPRIM_400000_NS6detail17trampoline_kernelINS0_14default_configENS1_25partition_config_selectorILNS1_17partition_subalgoE6EtNS0_10empty_typeEbEEZZNS1_14partition_implILS5_6ELb0ES3_mN6thrust23THRUST_200600_302600_NS6detail15normal_iteratorINSA_10device_ptrItEEEEPS6_SG_NS0_5tupleIJNSA_16discard_iteratorINSA_11use_defaultEEES6_EEENSH_IJSG_SG_EEES6_PlJNSB_9not_fun_tI7is_trueItEEEEEE10hipError_tPvRmT3_T4_T5_T6_T7_T9_mT8_P12ihipStream_tbDpT10_ENKUlT_T0_E_clISt17integral_constantIbLb1EES1A_IbLb0EEEEDaS16_S17_EUlS16_E_NS1_11comp_targetILNS1_3genE3ELNS1_11target_archE908ELNS1_3gpuE7ELNS1_3repE0EEENS1_30default_config_static_selectorELNS0_4arch9wavefront6targetE0EEEvT1_.num_named_barrier, 0
	.set _ZN7rocprim17ROCPRIM_400000_NS6detail17trampoline_kernelINS0_14default_configENS1_25partition_config_selectorILNS1_17partition_subalgoE6EtNS0_10empty_typeEbEEZZNS1_14partition_implILS5_6ELb0ES3_mN6thrust23THRUST_200600_302600_NS6detail15normal_iteratorINSA_10device_ptrItEEEEPS6_SG_NS0_5tupleIJNSA_16discard_iteratorINSA_11use_defaultEEES6_EEENSH_IJSG_SG_EEES6_PlJNSB_9not_fun_tI7is_trueItEEEEEE10hipError_tPvRmT3_T4_T5_T6_T7_T9_mT8_P12ihipStream_tbDpT10_ENKUlT_T0_E_clISt17integral_constantIbLb1EES1A_IbLb0EEEEDaS16_S17_EUlS16_E_NS1_11comp_targetILNS1_3genE3ELNS1_11target_archE908ELNS1_3gpuE7ELNS1_3repE0EEENS1_30default_config_static_selectorELNS0_4arch9wavefront6targetE0EEEvT1_.private_seg_size, 0
	.set _ZN7rocprim17ROCPRIM_400000_NS6detail17trampoline_kernelINS0_14default_configENS1_25partition_config_selectorILNS1_17partition_subalgoE6EtNS0_10empty_typeEbEEZZNS1_14partition_implILS5_6ELb0ES3_mN6thrust23THRUST_200600_302600_NS6detail15normal_iteratorINSA_10device_ptrItEEEEPS6_SG_NS0_5tupleIJNSA_16discard_iteratorINSA_11use_defaultEEES6_EEENSH_IJSG_SG_EEES6_PlJNSB_9not_fun_tI7is_trueItEEEEEE10hipError_tPvRmT3_T4_T5_T6_T7_T9_mT8_P12ihipStream_tbDpT10_ENKUlT_T0_E_clISt17integral_constantIbLb1EES1A_IbLb0EEEEDaS16_S17_EUlS16_E_NS1_11comp_targetILNS1_3genE3ELNS1_11target_archE908ELNS1_3gpuE7ELNS1_3repE0EEENS1_30default_config_static_selectorELNS0_4arch9wavefront6targetE0EEEvT1_.uses_vcc, 0
	.set _ZN7rocprim17ROCPRIM_400000_NS6detail17trampoline_kernelINS0_14default_configENS1_25partition_config_selectorILNS1_17partition_subalgoE6EtNS0_10empty_typeEbEEZZNS1_14partition_implILS5_6ELb0ES3_mN6thrust23THRUST_200600_302600_NS6detail15normal_iteratorINSA_10device_ptrItEEEEPS6_SG_NS0_5tupleIJNSA_16discard_iteratorINSA_11use_defaultEEES6_EEENSH_IJSG_SG_EEES6_PlJNSB_9not_fun_tI7is_trueItEEEEEE10hipError_tPvRmT3_T4_T5_T6_T7_T9_mT8_P12ihipStream_tbDpT10_ENKUlT_T0_E_clISt17integral_constantIbLb1EES1A_IbLb0EEEEDaS16_S17_EUlS16_E_NS1_11comp_targetILNS1_3genE3ELNS1_11target_archE908ELNS1_3gpuE7ELNS1_3repE0EEENS1_30default_config_static_selectorELNS0_4arch9wavefront6targetE0EEEvT1_.uses_flat_scratch, 0
	.set _ZN7rocprim17ROCPRIM_400000_NS6detail17trampoline_kernelINS0_14default_configENS1_25partition_config_selectorILNS1_17partition_subalgoE6EtNS0_10empty_typeEbEEZZNS1_14partition_implILS5_6ELb0ES3_mN6thrust23THRUST_200600_302600_NS6detail15normal_iteratorINSA_10device_ptrItEEEEPS6_SG_NS0_5tupleIJNSA_16discard_iteratorINSA_11use_defaultEEES6_EEENSH_IJSG_SG_EEES6_PlJNSB_9not_fun_tI7is_trueItEEEEEE10hipError_tPvRmT3_T4_T5_T6_T7_T9_mT8_P12ihipStream_tbDpT10_ENKUlT_T0_E_clISt17integral_constantIbLb1EES1A_IbLb0EEEEDaS16_S17_EUlS16_E_NS1_11comp_targetILNS1_3genE3ELNS1_11target_archE908ELNS1_3gpuE7ELNS1_3repE0EEENS1_30default_config_static_selectorELNS0_4arch9wavefront6targetE0EEEvT1_.has_dyn_sized_stack, 0
	.set _ZN7rocprim17ROCPRIM_400000_NS6detail17trampoline_kernelINS0_14default_configENS1_25partition_config_selectorILNS1_17partition_subalgoE6EtNS0_10empty_typeEbEEZZNS1_14partition_implILS5_6ELb0ES3_mN6thrust23THRUST_200600_302600_NS6detail15normal_iteratorINSA_10device_ptrItEEEEPS6_SG_NS0_5tupleIJNSA_16discard_iteratorINSA_11use_defaultEEES6_EEENSH_IJSG_SG_EEES6_PlJNSB_9not_fun_tI7is_trueItEEEEEE10hipError_tPvRmT3_T4_T5_T6_T7_T9_mT8_P12ihipStream_tbDpT10_ENKUlT_T0_E_clISt17integral_constantIbLb1EES1A_IbLb0EEEEDaS16_S17_EUlS16_E_NS1_11comp_targetILNS1_3genE3ELNS1_11target_archE908ELNS1_3gpuE7ELNS1_3repE0EEENS1_30default_config_static_selectorELNS0_4arch9wavefront6targetE0EEEvT1_.has_recursion, 0
	.set _ZN7rocprim17ROCPRIM_400000_NS6detail17trampoline_kernelINS0_14default_configENS1_25partition_config_selectorILNS1_17partition_subalgoE6EtNS0_10empty_typeEbEEZZNS1_14partition_implILS5_6ELb0ES3_mN6thrust23THRUST_200600_302600_NS6detail15normal_iteratorINSA_10device_ptrItEEEEPS6_SG_NS0_5tupleIJNSA_16discard_iteratorINSA_11use_defaultEEES6_EEENSH_IJSG_SG_EEES6_PlJNSB_9not_fun_tI7is_trueItEEEEEE10hipError_tPvRmT3_T4_T5_T6_T7_T9_mT8_P12ihipStream_tbDpT10_ENKUlT_T0_E_clISt17integral_constantIbLb1EES1A_IbLb0EEEEDaS16_S17_EUlS16_E_NS1_11comp_targetILNS1_3genE3ELNS1_11target_archE908ELNS1_3gpuE7ELNS1_3repE0EEENS1_30default_config_static_selectorELNS0_4arch9wavefront6targetE0EEEvT1_.has_indirect_call, 0
	.section	.AMDGPU.csdata,"",@progbits
; Kernel info:
; codeLenInByte = 0
; TotalNumSgprs: 0
; NumVgprs: 0
; ScratchSize: 0
; MemoryBound: 0
; FloatMode: 240
; IeeeMode: 1
; LDSByteSize: 0 bytes/workgroup (compile time only)
; SGPRBlocks: 0
; VGPRBlocks: 0
; NumSGPRsForWavesPerEU: 1
; NumVGPRsForWavesPerEU: 1
; Occupancy: 16
; WaveLimiterHint : 0
; COMPUTE_PGM_RSRC2:SCRATCH_EN: 0
; COMPUTE_PGM_RSRC2:USER_SGPR: 2
; COMPUTE_PGM_RSRC2:TRAP_HANDLER: 0
; COMPUTE_PGM_RSRC2:TGID_X_EN: 1
; COMPUTE_PGM_RSRC2:TGID_Y_EN: 0
; COMPUTE_PGM_RSRC2:TGID_Z_EN: 0
; COMPUTE_PGM_RSRC2:TIDIG_COMP_CNT: 0
	.section	.text._ZN7rocprim17ROCPRIM_400000_NS6detail17trampoline_kernelINS0_14default_configENS1_25partition_config_selectorILNS1_17partition_subalgoE6EtNS0_10empty_typeEbEEZZNS1_14partition_implILS5_6ELb0ES3_mN6thrust23THRUST_200600_302600_NS6detail15normal_iteratorINSA_10device_ptrItEEEEPS6_SG_NS0_5tupleIJNSA_16discard_iteratorINSA_11use_defaultEEES6_EEENSH_IJSG_SG_EEES6_PlJNSB_9not_fun_tI7is_trueItEEEEEE10hipError_tPvRmT3_T4_T5_T6_T7_T9_mT8_P12ihipStream_tbDpT10_ENKUlT_T0_E_clISt17integral_constantIbLb1EES1A_IbLb0EEEEDaS16_S17_EUlS16_E_NS1_11comp_targetILNS1_3genE2ELNS1_11target_archE906ELNS1_3gpuE6ELNS1_3repE0EEENS1_30default_config_static_selectorELNS0_4arch9wavefront6targetE0EEEvT1_,"axG",@progbits,_ZN7rocprim17ROCPRIM_400000_NS6detail17trampoline_kernelINS0_14default_configENS1_25partition_config_selectorILNS1_17partition_subalgoE6EtNS0_10empty_typeEbEEZZNS1_14partition_implILS5_6ELb0ES3_mN6thrust23THRUST_200600_302600_NS6detail15normal_iteratorINSA_10device_ptrItEEEEPS6_SG_NS0_5tupleIJNSA_16discard_iteratorINSA_11use_defaultEEES6_EEENSH_IJSG_SG_EEES6_PlJNSB_9not_fun_tI7is_trueItEEEEEE10hipError_tPvRmT3_T4_T5_T6_T7_T9_mT8_P12ihipStream_tbDpT10_ENKUlT_T0_E_clISt17integral_constantIbLb1EES1A_IbLb0EEEEDaS16_S17_EUlS16_E_NS1_11comp_targetILNS1_3genE2ELNS1_11target_archE906ELNS1_3gpuE6ELNS1_3repE0EEENS1_30default_config_static_selectorELNS0_4arch9wavefront6targetE0EEEvT1_,comdat
	.protected	_ZN7rocprim17ROCPRIM_400000_NS6detail17trampoline_kernelINS0_14default_configENS1_25partition_config_selectorILNS1_17partition_subalgoE6EtNS0_10empty_typeEbEEZZNS1_14partition_implILS5_6ELb0ES3_mN6thrust23THRUST_200600_302600_NS6detail15normal_iteratorINSA_10device_ptrItEEEEPS6_SG_NS0_5tupleIJNSA_16discard_iteratorINSA_11use_defaultEEES6_EEENSH_IJSG_SG_EEES6_PlJNSB_9not_fun_tI7is_trueItEEEEEE10hipError_tPvRmT3_T4_T5_T6_T7_T9_mT8_P12ihipStream_tbDpT10_ENKUlT_T0_E_clISt17integral_constantIbLb1EES1A_IbLb0EEEEDaS16_S17_EUlS16_E_NS1_11comp_targetILNS1_3genE2ELNS1_11target_archE906ELNS1_3gpuE6ELNS1_3repE0EEENS1_30default_config_static_selectorELNS0_4arch9wavefront6targetE0EEEvT1_ ; -- Begin function _ZN7rocprim17ROCPRIM_400000_NS6detail17trampoline_kernelINS0_14default_configENS1_25partition_config_selectorILNS1_17partition_subalgoE6EtNS0_10empty_typeEbEEZZNS1_14partition_implILS5_6ELb0ES3_mN6thrust23THRUST_200600_302600_NS6detail15normal_iteratorINSA_10device_ptrItEEEEPS6_SG_NS0_5tupleIJNSA_16discard_iteratorINSA_11use_defaultEEES6_EEENSH_IJSG_SG_EEES6_PlJNSB_9not_fun_tI7is_trueItEEEEEE10hipError_tPvRmT3_T4_T5_T6_T7_T9_mT8_P12ihipStream_tbDpT10_ENKUlT_T0_E_clISt17integral_constantIbLb1EES1A_IbLb0EEEEDaS16_S17_EUlS16_E_NS1_11comp_targetILNS1_3genE2ELNS1_11target_archE906ELNS1_3gpuE6ELNS1_3repE0EEENS1_30default_config_static_selectorELNS0_4arch9wavefront6targetE0EEEvT1_
	.globl	_ZN7rocprim17ROCPRIM_400000_NS6detail17trampoline_kernelINS0_14default_configENS1_25partition_config_selectorILNS1_17partition_subalgoE6EtNS0_10empty_typeEbEEZZNS1_14partition_implILS5_6ELb0ES3_mN6thrust23THRUST_200600_302600_NS6detail15normal_iteratorINSA_10device_ptrItEEEEPS6_SG_NS0_5tupleIJNSA_16discard_iteratorINSA_11use_defaultEEES6_EEENSH_IJSG_SG_EEES6_PlJNSB_9not_fun_tI7is_trueItEEEEEE10hipError_tPvRmT3_T4_T5_T6_T7_T9_mT8_P12ihipStream_tbDpT10_ENKUlT_T0_E_clISt17integral_constantIbLb1EES1A_IbLb0EEEEDaS16_S17_EUlS16_E_NS1_11comp_targetILNS1_3genE2ELNS1_11target_archE906ELNS1_3gpuE6ELNS1_3repE0EEENS1_30default_config_static_selectorELNS0_4arch9wavefront6targetE0EEEvT1_
	.p2align	8
	.type	_ZN7rocprim17ROCPRIM_400000_NS6detail17trampoline_kernelINS0_14default_configENS1_25partition_config_selectorILNS1_17partition_subalgoE6EtNS0_10empty_typeEbEEZZNS1_14partition_implILS5_6ELb0ES3_mN6thrust23THRUST_200600_302600_NS6detail15normal_iteratorINSA_10device_ptrItEEEEPS6_SG_NS0_5tupleIJNSA_16discard_iteratorINSA_11use_defaultEEES6_EEENSH_IJSG_SG_EEES6_PlJNSB_9not_fun_tI7is_trueItEEEEEE10hipError_tPvRmT3_T4_T5_T6_T7_T9_mT8_P12ihipStream_tbDpT10_ENKUlT_T0_E_clISt17integral_constantIbLb1EES1A_IbLb0EEEEDaS16_S17_EUlS16_E_NS1_11comp_targetILNS1_3genE2ELNS1_11target_archE906ELNS1_3gpuE6ELNS1_3repE0EEENS1_30default_config_static_selectorELNS0_4arch9wavefront6targetE0EEEvT1_,@function
_ZN7rocprim17ROCPRIM_400000_NS6detail17trampoline_kernelINS0_14default_configENS1_25partition_config_selectorILNS1_17partition_subalgoE6EtNS0_10empty_typeEbEEZZNS1_14partition_implILS5_6ELb0ES3_mN6thrust23THRUST_200600_302600_NS6detail15normal_iteratorINSA_10device_ptrItEEEEPS6_SG_NS0_5tupleIJNSA_16discard_iteratorINSA_11use_defaultEEES6_EEENSH_IJSG_SG_EEES6_PlJNSB_9not_fun_tI7is_trueItEEEEEE10hipError_tPvRmT3_T4_T5_T6_T7_T9_mT8_P12ihipStream_tbDpT10_ENKUlT_T0_E_clISt17integral_constantIbLb1EES1A_IbLb0EEEEDaS16_S17_EUlS16_E_NS1_11comp_targetILNS1_3genE2ELNS1_11target_archE906ELNS1_3gpuE6ELNS1_3repE0EEENS1_30default_config_static_selectorELNS0_4arch9wavefront6targetE0EEEvT1_: ; @_ZN7rocprim17ROCPRIM_400000_NS6detail17trampoline_kernelINS0_14default_configENS1_25partition_config_selectorILNS1_17partition_subalgoE6EtNS0_10empty_typeEbEEZZNS1_14partition_implILS5_6ELb0ES3_mN6thrust23THRUST_200600_302600_NS6detail15normal_iteratorINSA_10device_ptrItEEEEPS6_SG_NS0_5tupleIJNSA_16discard_iteratorINSA_11use_defaultEEES6_EEENSH_IJSG_SG_EEES6_PlJNSB_9not_fun_tI7is_trueItEEEEEE10hipError_tPvRmT3_T4_T5_T6_T7_T9_mT8_P12ihipStream_tbDpT10_ENKUlT_T0_E_clISt17integral_constantIbLb1EES1A_IbLb0EEEEDaS16_S17_EUlS16_E_NS1_11comp_targetILNS1_3genE2ELNS1_11target_archE906ELNS1_3gpuE6ELNS1_3repE0EEENS1_30default_config_static_selectorELNS0_4arch9wavefront6targetE0EEEvT1_
; %bb.0:
	.section	.rodata,"a",@progbits
	.p2align	6, 0x0
	.amdhsa_kernel _ZN7rocprim17ROCPRIM_400000_NS6detail17trampoline_kernelINS0_14default_configENS1_25partition_config_selectorILNS1_17partition_subalgoE6EtNS0_10empty_typeEbEEZZNS1_14partition_implILS5_6ELb0ES3_mN6thrust23THRUST_200600_302600_NS6detail15normal_iteratorINSA_10device_ptrItEEEEPS6_SG_NS0_5tupleIJNSA_16discard_iteratorINSA_11use_defaultEEES6_EEENSH_IJSG_SG_EEES6_PlJNSB_9not_fun_tI7is_trueItEEEEEE10hipError_tPvRmT3_T4_T5_T6_T7_T9_mT8_P12ihipStream_tbDpT10_ENKUlT_T0_E_clISt17integral_constantIbLb1EES1A_IbLb0EEEEDaS16_S17_EUlS16_E_NS1_11comp_targetILNS1_3genE2ELNS1_11target_archE906ELNS1_3gpuE6ELNS1_3repE0EEENS1_30default_config_static_selectorELNS0_4arch9wavefront6targetE0EEEvT1_
		.amdhsa_group_segment_fixed_size 0
		.amdhsa_private_segment_fixed_size 0
		.amdhsa_kernarg_size 120
		.amdhsa_user_sgpr_count 2
		.amdhsa_user_sgpr_dispatch_ptr 0
		.amdhsa_user_sgpr_queue_ptr 0
		.amdhsa_user_sgpr_kernarg_segment_ptr 1
		.amdhsa_user_sgpr_dispatch_id 0
		.amdhsa_user_sgpr_private_segment_size 0
		.amdhsa_wavefront_size32 1
		.amdhsa_uses_dynamic_stack 0
		.amdhsa_enable_private_segment 0
		.amdhsa_system_sgpr_workgroup_id_x 1
		.amdhsa_system_sgpr_workgroup_id_y 0
		.amdhsa_system_sgpr_workgroup_id_z 0
		.amdhsa_system_sgpr_workgroup_info 0
		.amdhsa_system_vgpr_workitem_id 0
		.amdhsa_next_free_vgpr 1
		.amdhsa_next_free_sgpr 1
		.amdhsa_reserve_vcc 0
		.amdhsa_float_round_mode_32 0
		.amdhsa_float_round_mode_16_64 0
		.amdhsa_float_denorm_mode_32 3
		.amdhsa_float_denorm_mode_16_64 3
		.amdhsa_fp16_overflow 0
		.amdhsa_workgroup_processor_mode 1
		.amdhsa_memory_ordered 1
		.amdhsa_forward_progress 1
		.amdhsa_inst_pref_size 0
		.amdhsa_round_robin_scheduling 0
		.amdhsa_exception_fp_ieee_invalid_op 0
		.amdhsa_exception_fp_denorm_src 0
		.amdhsa_exception_fp_ieee_div_zero 0
		.amdhsa_exception_fp_ieee_overflow 0
		.amdhsa_exception_fp_ieee_underflow 0
		.amdhsa_exception_fp_ieee_inexact 0
		.amdhsa_exception_int_div_zero 0
	.end_amdhsa_kernel
	.section	.text._ZN7rocprim17ROCPRIM_400000_NS6detail17trampoline_kernelINS0_14default_configENS1_25partition_config_selectorILNS1_17partition_subalgoE6EtNS0_10empty_typeEbEEZZNS1_14partition_implILS5_6ELb0ES3_mN6thrust23THRUST_200600_302600_NS6detail15normal_iteratorINSA_10device_ptrItEEEEPS6_SG_NS0_5tupleIJNSA_16discard_iteratorINSA_11use_defaultEEES6_EEENSH_IJSG_SG_EEES6_PlJNSB_9not_fun_tI7is_trueItEEEEEE10hipError_tPvRmT3_T4_T5_T6_T7_T9_mT8_P12ihipStream_tbDpT10_ENKUlT_T0_E_clISt17integral_constantIbLb1EES1A_IbLb0EEEEDaS16_S17_EUlS16_E_NS1_11comp_targetILNS1_3genE2ELNS1_11target_archE906ELNS1_3gpuE6ELNS1_3repE0EEENS1_30default_config_static_selectorELNS0_4arch9wavefront6targetE0EEEvT1_,"axG",@progbits,_ZN7rocprim17ROCPRIM_400000_NS6detail17trampoline_kernelINS0_14default_configENS1_25partition_config_selectorILNS1_17partition_subalgoE6EtNS0_10empty_typeEbEEZZNS1_14partition_implILS5_6ELb0ES3_mN6thrust23THRUST_200600_302600_NS6detail15normal_iteratorINSA_10device_ptrItEEEEPS6_SG_NS0_5tupleIJNSA_16discard_iteratorINSA_11use_defaultEEES6_EEENSH_IJSG_SG_EEES6_PlJNSB_9not_fun_tI7is_trueItEEEEEE10hipError_tPvRmT3_T4_T5_T6_T7_T9_mT8_P12ihipStream_tbDpT10_ENKUlT_T0_E_clISt17integral_constantIbLb1EES1A_IbLb0EEEEDaS16_S17_EUlS16_E_NS1_11comp_targetILNS1_3genE2ELNS1_11target_archE906ELNS1_3gpuE6ELNS1_3repE0EEENS1_30default_config_static_selectorELNS0_4arch9wavefront6targetE0EEEvT1_,comdat
.Lfunc_end2225:
	.size	_ZN7rocprim17ROCPRIM_400000_NS6detail17trampoline_kernelINS0_14default_configENS1_25partition_config_selectorILNS1_17partition_subalgoE6EtNS0_10empty_typeEbEEZZNS1_14partition_implILS5_6ELb0ES3_mN6thrust23THRUST_200600_302600_NS6detail15normal_iteratorINSA_10device_ptrItEEEEPS6_SG_NS0_5tupleIJNSA_16discard_iteratorINSA_11use_defaultEEES6_EEENSH_IJSG_SG_EEES6_PlJNSB_9not_fun_tI7is_trueItEEEEEE10hipError_tPvRmT3_T4_T5_T6_T7_T9_mT8_P12ihipStream_tbDpT10_ENKUlT_T0_E_clISt17integral_constantIbLb1EES1A_IbLb0EEEEDaS16_S17_EUlS16_E_NS1_11comp_targetILNS1_3genE2ELNS1_11target_archE906ELNS1_3gpuE6ELNS1_3repE0EEENS1_30default_config_static_selectorELNS0_4arch9wavefront6targetE0EEEvT1_, .Lfunc_end2225-_ZN7rocprim17ROCPRIM_400000_NS6detail17trampoline_kernelINS0_14default_configENS1_25partition_config_selectorILNS1_17partition_subalgoE6EtNS0_10empty_typeEbEEZZNS1_14partition_implILS5_6ELb0ES3_mN6thrust23THRUST_200600_302600_NS6detail15normal_iteratorINSA_10device_ptrItEEEEPS6_SG_NS0_5tupleIJNSA_16discard_iteratorINSA_11use_defaultEEES6_EEENSH_IJSG_SG_EEES6_PlJNSB_9not_fun_tI7is_trueItEEEEEE10hipError_tPvRmT3_T4_T5_T6_T7_T9_mT8_P12ihipStream_tbDpT10_ENKUlT_T0_E_clISt17integral_constantIbLb1EES1A_IbLb0EEEEDaS16_S17_EUlS16_E_NS1_11comp_targetILNS1_3genE2ELNS1_11target_archE906ELNS1_3gpuE6ELNS1_3repE0EEENS1_30default_config_static_selectorELNS0_4arch9wavefront6targetE0EEEvT1_
                                        ; -- End function
	.set _ZN7rocprim17ROCPRIM_400000_NS6detail17trampoline_kernelINS0_14default_configENS1_25partition_config_selectorILNS1_17partition_subalgoE6EtNS0_10empty_typeEbEEZZNS1_14partition_implILS5_6ELb0ES3_mN6thrust23THRUST_200600_302600_NS6detail15normal_iteratorINSA_10device_ptrItEEEEPS6_SG_NS0_5tupleIJNSA_16discard_iteratorINSA_11use_defaultEEES6_EEENSH_IJSG_SG_EEES6_PlJNSB_9not_fun_tI7is_trueItEEEEEE10hipError_tPvRmT3_T4_T5_T6_T7_T9_mT8_P12ihipStream_tbDpT10_ENKUlT_T0_E_clISt17integral_constantIbLb1EES1A_IbLb0EEEEDaS16_S17_EUlS16_E_NS1_11comp_targetILNS1_3genE2ELNS1_11target_archE906ELNS1_3gpuE6ELNS1_3repE0EEENS1_30default_config_static_selectorELNS0_4arch9wavefront6targetE0EEEvT1_.num_vgpr, 0
	.set _ZN7rocprim17ROCPRIM_400000_NS6detail17trampoline_kernelINS0_14default_configENS1_25partition_config_selectorILNS1_17partition_subalgoE6EtNS0_10empty_typeEbEEZZNS1_14partition_implILS5_6ELb0ES3_mN6thrust23THRUST_200600_302600_NS6detail15normal_iteratorINSA_10device_ptrItEEEEPS6_SG_NS0_5tupleIJNSA_16discard_iteratorINSA_11use_defaultEEES6_EEENSH_IJSG_SG_EEES6_PlJNSB_9not_fun_tI7is_trueItEEEEEE10hipError_tPvRmT3_T4_T5_T6_T7_T9_mT8_P12ihipStream_tbDpT10_ENKUlT_T0_E_clISt17integral_constantIbLb1EES1A_IbLb0EEEEDaS16_S17_EUlS16_E_NS1_11comp_targetILNS1_3genE2ELNS1_11target_archE906ELNS1_3gpuE6ELNS1_3repE0EEENS1_30default_config_static_selectorELNS0_4arch9wavefront6targetE0EEEvT1_.num_agpr, 0
	.set _ZN7rocprim17ROCPRIM_400000_NS6detail17trampoline_kernelINS0_14default_configENS1_25partition_config_selectorILNS1_17partition_subalgoE6EtNS0_10empty_typeEbEEZZNS1_14partition_implILS5_6ELb0ES3_mN6thrust23THRUST_200600_302600_NS6detail15normal_iteratorINSA_10device_ptrItEEEEPS6_SG_NS0_5tupleIJNSA_16discard_iteratorINSA_11use_defaultEEES6_EEENSH_IJSG_SG_EEES6_PlJNSB_9not_fun_tI7is_trueItEEEEEE10hipError_tPvRmT3_T4_T5_T6_T7_T9_mT8_P12ihipStream_tbDpT10_ENKUlT_T0_E_clISt17integral_constantIbLb1EES1A_IbLb0EEEEDaS16_S17_EUlS16_E_NS1_11comp_targetILNS1_3genE2ELNS1_11target_archE906ELNS1_3gpuE6ELNS1_3repE0EEENS1_30default_config_static_selectorELNS0_4arch9wavefront6targetE0EEEvT1_.numbered_sgpr, 0
	.set _ZN7rocprim17ROCPRIM_400000_NS6detail17trampoline_kernelINS0_14default_configENS1_25partition_config_selectorILNS1_17partition_subalgoE6EtNS0_10empty_typeEbEEZZNS1_14partition_implILS5_6ELb0ES3_mN6thrust23THRUST_200600_302600_NS6detail15normal_iteratorINSA_10device_ptrItEEEEPS6_SG_NS0_5tupleIJNSA_16discard_iteratorINSA_11use_defaultEEES6_EEENSH_IJSG_SG_EEES6_PlJNSB_9not_fun_tI7is_trueItEEEEEE10hipError_tPvRmT3_T4_T5_T6_T7_T9_mT8_P12ihipStream_tbDpT10_ENKUlT_T0_E_clISt17integral_constantIbLb1EES1A_IbLb0EEEEDaS16_S17_EUlS16_E_NS1_11comp_targetILNS1_3genE2ELNS1_11target_archE906ELNS1_3gpuE6ELNS1_3repE0EEENS1_30default_config_static_selectorELNS0_4arch9wavefront6targetE0EEEvT1_.num_named_barrier, 0
	.set _ZN7rocprim17ROCPRIM_400000_NS6detail17trampoline_kernelINS0_14default_configENS1_25partition_config_selectorILNS1_17partition_subalgoE6EtNS0_10empty_typeEbEEZZNS1_14partition_implILS5_6ELb0ES3_mN6thrust23THRUST_200600_302600_NS6detail15normal_iteratorINSA_10device_ptrItEEEEPS6_SG_NS0_5tupleIJNSA_16discard_iteratorINSA_11use_defaultEEES6_EEENSH_IJSG_SG_EEES6_PlJNSB_9not_fun_tI7is_trueItEEEEEE10hipError_tPvRmT3_T4_T5_T6_T7_T9_mT8_P12ihipStream_tbDpT10_ENKUlT_T0_E_clISt17integral_constantIbLb1EES1A_IbLb0EEEEDaS16_S17_EUlS16_E_NS1_11comp_targetILNS1_3genE2ELNS1_11target_archE906ELNS1_3gpuE6ELNS1_3repE0EEENS1_30default_config_static_selectorELNS0_4arch9wavefront6targetE0EEEvT1_.private_seg_size, 0
	.set _ZN7rocprim17ROCPRIM_400000_NS6detail17trampoline_kernelINS0_14default_configENS1_25partition_config_selectorILNS1_17partition_subalgoE6EtNS0_10empty_typeEbEEZZNS1_14partition_implILS5_6ELb0ES3_mN6thrust23THRUST_200600_302600_NS6detail15normal_iteratorINSA_10device_ptrItEEEEPS6_SG_NS0_5tupleIJNSA_16discard_iteratorINSA_11use_defaultEEES6_EEENSH_IJSG_SG_EEES6_PlJNSB_9not_fun_tI7is_trueItEEEEEE10hipError_tPvRmT3_T4_T5_T6_T7_T9_mT8_P12ihipStream_tbDpT10_ENKUlT_T0_E_clISt17integral_constantIbLb1EES1A_IbLb0EEEEDaS16_S17_EUlS16_E_NS1_11comp_targetILNS1_3genE2ELNS1_11target_archE906ELNS1_3gpuE6ELNS1_3repE0EEENS1_30default_config_static_selectorELNS0_4arch9wavefront6targetE0EEEvT1_.uses_vcc, 0
	.set _ZN7rocprim17ROCPRIM_400000_NS6detail17trampoline_kernelINS0_14default_configENS1_25partition_config_selectorILNS1_17partition_subalgoE6EtNS0_10empty_typeEbEEZZNS1_14partition_implILS5_6ELb0ES3_mN6thrust23THRUST_200600_302600_NS6detail15normal_iteratorINSA_10device_ptrItEEEEPS6_SG_NS0_5tupleIJNSA_16discard_iteratorINSA_11use_defaultEEES6_EEENSH_IJSG_SG_EEES6_PlJNSB_9not_fun_tI7is_trueItEEEEEE10hipError_tPvRmT3_T4_T5_T6_T7_T9_mT8_P12ihipStream_tbDpT10_ENKUlT_T0_E_clISt17integral_constantIbLb1EES1A_IbLb0EEEEDaS16_S17_EUlS16_E_NS1_11comp_targetILNS1_3genE2ELNS1_11target_archE906ELNS1_3gpuE6ELNS1_3repE0EEENS1_30default_config_static_selectorELNS0_4arch9wavefront6targetE0EEEvT1_.uses_flat_scratch, 0
	.set _ZN7rocprim17ROCPRIM_400000_NS6detail17trampoline_kernelINS0_14default_configENS1_25partition_config_selectorILNS1_17partition_subalgoE6EtNS0_10empty_typeEbEEZZNS1_14partition_implILS5_6ELb0ES3_mN6thrust23THRUST_200600_302600_NS6detail15normal_iteratorINSA_10device_ptrItEEEEPS6_SG_NS0_5tupleIJNSA_16discard_iteratorINSA_11use_defaultEEES6_EEENSH_IJSG_SG_EEES6_PlJNSB_9not_fun_tI7is_trueItEEEEEE10hipError_tPvRmT3_T4_T5_T6_T7_T9_mT8_P12ihipStream_tbDpT10_ENKUlT_T0_E_clISt17integral_constantIbLb1EES1A_IbLb0EEEEDaS16_S17_EUlS16_E_NS1_11comp_targetILNS1_3genE2ELNS1_11target_archE906ELNS1_3gpuE6ELNS1_3repE0EEENS1_30default_config_static_selectorELNS0_4arch9wavefront6targetE0EEEvT1_.has_dyn_sized_stack, 0
	.set _ZN7rocprim17ROCPRIM_400000_NS6detail17trampoline_kernelINS0_14default_configENS1_25partition_config_selectorILNS1_17partition_subalgoE6EtNS0_10empty_typeEbEEZZNS1_14partition_implILS5_6ELb0ES3_mN6thrust23THRUST_200600_302600_NS6detail15normal_iteratorINSA_10device_ptrItEEEEPS6_SG_NS0_5tupleIJNSA_16discard_iteratorINSA_11use_defaultEEES6_EEENSH_IJSG_SG_EEES6_PlJNSB_9not_fun_tI7is_trueItEEEEEE10hipError_tPvRmT3_T4_T5_T6_T7_T9_mT8_P12ihipStream_tbDpT10_ENKUlT_T0_E_clISt17integral_constantIbLb1EES1A_IbLb0EEEEDaS16_S17_EUlS16_E_NS1_11comp_targetILNS1_3genE2ELNS1_11target_archE906ELNS1_3gpuE6ELNS1_3repE0EEENS1_30default_config_static_selectorELNS0_4arch9wavefront6targetE0EEEvT1_.has_recursion, 0
	.set _ZN7rocprim17ROCPRIM_400000_NS6detail17trampoline_kernelINS0_14default_configENS1_25partition_config_selectorILNS1_17partition_subalgoE6EtNS0_10empty_typeEbEEZZNS1_14partition_implILS5_6ELb0ES3_mN6thrust23THRUST_200600_302600_NS6detail15normal_iteratorINSA_10device_ptrItEEEEPS6_SG_NS0_5tupleIJNSA_16discard_iteratorINSA_11use_defaultEEES6_EEENSH_IJSG_SG_EEES6_PlJNSB_9not_fun_tI7is_trueItEEEEEE10hipError_tPvRmT3_T4_T5_T6_T7_T9_mT8_P12ihipStream_tbDpT10_ENKUlT_T0_E_clISt17integral_constantIbLb1EES1A_IbLb0EEEEDaS16_S17_EUlS16_E_NS1_11comp_targetILNS1_3genE2ELNS1_11target_archE906ELNS1_3gpuE6ELNS1_3repE0EEENS1_30default_config_static_selectorELNS0_4arch9wavefront6targetE0EEEvT1_.has_indirect_call, 0
	.section	.AMDGPU.csdata,"",@progbits
; Kernel info:
; codeLenInByte = 0
; TotalNumSgprs: 0
; NumVgprs: 0
; ScratchSize: 0
; MemoryBound: 0
; FloatMode: 240
; IeeeMode: 1
; LDSByteSize: 0 bytes/workgroup (compile time only)
; SGPRBlocks: 0
; VGPRBlocks: 0
; NumSGPRsForWavesPerEU: 1
; NumVGPRsForWavesPerEU: 1
; Occupancy: 16
; WaveLimiterHint : 0
; COMPUTE_PGM_RSRC2:SCRATCH_EN: 0
; COMPUTE_PGM_RSRC2:USER_SGPR: 2
; COMPUTE_PGM_RSRC2:TRAP_HANDLER: 0
; COMPUTE_PGM_RSRC2:TGID_X_EN: 1
; COMPUTE_PGM_RSRC2:TGID_Y_EN: 0
; COMPUTE_PGM_RSRC2:TGID_Z_EN: 0
; COMPUTE_PGM_RSRC2:TIDIG_COMP_CNT: 0
	.section	.text._ZN7rocprim17ROCPRIM_400000_NS6detail17trampoline_kernelINS0_14default_configENS1_25partition_config_selectorILNS1_17partition_subalgoE6EtNS0_10empty_typeEbEEZZNS1_14partition_implILS5_6ELb0ES3_mN6thrust23THRUST_200600_302600_NS6detail15normal_iteratorINSA_10device_ptrItEEEEPS6_SG_NS0_5tupleIJNSA_16discard_iteratorINSA_11use_defaultEEES6_EEENSH_IJSG_SG_EEES6_PlJNSB_9not_fun_tI7is_trueItEEEEEE10hipError_tPvRmT3_T4_T5_T6_T7_T9_mT8_P12ihipStream_tbDpT10_ENKUlT_T0_E_clISt17integral_constantIbLb1EES1A_IbLb0EEEEDaS16_S17_EUlS16_E_NS1_11comp_targetILNS1_3genE10ELNS1_11target_archE1200ELNS1_3gpuE4ELNS1_3repE0EEENS1_30default_config_static_selectorELNS0_4arch9wavefront6targetE0EEEvT1_,"axG",@progbits,_ZN7rocprim17ROCPRIM_400000_NS6detail17trampoline_kernelINS0_14default_configENS1_25partition_config_selectorILNS1_17partition_subalgoE6EtNS0_10empty_typeEbEEZZNS1_14partition_implILS5_6ELb0ES3_mN6thrust23THRUST_200600_302600_NS6detail15normal_iteratorINSA_10device_ptrItEEEEPS6_SG_NS0_5tupleIJNSA_16discard_iteratorINSA_11use_defaultEEES6_EEENSH_IJSG_SG_EEES6_PlJNSB_9not_fun_tI7is_trueItEEEEEE10hipError_tPvRmT3_T4_T5_T6_T7_T9_mT8_P12ihipStream_tbDpT10_ENKUlT_T0_E_clISt17integral_constantIbLb1EES1A_IbLb0EEEEDaS16_S17_EUlS16_E_NS1_11comp_targetILNS1_3genE10ELNS1_11target_archE1200ELNS1_3gpuE4ELNS1_3repE0EEENS1_30default_config_static_selectorELNS0_4arch9wavefront6targetE0EEEvT1_,comdat
	.protected	_ZN7rocprim17ROCPRIM_400000_NS6detail17trampoline_kernelINS0_14default_configENS1_25partition_config_selectorILNS1_17partition_subalgoE6EtNS0_10empty_typeEbEEZZNS1_14partition_implILS5_6ELb0ES3_mN6thrust23THRUST_200600_302600_NS6detail15normal_iteratorINSA_10device_ptrItEEEEPS6_SG_NS0_5tupleIJNSA_16discard_iteratorINSA_11use_defaultEEES6_EEENSH_IJSG_SG_EEES6_PlJNSB_9not_fun_tI7is_trueItEEEEEE10hipError_tPvRmT3_T4_T5_T6_T7_T9_mT8_P12ihipStream_tbDpT10_ENKUlT_T0_E_clISt17integral_constantIbLb1EES1A_IbLb0EEEEDaS16_S17_EUlS16_E_NS1_11comp_targetILNS1_3genE10ELNS1_11target_archE1200ELNS1_3gpuE4ELNS1_3repE0EEENS1_30default_config_static_selectorELNS0_4arch9wavefront6targetE0EEEvT1_ ; -- Begin function _ZN7rocprim17ROCPRIM_400000_NS6detail17trampoline_kernelINS0_14default_configENS1_25partition_config_selectorILNS1_17partition_subalgoE6EtNS0_10empty_typeEbEEZZNS1_14partition_implILS5_6ELb0ES3_mN6thrust23THRUST_200600_302600_NS6detail15normal_iteratorINSA_10device_ptrItEEEEPS6_SG_NS0_5tupleIJNSA_16discard_iteratorINSA_11use_defaultEEES6_EEENSH_IJSG_SG_EEES6_PlJNSB_9not_fun_tI7is_trueItEEEEEE10hipError_tPvRmT3_T4_T5_T6_T7_T9_mT8_P12ihipStream_tbDpT10_ENKUlT_T0_E_clISt17integral_constantIbLb1EES1A_IbLb0EEEEDaS16_S17_EUlS16_E_NS1_11comp_targetILNS1_3genE10ELNS1_11target_archE1200ELNS1_3gpuE4ELNS1_3repE0EEENS1_30default_config_static_selectorELNS0_4arch9wavefront6targetE0EEEvT1_
	.globl	_ZN7rocprim17ROCPRIM_400000_NS6detail17trampoline_kernelINS0_14default_configENS1_25partition_config_selectorILNS1_17partition_subalgoE6EtNS0_10empty_typeEbEEZZNS1_14partition_implILS5_6ELb0ES3_mN6thrust23THRUST_200600_302600_NS6detail15normal_iteratorINSA_10device_ptrItEEEEPS6_SG_NS0_5tupleIJNSA_16discard_iteratorINSA_11use_defaultEEES6_EEENSH_IJSG_SG_EEES6_PlJNSB_9not_fun_tI7is_trueItEEEEEE10hipError_tPvRmT3_T4_T5_T6_T7_T9_mT8_P12ihipStream_tbDpT10_ENKUlT_T0_E_clISt17integral_constantIbLb1EES1A_IbLb0EEEEDaS16_S17_EUlS16_E_NS1_11comp_targetILNS1_3genE10ELNS1_11target_archE1200ELNS1_3gpuE4ELNS1_3repE0EEENS1_30default_config_static_selectorELNS0_4arch9wavefront6targetE0EEEvT1_
	.p2align	8
	.type	_ZN7rocprim17ROCPRIM_400000_NS6detail17trampoline_kernelINS0_14default_configENS1_25partition_config_selectorILNS1_17partition_subalgoE6EtNS0_10empty_typeEbEEZZNS1_14partition_implILS5_6ELb0ES3_mN6thrust23THRUST_200600_302600_NS6detail15normal_iteratorINSA_10device_ptrItEEEEPS6_SG_NS0_5tupleIJNSA_16discard_iteratorINSA_11use_defaultEEES6_EEENSH_IJSG_SG_EEES6_PlJNSB_9not_fun_tI7is_trueItEEEEEE10hipError_tPvRmT3_T4_T5_T6_T7_T9_mT8_P12ihipStream_tbDpT10_ENKUlT_T0_E_clISt17integral_constantIbLb1EES1A_IbLb0EEEEDaS16_S17_EUlS16_E_NS1_11comp_targetILNS1_3genE10ELNS1_11target_archE1200ELNS1_3gpuE4ELNS1_3repE0EEENS1_30default_config_static_selectorELNS0_4arch9wavefront6targetE0EEEvT1_,@function
_ZN7rocprim17ROCPRIM_400000_NS6detail17trampoline_kernelINS0_14default_configENS1_25partition_config_selectorILNS1_17partition_subalgoE6EtNS0_10empty_typeEbEEZZNS1_14partition_implILS5_6ELb0ES3_mN6thrust23THRUST_200600_302600_NS6detail15normal_iteratorINSA_10device_ptrItEEEEPS6_SG_NS0_5tupleIJNSA_16discard_iteratorINSA_11use_defaultEEES6_EEENSH_IJSG_SG_EEES6_PlJNSB_9not_fun_tI7is_trueItEEEEEE10hipError_tPvRmT3_T4_T5_T6_T7_T9_mT8_P12ihipStream_tbDpT10_ENKUlT_T0_E_clISt17integral_constantIbLb1EES1A_IbLb0EEEEDaS16_S17_EUlS16_E_NS1_11comp_targetILNS1_3genE10ELNS1_11target_archE1200ELNS1_3gpuE4ELNS1_3repE0EEENS1_30default_config_static_selectorELNS0_4arch9wavefront6targetE0EEEvT1_: ; @_ZN7rocprim17ROCPRIM_400000_NS6detail17trampoline_kernelINS0_14default_configENS1_25partition_config_selectorILNS1_17partition_subalgoE6EtNS0_10empty_typeEbEEZZNS1_14partition_implILS5_6ELb0ES3_mN6thrust23THRUST_200600_302600_NS6detail15normal_iteratorINSA_10device_ptrItEEEEPS6_SG_NS0_5tupleIJNSA_16discard_iteratorINSA_11use_defaultEEES6_EEENSH_IJSG_SG_EEES6_PlJNSB_9not_fun_tI7is_trueItEEEEEE10hipError_tPvRmT3_T4_T5_T6_T7_T9_mT8_P12ihipStream_tbDpT10_ENKUlT_T0_E_clISt17integral_constantIbLb1EES1A_IbLb0EEEEDaS16_S17_EUlS16_E_NS1_11comp_targetILNS1_3genE10ELNS1_11target_archE1200ELNS1_3gpuE4ELNS1_3repE0EEENS1_30default_config_static_selectorELNS0_4arch9wavefront6targetE0EEEvT1_
; %bb.0:
	s_endpgm
	.section	.rodata,"a",@progbits
	.p2align	6, 0x0
	.amdhsa_kernel _ZN7rocprim17ROCPRIM_400000_NS6detail17trampoline_kernelINS0_14default_configENS1_25partition_config_selectorILNS1_17partition_subalgoE6EtNS0_10empty_typeEbEEZZNS1_14partition_implILS5_6ELb0ES3_mN6thrust23THRUST_200600_302600_NS6detail15normal_iteratorINSA_10device_ptrItEEEEPS6_SG_NS0_5tupleIJNSA_16discard_iteratorINSA_11use_defaultEEES6_EEENSH_IJSG_SG_EEES6_PlJNSB_9not_fun_tI7is_trueItEEEEEE10hipError_tPvRmT3_T4_T5_T6_T7_T9_mT8_P12ihipStream_tbDpT10_ENKUlT_T0_E_clISt17integral_constantIbLb1EES1A_IbLb0EEEEDaS16_S17_EUlS16_E_NS1_11comp_targetILNS1_3genE10ELNS1_11target_archE1200ELNS1_3gpuE4ELNS1_3repE0EEENS1_30default_config_static_selectorELNS0_4arch9wavefront6targetE0EEEvT1_
		.amdhsa_group_segment_fixed_size 0
		.amdhsa_private_segment_fixed_size 0
		.amdhsa_kernarg_size 120
		.amdhsa_user_sgpr_count 2
		.amdhsa_user_sgpr_dispatch_ptr 0
		.amdhsa_user_sgpr_queue_ptr 0
		.amdhsa_user_sgpr_kernarg_segment_ptr 1
		.amdhsa_user_sgpr_dispatch_id 0
		.amdhsa_user_sgpr_private_segment_size 0
		.amdhsa_wavefront_size32 1
		.amdhsa_uses_dynamic_stack 0
		.amdhsa_enable_private_segment 0
		.amdhsa_system_sgpr_workgroup_id_x 1
		.amdhsa_system_sgpr_workgroup_id_y 0
		.amdhsa_system_sgpr_workgroup_id_z 0
		.amdhsa_system_sgpr_workgroup_info 0
		.amdhsa_system_vgpr_workitem_id 0
		.amdhsa_next_free_vgpr 1
		.amdhsa_next_free_sgpr 1
		.amdhsa_reserve_vcc 0
		.amdhsa_float_round_mode_32 0
		.amdhsa_float_round_mode_16_64 0
		.amdhsa_float_denorm_mode_32 3
		.amdhsa_float_denorm_mode_16_64 3
		.amdhsa_fp16_overflow 0
		.amdhsa_workgroup_processor_mode 1
		.amdhsa_memory_ordered 1
		.amdhsa_forward_progress 1
		.amdhsa_inst_pref_size 1
		.amdhsa_round_robin_scheduling 0
		.amdhsa_exception_fp_ieee_invalid_op 0
		.amdhsa_exception_fp_denorm_src 0
		.amdhsa_exception_fp_ieee_div_zero 0
		.amdhsa_exception_fp_ieee_overflow 0
		.amdhsa_exception_fp_ieee_underflow 0
		.amdhsa_exception_fp_ieee_inexact 0
		.amdhsa_exception_int_div_zero 0
	.end_amdhsa_kernel
	.section	.text._ZN7rocprim17ROCPRIM_400000_NS6detail17trampoline_kernelINS0_14default_configENS1_25partition_config_selectorILNS1_17partition_subalgoE6EtNS0_10empty_typeEbEEZZNS1_14partition_implILS5_6ELb0ES3_mN6thrust23THRUST_200600_302600_NS6detail15normal_iteratorINSA_10device_ptrItEEEEPS6_SG_NS0_5tupleIJNSA_16discard_iteratorINSA_11use_defaultEEES6_EEENSH_IJSG_SG_EEES6_PlJNSB_9not_fun_tI7is_trueItEEEEEE10hipError_tPvRmT3_T4_T5_T6_T7_T9_mT8_P12ihipStream_tbDpT10_ENKUlT_T0_E_clISt17integral_constantIbLb1EES1A_IbLb0EEEEDaS16_S17_EUlS16_E_NS1_11comp_targetILNS1_3genE10ELNS1_11target_archE1200ELNS1_3gpuE4ELNS1_3repE0EEENS1_30default_config_static_selectorELNS0_4arch9wavefront6targetE0EEEvT1_,"axG",@progbits,_ZN7rocprim17ROCPRIM_400000_NS6detail17trampoline_kernelINS0_14default_configENS1_25partition_config_selectorILNS1_17partition_subalgoE6EtNS0_10empty_typeEbEEZZNS1_14partition_implILS5_6ELb0ES3_mN6thrust23THRUST_200600_302600_NS6detail15normal_iteratorINSA_10device_ptrItEEEEPS6_SG_NS0_5tupleIJNSA_16discard_iteratorINSA_11use_defaultEEES6_EEENSH_IJSG_SG_EEES6_PlJNSB_9not_fun_tI7is_trueItEEEEEE10hipError_tPvRmT3_T4_T5_T6_T7_T9_mT8_P12ihipStream_tbDpT10_ENKUlT_T0_E_clISt17integral_constantIbLb1EES1A_IbLb0EEEEDaS16_S17_EUlS16_E_NS1_11comp_targetILNS1_3genE10ELNS1_11target_archE1200ELNS1_3gpuE4ELNS1_3repE0EEENS1_30default_config_static_selectorELNS0_4arch9wavefront6targetE0EEEvT1_,comdat
.Lfunc_end2226:
	.size	_ZN7rocprim17ROCPRIM_400000_NS6detail17trampoline_kernelINS0_14default_configENS1_25partition_config_selectorILNS1_17partition_subalgoE6EtNS0_10empty_typeEbEEZZNS1_14partition_implILS5_6ELb0ES3_mN6thrust23THRUST_200600_302600_NS6detail15normal_iteratorINSA_10device_ptrItEEEEPS6_SG_NS0_5tupleIJNSA_16discard_iteratorINSA_11use_defaultEEES6_EEENSH_IJSG_SG_EEES6_PlJNSB_9not_fun_tI7is_trueItEEEEEE10hipError_tPvRmT3_T4_T5_T6_T7_T9_mT8_P12ihipStream_tbDpT10_ENKUlT_T0_E_clISt17integral_constantIbLb1EES1A_IbLb0EEEEDaS16_S17_EUlS16_E_NS1_11comp_targetILNS1_3genE10ELNS1_11target_archE1200ELNS1_3gpuE4ELNS1_3repE0EEENS1_30default_config_static_selectorELNS0_4arch9wavefront6targetE0EEEvT1_, .Lfunc_end2226-_ZN7rocprim17ROCPRIM_400000_NS6detail17trampoline_kernelINS0_14default_configENS1_25partition_config_selectorILNS1_17partition_subalgoE6EtNS0_10empty_typeEbEEZZNS1_14partition_implILS5_6ELb0ES3_mN6thrust23THRUST_200600_302600_NS6detail15normal_iteratorINSA_10device_ptrItEEEEPS6_SG_NS0_5tupleIJNSA_16discard_iteratorINSA_11use_defaultEEES6_EEENSH_IJSG_SG_EEES6_PlJNSB_9not_fun_tI7is_trueItEEEEEE10hipError_tPvRmT3_T4_T5_T6_T7_T9_mT8_P12ihipStream_tbDpT10_ENKUlT_T0_E_clISt17integral_constantIbLb1EES1A_IbLb0EEEEDaS16_S17_EUlS16_E_NS1_11comp_targetILNS1_3genE10ELNS1_11target_archE1200ELNS1_3gpuE4ELNS1_3repE0EEENS1_30default_config_static_selectorELNS0_4arch9wavefront6targetE0EEEvT1_
                                        ; -- End function
	.set _ZN7rocprim17ROCPRIM_400000_NS6detail17trampoline_kernelINS0_14default_configENS1_25partition_config_selectorILNS1_17partition_subalgoE6EtNS0_10empty_typeEbEEZZNS1_14partition_implILS5_6ELb0ES3_mN6thrust23THRUST_200600_302600_NS6detail15normal_iteratorINSA_10device_ptrItEEEEPS6_SG_NS0_5tupleIJNSA_16discard_iteratorINSA_11use_defaultEEES6_EEENSH_IJSG_SG_EEES6_PlJNSB_9not_fun_tI7is_trueItEEEEEE10hipError_tPvRmT3_T4_T5_T6_T7_T9_mT8_P12ihipStream_tbDpT10_ENKUlT_T0_E_clISt17integral_constantIbLb1EES1A_IbLb0EEEEDaS16_S17_EUlS16_E_NS1_11comp_targetILNS1_3genE10ELNS1_11target_archE1200ELNS1_3gpuE4ELNS1_3repE0EEENS1_30default_config_static_selectorELNS0_4arch9wavefront6targetE0EEEvT1_.num_vgpr, 0
	.set _ZN7rocprim17ROCPRIM_400000_NS6detail17trampoline_kernelINS0_14default_configENS1_25partition_config_selectorILNS1_17partition_subalgoE6EtNS0_10empty_typeEbEEZZNS1_14partition_implILS5_6ELb0ES3_mN6thrust23THRUST_200600_302600_NS6detail15normal_iteratorINSA_10device_ptrItEEEEPS6_SG_NS0_5tupleIJNSA_16discard_iteratorINSA_11use_defaultEEES6_EEENSH_IJSG_SG_EEES6_PlJNSB_9not_fun_tI7is_trueItEEEEEE10hipError_tPvRmT3_T4_T5_T6_T7_T9_mT8_P12ihipStream_tbDpT10_ENKUlT_T0_E_clISt17integral_constantIbLb1EES1A_IbLb0EEEEDaS16_S17_EUlS16_E_NS1_11comp_targetILNS1_3genE10ELNS1_11target_archE1200ELNS1_3gpuE4ELNS1_3repE0EEENS1_30default_config_static_selectorELNS0_4arch9wavefront6targetE0EEEvT1_.num_agpr, 0
	.set _ZN7rocprim17ROCPRIM_400000_NS6detail17trampoline_kernelINS0_14default_configENS1_25partition_config_selectorILNS1_17partition_subalgoE6EtNS0_10empty_typeEbEEZZNS1_14partition_implILS5_6ELb0ES3_mN6thrust23THRUST_200600_302600_NS6detail15normal_iteratorINSA_10device_ptrItEEEEPS6_SG_NS0_5tupleIJNSA_16discard_iteratorINSA_11use_defaultEEES6_EEENSH_IJSG_SG_EEES6_PlJNSB_9not_fun_tI7is_trueItEEEEEE10hipError_tPvRmT3_T4_T5_T6_T7_T9_mT8_P12ihipStream_tbDpT10_ENKUlT_T0_E_clISt17integral_constantIbLb1EES1A_IbLb0EEEEDaS16_S17_EUlS16_E_NS1_11comp_targetILNS1_3genE10ELNS1_11target_archE1200ELNS1_3gpuE4ELNS1_3repE0EEENS1_30default_config_static_selectorELNS0_4arch9wavefront6targetE0EEEvT1_.numbered_sgpr, 0
	.set _ZN7rocprim17ROCPRIM_400000_NS6detail17trampoline_kernelINS0_14default_configENS1_25partition_config_selectorILNS1_17partition_subalgoE6EtNS0_10empty_typeEbEEZZNS1_14partition_implILS5_6ELb0ES3_mN6thrust23THRUST_200600_302600_NS6detail15normal_iteratorINSA_10device_ptrItEEEEPS6_SG_NS0_5tupleIJNSA_16discard_iteratorINSA_11use_defaultEEES6_EEENSH_IJSG_SG_EEES6_PlJNSB_9not_fun_tI7is_trueItEEEEEE10hipError_tPvRmT3_T4_T5_T6_T7_T9_mT8_P12ihipStream_tbDpT10_ENKUlT_T0_E_clISt17integral_constantIbLb1EES1A_IbLb0EEEEDaS16_S17_EUlS16_E_NS1_11comp_targetILNS1_3genE10ELNS1_11target_archE1200ELNS1_3gpuE4ELNS1_3repE0EEENS1_30default_config_static_selectorELNS0_4arch9wavefront6targetE0EEEvT1_.num_named_barrier, 0
	.set _ZN7rocprim17ROCPRIM_400000_NS6detail17trampoline_kernelINS0_14default_configENS1_25partition_config_selectorILNS1_17partition_subalgoE6EtNS0_10empty_typeEbEEZZNS1_14partition_implILS5_6ELb0ES3_mN6thrust23THRUST_200600_302600_NS6detail15normal_iteratorINSA_10device_ptrItEEEEPS6_SG_NS0_5tupleIJNSA_16discard_iteratorINSA_11use_defaultEEES6_EEENSH_IJSG_SG_EEES6_PlJNSB_9not_fun_tI7is_trueItEEEEEE10hipError_tPvRmT3_T4_T5_T6_T7_T9_mT8_P12ihipStream_tbDpT10_ENKUlT_T0_E_clISt17integral_constantIbLb1EES1A_IbLb0EEEEDaS16_S17_EUlS16_E_NS1_11comp_targetILNS1_3genE10ELNS1_11target_archE1200ELNS1_3gpuE4ELNS1_3repE0EEENS1_30default_config_static_selectorELNS0_4arch9wavefront6targetE0EEEvT1_.private_seg_size, 0
	.set _ZN7rocprim17ROCPRIM_400000_NS6detail17trampoline_kernelINS0_14default_configENS1_25partition_config_selectorILNS1_17partition_subalgoE6EtNS0_10empty_typeEbEEZZNS1_14partition_implILS5_6ELb0ES3_mN6thrust23THRUST_200600_302600_NS6detail15normal_iteratorINSA_10device_ptrItEEEEPS6_SG_NS0_5tupleIJNSA_16discard_iteratorINSA_11use_defaultEEES6_EEENSH_IJSG_SG_EEES6_PlJNSB_9not_fun_tI7is_trueItEEEEEE10hipError_tPvRmT3_T4_T5_T6_T7_T9_mT8_P12ihipStream_tbDpT10_ENKUlT_T0_E_clISt17integral_constantIbLb1EES1A_IbLb0EEEEDaS16_S17_EUlS16_E_NS1_11comp_targetILNS1_3genE10ELNS1_11target_archE1200ELNS1_3gpuE4ELNS1_3repE0EEENS1_30default_config_static_selectorELNS0_4arch9wavefront6targetE0EEEvT1_.uses_vcc, 0
	.set _ZN7rocprim17ROCPRIM_400000_NS6detail17trampoline_kernelINS0_14default_configENS1_25partition_config_selectorILNS1_17partition_subalgoE6EtNS0_10empty_typeEbEEZZNS1_14partition_implILS5_6ELb0ES3_mN6thrust23THRUST_200600_302600_NS6detail15normal_iteratorINSA_10device_ptrItEEEEPS6_SG_NS0_5tupleIJNSA_16discard_iteratorINSA_11use_defaultEEES6_EEENSH_IJSG_SG_EEES6_PlJNSB_9not_fun_tI7is_trueItEEEEEE10hipError_tPvRmT3_T4_T5_T6_T7_T9_mT8_P12ihipStream_tbDpT10_ENKUlT_T0_E_clISt17integral_constantIbLb1EES1A_IbLb0EEEEDaS16_S17_EUlS16_E_NS1_11comp_targetILNS1_3genE10ELNS1_11target_archE1200ELNS1_3gpuE4ELNS1_3repE0EEENS1_30default_config_static_selectorELNS0_4arch9wavefront6targetE0EEEvT1_.uses_flat_scratch, 0
	.set _ZN7rocprim17ROCPRIM_400000_NS6detail17trampoline_kernelINS0_14default_configENS1_25partition_config_selectorILNS1_17partition_subalgoE6EtNS0_10empty_typeEbEEZZNS1_14partition_implILS5_6ELb0ES3_mN6thrust23THRUST_200600_302600_NS6detail15normal_iteratorINSA_10device_ptrItEEEEPS6_SG_NS0_5tupleIJNSA_16discard_iteratorINSA_11use_defaultEEES6_EEENSH_IJSG_SG_EEES6_PlJNSB_9not_fun_tI7is_trueItEEEEEE10hipError_tPvRmT3_T4_T5_T6_T7_T9_mT8_P12ihipStream_tbDpT10_ENKUlT_T0_E_clISt17integral_constantIbLb1EES1A_IbLb0EEEEDaS16_S17_EUlS16_E_NS1_11comp_targetILNS1_3genE10ELNS1_11target_archE1200ELNS1_3gpuE4ELNS1_3repE0EEENS1_30default_config_static_selectorELNS0_4arch9wavefront6targetE0EEEvT1_.has_dyn_sized_stack, 0
	.set _ZN7rocprim17ROCPRIM_400000_NS6detail17trampoline_kernelINS0_14default_configENS1_25partition_config_selectorILNS1_17partition_subalgoE6EtNS0_10empty_typeEbEEZZNS1_14partition_implILS5_6ELb0ES3_mN6thrust23THRUST_200600_302600_NS6detail15normal_iteratorINSA_10device_ptrItEEEEPS6_SG_NS0_5tupleIJNSA_16discard_iteratorINSA_11use_defaultEEES6_EEENSH_IJSG_SG_EEES6_PlJNSB_9not_fun_tI7is_trueItEEEEEE10hipError_tPvRmT3_T4_T5_T6_T7_T9_mT8_P12ihipStream_tbDpT10_ENKUlT_T0_E_clISt17integral_constantIbLb1EES1A_IbLb0EEEEDaS16_S17_EUlS16_E_NS1_11comp_targetILNS1_3genE10ELNS1_11target_archE1200ELNS1_3gpuE4ELNS1_3repE0EEENS1_30default_config_static_selectorELNS0_4arch9wavefront6targetE0EEEvT1_.has_recursion, 0
	.set _ZN7rocprim17ROCPRIM_400000_NS6detail17trampoline_kernelINS0_14default_configENS1_25partition_config_selectorILNS1_17partition_subalgoE6EtNS0_10empty_typeEbEEZZNS1_14partition_implILS5_6ELb0ES3_mN6thrust23THRUST_200600_302600_NS6detail15normal_iteratorINSA_10device_ptrItEEEEPS6_SG_NS0_5tupleIJNSA_16discard_iteratorINSA_11use_defaultEEES6_EEENSH_IJSG_SG_EEES6_PlJNSB_9not_fun_tI7is_trueItEEEEEE10hipError_tPvRmT3_T4_T5_T6_T7_T9_mT8_P12ihipStream_tbDpT10_ENKUlT_T0_E_clISt17integral_constantIbLb1EES1A_IbLb0EEEEDaS16_S17_EUlS16_E_NS1_11comp_targetILNS1_3genE10ELNS1_11target_archE1200ELNS1_3gpuE4ELNS1_3repE0EEENS1_30default_config_static_selectorELNS0_4arch9wavefront6targetE0EEEvT1_.has_indirect_call, 0
	.section	.AMDGPU.csdata,"",@progbits
; Kernel info:
; codeLenInByte = 4
; TotalNumSgprs: 0
; NumVgprs: 0
; ScratchSize: 0
; MemoryBound: 0
; FloatMode: 240
; IeeeMode: 1
; LDSByteSize: 0 bytes/workgroup (compile time only)
; SGPRBlocks: 0
; VGPRBlocks: 0
; NumSGPRsForWavesPerEU: 1
; NumVGPRsForWavesPerEU: 1
; Occupancy: 16
; WaveLimiterHint : 0
; COMPUTE_PGM_RSRC2:SCRATCH_EN: 0
; COMPUTE_PGM_RSRC2:USER_SGPR: 2
; COMPUTE_PGM_RSRC2:TRAP_HANDLER: 0
; COMPUTE_PGM_RSRC2:TGID_X_EN: 1
; COMPUTE_PGM_RSRC2:TGID_Y_EN: 0
; COMPUTE_PGM_RSRC2:TGID_Z_EN: 0
; COMPUTE_PGM_RSRC2:TIDIG_COMP_CNT: 0
	.section	.text._ZN7rocprim17ROCPRIM_400000_NS6detail17trampoline_kernelINS0_14default_configENS1_25partition_config_selectorILNS1_17partition_subalgoE6EtNS0_10empty_typeEbEEZZNS1_14partition_implILS5_6ELb0ES3_mN6thrust23THRUST_200600_302600_NS6detail15normal_iteratorINSA_10device_ptrItEEEEPS6_SG_NS0_5tupleIJNSA_16discard_iteratorINSA_11use_defaultEEES6_EEENSH_IJSG_SG_EEES6_PlJNSB_9not_fun_tI7is_trueItEEEEEE10hipError_tPvRmT3_T4_T5_T6_T7_T9_mT8_P12ihipStream_tbDpT10_ENKUlT_T0_E_clISt17integral_constantIbLb1EES1A_IbLb0EEEEDaS16_S17_EUlS16_E_NS1_11comp_targetILNS1_3genE9ELNS1_11target_archE1100ELNS1_3gpuE3ELNS1_3repE0EEENS1_30default_config_static_selectorELNS0_4arch9wavefront6targetE0EEEvT1_,"axG",@progbits,_ZN7rocprim17ROCPRIM_400000_NS6detail17trampoline_kernelINS0_14default_configENS1_25partition_config_selectorILNS1_17partition_subalgoE6EtNS0_10empty_typeEbEEZZNS1_14partition_implILS5_6ELb0ES3_mN6thrust23THRUST_200600_302600_NS6detail15normal_iteratorINSA_10device_ptrItEEEEPS6_SG_NS0_5tupleIJNSA_16discard_iteratorINSA_11use_defaultEEES6_EEENSH_IJSG_SG_EEES6_PlJNSB_9not_fun_tI7is_trueItEEEEEE10hipError_tPvRmT3_T4_T5_T6_T7_T9_mT8_P12ihipStream_tbDpT10_ENKUlT_T0_E_clISt17integral_constantIbLb1EES1A_IbLb0EEEEDaS16_S17_EUlS16_E_NS1_11comp_targetILNS1_3genE9ELNS1_11target_archE1100ELNS1_3gpuE3ELNS1_3repE0EEENS1_30default_config_static_selectorELNS0_4arch9wavefront6targetE0EEEvT1_,comdat
	.protected	_ZN7rocprim17ROCPRIM_400000_NS6detail17trampoline_kernelINS0_14default_configENS1_25partition_config_selectorILNS1_17partition_subalgoE6EtNS0_10empty_typeEbEEZZNS1_14partition_implILS5_6ELb0ES3_mN6thrust23THRUST_200600_302600_NS6detail15normal_iteratorINSA_10device_ptrItEEEEPS6_SG_NS0_5tupleIJNSA_16discard_iteratorINSA_11use_defaultEEES6_EEENSH_IJSG_SG_EEES6_PlJNSB_9not_fun_tI7is_trueItEEEEEE10hipError_tPvRmT3_T4_T5_T6_T7_T9_mT8_P12ihipStream_tbDpT10_ENKUlT_T0_E_clISt17integral_constantIbLb1EES1A_IbLb0EEEEDaS16_S17_EUlS16_E_NS1_11comp_targetILNS1_3genE9ELNS1_11target_archE1100ELNS1_3gpuE3ELNS1_3repE0EEENS1_30default_config_static_selectorELNS0_4arch9wavefront6targetE0EEEvT1_ ; -- Begin function _ZN7rocprim17ROCPRIM_400000_NS6detail17trampoline_kernelINS0_14default_configENS1_25partition_config_selectorILNS1_17partition_subalgoE6EtNS0_10empty_typeEbEEZZNS1_14partition_implILS5_6ELb0ES3_mN6thrust23THRUST_200600_302600_NS6detail15normal_iteratorINSA_10device_ptrItEEEEPS6_SG_NS0_5tupleIJNSA_16discard_iteratorINSA_11use_defaultEEES6_EEENSH_IJSG_SG_EEES6_PlJNSB_9not_fun_tI7is_trueItEEEEEE10hipError_tPvRmT3_T4_T5_T6_T7_T9_mT8_P12ihipStream_tbDpT10_ENKUlT_T0_E_clISt17integral_constantIbLb1EES1A_IbLb0EEEEDaS16_S17_EUlS16_E_NS1_11comp_targetILNS1_3genE9ELNS1_11target_archE1100ELNS1_3gpuE3ELNS1_3repE0EEENS1_30default_config_static_selectorELNS0_4arch9wavefront6targetE0EEEvT1_
	.globl	_ZN7rocprim17ROCPRIM_400000_NS6detail17trampoline_kernelINS0_14default_configENS1_25partition_config_selectorILNS1_17partition_subalgoE6EtNS0_10empty_typeEbEEZZNS1_14partition_implILS5_6ELb0ES3_mN6thrust23THRUST_200600_302600_NS6detail15normal_iteratorINSA_10device_ptrItEEEEPS6_SG_NS0_5tupleIJNSA_16discard_iteratorINSA_11use_defaultEEES6_EEENSH_IJSG_SG_EEES6_PlJNSB_9not_fun_tI7is_trueItEEEEEE10hipError_tPvRmT3_T4_T5_T6_T7_T9_mT8_P12ihipStream_tbDpT10_ENKUlT_T0_E_clISt17integral_constantIbLb1EES1A_IbLb0EEEEDaS16_S17_EUlS16_E_NS1_11comp_targetILNS1_3genE9ELNS1_11target_archE1100ELNS1_3gpuE3ELNS1_3repE0EEENS1_30default_config_static_selectorELNS0_4arch9wavefront6targetE0EEEvT1_
	.p2align	8
	.type	_ZN7rocprim17ROCPRIM_400000_NS6detail17trampoline_kernelINS0_14default_configENS1_25partition_config_selectorILNS1_17partition_subalgoE6EtNS0_10empty_typeEbEEZZNS1_14partition_implILS5_6ELb0ES3_mN6thrust23THRUST_200600_302600_NS6detail15normal_iteratorINSA_10device_ptrItEEEEPS6_SG_NS0_5tupleIJNSA_16discard_iteratorINSA_11use_defaultEEES6_EEENSH_IJSG_SG_EEES6_PlJNSB_9not_fun_tI7is_trueItEEEEEE10hipError_tPvRmT3_T4_T5_T6_T7_T9_mT8_P12ihipStream_tbDpT10_ENKUlT_T0_E_clISt17integral_constantIbLb1EES1A_IbLb0EEEEDaS16_S17_EUlS16_E_NS1_11comp_targetILNS1_3genE9ELNS1_11target_archE1100ELNS1_3gpuE3ELNS1_3repE0EEENS1_30default_config_static_selectorELNS0_4arch9wavefront6targetE0EEEvT1_,@function
_ZN7rocprim17ROCPRIM_400000_NS6detail17trampoline_kernelINS0_14default_configENS1_25partition_config_selectorILNS1_17partition_subalgoE6EtNS0_10empty_typeEbEEZZNS1_14partition_implILS5_6ELb0ES3_mN6thrust23THRUST_200600_302600_NS6detail15normal_iteratorINSA_10device_ptrItEEEEPS6_SG_NS0_5tupleIJNSA_16discard_iteratorINSA_11use_defaultEEES6_EEENSH_IJSG_SG_EEES6_PlJNSB_9not_fun_tI7is_trueItEEEEEE10hipError_tPvRmT3_T4_T5_T6_T7_T9_mT8_P12ihipStream_tbDpT10_ENKUlT_T0_E_clISt17integral_constantIbLb1EES1A_IbLb0EEEEDaS16_S17_EUlS16_E_NS1_11comp_targetILNS1_3genE9ELNS1_11target_archE1100ELNS1_3gpuE3ELNS1_3repE0EEENS1_30default_config_static_selectorELNS0_4arch9wavefront6targetE0EEEvT1_: ; @_ZN7rocprim17ROCPRIM_400000_NS6detail17trampoline_kernelINS0_14default_configENS1_25partition_config_selectorILNS1_17partition_subalgoE6EtNS0_10empty_typeEbEEZZNS1_14partition_implILS5_6ELb0ES3_mN6thrust23THRUST_200600_302600_NS6detail15normal_iteratorINSA_10device_ptrItEEEEPS6_SG_NS0_5tupleIJNSA_16discard_iteratorINSA_11use_defaultEEES6_EEENSH_IJSG_SG_EEES6_PlJNSB_9not_fun_tI7is_trueItEEEEEE10hipError_tPvRmT3_T4_T5_T6_T7_T9_mT8_P12ihipStream_tbDpT10_ENKUlT_T0_E_clISt17integral_constantIbLb1EES1A_IbLb0EEEEDaS16_S17_EUlS16_E_NS1_11comp_targetILNS1_3genE9ELNS1_11target_archE1100ELNS1_3gpuE3ELNS1_3repE0EEENS1_30default_config_static_selectorELNS0_4arch9wavefront6targetE0EEEvT1_
; %bb.0:
	.section	.rodata,"a",@progbits
	.p2align	6, 0x0
	.amdhsa_kernel _ZN7rocprim17ROCPRIM_400000_NS6detail17trampoline_kernelINS0_14default_configENS1_25partition_config_selectorILNS1_17partition_subalgoE6EtNS0_10empty_typeEbEEZZNS1_14partition_implILS5_6ELb0ES3_mN6thrust23THRUST_200600_302600_NS6detail15normal_iteratorINSA_10device_ptrItEEEEPS6_SG_NS0_5tupleIJNSA_16discard_iteratorINSA_11use_defaultEEES6_EEENSH_IJSG_SG_EEES6_PlJNSB_9not_fun_tI7is_trueItEEEEEE10hipError_tPvRmT3_T4_T5_T6_T7_T9_mT8_P12ihipStream_tbDpT10_ENKUlT_T0_E_clISt17integral_constantIbLb1EES1A_IbLb0EEEEDaS16_S17_EUlS16_E_NS1_11comp_targetILNS1_3genE9ELNS1_11target_archE1100ELNS1_3gpuE3ELNS1_3repE0EEENS1_30default_config_static_selectorELNS0_4arch9wavefront6targetE0EEEvT1_
		.amdhsa_group_segment_fixed_size 0
		.amdhsa_private_segment_fixed_size 0
		.amdhsa_kernarg_size 120
		.amdhsa_user_sgpr_count 2
		.amdhsa_user_sgpr_dispatch_ptr 0
		.amdhsa_user_sgpr_queue_ptr 0
		.amdhsa_user_sgpr_kernarg_segment_ptr 1
		.amdhsa_user_sgpr_dispatch_id 0
		.amdhsa_user_sgpr_private_segment_size 0
		.amdhsa_wavefront_size32 1
		.amdhsa_uses_dynamic_stack 0
		.amdhsa_enable_private_segment 0
		.amdhsa_system_sgpr_workgroup_id_x 1
		.amdhsa_system_sgpr_workgroup_id_y 0
		.amdhsa_system_sgpr_workgroup_id_z 0
		.amdhsa_system_sgpr_workgroup_info 0
		.amdhsa_system_vgpr_workitem_id 0
		.amdhsa_next_free_vgpr 1
		.amdhsa_next_free_sgpr 1
		.amdhsa_reserve_vcc 0
		.amdhsa_float_round_mode_32 0
		.amdhsa_float_round_mode_16_64 0
		.amdhsa_float_denorm_mode_32 3
		.amdhsa_float_denorm_mode_16_64 3
		.amdhsa_fp16_overflow 0
		.amdhsa_workgroup_processor_mode 1
		.amdhsa_memory_ordered 1
		.amdhsa_forward_progress 1
		.amdhsa_inst_pref_size 0
		.amdhsa_round_robin_scheduling 0
		.amdhsa_exception_fp_ieee_invalid_op 0
		.amdhsa_exception_fp_denorm_src 0
		.amdhsa_exception_fp_ieee_div_zero 0
		.amdhsa_exception_fp_ieee_overflow 0
		.amdhsa_exception_fp_ieee_underflow 0
		.amdhsa_exception_fp_ieee_inexact 0
		.amdhsa_exception_int_div_zero 0
	.end_amdhsa_kernel
	.section	.text._ZN7rocprim17ROCPRIM_400000_NS6detail17trampoline_kernelINS0_14default_configENS1_25partition_config_selectorILNS1_17partition_subalgoE6EtNS0_10empty_typeEbEEZZNS1_14partition_implILS5_6ELb0ES3_mN6thrust23THRUST_200600_302600_NS6detail15normal_iteratorINSA_10device_ptrItEEEEPS6_SG_NS0_5tupleIJNSA_16discard_iteratorINSA_11use_defaultEEES6_EEENSH_IJSG_SG_EEES6_PlJNSB_9not_fun_tI7is_trueItEEEEEE10hipError_tPvRmT3_T4_T5_T6_T7_T9_mT8_P12ihipStream_tbDpT10_ENKUlT_T0_E_clISt17integral_constantIbLb1EES1A_IbLb0EEEEDaS16_S17_EUlS16_E_NS1_11comp_targetILNS1_3genE9ELNS1_11target_archE1100ELNS1_3gpuE3ELNS1_3repE0EEENS1_30default_config_static_selectorELNS0_4arch9wavefront6targetE0EEEvT1_,"axG",@progbits,_ZN7rocprim17ROCPRIM_400000_NS6detail17trampoline_kernelINS0_14default_configENS1_25partition_config_selectorILNS1_17partition_subalgoE6EtNS0_10empty_typeEbEEZZNS1_14partition_implILS5_6ELb0ES3_mN6thrust23THRUST_200600_302600_NS6detail15normal_iteratorINSA_10device_ptrItEEEEPS6_SG_NS0_5tupleIJNSA_16discard_iteratorINSA_11use_defaultEEES6_EEENSH_IJSG_SG_EEES6_PlJNSB_9not_fun_tI7is_trueItEEEEEE10hipError_tPvRmT3_T4_T5_T6_T7_T9_mT8_P12ihipStream_tbDpT10_ENKUlT_T0_E_clISt17integral_constantIbLb1EES1A_IbLb0EEEEDaS16_S17_EUlS16_E_NS1_11comp_targetILNS1_3genE9ELNS1_11target_archE1100ELNS1_3gpuE3ELNS1_3repE0EEENS1_30default_config_static_selectorELNS0_4arch9wavefront6targetE0EEEvT1_,comdat
.Lfunc_end2227:
	.size	_ZN7rocprim17ROCPRIM_400000_NS6detail17trampoline_kernelINS0_14default_configENS1_25partition_config_selectorILNS1_17partition_subalgoE6EtNS0_10empty_typeEbEEZZNS1_14partition_implILS5_6ELb0ES3_mN6thrust23THRUST_200600_302600_NS6detail15normal_iteratorINSA_10device_ptrItEEEEPS6_SG_NS0_5tupleIJNSA_16discard_iteratorINSA_11use_defaultEEES6_EEENSH_IJSG_SG_EEES6_PlJNSB_9not_fun_tI7is_trueItEEEEEE10hipError_tPvRmT3_T4_T5_T6_T7_T9_mT8_P12ihipStream_tbDpT10_ENKUlT_T0_E_clISt17integral_constantIbLb1EES1A_IbLb0EEEEDaS16_S17_EUlS16_E_NS1_11comp_targetILNS1_3genE9ELNS1_11target_archE1100ELNS1_3gpuE3ELNS1_3repE0EEENS1_30default_config_static_selectorELNS0_4arch9wavefront6targetE0EEEvT1_, .Lfunc_end2227-_ZN7rocprim17ROCPRIM_400000_NS6detail17trampoline_kernelINS0_14default_configENS1_25partition_config_selectorILNS1_17partition_subalgoE6EtNS0_10empty_typeEbEEZZNS1_14partition_implILS5_6ELb0ES3_mN6thrust23THRUST_200600_302600_NS6detail15normal_iteratorINSA_10device_ptrItEEEEPS6_SG_NS0_5tupleIJNSA_16discard_iteratorINSA_11use_defaultEEES6_EEENSH_IJSG_SG_EEES6_PlJNSB_9not_fun_tI7is_trueItEEEEEE10hipError_tPvRmT3_T4_T5_T6_T7_T9_mT8_P12ihipStream_tbDpT10_ENKUlT_T0_E_clISt17integral_constantIbLb1EES1A_IbLb0EEEEDaS16_S17_EUlS16_E_NS1_11comp_targetILNS1_3genE9ELNS1_11target_archE1100ELNS1_3gpuE3ELNS1_3repE0EEENS1_30default_config_static_selectorELNS0_4arch9wavefront6targetE0EEEvT1_
                                        ; -- End function
	.set _ZN7rocprim17ROCPRIM_400000_NS6detail17trampoline_kernelINS0_14default_configENS1_25partition_config_selectorILNS1_17partition_subalgoE6EtNS0_10empty_typeEbEEZZNS1_14partition_implILS5_6ELb0ES3_mN6thrust23THRUST_200600_302600_NS6detail15normal_iteratorINSA_10device_ptrItEEEEPS6_SG_NS0_5tupleIJNSA_16discard_iteratorINSA_11use_defaultEEES6_EEENSH_IJSG_SG_EEES6_PlJNSB_9not_fun_tI7is_trueItEEEEEE10hipError_tPvRmT3_T4_T5_T6_T7_T9_mT8_P12ihipStream_tbDpT10_ENKUlT_T0_E_clISt17integral_constantIbLb1EES1A_IbLb0EEEEDaS16_S17_EUlS16_E_NS1_11comp_targetILNS1_3genE9ELNS1_11target_archE1100ELNS1_3gpuE3ELNS1_3repE0EEENS1_30default_config_static_selectorELNS0_4arch9wavefront6targetE0EEEvT1_.num_vgpr, 0
	.set _ZN7rocprim17ROCPRIM_400000_NS6detail17trampoline_kernelINS0_14default_configENS1_25partition_config_selectorILNS1_17partition_subalgoE6EtNS0_10empty_typeEbEEZZNS1_14partition_implILS5_6ELb0ES3_mN6thrust23THRUST_200600_302600_NS6detail15normal_iteratorINSA_10device_ptrItEEEEPS6_SG_NS0_5tupleIJNSA_16discard_iteratorINSA_11use_defaultEEES6_EEENSH_IJSG_SG_EEES6_PlJNSB_9not_fun_tI7is_trueItEEEEEE10hipError_tPvRmT3_T4_T5_T6_T7_T9_mT8_P12ihipStream_tbDpT10_ENKUlT_T0_E_clISt17integral_constantIbLb1EES1A_IbLb0EEEEDaS16_S17_EUlS16_E_NS1_11comp_targetILNS1_3genE9ELNS1_11target_archE1100ELNS1_3gpuE3ELNS1_3repE0EEENS1_30default_config_static_selectorELNS0_4arch9wavefront6targetE0EEEvT1_.num_agpr, 0
	.set _ZN7rocprim17ROCPRIM_400000_NS6detail17trampoline_kernelINS0_14default_configENS1_25partition_config_selectorILNS1_17partition_subalgoE6EtNS0_10empty_typeEbEEZZNS1_14partition_implILS5_6ELb0ES3_mN6thrust23THRUST_200600_302600_NS6detail15normal_iteratorINSA_10device_ptrItEEEEPS6_SG_NS0_5tupleIJNSA_16discard_iteratorINSA_11use_defaultEEES6_EEENSH_IJSG_SG_EEES6_PlJNSB_9not_fun_tI7is_trueItEEEEEE10hipError_tPvRmT3_T4_T5_T6_T7_T9_mT8_P12ihipStream_tbDpT10_ENKUlT_T0_E_clISt17integral_constantIbLb1EES1A_IbLb0EEEEDaS16_S17_EUlS16_E_NS1_11comp_targetILNS1_3genE9ELNS1_11target_archE1100ELNS1_3gpuE3ELNS1_3repE0EEENS1_30default_config_static_selectorELNS0_4arch9wavefront6targetE0EEEvT1_.numbered_sgpr, 0
	.set _ZN7rocprim17ROCPRIM_400000_NS6detail17trampoline_kernelINS0_14default_configENS1_25partition_config_selectorILNS1_17partition_subalgoE6EtNS0_10empty_typeEbEEZZNS1_14partition_implILS5_6ELb0ES3_mN6thrust23THRUST_200600_302600_NS6detail15normal_iteratorINSA_10device_ptrItEEEEPS6_SG_NS0_5tupleIJNSA_16discard_iteratorINSA_11use_defaultEEES6_EEENSH_IJSG_SG_EEES6_PlJNSB_9not_fun_tI7is_trueItEEEEEE10hipError_tPvRmT3_T4_T5_T6_T7_T9_mT8_P12ihipStream_tbDpT10_ENKUlT_T0_E_clISt17integral_constantIbLb1EES1A_IbLb0EEEEDaS16_S17_EUlS16_E_NS1_11comp_targetILNS1_3genE9ELNS1_11target_archE1100ELNS1_3gpuE3ELNS1_3repE0EEENS1_30default_config_static_selectorELNS0_4arch9wavefront6targetE0EEEvT1_.num_named_barrier, 0
	.set _ZN7rocprim17ROCPRIM_400000_NS6detail17trampoline_kernelINS0_14default_configENS1_25partition_config_selectorILNS1_17partition_subalgoE6EtNS0_10empty_typeEbEEZZNS1_14partition_implILS5_6ELb0ES3_mN6thrust23THRUST_200600_302600_NS6detail15normal_iteratorINSA_10device_ptrItEEEEPS6_SG_NS0_5tupleIJNSA_16discard_iteratorINSA_11use_defaultEEES6_EEENSH_IJSG_SG_EEES6_PlJNSB_9not_fun_tI7is_trueItEEEEEE10hipError_tPvRmT3_T4_T5_T6_T7_T9_mT8_P12ihipStream_tbDpT10_ENKUlT_T0_E_clISt17integral_constantIbLb1EES1A_IbLb0EEEEDaS16_S17_EUlS16_E_NS1_11comp_targetILNS1_3genE9ELNS1_11target_archE1100ELNS1_3gpuE3ELNS1_3repE0EEENS1_30default_config_static_selectorELNS0_4arch9wavefront6targetE0EEEvT1_.private_seg_size, 0
	.set _ZN7rocprim17ROCPRIM_400000_NS6detail17trampoline_kernelINS0_14default_configENS1_25partition_config_selectorILNS1_17partition_subalgoE6EtNS0_10empty_typeEbEEZZNS1_14partition_implILS5_6ELb0ES3_mN6thrust23THRUST_200600_302600_NS6detail15normal_iteratorINSA_10device_ptrItEEEEPS6_SG_NS0_5tupleIJNSA_16discard_iteratorINSA_11use_defaultEEES6_EEENSH_IJSG_SG_EEES6_PlJNSB_9not_fun_tI7is_trueItEEEEEE10hipError_tPvRmT3_T4_T5_T6_T7_T9_mT8_P12ihipStream_tbDpT10_ENKUlT_T0_E_clISt17integral_constantIbLb1EES1A_IbLb0EEEEDaS16_S17_EUlS16_E_NS1_11comp_targetILNS1_3genE9ELNS1_11target_archE1100ELNS1_3gpuE3ELNS1_3repE0EEENS1_30default_config_static_selectorELNS0_4arch9wavefront6targetE0EEEvT1_.uses_vcc, 0
	.set _ZN7rocprim17ROCPRIM_400000_NS6detail17trampoline_kernelINS0_14default_configENS1_25partition_config_selectorILNS1_17partition_subalgoE6EtNS0_10empty_typeEbEEZZNS1_14partition_implILS5_6ELb0ES3_mN6thrust23THRUST_200600_302600_NS6detail15normal_iteratorINSA_10device_ptrItEEEEPS6_SG_NS0_5tupleIJNSA_16discard_iteratorINSA_11use_defaultEEES6_EEENSH_IJSG_SG_EEES6_PlJNSB_9not_fun_tI7is_trueItEEEEEE10hipError_tPvRmT3_T4_T5_T6_T7_T9_mT8_P12ihipStream_tbDpT10_ENKUlT_T0_E_clISt17integral_constantIbLb1EES1A_IbLb0EEEEDaS16_S17_EUlS16_E_NS1_11comp_targetILNS1_3genE9ELNS1_11target_archE1100ELNS1_3gpuE3ELNS1_3repE0EEENS1_30default_config_static_selectorELNS0_4arch9wavefront6targetE0EEEvT1_.uses_flat_scratch, 0
	.set _ZN7rocprim17ROCPRIM_400000_NS6detail17trampoline_kernelINS0_14default_configENS1_25partition_config_selectorILNS1_17partition_subalgoE6EtNS0_10empty_typeEbEEZZNS1_14partition_implILS5_6ELb0ES3_mN6thrust23THRUST_200600_302600_NS6detail15normal_iteratorINSA_10device_ptrItEEEEPS6_SG_NS0_5tupleIJNSA_16discard_iteratorINSA_11use_defaultEEES6_EEENSH_IJSG_SG_EEES6_PlJNSB_9not_fun_tI7is_trueItEEEEEE10hipError_tPvRmT3_T4_T5_T6_T7_T9_mT8_P12ihipStream_tbDpT10_ENKUlT_T0_E_clISt17integral_constantIbLb1EES1A_IbLb0EEEEDaS16_S17_EUlS16_E_NS1_11comp_targetILNS1_3genE9ELNS1_11target_archE1100ELNS1_3gpuE3ELNS1_3repE0EEENS1_30default_config_static_selectorELNS0_4arch9wavefront6targetE0EEEvT1_.has_dyn_sized_stack, 0
	.set _ZN7rocprim17ROCPRIM_400000_NS6detail17trampoline_kernelINS0_14default_configENS1_25partition_config_selectorILNS1_17partition_subalgoE6EtNS0_10empty_typeEbEEZZNS1_14partition_implILS5_6ELb0ES3_mN6thrust23THRUST_200600_302600_NS6detail15normal_iteratorINSA_10device_ptrItEEEEPS6_SG_NS0_5tupleIJNSA_16discard_iteratorINSA_11use_defaultEEES6_EEENSH_IJSG_SG_EEES6_PlJNSB_9not_fun_tI7is_trueItEEEEEE10hipError_tPvRmT3_T4_T5_T6_T7_T9_mT8_P12ihipStream_tbDpT10_ENKUlT_T0_E_clISt17integral_constantIbLb1EES1A_IbLb0EEEEDaS16_S17_EUlS16_E_NS1_11comp_targetILNS1_3genE9ELNS1_11target_archE1100ELNS1_3gpuE3ELNS1_3repE0EEENS1_30default_config_static_selectorELNS0_4arch9wavefront6targetE0EEEvT1_.has_recursion, 0
	.set _ZN7rocprim17ROCPRIM_400000_NS6detail17trampoline_kernelINS0_14default_configENS1_25partition_config_selectorILNS1_17partition_subalgoE6EtNS0_10empty_typeEbEEZZNS1_14partition_implILS5_6ELb0ES3_mN6thrust23THRUST_200600_302600_NS6detail15normal_iteratorINSA_10device_ptrItEEEEPS6_SG_NS0_5tupleIJNSA_16discard_iteratorINSA_11use_defaultEEES6_EEENSH_IJSG_SG_EEES6_PlJNSB_9not_fun_tI7is_trueItEEEEEE10hipError_tPvRmT3_T4_T5_T6_T7_T9_mT8_P12ihipStream_tbDpT10_ENKUlT_T0_E_clISt17integral_constantIbLb1EES1A_IbLb0EEEEDaS16_S17_EUlS16_E_NS1_11comp_targetILNS1_3genE9ELNS1_11target_archE1100ELNS1_3gpuE3ELNS1_3repE0EEENS1_30default_config_static_selectorELNS0_4arch9wavefront6targetE0EEEvT1_.has_indirect_call, 0
	.section	.AMDGPU.csdata,"",@progbits
; Kernel info:
; codeLenInByte = 0
; TotalNumSgprs: 0
; NumVgprs: 0
; ScratchSize: 0
; MemoryBound: 0
; FloatMode: 240
; IeeeMode: 1
; LDSByteSize: 0 bytes/workgroup (compile time only)
; SGPRBlocks: 0
; VGPRBlocks: 0
; NumSGPRsForWavesPerEU: 1
; NumVGPRsForWavesPerEU: 1
; Occupancy: 16
; WaveLimiterHint : 0
; COMPUTE_PGM_RSRC2:SCRATCH_EN: 0
; COMPUTE_PGM_RSRC2:USER_SGPR: 2
; COMPUTE_PGM_RSRC2:TRAP_HANDLER: 0
; COMPUTE_PGM_RSRC2:TGID_X_EN: 1
; COMPUTE_PGM_RSRC2:TGID_Y_EN: 0
; COMPUTE_PGM_RSRC2:TGID_Z_EN: 0
; COMPUTE_PGM_RSRC2:TIDIG_COMP_CNT: 0
	.section	.text._ZN7rocprim17ROCPRIM_400000_NS6detail17trampoline_kernelINS0_14default_configENS1_25partition_config_selectorILNS1_17partition_subalgoE6EtNS0_10empty_typeEbEEZZNS1_14partition_implILS5_6ELb0ES3_mN6thrust23THRUST_200600_302600_NS6detail15normal_iteratorINSA_10device_ptrItEEEEPS6_SG_NS0_5tupleIJNSA_16discard_iteratorINSA_11use_defaultEEES6_EEENSH_IJSG_SG_EEES6_PlJNSB_9not_fun_tI7is_trueItEEEEEE10hipError_tPvRmT3_T4_T5_T6_T7_T9_mT8_P12ihipStream_tbDpT10_ENKUlT_T0_E_clISt17integral_constantIbLb1EES1A_IbLb0EEEEDaS16_S17_EUlS16_E_NS1_11comp_targetILNS1_3genE8ELNS1_11target_archE1030ELNS1_3gpuE2ELNS1_3repE0EEENS1_30default_config_static_selectorELNS0_4arch9wavefront6targetE0EEEvT1_,"axG",@progbits,_ZN7rocprim17ROCPRIM_400000_NS6detail17trampoline_kernelINS0_14default_configENS1_25partition_config_selectorILNS1_17partition_subalgoE6EtNS0_10empty_typeEbEEZZNS1_14partition_implILS5_6ELb0ES3_mN6thrust23THRUST_200600_302600_NS6detail15normal_iteratorINSA_10device_ptrItEEEEPS6_SG_NS0_5tupleIJNSA_16discard_iteratorINSA_11use_defaultEEES6_EEENSH_IJSG_SG_EEES6_PlJNSB_9not_fun_tI7is_trueItEEEEEE10hipError_tPvRmT3_T4_T5_T6_T7_T9_mT8_P12ihipStream_tbDpT10_ENKUlT_T0_E_clISt17integral_constantIbLb1EES1A_IbLb0EEEEDaS16_S17_EUlS16_E_NS1_11comp_targetILNS1_3genE8ELNS1_11target_archE1030ELNS1_3gpuE2ELNS1_3repE0EEENS1_30default_config_static_selectorELNS0_4arch9wavefront6targetE0EEEvT1_,comdat
	.protected	_ZN7rocprim17ROCPRIM_400000_NS6detail17trampoline_kernelINS0_14default_configENS1_25partition_config_selectorILNS1_17partition_subalgoE6EtNS0_10empty_typeEbEEZZNS1_14partition_implILS5_6ELb0ES3_mN6thrust23THRUST_200600_302600_NS6detail15normal_iteratorINSA_10device_ptrItEEEEPS6_SG_NS0_5tupleIJNSA_16discard_iteratorINSA_11use_defaultEEES6_EEENSH_IJSG_SG_EEES6_PlJNSB_9not_fun_tI7is_trueItEEEEEE10hipError_tPvRmT3_T4_T5_T6_T7_T9_mT8_P12ihipStream_tbDpT10_ENKUlT_T0_E_clISt17integral_constantIbLb1EES1A_IbLb0EEEEDaS16_S17_EUlS16_E_NS1_11comp_targetILNS1_3genE8ELNS1_11target_archE1030ELNS1_3gpuE2ELNS1_3repE0EEENS1_30default_config_static_selectorELNS0_4arch9wavefront6targetE0EEEvT1_ ; -- Begin function _ZN7rocprim17ROCPRIM_400000_NS6detail17trampoline_kernelINS0_14default_configENS1_25partition_config_selectorILNS1_17partition_subalgoE6EtNS0_10empty_typeEbEEZZNS1_14partition_implILS5_6ELb0ES3_mN6thrust23THRUST_200600_302600_NS6detail15normal_iteratorINSA_10device_ptrItEEEEPS6_SG_NS0_5tupleIJNSA_16discard_iteratorINSA_11use_defaultEEES6_EEENSH_IJSG_SG_EEES6_PlJNSB_9not_fun_tI7is_trueItEEEEEE10hipError_tPvRmT3_T4_T5_T6_T7_T9_mT8_P12ihipStream_tbDpT10_ENKUlT_T0_E_clISt17integral_constantIbLb1EES1A_IbLb0EEEEDaS16_S17_EUlS16_E_NS1_11comp_targetILNS1_3genE8ELNS1_11target_archE1030ELNS1_3gpuE2ELNS1_3repE0EEENS1_30default_config_static_selectorELNS0_4arch9wavefront6targetE0EEEvT1_
	.globl	_ZN7rocprim17ROCPRIM_400000_NS6detail17trampoline_kernelINS0_14default_configENS1_25partition_config_selectorILNS1_17partition_subalgoE6EtNS0_10empty_typeEbEEZZNS1_14partition_implILS5_6ELb0ES3_mN6thrust23THRUST_200600_302600_NS6detail15normal_iteratorINSA_10device_ptrItEEEEPS6_SG_NS0_5tupleIJNSA_16discard_iteratorINSA_11use_defaultEEES6_EEENSH_IJSG_SG_EEES6_PlJNSB_9not_fun_tI7is_trueItEEEEEE10hipError_tPvRmT3_T4_T5_T6_T7_T9_mT8_P12ihipStream_tbDpT10_ENKUlT_T0_E_clISt17integral_constantIbLb1EES1A_IbLb0EEEEDaS16_S17_EUlS16_E_NS1_11comp_targetILNS1_3genE8ELNS1_11target_archE1030ELNS1_3gpuE2ELNS1_3repE0EEENS1_30default_config_static_selectorELNS0_4arch9wavefront6targetE0EEEvT1_
	.p2align	8
	.type	_ZN7rocprim17ROCPRIM_400000_NS6detail17trampoline_kernelINS0_14default_configENS1_25partition_config_selectorILNS1_17partition_subalgoE6EtNS0_10empty_typeEbEEZZNS1_14partition_implILS5_6ELb0ES3_mN6thrust23THRUST_200600_302600_NS6detail15normal_iteratorINSA_10device_ptrItEEEEPS6_SG_NS0_5tupleIJNSA_16discard_iteratorINSA_11use_defaultEEES6_EEENSH_IJSG_SG_EEES6_PlJNSB_9not_fun_tI7is_trueItEEEEEE10hipError_tPvRmT3_T4_T5_T6_T7_T9_mT8_P12ihipStream_tbDpT10_ENKUlT_T0_E_clISt17integral_constantIbLb1EES1A_IbLb0EEEEDaS16_S17_EUlS16_E_NS1_11comp_targetILNS1_3genE8ELNS1_11target_archE1030ELNS1_3gpuE2ELNS1_3repE0EEENS1_30default_config_static_selectorELNS0_4arch9wavefront6targetE0EEEvT1_,@function
_ZN7rocprim17ROCPRIM_400000_NS6detail17trampoline_kernelINS0_14default_configENS1_25partition_config_selectorILNS1_17partition_subalgoE6EtNS0_10empty_typeEbEEZZNS1_14partition_implILS5_6ELb0ES3_mN6thrust23THRUST_200600_302600_NS6detail15normal_iteratorINSA_10device_ptrItEEEEPS6_SG_NS0_5tupleIJNSA_16discard_iteratorINSA_11use_defaultEEES6_EEENSH_IJSG_SG_EEES6_PlJNSB_9not_fun_tI7is_trueItEEEEEE10hipError_tPvRmT3_T4_T5_T6_T7_T9_mT8_P12ihipStream_tbDpT10_ENKUlT_T0_E_clISt17integral_constantIbLb1EES1A_IbLb0EEEEDaS16_S17_EUlS16_E_NS1_11comp_targetILNS1_3genE8ELNS1_11target_archE1030ELNS1_3gpuE2ELNS1_3repE0EEENS1_30default_config_static_selectorELNS0_4arch9wavefront6targetE0EEEvT1_: ; @_ZN7rocprim17ROCPRIM_400000_NS6detail17trampoline_kernelINS0_14default_configENS1_25partition_config_selectorILNS1_17partition_subalgoE6EtNS0_10empty_typeEbEEZZNS1_14partition_implILS5_6ELb0ES3_mN6thrust23THRUST_200600_302600_NS6detail15normal_iteratorINSA_10device_ptrItEEEEPS6_SG_NS0_5tupleIJNSA_16discard_iteratorINSA_11use_defaultEEES6_EEENSH_IJSG_SG_EEES6_PlJNSB_9not_fun_tI7is_trueItEEEEEE10hipError_tPvRmT3_T4_T5_T6_T7_T9_mT8_P12ihipStream_tbDpT10_ENKUlT_T0_E_clISt17integral_constantIbLb1EES1A_IbLb0EEEEDaS16_S17_EUlS16_E_NS1_11comp_targetILNS1_3genE8ELNS1_11target_archE1030ELNS1_3gpuE2ELNS1_3repE0EEENS1_30default_config_static_selectorELNS0_4arch9wavefront6targetE0EEEvT1_
; %bb.0:
	.section	.rodata,"a",@progbits
	.p2align	6, 0x0
	.amdhsa_kernel _ZN7rocprim17ROCPRIM_400000_NS6detail17trampoline_kernelINS0_14default_configENS1_25partition_config_selectorILNS1_17partition_subalgoE6EtNS0_10empty_typeEbEEZZNS1_14partition_implILS5_6ELb0ES3_mN6thrust23THRUST_200600_302600_NS6detail15normal_iteratorINSA_10device_ptrItEEEEPS6_SG_NS0_5tupleIJNSA_16discard_iteratorINSA_11use_defaultEEES6_EEENSH_IJSG_SG_EEES6_PlJNSB_9not_fun_tI7is_trueItEEEEEE10hipError_tPvRmT3_T4_T5_T6_T7_T9_mT8_P12ihipStream_tbDpT10_ENKUlT_T0_E_clISt17integral_constantIbLb1EES1A_IbLb0EEEEDaS16_S17_EUlS16_E_NS1_11comp_targetILNS1_3genE8ELNS1_11target_archE1030ELNS1_3gpuE2ELNS1_3repE0EEENS1_30default_config_static_selectorELNS0_4arch9wavefront6targetE0EEEvT1_
		.amdhsa_group_segment_fixed_size 0
		.amdhsa_private_segment_fixed_size 0
		.amdhsa_kernarg_size 120
		.amdhsa_user_sgpr_count 2
		.amdhsa_user_sgpr_dispatch_ptr 0
		.amdhsa_user_sgpr_queue_ptr 0
		.amdhsa_user_sgpr_kernarg_segment_ptr 1
		.amdhsa_user_sgpr_dispatch_id 0
		.amdhsa_user_sgpr_private_segment_size 0
		.amdhsa_wavefront_size32 1
		.amdhsa_uses_dynamic_stack 0
		.amdhsa_enable_private_segment 0
		.amdhsa_system_sgpr_workgroup_id_x 1
		.amdhsa_system_sgpr_workgroup_id_y 0
		.amdhsa_system_sgpr_workgroup_id_z 0
		.amdhsa_system_sgpr_workgroup_info 0
		.amdhsa_system_vgpr_workitem_id 0
		.amdhsa_next_free_vgpr 1
		.amdhsa_next_free_sgpr 1
		.amdhsa_reserve_vcc 0
		.amdhsa_float_round_mode_32 0
		.amdhsa_float_round_mode_16_64 0
		.amdhsa_float_denorm_mode_32 3
		.amdhsa_float_denorm_mode_16_64 3
		.amdhsa_fp16_overflow 0
		.amdhsa_workgroup_processor_mode 1
		.amdhsa_memory_ordered 1
		.amdhsa_forward_progress 1
		.amdhsa_inst_pref_size 0
		.amdhsa_round_robin_scheduling 0
		.amdhsa_exception_fp_ieee_invalid_op 0
		.amdhsa_exception_fp_denorm_src 0
		.amdhsa_exception_fp_ieee_div_zero 0
		.amdhsa_exception_fp_ieee_overflow 0
		.amdhsa_exception_fp_ieee_underflow 0
		.amdhsa_exception_fp_ieee_inexact 0
		.amdhsa_exception_int_div_zero 0
	.end_amdhsa_kernel
	.section	.text._ZN7rocprim17ROCPRIM_400000_NS6detail17trampoline_kernelINS0_14default_configENS1_25partition_config_selectorILNS1_17partition_subalgoE6EtNS0_10empty_typeEbEEZZNS1_14partition_implILS5_6ELb0ES3_mN6thrust23THRUST_200600_302600_NS6detail15normal_iteratorINSA_10device_ptrItEEEEPS6_SG_NS0_5tupleIJNSA_16discard_iteratorINSA_11use_defaultEEES6_EEENSH_IJSG_SG_EEES6_PlJNSB_9not_fun_tI7is_trueItEEEEEE10hipError_tPvRmT3_T4_T5_T6_T7_T9_mT8_P12ihipStream_tbDpT10_ENKUlT_T0_E_clISt17integral_constantIbLb1EES1A_IbLb0EEEEDaS16_S17_EUlS16_E_NS1_11comp_targetILNS1_3genE8ELNS1_11target_archE1030ELNS1_3gpuE2ELNS1_3repE0EEENS1_30default_config_static_selectorELNS0_4arch9wavefront6targetE0EEEvT1_,"axG",@progbits,_ZN7rocprim17ROCPRIM_400000_NS6detail17trampoline_kernelINS0_14default_configENS1_25partition_config_selectorILNS1_17partition_subalgoE6EtNS0_10empty_typeEbEEZZNS1_14partition_implILS5_6ELb0ES3_mN6thrust23THRUST_200600_302600_NS6detail15normal_iteratorINSA_10device_ptrItEEEEPS6_SG_NS0_5tupleIJNSA_16discard_iteratorINSA_11use_defaultEEES6_EEENSH_IJSG_SG_EEES6_PlJNSB_9not_fun_tI7is_trueItEEEEEE10hipError_tPvRmT3_T4_T5_T6_T7_T9_mT8_P12ihipStream_tbDpT10_ENKUlT_T0_E_clISt17integral_constantIbLb1EES1A_IbLb0EEEEDaS16_S17_EUlS16_E_NS1_11comp_targetILNS1_3genE8ELNS1_11target_archE1030ELNS1_3gpuE2ELNS1_3repE0EEENS1_30default_config_static_selectorELNS0_4arch9wavefront6targetE0EEEvT1_,comdat
.Lfunc_end2228:
	.size	_ZN7rocprim17ROCPRIM_400000_NS6detail17trampoline_kernelINS0_14default_configENS1_25partition_config_selectorILNS1_17partition_subalgoE6EtNS0_10empty_typeEbEEZZNS1_14partition_implILS5_6ELb0ES3_mN6thrust23THRUST_200600_302600_NS6detail15normal_iteratorINSA_10device_ptrItEEEEPS6_SG_NS0_5tupleIJNSA_16discard_iteratorINSA_11use_defaultEEES6_EEENSH_IJSG_SG_EEES6_PlJNSB_9not_fun_tI7is_trueItEEEEEE10hipError_tPvRmT3_T4_T5_T6_T7_T9_mT8_P12ihipStream_tbDpT10_ENKUlT_T0_E_clISt17integral_constantIbLb1EES1A_IbLb0EEEEDaS16_S17_EUlS16_E_NS1_11comp_targetILNS1_3genE8ELNS1_11target_archE1030ELNS1_3gpuE2ELNS1_3repE0EEENS1_30default_config_static_selectorELNS0_4arch9wavefront6targetE0EEEvT1_, .Lfunc_end2228-_ZN7rocprim17ROCPRIM_400000_NS6detail17trampoline_kernelINS0_14default_configENS1_25partition_config_selectorILNS1_17partition_subalgoE6EtNS0_10empty_typeEbEEZZNS1_14partition_implILS5_6ELb0ES3_mN6thrust23THRUST_200600_302600_NS6detail15normal_iteratorINSA_10device_ptrItEEEEPS6_SG_NS0_5tupleIJNSA_16discard_iteratorINSA_11use_defaultEEES6_EEENSH_IJSG_SG_EEES6_PlJNSB_9not_fun_tI7is_trueItEEEEEE10hipError_tPvRmT3_T4_T5_T6_T7_T9_mT8_P12ihipStream_tbDpT10_ENKUlT_T0_E_clISt17integral_constantIbLb1EES1A_IbLb0EEEEDaS16_S17_EUlS16_E_NS1_11comp_targetILNS1_3genE8ELNS1_11target_archE1030ELNS1_3gpuE2ELNS1_3repE0EEENS1_30default_config_static_selectorELNS0_4arch9wavefront6targetE0EEEvT1_
                                        ; -- End function
	.set _ZN7rocprim17ROCPRIM_400000_NS6detail17trampoline_kernelINS0_14default_configENS1_25partition_config_selectorILNS1_17partition_subalgoE6EtNS0_10empty_typeEbEEZZNS1_14partition_implILS5_6ELb0ES3_mN6thrust23THRUST_200600_302600_NS6detail15normal_iteratorINSA_10device_ptrItEEEEPS6_SG_NS0_5tupleIJNSA_16discard_iteratorINSA_11use_defaultEEES6_EEENSH_IJSG_SG_EEES6_PlJNSB_9not_fun_tI7is_trueItEEEEEE10hipError_tPvRmT3_T4_T5_T6_T7_T9_mT8_P12ihipStream_tbDpT10_ENKUlT_T0_E_clISt17integral_constantIbLb1EES1A_IbLb0EEEEDaS16_S17_EUlS16_E_NS1_11comp_targetILNS1_3genE8ELNS1_11target_archE1030ELNS1_3gpuE2ELNS1_3repE0EEENS1_30default_config_static_selectorELNS0_4arch9wavefront6targetE0EEEvT1_.num_vgpr, 0
	.set _ZN7rocprim17ROCPRIM_400000_NS6detail17trampoline_kernelINS0_14default_configENS1_25partition_config_selectorILNS1_17partition_subalgoE6EtNS0_10empty_typeEbEEZZNS1_14partition_implILS5_6ELb0ES3_mN6thrust23THRUST_200600_302600_NS6detail15normal_iteratorINSA_10device_ptrItEEEEPS6_SG_NS0_5tupleIJNSA_16discard_iteratorINSA_11use_defaultEEES6_EEENSH_IJSG_SG_EEES6_PlJNSB_9not_fun_tI7is_trueItEEEEEE10hipError_tPvRmT3_T4_T5_T6_T7_T9_mT8_P12ihipStream_tbDpT10_ENKUlT_T0_E_clISt17integral_constantIbLb1EES1A_IbLb0EEEEDaS16_S17_EUlS16_E_NS1_11comp_targetILNS1_3genE8ELNS1_11target_archE1030ELNS1_3gpuE2ELNS1_3repE0EEENS1_30default_config_static_selectorELNS0_4arch9wavefront6targetE0EEEvT1_.num_agpr, 0
	.set _ZN7rocprim17ROCPRIM_400000_NS6detail17trampoline_kernelINS0_14default_configENS1_25partition_config_selectorILNS1_17partition_subalgoE6EtNS0_10empty_typeEbEEZZNS1_14partition_implILS5_6ELb0ES3_mN6thrust23THRUST_200600_302600_NS6detail15normal_iteratorINSA_10device_ptrItEEEEPS6_SG_NS0_5tupleIJNSA_16discard_iteratorINSA_11use_defaultEEES6_EEENSH_IJSG_SG_EEES6_PlJNSB_9not_fun_tI7is_trueItEEEEEE10hipError_tPvRmT3_T4_T5_T6_T7_T9_mT8_P12ihipStream_tbDpT10_ENKUlT_T0_E_clISt17integral_constantIbLb1EES1A_IbLb0EEEEDaS16_S17_EUlS16_E_NS1_11comp_targetILNS1_3genE8ELNS1_11target_archE1030ELNS1_3gpuE2ELNS1_3repE0EEENS1_30default_config_static_selectorELNS0_4arch9wavefront6targetE0EEEvT1_.numbered_sgpr, 0
	.set _ZN7rocprim17ROCPRIM_400000_NS6detail17trampoline_kernelINS0_14default_configENS1_25partition_config_selectorILNS1_17partition_subalgoE6EtNS0_10empty_typeEbEEZZNS1_14partition_implILS5_6ELb0ES3_mN6thrust23THRUST_200600_302600_NS6detail15normal_iteratorINSA_10device_ptrItEEEEPS6_SG_NS0_5tupleIJNSA_16discard_iteratorINSA_11use_defaultEEES6_EEENSH_IJSG_SG_EEES6_PlJNSB_9not_fun_tI7is_trueItEEEEEE10hipError_tPvRmT3_T4_T5_T6_T7_T9_mT8_P12ihipStream_tbDpT10_ENKUlT_T0_E_clISt17integral_constantIbLb1EES1A_IbLb0EEEEDaS16_S17_EUlS16_E_NS1_11comp_targetILNS1_3genE8ELNS1_11target_archE1030ELNS1_3gpuE2ELNS1_3repE0EEENS1_30default_config_static_selectorELNS0_4arch9wavefront6targetE0EEEvT1_.num_named_barrier, 0
	.set _ZN7rocprim17ROCPRIM_400000_NS6detail17trampoline_kernelINS0_14default_configENS1_25partition_config_selectorILNS1_17partition_subalgoE6EtNS0_10empty_typeEbEEZZNS1_14partition_implILS5_6ELb0ES3_mN6thrust23THRUST_200600_302600_NS6detail15normal_iteratorINSA_10device_ptrItEEEEPS6_SG_NS0_5tupleIJNSA_16discard_iteratorINSA_11use_defaultEEES6_EEENSH_IJSG_SG_EEES6_PlJNSB_9not_fun_tI7is_trueItEEEEEE10hipError_tPvRmT3_T4_T5_T6_T7_T9_mT8_P12ihipStream_tbDpT10_ENKUlT_T0_E_clISt17integral_constantIbLb1EES1A_IbLb0EEEEDaS16_S17_EUlS16_E_NS1_11comp_targetILNS1_3genE8ELNS1_11target_archE1030ELNS1_3gpuE2ELNS1_3repE0EEENS1_30default_config_static_selectorELNS0_4arch9wavefront6targetE0EEEvT1_.private_seg_size, 0
	.set _ZN7rocprim17ROCPRIM_400000_NS6detail17trampoline_kernelINS0_14default_configENS1_25partition_config_selectorILNS1_17partition_subalgoE6EtNS0_10empty_typeEbEEZZNS1_14partition_implILS5_6ELb0ES3_mN6thrust23THRUST_200600_302600_NS6detail15normal_iteratorINSA_10device_ptrItEEEEPS6_SG_NS0_5tupleIJNSA_16discard_iteratorINSA_11use_defaultEEES6_EEENSH_IJSG_SG_EEES6_PlJNSB_9not_fun_tI7is_trueItEEEEEE10hipError_tPvRmT3_T4_T5_T6_T7_T9_mT8_P12ihipStream_tbDpT10_ENKUlT_T0_E_clISt17integral_constantIbLb1EES1A_IbLb0EEEEDaS16_S17_EUlS16_E_NS1_11comp_targetILNS1_3genE8ELNS1_11target_archE1030ELNS1_3gpuE2ELNS1_3repE0EEENS1_30default_config_static_selectorELNS0_4arch9wavefront6targetE0EEEvT1_.uses_vcc, 0
	.set _ZN7rocprim17ROCPRIM_400000_NS6detail17trampoline_kernelINS0_14default_configENS1_25partition_config_selectorILNS1_17partition_subalgoE6EtNS0_10empty_typeEbEEZZNS1_14partition_implILS5_6ELb0ES3_mN6thrust23THRUST_200600_302600_NS6detail15normal_iteratorINSA_10device_ptrItEEEEPS6_SG_NS0_5tupleIJNSA_16discard_iteratorINSA_11use_defaultEEES6_EEENSH_IJSG_SG_EEES6_PlJNSB_9not_fun_tI7is_trueItEEEEEE10hipError_tPvRmT3_T4_T5_T6_T7_T9_mT8_P12ihipStream_tbDpT10_ENKUlT_T0_E_clISt17integral_constantIbLb1EES1A_IbLb0EEEEDaS16_S17_EUlS16_E_NS1_11comp_targetILNS1_3genE8ELNS1_11target_archE1030ELNS1_3gpuE2ELNS1_3repE0EEENS1_30default_config_static_selectorELNS0_4arch9wavefront6targetE0EEEvT1_.uses_flat_scratch, 0
	.set _ZN7rocprim17ROCPRIM_400000_NS6detail17trampoline_kernelINS0_14default_configENS1_25partition_config_selectorILNS1_17partition_subalgoE6EtNS0_10empty_typeEbEEZZNS1_14partition_implILS5_6ELb0ES3_mN6thrust23THRUST_200600_302600_NS6detail15normal_iteratorINSA_10device_ptrItEEEEPS6_SG_NS0_5tupleIJNSA_16discard_iteratorINSA_11use_defaultEEES6_EEENSH_IJSG_SG_EEES6_PlJNSB_9not_fun_tI7is_trueItEEEEEE10hipError_tPvRmT3_T4_T5_T6_T7_T9_mT8_P12ihipStream_tbDpT10_ENKUlT_T0_E_clISt17integral_constantIbLb1EES1A_IbLb0EEEEDaS16_S17_EUlS16_E_NS1_11comp_targetILNS1_3genE8ELNS1_11target_archE1030ELNS1_3gpuE2ELNS1_3repE0EEENS1_30default_config_static_selectorELNS0_4arch9wavefront6targetE0EEEvT1_.has_dyn_sized_stack, 0
	.set _ZN7rocprim17ROCPRIM_400000_NS6detail17trampoline_kernelINS0_14default_configENS1_25partition_config_selectorILNS1_17partition_subalgoE6EtNS0_10empty_typeEbEEZZNS1_14partition_implILS5_6ELb0ES3_mN6thrust23THRUST_200600_302600_NS6detail15normal_iteratorINSA_10device_ptrItEEEEPS6_SG_NS0_5tupleIJNSA_16discard_iteratorINSA_11use_defaultEEES6_EEENSH_IJSG_SG_EEES6_PlJNSB_9not_fun_tI7is_trueItEEEEEE10hipError_tPvRmT3_T4_T5_T6_T7_T9_mT8_P12ihipStream_tbDpT10_ENKUlT_T0_E_clISt17integral_constantIbLb1EES1A_IbLb0EEEEDaS16_S17_EUlS16_E_NS1_11comp_targetILNS1_3genE8ELNS1_11target_archE1030ELNS1_3gpuE2ELNS1_3repE0EEENS1_30default_config_static_selectorELNS0_4arch9wavefront6targetE0EEEvT1_.has_recursion, 0
	.set _ZN7rocprim17ROCPRIM_400000_NS6detail17trampoline_kernelINS0_14default_configENS1_25partition_config_selectorILNS1_17partition_subalgoE6EtNS0_10empty_typeEbEEZZNS1_14partition_implILS5_6ELb0ES3_mN6thrust23THRUST_200600_302600_NS6detail15normal_iteratorINSA_10device_ptrItEEEEPS6_SG_NS0_5tupleIJNSA_16discard_iteratorINSA_11use_defaultEEES6_EEENSH_IJSG_SG_EEES6_PlJNSB_9not_fun_tI7is_trueItEEEEEE10hipError_tPvRmT3_T4_T5_T6_T7_T9_mT8_P12ihipStream_tbDpT10_ENKUlT_T0_E_clISt17integral_constantIbLb1EES1A_IbLb0EEEEDaS16_S17_EUlS16_E_NS1_11comp_targetILNS1_3genE8ELNS1_11target_archE1030ELNS1_3gpuE2ELNS1_3repE0EEENS1_30default_config_static_selectorELNS0_4arch9wavefront6targetE0EEEvT1_.has_indirect_call, 0
	.section	.AMDGPU.csdata,"",@progbits
; Kernel info:
; codeLenInByte = 0
; TotalNumSgprs: 0
; NumVgprs: 0
; ScratchSize: 0
; MemoryBound: 0
; FloatMode: 240
; IeeeMode: 1
; LDSByteSize: 0 bytes/workgroup (compile time only)
; SGPRBlocks: 0
; VGPRBlocks: 0
; NumSGPRsForWavesPerEU: 1
; NumVGPRsForWavesPerEU: 1
; Occupancy: 16
; WaveLimiterHint : 0
; COMPUTE_PGM_RSRC2:SCRATCH_EN: 0
; COMPUTE_PGM_RSRC2:USER_SGPR: 2
; COMPUTE_PGM_RSRC2:TRAP_HANDLER: 0
; COMPUTE_PGM_RSRC2:TGID_X_EN: 1
; COMPUTE_PGM_RSRC2:TGID_Y_EN: 0
; COMPUTE_PGM_RSRC2:TGID_Z_EN: 0
; COMPUTE_PGM_RSRC2:TIDIG_COMP_CNT: 0
	.section	.text._ZN7rocprim17ROCPRIM_400000_NS6detail17trampoline_kernelINS0_14default_configENS1_25partition_config_selectorILNS1_17partition_subalgoE6EtNS0_10empty_typeEbEEZZNS1_14partition_implILS5_6ELb0ES3_mN6thrust23THRUST_200600_302600_NS6detail15normal_iteratorINSA_10device_ptrItEEEEPS6_SG_NS0_5tupleIJNSA_16discard_iteratorINSA_11use_defaultEEES6_EEENSH_IJSG_SG_EEES6_PlJNSB_9not_fun_tI7is_trueItEEEEEE10hipError_tPvRmT3_T4_T5_T6_T7_T9_mT8_P12ihipStream_tbDpT10_ENKUlT_T0_E_clISt17integral_constantIbLb0EES1A_IbLb1EEEEDaS16_S17_EUlS16_E_NS1_11comp_targetILNS1_3genE0ELNS1_11target_archE4294967295ELNS1_3gpuE0ELNS1_3repE0EEENS1_30default_config_static_selectorELNS0_4arch9wavefront6targetE0EEEvT1_,"axG",@progbits,_ZN7rocprim17ROCPRIM_400000_NS6detail17trampoline_kernelINS0_14default_configENS1_25partition_config_selectorILNS1_17partition_subalgoE6EtNS0_10empty_typeEbEEZZNS1_14partition_implILS5_6ELb0ES3_mN6thrust23THRUST_200600_302600_NS6detail15normal_iteratorINSA_10device_ptrItEEEEPS6_SG_NS0_5tupleIJNSA_16discard_iteratorINSA_11use_defaultEEES6_EEENSH_IJSG_SG_EEES6_PlJNSB_9not_fun_tI7is_trueItEEEEEE10hipError_tPvRmT3_T4_T5_T6_T7_T9_mT8_P12ihipStream_tbDpT10_ENKUlT_T0_E_clISt17integral_constantIbLb0EES1A_IbLb1EEEEDaS16_S17_EUlS16_E_NS1_11comp_targetILNS1_3genE0ELNS1_11target_archE4294967295ELNS1_3gpuE0ELNS1_3repE0EEENS1_30default_config_static_selectorELNS0_4arch9wavefront6targetE0EEEvT1_,comdat
	.protected	_ZN7rocprim17ROCPRIM_400000_NS6detail17trampoline_kernelINS0_14default_configENS1_25partition_config_selectorILNS1_17partition_subalgoE6EtNS0_10empty_typeEbEEZZNS1_14partition_implILS5_6ELb0ES3_mN6thrust23THRUST_200600_302600_NS6detail15normal_iteratorINSA_10device_ptrItEEEEPS6_SG_NS0_5tupleIJNSA_16discard_iteratorINSA_11use_defaultEEES6_EEENSH_IJSG_SG_EEES6_PlJNSB_9not_fun_tI7is_trueItEEEEEE10hipError_tPvRmT3_T4_T5_T6_T7_T9_mT8_P12ihipStream_tbDpT10_ENKUlT_T0_E_clISt17integral_constantIbLb0EES1A_IbLb1EEEEDaS16_S17_EUlS16_E_NS1_11comp_targetILNS1_3genE0ELNS1_11target_archE4294967295ELNS1_3gpuE0ELNS1_3repE0EEENS1_30default_config_static_selectorELNS0_4arch9wavefront6targetE0EEEvT1_ ; -- Begin function _ZN7rocprim17ROCPRIM_400000_NS6detail17trampoline_kernelINS0_14default_configENS1_25partition_config_selectorILNS1_17partition_subalgoE6EtNS0_10empty_typeEbEEZZNS1_14partition_implILS5_6ELb0ES3_mN6thrust23THRUST_200600_302600_NS6detail15normal_iteratorINSA_10device_ptrItEEEEPS6_SG_NS0_5tupleIJNSA_16discard_iteratorINSA_11use_defaultEEES6_EEENSH_IJSG_SG_EEES6_PlJNSB_9not_fun_tI7is_trueItEEEEEE10hipError_tPvRmT3_T4_T5_T6_T7_T9_mT8_P12ihipStream_tbDpT10_ENKUlT_T0_E_clISt17integral_constantIbLb0EES1A_IbLb1EEEEDaS16_S17_EUlS16_E_NS1_11comp_targetILNS1_3genE0ELNS1_11target_archE4294967295ELNS1_3gpuE0ELNS1_3repE0EEENS1_30default_config_static_selectorELNS0_4arch9wavefront6targetE0EEEvT1_
	.globl	_ZN7rocprim17ROCPRIM_400000_NS6detail17trampoline_kernelINS0_14default_configENS1_25partition_config_selectorILNS1_17partition_subalgoE6EtNS0_10empty_typeEbEEZZNS1_14partition_implILS5_6ELb0ES3_mN6thrust23THRUST_200600_302600_NS6detail15normal_iteratorINSA_10device_ptrItEEEEPS6_SG_NS0_5tupleIJNSA_16discard_iteratorINSA_11use_defaultEEES6_EEENSH_IJSG_SG_EEES6_PlJNSB_9not_fun_tI7is_trueItEEEEEE10hipError_tPvRmT3_T4_T5_T6_T7_T9_mT8_P12ihipStream_tbDpT10_ENKUlT_T0_E_clISt17integral_constantIbLb0EES1A_IbLb1EEEEDaS16_S17_EUlS16_E_NS1_11comp_targetILNS1_3genE0ELNS1_11target_archE4294967295ELNS1_3gpuE0ELNS1_3repE0EEENS1_30default_config_static_selectorELNS0_4arch9wavefront6targetE0EEEvT1_
	.p2align	8
	.type	_ZN7rocprim17ROCPRIM_400000_NS6detail17trampoline_kernelINS0_14default_configENS1_25partition_config_selectorILNS1_17partition_subalgoE6EtNS0_10empty_typeEbEEZZNS1_14partition_implILS5_6ELb0ES3_mN6thrust23THRUST_200600_302600_NS6detail15normal_iteratorINSA_10device_ptrItEEEEPS6_SG_NS0_5tupleIJNSA_16discard_iteratorINSA_11use_defaultEEES6_EEENSH_IJSG_SG_EEES6_PlJNSB_9not_fun_tI7is_trueItEEEEEE10hipError_tPvRmT3_T4_T5_T6_T7_T9_mT8_P12ihipStream_tbDpT10_ENKUlT_T0_E_clISt17integral_constantIbLb0EES1A_IbLb1EEEEDaS16_S17_EUlS16_E_NS1_11comp_targetILNS1_3genE0ELNS1_11target_archE4294967295ELNS1_3gpuE0ELNS1_3repE0EEENS1_30default_config_static_selectorELNS0_4arch9wavefront6targetE0EEEvT1_,@function
_ZN7rocprim17ROCPRIM_400000_NS6detail17trampoline_kernelINS0_14default_configENS1_25partition_config_selectorILNS1_17partition_subalgoE6EtNS0_10empty_typeEbEEZZNS1_14partition_implILS5_6ELb0ES3_mN6thrust23THRUST_200600_302600_NS6detail15normal_iteratorINSA_10device_ptrItEEEEPS6_SG_NS0_5tupleIJNSA_16discard_iteratorINSA_11use_defaultEEES6_EEENSH_IJSG_SG_EEES6_PlJNSB_9not_fun_tI7is_trueItEEEEEE10hipError_tPvRmT3_T4_T5_T6_T7_T9_mT8_P12ihipStream_tbDpT10_ENKUlT_T0_E_clISt17integral_constantIbLb0EES1A_IbLb1EEEEDaS16_S17_EUlS16_E_NS1_11comp_targetILNS1_3genE0ELNS1_11target_archE4294967295ELNS1_3gpuE0ELNS1_3repE0EEENS1_30default_config_static_selectorELNS0_4arch9wavefront6targetE0EEEvT1_: ; @_ZN7rocprim17ROCPRIM_400000_NS6detail17trampoline_kernelINS0_14default_configENS1_25partition_config_selectorILNS1_17partition_subalgoE6EtNS0_10empty_typeEbEEZZNS1_14partition_implILS5_6ELb0ES3_mN6thrust23THRUST_200600_302600_NS6detail15normal_iteratorINSA_10device_ptrItEEEEPS6_SG_NS0_5tupleIJNSA_16discard_iteratorINSA_11use_defaultEEES6_EEENSH_IJSG_SG_EEES6_PlJNSB_9not_fun_tI7is_trueItEEEEEE10hipError_tPvRmT3_T4_T5_T6_T7_T9_mT8_P12ihipStream_tbDpT10_ENKUlT_T0_E_clISt17integral_constantIbLb0EES1A_IbLb1EEEEDaS16_S17_EUlS16_E_NS1_11comp_targetILNS1_3genE0ELNS1_11target_archE4294967295ELNS1_3gpuE0ELNS1_3repE0EEENS1_30default_config_static_selectorELNS0_4arch9wavefront6targetE0EEEvT1_
; %bb.0:
	.section	.rodata,"a",@progbits
	.p2align	6, 0x0
	.amdhsa_kernel _ZN7rocprim17ROCPRIM_400000_NS6detail17trampoline_kernelINS0_14default_configENS1_25partition_config_selectorILNS1_17partition_subalgoE6EtNS0_10empty_typeEbEEZZNS1_14partition_implILS5_6ELb0ES3_mN6thrust23THRUST_200600_302600_NS6detail15normal_iteratorINSA_10device_ptrItEEEEPS6_SG_NS0_5tupleIJNSA_16discard_iteratorINSA_11use_defaultEEES6_EEENSH_IJSG_SG_EEES6_PlJNSB_9not_fun_tI7is_trueItEEEEEE10hipError_tPvRmT3_T4_T5_T6_T7_T9_mT8_P12ihipStream_tbDpT10_ENKUlT_T0_E_clISt17integral_constantIbLb0EES1A_IbLb1EEEEDaS16_S17_EUlS16_E_NS1_11comp_targetILNS1_3genE0ELNS1_11target_archE4294967295ELNS1_3gpuE0ELNS1_3repE0EEENS1_30default_config_static_selectorELNS0_4arch9wavefront6targetE0EEEvT1_
		.amdhsa_group_segment_fixed_size 0
		.amdhsa_private_segment_fixed_size 0
		.amdhsa_kernarg_size 136
		.amdhsa_user_sgpr_count 2
		.amdhsa_user_sgpr_dispatch_ptr 0
		.amdhsa_user_sgpr_queue_ptr 0
		.amdhsa_user_sgpr_kernarg_segment_ptr 1
		.amdhsa_user_sgpr_dispatch_id 0
		.amdhsa_user_sgpr_private_segment_size 0
		.amdhsa_wavefront_size32 1
		.amdhsa_uses_dynamic_stack 0
		.amdhsa_enable_private_segment 0
		.amdhsa_system_sgpr_workgroup_id_x 1
		.amdhsa_system_sgpr_workgroup_id_y 0
		.amdhsa_system_sgpr_workgroup_id_z 0
		.amdhsa_system_sgpr_workgroup_info 0
		.amdhsa_system_vgpr_workitem_id 0
		.amdhsa_next_free_vgpr 1
		.amdhsa_next_free_sgpr 1
		.amdhsa_reserve_vcc 0
		.amdhsa_float_round_mode_32 0
		.amdhsa_float_round_mode_16_64 0
		.amdhsa_float_denorm_mode_32 3
		.amdhsa_float_denorm_mode_16_64 3
		.amdhsa_fp16_overflow 0
		.amdhsa_workgroup_processor_mode 1
		.amdhsa_memory_ordered 1
		.amdhsa_forward_progress 1
		.amdhsa_inst_pref_size 0
		.amdhsa_round_robin_scheduling 0
		.amdhsa_exception_fp_ieee_invalid_op 0
		.amdhsa_exception_fp_denorm_src 0
		.amdhsa_exception_fp_ieee_div_zero 0
		.amdhsa_exception_fp_ieee_overflow 0
		.amdhsa_exception_fp_ieee_underflow 0
		.amdhsa_exception_fp_ieee_inexact 0
		.amdhsa_exception_int_div_zero 0
	.end_amdhsa_kernel
	.section	.text._ZN7rocprim17ROCPRIM_400000_NS6detail17trampoline_kernelINS0_14default_configENS1_25partition_config_selectorILNS1_17partition_subalgoE6EtNS0_10empty_typeEbEEZZNS1_14partition_implILS5_6ELb0ES3_mN6thrust23THRUST_200600_302600_NS6detail15normal_iteratorINSA_10device_ptrItEEEEPS6_SG_NS0_5tupleIJNSA_16discard_iteratorINSA_11use_defaultEEES6_EEENSH_IJSG_SG_EEES6_PlJNSB_9not_fun_tI7is_trueItEEEEEE10hipError_tPvRmT3_T4_T5_T6_T7_T9_mT8_P12ihipStream_tbDpT10_ENKUlT_T0_E_clISt17integral_constantIbLb0EES1A_IbLb1EEEEDaS16_S17_EUlS16_E_NS1_11comp_targetILNS1_3genE0ELNS1_11target_archE4294967295ELNS1_3gpuE0ELNS1_3repE0EEENS1_30default_config_static_selectorELNS0_4arch9wavefront6targetE0EEEvT1_,"axG",@progbits,_ZN7rocprim17ROCPRIM_400000_NS6detail17trampoline_kernelINS0_14default_configENS1_25partition_config_selectorILNS1_17partition_subalgoE6EtNS0_10empty_typeEbEEZZNS1_14partition_implILS5_6ELb0ES3_mN6thrust23THRUST_200600_302600_NS6detail15normal_iteratorINSA_10device_ptrItEEEEPS6_SG_NS0_5tupleIJNSA_16discard_iteratorINSA_11use_defaultEEES6_EEENSH_IJSG_SG_EEES6_PlJNSB_9not_fun_tI7is_trueItEEEEEE10hipError_tPvRmT3_T4_T5_T6_T7_T9_mT8_P12ihipStream_tbDpT10_ENKUlT_T0_E_clISt17integral_constantIbLb0EES1A_IbLb1EEEEDaS16_S17_EUlS16_E_NS1_11comp_targetILNS1_3genE0ELNS1_11target_archE4294967295ELNS1_3gpuE0ELNS1_3repE0EEENS1_30default_config_static_selectorELNS0_4arch9wavefront6targetE0EEEvT1_,comdat
.Lfunc_end2229:
	.size	_ZN7rocprim17ROCPRIM_400000_NS6detail17trampoline_kernelINS0_14default_configENS1_25partition_config_selectorILNS1_17partition_subalgoE6EtNS0_10empty_typeEbEEZZNS1_14partition_implILS5_6ELb0ES3_mN6thrust23THRUST_200600_302600_NS6detail15normal_iteratorINSA_10device_ptrItEEEEPS6_SG_NS0_5tupleIJNSA_16discard_iteratorINSA_11use_defaultEEES6_EEENSH_IJSG_SG_EEES6_PlJNSB_9not_fun_tI7is_trueItEEEEEE10hipError_tPvRmT3_T4_T5_T6_T7_T9_mT8_P12ihipStream_tbDpT10_ENKUlT_T0_E_clISt17integral_constantIbLb0EES1A_IbLb1EEEEDaS16_S17_EUlS16_E_NS1_11comp_targetILNS1_3genE0ELNS1_11target_archE4294967295ELNS1_3gpuE0ELNS1_3repE0EEENS1_30default_config_static_selectorELNS0_4arch9wavefront6targetE0EEEvT1_, .Lfunc_end2229-_ZN7rocprim17ROCPRIM_400000_NS6detail17trampoline_kernelINS0_14default_configENS1_25partition_config_selectorILNS1_17partition_subalgoE6EtNS0_10empty_typeEbEEZZNS1_14partition_implILS5_6ELb0ES3_mN6thrust23THRUST_200600_302600_NS6detail15normal_iteratorINSA_10device_ptrItEEEEPS6_SG_NS0_5tupleIJNSA_16discard_iteratorINSA_11use_defaultEEES6_EEENSH_IJSG_SG_EEES6_PlJNSB_9not_fun_tI7is_trueItEEEEEE10hipError_tPvRmT3_T4_T5_T6_T7_T9_mT8_P12ihipStream_tbDpT10_ENKUlT_T0_E_clISt17integral_constantIbLb0EES1A_IbLb1EEEEDaS16_S17_EUlS16_E_NS1_11comp_targetILNS1_3genE0ELNS1_11target_archE4294967295ELNS1_3gpuE0ELNS1_3repE0EEENS1_30default_config_static_selectorELNS0_4arch9wavefront6targetE0EEEvT1_
                                        ; -- End function
	.set _ZN7rocprim17ROCPRIM_400000_NS6detail17trampoline_kernelINS0_14default_configENS1_25partition_config_selectorILNS1_17partition_subalgoE6EtNS0_10empty_typeEbEEZZNS1_14partition_implILS5_6ELb0ES3_mN6thrust23THRUST_200600_302600_NS6detail15normal_iteratorINSA_10device_ptrItEEEEPS6_SG_NS0_5tupleIJNSA_16discard_iteratorINSA_11use_defaultEEES6_EEENSH_IJSG_SG_EEES6_PlJNSB_9not_fun_tI7is_trueItEEEEEE10hipError_tPvRmT3_T4_T5_T6_T7_T9_mT8_P12ihipStream_tbDpT10_ENKUlT_T0_E_clISt17integral_constantIbLb0EES1A_IbLb1EEEEDaS16_S17_EUlS16_E_NS1_11comp_targetILNS1_3genE0ELNS1_11target_archE4294967295ELNS1_3gpuE0ELNS1_3repE0EEENS1_30default_config_static_selectorELNS0_4arch9wavefront6targetE0EEEvT1_.num_vgpr, 0
	.set _ZN7rocprim17ROCPRIM_400000_NS6detail17trampoline_kernelINS0_14default_configENS1_25partition_config_selectorILNS1_17partition_subalgoE6EtNS0_10empty_typeEbEEZZNS1_14partition_implILS5_6ELb0ES3_mN6thrust23THRUST_200600_302600_NS6detail15normal_iteratorINSA_10device_ptrItEEEEPS6_SG_NS0_5tupleIJNSA_16discard_iteratorINSA_11use_defaultEEES6_EEENSH_IJSG_SG_EEES6_PlJNSB_9not_fun_tI7is_trueItEEEEEE10hipError_tPvRmT3_T4_T5_T6_T7_T9_mT8_P12ihipStream_tbDpT10_ENKUlT_T0_E_clISt17integral_constantIbLb0EES1A_IbLb1EEEEDaS16_S17_EUlS16_E_NS1_11comp_targetILNS1_3genE0ELNS1_11target_archE4294967295ELNS1_3gpuE0ELNS1_3repE0EEENS1_30default_config_static_selectorELNS0_4arch9wavefront6targetE0EEEvT1_.num_agpr, 0
	.set _ZN7rocprim17ROCPRIM_400000_NS6detail17trampoline_kernelINS0_14default_configENS1_25partition_config_selectorILNS1_17partition_subalgoE6EtNS0_10empty_typeEbEEZZNS1_14partition_implILS5_6ELb0ES3_mN6thrust23THRUST_200600_302600_NS6detail15normal_iteratorINSA_10device_ptrItEEEEPS6_SG_NS0_5tupleIJNSA_16discard_iteratorINSA_11use_defaultEEES6_EEENSH_IJSG_SG_EEES6_PlJNSB_9not_fun_tI7is_trueItEEEEEE10hipError_tPvRmT3_T4_T5_T6_T7_T9_mT8_P12ihipStream_tbDpT10_ENKUlT_T0_E_clISt17integral_constantIbLb0EES1A_IbLb1EEEEDaS16_S17_EUlS16_E_NS1_11comp_targetILNS1_3genE0ELNS1_11target_archE4294967295ELNS1_3gpuE0ELNS1_3repE0EEENS1_30default_config_static_selectorELNS0_4arch9wavefront6targetE0EEEvT1_.numbered_sgpr, 0
	.set _ZN7rocprim17ROCPRIM_400000_NS6detail17trampoline_kernelINS0_14default_configENS1_25partition_config_selectorILNS1_17partition_subalgoE6EtNS0_10empty_typeEbEEZZNS1_14partition_implILS5_6ELb0ES3_mN6thrust23THRUST_200600_302600_NS6detail15normal_iteratorINSA_10device_ptrItEEEEPS6_SG_NS0_5tupleIJNSA_16discard_iteratorINSA_11use_defaultEEES6_EEENSH_IJSG_SG_EEES6_PlJNSB_9not_fun_tI7is_trueItEEEEEE10hipError_tPvRmT3_T4_T5_T6_T7_T9_mT8_P12ihipStream_tbDpT10_ENKUlT_T0_E_clISt17integral_constantIbLb0EES1A_IbLb1EEEEDaS16_S17_EUlS16_E_NS1_11comp_targetILNS1_3genE0ELNS1_11target_archE4294967295ELNS1_3gpuE0ELNS1_3repE0EEENS1_30default_config_static_selectorELNS0_4arch9wavefront6targetE0EEEvT1_.num_named_barrier, 0
	.set _ZN7rocprim17ROCPRIM_400000_NS6detail17trampoline_kernelINS0_14default_configENS1_25partition_config_selectorILNS1_17partition_subalgoE6EtNS0_10empty_typeEbEEZZNS1_14partition_implILS5_6ELb0ES3_mN6thrust23THRUST_200600_302600_NS6detail15normal_iteratorINSA_10device_ptrItEEEEPS6_SG_NS0_5tupleIJNSA_16discard_iteratorINSA_11use_defaultEEES6_EEENSH_IJSG_SG_EEES6_PlJNSB_9not_fun_tI7is_trueItEEEEEE10hipError_tPvRmT3_T4_T5_T6_T7_T9_mT8_P12ihipStream_tbDpT10_ENKUlT_T0_E_clISt17integral_constantIbLb0EES1A_IbLb1EEEEDaS16_S17_EUlS16_E_NS1_11comp_targetILNS1_3genE0ELNS1_11target_archE4294967295ELNS1_3gpuE0ELNS1_3repE0EEENS1_30default_config_static_selectorELNS0_4arch9wavefront6targetE0EEEvT1_.private_seg_size, 0
	.set _ZN7rocprim17ROCPRIM_400000_NS6detail17trampoline_kernelINS0_14default_configENS1_25partition_config_selectorILNS1_17partition_subalgoE6EtNS0_10empty_typeEbEEZZNS1_14partition_implILS5_6ELb0ES3_mN6thrust23THRUST_200600_302600_NS6detail15normal_iteratorINSA_10device_ptrItEEEEPS6_SG_NS0_5tupleIJNSA_16discard_iteratorINSA_11use_defaultEEES6_EEENSH_IJSG_SG_EEES6_PlJNSB_9not_fun_tI7is_trueItEEEEEE10hipError_tPvRmT3_T4_T5_T6_T7_T9_mT8_P12ihipStream_tbDpT10_ENKUlT_T0_E_clISt17integral_constantIbLb0EES1A_IbLb1EEEEDaS16_S17_EUlS16_E_NS1_11comp_targetILNS1_3genE0ELNS1_11target_archE4294967295ELNS1_3gpuE0ELNS1_3repE0EEENS1_30default_config_static_selectorELNS0_4arch9wavefront6targetE0EEEvT1_.uses_vcc, 0
	.set _ZN7rocprim17ROCPRIM_400000_NS6detail17trampoline_kernelINS0_14default_configENS1_25partition_config_selectorILNS1_17partition_subalgoE6EtNS0_10empty_typeEbEEZZNS1_14partition_implILS5_6ELb0ES3_mN6thrust23THRUST_200600_302600_NS6detail15normal_iteratorINSA_10device_ptrItEEEEPS6_SG_NS0_5tupleIJNSA_16discard_iteratorINSA_11use_defaultEEES6_EEENSH_IJSG_SG_EEES6_PlJNSB_9not_fun_tI7is_trueItEEEEEE10hipError_tPvRmT3_T4_T5_T6_T7_T9_mT8_P12ihipStream_tbDpT10_ENKUlT_T0_E_clISt17integral_constantIbLb0EES1A_IbLb1EEEEDaS16_S17_EUlS16_E_NS1_11comp_targetILNS1_3genE0ELNS1_11target_archE4294967295ELNS1_3gpuE0ELNS1_3repE0EEENS1_30default_config_static_selectorELNS0_4arch9wavefront6targetE0EEEvT1_.uses_flat_scratch, 0
	.set _ZN7rocprim17ROCPRIM_400000_NS6detail17trampoline_kernelINS0_14default_configENS1_25partition_config_selectorILNS1_17partition_subalgoE6EtNS0_10empty_typeEbEEZZNS1_14partition_implILS5_6ELb0ES3_mN6thrust23THRUST_200600_302600_NS6detail15normal_iteratorINSA_10device_ptrItEEEEPS6_SG_NS0_5tupleIJNSA_16discard_iteratorINSA_11use_defaultEEES6_EEENSH_IJSG_SG_EEES6_PlJNSB_9not_fun_tI7is_trueItEEEEEE10hipError_tPvRmT3_T4_T5_T6_T7_T9_mT8_P12ihipStream_tbDpT10_ENKUlT_T0_E_clISt17integral_constantIbLb0EES1A_IbLb1EEEEDaS16_S17_EUlS16_E_NS1_11comp_targetILNS1_3genE0ELNS1_11target_archE4294967295ELNS1_3gpuE0ELNS1_3repE0EEENS1_30default_config_static_selectorELNS0_4arch9wavefront6targetE0EEEvT1_.has_dyn_sized_stack, 0
	.set _ZN7rocprim17ROCPRIM_400000_NS6detail17trampoline_kernelINS0_14default_configENS1_25partition_config_selectorILNS1_17partition_subalgoE6EtNS0_10empty_typeEbEEZZNS1_14partition_implILS5_6ELb0ES3_mN6thrust23THRUST_200600_302600_NS6detail15normal_iteratorINSA_10device_ptrItEEEEPS6_SG_NS0_5tupleIJNSA_16discard_iteratorINSA_11use_defaultEEES6_EEENSH_IJSG_SG_EEES6_PlJNSB_9not_fun_tI7is_trueItEEEEEE10hipError_tPvRmT3_T4_T5_T6_T7_T9_mT8_P12ihipStream_tbDpT10_ENKUlT_T0_E_clISt17integral_constantIbLb0EES1A_IbLb1EEEEDaS16_S17_EUlS16_E_NS1_11comp_targetILNS1_3genE0ELNS1_11target_archE4294967295ELNS1_3gpuE0ELNS1_3repE0EEENS1_30default_config_static_selectorELNS0_4arch9wavefront6targetE0EEEvT1_.has_recursion, 0
	.set _ZN7rocprim17ROCPRIM_400000_NS6detail17trampoline_kernelINS0_14default_configENS1_25partition_config_selectorILNS1_17partition_subalgoE6EtNS0_10empty_typeEbEEZZNS1_14partition_implILS5_6ELb0ES3_mN6thrust23THRUST_200600_302600_NS6detail15normal_iteratorINSA_10device_ptrItEEEEPS6_SG_NS0_5tupleIJNSA_16discard_iteratorINSA_11use_defaultEEES6_EEENSH_IJSG_SG_EEES6_PlJNSB_9not_fun_tI7is_trueItEEEEEE10hipError_tPvRmT3_T4_T5_T6_T7_T9_mT8_P12ihipStream_tbDpT10_ENKUlT_T0_E_clISt17integral_constantIbLb0EES1A_IbLb1EEEEDaS16_S17_EUlS16_E_NS1_11comp_targetILNS1_3genE0ELNS1_11target_archE4294967295ELNS1_3gpuE0ELNS1_3repE0EEENS1_30default_config_static_selectorELNS0_4arch9wavefront6targetE0EEEvT1_.has_indirect_call, 0
	.section	.AMDGPU.csdata,"",@progbits
; Kernel info:
; codeLenInByte = 0
; TotalNumSgprs: 0
; NumVgprs: 0
; ScratchSize: 0
; MemoryBound: 0
; FloatMode: 240
; IeeeMode: 1
; LDSByteSize: 0 bytes/workgroup (compile time only)
; SGPRBlocks: 0
; VGPRBlocks: 0
; NumSGPRsForWavesPerEU: 1
; NumVGPRsForWavesPerEU: 1
; Occupancy: 16
; WaveLimiterHint : 0
; COMPUTE_PGM_RSRC2:SCRATCH_EN: 0
; COMPUTE_PGM_RSRC2:USER_SGPR: 2
; COMPUTE_PGM_RSRC2:TRAP_HANDLER: 0
; COMPUTE_PGM_RSRC2:TGID_X_EN: 1
; COMPUTE_PGM_RSRC2:TGID_Y_EN: 0
; COMPUTE_PGM_RSRC2:TGID_Z_EN: 0
; COMPUTE_PGM_RSRC2:TIDIG_COMP_CNT: 0
	.section	.text._ZN7rocprim17ROCPRIM_400000_NS6detail17trampoline_kernelINS0_14default_configENS1_25partition_config_selectorILNS1_17partition_subalgoE6EtNS0_10empty_typeEbEEZZNS1_14partition_implILS5_6ELb0ES3_mN6thrust23THRUST_200600_302600_NS6detail15normal_iteratorINSA_10device_ptrItEEEEPS6_SG_NS0_5tupleIJNSA_16discard_iteratorINSA_11use_defaultEEES6_EEENSH_IJSG_SG_EEES6_PlJNSB_9not_fun_tI7is_trueItEEEEEE10hipError_tPvRmT3_T4_T5_T6_T7_T9_mT8_P12ihipStream_tbDpT10_ENKUlT_T0_E_clISt17integral_constantIbLb0EES1A_IbLb1EEEEDaS16_S17_EUlS16_E_NS1_11comp_targetILNS1_3genE5ELNS1_11target_archE942ELNS1_3gpuE9ELNS1_3repE0EEENS1_30default_config_static_selectorELNS0_4arch9wavefront6targetE0EEEvT1_,"axG",@progbits,_ZN7rocprim17ROCPRIM_400000_NS6detail17trampoline_kernelINS0_14default_configENS1_25partition_config_selectorILNS1_17partition_subalgoE6EtNS0_10empty_typeEbEEZZNS1_14partition_implILS5_6ELb0ES3_mN6thrust23THRUST_200600_302600_NS6detail15normal_iteratorINSA_10device_ptrItEEEEPS6_SG_NS0_5tupleIJNSA_16discard_iteratorINSA_11use_defaultEEES6_EEENSH_IJSG_SG_EEES6_PlJNSB_9not_fun_tI7is_trueItEEEEEE10hipError_tPvRmT3_T4_T5_T6_T7_T9_mT8_P12ihipStream_tbDpT10_ENKUlT_T0_E_clISt17integral_constantIbLb0EES1A_IbLb1EEEEDaS16_S17_EUlS16_E_NS1_11comp_targetILNS1_3genE5ELNS1_11target_archE942ELNS1_3gpuE9ELNS1_3repE0EEENS1_30default_config_static_selectorELNS0_4arch9wavefront6targetE0EEEvT1_,comdat
	.protected	_ZN7rocprim17ROCPRIM_400000_NS6detail17trampoline_kernelINS0_14default_configENS1_25partition_config_selectorILNS1_17partition_subalgoE6EtNS0_10empty_typeEbEEZZNS1_14partition_implILS5_6ELb0ES3_mN6thrust23THRUST_200600_302600_NS6detail15normal_iteratorINSA_10device_ptrItEEEEPS6_SG_NS0_5tupleIJNSA_16discard_iteratorINSA_11use_defaultEEES6_EEENSH_IJSG_SG_EEES6_PlJNSB_9not_fun_tI7is_trueItEEEEEE10hipError_tPvRmT3_T4_T5_T6_T7_T9_mT8_P12ihipStream_tbDpT10_ENKUlT_T0_E_clISt17integral_constantIbLb0EES1A_IbLb1EEEEDaS16_S17_EUlS16_E_NS1_11comp_targetILNS1_3genE5ELNS1_11target_archE942ELNS1_3gpuE9ELNS1_3repE0EEENS1_30default_config_static_selectorELNS0_4arch9wavefront6targetE0EEEvT1_ ; -- Begin function _ZN7rocprim17ROCPRIM_400000_NS6detail17trampoline_kernelINS0_14default_configENS1_25partition_config_selectorILNS1_17partition_subalgoE6EtNS0_10empty_typeEbEEZZNS1_14partition_implILS5_6ELb0ES3_mN6thrust23THRUST_200600_302600_NS6detail15normal_iteratorINSA_10device_ptrItEEEEPS6_SG_NS0_5tupleIJNSA_16discard_iteratorINSA_11use_defaultEEES6_EEENSH_IJSG_SG_EEES6_PlJNSB_9not_fun_tI7is_trueItEEEEEE10hipError_tPvRmT3_T4_T5_T6_T7_T9_mT8_P12ihipStream_tbDpT10_ENKUlT_T0_E_clISt17integral_constantIbLb0EES1A_IbLb1EEEEDaS16_S17_EUlS16_E_NS1_11comp_targetILNS1_3genE5ELNS1_11target_archE942ELNS1_3gpuE9ELNS1_3repE0EEENS1_30default_config_static_selectorELNS0_4arch9wavefront6targetE0EEEvT1_
	.globl	_ZN7rocprim17ROCPRIM_400000_NS6detail17trampoline_kernelINS0_14default_configENS1_25partition_config_selectorILNS1_17partition_subalgoE6EtNS0_10empty_typeEbEEZZNS1_14partition_implILS5_6ELb0ES3_mN6thrust23THRUST_200600_302600_NS6detail15normal_iteratorINSA_10device_ptrItEEEEPS6_SG_NS0_5tupleIJNSA_16discard_iteratorINSA_11use_defaultEEES6_EEENSH_IJSG_SG_EEES6_PlJNSB_9not_fun_tI7is_trueItEEEEEE10hipError_tPvRmT3_T4_T5_T6_T7_T9_mT8_P12ihipStream_tbDpT10_ENKUlT_T0_E_clISt17integral_constantIbLb0EES1A_IbLb1EEEEDaS16_S17_EUlS16_E_NS1_11comp_targetILNS1_3genE5ELNS1_11target_archE942ELNS1_3gpuE9ELNS1_3repE0EEENS1_30default_config_static_selectorELNS0_4arch9wavefront6targetE0EEEvT1_
	.p2align	8
	.type	_ZN7rocprim17ROCPRIM_400000_NS6detail17trampoline_kernelINS0_14default_configENS1_25partition_config_selectorILNS1_17partition_subalgoE6EtNS0_10empty_typeEbEEZZNS1_14partition_implILS5_6ELb0ES3_mN6thrust23THRUST_200600_302600_NS6detail15normal_iteratorINSA_10device_ptrItEEEEPS6_SG_NS0_5tupleIJNSA_16discard_iteratorINSA_11use_defaultEEES6_EEENSH_IJSG_SG_EEES6_PlJNSB_9not_fun_tI7is_trueItEEEEEE10hipError_tPvRmT3_T4_T5_T6_T7_T9_mT8_P12ihipStream_tbDpT10_ENKUlT_T0_E_clISt17integral_constantIbLb0EES1A_IbLb1EEEEDaS16_S17_EUlS16_E_NS1_11comp_targetILNS1_3genE5ELNS1_11target_archE942ELNS1_3gpuE9ELNS1_3repE0EEENS1_30default_config_static_selectorELNS0_4arch9wavefront6targetE0EEEvT1_,@function
_ZN7rocprim17ROCPRIM_400000_NS6detail17trampoline_kernelINS0_14default_configENS1_25partition_config_selectorILNS1_17partition_subalgoE6EtNS0_10empty_typeEbEEZZNS1_14partition_implILS5_6ELb0ES3_mN6thrust23THRUST_200600_302600_NS6detail15normal_iteratorINSA_10device_ptrItEEEEPS6_SG_NS0_5tupleIJNSA_16discard_iteratorINSA_11use_defaultEEES6_EEENSH_IJSG_SG_EEES6_PlJNSB_9not_fun_tI7is_trueItEEEEEE10hipError_tPvRmT3_T4_T5_T6_T7_T9_mT8_P12ihipStream_tbDpT10_ENKUlT_T0_E_clISt17integral_constantIbLb0EES1A_IbLb1EEEEDaS16_S17_EUlS16_E_NS1_11comp_targetILNS1_3genE5ELNS1_11target_archE942ELNS1_3gpuE9ELNS1_3repE0EEENS1_30default_config_static_selectorELNS0_4arch9wavefront6targetE0EEEvT1_: ; @_ZN7rocprim17ROCPRIM_400000_NS6detail17trampoline_kernelINS0_14default_configENS1_25partition_config_selectorILNS1_17partition_subalgoE6EtNS0_10empty_typeEbEEZZNS1_14partition_implILS5_6ELb0ES3_mN6thrust23THRUST_200600_302600_NS6detail15normal_iteratorINSA_10device_ptrItEEEEPS6_SG_NS0_5tupleIJNSA_16discard_iteratorINSA_11use_defaultEEES6_EEENSH_IJSG_SG_EEES6_PlJNSB_9not_fun_tI7is_trueItEEEEEE10hipError_tPvRmT3_T4_T5_T6_T7_T9_mT8_P12ihipStream_tbDpT10_ENKUlT_T0_E_clISt17integral_constantIbLb0EES1A_IbLb1EEEEDaS16_S17_EUlS16_E_NS1_11comp_targetILNS1_3genE5ELNS1_11target_archE942ELNS1_3gpuE9ELNS1_3repE0EEENS1_30default_config_static_selectorELNS0_4arch9wavefront6targetE0EEEvT1_
; %bb.0:
	.section	.rodata,"a",@progbits
	.p2align	6, 0x0
	.amdhsa_kernel _ZN7rocprim17ROCPRIM_400000_NS6detail17trampoline_kernelINS0_14default_configENS1_25partition_config_selectorILNS1_17partition_subalgoE6EtNS0_10empty_typeEbEEZZNS1_14partition_implILS5_6ELb0ES3_mN6thrust23THRUST_200600_302600_NS6detail15normal_iteratorINSA_10device_ptrItEEEEPS6_SG_NS0_5tupleIJNSA_16discard_iteratorINSA_11use_defaultEEES6_EEENSH_IJSG_SG_EEES6_PlJNSB_9not_fun_tI7is_trueItEEEEEE10hipError_tPvRmT3_T4_T5_T6_T7_T9_mT8_P12ihipStream_tbDpT10_ENKUlT_T0_E_clISt17integral_constantIbLb0EES1A_IbLb1EEEEDaS16_S17_EUlS16_E_NS1_11comp_targetILNS1_3genE5ELNS1_11target_archE942ELNS1_3gpuE9ELNS1_3repE0EEENS1_30default_config_static_selectorELNS0_4arch9wavefront6targetE0EEEvT1_
		.amdhsa_group_segment_fixed_size 0
		.amdhsa_private_segment_fixed_size 0
		.amdhsa_kernarg_size 136
		.amdhsa_user_sgpr_count 2
		.amdhsa_user_sgpr_dispatch_ptr 0
		.amdhsa_user_sgpr_queue_ptr 0
		.amdhsa_user_sgpr_kernarg_segment_ptr 1
		.amdhsa_user_sgpr_dispatch_id 0
		.amdhsa_user_sgpr_private_segment_size 0
		.amdhsa_wavefront_size32 1
		.amdhsa_uses_dynamic_stack 0
		.amdhsa_enable_private_segment 0
		.amdhsa_system_sgpr_workgroup_id_x 1
		.amdhsa_system_sgpr_workgroup_id_y 0
		.amdhsa_system_sgpr_workgroup_id_z 0
		.amdhsa_system_sgpr_workgroup_info 0
		.amdhsa_system_vgpr_workitem_id 0
		.amdhsa_next_free_vgpr 1
		.amdhsa_next_free_sgpr 1
		.amdhsa_reserve_vcc 0
		.amdhsa_float_round_mode_32 0
		.amdhsa_float_round_mode_16_64 0
		.amdhsa_float_denorm_mode_32 3
		.amdhsa_float_denorm_mode_16_64 3
		.amdhsa_fp16_overflow 0
		.amdhsa_workgroup_processor_mode 1
		.amdhsa_memory_ordered 1
		.amdhsa_forward_progress 1
		.amdhsa_inst_pref_size 0
		.amdhsa_round_robin_scheduling 0
		.amdhsa_exception_fp_ieee_invalid_op 0
		.amdhsa_exception_fp_denorm_src 0
		.amdhsa_exception_fp_ieee_div_zero 0
		.amdhsa_exception_fp_ieee_overflow 0
		.amdhsa_exception_fp_ieee_underflow 0
		.amdhsa_exception_fp_ieee_inexact 0
		.amdhsa_exception_int_div_zero 0
	.end_amdhsa_kernel
	.section	.text._ZN7rocprim17ROCPRIM_400000_NS6detail17trampoline_kernelINS0_14default_configENS1_25partition_config_selectorILNS1_17partition_subalgoE6EtNS0_10empty_typeEbEEZZNS1_14partition_implILS5_6ELb0ES3_mN6thrust23THRUST_200600_302600_NS6detail15normal_iteratorINSA_10device_ptrItEEEEPS6_SG_NS0_5tupleIJNSA_16discard_iteratorINSA_11use_defaultEEES6_EEENSH_IJSG_SG_EEES6_PlJNSB_9not_fun_tI7is_trueItEEEEEE10hipError_tPvRmT3_T4_T5_T6_T7_T9_mT8_P12ihipStream_tbDpT10_ENKUlT_T0_E_clISt17integral_constantIbLb0EES1A_IbLb1EEEEDaS16_S17_EUlS16_E_NS1_11comp_targetILNS1_3genE5ELNS1_11target_archE942ELNS1_3gpuE9ELNS1_3repE0EEENS1_30default_config_static_selectorELNS0_4arch9wavefront6targetE0EEEvT1_,"axG",@progbits,_ZN7rocprim17ROCPRIM_400000_NS6detail17trampoline_kernelINS0_14default_configENS1_25partition_config_selectorILNS1_17partition_subalgoE6EtNS0_10empty_typeEbEEZZNS1_14partition_implILS5_6ELb0ES3_mN6thrust23THRUST_200600_302600_NS6detail15normal_iteratorINSA_10device_ptrItEEEEPS6_SG_NS0_5tupleIJNSA_16discard_iteratorINSA_11use_defaultEEES6_EEENSH_IJSG_SG_EEES6_PlJNSB_9not_fun_tI7is_trueItEEEEEE10hipError_tPvRmT3_T4_T5_T6_T7_T9_mT8_P12ihipStream_tbDpT10_ENKUlT_T0_E_clISt17integral_constantIbLb0EES1A_IbLb1EEEEDaS16_S17_EUlS16_E_NS1_11comp_targetILNS1_3genE5ELNS1_11target_archE942ELNS1_3gpuE9ELNS1_3repE0EEENS1_30default_config_static_selectorELNS0_4arch9wavefront6targetE0EEEvT1_,comdat
.Lfunc_end2230:
	.size	_ZN7rocprim17ROCPRIM_400000_NS6detail17trampoline_kernelINS0_14default_configENS1_25partition_config_selectorILNS1_17partition_subalgoE6EtNS0_10empty_typeEbEEZZNS1_14partition_implILS5_6ELb0ES3_mN6thrust23THRUST_200600_302600_NS6detail15normal_iteratorINSA_10device_ptrItEEEEPS6_SG_NS0_5tupleIJNSA_16discard_iteratorINSA_11use_defaultEEES6_EEENSH_IJSG_SG_EEES6_PlJNSB_9not_fun_tI7is_trueItEEEEEE10hipError_tPvRmT3_T4_T5_T6_T7_T9_mT8_P12ihipStream_tbDpT10_ENKUlT_T0_E_clISt17integral_constantIbLb0EES1A_IbLb1EEEEDaS16_S17_EUlS16_E_NS1_11comp_targetILNS1_3genE5ELNS1_11target_archE942ELNS1_3gpuE9ELNS1_3repE0EEENS1_30default_config_static_selectorELNS0_4arch9wavefront6targetE0EEEvT1_, .Lfunc_end2230-_ZN7rocprim17ROCPRIM_400000_NS6detail17trampoline_kernelINS0_14default_configENS1_25partition_config_selectorILNS1_17partition_subalgoE6EtNS0_10empty_typeEbEEZZNS1_14partition_implILS5_6ELb0ES3_mN6thrust23THRUST_200600_302600_NS6detail15normal_iteratorINSA_10device_ptrItEEEEPS6_SG_NS0_5tupleIJNSA_16discard_iteratorINSA_11use_defaultEEES6_EEENSH_IJSG_SG_EEES6_PlJNSB_9not_fun_tI7is_trueItEEEEEE10hipError_tPvRmT3_T4_T5_T6_T7_T9_mT8_P12ihipStream_tbDpT10_ENKUlT_T0_E_clISt17integral_constantIbLb0EES1A_IbLb1EEEEDaS16_S17_EUlS16_E_NS1_11comp_targetILNS1_3genE5ELNS1_11target_archE942ELNS1_3gpuE9ELNS1_3repE0EEENS1_30default_config_static_selectorELNS0_4arch9wavefront6targetE0EEEvT1_
                                        ; -- End function
	.set _ZN7rocprim17ROCPRIM_400000_NS6detail17trampoline_kernelINS0_14default_configENS1_25partition_config_selectorILNS1_17partition_subalgoE6EtNS0_10empty_typeEbEEZZNS1_14partition_implILS5_6ELb0ES3_mN6thrust23THRUST_200600_302600_NS6detail15normal_iteratorINSA_10device_ptrItEEEEPS6_SG_NS0_5tupleIJNSA_16discard_iteratorINSA_11use_defaultEEES6_EEENSH_IJSG_SG_EEES6_PlJNSB_9not_fun_tI7is_trueItEEEEEE10hipError_tPvRmT3_T4_T5_T6_T7_T9_mT8_P12ihipStream_tbDpT10_ENKUlT_T0_E_clISt17integral_constantIbLb0EES1A_IbLb1EEEEDaS16_S17_EUlS16_E_NS1_11comp_targetILNS1_3genE5ELNS1_11target_archE942ELNS1_3gpuE9ELNS1_3repE0EEENS1_30default_config_static_selectorELNS0_4arch9wavefront6targetE0EEEvT1_.num_vgpr, 0
	.set _ZN7rocprim17ROCPRIM_400000_NS6detail17trampoline_kernelINS0_14default_configENS1_25partition_config_selectorILNS1_17partition_subalgoE6EtNS0_10empty_typeEbEEZZNS1_14partition_implILS5_6ELb0ES3_mN6thrust23THRUST_200600_302600_NS6detail15normal_iteratorINSA_10device_ptrItEEEEPS6_SG_NS0_5tupleIJNSA_16discard_iteratorINSA_11use_defaultEEES6_EEENSH_IJSG_SG_EEES6_PlJNSB_9not_fun_tI7is_trueItEEEEEE10hipError_tPvRmT3_T4_T5_T6_T7_T9_mT8_P12ihipStream_tbDpT10_ENKUlT_T0_E_clISt17integral_constantIbLb0EES1A_IbLb1EEEEDaS16_S17_EUlS16_E_NS1_11comp_targetILNS1_3genE5ELNS1_11target_archE942ELNS1_3gpuE9ELNS1_3repE0EEENS1_30default_config_static_selectorELNS0_4arch9wavefront6targetE0EEEvT1_.num_agpr, 0
	.set _ZN7rocprim17ROCPRIM_400000_NS6detail17trampoline_kernelINS0_14default_configENS1_25partition_config_selectorILNS1_17partition_subalgoE6EtNS0_10empty_typeEbEEZZNS1_14partition_implILS5_6ELb0ES3_mN6thrust23THRUST_200600_302600_NS6detail15normal_iteratorINSA_10device_ptrItEEEEPS6_SG_NS0_5tupleIJNSA_16discard_iteratorINSA_11use_defaultEEES6_EEENSH_IJSG_SG_EEES6_PlJNSB_9not_fun_tI7is_trueItEEEEEE10hipError_tPvRmT3_T4_T5_T6_T7_T9_mT8_P12ihipStream_tbDpT10_ENKUlT_T0_E_clISt17integral_constantIbLb0EES1A_IbLb1EEEEDaS16_S17_EUlS16_E_NS1_11comp_targetILNS1_3genE5ELNS1_11target_archE942ELNS1_3gpuE9ELNS1_3repE0EEENS1_30default_config_static_selectorELNS0_4arch9wavefront6targetE0EEEvT1_.numbered_sgpr, 0
	.set _ZN7rocprim17ROCPRIM_400000_NS6detail17trampoline_kernelINS0_14default_configENS1_25partition_config_selectorILNS1_17partition_subalgoE6EtNS0_10empty_typeEbEEZZNS1_14partition_implILS5_6ELb0ES3_mN6thrust23THRUST_200600_302600_NS6detail15normal_iteratorINSA_10device_ptrItEEEEPS6_SG_NS0_5tupleIJNSA_16discard_iteratorINSA_11use_defaultEEES6_EEENSH_IJSG_SG_EEES6_PlJNSB_9not_fun_tI7is_trueItEEEEEE10hipError_tPvRmT3_T4_T5_T6_T7_T9_mT8_P12ihipStream_tbDpT10_ENKUlT_T0_E_clISt17integral_constantIbLb0EES1A_IbLb1EEEEDaS16_S17_EUlS16_E_NS1_11comp_targetILNS1_3genE5ELNS1_11target_archE942ELNS1_3gpuE9ELNS1_3repE0EEENS1_30default_config_static_selectorELNS0_4arch9wavefront6targetE0EEEvT1_.num_named_barrier, 0
	.set _ZN7rocprim17ROCPRIM_400000_NS6detail17trampoline_kernelINS0_14default_configENS1_25partition_config_selectorILNS1_17partition_subalgoE6EtNS0_10empty_typeEbEEZZNS1_14partition_implILS5_6ELb0ES3_mN6thrust23THRUST_200600_302600_NS6detail15normal_iteratorINSA_10device_ptrItEEEEPS6_SG_NS0_5tupleIJNSA_16discard_iteratorINSA_11use_defaultEEES6_EEENSH_IJSG_SG_EEES6_PlJNSB_9not_fun_tI7is_trueItEEEEEE10hipError_tPvRmT3_T4_T5_T6_T7_T9_mT8_P12ihipStream_tbDpT10_ENKUlT_T0_E_clISt17integral_constantIbLb0EES1A_IbLb1EEEEDaS16_S17_EUlS16_E_NS1_11comp_targetILNS1_3genE5ELNS1_11target_archE942ELNS1_3gpuE9ELNS1_3repE0EEENS1_30default_config_static_selectorELNS0_4arch9wavefront6targetE0EEEvT1_.private_seg_size, 0
	.set _ZN7rocprim17ROCPRIM_400000_NS6detail17trampoline_kernelINS0_14default_configENS1_25partition_config_selectorILNS1_17partition_subalgoE6EtNS0_10empty_typeEbEEZZNS1_14partition_implILS5_6ELb0ES3_mN6thrust23THRUST_200600_302600_NS6detail15normal_iteratorINSA_10device_ptrItEEEEPS6_SG_NS0_5tupleIJNSA_16discard_iteratorINSA_11use_defaultEEES6_EEENSH_IJSG_SG_EEES6_PlJNSB_9not_fun_tI7is_trueItEEEEEE10hipError_tPvRmT3_T4_T5_T6_T7_T9_mT8_P12ihipStream_tbDpT10_ENKUlT_T0_E_clISt17integral_constantIbLb0EES1A_IbLb1EEEEDaS16_S17_EUlS16_E_NS1_11comp_targetILNS1_3genE5ELNS1_11target_archE942ELNS1_3gpuE9ELNS1_3repE0EEENS1_30default_config_static_selectorELNS0_4arch9wavefront6targetE0EEEvT1_.uses_vcc, 0
	.set _ZN7rocprim17ROCPRIM_400000_NS6detail17trampoline_kernelINS0_14default_configENS1_25partition_config_selectorILNS1_17partition_subalgoE6EtNS0_10empty_typeEbEEZZNS1_14partition_implILS5_6ELb0ES3_mN6thrust23THRUST_200600_302600_NS6detail15normal_iteratorINSA_10device_ptrItEEEEPS6_SG_NS0_5tupleIJNSA_16discard_iteratorINSA_11use_defaultEEES6_EEENSH_IJSG_SG_EEES6_PlJNSB_9not_fun_tI7is_trueItEEEEEE10hipError_tPvRmT3_T4_T5_T6_T7_T9_mT8_P12ihipStream_tbDpT10_ENKUlT_T0_E_clISt17integral_constantIbLb0EES1A_IbLb1EEEEDaS16_S17_EUlS16_E_NS1_11comp_targetILNS1_3genE5ELNS1_11target_archE942ELNS1_3gpuE9ELNS1_3repE0EEENS1_30default_config_static_selectorELNS0_4arch9wavefront6targetE0EEEvT1_.uses_flat_scratch, 0
	.set _ZN7rocprim17ROCPRIM_400000_NS6detail17trampoline_kernelINS0_14default_configENS1_25partition_config_selectorILNS1_17partition_subalgoE6EtNS0_10empty_typeEbEEZZNS1_14partition_implILS5_6ELb0ES3_mN6thrust23THRUST_200600_302600_NS6detail15normal_iteratorINSA_10device_ptrItEEEEPS6_SG_NS0_5tupleIJNSA_16discard_iteratorINSA_11use_defaultEEES6_EEENSH_IJSG_SG_EEES6_PlJNSB_9not_fun_tI7is_trueItEEEEEE10hipError_tPvRmT3_T4_T5_T6_T7_T9_mT8_P12ihipStream_tbDpT10_ENKUlT_T0_E_clISt17integral_constantIbLb0EES1A_IbLb1EEEEDaS16_S17_EUlS16_E_NS1_11comp_targetILNS1_3genE5ELNS1_11target_archE942ELNS1_3gpuE9ELNS1_3repE0EEENS1_30default_config_static_selectorELNS0_4arch9wavefront6targetE0EEEvT1_.has_dyn_sized_stack, 0
	.set _ZN7rocprim17ROCPRIM_400000_NS6detail17trampoline_kernelINS0_14default_configENS1_25partition_config_selectorILNS1_17partition_subalgoE6EtNS0_10empty_typeEbEEZZNS1_14partition_implILS5_6ELb0ES3_mN6thrust23THRUST_200600_302600_NS6detail15normal_iteratorINSA_10device_ptrItEEEEPS6_SG_NS0_5tupleIJNSA_16discard_iteratorINSA_11use_defaultEEES6_EEENSH_IJSG_SG_EEES6_PlJNSB_9not_fun_tI7is_trueItEEEEEE10hipError_tPvRmT3_T4_T5_T6_T7_T9_mT8_P12ihipStream_tbDpT10_ENKUlT_T0_E_clISt17integral_constantIbLb0EES1A_IbLb1EEEEDaS16_S17_EUlS16_E_NS1_11comp_targetILNS1_3genE5ELNS1_11target_archE942ELNS1_3gpuE9ELNS1_3repE0EEENS1_30default_config_static_selectorELNS0_4arch9wavefront6targetE0EEEvT1_.has_recursion, 0
	.set _ZN7rocprim17ROCPRIM_400000_NS6detail17trampoline_kernelINS0_14default_configENS1_25partition_config_selectorILNS1_17partition_subalgoE6EtNS0_10empty_typeEbEEZZNS1_14partition_implILS5_6ELb0ES3_mN6thrust23THRUST_200600_302600_NS6detail15normal_iteratorINSA_10device_ptrItEEEEPS6_SG_NS0_5tupleIJNSA_16discard_iteratorINSA_11use_defaultEEES6_EEENSH_IJSG_SG_EEES6_PlJNSB_9not_fun_tI7is_trueItEEEEEE10hipError_tPvRmT3_T4_T5_T6_T7_T9_mT8_P12ihipStream_tbDpT10_ENKUlT_T0_E_clISt17integral_constantIbLb0EES1A_IbLb1EEEEDaS16_S17_EUlS16_E_NS1_11comp_targetILNS1_3genE5ELNS1_11target_archE942ELNS1_3gpuE9ELNS1_3repE0EEENS1_30default_config_static_selectorELNS0_4arch9wavefront6targetE0EEEvT1_.has_indirect_call, 0
	.section	.AMDGPU.csdata,"",@progbits
; Kernel info:
; codeLenInByte = 0
; TotalNumSgprs: 0
; NumVgprs: 0
; ScratchSize: 0
; MemoryBound: 0
; FloatMode: 240
; IeeeMode: 1
; LDSByteSize: 0 bytes/workgroup (compile time only)
; SGPRBlocks: 0
; VGPRBlocks: 0
; NumSGPRsForWavesPerEU: 1
; NumVGPRsForWavesPerEU: 1
; Occupancy: 16
; WaveLimiterHint : 0
; COMPUTE_PGM_RSRC2:SCRATCH_EN: 0
; COMPUTE_PGM_RSRC2:USER_SGPR: 2
; COMPUTE_PGM_RSRC2:TRAP_HANDLER: 0
; COMPUTE_PGM_RSRC2:TGID_X_EN: 1
; COMPUTE_PGM_RSRC2:TGID_Y_EN: 0
; COMPUTE_PGM_RSRC2:TGID_Z_EN: 0
; COMPUTE_PGM_RSRC2:TIDIG_COMP_CNT: 0
	.section	.text._ZN7rocprim17ROCPRIM_400000_NS6detail17trampoline_kernelINS0_14default_configENS1_25partition_config_selectorILNS1_17partition_subalgoE6EtNS0_10empty_typeEbEEZZNS1_14partition_implILS5_6ELb0ES3_mN6thrust23THRUST_200600_302600_NS6detail15normal_iteratorINSA_10device_ptrItEEEEPS6_SG_NS0_5tupleIJNSA_16discard_iteratorINSA_11use_defaultEEES6_EEENSH_IJSG_SG_EEES6_PlJNSB_9not_fun_tI7is_trueItEEEEEE10hipError_tPvRmT3_T4_T5_T6_T7_T9_mT8_P12ihipStream_tbDpT10_ENKUlT_T0_E_clISt17integral_constantIbLb0EES1A_IbLb1EEEEDaS16_S17_EUlS16_E_NS1_11comp_targetILNS1_3genE4ELNS1_11target_archE910ELNS1_3gpuE8ELNS1_3repE0EEENS1_30default_config_static_selectorELNS0_4arch9wavefront6targetE0EEEvT1_,"axG",@progbits,_ZN7rocprim17ROCPRIM_400000_NS6detail17trampoline_kernelINS0_14default_configENS1_25partition_config_selectorILNS1_17partition_subalgoE6EtNS0_10empty_typeEbEEZZNS1_14partition_implILS5_6ELb0ES3_mN6thrust23THRUST_200600_302600_NS6detail15normal_iteratorINSA_10device_ptrItEEEEPS6_SG_NS0_5tupleIJNSA_16discard_iteratorINSA_11use_defaultEEES6_EEENSH_IJSG_SG_EEES6_PlJNSB_9not_fun_tI7is_trueItEEEEEE10hipError_tPvRmT3_T4_T5_T6_T7_T9_mT8_P12ihipStream_tbDpT10_ENKUlT_T0_E_clISt17integral_constantIbLb0EES1A_IbLb1EEEEDaS16_S17_EUlS16_E_NS1_11comp_targetILNS1_3genE4ELNS1_11target_archE910ELNS1_3gpuE8ELNS1_3repE0EEENS1_30default_config_static_selectorELNS0_4arch9wavefront6targetE0EEEvT1_,comdat
	.protected	_ZN7rocprim17ROCPRIM_400000_NS6detail17trampoline_kernelINS0_14default_configENS1_25partition_config_selectorILNS1_17partition_subalgoE6EtNS0_10empty_typeEbEEZZNS1_14partition_implILS5_6ELb0ES3_mN6thrust23THRUST_200600_302600_NS6detail15normal_iteratorINSA_10device_ptrItEEEEPS6_SG_NS0_5tupleIJNSA_16discard_iteratorINSA_11use_defaultEEES6_EEENSH_IJSG_SG_EEES6_PlJNSB_9not_fun_tI7is_trueItEEEEEE10hipError_tPvRmT3_T4_T5_T6_T7_T9_mT8_P12ihipStream_tbDpT10_ENKUlT_T0_E_clISt17integral_constantIbLb0EES1A_IbLb1EEEEDaS16_S17_EUlS16_E_NS1_11comp_targetILNS1_3genE4ELNS1_11target_archE910ELNS1_3gpuE8ELNS1_3repE0EEENS1_30default_config_static_selectorELNS0_4arch9wavefront6targetE0EEEvT1_ ; -- Begin function _ZN7rocprim17ROCPRIM_400000_NS6detail17trampoline_kernelINS0_14default_configENS1_25partition_config_selectorILNS1_17partition_subalgoE6EtNS0_10empty_typeEbEEZZNS1_14partition_implILS5_6ELb0ES3_mN6thrust23THRUST_200600_302600_NS6detail15normal_iteratorINSA_10device_ptrItEEEEPS6_SG_NS0_5tupleIJNSA_16discard_iteratorINSA_11use_defaultEEES6_EEENSH_IJSG_SG_EEES6_PlJNSB_9not_fun_tI7is_trueItEEEEEE10hipError_tPvRmT3_T4_T5_T6_T7_T9_mT8_P12ihipStream_tbDpT10_ENKUlT_T0_E_clISt17integral_constantIbLb0EES1A_IbLb1EEEEDaS16_S17_EUlS16_E_NS1_11comp_targetILNS1_3genE4ELNS1_11target_archE910ELNS1_3gpuE8ELNS1_3repE0EEENS1_30default_config_static_selectorELNS0_4arch9wavefront6targetE0EEEvT1_
	.globl	_ZN7rocprim17ROCPRIM_400000_NS6detail17trampoline_kernelINS0_14default_configENS1_25partition_config_selectorILNS1_17partition_subalgoE6EtNS0_10empty_typeEbEEZZNS1_14partition_implILS5_6ELb0ES3_mN6thrust23THRUST_200600_302600_NS6detail15normal_iteratorINSA_10device_ptrItEEEEPS6_SG_NS0_5tupleIJNSA_16discard_iteratorINSA_11use_defaultEEES6_EEENSH_IJSG_SG_EEES6_PlJNSB_9not_fun_tI7is_trueItEEEEEE10hipError_tPvRmT3_T4_T5_T6_T7_T9_mT8_P12ihipStream_tbDpT10_ENKUlT_T0_E_clISt17integral_constantIbLb0EES1A_IbLb1EEEEDaS16_S17_EUlS16_E_NS1_11comp_targetILNS1_3genE4ELNS1_11target_archE910ELNS1_3gpuE8ELNS1_3repE0EEENS1_30default_config_static_selectorELNS0_4arch9wavefront6targetE0EEEvT1_
	.p2align	8
	.type	_ZN7rocprim17ROCPRIM_400000_NS6detail17trampoline_kernelINS0_14default_configENS1_25partition_config_selectorILNS1_17partition_subalgoE6EtNS0_10empty_typeEbEEZZNS1_14partition_implILS5_6ELb0ES3_mN6thrust23THRUST_200600_302600_NS6detail15normal_iteratorINSA_10device_ptrItEEEEPS6_SG_NS0_5tupleIJNSA_16discard_iteratorINSA_11use_defaultEEES6_EEENSH_IJSG_SG_EEES6_PlJNSB_9not_fun_tI7is_trueItEEEEEE10hipError_tPvRmT3_T4_T5_T6_T7_T9_mT8_P12ihipStream_tbDpT10_ENKUlT_T0_E_clISt17integral_constantIbLb0EES1A_IbLb1EEEEDaS16_S17_EUlS16_E_NS1_11comp_targetILNS1_3genE4ELNS1_11target_archE910ELNS1_3gpuE8ELNS1_3repE0EEENS1_30default_config_static_selectorELNS0_4arch9wavefront6targetE0EEEvT1_,@function
_ZN7rocprim17ROCPRIM_400000_NS6detail17trampoline_kernelINS0_14default_configENS1_25partition_config_selectorILNS1_17partition_subalgoE6EtNS0_10empty_typeEbEEZZNS1_14partition_implILS5_6ELb0ES3_mN6thrust23THRUST_200600_302600_NS6detail15normal_iteratorINSA_10device_ptrItEEEEPS6_SG_NS0_5tupleIJNSA_16discard_iteratorINSA_11use_defaultEEES6_EEENSH_IJSG_SG_EEES6_PlJNSB_9not_fun_tI7is_trueItEEEEEE10hipError_tPvRmT3_T4_T5_T6_T7_T9_mT8_P12ihipStream_tbDpT10_ENKUlT_T0_E_clISt17integral_constantIbLb0EES1A_IbLb1EEEEDaS16_S17_EUlS16_E_NS1_11comp_targetILNS1_3genE4ELNS1_11target_archE910ELNS1_3gpuE8ELNS1_3repE0EEENS1_30default_config_static_selectorELNS0_4arch9wavefront6targetE0EEEvT1_: ; @_ZN7rocprim17ROCPRIM_400000_NS6detail17trampoline_kernelINS0_14default_configENS1_25partition_config_selectorILNS1_17partition_subalgoE6EtNS0_10empty_typeEbEEZZNS1_14partition_implILS5_6ELb0ES3_mN6thrust23THRUST_200600_302600_NS6detail15normal_iteratorINSA_10device_ptrItEEEEPS6_SG_NS0_5tupleIJNSA_16discard_iteratorINSA_11use_defaultEEES6_EEENSH_IJSG_SG_EEES6_PlJNSB_9not_fun_tI7is_trueItEEEEEE10hipError_tPvRmT3_T4_T5_T6_T7_T9_mT8_P12ihipStream_tbDpT10_ENKUlT_T0_E_clISt17integral_constantIbLb0EES1A_IbLb1EEEEDaS16_S17_EUlS16_E_NS1_11comp_targetILNS1_3genE4ELNS1_11target_archE910ELNS1_3gpuE8ELNS1_3repE0EEENS1_30default_config_static_selectorELNS0_4arch9wavefront6targetE0EEEvT1_
; %bb.0:
	.section	.rodata,"a",@progbits
	.p2align	6, 0x0
	.amdhsa_kernel _ZN7rocprim17ROCPRIM_400000_NS6detail17trampoline_kernelINS0_14default_configENS1_25partition_config_selectorILNS1_17partition_subalgoE6EtNS0_10empty_typeEbEEZZNS1_14partition_implILS5_6ELb0ES3_mN6thrust23THRUST_200600_302600_NS6detail15normal_iteratorINSA_10device_ptrItEEEEPS6_SG_NS0_5tupleIJNSA_16discard_iteratorINSA_11use_defaultEEES6_EEENSH_IJSG_SG_EEES6_PlJNSB_9not_fun_tI7is_trueItEEEEEE10hipError_tPvRmT3_T4_T5_T6_T7_T9_mT8_P12ihipStream_tbDpT10_ENKUlT_T0_E_clISt17integral_constantIbLb0EES1A_IbLb1EEEEDaS16_S17_EUlS16_E_NS1_11comp_targetILNS1_3genE4ELNS1_11target_archE910ELNS1_3gpuE8ELNS1_3repE0EEENS1_30default_config_static_selectorELNS0_4arch9wavefront6targetE0EEEvT1_
		.amdhsa_group_segment_fixed_size 0
		.amdhsa_private_segment_fixed_size 0
		.amdhsa_kernarg_size 136
		.amdhsa_user_sgpr_count 2
		.amdhsa_user_sgpr_dispatch_ptr 0
		.amdhsa_user_sgpr_queue_ptr 0
		.amdhsa_user_sgpr_kernarg_segment_ptr 1
		.amdhsa_user_sgpr_dispatch_id 0
		.amdhsa_user_sgpr_private_segment_size 0
		.amdhsa_wavefront_size32 1
		.amdhsa_uses_dynamic_stack 0
		.amdhsa_enable_private_segment 0
		.amdhsa_system_sgpr_workgroup_id_x 1
		.amdhsa_system_sgpr_workgroup_id_y 0
		.amdhsa_system_sgpr_workgroup_id_z 0
		.amdhsa_system_sgpr_workgroup_info 0
		.amdhsa_system_vgpr_workitem_id 0
		.amdhsa_next_free_vgpr 1
		.amdhsa_next_free_sgpr 1
		.amdhsa_reserve_vcc 0
		.amdhsa_float_round_mode_32 0
		.amdhsa_float_round_mode_16_64 0
		.amdhsa_float_denorm_mode_32 3
		.amdhsa_float_denorm_mode_16_64 3
		.amdhsa_fp16_overflow 0
		.amdhsa_workgroup_processor_mode 1
		.amdhsa_memory_ordered 1
		.amdhsa_forward_progress 1
		.amdhsa_inst_pref_size 0
		.amdhsa_round_robin_scheduling 0
		.amdhsa_exception_fp_ieee_invalid_op 0
		.amdhsa_exception_fp_denorm_src 0
		.amdhsa_exception_fp_ieee_div_zero 0
		.amdhsa_exception_fp_ieee_overflow 0
		.amdhsa_exception_fp_ieee_underflow 0
		.amdhsa_exception_fp_ieee_inexact 0
		.amdhsa_exception_int_div_zero 0
	.end_amdhsa_kernel
	.section	.text._ZN7rocprim17ROCPRIM_400000_NS6detail17trampoline_kernelINS0_14default_configENS1_25partition_config_selectorILNS1_17partition_subalgoE6EtNS0_10empty_typeEbEEZZNS1_14partition_implILS5_6ELb0ES3_mN6thrust23THRUST_200600_302600_NS6detail15normal_iteratorINSA_10device_ptrItEEEEPS6_SG_NS0_5tupleIJNSA_16discard_iteratorINSA_11use_defaultEEES6_EEENSH_IJSG_SG_EEES6_PlJNSB_9not_fun_tI7is_trueItEEEEEE10hipError_tPvRmT3_T4_T5_T6_T7_T9_mT8_P12ihipStream_tbDpT10_ENKUlT_T0_E_clISt17integral_constantIbLb0EES1A_IbLb1EEEEDaS16_S17_EUlS16_E_NS1_11comp_targetILNS1_3genE4ELNS1_11target_archE910ELNS1_3gpuE8ELNS1_3repE0EEENS1_30default_config_static_selectorELNS0_4arch9wavefront6targetE0EEEvT1_,"axG",@progbits,_ZN7rocprim17ROCPRIM_400000_NS6detail17trampoline_kernelINS0_14default_configENS1_25partition_config_selectorILNS1_17partition_subalgoE6EtNS0_10empty_typeEbEEZZNS1_14partition_implILS5_6ELb0ES3_mN6thrust23THRUST_200600_302600_NS6detail15normal_iteratorINSA_10device_ptrItEEEEPS6_SG_NS0_5tupleIJNSA_16discard_iteratorINSA_11use_defaultEEES6_EEENSH_IJSG_SG_EEES6_PlJNSB_9not_fun_tI7is_trueItEEEEEE10hipError_tPvRmT3_T4_T5_T6_T7_T9_mT8_P12ihipStream_tbDpT10_ENKUlT_T0_E_clISt17integral_constantIbLb0EES1A_IbLb1EEEEDaS16_S17_EUlS16_E_NS1_11comp_targetILNS1_3genE4ELNS1_11target_archE910ELNS1_3gpuE8ELNS1_3repE0EEENS1_30default_config_static_selectorELNS0_4arch9wavefront6targetE0EEEvT1_,comdat
.Lfunc_end2231:
	.size	_ZN7rocprim17ROCPRIM_400000_NS6detail17trampoline_kernelINS0_14default_configENS1_25partition_config_selectorILNS1_17partition_subalgoE6EtNS0_10empty_typeEbEEZZNS1_14partition_implILS5_6ELb0ES3_mN6thrust23THRUST_200600_302600_NS6detail15normal_iteratorINSA_10device_ptrItEEEEPS6_SG_NS0_5tupleIJNSA_16discard_iteratorINSA_11use_defaultEEES6_EEENSH_IJSG_SG_EEES6_PlJNSB_9not_fun_tI7is_trueItEEEEEE10hipError_tPvRmT3_T4_T5_T6_T7_T9_mT8_P12ihipStream_tbDpT10_ENKUlT_T0_E_clISt17integral_constantIbLb0EES1A_IbLb1EEEEDaS16_S17_EUlS16_E_NS1_11comp_targetILNS1_3genE4ELNS1_11target_archE910ELNS1_3gpuE8ELNS1_3repE0EEENS1_30default_config_static_selectorELNS0_4arch9wavefront6targetE0EEEvT1_, .Lfunc_end2231-_ZN7rocprim17ROCPRIM_400000_NS6detail17trampoline_kernelINS0_14default_configENS1_25partition_config_selectorILNS1_17partition_subalgoE6EtNS0_10empty_typeEbEEZZNS1_14partition_implILS5_6ELb0ES3_mN6thrust23THRUST_200600_302600_NS6detail15normal_iteratorINSA_10device_ptrItEEEEPS6_SG_NS0_5tupleIJNSA_16discard_iteratorINSA_11use_defaultEEES6_EEENSH_IJSG_SG_EEES6_PlJNSB_9not_fun_tI7is_trueItEEEEEE10hipError_tPvRmT3_T4_T5_T6_T7_T9_mT8_P12ihipStream_tbDpT10_ENKUlT_T0_E_clISt17integral_constantIbLb0EES1A_IbLb1EEEEDaS16_S17_EUlS16_E_NS1_11comp_targetILNS1_3genE4ELNS1_11target_archE910ELNS1_3gpuE8ELNS1_3repE0EEENS1_30default_config_static_selectorELNS0_4arch9wavefront6targetE0EEEvT1_
                                        ; -- End function
	.set _ZN7rocprim17ROCPRIM_400000_NS6detail17trampoline_kernelINS0_14default_configENS1_25partition_config_selectorILNS1_17partition_subalgoE6EtNS0_10empty_typeEbEEZZNS1_14partition_implILS5_6ELb0ES3_mN6thrust23THRUST_200600_302600_NS6detail15normal_iteratorINSA_10device_ptrItEEEEPS6_SG_NS0_5tupleIJNSA_16discard_iteratorINSA_11use_defaultEEES6_EEENSH_IJSG_SG_EEES6_PlJNSB_9not_fun_tI7is_trueItEEEEEE10hipError_tPvRmT3_T4_T5_T6_T7_T9_mT8_P12ihipStream_tbDpT10_ENKUlT_T0_E_clISt17integral_constantIbLb0EES1A_IbLb1EEEEDaS16_S17_EUlS16_E_NS1_11comp_targetILNS1_3genE4ELNS1_11target_archE910ELNS1_3gpuE8ELNS1_3repE0EEENS1_30default_config_static_selectorELNS0_4arch9wavefront6targetE0EEEvT1_.num_vgpr, 0
	.set _ZN7rocprim17ROCPRIM_400000_NS6detail17trampoline_kernelINS0_14default_configENS1_25partition_config_selectorILNS1_17partition_subalgoE6EtNS0_10empty_typeEbEEZZNS1_14partition_implILS5_6ELb0ES3_mN6thrust23THRUST_200600_302600_NS6detail15normal_iteratorINSA_10device_ptrItEEEEPS6_SG_NS0_5tupleIJNSA_16discard_iteratorINSA_11use_defaultEEES6_EEENSH_IJSG_SG_EEES6_PlJNSB_9not_fun_tI7is_trueItEEEEEE10hipError_tPvRmT3_T4_T5_T6_T7_T9_mT8_P12ihipStream_tbDpT10_ENKUlT_T0_E_clISt17integral_constantIbLb0EES1A_IbLb1EEEEDaS16_S17_EUlS16_E_NS1_11comp_targetILNS1_3genE4ELNS1_11target_archE910ELNS1_3gpuE8ELNS1_3repE0EEENS1_30default_config_static_selectorELNS0_4arch9wavefront6targetE0EEEvT1_.num_agpr, 0
	.set _ZN7rocprim17ROCPRIM_400000_NS6detail17trampoline_kernelINS0_14default_configENS1_25partition_config_selectorILNS1_17partition_subalgoE6EtNS0_10empty_typeEbEEZZNS1_14partition_implILS5_6ELb0ES3_mN6thrust23THRUST_200600_302600_NS6detail15normal_iteratorINSA_10device_ptrItEEEEPS6_SG_NS0_5tupleIJNSA_16discard_iteratorINSA_11use_defaultEEES6_EEENSH_IJSG_SG_EEES6_PlJNSB_9not_fun_tI7is_trueItEEEEEE10hipError_tPvRmT3_T4_T5_T6_T7_T9_mT8_P12ihipStream_tbDpT10_ENKUlT_T0_E_clISt17integral_constantIbLb0EES1A_IbLb1EEEEDaS16_S17_EUlS16_E_NS1_11comp_targetILNS1_3genE4ELNS1_11target_archE910ELNS1_3gpuE8ELNS1_3repE0EEENS1_30default_config_static_selectorELNS0_4arch9wavefront6targetE0EEEvT1_.numbered_sgpr, 0
	.set _ZN7rocprim17ROCPRIM_400000_NS6detail17trampoline_kernelINS0_14default_configENS1_25partition_config_selectorILNS1_17partition_subalgoE6EtNS0_10empty_typeEbEEZZNS1_14partition_implILS5_6ELb0ES3_mN6thrust23THRUST_200600_302600_NS6detail15normal_iteratorINSA_10device_ptrItEEEEPS6_SG_NS0_5tupleIJNSA_16discard_iteratorINSA_11use_defaultEEES6_EEENSH_IJSG_SG_EEES6_PlJNSB_9not_fun_tI7is_trueItEEEEEE10hipError_tPvRmT3_T4_T5_T6_T7_T9_mT8_P12ihipStream_tbDpT10_ENKUlT_T0_E_clISt17integral_constantIbLb0EES1A_IbLb1EEEEDaS16_S17_EUlS16_E_NS1_11comp_targetILNS1_3genE4ELNS1_11target_archE910ELNS1_3gpuE8ELNS1_3repE0EEENS1_30default_config_static_selectorELNS0_4arch9wavefront6targetE0EEEvT1_.num_named_barrier, 0
	.set _ZN7rocprim17ROCPRIM_400000_NS6detail17trampoline_kernelINS0_14default_configENS1_25partition_config_selectorILNS1_17partition_subalgoE6EtNS0_10empty_typeEbEEZZNS1_14partition_implILS5_6ELb0ES3_mN6thrust23THRUST_200600_302600_NS6detail15normal_iteratorINSA_10device_ptrItEEEEPS6_SG_NS0_5tupleIJNSA_16discard_iteratorINSA_11use_defaultEEES6_EEENSH_IJSG_SG_EEES6_PlJNSB_9not_fun_tI7is_trueItEEEEEE10hipError_tPvRmT3_T4_T5_T6_T7_T9_mT8_P12ihipStream_tbDpT10_ENKUlT_T0_E_clISt17integral_constantIbLb0EES1A_IbLb1EEEEDaS16_S17_EUlS16_E_NS1_11comp_targetILNS1_3genE4ELNS1_11target_archE910ELNS1_3gpuE8ELNS1_3repE0EEENS1_30default_config_static_selectorELNS0_4arch9wavefront6targetE0EEEvT1_.private_seg_size, 0
	.set _ZN7rocprim17ROCPRIM_400000_NS6detail17trampoline_kernelINS0_14default_configENS1_25partition_config_selectorILNS1_17partition_subalgoE6EtNS0_10empty_typeEbEEZZNS1_14partition_implILS5_6ELb0ES3_mN6thrust23THRUST_200600_302600_NS6detail15normal_iteratorINSA_10device_ptrItEEEEPS6_SG_NS0_5tupleIJNSA_16discard_iteratorINSA_11use_defaultEEES6_EEENSH_IJSG_SG_EEES6_PlJNSB_9not_fun_tI7is_trueItEEEEEE10hipError_tPvRmT3_T4_T5_T6_T7_T9_mT8_P12ihipStream_tbDpT10_ENKUlT_T0_E_clISt17integral_constantIbLb0EES1A_IbLb1EEEEDaS16_S17_EUlS16_E_NS1_11comp_targetILNS1_3genE4ELNS1_11target_archE910ELNS1_3gpuE8ELNS1_3repE0EEENS1_30default_config_static_selectorELNS0_4arch9wavefront6targetE0EEEvT1_.uses_vcc, 0
	.set _ZN7rocprim17ROCPRIM_400000_NS6detail17trampoline_kernelINS0_14default_configENS1_25partition_config_selectorILNS1_17partition_subalgoE6EtNS0_10empty_typeEbEEZZNS1_14partition_implILS5_6ELb0ES3_mN6thrust23THRUST_200600_302600_NS6detail15normal_iteratorINSA_10device_ptrItEEEEPS6_SG_NS0_5tupleIJNSA_16discard_iteratorINSA_11use_defaultEEES6_EEENSH_IJSG_SG_EEES6_PlJNSB_9not_fun_tI7is_trueItEEEEEE10hipError_tPvRmT3_T4_T5_T6_T7_T9_mT8_P12ihipStream_tbDpT10_ENKUlT_T0_E_clISt17integral_constantIbLb0EES1A_IbLb1EEEEDaS16_S17_EUlS16_E_NS1_11comp_targetILNS1_3genE4ELNS1_11target_archE910ELNS1_3gpuE8ELNS1_3repE0EEENS1_30default_config_static_selectorELNS0_4arch9wavefront6targetE0EEEvT1_.uses_flat_scratch, 0
	.set _ZN7rocprim17ROCPRIM_400000_NS6detail17trampoline_kernelINS0_14default_configENS1_25partition_config_selectorILNS1_17partition_subalgoE6EtNS0_10empty_typeEbEEZZNS1_14partition_implILS5_6ELb0ES3_mN6thrust23THRUST_200600_302600_NS6detail15normal_iteratorINSA_10device_ptrItEEEEPS6_SG_NS0_5tupleIJNSA_16discard_iteratorINSA_11use_defaultEEES6_EEENSH_IJSG_SG_EEES6_PlJNSB_9not_fun_tI7is_trueItEEEEEE10hipError_tPvRmT3_T4_T5_T6_T7_T9_mT8_P12ihipStream_tbDpT10_ENKUlT_T0_E_clISt17integral_constantIbLb0EES1A_IbLb1EEEEDaS16_S17_EUlS16_E_NS1_11comp_targetILNS1_3genE4ELNS1_11target_archE910ELNS1_3gpuE8ELNS1_3repE0EEENS1_30default_config_static_selectorELNS0_4arch9wavefront6targetE0EEEvT1_.has_dyn_sized_stack, 0
	.set _ZN7rocprim17ROCPRIM_400000_NS6detail17trampoline_kernelINS0_14default_configENS1_25partition_config_selectorILNS1_17partition_subalgoE6EtNS0_10empty_typeEbEEZZNS1_14partition_implILS5_6ELb0ES3_mN6thrust23THRUST_200600_302600_NS6detail15normal_iteratorINSA_10device_ptrItEEEEPS6_SG_NS0_5tupleIJNSA_16discard_iteratorINSA_11use_defaultEEES6_EEENSH_IJSG_SG_EEES6_PlJNSB_9not_fun_tI7is_trueItEEEEEE10hipError_tPvRmT3_T4_T5_T6_T7_T9_mT8_P12ihipStream_tbDpT10_ENKUlT_T0_E_clISt17integral_constantIbLb0EES1A_IbLb1EEEEDaS16_S17_EUlS16_E_NS1_11comp_targetILNS1_3genE4ELNS1_11target_archE910ELNS1_3gpuE8ELNS1_3repE0EEENS1_30default_config_static_selectorELNS0_4arch9wavefront6targetE0EEEvT1_.has_recursion, 0
	.set _ZN7rocprim17ROCPRIM_400000_NS6detail17trampoline_kernelINS0_14default_configENS1_25partition_config_selectorILNS1_17partition_subalgoE6EtNS0_10empty_typeEbEEZZNS1_14partition_implILS5_6ELb0ES3_mN6thrust23THRUST_200600_302600_NS6detail15normal_iteratorINSA_10device_ptrItEEEEPS6_SG_NS0_5tupleIJNSA_16discard_iteratorINSA_11use_defaultEEES6_EEENSH_IJSG_SG_EEES6_PlJNSB_9not_fun_tI7is_trueItEEEEEE10hipError_tPvRmT3_T4_T5_T6_T7_T9_mT8_P12ihipStream_tbDpT10_ENKUlT_T0_E_clISt17integral_constantIbLb0EES1A_IbLb1EEEEDaS16_S17_EUlS16_E_NS1_11comp_targetILNS1_3genE4ELNS1_11target_archE910ELNS1_3gpuE8ELNS1_3repE0EEENS1_30default_config_static_selectorELNS0_4arch9wavefront6targetE0EEEvT1_.has_indirect_call, 0
	.section	.AMDGPU.csdata,"",@progbits
; Kernel info:
; codeLenInByte = 0
; TotalNumSgprs: 0
; NumVgprs: 0
; ScratchSize: 0
; MemoryBound: 0
; FloatMode: 240
; IeeeMode: 1
; LDSByteSize: 0 bytes/workgroup (compile time only)
; SGPRBlocks: 0
; VGPRBlocks: 0
; NumSGPRsForWavesPerEU: 1
; NumVGPRsForWavesPerEU: 1
; Occupancy: 16
; WaveLimiterHint : 0
; COMPUTE_PGM_RSRC2:SCRATCH_EN: 0
; COMPUTE_PGM_RSRC2:USER_SGPR: 2
; COMPUTE_PGM_RSRC2:TRAP_HANDLER: 0
; COMPUTE_PGM_RSRC2:TGID_X_EN: 1
; COMPUTE_PGM_RSRC2:TGID_Y_EN: 0
; COMPUTE_PGM_RSRC2:TGID_Z_EN: 0
; COMPUTE_PGM_RSRC2:TIDIG_COMP_CNT: 0
	.section	.text._ZN7rocprim17ROCPRIM_400000_NS6detail17trampoline_kernelINS0_14default_configENS1_25partition_config_selectorILNS1_17partition_subalgoE6EtNS0_10empty_typeEbEEZZNS1_14partition_implILS5_6ELb0ES3_mN6thrust23THRUST_200600_302600_NS6detail15normal_iteratorINSA_10device_ptrItEEEEPS6_SG_NS0_5tupleIJNSA_16discard_iteratorINSA_11use_defaultEEES6_EEENSH_IJSG_SG_EEES6_PlJNSB_9not_fun_tI7is_trueItEEEEEE10hipError_tPvRmT3_T4_T5_T6_T7_T9_mT8_P12ihipStream_tbDpT10_ENKUlT_T0_E_clISt17integral_constantIbLb0EES1A_IbLb1EEEEDaS16_S17_EUlS16_E_NS1_11comp_targetILNS1_3genE3ELNS1_11target_archE908ELNS1_3gpuE7ELNS1_3repE0EEENS1_30default_config_static_selectorELNS0_4arch9wavefront6targetE0EEEvT1_,"axG",@progbits,_ZN7rocprim17ROCPRIM_400000_NS6detail17trampoline_kernelINS0_14default_configENS1_25partition_config_selectorILNS1_17partition_subalgoE6EtNS0_10empty_typeEbEEZZNS1_14partition_implILS5_6ELb0ES3_mN6thrust23THRUST_200600_302600_NS6detail15normal_iteratorINSA_10device_ptrItEEEEPS6_SG_NS0_5tupleIJNSA_16discard_iteratorINSA_11use_defaultEEES6_EEENSH_IJSG_SG_EEES6_PlJNSB_9not_fun_tI7is_trueItEEEEEE10hipError_tPvRmT3_T4_T5_T6_T7_T9_mT8_P12ihipStream_tbDpT10_ENKUlT_T0_E_clISt17integral_constantIbLb0EES1A_IbLb1EEEEDaS16_S17_EUlS16_E_NS1_11comp_targetILNS1_3genE3ELNS1_11target_archE908ELNS1_3gpuE7ELNS1_3repE0EEENS1_30default_config_static_selectorELNS0_4arch9wavefront6targetE0EEEvT1_,comdat
	.protected	_ZN7rocprim17ROCPRIM_400000_NS6detail17trampoline_kernelINS0_14default_configENS1_25partition_config_selectorILNS1_17partition_subalgoE6EtNS0_10empty_typeEbEEZZNS1_14partition_implILS5_6ELb0ES3_mN6thrust23THRUST_200600_302600_NS6detail15normal_iteratorINSA_10device_ptrItEEEEPS6_SG_NS0_5tupleIJNSA_16discard_iteratorINSA_11use_defaultEEES6_EEENSH_IJSG_SG_EEES6_PlJNSB_9not_fun_tI7is_trueItEEEEEE10hipError_tPvRmT3_T4_T5_T6_T7_T9_mT8_P12ihipStream_tbDpT10_ENKUlT_T0_E_clISt17integral_constantIbLb0EES1A_IbLb1EEEEDaS16_S17_EUlS16_E_NS1_11comp_targetILNS1_3genE3ELNS1_11target_archE908ELNS1_3gpuE7ELNS1_3repE0EEENS1_30default_config_static_selectorELNS0_4arch9wavefront6targetE0EEEvT1_ ; -- Begin function _ZN7rocprim17ROCPRIM_400000_NS6detail17trampoline_kernelINS0_14default_configENS1_25partition_config_selectorILNS1_17partition_subalgoE6EtNS0_10empty_typeEbEEZZNS1_14partition_implILS5_6ELb0ES3_mN6thrust23THRUST_200600_302600_NS6detail15normal_iteratorINSA_10device_ptrItEEEEPS6_SG_NS0_5tupleIJNSA_16discard_iteratorINSA_11use_defaultEEES6_EEENSH_IJSG_SG_EEES6_PlJNSB_9not_fun_tI7is_trueItEEEEEE10hipError_tPvRmT3_T4_T5_T6_T7_T9_mT8_P12ihipStream_tbDpT10_ENKUlT_T0_E_clISt17integral_constantIbLb0EES1A_IbLb1EEEEDaS16_S17_EUlS16_E_NS1_11comp_targetILNS1_3genE3ELNS1_11target_archE908ELNS1_3gpuE7ELNS1_3repE0EEENS1_30default_config_static_selectorELNS0_4arch9wavefront6targetE0EEEvT1_
	.globl	_ZN7rocprim17ROCPRIM_400000_NS6detail17trampoline_kernelINS0_14default_configENS1_25partition_config_selectorILNS1_17partition_subalgoE6EtNS0_10empty_typeEbEEZZNS1_14partition_implILS5_6ELb0ES3_mN6thrust23THRUST_200600_302600_NS6detail15normal_iteratorINSA_10device_ptrItEEEEPS6_SG_NS0_5tupleIJNSA_16discard_iteratorINSA_11use_defaultEEES6_EEENSH_IJSG_SG_EEES6_PlJNSB_9not_fun_tI7is_trueItEEEEEE10hipError_tPvRmT3_T4_T5_T6_T7_T9_mT8_P12ihipStream_tbDpT10_ENKUlT_T0_E_clISt17integral_constantIbLb0EES1A_IbLb1EEEEDaS16_S17_EUlS16_E_NS1_11comp_targetILNS1_3genE3ELNS1_11target_archE908ELNS1_3gpuE7ELNS1_3repE0EEENS1_30default_config_static_selectorELNS0_4arch9wavefront6targetE0EEEvT1_
	.p2align	8
	.type	_ZN7rocprim17ROCPRIM_400000_NS6detail17trampoline_kernelINS0_14default_configENS1_25partition_config_selectorILNS1_17partition_subalgoE6EtNS0_10empty_typeEbEEZZNS1_14partition_implILS5_6ELb0ES3_mN6thrust23THRUST_200600_302600_NS6detail15normal_iteratorINSA_10device_ptrItEEEEPS6_SG_NS0_5tupleIJNSA_16discard_iteratorINSA_11use_defaultEEES6_EEENSH_IJSG_SG_EEES6_PlJNSB_9not_fun_tI7is_trueItEEEEEE10hipError_tPvRmT3_T4_T5_T6_T7_T9_mT8_P12ihipStream_tbDpT10_ENKUlT_T0_E_clISt17integral_constantIbLb0EES1A_IbLb1EEEEDaS16_S17_EUlS16_E_NS1_11comp_targetILNS1_3genE3ELNS1_11target_archE908ELNS1_3gpuE7ELNS1_3repE0EEENS1_30default_config_static_selectorELNS0_4arch9wavefront6targetE0EEEvT1_,@function
_ZN7rocprim17ROCPRIM_400000_NS6detail17trampoline_kernelINS0_14default_configENS1_25partition_config_selectorILNS1_17partition_subalgoE6EtNS0_10empty_typeEbEEZZNS1_14partition_implILS5_6ELb0ES3_mN6thrust23THRUST_200600_302600_NS6detail15normal_iteratorINSA_10device_ptrItEEEEPS6_SG_NS0_5tupleIJNSA_16discard_iteratorINSA_11use_defaultEEES6_EEENSH_IJSG_SG_EEES6_PlJNSB_9not_fun_tI7is_trueItEEEEEE10hipError_tPvRmT3_T4_T5_T6_T7_T9_mT8_P12ihipStream_tbDpT10_ENKUlT_T0_E_clISt17integral_constantIbLb0EES1A_IbLb1EEEEDaS16_S17_EUlS16_E_NS1_11comp_targetILNS1_3genE3ELNS1_11target_archE908ELNS1_3gpuE7ELNS1_3repE0EEENS1_30default_config_static_selectorELNS0_4arch9wavefront6targetE0EEEvT1_: ; @_ZN7rocprim17ROCPRIM_400000_NS6detail17trampoline_kernelINS0_14default_configENS1_25partition_config_selectorILNS1_17partition_subalgoE6EtNS0_10empty_typeEbEEZZNS1_14partition_implILS5_6ELb0ES3_mN6thrust23THRUST_200600_302600_NS6detail15normal_iteratorINSA_10device_ptrItEEEEPS6_SG_NS0_5tupleIJNSA_16discard_iteratorINSA_11use_defaultEEES6_EEENSH_IJSG_SG_EEES6_PlJNSB_9not_fun_tI7is_trueItEEEEEE10hipError_tPvRmT3_T4_T5_T6_T7_T9_mT8_P12ihipStream_tbDpT10_ENKUlT_T0_E_clISt17integral_constantIbLb0EES1A_IbLb1EEEEDaS16_S17_EUlS16_E_NS1_11comp_targetILNS1_3genE3ELNS1_11target_archE908ELNS1_3gpuE7ELNS1_3repE0EEENS1_30default_config_static_selectorELNS0_4arch9wavefront6targetE0EEEvT1_
; %bb.0:
	.section	.rodata,"a",@progbits
	.p2align	6, 0x0
	.amdhsa_kernel _ZN7rocprim17ROCPRIM_400000_NS6detail17trampoline_kernelINS0_14default_configENS1_25partition_config_selectorILNS1_17partition_subalgoE6EtNS0_10empty_typeEbEEZZNS1_14partition_implILS5_6ELb0ES3_mN6thrust23THRUST_200600_302600_NS6detail15normal_iteratorINSA_10device_ptrItEEEEPS6_SG_NS0_5tupleIJNSA_16discard_iteratorINSA_11use_defaultEEES6_EEENSH_IJSG_SG_EEES6_PlJNSB_9not_fun_tI7is_trueItEEEEEE10hipError_tPvRmT3_T4_T5_T6_T7_T9_mT8_P12ihipStream_tbDpT10_ENKUlT_T0_E_clISt17integral_constantIbLb0EES1A_IbLb1EEEEDaS16_S17_EUlS16_E_NS1_11comp_targetILNS1_3genE3ELNS1_11target_archE908ELNS1_3gpuE7ELNS1_3repE0EEENS1_30default_config_static_selectorELNS0_4arch9wavefront6targetE0EEEvT1_
		.amdhsa_group_segment_fixed_size 0
		.amdhsa_private_segment_fixed_size 0
		.amdhsa_kernarg_size 136
		.amdhsa_user_sgpr_count 2
		.amdhsa_user_sgpr_dispatch_ptr 0
		.amdhsa_user_sgpr_queue_ptr 0
		.amdhsa_user_sgpr_kernarg_segment_ptr 1
		.amdhsa_user_sgpr_dispatch_id 0
		.amdhsa_user_sgpr_private_segment_size 0
		.amdhsa_wavefront_size32 1
		.amdhsa_uses_dynamic_stack 0
		.amdhsa_enable_private_segment 0
		.amdhsa_system_sgpr_workgroup_id_x 1
		.amdhsa_system_sgpr_workgroup_id_y 0
		.amdhsa_system_sgpr_workgroup_id_z 0
		.amdhsa_system_sgpr_workgroup_info 0
		.amdhsa_system_vgpr_workitem_id 0
		.amdhsa_next_free_vgpr 1
		.amdhsa_next_free_sgpr 1
		.amdhsa_reserve_vcc 0
		.amdhsa_float_round_mode_32 0
		.amdhsa_float_round_mode_16_64 0
		.amdhsa_float_denorm_mode_32 3
		.amdhsa_float_denorm_mode_16_64 3
		.amdhsa_fp16_overflow 0
		.amdhsa_workgroup_processor_mode 1
		.amdhsa_memory_ordered 1
		.amdhsa_forward_progress 1
		.amdhsa_inst_pref_size 0
		.amdhsa_round_robin_scheduling 0
		.amdhsa_exception_fp_ieee_invalid_op 0
		.amdhsa_exception_fp_denorm_src 0
		.amdhsa_exception_fp_ieee_div_zero 0
		.amdhsa_exception_fp_ieee_overflow 0
		.amdhsa_exception_fp_ieee_underflow 0
		.amdhsa_exception_fp_ieee_inexact 0
		.amdhsa_exception_int_div_zero 0
	.end_amdhsa_kernel
	.section	.text._ZN7rocprim17ROCPRIM_400000_NS6detail17trampoline_kernelINS0_14default_configENS1_25partition_config_selectorILNS1_17partition_subalgoE6EtNS0_10empty_typeEbEEZZNS1_14partition_implILS5_6ELb0ES3_mN6thrust23THRUST_200600_302600_NS6detail15normal_iteratorINSA_10device_ptrItEEEEPS6_SG_NS0_5tupleIJNSA_16discard_iteratorINSA_11use_defaultEEES6_EEENSH_IJSG_SG_EEES6_PlJNSB_9not_fun_tI7is_trueItEEEEEE10hipError_tPvRmT3_T4_T5_T6_T7_T9_mT8_P12ihipStream_tbDpT10_ENKUlT_T0_E_clISt17integral_constantIbLb0EES1A_IbLb1EEEEDaS16_S17_EUlS16_E_NS1_11comp_targetILNS1_3genE3ELNS1_11target_archE908ELNS1_3gpuE7ELNS1_3repE0EEENS1_30default_config_static_selectorELNS0_4arch9wavefront6targetE0EEEvT1_,"axG",@progbits,_ZN7rocprim17ROCPRIM_400000_NS6detail17trampoline_kernelINS0_14default_configENS1_25partition_config_selectorILNS1_17partition_subalgoE6EtNS0_10empty_typeEbEEZZNS1_14partition_implILS5_6ELb0ES3_mN6thrust23THRUST_200600_302600_NS6detail15normal_iteratorINSA_10device_ptrItEEEEPS6_SG_NS0_5tupleIJNSA_16discard_iteratorINSA_11use_defaultEEES6_EEENSH_IJSG_SG_EEES6_PlJNSB_9not_fun_tI7is_trueItEEEEEE10hipError_tPvRmT3_T4_T5_T6_T7_T9_mT8_P12ihipStream_tbDpT10_ENKUlT_T0_E_clISt17integral_constantIbLb0EES1A_IbLb1EEEEDaS16_S17_EUlS16_E_NS1_11comp_targetILNS1_3genE3ELNS1_11target_archE908ELNS1_3gpuE7ELNS1_3repE0EEENS1_30default_config_static_selectorELNS0_4arch9wavefront6targetE0EEEvT1_,comdat
.Lfunc_end2232:
	.size	_ZN7rocprim17ROCPRIM_400000_NS6detail17trampoline_kernelINS0_14default_configENS1_25partition_config_selectorILNS1_17partition_subalgoE6EtNS0_10empty_typeEbEEZZNS1_14partition_implILS5_6ELb0ES3_mN6thrust23THRUST_200600_302600_NS6detail15normal_iteratorINSA_10device_ptrItEEEEPS6_SG_NS0_5tupleIJNSA_16discard_iteratorINSA_11use_defaultEEES6_EEENSH_IJSG_SG_EEES6_PlJNSB_9not_fun_tI7is_trueItEEEEEE10hipError_tPvRmT3_T4_T5_T6_T7_T9_mT8_P12ihipStream_tbDpT10_ENKUlT_T0_E_clISt17integral_constantIbLb0EES1A_IbLb1EEEEDaS16_S17_EUlS16_E_NS1_11comp_targetILNS1_3genE3ELNS1_11target_archE908ELNS1_3gpuE7ELNS1_3repE0EEENS1_30default_config_static_selectorELNS0_4arch9wavefront6targetE0EEEvT1_, .Lfunc_end2232-_ZN7rocprim17ROCPRIM_400000_NS6detail17trampoline_kernelINS0_14default_configENS1_25partition_config_selectorILNS1_17partition_subalgoE6EtNS0_10empty_typeEbEEZZNS1_14partition_implILS5_6ELb0ES3_mN6thrust23THRUST_200600_302600_NS6detail15normal_iteratorINSA_10device_ptrItEEEEPS6_SG_NS0_5tupleIJNSA_16discard_iteratorINSA_11use_defaultEEES6_EEENSH_IJSG_SG_EEES6_PlJNSB_9not_fun_tI7is_trueItEEEEEE10hipError_tPvRmT3_T4_T5_T6_T7_T9_mT8_P12ihipStream_tbDpT10_ENKUlT_T0_E_clISt17integral_constantIbLb0EES1A_IbLb1EEEEDaS16_S17_EUlS16_E_NS1_11comp_targetILNS1_3genE3ELNS1_11target_archE908ELNS1_3gpuE7ELNS1_3repE0EEENS1_30default_config_static_selectorELNS0_4arch9wavefront6targetE0EEEvT1_
                                        ; -- End function
	.set _ZN7rocprim17ROCPRIM_400000_NS6detail17trampoline_kernelINS0_14default_configENS1_25partition_config_selectorILNS1_17partition_subalgoE6EtNS0_10empty_typeEbEEZZNS1_14partition_implILS5_6ELb0ES3_mN6thrust23THRUST_200600_302600_NS6detail15normal_iteratorINSA_10device_ptrItEEEEPS6_SG_NS0_5tupleIJNSA_16discard_iteratorINSA_11use_defaultEEES6_EEENSH_IJSG_SG_EEES6_PlJNSB_9not_fun_tI7is_trueItEEEEEE10hipError_tPvRmT3_T4_T5_T6_T7_T9_mT8_P12ihipStream_tbDpT10_ENKUlT_T0_E_clISt17integral_constantIbLb0EES1A_IbLb1EEEEDaS16_S17_EUlS16_E_NS1_11comp_targetILNS1_3genE3ELNS1_11target_archE908ELNS1_3gpuE7ELNS1_3repE0EEENS1_30default_config_static_selectorELNS0_4arch9wavefront6targetE0EEEvT1_.num_vgpr, 0
	.set _ZN7rocprim17ROCPRIM_400000_NS6detail17trampoline_kernelINS0_14default_configENS1_25partition_config_selectorILNS1_17partition_subalgoE6EtNS0_10empty_typeEbEEZZNS1_14partition_implILS5_6ELb0ES3_mN6thrust23THRUST_200600_302600_NS6detail15normal_iteratorINSA_10device_ptrItEEEEPS6_SG_NS0_5tupleIJNSA_16discard_iteratorINSA_11use_defaultEEES6_EEENSH_IJSG_SG_EEES6_PlJNSB_9not_fun_tI7is_trueItEEEEEE10hipError_tPvRmT3_T4_T5_T6_T7_T9_mT8_P12ihipStream_tbDpT10_ENKUlT_T0_E_clISt17integral_constantIbLb0EES1A_IbLb1EEEEDaS16_S17_EUlS16_E_NS1_11comp_targetILNS1_3genE3ELNS1_11target_archE908ELNS1_3gpuE7ELNS1_3repE0EEENS1_30default_config_static_selectorELNS0_4arch9wavefront6targetE0EEEvT1_.num_agpr, 0
	.set _ZN7rocprim17ROCPRIM_400000_NS6detail17trampoline_kernelINS0_14default_configENS1_25partition_config_selectorILNS1_17partition_subalgoE6EtNS0_10empty_typeEbEEZZNS1_14partition_implILS5_6ELb0ES3_mN6thrust23THRUST_200600_302600_NS6detail15normal_iteratorINSA_10device_ptrItEEEEPS6_SG_NS0_5tupleIJNSA_16discard_iteratorINSA_11use_defaultEEES6_EEENSH_IJSG_SG_EEES6_PlJNSB_9not_fun_tI7is_trueItEEEEEE10hipError_tPvRmT3_T4_T5_T6_T7_T9_mT8_P12ihipStream_tbDpT10_ENKUlT_T0_E_clISt17integral_constantIbLb0EES1A_IbLb1EEEEDaS16_S17_EUlS16_E_NS1_11comp_targetILNS1_3genE3ELNS1_11target_archE908ELNS1_3gpuE7ELNS1_3repE0EEENS1_30default_config_static_selectorELNS0_4arch9wavefront6targetE0EEEvT1_.numbered_sgpr, 0
	.set _ZN7rocprim17ROCPRIM_400000_NS6detail17trampoline_kernelINS0_14default_configENS1_25partition_config_selectorILNS1_17partition_subalgoE6EtNS0_10empty_typeEbEEZZNS1_14partition_implILS5_6ELb0ES3_mN6thrust23THRUST_200600_302600_NS6detail15normal_iteratorINSA_10device_ptrItEEEEPS6_SG_NS0_5tupleIJNSA_16discard_iteratorINSA_11use_defaultEEES6_EEENSH_IJSG_SG_EEES6_PlJNSB_9not_fun_tI7is_trueItEEEEEE10hipError_tPvRmT3_T4_T5_T6_T7_T9_mT8_P12ihipStream_tbDpT10_ENKUlT_T0_E_clISt17integral_constantIbLb0EES1A_IbLb1EEEEDaS16_S17_EUlS16_E_NS1_11comp_targetILNS1_3genE3ELNS1_11target_archE908ELNS1_3gpuE7ELNS1_3repE0EEENS1_30default_config_static_selectorELNS0_4arch9wavefront6targetE0EEEvT1_.num_named_barrier, 0
	.set _ZN7rocprim17ROCPRIM_400000_NS6detail17trampoline_kernelINS0_14default_configENS1_25partition_config_selectorILNS1_17partition_subalgoE6EtNS0_10empty_typeEbEEZZNS1_14partition_implILS5_6ELb0ES3_mN6thrust23THRUST_200600_302600_NS6detail15normal_iteratorINSA_10device_ptrItEEEEPS6_SG_NS0_5tupleIJNSA_16discard_iteratorINSA_11use_defaultEEES6_EEENSH_IJSG_SG_EEES6_PlJNSB_9not_fun_tI7is_trueItEEEEEE10hipError_tPvRmT3_T4_T5_T6_T7_T9_mT8_P12ihipStream_tbDpT10_ENKUlT_T0_E_clISt17integral_constantIbLb0EES1A_IbLb1EEEEDaS16_S17_EUlS16_E_NS1_11comp_targetILNS1_3genE3ELNS1_11target_archE908ELNS1_3gpuE7ELNS1_3repE0EEENS1_30default_config_static_selectorELNS0_4arch9wavefront6targetE0EEEvT1_.private_seg_size, 0
	.set _ZN7rocprim17ROCPRIM_400000_NS6detail17trampoline_kernelINS0_14default_configENS1_25partition_config_selectorILNS1_17partition_subalgoE6EtNS0_10empty_typeEbEEZZNS1_14partition_implILS5_6ELb0ES3_mN6thrust23THRUST_200600_302600_NS6detail15normal_iteratorINSA_10device_ptrItEEEEPS6_SG_NS0_5tupleIJNSA_16discard_iteratorINSA_11use_defaultEEES6_EEENSH_IJSG_SG_EEES6_PlJNSB_9not_fun_tI7is_trueItEEEEEE10hipError_tPvRmT3_T4_T5_T6_T7_T9_mT8_P12ihipStream_tbDpT10_ENKUlT_T0_E_clISt17integral_constantIbLb0EES1A_IbLb1EEEEDaS16_S17_EUlS16_E_NS1_11comp_targetILNS1_3genE3ELNS1_11target_archE908ELNS1_3gpuE7ELNS1_3repE0EEENS1_30default_config_static_selectorELNS0_4arch9wavefront6targetE0EEEvT1_.uses_vcc, 0
	.set _ZN7rocprim17ROCPRIM_400000_NS6detail17trampoline_kernelINS0_14default_configENS1_25partition_config_selectorILNS1_17partition_subalgoE6EtNS0_10empty_typeEbEEZZNS1_14partition_implILS5_6ELb0ES3_mN6thrust23THRUST_200600_302600_NS6detail15normal_iteratorINSA_10device_ptrItEEEEPS6_SG_NS0_5tupleIJNSA_16discard_iteratorINSA_11use_defaultEEES6_EEENSH_IJSG_SG_EEES6_PlJNSB_9not_fun_tI7is_trueItEEEEEE10hipError_tPvRmT3_T4_T5_T6_T7_T9_mT8_P12ihipStream_tbDpT10_ENKUlT_T0_E_clISt17integral_constantIbLb0EES1A_IbLb1EEEEDaS16_S17_EUlS16_E_NS1_11comp_targetILNS1_3genE3ELNS1_11target_archE908ELNS1_3gpuE7ELNS1_3repE0EEENS1_30default_config_static_selectorELNS0_4arch9wavefront6targetE0EEEvT1_.uses_flat_scratch, 0
	.set _ZN7rocprim17ROCPRIM_400000_NS6detail17trampoline_kernelINS0_14default_configENS1_25partition_config_selectorILNS1_17partition_subalgoE6EtNS0_10empty_typeEbEEZZNS1_14partition_implILS5_6ELb0ES3_mN6thrust23THRUST_200600_302600_NS6detail15normal_iteratorINSA_10device_ptrItEEEEPS6_SG_NS0_5tupleIJNSA_16discard_iteratorINSA_11use_defaultEEES6_EEENSH_IJSG_SG_EEES6_PlJNSB_9not_fun_tI7is_trueItEEEEEE10hipError_tPvRmT3_T4_T5_T6_T7_T9_mT8_P12ihipStream_tbDpT10_ENKUlT_T0_E_clISt17integral_constantIbLb0EES1A_IbLb1EEEEDaS16_S17_EUlS16_E_NS1_11comp_targetILNS1_3genE3ELNS1_11target_archE908ELNS1_3gpuE7ELNS1_3repE0EEENS1_30default_config_static_selectorELNS0_4arch9wavefront6targetE0EEEvT1_.has_dyn_sized_stack, 0
	.set _ZN7rocprim17ROCPRIM_400000_NS6detail17trampoline_kernelINS0_14default_configENS1_25partition_config_selectorILNS1_17partition_subalgoE6EtNS0_10empty_typeEbEEZZNS1_14partition_implILS5_6ELb0ES3_mN6thrust23THRUST_200600_302600_NS6detail15normal_iteratorINSA_10device_ptrItEEEEPS6_SG_NS0_5tupleIJNSA_16discard_iteratorINSA_11use_defaultEEES6_EEENSH_IJSG_SG_EEES6_PlJNSB_9not_fun_tI7is_trueItEEEEEE10hipError_tPvRmT3_T4_T5_T6_T7_T9_mT8_P12ihipStream_tbDpT10_ENKUlT_T0_E_clISt17integral_constantIbLb0EES1A_IbLb1EEEEDaS16_S17_EUlS16_E_NS1_11comp_targetILNS1_3genE3ELNS1_11target_archE908ELNS1_3gpuE7ELNS1_3repE0EEENS1_30default_config_static_selectorELNS0_4arch9wavefront6targetE0EEEvT1_.has_recursion, 0
	.set _ZN7rocprim17ROCPRIM_400000_NS6detail17trampoline_kernelINS0_14default_configENS1_25partition_config_selectorILNS1_17partition_subalgoE6EtNS0_10empty_typeEbEEZZNS1_14partition_implILS5_6ELb0ES3_mN6thrust23THRUST_200600_302600_NS6detail15normal_iteratorINSA_10device_ptrItEEEEPS6_SG_NS0_5tupleIJNSA_16discard_iteratorINSA_11use_defaultEEES6_EEENSH_IJSG_SG_EEES6_PlJNSB_9not_fun_tI7is_trueItEEEEEE10hipError_tPvRmT3_T4_T5_T6_T7_T9_mT8_P12ihipStream_tbDpT10_ENKUlT_T0_E_clISt17integral_constantIbLb0EES1A_IbLb1EEEEDaS16_S17_EUlS16_E_NS1_11comp_targetILNS1_3genE3ELNS1_11target_archE908ELNS1_3gpuE7ELNS1_3repE0EEENS1_30default_config_static_selectorELNS0_4arch9wavefront6targetE0EEEvT1_.has_indirect_call, 0
	.section	.AMDGPU.csdata,"",@progbits
; Kernel info:
; codeLenInByte = 0
; TotalNumSgprs: 0
; NumVgprs: 0
; ScratchSize: 0
; MemoryBound: 0
; FloatMode: 240
; IeeeMode: 1
; LDSByteSize: 0 bytes/workgroup (compile time only)
; SGPRBlocks: 0
; VGPRBlocks: 0
; NumSGPRsForWavesPerEU: 1
; NumVGPRsForWavesPerEU: 1
; Occupancy: 16
; WaveLimiterHint : 0
; COMPUTE_PGM_RSRC2:SCRATCH_EN: 0
; COMPUTE_PGM_RSRC2:USER_SGPR: 2
; COMPUTE_PGM_RSRC2:TRAP_HANDLER: 0
; COMPUTE_PGM_RSRC2:TGID_X_EN: 1
; COMPUTE_PGM_RSRC2:TGID_Y_EN: 0
; COMPUTE_PGM_RSRC2:TGID_Z_EN: 0
; COMPUTE_PGM_RSRC2:TIDIG_COMP_CNT: 0
	.section	.text._ZN7rocprim17ROCPRIM_400000_NS6detail17trampoline_kernelINS0_14default_configENS1_25partition_config_selectorILNS1_17partition_subalgoE6EtNS0_10empty_typeEbEEZZNS1_14partition_implILS5_6ELb0ES3_mN6thrust23THRUST_200600_302600_NS6detail15normal_iteratorINSA_10device_ptrItEEEEPS6_SG_NS0_5tupleIJNSA_16discard_iteratorINSA_11use_defaultEEES6_EEENSH_IJSG_SG_EEES6_PlJNSB_9not_fun_tI7is_trueItEEEEEE10hipError_tPvRmT3_T4_T5_T6_T7_T9_mT8_P12ihipStream_tbDpT10_ENKUlT_T0_E_clISt17integral_constantIbLb0EES1A_IbLb1EEEEDaS16_S17_EUlS16_E_NS1_11comp_targetILNS1_3genE2ELNS1_11target_archE906ELNS1_3gpuE6ELNS1_3repE0EEENS1_30default_config_static_selectorELNS0_4arch9wavefront6targetE0EEEvT1_,"axG",@progbits,_ZN7rocprim17ROCPRIM_400000_NS6detail17trampoline_kernelINS0_14default_configENS1_25partition_config_selectorILNS1_17partition_subalgoE6EtNS0_10empty_typeEbEEZZNS1_14partition_implILS5_6ELb0ES3_mN6thrust23THRUST_200600_302600_NS6detail15normal_iteratorINSA_10device_ptrItEEEEPS6_SG_NS0_5tupleIJNSA_16discard_iteratorINSA_11use_defaultEEES6_EEENSH_IJSG_SG_EEES6_PlJNSB_9not_fun_tI7is_trueItEEEEEE10hipError_tPvRmT3_T4_T5_T6_T7_T9_mT8_P12ihipStream_tbDpT10_ENKUlT_T0_E_clISt17integral_constantIbLb0EES1A_IbLb1EEEEDaS16_S17_EUlS16_E_NS1_11comp_targetILNS1_3genE2ELNS1_11target_archE906ELNS1_3gpuE6ELNS1_3repE0EEENS1_30default_config_static_selectorELNS0_4arch9wavefront6targetE0EEEvT1_,comdat
	.protected	_ZN7rocprim17ROCPRIM_400000_NS6detail17trampoline_kernelINS0_14default_configENS1_25partition_config_selectorILNS1_17partition_subalgoE6EtNS0_10empty_typeEbEEZZNS1_14partition_implILS5_6ELb0ES3_mN6thrust23THRUST_200600_302600_NS6detail15normal_iteratorINSA_10device_ptrItEEEEPS6_SG_NS0_5tupleIJNSA_16discard_iteratorINSA_11use_defaultEEES6_EEENSH_IJSG_SG_EEES6_PlJNSB_9not_fun_tI7is_trueItEEEEEE10hipError_tPvRmT3_T4_T5_T6_T7_T9_mT8_P12ihipStream_tbDpT10_ENKUlT_T0_E_clISt17integral_constantIbLb0EES1A_IbLb1EEEEDaS16_S17_EUlS16_E_NS1_11comp_targetILNS1_3genE2ELNS1_11target_archE906ELNS1_3gpuE6ELNS1_3repE0EEENS1_30default_config_static_selectorELNS0_4arch9wavefront6targetE0EEEvT1_ ; -- Begin function _ZN7rocprim17ROCPRIM_400000_NS6detail17trampoline_kernelINS0_14default_configENS1_25partition_config_selectorILNS1_17partition_subalgoE6EtNS0_10empty_typeEbEEZZNS1_14partition_implILS5_6ELb0ES3_mN6thrust23THRUST_200600_302600_NS6detail15normal_iteratorINSA_10device_ptrItEEEEPS6_SG_NS0_5tupleIJNSA_16discard_iteratorINSA_11use_defaultEEES6_EEENSH_IJSG_SG_EEES6_PlJNSB_9not_fun_tI7is_trueItEEEEEE10hipError_tPvRmT3_T4_T5_T6_T7_T9_mT8_P12ihipStream_tbDpT10_ENKUlT_T0_E_clISt17integral_constantIbLb0EES1A_IbLb1EEEEDaS16_S17_EUlS16_E_NS1_11comp_targetILNS1_3genE2ELNS1_11target_archE906ELNS1_3gpuE6ELNS1_3repE0EEENS1_30default_config_static_selectorELNS0_4arch9wavefront6targetE0EEEvT1_
	.globl	_ZN7rocprim17ROCPRIM_400000_NS6detail17trampoline_kernelINS0_14default_configENS1_25partition_config_selectorILNS1_17partition_subalgoE6EtNS0_10empty_typeEbEEZZNS1_14partition_implILS5_6ELb0ES3_mN6thrust23THRUST_200600_302600_NS6detail15normal_iteratorINSA_10device_ptrItEEEEPS6_SG_NS0_5tupleIJNSA_16discard_iteratorINSA_11use_defaultEEES6_EEENSH_IJSG_SG_EEES6_PlJNSB_9not_fun_tI7is_trueItEEEEEE10hipError_tPvRmT3_T4_T5_T6_T7_T9_mT8_P12ihipStream_tbDpT10_ENKUlT_T0_E_clISt17integral_constantIbLb0EES1A_IbLb1EEEEDaS16_S17_EUlS16_E_NS1_11comp_targetILNS1_3genE2ELNS1_11target_archE906ELNS1_3gpuE6ELNS1_3repE0EEENS1_30default_config_static_selectorELNS0_4arch9wavefront6targetE0EEEvT1_
	.p2align	8
	.type	_ZN7rocprim17ROCPRIM_400000_NS6detail17trampoline_kernelINS0_14default_configENS1_25partition_config_selectorILNS1_17partition_subalgoE6EtNS0_10empty_typeEbEEZZNS1_14partition_implILS5_6ELb0ES3_mN6thrust23THRUST_200600_302600_NS6detail15normal_iteratorINSA_10device_ptrItEEEEPS6_SG_NS0_5tupleIJNSA_16discard_iteratorINSA_11use_defaultEEES6_EEENSH_IJSG_SG_EEES6_PlJNSB_9not_fun_tI7is_trueItEEEEEE10hipError_tPvRmT3_T4_T5_T6_T7_T9_mT8_P12ihipStream_tbDpT10_ENKUlT_T0_E_clISt17integral_constantIbLb0EES1A_IbLb1EEEEDaS16_S17_EUlS16_E_NS1_11comp_targetILNS1_3genE2ELNS1_11target_archE906ELNS1_3gpuE6ELNS1_3repE0EEENS1_30default_config_static_selectorELNS0_4arch9wavefront6targetE0EEEvT1_,@function
_ZN7rocprim17ROCPRIM_400000_NS6detail17trampoline_kernelINS0_14default_configENS1_25partition_config_selectorILNS1_17partition_subalgoE6EtNS0_10empty_typeEbEEZZNS1_14partition_implILS5_6ELb0ES3_mN6thrust23THRUST_200600_302600_NS6detail15normal_iteratorINSA_10device_ptrItEEEEPS6_SG_NS0_5tupleIJNSA_16discard_iteratorINSA_11use_defaultEEES6_EEENSH_IJSG_SG_EEES6_PlJNSB_9not_fun_tI7is_trueItEEEEEE10hipError_tPvRmT3_T4_T5_T6_T7_T9_mT8_P12ihipStream_tbDpT10_ENKUlT_T0_E_clISt17integral_constantIbLb0EES1A_IbLb1EEEEDaS16_S17_EUlS16_E_NS1_11comp_targetILNS1_3genE2ELNS1_11target_archE906ELNS1_3gpuE6ELNS1_3repE0EEENS1_30default_config_static_selectorELNS0_4arch9wavefront6targetE0EEEvT1_: ; @_ZN7rocprim17ROCPRIM_400000_NS6detail17trampoline_kernelINS0_14default_configENS1_25partition_config_selectorILNS1_17partition_subalgoE6EtNS0_10empty_typeEbEEZZNS1_14partition_implILS5_6ELb0ES3_mN6thrust23THRUST_200600_302600_NS6detail15normal_iteratorINSA_10device_ptrItEEEEPS6_SG_NS0_5tupleIJNSA_16discard_iteratorINSA_11use_defaultEEES6_EEENSH_IJSG_SG_EEES6_PlJNSB_9not_fun_tI7is_trueItEEEEEE10hipError_tPvRmT3_T4_T5_T6_T7_T9_mT8_P12ihipStream_tbDpT10_ENKUlT_T0_E_clISt17integral_constantIbLb0EES1A_IbLb1EEEEDaS16_S17_EUlS16_E_NS1_11comp_targetILNS1_3genE2ELNS1_11target_archE906ELNS1_3gpuE6ELNS1_3repE0EEENS1_30default_config_static_selectorELNS0_4arch9wavefront6targetE0EEEvT1_
; %bb.0:
	.section	.rodata,"a",@progbits
	.p2align	6, 0x0
	.amdhsa_kernel _ZN7rocprim17ROCPRIM_400000_NS6detail17trampoline_kernelINS0_14default_configENS1_25partition_config_selectorILNS1_17partition_subalgoE6EtNS0_10empty_typeEbEEZZNS1_14partition_implILS5_6ELb0ES3_mN6thrust23THRUST_200600_302600_NS6detail15normal_iteratorINSA_10device_ptrItEEEEPS6_SG_NS0_5tupleIJNSA_16discard_iteratorINSA_11use_defaultEEES6_EEENSH_IJSG_SG_EEES6_PlJNSB_9not_fun_tI7is_trueItEEEEEE10hipError_tPvRmT3_T4_T5_T6_T7_T9_mT8_P12ihipStream_tbDpT10_ENKUlT_T0_E_clISt17integral_constantIbLb0EES1A_IbLb1EEEEDaS16_S17_EUlS16_E_NS1_11comp_targetILNS1_3genE2ELNS1_11target_archE906ELNS1_3gpuE6ELNS1_3repE0EEENS1_30default_config_static_selectorELNS0_4arch9wavefront6targetE0EEEvT1_
		.amdhsa_group_segment_fixed_size 0
		.amdhsa_private_segment_fixed_size 0
		.amdhsa_kernarg_size 136
		.amdhsa_user_sgpr_count 2
		.amdhsa_user_sgpr_dispatch_ptr 0
		.amdhsa_user_sgpr_queue_ptr 0
		.amdhsa_user_sgpr_kernarg_segment_ptr 1
		.amdhsa_user_sgpr_dispatch_id 0
		.amdhsa_user_sgpr_private_segment_size 0
		.amdhsa_wavefront_size32 1
		.amdhsa_uses_dynamic_stack 0
		.amdhsa_enable_private_segment 0
		.amdhsa_system_sgpr_workgroup_id_x 1
		.amdhsa_system_sgpr_workgroup_id_y 0
		.amdhsa_system_sgpr_workgroup_id_z 0
		.amdhsa_system_sgpr_workgroup_info 0
		.amdhsa_system_vgpr_workitem_id 0
		.amdhsa_next_free_vgpr 1
		.amdhsa_next_free_sgpr 1
		.amdhsa_reserve_vcc 0
		.amdhsa_float_round_mode_32 0
		.amdhsa_float_round_mode_16_64 0
		.amdhsa_float_denorm_mode_32 3
		.amdhsa_float_denorm_mode_16_64 3
		.amdhsa_fp16_overflow 0
		.amdhsa_workgroup_processor_mode 1
		.amdhsa_memory_ordered 1
		.amdhsa_forward_progress 1
		.amdhsa_inst_pref_size 0
		.amdhsa_round_robin_scheduling 0
		.amdhsa_exception_fp_ieee_invalid_op 0
		.amdhsa_exception_fp_denorm_src 0
		.amdhsa_exception_fp_ieee_div_zero 0
		.amdhsa_exception_fp_ieee_overflow 0
		.amdhsa_exception_fp_ieee_underflow 0
		.amdhsa_exception_fp_ieee_inexact 0
		.amdhsa_exception_int_div_zero 0
	.end_amdhsa_kernel
	.section	.text._ZN7rocprim17ROCPRIM_400000_NS6detail17trampoline_kernelINS0_14default_configENS1_25partition_config_selectorILNS1_17partition_subalgoE6EtNS0_10empty_typeEbEEZZNS1_14partition_implILS5_6ELb0ES3_mN6thrust23THRUST_200600_302600_NS6detail15normal_iteratorINSA_10device_ptrItEEEEPS6_SG_NS0_5tupleIJNSA_16discard_iteratorINSA_11use_defaultEEES6_EEENSH_IJSG_SG_EEES6_PlJNSB_9not_fun_tI7is_trueItEEEEEE10hipError_tPvRmT3_T4_T5_T6_T7_T9_mT8_P12ihipStream_tbDpT10_ENKUlT_T0_E_clISt17integral_constantIbLb0EES1A_IbLb1EEEEDaS16_S17_EUlS16_E_NS1_11comp_targetILNS1_3genE2ELNS1_11target_archE906ELNS1_3gpuE6ELNS1_3repE0EEENS1_30default_config_static_selectorELNS0_4arch9wavefront6targetE0EEEvT1_,"axG",@progbits,_ZN7rocprim17ROCPRIM_400000_NS6detail17trampoline_kernelINS0_14default_configENS1_25partition_config_selectorILNS1_17partition_subalgoE6EtNS0_10empty_typeEbEEZZNS1_14partition_implILS5_6ELb0ES3_mN6thrust23THRUST_200600_302600_NS6detail15normal_iteratorINSA_10device_ptrItEEEEPS6_SG_NS0_5tupleIJNSA_16discard_iteratorINSA_11use_defaultEEES6_EEENSH_IJSG_SG_EEES6_PlJNSB_9not_fun_tI7is_trueItEEEEEE10hipError_tPvRmT3_T4_T5_T6_T7_T9_mT8_P12ihipStream_tbDpT10_ENKUlT_T0_E_clISt17integral_constantIbLb0EES1A_IbLb1EEEEDaS16_S17_EUlS16_E_NS1_11comp_targetILNS1_3genE2ELNS1_11target_archE906ELNS1_3gpuE6ELNS1_3repE0EEENS1_30default_config_static_selectorELNS0_4arch9wavefront6targetE0EEEvT1_,comdat
.Lfunc_end2233:
	.size	_ZN7rocprim17ROCPRIM_400000_NS6detail17trampoline_kernelINS0_14default_configENS1_25partition_config_selectorILNS1_17partition_subalgoE6EtNS0_10empty_typeEbEEZZNS1_14partition_implILS5_6ELb0ES3_mN6thrust23THRUST_200600_302600_NS6detail15normal_iteratorINSA_10device_ptrItEEEEPS6_SG_NS0_5tupleIJNSA_16discard_iteratorINSA_11use_defaultEEES6_EEENSH_IJSG_SG_EEES6_PlJNSB_9not_fun_tI7is_trueItEEEEEE10hipError_tPvRmT3_T4_T5_T6_T7_T9_mT8_P12ihipStream_tbDpT10_ENKUlT_T0_E_clISt17integral_constantIbLb0EES1A_IbLb1EEEEDaS16_S17_EUlS16_E_NS1_11comp_targetILNS1_3genE2ELNS1_11target_archE906ELNS1_3gpuE6ELNS1_3repE0EEENS1_30default_config_static_selectorELNS0_4arch9wavefront6targetE0EEEvT1_, .Lfunc_end2233-_ZN7rocprim17ROCPRIM_400000_NS6detail17trampoline_kernelINS0_14default_configENS1_25partition_config_selectorILNS1_17partition_subalgoE6EtNS0_10empty_typeEbEEZZNS1_14partition_implILS5_6ELb0ES3_mN6thrust23THRUST_200600_302600_NS6detail15normal_iteratorINSA_10device_ptrItEEEEPS6_SG_NS0_5tupleIJNSA_16discard_iteratorINSA_11use_defaultEEES6_EEENSH_IJSG_SG_EEES6_PlJNSB_9not_fun_tI7is_trueItEEEEEE10hipError_tPvRmT3_T4_T5_T6_T7_T9_mT8_P12ihipStream_tbDpT10_ENKUlT_T0_E_clISt17integral_constantIbLb0EES1A_IbLb1EEEEDaS16_S17_EUlS16_E_NS1_11comp_targetILNS1_3genE2ELNS1_11target_archE906ELNS1_3gpuE6ELNS1_3repE0EEENS1_30default_config_static_selectorELNS0_4arch9wavefront6targetE0EEEvT1_
                                        ; -- End function
	.set _ZN7rocprim17ROCPRIM_400000_NS6detail17trampoline_kernelINS0_14default_configENS1_25partition_config_selectorILNS1_17partition_subalgoE6EtNS0_10empty_typeEbEEZZNS1_14partition_implILS5_6ELb0ES3_mN6thrust23THRUST_200600_302600_NS6detail15normal_iteratorINSA_10device_ptrItEEEEPS6_SG_NS0_5tupleIJNSA_16discard_iteratorINSA_11use_defaultEEES6_EEENSH_IJSG_SG_EEES6_PlJNSB_9not_fun_tI7is_trueItEEEEEE10hipError_tPvRmT3_T4_T5_T6_T7_T9_mT8_P12ihipStream_tbDpT10_ENKUlT_T0_E_clISt17integral_constantIbLb0EES1A_IbLb1EEEEDaS16_S17_EUlS16_E_NS1_11comp_targetILNS1_3genE2ELNS1_11target_archE906ELNS1_3gpuE6ELNS1_3repE0EEENS1_30default_config_static_selectorELNS0_4arch9wavefront6targetE0EEEvT1_.num_vgpr, 0
	.set _ZN7rocprim17ROCPRIM_400000_NS6detail17trampoline_kernelINS0_14default_configENS1_25partition_config_selectorILNS1_17partition_subalgoE6EtNS0_10empty_typeEbEEZZNS1_14partition_implILS5_6ELb0ES3_mN6thrust23THRUST_200600_302600_NS6detail15normal_iteratorINSA_10device_ptrItEEEEPS6_SG_NS0_5tupleIJNSA_16discard_iteratorINSA_11use_defaultEEES6_EEENSH_IJSG_SG_EEES6_PlJNSB_9not_fun_tI7is_trueItEEEEEE10hipError_tPvRmT3_T4_T5_T6_T7_T9_mT8_P12ihipStream_tbDpT10_ENKUlT_T0_E_clISt17integral_constantIbLb0EES1A_IbLb1EEEEDaS16_S17_EUlS16_E_NS1_11comp_targetILNS1_3genE2ELNS1_11target_archE906ELNS1_3gpuE6ELNS1_3repE0EEENS1_30default_config_static_selectorELNS0_4arch9wavefront6targetE0EEEvT1_.num_agpr, 0
	.set _ZN7rocprim17ROCPRIM_400000_NS6detail17trampoline_kernelINS0_14default_configENS1_25partition_config_selectorILNS1_17partition_subalgoE6EtNS0_10empty_typeEbEEZZNS1_14partition_implILS5_6ELb0ES3_mN6thrust23THRUST_200600_302600_NS6detail15normal_iteratorINSA_10device_ptrItEEEEPS6_SG_NS0_5tupleIJNSA_16discard_iteratorINSA_11use_defaultEEES6_EEENSH_IJSG_SG_EEES6_PlJNSB_9not_fun_tI7is_trueItEEEEEE10hipError_tPvRmT3_T4_T5_T6_T7_T9_mT8_P12ihipStream_tbDpT10_ENKUlT_T0_E_clISt17integral_constantIbLb0EES1A_IbLb1EEEEDaS16_S17_EUlS16_E_NS1_11comp_targetILNS1_3genE2ELNS1_11target_archE906ELNS1_3gpuE6ELNS1_3repE0EEENS1_30default_config_static_selectorELNS0_4arch9wavefront6targetE0EEEvT1_.numbered_sgpr, 0
	.set _ZN7rocprim17ROCPRIM_400000_NS6detail17trampoline_kernelINS0_14default_configENS1_25partition_config_selectorILNS1_17partition_subalgoE6EtNS0_10empty_typeEbEEZZNS1_14partition_implILS5_6ELb0ES3_mN6thrust23THRUST_200600_302600_NS6detail15normal_iteratorINSA_10device_ptrItEEEEPS6_SG_NS0_5tupleIJNSA_16discard_iteratorINSA_11use_defaultEEES6_EEENSH_IJSG_SG_EEES6_PlJNSB_9not_fun_tI7is_trueItEEEEEE10hipError_tPvRmT3_T4_T5_T6_T7_T9_mT8_P12ihipStream_tbDpT10_ENKUlT_T0_E_clISt17integral_constantIbLb0EES1A_IbLb1EEEEDaS16_S17_EUlS16_E_NS1_11comp_targetILNS1_3genE2ELNS1_11target_archE906ELNS1_3gpuE6ELNS1_3repE0EEENS1_30default_config_static_selectorELNS0_4arch9wavefront6targetE0EEEvT1_.num_named_barrier, 0
	.set _ZN7rocprim17ROCPRIM_400000_NS6detail17trampoline_kernelINS0_14default_configENS1_25partition_config_selectorILNS1_17partition_subalgoE6EtNS0_10empty_typeEbEEZZNS1_14partition_implILS5_6ELb0ES3_mN6thrust23THRUST_200600_302600_NS6detail15normal_iteratorINSA_10device_ptrItEEEEPS6_SG_NS0_5tupleIJNSA_16discard_iteratorINSA_11use_defaultEEES6_EEENSH_IJSG_SG_EEES6_PlJNSB_9not_fun_tI7is_trueItEEEEEE10hipError_tPvRmT3_T4_T5_T6_T7_T9_mT8_P12ihipStream_tbDpT10_ENKUlT_T0_E_clISt17integral_constantIbLb0EES1A_IbLb1EEEEDaS16_S17_EUlS16_E_NS1_11comp_targetILNS1_3genE2ELNS1_11target_archE906ELNS1_3gpuE6ELNS1_3repE0EEENS1_30default_config_static_selectorELNS0_4arch9wavefront6targetE0EEEvT1_.private_seg_size, 0
	.set _ZN7rocprim17ROCPRIM_400000_NS6detail17trampoline_kernelINS0_14default_configENS1_25partition_config_selectorILNS1_17partition_subalgoE6EtNS0_10empty_typeEbEEZZNS1_14partition_implILS5_6ELb0ES3_mN6thrust23THRUST_200600_302600_NS6detail15normal_iteratorINSA_10device_ptrItEEEEPS6_SG_NS0_5tupleIJNSA_16discard_iteratorINSA_11use_defaultEEES6_EEENSH_IJSG_SG_EEES6_PlJNSB_9not_fun_tI7is_trueItEEEEEE10hipError_tPvRmT3_T4_T5_T6_T7_T9_mT8_P12ihipStream_tbDpT10_ENKUlT_T0_E_clISt17integral_constantIbLb0EES1A_IbLb1EEEEDaS16_S17_EUlS16_E_NS1_11comp_targetILNS1_3genE2ELNS1_11target_archE906ELNS1_3gpuE6ELNS1_3repE0EEENS1_30default_config_static_selectorELNS0_4arch9wavefront6targetE0EEEvT1_.uses_vcc, 0
	.set _ZN7rocprim17ROCPRIM_400000_NS6detail17trampoline_kernelINS0_14default_configENS1_25partition_config_selectorILNS1_17partition_subalgoE6EtNS0_10empty_typeEbEEZZNS1_14partition_implILS5_6ELb0ES3_mN6thrust23THRUST_200600_302600_NS6detail15normal_iteratorINSA_10device_ptrItEEEEPS6_SG_NS0_5tupleIJNSA_16discard_iteratorINSA_11use_defaultEEES6_EEENSH_IJSG_SG_EEES6_PlJNSB_9not_fun_tI7is_trueItEEEEEE10hipError_tPvRmT3_T4_T5_T6_T7_T9_mT8_P12ihipStream_tbDpT10_ENKUlT_T0_E_clISt17integral_constantIbLb0EES1A_IbLb1EEEEDaS16_S17_EUlS16_E_NS1_11comp_targetILNS1_3genE2ELNS1_11target_archE906ELNS1_3gpuE6ELNS1_3repE0EEENS1_30default_config_static_selectorELNS0_4arch9wavefront6targetE0EEEvT1_.uses_flat_scratch, 0
	.set _ZN7rocprim17ROCPRIM_400000_NS6detail17trampoline_kernelINS0_14default_configENS1_25partition_config_selectorILNS1_17partition_subalgoE6EtNS0_10empty_typeEbEEZZNS1_14partition_implILS5_6ELb0ES3_mN6thrust23THRUST_200600_302600_NS6detail15normal_iteratorINSA_10device_ptrItEEEEPS6_SG_NS0_5tupleIJNSA_16discard_iteratorINSA_11use_defaultEEES6_EEENSH_IJSG_SG_EEES6_PlJNSB_9not_fun_tI7is_trueItEEEEEE10hipError_tPvRmT3_T4_T5_T6_T7_T9_mT8_P12ihipStream_tbDpT10_ENKUlT_T0_E_clISt17integral_constantIbLb0EES1A_IbLb1EEEEDaS16_S17_EUlS16_E_NS1_11comp_targetILNS1_3genE2ELNS1_11target_archE906ELNS1_3gpuE6ELNS1_3repE0EEENS1_30default_config_static_selectorELNS0_4arch9wavefront6targetE0EEEvT1_.has_dyn_sized_stack, 0
	.set _ZN7rocprim17ROCPRIM_400000_NS6detail17trampoline_kernelINS0_14default_configENS1_25partition_config_selectorILNS1_17partition_subalgoE6EtNS0_10empty_typeEbEEZZNS1_14partition_implILS5_6ELb0ES3_mN6thrust23THRUST_200600_302600_NS6detail15normal_iteratorINSA_10device_ptrItEEEEPS6_SG_NS0_5tupleIJNSA_16discard_iteratorINSA_11use_defaultEEES6_EEENSH_IJSG_SG_EEES6_PlJNSB_9not_fun_tI7is_trueItEEEEEE10hipError_tPvRmT3_T4_T5_T6_T7_T9_mT8_P12ihipStream_tbDpT10_ENKUlT_T0_E_clISt17integral_constantIbLb0EES1A_IbLb1EEEEDaS16_S17_EUlS16_E_NS1_11comp_targetILNS1_3genE2ELNS1_11target_archE906ELNS1_3gpuE6ELNS1_3repE0EEENS1_30default_config_static_selectorELNS0_4arch9wavefront6targetE0EEEvT1_.has_recursion, 0
	.set _ZN7rocprim17ROCPRIM_400000_NS6detail17trampoline_kernelINS0_14default_configENS1_25partition_config_selectorILNS1_17partition_subalgoE6EtNS0_10empty_typeEbEEZZNS1_14partition_implILS5_6ELb0ES3_mN6thrust23THRUST_200600_302600_NS6detail15normal_iteratorINSA_10device_ptrItEEEEPS6_SG_NS0_5tupleIJNSA_16discard_iteratorINSA_11use_defaultEEES6_EEENSH_IJSG_SG_EEES6_PlJNSB_9not_fun_tI7is_trueItEEEEEE10hipError_tPvRmT3_T4_T5_T6_T7_T9_mT8_P12ihipStream_tbDpT10_ENKUlT_T0_E_clISt17integral_constantIbLb0EES1A_IbLb1EEEEDaS16_S17_EUlS16_E_NS1_11comp_targetILNS1_3genE2ELNS1_11target_archE906ELNS1_3gpuE6ELNS1_3repE0EEENS1_30default_config_static_selectorELNS0_4arch9wavefront6targetE0EEEvT1_.has_indirect_call, 0
	.section	.AMDGPU.csdata,"",@progbits
; Kernel info:
; codeLenInByte = 0
; TotalNumSgprs: 0
; NumVgprs: 0
; ScratchSize: 0
; MemoryBound: 0
; FloatMode: 240
; IeeeMode: 1
; LDSByteSize: 0 bytes/workgroup (compile time only)
; SGPRBlocks: 0
; VGPRBlocks: 0
; NumSGPRsForWavesPerEU: 1
; NumVGPRsForWavesPerEU: 1
; Occupancy: 16
; WaveLimiterHint : 0
; COMPUTE_PGM_RSRC2:SCRATCH_EN: 0
; COMPUTE_PGM_RSRC2:USER_SGPR: 2
; COMPUTE_PGM_RSRC2:TRAP_HANDLER: 0
; COMPUTE_PGM_RSRC2:TGID_X_EN: 1
; COMPUTE_PGM_RSRC2:TGID_Y_EN: 0
; COMPUTE_PGM_RSRC2:TGID_Z_EN: 0
; COMPUTE_PGM_RSRC2:TIDIG_COMP_CNT: 0
	.section	.text._ZN7rocprim17ROCPRIM_400000_NS6detail17trampoline_kernelINS0_14default_configENS1_25partition_config_selectorILNS1_17partition_subalgoE6EtNS0_10empty_typeEbEEZZNS1_14partition_implILS5_6ELb0ES3_mN6thrust23THRUST_200600_302600_NS6detail15normal_iteratorINSA_10device_ptrItEEEEPS6_SG_NS0_5tupleIJNSA_16discard_iteratorINSA_11use_defaultEEES6_EEENSH_IJSG_SG_EEES6_PlJNSB_9not_fun_tI7is_trueItEEEEEE10hipError_tPvRmT3_T4_T5_T6_T7_T9_mT8_P12ihipStream_tbDpT10_ENKUlT_T0_E_clISt17integral_constantIbLb0EES1A_IbLb1EEEEDaS16_S17_EUlS16_E_NS1_11comp_targetILNS1_3genE10ELNS1_11target_archE1200ELNS1_3gpuE4ELNS1_3repE0EEENS1_30default_config_static_selectorELNS0_4arch9wavefront6targetE0EEEvT1_,"axG",@progbits,_ZN7rocprim17ROCPRIM_400000_NS6detail17trampoline_kernelINS0_14default_configENS1_25partition_config_selectorILNS1_17partition_subalgoE6EtNS0_10empty_typeEbEEZZNS1_14partition_implILS5_6ELb0ES3_mN6thrust23THRUST_200600_302600_NS6detail15normal_iteratorINSA_10device_ptrItEEEEPS6_SG_NS0_5tupleIJNSA_16discard_iteratorINSA_11use_defaultEEES6_EEENSH_IJSG_SG_EEES6_PlJNSB_9not_fun_tI7is_trueItEEEEEE10hipError_tPvRmT3_T4_T5_T6_T7_T9_mT8_P12ihipStream_tbDpT10_ENKUlT_T0_E_clISt17integral_constantIbLb0EES1A_IbLb1EEEEDaS16_S17_EUlS16_E_NS1_11comp_targetILNS1_3genE10ELNS1_11target_archE1200ELNS1_3gpuE4ELNS1_3repE0EEENS1_30default_config_static_selectorELNS0_4arch9wavefront6targetE0EEEvT1_,comdat
	.protected	_ZN7rocprim17ROCPRIM_400000_NS6detail17trampoline_kernelINS0_14default_configENS1_25partition_config_selectorILNS1_17partition_subalgoE6EtNS0_10empty_typeEbEEZZNS1_14partition_implILS5_6ELb0ES3_mN6thrust23THRUST_200600_302600_NS6detail15normal_iteratorINSA_10device_ptrItEEEEPS6_SG_NS0_5tupleIJNSA_16discard_iteratorINSA_11use_defaultEEES6_EEENSH_IJSG_SG_EEES6_PlJNSB_9not_fun_tI7is_trueItEEEEEE10hipError_tPvRmT3_T4_T5_T6_T7_T9_mT8_P12ihipStream_tbDpT10_ENKUlT_T0_E_clISt17integral_constantIbLb0EES1A_IbLb1EEEEDaS16_S17_EUlS16_E_NS1_11comp_targetILNS1_3genE10ELNS1_11target_archE1200ELNS1_3gpuE4ELNS1_3repE0EEENS1_30default_config_static_selectorELNS0_4arch9wavefront6targetE0EEEvT1_ ; -- Begin function _ZN7rocprim17ROCPRIM_400000_NS6detail17trampoline_kernelINS0_14default_configENS1_25partition_config_selectorILNS1_17partition_subalgoE6EtNS0_10empty_typeEbEEZZNS1_14partition_implILS5_6ELb0ES3_mN6thrust23THRUST_200600_302600_NS6detail15normal_iteratorINSA_10device_ptrItEEEEPS6_SG_NS0_5tupleIJNSA_16discard_iteratorINSA_11use_defaultEEES6_EEENSH_IJSG_SG_EEES6_PlJNSB_9not_fun_tI7is_trueItEEEEEE10hipError_tPvRmT3_T4_T5_T6_T7_T9_mT8_P12ihipStream_tbDpT10_ENKUlT_T0_E_clISt17integral_constantIbLb0EES1A_IbLb1EEEEDaS16_S17_EUlS16_E_NS1_11comp_targetILNS1_3genE10ELNS1_11target_archE1200ELNS1_3gpuE4ELNS1_3repE0EEENS1_30default_config_static_selectorELNS0_4arch9wavefront6targetE0EEEvT1_
	.globl	_ZN7rocprim17ROCPRIM_400000_NS6detail17trampoline_kernelINS0_14default_configENS1_25partition_config_selectorILNS1_17partition_subalgoE6EtNS0_10empty_typeEbEEZZNS1_14partition_implILS5_6ELb0ES3_mN6thrust23THRUST_200600_302600_NS6detail15normal_iteratorINSA_10device_ptrItEEEEPS6_SG_NS0_5tupleIJNSA_16discard_iteratorINSA_11use_defaultEEES6_EEENSH_IJSG_SG_EEES6_PlJNSB_9not_fun_tI7is_trueItEEEEEE10hipError_tPvRmT3_T4_T5_T6_T7_T9_mT8_P12ihipStream_tbDpT10_ENKUlT_T0_E_clISt17integral_constantIbLb0EES1A_IbLb1EEEEDaS16_S17_EUlS16_E_NS1_11comp_targetILNS1_3genE10ELNS1_11target_archE1200ELNS1_3gpuE4ELNS1_3repE0EEENS1_30default_config_static_selectorELNS0_4arch9wavefront6targetE0EEEvT1_
	.p2align	8
	.type	_ZN7rocprim17ROCPRIM_400000_NS6detail17trampoline_kernelINS0_14default_configENS1_25partition_config_selectorILNS1_17partition_subalgoE6EtNS0_10empty_typeEbEEZZNS1_14partition_implILS5_6ELb0ES3_mN6thrust23THRUST_200600_302600_NS6detail15normal_iteratorINSA_10device_ptrItEEEEPS6_SG_NS0_5tupleIJNSA_16discard_iteratorINSA_11use_defaultEEES6_EEENSH_IJSG_SG_EEES6_PlJNSB_9not_fun_tI7is_trueItEEEEEE10hipError_tPvRmT3_T4_T5_T6_T7_T9_mT8_P12ihipStream_tbDpT10_ENKUlT_T0_E_clISt17integral_constantIbLb0EES1A_IbLb1EEEEDaS16_S17_EUlS16_E_NS1_11comp_targetILNS1_3genE10ELNS1_11target_archE1200ELNS1_3gpuE4ELNS1_3repE0EEENS1_30default_config_static_selectorELNS0_4arch9wavefront6targetE0EEEvT1_,@function
_ZN7rocprim17ROCPRIM_400000_NS6detail17trampoline_kernelINS0_14default_configENS1_25partition_config_selectorILNS1_17partition_subalgoE6EtNS0_10empty_typeEbEEZZNS1_14partition_implILS5_6ELb0ES3_mN6thrust23THRUST_200600_302600_NS6detail15normal_iteratorINSA_10device_ptrItEEEEPS6_SG_NS0_5tupleIJNSA_16discard_iteratorINSA_11use_defaultEEES6_EEENSH_IJSG_SG_EEES6_PlJNSB_9not_fun_tI7is_trueItEEEEEE10hipError_tPvRmT3_T4_T5_T6_T7_T9_mT8_P12ihipStream_tbDpT10_ENKUlT_T0_E_clISt17integral_constantIbLb0EES1A_IbLb1EEEEDaS16_S17_EUlS16_E_NS1_11comp_targetILNS1_3genE10ELNS1_11target_archE1200ELNS1_3gpuE4ELNS1_3repE0EEENS1_30default_config_static_selectorELNS0_4arch9wavefront6targetE0EEEvT1_: ; @_ZN7rocprim17ROCPRIM_400000_NS6detail17trampoline_kernelINS0_14default_configENS1_25partition_config_selectorILNS1_17partition_subalgoE6EtNS0_10empty_typeEbEEZZNS1_14partition_implILS5_6ELb0ES3_mN6thrust23THRUST_200600_302600_NS6detail15normal_iteratorINSA_10device_ptrItEEEEPS6_SG_NS0_5tupleIJNSA_16discard_iteratorINSA_11use_defaultEEES6_EEENSH_IJSG_SG_EEES6_PlJNSB_9not_fun_tI7is_trueItEEEEEE10hipError_tPvRmT3_T4_T5_T6_T7_T9_mT8_P12ihipStream_tbDpT10_ENKUlT_T0_E_clISt17integral_constantIbLb0EES1A_IbLb1EEEEDaS16_S17_EUlS16_E_NS1_11comp_targetILNS1_3genE10ELNS1_11target_archE1200ELNS1_3gpuE4ELNS1_3repE0EEENS1_30default_config_static_selectorELNS0_4arch9wavefront6targetE0EEEvT1_
; %bb.0:
	s_clause 0x2
	s_load_b64 s[8:9], s[0:1], 0x58
	s_load_b128 s[20:23], s[0:1], 0x48
	s_load_b64 s[18:19], s[0:1], 0x68
	v_cmp_eq_u32_e64 s2, 0, v0
	s_and_saveexec_b32 s3, s2
	s_cbranch_execz .LBB2234_4
; %bb.1:
	s_mov_b32 s5, exec_lo
	s_mov_b32 s4, exec_lo
	v_mbcnt_lo_u32_b32 v1, s5, 0
                                        ; implicit-def: $vgpr2
	s_delay_alu instid0(VALU_DEP_1)
	v_cmpx_eq_u32_e32 0, v1
	s_cbranch_execz .LBB2234_3
; %bb.2:
	s_load_b64 s[6:7], s[0:1], 0x78
	s_bcnt1_i32_b32 s5, s5
	s_wait_alu 0xfffe
	v_dual_mov_b32 v2, 0 :: v_dual_mov_b32 v3, s5
	s_wait_kmcnt 0x0
	global_atomic_add_u32 v2, v2, v3, s[6:7] th:TH_ATOMIC_RETURN scope:SCOPE_DEV
.LBB2234_3:
	s_or_b32 exec_lo, exec_lo, s4
	s_wait_loadcnt 0x0
	v_readfirstlane_b32 s4, v2
	s_wait_alu 0xf1ff
	s_delay_alu instid0(VALU_DEP_1)
	v_dual_mov_b32 v2, 0 :: v_dual_add_nc_u32 v1, s4, v1
	ds_store_b32 v2, v1
.LBB2234_4:
	s_or_b32 exec_lo, exec_lo, s3
	v_dual_mov_b32 v2, 0 :: v_dual_lshlrev_b32 v19, 1, v0
	s_clause 0x1
	s_load_b128 s[4:7], s[0:1], 0x8
	s_load_b32 s0, s[0:1], 0x70
	s_wait_dscnt 0x0
	s_barrier_signal -1
	s_barrier_wait -1
	global_inv scope:SCOPE_SE
	ds_load_b32 v3, v2
	s_wait_loadcnt_dscnt 0x0
	s_barrier_signal -1
	s_barrier_wait -1
	global_inv scope:SCOPE_SE
	s_wait_kmcnt 0x0
	global_load_b64 v[17:18], v2, s[22:23]
	s_mov_b32 s1, 0
	s_lshl_b64 s[10:11], s[6:7], 1
	s_add_co_i32 s3, s0, -1
	s_mulk_i32 s0, 0x1b00
	s_delay_alu instid0(SALU_CYCLE_1)
	s_add_co_i32 s12, s0, s6
	s_add_nc_u64 s[0:1], s[6:7], s[0:1]
	v_mul_lo_u32 v1, 0x1b00, v3
	v_readfirstlane_b32 s23, v3
	v_cmp_gt_u64_e64 s6, s[8:9], s[0:1]
	v_cmp_ne_u32_e32 vcc_lo, s3, v3
	s_sub_co_i32 s25, s8, s12
	s_add_nc_u64 s[0:1], s[4:5], s[10:11]
	s_cmp_eq_u32 s23, s3
	v_lshlrev_b64_e32 v[1:2], 1, v[1:2]
	s_cselect_b32 s22, -1, 0
	s_or_b32 s10, s6, vcc_lo
	s_wait_alu 0xfffe
	s_delay_alu instid0(VALU_DEP_1) | instskip(NEXT) | instid1(VALU_DEP_1)
	v_add_co_u32 v20, vcc_lo, s0, v1
	v_add_co_ci_u32_e64 v21, null, s1, v2, vcc_lo
	s_and_b32 vcc_lo, exec_lo, s10
	s_mov_b32 s0, -1
	s_wait_alu 0xfffe
	s_cbranch_vccz .LBB2234_6
; %bb.5:
	v_add_co_u32 v1, vcc_lo, v20, v19
	s_wait_alu 0xfffd
	v_add_co_ci_u32_e64 v2, null, 0, v21, vcc_lo
	s_mov_b32 s0, 0
	s_clause 0x11
	flat_load_u16 v3, v[1:2]
	flat_load_u16 v4, v[1:2] offset:768
	flat_load_u16 v5, v[1:2] offset:1536
	;; [unrolled: 1-line block ×17, first 2 shown]
	s_wait_loadcnt_dscnt 0x1111
	ds_store_b16 v19, v3
	s_wait_loadcnt_dscnt 0x1011
	ds_store_b16 v19, v4 offset:768
	s_wait_loadcnt_dscnt 0xf11
	ds_store_b16 v19, v5 offset:1536
	;; [unrolled: 2-line block ×17, first 2 shown]
	s_wait_dscnt 0x0
	s_barrier_signal -1
	s_barrier_wait -1
.LBB2234_6:
	s_wait_alu 0xfffe
	s_and_not1_b32 vcc_lo, exec_lo, s0
	s_addk_co_i32 s25, 0x1b00
	s_wait_alu 0xfffe
	s_cbranch_vccnz .LBB2234_44
; %bb.7:
	v_mov_b32_e32 v1, 0
	s_mov_b32 s0, exec_lo
	s_delay_alu instid0(VALU_DEP_1)
	v_dual_mov_b32 v2, v1 :: v_dual_mov_b32 v3, v1
	v_dual_mov_b32 v4, v1 :: v_dual_mov_b32 v5, v1
	;; [unrolled: 1-line block ×4, first 2 shown]
	v_cmpx_gt_u32_e64 s25, v0
	s_cbranch_execz .LBB2234_9
; %bb.8:
	v_add_co_u32 v3, vcc_lo, v20, v19
	s_wait_alu 0xfffd
	v_add_co_ci_u32_e64 v4, null, 0, v21, vcc_lo
	v_mov_b32_e32 v2, v1
	v_dual_mov_b32 v6, v1 :: v_dual_mov_b32 v7, v1
	v_dual_mov_b32 v5, v1 :: v_dual_mov_b32 v8, v1
	v_mov_b32_e32 v9, v1
	flat_load_d16_b16 v2, v[3:4]
	v_dual_mov_b32 v3, v1 :: v_dual_mov_b32 v4, v1
	v_mov_b32_e32 v10, v1
	s_wait_loadcnt_dscnt 0x0
	v_mov_b32_e32 v1, v2
	s_delay_alu instid0(VALU_DEP_3)
	v_mov_b32_e32 v2, v3
	v_mov_b32_e32 v3, v4
	;; [unrolled: 1-line block ×15, first 2 shown]
.LBB2234_9:
	s_wait_alu 0xfffe
	s_or_b32 exec_lo, exec_lo, s0
	v_add_nc_u32_e32 v10, 0x180, v0
	s_mov_b32 s0, exec_lo
	s_delay_alu instid0(VALU_DEP_1)
	v_cmpx_gt_u32_e64 s25, v10
	s_cbranch_execz .LBB2234_11
; %bb.10:
	v_add_co_u32 v10, vcc_lo, v20, v19
	s_wait_alu 0xfffd
	v_add_co_ci_u32_e64 v11, null, 0, v21, vcc_lo
	flat_load_d16_hi_b16 v1, v[10:11] offset:768
.LBB2234_11:
	s_wait_alu 0xfffe
	s_or_b32 exec_lo, exec_lo, s0
	v_add_nc_u32_e32 v10, 0x300, v0
	s_mov_b32 s0, exec_lo
	s_delay_alu instid0(VALU_DEP_1)
	v_cmpx_gt_u32_e64 s25, v10
	s_cbranch_execz .LBB2234_13
; %bb.12:
	v_add_co_u32 v10, vcc_lo, v20, v19
	s_wait_alu 0xfffd
	v_add_co_ci_u32_e64 v11, null, 0, v21, vcc_lo
	flat_load_d16_b16 v2, v[10:11] offset:1536
.LBB2234_13:
	s_wait_alu 0xfffe
	s_or_b32 exec_lo, exec_lo, s0
	v_add_nc_u32_e32 v10, 0x480, v0
	s_mov_b32 s0, exec_lo
	s_delay_alu instid0(VALU_DEP_1)
	v_cmpx_gt_u32_e64 s25, v10
	s_cbranch_execz .LBB2234_15
; %bb.14:
	v_add_co_u32 v10, vcc_lo, v20, v19
	s_wait_alu 0xfffd
	v_add_co_ci_u32_e64 v11, null, 0, v21, vcc_lo
	s_wait_loadcnt_dscnt 0x0
	flat_load_d16_hi_b16 v2, v[10:11] offset:2304
.LBB2234_15:
	s_wait_alu 0xfffe
	s_or_b32 exec_lo, exec_lo, s0
	v_or_b32_e32 v10, 0x600, v0
	s_mov_b32 s0, exec_lo
	s_delay_alu instid0(VALU_DEP_1)
	v_cmpx_gt_u32_e64 s25, v10
	s_cbranch_execz .LBB2234_17
; %bb.16:
	v_add_co_u32 v10, vcc_lo, v20, v19
	s_wait_alu 0xfffd
	v_add_co_ci_u32_e64 v11, null, 0, v21, vcc_lo
	flat_load_d16_b16 v3, v[10:11] offset:3072
.LBB2234_17:
	s_wait_alu 0xfffe
	s_or_b32 exec_lo, exec_lo, s0
	v_add_nc_u32_e32 v10, 0x780, v0
	s_mov_b32 s0, exec_lo
	s_delay_alu instid0(VALU_DEP_1)
	v_cmpx_gt_u32_e64 s25, v10
	s_cbranch_execz .LBB2234_19
; %bb.18:
	v_add_co_u32 v10, vcc_lo, v20, v19
	s_wait_alu 0xfffd
	v_add_co_ci_u32_e64 v11, null, 0, v21, vcc_lo
	s_wait_loadcnt_dscnt 0x0
	flat_load_d16_hi_b16 v3, v[10:11] offset:3840
.LBB2234_19:
	s_wait_alu 0xfffe
	s_or_b32 exec_lo, exec_lo, s0
	v_add_nc_u32_e32 v10, 0x900, v0
	s_mov_b32 s0, exec_lo
	s_delay_alu instid0(VALU_DEP_1)
	v_cmpx_gt_u32_e64 s25, v10
	s_cbranch_execz .LBB2234_21
; %bb.20:
	v_add_co_u32 v10, vcc_lo, v20, v19
	s_wait_alu 0xfffd
	v_add_co_ci_u32_e64 v11, null, 0, v21, vcc_lo
	flat_load_d16_b16 v4, v[10:11] offset:4608
.LBB2234_21:
	s_wait_alu 0xfffe
	s_or_b32 exec_lo, exec_lo, s0
	v_add_nc_u32_e32 v10, 0xa80, v0
	s_mov_b32 s0, exec_lo
	s_delay_alu instid0(VALU_DEP_1)
	v_cmpx_gt_u32_e64 s25, v10
	s_cbranch_execz .LBB2234_23
; %bb.22:
	v_add_co_u32 v10, vcc_lo, v20, v19
	s_wait_alu 0xfffd
	v_add_co_ci_u32_e64 v11, null, 0, v21, vcc_lo
	s_wait_loadcnt_dscnt 0x0
	flat_load_d16_hi_b16 v4, v[10:11] offset:5376
.LBB2234_23:
	s_wait_alu 0xfffe
	s_or_b32 exec_lo, exec_lo, s0
	v_or_b32_e32 v10, 0xc00, v0
	s_mov_b32 s0, exec_lo
	s_delay_alu instid0(VALU_DEP_1)
	v_cmpx_gt_u32_e64 s25, v10
	s_cbranch_execz .LBB2234_25
; %bb.24:
	v_add_co_u32 v10, vcc_lo, v20, v19
	s_wait_alu 0xfffd
	v_add_co_ci_u32_e64 v11, null, 0, v21, vcc_lo
	flat_load_d16_b16 v5, v[10:11] offset:6144
.LBB2234_25:
	s_wait_alu 0xfffe
	s_or_b32 exec_lo, exec_lo, s0
	v_add_nc_u32_e32 v10, 0xd80, v0
	s_mov_b32 s0, exec_lo
	s_delay_alu instid0(VALU_DEP_1)
	v_cmpx_gt_u32_e64 s25, v10
	s_cbranch_execz .LBB2234_27
; %bb.26:
	v_add_co_u32 v10, vcc_lo, v20, v19
	s_wait_alu 0xfffd
	v_add_co_ci_u32_e64 v11, null, 0, v21, vcc_lo
	s_wait_loadcnt_dscnt 0x0
	flat_load_d16_hi_b16 v5, v[10:11] offset:6912
.LBB2234_27:
	;; [unrolled: 54-line block ×4, first 2 shown]
	s_wait_alu 0xfffe
	s_or_b32 exec_lo, exec_lo, s0
	s_wait_loadcnt_dscnt 0x0
	ds_store_b16 v19, v1
	ds_store_b16_d16_hi v19, v1 offset:768
	ds_store_b16 v19, v2 offset:1536
	ds_store_b16_d16_hi v19, v2 offset:2304
	ds_store_b16 v19, v3 offset:3072
	ds_store_b16_d16_hi v19, v3 offset:3840
	ds_store_b16 v19, v4 offset:4608
	ds_store_b16_d16_hi v19, v4 offset:5376
	ds_store_b16 v19, v5 offset:6144
	ds_store_b16_d16_hi v19, v5 offset:6912
	ds_store_b16 v19, v6 offset:7680
	ds_store_b16_d16_hi v19, v6 offset:8448
	ds_store_b16 v19, v7 offset:9216
	ds_store_b16_d16_hi v19, v7 offset:9984
	ds_store_b16 v19, v8 offset:10752
	ds_store_b16_d16_hi v19, v8 offset:11520
	ds_store_b16 v19, v9 offset:12288
	ds_store_b16_d16_hi v19, v9 offset:13056
	s_wait_dscnt 0x0
	s_barrier_signal -1
	s_barrier_wait -1
.LBB2234_44:
	v_mul_u32_u24_e32 v1, 18, v0
	s_wait_loadcnt 0x0
	global_inv scope:SCOPE_SE
	s_and_not1_b32 vcc_lo, exec_lo, s10
	v_lshlrev_b32_e32 v2, 1, v1
	ds_load_2addr_b32 v[9:10], v2 offset0:7 offset1:8
	ds_load_b32 v28, v2
	ds_load_2addr_b32 v[15:16], v2 offset0:1 offset1:2
	ds_load_2addr_b32 v[13:14], v2 offset0:3 offset1:4
	;; [unrolled: 1-line block ×3, first 2 shown]
	s_wait_loadcnt_dscnt 0x0
	s_barrier_signal -1
	s_barrier_wait -1
	global_inv scope:SCOPE_SE
	v_alignbit_b32 v27, v10, v9, 16
	v_lshrrev_b32_e32 v10, 16, v10
	v_cmp_eq_u16_e64 s7, 0, v28
	v_lshrrev_b32_e32 v19, 16, v28
	v_cmp_eq_u16_e64 s8, 0, v15
	v_lshrrev_b32_e32 v7, 16, v15
	v_cmp_eq_u16_e64 s6, 0, v16
	v_lshrrev_b32_e32 v8, 16, v16
	v_cmp_eq_u16_e64 s3, 0, v13
	v_lshrrev_b32_e32 v6, 16, v13
	v_cmp_eq_u16_e64 s4, 0, v14
	v_lshrrev_b32_e32 v5, 16, v14
	v_cmp_eq_u16_e64 s5, 0, v11
	v_lshrrev_b32_e32 v3, 16, v11
	v_cmp_eq_u16_e64 s1, 0, v12
	v_lshrrev_b32_e32 v4, 16, v12
	v_cmp_eq_u16_e64 s0, 0, v9
	v_cmp_eq_u16_e64 s9, 0, v27
	v_lshrrev_b32_e32 v2, 16, v27
	v_cmp_eq_u16_e64 s24, 0, v10
	s_wait_alu 0xfffe
	s_cbranch_vccnz .LBB2234_46
; %bb.45:
	v_cmp_eq_u16_e32 vcc_lo, 0, v19
	s_wait_alu 0xf1ff
	v_cndmask_b32_e64 v29, 0, 1, s9
	v_cndmask_b32_e64 v30, 0, 1, s7
	;; [unrolled: 1-line block ×4, first 2 shown]
	s_wait_alu 0xfffd
	v_cndmask_b32_e64 v20, 0, 1, vcc_lo
	v_cmp_eq_u16_e32 vcc_lo, 0, v8
	v_lshlrev_b16 v29, 8, v29
	v_cndmask_b32_e64 v33, 0, 1, s1
	v_cndmask_b32_e64 v34, 0, 1, s0
	v_lshlrev_b16 v20, 8, v20
	s_wait_alu 0xfffd
	v_cndmask_b32_e64 v21, 0, 1, vcc_lo
	v_cmp_eq_u16_e32 vcc_lo, 0, v7
	v_or_b32_e32 v29, v34, v29
	v_lshrrev_b32_e32 v20, 8, v20
	s_delay_alu instid0(VALU_DEP_4)
	v_lshlrev_b16 v21, 8, v21
	s_wait_alu 0xfffd
	v_cndmask_b32_e64 v22, 0, 1, vcc_lo
	v_cmp_eq_u16_e32 vcc_lo, 0, v6
	v_lshlrev_b16 v20, 8, v20
	v_lshrrev_b32_e32 v21, 8, v21
	s_delay_alu instid0(VALU_DEP_4)
	v_lshlrev_b16 v22, 8, v22
	s_wait_alu 0xfffd
	v_cndmask_b32_e64 v23, 0, 1, vcc_lo
	v_cmp_eq_u16_e32 vcc_lo, 0, v5
	v_or_b32_e32 v20, v30, v20
	v_lshlrev_b16 v21, 8, v21
	v_lshrrev_b32_e32 v22, 8, v22
	v_lshlrev_b16 v23, 8, v23
	s_wait_alu 0xfffd
	v_cndmask_b32_e64 v24, 0, 1, vcc_lo
	v_cmp_eq_u16_e32 vcc_lo, 0, v3
	v_or_b32_e32 v21, v32, v21
	v_lshlrev_b16 v22, 8, v22
	v_cndmask_b32_e64 v30, 0, 1, s3
	v_lshlrev_b16 v24, 8, v24
	s_wait_alu 0xfffd
	v_cndmask_b32_e64 v25, 0, 1, vcc_lo
	v_cmp_eq_u16_e32 vcc_lo, 0, v4
	v_or_b32_e32 v22, v31, v22
	v_cndmask_b32_e64 v31, 0, 1, s4
	v_lshrrev_b32_e32 v24, 8, v24
	v_lshlrev_b16 v25, 8, v25
	s_wait_alu 0xfffd
	v_cndmask_b32_e64 v26, 0, 1, vcc_lo
	v_cndmask_b32_e64 v32, 0, 1, s5
	v_or_b32_e32 v23, v30, v23
	v_lshlrev_b16 v24, 8, v24
	v_lshrrev_b32_e32 v25, 8, v25
	v_lshlrev_b16 v26, 8, v26
	v_and_b32_e32 v20, 0xffff, v20
	v_lshlrev_b32_e32 v22, 16, v22
	v_or_b32_e32 v24, v31, v24
	v_lshlrev_b16 v25, 8, v25
	v_lshrrev_b32_e32 v26, 8, v26
	v_and_b32_e32 v21, 0xffff, v21
	v_lshlrev_b32_e32 v23, 16, v23
	v_and_b32_e32 v24, 0xffff, v24
	v_or_b32_e32 v25, v32, v25
	v_lshlrev_b16 v26, 8, v26
	v_lshlrev_b32_e32 v30, 16, v29
	v_cmp_eq_u16_e32 vcc_lo, 0, v2
	v_or_b32_e32 v44, v20, v22
	v_lshlrev_b32_e32 v25, 16, v25
	v_or_b32_e32 v26, v33, v26
	v_or_b32_e32 v38, v21, v23
	s_wait_alu 0xfffd
	v_cndmask_b32_e64 v29, 0, 1, vcc_lo
	v_or_b32_e32 v32, v24, v25
	v_and_b32_e32 v26, 0xffff, v26
	s_delay_alu instid0(VALU_DEP_1)
	v_or_b32_e32 v30, v26, v30
	s_cbranch_execz .LBB2234_47
	s_branch .LBB2234_48
.LBB2234_46:
                                        ; implicit-def: $sgpr24
                                        ; implicit-def: $vgpr29
                                        ; implicit-def: $vgpr30
                                        ; implicit-def: $vgpr32
                                        ; implicit-def: $vgpr38
                                        ; implicit-def: $vgpr44
.LBB2234_47:
	v_or_b32_e32 v20, 1, v1
	v_cmp_eq_u16_e32 vcc_lo, 0, v19
	v_add_nc_u32_e32 v22, 3, v1
	v_add_nc_u32_e32 v21, 5, v1
	;; [unrolled: 1-line block ×3, first 2 shown]
	v_cmp_gt_u32_e64 s3, s25, v20
	v_add_nc_u32_e32 v20, 2, v1
	v_cmp_gt_u32_e64 s5, s25, v22
	v_cmp_gt_u32_e64 s7, s25, v21
	v_add_nc_u32_e32 v21, 9, v1
	s_and_b32 s3, s3, vcc_lo
	v_cmp_eq_u16_e32 vcc_lo, 0, v7
	s_wait_alu 0xfffe
	v_cndmask_b32_e64 v23, 0, 1, s3
	v_cmp_eq_u16_e64 s3, 0, v8
	v_cmp_gt_u32_e64 s8, s25, v20
	v_cmp_gt_u32_e64 s9, s25, v21
	s_and_b32 s5, s5, vcc_lo
	v_cmp_gt_u32_e32 vcc_lo, s25, v19
	v_add_nc_u32_e32 v19, 7, v1
	s_and_b32 s3, s7, s3
	s_wait_alu 0xfffe
	v_cndmask_b32_e64 v8, 0, 1, s5
	v_cndmask_b32_e64 v20, 0, 1, s3
	v_cmp_eq_u16_e64 s3, 0, v6
	v_cmp_gt_u32_e64 s5, s25, v19
	v_cmp_eq_u16_e64 s7, 0, v5
	v_add_nc_u32_e32 v19, 8, v1
	v_lshlrev_b16 v7, 8, v23
	v_add_nc_u32_e32 v23, 13, v1
	s_and_b32 s3, s5, s3
	s_and_b32 s5, s9, s7
	v_cmp_gt_u32_e64 s9, s25, v19
	s_wait_alu 0xfffe
	v_cndmask_b32_e64 v21, 0, 1, s5
	v_cmp_eq_u16_e64 s10, 0, v3
	v_lshlrev_b16 v6, 8, v20
	v_add_nc_u32_e32 v20, 6, v1
	v_cmp_eq_u16_e64 s11, 0, v4
	v_lshlrev_b16 v19, 8, v21
	v_add_nc_u32_e32 v21, 11, v1
	v_cmp_gt_u32_e64 s15, s25, v23
	v_cmp_gt_u32_e64 s7, s25, v20
	v_add_nc_u32_e32 v20, 12, v1
	v_add_nc_u32_e32 v4, 15, v1
	v_cmp_gt_u32_e64 s12, s25, v21
	v_lshlrev_b16 v8, 8, v8
	v_cmp_eq_u16_e64 s0, 0, v28
	v_cmp_gt_u32_e64 s1, s25, v1
	v_cmp_eq_u16_e64 s4, 0, v15
	s_and_b32 s10, s12, s10
	v_cmp_gt_u32_e64 s12, s25, v4
	v_cndmask_b32_e64 v3, 0, 1, s10
	s_and_b32 s10, s15, s11
	v_cmp_eq_u16_e64 s11, 0, v27
	s_wait_alu 0xfffe
	v_cndmask_b32_e64 v21, 0, 1, s10
	v_cmp_gt_u32_e64 s10, s25, v20
	v_add_nc_u32_e32 v20, 16, v1
	v_lshrrev_b32_e32 v7, 8, v7
	v_lshrrev_b32_e32 v8, 8, v8
	v_lshlrev_b16 v4, 8, v21
	v_add_nc_u32_e32 v21, 14, v1
	s_and_b32 s0, s1, s0
	v_add_nc_u32_e32 v22, 10, v1
	s_and_b32 s11, s12, s11
	v_cmp_gt_u32_e64 s12, s25, v20
	s_wait_alu 0xfffe
	v_cndmask_b32_e64 v20, 0, 1, s0
	s_and_b32 s0, s8, s4
	v_cmp_gt_u32_e64 s15, s25, v21
	v_lshlrev_b16 v7, 8, v7
	v_lshlrev_b16 v8, 8, v8
	s_wait_alu 0xfffe
	v_cndmask_b32_e64 v21, 0, 1, s0
	v_cndmask_b32_e64 v5, 0, 1, s3
	v_cmp_eq_u16_e64 s3, 0, v13
	v_cmp_gt_u32_e64 s16, s25, v22
	v_cndmask_b32_e64 v22, 0, 1, s11
	v_cmp_eq_u16_e64 s6, 0, v16
	v_cmp_eq_u16_e64 s5, 0, v14
	v_add_nc_u32_e32 v1, 17, v1
	v_or_b32_e32 v7, v20, v7
	v_or_b32_e32 v8, v21, v8
	v_lshrrev_b32_e32 v6, 8, v6
	v_cmp_eq_u16_e64 s13, 0, v11
	v_lshlrev_b16 v5, 8, v5
	v_lshlrev_b16 v3, 8, v3
	v_cmp_eq_u16_e64 s11, 0, v2
	v_lshlrev_b16 v2, 8, v22
	s_and_b32 s1, s7, s3
	v_cmp_eq_u16_e64 s14, 0, v12
	s_and_b32 s0, vcc_lo, s6
	v_cmp_gt_u32_e32 vcc_lo, s25, v1
	v_and_b32_e32 v1, 0xffff, v7
	v_lshlrev_b32_e32 v7, 16, v8
	v_lshrrev_b32_e32 v8, 8, v19
	s_wait_alu 0xfffe
	v_cndmask_b32_e64 v19, 0, 1, s1
	s_and_b32 s1, s9, s5
	v_cmp_eq_u16_e64 s17, 0, v9
	v_lshlrev_b16 v6, 8, v6
	v_cndmask_b32_e64 v22, 0, 1, s0
	s_wait_alu 0xfffe
	v_cndmask_b32_e64 v20, 0, 1, s1
	s_and_b32 s1, s16, s13
	v_lshrrev_b32_e32 v5, 8, v5
	v_lshrrev_b32_e32 v2, 8, v2
	;; [unrolled: 1-line block ×4, first 2 shown]
	s_wait_alu 0xfffe
	v_cndmask_b32_e64 v21, 0, 1, s1
	s_and_b32 s1, s10, s14
	v_or_b32_e32 v6, v22, v6
	s_wait_alu 0xfffe
	v_cndmask_b32_e64 v22, 0, 1, s1
	s_and_b32 s1, s15, s17
	v_lshlrev_b16 v5, 8, v5
	v_lshlrev_b16 v8, 8, v8
	;; [unrolled: 1-line block ×5, first 2 shown]
	s_wait_alu 0xfffe
	v_cndmask_b32_e64 v23, 0, 1, s1
	v_or_b32_e32 v5, v19, v5
	v_or_b32_e32 v8, v20, v8
	;; [unrolled: 1-line block ×5, first 2 shown]
	v_cmp_eq_u16_e64 s0, 0, v10
	v_and_b32_e32 v6, 0xffff, v6
	v_lshlrev_b32_e32 v5, 16, v5
	v_and_b32_e32 v8, 0xffff, v8
	v_lshlrev_b32_e32 v3, 16, v3
	;; [unrolled: 2-line block ×3, first 2 shown]
	s_and_b32 s11, s12, s11
	s_and_b32 s0, vcc_lo, s0
	s_wait_alu 0xfffe
	v_cndmask_b32_e64 v29, 0, 1, s11
	v_or_b32_e32 v44, v1, v7
	v_or_b32_e32 v38, v6, v5
	;; [unrolled: 1-line block ×4, first 2 shown]
	s_and_not1_b32 s1, s24, exec_lo
	s_and_b32 s0, s0, exec_lo
	s_wait_alu 0xfffe
	s_or_b32 s24, s1, s0
.LBB2234_48:
	v_dual_mov_b32 v2, 0 :: v_dual_and_b32 v49, 0xff, v44
	v_bfe_u32 v47, v44, 8, 8
	s_wait_alu 0xfffe
	v_cndmask_b32_e64 v1, 0, 1, s24
	v_bfe_u32 v50, v44, 16, 8
	v_lshrrev_b32_e32 v48, 24, v44
	v_and_b32_e32 v46, 0xff, v38
	v_bfe_u32 v45, v38, 8, 8
	v_add3_u32 v1, v49, v1, v47
	v_bfe_u32 v43, v38, 16, 8
	v_lshrrev_b32_e32 v42, 24, v38
	v_and_b32_e32 v41, 0xff, v32
	v_bfe_u32 v40, v32, 8, 8
	v_add_co_u32 v1, s0, v1, v50
	s_wait_alu 0xf1ff
	v_add_co_ci_u32_e64 v3, null, 0, 0, s0
	v_bfe_u32 v39, v32, 16, 8
	s_delay_alu instid0(VALU_DEP_3) | instskip(SKIP_1) | instid1(VALU_DEP_3)
	v_add_co_u32 v1, vcc_lo, v1, v48
	s_wait_alu 0xfffd
	v_add_co_ci_u32_e64 v3, null, 0, v3, vcc_lo
	v_lshrrev_b32_e32 v37, 24, v32
	s_delay_alu instid0(VALU_DEP_3) | instskip(SKIP_1) | instid1(VALU_DEP_3)
	v_add_co_u32 v1, vcc_lo, v1, v46
	s_wait_alu 0xfffd
	v_add_co_ci_u32_e64 v3, null, 0, v3, vcc_lo
	v_and_b32_e32 v36, 0xff, v30
	s_delay_alu instid0(VALU_DEP_3) | instskip(SKIP_1) | instid1(VALU_DEP_3)
	v_add_co_u32 v1, vcc_lo, v1, v45
	s_wait_alu 0xfffd
	v_add_co_ci_u32_e64 v3, null, 0, v3, vcc_lo
	v_bfe_u32 v35, v30, 8, 8
	s_delay_alu instid0(VALU_DEP_3) | instskip(SKIP_1) | instid1(VALU_DEP_3)
	v_add_co_u32 v1, vcc_lo, v1, v43
	s_wait_alu 0xfffd
	v_add_co_ci_u32_e64 v3, null, 0, v3, vcc_lo
	v_bfe_u32 v34, v30, 16, 8
	s_delay_alu instid0(VALU_DEP_3) | instskip(SKIP_1) | instid1(VALU_DEP_3)
	v_add_co_u32 v1, vcc_lo, v1, v42
	s_wait_alu 0xfffd
	v_add_co_ci_u32_e64 v3, null, 0, v3, vcc_lo
	v_lshrrev_b32_e32 v33, 24, v30
	s_delay_alu instid0(VALU_DEP_3) | instskip(SKIP_1) | instid1(VALU_DEP_3)
	v_add_co_u32 v1, vcc_lo, v1, v41
	s_wait_alu 0xfffd
	v_add_co_ci_u32_e64 v3, null, 0, v3, vcc_lo
	v_mbcnt_lo_u32_b32 v51, -1, 0
	s_delay_alu instid0(VALU_DEP_3) | instskip(SKIP_1) | instid1(VALU_DEP_3)
	v_add_co_u32 v1, vcc_lo, v1, v40
	s_wait_alu 0xfffd
	v_add_co_ci_u32_e64 v3, null, 0, v3, vcc_lo
	v_and_b32_e32 v31, 0xff, v29
	s_delay_alu instid0(VALU_DEP_3) | instskip(SKIP_1) | instid1(VALU_DEP_3)
	v_add_co_u32 v1, vcc_lo, v1, v39
	s_wait_alu 0xfffd
	v_add_co_ci_u32_e64 v3, null, 0, v3, vcc_lo
	v_and_b32_e32 v52, 15, v51
	s_delay_alu instid0(VALU_DEP_3) | instskip(SKIP_1) | instid1(VALU_DEP_3)
	v_add_co_u32 v1, vcc_lo, v1, v37
	s_wait_alu 0xfffd
	v_add_co_ci_u32_e64 v3, null, 0, v3, vcc_lo
	s_delay_alu instid0(VALU_DEP_3) | instskip(NEXT) | instid1(VALU_DEP_3)
	v_cmp_ne_u32_e64 s0, 0, v52
	v_add_co_u32 v1, vcc_lo, v1, v36
	s_wait_alu 0xfffd
	s_delay_alu instid0(VALU_DEP_3)
	v_add_co_ci_u32_e64 v3, null, 0, v3, vcc_lo
	s_cmp_lg_u32 s23, 0
	v_add_co_u32 v1, vcc_lo, v1, v35
	s_wait_alu 0xfffd
	v_add_co_ci_u32_e64 v3, null, 0, v3, vcc_lo
	s_mov_b32 s1, -1
	v_add_co_u32 v1, vcc_lo, v1, v34
	s_wait_alu 0xfffd
	v_add_co_ci_u32_e64 v3, null, 0, v3, vcc_lo
	s_delay_alu instid0(VALU_DEP_2) | instskip(SKIP_1) | instid1(VALU_DEP_2)
	v_add_co_u32 v1, vcc_lo, v1, v33
	s_wait_alu 0xfffd
	v_add_co_ci_u32_e64 v3, null, 0, v3, vcc_lo
	s_delay_alu instid0(VALU_DEP_2) | instskip(SKIP_1) | instid1(VALU_DEP_2)
	v_add_co_u32 v19, vcc_lo, v1, v31
	s_wait_alu 0xfffd
	v_add_co_ci_u32_e64 v20, null, 0, v3, vcc_lo
	s_cbranch_scc0 .LBB2234_107
; %bb.49:
	v_mov_b32_e32 v3, v19
	v_mov_b32_dpp v1, v19 row_shr:1 row_mask:0xf bank_mask:0xf
	v_mov_b32_dpp v6, v2 row_shr:1 row_mask:0xf bank_mask:0xf
	v_dual_mov_b32 v5, v19 :: v_dual_mov_b32 v4, v20
	s_and_saveexec_b32 s1, s0
; %bb.50:
	s_delay_alu instid0(VALU_DEP_3) | instskip(SKIP_2) | instid1(VALU_DEP_2)
	v_add_co_u32 v5, vcc_lo, v19, v1
	s_wait_alu 0xfffd
	v_add_co_ci_u32_e64 v2, null, 0, v20, vcc_lo
	v_add_co_u32 v1, vcc_lo, 0, v5
	s_wait_alu 0xfffd
	s_delay_alu instid0(VALU_DEP_2) | instskip(NEXT) | instid1(VALU_DEP_1)
	v_add_co_ci_u32_e64 v2, null, v6, v2, vcc_lo
	v_dual_mov_b32 v4, v2 :: v_dual_mov_b32 v3, v1
; %bb.51:
	s_wait_alu 0xfffe
	s_or_b32 exec_lo, exec_lo, s1
	v_mov_b32_dpp v1, v5 row_shr:2 row_mask:0xf bank_mask:0xf
	v_mov_b32_dpp v6, v2 row_shr:2 row_mask:0xf bank_mask:0xf
	v_cmp_lt_u32_e32 vcc_lo, 1, v52
	s_and_saveexec_b32 s3, vcc_lo
; %bb.52:
	s_delay_alu instid0(VALU_DEP_3) | instskip(SKIP_2) | instid1(VALU_DEP_2)
	v_add_co_u32 v5, s1, v3, v1
	s_wait_alu 0xf1ff
	v_add_co_ci_u32_e64 v2, null, 0, v4, s1
	v_add_co_u32 v1, s1, 0, v5
	s_wait_alu 0xf1ff
	s_delay_alu instid0(VALU_DEP_2) | instskip(NEXT) | instid1(VALU_DEP_1)
	v_add_co_ci_u32_e64 v2, null, v6, v2, s1
	v_dual_mov_b32 v4, v2 :: v_dual_mov_b32 v3, v1
; %bb.53:
	s_wait_alu 0xfffe
	s_or_b32 exec_lo, exec_lo, s3
	v_mov_b32_dpp v1, v5 row_shr:4 row_mask:0xf bank_mask:0xf
	v_mov_b32_dpp v6, v2 row_shr:4 row_mask:0xf bank_mask:0xf
	v_cmp_lt_u32_e64 s1, 3, v52
	s_and_saveexec_b32 s4, s1
; %bb.54:
	v_add_co_u32 v5, s3, v3, v1
	s_wait_alu 0xf1ff
	v_add_co_ci_u32_e64 v2, null, 0, v4, s3
	s_delay_alu instid0(VALU_DEP_2) | instskip(SKIP_1) | instid1(VALU_DEP_2)
	v_add_co_u32 v1, s3, 0, v5
	s_wait_alu 0xf1ff
	v_add_co_ci_u32_e64 v2, null, v6, v2, s3
	s_delay_alu instid0(VALU_DEP_1)
	v_dual_mov_b32 v4, v2 :: v_dual_mov_b32 v3, v1
; %bb.55:
	s_wait_alu 0xfffe
	s_or_b32 exec_lo, exec_lo, s4
	v_mov_b32_dpp v6, v5 row_shr:8 row_mask:0xf bank_mask:0xf
	v_mov_b32_dpp v1, v2 row_shr:8 row_mask:0xf bank_mask:0xf
	v_cmp_lt_u32_e64 s3, 7, v52
	s_and_saveexec_b32 s5, s3
; %bb.56:
	v_add_co_u32 v5, s4, v3, v6
	s_wait_alu 0xf1ff
	v_add_co_ci_u32_e64 v2, null, 0, v4, s4
	s_delay_alu instid0(VALU_DEP_2) | instskip(SKIP_1) | instid1(VALU_DEP_2)
	v_add_co_u32 v3, s4, 0, v5
	s_wait_alu 0xf1ff
	v_add_co_ci_u32_e64 v4, null, v1, v2, s4
	s_delay_alu instid0(VALU_DEP_1)
	v_mov_b32_e32 v2, v4
; %bb.57:
	s_wait_alu 0xfffe
	s_or_b32 exec_lo, exec_lo, s5
	ds_swizzle_b32 v6, v5 offset:swizzle(BROADCAST,32,15)
	ds_swizzle_b32 v1, v2 offset:swizzle(BROADCAST,32,15)
	v_and_b32_e32 v2, 16, v51
	s_mov_b32 s5, exec_lo
	s_delay_alu instid0(VALU_DEP_1)
	v_cmpx_ne_u32_e32 0, v2
	s_cbranch_execz .LBB2234_59
; %bb.58:
	s_wait_dscnt 0x1
	v_add_co_u32 v5, s4, v3, v6
	s_wait_alu 0xf1ff
	v_add_co_ci_u32_e64 v2, null, 0, v4, s4
	s_delay_alu instid0(VALU_DEP_2) | instskip(SKIP_2) | instid1(VALU_DEP_2)
	v_add_co_u32 v3, s4, 0, v5
	s_wait_dscnt 0x0
	s_wait_alu 0xf1ff
	v_add_co_ci_u32_e64 v4, null, v1, v2, s4
.LBB2234_59:
	s_wait_alu 0xfffe
	s_or_b32 exec_lo, exec_lo, s5
	s_wait_dscnt 0x0
	v_and_b32_e32 v1, 0x1e0, v0
	v_lshrrev_b32_e32 v6, 5, v0
	s_mov_b32 s5, exec_lo
	s_delay_alu instid0(VALU_DEP_2) | instskip(NEXT) | instid1(VALU_DEP_1)
	v_min_u32_e32 v1, 0x160, v1
	v_or_b32_e32 v1, 31, v1
	s_delay_alu instid0(VALU_DEP_1)
	v_cmpx_eq_u32_e64 v0, v1
; %bb.60:
	v_lshlrev_b32_e32 v1, 3, v6
	ds_store_b64 v1, v[3:4]
; %bb.61:
	s_wait_alu 0xfffe
	s_or_b32 exec_lo, exec_lo, s5
	s_delay_alu instid0(SALU_CYCLE_1)
	s_mov_b32 s5, exec_lo
	s_wait_loadcnt_dscnt 0x0
	s_barrier_signal -1
	s_barrier_wait -1
	global_inv scope:SCOPE_SE
	v_cmpx_gt_u32_e32 12, v0
	s_cbranch_execz .LBB2234_71
; %bb.62:
	v_lshlrev_b32_e32 v3, 3, v0
	ds_load_b64 v[1:2], v3
	s_wait_dscnt 0x0
	v_mov_b32_dpp v8, v1 row_shr:1 row_mask:0xf bank_mask:0xf
	v_mov_b32_dpp v7, v2 row_shr:1 row_mask:0xf bank_mask:0xf
	v_mov_b32_e32 v4, v1
	s_and_saveexec_b32 s6, s0
; %bb.63:
	s_delay_alu instid0(VALU_DEP_3) | instskip(SKIP_2) | instid1(VALU_DEP_2)
	v_add_co_u32 v4, s4, v1, v8
	s_wait_alu 0xf1ff
	v_add_co_ci_u32_e64 v2, null, 0, v2, s4
	v_add_co_u32 v1, s4, 0, v4
	s_wait_alu 0xf1ff
	s_delay_alu instid0(VALU_DEP_2)
	v_add_co_ci_u32_e64 v2, null, v7, v2, s4
; %bb.64:
	s_wait_alu 0xfffe
	s_or_b32 exec_lo, exec_lo, s6
	v_mov_b32_dpp v8, v4 row_shr:2 row_mask:0xf bank_mask:0xf
	s_delay_alu instid0(VALU_DEP_2)
	v_mov_b32_dpp v7, v2 row_shr:2 row_mask:0xf bank_mask:0xf
	s_and_saveexec_b32 s4, vcc_lo
; %bb.65:
	s_delay_alu instid0(VALU_DEP_2) | instskip(SKIP_2) | instid1(VALU_DEP_2)
	v_add_co_u32 v4, vcc_lo, v1, v8
	s_wait_alu 0xfffd
	v_add_co_ci_u32_e64 v2, null, 0, v2, vcc_lo
	v_add_co_u32 v1, vcc_lo, 0, v4
	s_wait_alu 0xfffd
	s_delay_alu instid0(VALU_DEP_2)
	v_add_co_ci_u32_e64 v2, null, v7, v2, vcc_lo
; %bb.66:
	s_wait_alu 0xfffe
	s_or_b32 exec_lo, exec_lo, s4
	v_mov_b32_dpp v8, v4 row_shr:4 row_mask:0xf bank_mask:0xf
	s_delay_alu instid0(VALU_DEP_2)
	v_mov_b32_dpp v7, v2 row_shr:4 row_mask:0xf bank_mask:0xf
	s_and_saveexec_b32 s4, s1
; %bb.67:
	s_delay_alu instid0(VALU_DEP_2) | instskip(SKIP_2) | instid1(VALU_DEP_2)
	v_add_co_u32 v4, vcc_lo, v1, v8
	s_wait_alu 0xfffd
	v_add_co_ci_u32_e64 v2, null, 0, v2, vcc_lo
	v_add_co_u32 v1, vcc_lo, 0, v4
	s_wait_alu 0xfffd
	s_delay_alu instid0(VALU_DEP_2)
	v_add_co_ci_u32_e64 v2, null, v7, v2, vcc_lo
; %bb.68:
	s_wait_alu 0xfffe
	s_or_b32 exec_lo, exec_lo, s4
	v_mov_b32_dpp v7, v4 row_shr:8 row_mask:0xf bank_mask:0xf
	s_delay_alu instid0(VALU_DEP_2)
	v_mov_b32_dpp v4, v2 row_shr:8 row_mask:0xf bank_mask:0xf
	s_and_saveexec_b32 s1, s3
; %bb.69:
	s_delay_alu instid0(VALU_DEP_2) | instskip(SKIP_2) | instid1(VALU_DEP_2)
	v_add_co_u32 v1, vcc_lo, v1, v7
	s_wait_alu 0xfffd
	v_add_co_ci_u32_e64 v2, null, 0, v2, vcc_lo
	v_add_co_u32 v1, vcc_lo, v1, 0
	s_wait_alu 0xfffd
	s_delay_alu instid0(VALU_DEP_2)
	v_add_co_ci_u32_e64 v2, null, v2, v4, vcc_lo
; %bb.70:
	s_wait_alu 0xfffe
	s_or_b32 exec_lo, exec_lo, s1
	ds_store_b64 v3, v[1:2]
.LBB2234_71:
	s_wait_alu 0xfffe
	s_or_b32 exec_lo, exec_lo, s5
	s_delay_alu instid0(SALU_CYCLE_1)
	s_mov_b32 s3, exec_lo
	v_cmp_gt_u32_e32 vcc_lo, 32, v0
	s_wait_loadcnt_dscnt 0x0
	s_barrier_signal -1
	s_barrier_wait -1
	global_inv scope:SCOPE_SE
                                        ; implicit-def: $vgpr21_vgpr22
	v_cmpx_lt_u32_e32 31, v0
	s_cbranch_execz .LBB2234_73
; %bb.72:
	v_lshl_add_u32 v1, v6, 3, -8
	ds_load_b64 v[21:22], v1
	s_wait_dscnt 0x0
	v_add_nc_u32_e32 v5, v5, v21
.LBB2234_73:
	s_wait_alu 0xfffe
	s_or_b32 exec_lo, exec_lo, s3
	v_sub_co_u32 v1, s1, v51, 1
	s_delay_alu instid0(VALU_DEP_1) | instskip(SKIP_1) | instid1(VALU_DEP_1)
	v_cmp_gt_i32_e64 s3, 0, v1
	s_wait_alu 0xf1ff
	v_cndmask_b32_e64 v1, v1, v51, s3
	s_delay_alu instid0(VALU_DEP_1)
	v_lshlrev_b32_e32 v1, 2, v1
	ds_bpermute_b32 v53, v1, v5
	s_and_saveexec_b32 s3, vcc_lo
	s_cbranch_execz .LBB2234_112
; %bb.74:
	v_mov_b32_e32 v4, 0
	ds_load_b64 v[1:2], v4 offset:88
	s_and_saveexec_b32 s4, s1
	s_cbranch_execz .LBB2234_76
; %bb.75:
	s_add_co_i32 s6, s23, 32
	s_mov_b32 s7, 0
	s_wait_alu 0xfffe
	s_lshl_b64 s[6:7], s[6:7], 4
	s_wait_alu 0xfffe
	s_add_nc_u64 s[6:7], s[18:19], s[6:7]
	v_mov_b32_e32 v3, 1
	s_wait_alu 0xfffe
	v_dual_mov_b32 v5, s6 :: v_dual_mov_b32 v6, s7
	s_wait_dscnt 0x0
	;;#ASMSTART
	global_store_b128 v[5:6], v[1:4] off scope:SCOPE_DEV	
s_wait_storecnt 0x0
	;;#ASMEND
.LBB2234_76:
	s_wait_alu 0xfffe
	s_or_b32 exec_lo, exec_lo, s4
	v_xad_u32 v23, v51, -1, s23
	s_mov_b32 s5, 0
	s_mov_b32 s4, exec_lo
	s_delay_alu instid0(VALU_DEP_1) | instskip(NEXT) | instid1(VALU_DEP_1)
	v_add_nc_u32_e32 v3, 32, v23
	v_lshlrev_b64_e32 v[3:4], 4, v[3:4]
	s_delay_alu instid0(VALU_DEP_1) | instskip(SKIP_1) | instid1(VALU_DEP_2)
	v_add_co_u32 v3, vcc_lo, s18, v3
	s_wait_alu 0xfffd
	v_add_co_ci_u32_e64 v4, null, s19, v4, vcc_lo
	;;#ASMSTART
	global_load_b128 v[5:8], v[3:4] off scope:SCOPE_DEV	
s_wait_loadcnt 0x0
	;;#ASMEND
	v_and_b32_e32 v8, 0xff, v7
	s_delay_alu instid0(VALU_DEP_1)
	v_cmpx_eq_u16_e32 0, v8
	s_cbranch_execz .LBB2234_79
.LBB2234_77:                            ; =>This Inner Loop Header: Depth=1
	;;#ASMSTART
	global_load_b128 v[5:8], v[3:4] off scope:SCOPE_DEV	
s_wait_loadcnt 0x0
	;;#ASMEND
	v_and_b32_e32 v8, 0xff, v7
	s_delay_alu instid0(VALU_DEP_1)
	v_cmp_ne_u16_e32 vcc_lo, 0, v8
	s_wait_alu 0xfffe
	s_or_b32 s5, vcc_lo, s5
	s_wait_alu 0xfffe
	s_and_not1_b32 exec_lo, exec_lo, s5
	s_cbranch_execnz .LBB2234_77
; %bb.78:
	s_or_b32 exec_lo, exec_lo, s5
.LBB2234_79:
	s_wait_alu 0xfffe
	s_or_b32 exec_lo, exec_lo, s4
	v_cmp_ne_u32_e32 vcc_lo, 31, v51
	v_and_b32_e32 v4, 0xff, v7
	v_lshlrev_b32_e64 v55, v51, -1
	s_mov_b32 s4, exec_lo
	s_wait_alu 0xfffd
	v_add_co_ci_u32_e64 v3, null, 0, v51, vcc_lo
	v_cmp_eq_u16_e32 vcc_lo, 2, v4
	v_mov_b32_e32 v4, v5
	s_delay_alu instid0(VALU_DEP_3)
	v_lshlrev_b32_e32 v54, 2, v3
	s_wait_alu 0xfffd
	v_and_or_b32 v3, vcc_lo, v55, 0x80000000
	ds_bpermute_b32 v24, v54, v5
	ds_bpermute_b32 v8, v54, v6
	v_ctz_i32_b32_e32 v3, v3
	s_delay_alu instid0(VALU_DEP_1)
	v_cmpx_lt_u32_e64 v51, v3
	s_cbranch_execz .LBB2234_81
; %bb.80:
	s_wait_dscnt 0x1
	v_add_co_u32 v4, vcc_lo, v5, v24
	s_wait_alu 0xfffd
	v_add_co_ci_u32_e64 v6, null, 0, v6, vcc_lo
	s_delay_alu instid0(VALU_DEP_2) | instskip(SKIP_2) | instid1(VALU_DEP_2)
	v_add_co_u32 v5, vcc_lo, 0, v4
	s_wait_dscnt 0x0
	s_wait_alu 0xfffd
	v_add_co_ci_u32_e64 v6, null, v8, v6, vcc_lo
.LBB2234_81:
	s_wait_alu 0xfffe
	s_or_b32 exec_lo, exec_lo, s4
	v_cmp_gt_u32_e32 vcc_lo, 30, v51
	v_add_nc_u32_e32 v57, 2, v51
	s_mov_b32 s4, exec_lo
	s_wait_dscnt 0x0
	s_wait_alu 0xfffd
	v_cndmask_b32_e64 v8, 0, 2, vcc_lo
	s_delay_alu instid0(VALU_DEP_1)
	v_add_lshl_u32 v56, v8, v51, 2
	ds_bpermute_b32 v24, v56, v4
	ds_bpermute_b32 v8, v56, v6
	v_cmpx_le_u32_e64 v57, v3
	s_cbranch_execz .LBB2234_83
; %bb.82:
	s_wait_dscnt 0x1
	v_add_co_u32 v4, vcc_lo, v5, v24
	s_wait_alu 0xfffd
	v_add_co_ci_u32_e64 v6, null, 0, v6, vcc_lo
	s_delay_alu instid0(VALU_DEP_2) | instskip(SKIP_2) | instid1(VALU_DEP_2)
	v_add_co_u32 v5, vcc_lo, 0, v4
	s_wait_dscnt 0x0
	s_wait_alu 0xfffd
	v_add_co_ci_u32_e64 v6, null, v8, v6, vcc_lo
.LBB2234_83:
	s_wait_alu 0xfffe
	s_or_b32 exec_lo, exec_lo, s4
	v_cmp_gt_u32_e32 vcc_lo, 28, v51
	v_add_nc_u32_e32 v59, 4, v51
	s_mov_b32 s4, exec_lo
	s_wait_dscnt 0x0
	s_wait_alu 0xfffd
	v_cndmask_b32_e64 v8, 0, 4, vcc_lo
	s_delay_alu instid0(VALU_DEP_1)
	v_add_lshl_u32 v58, v8, v51, 2
	ds_bpermute_b32 v24, v58, v4
	ds_bpermute_b32 v8, v58, v6
	v_cmpx_le_u32_e64 v59, v3
	;; [unrolled: 25-line block ×3, first 2 shown]
	s_cbranch_execz .LBB2234_87
; %bb.86:
	s_wait_dscnt 0x1
	v_add_co_u32 v4, vcc_lo, v5, v24
	s_wait_alu 0xfffd
	v_add_co_ci_u32_e64 v6, null, 0, v6, vcc_lo
	s_delay_alu instid0(VALU_DEP_2) | instskip(SKIP_2) | instid1(VALU_DEP_2)
	v_add_co_u32 v5, vcc_lo, 0, v4
	s_wait_dscnt 0x0
	s_wait_alu 0xfffd
	v_add_co_ci_u32_e64 v6, null, v8, v6, vcc_lo
.LBB2234_87:
	s_wait_alu 0xfffe
	s_or_b32 exec_lo, exec_lo, s4
	v_lshl_or_b32 v62, v51, 2, 64
	v_add_nc_u32_e32 v63, 16, v51
	s_mov_b32 s4, exec_lo
	s_wait_dscnt 0x0
	ds_bpermute_b32 v8, v62, v4
	ds_bpermute_b32 v4, v62, v6
	v_cmpx_le_u32_e64 v63, v3
	s_cbranch_execz .LBB2234_89
; %bb.88:
	s_wait_dscnt 0x1
	v_add_co_u32 v3, vcc_lo, v5, v8
	s_wait_alu 0xfffd
	v_add_co_ci_u32_e64 v6, null, 0, v6, vcc_lo
	s_delay_alu instid0(VALU_DEP_2) | instskip(SKIP_2) | instid1(VALU_DEP_2)
	v_add_co_u32 v5, vcc_lo, v3, 0
	s_wait_dscnt 0x0
	s_wait_alu 0xfffd
	v_add_co_ci_u32_e64 v6, null, v6, v4, vcc_lo
.LBB2234_89:
	s_wait_alu 0xfffe
	s_or_b32 exec_lo, exec_lo, s4
	v_mov_b32_e32 v24, 0
	s_branch .LBB2234_92
.LBB2234_90:                            ;   in Loop: Header=BB2234_92 Depth=1
	s_wait_alu 0xfffe
	s_or_b32 exec_lo, exec_lo, s4
	v_add_co_u32 v5, vcc_lo, v5, v3
	v_subrev_nc_u32_e32 v23, 32, v23
	s_wait_alu 0xfffd
	v_add_co_ci_u32_e64 v6, null, v6, v4, vcc_lo
	s_mov_b32 s4, 0
.LBB2234_91:                            ;   in Loop: Header=BB2234_92 Depth=1
	s_wait_alu 0xfffe
	s_and_b32 vcc_lo, exec_lo, s4
	s_wait_alu 0xfffe
	s_cbranch_vccnz .LBB2234_108
.LBB2234_92:                            ; =>This Loop Header: Depth=1
                                        ;     Child Loop BB2234_95 Depth 2
	v_and_b32_e32 v3, 0xff, v7
	s_mov_b32 s4, -1
	s_delay_alu instid0(VALU_DEP_1)
	v_cmp_ne_u16_e32 vcc_lo, 2, v3
	s_wait_dscnt 0x0
	v_dual_mov_b32 v3, v5 :: v_dual_mov_b32 v4, v6
                                        ; implicit-def: $vgpr5_vgpr6
	s_cmp_lg_u32 vcc_lo, exec_lo
	s_cbranch_scc1 .LBB2234_91
; %bb.93:                               ;   in Loop: Header=BB2234_92 Depth=1
	v_lshlrev_b64_e32 v[5:6], 4, v[23:24]
	s_mov_b32 s4, exec_lo
	s_delay_alu instid0(VALU_DEP_1) | instskip(SKIP_1) | instid1(VALU_DEP_2)
	v_add_co_u32 v25, vcc_lo, s18, v5
	s_wait_alu 0xfffd
	v_add_co_ci_u32_e64 v26, null, s19, v6, vcc_lo
	;;#ASMSTART
	global_load_b128 v[5:8], v[25:26] off scope:SCOPE_DEV	
s_wait_loadcnt 0x0
	;;#ASMEND
	v_and_b32_e32 v8, 0xff, v7
	s_delay_alu instid0(VALU_DEP_1)
	v_cmpx_eq_u16_e32 0, v8
	s_cbranch_execz .LBB2234_97
; %bb.94:                               ;   in Loop: Header=BB2234_92 Depth=1
	s_mov_b32 s5, 0
.LBB2234_95:                            ;   Parent Loop BB2234_92 Depth=1
                                        ; =>  This Inner Loop Header: Depth=2
	;;#ASMSTART
	global_load_b128 v[5:8], v[25:26] off scope:SCOPE_DEV	
s_wait_loadcnt 0x0
	;;#ASMEND
	v_and_b32_e32 v8, 0xff, v7
	s_delay_alu instid0(VALU_DEP_1)
	v_cmp_ne_u16_e32 vcc_lo, 0, v8
	s_wait_alu 0xfffe
	s_or_b32 s5, vcc_lo, s5
	s_wait_alu 0xfffe
	s_and_not1_b32 exec_lo, exec_lo, s5
	s_cbranch_execnz .LBB2234_95
; %bb.96:                               ;   in Loop: Header=BB2234_92 Depth=1
	s_or_b32 exec_lo, exec_lo, s5
.LBB2234_97:                            ;   in Loop: Header=BB2234_92 Depth=1
	s_wait_alu 0xfffe
	s_or_b32 exec_lo, exec_lo, s4
	v_dual_mov_b32 v25, v5 :: v_dual_and_b32 v8, 0xff, v7
	ds_bpermute_b32 v64, v54, v5
	ds_bpermute_b32 v26, v54, v6
	s_mov_b32 s4, exec_lo
	v_cmp_eq_u16_e32 vcc_lo, 2, v8
	s_wait_alu 0xfffd
	v_and_or_b32 v8, vcc_lo, v55, 0x80000000
	s_delay_alu instid0(VALU_DEP_1) | instskip(NEXT) | instid1(VALU_DEP_1)
	v_ctz_i32_b32_e32 v8, v8
	v_cmpx_lt_u32_e64 v51, v8
	s_cbranch_execz .LBB2234_99
; %bb.98:                               ;   in Loop: Header=BB2234_92 Depth=1
	s_wait_dscnt 0x1
	v_add_co_u32 v25, vcc_lo, v5, v64
	s_wait_alu 0xfffd
	v_add_co_ci_u32_e64 v6, null, 0, v6, vcc_lo
	s_delay_alu instid0(VALU_DEP_2) | instskip(SKIP_2) | instid1(VALU_DEP_2)
	v_add_co_u32 v5, vcc_lo, 0, v25
	s_wait_dscnt 0x0
	s_wait_alu 0xfffd
	v_add_co_ci_u32_e64 v6, null, v26, v6, vcc_lo
.LBB2234_99:                            ;   in Loop: Header=BB2234_92 Depth=1
	s_wait_alu 0xfffe
	s_or_b32 exec_lo, exec_lo, s4
	s_wait_dscnt 0x1
	ds_bpermute_b32 v64, v56, v25
	s_wait_dscnt 0x1
	ds_bpermute_b32 v26, v56, v6
	s_mov_b32 s4, exec_lo
	v_cmpx_le_u32_e64 v57, v8
	s_cbranch_execz .LBB2234_101
; %bb.100:                              ;   in Loop: Header=BB2234_92 Depth=1
	s_wait_dscnt 0x1
	v_add_co_u32 v25, vcc_lo, v5, v64
	s_wait_alu 0xfffd
	v_add_co_ci_u32_e64 v6, null, 0, v6, vcc_lo
	s_delay_alu instid0(VALU_DEP_2) | instskip(SKIP_2) | instid1(VALU_DEP_2)
	v_add_co_u32 v5, vcc_lo, 0, v25
	s_wait_dscnt 0x0
	s_wait_alu 0xfffd
	v_add_co_ci_u32_e64 v6, null, v26, v6, vcc_lo
.LBB2234_101:                           ;   in Loop: Header=BB2234_92 Depth=1
	s_wait_alu 0xfffe
	s_or_b32 exec_lo, exec_lo, s4
	s_wait_dscnt 0x1
	ds_bpermute_b32 v64, v58, v25
	s_wait_dscnt 0x1
	ds_bpermute_b32 v26, v58, v6
	s_mov_b32 s4, exec_lo
	v_cmpx_le_u32_e64 v59, v8
	s_cbranch_execz .LBB2234_103
; %bb.102:                              ;   in Loop: Header=BB2234_92 Depth=1
	s_wait_dscnt 0x1
	v_add_co_u32 v25, vcc_lo, v5, v64
	s_wait_alu 0xfffd
	v_add_co_ci_u32_e64 v6, null, 0, v6, vcc_lo
	s_delay_alu instid0(VALU_DEP_2) | instskip(SKIP_2) | instid1(VALU_DEP_2)
	v_add_co_u32 v5, vcc_lo, 0, v25
	s_wait_dscnt 0x0
	s_wait_alu 0xfffd
	v_add_co_ci_u32_e64 v6, null, v26, v6, vcc_lo
.LBB2234_103:                           ;   in Loop: Header=BB2234_92 Depth=1
	;; [unrolled: 20-line block ×3, first 2 shown]
	s_wait_alu 0xfffe
	s_or_b32 exec_lo, exec_lo, s4
	s_wait_dscnt 0x0
	ds_bpermute_b32 v26, v62, v25
	ds_bpermute_b32 v25, v62, v6
	s_mov_b32 s4, exec_lo
	v_cmpx_le_u32_e64 v63, v8
	s_cbranch_execz .LBB2234_90
; %bb.106:                              ;   in Loop: Header=BB2234_92 Depth=1
	s_wait_dscnt 0x1
	v_add_co_u32 v5, vcc_lo, v5, v26
	s_wait_alu 0xfffd
	v_add_co_ci_u32_e64 v6, null, 0, v6, vcc_lo
	s_delay_alu instid0(VALU_DEP_2) | instskip(SKIP_2) | instid1(VALU_DEP_2)
	v_add_co_u32 v5, vcc_lo, v5, 0
	s_wait_dscnt 0x0
	s_wait_alu 0xfffd
	v_add_co_ci_u32_e64 v6, null, v6, v25, vcc_lo
	s_branch .LBB2234_90
.LBB2234_107:
                                        ; implicit-def: $vgpr3_vgpr4
                                        ; implicit-def: $vgpr5_vgpr6
	s_wait_alu 0xfffe
	s_and_b32 vcc_lo, exec_lo, s1
	s_wait_alu 0xfffe
	s_cbranch_vccnz .LBB2234_113
	s_branch .LBB2234_140
.LBB2234_108:
	s_and_saveexec_b32 s4, s1
	s_cbranch_execz .LBB2234_110
; %bb.109:
	s_add_co_i32 s6, s23, 32
	s_mov_b32 s7, 0
	v_add_co_u32 v5, vcc_lo, v3, v1
	s_wait_alu 0xfffe
	s_lshl_b64 s[6:7], s[6:7], 4
	v_dual_mov_b32 v7, 2 :: v_dual_mov_b32 v8, 0
	s_wait_alu 0xfffe
	s_add_nc_u64 s[6:7], s[18:19], s[6:7]
	s_wait_alu 0xfffd
	v_add_co_ci_u32_e64 v6, null, v4, v2, vcc_lo
	s_wait_alu 0xfffe
	v_dual_mov_b32 v24, s7 :: v_dual_mov_b32 v23, s6
	;;#ASMSTART
	global_store_b128 v[23:24], v[5:8] off scope:SCOPE_DEV	
s_wait_storecnt 0x0
	;;#ASMEND
	ds_store_b128 v8, v[1:4] offset:13824
.LBB2234_110:
	s_wait_alu 0xfffe
	s_or_b32 exec_lo, exec_lo, s4
	s_delay_alu instid0(SALU_CYCLE_1)
	s_and_b32 exec_lo, exec_lo, s2
; %bb.111:
	v_mov_b32_e32 v1, 0
	ds_store_b64 v1, v[3:4] offset:88
.LBB2234_112:
	s_wait_alu 0xfffe
	s_or_b32 exec_lo, exec_lo, s3
	v_mov_b32_e32 v1, 0
	s_wait_loadcnt_dscnt 0x0
	s_barrier_signal -1
	s_barrier_wait -1
	global_inv scope:SCOPE_SE
	ds_load_b64 v[5:6], v1 offset:88
	s_wait_loadcnt_dscnt 0x0
	s_barrier_signal -1
	s_barrier_wait -1
	global_inv scope:SCOPE_SE
	ds_load_b128 v[1:4], v1 offset:13824
	v_cndmask_b32_e64 v7, v53, v21, s1
	v_cndmask_b32_e64 v8, 0, v22, s1
	s_delay_alu instid0(VALU_DEP_2) | instskip(NEXT) | instid1(VALU_DEP_2)
	v_cndmask_b32_e64 v7, v7, 0, s2
	v_cndmask_b32_e64 v8, v8, 0, s2
	s_delay_alu instid0(VALU_DEP_2) | instskip(SKIP_1) | instid1(VALU_DEP_2)
	v_add_co_u32 v5, vcc_lo, v5, v7
	s_wait_alu 0xfffd
	v_add_co_ci_u32_e64 v6, null, v6, v8, vcc_lo
	s_branch .LBB2234_140
.LBB2234_113:
	s_wait_dscnt 0x0
	v_dual_mov_b32 v2, 0 :: v_dual_mov_b32 v3, v19
	v_mov_b32_dpp v4, v19 row_shr:1 row_mask:0xf bank_mask:0xf
	s_delay_alu instid0(VALU_DEP_2)
	v_mov_b32_dpp v1, v2 row_shr:1 row_mask:0xf bank_mask:0xf
	s_and_saveexec_b32 s1, s0
; %bb.114:
	s_delay_alu instid0(VALU_DEP_2) | instskip(SKIP_2) | instid1(VALU_DEP_2)
	v_add_co_u32 v3, vcc_lo, v19, v4
	s_wait_alu 0xfffd
	v_add_co_ci_u32_e64 v2, null, 0, v20, vcc_lo
	v_add_co_u32 v19, vcc_lo, 0, v3
	s_wait_alu 0xfffd
	s_delay_alu instid0(VALU_DEP_2) | instskip(NEXT) | instid1(VALU_DEP_1)
	v_add_co_ci_u32_e64 v20, null, v1, v2, vcc_lo
	v_mov_b32_e32 v2, v20
; %bb.115:
	s_wait_alu 0xfffe
	s_or_b32 exec_lo, exec_lo, s1
	v_mov_b32_dpp v1, v3 row_shr:2 row_mask:0xf bank_mask:0xf
	s_delay_alu instid0(VALU_DEP_2)
	v_mov_b32_dpp v4, v2 row_shr:2 row_mask:0xf bank_mask:0xf
	v_cmp_lt_u32_e32 vcc_lo, 1, v52
	s_and_saveexec_b32 s3, vcc_lo
; %bb.116:
	s_delay_alu instid0(VALU_DEP_3) | instskip(SKIP_2) | instid1(VALU_DEP_2)
	v_add_co_u32 v3, s1, v19, v1
	s_wait_alu 0xf1ff
	v_add_co_ci_u32_e64 v2, null, 0, v20, s1
	v_add_co_u32 v1, s1, 0, v3
	s_wait_alu 0xf1ff
	s_delay_alu instid0(VALU_DEP_2) | instskip(NEXT) | instid1(VALU_DEP_1)
	v_add_co_ci_u32_e64 v2, null, v4, v2, s1
	v_dual_mov_b32 v20, v2 :: v_dual_mov_b32 v19, v1
; %bb.117:
	s_wait_alu 0xfffe
	s_or_b32 exec_lo, exec_lo, s3
	v_mov_b32_dpp v1, v3 row_shr:4 row_mask:0xf bank_mask:0xf
	v_mov_b32_dpp v4, v2 row_shr:4 row_mask:0xf bank_mask:0xf
	v_cmp_lt_u32_e64 s1, 3, v52
	s_and_saveexec_b32 s4, s1
; %bb.118:
	v_add_co_u32 v3, s3, v19, v1
	s_wait_alu 0xf1ff
	v_add_co_ci_u32_e64 v2, null, 0, v20, s3
	s_delay_alu instid0(VALU_DEP_2) | instskip(SKIP_1) | instid1(VALU_DEP_2)
	v_add_co_u32 v1, s3, 0, v3
	s_wait_alu 0xf1ff
	v_add_co_ci_u32_e64 v2, null, v4, v2, s3
	s_delay_alu instid0(VALU_DEP_1)
	v_dual_mov_b32 v20, v2 :: v_dual_mov_b32 v19, v1
; %bb.119:
	s_wait_alu 0xfffe
	s_or_b32 exec_lo, exec_lo, s4
	v_mov_b32_dpp v4, v3 row_shr:8 row_mask:0xf bank_mask:0xf
	v_mov_b32_dpp v1, v2 row_shr:8 row_mask:0xf bank_mask:0xf
	v_cmp_lt_u32_e64 s3, 7, v52
	s_and_saveexec_b32 s5, s3
; %bb.120:
	v_add_co_u32 v3, s4, v19, v4
	s_wait_alu 0xf1ff
	v_add_co_ci_u32_e64 v2, null, 0, v20, s4
	s_delay_alu instid0(VALU_DEP_2) | instskip(SKIP_1) | instid1(VALU_DEP_2)
	v_add_co_u32 v19, s4, 0, v3
	s_wait_alu 0xf1ff
	v_add_co_ci_u32_e64 v20, null, v1, v2, s4
	s_delay_alu instid0(VALU_DEP_1)
	v_mov_b32_e32 v2, v20
; %bb.121:
	s_wait_alu 0xfffe
	s_or_b32 exec_lo, exec_lo, s5
	ds_swizzle_b32 v3, v3 offset:swizzle(BROADCAST,32,15)
	ds_swizzle_b32 v1, v2 offset:swizzle(BROADCAST,32,15)
	v_and_b32_e32 v2, 16, v51
	s_mov_b32 s5, exec_lo
	s_delay_alu instid0(VALU_DEP_1)
	v_cmpx_ne_u32_e32 0, v2
	s_cbranch_execz .LBB2234_123
; %bb.122:
	s_wait_dscnt 0x1
	v_add_co_u32 v2, s4, v19, v3
	s_wait_alu 0xf1ff
	v_add_co_ci_u32_e64 v3, null, 0, v20, s4
	s_delay_alu instid0(VALU_DEP_2) | instskip(SKIP_2) | instid1(VALU_DEP_2)
	v_add_co_u32 v19, s4, v2, 0
	s_wait_dscnt 0x0
	s_wait_alu 0xf1ff
	v_add_co_ci_u32_e64 v20, null, v3, v1, s4
.LBB2234_123:
	s_wait_alu 0xfffe
	s_or_b32 exec_lo, exec_lo, s5
	s_wait_dscnt 0x0
	v_and_b32_e32 v1, 0x1e0, v0
	v_lshrrev_b32_e32 v3, 5, v0
	s_mov_b32 s5, exec_lo
	s_delay_alu instid0(VALU_DEP_2) | instskip(NEXT) | instid1(VALU_DEP_1)
	v_min_u32_e32 v1, 0x160, v1
	v_or_b32_e32 v1, 31, v1
	s_delay_alu instid0(VALU_DEP_1)
	v_cmpx_eq_u32_e64 v0, v1
; %bb.124:
	v_lshlrev_b32_e32 v1, 3, v3
	ds_store_b64 v1, v[19:20]
; %bb.125:
	s_wait_alu 0xfffe
	s_or_b32 exec_lo, exec_lo, s5
	s_delay_alu instid0(SALU_CYCLE_1)
	s_mov_b32 s5, exec_lo
	s_wait_loadcnt_dscnt 0x0
	s_barrier_signal -1
	s_barrier_wait -1
	global_inv scope:SCOPE_SE
	v_cmpx_gt_u32_e32 12, v0
	s_cbranch_execz .LBB2234_135
; %bb.126:
	v_lshlrev_b32_e32 v4, 3, v0
	ds_load_b64 v[1:2], v4
	s_wait_dscnt 0x0
	v_mov_b32_dpp v7, v1 row_shr:1 row_mask:0xf bank_mask:0xf
	v_mov_b32_dpp v6, v2 row_shr:1 row_mask:0xf bank_mask:0xf
	v_mov_b32_e32 v5, v1
	s_and_saveexec_b32 s4, s0
; %bb.127:
	s_delay_alu instid0(VALU_DEP_3) | instskip(SKIP_2) | instid1(VALU_DEP_2)
	v_add_co_u32 v5, s0, v1, v7
	s_wait_alu 0xf1ff
	v_add_co_ci_u32_e64 v2, null, 0, v2, s0
	v_add_co_u32 v1, s0, 0, v5
	s_wait_alu 0xf1ff
	s_delay_alu instid0(VALU_DEP_2)
	v_add_co_ci_u32_e64 v2, null, v6, v2, s0
; %bb.128:
	s_wait_alu 0xfffe
	s_or_b32 exec_lo, exec_lo, s4
	v_mov_b32_dpp v7, v5 row_shr:2 row_mask:0xf bank_mask:0xf
	s_delay_alu instid0(VALU_DEP_2)
	v_mov_b32_dpp v6, v2 row_shr:2 row_mask:0xf bank_mask:0xf
	s_and_saveexec_b32 s0, vcc_lo
; %bb.129:
	s_delay_alu instid0(VALU_DEP_2) | instskip(SKIP_2) | instid1(VALU_DEP_2)
	v_add_co_u32 v5, vcc_lo, v1, v7
	s_wait_alu 0xfffd
	v_add_co_ci_u32_e64 v2, null, 0, v2, vcc_lo
	v_add_co_u32 v1, vcc_lo, 0, v5
	s_wait_alu 0xfffd
	s_delay_alu instid0(VALU_DEP_2)
	v_add_co_ci_u32_e64 v2, null, v6, v2, vcc_lo
; %bb.130:
	s_wait_alu 0xfffe
	s_or_b32 exec_lo, exec_lo, s0
	v_mov_b32_dpp v7, v5 row_shr:4 row_mask:0xf bank_mask:0xf
	s_delay_alu instid0(VALU_DEP_2)
	v_mov_b32_dpp v6, v2 row_shr:4 row_mask:0xf bank_mask:0xf
	s_and_saveexec_b32 s0, s1
; %bb.131:
	s_delay_alu instid0(VALU_DEP_2) | instskip(SKIP_2) | instid1(VALU_DEP_2)
	v_add_co_u32 v5, vcc_lo, v1, v7
	s_wait_alu 0xfffd
	v_add_co_ci_u32_e64 v2, null, 0, v2, vcc_lo
	v_add_co_u32 v1, vcc_lo, 0, v5
	s_wait_alu 0xfffd
	s_delay_alu instid0(VALU_DEP_2)
	v_add_co_ci_u32_e64 v2, null, v6, v2, vcc_lo
; %bb.132:
	s_wait_alu 0xfffe
	s_or_b32 exec_lo, exec_lo, s0
	v_mov_b32_dpp v6, v5 row_shr:8 row_mask:0xf bank_mask:0xf
	s_delay_alu instid0(VALU_DEP_2)
	v_mov_b32_dpp v5, v2 row_shr:8 row_mask:0xf bank_mask:0xf
	s_and_saveexec_b32 s0, s3
; %bb.133:
	s_delay_alu instid0(VALU_DEP_2) | instskip(SKIP_2) | instid1(VALU_DEP_2)
	v_add_co_u32 v1, vcc_lo, v1, v6
	s_wait_alu 0xfffd
	v_add_co_ci_u32_e64 v2, null, 0, v2, vcc_lo
	v_add_co_u32 v1, vcc_lo, v1, 0
	s_wait_alu 0xfffd
	s_delay_alu instid0(VALU_DEP_2)
	v_add_co_ci_u32_e64 v2, null, v2, v5, vcc_lo
; %bb.134:
	s_wait_alu 0xfffe
	s_or_b32 exec_lo, exec_lo, s0
	ds_store_b64 v4, v[1:2]
.LBB2234_135:
	s_wait_alu 0xfffe
	s_or_b32 exec_lo, exec_lo, s5
	s_delay_alu instid0(SALU_CYCLE_1)
	s_mov_b32 s0, exec_lo
	v_mov_b32_e32 v5, 0
	v_mov_b32_e32 v6, 0
	s_wait_loadcnt_dscnt 0x0
	s_barrier_signal -1
	s_barrier_wait -1
	global_inv scope:SCOPE_SE
	v_cmpx_lt_u32_e32 31, v0
; %bb.136:
	v_lshl_add_u32 v0, v3, 3, -8
	ds_load_b64 v[5:6], v0
; %bb.137:
	s_wait_alu 0xfffe
	s_or_b32 exec_lo, exec_lo, s0
	v_sub_co_u32 v0, vcc_lo, v51, 1
	s_wait_dscnt 0x0
	v_dual_mov_b32 v4, 0 :: v_dual_add_nc_u32 v1, v5, v19
	s_delay_alu instid0(VALU_DEP_2) | instskip(SKIP_1) | instid1(VALU_DEP_1)
	v_cmp_gt_i32_e64 s0, 0, v0
	s_wait_alu 0xf1ff
	v_cndmask_b32_e64 v0, v0, v51, s0
	s_delay_alu instid0(VALU_DEP_1)
	v_lshlrev_b32_e32 v0, 2, v0
	ds_bpermute_b32 v0, v0, v1
	ds_load_b64 v[1:2], v4 offset:88
	s_and_saveexec_b32 s0, s2
	s_cbranch_execz .LBB2234_139
; %bb.138:
	s_add_nc_u64 s[4:5], s[18:19], 0x200
	v_mov_b32_e32 v3, 2
	s_wait_alu 0xfffe
	v_dual_mov_b32 v7, s5 :: v_dual_mov_b32 v6, s4
	s_wait_dscnt 0x0
	;;#ASMSTART
	global_store_b128 v[6:7], v[1:4] off scope:SCOPE_DEV	
s_wait_storecnt 0x0
	;;#ASMEND
.LBB2234_139:
	s_wait_alu 0xfffe
	s_or_b32 exec_lo, exec_lo, s0
	s_wait_dscnt 0x1
	s_wait_alu 0xfffd
	v_dual_cndmask_b32 v0, v0, v5 :: v_dual_mov_b32 v3, 0
	v_mov_b32_e32 v4, 0
	s_wait_loadcnt_dscnt 0x0
	s_barrier_signal -1
	s_delay_alu instid0(VALU_DEP_2)
	v_cndmask_b32_e64 v5, v0, 0, s2
	s_barrier_wait -1
	global_inv scope:SCOPE_SE
.LBB2234_140:
	s_wait_dscnt 0x0
	v_cmp_gt_u64_e32 vcc_lo, 0x181, v[1:2]
	v_lshrrev_b32_e32 v19, 16, v38
	v_lshrrev_b32_e32 v20, 8, v38
	;; [unrolled: 1-line block ×8, first 2 shown]
	s_cbranch_vccz .LBB2234_143
; %bb.141:
	s_and_b32 s0, s2, s22
	s_wait_alu 0xfffe
	s_and_saveexec_b32 s1, s0
	s_cbranch_execnz .LBB2234_180
.LBB2234_142:
	s_endpgm
.LBB2234_143:
	v_and_b32_e32 v23, 1, v44
	s_mov_b32 s0, exec_lo
	s_delay_alu instid0(VALU_DEP_1)
	v_cmpx_eq_u32_e32 1, v23
; %bb.144:
	v_sub_nc_u32_e32 v23, v5, v3
	s_delay_alu instid0(VALU_DEP_1)
	v_lshlrev_b32_e32 v23, 1, v23
	ds_store_b16 v23, v28
; %bb.145:
	s_wait_alu 0xfffe
	s_or_b32 exec_lo, exec_lo, s0
	v_and_b32_e32 v22, 1, v22
	v_add_co_u32 v5, null, v5, v49
	s_mov_b32 s0, exec_lo
	v_cmpx_eq_u32_e32 1, v22
; %bb.146:
	v_sub_nc_u32_e32 v22, v5, v3
	s_delay_alu instid0(VALU_DEP_1)
	v_lshlrev_b32_e32 v22, 1, v22
	ds_store_b16_d16_hi v22, v28
; %bb.147:
	s_wait_alu 0xfffe
	s_or_b32 exec_lo, exec_lo, s0
	v_and_b32_e32 v21, 1, v21
	v_add_co_u32 v5, null, v5, v47
	s_mov_b32 s0, exec_lo
	v_cmpx_eq_u32_e32 1, v21
; %bb.148:
	v_sub_nc_u32_e32 v21, v5, v3
	s_delay_alu instid0(VALU_DEP_1)
	v_lshlrev_b32_e32 v21, 1, v21
	ds_store_b16 v21, v15
; %bb.149:
	s_wait_alu 0xfffe
	s_or_b32 exec_lo, exec_lo, s0
	v_and_b32_e32 v21, 1, v48
	v_add_co_u32 v5, null, v5, v50
	s_mov_b32 s0, exec_lo
	v_cmpx_eq_u32_e32 1, v21
; %bb.150:
	v_sub_nc_u32_e32 v21, v5, v3
	s_delay_alu instid0(VALU_DEP_1)
	v_lshlrev_b32_e32 v21, 1, v21
	ds_store_b16_d16_hi v21, v15
; %bb.151:
	s_wait_alu 0xfffe
	s_or_b32 exec_lo, exec_lo, s0
	v_and_b32_e32 v15, 1, v38
	v_add_co_u32 v5, null, v5, v48
	s_mov_b32 s0, exec_lo
	;; [unrolled: 24-line block ×7, first 2 shown]
	v_cmpx_eq_u32_e32 1, v6
; %bb.172:
	v_sub_nc_u32_e32 v5, v0, v3
	s_delay_alu instid0(VALU_DEP_1)
	v_lshlrev_b32_e32 v5, 1, v5
	ds_store_b16 v5, v9
; %bb.173:
	s_wait_alu 0xfffe
	s_or_b32 exec_lo, exec_lo, s0
	v_and_b32_e32 v5, 1, v33
	v_add_co_u32 v0, null, v0, v34
	s_mov_b32 s0, exec_lo
	v_cmpx_eq_u32_e32 1, v5
; %bb.174:
	v_sub_nc_u32_e32 v5, v0, v3
	s_delay_alu instid0(VALU_DEP_1)
	v_lshlrev_b32_e32 v5, 1, v5
	ds_store_b16 v5, v27
; %bb.175:
	s_wait_alu 0xfffe
	s_or_b32 exec_lo, exec_lo, s0
	v_and_b32_e32 v5, 1, v29
	v_add_co_u32 v0, null, v0, v33
	s_mov_b32 s0, exec_lo
	v_cmpx_eq_u32_e32 1, v5
; %bb.176:
	v_sub_nc_u32_e32 v5, v0, v3
	s_delay_alu instid0(VALU_DEP_1)
	v_lshlrev_b32_e32 v5, 1, v5
	ds_store_b16_d16_hi v5, v27
; %bb.177:
	s_wait_alu 0xfffe
	s_or_b32 exec_lo, exec_lo, s0
	s_and_saveexec_b32 s0, s24
; %bb.178:
	v_sub_nc_u32_e32 v5, v31, v3
	s_delay_alu instid0(VALU_DEP_1)
	v_add_lshl_u32 v0, v5, v0, 1
	ds_store_b16 v0, v10
; %bb.179:
	s_wait_alu 0xfffe
	s_or_b32 exec_lo, exec_lo, s0
	s_wait_loadcnt_dscnt 0x0
	s_barrier_signal -1
	s_barrier_wait -1
	global_inv scope:SCOPE_SE
	s_and_b32 s0, s2, s22
	s_wait_alu 0xfffe
	s_and_saveexec_b32 s1, s0
	s_cbranch_execz .LBB2234_142
.LBB2234_180:
	v_add_co_u32 v0, vcc_lo, v1, v17
	s_wait_alu 0xfffd
	v_add_co_ci_u32_e64 v1, null, v2, v18, vcc_lo
	v_mov_b32_e32 v2, 0
	s_delay_alu instid0(VALU_DEP_3) | instskip(SKIP_1) | instid1(VALU_DEP_3)
	v_add_co_u32 v0, vcc_lo, v0, v3
	s_wait_alu 0xfffd
	v_add_co_ci_u32_e64 v1, null, v1, v4, vcc_lo
	global_store_b64 v2, v[0:1], s[20:21]
	s_endpgm
	.section	.rodata,"a",@progbits
	.p2align	6, 0x0
	.amdhsa_kernel _ZN7rocprim17ROCPRIM_400000_NS6detail17trampoline_kernelINS0_14default_configENS1_25partition_config_selectorILNS1_17partition_subalgoE6EtNS0_10empty_typeEbEEZZNS1_14partition_implILS5_6ELb0ES3_mN6thrust23THRUST_200600_302600_NS6detail15normal_iteratorINSA_10device_ptrItEEEEPS6_SG_NS0_5tupleIJNSA_16discard_iteratorINSA_11use_defaultEEES6_EEENSH_IJSG_SG_EEES6_PlJNSB_9not_fun_tI7is_trueItEEEEEE10hipError_tPvRmT3_T4_T5_T6_T7_T9_mT8_P12ihipStream_tbDpT10_ENKUlT_T0_E_clISt17integral_constantIbLb0EES1A_IbLb1EEEEDaS16_S17_EUlS16_E_NS1_11comp_targetILNS1_3genE10ELNS1_11target_archE1200ELNS1_3gpuE4ELNS1_3repE0EEENS1_30default_config_static_selectorELNS0_4arch9wavefront6targetE0EEEvT1_
		.amdhsa_group_segment_fixed_size 13840
		.amdhsa_private_segment_fixed_size 0
		.amdhsa_kernarg_size 136
		.amdhsa_user_sgpr_count 2
		.amdhsa_user_sgpr_dispatch_ptr 0
		.amdhsa_user_sgpr_queue_ptr 0
		.amdhsa_user_sgpr_kernarg_segment_ptr 1
		.amdhsa_user_sgpr_dispatch_id 0
		.amdhsa_user_sgpr_private_segment_size 0
		.amdhsa_wavefront_size32 1
		.amdhsa_uses_dynamic_stack 0
		.amdhsa_enable_private_segment 0
		.amdhsa_system_sgpr_workgroup_id_x 1
		.amdhsa_system_sgpr_workgroup_id_y 0
		.amdhsa_system_sgpr_workgroup_id_z 0
		.amdhsa_system_sgpr_workgroup_info 0
		.amdhsa_system_vgpr_workitem_id 0
		.amdhsa_next_free_vgpr 65
		.amdhsa_next_free_sgpr 26
		.amdhsa_reserve_vcc 1
		.amdhsa_float_round_mode_32 0
		.amdhsa_float_round_mode_16_64 0
		.amdhsa_float_denorm_mode_32 3
		.amdhsa_float_denorm_mode_16_64 3
		.amdhsa_fp16_overflow 0
		.amdhsa_workgroup_processor_mode 1
		.amdhsa_memory_ordered 1
		.amdhsa_forward_progress 1
		.amdhsa_inst_pref_size 75
		.amdhsa_round_robin_scheduling 0
		.amdhsa_exception_fp_ieee_invalid_op 0
		.amdhsa_exception_fp_denorm_src 0
		.amdhsa_exception_fp_ieee_div_zero 0
		.amdhsa_exception_fp_ieee_overflow 0
		.amdhsa_exception_fp_ieee_underflow 0
		.amdhsa_exception_fp_ieee_inexact 0
		.amdhsa_exception_int_div_zero 0
	.end_amdhsa_kernel
	.section	.text._ZN7rocprim17ROCPRIM_400000_NS6detail17trampoline_kernelINS0_14default_configENS1_25partition_config_selectorILNS1_17partition_subalgoE6EtNS0_10empty_typeEbEEZZNS1_14partition_implILS5_6ELb0ES3_mN6thrust23THRUST_200600_302600_NS6detail15normal_iteratorINSA_10device_ptrItEEEEPS6_SG_NS0_5tupleIJNSA_16discard_iteratorINSA_11use_defaultEEES6_EEENSH_IJSG_SG_EEES6_PlJNSB_9not_fun_tI7is_trueItEEEEEE10hipError_tPvRmT3_T4_T5_T6_T7_T9_mT8_P12ihipStream_tbDpT10_ENKUlT_T0_E_clISt17integral_constantIbLb0EES1A_IbLb1EEEEDaS16_S17_EUlS16_E_NS1_11comp_targetILNS1_3genE10ELNS1_11target_archE1200ELNS1_3gpuE4ELNS1_3repE0EEENS1_30default_config_static_selectorELNS0_4arch9wavefront6targetE0EEEvT1_,"axG",@progbits,_ZN7rocprim17ROCPRIM_400000_NS6detail17trampoline_kernelINS0_14default_configENS1_25partition_config_selectorILNS1_17partition_subalgoE6EtNS0_10empty_typeEbEEZZNS1_14partition_implILS5_6ELb0ES3_mN6thrust23THRUST_200600_302600_NS6detail15normal_iteratorINSA_10device_ptrItEEEEPS6_SG_NS0_5tupleIJNSA_16discard_iteratorINSA_11use_defaultEEES6_EEENSH_IJSG_SG_EEES6_PlJNSB_9not_fun_tI7is_trueItEEEEEE10hipError_tPvRmT3_T4_T5_T6_T7_T9_mT8_P12ihipStream_tbDpT10_ENKUlT_T0_E_clISt17integral_constantIbLb0EES1A_IbLb1EEEEDaS16_S17_EUlS16_E_NS1_11comp_targetILNS1_3genE10ELNS1_11target_archE1200ELNS1_3gpuE4ELNS1_3repE0EEENS1_30default_config_static_selectorELNS0_4arch9wavefront6targetE0EEEvT1_,comdat
.Lfunc_end2234:
	.size	_ZN7rocprim17ROCPRIM_400000_NS6detail17trampoline_kernelINS0_14default_configENS1_25partition_config_selectorILNS1_17partition_subalgoE6EtNS0_10empty_typeEbEEZZNS1_14partition_implILS5_6ELb0ES3_mN6thrust23THRUST_200600_302600_NS6detail15normal_iteratorINSA_10device_ptrItEEEEPS6_SG_NS0_5tupleIJNSA_16discard_iteratorINSA_11use_defaultEEES6_EEENSH_IJSG_SG_EEES6_PlJNSB_9not_fun_tI7is_trueItEEEEEE10hipError_tPvRmT3_T4_T5_T6_T7_T9_mT8_P12ihipStream_tbDpT10_ENKUlT_T0_E_clISt17integral_constantIbLb0EES1A_IbLb1EEEEDaS16_S17_EUlS16_E_NS1_11comp_targetILNS1_3genE10ELNS1_11target_archE1200ELNS1_3gpuE4ELNS1_3repE0EEENS1_30default_config_static_selectorELNS0_4arch9wavefront6targetE0EEEvT1_, .Lfunc_end2234-_ZN7rocprim17ROCPRIM_400000_NS6detail17trampoline_kernelINS0_14default_configENS1_25partition_config_selectorILNS1_17partition_subalgoE6EtNS0_10empty_typeEbEEZZNS1_14partition_implILS5_6ELb0ES3_mN6thrust23THRUST_200600_302600_NS6detail15normal_iteratorINSA_10device_ptrItEEEEPS6_SG_NS0_5tupleIJNSA_16discard_iteratorINSA_11use_defaultEEES6_EEENSH_IJSG_SG_EEES6_PlJNSB_9not_fun_tI7is_trueItEEEEEE10hipError_tPvRmT3_T4_T5_T6_T7_T9_mT8_P12ihipStream_tbDpT10_ENKUlT_T0_E_clISt17integral_constantIbLb0EES1A_IbLb1EEEEDaS16_S17_EUlS16_E_NS1_11comp_targetILNS1_3genE10ELNS1_11target_archE1200ELNS1_3gpuE4ELNS1_3repE0EEENS1_30default_config_static_selectorELNS0_4arch9wavefront6targetE0EEEvT1_
                                        ; -- End function
	.set _ZN7rocprim17ROCPRIM_400000_NS6detail17trampoline_kernelINS0_14default_configENS1_25partition_config_selectorILNS1_17partition_subalgoE6EtNS0_10empty_typeEbEEZZNS1_14partition_implILS5_6ELb0ES3_mN6thrust23THRUST_200600_302600_NS6detail15normal_iteratorINSA_10device_ptrItEEEEPS6_SG_NS0_5tupleIJNSA_16discard_iteratorINSA_11use_defaultEEES6_EEENSH_IJSG_SG_EEES6_PlJNSB_9not_fun_tI7is_trueItEEEEEE10hipError_tPvRmT3_T4_T5_T6_T7_T9_mT8_P12ihipStream_tbDpT10_ENKUlT_T0_E_clISt17integral_constantIbLb0EES1A_IbLb1EEEEDaS16_S17_EUlS16_E_NS1_11comp_targetILNS1_3genE10ELNS1_11target_archE1200ELNS1_3gpuE4ELNS1_3repE0EEENS1_30default_config_static_selectorELNS0_4arch9wavefront6targetE0EEEvT1_.num_vgpr, 65
	.set _ZN7rocprim17ROCPRIM_400000_NS6detail17trampoline_kernelINS0_14default_configENS1_25partition_config_selectorILNS1_17partition_subalgoE6EtNS0_10empty_typeEbEEZZNS1_14partition_implILS5_6ELb0ES3_mN6thrust23THRUST_200600_302600_NS6detail15normal_iteratorINSA_10device_ptrItEEEEPS6_SG_NS0_5tupleIJNSA_16discard_iteratorINSA_11use_defaultEEES6_EEENSH_IJSG_SG_EEES6_PlJNSB_9not_fun_tI7is_trueItEEEEEE10hipError_tPvRmT3_T4_T5_T6_T7_T9_mT8_P12ihipStream_tbDpT10_ENKUlT_T0_E_clISt17integral_constantIbLb0EES1A_IbLb1EEEEDaS16_S17_EUlS16_E_NS1_11comp_targetILNS1_3genE10ELNS1_11target_archE1200ELNS1_3gpuE4ELNS1_3repE0EEENS1_30default_config_static_selectorELNS0_4arch9wavefront6targetE0EEEvT1_.num_agpr, 0
	.set _ZN7rocprim17ROCPRIM_400000_NS6detail17trampoline_kernelINS0_14default_configENS1_25partition_config_selectorILNS1_17partition_subalgoE6EtNS0_10empty_typeEbEEZZNS1_14partition_implILS5_6ELb0ES3_mN6thrust23THRUST_200600_302600_NS6detail15normal_iteratorINSA_10device_ptrItEEEEPS6_SG_NS0_5tupleIJNSA_16discard_iteratorINSA_11use_defaultEEES6_EEENSH_IJSG_SG_EEES6_PlJNSB_9not_fun_tI7is_trueItEEEEEE10hipError_tPvRmT3_T4_T5_T6_T7_T9_mT8_P12ihipStream_tbDpT10_ENKUlT_T0_E_clISt17integral_constantIbLb0EES1A_IbLb1EEEEDaS16_S17_EUlS16_E_NS1_11comp_targetILNS1_3genE10ELNS1_11target_archE1200ELNS1_3gpuE4ELNS1_3repE0EEENS1_30default_config_static_selectorELNS0_4arch9wavefront6targetE0EEEvT1_.numbered_sgpr, 26
	.set _ZN7rocprim17ROCPRIM_400000_NS6detail17trampoline_kernelINS0_14default_configENS1_25partition_config_selectorILNS1_17partition_subalgoE6EtNS0_10empty_typeEbEEZZNS1_14partition_implILS5_6ELb0ES3_mN6thrust23THRUST_200600_302600_NS6detail15normal_iteratorINSA_10device_ptrItEEEEPS6_SG_NS0_5tupleIJNSA_16discard_iteratorINSA_11use_defaultEEES6_EEENSH_IJSG_SG_EEES6_PlJNSB_9not_fun_tI7is_trueItEEEEEE10hipError_tPvRmT3_T4_T5_T6_T7_T9_mT8_P12ihipStream_tbDpT10_ENKUlT_T0_E_clISt17integral_constantIbLb0EES1A_IbLb1EEEEDaS16_S17_EUlS16_E_NS1_11comp_targetILNS1_3genE10ELNS1_11target_archE1200ELNS1_3gpuE4ELNS1_3repE0EEENS1_30default_config_static_selectorELNS0_4arch9wavefront6targetE0EEEvT1_.num_named_barrier, 0
	.set _ZN7rocprim17ROCPRIM_400000_NS6detail17trampoline_kernelINS0_14default_configENS1_25partition_config_selectorILNS1_17partition_subalgoE6EtNS0_10empty_typeEbEEZZNS1_14partition_implILS5_6ELb0ES3_mN6thrust23THRUST_200600_302600_NS6detail15normal_iteratorINSA_10device_ptrItEEEEPS6_SG_NS0_5tupleIJNSA_16discard_iteratorINSA_11use_defaultEEES6_EEENSH_IJSG_SG_EEES6_PlJNSB_9not_fun_tI7is_trueItEEEEEE10hipError_tPvRmT3_T4_T5_T6_T7_T9_mT8_P12ihipStream_tbDpT10_ENKUlT_T0_E_clISt17integral_constantIbLb0EES1A_IbLb1EEEEDaS16_S17_EUlS16_E_NS1_11comp_targetILNS1_3genE10ELNS1_11target_archE1200ELNS1_3gpuE4ELNS1_3repE0EEENS1_30default_config_static_selectorELNS0_4arch9wavefront6targetE0EEEvT1_.private_seg_size, 0
	.set _ZN7rocprim17ROCPRIM_400000_NS6detail17trampoline_kernelINS0_14default_configENS1_25partition_config_selectorILNS1_17partition_subalgoE6EtNS0_10empty_typeEbEEZZNS1_14partition_implILS5_6ELb0ES3_mN6thrust23THRUST_200600_302600_NS6detail15normal_iteratorINSA_10device_ptrItEEEEPS6_SG_NS0_5tupleIJNSA_16discard_iteratorINSA_11use_defaultEEES6_EEENSH_IJSG_SG_EEES6_PlJNSB_9not_fun_tI7is_trueItEEEEEE10hipError_tPvRmT3_T4_T5_T6_T7_T9_mT8_P12ihipStream_tbDpT10_ENKUlT_T0_E_clISt17integral_constantIbLb0EES1A_IbLb1EEEEDaS16_S17_EUlS16_E_NS1_11comp_targetILNS1_3genE10ELNS1_11target_archE1200ELNS1_3gpuE4ELNS1_3repE0EEENS1_30default_config_static_selectorELNS0_4arch9wavefront6targetE0EEEvT1_.uses_vcc, 1
	.set _ZN7rocprim17ROCPRIM_400000_NS6detail17trampoline_kernelINS0_14default_configENS1_25partition_config_selectorILNS1_17partition_subalgoE6EtNS0_10empty_typeEbEEZZNS1_14partition_implILS5_6ELb0ES3_mN6thrust23THRUST_200600_302600_NS6detail15normal_iteratorINSA_10device_ptrItEEEEPS6_SG_NS0_5tupleIJNSA_16discard_iteratorINSA_11use_defaultEEES6_EEENSH_IJSG_SG_EEES6_PlJNSB_9not_fun_tI7is_trueItEEEEEE10hipError_tPvRmT3_T4_T5_T6_T7_T9_mT8_P12ihipStream_tbDpT10_ENKUlT_T0_E_clISt17integral_constantIbLb0EES1A_IbLb1EEEEDaS16_S17_EUlS16_E_NS1_11comp_targetILNS1_3genE10ELNS1_11target_archE1200ELNS1_3gpuE4ELNS1_3repE0EEENS1_30default_config_static_selectorELNS0_4arch9wavefront6targetE0EEEvT1_.uses_flat_scratch, 1
	.set _ZN7rocprim17ROCPRIM_400000_NS6detail17trampoline_kernelINS0_14default_configENS1_25partition_config_selectorILNS1_17partition_subalgoE6EtNS0_10empty_typeEbEEZZNS1_14partition_implILS5_6ELb0ES3_mN6thrust23THRUST_200600_302600_NS6detail15normal_iteratorINSA_10device_ptrItEEEEPS6_SG_NS0_5tupleIJNSA_16discard_iteratorINSA_11use_defaultEEES6_EEENSH_IJSG_SG_EEES6_PlJNSB_9not_fun_tI7is_trueItEEEEEE10hipError_tPvRmT3_T4_T5_T6_T7_T9_mT8_P12ihipStream_tbDpT10_ENKUlT_T0_E_clISt17integral_constantIbLb0EES1A_IbLb1EEEEDaS16_S17_EUlS16_E_NS1_11comp_targetILNS1_3genE10ELNS1_11target_archE1200ELNS1_3gpuE4ELNS1_3repE0EEENS1_30default_config_static_selectorELNS0_4arch9wavefront6targetE0EEEvT1_.has_dyn_sized_stack, 0
	.set _ZN7rocprim17ROCPRIM_400000_NS6detail17trampoline_kernelINS0_14default_configENS1_25partition_config_selectorILNS1_17partition_subalgoE6EtNS0_10empty_typeEbEEZZNS1_14partition_implILS5_6ELb0ES3_mN6thrust23THRUST_200600_302600_NS6detail15normal_iteratorINSA_10device_ptrItEEEEPS6_SG_NS0_5tupleIJNSA_16discard_iteratorINSA_11use_defaultEEES6_EEENSH_IJSG_SG_EEES6_PlJNSB_9not_fun_tI7is_trueItEEEEEE10hipError_tPvRmT3_T4_T5_T6_T7_T9_mT8_P12ihipStream_tbDpT10_ENKUlT_T0_E_clISt17integral_constantIbLb0EES1A_IbLb1EEEEDaS16_S17_EUlS16_E_NS1_11comp_targetILNS1_3genE10ELNS1_11target_archE1200ELNS1_3gpuE4ELNS1_3repE0EEENS1_30default_config_static_selectorELNS0_4arch9wavefront6targetE0EEEvT1_.has_recursion, 0
	.set _ZN7rocprim17ROCPRIM_400000_NS6detail17trampoline_kernelINS0_14default_configENS1_25partition_config_selectorILNS1_17partition_subalgoE6EtNS0_10empty_typeEbEEZZNS1_14partition_implILS5_6ELb0ES3_mN6thrust23THRUST_200600_302600_NS6detail15normal_iteratorINSA_10device_ptrItEEEEPS6_SG_NS0_5tupleIJNSA_16discard_iteratorINSA_11use_defaultEEES6_EEENSH_IJSG_SG_EEES6_PlJNSB_9not_fun_tI7is_trueItEEEEEE10hipError_tPvRmT3_T4_T5_T6_T7_T9_mT8_P12ihipStream_tbDpT10_ENKUlT_T0_E_clISt17integral_constantIbLb0EES1A_IbLb1EEEEDaS16_S17_EUlS16_E_NS1_11comp_targetILNS1_3genE10ELNS1_11target_archE1200ELNS1_3gpuE4ELNS1_3repE0EEENS1_30default_config_static_selectorELNS0_4arch9wavefront6targetE0EEEvT1_.has_indirect_call, 0
	.section	.AMDGPU.csdata,"",@progbits
; Kernel info:
; codeLenInByte = 9568
; TotalNumSgprs: 28
; NumVgprs: 65
; ScratchSize: 0
; MemoryBound: 0
; FloatMode: 240
; IeeeMode: 1
; LDSByteSize: 13840 bytes/workgroup (compile time only)
; SGPRBlocks: 0
; VGPRBlocks: 8
; NumSGPRsForWavesPerEU: 28
; NumVGPRsForWavesPerEU: 65
; Occupancy: 15
; WaveLimiterHint : 1
; COMPUTE_PGM_RSRC2:SCRATCH_EN: 0
; COMPUTE_PGM_RSRC2:USER_SGPR: 2
; COMPUTE_PGM_RSRC2:TRAP_HANDLER: 0
; COMPUTE_PGM_RSRC2:TGID_X_EN: 1
; COMPUTE_PGM_RSRC2:TGID_Y_EN: 0
; COMPUTE_PGM_RSRC2:TGID_Z_EN: 0
; COMPUTE_PGM_RSRC2:TIDIG_COMP_CNT: 0
	.section	.text._ZN7rocprim17ROCPRIM_400000_NS6detail17trampoline_kernelINS0_14default_configENS1_25partition_config_selectorILNS1_17partition_subalgoE6EtNS0_10empty_typeEbEEZZNS1_14partition_implILS5_6ELb0ES3_mN6thrust23THRUST_200600_302600_NS6detail15normal_iteratorINSA_10device_ptrItEEEEPS6_SG_NS0_5tupleIJNSA_16discard_iteratorINSA_11use_defaultEEES6_EEENSH_IJSG_SG_EEES6_PlJNSB_9not_fun_tI7is_trueItEEEEEE10hipError_tPvRmT3_T4_T5_T6_T7_T9_mT8_P12ihipStream_tbDpT10_ENKUlT_T0_E_clISt17integral_constantIbLb0EES1A_IbLb1EEEEDaS16_S17_EUlS16_E_NS1_11comp_targetILNS1_3genE9ELNS1_11target_archE1100ELNS1_3gpuE3ELNS1_3repE0EEENS1_30default_config_static_selectorELNS0_4arch9wavefront6targetE0EEEvT1_,"axG",@progbits,_ZN7rocprim17ROCPRIM_400000_NS6detail17trampoline_kernelINS0_14default_configENS1_25partition_config_selectorILNS1_17partition_subalgoE6EtNS0_10empty_typeEbEEZZNS1_14partition_implILS5_6ELb0ES3_mN6thrust23THRUST_200600_302600_NS6detail15normal_iteratorINSA_10device_ptrItEEEEPS6_SG_NS0_5tupleIJNSA_16discard_iteratorINSA_11use_defaultEEES6_EEENSH_IJSG_SG_EEES6_PlJNSB_9not_fun_tI7is_trueItEEEEEE10hipError_tPvRmT3_T4_T5_T6_T7_T9_mT8_P12ihipStream_tbDpT10_ENKUlT_T0_E_clISt17integral_constantIbLb0EES1A_IbLb1EEEEDaS16_S17_EUlS16_E_NS1_11comp_targetILNS1_3genE9ELNS1_11target_archE1100ELNS1_3gpuE3ELNS1_3repE0EEENS1_30default_config_static_selectorELNS0_4arch9wavefront6targetE0EEEvT1_,comdat
	.protected	_ZN7rocprim17ROCPRIM_400000_NS6detail17trampoline_kernelINS0_14default_configENS1_25partition_config_selectorILNS1_17partition_subalgoE6EtNS0_10empty_typeEbEEZZNS1_14partition_implILS5_6ELb0ES3_mN6thrust23THRUST_200600_302600_NS6detail15normal_iteratorINSA_10device_ptrItEEEEPS6_SG_NS0_5tupleIJNSA_16discard_iteratorINSA_11use_defaultEEES6_EEENSH_IJSG_SG_EEES6_PlJNSB_9not_fun_tI7is_trueItEEEEEE10hipError_tPvRmT3_T4_T5_T6_T7_T9_mT8_P12ihipStream_tbDpT10_ENKUlT_T0_E_clISt17integral_constantIbLb0EES1A_IbLb1EEEEDaS16_S17_EUlS16_E_NS1_11comp_targetILNS1_3genE9ELNS1_11target_archE1100ELNS1_3gpuE3ELNS1_3repE0EEENS1_30default_config_static_selectorELNS0_4arch9wavefront6targetE0EEEvT1_ ; -- Begin function _ZN7rocprim17ROCPRIM_400000_NS6detail17trampoline_kernelINS0_14default_configENS1_25partition_config_selectorILNS1_17partition_subalgoE6EtNS0_10empty_typeEbEEZZNS1_14partition_implILS5_6ELb0ES3_mN6thrust23THRUST_200600_302600_NS6detail15normal_iteratorINSA_10device_ptrItEEEEPS6_SG_NS0_5tupleIJNSA_16discard_iteratorINSA_11use_defaultEEES6_EEENSH_IJSG_SG_EEES6_PlJNSB_9not_fun_tI7is_trueItEEEEEE10hipError_tPvRmT3_T4_T5_T6_T7_T9_mT8_P12ihipStream_tbDpT10_ENKUlT_T0_E_clISt17integral_constantIbLb0EES1A_IbLb1EEEEDaS16_S17_EUlS16_E_NS1_11comp_targetILNS1_3genE9ELNS1_11target_archE1100ELNS1_3gpuE3ELNS1_3repE0EEENS1_30default_config_static_selectorELNS0_4arch9wavefront6targetE0EEEvT1_
	.globl	_ZN7rocprim17ROCPRIM_400000_NS6detail17trampoline_kernelINS0_14default_configENS1_25partition_config_selectorILNS1_17partition_subalgoE6EtNS0_10empty_typeEbEEZZNS1_14partition_implILS5_6ELb0ES3_mN6thrust23THRUST_200600_302600_NS6detail15normal_iteratorINSA_10device_ptrItEEEEPS6_SG_NS0_5tupleIJNSA_16discard_iteratorINSA_11use_defaultEEES6_EEENSH_IJSG_SG_EEES6_PlJNSB_9not_fun_tI7is_trueItEEEEEE10hipError_tPvRmT3_T4_T5_T6_T7_T9_mT8_P12ihipStream_tbDpT10_ENKUlT_T0_E_clISt17integral_constantIbLb0EES1A_IbLb1EEEEDaS16_S17_EUlS16_E_NS1_11comp_targetILNS1_3genE9ELNS1_11target_archE1100ELNS1_3gpuE3ELNS1_3repE0EEENS1_30default_config_static_selectorELNS0_4arch9wavefront6targetE0EEEvT1_
	.p2align	8
	.type	_ZN7rocprim17ROCPRIM_400000_NS6detail17trampoline_kernelINS0_14default_configENS1_25partition_config_selectorILNS1_17partition_subalgoE6EtNS0_10empty_typeEbEEZZNS1_14partition_implILS5_6ELb0ES3_mN6thrust23THRUST_200600_302600_NS6detail15normal_iteratorINSA_10device_ptrItEEEEPS6_SG_NS0_5tupleIJNSA_16discard_iteratorINSA_11use_defaultEEES6_EEENSH_IJSG_SG_EEES6_PlJNSB_9not_fun_tI7is_trueItEEEEEE10hipError_tPvRmT3_T4_T5_T6_T7_T9_mT8_P12ihipStream_tbDpT10_ENKUlT_T0_E_clISt17integral_constantIbLb0EES1A_IbLb1EEEEDaS16_S17_EUlS16_E_NS1_11comp_targetILNS1_3genE9ELNS1_11target_archE1100ELNS1_3gpuE3ELNS1_3repE0EEENS1_30default_config_static_selectorELNS0_4arch9wavefront6targetE0EEEvT1_,@function
_ZN7rocprim17ROCPRIM_400000_NS6detail17trampoline_kernelINS0_14default_configENS1_25partition_config_selectorILNS1_17partition_subalgoE6EtNS0_10empty_typeEbEEZZNS1_14partition_implILS5_6ELb0ES3_mN6thrust23THRUST_200600_302600_NS6detail15normal_iteratorINSA_10device_ptrItEEEEPS6_SG_NS0_5tupleIJNSA_16discard_iteratorINSA_11use_defaultEEES6_EEENSH_IJSG_SG_EEES6_PlJNSB_9not_fun_tI7is_trueItEEEEEE10hipError_tPvRmT3_T4_T5_T6_T7_T9_mT8_P12ihipStream_tbDpT10_ENKUlT_T0_E_clISt17integral_constantIbLb0EES1A_IbLb1EEEEDaS16_S17_EUlS16_E_NS1_11comp_targetILNS1_3genE9ELNS1_11target_archE1100ELNS1_3gpuE3ELNS1_3repE0EEENS1_30default_config_static_selectorELNS0_4arch9wavefront6targetE0EEEvT1_: ; @_ZN7rocprim17ROCPRIM_400000_NS6detail17trampoline_kernelINS0_14default_configENS1_25partition_config_selectorILNS1_17partition_subalgoE6EtNS0_10empty_typeEbEEZZNS1_14partition_implILS5_6ELb0ES3_mN6thrust23THRUST_200600_302600_NS6detail15normal_iteratorINSA_10device_ptrItEEEEPS6_SG_NS0_5tupleIJNSA_16discard_iteratorINSA_11use_defaultEEES6_EEENSH_IJSG_SG_EEES6_PlJNSB_9not_fun_tI7is_trueItEEEEEE10hipError_tPvRmT3_T4_T5_T6_T7_T9_mT8_P12ihipStream_tbDpT10_ENKUlT_T0_E_clISt17integral_constantIbLb0EES1A_IbLb1EEEEDaS16_S17_EUlS16_E_NS1_11comp_targetILNS1_3genE9ELNS1_11target_archE1100ELNS1_3gpuE3ELNS1_3repE0EEENS1_30default_config_static_selectorELNS0_4arch9wavefront6targetE0EEEvT1_
; %bb.0:
	.section	.rodata,"a",@progbits
	.p2align	6, 0x0
	.amdhsa_kernel _ZN7rocprim17ROCPRIM_400000_NS6detail17trampoline_kernelINS0_14default_configENS1_25partition_config_selectorILNS1_17partition_subalgoE6EtNS0_10empty_typeEbEEZZNS1_14partition_implILS5_6ELb0ES3_mN6thrust23THRUST_200600_302600_NS6detail15normal_iteratorINSA_10device_ptrItEEEEPS6_SG_NS0_5tupleIJNSA_16discard_iteratorINSA_11use_defaultEEES6_EEENSH_IJSG_SG_EEES6_PlJNSB_9not_fun_tI7is_trueItEEEEEE10hipError_tPvRmT3_T4_T5_T6_T7_T9_mT8_P12ihipStream_tbDpT10_ENKUlT_T0_E_clISt17integral_constantIbLb0EES1A_IbLb1EEEEDaS16_S17_EUlS16_E_NS1_11comp_targetILNS1_3genE9ELNS1_11target_archE1100ELNS1_3gpuE3ELNS1_3repE0EEENS1_30default_config_static_selectorELNS0_4arch9wavefront6targetE0EEEvT1_
		.amdhsa_group_segment_fixed_size 0
		.amdhsa_private_segment_fixed_size 0
		.amdhsa_kernarg_size 136
		.amdhsa_user_sgpr_count 2
		.amdhsa_user_sgpr_dispatch_ptr 0
		.amdhsa_user_sgpr_queue_ptr 0
		.amdhsa_user_sgpr_kernarg_segment_ptr 1
		.amdhsa_user_sgpr_dispatch_id 0
		.amdhsa_user_sgpr_private_segment_size 0
		.amdhsa_wavefront_size32 1
		.amdhsa_uses_dynamic_stack 0
		.amdhsa_enable_private_segment 0
		.amdhsa_system_sgpr_workgroup_id_x 1
		.amdhsa_system_sgpr_workgroup_id_y 0
		.amdhsa_system_sgpr_workgroup_id_z 0
		.amdhsa_system_sgpr_workgroup_info 0
		.amdhsa_system_vgpr_workitem_id 0
		.amdhsa_next_free_vgpr 1
		.amdhsa_next_free_sgpr 1
		.amdhsa_reserve_vcc 0
		.amdhsa_float_round_mode_32 0
		.amdhsa_float_round_mode_16_64 0
		.amdhsa_float_denorm_mode_32 3
		.amdhsa_float_denorm_mode_16_64 3
		.amdhsa_fp16_overflow 0
		.amdhsa_workgroup_processor_mode 1
		.amdhsa_memory_ordered 1
		.amdhsa_forward_progress 1
		.amdhsa_inst_pref_size 0
		.amdhsa_round_robin_scheduling 0
		.amdhsa_exception_fp_ieee_invalid_op 0
		.amdhsa_exception_fp_denorm_src 0
		.amdhsa_exception_fp_ieee_div_zero 0
		.amdhsa_exception_fp_ieee_overflow 0
		.amdhsa_exception_fp_ieee_underflow 0
		.amdhsa_exception_fp_ieee_inexact 0
		.amdhsa_exception_int_div_zero 0
	.end_amdhsa_kernel
	.section	.text._ZN7rocprim17ROCPRIM_400000_NS6detail17trampoline_kernelINS0_14default_configENS1_25partition_config_selectorILNS1_17partition_subalgoE6EtNS0_10empty_typeEbEEZZNS1_14partition_implILS5_6ELb0ES3_mN6thrust23THRUST_200600_302600_NS6detail15normal_iteratorINSA_10device_ptrItEEEEPS6_SG_NS0_5tupleIJNSA_16discard_iteratorINSA_11use_defaultEEES6_EEENSH_IJSG_SG_EEES6_PlJNSB_9not_fun_tI7is_trueItEEEEEE10hipError_tPvRmT3_T4_T5_T6_T7_T9_mT8_P12ihipStream_tbDpT10_ENKUlT_T0_E_clISt17integral_constantIbLb0EES1A_IbLb1EEEEDaS16_S17_EUlS16_E_NS1_11comp_targetILNS1_3genE9ELNS1_11target_archE1100ELNS1_3gpuE3ELNS1_3repE0EEENS1_30default_config_static_selectorELNS0_4arch9wavefront6targetE0EEEvT1_,"axG",@progbits,_ZN7rocprim17ROCPRIM_400000_NS6detail17trampoline_kernelINS0_14default_configENS1_25partition_config_selectorILNS1_17partition_subalgoE6EtNS0_10empty_typeEbEEZZNS1_14partition_implILS5_6ELb0ES3_mN6thrust23THRUST_200600_302600_NS6detail15normal_iteratorINSA_10device_ptrItEEEEPS6_SG_NS0_5tupleIJNSA_16discard_iteratorINSA_11use_defaultEEES6_EEENSH_IJSG_SG_EEES6_PlJNSB_9not_fun_tI7is_trueItEEEEEE10hipError_tPvRmT3_T4_T5_T6_T7_T9_mT8_P12ihipStream_tbDpT10_ENKUlT_T0_E_clISt17integral_constantIbLb0EES1A_IbLb1EEEEDaS16_S17_EUlS16_E_NS1_11comp_targetILNS1_3genE9ELNS1_11target_archE1100ELNS1_3gpuE3ELNS1_3repE0EEENS1_30default_config_static_selectorELNS0_4arch9wavefront6targetE0EEEvT1_,comdat
.Lfunc_end2235:
	.size	_ZN7rocprim17ROCPRIM_400000_NS6detail17trampoline_kernelINS0_14default_configENS1_25partition_config_selectorILNS1_17partition_subalgoE6EtNS0_10empty_typeEbEEZZNS1_14partition_implILS5_6ELb0ES3_mN6thrust23THRUST_200600_302600_NS6detail15normal_iteratorINSA_10device_ptrItEEEEPS6_SG_NS0_5tupleIJNSA_16discard_iteratorINSA_11use_defaultEEES6_EEENSH_IJSG_SG_EEES6_PlJNSB_9not_fun_tI7is_trueItEEEEEE10hipError_tPvRmT3_T4_T5_T6_T7_T9_mT8_P12ihipStream_tbDpT10_ENKUlT_T0_E_clISt17integral_constantIbLb0EES1A_IbLb1EEEEDaS16_S17_EUlS16_E_NS1_11comp_targetILNS1_3genE9ELNS1_11target_archE1100ELNS1_3gpuE3ELNS1_3repE0EEENS1_30default_config_static_selectorELNS0_4arch9wavefront6targetE0EEEvT1_, .Lfunc_end2235-_ZN7rocprim17ROCPRIM_400000_NS6detail17trampoline_kernelINS0_14default_configENS1_25partition_config_selectorILNS1_17partition_subalgoE6EtNS0_10empty_typeEbEEZZNS1_14partition_implILS5_6ELb0ES3_mN6thrust23THRUST_200600_302600_NS6detail15normal_iteratorINSA_10device_ptrItEEEEPS6_SG_NS0_5tupleIJNSA_16discard_iteratorINSA_11use_defaultEEES6_EEENSH_IJSG_SG_EEES6_PlJNSB_9not_fun_tI7is_trueItEEEEEE10hipError_tPvRmT3_T4_T5_T6_T7_T9_mT8_P12ihipStream_tbDpT10_ENKUlT_T0_E_clISt17integral_constantIbLb0EES1A_IbLb1EEEEDaS16_S17_EUlS16_E_NS1_11comp_targetILNS1_3genE9ELNS1_11target_archE1100ELNS1_3gpuE3ELNS1_3repE0EEENS1_30default_config_static_selectorELNS0_4arch9wavefront6targetE0EEEvT1_
                                        ; -- End function
	.set _ZN7rocprim17ROCPRIM_400000_NS6detail17trampoline_kernelINS0_14default_configENS1_25partition_config_selectorILNS1_17partition_subalgoE6EtNS0_10empty_typeEbEEZZNS1_14partition_implILS5_6ELb0ES3_mN6thrust23THRUST_200600_302600_NS6detail15normal_iteratorINSA_10device_ptrItEEEEPS6_SG_NS0_5tupleIJNSA_16discard_iteratorINSA_11use_defaultEEES6_EEENSH_IJSG_SG_EEES6_PlJNSB_9not_fun_tI7is_trueItEEEEEE10hipError_tPvRmT3_T4_T5_T6_T7_T9_mT8_P12ihipStream_tbDpT10_ENKUlT_T0_E_clISt17integral_constantIbLb0EES1A_IbLb1EEEEDaS16_S17_EUlS16_E_NS1_11comp_targetILNS1_3genE9ELNS1_11target_archE1100ELNS1_3gpuE3ELNS1_3repE0EEENS1_30default_config_static_selectorELNS0_4arch9wavefront6targetE0EEEvT1_.num_vgpr, 0
	.set _ZN7rocprim17ROCPRIM_400000_NS6detail17trampoline_kernelINS0_14default_configENS1_25partition_config_selectorILNS1_17partition_subalgoE6EtNS0_10empty_typeEbEEZZNS1_14partition_implILS5_6ELb0ES3_mN6thrust23THRUST_200600_302600_NS6detail15normal_iteratorINSA_10device_ptrItEEEEPS6_SG_NS0_5tupleIJNSA_16discard_iteratorINSA_11use_defaultEEES6_EEENSH_IJSG_SG_EEES6_PlJNSB_9not_fun_tI7is_trueItEEEEEE10hipError_tPvRmT3_T4_T5_T6_T7_T9_mT8_P12ihipStream_tbDpT10_ENKUlT_T0_E_clISt17integral_constantIbLb0EES1A_IbLb1EEEEDaS16_S17_EUlS16_E_NS1_11comp_targetILNS1_3genE9ELNS1_11target_archE1100ELNS1_3gpuE3ELNS1_3repE0EEENS1_30default_config_static_selectorELNS0_4arch9wavefront6targetE0EEEvT1_.num_agpr, 0
	.set _ZN7rocprim17ROCPRIM_400000_NS6detail17trampoline_kernelINS0_14default_configENS1_25partition_config_selectorILNS1_17partition_subalgoE6EtNS0_10empty_typeEbEEZZNS1_14partition_implILS5_6ELb0ES3_mN6thrust23THRUST_200600_302600_NS6detail15normal_iteratorINSA_10device_ptrItEEEEPS6_SG_NS0_5tupleIJNSA_16discard_iteratorINSA_11use_defaultEEES6_EEENSH_IJSG_SG_EEES6_PlJNSB_9not_fun_tI7is_trueItEEEEEE10hipError_tPvRmT3_T4_T5_T6_T7_T9_mT8_P12ihipStream_tbDpT10_ENKUlT_T0_E_clISt17integral_constantIbLb0EES1A_IbLb1EEEEDaS16_S17_EUlS16_E_NS1_11comp_targetILNS1_3genE9ELNS1_11target_archE1100ELNS1_3gpuE3ELNS1_3repE0EEENS1_30default_config_static_selectorELNS0_4arch9wavefront6targetE0EEEvT1_.numbered_sgpr, 0
	.set _ZN7rocprim17ROCPRIM_400000_NS6detail17trampoline_kernelINS0_14default_configENS1_25partition_config_selectorILNS1_17partition_subalgoE6EtNS0_10empty_typeEbEEZZNS1_14partition_implILS5_6ELb0ES3_mN6thrust23THRUST_200600_302600_NS6detail15normal_iteratorINSA_10device_ptrItEEEEPS6_SG_NS0_5tupleIJNSA_16discard_iteratorINSA_11use_defaultEEES6_EEENSH_IJSG_SG_EEES6_PlJNSB_9not_fun_tI7is_trueItEEEEEE10hipError_tPvRmT3_T4_T5_T6_T7_T9_mT8_P12ihipStream_tbDpT10_ENKUlT_T0_E_clISt17integral_constantIbLb0EES1A_IbLb1EEEEDaS16_S17_EUlS16_E_NS1_11comp_targetILNS1_3genE9ELNS1_11target_archE1100ELNS1_3gpuE3ELNS1_3repE0EEENS1_30default_config_static_selectorELNS0_4arch9wavefront6targetE0EEEvT1_.num_named_barrier, 0
	.set _ZN7rocprim17ROCPRIM_400000_NS6detail17trampoline_kernelINS0_14default_configENS1_25partition_config_selectorILNS1_17partition_subalgoE6EtNS0_10empty_typeEbEEZZNS1_14partition_implILS5_6ELb0ES3_mN6thrust23THRUST_200600_302600_NS6detail15normal_iteratorINSA_10device_ptrItEEEEPS6_SG_NS0_5tupleIJNSA_16discard_iteratorINSA_11use_defaultEEES6_EEENSH_IJSG_SG_EEES6_PlJNSB_9not_fun_tI7is_trueItEEEEEE10hipError_tPvRmT3_T4_T5_T6_T7_T9_mT8_P12ihipStream_tbDpT10_ENKUlT_T0_E_clISt17integral_constantIbLb0EES1A_IbLb1EEEEDaS16_S17_EUlS16_E_NS1_11comp_targetILNS1_3genE9ELNS1_11target_archE1100ELNS1_3gpuE3ELNS1_3repE0EEENS1_30default_config_static_selectorELNS0_4arch9wavefront6targetE0EEEvT1_.private_seg_size, 0
	.set _ZN7rocprim17ROCPRIM_400000_NS6detail17trampoline_kernelINS0_14default_configENS1_25partition_config_selectorILNS1_17partition_subalgoE6EtNS0_10empty_typeEbEEZZNS1_14partition_implILS5_6ELb0ES3_mN6thrust23THRUST_200600_302600_NS6detail15normal_iteratorINSA_10device_ptrItEEEEPS6_SG_NS0_5tupleIJNSA_16discard_iteratorINSA_11use_defaultEEES6_EEENSH_IJSG_SG_EEES6_PlJNSB_9not_fun_tI7is_trueItEEEEEE10hipError_tPvRmT3_T4_T5_T6_T7_T9_mT8_P12ihipStream_tbDpT10_ENKUlT_T0_E_clISt17integral_constantIbLb0EES1A_IbLb1EEEEDaS16_S17_EUlS16_E_NS1_11comp_targetILNS1_3genE9ELNS1_11target_archE1100ELNS1_3gpuE3ELNS1_3repE0EEENS1_30default_config_static_selectorELNS0_4arch9wavefront6targetE0EEEvT1_.uses_vcc, 0
	.set _ZN7rocprim17ROCPRIM_400000_NS6detail17trampoline_kernelINS0_14default_configENS1_25partition_config_selectorILNS1_17partition_subalgoE6EtNS0_10empty_typeEbEEZZNS1_14partition_implILS5_6ELb0ES3_mN6thrust23THRUST_200600_302600_NS6detail15normal_iteratorINSA_10device_ptrItEEEEPS6_SG_NS0_5tupleIJNSA_16discard_iteratorINSA_11use_defaultEEES6_EEENSH_IJSG_SG_EEES6_PlJNSB_9not_fun_tI7is_trueItEEEEEE10hipError_tPvRmT3_T4_T5_T6_T7_T9_mT8_P12ihipStream_tbDpT10_ENKUlT_T0_E_clISt17integral_constantIbLb0EES1A_IbLb1EEEEDaS16_S17_EUlS16_E_NS1_11comp_targetILNS1_3genE9ELNS1_11target_archE1100ELNS1_3gpuE3ELNS1_3repE0EEENS1_30default_config_static_selectorELNS0_4arch9wavefront6targetE0EEEvT1_.uses_flat_scratch, 0
	.set _ZN7rocprim17ROCPRIM_400000_NS6detail17trampoline_kernelINS0_14default_configENS1_25partition_config_selectorILNS1_17partition_subalgoE6EtNS0_10empty_typeEbEEZZNS1_14partition_implILS5_6ELb0ES3_mN6thrust23THRUST_200600_302600_NS6detail15normal_iteratorINSA_10device_ptrItEEEEPS6_SG_NS0_5tupleIJNSA_16discard_iteratorINSA_11use_defaultEEES6_EEENSH_IJSG_SG_EEES6_PlJNSB_9not_fun_tI7is_trueItEEEEEE10hipError_tPvRmT3_T4_T5_T6_T7_T9_mT8_P12ihipStream_tbDpT10_ENKUlT_T0_E_clISt17integral_constantIbLb0EES1A_IbLb1EEEEDaS16_S17_EUlS16_E_NS1_11comp_targetILNS1_3genE9ELNS1_11target_archE1100ELNS1_3gpuE3ELNS1_3repE0EEENS1_30default_config_static_selectorELNS0_4arch9wavefront6targetE0EEEvT1_.has_dyn_sized_stack, 0
	.set _ZN7rocprim17ROCPRIM_400000_NS6detail17trampoline_kernelINS0_14default_configENS1_25partition_config_selectorILNS1_17partition_subalgoE6EtNS0_10empty_typeEbEEZZNS1_14partition_implILS5_6ELb0ES3_mN6thrust23THRUST_200600_302600_NS6detail15normal_iteratorINSA_10device_ptrItEEEEPS6_SG_NS0_5tupleIJNSA_16discard_iteratorINSA_11use_defaultEEES6_EEENSH_IJSG_SG_EEES6_PlJNSB_9not_fun_tI7is_trueItEEEEEE10hipError_tPvRmT3_T4_T5_T6_T7_T9_mT8_P12ihipStream_tbDpT10_ENKUlT_T0_E_clISt17integral_constantIbLb0EES1A_IbLb1EEEEDaS16_S17_EUlS16_E_NS1_11comp_targetILNS1_3genE9ELNS1_11target_archE1100ELNS1_3gpuE3ELNS1_3repE0EEENS1_30default_config_static_selectorELNS0_4arch9wavefront6targetE0EEEvT1_.has_recursion, 0
	.set _ZN7rocprim17ROCPRIM_400000_NS6detail17trampoline_kernelINS0_14default_configENS1_25partition_config_selectorILNS1_17partition_subalgoE6EtNS0_10empty_typeEbEEZZNS1_14partition_implILS5_6ELb0ES3_mN6thrust23THRUST_200600_302600_NS6detail15normal_iteratorINSA_10device_ptrItEEEEPS6_SG_NS0_5tupleIJNSA_16discard_iteratorINSA_11use_defaultEEES6_EEENSH_IJSG_SG_EEES6_PlJNSB_9not_fun_tI7is_trueItEEEEEE10hipError_tPvRmT3_T4_T5_T6_T7_T9_mT8_P12ihipStream_tbDpT10_ENKUlT_T0_E_clISt17integral_constantIbLb0EES1A_IbLb1EEEEDaS16_S17_EUlS16_E_NS1_11comp_targetILNS1_3genE9ELNS1_11target_archE1100ELNS1_3gpuE3ELNS1_3repE0EEENS1_30default_config_static_selectorELNS0_4arch9wavefront6targetE0EEEvT1_.has_indirect_call, 0
	.section	.AMDGPU.csdata,"",@progbits
; Kernel info:
; codeLenInByte = 0
; TotalNumSgprs: 0
; NumVgprs: 0
; ScratchSize: 0
; MemoryBound: 0
; FloatMode: 240
; IeeeMode: 1
; LDSByteSize: 0 bytes/workgroup (compile time only)
; SGPRBlocks: 0
; VGPRBlocks: 0
; NumSGPRsForWavesPerEU: 1
; NumVGPRsForWavesPerEU: 1
; Occupancy: 16
; WaveLimiterHint : 0
; COMPUTE_PGM_RSRC2:SCRATCH_EN: 0
; COMPUTE_PGM_RSRC2:USER_SGPR: 2
; COMPUTE_PGM_RSRC2:TRAP_HANDLER: 0
; COMPUTE_PGM_RSRC2:TGID_X_EN: 1
; COMPUTE_PGM_RSRC2:TGID_Y_EN: 0
; COMPUTE_PGM_RSRC2:TGID_Z_EN: 0
; COMPUTE_PGM_RSRC2:TIDIG_COMP_CNT: 0
	.section	.text._ZN7rocprim17ROCPRIM_400000_NS6detail17trampoline_kernelINS0_14default_configENS1_25partition_config_selectorILNS1_17partition_subalgoE6EtNS0_10empty_typeEbEEZZNS1_14partition_implILS5_6ELb0ES3_mN6thrust23THRUST_200600_302600_NS6detail15normal_iteratorINSA_10device_ptrItEEEEPS6_SG_NS0_5tupleIJNSA_16discard_iteratorINSA_11use_defaultEEES6_EEENSH_IJSG_SG_EEES6_PlJNSB_9not_fun_tI7is_trueItEEEEEE10hipError_tPvRmT3_T4_T5_T6_T7_T9_mT8_P12ihipStream_tbDpT10_ENKUlT_T0_E_clISt17integral_constantIbLb0EES1A_IbLb1EEEEDaS16_S17_EUlS16_E_NS1_11comp_targetILNS1_3genE8ELNS1_11target_archE1030ELNS1_3gpuE2ELNS1_3repE0EEENS1_30default_config_static_selectorELNS0_4arch9wavefront6targetE0EEEvT1_,"axG",@progbits,_ZN7rocprim17ROCPRIM_400000_NS6detail17trampoline_kernelINS0_14default_configENS1_25partition_config_selectorILNS1_17partition_subalgoE6EtNS0_10empty_typeEbEEZZNS1_14partition_implILS5_6ELb0ES3_mN6thrust23THRUST_200600_302600_NS6detail15normal_iteratorINSA_10device_ptrItEEEEPS6_SG_NS0_5tupleIJNSA_16discard_iteratorINSA_11use_defaultEEES6_EEENSH_IJSG_SG_EEES6_PlJNSB_9not_fun_tI7is_trueItEEEEEE10hipError_tPvRmT3_T4_T5_T6_T7_T9_mT8_P12ihipStream_tbDpT10_ENKUlT_T0_E_clISt17integral_constantIbLb0EES1A_IbLb1EEEEDaS16_S17_EUlS16_E_NS1_11comp_targetILNS1_3genE8ELNS1_11target_archE1030ELNS1_3gpuE2ELNS1_3repE0EEENS1_30default_config_static_selectorELNS0_4arch9wavefront6targetE0EEEvT1_,comdat
	.protected	_ZN7rocprim17ROCPRIM_400000_NS6detail17trampoline_kernelINS0_14default_configENS1_25partition_config_selectorILNS1_17partition_subalgoE6EtNS0_10empty_typeEbEEZZNS1_14partition_implILS5_6ELb0ES3_mN6thrust23THRUST_200600_302600_NS6detail15normal_iteratorINSA_10device_ptrItEEEEPS6_SG_NS0_5tupleIJNSA_16discard_iteratorINSA_11use_defaultEEES6_EEENSH_IJSG_SG_EEES6_PlJNSB_9not_fun_tI7is_trueItEEEEEE10hipError_tPvRmT3_T4_T5_T6_T7_T9_mT8_P12ihipStream_tbDpT10_ENKUlT_T0_E_clISt17integral_constantIbLb0EES1A_IbLb1EEEEDaS16_S17_EUlS16_E_NS1_11comp_targetILNS1_3genE8ELNS1_11target_archE1030ELNS1_3gpuE2ELNS1_3repE0EEENS1_30default_config_static_selectorELNS0_4arch9wavefront6targetE0EEEvT1_ ; -- Begin function _ZN7rocprim17ROCPRIM_400000_NS6detail17trampoline_kernelINS0_14default_configENS1_25partition_config_selectorILNS1_17partition_subalgoE6EtNS0_10empty_typeEbEEZZNS1_14partition_implILS5_6ELb0ES3_mN6thrust23THRUST_200600_302600_NS6detail15normal_iteratorINSA_10device_ptrItEEEEPS6_SG_NS0_5tupleIJNSA_16discard_iteratorINSA_11use_defaultEEES6_EEENSH_IJSG_SG_EEES6_PlJNSB_9not_fun_tI7is_trueItEEEEEE10hipError_tPvRmT3_T4_T5_T6_T7_T9_mT8_P12ihipStream_tbDpT10_ENKUlT_T0_E_clISt17integral_constantIbLb0EES1A_IbLb1EEEEDaS16_S17_EUlS16_E_NS1_11comp_targetILNS1_3genE8ELNS1_11target_archE1030ELNS1_3gpuE2ELNS1_3repE0EEENS1_30default_config_static_selectorELNS0_4arch9wavefront6targetE0EEEvT1_
	.globl	_ZN7rocprim17ROCPRIM_400000_NS6detail17trampoline_kernelINS0_14default_configENS1_25partition_config_selectorILNS1_17partition_subalgoE6EtNS0_10empty_typeEbEEZZNS1_14partition_implILS5_6ELb0ES3_mN6thrust23THRUST_200600_302600_NS6detail15normal_iteratorINSA_10device_ptrItEEEEPS6_SG_NS0_5tupleIJNSA_16discard_iteratorINSA_11use_defaultEEES6_EEENSH_IJSG_SG_EEES6_PlJNSB_9not_fun_tI7is_trueItEEEEEE10hipError_tPvRmT3_T4_T5_T6_T7_T9_mT8_P12ihipStream_tbDpT10_ENKUlT_T0_E_clISt17integral_constantIbLb0EES1A_IbLb1EEEEDaS16_S17_EUlS16_E_NS1_11comp_targetILNS1_3genE8ELNS1_11target_archE1030ELNS1_3gpuE2ELNS1_3repE0EEENS1_30default_config_static_selectorELNS0_4arch9wavefront6targetE0EEEvT1_
	.p2align	8
	.type	_ZN7rocprim17ROCPRIM_400000_NS6detail17trampoline_kernelINS0_14default_configENS1_25partition_config_selectorILNS1_17partition_subalgoE6EtNS0_10empty_typeEbEEZZNS1_14partition_implILS5_6ELb0ES3_mN6thrust23THRUST_200600_302600_NS6detail15normal_iteratorINSA_10device_ptrItEEEEPS6_SG_NS0_5tupleIJNSA_16discard_iteratorINSA_11use_defaultEEES6_EEENSH_IJSG_SG_EEES6_PlJNSB_9not_fun_tI7is_trueItEEEEEE10hipError_tPvRmT3_T4_T5_T6_T7_T9_mT8_P12ihipStream_tbDpT10_ENKUlT_T0_E_clISt17integral_constantIbLb0EES1A_IbLb1EEEEDaS16_S17_EUlS16_E_NS1_11comp_targetILNS1_3genE8ELNS1_11target_archE1030ELNS1_3gpuE2ELNS1_3repE0EEENS1_30default_config_static_selectorELNS0_4arch9wavefront6targetE0EEEvT1_,@function
_ZN7rocprim17ROCPRIM_400000_NS6detail17trampoline_kernelINS0_14default_configENS1_25partition_config_selectorILNS1_17partition_subalgoE6EtNS0_10empty_typeEbEEZZNS1_14partition_implILS5_6ELb0ES3_mN6thrust23THRUST_200600_302600_NS6detail15normal_iteratorINSA_10device_ptrItEEEEPS6_SG_NS0_5tupleIJNSA_16discard_iteratorINSA_11use_defaultEEES6_EEENSH_IJSG_SG_EEES6_PlJNSB_9not_fun_tI7is_trueItEEEEEE10hipError_tPvRmT3_T4_T5_T6_T7_T9_mT8_P12ihipStream_tbDpT10_ENKUlT_T0_E_clISt17integral_constantIbLb0EES1A_IbLb1EEEEDaS16_S17_EUlS16_E_NS1_11comp_targetILNS1_3genE8ELNS1_11target_archE1030ELNS1_3gpuE2ELNS1_3repE0EEENS1_30default_config_static_selectorELNS0_4arch9wavefront6targetE0EEEvT1_: ; @_ZN7rocprim17ROCPRIM_400000_NS6detail17trampoline_kernelINS0_14default_configENS1_25partition_config_selectorILNS1_17partition_subalgoE6EtNS0_10empty_typeEbEEZZNS1_14partition_implILS5_6ELb0ES3_mN6thrust23THRUST_200600_302600_NS6detail15normal_iteratorINSA_10device_ptrItEEEEPS6_SG_NS0_5tupleIJNSA_16discard_iteratorINSA_11use_defaultEEES6_EEENSH_IJSG_SG_EEES6_PlJNSB_9not_fun_tI7is_trueItEEEEEE10hipError_tPvRmT3_T4_T5_T6_T7_T9_mT8_P12ihipStream_tbDpT10_ENKUlT_T0_E_clISt17integral_constantIbLb0EES1A_IbLb1EEEEDaS16_S17_EUlS16_E_NS1_11comp_targetILNS1_3genE8ELNS1_11target_archE1030ELNS1_3gpuE2ELNS1_3repE0EEENS1_30default_config_static_selectorELNS0_4arch9wavefront6targetE0EEEvT1_
; %bb.0:
	.section	.rodata,"a",@progbits
	.p2align	6, 0x0
	.amdhsa_kernel _ZN7rocprim17ROCPRIM_400000_NS6detail17trampoline_kernelINS0_14default_configENS1_25partition_config_selectorILNS1_17partition_subalgoE6EtNS0_10empty_typeEbEEZZNS1_14partition_implILS5_6ELb0ES3_mN6thrust23THRUST_200600_302600_NS6detail15normal_iteratorINSA_10device_ptrItEEEEPS6_SG_NS0_5tupleIJNSA_16discard_iteratorINSA_11use_defaultEEES6_EEENSH_IJSG_SG_EEES6_PlJNSB_9not_fun_tI7is_trueItEEEEEE10hipError_tPvRmT3_T4_T5_T6_T7_T9_mT8_P12ihipStream_tbDpT10_ENKUlT_T0_E_clISt17integral_constantIbLb0EES1A_IbLb1EEEEDaS16_S17_EUlS16_E_NS1_11comp_targetILNS1_3genE8ELNS1_11target_archE1030ELNS1_3gpuE2ELNS1_3repE0EEENS1_30default_config_static_selectorELNS0_4arch9wavefront6targetE0EEEvT1_
		.amdhsa_group_segment_fixed_size 0
		.amdhsa_private_segment_fixed_size 0
		.amdhsa_kernarg_size 136
		.amdhsa_user_sgpr_count 2
		.amdhsa_user_sgpr_dispatch_ptr 0
		.amdhsa_user_sgpr_queue_ptr 0
		.amdhsa_user_sgpr_kernarg_segment_ptr 1
		.amdhsa_user_sgpr_dispatch_id 0
		.amdhsa_user_sgpr_private_segment_size 0
		.amdhsa_wavefront_size32 1
		.amdhsa_uses_dynamic_stack 0
		.amdhsa_enable_private_segment 0
		.amdhsa_system_sgpr_workgroup_id_x 1
		.amdhsa_system_sgpr_workgroup_id_y 0
		.amdhsa_system_sgpr_workgroup_id_z 0
		.amdhsa_system_sgpr_workgroup_info 0
		.amdhsa_system_vgpr_workitem_id 0
		.amdhsa_next_free_vgpr 1
		.amdhsa_next_free_sgpr 1
		.amdhsa_reserve_vcc 0
		.amdhsa_float_round_mode_32 0
		.amdhsa_float_round_mode_16_64 0
		.amdhsa_float_denorm_mode_32 3
		.amdhsa_float_denorm_mode_16_64 3
		.amdhsa_fp16_overflow 0
		.amdhsa_workgroup_processor_mode 1
		.amdhsa_memory_ordered 1
		.amdhsa_forward_progress 1
		.amdhsa_inst_pref_size 0
		.amdhsa_round_robin_scheduling 0
		.amdhsa_exception_fp_ieee_invalid_op 0
		.amdhsa_exception_fp_denorm_src 0
		.amdhsa_exception_fp_ieee_div_zero 0
		.amdhsa_exception_fp_ieee_overflow 0
		.amdhsa_exception_fp_ieee_underflow 0
		.amdhsa_exception_fp_ieee_inexact 0
		.amdhsa_exception_int_div_zero 0
	.end_amdhsa_kernel
	.section	.text._ZN7rocprim17ROCPRIM_400000_NS6detail17trampoline_kernelINS0_14default_configENS1_25partition_config_selectorILNS1_17partition_subalgoE6EtNS0_10empty_typeEbEEZZNS1_14partition_implILS5_6ELb0ES3_mN6thrust23THRUST_200600_302600_NS6detail15normal_iteratorINSA_10device_ptrItEEEEPS6_SG_NS0_5tupleIJNSA_16discard_iteratorINSA_11use_defaultEEES6_EEENSH_IJSG_SG_EEES6_PlJNSB_9not_fun_tI7is_trueItEEEEEE10hipError_tPvRmT3_T4_T5_T6_T7_T9_mT8_P12ihipStream_tbDpT10_ENKUlT_T0_E_clISt17integral_constantIbLb0EES1A_IbLb1EEEEDaS16_S17_EUlS16_E_NS1_11comp_targetILNS1_3genE8ELNS1_11target_archE1030ELNS1_3gpuE2ELNS1_3repE0EEENS1_30default_config_static_selectorELNS0_4arch9wavefront6targetE0EEEvT1_,"axG",@progbits,_ZN7rocprim17ROCPRIM_400000_NS6detail17trampoline_kernelINS0_14default_configENS1_25partition_config_selectorILNS1_17partition_subalgoE6EtNS0_10empty_typeEbEEZZNS1_14partition_implILS5_6ELb0ES3_mN6thrust23THRUST_200600_302600_NS6detail15normal_iteratorINSA_10device_ptrItEEEEPS6_SG_NS0_5tupleIJNSA_16discard_iteratorINSA_11use_defaultEEES6_EEENSH_IJSG_SG_EEES6_PlJNSB_9not_fun_tI7is_trueItEEEEEE10hipError_tPvRmT3_T4_T5_T6_T7_T9_mT8_P12ihipStream_tbDpT10_ENKUlT_T0_E_clISt17integral_constantIbLb0EES1A_IbLb1EEEEDaS16_S17_EUlS16_E_NS1_11comp_targetILNS1_3genE8ELNS1_11target_archE1030ELNS1_3gpuE2ELNS1_3repE0EEENS1_30default_config_static_selectorELNS0_4arch9wavefront6targetE0EEEvT1_,comdat
.Lfunc_end2236:
	.size	_ZN7rocprim17ROCPRIM_400000_NS6detail17trampoline_kernelINS0_14default_configENS1_25partition_config_selectorILNS1_17partition_subalgoE6EtNS0_10empty_typeEbEEZZNS1_14partition_implILS5_6ELb0ES3_mN6thrust23THRUST_200600_302600_NS6detail15normal_iteratorINSA_10device_ptrItEEEEPS6_SG_NS0_5tupleIJNSA_16discard_iteratorINSA_11use_defaultEEES6_EEENSH_IJSG_SG_EEES6_PlJNSB_9not_fun_tI7is_trueItEEEEEE10hipError_tPvRmT3_T4_T5_T6_T7_T9_mT8_P12ihipStream_tbDpT10_ENKUlT_T0_E_clISt17integral_constantIbLb0EES1A_IbLb1EEEEDaS16_S17_EUlS16_E_NS1_11comp_targetILNS1_3genE8ELNS1_11target_archE1030ELNS1_3gpuE2ELNS1_3repE0EEENS1_30default_config_static_selectorELNS0_4arch9wavefront6targetE0EEEvT1_, .Lfunc_end2236-_ZN7rocprim17ROCPRIM_400000_NS6detail17trampoline_kernelINS0_14default_configENS1_25partition_config_selectorILNS1_17partition_subalgoE6EtNS0_10empty_typeEbEEZZNS1_14partition_implILS5_6ELb0ES3_mN6thrust23THRUST_200600_302600_NS6detail15normal_iteratorINSA_10device_ptrItEEEEPS6_SG_NS0_5tupleIJNSA_16discard_iteratorINSA_11use_defaultEEES6_EEENSH_IJSG_SG_EEES6_PlJNSB_9not_fun_tI7is_trueItEEEEEE10hipError_tPvRmT3_T4_T5_T6_T7_T9_mT8_P12ihipStream_tbDpT10_ENKUlT_T0_E_clISt17integral_constantIbLb0EES1A_IbLb1EEEEDaS16_S17_EUlS16_E_NS1_11comp_targetILNS1_3genE8ELNS1_11target_archE1030ELNS1_3gpuE2ELNS1_3repE0EEENS1_30default_config_static_selectorELNS0_4arch9wavefront6targetE0EEEvT1_
                                        ; -- End function
	.set _ZN7rocprim17ROCPRIM_400000_NS6detail17trampoline_kernelINS0_14default_configENS1_25partition_config_selectorILNS1_17partition_subalgoE6EtNS0_10empty_typeEbEEZZNS1_14partition_implILS5_6ELb0ES3_mN6thrust23THRUST_200600_302600_NS6detail15normal_iteratorINSA_10device_ptrItEEEEPS6_SG_NS0_5tupleIJNSA_16discard_iteratorINSA_11use_defaultEEES6_EEENSH_IJSG_SG_EEES6_PlJNSB_9not_fun_tI7is_trueItEEEEEE10hipError_tPvRmT3_T4_T5_T6_T7_T9_mT8_P12ihipStream_tbDpT10_ENKUlT_T0_E_clISt17integral_constantIbLb0EES1A_IbLb1EEEEDaS16_S17_EUlS16_E_NS1_11comp_targetILNS1_3genE8ELNS1_11target_archE1030ELNS1_3gpuE2ELNS1_3repE0EEENS1_30default_config_static_selectorELNS0_4arch9wavefront6targetE0EEEvT1_.num_vgpr, 0
	.set _ZN7rocprim17ROCPRIM_400000_NS6detail17trampoline_kernelINS0_14default_configENS1_25partition_config_selectorILNS1_17partition_subalgoE6EtNS0_10empty_typeEbEEZZNS1_14partition_implILS5_6ELb0ES3_mN6thrust23THRUST_200600_302600_NS6detail15normal_iteratorINSA_10device_ptrItEEEEPS6_SG_NS0_5tupleIJNSA_16discard_iteratorINSA_11use_defaultEEES6_EEENSH_IJSG_SG_EEES6_PlJNSB_9not_fun_tI7is_trueItEEEEEE10hipError_tPvRmT3_T4_T5_T6_T7_T9_mT8_P12ihipStream_tbDpT10_ENKUlT_T0_E_clISt17integral_constantIbLb0EES1A_IbLb1EEEEDaS16_S17_EUlS16_E_NS1_11comp_targetILNS1_3genE8ELNS1_11target_archE1030ELNS1_3gpuE2ELNS1_3repE0EEENS1_30default_config_static_selectorELNS0_4arch9wavefront6targetE0EEEvT1_.num_agpr, 0
	.set _ZN7rocprim17ROCPRIM_400000_NS6detail17trampoline_kernelINS0_14default_configENS1_25partition_config_selectorILNS1_17partition_subalgoE6EtNS0_10empty_typeEbEEZZNS1_14partition_implILS5_6ELb0ES3_mN6thrust23THRUST_200600_302600_NS6detail15normal_iteratorINSA_10device_ptrItEEEEPS6_SG_NS0_5tupleIJNSA_16discard_iteratorINSA_11use_defaultEEES6_EEENSH_IJSG_SG_EEES6_PlJNSB_9not_fun_tI7is_trueItEEEEEE10hipError_tPvRmT3_T4_T5_T6_T7_T9_mT8_P12ihipStream_tbDpT10_ENKUlT_T0_E_clISt17integral_constantIbLb0EES1A_IbLb1EEEEDaS16_S17_EUlS16_E_NS1_11comp_targetILNS1_3genE8ELNS1_11target_archE1030ELNS1_3gpuE2ELNS1_3repE0EEENS1_30default_config_static_selectorELNS0_4arch9wavefront6targetE0EEEvT1_.numbered_sgpr, 0
	.set _ZN7rocprim17ROCPRIM_400000_NS6detail17trampoline_kernelINS0_14default_configENS1_25partition_config_selectorILNS1_17partition_subalgoE6EtNS0_10empty_typeEbEEZZNS1_14partition_implILS5_6ELb0ES3_mN6thrust23THRUST_200600_302600_NS6detail15normal_iteratorINSA_10device_ptrItEEEEPS6_SG_NS0_5tupleIJNSA_16discard_iteratorINSA_11use_defaultEEES6_EEENSH_IJSG_SG_EEES6_PlJNSB_9not_fun_tI7is_trueItEEEEEE10hipError_tPvRmT3_T4_T5_T6_T7_T9_mT8_P12ihipStream_tbDpT10_ENKUlT_T0_E_clISt17integral_constantIbLb0EES1A_IbLb1EEEEDaS16_S17_EUlS16_E_NS1_11comp_targetILNS1_3genE8ELNS1_11target_archE1030ELNS1_3gpuE2ELNS1_3repE0EEENS1_30default_config_static_selectorELNS0_4arch9wavefront6targetE0EEEvT1_.num_named_barrier, 0
	.set _ZN7rocprim17ROCPRIM_400000_NS6detail17trampoline_kernelINS0_14default_configENS1_25partition_config_selectorILNS1_17partition_subalgoE6EtNS0_10empty_typeEbEEZZNS1_14partition_implILS5_6ELb0ES3_mN6thrust23THRUST_200600_302600_NS6detail15normal_iteratorINSA_10device_ptrItEEEEPS6_SG_NS0_5tupleIJNSA_16discard_iteratorINSA_11use_defaultEEES6_EEENSH_IJSG_SG_EEES6_PlJNSB_9not_fun_tI7is_trueItEEEEEE10hipError_tPvRmT3_T4_T5_T6_T7_T9_mT8_P12ihipStream_tbDpT10_ENKUlT_T0_E_clISt17integral_constantIbLb0EES1A_IbLb1EEEEDaS16_S17_EUlS16_E_NS1_11comp_targetILNS1_3genE8ELNS1_11target_archE1030ELNS1_3gpuE2ELNS1_3repE0EEENS1_30default_config_static_selectorELNS0_4arch9wavefront6targetE0EEEvT1_.private_seg_size, 0
	.set _ZN7rocprim17ROCPRIM_400000_NS6detail17trampoline_kernelINS0_14default_configENS1_25partition_config_selectorILNS1_17partition_subalgoE6EtNS0_10empty_typeEbEEZZNS1_14partition_implILS5_6ELb0ES3_mN6thrust23THRUST_200600_302600_NS6detail15normal_iteratorINSA_10device_ptrItEEEEPS6_SG_NS0_5tupleIJNSA_16discard_iteratorINSA_11use_defaultEEES6_EEENSH_IJSG_SG_EEES6_PlJNSB_9not_fun_tI7is_trueItEEEEEE10hipError_tPvRmT3_T4_T5_T6_T7_T9_mT8_P12ihipStream_tbDpT10_ENKUlT_T0_E_clISt17integral_constantIbLb0EES1A_IbLb1EEEEDaS16_S17_EUlS16_E_NS1_11comp_targetILNS1_3genE8ELNS1_11target_archE1030ELNS1_3gpuE2ELNS1_3repE0EEENS1_30default_config_static_selectorELNS0_4arch9wavefront6targetE0EEEvT1_.uses_vcc, 0
	.set _ZN7rocprim17ROCPRIM_400000_NS6detail17trampoline_kernelINS0_14default_configENS1_25partition_config_selectorILNS1_17partition_subalgoE6EtNS0_10empty_typeEbEEZZNS1_14partition_implILS5_6ELb0ES3_mN6thrust23THRUST_200600_302600_NS6detail15normal_iteratorINSA_10device_ptrItEEEEPS6_SG_NS0_5tupleIJNSA_16discard_iteratorINSA_11use_defaultEEES6_EEENSH_IJSG_SG_EEES6_PlJNSB_9not_fun_tI7is_trueItEEEEEE10hipError_tPvRmT3_T4_T5_T6_T7_T9_mT8_P12ihipStream_tbDpT10_ENKUlT_T0_E_clISt17integral_constantIbLb0EES1A_IbLb1EEEEDaS16_S17_EUlS16_E_NS1_11comp_targetILNS1_3genE8ELNS1_11target_archE1030ELNS1_3gpuE2ELNS1_3repE0EEENS1_30default_config_static_selectorELNS0_4arch9wavefront6targetE0EEEvT1_.uses_flat_scratch, 0
	.set _ZN7rocprim17ROCPRIM_400000_NS6detail17trampoline_kernelINS0_14default_configENS1_25partition_config_selectorILNS1_17partition_subalgoE6EtNS0_10empty_typeEbEEZZNS1_14partition_implILS5_6ELb0ES3_mN6thrust23THRUST_200600_302600_NS6detail15normal_iteratorINSA_10device_ptrItEEEEPS6_SG_NS0_5tupleIJNSA_16discard_iteratorINSA_11use_defaultEEES6_EEENSH_IJSG_SG_EEES6_PlJNSB_9not_fun_tI7is_trueItEEEEEE10hipError_tPvRmT3_T4_T5_T6_T7_T9_mT8_P12ihipStream_tbDpT10_ENKUlT_T0_E_clISt17integral_constantIbLb0EES1A_IbLb1EEEEDaS16_S17_EUlS16_E_NS1_11comp_targetILNS1_3genE8ELNS1_11target_archE1030ELNS1_3gpuE2ELNS1_3repE0EEENS1_30default_config_static_selectorELNS0_4arch9wavefront6targetE0EEEvT1_.has_dyn_sized_stack, 0
	.set _ZN7rocprim17ROCPRIM_400000_NS6detail17trampoline_kernelINS0_14default_configENS1_25partition_config_selectorILNS1_17partition_subalgoE6EtNS0_10empty_typeEbEEZZNS1_14partition_implILS5_6ELb0ES3_mN6thrust23THRUST_200600_302600_NS6detail15normal_iteratorINSA_10device_ptrItEEEEPS6_SG_NS0_5tupleIJNSA_16discard_iteratorINSA_11use_defaultEEES6_EEENSH_IJSG_SG_EEES6_PlJNSB_9not_fun_tI7is_trueItEEEEEE10hipError_tPvRmT3_T4_T5_T6_T7_T9_mT8_P12ihipStream_tbDpT10_ENKUlT_T0_E_clISt17integral_constantIbLb0EES1A_IbLb1EEEEDaS16_S17_EUlS16_E_NS1_11comp_targetILNS1_3genE8ELNS1_11target_archE1030ELNS1_3gpuE2ELNS1_3repE0EEENS1_30default_config_static_selectorELNS0_4arch9wavefront6targetE0EEEvT1_.has_recursion, 0
	.set _ZN7rocprim17ROCPRIM_400000_NS6detail17trampoline_kernelINS0_14default_configENS1_25partition_config_selectorILNS1_17partition_subalgoE6EtNS0_10empty_typeEbEEZZNS1_14partition_implILS5_6ELb0ES3_mN6thrust23THRUST_200600_302600_NS6detail15normal_iteratorINSA_10device_ptrItEEEEPS6_SG_NS0_5tupleIJNSA_16discard_iteratorINSA_11use_defaultEEES6_EEENSH_IJSG_SG_EEES6_PlJNSB_9not_fun_tI7is_trueItEEEEEE10hipError_tPvRmT3_T4_T5_T6_T7_T9_mT8_P12ihipStream_tbDpT10_ENKUlT_T0_E_clISt17integral_constantIbLb0EES1A_IbLb1EEEEDaS16_S17_EUlS16_E_NS1_11comp_targetILNS1_3genE8ELNS1_11target_archE1030ELNS1_3gpuE2ELNS1_3repE0EEENS1_30default_config_static_selectorELNS0_4arch9wavefront6targetE0EEEvT1_.has_indirect_call, 0
	.section	.AMDGPU.csdata,"",@progbits
; Kernel info:
; codeLenInByte = 0
; TotalNumSgprs: 0
; NumVgprs: 0
; ScratchSize: 0
; MemoryBound: 0
; FloatMode: 240
; IeeeMode: 1
; LDSByteSize: 0 bytes/workgroup (compile time only)
; SGPRBlocks: 0
; VGPRBlocks: 0
; NumSGPRsForWavesPerEU: 1
; NumVGPRsForWavesPerEU: 1
; Occupancy: 16
; WaveLimiterHint : 0
; COMPUTE_PGM_RSRC2:SCRATCH_EN: 0
; COMPUTE_PGM_RSRC2:USER_SGPR: 2
; COMPUTE_PGM_RSRC2:TRAP_HANDLER: 0
; COMPUTE_PGM_RSRC2:TGID_X_EN: 1
; COMPUTE_PGM_RSRC2:TGID_Y_EN: 0
; COMPUTE_PGM_RSRC2:TGID_Z_EN: 0
; COMPUTE_PGM_RSRC2:TIDIG_COMP_CNT: 0
	.section	.text._ZN7rocprim17ROCPRIM_400000_NS6detail17trampoline_kernelINS0_14default_configENS1_25partition_config_selectorILNS1_17partition_subalgoE6ExNS0_10empty_typeEbEEZZNS1_14partition_implILS5_6ELb0ES3_mN6thrust23THRUST_200600_302600_NS6detail15normal_iteratorINSA_10device_ptrIxEEEEPS6_SG_NS0_5tupleIJNSA_16discard_iteratorINSA_11use_defaultEEES6_EEENSH_IJSG_SG_EEES6_PlJNSB_9not_fun_tI7is_trueIxEEEEEE10hipError_tPvRmT3_T4_T5_T6_T7_T9_mT8_P12ihipStream_tbDpT10_ENKUlT_T0_E_clISt17integral_constantIbLb0EES1B_EEDaS16_S17_EUlS16_E_NS1_11comp_targetILNS1_3genE0ELNS1_11target_archE4294967295ELNS1_3gpuE0ELNS1_3repE0EEENS1_30default_config_static_selectorELNS0_4arch9wavefront6targetE0EEEvT1_,"axG",@progbits,_ZN7rocprim17ROCPRIM_400000_NS6detail17trampoline_kernelINS0_14default_configENS1_25partition_config_selectorILNS1_17partition_subalgoE6ExNS0_10empty_typeEbEEZZNS1_14partition_implILS5_6ELb0ES3_mN6thrust23THRUST_200600_302600_NS6detail15normal_iteratorINSA_10device_ptrIxEEEEPS6_SG_NS0_5tupleIJNSA_16discard_iteratorINSA_11use_defaultEEES6_EEENSH_IJSG_SG_EEES6_PlJNSB_9not_fun_tI7is_trueIxEEEEEE10hipError_tPvRmT3_T4_T5_T6_T7_T9_mT8_P12ihipStream_tbDpT10_ENKUlT_T0_E_clISt17integral_constantIbLb0EES1B_EEDaS16_S17_EUlS16_E_NS1_11comp_targetILNS1_3genE0ELNS1_11target_archE4294967295ELNS1_3gpuE0ELNS1_3repE0EEENS1_30default_config_static_selectorELNS0_4arch9wavefront6targetE0EEEvT1_,comdat
	.protected	_ZN7rocprim17ROCPRIM_400000_NS6detail17trampoline_kernelINS0_14default_configENS1_25partition_config_selectorILNS1_17partition_subalgoE6ExNS0_10empty_typeEbEEZZNS1_14partition_implILS5_6ELb0ES3_mN6thrust23THRUST_200600_302600_NS6detail15normal_iteratorINSA_10device_ptrIxEEEEPS6_SG_NS0_5tupleIJNSA_16discard_iteratorINSA_11use_defaultEEES6_EEENSH_IJSG_SG_EEES6_PlJNSB_9not_fun_tI7is_trueIxEEEEEE10hipError_tPvRmT3_T4_T5_T6_T7_T9_mT8_P12ihipStream_tbDpT10_ENKUlT_T0_E_clISt17integral_constantIbLb0EES1B_EEDaS16_S17_EUlS16_E_NS1_11comp_targetILNS1_3genE0ELNS1_11target_archE4294967295ELNS1_3gpuE0ELNS1_3repE0EEENS1_30default_config_static_selectorELNS0_4arch9wavefront6targetE0EEEvT1_ ; -- Begin function _ZN7rocprim17ROCPRIM_400000_NS6detail17trampoline_kernelINS0_14default_configENS1_25partition_config_selectorILNS1_17partition_subalgoE6ExNS0_10empty_typeEbEEZZNS1_14partition_implILS5_6ELb0ES3_mN6thrust23THRUST_200600_302600_NS6detail15normal_iteratorINSA_10device_ptrIxEEEEPS6_SG_NS0_5tupleIJNSA_16discard_iteratorINSA_11use_defaultEEES6_EEENSH_IJSG_SG_EEES6_PlJNSB_9not_fun_tI7is_trueIxEEEEEE10hipError_tPvRmT3_T4_T5_T6_T7_T9_mT8_P12ihipStream_tbDpT10_ENKUlT_T0_E_clISt17integral_constantIbLb0EES1B_EEDaS16_S17_EUlS16_E_NS1_11comp_targetILNS1_3genE0ELNS1_11target_archE4294967295ELNS1_3gpuE0ELNS1_3repE0EEENS1_30default_config_static_selectorELNS0_4arch9wavefront6targetE0EEEvT1_
	.globl	_ZN7rocprim17ROCPRIM_400000_NS6detail17trampoline_kernelINS0_14default_configENS1_25partition_config_selectorILNS1_17partition_subalgoE6ExNS0_10empty_typeEbEEZZNS1_14partition_implILS5_6ELb0ES3_mN6thrust23THRUST_200600_302600_NS6detail15normal_iteratorINSA_10device_ptrIxEEEEPS6_SG_NS0_5tupleIJNSA_16discard_iteratorINSA_11use_defaultEEES6_EEENSH_IJSG_SG_EEES6_PlJNSB_9not_fun_tI7is_trueIxEEEEEE10hipError_tPvRmT3_T4_T5_T6_T7_T9_mT8_P12ihipStream_tbDpT10_ENKUlT_T0_E_clISt17integral_constantIbLb0EES1B_EEDaS16_S17_EUlS16_E_NS1_11comp_targetILNS1_3genE0ELNS1_11target_archE4294967295ELNS1_3gpuE0ELNS1_3repE0EEENS1_30default_config_static_selectorELNS0_4arch9wavefront6targetE0EEEvT1_
	.p2align	8
	.type	_ZN7rocprim17ROCPRIM_400000_NS6detail17trampoline_kernelINS0_14default_configENS1_25partition_config_selectorILNS1_17partition_subalgoE6ExNS0_10empty_typeEbEEZZNS1_14partition_implILS5_6ELb0ES3_mN6thrust23THRUST_200600_302600_NS6detail15normal_iteratorINSA_10device_ptrIxEEEEPS6_SG_NS0_5tupleIJNSA_16discard_iteratorINSA_11use_defaultEEES6_EEENSH_IJSG_SG_EEES6_PlJNSB_9not_fun_tI7is_trueIxEEEEEE10hipError_tPvRmT3_T4_T5_T6_T7_T9_mT8_P12ihipStream_tbDpT10_ENKUlT_T0_E_clISt17integral_constantIbLb0EES1B_EEDaS16_S17_EUlS16_E_NS1_11comp_targetILNS1_3genE0ELNS1_11target_archE4294967295ELNS1_3gpuE0ELNS1_3repE0EEENS1_30default_config_static_selectorELNS0_4arch9wavefront6targetE0EEEvT1_,@function
_ZN7rocprim17ROCPRIM_400000_NS6detail17trampoline_kernelINS0_14default_configENS1_25partition_config_selectorILNS1_17partition_subalgoE6ExNS0_10empty_typeEbEEZZNS1_14partition_implILS5_6ELb0ES3_mN6thrust23THRUST_200600_302600_NS6detail15normal_iteratorINSA_10device_ptrIxEEEEPS6_SG_NS0_5tupleIJNSA_16discard_iteratorINSA_11use_defaultEEES6_EEENSH_IJSG_SG_EEES6_PlJNSB_9not_fun_tI7is_trueIxEEEEEE10hipError_tPvRmT3_T4_T5_T6_T7_T9_mT8_P12ihipStream_tbDpT10_ENKUlT_T0_E_clISt17integral_constantIbLb0EES1B_EEDaS16_S17_EUlS16_E_NS1_11comp_targetILNS1_3genE0ELNS1_11target_archE4294967295ELNS1_3gpuE0ELNS1_3repE0EEENS1_30default_config_static_selectorELNS0_4arch9wavefront6targetE0EEEvT1_: ; @_ZN7rocprim17ROCPRIM_400000_NS6detail17trampoline_kernelINS0_14default_configENS1_25partition_config_selectorILNS1_17partition_subalgoE6ExNS0_10empty_typeEbEEZZNS1_14partition_implILS5_6ELb0ES3_mN6thrust23THRUST_200600_302600_NS6detail15normal_iteratorINSA_10device_ptrIxEEEEPS6_SG_NS0_5tupleIJNSA_16discard_iteratorINSA_11use_defaultEEES6_EEENSH_IJSG_SG_EEES6_PlJNSB_9not_fun_tI7is_trueIxEEEEEE10hipError_tPvRmT3_T4_T5_T6_T7_T9_mT8_P12ihipStream_tbDpT10_ENKUlT_T0_E_clISt17integral_constantIbLb0EES1B_EEDaS16_S17_EUlS16_E_NS1_11comp_targetILNS1_3genE0ELNS1_11target_archE4294967295ELNS1_3gpuE0ELNS1_3repE0EEENS1_30default_config_static_selectorELNS0_4arch9wavefront6targetE0EEEvT1_
; %bb.0:
	.section	.rodata,"a",@progbits
	.p2align	6, 0x0
	.amdhsa_kernel _ZN7rocprim17ROCPRIM_400000_NS6detail17trampoline_kernelINS0_14default_configENS1_25partition_config_selectorILNS1_17partition_subalgoE6ExNS0_10empty_typeEbEEZZNS1_14partition_implILS5_6ELb0ES3_mN6thrust23THRUST_200600_302600_NS6detail15normal_iteratorINSA_10device_ptrIxEEEEPS6_SG_NS0_5tupleIJNSA_16discard_iteratorINSA_11use_defaultEEES6_EEENSH_IJSG_SG_EEES6_PlJNSB_9not_fun_tI7is_trueIxEEEEEE10hipError_tPvRmT3_T4_T5_T6_T7_T9_mT8_P12ihipStream_tbDpT10_ENKUlT_T0_E_clISt17integral_constantIbLb0EES1B_EEDaS16_S17_EUlS16_E_NS1_11comp_targetILNS1_3genE0ELNS1_11target_archE4294967295ELNS1_3gpuE0ELNS1_3repE0EEENS1_30default_config_static_selectorELNS0_4arch9wavefront6targetE0EEEvT1_
		.amdhsa_group_segment_fixed_size 0
		.amdhsa_private_segment_fixed_size 0
		.amdhsa_kernarg_size 120
		.amdhsa_user_sgpr_count 2
		.amdhsa_user_sgpr_dispatch_ptr 0
		.amdhsa_user_sgpr_queue_ptr 0
		.amdhsa_user_sgpr_kernarg_segment_ptr 1
		.amdhsa_user_sgpr_dispatch_id 0
		.amdhsa_user_sgpr_private_segment_size 0
		.amdhsa_wavefront_size32 1
		.amdhsa_uses_dynamic_stack 0
		.amdhsa_enable_private_segment 0
		.amdhsa_system_sgpr_workgroup_id_x 1
		.amdhsa_system_sgpr_workgroup_id_y 0
		.amdhsa_system_sgpr_workgroup_id_z 0
		.amdhsa_system_sgpr_workgroup_info 0
		.amdhsa_system_vgpr_workitem_id 0
		.amdhsa_next_free_vgpr 1
		.amdhsa_next_free_sgpr 1
		.amdhsa_reserve_vcc 0
		.amdhsa_float_round_mode_32 0
		.amdhsa_float_round_mode_16_64 0
		.amdhsa_float_denorm_mode_32 3
		.amdhsa_float_denorm_mode_16_64 3
		.amdhsa_fp16_overflow 0
		.amdhsa_workgroup_processor_mode 1
		.amdhsa_memory_ordered 1
		.amdhsa_forward_progress 1
		.amdhsa_inst_pref_size 0
		.amdhsa_round_robin_scheduling 0
		.amdhsa_exception_fp_ieee_invalid_op 0
		.amdhsa_exception_fp_denorm_src 0
		.amdhsa_exception_fp_ieee_div_zero 0
		.amdhsa_exception_fp_ieee_overflow 0
		.amdhsa_exception_fp_ieee_underflow 0
		.amdhsa_exception_fp_ieee_inexact 0
		.amdhsa_exception_int_div_zero 0
	.end_amdhsa_kernel
	.section	.text._ZN7rocprim17ROCPRIM_400000_NS6detail17trampoline_kernelINS0_14default_configENS1_25partition_config_selectorILNS1_17partition_subalgoE6ExNS0_10empty_typeEbEEZZNS1_14partition_implILS5_6ELb0ES3_mN6thrust23THRUST_200600_302600_NS6detail15normal_iteratorINSA_10device_ptrIxEEEEPS6_SG_NS0_5tupleIJNSA_16discard_iteratorINSA_11use_defaultEEES6_EEENSH_IJSG_SG_EEES6_PlJNSB_9not_fun_tI7is_trueIxEEEEEE10hipError_tPvRmT3_T4_T5_T6_T7_T9_mT8_P12ihipStream_tbDpT10_ENKUlT_T0_E_clISt17integral_constantIbLb0EES1B_EEDaS16_S17_EUlS16_E_NS1_11comp_targetILNS1_3genE0ELNS1_11target_archE4294967295ELNS1_3gpuE0ELNS1_3repE0EEENS1_30default_config_static_selectorELNS0_4arch9wavefront6targetE0EEEvT1_,"axG",@progbits,_ZN7rocprim17ROCPRIM_400000_NS6detail17trampoline_kernelINS0_14default_configENS1_25partition_config_selectorILNS1_17partition_subalgoE6ExNS0_10empty_typeEbEEZZNS1_14partition_implILS5_6ELb0ES3_mN6thrust23THRUST_200600_302600_NS6detail15normal_iteratorINSA_10device_ptrIxEEEEPS6_SG_NS0_5tupleIJNSA_16discard_iteratorINSA_11use_defaultEEES6_EEENSH_IJSG_SG_EEES6_PlJNSB_9not_fun_tI7is_trueIxEEEEEE10hipError_tPvRmT3_T4_T5_T6_T7_T9_mT8_P12ihipStream_tbDpT10_ENKUlT_T0_E_clISt17integral_constantIbLb0EES1B_EEDaS16_S17_EUlS16_E_NS1_11comp_targetILNS1_3genE0ELNS1_11target_archE4294967295ELNS1_3gpuE0ELNS1_3repE0EEENS1_30default_config_static_selectorELNS0_4arch9wavefront6targetE0EEEvT1_,comdat
.Lfunc_end2237:
	.size	_ZN7rocprim17ROCPRIM_400000_NS6detail17trampoline_kernelINS0_14default_configENS1_25partition_config_selectorILNS1_17partition_subalgoE6ExNS0_10empty_typeEbEEZZNS1_14partition_implILS5_6ELb0ES3_mN6thrust23THRUST_200600_302600_NS6detail15normal_iteratorINSA_10device_ptrIxEEEEPS6_SG_NS0_5tupleIJNSA_16discard_iteratorINSA_11use_defaultEEES6_EEENSH_IJSG_SG_EEES6_PlJNSB_9not_fun_tI7is_trueIxEEEEEE10hipError_tPvRmT3_T4_T5_T6_T7_T9_mT8_P12ihipStream_tbDpT10_ENKUlT_T0_E_clISt17integral_constantIbLb0EES1B_EEDaS16_S17_EUlS16_E_NS1_11comp_targetILNS1_3genE0ELNS1_11target_archE4294967295ELNS1_3gpuE0ELNS1_3repE0EEENS1_30default_config_static_selectorELNS0_4arch9wavefront6targetE0EEEvT1_, .Lfunc_end2237-_ZN7rocprim17ROCPRIM_400000_NS6detail17trampoline_kernelINS0_14default_configENS1_25partition_config_selectorILNS1_17partition_subalgoE6ExNS0_10empty_typeEbEEZZNS1_14partition_implILS5_6ELb0ES3_mN6thrust23THRUST_200600_302600_NS6detail15normal_iteratorINSA_10device_ptrIxEEEEPS6_SG_NS0_5tupleIJNSA_16discard_iteratorINSA_11use_defaultEEES6_EEENSH_IJSG_SG_EEES6_PlJNSB_9not_fun_tI7is_trueIxEEEEEE10hipError_tPvRmT3_T4_T5_T6_T7_T9_mT8_P12ihipStream_tbDpT10_ENKUlT_T0_E_clISt17integral_constantIbLb0EES1B_EEDaS16_S17_EUlS16_E_NS1_11comp_targetILNS1_3genE0ELNS1_11target_archE4294967295ELNS1_3gpuE0ELNS1_3repE0EEENS1_30default_config_static_selectorELNS0_4arch9wavefront6targetE0EEEvT1_
                                        ; -- End function
	.set _ZN7rocprim17ROCPRIM_400000_NS6detail17trampoline_kernelINS0_14default_configENS1_25partition_config_selectorILNS1_17partition_subalgoE6ExNS0_10empty_typeEbEEZZNS1_14partition_implILS5_6ELb0ES3_mN6thrust23THRUST_200600_302600_NS6detail15normal_iteratorINSA_10device_ptrIxEEEEPS6_SG_NS0_5tupleIJNSA_16discard_iteratorINSA_11use_defaultEEES6_EEENSH_IJSG_SG_EEES6_PlJNSB_9not_fun_tI7is_trueIxEEEEEE10hipError_tPvRmT3_T4_T5_T6_T7_T9_mT8_P12ihipStream_tbDpT10_ENKUlT_T0_E_clISt17integral_constantIbLb0EES1B_EEDaS16_S17_EUlS16_E_NS1_11comp_targetILNS1_3genE0ELNS1_11target_archE4294967295ELNS1_3gpuE0ELNS1_3repE0EEENS1_30default_config_static_selectorELNS0_4arch9wavefront6targetE0EEEvT1_.num_vgpr, 0
	.set _ZN7rocprim17ROCPRIM_400000_NS6detail17trampoline_kernelINS0_14default_configENS1_25partition_config_selectorILNS1_17partition_subalgoE6ExNS0_10empty_typeEbEEZZNS1_14partition_implILS5_6ELb0ES3_mN6thrust23THRUST_200600_302600_NS6detail15normal_iteratorINSA_10device_ptrIxEEEEPS6_SG_NS0_5tupleIJNSA_16discard_iteratorINSA_11use_defaultEEES6_EEENSH_IJSG_SG_EEES6_PlJNSB_9not_fun_tI7is_trueIxEEEEEE10hipError_tPvRmT3_T4_T5_T6_T7_T9_mT8_P12ihipStream_tbDpT10_ENKUlT_T0_E_clISt17integral_constantIbLb0EES1B_EEDaS16_S17_EUlS16_E_NS1_11comp_targetILNS1_3genE0ELNS1_11target_archE4294967295ELNS1_3gpuE0ELNS1_3repE0EEENS1_30default_config_static_selectorELNS0_4arch9wavefront6targetE0EEEvT1_.num_agpr, 0
	.set _ZN7rocprim17ROCPRIM_400000_NS6detail17trampoline_kernelINS0_14default_configENS1_25partition_config_selectorILNS1_17partition_subalgoE6ExNS0_10empty_typeEbEEZZNS1_14partition_implILS5_6ELb0ES3_mN6thrust23THRUST_200600_302600_NS6detail15normal_iteratorINSA_10device_ptrIxEEEEPS6_SG_NS0_5tupleIJNSA_16discard_iteratorINSA_11use_defaultEEES6_EEENSH_IJSG_SG_EEES6_PlJNSB_9not_fun_tI7is_trueIxEEEEEE10hipError_tPvRmT3_T4_T5_T6_T7_T9_mT8_P12ihipStream_tbDpT10_ENKUlT_T0_E_clISt17integral_constantIbLb0EES1B_EEDaS16_S17_EUlS16_E_NS1_11comp_targetILNS1_3genE0ELNS1_11target_archE4294967295ELNS1_3gpuE0ELNS1_3repE0EEENS1_30default_config_static_selectorELNS0_4arch9wavefront6targetE0EEEvT1_.numbered_sgpr, 0
	.set _ZN7rocprim17ROCPRIM_400000_NS6detail17trampoline_kernelINS0_14default_configENS1_25partition_config_selectorILNS1_17partition_subalgoE6ExNS0_10empty_typeEbEEZZNS1_14partition_implILS5_6ELb0ES3_mN6thrust23THRUST_200600_302600_NS6detail15normal_iteratorINSA_10device_ptrIxEEEEPS6_SG_NS0_5tupleIJNSA_16discard_iteratorINSA_11use_defaultEEES6_EEENSH_IJSG_SG_EEES6_PlJNSB_9not_fun_tI7is_trueIxEEEEEE10hipError_tPvRmT3_T4_T5_T6_T7_T9_mT8_P12ihipStream_tbDpT10_ENKUlT_T0_E_clISt17integral_constantIbLb0EES1B_EEDaS16_S17_EUlS16_E_NS1_11comp_targetILNS1_3genE0ELNS1_11target_archE4294967295ELNS1_3gpuE0ELNS1_3repE0EEENS1_30default_config_static_selectorELNS0_4arch9wavefront6targetE0EEEvT1_.num_named_barrier, 0
	.set _ZN7rocprim17ROCPRIM_400000_NS6detail17trampoline_kernelINS0_14default_configENS1_25partition_config_selectorILNS1_17partition_subalgoE6ExNS0_10empty_typeEbEEZZNS1_14partition_implILS5_6ELb0ES3_mN6thrust23THRUST_200600_302600_NS6detail15normal_iteratorINSA_10device_ptrIxEEEEPS6_SG_NS0_5tupleIJNSA_16discard_iteratorINSA_11use_defaultEEES6_EEENSH_IJSG_SG_EEES6_PlJNSB_9not_fun_tI7is_trueIxEEEEEE10hipError_tPvRmT3_T4_T5_T6_T7_T9_mT8_P12ihipStream_tbDpT10_ENKUlT_T0_E_clISt17integral_constantIbLb0EES1B_EEDaS16_S17_EUlS16_E_NS1_11comp_targetILNS1_3genE0ELNS1_11target_archE4294967295ELNS1_3gpuE0ELNS1_3repE0EEENS1_30default_config_static_selectorELNS0_4arch9wavefront6targetE0EEEvT1_.private_seg_size, 0
	.set _ZN7rocprim17ROCPRIM_400000_NS6detail17trampoline_kernelINS0_14default_configENS1_25partition_config_selectorILNS1_17partition_subalgoE6ExNS0_10empty_typeEbEEZZNS1_14partition_implILS5_6ELb0ES3_mN6thrust23THRUST_200600_302600_NS6detail15normal_iteratorINSA_10device_ptrIxEEEEPS6_SG_NS0_5tupleIJNSA_16discard_iteratorINSA_11use_defaultEEES6_EEENSH_IJSG_SG_EEES6_PlJNSB_9not_fun_tI7is_trueIxEEEEEE10hipError_tPvRmT3_T4_T5_T6_T7_T9_mT8_P12ihipStream_tbDpT10_ENKUlT_T0_E_clISt17integral_constantIbLb0EES1B_EEDaS16_S17_EUlS16_E_NS1_11comp_targetILNS1_3genE0ELNS1_11target_archE4294967295ELNS1_3gpuE0ELNS1_3repE0EEENS1_30default_config_static_selectorELNS0_4arch9wavefront6targetE0EEEvT1_.uses_vcc, 0
	.set _ZN7rocprim17ROCPRIM_400000_NS6detail17trampoline_kernelINS0_14default_configENS1_25partition_config_selectorILNS1_17partition_subalgoE6ExNS0_10empty_typeEbEEZZNS1_14partition_implILS5_6ELb0ES3_mN6thrust23THRUST_200600_302600_NS6detail15normal_iteratorINSA_10device_ptrIxEEEEPS6_SG_NS0_5tupleIJNSA_16discard_iteratorINSA_11use_defaultEEES6_EEENSH_IJSG_SG_EEES6_PlJNSB_9not_fun_tI7is_trueIxEEEEEE10hipError_tPvRmT3_T4_T5_T6_T7_T9_mT8_P12ihipStream_tbDpT10_ENKUlT_T0_E_clISt17integral_constantIbLb0EES1B_EEDaS16_S17_EUlS16_E_NS1_11comp_targetILNS1_3genE0ELNS1_11target_archE4294967295ELNS1_3gpuE0ELNS1_3repE0EEENS1_30default_config_static_selectorELNS0_4arch9wavefront6targetE0EEEvT1_.uses_flat_scratch, 0
	.set _ZN7rocprim17ROCPRIM_400000_NS6detail17trampoline_kernelINS0_14default_configENS1_25partition_config_selectorILNS1_17partition_subalgoE6ExNS0_10empty_typeEbEEZZNS1_14partition_implILS5_6ELb0ES3_mN6thrust23THRUST_200600_302600_NS6detail15normal_iteratorINSA_10device_ptrIxEEEEPS6_SG_NS0_5tupleIJNSA_16discard_iteratorINSA_11use_defaultEEES6_EEENSH_IJSG_SG_EEES6_PlJNSB_9not_fun_tI7is_trueIxEEEEEE10hipError_tPvRmT3_T4_T5_T6_T7_T9_mT8_P12ihipStream_tbDpT10_ENKUlT_T0_E_clISt17integral_constantIbLb0EES1B_EEDaS16_S17_EUlS16_E_NS1_11comp_targetILNS1_3genE0ELNS1_11target_archE4294967295ELNS1_3gpuE0ELNS1_3repE0EEENS1_30default_config_static_selectorELNS0_4arch9wavefront6targetE0EEEvT1_.has_dyn_sized_stack, 0
	.set _ZN7rocprim17ROCPRIM_400000_NS6detail17trampoline_kernelINS0_14default_configENS1_25partition_config_selectorILNS1_17partition_subalgoE6ExNS0_10empty_typeEbEEZZNS1_14partition_implILS5_6ELb0ES3_mN6thrust23THRUST_200600_302600_NS6detail15normal_iteratorINSA_10device_ptrIxEEEEPS6_SG_NS0_5tupleIJNSA_16discard_iteratorINSA_11use_defaultEEES6_EEENSH_IJSG_SG_EEES6_PlJNSB_9not_fun_tI7is_trueIxEEEEEE10hipError_tPvRmT3_T4_T5_T6_T7_T9_mT8_P12ihipStream_tbDpT10_ENKUlT_T0_E_clISt17integral_constantIbLb0EES1B_EEDaS16_S17_EUlS16_E_NS1_11comp_targetILNS1_3genE0ELNS1_11target_archE4294967295ELNS1_3gpuE0ELNS1_3repE0EEENS1_30default_config_static_selectorELNS0_4arch9wavefront6targetE0EEEvT1_.has_recursion, 0
	.set _ZN7rocprim17ROCPRIM_400000_NS6detail17trampoline_kernelINS0_14default_configENS1_25partition_config_selectorILNS1_17partition_subalgoE6ExNS0_10empty_typeEbEEZZNS1_14partition_implILS5_6ELb0ES3_mN6thrust23THRUST_200600_302600_NS6detail15normal_iteratorINSA_10device_ptrIxEEEEPS6_SG_NS0_5tupleIJNSA_16discard_iteratorINSA_11use_defaultEEES6_EEENSH_IJSG_SG_EEES6_PlJNSB_9not_fun_tI7is_trueIxEEEEEE10hipError_tPvRmT3_T4_T5_T6_T7_T9_mT8_P12ihipStream_tbDpT10_ENKUlT_T0_E_clISt17integral_constantIbLb0EES1B_EEDaS16_S17_EUlS16_E_NS1_11comp_targetILNS1_3genE0ELNS1_11target_archE4294967295ELNS1_3gpuE0ELNS1_3repE0EEENS1_30default_config_static_selectorELNS0_4arch9wavefront6targetE0EEEvT1_.has_indirect_call, 0
	.section	.AMDGPU.csdata,"",@progbits
; Kernel info:
; codeLenInByte = 0
; TotalNumSgprs: 0
; NumVgprs: 0
; ScratchSize: 0
; MemoryBound: 0
; FloatMode: 240
; IeeeMode: 1
; LDSByteSize: 0 bytes/workgroup (compile time only)
; SGPRBlocks: 0
; VGPRBlocks: 0
; NumSGPRsForWavesPerEU: 1
; NumVGPRsForWavesPerEU: 1
; Occupancy: 16
; WaveLimiterHint : 0
; COMPUTE_PGM_RSRC2:SCRATCH_EN: 0
; COMPUTE_PGM_RSRC2:USER_SGPR: 2
; COMPUTE_PGM_RSRC2:TRAP_HANDLER: 0
; COMPUTE_PGM_RSRC2:TGID_X_EN: 1
; COMPUTE_PGM_RSRC2:TGID_Y_EN: 0
; COMPUTE_PGM_RSRC2:TGID_Z_EN: 0
; COMPUTE_PGM_RSRC2:TIDIG_COMP_CNT: 0
	.section	.text._ZN7rocprim17ROCPRIM_400000_NS6detail17trampoline_kernelINS0_14default_configENS1_25partition_config_selectorILNS1_17partition_subalgoE6ExNS0_10empty_typeEbEEZZNS1_14partition_implILS5_6ELb0ES3_mN6thrust23THRUST_200600_302600_NS6detail15normal_iteratorINSA_10device_ptrIxEEEEPS6_SG_NS0_5tupleIJNSA_16discard_iteratorINSA_11use_defaultEEES6_EEENSH_IJSG_SG_EEES6_PlJNSB_9not_fun_tI7is_trueIxEEEEEE10hipError_tPvRmT3_T4_T5_T6_T7_T9_mT8_P12ihipStream_tbDpT10_ENKUlT_T0_E_clISt17integral_constantIbLb0EES1B_EEDaS16_S17_EUlS16_E_NS1_11comp_targetILNS1_3genE5ELNS1_11target_archE942ELNS1_3gpuE9ELNS1_3repE0EEENS1_30default_config_static_selectorELNS0_4arch9wavefront6targetE0EEEvT1_,"axG",@progbits,_ZN7rocprim17ROCPRIM_400000_NS6detail17trampoline_kernelINS0_14default_configENS1_25partition_config_selectorILNS1_17partition_subalgoE6ExNS0_10empty_typeEbEEZZNS1_14partition_implILS5_6ELb0ES3_mN6thrust23THRUST_200600_302600_NS6detail15normal_iteratorINSA_10device_ptrIxEEEEPS6_SG_NS0_5tupleIJNSA_16discard_iteratorINSA_11use_defaultEEES6_EEENSH_IJSG_SG_EEES6_PlJNSB_9not_fun_tI7is_trueIxEEEEEE10hipError_tPvRmT3_T4_T5_T6_T7_T9_mT8_P12ihipStream_tbDpT10_ENKUlT_T0_E_clISt17integral_constantIbLb0EES1B_EEDaS16_S17_EUlS16_E_NS1_11comp_targetILNS1_3genE5ELNS1_11target_archE942ELNS1_3gpuE9ELNS1_3repE0EEENS1_30default_config_static_selectorELNS0_4arch9wavefront6targetE0EEEvT1_,comdat
	.protected	_ZN7rocprim17ROCPRIM_400000_NS6detail17trampoline_kernelINS0_14default_configENS1_25partition_config_selectorILNS1_17partition_subalgoE6ExNS0_10empty_typeEbEEZZNS1_14partition_implILS5_6ELb0ES3_mN6thrust23THRUST_200600_302600_NS6detail15normal_iteratorINSA_10device_ptrIxEEEEPS6_SG_NS0_5tupleIJNSA_16discard_iteratorINSA_11use_defaultEEES6_EEENSH_IJSG_SG_EEES6_PlJNSB_9not_fun_tI7is_trueIxEEEEEE10hipError_tPvRmT3_T4_T5_T6_T7_T9_mT8_P12ihipStream_tbDpT10_ENKUlT_T0_E_clISt17integral_constantIbLb0EES1B_EEDaS16_S17_EUlS16_E_NS1_11comp_targetILNS1_3genE5ELNS1_11target_archE942ELNS1_3gpuE9ELNS1_3repE0EEENS1_30default_config_static_selectorELNS0_4arch9wavefront6targetE0EEEvT1_ ; -- Begin function _ZN7rocprim17ROCPRIM_400000_NS6detail17trampoline_kernelINS0_14default_configENS1_25partition_config_selectorILNS1_17partition_subalgoE6ExNS0_10empty_typeEbEEZZNS1_14partition_implILS5_6ELb0ES3_mN6thrust23THRUST_200600_302600_NS6detail15normal_iteratorINSA_10device_ptrIxEEEEPS6_SG_NS0_5tupleIJNSA_16discard_iteratorINSA_11use_defaultEEES6_EEENSH_IJSG_SG_EEES6_PlJNSB_9not_fun_tI7is_trueIxEEEEEE10hipError_tPvRmT3_T4_T5_T6_T7_T9_mT8_P12ihipStream_tbDpT10_ENKUlT_T0_E_clISt17integral_constantIbLb0EES1B_EEDaS16_S17_EUlS16_E_NS1_11comp_targetILNS1_3genE5ELNS1_11target_archE942ELNS1_3gpuE9ELNS1_3repE0EEENS1_30default_config_static_selectorELNS0_4arch9wavefront6targetE0EEEvT1_
	.globl	_ZN7rocprim17ROCPRIM_400000_NS6detail17trampoline_kernelINS0_14default_configENS1_25partition_config_selectorILNS1_17partition_subalgoE6ExNS0_10empty_typeEbEEZZNS1_14partition_implILS5_6ELb0ES3_mN6thrust23THRUST_200600_302600_NS6detail15normal_iteratorINSA_10device_ptrIxEEEEPS6_SG_NS0_5tupleIJNSA_16discard_iteratorINSA_11use_defaultEEES6_EEENSH_IJSG_SG_EEES6_PlJNSB_9not_fun_tI7is_trueIxEEEEEE10hipError_tPvRmT3_T4_T5_T6_T7_T9_mT8_P12ihipStream_tbDpT10_ENKUlT_T0_E_clISt17integral_constantIbLb0EES1B_EEDaS16_S17_EUlS16_E_NS1_11comp_targetILNS1_3genE5ELNS1_11target_archE942ELNS1_3gpuE9ELNS1_3repE0EEENS1_30default_config_static_selectorELNS0_4arch9wavefront6targetE0EEEvT1_
	.p2align	8
	.type	_ZN7rocprim17ROCPRIM_400000_NS6detail17trampoline_kernelINS0_14default_configENS1_25partition_config_selectorILNS1_17partition_subalgoE6ExNS0_10empty_typeEbEEZZNS1_14partition_implILS5_6ELb0ES3_mN6thrust23THRUST_200600_302600_NS6detail15normal_iteratorINSA_10device_ptrIxEEEEPS6_SG_NS0_5tupleIJNSA_16discard_iteratorINSA_11use_defaultEEES6_EEENSH_IJSG_SG_EEES6_PlJNSB_9not_fun_tI7is_trueIxEEEEEE10hipError_tPvRmT3_T4_T5_T6_T7_T9_mT8_P12ihipStream_tbDpT10_ENKUlT_T0_E_clISt17integral_constantIbLb0EES1B_EEDaS16_S17_EUlS16_E_NS1_11comp_targetILNS1_3genE5ELNS1_11target_archE942ELNS1_3gpuE9ELNS1_3repE0EEENS1_30default_config_static_selectorELNS0_4arch9wavefront6targetE0EEEvT1_,@function
_ZN7rocprim17ROCPRIM_400000_NS6detail17trampoline_kernelINS0_14default_configENS1_25partition_config_selectorILNS1_17partition_subalgoE6ExNS0_10empty_typeEbEEZZNS1_14partition_implILS5_6ELb0ES3_mN6thrust23THRUST_200600_302600_NS6detail15normal_iteratorINSA_10device_ptrIxEEEEPS6_SG_NS0_5tupleIJNSA_16discard_iteratorINSA_11use_defaultEEES6_EEENSH_IJSG_SG_EEES6_PlJNSB_9not_fun_tI7is_trueIxEEEEEE10hipError_tPvRmT3_T4_T5_T6_T7_T9_mT8_P12ihipStream_tbDpT10_ENKUlT_T0_E_clISt17integral_constantIbLb0EES1B_EEDaS16_S17_EUlS16_E_NS1_11comp_targetILNS1_3genE5ELNS1_11target_archE942ELNS1_3gpuE9ELNS1_3repE0EEENS1_30default_config_static_selectorELNS0_4arch9wavefront6targetE0EEEvT1_: ; @_ZN7rocprim17ROCPRIM_400000_NS6detail17trampoline_kernelINS0_14default_configENS1_25partition_config_selectorILNS1_17partition_subalgoE6ExNS0_10empty_typeEbEEZZNS1_14partition_implILS5_6ELb0ES3_mN6thrust23THRUST_200600_302600_NS6detail15normal_iteratorINSA_10device_ptrIxEEEEPS6_SG_NS0_5tupleIJNSA_16discard_iteratorINSA_11use_defaultEEES6_EEENSH_IJSG_SG_EEES6_PlJNSB_9not_fun_tI7is_trueIxEEEEEE10hipError_tPvRmT3_T4_T5_T6_T7_T9_mT8_P12ihipStream_tbDpT10_ENKUlT_T0_E_clISt17integral_constantIbLb0EES1B_EEDaS16_S17_EUlS16_E_NS1_11comp_targetILNS1_3genE5ELNS1_11target_archE942ELNS1_3gpuE9ELNS1_3repE0EEENS1_30default_config_static_selectorELNS0_4arch9wavefront6targetE0EEEvT1_
; %bb.0:
	.section	.rodata,"a",@progbits
	.p2align	6, 0x0
	.amdhsa_kernel _ZN7rocprim17ROCPRIM_400000_NS6detail17trampoline_kernelINS0_14default_configENS1_25partition_config_selectorILNS1_17partition_subalgoE6ExNS0_10empty_typeEbEEZZNS1_14partition_implILS5_6ELb0ES3_mN6thrust23THRUST_200600_302600_NS6detail15normal_iteratorINSA_10device_ptrIxEEEEPS6_SG_NS0_5tupleIJNSA_16discard_iteratorINSA_11use_defaultEEES6_EEENSH_IJSG_SG_EEES6_PlJNSB_9not_fun_tI7is_trueIxEEEEEE10hipError_tPvRmT3_T4_T5_T6_T7_T9_mT8_P12ihipStream_tbDpT10_ENKUlT_T0_E_clISt17integral_constantIbLb0EES1B_EEDaS16_S17_EUlS16_E_NS1_11comp_targetILNS1_3genE5ELNS1_11target_archE942ELNS1_3gpuE9ELNS1_3repE0EEENS1_30default_config_static_selectorELNS0_4arch9wavefront6targetE0EEEvT1_
		.amdhsa_group_segment_fixed_size 0
		.amdhsa_private_segment_fixed_size 0
		.amdhsa_kernarg_size 120
		.amdhsa_user_sgpr_count 2
		.amdhsa_user_sgpr_dispatch_ptr 0
		.amdhsa_user_sgpr_queue_ptr 0
		.amdhsa_user_sgpr_kernarg_segment_ptr 1
		.amdhsa_user_sgpr_dispatch_id 0
		.amdhsa_user_sgpr_private_segment_size 0
		.amdhsa_wavefront_size32 1
		.amdhsa_uses_dynamic_stack 0
		.amdhsa_enable_private_segment 0
		.amdhsa_system_sgpr_workgroup_id_x 1
		.amdhsa_system_sgpr_workgroup_id_y 0
		.amdhsa_system_sgpr_workgroup_id_z 0
		.amdhsa_system_sgpr_workgroup_info 0
		.amdhsa_system_vgpr_workitem_id 0
		.amdhsa_next_free_vgpr 1
		.amdhsa_next_free_sgpr 1
		.amdhsa_reserve_vcc 0
		.amdhsa_float_round_mode_32 0
		.amdhsa_float_round_mode_16_64 0
		.amdhsa_float_denorm_mode_32 3
		.amdhsa_float_denorm_mode_16_64 3
		.amdhsa_fp16_overflow 0
		.amdhsa_workgroup_processor_mode 1
		.amdhsa_memory_ordered 1
		.amdhsa_forward_progress 1
		.amdhsa_inst_pref_size 0
		.amdhsa_round_robin_scheduling 0
		.amdhsa_exception_fp_ieee_invalid_op 0
		.amdhsa_exception_fp_denorm_src 0
		.amdhsa_exception_fp_ieee_div_zero 0
		.amdhsa_exception_fp_ieee_overflow 0
		.amdhsa_exception_fp_ieee_underflow 0
		.amdhsa_exception_fp_ieee_inexact 0
		.amdhsa_exception_int_div_zero 0
	.end_amdhsa_kernel
	.section	.text._ZN7rocprim17ROCPRIM_400000_NS6detail17trampoline_kernelINS0_14default_configENS1_25partition_config_selectorILNS1_17partition_subalgoE6ExNS0_10empty_typeEbEEZZNS1_14partition_implILS5_6ELb0ES3_mN6thrust23THRUST_200600_302600_NS6detail15normal_iteratorINSA_10device_ptrIxEEEEPS6_SG_NS0_5tupleIJNSA_16discard_iteratorINSA_11use_defaultEEES6_EEENSH_IJSG_SG_EEES6_PlJNSB_9not_fun_tI7is_trueIxEEEEEE10hipError_tPvRmT3_T4_T5_T6_T7_T9_mT8_P12ihipStream_tbDpT10_ENKUlT_T0_E_clISt17integral_constantIbLb0EES1B_EEDaS16_S17_EUlS16_E_NS1_11comp_targetILNS1_3genE5ELNS1_11target_archE942ELNS1_3gpuE9ELNS1_3repE0EEENS1_30default_config_static_selectorELNS0_4arch9wavefront6targetE0EEEvT1_,"axG",@progbits,_ZN7rocprim17ROCPRIM_400000_NS6detail17trampoline_kernelINS0_14default_configENS1_25partition_config_selectorILNS1_17partition_subalgoE6ExNS0_10empty_typeEbEEZZNS1_14partition_implILS5_6ELb0ES3_mN6thrust23THRUST_200600_302600_NS6detail15normal_iteratorINSA_10device_ptrIxEEEEPS6_SG_NS0_5tupleIJNSA_16discard_iteratorINSA_11use_defaultEEES6_EEENSH_IJSG_SG_EEES6_PlJNSB_9not_fun_tI7is_trueIxEEEEEE10hipError_tPvRmT3_T4_T5_T6_T7_T9_mT8_P12ihipStream_tbDpT10_ENKUlT_T0_E_clISt17integral_constantIbLb0EES1B_EEDaS16_S17_EUlS16_E_NS1_11comp_targetILNS1_3genE5ELNS1_11target_archE942ELNS1_3gpuE9ELNS1_3repE0EEENS1_30default_config_static_selectorELNS0_4arch9wavefront6targetE0EEEvT1_,comdat
.Lfunc_end2238:
	.size	_ZN7rocprim17ROCPRIM_400000_NS6detail17trampoline_kernelINS0_14default_configENS1_25partition_config_selectorILNS1_17partition_subalgoE6ExNS0_10empty_typeEbEEZZNS1_14partition_implILS5_6ELb0ES3_mN6thrust23THRUST_200600_302600_NS6detail15normal_iteratorINSA_10device_ptrIxEEEEPS6_SG_NS0_5tupleIJNSA_16discard_iteratorINSA_11use_defaultEEES6_EEENSH_IJSG_SG_EEES6_PlJNSB_9not_fun_tI7is_trueIxEEEEEE10hipError_tPvRmT3_T4_T5_T6_T7_T9_mT8_P12ihipStream_tbDpT10_ENKUlT_T0_E_clISt17integral_constantIbLb0EES1B_EEDaS16_S17_EUlS16_E_NS1_11comp_targetILNS1_3genE5ELNS1_11target_archE942ELNS1_3gpuE9ELNS1_3repE0EEENS1_30default_config_static_selectorELNS0_4arch9wavefront6targetE0EEEvT1_, .Lfunc_end2238-_ZN7rocprim17ROCPRIM_400000_NS6detail17trampoline_kernelINS0_14default_configENS1_25partition_config_selectorILNS1_17partition_subalgoE6ExNS0_10empty_typeEbEEZZNS1_14partition_implILS5_6ELb0ES3_mN6thrust23THRUST_200600_302600_NS6detail15normal_iteratorINSA_10device_ptrIxEEEEPS6_SG_NS0_5tupleIJNSA_16discard_iteratorINSA_11use_defaultEEES6_EEENSH_IJSG_SG_EEES6_PlJNSB_9not_fun_tI7is_trueIxEEEEEE10hipError_tPvRmT3_T4_T5_T6_T7_T9_mT8_P12ihipStream_tbDpT10_ENKUlT_T0_E_clISt17integral_constantIbLb0EES1B_EEDaS16_S17_EUlS16_E_NS1_11comp_targetILNS1_3genE5ELNS1_11target_archE942ELNS1_3gpuE9ELNS1_3repE0EEENS1_30default_config_static_selectorELNS0_4arch9wavefront6targetE0EEEvT1_
                                        ; -- End function
	.set _ZN7rocprim17ROCPRIM_400000_NS6detail17trampoline_kernelINS0_14default_configENS1_25partition_config_selectorILNS1_17partition_subalgoE6ExNS0_10empty_typeEbEEZZNS1_14partition_implILS5_6ELb0ES3_mN6thrust23THRUST_200600_302600_NS6detail15normal_iteratorINSA_10device_ptrIxEEEEPS6_SG_NS0_5tupleIJNSA_16discard_iteratorINSA_11use_defaultEEES6_EEENSH_IJSG_SG_EEES6_PlJNSB_9not_fun_tI7is_trueIxEEEEEE10hipError_tPvRmT3_T4_T5_T6_T7_T9_mT8_P12ihipStream_tbDpT10_ENKUlT_T0_E_clISt17integral_constantIbLb0EES1B_EEDaS16_S17_EUlS16_E_NS1_11comp_targetILNS1_3genE5ELNS1_11target_archE942ELNS1_3gpuE9ELNS1_3repE0EEENS1_30default_config_static_selectorELNS0_4arch9wavefront6targetE0EEEvT1_.num_vgpr, 0
	.set _ZN7rocprim17ROCPRIM_400000_NS6detail17trampoline_kernelINS0_14default_configENS1_25partition_config_selectorILNS1_17partition_subalgoE6ExNS0_10empty_typeEbEEZZNS1_14partition_implILS5_6ELb0ES3_mN6thrust23THRUST_200600_302600_NS6detail15normal_iteratorINSA_10device_ptrIxEEEEPS6_SG_NS0_5tupleIJNSA_16discard_iteratorINSA_11use_defaultEEES6_EEENSH_IJSG_SG_EEES6_PlJNSB_9not_fun_tI7is_trueIxEEEEEE10hipError_tPvRmT3_T4_T5_T6_T7_T9_mT8_P12ihipStream_tbDpT10_ENKUlT_T0_E_clISt17integral_constantIbLb0EES1B_EEDaS16_S17_EUlS16_E_NS1_11comp_targetILNS1_3genE5ELNS1_11target_archE942ELNS1_3gpuE9ELNS1_3repE0EEENS1_30default_config_static_selectorELNS0_4arch9wavefront6targetE0EEEvT1_.num_agpr, 0
	.set _ZN7rocprim17ROCPRIM_400000_NS6detail17trampoline_kernelINS0_14default_configENS1_25partition_config_selectorILNS1_17partition_subalgoE6ExNS0_10empty_typeEbEEZZNS1_14partition_implILS5_6ELb0ES3_mN6thrust23THRUST_200600_302600_NS6detail15normal_iteratorINSA_10device_ptrIxEEEEPS6_SG_NS0_5tupleIJNSA_16discard_iteratorINSA_11use_defaultEEES6_EEENSH_IJSG_SG_EEES6_PlJNSB_9not_fun_tI7is_trueIxEEEEEE10hipError_tPvRmT3_T4_T5_T6_T7_T9_mT8_P12ihipStream_tbDpT10_ENKUlT_T0_E_clISt17integral_constantIbLb0EES1B_EEDaS16_S17_EUlS16_E_NS1_11comp_targetILNS1_3genE5ELNS1_11target_archE942ELNS1_3gpuE9ELNS1_3repE0EEENS1_30default_config_static_selectorELNS0_4arch9wavefront6targetE0EEEvT1_.numbered_sgpr, 0
	.set _ZN7rocprim17ROCPRIM_400000_NS6detail17trampoline_kernelINS0_14default_configENS1_25partition_config_selectorILNS1_17partition_subalgoE6ExNS0_10empty_typeEbEEZZNS1_14partition_implILS5_6ELb0ES3_mN6thrust23THRUST_200600_302600_NS6detail15normal_iteratorINSA_10device_ptrIxEEEEPS6_SG_NS0_5tupleIJNSA_16discard_iteratorINSA_11use_defaultEEES6_EEENSH_IJSG_SG_EEES6_PlJNSB_9not_fun_tI7is_trueIxEEEEEE10hipError_tPvRmT3_T4_T5_T6_T7_T9_mT8_P12ihipStream_tbDpT10_ENKUlT_T0_E_clISt17integral_constantIbLb0EES1B_EEDaS16_S17_EUlS16_E_NS1_11comp_targetILNS1_3genE5ELNS1_11target_archE942ELNS1_3gpuE9ELNS1_3repE0EEENS1_30default_config_static_selectorELNS0_4arch9wavefront6targetE0EEEvT1_.num_named_barrier, 0
	.set _ZN7rocprim17ROCPRIM_400000_NS6detail17trampoline_kernelINS0_14default_configENS1_25partition_config_selectorILNS1_17partition_subalgoE6ExNS0_10empty_typeEbEEZZNS1_14partition_implILS5_6ELb0ES3_mN6thrust23THRUST_200600_302600_NS6detail15normal_iteratorINSA_10device_ptrIxEEEEPS6_SG_NS0_5tupleIJNSA_16discard_iteratorINSA_11use_defaultEEES6_EEENSH_IJSG_SG_EEES6_PlJNSB_9not_fun_tI7is_trueIxEEEEEE10hipError_tPvRmT3_T4_T5_T6_T7_T9_mT8_P12ihipStream_tbDpT10_ENKUlT_T0_E_clISt17integral_constantIbLb0EES1B_EEDaS16_S17_EUlS16_E_NS1_11comp_targetILNS1_3genE5ELNS1_11target_archE942ELNS1_3gpuE9ELNS1_3repE0EEENS1_30default_config_static_selectorELNS0_4arch9wavefront6targetE0EEEvT1_.private_seg_size, 0
	.set _ZN7rocprim17ROCPRIM_400000_NS6detail17trampoline_kernelINS0_14default_configENS1_25partition_config_selectorILNS1_17partition_subalgoE6ExNS0_10empty_typeEbEEZZNS1_14partition_implILS5_6ELb0ES3_mN6thrust23THRUST_200600_302600_NS6detail15normal_iteratorINSA_10device_ptrIxEEEEPS6_SG_NS0_5tupleIJNSA_16discard_iteratorINSA_11use_defaultEEES6_EEENSH_IJSG_SG_EEES6_PlJNSB_9not_fun_tI7is_trueIxEEEEEE10hipError_tPvRmT3_T4_T5_T6_T7_T9_mT8_P12ihipStream_tbDpT10_ENKUlT_T0_E_clISt17integral_constantIbLb0EES1B_EEDaS16_S17_EUlS16_E_NS1_11comp_targetILNS1_3genE5ELNS1_11target_archE942ELNS1_3gpuE9ELNS1_3repE0EEENS1_30default_config_static_selectorELNS0_4arch9wavefront6targetE0EEEvT1_.uses_vcc, 0
	.set _ZN7rocprim17ROCPRIM_400000_NS6detail17trampoline_kernelINS0_14default_configENS1_25partition_config_selectorILNS1_17partition_subalgoE6ExNS0_10empty_typeEbEEZZNS1_14partition_implILS5_6ELb0ES3_mN6thrust23THRUST_200600_302600_NS6detail15normal_iteratorINSA_10device_ptrIxEEEEPS6_SG_NS0_5tupleIJNSA_16discard_iteratorINSA_11use_defaultEEES6_EEENSH_IJSG_SG_EEES6_PlJNSB_9not_fun_tI7is_trueIxEEEEEE10hipError_tPvRmT3_T4_T5_T6_T7_T9_mT8_P12ihipStream_tbDpT10_ENKUlT_T0_E_clISt17integral_constantIbLb0EES1B_EEDaS16_S17_EUlS16_E_NS1_11comp_targetILNS1_3genE5ELNS1_11target_archE942ELNS1_3gpuE9ELNS1_3repE0EEENS1_30default_config_static_selectorELNS0_4arch9wavefront6targetE0EEEvT1_.uses_flat_scratch, 0
	.set _ZN7rocprim17ROCPRIM_400000_NS6detail17trampoline_kernelINS0_14default_configENS1_25partition_config_selectorILNS1_17partition_subalgoE6ExNS0_10empty_typeEbEEZZNS1_14partition_implILS5_6ELb0ES3_mN6thrust23THRUST_200600_302600_NS6detail15normal_iteratorINSA_10device_ptrIxEEEEPS6_SG_NS0_5tupleIJNSA_16discard_iteratorINSA_11use_defaultEEES6_EEENSH_IJSG_SG_EEES6_PlJNSB_9not_fun_tI7is_trueIxEEEEEE10hipError_tPvRmT3_T4_T5_T6_T7_T9_mT8_P12ihipStream_tbDpT10_ENKUlT_T0_E_clISt17integral_constantIbLb0EES1B_EEDaS16_S17_EUlS16_E_NS1_11comp_targetILNS1_3genE5ELNS1_11target_archE942ELNS1_3gpuE9ELNS1_3repE0EEENS1_30default_config_static_selectorELNS0_4arch9wavefront6targetE0EEEvT1_.has_dyn_sized_stack, 0
	.set _ZN7rocprim17ROCPRIM_400000_NS6detail17trampoline_kernelINS0_14default_configENS1_25partition_config_selectorILNS1_17partition_subalgoE6ExNS0_10empty_typeEbEEZZNS1_14partition_implILS5_6ELb0ES3_mN6thrust23THRUST_200600_302600_NS6detail15normal_iteratorINSA_10device_ptrIxEEEEPS6_SG_NS0_5tupleIJNSA_16discard_iteratorINSA_11use_defaultEEES6_EEENSH_IJSG_SG_EEES6_PlJNSB_9not_fun_tI7is_trueIxEEEEEE10hipError_tPvRmT3_T4_T5_T6_T7_T9_mT8_P12ihipStream_tbDpT10_ENKUlT_T0_E_clISt17integral_constantIbLb0EES1B_EEDaS16_S17_EUlS16_E_NS1_11comp_targetILNS1_3genE5ELNS1_11target_archE942ELNS1_3gpuE9ELNS1_3repE0EEENS1_30default_config_static_selectorELNS0_4arch9wavefront6targetE0EEEvT1_.has_recursion, 0
	.set _ZN7rocprim17ROCPRIM_400000_NS6detail17trampoline_kernelINS0_14default_configENS1_25partition_config_selectorILNS1_17partition_subalgoE6ExNS0_10empty_typeEbEEZZNS1_14partition_implILS5_6ELb0ES3_mN6thrust23THRUST_200600_302600_NS6detail15normal_iteratorINSA_10device_ptrIxEEEEPS6_SG_NS0_5tupleIJNSA_16discard_iteratorINSA_11use_defaultEEES6_EEENSH_IJSG_SG_EEES6_PlJNSB_9not_fun_tI7is_trueIxEEEEEE10hipError_tPvRmT3_T4_T5_T6_T7_T9_mT8_P12ihipStream_tbDpT10_ENKUlT_T0_E_clISt17integral_constantIbLb0EES1B_EEDaS16_S17_EUlS16_E_NS1_11comp_targetILNS1_3genE5ELNS1_11target_archE942ELNS1_3gpuE9ELNS1_3repE0EEENS1_30default_config_static_selectorELNS0_4arch9wavefront6targetE0EEEvT1_.has_indirect_call, 0
	.section	.AMDGPU.csdata,"",@progbits
; Kernel info:
; codeLenInByte = 0
; TotalNumSgprs: 0
; NumVgprs: 0
; ScratchSize: 0
; MemoryBound: 0
; FloatMode: 240
; IeeeMode: 1
; LDSByteSize: 0 bytes/workgroup (compile time only)
; SGPRBlocks: 0
; VGPRBlocks: 0
; NumSGPRsForWavesPerEU: 1
; NumVGPRsForWavesPerEU: 1
; Occupancy: 16
; WaveLimiterHint : 0
; COMPUTE_PGM_RSRC2:SCRATCH_EN: 0
; COMPUTE_PGM_RSRC2:USER_SGPR: 2
; COMPUTE_PGM_RSRC2:TRAP_HANDLER: 0
; COMPUTE_PGM_RSRC2:TGID_X_EN: 1
; COMPUTE_PGM_RSRC2:TGID_Y_EN: 0
; COMPUTE_PGM_RSRC2:TGID_Z_EN: 0
; COMPUTE_PGM_RSRC2:TIDIG_COMP_CNT: 0
	.section	.text._ZN7rocprim17ROCPRIM_400000_NS6detail17trampoline_kernelINS0_14default_configENS1_25partition_config_selectorILNS1_17partition_subalgoE6ExNS0_10empty_typeEbEEZZNS1_14partition_implILS5_6ELb0ES3_mN6thrust23THRUST_200600_302600_NS6detail15normal_iteratorINSA_10device_ptrIxEEEEPS6_SG_NS0_5tupleIJNSA_16discard_iteratorINSA_11use_defaultEEES6_EEENSH_IJSG_SG_EEES6_PlJNSB_9not_fun_tI7is_trueIxEEEEEE10hipError_tPvRmT3_T4_T5_T6_T7_T9_mT8_P12ihipStream_tbDpT10_ENKUlT_T0_E_clISt17integral_constantIbLb0EES1B_EEDaS16_S17_EUlS16_E_NS1_11comp_targetILNS1_3genE4ELNS1_11target_archE910ELNS1_3gpuE8ELNS1_3repE0EEENS1_30default_config_static_selectorELNS0_4arch9wavefront6targetE0EEEvT1_,"axG",@progbits,_ZN7rocprim17ROCPRIM_400000_NS6detail17trampoline_kernelINS0_14default_configENS1_25partition_config_selectorILNS1_17partition_subalgoE6ExNS0_10empty_typeEbEEZZNS1_14partition_implILS5_6ELb0ES3_mN6thrust23THRUST_200600_302600_NS6detail15normal_iteratorINSA_10device_ptrIxEEEEPS6_SG_NS0_5tupleIJNSA_16discard_iteratorINSA_11use_defaultEEES6_EEENSH_IJSG_SG_EEES6_PlJNSB_9not_fun_tI7is_trueIxEEEEEE10hipError_tPvRmT3_T4_T5_T6_T7_T9_mT8_P12ihipStream_tbDpT10_ENKUlT_T0_E_clISt17integral_constantIbLb0EES1B_EEDaS16_S17_EUlS16_E_NS1_11comp_targetILNS1_3genE4ELNS1_11target_archE910ELNS1_3gpuE8ELNS1_3repE0EEENS1_30default_config_static_selectorELNS0_4arch9wavefront6targetE0EEEvT1_,comdat
	.protected	_ZN7rocprim17ROCPRIM_400000_NS6detail17trampoline_kernelINS0_14default_configENS1_25partition_config_selectorILNS1_17partition_subalgoE6ExNS0_10empty_typeEbEEZZNS1_14partition_implILS5_6ELb0ES3_mN6thrust23THRUST_200600_302600_NS6detail15normal_iteratorINSA_10device_ptrIxEEEEPS6_SG_NS0_5tupleIJNSA_16discard_iteratorINSA_11use_defaultEEES6_EEENSH_IJSG_SG_EEES6_PlJNSB_9not_fun_tI7is_trueIxEEEEEE10hipError_tPvRmT3_T4_T5_T6_T7_T9_mT8_P12ihipStream_tbDpT10_ENKUlT_T0_E_clISt17integral_constantIbLb0EES1B_EEDaS16_S17_EUlS16_E_NS1_11comp_targetILNS1_3genE4ELNS1_11target_archE910ELNS1_3gpuE8ELNS1_3repE0EEENS1_30default_config_static_selectorELNS0_4arch9wavefront6targetE0EEEvT1_ ; -- Begin function _ZN7rocprim17ROCPRIM_400000_NS6detail17trampoline_kernelINS0_14default_configENS1_25partition_config_selectorILNS1_17partition_subalgoE6ExNS0_10empty_typeEbEEZZNS1_14partition_implILS5_6ELb0ES3_mN6thrust23THRUST_200600_302600_NS6detail15normal_iteratorINSA_10device_ptrIxEEEEPS6_SG_NS0_5tupleIJNSA_16discard_iteratorINSA_11use_defaultEEES6_EEENSH_IJSG_SG_EEES6_PlJNSB_9not_fun_tI7is_trueIxEEEEEE10hipError_tPvRmT3_T4_T5_T6_T7_T9_mT8_P12ihipStream_tbDpT10_ENKUlT_T0_E_clISt17integral_constantIbLb0EES1B_EEDaS16_S17_EUlS16_E_NS1_11comp_targetILNS1_3genE4ELNS1_11target_archE910ELNS1_3gpuE8ELNS1_3repE0EEENS1_30default_config_static_selectorELNS0_4arch9wavefront6targetE0EEEvT1_
	.globl	_ZN7rocprim17ROCPRIM_400000_NS6detail17trampoline_kernelINS0_14default_configENS1_25partition_config_selectorILNS1_17partition_subalgoE6ExNS0_10empty_typeEbEEZZNS1_14partition_implILS5_6ELb0ES3_mN6thrust23THRUST_200600_302600_NS6detail15normal_iteratorINSA_10device_ptrIxEEEEPS6_SG_NS0_5tupleIJNSA_16discard_iteratorINSA_11use_defaultEEES6_EEENSH_IJSG_SG_EEES6_PlJNSB_9not_fun_tI7is_trueIxEEEEEE10hipError_tPvRmT3_T4_T5_T6_T7_T9_mT8_P12ihipStream_tbDpT10_ENKUlT_T0_E_clISt17integral_constantIbLb0EES1B_EEDaS16_S17_EUlS16_E_NS1_11comp_targetILNS1_3genE4ELNS1_11target_archE910ELNS1_3gpuE8ELNS1_3repE0EEENS1_30default_config_static_selectorELNS0_4arch9wavefront6targetE0EEEvT1_
	.p2align	8
	.type	_ZN7rocprim17ROCPRIM_400000_NS6detail17trampoline_kernelINS0_14default_configENS1_25partition_config_selectorILNS1_17partition_subalgoE6ExNS0_10empty_typeEbEEZZNS1_14partition_implILS5_6ELb0ES3_mN6thrust23THRUST_200600_302600_NS6detail15normal_iteratorINSA_10device_ptrIxEEEEPS6_SG_NS0_5tupleIJNSA_16discard_iteratorINSA_11use_defaultEEES6_EEENSH_IJSG_SG_EEES6_PlJNSB_9not_fun_tI7is_trueIxEEEEEE10hipError_tPvRmT3_T4_T5_T6_T7_T9_mT8_P12ihipStream_tbDpT10_ENKUlT_T0_E_clISt17integral_constantIbLb0EES1B_EEDaS16_S17_EUlS16_E_NS1_11comp_targetILNS1_3genE4ELNS1_11target_archE910ELNS1_3gpuE8ELNS1_3repE0EEENS1_30default_config_static_selectorELNS0_4arch9wavefront6targetE0EEEvT1_,@function
_ZN7rocprim17ROCPRIM_400000_NS6detail17trampoline_kernelINS0_14default_configENS1_25partition_config_selectorILNS1_17partition_subalgoE6ExNS0_10empty_typeEbEEZZNS1_14partition_implILS5_6ELb0ES3_mN6thrust23THRUST_200600_302600_NS6detail15normal_iteratorINSA_10device_ptrIxEEEEPS6_SG_NS0_5tupleIJNSA_16discard_iteratorINSA_11use_defaultEEES6_EEENSH_IJSG_SG_EEES6_PlJNSB_9not_fun_tI7is_trueIxEEEEEE10hipError_tPvRmT3_T4_T5_T6_T7_T9_mT8_P12ihipStream_tbDpT10_ENKUlT_T0_E_clISt17integral_constantIbLb0EES1B_EEDaS16_S17_EUlS16_E_NS1_11comp_targetILNS1_3genE4ELNS1_11target_archE910ELNS1_3gpuE8ELNS1_3repE0EEENS1_30default_config_static_selectorELNS0_4arch9wavefront6targetE0EEEvT1_: ; @_ZN7rocprim17ROCPRIM_400000_NS6detail17trampoline_kernelINS0_14default_configENS1_25partition_config_selectorILNS1_17partition_subalgoE6ExNS0_10empty_typeEbEEZZNS1_14partition_implILS5_6ELb0ES3_mN6thrust23THRUST_200600_302600_NS6detail15normal_iteratorINSA_10device_ptrIxEEEEPS6_SG_NS0_5tupleIJNSA_16discard_iteratorINSA_11use_defaultEEES6_EEENSH_IJSG_SG_EEES6_PlJNSB_9not_fun_tI7is_trueIxEEEEEE10hipError_tPvRmT3_T4_T5_T6_T7_T9_mT8_P12ihipStream_tbDpT10_ENKUlT_T0_E_clISt17integral_constantIbLb0EES1B_EEDaS16_S17_EUlS16_E_NS1_11comp_targetILNS1_3genE4ELNS1_11target_archE910ELNS1_3gpuE8ELNS1_3repE0EEENS1_30default_config_static_selectorELNS0_4arch9wavefront6targetE0EEEvT1_
; %bb.0:
	.section	.rodata,"a",@progbits
	.p2align	6, 0x0
	.amdhsa_kernel _ZN7rocprim17ROCPRIM_400000_NS6detail17trampoline_kernelINS0_14default_configENS1_25partition_config_selectorILNS1_17partition_subalgoE6ExNS0_10empty_typeEbEEZZNS1_14partition_implILS5_6ELb0ES3_mN6thrust23THRUST_200600_302600_NS6detail15normal_iteratorINSA_10device_ptrIxEEEEPS6_SG_NS0_5tupleIJNSA_16discard_iteratorINSA_11use_defaultEEES6_EEENSH_IJSG_SG_EEES6_PlJNSB_9not_fun_tI7is_trueIxEEEEEE10hipError_tPvRmT3_T4_T5_T6_T7_T9_mT8_P12ihipStream_tbDpT10_ENKUlT_T0_E_clISt17integral_constantIbLb0EES1B_EEDaS16_S17_EUlS16_E_NS1_11comp_targetILNS1_3genE4ELNS1_11target_archE910ELNS1_3gpuE8ELNS1_3repE0EEENS1_30default_config_static_selectorELNS0_4arch9wavefront6targetE0EEEvT1_
		.amdhsa_group_segment_fixed_size 0
		.amdhsa_private_segment_fixed_size 0
		.amdhsa_kernarg_size 120
		.amdhsa_user_sgpr_count 2
		.amdhsa_user_sgpr_dispatch_ptr 0
		.amdhsa_user_sgpr_queue_ptr 0
		.amdhsa_user_sgpr_kernarg_segment_ptr 1
		.amdhsa_user_sgpr_dispatch_id 0
		.amdhsa_user_sgpr_private_segment_size 0
		.amdhsa_wavefront_size32 1
		.amdhsa_uses_dynamic_stack 0
		.amdhsa_enable_private_segment 0
		.amdhsa_system_sgpr_workgroup_id_x 1
		.amdhsa_system_sgpr_workgroup_id_y 0
		.amdhsa_system_sgpr_workgroup_id_z 0
		.amdhsa_system_sgpr_workgroup_info 0
		.amdhsa_system_vgpr_workitem_id 0
		.amdhsa_next_free_vgpr 1
		.amdhsa_next_free_sgpr 1
		.amdhsa_reserve_vcc 0
		.amdhsa_float_round_mode_32 0
		.amdhsa_float_round_mode_16_64 0
		.amdhsa_float_denorm_mode_32 3
		.amdhsa_float_denorm_mode_16_64 3
		.amdhsa_fp16_overflow 0
		.amdhsa_workgroup_processor_mode 1
		.amdhsa_memory_ordered 1
		.amdhsa_forward_progress 1
		.amdhsa_inst_pref_size 0
		.amdhsa_round_robin_scheduling 0
		.amdhsa_exception_fp_ieee_invalid_op 0
		.amdhsa_exception_fp_denorm_src 0
		.amdhsa_exception_fp_ieee_div_zero 0
		.amdhsa_exception_fp_ieee_overflow 0
		.amdhsa_exception_fp_ieee_underflow 0
		.amdhsa_exception_fp_ieee_inexact 0
		.amdhsa_exception_int_div_zero 0
	.end_amdhsa_kernel
	.section	.text._ZN7rocprim17ROCPRIM_400000_NS6detail17trampoline_kernelINS0_14default_configENS1_25partition_config_selectorILNS1_17partition_subalgoE6ExNS0_10empty_typeEbEEZZNS1_14partition_implILS5_6ELb0ES3_mN6thrust23THRUST_200600_302600_NS6detail15normal_iteratorINSA_10device_ptrIxEEEEPS6_SG_NS0_5tupleIJNSA_16discard_iteratorINSA_11use_defaultEEES6_EEENSH_IJSG_SG_EEES6_PlJNSB_9not_fun_tI7is_trueIxEEEEEE10hipError_tPvRmT3_T4_T5_T6_T7_T9_mT8_P12ihipStream_tbDpT10_ENKUlT_T0_E_clISt17integral_constantIbLb0EES1B_EEDaS16_S17_EUlS16_E_NS1_11comp_targetILNS1_3genE4ELNS1_11target_archE910ELNS1_3gpuE8ELNS1_3repE0EEENS1_30default_config_static_selectorELNS0_4arch9wavefront6targetE0EEEvT1_,"axG",@progbits,_ZN7rocprim17ROCPRIM_400000_NS6detail17trampoline_kernelINS0_14default_configENS1_25partition_config_selectorILNS1_17partition_subalgoE6ExNS0_10empty_typeEbEEZZNS1_14partition_implILS5_6ELb0ES3_mN6thrust23THRUST_200600_302600_NS6detail15normal_iteratorINSA_10device_ptrIxEEEEPS6_SG_NS0_5tupleIJNSA_16discard_iteratorINSA_11use_defaultEEES6_EEENSH_IJSG_SG_EEES6_PlJNSB_9not_fun_tI7is_trueIxEEEEEE10hipError_tPvRmT3_T4_T5_T6_T7_T9_mT8_P12ihipStream_tbDpT10_ENKUlT_T0_E_clISt17integral_constantIbLb0EES1B_EEDaS16_S17_EUlS16_E_NS1_11comp_targetILNS1_3genE4ELNS1_11target_archE910ELNS1_3gpuE8ELNS1_3repE0EEENS1_30default_config_static_selectorELNS0_4arch9wavefront6targetE0EEEvT1_,comdat
.Lfunc_end2239:
	.size	_ZN7rocprim17ROCPRIM_400000_NS6detail17trampoline_kernelINS0_14default_configENS1_25partition_config_selectorILNS1_17partition_subalgoE6ExNS0_10empty_typeEbEEZZNS1_14partition_implILS5_6ELb0ES3_mN6thrust23THRUST_200600_302600_NS6detail15normal_iteratorINSA_10device_ptrIxEEEEPS6_SG_NS0_5tupleIJNSA_16discard_iteratorINSA_11use_defaultEEES6_EEENSH_IJSG_SG_EEES6_PlJNSB_9not_fun_tI7is_trueIxEEEEEE10hipError_tPvRmT3_T4_T5_T6_T7_T9_mT8_P12ihipStream_tbDpT10_ENKUlT_T0_E_clISt17integral_constantIbLb0EES1B_EEDaS16_S17_EUlS16_E_NS1_11comp_targetILNS1_3genE4ELNS1_11target_archE910ELNS1_3gpuE8ELNS1_3repE0EEENS1_30default_config_static_selectorELNS0_4arch9wavefront6targetE0EEEvT1_, .Lfunc_end2239-_ZN7rocprim17ROCPRIM_400000_NS6detail17trampoline_kernelINS0_14default_configENS1_25partition_config_selectorILNS1_17partition_subalgoE6ExNS0_10empty_typeEbEEZZNS1_14partition_implILS5_6ELb0ES3_mN6thrust23THRUST_200600_302600_NS6detail15normal_iteratorINSA_10device_ptrIxEEEEPS6_SG_NS0_5tupleIJNSA_16discard_iteratorINSA_11use_defaultEEES6_EEENSH_IJSG_SG_EEES6_PlJNSB_9not_fun_tI7is_trueIxEEEEEE10hipError_tPvRmT3_T4_T5_T6_T7_T9_mT8_P12ihipStream_tbDpT10_ENKUlT_T0_E_clISt17integral_constantIbLb0EES1B_EEDaS16_S17_EUlS16_E_NS1_11comp_targetILNS1_3genE4ELNS1_11target_archE910ELNS1_3gpuE8ELNS1_3repE0EEENS1_30default_config_static_selectorELNS0_4arch9wavefront6targetE0EEEvT1_
                                        ; -- End function
	.set _ZN7rocprim17ROCPRIM_400000_NS6detail17trampoline_kernelINS0_14default_configENS1_25partition_config_selectorILNS1_17partition_subalgoE6ExNS0_10empty_typeEbEEZZNS1_14partition_implILS5_6ELb0ES3_mN6thrust23THRUST_200600_302600_NS6detail15normal_iteratorINSA_10device_ptrIxEEEEPS6_SG_NS0_5tupleIJNSA_16discard_iteratorINSA_11use_defaultEEES6_EEENSH_IJSG_SG_EEES6_PlJNSB_9not_fun_tI7is_trueIxEEEEEE10hipError_tPvRmT3_T4_T5_T6_T7_T9_mT8_P12ihipStream_tbDpT10_ENKUlT_T0_E_clISt17integral_constantIbLb0EES1B_EEDaS16_S17_EUlS16_E_NS1_11comp_targetILNS1_3genE4ELNS1_11target_archE910ELNS1_3gpuE8ELNS1_3repE0EEENS1_30default_config_static_selectorELNS0_4arch9wavefront6targetE0EEEvT1_.num_vgpr, 0
	.set _ZN7rocprim17ROCPRIM_400000_NS6detail17trampoline_kernelINS0_14default_configENS1_25partition_config_selectorILNS1_17partition_subalgoE6ExNS0_10empty_typeEbEEZZNS1_14partition_implILS5_6ELb0ES3_mN6thrust23THRUST_200600_302600_NS6detail15normal_iteratorINSA_10device_ptrIxEEEEPS6_SG_NS0_5tupleIJNSA_16discard_iteratorINSA_11use_defaultEEES6_EEENSH_IJSG_SG_EEES6_PlJNSB_9not_fun_tI7is_trueIxEEEEEE10hipError_tPvRmT3_T4_T5_T6_T7_T9_mT8_P12ihipStream_tbDpT10_ENKUlT_T0_E_clISt17integral_constantIbLb0EES1B_EEDaS16_S17_EUlS16_E_NS1_11comp_targetILNS1_3genE4ELNS1_11target_archE910ELNS1_3gpuE8ELNS1_3repE0EEENS1_30default_config_static_selectorELNS0_4arch9wavefront6targetE0EEEvT1_.num_agpr, 0
	.set _ZN7rocprim17ROCPRIM_400000_NS6detail17trampoline_kernelINS0_14default_configENS1_25partition_config_selectorILNS1_17partition_subalgoE6ExNS0_10empty_typeEbEEZZNS1_14partition_implILS5_6ELb0ES3_mN6thrust23THRUST_200600_302600_NS6detail15normal_iteratorINSA_10device_ptrIxEEEEPS6_SG_NS0_5tupleIJNSA_16discard_iteratorINSA_11use_defaultEEES6_EEENSH_IJSG_SG_EEES6_PlJNSB_9not_fun_tI7is_trueIxEEEEEE10hipError_tPvRmT3_T4_T5_T6_T7_T9_mT8_P12ihipStream_tbDpT10_ENKUlT_T0_E_clISt17integral_constantIbLb0EES1B_EEDaS16_S17_EUlS16_E_NS1_11comp_targetILNS1_3genE4ELNS1_11target_archE910ELNS1_3gpuE8ELNS1_3repE0EEENS1_30default_config_static_selectorELNS0_4arch9wavefront6targetE0EEEvT1_.numbered_sgpr, 0
	.set _ZN7rocprim17ROCPRIM_400000_NS6detail17trampoline_kernelINS0_14default_configENS1_25partition_config_selectorILNS1_17partition_subalgoE6ExNS0_10empty_typeEbEEZZNS1_14partition_implILS5_6ELb0ES3_mN6thrust23THRUST_200600_302600_NS6detail15normal_iteratorINSA_10device_ptrIxEEEEPS6_SG_NS0_5tupleIJNSA_16discard_iteratorINSA_11use_defaultEEES6_EEENSH_IJSG_SG_EEES6_PlJNSB_9not_fun_tI7is_trueIxEEEEEE10hipError_tPvRmT3_T4_T5_T6_T7_T9_mT8_P12ihipStream_tbDpT10_ENKUlT_T0_E_clISt17integral_constantIbLb0EES1B_EEDaS16_S17_EUlS16_E_NS1_11comp_targetILNS1_3genE4ELNS1_11target_archE910ELNS1_3gpuE8ELNS1_3repE0EEENS1_30default_config_static_selectorELNS0_4arch9wavefront6targetE0EEEvT1_.num_named_barrier, 0
	.set _ZN7rocprim17ROCPRIM_400000_NS6detail17trampoline_kernelINS0_14default_configENS1_25partition_config_selectorILNS1_17partition_subalgoE6ExNS0_10empty_typeEbEEZZNS1_14partition_implILS5_6ELb0ES3_mN6thrust23THRUST_200600_302600_NS6detail15normal_iteratorINSA_10device_ptrIxEEEEPS6_SG_NS0_5tupleIJNSA_16discard_iteratorINSA_11use_defaultEEES6_EEENSH_IJSG_SG_EEES6_PlJNSB_9not_fun_tI7is_trueIxEEEEEE10hipError_tPvRmT3_T4_T5_T6_T7_T9_mT8_P12ihipStream_tbDpT10_ENKUlT_T0_E_clISt17integral_constantIbLb0EES1B_EEDaS16_S17_EUlS16_E_NS1_11comp_targetILNS1_3genE4ELNS1_11target_archE910ELNS1_3gpuE8ELNS1_3repE0EEENS1_30default_config_static_selectorELNS0_4arch9wavefront6targetE0EEEvT1_.private_seg_size, 0
	.set _ZN7rocprim17ROCPRIM_400000_NS6detail17trampoline_kernelINS0_14default_configENS1_25partition_config_selectorILNS1_17partition_subalgoE6ExNS0_10empty_typeEbEEZZNS1_14partition_implILS5_6ELb0ES3_mN6thrust23THRUST_200600_302600_NS6detail15normal_iteratorINSA_10device_ptrIxEEEEPS6_SG_NS0_5tupleIJNSA_16discard_iteratorINSA_11use_defaultEEES6_EEENSH_IJSG_SG_EEES6_PlJNSB_9not_fun_tI7is_trueIxEEEEEE10hipError_tPvRmT3_T4_T5_T6_T7_T9_mT8_P12ihipStream_tbDpT10_ENKUlT_T0_E_clISt17integral_constantIbLb0EES1B_EEDaS16_S17_EUlS16_E_NS1_11comp_targetILNS1_3genE4ELNS1_11target_archE910ELNS1_3gpuE8ELNS1_3repE0EEENS1_30default_config_static_selectorELNS0_4arch9wavefront6targetE0EEEvT1_.uses_vcc, 0
	.set _ZN7rocprim17ROCPRIM_400000_NS6detail17trampoline_kernelINS0_14default_configENS1_25partition_config_selectorILNS1_17partition_subalgoE6ExNS0_10empty_typeEbEEZZNS1_14partition_implILS5_6ELb0ES3_mN6thrust23THRUST_200600_302600_NS6detail15normal_iteratorINSA_10device_ptrIxEEEEPS6_SG_NS0_5tupleIJNSA_16discard_iteratorINSA_11use_defaultEEES6_EEENSH_IJSG_SG_EEES6_PlJNSB_9not_fun_tI7is_trueIxEEEEEE10hipError_tPvRmT3_T4_T5_T6_T7_T9_mT8_P12ihipStream_tbDpT10_ENKUlT_T0_E_clISt17integral_constantIbLb0EES1B_EEDaS16_S17_EUlS16_E_NS1_11comp_targetILNS1_3genE4ELNS1_11target_archE910ELNS1_3gpuE8ELNS1_3repE0EEENS1_30default_config_static_selectorELNS0_4arch9wavefront6targetE0EEEvT1_.uses_flat_scratch, 0
	.set _ZN7rocprim17ROCPRIM_400000_NS6detail17trampoline_kernelINS0_14default_configENS1_25partition_config_selectorILNS1_17partition_subalgoE6ExNS0_10empty_typeEbEEZZNS1_14partition_implILS5_6ELb0ES3_mN6thrust23THRUST_200600_302600_NS6detail15normal_iteratorINSA_10device_ptrIxEEEEPS6_SG_NS0_5tupleIJNSA_16discard_iteratorINSA_11use_defaultEEES6_EEENSH_IJSG_SG_EEES6_PlJNSB_9not_fun_tI7is_trueIxEEEEEE10hipError_tPvRmT3_T4_T5_T6_T7_T9_mT8_P12ihipStream_tbDpT10_ENKUlT_T0_E_clISt17integral_constantIbLb0EES1B_EEDaS16_S17_EUlS16_E_NS1_11comp_targetILNS1_3genE4ELNS1_11target_archE910ELNS1_3gpuE8ELNS1_3repE0EEENS1_30default_config_static_selectorELNS0_4arch9wavefront6targetE0EEEvT1_.has_dyn_sized_stack, 0
	.set _ZN7rocprim17ROCPRIM_400000_NS6detail17trampoline_kernelINS0_14default_configENS1_25partition_config_selectorILNS1_17partition_subalgoE6ExNS0_10empty_typeEbEEZZNS1_14partition_implILS5_6ELb0ES3_mN6thrust23THRUST_200600_302600_NS6detail15normal_iteratorINSA_10device_ptrIxEEEEPS6_SG_NS0_5tupleIJNSA_16discard_iteratorINSA_11use_defaultEEES6_EEENSH_IJSG_SG_EEES6_PlJNSB_9not_fun_tI7is_trueIxEEEEEE10hipError_tPvRmT3_T4_T5_T6_T7_T9_mT8_P12ihipStream_tbDpT10_ENKUlT_T0_E_clISt17integral_constantIbLb0EES1B_EEDaS16_S17_EUlS16_E_NS1_11comp_targetILNS1_3genE4ELNS1_11target_archE910ELNS1_3gpuE8ELNS1_3repE0EEENS1_30default_config_static_selectorELNS0_4arch9wavefront6targetE0EEEvT1_.has_recursion, 0
	.set _ZN7rocprim17ROCPRIM_400000_NS6detail17trampoline_kernelINS0_14default_configENS1_25partition_config_selectorILNS1_17partition_subalgoE6ExNS0_10empty_typeEbEEZZNS1_14partition_implILS5_6ELb0ES3_mN6thrust23THRUST_200600_302600_NS6detail15normal_iteratorINSA_10device_ptrIxEEEEPS6_SG_NS0_5tupleIJNSA_16discard_iteratorINSA_11use_defaultEEES6_EEENSH_IJSG_SG_EEES6_PlJNSB_9not_fun_tI7is_trueIxEEEEEE10hipError_tPvRmT3_T4_T5_T6_T7_T9_mT8_P12ihipStream_tbDpT10_ENKUlT_T0_E_clISt17integral_constantIbLb0EES1B_EEDaS16_S17_EUlS16_E_NS1_11comp_targetILNS1_3genE4ELNS1_11target_archE910ELNS1_3gpuE8ELNS1_3repE0EEENS1_30default_config_static_selectorELNS0_4arch9wavefront6targetE0EEEvT1_.has_indirect_call, 0
	.section	.AMDGPU.csdata,"",@progbits
; Kernel info:
; codeLenInByte = 0
; TotalNumSgprs: 0
; NumVgprs: 0
; ScratchSize: 0
; MemoryBound: 0
; FloatMode: 240
; IeeeMode: 1
; LDSByteSize: 0 bytes/workgroup (compile time only)
; SGPRBlocks: 0
; VGPRBlocks: 0
; NumSGPRsForWavesPerEU: 1
; NumVGPRsForWavesPerEU: 1
; Occupancy: 16
; WaveLimiterHint : 0
; COMPUTE_PGM_RSRC2:SCRATCH_EN: 0
; COMPUTE_PGM_RSRC2:USER_SGPR: 2
; COMPUTE_PGM_RSRC2:TRAP_HANDLER: 0
; COMPUTE_PGM_RSRC2:TGID_X_EN: 1
; COMPUTE_PGM_RSRC2:TGID_Y_EN: 0
; COMPUTE_PGM_RSRC2:TGID_Z_EN: 0
; COMPUTE_PGM_RSRC2:TIDIG_COMP_CNT: 0
	.section	.text._ZN7rocprim17ROCPRIM_400000_NS6detail17trampoline_kernelINS0_14default_configENS1_25partition_config_selectorILNS1_17partition_subalgoE6ExNS0_10empty_typeEbEEZZNS1_14partition_implILS5_6ELb0ES3_mN6thrust23THRUST_200600_302600_NS6detail15normal_iteratorINSA_10device_ptrIxEEEEPS6_SG_NS0_5tupleIJNSA_16discard_iteratorINSA_11use_defaultEEES6_EEENSH_IJSG_SG_EEES6_PlJNSB_9not_fun_tI7is_trueIxEEEEEE10hipError_tPvRmT3_T4_T5_T6_T7_T9_mT8_P12ihipStream_tbDpT10_ENKUlT_T0_E_clISt17integral_constantIbLb0EES1B_EEDaS16_S17_EUlS16_E_NS1_11comp_targetILNS1_3genE3ELNS1_11target_archE908ELNS1_3gpuE7ELNS1_3repE0EEENS1_30default_config_static_selectorELNS0_4arch9wavefront6targetE0EEEvT1_,"axG",@progbits,_ZN7rocprim17ROCPRIM_400000_NS6detail17trampoline_kernelINS0_14default_configENS1_25partition_config_selectorILNS1_17partition_subalgoE6ExNS0_10empty_typeEbEEZZNS1_14partition_implILS5_6ELb0ES3_mN6thrust23THRUST_200600_302600_NS6detail15normal_iteratorINSA_10device_ptrIxEEEEPS6_SG_NS0_5tupleIJNSA_16discard_iteratorINSA_11use_defaultEEES6_EEENSH_IJSG_SG_EEES6_PlJNSB_9not_fun_tI7is_trueIxEEEEEE10hipError_tPvRmT3_T4_T5_T6_T7_T9_mT8_P12ihipStream_tbDpT10_ENKUlT_T0_E_clISt17integral_constantIbLb0EES1B_EEDaS16_S17_EUlS16_E_NS1_11comp_targetILNS1_3genE3ELNS1_11target_archE908ELNS1_3gpuE7ELNS1_3repE0EEENS1_30default_config_static_selectorELNS0_4arch9wavefront6targetE0EEEvT1_,comdat
	.protected	_ZN7rocprim17ROCPRIM_400000_NS6detail17trampoline_kernelINS0_14default_configENS1_25partition_config_selectorILNS1_17partition_subalgoE6ExNS0_10empty_typeEbEEZZNS1_14partition_implILS5_6ELb0ES3_mN6thrust23THRUST_200600_302600_NS6detail15normal_iteratorINSA_10device_ptrIxEEEEPS6_SG_NS0_5tupleIJNSA_16discard_iteratorINSA_11use_defaultEEES6_EEENSH_IJSG_SG_EEES6_PlJNSB_9not_fun_tI7is_trueIxEEEEEE10hipError_tPvRmT3_T4_T5_T6_T7_T9_mT8_P12ihipStream_tbDpT10_ENKUlT_T0_E_clISt17integral_constantIbLb0EES1B_EEDaS16_S17_EUlS16_E_NS1_11comp_targetILNS1_3genE3ELNS1_11target_archE908ELNS1_3gpuE7ELNS1_3repE0EEENS1_30default_config_static_selectorELNS0_4arch9wavefront6targetE0EEEvT1_ ; -- Begin function _ZN7rocprim17ROCPRIM_400000_NS6detail17trampoline_kernelINS0_14default_configENS1_25partition_config_selectorILNS1_17partition_subalgoE6ExNS0_10empty_typeEbEEZZNS1_14partition_implILS5_6ELb0ES3_mN6thrust23THRUST_200600_302600_NS6detail15normal_iteratorINSA_10device_ptrIxEEEEPS6_SG_NS0_5tupleIJNSA_16discard_iteratorINSA_11use_defaultEEES6_EEENSH_IJSG_SG_EEES6_PlJNSB_9not_fun_tI7is_trueIxEEEEEE10hipError_tPvRmT3_T4_T5_T6_T7_T9_mT8_P12ihipStream_tbDpT10_ENKUlT_T0_E_clISt17integral_constantIbLb0EES1B_EEDaS16_S17_EUlS16_E_NS1_11comp_targetILNS1_3genE3ELNS1_11target_archE908ELNS1_3gpuE7ELNS1_3repE0EEENS1_30default_config_static_selectorELNS0_4arch9wavefront6targetE0EEEvT1_
	.globl	_ZN7rocprim17ROCPRIM_400000_NS6detail17trampoline_kernelINS0_14default_configENS1_25partition_config_selectorILNS1_17partition_subalgoE6ExNS0_10empty_typeEbEEZZNS1_14partition_implILS5_6ELb0ES3_mN6thrust23THRUST_200600_302600_NS6detail15normal_iteratorINSA_10device_ptrIxEEEEPS6_SG_NS0_5tupleIJNSA_16discard_iteratorINSA_11use_defaultEEES6_EEENSH_IJSG_SG_EEES6_PlJNSB_9not_fun_tI7is_trueIxEEEEEE10hipError_tPvRmT3_T4_T5_T6_T7_T9_mT8_P12ihipStream_tbDpT10_ENKUlT_T0_E_clISt17integral_constantIbLb0EES1B_EEDaS16_S17_EUlS16_E_NS1_11comp_targetILNS1_3genE3ELNS1_11target_archE908ELNS1_3gpuE7ELNS1_3repE0EEENS1_30default_config_static_selectorELNS0_4arch9wavefront6targetE0EEEvT1_
	.p2align	8
	.type	_ZN7rocprim17ROCPRIM_400000_NS6detail17trampoline_kernelINS0_14default_configENS1_25partition_config_selectorILNS1_17partition_subalgoE6ExNS0_10empty_typeEbEEZZNS1_14partition_implILS5_6ELb0ES3_mN6thrust23THRUST_200600_302600_NS6detail15normal_iteratorINSA_10device_ptrIxEEEEPS6_SG_NS0_5tupleIJNSA_16discard_iteratorINSA_11use_defaultEEES6_EEENSH_IJSG_SG_EEES6_PlJNSB_9not_fun_tI7is_trueIxEEEEEE10hipError_tPvRmT3_T4_T5_T6_T7_T9_mT8_P12ihipStream_tbDpT10_ENKUlT_T0_E_clISt17integral_constantIbLb0EES1B_EEDaS16_S17_EUlS16_E_NS1_11comp_targetILNS1_3genE3ELNS1_11target_archE908ELNS1_3gpuE7ELNS1_3repE0EEENS1_30default_config_static_selectorELNS0_4arch9wavefront6targetE0EEEvT1_,@function
_ZN7rocprim17ROCPRIM_400000_NS6detail17trampoline_kernelINS0_14default_configENS1_25partition_config_selectorILNS1_17partition_subalgoE6ExNS0_10empty_typeEbEEZZNS1_14partition_implILS5_6ELb0ES3_mN6thrust23THRUST_200600_302600_NS6detail15normal_iteratorINSA_10device_ptrIxEEEEPS6_SG_NS0_5tupleIJNSA_16discard_iteratorINSA_11use_defaultEEES6_EEENSH_IJSG_SG_EEES6_PlJNSB_9not_fun_tI7is_trueIxEEEEEE10hipError_tPvRmT3_T4_T5_T6_T7_T9_mT8_P12ihipStream_tbDpT10_ENKUlT_T0_E_clISt17integral_constantIbLb0EES1B_EEDaS16_S17_EUlS16_E_NS1_11comp_targetILNS1_3genE3ELNS1_11target_archE908ELNS1_3gpuE7ELNS1_3repE0EEENS1_30default_config_static_selectorELNS0_4arch9wavefront6targetE0EEEvT1_: ; @_ZN7rocprim17ROCPRIM_400000_NS6detail17trampoline_kernelINS0_14default_configENS1_25partition_config_selectorILNS1_17partition_subalgoE6ExNS0_10empty_typeEbEEZZNS1_14partition_implILS5_6ELb0ES3_mN6thrust23THRUST_200600_302600_NS6detail15normal_iteratorINSA_10device_ptrIxEEEEPS6_SG_NS0_5tupleIJNSA_16discard_iteratorINSA_11use_defaultEEES6_EEENSH_IJSG_SG_EEES6_PlJNSB_9not_fun_tI7is_trueIxEEEEEE10hipError_tPvRmT3_T4_T5_T6_T7_T9_mT8_P12ihipStream_tbDpT10_ENKUlT_T0_E_clISt17integral_constantIbLb0EES1B_EEDaS16_S17_EUlS16_E_NS1_11comp_targetILNS1_3genE3ELNS1_11target_archE908ELNS1_3gpuE7ELNS1_3repE0EEENS1_30default_config_static_selectorELNS0_4arch9wavefront6targetE0EEEvT1_
; %bb.0:
	.section	.rodata,"a",@progbits
	.p2align	6, 0x0
	.amdhsa_kernel _ZN7rocprim17ROCPRIM_400000_NS6detail17trampoline_kernelINS0_14default_configENS1_25partition_config_selectorILNS1_17partition_subalgoE6ExNS0_10empty_typeEbEEZZNS1_14partition_implILS5_6ELb0ES3_mN6thrust23THRUST_200600_302600_NS6detail15normal_iteratorINSA_10device_ptrIxEEEEPS6_SG_NS0_5tupleIJNSA_16discard_iteratorINSA_11use_defaultEEES6_EEENSH_IJSG_SG_EEES6_PlJNSB_9not_fun_tI7is_trueIxEEEEEE10hipError_tPvRmT3_T4_T5_T6_T7_T9_mT8_P12ihipStream_tbDpT10_ENKUlT_T0_E_clISt17integral_constantIbLb0EES1B_EEDaS16_S17_EUlS16_E_NS1_11comp_targetILNS1_3genE3ELNS1_11target_archE908ELNS1_3gpuE7ELNS1_3repE0EEENS1_30default_config_static_selectorELNS0_4arch9wavefront6targetE0EEEvT1_
		.amdhsa_group_segment_fixed_size 0
		.amdhsa_private_segment_fixed_size 0
		.amdhsa_kernarg_size 120
		.amdhsa_user_sgpr_count 2
		.amdhsa_user_sgpr_dispatch_ptr 0
		.amdhsa_user_sgpr_queue_ptr 0
		.amdhsa_user_sgpr_kernarg_segment_ptr 1
		.amdhsa_user_sgpr_dispatch_id 0
		.amdhsa_user_sgpr_private_segment_size 0
		.amdhsa_wavefront_size32 1
		.amdhsa_uses_dynamic_stack 0
		.amdhsa_enable_private_segment 0
		.amdhsa_system_sgpr_workgroup_id_x 1
		.amdhsa_system_sgpr_workgroup_id_y 0
		.amdhsa_system_sgpr_workgroup_id_z 0
		.amdhsa_system_sgpr_workgroup_info 0
		.amdhsa_system_vgpr_workitem_id 0
		.amdhsa_next_free_vgpr 1
		.amdhsa_next_free_sgpr 1
		.amdhsa_reserve_vcc 0
		.amdhsa_float_round_mode_32 0
		.amdhsa_float_round_mode_16_64 0
		.amdhsa_float_denorm_mode_32 3
		.amdhsa_float_denorm_mode_16_64 3
		.amdhsa_fp16_overflow 0
		.amdhsa_workgroup_processor_mode 1
		.amdhsa_memory_ordered 1
		.amdhsa_forward_progress 1
		.amdhsa_inst_pref_size 0
		.amdhsa_round_robin_scheduling 0
		.amdhsa_exception_fp_ieee_invalid_op 0
		.amdhsa_exception_fp_denorm_src 0
		.amdhsa_exception_fp_ieee_div_zero 0
		.amdhsa_exception_fp_ieee_overflow 0
		.amdhsa_exception_fp_ieee_underflow 0
		.amdhsa_exception_fp_ieee_inexact 0
		.amdhsa_exception_int_div_zero 0
	.end_amdhsa_kernel
	.section	.text._ZN7rocprim17ROCPRIM_400000_NS6detail17trampoline_kernelINS0_14default_configENS1_25partition_config_selectorILNS1_17partition_subalgoE6ExNS0_10empty_typeEbEEZZNS1_14partition_implILS5_6ELb0ES3_mN6thrust23THRUST_200600_302600_NS6detail15normal_iteratorINSA_10device_ptrIxEEEEPS6_SG_NS0_5tupleIJNSA_16discard_iteratorINSA_11use_defaultEEES6_EEENSH_IJSG_SG_EEES6_PlJNSB_9not_fun_tI7is_trueIxEEEEEE10hipError_tPvRmT3_T4_T5_T6_T7_T9_mT8_P12ihipStream_tbDpT10_ENKUlT_T0_E_clISt17integral_constantIbLb0EES1B_EEDaS16_S17_EUlS16_E_NS1_11comp_targetILNS1_3genE3ELNS1_11target_archE908ELNS1_3gpuE7ELNS1_3repE0EEENS1_30default_config_static_selectorELNS0_4arch9wavefront6targetE0EEEvT1_,"axG",@progbits,_ZN7rocprim17ROCPRIM_400000_NS6detail17trampoline_kernelINS0_14default_configENS1_25partition_config_selectorILNS1_17partition_subalgoE6ExNS0_10empty_typeEbEEZZNS1_14partition_implILS5_6ELb0ES3_mN6thrust23THRUST_200600_302600_NS6detail15normal_iteratorINSA_10device_ptrIxEEEEPS6_SG_NS0_5tupleIJNSA_16discard_iteratorINSA_11use_defaultEEES6_EEENSH_IJSG_SG_EEES6_PlJNSB_9not_fun_tI7is_trueIxEEEEEE10hipError_tPvRmT3_T4_T5_T6_T7_T9_mT8_P12ihipStream_tbDpT10_ENKUlT_T0_E_clISt17integral_constantIbLb0EES1B_EEDaS16_S17_EUlS16_E_NS1_11comp_targetILNS1_3genE3ELNS1_11target_archE908ELNS1_3gpuE7ELNS1_3repE0EEENS1_30default_config_static_selectorELNS0_4arch9wavefront6targetE0EEEvT1_,comdat
.Lfunc_end2240:
	.size	_ZN7rocprim17ROCPRIM_400000_NS6detail17trampoline_kernelINS0_14default_configENS1_25partition_config_selectorILNS1_17partition_subalgoE6ExNS0_10empty_typeEbEEZZNS1_14partition_implILS5_6ELb0ES3_mN6thrust23THRUST_200600_302600_NS6detail15normal_iteratorINSA_10device_ptrIxEEEEPS6_SG_NS0_5tupleIJNSA_16discard_iteratorINSA_11use_defaultEEES6_EEENSH_IJSG_SG_EEES6_PlJNSB_9not_fun_tI7is_trueIxEEEEEE10hipError_tPvRmT3_T4_T5_T6_T7_T9_mT8_P12ihipStream_tbDpT10_ENKUlT_T0_E_clISt17integral_constantIbLb0EES1B_EEDaS16_S17_EUlS16_E_NS1_11comp_targetILNS1_3genE3ELNS1_11target_archE908ELNS1_3gpuE7ELNS1_3repE0EEENS1_30default_config_static_selectorELNS0_4arch9wavefront6targetE0EEEvT1_, .Lfunc_end2240-_ZN7rocprim17ROCPRIM_400000_NS6detail17trampoline_kernelINS0_14default_configENS1_25partition_config_selectorILNS1_17partition_subalgoE6ExNS0_10empty_typeEbEEZZNS1_14partition_implILS5_6ELb0ES3_mN6thrust23THRUST_200600_302600_NS6detail15normal_iteratorINSA_10device_ptrIxEEEEPS6_SG_NS0_5tupleIJNSA_16discard_iteratorINSA_11use_defaultEEES6_EEENSH_IJSG_SG_EEES6_PlJNSB_9not_fun_tI7is_trueIxEEEEEE10hipError_tPvRmT3_T4_T5_T6_T7_T9_mT8_P12ihipStream_tbDpT10_ENKUlT_T0_E_clISt17integral_constantIbLb0EES1B_EEDaS16_S17_EUlS16_E_NS1_11comp_targetILNS1_3genE3ELNS1_11target_archE908ELNS1_3gpuE7ELNS1_3repE0EEENS1_30default_config_static_selectorELNS0_4arch9wavefront6targetE0EEEvT1_
                                        ; -- End function
	.set _ZN7rocprim17ROCPRIM_400000_NS6detail17trampoline_kernelINS0_14default_configENS1_25partition_config_selectorILNS1_17partition_subalgoE6ExNS0_10empty_typeEbEEZZNS1_14partition_implILS5_6ELb0ES3_mN6thrust23THRUST_200600_302600_NS6detail15normal_iteratorINSA_10device_ptrIxEEEEPS6_SG_NS0_5tupleIJNSA_16discard_iteratorINSA_11use_defaultEEES6_EEENSH_IJSG_SG_EEES6_PlJNSB_9not_fun_tI7is_trueIxEEEEEE10hipError_tPvRmT3_T4_T5_T6_T7_T9_mT8_P12ihipStream_tbDpT10_ENKUlT_T0_E_clISt17integral_constantIbLb0EES1B_EEDaS16_S17_EUlS16_E_NS1_11comp_targetILNS1_3genE3ELNS1_11target_archE908ELNS1_3gpuE7ELNS1_3repE0EEENS1_30default_config_static_selectorELNS0_4arch9wavefront6targetE0EEEvT1_.num_vgpr, 0
	.set _ZN7rocprim17ROCPRIM_400000_NS6detail17trampoline_kernelINS0_14default_configENS1_25partition_config_selectorILNS1_17partition_subalgoE6ExNS0_10empty_typeEbEEZZNS1_14partition_implILS5_6ELb0ES3_mN6thrust23THRUST_200600_302600_NS6detail15normal_iteratorINSA_10device_ptrIxEEEEPS6_SG_NS0_5tupleIJNSA_16discard_iteratorINSA_11use_defaultEEES6_EEENSH_IJSG_SG_EEES6_PlJNSB_9not_fun_tI7is_trueIxEEEEEE10hipError_tPvRmT3_T4_T5_T6_T7_T9_mT8_P12ihipStream_tbDpT10_ENKUlT_T0_E_clISt17integral_constantIbLb0EES1B_EEDaS16_S17_EUlS16_E_NS1_11comp_targetILNS1_3genE3ELNS1_11target_archE908ELNS1_3gpuE7ELNS1_3repE0EEENS1_30default_config_static_selectorELNS0_4arch9wavefront6targetE0EEEvT1_.num_agpr, 0
	.set _ZN7rocprim17ROCPRIM_400000_NS6detail17trampoline_kernelINS0_14default_configENS1_25partition_config_selectorILNS1_17partition_subalgoE6ExNS0_10empty_typeEbEEZZNS1_14partition_implILS5_6ELb0ES3_mN6thrust23THRUST_200600_302600_NS6detail15normal_iteratorINSA_10device_ptrIxEEEEPS6_SG_NS0_5tupleIJNSA_16discard_iteratorINSA_11use_defaultEEES6_EEENSH_IJSG_SG_EEES6_PlJNSB_9not_fun_tI7is_trueIxEEEEEE10hipError_tPvRmT3_T4_T5_T6_T7_T9_mT8_P12ihipStream_tbDpT10_ENKUlT_T0_E_clISt17integral_constantIbLb0EES1B_EEDaS16_S17_EUlS16_E_NS1_11comp_targetILNS1_3genE3ELNS1_11target_archE908ELNS1_3gpuE7ELNS1_3repE0EEENS1_30default_config_static_selectorELNS0_4arch9wavefront6targetE0EEEvT1_.numbered_sgpr, 0
	.set _ZN7rocprim17ROCPRIM_400000_NS6detail17trampoline_kernelINS0_14default_configENS1_25partition_config_selectorILNS1_17partition_subalgoE6ExNS0_10empty_typeEbEEZZNS1_14partition_implILS5_6ELb0ES3_mN6thrust23THRUST_200600_302600_NS6detail15normal_iteratorINSA_10device_ptrIxEEEEPS6_SG_NS0_5tupleIJNSA_16discard_iteratorINSA_11use_defaultEEES6_EEENSH_IJSG_SG_EEES6_PlJNSB_9not_fun_tI7is_trueIxEEEEEE10hipError_tPvRmT3_T4_T5_T6_T7_T9_mT8_P12ihipStream_tbDpT10_ENKUlT_T0_E_clISt17integral_constantIbLb0EES1B_EEDaS16_S17_EUlS16_E_NS1_11comp_targetILNS1_3genE3ELNS1_11target_archE908ELNS1_3gpuE7ELNS1_3repE0EEENS1_30default_config_static_selectorELNS0_4arch9wavefront6targetE0EEEvT1_.num_named_barrier, 0
	.set _ZN7rocprim17ROCPRIM_400000_NS6detail17trampoline_kernelINS0_14default_configENS1_25partition_config_selectorILNS1_17partition_subalgoE6ExNS0_10empty_typeEbEEZZNS1_14partition_implILS5_6ELb0ES3_mN6thrust23THRUST_200600_302600_NS6detail15normal_iteratorINSA_10device_ptrIxEEEEPS6_SG_NS0_5tupleIJNSA_16discard_iteratorINSA_11use_defaultEEES6_EEENSH_IJSG_SG_EEES6_PlJNSB_9not_fun_tI7is_trueIxEEEEEE10hipError_tPvRmT3_T4_T5_T6_T7_T9_mT8_P12ihipStream_tbDpT10_ENKUlT_T0_E_clISt17integral_constantIbLb0EES1B_EEDaS16_S17_EUlS16_E_NS1_11comp_targetILNS1_3genE3ELNS1_11target_archE908ELNS1_3gpuE7ELNS1_3repE0EEENS1_30default_config_static_selectorELNS0_4arch9wavefront6targetE0EEEvT1_.private_seg_size, 0
	.set _ZN7rocprim17ROCPRIM_400000_NS6detail17trampoline_kernelINS0_14default_configENS1_25partition_config_selectorILNS1_17partition_subalgoE6ExNS0_10empty_typeEbEEZZNS1_14partition_implILS5_6ELb0ES3_mN6thrust23THRUST_200600_302600_NS6detail15normal_iteratorINSA_10device_ptrIxEEEEPS6_SG_NS0_5tupleIJNSA_16discard_iteratorINSA_11use_defaultEEES6_EEENSH_IJSG_SG_EEES6_PlJNSB_9not_fun_tI7is_trueIxEEEEEE10hipError_tPvRmT3_T4_T5_T6_T7_T9_mT8_P12ihipStream_tbDpT10_ENKUlT_T0_E_clISt17integral_constantIbLb0EES1B_EEDaS16_S17_EUlS16_E_NS1_11comp_targetILNS1_3genE3ELNS1_11target_archE908ELNS1_3gpuE7ELNS1_3repE0EEENS1_30default_config_static_selectorELNS0_4arch9wavefront6targetE0EEEvT1_.uses_vcc, 0
	.set _ZN7rocprim17ROCPRIM_400000_NS6detail17trampoline_kernelINS0_14default_configENS1_25partition_config_selectorILNS1_17partition_subalgoE6ExNS0_10empty_typeEbEEZZNS1_14partition_implILS5_6ELb0ES3_mN6thrust23THRUST_200600_302600_NS6detail15normal_iteratorINSA_10device_ptrIxEEEEPS6_SG_NS0_5tupleIJNSA_16discard_iteratorINSA_11use_defaultEEES6_EEENSH_IJSG_SG_EEES6_PlJNSB_9not_fun_tI7is_trueIxEEEEEE10hipError_tPvRmT3_T4_T5_T6_T7_T9_mT8_P12ihipStream_tbDpT10_ENKUlT_T0_E_clISt17integral_constantIbLb0EES1B_EEDaS16_S17_EUlS16_E_NS1_11comp_targetILNS1_3genE3ELNS1_11target_archE908ELNS1_3gpuE7ELNS1_3repE0EEENS1_30default_config_static_selectorELNS0_4arch9wavefront6targetE0EEEvT1_.uses_flat_scratch, 0
	.set _ZN7rocprim17ROCPRIM_400000_NS6detail17trampoline_kernelINS0_14default_configENS1_25partition_config_selectorILNS1_17partition_subalgoE6ExNS0_10empty_typeEbEEZZNS1_14partition_implILS5_6ELb0ES3_mN6thrust23THRUST_200600_302600_NS6detail15normal_iteratorINSA_10device_ptrIxEEEEPS6_SG_NS0_5tupleIJNSA_16discard_iteratorINSA_11use_defaultEEES6_EEENSH_IJSG_SG_EEES6_PlJNSB_9not_fun_tI7is_trueIxEEEEEE10hipError_tPvRmT3_T4_T5_T6_T7_T9_mT8_P12ihipStream_tbDpT10_ENKUlT_T0_E_clISt17integral_constantIbLb0EES1B_EEDaS16_S17_EUlS16_E_NS1_11comp_targetILNS1_3genE3ELNS1_11target_archE908ELNS1_3gpuE7ELNS1_3repE0EEENS1_30default_config_static_selectorELNS0_4arch9wavefront6targetE0EEEvT1_.has_dyn_sized_stack, 0
	.set _ZN7rocprim17ROCPRIM_400000_NS6detail17trampoline_kernelINS0_14default_configENS1_25partition_config_selectorILNS1_17partition_subalgoE6ExNS0_10empty_typeEbEEZZNS1_14partition_implILS5_6ELb0ES3_mN6thrust23THRUST_200600_302600_NS6detail15normal_iteratorINSA_10device_ptrIxEEEEPS6_SG_NS0_5tupleIJNSA_16discard_iteratorINSA_11use_defaultEEES6_EEENSH_IJSG_SG_EEES6_PlJNSB_9not_fun_tI7is_trueIxEEEEEE10hipError_tPvRmT3_T4_T5_T6_T7_T9_mT8_P12ihipStream_tbDpT10_ENKUlT_T0_E_clISt17integral_constantIbLb0EES1B_EEDaS16_S17_EUlS16_E_NS1_11comp_targetILNS1_3genE3ELNS1_11target_archE908ELNS1_3gpuE7ELNS1_3repE0EEENS1_30default_config_static_selectorELNS0_4arch9wavefront6targetE0EEEvT1_.has_recursion, 0
	.set _ZN7rocprim17ROCPRIM_400000_NS6detail17trampoline_kernelINS0_14default_configENS1_25partition_config_selectorILNS1_17partition_subalgoE6ExNS0_10empty_typeEbEEZZNS1_14partition_implILS5_6ELb0ES3_mN6thrust23THRUST_200600_302600_NS6detail15normal_iteratorINSA_10device_ptrIxEEEEPS6_SG_NS0_5tupleIJNSA_16discard_iteratorINSA_11use_defaultEEES6_EEENSH_IJSG_SG_EEES6_PlJNSB_9not_fun_tI7is_trueIxEEEEEE10hipError_tPvRmT3_T4_T5_T6_T7_T9_mT8_P12ihipStream_tbDpT10_ENKUlT_T0_E_clISt17integral_constantIbLb0EES1B_EEDaS16_S17_EUlS16_E_NS1_11comp_targetILNS1_3genE3ELNS1_11target_archE908ELNS1_3gpuE7ELNS1_3repE0EEENS1_30default_config_static_selectorELNS0_4arch9wavefront6targetE0EEEvT1_.has_indirect_call, 0
	.section	.AMDGPU.csdata,"",@progbits
; Kernel info:
; codeLenInByte = 0
; TotalNumSgprs: 0
; NumVgprs: 0
; ScratchSize: 0
; MemoryBound: 0
; FloatMode: 240
; IeeeMode: 1
; LDSByteSize: 0 bytes/workgroup (compile time only)
; SGPRBlocks: 0
; VGPRBlocks: 0
; NumSGPRsForWavesPerEU: 1
; NumVGPRsForWavesPerEU: 1
; Occupancy: 16
; WaveLimiterHint : 0
; COMPUTE_PGM_RSRC2:SCRATCH_EN: 0
; COMPUTE_PGM_RSRC2:USER_SGPR: 2
; COMPUTE_PGM_RSRC2:TRAP_HANDLER: 0
; COMPUTE_PGM_RSRC2:TGID_X_EN: 1
; COMPUTE_PGM_RSRC2:TGID_Y_EN: 0
; COMPUTE_PGM_RSRC2:TGID_Z_EN: 0
; COMPUTE_PGM_RSRC2:TIDIG_COMP_CNT: 0
	.section	.text._ZN7rocprim17ROCPRIM_400000_NS6detail17trampoline_kernelINS0_14default_configENS1_25partition_config_selectorILNS1_17partition_subalgoE6ExNS0_10empty_typeEbEEZZNS1_14partition_implILS5_6ELb0ES3_mN6thrust23THRUST_200600_302600_NS6detail15normal_iteratorINSA_10device_ptrIxEEEEPS6_SG_NS0_5tupleIJNSA_16discard_iteratorINSA_11use_defaultEEES6_EEENSH_IJSG_SG_EEES6_PlJNSB_9not_fun_tI7is_trueIxEEEEEE10hipError_tPvRmT3_T4_T5_T6_T7_T9_mT8_P12ihipStream_tbDpT10_ENKUlT_T0_E_clISt17integral_constantIbLb0EES1B_EEDaS16_S17_EUlS16_E_NS1_11comp_targetILNS1_3genE2ELNS1_11target_archE906ELNS1_3gpuE6ELNS1_3repE0EEENS1_30default_config_static_selectorELNS0_4arch9wavefront6targetE0EEEvT1_,"axG",@progbits,_ZN7rocprim17ROCPRIM_400000_NS6detail17trampoline_kernelINS0_14default_configENS1_25partition_config_selectorILNS1_17partition_subalgoE6ExNS0_10empty_typeEbEEZZNS1_14partition_implILS5_6ELb0ES3_mN6thrust23THRUST_200600_302600_NS6detail15normal_iteratorINSA_10device_ptrIxEEEEPS6_SG_NS0_5tupleIJNSA_16discard_iteratorINSA_11use_defaultEEES6_EEENSH_IJSG_SG_EEES6_PlJNSB_9not_fun_tI7is_trueIxEEEEEE10hipError_tPvRmT3_T4_T5_T6_T7_T9_mT8_P12ihipStream_tbDpT10_ENKUlT_T0_E_clISt17integral_constantIbLb0EES1B_EEDaS16_S17_EUlS16_E_NS1_11comp_targetILNS1_3genE2ELNS1_11target_archE906ELNS1_3gpuE6ELNS1_3repE0EEENS1_30default_config_static_selectorELNS0_4arch9wavefront6targetE0EEEvT1_,comdat
	.protected	_ZN7rocprim17ROCPRIM_400000_NS6detail17trampoline_kernelINS0_14default_configENS1_25partition_config_selectorILNS1_17partition_subalgoE6ExNS0_10empty_typeEbEEZZNS1_14partition_implILS5_6ELb0ES3_mN6thrust23THRUST_200600_302600_NS6detail15normal_iteratorINSA_10device_ptrIxEEEEPS6_SG_NS0_5tupleIJNSA_16discard_iteratorINSA_11use_defaultEEES6_EEENSH_IJSG_SG_EEES6_PlJNSB_9not_fun_tI7is_trueIxEEEEEE10hipError_tPvRmT3_T4_T5_T6_T7_T9_mT8_P12ihipStream_tbDpT10_ENKUlT_T0_E_clISt17integral_constantIbLb0EES1B_EEDaS16_S17_EUlS16_E_NS1_11comp_targetILNS1_3genE2ELNS1_11target_archE906ELNS1_3gpuE6ELNS1_3repE0EEENS1_30default_config_static_selectorELNS0_4arch9wavefront6targetE0EEEvT1_ ; -- Begin function _ZN7rocprim17ROCPRIM_400000_NS6detail17trampoline_kernelINS0_14default_configENS1_25partition_config_selectorILNS1_17partition_subalgoE6ExNS0_10empty_typeEbEEZZNS1_14partition_implILS5_6ELb0ES3_mN6thrust23THRUST_200600_302600_NS6detail15normal_iteratorINSA_10device_ptrIxEEEEPS6_SG_NS0_5tupleIJNSA_16discard_iteratorINSA_11use_defaultEEES6_EEENSH_IJSG_SG_EEES6_PlJNSB_9not_fun_tI7is_trueIxEEEEEE10hipError_tPvRmT3_T4_T5_T6_T7_T9_mT8_P12ihipStream_tbDpT10_ENKUlT_T0_E_clISt17integral_constantIbLb0EES1B_EEDaS16_S17_EUlS16_E_NS1_11comp_targetILNS1_3genE2ELNS1_11target_archE906ELNS1_3gpuE6ELNS1_3repE0EEENS1_30default_config_static_selectorELNS0_4arch9wavefront6targetE0EEEvT1_
	.globl	_ZN7rocprim17ROCPRIM_400000_NS6detail17trampoline_kernelINS0_14default_configENS1_25partition_config_selectorILNS1_17partition_subalgoE6ExNS0_10empty_typeEbEEZZNS1_14partition_implILS5_6ELb0ES3_mN6thrust23THRUST_200600_302600_NS6detail15normal_iteratorINSA_10device_ptrIxEEEEPS6_SG_NS0_5tupleIJNSA_16discard_iteratorINSA_11use_defaultEEES6_EEENSH_IJSG_SG_EEES6_PlJNSB_9not_fun_tI7is_trueIxEEEEEE10hipError_tPvRmT3_T4_T5_T6_T7_T9_mT8_P12ihipStream_tbDpT10_ENKUlT_T0_E_clISt17integral_constantIbLb0EES1B_EEDaS16_S17_EUlS16_E_NS1_11comp_targetILNS1_3genE2ELNS1_11target_archE906ELNS1_3gpuE6ELNS1_3repE0EEENS1_30default_config_static_selectorELNS0_4arch9wavefront6targetE0EEEvT1_
	.p2align	8
	.type	_ZN7rocprim17ROCPRIM_400000_NS6detail17trampoline_kernelINS0_14default_configENS1_25partition_config_selectorILNS1_17partition_subalgoE6ExNS0_10empty_typeEbEEZZNS1_14partition_implILS5_6ELb0ES3_mN6thrust23THRUST_200600_302600_NS6detail15normal_iteratorINSA_10device_ptrIxEEEEPS6_SG_NS0_5tupleIJNSA_16discard_iteratorINSA_11use_defaultEEES6_EEENSH_IJSG_SG_EEES6_PlJNSB_9not_fun_tI7is_trueIxEEEEEE10hipError_tPvRmT3_T4_T5_T6_T7_T9_mT8_P12ihipStream_tbDpT10_ENKUlT_T0_E_clISt17integral_constantIbLb0EES1B_EEDaS16_S17_EUlS16_E_NS1_11comp_targetILNS1_3genE2ELNS1_11target_archE906ELNS1_3gpuE6ELNS1_3repE0EEENS1_30default_config_static_selectorELNS0_4arch9wavefront6targetE0EEEvT1_,@function
_ZN7rocprim17ROCPRIM_400000_NS6detail17trampoline_kernelINS0_14default_configENS1_25partition_config_selectorILNS1_17partition_subalgoE6ExNS0_10empty_typeEbEEZZNS1_14partition_implILS5_6ELb0ES3_mN6thrust23THRUST_200600_302600_NS6detail15normal_iteratorINSA_10device_ptrIxEEEEPS6_SG_NS0_5tupleIJNSA_16discard_iteratorINSA_11use_defaultEEES6_EEENSH_IJSG_SG_EEES6_PlJNSB_9not_fun_tI7is_trueIxEEEEEE10hipError_tPvRmT3_T4_T5_T6_T7_T9_mT8_P12ihipStream_tbDpT10_ENKUlT_T0_E_clISt17integral_constantIbLb0EES1B_EEDaS16_S17_EUlS16_E_NS1_11comp_targetILNS1_3genE2ELNS1_11target_archE906ELNS1_3gpuE6ELNS1_3repE0EEENS1_30default_config_static_selectorELNS0_4arch9wavefront6targetE0EEEvT1_: ; @_ZN7rocprim17ROCPRIM_400000_NS6detail17trampoline_kernelINS0_14default_configENS1_25partition_config_selectorILNS1_17partition_subalgoE6ExNS0_10empty_typeEbEEZZNS1_14partition_implILS5_6ELb0ES3_mN6thrust23THRUST_200600_302600_NS6detail15normal_iteratorINSA_10device_ptrIxEEEEPS6_SG_NS0_5tupleIJNSA_16discard_iteratorINSA_11use_defaultEEES6_EEENSH_IJSG_SG_EEES6_PlJNSB_9not_fun_tI7is_trueIxEEEEEE10hipError_tPvRmT3_T4_T5_T6_T7_T9_mT8_P12ihipStream_tbDpT10_ENKUlT_T0_E_clISt17integral_constantIbLb0EES1B_EEDaS16_S17_EUlS16_E_NS1_11comp_targetILNS1_3genE2ELNS1_11target_archE906ELNS1_3gpuE6ELNS1_3repE0EEENS1_30default_config_static_selectorELNS0_4arch9wavefront6targetE0EEEvT1_
; %bb.0:
	.section	.rodata,"a",@progbits
	.p2align	6, 0x0
	.amdhsa_kernel _ZN7rocprim17ROCPRIM_400000_NS6detail17trampoline_kernelINS0_14default_configENS1_25partition_config_selectorILNS1_17partition_subalgoE6ExNS0_10empty_typeEbEEZZNS1_14partition_implILS5_6ELb0ES3_mN6thrust23THRUST_200600_302600_NS6detail15normal_iteratorINSA_10device_ptrIxEEEEPS6_SG_NS0_5tupleIJNSA_16discard_iteratorINSA_11use_defaultEEES6_EEENSH_IJSG_SG_EEES6_PlJNSB_9not_fun_tI7is_trueIxEEEEEE10hipError_tPvRmT3_T4_T5_T6_T7_T9_mT8_P12ihipStream_tbDpT10_ENKUlT_T0_E_clISt17integral_constantIbLb0EES1B_EEDaS16_S17_EUlS16_E_NS1_11comp_targetILNS1_3genE2ELNS1_11target_archE906ELNS1_3gpuE6ELNS1_3repE0EEENS1_30default_config_static_selectorELNS0_4arch9wavefront6targetE0EEEvT1_
		.amdhsa_group_segment_fixed_size 0
		.amdhsa_private_segment_fixed_size 0
		.amdhsa_kernarg_size 120
		.amdhsa_user_sgpr_count 2
		.amdhsa_user_sgpr_dispatch_ptr 0
		.amdhsa_user_sgpr_queue_ptr 0
		.amdhsa_user_sgpr_kernarg_segment_ptr 1
		.amdhsa_user_sgpr_dispatch_id 0
		.amdhsa_user_sgpr_private_segment_size 0
		.amdhsa_wavefront_size32 1
		.amdhsa_uses_dynamic_stack 0
		.amdhsa_enable_private_segment 0
		.amdhsa_system_sgpr_workgroup_id_x 1
		.amdhsa_system_sgpr_workgroup_id_y 0
		.amdhsa_system_sgpr_workgroup_id_z 0
		.amdhsa_system_sgpr_workgroup_info 0
		.amdhsa_system_vgpr_workitem_id 0
		.amdhsa_next_free_vgpr 1
		.amdhsa_next_free_sgpr 1
		.amdhsa_reserve_vcc 0
		.amdhsa_float_round_mode_32 0
		.amdhsa_float_round_mode_16_64 0
		.amdhsa_float_denorm_mode_32 3
		.amdhsa_float_denorm_mode_16_64 3
		.amdhsa_fp16_overflow 0
		.amdhsa_workgroup_processor_mode 1
		.amdhsa_memory_ordered 1
		.amdhsa_forward_progress 1
		.amdhsa_inst_pref_size 0
		.amdhsa_round_robin_scheduling 0
		.amdhsa_exception_fp_ieee_invalid_op 0
		.amdhsa_exception_fp_denorm_src 0
		.amdhsa_exception_fp_ieee_div_zero 0
		.amdhsa_exception_fp_ieee_overflow 0
		.amdhsa_exception_fp_ieee_underflow 0
		.amdhsa_exception_fp_ieee_inexact 0
		.amdhsa_exception_int_div_zero 0
	.end_amdhsa_kernel
	.section	.text._ZN7rocprim17ROCPRIM_400000_NS6detail17trampoline_kernelINS0_14default_configENS1_25partition_config_selectorILNS1_17partition_subalgoE6ExNS0_10empty_typeEbEEZZNS1_14partition_implILS5_6ELb0ES3_mN6thrust23THRUST_200600_302600_NS6detail15normal_iteratorINSA_10device_ptrIxEEEEPS6_SG_NS0_5tupleIJNSA_16discard_iteratorINSA_11use_defaultEEES6_EEENSH_IJSG_SG_EEES6_PlJNSB_9not_fun_tI7is_trueIxEEEEEE10hipError_tPvRmT3_T4_T5_T6_T7_T9_mT8_P12ihipStream_tbDpT10_ENKUlT_T0_E_clISt17integral_constantIbLb0EES1B_EEDaS16_S17_EUlS16_E_NS1_11comp_targetILNS1_3genE2ELNS1_11target_archE906ELNS1_3gpuE6ELNS1_3repE0EEENS1_30default_config_static_selectorELNS0_4arch9wavefront6targetE0EEEvT1_,"axG",@progbits,_ZN7rocprim17ROCPRIM_400000_NS6detail17trampoline_kernelINS0_14default_configENS1_25partition_config_selectorILNS1_17partition_subalgoE6ExNS0_10empty_typeEbEEZZNS1_14partition_implILS5_6ELb0ES3_mN6thrust23THRUST_200600_302600_NS6detail15normal_iteratorINSA_10device_ptrIxEEEEPS6_SG_NS0_5tupleIJNSA_16discard_iteratorINSA_11use_defaultEEES6_EEENSH_IJSG_SG_EEES6_PlJNSB_9not_fun_tI7is_trueIxEEEEEE10hipError_tPvRmT3_T4_T5_T6_T7_T9_mT8_P12ihipStream_tbDpT10_ENKUlT_T0_E_clISt17integral_constantIbLb0EES1B_EEDaS16_S17_EUlS16_E_NS1_11comp_targetILNS1_3genE2ELNS1_11target_archE906ELNS1_3gpuE6ELNS1_3repE0EEENS1_30default_config_static_selectorELNS0_4arch9wavefront6targetE0EEEvT1_,comdat
.Lfunc_end2241:
	.size	_ZN7rocprim17ROCPRIM_400000_NS6detail17trampoline_kernelINS0_14default_configENS1_25partition_config_selectorILNS1_17partition_subalgoE6ExNS0_10empty_typeEbEEZZNS1_14partition_implILS5_6ELb0ES3_mN6thrust23THRUST_200600_302600_NS6detail15normal_iteratorINSA_10device_ptrIxEEEEPS6_SG_NS0_5tupleIJNSA_16discard_iteratorINSA_11use_defaultEEES6_EEENSH_IJSG_SG_EEES6_PlJNSB_9not_fun_tI7is_trueIxEEEEEE10hipError_tPvRmT3_T4_T5_T6_T7_T9_mT8_P12ihipStream_tbDpT10_ENKUlT_T0_E_clISt17integral_constantIbLb0EES1B_EEDaS16_S17_EUlS16_E_NS1_11comp_targetILNS1_3genE2ELNS1_11target_archE906ELNS1_3gpuE6ELNS1_3repE0EEENS1_30default_config_static_selectorELNS0_4arch9wavefront6targetE0EEEvT1_, .Lfunc_end2241-_ZN7rocprim17ROCPRIM_400000_NS6detail17trampoline_kernelINS0_14default_configENS1_25partition_config_selectorILNS1_17partition_subalgoE6ExNS0_10empty_typeEbEEZZNS1_14partition_implILS5_6ELb0ES3_mN6thrust23THRUST_200600_302600_NS6detail15normal_iteratorINSA_10device_ptrIxEEEEPS6_SG_NS0_5tupleIJNSA_16discard_iteratorINSA_11use_defaultEEES6_EEENSH_IJSG_SG_EEES6_PlJNSB_9not_fun_tI7is_trueIxEEEEEE10hipError_tPvRmT3_T4_T5_T6_T7_T9_mT8_P12ihipStream_tbDpT10_ENKUlT_T0_E_clISt17integral_constantIbLb0EES1B_EEDaS16_S17_EUlS16_E_NS1_11comp_targetILNS1_3genE2ELNS1_11target_archE906ELNS1_3gpuE6ELNS1_3repE0EEENS1_30default_config_static_selectorELNS0_4arch9wavefront6targetE0EEEvT1_
                                        ; -- End function
	.set _ZN7rocprim17ROCPRIM_400000_NS6detail17trampoline_kernelINS0_14default_configENS1_25partition_config_selectorILNS1_17partition_subalgoE6ExNS0_10empty_typeEbEEZZNS1_14partition_implILS5_6ELb0ES3_mN6thrust23THRUST_200600_302600_NS6detail15normal_iteratorINSA_10device_ptrIxEEEEPS6_SG_NS0_5tupleIJNSA_16discard_iteratorINSA_11use_defaultEEES6_EEENSH_IJSG_SG_EEES6_PlJNSB_9not_fun_tI7is_trueIxEEEEEE10hipError_tPvRmT3_T4_T5_T6_T7_T9_mT8_P12ihipStream_tbDpT10_ENKUlT_T0_E_clISt17integral_constantIbLb0EES1B_EEDaS16_S17_EUlS16_E_NS1_11comp_targetILNS1_3genE2ELNS1_11target_archE906ELNS1_3gpuE6ELNS1_3repE0EEENS1_30default_config_static_selectorELNS0_4arch9wavefront6targetE0EEEvT1_.num_vgpr, 0
	.set _ZN7rocprim17ROCPRIM_400000_NS6detail17trampoline_kernelINS0_14default_configENS1_25partition_config_selectorILNS1_17partition_subalgoE6ExNS0_10empty_typeEbEEZZNS1_14partition_implILS5_6ELb0ES3_mN6thrust23THRUST_200600_302600_NS6detail15normal_iteratorINSA_10device_ptrIxEEEEPS6_SG_NS0_5tupleIJNSA_16discard_iteratorINSA_11use_defaultEEES6_EEENSH_IJSG_SG_EEES6_PlJNSB_9not_fun_tI7is_trueIxEEEEEE10hipError_tPvRmT3_T4_T5_T6_T7_T9_mT8_P12ihipStream_tbDpT10_ENKUlT_T0_E_clISt17integral_constantIbLb0EES1B_EEDaS16_S17_EUlS16_E_NS1_11comp_targetILNS1_3genE2ELNS1_11target_archE906ELNS1_3gpuE6ELNS1_3repE0EEENS1_30default_config_static_selectorELNS0_4arch9wavefront6targetE0EEEvT1_.num_agpr, 0
	.set _ZN7rocprim17ROCPRIM_400000_NS6detail17trampoline_kernelINS0_14default_configENS1_25partition_config_selectorILNS1_17partition_subalgoE6ExNS0_10empty_typeEbEEZZNS1_14partition_implILS5_6ELb0ES3_mN6thrust23THRUST_200600_302600_NS6detail15normal_iteratorINSA_10device_ptrIxEEEEPS6_SG_NS0_5tupleIJNSA_16discard_iteratorINSA_11use_defaultEEES6_EEENSH_IJSG_SG_EEES6_PlJNSB_9not_fun_tI7is_trueIxEEEEEE10hipError_tPvRmT3_T4_T5_T6_T7_T9_mT8_P12ihipStream_tbDpT10_ENKUlT_T0_E_clISt17integral_constantIbLb0EES1B_EEDaS16_S17_EUlS16_E_NS1_11comp_targetILNS1_3genE2ELNS1_11target_archE906ELNS1_3gpuE6ELNS1_3repE0EEENS1_30default_config_static_selectorELNS0_4arch9wavefront6targetE0EEEvT1_.numbered_sgpr, 0
	.set _ZN7rocprim17ROCPRIM_400000_NS6detail17trampoline_kernelINS0_14default_configENS1_25partition_config_selectorILNS1_17partition_subalgoE6ExNS0_10empty_typeEbEEZZNS1_14partition_implILS5_6ELb0ES3_mN6thrust23THRUST_200600_302600_NS6detail15normal_iteratorINSA_10device_ptrIxEEEEPS6_SG_NS0_5tupleIJNSA_16discard_iteratorINSA_11use_defaultEEES6_EEENSH_IJSG_SG_EEES6_PlJNSB_9not_fun_tI7is_trueIxEEEEEE10hipError_tPvRmT3_T4_T5_T6_T7_T9_mT8_P12ihipStream_tbDpT10_ENKUlT_T0_E_clISt17integral_constantIbLb0EES1B_EEDaS16_S17_EUlS16_E_NS1_11comp_targetILNS1_3genE2ELNS1_11target_archE906ELNS1_3gpuE6ELNS1_3repE0EEENS1_30default_config_static_selectorELNS0_4arch9wavefront6targetE0EEEvT1_.num_named_barrier, 0
	.set _ZN7rocprim17ROCPRIM_400000_NS6detail17trampoline_kernelINS0_14default_configENS1_25partition_config_selectorILNS1_17partition_subalgoE6ExNS0_10empty_typeEbEEZZNS1_14partition_implILS5_6ELb0ES3_mN6thrust23THRUST_200600_302600_NS6detail15normal_iteratorINSA_10device_ptrIxEEEEPS6_SG_NS0_5tupleIJNSA_16discard_iteratorINSA_11use_defaultEEES6_EEENSH_IJSG_SG_EEES6_PlJNSB_9not_fun_tI7is_trueIxEEEEEE10hipError_tPvRmT3_T4_T5_T6_T7_T9_mT8_P12ihipStream_tbDpT10_ENKUlT_T0_E_clISt17integral_constantIbLb0EES1B_EEDaS16_S17_EUlS16_E_NS1_11comp_targetILNS1_3genE2ELNS1_11target_archE906ELNS1_3gpuE6ELNS1_3repE0EEENS1_30default_config_static_selectorELNS0_4arch9wavefront6targetE0EEEvT1_.private_seg_size, 0
	.set _ZN7rocprim17ROCPRIM_400000_NS6detail17trampoline_kernelINS0_14default_configENS1_25partition_config_selectorILNS1_17partition_subalgoE6ExNS0_10empty_typeEbEEZZNS1_14partition_implILS5_6ELb0ES3_mN6thrust23THRUST_200600_302600_NS6detail15normal_iteratorINSA_10device_ptrIxEEEEPS6_SG_NS0_5tupleIJNSA_16discard_iteratorINSA_11use_defaultEEES6_EEENSH_IJSG_SG_EEES6_PlJNSB_9not_fun_tI7is_trueIxEEEEEE10hipError_tPvRmT3_T4_T5_T6_T7_T9_mT8_P12ihipStream_tbDpT10_ENKUlT_T0_E_clISt17integral_constantIbLb0EES1B_EEDaS16_S17_EUlS16_E_NS1_11comp_targetILNS1_3genE2ELNS1_11target_archE906ELNS1_3gpuE6ELNS1_3repE0EEENS1_30default_config_static_selectorELNS0_4arch9wavefront6targetE0EEEvT1_.uses_vcc, 0
	.set _ZN7rocprim17ROCPRIM_400000_NS6detail17trampoline_kernelINS0_14default_configENS1_25partition_config_selectorILNS1_17partition_subalgoE6ExNS0_10empty_typeEbEEZZNS1_14partition_implILS5_6ELb0ES3_mN6thrust23THRUST_200600_302600_NS6detail15normal_iteratorINSA_10device_ptrIxEEEEPS6_SG_NS0_5tupleIJNSA_16discard_iteratorINSA_11use_defaultEEES6_EEENSH_IJSG_SG_EEES6_PlJNSB_9not_fun_tI7is_trueIxEEEEEE10hipError_tPvRmT3_T4_T5_T6_T7_T9_mT8_P12ihipStream_tbDpT10_ENKUlT_T0_E_clISt17integral_constantIbLb0EES1B_EEDaS16_S17_EUlS16_E_NS1_11comp_targetILNS1_3genE2ELNS1_11target_archE906ELNS1_3gpuE6ELNS1_3repE0EEENS1_30default_config_static_selectorELNS0_4arch9wavefront6targetE0EEEvT1_.uses_flat_scratch, 0
	.set _ZN7rocprim17ROCPRIM_400000_NS6detail17trampoline_kernelINS0_14default_configENS1_25partition_config_selectorILNS1_17partition_subalgoE6ExNS0_10empty_typeEbEEZZNS1_14partition_implILS5_6ELb0ES3_mN6thrust23THRUST_200600_302600_NS6detail15normal_iteratorINSA_10device_ptrIxEEEEPS6_SG_NS0_5tupleIJNSA_16discard_iteratorINSA_11use_defaultEEES6_EEENSH_IJSG_SG_EEES6_PlJNSB_9not_fun_tI7is_trueIxEEEEEE10hipError_tPvRmT3_T4_T5_T6_T7_T9_mT8_P12ihipStream_tbDpT10_ENKUlT_T0_E_clISt17integral_constantIbLb0EES1B_EEDaS16_S17_EUlS16_E_NS1_11comp_targetILNS1_3genE2ELNS1_11target_archE906ELNS1_3gpuE6ELNS1_3repE0EEENS1_30default_config_static_selectorELNS0_4arch9wavefront6targetE0EEEvT1_.has_dyn_sized_stack, 0
	.set _ZN7rocprim17ROCPRIM_400000_NS6detail17trampoline_kernelINS0_14default_configENS1_25partition_config_selectorILNS1_17partition_subalgoE6ExNS0_10empty_typeEbEEZZNS1_14partition_implILS5_6ELb0ES3_mN6thrust23THRUST_200600_302600_NS6detail15normal_iteratorINSA_10device_ptrIxEEEEPS6_SG_NS0_5tupleIJNSA_16discard_iteratorINSA_11use_defaultEEES6_EEENSH_IJSG_SG_EEES6_PlJNSB_9not_fun_tI7is_trueIxEEEEEE10hipError_tPvRmT3_T4_T5_T6_T7_T9_mT8_P12ihipStream_tbDpT10_ENKUlT_T0_E_clISt17integral_constantIbLb0EES1B_EEDaS16_S17_EUlS16_E_NS1_11comp_targetILNS1_3genE2ELNS1_11target_archE906ELNS1_3gpuE6ELNS1_3repE0EEENS1_30default_config_static_selectorELNS0_4arch9wavefront6targetE0EEEvT1_.has_recursion, 0
	.set _ZN7rocprim17ROCPRIM_400000_NS6detail17trampoline_kernelINS0_14default_configENS1_25partition_config_selectorILNS1_17partition_subalgoE6ExNS0_10empty_typeEbEEZZNS1_14partition_implILS5_6ELb0ES3_mN6thrust23THRUST_200600_302600_NS6detail15normal_iteratorINSA_10device_ptrIxEEEEPS6_SG_NS0_5tupleIJNSA_16discard_iteratorINSA_11use_defaultEEES6_EEENSH_IJSG_SG_EEES6_PlJNSB_9not_fun_tI7is_trueIxEEEEEE10hipError_tPvRmT3_T4_T5_T6_T7_T9_mT8_P12ihipStream_tbDpT10_ENKUlT_T0_E_clISt17integral_constantIbLb0EES1B_EEDaS16_S17_EUlS16_E_NS1_11comp_targetILNS1_3genE2ELNS1_11target_archE906ELNS1_3gpuE6ELNS1_3repE0EEENS1_30default_config_static_selectorELNS0_4arch9wavefront6targetE0EEEvT1_.has_indirect_call, 0
	.section	.AMDGPU.csdata,"",@progbits
; Kernel info:
; codeLenInByte = 0
; TotalNumSgprs: 0
; NumVgprs: 0
; ScratchSize: 0
; MemoryBound: 0
; FloatMode: 240
; IeeeMode: 1
; LDSByteSize: 0 bytes/workgroup (compile time only)
; SGPRBlocks: 0
; VGPRBlocks: 0
; NumSGPRsForWavesPerEU: 1
; NumVGPRsForWavesPerEU: 1
; Occupancy: 16
; WaveLimiterHint : 0
; COMPUTE_PGM_RSRC2:SCRATCH_EN: 0
; COMPUTE_PGM_RSRC2:USER_SGPR: 2
; COMPUTE_PGM_RSRC2:TRAP_HANDLER: 0
; COMPUTE_PGM_RSRC2:TGID_X_EN: 1
; COMPUTE_PGM_RSRC2:TGID_Y_EN: 0
; COMPUTE_PGM_RSRC2:TGID_Z_EN: 0
; COMPUTE_PGM_RSRC2:TIDIG_COMP_CNT: 0
	.section	.text._ZN7rocprim17ROCPRIM_400000_NS6detail17trampoline_kernelINS0_14default_configENS1_25partition_config_selectorILNS1_17partition_subalgoE6ExNS0_10empty_typeEbEEZZNS1_14partition_implILS5_6ELb0ES3_mN6thrust23THRUST_200600_302600_NS6detail15normal_iteratorINSA_10device_ptrIxEEEEPS6_SG_NS0_5tupleIJNSA_16discard_iteratorINSA_11use_defaultEEES6_EEENSH_IJSG_SG_EEES6_PlJNSB_9not_fun_tI7is_trueIxEEEEEE10hipError_tPvRmT3_T4_T5_T6_T7_T9_mT8_P12ihipStream_tbDpT10_ENKUlT_T0_E_clISt17integral_constantIbLb0EES1B_EEDaS16_S17_EUlS16_E_NS1_11comp_targetILNS1_3genE10ELNS1_11target_archE1200ELNS1_3gpuE4ELNS1_3repE0EEENS1_30default_config_static_selectorELNS0_4arch9wavefront6targetE0EEEvT1_,"axG",@progbits,_ZN7rocprim17ROCPRIM_400000_NS6detail17trampoline_kernelINS0_14default_configENS1_25partition_config_selectorILNS1_17partition_subalgoE6ExNS0_10empty_typeEbEEZZNS1_14partition_implILS5_6ELb0ES3_mN6thrust23THRUST_200600_302600_NS6detail15normal_iteratorINSA_10device_ptrIxEEEEPS6_SG_NS0_5tupleIJNSA_16discard_iteratorINSA_11use_defaultEEES6_EEENSH_IJSG_SG_EEES6_PlJNSB_9not_fun_tI7is_trueIxEEEEEE10hipError_tPvRmT3_T4_T5_T6_T7_T9_mT8_P12ihipStream_tbDpT10_ENKUlT_T0_E_clISt17integral_constantIbLb0EES1B_EEDaS16_S17_EUlS16_E_NS1_11comp_targetILNS1_3genE10ELNS1_11target_archE1200ELNS1_3gpuE4ELNS1_3repE0EEENS1_30default_config_static_selectorELNS0_4arch9wavefront6targetE0EEEvT1_,comdat
	.protected	_ZN7rocprim17ROCPRIM_400000_NS6detail17trampoline_kernelINS0_14default_configENS1_25partition_config_selectorILNS1_17partition_subalgoE6ExNS0_10empty_typeEbEEZZNS1_14partition_implILS5_6ELb0ES3_mN6thrust23THRUST_200600_302600_NS6detail15normal_iteratorINSA_10device_ptrIxEEEEPS6_SG_NS0_5tupleIJNSA_16discard_iteratorINSA_11use_defaultEEES6_EEENSH_IJSG_SG_EEES6_PlJNSB_9not_fun_tI7is_trueIxEEEEEE10hipError_tPvRmT3_T4_T5_T6_T7_T9_mT8_P12ihipStream_tbDpT10_ENKUlT_T0_E_clISt17integral_constantIbLb0EES1B_EEDaS16_S17_EUlS16_E_NS1_11comp_targetILNS1_3genE10ELNS1_11target_archE1200ELNS1_3gpuE4ELNS1_3repE0EEENS1_30default_config_static_selectorELNS0_4arch9wavefront6targetE0EEEvT1_ ; -- Begin function _ZN7rocprim17ROCPRIM_400000_NS6detail17trampoline_kernelINS0_14default_configENS1_25partition_config_selectorILNS1_17partition_subalgoE6ExNS0_10empty_typeEbEEZZNS1_14partition_implILS5_6ELb0ES3_mN6thrust23THRUST_200600_302600_NS6detail15normal_iteratorINSA_10device_ptrIxEEEEPS6_SG_NS0_5tupleIJNSA_16discard_iteratorINSA_11use_defaultEEES6_EEENSH_IJSG_SG_EEES6_PlJNSB_9not_fun_tI7is_trueIxEEEEEE10hipError_tPvRmT3_T4_T5_T6_T7_T9_mT8_P12ihipStream_tbDpT10_ENKUlT_T0_E_clISt17integral_constantIbLb0EES1B_EEDaS16_S17_EUlS16_E_NS1_11comp_targetILNS1_3genE10ELNS1_11target_archE1200ELNS1_3gpuE4ELNS1_3repE0EEENS1_30default_config_static_selectorELNS0_4arch9wavefront6targetE0EEEvT1_
	.globl	_ZN7rocprim17ROCPRIM_400000_NS6detail17trampoline_kernelINS0_14default_configENS1_25partition_config_selectorILNS1_17partition_subalgoE6ExNS0_10empty_typeEbEEZZNS1_14partition_implILS5_6ELb0ES3_mN6thrust23THRUST_200600_302600_NS6detail15normal_iteratorINSA_10device_ptrIxEEEEPS6_SG_NS0_5tupleIJNSA_16discard_iteratorINSA_11use_defaultEEES6_EEENSH_IJSG_SG_EEES6_PlJNSB_9not_fun_tI7is_trueIxEEEEEE10hipError_tPvRmT3_T4_T5_T6_T7_T9_mT8_P12ihipStream_tbDpT10_ENKUlT_T0_E_clISt17integral_constantIbLb0EES1B_EEDaS16_S17_EUlS16_E_NS1_11comp_targetILNS1_3genE10ELNS1_11target_archE1200ELNS1_3gpuE4ELNS1_3repE0EEENS1_30default_config_static_selectorELNS0_4arch9wavefront6targetE0EEEvT1_
	.p2align	8
	.type	_ZN7rocprim17ROCPRIM_400000_NS6detail17trampoline_kernelINS0_14default_configENS1_25partition_config_selectorILNS1_17partition_subalgoE6ExNS0_10empty_typeEbEEZZNS1_14partition_implILS5_6ELb0ES3_mN6thrust23THRUST_200600_302600_NS6detail15normal_iteratorINSA_10device_ptrIxEEEEPS6_SG_NS0_5tupleIJNSA_16discard_iteratorINSA_11use_defaultEEES6_EEENSH_IJSG_SG_EEES6_PlJNSB_9not_fun_tI7is_trueIxEEEEEE10hipError_tPvRmT3_T4_T5_T6_T7_T9_mT8_P12ihipStream_tbDpT10_ENKUlT_T0_E_clISt17integral_constantIbLb0EES1B_EEDaS16_S17_EUlS16_E_NS1_11comp_targetILNS1_3genE10ELNS1_11target_archE1200ELNS1_3gpuE4ELNS1_3repE0EEENS1_30default_config_static_selectorELNS0_4arch9wavefront6targetE0EEEvT1_,@function
_ZN7rocprim17ROCPRIM_400000_NS6detail17trampoline_kernelINS0_14default_configENS1_25partition_config_selectorILNS1_17partition_subalgoE6ExNS0_10empty_typeEbEEZZNS1_14partition_implILS5_6ELb0ES3_mN6thrust23THRUST_200600_302600_NS6detail15normal_iteratorINSA_10device_ptrIxEEEEPS6_SG_NS0_5tupleIJNSA_16discard_iteratorINSA_11use_defaultEEES6_EEENSH_IJSG_SG_EEES6_PlJNSB_9not_fun_tI7is_trueIxEEEEEE10hipError_tPvRmT3_T4_T5_T6_T7_T9_mT8_P12ihipStream_tbDpT10_ENKUlT_T0_E_clISt17integral_constantIbLb0EES1B_EEDaS16_S17_EUlS16_E_NS1_11comp_targetILNS1_3genE10ELNS1_11target_archE1200ELNS1_3gpuE4ELNS1_3repE0EEENS1_30default_config_static_selectorELNS0_4arch9wavefront6targetE0EEEvT1_: ; @_ZN7rocprim17ROCPRIM_400000_NS6detail17trampoline_kernelINS0_14default_configENS1_25partition_config_selectorILNS1_17partition_subalgoE6ExNS0_10empty_typeEbEEZZNS1_14partition_implILS5_6ELb0ES3_mN6thrust23THRUST_200600_302600_NS6detail15normal_iteratorINSA_10device_ptrIxEEEEPS6_SG_NS0_5tupleIJNSA_16discard_iteratorINSA_11use_defaultEEES6_EEENSH_IJSG_SG_EEES6_PlJNSB_9not_fun_tI7is_trueIxEEEEEE10hipError_tPvRmT3_T4_T5_T6_T7_T9_mT8_P12ihipStream_tbDpT10_ENKUlT_T0_E_clISt17integral_constantIbLb0EES1B_EEDaS16_S17_EUlS16_E_NS1_11comp_targetILNS1_3genE10ELNS1_11target_archE1200ELNS1_3gpuE4ELNS1_3repE0EEENS1_30default_config_static_selectorELNS0_4arch9wavefront6targetE0EEEvT1_
; %bb.0:
	s_clause 0x3
	s_load_b128 s[4:7], s[0:1], 0x8
	s_load_b128 s[8:11], s[0:1], 0x48
	s_load_b32 s15, s[0:1], 0x70
	s_load_b64 s[12:13], s[0:1], 0x58
	s_mov_b32 s17, 0
	s_lshl_b32 s2, ttmp9, 10
	s_mov_b32 s3, s17
	v_lshrrev_b32_e32 v9, 2, v0
	v_or_b32_e32 v12, 0x100, v0
	v_or_b32_e32 v11, 0x200, v0
	;; [unrolled: 1-line block ×3, first 2 shown]
	s_mov_b32 s14, -1
	s_wait_kmcnt 0x0
	s_lshl_b64 s[18:19], s[6:7], 3
	s_load_b64 s[10:11], s[10:11], 0x0
	s_add_co_i32 s20, s15, -1
	s_lshl_b32 s16, s15, 10
	s_lshl_b32 s15, s20, 10
	s_add_nc_u64 s[16:17], s[6:7], s[16:17]
	s_add_co_i32 s6, s6, s15
	s_cmp_eq_u32 ttmp9, s20
	v_cmp_gt_u64_e64 s13, s[12:13], s[16:17]
	s_cselect_b32 s7, -1, 0
	s_cmp_lg_u32 ttmp9, s20
	s_add_nc_u64 s[16:17], s[4:5], s[18:19]
	s_cselect_b32 s15, -1, 0
	s_lshl_b64 s[2:3], s[2:3], 3
	s_or_b32 s4, s15, s13
	s_wait_alu 0xfffe
	s_add_nc_u64 s[2:3], s[16:17], s[2:3]
	s_and_b32 vcc_lo, exec_lo, s4
	s_cbranch_vccz .LBB2242_2
; %bb.1:
	v_lshlrev_b32_e32 v13, 3, v0
	v_lshrrev_b32_e32 v14, 2, v12
	v_lshrrev_b32_e32 v15, 2, v11
	v_lshrrev_b32_e32 v16, 2, v10
	v_and_b32_e32 v17, 56, v9
	v_add_co_u32 v1, s5, s2, v13
	s_delay_alu instid0(VALU_DEP_1)
	v_add_co_ci_u32_e64 v2, null, s3, 0, s5
	v_and_b32_e32 v14, 0x78, v14
	v_and_b32_e32 v15, 0xb8, v15
	;; [unrolled: 1-line block ×3, first 2 shown]
	s_clause 0x3
	flat_load_b64 v[3:4], v[1:2]
	flat_load_b64 v[5:6], v[1:2] offset:2048
	flat_load_b64 v[7:8], v[1:2] offset:4096
	;; [unrolled: 1-line block ×3, first 2 shown]
	v_add_nc_u32_e32 v17, v17, v13
	v_add_nc_u32_e32 v14, v14, v13
	v_add_nc_u32_e32 v15, v15, v13
	v_add_nc_u32_e32 v13, v16, v13
	s_mov_b32 s14, 0
	s_wait_loadcnt_dscnt 0x303
	ds_store_b64 v17, v[3:4]
	s_wait_loadcnt_dscnt 0x203
	ds_store_b64 v14, v[5:6] offset:2048
	s_wait_loadcnt_dscnt 0x103
	ds_store_b64 v15, v[7:8] offset:4096
	;; [unrolled: 2-line block ×3, first 2 shown]
	s_wait_dscnt 0x0
	s_barrier_signal -1
	s_barrier_wait -1
.LBB2242_2:
	s_and_not1_b32 vcc_lo, exec_lo, s14
	s_sub_co_i32 s13, s12, s6
	s_cbranch_vccnz .LBB2242_9
; %bb.3:
	v_mov_b32_e32 v1, 0
	s_mov_b32 s5, exec_lo
	s_delay_alu instid0(VALU_DEP_1)
	v_dual_mov_b32 v2, v1 :: v_dual_mov_b32 v3, v1
	v_dual_mov_b32 v4, v1 :: v_dual_mov_b32 v5, v1
	;; [unrolled: 1-line block ×3, first 2 shown]
	v_mov_b32_e32 v8, v1
	s_wait_alu 0xfffe
	v_cmpx_gt_u32_e64 s13, v0
	s_cbranch_execnz .LBB2242_114
; %bb.4:
	s_or_b32 exec_lo, exec_lo, s5
	s_delay_alu instid0(SALU_CYCLE_1)
	s_mov_b32 s5, exec_lo
	v_cmpx_gt_u32_e64 s13, v12
	s_cbranch_execnz .LBB2242_115
.LBB2242_5:
	s_wait_alu 0xfffe
	s_or_b32 exec_lo, exec_lo, s5
	s_delay_alu instid0(SALU_CYCLE_1)
	s_mov_b32 s5, exec_lo
	v_cmpx_gt_u32_e64 s13, v11
	s_cbranch_execnz .LBB2242_116
.LBB2242_6:
	s_wait_alu 0xfffe
	s_or_b32 exec_lo, exec_lo, s5
	s_delay_alu instid0(SALU_CYCLE_1)
	s_mov_b32 s5, exec_lo
	v_cmpx_gt_u32_e64 s13, v10
	s_cbranch_execz .LBB2242_8
.LBB2242_7:
	v_lshlrev_b32_e32 v7, 3, v0
	s_delay_alu instid0(VALU_DEP_1)
	v_add_co_u32 v7, s2, s2, v7
	s_wait_alu 0xf1ff
	v_add_co_ci_u32_e64 v8, null, s3, 0, s2
	flat_load_b64 v[7:8], v[7:8] offset:6144
.LBB2242_8:
	s_wait_alu 0xfffe
	s_or_b32 exec_lo, exec_lo, s5
	v_lshrrev_b32_e32 v12, 2, v12
	v_lshrrev_b32_e32 v11, 2, v11
	;; [unrolled: 1-line block ×3, first 2 shown]
	v_and_b32_e32 v9, 56, v9
	v_lshlrev_b32_e32 v13, 3, v0
	v_and_b32_e32 v12, 0x78, v12
	v_and_b32_e32 v11, 0xf8, v11
	;; [unrolled: 1-line block ×3, first 2 shown]
	s_delay_alu instid0(VALU_DEP_4) | instskip(NEXT) | instid1(VALU_DEP_4)
	v_add_nc_u32_e32 v9, v9, v13
	v_add_nc_u32_e32 v12, v12, v13
	s_delay_alu instid0(VALU_DEP_4) | instskip(NEXT) | instid1(VALU_DEP_4)
	v_add_nc_u32_e32 v11, v11, v13
	v_add_nc_u32_e32 v10, v10, v13
	ds_store_b64 v9, v[1:2]
	s_wait_loadcnt_dscnt 0x1
	ds_store_b64 v12, v[3:4] offset:2048
	ds_store_b64 v11, v[5:6] offset:4096
	;; [unrolled: 1-line block ×3, first 2 shown]
	s_wait_dscnt 0x0
	s_barrier_signal -1
	s_barrier_wait -1
.LBB2242_9:
	v_and_b32_e32 v1, 0xf8, v0
	global_inv scope:SCOPE_SE
	s_and_not1_b32 vcc_lo, exec_lo, s4
	v_lshl_add_u32 v5, v0, 5, v1
	ds_load_2addr_b64 v[1:4], v5 offset1:3
	ds_load_2addr_b64 v[5:8], v5 offset0:1 offset1:2
	s_wait_loadcnt_dscnt 0x0
	s_barrier_signal -1
	s_barrier_wait -1
	global_inv scope:SCOPE_SE
	v_cmp_eq_u64_e64 s2, 0, v[1:2]
	v_cmp_eq_u64_e64 s12, 0, v[3:4]
	s_cbranch_vccnz .LBB2242_11
; %bb.10:
	v_cmp_eq_u64_e32 vcc_lo, 0, v[7:8]
	s_wait_alu 0xf1ff
	v_cndmask_b32_e64 v27, 0, 1, s2
	v_cndmask_b32_e64 v25, 0, 1, vcc_lo
	v_cmp_eq_u64_e32 vcc_lo, 0, v[5:6]
	s_delay_alu instid0(VALU_DEP_2) | instskip(SKIP_2) | instid1(VALU_DEP_1)
	v_lshlrev_b16 v10, 8, v25
	s_wait_alu 0xfffd
	v_cndmask_b32_e64 v9, 0, 1, vcc_lo
	v_or_b32_e32 v26, v9, v10
	s_cbranch_execz .LBB2242_12
	s_branch .LBB2242_13
.LBB2242_11:
                                        ; implicit-def: $sgpr12
                                        ; implicit-def: $vgpr27
                                        ; implicit-def: $vgpr26
                                        ; implicit-def: $vgpr25
.LBB2242_12:
	v_lshlrev_b32_e32 v9, 2, v0
	v_cmp_eq_u64_e64 s2, 0, v[7:8]
	v_cmp_eq_u64_e64 s4, 0, v[5:6]
	v_cmp_eq_u64_e32 vcc_lo, 0, v[1:2]
	v_cmp_eq_u64_e64 s5, 0, v[3:4]
	v_or_b32_e32 v10, 2, v9
	v_or_b32_e32 v11, 1, v9
	s_wait_alu 0xfffe
	s_delay_alu instid0(VALU_DEP_2) | instskip(NEXT) | instid1(VALU_DEP_2)
	v_cmp_gt_u32_e64 s3, s13, v10
	v_cmp_gt_u32_e64 s6, s13, v11
	v_or_b32_e32 v10, 3, v9
	s_and_b32 s2, s3, s2
	s_and_b32 s4, s6, s4
	s_wait_alu 0xfffe
	v_cndmask_b32_e64 v25, 0, 1, s2
	v_cmp_gt_u32_e64 s2, s13, v9
	v_cmp_gt_u32_e64 s3, s13, v10
	v_cndmask_b32_e64 v9, 0, 1, s4
	s_delay_alu instid0(VALU_DEP_4)
	v_lshlrev_b16 v10, 8, v25
	s_and_b32 s2, s2, vcc_lo
	s_wait_alu 0xfffe
	v_cndmask_b32_e64 v27, 0, 1, s2
	s_and_b32 s2, s3, s5
	v_or_b32_e32 v26, v9, v10
	s_and_not1_b32 s3, s12, exec_lo
	s_wait_alu 0xfffe
	s_and_b32 s2, s2, exec_lo
	s_wait_alu 0xfffe
	s_or_b32 s12, s3, s2
.LBB2242_13:
	s_load_b64 s[4:5], s[0:1], 0x68
	v_and_b32_e32 v29, 0xff, v27
	v_dual_mov_b32 v11, 0 :: v_dual_and_b32 v28, 0xff, v26
	v_cndmask_b32_e64 v9, 0, 1, s12
	v_mbcnt_lo_u32_b32 v31, -1, 0
	v_and_b32_e32 v30, 0xff, v25
	s_cmp_lg_u32 ttmp9, 0
	s_mov_b32 s1, -1
	v_add3_u32 v9, v29, v9, v28
	v_and_b32_e32 v32, 15, v31
	s_delay_alu instid0(VALU_DEP_2) | instskip(NEXT) | instid1(VALU_DEP_1)
	v_add_co_u32 v17, s0, v9, v30
	v_add_co_ci_u32_e64 v18, null, 0, 0, s0
	s_delay_alu instid0(VALU_DEP_3)
	v_cmp_ne_u32_e64 s0, 0, v32
	s_cbranch_scc0 .LBB2242_70
; %bb.14:
	v_dual_mov_b32 v12, v17 :: v_dual_mov_b32 v9, v17
	v_mov_b32_dpp v14, v17 row_shr:1 row_mask:0xf bank_mask:0xf
	v_mov_b32_dpp v13, v11 row_shr:1 row_mask:0xf bank_mask:0xf
	v_mov_b32_e32 v10, v18
	s_and_saveexec_b32 s1, s0
; %bb.15:
	s_delay_alu instid0(VALU_DEP_3) | instskip(SKIP_2) | instid1(VALU_DEP_2)
	v_add_co_u32 v12, vcc_lo, v17, v14
	s_wait_alu 0xfffd
	v_add_co_ci_u32_e64 v9, null, 0, v18, vcc_lo
	v_add_co_u32 v10, vcc_lo, 0, v12
	s_wait_alu 0xfffd
	s_delay_alu instid0(VALU_DEP_2) | instskip(NEXT) | instid1(VALU_DEP_2)
	v_add_co_ci_u32_e64 v11, null, v13, v9, vcc_lo
	v_mov_b32_e32 v9, v10
	s_delay_alu instid0(VALU_DEP_2)
	v_mov_b32_e32 v10, v11
; %bb.16:
	s_wait_alu 0xfffe
	s_or_b32 exec_lo, exec_lo, s1
	v_mov_b32_dpp v14, v12 row_shr:2 row_mask:0xf bank_mask:0xf
	v_mov_b32_dpp v13, v11 row_shr:2 row_mask:0xf bank_mask:0xf
	s_mov_b32 s1, exec_lo
	v_cmpx_lt_u32_e32 1, v32
; %bb.17:
	s_delay_alu instid0(VALU_DEP_3) | instskip(SKIP_2) | instid1(VALU_DEP_2)
	v_add_co_u32 v12, vcc_lo, v9, v14
	s_wait_alu 0xfffd
	v_add_co_ci_u32_e64 v9, null, 0, v10, vcc_lo
	v_add_co_u32 v10, vcc_lo, 0, v12
	s_wait_alu 0xfffd
	s_delay_alu instid0(VALU_DEP_2) | instskip(NEXT) | instid1(VALU_DEP_2)
	v_add_co_ci_u32_e64 v11, null, v13, v9, vcc_lo
	v_mov_b32_e32 v9, v10
	s_delay_alu instid0(VALU_DEP_2)
	v_mov_b32_e32 v10, v11
; %bb.18:
	s_wait_alu 0xfffe
	s_or_b32 exec_lo, exec_lo, s1
	v_mov_b32_dpp v14, v12 row_shr:4 row_mask:0xf bank_mask:0xf
	v_mov_b32_dpp v13, v11 row_shr:4 row_mask:0xf bank_mask:0xf
	s_mov_b32 s1, exec_lo
	v_cmpx_lt_u32_e32 3, v32
	;; [unrolled: 19-line block ×3, first 2 shown]
; %bb.21:
	s_delay_alu instid0(VALU_DEP_3) | instskip(SKIP_2) | instid1(VALU_DEP_2)
	v_add_co_u32 v12, vcc_lo, v9, v14
	s_wait_alu 0xfffd
	v_add_co_ci_u32_e64 v10, null, 0, v10, vcc_lo
	v_add_co_u32 v9, vcc_lo, 0, v12
	s_wait_alu 0xfffd
	s_delay_alu instid0(VALU_DEP_2) | instskip(NEXT) | instid1(VALU_DEP_1)
	v_add_co_ci_u32_e64 v10, null, v13, v10, vcc_lo
	v_mov_b32_e32 v11, v10
; %bb.22:
	s_wait_alu 0xfffe
	s_or_b32 exec_lo, exec_lo, s1
	ds_swizzle_b32 v13, v12 offset:swizzle(BROADCAST,32,15)
	ds_swizzle_b32 v11, v11 offset:swizzle(BROADCAST,32,15)
	v_and_b32_e32 v14, 16, v31
	s_mov_b32 s1, exec_lo
	s_delay_alu instid0(VALU_DEP_1)
	v_cmpx_ne_u32_e32 0, v14
	s_cbranch_execz .LBB2242_24
; %bb.23:
	s_wait_dscnt 0x1
	v_add_co_u32 v12, vcc_lo, v9, v13
	s_wait_alu 0xfffd
	v_add_co_ci_u32_e64 v10, null, 0, v10, vcc_lo
	s_delay_alu instid0(VALU_DEP_2) | instskip(SKIP_2) | instid1(VALU_DEP_2)
	v_add_co_u32 v9, vcc_lo, 0, v12
	s_wait_dscnt 0x0
	s_wait_alu 0xfffd
	v_add_co_ci_u32_e64 v10, null, v11, v10, vcc_lo
.LBB2242_24:
	s_wait_alu 0xfffe
	s_or_b32 exec_lo, exec_lo, s1
	s_wait_dscnt 0x1
	v_or_b32_e32 v13, 31, v0
	s_wait_dscnt 0x0
	v_lshrrev_b32_e32 v11, 5, v0
	s_mov_b32 s1, exec_lo
	s_delay_alu instid0(VALU_DEP_2)
	v_cmpx_eq_u32_e64 v0, v13
; %bb.25:
	s_delay_alu instid0(VALU_DEP_2)
	v_lshlrev_b32_e32 v13, 3, v11
	ds_store_b64 v13, v[9:10]
; %bb.26:
	s_wait_alu 0xfffe
	s_or_b32 exec_lo, exec_lo, s1
	s_delay_alu instid0(SALU_CYCLE_1)
	s_mov_b32 s1, exec_lo
	s_wait_loadcnt_dscnt 0x0
	s_barrier_signal -1
	s_barrier_wait -1
	global_inv scope:SCOPE_SE
	v_cmpx_gt_u32_e32 8, v0
	s_cbranch_execz .LBB2242_34
; %bb.27:
	v_lshlrev_b32_e32 v13, 3, v0
	s_mov_b32 s2, exec_lo
	ds_load_b64 v[9:10], v13
	s_wait_dscnt 0x0
	v_dual_mov_b32 v15, v9 :: v_dual_and_b32 v14, 7, v31
	v_mov_b32_dpp v19, v9 row_shr:1 row_mask:0xf bank_mask:0xf
	v_mov_b32_dpp v16, v10 row_shr:1 row_mask:0xf bank_mask:0xf
	s_delay_alu instid0(VALU_DEP_3)
	v_cmpx_ne_u32_e32 0, v14
; %bb.28:
	s_delay_alu instid0(VALU_DEP_3) | instskip(SKIP_2) | instid1(VALU_DEP_2)
	v_add_co_u32 v15, vcc_lo, v9, v19
	s_wait_alu 0xfffd
	v_add_co_ci_u32_e64 v10, null, 0, v10, vcc_lo
	v_add_co_u32 v9, vcc_lo, 0, v15
	s_wait_alu 0xfffd
	s_delay_alu instid0(VALU_DEP_2)
	v_add_co_ci_u32_e64 v10, null, v16, v10, vcc_lo
; %bb.29:
	s_wait_alu 0xfffe
	s_or_b32 exec_lo, exec_lo, s2
	v_mov_b32_dpp v19, v15 row_shr:2 row_mask:0xf bank_mask:0xf
	s_delay_alu instid0(VALU_DEP_2)
	v_mov_b32_dpp v16, v10 row_shr:2 row_mask:0xf bank_mask:0xf
	s_mov_b32 s2, exec_lo
	v_cmpx_lt_u32_e32 1, v14
; %bb.30:
	s_delay_alu instid0(VALU_DEP_3) | instskip(SKIP_2) | instid1(VALU_DEP_2)
	v_add_co_u32 v15, vcc_lo, v9, v19
	s_wait_alu 0xfffd
	v_add_co_ci_u32_e64 v10, null, 0, v10, vcc_lo
	v_add_co_u32 v9, vcc_lo, 0, v15
	s_wait_alu 0xfffd
	s_delay_alu instid0(VALU_DEP_2)
	v_add_co_ci_u32_e64 v10, null, v16, v10, vcc_lo
; %bb.31:
	s_wait_alu 0xfffe
	s_or_b32 exec_lo, exec_lo, s2
	v_mov_b32_dpp v16, v15 row_shr:4 row_mask:0xf bank_mask:0xf
	s_delay_alu instid0(VALU_DEP_2)
	v_mov_b32_dpp v15, v10 row_shr:4 row_mask:0xf bank_mask:0xf
	s_mov_b32 s2, exec_lo
	v_cmpx_lt_u32_e32 3, v14
; %bb.32:
	s_delay_alu instid0(VALU_DEP_3) | instskip(SKIP_2) | instid1(VALU_DEP_2)
	v_add_co_u32 v9, vcc_lo, v9, v16
	s_wait_alu 0xfffd
	v_add_co_ci_u32_e64 v10, null, 0, v10, vcc_lo
	v_add_co_u32 v9, vcc_lo, v9, 0
	s_wait_alu 0xfffd
	s_delay_alu instid0(VALU_DEP_2)
	v_add_co_ci_u32_e64 v10, null, v10, v15, vcc_lo
; %bb.33:
	s_wait_alu 0xfffe
	s_or_b32 exec_lo, exec_lo, s2
	ds_store_b64 v13, v[9:10]
.LBB2242_34:
	s_wait_alu 0xfffe
	s_or_b32 exec_lo, exec_lo, s1
	s_delay_alu instid0(SALU_CYCLE_1)
	s_mov_b32 s2, exec_lo
	v_cmp_gt_u32_e32 vcc_lo, 32, v0
	s_wait_loadcnt_dscnt 0x0
	s_barrier_signal -1
	s_barrier_wait -1
	global_inv scope:SCOPE_SE
                                        ; implicit-def: $vgpr19_vgpr20
	v_cmpx_lt_u32_e32 31, v0
	s_cbranch_execz .LBB2242_36
; %bb.35:
	v_lshl_add_u32 v9, v11, 3, -8
	ds_load_b64 v[19:20], v9
	s_wait_dscnt 0x0
	v_add_nc_u32_e32 v12, v12, v19
.LBB2242_36:
	s_wait_alu 0xfffe
	s_or_b32 exec_lo, exec_lo, s2
	v_sub_co_u32 v9, s1, v31, 1
	s_delay_alu instid0(VALU_DEP_1) | instskip(SKIP_1) | instid1(VALU_DEP_1)
	v_cmp_gt_i32_e64 s2, 0, v9
	s_wait_alu 0xf1ff
	v_cndmask_b32_e64 v9, v9, v31, s2
	s_delay_alu instid0(VALU_DEP_1)
	v_lshlrev_b32_e32 v9, 2, v9
	ds_bpermute_b32 v33, v9, v12
	s_and_saveexec_b32 s2, vcc_lo
	s_cbranch_execz .LBB2242_75
; %bb.37:
	v_mov_b32_e32 v12, 0
	ds_load_b64 v[9:10], v12 offset:56
	s_and_saveexec_b32 s3, s1
	s_cbranch_execz .LBB2242_39
; %bb.38:
	s_add_co_i32 s14, ttmp9, 32
	s_mov_b32 s15, 0
	s_delay_alu instid0(SALU_CYCLE_1)
	s_lshl_b64 s[14:15], s[14:15], 4
	s_wait_kmcnt 0x0
	s_add_nc_u64 s[14:15], s[4:5], s[14:15]
	v_mov_b32_e32 v11, 1
	v_dual_mov_b32 v13, s14 :: v_dual_mov_b32 v14, s15
	s_wait_dscnt 0x0
	;;#ASMSTART
	global_store_b128 v[13:14], v[9:12] off scope:SCOPE_DEV	
s_wait_storecnt 0x0
	;;#ASMEND
.LBB2242_39:
	s_wait_alu 0xfffe
	s_or_b32 exec_lo, exec_lo, s3
	v_xad_u32 v21, v31, -1, ttmp9
	s_mov_b32 s6, 0
	s_mov_b32 s3, exec_lo
	s_delay_alu instid0(VALU_DEP_1) | instskip(NEXT) | instid1(VALU_DEP_1)
	v_add_nc_u32_e32 v11, 32, v21
	v_lshlrev_b64_e32 v[11:12], 4, v[11:12]
	s_wait_kmcnt 0x0
	s_delay_alu instid0(VALU_DEP_1) | instskip(SKIP_1) | instid1(VALU_DEP_2)
	v_add_co_u32 v11, vcc_lo, s4, v11
	s_wait_alu 0xfffd
	v_add_co_ci_u32_e64 v12, null, s5, v12, vcc_lo
	;;#ASMSTART
	global_load_b128 v[13:16], v[11:12] off scope:SCOPE_DEV	
s_wait_loadcnt 0x0
	;;#ASMEND
	v_and_b32_e32 v16, 0xff, v15
	s_delay_alu instid0(VALU_DEP_1)
	v_cmpx_eq_u16_e32 0, v16
	s_cbranch_execz .LBB2242_42
.LBB2242_40:                            ; =>This Inner Loop Header: Depth=1
	;;#ASMSTART
	global_load_b128 v[13:16], v[11:12] off scope:SCOPE_DEV	
s_wait_loadcnt 0x0
	;;#ASMEND
	v_and_b32_e32 v16, 0xff, v15
	s_delay_alu instid0(VALU_DEP_1)
	v_cmp_ne_u16_e32 vcc_lo, 0, v16
	s_wait_alu 0xfffe
	s_or_b32 s6, vcc_lo, s6
	s_wait_alu 0xfffe
	s_and_not1_b32 exec_lo, exec_lo, s6
	s_cbranch_execnz .LBB2242_40
; %bb.41:
	s_or_b32 exec_lo, exec_lo, s6
.LBB2242_42:
	s_wait_alu 0xfffe
	s_or_b32 exec_lo, exec_lo, s3
	v_cmp_ne_u32_e32 vcc_lo, 31, v31
	v_and_b32_e32 v12, 0xff, v15
	v_lshlrev_b32_e64 v35, v31, -1
	s_mov_b32 s3, exec_lo
	s_wait_alu 0xfffd
	v_add_co_ci_u32_e64 v11, null, 0, v31, vcc_lo
	v_cmp_eq_u16_e32 vcc_lo, 2, v12
	v_mov_b32_e32 v12, v13
	s_delay_alu instid0(VALU_DEP_3)
	v_lshlrev_b32_e32 v34, 2, v11
	s_wait_alu 0xfffd
	v_and_or_b32 v11, vcc_lo, v35, 0x80000000
	ds_bpermute_b32 v22, v34, v13
	ds_bpermute_b32 v16, v34, v14
	v_ctz_i32_b32_e32 v11, v11
	s_delay_alu instid0(VALU_DEP_1)
	v_cmpx_lt_u32_e64 v31, v11
	s_cbranch_execz .LBB2242_44
; %bb.43:
	s_wait_dscnt 0x1
	v_add_co_u32 v12, vcc_lo, v13, v22
	s_wait_alu 0xfffd
	v_add_co_ci_u32_e64 v14, null, 0, v14, vcc_lo
	s_delay_alu instid0(VALU_DEP_2) | instskip(SKIP_2) | instid1(VALU_DEP_2)
	v_add_co_u32 v13, vcc_lo, 0, v12
	s_wait_dscnt 0x0
	s_wait_alu 0xfffd
	v_add_co_ci_u32_e64 v14, null, v16, v14, vcc_lo
.LBB2242_44:
	s_wait_alu 0xfffe
	s_or_b32 exec_lo, exec_lo, s3
	v_cmp_gt_u32_e32 vcc_lo, 30, v31
	v_add_nc_u32_e32 v37, 2, v31
	s_mov_b32 s3, exec_lo
	s_wait_dscnt 0x0
	s_wait_alu 0xfffd
	v_cndmask_b32_e64 v16, 0, 2, vcc_lo
	s_delay_alu instid0(VALU_DEP_1)
	v_add_lshl_u32 v36, v16, v31, 2
	ds_bpermute_b32 v22, v36, v12
	ds_bpermute_b32 v16, v36, v14
	v_cmpx_le_u32_e64 v37, v11
	s_cbranch_execz .LBB2242_46
; %bb.45:
	s_wait_dscnt 0x1
	v_add_co_u32 v12, vcc_lo, v13, v22
	s_wait_alu 0xfffd
	v_add_co_ci_u32_e64 v14, null, 0, v14, vcc_lo
	s_delay_alu instid0(VALU_DEP_2) | instskip(SKIP_2) | instid1(VALU_DEP_2)
	v_add_co_u32 v13, vcc_lo, 0, v12
	s_wait_dscnt 0x0
	s_wait_alu 0xfffd
	v_add_co_ci_u32_e64 v14, null, v16, v14, vcc_lo
.LBB2242_46:
	s_wait_alu 0xfffe
	s_or_b32 exec_lo, exec_lo, s3
	v_cmp_gt_u32_e32 vcc_lo, 28, v31
	v_add_nc_u32_e32 v39, 4, v31
	s_mov_b32 s3, exec_lo
	s_wait_dscnt 0x0
	s_wait_alu 0xfffd
	v_cndmask_b32_e64 v16, 0, 4, vcc_lo
	s_delay_alu instid0(VALU_DEP_1)
	v_add_lshl_u32 v38, v16, v31, 2
	ds_bpermute_b32 v22, v38, v12
	ds_bpermute_b32 v16, v38, v14
	v_cmpx_le_u32_e64 v39, v11
	;; [unrolled: 25-line block ×3, first 2 shown]
	s_cbranch_execz .LBB2242_50
; %bb.49:
	s_wait_dscnt 0x1
	v_add_co_u32 v12, vcc_lo, v13, v22
	s_wait_alu 0xfffd
	v_add_co_ci_u32_e64 v14, null, 0, v14, vcc_lo
	s_delay_alu instid0(VALU_DEP_2) | instskip(SKIP_2) | instid1(VALU_DEP_2)
	v_add_co_u32 v13, vcc_lo, 0, v12
	s_wait_dscnt 0x0
	s_wait_alu 0xfffd
	v_add_co_ci_u32_e64 v14, null, v16, v14, vcc_lo
.LBB2242_50:
	s_wait_alu 0xfffe
	s_or_b32 exec_lo, exec_lo, s3
	v_lshl_or_b32 v42, v31, 2, 64
	v_add_nc_u32_e32 v43, 16, v31
	s_mov_b32 s3, exec_lo
	s_wait_dscnt 0x0
	ds_bpermute_b32 v16, v42, v12
	ds_bpermute_b32 v12, v42, v14
	v_cmpx_le_u32_e64 v43, v11
	s_cbranch_execz .LBB2242_52
; %bb.51:
	s_wait_dscnt 0x1
	v_add_co_u32 v11, vcc_lo, v13, v16
	s_wait_alu 0xfffd
	v_add_co_ci_u32_e64 v14, null, 0, v14, vcc_lo
	s_delay_alu instid0(VALU_DEP_2) | instskip(SKIP_2) | instid1(VALU_DEP_2)
	v_add_co_u32 v13, vcc_lo, v11, 0
	s_wait_dscnt 0x0
	s_wait_alu 0xfffd
	v_add_co_ci_u32_e64 v14, null, v14, v12, vcc_lo
.LBB2242_52:
	s_wait_alu 0xfffe
	s_or_b32 exec_lo, exec_lo, s3
	v_mov_b32_e32 v22, 0
	s_branch .LBB2242_55
.LBB2242_53:                            ;   in Loop: Header=BB2242_55 Depth=1
	s_wait_alu 0xfffe
	s_or_b32 exec_lo, exec_lo, s3
	v_add_co_u32 v13, vcc_lo, v13, v11
	v_subrev_nc_u32_e32 v21, 32, v21
	s_wait_alu 0xfffd
	v_add_co_ci_u32_e64 v14, null, v14, v12, vcc_lo
	s_mov_b32 s3, 0
.LBB2242_54:                            ;   in Loop: Header=BB2242_55 Depth=1
	s_wait_alu 0xfffe
	s_and_b32 vcc_lo, exec_lo, s3
	s_wait_alu 0xfffe
	s_cbranch_vccnz .LBB2242_71
.LBB2242_55:                            ; =>This Loop Header: Depth=1
                                        ;     Child Loop BB2242_58 Depth 2
	v_and_b32_e32 v11, 0xff, v15
	s_mov_b32 s3, -1
	s_delay_alu instid0(VALU_DEP_1)
	v_cmp_ne_u16_e32 vcc_lo, 2, v11
	s_wait_dscnt 0x0
	v_dual_mov_b32 v11, v13 :: v_dual_mov_b32 v12, v14
                                        ; implicit-def: $vgpr13_vgpr14
	s_cmp_lg_u32 vcc_lo, exec_lo
	s_cbranch_scc1 .LBB2242_54
; %bb.56:                               ;   in Loop: Header=BB2242_55 Depth=1
	v_lshlrev_b64_e32 v[13:14], 4, v[21:22]
	s_mov_b32 s3, exec_lo
	s_delay_alu instid0(VALU_DEP_1) | instskip(SKIP_1) | instid1(VALU_DEP_2)
	v_add_co_u32 v23, vcc_lo, s4, v13
	s_wait_alu 0xfffd
	v_add_co_ci_u32_e64 v24, null, s5, v14, vcc_lo
	;;#ASMSTART
	global_load_b128 v[13:16], v[23:24] off scope:SCOPE_DEV	
s_wait_loadcnt 0x0
	;;#ASMEND
	v_and_b32_e32 v16, 0xff, v15
	s_delay_alu instid0(VALU_DEP_1)
	v_cmpx_eq_u16_e32 0, v16
	s_cbranch_execz .LBB2242_60
; %bb.57:                               ;   in Loop: Header=BB2242_55 Depth=1
	s_mov_b32 s6, 0
.LBB2242_58:                            ;   Parent Loop BB2242_55 Depth=1
                                        ; =>  This Inner Loop Header: Depth=2
	;;#ASMSTART
	global_load_b128 v[13:16], v[23:24] off scope:SCOPE_DEV	
s_wait_loadcnt 0x0
	;;#ASMEND
	v_and_b32_e32 v16, 0xff, v15
	s_delay_alu instid0(VALU_DEP_1)
	v_cmp_ne_u16_e32 vcc_lo, 0, v16
	s_wait_alu 0xfffe
	s_or_b32 s6, vcc_lo, s6
	s_wait_alu 0xfffe
	s_and_not1_b32 exec_lo, exec_lo, s6
	s_cbranch_execnz .LBB2242_58
; %bb.59:                               ;   in Loop: Header=BB2242_55 Depth=1
	s_or_b32 exec_lo, exec_lo, s6
.LBB2242_60:                            ;   in Loop: Header=BB2242_55 Depth=1
	s_wait_alu 0xfffe
	s_or_b32 exec_lo, exec_lo, s3
	v_dual_mov_b32 v23, v13 :: v_dual_and_b32 v16, 0xff, v15
	ds_bpermute_b32 v44, v34, v13
	ds_bpermute_b32 v24, v34, v14
	s_mov_b32 s3, exec_lo
	v_cmp_eq_u16_e32 vcc_lo, 2, v16
	s_wait_alu 0xfffd
	v_and_or_b32 v16, vcc_lo, v35, 0x80000000
	s_delay_alu instid0(VALU_DEP_1) | instskip(NEXT) | instid1(VALU_DEP_1)
	v_ctz_i32_b32_e32 v16, v16
	v_cmpx_lt_u32_e64 v31, v16
	s_cbranch_execz .LBB2242_62
; %bb.61:                               ;   in Loop: Header=BB2242_55 Depth=1
	s_wait_dscnt 0x1
	v_add_co_u32 v23, vcc_lo, v13, v44
	s_wait_alu 0xfffd
	v_add_co_ci_u32_e64 v14, null, 0, v14, vcc_lo
	s_delay_alu instid0(VALU_DEP_2) | instskip(SKIP_2) | instid1(VALU_DEP_2)
	v_add_co_u32 v13, vcc_lo, 0, v23
	s_wait_dscnt 0x0
	s_wait_alu 0xfffd
	v_add_co_ci_u32_e64 v14, null, v24, v14, vcc_lo
.LBB2242_62:                            ;   in Loop: Header=BB2242_55 Depth=1
	s_wait_alu 0xfffe
	s_or_b32 exec_lo, exec_lo, s3
	s_wait_dscnt 0x1
	ds_bpermute_b32 v44, v36, v23
	s_wait_dscnt 0x1
	ds_bpermute_b32 v24, v36, v14
	s_mov_b32 s3, exec_lo
	v_cmpx_le_u32_e64 v37, v16
	s_cbranch_execz .LBB2242_64
; %bb.63:                               ;   in Loop: Header=BB2242_55 Depth=1
	s_wait_dscnt 0x1
	v_add_co_u32 v23, vcc_lo, v13, v44
	s_wait_alu 0xfffd
	v_add_co_ci_u32_e64 v14, null, 0, v14, vcc_lo
	s_delay_alu instid0(VALU_DEP_2) | instskip(SKIP_2) | instid1(VALU_DEP_2)
	v_add_co_u32 v13, vcc_lo, 0, v23
	s_wait_dscnt 0x0
	s_wait_alu 0xfffd
	v_add_co_ci_u32_e64 v14, null, v24, v14, vcc_lo
.LBB2242_64:                            ;   in Loop: Header=BB2242_55 Depth=1
	s_wait_alu 0xfffe
	s_or_b32 exec_lo, exec_lo, s3
	s_wait_dscnt 0x1
	ds_bpermute_b32 v44, v38, v23
	s_wait_dscnt 0x1
	ds_bpermute_b32 v24, v38, v14
	s_mov_b32 s3, exec_lo
	v_cmpx_le_u32_e64 v39, v16
	;; [unrolled: 20-line block ×3, first 2 shown]
	s_cbranch_execz .LBB2242_68
; %bb.67:                               ;   in Loop: Header=BB2242_55 Depth=1
	s_wait_dscnt 0x1
	v_add_co_u32 v23, vcc_lo, v13, v44
	s_wait_alu 0xfffd
	v_add_co_ci_u32_e64 v14, null, 0, v14, vcc_lo
	s_delay_alu instid0(VALU_DEP_2) | instskip(SKIP_2) | instid1(VALU_DEP_2)
	v_add_co_u32 v13, vcc_lo, 0, v23
	s_wait_dscnt 0x0
	s_wait_alu 0xfffd
	v_add_co_ci_u32_e64 v14, null, v24, v14, vcc_lo
.LBB2242_68:                            ;   in Loop: Header=BB2242_55 Depth=1
	s_wait_alu 0xfffe
	s_or_b32 exec_lo, exec_lo, s3
	s_wait_dscnt 0x0
	ds_bpermute_b32 v24, v42, v23
	ds_bpermute_b32 v23, v42, v14
	s_mov_b32 s3, exec_lo
	v_cmpx_le_u32_e64 v43, v16
	s_cbranch_execz .LBB2242_53
; %bb.69:                               ;   in Loop: Header=BB2242_55 Depth=1
	s_wait_dscnt 0x1
	v_add_co_u32 v13, vcc_lo, v13, v24
	s_wait_alu 0xfffd
	v_add_co_ci_u32_e64 v14, null, 0, v14, vcc_lo
	s_delay_alu instid0(VALU_DEP_2) | instskip(SKIP_2) | instid1(VALU_DEP_2)
	v_add_co_u32 v13, vcc_lo, v13, 0
	s_wait_dscnt 0x0
	s_wait_alu 0xfffd
	v_add_co_ci_u32_e64 v14, null, v14, v23, vcc_lo
	s_branch .LBB2242_53
.LBB2242_70:
                                        ; implicit-def: $vgpr13_vgpr14
                                        ; implicit-def: $vgpr19_vgpr20
                                        ; implicit-def: $vgpr11_vgpr12
                                        ; implicit-def: $vgpr14_vgpr15
                                        ; implicit-def: $vgpr15_vgpr16
	s_and_b32 vcc_lo, exec_lo, s1
	s_wait_alu 0xfffe
	s_cbranch_vccnz .LBB2242_76
	s_branch .LBB2242_101
.LBB2242_71:
	s_and_saveexec_b32 s3, s1
	s_cbranch_execz .LBB2242_73
; %bb.72:
	s_add_co_i32 s14, ttmp9, 32
	s_mov_b32 s15, 0
	v_add_co_u32 v13, vcc_lo, v11, v9
	s_wait_alu 0xfffe
	s_lshl_b64 s[14:15], s[14:15], 4
	v_dual_mov_b32 v15, 2 :: v_dual_mov_b32 v16, 0
	s_wait_alu 0xfffe
	s_add_nc_u64 s[14:15], s[4:5], s[14:15]
	s_wait_alu 0xfffd
	v_add_co_ci_u32_e64 v14, null, v12, v10, vcc_lo
	s_wait_alu 0xfffe
	v_dual_mov_b32 v22, s15 :: v_dual_mov_b32 v21, s14
	;;#ASMSTART
	global_store_b128 v[21:22], v[13:16] off scope:SCOPE_DEV	
s_wait_storecnt 0x0
	;;#ASMEND
	ds_store_b128 v16, v[9:12] offset:8448
.LBB2242_73:
	s_wait_alu 0xfffe
	s_or_b32 exec_lo, exec_lo, s3
	v_cmp_eq_u32_e32 vcc_lo, 0, v0
	s_and_b32 exec_lo, exec_lo, vcc_lo
; %bb.74:
	v_mov_b32_e32 v9, 0
	ds_store_b64 v9, v[11:12] offset:56
.LBB2242_75:
	s_wait_alu 0xfffe
	s_or_b32 exec_lo, exec_lo, s2
	s_wait_dscnt 0x0
	v_cndmask_b32_e64 v10, v33, v19, s1
	v_cmp_ne_u32_e32 vcc_lo, 0, v0
	v_mov_b32_e32 v9, 0
	s_wait_loadcnt 0x0
	s_barrier_signal -1
	s_barrier_wait -1
	global_inv scope:SCOPE_SE
	s_wait_alu 0xfffd
	v_cndmask_b32_e32 v16, 0, v10, vcc_lo
	ds_load_b64 v[13:14], v9 offset:56
	v_cndmask_b32_e64 v11, 0, v20, s1
	s_wait_loadcnt_dscnt 0x0
	s_barrier_signal -1
	s_barrier_wait -1
	global_inv scope:SCOPE_SE
	v_cndmask_b32_e32 v15, 0, v11, vcc_lo
	ds_load_b128 v[9:12], v9 offset:8448
	v_add_co_u32 v19, vcc_lo, v13, v16
	s_wait_alu 0xfffd
	v_add_co_ci_u32_e64 v13, null, v14, v15, vcc_lo
	s_delay_alu instid0(VALU_DEP_2) | instskip(SKIP_1) | instid1(VALU_DEP_2)
	v_add_co_u32 v15, vcc_lo, v19, v29
	s_wait_alu 0xfffd
	v_add_co_ci_u32_e64 v13, null, 0, v13, vcc_lo
	s_delay_alu instid0(VALU_DEP_2) | instskip(SKIP_1) | instid1(VALU_DEP_2)
	;; [unrolled: 4-line block ×3, first 2 shown]
	v_add_co_u32 v13, vcc_lo, v14, v30
	s_wait_alu 0xfffd
	v_add_co_ci_u32_e64 v16, null, 0, v16, vcc_lo
	s_branch .LBB2242_101
.LBB2242_76:
	s_wait_dscnt 0x0
	v_dual_mov_b32 v10, 0 :: v_dual_mov_b32 v11, v17
	v_mov_b32_dpp v12, v17 row_shr:1 row_mask:0xf bank_mask:0xf
	s_delay_alu instid0(VALU_DEP_2)
	v_mov_b32_dpp v9, v10 row_shr:1 row_mask:0xf bank_mask:0xf
	s_and_saveexec_b32 s1, s0
; %bb.77:
	s_delay_alu instid0(VALU_DEP_2) | instskip(SKIP_2) | instid1(VALU_DEP_2)
	v_add_co_u32 v11, vcc_lo, v17, v12
	s_wait_alu 0xfffd
	v_add_co_ci_u32_e64 v10, null, 0, v18, vcc_lo
	v_add_co_u32 v17, vcc_lo, 0, v11
	s_wait_alu 0xfffd
	s_delay_alu instid0(VALU_DEP_2) | instskip(NEXT) | instid1(VALU_DEP_1)
	v_add_co_ci_u32_e64 v18, null, v9, v10, vcc_lo
	v_mov_b32_e32 v10, v18
; %bb.78:
	s_wait_alu 0xfffe
	s_or_b32 exec_lo, exec_lo, s1
	v_mov_b32_dpp v9, v11 row_shr:2 row_mask:0xf bank_mask:0xf
	s_delay_alu instid0(VALU_DEP_2)
	v_mov_b32_dpp v12, v10 row_shr:2 row_mask:0xf bank_mask:0xf
	s_mov_b32 s0, exec_lo
	v_cmpx_lt_u32_e32 1, v32
; %bb.79:
	s_delay_alu instid0(VALU_DEP_3) | instskip(SKIP_2) | instid1(VALU_DEP_2)
	v_add_co_u32 v11, vcc_lo, v17, v9
	s_wait_alu 0xfffd
	v_add_co_ci_u32_e64 v10, null, 0, v18, vcc_lo
	v_add_co_u32 v9, vcc_lo, 0, v11
	s_wait_alu 0xfffd
	s_delay_alu instid0(VALU_DEP_2) | instskip(NEXT) | instid1(VALU_DEP_1)
	v_add_co_ci_u32_e64 v10, null, v12, v10, vcc_lo
	v_dual_mov_b32 v18, v10 :: v_dual_mov_b32 v17, v9
; %bb.80:
	s_wait_alu 0xfffe
	s_or_b32 exec_lo, exec_lo, s0
	v_mov_b32_dpp v9, v11 row_shr:4 row_mask:0xf bank_mask:0xf
	v_mov_b32_dpp v12, v10 row_shr:4 row_mask:0xf bank_mask:0xf
	s_mov_b32 s0, exec_lo
	v_cmpx_lt_u32_e32 3, v32
; %bb.81:
	s_delay_alu instid0(VALU_DEP_3) | instskip(SKIP_2) | instid1(VALU_DEP_2)
	v_add_co_u32 v11, vcc_lo, v17, v9
	s_wait_alu 0xfffd
	v_add_co_ci_u32_e64 v10, null, 0, v18, vcc_lo
	v_add_co_u32 v9, vcc_lo, 0, v11
	s_wait_alu 0xfffd
	s_delay_alu instid0(VALU_DEP_2) | instskip(NEXT) | instid1(VALU_DEP_1)
	v_add_co_ci_u32_e64 v10, null, v12, v10, vcc_lo
	v_dual_mov_b32 v18, v10 :: v_dual_mov_b32 v17, v9
; %bb.82:
	s_wait_alu 0xfffe
	s_or_b32 exec_lo, exec_lo, s0
	v_mov_b32_dpp v12, v11 row_shr:8 row_mask:0xf bank_mask:0xf
	v_mov_b32_dpp v9, v10 row_shr:8 row_mask:0xf bank_mask:0xf
	s_mov_b32 s0, exec_lo
	v_cmpx_lt_u32_e32 7, v32
; %bb.83:
	s_delay_alu instid0(VALU_DEP_3) | instskip(SKIP_2) | instid1(VALU_DEP_2)
	v_add_co_u32 v11, vcc_lo, v17, v12
	s_wait_alu 0xfffd
	v_add_co_ci_u32_e64 v10, null, 0, v18, vcc_lo
	v_add_co_u32 v17, vcc_lo, 0, v11
	s_wait_alu 0xfffd
	s_delay_alu instid0(VALU_DEP_2) | instskip(NEXT) | instid1(VALU_DEP_1)
	v_add_co_ci_u32_e64 v18, null, v9, v10, vcc_lo
	v_mov_b32_e32 v10, v18
; %bb.84:
	s_wait_alu 0xfffe
	s_or_b32 exec_lo, exec_lo, s0
	ds_swizzle_b32 v11, v11 offset:swizzle(BROADCAST,32,15)
	ds_swizzle_b32 v9, v10 offset:swizzle(BROADCAST,32,15)
	v_and_b32_e32 v10, 16, v31
	s_mov_b32 s0, exec_lo
	s_delay_alu instid0(VALU_DEP_1)
	v_cmpx_ne_u32_e32 0, v10
	s_cbranch_execz .LBB2242_86
; %bb.85:
	s_wait_dscnt 0x1
	v_add_co_u32 v10, vcc_lo, v17, v11
	s_wait_alu 0xfffd
	v_add_co_ci_u32_e64 v11, null, 0, v18, vcc_lo
	s_delay_alu instid0(VALU_DEP_2) | instskip(SKIP_2) | instid1(VALU_DEP_2)
	v_add_co_u32 v17, vcc_lo, v10, 0
	s_wait_dscnt 0x0
	s_wait_alu 0xfffd
	v_add_co_ci_u32_e64 v18, null, v11, v9, vcc_lo
.LBB2242_86:
	s_wait_alu 0xfffe
	s_or_b32 exec_lo, exec_lo, s0
	s_wait_dscnt 0x0
	v_or_b32_e32 v9, 31, v0
	v_lshrrev_b32_e32 v11, 5, v0
	s_mov_b32 s0, exec_lo
	s_delay_alu instid0(VALU_DEP_2)
	v_cmpx_eq_u32_e64 v0, v9
; %bb.87:
	s_delay_alu instid0(VALU_DEP_2)
	v_lshlrev_b32_e32 v9, 3, v11
	ds_store_b64 v9, v[17:18]
; %bb.88:
	s_wait_alu 0xfffe
	s_or_b32 exec_lo, exec_lo, s0
	s_delay_alu instid0(SALU_CYCLE_1)
	s_mov_b32 s0, exec_lo
	s_wait_loadcnt_dscnt 0x0
	s_barrier_signal -1
	s_barrier_wait -1
	global_inv scope:SCOPE_SE
	v_cmpx_gt_u32_e32 8, v0
	s_cbranch_execz .LBB2242_96
; %bb.89:
	v_lshlrev_b32_e32 v12, 3, v0
	s_mov_b32 s1, exec_lo
	ds_load_b64 v[9:10], v12
	s_wait_dscnt 0x0
	v_dual_mov_b32 v14, v9 :: v_dual_and_b32 v13, 7, v31
	v_mov_b32_dpp v16, v9 row_shr:1 row_mask:0xf bank_mask:0xf
	v_mov_b32_dpp v15, v10 row_shr:1 row_mask:0xf bank_mask:0xf
	s_delay_alu instid0(VALU_DEP_3)
	v_cmpx_ne_u32_e32 0, v13
; %bb.90:
	s_delay_alu instid0(VALU_DEP_3) | instskip(SKIP_2) | instid1(VALU_DEP_2)
	v_add_co_u32 v14, vcc_lo, v9, v16
	s_wait_alu 0xfffd
	v_add_co_ci_u32_e64 v10, null, 0, v10, vcc_lo
	v_add_co_u32 v9, vcc_lo, 0, v14
	s_wait_alu 0xfffd
	s_delay_alu instid0(VALU_DEP_2)
	v_add_co_ci_u32_e64 v10, null, v15, v10, vcc_lo
; %bb.91:
	s_wait_alu 0xfffe
	s_or_b32 exec_lo, exec_lo, s1
	v_mov_b32_dpp v16, v14 row_shr:2 row_mask:0xf bank_mask:0xf
	s_delay_alu instid0(VALU_DEP_2)
	v_mov_b32_dpp v15, v10 row_shr:2 row_mask:0xf bank_mask:0xf
	s_mov_b32 s1, exec_lo
	v_cmpx_lt_u32_e32 1, v13
; %bb.92:
	s_delay_alu instid0(VALU_DEP_3) | instskip(SKIP_2) | instid1(VALU_DEP_2)
	v_add_co_u32 v14, vcc_lo, v9, v16
	s_wait_alu 0xfffd
	v_add_co_ci_u32_e64 v10, null, 0, v10, vcc_lo
	v_add_co_u32 v9, vcc_lo, 0, v14
	s_wait_alu 0xfffd
	s_delay_alu instid0(VALU_DEP_2)
	v_add_co_ci_u32_e64 v10, null, v15, v10, vcc_lo
; %bb.93:
	s_wait_alu 0xfffe
	s_or_b32 exec_lo, exec_lo, s1
	v_mov_b32_dpp v15, v14 row_shr:4 row_mask:0xf bank_mask:0xf
	s_delay_alu instid0(VALU_DEP_2)
	v_mov_b32_dpp v14, v10 row_shr:4 row_mask:0xf bank_mask:0xf
	s_mov_b32 s1, exec_lo
	v_cmpx_lt_u32_e32 3, v13
; %bb.94:
	s_delay_alu instid0(VALU_DEP_3) | instskip(SKIP_2) | instid1(VALU_DEP_2)
	v_add_co_u32 v9, vcc_lo, v9, v15
	s_wait_alu 0xfffd
	v_add_co_ci_u32_e64 v10, null, 0, v10, vcc_lo
	v_add_co_u32 v9, vcc_lo, v9, 0
	s_wait_alu 0xfffd
	s_delay_alu instid0(VALU_DEP_2)
	v_add_co_ci_u32_e64 v10, null, v10, v14, vcc_lo
; %bb.95:
	s_wait_alu 0xfffe
	s_or_b32 exec_lo, exec_lo, s1
	ds_store_b64 v12, v[9:10]
.LBB2242_96:
	s_wait_alu 0xfffe
	s_or_b32 exec_lo, exec_lo, s0
	v_mov_b32_e32 v13, 0
	v_mov_b32_e32 v14, 0
	s_mov_b32 s0, exec_lo
	s_wait_loadcnt_dscnt 0x0
	s_barrier_signal -1
	s_barrier_wait -1
	global_inv scope:SCOPE_SE
	v_cmpx_lt_u32_e32 31, v0
; %bb.97:
	v_lshl_add_u32 v9, v11, 3, -8
	ds_load_b64 v[13:14], v9
; %bb.98:
	s_wait_alu 0xfffe
	s_or_b32 exec_lo, exec_lo, s0
	v_sub_co_u32 v9, vcc_lo, v31, 1
	s_wait_dscnt 0x0
	v_add_nc_u32_e32 v10, v13, v17
	v_mov_b32_e32 v12, 0
	s_delay_alu instid0(VALU_DEP_3) | instskip(SKIP_1) | instid1(VALU_DEP_1)
	v_cmp_gt_i32_e64 s0, 0, v9
	s_wait_alu 0xf1ff
	v_cndmask_b32_e64 v9, v9, v31, s0
	v_cmp_eq_u32_e64 s0, 0, v0
	s_delay_alu instid0(VALU_DEP_2)
	v_lshlrev_b32_e32 v9, 2, v9
	ds_bpermute_b32 v15, v9, v10
	ds_load_b64 v[9:10], v12 offset:56
	s_and_saveexec_b32 s1, s0
	s_cbranch_execz .LBB2242_100
; %bb.99:
	s_wait_kmcnt 0x0
	s_add_nc_u64 s[2:3], s[4:5], 0x200
	v_mov_b32_e32 v11, 2
	s_wait_alu 0xfffe
	v_dual_mov_b32 v17, s3 :: v_dual_mov_b32 v16, s2
	s_wait_dscnt 0x0
	;;#ASMSTART
	global_store_b128 v[16:17], v[9:12] off scope:SCOPE_DEV	
s_wait_storecnt 0x0
	;;#ASMEND
.LBB2242_100:
	s_wait_alu 0xfffe
	s_or_b32 exec_lo, exec_lo, s1
	s_wait_dscnt 0x1
	s_wait_alu 0xfffd
	v_dual_cndmask_b32 v11, v15, v13 :: v_dual_cndmask_b32 v12, 0, v14
	s_wait_loadcnt_dscnt 0x0
	s_barrier_signal -1
	s_barrier_wait -1
	s_delay_alu instid0(VALU_DEP_1)
	v_cndmask_b32_e64 v19, v11, 0, s0
	v_cndmask_b32_e64 v11, v12, 0, s0
	global_inv scope:SCOPE_SE
	v_add_co_u32 v15, vcc_lo, v19, v29
	s_wait_alu 0xfffd
	v_add_co_ci_u32_e64 v11, null, 0, v11, vcc_lo
	s_delay_alu instid0(VALU_DEP_2) | instskip(SKIP_1) | instid1(VALU_DEP_2)
	v_add_co_u32 v14, vcc_lo, v15, v28
	s_wait_alu 0xfffd
	v_add_co_ci_u32_e64 v16, null, 0, v11, vcc_lo
	v_mov_b32_e32 v11, 0
	v_mov_b32_e32 v12, 0
	v_add_co_u32 v13, vcc_lo, v14, v30
	s_wait_alu 0xfffd
	v_add_co_ci_u32_e64 v16, null, 0, v16, vcc_lo
.LBB2242_101:
	s_wait_dscnt 0x0
	v_cmp_gt_u64_e32 vcc_lo, 0x101, v[9:10]
	s_cbranch_vccz .LBB2242_104
; %bb.102:
	v_cmp_eq_u32_e32 vcc_lo, 0, v0
	s_and_b32 s0, vcc_lo, s7
	s_wait_alu 0xfffe
	s_and_saveexec_b32 s1, s0
	s_cbranch_execnz .LBB2242_113
.LBB2242_103:
	s_endpgm
.LBB2242_104:
	v_and_b32_e32 v16, 1, v27
	s_mov_b32 s0, exec_lo
	s_delay_alu instid0(VALU_DEP_1)
	v_cmpx_eq_u32_e32 1, v16
; %bb.105:
	v_sub_nc_u32_e32 v16, v19, v11
	s_delay_alu instid0(VALU_DEP_1)
	v_lshlrev_b32_e32 v16, 3, v16
	ds_store_b64 v16, v[1:2]
; %bb.106:
	s_wait_alu 0xfffe
	s_or_b32 exec_lo, exec_lo, s0
	v_and_b32_e32 v1, 1, v26
	s_mov_b32 s0, exec_lo
	s_delay_alu instid0(VALU_DEP_1)
	v_cmpx_eq_u32_e32 1, v1
; %bb.107:
	v_sub_nc_u32_e32 v1, v15, v11
	s_delay_alu instid0(VALU_DEP_1)
	v_lshlrev_b32_e32 v1, 3, v1
	ds_store_b64 v1, v[5:6]
; %bb.108:
	s_wait_alu 0xfffe
	s_or_b32 exec_lo, exec_lo, s0
	;; [unrolled: 12-line block ×3, first 2 shown]
	s_and_saveexec_b32 s0, s12
; %bb.111:
	v_sub_nc_u32_e32 v1, v13, v11
	s_delay_alu instid0(VALU_DEP_1)
	v_lshlrev_b32_e32 v1, 3, v1
	ds_store_b64 v1, v[3:4]
; %bb.112:
	s_wait_alu 0xfffe
	s_or_b32 exec_lo, exec_lo, s0
	s_wait_loadcnt_dscnt 0x0
	s_barrier_signal -1
	s_barrier_wait -1
	global_inv scope:SCOPE_SE
	v_cmp_eq_u32_e32 vcc_lo, 0, v0
	s_and_b32 s0, vcc_lo, s7
	s_wait_alu 0xfffe
	s_and_saveexec_b32 s1, s0
	s_cbranch_execz .LBB2242_103
.LBB2242_113:
	s_wait_kmcnt 0x0
	v_add_co_u32 v0, vcc_lo, v9, s10
	s_wait_alu 0xfffd
	v_add_co_ci_u32_e64 v1, null, s11, v10, vcc_lo
	v_mov_b32_e32 v2, 0
	s_delay_alu instid0(VALU_DEP_3) | instskip(SKIP_1) | instid1(VALU_DEP_3)
	v_add_co_u32 v0, vcc_lo, v0, v11
	s_wait_alu 0xfffd
	v_add_co_ci_u32_e64 v1, null, v1, v12, vcc_lo
	global_store_b64 v2, v[0:1], s[8:9]
	s_endpgm
.LBB2242_114:
	v_dual_mov_b32 v15, v1 :: v_dual_lshlrev_b32 v2, 3, v0
	v_dual_mov_b32 v16, v1 :: v_dual_mov_b32 v17, v1
	v_dual_mov_b32 v18, v1 :: v_dual_mov_b32 v19, v1
	s_delay_alu instid0(VALU_DEP_3) | instskip(NEXT) | instid1(VALU_DEP_1)
	v_add_co_u32 v2, s6, s2, v2
	v_add_co_ci_u32_e64 v3, null, s3, 0, s6
	v_mov_b32_e32 v20, v1
	flat_load_b64 v[13:14], v[2:3]
	s_wait_loadcnt_dscnt 0x0
	v_dual_mov_b32 v1, v13 :: v_dual_mov_b32 v2, v14
	v_dual_mov_b32 v3, v15 :: v_dual_mov_b32 v4, v16
	v_dual_mov_b32 v5, v17 :: v_dual_mov_b32 v6, v18
	v_dual_mov_b32 v7, v19 :: v_dual_mov_b32 v8, v20
	s_or_b32 exec_lo, exec_lo, s5
	s_delay_alu instid0(SALU_CYCLE_1)
	s_mov_b32 s5, exec_lo
	v_cmpx_gt_u32_e64 s13, v12
	s_cbranch_execz .LBB2242_5
.LBB2242_115:
	v_lshlrev_b32_e32 v3, 3, v0
	s_delay_alu instid0(VALU_DEP_1)
	v_add_co_u32 v3, s6, s2, v3
	s_wait_alu 0xf1ff
	v_add_co_ci_u32_e64 v4, null, s3, 0, s6
	flat_load_b64 v[3:4], v[3:4] offset:2048
	s_wait_alu 0xfffe
	s_or_b32 exec_lo, exec_lo, s5
	s_delay_alu instid0(SALU_CYCLE_1)
	s_mov_b32 s5, exec_lo
	v_cmpx_gt_u32_e64 s13, v11
	s_cbranch_execz .LBB2242_6
.LBB2242_116:
	v_lshlrev_b32_e32 v5, 3, v0
	s_delay_alu instid0(VALU_DEP_1)
	v_add_co_u32 v5, s6, s2, v5
	s_wait_alu 0xf1ff
	v_add_co_ci_u32_e64 v6, null, s3, 0, s6
	flat_load_b64 v[5:6], v[5:6] offset:4096
	s_wait_alu 0xfffe
	s_or_b32 exec_lo, exec_lo, s5
	s_delay_alu instid0(SALU_CYCLE_1)
	s_mov_b32 s5, exec_lo
	v_cmpx_gt_u32_e64 s13, v10
	s_cbranch_execnz .LBB2242_7
	s_branch .LBB2242_8
	.section	.rodata,"a",@progbits
	.p2align	6, 0x0
	.amdhsa_kernel _ZN7rocprim17ROCPRIM_400000_NS6detail17trampoline_kernelINS0_14default_configENS1_25partition_config_selectorILNS1_17partition_subalgoE6ExNS0_10empty_typeEbEEZZNS1_14partition_implILS5_6ELb0ES3_mN6thrust23THRUST_200600_302600_NS6detail15normal_iteratorINSA_10device_ptrIxEEEEPS6_SG_NS0_5tupleIJNSA_16discard_iteratorINSA_11use_defaultEEES6_EEENSH_IJSG_SG_EEES6_PlJNSB_9not_fun_tI7is_trueIxEEEEEE10hipError_tPvRmT3_T4_T5_T6_T7_T9_mT8_P12ihipStream_tbDpT10_ENKUlT_T0_E_clISt17integral_constantIbLb0EES1B_EEDaS16_S17_EUlS16_E_NS1_11comp_targetILNS1_3genE10ELNS1_11target_archE1200ELNS1_3gpuE4ELNS1_3repE0EEENS1_30default_config_static_selectorELNS0_4arch9wavefront6targetE0EEEvT1_
		.amdhsa_group_segment_fixed_size 8464
		.amdhsa_private_segment_fixed_size 0
		.amdhsa_kernarg_size 120
		.amdhsa_user_sgpr_count 2
		.amdhsa_user_sgpr_dispatch_ptr 0
		.amdhsa_user_sgpr_queue_ptr 0
		.amdhsa_user_sgpr_kernarg_segment_ptr 1
		.amdhsa_user_sgpr_dispatch_id 0
		.amdhsa_user_sgpr_private_segment_size 0
		.amdhsa_wavefront_size32 1
		.amdhsa_uses_dynamic_stack 0
		.amdhsa_enable_private_segment 0
		.amdhsa_system_sgpr_workgroup_id_x 1
		.amdhsa_system_sgpr_workgroup_id_y 0
		.amdhsa_system_sgpr_workgroup_id_z 0
		.amdhsa_system_sgpr_workgroup_info 0
		.amdhsa_system_vgpr_workitem_id 0
		.amdhsa_next_free_vgpr 45
		.amdhsa_next_free_sgpr 21
		.amdhsa_reserve_vcc 1
		.amdhsa_float_round_mode_32 0
		.amdhsa_float_round_mode_16_64 0
		.amdhsa_float_denorm_mode_32 3
		.amdhsa_float_denorm_mode_16_64 3
		.amdhsa_fp16_overflow 0
		.amdhsa_workgroup_processor_mode 1
		.amdhsa_memory_ordered 1
		.amdhsa_forward_progress 1
		.amdhsa_inst_pref_size 45
		.amdhsa_round_robin_scheduling 0
		.amdhsa_exception_fp_ieee_invalid_op 0
		.amdhsa_exception_fp_denorm_src 0
		.amdhsa_exception_fp_ieee_div_zero 0
		.amdhsa_exception_fp_ieee_overflow 0
		.amdhsa_exception_fp_ieee_underflow 0
		.amdhsa_exception_fp_ieee_inexact 0
		.amdhsa_exception_int_div_zero 0
	.end_amdhsa_kernel
	.section	.text._ZN7rocprim17ROCPRIM_400000_NS6detail17trampoline_kernelINS0_14default_configENS1_25partition_config_selectorILNS1_17partition_subalgoE6ExNS0_10empty_typeEbEEZZNS1_14partition_implILS5_6ELb0ES3_mN6thrust23THRUST_200600_302600_NS6detail15normal_iteratorINSA_10device_ptrIxEEEEPS6_SG_NS0_5tupleIJNSA_16discard_iteratorINSA_11use_defaultEEES6_EEENSH_IJSG_SG_EEES6_PlJNSB_9not_fun_tI7is_trueIxEEEEEE10hipError_tPvRmT3_T4_T5_T6_T7_T9_mT8_P12ihipStream_tbDpT10_ENKUlT_T0_E_clISt17integral_constantIbLb0EES1B_EEDaS16_S17_EUlS16_E_NS1_11comp_targetILNS1_3genE10ELNS1_11target_archE1200ELNS1_3gpuE4ELNS1_3repE0EEENS1_30default_config_static_selectorELNS0_4arch9wavefront6targetE0EEEvT1_,"axG",@progbits,_ZN7rocprim17ROCPRIM_400000_NS6detail17trampoline_kernelINS0_14default_configENS1_25partition_config_selectorILNS1_17partition_subalgoE6ExNS0_10empty_typeEbEEZZNS1_14partition_implILS5_6ELb0ES3_mN6thrust23THRUST_200600_302600_NS6detail15normal_iteratorINSA_10device_ptrIxEEEEPS6_SG_NS0_5tupleIJNSA_16discard_iteratorINSA_11use_defaultEEES6_EEENSH_IJSG_SG_EEES6_PlJNSB_9not_fun_tI7is_trueIxEEEEEE10hipError_tPvRmT3_T4_T5_T6_T7_T9_mT8_P12ihipStream_tbDpT10_ENKUlT_T0_E_clISt17integral_constantIbLb0EES1B_EEDaS16_S17_EUlS16_E_NS1_11comp_targetILNS1_3genE10ELNS1_11target_archE1200ELNS1_3gpuE4ELNS1_3repE0EEENS1_30default_config_static_selectorELNS0_4arch9wavefront6targetE0EEEvT1_,comdat
.Lfunc_end2242:
	.size	_ZN7rocprim17ROCPRIM_400000_NS6detail17trampoline_kernelINS0_14default_configENS1_25partition_config_selectorILNS1_17partition_subalgoE6ExNS0_10empty_typeEbEEZZNS1_14partition_implILS5_6ELb0ES3_mN6thrust23THRUST_200600_302600_NS6detail15normal_iteratorINSA_10device_ptrIxEEEEPS6_SG_NS0_5tupleIJNSA_16discard_iteratorINSA_11use_defaultEEES6_EEENSH_IJSG_SG_EEES6_PlJNSB_9not_fun_tI7is_trueIxEEEEEE10hipError_tPvRmT3_T4_T5_T6_T7_T9_mT8_P12ihipStream_tbDpT10_ENKUlT_T0_E_clISt17integral_constantIbLb0EES1B_EEDaS16_S17_EUlS16_E_NS1_11comp_targetILNS1_3genE10ELNS1_11target_archE1200ELNS1_3gpuE4ELNS1_3repE0EEENS1_30default_config_static_selectorELNS0_4arch9wavefront6targetE0EEEvT1_, .Lfunc_end2242-_ZN7rocprim17ROCPRIM_400000_NS6detail17trampoline_kernelINS0_14default_configENS1_25partition_config_selectorILNS1_17partition_subalgoE6ExNS0_10empty_typeEbEEZZNS1_14partition_implILS5_6ELb0ES3_mN6thrust23THRUST_200600_302600_NS6detail15normal_iteratorINSA_10device_ptrIxEEEEPS6_SG_NS0_5tupleIJNSA_16discard_iteratorINSA_11use_defaultEEES6_EEENSH_IJSG_SG_EEES6_PlJNSB_9not_fun_tI7is_trueIxEEEEEE10hipError_tPvRmT3_T4_T5_T6_T7_T9_mT8_P12ihipStream_tbDpT10_ENKUlT_T0_E_clISt17integral_constantIbLb0EES1B_EEDaS16_S17_EUlS16_E_NS1_11comp_targetILNS1_3genE10ELNS1_11target_archE1200ELNS1_3gpuE4ELNS1_3repE0EEENS1_30default_config_static_selectorELNS0_4arch9wavefront6targetE0EEEvT1_
                                        ; -- End function
	.set _ZN7rocprim17ROCPRIM_400000_NS6detail17trampoline_kernelINS0_14default_configENS1_25partition_config_selectorILNS1_17partition_subalgoE6ExNS0_10empty_typeEbEEZZNS1_14partition_implILS5_6ELb0ES3_mN6thrust23THRUST_200600_302600_NS6detail15normal_iteratorINSA_10device_ptrIxEEEEPS6_SG_NS0_5tupleIJNSA_16discard_iteratorINSA_11use_defaultEEES6_EEENSH_IJSG_SG_EEES6_PlJNSB_9not_fun_tI7is_trueIxEEEEEE10hipError_tPvRmT3_T4_T5_T6_T7_T9_mT8_P12ihipStream_tbDpT10_ENKUlT_T0_E_clISt17integral_constantIbLb0EES1B_EEDaS16_S17_EUlS16_E_NS1_11comp_targetILNS1_3genE10ELNS1_11target_archE1200ELNS1_3gpuE4ELNS1_3repE0EEENS1_30default_config_static_selectorELNS0_4arch9wavefront6targetE0EEEvT1_.num_vgpr, 45
	.set _ZN7rocprim17ROCPRIM_400000_NS6detail17trampoline_kernelINS0_14default_configENS1_25partition_config_selectorILNS1_17partition_subalgoE6ExNS0_10empty_typeEbEEZZNS1_14partition_implILS5_6ELb0ES3_mN6thrust23THRUST_200600_302600_NS6detail15normal_iteratorINSA_10device_ptrIxEEEEPS6_SG_NS0_5tupleIJNSA_16discard_iteratorINSA_11use_defaultEEES6_EEENSH_IJSG_SG_EEES6_PlJNSB_9not_fun_tI7is_trueIxEEEEEE10hipError_tPvRmT3_T4_T5_T6_T7_T9_mT8_P12ihipStream_tbDpT10_ENKUlT_T0_E_clISt17integral_constantIbLb0EES1B_EEDaS16_S17_EUlS16_E_NS1_11comp_targetILNS1_3genE10ELNS1_11target_archE1200ELNS1_3gpuE4ELNS1_3repE0EEENS1_30default_config_static_selectorELNS0_4arch9wavefront6targetE0EEEvT1_.num_agpr, 0
	.set _ZN7rocprim17ROCPRIM_400000_NS6detail17trampoline_kernelINS0_14default_configENS1_25partition_config_selectorILNS1_17partition_subalgoE6ExNS0_10empty_typeEbEEZZNS1_14partition_implILS5_6ELb0ES3_mN6thrust23THRUST_200600_302600_NS6detail15normal_iteratorINSA_10device_ptrIxEEEEPS6_SG_NS0_5tupleIJNSA_16discard_iteratorINSA_11use_defaultEEES6_EEENSH_IJSG_SG_EEES6_PlJNSB_9not_fun_tI7is_trueIxEEEEEE10hipError_tPvRmT3_T4_T5_T6_T7_T9_mT8_P12ihipStream_tbDpT10_ENKUlT_T0_E_clISt17integral_constantIbLb0EES1B_EEDaS16_S17_EUlS16_E_NS1_11comp_targetILNS1_3genE10ELNS1_11target_archE1200ELNS1_3gpuE4ELNS1_3repE0EEENS1_30default_config_static_selectorELNS0_4arch9wavefront6targetE0EEEvT1_.numbered_sgpr, 21
	.set _ZN7rocprim17ROCPRIM_400000_NS6detail17trampoline_kernelINS0_14default_configENS1_25partition_config_selectorILNS1_17partition_subalgoE6ExNS0_10empty_typeEbEEZZNS1_14partition_implILS5_6ELb0ES3_mN6thrust23THRUST_200600_302600_NS6detail15normal_iteratorINSA_10device_ptrIxEEEEPS6_SG_NS0_5tupleIJNSA_16discard_iteratorINSA_11use_defaultEEES6_EEENSH_IJSG_SG_EEES6_PlJNSB_9not_fun_tI7is_trueIxEEEEEE10hipError_tPvRmT3_T4_T5_T6_T7_T9_mT8_P12ihipStream_tbDpT10_ENKUlT_T0_E_clISt17integral_constantIbLb0EES1B_EEDaS16_S17_EUlS16_E_NS1_11comp_targetILNS1_3genE10ELNS1_11target_archE1200ELNS1_3gpuE4ELNS1_3repE0EEENS1_30default_config_static_selectorELNS0_4arch9wavefront6targetE0EEEvT1_.num_named_barrier, 0
	.set _ZN7rocprim17ROCPRIM_400000_NS6detail17trampoline_kernelINS0_14default_configENS1_25partition_config_selectorILNS1_17partition_subalgoE6ExNS0_10empty_typeEbEEZZNS1_14partition_implILS5_6ELb0ES3_mN6thrust23THRUST_200600_302600_NS6detail15normal_iteratorINSA_10device_ptrIxEEEEPS6_SG_NS0_5tupleIJNSA_16discard_iteratorINSA_11use_defaultEEES6_EEENSH_IJSG_SG_EEES6_PlJNSB_9not_fun_tI7is_trueIxEEEEEE10hipError_tPvRmT3_T4_T5_T6_T7_T9_mT8_P12ihipStream_tbDpT10_ENKUlT_T0_E_clISt17integral_constantIbLb0EES1B_EEDaS16_S17_EUlS16_E_NS1_11comp_targetILNS1_3genE10ELNS1_11target_archE1200ELNS1_3gpuE4ELNS1_3repE0EEENS1_30default_config_static_selectorELNS0_4arch9wavefront6targetE0EEEvT1_.private_seg_size, 0
	.set _ZN7rocprim17ROCPRIM_400000_NS6detail17trampoline_kernelINS0_14default_configENS1_25partition_config_selectorILNS1_17partition_subalgoE6ExNS0_10empty_typeEbEEZZNS1_14partition_implILS5_6ELb0ES3_mN6thrust23THRUST_200600_302600_NS6detail15normal_iteratorINSA_10device_ptrIxEEEEPS6_SG_NS0_5tupleIJNSA_16discard_iteratorINSA_11use_defaultEEES6_EEENSH_IJSG_SG_EEES6_PlJNSB_9not_fun_tI7is_trueIxEEEEEE10hipError_tPvRmT3_T4_T5_T6_T7_T9_mT8_P12ihipStream_tbDpT10_ENKUlT_T0_E_clISt17integral_constantIbLb0EES1B_EEDaS16_S17_EUlS16_E_NS1_11comp_targetILNS1_3genE10ELNS1_11target_archE1200ELNS1_3gpuE4ELNS1_3repE0EEENS1_30default_config_static_selectorELNS0_4arch9wavefront6targetE0EEEvT1_.uses_vcc, 1
	.set _ZN7rocprim17ROCPRIM_400000_NS6detail17trampoline_kernelINS0_14default_configENS1_25partition_config_selectorILNS1_17partition_subalgoE6ExNS0_10empty_typeEbEEZZNS1_14partition_implILS5_6ELb0ES3_mN6thrust23THRUST_200600_302600_NS6detail15normal_iteratorINSA_10device_ptrIxEEEEPS6_SG_NS0_5tupleIJNSA_16discard_iteratorINSA_11use_defaultEEES6_EEENSH_IJSG_SG_EEES6_PlJNSB_9not_fun_tI7is_trueIxEEEEEE10hipError_tPvRmT3_T4_T5_T6_T7_T9_mT8_P12ihipStream_tbDpT10_ENKUlT_T0_E_clISt17integral_constantIbLb0EES1B_EEDaS16_S17_EUlS16_E_NS1_11comp_targetILNS1_3genE10ELNS1_11target_archE1200ELNS1_3gpuE4ELNS1_3repE0EEENS1_30default_config_static_selectorELNS0_4arch9wavefront6targetE0EEEvT1_.uses_flat_scratch, 1
	.set _ZN7rocprim17ROCPRIM_400000_NS6detail17trampoline_kernelINS0_14default_configENS1_25partition_config_selectorILNS1_17partition_subalgoE6ExNS0_10empty_typeEbEEZZNS1_14partition_implILS5_6ELb0ES3_mN6thrust23THRUST_200600_302600_NS6detail15normal_iteratorINSA_10device_ptrIxEEEEPS6_SG_NS0_5tupleIJNSA_16discard_iteratorINSA_11use_defaultEEES6_EEENSH_IJSG_SG_EEES6_PlJNSB_9not_fun_tI7is_trueIxEEEEEE10hipError_tPvRmT3_T4_T5_T6_T7_T9_mT8_P12ihipStream_tbDpT10_ENKUlT_T0_E_clISt17integral_constantIbLb0EES1B_EEDaS16_S17_EUlS16_E_NS1_11comp_targetILNS1_3genE10ELNS1_11target_archE1200ELNS1_3gpuE4ELNS1_3repE0EEENS1_30default_config_static_selectorELNS0_4arch9wavefront6targetE0EEEvT1_.has_dyn_sized_stack, 0
	.set _ZN7rocprim17ROCPRIM_400000_NS6detail17trampoline_kernelINS0_14default_configENS1_25partition_config_selectorILNS1_17partition_subalgoE6ExNS0_10empty_typeEbEEZZNS1_14partition_implILS5_6ELb0ES3_mN6thrust23THRUST_200600_302600_NS6detail15normal_iteratorINSA_10device_ptrIxEEEEPS6_SG_NS0_5tupleIJNSA_16discard_iteratorINSA_11use_defaultEEES6_EEENSH_IJSG_SG_EEES6_PlJNSB_9not_fun_tI7is_trueIxEEEEEE10hipError_tPvRmT3_T4_T5_T6_T7_T9_mT8_P12ihipStream_tbDpT10_ENKUlT_T0_E_clISt17integral_constantIbLb0EES1B_EEDaS16_S17_EUlS16_E_NS1_11comp_targetILNS1_3genE10ELNS1_11target_archE1200ELNS1_3gpuE4ELNS1_3repE0EEENS1_30default_config_static_selectorELNS0_4arch9wavefront6targetE0EEEvT1_.has_recursion, 0
	.set _ZN7rocprim17ROCPRIM_400000_NS6detail17trampoline_kernelINS0_14default_configENS1_25partition_config_selectorILNS1_17partition_subalgoE6ExNS0_10empty_typeEbEEZZNS1_14partition_implILS5_6ELb0ES3_mN6thrust23THRUST_200600_302600_NS6detail15normal_iteratorINSA_10device_ptrIxEEEEPS6_SG_NS0_5tupleIJNSA_16discard_iteratorINSA_11use_defaultEEES6_EEENSH_IJSG_SG_EEES6_PlJNSB_9not_fun_tI7is_trueIxEEEEEE10hipError_tPvRmT3_T4_T5_T6_T7_T9_mT8_P12ihipStream_tbDpT10_ENKUlT_T0_E_clISt17integral_constantIbLb0EES1B_EEDaS16_S17_EUlS16_E_NS1_11comp_targetILNS1_3genE10ELNS1_11target_archE1200ELNS1_3gpuE4ELNS1_3repE0EEENS1_30default_config_static_selectorELNS0_4arch9wavefront6targetE0EEEvT1_.has_indirect_call, 0
	.section	.AMDGPU.csdata,"",@progbits
; Kernel info:
; codeLenInByte = 5736
; TotalNumSgprs: 23
; NumVgprs: 45
; ScratchSize: 0
; MemoryBound: 0
; FloatMode: 240
; IeeeMode: 1
; LDSByteSize: 8464 bytes/workgroup (compile time only)
; SGPRBlocks: 0
; VGPRBlocks: 5
; NumSGPRsForWavesPerEU: 23
; NumVGPRsForWavesPerEU: 45
; Occupancy: 16
; WaveLimiterHint : 1
; COMPUTE_PGM_RSRC2:SCRATCH_EN: 0
; COMPUTE_PGM_RSRC2:USER_SGPR: 2
; COMPUTE_PGM_RSRC2:TRAP_HANDLER: 0
; COMPUTE_PGM_RSRC2:TGID_X_EN: 1
; COMPUTE_PGM_RSRC2:TGID_Y_EN: 0
; COMPUTE_PGM_RSRC2:TGID_Z_EN: 0
; COMPUTE_PGM_RSRC2:TIDIG_COMP_CNT: 0
	.section	.text._ZN7rocprim17ROCPRIM_400000_NS6detail17trampoline_kernelINS0_14default_configENS1_25partition_config_selectorILNS1_17partition_subalgoE6ExNS0_10empty_typeEbEEZZNS1_14partition_implILS5_6ELb0ES3_mN6thrust23THRUST_200600_302600_NS6detail15normal_iteratorINSA_10device_ptrIxEEEEPS6_SG_NS0_5tupleIJNSA_16discard_iteratorINSA_11use_defaultEEES6_EEENSH_IJSG_SG_EEES6_PlJNSB_9not_fun_tI7is_trueIxEEEEEE10hipError_tPvRmT3_T4_T5_T6_T7_T9_mT8_P12ihipStream_tbDpT10_ENKUlT_T0_E_clISt17integral_constantIbLb0EES1B_EEDaS16_S17_EUlS16_E_NS1_11comp_targetILNS1_3genE9ELNS1_11target_archE1100ELNS1_3gpuE3ELNS1_3repE0EEENS1_30default_config_static_selectorELNS0_4arch9wavefront6targetE0EEEvT1_,"axG",@progbits,_ZN7rocprim17ROCPRIM_400000_NS6detail17trampoline_kernelINS0_14default_configENS1_25partition_config_selectorILNS1_17partition_subalgoE6ExNS0_10empty_typeEbEEZZNS1_14partition_implILS5_6ELb0ES3_mN6thrust23THRUST_200600_302600_NS6detail15normal_iteratorINSA_10device_ptrIxEEEEPS6_SG_NS0_5tupleIJNSA_16discard_iteratorINSA_11use_defaultEEES6_EEENSH_IJSG_SG_EEES6_PlJNSB_9not_fun_tI7is_trueIxEEEEEE10hipError_tPvRmT3_T4_T5_T6_T7_T9_mT8_P12ihipStream_tbDpT10_ENKUlT_T0_E_clISt17integral_constantIbLb0EES1B_EEDaS16_S17_EUlS16_E_NS1_11comp_targetILNS1_3genE9ELNS1_11target_archE1100ELNS1_3gpuE3ELNS1_3repE0EEENS1_30default_config_static_selectorELNS0_4arch9wavefront6targetE0EEEvT1_,comdat
	.protected	_ZN7rocprim17ROCPRIM_400000_NS6detail17trampoline_kernelINS0_14default_configENS1_25partition_config_selectorILNS1_17partition_subalgoE6ExNS0_10empty_typeEbEEZZNS1_14partition_implILS5_6ELb0ES3_mN6thrust23THRUST_200600_302600_NS6detail15normal_iteratorINSA_10device_ptrIxEEEEPS6_SG_NS0_5tupleIJNSA_16discard_iteratorINSA_11use_defaultEEES6_EEENSH_IJSG_SG_EEES6_PlJNSB_9not_fun_tI7is_trueIxEEEEEE10hipError_tPvRmT3_T4_T5_T6_T7_T9_mT8_P12ihipStream_tbDpT10_ENKUlT_T0_E_clISt17integral_constantIbLb0EES1B_EEDaS16_S17_EUlS16_E_NS1_11comp_targetILNS1_3genE9ELNS1_11target_archE1100ELNS1_3gpuE3ELNS1_3repE0EEENS1_30default_config_static_selectorELNS0_4arch9wavefront6targetE0EEEvT1_ ; -- Begin function _ZN7rocprim17ROCPRIM_400000_NS6detail17trampoline_kernelINS0_14default_configENS1_25partition_config_selectorILNS1_17partition_subalgoE6ExNS0_10empty_typeEbEEZZNS1_14partition_implILS5_6ELb0ES3_mN6thrust23THRUST_200600_302600_NS6detail15normal_iteratorINSA_10device_ptrIxEEEEPS6_SG_NS0_5tupleIJNSA_16discard_iteratorINSA_11use_defaultEEES6_EEENSH_IJSG_SG_EEES6_PlJNSB_9not_fun_tI7is_trueIxEEEEEE10hipError_tPvRmT3_T4_T5_T6_T7_T9_mT8_P12ihipStream_tbDpT10_ENKUlT_T0_E_clISt17integral_constantIbLb0EES1B_EEDaS16_S17_EUlS16_E_NS1_11comp_targetILNS1_3genE9ELNS1_11target_archE1100ELNS1_3gpuE3ELNS1_3repE0EEENS1_30default_config_static_selectorELNS0_4arch9wavefront6targetE0EEEvT1_
	.globl	_ZN7rocprim17ROCPRIM_400000_NS6detail17trampoline_kernelINS0_14default_configENS1_25partition_config_selectorILNS1_17partition_subalgoE6ExNS0_10empty_typeEbEEZZNS1_14partition_implILS5_6ELb0ES3_mN6thrust23THRUST_200600_302600_NS6detail15normal_iteratorINSA_10device_ptrIxEEEEPS6_SG_NS0_5tupleIJNSA_16discard_iteratorINSA_11use_defaultEEES6_EEENSH_IJSG_SG_EEES6_PlJNSB_9not_fun_tI7is_trueIxEEEEEE10hipError_tPvRmT3_T4_T5_T6_T7_T9_mT8_P12ihipStream_tbDpT10_ENKUlT_T0_E_clISt17integral_constantIbLb0EES1B_EEDaS16_S17_EUlS16_E_NS1_11comp_targetILNS1_3genE9ELNS1_11target_archE1100ELNS1_3gpuE3ELNS1_3repE0EEENS1_30default_config_static_selectorELNS0_4arch9wavefront6targetE0EEEvT1_
	.p2align	8
	.type	_ZN7rocprim17ROCPRIM_400000_NS6detail17trampoline_kernelINS0_14default_configENS1_25partition_config_selectorILNS1_17partition_subalgoE6ExNS0_10empty_typeEbEEZZNS1_14partition_implILS5_6ELb0ES3_mN6thrust23THRUST_200600_302600_NS6detail15normal_iteratorINSA_10device_ptrIxEEEEPS6_SG_NS0_5tupleIJNSA_16discard_iteratorINSA_11use_defaultEEES6_EEENSH_IJSG_SG_EEES6_PlJNSB_9not_fun_tI7is_trueIxEEEEEE10hipError_tPvRmT3_T4_T5_T6_T7_T9_mT8_P12ihipStream_tbDpT10_ENKUlT_T0_E_clISt17integral_constantIbLb0EES1B_EEDaS16_S17_EUlS16_E_NS1_11comp_targetILNS1_3genE9ELNS1_11target_archE1100ELNS1_3gpuE3ELNS1_3repE0EEENS1_30default_config_static_selectorELNS0_4arch9wavefront6targetE0EEEvT1_,@function
_ZN7rocprim17ROCPRIM_400000_NS6detail17trampoline_kernelINS0_14default_configENS1_25partition_config_selectorILNS1_17partition_subalgoE6ExNS0_10empty_typeEbEEZZNS1_14partition_implILS5_6ELb0ES3_mN6thrust23THRUST_200600_302600_NS6detail15normal_iteratorINSA_10device_ptrIxEEEEPS6_SG_NS0_5tupleIJNSA_16discard_iteratorINSA_11use_defaultEEES6_EEENSH_IJSG_SG_EEES6_PlJNSB_9not_fun_tI7is_trueIxEEEEEE10hipError_tPvRmT3_T4_T5_T6_T7_T9_mT8_P12ihipStream_tbDpT10_ENKUlT_T0_E_clISt17integral_constantIbLb0EES1B_EEDaS16_S17_EUlS16_E_NS1_11comp_targetILNS1_3genE9ELNS1_11target_archE1100ELNS1_3gpuE3ELNS1_3repE0EEENS1_30default_config_static_selectorELNS0_4arch9wavefront6targetE0EEEvT1_: ; @_ZN7rocprim17ROCPRIM_400000_NS6detail17trampoline_kernelINS0_14default_configENS1_25partition_config_selectorILNS1_17partition_subalgoE6ExNS0_10empty_typeEbEEZZNS1_14partition_implILS5_6ELb0ES3_mN6thrust23THRUST_200600_302600_NS6detail15normal_iteratorINSA_10device_ptrIxEEEEPS6_SG_NS0_5tupleIJNSA_16discard_iteratorINSA_11use_defaultEEES6_EEENSH_IJSG_SG_EEES6_PlJNSB_9not_fun_tI7is_trueIxEEEEEE10hipError_tPvRmT3_T4_T5_T6_T7_T9_mT8_P12ihipStream_tbDpT10_ENKUlT_T0_E_clISt17integral_constantIbLb0EES1B_EEDaS16_S17_EUlS16_E_NS1_11comp_targetILNS1_3genE9ELNS1_11target_archE1100ELNS1_3gpuE3ELNS1_3repE0EEENS1_30default_config_static_selectorELNS0_4arch9wavefront6targetE0EEEvT1_
; %bb.0:
	.section	.rodata,"a",@progbits
	.p2align	6, 0x0
	.amdhsa_kernel _ZN7rocprim17ROCPRIM_400000_NS6detail17trampoline_kernelINS0_14default_configENS1_25partition_config_selectorILNS1_17partition_subalgoE6ExNS0_10empty_typeEbEEZZNS1_14partition_implILS5_6ELb0ES3_mN6thrust23THRUST_200600_302600_NS6detail15normal_iteratorINSA_10device_ptrIxEEEEPS6_SG_NS0_5tupleIJNSA_16discard_iteratorINSA_11use_defaultEEES6_EEENSH_IJSG_SG_EEES6_PlJNSB_9not_fun_tI7is_trueIxEEEEEE10hipError_tPvRmT3_T4_T5_T6_T7_T9_mT8_P12ihipStream_tbDpT10_ENKUlT_T0_E_clISt17integral_constantIbLb0EES1B_EEDaS16_S17_EUlS16_E_NS1_11comp_targetILNS1_3genE9ELNS1_11target_archE1100ELNS1_3gpuE3ELNS1_3repE0EEENS1_30default_config_static_selectorELNS0_4arch9wavefront6targetE0EEEvT1_
		.amdhsa_group_segment_fixed_size 0
		.amdhsa_private_segment_fixed_size 0
		.amdhsa_kernarg_size 120
		.amdhsa_user_sgpr_count 2
		.amdhsa_user_sgpr_dispatch_ptr 0
		.amdhsa_user_sgpr_queue_ptr 0
		.amdhsa_user_sgpr_kernarg_segment_ptr 1
		.amdhsa_user_sgpr_dispatch_id 0
		.amdhsa_user_sgpr_private_segment_size 0
		.amdhsa_wavefront_size32 1
		.amdhsa_uses_dynamic_stack 0
		.amdhsa_enable_private_segment 0
		.amdhsa_system_sgpr_workgroup_id_x 1
		.amdhsa_system_sgpr_workgroup_id_y 0
		.amdhsa_system_sgpr_workgroup_id_z 0
		.amdhsa_system_sgpr_workgroup_info 0
		.amdhsa_system_vgpr_workitem_id 0
		.amdhsa_next_free_vgpr 1
		.amdhsa_next_free_sgpr 1
		.amdhsa_reserve_vcc 0
		.amdhsa_float_round_mode_32 0
		.amdhsa_float_round_mode_16_64 0
		.amdhsa_float_denorm_mode_32 3
		.amdhsa_float_denorm_mode_16_64 3
		.amdhsa_fp16_overflow 0
		.amdhsa_workgroup_processor_mode 1
		.amdhsa_memory_ordered 1
		.amdhsa_forward_progress 1
		.amdhsa_inst_pref_size 0
		.amdhsa_round_robin_scheduling 0
		.amdhsa_exception_fp_ieee_invalid_op 0
		.amdhsa_exception_fp_denorm_src 0
		.amdhsa_exception_fp_ieee_div_zero 0
		.amdhsa_exception_fp_ieee_overflow 0
		.amdhsa_exception_fp_ieee_underflow 0
		.amdhsa_exception_fp_ieee_inexact 0
		.amdhsa_exception_int_div_zero 0
	.end_amdhsa_kernel
	.section	.text._ZN7rocprim17ROCPRIM_400000_NS6detail17trampoline_kernelINS0_14default_configENS1_25partition_config_selectorILNS1_17partition_subalgoE6ExNS0_10empty_typeEbEEZZNS1_14partition_implILS5_6ELb0ES3_mN6thrust23THRUST_200600_302600_NS6detail15normal_iteratorINSA_10device_ptrIxEEEEPS6_SG_NS0_5tupleIJNSA_16discard_iteratorINSA_11use_defaultEEES6_EEENSH_IJSG_SG_EEES6_PlJNSB_9not_fun_tI7is_trueIxEEEEEE10hipError_tPvRmT3_T4_T5_T6_T7_T9_mT8_P12ihipStream_tbDpT10_ENKUlT_T0_E_clISt17integral_constantIbLb0EES1B_EEDaS16_S17_EUlS16_E_NS1_11comp_targetILNS1_3genE9ELNS1_11target_archE1100ELNS1_3gpuE3ELNS1_3repE0EEENS1_30default_config_static_selectorELNS0_4arch9wavefront6targetE0EEEvT1_,"axG",@progbits,_ZN7rocprim17ROCPRIM_400000_NS6detail17trampoline_kernelINS0_14default_configENS1_25partition_config_selectorILNS1_17partition_subalgoE6ExNS0_10empty_typeEbEEZZNS1_14partition_implILS5_6ELb0ES3_mN6thrust23THRUST_200600_302600_NS6detail15normal_iteratorINSA_10device_ptrIxEEEEPS6_SG_NS0_5tupleIJNSA_16discard_iteratorINSA_11use_defaultEEES6_EEENSH_IJSG_SG_EEES6_PlJNSB_9not_fun_tI7is_trueIxEEEEEE10hipError_tPvRmT3_T4_T5_T6_T7_T9_mT8_P12ihipStream_tbDpT10_ENKUlT_T0_E_clISt17integral_constantIbLb0EES1B_EEDaS16_S17_EUlS16_E_NS1_11comp_targetILNS1_3genE9ELNS1_11target_archE1100ELNS1_3gpuE3ELNS1_3repE0EEENS1_30default_config_static_selectorELNS0_4arch9wavefront6targetE0EEEvT1_,comdat
.Lfunc_end2243:
	.size	_ZN7rocprim17ROCPRIM_400000_NS6detail17trampoline_kernelINS0_14default_configENS1_25partition_config_selectorILNS1_17partition_subalgoE6ExNS0_10empty_typeEbEEZZNS1_14partition_implILS5_6ELb0ES3_mN6thrust23THRUST_200600_302600_NS6detail15normal_iteratorINSA_10device_ptrIxEEEEPS6_SG_NS0_5tupleIJNSA_16discard_iteratorINSA_11use_defaultEEES6_EEENSH_IJSG_SG_EEES6_PlJNSB_9not_fun_tI7is_trueIxEEEEEE10hipError_tPvRmT3_T4_T5_T6_T7_T9_mT8_P12ihipStream_tbDpT10_ENKUlT_T0_E_clISt17integral_constantIbLb0EES1B_EEDaS16_S17_EUlS16_E_NS1_11comp_targetILNS1_3genE9ELNS1_11target_archE1100ELNS1_3gpuE3ELNS1_3repE0EEENS1_30default_config_static_selectorELNS0_4arch9wavefront6targetE0EEEvT1_, .Lfunc_end2243-_ZN7rocprim17ROCPRIM_400000_NS6detail17trampoline_kernelINS0_14default_configENS1_25partition_config_selectorILNS1_17partition_subalgoE6ExNS0_10empty_typeEbEEZZNS1_14partition_implILS5_6ELb0ES3_mN6thrust23THRUST_200600_302600_NS6detail15normal_iteratorINSA_10device_ptrIxEEEEPS6_SG_NS0_5tupleIJNSA_16discard_iteratorINSA_11use_defaultEEES6_EEENSH_IJSG_SG_EEES6_PlJNSB_9not_fun_tI7is_trueIxEEEEEE10hipError_tPvRmT3_T4_T5_T6_T7_T9_mT8_P12ihipStream_tbDpT10_ENKUlT_T0_E_clISt17integral_constantIbLb0EES1B_EEDaS16_S17_EUlS16_E_NS1_11comp_targetILNS1_3genE9ELNS1_11target_archE1100ELNS1_3gpuE3ELNS1_3repE0EEENS1_30default_config_static_selectorELNS0_4arch9wavefront6targetE0EEEvT1_
                                        ; -- End function
	.set _ZN7rocprim17ROCPRIM_400000_NS6detail17trampoline_kernelINS0_14default_configENS1_25partition_config_selectorILNS1_17partition_subalgoE6ExNS0_10empty_typeEbEEZZNS1_14partition_implILS5_6ELb0ES3_mN6thrust23THRUST_200600_302600_NS6detail15normal_iteratorINSA_10device_ptrIxEEEEPS6_SG_NS0_5tupleIJNSA_16discard_iteratorINSA_11use_defaultEEES6_EEENSH_IJSG_SG_EEES6_PlJNSB_9not_fun_tI7is_trueIxEEEEEE10hipError_tPvRmT3_T4_T5_T6_T7_T9_mT8_P12ihipStream_tbDpT10_ENKUlT_T0_E_clISt17integral_constantIbLb0EES1B_EEDaS16_S17_EUlS16_E_NS1_11comp_targetILNS1_3genE9ELNS1_11target_archE1100ELNS1_3gpuE3ELNS1_3repE0EEENS1_30default_config_static_selectorELNS0_4arch9wavefront6targetE0EEEvT1_.num_vgpr, 0
	.set _ZN7rocprim17ROCPRIM_400000_NS6detail17trampoline_kernelINS0_14default_configENS1_25partition_config_selectorILNS1_17partition_subalgoE6ExNS0_10empty_typeEbEEZZNS1_14partition_implILS5_6ELb0ES3_mN6thrust23THRUST_200600_302600_NS6detail15normal_iteratorINSA_10device_ptrIxEEEEPS6_SG_NS0_5tupleIJNSA_16discard_iteratorINSA_11use_defaultEEES6_EEENSH_IJSG_SG_EEES6_PlJNSB_9not_fun_tI7is_trueIxEEEEEE10hipError_tPvRmT3_T4_T5_T6_T7_T9_mT8_P12ihipStream_tbDpT10_ENKUlT_T0_E_clISt17integral_constantIbLb0EES1B_EEDaS16_S17_EUlS16_E_NS1_11comp_targetILNS1_3genE9ELNS1_11target_archE1100ELNS1_3gpuE3ELNS1_3repE0EEENS1_30default_config_static_selectorELNS0_4arch9wavefront6targetE0EEEvT1_.num_agpr, 0
	.set _ZN7rocprim17ROCPRIM_400000_NS6detail17trampoline_kernelINS0_14default_configENS1_25partition_config_selectorILNS1_17partition_subalgoE6ExNS0_10empty_typeEbEEZZNS1_14partition_implILS5_6ELb0ES3_mN6thrust23THRUST_200600_302600_NS6detail15normal_iteratorINSA_10device_ptrIxEEEEPS6_SG_NS0_5tupleIJNSA_16discard_iteratorINSA_11use_defaultEEES6_EEENSH_IJSG_SG_EEES6_PlJNSB_9not_fun_tI7is_trueIxEEEEEE10hipError_tPvRmT3_T4_T5_T6_T7_T9_mT8_P12ihipStream_tbDpT10_ENKUlT_T0_E_clISt17integral_constantIbLb0EES1B_EEDaS16_S17_EUlS16_E_NS1_11comp_targetILNS1_3genE9ELNS1_11target_archE1100ELNS1_3gpuE3ELNS1_3repE0EEENS1_30default_config_static_selectorELNS0_4arch9wavefront6targetE0EEEvT1_.numbered_sgpr, 0
	.set _ZN7rocprim17ROCPRIM_400000_NS6detail17trampoline_kernelINS0_14default_configENS1_25partition_config_selectorILNS1_17partition_subalgoE6ExNS0_10empty_typeEbEEZZNS1_14partition_implILS5_6ELb0ES3_mN6thrust23THRUST_200600_302600_NS6detail15normal_iteratorINSA_10device_ptrIxEEEEPS6_SG_NS0_5tupleIJNSA_16discard_iteratorINSA_11use_defaultEEES6_EEENSH_IJSG_SG_EEES6_PlJNSB_9not_fun_tI7is_trueIxEEEEEE10hipError_tPvRmT3_T4_T5_T6_T7_T9_mT8_P12ihipStream_tbDpT10_ENKUlT_T0_E_clISt17integral_constantIbLb0EES1B_EEDaS16_S17_EUlS16_E_NS1_11comp_targetILNS1_3genE9ELNS1_11target_archE1100ELNS1_3gpuE3ELNS1_3repE0EEENS1_30default_config_static_selectorELNS0_4arch9wavefront6targetE0EEEvT1_.num_named_barrier, 0
	.set _ZN7rocprim17ROCPRIM_400000_NS6detail17trampoline_kernelINS0_14default_configENS1_25partition_config_selectorILNS1_17partition_subalgoE6ExNS0_10empty_typeEbEEZZNS1_14partition_implILS5_6ELb0ES3_mN6thrust23THRUST_200600_302600_NS6detail15normal_iteratorINSA_10device_ptrIxEEEEPS6_SG_NS0_5tupleIJNSA_16discard_iteratorINSA_11use_defaultEEES6_EEENSH_IJSG_SG_EEES6_PlJNSB_9not_fun_tI7is_trueIxEEEEEE10hipError_tPvRmT3_T4_T5_T6_T7_T9_mT8_P12ihipStream_tbDpT10_ENKUlT_T0_E_clISt17integral_constantIbLb0EES1B_EEDaS16_S17_EUlS16_E_NS1_11comp_targetILNS1_3genE9ELNS1_11target_archE1100ELNS1_3gpuE3ELNS1_3repE0EEENS1_30default_config_static_selectorELNS0_4arch9wavefront6targetE0EEEvT1_.private_seg_size, 0
	.set _ZN7rocprim17ROCPRIM_400000_NS6detail17trampoline_kernelINS0_14default_configENS1_25partition_config_selectorILNS1_17partition_subalgoE6ExNS0_10empty_typeEbEEZZNS1_14partition_implILS5_6ELb0ES3_mN6thrust23THRUST_200600_302600_NS6detail15normal_iteratorINSA_10device_ptrIxEEEEPS6_SG_NS0_5tupleIJNSA_16discard_iteratorINSA_11use_defaultEEES6_EEENSH_IJSG_SG_EEES6_PlJNSB_9not_fun_tI7is_trueIxEEEEEE10hipError_tPvRmT3_T4_T5_T6_T7_T9_mT8_P12ihipStream_tbDpT10_ENKUlT_T0_E_clISt17integral_constantIbLb0EES1B_EEDaS16_S17_EUlS16_E_NS1_11comp_targetILNS1_3genE9ELNS1_11target_archE1100ELNS1_3gpuE3ELNS1_3repE0EEENS1_30default_config_static_selectorELNS0_4arch9wavefront6targetE0EEEvT1_.uses_vcc, 0
	.set _ZN7rocprim17ROCPRIM_400000_NS6detail17trampoline_kernelINS0_14default_configENS1_25partition_config_selectorILNS1_17partition_subalgoE6ExNS0_10empty_typeEbEEZZNS1_14partition_implILS5_6ELb0ES3_mN6thrust23THRUST_200600_302600_NS6detail15normal_iteratorINSA_10device_ptrIxEEEEPS6_SG_NS0_5tupleIJNSA_16discard_iteratorINSA_11use_defaultEEES6_EEENSH_IJSG_SG_EEES6_PlJNSB_9not_fun_tI7is_trueIxEEEEEE10hipError_tPvRmT3_T4_T5_T6_T7_T9_mT8_P12ihipStream_tbDpT10_ENKUlT_T0_E_clISt17integral_constantIbLb0EES1B_EEDaS16_S17_EUlS16_E_NS1_11comp_targetILNS1_3genE9ELNS1_11target_archE1100ELNS1_3gpuE3ELNS1_3repE0EEENS1_30default_config_static_selectorELNS0_4arch9wavefront6targetE0EEEvT1_.uses_flat_scratch, 0
	.set _ZN7rocprim17ROCPRIM_400000_NS6detail17trampoline_kernelINS0_14default_configENS1_25partition_config_selectorILNS1_17partition_subalgoE6ExNS0_10empty_typeEbEEZZNS1_14partition_implILS5_6ELb0ES3_mN6thrust23THRUST_200600_302600_NS6detail15normal_iteratorINSA_10device_ptrIxEEEEPS6_SG_NS0_5tupleIJNSA_16discard_iteratorINSA_11use_defaultEEES6_EEENSH_IJSG_SG_EEES6_PlJNSB_9not_fun_tI7is_trueIxEEEEEE10hipError_tPvRmT3_T4_T5_T6_T7_T9_mT8_P12ihipStream_tbDpT10_ENKUlT_T0_E_clISt17integral_constantIbLb0EES1B_EEDaS16_S17_EUlS16_E_NS1_11comp_targetILNS1_3genE9ELNS1_11target_archE1100ELNS1_3gpuE3ELNS1_3repE0EEENS1_30default_config_static_selectorELNS0_4arch9wavefront6targetE0EEEvT1_.has_dyn_sized_stack, 0
	.set _ZN7rocprim17ROCPRIM_400000_NS6detail17trampoline_kernelINS0_14default_configENS1_25partition_config_selectorILNS1_17partition_subalgoE6ExNS0_10empty_typeEbEEZZNS1_14partition_implILS5_6ELb0ES3_mN6thrust23THRUST_200600_302600_NS6detail15normal_iteratorINSA_10device_ptrIxEEEEPS6_SG_NS0_5tupleIJNSA_16discard_iteratorINSA_11use_defaultEEES6_EEENSH_IJSG_SG_EEES6_PlJNSB_9not_fun_tI7is_trueIxEEEEEE10hipError_tPvRmT3_T4_T5_T6_T7_T9_mT8_P12ihipStream_tbDpT10_ENKUlT_T0_E_clISt17integral_constantIbLb0EES1B_EEDaS16_S17_EUlS16_E_NS1_11comp_targetILNS1_3genE9ELNS1_11target_archE1100ELNS1_3gpuE3ELNS1_3repE0EEENS1_30default_config_static_selectorELNS0_4arch9wavefront6targetE0EEEvT1_.has_recursion, 0
	.set _ZN7rocprim17ROCPRIM_400000_NS6detail17trampoline_kernelINS0_14default_configENS1_25partition_config_selectorILNS1_17partition_subalgoE6ExNS0_10empty_typeEbEEZZNS1_14partition_implILS5_6ELb0ES3_mN6thrust23THRUST_200600_302600_NS6detail15normal_iteratorINSA_10device_ptrIxEEEEPS6_SG_NS0_5tupleIJNSA_16discard_iteratorINSA_11use_defaultEEES6_EEENSH_IJSG_SG_EEES6_PlJNSB_9not_fun_tI7is_trueIxEEEEEE10hipError_tPvRmT3_T4_T5_T6_T7_T9_mT8_P12ihipStream_tbDpT10_ENKUlT_T0_E_clISt17integral_constantIbLb0EES1B_EEDaS16_S17_EUlS16_E_NS1_11comp_targetILNS1_3genE9ELNS1_11target_archE1100ELNS1_3gpuE3ELNS1_3repE0EEENS1_30default_config_static_selectorELNS0_4arch9wavefront6targetE0EEEvT1_.has_indirect_call, 0
	.section	.AMDGPU.csdata,"",@progbits
; Kernel info:
; codeLenInByte = 0
; TotalNumSgprs: 0
; NumVgprs: 0
; ScratchSize: 0
; MemoryBound: 0
; FloatMode: 240
; IeeeMode: 1
; LDSByteSize: 0 bytes/workgroup (compile time only)
; SGPRBlocks: 0
; VGPRBlocks: 0
; NumSGPRsForWavesPerEU: 1
; NumVGPRsForWavesPerEU: 1
; Occupancy: 16
; WaveLimiterHint : 0
; COMPUTE_PGM_RSRC2:SCRATCH_EN: 0
; COMPUTE_PGM_RSRC2:USER_SGPR: 2
; COMPUTE_PGM_RSRC2:TRAP_HANDLER: 0
; COMPUTE_PGM_RSRC2:TGID_X_EN: 1
; COMPUTE_PGM_RSRC2:TGID_Y_EN: 0
; COMPUTE_PGM_RSRC2:TGID_Z_EN: 0
; COMPUTE_PGM_RSRC2:TIDIG_COMP_CNT: 0
	.section	.text._ZN7rocprim17ROCPRIM_400000_NS6detail17trampoline_kernelINS0_14default_configENS1_25partition_config_selectorILNS1_17partition_subalgoE6ExNS0_10empty_typeEbEEZZNS1_14partition_implILS5_6ELb0ES3_mN6thrust23THRUST_200600_302600_NS6detail15normal_iteratorINSA_10device_ptrIxEEEEPS6_SG_NS0_5tupleIJNSA_16discard_iteratorINSA_11use_defaultEEES6_EEENSH_IJSG_SG_EEES6_PlJNSB_9not_fun_tI7is_trueIxEEEEEE10hipError_tPvRmT3_T4_T5_T6_T7_T9_mT8_P12ihipStream_tbDpT10_ENKUlT_T0_E_clISt17integral_constantIbLb0EES1B_EEDaS16_S17_EUlS16_E_NS1_11comp_targetILNS1_3genE8ELNS1_11target_archE1030ELNS1_3gpuE2ELNS1_3repE0EEENS1_30default_config_static_selectorELNS0_4arch9wavefront6targetE0EEEvT1_,"axG",@progbits,_ZN7rocprim17ROCPRIM_400000_NS6detail17trampoline_kernelINS0_14default_configENS1_25partition_config_selectorILNS1_17partition_subalgoE6ExNS0_10empty_typeEbEEZZNS1_14partition_implILS5_6ELb0ES3_mN6thrust23THRUST_200600_302600_NS6detail15normal_iteratorINSA_10device_ptrIxEEEEPS6_SG_NS0_5tupleIJNSA_16discard_iteratorINSA_11use_defaultEEES6_EEENSH_IJSG_SG_EEES6_PlJNSB_9not_fun_tI7is_trueIxEEEEEE10hipError_tPvRmT3_T4_T5_T6_T7_T9_mT8_P12ihipStream_tbDpT10_ENKUlT_T0_E_clISt17integral_constantIbLb0EES1B_EEDaS16_S17_EUlS16_E_NS1_11comp_targetILNS1_3genE8ELNS1_11target_archE1030ELNS1_3gpuE2ELNS1_3repE0EEENS1_30default_config_static_selectorELNS0_4arch9wavefront6targetE0EEEvT1_,comdat
	.protected	_ZN7rocprim17ROCPRIM_400000_NS6detail17trampoline_kernelINS0_14default_configENS1_25partition_config_selectorILNS1_17partition_subalgoE6ExNS0_10empty_typeEbEEZZNS1_14partition_implILS5_6ELb0ES3_mN6thrust23THRUST_200600_302600_NS6detail15normal_iteratorINSA_10device_ptrIxEEEEPS6_SG_NS0_5tupleIJNSA_16discard_iteratorINSA_11use_defaultEEES6_EEENSH_IJSG_SG_EEES6_PlJNSB_9not_fun_tI7is_trueIxEEEEEE10hipError_tPvRmT3_T4_T5_T6_T7_T9_mT8_P12ihipStream_tbDpT10_ENKUlT_T0_E_clISt17integral_constantIbLb0EES1B_EEDaS16_S17_EUlS16_E_NS1_11comp_targetILNS1_3genE8ELNS1_11target_archE1030ELNS1_3gpuE2ELNS1_3repE0EEENS1_30default_config_static_selectorELNS0_4arch9wavefront6targetE0EEEvT1_ ; -- Begin function _ZN7rocprim17ROCPRIM_400000_NS6detail17trampoline_kernelINS0_14default_configENS1_25partition_config_selectorILNS1_17partition_subalgoE6ExNS0_10empty_typeEbEEZZNS1_14partition_implILS5_6ELb0ES3_mN6thrust23THRUST_200600_302600_NS6detail15normal_iteratorINSA_10device_ptrIxEEEEPS6_SG_NS0_5tupleIJNSA_16discard_iteratorINSA_11use_defaultEEES6_EEENSH_IJSG_SG_EEES6_PlJNSB_9not_fun_tI7is_trueIxEEEEEE10hipError_tPvRmT3_T4_T5_T6_T7_T9_mT8_P12ihipStream_tbDpT10_ENKUlT_T0_E_clISt17integral_constantIbLb0EES1B_EEDaS16_S17_EUlS16_E_NS1_11comp_targetILNS1_3genE8ELNS1_11target_archE1030ELNS1_3gpuE2ELNS1_3repE0EEENS1_30default_config_static_selectorELNS0_4arch9wavefront6targetE0EEEvT1_
	.globl	_ZN7rocprim17ROCPRIM_400000_NS6detail17trampoline_kernelINS0_14default_configENS1_25partition_config_selectorILNS1_17partition_subalgoE6ExNS0_10empty_typeEbEEZZNS1_14partition_implILS5_6ELb0ES3_mN6thrust23THRUST_200600_302600_NS6detail15normal_iteratorINSA_10device_ptrIxEEEEPS6_SG_NS0_5tupleIJNSA_16discard_iteratorINSA_11use_defaultEEES6_EEENSH_IJSG_SG_EEES6_PlJNSB_9not_fun_tI7is_trueIxEEEEEE10hipError_tPvRmT3_T4_T5_T6_T7_T9_mT8_P12ihipStream_tbDpT10_ENKUlT_T0_E_clISt17integral_constantIbLb0EES1B_EEDaS16_S17_EUlS16_E_NS1_11comp_targetILNS1_3genE8ELNS1_11target_archE1030ELNS1_3gpuE2ELNS1_3repE0EEENS1_30default_config_static_selectorELNS0_4arch9wavefront6targetE0EEEvT1_
	.p2align	8
	.type	_ZN7rocprim17ROCPRIM_400000_NS6detail17trampoline_kernelINS0_14default_configENS1_25partition_config_selectorILNS1_17partition_subalgoE6ExNS0_10empty_typeEbEEZZNS1_14partition_implILS5_6ELb0ES3_mN6thrust23THRUST_200600_302600_NS6detail15normal_iteratorINSA_10device_ptrIxEEEEPS6_SG_NS0_5tupleIJNSA_16discard_iteratorINSA_11use_defaultEEES6_EEENSH_IJSG_SG_EEES6_PlJNSB_9not_fun_tI7is_trueIxEEEEEE10hipError_tPvRmT3_T4_T5_T6_T7_T9_mT8_P12ihipStream_tbDpT10_ENKUlT_T0_E_clISt17integral_constantIbLb0EES1B_EEDaS16_S17_EUlS16_E_NS1_11comp_targetILNS1_3genE8ELNS1_11target_archE1030ELNS1_3gpuE2ELNS1_3repE0EEENS1_30default_config_static_selectorELNS0_4arch9wavefront6targetE0EEEvT1_,@function
_ZN7rocprim17ROCPRIM_400000_NS6detail17trampoline_kernelINS0_14default_configENS1_25partition_config_selectorILNS1_17partition_subalgoE6ExNS0_10empty_typeEbEEZZNS1_14partition_implILS5_6ELb0ES3_mN6thrust23THRUST_200600_302600_NS6detail15normal_iteratorINSA_10device_ptrIxEEEEPS6_SG_NS0_5tupleIJNSA_16discard_iteratorINSA_11use_defaultEEES6_EEENSH_IJSG_SG_EEES6_PlJNSB_9not_fun_tI7is_trueIxEEEEEE10hipError_tPvRmT3_T4_T5_T6_T7_T9_mT8_P12ihipStream_tbDpT10_ENKUlT_T0_E_clISt17integral_constantIbLb0EES1B_EEDaS16_S17_EUlS16_E_NS1_11comp_targetILNS1_3genE8ELNS1_11target_archE1030ELNS1_3gpuE2ELNS1_3repE0EEENS1_30default_config_static_selectorELNS0_4arch9wavefront6targetE0EEEvT1_: ; @_ZN7rocprim17ROCPRIM_400000_NS6detail17trampoline_kernelINS0_14default_configENS1_25partition_config_selectorILNS1_17partition_subalgoE6ExNS0_10empty_typeEbEEZZNS1_14partition_implILS5_6ELb0ES3_mN6thrust23THRUST_200600_302600_NS6detail15normal_iteratorINSA_10device_ptrIxEEEEPS6_SG_NS0_5tupleIJNSA_16discard_iteratorINSA_11use_defaultEEES6_EEENSH_IJSG_SG_EEES6_PlJNSB_9not_fun_tI7is_trueIxEEEEEE10hipError_tPvRmT3_T4_T5_T6_T7_T9_mT8_P12ihipStream_tbDpT10_ENKUlT_T0_E_clISt17integral_constantIbLb0EES1B_EEDaS16_S17_EUlS16_E_NS1_11comp_targetILNS1_3genE8ELNS1_11target_archE1030ELNS1_3gpuE2ELNS1_3repE0EEENS1_30default_config_static_selectorELNS0_4arch9wavefront6targetE0EEEvT1_
; %bb.0:
	.section	.rodata,"a",@progbits
	.p2align	6, 0x0
	.amdhsa_kernel _ZN7rocprim17ROCPRIM_400000_NS6detail17trampoline_kernelINS0_14default_configENS1_25partition_config_selectorILNS1_17partition_subalgoE6ExNS0_10empty_typeEbEEZZNS1_14partition_implILS5_6ELb0ES3_mN6thrust23THRUST_200600_302600_NS6detail15normal_iteratorINSA_10device_ptrIxEEEEPS6_SG_NS0_5tupleIJNSA_16discard_iteratorINSA_11use_defaultEEES6_EEENSH_IJSG_SG_EEES6_PlJNSB_9not_fun_tI7is_trueIxEEEEEE10hipError_tPvRmT3_T4_T5_T6_T7_T9_mT8_P12ihipStream_tbDpT10_ENKUlT_T0_E_clISt17integral_constantIbLb0EES1B_EEDaS16_S17_EUlS16_E_NS1_11comp_targetILNS1_3genE8ELNS1_11target_archE1030ELNS1_3gpuE2ELNS1_3repE0EEENS1_30default_config_static_selectorELNS0_4arch9wavefront6targetE0EEEvT1_
		.amdhsa_group_segment_fixed_size 0
		.amdhsa_private_segment_fixed_size 0
		.amdhsa_kernarg_size 120
		.amdhsa_user_sgpr_count 2
		.amdhsa_user_sgpr_dispatch_ptr 0
		.amdhsa_user_sgpr_queue_ptr 0
		.amdhsa_user_sgpr_kernarg_segment_ptr 1
		.amdhsa_user_sgpr_dispatch_id 0
		.amdhsa_user_sgpr_private_segment_size 0
		.amdhsa_wavefront_size32 1
		.amdhsa_uses_dynamic_stack 0
		.amdhsa_enable_private_segment 0
		.amdhsa_system_sgpr_workgroup_id_x 1
		.amdhsa_system_sgpr_workgroup_id_y 0
		.amdhsa_system_sgpr_workgroup_id_z 0
		.amdhsa_system_sgpr_workgroup_info 0
		.amdhsa_system_vgpr_workitem_id 0
		.amdhsa_next_free_vgpr 1
		.amdhsa_next_free_sgpr 1
		.amdhsa_reserve_vcc 0
		.amdhsa_float_round_mode_32 0
		.amdhsa_float_round_mode_16_64 0
		.amdhsa_float_denorm_mode_32 3
		.amdhsa_float_denorm_mode_16_64 3
		.amdhsa_fp16_overflow 0
		.amdhsa_workgroup_processor_mode 1
		.amdhsa_memory_ordered 1
		.amdhsa_forward_progress 1
		.amdhsa_inst_pref_size 0
		.amdhsa_round_robin_scheduling 0
		.amdhsa_exception_fp_ieee_invalid_op 0
		.amdhsa_exception_fp_denorm_src 0
		.amdhsa_exception_fp_ieee_div_zero 0
		.amdhsa_exception_fp_ieee_overflow 0
		.amdhsa_exception_fp_ieee_underflow 0
		.amdhsa_exception_fp_ieee_inexact 0
		.amdhsa_exception_int_div_zero 0
	.end_amdhsa_kernel
	.section	.text._ZN7rocprim17ROCPRIM_400000_NS6detail17trampoline_kernelINS0_14default_configENS1_25partition_config_selectorILNS1_17partition_subalgoE6ExNS0_10empty_typeEbEEZZNS1_14partition_implILS5_6ELb0ES3_mN6thrust23THRUST_200600_302600_NS6detail15normal_iteratorINSA_10device_ptrIxEEEEPS6_SG_NS0_5tupleIJNSA_16discard_iteratorINSA_11use_defaultEEES6_EEENSH_IJSG_SG_EEES6_PlJNSB_9not_fun_tI7is_trueIxEEEEEE10hipError_tPvRmT3_T4_T5_T6_T7_T9_mT8_P12ihipStream_tbDpT10_ENKUlT_T0_E_clISt17integral_constantIbLb0EES1B_EEDaS16_S17_EUlS16_E_NS1_11comp_targetILNS1_3genE8ELNS1_11target_archE1030ELNS1_3gpuE2ELNS1_3repE0EEENS1_30default_config_static_selectorELNS0_4arch9wavefront6targetE0EEEvT1_,"axG",@progbits,_ZN7rocprim17ROCPRIM_400000_NS6detail17trampoline_kernelINS0_14default_configENS1_25partition_config_selectorILNS1_17partition_subalgoE6ExNS0_10empty_typeEbEEZZNS1_14partition_implILS5_6ELb0ES3_mN6thrust23THRUST_200600_302600_NS6detail15normal_iteratorINSA_10device_ptrIxEEEEPS6_SG_NS0_5tupleIJNSA_16discard_iteratorINSA_11use_defaultEEES6_EEENSH_IJSG_SG_EEES6_PlJNSB_9not_fun_tI7is_trueIxEEEEEE10hipError_tPvRmT3_T4_T5_T6_T7_T9_mT8_P12ihipStream_tbDpT10_ENKUlT_T0_E_clISt17integral_constantIbLb0EES1B_EEDaS16_S17_EUlS16_E_NS1_11comp_targetILNS1_3genE8ELNS1_11target_archE1030ELNS1_3gpuE2ELNS1_3repE0EEENS1_30default_config_static_selectorELNS0_4arch9wavefront6targetE0EEEvT1_,comdat
.Lfunc_end2244:
	.size	_ZN7rocprim17ROCPRIM_400000_NS6detail17trampoline_kernelINS0_14default_configENS1_25partition_config_selectorILNS1_17partition_subalgoE6ExNS0_10empty_typeEbEEZZNS1_14partition_implILS5_6ELb0ES3_mN6thrust23THRUST_200600_302600_NS6detail15normal_iteratorINSA_10device_ptrIxEEEEPS6_SG_NS0_5tupleIJNSA_16discard_iteratorINSA_11use_defaultEEES6_EEENSH_IJSG_SG_EEES6_PlJNSB_9not_fun_tI7is_trueIxEEEEEE10hipError_tPvRmT3_T4_T5_T6_T7_T9_mT8_P12ihipStream_tbDpT10_ENKUlT_T0_E_clISt17integral_constantIbLb0EES1B_EEDaS16_S17_EUlS16_E_NS1_11comp_targetILNS1_3genE8ELNS1_11target_archE1030ELNS1_3gpuE2ELNS1_3repE0EEENS1_30default_config_static_selectorELNS0_4arch9wavefront6targetE0EEEvT1_, .Lfunc_end2244-_ZN7rocprim17ROCPRIM_400000_NS6detail17trampoline_kernelINS0_14default_configENS1_25partition_config_selectorILNS1_17partition_subalgoE6ExNS0_10empty_typeEbEEZZNS1_14partition_implILS5_6ELb0ES3_mN6thrust23THRUST_200600_302600_NS6detail15normal_iteratorINSA_10device_ptrIxEEEEPS6_SG_NS0_5tupleIJNSA_16discard_iteratorINSA_11use_defaultEEES6_EEENSH_IJSG_SG_EEES6_PlJNSB_9not_fun_tI7is_trueIxEEEEEE10hipError_tPvRmT3_T4_T5_T6_T7_T9_mT8_P12ihipStream_tbDpT10_ENKUlT_T0_E_clISt17integral_constantIbLb0EES1B_EEDaS16_S17_EUlS16_E_NS1_11comp_targetILNS1_3genE8ELNS1_11target_archE1030ELNS1_3gpuE2ELNS1_3repE0EEENS1_30default_config_static_selectorELNS0_4arch9wavefront6targetE0EEEvT1_
                                        ; -- End function
	.set _ZN7rocprim17ROCPRIM_400000_NS6detail17trampoline_kernelINS0_14default_configENS1_25partition_config_selectorILNS1_17partition_subalgoE6ExNS0_10empty_typeEbEEZZNS1_14partition_implILS5_6ELb0ES3_mN6thrust23THRUST_200600_302600_NS6detail15normal_iteratorINSA_10device_ptrIxEEEEPS6_SG_NS0_5tupleIJNSA_16discard_iteratorINSA_11use_defaultEEES6_EEENSH_IJSG_SG_EEES6_PlJNSB_9not_fun_tI7is_trueIxEEEEEE10hipError_tPvRmT3_T4_T5_T6_T7_T9_mT8_P12ihipStream_tbDpT10_ENKUlT_T0_E_clISt17integral_constantIbLb0EES1B_EEDaS16_S17_EUlS16_E_NS1_11comp_targetILNS1_3genE8ELNS1_11target_archE1030ELNS1_3gpuE2ELNS1_3repE0EEENS1_30default_config_static_selectorELNS0_4arch9wavefront6targetE0EEEvT1_.num_vgpr, 0
	.set _ZN7rocprim17ROCPRIM_400000_NS6detail17trampoline_kernelINS0_14default_configENS1_25partition_config_selectorILNS1_17partition_subalgoE6ExNS0_10empty_typeEbEEZZNS1_14partition_implILS5_6ELb0ES3_mN6thrust23THRUST_200600_302600_NS6detail15normal_iteratorINSA_10device_ptrIxEEEEPS6_SG_NS0_5tupleIJNSA_16discard_iteratorINSA_11use_defaultEEES6_EEENSH_IJSG_SG_EEES6_PlJNSB_9not_fun_tI7is_trueIxEEEEEE10hipError_tPvRmT3_T4_T5_T6_T7_T9_mT8_P12ihipStream_tbDpT10_ENKUlT_T0_E_clISt17integral_constantIbLb0EES1B_EEDaS16_S17_EUlS16_E_NS1_11comp_targetILNS1_3genE8ELNS1_11target_archE1030ELNS1_3gpuE2ELNS1_3repE0EEENS1_30default_config_static_selectorELNS0_4arch9wavefront6targetE0EEEvT1_.num_agpr, 0
	.set _ZN7rocprim17ROCPRIM_400000_NS6detail17trampoline_kernelINS0_14default_configENS1_25partition_config_selectorILNS1_17partition_subalgoE6ExNS0_10empty_typeEbEEZZNS1_14partition_implILS5_6ELb0ES3_mN6thrust23THRUST_200600_302600_NS6detail15normal_iteratorINSA_10device_ptrIxEEEEPS6_SG_NS0_5tupleIJNSA_16discard_iteratorINSA_11use_defaultEEES6_EEENSH_IJSG_SG_EEES6_PlJNSB_9not_fun_tI7is_trueIxEEEEEE10hipError_tPvRmT3_T4_T5_T6_T7_T9_mT8_P12ihipStream_tbDpT10_ENKUlT_T0_E_clISt17integral_constantIbLb0EES1B_EEDaS16_S17_EUlS16_E_NS1_11comp_targetILNS1_3genE8ELNS1_11target_archE1030ELNS1_3gpuE2ELNS1_3repE0EEENS1_30default_config_static_selectorELNS0_4arch9wavefront6targetE0EEEvT1_.numbered_sgpr, 0
	.set _ZN7rocprim17ROCPRIM_400000_NS6detail17trampoline_kernelINS0_14default_configENS1_25partition_config_selectorILNS1_17partition_subalgoE6ExNS0_10empty_typeEbEEZZNS1_14partition_implILS5_6ELb0ES3_mN6thrust23THRUST_200600_302600_NS6detail15normal_iteratorINSA_10device_ptrIxEEEEPS6_SG_NS0_5tupleIJNSA_16discard_iteratorINSA_11use_defaultEEES6_EEENSH_IJSG_SG_EEES6_PlJNSB_9not_fun_tI7is_trueIxEEEEEE10hipError_tPvRmT3_T4_T5_T6_T7_T9_mT8_P12ihipStream_tbDpT10_ENKUlT_T0_E_clISt17integral_constantIbLb0EES1B_EEDaS16_S17_EUlS16_E_NS1_11comp_targetILNS1_3genE8ELNS1_11target_archE1030ELNS1_3gpuE2ELNS1_3repE0EEENS1_30default_config_static_selectorELNS0_4arch9wavefront6targetE0EEEvT1_.num_named_barrier, 0
	.set _ZN7rocprim17ROCPRIM_400000_NS6detail17trampoline_kernelINS0_14default_configENS1_25partition_config_selectorILNS1_17partition_subalgoE6ExNS0_10empty_typeEbEEZZNS1_14partition_implILS5_6ELb0ES3_mN6thrust23THRUST_200600_302600_NS6detail15normal_iteratorINSA_10device_ptrIxEEEEPS6_SG_NS0_5tupleIJNSA_16discard_iteratorINSA_11use_defaultEEES6_EEENSH_IJSG_SG_EEES6_PlJNSB_9not_fun_tI7is_trueIxEEEEEE10hipError_tPvRmT3_T4_T5_T6_T7_T9_mT8_P12ihipStream_tbDpT10_ENKUlT_T0_E_clISt17integral_constantIbLb0EES1B_EEDaS16_S17_EUlS16_E_NS1_11comp_targetILNS1_3genE8ELNS1_11target_archE1030ELNS1_3gpuE2ELNS1_3repE0EEENS1_30default_config_static_selectorELNS0_4arch9wavefront6targetE0EEEvT1_.private_seg_size, 0
	.set _ZN7rocprim17ROCPRIM_400000_NS6detail17trampoline_kernelINS0_14default_configENS1_25partition_config_selectorILNS1_17partition_subalgoE6ExNS0_10empty_typeEbEEZZNS1_14partition_implILS5_6ELb0ES3_mN6thrust23THRUST_200600_302600_NS6detail15normal_iteratorINSA_10device_ptrIxEEEEPS6_SG_NS0_5tupleIJNSA_16discard_iteratorINSA_11use_defaultEEES6_EEENSH_IJSG_SG_EEES6_PlJNSB_9not_fun_tI7is_trueIxEEEEEE10hipError_tPvRmT3_T4_T5_T6_T7_T9_mT8_P12ihipStream_tbDpT10_ENKUlT_T0_E_clISt17integral_constantIbLb0EES1B_EEDaS16_S17_EUlS16_E_NS1_11comp_targetILNS1_3genE8ELNS1_11target_archE1030ELNS1_3gpuE2ELNS1_3repE0EEENS1_30default_config_static_selectorELNS0_4arch9wavefront6targetE0EEEvT1_.uses_vcc, 0
	.set _ZN7rocprim17ROCPRIM_400000_NS6detail17trampoline_kernelINS0_14default_configENS1_25partition_config_selectorILNS1_17partition_subalgoE6ExNS0_10empty_typeEbEEZZNS1_14partition_implILS5_6ELb0ES3_mN6thrust23THRUST_200600_302600_NS6detail15normal_iteratorINSA_10device_ptrIxEEEEPS6_SG_NS0_5tupleIJNSA_16discard_iteratorINSA_11use_defaultEEES6_EEENSH_IJSG_SG_EEES6_PlJNSB_9not_fun_tI7is_trueIxEEEEEE10hipError_tPvRmT3_T4_T5_T6_T7_T9_mT8_P12ihipStream_tbDpT10_ENKUlT_T0_E_clISt17integral_constantIbLb0EES1B_EEDaS16_S17_EUlS16_E_NS1_11comp_targetILNS1_3genE8ELNS1_11target_archE1030ELNS1_3gpuE2ELNS1_3repE0EEENS1_30default_config_static_selectorELNS0_4arch9wavefront6targetE0EEEvT1_.uses_flat_scratch, 0
	.set _ZN7rocprim17ROCPRIM_400000_NS6detail17trampoline_kernelINS0_14default_configENS1_25partition_config_selectorILNS1_17partition_subalgoE6ExNS0_10empty_typeEbEEZZNS1_14partition_implILS5_6ELb0ES3_mN6thrust23THRUST_200600_302600_NS6detail15normal_iteratorINSA_10device_ptrIxEEEEPS6_SG_NS0_5tupleIJNSA_16discard_iteratorINSA_11use_defaultEEES6_EEENSH_IJSG_SG_EEES6_PlJNSB_9not_fun_tI7is_trueIxEEEEEE10hipError_tPvRmT3_T4_T5_T6_T7_T9_mT8_P12ihipStream_tbDpT10_ENKUlT_T0_E_clISt17integral_constantIbLb0EES1B_EEDaS16_S17_EUlS16_E_NS1_11comp_targetILNS1_3genE8ELNS1_11target_archE1030ELNS1_3gpuE2ELNS1_3repE0EEENS1_30default_config_static_selectorELNS0_4arch9wavefront6targetE0EEEvT1_.has_dyn_sized_stack, 0
	.set _ZN7rocprim17ROCPRIM_400000_NS6detail17trampoline_kernelINS0_14default_configENS1_25partition_config_selectorILNS1_17partition_subalgoE6ExNS0_10empty_typeEbEEZZNS1_14partition_implILS5_6ELb0ES3_mN6thrust23THRUST_200600_302600_NS6detail15normal_iteratorINSA_10device_ptrIxEEEEPS6_SG_NS0_5tupleIJNSA_16discard_iteratorINSA_11use_defaultEEES6_EEENSH_IJSG_SG_EEES6_PlJNSB_9not_fun_tI7is_trueIxEEEEEE10hipError_tPvRmT3_T4_T5_T6_T7_T9_mT8_P12ihipStream_tbDpT10_ENKUlT_T0_E_clISt17integral_constantIbLb0EES1B_EEDaS16_S17_EUlS16_E_NS1_11comp_targetILNS1_3genE8ELNS1_11target_archE1030ELNS1_3gpuE2ELNS1_3repE0EEENS1_30default_config_static_selectorELNS0_4arch9wavefront6targetE0EEEvT1_.has_recursion, 0
	.set _ZN7rocprim17ROCPRIM_400000_NS6detail17trampoline_kernelINS0_14default_configENS1_25partition_config_selectorILNS1_17partition_subalgoE6ExNS0_10empty_typeEbEEZZNS1_14partition_implILS5_6ELb0ES3_mN6thrust23THRUST_200600_302600_NS6detail15normal_iteratorINSA_10device_ptrIxEEEEPS6_SG_NS0_5tupleIJNSA_16discard_iteratorINSA_11use_defaultEEES6_EEENSH_IJSG_SG_EEES6_PlJNSB_9not_fun_tI7is_trueIxEEEEEE10hipError_tPvRmT3_T4_T5_T6_T7_T9_mT8_P12ihipStream_tbDpT10_ENKUlT_T0_E_clISt17integral_constantIbLb0EES1B_EEDaS16_S17_EUlS16_E_NS1_11comp_targetILNS1_3genE8ELNS1_11target_archE1030ELNS1_3gpuE2ELNS1_3repE0EEENS1_30default_config_static_selectorELNS0_4arch9wavefront6targetE0EEEvT1_.has_indirect_call, 0
	.section	.AMDGPU.csdata,"",@progbits
; Kernel info:
; codeLenInByte = 0
; TotalNumSgprs: 0
; NumVgprs: 0
; ScratchSize: 0
; MemoryBound: 0
; FloatMode: 240
; IeeeMode: 1
; LDSByteSize: 0 bytes/workgroup (compile time only)
; SGPRBlocks: 0
; VGPRBlocks: 0
; NumSGPRsForWavesPerEU: 1
; NumVGPRsForWavesPerEU: 1
; Occupancy: 16
; WaveLimiterHint : 0
; COMPUTE_PGM_RSRC2:SCRATCH_EN: 0
; COMPUTE_PGM_RSRC2:USER_SGPR: 2
; COMPUTE_PGM_RSRC2:TRAP_HANDLER: 0
; COMPUTE_PGM_RSRC2:TGID_X_EN: 1
; COMPUTE_PGM_RSRC2:TGID_Y_EN: 0
; COMPUTE_PGM_RSRC2:TGID_Z_EN: 0
; COMPUTE_PGM_RSRC2:TIDIG_COMP_CNT: 0
	.section	.text._ZN7rocprim17ROCPRIM_400000_NS6detail17trampoline_kernelINS0_14default_configENS1_25partition_config_selectorILNS1_17partition_subalgoE6ExNS0_10empty_typeEbEEZZNS1_14partition_implILS5_6ELb0ES3_mN6thrust23THRUST_200600_302600_NS6detail15normal_iteratorINSA_10device_ptrIxEEEEPS6_SG_NS0_5tupleIJNSA_16discard_iteratorINSA_11use_defaultEEES6_EEENSH_IJSG_SG_EEES6_PlJNSB_9not_fun_tI7is_trueIxEEEEEE10hipError_tPvRmT3_T4_T5_T6_T7_T9_mT8_P12ihipStream_tbDpT10_ENKUlT_T0_E_clISt17integral_constantIbLb1EES1B_EEDaS16_S17_EUlS16_E_NS1_11comp_targetILNS1_3genE0ELNS1_11target_archE4294967295ELNS1_3gpuE0ELNS1_3repE0EEENS1_30default_config_static_selectorELNS0_4arch9wavefront6targetE0EEEvT1_,"axG",@progbits,_ZN7rocprim17ROCPRIM_400000_NS6detail17trampoline_kernelINS0_14default_configENS1_25partition_config_selectorILNS1_17partition_subalgoE6ExNS0_10empty_typeEbEEZZNS1_14partition_implILS5_6ELb0ES3_mN6thrust23THRUST_200600_302600_NS6detail15normal_iteratorINSA_10device_ptrIxEEEEPS6_SG_NS0_5tupleIJNSA_16discard_iteratorINSA_11use_defaultEEES6_EEENSH_IJSG_SG_EEES6_PlJNSB_9not_fun_tI7is_trueIxEEEEEE10hipError_tPvRmT3_T4_T5_T6_T7_T9_mT8_P12ihipStream_tbDpT10_ENKUlT_T0_E_clISt17integral_constantIbLb1EES1B_EEDaS16_S17_EUlS16_E_NS1_11comp_targetILNS1_3genE0ELNS1_11target_archE4294967295ELNS1_3gpuE0ELNS1_3repE0EEENS1_30default_config_static_selectorELNS0_4arch9wavefront6targetE0EEEvT1_,comdat
	.protected	_ZN7rocprim17ROCPRIM_400000_NS6detail17trampoline_kernelINS0_14default_configENS1_25partition_config_selectorILNS1_17partition_subalgoE6ExNS0_10empty_typeEbEEZZNS1_14partition_implILS5_6ELb0ES3_mN6thrust23THRUST_200600_302600_NS6detail15normal_iteratorINSA_10device_ptrIxEEEEPS6_SG_NS0_5tupleIJNSA_16discard_iteratorINSA_11use_defaultEEES6_EEENSH_IJSG_SG_EEES6_PlJNSB_9not_fun_tI7is_trueIxEEEEEE10hipError_tPvRmT3_T4_T5_T6_T7_T9_mT8_P12ihipStream_tbDpT10_ENKUlT_T0_E_clISt17integral_constantIbLb1EES1B_EEDaS16_S17_EUlS16_E_NS1_11comp_targetILNS1_3genE0ELNS1_11target_archE4294967295ELNS1_3gpuE0ELNS1_3repE0EEENS1_30default_config_static_selectorELNS0_4arch9wavefront6targetE0EEEvT1_ ; -- Begin function _ZN7rocprim17ROCPRIM_400000_NS6detail17trampoline_kernelINS0_14default_configENS1_25partition_config_selectorILNS1_17partition_subalgoE6ExNS0_10empty_typeEbEEZZNS1_14partition_implILS5_6ELb0ES3_mN6thrust23THRUST_200600_302600_NS6detail15normal_iteratorINSA_10device_ptrIxEEEEPS6_SG_NS0_5tupleIJNSA_16discard_iteratorINSA_11use_defaultEEES6_EEENSH_IJSG_SG_EEES6_PlJNSB_9not_fun_tI7is_trueIxEEEEEE10hipError_tPvRmT3_T4_T5_T6_T7_T9_mT8_P12ihipStream_tbDpT10_ENKUlT_T0_E_clISt17integral_constantIbLb1EES1B_EEDaS16_S17_EUlS16_E_NS1_11comp_targetILNS1_3genE0ELNS1_11target_archE4294967295ELNS1_3gpuE0ELNS1_3repE0EEENS1_30default_config_static_selectorELNS0_4arch9wavefront6targetE0EEEvT1_
	.globl	_ZN7rocprim17ROCPRIM_400000_NS6detail17trampoline_kernelINS0_14default_configENS1_25partition_config_selectorILNS1_17partition_subalgoE6ExNS0_10empty_typeEbEEZZNS1_14partition_implILS5_6ELb0ES3_mN6thrust23THRUST_200600_302600_NS6detail15normal_iteratorINSA_10device_ptrIxEEEEPS6_SG_NS0_5tupleIJNSA_16discard_iteratorINSA_11use_defaultEEES6_EEENSH_IJSG_SG_EEES6_PlJNSB_9not_fun_tI7is_trueIxEEEEEE10hipError_tPvRmT3_T4_T5_T6_T7_T9_mT8_P12ihipStream_tbDpT10_ENKUlT_T0_E_clISt17integral_constantIbLb1EES1B_EEDaS16_S17_EUlS16_E_NS1_11comp_targetILNS1_3genE0ELNS1_11target_archE4294967295ELNS1_3gpuE0ELNS1_3repE0EEENS1_30default_config_static_selectorELNS0_4arch9wavefront6targetE0EEEvT1_
	.p2align	8
	.type	_ZN7rocprim17ROCPRIM_400000_NS6detail17trampoline_kernelINS0_14default_configENS1_25partition_config_selectorILNS1_17partition_subalgoE6ExNS0_10empty_typeEbEEZZNS1_14partition_implILS5_6ELb0ES3_mN6thrust23THRUST_200600_302600_NS6detail15normal_iteratorINSA_10device_ptrIxEEEEPS6_SG_NS0_5tupleIJNSA_16discard_iteratorINSA_11use_defaultEEES6_EEENSH_IJSG_SG_EEES6_PlJNSB_9not_fun_tI7is_trueIxEEEEEE10hipError_tPvRmT3_T4_T5_T6_T7_T9_mT8_P12ihipStream_tbDpT10_ENKUlT_T0_E_clISt17integral_constantIbLb1EES1B_EEDaS16_S17_EUlS16_E_NS1_11comp_targetILNS1_3genE0ELNS1_11target_archE4294967295ELNS1_3gpuE0ELNS1_3repE0EEENS1_30default_config_static_selectorELNS0_4arch9wavefront6targetE0EEEvT1_,@function
_ZN7rocprim17ROCPRIM_400000_NS6detail17trampoline_kernelINS0_14default_configENS1_25partition_config_selectorILNS1_17partition_subalgoE6ExNS0_10empty_typeEbEEZZNS1_14partition_implILS5_6ELb0ES3_mN6thrust23THRUST_200600_302600_NS6detail15normal_iteratorINSA_10device_ptrIxEEEEPS6_SG_NS0_5tupleIJNSA_16discard_iteratorINSA_11use_defaultEEES6_EEENSH_IJSG_SG_EEES6_PlJNSB_9not_fun_tI7is_trueIxEEEEEE10hipError_tPvRmT3_T4_T5_T6_T7_T9_mT8_P12ihipStream_tbDpT10_ENKUlT_T0_E_clISt17integral_constantIbLb1EES1B_EEDaS16_S17_EUlS16_E_NS1_11comp_targetILNS1_3genE0ELNS1_11target_archE4294967295ELNS1_3gpuE0ELNS1_3repE0EEENS1_30default_config_static_selectorELNS0_4arch9wavefront6targetE0EEEvT1_: ; @_ZN7rocprim17ROCPRIM_400000_NS6detail17trampoline_kernelINS0_14default_configENS1_25partition_config_selectorILNS1_17partition_subalgoE6ExNS0_10empty_typeEbEEZZNS1_14partition_implILS5_6ELb0ES3_mN6thrust23THRUST_200600_302600_NS6detail15normal_iteratorINSA_10device_ptrIxEEEEPS6_SG_NS0_5tupleIJNSA_16discard_iteratorINSA_11use_defaultEEES6_EEENSH_IJSG_SG_EEES6_PlJNSB_9not_fun_tI7is_trueIxEEEEEE10hipError_tPvRmT3_T4_T5_T6_T7_T9_mT8_P12ihipStream_tbDpT10_ENKUlT_T0_E_clISt17integral_constantIbLb1EES1B_EEDaS16_S17_EUlS16_E_NS1_11comp_targetILNS1_3genE0ELNS1_11target_archE4294967295ELNS1_3gpuE0ELNS1_3repE0EEENS1_30default_config_static_selectorELNS0_4arch9wavefront6targetE0EEEvT1_
; %bb.0:
	.section	.rodata,"a",@progbits
	.p2align	6, 0x0
	.amdhsa_kernel _ZN7rocprim17ROCPRIM_400000_NS6detail17trampoline_kernelINS0_14default_configENS1_25partition_config_selectorILNS1_17partition_subalgoE6ExNS0_10empty_typeEbEEZZNS1_14partition_implILS5_6ELb0ES3_mN6thrust23THRUST_200600_302600_NS6detail15normal_iteratorINSA_10device_ptrIxEEEEPS6_SG_NS0_5tupleIJNSA_16discard_iteratorINSA_11use_defaultEEES6_EEENSH_IJSG_SG_EEES6_PlJNSB_9not_fun_tI7is_trueIxEEEEEE10hipError_tPvRmT3_T4_T5_T6_T7_T9_mT8_P12ihipStream_tbDpT10_ENKUlT_T0_E_clISt17integral_constantIbLb1EES1B_EEDaS16_S17_EUlS16_E_NS1_11comp_targetILNS1_3genE0ELNS1_11target_archE4294967295ELNS1_3gpuE0ELNS1_3repE0EEENS1_30default_config_static_selectorELNS0_4arch9wavefront6targetE0EEEvT1_
		.amdhsa_group_segment_fixed_size 0
		.amdhsa_private_segment_fixed_size 0
		.amdhsa_kernarg_size 136
		.amdhsa_user_sgpr_count 2
		.amdhsa_user_sgpr_dispatch_ptr 0
		.amdhsa_user_sgpr_queue_ptr 0
		.amdhsa_user_sgpr_kernarg_segment_ptr 1
		.amdhsa_user_sgpr_dispatch_id 0
		.amdhsa_user_sgpr_private_segment_size 0
		.amdhsa_wavefront_size32 1
		.amdhsa_uses_dynamic_stack 0
		.amdhsa_enable_private_segment 0
		.amdhsa_system_sgpr_workgroup_id_x 1
		.amdhsa_system_sgpr_workgroup_id_y 0
		.amdhsa_system_sgpr_workgroup_id_z 0
		.amdhsa_system_sgpr_workgroup_info 0
		.amdhsa_system_vgpr_workitem_id 0
		.amdhsa_next_free_vgpr 1
		.amdhsa_next_free_sgpr 1
		.amdhsa_reserve_vcc 0
		.amdhsa_float_round_mode_32 0
		.amdhsa_float_round_mode_16_64 0
		.amdhsa_float_denorm_mode_32 3
		.amdhsa_float_denorm_mode_16_64 3
		.amdhsa_fp16_overflow 0
		.amdhsa_workgroup_processor_mode 1
		.amdhsa_memory_ordered 1
		.amdhsa_forward_progress 1
		.amdhsa_inst_pref_size 0
		.amdhsa_round_robin_scheduling 0
		.amdhsa_exception_fp_ieee_invalid_op 0
		.amdhsa_exception_fp_denorm_src 0
		.amdhsa_exception_fp_ieee_div_zero 0
		.amdhsa_exception_fp_ieee_overflow 0
		.amdhsa_exception_fp_ieee_underflow 0
		.amdhsa_exception_fp_ieee_inexact 0
		.amdhsa_exception_int_div_zero 0
	.end_amdhsa_kernel
	.section	.text._ZN7rocprim17ROCPRIM_400000_NS6detail17trampoline_kernelINS0_14default_configENS1_25partition_config_selectorILNS1_17partition_subalgoE6ExNS0_10empty_typeEbEEZZNS1_14partition_implILS5_6ELb0ES3_mN6thrust23THRUST_200600_302600_NS6detail15normal_iteratorINSA_10device_ptrIxEEEEPS6_SG_NS0_5tupleIJNSA_16discard_iteratorINSA_11use_defaultEEES6_EEENSH_IJSG_SG_EEES6_PlJNSB_9not_fun_tI7is_trueIxEEEEEE10hipError_tPvRmT3_T4_T5_T6_T7_T9_mT8_P12ihipStream_tbDpT10_ENKUlT_T0_E_clISt17integral_constantIbLb1EES1B_EEDaS16_S17_EUlS16_E_NS1_11comp_targetILNS1_3genE0ELNS1_11target_archE4294967295ELNS1_3gpuE0ELNS1_3repE0EEENS1_30default_config_static_selectorELNS0_4arch9wavefront6targetE0EEEvT1_,"axG",@progbits,_ZN7rocprim17ROCPRIM_400000_NS6detail17trampoline_kernelINS0_14default_configENS1_25partition_config_selectorILNS1_17partition_subalgoE6ExNS0_10empty_typeEbEEZZNS1_14partition_implILS5_6ELb0ES3_mN6thrust23THRUST_200600_302600_NS6detail15normal_iteratorINSA_10device_ptrIxEEEEPS6_SG_NS0_5tupleIJNSA_16discard_iteratorINSA_11use_defaultEEES6_EEENSH_IJSG_SG_EEES6_PlJNSB_9not_fun_tI7is_trueIxEEEEEE10hipError_tPvRmT3_T4_T5_T6_T7_T9_mT8_P12ihipStream_tbDpT10_ENKUlT_T0_E_clISt17integral_constantIbLb1EES1B_EEDaS16_S17_EUlS16_E_NS1_11comp_targetILNS1_3genE0ELNS1_11target_archE4294967295ELNS1_3gpuE0ELNS1_3repE0EEENS1_30default_config_static_selectorELNS0_4arch9wavefront6targetE0EEEvT1_,comdat
.Lfunc_end2245:
	.size	_ZN7rocprim17ROCPRIM_400000_NS6detail17trampoline_kernelINS0_14default_configENS1_25partition_config_selectorILNS1_17partition_subalgoE6ExNS0_10empty_typeEbEEZZNS1_14partition_implILS5_6ELb0ES3_mN6thrust23THRUST_200600_302600_NS6detail15normal_iteratorINSA_10device_ptrIxEEEEPS6_SG_NS0_5tupleIJNSA_16discard_iteratorINSA_11use_defaultEEES6_EEENSH_IJSG_SG_EEES6_PlJNSB_9not_fun_tI7is_trueIxEEEEEE10hipError_tPvRmT3_T4_T5_T6_T7_T9_mT8_P12ihipStream_tbDpT10_ENKUlT_T0_E_clISt17integral_constantIbLb1EES1B_EEDaS16_S17_EUlS16_E_NS1_11comp_targetILNS1_3genE0ELNS1_11target_archE4294967295ELNS1_3gpuE0ELNS1_3repE0EEENS1_30default_config_static_selectorELNS0_4arch9wavefront6targetE0EEEvT1_, .Lfunc_end2245-_ZN7rocprim17ROCPRIM_400000_NS6detail17trampoline_kernelINS0_14default_configENS1_25partition_config_selectorILNS1_17partition_subalgoE6ExNS0_10empty_typeEbEEZZNS1_14partition_implILS5_6ELb0ES3_mN6thrust23THRUST_200600_302600_NS6detail15normal_iteratorINSA_10device_ptrIxEEEEPS6_SG_NS0_5tupleIJNSA_16discard_iteratorINSA_11use_defaultEEES6_EEENSH_IJSG_SG_EEES6_PlJNSB_9not_fun_tI7is_trueIxEEEEEE10hipError_tPvRmT3_T4_T5_T6_T7_T9_mT8_P12ihipStream_tbDpT10_ENKUlT_T0_E_clISt17integral_constantIbLb1EES1B_EEDaS16_S17_EUlS16_E_NS1_11comp_targetILNS1_3genE0ELNS1_11target_archE4294967295ELNS1_3gpuE0ELNS1_3repE0EEENS1_30default_config_static_selectorELNS0_4arch9wavefront6targetE0EEEvT1_
                                        ; -- End function
	.set _ZN7rocprim17ROCPRIM_400000_NS6detail17trampoline_kernelINS0_14default_configENS1_25partition_config_selectorILNS1_17partition_subalgoE6ExNS0_10empty_typeEbEEZZNS1_14partition_implILS5_6ELb0ES3_mN6thrust23THRUST_200600_302600_NS6detail15normal_iteratorINSA_10device_ptrIxEEEEPS6_SG_NS0_5tupleIJNSA_16discard_iteratorINSA_11use_defaultEEES6_EEENSH_IJSG_SG_EEES6_PlJNSB_9not_fun_tI7is_trueIxEEEEEE10hipError_tPvRmT3_T4_T5_T6_T7_T9_mT8_P12ihipStream_tbDpT10_ENKUlT_T0_E_clISt17integral_constantIbLb1EES1B_EEDaS16_S17_EUlS16_E_NS1_11comp_targetILNS1_3genE0ELNS1_11target_archE4294967295ELNS1_3gpuE0ELNS1_3repE0EEENS1_30default_config_static_selectorELNS0_4arch9wavefront6targetE0EEEvT1_.num_vgpr, 0
	.set _ZN7rocprim17ROCPRIM_400000_NS6detail17trampoline_kernelINS0_14default_configENS1_25partition_config_selectorILNS1_17partition_subalgoE6ExNS0_10empty_typeEbEEZZNS1_14partition_implILS5_6ELb0ES3_mN6thrust23THRUST_200600_302600_NS6detail15normal_iteratorINSA_10device_ptrIxEEEEPS6_SG_NS0_5tupleIJNSA_16discard_iteratorINSA_11use_defaultEEES6_EEENSH_IJSG_SG_EEES6_PlJNSB_9not_fun_tI7is_trueIxEEEEEE10hipError_tPvRmT3_T4_T5_T6_T7_T9_mT8_P12ihipStream_tbDpT10_ENKUlT_T0_E_clISt17integral_constantIbLb1EES1B_EEDaS16_S17_EUlS16_E_NS1_11comp_targetILNS1_3genE0ELNS1_11target_archE4294967295ELNS1_3gpuE0ELNS1_3repE0EEENS1_30default_config_static_selectorELNS0_4arch9wavefront6targetE0EEEvT1_.num_agpr, 0
	.set _ZN7rocprim17ROCPRIM_400000_NS6detail17trampoline_kernelINS0_14default_configENS1_25partition_config_selectorILNS1_17partition_subalgoE6ExNS0_10empty_typeEbEEZZNS1_14partition_implILS5_6ELb0ES3_mN6thrust23THRUST_200600_302600_NS6detail15normal_iteratorINSA_10device_ptrIxEEEEPS6_SG_NS0_5tupleIJNSA_16discard_iteratorINSA_11use_defaultEEES6_EEENSH_IJSG_SG_EEES6_PlJNSB_9not_fun_tI7is_trueIxEEEEEE10hipError_tPvRmT3_T4_T5_T6_T7_T9_mT8_P12ihipStream_tbDpT10_ENKUlT_T0_E_clISt17integral_constantIbLb1EES1B_EEDaS16_S17_EUlS16_E_NS1_11comp_targetILNS1_3genE0ELNS1_11target_archE4294967295ELNS1_3gpuE0ELNS1_3repE0EEENS1_30default_config_static_selectorELNS0_4arch9wavefront6targetE0EEEvT1_.numbered_sgpr, 0
	.set _ZN7rocprim17ROCPRIM_400000_NS6detail17trampoline_kernelINS0_14default_configENS1_25partition_config_selectorILNS1_17partition_subalgoE6ExNS0_10empty_typeEbEEZZNS1_14partition_implILS5_6ELb0ES3_mN6thrust23THRUST_200600_302600_NS6detail15normal_iteratorINSA_10device_ptrIxEEEEPS6_SG_NS0_5tupleIJNSA_16discard_iteratorINSA_11use_defaultEEES6_EEENSH_IJSG_SG_EEES6_PlJNSB_9not_fun_tI7is_trueIxEEEEEE10hipError_tPvRmT3_T4_T5_T6_T7_T9_mT8_P12ihipStream_tbDpT10_ENKUlT_T0_E_clISt17integral_constantIbLb1EES1B_EEDaS16_S17_EUlS16_E_NS1_11comp_targetILNS1_3genE0ELNS1_11target_archE4294967295ELNS1_3gpuE0ELNS1_3repE0EEENS1_30default_config_static_selectorELNS0_4arch9wavefront6targetE0EEEvT1_.num_named_barrier, 0
	.set _ZN7rocprim17ROCPRIM_400000_NS6detail17trampoline_kernelINS0_14default_configENS1_25partition_config_selectorILNS1_17partition_subalgoE6ExNS0_10empty_typeEbEEZZNS1_14partition_implILS5_6ELb0ES3_mN6thrust23THRUST_200600_302600_NS6detail15normal_iteratorINSA_10device_ptrIxEEEEPS6_SG_NS0_5tupleIJNSA_16discard_iteratorINSA_11use_defaultEEES6_EEENSH_IJSG_SG_EEES6_PlJNSB_9not_fun_tI7is_trueIxEEEEEE10hipError_tPvRmT3_T4_T5_T6_T7_T9_mT8_P12ihipStream_tbDpT10_ENKUlT_T0_E_clISt17integral_constantIbLb1EES1B_EEDaS16_S17_EUlS16_E_NS1_11comp_targetILNS1_3genE0ELNS1_11target_archE4294967295ELNS1_3gpuE0ELNS1_3repE0EEENS1_30default_config_static_selectorELNS0_4arch9wavefront6targetE0EEEvT1_.private_seg_size, 0
	.set _ZN7rocprim17ROCPRIM_400000_NS6detail17trampoline_kernelINS0_14default_configENS1_25partition_config_selectorILNS1_17partition_subalgoE6ExNS0_10empty_typeEbEEZZNS1_14partition_implILS5_6ELb0ES3_mN6thrust23THRUST_200600_302600_NS6detail15normal_iteratorINSA_10device_ptrIxEEEEPS6_SG_NS0_5tupleIJNSA_16discard_iteratorINSA_11use_defaultEEES6_EEENSH_IJSG_SG_EEES6_PlJNSB_9not_fun_tI7is_trueIxEEEEEE10hipError_tPvRmT3_T4_T5_T6_T7_T9_mT8_P12ihipStream_tbDpT10_ENKUlT_T0_E_clISt17integral_constantIbLb1EES1B_EEDaS16_S17_EUlS16_E_NS1_11comp_targetILNS1_3genE0ELNS1_11target_archE4294967295ELNS1_3gpuE0ELNS1_3repE0EEENS1_30default_config_static_selectorELNS0_4arch9wavefront6targetE0EEEvT1_.uses_vcc, 0
	.set _ZN7rocprim17ROCPRIM_400000_NS6detail17trampoline_kernelINS0_14default_configENS1_25partition_config_selectorILNS1_17partition_subalgoE6ExNS0_10empty_typeEbEEZZNS1_14partition_implILS5_6ELb0ES3_mN6thrust23THRUST_200600_302600_NS6detail15normal_iteratorINSA_10device_ptrIxEEEEPS6_SG_NS0_5tupleIJNSA_16discard_iteratorINSA_11use_defaultEEES6_EEENSH_IJSG_SG_EEES6_PlJNSB_9not_fun_tI7is_trueIxEEEEEE10hipError_tPvRmT3_T4_T5_T6_T7_T9_mT8_P12ihipStream_tbDpT10_ENKUlT_T0_E_clISt17integral_constantIbLb1EES1B_EEDaS16_S17_EUlS16_E_NS1_11comp_targetILNS1_3genE0ELNS1_11target_archE4294967295ELNS1_3gpuE0ELNS1_3repE0EEENS1_30default_config_static_selectorELNS0_4arch9wavefront6targetE0EEEvT1_.uses_flat_scratch, 0
	.set _ZN7rocprim17ROCPRIM_400000_NS6detail17trampoline_kernelINS0_14default_configENS1_25partition_config_selectorILNS1_17partition_subalgoE6ExNS0_10empty_typeEbEEZZNS1_14partition_implILS5_6ELb0ES3_mN6thrust23THRUST_200600_302600_NS6detail15normal_iteratorINSA_10device_ptrIxEEEEPS6_SG_NS0_5tupleIJNSA_16discard_iteratorINSA_11use_defaultEEES6_EEENSH_IJSG_SG_EEES6_PlJNSB_9not_fun_tI7is_trueIxEEEEEE10hipError_tPvRmT3_T4_T5_T6_T7_T9_mT8_P12ihipStream_tbDpT10_ENKUlT_T0_E_clISt17integral_constantIbLb1EES1B_EEDaS16_S17_EUlS16_E_NS1_11comp_targetILNS1_3genE0ELNS1_11target_archE4294967295ELNS1_3gpuE0ELNS1_3repE0EEENS1_30default_config_static_selectorELNS0_4arch9wavefront6targetE0EEEvT1_.has_dyn_sized_stack, 0
	.set _ZN7rocprim17ROCPRIM_400000_NS6detail17trampoline_kernelINS0_14default_configENS1_25partition_config_selectorILNS1_17partition_subalgoE6ExNS0_10empty_typeEbEEZZNS1_14partition_implILS5_6ELb0ES3_mN6thrust23THRUST_200600_302600_NS6detail15normal_iteratorINSA_10device_ptrIxEEEEPS6_SG_NS0_5tupleIJNSA_16discard_iteratorINSA_11use_defaultEEES6_EEENSH_IJSG_SG_EEES6_PlJNSB_9not_fun_tI7is_trueIxEEEEEE10hipError_tPvRmT3_T4_T5_T6_T7_T9_mT8_P12ihipStream_tbDpT10_ENKUlT_T0_E_clISt17integral_constantIbLb1EES1B_EEDaS16_S17_EUlS16_E_NS1_11comp_targetILNS1_3genE0ELNS1_11target_archE4294967295ELNS1_3gpuE0ELNS1_3repE0EEENS1_30default_config_static_selectorELNS0_4arch9wavefront6targetE0EEEvT1_.has_recursion, 0
	.set _ZN7rocprim17ROCPRIM_400000_NS6detail17trampoline_kernelINS0_14default_configENS1_25partition_config_selectorILNS1_17partition_subalgoE6ExNS0_10empty_typeEbEEZZNS1_14partition_implILS5_6ELb0ES3_mN6thrust23THRUST_200600_302600_NS6detail15normal_iteratorINSA_10device_ptrIxEEEEPS6_SG_NS0_5tupleIJNSA_16discard_iteratorINSA_11use_defaultEEES6_EEENSH_IJSG_SG_EEES6_PlJNSB_9not_fun_tI7is_trueIxEEEEEE10hipError_tPvRmT3_T4_T5_T6_T7_T9_mT8_P12ihipStream_tbDpT10_ENKUlT_T0_E_clISt17integral_constantIbLb1EES1B_EEDaS16_S17_EUlS16_E_NS1_11comp_targetILNS1_3genE0ELNS1_11target_archE4294967295ELNS1_3gpuE0ELNS1_3repE0EEENS1_30default_config_static_selectorELNS0_4arch9wavefront6targetE0EEEvT1_.has_indirect_call, 0
	.section	.AMDGPU.csdata,"",@progbits
; Kernel info:
; codeLenInByte = 0
; TotalNumSgprs: 0
; NumVgprs: 0
; ScratchSize: 0
; MemoryBound: 0
; FloatMode: 240
; IeeeMode: 1
; LDSByteSize: 0 bytes/workgroup (compile time only)
; SGPRBlocks: 0
; VGPRBlocks: 0
; NumSGPRsForWavesPerEU: 1
; NumVGPRsForWavesPerEU: 1
; Occupancy: 16
; WaveLimiterHint : 0
; COMPUTE_PGM_RSRC2:SCRATCH_EN: 0
; COMPUTE_PGM_RSRC2:USER_SGPR: 2
; COMPUTE_PGM_RSRC2:TRAP_HANDLER: 0
; COMPUTE_PGM_RSRC2:TGID_X_EN: 1
; COMPUTE_PGM_RSRC2:TGID_Y_EN: 0
; COMPUTE_PGM_RSRC2:TGID_Z_EN: 0
; COMPUTE_PGM_RSRC2:TIDIG_COMP_CNT: 0
	.section	.text._ZN7rocprim17ROCPRIM_400000_NS6detail17trampoline_kernelINS0_14default_configENS1_25partition_config_selectorILNS1_17partition_subalgoE6ExNS0_10empty_typeEbEEZZNS1_14partition_implILS5_6ELb0ES3_mN6thrust23THRUST_200600_302600_NS6detail15normal_iteratorINSA_10device_ptrIxEEEEPS6_SG_NS0_5tupleIJNSA_16discard_iteratorINSA_11use_defaultEEES6_EEENSH_IJSG_SG_EEES6_PlJNSB_9not_fun_tI7is_trueIxEEEEEE10hipError_tPvRmT3_T4_T5_T6_T7_T9_mT8_P12ihipStream_tbDpT10_ENKUlT_T0_E_clISt17integral_constantIbLb1EES1B_EEDaS16_S17_EUlS16_E_NS1_11comp_targetILNS1_3genE5ELNS1_11target_archE942ELNS1_3gpuE9ELNS1_3repE0EEENS1_30default_config_static_selectorELNS0_4arch9wavefront6targetE0EEEvT1_,"axG",@progbits,_ZN7rocprim17ROCPRIM_400000_NS6detail17trampoline_kernelINS0_14default_configENS1_25partition_config_selectorILNS1_17partition_subalgoE6ExNS0_10empty_typeEbEEZZNS1_14partition_implILS5_6ELb0ES3_mN6thrust23THRUST_200600_302600_NS6detail15normal_iteratorINSA_10device_ptrIxEEEEPS6_SG_NS0_5tupleIJNSA_16discard_iteratorINSA_11use_defaultEEES6_EEENSH_IJSG_SG_EEES6_PlJNSB_9not_fun_tI7is_trueIxEEEEEE10hipError_tPvRmT3_T4_T5_T6_T7_T9_mT8_P12ihipStream_tbDpT10_ENKUlT_T0_E_clISt17integral_constantIbLb1EES1B_EEDaS16_S17_EUlS16_E_NS1_11comp_targetILNS1_3genE5ELNS1_11target_archE942ELNS1_3gpuE9ELNS1_3repE0EEENS1_30default_config_static_selectorELNS0_4arch9wavefront6targetE0EEEvT1_,comdat
	.protected	_ZN7rocprim17ROCPRIM_400000_NS6detail17trampoline_kernelINS0_14default_configENS1_25partition_config_selectorILNS1_17partition_subalgoE6ExNS0_10empty_typeEbEEZZNS1_14partition_implILS5_6ELb0ES3_mN6thrust23THRUST_200600_302600_NS6detail15normal_iteratorINSA_10device_ptrIxEEEEPS6_SG_NS0_5tupleIJNSA_16discard_iteratorINSA_11use_defaultEEES6_EEENSH_IJSG_SG_EEES6_PlJNSB_9not_fun_tI7is_trueIxEEEEEE10hipError_tPvRmT3_T4_T5_T6_T7_T9_mT8_P12ihipStream_tbDpT10_ENKUlT_T0_E_clISt17integral_constantIbLb1EES1B_EEDaS16_S17_EUlS16_E_NS1_11comp_targetILNS1_3genE5ELNS1_11target_archE942ELNS1_3gpuE9ELNS1_3repE0EEENS1_30default_config_static_selectorELNS0_4arch9wavefront6targetE0EEEvT1_ ; -- Begin function _ZN7rocprim17ROCPRIM_400000_NS6detail17trampoline_kernelINS0_14default_configENS1_25partition_config_selectorILNS1_17partition_subalgoE6ExNS0_10empty_typeEbEEZZNS1_14partition_implILS5_6ELb0ES3_mN6thrust23THRUST_200600_302600_NS6detail15normal_iteratorINSA_10device_ptrIxEEEEPS6_SG_NS0_5tupleIJNSA_16discard_iteratorINSA_11use_defaultEEES6_EEENSH_IJSG_SG_EEES6_PlJNSB_9not_fun_tI7is_trueIxEEEEEE10hipError_tPvRmT3_T4_T5_T6_T7_T9_mT8_P12ihipStream_tbDpT10_ENKUlT_T0_E_clISt17integral_constantIbLb1EES1B_EEDaS16_S17_EUlS16_E_NS1_11comp_targetILNS1_3genE5ELNS1_11target_archE942ELNS1_3gpuE9ELNS1_3repE0EEENS1_30default_config_static_selectorELNS0_4arch9wavefront6targetE0EEEvT1_
	.globl	_ZN7rocprim17ROCPRIM_400000_NS6detail17trampoline_kernelINS0_14default_configENS1_25partition_config_selectorILNS1_17partition_subalgoE6ExNS0_10empty_typeEbEEZZNS1_14partition_implILS5_6ELb0ES3_mN6thrust23THRUST_200600_302600_NS6detail15normal_iteratorINSA_10device_ptrIxEEEEPS6_SG_NS0_5tupleIJNSA_16discard_iteratorINSA_11use_defaultEEES6_EEENSH_IJSG_SG_EEES6_PlJNSB_9not_fun_tI7is_trueIxEEEEEE10hipError_tPvRmT3_T4_T5_T6_T7_T9_mT8_P12ihipStream_tbDpT10_ENKUlT_T0_E_clISt17integral_constantIbLb1EES1B_EEDaS16_S17_EUlS16_E_NS1_11comp_targetILNS1_3genE5ELNS1_11target_archE942ELNS1_3gpuE9ELNS1_3repE0EEENS1_30default_config_static_selectorELNS0_4arch9wavefront6targetE0EEEvT1_
	.p2align	8
	.type	_ZN7rocprim17ROCPRIM_400000_NS6detail17trampoline_kernelINS0_14default_configENS1_25partition_config_selectorILNS1_17partition_subalgoE6ExNS0_10empty_typeEbEEZZNS1_14partition_implILS5_6ELb0ES3_mN6thrust23THRUST_200600_302600_NS6detail15normal_iteratorINSA_10device_ptrIxEEEEPS6_SG_NS0_5tupleIJNSA_16discard_iteratorINSA_11use_defaultEEES6_EEENSH_IJSG_SG_EEES6_PlJNSB_9not_fun_tI7is_trueIxEEEEEE10hipError_tPvRmT3_T4_T5_T6_T7_T9_mT8_P12ihipStream_tbDpT10_ENKUlT_T0_E_clISt17integral_constantIbLb1EES1B_EEDaS16_S17_EUlS16_E_NS1_11comp_targetILNS1_3genE5ELNS1_11target_archE942ELNS1_3gpuE9ELNS1_3repE0EEENS1_30default_config_static_selectorELNS0_4arch9wavefront6targetE0EEEvT1_,@function
_ZN7rocprim17ROCPRIM_400000_NS6detail17trampoline_kernelINS0_14default_configENS1_25partition_config_selectorILNS1_17partition_subalgoE6ExNS0_10empty_typeEbEEZZNS1_14partition_implILS5_6ELb0ES3_mN6thrust23THRUST_200600_302600_NS6detail15normal_iteratorINSA_10device_ptrIxEEEEPS6_SG_NS0_5tupleIJNSA_16discard_iteratorINSA_11use_defaultEEES6_EEENSH_IJSG_SG_EEES6_PlJNSB_9not_fun_tI7is_trueIxEEEEEE10hipError_tPvRmT3_T4_T5_T6_T7_T9_mT8_P12ihipStream_tbDpT10_ENKUlT_T0_E_clISt17integral_constantIbLb1EES1B_EEDaS16_S17_EUlS16_E_NS1_11comp_targetILNS1_3genE5ELNS1_11target_archE942ELNS1_3gpuE9ELNS1_3repE0EEENS1_30default_config_static_selectorELNS0_4arch9wavefront6targetE0EEEvT1_: ; @_ZN7rocprim17ROCPRIM_400000_NS6detail17trampoline_kernelINS0_14default_configENS1_25partition_config_selectorILNS1_17partition_subalgoE6ExNS0_10empty_typeEbEEZZNS1_14partition_implILS5_6ELb0ES3_mN6thrust23THRUST_200600_302600_NS6detail15normal_iteratorINSA_10device_ptrIxEEEEPS6_SG_NS0_5tupleIJNSA_16discard_iteratorINSA_11use_defaultEEES6_EEENSH_IJSG_SG_EEES6_PlJNSB_9not_fun_tI7is_trueIxEEEEEE10hipError_tPvRmT3_T4_T5_T6_T7_T9_mT8_P12ihipStream_tbDpT10_ENKUlT_T0_E_clISt17integral_constantIbLb1EES1B_EEDaS16_S17_EUlS16_E_NS1_11comp_targetILNS1_3genE5ELNS1_11target_archE942ELNS1_3gpuE9ELNS1_3repE0EEENS1_30default_config_static_selectorELNS0_4arch9wavefront6targetE0EEEvT1_
; %bb.0:
	.section	.rodata,"a",@progbits
	.p2align	6, 0x0
	.amdhsa_kernel _ZN7rocprim17ROCPRIM_400000_NS6detail17trampoline_kernelINS0_14default_configENS1_25partition_config_selectorILNS1_17partition_subalgoE6ExNS0_10empty_typeEbEEZZNS1_14partition_implILS5_6ELb0ES3_mN6thrust23THRUST_200600_302600_NS6detail15normal_iteratorINSA_10device_ptrIxEEEEPS6_SG_NS0_5tupleIJNSA_16discard_iteratorINSA_11use_defaultEEES6_EEENSH_IJSG_SG_EEES6_PlJNSB_9not_fun_tI7is_trueIxEEEEEE10hipError_tPvRmT3_T4_T5_T6_T7_T9_mT8_P12ihipStream_tbDpT10_ENKUlT_T0_E_clISt17integral_constantIbLb1EES1B_EEDaS16_S17_EUlS16_E_NS1_11comp_targetILNS1_3genE5ELNS1_11target_archE942ELNS1_3gpuE9ELNS1_3repE0EEENS1_30default_config_static_selectorELNS0_4arch9wavefront6targetE0EEEvT1_
		.amdhsa_group_segment_fixed_size 0
		.amdhsa_private_segment_fixed_size 0
		.amdhsa_kernarg_size 136
		.amdhsa_user_sgpr_count 2
		.amdhsa_user_sgpr_dispatch_ptr 0
		.amdhsa_user_sgpr_queue_ptr 0
		.amdhsa_user_sgpr_kernarg_segment_ptr 1
		.amdhsa_user_sgpr_dispatch_id 0
		.amdhsa_user_sgpr_private_segment_size 0
		.amdhsa_wavefront_size32 1
		.amdhsa_uses_dynamic_stack 0
		.amdhsa_enable_private_segment 0
		.amdhsa_system_sgpr_workgroup_id_x 1
		.amdhsa_system_sgpr_workgroup_id_y 0
		.amdhsa_system_sgpr_workgroup_id_z 0
		.amdhsa_system_sgpr_workgroup_info 0
		.amdhsa_system_vgpr_workitem_id 0
		.amdhsa_next_free_vgpr 1
		.amdhsa_next_free_sgpr 1
		.amdhsa_reserve_vcc 0
		.amdhsa_float_round_mode_32 0
		.amdhsa_float_round_mode_16_64 0
		.amdhsa_float_denorm_mode_32 3
		.amdhsa_float_denorm_mode_16_64 3
		.amdhsa_fp16_overflow 0
		.amdhsa_workgroup_processor_mode 1
		.amdhsa_memory_ordered 1
		.amdhsa_forward_progress 1
		.amdhsa_inst_pref_size 0
		.amdhsa_round_robin_scheduling 0
		.amdhsa_exception_fp_ieee_invalid_op 0
		.amdhsa_exception_fp_denorm_src 0
		.amdhsa_exception_fp_ieee_div_zero 0
		.amdhsa_exception_fp_ieee_overflow 0
		.amdhsa_exception_fp_ieee_underflow 0
		.amdhsa_exception_fp_ieee_inexact 0
		.amdhsa_exception_int_div_zero 0
	.end_amdhsa_kernel
	.section	.text._ZN7rocprim17ROCPRIM_400000_NS6detail17trampoline_kernelINS0_14default_configENS1_25partition_config_selectorILNS1_17partition_subalgoE6ExNS0_10empty_typeEbEEZZNS1_14partition_implILS5_6ELb0ES3_mN6thrust23THRUST_200600_302600_NS6detail15normal_iteratorINSA_10device_ptrIxEEEEPS6_SG_NS0_5tupleIJNSA_16discard_iteratorINSA_11use_defaultEEES6_EEENSH_IJSG_SG_EEES6_PlJNSB_9not_fun_tI7is_trueIxEEEEEE10hipError_tPvRmT3_T4_T5_T6_T7_T9_mT8_P12ihipStream_tbDpT10_ENKUlT_T0_E_clISt17integral_constantIbLb1EES1B_EEDaS16_S17_EUlS16_E_NS1_11comp_targetILNS1_3genE5ELNS1_11target_archE942ELNS1_3gpuE9ELNS1_3repE0EEENS1_30default_config_static_selectorELNS0_4arch9wavefront6targetE0EEEvT1_,"axG",@progbits,_ZN7rocprim17ROCPRIM_400000_NS6detail17trampoline_kernelINS0_14default_configENS1_25partition_config_selectorILNS1_17partition_subalgoE6ExNS0_10empty_typeEbEEZZNS1_14partition_implILS5_6ELb0ES3_mN6thrust23THRUST_200600_302600_NS6detail15normal_iteratorINSA_10device_ptrIxEEEEPS6_SG_NS0_5tupleIJNSA_16discard_iteratorINSA_11use_defaultEEES6_EEENSH_IJSG_SG_EEES6_PlJNSB_9not_fun_tI7is_trueIxEEEEEE10hipError_tPvRmT3_T4_T5_T6_T7_T9_mT8_P12ihipStream_tbDpT10_ENKUlT_T0_E_clISt17integral_constantIbLb1EES1B_EEDaS16_S17_EUlS16_E_NS1_11comp_targetILNS1_3genE5ELNS1_11target_archE942ELNS1_3gpuE9ELNS1_3repE0EEENS1_30default_config_static_selectorELNS0_4arch9wavefront6targetE0EEEvT1_,comdat
.Lfunc_end2246:
	.size	_ZN7rocprim17ROCPRIM_400000_NS6detail17trampoline_kernelINS0_14default_configENS1_25partition_config_selectorILNS1_17partition_subalgoE6ExNS0_10empty_typeEbEEZZNS1_14partition_implILS5_6ELb0ES3_mN6thrust23THRUST_200600_302600_NS6detail15normal_iteratorINSA_10device_ptrIxEEEEPS6_SG_NS0_5tupleIJNSA_16discard_iteratorINSA_11use_defaultEEES6_EEENSH_IJSG_SG_EEES6_PlJNSB_9not_fun_tI7is_trueIxEEEEEE10hipError_tPvRmT3_T4_T5_T6_T7_T9_mT8_P12ihipStream_tbDpT10_ENKUlT_T0_E_clISt17integral_constantIbLb1EES1B_EEDaS16_S17_EUlS16_E_NS1_11comp_targetILNS1_3genE5ELNS1_11target_archE942ELNS1_3gpuE9ELNS1_3repE0EEENS1_30default_config_static_selectorELNS0_4arch9wavefront6targetE0EEEvT1_, .Lfunc_end2246-_ZN7rocprim17ROCPRIM_400000_NS6detail17trampoline_kernelINS0_14default_configENS1_25partition_config_selectorILNS1_17partition_subalgoE6ExNS0_10empty_typeEbEEZZNS1_14partition_implILS5_6ELb0ES3_mN6thrust23THRUST_200600_302600_NS6detail15normal_iteratorINSA_10device_ptrIxEEEEPS6_SG_NS0_5tupleIJNSA_16discard_iteratorINSA_11use_defaultEEES6_EEENSH_IJSG_SG_EEES6_PlJNSB_9not_fun_tI7is_trueIxEEEEEE10hipError_tPvRmT3_T4_T5_T6_T7_T9_mT8_P12ihipStream_tbDpT10_ENKUlT_T0_E_clISt17integral_constantIbLb1EES1B_EEDaS16_S17_EUlS16_E_NS1_11comp_targetILNS1_3genE5ELNS1_11target_archE942ELNS1_3gpuE9ELNS1_3repE0EEENS1_30default_config_static_selectorELNS0_4arch9wavefront6targetE0EEEvT1_
                                        ; -- End function
	.set _ZN7rocprim17ROCPRIM_400000_NS6detail17trampoline_kernelINS0_14default_configENS1_25partition_config_selectorILNS1_17partition_subalgoE6ExNS0_10empty_typeEbEEZZNS1_14partition_implILS5_6ELb0ES3_mN6thrust23THRUST_200600_302600_NS6detail15normal_iteratorINSA_10device_ptrIxEEEEPS6_SG_NS0_5tupleIJNSA_16discard_iteratorINSA_11use_defaultEEES6_EEENSH_IJSG_SG_EEES6_PlJNSB_9not_fun_tI7is_trueIxEEEEEE10hipError_tPvRmT3_T4_T5_T6_T7_T9_mT8_P12ihipStream_tbDpT10_ENKUlT_T0_E_clISt17integral_constantIbLb1EES1B_EEDaS16_S17_EUlS16_E_NS1_11comp_targetILNS1_3genE5ELNS1_11target_archE942ELNS1_3gpuE9ELNS1_3repE0EEENS1_30default_config_static_selectorELNS0_4arch9wavefront6targetE0EEEvT1_.num_vgpr, 0
	.set _ZN7rocprim17ROCPRIM_400000_NS6detail17trampoline_kernelINS0_14default_configENS1_25partition_config_selectorILNS1_17partition_subalgoE6ExNS0_10empty_typeEbEEZZNS1_14partition_implILS5_6ELb0ES3_mN6thrust23THRUST_200600_302600_NS6detail15normal_iteratorINSA_10device_ptrIxEEEEPS6_SG_NS0_5tupleIJNSA_16discard_iteratorINSA_11use_defaultEEES6_EEENSH_IJSG_SG_EEES6_PlJNSB_9not_fun_tI7is_trueIxEEEEEE10hipError_tPvRmT3_T4_T5_T6_T7_T9_mT8_P12ihipStream_tbDpT10_ENKUlT_T0_E_clISt17integral_constantIbLb1EES1B_EEDaS16_S17_EUlS16_E_NS1_11comp_targetILNS1_3genE5ELNS1_11target_archE942ELNS1_3gpuE9ELNS1_3repE0EEENS1_30default_config_static_selectorELNS0_4arch9wavefront6targetE0EEEvT1_.num_agpr, 0
	.set _ZN7rocprim17ROCPRIM_400000_NS6detail17trampoline_kernelINS0_14default_configENS1_25partition_config_selectorILNS1_17partition_subalgoE6ExNS0_10empty_typeEbEEZZNS1_14partition_implILS5_6ELb0ES3_mN6thrust23THRUST_200600_302600_NS6detail15normal_iteratorINSA_10device_ptrIxEEEEPS6_SG_NS0_5tupleIJNSA_16discard_iteratorINSA_11use_defaultEEES6_EEENSH_IJSG_SG_EEES6_PlJNSB_9not_fun_tI7is_trueIxEEEEEE10hipError_tPvRmT3_T4_T5_T6_T7_T9_mT8_P12ihipStream_tbDpT10_ENKUlT_T0_E_clISt17integral_constantIbLb1EES1B_EEDaS16_S17_EUlS16_E_NS1_11comp_targetILNS1_3genE5ELNS1_11target_archE942ELNS1_3gpuE9ELNS1_3repE0EEENS1_30default_config_static_selectorELNS0_4arch9wavefront6targetE0EEEvT1_.numbered_sgpr, 0
	.set _ZN7rocprim17ROCPRIM_400000_NS6detail17trampoline_kernelINS0_14default_configENS1_25partition_config_selectorILNS1_17partition_subalgoE6ExNS0_10empty_typeEbEEZZNS1_14partition_implILS5_6ELb0ES3_mN6thrust23THRUST_200600_302600_NS6detail15normal_iteratorINSA_10device_ptrIxEEEEPS6_SG_NS0_5tupleIJNSA_16discard_iteratorINSA_11use_defaultEEES6_EEENSH_IJSG_SG_EEES6_PlJNSB_9not_fun_tI7is_trueIxEEEEEE10hipError_tPvRmT3_T4_T5_T6_T7_T9_mT8_P12ihipStream_tbDpT10_ENKUlT_T0_E_clISt17integral_constantIbLb1EES1B_EEDaS16_S17_EUlS16_E_NS1_11comp_targetILNS1_3genE5ELNS1_11target_archE942ELNS1_3gpuE9ELNS1_3repE0EEENS1_30default_config_static_selectorELNS0_4arch9wavefront6targetE0EEEvT1_.num_named_barrier, 0
	.set _ZN7rocprim17ROCPRIM_400000_NS6detail17trampoline_kernelINS0_14default_configENS1_25partition_config_selectorILNS1_17partition_subalgoE6ExNS0_10empty_typeEbEEZZNS1_14partition_implILS5_6ELb0ES3_mN6thrust23THRUST_200600_302600_NS6detail15normal_iteratorINSA_10device_ptrIxEEEEPS6_SG_NS0_5tupleIJNSA_16discard_iteratorINSA_11use_defaultEEES6_EEENSH_IJSG_SG_EEES6_PlJNSB_9not_fun_tI7is_trueIxEEEEEE10hipError_tPvRmT3_T4_T5_T6_T7_T9_mT8_P12ihipStream_tbDpT10_ENKUlT_T0_E_clISt17integral_constantIbLb1EES1B_EEDaS16_S17_EUlS16_E_NS1_11comp_targetILNS1_3genE5ELNS1_11target_archE942ELNS1_3gpuE9ELNS1_3repE0EEENS1_30default_config_static_selectorELNS0_4arch9wavefront6targetE0EEEvT1_.private_seg_size, 0
	.set _ZN7rocprim17ROCPRIM_400000_NS6detail17trampoline_kernelINS0_14default_configENS1_25partition_config_selectorILNS1_17partition_subalgoE6ExNS0_10empty_typeEbEEZZNS1_14partition_implILS5_6ELb0ES3_mN6thrust23THRUST_200600_302600_NS6detail15normal_iteratorINSA_10device_ptrIxEEEEPS6_SG_NS0_5tupleIJNSA_16discard_iteratorINSA_11use_defaultEEES6_EEENSH_IJSG_SG_EEES6_PlJNSB_9not_fun_tI7is_trueIxEEEEEE10hipError_tPvRmT3_T4_T5_T6_T7_T9_mT8_P12ihipStream_tbDpT10_ENKUlT_T0_E_clISt17integral_constantIbLb1EES1B_EEDaS16_S17_EUlS16_E_NS1_11comp_targetILNS1_3genE5ELNS1_11target_archE942ELNS1_3gpuE9ELNS1_3repE0EEENS1_30default_config_static_selectorELNS0_4arch9wavefront6targetE0EEEvT1_.uses_vcc, 0
	.set _ZN7rocprim17ROCPRIM_400000_NS6detail17trampoline_kernelINS0_14default_configENS1_25partition_config_selectorILNS1_17partition_subalgoE6ExNS0_10empty_typeEbEEZZNS1_14partition_implILS5_6ELb0ES3_mN6thrust23THRUST_200600_302600_NS6detail15normal_iteratorINSA_10device_ptrIxEEEEPS6_SG_NS0_5tupleIJNSA_16discard_iteratorINSA_11use_defaultEEES6_EEENSH_IJSG_SG_EEES6_PlJNSB_9not_fun_tI7is_trueIxEEEEEE10hipError_tPvRmT3_T4_T5_T6_T7_T9_mT8_P12ihipStream_tbDpT10_ENKUlT_T0_E_clISt17integral_constantIbLb1EES1B_EEDaS16_S17_EUlS16_E_NS1_11comp_targetILNS1_3genE5ELNS1_11target_archE942ELNS1_3gpuE9ELNS1_3repE0EEENS1_30default_config_static_selectorELNS0_4arch9wavefront6targetE0EEEvT1_.uses_flat_scratch, 0
	.set _ZN7rocprim17ROCPRIM_400000_NS6detail17trampoline_kernelINS0_14default_configENS1_25partition_config_selectorILNS1_17partition_subalgoE6ExNS0_10empty_typeEbEEZZNS1_14partition_implILS5_6ELb0ES3_mN6thrust23THRUST_200600_302600_NS6detail15normal_iteratorINSA_10device_ptrIxEEEEPS6_SG_NS0_5tupleIJNSA_16discard_iteratorINSA_11use_defaultEEES6_EEENSH_IJSG_SG_EEES6_PlJNSB_9not_fun_tI7is_trueIxEEEEEE10hipError_tPvRmT3_T4_T5_T6_T7_T9_mT8_P12ihipStream_tbDpT10_ENKUlT_T0_E_clISt17integral_constantIbLb1EES1B_EEDaS16_S17_EUlS16_E_NS1_11comp_targetILNS1_3genE5ELNS1_11target_archE942ELNS1_3gpuE9ELNS1_3repE0EEENS1_30default_config_static_selectorELNS0_4arch9wavefront6targetE0EEEvT1_.has_dyn_sized_stack, 0
	.set _ZN7rocprim17ROCPRIM_400000_NS6detail17trampoline_kernelINS0_14default_configENS1_25partition_config_selectorILNS1_17partition_subalgoE6ExNS0_10empty_typeEbEEZZNS1_14partition_implILS5_6ELb0ES3_mN6thrust23THRUST_200600_302600_NS6detail15normal_iteratorINSA_10device_ptrIxEEEEPS6_SG_NS0_5tupleIJNSA_16discard_iteratorINSA_11use_defaultEEES6_EEENSH_IJSG_SG_EEES6_PlJNSB_9not_fun_tI7is_trueIxEEEEEE10hipError_tPvRmT3_T4_T5_T6_T7_T9_mT8_P12ihipStream_tbDpT10_ENKUlT_T0_E_clISt17integral_constantIbLb1EES1B_EEDaS16_S17_EUlS16_E_NS1_11comp_targetILNS1_3genE5ELNS1_11target_archE942ELNS1_3gpuE9ELNS1_3repE0EEENS1_30default_config_static_selectorELNS0_4arch9wavefront6targetE0EEEvT1_.has_recursion, 0
	.set _ZN7rocprim17ROCPRIM_400000_NS6detail17trampoline_kernelINS0_14default_configENS1_25partition_config_selectorILNS1_17partition_subalgoE6ExNS0_10empty_typeEbEEZZNS1_14partition_implILS5_6ELb0ES3_mN6thrust23THRUST_200600_302600_NS6detail15normal_iteratorINSA_10device_ptrIxEEEEPS6_SG_NS0_5tupleIJNSA_16discard_iteratorINSA_11use_defaultEEES6_EEENSH_IJSG_SG_EEES6_PlJNSB_9not_fun_tI7is_trueIxEEEEEE10hipError_tPvRmT3_T4_T5_T6_T7_T9_mT8_P12ihipStream_tbDpT10_ENKUlT_T0_E_clISt17integral_constantIbLb1EES1B_EEDaS16_S17_EUlS16_E_NS1_11comp_targetILNS1_3genE5ELNS1_11target_archE942ELNS1_3gpuE9ELNS1_3repE0EEENS1_30default_config_static_selectorELNS0_4arch9wavefront6targetE0EEEvT1_.has_indirect_call, 0
	.section	.AMDGPU.csdata,"",@progbits
; Kernel info:
; codeLenInByte = 0
; TotalNumSgprs: 0
; NumVgprs: 0
; ScratchSize: 0
; MemoryBound: 0
; FloatMode: 240
; IeeeMode: 1
; LDSByteSize: 0 bytes/workgroup (compile time only)
; SGPRBlocks: 0
; VGPRBlocks: 0
; NumSGPRsForWavesPerEU: 1
; NumVGPRsForWavesPerEU: 1
; Occupancy: 16
; WaveLimiterHint : 0
; COMPUTE_PGM_RSRC2:SCRATCH_EN: 0
; COMPUTE_PGM_RSRC2:USER_SGPR: 2
; COMPUTE_PGM_RSRC2:TRAP_HANDLER: 0
; COMPUTE_PGM_RSRC2:TGID_X_EN: 1
; COMPUTE_PGM_RSRC2:TGID_Y_EN: 0
; COMPUTE_PGM_RSRC2:TGID_Z_EN: 0
; COMPUTE_PGM_RSRC2:TIDIG_COMP_CNT: 0
	.section	.text._ZN7rocprim17ROCPRIM_400000_NS6detail17trampoline_kernelINS0_14default_configENS1_25partition_config_selectorILNS1_17partition_subalgoE6ExNS0_10empty_typeEbEEZZNS1_14partition_implILS5_6ELb0ES3_mN6thrust23THRUST_200600_302600_NS6detail15normal_iteratorINSA_10device_ptrIxEEEEPS6_SG_NS0_5tupleIJNSA_16discard_iteratorINSA_11use_defaultEEES6_EEENSH_IJSG_SG_EEES6_PlJNSB_9not_fun_tI7is_trueIxEEEEEE10hipError_tPvRmT3_T4_T5_T6_T7_T9_mT8_P12ihipStream_tbDpT10_ENKUlT_T0_E_clISt17integral_constantIbLb1EES1B_EEDaS16_S17_EUlS16_E_NS1_11comp_targetILNS1_3genE4ELNS1_11target_archE910ELNS1_3gpuE8ELNS1_3repE0EEENS1_30default_config_static_selectorELNS0_4arch9wavefront6targetE0EEEvT1_,"axG",@progbits,_ZN7rocprim17ROCPRIM_400000_NS6detail17trampoline_kernelINS0_14default_configENS1_25partition_config_selectorILNS1_17partition_subalgoE6ExNS0_10empty_typeEbEEZZNS1_14partition_implILS5_6ELb0ES3_mN6thrust23THRUST_200600_302600_NS6detail15normal_iteratorINSA_10device_ptrIxEEEEPS6_SG_NS0_5tupleIJNSA_16discard_iteratorINSA_11use_defaultEEES6_EEENSH_IJSG_SG_EEES6_PlJNSB_9not_fun_tI7is_trueIxEEEEEE10hipError_tPvRmT3_T4_T5_T6_T7_T9_mT8_P12ihipStream_tbDpT10_ENKUlT_T0_E_clISt17integral_constantIbLb1EES1B_EEDaS16_S17_EUlS16_E_NS1_11comp_targetILNS1_3genE4ELNS1_11target_archE910ELNS1_3gpuE8ELNS1_3repE0EEENS1_30default_config_static_selectorELNS0_4arch9wavefront6targetE0EEEvT1_,comdat
	.protected	_ZN7rocprim17ROCPRIM_400000_NS6detail17trampoline_kernelINS0_14default_configENS1_25partition_config_selectorILNS1_17partition_subalgoE6ExNS0_10empty_typeEbEEZZNS1_14partition_implILS5_6ELb0ES3_mN6thrust23THRUST_200600_302600_NS6detail15normal_iteratorINSA_10device_ptrIxEEEEPS6_SG_NS0_5tupleIJNSA_16discard_iteratorINSA_11use_defaultEEES6_EEENSH_IJSG_SG_EEES6_PlJNSB_9not_fun_tI7is_trueIxEEEEEE10hipError_tPvRmT3_T4_T5_T6_T7_T9_mT8_P12ihipStream_tbDpT10_ENKUlT_T0_E_clISt17integral_constantIbLb1EES1B_EEDaS16_S17_EUlS16_E_NS1_11comp_targetILNS1_3genE4ELNS1_11target_archE910ELNS1_3gpuE8ELNS1_3repE0EEENS1_30default_config_static_selectorELNS0_4arch9wavefront6targetE0EEEvT1_ ; -- Begin function _ZN7rocprim17ROCPRIM_400000_NS6detail17trampoline_kernelINS0_14default_configENS1_25partition_config_selectorILNS1_17partition_subalgoE6ExNS0_10empty_typeEbEEZZNS1_14partition_implILS5_6ELb0ES3_mN6thrust23THRUST_200600_302600_NS6detail15normal_iteratorINSA_10device_ptrIxEEEEPS6_SG_NS0_5tupleIJNSA_16discard_iteratorINSA_11use_defaultEEES6_EEENSH_IJSG_SG_EEES6_PlJNSB_9not_fun_tI7is_trueIxEEEEEE10hipError_tPvRmT3_T4_T5_T6_T7_T9_mT8_P12ihipStream_tbDpT10_ENKUlT_T0_E_clISt17integral_constantIbLb1EES1B_EEDaS16_S17_EUlS16_E_NS1_11comp_targetILNS1_3genE4ELNS1_11target_archE910ELNS1_3gpuE8ELNS1_3repE0EEENS1_30default_config_static_selectorELNS0_4arch9wavefront6targetE0EEEvT1_
	.globl	_ZN7rocprim17ROCPRIM_400000_NS6detail17trampoline_kernelINS0_14default_configENS1_25partition_config_selectorILNS1_17partition_subalgoE6ExNS0_10empty_typeEbEEZZNS1_14partition_implILS5_6ELb0ES3_mN6thrust23THRUST_200600_302600_NS6detail15normal_iteratorINSA_10device_ptrIxEEEEPS6_SG_NS0_5tupleIJNSA_16discard_iteratorINSA_11use_defaultEEES6_EEENSH_IJSG_SG_EEES6_PlJNSB_9not_fun_tI7is_trueIxEEEEEE10hipError_tPvRmT3_T4_T5_T6_T7_T9_mT8_P12ihipStream_tbDpT10_ENKUlT_T0_E_clISt17integral_constantIbLb1EES1B_EEDaS16_S17_EUlS16_E_NS1_11comp_targetILNS1_3genE4ELNS1_11target_archE910ELNS1_3gpuE8ELNS1_3repE0EEENS1_30default_config_static_selectorELNS0_4arch9wavefront6targetE0EEEvT1_
	.p2align	8
	.type	_ZN7rocprim17ROCPRIM_400000_NS6detail17trampoline_kernelINS0_14default_configENS1_25partition_config_selectorILNS1_17partition_subalgoE6ExNS0_10empty_typeEbEEZZNS1_14partition_implILS5_6ELb0ES3_mN6thrust23THRUST_200600_302600_NS6detail15normal_iteratorINSA_10device_ptrIxEEEEPS6_SG_NS0_5tupleIJNSA_16discard_iteratorINSA_11use_defaultEEES6_EEENSH_IJSG_SG_EEES6_PlJNSB_9not_fun_tI7is_trueIxEEEEEE10hipError_tPvRmT3_T4_T5_T6_T7_T9_mT8_P12ihipStream_tbDpT10_ENKUlT_T0_E_clISt17integral_constantIbLb1EES1B_EEDaS16_S17_EUlS16_E_NS1_11comp_targetILNS1_3genE4ELNS1_11target_archE910ELNS1_3gpuE8ELNS1_3repE0EEENS1_30default_config_static_selectorELNS0_4arch9wavefront6targetE0EEEvT1_,@function
_ZN7rocprim17ROCPRIM_400000_NS6detail17trampoline_kernelINS0_14default_configENS1_25partition_config_selectorILNS1_17partition_subalgoE6ExNS0_10empty_typeEbEEZZNS1_14partition_implILS5_6ELb0ES3_mN6thrust23THRUST_200600_302600_NS6detail15normal_iteratorINSA_10device_ptrIxEEEEPS6_SG_NS0_5tupleIJNSA_16discard_iteratorINSA_11use_defaultEEES6_EEENSH_IJSG_SG_EEES6_PlJNSB_9not_fun_tI7is_trueIxEEEEEE10hipError_tPvRmT3_T4_T5_T6_T7_T9_mT8_P12ihipStream_tbDpT10_ENKUlT_T0_E_clISt17integral_constantIbLb1EES1B_EEDaS16_S17_EUlS16_E_NS1_11comp_targetILNS1_3genE4ELNS1_11target_archE910ELNS1_3gpuE8ELNS1_3repE0EEENS1_30default_config_static_selectorELNS0_4arch9wavefront6targetE0EEEvT1_: ; @_ZN7rocprim17ROCPRIM_400000_NS6detail17trampoline_kernelINS0_14default_configENS1_25partition_config_selectorILNS1_17partition_subalgoE6ExNS0_10empty_typeEbEEZZNS1_14partition_implILS5_6ELb0ES3_mN6thrust23THRUST_200600_302600_NS6detail15normal_iteratorINSA_10device_ptrIxEEEEPS6_SG_NS0_5tupleIJNSA_16discard_iteratorINSA_11use_defaultEEES6_EEENSH_IJSG_SG_EEES6_PlJNSB_9not_fun_tI7is_trueIxEEEEEE10hipError_tPvRmT3_T4_T5_T6_T7_T9_mT8_P12ihipStream_tbDpT10_ENKUlT_T0_E_clISt17integral_constantIbLb1EES1B_EEDaS16_S17_EUlS16_E_NS1_11comp_targetILNS1_3genE4ELNS1_11target_archE910ELNS1_3gpuE8ELNS1_3repE0EEENS1_30default_config_static_selectorELNS0_4arch9wavefront6targetE0EEEvT1_
; %bb.0:
	.section	.rodata,"a",@progbits
	.p2align	6, 0x0
	.amdhsa_kernel _ZN7rocprim17ROCPRIM_400000_NS6detail17trampoline_kernelINS0_14default_configENS1_25partition_config_selectorILNS1_17partition_subalgoE6ExNS0_10empty_typeEbEEZZNS1_14partition_implILS5_6ELb0ES3_mN6thrust23THRUST_200600_302600_NS6detail15normal_iteratorINSA_10device_ptrIxEEEEPS6_SG_NS0_5tupleIJNSA_16discard_iteratorINSA_11use_defaultEEES6_EEENSH_IJSG_SG_EEES6_PlJNSB_9not_fun_tI7is_trueIxEEEEEE10hipError_tPvRmT3_T4_T5_T6_T7_T9_mT8_P12ihipStream_tbDpT10_ENKUlT_T0_E_clISt17integral_constantIbLb1EES1B_EEDaS16_S17_EUlS16_E_NS1_11comp_targetILNS1_3genE4ELNS1_11target_archE910ELNS1_3gpuE8ELNS1_3repE0EEENS1_30default_config_static_selectorELNS0_4arch9wavefront6targetE0EEEvT1_
		.amdhsa_group_segment_fixed_size 0
		.amdhsa_private_segment_fixed_size 0
		.amdhsa_kernarg_size 136
		.amdhsa_user_sgpr_count 2
		.amdhsa_user_sgpr_dispatch_ptr 0
		.amdhsa_user_sgpr_queue_ptr 0
		.amdhsa_user_sgpr_kernarg_segment_ptr 1
		.amdhsa_user_sgpr_dispatch_id 0
		.amdhsa_user_sgpr_private_segment_size 0
		.amdhsa_wavefront_size32 1
		.amdhsa_uses_dynamic_stack 0
		.amdhsa_enable_private_segment 0
		.amdhsa_system_sgpr_workgroup_id_x 1
		.amdhsa_system_sgpr_workgroup_id_y 0
		.amdhsa_system_sgpr_workgroup_id_z 0
		.amdhsa_system_sgpr_workgroup_info 0
		.amdhsa_system_vgpr_workitem_id 0
		.amdhsa_next_free_vgpr 1
		.amdhsa_next_free_sgpr 1
		.amdhsa_reserve_vcc 0
		.amdhsa_float_round_mode_32 0
		.amdhsa_float_round_mode_16_64 0
		.amdhsa_float_denorm_mode_32 3
		.amdhsa_float_denorm_mode_16_64 3
		.amdhsa_fp16_overflow 0
		.amdhsa_workgroup_processor_mode 1
		.amdhsa_memory_ordered 1
		.amdhsa_forward_progress 1
		.amdhsa_inst_pref_size 0
		.amdhsa_round_robin_scheduling 0
		.amdhsa_exception_fp_ieee_invalid_op 0
		.amdhsa_exception_fp_denorm_src 0
		.amdhsa_exception_fp_ieee_div_zero 0
		.amdhsa_exception_fp_ieee_overflow 0
		.amdhsa_exception_fp_ieee_underflow 0
		.amdhsa_exception_fp_ieee_inexact 0
		.amdhsa_exception_int_div_zero 0
	.end_amdhsa_kernel
	.section	.text._ZN7rocprim17ROCPRIM_400000_NS6detail17trampoline_kernelINS0_14default_configENS1_25partition_config_selectorILNS1_17partition_subalgoE6ExNS0_10empty_typeEbEEZZNS1_14partition_implILS5_6ELb0ES3_mN6thrust23THRUST_200600_302600_NS6detail15normal_iteratorINSA_10device_ptrIxEEEEPS6_SG_NS0_5tupleIJNSA_16discard_iteratorINSA_11use_defaultEEES6_EEENSH_IJSG_SG_EEES6_PlJNSB_9not_fun_tI7is_trueIxEEEEEE10hipError_tPvRmT3_T4_T5_T6_T7_T9_mT8_P12ihipStream_tbDpT10_ENKUlT_T0_E_clISt17integral_constantIbLb1EES1B_EEDaS16_S17_EUlS16_E_NS1_11comp_targetILNS1_3genE4ELNS1_11target_archE910ELNS1_3gpuE8ELNS1_3repE0EEENS1_30default_config_static_selectorELNS0_4arch9wavefront6targetE0EEEvT1_,"axG",@progbits,_ZN7rocprim17ROCPRIM_400000_NS6detail17trampoline_kernelINS0_14default_configENS1_25partition_config_selectorILNS1_17partition_subalgoE6ExNS0_10empty_typeEbEEZZNS1_14partition_implILS5_6ELb0ES3_mN6thrust23THRUST_200600_302600_NS6detail15normal_iteratorINSA_10device_ptrIxEEEEPS6_SG_NS0_5tupleIJNSA_16discard_iteratorINSA_11use_defaultEEES6_EEENSH_IJSG_SG_EEES6_PlJNSB_9not_fun_tI7is_trueIxEEEEEE10hipError_tPvRmT3_T4_T5_T6_T7_T9_mT8_P12ihipStream_tbDpT10_ENKUlT_T0_E_clISt17integral_constantIbLb1EES1B_EEDaS16_S17_EUlS16_E_NS1_11comp_targetILNS1_3genE4ELNS1_11target_archE910ELNS1_3gpuE8ELNS1_3repE0EEENS1_30default_config_static_selectorELNS0_4arch9wavefront6targetE0EEEvT1_,comdat
.Lfunc_end2247:
	.size	_ZN7rocprim17ROCPRIM_400000_NS6detail17trampoline_kernelINS0_14default_configENS1_25partition_config_selectorILNS1_17partition_subalgoE6ExNS0_10empty_typeEbEEZZNS1_14partition_implILS5_6ELb0ES3_mN6thrust23THRUST_200600_302600_NS6detail15normal_iteratorINSA_10device_ptrIxEEEEPS6_SG_NS0_5tupleIJNSA_16discard_iteratorINSA_11use_defaultEEES6_EEENSH_IJSG_SG_EEES6_PlJNSB_9not_fun_tI7is_trueIxEEEEEE10hipError_tPvRmT3_T4_T5_T6_T7_T9_mT8_P12ihipStream_tbDpT10_ENKUlT_T0_E_clISt17integral_constantIbLb1EES1B_EEDaS16_S17_EUlS16_E_NS1_11comp_targetILNS1_3genE4ELNS1_11target_archE910ELNS1_3gpuE8ELNS1_3repE0EEENS1_30default_config_static_selectorELNS0_4arch9wavefront6targetE0EEEvT1_, .Lfunc_end2247-_ZN7rocprim17ROCPRIM_400000_NS6detail17trampoline_kernelINS0_14default_configENS1_25partition_config_selectorILNS1_17partition_subalgoE6ExNS0_10empty_typeEbEEZZNS1_14partition_implILS5_6ELb0ES3_mN6thrust23THRUST_200600_302600_NS6detail15normal_iteratorINSA_10device_ptrIxEEEEPS6_SG_NS0_5tupleIJNSA_16discard_iteratorINSA_11use_defaultEEES6_EEENSH_IJSG_SG_EEES6_PlJNSB_9not_fun_tI7is_trueIxEEEEEE10hipError_tPvRmT3_T4_T5_T6_T7_T9_mT8_P12ihipStream_tbDpT10_ENKUlT_T0_E_clISt17integral_constantIbLb1EES1B_EEDaS16_S17_EUlS16_E_NS1_11comp_targetILNS1_3genE4ELNS1_11target_archE910ELNS1_3gpuE8ELNS1_3repE0EEENS1_30default_config_static_selectorELNS0_4arch9wavefront6targetE0EEEvT1_
                                        ; -- End function
	.set _ZN7rocprim17ROCPRIM_400000_NS6detail17trampoline_kernelINS0_14default_configENS1_25partition_config_selectorILNS1_17partition_subalgoE6ExNS0_10empty_typeEbEEZZNS1_14partition_implILS5_6ELb0ES3_mN6thrust23THRUST_200600_302600_NS6detail15normal_iteratorINSA_10device_ptrIxEEEEPS6_SG_NS0_5tupleIJNSA_16discard_iteratorINSA_11use_defaultEEES6_EEENSH_IJSG_SG_EEES6_PlJNSB_9not_fun_tI7is_trueIxEEEEEE10hipError_tPvRmT3_T4_T5_T6_T7_T9_mT8_P12ihipStream_tbDpT10_ENKUlT_T0_E_clISt17integral_constantIbLb1EES1B_EEDaS16_S17_EUlS16_E_NS1_11comp_targetILNS1_3genE4ELNS1_11target_archE910ELNS1_3gpuE8ELNS1_3repE0EEENS1_30default_config_static_selectorELNS0_4arch9wavefront6targetE0EEEvT1_.num_vgpr, 0
	.set _ZN7rocprim17ROCPRIM_400000_NS6detail17trampoline_kernelINS0_14default_configENS1_25partition_config_selectorILNS1_17partition_subalgoE6ExNS0_10empty_typeEbEEZZNS1_14partition_implILS5_6ELb0ES3_mN6thrust23THRUST_200600_302600_NS6detail15normal_iteratorINSA_10device_ptrIxEEEEPS6_SG_NS0_5tupleIJNSA_16discard_iteratorINSA_11use_defaultEEES6_EEENSH_IJSG_SG_EEES6_PlJNSB_9not_fun_tI7is_trueIxEEEEEE10hipError_tPvRmT3_T4_T5_T6_T7_T9_mT8_P12ihipStream_tbDpT10_ENKUlT_T0_E_clISt17integral_constantIbLb1EES1B_EEDaS16_S17_EUlS16_E_NS1_11comp_targetILNS1_3genE4ELNS1_11target_archE910ELNS1_3gpuE8ELNS1_3repE0EEENS1_30default_config_static_selectorELNS0_4arch9wavefront6targetE0EEEvT1_.num_agpr, 0
	.set _ZN7rocprim17ROCPRIM_400000_NS6detail17trampoline_kernelINS0_14default_configENS1_25partition_config_selectorILNS1_17partition_subalgoE6ExNS0_10empty_typeEbEEZZNS1_14partition_implILS5_6ELb0ES3_mN6thrust23THRUST_200600_302600_NS6detail15normal_iteratorINSA_10device_ptrIxEEEEPS6_SG_NS0_5tupleIJNSA_16discard_iteratorINSA_11use_defaultEEES6_EEENSH_IJSG_SG_EEES6_PlJNSB_9not_fun_tI7is_trueIxEEEEEE10hipError_tPvRmT3_T4_T5_T6_T7_T9_mT8_P12ihipStream_tbDpT10_ENKUlT_T0_E_clISt17integral_constantIbLb1EES1B_EEDaS16_S17_EUlS16_E_NS1_11comp_targetILNS1_3genE4ELNS1_11target_archE910ELNS1_3gpuE8ELNS1_3repE0EEENS1_30default_config_static_selectorELNS0_4arch9wavefront6targetE0EEEvT1_.numbered_sgpr, 0
	.set _ZN7rocprim17ROCPRIM_400000_NS6detail17trampoline_kernelINS0_14default_configENS1_25partition_config_selectorILNS1_17partition_subalgoE6ExNS0_10empty_typeEbEEZZNS1_14partition_implILS5_6ELb0ES3_mN6thrust23THRUST_200600_302600_NS6detail15normal_iteratorINSA_10device_ptrIxEEEEPS6_SG_NS0_5tupleIJNSA_16discard_iteratorINSA_11use_defaultEEES6_EEENSH_IJSG_SG_EEES6_PlJNSB_9not_fun_tI7is_trueIxEEEEEE10hipError_tPvRmT3_T4_T5_T6_T7_T9_mT8_P12ihipStream_tbDpT10_ENKUlT_T0_E_clISt17integral_constantIbLb1EES1B_EEDaS16_S17_EUlS16_E_NS1_11comp_targetILNS1_3genE4ELNS1_11target_archE910ELNS1_3gpuE8ELNS1_3repE0EEENS1_30default_config_static_selectorELNS0_4arch9wavefront6targetE0EEEvT1_.num_named_barrier, 0
	.set _ZN7rocprim17ROCPRIM_400000_NS6detail17trampoline_kernelINS0_14default_configENS1_25partition_config_selectorILNS1_17partition_subalgoE6ExNS0_10empty_typeEbEEZZNS1_14partition_implILS5_6ELb0ES3_mN6thrust23THRUST_200600_302600_NS6detail15normal_iteratorINSA_10device_ptrIxEEEEPS6_SG_NS0_5tupleIJNSA_16discard_iteratorINSA_11use_defaultEEES6_EEENSH_IJSG_SG_EEES6_PlJNSB_9not_fun_tI7is_trueIxEEEEEE10hipError_tPvRmT3_T4_T5_T6_T7_T9_mT8_P12ihipStream_tbDpT10_ENKUlT_T0_E_clISt17integral_constantIbLb1EES1B_EEDaS16_S17_EUlS16_E_NS1_11comp_targetILNS1_3genE4ELNS1_11target_archE910ELNS1_3gpuE8ELNS1_3repE0EEENS1_30default_config_static_selectorELNS0_4arch9wavefront6targetE0EEEvT1_.private_seg_size, 0
	.set _ZN7rocprim17ROCPRIM_400000_NS6detail17trampoline_kernelINS0_14default_configENS1_25partition_config_selectorILNS1_17partition_subalgoE6ExNS0_10empty_typeEbEEZZNS1_14partition_implILS5_6ELb0ES3_mN6thrust23THRUST_200600_302600_NS6detail15normal_iteratorINSA_10device_ptrIxEEEEPS6_SG_NS0_5tupleIJNSA_16discard_iteratorINSA_11use_defaultEEES6_EEENSH_IJSG_SG_EEES6_PlJNSB_9not_fun_tI7is_trueIxEEEEEE10hipError_tPvRmT3_T4_T5_T6_T7_T9_mT8_P12ihipStream_tbDpT10_ENKUlT_T0_E_clISt17integral_constantIbLb1EES1B_EEDaS16_S17_EUlS16_E_NS1_11comp_targetILNS1_3genE4ELNS1_11target_archE910ELNS1_3gpuE8ELNS1_3repE0EEENS1_30default_config_static_selectorELNS0_4arch9wavefront6targetE0EEEvT1_.uses_vcc, 0
	.set _ZN7rocprim17ROCPRIM_400000_NS6detail17trampoline_kernelINS0_14default_configENS1_25partition_config_selectorILNS1_17partition_subalgoE6ExNS0_10empty_typeEbEEZZNS1_14partition_implILS5_6ELb0ES3_mN6thrust23THRUST_200600_302600_NS6detail15normal_iteratorINSA_10device_ptrIxEEEEPS6_SG_NS0_5tupleIJNSA_16discard_iteratorINSA_11use_defaultEEES6_EEENSH_IJSG_SG_EEES6_PlJNSB_9not_fun_tI7is_trueIxEEEEEE10hipError_tPvRmT3_T4_T5_T6_T7_T9_mT8_P12ihipStream_tbDpT10_ENKUlT_T0_E_clISt17integral_constantIbLb1EES1B_EEDaS16_S17_EUlS16_E_NS1_11comp_targetILNS1_3genE4ELNS1_11target_archE910ELNS1_3gpuE8ELNS1_3repE0EEENS1_30default_config_static_selectorELNS0_4arch9wavefront6targetE0EEEvT1_.uses_flat_scratch, 0
	.set _ZN7rocprim17ROCPRIM_400000_NS6detail17trampoline_kernelINS0_14default_configENS1_25partition_config_selectorILNS1_17partition_subalgoE6ExNS0_10empty_typeEbEEZZNS1_14partition_implILS5_6ELb0ES3_mN6thrust23THRUST_200600_302600_NS6detail15normal_iteratorINSA_10device_ptrIxEEEEPS6_SG_NS0_5tupleIJNSA_16discard_iteratorINSA_11use_defaultEEES6_EEENSH_IJSG_SG_EEES6_PlJNSB_9not_fun_tI7is_trueIxEEEEEE10hipError_tPvRmT3_T4_T5_T6_T7_T9_mT8_P12ihipStream_tbDpT10_ENKUlT_T0_E_clISt17integral_constantIbLb1EES1B_EEDaS16_S17_EUlS16_E_NS1_11comp_targetILNS1_3genE4ELNS1_11target_archE910ELNS1_3gpuE8ELNS1_3repE0EEENS1_30default_config_static_selectorELNS0_4arch9wavefront6targetE0EEEvT1_.has_dyn_sized_stack, 0
	.set _ZN7rocprim17ROCPRIM_400000_NS6detail17trampoline_kernelINS0_14default_configENS1_25partition_config_selectorILNS1_17partition_subalgoE6ExNS0_10empty_typeEbEEZZNS1_14partition_implILS5_6ELb0ES3_mN6thrust23THRUST_200600_302600_NS6detail15normal_iteratorINSA_10device_ptrIxEEEEPS6_SG_NS0_5tupleIJNSA_16discard_iteratorINSA_11use_defaultEEES6_EEENSH_IJSG_SG_EEES6_PlJNSB_9not_fun_tI7is_trueIxEEEEEE10hipError_tPvRmT3_T4_T5_T6_T7_T9_mT8_P12ihipStream_tbDpT10_ENKUlT_T0_E_clISt17integral_constantIbLb1EES1B_EEDaS16_S17_EUlS16_E_NS1_11comp_targetILNS1_3genE4ELNS1_11target_archE910ELNS1_3gpuE8ELNS1_3repE0EEENS1_30default_config_static_selectorELNS0_4arch9wavefront6targetE0EEEvT1_.has_recursion, 0
	.set _ZN7rocprim17ROCPRIM_400000_NS6detail17trampoline_kernelINS0_14default_configENS1_25partition_config_selectorILNS1_17partition_subalgoE6ExNS0_10empty_typeEbEEZZNS1_14partition_implILS5_6ELb0ES3_mN6thrust23THRUST_200600_302600_NS6detail15normal_iteratorINSA_10device_ptrIxEEEEPS6_SG_NS0_5tupleIJNSA_16discard_iteratorINSA_11use_defaultEEES6_EEENSH_IJSG_SG_EEES6_PlJNSB_9not_fun_tI7is_trueIxEEEEEE10hipError_tPvRmT3_T4_T5_T6_T7_T9_mT8_P12ihipStream_tbDpT10_ENKUlT_T0_E_clISt17integral_constantIbLb1EES1B_EEDaS16_S17_EUlS16_E_NS1_11comp_targetILNS1_3genE4ELNS1_11target_archE910ELNS1_3gpuE8ELNS1_3repE0EEENS1_30default_config_static_selectorELNS0_4arch9wavefront6targetE0EEEvT1_.has_indirect_call, 0
	.section	.AMDGPU.csdata,"",@progbits
; Kernel info:
; codeLenInByte = 0
; TotalNumSgprs: 0
; NumVgprs: 0
; ScratchSize: 0
; MemoryBound: 0
; FloatMode: 240
; IeeeMode: 1
; LDSByteSize: 0 bytes/workgroup (compile time only)
; SGPRBlocks: 0
; VGPRBlocks: 0
; NumSGPRsForWavesPerEU: 1
; NumVGPRsForWavesPerEU: 1
; Occupancy: 16
; WaveLimiterHint : 0
; COMPUTE_PGM_RSRC2:SCRATCH_EN: 0
; COMPUTE_PGM_RSRC2:USER_SGPR: 2
; COMPUTE_PGM_RSRC2:TRAP_HANDLER: 0
; COMPUTE_PGM_RSRC2:TGID_X_EN: 1
; COMPUTE_PGM_RSRC2:TGID_Y_EN: 0
; COMPUTE_PGM_RSRC2:TGID_Z_EN: 0
; COMPUTE_PGM_RSRC2:TIDIG_COMP_CNT: 0
	.section	.text._ZN7rocprim17ROCPRIM_400000_NS6detail17trampoline_kernelINS0_14default_configENS1_25partition_config_selectorILNS1_17partition_subalgoE6ExNS0_10empty_typeEbEEZZNS1_14partition_implILS5_6ELb0ES3_mN6thrust23THRUST_200600_302600_NS6detail15normal_iteratorINSA_10device_ptrIxEEEEPS6_SG_NS0_5tupleIJNSA_16discard_iteratorINSA_11use_defaultEEES6_EEENSH_IJSG_SG_EEES6_PlJNSB_9not_fun_tI7is_trueIxEEEEEE10hipError_tPvRmT3_T4_T5_T6_T7_T9_mT8_P12ihipStream_tbDpT10_ENKUlT_T0_E_clISt17integral_constantIbLb1EES1B_EEDaS16_S17_EUlS16_E_NS1_11comp_targetILNS1_3genE3ELNS1_11target_archE908ELNS1_3gpuE7ELNS1_3repE0EEENS1_30default_config_static_selectorELNS0_4arch9wavefront6targetE0EEEvT1_,"axG",@progbits,_ZN7rocprim17ROCPRIM_400000_NS6detail17trampoline_kernelINS0_14default_configENS1_25partition_config_selectorILNS1_17partition_subalgoE6ExNS0_10empty_typeEbEEZZNS1_14partition_implILS5_6ELb0ES3_mN6thrust23THRUST_200600_302600_NS6detail15normal_iteratorINSA_10device_ptrIxEEEEPS6_SG_NS0_5tupleIJNSA_16discard_iteratorINSA_11use_defaultEEES6_EEENSH_IJSG_SG_EEES6_PlJNSB_9not_fun_tI7is_trueIxEEEEEE10hipError_tPvRmT3_T4_T5_T6_T7_T9_mT8_P12ihipStream_tbDpT10_ENKUlT_T0_E_clISt17integral_constantIbLb1EES1B_EEDaS16_S17_EUlS16_E_NS1_11comp_targetILNS1_3genE3ELNS1_11target_archE908ELNS1_3gpuE7ELNS1_3repE0EEENS1_30default_config_static_selectorELNS0_4arch9wavefront6targetE0EEEvT1_,comdat
	.protected	_ZN7rocprim17ROCPRIM_400000_NS6detail17trampoline_kernelINS0_14default_configENS1_25partition_config_selectorILNS1_17partition_subalgoE6ExNS0_10empty_typeEbEEZZNS1_14partition_implILS5_6ELb0ES3_mN6thrust23THRUST_200600_302600_NS6detail15normal_iteratorINSA_10device_ptrIxEEEEPS6_SG_NS0_5tupleIJNSA_16discard_iteratorINSA_11use_defaultEEES6_EEENSH_IJSG_SG_EEES6_PlJNSB_9not_fun_tI7is_trueIxEEEEEE10hipError_tPvRmT3_T4_T5_T6_T7_T9_mT8_P12ihipStream_tbDpT10_ENKUlT_T0_E_clISt17integral_constantIbLb1EES1B_EEDaS16_S17_EUlS16_E_NS1_11comp_targetILNS1_3genE3ELNS1_11target_archE908ELNS1_3gpuE7ELNS1_3repE0EEENS1_30default_config_static_selectorELNS0_4arch9wavefront6targetE0EEEvT1_ ; -- Begin function _ZN7rocprim17ROCPRIM_400000_NS6detail17trampoline_kernelINS0_14default_configENS1_25partition_config_selectorILNS1_17partition_subalgoE6ExNS0_10empty_typeEbEEZZNS1_14partition_implILS5_6ELb0ES3_mN6thrust23THRUST_200600_302600_NS6detail15normal_iteratorINSA_10device_ptrIxEEEEPS6_SG_NS0_5tupleIJNSA_16discard_iteratorINSA_11use_defaultEEES6_EEENSH_IJSG_SG_EEES6_PlJNSB_9not_fun_tI7is_trueIxEEEEEE10hipError_tPvRmT3_T4_T5_T6_T7_T9_mT8_P12ihipStream_tbDpT10_ENKUlT_T0_E_clISt17integral_constantIbLb1EES1B_EEDaS16_S17_EUlS16_E_NS1_11comp_targetILNS1_3genE3ELNS1_11target_archE908ELNS1_3gpuE7ELNS1_3repE0EEENS1_30default_config_static_selectorELNS0_4arch9wavefront6targetE0EEEvT1_
	.globl	_ZN7rocprim17ROCPRIM_400000_NS6detail17trampoline_kernelINS0_14default_configENS1_25partition_config_selectorILNS1_17partition_subalgoE6ExNS0_10empty_typeEbEEZZNS1_14partition_implILS5_6ELb0ES3_mN6thrust23THRUST_200600_302600_NS6detail15normal_iteratorINSA_10device_ptrIxEEEEPS6_SG_NS0_5tupleIJNSA_16discard_iteratorINSA_11use_defaultEEES6_EEENSH_IJSG_SG_EEES6_PlJNSB_9not_fun_tI7is_trueIxEEEEEE10hipError_tPvRmT3_T4_T5_T6_T7_T9_mT8_P12ihipStream_tbDpT10_ENKUlT_T0_E_clISt17integral_constantIbLb1EES1B_EEDaS16_S17_EUlS16_E_NS1_11comp_targetILNS1_3genE3ELNS1_11target_archE908ELNS1_3gpuE7ELNS1_3repE0EEENS1_30default_config_static_selectorELNS0_4arch9wavefront6targetE0EEEvT1_
	.p2align	8
	.type	_ZN7rocprim17ROCPRIM_400000_NS6detail17trampoline_kernelINS0_14default_configENS1_25partition_config_selectorILNS1_17partition_subalgoE6ExNS0_10empty_typeEbEEZZNS1_14partition_implILS5_6ELb0ES3_mN6thrust23THRUST_200600_302600_NS6detail15normal_iteratorINSA_10device_ptrIxEEEEPS6_SG_NS0_5tupleIJNSA_16discard_iteratorINSA_11use_defaultEEES6_EEENSH_IJSG_SG_EEES6_PlJNSB_9not_fun_tI7is_trueIxEEEEEE10hipError_tPvRmT3_T4_T5_T6_T7_T9_mT8_P12ihipStream_tbDpT10_ENKUlT_T0_E_clISt17integral_constantIbLb1EES1B_EEDaS16_S17_EUlS16_E_NS1_11comp_targetILNS1_3genE3ELNS1_11target_archE908ELNS1_3gpuE7ELNS1_3repE0EEENS1_30default_config_static_selectorELNS0_4arch9wavefront6targetE0EEEvT1_,@function
_ZN7rocprim17ROCPRIM_400000_NS6detail17trampoline_kernelINS0_14default_configENS1_25partition_config_selectorILNS1_17partition_subalgoE6ExNS0_10empty_typeEbEEZZNS1_14partition_implILS5_6ELb0ES3_mN6thrust23THRUST_200600_302600_NS6detail15normal_iteratorINSA_10device_ptrIxEEEEPS6_SG_NS0_5tupleIJNSA_16discard_iteratorINSA_11use_defaultEEES6_EEENSH_IJSG_SG_EEES6_PlJNSB_9not_fun_tI7is_trueIxEEEEEE10hipError_tPvRmT3_T4_T5_T6_T7_T9_mT8_P12ihipStream_tbDpT10_ENKUlT_T0_E_clISt17integral_constantIbLb1EES1B_EEDaS16_S17_EUlS16_E_NS1_11comp_targetILNS1_3genE3ELNS1_11target_archE908ELNS1_3gpuE7ELNS1_3repE0EEENS1_30default_config_static_selectorELNS0_4arch9wavefront6targetE0EEEvT1_: ; @_ZN7rocprim17ROCPRIM_400000_NS6detail17trampoline_kernelINS0_14default_configENS1_25partition_config_selectorILNS1_17partition_subalgoE6ExNS0_10empty_typeEbEEZZNS1_14partition_implILS5_6ELb0ES3_mN6thrust23THRUST_200600_302600_NS6detail15normal_iteratorINSA_10device_ptrIxEEEEPS6_SG_NS0_5tupleIJNSA_16discard_iteratorINSA_11use_defaultEEES6_EEENSH_IJSG_SG_EEES6_PlJNSB_9not_fun_tI7is_trueIxEEEEEE10hipError_tPvRmT3_T4_T5_T6_T7_T9_mT8_P12ihipStream_tbDpT10_ENKUlT_T0_E_clISt17integral_constantIbLb1EES1B_EEDaS16_S17_EUlS16_E_NS1_11comp_targetILNS1_3genE3ELNS1_11target_archE908ELNS1_3gpuE7ELNS1_3repE0EEENS1_30default_config_static_selectorELNS0_4arch9wavefront6targetE0EEEvT1_
; %bb.0:
	.section	.rodata,"a",@progbits
	.p2align	6, 0x0
	.amdhsa_kernel _ZN7rocprim17ROCPRIM_400000_NS6detail17trampoline_kernelINS0_14default_configENS1_25partition_config_selectorILNS1_17partition_subalgoE6ExNS0_10empty_typeEbEEZZNS1_14partition_implILS5_6ELb0ES3_mN6thrust23THRUST_200600_302600_NS6detail15normal_iteratorINSA_10device_ptrIxEEEEPS6_SG_NS0_5tupleIJNSA_16discard_iteratorINSA_11use_defaultEEES6_EEENSH_IJSG_SG_EEES6_PlJNSB_9not_fun_tI7is_trueIxEEEEEE10hipError_tPvRmT3_T4_T5_T6_T7_T9_mT8_P12ihipStream_tbDpT10_ENKUlT_T0_E_clISt17integral_constantIbLb1EES1B_EEDaS16_S17_EUlS16_E_NS1_11comp_targetILNS1_3genE3ELNS1_11target_archE908ELNS1_3gpuE7ELNS1_3repE0EEENS1_30default_config_static_selectorELNS0_4arch9wavefront6targetE0EEEvT1_
		.amdhsa_group_segment_fixed_size 0
		.amdhsa_private_segment_fixed_size 0
		.amdhsa_kernarg_size 136
		.amdhsa_user_sgpr_count 2
		.amdhsa_user_sgpr_dispatch_ptr 0
		.amdhsa_user_sgpr_queue_ptr 0
		.amdhsa_user_sgpr_kernarg_segment_ptr 1
		.amdhsa_user_sgpr_dispatch_id 0
		.amdhsa_user_sgpr_private_segment_size 0
		.amdhsa_wavefront_size32 1
		.amdhsa_uses_dynamic_stack 0
		.amdhsa_enable_private_segment 0
		.amdhsa_system_sgpr_workgroup_id_x 1
		.amdhsa_system_sgpr_workgroup_id_y 0
		.amdhsa_system_sgpr_workgroup_id_z 0
		.amdhsa_system_sgpr_workgroup_info 0
		.amdhsa_system_vgpr_workitem_id 0
		.amdhsa_next_free_vgpr 1
		.amdhsa_next_free_sgpr 1
		.amdhsa_reserve_vcc 0
		.amdhsa_float_round_mode_32 0
		.amdhsa_float_round_mode_16_64 0
		.amdhsa_float_denorm_mode_32 3
		.amdhsa_float_denorm_mode_16_64 3
		.amdhsa_fp16_overflow 0
		.amdhsa_workgroup_processor_mode 1
		.amdhsa_memory_ordered 1
		.amdhsa_forward_progress 1
		.amdhsa_inst_pref_size 0
		.amdhsa_round_robin_scheduling 0
		.amdhsa_exception_fp_ieee_invalid_op 0
		.amdhsa_exception_fp_denorm_src 0
		.amdhsa_exception_fp_ieee_div_zero 0
		.amdhsa_exception_fp_ieee_overflow 0
		.amdhsa_exception_fp_ieee_underflow 0
		.amdhsa_exception_fp_ieee_inexact 0
		.amdhsa_exception_int_div_zero 0
	.end_amdhsa_kernel
	.section	.text._ZN7rocprim17ROCPRIM_400000_NS6detail17trampoline_kernelINS0_14default_configENS1_25partition_config_selectorILNS1_17partition_subalgoE6ExNS0_10empty_typeEbEEZZNS1_14partition_implILS5_6ELb0ES3_mN6thrust23THRUST_200600_302600_NS6detail15normal_iteratorINSA_10device_ptrIxEEEEPS6_SG_NS0_5tupleIJNSA_16discard_iteratorINSA_11use_defaultEEES6_EEENSH_IJSG_SG_EEES6_PlJNSB_9not_fun_tI7is_trueIxEEEEEE10hipError_tPvRmT3_T4_T5_T6_T7_T9_mT8_P12ihipStream_tbDpT10_ENKUlT_T0_E_clISt17integral_constantIbLb1EES1B_EEDaS16_S17_EUlS16_E_NS1_11comp_targetILNS1_3genE3ELNS1_11target_archE908ELNS1_3gpuE7ELNS1_3repE0EEENS1_30default_config_static_selectorELNS0_4arch9wavefront6targetE0EEEvT1_,"axG",@progbits,_ZN7rocprim17ROCPRIM_400000_NS6detail17trampoline_kernelINS0_14default_configENS1_25partition_config_selectorILNS1_17partition_subalgoE6ExNS0_10empty_typeEbEEZZNS1_14partition_implILS5_6ELb0ES3_mN6thrust23THRUST_200600_302600_NS6detail15normal_iteratorINSA_10device_ptrIxEEEEPS6_SG_NS0_5tupleIJNSA_16discard_iteratorINSA_11use_defaultEEES6_EEENSH_IJSG_SG_EEES6_PlJNSB_9not_fun_tI7is_trueIxEEEEEE10hipError_tPvRmT3_T4_T5_T6_T7_T9_mT8_P12ihipStream_tbDpT10_ENKUlT_T0_E_clISt17integral_constantIbLb1EES1B_EEDaS16_S17_EUlS16_E_NS1_11comp_targetILNS1_3genE3ELNS1_11target_archE908ELNS1_3gpuE7ELNS1_3repE0EEENS1_30default_config_static_selectorELNS0_4arch9wavefront6targetE0EEEvT1_,comdat
.Lfunc_end2248:
	.size	_ZN7rocprim17ROCPRIM_400000_NS6detail17trampoline_kernelINS0_14default_configENS1_25partition_config_selectorILNS1_17partition_subalgoE6ExNS0_10empty_typeEbEEZZNS1_14partition_implILS5_6ELb0ES3_mN6thrust23THRUST_200600_302600_NS6detail15normal_iteratorINSA_10device_ptrIxEEEEPS6_SG_NS0_5tupleIJNSA_16discard_iteratorINSA_11use_defaultEEES6_EEENSH_IJSG_SG_EEES6_PlJNSB_9not_fun_tI7is_trueIxEEEEEE10hipError_tPvRmT3_T4_T5_T6_T7_T9_mT8_P12ihipStream_tbDpT10_ENKUlT_T0_E_clISt17integral_constantIbLb1EES1B_EEDaS16_S17_EUlS16_E_NS1_11comp_targetILNS1_3genE3ELNS1_11target_archE908ELNS1_3gpuE7ELNS1_3repE0EEENS1_30default_config_static_selectorELNS0_4arch9wavefront6targetE0EEEvT1_, .Lfunc_end2248-_ZN7rocprim17ROCPRIM_400000_NS6detail17trampoline_kernelINS0_14default_configENS1_25partition_config_selectorILNS1_17partition_subalgoE6ExNS0_10empty_typeEbEEZZNS1_14partition_implILS5_6ELb0ES3_mN6thrust23THRUST_200600_302600_NS6detail15normal_iteratorINSA_10device_ptrIxEEEEPS6_SG_NS0_5tupleIJNSA_16discard_iteratorINSA_11use_defaultEEES6_EEENSH_IJSG_SG_EEES6_PlJNSB_9not_fun_tI7is_trueIxEEEEEE10hipError_tPvRmT3_T4_T5_T6_T7_T9_mT8_P12ihipStream_tbDpT10_ENKUlT_T0_E_clISt17integral_constantIbLb1EES1B_EEDaS16_S17_EUlS16_E_NS1_11comp_targetILNS1_3genE3ELNS1_11target_archE908ELNS1_3gpuE7ELNS1_3repE0EEENS1_30default_config_static_selectorELNS0_4arch9wavefront6targetE0EEEvT1_
                                        ; -- End function
	.set _ZN7rocprim17ROCPRIM_400000_NS6detail17trampoline_kernelINS0_14default_configENS1_25partition_config_selectorILNS1_17partition_subalgoE6ExNS0_10empty_typeEbEEZZNS1_14partition_implILS5_6ELb0ES3_mN6thrust23THRUST_200600_302600_NS6detail15normal_iteratorINSA_10device_ptrIxEEEEPS6_SG_NS0_5tupleIJNSA_16discard_iteratorINSA_11use_defaultEEES6_EEENSH_IJSG_SG_EEES6_PlJNSB_9not_fun_tI7is_trueIxEEEEEE10hipError_tPvRmT3_T4_T5_T6_T7_T9_mT8_P12ihipStream_tbDpT10_ENKUlT_T0_E_clISt17integral_constantIbLb1EES1B_EEDaS16_S17_EUlS16_E_NS1_11comp_targetILNS1_3genE3ELNS1_11target_archE908ELNS1_3gpuE7ELNS1_3repE0EEENS1_30default_config_static_selectorELNS0_4arch9wavefront6targetE0EEEvT1_.num_vgpr, 0
	.set _ZN7rocprim17ROCPRIM_400000_NS6detail17trampoline_kernelINS0_14default_configENS1_25partition_config_selectorILNS1_17partition_subalgoE6ExNS0_10empty_typeEbEEZZNS1_14partition_implILS5_6ELb0ES3_mN6thrust23THRUST_200600_302600_NS6detail15normal_iteratorINSA_10device_ptrIxEEEEPS6_SG_NS0_5tupleIJNSA_16discard_iteratorINSA_11use_defaultEEES6_EEENSH_IJSG_SG_EEES6_PlJNSB_9not_fun_tI7is_trueIxEEEEEE10hipError_tPvRmT3_T4_T5_T6_T7_T9_mT8_P12ihipStream_tbDpT10_ENKUlT_T0_E_clISt17integral_constantIbLb1EES1B_EEDaS16_S17_EUlS16_E_NS1_11comp_targetILNS1_3genE3ELNS1_11target_archE908ELNS1_3gpuE7ELNS1_3repE0EEENS1_30default_config_static_selectorELNS0_4arch9wavefront6targetE0EEEvT1_.num_agpr, 0
	.set _ZN7rocprim17ROCPRIM_400000_NS6detail17trampoline_kernelINS0_14default_configENS1_25partition_config_selectorILNS1_17partition_subalgoE6ExNS0_10empty_typeEbEEZZNS1_14partition_implILS5_6ELb0ES3_mN6thrust23THRUST_200600_302600_NS6detail15normal_iteratorINSA_10device_ptrIxEEEEPS6_SG_NS0_5tupleIJNSA_16discard_iteratorINSA_11use_defaultEEES6_EEENSH_IJSG_SG_EEES6_PlJNSB_9not_fun_tI7is_trueIxEEEEEE10hipError_tPvRmT3_T4_T5_T6_T7_T9_mT8_P12ihipStream_tbDpT10_ENKUlT_T0_E_clISt17integral_constantIbLb1EES1B_EEDaS16_S17_EUlS16_E_NS1_11comp_targetILNS1_3genE3ELNS1_11target_archE908ELNS1_3gpuE7ELNS1_3repE0EEENS1_30default_config_static_selectorELNS0_4arch9wavefront6targetE0EEEvT1_.numbered_sgpr, 0
	.set _ZN7rocprim17ROCPRIM_400000_NS6detail17trampoline_kernelINS0_14default_configENS1_25partition_config_selectorILNS1_17partition_subalgoE6ExNS0_10empty_typeEbEEZZNS1_14partition_implILS5_6ELb0ES3_mN6thrust23THRUST_200600_302600_NS6detail15normal_iteratorINSA_10device_ptrIxEEEEPS6_SG_NS0_5tupleIJNSA_16discard_iteratorINSA_11use_defaultEEES6_EEENSH_IJSG_SG_EEES6_PlJNSB_9not_fun_tI7is_trueIxEEEEEE10hipError_tPvRmT3_T4_T5_T6_T7_T9_mT8_P12ihipStream_tbDpT10_ENKUlT_T0_E_clISt17integral_constantIbLb1EES1B_EEDaS16_S17_EUlS16_E_NS1_11comp_targetILNS1_3genE3ELNS1_11target_archE908ELNS1_3gpuE7ELNS1_3repE0EEENS1_30default_config_static_selectorELNS0_4arch9wavefront6targetE0EEEvT1_.num_named_barrier, 0
	.set _ZN7rocprim17ROCPRIM_400000_NS6detail17trampoline_kernelINS0_14default_configENS1_25partition_config_selectorILNS1_17partition_subalgoE6ExNS0_10empty_typeEbEEZZNS1_14partition_implILS5_6ELb0ES3_mN6thrust23THRUST_200600_302600_NS6detail15normal_iteratorINSA_10device_ptrIxEEEEPS6_SG_NS0_5tupleIJNSA_16discard_iteratorINSA_11use_defaultEEES6_EEENSH_IJSG_SG_EEES6_PlJNSB_9not_fun_tI7is_trueIxEEEEEE10hipError_tPvRmT3_T4_T5_T6_T7_T9_mT8_P12ihipStream_tbDpT10_ENKUlT_T0_E_clISt17integral_constantIbLb1EES1B_EEDaS16_S17_EUlS16_E_NS1_11comp_targetILNS1_3genE3ELNS1_11target_archE908ELNS1_3gpuE7ELNS1_3repE0EEENS1_30default_config_static_selectorELNS0_4arch9wavefront6targetE0EEEvT1_.private_seg_size, 0
	.set _ZN7rocprim17ROCPRIM_400000_NS6detail17trampoline_kernelINS0_14default_configENS1_25partition_config_selectorILNS1_17partition_subalgoE6ExNS0_10empty_typeEbEEZZNS1_14partition_implILS5_6ELb0ES3_mN6thrust23THRUST_200600_302600_NS6detail15normal_iteratorINSA_10device_ptrIxEEEEPS6_SG_NS0_5tupleIJNSA_16discard_iteratorINSA_11use_defaultEEES6_EEENSH_IJSG_SG_EEES6_PlJNSB_9not_fun_tI7is_trueIxEEEEEE10hipError_tPvRmT3_T4_T5_T6_T7_T9_mT8_P12ihipStream_tbDpT10_ENKUlT_T0_E_clISt17integral_constantIbLb1EES1B_EEDaS16_S17_EUlS16_E_NS1_11comp_targetILNS1_3genE3ELNS1_11target_archE908ELNS1_3gpuE7ELNS1_3repE0EEENS1_30default_config_static_selectorELNS0_4arch9wavefront6targetE0EEEvT1_.uses_vcc, 0
	.set _ZN7rocprim17ROCPRIM_400000_NS6detail17trampoline_kernelINS0_14default_configENS1_25partition_config_selectorILNS1_17partition_subalgoE6ExNS0_10empty_typeEbEEZZNS1_14partition_implILS5_6ELb0ES3_mN6thrust23THRUST_200600_302600_NS6detail15normal_iteratorINSA_10device_ptrIxEEEEPS6_SG_NS0_5tupleIJNSA_16discard_iteratorINSA_11use_defaultEEES6_EEENSH_IJSG_SG_EEES6_PlJNSB_9not_fun_tI7is_trueIxEEEEEE10hipError_tPvRmT3_T4_T5_T6_T7_T9_mT8_P12ihipStream_tbDpT10_ENKUlT_T0_E_clISt17integral_constantIbLb1EES1B_EEDaS16_S17_EUlS16_E_NS1_11comp_targetILNS1_3genE3ELNS1_11target_archE908ELNS1_3gpuE7ELNS1_3repE0EEENS1_30default_config_static_selectorELNS0_4arch9wavefront6targetE0EEEvT1_.uses_flat_scratch, 0
	.set _ZN7rocprim17ROCPRIM_400000_NS6detail17trampoline_kernelINS0_14default_configENS1_25partition_config_selectorILNS1_17partition_subalgoE6ExNS0_10empty_typeEbEEZZNS1_14partition_implILS5_6ELb0ES3_mN6thrust23THRUST_200600_302600_NS6detail15normal_iteratorINSA_10device_ptrIxEEEEPS6_SG_NS0_5tupleIJNSA_16discard_iteratorINSA_11use_defaultEEES6_EEENSH_IJSG_SG_EEES6_PlJNSB_9not_fun_tI7is_trueIxEEEEEE10hipError_tPvRmT3_T4_T5_T6_T7_T9_mT8_P12ihipStream_tbDpT10_ENKUlT_T0_E_clISt17integral_constantIbLb1EES1B_EEDaS16_S17_EUlS16_E_NS1_11comp_targetILNS1_3genE3ELNS1_11target_archE908ELNS1_3gpuE7ELNS1_3repE0EEENS1_30default_config_static_selectorELNS0_4arch9wavefront6targetE0EEEvT1_.has_dyn_sized_stack, 0
	.set _ZN7rocprim17ROCPRIM_400000_NS6detail17trampoline_kernelINS0_14default_configENS1_25partition_config_selectorILNS1_17partition_subalgoE6ExNS0_10empty_typeEbEEZZNS1_14partition_implILS5_6ELb0ES3_mN6thrust23THRUST_200600_302600_NS6detail15normal_iteratorINSA_10device_ptrIxEEEEPS6_SG_NS0_5tupleIJNSA_16discard_iteratorINSA_11use_defaultEEES6_EEENSH_IJSG_SG_EEES6_PlJNSB_9not_fun_tI7is_trueIxEEEEEE10hipError_tPvRmT3_T4_T5_T6_T7_T9_mT8_P12ihipStream_tbDpT10_ENKUlT_T0_E_clISt17integral_constantIbLb1EES1B_EEDaS16_S17_EUlS16_E_NS1_11comp_targetILNS1_3genE3ELNS1_11target_archE908ELNS1_3gpuE7ELNS1_3repE0EEENS1_30default_config_static_selectorELNS0_4arch9wavefront6targetE0EEEvT1_.has_recursion, 0
	.set _ZN7rocprim17ROCPRIM_400000_NS6detail17trampoline_kernelINS0_14default_configENS1_25partition_config_selectorILNS1_17partition_subalgoE6ExNS0_10empty_typeEbEEZZNS1_14partition_implILS5_6ELb0ES3_mN6thrust23THRUST_200600_302600_NS6detail15normal_iteratorINSA_10device_ptrIxEEEEPS6_SG_NS0_5tupleIJNSA_16discard_iteratorINSA_11use_defaultEEES6_EEENSH_IJSG_SG_EEES6_PlJNSB_9not_fun_tI7is_trueIxEEEEEE10hipError_tPvRmT3_T4_T5_T6_T7_T9_mT8_P12ihipStream_tbDpT10_ENKUlT_T0_E_clISt17integral_constantIbLb1EES1B_EEDaS16_S17_EUlS16_E_NS1_11comp_targetILNS1_3genE3ELNS1_11target_archE908ELNS1_3gpuE7ELNS1_3repE0EEENS1_30default_config_static_selectorELNS0_4arch9wavefront6targetE0EEEvT1_.has_indirect_call, 0
	.section	.AMDGPU.csdata,"",@progbits
; Kernel info:
; codeLenInByte = 0
; TotalNumSgprs: 0
; NumVgprs: 0
; ScratchSize: 0
; MemoryBound: 0
; FloatMode: 240
; IeeeMode: 1
; LDSByteSize: 0 bytes/workgroup (compile time only)
; SGPRBlocks: 0
; VGPRBlocks: 0
; NumSGPRsForWavesPerEU: 1
; NumVGPRsForWavesPerEU: 1
; Occupancy: 16
; WaveLimiterHint : 0
; COMPUTE_PGM_RSRC2:SCRATCH_EN: 0
; COMPUTE_PGM_RSRC2:USER_SGPR: 2
; COMPUTE_PGM_RSRC2:TRAP_HANDLER: 0
; COMPUTE_PGM_RSRC2:TGID_X_EN: 1
; COMPUTE_PGM_RSRC2:TGID_Y_EN: 0
; COMPUTE_PGM_RSRC2:TGID_Z_EN: 0
; COMPUTE_PGM_RSRC2:TIDIG_COMP_CNT: 0
	.section	.text._ZN7rocprim17ROCPRIM_400000_NS6detail17trampoline_kernelINS0_14default_configENS1_25partition_config_selectorILNS1_17partition_subalgoE6ExNS0_10empty_typeEbEEZZNS1_14partition_implILS5_6ELb0ES3_mN6thrust23THRUST_200600_302600_NS6detail15normal_iteratorINSA_10device_ptrIxEEEEPS6_SG_NS0_5tupleIJNSA_16discard_iteratorINSA_11use_defaultEEES6_EEENSH_IJSG_SG_EEES6_PlJNSB_9not_fun_tI7is_trueIxEEEEEE10hipError_tPvRmT3_T4_T5_T6_T7_T9_mT8_P12ihipStream_tbDpT10_ENKUlT_T0_E_clISt17integral_constantIbLb1EES1B_EEDaS16_S17_EUlS16_E_NS1_11comp_targetILNS1_3genE2ELNS1_11target_archE906ELNS1_3gpuE6ELNS1_3repE0EEENS1_30default_config_static_selectorELNS0_4arch9wavefront6targetE0EEEvT1_,"axG",@progbits,_ZN7rocprim17ROCPRIM_400000_NS6detail17trampoline_kernelINS0_14default_configENS1_25partition_config_selectorILNS1_17partition_subalgoE6ExNS0_10empty_typeEbEEZZNS1_14partition_implILS5_6ELb0ES3_mN6thrust23THRUST_200600_302600_NS6detail15normal_iteratorINSA_10device_ptrIxEEEEPS6_SG_NS0_5tupleIJNSA_16discard_iteratorINSA_11use_defaultEEES6_EEENSH_IJSG_SG_EEES6_PlJNSB_9not_fun_tI7is_trueIxEEEEEE10hipError_tPvRmT3_T4_T5_T6_T7_T9_mT8_P12ihipStream_tbDpT10_ENKUlT_T0_E_clISt17integral_constantIbLb1EES1B_EEDaS16_S17_EUlS16_E_NS1_11comp_targetILNS1_3genE2ELNS1_11target_archE906ELNS1_3gpuE6ELNS1_3repE0EEENS1_30default_config_static_selectorELNS0_4arch9wavefront6targetE0EEEvT1_,comdat
	.protected	_ZN7rocprim17ROCPRIM_400000_NS6detail17trampoline_kernelINS0_14default_configENS1_25partition_config_selectorILNS1_17partition_subalgoE6ExNS0_10empty_typeEbEEZZNS1_14partition_implILS5_6ELb0ES3_mN6thrust23THRUST_200600_302600_NS6detail15normal_iteratorINSA_10device_ptrIxEEEEPS6_SG_NS0_5tupleIJNSA_16discard_iteratorINSA_11use_defaultEEES6_EEENSH_IJSG_SG_EEES6_PlJNSB_9not_fun_tI7is_trueIxEEEEEE10hipError_tPvRmT3_T4_T5_T6_T7_T9_mT8_P12ihipStream_tbDpT10_ENKUlT_T0_E_clISt17integral_constantIbLb1EES1B_EEDaS16_S17_EUlS16_E_NS1_11comp_targetILNS1_3genE2ELNS1_11target_archE906ELNS1_3gpuE6ELNS1_3repE0EEENS1_30default_config_static_selectorELNS0_4arch9wavefront6targetE0EEEvT1_ ; -- Begin function _ZN7rocprim17ROCPRIM_400000_NS6detail17trampoline_kernelINS0_14default_configENS1_25partition_config_selectorILNS1_17partition_subalgoE6ExNS0_10empty_typeEbEEZZNS1_14partition_implILS5_6ELb0ES3_mN6thrust23THRUST_200600_302600_NS6detail15normal_iteratorINSA_10device_ptrIxEEEEPS6_SG_NS0_5tupleIJNSA_16discard_iteratorINSA_11use_defaultEEES6_EEENSH_IJSG_SG_EEES6_PlJNSB_9not_fun_tI7is_trueIxEEEEEE10hipError_tPvRmT3_T4_T5_T6_T7_T9_mT8_P12ihipStream_tbDpT10_ENKUlT_T0_E_clISt17integral_constantIbLb1EES1B_EEDaS16_S17_EUlS16_E_NS1_11comp_targetILNS1_3genE2ELNS1_11target_archE906ELNS1_3gpuE6ELNS1_3repE0EEENS1_30default_config_static_selectorELNS0_4arch9wavefront6targetE0EEEvT1_
	.globl	_ZN7rocprim17ROCPRIM_400000_NS6detail17trampoline_kernelINS0_14default_configENS1_25partition_config_selectorILNS1_17partition_subalgoE6ExNS0_10empty_typeEbEEZZNS1_14partition_implILS5_6ELb0ES3_mN6thrust23THRUST_200600_302600_NS6detail15normal_iteratorINSA_10device_ptrIxEEEEPS6_SG_NS0_5tupleIJNSA_16discard_iteratorINSA_11use_defaultEEES6_EEENSH_IJSG_SG_EEES6_PlJNSB_9not_fun_tI7is_trueIxEEEEEE10hipError_tPvRmT3_T4_T5_T6_T7_T9_mT8_P12ihipStream_tbDpT10_ENKUlT_T0_E_clISt17integral_constantIbLb1EES1B_EEDaS16_S17_EUlS16_E_NS1_11comp_targetILNS1_3genE2ELNS1_11target_archE906ELNS1_3gpuE6ELNS1_3repE0EEENS1_30default_config_static_selectorELNS0_4arch9wavefront6targetE0EEEvT1_
	.p2align	8
	.type	_ZN7rocprim17ROCPRIM_400000_NS6detail17trampoline_kernelINS0_14default_configENS1_25partition_config_selectorILNS1_17partition_subalgoE6ExNS0_10empty_typeEbEEZZNS1_14partition_implILS5_6ELb0ES3_mN6thrust23THRUST_200600_302600_NS6detail15normal_iteratorINSA_10device_ptrIxEEEEPS6_SG_NS0_5tupleIJNSA_16discard_iteratorINSA_11use_defaultEEES6_EEENSH_IJSG_SG_EEES6_PlJNSB_9not_fun_tI7is_trueIxEEEEEE10hipError_tPvRmT3_T4_T5_T6_T7_T9_mT8_P12ihipStream_tbDpT10_ENKUlT_T0_E_clISt17integral_constantIbLb1EES1B_EEDaS16_S17_EUlS16_E_NS1_11comp_targetILNS1_3genE2ELNS1_11target_archE906ELNS1_3gpuE6ELNS1_3repE0EEENS1_30default_config_static_selectorELNS0_4arch9wavefront6targetE0EEEvT1_,@function
_ZN7rocprim17ROCPRIM_400000_NS6detail17trampoline_kernelINS0_14default_configENS1_25partition_config_selectorILNS1_17partition_subalgoE6ExNS0_10empty_typeEbEEZZNS1_14partition_implILS5_6ELb0ES3_mN6thrust23THRUST_200600_302600_NS6detail15normal_iteratorINSA_10device_ptrIxEEEEPS6_SG_NS0_5tupleIJNSA_16discard_iteratorINSA_11use_defaultEEES6_EEENSH_IJSG_SG_EEES6_PlJNSB_9not_fun_tI7is_trueIxEEEEEE10hipError_tPvRmT3_T4_T5_T6_T7_T9_mT8_P12ihipStream_tbDpT10_ENKUlT_T0_E_clISt17integral_constantIbLb1EES1B_EEDaS16_S17_EUlS16_E_NS1_11comp_targetILNS1_3genE2ELNS1_11target_archE906ELNS1_3gpuE6ELNS1_3repE0EEENS1_30default_config_static_selectorELNS0_4arch9wavefront6targetE0EEEvT1_: ; @_ZN7rocprim17ROCPRIM_400000_NS6detail17trampoline_kernelINS0_14default_configENS1_25partition_config_selectorILNS1_17partition_subalgoE6ExNS0_10empty_typeEbEEZZNS1_14partition_implILS5_6ELb0ES3_mN6thrust23THRUST_200600_302600_NS6detail15normal_iteratorINSA_10device_ptrIxEEEEPS6_SG_NS0_5tupleIJNSA_16discard_iteratorINSA_11use_defaultEEES6_EEENSH_IJSG_SG_EEES6_PlJNSB_9not_fun_tI7is_trueIxEEEEEE10hipError_tPvRmT3_T4_T5_T6_T7_T9_mT8_P12ihipStream_tbDpT10_ENKUlT_T0_E_clISt17integral_constantIbLb1EES1B_EEDaS16_S17_EUlS16_E_NS1_11comp_targetILNS1_3genE2ELNS1_11target_archE906ELNS1_3gpuE6ELNS1_3repE0EEENS1_30default_config_static_selectorELNS0_4arch9wavefront6targetE0EEEvT1_
; %bb.0:
	.section	.rodata,"a",@progbits
	.p2align	6, 0x0
	.amdhsa_kernel _ZN7rocprim17ROCPRIM_400000_NS6detail17trampoline_kernelINS0_14default_configENS1_25partition_config_selectorILNS1_17partition_subalgoE6ExNS0_10empty_typeEbEEZZNS1_14partition_implILS5_6ELb0ES3_mN6thrust23THRUST_200600_302600_NS6detail15normal_iteratorINSA_10device_ptrIxEEEEPS6_SG_NS0_5tupleIJNSA_16discard_iteratorINSA_11use_defaultEEES6_EEENSH_IJSG_SG_EEES6_PlJNSB_9not_fun_tI7is_trueIxEEEEEE10hipError_tPvRmT3_T4_T5_T6_T7_T9_mT8_P12ihipStream_tbDpT10_ENKUlT_T0_E_clISt17integral_constantIbLb1EES1B_EEDaS16_S17_EUlS16_E_NS1_11comp_targetILNS1_3genE2ELNS1_11target_archE906ELNS1_3gpuE6ELNS1_3repE0EEENS1_30default_config_static_selectorELNS0_4arch9wavefront6targetE0EEEvT1_
		.amdhsa_group_segment_fixed_size 0
		.amdhsa_private_segment_fixed_size 0
		.amdhsa_kernarg_size 136
		.amdhsa_user_sgpr_count 2
		.amdhsa_user_sgpr_dispatch_ptr 0
		.amdhsa_user_sgpr_queue_ptr 0
		.amdhsa_user_sgpr_kernarg_segment_ptr 1
		.amdhsa_user_sgpr_dispatch_id 0
		.amdhsa_user_sgpr_private_segment_size 0
		.amdhsa_wavefront_size32 1
		.amdhsa_uses_dynamic_stack 0
		.amdhsa_enable_private_segment 0
		.amdhsa_system_sgpr_workgroup_id_x 1
		.amdhsa_system_sgpr_workgroup_id_y 0
		.amdhsa_system_sgpr_workgroup_id_z 0
		.amdhsa_system_sgpr_workgroup_info 0
		.amdhsa_system_vgpr_workitem_id 0
		.amdhsa_next_free_vgpr 1
		.amdhsa_next_free_sgpr 1
		.amdhsa_reserve_vcc 0
		.amdhsa_float_round_mode_32 0
		.amdhsa_float_round_mode_16_64 0
		.amdhsa_float_denorm_mode_32 3
		.amdhsa_float_denorm_mode_16_64 3
		.amdhsa_fp16_overflow 0
		.amdhsa_workgroup_processor_mode 1
		.amdhsa_memory_ordered 1
		.amdhsa_forward_progress 1
		.amdhsa_inst_pref_size 0
		.amdhsa_round_robin_scheduling 0
		.amdhsa_exception_fp_ieee_invalid_op 0
		.amdhsa_exception_fp_denorm_src 0
		.amdhsa_exception_fp_ieee_div_zero 0
		.amdhsa_exception_fp_ieee_overflow 0
		.amdhsa_exception_fp_ieee_underflow 0
		.amdhsa_exception_fp_ieee_inexact 0
		.amdhsa_exception_int_div_zero 0
	.end_amdhsa_kernel
	.section	.text._ZN7rocprim17ROCPRIM_400000_NS6detail17trampoline_kernelINS0_14default_configENS1_25partition_config_selectorILNS1_17partition_subalgoE6ExNS0_10empty_typeEbEEZZNS1_14partition_implILS5_6ELb0ES3_mN6thrust23THRUST_200600_302600_NS6detail15normal_iteratorINSA_10device_ptrIxEEEEPS6_SG_NS0_5tupleIJNSA_16discard_iteratorINSA_11use_defaultEEES6_EEENSH_IJSG_SG_EEES6_PlJNSB_9not_fun_tI7is_trueIxEEEEEE10hipError_tPvRmT3_T4_T5_T6_T7_T9_mT8_P12ihipStream_tbDpT10_ENKUlT_T0_E_clISt17integral_constantIbLb1EES1B_EEDaS16_S17_EUlS16_E_NS1_11comp_targetILNS1_3genE2ELNS1_11target_archE906ELNS1_3gpuE6ELNS1_3repE0EEENS1_30default_config_static_selectorELNS0_4arch9wavefront6targetE0EEEvT1_,"axG",@progbits,_ZN7rocprim17ROCPRIM_400000_NS6detail17trampoline_kernelINS0_14default_configENS1_25partition_config_selectorILNS1_17partition_subalgoE6ExNS0_10empty_typeEbEEZZNS1_14partition_implILS5_6ELb0ES3_mN6thrust23THRUST_200600_302600_NS6detail15normal_iteratorINSA_10device_ptrIxEEEEPS6_SG_NS0_5tupleIJNSA_16discard_iteratorINSA_11use_defaultEEES6_EEENSH_IJSG_SG_EEES6_PlJNSB_9not_fun_tI7is_trueIxEEEEEE10hipError_tPvRmT3_T4_T5_T6_T7_T9_mT8_P12ihipStream_tbDpT10_ENKUlT_T0_E_clISt17integral_constantIbLb1EES1B_EEDaS16_S17_EUlS16_E_NS1_11comp_targetILNS1_3genE2ELNS1_11target_archE906ELNS1_3gpuE6ELNS1_3repE0EEENS1_30default_config_static_selectorELNS0_4arch9wavefront6targetE0EEEvT1_,comdat
.Lfunc_end2249:
	.size	_ZN7rocprim17ROCPRIM_400000_NS6detail17trampoline_kernelINS0_14default_configENS1_25partition_config_selectorILNS1_17partition_subalgoE6ExNS0_10empty_typeEbEEZZNS1_14partition_implILS5_6ELb0ES3_mN6thrust23THRUST_200600_302600_NS6detail15normal_iteratorINSA_10device_ptrIxEEEEPS6_SG_NS0_5tupleIJNSA_16discard_iteratorINSA_11use_defaultEEES6_EEENSH_IJSG_SG_EEES6_PlJNSB_9not_fun_tI7is_trueIxEEEEEE10hipError_tPvRmT3_T4_T5_T6_T7_T9_mT8_P12ihipStream_tbDpT10_ENKUlT_T0_E_clISt17integral_constantIbLb1EES1B_EEDaS16_S17_EUlS16_E_NS1_11comp_targetILNS1_3genE2ELNS1_11target_archE906ELNS1_3gpuE6ELNS1_3repE0EEENS1_30default_config_static_selectorELNS0_4arch9wavefront6targetE0EEEvT1_, .Lfunc_end2249-_ZN7rocprim17ROCPRIM_400000_NS6detail17trampoline_kernelINS0_14default_configENS1_25partition_config_selectorILNS1_17partition_subalgoE6ExNS0_10empty_typeEbEEZZNS1_14partition_implILS5_6ELb0ES3_mN6thrust23THRUST_200600_302600_NS6detail15normal_iteratorINSA_10device_ptrIxEEEEPS6_SG_NS0_5tupleIJNSA_16discard_iteratorINSA_11use_defaultEEES6_EEENSH_IJSG_SG_EEES6_PlJNSB_9not_fun_tI7is_trueIxEEEEEE10hipError_tPvRmT3_T4_T5_T6_T7_T9_mT8_P12ihipStream_tbDpT10_ENKUlT_T0_E_clISt17integral_constantIbLb1EES1B_EEDaS16_S17_EUlS16_E_NS1_11comp_targetILNS1_3genE2ELNS1_11target_archE906ELNS1_3gpuE6ELNS1_3repE0EEENS1_30default_config_static_selectorELNS0_4arch9wavefront6targetE0EEEvT1_
                                        ; -- End function
	.set _ZN7rocprim17ROCPRIM_400000_NS6detail17trampoline_kernelINS0_14default_configENS1_25partition_config_selectorILNS1_17partition_subalgoE6ExNS0_10empty_typeEbEEZZNS1_14partition_implILS5_6ELb0ES3_mN6thrust23THRUST_200600_302600_NS6detail15normal_iteratorINSA_10device_ptrIxEEEEPS6_SG_NS0_5tupleIJNSA_16discard_iteratorINSA_11use_defaultEEES6_EEENSH_IJSG_SG_EEES6_PlJNSB_9not_fun_tI7is_trueIxEEEEEE10hipError_tPvRmT3_T4_T5_T6_T7_T9_mT8_P12ihipStream_tbDpT10_ENKUlT_T0_E_clISt17integral_constantIbLb1EES1B_EEDaS16_S17_EUlS16_E_NS1_11comp_targetILNS1_3genE2ELNS1_11target_archE906ELNS1_3gpuE6ELNS1_3repE0EEENS1_30default_config_static_selectorELNS0_4arch9wavefront6targetE0EEEvT1_.num_vgpr, 0
	.set _ZN7rocprim17ROCPRIM_400000_NS6detail17trampoline_kernelINS0_14default_configENS1_25partition_config_selectorILNS1_17partition_subalgoE6ExNS0_10empty_typeEbEEZZNS1_14partition_implILS5_6ELb0ES3_mN6thrust23THRUST_200600_302600_NS6detail15normal_iteratorINSA_10device_ptrIxEEEEPS6_SG_NS0_5tupleIJNSA_16discard_iteratorINSA_11use_defaultEEES6_EEENSH_IJSG_SG_EEES6_PlJNSB_9not_fun_tI7is_trueIxEEEEEE10hipError_tPvRmT3_T4_T5_T6_T7_T9_mT8_P12ihipStream_tbDpT10_ENKUlT_T0_E_clISt17integral_constantIbLb1EES1B_EEDaS16_S17_EUlS16_E_NS1_11comp_targetILNS1_3genE2ELNS1_11target_archE906ELNS1_3gpuE6ELNS1_3repE0EEENS1_30default_config_static_selectorELNS0_4arch9wavefront6targetE0EEEvT1_.num_agpr, 0
	.set _ZN7rocprim17ROCPRIM_400000_NS6detail17trampoline_kernelINS0_14default_configENS1_25partition_config_selectorILNS1_17partition_subalgoE6ExNS0_10empty_typeEbEEZZNS1_14partition_implILS5_6ELb0ES3_mN6thrust23THRUST_200600_302600_NS6detail15normal_iteratorINSA_10device_ptrIxEEEEPS6_SG_NS0_5tupleIJNSA_16discard_iteratorINSA_11use_defaultEEES6_EEENSH_IJSG_SG_EEES6_PlJNSB_9not_fun_tI7is_trueIxEEEEEE10hipError_tPvRmT3_T4_T5_T6_T7_T9_mT8_P12ihipStream_tbDpT10_ENKUlT_T0_E_clISt17integral_constantIbLb1EES1B_EEDaS16_S17_EUlS16_E_NS1_11comp_targetILNS1_3genE2ELNS1_11target_archE906ELNS1_3gpuE6ELNS1_3repE0EEENS1_30default_config_static_selectorELNS0_4arch9wavefront6targetE0EEEvT1_.numbered_sgpr, 0
	.set _ZN7rocprim17ROCPRIM_400000_NS6detail17trampoline_kernelINS0_14default_configENS1_25partition_config_selectorILNS1_17partition_subalgoE6ExNS0_10empty_typeEbEEZZNS1_14partition_implILS5_6ELb0ES3_mN6thrust23THRUST_200600_302600_NS6detail15normal_iteratorINSA_10device_ptrIxEEEEPS6_SG_NS0_5tupleIJNSA_16discard_iteratorINSA_11use_defaultEEES6_EEENSH_IJSG_SG_EEES6_PlJNSB_9not_fun_tI7is_trueIxEEEEEE10hipError_tPvRmT3_T4_T5_T6_T7_T9_mT8_P12ihipStream_tbDpT10_ENKUlT_T0_E_clISt17integral_constantIbLb1EES1B_EEDaS16_S17_EUlS16_E_NS1_11comp_targetILNS1_3genE2ELNS1_11target_archE906ELNS1_3gpuE6ELNS1_3repE0EEENS1_30default_config_static_selectorELNS0_4arch9wavefront6targetE0EEEvT1_.num_named_barrier, 0
	.set _ZN7rocprim17ROCPRIM_400000_NS6detail17trampoline_kernelINS0_14default_configENS1_25partition_config_selectorILNS1_17partition_subalgoE6ExNS0_10empty_typeEbEEZZNS1_14partition_implILS5_6ELb0ES3_mN6thrust23THRUST_200600_302600_NS6detail15normal_iteratorINSA_10device_ptrIxEEEEPS6_SG_NS0_5tupleIJNSA_16discard_iteratorINSA_11use_defaultEEES6_EEENSH_IJSG_SG_EEES6_PlJNSB_9not_fun_tI7is_trueIxEEEEEE10hipError_tPvRmT3_T4_T5_T6_T7_T9_mT8_P12ihipStream_tbDpT10_ENKUlT_T0_E_clISt17integral_constantIbLb1EES1B_EEDaS16_S17_EUlS16_E_NS1_11comp_targetILNS1_3genE2ELNS1_11target_archE906ELNS1_3gpuE6ELNS1_3repE0EEENS1_30default_config_static_selectorELNS0_4arch9wavefront6targetE0EEEvT1_.private_seg_size, 0
	.set _ZN7rocprim17ROCPRIM_400000_NS6detail17trampoline_kernelINS0_14default_configENS1_25partition_config_selectorILNS1_17partition_subalgoE6ExNS0_10empty_typeEbEEZZNS1_14partition_implILS5_6ELb0ES3_mN6thrust23THRUST_200600_302600_NS6detail15normal_iteratorINSA_10device_ptrIxEEEEPS6_SG_NS0_5tupleIJNSA_16discard_iteratorINSA_11use_defaultEEES6_EEENSH_IJSG_SG_EEES6_PlJNSB_9not_fun_tI7is_trueIxEEEEEE10hipError_tPvRmT3_T4_T5_T6_T7_T9_mT8_P12ihipStream_tbDpT10_ENKUlT_T0_E_clISt17integral_constantIbLb1EES1B_EEDaS16_S17_EUlS16_E_NS1_11comp_targetILNS1_3genE2ELNS1_11target_archE906ELNS1_3gpuE6ELNS1_3repE0EEENS1_30default_config_static_selectorELNS0_4arch9wavefront6targetE0EEEvT1_.uses_vcc, 0
	.set _ZN7rocprim17ROCPRIM_400000_NS6detail17trampoline_kernelINS0_14default_configENS1_25partition_config_selectorILNS1_17partition_subalgoE6ExNS0_10empty_typeEbEEZZNS1_14partition_implILS5_6ELb0ES3_mN6thrust23THRUST_200600_302600_NS6detail15normal_iteratorINSA_10device_ptrIxEEEEPS6_SG_NS0_5tupleIJNSA_16discard_iteratorINSA_11use_defaultEEES6_EEENSH_IJSG_SG_EEES6_PlJNSB_9not_fun_tI7is_trueIxEEEEEE10hipError_tPvRmT3_T4_T5_T6_T7_T9_mT8_P12ihipStream_tbDpT10_ENKUlT_T0_E_clISt17integral_constantIbLb1EES1B_EEDaS16_S17_EUlS16_E_NS1_11comp_targetILNS1_3genE2ELNS1_11target_archE906ELNS1_3gpuE6ELNS1_3repE0EEENS1_30default_config_static_selectorELNS0_4arch9wavefront6targetE0EEEvT1_.uses_flat_scratch, 0
	.set _ZN7rocprim17ROCPRIM_400000_NS6detail17trampoline_kernelINS0_14default_configENS1_25partition_config_selectorILNS1_17partition_subalgoE6ExNS0_10empty_typeEbEEZZNS1_14partition_implILS5_6ELb0ES3_mN6thrust23THRUST_200600_302600_NS6detail15normal_iteratorINSA_10device_ptrIxEEEEPS6_SG_NS0_5tupleIJNSA_16discard_iteratorINSA_11use_defaultEEES6_EEENSH_IJSG_SG_EEES6_PlJNSB_9not_fun_tI7is_trueIxEEEEEE10hipError_tPvRmT3_T4_T5_T6_T7_T9_mT8_P12ihipStream_tbDpT10_ENKUlT_T0_E_clISt17integral_constantIbLb1EES1B_EEDaS16_S17_EUlS16_E_NS1_11comp_targetILNS1_3genE2ELNS1_11target_archE906ELNS1_3gpuE6ELNS1_3repE0EEENS1_30default_config_static_selectorELNS0_4arch9wavefront6targetE0EEEvT1_.has_dyn_sized_stack, 0
	.set _ZN7rocprim17ROCPRIM_400000_NS6detail17trampoline_kernelINS0_14default_configENS1_25partition_config_selectorILNS1_17partition_subalgoE6ExNS0_10empty_typeEbEEZZNS1_14partition_implILS5_6ELb0ES3_mN6thrust23THRUST_200600_302600_NS6detail15normal_iteratorINSA_10device_ptrIxEEEEPS6_SG_NS0_5tupleIJNSA_16discard_iteratorINSA_11use_defaultEEES6_EEENSH_IJSG_SG_EEES6_PlJNSB_9not_fun_tI7is_trueIxEEEEEE10hipError_tPvRmT3_T4_T5_T6_T7_T9_mT8_P12ihipStream_tbDpT10_ENKUlT_T0_E_clISt17integral_constantIbLb1EES1B_EEDaS16_S17_EUlS16_E_NS1_11comp_targetILNS1_3genE2ELNS1_11target_archE906ELNS1_3gpuE6ELNS1_3repE0EEENS1_30default_config_static_selectorELNS0_4arch9wavefront6targetE0EEEvT1_.has_recursion, 0
	.set _ZN7rocprim17ROCPRIM_400000_NS6detail17trampoline_kernelINS0_14default_configENS1_25partition_config_selectorILNS1_17partition_subalgoE6ExNS0_10empty_typeEbEEZZNS1_14partition_implILS5_6ELb0ES3_mN6thrust23THRUST_200600_302600_NS6detail15normal_iteratorINSA_10device_ptrIxEEEEPS6_SG_NS0_5tupleIJNSA_16discard_iteratorINSA_11use_defaultEEES6_EEENSH_IJSG_SG_EEES6_PlJNSB_9not_fun_tI7is_trueIxEEEEEE10hipError_tPvRmT3_T4_T5_T6_T7_T9_mT8_P12ihipStream_tbDpT10_ENKUlT_T0_E_clISt17integral_constantIbLb1EES1B_EEDaS16_S17_EUlS16_E_NS1_11comp_targetILNS1_3genE2ELNS1_11target_archE906ELNS1_3gpuE6ELNS1_3repE0EEENS1_30default_config_static_selectorELNS0_4arch9wavefront6targetE0EEEvT1_.has_indirect_call, 0
	.section	.AMDGPU.csdata,"",@progbits
; Kernel info:
; codeLenInByte = 0
; TotalNumSgprs: 0
; NumVgprs: 0
; ScratchSize: 0
; MemoryBound: 0
; FloatMode: 240
; IeeeMode: 1
; LDSByteSize: 0 bytes/workgroup (compile time only)
; SGPRBlocks: 0
; VGPRBlocks: 0
; NumSGPRsForWavesPerEU: 1
; NumVGPRsForWavesPerEU: 1
; Occupancy: 16
; WaveLimiterHint : 0
; COMPUTE_PGM_RSRC2:SCRATCH_EN: 0
; COMPUTE_PGM_RSRC2:USER_SGPR: 2
; COMPUTE_PGM_RSRC2:TRAP_HANDLER: 0
; COMPUTE_PGM_RSRC2:TGID_X_EN: 1
; COMPUTE_PGM_RSRC2:TGID_Y_EN: 0
; COMPUTE_PGM_RSRC2:TGID_Z_EN: 0
; COMPUTE_PGM_RSRC2:TIDIG_COMP_CNT: 0
	.section	.text._ZN7rocprim17ROCPRIM_400000_NS6detail17trampoline_kernelINS0_14default_configENS1_25partition_config_selectorILNS1_17partition_subalgoE6ExNS0_10empty_typeEbEEZZNS1_14partition_implILS5_6ELb0ES3_mN6thrust23THRUST_200600_302600_NS6detail15normal_iteratorINSA_10device_ptrIxEEEEPS6_SG_NS0_5tupleIJNSA_16discard_iteratorINSA_11use_defaultEEES6_EEENSH_IJSG_SG_EEES6_PlJNSB_9not_fun_tI7is_trueIxEEEEEE10hipError_tPvRmT3_T4_T5_T6_T7_T9_mT8_P12ihipStream_tbDpT10_ENKUlT_T0_E_clISt17integral_constantIbLb1EES1B_EEDaS16_S17_EUlS16_E_NS1_11comp_targetILNS1_3genE10ELNS1_11target_archE1200ELNS1_3gpuE4ELNS1_3repE0EEENS1_30default_config_static_selectorELNS0_4arch9wavefront6targetE0EEEvT1_,"axG",@progbits,_ZN7rocprim17ROCPRIM_400000_NS6detail17trampoline_kernelINS0_14default_configENS1_25partition_config_selectorILNS1_17partition_subalgoE6ExNS0_10empty_typeEbEEZZNS1_14partition_implILS5_6ELb0ES3_mN6thrust23THRUST_200600_302600_NS6detail15normal_iteratorINSA_10device_ptrIxEEEEPS6_SG_NS0_5tupleIJNSA_16discard_iteratorINSA_11use_defaultEEES6_EEENSH_IJSG_SG_EEES6_PlJNSB_9not_fun_tI7is_trueIxEEEEEE10hipError_tPvRmT3_T4_T5_T6_T7_T9_mT8_P12ihipStream_tbDpT10_ENKUlT_T0_E_clISt17integral_constantIbLb1EES1B_EEDaS16_S17_EUlS16_E_NS1_11comp_targetILNS1_3genE10ELNS1_11target_archE1200ELNS1_3gpuE4ELNS1_3repE0EEENS1_30default_config_static_selectorELNS0_4arch9wavefront6targetE0EEEvT1_,comdat
	.protected	_ZN7rocprim17ROCPRIM_400000_NS6detail17trampoline_kernelINS0_14default_configENS1_25partition_config_selectorILNS1_17partition_subalgoE6ExNS0_10empty_typeEbEEZZNS1_14partition_implILS5_6ELb0ES3_mN6thrust23THRUST_200600_302600_NS6detail15normal_iteratorINSA_10device_ptrIxEEEEPS6_SG_NS0_5tupleIJNSA_16discard_iteratorINSA_11use_defaultEEES6_EEENSH_IJSG_SG_EEES6_PlJNSB_9not_fun_tI7is_trueIxEEEEEE10hipError_tPvRmT3_T4_T5_T6_T7_T9_mT8_P12ihipStream_tbDpT10_ENKUlT_T0_E_clISt17integral_constantIbLb1EES1B_EEDaS16_S17_EUlS16_E_NS1_11comp_targetILNS1_3genE10ELNS1_11target_archE1200ELNS1_3gpuE4ELNS1_3repE0EEENS1_30default_config_static_selectorELNS0_4arch9wavefront6targetE0EEEvT1_ ; -- Begin function _ZN7rocprim17ROCPRIM_400000_NS6detail17trampoline_kernelINS0_14default_configENS1_25partition_config_selectorILNS1_17partition_subalgoE6ExNS0_10empty_typeEbEEZZNS1_14partition_implILS5_6ELb0ES3_mN6thrust23THRUST_200600_302600_NS6detail15normal_iteratorINSA_10device_ptrIxEEEEPS6_SG_NS0_5tupleIJNSA_16discard_iteratorINSA_11use_defaultEEES6_EEENSH_IJSG_SG_EEES6_PlJNSB_9not_fun_tI7is_trueIxEEEEEE10hipError_tPvRmT3_T4_T5_T6_T7_T9_mT8_P12ihipStream_tbDpT10_ENKUlT_T0_E_clISt17integral_constantIbLb1EES1B_EEDaS16_S17_EUlS16_E_NS1_11comp_targetILNS1_3genE10ELNS1_11target_archE1200ELNS1_3gpuE4ELNS1_3repE0EEENS1_30default_config_static_selectorELNS0_4arch9wavefront6targetE0EEEvT1_
	.globl	_ZN7rocprim17ROCPRIM_400000_NS6detail17trampoline_kernelINS0_14default_configENS1_25partition_config_selectorILNS1_17partition_subalgoE6ExNS0_10empty_typeEbEEZZNS1_14partition_implILS5_6ELb0ES3_mN6thrust23THRUST_200600_302600_NS6detail15normal_iteratorINSA_10device_ptrIxEEEEPS6_SG_NS0_5tupleIJNSA_16discard_iteratorINSA_11use_defaultEEES6_EEENSH_IJSG_SG_EEES6_PlJNSB_9not_fun_tI7is_trueIxEEEEEE10hipError_tPvRmT3_T4_T5_T6_T7_T9_mT8_P12ihipStream_tbDpT10_ENKUlT_T0_E_clISt17integral_constantIbLb1EES1B_EEDaS16_S17_EUlS16_E_NS1_11comp_targetILNS1_3genE10ELNS1_11target_archE1200ELNS1_3gpuE4ELNS1_3repE0EEENS1_30default_config_static_selectorELNS0_4arch9wavefront6targetE0EEEvT1_
	.p2align	8
	.type	_ZN7rocprim17ROCPRIM_400000_NS6detail17trampoline_kernelINS0_14default_configENS1_25partition_config_selectorILNS1_17partition_subalgoE6ExNS0_10empty_typeEbEEZZNS1_14partition_implILS5_6ELb0ES3_mN6thrust23THRUST_200600_302600_NS6detail15normal_iteratorINSA_10device_ptrIxEEEEPS6_SG_NS0_5tupleIJNSA_16discard_iteratorINSA_11use_defaultEEES6_EEENSH_IJSG_SG_EEES6_PlJNSB_9not_fun_tI7is_trueIxEEEEEE10hipError_tPvRmT3_T4_T5_T6_T7_T9_mT8_P12ihipStream_tbDpT10_ENKUlT_T0_E_clISt17integral_constantIbLb1EES1B_EEDaS16_S17_EUlS16_E_NS1_11comp_targetILNS1_3genE10ELNS1_11target_archE1200ELNS1_3gpuE4ELNS1_3repE0EEENS1_30default_config_static_selectorELNS0_4arch9wavefront6targetE0EEEvT1_,@function
_ZN7rocprim17ROCPRIM_400000_NS6detail17trampoline_kernelINS0_14default_configENS1_25partition_config_selectorILNS1_17partition_subalgoE6ExNS0_10empty_typeEbEEZZNS1_14partition_implILS5_6ELb0ES3_mN6thrust23THRUST_200600_302600_NS6detail15normal_iteratorINSA_10device_ptrIxEEEEPS6_SG_NS0_5tupleIJNSA_16discard_iteratorINSA_11use_defaultEEES6_EEENSH_IJSG_SG_EEES6_PlJNSB_9not_fun_tI7is_trueIxEEEEEE10hipError_tPvRmT3_T4_T5_T6_T7_T9_mT8_P12ihipStream_tbDpT10_ENKUlT_T0_E_clISt17integral_constantIbLb1EES1B_EEDaS16_S17_EUlS16_E_NS1_11comp_targetILNS1_3genE10ELNS1_11target_archE1200ELNS1_3gpuE4ELNS1_3repE0EEENS1_30default_config_static_selectorELNS0_4arch9wavefront6targetE0EEEvT1_: ; @_ZN7rocprim17ROCPRIM_400000_NS6detail17trampoline_kernelINS0_14default_configENS1_25partition_config_selectorILNS1_17partition_subalgoE6ExNS0_10empty_typeEbEEZZNS1_14partition_implILS5_6ELb0ES3_mN6thrust23THRUST_200600_302600_NS6detail15normal_iteratorINSA_10device_ptrIxEEEEPS6_SG_NS0_5tupleIJNSA_16discard_iteratorINSA_11use_defaultEEES6_EEENSH_IJSG_SG_EEES6_PlJNSB_9not_fun_tI7is_trueIxEEEEEE10hipError_tPvRmT3_T4_T5_T6_T7_T9_mT8_P12ihipStream_tbDpT10_ENKUlT_T0_E_clISt17integral_constantIbLb1EES1B_EEDaS16_S17_EUlS16_E_NS1_11comp_targetILNS1_3genE10ELNS1_11target_archE1200ELNS1_3gpuE4ELNS1_3repE0EEENS1_30default_config_static_selectorELNS0_4arch9wavefront6targetE0EEEvT1_
; %bb.0:
	s_endpgm
	.section	.rodata,"a",@progbits
	.p2align	6, 0x0
	.amdhsa_kernel _ZN7rocprim17ROCPRIM_400000_NS6detail17trampoline_kernelINS0_14default_configENS1_25partition_config_selectorILNS1_17partition_subalgoE6ExNS0_10empty_typeEbEEZZNS1_14partition_implILS5_6ELb0ES3_mN6thrust23THRUST_200600_302600_NS6detail15normal_iteratorINSA_10device_ptrIxEEEEPS6_SG_NS0_5tupleIJNSA_16discard_iteratorINSA_11use_defaultEEES6_EEENSH_IJSG_SG_EEES6_PlJNSB_9not_fun_tI7is_trueIxEEEEEE10hipError_tPvRmT3_T4_T5_T6_T7_T9_mT8_P12ihipStream_tbDpT10_ENKUlT_T0_E_clISt17integral_constantIbLb1EES1B_EEDaS16_S17_EUlS16_E_NS1_11comp_targetILNS1_3genE10ELNS1_11target_archE1200ELNS1_3gpuE4ELNS1_3repE0EEENS1_30default_config_static_selectorELNS0_4arch9wavefront6targetE0EEEvT1_
		.amdhsa_group_segment_fixed_size 0
		.amdhsa_private_segment_fixed_size 0
		.amdhsa_kernarg_size 136
		.amdhsa_user_sgpr_count 2
		.amdhsa_user_sgpr_dispatch_ptr 0
		.amdhsa_user_sgpr_queue_ptr 0
		.amdhsa_user_sgpr_kernarg_segment_ptr 1
		.amdhsa_user_sgpr_dispatch_id 0
		.amdhsa_user_sgpr_private_segment_size 0
		.amdhsa_wavefront_size32 1
		.amdhsa_uses_dynamic_stack 0
		.amdhsa_enable_private_segment 0
		.amdhsa_system_sgpr_workgroup_id_x 1
		.amdhsa_system_sgpr_workgroup_id_y 0
		.amdhsa_system_sgpr_workgroup_id_z 0
		.amdhsa_system_sgpr_workgroup_info 0
		.amdhsa_system_vgpr_workitem_id 0
		.amdhsa_next_free_vgpr 1
		.amdhsa_next_free_sgpr 1
		.amdhsa_reserve_vcc 0
		.amdhsa_float_round_mode_32 0
		.amdhsa_float_round_mode_16_64 0
		.amdhsa_float_denorm_mode_32 3
		.amdhsa_float_denorm_mode_16_64 3
		.amdhsa_fp16_overflow 0
		.amdhsa_workgroup_processor_mode 1
		.amdhsa_memory_ordered 1
		.amdhsa_forward_progress 1
		.amdhsa_inst_pref_size 1
		.amdhsa_round_robin_scheduling 0
		.amdhsa_exception_fp_ieee_invalid_op 0
		.amdhsa_exception_fp_denorm_src 0
		.amdhsa_exception_fp_ieee_div_zero 0
		.amdhsa_exception_fp_ieee_overflow 0
		.amdhsa_exception_fp_ieee_underflow 0
		.amdhsa_exception_fp_ieee_inexact 0
		.amdhsa_exception_int_div_zero 0
	.end_amdhsa_kernel
	.section	.text._ZN7rocprim17ROCPRIM_400000_NS6detail17trampoline_kernelINS0_14default_configENS1_25partition_config_selectorILNS1_17partition_subalgoE6ExNS0_10empty_typeEbEEZZNS1_14partition_implILS5_6ELb0ES3_mN6thrust23THRUST_200600_302600_NS6detail15normal_iteratorINSA_10device_ptrIxEEEEPS6_SG_NS0_5tupleIJNSA_16discard_iteratorINSA_11use_defaultEEES6_EEENSH_IJSG_SG_EEES6_PlJNSB_9not_fun_tI7is_trueIxEEEEEE10hipError_tPvRmT3_T4_T5_T6_T7_T9_mT8_P12ihipStream_tbDpT10_ENKUlT_T0_E_clISt17integral_constantIbLb1EES1B_EEDaS16_S17_EUlS16_E_NS1_11comp_targetILNS1_3genE10ELNS1_11target_archE1200ELNS1_3gpuE4ELNS1_3repE0EEENS1_30default_config_static_selectorELNS0_4arch9wavefront6targetE0EEEvT1_,"axG",@progbits,_ZN7rocprim17ROCPRIM_400000_NS6detail17trampoline_kernelINS0_14default_configENS1_25partition_config_selectorILNS1_17partition_subalgoE6ExNS0_10empty_typeEbEEZZNS1_14partition_implILS5_6ELb0ES3_mN6thrust23THRUST_200600_302600_NS6detail15normal_iteratorINSA_10device_ptrIxEEEEPS6_SG_NS0_5tupleIJNSA_16discard_iteratorINSA_11use_defaultEEES6_EEENSH_IJSG_SG_EEES6_PlJNSB_9not_fun_tI7is_trueIxEEEEEE10hipError_tPvRmT3_T4_T5_T6_T7_T9_mT8_P12ihipStream_tbDpT10_ENKUlT_T0_E_clISt17integral_constantIbLb1EES1B_EEDaS16_S17_EUlS16_E_NS1_11comp_targetILNS1_3genE10ELNS1_11target_archE1200ELNS1_3gpuE4ELNS1_3repE0EEENS1_30default_config_static_selectorELNS0_4arch9wavefront6targetE0EEEvT1_,comdat
.Lfunc_end2250:
	.size	_ZN7rocprim17ROCPRIM_400000_NS6detail17trampoline_kernelINS0_14default_configENS1_25partition_config_selectorILNS1_17partition_subalgoE6ExNS0_10empty_typeEbEEZZNS1_14partition_implILS5_6ELb0ES3_mN6thrust23THRUST_200600_302600_NS6detail15normal_iteratorINSA_10device_ptrIxEEEEPS6_SG_NS0_5tupleIJNSA_16discard_iteratorINSA_11use_defaultEEES6_EEENSH_IJSG_SG_EEES6_PlJNSB_9not_fun_tI7is_trueIxEEEEEE10hipError_tPvRmT3_T4_T5_T6_T7_T9_mT8_P12ihipStream_tbDpT10_ENKUlT_T0_E_clISt17integral_constantIbLb1EES1B_EEDaS16_S17_EUlS16_E_NS1_11comp_targetILNS1_3genE10ELNS1_11target_archE1200ELNS1_3gpuE4ELNS1_3repE0EEENS1_30default_config_static_selectorELNS0_4arch9wavefront6targetE0EEEvT1_, .Lfunc_end2250-_ZN7rocprim17ROCPRIM_400000_NS6detail17trampoline_kernelINS0_14default_configENS1_25partition_config_selectorILNS1_17partition_subalgoE6ExNS0_10empty_typeEbEEZZNS1_14partition_implILS5_6ELb0ES3_mN6thrust23THRUST_200600_302600_NS6detail15normal_iteratorINSA_10device_ptrIxEEEEPS6_SG_NS0_5tupleIJNSA_16discard_iteratorINSA_11use_defaultEEES6_EEENSH_IJSG_SG_EEES6_PlJNSB_9not_fun_tI7is_trueIxEEEEEE10hipError_tPvRmT3_T4_T5_T6_T7_T9_mT8_P12ihipStream_tbDpT10_ENKUlT_T0_E_clISt17integral_constantIbLb1EES1B_EEDaS16_S17_EUlS16_E_NS1_11comp_targetILNS1_3genE10ELNS1_11target_archE1200ELNS1_3gpuE4ELNS1_3repE0EEENS1_30default_config_static_selectorELNS0_4arch9wavefront6targetE0EEEvT1_
                                        ; -- End function
	.set _ZN7rocprim17ROCPRIM_400000_NS6detail17trampoline_kernelINS0_14default_configENS1_25partition_config_selectorILNS1_17partition_subalgoE6ExNS0_10empty_typeEbEEZZNS1_14partition_implILS5_6ELb0ES3_mN6thrust23THRUST_200600_302600_NS6detail15normal_iteratorINSA_10device_ptrIxEEEEPS6_SG_NS0_5tupleIJNSA_16discard_iteratorINSA_11use_defaultEEES6_EEENSH_IJSG_SG_EEES6_PlJNSB_9not_fun_tI7is_trueIxEEEEEE10hipError_tPvRmT3_T4_T5_T6_T7_T9_mT8_P12ihipStream_tbDpT10_ENKUlT_T0_E_clISt17integral_constantIbLb1EES1B_EEDaS16_S17_EUlS16_E_NS1_11comp_targetILNS1_3genE10ELNS1_11target_archE1200ELNS1_3gpuE4ELNS1_3repE0EEENS1_30default_config_static_selectorELNS0_4arch9wavefront6targetE0EEEvT1_.num_vgpr, 0
	.set _ZN7rocprim17ROCPRIM_400000_NS6detail17trampoline_kernelINS0_14default_configENS1_25partition_config_selectorILNS1_17partition_subalgoE6ExNS0_10empty_typeEbEEZZNS1_14partition_implILS5_6ELb0ES3_mN6thrust23THRUST_200600_302600_NS6detail15normal_iteratorINSA_10device_ptrIxEEEEPS6_SG_NS0_5tupleIJNSA_16discard_iteratorINSA_11use_defaultEEES6_EEENSH_IJSG_SG_EEES6_PlJNSB_9not_fun_tI7is_trueIxEEEEEE10hipError_tPvRmT3_T4_T5_T6_T7_T9_mT8_P12ihipStream_tbDpT10_ENKUlT_T0_E_clISt17integral_constantIbLb1EES1B_EEDaS16_S17_EUlS16_E_NS1_11comp_targetILNS1_3genE10ELNS1_11target_archE1200ELNS1_3gpuE4ELNS1_3repE0EEENS1_30default_config_static_selectorELNS0_4arch9wavefront6targetE0EEEvT1_.num_agpr, 0
	.set _ZN7rocprim17ROCPRIM_400000_NS6detail17trampoline_kernelINS0_14default_configENS1_25partition_config_selectorILNS1_17partition_subalgoE6ExNS0_10empty_typeEbEEZZNS1_14partition_implILS5_6ELb0ES3_mN6thrust23THRUST_200600_302600_NS6detail15normal_iteratorINSA_10device_ptrIxEEEEPS6_SG_NS0_5tupleIJNSA_16discard_iteratorINSA_11use_defaultEEES6_EEENSH_IJSG_SG_EEES6_PlJNSB_9not_fun_tI7is_trueIxEEEEEE10hipError_tPvRmT3_T4_T5_T6_T7_T9_mT8_P12ihipStream_tbDpT10_ENKUlT_T0_E_clISt17integral_constantIbLb1EES1B_EEDaS16_S17_EUlS16_E_NS1_11comp_targetILNS1_3genE10ELNS1_11target_archE1200ELNS1_3gpuE4ELNS1_3repE0EEENS1_30default_config_static_selectorELNS0_4arch9wavefront6targetE0EEEvT1_.numbered_sgpr, 0
	.set _ZN7rocprim17ROCPRIM_400000_NS6detail17trampoline_kernelINS0_14default_configENS1_25partition_config_selectorILNS1_17partition_subalgoE6ExNS0_10empty_typeEbEEZZNS1_14partition_implILS5_6ELb0ES3_mN6thrust23THRUST_200600_302600_NS6detail15normal_iteratorINSA_10device_ptrIxEEEEPS6_SG_NS0_5tupleIJNSA_16discard_iteratorINSA_11use_defaultEEES6_EEENSH_IJSG_SG_EEES6_PlJNSB_9not_fun_tI7is_trueIxEEEEEE10hipError_tPvRmT3_T4_T5_T6_T7_T9_mT8_P12ihipStream_tbDpT10_ENKUlT_T0_E_clISt17integral_constantIbLb1EES1B_EEDaS16_S17_EUlS16_E_NS1_11comp_targetILNS1_3genE10ELNS1_11target_archE1200ELNS1_3gpuE4ELNS1_3repE0EEENS1_30default_config_static_selectorELNS0_4arch9wavefront6targetE0EEEvT1_.num_named_barrier, 0
	.set _ZN7rocprim17ROCPRIM_400000_NS6detail17trampoline_kernelINS0_14default_configENS1_25partition_config_selectorILNS1_17partition_subalgoE6ExNS0_10empty_typeEbEEZZNS1_14partition_implILS5_6ELb0ES3_mN6thrust23THRUST_200600_302600_NS6detail15normal_iteratorINSA_10device_ptrIxEEEEPS6_SG_NS0_5tupleIJNSA_16discard_iteratorINSA_11use_defaultEEES6_EEENSH_IJSG_SG_EEES6_PlJNSB_9not_fun_tI7is_trueIxEEEEEE10hipError_tPvRmT3_T4_T5_T6_T7_T9_mT8_P12ihipStream_tbDpT10_ENKUlT_T0_E_clISt17integral_constantIbLb1EES1B_EEDaS16_S17_EUlS16_E_NS1_11comp_targetILNS1_3genE10ELNS1_11target_archE1200ELNS1_3gpuE4ELNS1_3repE0EEENS1_30default_config_static_selectorELNS0_4arch9wavefront6targetE0EEEvT1_.private_seg_size, 0
	.set _ZN7rocprim17ROCPRIM_400000_NS6detail17trampoline_kernelINS0_14default_configENS1_25partition_config_selectorILNS1_17partition_subalgoE6ExNS0_10empty_typeEbEEZZNS1_14partition_implILS5_6ELb0ES3_mN6thrust23THRUST_200600_302600_NS6detail15normal_iteratorINSA_10device_ptrIxEEEEPS6_SG_NS0_5tupleIJNSA_16discard_iteratorINSA_11use_defaultEEES6_EEENSH_IJSG_SG_EEES6_PlJNSB_9not_fun_tI7is_trueIxEEEEEE10hipError_tPvRmT3_T4_T5_T6_T7_T9_mT8_P12ihipStream_tbDpT10_ENKUlT_T0_E_clISt17integral_constantIbLb1EES1B_EEDaS16_S17_EUlS16_E_NS1_11comp_targetILNS1_3genE10ELNS1_11target_archE1200ELNS1_3gpuE4ELNS1_3repE0EEENS1_30default_config_static_selectorELNS0_4arch9wavefront6targetE0EEEvT1_.uses_vcc, 0
	.set _ZN7rocprim17ROCPRIM_400000_NS6detail17trampoline_kernelINS0_14default_configENS1_25partition_config_selectorILNS1_17partition_subalgoE6ExNS0_10empty_typeEbEEZZNS1_14partition_implILS5_6ELb0ES3_mN6thrust23THRUST_200600_302600_NS6detail15normal_iteratorINSA_10device_ptrIxEEEEPS6_SG_NS0_5tupleIJNSA_16discard_iteratorINSA_11use_defaultEEES6_EEENSH_IJSG_SG_EEES6_PlJNSB_9not_fun_tI7is_trueIxEEEEEE10hipError_tPvRmT3_T4_T5_T6_T7_T9_mT8_P12ihipStream_tbDpT10_ENKUlT_T0_E_clISt17integral_constantIbLb1EES1B_EEDaS16_S17_EUlS16_E_NS1_11comp_targetILNS1_3genE10ELNS1_11target_archE1200ELNS1_3gpuE4ELNS1_3repE0EEENS1_30default_config_static_selectorELNS0_4arch9wavefront6targetE0EEEvT1_.uses_flat_scratch, 0
	.set _ZN7rocprim17ROCPRIM_400000_NS6detail17trampoline_kernelINS0_14default_configENS1_25partition_config_selectorILNS1_17partition_subalgoE6ExNS0_10empty_typeEbEEZZNS1_14partition_implILS5_6ELb0ES3_mN6thrust23THRUST_200600_302600_NS6detail15normal_iteratorINSA_10device_ptrIxEEEEPS6_SG_NS0_5tupleIJNSA_16discard_iteratorINSA_11use_defaultEEES6_EEENSH_IJSG_SG_EEES6_PlJNSB_9not_fun_tI7is_trueIxEEEEEE10hipError_tPvRmT3_T4_T5_T6_T7_T9_mT8_P12ihipStream_tbDpT10_ENKUlT_T0_E_clISt17integral_constantIbLb1EES1B_EEDaS16_S17_EUlS16_E_NS1_11comp_targetILNS1_3genE10ELNS1_11target_archE1200ELNS1_3gpuE4ELNS1_3repE0EEENS1_30default_config_static_selectorELNS0_4arch9wavefront6targetE0EEEvT1_.has_dyn_sized_stack, 0
	.set _ZN7rocprim17ROCPRIM_400000_NS6detail17trampoline_kernelINS0_14default_configENS1_25partition_config_selectorILNS1_17partition_subalgoE6ExNS0_10empty_typeEbEEZZNS1_14partition_implILS5_6ELb0ES3_mN6thrust23THRUST_200600_302600_NS6detail15normal_iteratorINSA_10device_ptrIxEEEEPS6_SG_NS0_5tupleIJNSA_16discard_iteratorINSA_11use_defaultEEES6_EEENSH_IJSG_SG_EEES6_PlJNSB_9not_fun_tI7is_trueIxEEEEEE10hipError_tPvRmT3_T4_T5_T6_T7_T9_mT8_P12ihipStream_tbDpT10_ENKUlT_T0_E_clISt17integral_constantIbLb1EES1B_EEDaS16_S17_EUlS16_E_NS1_11comp_targetILNS1_3genE10ELNS1_11target_archE1200ELNS1_3gpuE4ELNS1_3repE0EEENS1_30default_config_static_selectorELNS0_4arch9wavefront6targetE0EEEvT1_.has_recursion, 0
	.set _ZN7rocprim17ROCPRIM_400000_NS6detail17trampoline_kernelINS0_14default_configENS1_25partition_config_selectorILNS1_17partition_subalgoE6ExNS0_10empty_typeEbEEZZNS1_14partition_implILS5_6ELb0ES3_mN6thrust23THRUST_200600_302600_NS6detail15normal_iteratorINSA_10device_ptrIxEEEEPS6_SG_NS0_5tupleIJNSA_16discard_iteratorINSA_11use_defaultEEES6_EEENSH_IJSG_SG_EEES6_PlJNSB_9not_fun_tI7is_trueIxEEEEEE10hipError_tPvRmT3_T4_T5_T6_T7_T9_mT8_P12ihipStream_tbDpT10_ENKUlT_T0_E_clISt17integral_constantIbLb1EES1B_EEDaS16_S17_EUlS16_E_NS1_11comp_targetILNS1_3genE10ELNS1_11target_archE1200ELNS1_3gpuE4ELNS1_3repE0EEENS1_30default_config_static_selectorELNS0_4arch9wavefront6targetE0EEEvT1_.has_indirect_call, 0
	.section	.AMDGPU.csdata,"",@progbits
; Kernel info:
; codeLenInByte = 4
; TotalNumSgprs: 0
; NumVgprs: 0
; ScratchSize: 0
; MemoryBound: 0
; FloatMode: 240
; IeeeMode: 1
; LDSByteSize: 0 bytes/workgroup (compile time only)
; SGPRBlocks: 0
; VGPRBlocks: 0
; NumSGPRsForWavesPerEU: 1
; NumVGPRsForWavesPerEU: 1
; Occupancy: 16
; WaveLimiterHint : 0
; COMPUTE_PGM_RSRC2:SCRATCH_EN: 0
; COMPUTE_PGM_RSRC2:USER_SGPR: 2
; COMPUTE_PGM_RSRC2:TRAP_HANDLER: 0
; COMPUTE_PGM_RSRC2:TGID_X_EN: 1
; COMPUTE_PGM_RSRC2:TGID_Y_EN: 0
; COMPUTE_PGM_RSRC2:TGID_Z_EN: 0
; COMPUTE_PGM_RSRC2:TIDIG_COMP_CNT: 0
	.section	.text._ZN7rocprim17ROCPRIM_400000_NS6detail17trampoline_kernelINS0_14default_configENS1_25partition_config_selectorILNS1_17partition_subalgoE6ExNS0_10empty_typeEbEEZZNS1_14partition_implILS5_6ELb0ES3_mN6thrust23THRUST_200600_302600_NS6detail15normal_iteratorINSA_10device_ptrIxEEEEPS6_SG_NS0_5tupleIJNSA_16discard_iteratorINSA_11use_defaultEEES6_EEENSH_IJSG_SG_EEES6_PlJNSB_9not_fun_tI7is_trueIxEEEEEE10hipError_tPvRmT3_T4_T5_T6_T7_T9_mT8_P12ihipStream_tbDpT10_ENKUlT_T0_E_clISt17integral_constantIbLb1EES1B_EEDaS16_S17_EUlS16_E_NS1_11comp_targetILNS1_3genE9ELNS1_11target_archE1100ELNS1_3gpuE3ELNS1_3repE0EEENS1_30default_config_static_selectorELNS0_4arch9wavefront6targetE0EEEvT1_,"axG",@progbits,_ZN7rocprim17ROCPRIM_400000_NS6detail17trampoline_kernelINS0_14default_configENS1_25partition_config_selectorILNS1_17partition_subalgoE6ExNS0_10empty_typeEbEEZZNS1_14partition_implILS5_6ELb0ES3_mN6thrust23THRUST_200600_302600_NS6detail15normal_iteratorINSA_10device_ptrIxEEEEPS6_SG_NS0_5tupleIJNSA_16discard_iteratorINSA_11use_defaultEEES6_EEENSH_IJSG_SG_EEES6_PlJNSB_9not_fun_tI7is_trueIxEEEEEE10hipError_tPvRmT3_T4_T5_T6_T7_T9_mT8_P12ihipStream_tbDpT10_ENKUlT_T0_E_clISt17integral_constantIbLb1EES1B_EEDaS16_S17_EUlS16_E_NS1_11comp_targetILNS1_3genE9ELNS1_11target_archE1100ELNS1_3gpuE3ELNS1_3repE0EEENS1_30default_config_static_selectorELNS0_4arch9wavefront6targetE0EEEvT1_,comdat
	.protected	_ZN7rocprim17ROCPRIM_400000_NS6detail17trampoline_kernelINS0_14default_configENS1_25partition_config_selectorILNS1_17partition_subalgoE6ExNS0_10empty_typeEbEEZZNS1_14partition_implILS5_6ELb0ES3_mN6thrust23THRUST_200600_302600_NS6detail15normal_iteratorINSA_10device_ptrIxEEEEPS6_SG_NS0_5tupleIJNSA_16discard_iteratorINSA_11use_defaultEEES6_EEENSH_IJSG_SG_EEES6_PlJNSB_9not_fun_tI7is_trueIxEEEEEE10hipError_tPvRmT3_T4_T5_T6_T7_T9_mT8_P12ihipStream_tbDpT10_ENKUlT_T0_E_clISt17integral_constantIbLb1EES1B_EEDaS16_S17_EUlS16_E_NS1_11comp_targetILNS1_3genE9ELNS1_11target_archE1100ELNS1_3gpuE3ELNS1_3repE0EEENS1_30default_config_static_selectorELNS0_4arch9wavefront6targetE0EEEvT1_ ; -- Begin function _ZN7rocprim17ROCPRIM_400000_NS6detail17trampoline_kernelINS0_14default_configENS1_25partition_config_selectorILNS1_17partition_subalgoE6ExNS0_10empty_typeEbEEZZNS1_14partition_implILS5_6ELb0ES3_mN6thrust23THRUST_200600_302600_NS6detail15normal_iteratorINSA_10device_ptrIxEEEEPS6_SG_NS0_5tupleIJNSA_16discard_iteratorINSA_11use_defaultEEES6_EEENSH_IJSG_SG_EEES6_PlJNSB_9not_fun_tI7is_trueIxEEEEEE10hipError_tPvRmT3_T4_T5_T6_T7_T9_mT8_P12ihipStream_tbDpT10_ENKUlT_T0_E_clISt17integral_constantIbLb1EES1B_EEDaS16_S17_EUlS16_E_NS1_11comp_targetILNS1_3genE9ELNS1_11target_archE1100ELNS1_3gpuE3ELNS1_3repE0EEENS1_30default_config_static_selectorELNS0_4arch9wavefront6targetE0EEEvT1_
	.globl	_ZN7rocprim17ROCPRIM_400000_NS6detail17trampoline_kernelINS0_14default_configENS1_25partition_config_selectorILNS1_17partition_subalgoE6ExNS0_10empty_typeEbEEZZNS1_14partition_implILS5_6ELb0ES3_mN6thrust23THRUST_200600_302600_NS6detail15normal_iteratorINSA_10device_ptrIxEEEEPS6_SG_NS0_5tupleIJNSA_16discard_iteratorINSA_11use_defaultEEES6_EEENSH_IJSG_SG_EEES6_PlJNSB_9not_fun_tI7is_trueIxEEEEEE10hipError_tPvRmT3_T4_T5_T6_T7_T9_mT8_P12ihipStream_tbDpT10_ENKUlT_T0_E_clISt17integral_constantIbLb1EES1B_EEDaS16_S17_EUlS16_E_NS1_11comp_targetILNS1_3genE9ELNS1_11target_archE1100ELNS1_3gpuE3ELNS1_3repE0EEENS1_30default_config_static_selectorELNS0_4arch9wavefront6targetE0EEEvT1_
	.p2align	8
	.type	_ZN7rocprim17ROCPRIM_400000_NS6detail17trampoline_kernelINS0_14default_configENS1_25partition_config_selectorILNS1_17partition_subalgoE6ExNS0_10empty_typeEbEEZZNS1_14partition_implILS5_6ELb0ES3_mN6thrust23THRUST_200600_302600_NS6detail15normal_iteratorINSA_10device_ptrIxEEEEPS6_SG_NS0_5tupleIJNSA_16discard_iteratorINSA_11use_defaultEEES6_EEENSH_IJSG_SG_EEES6_PlJNSB_9not_fun_tI7is_trueIxEEEEEE10hipError_tPvRmT3_T4_T5_T6_T7_T9_mT8_P12ihipStream_tbDpT10_ENKUlT_T0_E_clISt17integral_constantIbLb1EES1B_EEDaS16_S17_EUlS16_E_NS1_11comp_targetILNS1_3genE9ELNS1_11target_archE1100ELNS1_3gpuE3ELNS1_3repE0EEENS1_30default_config_static_selectorELNS0_4arch9wavefront6targetE0EEEvT1_,@function
_ZN7rocprim17ROCPRIM_400000_NS6detail17trampoline_kernelINS0_14default_configENS1_25partition_config_selectorILNS1_17partition_subalgoE6ExNS0_10empty_typeEbEEZZNS1_14partition_implILS5_6ELb0ES3_mN6thrust23THRUST_200600_302600_NS6detail15normal_iteratorINSA_10device_ptrIxEEEEPS6_SG_NS0_5tupleIJNSA_16discard_iteratorINSA_11use_defaultEEES6_EEENSH_IJSG_SG_EEES6_PlJNSB_9not_fun_tI7is_trueIxEEEEEE10hipError_tPvRmT3_T4_T5_T6_T7_T9_mT8_P12ihipStream_tbDpT10_ENKUlT_T0_E_clISt17integral_constantIbLb1EES1B_EEDaS16_S17_EUlS16_E_NS1_11comp_targetILNS1_3genE9ELNS1_11target_archE1100ELNS1_3gpuE3ELNS1_3repE0EEENS1_30default_config_static_selectorELNS0_4arch9wavefront6targetE0EEEvT1_: ; @_ZN7rocprim17ROCPRIM_400000_NS6detail17trampoline_kernelINS0_14default_configENS1_25partition_config_selectorILNS1_17partition_subalgoE6ExNS0_10empty_typeEbEEZZNS1_14partition_implILS5_6ELb0ES3_mN6thrust23THRUST_200600_302600_NS6detail15normal_iteratorINSA_10device_ptrIxEEEEPS6_SG_NS0_5tupleIJNSA_16discard_iteratorINSA_11use_defaultEEES6_EEENSH_IJSG_SG_EEES6_PlJNSB_9not_fun_tI7is_trueIxEEEEEE10hipError_tPvRmT3_T4_T5_T6_T7_T9_mT8_P12ihipStream_tbDpT10_ENKUlT_T0_E_clISt17integral_constantIbLb1EES1B_EEDaS16_S17_EUlS16_E_NS1_11comp_targetILNS1_3genE9ELNS1_11target_archE1100ELNS1_3gpuE3ELNS1_3repE0EEENS1_30default_config_static_selectorELNS0_4arch9wavefront6targetE0EEEvT1_
; %bb.0:
	.section	.rodata,"a",@progbits
	.p2align	6, 0x0
	.amdhsa_kernel _ZN7rocprim17ROCPRIM_400000_NS6detail17trampoline_kernelINS0_14default_configENS1_25partition_config_selectorILNS1_17partition_subalgoE6ExNS0_10empty_typeEbEEZZNS1_14partition_implILS5_6ELb0ES3_mN6thrust23THRUST_200600_302600_NS6detail15normal_iteratorINSA_10device_ptrIxEEEEPS6_SG_NS0_5tupleIJNSA_16discard_iteratorINSA_11use_defaultEEES6_EEENSH_IJSG_SG_EEES6_PlJNSB_9not_fun_tI7is_trueIxEEEEEE10hipError_tPvRmT3_T4_T5_T6_T7_T9_mT8_P12ihipStream_tbDpT10_ENKUlT_T0_E_clISt17integral_constantIbLb1EES1B_EEDaS16_S17_EUlS16_E_NS1_11comp_targetILNS1_3genE9ELNS1_11target_archE1100ELNS1_3gpuE3ELNS1_3repE0EEENS1_30default_config_static_selectorELNS0_4arch9wavefront6targetE0EEEvT1_
		.amdhsa_group_segment_fixed_size 0
		.amdhsa_private_segment_fixed_size 0
		.amdhsa_kernarg_size 136
		.amdhsa_user_sgpr_count 2
		.amdhsa_user_sgpr_dispatch_ptr 0
		.amdhsa_user_sgpr_queue_ptr 0
		.amdhsa_user_sgpr_kernarg_segment_ptr 1
		.amdhsa_user_sgpr_dispatch_id 0
		.amdhsa_user_sgpr_private_segment_size 0
		.amdhsa_wavefront_size32 1
		.amdhsa_uses_dynamic_stack 0
		.amdhsa_enable_private_segment 0
		.amdhsa_system_sgpr_workgroup_id_x 1
		.amdhsa_system_sgpr_workgroup_id_y 0
		.amdhsa_system_sgpr_workgroup_id_z 0
		.amdhsa_system_sgpr_workgroup_info 0
		.amdhsa_system_vgpr_workitem_id 0
		.amdhsa_next_free_vgpr 1
		.amdhsa_next_free_sgpr 1
		.amdhsa_reserve_vcc 0
		.amdhsa_float_round_mode_32 0
		.amdhsa_float_round_mode_16_64 0
		.amdhsa_float_denorm_mode_32 3
		.amdhsa_float_denorm_mode_16_64 3
		.amdhsa_fp16_overflow 0
		.amdhsa_workgroup_processor_mode 1
		.amdhsa_memory_ordered 1
		.amdhsa_forward_progress 1
		.amdhsa_inst_pref_size 0
		.amdhsa_round_robin_scheduling 0
		.amdhsa_exception_fp_ieee_invalid_op 0
		.amdhsa_exception_fp_denorm_src 0
		.amdhsa_exception_fp_ieee_div_zero 0
		.amdhsa_exception_fp_ieee_overflow 0
		.amdhsa_exception_fp_ieee_underflow 0
		.amdhsa_exception_fp_ieee_inexact 0
		.amdhsa_exception_int_div_zero 0
	.end_amdhsa_kernel
	.section	.text._ZN7rocprim17ROCPRIM_400000_NS6detail17trampoline_kernelINS0_14default_configENS1_25partition_config_selectorILNS1_17partition_subalgoE6ExNS0_10empty_typeEbEEZZNS1_14partition_implILS5_6ELb0ES3_mN6thrust23THRUST_200600_302600_NS6detail15normal_iteratorINSA_10device_ptrIxEEEEPS6_SG_NS0_5tupleIJNSA_16discard_iteratorINSA_11use_defaultEEES6_EEENSH_IJSG_SG_EEES6_PlJNSB_9not_fun_tI7is_trueIxEEEEEE10hipError_tPvRmT3_T4_T5_T6_T7_T9_mT8_P12ihipStream_tbDpT10_ENKUlT_T0_E_clISt17integral_constantIbLb1EES1B_EEDaS16_S17_EUlS16_E_NS1_11comp_targetILNS1_3genE9ELNS1_11target_archE1100ELNS1_3gpuE3ELNS1_3repE0EEENS1_30default_config_static_selectorELNS0_4arch9wavefront6targetE0EEEvT1_,"axG",@progbits,_ZN7rocprim17ROCPRIM_400000_NS6detail17trampoline_kernelINS0_14default_configENS1_25partition_config_selectorILNS1_17partition_subalgoE6ExNS0_10empty_typeEbEEZZNS1_14partition_implILS5_6ELb0ES3_mN6thrust23THRUST_200600_302600_NS6detail15normal_iteratorINSA_10device_ptrIxEEEEPS6_SG_NS0_5tupleIJNSA_16discard_iteratorINSA_11use_defaultEEES6_EEENSH_IJSG_SG_EEES6_PlJNSB_9not_fun_tI7is_trueIxEEEEEE10hipError_tPvRmT3_T4_T5_T6_T7_T9_mT8_P12ihipStream_tbDpT10_ENKUlT_T0_E_clISt17integral_constantIbLb1EES1B_EEDaS16_S17_EUlS16_E_NS1_11comp_targetILNS1_3genE9ELNS1_11target_archE1100ELNS1_3gpuE3ELNS1_3repE0EEENS1_30default_config_static_selectorELNS0_4arch9wavefront6targetE0EEEvT1_,comdat
.Lfunc_end2251:
	.size	_ZN7rocprim17ROCPRIM_400000_NS6detail17trampoline_kernelINS0_14default_configENS1_25partition_config_selectorILNS1_17partition_subalgoE6ExNS0_10empty_typeEbEEZZNS1_14partition_implILS5_6ELb0ES3_mN6thrust23THRUST_200600_302600_NS6detail15normal_iteratorINSA_10device_ptrIxEEEEPS6_SG_NS0_5tupleIJNSA_16discard_iteratorINSA_11use_defaultEEES6_EEENSH_IJSG_SG_EEES6_PlJNSB_9not_fun_tI7is_trueIxEEEEEE10hipError_tPvRmT3_T4_T5_T6_T7_T9_mT8_P12ihipStream_tbDpT10_ENKUlT_T0_E_clISt17integral_constantIbLb1EES1B_EEDaS16_S17_EUlS16_E_NS1_11comp_targetILNS1_3genE9ELNS1_11target_archE1100ELNS1_3gpuE3ELNS1_3repE0EEENS1_30default_config_static_selectorELNS0_4arch9wavefront6targetE0EEEvT1_, .Lfunc_end2251-_ZN7rocprim17ROCPRIM_400000_NS6detail17trampoline_kernelINS0_14default_configENS1_25partition_config_selectorILNS1_17partition_subalgoE6ExNS0_10empty_typeEbEEZZNS1_14partition_implILS5_6ELb0ES3_mN6thrust23THRUST_200600_302600_NS6detail15normal_iteratorINSA_10device_ptrIxEEEEPS6_SG_NS0_5tupleIJNSA_16discard_iteratorINSA_11use_defaultEEES6_EEENSH_IJSG_SG_EEES6_PlJNSB_9not_fun_tI7is_trueIxEEEEEE10hipError_tPvRmT3_T4_T5_T6_T7_T9_mT8_P12ihipStream_tbDpT10_ENKUlT_T0_E_clISt17integral_constantIbLb1EES1B_EEDaS16_S17_EUlS16_E_NS1_11comp_targetILNS1_3genE9ELNS1_11target_archE1100ELNS1_3gpuE3ELNS1_3repE0EEENS1_30default_config_static_selectorELNS0_4arch9wavefront6targetE0EEEvT1_
                                        ; -- End function
	.set _ZN7rocprim17ROCPRIM_400000_NS6detail17trampoline_kernelINS0_14default_configENS1_25partition_config_selectorILNS1_17partition_subalgoE6ExNS0_10empty_typeEbEEZZNS1_14partition_implILS5_6ELb0ES3_mN6thrust23THRUST_200600_302600_NS6detail15normal_iteratorINSA_10device_ptrIxEEEEPS6_SG_NS0_5tupleIJNSA_16discard_iteratorINSA_11use_defaultEEES6_EEENSH_IJSG_SG_EEES6_PlJNSB_9not_fun_tI7is_trueIxEEEEEE10hipError_tPvRmT3_T4_T5_T6_T7_T9_mT8_P12ihipStream_tbDpT10_ENKUlT_T0_E_clISt17integral_constantIbLb1EES1B_EEDaS16_S17_EUlS16_E_NS1_11comp_targetILNS1_3genE9ELNS1_11target_archE1100ELNS1_3gpuE3ELNS1_3repE0EEENS1_30default_config_static_selectorELNS0_4arch9wavefront6targetE0EEEvT1_.num_vgpr, 0
	.set _ZN7rocprim17ROCPRIM_400000_NS6detail17trampoline_kernelINS0_14default_configENS1_25partition_config_selectorILNS1_17partition_subalgoE6ExNS0_10empty_typeEbEEZZNS1_14partition_implILS5_6ELb0ES3_mN6thrust23THRUST_200600_302600_NS6detail15normal_iteratorINSA_10device_ptrIxEEEEPS6_SG_NS0_5tupleIJNSA_16discard_iteratorINSA_11use_defaultEEES6_EEENSH_IJSG_SG_EEES6_PlJNSB_9not_fun_tI7is_trueIxEEEEEE10hipError_tPvRmT3_T4_T5_T6_T7_T9_mT8_P12ihipStream_tbDpT10_ENKUlT_T0_E_clISt17integral_constantIbLb1EES1B_EEDaS16_S17_EUlS16_E_NS1_11comp_targetILNS1_3genE9ELNS1_11target_archE1100ELNS1_3gpuE3ELNS1_3repE0EEENS1_30default_config_static_selectorELNS0_4arch9wavefront6targetE0EEEvT1_.num_agpr, 0
	.set _ZN7rocprim17ROCPRIM_400000_NS6detail17trampoline_kernelINS0_14default_configENS1_25partition_config_selectorILNS1_17partition_subalgoE6ExNS0_10empty_typeEbEEZZNS1_14partition_implILS5_6ELb0ES3_mN6thrust23THRUST_200600_302600_NS6detail15normal_iteratorINSA_10device_ptrIxEEEEPS6_SG_NS0_5tupleIJNSA_16discard_iteratorINSA_11use_defaultEEES6_EEENSH_IJSG_SG_EEES6_PlJNSB_9not_fun_tI7is_trueIxEEEEEE10hipError_tPvRmT3_T4_T5_T6_T7_T9_mT8_P12ihipStream_tbDpT10_ENKUlT_T0_E_clISt17integral_constantIbLb1EES1B_EEDaS16_S17_EUlS16_E_NS1_11comp_targetILNS1_3genE9ELNS1_11target_archE1100ELNS1_3gpuE3ELNS1_3repE0EEENS1_30default_config_static_selectorELNS0_4arch9wavefront6targetE0EEEvT1_.numbered_sgpr, 0
	.set _ZN7rocprim17ROCPRIM_400000_NS6detail17trampoline_kernelINS0_14default_configENS1_25partition_config_selectorILNS1_17partition_subalgoE6ExNS0_10empty_typeEbEEZZNS1_14partition_implILS5_6ELb0ES3_mN6thrust23THRUST_200600_302600_NS6detail15normal_iteratorINSA_10device_ptrIxEEEEPS6_SG_NS0_5tupleIJNSA_16discard_iteratorINSA_11use_defaultEEES6_EEENSH_IJSG_SG_EEES6_PlJNSB_9not_fun_tI7is_trueIxEEEEEE10hipError_tPvRmT3_T4_T5_T6_T7_T9_mT8_P12ihipStream_tbDpT10_ENKUlT_T0_E_clISt17integral_constantIbLb1EES1B_EEDaS16_S17_EUlS16_E_NS1_11comp_targetILNS1_3genE9ELNS1_11target_archE1100ELNS1_3gpuE3ELNS1_3repE0EEENS1_30default_config_static_selectorELNS0_4arch9wavefront6targetE0EEEvT1_.num_named_barrier, 0
	.set _ZN7rocprim17ROCPRIM_400000_NS6detail17trampoline_kernelINS0_14default_configENS1_25partition_config_selectorILNS1_17partition_subalgoE6ExNS0_10empty_typeEbEEZZNS1_14partition_implILS5_6ELb0ES3_mN6thrust23THRUST_200600_302600_NS6detail15normal_iteratorINSA_10device_ptrIxEEEEPS6_SG_NS0_5tupleIJNSA_16discard_iteratorINSA_11use_defaultEEES6_EEENSH_IJSG_SG_EEES6_PlJNSB_9not_fun_tI7is_trueIxEEEEEE10hipError_tPvRmT3_T4_T5_T6_T7_T9_mT8_P12ihipStream_tbDpT10_ENKUlT_T0_E_clISt17integral_constantIbLb1EES1B_EEDaS16_S17_EUlS16_E_NS1_11comp_targetILNS1_3genE9ELNS1_11target_archE1100ELNS1_3gpuE3ELNS1_3repE0EEENS1_30default_config_static_selectorELNS0_4arch9wavefront6targetE0EEEvT1_.private_seg_size, 0
	.set _ZN7rocprim17ROCPRIM_400000_NS6detail17trampoline_kernelINS0_14default_configENS1_25partition_config_selectorILNS1_17partition_subalgoE6ExNS0_10empty_typeEbEEZZNS1_14partition_implILS5_6ELb0ES3_mN6thrust23THRUST_200600_302600_NS6detail15normal_iteratorINSA_10device_ptrIxEEEEPS6_SG_NS0_5tupleIJNSA_16discard_iteratorINSA_11use_defaultEEES6_EEENSH_IJSG_SG_EEES6_PlJNSB_9not_fun_tI7is_trueIxEEEEEE10hipError_tPvRmT3_T4_T5_T6_T7_T9_mT8_P12ihipStream_tbDpT10_ENKUlT_T0_E_clISt17integral_constantIbLb1EES1B_EEDaS16_S17_EUlS16_E_NS1_11comp_targetILNS1_3genE9ELNS1_11target_archE1100ELNS1_3gpuE3ELNS1_3repE0EEENS1_30default_config_static_selectorELNS0_4arch9wavefront6targetE0EEEvT1_.uses_vcc, 0
	.set _ZN7rocprim17ROCPRIM_400000_NS6detail17trampoline_kernelINS0_14default_configENS1_25partition_config_selectorILNS1_17partition_subalgoE6ExNS0_10empty_typeEbEEZZNS1_14partition_implILS5_6ELb0ES3_mN6thrust23THRUST_200600_302600_NS6detail15normal_iteratorINSA_10device_ptrIxEEEEPS6_SG_NS0_5tupleIJNSA_16discard_iteratorINSA_11use_defaultEEES6_EEENSH_IJSG_SG_EEES6_PlJNSB_9not_fun_tI7is_trueIxEEEEEE10hipError_tPvRmT3_T4_T5_T6_T7_T9_mT8_P12ihipStream_tbDpT10_ENKUlT_T0_E_clISt17integral_constantIbLb1EES1B_EEDaS16_S17_EUlS16_E_NS1_11comp_targetILNS1_3genE9ELNS1_11target_archE1100ELNS1_3gpuE3ELNS1_3repE0EEENS1_30default_config_static_selectorELNS0_4arch9wavefront6targetE0EEEvT1_.uses_flat_scratch, 0
	.set _ZN7rocprim17ROCPRIM_400000_NS6detail17trampoline_kernelINS0_14default_configENS1_25partition_config_selectorILNS1_17partition_subalgoE6ExNS0_10empty_typeEbEEZZNS1_14partition_implILS5_6ELb0ES3_mN6thrust23THRUST_200600_302600_NS6detail15normal_iteratorINSA_10device_ptrIxEEEEPS6_SG_NS0_5tupleIJNSA_16discard_iteratorINSA_11use_defaultEEES6_EEENSH_IJSG_SG_EEES6_PlJNSB_9not_fun_tI7is_trueIxEEEEEE10hipError_tPvRmT3_T4_T5_T6_T7_T9_mT8_P12ihipStream_tbDpT10_ENKUlT_T0_E_clISt17integral_constantIbLb1EES1B_EEDaS16_S17_EUlS16_E_NS1_11comp_targetILNS1_3genE9ELNS1_11target_archE1100ELNS1_3gpuE3ELNS1_3repE0EEENS1_30default_config_static_selectorELNS0_4arch9wavefront6targetE0EEEvT1_.has_dyn_sized_stack, 0
	.set _ZN7rocprim17ROCPRIM_400000_NS6detail17trampoline_kernelINS0_14default_configENS1_25partition_config_selectorILNS1_17partition_subalgoE6ExNS0_10empty_typeEbEEZZNS1_14partition_implILS5_6ELb0ES3_mN6thrust23THRUST_200600_302600_NS6detail15normal_iteratorINSA_10device_ptrIxEEEEPS6_SG_NS0_5tupleIJNSA_16discard_iteratorINSA_11use_defaultEEES6_EEENSH_IJSG_SG_EEES6_PlJNSB_9not_fun_tI7is_trueIxEEEEEE10hipError_tPvRmT3_T4_T5_T6_T7_T9_mT8_P12ihipStream_tbDpT10_ENKUlT_T0_E_clISt17integral_constantIbLb1EES1B_EEDaS16_S17_EUlS16_E_NS1_11comp_targetILNS1_3genE9ELNS1_11target_archE1100ELNS1_3gpuE3ELNS1_3repE0EEENS1_30default_config_static_selectorELNS0_4arch9wavefront6targetE0EEEvT1_.has_recursion, 0
	.set _ZN7rocprim17ROCPRIM_400000_NS6detail17trampoline_kernelINS0_14default_configENS1_25partition_config_selectorILNS1_17partition_subalgoE6ExNS0_10empty_typeEbEEZZNS1_14partition_implILS5_6ELb0ES3_mN6thrust23THRUST_200600_302600_NS6detail15normal_iteratorINSA_10device_ptrIxEEEEPS6_SG_NS0_5tupleIJNSA_16discard_iteratorINSA_11use_defaultEEES6_EEENSH_IJSG_SG_EEES6_PlJNSB_9not_fun_tI7is_trueIxEEEEEE10hipError_tPvRmT3_T4_T5_T6_T7_T9_mT8_P12ihipStream_tbDpT10_ENKUlT_T0_E_clISt17integral_constantIbLb1EES1B_EEDaS16_S17_EUlS16_E_NS1_11comp_targetILNS1_3genE9ELNS1_11target_archE1100ELNS1_3gpuE3ELNS1_3repE0EEENS1_30default_config_static_selectorELNS0_4arch9wavefront6targetE0EEEvT1_.has_indirect_call, 0
	.section	.AMDGPU.csdata,"",@progbits
; Kernel info:
; codeLenInByte = 0
; TotalNumSgprs: 0
; NumVgprs: 0
; ScratchSize: 0
; MemoryBound: 0
; FloatMode: 240
; IeeeMode: 1
; LDSByteSize: 0 bytes/workgroup (compile time only)
; SGPRBlocks: 0
; VGPRBlocks: 0
; NumSGPRsForWavesPerEU: 1
; NumVGPRsForWavesPerEU: 1
; Occupancy: 16
; WaveLimiterHint : 0
; COMPUTE_PGM_RSRC2:SCRATCH_EN: 0
; COMPUTE_PGM_RSRC2:USER_SGPR: 2
; COMPUTE_PGM_RSRC2:TRAP_HANDLER: 0
; COMPUTE_PGM_RSRC2:TGID_X_EN: 1
; COMPUTE_PGM_RSRC2:TGID_Y_EN: 0
; COMPUTE_PGM_RSRC2:TGID_Z_EN: 0
; COMPUTE_PGM_RSRC2:TIDIG_COMP_CNT: 0
	.section	.text._ZN7rocprim17ROCPRIM_400000_NS6detail17trampoline_kernelINS0_14default_configENS1_25partition_config_selectorILNS1_17partition_subalgoE6ExNS0_10empty_typeEbEEZZNS1_14partition_implILS5_6ELb0ES3_mN6thrust23THRUST_200600_302600_NS6detail15normal_iteratorINSA_10device_ptrIxEEEEPS6_SG_NS0_5tupleIJNSA_16discard_iteratorINSA_11use_defaultEEES6_EEENSH_IJSG_SG_EEES6_PlJNSB_9not_fun_tI7is_trueIxEEEEEE10hipError_tPvRmT3_T4_T5_T6_T7_T9_mT8_P12ihipStream_tbDpT10_ENKUlT_T0_E_clISt17integral_constantIbLb1EES1B_EEDaS16_S17_EUlS16_E_NS1_11comp_targetILNS1_3genE8ELNS1_11target_archE1030ELNS1_3gpuE2ELNS1_3repE0EEENS1_30default_config_static_selectorELNS0_4arch9wavefront6targetE0EEEvT1_,"axG",@progbits,_ZN7rocprim17ROCPRIM_400000_NS6detail17trampoline_kernelINS0_14default_configENS1_25partition_config_selectorILNS1_17partition_subalgoE6ExNS0_10empty_typeEbEEZZNS1_14partition_implILS5_6ELb0ES3_mN6thrust23THRUST_200600_302600_NS6detail15normal_iteratorINSA_10device_ptrIxEEEEPS6_SG_NS0_5tupleIJNSA_16discard_iteratorINSA_11use_defaultEEES6_EEENSH_IJSG_SG_EEES6_PlJNSB_9not_fun_tI7is_trueIxEEEEEE10hipError_tPvRmT3_T4_T5_T6_T7_T9_mT8_P12ihipStream_tbDpT10_ENKUlT_T0_E_clISt17integral_constantIbLb1EES1B_EEDaS16_S17_EUlS16_E_NS1_11comp_targetILNS1_3genE8ELNS1_11target_archE1030ELNS1_3gpuE2ELNS1_3repE0EEENS1_30default_config_static_selectorELNS0_4arch9wavefront6targetE0EEEvT1_,comdat
	.protected	_ZN7rocprim17ROCPRIM_400000_NS6detail17trampoline_kernelINS0_14default_configENS1_25partition_config_selectorILNS1_17partition_subalgoE6ExNS0_10empty_typeEbEEZZNS1_14partition_implILS5_6ELb0ES3_mN6thrust23THRUST_200600_302600_NS6detail15normal_iteratorINSA_10device_ptrIxEEEEPS6_SG_NS0_5tupleIJNSA_16discard_iteratorINSA_11use_defaultEEES6_EEENSH_IJSG_SG_EEES6_PlJNSB_9not_fun_tI7is_trueIxEEEEEE10hipError_tPvRmT3_T4_T5_T6_T7_T9_mT8_P12ihipStream_tbDpT10_ENKUlT_T0_E_clISt17integral_constantIbLb1EES1B_EEDaS16_S17_EUlS16_E_NS1_11comp_targetILNS1_3genE8ELNS1_11target_archE1030ELNS1_3gpuE2ELNS1_3repE0EEENS1_30default_config_static_selectorELNS0_4arch9wavefront6targetE0EEEvT1_ ; -- Begin function _ZN7rocprim17ROCPRIM_400000_NS6detail17trampoline_kernelINS0_14default_configENS1_25partition_config_selectorILNS1_17partition_subalgoE6ExNS0_10empty_typeEbEEZZNS1_14partition_implILS5_6ELb0ES3_mN6thrust23THRUST_200600_302600_NS6detail15normal_iteratorINSA_10device_ptrIxEEEEPS6_SG_NS0_5tupleIJNSA_16discard_iteratorINSA_11use_defaultEEES6_EEENSH_IJSG_SG_EEES6_PlJNSB_9not_fun_tI7is_trueIxEEEEEE10hipError_tPvRmT3_T4_T5_T6_T7_T9_mT8_P12ihipStream_tbDpT10_ENKUlT_T0_E_clISt17integral_constantIbLb1EES1B_EEDaS16_S17_EUlS16_E_NS1_11comp_targetILNS1_3genE8ELNS1_11target_archE1030ELNS1_3gpuE2ELNS1_3repE0EEENS1_30default_config_static_selectorELNS0_4arch9wavefront6targetE0EEEvT1_
	.globl	_ZN7rocprim17ROCPRIM_400000_NS6detail17trampoline_kernelINS0_14default_configENS1_25partition_config_selectorILNS1_17partition_subalgoE6ExNS0_10empty_typeEbEEZZNS1_14partition_implILS5_6ELb0ES3_mN6thrust23THRUST_200600_302600_NS6detail15normal_iteratorINSA_10device_ptrIxEEEEPS6_SG_NS0_5tupleIJNSA_16discard_iteratorINSA_11use_defaultEEES6_EEENSH_IJSG_SG_EEES6_PlJNSB_9not_fun_tI7is_trueIxEEEEEE10hipError_tPvRmT3_T4_T5_T6_T7_T9_mT8_P12ihipStream_tbDpT10_ENKUlT_T0_E_clISt17integral_constantIbLb1EES1B_EEDaS16_S17_EUlS16_E_NS1_11comp_targetILNS1_3genE8ELNS1_11target_archE1030ELNS1_3gpuE2ELNS1_3repE0EEENS1_30default_config_static_selectorELNS0_4arch9wavefront6targetE0EEEvT1_
	.p2align	8
	.type	_ZN7rocprim17ROCPRIM_400000_NS6detail17trampoline_kernelINS0_14default_configENS1_25partition_config_selectorILNS1_17partition_subalgoE6ExNS0_10empty_typeEbEEZZNS1_14partition_implILS5_6ELb0ES3_mN6thrust23THRUST_200600_302600_NS6detail15normal_iteratorINSA_10device_ptrIxEEEEPS6_SG_NS0_5tupleIJNSA_16discard_iteratorINSA_11use_defaultEEES6_EEENSH_IJSG_SG_EEES6_PlJNSB_9not_fun_tI7is_trueIxEEEEEE10hipError_tPvRmT3_T4_T5_T6_T7_T9_mT8_P12ihipStream_tbDpT10_ENKUlT_T0_E_clISt17integral_constantIbLb1EES1B_EEDaS16_S17_EUlS16_E_NS1_11comp_targetILNS1_3genE8ELNS1_11target_archE1030ELNS1_3gpuE2ELNS1_3repE0EEENS1_30default_config_static_selectorELNS0_4arch9wavefront6targetE0EEEvT1_,@function
_ZN7rocprim17ROCPRIM_400000_NS6detail17trampoline_kernelINS0_14default_configENS1_25partition_config_selectorILNS1_17partition_subalgoE6ExNS0_10empty_typeEbEEZZNS1_14partition_implILS5_6ELb0ES3_mN6thrust23THRUST_200600_302600_NS6detail15normal_iteratorINSA_10device_ptrIxEEEEPS6_SG_NS0_5tupleIJNSA_16discard_iteratorINSA_11use_defaultEEES6_EEENSH_IJSG_SG_EEES6_PlJNSB_9not_fun_tI7is_trueIxEEEEEE10hipError_tPvRmT3_T4_T5_T6_T7_T9_mT8_P12ihipStream_tbDpT10_ENKUlT_T0_E_clISt17integral_constantIbLb1EES1B_EEDaS16_S17_EUlS16_E_NS1_11comp_targetILNS1_3genE8ELNS1_11target_archE1030ELNS1_3gpuE2ELNS1_3repE0EEENS1_30default_config_static_selectorELNS0_4arch9wavefront6targetE0EEEvT1_: ; @_ZN7rocprim17ROCPRIM_400000_NS6detail17trampoline_kernelINS0_14default_configENS1_25partition_config_selectorILNS1_17partition_subalgoE6ExNS0_10empty_typeEbEEZZNS1_14partition_implILS5_6ELb0ES3_mN6thrust23THRUST_200600_302600_NS6detail15normal_iteratorINSA_10device_ptrIxEEEEPS6_SG_NS0_5tupleIJNSA_16discard_iteratorINSA_11use_defaultEEES6_EEENSH_IJSG_SG_EEES6_PlJNSB_9not_fun_tI7is_trueIxEEEEEE10hipError_tPvRmT3_T4_T5_T6_T7_T9_mT8_P12ihipStream_tbDpT10_ENKUlT_T0_E_clISt17integral_constantIbLb1EES1B_EEDaS16_S17_EUlS16_E_NS1_11comp_targetILNS1_3genE8ELNS1_11target_archE1030ELNS1_3gpuE2ELNS1_3repE0EEENS1_30default_config_static_selectorELNS0_4arch9wavefront6targetE0EEEvT1_
; %bb.0:
	.section	.rodata,"a",@progbits
	.p2align	6, 0x0
	.amdhsa_kernel _ZN7rocprim17ROCPRIM_400000_NS6detail17trampoline_kernelINS0_14default_configENS1_25partition_config_selectorILNS1_17partition_subalgoE6ExNS0_10empty_typeEbEEZZNS1_14partition_implILS5_6ELb0ES3_mN6thrust23THRUST_200600_302600_NS6detail15normal_iteratorINSA_10device_ptrIxEEEEPS6_SG_NS0_5tupleIJNSA_16discard_iteratorINSA_11use_defaultEEES6_EEENSH_IJSG_SG_EEES6_PlJNSB_9not_fun_tI7is_trueIxEEEEEE10hipError_tPvRmT3_T4_T5_T6_T7_T9_mT8_P12ihipStream_tbDpT10_ENKUlT_T0_E_clISt17integral_constantIbLb1EES1B_EEDaS16_S17_EUlS16_E_NS1_11comp_targetILNS1_3genE8ELNS1_11target_archE1030ELNS1_3gpuE2ELNS1_3repE0EEENS1_30default_config_static_selectorELNS0_4arch9wavefront6targetE0EEEvT1_
		.amdhsa_group_segment_fixed_size 0
		.amdhsa_private_segment_fixed_size 0
		.amdhsa_kernarg_size 136
		.amdhsa_user_sgpr_count 2
		.amdhsa_user_sgpr_dispatch_ptr 0
		.amdhsa_user_sgpr_queue_ptr 0
		.amdhsa_user_sgpr_kernarg_segment_ptr 1
		.amdhsa_user_sgpr_dispatch_id 0
		.amdhsa_user_sgpr_private_segment_size 0
		.amdhsa_wavefront_size32 1
		.amdhsa_uses_dynamic_stack 0
		.amdhsa_enable_private_segment 0
		.amdhsa_system_sgpr_workgroup_id_x 1
		.amdhsa_system_sgpr_workgroup_id_y 0
		.amdhsa_system_sgpr_workgroup_id_z 0
		.amdhsa_system_sgpr_workgroup_info 0
		.amdhsa_system_vgpr_workitem_id 0
		.amdhsa_next_free_vgpr 1
		.amdhsa_next_free_sgpr 1
		.amdhsa_reserve_vcc 0
		.amdhsa_float_round_mode_32 0
		.amdhsa_float_round_mode_16_64 0
		.amdhsa_float_denorm_mode_32 3
		.amdhsa_float_denorm_mode_16_64 3
		.amdhsa_fp16_overflow 0
		.amdhsa_workgroup_processor_mode 1
		.amdhsa_memory_ordered 1
		.amdhsa_forward_progress 1
		.amdhsa_inst_pref_size 0
		.amdhsa_round_robin_scheduling 0
		.amdhsa_exception_fp_ieee_invalid_op 0
		.amdhsa_exception_fp_denorm_src 0
		.amdhsa_exception_fp_ieee_div_zero 0
		.amdhsa_exception_fp_ieee_overflow 0
		.amdhsa_exception_fp_ieee_underflow 0
		.amdhsa_exception_fp_ieee_inexact 0
		.amdhsa_exception_int_div_zero 0
	.end_amdhsa_kernel
	.section	.text._ZN7rocprim17ROCPRIM_400000_NS6detail17trampoline_kernelINS0_14default_configENS1_25partition_config_selectorILNS1_17partition_subalgoE6ExNS0_10empty_typeEbEEZZNS1_14partition_implILS5_6ELb0ES3_mN6thrust23THRUST_200600_302600_NS6detail15normal_iteratorINSA_10device_ptrIxEEEEPS6_SG_NS0_5tupleIJNSA_16discard_iteratorINSA_11use_defaultEEES6_EEENSH_IJSG_SG_EEES6_PlJNSB_9not_fun_tI7is_trueIxEEEEEE10hipError_tPvRmT3_T4_T5_T6_T7_T9_mT8_P12ihipStream_tbDpT10_ENKUlT_T0_E_clISt17integral_constantIbLb1EES1B_EEDaS16_S17_EUlS16_E_NS1_11comp_targetILNS1_3genE8ELNS1_11target_archE1030ELNS1_3gpuE2ELNS1_3repE0EEENS1_30default_config_static_selectorELNS0_4arch9wavefront6targetE0EEEvT1_,"axG",@progbits,_ZN7rocprim17ROCPRIM_400000_NS6detail17trampoline_kernelINS0_14default_configENS1_25partition_config_selectorILNS1_17partition_subalgoE6ExNS0_10empty_typeEbEEZZNS1_14partition_implILS5_6ELb0ES3_mN6thrust23THRUST_200600_302600_NS6detail15normal_iteratorINSA_10device_ptrIxEEEEPS6_SG_NS0_5tupleIJNSA_16discard_iteratorINSA_11use_defaultEEES6_EEENSH_IJSG_SG_EEES6_PlJNSB_9not_fun_tI7is_trueIxEEEEEE10hipError_tPvRmT3_T4_T5_T6_T7_T9_mT8_P12ihipStream_tbDpT10_ENKUlT_T0_E_clISt17integral_constantIbLb1EES1B_EEDaS16_S17_EUlS16_E_NS1_11comp_targetILNS1_3genE8ELNS1_11target_archE1030ELNS1_3gpuE2ELNS1_3repE0EEENS1_30default_config_static_selectorELNS0_4arch9wavefront6targetE0EEEvT1_,comdat
.Lfunc_end2252:
	.size	_ZN7rocprim17ROCPRIM_400000_NS6detail17trampoline_kernelINS0_14default_configENS1_25partition_config_selectorILNS1_17partition_subalgoE6ExNS0_10empty_typeEbEEZZNS1_14partition_implILS5_6ELb0ES3_mN6thrust23THRUST_200600_302600_NS6detail15normal_iteratorINSA_10device_ptrIxEEEEPS6_SG_NS0_5tupleIJNSA_16discard_iteratorINSA_11use_defaultEEES6_EEENSH_IJSG_SG_EEES6_PlJNSB_9not_fun_tI7is_trueIxEEEEEE10hipError_tPvRmT3_T4_T5_T6_T7_T9_mT8_P12ihipStream_tbDpT10_ENKUlT_T0_E_clISt17integral_constantIbLb1EES1B_EEDaS16_S17_EUlS16_E_NS1_11comp_targetILNS1_3genE8ELNS1_11target_archE1030ELNS1_3gpuE2ELNS1_3repE0EEENS1_30default_config_static_selectorELNS0_4arch9wavefront6targetE0EEEvT1_, .Lfunc_end2252-_ZN7rocprim17ROCPRIM_400000_NS6detail17trampoline_kernelINS0_14default_configENS1_25partition_config_selectorILNS1_17partition_subalgoE6ExNS0_10empty_typeEbEEZZNS1_14partition_implILS5_6ELb0ES3_mN6thrust23THRUST_200600_302600_NS6detail15normal_iteratorINSA_10device_ptrIxEEEEPS6_SG_NS0_5tupleIJNSA_16discard_iteratorINSA_11use_defaultEEES6_EEENSH_IJSG_SG_EEES6_PlJNSB_9not_fun_tI7is_trueIxEEEEEE10hipError_tPvRmT3_T4_T5_T6_T7_T9_mT8_P12ihipStream_tbDpT10_ENKUlT_T0_E_clISt17integral_constantIbLb1EES1B_EEDaS16_S17_EUlS16_E_NS1_11comp_targetILNS1_3genE8ELNS1_11target_archE1030ELNS1_3gpuE2ELNS1_3repE0EEENS1_30default_config_static_selectorELNS0_4arch9wavefront6targetE0EEEvT1_
                                        ; -- End function
	.set _ZN7rocprim17ROCPRIM_400000_NS6detail17trampoline_kernelINS0_14default_configENS1_25partition_config_selectorILNS1_17partition_subalgoE6ExNS0_10empty_typeEbEEZZNS1_14partition_implILS5_6ELb0ES3_mN6thrust23THRUST_200600_302600_NS6detail15normal_iteratorINSA_10device_ptrIxEEEEPS6_SG_NS0_5tupleIJNSA_16discard_iteratorINSA_11use_defaultEEES6_EEENSH_IJSG_SG_EEES6_PlJNSB_9not_fun_tI7is_trueIxEEEEEE10hipError_tPvRmT3_T4_T5_T6_T7_T9_mT8_P12ihipStream_tbDpT10_ENKUlT_T0_E_clISt17integral_constantIbLb1EES1B_EEDaS16_S17_EUlS16_E_NS1_11comp_targetILNS1_3genE8ELNS1_11target_archE1030ELNS1_3gpuE2ELNS1_3repE0EEENS1_30default_config_static_selectorELNS0_4arch9wavefront6targetE0EEEvT1_.num_vgpr, 0
	.set _ZN7rocprim17ROCPRIM_400000_NS6detail17trampoline_kernelINS0_14default_configENS1_25partition_config_selectorILNS1_17partition_subalgoE6ExNS0_10empty_typeEbEEZZNS1_14partition_implILS5_6ELb0ES3_mN6thrust23THRUST_200600_302600_NS6detail15normal_iteratorINSA_10device_ptrIxEEEEPS6_SG_NS0_5tupleIJNSA_16discard_iteratorINSA_11use_defaultEEES6_EEENSH_IJSG_SG_EEES6_PlJNSB_9not_fun_tI7is_trueIxEEEEEE10hipError_tPvRmT3_T4_T5_T6_T7_T9_mT8_P12ihipStream_tbDpT10_ENKUlT_T0_E_clISt17integral_constantIbLb1EES1B_EEDaS16_S17_EUlS16_E_NS1_11comp_targetILNS1_3genE8ELNS1_11target_archE1030ELNS1_3gpuE2ELNS1_3repE0EEENS1_30default_config_static_selectorELNS0_4arch9wavefront6targetE0EEEvT1_.num_agpr, 0
	.set _ZN7rocprim17ROCPRIM_400000_NS6detail17trampoline_kernelINS0_14default_configENS1_25partition_config_selectorILNS1_17partition_subalgoE6ExNS0_10empty_typeEbEEZZNS1_14partition_implILS5_6ELb0ES3_mN6thrust23THRUST_200600_302600_NS6detail15normal_iteratorINSA_10device_ptrIxEEEEPS6_SG_NS0_5tupleIJNSA_16discard_iteratorINSA_11use_defaultEEES6_EEENSH_IJSG_SG_EEES6_PlJNSB_9not_fun_tI7is_trueIxEEEEEE10hipError_tPvRmT3_T4_T5_T6_T7_T9_mT8_P12ihipStream_tbDpT10_ENKUlT_T0_E_clISt17integral_constantIbLb1EES1B_EEDaS16_S17_EUlS16_E_NS1_11comp_targetILNS1_3genE8ELNS1_11target_archE1030ELNS1_3gpuE2ELNS1_3repE0EEENS1_30default_config_static_selectorELNS0_4arch9wavefront6targetE0EEEvT1_.numbered_sgpr, 0
	.set _ZN7rocprim17ROCPRIM_400000_NS6detail17trampoline_kernelINS0_14default_configENS1_25partition_config_selectorILNS1_17partition_subalgoE6ExNS0_10empty_typeEbEEZZNS1_14partition_implILS5_6ELb0ES3_mN6thrust23THRUST_200600_302600_NS6detail15normal_iteratorINSA_10device_ptrIxEEEEPS6_SG_NS0_5tupleIJNSA_16discard_iteratorINSA_11use_defaultEEES6_EEENSH_IJSG_SG_EEES6_PlJNSB_9not_fun_tI7is_trueIxEEEEEE10hipError_tPvRmT3_T4_T5_T6_T7_T9_mT8_P12ihipStream_tbDpT10_ENKUlT_T0_E_clISt17integral_constantIbLb1EES1B_EEDaS16_S17_EUlS16_E_NS1_11comp_targetILNS1_3genE8ELNS1_11target_archE1030ELNS1_3gpuE2ELNS1_3repE0EEENS1_30default_config_static_selectorELNS0_4arch9wavefront6targetE0EEEvT1_.num_named_barrier, 0
	.set _ZN7rocprim17ROCPRIM_400000_NS6detail17trampoline_kernelINS0_14default_configENS1_25partition_config_selectorILNS1_17partition_subalgoE6ExNS0_10empty_typeEbEEZZNS1_14partition_implILS5_6ELb0ES3_mN6thrust23THRUST_200600_302600_NS6detail15normal_iteratorINSA_10device_ptrIxEEEEPS6_SG_NS0_5tupleIJNSA_16discard_iteratorINSA_11use_defaultEEES6_EEENSH_IJSG_SG_EEES6_PlJNSB_9not_fun_tI7is_trueIxEEEEEE10hipError_tPvRmT3_T4_T5_T6_T7_T9_mT8_P12ihipStream_tbDpT10_ENKUlT_T0_E_clISt17integral_constantIbLb1EES1B_EEDaS16_S17_EUlS16_E_NS1_11comp_targetILNS1_3genE8ELNS1_11target_archE1030ELNS1_3gpuE2ELNS1_3repE0EEENS1_30default_config_static_selectorELNS0_4arch9wavefront6targetE0EEEvT1_.private_seg_size, 0
	.set _ZN7rocprim17ROCPRIM_400000_NS6detail17trampoline_kernelINS0_14default_configENS1_25partition_config_selectorILNS1_17partition_subalgoE6ExNS0_10empty_typeEbEEZZNS1_14partition_implILS5_6ELb0ES3_mN6thrust23THRUST_200600_302600_NS6detail15normal_iteratorINSA_10device_ptrIxEEEEPS6_SG_NS0_5tupleIJNSA_16discard_iteratorINSA_11use_defaultEEES6_EEENSH_IJSG_SG_EEES6_PlJNSB_9not_fun_tI7is_trueIxEEEEEE10hipError_tPvRmT3_T4_T5_T6_T7_T9_mT8_P12ihipStream_tbDpT10_ENKUlT_T0_E_clISt17integral_constantIbLb1EES1B_EEDaS16_S17_EUlS16_E_NS1_11comp_targetILNS1_3genE8ELNS1_11target_archE1030ELNS1_3gpuE2ELNS1_3repE0EEENS1_30default_config_static_selectorELNS0_4arch9wavefront6targetE0EEEvT1_.uses_vcc, 0
	.set _ZN7rocprim17ROCPRIM_400000_NS6detail17trampoline_kernelINS0_14default_configENS1_25partition_config_selectorILNS1_17partition_subalgoE6ExNS0_10empty_typeEbEEZZNS1_14partition_implILS5_6ELb0ES3_mN6thrust23THRUST_200600_302600_NS6detail15normal_iteratorINSA_10device_ptrIxEEEEPS6_SG_NS0_5tupleIJNSA_16discard_iteratorINSA_11use_defaultEEES6_EEENSH_IJSG_SG_EEES6_PlJNSB_9not_fun_tI7is_trueIxEEEEEE10hipError_tPvRmT3_T4_T5_T6_T7_T9_mT8_P12ihipStream_tbDpT10_ENKUlT_T0_E_clISt17integral_constantIbLb1EES1B_EEDaS16_S17_EUlS16_E_NS1_11comp_targetILNS1_3genE8ELNS1_11target_archE1030ELNS1_3gpuE2ELNS1_3repE0EEENS1_30default_config_static_selectorELNS0_4arch9wavefront6targetE0EEEvT1_.uses_flat_scratch, 0
	.set _ZN7rocprim17ROCPRIM_400000_NS6detail17trampoline_kernelINS0_14default_configENS1_25partition_config_selectorILNS1_17partition_subalgoE6ExNS0_10empty_typeEbEEZZNS1_14partition_implILS5_6ELb0ES3_mN6thrust23THRUST_200600_302600_NS6detail15normal_iteratorINSA_10device_ptrIxEEEEPS6_SG_NS0_5tupleIJNSA_16discard_iteratorINSA_11use_defaultEEES6_EEENSH_IJSG_SG_EEES6_PlJNSB_9not_fun_tI7is_trueIxEEEEEE10hipError_tPvRmT3_T4_T5_T6_T7_T9_mT8_P12ihipStream_tbDpT10_ENKUlT_T0_E_clISt17integral_constantIbLb1EES1B_EEDaS16_S17_EUlS16_E_NS1_11comp_targetILNS1_3genE8ELNS1_11target_archE1030ELNS1_3gpuE2ELNS1_3repE0EEENS1_30default_config_static_selectorELNS0_4arch9wavefront6targetE0EEEvT1_.has_dyn_sized_stack, 0
	.set _ZN7rocprim17ROCPRIM_400000_NS6detail17trampoline_kernelINS0_14default_configENS1_25partition_config_selectorILNS1_17partition_subalgoE6ExNS0_10empty_typeEbEEZZNS1_14partition_implILS5_6ELb0ES3_mN6thrust23THRUST_200600_302600_NS6detail15normal_iteratorINSA_10device_ptrIxEEEEPS6_SG_NS0_5tupleIJNSA_16discard_iteratorINSA_11use_defaultEEES6_EEENSH_IJSG_SG_EEES6_PlJNSB_9not_fun_tI7is_trueIxEEEEEE10hipError_tPvRmT3_T4_T5_T6_T7_T9_mT8_P12ihipStream_tbDpT10_ENKUlT_T0_E_clISt17integral_constantIbLb1EES1B_EEDaS16_S17_EUlS16_E_NS1_11comp_targetILNS1_3genE8ELNS1_11target_archE1030ELNS1_3gpuE2ELNS1_3repE0EEENS1_30default_config_static_selectorELNS0_4arch9wavefront6targetE0EEEvT1_.has_recursion, 0
	.set _ZN7rocprim17ROCPRIM_400000_NS6detail17trampoline_kernelINS0_14default_configENS1_25partition_config_selectorILNS1_17partition_subalgoE6ExNS0_10empty_typeEbEEZZNS1_14partition_implILS5_6ELb0ES3_mN6thrust23THRUST_200600_302600_NS6detail15normal_iteratorINSA_10device_ptrIxEEEEPS6_SG_NS0_5tupleIJNSA_16discard_iteratorINSA_11use_defaultEEES6_EEENSH_IJSG_SG_EEES6_PlJNSB_9not_fun_tI7is_trueIxEEEEEE10hipError_tPvRmT3_T4_T5_T6_T7_T9_mT8_P12ihipStream_tbDpT10_ENKUlT_T0_E_clISt17integral_constantIbLb1EES1B_EEDaS16_S17_EUlS16_E_NS1_11comp_targetILNS1_3genE8ELNS1_11target_archE1030ELNS1_3gpuE2ELNS1_3repE0EEENS1_30default_config_static_selectorELNS0_4arch9wavefront6targetE0EEEvT1_.has_indirect_call, 0
	.section	.AMDGPU.csdata,"",@progbits
; Kernel info:
; codeLenInByte = 0
; TotalNumSgprs: 0
; NumVgprs: 0
; ScratchSize: 0
; MemoryBound: 0
; FloatMode: 240
; IeeeMode: 1
; LDSByteSize: 0 bytes/workgroup (compile time only)
; SGPRBlocks: 0
; VGPRBlocks: 0
; NumSGPRsForWavesPerEU: 1
; NumVGPRsForWavesPerEU: 1
; Occupancy: 16
; WaveLimiterHint : 0
; COMPUTE_PGM_RSRC2:SCRATCH_EN: 0
; COMPUTE_PGM_RSRC2:USER_SGPR: 2
; COMPUTE_PGM_RSRC2:TRAP_HANDLER: 0
; COMPUTE_PGM_RSRC2:TGID_X_EN: 1
; COMPUTE_PGM_RSRC2:TGID_Y_EN: 0
; COMPUTE_PGM_RSRC2:TGID_Z_EN: 0
; COMPUTE_PGM_RSRC2:TIDIG_COMP_CNT: 0
	.section	.text._ZN7rocprim17ROCPRIM_400000_NS6detail17trampoline_kernelINS0_14default_configENS1_25partition_config_selectorILNS1_17partition_subalgoE6ExNS0_10empty_typeEbEEZZNS1_14partition_implILS5_6ELb0ES3_mN6thrust23THRUST_200600_302600_NS6detail15normal_iteratorINSA_10device_ptrIxEEEEPS6_SG_NS0_5tupleIJNSA_16discard_iteratorINSA_11use_defaultEEES6_EEENSH_IJSG_SG_EEES6_PlJNSB_9not_fun_tI7is_trueIxEEEEEE10hipError_tPvRmT3_T4_T5_T6_T7_T9_mT8_P12ihipStream_tbDpT10_ENKUlT_T0_E_clISt17integral_constantIbLb1EES1A_IbLb0EEEEDaS16_S17_EUlS16_E_NS1_11comp_targetILNS1_3genE0ELNS1_11target_archE4294967295ELNS1_3gpuE0ELNS1_3repE0EEENS1_30default_config_static_selectorELNS0_4arch9wavefront6targetE0EEEvT1_,"axG",@progbits,_ZN7rocprim17ROCPRIM_400000_NS6detail17trampoline_kernelINS0_14default_configENS1_25partition_config_selectorILNS1_17partition_subalgoE6ExNS0_10empty_typeEbEEZZNS1_14partition_implILS5_6ELb0ES3_mN6thrust23THRUST_200600_302600_NS6detail15normal_iteratorINSA_10device_ptrIxEEEEPS6_SG_NS0_5tupleIJNSA_16discard_iteratorINSA_11use_defaultEEES6_EEENSH_IJSG_SG_EEES6_PlJNSB_9not_fun_tI7is_trueIxEEEEEE10hipError_tPvRmT3_T4_T5_T6_T7_T9_mT8_P12ihipStream_tbDpT10_ENKUlT_T0_E_clISt17integral_constantIbLb1EES1A_IbLb0EEEEDaS16_S17_EUlS16_E_NS1_11comp_targetILNS1_3genE0ELNS1_11target_archE4294967295ELNS1_3gpuE0ELNS1_3repE0EEENS1_30default_config_static_selectorELNS0_4arch9wavefront6targetE0EEEvT1_,comdat
	.protected	_ZN7rocprim17ROCPRIM_400000_NS6detail17trampoline_kernelINS0_14default_configENS1_25partition_config_selectorILNS1_17partition_subalgoE6ExNS0_10empty_typeEbEEZZNS1_14partition_implILS5_6ELb0ES3_mN6thrust23THRUST_200600_302600_NS6detail15normal_iteratorINSA_10device_ptrIxEEEEPS6_SG_NS0_5tupleIJNSA_16discard_iteratorINSA_11use_defaultEEES6_EEENSH_IJSG_SG_EEES6_PlJNSB_9not_fun_tI7is_trueIxEEEEEE10hipError_tPvRmT3_T4_T5_T6_T7_T9_mT8_P12ihipStream_tbDpT10_ENKUlT_T0_E_clISt17integral_constantIbLb1EES1A_IbLb0EEEEDaS16_S17_EUlS16_E_NS1_11comp_targetILNS1_3genE0ELNS1_11target_archE4294967295ELNS1_3gpuE0ELNS1_3repE0EEENS1_30default_config_static_selectorELNS0_4arch9wavefront6targetE0EEEvT1_ ; -- Begin function _ZN7rocprim17ROCPRIM_400000_NS6detail17trampoline_kernelINS0_14default_configENS1_25partition_config_selectorILNS1_17partition_subalgoE6ExNS0_10empty_typeEbEEZZNS1_14partition_implILS5_6ELb0ES3_mN6thrust23THRUST_200600_302600_NS6detail15normal_iteratorINSA_10device_ptrIxEEEEPS6_SG_NS0_5tupleIJNSA_16discard_iteratorINSA_11use_defaultEEES6_EEENSH_IJSG_SG_EEES6_PlJNSB_9not_fun_tI7is_trueIxEEEEEE10hipError_tPvRmT3_T4_T5_T6_T7_T9_mT8_P12ihipStream_tbDpT10_ENKUlT_T0_E_clISt17integral_constantIbLb1EES1A_IbLb0EEEEDaS16_S17_EUlS16_E_NS1_11comp_targetILNS1_3genE0ELNS1_11target_archE4294967295ELNS1_3gpuE0ELNS1_3repE0EEENS1_30default_config_static_selectorELNS0_4arch9wavefront6targetE0EEEvT1_
	.globl	_ZN7rocprim17ROCPRIM_400000_NS6detail17trampoline_kernelINS0_14default_configENS1_25partition_config_selectorILNS1_17partition_subalgoE6ExNS0_10empty_typeEbEEZZNS1_14partition_implILS5_6ELb0ES3_mN6thrust23THRUST_200600_302600_NS6detail15normal_iteratorINSA_10device_ptrIxEEEEPS6_SG_NS0_5tupleIJNSA_16discard_iteratorINSA_11use_defaultEEES6_EEENSH_IJSG_SG_EEES6_PlJNSB_9not_fun_tI7is_trueIxEEEEEE10hipError_tPvRmT3_T4_T5_T6_T7_T9_mT8_P12ihipStream_tbDpT10_ENKUlT_T0_E_clISt17integral_constantIbLb1EES1A_IbLb0EEEEDaS16_S17_EUlS16_E_NS1_11comp_targetILNS1_3genE0ELNS1_11target_archE4294967295ELNS1_3gpuE0ELNS1_3repE0EEENS1_30default_config_static_selectorELNS0_4arch9wavefront6targetE0EEEvT1_
	.p2align	8
	.type	_ZN7rocprim17ROCPRIM_400000_NS6detail17trampoline_kernelINS0_14default_configENS1_25partition_config_selectorILNS1_17partition_subalgoE6ExNS0_10empty_typeEbEEZZNS1_14partition_implILS5_6ELb0ES3_mN6thrust23THRUST_200600_302600_NS6detail15normal_iteratorINSA_10device_ptrIxEEEEPS6_SG_NS0_5tupleIJNSA_16discard_iteratorINSA_11use_defaultEEES6_EEENSH_IJSG_SG_EEES6_PlJNSB_9not_fun_tI7is_trueIxEEEEEE10hipError_tPvRmT3_T4_T5_T6_T7_T9_mT8_P12ihipStream_tbDpT10_ENKUlT_T0_E_clISt17integral_constantIbLb1EES1A_IbLb0EEEEDaS16_S17_EUlS16_E_NS1_11comp_targetILNS1_3genE0ELNS1_11target_archE4294967295ELNS1_3gpuE0ELNS1_3repE0EEENS1_30default_config_static_selectorELNS0_4arch9wavefront6targetE0EEEvT1_,@function
_ZN7rocprim17ROCPRIM_400000_NS6detail17trampoline_kernelINS0_14default_configENS1_25partition_config_selectorILNS1_17partition_subalgoE6ExNS0_10empty_typeEbEEZZNS1_14partition_implILS5_6ELb0ES3_mN6thrust23THRUST_200600_302600_NS6detail15normal_iteratorINSA_10device_ptrIxEEEEPS6_SG_NS0_5tupleIJNSA_16discard_iteratorINSA_11use_defaultEEES6_EEENSH_IJSG_SG_EEES6_PlJNSB_9not_fun_tI7is_trueIxEEEEEE10hipError_tPvRmT3_T4_T5_T6_T7_T9_mT8_P12ihipStream_tbDpT10_ENKUlT_T0_E_clISt17integral_constantIbLb1EES1A_IbLb0EEEEDaS16_S17_EUlS16_E_NS1_11comp_targetILNS1_3genE0ELNS1_11target_archE4294967295ELNS1_3gpuE0ELNS1_3repE0EEENS1_30default_config_static_selectorELNS0_4arch9wavefront6targetE0EEEvT1_: ; @_ZN7rocprim17ROCPRIM_400000_NS6detail17trampoline_kernelINS0_14default_configENS1_25partition_config_selectorILNS1_17partition_subalgoE6ExNS0_10empty_typeEbEEZZNS1_14partition_implILS5_6ELb0ES3_mN6thrust23THRUST_200600_302600_NS6detail15normal_iteratorINSA_10device_ptrIxEEEEPS6_SG_NS0_5tupleIJNSA_16discard_iteratorINSA_11use_defaultEEES6_EEENSH_IJSG_SG_EEES6_PlJNSB_9not_fun_tI7is_trueIxEEEEEE10hipError_tPvRmT3_T4_T5_T6_T7_T9_mT8_P12ihipStream_tbDpT10_ENKUlT_T0_E_clISt17integral_constantIbLb1EES1A_IbLb0EEEEDaS16_S17_EUlS16_E_NS1_11comp_targetILNS1_3genE0ELNS1_11target_archE4294967295ELNS1_3gpuE0ELNS1_3repE0EEENS1_30default_config_static_selectorELNS0_4arch9wavefront6targetE0EEEvT1_
; %bb.0:
	.section	.rodata,"a",@progbits
	.p2align	6, 0x0
	.amdhsa_kernel _ZN7rocprim17ROCPRIM_400000_NS6detail17trampoline_kernelINS0_14default_configENS1_25partition_config_selectorILNS1_17partition_subalgoE6ExNS0_10empty_typeEbEEZZNS1_14partition_implILS5_6ELb0ES3_mN6thrust23THRUST_200600_302600_NS6detail15normal_iteratorINSA_10device_ptrIxEEEEPS6_SG_NS0_5tupleIJNSA_16discard_iteratorINSA_11use_defaultEEES6_EEENSH_IJSG_SG_EEES6_PlJNSB_9not_fun_tI7is_trueIxEEEEEE10hipError_tPvRmT3_T4_T5_T6_T7_T9_mT8_P12ihipStream_tbDpT10_ENKUlT_T0_E_clISt17integral_constantIbLb1EES1A_IbLb0EEEEDaS16_S17_EUlS16_E_NS1_11comp_targetILNS1_3genE0ELNS1_11target_archE4294967295ELNS1_3gpuE0ELNS1_3repE0EEENS1_30default_config_static_selectorELNS0_4arch9wavefront6targetE0EEEvT1_
		.amdhsa_group_segment_fixed_size 0
		.amdhsa_private_segment_fixed_size 0
		.amdhsa_kernarg_size 120
		.amdhsa_user_sgpr_count 2
		.amdhsa_user_sgpr_dispatch_ptr 0
		.amdhsa_user_sgpr_queue_ptr 0
		.amdhsa_user_sgpr_kernarg_segment_ptr 1
		.amdhsa_user_sgpr_dispatch_id 0
		.amdhsa_user_sgpr_private_segment_size 0
		.amdhsa_wavefront_size32 1
		.amdhsa_uses_dynamic_stack 0
		.amdhsa_enable_private_segment 0
		.amdhsa_system_sgpr_workgroup_id_x 1
		.amdhsa_system_sgpr_workgroup_id_y 0
		.amdhsa_system_sgpr_workgroup_id_z 0
		.amdhsa_system_sgpr_workgroup_info 0
		.amdhsa_system_vgpr_workitem_id 0
		.amdhsa_next_free_vgpr 1
		.amdhsa_next_free_sgpr 1
		.amdhsa_reserve_vcc 0
		.amdhsa_float_round_mode_32 0
		.amdhsa_float_round_mode_16_64 0
		.amdhsa_float_denorm_mode_32 3
		.amdhsa_float_denorm_mode_16_64 3
		.amdhsa_fp16_overflow 0
		.amdhsa_workgroup_processor_mode 1
		.amdhsa_memory_ordered 1
		.amdhsa_forward_progress 1
		.amdhsa_inst_pref_size 0
		.amdhsa_round_robin_scheduling 0
		.amdhsa_exception_fp_ieee_invalid_op 0
		.amdhsa_exception_fp_denorm_src 0
		.amdhsa_exception_fp_ieee_div_zero 0
		.amdhsa_exception_fp_ieee_overflow 0
		.amdhsa_exception_fp_ieee_underflow 0
		.amdhsa_exception_fp_ieee_inexact 0
		.amdhsa_exception_int_div_zero 0
	.end_amdhsa_kernel
	.section	.text._ZN7rocprim17ROCPRIM_400000_NS6detail17trampoline_kernelINS0_14default_configENS1_25partition_config_selectorILNS1_17partition_subalgoE6ExNS0_10empty_typeEbEEZZNS1_14partition_implILS5_6ELb0ES3_mN6thrust23THRUST_200600_302600_NS6detail15normal_iteratorINSA_10device_ptrIxEEEEPS6_SG_NS0_5tupleIJNSA_16discard_iteratorINSA_11use_defaultEEES6_EEENSH_IJSG_SG_EEES6_PlJNSB_9not_fun_tI7is_trueIxEEEEEE10hipError_tPvRmT3_T4_T5_T6_T7_T9_mT8_P12ihipStream_tbDpT10_ENKUlT_T0_E_clISt17integral_constantIbLb1EES1A_IbLb0EEEEDaS16_S17_EUlS16_E_NS1_11comp_targetILNS1_3genE0ELNS1_11target_archE4294967295ELNS1_3gpuE0ELNS1_3repE0EEENS1_30default_config_static_selectorELNS0_4arch9wavefront6targetE0EEEvT1_,"axG",@progbits,_ZN7rocprim17ROCPRIM_400000_NS6detail17trampoline_kernelINS0_14default_configENS1_25partition_config_selectorILNS1_17partition_subalgoE6ExNS0_10empty_typeEbEEZZNS1_14partition_implILS5_6ELb0ES3_mN6thrust23THRUST_200600_302600_NS6detail15normal_iteratorINSA_10device_ptrIxEEEEPS6_SG_NS0_5tupleIJNSA_16discard_iteratorINSA_11use_defaultEEES6_EEENSH_IJSG_SG_EEES6_PlJNSB_9not_fun_tI7is_trueIxEEEEEE10hipError_tPvRmT3_T4_T5_T6_T7_T9_mT8_P12ihipStream_tbDpT10_ENKUlT_T0_E_clISt17integral_constantIbLb1EES1A_IbLb0EEEEDaS16_S17_EUlS16_E_NS1_11comp_targetILNS1_3genE0ELNS1_11target_archE4294967295ELNS1_3gpuE0ELNS1_3repE0EEENS1_30default_config_static_selectorELNS0_4arch9wavefront6targetE0EEEvT1_,comdat
.Lfunc_end2253:
	.size	_ZN7rocprim17ROCPRIM_400000_NS6detail17trampoline_kernelINS0_14default_configENS1_25partition_config_selectorILNS1_17partition_subalgoE6ExNS0_10empty_typeEbEEZZNS1_14partition_implILS5_6ELb0ES3_mN6thrust23THRUST_200600_302600_NS6detail15normal_iteratorINSA_10device_ptrIxEEEEPS6_SG_NS0_5tupleIJNSA_16discard_iteratorINSA_11use_defaultEEES6_EEENSH_IJSG_SG_EEES6_PlJNSB_9not_fun_tI7is_trueIxEEEEEE10hipError_tPvRmT3_T4_T5_T6_T7_T9_mT8_P12ihipStream_tbDpT10_ENKUlT_T0_E_clISt17integral_constantIbLb1EES1A_IbLb0EEEEDaS16_S17_EUlS16_E_NS1_11comp_targetILNS1_3genE0ELNS1_11target_archE4294967295ELNS1_3gpuE0ELNS1_3repE0EEENS1_30default_config_static_selectorELNS0_4arch9wavefront6targetE0EEEvT1_, .Lfunc_end2253-_ZN7rocprim17ROCPRIM_400000_NS6detail17trampoline_kernelINS0_14default_configENS1_25partition_config_selectorILNS1_17partition_subalgoE6ExNS0_10empty_typeEbEEZZNS1_14partition_implILS5_6ELb0ES3_mN6thrust23THRUST_200600_302600_NS6detail15normal_iteratorINSA_10device_ptrIxEEEEPS6_SG_NS0_5tupleIJNSA_16discard_iteratorINSA_11use_defaultEEES6_EEENSH_IJSG_SG_EEES6_PlJNSB_9not_fun_tI7is_trueIxEEEEEE10hipError_tPvRmT3_T4_T5_T6_T7_T9_mT8_P12ihipStream_tbDpT10_ENKUlT_T0_E_clISt17integral_constantIbLb1EES1A_IbLb0EEEEDaS16_S17_EUlS16_E_NS1_11comp_targetILNS1_3genE0ELNS1_11target_archE4294967295ELNS1_3gpuE0ELNS1_3repE0EEENS1_30default_config_static_selectorELNS0_4arch9wavefront6targetE0EEEvT1_
                                        ; -- End function
	.set _ZN7rocprim17ROCPRIM_400000_NS6detail17trampoline_kernelINS0_14default_configENS1_25partition_config_selectorILNS1_17partition_subalgoE6ExNS0_10empty_typeEbEEZZNS1_14partition_implILS5_6ELb0ES3_mN6thrust23THRUST_200600_302600_NS6detail15normal_iteratorINSA_10device_ptrIxEEEEPS6_SG_NS0_5tupleIJNSA_16discard_iteratorINSA_11use_defaultEEES6_EEENSH_IJSG_SG_EEES6_PlJNSB_9not_fun_tI7is_trueIxEEEEEE10hipError_tPvRmT3_T4_T5_T6_T7_T9_mT8_P12ihipStream_tbDpT10_ENKUlT_T0_E_clISt17integral_constantIbLb1EES1A_IbLb0EEEEDaS16_S17_EUlS16_E_NS1_11comp_targetILNS1_3genE0ELNS1_11target_archE4294967295ELNS1_3gpuE0ELNS1_3repE0EEENS1_30default_config_static_selectorELNS0_4arch9wavefront6targetE0EEEvT1_.num_vgpr, 0
	.set _ZN7rocprim17ROCPRIM_400000_NS6detail17trampoline_kernelINS0_14default_configENS1_25partition_config_selectorILNS1_17partition_subalgoE6ExNS0_10empty_typeEbEEZZNS1_14partition_implILS5_6ELb0ES3_mN6thrust23THRUST_200600_302600_NS6detail15normal_iteratorINSA_10device_ptrIxEEEEPS6_SG_NS0_5tupleIJNSA_16discard_iteratorINSA_11use_defaultEEES6_EEENSH_IJSG_SG_EEES6_PlJNSB_9not_fun_tI7is_trueIxEEEEEE10hipError_tPvRmT3_T4_T5_T6_T7_T9_mT8_P12ihipStream_tbDpT10_ENKUlT_T0_E_clISt17integral_constantIbLb1EES1A_IbLb0EEEEDaS16_S17_EUlS16_E_NS1_11comp_targetILNS1_3genE0ELNS1_11target_archE4294967295ELNS1_3gpuE0ELNS1_3repE0EEENS1_30default_config_static_selectorELNS0_4arch9wavefront6targetE0EEEvT1_.num_agpr, 0
	.set _ZN7rocprim17ROCPRIM_400000_NS6detail17trampoline_kernelINS0_14default_configENS1_25partition_config_selectorILNS1_17partition_subalgoE6ExNS0_10empty_typeEbEEZZNS1_14partition_implILS5_6ELb0ES3_mN6thrust23THRUST_200600_302600_NS6detail15normal_iteratorINSA_10device_ptrIxEEEEPS6_SG_NS0_5tupleIJNSA_16discard_iteratorINSA_11use_defaultEEES6_EEENSH_IJSG_SG_EEES6_PlJNSB_9not_fun_tI7is_trueIxEEEEEE10hipError_tPvRmT3_T4_T5_T6_T7_T9_mT8_P12ihipStream_tbDpT10_ENKUlT_T0_E_clISt17integral_constantIbLb1EES1A_IbLb0EEEEDaS16_S17_EUlS16_E_NS1_11comp_targetILNS1_3genE0ELNS1_11target_archE4294967295ELNS1_3gpuE0ELNS1_3repE0EEENS1_30default_config_static_selectorELNS0_4arch9wavefront6targetE0EEEvT1_.numbered_sgpr, 0
	.set _ZN7rocprim17ROCPRIM_400000_NS6detail17trampoline_kernelINS0_14default_configENS1_25partition_config_selectorILNS1_17partition_subalgoE6ExNS0_10empty_typeEbEEZZNS1_14partition_implILS5_6ELb0ES3_mN6thrust23THRUST_200600_302600_NS6detail15normal_iteratorINSA_10device_ptrIxEEEEPS6_SG_NS0_5tupleIJNSA_16discard_iteratorINSA_11use_defaultEEES6_EEENSH_IJSG_SG_EEES6_PlJNSB_9not_fun_tI7is_trueIxEEEEEE10hipError_tPvRmT3_T4_T5_T6_T7_T9_mT8_P12ihipStream_tbDpT10_ENKUlT_T0_E_clISt17integral_constantIbLb1EES1A_IbLb0EEEEDaS16_S17_EUlS16_E_NS1_11comp_targetILNS1_3genE0ELNS1_11target_archE4294967295ELNS1_3gpuE0ELNS1_3repE0EEENS1_30default_config_static_selectorELNS0_4arch9wavefront6targetE0EEEvT1_.num_named_barrier, 0
	.set _ZN7rocprim17ROCPRIM_400000_NS6detail17trampoline_kernelINS0_14default_configENS1_25partition_config_selectorILNS1_17partition_subalgoE6ExNS0_10empty_typeEbEEZZNS1_14partition_implILS5_6ELb0ES3_mN6thrust23THRUST_200600_302600_NS6detail15normal_iteratorINSA_10device_ptrIxEEEEPS6_SG_NS0_5tupleIJNSA_16discard_iteratorINSA_11use_defaultEEES6_EEENSH_IJSG_SG_EEES6_PlJNSB_9not_fun_tI7is_trueIxEEEEEE10hipError_tPvRmT3_T4_T5_T6_T7_T9_mT8_P12ihipStream_tbDpT10_ENKUlT_T0_E_clISt17integral_constantIbLb1EES1A_IbLb0EEEEDaS16_S17_EUlS16_E_NS1_11comp_targetILNS1_3genE0ELNS1_11target_archE4294967295ELNS1_3gpuE0ELNS1_3repE0EEENS1_30default_config_static_selectorELNS0_4arch9wavefront6targetE0EEEvT1_.private_seg_size, 0
	.set _ZN7rocprim17ROCPRIM_400000_NS6detail17trampoline_kernelINS0_14default_configENS1_25partition_config_selectorILNS1_17partition_subalgoE6ExNS0_10empty_typeEbEEZZNS1_14partition_implILS5_6ELb0ES3_mN6thrust23THRUST_200600_302600_NS6detail15normal_iteratorINSA_10device_ptrIxEEEEPS6_SG_NS0_5tupleIJNSA_16discard_iteratorINSA_11use_defaultEEES6_EEENSH_IJSG_SG_EEES6_PlJNSB_9not_fun_tI7is_trueIxEEEEEE10hipError_tPvRmT3_T4_T5_T6_T7_T9_mT8_P12ihipStream_tbDpT10_ENKUlT_T0_E_clISt17integral_constantIbLb1EES1A_IbLb0EEEEDaS16_S17_EUlS16_E_NS1_11comp_targetILNS1_3genE0ELNS1_11target_archE4294967295ELNS1_3gpuE0ELNS1_3repE0EEENS1_30default_config_static_selectorELNS0_4arch9wavefront6targetE0EEEvT1_.uses_vcc, 0
	.set _ZN7rocprim17ROCPRIM_400000_NS6detail17trampoline_kernelINS0_14default_configENS1_25partition_config_selectorILNS1_17partition_subalgoE6ExNS0_10empty_typeEbEEZZNS1_14partition_implILS5_6ELb0ES3_mN6thrust23THRUST_200600_302600_NS6detail15normal_iteratorINSA_10device_ptrIxEEEEPS6_SG_NS0_5tupleIJNSA_16discard_iteratorINSA_11use_defaultEEES6_EEENSH_IJSG_SG_EEES6_PlJNSB_9not_fun_tI7is_trueIxEEEEEE10hipError_tPvRmT3_T4_T5_T6_T7_T9_mT8_P12ihipStream_tbDpT10_ENKUlT_T0_E_clISt17integral_constantIbLb1EES1A_IbLb0EEEEDaS16_S17_EUlS16_E_NS1_11comp_targetILNS1_3genE0ELNS1_11target_archE4294967295ELNS1_3gpuE0ELNS1_3repE0EEENS1_30default_config_static_selectorELNS0_4arch9wavefront6targetE0EEEvT1_.uses_flat_scratch, 0
	.set _ZN7rocprim17ROCPRIM_400000_NS6detail17trampoline_kernelINS0_14default_configENS1_25partition_config_selectorILNS1_17partition_subalgoE6ExNS0_10empty_typeEbEEZZNS1_14partition_implILS5_6ELb0ES3_mN6thrust23THRUST_200600_302600_NS6detail15normal_iteratorINSA_10device_ptrIxEEEEPS6_SG_NS0_5tupleIJNSA_16discard_iteratorINSA_11use_defaultEEES6_EEENSH_IJSG_SG_EEES6_PlJNSB_9not_fun_tI7is_trueIxEEEEEE10hipError_tPvRmT3_T4_T5_T6_T7_T9_mT8_P12ihipStream_tbDpT10_ENKUlT_T0_E_clISt17integral_constantIbLb1EES1A_IbLb0EEEEDaS16_S17_EUlS16_E_NS1_11comp_targetILNS1_3genE0ELNS1_11target_archE4294967295ELNS1_3gpuE0ELNS1_3repE0EEENS1_30default_config_static_selectorELNS0_4arch9wavefront6targetE0EEEvT1_.has_dyn_sized_stack, 0
	.set _ZN7rocprim17ROCPRIM_400000_NS6detail17trampoline_kernelINS0_14default_configENS1_25partition_config_selectorILNS1_17partition_subalgoE6ExNS0_10empty_typeEbEEZZNS1_14partition_implILS5_6ELb0ES3_mN6thrust23THRUST_200600_302600_NS6detail15normal_iteratorINSA_10device_ptrIxEEEEPS6_SG_NS0_5tupleIJNSA_16discard_iteratorINSA_11use_defaultEEES6_EEENSH_IJSG_SG_EEES6_PlJNSB_9not_fun_tI7is_trueIxEEEEEE10hipError_tPvRmT3_T4_T5_T6_T7_T9_mT8_P12ihipStream_tbDpT10_ENKUlT_T0_E_clISt17integral_constantIbLb1EES1A_IbLb0EEEEDaS16_S17_EUlS16_E_NS1_11comp_targetILNS1_3genE0ELNS1_11target_archE4294967295ELNS1_3gpuE0ELNS1_3repE0EEENS1_30default_config_static_selectorELNS0_4arch9wavefront6targetE0EEEvT1_.has_recursion, 0
	.set _ZN7rocprim17ROCPRIM_400000_NS6detail17trampoline_kernelINS0_14default_configENS1_25partition_config_selectorILNS1_17partition_subalgoE6ExNS0_10empty_typeEbEEZZNS1_14partition_implILS5_6ELb0ES3_mN6thrust23THRUST_200600_302600_NS6detail15normal_iteratorINSA_10device_ptrIxEEEEPS6_SG_NS0_5tupleIJNSA_16discard_iteratorINSA_11use_defaultEEES6_EEENSH_IJSG_SG_EEES6_PlJNSB_9not_fun_tI7is_trueIxEEEEEE10hipError_tPvRmT3_T4_T5_T6_T7_T9_mT8_P12ihipStream_tbDpT10_ENKUlT_T0_E_clISt17integral_constantIbLb1EES1A_IbLb0EEEEDaS16_S17_EUlS16_E_NS1_11comp_targetILNS1_3genE0ELNS1_11target_archE4294967295ELNS1_3gpuE0ELNS1_3repE0EEENS1_30default_config_static_selectorELNS0_4arch9wavefront6targetE0EEEvT1_.has_indirect_call, 0
	.section	.AMDGPU.csdata,"",@progbits
; Kernel info:
; codeLenInByte = 0
; TotalNumSgprs: 0
; NumVgprs: 0
; ScratchSize: 0
; MemoryBound: 0
; FloatMode: 240
; IeeeMode: 1
; LDSByteSize: 0 bytes/workgroup (compile time only)
; SGPRBlocks: 0
; VGPRBlocks: 0
; NumSGPRsForWavesPerEU: 1
; NumVGPRsForWavesPerEU: 1
; Occupancy: 16
; WaveLimiterHint : 0
; COMPUTE_PGM_RSRC2:SCRATCH_EN: 0
; COMPUTE_PGM_RSRC2:USER_SGPR: 2
; COMPUTE_PGM_RSRC2:TRAP_HANDLER: 0
; COMPUTE_PGM_RSRC2:TGID_X_EN: 1
; COMPUTE_PGM_RSRC2:TGID_Y_EN: 0
; COMPUTE_PGM_RSRC2:TGID_Z_EN: 0
; COMPUTE_PGM_RSRC2:TIDIG_COMP_CNT: 0
	.section	.text._ZN7rocprim17ROCPRIM_400000_NS6detail17trampoline_kernelINS0_14default_configENS1_25partition_config_selectorILNS1_17partition_subalgoE6ExNS0_10empty_typeEbEEZZNS1_14partition_implILS5_6ELb0ES3_mN6thrust23THRUST_200600_302600_NS6detail15normal_iteratorINSA_10device_ptrIxEEEEPS6_SG_NS0_5tupleIJNSA_16discard_iteratorINSA_11use_defaultEEES6_EEENSH_IJSG_SG_EEES6_PlJNSB_9not_fun_tI7is_trueIxEEEEEE10hipError_tPvRmT3_T4_T5_T6_T7_T9_mT8_P12ihipStream_tbDpT10_ENKUlT_T0_E_clISt17integral_constantIbLb1EES1A_IbLb0EEEEDaS16_S17_EUlS16_E_NS1_11comp_targetILNS1_3genE5ELNS1_11target_archE942ELNS1_3gpuE9ELNS1_3repE0EEENS1_30default_config_static_selectorELNS0_4arch9wavefront6targetE0EEEvT1_,"axG",@progbits,_ZN7rocprim17ROCPRIM_400000_NS6detail17trampoline_kernelINS0_14default_configENS1_25partition_config_selectorILNS1_17partition_subalgoE6ExNS0_10empty_typeEbEEZZNS1_14partition_implILS5_6ELb0ES3_mN6thrust23THRUST_200600_302600_NS6detail15normal_iteratorINSA_10device_ptrIxEEEEPS6_SG_NS0_5tupleIJNSA_16discard_iteratorINSA_11use_defaultEEES6_EEENSH_IJSG_SG_EEES6_PlJNSB_9not_fun_tI7is_trueIxEEEEEE10hipError_tPvRmT3_T4_T5_T6_T7_T9_mT8_P12ihipStream_tbDpT10_ENKUlT_T0_E_clISt17integral_constantIbLb1EES1A_IbLb0EEEEDaS16_S17_EUlS16_E_NS1_11comp_targetILNS1_3genE5ELNS1_11target_archE942ELNS1_3gpuE9ELNS1_3repE0EEENS1_30default_config_static_selectorELNS0_4arch9wavefront6targetE0EEEvT1_,comdat
	.protected	_ZN7rocprim17ROCPRIM_400000_NS6detail17trampoline_kernelINS0_14default_configENS1_25partition_config_selectorILNS1_17partition_subalgoE6ExNS0_10empty_typeEbEEZZNS1_14partition_implILS5_6ELb0ES3_mN6thrust23THRUST_200600_302600_NS6detail15normal_iteratorINSA_10device_ptrIxEEEEPS6_SG_NS0_5tupleIJNSA_16discard_iteratorINSA_11use_defaultEEES6_EEENSH_IJSG_SG_EEES6_PlJNSB_9not_fun_tI7is_trueIxEEEEEE10hipError_tPvRmT3_T4_T5_T6_T7_T9_mT8_P12ihipStream_tbDpT10_ENKUlT_T0_E_clISt17integral_constantIbLb1EES1A_IbLb0EEEEDaS16_S17_EUlS16_E_NS1_11comp_targetILNS1_3genE5ELNS1_11target_archE942ELNS1_3gpuE9ELNS1_3repE0EEENS1_30default_config_static_selectorELNS0_4arch9wavefront6targetE0EEEvT1_ ; -- Begin function _ZN7rocprim17ROCPRIM_400000_NS6detail17trampoline_kernelINS0_14default_configENS1_25partition_config_selectorILNS1_17partition_subalgoE6ExNS0_10empty_typeEbEEZZNS1_14partition_implILS5_6ELb0ES3_mN6thrust23THRUST_200600_302600_NS6detail15normal_iteratorINSA_10device_ptrIxEEEEPS6_SG_NS0_5tupleIJNSA_16discard_iteratorINSA_11use_defaultEEES6_EEENSH_IJSG_SG_EEES6_PlJNSB_9not_fun_tI7is_trueIxEEEEEE10hipError_tPvRmT3_T4_T5_T6_T7_T9_mT8_P12ihipStream_tbDpT10_ENKUlT_T0_E_clISt17integral_constantIbLb1EES1A_IbLb0EEEEDaS16_S17_EUlS16_E_NS1_11comp_targetILNS1_3genE5ELNS1_11target_archE942ELNS1_3gpuE9ELNS1_3repE0EEENS1_30default_config_static_selectorELNS0_4arch9wavefront6targetE0EEEvT1_
	.globl	_ZN7rocprim17ROCPRIM_400000_NS6detail17trampoline_kernelINS0_14default_configENS1_25partition_config_selectorILNS1_17partition_subalgoE6ExNS0_10empty_typeEbEEZZNS1_14partition_implILS5_6ELb0ES3_mN6thrust23THRUST_200600_302600_NS6detail15normal_iteratorINSA_10device_ptrIxEEEEPS6_SG_NS0_5tupleIJNSA_16discard_iteratorINSA_11use_defaultEEES6_EEENSH_IJSG_SG_EEES6_PlJNSB_9not_fun_tI7is_trueIxEEEEEE10hipError_tPvRmT3_T4_T5_T6_T7_T9_mT8_P12ihipStream_tbDpT10_ENKUlT_T0_E_clISt17integral_constantIbLb1EES1A_IbLb0EEEEDaS16_S17_EUlS16_E_NS1_11comp_targetILNS1_3genE5ELNS1_11target_archE942ELNS1_3gpuE9ELNS1_3repE0EEENS1_30default_config_static_selectorELNS0_4arch9wavefront6targetE0EEEvT1_
	.p2align	8
	.type	_ZN7rocprim17ROCPRIM_400000_NS6detail17trampoline_kernelINS0_14default_configENS1_25partition_config_selectorILNS1_17partition_subalgoE6ExNS0_10empty_typeEbEEZZNS1_14partition_implILS5_6ELb0ES3_mN6thrust23THRUST_200600_302600_NS6detail15normal_iteratorINSA_10device_ptrIxEEEEPS6_SG_NS0_5tupleIJNSA_16discard_iteratorINSA_11use_defaultEEES6_EEENSH_IJSG_SG_EEES6_PlJNSB_9not_fun_tI7is_trueIxEEEEEE10hipError_tPvRmT3_T4_T5_T6_T7_T9_mT8_P12ihipStream_tbDpT10_ENKUlT_T0_E_clISt17integral_constantIbLb1EES1A_IbLb0EEEEDaS16_S17_EUlS16_E_NS1_11comp_targetILNS1_3genE5ELNS1_11target_archE942ELNS1_3gpuE9ELNS1_3repE0EEENS1_30default_config_static_selectorELNS0_4arch9wavefront6targetE0EEEvT1_,@function
_ZN7rocprim17ROCPRIM_400000_NS6detail17trampoline_kernelINS0_14default_configENS1_25partition_config_selectorILNS1_17partition_subalgoE6ExNS0_10empty_typeEbEEZZNS1_14partition_implILS5_6ELb0ES3_mN6thrust23THRUST_200600_302600_NS6detail15normal_iteratorINSA_10device_ptrIxEEEEPS6_SG_NS0_5tupleIJNSA_16discard_iteratorINSA_11use_defaultEEES6_EEENSH_IJSG_SG_EEES6_PlJNSB_9not_fun_tI7is_trueIxEEEEEE10hipError_tPvRmT3_T4_T5_T6_T7_T9_mT8_P12ihipStream_tbDpT10_ENKUlT_T0_E_clISt17integral_constantIbLb1EES1A_IbLb0EEEEDaS16_S17_EUlS16_E_NS1_11comp_targetILNS1_3genE5ELNS1_11target_archE942ELNS1_3gpuE9ELNS1_3repE0EEENS1_30default_config_static_selectorELNS0_4arch9wavefront6targetE0EEEvT1_: ; @_ZN7rocprim17ROCPRIM_400000_NS6detail17trampoline_kernelINS0_14default_configENS1_25partition_config_selectorILNS1_17partition_subalgoE6ExNS0_10empty_typeEbEEZZNS1_14partition_implILS5_6ELb0ES3_mN6thrust23THRUST_200600_302600_NS6detail15normal_iteratorINSA_10device_ptrIxEEEEPS6_SG_NS0_5tupleIJNSA_16discard_iteratorINSA_11use_defaultEEES6_EEENSH_IJSG_SG_EEES6_PlJNSB_9not_fun_tI7is_trueIxEEEEEE10hipError_tPvRmT3_T4_T5_T6_T7_T9_mT8_P12ihipStream_tbDpT10_ENKUlT_T0_E_clISt17integral_constantIbLb1EES1A_IbLb0EEEEDaS16_S17_EUlS16_E_NS1_11comp_targetILNS1_3genE5ELNS1_11target_archE942ELNS1_3gpuE9ELNS1_3repE0EEENS1_30default_config_static_selectorELNS0_4arch9wavefront6targetE0EEEvT1_
; %bb.0:
	.section	.rodata,"a",@progbits
	.p2align	6, 0x0
	.amdhsa_kernel _ZN7rocprim17ROCPRIM_400000_NS6detail17trampoline_kernelINS0_14default_configENS1_25partition_config_selectorILNS1_17partition_subalgoE6ExNS0_10empty_typeEbEEZZNS1_14partition_implILS5_6ELb0ES3_mN6thrust23THRUST_200600_302600_NS6detail15normal_iteratorINSA_10device_ptrIxEEEEPS6_SG_NS0_5tupleIJNSA_16discard_iteratorINSA_11use_defaultEEES6_EEENSH_IJSG_SG_EEES6_PlJNSB_9not_fun_tI7is_trueIxEEEEEE10hipError_tPvRmT3_T4_T5_T6_T7_T9_mT8_P12ihipStream_tbDpT10_ENKUlT_T0_E_clISt17integral_constantIbLb1EES1A_IbLb0EEEEDaS16_S17_EUlS16_E_NS1_11comp_targetILNS1_3genE5ELNS1_11target_archE942ELNS1_3gpuE9ELNS1_3repE0EEENS1_30default_config_static_selectorELNS0_4arch9wavefront6targetE0EEEvT1_
		.amdhsa_group_segment_fixed_size 0
		.amdhsa_private_segment_fixed_size 0
		.amdhsa_kernarg_size 120
		.amdhsa_user_sgpr_count 2
		.amdhsa_user_sgpr_dispatch_ptr 0
		.amdhsa_user_sgpr_queue_ptr 0
		.amdhsa_user_sgpr_kernarg_segment_ptr 1
		.amdhsa_user_sgpr_dispatch_id 0
		.amdhsa_user_sgpr_private_segment_size 0
		.amdhsa_wavefront_size32 1
		.amdhsa_uses_dynamic_stack 0
		.amdhsa_enable_private_segment 0
		.amdhsa_system_sgpr_workgroup_id_x 1
		.amdhsa_system_sgpr_workgroup_id_y 0
		.amdhsa_system_sgpr_workgroup_id_z 0
		.amdhsa_system_sgpr_workgroup_info 0
		.amdhsa_system_vgpr_workitem_id 0
		.amdhsa_next_free_vgpr 1
		.amdhsa_next_free_sgpr 1
		.amdhsa_reserve_vcc 0
		.amdhsa_float_round_mode_32 0
		.amdhsa_float_round_mode_16_64 0
		.amdhsa_float_denorm_mode_32 3
		.amdhsa_float_denorm_mode_16_64 3
		.amdhsa_fp16_overflow 0
		.amdhsa_workgroup_processor_mode 1
		.amdhsa_memory_ordered 1
		.amdhsa_forward_progress 1
		.amdhsa_inst_pref_size 0
		.amdhsa_round_robin_scheduling 0
		.amdhsa_exception_fp_ieee_invalid_op 0
		.amdhsa_exception_fp_denorm_src 0
		.amdhsa_exception_fp_ieee_div_zero 0
		.amdhsa_exception_fp_ieee_overflow 0
		.amdhsa_exception_fp_ieee_underflow 0
		.amdhsa_exception_fp_ieee_inexact 0
		.amdhsa_exception_int_div_zero 0
	.end_amdhsa_kernel
	.section	.text._ZN7rocprim17ROCPRIM_400000_NS6detail17trampoline_kernelINS0_14default_configENS1_25partition_config_selectorILNS1_17partition_subalgoE6ExNS0_10empty_typeEbEEZZNS1_14partition_implILS5_6ELb0ES3_mN6thrust23THRUST_200600_302600_NS6detail15normal_iteratorINSA_10device_ptrIxEEEEPS6_SG_NS0_5tupleIJNSA_16discard_iteratorINSA_11use_defaultEEES6_EEENSH_IJSG_SG_EEES6_PlJNSB_9not_fun_tI7is_trueIxEEEEEE10hipError_tPvRmT3_T4_T5_T6_T7_T9_mT8_P12ihipStream_tbDpT10_ENKUlT_T0_E_clISt17integral_constantIbLb1EES1A_IbLb0EEEEDaS16_S17_EUlS16_E_NS1_11comp_targetILNS1_3genE5ELNS1_11target_archE942ELNS1_3gpuE9ELNS1_3repE0EEENS1_30default_config_static_selectorELNS0_4arch9wavefront6targetE0EEEvT1_,"axG",@progbits,_ZN7rocprim17ROCPRIM_400000_NS6detail17trampoline_kernelINS0_14default_configENS1_25partition_config_selectorILNS1_17partition_subalgoE6ExNS0_10empty_typeEbEEZZNS1_14partition_implILS5_6ELb0ES3_mN6thrust23THRUST_200600_302600_NS6detail15normal_iteratorINSA_10device_ptrIxEEEEPS6_SG_NS0_5tupleIJNSA_16discard_iteratorINSA_11use_defaultEEES6_EEENSH_IJSG_SG_EEES6_PlJNSB_9not_fun_tI7is_trueIxEEEEEE10hipError_tPvRmT3_T4_T5_T6_T7_T9_mT8_P12ihipStream_tbDpT10_ENKUlT_T0_E_clISt17integral_constantIbLb1EES1A_IbLb0EEEEDaS16_S17_EUlS16_E_NS1_11comp_targetILNS1_3genE5ELNS1_11target_archE942ELNS1_3gpuE9ELNS1_3repE0EEENS1_30default_config_static_selectorELNS0_4arch9wavefront6targetE0EEEvT1_,comdat
.Lfunc_end2254:
	.size	_ZN7rocprim17ROCPRIM_400000_NS6detail17trampoline_kernelINS0_14default_configENS1_25partition_config_selectorILNS1_17partition_subalgoE6ExNS0_10empty_typeEbEEZZNS1_14partition_implILS5_6ELb0ES3_mN6thrust23THRUST_200600_302600_NS6detail15normal_iteratorINSA_10device_ptrIxEEEEPS6_SG_NS0_5tupleIJNSA_16discard_iteratorINSA_11use_defaultEEES6_EEENSH_IJSG_SG_EEES6_PlJNSB_9not_fun_tI7is_trueIxEEEEEE10hipError_tPvRmT3_T4_T5_T6_T7_T9_mT8_P12ihipStream_tbDpT10_ENKUlT_T0_E_clISt17integral_constantIbLb1EES1A_IbLb0EEEEDaS16_S17_EUlS16_E_NS1_11comp_targetILNS1_3genE5ELNS1_11target_archE942ELNS1_3gpuE9ELNS1_3repE0EEENS1_30default_config_static_selectorELNS0_4arch9wavefront6targetE0EEEvT1_, .Lfunc_end2254-_ZN7rocprim17ROCPRIM_400000_NS6detail17trampoline_kernelINS0_14default_configENS1_25partition_config_selectorILNS1_17partition_subalgoE6ExNS0_10empty_typeEbEEZZNS1_14partition_implILS5_6ELb0ES3_mN6thrust23THRUST_200600_302600_NS6detail15normal_iteratorINSA_10device_ptrIxEEEEPS6_SG_NS0_5tupleIJNSA_16discard_iteratorINSA_11use_defaultEEES6_EEENSH_IJSG_SG_EEES6_PlJNSB_9not_fun_tI7is_trueIxEEEEEE10hipError_tPvRmT3_T4_T5_T6_T7_T9_mT8_P12ihipStream_tbDpT10_ENKUlT_T0_E_clISt17integral_constantIbLb1EES1A_IbLb0EEEEDaS16_S17_EUlS16_E_NS1_11comp_targetILNS1_3genE5ELNS1_11target_archE942ELNS1_3gpuE9ELNS1_3repE0EEENS1_30default_config_static_selectorELNS0_4arch9wavefront6targetE0EEEvT1_
                                        ; -- End function
	.set _ZN7rocprim17ROCPRIM_400000_NS6detail17trampoline_kernelINS0_14default_configENS1_25partition_config_selectorILNS1_17partition_subalgoE6ExNS0_10empty_typeEbEEZZNS1_14partition_implILS5_6ELb0ES3_mN6thrust23THRUST_200600_302600_NS6detail15normal_iteratorINSA_10device_ptrIxEEEEPS6_SG_NS0_5tupleIJNSA_16discard_iteratorINSA_11use_defaultEEES6_EEENSH_IJSG_SG_EEES6_PlJNSB_9not_fun_tI7is_trueIxEEEEEE10hipError_tPvRmT3_T4_T5_T6_T7_T9_mT8_P12ihipStream_tbDpT10_ENKUlT_T0_E_clISt17integral_constantIbLb1EES1A_IbLb0EEEEDaS16_S17_EUlS16_E_NS1_11comp_targetILNS1_3genE5ELNS1_11target_archE942ELNS1_3gpuE9ELNS1_3repE0EEENS1_30default_config_static_selectorELNS0_4arch9wavefront6targetE0EEEvT1_.num_vgpr, 0
	.set _ZN7rocprim17ROCPRIM_400000_NS6detail17trampoline_kernelINS0_14default_configENS1_25partition_config_selectorILNS1_17partition_subalgoE6ExNS0_10empty_typeEbEEZZNS1_14partition_implILS5_6ELb0ES3_mN6thrust23THRUST_200600_302600_NS6detail15normal_iteratorINSA_10device_ptrIxEEEEPS6_SG_NS0_5tupleIJNSA_16discard_iteratorINSA_11use_defaultEEES6_EEENSH_IJSG_SG_EEES6_PlJNSB_9not_fun_tI7is_trueIxEEEEEE10hipError_tPvRmT3_T4_T5_T6_T7_T9_mT8_P12ihipStream_tbDpT10_ENKUlT_T0_E_clISt17integral_constantIbLb1EES1A_IbLb0EEEEDaS16_S17_EUlS16_E_NS1_11comp_targetILNS1_3genE5ELNS1_11target_archE942ELNS1_3gpuE9ELNS1_3repE0EEENS1_30default_config_static_selectorELNS0_4arch9wavefront6targetE0EEEvT1_.num_agpr, 0
	.set _ZN7rocprim17ROCPRIM_400000_NS6detail17trampoline_kernelINS0_14default_configENS1_25partition_config_selectorILNS1_17partition_subalgoE6ExNS0_10empty_typeEbEEZZNS1_14partition_implILS5_6ELb0ES3_mN6thrust23THRUST_200600_302600_NS6detail15normal_iteratorINSA_10device_ptrIxEEEEPS6_SG_NS0_5tupleIJNSA_16discard_iteratorINSA_11use_defaultEEES6_EEENSH_IJSG_SG_EEES6_PlJNSB_9not_fun_tI7is_trueIxEEEEEE10hipError_tPvRmT3_T4_T5_T6_T7_T9_mT8_P12ihipStream_tbDpT10_ENKUlT_T0_E_clISt17integral_constantIbLb1EES1A_IbLb0EEEEDaS16_S17_EUlS16_E_NS1_11comp_targetILNS1_3genE5ELNS1_11target_archE942ELNS1_3gpuE9ELNS1_3repE0EEENS1_30default_config_static_selectorELNS0_4arch9wavefront6targetE0EEEvT1_.numbered_sgpr, 0
	.set _ZN7rocprim17ROCPRIM_400000_NS6detail17trampoline_kernelINS0_14default_configENS1_25partition_config_selectorILNS1_17partition_subalgoE6ExNS0_10empty_typeEbEEZZNS1_14partition_implILS5_6ELb0ES3_mN6thrust23THRUST_200600_302600_NS6detail15normal_iteratorINSA_10device_ptrIxEEEEPS6_SG_NS0_5tupleIJNSA_16discard_iteratorINSA_11use_defaultEEES6_EEENSH_IJSG_SG_EEES6_PlJNSB_9not_fun_tI7is_trueIxEEEEEE10hipError_tPvRmT3_T4_T5_T6_T7_T9_mT8_P12ihipStream_tbDpT10_ENKUlT_T0_E_clISt17integral_constantIbLb1EES1A_IbLb0EEEEDaS16_S17_EUlS16_E_NS1_11comp_targetILNS1_3genE5ELNS1_11target_archE942ELNS1_3gpuE9ELNS1_3repE0EEENS1_30default_config_static_selectorELNS0_4arch9wavefront6targetE0EEEvT1_.num_named_barrier, 0
	.set _ZN7rocprim17ROCPRIM_400000_NS6detail17trampoline_kernelINS0_14default_configENS1_25partition_config_selectorILNS1_17partition_subalgoE6ExNS0_10empty_typeEbEEZZNS1_14partition_implILS5_6ELb0ES3_mN6thrust23THRUST_200600_302600_NS6detail15normal_iteratorINSA_10device_ptrIxEEEEPS6_SG_NS0_5tupleIJNSA_16discard_iteratorINSA_11use_defaultEEES6_EEENSH_IJSG_SG_EEES6_PlJNSB_9not_fun_tI7is_trueIxEEEEEE10hipError_tPvRmT3_T4_T5_T6_T7_T9_mT8_P12ihipStream_tbDpT10_ENKUlT_T0_E_clISt17integral_constantIbLb1EES1A_IbLb0EEEEDaS16_S17_EUlS16_E_NS1_11comp_targetILNS1_3genE5ELNS1_11target_archE942ELNS1_3gpuE9ELNS1_3repE0EEENS1_30default_config_static_selectorELNS0_4arch9wavefront6targetE0EEEvT1_.private_seg_size, 0
	.set _ZN7rocprim17ROCPRIM_400000_NS6detail17trampoline_kernelINS0_14default_configENS1_25partition_config_selectorILNS1_17partition_subalgoE6ExNS0_10empty_typeEbEEZZNS1_14partition_implILS5_6ELb0ES3_mN6thrust23THRUST_200600_302600_NS6detail15normal_iteratorINSA_10device_ptrIxEEEEPS6_SG_NS0_5tupleIJNSA_16discard_iteratorINSA_11use_defaultEEES6_EEENSH_IJSG_SG_EEES6_PlJNSB_9not_fun_tI7is_trueIxEEEEEE10hipError_tPvRmT3_T4_T5_T6_T7_T9_mT8_P12ihipStream_tbDpT10_ENKUlT_T0_E_clISt17integral_constantIbLb1EES1A_IbLb0EEEEDaS16_S17_EUlS16_E_NS1_11comp_targetILNS1_3genE5ELNS1_11target_archE942ELNS1_3gpuE9ELNS1_3repE0EEENS1_30default_config_static_selectorELNS0_4arch9wavefront6targetE0EEEvT1_.uses_vcc, 0
	.set _ZN7rocprim17ROCPRIM_400000_NS6detail17trampoline_kernelINS0_14default_configENS1_25partition_config_selectorILNS1_17partition_subalgoE6ExNS0_10empty_typeEbEEZZNS1_14partition_implILS5_6ELb0ES3_mN6thrust23THRUST_200600_302600_NS6detail15normal_iteratorINSA_10device_ptrIxEEEEPS6_SG_NS0_5tupleIJNSA_16discard_iteratorINSA_11use_defaultEEES6_EEENSH_IJSG_SG_EEES6_PlJNSB_9not_fun_tI7is_trueIxEEEEEE10hipError_tPvRmT3_T4_T5_T6_T7_T9_mT8_P12ihipStream_tbDpT10_ENKUlT_T0_E_clISt17integral_constantIbLb1EES1A_IbLb0EEEEDaS16_S17_EUlS16_E_NS1_11comp_targetILNS1_3genE5ELNS1_11target_archE942ELNS1_3gpuE9ELNS1_3repE0EEENS1_30default_config_static_selectorELNS0_4arch9wavefront6targetE0EEEvT1_.uses_flat_scratch, 0
	.set _ZN7rocprim17ROCPRIM_400000_NS6detail17trampoline_kernelINS0_14default_configENS1_25partition_config_selectorILNS1_17partition_subalgoE6ExNS0_10empty_typeEbEEZZNS1_14partition_implILS5_6ELb0ES3_mN6thrust23THRUST_200600_302600_NS6detail15normal_iteratorINSA_10device_ptrIxEEEEPS6_SG_NS0_5tupleIJNSA_16discard_iteratorINSA_11use_defaultEEES6_EEENSH_IJSG_SG_EEES6_PlJNSB_9not_fun_tI7is_trueIxEEEEEE10hipError_tPvRmT3_T4_T5_T6_T7_T9_mT8_P12ihipStream_tbDpT10_ENKUlT_T0_E_clISt17integral_constantIbLb1EES1A_IbLb0EEEEDaS16_S17_EUlS16_E_NS1_11comp_targetILNS1_3genE5ELNS1_11target_archE942ELNS1_3gpuE9ELNS1_3repE0EEENS1_30default_config_static_selectorELNS0_4arch9wavefront6targetE0EEEvT1_.has_dyn_sized_stack, 0
	.set _ZN7rocprim17ROCPRIM_400000_NS6detail17trampoline_kernelINS0_14default_configENS1_25partition_config_selectorILNS1_17partition_subalgoE6ExNS0_10empty_typeEbEEZZNS1_14partition_implILS5_6ELb0ES3_mN6thrust23THRUST_200600_302600_NS6detail15normal_iteratorINSA_10device_ptrIxEEEEPS6_SG_NS0_5tupleIJNSA_16discard_iteratorINSA_11use_defaultEEES6_EEENSH_IJSG_SG_EEES6_PlJNSB_9not_fun_tI7is_trueIxEEEEEE10hipError_tPvRmT3_T4_T5_T6_T7_T9_mT8_P12ihipStream_tbDpT10_ENKUlT_T0_E_clISt17integral_constantIbLb1EES1A_IbLb0EEEEDaS16_S17_EUlS16_E_NS1_11comp_targetILNS1_3genE5ELNS1_11target_archE942ELNS1_3gpuE9ELNS1_3repE0EEENS1_30default_config_static_selectorELNS0_4arch9wavefront6targetE0EEEvT1_.has_recursion, 0
	.set _ZN7rocprim17ROCPRIM_400000_NS6detail17trampoline_kernelINS0_14default_configENS1_25partition_config_selectorILNS1_17partition_subalgoE6ExNS0_10empty_typeEbEEZZNS1_14partition_implILS5_6ELb0ES3_mN6thrust23THRUST_200600_302600_NS6detail15normal_iteratorINSA_10device_ptrIxEEEEPS6_SG_NS0_5tupleIJNSA_16discard_iteratorINSA_11use_defaultEEES6_EEENSH_IJSG_SG_EEES6_PlJNSB_9not_fun_tI7is_trueIxEEEEEE10hipError_tPvRmT3_T4_T5_T6_T7_T9_mT8_P12ihipStream_tbDpT10_ENKUlT_T0_E_clISt17integral_constantIbLb1EES1A_IbLb0EEEEDaS16_S17_EUlS16_E_NS1_11comp_targetILNS1_3genE5ELNS1_11target_archE942ELNS1_3gpuE9ELNS1_3repE0EEENS1_30default_config_static_selectorELNS0_4arch9wavefront6targetE0EEEvT1_.has_indirect_call, 0
	.section	.AMDGPU.csdata,"",@progbits
; Kernel info:
; codeLenInByte = 0
; TotalNumSgprs: 0
; NumVgprs: 0
; ScratchSize: 0
; MemoryBound: 0
; FloatMode: 240
; IeeeMode: 1
; LDSByteSize: 0 bytes/workgroup (compile time only)
; SGPRBlocks: 0
; VGPRBlocks: 0
; NumSGPRsForWavesPerEU: 1
; NumVGPRsForWavesPerEU: 1
; Occupancy: 16
; WaveLimiterHint : 0
; COMPUTE_PGM_RSRC2:SCRATCH_EN: 0
; COMPUTE_PGM_RSRC2:USER_SGPR: 2
; COMPUTE_PGM_RSRC2:TRAP_HANDLER: 0
; COMPUTE_PGM_RSRC2:TGID_X_EN: 1
; COMPUTE_PGM_RSRC2:TGID_Y_EN: 0
; COMPUTE_PGM_RSRC2:TGID_Z_EN: 0
; COMPUTE_PGM_RSRC2:TIDIG_COMP_CNT: 0
	.section	.text._ZN7rocprim17ROCPRIM_400000_NS6detail17trampoline_kernelINS0_14default_configENS1_25partition_config_selectorILNS1_17partition_subalgoE6ExNS0_10empty_typeEbEEZZNS1_14partition_implILS5_6ELb0ES3_mN6thrust23THRUST_200600_302600_NS6detail15normal_iteratorINSA_10device_ptrIxEEEEPS6_SG_NS0_5tupleIJNSA_16discard_iteratorINSA_11use_defaultEEES6_EEENSH_IJSG_SG_EEES6_PlJNSB_9not_fun_tI7is_trueIxEEEEEE10hipError_tPvRmT3_T4_T5_T6_T7_T9_mT8_P12ihipStream_tbDpT10_ENKUlT_T0_E_clISt17integral_constantIbLb1EES1A_IbLb0EEEEDaS16_S17_EUlS16_E_NS1_11comp_targetILNS1_3genE4ELNS1_11target_archE910ELNS1_3gpuE8ELNS1_3repE0EEENS1_30default_config_static_selectorELNS0_4arch9wavefront6targetE0EEEvT1_,"axG",@progbits,_ZN7rocprim17ROCPRIM_400000_NS6detail17trampoline_kernelINS0_14default_configENS1_25partition_config_selectorILNS1_17partition_subalgoE6ExNS0_10empty_typeEbEEZZNS1_14partition_implILS5_6ELb0ES3_mN6thrust23THRUST_200600_302600_NS6detail15normal_iteratorINSA_10device_ptrIxEEEEPS6_SG_NS0_5tupleIJNSA_16discard_iteratorINSA_11use_defaultEEES6_EEENSH_IJSG_SG_EEES6_PlJNSB_9not_fun_tI7is_trueIxEEEEEE10hipError_tPvRmT3_T4_T5_T6_T7_T9_mT8_P12ihipStream_tbDpT10_ENKUlT_T0_E_clISt17integral_constantIbLb1EES1A_IbLb0EEEEDaS16_S17_EUlS16_E_NS1_11comp_targetILNS1_3genE4ELNS1_11target_archE910ELNS1_3gpuE8ELNS1_3repE0EEENS1_30default_config_static_selectorELNS0_4arch9wavefront6targetE0EEEvT1_,comdat
	.protected	_ZN7rocprim17ROCPRIM_400000_NS6detail17trampoline_kernelINS0_14default_configENS1_25partition_config_selectorILNS1_17partition_subalgoE6ExNS0_10empty_typeEbEEZZNS1_14partition_implILS5_6ELb0ES3_mN6thrust23THRUST_200600_302600_NS6detail15normal_iteratorINSA_10device_ptrIxEEEEPS6_SG_NS0_5tupleIJNSA_16discard_iteratorINSA_11use_defaultEEES6_EEENSH_IJSG_SG_EEES6_PlJNSB_9not_fun_tI7is_trueIxEEEEEE10hipError_tPvRmT3_T4_T5_T6_T7_T9_mT8_P12ihipStream_tbDpT10_ENKUlT_T0_E_clISt17integral_constantIbLb1EES1A_IbLb0EEEEDaS16_S17_EUlS16_E_NS1_11comp_targetILNS1_3genE4ELNS1_11target_archE910ELNS1_3gpuE8ELNS1_3repE0EEENS1_30default_config_static_selectorELNS0_4arch9wavefront6targetE0EEEvT1_ ; -- Begin function _ZN7rocprim17ROCPRIM_400000_NS6detail17trampoline_kernelINS0_14default_configENS1_25partition_config_selectorILNS1_17partition_subalgoE6ExNS0_10empty_typeEbEEZZNS1_14partition_implILS5_6ELb0ES3_mN6thrust23THRUST_200600_302600_NS6detail15normal_iteratorINSA_10device_ptrIxEEEEPS6_SG_NS0_5tupleIJNSA_16discard_iteratorINSA_11use_defaultEEES6_EEENSH_IJSG_SG_EEES6_PlJNSB_9not_fun_tI7is_trueIxEEEEEE10hipError_tPvRmT3_T4_T5_T6_T7_T9_mT8_P12ihipStream_tbDpT10_ENKUlT_T0_E_clISt17integral_constantIbLb1EES1A_IbLb0EEEEDaS16_S17_EUlS16_E_NS1_11comp_targetILNS1_3genE4ELNS1_11target_archE910ELNS1_3gpuE8ELNS1_3repE0EEENS1_30default_config_static_selectorELNS0_4arch9wavefront6targetE0EEEvT1_
	.globl	_ZN7rocprim17ROCPRIM_400000_NS6detail17trampoline_kernelINS0_14default_configENS1_25partition_config_selectorILNS1_17partition_subalgoE6ExNS0_10empty_typeEbEEZZNS1_14partition_implILS5_6ELb0ES3_mN6thrust23THRUST_200600_302600_NS6detail15normal_iteratorINSA_10device_ptrIxEEEEPS6_SG_NS0_5tupleIJNSA_16discard_iteratorINSA_11use_defaultEEES6_EEENSH_IJSG_SG_EEES6_PlJNSB_9not_fun_tI7is_trueIxEEEEEE10hipError_tPvRmT3_T4_T5_T6_T7_T9_mT8_P12ihipStream_tbDpT10_ENKUlT_T0_E_clISt17integral_constantIbLb1EES1A_IbLb0EEEEDaS16_S17_EUlS16_E_NS1_11comp_targetILNS1_3genE4ELNS1_11target_archE910ELNS1_3gpuE8ELNS1_3repE0EEENS1_30default_config_static_selectorELNS0_4arch9wavefront6targetE0EEEvT1_
	.p2align	8
	.type	_ZN7rocprim17ROCPRIM_400000_NS6detail17trampoline_kernelINS0_14default_configENS1_25partition_config_selectorILNS1_17partition_subalgoE6ExNS0_10empty_typeEbEEZZNS1_14partition_implILS5_6ELb0ES3_mN6thrust23THRUST_200600_302600_NS6detail15normal_iteratorINSA_10device_ptrIxEEEEPS6_SG_NS0_5tupleIJNSA_16discard_iteratorINSA_11use_defaultEEES6_EEENSH_IJSG_SG_EEES6_PlJNSB_9not_fun_tI7is_trueIxEEEEEE10hipError_tPvRmT3_T4_T5_T6_T7_T9_mT8_P12ihipStream_tbDpT10_ENKUlT_T0_E_clISt17integral_constantIbLb1EES1A_IbLb0EEEEDaS16_S17_EUlS16_E_NS1_11comp_targetILNS1_3genE4ELNS1_11target_archE910ELNS1_3gpuE8ELNS1_3repE0EEENS1_30default_config_static_selectorELNS0_4arch9wavefront6targetE0EEEvT1_,@function
_ZN7rocprim17ROCPRIM_400000_NS6detail17trampoline_kernelINS0_14default_configENS1_25partition_config_selectorILNS1_17partition_subalgoE6ExNS0_10empty_typeEbEEZZNS1_14partition_implILS5_6ELb0ES3_mN6thrust23THRUST_200600_302600_NS6detail15normal_iteratorINSA_10device_ptrIxEEEEPS6_SG_NS0_5tupleIJNSA_16discard_iteratorINSA_11use_defaultEEES6_EEENSH_IJSG_SG_EEES6_PlJNSB_9not_fun_tI7is_trueIxEEEEEE10hipError_tPvRmT3_T4_T5_T6_T7_T9_mT8_P12ihipStream_tbDpT10_ENKUlT_T0_E_clISt17integral_constantIbLb1EES1A_IbLb0EEEEDaS16_S17_EUlS16_E_NS1_11comp_targetILNS1_3genE4ELNS1_11target_archE910ELNS1_3gpuE8ELNS1_3repE0EEENS1_30default_config_static_selectorELNS0_4arch9wavefront6targetE0EEEvT1_: ; @_ZN7rocprim17ROCPRIM_400000_NS6detail17trampoline_kernelINS0_14default_configENS1_25partition_config_selectorILNS1_17partition_subalgoE6ExNS0_10empty_typeEbEEZZNS1_14partition_implILS5_6ELb0ES3_mN6thrust23THRUST_200600_302600_NS6detail15normal_iteratorINSA_10device_ptrIxEEEEPS6_SG_NS0_5tupleIJNSA_16discard_iteratorINSA_11use_defaultEEES6_EEENSH_IJSG_SG_EEES6_PlJNSB_9not_fun_tI7is_trueIxEEEEEE10hipError_tPvRmT3_T4_T5_T6_T7_T9_mT8_P12ihipStream_tbDpT10_ENKUlT_T0_E_clISt17integral_constantIbLb1EES1A_IbLb0EEEEDaS16_S17_EUlS16_E_NS1_11comp_targetILNS1_3genE4ELNS1_11target_archE910ELNS1_3gpuE8ELNS1_3repE0EEENS1_30default_config_static_selectorELNS0_4arch9wavefront6targetE0EEEvT1_
; %bb.0:
	.section	.rodata,"a",@progbits
	.p2align	6, 0x0
	.amdhsa_kernel _ZN7rocprim17ROCPRIM_400000_NS6detail17trampoline_kernelINS0_14default_configENS1_25partition_config_selectorILNS1_17partition_subalgoE6ExNS0_10empty_typeEbEEZZNS1_14partition_implILS5_6ELb0ES3_mN6thrust23THRUST_200600_302600_NS6detail15normal_iteratorINSA_10device_ptrIxEEEEPS6_SG_NS0_5tupleIJNSA_16discard_iteratorINSA_11use_defaultEEES6_EEENSH_IJSG_SG_EEES6_PlJNSB_9not_fun_tI7is_trueIxEEEEEE10hipError_tPvRmT3_T4_T5_T6_T7_T9_mT8_P12ihipStream_tbDpT10_ENKUlT_T0_E_clISt17integral_constantIbLb1EES1A_IbLb0EEEEDaS16_S17_EUlS16_E_NS1_11comp_targetILNS1_3genE4ELNS1_11target_archE910ELNS1_3gpuE8ELNS1_3repE0EEENS1_30default_config_static_selectorELNS0_4arch9wavefront6targetE0EEEvT1_
		.amdhsa_group_segment_fixed_size 0
		.amdhsa_private_segment_fixed_size 0
		.amdhsa_kernarg_size 120
		.amdhsa_user_sgpr_count 2
		.amdhsa_user_sgpr_dispatch_ptr 0
		.amdhsa_user_sgpr_queue_ptr 0
		.amdhsa_user_sgpr_kernarg_segment_ptr 1
		.amdhsa_user_sgpr_dispatch_id 0
		.amdhsa_user_sgpr_private_segment_size 0
		.amdhsa_wavefront_size32 1
		.amdhsa_uses_dynamic_stack 0
		.amdhsa_enable_private_segment 0
		.amdhsa_system_sgpr_workgroup_id_x 1
		.amdhsa_system_sgpr_workgroup_id_y 0
		.amdhsa_system_sgpr_workgroup_id_z 0
		.amdhsa_system_sgpr_workgroup_info 0
		.amdhsa_system_vgpr_workitem_id 0
		.amdhsa_next_free_vgpr 1
		.amdhsa_next_free_sgpr 1
		.amdhsa_reserve_vcc 0
		.amdhsa_float_round_mode_32 0
		.amdhsa_float_round_mode_16_64 0
		.amdhsa_float_denorm_mode_32 3
		.amdhsa_float_denorm_mode_16_64 3
		.amdhsa_fp16_overflow 0
		.amdhsa_workgroup_processor_mode 1
		.amdhsa_memory_ordered 1
		.amdhsa_forward_progress 1
		.amdhsa_inst_pref_size 0
		.amdhsa_round_robin_scheduling 0
		.amdhsa_exception_fp_ieee_invalid_op 0
		.amdhsa_exception_fp_denorm_src 0
		.amdhsa_exception_fp_ieee_div_zero 0
		.amdhsa_exception_fp_ieee_overflow 0
		.amdhsa_exception_fp_ieee_underflow 0
		.amdhsa_exception_fp_ieee_inexact 0
		.amdhsa_exception_int_div_zero 0
	.end_amdhsa_kernel
	.section	.text._ZN7rocprim17ROCPRIM_400000_NS6detail17trampoline_kernelINS0_14default_configENS1_25partition_config_selectorILNS1_17partition_subalgoE6ExNS0_10empty_typeEbEEZZNS1_14partition_implILS5_6ELb0ES3_mN6thrust23THRUST_200600_302600_NS6detail15normal_iteratorINSA_10device_ptrIxEEEEPS6_SG_NS0_5tupleIJNSA_16discard_iteratorINSA_11use_defaultEEES6_EEENSH_IJSG_SG_EEES6_PlJNSB_9not_fun_tI7is_trueIxEEEEEE10hipError_tPvRmT3_T4_T5_T6_T7_T9_mT8_P12ihipStream_tbDpT10_ENKUlT_T0_E_clISt17integral_constantIbLb1EES1A_IbLb0EEEEDaS16_S17_EUlS16_E_NS1_11comp_targetILNS1_3genE4ELNS1_11target_archE910ELNS1_3gpuE8ELNS1_3repE0EEENS1_30default_config_static_selectorELNS0_4arch9wavefront6targetE0EEEvT1_,"axG",@progbits,_ZN7rocprim17ROCPRIM_400000_NS6detail17trampoline_kernelINS0_14default_configENS1_25partition_config_selectorILNS1_17partition_subalgoE6ExNS0_10empty_typeEbEEZZNS1_14partition_implILS5_6ELb0ES3_mN6thrust23THRUST_200600_302600_NS6detail15normal_iteratorINSA_10device_ptrIxEEEEPS6_SG_NS0_5tupleIJNSA_16discard_iteratorINSA_11use_defaultEEES6_EEENSH_IJSG_SG_EEES6_PlJNSB_9not_fun_tI7is_trueIxEEEEEE10hipError_tPvRmT3_T4_T5_T6_T7_T9_mT8_P12ihipStream_tbDpT10_ENKUlT_T0_E_clISt17integral_constantIbLb1EES1A_IbLb0EEEEDaS16_S17_EUlS16_E_NS1_11comp_targetILNS1_3genE4ELNS1_11target_archE910ELNS1_3gpuE8ELNS1_3repE0EEENS1_30default_config_static_selectorELNS0_4arch9wavefront6targetE0EEEvT1_,comdat
.Lfunc_end2255:
	.size	_ZN7rocprim17ROCPRIM_400000_NS6detail17trampoline_kernelINS0_14default_configENS1_25partition_config_selectorILNS1_17partition_subalgoE6ExNS0_10empty_typeEbEEZZNS1_14partition_implILS5_6ELb0ES3_mN6thrust23THRUST_200600_302600_NS6detail15normal_iteratorINSA_10device_ptrIxEEEEPS6_SG_NS0_5tupleIJNSA_16discard_iteratorINSA_11use_defaultEEES6_EEENSH_IJSG_SG_EEES6_PlJNSB_9not_fun_tI7is_trueIxEEEEEE10hipError_tPvRmT3_T4_T5_T6_T7_T9_mT8_P12ihipStream_tbDpT10_ENKUlT_T0_E_clISt17integral_constantIbLb1EES1A_IbLb0EEEEDaS16_S17_EUlS16_E_NS1_11comp_targetILNS1_3genE4ELNS1_11target_archE910ELNS1_3gpuE8ELNS1_3repE0EEENS1_30default_config_static_selectorELNS0_4arch9wavefront6targetE0EEEvT1_, .Lfunc_end2255-_ZN7rocprim17ROCPRIM_400000_NS6detail17trampoline_kernelINS0_14default_configENS1_25partition_config_selectorILNS1_17partition_subalgoE6ExNS0_10empty_typeEbEEZZNS1_14partition_implILS5_6ELb0ES3_mN6thrust23THRUST_200600_302600_NS6detail15normal_iteratorINSA_10device_ptrIxEEEEPS6_SG_NS0_5tupleIJNSA_16discard_iteratorINSA_11use_defaultEEES6_EEENSH_IJSG_SG_EEES6_PlJNSB_9not_fun_tI7is_trueIxEEEEEE10hipError_tPvRmT3_T4_T5_T6_T7_T9_mT8_P12ihipStream_tbDpT10_ENKUlT_T0_E_clISt17integral_constantIbLb1EES1A_IbLb0EEEEDaS16_S17_EUlS16_E_NS1_11comp_targetILNS1_3genE4ELNS1_11target_archE910ELNS1_3gpuE8ELNS1_3repE0EEENS1_30default_config_static_selectorELNS0_4arch9wavefront6targetE0EEEvT1_
                                        ; -- End function
	.set _ZN7rocprim17ROCPRIM_400000_NS6detail17trampoline_kernelINS0_14default_configENS1_25partition_config_selectorILNS1_17partition_subalgoE6ExNS0_10empty_typeEbEEZZNS1_14partition_implILS5_6ELb0ES3_mN6thrust23THRUST_200600_302600_NS6detail15normal_iteratorINSA_10device_ptrIxEEEEPS6_SG_NS0_5tupleIJNSA_16discard_iteratorINSA_11use_defaultEEES6_EEENSH_IJSG_SG_EEES6_PlJNSB_9not_fun_tI7is_trueIxEEEEEE10hipError_tPvRmT3_T4_T5_T6_T7_T9_mT8_P12ihipStream_tbDpT10_ENKUlT_T0_E_clISt17integral_constantIbLb1EES1A_IbLb0EEEEDaS16_S17_EUlS16_E_NS1_11comp_targetILNS1_3genE4ELNS1_11target_archE910ELNS1_3gpuE8ELNS1_3repE0EEENS1_30default_config_static_selectorELNS0_4arch9wavefront6targetE0EEEvT1_.num_vgpr, 0
	.set _ZN7rocprim17ROCPRIM_400000_NS6detail17trampoline_kernelINS0_14default_configENS1_25partition_config_selectorILNS1_17partition_subalgoE6ExNS0_10empty_typeEbEEZZNS1_14partition_implILS5_6ELb0ES3_mN6thrust23THRUST_200600_302600_NS6detail15normal_iteratorINSA_10device_ptrIxEEEEPS6_SG_NS0_5tupleIJNSA_16discard_iteratorINSA_11use_defaultEEES6_EEENSH_IJSG_SG_EEES6_PlJNSB_9not_fun_tI7is_trueIxEEEEEE10hipError_tPvRmT3_T4_T5_T6_T7_T9_mT8_P12ihipStream_tbDpT10_ENKUlT_T0_E_clISt17integral_constantIbLb1EES1A_IbLb0EEEEDaS16_S17_EUlS16_E_NS1_11comp_targetILNS1_3genE4ELNS1_11target_archE910ELNS1_3gpuE8ELNS1_3repE0EEENS1_30default_config_static_selectorELNS0_4arch9wavefront6targetE0EEEvT1_.num_agpr, 0
	.set _ZN7rocprim17ROCPRIM_400000_NS6detail17trampoline_kernelINS0_14default_configENS1_25partition_config_selectorILNS1_17partition_subalgoE6ExNS0_10empty_typeEbEEZZNS1_14partition_implILS5_6ELb0ES3_mN6thrust23THRUST_200600_302600_NS6detail15normal_iteratorINSA_10device_ptrIxEEEEPS6_SG_NS0_5tupleIJNSA_16discard_iteratorINSA_11use_defaultEEES6_EEENSH_IJSG_SG_EEES6_PlJNSB_9not_fun_tI7is_trueIxEEEEEE10hipError_tPvRmT3_T4_T5_T6_T7_T9_mT8_P12ihipStream_tbDpT10_ENKUlT_T0_E_clISt17integral_constantIbLb1EES1A_IbLb0EEEEDaS16_S17_EUlS16_E_NS1_11comp_targetILNS1_3genE4ELNS1_11target_archE910ELNS1_3gpuE8ELNS1_3repE0EEENS1_30default_config_static_selectorELNS0_4arch9wavefront6targetE0EEEvT1_.numbered_sgpr, 0
	.set _ZN7rocprim17ROCPRIM_400000_NS6detail17trampoline_kernelINS0_14default_configENS1_25partition_config_selectorILNS1_17partition_subalgoE6ExNS0_10empty_typeEbEEZZNS1_14partition_implILS5_6ELb0ES3_mN6thrust23THRUST_200600_302600_NS6detail15normal_iteratorINSA_10device_ptrIxEEEEPS6_SG_NS0_5tupleIJNSA_16discard_iteratorINSA_11use_defaultEEES6_EEENSH_IJSG_SG_EEES6_PlJNSB_9not_fun_tI7is_trueIxEEEEEE10hipError_tPvRmT3_T4_T5_T6_T7_T9_mT8_P12ihipStream_tbDpT10_ENKUlT_T0_E_clISt17integral_constantIbLb1EES1A_IbLb0EEEEDaS16_S17_EUlS16_E_NS1_11comp_targetILNS1_3genE4ELNS1_11target_archE910ELNS1_3gpuE8ELNS1_3repE0EEENS1_30default_config_static_selectorELNS0_4arch9wavefront6targetE0EEEvT1_.num_named_barrier, 0
	.set _ZN7rocprim17ROCPRIM_400000_NS6detail17trampoline_kernelINS0_14default_configENS1_25partition_config_selectorILNS1_17partition_subalgoE6ExNS0_10empty_typeEbEEZZNS1_14partition_implILS5_6ELb0ES3_mN6thrust23THRUST_200600_302600_NS6detail15normal_iteratorINSA_10device_ptrIxEEEEPS6_SG_NS0_5tupleIJNSA_16discard_iteratorINSA_11use_defaultEEES6_EEENSH_IJSG_SG_EEES6_PlJNSB_9not_fun_tI7is_trueIxEEEEEE10hipError_tPvRmT3_T4_T5_T6_T7_T9_mT8_P12ihipStream_tbDpT10_ENKUlT_T0_E_clISt17integral_constantIbLb1EES1A_IbLb0EEEEDaS16_S17_EUlS16_E_NS1_11comp_targetILNS1_3genE4ELNS1_11target_archE910ELNS1_3gpuE8ELNS1_3repE0EEENS1_30default_config_static_selectorELNS0_4arch9wavefront6targetE0EEEvT1_.private_seg_size, 0
	.set _ZN7rocprim17ROCPRIM_400000_NS6detail17trampoline_kernelINS0_14default_configENS1_25partition_config_selectorILNS1_17partition_subalgoE6ExNS0_10empty_typeEbEEZZNS1_14partition_implILS5_6ELb0ES3_mN6thrust23THRUST_200600_302600_NS6detail15normal_iteratorINSA_10device_ptrIxEEEEPS6_SG_NS0_5tupleIJNSA_16discard_iteratorINSA_11use_defaultEEES6_EEENSH_IJSG_SG_EEES6_PlJNSB_9not_fun_tI7is_trueIxEEEEEE10hipError_tPvRmT3_T4_T5_T6_T7_T9_mT8_P12ihipStream_tbDpT10_ENKUlT_T0_E_clISt17integral_constantIbLb1EES1A_IbLb0EEEEDaS16_S17_EUlS16_E_NS1_11comp_targetILNS1_3genE4ELNS1_11target_archE910ELNS1_3gpuE8ELNS1_3repE0EEENS1_30default_config_static_selectorELNS0_4arch9wavefront6targetE0EEEvT1_.uses_vcc, 0
	.set _ZN7rocprim17ROCPRIM_400000_NS6detail17trampoline_kernelINS0_14default_configENS1_25partition_config_selectorILNS1_17partition_subalgoE6ExNS0_10empty_typeEbEEZZNS1_14partition_implILS5_6ELb0ES3_mN6thrust23THRUST_200600_302600_NS6detail15normal_iteratorINSA_10device_ptrIxEEEEPS6_SG_NS0_5tupleIJNSA_16discard_iteratorINSA_11use_defaultEEES6_EEENSH_IJSG_SG_EEES6_PlJNSB_9not_fun_tI7is_trueIxEEEEEE10hipError_tPvRmT3_T4_T5_T6_T7_T9_mT8_P12ihipStream_tbDpT10_ENKUlT_T0_E_clISt17integral_constantIbLb1EES1A_IbLb0EEEEDaS16_S17_EUlS16_E_NS1_11comp_targetILNS1_3genE4ELNS1_11target_archE910ELNS1_3gpuE8ELNS1_3repE0EEENS1_30default_config_static_selectorELNS0_4arch9wavefront6targetE0EEEvT1_.uses_flat_scratch, 0
	.set _ZN7rocprim17ROCPRIM_400000_NS6detail17trampoline_kernelINS0_14default_configENS1_25partition_config_selectorILNS1_17partition_subalgoE6ExNS0_10empty_typeEbEEZZNS1_14partition_implILS5_6ELb0ES3_mN6thrust23THRUST_200600_302600_NS6detail15normal_iteratorINSA_10device_ptrIxEEEEPS6_SG_NS0_5tupleIJNSA_16discard_iteratorINSA_11use_defaultEEES6_EEENSH_IJSG_SG_EEES6_PlJNSB_9not_fun_tI7is_trueIxEEEEEE10hipError_tPvRmT3_T4_T5_T6_T7_T9_mT8_P12ihipStream_tbDpT10_ENKUlT_T0_E_clISt17integral_constantIbLb1EES1A_IbLb0EEEEDaS16_S17_EUlS16_E_NS1_11comp_targetILNS1_3genE4ELNS1_11target_archE910ELNS1_3gpuE8ELNS1_3repE0EEENS1_30default_config_static_selectorELNS0_4arch9wavefront6targetE0EEEvT1_.has_dyn_sized_stack, 0
	.set _ZN7rocprim17ROCPRIM_400000_NS6detail17trampoline_kernelINS0_14default_configENS1_25partition_config_selectorILNS1_17partition_subalgoE6ExNS0_10empty_typeEbEEZZNS1_14partition_implILS5_6ELb0ES3_mN6thrust23THRUST_200600_302600_NS6detail15normal_iteratorINSA_10device_ptrIxEEEEPS6_SG_NS0_5tupleIJNSA_16discard_iteratorINSA_11use_defaultEEES6_EEENSH_IJSG_SG_EEES6_PlJNSB_9not_fun_tI7is_trueIxEEEEEE10hipError_tPvRmT3_T4_T5_T6_T7_T9_mT8_P12ihipStream_tbDpT10_ENKUlT_T0_E_clISt17integral_constantIbLb1EES1A_IbLb0EEEEDaS16_S17_EUlS16_E_NS1_11comp_targetILNS1_3genE4ELNS1_11target_archE910ELNS1_3gpuE8ELNS1_3repE0EEENS1_30default_config_static_selectorELNS0_4arch9wavefront6targetE0EEEvT1_.has_recursion, 0
	.set _ZN7rocprim17ROCPRIM_400000_NS6detail17trampoline_kernelINS0_14default_configENS1_25partition_config_selectorILNS1_17partition_subalgoE6ExNS0_10empty_typeEbEEZZNS1_14partition_implILS5_6ELb0ES3_mN6thrust23THRUST_200600_302600_NS6detail15normal_iteratorINSA_10device_ptrIxEEEEPS6_SG_NS0_5tupleIJNSA_16discard_iteratorINSA_11use_defaultEEES6_EEENSH_IJSG_SG_EEES6_PlJNSB_9not_fun_tI7is_trueIxEEEEEE10hipError_tPvRmT3_T4_T5_T6_T7_T9_mT8_P12ihipStream_tbDpT10_ENKUlT_T0_E_clISt17integral_constantIbLb1EES1A_IbLb0EEEEDaS16_S17_EUlS16_E_NS1_11comp_targetILNS1_3genE4ELNS1_11target_archE910ELNS1_3gpuE8ELNS1_3repE0EEENS1_30default_config_static_selectorELNS0_4arch9wavefront6targetE0EEEvT1_.has_indirect_call, 0
	.section	.AMDGPU.csdata,"",@progbits
; Kernel info:
; codeLenInByte = 0
; TotalNumSgprs: 0
; NumVgprs: 0
; ScratchSize: 0
; MemoryBound: 0
; FloatMode: 240
; IeeeMode: 1
; LDSByteSize: 0 bytes/workgroup (compile time only)
; SGPRBlocks: 0
; VGPRBlocks: 0
; NumSGPRsForWavesPerEU: 1
; NumVGPRsForWavesPerEU: 1
; Occupancy: 16
; WaveLimiterHint : 0
; COMPUTE_PGM_RSRC2:SCRATCH_EN: 0
; COMPUTE_PGM_RSRC2:USER_SGPR: 2
; COMPUTE_PGM_RSRC2:TRAP_HANDLER: 0
; COMPUTE_PGM_RSRC2:TGID_X_EN: 1
; COMPUTE_PGM_RSRC2:TGID_Y_EN: 0
; COMPUTE_PGM_RSRC2:TGID_Z_EN: 0
; COMPUTE_PGM_RSRC2:TIDIG_COMP_CNT: 0
	.section	.text._ZN7rocprim17ROCPRIM_400000_NS6detail17trampoline_kernelINS0_14default_configENS1_25partition_config_selectorILNS1_17partition_subalgoE6ExNS0_10empty_typeEbEEZZNS1_14partition_implILS5_6ELb0ES3_mN6thrust23THRUST_200600_302600_NS6detail15normal_iteratorINSA_10device_ptrIxEEEEPS6_SG_NS0_5tupleIJNSA_16discard_iteratorINSA_11use_defaultEEES6_EEENSH_IJSG_SG_EEES6_PlJNSB_9not_fun_tI7is_trueIxEEEEEE10hipError_tPvRmT3_T4_T5_T6_T7_T9_mT8_P12ihipStream_tbDpT10_ENKUlT_T0_E_clISt17integral_constantIbLb1EES1A_IbLb0EEEEDaS16_S17_EUlS16_E_NS1_11comp_targetILNS1_3genE3ELNS1_11target_archE908ELNS1_3gpuE7ELNS1_3repE0EEENS1_30default_config_static_selectorELNS0_4arch9wavefront6targetE0EEEvT1_,"axG",@progbits,_ZN7rocprim17ROCPRIM_400000_NS6detail17trampoline_kernelINS0_14default_configENS1_25partition_config_selectorILNS1_17partition_subalgoE6ExNS0_10empty_typeEbEEZZNS1_14partition_implILS5_6ELb0ES3_mN6thrust23THRUST_200600_302600_NS6detail15normal_iteratorINSA_10device_ptrIxEEEEPS6_SG_NS0_5tupleIJNSA_16discard_iteratorINSA_11use_defaultEEES6_EEENSH_IJSG_SG_EEES6_PlJNSB_9not_fun_tI7is_trueIxEEEEEE10hipError_tPvRmT3_T4_T5_T6_T7_T9_mT8_P12ihipStream_tbDpT10_ENKUlT_T0_E_clISt17integral_constantIbLb1EES1A_IbLb0EEEEDaS16_S17_EUlS16_E_NS1_11comp_targetILNS1_3genE3ELNS1_11target_archE908ELNS1_3gpuE7ELNS1_3repE0EEENS1_30default_config_static_selectorELNS0_4arch9wavefront6targetE0EEEvT1_,comdat
	.protected	_ZN7rocprim17ROCPRIM_400000_NS6detail17trampoline_kernelINS0_14default_configENS1_25partition_config_selectorILNS1_17partition_subalgoE6ExNS0_10empty_typeEbEEZZNS1_14partition_implILS5_6ELb0ES3_mN6thrust23THRUST_200600_302600_NS6detail15normal_iteratorINSA_10device_ptrIxEEEEPS6_SG_NS0_5tupleIJNSA_16discard_iteratorINSA_11use_defaultEEES6_EEENSH_IJSG_SG_EEES6_PlJNSB_9not_fun_tI7is_trueIxEEEEEE10hipError_tPvRmT3_T4_T5_T6_T7_T9_mT8_P12ihipStream_tbDpT10_ENKUlT_T0_E_clISt17integral_constantIbLb1EES1A_IbLb0EEEEDaS16_S17_EUlS16_E_NS1_11comp_targetILNS1_3genE3ELNS1_11target_archE908ELNS1_3gpuE7ELNS1_3repE0EEENS1_30default_config_static_selectorELNS0_4arch9wavefront6targetE0EEEvT1_ ; -- Begin function _ZN7rocprim17ROCPRIM_400000_NS6detail17trampoline_kernelINS0_14default_configENS1_25partition_config_selectorILNS1_17partition_subalgoE6ExNS0_10empty_typeEbEEZZNS1_14partition_implILS5_6ELb0ES3_mN6thrust23THRUST_200600_302600_NS6detail15normal_iteratorINSA_10device_ptrIxEEEEPS6_SG_NS0_5tupleIJNSA_16discard_iteratorINSA_11use_defaultEEES6_EEENSH_IJSG_SG_EEES6_PlJNSB_9not_fun_tI7is_trueIxEEEEEE10hipError_tPvRmT3_T4_T5_T6_T7_T9_mT8_P12ihipStream_tbDpT10_ENKUlT_T0_E_clISt17integral_constantIbLb1EES1A_IbLb0EEEEDaS16_S17_EUlS16_E_NS1_11comp_targetILNS1_3genE3ELNS1_11target_archE908ELNS1_3gpuE7ELNS1_3repE0EEENS1_30default_config_static_selectorELNS0_4arch9wavefront6targetE0EEEvT1_
	.globl	_ZN7rocprim17ROCPRIM_400000_NS6detail17trampoline_kernelINS0_14default_configENS1_25partition_config_selectorILNS1_17partition_subalgoE6ExNS0_10empty_typeEbEEZZNS1_14partition_implILS5_6ELb0ES3_mN6thrust23THRUST_200600_302600_NS6detail15normal_iteratorINSA_10device_ptrIxEEEEPS6_SG_NS0_5tupleIJNSA_16discard_iteratorINSA_11use_defaultEEES6_EEENSH_IJSG_SG_EEES6_PlJNSB_9not_fun_tI7is_trueIxEEEEEE10hipError_tPvRmT3_T4_T5_T6_T7_T9_mT8_P12ihipStream_tbDpT10_ENKUlT_T0_E_clISt17integral_constantIbLb1EES1A_IbLb0EEEEDaS16_S17_EUlS16_E_NS1_11comp_targetILNS1_3genE3ELNS1_11target_archE908ELNS1_3gpuE7ELNS1_3repE0EEENS1_30default_config_static_selectorELNS0_4arch9wavefront6targetE0EEEvT1_
	.p2align	8
	.type	_ZN7rocprim17ROCPRIM_400000_NS6detail17trampoline_kernelINS0_14default_configENS1_25partition_config_selectorILNS1_17partition_subalgoE6ExNS0_10empty_typeEbEEZZNS1_14partition_implILS5_6ELb0ES3_mN6thrust23THRUST_200600_302600_NS6detail15normal_iteratorINSA_10device_ptrIxEEEEPS6_SG_NS0_5tupleIJNSA_16discard_iteratorINSA_11use_defaultEEES6_EEENSH_IJSG_SG_EEES6_PlJNSB_9not_fun_tI7is_trueIxEEEEEE10hipError_tPvRmT3_T4_T5_T6_T7_T9_mT8_P12ihipStream_tbDpT10_ENKUlT_T0_E_clISt17integral_constantIbLb1EES1A_IbLb0EEEEDaS16_S17_EUlS16_E_NS1_11comp_targetILNS1_3genE3ELNS1_11target_archE908ELNS1_3gpuE7ELNS1_3repE0EEENS1_30default_config_static_selectorELNS0_4arch9wavefront6targetE0EEEvT1_,@function
_ZN7rocprim17ROCPRIM_400000_NS6detail17trampoline_kernelINS0_14default_configENS1_25partition_config_selectorILNS1_17partition_subalgoE6ExNS0_10empty_typeEbEEZZNS1_14partition_implILS5_6ELb0ES3_mN6thrust23THRUST_200600_302600_NS6detail15normal_iteratorINSA_10device_ptrIxEEEEPS6_SG_NS0_5tupleIJNSA_16discard_iteratorINSA_11use_defaultEEES6_EEENSH_IJSG_SG_EEES6_PlJNSB_9not_fun_tI7is_trueIxEEEEEE10hipError_tPvRmT3_T4_T5_T6_T7_T9_mT8_P12ihipStream_tbDpT10_ENKUlT_T0_E_clISt17integral_constantIbLb1EES1A_IbLb0EEEEDaS16_S17_EUlS16_E_NS1_11comp_targetILNS1_3genE3ELNS1_11target_archE908ELNS1_3gpuE7ELNS1_3repE0EEENS1_30default_config_static_selectorELNS0_4arch9wavefront6targetE0EEEvT1_: ; @_ZN7rocprim17ROCPRIM_400000_NS6detail17trampoline_kernelINS0_14default_configENS1_25partition_config_selectorILNS1_17partition_subalgoE6ExNS0_10empty_typeEbEEZZNS1_14partition_implILS5_6ELb0ES3_mN6thrust23THRUST_200600_302600_NS6detail15normal_iteratorINSA_10device_ptrIxEEEEPS6_SG_NS0_5tupleIJNSA_16discard_iteratorINSA_11use_defaultEEES6_EEENSH_IJSG_SG_EEES6_PlJNSB_9not_fun_tI7is_trueIxEEEEEE10hipError_tPvRmT3_T4_T5_T6_T7_T9_mT8_P12ihipStream_tbDpT10_ENKUlT_T0_E_clISt17integral_constantIbLb1EES1A_IbLb0EEEEDaS16_S17_EUlS16_E_NS1_11comp_targetILNS1_3genE3ELNS1_11target_archE908ELNS1_3gpuE7ELNS1_3repE0EEENS1_30default_config_static_selectorELNS0_4arch9wavefront6targetE0EEEvT1_
; %bb.0:
	.section	.rodata,"a",@progbits
	.p2align	6, 0x0
	.amdhsa_kernel _ZN7rocprim17ROCPRIM_400000_NS6detail17trampoline_kernelINS0_14default_configENS1_25partition_config_selectorILNS1_17partition_subalgoE6ExNS0_10empty_typeEbEEZZNS1_14partition_implILS5_6ELb0ES3_mN6thrust23THRUST_200600_302600_NS6detail15normal_iteratorINSA_10device_ptrIxEEEEPS6_SG_NS0_5tupleIJNSA_16discard_iteratorINSA_11use_defaultEEES6_EEENSH_IJSG_SG_EEES6_PlJNSB_9not_fun_tI7is_trueIxEEEEEE10hipError_tPvRmT3_T4_T5_T6_T7_T9_mT8_P12ihipStream_tbDpT10_ENKUlT_T0_E_clISt17integral_constantIbLb1EES1A_IbLb0EEEEDaS16_S17_EUlS16_E_NS1_11comp_targetILNS1_3genE3ELNS1_11target_archE908ELNS1_3gpuE7ELNS1_3repE0EEENS1_30default_config_static_selectorELNS0_4arch9wavefront6targetE0EEEvT1_
		.amdhsa_group_segment_fixed_size 0
		.amdhsa_private_segment_fixed_size 0
		.amdhsa_kernarg_size 120
		.amdhsa_user_sgpr_count 2
		.amdhsa_user_sgpr_dispatch_ptr 0
		.amdhsa_user_sgpr_queue_ptr 0
		.amdhsa_user_sgpr_kernarg_segment_ptr 1
		.amdhsa_user_sgpr_dispatch_id 0
		.amdhsa_user_sgpr_private_segment_size 0
		.amdhsa_wavefront_size32 1
		.amdhsa_uses_dynamic_stack 0
		.amdhsa_enable_private_segment 0
		.amdhsa_system_sgpr_workgroup_id_x 1
		.amdhsa_system_sgpr_workgroup_id_y 0
		.amdhsa_system_sgpr_workgroup_id_z 0
		.amdhsa_system_sgpr_workgroup_info 0
		.amdhsa_system_vgpr_workitem_id 0
		.amdhsa_next_free_vgpr 1
		.amdhsa_next_free_sgpr 1
		.amdhsa_reserve_vcc 0
		.amdhsa_float_round_mode_32 0
		.amdhsa_float_round_mode_16_64 0
		.amdhsa_float_denorm_mode_32 3
		.amdhsa_float_denorm_mode_16_64 3
		.amdhsa_fp16_overflow 0
		.amdhsa_workgroup_processor_mode 1
		.amdhsa_memory_ordered 1
		.amdhsa_forward_progress 1
		.amdhsa_inst_pref_size 0
		.amdhsa_round_robin_scheduling 0
		.amdhsa_exception_fp_ieee_invalid_op 0
		.amdhsa_exception_fp_denorm_src 0
		.amdhsa_exception_fp_ieee_div_zero 0
		.amdhsa_exception_fp_ieee_overflow 0
		.amdhsa_exception_fp_ieee_underflow 0
		.amdhsa_exception_fp_ieee_inexact 0
		.amdhsa_exception_int_div_zero 0
	.end_amdhsa_kernel
	.section	.text._ZN7rocprim17ROCPRIM_400000_NS6detail17trampoline_kernelINS0_14default_configENS1_25partition_config_selectorILNS1_17partition_subalgoE6ExNS0_10empty_typeEbEEZZNS1_14partition_implILS5_6ELb0ES3_mN6thrust23THRUST_200600_302600_NS6detail15normal_iteratorINSA_10device_ptrIxEEEEPS6_SG_NS0_5tupleIJNSA_16discard_iteratorINSA_11use_defaultEEES6_EEENSH_IJSG_SG_EEES6_PlJNSB_9not_fun_tI7is_trueIxEEEEEE10hipError_tPvRmT3_T4_T5_T6_T7_T9_mT8_P12ihipStream_tbDpT10_ENKUlT_T0_E_clISt17integral_constantIbLb1EES1A_IbLb0EEEEDaS16_S17_EUlS16_E_NS1_11comp_targetILNS1_3genE3ELNS1_11target_archE908ELNS1_3gpuE7ELNS1_3repE0EEENS1_30default_config_static_selectorELNS0_4arch9wavefront6targetE0EEEvT1_,"axG",@progbits,_ZN7rocprim17ROCPRIM_400000_NS6detail17trampoline_kernelINS0_14default_configENS1_25partition_config_selectorILNS1_17partition_subalgoE6ExNS0_10empty_typeEbEEZZNS1_14partition_implILS5_6ELb0ES3_mN6thrust23THRUST_200600_302600_NS6detail15normal_iteratorINSA_10device_ptrIxEEEEPS6_SG_NS0_5tupleIJNSA_16discard_iteratorINSA_11use_defaultEEES6_EEENSH_IJSG_SG_EEES6_PlJNSB_9not_fun_tI7is_trueIxEEEEEE10hipError_tPvRmT3_T4_T5_T6_T7_T9_mT8_P12ihipStream_tbDpT10_ENKUlT_T0_E_clISt17integral_constantIbLb1EES1A_IbLb0EEEEDaS16_S17_EUlS16_E_NS1_11comp_targetILNS1_3genE3ELNS1_11target_archE908ELNS1_3gpuE7ELNS1_3repE0EEENS1_30default_config_static_selectorELNS0_4arch9wavefront6targetE0EEEvT1_,comdat
.Lfunc_end2256:
	.size	_ZN7rocprim17ROCPRIM_400000_NS6detail17trampoline_kernelINS0_14default_configENS1_25partition_config_selectorILNS1_17partition_subalgoE6ExNS0_10empty_typeEbEEZZNS1_14partition_implILS5_6ELb0ES3_mN6thrust23THRUST_200600_302600_NS6detail15normal_iteratorINSA_10device_ptrIxEEEEPS6_SG_NS0_5tupleIJNSA_16discard_iteratorINSA_11use_defaultEEES6_EEENSH_IJSG_SG_EEES6_PlJNSB_9not_fun_tI7is_trueIxEEEEEE10hipError_tPvRmT3_T4_T5_T6_T7_T9_mT8_P12ihipStream_tbDpT10_ENKUlT_T0_E_clISt17integral_constantIbLb1EES1A_IbLb0EEEEDaS16_S17_EUlS16_E_NS1_11comp_targetILNS1_3genE3ELNS1_11target_archE908ELNS1_3gpuE7ELNS1_3repE0EEENS1_30default_config_static_selectorELNS0_4arch9wavefront6targetE0EEEvT1_, .Lfunc_end2256-_ZN7rocprim17ROCPRIM_400000_NS6detail17trampoline_kernelINS0_14default_configENS1_25partition_config_selectorILNS1_17partition_subalgoE6ExNS0_10empty_typeEbEEZZNS1_14partition_implILS5_6ELb0ES3_mN6thrust23THRUST_200600_302600_NS6detail15normal_iteratorINSA_10device_ptrIxEEEEPS6_SG_NS0_5tupleIJNSA_16discard_iteratorINSA_11use_defaultEEES6_EEENSH_IJSG_SG_EEES6_PlJNSB_9not_fun_tI7is_trueIxEEEEEE10hipError_tPvRmT3_T4_T5_T6_T7_T9_mT8_P12ihipStream_tbDpT10_ENKUlT_T0_E_clISt17integral_constantIbLb1EES1A_IbLb0EEEEDaS16_S17_EUlS16_E_NS1_11comp_targetILNS1_3genE3ELNS1_11target_archE908ELNS1_3gpuE7ELNS1_3repE0EEENS1_30default_config_static_selectorELNS0_4arch9wavefront6targetE0EEEvT1_
                                        ; -- End function
	.set _ZN7rocprim17ROCPRIM_400000_NS6detail17trampoline_kernelINS0_14default_configENS1_25partition_config_selectorILNS1_17partition_subalgoE6ExNS0_10empty_typeEbEEZZNS1_14partition_implILS5_6ELb0ES3_mN6thrust23THRUST_200600_302600_NS6detail15normal_iteratorINSA_10device_ptrIxEEEEPS6_SG_NS0_5tupleIJNSA_16discard_iteratorINSA_11use_defaultEEES6_EEENSH_IJSG_SG_EEES6_PlJNSB_9not_fun_tI7is_trueIxEEEEEE10hipError_tPvRmT3_T4_T5_T6_T7_T9_mT8_P12ihipStream_tbDpT10_ENKUlT_T0_E_clISt17integral_constantIbLb1EES1A_IbLb0EEEEDaS16_S17_EUlS16_E_NS1_11comp_targetILNS1_3genE3ELNS1_11target_archE908ELNS1_3gpuE7ELNS1_3repE0EEENS1_30default_config_static_selectorELNS0_4arch9wavefront6targetE0EEEvT1_.num_vgpr, 0
	.set _ZN7rocprim17ROCPRIM_400000_NS6detail17trampoline_kernelINS0_14default_configENS1_25partition_config_selectorILNS1_17partition_subalgoE6ExNS0_10empty_typeEbEEZZNS1_14partition_implILS5_6ELb0ES3_mN6thrust23THRUST_200600_302600_NS6detail15normal_iteratorINSA_10device_ptrIxEEEEPS6_SG_NS0_5tupleIJNSA_16discard_iteratorINSA_11use_defaultEEES6_EEENSH_IJSG_SG_EEES6_PlJNSB_9not_fun_tI7is_trueIxEEEEEE10hipError_tPvRmT3_T4_T5_T6_T7_T9_mT8_P12ihipStream_tbDpT10_ENKUlT_T0_E_clISt17integral_constantIbLb1EES1A_IbLb0EEEEDaS16_S17_EUlS16_E_NS1_11comp_targetILNS1_3genE3ELNS1_11target_archE908ELNS1_3gpuE7ELNS1_3repE0EEENS1_30default_config_static_selectorELNS0_4arch9wavefront6targetE0EEEvT1_.num_agpr, 0
	.set _ZN7rocprim17ROCPRIM_400000_NS6detail17trampoline_kernelINS0_14default_configENS1_25partition_config_selectorILNS1_17partition_subalgoE6ExNS0_10empty_typeEbEEZZNS1_14partition_implILS5_6ELb0ES3_mN6thrust23THRUST_200600_302600_NS6detail15normal_iteratorINSA_10device_ptrIxEEEEPS6_SG_NS0_5tupleIJNSA_16discard_iteratorINSA_11use_defaultEEES6_EEENSH_IJSG_SG_EEES6_PlJNSB_9not_fun_tI7is_trueIxEEEEEE10hipError_tPvRmT3_T4_T5_T6_T7_T9_mT8_P12ihipStream_tbDpT10_ENKUlT_T0_E_clISt17integral_constantIbLb1EES1A_IbLb0EEEEDaS16_S17_EUlS16_E_NS1_11comp_targetILNS1_3genE3ELNS1_11target_archE908ELNS1_3gpuE7ELNS1_3repE0EEENS1_30default_config_static_selectorELNS0_4arch9wavefront6targetE0EEEvT1_.numbered_sgpr, 0
	.set _ZN7rocprim17ROCPRIM_400000_NS6detail17trampoline_kernelINS0_14default_configENS1_25partition_config_selectorILNS1_17partition_subalgoE6ExNS0_10empty_typeEbEEZZNS1_14partition_implILS5_6ELb0ES3_mN6thrust23THRUST_200600_302600_NS6detail15normal_iteratorINSA_10device_ptrIxEEEEPS6_SG_NS0_5tupleIJNSA_16discard_iteratorINSA_11use_defaultEEES6_EEENSH_IJSG_SG_EEES6_PlJNSB_9not_fun_tI7is_trueIxEEEEEE10hipError_tPvRmT3_T4_T5_T6_T7_T9_mT8_P12ihipStream_tbDpT10_ENKUlT_T0_E_clISt17integral_constantIbLb1EES1A_IbLb0EEEEDaS16_S17_EUlS16_E_NS1_11comp_targetILNS1_3genE3ELNS1_11target_archE908ELNS1_3gpuE7ELNS1_3repE0EEENS1_30default_config_static_selectorELNS0_4arch9wavefront6targetE0EEEvT1_.num_named_barrier, 0
	.set _ZN7rocprim17ROCPRIM_400000_NS6detail17trampoline_kernelINS0_14default_configENS1_25partition_config_selectorILNS1_17partition_subalgoE6ExNS0_10empty_typeEbEEZZNS1_14partition_implILS5_6ELb0ES3_mN6thrust23THRUST_200600_302600_NS6detail15normal_iteratorINSA_10device_ptrIxEEEEPS6_SG_NS0_5tupleIJNSA_16discard_iteratorINSA_11use_defaultEEES6_EEENSH_IJSG_SG_EEES6_PlJNSB_9not_fun_tI7is_trueIxEEEEEE10hipError_tPvRmT3_T4_T5_T6_T7_T9_mT8_P12ihipStream_tbDpT10_ENKUlT_T0_E_clISt17integral_constantIbLb1EES1A_IbLb0EEEEDaS16_S17_EUlS16_E_NS1_11comp_targetILNS1_3genE3ELNS1_11target_archE908ELNS1_3gpuE7ELNS1_3repE0EEENS1_30default_config_static_selectorELNS0_4arch9wavefront6targetE0EEEvT1_.private_seg_size, 0
	.set _ZN7rocprim17ROCPRIM_400000_NS6detail17trampoline_kernelINS0_14default_configENS1_25partition_config_selectorILNS1_17partition_subalgoE6ExNS0_10empty_typeEbEEZZNS1_14partition_implILS5_6ELb0ES3_mN6thrust23THRUST_200600_302600_NS6detail15normal_iteratorINSA_10device_ptrIxEEEEPS6_SG_NS0_5tupleIJNSA_16discard_iteratorINSA_11use_defaultEEES6_EEENSH_IJSG_SG_EEES6_PlJNSB_9not_fun_tI7is_trueIxEEEEEE10hipError_tPvRmT3_T4_T5_T6_T7_T9_mT8_P12ihipStream_tbDpT10_ENKUlT_T0_E_clISt17integral_constantIbLb1EES1A_IbLb0EEEEDaS16_S17_EUlS16_E_NS1_11comp_targetILNS1_3genE3ELNS1_11target_archE908ELNS1_3gpuE7ELNS1_3repE0EEENS1_30default_config_static_selectorELNS0_4arch9wavefront6targetE0EEEvT1_.uses_vcc, 0
	.set _ZN7rocprim17ROCPRIM_400000_NS6detail17trampoline_kernelINS0_14default_configENS1_25partition_config_selectorILNS1_17partition_subalgoE6ExNS0_10empty_typeEbEEZZNS1_14partition_implILS5_6ELb0ES3_mN6thrust23THRUST_200600_302600_NS6detail15normal_iteratorINSA_10device_ptrIxEEEEPS6_SG_NS0_5tupleIJNSA_16discard_iteratorINSA_11use_defaultEEES6_EEENSH_IJSG_SG_EEES6_PlJNSB_9not_fun_tI7is_trueIxEEEEEE10hipError_tPvRmT3_T4_T5_T6_T7_T9_mT8_P12ihipStream_tbDpT10_ENKUlT_T0_E_clISt17integral_constantIbLb1EES1A_IbLb0EEEEDaS16_S17_EUlS16_E_NS1_11comp_targetILNS1_3genE3ELNS1_11target_archE908ELNS1_3gpuE7ELNS1_3repE0EEENS1_30default_config_static_selectorELNS0_4arch9wavefront6targetE0EEEvT1_.uses_flat_scratch, 0
	.set _ZN7rocprim17ROCPRIM_400000_NS6detail17trampoline_kernelINS0_14default_configENS1_25partition_config_selectorILNS1_17partition_subalgoE6ExNS0_10empty_typeEbEEZZNS1_14partition_implILS5_6ELb0ES3_mN6thrust23THRUST_200600_302600_NS6detail15normal_iteratorINSA_10device_ptrIxEEEEPS6_SG_NS0_5tupleIJNSA_16discard_iteratorINSA_11use_defaultEEES6_EEENSH_IJSG_SG_EEES6_PlJNSB_9not_fun_tI7is_trueIxEEEEEE10hipError_tPvRmT3_T4_T5_T6_T7_T9_mT8_P12ihipStream_tbDpT10_ENKUlT_T0_E_clISt17integral_constantIbLb1EES1A_IbLb0EEEEDaS16_S17_EUlS16_E_NS1_11comp_targetILNS1_3genE3ELNS1_11target_archE908ELNS1_3gpuE7ELNS1_3repE0EEENS1_30default_config_static_selectorELNS0_4arch9wavefront6targetE0EEEvT1_.has_dyn_sized_stack, 0
	.set _ZN7rocprim17ROCPRIM_400000_NS6detail17trampoline_kernelINS0_14default_configENS1_25partition_config_selectorILNS1_17partition_subalgoE6ExNS0_10empty_typeEbEEZZNS1_14partition_implILS5_6ELb0ES3_mN6thrust23THRUST_200600_302600_NS6detail15normal_iteratorINSA_10device_ptrIxEEEEPS6_SG_NS0_5tupleIJNSA_16discard_iteratorINSA_11use_defaultEEES6_EEENSH_IJSG_SG_EEES6_PlJNSB_9not_fun_tI7is_trueIxEEEEEE10hipError_tPvRmT3_T4_T5_T6_T7_T9_mT8_P12ihipStream_tbDpT10_ENKUlT_T0_E_clISt17integral_constantIbLb1EES1A_IbLb0EEEEDaS16_S17_EUlS16_E_NS1_11comp_targetILNS1_3genE3ELNS1_11target_archE908ELNS1_3gpuE7ELNS1_3repE0EEENS1_30default_config_static_selectorELNS0_4arch9wavefront6targetE0EEEvT1_.has_recursion, 0
	.set _ZN7rocprim17ROCPRIM_400000_NS6detail17trampoline_kernelINS0_14default_configENS1_25partition_config_selectorILNS1_17partition_subalgoE6ExNS0_10empty_typeEbEEZZNS1_14partition_implILS5_6ELb0ES3_mN6thrust23THRUST_200600_302600_NS6detail15normal_iteratorINSA_10device_ptrIxEEEEPS6_SG_NS0_5tupleIJNSA_16discard_iteratorINSA_11use_defaultEEES6_EEENSH_IJSG_SG_EEES6_PlJNSB_9not_fun_tI7is_trueIxEEEEEE10hipError_tPvRmT3_T4_T5_T6_T7_T9_mT8_P12ihipStream_tbDpT10_ENKUlT_T0_E_clISt17integral_constantIbLb1EES1A_IbLb0EEEEDaS16_S17_EUlS16_E_NS1_11comp_targetILNS1_3genE3ELNS1_11target_archE908ELNS1_3gpuE7ELNS1_3repE0EEENS1_30default_config_static_selectorELNS0_4arch9wavefront6targetE0EEEvT1_.has_indirect_call, 0
	.section	.AMDGPU.csdata,"",@progbits
; Kernel info:
; codeLenInByte = 0
; TotalNumSgprs: 0
; NumVgprs: 0
; ScratchSize: 0
; MemoryBound: 0
; FloatMode: 240
; IeeeMode: 1
; LDSByteSize: 0 bytes/workgroup (compile time only)
; SGPRBlocks: 0
; VGPRBlocks: 0
; NumSGPRsForWavesPerEU: 1
; NumVGPRsForWavesPerEU: 1
; Occupancy: 16
; WaveLimiterHint : 0
; COMPUTE_PGM_RSRC2:SCRATCH_EN: 0
; COMPUTE_PGM_RSRC2:USER_SGPR: 2
; COMPUTE_PGM_RSRC2:TRAP_HANDLER: 0
; COMPUTE_PGM_RSRC2:TGID_X_EN: 1
; COMPUTE_PGM_RSRC2:TGID_Y_EN: 0
; COMPUTE_PGM_RSRC2:TGID_Z_EN: 0
; COMPUTE_PGM_RSRC2:TIDIG_COMP_CNT: 0
	.section	.text._ZN7rocprim17ROCPRIM_400000_NS6detail17trampoline_kernelINS0_14default_configENS1_25partition_config_selectorILNS1_17partition_subalgoE6ExNS0_10empty_typeEbEEZZNS1_14partition_implILS5_6ELb0ES3_mN6thrust23THRUST_200600_302600_NS6detail15normal_iteratorINSA_10device_ptrIxEEEEPS6_SG_NS0_5tupleIJNSA_16discard_iteratorINSA_11use_defaultEEES6_EEENSH_IJSG_SG_EEES6_PlJNSB_9not_fun_tI7is_trueIxEEEEEE10hipError_tPvRmT3_T4_T5_T6_T7_T9_mT8_P12ihipStream_tbDpT10_ENKUlT_T0_E_clISt17integral_constantIbLb1EES1A_IbLb0EEEEDaS16_S17_EUlS16_E_NS1_11comp_targetILNS1_3genE2ELNS1_11target_archE906ELNS1_3gpuE6ELNS1_3repE0EEENS1_30default_config_static_selectorELNS0_4arch9wavefront6targetE0EEEvT1_,"axG",@progbits,_ZN7rocprim17ROCPRIM_400000_NS6detail17trampoline_kernelINS0_14default_configENS1_25partition_config_selectorILNS1_17partition_subalgoE6ExNS0_10empty_typeEbEEZZNS1_14partition_implILS5_6ELb0ES3_mN6thrust23THRUST_200600_302600_NS6detail15normal_iteratorINSA_10device_ptrIxEEEEPS6_SG_NS0_5tupleIJNSA_16discard_iteratorINSA_11use_defaultEEES6_EEENSH_IJSG_SG_EEES6_PlJNSB_9not_fun_tI7is_trueIxEEEEEE10hipError_tPvRmT3_T4_T5_T6_T7_T9_mT8_P12ihipStream_tbDpT10_ENKUlT_T0_E_clISt17integral_constantIbLb1EES1A_IbLb0EEEEDaS16_S17_EUlS16_E_NS1_11comp_targetILNS1_3genE2ELNS1_11target_archE906ELNS1_3gpuE6ELNS1_3repE0EEENS1_30default_config_static_selectorELNS0_4arch9wavefront6targetE0EEEvT1_,comdat
	.protected	_ZN7rocprim17ROCPRIM_400000_NS6detail17trampoline_kernelINS0_14default_configENS1_25partition_config_selectorILNS1_17partition_subalgoE6ExNS0_10empty_typeEbEEZZNS1_14partition_implILS5_6ELb0ES3_mN6thrust23THRUST_200600_302600_NS6detail15normal_iteratorINSA_10device_ptrIxEEEEPS6_SG_NS0_5tupleIJNSA_16discard_iteratorINSA_11use_defaultEEES6_EEENSH_IJSG_SG_EEES6_PlJNSB_9not_fun_tI7is_trueIxEEEEEE10hipError_tPvRmT3_T4_T5_T6_T7_T9_mT8_P12ihipStream_tbDpT10_ENKUlT_T0_E_clISt17integral_constantIbLb1EES1A_IbLb0EEEEDaS16_S17_EUlS16_E_NS1_11comp_targetILNS1_3genE2ELNS1_11target_archE906ELNS1_3gpuE6ELNS1_3repE0EEENS1_30default_config_static_selectorELNS0_4arch9wavefront6targetE0EEEvT1_ ; -- Begin function _ZN7rocprim17ROCPRIM_400000_NS6detail17trampoline_kernelINS0_14default_configENS1_25partition_config_selectorILNS1_17partition_subalgoE6ExNS0_10empty_typeEbEEZZNS1_14partition_implILS5_6ELb0ES3_mN6thrust23THRUST_200600_302600_NS6detail15normal_iteratorINSA_10device_ptrIxEEEEPS6_SG_NS0_5tupleIJNSA_16discard_iteratorINSA_11use_defaultEEES6_EEENSH_IJSG_SG_EEES6_PlJNSB_9not_fun_tI7is_trueIxEEEEEE10hipError_tPvRmT3_T4_T5_T6_T7_T9_mT8_P12ihipStream_tbDpT10_ENKUlT_T0_E_clISt17integral_constantIbLb1EES1A_IbLb0EEEEDaS16_S17_EUlS16_E_NS1_11comp_targetILNS1_3genE2ELNS1_11target_archE906ELNS1_3gpuE6ELNS1_3repE0EEENS1_30default_config_static_selectorELNS0_4arch9wavefront6targetE0EEEvT1_
	.globl	_ZN7rocprim17ROCPRIM_400000_NS6detail17trampoline_kernelINS0_14default_configENS1_25partition_config_selectorILNS1_17partition_subalgoE6ExNS0_10empty_typeEbEEZZNS1_14partition_implILS5_6ELb0ES3_mN6thrust23THRUST_200600_302600_NS6detail15normal_iteratorINSA_10device_ptrIxEEEEPS6_SG_NS0_5tupleIJNSA_16discard_iteratorINSA_11use_defaultEEES6_EEENSH_IJSG_SG_EEES6_PlJNSB_9not_fun_tI7is_trueIxEEEEEE10hipError_tPvRmT3_T4_T5_T6_T7_T9_mT8_P12ihipStream_tbDpT10_ENKUlT_T0_E_clISt17integral_constantIbLb1EES1A_IbLb0EEEEDaS16_S17_EUlS16_E_NS1_11comp_targetILNS1_3genE2ELNS1_11target_archE906ELNS1_3gpuE6ELNS1_3repE0EEENS1_30default_config_static_selectorELNS0_4arch9wavefront6targetE0EEEvT1_
	.p2align	8
	.type	_ZN7rocprim17ROCPRIM_400000_NS6detail17trampoline_kernelINS0_14default_configENS1_25partition_config_selectorILNS1_17partition_subalgoE6ExNS0_10empty_typeEbEEZZNS1_14partition_implILS5_6ELb0ES3_mN6thrust23THRUST_200600_302600_NS6detail15normal_iteratorINSA_10device_ptrIxEEEEPS6_SG_NS0_5tupleIJNSA_16discard_iteratorINSA_11use_defaultEEES6_EEENSH_IJSG_SG_EEES6_PlJNSB_9not_fun_tI7is_trueIxEEEEEE10hipError_tPvRmT3_T4_T5_T6_T7_T9_mT8_P12ihipStream_tbDpT10_ENKUlT_T0_E_clISt17integral_constantIbLb1EES1A_IbLb0EEEEDaS16_S17_EUlS16_E_NS1_11comp_targetILNS1_3genE2ELNS1_11target_archE906ELNS1_3gpuE6ELNS1_3repE0EEENS1_30default_config_static_selectorELNS0_4arch9wavefront6targetE0EEEvT1_,@function
_ZN7rocprim17ROCPRIM_400000_NS6detail17trampoline_kernelINS0_14default_configENS1_25partition_config_selectorILNS1_17partition_subalgoE6ExNS0_10empty_typeEbEEZZNS1_14partition_implILS5_6ELb0ES3_mN6thrust23THRUST_200600_302600_NS6detail15normal_iteratorINSA_10device_ptrIxEEEEPS6_SG_NS0_5tupleIJNSA_16discard_iteratorINSA_11use_defaultEEES6_EEENSH_IJSG_SG_EEES6_PlJNSB_9not_fun_tI7is_trueIxEEEEEE10hipError_tPvRmT3_T4_T5_T6_T7_T9_mT8_P12ihipStream_tbDpT10_ENKUlT_T0_E_clISt17integral_constantIbLb1EES1A_IbLb0EEEEDaS16_S17_EUlS16_E_NS1_11comp_targetILNS1_3genE2ELNS1_11target_archE906ELNS1_3gpuE6ELNS1_3repE0EEENS1_30default_config_static_selectorELNS0_4arch9wavefront6targetE0EEEvT1_: ; @_ZN7rocprim17ROCPRIM_400000_NS6detail17trampoline_kernelINS0_14default_configENS1_25partition_config_selectorILNS1_17partition_subalgoE6ExNS0_10empty_typeEbEEZZNS1_14partition_implILS5_6ELb0ES3_mN6thrust23THRUST_200600_302600_NS6detail15normal_iteratorINSA_10device_ptrIxEEEEPS6_SG_NS0_5tupleIJNSA_16discard_iteratorINSA_11use_defaultEEES6_EEENSH_IJSG_SG_EEES6_PlJNSB_9not_fun_tI7is_trueIxEEEEEE10hipError_tPvRmT3_T4_T5_T6_T7_T9_mT8_P12ihipStream_tbDpT10_ENKUlT_T0_E_clISt17integral_constantIbLb1EES1A_IbLb0EEEEDaS16_S17_EUlS16_E_NS1_11comp_targetILNS1_3genE2ELNS1_11target_archE906ELNS1_3gpuE6ELNS1_3repE0EEENS1_30default_config_static_selectorELNS0_4arch9wavefront6targetE0EEEvT1_
; %bb.0:
	.section	.rodata,"a",@progbits
	.p2align	6, 0x0
	.amdhsa_kernel _ZN7rocprim17ROCPRIM_400000_NS6detail17trampoline_kernelINS0_14default_configENS1_25partition_config_selectorILNS1_17partition_subalgoE6ExNS0_10empty_typeEbEEZZNS1_14partition_implILS5_6ELb0ES3_mN6thrust23THRUST_200600_302600_NS6detail15normal_iteratorINSA_10device_ptrIxEEEEPS6_SG_NS0_5tupleIJNSA_16discard_iteratorINSA_11use_defaultEEES6_EEENSH_IJSG_SG_EEES6_PlJNSB_9not_fun_tI7is_trueIxEEEEEE10hipError_tPvRmT3_T4_T5_T6_T7_T9_mT8_P12ihipStream_tbDpT10_ENKUlT_T0_E_clISt17integral_constantIbLb1EES1A_IbLb0EEEEDaS16_S17_EUlS16_E_NS1_11comp_targetILNS1_3genE2ELNS1_11target_archE906ELNS1_3gpuE6ELNS1_3repE0EEENS1_30default_config_static_selectorELNS0_4arch9wavefront6targetE0EEEvT1_
		.amdhsa_group_segment_fixed_size 0
		.amdhsa_private_segment_fixed_size 0
		.amdhsa_kernarg_size 120
		.amdhsa_user_sgpr_count 2
		.amdhsa_user_sgpr_dispatch_ptr 0
		.amdhsa_user_sgpr_queue_ptr 0
		.amdhsa_user_sgpr_kernarg_segment_ptr 1
		.amdhsa_user_sgpr_dispatch_id 0
		.amdhsa_user_sgpr_private_segment_size 0
		.amdhsa_wavefront_size32 1
		.amdhsa_uses_dynamic_stack 0
		.amdhsa_enable_private_segment 0
		.amdhsa_system_sgpr_workgroup_id_x 1
		.amdhsa_system_sgpr_workgroup_id_y 0
		.amdhsa_system_sgpr_workgroup_id_z 0
		.amdhsa_system_sgpr_workgroup_info 0
		.amdhsa_system_vgpr_workitem_id 0
		.amdhsa_next_free_vgpr 1
		.amdhsa_next_free_sgpr 1
		.amdhsa_reserve_vcc 0
		.amdhsa_float_round_mode_32 0
		.amdhsa_float_round_mode_16_64 0
		.amdhsa_float_denorm_mode_32 3
		.amdhsa_float_denorm_mode_16_64 3
		.amdhsa_fp16_overflow 0
		.amdhsa_workgroup_processor_mode 1
		.amdhsa_memory_ordered 1
		.amdhsa_forward_progress 1
		.amdhsa_inst_pref_size 0
		.amdhsa_round_robin_scheduling 0
		.amdhsa_exception_fp_ieee_invalid_op 0
		.amdhsa_exception_fp_denorm_src 0
		.amdhsa_exception_fp_ieee_div_zero 0
		.amdhsa_exception_fp_ieee_overflow 0
		.amdhsa_exception_fp_ieee_underflow 0
		.amdhsa_exception_fp_ieee_inexact 0
		.amdhsa_exception_int_div_zero 0
	.end_amdhsa_kernel
	.section	.text._ZN7rocprim17ROCPRIM_400000_NS6detail17trampoline_kernelINS0_14default_configENS1_25partition_config_selectorILNS1_17partition_subalgoE6ExNS0_10empty_typeEbEEZZNS1_14partition_implILS5_6ELb0ES3_mN6thrust23THRUST_200600_302600_NS6detail15normal_iteratorINSA_10device_ptrIxEEEEPS6_SG_NS0_5tupleIJNSA_16discard_iteratorINSA_11use_defaultEEES6_EEENSH_IJSG_SG_EEES6_PlJNSB_9not_fun_tI7is_trueIxEEEEEE10hipError_tPvRmT3_T4_T5_T6_T7_T9_mT8_P12ihipStream_tbDpT10_ENKUlT_T0_E_clISt17integral_constantIbLb1EES1A_IbLb0EEEEDaS16_S17_EUlS16_E_NS1_11comp_targetILNS1_3genE2ELNS1_11target_archE906ELNS1_3gpuE6ELNS1_3repE0EEENS1_30default_config_static_selectorELNS0_4arch9wavefront6targetE0EEEvT1_,"axG",@progbits,_ZN7rocprim17ROCPRIM_400000_NS6detail17trampoline_kernelINS0_14default_configENS1_25partition_config_selectorILNS1_17partition_subalgoE6ExNS0_10empty_typeEbEEZZNS1_14partition_implILS5_6ELb0ES3_mN6thrust23THRUST_200600_302600_NS6detail15normal_iteratorINSA_10device_ptrIxEEEEPS6_SG_NS0_5tupleIJNSA_16discard_iteratorINSA_11use_defaultEEES6_EEENSH_IJSG_SG_EEES6_PlJNSB_9not_fun_tI7is_trueIxEEEEEE10hipError_tPvRmT3_T4_T5_T6_T7_T9_mT8_P12ihipStream_tbDpT10_ENKUlT_T0_E_clISt17integral_constantIbLb1EES1A_IbLb0EEEEDaS16_S17_EUlS16_E_NS1_11comp_targetILNS1_3genE2ELNS1_11target_archE906ELNS1_3gpuE6ELNS1_3repE0EEENS1_30default_config_static_selectorELNS0_4arch9wavefront6targetE0EEEvT1_,comdat
.Lfunc_end2257:
	.size	_ZN7rocprim17ROCPRIM_400000_NS6detail17trampoline_kernelINS0_14default_configENS1_25partition_config_selectorILNS1_17partition_subalgoE6ExNS0_10empty_typeEbEEZZNS1_14partition_implILS5_6ELb0ES3_mN6thrust23THRUST_200600_302600_NS6detail15normal_iteratorINSA_10device_ptrIxEEEEPS6_SG_NS0_5tupleIJNSA_16discard_iteratorINSA_11use_defaultEEES6_EEENSH_IJSG_SG_EEES6_PlJNSB_9not_fun_tI7is_trueIxEEEEEE10hipError_tPvRmT3_T4_T5_T6_T7_T9_mT8_P12ihipStream_tbDpT10_ENKUlT_T0_E_clISt17integral_constantIbLb1EES1A_IbLb0EEEEDaS16_S17_EUlS16_E_NS1_11comp_targetILNS1_3genE2ELNS1_11target_archE906ELNS1_3gpuE6ELNS1_3repE0EEENS1_30default_config_static_selectorELNS0_4arch9wavefront6targetE0EEEvT1_, .Lfunc_end2257-_ZN7rocprim17ROCPRIM_400000_NS6detail17trampoline_kernelINS0_14default_configENS1_25partition_config_selectorILNS1_17partition_subalgoE6ExNS0_10empty_typeEbEEZZNS1_14partition_implILS5_6ELb0ES3_mN6thrust23THRUST_200600_302600_NS6detail15normal_iteratorINSA_10device_ptrIxEEEEPS6_SG_NS0_5tupleIJNSA_16discard_iteratorINSA_11use_defaultEEES6_EEENSH_IJSG_SG_EEES6_PlJNSB_9not_fun_tI7is_trueIxEEEEEE10hipError_tPvRmT3_T4_T5_T6_T7_T9_mT8_P12ihipStream_tbDpT10_ENKUlT_T0_E_clISt17integral_constantIbLb1EES1A_IbLb0EEEEDaS16_S17_EUlS16_E_NS1_11comp_targetILNS1_3genE2ELNS1_11target_archE906ELNS1_3gpuE6ELNS1_3repE0EEENS1_30default_config_static_selectorELNS0_4arch9wavefront6targetE0EEEvT1_
                                        ; -- End function
	.set _ZN7rocprim17ROCPRIM_400000_NS6detail17trampoline_kernelINS0_14default_configENS1_25partition_config_selectorILNS1_17partition_subalgoE6ExNS0_10empty_typeEbEEZZNS1_14partition_implILS5_6ELb0ES3_mN6thrust23THRUST_200600_302600_NS6detail15normal_iteratorINSA_10device_ptrIxEEEEPS6_SG_NS0_5tupleIJNSA_16discard_iteratorINSA_11use_defaultEEES6_EEENSH_IJSG_SG_EEES6_PlJNSB_9not_fun_tI7is_trueIxEEEEEE10hipError_tPvRmT3_T4_T5_T6_T7_T9_mT8_P12ihipStream_tbDpT10_ENKUlT_T0_E_clISt17integral_constantIbLb1EES1A_IbLb0EEEEDaS16_S17_EUlS16_E_NS1_11comp_targetILNS1_3genE2ELNS1_11target_archE906ELNS1_3gpuE6ELNS1_3repE0EEENS1_30default_config_static_selectorELNS0_4arch9wavefront6targetE0EEEvT1_.num_vgpr, 0
	.set _ZN7rocprim17ROCPRIM_400000_NS6detail17trampoline_kernelINS0_14default_configENS1_25partition_config_selectorILNS1_17partition_subalgoE6ExNS0_10empty_typeEbEEZZNS1_14partition_implILS5_6ELb0ES3_mN6thrust23THRUST_200600_302600_NS6detail15normal_iteratorINSA_10device_ptrIxEEEEPS6_SG_NS0_5tupleIJNSA_16discard_iteratorINSA_11use_defaultEEES6_EEENSH_IJSG_SG_EEES6_PlJNSB_9not_fun_tI7is_trueIxEEEEEE10hipError_tPvRmT3_T4_T5_T6_T7_T9_mT8_P12ihipStream_tbDpT10_ENKUlT_T0_E_clISt17integral_constantIbLb1EES1A_IbLb0EEEEDaS16_S17_EUlS16_E_NS1_11comp_targetILNS1_3genE2ELNS1_11target_archE906ELNS1_3gpuE6ELNS1_3repE0EEENS1_30default_config_static_selectorELNS0_4arch9wavefront6targetE0EEEvT1_.num_agpr, 0
	.set _ZN7rocprim17ROCPRIM_400000_NS6detail17trampoline_kernelINS0_14default_configENS1_25partition_config_selectorILNS1_17partition_subalgoE6ExNS0_10empty_typeEbEEZZNS1_14partition_implILS5_6ELb0ES3_mN6thrust23THRUST_200600_302600_NS6detail15normal_iteratorINSA_10device_ptrIxEEEEPS6_SG_NS0_5tupleIJNSA_16discard_iteratorINSA_11use_defaultEEES6_EEENSH_IJSG_SG_EEES6_PlJNSB_9not_fun_tI7is_trueIxEEEEEE10hipError_tPvRmT3_T4_T5_T6_T7_T9_mT8_P12ihipStream_tbDpT10_ENKUlT_T0_E_clISt17integral_constantIbLb1EES1A_IbLb0EEEEDaS16_S17_EUlS16_E_NS1_11comp_targetILNS1_3genE2ELNS1_11target_archE906ELNS1_3gpuE6ELNS1_3repE0EEENS1_30default_config_static_selectorELNS0_4arch9wavefront6targetE0EEEvT1_.numbered_sgpr, 0
	.set _ZN7rocprim17ROCPRIM_400000_NS6detail17trampoline_kernelINS0_14default_configENS1_25partition_config_selectorILNS1_17partition_subalgoE6ExNS0_10empty_typeEbEEZZNS1_14partition_implILS5_6ELb0ES3_mN6thrust23THRUST_200600_302600_NS6detail15normal_iteratorINSA_10device_ptrIxEEEEPS6_SG_NS0_5tupleIJNSA_16discard_iteratorINSA_11use_defaultEEES6_EEENSH_IJSG_SG_EEES6_PlJNSB_9not_fun_tI7is_trueIxEEEEEE10hipError_tPvRmT3_T4_T5_T6_T7_T9_mT8_P12ihipStream_tbDpT10_ENKUlT_T0_E_clISt17integral_constantIbLb1EES1A_IbLb0EEEEDaS16_S17_EUlS16_E_NS1_11comp_targetILNS1_3genE2ELNS1_11target_archE906ELNS1_3gpuE6ELNS1_3repE0EEENS1_30default_config_static_selectorELNS0_4arch9wavefront6targetE0EEEvT1_.num_named_barrier, 0
	.set _ZN7rocprim17ROCPRIM_400000_NS6detail17trampoline_kernelINS0_14default_configENS1_25partition_config_selectorILNS1_17partition_subalgoE6ExNS0_10empty_typeEbEEZZNS1_14partition_implILS5_6ELb0ES3_mN6thrust23THRUST_200600_302600_NS6detail15normal_iteratorINSA_10device_ptrIxEEEEPS6_SG_NS0_5tupleIJNSA_16discard_iteratorINSA_11use_defaultEEES6_EEENSH_IJSG_SG_EEES6_PlJNSB_9not_fun_tI7is_trueIxEEEEEE10hipError_tPvRmT3_T4_T5_T6_T7_T9_mT8_P12ihipStream_tbDpT10_ENKUlT_T0_E_clISt17integral_constantIbLb1EES1A_IbLb0EEEEDaS16_S17_EUlS16_E_NS1_11comp_targetILNS1_3genE2ELNS1_11target_archE906ELNS1_3gpuE6ELNS1_3repE0EEENS1_30default_config_static_selectorELNS0_4arch9wavefront6targetE0EEEvT1_.private_seg_size, 0
	.set _ZN7rocprim17ROCPRIM_400000_NS6detail17trampoline_kernelINS0_14default_configENS1_25partition_config_selectorILNS1_17partition_subalgoE6ExNS0_10empty_typeEbEEZZNS1_14partition_implILS5_6ELb0ES3_mN6thrust23THRUST_200600_302600_NS6detail15normal_iteratorINSA_10device_ptrIxEEEEPS6_SG_NS0_5tupleIJNSA_16discard_iteratorINSA_11use_defaultEEES6_EEENSH_IJSG_SG_EEES6_PlJNSB_9not_fun_tI7is_trueIxEEEEEE10hipError_tPvRmT3_T4_T5_T6_T7_T9_mT8_P12ihipStream_tbDpT10_ENKUlT_T0_E_clISt17integral_constantIbLb1EES1A_IbLb0EEEEDaS16_S17_EUlS16_E_NS1_11comp_targetILNS1_3genE2ELNS1_11target_archE906ELNS1_3gpuE6ELNS1_3repE0EEENS1_30default_config_static_selectorELNS0_4arch9wavefront6targetE0EEEvT1_.uses_vcc, 0
	.set _ZN7rocprim17ROCPRIM_400000_NS6detail17trampoline_kernelINS0_14default_configENS1_25partition_config_selectorILNS1_17partition_subalgoE6ExNS0_10empty_typeEbEEZZNS1_14partition_implILS5_6ELb0ES3_mN6thrust23THRUST_200600_302600_NS6detail15normal_iteratorINSA_10device_ptrIxEEEEPS6_SG_NS0_5tupleIJNSA_16discard_iteratorINSA_11use_defaultEEES6_EEENSH_IJSG_SG_EEES6_PlJNSB_9not_fun_tI7is_trueIxEEEEEE10hipError_tPvRmT3_T4_T5_T6_T7_T9_mT8_P12ihipStream_tbDpT10_ENKUlT_T0_E_clISt17integral_constantIbLb1EES1A_IbLb0EEEEDaS16_S17_EUlS16_E_NS1_11comp_targetILNS1_3genE2ELNS1_11target_archE906ELNS1_3gpuE6ELNS1_3repE0EEENS1_30default_config_static_selectorELNS0_4arch9wavefront6targetE0EEEvT1_.uses_flat_scratch, 0
	.set _ZN7rocprim17ROCPRIM_400000_NS6detail17trampoline_kernelINS0_14default_configENS1_25partition_config_selectorILNS1_17partition_subalgoE6ExNS0_10empty_typeEbEEZZNS1_14partition_implILS5_6ELb0ES3_mN6thrust23THRUST_200600_302600_NS6detail15normal_iteratorINSA_10device_ptrIxEEEEPS6_SG_NS0_5tupleIJNSA_16discard_iteratorINSA_11use_defaultEEES6_EEENSH_IJSG_SG_EEES6_PlJNSB_9not_fun_tI7is_trueIxEEEEEE10hipError_tPvRmT3_T4_T5_T6_T7_T9_mT8_P12ihipStream_tbDpT10_ENKUlT_T0_E_clISt17integral_constantIbLb1EES1A_IbLb0EEEEDaS16_S17_EUlS16_E_NS1_11comp_targetILNS1_3genE2ELNS1_11target_archE906ELNS1_3gpuE6ELNS1_3repE0EEENS1_30default_config_static_selectorELNS0_4arch9wavefront6targetE0EEEvT1_.has_dyn_sized_stack, 0
	.set _ZN7rocprim17ROCPRIM_400000_NS6detail17trampoline_kernelINS0_14default_configENS1_25partition_config_selectorILNS1_17partition_subalgoE6ExNS0_10empty_typeEbEEZZNS1_14partition_implILS5_6ELb0ES3_mN6thrust23THRUST_200600_302600_NS6detail15normal_iteratorINSA_10device_ptrIxEEEEPS6_SG_NS0_5tupleIJNSA_16discard_iteratorINSA_11use_defaultEEES6_EEENSH_IJSG_SG_EEES6_PlJNSB_9not_fun_tI7is_trueIxEEEEEE10hipError_tPvRmT3_T4_T5_T6_T7_T9_mT8_P12ihipStream_tbDpT10_ENKUlT_T0_E_clISt17integral_constantIbLb1EES1A_IbLb0EEEEDaS16_S17_EUlS16_E_NS1_11comp_targetILNS1_3genE2ELNS1_11target_archE906ELNS1_3gpuE6ELNS1_3repE0EEENS1_30default_config_static_selectorELNS0_4arch9wavefront6targetE0EEEvT1_.has_recursion, 0
	.set _ZN7rocprim17ROCPRIM_400000_NS6detail17trampoline_kernelINS0_14default_configENS1_25partition_config_selectorILNS1_17partition_subalgoE6ExNS0_10empty_typeEbEEZZNS1_14partition_implILS5_6ELb0ES3_mN6thrust23THRUST_200600_302600_NS6detail15normal_iteratorINSA_10device_ptrIxEEEEPS6_SG_NS0_5tupleIJNSA_16discard_iteratorINSA_11use_defaultEEES6_EEENSH_IJSG_SG_EEES6_PlJNSB_9not_fun_tI7is_trueIxEEEEEE10hipError_tPvRmT3_T4_T5_T6_T7_T9_mT8_P12ihipStream_tbDpT10_ENKUlT_T0_E_clISt17integral_constantIbLb1EES1A_IbLb0EEEEDaS16_S17_EUlS16_E_NS1_11comp_targetILNS1_3genE2ELNS1_11target_archE906ELNS1_3gpuE6ELNS1_3repE0EEENS1_30default_config_static_selectorELNS0_4arch9wavefront6targetE0EEEvT1_.has_indirect_call, 0
	.section	.AMDGPU.csdata,"",@progbits
; Kernel info:
; codeLenInByte = 0
; TotalNumSgprs: 0
; NumVgprs: 0
; ScratchSize: 0
; MemoryBound: 0
; FloatMode: 240
; IeeeMode: 1
; LDSByteSize: 0 bytes/workgroup (compile time only)
; SGPRBlocks: 0
; VGPRBlocks: 0
; NumSGPRsForWavesPerEU: 1
; NumVGPRsForWavesPerEU: 1
; Occupancy: 16
; WaveLimiterHint : 0
; COMPUTE_PGM_RSRC2:SCRATCH_EN: 0
; COMPUTE_PGM_RSRC2:USER_SGPR: 2
; COMPUTE_PGM_RSRC2:TRAP_HANDLER: 0
; COMPUTE_PGM_RSRC2:TGID_X_EN: 1
; COMPUTE_PGM_RSRC2:TGID_Y_EN: 0
; COMPUTE_PGM_RSRC2:TGID_Z_EN: 0
; COMPUTE_PGM_RSRC2:TIDIG_COMP_CNT: 0
	.section	.text._ZN7rocprim17ROCPRIM_400000_NS6detail17trampoline_kernelINS0_14default_configENS1_25partition_config_selectorILNS1_17partition_subalgoE6ExNS0_10empty_typeEbEEZZNS1_14partition_implILS5_6ELb0ES3_mN6thrust23THRUST_200600_302600_NS6detail15normal_iteratorINSA_10device_ptrIxEEEEPS6_SG_NS0_5tupleIJNSA_16discard_iteratorINSA_11use_defaultEEES6_EEENSH_IJSG_SG_EEES6_PlJNSB_9not_fun_tI7is_trueIxEEEEEE10hipError_tPvRmT3_T4_T5_T6_T7_T9_mT8_P12ihipStream_tbDpT10_ENKUlT_T0_E_clISt17integral_constantIbLb1EES1A_IbLb0EEEEDaS16_S17_EUlS16_E_NS1_11comp_targetILNS1_3genE10ELNS1_11target_archE1200ELNS1_3gpuE4ELNS1_3repE0EEENS1_30default_config_static_selectorELNS0_4arch9wavefront6targetE0EEEvT1_,"axG",@progbits,_ZN7rocprim17ROCPRIM_400000_NS6detail17trampoline_kernelINS0_14default_configENS1_25partition_config_selectorILNS1_17partition_subalgoE6ExNS0_10empty_typeEbEEZZNS1_14partition_implILS5_6ELb0ES3_mN6thrust23THRUST_200600_302600_NS6detail15normal_iteratorINSA_10device_ptrIxEEEEPS6_SG_NS0_5tupleIJNSA_16discard_iteratorINSA_11use_defaultEEES6_EEENSH_IJSG_SG_EEES6_PlJNSB_9not_fun_tI7is_trueIxEEEEEE10hipError_tPvRmT3_T4_T5_T6_T7_T9_mT8_P12ihipStream_tbDpT10_ENKUlT_T0_E_clISt17integral_constantIbLb1EES1A_IbLb0EEEEDaS16_S17_EUlS16_E_NS1_11comp_targetILNS1_3genE10ELNS1_11target_archE1200ELNS1_3gpuE4ELNS1_3repE0EEENS1_30default_config_static_selectorELNS0_4arch9wavefront6targetE0EEEvT1_,comdat
	.protected	_ZN7rocprim17ROCPRIM_400000_NS6detail17trampoline_kernelINS0_14default_configENS1_25partition_config_selectorILNS1_17partition_subalgoE6ExNS0_10empty_typeEbEEZZNS1_14partition_implILS5_6ELb0ES3_mN6thrust23THRUST_200600_302600_NS6detail15normal_iteratorINSA_10device_ptrIxEEEEPS6_SG_NS0_5tupleIJNSA_16discard_iteratorINSA_11use_defaultEEES6_EEENSH_IJSG_SG_EEES6_PlJNSB_9not_fun_tI7is_trueIxEEEEEE10hipError_tPvRmT3_T4_T5_T6_T7_T9_mT8_P12ihipStream_tbDpT10_ENKUlT_T0_E_clISt17integral_constantIbLb1EES1A_IbLb0EEEEDaS16_S17_EUlS16_E_NS1_11comp_targetILNS1_3genE10ELNS1_11target_archE1200ELNS1_3gpuE4ELNS1_3repE0EEENS1_30default_config_static_selectorELNS0_4arch9wavefront6targetE0EEEvT1_ ; -- Begin function _ZN7rocprim17ROCPRIM_400000_NS6detail17trampoline_kernelINS0_14default_configENS1_25partition_config_selectorILNS1_17partition_subalgoE6ExNS0_10empty_typeEbEEZZNS1_14partition_implILS5_6ELb0ES3_mN6thrust23THRUST_200600_302600_NS6detail15normal_iteratorINSA_10device_ptrIxEEEEPS6_SG_NS0_5tupleIJNSA_16discard_iteratorINSA_11use_defaultEEES6_EEENSH_IJSG_SG_EEES6_PlJNSB_9not_fun_tI7is_trueIxEEEEEE10hipError_tPvRmT3_T4_T5_T6_T7_T9_mT8_P12ihipStream_tbDpT10_ENKUlT_T0_E_clISt17integral_constantIbLb1EES1A_IbLb0EEEEDaS16_S17_EUlS16_E_NS1_11comp_targetILNS1_3genE10ELNS1_11target_archE1200ELNS1_3gpuE4ELNS1_3repE0EEENS1_30default_config_static_selectorELNS0_4arch9wavefront6targetE0EEEvT1_
	.globl	_ZN7rocprim17ROCPRIM_400000_NS6detail17trampoline_kernelINS0_14default_configENS1_25partition_config_selectorILNS1_17partition_subalgoE6ExNS0_10empty_typeEbEEZZNS1_14partition_implILS5_6ELb0ES3_mN6thrust23THRUST_200600_302600_NS6detail15normal_iteratorINSA_10device_ptrIxEEEEPS6_SG_NS0_5tupleIJNSA_16discard_iteratorINSA_11use_defaultEEES6_EEENSH_IJSG_SG_EEES6_PlJNSB_9not_fun_tI7is_trueIxEEEEEE10hipError_tPvRmT3_T4_T5_T6_T7_T9_mT8_P12ihipStream_tbDpT10_ENKUlT_T0_E_clISt17integral_constantIbLb1EES1A_IbLb0EEEEDaS16_S17_EUlS16_E_NS1_11comp_targetILNS1_3genE10ELNS1_11target_archE1200ELNS1_3gpuE4ELNS1_3repE0EEENS1_30default_config_static_selectorELNS0_4arch9wavefront6targetE0EEEvT1_
	.p2align	8
	.type	_ZN7rocprim17ROCPRIM_400000_NS6detail17trampoline_kernelINS0_14default_configENS1_25partition_config_selectorILNS1_17partition_subalgoE6ExNS0_10empty_typeEbEEZZNS1_14partition_implILS5_6ELb0ES3_mN6thrust23THRUST_200600_302600_NS6detail15normal_iteratorINSA_10device_ptrIxEEEEPS6_SG_NS0_5tupleIJNSA_16discard_iteratorINSA_11use_defaultEEES6_EEENSH_IJSG_SG_EEES6_PlJNSB_9not_fun_tI7is_trueIxEEEEEE10hipError_tPvRmT3_T4_T5_T6_T7_T9_mT8_P12ihipStream_tbDpT10_ENKUlT_T0_E_clISt17integral_constantIbLb1EES1A_IbLb0EEEEDaS16_S17_EUlS16_E_NS1_11comp_targetILNS1_3genE10ELNS1_11target_archE1200ELNS1_3gpuE4ELNS1_3repE0EEENS1_30default_config_static_selectorELNS0_4arch9wavefront6targetE0EEEvT1_,@function
_ZN7rocprim17ROCPRIM_400000_NS6detail17trampoline_kernelINS0_14default_configENS1_25partition_config_selectorILNS1_17partition_subalgoE6ExNS0_10empty_typeEbEEZZNS1_14partition_implILS5_6ELb0ES3_mN6thrust23THRUST_200600_302600_NS6detail15normal_iteratorINSA_10device_ptrIxEEEEPS6_SG_NS0_5tupleIJNSA_16discard_iteratorINSA_11use_defaultEEES6_EEENSH_IJSG_SG_EEES6_PlJNSB_9not_fun_tI7is_trueIxEEEEEE10hipError_tPvRmT3_T4_T5_T6_T7_T9_mT8_P12ihipStream_tbDpT10_ENKUlT_T0_E_clISt17integral_constantIbLb1EES1A_IbLb0EEEEDaS16_S17_EUlS16_E_NS1_11comp_targetILNS1_3genE10ELNS1_11target_archE1200ELNS1_3gpuE4ELNS1_3repE0EEENS1_30default_config_static_selectorELNS0_4arch9wavefront6targetE0EEEvT1_: ; @_ZN7rocprim17ROCPRIM_400000_NS6detail17trampoline_kernelINS0_14default_configENS1_25partition_config_selectorILNS1_17partition_subalgoE6ExNS0_10empty_typeEbEEZZNS1_14partition_implILS5_6ELb0ES3_mN6thrust23THRUST_200600_302600_NS6detail15normal_iteratorINSA_10device_ptrIxEEEEPS6_SG_NS0_5tupleIJNSA_16discard_iteratorINSA_11use_defaultEEES6_EEENSH_IJSG_SG_EEES6_PlJNSB_9not_fun_tI7is_trueIxEEEEEE10hipError_tPvRmT3_T4_T5_T6_T7_T9_mT8_P12ihipStream_tbDpT10_ENKUlT_T0_E_clISt17integral_constantIbLb1EES1A_IbLb0EEEEDaS16_S17_EUlS16_E_NS1_11comp_targetILNS1_3genE10ELNS1_11target_archE1200ELNS1_3gpuE4ELNS1_3repE0EEENS1_30default_config_static_selectorELNS0_4arch9wavefront6targetE0EEEvT1_
; %bb.0:
	s_endpgm
	.section	.rodata,"a",@progbits
	.p2align	6, 0x0
	.amdhsa_kernel _ZN7rocprim17ROCPRIM_400000_NS6detail17trampoline_kernelINS0_14default_configENS1_25partition_config_selectorILNS1_17partition_subalgoE6ExNS0_10empty_typeEbEEZZNS1_14partition_implILS5_6ELb0ES3_mN6thrust23THRUST_200600_302600_NS6detail15normal_iteratorINSA_10device_ptrIxEEEEPS6_SG_NS0_5tupleIJNSA_16discard_iteratorINSA_11use_defaultEEES6_EEENSH_IJSG_SG_EEES6_PlJNSB_9not_fun_tI7is_trueIxEEEEEE10hipError_tPvRmT3_T4_T5_T6_T7_T9_mT8_P12ihipStream_tbDpT10_ENKUlT_T0_E_clISt17integral_constantIbLb1EES1A_IbLb0EEEEDaS16_S17_EUlS16_E_NS1_11comp_targetILNS1_3genE10ELNS1_11target_archE1200ELNS1_3gpuE4ELNS1_3repE0EEENS1_30default_config_static_selectorELNS0_4arch9wavefront6targetE0EEEvT1_
		.amdhsa_group_segment_fixed_size 0
		.amdhsa_private_segment_fixed_size 0
		.amdhsa_kernarg_size 120
		.amdhsa_user_sgpr_count 2
		.amdhsa_user_sgpr_dispatch_ptr 0
		.amdhsa_user_sgpr_queue_ptr 0
		.amdhsa_user_sgpr_kernarg_segment_ptr 1
		.amdhsa_user_sgpr_dispatch_id 0
		.amdhsa_user_sgpr_private_segment_size 0
		.amdhsa_wavefront_size32 1
		.amdhsa_uses_dynamic_stack 0
		.amdhsa_enable_private_segment 0
		.amdhsa_system_sgpr_workgroup_id_x 1
		.amdhsa_system_sgpr_workgroup_id_y 0
		.amdhsa_system_sgpr_workgroup_id_z 0
		.amdhsa_system_sgpr_workgroup_info 0
		.amdhsa_system_vgpr_workitem_id 0
		.amdhsa_next_free_vgpr 1
		.amdhsa_next_free_sgpr 1
		.amdhsa_reserve_vcc 0
		.amdhsa_float_round_mode_32 0
		.amdhsa_float_round_mode_16_64 0
		.amdhsa_float_denorm_mode_32 3
		.amdhsa_float_denorm_mode_16_64 3
		.amdhsa_fp16_overflow 0
		.amdhsa_workgroup_processor_mode 1
		.amdhsa_memory_ordered 1
		.amdhsa_forward_progress 1
		.amdhsa_inst_pref_size 1
		.amdhsa_round_robin_scheduling 0
		.amdhsa_exception_fp_ieee_invalid_op 0
		.amdhsa_exception_fp_denorm_src 0
		.amdhsa_exception_fp_ieee_div_zero 0
		.amdhsa_exception_fp_ieee_overflow 0
		.amdhsa_exception_fp_ieee_underflow 0
		.amdhsa_exception_fp_ieee_inexact 0
		.amdhsa_exception_int_div_zero 0
	.end_amdhsa_kernel
	.section	.text._ZN7rocprim17ROCPRIM_400000_NS6detail17trampoline_kernelINS0_14default_configENS1_25partition_config_selectorILNS1_17partition_subalgoE6ExNS0_10empty_typeEbEEZZNS1_14partition_implILS5_6ELb0ES3_mN6thrust23THRUST_200600_302600_NS6detail15normal_iteratorINSA_10device_ptrIxEEEEPS6_SG_NS0_5tupleIJNSA_16discard_iteratorINSA_11use_defaultEEES6_EEENSH_IJSG_SG_EEES6_PlJNSB_9not_fun_tI7is_trueIxEEEEEE10hipError_tPvRmT3_T4_T5_T6_T7_T9_mT8_P12ihipStream_tbDpT10_ENKUlT_T0_E_clISt17integral_constantIbLb1EES1A_IbLb0EEEEDaS16_S17_EUlS16_E_NS1_11comp_targetILNS1_3genE10ELNS1_11target_archE1200ELNS1_3gpuE4ELNS1_3repE0EEENS1_30default_config_static_selectorELNS0_4arch9wavefront6targetE0EEEvT1_,"axG",@progbits,_ZN7rocprim17ROCPRIM_400000_NS6detail17trampoline_kernelINS0_14default_configENS1_25partition_config_selectorILNS1_17partition_subalgoE6ExNS0_10empty_typeEbEEZZNS1_14partition_implILS5_6ELb0ES3_mN6thrust23THRUST_200600_302600_NS6detail15normal_iteratorINSA_10device_ptrIxEEEEPS6_SG_NS0_5tupleIJNSA_16discard_iteratorINSA_11use_defaultEEES6_EEENSH_IJSG_SG_EEES6_PlJNSB_9not_fun_tI7is_trueIxEEEEEE10hipError_tPvRmT3_T4_T5_T6_T7_T9_mT8_P12ihipStream_tbDpT10_ENKUlT_T0_E_clISt17integral_constantIbLb1EES1A_IbLb0EEEEDaS16_S17_EUlS16_E_NS1_11comp_targetILNS1_3genE10ELNS1_11target_archE1200ELNS1_3gpuE4ELNS1_3repE0EEENS1_30default_config_static_selectorELNS0_4arch9wavefront6targetE0EEEvT1_,comdat
.Lfunc_end2258:
	.size	_ZN7rocprim17ROCPRIM_400000_NS6detail17trampoline_kernelINS0_14default_configENS1_25partition_config_selectorILNS1_17partition_subalgoE6ExNS0_10empty_typeEbEEZZNS1_14partition_implILS5_6ELb0ES3_mN6thrust23THRUST_200600_302600_NS6detail15normal_iteratorINSA_10device_ptrIxEEEEPS6_SG_NS0_5tupleIJNSA_16discard_iteratorINSA_11use_defaultEEES6_EEENSH_IJSG_SG_EEES6_PlJNSB_9not_fun_tI7is_trueIxEEEEEE10hipError_tPvRmT3_T4_T5_T6_T7_T9_mT8_P12ihipStream_tbDpT10_ENKUlT_T0_E_clISt17integral_constantIbLb1EES1A_IbLb0EEEEDaS16_S17_EUlS16_E_NS1_11comp_targetILNS1_3genE10ELNS1_11target_archE1200ELNS1_3gpuE4ELNS1_3repE0EEENS1_30default_config_static_selectorELNS0_4arch9wavefront6targetE0EEEvT1_, .Lfunc_end2258-_ZN7rocprim17ROCPRIM_400000_NS6detail17trampoline_kernelINS0_14default_configENS1_25partition_config_selectorILNS1_17partition_subalgoE6ExNS0_10empty_typeEbEEZZNS1_14partition_implILS5_6ELb0ES3_mN6thrust23THRUST_200600_302600_NS6detail15normal_iteratorINSA_10device_ptrIxEEEEPS6_SG_NS0_5tupleIJNSA_16discard_iteratorINSA_11use_defaultEEES6_EEENSH_IJSG_SG_EEES6_PlJNSB_9not_fun_tI7is_trueIxEEEEEE10hipError_tPvRmT3_T4_T5_T6_T7_T9_mT8_P12ihipStream_tbDpT10_ENKUlT_T0_E_clISt17integral_constantIbLb1EES1A_IbLb0EEEEDaS16_S17_EUlS16_E_NS1_11comp_targetILNS1_3genE10ELNS1_11target_archE1200ELNS1_3gpuE4ELNS1_3repE0EEENS1_30default_config_static_selectorELNS0_4arch9wavefront6targetE0EEEvT1_
                                        ; -- End function
	.set _ZN7rocprim17ROCPRIM_400000_NS6detail17trampoline_kernelINS0_14default_configENS1_25partition_config_selectorILNS1_17partition_subalgoE6ExNS0_10empty_typeEbEEZZNS1_14partition_implILS5_6ELb0ES3_mN6thrust23THRUST_200600_302600_NS6detail15normal_iteratorINSA_10device_ptrIxEEEEPS6_SG_NS0_5tupleIJNSA_16discard_iteratorINSA_11use_defaultEEES6_EEENSH_IJSG_SG_EEES6_PlJNSB_9not_fun_tI7is_trueIxEEEEEE10hipError_tPvRmT3_T4_T5_T6_T7_T9_mT8_P12ihipStream_tbDpT10_ENKUlT_T0_E_clISt17integral_constantIbLb1EES1A_IbLb0EEEEDaS16_S17_EUlS16_E_NS1_11comp_targetILNS1_3genE10ELNS1_11target_archE1200ELNS1_3gpuE4ELNS1_3repE0EEENS1_30default_config_static_selectorELNS0_4arch9wavefront6targetE0EEEvT1_.num_vgpr, 0
	.set _ZN7rocprim17ROCPRIM_400000_NS6detail17trampoline_kernelINS0_14default_configENS1_25partition_config_selectorILNS1_17partition_subalgoE6ExNS0_10empty_typeEbEEZZNS1_14partition_implILS5_6ELb0ES3_mN6thrust23THRUST_200600_302600_NS6detail15normal_iteratorINSA_10device_ptrIxEEEEPS6_SG_NS0_5tupleIJNSA_16discard_iteratorINSA_11use_defaultEEES6_EEENSH_IJSG_SG_EEES6_PlJNSB_9not_fun_tI7is_trueIxEEEEEE10hipError_tPvRmT3_T4_T5_T6_T7_T9_mT8_P12ihipStream_tbDpT10_ENKUlT_T0_E_clISt17integral_constantIbLb1EES1A_IbLb0EEEEDaS16_S17_EUlS16_E_NS1_11comp_targetILNS1_3genE10ELNS1_11target_archE1200ELNS1_3gpuE4ELNS1_3repE0EEENS1_30default_config_static_selectorELNS0_4arch9wavefront6targetE0EEEvT1_.num_agpr, 0
	.set _ZN7rocprim17ROCPRIM_400000_NS6detail17trampoline_kernelINS0_14default_configENS1_25partition_config_selectorILNS1_17partition_subalgoE6ExNS0_10empty_typeEbEEZZNS1_14partition_implILS5_6ELb0ES3_mN6thrust23THRUST_200600_302600_NS6detail15normal_iteratorINSA_10device_ptrIxEEEEPS6_SG_NS0_5tupleIJNSA_16discard_iteratorINSA_11use_defaultEEES6_EEENSH_IJSG_SG_EEES6_PlJNSB_9not_fun_tI7is_trueIxEEEEEE10hipError_tPvRmT3_T4_T5_T6_T7_T9_mT8_P12ihipStream_tbDpT10_ENKUlT_T0_E_clISt17integral_constantIbLb1EES1A_IbLb0EEEEDaS16_S17_EUlS16_E_NS1_11comp_targetILNS1_3genE10ELNS1_11target_archE1200ELNS1_3gpuE4ELNS1_3repE0EEENS1_30default_config_static_selectorELNS0_4arch9wavefront6targetE0EEEvT1_.numbered_sgpr, 0
	.set _ZN7rocprim17ROCPRIM_400000_NS6detail17trampoline_kernelINS0_14default_configENS1_25partition_config_selectorILNS1_17partition_subalgoE6ExNS0_10empty_typeEbEEZZNS1_14partition_implILS5_6ELb0ES3_mN6thrust23THRUST_200600_302600_NS6detail15normal_iteratorINSA_10device_ptrIxEEEEPS6_SG_NS0_5tupleIJNSA_16discard_iteratorINSA_11use_defaultEEES6_EEENSH_IJSG_SG_EEES6_PlJNSB_9not_fun_tI7is_trueIxEEEEEE10hipError_tPvRmT3_T4_T5_T6_T7_T9_mT8_P12ihipStream_tbDpT10_ENKUlT_T0_E_clISt17integral_constantIbLb1EES1A_IbLb0EEEEDaS16_S17_EUlS16_E_NS1_11comp_targetILNS1_3genE10ELNS1_11target_archE1200ELNS1_3gpuE4ELNS1_3repE0EEENS1_30default_config_static_selectorELNS0_4arch9wavefront6targetE0EEEvT1_.num_named_barrier, 0
	.set _ZN7rocprim17ROCPRIM_400000_NS6detail17trampoline_kernelINS0_14default_configENS1_25partition_config_selectorILNS1_17partition_subalgoE6ExNS0_10empty_typeEbEEZZNS1_14partition_implILS5_6ELb0ES3_mN6thrust23THRUST_200600_302600_NS6detail15normal_iteratorINSA_10device_ptrIxEEEEPS6_SG_NS0_5tupleIJNSA_16discard_iteratorINSA_11use_defaultEEES6_EEENSH_IJSG_SG_EEES6_PlJNSB_9not_fun_tI7is_trueIxEEEEEE10hipError_tPvRmT3_T4_T5_T6_T7_T9_mT8_P12ihipStream_tbDpT10_ENKUlT_T0_E_clISt17integral_constantIbLb1EES1A_IbLb0EEEEDaS16_S17_EUlS16_E_NS1_11comp_targetILNS1_3genE10ELNS1_11target_archE1200ELNS1_3gpuE4ELNS1_3repE0EEENS1_30default_config_static_selectorELNS0_4arch9wavefront6targetE0EEEvT1_.private_seg_size, 0
	.set _ZN7rocprim17ROCPRIM_400000_NS6detail17trampoline_kernelINS0_14default_configENS1_25partition_config_selectorILNS1_17partition_subalgoE6ExNS0_10empty_typeEbEEZZNS1_14partition_implILS5_6ELb0ES3_mN6thrust23THRUST_200600_302600_NS6detail15normal_iteratorINSA_10device_ptrIxEEEEPS6_SG_NS0_5tupleIJNSA_16discard_iteratorINSA_11use_defaultEEES6_EEENSH_IJSG_SG_EEES6_PlJNSB_9not_fun_tI7is_trueIxEEEEEE10hipError_tPvRmT3_T4_T5_T6_T7_T9_mT8_P12ihipStream_tbDpT10_ENKUlT_T0_E_clISt17integral_constantIbLb1EES1A_IbLb0EEEEDaS16_S17_EUlS16_E_NS1_11comp_targetILNS1_3genE10ELNS1_11target_archE1200ELNS1_3gpuE4ELNS1_3repE0EEENS1_30default_config_static_selectorELNS0_4arch9wavefront6targetE0EEEvT1_.uses_vcc, 0
	.set _ZN7rocprim17ROCPRIM_400000_NS6detail17trampoline_kernelINS0_14default_configENS1_25partition_config_selectorILNS1_17partition_subalgoE6ExNS0_10empty_typeEbEEZZNS1_14partition_implILS5_6ELb0ES3_mN6thrust23THRUST_200600_302600_NS6detail15normal_iteratorINSA_10device_ptrIxEEEEPS6_SG_NS0_5tupleIJNSA_16discard_iteratorINSA_11use_defaultEEES6_EEENSH_IJSG_SG_EEES6_PlJNSB_9not_fun_tI7is_trueIxEEEEEE10hipError_tPvRmT3_T4_T5_T6_T7_T9_mT8_P12ihipStream_tbDpT10_ENKUlT_T0_E_clISt17integral_constantIbLb1EES1A_IbLb0EEEEDaS16_S17_EUlS16_E_NS1_11comp_targetILNS1_3genE10ELNS1_11target_archE1200ELNS1_3gpuE4ELNS1_3repE0EEENS1_30default_config_static_selectorELNS0_4arch9wavefront6targetE0EEEvT1_.uses_flat_scratch, 0
	.set _ZN7rocprim17ROCPRIM_400000_NS6detail17trampoline_kernelINS0_14default_configENS1_25partition_config_selectorILNS1_17partition_subalgoE6ExNS0_10empty_typeEbEEZZNS1_14partition_implILS5_6ELb0ES3_mN6thrust23THRUST_200600_302600_NS6detail15normal_iteratorINSA_10device_ptrIxEEEEPS6_SG_NS0_5tupleIJNSA_16discard_iteratorINSA_11use_defaultEEES6_EEENSH_IJSG_SG_EEES6_PlJNSB_9not_fun_tI7is_trueIxEEEEEE10hipError_tPvRmT3_T4_T5_T6_T7_T9_mT8_P12ihipStream_tbDpT10_ENKUlT_T0_E_clISt17integral_constantIbLb1EES1A_IbLb0EEEEDaS16_S17_EUlS16_E_NS1_11comp_targetILNS1_3genE10ELNS1_11target_archE1200ELNS1_3gpuE4ELNS1_3repE0EEENS1_30default_config_static_selectorELNS0_4arch9wavefront6targetE0EEEvT1_.has_dyn_sized_stack, 0
	.set _ZN7rocprim17ROCPRIM_400000_NS6detail17trampoline_kernelINS0_14default_configENS1_25partition_config_selectorILNS1_17partition_subalgoE6ExNS0_10empty_typeEbEEZZNS1_14partition_implILS5_6ELb0ES3_mN6thrust23THRUST_200600_302600_NS6detail15normal_iteratorINSA_10device_ptrIxEEEEPS6_SG_NS0_5tupleIJNSA_16discard_iteratorINSA_11use_defaultEEES6_EEENSH_IJSG_SG_EEES6_PlJNSB_9not_fun_tI7is_trueIxEEEEEE10hipError_tPvRmT3_T4_T5_T6_T7_T9_mT8_P12ihipStream_tbDpT10_ENKUlT_T0_E_clISt17integral_constantIbLb1EES1A_IbLb0EEEEDaS16_S17_EUlS16_E_NS1_11comp_targetILNS1_3genE10ELNS1_11target_archE1200ELNS1_3gpuE4ELNS1_3repE0EEENS1_30default_config_static_selectorELNS0_4arch9wavefront6targetE0EEEvT1_.has_recursion, 0
	.set _ZN7rocprim17ROCPRIM_400000_NS6detail17trampoline_kernelINS0_14default_configENS1_25partition_config_selectorILNS1_17partition_subalgoE6ExNS0_10empty_typeEbEEZZNS1_14partition_implILS5_6ELb0ES3_mN6thrust23THRUST_200600_302600_NS6detail15normal_iteratorINSA_10device_ptrIxEEEEPS6_SG_NS0_5tupleIJNSA_16discard_iteratorINSA_11use_defaultEEES6_EEENSH_IJSG_SG_EEES6_PlJNSB_9not_fun_tI7is_trueIxEEEEEE10hipError_tPvRmT3_T4_T5_T6_T7_T9_mT8_P12ihipStream_tbDpT10_ENKUlT_T0_E_clISt17integral_constantIbLb1EES1A_IbLb0EEEEDaS16_S17_EUlS16_E_NS1_11comp_targetILNS1_3genE10ELNS1_11target_archE1200ELNS1_3gpuE4ELNS1_3repE0EEENS1_30default_config_static_selectorELNS0_4arch9wavefront6targetE0EEEvT1_.has_indirect_call, 0
	.section	.AMDGPU.csdata,"",@progbits
; Kernel info:
; codeLenInByte = 4
; TotalNumSgprs: 0
; NumVgprs: 0
; ScratchSize: 0
; MemoryBound: 0
; FloatMode: 240
; IeeeMode: 1
; LDSByteSize: 0 bytes/workgroup (compile time only)
; SGPRBlocks: 0
; VGPRBlocks: 0
; NumSGPRsForWavesPerEU: 1
; NumVGPRsForWavesPerEU: 1
; Occupancy: 16
; WaveLimiterHint : 0
; COMPUTE_PGM_RSRC2:SCRATCH_EN: 0
; COMPUTE_PGM_RSRC2:USER_SGPR: 2
; COMPUTE_PGM_RSRC2:TRAP_HANDLER: 0
; COMPUTE_PGM_RSRC2:TGID_X_EN: 1
; COMPUTE_PGM_RSRC2:TGID_Y_EN: 0
; COMPUTE_PGM_RSRC2:TGID_Z_EN: 0
; COMPUTE_PGM_RSRC2:TIDIG_COMP_CNT: 0
	.section	.text._ZN7rocprim17ROCPRIM_400000_NS6detail17trampoline_kernelINS0_14default_configENS1_25partition_config_selectorILNS1_17partition_subalgoE6ExNS0_10empty_typeEbEEZZNS1_14partition_implILS5_6ELb0ES3_mN6thrust23THRUST_200600_302600_NS6detail15normal_iteratorINSA_10device_ptrIxEEEEPS6_SG_NS0_5tupleIJNSA_16discard_iteratorINSA_11use_defaultEEES6_EEENSH_IJSG_SG_EEES6_PlJNSB_9not_fun_tI7is_trueIxEEEEEE10hipError_tPvRmT3_T4_T5_T6_T7_T9_mT8_P12ihipStream_tbDpT10_ENKUlT_T0_E_clISt17integral_constantIbLb1EES1A_IbLb0EEEEDaS16_S17_EUlS16_E_NS1_11comp_targetILNS1_3genE9ELNS1_11target_archE1100ELNS1_3gpuE3ELNS1_3repE0EEENS1_30default_config_static_selectorELNS0_4arch9wavefront6targetE0EEEvT1_,"axG",@progbits,_ZN7rocprim17ROCPRIM_400000_NS6detail17trampoline_kernelINS0_14default_configENS1_25partition_config_selectorILNS1_17partition_subalgoE6ExNS0_10empty_typeEbEEZZNS1_14partition_implILS5_6ELb0ES3_mN6thrust23THRUST_200600_302600_NS6detail15normal_iteratorINSA_10device_ptrIxEEEEPS6_SG_NS0_5tupleIJNSA_16discard_iteratorINSA_11use_defaultEEES6_EEENSH_IJSG_SG_EEES6_PlJNSB_9not_fun_tI7is_trueIxEEEEEE10hipError_tPvRmT3_T4_T5_T6_T7_T9_mT8_P12ihipStream_tbDpT10_ENKUlT_T0_E_clISt17integral_constantIbLb1EES1A_IbLb0EEEEDaS16_S17_EUlS16_E_NS1_11comp_targetILNS1_3genE9ELNS1_11target_archE1100ELNS1_3gpuE3ELNS1_3repE0EEENS1_30default_config_static_selectorELNS0_4arch9wavefront6targetE0EEEvT1_,comdat
	.protected	_ZN7rocprim17ROCPRIM_400000_NS6detail17trampoline_kernelINS0_14default_configENS1_25partition_config_selectorILNS1_17partition_subalgoE6ExNS0_10empty_typeEbEEZZNS1_14partition_implILS5_6ELb0ES3_mN6thrust23THRUST_200600_302600_NS6detail15normal_iteratorINSA_10device_ptrIxEEEEPS6_SG_NS0_5tupleIJNSA_16discard_iteratorINSA_11use_defaultEEES6_EEENSH_IJSG_SG_EEES6_PlJNSB_9not_fun_tI7is_trueIxEEEEEE10hipError_tPvRmT3_T4_T5_T6_T7_T9_mT8_P12ihipStream_tbDpT10_ENKUlT_T0_E_clISt17integral_constantIbLb1EES1A_IbLb0EEEEDaS16_S17_EUlS16_E_NS1_11comp_targetILNS1_3genE9ELNS1_11target_archE1100ELNS1_3gpuE3ELNS1_3repE0EEENS1_30default_config_static_selectorELNS0_4arch9wavefront6targetE0EEEvT1_ ; -- Begin function _ZN7rocprim17ROCPRIM_400000_NS6detail17trampoline_kernelINS0_14default_configENS1_25partition_config_selectorILNS1_17partition_subalgoE6ExNS0_10empty_typeEbEEZZNS1_14partition_implILS5_6ELb0ES3_mN6thrust23THRUST_200600_302600_NS6detail15normal_iteratorINSA_10device_ptrIxEEEEPS6_SG_NS0_5tupleIJNSA_16discard_iteratorINSA_11use_defaultEEES6_EEENSH_IJSG_SG_EEES6_PlJNSB_9not_fun_tI7is_trueIxEEEEEE10hipError_tPvRmT3_T4_T5_T6_T7_T9_mT8_P12ihipStream_tbDpT10_ENKUlT_T0_E_clISt17integral_constantIbLb1EES1A_IbLb0EEEEDaS16_S17_EUlS16_E_NS1_11comp_targetILNS1_3genE9ELNS1_11target_archE1100ELNS1_3gpuE3ELNS1_3repE0EEENS1_30default_config_static_selectorELNS0_4arch9wavefront6targetE0EEEvT1_
	.globl	_ZN7rocprim17ROCPRIM_400000_NS6detail17trampoline_kernelINS0_14default_configENS1_25partition_config_selectorILNS1_17partition_subalgoE6ExNS0_10empty_typeEbEEZZNS1_14partition_implILS5_6ELb0ES3_mN6thrust23THRUST_200600_302600_NS6detail15normal_iteratorINSA_10device_ptrIxEEEEPS6_SG_NS0_5tupleIJNSA_16discard_iteratorINSA_11use_defaultEEES6_EEENSH_IJSG_SG_EEES6_PlJNSB_9not_fun_tI7is_trueIxEEEEEE10hipError_tPvRmT3_T4_T5_T6_T7_T9_mT8_P12ihipStream_tbDpT10_ENKUlT_T0_E_clISt17integral_constantIbLb1EES1A_IbLb0EEEEDaS16_S17_EUlS16_E_NS1_11comp_targetILNS1_3genE9ELNS1_11target_archE1100ELNS1_3gpuE3ELNS1_3repE0EEENS1_30default_config_static_selectorELNS0_4arch9wavefront6targetE0EEEvT1_
	.p2align	8
	.type	_ZN7rocprim17ROCPRIM_400000_NS6detail17trampoline_kernelINS0_14default_configENS1_25partition_config_selectorILNS1_17partition_subalgoE6ExNS0_10empty_typeEbEEZZNS1_14partition_implILS5_6ELb0ES3_mN6thrust23THRUST_200600_302600_NS6detail15normal_iteratorINSA_10device_ptrIxEEEEPS6_SG_NS0_5tupleIJNSA_16discard_iteratorINSA_11use_defaultEEES6_EEENSH_IJSG_SG_EEES6_PlJNSB_9not_fun_tI7is_trueIxEEEEEE10hipError_tPvRmT3_T4_T5_T6_T7_T9_mT8_P12ihipStream_tbDpT10_ENKUlT_T0_E_clISt17integral_constantIbLb1EES1A_IbLb0EEEEDaS16_S17_EUlS16_E_NS1_11comp_targetILNS1_3genE9ELNS1_11target_archE1100ELNS1_3gpuE3ELNS1_3repE0EEENS1_30default_config_static_selectorELNS0_4arch9wavefront6targetE0EEEvT1_,@function
_ZN7rocprim17ROCPRIM_400000_NS6detail17trampoline_kernelINS0_14default_configENS1_25partition_config_selectorILNS1_17partition_subalgoE6ExNS0_10empty_typeEbEEZZNS1_14partition_implILS5_6ELb0ES3_mN6thrust23THRUST_200600_302600_NS6detail15normal_iteratorINSA_10device_ptrIxEEEEPS6_SG_NS0_5tupleIJNSA_16discard_iteratorINSA_11use_defaultEEES6_EEENSH_IJSG_SG_EEES6_PlJNSB_9not_fun_tI7is_trueIxEEEEEE10hipError_tPvRmT3_T4_T5_T6_T7_T9_mT8_P12ihipStream_tbDpT10_ENKUlT_T0_E_clISt17integral_constantIbLb1EES1A_IbLb0EEEEDaS16_S17_EUlS16_E_NS1_11comp_targetILNS1_3genE9ELNS1_11target_archE1100ELNS1_3gpuE3ELNS1_3repE0EEENS1_30default_config_static_selectorELNS0_4arch9wavefront6targetE0EEEvT1_: ; @_ZN7rocprim17ROCPRIM_400000_NS6detail17trampoline_kernelINS0_14default_configENS1_25partition_config_selectorILNS1_17partition_subalgoE6ExNS0_10empty_typeEbEEZZNS1_14partition_implILS5_6ELb0ES3_mN6thrust23THRUST_200600_302600_NS6detail15normal_iteratorINSA_10device_ptrIxEEEEPS6_SG_NS0_5tupleIJNSA_16discard_iteratorINSA_11use_defaultEEES6_EEENSH_IJSG_SG_EEES6_PlJNSB_9not_fun_tI7is_trueIxEEEEEE10hipError_tPvRmT3_T4_T5_T6_T7_T9_mT8_P12ihipStream_tbDpT10_ENKUlT_T0_E_clISt17integral_constantIbLb1EES1A_IbLb0EEEEDaS16_S17_EUlS16_E_NS1_11comp_targetILNS1_3genE9ELNS1_11target_archE1100ELNS1_3gpuE3ELNS1_3repE0EEENS1_30default_config_static_selectorELNS0_4arch9wavefront6targetE0EEEvT1_
; %bb.0:
	.section	.rodata,"a",@progbits
	.p2align	6, 0x0
	.amdhsa_kernel _ZN7rocprim17ROCPRIM_400000_NS6detail17trampoline_kernelINS0_14default_configENS1_25partition_config_selectorILNS1_17partition_subalgoE6ExNS0_10empty_typeEbEEZZNS1_14partition_implILS5_6ELb0ES3_mN6thrust23THRUST_200600_302600_NS6detail15normal_iteratorINSA_10device_ptrIxEEEEPS6_SG_NS0_5tupleIJNSA_16discard_iteratorINSA_11use_defaultEEES6_EEENSH_IJSG_SG_EEES6_PlJNSB_9not_fun_tI7is_trueIxEEEEEE10hipError_tPvRmT3_T4_T5_T6_T7_T9_mT8_P12ihipStream_tbDpT10_ENKUlT_T0_E_clISt17integral_constantIbLb1EES1A_IbLb0EEEEDaS16_S17_EUlS16_E_NS1_11comp_targetILNS1_3genE9ELNS1_11target_archE1100ELNS1_3gpuE3ELNS1_3repE0EEENS1_30default_config_static_selectorELNS0_4arch9wavefront6targetE0EEEvT1_
		.amdhsa_group_segment_fixed_size 0
		.amdhsa_private_segment_fixed_size 0
		.amdhsa_kernarg_size 120
		.amdhsa_user_sgpr_count 2
		.amdhsa_user_sgpr_dispatch_ptr 0
		.amdhsa_user_sgpr_queue_ptr 0
		.amdhsa_user_sgpr_kernarg_segment_ptr 1
		.amdhsa_user_sgpr_dispatch_id 0
		.amdhsa_user_sgpr_private_segment_size 0
		.amdhsa_wavefront_size32 1
		.amdhsa_uses_dynamic_stack 0
		.amdhsa_enable_private_segment 0
		.amdhsa_system_sgpr_workgroup_id_x 1
		.amdhsa_system_sgpr_workgroup_id_y 0
		.amdhsa_system_sgpr_workgroup_id_z 0
		.amdhsa_system_sgpr_workgroup_info 0
		.amdhsa_system_vgpr_workitem_id 0
		.amdhsa_next_free_vgpr 1
		.amdhsa_next_free_sgpr 1
		.amdhsa_reserve_vcc 0
		.amdhsa_float_round_mode_32 0
		.amdhsa_float_round_mode_16_64 0
		.amdhsa_float_denorm_mode_32 3
		.amdhsa_float_denorm_mode_16_64 3
		.amdhsa_fp16_overflow 0
		.amdhsa_workgroup_processor_mode 1
		.amdhsa_memory_ordered 1
		.amdhsa_forward_progress 1
		.amdhsa_inst_pref_size 0
		.amdhsa_round_robin_scheduling 0
		.amdhsa_exception_fp_ieee_invalid_op 0
		.amdhsa_exception_fp_denorm_src 0
		.amdhsa_exception_fp_ieee_div_zero 0
		.amdhsa_exception_fp_ieee_overflow 0
		.amdhsa_exception_fp_ieee_underflow 0
		.amdhsa_exception_fp_ieee_inexact 0
		.amdhsa_exception_int_div_zero 0
	.end_amdhsa_kernel
	.section	.text._ZN7rocprim17ROCPRIM_400000_NS6detail17trampoline_kernelINS0_14default_configENS1_25partition_config_selectorILNS1_17partition_subalgoE6ExNS0_10empty_typeEbEEZZNS1_14partition_implILS5_6ELb0ES3_mN6thrust23THRUST_200600_302600_NS6detail15normal_iteratorINSA_10device_ptrIxEEEEPS6_SG_NS0_5tupleIJNSA_16discard_iteratorINSA_11use_defaultEEES6_EEENSH_IJSG_SG_EEES6_PlJNSB_9not_fun_tI7is_trueIxEEEEEE10hipError_tPvRmT3_T4_T5_T6_T7_T9_mT8_P12ihipStream_tbDpT10_ENKUlT_T0_E_clISt17integral_constantIbLb1EES1A_IbLb0EEEEDaS16_S17_EUlS16_E_NS1_11comp_targetILNS1_3genE9ELNS1_11target_archE1100ELNS1_3gpuE3ELNS1_3repE0EEENS1_30default_config_static_selectorELNS0_4arch9wavefront6targetE0EEEvT1_,"axG",@progbits,_ZN7rocprim17ROCPRIM_400000_NS6detail17trampoline_kernelINS0_14default_configENS1_25partition_config_selectorILNS1_17partition_subalgoE6ExNS0_10empty_typeEbEEZZNS1_14partition_implILS5_6ELb0ES3_mN6thrust23THRUST_200600_302600_NS6detail15normal_iteratorINSA_10device_ptrIxEEEEPS6_SG_NS0_5tupleIJNSA_16discard_iteratorINSA_11use_defaultEEES6_EEENSH_IJSG_SG_EEES6_PlJNSB_9not_fun_tI7is_trueIxEEEEEE10hipError_tPvRmT3_T4_T5_T6_T7_T9_mT8_P12ihipStream_tbDpT10_ENKUlT_T0_E_clISt17integral_constantIbLb1EES1A_IbLb0EEEEDaS16_S17_EUlS16_E_NS1_11comp_targetILNS1_3genE9ELNS1_11target_archE1100ELNS1_3gpuE3ELNS1_3repE0EEENS1_30default_config_static_selectorELNS0_4arch9wavefront6targetE0EEEvT1_,comdat
.Lfunc_end2259:
	.size	_ZN7rocprim17ROCPRIM_400000_NS6detail17trampoline_kernelINS0_14default_configENS1_25partition_config_selectorILNS1_17partition_subalgoE6ExNS0_10empty_typeEbEEZZNS1_14partition_implILS5_6ELb0ES3_mN6thrust23THRUST_200600_302600_NS6detail15normal_iteratorINSA_10device_ptrIxEEEEPS6_SG_NS0_5tupleIJNSA_16discard_iteratorINSA_11use_defaultEEES6_EEENSH_IJSG_SG_EEES6_PlJNSB_9not_fun_tI7is_trueIxEEEEEE10hipError_tPvRmT3_T4_T5_T6_T7_T9_mT8_P12ihipStream_tbDpT10_ENKUlT_T0_E_clISt17integral_constantIbLb1EES1A_IbLb0EEEEDaS16_S17_EUlS16_E_NS1_11comp_targetILNS1_3genE9ELNS1_11target_archE1100ELNS1_3gpuE3ELNS1_3repE0EEENS1_30default_config_static_selectorELNS0_4arch9wavefront6targetE0EEEvT1_, .Lfunc_end2259-_ZN7rocprim17ROCPRIM_400000_NS6detail17trampoline_kernelINS0_14default_configENS1_25partition_config_selectorILNS1_17partition_subalgoE6ExNS0_10empty_typeEbEEZZNS1_14partition_implILS5_6ELb0ES3_mN6thrust23THRUST_200600_302600_NS6detail15normal_iteratorINSA_10device_ptrIxEEEEPS6_SG_NS0_5tupleIJNSA_16discard_iteratorINSA_11use_defaultEEES6_EEENSH_IJSG_SG_EEES6_PlJNSB_9not_fun_tI7is_trueIxEEEEEE10hipError_tPvRmT3_T4_T5_T6_T7_T9_mT8_P12ihipStream_tbDpT10_ENKUlT_T0_E_clISt17integral_constantIbLb1EES1A_IbLb0EEEEDaS16_S17_EUlS16_E_NS1_11comp_targetILNS1_3genE9ELNS1_11target_archE1100ELNS1_3gpuE3ELNS1_3repE0EEENS1_30default_config_static_selectorELNS0_4arch9wavefront6targetE0EEEvT1_
                                        ; -- End function
	.set _ZN7rocprim17ROCPRIM_400000_NS6detail17trampoline_kernelINS0_14default_configENS1_25partition_config_selectorILNS1_17partition_subalgoE6ExNS0_10empty_typeEbEEZZNS1_14partition_implILS5_6ELb0ES3_mN6thrust23THRUST_200600_302600_NS6detail15normal_iteratorINSA_10device_ptrIxEEEEPS6_SG_NS0_5tupleIJNSA_16discard_iteratorINSA_11use_defaultEEES6_EEENSH_IJSG_SG_EEES6_PlJNSB_9not_fun_tI7is_trueIxEEEEEE10hipError_tPvRmT3_T4_T5_T6_T7_T9_mT8_P12ihipStream_tbDpT10_ENKUlT_T0_E_clISt17integral_constantIbLb1EES1A_IbLb0EEEEDaS16_S17_EUlS16_E_NS1_11comp_targetILNS1_3genE9ELNS1_11target_archE1100ELNS1_3gpuE3ELNS1_3repE0EEENS1_30default_config_static_selectorELNS0_4arch9wavefront6targetE0EEEvT1_.num_vgpr, 0
	.set _ZN7rocprim17ROCPRIM_400000_NS6detail17trampoline_kernelINS0_14default_configENS1_25partition_config_selectorILNS1_17partition_subalgoE6ExNS0_10empty_typeEbEEZZNS1_14partition_implILS5_6ELb0ES3_mN6thrust23THRUST_200600_302600_NS6detail15normal_iteratorINSA_10device_ptrIxEEEEPS6_SG_NS0_5tupleIJNSA_16discard_iteratorINSA_11use_defaultEEES6_EEENSH_IJSG_SG_EEES6_PlJNSB_9not_fun_tI7is_trueIxEEEEEE10hipError_tPvRmT3_T4_T5_T6_T7_T9_mT8_P12ihipStream_tbDpT10_ENKUlT_T0_E_clISt17integral_constantIbLb1EES1A_IbLb0EEEEDaS16_S17_EUlS16_E_NS1_11comp_targetILNS1_3genE9ELNS1_11target_archE1100ELNS1_3gpuE3ELNS1_3repE0EEENS1_30default_config_static_selectorELNS0_4arch9wavefront6targetE0EEEvT1_.num_agpr, 0
	.set _ZN7rocprim17ROCPRIM_400000_NS6detail17trampoline_kernelINS0_14default_configENS1_25partition_config_selectorILNS1_17partition_subalgoE6ExNS0_10empty_typeEbEEZZNS1_14partition_implILS5_6ELb0ES3_mN6thrust23THRUST_200600_302600_NS6detail15normal_iteratorINSA_10device_ptrIxEEEEPS6_SG_NS0_5tupleIJNSA_16discard_iteratorINSA_11use_defaultEEES6_EEENSH_IJSG_SG_EEES6_PlJNSB_9not_fun_tI7is_trueIxEEEEEE10hipError_tPvRmT3_T4_T5_T6_T7_T9_mT8_P12ihipStream_tbDpT10_ENKUlT_T0_E_clISt17integral_constantIbLb1EES1A_IbLb0EEEEDaS16_S17_EUlS16_E_NS1_11comp_targetILNS1_3genE9ELNS1_11target_archE1100ELNS1_3gpuE3ELNS1_3repE0EEENS1_30default_config_static_selectorELNS0_4arch9wavefront6targetE0EEEvT1_.numbered_sgpr, 0
	.set _ZN7rocprim17ROCPRIM_400000_NS6detail17trampoline_kernelINS0_14default_configENS1_25partition_config_selectorILNS1_17partition_subalgoE6ExNS0_10empty_typeEbEEZZNS1_14partition_implILS5_6ELb0ES3_mN6thrust23THRUST_200600_302600_NS6detail15normal_iteratorINSA_10device_ptrIxEEEEPS6_SG_NS0_5tupleIJNSA_16discard_iteratorINSA_11use_defaultEEES6_EEENSH_IJSG_SG_EEES6_PlJNSB_9not_fun_tI7is_trueIxEEEEEE10hipError_tPvRmT3_T4_T5_T6_T7_T9_mT8_P12ihipStream_tbDpT10_ENKUlT_T0_E_clISt17integral_constantIbLb1EES1A_IbLb0EEEEDaS16_S17_EUlS16_E_NS1_11comp_targetILNS1_3genE9ELNS1_11target_archE1100ELNS1_3gpuE3ELNS1_3repE0EEENS1_30default_config_static_selectorELNS0_4arch9wavefront6targetE0EEEvT1_.num_named_barrier, 0
	.set _ZN7rocprim17ROCPRIM_400000_NS6detail17trampoline_kernelINS0_14default_configENS1_25partition_config_selectorILNS1_17partition_subalgoE6ExNS0_10empty_typeEbEEZZNS1_14partition_implILS5_6ELb0ES3_mN6thrust23THRUST_200600_302600_NS6detail15normal_iteratorINSA_10device_ptrIxEEEEPS6_SG_NS0_5tupleIJNSA_16discard_iteratorINSA_11use_defaultEEES6_EEENSH_IJSG_SG_EEES6_PlJNSB_9not_fun_tI7is_trueIxEEEEEE10hipError_tPvRmT3_T4_T5_T6_T7_T9_mT8_P12ihipStream_tbDpT10_ENKUlT_T0_E_clISt17integral_constantIbLb1EES1A_IbLb0EEEEDaS16_S17_EUlS16_E_NS1_11comp_targetILNS1_3genE9ELNS1_11target_archE1100ELNS1_3gpuE3ELNS1_3repE0EEENS1_30default_config_static_selectorELNS0_4arch9wavefront6targetE0EEEvT1_.private_seg_size, 0
	.set _ZN7rocprim17ROCPRIM_400000_NS6detail17trampoline_kernelINS0_14default_configENS1_25partition_config_selectorILNS1_17partition_subalgoE6ExNS0_10empty_typeEbEEZZNS1_14partition_implILS5_6ELb0ES3_mN6thrust23THRUST_200600_302600_NS6detail15normal_iteratorINSA_10device_ptrIxEEEEPS6_SG_NS0_5tupleIJNSA_16discard_iteratorINSA_11use_defaultEEES6_EEENSH_IJSG_SG_EEES6_PlJNSB_9not_fun_tI7is_trueIxEEEEEE10hipError_tPvRmT3_T4_T5_T6_T7_T9_mT8_P12ihipStream_tbDpT10_ENKUlT_T0_E_clISt17integral_constantIbLb1EES1A_IbLb0EEEEDaS16_S17_EUlS16_E_NS1_11comp_targetILNS1_3genE9ELNS1_11target_archE1100ELNS1_3gpuE3ELNS1_3repE0EEENS1_30default_config_static_selectorELNS0_4arch9wavefront6targetE0EEEvT1_.uses_vcc, 0
	.set _ZN7rocprim17ROCPRIM_400000_NS6detail17trampoline_kernelINS0_14default_configENS1_25partition_config_selectorILNS1_17partition_subalgoE6ExNS0_10empty_typeEbEEZZNS1_14partition_implILS5_6ELb0ES3_mN6thrust23THRUST_200600_302600_NS6detail15normal_iteratorINSA_10device_ptrIxEEEEPS6_SG_NS0_5tupleIJNSA_16discard_iteratorINSA_11use_defaultEEES6_EEENSH_IJSG_SG_EEES6_PlJNSB_9not_fun_tI7is_trueIxEEEEEE10hipError_tPvRmT3_T4_T5_T6_T7_T9_mT8_P12ihipStream_tbDpT10_ENKUlT_T0_E_clISt17integral_constantIbLb1EES1A_IbLb0EEEEDaS16_S17_EUlS16_E_NS1_11comp_targetILNS1_3genE9ELNS1_11target_archE1100ELNS1_3gpuE3ELNS1_3repE0EEENS1_30default_config_static_selectorELNS0_4arch9wavefront6targetE0EEEvT1_.uses_flat_scratch, 0
	.set _ZN7rocprim17ROCPRIM_400000_NS6detail17trampoline_kernelINS0_14default_configENS1_25partition_config_selectorILNS1_17partition_subalgoE6ExNS0_10empty_typeEbEEZZNS1_14partition_implILS5_6ELb0ES3_mN6thrust23THRUST_200600_302600_NS6detail15normal_iteratorINSA_10device_ptrIxEEEEPS6_SG_NS0_5tupleIJNSA_16discard_iteratorINSA_11use_defaultEEES6_EEENSH_IJSG_SG_EEES6_PlJNSB_9not_fun_tI7is_trueIxEEEEEE10hipError_tPvRmT3_T4_T5_T6_T7_T9_mT8_P12ihipStream_tbDpT10_ENKUlT_T0_E_clISt17integral_constantIbLb1EES1A_IbLb0EEEEDaS16_S17_EUlS16_E_NS1_11comp_targetILNS1_3genE9ELNS1_11target_archE1100ELNS1_3gpuE3ELNS1_3repE0EEENS1_30default_config_static_selectorELNS0_4arch9wavefront6targetE0EEEvT1_.has_dyn_sized_stack, 0
	.set _ZN7rocprim17ROCPRIM_400000_NS6detail17trampoline_kernelINS0_14default_configENS1_25partition_config_selectorILNS1_17partition_subalgoE6ExNS0_10empty_typeEbEEZZNS1_14partition_implILS5_6ELb0ES3_mN6thrust23THRUST_200600_302600_NS6detail15normal_iteratorINSA_10device_ptrIxEEEEPS6_SG_NS0_5tupleIJNSA_16discard_iteratorINSA_11use_defaultEEES6_EEENSH_IJSG_SG_EEES6_PlJNSB_9not_fun_tI7is_trueIxEEEEEE10hipError_tPvRmT3_T4_T5_T6_T7_T9_mT8_P12ihipStream_tbDpT10_ENKUlT_T0_E_clISt17integral_constantIbLb1EES1A_IbLb0EEEEDaS16_S17_EUlS16_E_NS1_11comp_targetILNS1_3genE9ELNS1_11target_archE1100ELNS1_3gpuE3ELNS1_3repE0EEENS1_30default_config_static_selectorELNS0_4arch9wavefront6targetE0EEEvT1_.has_recursion, 0
	.set _ZN7rocprim17ROCPRIM_400000_NS6detail17trampoline_kernelINS0_14default_configENS1_25partition_config_selectorILNS1_17partition_subalgoE6ExNS0_10empty_typeEbEEZZNS1_14partition_implILS5_6ELb0ES3_mN6thrust23THRUST_200600_302600_NS6detail15normal_iteratorINSA_10device_ptrIxEEEEPS6_SG_NS0_5tupleIJNSA_16discard_iteratorINSA_11use_defaultEEES6_EEENSH_IJSG_SG_EEES6_PlJNSB_9not_fun_tI7is_trueIxEEEEEE10hipError_tPvRmT3_T4_T5_T6_T7_T9_mT8_P12ihipStream_tbDpT10_ENKUlT_T0_E_clISt17integral_constantIbLb1EES1A_IbLb0EEEEDaS16_S17_EUlS16_E_NS1_11comp_targetILNS1_3genE9ELNS1_11target_archE1100ELNS1_3gpuE3ELNS1_3repE0EEENS1_30default_config_static_selectorELNS0_4arch9wavefront6targetE0EEEvT1_.has_indirect_call, 0
	.section	.AMDGPU.csdata,"",@progbits
; Kernel info:
; codeLenInByte = 0
; TotalNumSgprs: 0
; NumVgprs: 0
; ScratchSize: 0
; MemoryBound: 0
; FloatMode: 240
; IeeeMode: 1
; LDSByteSize: 0 bytes/workgroup (compile time only)
; SGPRBlocks: 0
; VGPRBlocks: 0
; NumSGPRsForWavesPerEU: 1
; NumVGPRsForWavesPerEU: 1
; Occupancy: 16
; WaveLimiterHint : 0
; COMPUTE_PGM_RSRC2:SCRATCH_EN: 0
; COMPUTE_PGM_RSRC2:USER_SGPR: 2
; COMPUTE_PGM_RSRC2:TRAP_HANDLER: 0
; COMPUTE_PGM_RSRC2:TGID_X_EN: 1
; COMPUTE_PGM_RSRC2:TGID_Y_EN: 0
; COMPUTE_PGM_RSRC2:TGID_Z_EN: 0
; COMPUTE_PGM_RSRC2:TIDIG_COMP_CNT: 0
	.section	.text._ZN7rocprim17ROCPRIM_400000_NS6detail17trampoline_kernelINS0_14default_configENS1_25partition_config_selectorILNS1_17partition_subalgoE6ExNS0_10empty_typeEbEEZZNS1_14partition_implILS5_6ELb0ES3_mN6thrust23THRUST_200600_302600_NS6detail15normal_iteratorINSA_10device_ptrIxEEEEPS6_SG_NS0_5tupleIJNSA_16discard_iteratorINSA_11use_defaultEEES6_EEENSH_IJSG_SG_EEES6_PlJNSB_9not_fun_tI7is_trueIxEEEEEE10hipError_tPvRmT3_T4_T5_T6_T7_T9_mT8_P12ihipStream_tbDpT10_ENKUlT_T0_E_clISt17integral_constantIbLb1EES1A_IbLb0EEEEDaS16_S17_EUlS16_E_NS1_11comp_targetILNS1_3genE8ELNS1_11target_archE1030ELNS1_3gpuE2ELNS1_3repE0EEENS1_30default_config_static_selectorELNS0_4arch9wavefront6targetE0EEEvT1_,"axG",@progbits,_ZN7rocprim17ROCPRIM_400000_NS6detail17trampoline_kernelINS0_14default_configENS1_25partition_config_selectorILNS1_17partition_subalgoE6ExNS0_10empty_typeEbEEZZNS1_14partition_implILS5_6ELb0ES3_mN6thrust23THRUST_200600_302600_NS6detail15normal_iteratorINSA_10device_ptrIxEEEEPS6_SG_NS0_5tupleIJNSA_16discard_iteratorINSA_11use_defaultEEES6_EEENSH_IJSG_SG_EEES6_PlJNSB_9not_fun_tI7is_trueIxEEEEEE10hipError_tPvRmT3_T4_T5_T6_T7_T9_mT8_P12ihipStream_tbDpT10_ENKUlT_T0_E_clISt17integral_constantIbLb1EES1A_IbLb0EEEEDaS16_S17_EUlS16_E_NS1_11comp_targetILNS1_3genE8ELNS1_11target_archE1030ELNS1_3gpuE2ELNS1_3repE0EEENS1_30default_config_static_selectorELNS0_4arch9wavefront6targetE0EEEvT1_,comdat
	.protected	_ZN7rocprim17ROCPRIM_400000_NS6detail17trampoline_kernelINS0_14default_configENS1_25partition_config_selectorILNS1_17partition_subalgoE6ExNS0_10empty_typeEbEEZZNS1_14partition_implILS5_6ELb0ES3_mN6thrust23THRUST_200600_302600_NS6detail15normal_iteratorINSA_10device_ptrIxEEEEPS6_SG_NS0_5tupleIJNSA_16discard_iteratorINSA_11use_defaultEEES6_EEENSH_IJSG_SG_EEES6_PlJNSB_9not_fun_tI7is_trueIxEEEEEE10hipError_tPvRmT3_T4_T5_T6_T7_T9_mT8_P12ihipStream_tbDpT10_ENKUlT_T0_E_clISt17integral_constantIbLb1EES1A_IbLb0EEEEDaS16_S17_EUlS16_E_NS1_11comp_targetILNS1_3genE8ELNS1_11target_archE1030ELNS1_3gpuE2ELNS1_3repE0EEENS1_30default_config_static_selectorELNS0_4arch9wavefront6targetE0EEEvT1_ ; -- Begin function _ZN7rocprim17ROCPRIM_400000_NS6detail17trampoline_kernelINS0_14default_configENS1_25partition_config_selectorILNS1_17partition_subalgoE6ExNS0_10empty_typeEbEEZZNS1_14partition_implILS5_6ELb0ES3_mN6thrust23THRUST_200600_302600_NS6detail15normal_iteratorINSA_10device_ptrIxEEEEPS6_SG_NS0_5tupleIJNSA_16discard_iteratorINSA_11use_defaultEEES6_EEENSH_IJSG_SG_EEES6_PlJNSB_9not_fun_tI7is_trueIxEEEEEE10hipError_tPvRmT3_T4_T5_T6_T7_T9_mT8_P12ihipStream_tbDpT10_ENKUlT_T0_E_clISt17integral_constantIbLb1EES1A_IbLb0EEEEDaS16_S17_EUlS16_E_NS1_11comp_targetILNS1_3genE8ELNS1_11target_archE1030ELNS1_3gpuE2ELNS1_3repE0EEENS1_30default_config_static_selectorELNS0_4arch9wavefront6targetE0EEEvT1_
	.globl	_ZN7rocprim17ROCPRIM_400000_NS6detail17trampoline_kernelINS0_14default_configENS1_25partition_config_selectorILNS1_17partition_subalgoE6ExNS0_10empty_typeEbEEZZNS1_14partition_implILS5_6ELb0ES3_mN6thrust23THRUST_200600_302600_NS6detail15normal_iteratorINSA_10device_ptrIxEEEEPS6_SG_NS0_5tupleIJNSA_16discard_iteratorINSA_11use_defaultEEES6_EEENSH_IJSG_SG_EEES6_PlJNSB_9not_fun_tI7is_trueIxEEEEEE10hipError_tPvRmT3_T4_T5_T6_T7_T9_mT8_P12ihipStream_tbDpT10_ENKUlT_T0_E_clISt17integral_constantIbLb1EES1A_IbLb0EEEEDaS16_S17_EUlS16_E_NS1_11comp_targetILNS1_3genE8ELNS1_11target_archE1030ELNS1_3gpuE2ELNS1_3repE0EEENS1_30default_config_static_selectorELNS0_4arch9wavefront6targetE0EEEvT1_
	.p2align	8
	.type	_ZN7rocprim17ROCPRIM_400000_NS6detail17trampoline_kernelINS0_14default_configENS1_25partition_config_selectorILNS1_17partition_subalgoE6ExNS0_10empty_typeEbEEZZNS1_14partition_implILS5_6ELb0ES3_mN6thrust23THRUST_200600_302600_NS6detail15normal_iteratorINSA_10device_ptrIxEEEEPS6_SG_NS0_5tupleIJNSA_16discard_iteratorINSA_11use_defaultEEES6_EEENSH_IJSG_SG_EEES6_PlJNSB_9not_fun_tI7is_trueIxEEEEEE10hipError_tPvRmT3_T4_T5_T6_T7_T9_mT8_P12ihipStream_tbDpT10_ENKUlT_T0_E_clISt17integral_constantIbLb1EES1A_IbLb0EEEEDaS16_S17_EUlS16_E_NS1_11comp_targetILNS1_3genE8ELNS1_11target_archE1030ELNS1_3gpuE2ELNS1_3repE0EEENS1_30default_config_static_selectorELNS0_4arch9wavefront6targetE0EEEvT1_,@function
_ZN7rocprim17ROCPRIM_400000_NS6detail17trampoline_kernelINS0_14default_configENS1_25partition_config_selectorILNS1_17partition_subalgoE6ExNS0_10empty_typeEbEEZZNS1_14partition_implILS5_6ELb0ES3_mN6thrust23THRUST_200600_302600_NS6detail15normal_iteratorINSA_10device_ptrIxEEEEPS6_SG_NS0_5tupleIJNSA_16discard_iteratorINSA_11use_defaultEEES6_EEENSH_IJSG_SG_EEES6_PlJNSB_9not_fun_tI7is_trueIxEEEEEE10hipError_tPvRmT3_T4_T5_T6_T7_T9_mT8_P12ihipStream_tbDpT10_ENKUlT_T0_E_clISt17integral_constantIbLb1EES1A_IbLb0EEEEDaS16_S17_EUlS16_E_NS1_11comp_targetILNS1_3genE8ELNS1_11target_archE1030ELNS1_3gpuE2ELNS1_3repE0EEENS1_30default_config_static_selectorELNS0_4arch9wavefront6targetE0EEEvT1_: ; @_ZN7rocprim17ROCPRIM_400000_NS6detail17trampoline_kernelINS0_14default_configENS1_25partition_config_selectorILNS1_17partition_subalgoE6ExNS0_10empty_typeEbEEZZNS1_14partition_implILS5_6ELb0ES3_mN6thrust23THRUST_200600_302600_NS6detail15normal_iteratorINSA_10device_ptrIxEEEEPS6_SG_NS0_5tupleIJNSA_16discard_iteratorINSA_11use_defaultEEES6_EEENSH_IJSG_SG_EEES6_PlJNSB_9not_fun_tI7is_trueIxEEEEEE10hipError_tPvRmT3_T4_T5_T6_T7_T9_mT8_P12ihipStream_tbDpT10_ENKUlT_T0_E_clISt17integral_constantIbLb1EES1A_IbLb0EEEEDaS16_S17_EUlS16_E_NS1_11comp_targetILNS1_3genE8ELNS1_11target_archE1030ELNS1_3gpuE2ELNS1_3repE0EEENS1_30default_config_static_selectorELNS0_4arch9wavefront6targetE0EEEvT1_
; %bb.0:
	.section	.rodata,"a",@progbits
	.p2align	6, 0x0
	.amdhsa_kernel _ZN7rocprim17ROCPRIM_400000_NS6detail17trampoline_kernelINS0_14default_configENS1_25partition_config_selectorILNS1_17partition_subalgoE6ExNS0_10empty_typeEbEEZZNS1_14partition_implILS5_6ELb0ES3_mN6thrust23THRUST_200600_302600_NS6detail15normal_iteratorINSA_10device_ptrIxEEEEPS6_SG_NS0_5tupleIJNSA_16discard_iteratorINSA_11use_defaultEEES6_EEENSH_IJSG_SG_EEES6_PlJNSB_9not_fun_tI7is_trueIxEEEEEE10hipError_tPvRmT3_T4_T5_T6_T7_T9_mT8_P12ihipStream_tbDpT10_ENKUlT_T0_E_clISt17integral_constantIbLb1EES1A_IbLb0EEEEDaS16_S17_EUlS16_E_NS1_11comp_targetILNS1_3genE8ELNS1_11target_archE1030ELNS1_3gpuE2ELNS1_3repE0EEENS1_30default_config_static_selectorELNS0_4arch9wavefront6targetE0EEEvT1_
		.amdhsa_group_segment_fixed_size 0
		.amdhsa_private_segment_fixed_size 0
		.amdhsa_kernarg_size 120
		.amdhsa_user_sgpr_count 2
		.amdhsa_user_sgpr_dispatch_ptr 0
		.amdhsa_user_sgpr_queue_ptr 0
		.amdhsa_user_sgpr_kernarg_segment_ptr 1
		.amdhsa_user_sgpr_dispatch_id 0
		.amdhsa_user_sgpr_private_segment_size 0
		.amdhsa_wavefront_size32 1
		.amdhsa_uses_dynamic_stack 0
		.amdhsa_enable_private_segment 0
		.amdhsa_system_sgpr_workgroup_id_x 1
		.amdhsa_system_sgpr_workgroup_id_y 0
		.amdhsa_system_sgpr_workgroup_id_z 0
		.amdhsa_system_sgpr_workgroup_info 0
		.amdhsa_system_vgpr_workitem_id 0
		.amdhsa_next_free_vgpr 1
		.amdhsa_next_free_sgpr 1
		.amdhsa_reserve_vcc 0
		.amdhsa_float_round_mode_32 0
		.amdhsa_float_round_mode_16_64 0
		.amdhsa_float_denorm_mode_32 3
		.amdhsa_float_denorm_mode_16_64 3
		.amdhsa_fp16_overflow 0
		.amdhsa_workgroup_processor_mode 1
		.amdhsa_memory_ordered 1
		.amdhsa_forward_progress 1
		.amdhsa_inst_pref_size 0
		.amdhsa_round_robin_scheduling 0
		.amdhsa_exception_fp_ieee_invalid_op 0
		.amdhsa_exception_fp_denorm_src 0
		.amdhsa_exception_fp_ieee_div_zero 0
		.amdhsa_exception_fp_ieee_overflow 0
		.amdhsa_exception_fp_ieee_underflow 0
		.amdhsa_exception_fp_ieee_inexact 0
		.amdhsa_exception_int_div_zero 0
	.end_amdhsa_kernel
	.section	.text._ZN7rocprim17ROCPRIM_400000_NS6detail17trampoline_kernelINS0_14default_configENS1_25partition_config_selectorILNS1_17partition_subalgoE6ExNS0_10empty_typeEbEEZZNS1_14partition_implILS5_6ELb0ES3_mN6thrust23THRUST_200600_302600_NS6detail15normal_iteratorINSA_10device_ptrIxEEEEPS6_SG_NS0_5tupleIJNSA_16discard_iteratorINSA_11use_defaultEEES6_EEENSH_IJSG_SG_EEES6_PlJNSB_9not_fun_tI7is_trueIxEEEEEE10hipError_tPvRmT3_T4_T5_T6_T7_T9_mT8_P12ihipStream_tbDpT10_ENKUlT_T0_E_clISt17integral_constantIbLb1EES1A_IbLb0EEEEDaS16_S17_EUlS16_E_NS1_11comp_targetILNS1_3genE8ELNS1_11target_archE1030ELNS1_3gpuE2ELNS1_3repE0EEENS1_30default_config_static_selectorELNS0_4arch9wavefront6targetE0EEEvT1_,"axG",@progbits,_ZN7rocprim17ROCPRIM_400000_NS6detail17trampoline_kernelINS0_14default_configENS1_25partition_config_selectorILNS1_17partition_subalgoE6ExNS0_10empty_typeEbEEZZNS1_14partition_implILS5_6ELb0ES3_mN6thrust23THRUST_200600_302600_NS6detail15normal_iteratorINSA_10device_ptrIxEEEEPS6_SG_NS0_5tupleIJNSA_16discard_iteratorINSA_11use_defaultEEES6_EEENSH_IJSG_SG_EEES6_PlJNSB_9not_fun_tI7is_trueIxEEEEEE10hipError_tPvRmT3_T4_T5_T6_T7_T9_mT8_P12ihipStream_tbDpT10_ENKUlT_T0_E_clISt17integral_constantIbLb1EES1A_IbLb0EEEEDaS16_S17_EUlS16_E_NS1_11comp_targetILNS1_3genE8ELNS1_11target_archE1030ELNS1_3gpuE2ELNS1_3repE0EEENS1_30default_config_static_selectorELNS0_4arch9wavefront6targetE0EEEvT1_,comdat
.Lfunc_end2260:
	.size	_ZN7rocprim17ROCPRIM_400000_NS6detail17trampoline_kernelINS0_14default_configENS1_25partition_config_selectorILNS1_17partition_subalgoE6ExNS0_10empty_typeEbEEZZNS1_14partition_implILS5_6ELb0ES3_mN6thrust23THRUST_200600_302600_NS6detail15normal_iteratorINSA_10device_ptrIxEEEEPS6_SG_NS0_5tupleIJNSA_16discard_iteratorINSA_11use_defaultEEES6_EEENSH_IJSG_SG_EEES6_PlJNSB_9not_fun_tI7is_trueIxEEEEEE10hipError_tPvRmT3_T4_T5_T6_T7_T9_mT8_P12ihipStream_tbDpT10_ENKUlT_T0_E_clISt17integral_constantIbLb1EES1A_IbLb0EEEEDaS16_S17_EUlS16_E_NS1_11comp_targetILNS1_3genE8ELNS1_11target_archE1030ELNS1_3gpuE2ELNS1_3repE0EEENS1_30default_config_static_selectorELNS0_4arch9wavefront6targetE0EEEvT1_, .Lfunc_end2260-_ZN7rocprim17ROCPRIM_400000_NS6detail17trampoline_kernelINS0_14default_configENS1_25partition_config_selectorILNS1_17partition_subalgoE6ExNS0_10empty_typeEbEEZZNS1_14partition_implILS5_6ELb0ES3_mN6thrust23THRUST_200600_302600_NS6detail15normal_iteratorINSA_10device_ptrIxEEEEPS6_SG_NS0_5tupleIJNSA_16discard_iteratorINSA_11use_defaultEEES6_EEENSH_IJSG_SG_EEES6_PlJNSB_9not_fun_tI7is_trueIxEEEEEE10hipError_tPvRmT3_T4_T5_T6_T7_T9_mT8_P12ihipStream_tbDpT10_ENKUlT_T0_E_clISt17integral_constantIbLb1EES1A_IbLb0EEEEDaS16_S17_EUlS16_E_NS1_11comp_targetILNS1_3genE8ELNS1_11target_archE1030ELNS1_3gpuE2ELNS1_3repE0EEENS1_30default_config_static_selectorELNS0_4arch9wavefront6targetE0EEEvT1_
                                        ; -- End function
	.set _ZN7rocprim17ROCPRIM_400000_NS6detail17trampoline_kernelINS0_14default_configENS1_25partition_config_selectorILNS1_17partition_subalgoE6ExNS0_10empty_typeEbEEZZNS1_14partition_implILS5_6ELb0ES3_mN6thrust23THRUST_200600_302600_NS6detail15normal_iteratorINSA_10device_ptrIxEEEEPS6_SG_NS0_5tupleIJNSA_16discard_iteratorINSA_11use_defaultEEES6_EEENSH_IJSG_SG_EEES6_PlJNSB_9not_fun_tI7is_trueIxEEEEEE10hipError_tPvRmT3_T4_T5_T6_T7_T9_mT8_P12ihipStream_tbDpT10_ENKUlT_T0_E_clISt17integral_constantIbLb1EES1A_IbLb0EEEEDaS16_S17_EUlS16_E_NS1_11comp_targetILNS1_3genE8ELNS1_11target_archE1030ELNS1_3gpuE2ELNS1_3repE0EEENS1_30default_config_static_selectorELNS0_4arch9wavefront6targetE0EEEvT1_.num_vgpr, 0
	.set _ZN7rocprim17ROCPRIM_400000_NS6detail17trampoline_kernelINS0_14default_configENS1_25partition_config_selectorILNS1_17partition_subalgoE6ExNS0_10empty_typeEbEEZZNS1_14partition_implILS5_6ELb0ES3_mN6thrust23THRUST_200600_302600_NS6detail15normal_iteratorINSA_10device_ptrIxEEEEPS6_SG_NS0_5tupleIJNSA_16discard_iteratorINSA_11use_defaultEEES6_EEENSH_IJSG_SG_EEES6_PlJNSB_9not_fun_tI7is_trueIxEEEEEE10hipError_tPvRmT3_T4_T5_T6_T7_T9_mT8_P12ihipStream_tbDpT10_ENKUlT_T0_E_clISt17integral_constantIbLb1EES1A_IbLb0EEEEDaS16_S17_EUlS16_E_NS1_11comp_targetILNS1_3genE8ELNS1_11target_archE1030ELNS1_3gpuE2ELNS1_3repE0EEENS1_30default_config_static_selectorELNS0_4arch9wavefront6targetE0EEEvT1_.num_agpr, 0
	.set _ZN7rocprim17ROCPRIM_400000_NS6detail17trampoline_kernelINS0_14default_configENS1_25partition_config_selectorILNS1_17partition_subalgoE6ExNS0_10empty_typeEbEEZZNS1_14partition_implILS5_6ELb0ES3_mN6thrust23THRUST_200600_302600_NS6detail15normal_iteratorINSA_10device_ptrIxEEEEPS6_SG_NS0_5tupleIJNSA_16discard_iteratorINSA_11use_defaultEEES6_EEENSH_IJSG_SG_EEES6_PlJNSB_9not_fun_tI7is_trueIxEEEEEE10hipError_tPvRmT3_T4_T5_T6_T7_T9_mT8_P12ihipStream_tbDpT10_ENKUlT_T0_E_clISt17integral_constantIbLb1EES1A_IbLb0EEEEDaS16_S17_EUlS16_E_NS1_11comp_targetILNS1_3genE8ELNS1_11target_archE1030ELNS1_3gpuE2ELNS1_3repE0EEENS1_30default_config_static_selectorELNS0_4arch9wavefront6targetE0EEEvT1_.numbered_sgpr, 0
	.set _ZN7rocprim17ROCPRIM_400000_NS6detail17trampoline_kernelINS0_14default_configENS1_25partition_config_selectorILNS1_17partition_subalgoE6ExNS0_10empty_typeEbEEZZNS1_14partition_implILS5_6ELb0ES3_mN6thrust23THRUST_200600_302600_NS6detail15normal_iteratorINSA_10device_ptrIxEEEEPS6_SG_NS0_5tupleIJNSA_16discard_iteratorINSA_11use_defaultEEES6_EEENSH_IJSG_SG_EEES6_PlJNSB_9not_fun_tI7is_trueIxEEEEEE10hipError_tPvRmT3_T4_T5_T6_T7_T9_mT8_P12ihipStream_tbDpT10_ENKUlT_T0_E_clISt17integral_constantIbLb1EES1A_IbLb0EEEEDaS16_S17_EUlS16_E_NS1_11comp_targetILNS1_3genE8ELNS1_11target_archE1030ELNS1_3gpuE2ELNS1_3repE0EEENS1_30default_config_static_selectorELNS0_4arch9wavefront6targetE0EEEvT1_.num_named_barrier, 0
	.set _ZN7rocprim17ROCPRIM_400000_NS6detail17trampoline_kernelINS0_14default_configENS1_25partition_config_selectorILNS1_17partition_subalgoE6ExNS0_10empty_typeEbEEZZNS1_14partition_implILS5_6ELb0ES3_mN6thrust23THRUST_200600_302600_NS6detail15normal_iteratorINSA_10device_ptrIxEEEEPS6_SG_NS0_5tupleIJNSA_16discard_iteratorINSA_11use_defaultEEES6_EEENSH_IJSG_SG_EEES6_PlJNSB_9not_fun_tI7is_trueIxEEEEEE10hipError_tPvRmT3_T4_T5_T6_T7_T9_mT8_P12ihipStream_tbDpT10_ENKUlT_T0_E_clISt17integral_constantIbLb1EES1A_IbLb0EEEEDaS16_S17_EUlS16_E_NS1_11comp_targetILNS1_3genE8ELNS1_11target_archE1030ELNS1_3gpuE2ELNS1_3repE0EEENS1_30default_config_static_selectorELNS0_4arch9wavefront6targetE0EEEvT1_.private_seg_size, 0
	.set _ZN7rocprim17ROCPRIM_400000_NS6detail17trampoline_kernelINS0_14default_configENS1_25partition_config_selectorILNS1_17partition_subalgoE6ExNS0_10empty_typeEbEEZZNS1_14partition_implILS5_6ELb0ES3_mN6thrust23THRUST_200600_302600_NS6detail15normal_iteratorINSA_10device_ptrIxEEEEPS6_SG_NS0_5tupleIJNSA_16discard_iteratorINSA_11use_defaultEEES6_EEENSH_IJSG_SG_EEES6_PlJNSB_9not_fun_tI7is_trueIxEEEEEE10hipError_tPvRmT3_T4_T5_T6_T7_T9_mT8_P12ihipStream_tbDpT10_ENKUlT_T0_E_clISt17integral_constantIbLb1EES1A_IbLb0EEEEDaS16_S17_EUlS16_E_NS1_11comp_targetILNS1_3genE8ELNS1_11target_archE1030ELNS1_3gpuE2ELNS1_3repE0EEENS1_30default_config_static_selectorELNS0_4arch9wavefront6targetE0EEEvT1_.uses_vcc, 0
	.set _ZN7rocprim17ROCPRIM_400000_NS6detail17trampoline_kernelINS0_14default_configENS1_25partition_config_selectorILNS1_17partition_subalgoE6ExNS0_10empty_typeEbEEZZNS1_14partition_implILS5_6ELb0ES3_mN6thrust23THRUST_200600_302600_NS6detail15normal_iteratorINSA_10device_ptrIxEEEEPS6_SG_NS0_5tupleIJNSA_16discard_iteratorINSA_11use_defaultEEES6_EEENSH_IJSG_SG_EEES6_PlJNSB_9not_fun_tI7is_trueIxEEEEEE10hipError_tPvRmT3_T4_T5_T6_T7_T9_mT8_P12ihipStream_tbDpT10_ENKUlT_T0_E_clISt17integral_constantIbLb1EES1A_IbLb0EEEEDaS16_S17_EUlS16_E_NS1_11comp_targetILNS1_3genE8ELNS1_11target_archE1030ELNS1_3gpuE2ELNS1_3repE0EEENS1_30default_config_static_selectorELNS0_4arch9wavefront6targetE0EEEvT1_.uses_flat_scratch, 0
	.set _ZN7rocprim17ROCPRIM_400000_NS6detail17trampoline_kernelINS0_14default_configENS1_25partition_config_selectorILNS1_17partition_subalgoE6ExNS0_10empty_typeEbEEZZNS1_14partition_implILS5_6ELb0ES3_mN6thrust23THRUST_200600_302600_NS6detail15normal_iteratorINSA_10device_ptrIxEEEEPS6_SG_NS0_5tupleIJNSA_16discard_iteratorINSA_11use_defaultEEES6_EEENSH_IJSG_SG_EEES6_PlJNSB_9not_fun_tI7is_trueIxEEEEEE10hipError_tPvRmT3_T4_T5_T6_T7_T9_mT8_P12ihipStream_tbDpT10_ENKUlT_T0_E_clISt17integral_constantIbLb1EES1A_IbLb0EEEEDaS16_S17_EUlS16_E_NS1_11comp_targetILNS1_3genE8ELNS1_11target_archE1030ELNS1_3gpuE2ELNS1_3repE0EEENS1_30default_config_static_selectorELNS0_4arch9wavefront6targetE0EEEvT1_.has_dyn_sized_stack, 0
	.set _ZN7rocprim17ROCPRIM_400000_NS6detail17trampoline_kernelINS0_14default_configENS1_25partition_config_selectorILNS1_17partition_subalgoE6ExNS0_10empty_typeEbEEZZNS1_14partition_implILS5_6ELb0ES3_mN6thrust23THRUST_200600_302600_NS6detail15normal_iteratorINSA_10device_ptrIxEEEEPS6_SG_NS0_5tupleIJNSA_16discard_iteratorINSA_11use_defaultEEES6_EEENSH_IJSG_SG_EEES6_PlJNSB_9not_fun_tI7is_trueIxEEEEEE10hipError_tPvRmT3_T4_T5_T6_T7_T9_mT8_P12ihipStream_tbDpT10_ENKUlT_T0_E_clISt17integral_constantIbLb1EES1A_IbLb0EEEEDaS16_S17_EUlS16_E_NS1_11comp_targetILNS1_3genE8ELNS1_11target_archE1030ELNS1_3gpuE2ELNS1_3repE0EEENS1_30default_config_static_selectorELNS0_4arch9wavefront6targetE0EEEvT1_.has_recursion, 0
	.set _ZN7rocprim17ROCPRIM_400000_NS6detail17trampoline_kernelINS0_14default_configENS1_25partition_config_selectorILNS1_17partition_subalgoE6ExNS0_10empty_typeEbEEZZNS1_14partition_implILS5_6ELb0ES3_mN6thrust23THRUST_200600_302600_NS6detail15normal_iteratorINSA_10device_ptrIxEEEEPS6_SG_NS0_5tupleIJNSA_16discard_iteratorINSA_11use_defaultEEES6_EEENSH_IJSG_SG_EEES6_PlJNSB_9not_fun_tI7is_trueIxEEEEEE10hipError_tPvRmT3_T4_T5_T6_T7_T9_mT8_P12ihipStream_tbDpT10_ENKUlT_T0_E_clISt17integral_constantIbLb1EES1A_IbLb0EEEEDaS16_S17_EUlS16_E_NS1_11comp_targetILNS1_3genE8ELNS1_11target_archE1030ELNS1_3gpuE2ELNS1_3repE0EEENS1_30default_config_static_selectorELNS0_4arch9wavefront6targetE0EEEvT1_.has_indirect_call, 0
	.section	.AMDGPU.csdata,"",@progbits
; Kernel info:
; codeLenInByte = 0
; TotalNumSgprs: 0
; NumVgprs: 0
; ScratchSize: 0
; MemoryBound: 0
; FloatMode: 240
; IeeeMode: 1
; LDSByteSize: 0 bytes/workgroup (compile time only)
; SGPRBlocks: 0
; VGPRBlocks: 0
; NumSGPRsForWavesPerEU: 1
; NumVGPRsForWavesPerEU: 1
; Occupancy: 16
; WaveLimiterHint : 0
; COMPUTE_PGM_RSRC2:SCRATCH_EN: 0
; COMPUTE_PGM_RSRC2:USER_SGPR: 2
; COMPUTE_PGM_RSRC2:TRAP_HANDLER: 0
; COMPUTE_PGM_RSRC2:TGID_X_EN: 1
; COMPUTE_PGM_RSRC2:TGID_Y_EN: 0
; COMPUTE_PGM_RSRC2:TGID_Z_EN: 0
; COMPUTE_PGM_RSRC2:TIDIG_COMP_CNT: 0
	.section	.text._ZN7rocprim17ROCPRIM_400000_NS6detail17trampoline_kernelINS0_14default_configENS1_25partition_config_selectorILNS1_17partition_subalgoE6ExNS0_10empty_typeEbEEZZNS1_14partition_implILS5_6ELb0ES3_mN6thrust23THRUST_200600_302600_NS6detail15normal_iteratorINSA_10device_ptrIxEEEEPS6_SG_NS0_5tupleIJNSA_16discard_iteratorINSA_11use_defaultEEES6_EEENSH_IJSG_SG_EEES6_PlJNSB_9not_fun_tI7is_trueIxEEEEEE10hipError_tPvRmT3_T4_T5_T6_T7_T9_mT8_P12ihipStream_tbDpT10_ENKUlT_T0_E_clISt17integral_constantIbLb0EES1A_IbLb1EEEEDaS16_S17_EUlS16_E_NS1_11comp_targetILNS1_3genE0ELNS1_11target_archE4294967295ELNS1_3gpuE0ELNS1_3repE0EEENS1_30default_config_static_selectorELNS0_4arch9wavefront6targetE0EEEvT1_,"axG",@progbits,_ZN7rocprim17ROCPRIM_400000_NS6detail17trampoline_kernelINS0_14default_configENS1_25partition_config_selectorILNS1_17partition_subalgoE6ExNS0_10empty_typeEbEEZZNS1_14partition_implILS5_6ELb0ES3_mN6thrust23THRUST_200600_302600_NS6detail15normal_iteratorINSA_10device_ptrIxEEEEPS6_SG_NS0_5tupleIJNSA_16discard_iteratorINSA_11use_defaultEEES6_EEENSH_IJSG_SG_EEES6_PlJNSB_9not_fun_tI7is_trueIxEEEEEE10hipError_tPvRmT3_T4_T5_T6_T7_T9_mT8_P12ihipStream_tbDpT10_ENKUlT_T0_E_clISt17integral_constantIbLb0EES1A_IbLb1EEEEDaS16_S17_EUlS16_E_NS1_11comp_targetILNS1_3genE0ELNS1_11target_archE4294967295ELNS1_3gpuE0ELNS1_3repE0EEENS1_30default_config_static_selectorELNS0_4arch9wavefront6targetE0EEEvT1_,comdat
	.protected	_ZN7rocprim17ROCPRIM_400000_NS6detail17trampoline_kernelINS0_14default_configENS1_25partition_config_selectorILNS1_17partition_subalgoE6ExNS0_10empty_typeEbEEZZNS1_14partition_implILS5_6ELb0ES3_mN6thrust23THRUST_200600_302600_NS6detail15normal_iteratorINSA_10device_ptrIxEEEEPS6_SG_NS0_5tupleIJNSA_16discard_iteratorINSA_11use_defaultEEES6_EEENSH_IJSG_SG_EEES6_PlJNSB_9not_fun_tI7is_trueIxEEEEEE10hipError_tPvRmT3_T4_T5_T6_T7_T9_mT8_P12ihipStream_tbDpT10_ENKUlT_T0_E_clISt17integral_constantIbLb0EES1A_IbLb1EEEEDaS16_S17_EUlS16_E_NS1_11comp_targetILNS1_3genE0ELNS1_11target_archE4294967295ELNS1_3gpuE0ELNS1_3repE0EEENS1_30default_config_static_selectorELNS0_4arch9wavefront6targetE0EEEvT1_ ; -- Begin function _ZN7rocprim17ROCPRIM_400000_NS6detail17trampoline_kernelINS0_14default_configENS1_25partition_config_selectorILNS1_17partition_subalgoE6ExNS0_10empty_typeEbEEZZNS1_14partition_implILS5_6ELb0ES3_mN6thrust23THRUST_200600_302600_NS6detail15normal_iteratorINSA_10device_ptrIxEEEEPS6_SG_NS0_5tupleIJNSA_16discard_iteratorINSA_11use_defaultEEES6_EEENSH_IJSG_SG_EEES6_PlJNSB_9not_fun_tI7is_trueIxEEEEEE10hipError_tPvRmT3_T4_T5_T6_T7_T9_mT8_P12ihipStream_tbDpT10_ENKUlT_T0_E_clISt17integral_constantIbLb0EES1A_IbLb1EEEEDaS16_S17_EUlS16_E_NS1_11comp_targetILNS1_3genE0ELNS1_11target_archE4294967295ELNS1_3gpuE0ELNS1_3repE0EEENS1_30default_config_static_selectorELNS0_4arch9wavefront6targetE0EEEvT1_
	.globl	_ZN7rocprim17ROCPRIM_400000_NS6detail17trampoline_kernelINS0_14default_configENS1_25partition_config_selectorILNS1_17partition_subalgoE6ExNS0_10empty_typeEbEEZZNS1_14partition_implILS5_6ELb0ES3_mN6thrust23THRUST_200600_302600_NS6detail15normal_iteratorINSA_10device_ptrIxEEEEPS6_SG_NS0_5tupleIJNSA_16discard_iteratorINSA_11use_defaultEEES6_EEENSH_IJSG_SG_EEES6_PlJNSB_9not_fun_tI7is_trueIxEEEEEE10hipError_tPvRmT3_T4_T5_T6_T7_T9_mT8_P12ihipStream_tbDpT10_ENKUlT_T0_E_clISt17integral_constantIbLb0EES1A_IbLb1EEEEDaS16_S17_EUlS16_E_NS1_11comp_targetILNS1_3genE0ELNS1_11target_archE4294967295ELNS1_3gpuE0ELNS1_3repE0EEENS1_30default_config_static_selectorELNS0_4arch9wavefront6targetE0EEEvT1_
	.p2align	8
	.type	_ZN7rocprim17ROCPRIM_400000_NS6detail17trampoline_kernelINS0_14default_configENS1_25partition_config_selectorILNS1_17partition_subalgoE6ExNS0_10empty_typeEbEEZZNS1_14partition_implILS5_6ELb0ES3_mN6thrust23THRUST_200600_302600_NS6detail15normal_iteratorINSA_10device_ptrIxEEEEPS6_SG_NS0_5tupleIJNSA_16discard_iteratorINSA_11use_defaultEEES6_EEENSH_IJSG_SG_EEES6_PlJNSB_9not_fun_tI7is_trueIxEEEEEE10hipError_tPvRmT3_T4_T5_T6_T7_T9_mT8_P12ihipStream_tbDpT10_ENKUlT_T0_E_clISt17integral_constantIbLb0EES1A_IbLb1EEEEDaS16_S17_EUlS16_E_NS1_11comp_targetILNS1_3genE0ELNS1_11target_archE4294967295ELNS1_3gpuE0ELNS1_3repE0EEENS1_30default_config_static_selectorELNS0_4arch9wavefront6targetE0EEEvT1_,@function
_ZN7rocprim17ROCPRIM_400000_NS6detail17trampoline_kernelINS0_14default_configENS1_25partition_config_selectorILNS1_17partition_subalgoE6ExNS0_10empty_typeEbEEZZNS1_14partition_implILS5_6ELb0ES3_mN6thrust23THRUST_200600_302600_NS6detail15normal_iteratorINSA_10device_ptrIxEEEEPS6_SG_NS0_5tupleIJNSA_16discard_iteratorINSA_11use_defaultEEES6_EEENSH_IJSG_SG_EEES6_PlJNSB_9not_fun_tI7is_trueIxEEEEEE10hipError_tPvRmT3_T4_T5_T6_T7_T9_mT8_P12ihipStream_tbDpT10_ENKUlT_T0_E_clISt17integral_constantIbLb0EES1A_IbLb1EEEEDaS16_S17_EUlS16_E_NS1_11comp_targetILNS1_3genE0ELNS1_11target_archE4294967295ELNS1_3gpuE0ELNS1_3repE0EEENS1_30default_config_static_selectorELNS0_4arch9wavefront6targetE0EEEvT1_: ; @_ZN7rocprim17ROCPRIM_400000_NS6detail17trampoline_kernelINS0_14default_configENS1_25partition_config_selectorILNS1_17partition_subalgoE6ExNS0_10empty_typeEbEEZZNS1_14partition_implILS5_6ELb0ES3_mN6thrust23THRUST_200600_302600_NS6detail15normal_iteratorINSA_10device_ptrIxEEEEPS6_SG_NS0_5tupleIJNSA_16discard_iteratorINSA_11use_defaultEEES6_EEENSH_IJSG_SG_EEES6_PlJNSB_9not_fun_tI7is_trueIxEEEEEE10hipError_tPvRmT3_T4_T5_T6_T7_T9_mT8_P12ihipStream_tbDpT10_ENKUlT_T0_E_clISt17integral_constantIbLb0EES1A_IbLb1EEEEDaS16_S17_EUlS16_E_NS1_11comp_targetILNS1_3genE0ELNS1_11target_archE4294967295ELNS1_3gpuE0ELNS1_3repE0EEENS1_30default_config_static_selectorELNS0_4arch9wavefront6targetE0EEEvT1_
; %bb.0:
	.section	.rodata,"a",@progbits
	.p2align	6, 0x0
	.amdhsa_kernel _ZN7rocprim17ROCPRIM_400000_NS6detail17trampoline_kernelINS0_14default_configENS1_25partition_config_selectorILNS1_17partition_subalgoE6ExNS0_10empty_typeEbEEZZNS1_14partition_implILS5_6ELb0ES3_mN6thrust23THRUST_200600_302600_NS6detail15normal_iteratorINSA_10device_ptrIxEEEEPS6_SG_NS0_5tupleIJNSA_16discard_iteratorINSA_11use_defaultEEES6_EEENSH_IJSG_SG_EEES6_PlJNSB_9not_fun_tI7is_trueIxEEEEEE10hipError_tPvRmT3_T4_T5_T6_T7_T9_mT8_P12ihipStream_tbDpT10_ENKUlT_T0_E_clISt17integral_constantIbLb0EES1A_IbLb1EEEEDaS16_S17_EUlS16_E_NS1_11comp_targetILNS1_3genE0ELNS1_11target_archE4294967295ELNS1_3gpuE0ELNS1_3repE0EEENS1_30default_config_static_selectorELNS0_4arch9wavefront6targetE0EEEvT1_
		.amdhsa_group_segment_fixed_size 0
		.amdhsa_private_segment_fixed_size 0
		.amdhsa_kernarg_size 136
		.amdhsa_user_sgpr_count 2
		.amdhsa_user_sgpr_dispatch_ptr 0
		.amdhsa_user_sgpr_queue_ptr 0
		.amdhsa_user_sgpr_kernarg_segment_ptr 1
		.amdhsa_user_sgpr_dispatch_id 0
		.amdhsa_user_sgpr_private_segment_size 0
		.amdhsa_wavefront_size32 1
		.amdhsa_uses_dynamic_stack 0
		.amdhsa_enable_private_segment 0
		.amdhsa_system_sgpr_workgroup_id_x 1
		.amdhsa_system_sgpr_workgroup_id_y 0
		.amdhsa_system_sgpr_workgroup_id_z 0
		.amdhsa_system_sgpr_workgroup_info 0
		.amdhsa_system_vgpr_workitem_id 0
		.amdhsa_next_free_vgpr 1
		.amdhsa_next_free_sgpr 1
		.amdhsa_reserve_vcc 0
		.amdhsa_float_round_mode_32 0
		.amdhsa_float_round_mode_16_64 0
		.amdhsa_float_denorm_mode_32 3
		.amdhsa_float_denorm_mode_16_64 3
		.amdhsa_fp16_overflow 0
		.amdhsa_workgroup_processor_mode 1
		.amdhsa_memory_ordered 1
		.amdhsa_forward_progress 1
		.amdhsa_inst_pref_size 0
		.amdhsa_round_robin_scheduling 0
		.amdhsa_exception_fp_ieee_invalid_op 0
		.amdhsa_exception_fp_denorm_src 0
		.amdhsa_exception_fp_ieee_div_zero 0
		.amdhsa_exception_fp_ieee_overflow 0
		.amdhsa_exception_fp_ieee_underflow 0
		.amdhsa_exception_fp_ieee_inexact 0
		.amdhsa_exception_int_div_zero 0
	.end_amdhsa_kernel
	.section	.text._ZN7rocprim17ROCPRIM_400000_NS6detail17trampoline_kernelINS0_14default_configENS1_25partition_config_selectorILNS1_17partition_subalgoE6ExNS0_10empty_typeEbEEZZNS1_14partition_implILS5_6ELb0ES3_mN6thrust23THRUST_200600_302600_NS6detail15normal_iteratorINSA_10device_ptrIxEEEEPS6_SG_NS0_5tupleIJNSA_16discard_iteratorINSA_11use_defaultEEES6_EEENSH_IJSG_SG_EEES6_PlJNSB_9not_fun_tI7is_trueIxEEEEEE10hipError_tPvRmT3_T4_T5_T6_T7_T9_mT8_P12ihipStream_tbDpT10_ENKUlT_T0_E_clISt17integral_constantIbLb0EES1A_IbLb1EEEEDaS16_S17_EUlS16_E_NS1_11comp_targetILNS1_3genE0ELNS1_11target_archE4294967295ELNS1_3gpuE0ELNS1_3repE0EEENS1_30default_config_static_selectorELNS0_4arch9wavefront6targetE0EEEvT1_,"axG",@progbits,_ZN7rocprim17ROCPRIM_400000_NS6detail17trampoline_kernelINS0_14default_configENS1_25partition_config_selectorILNS1_17partition_subalgoE6ExNS0_10empty_typeEbEEZZNS1_14partition_implILS5_6ELb0ES3_mN6thrust23THRUST_200600_302600_NS6detail15normal_iteratorINSA_10device_ptrIxEEEEPS6_SG_NS0_5tupleIJNSA_16discard_iteratorINSA_11use_defaultEEES6_EEENSH_IJSG_SG_EEES6_PlJNSB_9not_fun_tI7is_trueIxEEEEEE10hipError_tPvRmT3_T4_T5_T6_T7_T9_mT8_P12ihipStream_tbDpT10_ENKUlT_T0_E_clISt17integral_constantIbLb0EES1A_IbLb1EEEEDaS16_S17_EUlS16_E_NS1_11comp_targetILNS1_3genE0ELNS1_11target_archE4294967295ELNS1_3gpuE0ELNS1_3repE0EEENS1_30default_config_static_selectorELNS0_4arch9wavefront6targetE0EEEvT1_,comdat
.Lfunc_end2261:
	.size	_ZN7rocprim17ROCPRIM_400000_NS6detail17trampoline_kernelINS0_14default_configENS1_25partition_config_selectorILNS1_17partition_subalgoE6ExNS0_10empty_typeEbEEZZNS1_14partition_implILS5_6ELb0ES3_mN6thrust23THRUST_200600_302600_NS6detail15normal_iteratorINSA_10device_ptrIxEEEEPS6_SG_NS0_5tupleIJNSA_16discard_iteratorINSA_11use_defaultEEES6_EEENSH_IJSG_SG_EEES6_PlJNSB_9not_fun_tI7is_trueIxEEEEEE10hipError_tPvRmT3_T4_T5_T6_T7_T9_mT8_P12ihipStream_tbDpT10_ENKUlT_T0_E_clISt17integral_constantIbLb0EES1A_IbLb1EEEEDaS16_S17_EUlS16_E_NS1_11comp_targetILNS1_3genE0ELNS1_11target_archE4294967295ELNS1_3gpuE0ELNS1_3repE0EEENS1_30default_config_static_selectorELNS0_4arch9wavefront6targetE0EEEvT1_, .Lfunc_end2261-_ZN7rocprim17ROCPRIM_400000_NS6detail17trampoline_kernelINS0_14default_configENS1_25partition_config_selectorILNS1_17partition_subalgoE6ExNS0_10empty_typeEbEEZZNS1_14partition_implILS5_6ELb0ES3_mN6thrust23THRUST_200600_302600_NS6detail15normal_iteratorINSA_10device_ptrIxEEEEPS6_SG_NS0_5tupleIJNSA_16discard_iteratorINSA_11use_defaultEEES6_EEENSH_IJSG_SG_EEES6_PlJNSB_9not_fun_tI7is_trueIxEEEEEE10hipError_tPvRmT3_T4_T5_T6_T7_T9_mT8_P12ihipStream_tbDpT10_ENKUlT_T0_E_clISt17integral_constantIbLb0EES1A_IbLb1EEEEDaS16_S17_EUlS16_E_NS1_11comp_targetILNS1_3genE0ELNS1_11target_archE4294967295ELNS1_3gpuE0ELNS1_3repE0EEENS1_30default_config_static_selectorELNS0_4arch9wavefront6targetE0EEEvT1_
                                        ; -- End function
	.set _ZN7rocprim17ROCPRIM_400000_NS6detail17trampoline_kernelINS0_14default_configENS1_25partition_config_selectorILNS1_17partition_subalgoE6ExNS0_10empty_typeEbEEZZNS1_14partition_implILS5_6ELb0ES3_mN6thrust23THRUST_200600_302600_NS6detail15normal_iteratorINSA_10device_ptrIxEEEEPS6_SG_NS0_5tupleIJNSA_16discard_iteratorINSA_11use_defaultEEES6_EEENSH_IJSG_SG_EEES6_PlJNSB_9not_fun_tI7is_trueIxEEEEEE10hipError_tPvRmT3_T4_T5_T6_T7_T9_mT8_P12ihipStream_tbDpT10_ENKUlT_T0_E_clISt17integral_constantIbLb0EES1A_IbLb1EEEEDaS16_S17_EUlS16_E_NS1_11comp_targetILNS1_3genE0ELNS1_11target_archE4294967295ELNS1_3gpuE0ELNS1_3repE0EEENS1_30default_config_static_selectorELNS0_4arch9wavefront6targetE0EEEvT1_.num_vgpr, 0
	.set _ZN7rocprim17ROCPRIM_400000_NS6detail17trampoline_kernelINS0_14default_configENS1_25partition_config_selectorILNS1_17partition_subalgoE6ExNS0_10empty_typeEbEEZZNS1_14partition_implILS5_6ELb0ES3_mN6thrust23THRUST_200600_302600_NS6detail15normal_iteratorINSA_10device_ptrIxEEEEPS6_SG_NS0_5tupleIJNSA_16discard_iteratorINSA_11use_defaultEEES6_EEENSH_IJSG_SG_EEES6_PlJNSB_9not_fun_tI7is_trueIxEEEEEE10hipError_tPvRmT3_T4_T5_T6_T7_T9_mT8_P12ihipStream_tbDpT10_ENKUlT_T0_E_clISt17integral_constantIbLb0EES1A_IbLb1EEEEDaS16_S17_EUlS16_E_NS1_11comp_targetILNS1_3genE0ELNS1_11target_archE4294967295ELNS1_3gpuE0ELNS1_3repE0EEENS1_30default_config_static_selectorELNS0_4arch9wavefront6targetE0EEEvT1_.num_agpr, 0
	.set _ZN7rocprim17ROCPRIM_400000_NS6detail17trampoline_kernelINS0_14default_configENS1_25partition_config_selectorILNS1_17partition_subalgoE6ExNS0_10empty_typeEbEEZZNS1_14partition_implILS5_6ELb0ES3_mN6thrust23THRUST_200600_302600_NS6detail15normal_iteratorINSA_10device_ptrIxEEEEPS6_SG_NS0_5tupleIJNSA_16discard_iteratorINSA_11use_defaultEEES6_EEENSH_IJSG_SG_EEES6_PlJNSB_9not_fun_tI7is_trueIxEEEEEE10hipError_tPvRmT3_T4_T5_T6_T7_T9_mT8_P12ihipStream_tbDpT10_ENKUlT_T0_E_clISt17integral_constantIbLb0EES1A_IbLb1EEEEDaS16_S17_EUlS16_E_NS1_11comp_targetILNS1_3genE0ELNS1_11target_archE4294967295ELNS1_3gpuE0ELNS1_3repE0EEENS1_30default_config_static_selectorELNS0_4arch9wavefront6targetE0EEEvT1_.numbered_sgpr, 0
	.set _ZN7rocprim17ROCPRIM_400000_NS6detail17trampoline_kernelINS0_14default_configENS1_25partition_config_selectorILNS1_17partition_subalgoE6ExNS0_10empty_typeEbEEZZNS1_14partition_implILS5_6ELb0ES3_mN6thrust23THRUST_200600_302600_NS6detail15normal_iteratorINSA_10device_ptrIxEEEEPS6_SG_NS0_5tupleIJNSA_16discard_iteratorINSA_11use_defaultEEES6_EEENSH_IJSG_SG_EEES6_PlJNSB_9not_fun_tI7is_trueIxEEEEEE10hipError_tPvRmT3_T4_T5_T6_T7_T9_mT8_P12ihipStream_tbDpT10_ENKUlT_T0_E_clISt17integral_constantIbLb0EES1A_IbLb1EEEEDaS16_S17_EUlS16_E_NS1_11comp_targetILNS1_3genE0ELNS1_11target_archE4294967295ELNS1_3gpuE0ELNS1_3repE0EEENS1_30default_config_static_selectorELNS0_4arch9wavefront6targetE0EEEvT1_.num_named_barrier, 0
	.set _ZN7rocprim17ROCPRIM_400000_NS6detail17trampoline_kernelINS0_14default_configENS1_25partition_config_selectorILNS1_17partition_subalgoE6ExNS0_10empty_typeEbEEZZNS1_14partition_implILS5_6ELb0ES3_mN6thrust23THRUST_200600_302600_NS6detail15normal_iteratorINSA_10device_ptrIxEEEEPS6_SG_NS0_5tupleIJNSA_16discard_iteratorINSA_11use_defaultEEES6_EEENSH_IJSG_SG_EEES6_PlJNSB_9not_fun_tI7is_trueIxEEEEEE10hipError_tPvRmT3_T4_T5_T6_T7_T9_mT8_P12ihipStream_tbDpT10_ENKUlT_T0_E_clISt17integral_constantIbLb0EES1A_IbLb1EEEEDaS16_S17_EUlS16_E_NS1_11comp_targetILNS1_3genE0ELNS1_11target_archE4294967295ELNS1_3gpuE0ELNS1_3repE0EEENS1_30default_config_static_selectorELNS0_4arch9wavefront6targetE0EEEvT1_.private_seg_size, 0
	.set _ZN7rocprim17ROCPRIM_400000_NS6detail17trampoline_kernelINS0_14default_configENS1_25partition_config_selectorILNS1_17partition_subalgoE6ExNS0_10empty_typeEbEEZZNS1_14partition_implILS5_6ELb0ES3_mN6thrust23THRUST_200600_302600_NS6detail15normal_iteratorINSA_10device_ptrIxEEEEPS6_SG_NS0_5tupleIJNSA_16discard_iteratorINSA_11use_defaultEEES6_EEENSH_IJSG_SG_EEES6_PlJNSB_9not_fun_tI7is_trueIxEEEEEE10hipError_tPvRmT3_T4_T5_T6_T7_T9_mT8_P12ihipStream_tbDpT10_ENKUlT_T0_E_clISt17integral_constantIbLb0EES1A_IbLb1EEEEDaS16_S17_EUlS16_E_NS1_11comp_targetILNS1_3genE0ELNS1_11target_archE4294967295ELNS1_3gpuE0ELNS1_3repE0EEENS1_30default_config_static_selectorELNS0_4arch9wavefront6targetE0EEEvT1_.uses_vcc, 0
	.set _ZN7rocprim17ROCPRIM_400000_NS6detail17trampoline_kernelINS0_14default_configENS1_25partition_config_selectorILNS1_17partition_subalgoE6ExNS0_10empty_typeEbEEZZNS1_14partition_implILS5_6ELb0ES3_mN6thrust23THRUST_200600_302600_NS6detail15normal_iteratorINSA_10device_ptrIxEEEEPS6_SG_NS0_5tupleIJNSA_16discard_iteratorINSA_11use_defaultEEES6_EEENSH_IJSG_SG_EEES6_PlJNSB_9not_fun_tI7is_trueIxEEEEEE10hipError_tPvRmT3_T4_T5_T6_T7_T9_mT8_P12ihipStream_tbDpT10_ENKUlT_T0_E_clISt17integral_constantIbLb0EES1A_IbLb1EEEEDaS16_S17_EUlS16_E_NS1_11comp_targetILNS1_3genE0ELNS1_11target_archE4294967295ELNS1_3gpuE0ELNS1_3repE0EEENS1_30default_config_static_selectorELNS0_4arch9wavefront6targetE0EEEvT1_.uses_flat_scratch, 0
	.set _ZN7rocprim17ROCPRIM_400000_NS6detail17trampoline_kernelINS0_14default_configENS1_25partition_config_selectorILNS1_17partition_subalgoE6ExNS0_10empty_typeEbEEZZNS1_14partition_implILS5_6ELb0ES3_mN6thrust23THRUST_200600_302600_NS6detail15normal_iteratorINSA_10device_ptrIxEEEEPS6_SG_NS0_5tupleIJNSA_16discard_iteratorINSA_11use_defaultEEES6_EEENSH_IJSG_SG_EEES6_PlJNSB_9not_fun_tI7is_trueIxEEEEEE10hipError_tPvRmT3_T4_T5_T6_T7_T9_mT8_P12ihipStream_tbDpT10_ENKUlT_T0_E_clISt17integral_constantIbLb0EES1A_IbLb1EEEEDaS16_S17_EUlS16_E_NS1_11comp_targetILNS1_3genE0ELNS1_11target_archE4294967295ELNS1_3gpuE0ELNS1_3repE0EEENS1_30default_config_static_selectorELNS0_4arch9wavefront6targetE0EEEvT1_.has_dyn_sized_stack, 0
	.set _ZN7rocprim17ROCPRIM_400000_NS6detail17trampoline_kernelINS0_14default_configENS1_25partition_config_selectorILNS1_17partition_subalgoE6ExNS0_10empty_typeEbEEZZNS1_14partition_implILS5_6ELb0ES3_mN6thrust23THRUST_200600_302600_NS6detail15normal_iteratorINSA_10device_ptrIxEEEEPS6_SG_NS0_5tupleIJNSA_16discard_iteratorINSA_11use_defaultEEES6_EEENSH_IJSG_SG_EEES6_PlJNSB_9not_fun_tI7is_trueIxEEEEEE10hipError_tPvRmT3_T4_T5_T6_T7_T9_mT8_P12ihipStream_tbDpT10_ENKUlT_T0_E_clISt17integral_constantIbLb0EES1A_IbLb1EEEEDaS16_S17_EUlS16_E_NS1_11comp_targetILNS1_3genE0ELNS1_11target_archE4294967295ELNS1_3gpuE0ELNS1_3repE0EEENS1_30default_config_static_selectorELNS0_4arch9wavefront6targetE0EEEvT1_.has_recursion, 0
	.set _ZN7rocprim17ROCPRIM_400000_NS6detail17trampoline_kernelINS0_14default_configENS1_25partition_config_selectorILNS1_17partition_subalgoE6ExNS0_10empty_typeEbEEZZNS1_14partition_implILS5_6ELb0ES3_mN6thrust23THRUST_200600_302600_NS6detail15normal_iteratorINSA_10device_ptrIxEEEEPS6_SG_NS0_5tupleIJNSA_16discard_iteratorINSA_11use_defaultEEES6_EEENSH_IJSG_SG_EEES6_PlJNSB_9not_fun_tI7is_trueIxEEEEEE10hipError_tPvRmT3_T4_T5_T6_T7_T9_mT8_P12ihipStream_tbDpT10_ENKUlT_T0_E_clISt17integral_constantIbLb0EES1A_IbLb1EEEEDaS16_S17_EUlS16_E_NS1_11comp_targetILNS1_3genE0ELNS1_11target_archE4294967295ELNS1_3gpuE0ELNS1_3repE0EEENS1_30default_config_static_selectorELNS0_4arch9wavefront6targetE0EEEvT1_.has_indirect_call, 0
	.section	.AMDGPU.csdata,"",@progbits
; Kernel info:
; codeLenInByte = 0
; TotalNumSgprs: 0
; NumVgprs: 0
; ScratchSize: 0
; MemoryBound: 0
; FloatMode: 240
; IeeeMode: 1
; LDSByteSize: 0 bytes/workgroup (compile time only)
; SGPRBlocks: 0
; VGPRBlocks: 0
; NumSGPRsForWavesPerEU: 1
; NumVGPRsForWavesPerEU: 1
; Occupancy: 16
; WaveLimiterHint : 0
; COMPUTE_PGM_RSRC2:SCRATCH_EN: 0
; COMPUTE_PGM_RSRC2:USER_SGPR: 2
; COMPUTE_PGM_RSRC2:TRAP_HANDLER: 0
; COMPUTE_PGM_RSRC2:TGID_X_EN: 1
; COMPUTE_PGM_RSRC2:TGID_Y_EN: 0
; COMPUTE_PGM_RSRC2:TGID_Z_EN: 0
; COMPUTE_PGM_RSRC2:TIDIG_COMP_CNT: 0
	.section	.text._ZN7rocprim17ROCPRIM_400000_NS6detail17trampoline_kernelINS0_14default_configENS1_25partition_config_selectorILNS1_17partition_subalgoE6ExNS0_10empty_typeEbEEZZNS1_14partition_implILS5_6ELb0ES3_mN6thrust23THRUST_200600_302600_NS6detail15normal_iteratorINSA_10device_ptrIxEEEEPS6_SG_NS0_5tupleIJNSA_16discard_iteratorINSA_11use_defaultEEES6_EEENSH_IJSG_SG_EEES6_PlJNSB_9not_fun_tI7is_trueIxEEEEEE10hipError_tPvRmT3_T4_T5_T6_T7_T9_mT8_P12ihipStream_tbDpT10_ENKUlT_T0_E_clISt17integral_constantIbLb0EES1A_IbLb1EEEEDaS16_S17_EUlS16_E_NS1_11comp_targetILNS1_3genE5ELNS1_11target_archE942ELNS1_3gpuE9ELNS1_3repE0EEENS1_30default_config_static_selectorELNS0_4arch9wavefront6targetE0EEEvT1_,"axG",@progbits,_ZN7rocprim17ROCPRIM_400000_NS6detail17trampoline_kernelINS0_14default_configENS1_25partition_config_selectorILNS1_17partition_subalgoE6ExNS0_10empty_typeEbEEZZNS1_14partition_implILS5_6ELb0ES3_mN6thrust23THRUST_200600_302600_NS6detail15normal_iteratorINSA_10device_ptrIxEEEEPS6_SG_NS0_5tupleIJNSA_16discard_iteratorINSA_11use_defaultEEES6_EEENSH_IJSG_SG_EEES6_PlJNSB_9not_fun_tI7is_trueIxEEEEEE10hipError_tPvRmT3_T4_T5_T6_T7_T9_mT8_P12ihipStream_tbDpT10_ENKUlT_T0_E_clISt17integral_constantIbLb0EES1A_IbLb1EEEEDaS16_S17_EUlS16_E_NS1_11comp_targetILNS1_3genE5ELNS1_11target_archE942ELNS1_3gpuE9ELNS1_3repE0EEENS1_30default_config_static_selectorELNS0_4arch9wavefront6targetE0EEEvT1_,comdat
	.protected	_ZN7rocprim17ROCPRIM_400000_NS6detail17trampoline_kernelINS0_14default_configENS1_25partition_config_selectorILNS1_17partition_subalgoE6ExNS0_10empty_typeEbEEZZNS1_14partition_implILS5_6ELb0ES3_mN6thrust23THRUST_200600_302600_NS6detail15normal_iteratorINSA_10device_ptrIxEEEEPS6_SG_NS0_5tupleIJNSA_16discard_iteratorINSA_11use_defaultEEES6_EEENSH_IJSG_SG_EEES6_PlJNSB_9not_fun_tI7is_trueIxEEEEEE10hipError_tPvRmT3_T4_T5_T6_T7_T9_mT8_P12ihipStream_tbDpT10_ENKUlT_T0_E_clISt17integral_constantIbLb0EES1A_IbLb1EEEEDaS16_S17_EUlS16_E_NS1_11comp_targetILNS1_3genE5ELNS1_11target_archE942ELNS1_3gpuE9ELNS1_3repE0EEENS1_30default_config_static_selectorELNS0_4arch9wavefront6targetE0EEEvT1_ ; -- Begin function _ZN7rocprim17ROCPRIM_400000_NS6detail17trampoline_kernelINS0_14default_configENS1_25partition_config_selectorILNS1_17partition_subalgoE6ExNS0_10empty_typeEbEEZZNS1_14partition_implILS5_6ELb0ES3_mN6thrust23THRUST_200600_302600_NS6detail15normal_iteratorINSA_10device_ptrIxEEEEPS6_SG_NS0_5tupleIJNSA_16discard_iteratorINSA_11use_defaultEEES6_EEENSH_IJSG_SG_EEES6_PlJNSB_9not_fun_tI7is_trueIxEEEEEE10hipError_tPvRmT3_T4_T5_T6_T7_T9_mT8_P12ihipStream_tbDpT10_ENKUlT_T0_E_clISt17integral_constantIbLb0EES1A_IbLb1EEEEDaS16_S17_EUlS16_E_NS1_11comp_targetILNS1_3genE5ELNS1_11target_archE942ELNS1_3gpuE9ELNS1_3repE0EEENS1_30default_config_static_selectorELNS0_4arch9wavefront6targetE0EEEvT1_
	.globl	_ZN7rocprim17ROCPRIM_400000_NS6detail17trampoline_kernelINS0_14default_configENS1_25partition_config_selectorILNS1_17partition_subalgoE6ExNS0_10empty_typeEbEEZZNS1_14partition_implILS5_6ELb0ES3_mN6thrust23THRUST_200600_302600_NS6detail15normal_iteratorINSA_10device_ptrIxEEEEPS6_SG_NS0_5tupleIJNSA_16discard_iteratorINSA_11use_defaultEEES6_EEENSH_IJSG_SG_EEES6_PlJNSB_9not_fun_tI7is_trueIxEEEEEE10hipError_tPvRmT3_T4_T5_T6_T7_T9_mT8_P12ihipStream_tbDpT10_ENKUlT_T0_E_clISt17integral_constantIbLb0EES1A_IbLb1EEEEDaS16_S17_EUlS16_E_NS1_11comp_targetILNS1_3genE5ELNS1_11target_archE942ELNS1_3gpuE9ELNS1_3repE0EEENS1_30default_config_static_selectorELNS0_4arch9wavefront6targetE0EEEvT1_
	.p2align	8
	.type	_ZN7rocprim17ROCPRIM_400000_NS6detail17trampoline_kernelINS0_14default_configENS1_25partition_config_selectorILNS1_17partition_subalgoE6ExNS0_10empty_typeEbEEZZNS1_14partition_implILS5_6ELb0ES3_mN6thrust23THRUST_200600_302600_NS6detail15normal_iteratorINSA_10device_ptrIxEEEEPS6_SG_NS0_5tupleIJNSA_16discard_iteratorINSA_11use_defaultEEES6_EEENSH_IJSG_SG_EEES6_PlJNSB_9not_fun_tI7is_trueIxEEEEEE10hipError_tPvRmT3_T4_T5_T6_T7_T9_mT8_P12ihipStream_tbDpT10_ENKUlT_T0_E_clISt17integral_constantIbLb0EES1A_IbLb1EEEEDaS16_S17_EUlS16_E_NS1_11comp_targetILNS1_3genE5ELNS1_11target_archE942ELNS1_3gpuE9ELNS1_3repE0EEENS1_30default_config_static_selectorELNS0_4arch9wavefront6targetE0EEEvT1_,@function
_ZN7rocprim17ROCPRIM_400000_NS6detail17trampoline_kernelINS0_14default_configENS1_25partition_config_selectorILNS1_17partition_subalgoE6ExNS0_10empty_typeEbEEZZNS1_14partition_implILS5_6ELb0ES3_mN6thrust23THRUST_200600_302600_NS6detail15normal_iteratorINSA_10device_ptrIxEEEEPS6_SG_NS0_5tupleIJNSA_16discard_iteratorINSA_11use_defaultEEES6_EEENSH_IJSG_SG_EEES6_PlJNSB_9not_fun_tI7is_trueIxEEEEEE10hipError_tPvRmT3_T4_T5_T6_T7_T9_mT8_P12ihipStream_tbDpT10_ENKUlT_T0_E_clISt17integral_constantIbLb0EES1A_IbLb1EEEEDaS16_S17_EUlS16_E_NS1_11comp_targetILNS1_3genE5ELNS1_11target_archE942ELNS1_3gpuE9ELNS1_3repE0EEENS1_30default_config_static_selectorELNS0_4arch9wavefront6targetE0EEEvT1_: ; @_ZN7rocprim17ROCPRIM_400000_NS6detail17trampoline_kernelINS0_14default_configENS1_25partition_config_selectorILNS1_17partition_subalgoE6ExNS0_10empty_typeEbEEZZNS1_14partition_implILS5_6ELb0ES3_mN6thrust23THRUST_200600_302600_NS6detail15normal_iteratorINSA_10device_ptrIxEEEEPS6_SG_NS0_5tupleIJNSA_16discard_iteratorINSA_11use_defaultEEES6_EEENSH_IJSG_SG_EEES6_PlJNSB_9not_fun_tI7is_trueIxEEEEEE10hipError_tPvRmT3_T4_T5_T6_T7_T9_mT8_P12ihipStream_tbDpT10_ENKUlT_T0_E_clISt17integral_constantIbLb0EES1A_IbLb1EEEEDaS16_S17_EUlS16_E_NS1_11comp_targetILNS1_3genE5ELNS1_11target_archE942ELNS1_3gpuE9ELNS1_3repE0EEENS1_30default_config_static_selectorELNS0_4arch9wavefront6targetE0EEEvT1_
; %bb.0:
	.section	.rodata,"a",@progbits
	.p2align	6, 0x0
	.amdhsa_kernel _ZN7rocprim17ROCPRIM_400000_NS6detail17trampoline_kernelINS0_14default_configENS1_25partition_config_selectorILNS1_17partition_subalgoE6ExNS0_10empty_typeEbEEZZNS1_14partition_implILS5_6ELb0ES3_mN6thrust23THRUST_200600_302600_NS6detail15normal_iteratorINSA_10device_ptrIxEEEEPS6_SG_NS0_5tupleIJNSA_16discard_iteratorINSA_11use_defaultEEES6_EEENSH_IJSG_SG_EEES6_PlJNSB_9not_fun_tI7is_trueIxEEEEEE10hipError_tPvRmT3_T4_T5_T6_T7_T9_mT8_P12ihipStream_tbDpT10_ENKUlT_T0_E_clISt17integral_constantIbLb0EES1A_IbLb1EEEEDaS16_S17_EUlS16_E_NS1_11comp_targetILNS1_3genE5ELNS1_11target_archE942ELNS1_3gpuE9ELNS1_3repE0EEENS1_30default_config_static_selectorELNS0_4arch9wavefront6targetE0EEEvT1_
		.amdhsa_group_segment_fixed_size 0
		.amdhsa_private_segment_fixed_size 0
		.amdhsa_kernarg_size 136
		.amdhsa_user_sgpr_count 2
		.amdhsa_user_sgpr_dispatch_ptr 0
		.amdhsa_user_sgpr_queue_ptr 0
		.amdhsa_user_sgpr_kernarg_segment_ptr 1
		.amdhsa_user_sgpr_dispatch_id 0
		.amdhsa_user_sgpr_private_segment_size 0
		.amdhsa_wavefront_size32 1
		.amdhsa_uses_dynamic_stack 0
		.amdhsa_enable_private_segment 0
		.amdhsa_system_sgpr_workgroup_id_x 1
		.amdhsa_system_sgpr_workgroup_id_y 0
		.amdhsa_system_sgpr_workgroup_id_z 0
		.amdhsa_system_sgpr_workgroup_info 0
		.amdhsa_system_vgpr_workitem_id 0
		.amdhsa_next_free_vgpr 1
		.amdhsa_next_free_sgpr 1
		.amdhsa_reserve_vcc 0
		.amdhsa_float_round_mode_32 0
		.amdhsa_float_round_mode_16_64 0
		.amdhsa_float_denorm_mode_32 3
		.amdhsa_float_denorm_mode_16_64 3
		.amdhsa_fp16_overflow 0
		.amdhsa_workgroup_processor_mode 1
		.amdhsa_memory_ordered 1
		.amdhsa_forward_progress 1
		.amdhsa_inst_pref_size 0
		.amdhsa_round_robin_scheduling 0
		.amdhsa_exception_fp_ieee_invalid_op 0
		.amdhsa_exception_fp_denorm_src 0
		.amdhsa_exception_fp_ieee_div_zero 0
		.amdhsa_exception_fp_ieee_overflow 0
		.amdhsa_exception_fp_ieee_underflow 0
		.amdhsa_exception_fp_ieee_inexact 0
		.amdhsa_exception_int_div_zero 0
	.end_amdhsa_kernel
	.section	.text._ZN7rocprim17ROCPRIM_400000_NS6detail17trampoline_kernelINS0_14default_configENS1_25partition_config_selectorILNS1_17partition_subalgoE6ExNS0_10empty_typeEbEEZZNS1_14partition_implILS5_6ELb0ES3_mN6thrust23THRUST_200600_302600_NS6detail15normal_iteratorINSA_10device_ptrIxEEEEPS6_SG_NS0_5tupleIJNSA_16discard_iteratorINSA_11use_defaultEEES6_EEENSH_IJSG_SG_EEES6_PlJNSB_9not_fun_tI7is_trueIxEEEEEE10hipError_tPvRmT3_T4_T5_T6_T7_T9_mT8_P12ihipStream_tbDpT10_ENKUlT_T0_E_clISt17integral_constantIbLb0EES1A_IbLb1EEEEDaS16_S17_EUlS16_E_NS1_11comp_targetILNS1_3genE5ELNS1_11target_archE942ELNS1_3gpuE9ELNS1_3repE0EEENS1_30default_config_static_selectorELNS0_4arch9wavefront6targetE0EEEvT1_,"axG",@progbits,_ZN7rocprim17ROCPRIM_400000_NS6detail17trampoline_kernelINS0_14default_configENS1_25partition_config_selectorILNS1_17partition_subalgoE6ExNS0_10empty_typeEbEEZZNS1_14partition_implILS5_6ELb0ES3_mN6thrust23THRUST_200600_302600_NS6detail15normal_iteratorINSA_10device_ptrIxEEEEPS6_SG_NS0_5tupleIJNSA_16discard_iteratorINSA_11use_defaultEEES6_EEENSH_IJSG_SG_EEES6_PlJNSB_9not_fun_tI7is_trueIxEEEEEE10hipError_tPvRmT3_T4_T5_T6_T7_T9_mT8_P12ihipStream_tbDpT10_ENKUlT_T0_E_clISt17integral_constantIbLb0EES1A_IbLb1EEEEDaS16_S17_EUlS16_E_NS1_11comp_targetILNS1_3genE5ELNS1_11target_archE942ELNS1_3gpuE9ELNS1_3repE0EEENS1_30default_config_static_selectorELNS0_4arch9wavefront6targetE0EEEvT1_,comdat
.Lfunc_end2262:
	.size	_ZN7rocprim17ROCPRIM_400000_NS6detail17trampoline_kernelINS0_14default_configENS1_25partition_config_selectorILNS1_17partition_subalgoE6ExNS0_10empty_typeEbEEZZNS1_14partition_implILS5_6ELb0ES3_mN6thrust23THRUST_200600_302600_NS6detail15normal_iteratorINSA_10device_ptrIxEEEEPS6_SG_NS0_5tupleIJNSA_16discard_iteratorINSA_11use_defaultEEES6_EEENSH_IJSG_SG_EEES6_PlJNSB_9not_fun_tI7is_trueIxEEEEEE10hipError_tPvRmT3_T4_T5_T6_T7_T9_mT8_P12ihipStream_tbDpT10_ENKUlT_T0_E_clISt17integral_constantIbLb0EES1A_IbLb1EEEEDaS16_S17_EUlS16_E_NS1_11comp_targetILNS1_3genE5ELNS1_11target_archE942ELNS1_3gpuE9ELNS1_3repE0EEENS1_30default_config_static_selectorELNS0_4arch9wavefront6targetE0EEEvT1_, .Lfunc_end2262-_ZN7rocprim17ROCPRIM_400000_NS6detail17trampoline_kernelINS0_14default_configENS1_25partition_config_selectorILNS1_17partition_subalgoE6ExNS0_10empty_typeEbEEZZNS1_14partition_implILS5_6ELb0ES3_mN6thrust23THRUST_200600_302600_NS6detail15normal_iteratorINSA_10device_ptrIxEEEEPS6_SG_NS0_5tupleIJNSA_16discard_iteratorINSA_11use_defaultEEES6_EEENSH_IJSG_SG_EEES6_PlJNSB_9not_fun_tI7is_trueIxEEEEEE10hipError_tPvRmT3_T4_T5_T6_T7_T9_mT8_P12ihipStream_tbDpT10_ENKUlT_T0_E_clISt17integral_constantIbLb0EES1A_IbLb1EEEEDaS16_S17_EUlS16_E_NS1_11comp_targetILNS1_3genE5ELNS1_11target_archE942ELNS1_3gpuE9ELNS1_3repE0EEENS1_30default_config_static_selectorELNS0_4arch9wavefront6targetE0EEEvT1_
                                        ; -- End function
	.set _ZN7rocprim17ROCPRIM_400000_NS6detail17trampoline_kernelINS0_14default_configENS1_25partition_config_selectorILNS1_17partition_subalgoE6ExNS0_10empty_typeEbEEZZNS1_14partition_implILS5_6ELb0ES3_mN6thrust23THRUST_200600_302600_NS6detail15normal_iteratorINSA_10device_ptrIxEEEEPS6_SG_NS0_5tupleIJNSA_16discard_iteratorINSA_11use_defaultEEES6_EEENSH_IJSG_SG_EEES6_PlJNSB_9not_fun_tI7is_trueIxEEEEEE10hipError_tPvRmT3_T4_T5_T6_T7_T9_mT8_P12ihipStream_tbDpT10_ENKUlT_T0_E_clISt17integral_constantIbLb0EES1A_IbLb1EEEEDaS16_S17_EUlS16_E_NS1_11comp_targetILNS1_3genE5ELNS1_11target_archE942ELNS1_3gpuE9ELNS1_3repE0EEENS1_30default_config_static_selectorELNS0_4arch9wavefront6targetE0EEEvT1_.num_vgpr, 0
	.set _ZN7rocprim17ROCPRIM_400000_NS6detail17trampoline_kernelINS0_14default_configENS1_25partition_config_selectorILNS1_17partition_subalgoE6ExNS0_10empty_typeEbEEZZNS1_14partition_implILS5_6ELb0ES3_mN6thrust23THRUST_200600_302600_NS6detail15normal_iteratorINSA_10device_ptrIxEEEEPS6_SG_NS0_5tupleIJNSA_16discard_iteratorINSA_11use_defaultEEES6_EEENSH_IJSG_SG_EEES6_PlJNSB_9not_fun_tI7is_trueIxEEEEEE10hipError_tPvRmT3_T4_T5_T6_T7_T9_mT8_P12ihipStream_tbDpT10_ENKUlT_T0_E_clISt17integral_constantIbLb0EES1A_IbLb1EEEEDaS16_S17_EUlS16_E_NS1_11comp_targetILNS1_3genE5ELNS1_11target_archE942ELNS1_3gpuE9ELNS1_3repE0EEENS1_30default_config_static_selectorELNS0_4arch9wavefront6targetE0EEEvT1_.num_agpr, 0
	.set _ZN7rocprim17ROCPRIM_400000_NS6detail17trampoline_kernelINS0_14default_configENS1_25partition_config_selectorILNS1_17partition_subalgoE6ExNS0_10empty_typeEbEEZZNS1_14partition_implILS5_6ELb0ES3_mN6thrust23THRUST_200600_302600_NS6detail15normal_iteratorINSA_10device_ptrIxEEEEPS6_SG_NS0_5tupleIJNSA_16discard_iteratorINSA_11use_defaultEEES6_EEENSH_IJSG_SG_EEES6_PlJNSB_9not_fun_tI7is_trueIxEEEEEE10hipError_tPvRmT3_T4_T5_T6_T7_T9_mT8_P12ihipStream_tbDpT10_ENKUlT_T0_E_clISt17integral_constantIbLb0EES1A_IbLb1EEEEDaS16_S17_EUlS16_E_NS1_11comp_targetILNS1_3genE5ELNS1_11target_archE942ELNS1_3gpuE9ELNS1_3repE0EEENS1_30default_config_static_selectorELNS0_4arch9wavefront6targetE0EEEvT1_.numbered_sgpr, 0
	.set _ZN7rocprim17ROCPRIM_400000_NS6detail17trampoline_kernelINS0_14default_configENS1_25partition_config_selectorILNS1_17partition_subalgoE6ExNS0_10empty_typeEbEEZZNS1_14partition_implILS5_6ELb0ES3_mN6thrust23THRUST_200600_302600_NS6detail15normal_iteratorINSA_10device_ptrIxEEEEPS6_SG_NS0_5tupleIJNSA_16discard_iteratorINSA_11use_defaultEEES6_EEENSH_IJSG_SG_EEES6_PlJNSB_9not_fun_tI7is_trueIxEEEEEE10hipError_tPvRmT3_T4_T5_T6_T7_T9_mT8_P12ihipStream_tbDpT10_ENKUlT_T0_E_clISt17integral_constantIbLb0EES1A_IbLb1EEEEDaS16_S17_EUlS16_E_NS1_11comp_targetILNS1_3genE5ELNS1_11target_archE942ELNS1_3gpuE9ELNS1_3repE0EEENS1_30default_config_static_selectorELNS0_4arch9wavefront6targetE0EEEvT1_.num_named_barrier, 0
	.set _ZN7rocprim17ROCPRIM_400000_NS6detail17trampoline_kernelINS0_14default_configENS1_25partition_config_selectorILNS1_17partition_subalgoE6ExNS0_10empty_typeEbEEZZNS1_14partition_implILS5_6ELb0ES3_mN6thrust23THRUST_200600_302600_NS6detail15normal_iteratorINSA_10device_ptrIxEEEEPS6_SG_NS0_5tupleIJNSA_16discard_iteratorINSA_11use_defaultEEES6_EEENSH_IJSG_SG_EEES6_PlJNSB_9not_fun_tI7is_trueIxEEEEEE10hipError_tPvRmT3_T4_T5_T6_T7_T9_mT8_P12ihipStream_tbDpT10_ENKUlT_T0_E_clISt17integral_constantIbLb0EES1A_IbLb1EEEEDaS16_S17_EUlS16_E_NS1_11comp_targetILNS1_3genE5ELNS1_11target_archE942ELNS1_3gpuE9ELNS1_3repE0EEENS1_30default_config_static_selectorELNS0_4arch9wavefront6targetE0EEEvT1_.private_seg_size, 0
	.set _ZN7rocprim17ROCPRIM_400000_NS6detail17trampoline_kernelINS0_14default_configENS1_25partition_config_selectorILNS1_17partition_subalgoE6ExNS0_10empty_typeEbEEZZNS1_14partition_implILS5_6ELb0ES3_mN6thrust23THRUST_200600_302600_NS6detail15normal_iteratorINSA_10device_ptrIxEEEEPS6_SG_NS0_5tupleIJNSA_16discard_iteratorINSA_11use_defaultEEES6_EEENSH_IJSG_SG_EEES6_PlJNSB_9not_fun_tI7is_trueIxEEEEEE10hipError_tPvRmT3_T4_T5_T6_T7_T9_mT8_P12ihipStream_tbDpT10_ENKUlT_T0_E_clISt17integral_constantIbLb0EES1A_IbLb1EEEEDaS16_S17_EUlS16_E_NS1_11comp_targetILNS1_3genE5ELNS1_11target_archE942ELNS1_3gpuE9ELNS1_3repE0EEENS1_30default_config_static_selectorELNS0_4arch9wavefront6targetE0EEEvT1_.uses_vcc, 0
	.set _ZN7rocprim17ROCPRIM_400000_NS6detail17trampoline_kernelINS0_14default_configENS1_25partition_config_selectorILNS1_17partition_subalgoE6ExNS0_10empty_typeEbEEZZNS1_14partition_implILS5_6ELb0ES3_mN6thrust23THRUST_200600_302600_NS6detail15normal_iteratorINSA_10device_ptrIxEEEEPS6_SG_NS0_5tupleIJNSA_16discard_iteratorINSA_11use_defaultEEES6_EEENSH_IJSG_SG_EEES6_PlJNSB_9not_fun_tI7is_trueIxEEEEEE10hipError_tPvRmT3_T4_T5_T6_T7_T9_mT8_P12ihipStream_tbDpT10_ENKUlT_T0_E_clISt17integral_constantIbLb0EES1A_IbLb1EEEEDaS16_S17_EUlS16_E_NS1_11comp_targetILNS1_3genE5ELNS1_11target_archE942ELNS1_3gpuE9ELNS1_3repE0EEENS1_30default_config_static_selectorELNS0_4arch9wavefront6targetE0EEEvT1_.uses_flat_scratch, 0
	.set _ZN7rocprim17ROCPRIM_400000_NS6detail17trampoline_kernelINS0_14default_configENS1_25partition_config_selectorILNS1_17partition_subalgoE6ExNS0_10empty_typeEbEEZZNS1_14partition_implILS5_6ELb0ES3_mN6thrust23THRUST_200600_302600_NS6detail15normal_iteratorINSA_10device_ptrIxEEEEPS6_SG_NS0_5tupleIJNSA_16discard_iteratorINSA_11use_defaultEEES6_EEENSH_IJSG_SG_EEES6_PlJNSB_9not_fun_tI7is_trueIxEEEEEE10hipError_tPvRmT3_T4_T5_T6_T7_T9_mT8_P12ihipStream_tbDpT10_ENKUlT_T0_E_clISt17integral_constantIbLb0EES1A_IbLb1EEEEDaS16_S17_EUlS16_E_NS1_11comp_targetILNS1_3genE5ELNS1_11target_archE942ELNS1_3gpuE9ELNS1_3repE0EEENS1_30default_config_static_selectorELNS0_4arch9wavefront6targetE0EEEvT1_.has_dyn_sized_stack, 0
	.set _ZN7rocprim17ROCPRIM_400000_NS6detail17trampoline_kernelINS0_14default_configENS1_25partition_config_selectorILNS1_17partition_subalgoE6ExNS0_10empty_typeEbEEZZNS1_14partition_implILS5_6ELb0ES3_mN6thrust23THRUST_200600_302600_NS6detail15normal_iteratorINSA_10device_ptrIxEEEEPS6_SG_NS0_5tupleIJNSA_16discard_iteratorINSA_11use_defaultEEES6_EEENSH_IJSG_SG_EEES6_PlJNSB_9not_fun_tI7is_trueIxEEEEEE10hipError_tPvRmT3_T4_T5_T6_T7_T9_mT8_P12ihipStream_tbDpT10_ENKUlT_T0_E_clISt17integral_constantIbLb0EES1A_IbLb1EEEEDaS16_S17_EUlS16_E_NS1_11comp_targetILNS1_3genE5ELNS1_11target_archE942ELNS1_3gpuE9ELNS1_3repE0EEENS1_30default_config_static_selectorELNS0_4arch9wavefront6targetE0EEEvT1_.has_recursion, 0
	.set _ZN7rocprim17ROCPRIM_400000_NS6detail17trampoline_kernelINS0_14default_configENS1_25partition_config_selectorILNS1_17partition_subalgoE6ExNS0_10empty_typeEbEEZZNS1_14partition_implILS5_6ELb0ES3_mN6thrust23THRUST_200600_302600_NS6detail15normal_iteratorINSA_10device_ptrIxEEEEPS6_SG_NS0_5tupleIJNSA_16discard_iteratorINSA_11use_defaultEEES6_EEENSH_IJSG_SG_EEES6_PlJNSB_9not_fun_tI7is_trueIxEEEEEE10hipError_tPvRmT3_T4_T5_T6_T7_T9_mT8_P12ihipStream_tbDpT10_ENKUlT_T0_E_clISt17integral_constantIbLb0EES1A_IbLb1EEEEDaS16_S17_EUlS16_E_NS1_11comp_targetILNS1_3genE5ELNS1_11target_archE942ELNS1_3gpuE9ELNS1_3repE0EEENS1_30default_config_static_selectorELNS0_4arch9wavefront6targetE0EEEvT1_.has_indirect_call, 0
	.section	.AMDGPU.csdata,"",@progbits
; Kernel info:
; codeLenInByte = 0
; TotalNumSgprs: 0
; NumVgprs: 0
; ScratchSize: 0
; MemoryBound: 0
; FloatMode: 240
; IeeeMode: 1
; LDSByteSize: 0 bytes/workgroup (compile time only)
; SGPRBlocks: 0
; VGPRBlocks: 0
; NumSGPRsForWavesPerEU: 1
; NumVGPRsForWavesPerEU: 1
; Occupancy: 16
; WaveLimiterHint : 0
; COMPUTE_PGM_RSRC2:SCRATCH_EN: 0
; COMPUTE_PGM_RSRC2:USER_SGPR: 2
; COMPUTE_PGM_RSRC2:TRAP_HANDLER: 0
; COMPUTE_PGM_RSRC2:TGID_X_EN: 1
; COMPUTE_PGM_RSRC2:TGID_Y_EN: 0
; COMPUTE_PGM_RSRC2:TGID_Z_EN: 0
; COMPUTE_PGM_RSRC2:TIDIG_COMP_CNT: 0
	.section	.text._ZN7rocprim17ROCPRIM_400000_NS6detail17trampoline_kernelINS0_14default_configENS1_25partition_config_selectorILNS1_17partition_subalgoE6ExNS0_10empty_typeEbEEZZNS1_14partition_implILS5_6ELb0ES3_mN6thrust23THRUST_200600_302600_NS6detail15normal_iteratorINSA_10device_ptrIxEEEEPS6_SG_NS0_5tupleIJNSA_16discard_iteratorINSA_11use_defaultEEES6_EEENSH_IJSG_SG_EEES6_PlJNSB_9not_fun_tI7is_trueIxEEEEEE10hipError_tPvRmT3_T4_T5_T6_T7_T9_mT8_P12ihipStream_tbDpT10_ENKUlT_T0_E_clISt17integral_constantIbLb0EES1A_IbLb1EEEEDaS16_S17_EUlS16_E_NS1_11comp_targetILNS1_3genE4ELNS1_11target_archE910ELNS1_3gpuE8ELNS1_3repE0EEENS1_30default_config_static_selectorELNS0_4arch9wavefront6targetE0EEEvT1_,"axG",@progbits,_ZN7rocprim17ROCPRIM_400000_NS6detail17trampoline_kernelINS0_14default_configENS1_25partition_config_selectorILNS1_17partition_subalgoE6ExNS0_10empty_typeEbEEZZNS1_14partition_implILS5_6ELb0ES3_mN6thrust23THRUST_200600_302600_NS6detail15normal_iteratorINSA_10device_ptrIxEEEEPS6_SG_NS0_5tupleIJNSA_16discard_iteratorINSA_11use_defaultEEES6_EEENSH_IJSG_SG_EEES6_PlJNSB_9not_fun_tI7is_trueIxEEEEEE10hipError_tPvRmT3_T4_T5_T6_T7_T9_mT8_P12ihipStream_tbDpT10_ENKUlT_T0_E_clISt17integral_constantIbLb0EES1A_IbLb1EEEEDaS16_S17_EUlS16_E_NS1_11comp_targetILNS1_3genE4ELNS1_11target_archE910ELNS1_3gpuE8ELNS1_3repE0EEENS1_30default_config_static_selectorELNS0_4arch9wavefront6targetE0EEEvT1_,comdat
	.protected	_ZN7rocprim17ROCPRIM_400000_NS6detail17trampoline_kernelINS0_14default_configENS1_25partition_config_selectorILNS1_17partition_subalgoE6ExNS0_10empty_typeEbEEZZNS1_14partition_implILS5_6ELb0ES3_mN6thrust23THRUST_200600_302600_NS6detail15normal_iteratorINSA_10device_ptrIxEEEEPS6_SG_NS0_5tupleIJNSA_16discard_iteratorINSA_11use_defaultEEES6_EEENSH_IJSG_SG_EEES6_PlJNSB_9not_fun_tI7is_trueIxEEEEEE10hipError_tPvRmT3_T4_T5_T6_T7_T9_mT8_P12ihipStream_tbDpT10_ENKUlT_T0_E_clISt17integral_constantIbLb0EES1A_IbLb1EEEEDaS16_S17_EUlS16_E_NS1_11comp_targetILNS1_3genE4ELNS1_11target_archE910ELNS1_3gpuE8ELNS1_3repE0EEENS1_30default_config_static_selectorELNS0_4arch9wavefront6targetE0EEEvT1_ ; -- Begin function _ZN7rocprim17ROCPRIM_400000_NS6detail17trampoline_kernelINS0_14default_configENS1_25partition_config_selectorILNS1_17partition_subalgoE6ExNS0_10empty_typeEbEEZZNS1_14partition_implILS5_6ELb0ES3_mN6thrust23THRUST_200600_302600_NS6detail15normal_iteratorINSA_10device_ptrIxEEEEPS6_SG_NS0_5tupleIJNSA_16discard_iteratorINSA_11use_defaultEEES6_EEENSH_IJSG_SG_EEES6_PlJNSB_9not_fun_tI7is_trueIxEEEEEE10hipError_tPvRmT3_T4_T5_T6_T7_T9_mT8_P12ihipStream_tbDpT10_ENKUlT_T0_E_clISt17integral_constantIbLb0EES1A_IbLb1EEEEDaS16_S17_EUlS16_E_NS1_11comp_targetILNS1_3genE4ELNS1_11target_archE910ELNS1_3gpuE8ELNS1_3repE0EEENS1_30default_config_static_selectorELNS0_4arch9wavefront6targetE0EEEvT1_
	.globl	_ZN7rocprim17ROCPRIM_400000_NS6detail17trampoline_kernelINS0_14default_configENS1_25partition_config_selectorILNS1_17partition_subalgoE6ExNS0_10empty_typeEbEEZZNS1_14partition_implILS5_6ELb0ES3_mN6thrust23THRUST_200600_302600_NS6detail15normal_iteratorINSA_10device_ptrIxEEEEPS6_SG_NS0_5tupleIJNSA_16discard_iteratorINSA_11use_defaultEEES6_EEENSH_IJSG_SG_EEES6_PlJNSB_9not_fun_tI7is_trueIxEEEEEE10hipError_tPvRmT3_T4_T5_T6_T7_T9_mT8_P12ihipStream_tbDpT10_ENKUlT_T0_E_clISt17integral_constantIbLb0EES1A_IbLb1EEEEDaS16_S17_EUlS16_E_NS1_11comp_targetILNS1_3genE4ELNS1_11target_archE910ELNS1_3gpuE8ELNS1_3repE0EEENS1_30default_config_static_selectorELNS0_4arch9wavefront6targetE0EEEvT1_
	.p2align	8
	.type	_ZN7rocprim17ROCPRIM_400000_NS6detail17trampoline_kernelINS0_14default_configENS1_25partition_config_selectorILNS1_17partition_subalgoE6ExNS0_10empty_typeEbEEZZNS1_14partition_implILS5_6ELb0ES3_mN6thrust23THRUST_200600_302600_NS6detail15normal_iteratorINSA_10device_ptrIxEEEEPS6_SG_NS0_5tupleIJNSA_16discard_iteratorINSA_11use_defaultEEES6_EEENSH_IJSG_SG_EEES6_PlJNSB_9not_fun_tI7is_trueIxEEEEEE10hipError_tPvRmT3_T4_T5_T6_T7_T9_mT8_P12ihipStream_tbDpT10_ENKUlT_T0_E_clISt17integral_constantIbLb0EES1A_IbLb1EEEEDaS16_S17_EUlS16_E_NS1_11comp_targetILNS1_3genE4ELNS1_11target_archE910ELNS1_3gpuE8ELNS1_3repE0EEENS1_30default_config_static_selectorELNS0_4arch9wavefront6targetE0EEEvT1_,@function
_ZN7rocprim17ROCPRIM_400000_NS6detail17trampoline_kernelINS0_14default_configENS1_25partition_config_selectorILNS1_17partition_subalgoE6ExNS0_10empty_typeEbEEZZNS1_14partition_implILS5_6ELb0ES3_mN6thrust23THRUST_200600_302600_NS6detail15normal_iteratorINSA_10device_ptrIxEEEEPS6_SG_NS0_5tupleIJNSA_16discard_iteratorINSA_11use_defaultEEES6_EEENSH_IJSG_SG_EEES6_PlJNSB_9not_fun_tI7is_trueIxEEEEEE10hipError_tPvRmT3_T4_T5_T6_T7_T9_mT8_P12ihipStream_tbDpT10_ENKUlT_T0_E_clISt17integral_constantIbLb0EES1A_IbLb1EEEEDaS16_S17_EUlS16_E_NS1_11comp_targetILNS1_3genE4ELNS1_11target_archE910ELNS1_3gpuE8ELNS1_3repE0EEENS1_30default_config_static_selectorELNS0_4arch9wavefront6targetE0EEEvT1_: ; @_ZN7rocprim17ROCPRIM_400000_NS6detail17trampoline_kernelINS0_14default_configENS1_25partition_config_selectorILNS1_17partition_subalgoE6ExNS0_10empty_typeEbEEZZNS1_14partition_implILS5_6ELb0ES3_mN6thrust23THRUST_200600_302600_NS6detail15normal_iteratorINSA_10device_ptrIxEEEEPS6_SG_NS0_5tupleIJNSA_16discard_iteratorINSA_11use_defaultEEES6_EEENSH_IJSG_SG_EEES6_PlJNSB_9not_fun_tI7is_trueIxEEEEEE10hipError_tPvRmT3_T4_T5_T6_T7_T9_mT8_P12ihipStream_tbDpT10_ENKUlT_T0_E_clISt17integral_constantIbLb0EES1A_IbLb1EEEEDaS16_S17_EUlS16_E_NS1_11comp_targetILNS1_3genE4ELNS1_11target_archE910ELNS1_3gpuE8ELNS1_3repE0EEENS1_30default_config_static_selectorELNS0_4arch9wavefront6targetE0EEEvT1_
; %bb.0:
	.section	.rodata,"a",@progbits
	.p2align	6, 0x0
	.amdhsa_kernel _ZN7rocprim17ROCPRIM_400000_NS6detail17trampoline_kernelINS0_14default_configENS1_25partition_config_selectorILNS1_17partition_subalgoE6ExNS0_10empty_typeEbEEZZNS1_14partition_implILS5_6ELb0ES3_mN6thrust23THRUST_200600_302600_NS6detail15normal_iteratorINSA_10device_ptrIxEEEEPS6_SG_NS0_5tupleIJNSA_16discard_iteratorINSA_11use_defaultEEES6_EEENSH_IJSG_SG_EEES6_PlJNSB_9not_fun_tI7is_trueIxEEEEEE10hipError_tPvRmT3_T4_T5_T6_T7_T9_mT8_P12ihipStream_tbDpT10_ENKUlT_T0_E_clISt17integral_constantIbLb0EES1A_IbLb1EEEEDaS16_S17_EUlS16_E_NS1_11comp_targetILNS1_3genE4ELNS1_11target_archE910ELNS1_3gpuE8ELNS1_3repE0EEENS1_30default_config_static_selectorELNS0_4arch9wavefront6targetE0EEEvT1_
		.amdhsa_group_segment_fixed_size 0
		.amdhsa_private_segment_fixed_size 0
		.amdhsa_kernarg_size 136
		.amdhsa_user_sgpr_count 2
		.amdhsa_user_sgpr_dispatch_ptr 0
		.amdhsa_user_sgpr_queue_ptr 0
		.amdhsa_user_sgpr_kernarg_segment_ptr 1
		.amdhsa_user_sgpr_dispatch_id 0
		.amdhsa_user_sgpr_private_segment_size 0
		.amdhsa_wavefront_size32 1
		.amdhsa_uses_dynamic_stack 0
		.amdhsa_enable_private_segment 0
		.amdhsa_system_sgpr_workgroup_id_x 1
		.amdhsa_system_sgpr_workgroup_id_y 0
		.amdhsa_system_sgpr_workgroup_id_z 0
		.amdhsa_system_sgpr_workgroup_info 0
		.amdhsa_system_vgpr_workitem_id 0
		.amdhsa_next_free_vgpr 1
		.amdhsa_next_free_sgpr 1
		.amdhsa_reserve_vcc 0
		.amdhsa_float_round_mode_32 0
		.amdhsa_float_round_mode_16_64 0
		.amdhsa_float_denorm_mode_32 3
		.amdhsa_float_denorm_mode_16_64 3
		.amdhsa_fp16_overflow 0
		.amdhsa_workgroup_processor_mode 1
		.amdhsa_memory_ordered 1
		.amdhsa_forward_progress 1
		.amdhsa_inst_pref_size 0
		.amdhsa_round_robin_scheduling 0
		.amdhsa_exception_fp_ieee_invalid_op 0
		.amdhsa_exception_fp_denorm_src 0
		.amdhsa_exception_fp_ieee_div_zero 0
		.amdhsa_exception_fp_ieee_overflow 0
		.amdhsa_exception_fp_ieee_underflow 0
		.amdhsa_exception_fp_ieee_inexact 0
		.amdhsa_exception_int_div_zero 0
	.end_amdhsa_kernel
	.section	.text._ZN7rocprim17ROCPRIM_400000_NS6detail17trampoline_kernelINS0_14default_configENS1_25partition_config_selectorILNS1_17partition_subalgoE6ExNS0_10empty_typeEbEEZZNS1_14partition_implILS5_6ELb0ES3_mN6thrust23THRUST_200600_302600_NS6detail15normal_iteratorINSA_10device_ptrIxEEEEPS6_SG_NS0_5tupleIJNSA_16discard_iteratorINSA_11use_defaultEEES6_EEENSH_IJSG_SG_EEES6_PlJNSB_9not_fun_tI7is_trueIxEEEEEE10hipError_tPvRmT3_T4_T5_T6_T7_T9_mT8_P12ihipStream_tbDpT10_ENKUlT_T0_E_clISt17integral_constantIbLb0EES1A_IbLb1EEEEDaS16_S17_EUlS16_E_NS1_11comp_targetILNS1_3genE4ELNS1_11target_archE910ELNS1_3gpuE8ELNS1_3repE0EEENS1_30default_config_static_selectorELNS0_4arch9wavefront6targetE0EEEvT1_,"axG",@progbits,_ZN7rocprim17ROCPRIM_400000_NS6detail17trampoline_kernelINS0_14default_configENS1_25partition_config_selectorILNS1_17partition_subalgoE6ExNS0_10empty_typeEbEEZZNS1_14partition_implILS5_6ELb0ES3_mN6thrust23THRUST_200600_302600_NS6detail15normal_iteratorINSA_10device_ptrIxEEEEPS6_SG_NS0_5tupleIJNSA_16discard_iteratorINSA_11use_defaultEEES6_EEENSH_IJSG_SG_EEES6_PlJNSB_9not_fun_tI7is_trueIxEEEEEE10hipError_tPvRmT3_T4_T5_T6_T7_T9_mT8_P12ihipStream_tbDpT10_ENKUlT_T0_E_clISt17integral_constantIbLb0EES1A_IbLb1EEEEDaS16_S17_EUlS16_E_NS1_11comp_targetILNS1_3genE4ELNS1_11target_archE910ELNS1_3gpuE8ELNS1_3repE0EEENS1_30default_config_static_selectorELNS0_4arch9wavefront6targetE0EEEvT1_,comdat
.Lfunc_end2263:
	.size	_ZN7rocprim17ROCPRIM_400000_NS6detail17trampoline_kernelINS0_14default_configENS1_25partition_config_selectorILNS1_17partition_subalgoE6ExNS0_10empty_typeEbEEZZNS1_14partition_implILS5_6ELb0ES3_mN6thrust23THRUST_200600_302600_NS6detail15normal_iteratorINSA_10device_ptrIxEEEEPS6_SG_NS0_5tupleIJNSA_16discard_iteratorINSA_11use_defaultEEES6_EEENSH_IJSG_SG_EEES6_PlJNSB_9not_fun_tI7is_trueIxEEEEEE10hipError_tPvRmT3_T4_T5_T6_T7_T9_mT8_P12ihipStream_tbDpT10_ENKUlT_T0_E_clISt17integral_constantIbLb0EES1A_IbLb1EEEEDaS16_S17_EUlS16_E_NS1_11comp_targetILNS1_3genE4ELNS1_11target_archE910ELNS1_3gpuE8ELNS1_3repE0EEENS1_30default_config_static_selectorELNS0_4arch9wavefront6targetE0EEEvT1_, .Lfunc_end2263-_ZN7rocprim17ROCPRIM_400000_NS6detail17trampoline_kernelINS0_14default_configENS1_25partition_config_selectorILNS1_17partition_subalgoE6ExNS0_10empty_typeEbEEZZNS1_14partition_implILS5_6ELb0ES3_mN6thrust23THRUST_200600_302600_NS6detail15normal_iteratorINSA_10device_ptrIxEEEEPS6_SG_NS0_5tupleIJNSA_16discard_iteratorINSA_11use_defaultEEES6_EEENSH_IJSG_SG_EEES6_PlJNSB_9not_fun_tI7is_trueIxEEEEEE10hipError_tPvRmT3_T4_T5_T6_T7_T9_mT8_P12ihipStream_tbDpT10_ENKUlT_T0_E_clISt17integral_constantIbLb0EES1A_IbLb1EEEEDaS16_S17_EUlS16_E_NS1_11comp_targetILNS1_3genE4ELNS1_11target_archE910ELNS1_3gpuE8ELNS1_3repE0EEENS1_30default_config_static_selectorELNS0_4arch9wavefront6targetE0EEEvT1_
                                        ; -- End function
	.set _ZN7rocprim17ROCPRIM_400000_NS6detail17trampoline_kernelINS0_14default_configENS1_25partition_config_selectorILNS1_17partition_subalgoE6ExNS0_10empty_typeEbEEZZNS1_14partition_implILS5_6ELb0ES3_mN6thrust23THRUST_200600_302600_NS6detail15normal_iteratorINSA_10device_ptrIxEEEEPS6_SG_NS0_5tupleIJNSA_16discard_iteratorINSA_11use_defaultEEES6_EEENSH_IJSG_SG_EEES6_PlJNSB_9not_fun_tI7is_trueIxEEEEEE10hipError_tPvRmT3_T4_T5_T6_T7_T9_mT8_P12ihipStream_tbDpT10_ENKUlT_T0_E_clISt17integral_constantIbLb0EES1A_IbLb1EEEEDaS16_S17_EUlS16_E_NS1_11comp_targetILNS1_3genE4ELNS1_11target_archE910ELNS1_3gpuE8ELNS1_3repE0EEENS1_30default_config_static_selectorELNS0_4arch9wavefront6targetE0EEEvT1_.num_vgpr, 0
	.set _ZN7rocprim17ROCPRIM_400000_NS6detail17trampoline_kernelINS0_14default_configENS1_25partition_config_selectorILNS1_17partition_subalgoE6ExNS0_10empty_typeEbEEZZNS1_14partition_implILS5_6ELb0ES3_mN6thrust23THRUST_200600_302600_NS6detail15normal_iteratorINSA_10device_ptrIxEEEEPS6_SG_NS0_5tupleIJNSA_16discard_iteratorINSA_11use_defaultEEES6_EEENSH_IJSG_SG_EEES6_PlJNSB_9not_fun_tI7is_trueIxEEEEEE10hipError_tPvRmT3_T4_T5_T6_T7_T9_mT8_P12ihipStream_tbDpT10_ENKUlT_T0_E_clISt17integral_constantIbLb0EES1A_IbLb1EEEEDaS16_S17_EUlS16_E_NS1_11comp_targetILNS1_3genE4ELNS1_11target_archE910ELNS1_3gpuE8ELNS1_3repE0EEENS1_30default_config_static_selectorELNS0_4arch9wavefront6targetE0EEEvT1_.num_agpr, 0
	.set _ZN7rocprim17ROCPRIM_400000_NS6detail17trampoline_kernelINS0_14default_configENS1_25partition_config_selectorILNS1_17partition_subalgoE6ExNS0_10empty_typeEbEEZZNS1_14partition_implILS5_6ELb0ES3_mN6thrust23THRUST_200600_302600_NS6detail15normal_iteratorINSA_10device_ptrIxEEEEPS6_SG_NS0_5tupleIJNSA_16discard_iteratorINSA_11use_defaultEEES6_EEENSH_IJSG_SG_EEES6_PlJNSB_9not_fun_tI7is_trueIxEEEEEE10hipError_tPvRmT3_T4_T5_T6_T7_T9_mT8_P12ihipStream_tbDpT10_ENKUlT_T0_E_clISt17integral_constantIbLb0EES1A_IbLb1EEEEDaS16_S17_EUlS16_E_NS1_11comp_targetILNS1_3genE4ELNS1_11target_archE910ELNS1_3gpuE8ELNS1_3repE0EEENS1_30default_config_static_selectorELNS0_4arch9wavefront6targetE0EEEvT1_.numbered_sgpr, 0
	.set _ZN7rocprim17ROCPRIM_400000_NS6detail17trampoline_kernelINS0_14default_configENS1_25partition_config_selectorILNS1_17partition_subalgoE6ExNS0_10empty_typeEbEEZZNS1_14partition_implILS5_6ELb0ES3_mN6thrust23THRUST_200600_302600_NS6detail15normal_iteratorINSA_10device_ptrIxEEEEPS6_SG_NS0_5tupleIJNSA_16discard_iteratorINSA_11use_defaultEEES6_EEENSH_IJSG_SG_EEES6_PlJNSB_9not_fun_tI7is_trueIxEEEEEE10hipError_tPvRmT3_T4_T5_T6_T7_T9_mT8_P12ihipStream_tbDpT10_ENKUlT_T0_E_clISt17integral_constantIbLb0EES1A_IbLb1EEEEDaS16_S17_EUlS16_E_NS1_11comp_targetILNS1_3genE4ELNS1_11target_archE910ELNS1_3gpuE8ELNS1_3repE0EEENS1_30default_config_static_selectorELNS0_4arch9wavefront6targetE0EEEvT1_.num_named_barrier, 0
	.set _ZN7rocprim17ROCPRIM_400000_NS6detail17trampoline_kernelINS0_14default_configENS1_25partition_config_selectorILNS1_17partition_subalgoE6ExNS0_10empty_typeEbEEZZNS1_14partition_implILS5_6ELb0ES3_mN6thrust23THRUST_200600_302600_NS6detail15normal_iteratorINSA_10device_ptrIxEEEEPS6_SG_NS0_5tupleIJNSA_16discard_iteratorINSA_11use_defaultEEES6_EEENSH_IJSG_SG_EEES6_PlJNSB_9not_fun_tI7is_trueIxEEEEEE10hipError_tPvRmT3_T4_T5_T6_T7_T9_mT8_P12ihipStream_tbDpT10_ENKUlT_T0_E_clISt17integral_constantIbLb0EES1A_IbLb1EEEEDaS16_S17_EUlS16_E_NS1_11comp_targetILNS1_3genE4ELNS1_11target_archE910ELNS1_3gpuE8ELNS1_3repE0EEENS1_30default_config_static_selectorELNS0_4arch9wavefront6targetE0EEEvT1_.private_seg_size, 0
	.set _ZN7rocprim17ROCPRIM_400000_NS6detail17trampoline_kernelINS0_14default_configENS1_25partition_config_selectorILNS1_17partition_subalgoE6ExNS0_10empty_typeEbEEZZNS1_14partition_implILS5_6ELb0ES3_mN6thrust23THRUST_200600_302600_NS6detail15normal_iteratorINSA_10device_ptrIxEEEEPS6_SG_NS0_5tupleIJNSA_16discard_iteratorINSA_11use_defaultEEES6_EEENSH_IJSG_SG_EEES6_PlJNSB_9not_fun_tI7is_trueIxEEEEEE10hipError_tPvRmT3_T4_T5_T6_T7_T9_mT8_P12ihipStream_tbDpT10_ENKUlT_T0_E_clISt17integral_constantIbLb0EES1A_IbLb1EEEEDaS16_S17_EUlS16_E_NS1_11comp_targetILNS1_3genE4ELNS1_11target_archE910ELNS1_3gpuE8ELNS1_3repE0EEENS1_30default_config_static_selectorELNS0_4arch9wavefront6targetE0EEEvT1_.uses_vcc, 0
	.set _ZN7rocprim17ROCPRIM_400000_NS6detail17trampoline_kernelINS0_14default_configENS1_25partition_config_selectorILNS1_17partition_subalgoE6ExNS0_10empty_typeEbEEZZNS1_14partition_implILS5_6ELb0ES3_mN6thrust23THRUST_200600_302600_NS6detail15normal_iteratorINSA_10device_ptrIxEEEEPS6_SG_NS0_5tupleIJNSA_16discard_iteratorINSA_11use_defaultEEES6_EEENSH_IJSG_SG_EEES6_PlJNSB_9not_fun_tI7is_trueIxEEEEEE10hipError_tPvRmT3_T4_T5_T6_T7_T9_mT8_P12ihipStream_tbDpT10_ENKUlT_T0_E_clISt17integral_constantIbLb0EES1A_IbLb1EEEEDaS16_S17_EUlS16_E_NS1_11comp_targetILNS1_3genE4ELNS1_11target_archE910ELNS1_3gpuE8ELNS1_3repE0EEENS1_30default_config_static_selectorELNS0_4arch9wavefront6targetE0EEEvT1_.uses_flat_scratch, 0
	.set _ZN7rocprim17ROCPRIM_400000_NS6detail17trampoline_kernelINS0_14default_configENS1_25partition_config_selectorILNS1_17partition_subalgoE6ExNS0_10empty_typeEbEEZZNS1_14partition_implILS5_6ELb0ES3_mN6thrust23THRUST_200600_302600_NS6detail15normal_iteratorINSA_10device_ptrIxEEEEPS6_SG_NS0_5tupleIJNSA_16discard_iteratorINSA_11use_defaultEEES6_EEENSH_IJSG_SG_EEES6_PlJNSB_9not_fun_tI7is_trueIxEEEEEE10hipError_tPvRmT3_T4_T5_T6_T7_T9_mT8_P12ihipStream_tbDpT10_ENKUlT_T0_E_clISt17integral_constantIbLb0EES1A_IbLb1EEEEDaS16_S17_EUlS16_E_NS1_11comp_targetILNS1_3genE4ELNS1_11target_archE910ELNS1_3gpuE8ELNS1_3repE0EEENS1_30default_config_static_selectorELNS0_4arch9wavefront6targetE0EEEvT1_.has_dyn_sized_stack, 0
	.set _ZN7rocprim17ROCPRIM_400000_NS6detail17trampoline_kernelINS0_14default_configENS1_25partition_config_selectorILNS1_17partition_subalgoE6ExNS0_10empty_typeEbEEZZNS1_14partition_implILS5_6ELb0ES3_mN6thrust23THRUST_200600_302600_NS6detail15normal_iteratorINSA_10device_ptrIxEEEEPS6_SG_NS0_5tupleIJNSA_16discard_iteratorINSA_11use_defaultEEES6_EEENSH_IJSG_SG_EEES6_PlJNSB_9not_fun_tI7is_trueIxEEEEEE10hipError_tPvRmT3_T4_T5_T6_T7_T9_mT8_P12ihipStream_tbDpT10_ENKUlT_T0_E_clISt17integral_constantIbLb0EES1A_IbLb1EEEEDaS16_S17_EUlS16_E_NS1_11comp_targetILNS1_3genE4ELNS1_11target_archE910ELNS1_3gpuE8ELNS1_3repE0EEENS1_30default_config_static_selectorELNS0_4arch9wavefront6targetE0EEEvT1_.has_recursion, 0
	.set _ZN7rocprim17ROCPRIM_400000_NS6detail17trampoline_kernelINS0_14default_configENS1_25partition_config_selectorILNS1_17partition_subalgoE6ExNS0_10empty_typeEbEEZZNS1_14partition_implILS5_6ELb0ES3_mN6thrust23THRUST_200600_302600_NS6detail15normal_iteratorINSA_10device_ptrIxEEEEPS6_SG_NS0_5tupleIJNSA_16discard_iteratorINSA_11use_defaultEEES6_EEENSH_IJSG_SG_EEES6_PlJNSB_9not_fun_tI7is_trueIxEEEEEE10hipError_tPvRmT3_T4_T5_T6_T7_T9_mT8_P12ihipStream_tbDpT10_ENKUlT_T0_E_clISt17integral_constantIbLb0EES1A_IbLb1EEEEDaS16_S17_EUlS16_E_NS1_11comp_targetILNS1_3genE4ELNS1_11target_archE910ELNS1_3gpuE8ELNS1_3repE0EEENS1_30default_config_static_selectorELNS0_4arch9wavefront6targetE0EEEvT1_.has_indirect_call, 0
	.section	.AMDGPU.csdata,"",@progbits
; Kernel info:
; codeLenInByte = 0
; TotalNumSgprs: 0
; NumVgprs: 0
; ScratchSize: 0
; MemoryBound: 0
; FloatMode: 240
; IeeeMode: 1
; LDSByteSize: 0 bytes/workgroup (compile time only)
; SGPRBlocks: 0
; VGPRBlocks: 0
; NumSGPRsForWavesPerEU: 1
; NumVGPRsForWavesPerEU: 1
; Occupancy: 16
; WaveLimiterHint : 0
; COMPUTE_PGM_RSRC2:SCRATCH_EN: 0
; COMPUTE_PGM_RSRC2:USER_SGPR: 2
; COMPUTE_PGM_RSRC2:TRAP_HANDLER: 0
; COMPUTE_PGM_RSRC2:TGID_X_EN: 1
; COMPUTE_PGM_RSRC2:TGID_Y_EN: 0
; COMPUTE_PGM_RSRC2:TGID_Z_EN: 0
; COMPUTE_PGM_RSRC2:TIDIG_COMP_CNT: 0
	.section	.text._ZN7rocprim17ROCPRIM_400000_NS6detail17trampoline_kernelINS0_14default_configENS1_25partition_config_selectorILNS1_17partition_subalgoE6ExNS0_10empty_typeEbEEZZNS1_14partition_implILS5_6ELb0ES3_mN6thrust23THRUST_200600_302600_NS6detail15normal_iteratorINSA_10device_ptrIxEEEEPS6_SG_NS0_5tupleIJNSA_16discard_iteratorINSA_11use_defaultEEES6_EEENSH_IJSG_SG_EEES6_PlJNSB_9not_fun_tI7is_trueIxEEEEEE10hipError_tPvRmT3_T4_T5_T6_T7_T9_mT8_P12ihipStream_tbDpT10_ENKUlT_T0_E_clISt17integral_constantIbLb0EES1A_IbLb1EEEEDaS16_S17_EUlS16_E_NS1_11comp_targetILNS1_3genE3ELNS1_11target_archE908ELNS1_3gpuE7ELNS1_3repE0EEENS1_30default_config_static_selectorELNS0_4arch9wavefront6targetE0EEEvT1_,"axG",@progbits,_ZN7rocprim17ROCPRIM_400000_NS6detail17trampoline_kernelINS0_14default_configENS1_25partition_config_selectorILNS1_17partition_subalgoE6ExNS0_10empty_typeEbEEZZNS1_14partition_implILS5_6ELb0ES3_mN6thrust23THRUST_200600_302600_NS6detail15normal_iteratorINSA_10device_ptrIxEEEEPS6_SG_NS0_5tupleIJNSA_16discard_iteratorINSA_11use_defaultEEES6_EEENSH_IJSG_SG_EEES6_PlJNSB_9not_fun_tI7is_trueIxEEEEEE10hipError_tPvRmT3_T4_T5_T6_T7_T9_mT8_P12ihipStream_tbDpT10_ENKUlT_T0_E_clISt17integral_constantIbLb0EES1A_IbLb1EEEEDaS16_S17_EUlS16_E_NS1_11comp_targetILNS1_3genE3ELNS1_11target_archE908ELNS1_3gpuE7ELNS1_3repE0EEENS1_30default_config_static_selectorELNS0_4arch9wavefront6targetE0EEEvT1_,comdat
	.protected	_ZN7rocprim17ROCPRIM_400000_NS6detail17trampoline_kernelINS0_14default_configENS1_25partition_config_selectorILNS1_17partition_subalgoE6ExNS0_10empty_typeEbEEZZNS1_14partition_implILS5_6ELb0ES3_mN6thrust23THRUST_200600_302600_NS6detail15normal_iteratorINSA_10device_ptrIxEEEEPS6_SG_NS0_5tupleIJNSA_16discard_iteratorINSA_11use_defaultEEES6_EEENSH_IJSG_SG_EEES6_PlJNSB_9not_fun_tI7is_trueIxEEEEEE10hipError_tPvRmT3_T4_T5_T6_T7_T9_mT8_P12ihipStream_tbDpT10_ENKUlT_T0_E_clISt17integral_constantIbLb0EES1A_IbLb1EEEEDaS16_S17_EUlS16_E_NS1_11comp_targetILNS1_3genE3ELNS1_11target_archE908ELNS1_3gpuE7ELNS1_3repE0EEENS1_30default_config_static_selectorELNS0_4arch9wavefront6targetE0EEEvT1_ ; -- Begin function _ZN7rocprim17ROCPRIM_400000_NS6detail17trampoline_kernelINS0_14default_configENS1_25partition_config_selectorILNS1_17partition_subalgoE6ExNS0_10empty_typeEbEEZZNS1_14partition_implILS5_6ELb0ES3_mN6thrust23THRUST_200600_302600_NS6detail15normal_iteratorINSA_10device_ptrIxEEEEPS6_SG_NS0_5tupleIJNSA_16discard_iteratorINSA_11use_defaultEEES6_EEENSH_IJSG_SG_EEES6_PlJNSB_9not_fun_tI7is_trueIxEEEEEE10hipError_tPvRmT3_T4_T5_T6_T7_T9_mT8_P12ihipStream_tbDpT10_ENKUlT_T0_E_clISt17integral_constantIbLb0EES1A_IbLb1EEEEDaS16_S17_EUlS16_E_NS1_11comp_targetILNS1_3genE3ELNS1_11target_archE908ELNS1_3gpuE7ELNS1_3repE0EEENS1_30default_config_static_selectorELNS0_4arch9wavefront6targetE0EEEvT1_
	.globl	_ZN7rocprim17ROCPRIM_400000_NS6detail17trampoline_kernelINS0_14default_configENS1_25partition_config_selectorILNS1_17partition_subalgoE6ExNS0_10empty_typeEbEEZZNS1_14partition_implILS5_6ELb0ES3_mN6thrust23THRUST_200600_302600_NS6detail15normal_iteratorINSA_10device_ptrIxEEEEPS6_SG_NS0_5tupleIJNSA_16discard_iteratorINSA_11use_defaultEEES6_EEENSH_IJSG_SG_EEES6_PlJNSB_9not_fun_tI7is_trueIxEEEEEE10hipError_tPvRmT3_T4_T5_T6_T7_T9_mT8_P12ihipStream_tbDpT10_ENKUlT_T0_E_clISt17integral_constantIbLb0EES1A_IbLb1EEEEDaS16_S17_EUlS16_E_NS1_11comp_targetILNS1_3genE3ELNS1_11target_archE908ELNS1_3gpuE7ELNS1_3repE0EEENS1_30default_config_static_selectorELNS0_4arch9wavefront6targetE0EEEvT1_
	.p2align	8
	.type	_ZN7rocprim17ROCPRIM_400000_NS6detail17trampoline_kernelINS0_14default_configENS1_25partition_config_selectorILNS1_17partition_subalgoE6ExNS0_10empty_typeEbEEZZNS1_14partition_implILS5_6ELb0ES3_mN6thrust23THRUST_200600_302600_NS6detail15normal_iteratorINSA_10device_ptrIxEEEEPS6_SG_NS0_5tupleIJNSA_16discard_iteratorINSA_11use_defaultEEES6_EEENSH_IJSG_SG_EEES6_PlJNSB_9not_fun_tI7is_trueIxEEEEEE10hipError_tPvRmT3_T4_T5_T6_T7_T9_mT8_P12ihipStream_tbDpT10_ENKUlT_T0_E_clISt17integral_constantIbLb0EES1A_IbLb1EEEEDaS16_S17_EUlS16_E_NS1_11comp_targetILNS1_3genE3ELNS1_11target_archE908ELNS1_3gpuE7ELNS1_3repE0EEENS1_30default_config_static_selectorELNS0_4arch9wavefront6targetE0EEEvT1_,@function
_ZN7rocprim17ROCPRIM_400000_NS6detail17trampoline_kernelINS0_14default_configENS1_25partition_config_selectorILNS1_17partition_subalgoE6ExNS0_10empty_typeEbEEZZNS1_14partition_implILS5_6ELb0ES3_mN6thrust23THRUST_200600_302600_NS6detail15normal_iteratorINSA_10device_ptrIxEEEEPS6_SG_NS0_5tupleIJNSA_16discard_iteratorINSA_11use_defaultEEES6_EEENSH_IJSG_SG_EEES6_PlJNSB_9not_fun_tI7is_trueIxEEEEEE10hipError_tPvRmT3_T4_T5_T6_T7_T9_mT8_P12ihipStream_tbDpT10_ENKUlT_T0_E_clISt17integral_constantIbLb0EES1A_IbLb1EEEEDaS16_S17_EUlS16_E_NS1_11comp_targetILNS1_3genE3ELNS1_11target_archE908ELNS1_3gpuE7ELNS1_3repE0EEENS1_30default_config_static_selectorELNS0_4arch9wavefront6targetE0EEEvT1_: ; @_ZN7rocprim17ROCPRIM_400000_NS6detail17trampoline_kernelINS0_14default_configENS1_25partition_config_selectorILNS1_17partition_subalgoE6ExNS0_10empty_typeEbEEZZNS1_14partition_implILS5_6ELb0ES3_mN6thrust23THRUST_200600_302600_NS6detail15normal_iteratorINSA_10device_ptrIxEEEEPS6_SG_NS0_5tupleIJNSA_16discard_iteratorINSA_11use_defaultEEES6_EEENSH_IJSG_SG_EEES6_PlJNSB_9not_fun_tI7is_trueIxEEEEEE10hipError_tPvRmT3_T4_T5_T6_T7_T9_mT8_P12ihipStream_tbDpT10_ENKUlT_T0_E_clISt17integral_constantIbLb0EES1A_IbLb1EEEEDaS16_S17_EUlS16_E_NS1_11comp_targetILNS1_3genE3ELNS1_11target_archE908ELNS1_3gpuE7ELNS1_3repE0EEENS1_30default_config_static_selectorELNS0_4arch9wavefront6targetE0EEEvT1_
; %bb.0:
	.section	.rodata,"a",@progbits
	.p2align	6, 0x0
	.amdhsa_kernel _ZN7rocprim17ROCPRIM_400000_NS6detail17trampoline_kernelINS0_14default_configENS1_25partition_config_selectorILNS1_17partition_subalgoE6ExNS0_10empty_typeEbEEZZNS1_14partition_implILS5_6ELb0ES3_mN6thrust23THRUST_200600_302600_NS6detail15normal_iteratorINSA_10device_ptrIxEEEEPS6_SG_NS0_5tupleIJNSA_16discard_iteratorINSA_11use_defaultEEES6_EEENSH_IJSG_SG_EEES6_PlJNSB_9not_fun_tI7is_trueIxEEEEEE10hipError_tPvRmT3_T4_T5_T6_T7_T9_mT8_P12ihipStream_tbDpT10_ENKUlT_T0_E_clISt17integral_constantIbLb0EES1A_IbLb1EEEEDaS16_S17_EUlS16_E_NS1_11comp_targetILNS1_3genE3ELNS1_11target_archE908ELNS1_3gpuE7ELNS1_3repE0EEENS1_30default_config_static_selectorELNS0_4arch9wavefront6targetE0EEEvT1_
		.amdhsa_group_segment_fixed_size 0
		.amdhsa_private_segment_fixed_size 0
		.amdhsa_kernarg_size 136
		.amdhsa_user_sgpr_count 2
		.amdhsa_user_sgpr_dispatch_ptr 0
		.amdhsa_user_sgpr_queue_ptr 0
		.amdhsa_user_sgpr_kernarg_segment_ptr 1
		.amdhsa_user_sgpr_dispatch_id 0
		.amdhsa_user_sgpr_private_segment_size 0
		.amdhsa_wavefront_size32 1
		.amdhsa_uses_dynamic_stack 0
		.amdhsa_enable_private_segment 0
		.amdhsa_system_sgpr_workgroup_id_x 1
		.amdhsa_system_sgpr_workgroup_id_y 0
		.amdhsa_system_sgpr_workgroup_id_z 0
		.amdhsa_system_sgpr_workgroup_info 0
		.amdhsa_system_vgpr_workitem_id 0
		.amdhsa_next_free_vgpr 1
		.amdhsa_next_free_sgpr 1
		.amdhsa_reserve_vcc 0
		.amdhsa_float_round_mode_32 0
		.amdhsa_float_round_mode_16_64 0
		.amdhsa_float_denorm_mode_32 3
		.amdhsa_float_denorm_mode_16_64 3
		.amdhsa_fp16_overflow 0
		.amdhsa_workgroup_processor_mode 1
		.amdhsa_memory_ordered 1
		.amdhsa_forward_progress 1
		.amdhsa_inst_pref_size 0
		.amdhsa_round_robin_scheduling 0
		.amdhsa_exception_fp_ieee_invalid_op 0
		.amdhsa_exception_fp_denorm_src 0
		.amdhsa_exception_fp_ieee_div_zero 0
		.amdhsa_exception_fp_ieee_overflow 0
		.amdhsa_exception_fp_ieee_underflow 0
		.amdhsa_exception_fp_ieee_inexact 0
		.amdhsa_exception_int_div_zero 0
	.end_amdhsa_kernel
	.section	.text._ZN7rocprim17ROCPRIM_400000_NS6detail17trampoline_kernelINS0_14default_configENS1_25partition_config_selectorILNS1_17partition_subalgoE6ExNS0_10empty_typeEbEEZZNS1_14partition_implILS5_6ELb0ES3_mN6thrust23THRUST_200600_302600_NS6detail15normal_iteratorINSA_10device_ptrIxEEEEPS6_SG_NS0_5tupleIJNSA_16discard_iteratorINSA_11use_defaultEEES6_EEENSH_IJSG_SG_EEES6_PlJNSB_9not_fun_tI7is_trueIxEEEEEE10hipError_tPvRmT3_T4_T5_T6_T7_T9_mT8_P12ihipStream_tbDpT10_ENKUlT_T0_E_clISt17integral_constantIbLb0EES1A_IbLb1EEEEDaS16_S17_EUlS16_E_NS1_11comp_targetILNS1_3genE3ELNS1_11target_archE908ELNS1_3gpuE7ELNS1_3repE0EEENS1_30default_config_static_selectorELNS0_4arch9wavefront6targetE0EEEvT1_,"axG",@progbits,_ZN7rocprim17ROCPRIM_400000_NS6detail17trampoline_kernelINS0_14default_configENS1_25partition_config_selectorILNS1_17partition_subalgoE6ExNS0_10empty_typeEbEEZZNS1_14partition_implILS5_6ELb0ES3_mN6thrust23THRUST_200600_302600_NS6detail15normal_iteratorINSA_10device_ptrIxEEEEPS6_SG_NS0_5tupleIJNSA_16discard_iteratorINSA_11use_defaultEEES6_EEENSH_IJSG_SG_EEES6_PlJNSB_9not_fun_tI7is_trueIxEEEEEE10hipError_tPvRmT3_T4_T5_T6_T7_T9_mT8_P12ihipStream_tbDpT10_ENKUlT_T0_E_clISt17integral_constantIbLb0EES1A_IbLb1EEEEDaS16_S17_EUlS16_E_NS1_11comp_targetILNS1_3genE3ELNS1_11target_archE908ELNS1_3gpuE7ELNS1_3repE0EEENS1_30default_config_static_selectorELNS0_4arch9wavefront6targetE0EEEvT1_,comdat
.Lfunc_end2264:
	.size	_ZN7rocprim17ROCPRIM_400000_NS6detail17trampoline_kernelINS0_14default_configENS1_25partition_config_selectorILNS1_17partition_subalgoE6ExNS0_10empty_typeEbEEZZNS1_14partition_implILS5_6ELb0ES3_mN6thrust23THRUST_200600_302600_NS6detail15normal_iteratorINSA_10device_ptrIxEEEEPS6_SG_NS0_5tupleIJNSA_16discard_iteratorINSA_11use_defaultEEES6_EEENSH_IJSG_SG_EEES6_PlJNSB_9not_fun_tI7is_trueIxEEEEEE10hipError_tPvRmT3_T4_T5_T6_T7_T9_mT8_P12ihipStream_tbDpT10_ENKUlT_T0_E_clISt17integral_constantIbLb0EES1A_IbLb1EEEEDaS16_S17_EUlS16_E_NS1_11comp_targetILNS1_3genE3ELNS1_11target_archE908ELNS1_3gpuE7ELNS1_3repE0EEENS1_30default_config_static_selectorELNS0_4arch9wavefront6targetE0EEEvT1_, .Lfunc_end2264-_ZN7rocprim17ROCPRIM_400000_NS6detail17trampoline_kernelINS0_14default_configENS1_25partition_config_selectorILNS1_17partition_subalgoE6ExNS0_10empty_typeEbEEZZNS1_14partition_implILS5_6ELb0ES3_mN6thrust23THRUST_200600_302600_NS6detail15normal_iteratorINSA_10device_ptrIxEEEEPS6_SG_NS0_5tupleIJNSA_16discard_iteratorINSA_11use_defaultEEES6_EEENSH_IJSG_SG_EEES6_PlJNSB_9not_fun_tI7is_trueIxEEEEEE10hipError_tPvRmT3_T4_T5_T6_T7_T9_mT8_P12ihipStream_tbDpT10_ENKUlT_T0_E_clISt17integral_constantIbLb0EES1A_IbLb1EEEEDaS16_S17_EUlS16_E_NS1_11comp_targetILNS1_3genE3ELNS1_11target_archE908ELNS1_3gpuE7ELNS1_3repE0EEENS1_30default_config_static_selectorELNS0_4arch9wavefront6targetE0EEEvT1_
                                        ; -- End function
	.set _ZN7rocprim17ROCPRIM_400000_NS6detail17trampoline_kernelINS0_14default_configENS1_25partition_config_selectorILNS1_17partition_subalgoE6ExNS0_10empty_typeEbEEZZNS1_14partition_implILS5_6ELb0ES3_mN6thrust23THRUST_200600_302600_NS6detail15normal_iteratorINSA_10device_ptrIxEEEEPS6_SG_NS0_5tupleIJNSA_16discard_iteratorINSA_11use_defaultEEES6_EEENSH_IJSG_SG_EEES6_PlJNSB_9not_fun_tI7is_trueIxEEEEEE10hipError_tPvRmT3_T4_T5_T6_T7_T9_mT8_P12ihipStream_tbDpT10_ENKUlT_T0_E_clISt17integral_constantIbLb0EES1A_IbLb1EEEEDaS16_S17_EUlS16_E_NS1_11comp_targetILNS1_3genE3ELNS1_11target_archE908ELNS1_3gpuE7ELNS1_3repE0EEENS1_30default_config_static_selectorELNS0_4arch9wavefront6targetE0EEEvT1_.num_vgpr, 0
	.set _ZN7rocprim17ROCPRIM_400000_NS6detail17trampoline_kernelINS0_14default_configENS1_25partition_config_selectorILNS1_17partition_subalgoE6ExNS0_10empty_typeEbEEZZNS1_14partition_implILS5_6ELb0ES3_mN6thrust23THRUST_200600_302600_NS6detail15normal_iteratorINSA_10device_ptrIxEEEEPS6_SG_NS0_5tupleIJNSA_16discard_iteratorINSA_11use_defaultEEES6_EEENSH_IJSG_SG_EEES6_PlJNSB_9not_fun_tI7is_trueIxEEEEEE10hipError_tPvRmT3_T4_T5_T6_T7_T9_mT8_P12ihipStream_tbDpT10_ENKUlT_T0_E_clISt17integral_constantIbLb0EES1A_IbLb1EEEEDaS16_S17_EUlS16_E_NS1_11comp_targetILNS1_3genE3ELNS1_11target_archE908ELNS1_3gpuE7ELNS1_3repE0EEENS1_30default_config_static_selectorELNS0_4arch9wavefront6targetE0EEEvT1_.num_agpr, 0
	.set _ZN7rocprim17ROCPRIM_400000_NS6detail17trampoline_kernelINS0_14default_configENS1_25partition_config_selectorILNS1_17partition_subalgoE6ExNS0_10empty_typeEbEEZZNS1_14partition_implILS5_6ELb0ES3_mN6thrust23THRUST_200600_302600_NS6detail15normal_iteratorINSA_10device_ptrIxEEEEPS6_SG_NS0_5tupleIJNSA_16discard_iteratorINSA_11use_defaultEEES6_EEENSH_IJSG_SG_EEES6_PlJNSB_9not_fun_tI7is_trueIxEEEEEE10hipError_tPvRmT3_T4_T5_T6_T7_T9_mT8_P12ihipStream_tbDpT10_ENKUlT_T0_E_clISt17integral_constantIbLb0EES1A_IbLb1EEEEDaS16_S17_EUlS16_E_NS1_11comp_targetILNS1_3genE3ELNS1_11target_archE908ELNS1_3gpuE7ELNS1_3repE0EEENS1_30default_config_static_selectorELNS0_4arch9wavefront6targetE0EEEvT1_.numbered_sgpr, 0
	.set _ZN7rocprim17ROCPRIM_400000_NS6detail17trampoline_kernelINS0_14default_configENS1_25partition_config_selectorILNS1_17partition_subalgoE6ExNS0_10empty_typeEbEEZZNS1_14partition_implILS5_6ELb0ES3_mN6thrust23THRUST_200600_302600_NS6detail15normal_iteratorINSA_10device_ptrIxEEEEPS6_SG_NS0_5tupleIJNSA_16discard_iteratorINSA_11use_defaultEEES6_EEENSH_IJSG_SG_EEES6_PlJNSB_9not_fun_tI7is_trueIxEEEEEE10hipError_tPvRmT3_T4_T5_T6_T7_T9_mT8_P12ihipStream_tbDpT10_ENKUlT_T0_E_clISt17integral_constantIbLb0EES1A_IbLb1EEEEDaS16_S17_EUlS16_E_NS1_11comp_targetILNS1_3genE3ELNS1_11target_archE908ELNS1_3gpuE7ELNS1_3repE0EEENS1_30default_config_static_selectorELNS0_4arch9wavefront6targetE0EEEvT1_.num_named_barrier, 0
	.set _ZN7rocprim17ROCPRIM_400000_NS6detail17trampoline_kernelINS0_14default_configENS1_25partition_config_selectorILNS1_17partition_subalgoE6ExNS0_10empty_typeEbEEZZNS1_14partition_implILS5_6ELb0ES3_mN6thrust23THRUST_200600_302600_NS6detail15normal_iteratorINSA_10device_ptrIxEEEEPS6_SG_NS0_5tupleIJNSA_16discard_iteratorINSA_11use_defaultEEES6_EEENSH_IJSG_SG_EEES6_PlJNSB_9not_fun_tI7is_trueIxEEEEEE10hipError_tPvRmT3_T4_T5_T6_T7_T9_mT8_P12ihipStream_tbDpT10_ENKUlT_T0_E_clISt17integral_constantIbLb0EES1A_IbLb1EEEEDaS16_S17_EUlS16_E_NS1_11comp_targetILNS1_3genE3ELNS1_11target_archE908ELNS1_3gpuE7ELNS1_3repE0EEENS1_30default_config_static_selectorELNS0_4arch9wavefront6targetE0EEEvT1_.private_seg_size, 0
	.set _ZN7rocprim17ROCPRIM_400000_NS6detail17trampoline_kernelINS0_14default_configENS1_25partition_config_selectorILNS1_17partition_subalgoE6ExNS0_10empty_typeEbEEZZNS1_14partition_implILS5_6ELb0ES3_mN6thrust23THRUST_200600_302600_NS6detail15normal_iteratorINSA_10device_ptrIxEEEEPS6_SG_NS0_5tupleIJNSA_16discard_iteratorINSA_11use_defaultEEES6_EEENSH_IJSG_SG_EEES6_PlJNSB_9not_fun_tI7is_trueIxEEEEEE10hipError_tPvRmT3_T4_T5_T6_T7_T9_mT8_P12ihipStream_tbDpT10_ENKUlT_T0_E_clISt17integral_constantIbLb0EES1A_IbLb1EEEEDaS16_S17_EUlS16_E_NS1_11comp_targetILNS1_3genE3ELNS1_11target_archE908ELNS1_3gpuE7ELNS1_3repE0EEENS1_30default_config_static_selectorELNS0_4arch9wavefront6targetE0EEEvT1_.uses_vcc, 0
	.set _ZN7rocprim17ROCPRIM_400000_NS6detail17trampoline_kernelINS0_14default_configENS1_25partition_config_selectorILNS1_17partition_subalgoE6ExNS0_10empty_typeEbEEZZNS1_14partition_implILS5_6ELb0ES3_mN6thrust23THRUST_200600_302600_NS6detail15normal_iteratorINSA_10device_ptrIxEEEEPS6_SG_NS0_5tupleIJNSA_16discard_iteratorINSA_11use_defaultEEES6_EEENSH_IJSG_SG_EEES6_PlJNSB_9not_fun_tI7is_trueIxEEEEEE10hipError_tPvRmT3_T4_T5_T6_T7_T9_mT8_P12ihipStream_tbDpT10_ENKUlT_T0_E_clISt17integral_constantIbLb0EES1A_IbLb1EEEEDaS16_S17_EUlS16_E_NS1_11comp_targetILNS1_3genE3ELNS1_11target_archE908ELNS1_3gpuE7ELNS1_3repE0EEENS1_30default_config_static_selectorELNS0_4arch9wavefront6targetE0EEEvT1_.uses_flat_scratch, 0
	.set _ZN7rocprim17ROCPRIM_400000_NS6detail17trampoline_kernelINS0_14default_configENS1_25partition_config_selectorILNS1_17partition_subalgoE6ExNS0_10empty_typeEbEEZZNS1_14partition_implILS5_6ELb0ES3_mN6thrust23THRUST_200600_302600_NS6detail15normal_iteratorINSA_10device_ptrIxEEEEPS6_SG_NS0_5tupleIJNSA_16discard_iteratorINSA_11use_defaultEEES6_EEENSH_IJSG_SG_EEES6_PlJNSB_9not_fun_tI7is_trueIxEEEEEE10hipError_tPvRmT3_T4_T5_T6_T7_T9_mT8_P12ihipStream_tbDpT10_ENKUlT_T0_E_clISt17integral_constantIbLb0EES1A_IbLb1EEEEDaS16_S17_EUlS16_E_NS1_11comp_targetILNS1_3genE3ELNS1_11target_archE908ELNS1_3gpuE7ELNS1_3repE0EEENS1_30default_config_static_selectorELNS0_4arch9wavefront6targetE0EEEvT1_.has_dyn_sized_stack, 0
	.set _ZN7rocprim17ROCPRIM_400000_NS6detail17trampoline_kernelINS0_14default_configENS1_25partition_config_selectorILNS1_17partition_subalgoE6ExNS0_10empty_typeEbEEZZNS1_14partition_implILS5_6ELb0ES3_mN6thrust23THRUST_200600_302600_NS6detail15normal_iteratorINSA_10device_ptrIxEEEEPS6_SG_NS0_5tupleIJNSA_16discard_iteratorINSA_11use_defaultEEES6_EEENSH_IJSG_SG_EEES6_PlJNSB_9not_fun_tI7is_trueIxEEEEEE10hipError_tPvRmT3_T4_T5_T6_T7_T9_mT8_P12ihipStream_tbDpT10_ENKUlT_T0_E_clISt17integral_constantIbLb0EES1A_IbLb1EEEEDaS16_S17_EUlS16_E_NS1_11comp_targetILNS1_3genE3ELNS1_11target_archE908ELNS1_3gpuE7ELNS1_3repE0EEENS1_30default_config_static_selectorELNS0_4arch9wavefront6targetE0EEEvT1_.has_recursion, 0
	.set _ZN7rocprim17ROCPRIM_400000_NS6detail17trampoline_kernelINS0_14default_configENS1_25partition_config_selectorILNS1_17partition_subalgoE6ExNS0_10empty_typeEbEEZZNS1_14partition_implILS5_6ELb0ES3_mN6thrust23THRUST_200600_302600_NS6detail15normal_iteratorINSA_10device_ptrIxEEEEPS6_SG_NS0_5tupleIJNSA_16discard_iteratorINSA_11use_defaultEEES6_EEENSH_IJSG_SG_EEES6_PlJNSB_9not_fun_tI7is_trueIxEEEEEE10hipError_tPvRmT3_T4_T5_T6_T7_T9_mT8_P12ihipStream_tbDpT10_ENKUlT_T0_E_clISt17integral_constantIbLb0EES1A_IbLb1EEEEDaS16_S17_EUlS16_E_NS1_11comp_targetILNS1_3genE3ELNS1_11target_archE908ELNS1_3gpuE7ELNS1_3repE0EEENS1_30default_config_static_selectorELNS0_4arch9wavefront6targetE0EEEvT1_.has_indirect_call, 0
	.section	.AMDGPU.csdata,"",@progbits
; Kernel info:
; codeLenInByte = 0
; TotalNumSgprs: 0
; NumVgprs: 0
; ScratchSize: 0
; MemoryBound: 0
; FloatMode: 240
; IeeeMode: 1
; LDSByteSize: 0 bytes/workgroup (compile time only)
; SGPRBlocks: 0
; VGPRBlocks: 0
; NumSGPRsForWavesPerEU: 1
; NumVGPRsForWavesPerEU: 1
; Occupancy: 16
; WaveLimiterHint : 0
; COMPUTE_PGM_RSRC2:SCRATCH_EN: 0
; COMPUTE_PGM_RSRC2:USER_SGPR: 2
; COMPUTE_PGM_RSRC2:TRAP_HANDLER: 0
; COMPUTE_PGM_RSRC2:TGID_X_EN: 1
; COMPUTE_PGM_RSRC2:TGID_Y_EN: 0
; COMPUTE_PGM_RSRC2:TGID_Z_EN: 0
; COMPUTE_PGM_RSRC2:TIDIG_COMP_CNT: 0
	.section	.text._ZN7rocprim17ROCPRIM_400000_NS6detail17trampoline_kernelINS0_14default_configENS1_25partition_config_selectorILNS1_17partition_subalgoE6ExNS0_10empty_typeEbEEZZNS1_14partition_implILS5_6ELb0ES3_mN6thrust23THRUST_200600_302600_NS6detail15normal_iteratorINSA_10device_ptrIxEEEEPS6_SG_NS0_5tupleIJNSA_16discard_iteratorINSA_11use_defaultEEES6_EEENSH_IJSG_SG_EEES6_PlJNSB_9not_fun_tI7is_trueIxEEEEEE10hipError_tPvRmT3_T4_T5_T6_T7_T9_mT8_P12ihipStream_tbDpT10_ENKUlT_T0_E_clISt17integral_constantIbLb0EES1A_IbLb1EEEEDaS16_S17_EUlS16_E_NS1_11comp_targetILNS1_3genE2ELNS1_11target_archE906ELNS1_3gpuE6ELNS1_3repE0EEENS1_30default_config_static_selectorELNS0_4arch9wavefront6targetE0EEEvT1_,"axG",@progbits,_ZN7rocprim17ROCPRIM_400000_NS6detail17trampoline_kernelINS0_14default_configENS1_25partition_config_selectorILNS1_17partition_subalgoE6ExNS0_10empty_typeEbEEZZNS1_14partition_implILS5_6ELb0ES3_mN6thrust23THRUST_200600_302600_NS6detail15normal_iteratorINSA_10device_ptrIxEEEEPS6_SG_NS0_5tupleIJNSA_16discard_iteratorINSA_11use_defaultEEES6_EEENSH_IJSG_SG_EEES6_PlJNSB_9not_fun_tI7is_trueIxEEEEEE10hipError_tPvRmT3_T4_T5_T6_T7_T9_mT8_P12ihipStream_tbDpT10_ENKUlT_T0_E_clISt17integral_constantIbLb0EES1A_IbLb1EEEEDaS16_S17_EUlS16_E_NS1_11comp_targetILNS1_3genE2ELNS1_11target_archE906ELNS1_3gpuE6ELNS1_3repE0EEENS1_30default_config_static_selectorELNS0_4arch9wavefront6targetE0EEEvT1_,comdat
	.protected	_ZN7rocprim17ROCPRIM_400000_NS6detail17trampoline_kernelINS0_14default_configENS1_25partition_config_selectorILNS1_17partition_subalgoE6ExNS0_10empty_typeEbEEZZNS1_14partition_implILS5_6ELb0ES3_mN6thrust23THRUST_200600_302600_NS6detail15normal_iteratorINSA_10device_ptrIxEEEEPS6_SG_NS0_5tupleIJNSA_16discard_iteratorINSA_11use_defaultEEES6_EEENSH_IJSG_SG_EEES6_PlJNSB_9not_fun_tI7is_trueIxEEEEEE10hipError_tPvRmT3_T4_T5_T6_T7_T9_mT8_P12ihipStream_tbDpT10_ENKUlT_T0_E_clISt17integral_constantIbLb0EES1A_IbLb1EEEEDaS16_S17_EUlS16_E_NS1_11comp_targetILNS1_3genE2ELNS1_11target_archE906ELNS1_3gpuE6ELNS1_3repE0EEENS1_30default_config_static_selectorELNS0_4arch9wavefront6targetE0EEEvT1_ ; -- Begin function _ZN7rocprim17ROCPRIM_400000_NS6detail17trampoline_kernelINS0_14default_configENS1_25partition_config_selectorILNS1_17partition_subalgoE6ExNS0_10empty_typeEbEEZZNS1_14partition_implILS5_6ELb0ES3_mN6thrust23THRUST_200600_302600_NS6detail15normal_iteratorINSA_10device_ptrIxEEEEPS6_SG_NS0_5tupleIJNSA_16discard_iteratorINSA_11use_defaultEEES6_EEENSH_IJSG_SG_EEES6_PlJNSB_9not_fun_tI7is_trueIxEEEEEE10hipError_tPvRmT3_T4_T5_T6_T7_T9_mT8_P12ihipStream_tbDpT10_ENKUlT_T0_E_clISt17integral_constantIbLb0EES1A_IbLb1EEEEDaS16_S17_EUlS16_E_NS1_11comp_targetILNS1_3genE2ELNS1_11target_archE906ELNS1_3gpuE6ELNS1_3repE0EEENS1_30default_config_static_selectorELNS0_4arch9wavefront6targetE0EEEvT1_
	.globl	_ZN7rocprim17ROCPRIM_400000_NS6detail17trampoline_kernelINS0_14default_configENS1_25partition_config_selectorILNS1_17partition_subalgoE6ExNS0_10empty_typeEbEEZZNS1_14partition_implILS5_6ELb0ES3_mN6thrust23THRUST_200600_302600_NS6detail15normal_iteratorINSA_10device_ptrIxEEEEPS6_SG_NS0_5tupleIJNSA_16discard_iteratorINSA_11use_defaultEEES6_EEENSH_IJSG_SG_EEES6_PlJNSB_9not_fun_tI7is_trueIxEEEEEE10hipError_tPvRmT3_T4_T5_T6_T7_T9_mT8_P12ihipStream_tbDpT10_ENKUlT_T0_E_clISt17integral_constantIbLb0EES1A_IbLb1EEEEDaS16_S17_EUlS16_E_NS1_11comp_targetILNS1_3genE2ELNS1_11target_archE906ELNS1_3gpuE6ELNS1_3repE0EEENS1_30default_config_static_selectorELNS0_4arch9wavefront6targetE0EEEvT1_
	.p2align	8
	.type	_ZN7rocprim17ROCPRIM_400000_NS6detail17trampoline_kernelINS0_14default_configENS1_25partition_config_selectorILNS1_17partition_subalgoE6ExNS0_10empty_typeEbEEZZNS1_14partition_implILS5_6ELb0ES3_mN6thrust23THRUST_200600_302600_NS6detail15normal_iteratorINSA_10device_ptrIxEEEEPS6_SG_NS0_5tupleIJNSA_16discard_iteratorINSA_11use_defaultEEES6_EEENSH_IJSG_SG_EEES6_PlJNSB_9not_fun_tI7is_trueIxEEEEEE10hipError_tPvRmT3_T4_T5_T6_T7_T9_mT8_P12ihipStream_tbDpT10_ENKUlT_T0_E_clISt17integral_constantIbLb0EES1A_IbLb1EEEEDaS16_S17_EUlS16_E_NS1_11comp_targetILNS1_3genE2ELNS1_11target_archE906ELNS1_3gpuE6ELNS1_3repE0EEENS1_30default_config_static_selectorELNS0_4arch9wavefront6targetE0EEEvT1_,@function
_ZN7rocprim17ROCPRIM_400000_NS6detail17trampoline_kernelINS0_14default_configENS1_25partition_config_selectorILNS1_17partition_subalgoE6ExNS0_10empty_typeEbEEZZNS1_14partition_implILS5_6ELb0ES3_mN6thrust23THRUST_200600_302600_NS6detail15normal_iteratorINSA_10device_ptrIxEEEEPS6_SG_NS0_5tupleIJNSA_16discard_iteratorINSA_11use_defaultEEES6_EEENSH_IJSG_SG_EEES6_PlJNSB_9not_fun_tI7is_trueIxEEEEEE10hipError_tPvRmT3_T4_T5_T6_T7_T9_mT8_P12ihipStream_tbDpT10_ENKUlT_T0_E_clISt17integral_constantIbLb0EES1A_IbLb1EEEEDaS16_S17_EUlS16_E_NS1_11comp_targetILNS1_3genE2ELNS1_11target_archE906ELNS1_3gpuE6ELNS1_3repE0EEENS1_30default_config_static_selectorELNS0_4arch9wavefront6targetE0EEEvT1_: ; @_ZN7rocprim17ROCPRIM_400000_NS6detail17trampoline_kernelINS0_14default_configENS1_25partition_config_selectorILNS1_17partition_subalgoE6ExNS0_10empty_typeEbEEZZNS1_14partition_implILS5_6ELb0ES3_mN6thrust23THRUST_200600_302600_NS6detail15normal_iteratorINSA_10device_ptrIxEEEEPS6_SG_NS0_5tupleIJNSA_16discard_iteratorINSA_11use_defaultEEES6_EEENSH_IJSG_SG_EEES6_PlJNSB_9not_fun_tI7is_trueIxEEEEEE10hipError_tPvRmT3_T4_T5_T6_T7_T9_mT8_P12ihipStream_tbDpT10_ENKUlT_T0_E_clISt17integral_constantIbLb0EES1A_IbLb1EEEEDaS16_S17_EUlS16_E_NS1_11comp_targetILNS1_3genE2ELNS1_11target_archE906ELNS1_3gpuE6ELNS1_3repE0EEENS1_30default_config_static_selectorELNS0_4arch9wavefront6targetE0EEEvT1_
; %bb.0:
	.section	.rodata,"a",@progbits
	.p2align	6, 0x0
	.amdhsa_kernel _ZN7rocprim17ROCPRIM_400000_NS6detail17trampoline_kernelINS0_14default_configENS1_25partition_config_selectorILNS1_17partition_subalgoE6ExNS0_10empty_typeEbEEZZNS1_14partition_implILS5_6ELb0ES3_mN6thrust23THRUST_200600_302600_NS6detail15normal_iteratorINSA_10device_ptrIxEEEEPS6_SG_NS0_5tupleIJNSA_16discard_iteratorINSA_11use_defaultEEES6_EEENSH_IJSG_SG_EEES6_PlJNSB_9not_fun_tI7is_trueIxEEEEEE10hipError_tPvRmT3_T4_T5_T6_T7_T9_mT8_P12ihipStream_tbDpT10_ENKUlT_T0_E_clISt17integral_constantIbLb0EES1A_IbLb1EEEEDaS16_S17_EUlS16_E_NS1_11comp_targetILNS1_3genE2ELNS1_11target_archE906ELNS1_3gpuE6ELNS1_3repE0EEENS1_30default_config_static_selectorELNS0_4arch9wavefront6targetE0EEEvT1_
		.amdhsa_group_segment_fixed_size 0
		.amdhsa_private_segment_fixed_size 0
		.amdhsa_kernarg_size 136
		.amdhsa_user_sgpr_count 2
		.amdhsa_user_sgpr_dispatch_ptr 0
		.amdhsa_user_sgpr_queue_ptr 0
		.amdhsa_user_sgpr_kernarg_segment_ptr 1
		.amdhsa_user_sgpr_dispatch_id 0
		.amdhsa_user_sgpr_private_segment_size 0
		.amdhsa_wavefront_size32 1
		.amdhsa_uses_dynamic_stack 0
		.amdhsa_enable_private_segment 0
		.amdhsa_system_sgpr_workgroup_id_x 1
		.amdhsa_system_sgpr_workgroup_id_y 0
		.amdhsa_system_sgpr_workgroup_id_z 0
		.amdhsa_system_sgpr_workgroup_info 0
		.amdhsa_system_vgpr_workitem_id 0
		.amdhsa_next_free_vgpr 1
		.amdhsa_next_free_sgpr 1
		.amdhsa_reserve_vcc 0
		.amdhsa_float_round_mode_32 0
		.amdhsa_float_round_mode_16_64 0
		.amdhsa_float_denorm_mode_32 3
		.amdhsa_float_denorm_mode_16_64 3
		.amdhsa_fp16_overflow 0
		.amdhsa_workgroup_processor_mode 1
		.amdhsa_memory_ordered 1
		.amdhsa_forward_progress 1
		.amdhsa_inst_pref_size 0
		.amdhsa_round_robin_scheduling 0
		.amdhsa_exception_fp_ieee_invalid_op 0
		.amdhsa_exception_fp_denorm_src 0
		.amdhsa_exception_fp_ieee_div_zero 0
		.amdhsa_exception_fp_ieee_overflow 0
		.amdhsa_exception_fp_ieee_underflow 0
		.amdhsa_exception_fp_ieee_inexact 0
		.amdhsa_exception_int_div_zero 0
	.end_amdhsa_kernel
	.section	.text._ZN7rocprim17ROCPRIM_400000_NS6detail17trampoline_kernelINS0_14default_configENS1_25partition_config_selectorILNS1_17partition_subalgoE6ExNS0_10empty_typeEbEEZZNS1_14partition_implILS5_6ELb0ES3_mN6thrust23THRUST_200600_302600_NS6detail15normal_iteratorINSA_10device_ptrIxEEEEPS6_SG_NS0_5tupleIJNSA_16discard_iteratorINSA_11use_defaultEEES6_EEENSH_IJSG_SG_EEES6_PlJNSB_9not_fun_tI7is_trueIxEEEEEE10hipError_tPvRmT3_T4_T5_T6_T7_T9_mT8_P12ihipStream_tbDpT10_ENKUlT_T0_E_clISt17integral_constantIbLb0EES1A_IbLb1EEEEDaS16_S17_EUlS16_E_NS1_11comp_targetILNS1_3genE2ELNS1_11target_archE906ELNS1_3gpuE6ELNS1_3repE0EEENS1_30default_config_static_selectorELNS0_4arch9wavefront6targetE0EEEvT1_,"axG",@progbits,_ZN7rocprim17ROCPRIM_400000_NS6detail17trampoline_kernelINS0_14default_configENS1_25partition_config_selectorILNS1_17partition_subalgoE6ExNS0_10empty_typeEbEEZZNS1_14partition_implILS5_6ELb0ES3_mN6thrust23THRUST_200600_302600_NS6detail15normal_iteratorINSA_10device_ptrIxEEEEPS6_SG_NS0_5tupleIJNSA_16discard_iteratorINSA_11use_defaultEEES6_EEENSH_IJSG_SG_EEES6_PlJNSB_9not_fun_tI7is_trueIxEEEEEE10hipError_tPvRmT3_T4_T5_T6_T7_T9_mT8_P12ihipStream_tbDpT10_ENKUlT_T0_E_clISt17integral_constantIbLb0EES1A_IbLb1EEEEDaS16_S17_EUlS16_E_NS1_11comp_targetILNS1_3genE2ELNS1_11target_archE906ELNS1_3gpuE6ELNS1_3repE0EEENS1_30default_config_static_selectorELNS0_4arch9wavefront6targetE0EEEvT1_,comdat
.Lfunc_end2265:
	.size	_ZN7rocprim17ROCPRIM_400000_NS6detail17trampoline_kernelINS0_14default_configENS1_25partition_config_selectorILNS1_17partition_subalgoE6ExNS0_10empty_typeEbEEZZNS1_14partition_implILS5_6ELb0ES3_mN6thrust23THRUST_200600_302600_NS6detail15normal_iteratorINSA_10device_ptrIxEEEEPS6_SG_NS0_5tupleIJNSA_16discard_iteratorINSA_11use_defaultEEES6_EEENSH_IJSG_SG_EEES6_PlJNSB_9not_fun_tI7is_trueIxEEEEEE10hipError_tPvRmT3_T4_T5_T6_T7_T9_mT8_P12ihipStream_tbDpT10_ENKUlT_T0_E_clISt17integral_constantIbLb0EES1A_IbLb1EEEEDaS16_S17_EUlS16_E_NS1_11comp_targetILNS1_3genE2ELNS1_11target_archE906ELNS1_3gpuE6ELNS1_3repE0EEENS1_30default_config_static_selectorELNS0_4arch9wavefront6targetE0EEEvT1_, .Lfunc_end2265-_ZN7rocprim17ROCPRIM_400000_NS6detail17trampoline_kernelINS0_14default_configENS1_25partition_config_selectorILNS1_17partition_subalgoE6ExNS0_10empty_typeEbEEZZNS1_14partition_implILS5_6ELb0ES3_mN6thrust23THRUST_200600_302600_NS6detail15normal_iteratorINSA_10device_ptrIxEEEEPS6_SG_NS0_5tupleIJNSA_16discard_iteratorINSA_11use_defaultEEES6_EEENSH_IJSG_SG_EEES6_PlJNSB_9not_fun_tI7is_trueIxEEEEEE10hipError_tPvRmT3_T4_T5_T6_T7_T9_mT8_P12ihipStream_tbDpT10_ENKUlT_T0_E_clISt17integral_constantIbLb0EES1A_IbLb1EEEEDaS16_S17_EUlS16_E_NS1_11comp_targetILNS1_3genE2ELNS1_11target_archE906ELNS1_3gpuE6ELNS1_3repE0EEENS1_30default_config_static_selectorELNS0_4arch9wavefront6targetE0EEEvT1_
                                        ; -- End function
	.set _ZN7rocprim17ROCPRIM_400000_NS6detail17trampoline_kernelINS0_14default_configENS1_25partition_config_selectorILNS1_17partition_subalgoE6ExNS0_10empty_typeEbEEZZNS1_14partition_implILS5_6ELb0ES3_mN6thrust23THRUST_200600_302600_NS6detail15normal_iteratorINSA_10device_ptrIxEEEEPS6_SG_NS0_5tupleIJNSA_16discard_iteratorINSA_11use_defaultEEES6_EEENSH_IJSG_SG_EEES6_PlJNSB_9not_fun_tI7is_trueIxEEEEEE10hipError_tPvRmT3_T4_T5_T6_T7_T9_mT8_P12ihipStream_tbDpT10_ENKUlT_T0_E_clISt17integral_constantIbLb0EES1A_IbLb1EEEEDaS16_S17_EUlS16_E_NS1_11comp_targetILNS1_3genE2ELNS1_11target_archE906ELNS1_3gpuE6ELNS1_3repE0EEENS1_30default_config_static_selectorELNS0_4arch9wavefront6targetE0EEEvT1_.num_vgpr, 0
	.set _ZN7rocprim17ROCPRIM_400000_NS6detail17trampoline_kernelINS0_14default_configENS1_25partition_config_selectorILNS1_17partition_subalgoE6ExNS0_10empty_typeEbEEZZNS1_14partition_implILS5_6ELb0ES3_mN6thrust23THRUST_200600_302600_NS6detail15normal_iteratorINSA_10device_ptrIxEEEEPS6_SG_NS0_5tupleIJNSA_16discard_iteratorINSA_11use_defaultEEES6_EEENSH_IJSG_SG_EEES6_PlJNSB_9not_fun_tI7is_trueIxEEEEEE10hipError_tPvRmT3_T4_T5_T6_T7_T9_mT8_P12ihipStream_tbDpT10_ENKUlT_T0_E_clISt17integral_constantIbLb0EES1A_IbLb1EEEEDaS16_S17_EUlS16_E_NS1_11comp_targetILNS1_3genE2ELNS1_11target_archE906ELNS1_3gpuE6ELNS1_3repE0EEENS1_30default_config_static_selectorELNS0_4arch9wavefront6targetE0EEEvT1_.num_agpr, 0
	.set _ZN7rocprim17ROCPRIM_400000_NS6detail17trampoline_kernelINS0_14default_configENS1_25partition_config_selectorILNS1_17partition_subalgoE6ExNS0_10empty_typeEbEEZZNS1_14partition_implILS5_6ELb0ES3_mN6thrust23THRUST_200600_302600_NS6detail15normal_iteratorINSA_10device_ptrIxEEEEPS6_SG_NS0_5tupleIJNSA_16discard_iteratorINSA_11use_defaultEEES6_EEENSH_IJSG_SG_EEES6_PlJNSB_9not_fun_tI7is_trueIxEEEEEE10hipError_tPvRmT3_T4_T5_T6_T7_T9_mT8_P12ihipStream_tbDpT10_ENKUlT_T0_E_clISt17integral_constantIbLb0EES1A_IbLb1EEEEDaS16_S17_EUlS16_E_NS1_11comp_targetILNS1_3genE2ELNS1_11target_archE906ELNS1_3gpuE6ELNS1_3repE0EEENS1_30default_config_static_selectorELNS0_4arch9wavefront6targetE0EEEvT1_.numbered_sgpr, 0
	.set _ZN7rocprim17ROCPRIM_400000_NS6detail17trampoline_kernelINS0_14default_configENS1_25partition_config_selectorILNS1_17partition_subalgoE6ExNS0_10empty_typeEbEEZZNS1_14partition_implILS5_6ELb0ES3_mN6thrust23THRUST_200600_302600_NS6detail15normal_iteratorINSA_10device_ptrIxEEEEPS6_SG_NS0_5tupleIJNSA_16discard_iteratorINSA_11use_defaultEEES6_EEENSH_IJSG_SG_EEES6_PlJNSB_9not_fun_tI7is_trueIxEEEEEE10hipError_tPvRmT3_T4_T5_T6_T7_T9_mT8_P12ihipStream_tbDpT10_ENKUlT_T0_E_clISt17integral_constantIbLb0EES1A_IbLb1EEEEDaS16_S17_EUlS16_E_NS1_11comp_targetILNS1_3genE2ELNS1_11target_archE906ELNS1_3gpuE6ELNS1_3repE0EEENS1_30default_config_static_selectorELNS0_4arch9wavefront6targetE0EEEvT1_.num_named_barrier, 0
	.set _ZN7rocprim17ROCPRIM_400000_NS6detail17trampoline_kernelINS0_14default_configENS1_25partition_config_selectorILNS1_17partition_subalgoE6ExNS0_10empty_typeEbEEZZNS1_14partition_implILS5_6ELb0ES3_mN6thrust23THRUST_200600_302600_NS6detail15normal_iteratorINSA_10device_ptrIxEEEEPS6_SG_NS0_5tupleIJNSA_16discard_iteratorINSA_11use_defaultEEES6_EEENSH_IJSG_SG_EEES6_PlJNSB_9not_fun_tI7is_trueIxEEEEEE10hipError_tPvRmT3_T4_T5_T6_T7_T9_mT8_P12ihipStream_tbDpT10_ENKUlT_T0_E_clISt17integral_constantIbLb0EES1A_IbLb1EEEEDaS16_S17_EUlS16_E_NS1_11comp_targetILNS1_3genE2ELNS1_11target_archE906ELNS1_3gpuE6ELNS1_3repE0EEENS1_30default_config_static_selectorELNS0_4arch9wavefront6targetE0EEEvT1_.private_seg_size, 0
	.set _ZN7rocprim17ROCPRIM_400000_NS6detail17trampoline_kernelINS0_14default_configENS1_25partition_config_selectorILNS1_17partition_subalgoE6ExNS0_10empty_typeEbEEZZNS1_14partition_implILS5_6ELb0ES3_mN6thrust23THRUST_200600_302600_NS6detail15normal_iteratorINSA_10device_ptrIxEEEEPS6_SG_NS0_5tupleIJNSA_16discard_iteratorINSA_11use_defaultEEES6_EEENSH_IJSG_SG_EEES6_PlJNSB_9not_fun_tI7is_trueIxEEEEEE10hipError_tPvRmT3_T4_T5_T6_T7_T9_mT8_P12ihipStream_tbDpT10_ENKUlT_T0_E_clISt17integral_constantIbLb0EES1A_IbLb1EEEEDaS16_S17_EUlS16_E_NS1_11comp_targetILNS1_3genE2ELNS1_11target_archE906ELNS1_3gpuE6ELNS1_3repE0EEENS1_30default_config_static_selectorELNS0_4arch9wavefront6targetE0EEEvT1_.uses_vcc, 0
	.set _ZN7rocprim17ROCPRIM_400000_NS6detail17trampoline_kernelINS0_14default_configENS1_25partition_config_selectorILNS1_17partition_subalgoE6ExNS0_10empty_typeEbEEZZNS1_14partition_implILS5_6ELb0ES3_mN6thrust23THRUST_200600_302600_NS6detail15normal_iteratorINSA_10device_ptrIxEEEEPS6_SG_NS0_5tupleIJNSA_16discard_iteratorINSA_11use_defaultEEES6_EEENSH_IJSG_SG_EEES6_PlJNSB_9not_fun_tI7is_trueIxEEEEEE10hipError_tPvRmT3_T4_T5_T6_T7_T9_mT8_P12ihipStream_tbDpT10_ENKUlT_T0_E_clISt17integral_constantIbLb0EES1A_IbLb1EEEEDaS16_S17_EUlS16_E_NS1_11comp_targetILNS1_3genE2ELNS1_11target_archE906ELNS1_3gpuE6ELNS1_3repE0EEENS1_30default_config_static_selectorELNS0_4arch9wavefront6targetE0EEEvT1_.uses_flat_scratch, 0
	.set _ZN7rocprim17ROCPRIM_400000_NS6detail17trampoline_kernelINS0_14default_configENS1_25partition_config_selectorILNS1_17partition_subalgoE6ExNS0_10empty_typeEbEEZZNS1_14partition_implILS5_6ELb0ES3_mN6thrust23THRUST_200600_302600_NS6detail15normal_iteratorINSA_10device_ptrIxEEEEPS6_SG_NS0_5tupleIJNSA_16discard_iteratorINSA_11use_defaultEEES6_EEENSH_IJSG_SG_EEES6_PlJNSB_9not_fun_tI7is_trueIxEEEEEE10hipError_tPvRmT3_T4_T5_T6_T7_T9_mT8_P12ihipStream_tbDpT10_ENKUlT_T0_E_clISt17integral_constantIbLb0EES1A_IbLb1EEEEDaS16_S17_EUlS16_E_NS1_11comp_targetILNS1_3genE2ELNS1_11target_archE906ELNS1_3gpuE6ELNS1_3repE0EEENS1_30default_config_static_selectorELNS0_4arch9wavefront6targetE0EEEvT1_.has_dyn_sized_stack, 0
	.set _ZN7rocprim17ROCPRIM_400000_NS6detail17trampoline_kernelINS0_14default_configENS1_25partition_config_selectorILNS1_17partition_subalgoE6ExNS0_10empty_typeEbEEZZNS1_14partition_implILS5_6ELb0ES3_mN6thrust23THRUST_200600_302600_NS6detail15normal_iteratorINSA_10device_ptrIxEEEEPS6_SG_NS0_5tupleIJNSA_16discard_iteratorINSA_11use_defaultEEES6_EEENSH_IJSG_SG_EEES6_PlJNSB_9not_fun_tI7is_trueIxEEEEEE10hipError_tPvRmT3_T4_T5_T6_T7_T9_mT8_P12ihipStream_tbDpT10_ENKUlT_T0_E_clISt17integral_constantIbLb0EES1A_IbLb1EEEEDaS16_S17_EUlS16_E_NS1_11comp_targetILNS1_3genE2ELNS1_11target_archE906ELNS1_3gpuE6ELNS1_3repE0EEENS1_30default_config_static_selectorELNS0_4arch9wavefront6targetE0EEEvT1_.has_recursion, 0
	.set _ZN7rocprim17ROCPRIM_400000_NS6detail17trampoline_kernelINS0_14default_configENS1_25partition_config_selectorILNS1_17partition_subalgoE6ExNS0_10empty_typeEbEEZZNS1_14partition_implILS5_6ELb0ES3_mN6thrust23THRUST_200600_302600_NS6detail15normal_iteratorINSA_10device_ptrIxEEEEPS6_SG_NS0_5tupleIJNSA_16discard_iteratorINSA_11use_defaultEEES6_EEENSH_IJSG_SG_EEES6_PlJNSB_9not_fun_tI7is_trueIxEEEEEE10hipError_tPvRmT3_T4_T5_T6_T7_T9_mT8_P12ihipStream_tbDpT10_ENKUlT_T0_E_clISt17integral_constantIbLb0EES1A_IbLb1EEEEDaS16_S17_EUlS16_E_NS1_11comp_targetILNS1_3genE2ELNS1_11target_archE906ELNS1_3gpuE6ELNS1_3repE0EEENS1_30default_config_static_selectorELNS0_4arch9wavefront6targetE0EEEvT1_.has_indirect_call, 0
	.section	.AMDGPU.csdata,"",@progbits
; Kernel info:
; codeLenInByte = 0
; TotalNumSgprs: 0
; NumVgprs: 0
; ScratchSize: 0
; MemoryBound: 0
; FloatMode: 240
; IeeeMode: 1
; LDSByteSize: 0 bytes/workgroup (compile time only)
; SGPRBlocks: 0
; VGPRBlocks: 0
; NumSGPRsForWavesPerEU: 1
; NumVGPRsForWavesPerEU: 1
; Occupancy: 16
; WaveLimiterHint : 0
; COMPUTE_PGM_RSRC2:SCRATCH_EN: 0
; COMPUTE_PGM_RSRC2:USER_SGPR: 2
; COMPUTE_PGM_RSRC2:TRAP_HANDLER: 0
; COMPUTE_PGM_RSRC2:TGID_X_EN: 1
; COMPUTE_PGM_RSRC2:TGID_Y_EN: 0
; COMPUTE_PGM_RSRC2:TGID_Z_EN: 0
; COMPUTE_PGM_RSRC2:TIDIG_COMP_CNT: 0
	.section	.text._ZN7rocprim17ROCPRIM_400000_NS6detail17trampoline_kernelINS0_14default_configENS1_25partition_config_selectorILNS1_17partition_subalgoE6ExNS0_10empty_typeEbEEZZNS1_14partition_implILS5_6ELb0ES3_mN6thrust23THRUST_200600_302600_NS6detail15normal_iteratorINSA_10device_ptrIxEEEEPS6_SG_NS0_5tupleIJNSA_16discard_iteratorINSA_11use_defaultEEES6_EEENSH_IJSG_SG_EEES6_PlJNSB_9not_fun_tI7is_trueIxEEEEEE10hipError_tPvRmT3_T4_T5_T6_T7_T9_mT8_P12ihipStream_tbDpT10_ENKUlT_T0_E_clISt17integral_constantIbLb0EES1A_IbLb1EEEEDaS16_S17_EUlS16_E_NS1_11comp_targetILNS1_3genE10ELNS1_11target_archE1200ELNS1_3gpuE4ELNS1_3repE0EEENS1_30default_config_static_selectorELNS0_4arch9wavefront6targetE0EEEvT1_,"axG",@progbits,_ZN7rocprim17ROCPRIM_400000_NS6detail17trampoline_kernelINS0_14default_configENS1_25partition_config_selectorILNS1_17partition_subalgoE6ExNS0_10empty_typeEbEEZZNS1_14partition_implILS5_6ELb0ES3_mN6thrust23THRUST_200600_302600_NS6detail15normal_iteratorINSA_10device_ptrIxEEEEPS6_SG_NS0_5tupleIJNSA_16discard_iteratorINSA_11use_defaultEEES6_EEENSH_IJSG_SG_EEES6_PlJNSB_9not_fun_tI7is_trueIxEEEEEE10hipError_tPvRmT3_T4_T5_T6_T7_T9_mT8_P12ihipStream_tbDpT10_ENKUlT_T0_E_clISt17integral_constantIbLb0EES1A_IbLb1EEEEDaS16_S17_EUlS16_E_NS1_11comp_targetILNS1_3genE10ELNS1_11target_archE1200ELNS1_3gpuE4ELNS1_3repE0EEENS1_30default_config_static_selectorELNS0_4arch9wavefront6targetE0EEEvT1_,comdat
	.protected	_ZN7rocprim17ROCPRIM_400000_NS6detail17trampoline_kernelINS0_14default_configENS1_25partition_config_selectorILNS1_17partition_subalgoE6ExNS0_10empty_typeEbEEZZNS1_14partition_implILS5_6ELb0ES3_mN6thrust23THRUST_200600_302600_NS6detail15normal_iteratorINSA_10device_ptrIxEEEEPS6_SG_NS0_5tupleIJNSA_16discard_iteratorINSA_11use_defaultEEES6_EEENSH_IJSG_SG_EEES6_PlJNSB_9not_fun_tI7is_trueIxEEEEEE10hipError_tPvRmT3_T4_T5_T6_T7_T9_mT8_P12ihipStream_tbDpT10_ENKUlT_T0_E_clISt17integral_constantIbLb0EES1A_IbLb1EEEEDaS16_S17_EUlS16_E_NS1_11comp_targetILNS1_3genE10ELNS1_11target_archE1200ELNS1_3gpuE4ELNS1_3repE0EEENS1_30default_config_static_selectorELNS0_4arch9wavefront6targetE0EEEvT1_ ; -- Begin function _ZN7rocprim17ROCPRIM_400000_NS6detail17trampoline_kernelINS0_14default_configENS1_25partition_config_selectorILNS1_17partition_subalgoE6ExNS0_10empty_typeEbEEZZNS1_14partition_implILS5_6ELb0ES3_mN6thrust23THRUST_200600_302600_NS6detail15normal_iteratorINSA_10device_ptrIxEEEEPS6_SG_NS0_5tupleIJNSA_16discard_iteratorINSA_11use_defaultEEES6_EEENSH_IJSG_SG_EEES6_PlJNSB_9not_fun_tI7is_trueIxEEEEEE10hipError_tPvRmT3_T4_T5_T6_T7_T9_mT8_P12ihipStream_tbDpT10_ENKUlT_T0_E_clISt17integral_constantIbLb0EES1A_IbLb1EEEEDaS16_S17_EUlS16_E_NS1_11comp_targetILNS1_3genE10ELNS1_11target_archE1200ELNS1_3gpuE4ELNS1_3repE0EEENS1_30default_config_static_selectorELNS0_4arch9wavefront6targetE0EEEvT1_
	.globl	_ZN7rocprim17ROCPRIM_400000_NS6detail17trampoline_kernelINS0_14default_configENS1_25partition_config_selectorILNS1_17partition_subalgoE6ExNS0_10empty_typeEbEEZZNS1_14partition_implILS5_6ELb0ES3_mN6thrust23THRUST_200600_302600_NS6detail15normal_iteratorINSA_10device_ptrIxEEEEPS6_SG_NS0_5tupleIJNSA_16discard_iteratorINSA_11use_defaultEEES6_EEENSH_IJSG_SG_EEES6_PlJNSB_9not_fun_tI7is_trueIxEEEEEE10hipError_tPvRmT3_T4_T5_T6_T7_T9_mT8_P12ihipStream_tbDpT10_ENKUlT_T0_E_clISt17integral_constantIbLb0EES1A_IbLb1EEEEDaS16_S17_EUlS16_E_NS1_11comp_targetILNS1_3genE10ELNS1_11target_archE1200ELNS1_3gpuE4ELNS1_3repE0EEENS1_30default_config_static_selectorELNS0_4arch9wavefront6targetE0EEEvT1_
	.p2align	8
	.type	_ZN7rocprim17ROCPRIM_400000_NS6detail17trampoline_kernelINS0_14default_configENS1_25partition_config_selectorILNS1_17partition_subalgoE6ExNS0_10empty_typeEbEEZZNS1_14partition_implILS5_6ELb0ES3_mN6thrust23THRUST_200600_302600_NS6detail15normal_iteratorINSA_10device_ptrIxEEEEPS6_SG_NS0_5tupleIJNSA_16discard_iteratorINSA_11use_defaultEEES6_EEENSH_IJSG_SG_EEES6_PlJNSB_9not_fun_tI7is_trueIxEEEEEE10hipError_tPvRmT3_T4_T5_T6_T7_T9_mT8_P12ihipStream_tbDpT10_ENKUlT_T0_E_clISt17integral_constantIbLb0EES1A_IbLb1EEEEDaS16_S17_EUlS16_E_NS1_11comp_targetILNS1_3genE10ELNS1_11target_archE1200ELNS1_3gpuE4ELNS1_3repE0EEENS1_30default_config_static_selectorELNS0_4arch9wavefront6targetE0EEEvT1_,@function
_ZN7rocprim17ROCPRIM_400000_NS6detail17trampoline_kernelINS0_14default_configENS1_25partition_config_selectorILNS1_17partition_subalgoE6ExNS0_10empty_typeEbEEZZNS1_14partition_implILS5_6ELb0ES3_mN6thrust23THRUST_200600_302600_NS6detail15normal_iteratorINSA_10device_ptrIxEEEEPS6_SG_NS0_5tupleIJNSA_16discard_iteratorINSA_11use_defaultEEES6_EEENSH_IJSG_SG_EEES6_PlJNSB_9not_fun_tI7is_trueIxEEEEEE10hipError_tPvRmT3_T4_T5_T6_T7_T9_mT8_P12ihipStream_tbDpT10_ENKUlT_T0_E_clISt17integral_constantIbLb0EES1A_IbLb1EEEEDaS16_S17_EUlS16_E_NS1_11comp_targetILNS1_3genE10ELNS1_11target_archE1200ELNS1_3gpuE4ELNS1_3repE0EEENS1_30default_config_static_selectorELNS0_4arch9wavefront6targetE0EEEvT1_: ; @_ZN7rocprim17ROCPRIM_400000_NS6detail17trampoline_kernelINS0_14default_configENS1_25partition_config_selectorILNS1_17partition_subalgoE6ExNS0_10empty_typeEbEEZZNS1_14partition_implILS5_6ELb0ES3_mN6thrust23THRUST_200600_302600_NS6detail15normal_iteratorINSA_10device_ptrIxEEEEPS6_SG_NS0_5tupleIJNSA_16discard_iteratorINSA_11use_defaultEEES6_EEENSH_IJSG_SG_EEES6_PlJNSB_9not_fun_tI7is_trueIxEEEEEE10hipError_tPvRmT3_T4_T5_T6_T7_T9_mT8_P12ihipStream_tbDpT10_ENKUlT_T0_E_clISt17integral_constantIbLb0EES1A_IbLb1EEEEDaS16_S17_EUlS16_E_NS1_11comp_targetILNS1_3genE10ELNS1_11target_archE1200ELNS1_3gpuE4ELNS1_3repE0EEENS1_30default_config_static_selectorELNS0_4arch9wavefront6targetE0EEEvT1_
; %bb.0:
	s_clause 0x2
	s_load_b64 s[14:15], s[0:1], 0x58
	s_load_b128 s[8:11], s[0:1], 0x48
	s_load_b64 s[12:13], s[0:1], 0x68
	v_cmp_eq_u32_e64 s2, 0, v0
	s_and_saveexec_b32 s3, s2
	s_cbranch_execz .LBB2266_4
; %bb.1:
	s_mov_b32 s5, exec_lo
	s_mov_b32 s4, exec_lo
	v_mbcnt_lo_u32_b32 v1, s5, 0
                                        ; implicit-def: $vgpr2
	s_delay_alu instid0(VALU_DEP_1)
	v_cmpx_eq_u32_e32 0, v1
	s_cbranch_execz .LBB2266_3
; %bb.2:
	s_load_b64 s[6:7], s[0:1], 0x78
	s_bcnt1_i32_b32 s5, s5
	s_wait_alu 0xfffe
	v_dual_mov_b32 v2, 0 :: v_dual_mov_b32 v3, s5
	s_wait_kmcnt 0x0
	global_atomic_add_u32 v2, v2, v3, s[6:7] th:TH_ATOMIC_RETURN scope:SCOPE_DEV
.LBB2266_3:
	s_or_b32 exec_lo, exec_lo, s4
	s_wait_loadcnt 0x0
	v_readfirstlane_b32 s4, v2
	s_wait_alu 0xf1ff
	s_delay_alu instid0(VALU_DEP_1)
	v_dual_mov_b32 v2, 0 :: v_dual_add_nc_u32 v1, s4, v1
	ds_store_b32 v2, v1
.LBB2266_4:
	s_or_b32 exec_lo, exec_lo, s3
	v_mov_b32_e32 v2, 0
	s_clause 0x1
	s_load_b128 s[4:7], s[0:1], 0x8
	s_load_b32 s0, s[0:1], 0x70
	s_wait_dscnt 0x0
	s_barrier_signal -1
	s_barrier_wait -1
	global_inv scope:SCOPE_SE
	ds_load_b32 v3, v2
	s_wait_loadcnt_dscnt 0x0
	s_barrier_signal -1
	s_barrier_wait -1
	global_inv scope:SCOPE_SE
	s_mov_b32 s1, 0
	v_lshrrev_b32_e32 v9, 2, v0
	v_or_b32_e32 v12, 0x100, v0
	v_or_b32_e32 v11, 0x200, v0
	v_or_b32_e32 v10, 0x300, v0
	s_wait_kmcnt 0x0
	s_lshl_b64 s[16:17], s[6:7], 3
	s_add_co_i32 s3, s0, -1
	s_lshl_b32 s0, s0, 10
	s_add_nc_u64 s[4:5], s[4:5], s[16:17]
	s_add_nc_u64 s[18:19], s[6:7], s[0:1]
	v_lshlrev_b32_e32 v1, 10, v3
	global_load_b64 v[17:18], v2, s[10:11]
	v_readfirstlane_b32 s10, v3
	v_cmp_gt_u64_e64 s1, s[14:15], s[18:19]
	s_lshl_b32 s11, s3, 10
	v_lshlrev_b64_e32 v[1:2], 3, v[1:2]
	v_cmp_ne_u32_e32 vcc_lo, s3, v3
	s_add_co_i32 s0, s6, s11
	s_cmp_eq_u32 s10, s3
	s_mov_b32 s3, -1
	s_cselect_b32 s6, -1, 0
	s_or_b32 s1, s1, vcc_lo
	s_wait_alu 0xfffe
	v_add_co_u32 v13, vcc_lo, s4, v1
	s_delay_alu instid0(VALU_DEP_1)
	v_add_co_ci_u32_e64 v14, null, s5, v2, vcc_lo
	s_and_b32 vcc_lo, exec_lo, s1
	s_wait_alu 0xfffe
	s_cbranch_vccz .LBB2266_6
; %bb.5:
	v_lshlrev_b32_e32 v15, 3, v0
	v_lshrrev_b32_e32 v16, 2, v12
	v_lshrrev_b32_e32 v19, 2, v11
	;; [unrolled: 1-line block ×3, first 2 shown]
	v_and_b32_e32 v21, 56, v9
	v_add_co_u32 v1, vcc_lo, v13, v15
	s_wait_alu 0xfffd
	v_add_co_ci_u32_e64 v2, null, 0, v14, vcc_lo
	v_and_b32_e32 v16, 0x78, v16
	v_and_b32_e32 v19, 0xb8, v19
	;; [unrolled: 1-line block ×3, first 2 shown]
	s_clause 0x3
	flat_load_b64 v[3:4], v[1:2]
	flat_load_b64 v[5:6], v[1:2] offset:2048
	flat_load_b64 v[7:8], v[1:2] offset:4096
	;; [unrolled: 1-line block ×3, first 2 shown]
	v_add_nc_u32_e32 v21, v21, v15
	v_add_nc_u32_e32 v16, v16, v15
	;; [unrolled: 1-line block ×4, first 2 shown]
	s_mov_b32 s3, 0
	s_wait_loadcnt_dscnt 0x303
	ds_store_b64 v21, v[3:4]
	s_wait_loadcnt_dscnt 0x203
	ds_store_b64 v16, v[5:6] offset:2048
	s_wait_loadcnt_dscnt 0x103
	ds_store_b64 v19, v[7:8] offset:4096
	;; [unrolled: 2-line block ×3, first 2 shown]
	s_wait_dscnt 0x0
	s_barrier_signal -1
	s_barrier_wait -1
.LBB2266_6:
	s_wait_alu 0xfffe
	s_and_not1_b32 vcc_lo, exec_lo, s3
	s_sub_co_i32 s11, s14, s0
	s_wait_alu 0xfffe
	s_cbranch_vccnz .LBB2266_13
; %bb.7:
	v_mov_b32_e32 v1, 0
	s_mov_b32 s0, exec_lo
	s_delay_alu instid0(VALU_DEP_1)
	v_dual_mov_b32 v2, v1 :: v_dual_mov_b32 v3, v1
	v_dual_mov_b32 v4, v1 :: v_dual_mov_b32 v5, v1
	;; [unrolled: 1-line block ×3, first 2 shown]
	v_mov_b32_e32 v8, v1
	v_cmpx_gt_u32_e64 s11, v0
	s_cbranch_execnz .LBB2266_118
; %bb.8:
	s_or_b32 exec_lo, exec_lo, s0
	s_delay_alu instid0(SALU_CYCLE_1)
	s_mov_b32 s0, exec_lo
	v_cmpx_gt_u32_e64 s11, v12
	s_cbranch_execnz .LBB2266_119
.LBB2266_9:
	s_or_b32 exec_lo, exec_lo, s0
	s_delay_alu instid0(SALU_CYCLE_1)
	s_mov_b32 s0, exec_lo
	v_cmpx_gt_u32_e64 s11, v11
	s_cbranch_execnz .LBB2266_120
.LBB2266_10:
	s_or_b32 exec_lo, exec_lo, s0
	s_delay_alu instid0(SALU_CYCLE_1)
	s_mov_b32 s0, exec_lo
	v_cmpx_gt_u32_e64 s11, v10
	s_cbranch_execz .LBB2266_12
.LBB2266_11:
	v_lshlrev_b32_e32 v7, 3, v0
	s_delay_alu instid0(VALU_DEP_1)
	v_add_co_u32 v7, vcc_lo, v13, v7
	s_wait_alu 0xfffd
	v_add_co_ci_u32_e64 v8, null, 0, v14, vcc_lo
	flat_load_b64 v[7:8], v[7:8] offset:6144
.LBB2266_12:
	s_or_b32 exec_lo, exec_lo, s0
	v_lshrrev_b32_e32 v12, 2, v12
	v_lshrrev_b32_e32 v11, 2, v11
	;; [unrolled: 1-line block ×3, first 2 shown]
	v_and_b32_e32 v9, 56, v9
	v_lshlrev_b32_e32 v13, 3, v0
	v_and_b32_e32 v12, 0x78, v12
	v_and_b32_e32 v11, 0xf8, v11
	;; [unrolled: 1-line block ×3, first 2 shown]
	s_delay_alu instid0(VALU_DEP_4) | instskip(NEXT) | instid1(VALU_DEP_4)
	v_add_nc_u32_e32 v9, v9, v13
	v_add_nc_u32_e32 v12, v12, v13
	s_delay_alu instid0(VALU_DEP_4) | instskip(NEXT) | instid1(VALU_DEP_4)
	v_add_nc_u32_e32 v11, v11, v13
	v_add_nc_u32_e32 v10, v10, v13
	ds_store_b64 v9, v[1:2]
	s_wait_loadcnt_dscnt 0x1
	ds_store_b64 v12, v[3:4] offset:2048
	ds_store_b64 v11, v[5:6] offset:4096
	ds_store_b64 v10, v[7:8] offset:6144
	s_wait_dscnt 0x0
	s_barrier_signal -1
	s_barrier_wait -1
.LBB2266_13:
	v_and_b32_e32 v1, 0xf8, v0
	s_wait_loadcnt 0x0
	global_inv scope:SCOPE_SE
	s_and_not1_b32 vcc_lo, exec_lo, s1
	v_lshl_add_u32 v5, v0, 5, v1
	ds_load_2addr_b64 v[1:4], v5 offset1:3
	ds_load_2addr_b64 v[5:8], v5 offset0:1 offset1:2
	s_wait_loadcnt_dscnt 0x0
	s_barrier_signal -1
	s_barrier_wait -1
	global_inv scope:SCOPE_SE
	v_cmp_eq_u64_e64 s0, 0, v[1:2]
	v_cmp_eq_u64_e64 s7, 0, v[3:4]
	s_wait_alu 0xfffe
	s_cbranch_vccnz .LBB2266_15
; %bb.14:
	v_cmp_eq_u64_e32 vcc_lo, 0, v[7:8]
	v_cndmask_b32_e64 v29, 0, 1, s0
	s_wait_alu 0xfffd
	v_cndmask_b32_e64 v27, 0, 1, vcc_lo
	v_cmp_eq_u64_e32 vcc_lo, 0, v[5:6]
	s_delay_alu instid0(VALU_DEP_2) | instskip(SKIP_2) | instid1(VALU_DEP_1)
	v_lshlrev_b16 v10, 8, v27
	s_wait_alu 0xfffd
	v_cndmask_b32_e64 v9, 0, 1, vcc_lo
	v_or_b32_e32 v28, v9, v10
	s_cbranch_execz .LBB2266_16
	s_branch .LBB2266_17
.LBB2266_15:
                                        ; implicit-def: $sgpr7
                                        ; implicit-def: $vgpr29
                                        ; implicit-def: $vgpr28
                                        ; implicit-def: $vgpr27
.LBB2266_16:
	v_lshlrev_b32_e32 v9, 2, v0
	v_cmp_eq_u64_e64 s0, 0, v[7:8]
	v_cmp_eq_u64_e64 s3, 0, v[5:6]
	v_cmp_eq_u64_e32 vcc_lo, 0, v[1:2]
	v_cmp_eq_u64_e64 s4, 0, v[3:4]
	v_or_b32_e32 v10, 2, v9
	v_or_b32_e32 v11, 1, v9
	s_delay_alu instid0(VALU_DEP_2) | instskip(NEXT) | instid1(VALU_DEP_2)
	v_cmp_gt_u32_e64 s1, s11, v10
	v_cmp_gt_u32_e64 s5, s11, v11
	v_or_b32_e32 v10, 3, v9
	s_and_b32 s0, s1, s0
	s_and_b32 s3, s5, s3
	s_wait_alu 0xfffe
	v_cndmask_b32_e64 v27, 0, 1, s0
	v_cmp_gt_u32_e64 s0, s11, v9
	v_cmp_gt_u32_e64 s1, s11, v10
	v_cndmask_b32_e64 v9, 0, 1, s3
	s_delay_alu instid0(VALU_DEP_4)
	v_lshlrev_b16 v10, 8, v27
	s_and_b32 s0, s0, vcc_lo
	s_wait_alu 0xfffe
	v_cndmask_b32_e64 v29, 0, 1, s0
	s_and_b32 s0, s1, s4
	v_or_b32_e32 v28, v9, v10
	s_and_not1_b32 s1, s7, exec_lo
	s_wait_alu 0xfffe
	s_and_b32 s0, s0, exec_lo
	s_wait_alu 0xfffe
	s_or_b32 s7, s1, s0
.LBB2266_17:
	v_and_b32_e32 v31, 0xff, v29
	s_delay_alu instid0(VALU_DEP_2)
	v_dual_mov_b32 v11, 0 :: v_dual_and_b32 v30, 0xff, v28
	v_cndmask_b32_e64 v9, 0, 1, s7
	v_mbcnt_lo_u32_b32 v33, -1, 0
	v_and_b32_e32 v32, 0xff, v27
	s_cmp_lg_u32 s10, 0
	s_mov_b32 s1, -1
	v_add3_u32 v9, v31, v9, v30
	v_and_b32_e32 v34, 15, v33
	s_delay_alu instid0(VALU_DEP_2) | instskip(SKIP_2) | instid1(VALU_DEP_3)
	v_add_co_u32 v19, s0, v9, v32
	s_wait_alu 0xf1ff
	v_add_co_ci_u32_e64 v20, null, 0, 0, s0
	v_cmp_ne_u32_e64 s0, 0, v34
	s_cbranch_scc0 .LBB2266_74
; %bb.18:
	v_dual_mov_b32 v12, v19 :: v_dual_mov_b32 v9, v19
	v_mov_b32_dpp v14, v19 row_shr:1 row_mask:0xf bank_mask:0xf
	v_mov_b32_dpp v13, v11 row_shr:1 row_mask:0xf bank_mask:0xf
	v_mov_b32_e32 v10, v20
	s_and_saveexec_b32 s1, s0
; %bb.19:
	s_delay_alu instid0(VALU_DEP_3) | instskip(SKIP_2) | instid1(VALU_DEP_2)
	v_add_co_u32 v12, vcc_lo, v19, v14
	s_wait_alu 0xfffd
	v_add_co_ci_u32_e64 v9, null, 0, v20, vcc_lo
	v_add_co_u32 v10, vcc_lo, 0, v12
	s_wait_alu 0xfffd
	s_delay_alu instid0(VALU_DEP_2) | instskip(NEXT) | instid1(VALU_DEP_2)
	v_add_co_ci_u32_e64 v11, null, v13, v9, vcc_lo
	v_mov_b32_e32 v9, v10
	s_delay_alu instid0(VALU_DEP_2)
	v_mov_b32_e32 v10, v11
; %bb.20:
	s_wait_alu 0xfffe
	s_or_b32 exec_lo, exec_lo, s1
	v_mov_b32_dpp v14, v12 row_shr:2 row_mask:0xf bank_mask:0xf
	v_mov_b32_dpp v13, v11 row_shr:2 row_mask:0xf bank_mask:0xf
	s_mov_b32 s1, exec_lo
	v_cmpx_lt_u32_e32 1, v34
; %bb.21:
	s_delay_alu instid0(VALU_DEP_3) | instskip(SKIP_2) | instid1(VALU_DEP_2)
	v_add_co_u32 v12, vcc_lo, v9, v14
	s_wait_alu 0xfffd
	v_add_co_ci_u32_e64 v9, null, 0, v10, vcc_lo
	v_add_co_u32 v10, vcc_lo, 0, v12
	s_wait_alu 0xfffd
	s_delay_alu instid0(VALU_DEP_2) | instskip(NEXT) | instid1(VALU_DEP_2)
	v_add_co_ci_u32_e64 v11, null, v13, v9, vcc_lo
	v_mov_b32_e32 v9, v10
	s_delay_alu instid0(VALU_DEP_2)
	v_mov_b32_e32 v10, v11
; %bb.22:
	s_wait_alu 0xfffe
	s_or_b32 exec_lo, exec_lo, s1
	v_mov_b32_dpp v14, v12 row_shr:4 row_mask:0xf bank_mask:0xf
	v_mov_b32_dpp v13, v11 row_shr:4 row_mask:0xf bank_mask:0xf
	s_mov_b32 s1, exec_lo
	v_cmpx_lt_u32_e32 3, v34
	;; [unrolled: 19-line block ×3, first 2 shown]
; %bb.25:
	s_delay_alu instid0(VALU_DEP_3) | instskip(SKIP_2) | instid1(VALU_DEP_2)
	v_add_co_u32 v12, vcc_lo, v9, v14
	s_wait_alu 0xfffd
	v_add_co_ci_u32_e64 v10, null, 0, v10, vcc_lo
	v_add_co_u32 v9, vcc_lo, 0, v12
	s_wait_alu 0xfffd
	s_delay_alu instid0(VALU_DEP_2) | instskip(NEXT) | instid1(VALU_DEP_1)
	v_add_co_ci_u32_e64 v10, null, v13, v10, vcc_lo
	v_mov_b32_e32 v11, v10
; %bb.26:
	s_wait_alu 0xfffe
	s_or_b32 exec_lo, exec_lo, s1
	ds_swizzle_b32 v13, v12 offset:swizzle(BROADCAST,32,15)
	ds_swizzle_b32 v11, v11 offset:swizzle(BROADCAST,32,15)
	v_and_b32_e32 v14, 16, v33
	s_mov_b32 s1, exec_lo
	s_delay_alu instid0(VALU_DEP_1)
	v_cmpx_ne_u32_e32 0, v14
	s_cbranch_execz .LBB2266_28
; %bb.27:
	s_wait_dscnt 0x1
	v_add_co_u32 v12, vcc_lo, v9, v13
	s_wait_alu 0xfffd
	v_add_co_ci_u32_e64 v10, null, 0, v10, vcc_lo
	s_delay_alu instid0(VALU_DEP_2) | instskip(SKIP_2) | instid1(VALU_DEP_2)
	v_add_co_u32 v9, vcc_lo, 0, v12
	s_wait_dscnt 0x0
	s_wait_alu 0xfffd
	v_add_co_ci_u32_e64 v10, null, v11, v10, vcc_lo
.LBB2266_28:
	s_wait_alu 0xfffe
	s_or_b32 exec_lo, exec_lo, s1
	s_wait_dscnt 0x1
	v_or_b32_e32 v13, 31, v0
	s_wait_dscnt 0x0
	v_lshrrev_b32_e32 v11, 5, v0
	s_mov_b32 s1, exec_lo
	s_delay_alu instid0(VALU_DEP_2)
	v_cmpx_eq_u32_e64 v0, v13
; %bb.29:
	s_delay_alu instid0(VALU_DEP_2)
	v_lshlrev_b32_e32 v13, 3, v11
	ds_store_b64 v13, v[9:10]
; %bb.30:
	s_wait_alu 0xfffe
	s_or_b32 exec_lo, exec_lo, s1
	s_delay_alu instid0(SALU_CYCLE_1)
	s_mov_b32 s1, exec_lo
	s_wait_loadcnt_dscnt 0x0
	s_barrier_signal -1
	s_barrier_wait -1
	global_inv scope:SCOPE_SE
	v_cmpx_gt_u32_e32 8, v0
	s_cbranch_execz .LBB2266_38
; %bb.31:
	v_lshlrev_b32_e32 v13, 3, v0
	s_mov_b32 s3, exec_lo
	ds_load_b64 v[9:10], v13
	s_wait_dscnt 0x0
	v_dual_mov_b32 v15, v9 :: v_dual_and_b32 v14, 7, v33
	v_mov_b32_dpp v21, v9 row_shr:1 row_mask:0xf bank_mask:0xf
	v_mov_b32_dpp v16, v10 row_shr:1 row_mask:0xf bank_mask:0xf
	s_delay_alu instid0(VALU_DEP_3)
	v_cmpx_ne_u32_e32 0, v14
; %bb.32:
	s_delay_alu instid0(VALU_DEP_3) | instskip(SKIP_2) | instid1(VALU_DEP_2)
	v_add_co_u32 v15, vcc_lo, v9, v21
	s_wait_alu 0xfffd
	v_add_co_ci_u32_e64 v10, null, 0, v10, vcc_lo
	v_add_co_u32 v9, vcc_lo, 0, v15
	s_wait_alu 0xfffd
	s_delay_alu instid0(VALU_DEP_2)
	v_add_co_ci_u32_e64 v10, null, v16, v10, vcc_lo
; %bb.33:
	s_wait_alu 0xfffe
	s_or_b32 exec_lo, exec_lo, s3
	v_mov_b32_dpp v21, v15 row_shr:2 row_mask:0xf bank_mask:0xf
	s_delay_alu instid0(VALU_DEP_2)
	v_mov_b32_dpp v16, v10 row_shr:2 row_mask:0xf bank_mask:0xf
	s_mov_b32 s3, exec_lo
	v_cmpx_lt_u32_e32 1, v14
; %bb.34:
	s_delay_alu instid0(VALU_DEP_3) | instskip(SKIP_2) | instid1(VALU_DEP_2)
	v_add_co_u32 v15, vcc_lo, v9, v21
	s_wait_alu 0xfffd
	v_add_co_ci_u32_e64 v10, null, 0, v10, vcc_lo
	v_add_co_u32 v9, vcc_lo, 0, v15
	s_wait_alu 0xfffd
	s_delay_alu instid0(VALU_DEP_2)
	v_add_co_ci_u32_e64 v10, null, v16, v10, vcc_lo
; %bb.35:
	s_wait_alu 0xfffe
	s_or_b32 exec_lo, exec_lo, s3
	v_mov_b32_dpp v16, v15 row_shr:4 row_mask:0xf bank_mask:0xf
	s_delay_alu instid0(VALU_DEP_2)
	v_mov_b32_dpp v15, v10 row_shr:4 row_mask:0xf bank_mask:0xf
	s_mov_b32 s3, exec_lo
	v_cmpx_lt_u32_e32 3, v14
; %bb.36:
	s_delay_alu instid0(VALU_DEP_3) | instskip(SKIP_2) | instid1(VALU_DEP_2)
	v_add_co_u32 v9, vcc_lo, v9, v16
	s_wait_alu 0xfffd
	v_add_co_ci_u32_e64 v10, null, 0, v10, vcc_lo
	v_add_co_u32 v9, vcc_lo, v9, 0
	s_wait_alu 0xfffd
	s_delay_alu instid0(VALU_DEP_2)
	v_add_co_ci_u32_e64 v10, null, v10, v15, vcc_lo
; %bb.37:
	s_wait_alu 0xfffe
	s_or_b32 exec_lo, exec_lo, s3
	ds_store_b64 v13, v[9:10]
.LBB2266_38:
	s_wait_alu 0xfffe
	s_or_b32 exec_lo, exec_lo, s1
	s_delay_alu instid0(SALU_CYCLE_1)
	s_mov_b32 s3, exec_lo
	v_cmp_gt_u32_e32 vcc_lo, 32, v0
	s_wait_loadcnt_dscnt 0x0
	s_barrier_signal -1
	s_barrier_wait -1
	global_inv scope:SCOPE_SE
                                        ; implicit-def: $vgpr21_vgpr22
	v_cmpx_lt_u32_e32 31, v0
	s_cbranch_execz .LBB2266_40
; %bb.39:
	v_lshl_add_u32 v9, v11, 3, -8
	ds_load_b64 v[21:22], v9
	s_wait_dscnt 0x0
	v_add_nc_u32_e32 v12, v12, v21
.LBB2266_40:
	s_wait_alu 0xfffe
	s_or_b32 exec_lo, exec_lo, s3
	v_sub_co_u32 v9, s1, v33, 1
	s_delay_alu instid0(VALU_DEP_1) | instskip(SKIP_1) | instid1(VALU_DEP_1)
	v_cmp_gt_i32_e64 s3, 0, v9
	s_wait_alu 0xf1ff
	v_cndmask_b32_e64 v9, v9, v33, s3
	s_delay_alu instid0(VALU_DEP_1)
	v_lshlrev_b32_e32 v9, 2, v9
	ds_bpermute_b32 v35, v9, v12
	s_and_saveexec_b32 s3, vcc_lo
	s_cbranch_execz .LBB2266_79
; %bb.41:
	v_mov_b32_e32 v12, 0
	ds_load_b64 v[9:10], v12 offset:56
	s_and_saveexec_b32 s4, s1
	s_cbranch_execz .LBB2266_43
; %bb.42:
	s_add_co_i32 s14, s10, 32
	s_mov_b32 s15, 0
	s_wait_alu 0xfffe
	s_lshl_b64 s[14:15], s[14:15], 4
	s_wait_alu 0xfffe
	s_add_nc_u64 s[14:15], s[12:13], s[14:15]
	v_mov_b32_e32 v11, 1
	s_wait_alu 0xfffe
	v_dual_mov_b32 v13, s14 :: v_dual_mov_b32 v14, s15
	s_wait_dscnt 0x0
	;;#ASMSTART
	global_store_b128 v[13:14], v[9:12] off scope:SCOPE_DEV	
s_wait_storecnt 0x0
	;;#ASMEND
.LBB2266_43:
	s_wait_alu 0xfffe
	s_or_b32 exec_lo, exec_lo, s4
	v_xad_u32 v23, v33, -1, s10
	s_mov_b32 s5, 0
	s_mov_b32 s4, exec_lo
	s_delay_alu instid0(VALU_DEP_1) | instskip(NEXT) | instid1(VALU_DEP_1)
	v_add_nc_u32_e32 v11, 32, v23
	v_lshlrev_b64_e32 v[11:12], 4, v[11:12]
	s_delay_alu instid0(VALU_DEP_1) | instskip(SKIP_1) | instid1(VALU_DEP_2)
	v_add_co_u32 v11, vcc_lo, s12, v11
	s_wait_alu 0xfffd
	v_add_co_ci_u32_e64 v12, null, s13, v12, vcc_lo
	;;#ASMSTART
	global_load_b128 v[13:16], v[11:12] off scope:SCOPE_DEV	
s_wait_loadcnt 0x0
	;;#ASMEND
	v_and_b32_e32 v16, 0xff, v15
	s_delay_alu instid0(VALU_DEP_1)
	v_cmpx_eq_u16_e32 0, v16
	s_cbranch_execz .LBB2266_46
.LBB2266_44:                            ; =>This Inner Loop Header: Depth=1
	;;#ASMSTART
	global_load_b128 v[13:16], v[11:12] off scope:SCOPE_DEV	
s_wait_loadcnt 0x0
	;;#ASMEND
	v_and_b32_e32 v16, 0xff, v15
	s_delay_alu instid0(VALU_DEP_1)
	v_cmp_ne_u16_e32 vcc_lo, 0, v16
	s_wait_alu 0xfffe
	s_or_b32 s5, vcc_lo, s5
	s_wait_alu 0xfffe
	s_and_not1_b32 exec_lo, exec_lo, s5
	s_cbranch_execnz .LBB2266_44
; %bb.45:
	s_or_b32 exec_lo, exec_lo, s5
.LBB2266_46:
	s_wait_alu 0xfffe
	s_or_b32 exec_lo, exec_lo, s4
	v_cmp_ne_u32_e32 vcc_lo, 31, v33
	v_and_b32_e32 v12, 0xff, v15
	v_lshlrev_b32_e64 v37, v33, -1
	s_mov_b32 s4, exec_lo
	s_wait_alu 0xfffd
	v_add_co_ci_u32_e64 v11, null, 0, v33, vcc_lo
	v_cmp_eq_u16_e32 vcc_lo, 2, v12
	v_mov_b32_e32 v12, v13
	s_delay_alu instid0(VALU_DEP_3)
	v_lshlrev_b32_e32 v36, 2, v11
	s_wait_alu 0xfffd
	v_and_or_b32 v11, vcc_lo, v37, 0x80000000
	ds_bpermute_b32 v24, v36, v13
	ds_bpermute_b32 v16, v36, v14
	v_ctz_i32_b32_e32 v11, v11
	s_delay_alu instid0(VALU_DEP_1)
	v_cmpx_lt_u32_e64 v33, v11
	s_cbranch_execz .LBB2266_48
; %bb.47:
	s_wait_dscnt 0x1
	v_add_co_u32 v12, vcc_lo, v13, v24
	s_wait_alu 0xfffd
	v_add_co_ci_u32_e64 v14, null, 0, v14, vcc_lo
	s_delay_alu instid0(VALU_DEP_2) | instskip(SKIP_2) | instid1(VALU_DEP_2)
	v_add_co_u32 v13, vcc_lo, 0, v12
	s_wait_dscnt 0x0
	s_wait_alu 0xfffd
	v_add_co_ci_u32_e64 v14, null, v16, v14, vcc_lo
.LBB2266_48:
	s_wait_alu 0xfffe
	s_or_b32 exec_lo, exec_lo, s4
	v_cmp_gt_u32_e32 vcc_lo, 30, v33
	v_add_nc_u32_e32 v39, 2, v33
	s_mov_b32 s4, exec_lo
	s_wait_dscnt 0x0
	s_wait_alu 0xfffd
	v_cndmask_b32_e64 v16, 0, 2, vcc_lo
	s_delay_alu instid0(VALU_DEP_1)
	v_add_lshl_u32 v38, v16, v33, 2
	ds_bpermute_b32 v24, v38, v12
	ds_bpermute_b32 v16, v38, v14
	v_cmpx_le_u32_e64 v39, v11
	s_cbranch_execz .LBB2266_50
; %bb.49:
	s_wait_dscnt 0x1
	v_add_co_u32 v12, vcc_lo, v13, v24
	s_wait_alu 0xfffd
	v_add_co_ci_u32_e64 v14, null, 0, v14, vcc_lo
	s_delay_alu instid0(VALU_DEP_2) | instskip(SKIP_2) | instid1(VALU_DEP_2)
	v_add_co_u32 v13, vcc_lo, 0, v12
	s_wait_dscnt 0x0
	s_wait_alu 0xfffd
	v_add_co_ci_u32_e64 v14, null, v16, v14, vcc_lo
.LBB2266_50:
	s_wait_alu 0xfffe
	s_or_b32 exec_lo, exec_lo, s4
	v_cmp_gt_u32_e32 vcc_lo, 28, v33
	v_add_nc_u32_e32 v41, 4, v33
	s_mov_b32 s4, exec_lo
	s_wait_dscnt 0x0
	s_wait_alu 0xfffd
	v_cndmask_b32_e64 v16, 0, 4, vcc_lo
	s_delay_alu instid0(VALU_DEP_1)
	v_add_lshl_u32 v40, v16, v33, 2
	ds_bpermute_b32 v24, v40, v12
	ds_bpermute_b32 v16, v40, v14
	v_cmpx_le_u32_e64 v41, v11
	;; [unrolled: 25-line block ×3, first 2 shown]
	s_cbranch_execz .LBB2266_54
; %bb.53:
	s_wait_dscnt 0x1
	v_add_co_u32 v12, vcc_lo, v13, v24
	s_wait_alu 0xfffd
	v_add_co_ci_u32_e64 v14, null, 0, v14, vcc_lo
	s_delay_alu instid0(VALU_DEP_2) | instskip(SKIP_2) | instid1(VALU_DEP_2)
	v_add_co_u32 v13, vcc_lo, 0, v12
	s_wait_dscnt 0x0
	s_wait_alu 0xfffd
	v_add_co_ci_u32_e64 v14, null, v16, v14, vcc_lo
.LBB2266_54:
	s_wait_alu 0xfffe
	s_or_b32 exec_lo, exec_lo, s4
	v_lshl_or_b32 v44, v33, 2, 64
	v_add_nc_u32_e32 v45, 16, v33
	s_mov_b32 s4, exec_lo
	s_wait_dscnt 0x0
	ds_bpermute_b32 v16, v44, v12
	ds_bpermute_b32 v12, v44, v14
	v_cmpx_le_u32_e64 v45, v11
	s_cbranch_execz .LBB2266_56
; %bb.55:
	s_wait_dscnt 0x1
	v_add_co_u32 v11, vcc_lo, v13, v16
	s_wait_alu 0xfffd
	v_add_co_ci_u32_e64 v14, null, 0, v14, vcc_lo
	s_delay_alu instid0(VALU_DEP_2) | instskip(SKIP_2) | instid1(VALU_DEP_2)
	v_add_co_u32 v13, vcc_lo, v11, 0
	s_wait_dscnt 0x0
	s_wait_alu 0xfffd
	v_add_co_ci_u32_e64 v14, null, v14, v12, vcc_lo
.LBB2266_56:
	s_wait_alu 0xfffe
	s_or_b32 exec_lo, exec_lo, s4
	v_mov_b32_e32 v24, 0
	s_branch .LBB2266_59
.LBB2266_57:                            ;   in Loop: Header=BB2266_59 Depth=1
	s_wait_alu 0xfffe
	s_or_b32 exec_lo, exec_lo, s4
	v_add_co_u32 v13, vcc_lo, v13, v11
	v_subrev_nc_u32_e32 v23, 32, v23
	s_wait_alu 0xfffd
	v_add_co_ci_u32_e64 v14, null, v14, v12, vcc_lo
	s_mov_b32 s4, 0
.LBB2266_58:                            ;   in Loop: Header=BB2266_59 Depth=1
	s_wait_alu 0xfffe
	s_and_b32 vcc_lo, exec_lo, s4
	s_wait_alu 0xfffe
	s_cbranch_vccnz .LBB2266_75
.LBB2266_59:                            ; =>This Loop Header: Depth=1
                                        ;     Child Loop BB2266_62 Depth 2
	v_and_b32_e32 v11, 0xff, v15
	s_mov_b32 s4, -1
	s_delay_alu instid0(VALU_DEP_1)
	v_cmp_ne_u16_e32 vcc_lo, 2, v11
	s_wait_dscnt 0x0
	v_dual_mov_b32 v11, v13 :: v_dual_mov_b32 v12, v14
                                        ; implicit-def: $vgpr13_vgpr14
	s_cmp_lg_u32 vcc_lo, exec_lo
	s_cbranch_scc1 .LBB2266_58
; %bb.60:                               ;   in Loop: Header=BB2266_59 Depth=1
	v_lshlrev_b64_e32 v[13:14], 4, v[23:24]
	s_mov_b32 s4, exec_lo
	s_delay_alu instid0(VALU_DEP_1) | instskip(SKIP_1) | instid1(VALU_DEP_2)
	v_add_co_u32 v25, vcc_lo, s12, v13
	s_wait_alu 0xfffd
	v_add_co_ci_u32_e64 v26, null, s13, v14, vcc_lo
	;;#ASMSTART
	global_load_b128 v[13:16], v[25:26] off scope:SCOPE_DEV	
s_wait_loadcnt 0x0
	;;#ASMEND
	v_and_b32_e32 v16, 0xff, v15
	s_delay_alu instid0(VALU_DEP_1)
	v_cmpx_eq_u16_e32 0, v16
	s_cbranch_execz .LBB2266_64
; %bb.61:                               ;   in Loop: Header=BB2266_59 Depth=1
	s_mov_b32 s5, 0
.LBB2266_62:                            ;   Parent Loop BB2266_59 Depth=1
                                        ; =>  This Inner Loop Header: Depth=2
	;;#ASMSTART
	global_load_b128 v[13:16], v[25:26] off scope:SCOPE_DEV	
s_wait_loadcnt 0x0
	;;#ASMEND
	v_and_b32_e32 v16, 0xff, v15
	s_delay_alu instid0(VALU_DEP_1)
	v_cmp_ne_u16_e32 vcc_lo, 0, v16
	s_wait_alu 0xfffe
	s_or_b32 s5, vcc_lo, s5
	s_wait_alu 0xfffe
	s_and_not1_b32 exec_lo, exec_lo, s5
	s_cbranch_execnz .LBB2266_62
; %bb.63:                               ;   in Loop: Header=BB2266_59 Depth=1
	s_or_b32 exec_lo, exec_lo, s5
.LBB2266_64:                            ;   in Loop: Header=BB2266_59 Depth=1
	s_wait_alu 0xfffe
	s_or_b32 exec_lo, exec_lo, s4
	v_dual_mov_b32 v25, v13 :: v_dual_and_b32 v16, 0xff, v15
	ds_bpermute_b32 v46, v36, v13
	ds_bpermute_b32 v26, v36, v14
	s_mov_b32 s4, exec_lo
	v_cmp_eq_u16_e32 vcc_lo, 2, v16
	s_wait_alu 0xfffd
	v_and_or_b32 v16, vcc_lo, v37, 0x80000000
	s_delay_alu instid0(VALU_DEP_1) | instskip(NEXT) | instid1(VALU_DEP_1)
	v_ctz_i32_b32_e32 v16, v16
	v_cmpx_lt_u32_e64 v33, v16
	s_cbranch_execz .LBB2266_66
; %bb.65:                               ;   in Loop: Header=BB2266_59 Depth=1
	s_wait_dscnt 0x1
	v_add_co_u32 v25, vcc_lo, v13, v46
	s_wait_alu 0xfffd
	v_add_co_ci_u32_e64 v14, null, 0, v14, vcc_lo
	s_delay_alu instid0(VALU_DEP_2) | instskip(SKIP_2) | instid1(VALU_DEP_2)
	v_add_co_u32 v13, vcc_lo, 0, v25
	s_wait_dscnt 0x0
	s_wait_alu 0xfffd
	v_add_co_ci_u32_e64 v14, null, v26, v14, vcc_lo
.LBB2266_66:                            ;   in Loop: Header=BB2266_59 Depth=1
	s_wait_alu 0xfffe
	s_or_b32 exec_lo, exec_lo, s4
	s_wait_dscnt 0x1
	ds_bpermute_b32 v46, v38, v25
	s_wait_dscnt 0x1
	ds_bpermute_b32 v26, v38, v14
	s_mov_b32 s4, exec_lo
	v_cmpx_le_u32_e64 v39, v16
	s_cbranch_execz .LBB2266_68
; %bb.67:                               ;   in Loop: Header=BB2266_59 Depth=1
	s_wait_dscnt 0x1
	v_add_co_u32 v25, vcc_lo, v13, v46
	s_wait_alu 0xfffd
	v_add_co_ci_u32_e64 v14, null, 0, v14, vcc_lo
	s_delay_alu instid0(VALU_DEP_2) | instskip(SKIP_2) | instid1(VALU_DEP_2)
	v_add_co_u32 v13, vcc_lo, 0, v25
	s_wait_dscnt 0x0
	s_wait_alu 0xfffd
	v_add_co_ci_u32_e64 v14, null, v26, v14, vcc_lo
.LBB2266_68:                            ;   in Loop: Header=BB2266_59 Depth=1
	s_wait_alu 0xfffe
	s_or_b32 exec_lo, exec_lo, s4
	s_wait_dscnt 0x1
	ds_bpermute_b32 v46, v40, v25
	s_wait_dscnt 0x1
	ds_bpermute_b32 v26, v40, v14
	s_mov_b32 s4, exec_lo
	v_cmpx_le_u32_e64 v41, v16
	;; [unrolled: 20-line block ×3, first 2 shown]
	s_cbranch_execz .LBB2266_72
; %bb.71:                               ;   in Loop: Header=BB2266_59 Depth=1
	s_wait_dscnt 0x1
	v_add_co_u32 v25, vcc_lo, v13, v46
	s_wait_alu 0xfffd
	v_add_co_ci_u32_e64 v14, null, 0, v14, vcc_lo
	s_delay_alu instid0(VALU_DEP_2) | instskip(SKIP_2) | instid1(VALU_DEP_2)
	v_add_co_u32 v13, vcc_lo, 0, v25
	s_wait_dscnt 0x0
	s_wait_alu 0xfffd
	v_add_co_ci_u32_e64 v14, null, v26, v14, vcc_lo
.LBB2266_72:                            ;   in Loop: Header=BB2266_59 Depth=1
	s_wait_alu 0xfffe
	s_or_b32 exec_lo, exec_lo, s4
	s_wait_dscnt 0x0
	ds_bpermute_b32 v26, v44, v25
	ds_bpermute_b32 v25, v44, v14
	s_mov_b32 s4, exec_lo
	v_cmpx_le_u32_e64 v45, v16
	s_cbranch_execz .LBB2266_57
; %bb.73:                               ;   in Loop: Header=BB2266_59 Depth=1
	s_wait_dscnt 0x1
	v_add_co_u32 v13, vcc_lo, v13, v26
	s_wait_alu 0xfffd
	v_add_co_ci_u32_e64 v14, null, 0, v14, vcc_lo
	s_delay_alu instid0(VALU_DEP_2) | instskip(SKIP_2) | instid1(VALU_DEP_2)
	v_add_co_u32 v13, vcc_lo, v13, 0
	s_wait_dscnt 0x0
	s_wait_alu 0xfffd
	v_add_co_ci_u32_e64 v14, null, v14, v25, vcc_lo
	s_branch .LBB2266_57
.LBB2266_74:
                                        ; implicit-def: $vgpr13_vgpr14
                                        ; implicit-def: $vgpr21_vgpr22
                                        ; implicit-def: $vgpr11_vgpr12
                                        ; implicit-def: $vgpr14_vgpr15
                                        ; implicit-def: $vgpr15_vgpr16
	s_wait_alu 0xfffe
	s_and_b32 vcc_lo, exec_lo, s1
	s_wait_alu 0xfffe
	s_cbranch_vccnz .LBB2266_80
	s_branch .LBB2266_105
.LBB2266_75:
	s_and_saveexec_b32 s4, s1
	s_cbranch_execz .LBB2266_77
; %bb.76:
	s_add_co_i32 s10, s10, 32
	s_mov_b32 s11, 0
	v_add_co_u32 v13, vcc_lo, v11, v9
	s_wait_alu 0xfffe
	s_lshl_b64 s[10:11], s[10:11], 4
	v_dual_mov_b32 v15, 2 :: v_dual_mov_b32 v16, 0
	s_wait_alu 0xfffe
	s_add_nc_u64 s[10:11], s[12:13], s[10:11]
	s_wait_alu 0xfffd
	v_add_co_ci_u32_e64 v14, null, v12, v10, vcc_lo
	s_wait_alu 0xfffe
	v_dual_mov_b32 v24, s11 :: v_dual_mov_b32 v23, s10
	;;#ASMSTART
	global_store_b128 v[23:24], v[13:16] off scope:SCOPE_DEV	
s_wait_storecnt 0x0
	;;#ASMEND
	ds_store_b128 v16, v[9:12] offset:8448
.LBB2266_77:
	s_wait_alu 0xfffe
	s_or_b32 exec_lo, exec_lo, s4
	s_delay_alu instid0(SALU_CYCLE_1)
	s_and_b32 exec_lo, exec_lo, s2
; %bb.78:
	v_mov_b32_e32 v9, 0
	ds_store_b64 v9, v[11:12] offset:56
.LBB2266_79:
	s_wait_alu 0xfffe
	s_or_b32 exec_lo, exec_lo, s3
	v_mov_b32_e32 v9, 0
	s_wait_loadcnt_dscnt 0x0
	s_barrier_signal -1
	s_barrier_wait -1
	global_inv scope:SCOPE_SE
	ds_load_b64 v[13:14], v9 offset:56
	v_cndmask_b32_e64 v11, v35, v21, s1
	v_cndmask_b32_e64 v10, 0, v22, s1
	s_wait_loadcnt_dscnt 0x0
	s_barrier_signal -1
	s_barrier_wait -1
	v_cndmask_b32_e64 v16, v11, 0, s2
	v_cndmask_b32_e64 v15, v10, 0, s2
	global_inv scope:SCOPE_SE
	ds_load_b128 v[9:12], v9 offset:8448
	v_add_co_u32 v21, vcc_lo, v13, v16
	s_wait_alu 0xfffd
	v_add_co_ci_u32_e64 v13, null, v14, v15, vcc_lo
	s_delay_alu instid0(VALU_DEP_2) | instskip(SKIP_1) | instid1(VALU_DEP_2)
	v_add_co_u32 v15, vcc_lo, v21, v31
	s_wait_alu 0xfffd
	v_add_co_ci_u32_e64 v13, null, 0, v13, vcc_lo
	s_delay_alu instid0(VALU_DEP_2) | instskip(SKIP_1) | instid1(VALU_DEP_2)
	;; [unrolled: 4-line block ×3, first 2 shown]
	v_add_co_u32 v13, vcc_lo, v14, v32
	s_wait_alu 0xfffd
	v_add_co_ci_u32_e64 v16, null, 0, v16, vcc_lo
	s_branch .LBB2266_105
.LBB2266_80:
	s_wait_dscnt 0x0
	v_dual_mov_b32 v10, 0 :: v_dual_mov_b32 v11, v19
	v_mov_b32_dpp v12, v19 row_shr:1 row_mask:0xf bank_mask:0xf
	s_delay_alu instid0(VALU_DEP_2)
	v_mov_b32_dpp v9, v10 row_shr:1 row_mask:0xf bank_mask:0xf
	s_and_saveexec_b32 s1, s0
; %bb.81:
	s_delay_alu instid0(VALU_DEP_2) | instskip(SKIP_2) | instid1(VALU_DEP_2)
	v_add_co_u32 v11, vcc_lo, v19, v12
	s_wait_alu 0xfffd
	v_add_co_ci_u32_e64 v10, null, 0, v20, vcc_lo
	v_add_co_u32 v19, vcc_lo, 0, v11
	s_wait_alu 0xfffd
	s_delay_alu instid0(VALU_DEP_2) | instskip(NEXT) | instid1(VALU_DEP_1)
	v_add_co_ci_u32_e64 v20, null, v9, v10, vcc_lo
	v_mov_b32_e32 v10, v20
; %bb.82:
	s_wait_alu 0xfffe
	s_or_b32 exec_lo, exec_lo, s1
	v_mov_b32_dpp v9, v11 row_shr:2 row_mask:0xf bank_mask:0xf
	s_delay_alu instid0(VALU_DEP_2)
	v_mov_b32_dpp v12, v10 row_shr:2 row_mask:0xf bank_mask:0xf
	s_mov_b32 s0, exec_lo
	v_cmpx_lt_u32_e32 1, v34
; %bb.83:
	s_delay_alu instid0(VALU_DEP_3) | instskip(SKIP_2) | instid1(VALU_DEP_2)
	v_add_co_u32 v11, vcc_lo, v19, v9
	s_wait_alu 0xfffd
	v_add_co_ci_u32_e64 v10, null, 0, v20, vcc_lo
	v_add_co_u32 v9, vcc_lo, 0, v11
	s_wait_alu 0xfffd
	s_delay_alu instid0(VALU_DEP_2) | instskip(NEXT) | instid1(VALU_DEP_1)
	v_add_co_ci_u32_e64 v10, null, v12, v10, vcc_lo
	v_dual_mov_b32 v20, v10 :: v_dual_mov_b32 v19, v9
; %bb.84:
	s_wait_alu 0xfffe
	s_or_b32 exec_lo, exec_lo, s0
	v_mov_b32_dpp v9, v11 row_shr:4 row_mask:0xf bank_mask:0xf
	v_mov_b32_dpp v12, v10 row_shr:4 row_mask:0xf bank_mask:0xf
	s_mov_b32 s0, exec_lo
	v_cmpx_lt_u32_e32 3, v34
; %bb.85:
	s_delay_alu instid0(VALU_DEP_3) | instskip(SKIP_2) | instid1(VALU_DEP_2)
	v_add_co_u32 v11, vcc_lo, v19, v9
	s_wait_alu 0xfffd
	v_add_co_ci_u32_e64 v10, null, 0, v20, vcc_lo
	v_add_co_u32 v9, vcc_lo, 0, v11
	s_wait_alu 0xfffd
	s_delay_alu instid0(VALU_DEP_2) | instskip(NEXT) | instid1(VALU_DEP_1)
	v_add_co_ci_u32_e64 v10, null, v12, v10, vcc_lo
	v_dual_mov_b32 v20, v10 :: v_dual_mov_b32 v19, v9
; %bb.86:
	s_wait_alu 0xfffe
	s_or_b32 exec_lo, exec_lo, s0
	v_mov_b32_dpp v12, v11 row_shr:8 row_mask:0xf bank_mask:0xf
	v_mov_b32_dpp v9, v10 row_shr:8 row_mask:0xf bank_mask:0xf
	s_mov_b32 s0, exec_lo
	v_cmpx_lt_u32_e32 7, v34
; %bb.87:
	s_delay_alu instid0(VALU_DEP_3) | instskip(SKIP_2) | instid1(VALU_DEP_2)
	v_add_co_u32 v11, vcc_lo, v19, v12
	s_wait_alu 0xfffd
	v_add_co_ci_u32_e64 v10, null, 0, v20, vcc_lo
	v_add_co_u32 v19, vcc_lo, 0, v11
	s_wait_alu 0xfffd
	s_delay_alu instid0(VALU_DEP_2) | instskip(NEXT) | instid1(VALU_DEP_1)
	v_add_co_ci_u32_e64 v20, null, v9, v10, vcc_lo
	v_mov_b32_e32 v10, v20
; %bb.88:
	s_wait_alu 0xfffe
	s_or_b32 exec_lo, exec_lo, s0
	ds_swizzle_b32 v11, v11 offset:swizzle(BROADCAST,32,15)
	ds_swizzle_b32 v9, v10 offset:swizzle(BROADCAST,32,15)
	v_and_b32_e32 v10, 16, v33
	s_mov_b32 s0, exec_lo
	s_delay_alu instid0(VALU_DEP_1)
	v_cmpx_ne_u32_e32 0, v10
	s_cbranch_execz .LBB2266_90
; %bb.89:
	s_wait_dscnt 0x1
	v_add_co_u32 v10, vcc_lo, v19, v11
	s_wait_alu 0xfffd
	v_add_co_ci_u32_e64 v11, null, 0, v20, vcc_lo
	s_delay_alu instid0(VALU_DEP_2) | instskip(SKIP_2) | instid1(VALU_DEP_2)
	v_add_co_u32 v19, vcc_lo, v10, 0
	s_wait_dscnt 0x0
	s_wait_alu 0xfffd
	v_add_co_ci_u32_e64 v20, null, v11, v9, vcc_lo
.LBB2266_90:
	s_wait_alu 0xfffe
	s_or_b32 exec_lo, exec_lo, s0
	s_wait_dscnt 0x0
	v_or_b32_e32 v9, 31, v0
	v_lshrrev_b32_e32 v11, 5, v0
	s_mov_b32 s0, exec_lo
	s_delay_alu instid0(VALU_DEP_2)
	v_cmpx_eq_u32_e64 v0, v9
; %bb.91:
	s_delay_alu instid0(VALU_DEP_2)
	v_lshlrev_b32_e32 v9, 3, v11
	ds_store_b64 v9, v[19:20]
; %bb.92:
	s_wait_alu 0xfffe
	s_or_b32 exec_lo, exec_lo, s0
	s_delay_alu instid0(SALU_CYCLE_1)
	s_mov_b32 s0, exec_lo
	s_wait_loadcnt_dscnt 0x0
	s_barrier_signal -1
	s_barrier_wait -1
	global_inv scope:SCOPE_SE
	v_cmpx_gt_u32_e32 8, v0
	s_cbranch_execz .LBB2266_100
; %bb.93:
	v_lshlrev_b32_e32 v12, 3, v0
	s_mov_b32 s1, exec_lo
	ds_load_b64 v[9:10], v12
	s_wait_dscnt 0x0
	v_dual_mov_b32 v14, v9 :: v_dual_and_b32 v13, 7, v33
	v_mov_b32_dpp v16, v9 row_shr:1 row_mask:0xf bank_mask:0xf
	v_mov_b32_dpp v15, v10 row_shr:1 row_mask:0xf bank_mask:0xf
	s_delay_alu instid0(VALU_DEP_3)
	v_cmpx_ne_u32_e32 0, v13
; %bb.94:
	s_delay_alu instid0(VALU_DEP_3) | instskip(SKIP_2) | instid1(VALU_DEP_2)
	v_add_co_u32 v14, vcc_lo, v9, v16
	s_wait_alu 0xfffd
	v_add_co_ci_u32_e64 v10, null, 0, v10, vcc_lo
	v_add_co_u32 v9, vcc_lo, 0, v14
	s_wait_alu 0xfffd
	s_delay_alu instid0(VALU_DEP_2)
	v_add_co_ci_u32_e64 v10, null, v15, v10, vcc_lo
; %bb.95:
	s_wait_alu 0xfffe
	s_or_b32 exec_lo, exec_lo, s1
	v_mov_b32_dpp v16, v14 row_shr:2 row_mask:0xf bank_mask:0xf
	s_delay_alu instid0(VALU_DEP_2)
	v_mov_b32_dpp v15, v10 row_shr:2 row_mask:0xf bank_mask:0xf
	s_mov_b32 s1, exec_lo
	v_cmpx_lt_u32_e32 1, v13
; %bb.96:
	s_delay_alu instid0(VALU_DEP_3) | instskip(SKIP_2) | instid1(VALU_DEP_2)
	v_add_co_u32 v14, vcc_lo, v9, v16
	s_wait_alu 0xfffd
	v_add_co_ci_u32_e64 v10, null, 0, v10, vcc_lo
	v_add_co_u32 v9, vcc_lo, 0, v14
	s_wait_alu 0xfffd
	s_delay_alu instid0(VALU_DEP_2)
	v_add_co_ci_u32_e64 v10, null, v15, v10, vcc_lo
; %bb.97:
	s_wait_alu 0xfffe
	s_or_b32 exec_lo, exec_lo, s1
	v_mov_b32_dpp v15, v14 row_shr:4 row_mask:0xf bank_mask:0xf
	s_delay_alu instid0(VALU_DEP_2)
	v_mov_b32_dpp v14, v10 row_shr:4 row_mask:0xf bank_mask:0xf
	s_mov_b32 s1, exec_lo
	v_cmpx_lt_u32_e32 3, v13
; %bb.98:
	s_delay_alu instid0(VALU_DEP_3) | instskip(SKIP_2) | instid1(VALU_DEP_2)
	v_add_co_u32 v9, vcc_lo, v9, v15
	s_wait_alu 0xfffd
	v_add_co_ci_u32_e64 v10, null, 0, v10, vcc_lo
	v_add_co_u32 v9, vcc_lo, v9, 0
	s_wait_alu 0xfffd
	s_delay_alu instid0(VALU_DEP_2)
	v_add_co_ci_u32_e64 v10, null, v10, v14, vcc_lo
; %bb.99:
	s_wait_alu 0xfffe
	s_or_b32 exec_lo, exec_lo, s1
	ds_store_b64 v12, v[9:10]
.LBB2266_100:
	s_wait_alu 0xfffe
	s_or_b32 exec_lo, exec_lo, s0
	v_mov_b32_e32 v13, 0
	v_mov_b32_e32 v14, 0
	s_mov_b32 s0, exec_lo
	s_wait_loadcnt_dscnt 0x0
	s_barrier_signal -1
	s_barrier_wait -1
	global_inv scope:SCOPE_SE
	v_cmpx_lt_u32_e32 31, v0
; %bb.101:
	v_lshl_add_u32 v0, v11, 3, -8
	ds_load_b64 v[13:14], v0
; %bb.102:
	s_wait_alu 0xfffe
	s_or_b32 exec_lo, exec_lo, s0
	v_sub_co_u32 v0, vcc_lo, v33, 1
	s_wait_dscnt 0x0
	v_dual_mov_b32 v12, 0 :: v_dual_add_nc_u32 v9, v13, v19
	s_delay_alu instid0(VALU_DEP_2) | instskip(SKIP_1) | instid1(VALU_DEP_1)
	v_cmp_gt_i32_e64 s0, 0, v0
	s_wait_alu 0xf1ff
	v_cndmask_b32_e64 v0, v0, v33, s0
	s_delay_alu instid0(VALU_DEP_1)
	v_lshlrev_b32_e32 v0, 2, v0
	ds_bpermute_b32 v0, v0, v9
	ds_load_b64 v[9:10], v12 offset:56
	s_and_saveexec_b32 s0, s2
	s_cbranch_execz .LBB2266_104
; %bb.103:
	s_add_nc_u64 s[4:5], s[12:13], 0x200
	s_wait_alu 0xfffe
	v_dual_mov_b32 v11, 2 :: v_dual_mov_b32 v16, s5
	v_mov_b32_e32 v15, s4
	s_wait_dscnt 0x0
	;;#ASMSTART
	global_store_b128 v[15:16], v[9:12] off scope:SCOPE_DEV	
s_wait_storecnt 0x0
	;;#ASMEND
.LBB2266_104:
	s_wait_alu 0xfffe
	s_or_b32 exec_lo, exec_lo, s0
	s_wait_dscnt 0x1
	s_wait_alu 0xfffd
	v_dual_cndmask_b32 v0, v0, v13 :: v_dual_cndmask_b32 v11, 0, v14
	s_wait_loadcnt_dscnt 0x0
	s_barrier_signal -1
	s_barrier_wait -1
	s_delay_alu instid0(VALU_DEP_1)
	v_cndmask_b32_e64 v21, v0, 0, s2
	v_cndmask_b32_e64 v0, v11, 0, s2
	v_mov_b32_e32 v11, 0
	v_mov_b32_e32 v12, 0
	global_inv scope:SCOPE_SE
	v_add_co_u32 v15, vcc_lo, v21, v31
	s_wait_alu 0xfffd
	v_add_co_ci_u32_e64 v0, null, 0, v0, vcc_lo
	s_delay_alu instid0(VALU_DEP_2) | instskip(SKIP_1) | instid1(VALU_DEP_2)
	v_add_co_u32 v14, vcc_lo, v15, v30
	s_wait_alu 0xfffd
	v_add_co_ci_u32_e64 v0, null, 0, v0, vcc_lo
	s_delay_alu instid0(VALU_DEP_2) | instskip(SKIP_1) | instid1(VALU_DEP_2)
	v_add_co_u32 v13, vcc_lo, v14, v32
	s_wait_alu 0xfffd
	v_add_co_ci_u32_e64 v0, null, 0, v0, vcc_lo
.LBB2266_105:
	s_wait_dscnt 0x0
	v_cmp_gt_u64_e32 vcc_lo, 0x101, v[9:10]
	s_cbranch_vccz .LBB2266_108
; %bb.106:
	s_and_b32 s0, s2, s6
	s_wait_alu 0xfffe
	s_and_saveexec_b32 s1, s0
	s_cbranch_execnz .LBB2266_117
.LBB2266_107:
	s_endpgm
.LBB2266_108:
	v_and_b32_e32 v0, 1, v29
	s_mov_b32 s0, exec_lo
	s_delay_alu instid0(VALU_DEP_1)
	v_cmpx_eq_u32_e32 1, v0
; %bb.109:
	v_sub_nc_u32_e32 v0, v21, v11
	s_delay_alu instid0(VALU_DEP_1)
	v_lshlrev_b32_e32 v0, 3, v0
	ds_store_b64 v0, v[1:2]
; %bb.110:
	s_wait_alu 0xfffe
	s_or_b32 exec_lo, exec_lo, s0
	v_and_b32_e32 v0, 1, v28
	s_mov_b32 s0, exec_lo
	s_delay_alu instid0(VALU_DEP_1)
	v_cmpx_eq_u32_e32 1, v0
; %bb.111:
	v_sub_nc_u32_e32 v0, v15, v11
	s_delay_alu instid0(VALU_DEP_1)
	v_lshlrev_b32_e32 v0, 3, v0
	ds_store_b64 v0, v[5:6]
; %bb.112:
	s_wait_alu 0xfffe
	s_or_b32 exec_lo, exec_lo, s0
	;; [unrolled: 12-line block ×3, first 2 shown]
	s_and_saveexec_b32 s0, s7
; %bb.115:
	v_sub_nc_u32_e32 v0, v13, v11
	s_delay_alu instid0(VALU_DEP_1)
	v_lshlrev_b32_e32 v0, 3, v0
	ds_store_b64 v0, v[3:4]
; %bb.116:
	s_wait_alu 0xfffe
	s_or_b32 exec_lo, exec_lo, s0
	s_wait_loadcnt_dscnt 0x0
	s_barrier_signal -1
	s_barrier_wait -1
	global_inv scope:SCOPE_SE
	s_and_b32 s0, s2, s6
	s_wait_alu 0xfffe
	s_and_saveexec_b32 s1, s0
	s_cbranch_execz .LBB2266_107
.LBB2266_117:
	v_add_co_u32 v0, vcc_lo, v9, v17
	s_wait_alu 0xfffd
	v_add_co_ci_u32_e64 v1, null, v10, v18, vcc_lo
	v_mov_b32_e32 v2, 0
	s_delay_alu instid0(VALU_DEP_3) | instskip(SKIP_1) | instid1(VALU_DEP_3)
	v_add_co_u32 v0, vcc_lo, v0, v11
	s_wait_alu 0xfffd
	v_add_co_ci_u32_e64 v1, null, v1, v12, vcc_lo
	global_store_b64 v2, v[0:1], s[8:9]
	s_endpgm
.LBB2266_118:
	v_dual_mov_b32 v21, v1 :: v_dual_lshlrev_b32 v2, 3, v0
	v_dual_mov_b32 v22, v1 :: v_dual_mov_b32 v23, v1
	v_dual_mov_b32 v24, v1 :: v_dual_mov_b32 v25, v1
	s_delay_alu instid0(VALU_DEP_3)
	v_add_co_u32 v2, vcc_lo, v13, v2
	s_wait_alu 0xfffd
	v_add_co_ci_u32_e64 v3, null, 0, v14, vcc_lo
	v_mov_b32_e32 v26, v1
	flat_load_b64 v[19:20], v[2:3]
	s_wait_loadcnt_dscnt 0x0
	v_dual_mov_b32 v1, v19 :: v_dual_mov_b32 v2, v20
	v_dual_mov_b32 v3, v21 :: v_dual_mov_b32 v4, v22
	;; [unrolled: 1-line block ×4, first 2 shown]
	s_or_b32 exec_lo, exec_lo, s0
	s_delay_alu instid0(SALU_CYCLE_1)
	s_mov_b32 s0, exec_lo
	v_cmpx_gt_u32_e64 s11, v12
	s_cbranch_execz .LBB2266_9
.LBB2266_119:
	v_lshlrev_b32_e32 v3, 3, v0
	s_delay_alu instid0(VALU_DEP_1) | instskip(SKIP_4) | instid1(SALU_CYCLE_1)
	v_add_co_u32 v3, vcc_lo, v13, v3
	s_wait_alu 0xfffd
	v_add_co_ci_u32_e64 v4, null, 0, v14, vcc_lo
	flat_load_b64 v[3:4], v[3:4] offset:2048
	s_or_b32 exec_lo, exec_lo, s0
	s_mov_b32 s0, exec_lo
	v_cmpx_gt_u32_e64 s11, v11
	s_cbranch_execz .LBB2266_10
.LBB2266_120:
	v_lshlrev_b32_e32 v5, 3, v0
	s_delay_alu instid0(VALU_DEP_1) | instskip(SKIP_4) | instid1(SALU_CYCLE_1)
	v_add_co_u32 v5, vcc_lo, v13, v5
	s_wait_alu 0xfffd
	v_add_co_ci_u32_e64 v6, null, 0, v14, vcc_lo
	flat_load_b64 v[5:6], v[5:6] offset:4096
	s_or_b32 exec_lo, exec_lo, s0
	s_mov_b32 s0, exec_lo
	v_cmpx_gt_u32_e64 s11, v10
	s_cbranch_execnz .LBB2266_11
	s_branch .LBB2266_12
	.section	.rodata,"a",@progbits
	.p2align	6, 0x0
	.amdhsa_kernel _ZN7rocprim17ROCPRIM_400000_NS6detail17trampoline_kernelINS0_14default_configENS1_25partition_config_selectorILNS1_17partition_subalgoE6ExNS0_10empty_typeEbEEZZNS1_14partition_implILS5_6ELb0ES3_mN6thrust23THRUST_200600_302600_NS6detail15normal_iteratorINSA_10device_ptrIxEEEEPS6_SG_NS0_5tupleIJNSA_16discard_iteratorINSA_11use_defaultEEES6_EEENSH_IJSG_SG_EEES6_PlJNSB_9not_fun_tI7is_trueIxEEEEEE10hipError_tPvRmT3_T4_T5_T6_T7_T9_mT8_P12ihipStream_tbDpT10_ENKUlT_T0_E_clISt17integral_constantIbLb0EES1A_IbLb1EEEEDaS16_S17_EUlS16_E_NS1_11comp_targetILNS1_3genE10ELNS1_11target_archE1200ELNS1_3gpuE4ELNS1_3repE0EEENS1_30default_config_static_selectorELNS0_4arch9wavefront6targetE0EEEvT1_
		.amdhsa_group_segment_fixed_size 8464
		.amdhsa_private_segment_fixed_size 0
		.amdhsa_kernarg_size 136
		.amdhsa_user_sgpr_count 2
		.amdhsa_user_sgpr_dispatch_ptr 0
		.amdhsa_user_sgpr_queue_ptr 0
		.amdhsa_user_sgpr_kernarg_segment_ptr 1
		.amdhsa_user_sgpr_dispatch_id 0
		.amdhsa_user_sgpr_private_segment_size 0
		.amdhsa_wavefront_size32 1
		.amdhsa_uses_dynamic_stack 0
		.amdhsa_enable_private_segment 0
		.amdhsa_system_sgpr_workgroup_id_x 1
		.amdhsa_system_sgpr_workgroup_id_y 0
		.amdhsa_system_sgpr_workgroup_id_z 0
		.amdhsa_system_sgpr_workgroup_info 0
		.amdhsa_system_vgpr_workitem_id 0
		.amdhsa_next_free_vgpr 47
		.amdhsa_next_free_sgpr 20
		.amdhsa_reserve_vcc 1
		.amdhsa_float_round_mode_32 0
		.amdhsa_float_round_mode_16_64 0
		.amdhsa_float_denorm_mode_32 3
		.amdhsa_float_denorm_mode_16_64 3
		.amdhsa_fp16_overflow 0
		.amdhsa_workgroup_processor_mode 1
		.amdhsa_memory_ordered 1
		.amdhsa_forward_progress 1
		.amdhsa_inst_pref_size 47
		.amdhsa_round_robin_scheduling 0
		.amdhsa_exception_fp_ieee_invalid_op 0
		.amdhsa_exception_fp_denorm_src 0
		.amdhsa_exception_fp_ieee_div_zero 0
		.amdhsa_exception_fp_ieee_overflow 0
		.amdhsa_exception_fp_ieee_underflow 0
		.amdhsa_exception_fp_ieee_inexact 0
		.amdhsa_exception_int_div_zero 0
	.end_amdhsa_kernel
	.section	.text._ZN7rocprim17ROCPRIM_400000_NS6detail17trampoline_kernelINS0_14default_configENS1_25partition_config_selectorILNS1_17partition_subalgoE6ExNS0_10empty_typeEbEEZZNS1_14partition_implILS5_6ELb0ES3_mN6thrust23THRUST_200600_302600_NS6detail15normal_iteratorINSA_10device_ptrIxEEEEPS6_SG_NS0_5tupleIJNSA_16discard_iteratorINSA_11use_defaultEEES6_EEENSH_IJSG_SG_EEES6_PlJNSB_9not_fun_tI7is_trueIxEEEEEE10hipError_tPvRmT3_T4_T5_T6_T7_T9_mT8_P12ihipStream_tbDpT10_ENKUlT_T0_E_clISt17integral_constantIbLb0EES1A_IbLb1EEEEDaS16_S17_EUlS16_E_NS1_11comp_targetILNS1_3genE10ELNS1_11target_archE1200ELNS1_3gpuE4ELNS1_3repE0EEENS1_30default_config_static_selectorELNS0_4arch9wavefront6targetE0EEEvT1_,"axG",@progbits,_ZN7rocprim17ROCPRIM_400000_NS6detail17trampoline_kernelINS0_14default_configENS1_25partition_config_selectorILNS1_17partition_subalgoE6ExNS0_10empty_typeEbEEZZNS1_14partition_implILS5_6ELb0ES3_mN6thrust23THRUST_200600_302600_NS6detail15normal_iteratorINSA_10device_ptrIxEEEEPS6_SG_NS0_5tupleIJNSA_16discard_iteratorINSA_11use_defaultEEES6_EEENSH_IJSG_SG_EEES6_PlJNSB_9not_fun_tI7is_trueIxEEEEEE10hipError_tPvRmT3_T4_T5_T6_T7_T9_mT8_P12ihipStream_tbDpT10_ENKUlT_T0_E_clISt17integral_constantIbLb0EES1A_IbLb1EEEEDaS16_S17_EUlS16_E_NS1_11comp_targetILNS1_3genE10ELNS1_11target_archE1200ELNS1_3gpuE4ELNS1_3repE0EEENS1_30default_config_static_selectorELNS0_4arch9wavefront6targetE0EEEvT1_,comdat
.Lfunc_end2266:
	.size	_ZN7rocprim17ROCPRIM_400000_NS6detail17trampoline_kernelINS0_14default_configENS1_25partition_config_selectorILNS1_17partition_subalgoE6ExNS0_10empty_typeEbEEZZNS1_14partition_implILS5_6ELb0ES3_mN6thrust23THRUST_200600_302600_NS6detail15normal_iteratorINSA_10device_ptrIxEEEEPS6_SG_NS0_5tupleIJNSA_16discard_iteratorINSA_11use_defaultEEES6_EEENSH_IJSG_SG_EEES6_PlJNSB_9not_fun_tI7is_trueIxEEEEEE10hipError_tPvRmT3_T4_T5_T6_T7_T9_mT8_P12ihipStream_tbDpT10_ENKUlT_T0_E_clISt17integral_constantIbLb0EES1A_IbLb1EEEEDaS16_S17_EUlS16_E_NS1_11comp_targetILNS1_3genE10ELNS1_11target_archE1200ELNS1_3gpuE4ELNS1_3repE0EEENS1_30default_config_static_selectorELNS0_4arch9wavefront6targetE0EEEvT1_, .Lfunc_end2266-_ZN7rocprim17ROCPRIM_400000_NS6detail17trampoline_kernelINS0_14default_configENS1_25partition_config_selectorILNS1_17partition_subalgoE6ExNS0_10empty_typeEbEEZZNS1_14partition_implILS5_6ELb0ES3_mN6thrust23THRUST_200600_302600_NS6detail15normal_iteratorINSA_10device_ptrIxEEEEPS6_SG_NS0_5tupleIJNSA_16discard_iteratorINSA_11use_defaultEEES6_EEENSH_IJSG_SG_EEES6_PlJNSB_9not_fun_tI7is_trueIxEEEEEE10hipError_tPvRmT3_T4_T5_T6_T7_T9_mT8_P12ihipStream_tbDpT10_ENKUlT_T0_E_clISt17integral_constantIbLb0EES1A_IbLb1EEEEDaS16_S17_EUlS16_E_NS1_11comp_targetILNS1_3genE10ELNS1_11target_archE1200ELNS1_3gpuE4ELNS1_3repE0EEENS1_30default_config_static_selectorELNS0_4arch9wavefront6targetE0EEEvT1_
                                        ; -- End function
	.set _ZN7rocprim17ROCPRIM_400000_NS6detail17trampoline_kernelINS0_14default_configENS1_25partition_config_selectorILNS1_17partition_subalgoE6ExNS0_10empty_typeEbEEZZNS1_14partition_implILS5_6ELb0ES3_mN6thrust23THRUST_200600_302600_NS6detail15normal_iteratorINSA_10device_ptrIxEEEEPS6_SG_NS0_5tupleIJNSA_16discard_iteratorINSA_11use_defaultEEES6_EEENSH_IJSG_SG_EEES6_PlJNSB_9not_fun_tI7is_trueIxEEEEEE10hipError_tPvRmT3_T4_T5_T6_T7_T9_mT8_P12ihipStream_tbDpT10_ENKUlT_T0_E_clISt17integral_constantIbLb0EES1A_IbLb1EEEEDaS16_S17_EUlS16_E_NS1_11comp_targetILNS1_3genE10ELNS1_11target_archE1200ELNS1_3gpuE4ELNS1_3repE0EEENS1_30default_config_static_selectorELNS0_4arch9wavefront6targetE0EEEvT1_.num_vgpr, 47
	.set _ZN7rocprim17ROCPRIM_400000_NS6detail17trampoline_kernelINS0_14default_configENS1_25partition_config_selectorILNS1_17partition_subalgoE6ExNS0_10empty_typeEbEEZZNS1_14partition_implILS5_6ELb0ES3_mN6thrust23THRUST_200600_302600_NS6detail15normal_iteratorINSA_10device_ptrIxEEEEPS6_SG_NS0_5tupleIJNSA_16discard_iteratorINSA_11use_defaultEEES6_EEENSH_IJSG_SG_EEES6_PlJNSB_9not_fun_tI7is_trueIxEEEEEE10hipError_tPvRmT3_T4_T5_T6_T7_T9_mT8_P12ihipStream_tbDpT10_ENKUlT_T0_E_clISt17integral_constantIbLb0EES1A_IbLb1EEEEDaS16_S17_EUlS16_E_NS1_11comp_targetILNS1_3genE10ELNS1_11target_archE1200ELNS1_3gpuE4ELNS1_3repE0EEENS1_30default_config_static_selectorELNS0_4arch9wavefront6targetE0EEEvT1_.num_agpr, 0
	.set _ZN7rocprim17ROCPRIM_400000_NS6detail17trampoline_kernelINS0_14default_configENS1_25partition_config_selectorILNS1_17partition_subalgoE6ExNS0_10empty_typeEbEEZZNS1_14partition_implILS5_6ELb0ES3_mN6thrust23THRUST_200600_302600_NS6detail15normal_iteratorINSA_10device_ptrIxEEEEPS6_SG_NS0_5tupleIJNSA_16discard_iteratorINSA_11use_defaultEEES6_EEENSH_IJSG_SG_EEES6_PlJNSB_9not_fun_tI7is_trueIxEEEEEE10hipError_tPvRmT3_T4_T5_T6_T7_T9_mT8_P12ihipStream_tbDpT10_ENKUlT_T0_E_clISt17integral_constantIbLb0EES1A_IbLb1EEEEDaS16_S17_EUlS16_E_NS1_11comp_targetILNS1_3genE10ELNS1_11target_archE1200ELNS1_3gpuE4ELNS1_3repE0EEENS1_30default_config_static_selectorELNS0_4arch9wavefront6targetE0EEEvT1_.numbered_sgpr, 20
	.set _ZN7rocprim17ROCPRIM_400000_NS6detail17trampoline_kernelINS0_14default_configENS1_25partition_config_selectorILNS1_17partition_subalgoE6ExNS0_10empty_typeEbEEZZNS1_14partition_implILS5_6ELb0ES3_mN6thrust23THRUST_200600_302600_NS6detail15normal_iteratorINSA_10device_ptrIxEEEEPS6_SG_NS0_5tupleIJNSA_16discard_iteratorINSA_11use_defaultEEES6_EEENSH_IJSG_SG_EEES6_PlJNSB_9not_fun_tI7is_trueIxEEEEEE10hipError_tPvRmT3_T4_T5_T6_T7_T9_mT8_P12ihipStream_tbDpT10_ENKUlT_T0_E_clISt17integral_constantIbLb0EES1A_IbLb1EEEEDaS16_S17_EUlS16_E_NS1_11comp_targetILNS1_3genE10ELNS1_11target_archE1200ELNS1_3gpuE4ELNS1_3repE0EEENS1_30default_config_static_selectorELNS0_4arch9wavefront6targetE0EEEvT1_.num_named_barrier, 0
	.set _ZN7rocprim17ROCPRIM_400000_NS6detail17trampoline_kernelINS0_14default_configENS1_25partition_config_selectorILNS1_17partition_subalgoE6ExNS0_10empty_typeEbEEZZNS1_14partition_implILS5_6ELb0ES3_mN6thrust23THRUST_200600_302600_NS6detail15normal_iteratorINSA_10device_ptrIxEEEEPS6_SG_NS0_5tupleIJNSA_16discard_iteratorINSA_11use_defaultEEES6_EEENSH_IJSG_SG_EEES6_PlJNSB_9not_fun_tI7is_trueIxEEEEEE10hipError_tPvRmT3_T4_T5_T6_T7_T9_mT8_P12ihipStream_tbDpT10_ENKUlT_T0_E_clISt17integral_constantIbLb0EES1A_IbLb1EEEEDaS16_S17_EUlS16_E_NS1_11comp_targetILNS1_3genE10ELNS1_11target_archE1200ELNS1_3gpuE4ELNS1_3repE0EEENS1_30default_config_static_selectorELNS0_4arch9wavefront6targetE0EEEvT1_.private_seg_size, 0
	.set _ZN7rocprim17ROCPRIM_400000_NS6detail17trampoline_kernelINS0_14default_configENS1_25partition_config_selectorILNS1_17partition_subalgoE6ExNS0_10empty_typeEbEEZZNS1_14partition_implILS5_6ELb0ES3_mN6thrust23THRUST_200600_302600_NS6detail15normal_iteratorINSA_10device_ptrIxEEEEPS6_SG_NS0_5tupleIJNSA_16discard_iteratorINSA_11use_defaultEEES6_EEENSH_IJSG_SG_EEES6_PlJNSB_9not_fun_tI7is_trueIxEEEEEE10hipError_tPvRmT3_T4_T5_T6_T7_T9_mT8_P12ihipStream_tbDpT10_ENKUlT_T0_E_clISt17integral_constantIbLb0EES1A_IbLb1EEEEDaS16_S17_EUlS16_E_NS1_11comp_targetILNS1_3genE10ELNS1_11target_archE1200ELNS1_3gpuE4ELNS1_3repE0EEENS1_30default_config_static_selectorELNS0_4arch9wavefront6targetE0EEEvT1_.uses_vcc, 1
	.set _ZN7rocprim17ROCPRIM_400000_NS6detail17trampoline_kernelINS0_14default_configENS1_25partition_config_selectorILNS1_17partition_subalgoE6ExNS0_10empty_typeEbEEZZNS1_14partition_implILS5_6ELb0ES3_mN6thrust23THRUST_200600_302600_NS6detail15normal_iteratorINSA_10device_ptrIxEEEEPS6_SG_NS0_5tupleIJNSA_16discard_iteratorINSA_11use_defaultEEES6_EEENSH_IJSG_SG_EEES6_PlJNSB_9not_fun_tI7is_trueIxEEEEEE10hipError_tPvRmT3_T4_T5_T6_T7_T9_mT8_P12ihipStream_tbDpT10_ENKUlT_T0_E_clISt17integral_constantIbLb0EES1A_IbLb1EEEEDaS16_S17_EUlS16_E_NS1_11comp_targetILNS1_3genE10ELNS1_11target_archE1200ELNS1_3gpuE4ELNS1_3repE0EEENS1_30default_config_static_selectorELNS0_4arch9wavefront6targetE0EEEvT1_.uses_flat_scratch, 1
	.set _ZN7rocprim17ROCPRIM_400000_NS6detail17trampoline_kernelINS0_14default_configENS1_25partition_config_selectorILNS1_17partition_subalgoE6ExNS0_10empty_typeEbEEZZNS1_14partition_implILS5_6ELb0ES3_mN6thrust23THRUST_200600_302600_NS6detail15normal_iteratorINSA_10device_ptrIxEEEEPS6_SG_NS0_5tupleIJNSA_16discard_iteratorINSA_11use_defaultEEES6_EEENSH_IJSG_SG_EEES6_PlJNSB_9not_fun_tI7is_trueIxEEEEEE10hipError_tPvRmT3_T4_T5_T6_T7_T9_mT8_P12ihipStream_tbDpT10_ENKUlT_T0_E_clISt17integral_constantIbLb0EES1A_IbLb1EEEEDaS16_S17_EUlS16_E_NS1_11comp_targetILNS1_3genE10ELNS1_11target_archE1200ELNS1_3gpuE4ELNS1_3repE0EEENS1_30default_config_static_selectorELNS0_4arch9wavefront6targetE0EEEvT1_.has_dyn_sized_stack, 0
	.set _ZN7rocprim17ROCPRIM_400000_NS6detail17trampoline_kernelINS0_14default_configENS1_25partition_config_selectorILNS1_17partition_subalgoE6ExNS0_10empty_typeEbEEZZNS1_14partition_implILS5_6ELb0ES3_mN6thrust23THRUST_200600_302600_NS6detail15normal_iteratorINSA_10device_ptrIxEEEEPS6_SG_NS0_5tupleIJNSA_16discard_iteratorINSA_11use_defaultEEES6_EEENSH_IJSG_SG_EEES6_PlJNSB_9not_fun_tI7is_trueIxEEEEEE10hipError_tPvRmT3_T4_T5_T6_T7_T9_mT8_P12ihipStream_tbDpT10_ENKUlT_T0_E_clISt17integral_constantIbLb0EES1A_IbLb1EEEEDaS16_S17_EUlS16_E_NS1_11comp_targetILNS1_3genE10ELNS1_11target_archE1200ELNS1_3gpuE4ELNS1_3repE0EEENS1_30default_config_static_selectorELNS0_4arch9wavefront6targetE0EEEvT1_.has_recursion, 0
	.set _ZN7rocprim17ROCPRIM_400000_NS6detail17trampoline_kernelINS0_14default_configENS1_25partition_config_selectorILNS1_17partition_subalgoE6ExNS0_10empty_typeEbEEZZNS1_14partition_implILS5_6ELb0ES3_mN6thrust23THRUST_200600_302600_NS6detail15normal_iteratorINSA_10device_ptrIxEEEEPS6_SG_NS0_5tupleIJNSA_16discard_iteratorINSA_11use_defaultEEES6_EEENSH_IJSG_SG_EEES6_PlJNSB_9not_fun_tI7is_trueIxEEEEEE10hipError_tPvRmT3_T4_T5_T6_T7_T9_mT8_P12ihipStream_tbDpT10_ENKUlT_T0_E_clISt17integral_constantIbLb0EES1A_IbLb1EEEEDaS16_S17_EUlS16_E_NS1_11comp_targetILNS1_3genE10ELNS1_11target_archE1200ELNS1_3gpuE4ELNS1_3repE0EEENS1_30default_config_static_selectorELNS0_4arch9wavefront6targetE0EEEvT1_.has_indirect_call, 0
	.section	.AMDGPU.csdata,"",@progbits
; Kernel info:
; codeLenInByte = 5912
; TotalNumSgprs: 22
; NumVgprs: 47
; ScratchSize: 0
; MemoryBound: 0
; FloatMode: 240
; IeeeMode: 1
; LDSByteSize: 8464 bytes/workgroup (compile time only)
; SGPRBlocks: 0
; VGPRBlocks: 5
; NumSGPRsForWavesPerEU: 22
; NumVGPRsForWavesPerEU: 47
; Occupancy: 16
; WaveLimiterHint : 1
; COMPUTE_PGM_RSRC2:SCRATCH_EN: 0
; COMPUTE_PGM_RSRC2:USER_SGPR: 2
; COMPUTE_PGM_RSRC2:TRAP_HANDLER: 0
; COMPUTE_PGM_RSRC2:TGID_X_EN: 1
; COMPUTE_PGM_RSRC2:TGID_Y_EN: 0
; COMPUTE_PGM_RSRC2:TGID_Z_EN: 0
; COMPUTE_PGM_RSRC2:TIDIG_COMP_CNT: 0
	.section	.text._ZN7rocprim17ROCPRIM_400000_NS6detail17trampoline_kernelINS0_14default_configENS1_25partition_config_selectorILNS1_17partition_subalgoE6ExNS0_10empty_typeEbEEZZNS1_14partition_implILS5_6ELb0ES3_mN6thrust23THRUST_200600_302600_NS6detail15normal_iteratorINSA_10device_ptrIxEEEEPS6_SG_NS0_5tupleIJNSA_16discard_iteratorINSA_11use_defaultEEES6_EEENSH_IJSG_SG_EEES6_PlJNSB_9not_fun_tI7is_trueIxEEEEEE10hipError_tPvRmT3_T4_T5_T6_T7_T9_mT8_P12ihipStream_tbDpT10_ENKUlT_T0_E_clISt17integral_constantIbLb0EES1A_IbLb1EEEEDaS16_S17_EUlS16_E_NS1_11comp_targetILNS1_3genE9ELNS1_11target_archE1100ELNS1_3gpuE3ELNS1_3repE0EEENS1_30default_config_static_selectorELNS0_4arch9wavefront6targetE0EEEvT1_,"axG",@progbits,_ZN7rocprim17ROCPRIM_400000_NS6detail17trampoline_kernelINS0_14default_configENS1_25partition_config_selectorILNS1_17partition_subalgoE6ExNS0_10empty_typeEbEEZZNS1_14partition_implILS5_6ELb0ES3_mN6thrust23THRUST_200600_302600_NS6detail15normal_iteratorINSA_10device_ptrIxEEEEPS6_SG_NS0_5tupleIJNSA_16discard_iteratorINSA_11use_defaultEEES6_EEENSH_IJSG_SG_EEES6_PlJNSB_9not_fun_tI7is_trueIxEEEEEE10hipError_tPvRmT3_T4_T5_T6_T7_T9_mT8_P12ihipStream_tbDpT10_ENKUlT_T0_E_clISt17integral_constantIbLb0EES1A_IbLb1EEEEDaS16_S17_EUlS16_E_NS1_11comp_targetILNS1_3genE9ELNS1_11target_archE1100ELNS1_3gpuE3ELNS1_3repE0EEENS1_30default_config_static_selectorELNS0_4arch9wavefront6targetE0EEEvT1_,comdat
	.protected	_ZN7rocprim17ROCPRIM_400000_NS6detail17trampoline_kernelINS0_14default_configENS1_25partition_config_selectorILNS1_17partition_subalgoE6ExNS0_10empty_typeEbEEZZNS1_14partition_implILS5_6ELb0ES3_mN6thrust23THRUST_200600_302600_NS6detail15normal_iteratorINSA_10device_ptrIxEEEEPS6_SG_NS0_5tupleIJNSA_16discard_iteratorINSA_11use_defaultEEES6_EEENSH_IJSG_SG_EEES6_PlJNSB_9not_fun_tI7is_trueIxEEEEEE10hipError_tPvRmT3_T4_T5_T6_T7_T9_mT8_P12ihipStream_tbDpT10_ENKUlT_T0_E_clISt17integral_constantIbLb0EES1A_IbLb1EEEEDaS16_S17_EUlS16_E_NS1_11comp_targetILNS1_3genE9ELNS1_11target_archE1100ELNS1_3gpuE3ELNS1_3repE0EEENS1_30default_config_static_selectorELNS0_4arch9wavefront6targetE0EEEvT1_ ; -- Begin function _ZN7rocprim17ROCPRIM_400000_NS6detail17trampoline_kernelINS0_14default_configENS1_25partition_config_selectorILNS1_17partition_subalgoE6ExNS0_10empty_typeEbEEZZNS1_14partition_implILS5_6ELb0ES3_mN6thrust23THRUST_200600_302600_NS6detail15normal_iteratorINSA_10device_ptrIxEEEEPS6_SG_NS0_5tupleIJNSA_16discard_iteratorINSA_11use_defaultEEES6_EEENSH_IJSG_SG_EEES6_PlJNSB_9not_fun_tI7is_trueIxEEEEEE10hipError_tPvRmT3_T4_T5_T6_T7_T9_mT8_P12ihipStream_tbDpT10_ENKUlT_T0_E_clISt17integral_constantIbLb0EES1A_IbLb1EEEEDaS16_S17_EUlS16_E_NS1_11comp_targetILNS1_3genE9ELNS1_11target_archE1100ELNS1_3gpuE3ELNS1_3repE0EEENS1_30default_config_static_selectorELNS0_4arch9wavefront6targetE0EEEvT1_
	.globl	_ZN7rocprim17ROCPRIM_400000_NS6detail17trampoline_kernelINS0_14default_configENS1_25partition_config_selectorILNS1_17partition_subalgoE6ExNS0_10empty_typeEbEEZZNS1_14partition_implILS5_6ELb0ES3_mN6thrust23THRUST_200600_302600_NS6detail15normal_iteratorINSA_10device_ptrIxEEEEPS6_SG_NS0_5tupleIJNSA_16discard_iteratorINSA_11use_defaultEEES6_EEENSH_IJSG_SG_EEES6_PlJNSB_9not_fun_tI7is_trueIxEEEEEE10hipError_tPvRmT3_T4_T5_T6_T7_T9_mT8_P12ihipStream_tbDpT10_ENKUlT_T0_E_clISt17integral_constantIbLb0EES1A_IbLb1EEEEDaS16_S17_EUlS16_E_NS1_11comp_targetILNS1_3genE9ELNS1_11target_archE1100ELNS1_3gpuE3ELNS1_3repE0EEENS1_30default_config_static_selectorELNS0_4arch9wavefront6targetE0EEEvT1_
	.p2align	8
	.type	_ZN7rocprim17ROCPRIM_400000_NS6detail17trampoline_kernelINS0_14default_configENS1_25partition_config_selectorILNS1_17partition_subalgoE6ExNS0_10empty_typeEbEEZZNS1_14partition_implILS5_6ELb0ES3_mN6thrust23THRUST_200600_302600_NS6detail15normal_iteratorINSA_10device_ptrIxEEEEPS6_SG_NS0_5tupleIJNSA_16discard_iteratorINSA_11use_defaultEEES6_EEENSH_IJSG_SG_EEES6_PlJNSB_9not_fun_tI7is_trueIxEEEEEE10hipError_tPvRmT3_T4_T5_T6_T7_T9_mT8_P12ihipStream_tbDpT10_ENKUlT_T0_E_clISt17integral_constantIbLb0EES1A_IbLb1EEEEDaS16_S17_EUlS16_E_NS1_11comp_targetILNS1_3genE9ELNS1_11target_archE1100ELNS1_3gpuE3ELNS1_3repE0EEENS1_30default_config_static_selectorELNS0_4arch9wavefront6targetE0EEEvT1_,@function
_ZN7rocprim17ROCPRIM_400000_NS6detail17trampoline_kernelINS0_14default_configENS1_25partition_config_selectorILNS1_17partition_subalgoE6ExNS0_10empty_typeEbEEZZNS1_14partition_implILS5_6ELb0ES3_mN6thrust23THRUST_200600_302600_NS6detail15normal_iteratorINSA_10device_ptrIxEEEEPS6_SG_NS0_5tupleIJNSA_16discard_iteratorINSA_11use_defaultEEES6_EEENSH_IJSG_SG_EEES6_PlJNSB_9not_fun_tI7is_trueIxEEEEEE10hipError_tPvRmT3_T4_T5_T6_T7_T9_mT8_P12ihipStream_tbDpT10_ENKUlT_T0_E_clISt17integral_constantIbLb0EES1A_IbLb1EEEEDaS16_S17_EUlS16_E_NS1_11comp_targetILNS1_3genE9ELNS1_11target_archE1100ELNS1_3gpuE3ELNS1_3repE0EEENS1_30default_config_static_selectorELNS0_4arch9wavefront6targetE0EEEvT1_: ; @_ZN7rocprim17ROCPRIM_400000_NS6detail17trampoline_kernelINS0_14default_configENS1_25partition_config_selectorILNS1_17partition_subalgoE6ExNS0_10empty_typeEbEEZZNS1_14partition_implILS5_6ELb0ES3_mN6thrust23THRUST_200600_302600_NS6detail15normal_iteratorINSA_10device_ptrIxEEEEPS6_SG_NS0_5tupleIJNSA_16discard_iteratorINSA_11use_defaultEEES6_EEENSH_IJSG_SG_EEES6_PlJNSB_9not_fun_tI7is_trueIxEEEEEE10hipError_tPvRmT3_T4_T5_T6_T7_T9_mT8_P12ihipStream_tbDpT10_ENKUlT_T0_E_clISt17integral_constantIbLb0EES1A_IbLb1EEEEDaS16_S17_EUlS16_E_NS1_11comp_targetILNS1_3genE9ELNS1_11target_archE1100ELNS1_3gpuE3ELNS1_3repE0EEENS1_30default_config_static_selectorELNS0_4arch9wavefront6targetE0EEEvT1_
; %bb.0:
	.section	.rodata,"a",@progbits
	.p2align	6, 0x0
	.amdhsa_kernel _ZN7rocprim17ROCPRIM_400000_NS6detail17trampoline_kernelINS0_14default_configENS1_25partition_config_selectorILNS1_17partition_subalgoE6ExNS0_10empty_typeEbEEZZNS1_14partition_implILS5_6ELb0ES3_mN6thrust23THRUST_200600_302600_NS6detail15normal_iteratorINSA_10device_ptrIxEEEEPS6_SG_NS0_5tupleIJNSA_16discard_iteratorINSA_11use_defaultEEES6_EEENSH_IJSG_SG_EEES6_PlJNSB_9not_fun_tI7is_trueIxEEEEEE10hipError_tPvRmT3_T4_T5_T6_T7_T9_mT8_P12ihipStream_tbDpT10_ENKUlT_T0_E_clISt17integral_constantIbLb0EES1A_IbLb1EEEEDaS16_S17_EUlS16_E_NS1_11comp_targetILNS1_3genE9ELNS1_11target_archE1100ELNS1_3gpuE3ELNS1_3repE0EEENS1_30default_config_static_selectorELNS0_4arch9wavefront6targetE0EEEvT1_
		.amdhsa_group_segment_fixed_size 0
		.amdhsa_private_segment_fixed_size 0
		.amdhsa_kernarg_size 136
		.amdhsa_user_sgpr_count 2
		.amdhsa_user_sgpr_dispatch_ptr 0
		.amdhsa_user_sgpr_queue_ptr 0
		.amdhsa_user_sgpr_kernarg_segment_ptr 1
		.amdhsa_user_sgpr_dispatch_id 0
		.amdhsa_user_sgpr_private_segment_size 0
		.amdhsa_wavefront_size32 1
		.amdhsa_uses_dynamic_stack 0
		.amdhsa_enable_private_segment 0
		.amdhsa_system_sgpr_workgroup_id_x 1
		.amdhsa_system_sgpr_workgroup_id_y 0
		.amdhsa_system_sgpr_workgroup_id_z 0
		.amdhsa_system_sgpr_workgroup_info 0
		.amdhsa_system_vgpr_workitem_id 0
		.amdhsa_next_free_vgpr 1
		.amdhsa_next_free_sgpr 1
		.amdhsa_reserve_vcc 0
		.amdhsa_float_round_mode_32 0
		.amdhsa_float_round_mode_16_64 0
		.amdhsa_float_denorm_mode_32 3
		.amdhsa_float_denorm_mode_16_64 3
		.amdhsa_fp16_overflow 0
		.amdhsa_workgroup_processor_mode 1
		.amdhsa_memory_ordered 1
		.amdhsa_forward_progress 1
		.amdhsa_inst_pref_size 0
		.amdhsa_round_robin_scheduling 0
		.amdhsa_exception_fp_ieee_invalid_op 0
		.amdhsa_exception_fp_denorm_src 0
		.amdhsa_exception_fp_ieee_div_zero 0
		.amdhsa_exception_fp_ieee_overflow 0
		.amdhsa_exception_fp_ieee_underflow 0
		.amdhsa_exception_fp_ieee_inexact 0
		.amdhsa_exception_int_div_zero 0
	.end_amdhsa_kernel
	.section	.text._ZN7rocprim17ROCPRIM_400000_NS6detail17trampoline_kernelINS0_14default_configENS1_25partition_config_selectorILNS1_17partition_subalgoE6ExNS0_10empty_typeEbEEZZNS1_14partition_implILS5_6ELb0ES3_mN6thrust23THRUST_200600_302600_NS6detail15normal_iteratorINSA_10device_ptrIxEEEEPS6_SG_NS0_5tupleIJNSA_16discard_iteratorINSA_11use_defaultEEES6_EEENSH_IJSG_SG_EEES6_PlJNSB_9not_fun_tI7is_trueIxEEEEEE10hipError_tPvRmT3_T4_T5_T6_T7_T9_mT8_P12ihipStream_tbDpT10_ENKUlT_T0_E_clISt17integral_constantIbLb0EES1A_IbLb1EEEEDaS16_S17_EUlS16_E_NS1_11comp_targetILNS1_3genE9ELNS1_11target_archE1100ELNS1_3gpuE3ELNS1_3repE0EEENS1_30default_config_static_selectorELNS0_4arch9wavefront6targetE0EEEvT1_,"axG",@progbits,_ZN7rocprim17ROCPRIM_400000_NS6detail17trampoline_kernelINS0_14default_configENS1_25partition_config_selectorILNS1_17partition_subalgoE6ExNS0_10empty_typeEbEEZZNS1_14partition_implILS5_6ELb0ES3_mN6thrust23THRUST_200600_302600_NS6detail15normal_iteratorINSA_10device_ptrIxEEEEPS6_SG_NS0_5tupleIJNSA_16discard_iteratorINSA_11use_defaultEEES6_EEENSH_IJSG_SG_EEES6_PlJNSB_9not_fun_tI7is_trueIxEEEEEE10hipError_tPvRmT3_T4_T5_T6_T7_T9_mT8_P12ihipStream_tbDpT10_ENKUlT_T0_E_clISt17integral_constantIbLb0EES1A_IbLb1EEEEDaS16_S17_EUlS16_E_NS1_11comp_targetILNS1_3genE9ELNS1_11target_archE1100ELNS1_3gpuE3ELNS1_3repE0EEENS1_30default_config_static_selectorELNS0_4arch9wavefront6targetE0EEEvT1_,comdat
.Lfunc_end2267:
	.size	_ZN7rocprim17ROCPRIM_400000_NS6detail17trampoline_kernelINS0_14default_configENS1_25partition_config_selectorILNS1_17partition_subalgoE6ExNS0_10empty_typeEbEEZZNS1_14partition_implILS5_6ELb0ES3_mN6thrust23THRUST_200600_302600_NS6detail15normal_iteratorINSA_10device_ptrIxEEEEPS6_SG_NS0_5tupleIJNSA_16discard_iteratorINSA_11use_defaultEEES6_EEENSH_IJSG_SG_EEES6_PlJNSB_9not_fun_tI7is_trueIxEEEEEE10hipError_tPvRmT3_T4_T5_T6_T7_T9_mT8_P12ihipStream_tbDpT10_ENKUlT_T0_E_clISt17integral_constantIbLb0EES1A_IbLb1EEEEDaS16_S17_EUlS16_E_NS1_11comp_targetILNS1_3genE9ELNS1_11target_archE1100ELNS1_3gpuE3ELNS1_3repE0EEENS1_30default_config_static_selectorELNS0_4arch9wavefront6targetE0EEEvT1_, .Lfunc_end2267-_ZN7rocprim17ROCPRIM_400000_NS6detail17trampoline_kernelINS0_14default_configENS1_25partition_config_selectorILNS1_17partition_subalgoE6ExNS0_10empty_typeEbEEZZNS1_14partition_implILS5_6ELb0ES3_mN6thrust23THRUST_200600_302600_NS6detail15normal_iteratorINSA_10device_ptrIxEEEEPS6_SG_NS0_5tupleIJNSA_16discard_iteratorINSA_11use_defaultEEES6_EEENSH_IJSG_SG_EEES6_PlJNSB_9not_fun_tI7is_trueIxEEEEEE10hipError_tPvRmT3_T4_T5_T6_T7_T9_mT8_P12ihipStream_tbDpT10_ENKUlT_T0_E_clISt17integral_constantIbLb0EES1A_IbLb1EEEEDaS16_S17_EUlS16_E_NS1_11comp_targetILNS1_3genE9ELNS1_11target_archE1100ELNS1_3gpuE3ELNS1_3repE0EEENS1_30default_config_static_selectorELNS0_4arch9wavefront6targetE0EEEvT1_
                                        ; -- End function
	.set _ZN7rocprim17ROCPRIM_400000_NS6detail17trampoline_kernelINS0_14default_configENS1_25partition_config_selectorILNS1_17partition_subalgoE6ExNS0_10empty_typeEbEEZZNS1_14partition_implILS5_6ELb0ES3_mN6thrust23THRUST_200600_302600_NS6detail15normal_iteratorINSA_10device_ptrIxEEEEPS6_SG_NS0_5tupleIJNSA_16discard_iteratorINSA_11use_defaultEEES6_EEENSH_IJSG_SG_EEES6_PlJNSB_9not_fun_tI7is_trueIxEEEEEE10hipError_tPvRmT3_T4_T5_T6_T7_T9_mT8_P12ihipStream_tbDpT10_ENKUlT_T0_E_clISt17integral_constantIbLb0EES1A_IbLb1EEEEDaS16_S17_EUlS16_E_NS1_11comp_targetILNS1_3genE9ELNS1_11target_archE1100ELNS1_3gpuE3ELNS1_3repE0EEENS1_30default_config_static_selectorELNS0_4arch9wavefront6targetE0EEEvT1_.num_vgpr, 0
	.set _ZN7rocprim17ROCPRIM_400000_NS6detail17trampoline_kernelINS0_14default_configENS1_25partition_config_selectorILNS1_17partition_subalgoE6ExNS0_10empty_typeEbEEZZNS1_14partition_implILS5_6ELb0ES3_mN6thrust23THRUST_200600_302600_NS6detail15normal_iteratorINSA_10device_ptrIxEEEEPS6_SG_NS0_5tupleIJNSA_16discard_iteratorINSA_11use_defaultEEES6_EEENSH_IJSG_SG_EEES6_PlJNSB_9not_fun_tI7is_trueIxEEEEEE10hipError_tPvRmT3_T4_T5_T6_T7_T9_mT8_P12ihipStream_tbDpT10_ENKUlT_T0_E_clISt17integral_constantIbLb0EES1A_IbLb1EEEEDaS16_S17_EUlS16_E_NS1_11comp_targetILNS1_3genE9ELNS1_11target_archE1100ELNS1_3gpuE3ELNS1_3repE0EEENS1_30default_config_static_selectorELNS0_4arch9wavefront6targetE0EEEvT1_.num_agpr, 0
	.set _ZN7rocprim17ROCPRIM_400000_NS6detail17trampoline_kernelINS0_14default_configENS1_25partition_config_selectorILNS1_17partition_subalgoE6ExNS0_10empty_typeEbEEZZNS1_14partition_implILS5_6ELb0ES3_mN6thrust23THRUST_200600_302600_NS6detail15normal_iteratorINSA_10device_ptrIxEEEEPS6_SG_NS0_5tupleIJNSA_16discard_iteratorINSA_11use_defaultEEES6_EEENSH_IJSG_SG_EEES6_PlJNSB_9not_fun_tI7is_trueIxEEEEEE10hipError_tPvRmT3_T4_T5_T6_T7_T9_mT8_P12ihipStream_tbDpT10_ENKUlT_T0_E_clISt17integral_constantIbLb0EES1A_IbLb1EEEEDaS16_S17_EUlS16_E_NS1_11comp_targetILNS1_3genE9ELNS1_11target_archE1100ELNS1_3gpuE3ELNS1_3repE0EEENS1_30default_config_static_selectorELNS0_4arch9wavefront6targetE0EEEvT1_.numbered_sgpr, 0
	.set _ZN7rocprim17ROCPRIM_400000_NS6detail17trampoline_kernelINS0_14default_configENS1_25partition_config_selectorILNS1_17partition_subalgoE6ExNS0_10empty_typeEbEEZZNS1_14partition_implILS5_6ELb0ES3_mN6thrust23THRUST_200600_302600_NS6detail15normal_iteratorINSA_10device_ptrIxEEEEPS6_SG_NS0_5tupleIJNSA_16discard_iteratorINSA_11use_defaultEEES6_EEENSH_IJSG_SG_EEES6_PlJNSB_9not_fun_tI7is_trueIxEEEEEE10hipError_tPvRmT3_T4_T5_T6_T7_T9_mT8_P12ihipStream_tbDpT10_ENKUlT_T0_E_clISt17integral_constantIbLb0EES1A_IbLb1EEEEDaS16_S17_EUlS16_E_NS1_11comp_targetILNS1_3genE9ELNS1_11target_archE1100ELNS1_3gpuE3ELNS1_3repE0EEENS1_30default_config_static_selectorELNS0_4arch9wavefront6targetE0EEEvT1_.num_named_barrier, 0
	.set _ZN7rocprim17ROCPRIM_400000_NS6detail17trampoline_kernelINS0_14default_configENS1_25partition_config_selectorILNS1_17partition_subalgoE6ExNS0_10empty_typeEbEEZZNS1_14partition_implILS5_6ELb0ES3_mN6thrust23THRUST_200600_302600_NS6detail15normal_iteratorINSA_10device_ptrIxEEEEPS6_SG_NS0_5tupleIJNSA_16discard_iteratorINSA_11use_defaultEEES6_EEENSH_IJSG_SG_EEES6_PlJNSB_9not_fun_tI7is_trueIxEEEEEE10hipError_tPvRmT3_T4_T5_T6_T7_T9_mT8_P12ihipStream_tbDpT10_ENKUlT_T0_E_clISt17integral_constantIbLb0EES1A_IbLb1EEEEDaS16_S17_EUlS16_E_NS1_11comp_targetILNS1_3genE9ELNS1_11target_archE1100ELNS1_3gpuE3ELNS1_3repE0EEENS1_30default_config_static_selectorELNS0_4arch9wavefront6targetE0EEEvT1_.private_seg_size, 0
	.set _ZN7rocprim17ROCPRIM_400000_NS6detail17trampoline_kernelINS0_14default_configENS1_25partition_config_selectorILNS1_17partition_subalgoE6ExNS0_10empty_typeEbEEZZNS1_14partition_implILS5_6ELb0ES3_mN6thrust23THRUST_200600_302600_NS6detail15normal_iteratorINSA_10device_ptrIxEEEEPS6_SG_NS0_5tupleIJNSA_16discard_iteratorINSA_11use_defaultEEES6_EEENSH_IJSG_SG_EEES6_PlJNSB_9not_fun_tI7is_trueIxEEEEEE10hipError_tPvRmT3_T4_T5_T6_T7_T9_mT8_P12ihipStream_tbDpT10_ENKUlT_T0_E_clISt17integral_constantIbLb0EES1A_IbLb1EEEEDaS16_S17_EUlS16_E_NS1_11comp_targetILNS1_3genE9ELNS1_11target_archE1100ELNS1_3gpuE3ELNS1_3repE0EEENS1_30default_config_static_selectorELNS0_4arch9wavefront6targetE0EEEvT1_.uses_vcc, 0
	.set _ZN7rocprim17ROCPRIM_400000_NS6detail17trampoline_kernelINS0_14default_configENS1_25partition_config_selectorILNS1_17partition_subalgoE6ExNS0_10empty_typeEbEEZZNS1_14partition_implILS5_6ELb0ES3_mN6thrust23THRUST_200600_302600_NS6detail15normal_iteratorINSA_10device_ptrIxEEEEPS6_SG_NS0_5tupleIJNSA_16discard_iteratorINSA_11use_defaultEEES6_EEENSH_IJSG_SG_EEES6_PlJNSB_9not_fun_tI7is_trueIxEEEEEE10hipError_tPvRmT3_T4_T5_T6_T7_T9_mT8_P12ihipStream_tbDpT10_ENKUlT_T0_E_clISt17integral_constantIbLb0EES1A_IbLb1EEEEDaS16_S17_EUlS16_E_NS1_11comp_targetILNS1_3genE9ELNS1_11target_archE1100ELNS1_3gpuE3ELNS1_3repE0EEENS1_30default_config_static_selectorELNS0_4arch9wavefront6targetE0EEEvT1_.uses_flat_scratch, 0
	.set _ZN7rocprim17ROCPRIM_400000_NS6detail17trampoline_kernelINS0_14default_configENS1_25partition_config_selectorILNS1_17partition_subalgoE6ExNS0_10empty_typeEbEEZZNS1_14partition_implILS5_6ELb0ES3_mN6thrust23THRUST_200600_302600_NS6detail15normal_iteratorINSA_10device_ptrIxEEEEPS6_SG_NS0_5tupleIJNSA_16discard_iteratorINSA_11use_defaultEEES6_EEENSH_IJSG_SG_EEES6_PlJNSB_9not_fun_tI7is_trueIxEEEEEE10hipError_tPvRmT3_T4_T5_T6_T7_T9_mT8_P12ihipStream_tbDpT10_ENKUlT_T0_E_clISt17integral_constantIbLb0EES1A_IbLb1EEEEDaS16_S17_EUlS16_E_NS1_11comp_targetILNS1_3genE9ELNS1_11target_archE1100ELNS1_3gpuE3ELNS1_3repE0EEENS1_30default_config_static_selectorELNS0_4arch9wavefront6targetE0EEEvT1_.has_dyn_sized_stack, 0
	.set _ZN7rocprim17ROCPRIM_400000_NS6detail17trampoline_kernelINS0_14default_configENS1_25partition_config_selectorILNS1_17partition_subalgoE6ExNS0_10empty_typeEbEEZZNS1_14partition_implILS5_6ELb0ES3_mN6thrust23THRUST_200600_302600_NS6detail15normal_iteratorINSA_10device_ptrIxEEEEPS6_SG_NS0_5tupleIJNSA_16discard_iteratorINSA_11use_defaultEEES6_EEENSH_IJSG_SG_EEES6_PlJNSB_9not_fun_tI7is_trueIxEEEEEE10hipError_tPvRmT3_T4_T5_T6_T7_T9_mT8_P12ihipStream_tbDpT10_ENKUlT_T0_E_clISt17integral_constantIbLb0EES1A_IbLb1EEEEDaS16_S17_EUlS16_E_NS1_11comp_targetILNS1_3genE9ELNS1_11target_archE1100ELNS1_3gpuE3ELNS1_3repE0EEENS1_30default_config_static_selectorELNS0_4arch9wavefront6targetE0EEEvT1_.has_recursion, 0
	.set _ZN7rocprim17ROCPRIM_400000_NS6detail17trampoline_kernelINS0_14default_configENS1_25partition_config_selectorILNS1_17partition_subalgoE6ExNS0_10empty_typeEbEEZZNS1_14partition_implILS5_6ELb0ES3_mN6thrust23THRUST_200600_302600_NS6detail15normal_iteratorINSA_10device_ptrIxEEEEPS6_SG_NS0_5tupleIJNSA_16discard_iteratorINSA_11use_defaultEEES6_EEENSH_IJSG_SG_EEES6_PlJNSB_9not_fun_tI7is_trueIxEEEEEE10hipError_tPvRmT3_T4_T5_T6_T7_T9_mT8_P12ihipStream_tbDpT10_ENKUlT_T0_E_clISt17integral_constantIbLb0EES1A_IbLb1EEEEDaS16_S17_EUlS16_E_NS1_11comp_targetILNS1_3genE9ELNS1_11target_archE1100ELNS1_3gpuE3ELNS1_3repE0EEENS1_30default_config_static_selectorELNS0_4arch9wavefront6targetE0EEEvT1_.has_indirect_call, 0
	.section	.AMDGPU.csdata,"",@progbits
; Kernel info:
; codeLenInByte = 0
; TotalNumSgprs: 0
; NumVgprs: 0
; ScratchSize: 0
; MemoryBound: 0
; FloatMode: 240
; IeeeMode: 1
; LDSByteSize: 0 bytes/workgroup (compile time only)
; SGPRBlocks: 0
; VGPRBlocks: 0
; NumSGPRsForWavesPerEU: 1
; NumVGPRsForWavesPerEU: 1
; Occupancy: 16
; WaveLimiterHint : 0
; COMPUTE_PGM_RSRC2:SCRATCH_EN: 0
; COMPUTE_PGM_RSRC2:USER_SGPR: 2
; COMPUTE_PGM_RSRC2:TRAP_HANDLER: 0
; COMPUTE_PGM_RSRC2:TGID_X_EN: 1
; COMPUTE_PGM_RSRC2:TGID_Y_EN: 0
; COMPUTE_PGM_RSRC2:TGID_Z_EN: 0
; COMPUTE_PGM_RSRC2:TIDIG_COMP_CNT: 0
	.section	.text._ZN7rocprim17ROCPRIM_400000_NS6detail17trampoline_kernelINS0_14default_configENS1_25partition_config_selectorILNS1_17partition_subalgoE6ExNS0_10empty_typeEbEEZZNS1_14partition_implILS5_6ELb0ES3_mN6thrust23THRUST_200600_302600_NS6detail15normal_iteratorINSA_10device_ptrIxEEEEPS6_SG_NS0_5tupleIJNSA_16discard_iteratorINSA_11use_defaultEEES6_EEENSH_IJSG_SG_EEES6_PlJNSB_9not_fun_tI7is_trueIxEEEEEE10hipError_tPvRmT3_T4_T5_T6_T7_T9_mT8_P12ihipStream_tbDpT10_ENKUlT_T0_E_clISt17integral_constantIbLb0EES1A_IbLb1EEEEDaS16_S17_EUlS16_E_NS1_11comp_targetILNS1_3genE8ELNS1_11target_archE1030ELNS1_3gpuE2ELNS1_3repE0EEENS1_30default_config_static_selectorELNS0_4arch9wavefront6targetE0EEEvT1_,"axG",@progbits,_ZN7rocprim17ROCPRIM_400000_NS6detail17trampoline_kernelINS0_14default_configENS1_25partition_config_selectorILNS1_17partition_subalgoE6ExNS0_10empty_typeEbEEZZNS1_14partition_implILS5_6ELb0ES3_mN6thrust23THRUST_200600_302600_NS6detail15normal_iteratorINSA_10device_ptrIxEEEEPS6_SG_NS0_5tupleIJNSA_16discard_iteratorINSA_11use_defaultEEES6_EEENSH_IJSG_SG_EEES6_PlJNSB_9not_fun_tI7is_trueIxEEEEEE10hipError_tPvRmT3_T4_T5_T6_T7_T9_mT8_P12ihipStream_tbDpT10_ENKUlT_T0_E_clISt17integral_constantIbLb0EES1A_IbLb1EEEEDaS16_S17_EUlS16_E_NS1_11comp_targetILNS1_3genE8ELNS1_11target_archE1030ELNS1_3gpuE2ELNS1_3repE0EEENS1_30default_config_static_selectorELNS0_4arch9wavefront6targetE0EEEvT1_,comdat
	.protected	_ZN7rocprim17ROCPRIM_400000_NS6detail17trampoline_kernelINS0_14default_configENS1_25partition_config_selectorILNS1_17partition_subalgoE6ExNS0_10empty_typeEbEEZZNS1_14partition_implILS5_6ELb0ES3_mN6thrust23THRUST_200600_302600_NS6detail15normal_iteratorINSA_10device_ptrIxEEEEPS6_SG_NS0_5tupleIJNSA_16discard_iteratorINSA_11use_defaultEEES6_EEENSH_IJSG_SG_EEES6_PlJNSB_9not_fun_tI7is_trueIxEEEEEE10hipError_tPvRmT3_T4_T5_T6_T7_T9_mT8_P12ihipStream_tbDpT10_ENKUlT_T0_E_clISt17integral_constantIbLb0EES1A_IbLb1EEEEDaS16_S17_EUlS16_E_NS1_11comp_targetILNS1_3genE8ELNS1_11target_archE1030ELNS1_3gpuE2ELNS1_3repE0EEENS1_30default_config_static_selectorELNS0_4arch9wavefront6targetE0EEEvT1_ ; -- Begin function _ZN7rocprim17ROCPRIM_400000_NS6detail17trampoline_kernelINS0_14default_configENS1_25partition_config_selectorILNS1_17partition_subalgoE6ExNS0_10empty_typeEbEEZZNS1_14partition_implILS5_6ELb0ES3_mN6thrust23THRUST_200600_302600_NS6detail15normal_iteratorINSA_10device_ptrIxEEEEPS6_SG_NS0_5tupleIJNSA_16discard_iteratorINSA_11use_defaultEEES6_EEENSH_IJSG_SG_EEES6_PlJNSB_9not_fun_tI7is_trueIxEEEEEE10hipError_tPvRmT3_T4_T5_T6_T7_T9_mT8_P12ihipStream_tbDpT10_ENKUlT_T0_E_clISt17integral_constantIbLb0EES1A_IbLb1EEEEDaS16_S17_EUlS16_E_NS1_11comp_targetILNS1_3genE8ELNS1_11target_archE1030ELNS1_3gpuE2ELNS1_3repE0EEENS1_30default_config_static_selectorELNS0_4arch9wavefront6targetE0EEEvT1_
	.globl	_ZN7rocprim17ROCPRIM_400000_NS6detail17trampoline_kernelINS0_14default_configENS1_25partition_config_selectorILNS1_17partition_subalgoE6ExNS0_10empty_typeEbEEZZNS1_14partition_implILS5_6ELb0ES3_mN6thrust23THRUST_200600_302600_NS6detail15normal_iteratorINSA_10device_ptrIxEEEEPS6_SG_NS0_5tupleIJNSA_16discard_iteratorINSA_11use_defaultEEES6_EEENSH_IJSG_SG_EEES6_PlJNSB_9not_fun_tI7is_trueIxEEEEEE10hipError_tPvRmT3_T4_T5_T6_T7_T9_mT8_P12ihipStream_tbDpT10_ENKUlT_T0_E_clISt17integral_constantIbLb0EES1A_IbLb1EEEEDaS16_S17_EUlS16_E_NS1_11comp_targetILNS1_3genE8ELNS1_11target_archE1030ELNS1_3gpuE2ELNS1_3repE0EEENS1_30default_config_static_selectorELNS0_4arch9wavefront6targetE0EEEvT1_
	.p2align	8
	.type	_ZN7rocprim17ROCPRIM_400000_NS6detail17trampoline_kernelINS0_14default_configENS1_25partition_config_selectorILNS1_17partition_subalgoE6ExNS0_10empty_typeEbEEZZNS1_14partition_implILS5_6ELb0ES3_mN6thrust23THRUST_200600_302600_NS6detail15normal_iteratorINSA_10device_ptrIxEEEEPS6_SG_NS0_5tupleIJNSA_16discard_iteratorINSA_11use_defaultEEES6_EEENSH_IJSG_SG_EEES6_PlJNSB_9not_fun_tI7is_trueIxEEEEEE10hipError_tPvRmT3_T4_T5_T6_T7_T9_mT8_P12ihipStream_tbDpT10_ENKUlT_T0_E_clISt17integral_constantIbLb0EES1A_IbLb1EEEEDaS16_S17_EUlS16_E_NS1_11comp_targetILNS1_3genE8ELNS1_11target_archE1030ELNS1_3gpuE2ELNS1_3repE0EEENS1_30default_config_static_selectorELNS0_4arch9wavefront6targetE0EEEvT1_,@function
_ZN7rocprim17ROCPRIM_400000_NS6detail17trampoline_kernelINS0_14default_configENS1_25partition_config_selectorILNS1_17partition_subalgoE6ExNS0_10empty_typeEbEEZZNS1_14partition_implILS5_6ELb0ES3_mN6thrust23THRUST_200600_302600_NS6detail15normal_iteratorINSA_10device_ptrIxEEEEPS6_SG_NS0_5tupleIJNSA_16discard_iteratorINSA_11use_defaultEEES6_EEENSH_IJSG_SG_EEES6_PlJNSB_9not_fun_tI7is_trueIxEEEEEE10hipError_tPvRmT3_T4_T5_T6_T7_T9_mT8_P12ihipStream_tbDpT10_ENKUlT_T0_E_clISt17integral_constantIbLb0EES1A_IbLb1EEEEDaS16_S17_EUlS16_E_NS1_11comp_targetILNS1_3genE8ELNS1_11target_archE1030ELNS1_3gpuE2ELNS1_3repE0EEENS1_30default_config_static_selectorELNS0_4arch9wavefront6targetE0EEEvT1_: ; @_ZN7rocprim17ROCPRIM_400000_NS6detail17trampoline_kernelINS0_14default_configENS1_25partition_config_selectorILNS1_17partition_subalgoE6ExNS0_10empty_typeEbEEZZNS1_14partition_implILS5_6ELb0ES3_mN6thrust23THRUST_200600_302600_NS6detail15normal_iteratorINSA_10device_ptrIxEEEEPS6_SG_NS0_5tupleIJNSA_16discard_iteratorINSA_11use_defaultEEES6_EEENSH_IJSG_SG_EEES6_PlJNSB_9not_fun_tI7is_trueIxEEEEEE10hipError_tPvRmT3_T4_T5_T6_T7_T9_mT8_P12ihipStream_tbDpT10_ENKUlT_T0_E_clISt17integral_constantIbLb0EES1A_IbLb1EEEEDaS16_S17_EUlS16_E_NS1_11comp_targetILNS1_3genE8ELNS1_11target_archE1030ELNS1_3gpuE2ELNS1_3repE0EEENS1_30default_config_static_selectorELNS0_4arch9wavefront6targetE0EEEvT1_
; %bb.0:
	.section	.rodata,"a",@progbits
	.p2align	6, 0x0
	.amdhsa_kernel _ZN7rocprim17ROCPRIM_400000_NS6detail17trampoline_kernelINS0_14default_configENS1_25partition_config_selectorILNS1_17partition_subalgoE6ExNS0_10empty_typeEbEEZZNS1_14partition_implILS5_6ELb0ES3_mN6thrust23THRUST_200600_302600_NS6detail15normal_iteratorINSA_10device_ptrIxEEEEPS6_SG_NS0_5tupleIJNSA_16discard_iteratorINSA_11use_defaultEEES6_EEENSH_IJSG_SG_EEES6_PlJNSB_9not_fun_tI7is_trueIxEEEEEE10hipError_tPvRmT3_T4_T5_T6_T7_T9_mT8_P12ihipStream_tbDpT10_ENKUlT_T0_E_clISt17integral_constantIbLb0EES1A_IbLb1EEEEDaS16_S17_EUlS16_E_NS1_11comp_targetILNS1_3genE8ELNS1_11target_archE1030ELNS1_3gpuE2ELNS1_3repE0EEENS1_30default_config_static_selectorELNS0_4arch9wavefront6targetE0EEEvT1_
		.amdhsa_group_segment_fixed_size 0
		.amdhsa_private_segment_fixed_size 0
		.amdhsa_kernarg_size 136
		.amdhsa_user_sgpr_count 2
		.amdhsa_user_sgpr_dispatch_ptr 0
		.amdhsa_user_sgpr_queue_ptr 0
		.amdhsa_user_sgpr_kernarg_segment_ptr 1
		.amdhsa_user_sgpr_dispatch_id 0
		.amdhsa_user_sgpr_private_segment_size 0
		.amdhsa_wavefront_size32 1
		.amdhsa_uses_dynamic_stack 0
		.amdhsa_enable_private_segment 0
		.amdhsa_system_sgpr_workgroup_id_x 1
		.amdhsa_system_sgpr_workgroup_id_y 0
		.amdhsa_system_sgpr_workgroup_id_z 0
		.amdhsa_system_sgpr_workgroup_info 0
		.amdhsa_system_vgpr_workitem_id 0
		.amdhsa_next_free_vgpr 1
		.amdhsa_next_free_sgpr 1
		.amdhsa_reserve_vcc 0
		.amdhsa_float_round_mode_32 0
		.amdhsa_float_round_mode_16_64 0
		.amdhsa_float_denorm_mode_32 3
		.amdhsa_float_denorm_mode_16_64 3
		.amdhsa_fp16_overflow 0
		.amdhsa_workgroup_processor_mode 1
		.amdhsa_memory_ordered 1
		.amdhsa_forward_progress 1
		.amdhsa_inst_pref_size 0
		.amdhsa_round_robin_scheduling 0
		.amdhsa_exception_fp_ieee_invalid_op 0
		.amdhsa_exception_fp_denorm_src 0
		.amdhsa_exception_fp_ieee_div_zero 0
		.amdhsa_exception_fp_ieee_overflow 0
		.amdhsa_exception_fp_ieee_underflow 0
		.amdhsa_exception_fp_ieee_inexact 0
		.amdhsa_exception_int_div_zero 0
	.end_amdhsa_kernel
	.section	.text._ZN7rocprim17ROCPRIM_400000_NS6detail17trampoline_kernelINS0_14default_configENS1_25partition_config_selectorILNS1_17partition_subalgoE6ExNS0_10empty_typeEbEEZZNS1_14partition_implILS5_6ELb0ES3_mN6thrust23THRUST_200600_302600_NS6detail15normal_iteratorINSA_10device_ptrIxEEEEPS6_SG_NS0_5tupleIJNSA_16discard_iteratorINSA_11use_defaultEEES6_EEENSH_IJSG_SG_EEES6_PlJNSB_9not_fun_tI7is_trueIxEEEEEE10hipError_tPvRmT3_T4_T5_T6_T7_T9_mT8_P12ihipStream_tbDpT10_ENKUlT_T0_E_clISt17integral_constantIbLb0EES1A_IbLb1EEEEDaS16_S17_EUlS16_E_NS1_11comp_targetILNS1_3genE8ELNS1_11target_archE1030ELNS1_3gpuE2ELNS1_3repE0EEENS1_30default_config_static_selectorELNS0_4arch9wavefront6targetE0EEEvT1_,"axG",@progbits,_ZN7rocprim17ROCPRIM_400000_NS6detail17trampoline_kernelINS0_14default_configENS1_25partition_config_selectorILNS1_17partition_subalgoE6ExNS0_10empty_typeEbEEZZNS1_14partition_implILS5_6ELb0ES3_mN6thrust23THRUST_200600_302600_NS6detail15normal_iteratorINSA_10device_ptrIxEEEEPS6_SG_NS0_5tupleIJNSA_16discard_iteratorINSA_11use_defaultEEES6_EEENSH_IJSG_SG_EEES6_PlJNSB_9not_fun_tI7is_trueIxEEEEEE10hipError_tPvRmT3_T4_T5_T6_T7_T9_mT8_P12ihipStream_tbDpT10_ENKUlT_T0_E_clISt17integral_constantIbLb0EES1A_IbLb1EEEEDaS16_S17_EUlS16_E_NS1_11comp_targetILNS1_3genE8ELNS1_11target_archE1030ELNS1_3gpuE2ELNS1_3repE0EEENS1_30default_config_static_selectorELNS0_4arch9wavefront6targetE0EEEvT1_,comdat
.Lfunc_end2268:
	.size	_ZN7rocprim17ROCPRIM_400000_NS6detail17trampoline_kernelINS0_14default_configENS1_25partition_config_selectorILNS1_17partition_subalgoE6ExNS0_10empty_typeEbEEZZNS1_14partition_implILS5_6ELb0ES3_mN6thrust23THRUST_200600_302600_NS6detail15normal_iteratorINSA_10device_ptrIxEEEEPS6_SG_NS0_5tupleIJNSA_16discard_iteratorINSA_11use_defaultEEES6_EEENSH_IJSG_SG_EEES6_PlJNSB_9not_fun_tI7is_trueIxEEEEEE10hipError_tPvRmT3_T4_T5_T6_T7_T9_mT8_P12ihipStream_tbDpT10_ENKUlT_T0_E_clISt17integral_constantIbLb0EES1A_IbLb1EEEEDaS16_S17_EUlS16_E_NS1_11comp_targetILNS1_3genE8ELNS1_11target_archE1030ELNS1_3gpuE2ELNS1_3repE0EEENS1_30default_config_static_selectorELNS0_4arch9wavefront6targetE0EEEvT1_, .Lfunc_end2268-_ZN7rocprim17ROCPRIM_400000_NS6detail17trampoline_kernelINS0_14default_configENS1_25partition_config_selectorILNS1_17partition_subalgoE6ExNS0_10empty_typeEbEEZZNS1_14partition_implILS5_6ELb0ES3_mN6thrust23THRUST_200600_302600_NS6detail15normal_iteratorINSA_10device_ptrIxEEEEPS6_SG_NS0_5tupleIJNSA_16discard_iteratorINSA_11use_defaultEEES6_EEENSH_IJSG_SG_EEES6_PlJNSB_9not_fun_tI7is_trueIxEEEEEE10hipError_tPvRmT3_T4_T5_T6_T7_T9_mT8_P12ihipStream_tbDpT10_ENKUlT_T0_E_clISt17integral_constantIbLb0EES1A_IbLb1EEEEDaS16_S17_EUlS16_E_NS1_11comp_targetILNS1_3genE8ELNS1_11target_archE1030ELNS1_3gpuE2ELNS1_3repE0EEENS1_30default_config_static_selectorELNS0_4arch9wavefront6targetE0EEEvT1_
                                        ; -- End function
	.set _ZN7rocprim17ROCPRIM_400000_NS6detail17trampoline_kernelINS0_14default_configENS1_25partition_config_selectorILNS1_17partition_subalgoE6ExNS0_10empty_typeEbEEZZNS1_14partition_implILS5_6ELb0ES3_mN6thrust23THRUST_200600_302600_NS6detail15normal_iteratorINSA_10device_ptrIxEEEEPS6_SG_NS0_5tupleIJNSA_16discard_iteratorINSA_11use_defaultEEES6_EEENSH_IJSG_SG_EEES6_PlJNSB_9not_fun_tI7is_trueIxEEEEEE10hipError_tPvRmT3_T4_T5_T6_T7_T9_mT8_P12ihipStream_tbDpT10_ENKUlT_T0_E_clISt17integral_constantIbLb0EES1A_IbLb1EEEEDaS16_S17_EUlS16_E_NS1_11comp_targetILNS1_3genE8ELNS1_11target_archE1030ELNS1_3gpuE2ELNS1_3repE0EEENS1_30default_config_static_selectorELNS0_4arch9wavefront6targetE0EEEvT1_.num_vgpr, 0
	.set _ZN7rocprim17ROCPRIM_400000_NS6detail17trampoline_kernelINS0_14default_configENS1_25partition_config_selectorILNS1_17partition_subalgoE6ExNS0_10empty_typeEbEEZZNS1_14partition_implILS5_6ELb0ES3_mN6thrust23THRUST_200600_302600_NS6detail15normal_iteratorINSA_10device_ptrIxEEEEPS6_SG_NS0_5tupleIJNSA_16discard_iteratorINSA_11use_defaultEEES6_EEENSH_IJSG_SG_EEES6_PlJNSB_9not_fun_tI7is_trueIxEEEEEE10hipError_tPvRmT3_T4_T5_T6_T7_T9_mT8_P12ihipStream_tbDpT10_ENKUlT_T0_E_clISt17integral_constantIbLb0EES1A_IbLb1EEEEDaS16_S17_EUlS16_E_NS1_11comp_targetILNS1_3genE8ELNS1_11target_archE1030ELNS1_3gpuE2ELNS1_3repE0EEENS1_30default_config_static_selectorELNS0_4arch9wavefront6targetE0EEEvT1_.num_agpr, 0
	.set _ZN7rocprim17ROCPRIM_400000_NS6detail17trampoline_kernelINS0_14default_configENS1_25partition_config_selectorILNS1_17partition_subalgoE6ExNS0_10empty_typeEbEEZZNS1_14partition_implILS5_6ELb0ES3_mN6thrust23THRUST_200600_302600_NS6detail15normal_iteratorINSA_10device_ptrIxEEEEPS6_SG_NS0_5tupleIJNSA_16discard_iteratorINSA_11use_defaultEEES6_EEENSH_IJSG_SG_EEES6_PlJNSB_9not_fun_tI7is_trueIxEEEEEE10hipError_tPvRmT3_T4_T5_T6_T7_T9_mT8_P12ihipStream_tbDpT10_ENKUlT_T0_E_clISt17integral_constantIbLb0EES1A_IbLb1EEEEDaS16_S17_EUlS16_E_NS1_11comp_targetILNS1_3genE8ELNS1_11target_archE1030ELNS1_3gpuE2ELNS1_3repE0EEENS1_30default_config_static_selectorELNS0_4arch9wavefront6targetE0EEEvT1_.numbered_sgpr, 0
	.set _ZN7rocprim17ROCPRIM_400000_NS6detail17trampoline_kernelINS0_14default_configENS1_25partition_config_selectorILNS1_17partition_subalgoE6ExNS0_10empty_typeEbEEZZNS1_14partition_implILS5_6ELb0ES3_mN6thrust23THRUST_200600_302600_NS6detail15normal_iteratorINSA_10device_ptrIxEEEEPS6_SG_NS0_5tupleIJNSA_16discard_iteratorINSA_11use_defaultEEES6_EEENSH_IJSG_SG_EEES6_PlJNSB_9not_fun_tI7is_trueIxEEEEEE10hipError_tPvRmT3_T4_T5_T6_T7_T9_mT8_P12ihipStream_tbDpT10_ENKUlT_T0_E_clISt17integral_constantIbLb0EES1A_IbLb1EEEEDaS16_S17_EUlS16_E_NS1_11comp_targetILNS1_3genE8ELNS1_11target_archE1030ELNS1_3gpuE2ELNS1_3repE0EEENS1_30default_config_static_selectorELNS0_4arch9wavefront6targetE0EEEvT1_.num_named_barrier, 0
	.set _ZN7rocprim17ROCPRIM_400000_NS6detail17trampoline_kernelINS0_14default_configENS1_25partition_config_selectorILNS1_17partition_subalgoE6ExNS0_10empty_typeEbEEZZNS1_14partition_implILS5_6ELb0ES3_mN6thrust23THRUST_200600_302600_NS6detail15normal_iteratorINSA_10device_ptrIxEEEEPS6_SG_NS0_5tupleIJNSA_16discard_iteratorINSA_11use_defaultEEES6_EEENSH_IJSG_SG_EEES6_PlJNSB_9not_fun_tI7is_trueIxEEEEEE10hipError_tPvRmT3_T4_T5_T6_T7_T9_mT8_P12ihipStream_tbDpT10_ENKUlT_T0_E_clISt17integral_constantIbLb0EES1A_IbLb1EEEEDaS16_S17_EUlS16_E_NS1_11comp_targetILNS1_3genE8ELNS1_11target_archE1030ELNS1_3gpuE2ELNS1_3repE0EEENS1_30default_config_static_selectorELNS0_4arch9wavefront6targetE0EEEvT1_.private_seg_size, 0
	.set _ZN7rocprim17ROCPRIM_400000_NS6detail17trampoline_kernelINS0_14default_configENS1_25partition_config_selectorILNS1_17partition_subalgoE6ExNS0_10empty_typeEbEEZZNS1_14partition_implILS5_6ELb0ES3_mN6thrust23THRUST_200600_302600_NS6detail15normal_iteratorINSA_10device_ptrIxEEEEPS6_SG_NS0_5tupleIJNSA_16discard_iteratorINSA_11use_defaultEEES6_EEENSH_IJSG_SG_EEES6_PlJNSB_9not_fun_tI7is_trueIxEEEEEE10hipError_tPvRmT3_T4_T5_T6_T7_T9_mT8_P12ihipStream_tbDpT10_ENKUlT_T0_E_clISt17integral_constantIbLb0EES1A_IbLb1EEEEDaS16_S17_EUlS16_E_NS1_11comp_targetILNS1_3genE8ELNS1_11target_archE1030ELNS1_3gpuE2ELNS1_3repE0EEENS1_30default_config_static_selectorELNS0_4arch9wavefront6targetE0EEEvT1_.uses_vcc, 0
	.set _ZN7rocprim17ROCPRIM_400000_NS6detail17trampoline_kernelINS0_14default_configENS1_25partition_config_selectorILNS1_17partition_subalgoE6ExNS0_10empty_typeEbEEZZNS1_14partition_implILS5_6ELb0ES3_mN6thrust23THRUST_200600_302600_NS6detail15normal_iteratorINSA_10device_ptrIxEEEEPS6_SG_NS0_5tupleIJNSA_16discard_iteratorINSA_11use_defaultEEES6_EEENSH_IJSG_SG_EEES6_PlJNSB_9not_fun_tI7is_trueIxEEEEEE10hipError_tPvRmT3_T4_T5_T6_T7_T9_mT8_P12ihipStream_tbDpT10_ENKUlT_T0_E_clISt17integral_constantIbLb0EES1A_IbLb1EEEEDaS16_S17_EUlS16_E_NS1_11comp_targetILNS1_3genE8ELNS1_11target_archE1030ELNS1_3gpuE2ELNS1_3repE0EEENS1_30default_config_static_selectorELNS0_4arch9wavefront6targetE0EEEvT1_.uses_flat_scratch, 0
	.set _ZN7rocprim17ROCPRIM_400000_NS6detail17trampoline_kernelINS0_14default_configENS1_25partition_config_selectorILNS1_17partition_subalgoE6ExNS0_10empty_typeEbEEZZNS1_14partition_implILS5_6ELb0ES3_mN6thrust23THRUST_200600_302600_NS6detail15normal_iteratorINSA_10device_ptrIxEEEEPS6_SG_NS0_5tupleIJNSA_16discard_iteratorINSA_11use_defaultEEES6_EEENSH_IJSG_SG_EEES6_PlJNSB_9not_fun_tI7is_trueIxEEEEEE10hipError_tPvRmT3_T4_T5_T6_T7_T9_mT8_P12ihipStream_tbDpT10_ENKUlT_T0_E_clISt17integral_constantIbLb0EES1A_IbLb1EEEEDaS16_S17_EUlS16_E_NS1_11comp_targetILNS1_3genE8ELNS1_11target_archE1030ELNS1_3gpuE2ELNS1_3repE0EEENS1_30default_config_static_selectorELNS0_4arch9wavefront6targetE0EEEvT1_.has_dyn_sized_stack, 0
	.set _ZN7rocprim17ROCPRIM_400000_NS6detail17trampoline_kernelINS0_14default_configENS1_25partition_config_selectorILNS1_17partition_subalgoE6ExNS0_10empty_typeEbEEZZNS1_14partition_implILS5_6ELb0ES3_mN6thrust23THRUST_200600_302600_NS6detail15normal_iteratorINSA_10device_ptrIxEEEEPS6_SG_NS0_5tupleIJNSA_16discard_iteratorINSA_11use_defaultEEES6_EEENSH_IJSG_SG_EEES6_PlJNSB_9not_fun_tI7is_trueIxEEEEEE10hipError_tPvRmT3_T4_T5_T6_T7_T9_mT8_P12ihipStream_tbDpT10_ENKUlT_T0_E_clISt17integral_constantIbLb0EES1A_IbLb1EEEEDaS16_S17_EUlS16_E_NS1_11comp_targetILNS1_3genE8ELNS1_11target_archE1030ELNS1_3gpuE2ELNS1_3repE0EEENS1_30default_config_static_selectorELNS0_4arch9wavefront6targetE0EEEvT1_.has_recursion, 0
	.set _ZN7rocprim17ROCPRIM_400000_NS6detail17trampoline_kernelINS0_14default_configENS1_25partition_config_selectorILNS1_17partition_subalgoE6ExNS0_10empty_typeEbEEZZNS1_14partition_implILS5_6ELb0ES3_mN6thrust23THRUST_200600_302600_NS6detail15normal_iteratorINSA_10device_ptrIxEEEEPS6_SG_NS0_5tupleIJNSA_16discard_iteratorINSA_11use_defaultEEES6_EEENSH_IJSG_SG_EEES6_PlJNSB_9not_fun_tI7is_trueIxEEEEEE10hipError_tPvRmT3_T4_T5_T6_T7_T9_mT8_P12ihipStream_tbDpT10_ENKUlT_T0_E_clISt17integral_constantIbLb0EES1A_IbLb1EEEEDaS16_S17_EUlS16_E_NS1_11comp_targetILNS1_3genE8ELNS1_11target_archE1030ELNS1_3gpuE2ELNS1_3repE0EEENS1_30default_config_static_selectorELNS0_4arch9wavefront6targetE0EEEvT1_.has_indirect_call, 0
	.section	.AMDGPU.csdata,"",@progbits
; Kernel info:
; codeLenInByte = 0
; TotalNumSgprs: 0
; NumVgprs: 0
; ScratchSize: 0
; MemoryBound: 0
; FloatMode: 240
; IeeeMode: 1
; LDSByteSize: 0 bytes/workgroup (compile time only)
; SGPRBlocks: 0
; VGPRBlocks: 0
; NumSGPRsForWavesPerEU: 1
; NumVGPRsForWavesPerEU: 1
; Occupancy: 16
; WaveLimiterHint : 0
; COMPUTE_PGM_RSRC2:SCRATCH_EN: 0
; COMPUTE_PGM_RSRC2:USER_SGPR: 2
; COMPUTE_PGM_RSRC2:TRAP_HANDLER: 0
; COMPUTE_PGM_RSRC2:TGID_X_EN: 1
; COMPUTE_PGM_RSRC2:TGID_Y_EN: 0
; COMPUTE_PGM_RSRC2:TGID_Z_EN: 0
; COMPUTE_PGM_RSRC2:TIDIG_COMP_CNT: 0
	.section	.text._ZN7rocprim17ROCPRIM_400000_NS6detail17trampoline_kernelINS0_14default_configENS1_25partition_config_selectorILNS1_17partition_subalgoE6EiNS0_10empty_typeEbEEZZNS1_14partition_implILS5_6ELb0ES3_mN6thrust23THRUST_200600_302600_NS6detail15normal_iteratorINSA_10device_ptrIiEEEEPS6_SG_NS0_5tupleIJNSA_16discard_iteratorINSA_11use_defaultEEES6_EEENSH_IJSG_SG_EEES6_PlJNSB_9not_fun_tI7is_trueIiEEEEEE10hipError_tPvRmT3_T4_T5_T6_T7_T9_mT8_P12ihipStream_tbDpT10_ENKUlT_T0_E_clISt17integral_constantIbLb0EES1B_EEDaS16_S17_EUlS16_E_NS1_11comp_targetILNS1_3genE0ELNS1_11target_archE4294967295ELNS1_3gpuE0ELNS1_3repE0EEENS1_30default_config_static_selectorELNS0_4arch9wavefront6targetE0EEEvT1_,"axG",@progbits,_ZN7rocprim17ROCPRIM_400000_NS6detail17trampoline_kernelINS0_14default_configENS1_25partition_config_selectorILNS1_17partition_subalgoE6EiNS0_10empty_typeEbEEZZNS1_14partition_implILS5_6ELb0ES3_mN6thrust23THRUST_200600_302600_NS6detail15normal_iteratorINSA_10device_ptrIiEEEEPS6_SG_NS0_5tupleIJNSA_16discard_iteratorINSA_11use_defaultEEES6_EEENSH_IJSG_SG_EEES6_PlJNSB_9not_fun_tI7is_trueIiEEEEEE10hipError_tPvRmT3_T4_T5_T6_T7_T9_mT8_P12ihipStream_tbDpT10_ENKUlT_T0_E_clISt17integral_constantIbLb0EES1B_EEDaS16_S17_EUlS16_E_NS1_11comp_targetILNS1_3genE0ELNS1_11target_archE4294967295ELNS1_3gpuE0ELNS1_3repE0EEENS1_30default_config_static_selectorELNS0_4arch9wavefront6targetE0EEEvT1_,comdat
	.protected	_ZN7rocprim17ROCPRIM_400000_NS6detail17trampoline_kernelINS0_14default_configENS1_25partition_config_selectorILNS1_17partition_subalgoE6EiNS0_10empty_typeEbEEZZNS1_14partition_implILS5_6ELb0ES3_mN6thrust23THRUST_200600_302600_NS6detail15normal_iteratorINSA_10device_ptrIiEEEEPS6_SG_NS0_5tupleIJNSA_16discard_iteratorINSA_11use_defaultEEES6_EEENSH_IJSG_SG_EEES6_PlJNSB_9not_fun_tI7is_trueIiEEEEEE10hipError_tPvRmT3_T4_T5_T6_T7_T9_mT8_P12ihipStream_tbDpT10_ENKUlT_T0_E_clISt17integral_constantIbLb0EES1B_EEDaS16_S17_EUlS16_E_NS1_11comp_targetILNS1_3genE0ELNS1_11target_archE4294967295ELNS1_3gpuE0ELNS1_3repE0EEENS1_30default_config_static_selectorELNS0_4arch9wavefront6targetE0EEEvT1_ ; -- Begin function _ZN7rocprim17ROCPRIM_400000_NS6detail17trampoline_kernelINS0_14default_configENS1_25partition_config_selectorILNS1_17partition_subalgoE6EiNS0_10empty_typeEbEEZZNS1_14partition_implILS5_6ELb0ES3_mN6thrust23THRUST_200600_302600_NS6detail15normal_iteratorINSA_10device_ptrIiEEEEPS6_SG_NS0_5tupleIJNSA_16discard_iteratorINSA_11use_defaultEEES6_EEENSH_IJSG_SG_EEES6_PlJNSB_9not_fun_tI7is_trueIiEEEEEE10hipError_tPvRmT3_T4_T5_T6_T7_T9_mT8_P12ihipStream_tbDpT10_ENKUlT_T0_E_clISt17integral_constantIbLb0EES1B_EEDaS16_S17_EUlS16_E_NS1_11comp_targetILNS1_3genE0ELNS1_11target_archE4294967295ELNS1_3gpuE0ELNS1_3repE0EEENS1_30default_config_static_selectorELNS0_4arch9wavefront6targetE0EEEvT1_
	.globl	_ZN7rocprim17ROCPRIM_400000_NS6detail17trampoline_kernelINS0_14default_configENS1_25partition_config_selectorILNS1_17partition_subalgoE6EiNS0_10empty_typeEbEEZZNS1_14partition_implILS5_6ELb0ES3_mN6thrust23THRUST_200600_302600_NS6detail15normal_iteratorINSA_10device_ptrIiEEEEPS6_SG_NS0_5tupleIJNSA_16discard_iteratorINSA_11use_defaultEEES6_EEENSH_IJSG_SG_EEES6_PlJNSB_9not_fun_tI7is_trueIiEEEEEE10hipError_tPvRmT3_T4_T5_T6_T7_T9_mT8_P12ihipStream_tbDpT10_ENKUlT_T0_E_clISt17integral_constantIbLb0EES1B_EEDaS16_S17_EUlS16_E_NS1_11comp_targetILNS1_3genE0ELNS1_11target_archE4294967295ELNS1_3gpuE0ELNS1_3repE0EEENS1_30default_config_static_selectorELNS0_4arch9wavefront6targetE0EEEvT1_
	.p2align	8
	.type	_ZN7rocprim17ROCPRIM_400000_NS6detail17trampoline_kernelINS0_14default_configENS1_25partition_config_selectorILNS1_17partition_subalgoE6EiNS0_10empty_typeEbEEZZNS1_14partition_implILS5_6ELb0ES3_mN6thrust23THRUST_200600_302600_NS6detail15normal_iteratorINSA_10device_ptrIiEEEEPS6_SG_NS0_5tupleIJNSA_16discard_iteratorINSA_11use_defaultEEES6_EEENSH_IJSG_SG_EEES6_PlJNSB_9not_fun_tI7is_trueIiEEEEEE10hipError_tPvRmT3_T4_T5_T6_T7_T9_mT8_P12ihipStream_tbDpT10_ENKUlT_T0_E_clISt17integral_constantIbLb0EES1B_EEDaS16_S17_EUlS16_E_NS1_11comp_targetILNS1_3genE0ELNS1_11target_archE4294967295ELNS1_3gpuE0ELNS1_3repE0EEENS1_30default_config_static_selectorELNS0_4arch9wavefront6targetE0EEEvT1_,@function
_ZN7rocprim17ROCPRIM_400000_NS6detail17trampoline_kernelINS0_14default_configENS1_25partition_config_selectorILNS1_17partition_subalgoE6EiNS0_10empty_typeEbEEZZNS1_14partition_implILS5_6ELb0ES3_mN6thrust23THRUST_200600_302600_NS6detail15normal_iteratorINSA_10device_ptrIiEEEEPS6_SG_NS0_5tupleIJNSA_16discard_iteratorINSA_11use_defaultEEES6_EEENSH_IJSG_SG_EEES6_PlJNSB_9not_fun_tI7is_trueIiEEEEEE10hipError_tPvRmT3_T4_T5_T6_T7_T9_mT8_P12ihipStream_tbDpT10_ENKUlT_T0_E_clISt17integral_constantIbLb0EES1B_EEDaS16_S17_EUlS16_E_NS1_11comp_targetILNS1_3genE0ELNS1_11target_archE4294967295ELNS1_3gpuE0ELNS1_3repE0EEENS1_30default_config_static_selectorELNS0_4arch9wavefront6targetE0EEEvT1_: ; @_ZN7rocprim17ROCPRIM_400000_NS6detail17trampoline_kernelINS0_14default_configENS1_25partition_config_selectorILNS1_17partition_subalgoE6EiNS0_10empty_typeEbEEZZNS1_14partition_implILS5_6ELb0ES3_mN6thrust23THRUST_200600_302600_NS6detail15normal_iteratorINSA_10device_ptrIiEEEEPS6_SG_NS0_5tupleIJNSA_16discard_iteratorINSA_11use_defaultEEES6_EEENSH_IJSG_SG_EEES6_PlJNSB_9not_fun_tI7is_trueIiEEEEEE10hipError_tPvRmT3_T4_T5_T6_T7_T9_mT8_P12ihipStream_tbDpT10_ENKUlT_T0_E_clISt17integral_constantIbLb0EES1B_EEDaS16_S17_EUlS16_E_NS1_11comp_targetILNS1_3genE0ELNS1_11target_archE4294967295ELNS1_3gpuE0ELNS1_3repE0EEENS1_30default_config_static_selectorELNS0_4arch9wavefront6targetE0EEEvT1_
; %bb.0:
	.section	.rodata,"a",@progbits
	.p2align	6, 0x0
	.amdhsa_kernel _ZN7rocprim17ROCPRIM_400000_NS6detail17trampoline_kernelINS0_14default_configENS1_25partition_config_selectorILNS1_17partition_subalgoE6EiNS0_10empty_typeEbEEZZNS1_14partition_implILS5_6ELb0ES3_mN6thrust23THRUST_200600_302600_NS6detail15normal_iteratorINSA_10device_ptrIiEEEEPS6_SG_NS0_5tupleIJNSA_16discard_iteratorINSA_11use_defaultEEES6_EEENSH_IJSG_SG_EEES6_PlJNSB_9not_fun_tI7is_trueIiEEEEEE10hipError_tPvRmT3_T4_T5_T6_T7_T9_mT8_P12ihipStream_tbDpT10_ENKUlT_T0_E_clISt17integral_constantIbLb0EES1B_EEDaS16_S17_EUlS16_E_NS1_11comp_targetILNS1_3genE0ELNS1_11target_archE4294967295ELNS1_3gpuE0ELNS1_3repE0EEENS1_30default_config_static_selectorELNS0_4arch9wavefront6targetE0EEEvT1_
		.amdhsa_group_segment_fixed_size 0
		.amdhsa_private_segment_fixed_size 0
		.amdhsa_kernarg_size 120
		.amdhsa_user_sgpr_count 2
		.amdhsa_user_sgpr_dispatch_ptr 0
		.amdhsa_user_sgpr_queue_ptr 0
		.amdhsa_user_sgpr_kernarg_segment_ptr 1
		.amdhsa_user_sgpr_dispatch_id 0
		.amdhsa_user_sgpr_private_segment_size 0
		.amdhsa_wavefront_size32 1
		.amdhsa_uses_dynamic_stack 0
		.amdhsa_enable_private_segment 0
		.amdhsa_system_sgpr_workgroup_id_x 1
		.amdhsa_system_sgpr_workgroup_id_y 0
		.amdhsa_system_sgpr_workgroup_id_z 0
		.amdhsa_system_sgpr_workgroup_info 0
		.amdhsa_system_vgpr_workitem_id 0
		.amdhsa_next_free_vgpr 1
		.amdhsa_next_free_sgpr 1
		.amdhsa_reserve_vcc 0
		.amdhsa_float_round_mode_32 0
		.amdhsa_float_round_mode_16_64 0
		.amdhsa_float_denorm_mode_32 3
		.amdhsa_float_denorm_mode_16_64 3
		.amdhsa_fp16_overflow 0
		.amdhsa_workgroup_processor_mode 1
		.amdhsa_memory_ordered 1
		.amdhsa_forward_progress 1
		.amdhsa_inst_pref_size 0
		.amdhsa_round_robin_scheduling 0
		.amdhsa_exception_fp_ieee_invalid_op 0
		.amdhsa_exception_fp_denorm_src 0
		.amdhsa_exception_fp_ieee_div_zero 0
		.amdhsa_exception_fp_ieee_overflow 0
		.amdhsa_exception_fp_ieee_underflow 0
		.amdhsa_exception_fp_ieee_inexact 0
		.amdhsa_exception_int_div_zero 0
	.end_amdhsa_kernel
	.section	.text._ZN7rocprim17ROCPRIM_400000_NS6detail17trampoline_kernelINS0_14default_configENS1_25partition_config_selectorILNS1_17partition_subalgoE6EiNS0_10empty_typeEbEEZZNS1_14partition_implILS5_6ELb0ES3_mN6thrust23THRUST_200600_302600_NS6detail15normal_iteratorINSA_10device_ptrIiEEEEPS6_SG_NS0_5tupleIJNSA_16discard_iteratorINSA_11use_defaultEEES6_EEENSH_IJSG_SG_EEES6_PlJNSB_9not_fun_tI7is_trueIiEEEEEE10hipError_tPvRmT3_T4_T5_T6_T7_T9_mT8_P12ihipStream_tbDpT10_ENKUlT_T0_E_clISt17integral_constantIbLb0EES1B_EEDaS16_S17_EUlS16_E_NS1_11comp_targetILNS1_3genE0ELNS1_11target_archE4294967295ELNS1_3gpuE0ELNS1_3repE0EEENS1_30default_config_static_selectorELNS0_4arch9wavefront6targetE0EEEvT1_,"axG",@progbits,_ZN7rocprim17ROCPRIM_400000_NS6detail17trampoline_kernelINS0_14default_configENS1_25partition_config_selectorILNS1_17partition_subalgoE6EiNS0_10empty_typeEbEEZZNS1_14partition_implILS5_6ELb0ES3_mN6thrust23THRUST_200600_302600_NS6detail15normal_iteratorINSA_10device_ptrIiEEEEPS6_SG_NS0_5tupleIJNSA_16discard_iteratorINSA_11use_defaultEEES6_EEENSH_IJSG_SG_EEES6_PlJNSB_9not_fun_tI7is_trueIiEEEEEE10hipError_tPvRmT3_T4_T5_T6_T7_T9_mT8_P12ihipStream_tbDpT10_ENKUlT_T0_E_clISt17integral_constantIbLb0EES1B_EEDaS16_S17_EUlS16_E_NS1_11comp_targetILNS1_3genE0ELNS1_11target_archE4294967295ELNS1_3gpuE0ELNS1_3repE0EEENS1_30default_config_static_selectorELNS0_4arch9wavefront6targetE0EEEvT1_,comdat
.Lfunc_end2269:
	.size	_ZN7rocprim17ROCPRIM_400000_NS6detail17trampoline_kernelINS0_14default_configENS1_25partition_config_selectorILNS1_17partition_subalgoE6EiNS0_10empty_typeEbEEZZNS1_14partition_implILS5_6ELb0ES3_mN6thrust23THRUST_200600_302600_NS6detail15normal_iteratorINSA_10device_ptrIiEEEEPS6_SG_NS0_5tupleIJNSA_16discard_iteratorINSA_11use_defaultEEES6_EEENSH_IJSG_SG_EEES6_PlJNSB_9not_fun_tI7is_trueIiEEEEEE10hipError_tPvRmT3_T4_T5_T6_T7_T9_mT8_P12ihipStream_tbDpT10_ENKUlT_T0_E_clISt17integral_constantIbLb0EES1B_EEDaS16_S17_EUlS16_E_NS1_11comp_targetILNS1_3genE0ELNS1_11target_archE4294967295ELNS1_3gpuE0ELNS1_3repE0EEENS1_30default_config_static_selectorELNS0_4arch9wavefront6targetE0EEEvT1_, .Lfunc_end2269-_ZN7rocprim17ROCPRIM_400000_NS6detail17trampoline_kernelINS0_14default_configENS1_25partition_config_selectorILNS1_17partition_subalgoE6EiNS0_10empty_typeEbEEZZNS1_14partition_implILS5_6ELb0ES3_mN6thrust23THRUST_200600_302600_NS6detail15normal_iteratorINSA_10device_ptrIiEEEEPS6_SG_NS0_5tupleIJNSA_16discard_iteratorINSA_11use_defaultEEES6_EEENSH_IJSG_SG_EEES6_PlJNSB_9not_fun_tI7is_trueIiEEEEEE10hipError_tPvRmT3_T4_T5_T6_T7_T9_mT8_P12ihipStream_tbDpT10_ENKUlT_T0_E_clISt17integral_constantIbLb0EES1B_EEDaS16_S17_EUlS16_E_NS1_11comp_targetILNS1_3genE0ELNS1_11target_archE4294967295ELNS1_3gpuE0ELNS1_3repE0EEENS1_30default_config_static_selectorELNS0_4arch9wavefront6targetE0EEEvT1_
                                        ; -- End function
	.set _ZN7rocprim17ROCPRIM_400000_NS6detail17trampoline_kernelINS0_14default_configENS1_25partition_config_selectorILNS1_17partition_subalgoE6EiNS0_10empty_typeEbEEZZNS1_14partition_implILS5_6ELb0ES3_mN6thrust23THRUST_200600_302600_NS6detail15normal_iteratorINSA_10device_ptrIiEEEEPS6_SG_NS0_5tupleIJNSA_16discard_iteratorINSA_11use_defaultEEES6_EEENSH_IJSG_SG_EEES6_PlJNSB_9not_fun_tI7is_trueIiEEEEEE10hipError_tPvRmT3_T4_T5_T6_T7_T9_mT8_P12ihipStream_tbDpT10_ENKUlT_T0_E_clISt17integral_constantIbLb0EES1B_EEDaS16_S17_EUlS16_E_NS1_11comp_targetILNS1_3genE0ELNS1_11target_archE4294967295ELNS1_3gpuE0ELNS1_3repE0EEENS1_30default_config_static_selectorELNS0_4arch9wavefront6targetE0EEEvT1_.num_vgpr, 0
	.set _ZN7rocprim17ROCPRIM_400000_NS6detail17trampoline_kernelINS0_14default_configENS1_25partition_config_selectorILNS1_17partition_subalgoE6EiNS0_10empty_typeEbEEZZNS1_14partition_implILS5_6ELb0ES3_mN6thrust23THRUST_200600_302600_NS6detail15normal_iteratorINSA_10device_ptrIiEEEEPS6_SG_NS0_5tupleIJNSA_16discard_iteratorINSA_11use_defaultEEES6_EEENSH_IJSG_SG_EEES6_PlJNSB_9not_fun_tI7is_trueIiEEEEEE10hipError_tPvRmT3_T4_T5_T6_T7_T9_mT8_P12ihipStream_tbDpT10_ENKUlT_T0_E_clISt17integral_constantIbLb0EES1B_EEDaS16_S17_EUlS16_E_NS1_11comp_targetILNS1_3genE0ELNS1_11target_archE4294967295ELNS1_3gpuE0ELNS1_3repE0EEENS1_30default_config_static_selectorELNS0_4arch9wavefront6targetE0EEEvT1_.num_agpr, 0
	.set _ZN7rocprim17ROCPRIM_400000_NS6detail17trampoline_kernelINS0_14default_configENS1_25partition_config_selectorILNS1_17partition_subalgoE6EiNS0_10empty_typeEbEEZZNS1_14partition_implILS5_6ELb0ES3_mN6thrust23THRUST_200600_302600_NS6detail15normal_iteratorINSA_10device_ptrIiEEEEPS6_SG_NS0_5tupleIJNSA_16discard_iteratorINSA_11use_defaultEEES6_EEENSH_IJSG_SG_EEES6_PlJNSB_9not_fun_tI7is_trueIiEEEEEE10hipError_tPvRmT3_T4_T5_T6_T7_T9_mT8_P12ihipStream_tbDpT10_ENKUlT_T0_E_clISt17integral_constantIbLb0EES1B_EEDaS16_S17_EUlS16_E_NS1_11comp_targetILNS1_3genE0ELNS1_11target_archE4294967295ELNS1_3gpuE0ELNS1_3repE0EEENS1_30default_config_static_selectorELNS0_4arch9wavefront6targetE0EEEvT1_.numbered_sgpr, 0
	.set _ZN7rocprim17ROCPRIM_400000_NS6detail17trampoline_kernelINS0_14default_configENS1_25partition_config_selectorILNS1_17partition_subalgoE6EiNS0_10empty_typeEbEEZZNS1_14partition_implILS5_6ELb0ES3_mN6thrust23THRUST_200600_302600_NS6detail15normal_iteratorINSA_10device_ptrIiEEEEPS6_SG_NS0_5tupleIJNSA_16discard_iteratorINSA_11use_defaultEEES6_EEENSH_IJSG_SG_EEES6_PlJNSB_9not_fun_tI7is_trueIiEEEEEE10hipError_tPvRmT3_T4_T5_T6_T7_T9_mT8_P12ihipStream_tbDpT10_ENKUlT_T0_E_clISt17integral_constantIbLb0EES1B_EEDaS16_S17_EUlS16_E_NS1_11comp_targetILNS1_3genE0ELNS1_11target_archE4294967295ELNS1_3gpuE0ELNS1_3repE0EEENS1_30default_config_static_selectorELNS0_4arch9wavefront6targetE0EEEvT1_.num_named_barrier, 0
	.set _ZN7rocprim17ROCPRIM_400000_NS6detail17trampoline_kernelINS0_14default_configENS1_25partition_config_selectorILNS1_17partition_subalgoE6EiNS0_10empty_typeEbEEZZNS1_14partition_implILS5_6ELb0ES3_mN6thrust23THRUST_200600_302600_NS6detail15normal_iteratorINSA_10device_ptrIiEEEEPS6_SG_NS0_5tupleIJNSA_16discard_iteratorINSA_11use_defaultEEES6_EEENSH_IJSG_SG_EEES6_PlJNSB_9not_fun_tI7is_trueIiEEEEEE10hipError_tPvRmT3_T4_T5_T6_T7_T9_mT8_P12ihipStream_tbDpT10_ENKUlT_T0_E_clISt17integral_constantIbLb0EES1B_EEDaS16_S17_EUlS16_E_NS1_11comp_targetILNS1_3genE0ELNS1_11target_archE4294967295ELNS1_3gpuE0ELNS1_3repE0EEENS1_30default_config_static_selectorELNS0_4arch9wavefront6targetE0EEEvT1_.private_seg_size, 0
	.set _ZN7rocprim17ROCPRIM_400000_NS6detail17trampoline_kernelINS0_14default_configENS1_25partition_config_selectorILNS1_17partition_subalgoE6EiNS0_10empty_typeEbEEZZNS1_14partition_implILS5_6ELb0ES3_mN6thrust23THRUST_200600_302600_NS6detail15normal_iteratorINSA_10device_ptrIiEEEEPS6_SG_NS0_5tupleIJNSA_16discard_iteratorINSA_11use_defaultEEES6_EEENSH_IJSG_SG_EEES6_PlJNSB_9not_fun_tI7is_trueIiEEEEEE10hipError_tPvRmT3_T4_T5_T6_T7_T9_mT8_P12ihipStream_tbDpT10_ENKUlT_T0_E_clISt17integral_constantIbLb0EES1B_EEDaS16_S17_EUlS16_E_NS1_11comp_targetILNS1_3genE0ELNS1_11target_archE4294967295ELNS1_3gpuE0ELNS1_3repE0EEENS1_30default_config_static_selectorELNS0_4arch9wavefront6targetE0EEEvT1_.uses_vcc, 0
	.set _ZN7rocprim17ROCPRIM_400000_NS6detail17trampoline_kernelINS0_14default_configENS1_25partition_config_selectorILNS1_17partition_subalgoE6EiNS0_10empty_typeEbEEZZNS1_14partition_implILS5_6ELb0ES3_mN6thrust23THRUST_200600_302600_NS6detail15normal_iteratorINSA_10device_ptrIiEEEEPS6_SG_NS0_5tupleIJNSA_16discard_iteratorINSA_11use_defaultEEES6_EEENSH_IJSG_SG_EEES6_PlJNSB_9not_fun_tI7is_trueIiEEEEEE10hipError_tPvRmT3_T4_T5_T6_T7_T9_mT8_P12ihipStream_tbDpT10_ENKUlT_T0_E_clISt17integral_constantIbLb0EES1B_EEDaS16_S17_EUlS16_E_NS1_11comp_targetILNS1_3genE0ELNS1_11target_archE4294967295ELNS1_3gpuE0ELNS1_3repE0EEENS1_30default_config_static_selectorELNS0_4arch9wavefront6targetE0EEEvT1_.uses_flat_scratch, 0
	.set _ZN7rocprim17ROCPRIM_400000_NS6detail17trampoline_kernelINS0_14default_configENS1_25partition_config_selectorILNS1_17partition_subalgoE6EiNS0_10empty_typeEbEEZZNS1_14partition_implILS5_6ELb0ES3_mN6thrust23THRUST_200600_302600_NS6detail15normal_iteratorINSA_10device_ptrIiEEEEPS6_SG_NS0_5tupleIJNSA_16discard_iteratorINSA_11use_defaultEEES6_EEENSH_IJSG_SG_EEES6_PlJNSB_9not_fun_tI7is_trueIiEEEEEE10hipError_tPvRmT3_T4_T5_T6_T7_T9_mT8_P12ihipStream_tbDpT10_ENKUlT_T0_E_clISt17integral_constantIbLb0EES1B_EEDaS16_S17_EUlS16_E_NS1_11comp_targetILNS1_3genE0ELNS1_11target_archE4294967295ELNS1_3gpuE0ELNS1_3repE0EEENS1_30default_config_static_selectorELNS0_4arch9wavefront6targetE0EEEvT1_.has_dyn_sized_stack, 0
	.set _ZN7rocprim17ROCPRIM_400000_NS6detail17trampoline_kernelINS0_14default_configENS1_25partition_config_selectorILNS1_17partition_subalgoE6EiNS0_10empty_typeEbEEZZNS1_14partition_implILS5_6ELb0ES3_mN6thrust23THRUST_200600_302600_NS6detail15normal_iteratorINSA_10device_ptrIiEEEEPS6_SG_NS0_5tupleIJNSA_16discard_iteratorINSA_11use_defaultEEES6_EEENSH_IJSG_SG_EEES6_PlJNSB_9not_fun_tI7is_trueIiEEEEEE10hipError_tPvRmT3_T4_T5_T6_T7_T9_mT8_P12ihipStream_tbDpT10_ENKUlT_T0_E_clISt17integral_constantIbLb0EES1B_EEDaS16_S17_EUlS16_E_NS1_11comp_targetILNS1_3genE0ELNS1_11target_archE4294967295ELNS1_3gpuE0ELNS1_3repE0EEENS1_30default_config_static_selectorELNS0_4arch9wavefront6targetE0EEEvT1_.has_recursion, 0
	.set _ZN7rocprim17ROCPRIM_400000_NS6detail17trampoline_kernelINS0_14default_configENS1_25partition_config_selectorILNS1_17partition_subalgoE6EiNS0_10empty_typeEbEEZZNS1_14partition_implILS5_6ELb0ES3_mN6thrust23THRUST_200600_302600_NS6detail15normal_iteratorINSA_10device_ptrIiEEEEPS6_SG_NS0_5tupleIJNSA_16discard_iteratorINSA_11use_defaultEEES6_EEENSH_IJSG_SG_EEES6_PlJNSB_9not_fun_tI7is_trueIiEEEEEE10hipError_tPvRmT3_T4_T5_T6_T7_T9_mT8_P12ihipStream_tbDpT10_ENKUlT_T0_E_clISt17integral_constantIbLb0EES1B_EEDaS16_S17_EUlS16_E_NS1_11comp_targetILNS1_3genE0ELNS1_11target_archE4294967295ELNS1_3gpuE0ELNS1_3repE0EEENS1_30default_config_static_selectorELNS0_4arch9wavefront6targetE0EEEvT1_.has_indirect_call, 0
	.section	.AMDGPU.csdata,"",@progbits
; Kernel info:
; codeLenInByte = 0
; TotalNumSgprs: 0
; NumVgprs: 0
; ScratchSize: 0
; MemoryBound: 0
; FloatMode: 240
; IeeeMode: 1
; LDSByteSize: 0 bytes/workgroup (compile time only)
; SGPRBlocks: 0
; VGPRBlocks: 0
; NumSGPRsForWavesPerEU: 1
; NumVGPRsForWavesPerEU: 1
; Occupancy: 16
; WaveLimiterHint : 0
; COMPUTE_PGM_RSRC2:SCRATCH_EN: 0
; COMPUTE_PGM_RSRC2:USER_SGPR: 2
; COMPUTE_PGM_RSRC2:TRAP_HANDLER: 0
; COMPUTE_PGM_RSRC2:TGID_X_EN: 1
; COMPUTE_PGM_RSRC2:TGID_Y_EN: 0
; COMPUTE_PGM_RSRC2:TGID_Z_EN: 0
; COMPUTE_PGM_RSRC2:TIDIG_COMP_CNT: 0
	.section	.text._ZN7rocprim17ROCPRIM_400000_NS6detail17trampoline_kernelINS0_14default_configENS1_25partition_config_selectorILNS1_17partition_subalgoE6EiNS0_10empty_typeEbEEZZNS1_14partition_implILS5_6ELb0ES3_mN6thrust23THRUST_200600_302600_NS6detail15normal_iteratorINSA_10device_ptrIiEEEEPS6_SG_NS0_5tupleIJNSA_16discard_iteratorINSA_11use_defaultEEES6_EEENSH_IJSG_SG_EEES6_PlJNSB_9not_fun_tI7is_trueIiEEEEEE10hipError_tPvRmT3_T4_T5_T6_T7_T9_mT8_P12ihipStream_tbDpT10_ENKUlT_T0_E_clISt17integral_constantIbLb0EES1B_EEDaS16_S17_EUlS16_E_NS1_11comp_targetILNS1_3genE5ELNS1_11target_archE942ELNS1_3gpuE9ELNS1_3repE0EEENS1_30default_config_static_selectorELNS0_4arch9wavefront6targetE0EEEvT1_,"axG",@progbits,_ZN7rocprim17ROCPRIM_400000_NS6detail17trampoline_kernelINS0_14default_configENS1_25partition_config_selectorILNS1_17partition_subalgoE6EiNS0_10empty_typeEbEEZZNS1_14partition_implILS5_6ELb0ES3_mN6thrust23THRUST_200600_302600_NS6detail15normal_iteratorINSA_10device_ptrIiEEEEPS6_SG_NS0_5tupleIJNSA_16discard_iteratorINSA_11use_defaultEEES6_EEENSH_IJSG_SG_EEES6_PlJNSB_9not_fun_tI7is_trueIiEEEEEE10hipError_tPvRmT3_T4_T5_T6_T7_T9_mT8_P12ihipStream_tbDpT10_ENKUlT_T0_E_clISt17integral_constantIbLb0EES1B_EEDaS16_S17_EUlS16_E_NS1_11comp_targetILNS1_3genE5ELNS1_11target_archE942ELNS1_3gpuE9ELNS1_3repE0EEENS1_30default_config_static_selectorELNS0_4arch9wavefront6targetE0EEEvT1_,comdat
	.protected	_ZN7rocprim17ROCPRIM_400000_NS6detail17trampoline_kernelINS0_14default_configENS1_25partition_config_selectorILNS1_17partition_subalgoE6EiNS0_10empty_typeEbEEZZNS1_14partition_implILS5_6ELb0ES3_mN6thrust23THRUST_200600_302600_NS6detail15normal_iteratorINSA_10device_ptrIiEEEEPS6_SG_NS0_5tupleIJNSA_16discard_iteratorINSA_11use_defaultEEES6_EEENSH_IJSG_SG_EEES6_PlJNSB_9not_fun_tI7is_trueIiEEEEEE10hipError_tPvRmT3_T4_T5_T6_T7_T9_mT8_P12ihipStream_tbDpT10_ENKUlT_T0_E_clISt17integral_constantIbLb0EES1B_EEDaS16_S17_EUlS16_E_NS1_11comp_targetILNS1_3genE5ELNS1_11target_archE942ELNS1_3gpuE9ELNS1_3repE0EEENS1_30default_config_static_selectorELNS0_4arch9wavefront6targetE0EEEvT1_ ; -- Begin function _ZN7rocprim17ROCPRIM_400000_NS6detail17trampoline_kernelINS0_14default_configENS1_25partition_config_selectorILNS1_17partition_subalgoE6EiNS0_10empty_typeEbEEZZNS1_14partition_implILS5_6ELb0ES3_mN6thrust23THRUST_200600_302600_NS6detail15normal_iteratorINSA_10device_ptrIiEEEEPS6_SG_NS0_5tupleIJNSA_16discard_iteratorINSA_11use_defaultEEES6_EEENSH_IJSG_SG_EEES6_PlJNSB_9not_fun_tI7is_trueIiEEEEEE10hipError_tPvRmT3_T4_T5_T6_T7_T9_mT8_P12ihipStream_tbDpT10_ENKUlT_T0_E_clISt17integral_constantIbLb0EES1B_EEDaS16_S17_EUlS16_E_NS1_11comp_targetILNS1_3genE5ELNS1_11target_archE942ELNS1_3gpuE9ELNS1_3repE0EEENS1_30default_config_static_selectorELNS0_4arch9wavefront6targetE0EEEvT1_
	.globl	_ZN7rocprim17ROCPRIM_400000_NS6detail17trampoline_kernelINS0_14default_configENS1_25partition_config_selectorILNS1_17partition_subalgoE6EiNS0_10empty_typeEbEEZZNS1_14partition_implILS5_6ELb0ES3_mN6thrust23THRUST_200600_302600_NS6detail15normal_iteratorINSA_10device_ptrIiEEEEPS6_SG_NS0_5tupleIJNSA_16discard_iteratorINSA_11use_defaultEEES6_EEENSH_IJSG_SG_EEES6_PlJNSB_9not_fun_tI7is_trueIiEEEEEE10hipError_tPvRmT3_T4_T5_T6_T7_T9_mT8_P12ihipStream_tbDpT10_ENKUlT_T0_E_clISt17integral_constantIbLb0EES1B_EEDaS16_S17_EUlS16_E_NS1_11comp_targetILNS1_3genE5ELNS1_11target_archE942ELNS1_3gpuE9ELNS1_3repE0EEENS1_30default_config_static_selectorELNS0_4arch9wavefront6targetE0EEEvT1_
	.p2align	8
	.type	_ZN7rocprim17ROCPRIM_400000_NS6detail17trampoline_kernelINS0_14default_configENS1_25partition_config_selectorILNS1_17partition_subalgoE6EiNS0_10empty_typeEbEEZZNS1_14partition_implILS5_6ELb0ES3_mN6thrust23THRUST_200600_302600_NS6detail15normal_iteratorINSA_10device_ptrIiEEEEPS6_SG_NS0_5tupleIJNSA_16discard_iteratorINSA_11use_defaultEEES6_EEENSH_IJSG_SG_EEES6_PlJNSB_9not_fun_tI7is_trueIiEEEEEE10hipError_tPvRmT3_T4_T5_T6_T7_T9_mT8_P12ihipStream_tbDpT10_ENKUlT_T0_E_clISt17integral_constantIbLb0EES1B_EEDaS16_S17_EUlS16_E_NS1_11comp_targetILNS1_3genE5ELNS1_11target_archE942ELNS1_3gpuE9ELNS1_3repE0EEENS1_30default_config_static_selectorELNS0_4arch9wavefront6targetE0EEEvT1_,@function
_ZN7rocprim17ROCPRIM_400000_NS6detail17trampoline_kernelINS0_14default_configENS1_25partition_config_selectorILNS1_17partition_subalgoE6EiNS0_10empty_typeEbEEZZNS1_14partition_implILS5_6ELb0ES3_mN6thrust23THRUST_200600_302600_NS6detail15normal_iteratorINSA_10device_ptrIiEEEEPS6_SG_NS0_5tupleIJNSA_16discard_iteratorINSA_11use_defaultEEES6_EEENSH_IJSG_SG_EEES6_PlJNSB_9not_fun_tI7is_trueIiEEEEEE10hipError_tPvRmT3_T4_T5_T6_T7_T9_mT8_P12ihipStream_tbDpT10_ENKUlT_T0_E_clISt17integral_constantIbLb0EES1B_EEDaS16_S17_EUlS16_E_NS1_11comp_targetILNS1_3genE5ELNS1_11target_archE942ELNS1_3gpuE9ELNS1_3repE0EEENS1_30default_config_static_selectorELNS0_4arch9wavefront6targetE0EEEvT1_: ; @_ZN7rocprim17ROCPRIM_400000_NS6detail17trampoline_kernelINS0_14default_configENS1_25partition_config_selectorILNS1_17partition_subalgoE6EiNS0_10empty_typeEbEEZZNS1_14partition_implILS5_6ELb0ES3_mN6thrust23THRUST_200600_302600_NS6detail15normal_iteratorINSA_10device_ptrIiEEEEPS6_SG_NS0_5tupleIJNSA_16discard_iteratorINSA_11use_defaultEEES6_EEENSH_IJSG_SG_EEES6_PlJNSB_9not_fun_tI7is_trueIiEEEEEE10hipError_tPvRmT3_T4_T5_T6_T7_T9_mT8_P12ihipStream_tbDpT10_ENKUlT_T0_E_clISt17integral_constantIbLb0EES1B_EEDaS16_S17_EUlS16_E_NS1_11comp_targetILNS1_3genE5ELNS1_11target_archE942ELNS1_3gpuE9ELNS1_3repE0EEENS1_30default_config_static_selectorELNS0_4arch9wavefront6targetE0EEEvT1_
; %bb.0:
	.section	.rodata,"a",@progbits
	.p2align	6, 0x0
	.amdhsa_kernel _ZN7rocprim17ROCPRIM_400000_NS6detail17trampoline_kernelINS0_14default_configENS1_25partition_config_selectorILNS1_17partition_subalgoE6EiNS0_10empty_typeEbEEZZNS1_14partition_implILS5_6ELb0ES3_mN6thrust23THRUST_200600_302600_NS6detail15normal_iteratorINSA_10device_ptrIiEEEEPS6_SG_NS0_5tupleIJNSA_16discard_iteratorINSA_11use_defaultEEES6_EEENSH_IJSG_SG_EEES6_PlJNSB_9not_fun_tI7is_trueIiEEEEEE10hipError_tPvRmT3_T4_T5_T6_T7_T9_mT8_P12ihipStream_tbDpT10_ENKUlT_T0_E_clISt17integral_constantIbLb0EES1B_EEDaS16_S17_EUlS16_E_NS1_11comp_targetILNS1_3genE5ELNS1_11target_archE942ELNS1_3gpuE9ELNS1_3repE0EEENS1_30default_config_static_selectorELNS0_4arch9wavefront6targetE0EEEvT1_
		.amdhsa_group_segment_fixed_size 0
		.amdhsa_private_segment_fixed_size 0
		.amdhsa_kernarg_size 120
		.amdhsa_user_sgpr_count 2
		.amdhsa_user_sgpr_dispatch_ptr 0
		.amdhsa_user_sgpr_queue_ptr 0
		.amdhsa_user_sgpr_kernarg_segment_ptr 1
		.amdhsa_user_sgpr_dispatch_id 0
		.amdhsa_user_sgpr_private_segment_size 0
		.amdhsa_wavefront_size32 1
		.amdhsa_uses_dynamic_stack 0
		.amdhsa_enable_private_segment 0
		.amdhsa_system_sgpr_workgroup_id_x 1
		.amdhsa_system_sgpr_workgroup_id_y 0
		.amdhsa_system_sgpr_workgroup_id_z 0
		.amdhsa_system_sgpr_workgroup_info 0
		.amdhsa_system_vgpr_workitem_id 0
		.amdhsa_next_free_vgpr 1
		.amdhsa_next_free_sgpr 1
		.amdhsa_reserve_vcc 0
		.amdhsa_float_round_mode_32 0
		.amdhsa_float_round_mode_16_64 0
		.amdhsa_float_denorm_mode_32 3
		.amdhsa_float_denorm_mode_16_64 3
		.amdhsa_fp16_overflow 0
		.amdhsa_workgroup_processor_mode 1
		.amdhsa_memory_ordered 1
		.amdhsa_forward_progress 1
		.amdhsa_inst_pref_size 0
		.amdhsa_round_robin_scheduling 0
		.amdhsa_exception_fp_ieee_invalid_op 0
		.amdhsa_exception_fp_denorm_src 0
		.amdhsa_exception_fp_ieee_div_zero 0
		.amdhsa_exception_fp_ieee_overflow 0
		.amdhsa_exception_fp_ieee_underflow 0
		.amdhsa_exception_fp_ieee_inexact 0
		.amdhsa_exception_int_div_zero 0
	.end_amdhsa_kernel
	.section	.text._ZN7rocprim17ROCPRIM_400000_NS6detail17trampoline_kernelINS0_14default_configENS1_25partition_config_selectorILNS1_17partition_subalgoE6EiNS0_10empty_typeEbEEZZNS1_14partition_implILS5_6ELb0ES3_mN6thrust23THRUST_200600_302600_NS6detail15normal_iteratorINSA_10device_ptrIiEEEEPS6_SG_NS0_5tupleIJNSA_16discard_iteratorINSA_11use_defaultEEES6_EEENSH_IJSG_SG_EEES6_PlJNSB_9not_fun_tI7is_trueIiEEEEEE10hipError_tPvRmT3_T4_T5_T6_T7_T9_mT8_P12ihipStream_tbDpT10_ENKUlT_T0_E_clISt17integral_constantIbLb0EES1B_EEDaS16_S17_EUlS16_E_NS1_11comp_targetILNS1_3genE5ELNS1_11target_archE942ELNS1_3gpuE9ELNS1_3repE0EEENS1_30default_config_static_selectorELNS0_4arch9wavefront6targetE0EEEvT1_,"axG",@progbits,_ZN7rocprim17ROCPRIM_400000_NS6detail17trampoline_kernelINS0_14default_configENS1_25partition_config_selectorILNS1_17partition_subalgoE6EiNS0_10empty_typeEbEEZZNS1_14partition_implILS5_6ELb0ES3_mN6thrust23THRUST_200600_302600_NS6detail15normal_iteratorINSA_10device_ptrIiEEEEPS6_SG_NS0_5tupleIJNSA_16discard_iteratorINSA_11use_defaultEEES6_EEENSH_IJSG_SG_EEES6_PlJNSB_9not_fun_tI7is_trueIiEEEEEE10hipError_tPvRmT3_T4_T5_T6_T7_T9_mT8_P12ihipStream_tbDpT10_ENKUlT_T0_E_clISt17integral_constantIbLb0EES1B_EEDaS16_S17_EUlS16_E_NS1_11comp_targetILNS1_3genE5ELNS1_11target_archE942ELNS1_3gpuE9ELNS1_3repE0EEENS1_30default_config_static_selectorELNS0_4arch9wavefront6targetE0EEEvT1_,comdat
.Lfunc_end2270:
	.size	_ZN7rocprim17ROCPRIM_400000_NS6detail17trampoline_kernelINS0_14default_configENS1_25partition_config_selectorILNS1_17partition_subalgoE6EiNS0_10empty_typeEbEEZZNS1_14partition_implILS5_6ELb0ES3_mN6thrust23THRUST_200600_302600_NS6detail15normal_iteratorINSA_10device_ptrIiEEEEPS6_SG_NS0_5tupleIJNSA_16discard_iteratorINSA_11use_defaultEEES6_EEENSH_IJSG_SG_EEES6_PlJNSB_9not_fun_tI7is_trueIiEEEEEE10hipError_tPvRmT3_T4_T5_T6_T7_T9_mT8_P12ihipStream_tbDpT10_ENKUlT_T0_E_clISt17integral_constantIbLb0EES1B_EEDaS16_S17_EUlS16_E_NS1_11comp_targetILNS1_3genE5ELNS1_11target_archE942ELNS1_3gpuE9ELNS1_3repE0EEENS1_30default_config_static_selectorELNS0_4arch9wavefront6targetE0EEEvT1_, .Lfunc_end2270-_ZN7rocprim17ROCPRIM_400000_NS6detail17trampoline_kernelINS0_14default_configENS1_25partition_config_selectorILNS1_17partition_subalgoE6EiNS0_10empty_typeEbEEZZNS1_14partition_implILS5_6ELb0ES3_mN6thrust23THRUST_200600_302600_NS6detail15normal_iteratorINSA_10device_ptrIiEEEEPS6_SG_NS0_5tupleIJNSA_16discard_iteratorINSA_11use_defaultEEES6_EEENSH_IJSG_SG_EEES6_PlJNSB_9not_fun_tI7is_trueIiEEEEEE10hipError_tPvRmT3_T4_T5_T6_T7_T9_mT8_P12ihipStream_tbDpT10_ENKUlT_T0_E_clISt17integral_constantIbLb0EES1B_EEDaS16_S17_EUlS16_E_NS1_11comp_targetILNS1_3genE5ELNS1_11target_archE942ELNS1_3gpuE9ELNS1_3repE0EEENS1_30default_config_static_selectorELNS0_4arch9wavefront6targetE0EEEvT1_
                                        ; -- End function
	.set _ZN7rocprim17ROCPRIM_400000_NS6detail17trampoline_kernelINS0_14default_configENS1_25partition_config_selectorILNS1_17partition_subalgoE6EiNS0_10empty_typeEbEEZZNS1_14partition_implILS5_6ELb0ES3_mN6thrust23THRUST_200600_302600_NS6detail15normal_iteratorINSA_10device_ptrIiEEEEPS6_SG_NS0_5tupleIJNSA_16discard_iteratorINSA_11use_defaultEEES6_EEENSH_IJSG_SG_EEES6_PlJNSB_9not_fun_tI7is_trueIiEEEEEE10hipError_tPvRmT3_T4_T5_T6_T7_T9_mT8_P12ihipStream_tbDpT10_ENKUlT_T0_E_clISt17integral_constantIbLb0EES1B_EEDaS16_S17_EUlS16_E_NS1_11comp_targetILNS1_3genE5ELNS1_11target_archE942ELNS1_3gpuE9ELNS1_3repE0EEENS1_30default_config_static_selectorELNS0_4arch9wavefront6targetE0EEEvT1_.num_vgpr, 0
	.set _ZN7rocprim17ROCPRIM_400000_NS6detail17trampoline_kernelINS0_14default_configENS1_25partition_config_selectorILNS1_17partition_subalgoE6EiNS0_10empty_typeEbEEZZNS1_14partition_implILS5_6ELb0ES3_mN6thrust23THRUST_200600_302600_NS6detail15normal_iteratorINSA_10device_ptrIiEEEEPS6_SG_NS0_5tupleIJNSA_16discard_iteratorINSA_11use_defaultEEES6_EEENSH_IJSG_SG_EEES6_PlJNSB_9not_fun_tI7is_trueIiEEEEEE10hipError_tPvRmT3_T4_T5_T6_T7_T9_mT8_P12ihipStream_tbDpT10_ENKUlT_T0_E_clISt17integral_constantIbLb0EES1B_EEDaS16_S17_EUlS16_E_NS1_11comp_targetILNS1_3genE5ELNS1_11target_archE942ELNS1_3gpuE9ELNS1_3repE0EEENS1_30default_config_static_selectorELNS0_4arch9wavefront6targetE0EEEvT1_.num_agpr, 0
	.set _ZN7rocprim17ROCPRIM_400000_NS6detail17trampoline_kernelINS0_14default_configENS1_25partition_config_selectorILNS1_17partition_subalgoE6EiNS0_10empty_typeEbEEZZNS1_14partition_implILS5_6ELb0ES3_mN6thrust23THRUST_200600_302600_NS6detail15normal_iteratorINSA_10device_ptrIiEEEEPS6_SG_NS0_5tupleIJNSA_16discard_iteratorINSA_11use_defaultEEES6_EEENSH_IJSG_SG_EEES6_PlJNSB_9not_fun_tI7is_trueIiEEEEEE10hipError_tPvRmT3_T4_T5_T6_T7_T9_mT8_P12ihipStream_tbDpT10_ENKUlT_T0_E_clISt17integral_constantIbLb0EES1B_EEDaS16_S17_EUlS16_E_NS1_11comp_targetILNS1_3genE5ELNS1_11target_archE942ELNS1_3gpuE9ELNS1_3repE0EEENS1_30default_config_static_selectorELNS0_4arch9wavefront6targetE0EEEvT1_.numbered_sgpr, 0
	.set _ZN7rocprim17ROCPRIM_400000_NS6detail17trampoline_kernelINS0_14default_configENS1_25partition_config_selectorILNS1_17partition_subalgoE6EiNS0_10empty_typeEbEEZZNS1_14partition_implILS5_6ELb0ES3_mN6thrust23THRUST_200600_302600_NS6detail15normal_iteratorINSA_10device_ptrIiEEEEPS6_SG_NS0_5tupleIJNSA_16discard_iteratorINSA_11use_defaultEEES6_EEENSH_IJSG_SG_EEES6_PlJNSB_9not_fun_tI7is_trueIiEEEEEE10hipError_tPvRmT3_T4_T5_T6_T7_T9_mT8_P12ihipStream_tbDpT10_ENKUlT_T0_E_clISt17integral_constantIbLb0EES1B_EEDaS16_S17_EUlS16_E_NS1_11comp_targetILNS1_3genE5ELNS1_11target_archE942ELNS1_3gpuE9ELNS1_3repE0EEENS1_30default_config_static_selectorELNS0_4arch9wavefront6targetE0EEEvT1_.num_named_barrier, 0
	.set _ZN7rocprim17ROCPRIM_400000_NS6detail17trampoline_kernelINS0_14default_configENS1_25partition_config_selectorILNS1_17partition_subalgoE6EiNS0_10empty_typeEbEEZZNS1_14partition_implILS5_6ELb0ES3_mN6thrust23THRUST_200600_302600_NS6detail15normal_iteratorINSA_10device_ptrIiEEEEPS6_SG_NS0_5tupleIJNSA_16discard_iteratorINSA_11use_defaultEEES6_EEENSH_IJSG_SG_EEES6_PlJNSB_9not_fun_tI7is_trueIiEEEEEE10hipError_tPvRmT3_T4_T5_T6_T7_T9_mT8_P12ihipStream_tbDpT10_ENKUlT_T0_E_clISt17integral_constantIbLb0EES1B_EEDaS16_S17_EUlS16_E_NS1_11comp_targetILNS1_3genE5ELNS1_11target_archE942ELNS1_3gpuE9ELNS1_3repE0EEENS1_30default_config_static_selectorELNS0_4arch9wavefront6targetE0EEEvT1_.private_seg_size, 0
	.set _ZN7rocprim17ROCPRIM_400000_NS6detail17trampoline_kernelINS0_14default_configENS1_25partition_config_selectorILNS1_17partition_subalgoE6EiNS0_10empty_typeEbEEZZNS1_14partition_implILS5_6ELb0ES3_mN6thrust23THRUST_200600_302600_NS6detail15normal_iteratorINSA_10device_ptrIiEEEEPS6_SG_NS0_5tupleIJNSA_16discard_iteratorINSA_11use_defaultEEES6_EEENSH_IJSG_SG_EEES6_PlJNSB_9not_fun_tI7is_trueIiEEEEEE10hipError_tPvRmT3_T4_T5_T6_T7_T9_mT8_P12ihipStream_tbDpT10_ENKUlT_T0_E_clISt17integral_constantIbLb0EES1B_EEDaS16_S17_EUlS16_E_NS1_11comp_targetILNS1_3genE5ELNS1_11target_archE942ELNS1_3gpuE9ELNS1_3repE0EEENS1_30default_config_static_selectorELNS0_4arch9wavefront6targetE0EEEvT1_.uses_vcc, 0
	.set _ZN7rocprim17ROCPRIM_400000_NS6detail17trampoline_kernelINS0_14default_configENS1_25partition_config_selectorILNS1_17partition_subalgoE6EiNS0_10empty_typeEbEEZZNS1_14partition_implILS5_6ELb0ES3_mN6thrust23THRUST_200600_302600_NS6detail15normal_iteratorINSA_10device_ptrIiEEEEPS6_SG_NS0_5tupleIJNSA_16discard_iteratorINSA_11use_defaultEEES6_EEENSH_IJSG_SG_EEES6_PlJNSB_9not_fun_tI7is_trueIiEEEEEE10hipError_tPvRmT3_T4_T5_T6_T7_T9_mT8_P12ihipStream_tbDpT10_ENKUlT_T0_E_clISt17integral_constantIbLb0EES1B_EEDaS16_S17_EUlS16_E_NS1_11comp_targetILNS1_3genE5ELNS1_11target_archE942ELNS1_3gpuE9ELNS1_3repE0EEENS1_30default_config_static_selectorELNS0_4arch9wavefront6targetE0EEEvT1_.uses_flat_scratch, 0
	.set _ZN7rocprim17ROCPRIM_400000_NS6detail17trampoline_kernelINS0_14default_configENS1_25partition_config_selectorILNS1_17partition_subalgoE6EiNS0_10empty_typeEbEEZZNS1_14partition_implILS5_6ELb0ES3_mN6thrust23THRUST_200600_302600_NS6detail15normal_iteratorINSA_10device_ptrIiEEEEPS6_SG_NS0_5tupleIJNSA_16discard_iteratorINSA_11use_defaultEEES6_EEENSH_IJSG_SG_EEES6_PlJNSB_9not_fun_tI7is_trueIiEEEEEE10hipError_tPvRmT3_T4_T5_T6_T7_T9_mT8_P12ihipStream_tbDpT10_ENKUlT_T0_E_clISt17integral_constantIbLb0EES1B_EEDaS16_S17_EUlS16_E_NS1_11comp_targetILNS1_3genE5ELNS1_11target_archE942ELNS1_3gpuE9ELNS1_3repE0EEENS1_30default_config_static_selectorELNS0_4arch9wavefront6targetE0EEEvT1_.has_dyn_sized_stack, 0
	.set _ZN7rocprim17ROCPRIM_400000_NS6detail17trampoline_kernelINS0_14default_configENS1_25partition_config_selectorILNS1_17partition_subalgoE6EiNS0_10empty_typeEbEEZZNS1_14partition_implILS5_6ELb0ES3_mN6thrust23THRUST_200600_302600_NS6detail15normal_iteratorINSA_10device_ptrIiEEEEPS6_SG_NS0_5tupleIJNSA_16discard_iteratorINSA_11use_defaultEEES6_EEENSH_IJSG_SG_EEES6_PlJNSB_9not_fun_tI7is_trueIiEEEEEE10hipError_tPvRmT3_T4_T5_T6_T7_T9_mT8_P12ihipStream_tbDpT10_ENKUlT_T0_E_clISt17integral_constantIbLb0EES1B_EEDaS16_S17_EUlS16_E_NS1_11comp_targetILNS1_3genE5ELNS1_11target_archE942ELNS1_3gpuE9ELNS1_3repE0EEENS1_30default_config_static_selectorELNS0_4arch9wavefront6targetE0EEEvT1_.has_recursion, 0
	.set _ZN7rocprim17ROCPRIM_400000_NS6detail17trampoline_kernelINS0_14default_configENS1_25partition_config_selectorILNS1_17partition_subalgoE6EiNS0_10empty_typeEbEEZZNS1_14partition_implILS5_6ELb0ES3_mN6thrust23THRUST_200600_302600_NS6detail15normal_iteratorINSA_10device_ptrIiEEEEPS6_SG_NS0_5tupleIJNSA_16discard_iteratorINSA_11use_defaultEEES6_EEENSH_IJSG_SG_EEES6_PlJNSB_9not_fun_tI7is_trueIiEEEEEE10hipError_tPvRmT3_T4_T5_T6_T7_T9_mT8_P12ihipStream_tbDpT10_ENKUlT_T0_E_clISt17integral_constantIbLb0EES1B_EEDaS16_S17_EUlS16_E_NS1_11comp_targetILNS1_3genE5ELNS1_11target_archE942ELNS1_3gpuE9ELNS1_3repE0EEENS1_30default_config_static_selectorELNS0_4arch9wavefront6targetE0EEEvT1_.has_indirect_call, 0
	.section	.AMDGPU.csdata,"",@progbits
; Kernel info:
; codeLenInByte = 0
; TotalNumSgprs: 0
; NumVgprs: 0
; ScratchSize: 0
; MemoryBound: 0
; FloatMode: 240
; IeeeMode: 1
; LDSByteSize: 0 bytes/workgroup (compile time only)
; SGPRBlocks: 0
; VGPRBlocks: 0
; NumSGPRsForWavesPerEU: 1
; NumVGPRsForWavesPerEU: 1
; Occupancy: 16
; WaveLimiterHint : 0
; COMPUTE_PGM_RSRC2:SCRATCH_EN: 0
; COMPUTE_PGM_RSRC2:USER_SGPR: 2
; COMPUTE_PGM_RSRC2:TRAP_HANDLER: 0
; COMPUTE_PGM_RSRC2:TGID_X_EN: 1
; COMPUTE_PGM_RSRC2:TGID_Y_EN: 0
; COMPUTE_PGM_RSRC2:TGID_Z_EN: 0
; COMPUTE_PGM_RSRC2:TIDIG_COMP_CNT: 0
	.section	.text._ZN7rocprim17ROCPRIM_400000_NS6detail17trampoline_kernelINS0_14default_configENS1_25partition_config_selectorILNS1_17partition_subalgoE6EiNS0_10empty_typeEbEEZZNS1_14partition_implILS5_6ELb0ES3_mN6thrust23THRUST_200600_302600_NS6detail15normal_iteratorINSA_10device_ptrIiEEEEPS6_SG_NS0_5tupleIJNSA_16discard_iteratorINSA_11use_defaultEEES6_EEENSH_IJSG_SG_EEES6_PlJNSB_9not_fun_tI7is_trueIiEEEEEE10hipError_tPvRmT3_T4_T5_T6_T7_T9_mT8_P12ihipStream_tbDpT10_ENKUlT_T0_E_clISt17integral_constantIbLb0EES1B_EEDaS16_S17_EUlS16_E_NS1_11comp_targetILNS1_3genE4ELNS1_11target_archE910ELNS1_3gpuE8ELNS1_3repE0EEENS1_30default_config_static_selectorELNS0_4arch9wavefront6targetE0EEEvT1_,"axG",@progbits,_ZN7rocprim17ROCPRIM_400000_NS6detail17trampoline_kernelINS0_14default_configENS1_25partition_config_selectorILNS1_17partition_subalgoE6EiNS0_10empty_typeEbEEZZNS1_14partition_implILS5_6ELb0ES3_mN6thrust23THRUST_200600_302600_NS6detail15normal_iteratorINSA_10device_ptrIiEEEEPS6_SG_NS0_5tupleIJNSA_16discard_iteratorINSA_11use_defaultEEES6_EEENSH_IJSG_SG_EEES6_PlJNSB_9not_fun_tI7is_trueIiEEEEEE10hipError_tPvRmT3_T4_T5_T6_T7_T9_mT8_P12ihipStream_tbDpT10_ENKUlT_T0_E_clISt17integral_constantIbLb0EES1B_EEDaS16_S17_EUlS16_E_NS1_11comp_targetILNS1_3genE4ELNS1_11target_archE910ELNS1_3gpuE8ELNS1_3repE0EEENS1_30default_config_static_selectorELNS0_4arch9wavefront6targetE0EEEvT1_,comdat
	.protected	_ZN7rocprim17ROCPRIM_400000_NS6detail17trampoline_kernelINS0_14default_configENS1_25partition_config_selectorILNS1_17partition_subalgoE6EiNS0_10empty_typeEbEEZZNS1_14partition_implILS5_6ELb0ES3_mN6thrust23THRUST_200600_302600_NS6detail15normal_iteratorINSA_10device_ptrIiEEEEPS6_SG_NS0_5tupleIJNSA_16discard_iteratorINSA_11use_defaultEEES6_EEENSH_IJSG_SG_EEES6_PlJNSB_9not_fun_tI7is_trueIiEEEEEE10hipError_tPvRmT3_T4_T5_T6_T7_T9_mT8_P12ihipStream_tbDpT10_ENKUlT_T0_E_clISt17integral_constantIbLb0EES1B_EEDaS16_S17_EUlS16_E_NS1_11comp_targetILNS1_3genE4ELNS1_11target_archE910ELNS1_3gpuE8ELNS1_3repE0EEENS1_30default_config_static_selectorELNS0_4arch9wavefront6targetE0EEEvT1_ ; -- Begin function _ZN7rocprim17ROCPRIM_400000_NS6detail17trampoline_kernelINS0_14default_configENS1_25partition_config_selectorILNS1_17partition_subalgoE6EiNS0_10empty_typeEbEEZZNS1_14partition_implILS5_6ELb0ES3_mN6thrust23THRUST_200600_302600_NS6detail15normal_iteratorINSA_10device_ptrIiEEEEPS6_SG_NS0_5tupleIJNSA_16discard_iteratorINSA_11use_defaultEEES6_EEENSH_IJSG_SG_EEES6_PlJNSB_9not_fun_tI7is_trueIiEEEEEE10hipError_tPvRmT3_T4_T5_T6_T7_T9_mT8_P12ihipStream_tbDpT10_ENKUlT_T0_E_clISt17integral_constantIbLb0EES1B_EEDaS16_S17_EUlS16_E_NS1_11comp_targetILNS1_3genE4ELNS1_11target_archE910ELNS1_3gpuE8ELNS1_3repE0EEENS1_30default_config_static_selectorELNS0_4arch9wavefront6targetE0EEEvT1_
	.globl	_ZN7rocprim17ROCPRIM_400000_NS6detail17trampoline_kernelINS0_14default_configENS1_25partition_config_selectorILNS1_17partition_subalgoE6EiNS0_10empty_typeEbEEZZNS1_14partition_implILS5_6ELb0ES3_mN6thrust23THRUST_200600_302600_NS6detail15normal_iteratorINSA_10device_ptrIiEEEEPS6_SG_NS0_5tupleIJNSA_16discard_iteratorINSA_11use_defaultEEES6_EEENSH_IJSG_SG_EEES6_PlJNSB_9not_fun_tI7is_trueIiEEEEEE10hipError_tPvRmT3_T4_T5_T6_T7_T9_mT8_P12ihipStream_tbDpT10_ENKUlT_T0_E_clISt17integral_constantIbLb0EES1B_EEDaS16_S17_EUlS16_E_NS1_11comp_targetILNS1_3genE4ELNS1_11target_archE910ELNS1_3gpuE8ELNS1_3repE0EEENS1_30default_config_static_selectorELNS0_4arch9wavefront6targetE0EEEvT1_
	.p2align	8
	.type	_ZN7rocprim17ROCPRIM_400000_NS6detail17trampoline_kernelINS0_14default_configENS1_25partition_config_selectorILNS1_17partition_subalgoE6EiNS0_10empty_typeEbEEZZNS1_14partition_implILS5_6ELb0ES3_mN6thrust23THRUST_200600_302600_NS6detail15normal_iteratorINSA_10device_ptrIiEEEEPS6_SG_NS0_5tupleIJNSA_16discard_iteratorINSA_11use_defaultEEES6_EEENSH_IJSG_SG_EEES6_PlJNSB_9not_fun_tI7is_trueIiEEEEEE10hipError_tPvRmT3_T4_T5_T6_T7_T9_mT8_P12ihipStream_tbDpT10_ENKUlT_T0_E_clISt17integral_constantIbLb0EES1B_EEDaS16_S17_EUlS16_E_NS1_11comp_targetILNS1_3genE4ELNS1_11target_archE910ELNS1_3gpuE8ELNS1_3repE0EEENS1_30default_config_static_selectorELNS0_4arch9wavefront6targetE0EEEvT1_,@function
_ZN7rocprim17ROCPRIM_400000_NS6detail17trampoline_kernelINS0_14default_configENS1_25partition_config_selectorILNS1_17partition_subalgoE6EiNS0_10empty_typeEbEEZZNS1_14partition_implILS5_6ELb0ES3_mN6thrust23THRUST_200600_302600_NS6detail15normal_iteratorINSA_10device_ptrIiEEEEPS6_SG_NS0_5tupleIJNSA_16discard_iteratorINSA_11use_defaultEEES6_EEENSH_IJSG_SG_EEES6_PlJNSB_9not_fun_tI7is_trueIiEEEEEE10hipError_tPvRmT3_T4_T5_T6_T7_T9_mT8_P12ihipStream_tbDpT10_ENKUlT_T0_E_clISt17integral_constantIbLb0EES1B_EEDaS16_S17_EUlS16_E_NS1_11comp_targetILNS1_3genE4ELNS1_11target_archE910ELNS1_3gpuE8ELNS1_3repE0EEENS1_30default_config_static_selectorELNS0_4arch9wavefront6targetE0EEEvT1_: ; @_ZN7rocprim17ROCPRIM_400000_NS6detail17trampoline_kernelINS0_14default_configENS1_25partition_config_selectorILNS1_17partition_subalgoE6EiNS0_10empty_typeEbEEZZNS1_14partition_implILS5_6ELb0ES3_mN6thrust23THRUST_200600_302600_NS6detail15normal_iteratorINSA_10device_ptrIiEEEEPS6_SG_NS0_5tupleIJNSA_16discard_iteratorINSA_11use_defaultEEES6_EEENSH_IJSG_SG_EEES6_PlJNSB_9not_fun_tI7is_trueIiEEEEEE10hipError_tPvRmT3_T4_T5_T6_T7_T9_mT8_P12ihipStream_tbDpT10_ENKUlT_T0_E_clISt17integral_constantIbLb0EES1B_EEDaS16_S17_EUlS16_E_NS1_11comp_targetILNS1_3genE4ELNS1_11target_archE910ELNS1_3gpuE8ELNS1_3repE0EEENS1_30default_config_static_selectorELNS0_4arch9wavefront6targetE0EEEvT1_
; %bb.0:
	.section	.rodata,"a",@progbits
	.p2align	6, 0x0
	.amdhsa_kernel _ZN7rocprim17ROCPRIM_400000_NS6detail17trampoline_kernelINS0_14default_configENS1_25partition_config_selectorILNS1_17partition_subalgoE6EiNS0_10empty_typeEbEEZZNS1_14partition_implILS5_6ELb0ES3_mN6thrust23THRUST_200600_302600_NS6detail15normal_iteratorINSA_10device_ptrIiEEEEPS6_SG_NS0_5tupleIJNSA_16discard_iteratorINSA_11use_defaultEEES6_EEENSH_IJSG_SG_EEES6_PlJNSB_9not_fun_tI7is_trueIiEEEEEE10hipError_tPvRmT3_T4_T5_T6_T7_T9_mT8_P12ihipStream_tbDpT10_ENKUlT_T0_E_clISt17integral_constantIbLb0EES1B_EEDaS16_S17_EUlS16_E_NS1_11comp_targetILNS1_3genE4ELNS1_11target_archE910ELNS1_3gpuE8ELNS1_3repE0EEENS1_30default_config_static_selectorELNS0_4arch9wavefront6targetE0EEEvT1_
		.amdhsa_group_segment_fixed_size 0
		.amdhsa_private_segment_fixed_size 0
		.amdhsa_kernarg_size 120
		.amdhsa_user_sgpr_count 2
		.amdhsa_user_sgpr_dispatch_ptr 0
		.amdhsa_user_sgpr_queue_ptr 0
		.amdhsa_user_sgpr_kernarg_segment_ptr 1
		.amdhsa_user_sgpr_dispatch_id 0
		.amdhsa_user_sgpr_private_segment_size 0
		.amdhsa_wavefront_size32 1
		.amdhsa_uses_dynamic_stack 0
		.amdhsa_enable_private_segment 0
		.amdhsa_system_sgpr_workgroup_id_x 1
		.amdhsa_system_sgpr_workgroup_id_y 0
		.amdhsa_system_sgpr_workgroup_id_z 0
		.amdhsa_system_sgpr_workgroup_info 0
		.amdhsa_system_vgpr_workitem_id 0
		.amdhsa_next_free_vgpr 1
		.amdhsa_next_free_sgpr 1
		.amdhsa_reserve_vcc 0
		.amdhsa_float_round_mode_32 0
		.amdhsa_float_round_mode_16_64 0
		.amdhsa_float_denorm_mode_32 3
		.amdhsa_float_denorm_mode_16_64 3
		.amdhsa_fp16_overflow 0
		.amdhsa_workgroup_processor_mode 1
		.amdhsa_memory_ordered 1
		.amdhsa_forward_progress 1
		.amdhsa_inst_pref_size 0
		.amdhsa_round_robin_scheduling 0
		.amdhsa_exception_fp_ieee_invalid_op 0
		.amdhsa_exception_fp_denorm_src 0
		.amdhsa_exception_fp_ieee_div_zero 0
		.amdhsa_exception_fp_ieee_overflow 0
		.amdhsa_exception_fp_ieee_underflow 0
		.amdhsa_exception_fp_ieee_inexact 0
		.amdhsa_exception_int_div_zero 0
	.end_amdhsa_kernel
	.section	.text._ZN7rocprim17ROCPRIM_400000_NS6detail17trampoline_kernelINS0_14default_configENS1_25partition_config_selectorILNS1_17partition_subalgoE6EiNS0_10empty_typeEbEEZZNS1_14partition_implILS5_6ELb0ES3_mN6thrust23THRUST_200600_302600_NS6detail15normal_iteratorINSA_10device_ptrIiEEEEPS6_SG_NS0_5tupleIJNSA_16discard_iteratorINSA_11use_defaultEEES6_EEENSH_IJSG_SG_EEES6_PlJNSB_9not_fun_tI7is_trueIiEEEEEE10hipError_tPvRmT3_T4_T5_T6_T7_T9_mT8_P12ihipStream_tbDpT10_ENKUlT_T0_E_clISt17integral_constantIbLb0EES1B_EEDaS16_S17_EUlS16_E_NS1_11comp_targetILNS1_3genE4ELNS1_11target_archE910ELNS1_3gpuE8ELNS1_3repE0EEENS1_30default_config_static_selectorELNS0_4arch9wavefront6targetE0EEEvT1_,"axG",@progbits,_ZN7rocprim17ROCPRIM_400000_NS6detail17trampoline_kernelINS0_14default_configENS1_25partition_config_selectorILNS1_17partition_subalgoE6EiNS0_10empty_typeEbEEZZNS1_14partition_implILS5_6ELb0ES3_mN6thrust23THRUST_200600_302600_NS6detail15normal_iteratorINSA_10device_ptrIiEEEEPS6_SG_NS0_5tupleIJNSA_16discard_iteratorINSA_11use_defaultEEES6_EEENSH_IJSG_SG_EEES6_PlJNSB_9not_fun_tI7is_trueIiEEEEEE10hipError_tPvRmT3_T4_T5_T6_T7_T9_mT8_P12ihipStream_tbDpT10_ENKUlT_T0_E_clISt17integral_constantIbLb0EES1B_EEDaS16_S17_EUlS16_E_NS1_11comp_targetILNS1_3genE4ELNS1_11target_archE910ELNS1_3gpuE8ELNS1_3repE0EEENS1_30default_config_static_selectorELNS0_4arch9wavefront6targetE0EEEvT1_,comdat
.Lfunc_end2271:
	.size	_ZN7rocprim17ROCPRIM_400000_NS6detail17trampoline_kernelINS0_14default_configENS1_25partition_config_selectorILNS1_17partition_subalgoE6EiNS0_10empty_typeEbEEZZNS1_14partition_implILS5_6ELb0ES3_mN6thrust23THRUST_200600_302600_NS6detail15normal_iteratorINSA_10device_ptrIiEEEEPS6_SG_NS0_5tupleIJNSA_16discard_iteratorINSA_11use_defaultEEES6_EEENSH_IJSG_SG_EEES6_PlJNSB_9not_fun_tI7is_trueIiEEEEEE10hipError_tPvRmT3_T4_T5_T6_T7_T9_mT8_P12ihipStream_tbDpT10_ENKUlT_T0_E_clISt17integral_constantIbLb0EES1B_EEDaS16_S17_EUlS16_E_NS1_11comp_targetILNS1_3genE4ELNS1_11target_archE910ELNS1_3gpuE8ELNS1_3repE0EEENS1_30default_config_static_selectorELNS0_4arch9wavefront6targetE0EEEvT1_, .Lfunc_end2271-_ZN7rocprim17ROCPRIM_400000_NS6detail17trampoline_kernelINS0_14default_configENS1_25partition_config_selectorILNS1_17partition_subalgoE6EiNS0_10empty_typeEbEEZZNS1_14partition_implILS5_6ELb0ES3_mN6thrust23THRUST_200600_302600_NS6detail15normal_iteratorINSA_10device_ptrIiEEEEPS6_SG_NS0_5tupleIJNSA_16discard_iteratorINSA_11use_defaultEEES6_EEENSH_IJSG_SG_EEES6_PlJNSB_9not_fun_tI7is_trueIiEEEEEE10hipError_tPvRmT3_T4_T5_T6_T7_T9_mT8_P12ihipStream_tbDpT10_ENKUlT_T0_E_clISt17integral_constantIbLb0EES1B_EEDaS16_S17_EUlS16_E_NS1_11comp_targetILNS1_3genE4ELNS1_11target_archE910ELNS1_3gpuE8ELNS1_3repE0EEENS1_30default_config_static_selectorELNS0_4arch9wavefront6targetE0EEEvT1_
                                        ; -- End function
	.set _ZN7rocprim17ROCPRIM_400000_NS6detail17trampoline_kernelINS0_14default_configENS1_25partition_config_selectorILNS1_17partition_subalgoE6EiNS0_10empty_typeEbEEZZNS1_14partition_implILS5_6ELb0ES3_mN6thrust23THRUST_200600_302600_NS6detail15normal_iteratorINSA_10device_ptrIiEEEEPS6_SG_NS0_5tupleIJNSA_16discard_iteratorINSA_11use_defaultEEES6_EEENSH_IJSG_SG_EEES6_PlJNSB_9not_fun_tI7is_trueIiEEEEEE10hipError_tPvRmT3_T4_T5_T6_T7_T9_mT8_P12ihipStream_tbDpT10_ENKUlT_T0_E_clISt17integral_constantIbLb0EES1B_EEDaS16_S17_EUlS16_E_NS1_11comp_targetILNS1_3genE4ELNS1_11target_archE910ELNS1_3gpuE8ELNS1_3repE0EEENS1_30default_config_static_selectorELNS0_4arch9wavefront6targetE0EEEvT1_.num_vgpr, 0
	.set _ZN7rocprim17ROCPRIM_400000_NS6detail17trampoline_kernelINS0_14default_configENS1_25partition_config_selectorILNS1_17partition_subalgoE6EiNS0_10empty_typeEbEEZZNS1_14partition_implILS5_6ELb0ES3_mN6thrust23THRUST_200600_302600_NS6detail15normal_iteratorINSA_10device_ptrIiEEEEPS6_SG_NS0_5tupleIJNSA_16discard_iteratorINSA_11use_defaultEEES6_EEENSH_IJSG_SG_EEES6_PlJNSB_9not_fun_tI7is_trueIiEEEEEE10hipError_tPvRmT3_T4_T5_T6_T7_T9_mT8_P12ihipStream_tbDpT10_ENKUlT_T0_E_clISt17integral_constantIbLb0EES1B_EEDaS16_S17_EUlS16_E_NS1_11comp_targetILNS1_3genE4ELNS1_11target_archE910ELNS1_3gpuE8ELNS1_3repE0EEENS1_30default_config_static_selectorELNS0_4arch9wavefront6targetE0EEEvT1_.num_agpr, 0
	.set _ZN7rocprim17ROCPRIM_400000_NS6detail17trampoline_kernelINS0_14default_configENS1_25partition_config_selectorILNS1_17partition_subalgoE6EiNS0_10empty_typeEbEEZZNS1_14partition_implILS5_6ELb0ES3_mN6thrust23THRUST_200600_302600_NS6detail15normal_iteratorINSA_10device_ptrIiEEEEPS6_SG_NS0_5tupleIJNSA_16discard_iteratorINSA_11use_defaultEEES6_EEENSH_IJSG_SG_EEES6_PlJNSB_9not_fun_tI7is_trueIiEEEEEE10hipError_tPvRmT3_T4_T5_T6_T7_T9_mT8_P12ihipStream_tbDpT10_ENKUlT_T0_E_clISt17integral_constantIbLb0EES1B_EEDaS16_S17_EUlS16_E_NS1_11comp_targetILNS1_3genE4ELNS1_11target_archE910ELNS1_3gpuE8ELNS1_3repE0EEENS1_30default_config_static_selectorELNS0_4arch9wavefront6targetE0EEEvT1_.numbered_sgpr, 0
	.set _ZN7rocprim17ROCPRIM_400000_NS6detail17trampoline_kernelINS0_14default_configENS1_25partition_config_selectorILNS1_17partition_subalgoE6EiNS0_10empty_typeEbEEZZNS1_14partition_implILS5_6ELb0ES3_mN6thrust23THRUST_200600_302600_NS6detail15normal_iteratorINSA_10device_ptrIiEEEEPS6_SG_NS0_5tupleIJNSA_16discard_iteratorINSA_11use_defaultEEES6_EEENSH_IJSG_SG_EEES6_PlJNSB_9not_fun_tI7is_trueIiEEEEEE10hipError_tPvRmT3_T4_T5_T6_T7_T9_mT8_P12ihipStream_tbDpT10_ENKUlT_T0_E_clISt17integral_constantIbLb0EES1B_EEDaS16_S17_EUlS16_E_NS1_11comp_targetILNS1_3genE4ELNS1_11target_archE910ELNS1_3gpuE8ELNS1_3repE0EEENS1_30default_config_static_selectorELNS0_4arch9wavefront6targetE0EEEvT1_.num_named_barrier, 0
	.set _ZN7rocprim17ROCPRIM_400000_NS6detail17trampoline_kernelINS0_14default_configENS1_25partition_config_selectorILNS1_17partition_subalgoE6EiNS0_10empty_typeEbEEZZNS1_14partition_implILS5_6ELb0ES3_mN6thrust23THRUST_200600_302600_NS6detail15normal_iteratorINSA_10device_ptrIiEEEEPS6_SG_NS0_5tupleIJNSA_16discard_iteratorINSA_11use_defaultEEES6_EEENSH_IJSG_SG_EEES6_PlJNSB_9not_fun_tI7is_trueIiEEEEEE10hipError_tPvRmT3_T4_T5_T6_T7_T9_mT8_P12ihipStream_tbDpT10_ENKUlT_T0_E_clISt17integral_constantIbLb0EES1B_EEDaS16_S17_EUlS16_E_NS1_11comp_targetILNS1_3genE4ELNS1_11target_archE910ELNS1_3gpuE8ELNS1_3repE0EEENS1_30default_config_static_selectorELNS0_4arch9wavefront6targetE0EEEvT1_.private_seg_size, 0
	.set _ZN7rocprim17ROCPRIM_400000_NS6detail17trampoline_kernelINS0_14default_configENS1_25partition_config_selectorILNS1_17partition_subalgoE6EiNS0_10empty_typeEbEEZZNS1_14partition_implILS5_6ELb0ES3_mN6thrust23THRUST_200600_302600_NS6detail15normal_iteratorINSA_10device_ptrIiEEEEPS6_SG_NS0_5tupleIJNSA_16discard_iteratorINSA_11use_defaultEEES6_EEENSH_IJSG_SG_EEES6_PlJNSB_9not_fun_tI7is_trueIiEEEEEE10hipError_tPvRmT3_T4_T5_T6_T7_T9_mT8_P12ihipStream_tbDpT10_ENKUlT_T0_E_clISt17integral_constantIbLb0EES1B_EEDaS16_S17_EUlS16_E_NS1_11comp_targetILNS1_3genE4ELNS1_11target_archE910ELNS1_3gpuE8ELNS1_3repE0EEENS1_30default_config_static_selectorELNS0_4arch9wavefront6targetE0EEEvT1_.uses_vcc, 0
	.set _ZN7rocprim17ROCPRIM_400000_NS6detail17trampoline_kernelINS0_14default_configENS1_25partition_config_selectorILNS1_17partition_subalgoE6EiNS0_10empty_typeEbEEZZNS1_14partition_implILS5_6ELb0ES3_mN6thrust23THRUST_200600_302600_NS6detail15normal_iteratorINSA_10device_ptrIiEEEEPS6_SG_NS0_5tupleIJNSA_16discard_iteratorINSA_11use_defaultEEES6_EEENSH_IJSG_SG_EEES6_PlJNSB_9not_fun_tI7is_trueIiEEEEEE10hipError_tPvRmT3_T4_T5_T6_T7_T9_mT8_P12ihipStream_tbDpT10_ENKUlT_T0_E_clISt17integral_constantIbLb0EES1B_EEDaS16_S17_EUlS16_E_NS1_11comp_targetILNS1_3genE4ELNS1_11target_archE910ELNS1_3gpuE8ELNS1_3repE0EEENS1_30default_config_static_selectorELNS0_4arch9wavefront6targetE0EEEvT1_.uses_flat_scratch, 0
	.set _ZN7rocprim17ROCPRIM_400000_NS6detail17trampoline_kernelINS0_14default_configENS1_25partition_config_selectorILNS1_17partition_subalgoE6EiNS0_10empty_typeEbEEZZNS1_14partition_implILS5_6ELb0ES3_mN6thrust23THRUST_200600_302600_NS6detail15normal_iteratorINSA_10device_ptrIiEEEEPS6_SG_NS0_5tupleIJNSA_16discard_iteratorINSA_11use_defaultEEES6_EEENSH_IJSG_SG_EEES6_PlJNSB_9not_fun_tI7is_trueIiEEEEEE10hipError_tPvRmT3_T4_T5_T6_T7_T9_mT8_P12ihipStream_tbDpT10_ENKUlT_T0_E_clISt17integral_constantIbLb0EES1B_EEDaS16_S17_EUlS16_E_NS1_11comp_targetILNS1_3genE4ELNS1_11target_archE910ELNS1_3gpuE8ELNS1_3repE0EEENS1_30default_config_static_selectorELNS0_4arch9wavefront6targetE0EEEvT1_.has_dyn_sized_stack, 0
	.set _ZN7rocprim17ROCPRIM_400000_NS6detail17trampoline_kernelINS0_14default_configENS1_25partition_config_selectorILNS1_17partition_subalgoE6EiNS0_10empty_typeEbEEZZNS1_14partition_implILS5_6ELb0ES3_mN6thrust23THRUST_200600_302600_NS6detail15normal_iteratorINSA_10device_ptrIiEEEEPS6_SG_NS0_5tupleIJNSA_16discard_iteratorINSA_11use_defaultEEES6_EEENSH_IJSG_SG_EEES6_PlJNSB_9not_fun_tI7is_trueIiEEEEEE10hipError_tPvRmT3_T4_T5_T6_T7_T9_mT8_P12ihipStream_tbDpT10_ENKUlT_T0_E_clISt17integral_constantIbLb0EES1B_EEDaS16_S17_EUlS16_E_NS1_11comp_targetILNS1_3genE4ELNS1_11target_archE910ELNS1_3gpuE8ELNS1_3repE0EEENS1_30default_config_static_selectorELNS0_4arch9wavefront6targetE0EEEvT1_.has_recursion, 0
	.set _ZN7rocprim17ROCPRIM_400000_NS6detail17trampoline_kernelINS0_14default_configENS1_25partition_config_selectorILNS1_17partition_subalgoE6EiNS0_10empty_typeEbEEZZNS1_14partition_implILS5_6ELb0ES3_mN6thrust23THRUST_200600_302600_NS6detail15normal_iteratorINSA_10device_ptrIiEEEEPS6_SG_NS0_5tupleIJNSA_16discard_iteratorINSA_11use_defaultEEES6_EEENSH_IJSG_SG_EEES6_PlJNSB_9not_fun_tI7is_trueIiEEEEEE10hipError_tPvRmT3_T4_T5_T6_T7_T9_mT8_P12ihipStream_tbDpT10_ENKUlT_T0_E_clISt17integral_constantIbLb0EES1B_EEDaS16_S17_EUlS16_E_NS1_11comp_targetILNS1_3genE4ELNS1_11target_archE910ELNS1_3gpuE8ELNS1_3repE0EEENS1_30default_config_static_selectorELNS0_4arch9wavefront6targetE0EEEvT1_.has_indirect_call, 0
	.section	.AMDGPU.csdata,"",@progbits
; Kernel info:
; codeLenInByte = 0
; TotalNumSgprs: 0
; NumVgprs: 0
; ScratchSize: 0
; MemoryBound: 0
; FloatMode: 240
; IeeeMode: 1
; LDSByteSize: 0 bytes/workgroup (compile time only)
; SGPRBlocks: 0
; VGPRBlocks: 0
; NumSGPRsForWavesPerEU: 1
; NumVGPRsForWavesPerEU: 1
; Occupancy: 16
; WaveLimiterHint : 0
; COMPUTE_PGM_RSRC2:SCRATCH_EN: 0
; COMPUTE_PGM_RSRC2:USER_SGPR: 2
; COMPUTE_PGM_RSRC2:TRAP_HANDLER: 0
; COMPUTE_PGM_RSRC2:TGID_X_EN: 1
; COMPUTE_PGM_RSRC2:TGID_Y_EN: 0
; COMPUTE_PGM_RSRC2:TGID_Z_EN: 0
; COMPUTE_PGM_RSRC2:TIDIG_COMP_CNT: 0
	.section	.text._ZN7rocprim17ROCPRIM_400000_NS6detail17trampoline_kernelINS0_14default_configENS1_25partition_config_selectorILNS1_17partition_subalgoE6EiNS0_10empty_typeEbEEZZNS1_14partition_implILS5_6ELb0ES3_mN6thrust23THRUST_200600_302600_NS6detail15normal_iteratorINSA_10device_ptrIiEEEEPS6_SG_NS0_5tupleIJNSA_16discard_iteratorINSA_11use_defaultEEES6_EEENSH_IJSG_SG_EEES6_PlJNSB_9not_fun_tI7is_trueIiEEEEEE10hipError_tPvRmT3_T4_T5_T6_T7_T9_mT8_P12ihipStream_tbDpT10_ENKUlT_T0_E_clISt17integral_constantIbLb0EES1B_EEDaS16_S17_EUlS16_E_NS1_11comp_targetILNS1_3genE3ELNS1_11target_archE908ELNS1_3gpuE7ELNS1_3repE0EEENS1_30default_config_static_selectorELNS0_4arch9wavefront6targetE0EEEvT1_,"axG",@progbits,_ZN7rocprim17ROCPRIM_400000_NS6detail17trampoline_kernelINS0_14default_configENS1_25partition_config_selectorILNS1_17partition_subalgoE6EiNS0_10empty_typeEbEEZZNS1_14partition_implILS5_6ELb0ES3_mN6thrust23THRUST_200600_302600_NS6detail15normal_iteratorINSA_10device_ptrIiEEEEPS6_SG_NS0_5tupleIJNSA_16discard_iteratorINSA_11use_defaultEEES6_EEENSH_IJSG_SG_EEES6_PlJNSB_9not_fun_tI7is_trueIiEEEEEE10hipError_tPvRmT3_T4_T5_T6_T7_T9_mT8_P12ihipStream_tbDpT10_ENKUlT_T0_E_clISt17integral_constantIbLb0EES1B_EEDaS16_S17_EUlS16_E_NS1_11comp_targetILNS1_3genE3ELNS1_11target_archE908ELNS1_3gpuE7ELNS1_3repE0EEENS1_30default_config_static_selectorELNS0_4arch9wavefront6targetE0EEEvT1_,comdat
	.protected	_ZN7rocprim17ROCPRIM_400000_NS6detail17trampoline_kernelINS0_14default_configENS1_25partition_config_selectorILNS1_17partition_subalgoE6EiNS0_10empty_typeEbEEZZNS1_14partition_implILS5_6ELb0ES3_mN6thrust23THRUST_200600_302600_NS6detail15normal_iteratorINSA_10device_ptrIiEEEEPS6_SG_NS0_5tupleIJNSA_16discard_iteratorINSA_11use_defaultEEES6_EEENSH_IJSG_SG_EEES6_PlJNSB_9not_fun_tI7is_trueIiEEEEEE10hipError_tPvRmT3_T4_T5_T6_T7_T9_mT8_P12ihipStream_tbDpT10_ENKUlT_T0_E_clISt17integral_constantIbLb0EES1B_EEDaS16_S17_EUlS16_E_NS1_11comp_targetILNS1_3genE3ELNS1_11target_archE908ELNS1_3gpuE7ELNS1_3repE0EEENS1_30default_config_static_selectorELNS0_4arch9wavefront6targetE0EEEvT1_ ; -- Begin function _ZN7rocprim17ROCPRIM_400000_NS6detail17trampoline_kernelINS0_14default_configENS1_25partition_config_selectorILNS1_17partition_subalgoE6EiNS0_10empty_typeEbEEZZNS1_14partition_implILS5_6ELb0ES3_mN6thrust23THRUST_200600_302600_NS6detail15normal_iteratorINSA_10device_ptrIiEEEEPS6_SG_NS0_5tupleIJNSA_16discard_iteratorINSA_11use_defaultEEES6_EEENSH_IJSG_SG_EEES6_PlJNSB_9not_fun_tI7is_trueIiEEEEEE10hipError_tPvRmT3_T4_T5_T6_T7_T9_mT8_P12ihipStream_tbDpT10_ENKUlT_T0_E_clISt17integral_constantIbLb0EES1B_EEDaS16_S17_EUlS16_E_NS1_11comp_targetILNS1_3genE3ELNS1_11target_archE908ELNS1_3gpuE7ELNS1_3repE0EEENS1_30default_config_static_selectorELNS0_4arch9wavefront6targetE0EEEvT1_
	.globl	_ZN7rocprim17ROCPRIM_400000_NS6detail17trampoline_kernelINS0_14default_configENS1_25partition_config_selectorILNS1_17partition_subalgoE6EiNS0_10empty_typeEbEEZZNS1_14partition_implILS5_6ELb0ES3_mN6thrust23THRUST_200600_302600_NS6detail15normal_iteratorINSA_10device_ptrIiEEEEPS6_SG_NS0_5tupleIJNSA_16discard_iteratorINSA_11use_defaultEEES6_EEENSH_IJSG_SG_EEES6_PlJNSB_9not_fun_tI7is_trueIiEEEEEE10hipError_tPvRmT3_T4_T5_T6_T7_T9_mT8_P12ihipStream_tbDpT10_ENKUlT_T0_E_clISt17integral_constantIbLb0EES1B_EEDaS16_S17_EUlS16_E_NS1_11comp_targetILNS1_3genE3ELNS1_11target_archE908ELNS1_3gpuE7ELNS1_3repE0EEENS1_30default_config_static_selectorELNS0_4arch9wavefront6targetE0EEEvT1_
	.p2align	8
	.type	_ZN7rocprim17ROCPRIM_400000_NS6detail17trampoline_kernelINS0_14default_configENS1_25partition_config_selectorILNS1_17partition_subalgoE6EiNS0_10empty_typeEbEEZZNS1_14partition_implILS5_6ELb0ES3_mN6thrust23THRUST_200600_302600_NS6detail15normal_iteratorINSA_10device_ptrIiEEEEPS6_SG_NS0_5tupleIJNSA_16discard_iteratorINSA_11use_defaultEEES6_EEENSH_IJSG_SG_EEES6_PlJNSB_9not_fun_tI7is_trueIiEEEEEE10hipError_tPvRmT3_T4_T5_T6_T7_T9_mT8_P12ihipStream_tbDpT10_ENKUlT_T0_E_clISt17integral_constantIbLb0EES1B_EEDaS16_S17_EUlS16_E_NS1_11comp_targetILNS1_3genE3ELNS1_11target_archE908ELNS1_3gpuE7ELNS1_3repE0EEENS1_30default_config_static_selectorELNS0_4arch9wavefront6targetE0EEEvT1_,@function
_ZN7rocprim17ROCPRIM_400000_NS6detail17trampoline_kernelINS0_14default_configENS1_25partition_config_selectorILNS1_17partition_subalgoE6EiNS0_10empty_typeEbEEZZNS1_14partition_implILS5_6ELb0ES3_mN6thrust23THRUST_200600_302600_NS6detail15normal_iteratorINSA_10device_ptrIiEEEEPS6_SG_NS0_5tupleIJNSA_16discard_iteratorINSA_11use_defaultEEES6_EEENSH_IJSG_SG_EEES6_PlJNSB_9not_fun_tI7is_trueIiEEEEEE10hipError_tPvRmT3_T4_T5_T6_T7_T9_mT8_P12ihipStream_tbDpT10_ENKUlT_T0_E_clISt17integral_constantIbLb0EES1B_EEDaS16_S17_EUlS16_E_NS1_11comp_targetILNS1_3genE3ELNS1_11target_archE908ELNS1_3gpuE7ELNS1_3repE0EEENS1_30default_config_static_selectorELNS0_4arch9wavefront6targetE0EEEvT1_: ; @_ZN7rocprim17ROCPRIM_400000_NS6detail17trampoline_kernelINS0_14default_configENS1_25partition_config_selectorILNS1_17partition_subalgoE6EiNS0_10empty_typeEbEEZZNS1_14partition_implILS5_6ELb0ES3_mN6thrust23THRUST_200600_302600_NS6detail15normal_iteratorINSA_10device_ptrIiEEEEPS6_SG_NS0_5tupleIJNSA_16discard_iteratorINSA_11use_defaultEEES6_EEENSH_IJSG_SG_EEES6_PlJNSB_9not_fun_tI7is_trueIiEEEEEE10hipError_tPvRmT3_T4_T5_T6_T7_T9_mT8_P12ihipStream_tbDpT10_ENKUlT_T0_E_clISt17integral_constantIbLb0EES1B_EEDaS16_S17_EUlS16_E_NS1_11comp_targetILNS1_3genE3ELNS1_11target_archE908ELNS1_3gpuE7ELNS1_3repE0EEENS1_30default_config_static_selectorELNS0_4arch9wavefront6targetE0EEEvT1_
; %bb.0:
	.section	.rodata,"a",@progbits
	.p2align	6, 0x0
	.amdhsa_kernel _ZN7rocprim17ROCPRIM_400000_NS6detail17trampoline_kernelINS0_14default_configENS1_25partition_config_selectorILNS1_17partition_subalgoE6EiNS0_10empty_typeEbEEZZNS1_14partition_implILS5_6ELb0ES3_mN6thrust23THRUST_200600_302600_NS6detail15normal_iteratorINSA_10device_ptrIiEEEEPS6_SG_NS0_5tupleIJNSA_16discard_iteratorINSA_11use_defaultEEES6_EEENSH_IJSG_SG_EEES6_PlJNSB_9not_fun_tI7is_trueIiEEEEEE10hipError_tPvRmT3_T4_T5_T6_T7_T9_mT8_P12ihipStream_tbDpT10_ENKUlT_T0_E_clISt17integral_constantIbLb0EES1B_EEDaS16_S17_EUlS16_E_NS1_11comp_targetILNS1_3genE3ELNS1_11target_archE908ELNS1_3gpuE7ELNS1_3repE0EEENS1_30default_config_static_selectorELNS0_4arch9wavefront6targetE0EEEvT1_
		.amdhsa_group_segment_fixed_size 0
		.amdhsa_private_segment_fixed_size 0
		.amdhsa_kernarg_size 120
		.amdhsa_user_sgpr_count 2
		.amdhsa_user_sgpr_dispatch_ptr 0
		.amdhsa_user_sgpr_queue_ptr 0
		.amdhsa_user_sgpr_kernarg_segment_ptr 1
		.amdhsa_user_sgpr_dispatch_id 0
		.amdhsa_user_sgpr_private_segment_size 0
		.amdhsa_wavefront_size32 1
		.amdhsa_uses_dynamic_stack 0
		.amdhsa_enable_private_segment 0
		.amdhsa_system_sgpr_workgroup_id_x 1
		.amdhsa_system_sgpr_workgroup_id_y 0
		.amdhsa_system_sgpr_workgroup_id_z 0
		.amdhsa_system_sgpr_workgroup_info 0
		.amdhsa_system_vgpr_workitem_id 0
		.amdhsa_next_free_vgpr 1
		.amdhsa_next_free_sgpr 1
		.amdhsa_reserve_vcc 0
		.amdhsa_float_round_mode_32 0
		.amdhsa_float_round_mode_16_64 0
		.amdhsa_float_denorm_mode_32 3
		.amdhsa_float_denorm_mode_16_64 3
		.amdhsa_fp16_overflow 0
		.amdhsa_workgroup_processor_mode 1
		.amdhsa_memory_ordered 1
		.amdhsa_forward_progress 1
		.amdhsa_inst_pref_size 0
		.amdhsa_round_robin_scheduling 0
		.amdhsa_exception_fp_ieee_invalid_op 0
		.amdhsa_exception_fp_denorm_src 0
		.amdhsa_exception_fp_ieee_div_zero 0
		.amdhsa_exception_fp_ieee_overflow 0
		.amdhsa_exception_fp_ieee_underflow 0
		.amdhsa_exception_fp_ieee_inexact 0
		.amdhsa_exception_int_div_zero 0
	.end_amdhsa_kernel
	.section	.text._ZN7rocprim17ROCPRIM_400000_NS6detail17trampoline_kernelINS0_14default_configENS1_25partition_config_selectorILNS1_17partition_subalgoE6EiNS0_10empty_typeEbEEZZNS1_14partition_implILS5_6ELb0ES3_mN6thrust23THRUST_200600_302600_NS6detail15normal_iteratorINSA_10device_ptrIiEEEEPS6_SG_NS0_5tupleIJNSA_16discard_iteratorINSA_11use_defaultEEES6_EEENSH_IJSG_SG_EEES6_PlJNSB_9not_fun_tI7is_trueIiEEEEEE10hipError_tPvRmT3_T4_T5_T6_T7_T9_mT8_P12ihipStream_tbDpT10_ENKUlT_T0_E_clISt17integral_constantIbLb0EES1B_EEDaS16_S17_EUlS16_E_NS1_11comp_targetILNS1_3genE3ELNS1_11target_archE908ELNS1_3gpuE7ELNS1_3repE0EEENS1_30default_config_static_selectorELNS0_4arch9wavefront6targetE0EEEvT1_,"axG",@progbits,_ZN7rocprim17ROCPRIM_400000_NS6detail17trampoline_kernelINS0_14default_configENS1_25partition_config_selectorILNS1_17partition_subalgoE6EiNS0_10empty_typeEbEEZZNS1_14partition_implILS5_6ELb0ES3_mN6thrust23THRUST_200600_302600_NS6detail15normal_iteratorINSA_10device_ptrIiEEEEPS6_SG_NS0_5tupleIJNSA_16discard_iteratorINSA_11use_defaultEEES6_EEENSH_IJSG_SG_EEES6_PlJNSB_9not_fun_tI7is_trueIiEEEEEE10hipError_tPvRmT3_T4_T5_T6_T7_T9_mT8_P12ihipStream_tbDpT10_ENKUlT_T0_E_clISt17integral_constantIbLb0EES1B_EEDaS16_S17_EUlS16_E_NS1_11comp_targetILNS1_3genE3ELNS1_11target_archE908ELNS1_3gpuE7ELNS1_3repE0EEENS1_30default_config_static_selectorELNS0_4arch9wavefront6targetE0EEEvT1_,comdat
.Lfunc_end2272:
	.size	_ZN7rocprim17ROCPRIM_400000_NS6detail17trampoline_kernelINS0_14default_configENS1_25partition_config_selectorILNS1_17partition_subalgoE6EiNS0_10empty_typeEbEEZZNS1_14partition_implILS5_6ELb0ES3_mN6thrust23THRUST_200600_302600_NS6detail15normal_iteratorINSA_10device_ptrIiEEEEPS6_SG_NS0_5tupleIJNSA_16discard_iteratorINSA_11use_defaultEEES6_EEENSH_IJSG_SG_EEES6_PlJNSB_9not_fun_tI7is_trueIiEEEEEE10hipError_tPvRmT3_T4_T5_T6_T7_T9_mT8_P12ihipStream_tbDpT10_ENKUlT_T0_E_clISt17integral_constantIbLb0EES1B_EEDaS16_S17_EUlS16_E_NS1_11comp_targetILNS1_3genE3ELNS1_11target_archE908ELNS1_3gpuE7ELNS1_3repE0EEENS1_30default_config_static_selectorELNS0_4arch9wavefront6targetE0EEEvT1_, .Lfunc_end2272-_ZN7rocprim17ROCPRIM_400000_NS6detail17trampoline_kernelINS0_14default_configENS1_25partition_config_selectorILNS1_17partition_subalgoE6EiNS0_10empty_typeEbEEZZNS1_14partition_implILS5_6ELb0ES3_mN6thrust23THRUST_200600_302600_NS6detail15normal_iteratorINSA_10device_ptrIiEEEEPS6_SG_NS0_5tupleIJNSA_16discard_iteratorINSA_11use_defaultEEES6_EEENSH_IJSG_SG_EEES6_PlJNSB_9not_fun_tI7is_trueIiEEEEEE10hipError_tPvRmT3_T4_T5_T6_T7_T9_mT8_P12ihipStream_tbDpT10_ENKUlT_T0_E_clISt17integral_constantIbLb0EES1B_EEDaS16_S17_EUlS16_E_NS1_11comp_targetILNS1_3genE3ELNS1_11target_archE908ELNS1_3gpuE7ELNS1_3repE0EEENS1_30default_config_static_selectorELNS0_4arch9wavefront6targetE0EEEvT1_
                                        ; -- End function
	.set _ZN7rocprim17ROCPRIM_400000_NS6detail17trampoline_kernelINS0_14default_configENS1_25partition_config_selectorILNS1_17partition_subalgoE6EiNS0_10empty_typeEbEEZZNS1_14partition_implILS5_6ELb0ES3_mN6thrust23THRUST_200600_302600_NS6detail15normal_iteratorINSA_10device_ptrIiEEEEPS6_SG_NS0_5tupleIJNSA_16discard_iteratorINSA_11use_defaultEEES6_EEENSH_IJSG_SG_EEES6_PlJNSB_9not_fun_tI7is_trueIiEEEEEE10hipError_tPvRmT3_T4_T5_T6_T7_T9_mT8_P12ihipStream_tbDpT10_ENKUlT_T0_E_clISt17integral_constantIbLb0EES1B_EEDaS16_S17_EUlS16_E_NS1_11comp_targetILNS1_3genE3ELNS1_11target_archE908ELNS1_3gpuE7ELNS1_3repE0EEENS1_30default_config_static_selectorELNS0_4arch9wavefront6targetE0EEEvT1_.num_vgpr, 0
	.set _ZN7rocprim17ROCPRIM_400000_NS6detail17trampoline_kernelINS0_14default_configENS1_25partition_config_selectorILNS1_17partition_subalgoE6EiNS0_10empty_typeEbEEZZNS1_14partition_implILS5_6ELb0ES3_mN6thrust23THRUST_200600_302600_NS6detail15normal_iteratorINSA_10device_ptrIiEEEEPS6_SG_NS0_5tupleIJNSA_16discard_iteratorINSA_11use_defaultEEES6_EEENSH_IJSG_SG_EEES6_PlJNSB_9not_fun_tI7is_trueIiEEEEEE10hipError_tPvRmT3_T4_T5_T6_T7_T9_mT8_P12ihipStream_tbDpT10_ENKUlT_T0_E_clISt17integral_constantIbLb0EES1B_EEDaS16_S17_EUlS16_E_NS1_11comp_targetILNS1_3genE3ELNS1_11target_archE908ELNS1_3gpuE7ELNS1_3repE0EEENS1_30default_config_static_selectorELNS0_4arch9wavefront6targetE0EEEvT1_.num_agpr, 0
	.set _ZN7rocprim17ROCPRIM_400000_NS6detail17trampoline_kernelINS0_14default_configENS1_25partition_config_selectorILNS1_17partition_subalgoE6EiNS0_10empty_typeEbEEZZNS1_14partition_implILS5_6ELb0ES3_mN6thrust23THRUST_200600_302600_NS6detail15normal_iteratorINSA_10device_ptrIiEEEEPS6_SG_NS0_5tupleIJNSA_16discard_iteratorINSA_11use_defaultEEES6_EEENSH_IJSG_SG_EEES6_PlJNSB_9not_fun_tI7is_trueIiEEEEEE10hipError_tPvRmT3_T4_T5_T6_T7_T9_mT8_P12ihipStream_tbDpT10_ENKUlT_T0_E_clISt17integral_constantIbLb0EES1B_EEDaS16_S17_EUlS16_E_NS1_11comp_targetILNS1_3genE3ELNS1_11target_archE908ELNS1_3gpuE7ELNS1_3repE0EEENS1_30default_config_static_selectorELNS0_4arch9wavefront6targetE0EEEvT1_.numbered_sgpr, 0
	.set _ZN7rocprim17ROCPRIM_400000_NS6detail17trampoline_kernelINS0_14default_configENS1_25partition_config_selectorILNS1_17partition_subalgoE6EiNS0_10empty_typeEbEEZZNS1_14partition_implILS5_6ELb0ES3_mN6thrust23THRUST_200600_302600_NS6detail15normal_iteratorINSA_10device_ptrIiEEEEPS6_SG_NS0_5tupleIJNSA_16discard_iteratorINSA_11use_defaultEEES6_EEENSH_IJSG_SG_EEES6_PlJNSB_9not_fun_tI7is_trueIiEEEEEE10hipError_tPvRmT3_T4_T5_T6_T7_T9_mT8_P12ihipStream_tbDpT10_ENKUlT_T0_E_clISt17integral_constantIbLb0EES1B_EEDaS16_S17_EUlS16_E_NS1_11comp_targetILNS1_3genE3ELNS1_11target_archE908ELNS1_3gpuE7ELNS1_3repE0EEENS1_30default_config_static_selectorELNS0_4arch9wavefront6targetE0EEEvT1_.num_named_barrier, 0
	.set _ZN7rocprim17ROCPRIM_400000_NS6detail17trampoline_kernelINS0_14default_configENS1_25partition_config_selectorILNS1_17partition_subalgoE6EiNS0_10empty_typeEbEEZZNS1_14partition_implILS5_6ELb0ES3_mN6thrust23THRUST_200600_302600_NS6detail15normal_iteratorINSA_10device_ptrIiEEEEPS6_SG_NS0_5tupleIJNSA_16discard_iteratorINSA_11use_defaultEEES6_EEENSH_IJSG_SG_EEES6_PlJNSB_9not_fun_tI7is_trueIiEEEEEE10hipError_tPvRmT3_T4_T5_T6_T7_T9_mT8_P12ihipStream_tbDpT10_ENKUlT_T0_E_clISt17integral_constantIbLb0EES1B_EEDaS16_S17_EUlS16_E_NS1_11comp_targetILNS1_3genE3ELNS1_11target_archE908ELNS1_3gpuE7ELNS1_3repE0EEENS1_30default_config_static_selectorELNS0_4arch9wavefront6targetE0EEEvT1_.private_seg_size, 0
	.set _ZN7rocprim17ROCPRIM_400000_NS6detail17trampoline_kernelINS0_14default_configENS1_25partition_config_selectorILNS1_17partition_subalgoE6EiNS0_10empty_typeEbEEZZNS1_14partition_implILS5_6ELb0ES3_mN6thrust23THRUST_200600_302600_NS6detail15normal_iteratorINSA_10device_ptrIiEEEEPS6_SG_NS0_5tupleIJNSA_16discard_iteratorINSA_11use_defaultEEES6_EEENSH_IJSG_SG_EEES6_PlJNSB_9not_fun_tI7is_trueIiEEEEEE10hipError_tPvRmT3_T4_T5_T6_T7_T9_mT8_P12ihipStream_tbDpT10_ENKUlT_T0_E_clISt17integral_constantIbLb0EES1B_EEDaS16_S17_EUlS16_E_NS1_11comp_targetILNS1_3genE3ELNS1_11target_archE908ELNS1_3gpuE7ELNS1_3repE0EEENS1_30default_config_static_selectorELNS0_4arch9wavefront6targetE0EEEvT1_.uses_vcc, 0
	.set _ZN7rocprim17ROCPRIM_400000_NS6detail17trampoline_kernelINS0_14default_configENS1_25partition_config_selectorILNS1_17partition_subalgoE6EiNS0_10empty_typeEbEEZZNS1_14partition_implILS5_6ELb0ES3_mN6thrust23THRUST_200600_302600_NS6detail15normal_iteratorINSA_10device_ptrIiEEEEPS6_SG_NS0_5tupleIJNSA_16discard_iteratorINSA_11use_defaultEEES6_EEENSH_IJSG_SG_EEES6_PlJNSB_9not_fun_tI7is_trueIiEEEEEE10hipError_tPvRmT3_T4_T5_T6_T7_T9_mT8_P12ihipStream_tbDpT10_ENKUlT_T0_E_clISt17integral_constantIbLb0EES1B_EEDaS16_S17_EUlS16_E_NS1_11comp_targetILNS1_3genE3ELNS1_11target_archE908ELNS1_3gpuE7ELNS1_3repE0EEENS1_30default_config_static_selectorELNS0_4arch9wavefront6targetE0EEEvT1_.uses_flat_scratch, 0
	.set _ZN7rocprim17ROCPRIM_400000_NS6detail17trampoline_kernelINS0_14default_configENS1_25partition_config_selectorILNS1_17partition_subalgoE6EiNS0_10empty_typeEbEEZZNS1_14partition_implILS5_6ELb0ES3_mN6thrust23THRUST_200600_302600_NS6detail15normal_iteratorINSA_10device_ptrIiEEEEPS6_SG_NS0_5tupleIJNSA_16discard_iteratorINSA_11use_defaultEEES6_EEENSH_IJSG_SG_EEES6_PlJNSB_9not_fun_tI7is_trueIiEEEEEE10hipError_tPvRmT3_T4_T5_T6_T7_T9_mT8_P12ihipStream_tbDpT10_ENKUlT_T0_E_clISt17integral_constantIbLb0EES1B_EEDaS16_S17_EUlS16_E_NS1_11comp_targetILNS1_3genE3ELNS1_11target_archE908ELNS1_3gpuE7ELNS1_3repE0EEENS1_30default_config_static_selectorELNS0_4arch9wavefront6targetE0EEEvT1_.has_dyn_sized_stack, 0
	.set _ZN7rocprim17ROCPRIM_400000_NS6detail17trampoline_kernelINS0_14default_configENS1_25partition_config_selectorILNS1_17partition_subalgoE6EiNS0_10empty_typeEbEEZZNS1_14partition_implILS5_6ELb0ES3_mN6thrust23THRUST_200600_302600_NS6detail15normal_iteratorINSA_10device_ptrIiEEEEPS6_SG_NS0_5tupleIJNSA_16discard_iteratorINSA_11use_defaultEEES6_EEENSH_IJSG_SG_EEES6_PlJNSB_9not_fun_tI7is_trueIiEEEEEE10hipError_tPvRmT3_T4_T5_T6_T7_T9_mT8_P12ihipStream_tbDpT10_ENKUlT_T0_E_clISt17integral_constantIbLb0EES1B_EEDaS16_S17_EUlS16_E_NS1_11comp_targetILNS1_3genE3ELNS1_11target_archE908ELNS1_3gpuE7ELNS1_3repE0EEENS1_30default_config_static_selectorELNS0_4arch9wavefront6targetE0EEEvT1_.has_recursion, 0
	.set _ZN7rocprim17ROCPRIM_400000_NS6detail17trampoline_kernelINS0_14default_configENS1_25partition_config_selectorILNS1_17partition_subalgoE6EiNS0_10empty_typeEbEEZZNS1_14partition_implILS5_6ELb0ES3_mN6thrust23THRUST_200600_302600_NS6detail15normal_iteratorINSA_10device_ptrIiEEEEPS6_SG_NS0_5tupleIJNSA_16discard_iteratorINSA_11use_defaultEEES6_EEENSH_IJSG_SG_EEES6_PlJNSB_9not_fun_tI7is_trueIiEEEEEE10hipError_tPvRmT3_T4_T5_T6_T7_T9_mT8_P12ihipStream_tbDpT10_ENKUlT_T0_E_clISt17integral_constantIbLb0EES1B_EEDaS16_S17_EUlS16_E_NS1_11comp_targetILNS1_3genE3ELNS1_11target_archE908ELNS1_3gpuE7ELNS1_3repE0EEENS1_30default_config_static_selectorELNS0_4arch9wavefront6targetE0EEEvT1_.has_indirect_call, 0
	.section	.AMDGPU.csdata,"",@progbits
; Kernel info:
; codeLenInByte = 0
; TotalNumSgprs: 0
; NumVgprs: 0
; ScratchSize: 0
; MemoryBound: 0
; FloatMode: 240
; IeeeMode: 1
; LDSByteSize: 0 bytes/workgroup (compile time only)
; SGPRBlocks: 0
; VGPRBlocks: 0
; NumSGPRsForWavesPerEU: 1
; NumVGPRsForWavesPerEU: 1
; Occupancy: 16
; WaveLimiterHint : 0
; COMPUTE_PGM_RSRC2:SCRATCH_EN: 0
; COMPUTE_PGM_RSRC2:USER_SGPR: 2
; COMPUTE_PGM_RSRC2:TRAP_HANDLER: 0
; COMPUTE_PGM_RSRC2:TGID_X_EN: 1
; COMPUTE_PGM_RSRC2:TGID_Y_EN: 0
; COMPUTE_PGM_RSRC2:TGID_Z_EN: 0
; COMPUTE_PGM_RSRC2:TIDIG_COMP_CNT: 0
	.section	.text._ZN7rocprim17ROCPRIM_400000_NS6detail17trampoline_kernelINS0_14default_configENS1_25partition_config_selectorILNS1_17partition_subalgoE6EiNS0_10empty_typeEbEEZZNS1_14partition_implILS5_6ELb0ES3_mN6thrust23THRUST_200600_302600_NS6detail15normal_iteratorINSA_10device_ptrIiEEEEPS6_SG_NS0_5tupleIJNSA_16discard_iteratorINSA_11use_defaultEEES6_EEENSH_IJSG_SG_EEES6_PlJNSB_9not_fun_tI7is_trueIiEEEEEE10hipError_tPvRmT3_T4_T5_T6_T7_T9_mT8_P12ihipStream_tbDpT10_ENKUlT_T0_E_clISt17integral_constantIbLb0EES1B_EEDaS16_S17_EUlS16_E_NS1_11comp_targetILNS1_3genE2ELNS1_11target_archE906ELNS1_3gpuE6ELNS1_3repE0EEENS1_30default_config_static_selectorELNS0_4arch9wavefront6targetE0EEEvT1_,"axG",@progbits,_ZN7rocprim17ROCPRIM_400000_NS6detail17trampoline_kernelINS0_14default_configENS1_25partition_config_selectorILNS1_17partition_subalgoE6EiNS0_10empty_typeEbEEZZNS1_14partition_implILS5_6ELb0ES3_mN6thrust23THRUST_200600_302600_NS6detail15normal_iteratorINSA_10device_ptrIiEEEEPS6_SG_NS0_5tupleIJNSA_16discard_iteratorINSA_11use_defaultEEES6_EEENSH_IJSG_SG_EEES6_PlJNSB_9not_fun_tI7is_trueIiEEEEEE10hipError_tPvRmT3_T4_T5_T6_T7_T9_mT8_P12ihipStream_tbDpT10_ENKUlT_T0_E_clISt17integral_constantIbLb0EES1B_EEDaS16_S17_EUlS16_E_NS1_11comp_targetILNS1_3genE2ELNS1_11target_archE906ELNS1_3gpuE6ELNS1_3repE0EEENS1_30default_config_static_selectorELNS0_4arch9wavefront6targetE0EEEvT1_,comdat
	.protected	_ZN7rocprim17ROCPRIM_400000_NS6detail17trampoline_kernelINS0_14default_configENS1_25partition_config_selectorILNS1_17partition_subalgoE6EiNS0_10empty_typeEbEEZZNS1_14partition_implILS5_6ELb0ES3_mN6thrust23THRUST_200600_302600_NS6detail15normal_iteratorINSA_10device_ptrIiEEEEPS6_SG_NS0_5tupleIJNSA_16discard_iteratorINSA_11use_defaultEEES6_EEENSH_IJSG_SG_EEES6_PlJNSB_9not_fun_tI7is_trueIiEEEEEE10hipError_tPvRmT3_T4_T5_T6_T7_T9_mT8_P12ihipStream_tbDpT10_ENKUlT_T0_E_clISt17integral_constantIbLb0EES1B_EEDaS16_S17_EUlS16_E_NS1_11comp_targetILNS1_3genE2ELNS1_11target_archE906ELNS1_3gpuE6ELNS1_3repE0EEENS1_30default_config_static_selectorELNS0_4arch9wavefront6targetE0EEEvT1_ ; -- Begin function _ZN7rocprim17ROCPRIM_400000_NS6detail17trampoline_kernelINS0_14default_configENS1_25partition_config_selectorILNS1_17partition_subalgoE6EiNS0_10empty_typeEbEEZZNS1_14partition_implILS5_6ELb0ES3_mN6thrust23THRUST_200600_302600_NS6detail15normal_iteratorINSA_10device_ptrIiEEEEPS6_SG_NS0_5tupleIJNSA_16discard_iteratorINSA_11use_defaultEEES6_EEENSH_IJSG_SG_EEES6_PlJNSB_9not_fun_tI7is_trueIiEEEEEE10hipError_tPvRmT3_T4_T5_T6_T7_T9_mT8_P12ihipStream_tbDpT10_ENKUlT_T0_E_clISt17integral_constantIbLb0EES1B_EEDaS16_S17_EUlS16_E_NS1_11comp_targetILNS1_3genE2ELNS1_11target_archE906ELNS1_3gpuE6ELNS1_3repE0EEENS1_30default_config_static_selectorELNS0_4arch9wavefront6targetE0EEEvT1_
	.globl	_ZN7rocprim17ROCPRIM_400000_NS6detail17trampoline_kernelINS0_14default_configENS1_25partition_config_selectorILNS1_17partition_subalgoE6EiNS0_10empty_typeEbEEZZNS1_14partition_implILS5_6ELb0ES3_mN6thrust23THRUST_200600_302600_NS6detail15normal_iteratorINSA_10device_ptrIiEEEEPS6_SG_NS0_5tupleIJNSA_16discard_iteratorINSA_11use_defaultEEES6_EEENSH_IJSG_SG_EEES6_PlJNSB_9not_fun_tI7is_trueIiEEEEEE10hipError_tPvRmT3_T4_T5_T6_T7_T9_mT8_P12ihipStream_tbDpT10_ENKUlT_T0_E_clISt17integral_constantIbLb0EES1B_EEDaS16_S17_EUlS16_E_NS1_11comp_targetILNS1_3genE2ELNS1_11target_archE906ELNS1_3gpuE6ELNS1_3repE0EEENS1_30default_config_static_selectorELNS0_4arch9wavefront6targetE0EEEvT1_
	.p2align	8
	.type	_ZN7rocprim17ROCPRIM_400000_NS6detail17trampoline_kernelINS0_14default_configENS1_25partition_config_selectorILNS1_17partition_subalgoE6EiNS0_10empty_typeEbEEZZNS1_14partition_implILS5_6ELb0ES3_mN6thrust23THRUST_200600_302600_NS6detail15normal_iteratorINSA_10device_ptrIiEEEEPS6_SG_NS0_5tupleIJNSA_16discard_iteratorINSA_11use_defaultEEES6_EEENSH_IJSG_SG_EEES6_PlJNSB_9not_fun_tI7is_trueIiEEEEEE10hipError_tPvRmT3_T4_T5_T6_T7_T9_mT8_P12ihipStream_tbDpT10_ENKUlT_T0_E_clISt17integral_constantIbLb0EES1B_EEDaS16_S17_EUlS16_E_NS1_11comp_targetILNS1_3genE2ELNS1_11target_archE906ELNS1_3gpuE6ELNS1_3repE0EEENS1_30default_config_static_selectorELNS0_4arch9wavefront6targetE0EEEvT1_,@function
_ZN7rocprim17ROCPRIM_400000_NS6detail17trampoline_kernelINS0_14default_configENS1_25partition_config_selectorILNS1_17partition_subalgoE6EiNS0_10empty_typeEbEEZZNS1_14partition_implILS5_6ELb0ES3_mN6thrust23THRUST_200600_302600_NS6detail15normal_iteratorINSA_10device_ptrIiEEEEPS6_SG_NS0_5tupleIJNSA_16discard_iteratorINSA_11use_defaultEEES6_EEENSH_IJSG_SG_EEES6_PlJNSB_9not_fun_tI7is_trueIiEEEEEE10hipError_tPvRmT3_T4_T5_T6_T7_T9_mT8_P12ihipStream_tbDpT10_ENKUlT_T0_E_clISt17integral_constantIbLb0EES1B_EEDaS16_S17_EUlS16_E_NS1_11comp_targetILNS1_3genE2ELNS1_11target_archE906ELNS1_3gpuE6ELNS1_3repE0EEENS1_30default_config_static_selectorELNS0_4arch9wavefront6targetE0EEEvT1_: ; @_ZN7rocprim17ROCPRIM_400000_NS6detail17trampoline_kernelINS0_14default_configENS1_25partition_config_selectorILNS1_17partition_subalgoE6EiNS0_10empty_typeEbEEZZNS1_14partition_implILS5_6ELb0ES3_mN6thrust23THRUST_200600_302600_NS6detail15normal_iteratorINSA_10device_ptrIiEEEEPS6_SG_NS0_5tupleIJNSA_16discard_iteratorINSA_11use_defaultEEES6_EEENSH_IJSG_SG_EEES6_PlJNSB_9not_fun_tI7is_trueIiEEEEEE10hipError_tPvRmT3_T4_T5_T6_T7_T9_mT8_P12ihipStream_tbDpT10_ENKUlT_T0_E_clISt17integral_constantIbLb0EES1B_EEDaS16_S17_EUlS16_E_NS1_11comp_targetILNS1_3genE2ELNS1_11target_archE906ELNS1_3gpuE6ELNS1_3repE0EEENS1_30default_config_static_selectorELNS0_4arch9wavefront6targetE0EEEvT1_
; %bb.0:
	.section	.rodata,"a",@progbits
	.p2align	6, 0x0
	.amdhsa_kernel _ZN7rocprim17ROCPRIM_400000_NS6detail17trampoline_kernelINS0_14default_configENS1_25partition_config_selectorILNS1_17partition_subalgoE6EiNS0_10empty_typeEbEEZZNS1_14partition_implILS5_6ELb0ES3_mN6thrust23THRUST_200600_302600_NS6detail15normal_iteratorINSA_10device_ptrIiEEEEPS6_SG_NS0_5tupleIJNSA_16discard_iteratorINSA_11use_defaultEEES6_EEENSH_IJSG_SG_EEES6_PlJNSB_9not_fun_tI7is_trueIiEEEEEE10hipError_tPvRmT3_T4_T5_T6_T7_T9_mT8_P12ihipStream_tbDpT10_ENKUlT_T0_E_clISt17integral_constantIbLb0EES1B_EEDaS16_S17_EUlS16_E_NS1_11comp_targetILNS1_3genE2ELNS1_11target_archE906ELNS1_3gpuE6ELNS1_3repE0EEENS1_30default_config_static_selectorELNS0_4arch9wavefront6targetE0EEEvT1_
		.amdhsa_group_segment_fixed_size 0
		.amdhsa_private_segment_fixed_size 0
		.amdhsa_kernarg_size 120
		.amdhsa_user_sgpr_count 2
		.amdhsa_user_sgpr_dispatch_ptr 0
		.amdhsa_user_sgpr_queue_ptr 0
		.amdhsa_user_sgpr_kernarg_segment_ptr 1
		.amdhsa_user_sgpr_dispatch_id 0
		.amdhsa_user_sgpr_private_segment_size 0
		.amdhsa_wavefront_size32 1
		.amdhsa_uses_dynamic_stack 0
		.amdhsa_enable_private_segment 0
		.amdhsa_system_sgpr_workgroup_id_x 1
		.amdhsa_system_sgpr_workgroup_id_y 0
		.amdhsa_system_sgpr_workgroup_id_z 0
		.amdhsa_system_sgpr_workgroup_info 0
		.amdhsa_system_vgpr_workitem_id 0
		.amdhsa_next_free_vgpr 1
		.amdhsa_next_free_sgpr 1
		.amdhsa_reserve_vcc 0
		.amdhsa_float_round_mode_32 0
		.amdhsa_float_round_mode_16_64 0
		.amdhsa_float_denorm_mode_32 3
		.amdhsa_float_denorm_mode_16_64 3
		.amdhsa_fp16_overflow 0
		.amdhsa_workgroup_processor_mode 1
		.amdhsa_memory_ordered 1
		.amdhsa_forward_progress 1
		.amdhsa_inst_pref_size 0
		.amdhsa_round_robin_scheduling 0
		.amdhsa_exception_fp_ieee_invalid_op 0
		.amdhsa_exception_fp_denorm_src 0
		.amdhsa_exception_fp_ieee_div_zero 0
		.amdhsa_exception_fp_ieee_overflow 0
		.amdhsa_exception_fp_ieee_underflow 0
		.amdhsa_exception_fp_ieee_inexact 0
		.amdhsa_exception_int_div_zero 0
	.end_amdhsa_kernel
	.section	.text._ZN7rocprim17ROCPRIM_400000_NS6detail17trampoline_kernelINS0_14default_configENS1_25partition_config_selectorILNS1_17partition_subalgoE6EiNS0_10empty_typeEbEEZZNS1_14partition_implILS5_6ELb0ES3_mN6thrust23THRUST_200600_302600_NS6detail15normal_iteratorINSA_10device_ptrIiEEEEPS6_SG_NS0_5tupleIJNSA_16discard_iteratorINSA_11use_defaultEEES6_EEENSH_IJSG_SG_EEES6_PlJNSB_9not_fun_tI7is_trueIiEEEEEE10hipError_tPvRmT3_T4_T5_T6_T7_T9_mT8_P12ihipStream_tbDpT10_ENKUlT_T0_E_clISt17integral_constantIbLb0EES1B_EEDaS16_S17_EUlS16_E_NS1_11comp_targetILNS1_3genE2ELNS1_11target_archE906ELNS1_3gpuE6ELNS1_3repE0EEENS1_30default_config_static_selectorELNS0_4arch9wavefront6targetE0EEEvT1_,"axG",@progbits,_ZN7rocprim17ROCPRIM_400000_NS6detail17trampoline_kernelINS0_14default_configENS1_25partition_config_selectorILNS1_17partition_subalgoE6EiNS0_10empty_typeEbEEZZNS1_14partition_implILS5_6ELb0ES3_mN6thrust23THRUST_200600_302600_NS6detail15normal_iteratorINSA_10device_ptrIiEEEEPS6_SG_NS0_5tupleIJNSA_16discard_iteratorINSA_11use_defaultEEES6_EEENSH_IJSG_SG_EEES6_PlJNSB_9not_fun_tI7is_trueIiEEEEEE10hipError_tPvRmT3_T4_T5_T6_T7_T9_mT8_P12ihipStream_tbDpT10_ENKUlT_T0_E_clISt17integral_constantIbLb0EES1B_EEDaS16_S17_EUlS16_E_NS1_11comp_targetILNS1_3genE2ELNS1_11target_archE906ELNS1_3gpuE6ELNS1_3repE0EEENS1_30default_config_static_selectorELNS0_4arch9wavefront6targetE0EEEvT1_,comdat
.Lfunc_end2273:
	.size	_ZN7rocprim17ROCPRIM_400000_NS6detail17trampoline_kernelINS0_14default_configENS1_25partition_config_selectorILNS1_17partition_subalgoE6EiNS0_10empty_typeEbEEZZNS1_14partition_implILS5_6ELb0ES3_mN6thrust23THRUST_200600_302600_NS6detail15normal_iteratorINSA_10device_ptrIiEEEEPS6_SG_NS0_5tupleIJNSA_16discard_iteratorINSA_11use_defaultEEES6_EEENSH_IJSG_SG_EEES6_PlJNSB_9not_fun_tI7is_trueIiEEEEEE10hipError_tPvRmT3_T4_T5_T6_T7_T9_mT8_P12ihipStream_tbDpT10_ENKUlT_T0_E_clISt17integral_constantIbLb0EES1B_EEDaS16_S17_EUlS16_E_NS1_11comp_targetILNS1_3genE2ELNS1_11target_archE906ELNS1_3gpuE6ELNS1_3repE0EEENS1_30default_config_static_selectorELNS0_4arch9wavefront6targetE0EEEvT1_, .Lfunc_end2273-_ZN7rocprim17ROCPRIM_400000_NS6detail17trampoline_kernelINS0_14default_configENS1_25partition_config_selectorILNS1_17partition_subalgoE6EiNS0_10empty_typeEbEEZZNS1_14partition_implILS5_6ELb0ES3_mN6thrust23THRUST_200600_302600_NS6detail15normal_iteratorINSA_10device_ptrIiEEEEPS6_SG_NS0_5tupleIJNSA_16discard_iteratorINSA_11use_defaultEEES6_EEENSH_IJSG_SG_EEES6_PlJNSB_9not_fun_tI7is_trueIiEEEEEE10hipError_tPvRmT3_T4_T5_T6_T7_T9_mT8_P12ihipStream_tbDpT10_ENKUlT_T0_E_clISt17integral_constantIbLb0EES1B_EEDaS16_S17_EUlS16_E_NS1_11comp_targetILNS1_3genE2ELNS1_11target_archE906ELNS1_3gpuE6ELNS1_3repE0EEENS1_30default_config_static_selectorELNS0_4arch9wavefront6targetE0EEEvT1_
                                        ; -- End function
	.set _ZN7rocprim17ROCPRIM_400000_NS6detail17trampoline_kernelINS0_14default_configENS1_25partition_config_selectorILNS1_17partition_subalgoE6EiNS0_10empty_typeEbEEZZNS1_14partition_implILS5_6ELb0ES3_mN6thrust23THRUST_200600_302600_NS6detail15normal_iteratorINSA_10device_ptrIiEEEEPS6_SG_NS0_5tupleIJNSA_16discard_iteratorINSA_11use_defaultEEES6_EEENSH_IJSG_SG_EEES6_PlJNSB_9not_fun_tI7is_trueIiEEEEEE10hipError_tPvRmT3_T4_T5_T6_T7_T9_mT8_P12ihipStream_tbDpT10_ENKUlT_T0_E_clISt17integral_constantIbLb0EES1B_EEDaS16_S17_EUlS16_E_NS1_11comp_targetILNS1_3genE2ELNS1_11target_archE906ELNS1_3gpuE6ELNS1_3repE0EEENS1_30default_config_static_selectorELNS0_4arch9wavefront6targetE0EEEvT1_.num_vgpr, 0
	.set _ZN7rocprim17ROCPRIM_400000_NS6detail17trampoline_kernelINS0_14default_configENS1_25partition_config_selectorILNS1_17partition_subalgoE6EiNS0_10empty_typeEbEEZZNS1_14partition_implILS5_6ELb0ES3_mN6thrust23THRUST_200600_302600_NS6detail15normal_iteratorINSA_10device_ptrIiEEEEPS6_SG_NS0_5tupleIJNSA_16discard_iteratorINSA_11use_defaultEEES6_EEENSH_IJSG_SG_EEES6_PlJNSB_9not_fun_tI7is_trueIiEEEEEE10hipError_tPvRmT3_T4_T5_T6_T7_T9_mT8_P12ihipStream_tbDpT10_ENKUlT_T0_E_clISt17integral_constantIbLb0EES1B_EEDaS16_S17_EUlS16_E_NS1_11comp_targetILNS1_3genE2ELNS1_11target_archE906ELNS1_3gpuE6ELNS1_3repE0EEENS1_30default_config_static_selectorELNS0_4arch9wavefront6targetE0EEEvT1_.num_agpr, 0
	.set _ZN7rocprim17ROCPRIM_400000_NS6detail17trampoline_kernelINS0_14default_configENS1_25partition_config_selectorILNS1_17partition_subalgoE6EiNS0_10empty_typeEbEEZZNS1_14partition_implILS5_6ELb0ES3_mN6thrust23THRUST_200600_302600_NS6detail15normal_iteratorINSA_10device_ptrIiEEEEPS6_SG_NS0_5tupleIJNSA_16discard_iteratorINSA_11use_defaultEEES6_EEENSH_IJSG_SG_EEES6_PlJNSB_9not_fun_tI7is_trueIiEEEEEE10hipError_tPvRmT3_T4_T5_T6_T7_T9_mT8_P12ihipStream_tbDpT10_ENKUlT_T0_E_clISt17integral_constantIbLb0EES1B_EEDaS16_S17_EUlS16_E_NS1_11comp_targetILNS1_3genE2ELNS1_11target_archE906ELNS1_3gpuE6ELNS1_3repE0EEENS1_30default_config_static_selectorELNS0_4arch9wavefront6targetE0EEEvT1_.numbered_sgpr, 0
	.set _ZN7rocprim17ROCPRIM_400000_NS6detail17trampoline_kernelINS0_14default_configENS1_25partition_config_selectorILNS1_17partition_subalgoE6EiNS0_10empty_typeEbEEZZNS1_14partition_implILS5_6ELb0ES3_mN6thrust23THRUST_200600_302600_NS6detail15normal_iteratorINSA_10device_ptrIiEEEEPS6_SG_NS0_5tupleIJNSA_16discard_iteratorINSA_11use_defaultEEES6_EEENSH_IJSG_SG_EEES6_PlJNSB_9not_fun_tI7is_trueIiEEEEEE10hipError_tPvRmT3_T4_T5_T6_T7_T9_mT8_P12ihipStream_tbDpT10_ENKUlT_T0_E_clISt17integral_constantIbLb0EES1B_EEDaS16_S17_EUlS16_E_NS1_11comp_targetILNS1_3genE2ELNS1_11target_archE906ELNS1_3gpuE6ELNS1_3repE0EEENS1_30default_config_static_selectorELNS0_4arch9wavefront6targetE0EEEvT1_.num_named_barrier, 0
	.set _ZN7rocprim17ROCPRIM_400000_NS6detail17trampoline_kernelINS0_14default_configENS1_25partition_config_selectorILNS1_17partition_subalgoE6EiNS0_10empty_typeEbEEZZNS1_14partition_implILS5_6ELb0ES3_mN6thrust23THRUST_200600_302600_NS6detail15normal_iteratorINSA_10device_ptrIiEEEEPS6_SG_NS0_5tupleIJNSA_16discard_iteratorINSA_11use_defaultEEES6_EEENSH_IJSG_SG_EEES6_PlJNSB_9not_fun_tI7is_trueIiEEEEEE10hipError_tPvRmT3_T4_T5_T6_T7_T9_mT8_P12ihipStream_tbDpT10_ENKUlT_T0_E_clISt17integral_constantIbLb0EES1B_EEDaS16_S17_EUlS16_E_NS1_11comp_targetILNS1_3genE2ELNS1_11target_archE906ELNS1_3gpuE6ELNS1_3repE0EEENS1_30default_config_static_selectorELNS0_4arch9wavefront6targetE0EEEvT1_.private_seg_size, 0
	.set _ZN7rocprim17ROCPRIM_400000_NS6detail17trampoline_kernelINS0_14default_configENS1_25partition_config_selectorILNS1_17partition_subalgoE6EiNS0_10empty_typeEbEEZZNS1_14partition_implILS5_6ELb0ES3_mN6thrust23THRUST_200600_302600_NS6detail15normal_iteratorINSA_10device_ptrIiEEEEPS6_SG_NS0_5tupleIJNSA_16discard_iteratorINSA_11use_defaultEEES6_EEENSH_IJSG_SG_EEES6_PlJNSB_9not_fun_tI7is_trueIiEEEEEE10hipError_tPvRmT3_T4_T5_T6_T7_T9_mT8_P12ihipStream_tbDpT10_ENKUlT_T0_E_clISt17integral_constantIbLb0EES1B_EEDaS16_S17_EUlS16_E_NS1_11comp_targetILNS1_3genE2ELNS1_11target_archE906ELNS1_3gpuE6ELNS1_3repE0EEENS1_30default_config_static_selectorELNS0_4arch9wavefront6targetE0EEEvT1_.uses_vcc, 0
	.set _ZN7rocprim17ROCPRIM_400000_NS6detail17trampoline_kernelINS0_14default_configENS1_25partition_config_selectorILNS1_17partition_subalgoE6EiNS0_10empty_typeEbEEZZNS1_14partition_implILS5_6ELb0ES3_mN6thrust23THRUST_200600_302600_NS6detail15normal_iteratorINSA_10device_ptrIiEEEEPS6_SG_NS0_5tupleIJNSA_16discard_iteratorINSA_11use_defaultEEES6_EEENSH_IJSG_SG_EEES6_PlJNSB_9not_fun_tI7is_trueIiEEEEEE10hipError_tPvRmT3_T4_T5_T6_T7_T9_mT8_P12ihipStream_tbDpT10_ENKUlT_T0_E_clISt17integral_constantIbLb0EES1B_EEDaS16_S17_EUlS16_E_NS1_11comp_targetILNS1_3genE2ELNS1_11target_archE906ELNS1_3gpuE6ELNS1_3repE0EEENS1_30default_config_static_selectorELNS0_4arch9wavefront6targetE0EEEvT1_.uses_flat_scratch, 0
	.set _ZN7rocprim17ROCPRIM_400000_NS6detail17trampoline_kernelINS0_14default_configENS1_25partition_config_selectorILNS1_17partition_subalgoE6EiNS0_10empty_typeEbEEZZNS1_14partition_implILS5_6ELb0ES3_mN6thrust23THRUST_200600_302600_NS6detail15normal_iteratorINSA_10device_ptrIiEEEEPS6_SG_NS0_5tupleIJNSA_16discard_iteratorINSA_11use_defaultEEES6_EEENSH_IJSG_SG_EEES6_PlJNSB_9not_fun_tI7is_trueIiEEEEEE10hipError_tPvRmT3_T4_T5_T6_T7_T9_mT8_P12ihipStream_tbDpT10_ENKUlT_T0_E_clISt17integral_constantIbLb0EES1B_EEDaS16_S17_EUlS16_E_NS1_11comp_targetILNS1_3genE2ELNS1_11target_archE906ELNS1_3gpuE6ELNS1_3repE0EEENS1_30default_config_static_selectorELNS0_4arch9wavefront6targetE0EEEvT1_.has_dyn_sized_stack, 0
	.set _ZN7rocprim17ROCPRIM_400000_NS6detail17trampoline_kernelINS0_14default_configENS1_25partition_config_selectorILNS1_17partition_subalgoE6EiNS0_10empty_typeEbEEZZNS1_14partition_implILS5_6ELb0ES3_mN6thrust23THRUST_200600_302600_NS6detail15normal_iteratorINSA_10device_ptrIiEEEEPS6_SG_NS0_5tupleIJNSA_16discard_iteratorINSA_11use_defaultEEES6_EEENSH_IJSG_SG_EEES6_PlJNSB_9not_fun_tI7is_trueIiEEEEEE10hipError_tPvRmT3_T4_T5_T6_T7_T9_mT8_P12ihipStream_tbDpT10_ENKUlT_T0_E_clISt17integral_constantIbLb0EES1B_EEDaS16_S17_EUlS16_E_NS1_11comp_targetILNS1_3genE2ELNS1_11target_archE906ELNS1_3gpuE6ELNS1_3repE0EEENS1_30default_config_static_selectorELNS0_4arch9wavefront6targetE0EEEvT1_.has_recursion, 0
	.set _ZN7rocprim17ROCPRIM_400000_NS6detail17trampoline_kernelINS0_14default_configENS1_25partition_config_selectorILNS1_17partition_subalgoE6EiNS0_10empty_typeEbEEZZNS1_14partition_implILS5_6ELb0ES3_mN6thrust23THRUST_200600_302600_NS6detail15normal_iteratorINSA_10device_ptrIiEEEEPS6_SG_NS0_5tupleIJNSA_16discard_iteratorINSA_11use_defaultEEES6_EEENSH_IJSG_SG_EEES6_PlJNSB_9not_fun_tI7is_trueIiEEEEEE10hipError_tPvRmT3_T4_T5_T6_T7_T9_mT8_P12ihipStream_tbDpT10_ENKUlT_T0_E_clISt17integral_constantIbLb0EES1B_EEDaS16_S17_EUlS16_E_NS1_11comp_targetILNS1_3genE2ELNS1_11target_archE906ELNS1_3gpuE6ELNS1_3repE0EEENS1_30default_config_static_selectorELNS0_4arch9wavefront6targetE0EEEvT1_.has_indirect_call, 0
	.section	.AMDGPU.csdata,"",@progbits
; Kernel info:
; codeLenInByte = 0
; TotalNumSgprs: 0
; NumVgprs: 0
; ScratchSize: 0
; MemoryBound: 0
; FloatMode: 240
; IeeeMode: 1
; LDSByteSize: 0 bytes/workgroup (compile time only)
; SGPRBlocks: 0
; VGPRBlocks: 0
; NumSGPRsForWavesPerEU: 1
; NumVGPRsForWavesPerEU: 1
; Occupancy: 16
; WaveLimiterHint : 0
; COMPUTE_PGM_RSRC2:SCRATCH_EN: 0
; COMPUTE_PGM_RSRC2:USER_SGPR: 2
; COMPUTE_PGM_RSRC2:TRAP_HANDLER: 0
; COMPUTE_PGM_RSRC2:TGID_X_EN: 1
; COMPUTE_PGM_RSRC2:TGID_Y_EN: 0
; COMPUTE_PGM_RSRC2:TGID_Z_EN: 0
; COMPUTE_PGM_RSRC2:TIDIG_COMP_CNT: 0
	.section	.text._ZN7rocprim17ROCPRIM_400000_NS6detail17trampoline_kernelINS0_14default_configENS1_25partition_config_selectorILNS1_17partition_subalgoE6EiNS0_10empty_typeEbEEZZNS1_14partition_implILS5_6ELb0ES3_mN6thrust23THRUST_200600_302600_NS6detail15normal_iteratorINSA_10device_ptrIiEEEEPS6_SG_NS0_5tupleIJNSA_16discard_iteratorINSA_11use_defaultEEES6_EEENSH_IJSG_SG_EEES6_PlJNSB_9not_fun_tI7is_trueIiEEEEEE10hipError_tPvRmT3_T4_T5_T6_T7_T9_mT8_P12ihipStream_tbDpT10_ENKUlT_T0_E_clISt17integral_constantIbLb0EES1B_EEDaS16_S17_EUlS16_E_NS1_11comp_targetILNS1_3genE10ELNS1_11target_archE1200ELNS1_3gpuE4ELNS1_3repE0EEENS1_30default_config_static_selectorELNS0_4arch9wavefront6targetE0EEEvT1_,"axG",@progbits,_ZN7rocprim17ROCPRIM_400000_NS6detail17trampoline_kernelINS0_14default_configENS1_25partition_config_selectorILNS1_17partition_subalgoE6EiNS0_10empty_typeEbEEZZNS1_14partition_implILS5_6ELb0ES3_mN6thrust23THRUST_200600_302600_NS6detail15normal_iteratorINSA_10device_ptrIiEEEEPS6_SG_NS0_5tupleIJNSA_16discard_iteratorINSA_11use_defaultEEES6_EEENSH_IJSG_SG_EEES6_PlJNSB_9not_fun_tI7is_trueIiEEEEEE10hipError_tPvRmT3_T4_T5_T6_T7_T9_mT8_P12ihipStream_tbDpT10_ENKUlT_T0_E_clISt17integral_constantIbLb0EES1B_EEDaS16_S17_EUlS16_E_NS1_11comp_targetILNS1_3genE10ELNS1_11target_archE1200ELNS1_3gpuE4ELNS1_3repE0EEENS1_30default_config_static_selectorELNS0_4arch9wavefront6targetE0EEEvT1_,comdat
	.protected	_ZN7rocprim17ROCPRIM_400000_NS6detail17trampoline_kernelINS0_14default_configENS1_25partition_config_selectorILNS1_17partition_subalgoE6EiNS0_10empty_typeEbEEZZNS1_14partition_implILS5_6ELb0ES3_mN6thrust23THRUST_200600_302600_NS6detail15normal_iteratorINSA_10device_ptrIiEEEEPS6_SG_NS0_5tupleIJNSA_16discard_iteratorINSA_11use_defaultEEES6_EEENSH_IJSG_SG_EEES6_PlJNSB_9not_fun_tI7is_trueIiEEEEEE10hipError_tPvRmT3_T4_T5_T6_T7_T9_mT8_P12ihipStream_tbDpT10_ENKUlT_T0_E_clISt17integral_constantIbLb0EES1B_EEDaS16_S17_EUlS16_E_NS1_11comp_targetILNS1_3genE10ELNS1_11target_archE1200ELNS1_3gpuE4ELNS1_3repE0EEENS1_30default_config_static_selectorELNS0_4arch9wavefront6targetE0EEEvT1_ ; -- Begin function _ZN7rocprim17ROCPRIM_400000_NS6detail17trampoline_kernelINS0_14default_configENS1_25partition_config_selectorILNS1_17partition_subalgoE6EiNS0_10empty_typeEbEEZZNS1_14partition_implILS5_6ELb0ES3_mN6thrust23THRUST_200600_302600_NS6detail15normal_iteratorINSA_10device_ptrIiEEEEPS6_SG_NS0_5tupleIJNSA_16discard_iteratorINSA_11use_defaultEEES6_EEENSH_IJSG_SG_EEES6_PlJNSB_9not_fun_tI7is_trueIiEEEEEE10hipError_tPvRmT3_T4_T5_T6_T7_T9_mT8_P12ihipStream_tbDpT10_ENKUlT_T0_E_clISt17integral_constantIbLb0EES1B_EEDaS16_S17_EUlS16_E_NS1_11comp_targetILNS1_3genE10ELNS1_11target_archE1200ELNS1_3gpuE4ELNS1_3repE0EEENS1_30default_config_static_selectorELNS0_4arch9wavefront6targetE0EEEvT1_
	.globl	_ZN7rocprim17ROCPRIM_400000_NS6detail17trampoline_kernelINS0_14default_configENS1_25partition_config_selectorILNS1_17partition_subalgoE6EiNS0_10empty_typeEbEEZZNS1_14partition_implILS5_6ELb0ES3_mN6thrust23THRUST_200600_302600_NS6detail15normal_iteratorINSA_10device_ptrIiEEEEPS6_SG_NS0_5tupleIJNSA_16discard_iteratorINSA_11use_defaultEEES6_EEENSH_IJSG_SG_EEES6_PlJNSB_9not_fun_tI7is_trueIiEEEEEE10hipError_tPvRmT3_T4_T5_T6_T7_T9_mT8_P12ihipStream_tbDpT10_ENKUlT_T0_E_clISt17integral_constantIbLb0EES1B_EEDaS16_S17_EUlS16_E_NS1_11comp_targetILNS1_3genE10ELNS1_11target_archE1200ELNS1_3gpuE4ELNS1_3repE0EEENS1_30default_config_static_selectorELNS0_4arch9wavefront6targetE0EEEvT1_
	.p2align	8
	.type	_ZN7rocprim17ROCPRIM_400000_NS6detail17trampoline_kernelINS0_14default_configENS1_25partition_config_selectorILNS1_17partition_subalgoE6EiNS0_10empty_typeEbEEZZNS1_14partition_implILS5_6ELb0ES3_mN6thrust23THRUST_200600_302600_NS6detail15normal_iteratorINSA_10device_ptrIiEEEEPS6_SG_NS0_5tupleIJNSA_16discard_iteratorINSA_11use_defaultEEES6_EEENSH_IJSG_SG_EEES6_PlJNSB_9not_fun_tI7is_trueIiEEEEEE10hipError_tPvRmT3_T4_T5_T6_T7_T9_mT8_P12ihipStream_tbDpT10_ENKUlT_T0_E_clISt17integral_constantIbLb0EES1B_EEDaS16_S17_EUlS16_E_NS1_11comp_targetILNS1_3genE10ELNS1_11target_archE1200ELNS1_3gpuE4ELNS1_3repE0EEENS1_30default_config_static_selectorELNS0_4arch9wavefront6targetE0EEEvT1_,@function
_ZN7rocprim17ROCPRIM_400000_NS6detail17trampoline_kernelINS0_14default_configENS1_25partition_config_selectorILNS1_17partition_subalgoE6EiNS0_10empty_typeEbEEZZNS1_14partition_implILS5_6ELb0ES3_mN6thrust23THRUST_200600_302600_NS6detail15normal_iteratorINSA_10device_ptrIiEEEEPS6_SG_NS0_5tupleIJNSA_16discard_iteratorINSA_11use_defaultEEES6_EEENSH_IJSG_SG_EEES6_PlJNSB_9not_fun_tI7is_trueIiEEEEEE10hipError_tPvRmT3_T4_T5_T6_T7_T9_mT8_P12ihipStream_tbDpT10_ENKUlT_T0_E_clISt17integral_constantIbLb0EES1B_EEDaS16_S17_EUlS16_E_NS1_11comp_targetILNS1_3genE10ELNS1_11target_archE1200ELNS1_3gpuE4ELNS1_3repE0EEENS1_30default_config_static_selectorELNS0_4arch9wavefront6targetE0EEEvT1_: ; @_ZN7rocprim17ROCPRIM_400000_NS6detail17trampoline_kernelINS0_14default_configENS1_25partition_config_selectorILNS1_17partition_subalgoE6EiNS0_10empty_typeEbEEZZNS1_14partition_implILS5_6ELb0ES3_mN6thrust23THRUST_200600_302600_NS6detail15normal_iteratorINSA_10device_ptrIiEEEEPS6_SG_NS0_5tupleIJNSA_16discard_iteratorINSA_11use_defaultEEES6_EEENSH_IJSG_SG_EEES6_PlJNSB_9not_fun_tI7is_trueIiEEEEEE10hipError_tPvRmT3_T4_T5_T6_T7_T9_mT8_P12ihipStream_tbDpT10_ENKUlT_T0_E_clISt17integral_constantIbLb0EES1B_EEDaS16_S17_EUlS16_E_NS1_11comp_targetILNS1_3genE10ELNS1_11target_archE1200ELNS1_3gpuE4ELNS1_3repE0EEENS1_30default_config_static_selectorELNS0_4arch9wavefront6targetE0EEEvT1_
; %bb.0:
	s_clause 0x3
	s_load_b128 s[4:7], s[0:1], 0x8
	s_load_b128 s[8:11], s[0:1], 0x48
	s_load_b32 s17, s[0:1], 0x70
	s_load_b64 s[2:3], s[0:1], 0x58
	s_mov_b32 s13, 0
	s_mul_i32 s16, ttmp9, 0xa80
	v_lshlrev_b32_e32 v8, 2, v0
	s_wait_kmcnt 0x0
	s_lshl_b64 s[14:15], s[6:7], 2
	s_load_b64 s[10:11], s[10:11], 0x0
	s_mul_i32 s12, s17, 0xa80
	s_add_co_i32 s17, s17, -1
	s_add_co_i32 s20, s12, s6
	s_add_nc_u64 s[18:19], s[4:5], s[14:15]
	s_add_nc_u64 s[4:5], s[6:7], s[12:13]
	s_sub_co_i32 s14, s2, s20
	s_cmp_eq_u32 ttmp9, s17
	v_cmp_gt_u64_e64 s2, s[2:3], s[4:5]
	s_cselect_b32 s12, -1, 0
	s_cmp_lg_u32 ttmp9, s17
	s_mov_b32 s17, s13
	s_cselect_b32 s3, -1, 0
	s_mov_b32 s4, -1
	s_wait_alu 0xfffe
	s_or_b32 s15, s3, s2
	s_lshl_b64 s[2:3], s[16:17], 2
	s_and_b32 vcc_lo, exec_lo, s15
	s_wait_alu 0xfffe
	s_add_nc_u64 s[2:3], s[18:19], s[2:3]
	s_cbranch_vccz .LBB2274_2
; %bb.1:
	s_wait_alu 0xfffe
	v_add_co_u32 v1, s4, s2, v8
	s_wait_alu 0xf1ff
	v_add_co_ci_u32_e64 v2, null, s3, 0, s4
	s_mov_b32 s4, 0
	s_clause 0x6
	flat_load_b32 v3, v[1:2]
	flat_load_b32 v4, v[1:2] offset:1536
	flat_load_b32 v5, v[1:2] offset:3072
	;; [unrolled: 1-line block ×6, first 2 shown]
	s_wait_loadcnt_dscnt 0x505
	ds_store_2addr_stride64_b32 v8, v3, v4 offset1:6
	s_wait_loadcnt_dscnt 0x304
	ds_store_2addr_stride64_b32 v8, v5, v6 offset0:12 offset1:18
	s_wait_loadcnt_dscnt 0x103
	ds_store_2addr_stride64_b32 v8, v7, v9 offset0:24 offset1:30
	s_wait_loadcnt_dscnt 0x3
	ds_store_b32 v8, v1 offset:9216
	s_wait_dscnt 0x0
	s_barrier_signal -1
	s_barrier_wait -1
.LBB2274_2:
	s_wait_alu 0xfffe
	s_and_not1_b32 vcc_lo, exec_lo, s4
	s_addk_co_i32 s14, 0xa80
	s_cbranch_vccnz .LBB2274_18
; %bb.3:
	v_mov_b32_e32 v1, 0
	s_mov_b32 s4, exec_lo
	s_delay_alu instid0(VALU_DEP_1)
	v_dual_mov_b32 v2, v1 :: v_dual_mov_b32 v3, v1
	v_dual_mov_b32 v4, v1 :: v_dual_mov_b32 v5, v1
	;; [unrolled: 1-line block ×3, first 2 shown]
	v_cmpx_gt_u32_e64 s14, v0
	s_cbranch_execz .LBB2274_5
; %bb.4:
	v_add_co_u32 v2, s5, s2, v8
	s_wait_alu 0xf1ff
	v_add_co_ci_u32_e64 v3, null, s3, 0, s5
	v_dual_mov_b32 v10, v1 :: v_dual_mov_b32 v11, v1
	v_dual_mov_b32 v12, v1 :: v_dual_mov_b32 v13, v1
	flat_load_b32 v9, v[2:3]
	v_dual_mov_b32 v14, v1 :: v_dual_mov_b32 v15, v1
	s_wait_loadcnt_dscnt 0x0
	v_dual_mov_b32 v1, v9 :: v_dual_mov_b32 v2, v10
	v_dual_mov_b32 v3, v11 :: v_dual_mov_b32 v4, v12
	s_delay_alu instid0(VALU_DEP_3)
	v_dual_mov_b32 v5, v13 :: v_dual_mov_b32 v6, v14
	v_mov_b32_e32 v7, v15
.LBB2274_5:
	s_wait_alu 0xfffe
	s_or_b32 exec_lo, exec_lo, s4
	v_add_nc_u32_e32 v9, 0x180, v0
	s_mov_b32 s4, exec_lo
	s_delay_alu instid0(VALU_DEP_1)
	v_cmpx_gt_u32_e64 s14, v9
	s_cbranch_execz .LBB2274_7
; %bb.6:
	v_add_co_u32 v9, s5, s2, v8
	s_wait_alu 0xf1ff
	v_add_co_ci_u32_e64 v10, null, s3, 0, s5
	flat_load_b32 v2, v[9:10] offset:1536
.LBB2274_7:
	s_wait_alu 0xfffe
	s_or_b32 exec_lo, exec_lo, s4
	v_add_nc_u32_e32 v9, 0x300, v0
	s_mov_b32 s4, exec_lo
	s_delay_alu instid0(VALU_DEP_1)
	v_cmpx_gt_u32_e64 s14, v9
	s_cbranch_execz .LBB2274_9
; %bb.8:
	v_add_co_u32 v9, s5, s2, v8
	s_wait_alu 0xf1ff
	v_add_co_ci_u32_e64 v10, null, s3, 0, s5
	flat_load_b32 v3, v[9:10] offset:3072
.LBB2274_9:
	;; [unrolled: 13-line block ×3, first 2 shown]
	s_wait_alu 0xfffe
	s_or_b32 exec_lo, exec_lo, s4
	v_or_b32_e32 v9, 0x600, v0
	s_mov_b32 s4, exec_lo
	s_delay_alu instid0(VALU_DEP_1)
	v_cmpx_gt_u32_e64 s14, v9
	s_cbranch_execz .LBB2274_13
; %bb.12:
	v_add_co_u32 v9, s5, s2, v8
	s_wait_alu 0xf1ff
	v_add_co_ci_u32_e64 v10, null, s3, 0, s5
	flat_load_b32 v5, v[9:10] offset:6144
.LBB2274_13:
	s_wait_alu 0xfffe
	s_or_b32 exec_lo, exec_lo, s4
	v_add_nc_u32_e32 v9, 0x780, v0
	s_mov_b32 s4, exec_lo
	s_delay_alu instid0(VALU_DEP_1)
	v_cmpx_gt_u32_e64 s14, v9
	s_cbranch_execz .LBB2274_15
; %bb.14:
	v_add_co_u32 v9, s5, s2, v8
	s_wait_alu 0xf1ff
	v_add_co_ci_u32_e64 v10, null, s3, 0, s5
	flat_load_b32 v6, v[9:10] offset:7680
.LBB2274_15:
	s_wait_alu 0xfffe
	s_or_b32 exec_lo, exec_lo, s4
	v_add_nc_u32_e32 v9, 0x900, v0
	s_mov_b32 s4, exec_lo
	s_delay_alu instid0(VALU_DEP_1)
	v_cmpx_gt_u32_e64 s14, v9
	s_cbranch_execz .LBB2274_17
; %bb.16:
	v_add_co_u32 v9, s2, s2, v8
	s_wait_alu 0xf1ff
	v_add_co_ci_u32_e64 v10, null, s3, 0, s2
	flat_load_b32 v7, v[9:10] offset:9216
.LBB2274_17:
	s_wait_alu 0xfffe
	s_or_b32 exec_lo, exec_lo, s4
	s_wait_loadcnt_dscnt 0x0
	ds_store_2addr_stride64_b32 v8, v1, v2 offset1:6
	ds_store_2addr_stride64_b32 v8, v3, v4 offset0:12 offset1:18
	ds_store_2addr_stride64_b32 v8, v5, v6 offset0:24 offset1:30
	ds_store_b32 v8, v7 offset:9216
	s_wait_dscnt 0x0
	s_barrier_signal -1
	s_barrier_wait -1
.LBB2274_18:
	v_mul_u32_u24_e32 v1, 7, v0
	global_inv scope:SCOPE_SE
	s_and_not1_b32 vcc_lo, exec_lo, s15
	v_lshlrev_b32_e32 v27, 2, v1
	ds_load_2addr_b32 v[9:10], v27 offset0:4 offset1:5
	ds_load_b32 v23, v27 offset:24
	ds_load_2addr_b32 v[13:14], v27 offset1:1
	ds_load_2addr_b32 v[11:12], v27 offset0:2 offset1:3
	s_wait_loadcnt_dscnt 0x0
	s_barrier_signal -1
	s_barrier_wait -1
	global_inv scope:SCOPE_SE
	v_cmp_eq_u32_e64 s2, 0, v9
	v_cmp_eq_u32_e64 s3, 0, v10
	;; [unrolled: 1-line block ×7, first 2 shown]
	s_cbranch_vccnz .LBB2274_20
; %bb.19:
	v_cndmask_b32_e64 v2, 0, 1, s6
	v_cndmask_b32_e64 v3, 0, 1, s7
	s_wait_alu 0xf1ff
	v_cndmask_b32_e64 v4, 0, 1, s4
	v_cndmask_b32_e64 v5, 0, 1, s5
	;; [unrolled: 1-line block ×3, first 2 shown]
	v_lshlrev_b16 v2, 8, v2
	v_lshlrev_b16 v3, 8, v3
	v_cndmask_b32_e64 v24, 0, 1, s3
	s_delay_alu instid0(VALU_DEP_3) | instskip(NEXT) | instid1(VALU_DEP_3)
	v_or_b32_e32 v2, v4, v2
	v_or_b32_e32 v3, v5, v3
	s_delay_alu instid0(VALU_DEP_2) | instskip(NEXT) | instid1(VALU_DEP_2)
	v_and_b32_e32 v2, 0xffff, v2
	v_lshlrev_b32_e32 v3, 16, v3
	s_delay_alu instid0(VALU_DEP_1)
	v_or_b32_e32 v26, v2, v3
	s_cbranch_execz .LBB2274_21
	s_branch .LBB2274_22
.LBB2274_20:
                                        ; implicit-def: $sgpr13
                                        ; implicit-def: $vgpr24
                                        ; implicit-def: $vgpr25
                                        ; implicit-def: $vgpr26
.LBB2274_21:
	v_add_nc_u32_e32 v2, 1, v1
	v_cmp_eq_u32_e32 vcc_lo, 0, v14
	v_add_nc_u32_e32 v3, 3, v1
	v_cmp_eq_u32_e64 s2, 0, v13
	v_cmp_eq_u32_e64 s4, 0, v12
	v_cmp_gt_u32_e64 s3, s14, v2
	v_add_nc_u32_e32 v2, 2, v1
	v_cmp_gt_u32_e64 s6, s14, v3
	v_cmp_eq_u32_e64 s5, 0, v11
	v_add_nc_u32_e32 v5, 5, v1
	s_and_b32 s3, s3, vcc_lo
	v_cmp_gt_u32_e32 vcc_lo, s14, v1
	s_wait_alu 0xfffe
	v_cndmask_b32_e64 v3, 0, 1, s3
	v_cmp_gt_u32_e64 s3, s14, v2
	s_and_b32 s4, s6, s4
	s_and_b32 s2, vcc_lo, s2
	v_lshlrev_b16 v3, 8, v3
	s_wait_alu 0xfffe
	v_cndmask_b32_e64 v4, 0, 1, s2
	v_cndmask_b32_e64 v2, 0, 1, s4
	s_and_b32 s2, s3, s5
	v_cmp_eq_u32_e32 vcc_lo, 0, v10
	s_wait_alu 0xfffe
	v_cndmask_b32_e64 v6, 0, 1, s2
	v_cmp_gt_u32_e64 s2, s14, v5
	v_or_b32_e32 v3, v4, v3
	v_add_nc_u32_e32 v4, 4, v1
	v_lshlrev_b16 v2, 8, v2
	v_cmp_eq_u32_e64 s3, 0, v9
	s_and_b32 s2, s2, vcc_lo
	v_add_nc_u32_e32 v1, 6, v1
	v_cmp_gt_u32_e32 vcc_lo, s14, v4
	v_or_b32_e32 v2, v6, v2
	s_wait_alu 0xfffe
	v_cndmask_b32_e64 v24, 0, 1, s2
	v_and_b32_e32 v3, 0xffff, v3
	s_and_b32 s2, vcc_lo, s3
	v_cmp_gt_u32_e32 vcc_lo, s14, v1
	s_wait_alu 0xfffe
	v_cndmask_b32_e64 v5, 0, 1, s2
	v_cmp_eq_u32_e64 s2, 0, v23
	v_lshlrev_b32_e32 v2, 16, v2
	v_lshlrev_b16 v4, 8, v24
	s_and_not1_b32 s3, s13, exec_lo
	s_and_b32 s2, vcc_lo, s2
	s_delay_alu instid0(VALU_DEP_2) | instskip(NEXT) | instid1(VALU_DEP_2)
	v_or_b32_e32 v26, v3, v2
	v_or_b32_e32 v25, v5, v4
	s_wait_alu 0xfffe
	s_and_b32 s2, s2, exec_lo
	s_wait_alu 0xfffe
	s_or_b32 s13, s3, s2
.LBB2274_22:
	s_delay_alu instid0(VALU_DEP_1)
	v_dual_mov_b32 v2, 0 :: v_dual_and_b32 v31, 0xff, v26
	v_bfe_u32 v30, v26, 8, 8
	v_cndmask_b32_e64 v1, 0, 1, s13
	v_bfe_u32 v33, v26, 16, 8
	s_load_b64 s[4:5], s[0:1], 0x68
	v_lshrrev_b32_e32 v28, 24, v26
	v_and_b32_e32 v32, 0xff, v25
	v_add3_u32 v1, v31, v1, v30
	v_mbcnt_lo_u32_b32 v34, -1, 0
	v_and_b32_e32 v29, 0xff, v24
	s_cmp_lg_u32 ttmp9, 0
	s_mov_b32 s1, -1
	v_add_co_u32 v1, s0, v1, v33
	s_delay_alu instid0(VALU_DEP_1) | instskip(SKIP_1) | instid1(VALU_DEP_3)
	v_add_co_ci_u32_e64 v3, null, 0, 0, s0
	v_and_b32_e32 v35, 15, v34
	v_add_co_u32 v1, vcc_lo, v1, v28
	s_delay_alu instid0(VALU_DEP_1) | instskip(NEXT) | instid1(VALU_DEP_3)
	v_add_co_ci_u32_e64 v3, null, 0, v3, vcc_lo
	v_cmp_ne_u32_e64 s0, 0, v35
	s_delay_alu instid0(VALU_DEP_3) | instskip(SKIP_1) | instid1(VALU_DEP_3)
	v_add_co_u32 v1, vcc_lo, v1, v32
	s_wait_alu 0xfffd
	v_add_co_ci_u32_e64 v3, null, 0, v3, vcc_lo
	s_delay_alu instid0(VALU_DEP_2) | instskip(SKIP_1) | instid1(VALU_DEP_2)
	v_add_co_u32 v15, vcc_lo, v1, v29
	s_wait_alu 0xfffd
	v_add_co_ci_u32_e64 v16, null, 0, v3, vcc_lo
	s_cbranch_scc0 .LBB2274_81
; %bb.23:
	v_mov_b32_e32 v3, v15
	v_mov_b32_dpp v1, v15 row_shr:1 row_mask:0xf bank_mask:0xf
	v_mov_b32_dpp v6, v2 row_shr:1 row_mask:0xf bank_mask:0xf
	v_dual_mov_b32 v5, v15 :: v_dual_mov_b32 v4, v16
	s_and_saveexec_b32 s1, s0
; %bb.24:
	s_delay_alu instid0(VALU_DEP_3) | instskip(SKIP_2) | instid1(VALU_DEP_2)
	v_add_co_u32 v5, vcc_lo, v15, v1
	s_wait_alu 0xfffd
	v_add_co_ci_u32_e64 v2, null, 0, v16, vcc_lo
	v_add_co_u32 v1, vcc_lo, 0, v5
	s_wait_alu 0xfffd
	s_delay_alu instid0(VALU_DEP_2) | instskip(NEXT) | instid1(VALU_DEP_1)
	v_add_co_ci_u32_e64 v2, null, v6, v2, vcc_lo
	v_dual_mov_b32 v4, v2 :: v_dual_mov_b32 v3, v1
; %bb.25:
	s_wait_alu 0xfffe
	s_or_b32 exec_lo, exec_lo, s1
	v_mov_b32_dpp v1, v5 row_shr:2 row_mask:0xf bank_mask:0xf
	v_mov_b32_dpp v6, v2 row_shr:2 row_mask:0xf bank_mask:0xf
	v_cmp_lt_u32_e32 vcc_lo, 1, v35
	s_and_saveexec_b32 s2, vcc_lo
; %bb.26:
	s_delay_alu instid0(VALU_DEP_3) | instskip(SKIP_2) | instid1(VALU_DEP_2)
	v_add_co_u32 v5, s1, v3, v1
	s_wait_alu 0xf1ff
	v_add_co_ci_u32_e64 v2, null, 0, v4, s1
	v_add_co_u32 v1, s1, 0, v5
	s_wait_alu 0xf1ff
	s_delay_alu instid0(VALU_DEP_2) | instskip(NEXT) | instid1(VALU_DEP_1)
	v_add_co_ci_u32_e64 v2, null, v6, v2, s1
	v_dual_mov_b32 v4, v2 :: v_dual_mov_b32 v3, v1
; %bb.27:
	s_wait_alu 0xfffe
	s_or_b32 exec_lo, exec_lo, s2
	v_mov_b32_dpp v1, v5 row_shr:4 row_mask:0xf bank_mask:0xf
	v_mov_b32_dpp v6, v2 row_shr:4 row_mask:0xf bank_mask:0xf
	v_cmp_lt_u32_e64 s1, 3, v35
	s_and_saveexec_b32 s3, s1
; %bb.28:
	v_add_co_u32 v5, s2, v3, v1
	s_wait_alu 0xf1ff
	v_add_co_ci_u32_e64 v2, null, 0, v4, s2
	s_delay_alu instid0(VALU_DEP_2) | instskip(SKIP_1) | instid1(VALU_DEP_2)
	v_add_co_u32 v1, s2, 0, v5
	s_wait_alu 0xf1ff
	v_add_co_ci_u32_e64 v2, null, v6, v2, s2
	s_delay_alu instid0(VALU_DEP_1)
	v_dual_mov_b32 v4, v2 :: v_dual_mov_b32 v3, v1
; %bb.29:
	s_wait_alu 0xfffe
	s_or_b32 exec_lo, exec_lo, s3
	v_mov_b32_dpp v6, v5 row_shr:8 row_mask:0xf bank_mask:0xf
	v_mov_b32_dpp v1, v2 row_shr:8 row_mask:0xf bank_mask:0xf
	v_cmp_lt_u32_e64 s2, 7, v35
	s_and_saveexec_b32 s6, s2
; %bb.30:
	v_add_co_u32 v5, s3, v3, v6
	s_wait_alu 0xf1ff
	v_add_co_ci_u32_e64 v2, null, 0, v4, s3
	s_delay_alu instid0(VALU_DEP_2) | instskip(SKIP_1) | instid1(VALU_DEP_2)
	v_add_co_u32 v3, s3, 0, v5
	s_wait_alu 0xf1ff
	v_add_co_ci_u32_e64 v4, null, v1, v2, s3
	s_delay_alu instid0(VALU_DEP_1)
	v_mov_b32_e32 v2, v4
; %bb.31:
	s_wait_alu 0xfffe
	s_or_b32 exec_lo, exec_lo, s6
	ds_swizzle_b32 v6, v5 offset:swizzle(BROADCAST,32,15)
	ds_swizzle_b32 v1, v2 offset:swizzle(BROADCAST,32,15)
	v_and_b32_e32 v2, 16, v34
	s_mov_b32 s6, exec_lo
	s_delay_alu instid0(VALU_DEP_1)
	v_cmpx_ne_u32_e32 0, v2
	s_cbranch_execz .LBB2274_33
; %bb.32:
	s_wait_dscnt 0x1
	v_add_co_u32 v5, s3, v3, v6
	s_wait_alu 0xf1ff
	v_add_co_ci_u32_e64 v2, null, 0, v4, s3
	s_delay_alu instid0(VALU_DEP_2) | instskip(SKIP_2) | instid1(VALU_DEP_2)
	v_add_co_u32 v3, s3, 0, v5
	s_wait_dscnt 0x0
	s_wait_alu 0xf1ff
	v_add_co_ci_u32_e64 v4, null, v1, v2, s3
.LBB2274_33:
	s_wait_alu 0xfffe
	s_or_b32 exec_lo, exec_lo, s6
	s_wait_dscnt 0x0
	v_and_b32_e32 v1, 0x1e0, v0
	v_lshrrev_b32_e32 v6, 5, v0
	s_mov_b32 s6, exec_lo
	s_delay_alu instid0(VALU_DEP_2) | instskip(NEXT) | instid1(VALU_DEP_1)
	v_min_u32_e32 v1, 0x160, v1
	v_or_b32_e32 v1, 31, v1
	s_delay_alu instid0(VALU_DEP_1)
	v_cmpx_eq_u32_e64 v0, v1
; %bb.34:
	v_lshlrev_b32_e32 v1, 3, v6
	ds_store_b64 v1, v[3:4]
; %bb.35:
	s_wait_alu 0xfffe
	s_or_b32 exec_lo, exec_lo, s6
	s_delay_alu instid0(SALU_CYCLE_1)
	s_mov_b32 s6, exec_lo
	s_wait_loadcnt_dscnt 0x0
	s_barrier_signal -1
	s_barrier_wait -1
	global_inv scope:SCOPE_SE
	v_cmpx_gt_u32_e32 12, v0
	s_cbranch_execz .LBB2274_45
; %bb.36:
	v_lshlrev_b32_e32 v3, 3, v0
	ds_load_b64 v[1:2], v3
	s_wait_dscnt 0x0
	v_mov_b32_dpp v8, v1 row_shr:1 row_mask:0xf bank_mask:0xf
	v_mov_b32_dpp v7, v2 row_shr:1 row_mask:0xf bank_mask:0xf
	v_mov_b32_e32 v4, v1
	s_and_saveexec_b32 s7, s0
; %bb.37:
	s_delay_alu instid0(VALU_DEP_3) | instskip(SKIP_2) | instid1(VALU_DEP_2)
	v_add_co_u32 v4, s3, v1, v8
	s_wait_alu 0xf1ff
	v_add_co_ci_u32_e64 v2, null, 0, v2, s3
	v_add_co_u32 v1, s3, 0, v4
	s_wait_alu 0xf1ff
	s_delay_alu instid0(VALU_DEP_2)
	v_add_co_ci_u32_e64 v2, null, v7, v2, s3
; %bb.38:
	s_wait_alu 0xfffe
	s_or_b32 exec_lo, exec_lo, s7
	v_mov_b32_dpp v8, v4 row_shr:2 row_mask:0xf bank_mask:0xf
	s_delay_alu instid0(VALU_DEP_2)
	v_mov_b32_dpp v7, v2 row_shr:2 row_mask:0xf bank_mask:0xf
	s_and_saveexec_b32 s3, vcc_lo
; %bb.39:
	s_delay_alu instid0(VALU_DEP_2) | instskip(SKIP_2) | instid1(VALU_DEP_2)
	v_add_co_u32 v4, vcc_lo, v1, v8
	s_wait_alu 0xfffd
	v_add_co_ci_u32_e64 v2, null, 0, v2, vcc_lo
	v_add_co_u32 v1, vcc_lo, 0, v4
	s_wait_alu 0xfffd
	s_delay_alu instid0(VALU_DEP_2)
	v_add_co_ci_u32_e64 v2, null, v7, v2, vcc_lo
; %bb.40:
	s_wait_alu 0xfffe
	s_or_b32 exec_lo, exec_lo, s3
	v_mov_b32_dpp v8, v4 row_shr:4 row_mask:0xf bank_mask:0xf
	s_delay_alu instid0(VALU_DEP_2)
	v_mov_b32_dpp v7, v2 row_shr:4 row_mask:0xf bank_mask:0xf
	s_and_saveexec_b32 s3, s1
; %bb.41:
	s_delay_alu instid0(VALU_DEP_2) | instskip(SKIP_2) | instid1(VALU_DEP_2)
	v_add_co_u32 v4, vcc_lo, v1, v8
	s_wait_alu 0xfffd
	v_add_co_ci_u32_e64 v2, null, 0, v2, vcc_lo
	v_add_co_u32 v1, vcc_lo, 0, v4
	s_wait_alu 0xfffd
	s_delay_alu instid0(VALU_DEP_2)
	v_add_co_ci_u32_e64 v2, null, v7, v2, vcc_lo
; %bb.42:
	s_wait_alu 0xfffe
	s_or_b32 exec_lo, exec_lo, s3
	v_mov_b32_dpp v7, v4 row_shr:8 row_mask:0xf bank_mask:0xf
	s_delay_alu instid0(VALU_DEP_2)
	v_mov_b32_dpp v4, v2 row_shr:8 row_mask:0xf bank_mask:0xf
	s_and_saveexec_b32 s1, s2
; %bb.43:
	s_delay_alu instid0(VALU_DEP_2) | instskip(SKIP_2) | instid1(VALU_DEP_2)
	v_add_co_u32 v1, vcc_lo, v1, v7
	s_wait_alu 0xfffd
	v_add_co_ci_u32_e64 v2, null, 0, v2, vcc_lo
	v_add_co_u32 v1, vcc_lo, v1, 0
	s_wait_alu 0xfffd
	s_delay_alu instid0(VALU_DEP_2)
	v_add_co_ci_u32_e64 v2, null, v2, v4, vcc_lo
; %bb.44:
	s_wait_alu 0xfffe
	s_or_b32 exec_lo, exec_lo, s1
	ds_store_b64 v3, v[1:2]
.LBB2274_45:
	s_wait_alu 0xfffe
	s_or_b32 exec_lo, exec_lo, s6
	s_delay_alu instid0(SALU_CYCLE_1)
	s_mov_b32 s2, exec_lo
	v_cmp_gt_u32_e32 vcc_lo, 32, v0
	s_wait_loadcnt_dscnt 0x0
	s_barrier_signal -1
	s_barrier_wait -1
	global_inv scope:SCOPE_SE
                                        ; implicit-def: $vgpr17_vgpr18
	v_cmpx_lt_u32_e32 31, v0
	s_cbranch_execz .LBB2274_47
; %bb.46:
	v_lshl_add_u32 v1, v6, 3, -8
	ds_load_b64 v[17:18], v1
	s_wait_dscnt 0x0
	v_add_nc_u32_e32 v5, v5, v17
.LBB2274_47:
	s_wait_alu 0xfffe
	s_or_b32 exec_lo, exec_lo, s2
	v_sub_co_u32 v1, s1, v34, 1
	s_delay_alu instid0(VALU_DEP_1) | instskip(SKIP_1) | instid1(VALU_DEP_1)
	v_cmp_gt_i32_e64 s2, 0, v1
	s_wait_alu 0xf1ff
	v_cndmask_b32_e64 v1, v1, v34, s2
	s_delay_alu instid0(VALU_DEP_1)
	v_lshlrev_b32_e32 v1, 2, v1
	ds_bpermute_b32 v36, v1, v5
	s_and_saveexec_b32 s2, vcc_lo
	s_cbranch_execz .LBB2274_86
; %bb.48:
	v_mov_b32_e32 v4, 0
	ds_load_b64 v[1:2], v4 offset:88
	s_and_saveexec_b32 s3, s1
	s_cbranch_execz .LBB2274_50
; %bb.49:
	s_add_co_i32 s6, ttmp9, 32
	s_mov_b32 s7, 0
	s_wait_alu 0xfffe
	s_lshl_b64 s[6:7], s[6:7], 4
	s_wait_kmcnt 0x0
	s_wait_alu 0xfffe
	s_add_nc_u64 s[6:7], s[4:5], s[6:7]
	v_mov_b32_e32 v3, 1
	s_wait_alu 0xfffe
	v_dual_mov_b32 v5, s6 :: v_dual_mov_b32 v6, s7
	s_wait_dscnt 0x0
	;;#ASMSTART
	global_store_b128 v[5:6], v[1:4] off scope:SCOPE_DEV	
s_wait_storecnt 0x0
	;;#ASMEND
.LBB2274_50:
	s_wait_alu 0xfffe
	s_or_b32 exec_lo, exec_lo, s3
	v_xad_u32 v19, v34, -1, ttmp9
	s_mov_b32 s6, 0
	s_mov_b32 s3, exec_lo
	s_delay_alu instid0(VALU_DEP_1) | instskip(NEXT) | instid1(VALU_DEP_1)
	v_add_nc_u32_e32 v3, 32, v19
	v_lshlrev_b64_e32 v[3:4], 4, v[3:4]
	s_wait_kmcnt 0x0
	s_delay_alu instid0(VALU_DEP_1) | instskip(SKIP_1) | instid1(VALU_DEP_2)
	v_add_co_u32 v3, vcc_lo, s4, v3
	s_wait_alu 0xfffd
	v_add_co_ci_u32_e64 v4, null, s5, v4, vcc_lo
	;;#ASMSTART
	global_load_b128 v[5:8], v[3:4] off scope:SCOPE_DEV	
s_wait_loadcnt 0x0
	;;#ASMEND
	v_and_b32_e32 v8, 0xff, v7
	s_delay_alu instid0(VALU_DEP_1)
	v_cmpx_eq_u16_e32 0, v8
	s_cbranch_execz .LBB2274_53
.LBB2274_51:                            ; =>This Inner Loop Header: Depth=1
	;;#ASMSTART
	global_load_b128 v[5:8], v[3:4] off scope:SCOPE_DEV	
s_wait_loadcnt 0x0
	;;#ASMEND
	v_and_b32_e32 v8, 0xff, v7
	s_delay_alu instid0(VALU_DEP_1)
	v_cmp_ne_u16_e32 vcc_lo, 0, v8
	s_wait_alu 0xfffe
	s_or_b32 s6, vcc_lo, s6
	s_wait_alu 0xfffe
	s_and_not1_b32 exec_lo, exec_lo, s6
	s_cbranch_execnz .LBB2274_51
; %bb.52:
	s_or_b32 exec_lo, exec_lo, s6
.LBB2274_53:
	s_wait_alu 0xfffe
	s_or_b32 exec_lo, exec_lo, s3
	v_cmp_ne_u32_e32 vcc_lo, 31, v34
	v_and_b32_e32 v4, 0xff, v7
	v_lshlrev_b32_e64 v38, v34, -1
	s_mov_b32 s3, exec_lo
	s_wait_alu 0xfffd
	v_add_co_ci_u32_e64 v3, null, 0, v34, vcc_lo
	v_cmp_eq_u16_e32 vcc_lo, 2, v4
	s_delay_alu instid0(VALU_DEP_2)
	v_dual_mov_b32 v4, v5 :: v_dual_lshlrev_b32 v37, 2, v3
	s_wait_alu 0xfffd
	v_and_or_b32 v3, vcc_lo, v38, 0x80000000
	ds_bpermute_b32 v20, v37, v5
	ds_bpermute_b32 v8, v37, v6
	v_ctz_i32_b32_e32 v3, v3
	s_delay_alu instid0(VALU_DEP_1)
	v_cmpx_lt_u32_e64 v34, v3
	s_cbranch_execz .LBB2274_55
; %bb.54:
	s_wait_dscnt 0x1
	v_add_co_u32 v4, vcc_lo, v5, v20
	s_wait_alu 0xfffd
	v_add_co_ci_u32_e64 v6, null, 0, v6, vcc_lo
	s_delay_alu instid0(VALU_DEP_2) | instskip(SKIP_2) | instid1(VALU_DEP_2)
	v_add_co_u32 v5, vcc_lo, 0, v4
	s_wait_dscnt 0x0
	s_wait_alu 0xfffd
	v_add_co_ci_u32_e64 v6, null, v8, v6, vcc_lo
.LBB2274_55:
	s_wait_alu 0xfffe
	s_or_b32 exec_lo, exec_lo, s3
	v_cmp_gt_u32_e32 vcc_lo, 30, v34
	v_add_nc_u32_e32 v40, 2, v34
	s_mov_b32 s3, exec_lo
	s_wait_dscnt 0x0
	s_wait_alu 0xfffd
	v_cndmask_b32_e64 v8, 0, 2, vcc_lo
	s_delay_alu instid0(VALU_DEP_1)
	v_add_lshl_u32 v39, v8, v34, 2
	ds_bpermute_b32 v20, v39, v4
	ds_bpermute_b32 v8, v39, v6
	v_cmpx_le_u32_e64 v40, v3
	s_cbranch_execz .LBB2274_57
; %bb.56:
	s_wait_dscnt 0x1
	v_add_co_u32 v4, vcc_lo, v5, v20
	s_wait_alu 0xfffd
	v_add_co_ci_u32_e64 v6, null, 0, v6, vcc_lo
	s_delay_alu instid0(VALU_DEP_2) | instskip(SKIP_2) | instid1(VALU_DEP_2)
	v_add_co_u32 v5, vcc_lo, 0, v4
	s_wait_dscnt 0x0
	s_wait_alu 0xfffd
	v_add_co_ci_u32_e64 v6, null, v8, v6, vcc_lo
.LBB2274_57:
	s_wait_alu 0xfffe
	s_or_b32 exec_lo, exec_lo, s3
	v_cmp_gt_u32_e32 vcc_lo, 28, v34
	v_add_nc_u32_e32 v42, 4, v34
	s_mov_b32 s3, exec_lo
	s_wait_dscnt 0x0
	s_wait_alu 0xfffd
	v_cndmask_b32_e64 v8, 0, 4, vcc_lo
	s_delay_alu instid0(VALU_DEP_1)
	v_add_lshl_u32 v41, v8, v34, 2
	ds_bpermute_b32 v20, v41, v4
	ds_bpermute_b32 v8, v41, v6
	v_cmpx_le_u32_e64 v42, v3
	;; [unrolled: 25-line block ×3, first 2 shown]
	s_cbranch_execz .LBB2274_61
; %bb.60:
	s_wait_dscnt 0x1
	v_add_co_u32 v4, vcc_lo, v5, v20
	s_wait_alu 0xfffd
	v_add_co_ci_u32_e64 v6, null, 0, v6, vcc_lo
	s_delay_alu instid0(VALU_DEP_2) | instskip(SKIP_2) | instid1(VALU_DEP_2)
	v_add_co_u32 v5, vcc_lo, 0, v4
	s_wait_dscnt 0x0
	s_wait_alu 0xfffd
	v_add_co_ci_u32_e64 v6, null, v8, v6, vcc_lo
.LBB2274_61:
	s_wait_alu 0xfffe
	s_or_b32 exec_lo, exec_lo, s3
	v_lshl_or_b32 v45, v34, 2, 64
	v_add_nc_u32_e32 v46, 16, v34
	s_mov_b32 s3, exec_lo
	s_wait_dscnt 0x0
	ds_bpermute_b32 v8, v45, v4
	ds_bpermute_b32 v4, v45, v6
	v_cmpx_le_u32_e64 v46, v3
	s_cbranch_execz .LBB2274_63
; %bb.62:
	s_wait_dscnt 0x1
	v_add_co_u32 v3, vcc_lo, v5, v8
	s_wait_alu 0xfffd
	v_add_co_ci_u32_e64 v6, null, 0, v6, vcc_lo
	s_delay_alu instid0(VALU_DEP_2) | instskip(SKIP_2) | instid1(VALU_DEP_2)
	v_add_co_u32 v5, vcc_lo, v3, 0
	s_wait_dscnt 0x0
	s_wait_alu 0xfffd
	v_add_co_ci_u32_e64 v6, null, v6, v4, vcc_lo
.LBB2274_63:
	s_wait_alu 0xfffe
	s_or_b32 exec_lo, exec_lo, s3
	v_mov_b32_e32 v20, 0
	s_branch .LBB2274_66
.LBB2274_64:                            ;   in Loop: Header=BB2274_66 Depth=1
	s_wait_alu 0xfffe
	s_or_b32 exec_lo, exec_lo, s3
	v_add_co_u32 v5, vcc_lo, v5, v3
	v_subrev_nc_u32_e32 v19, 32, v19
	s_wait_alu 0xfffd
	v_add_co_ci_u32_e64 v6, null, v6, v4, vcc_lo
	s_mov_b32 s3, 0
.LBB2274_65:                            ;   in Loop: Header=BB2274_66 Depth=1
	s_wait_alu 0xfffe
	s_and_b32 vcc_lo, exec_lo, s3
	s_wait_alu 0xfffe
	s_cbranch_vccnz .LBB2274_82
.LBB2274_66:                            ; =>This Loop Header: Depth=1
                                        ;     Child Loop BB2274_69 Depth 2
	v_and_b32_e32 v3, 0xff, v7
	s_mov_b32 s3, -1
	s_delay_alu instid0(VALU_DEP_1)
	v_cmp_ne_u16_e32 vcc_lo, 2, v3
	s_wait_dscnt 0x0
	v_dual_mov_b32 v3, v5 :: v_dual_mov_b32 v4, v6
                                        ; implicit-def: $vgpr5_vgpr6
	s_cmp_lg_u32 vcc_lo, exec_lo
	s_cbranch_scc1 .LBB2274_65
; %bb.67:                               ;   in Loop: Header=BB2274_66 Depth=1
	v_lshlrev_b64_e32 v[5:6], 4, v[19:20]
	s_mov_b32 s3, exec_lo
	s_delay_alu instid0(VALU_DEP_1) | instskip(SKIP_1) | instid1(VALU_DEP_2)
	v_add_co_u32 v21, vcc_lo, s4, v5
	s_wait_alu 0xfffd
	v_add_co_ci_u32_e64 v22, null, s5, v6, vcc_lo
	;;#ASMSTART
	global_load_b128 v[5:8], v[21:22] off scope:SCOPE_DEV	
s_wait_loadcnt 0x0
	;;#ASMEND
	v_and_b32_e32 v8, 0xff, v7
	s_delay_alu instid0(VALU_DEP_1)
	v_cmpx_eq_u16_e32 0, v8
	s_cbranch_execz .LBB2274_71
; %bb.68:                               ;   in Loop: Header=BB2274_66 Depth=1
	s_mov_b32 s6, 0
.LBB2274_69:                            ;   Parent Loop BB2274_66 Depth=1
                                        ; =>  This Inner Loop Header: Depth=2
	;;#ASMSTART
	global_load_b128 v[5:8], v[21:22] off scope:SCOPE_DEV	
s_wait_loadcnt 0x0
	;;#ASMEND
	v_and_b32_e32 v8, 0xff, v7
	s_delay_alu instid0(VALU_DEP_1)
	v_cmp_ne_u16_e32 vcc_lo, 0, v8
	s_wait_alu 0xfffe
	s_or_b32 s6, vcc_lo, s6
	s_wait_alu 0xfffe
	s_and_not1_b32 exec_lo, exec_lo, s6
	s_cbranch_execnz .LBB2274_69
; %bb.70:                               ;   in Loop: Header=BB2274_66 Depth=1
	s_or_b32 exec_lo, exec_lo, s6
.LBB2274_71:                            ;   in Loop: Header=BB2274_66 Depth=1
	s_wait_alu 0xfffe
	s_or_b32 exec_lo, exec_lo, s3
	v_dual_mov_b32 v21, v5 :: v_dual_and_b32 v8, 0xff, v7
	ds_bpermute_b32 v47, v37, v5
	ds_bpermute_b32 v22, v37, v6
	s_mov_b32 s3, exec_lo
	v_cmp_eq_u16_e32 vcc_lo, 2, v8
	s_wait_alu 0xfffd
	v_and_or_b32 v8, vcc_lo, v38, 0x80000000
	s_delay_alu instid0(VALU_DEP_1) | instskip(NEXT) | instid1(VALU_DEP_1)
	v_ctz_i32_b32_e32 v8, v8
	v_cmpx_lt_u32_e64 v34, v8
	s_cbranch_execz .LBB2274_73
; %bb.72:                               ;   in Loop: Header=BB2274_66 Depth=1
	s_wait_dscnt 0x1
	v_add_co_u32 v21, vcc_lo, v5, v47
	s_wait_alu 0xfffd
	v_add_co_ci_u32_e64 v6, null, 0, v6, vcc_lo
	s_delay_alu instid0(VALU_DEP_2) | instskip(SKIP_2) | instid1(VALU_DEP_2)
	v_add_co_u32 v5, vcc_lo, 0, v21
	s_wait_dscnt 0x0
	s_wait_alu 0xfffd
	v_add_co_ci_u32_e64 v6, null, v22, v6, vcc_lo
.LBB2274_73:                            ;   in Loop: Header=BB2274_66 Depth=1
	s_wait_alu 0xfffe
	s_or_b32 exec_lo, exec_lo, s3
	s_wait_dscnt 0x1
	ds_bpermute_b32 v47, v39, v21
	s_wait_dscnt 0x1
	ds_bpermute_b32 v22, v39, v6
	s_mov_b32 s3, exec_lo
	v_cmpx_le_u32_e64 v40, v8
	s_cbranch_execz .LBB2274_75
; %bb.74:                               ;   in Loop: Header=BB2274_66 Depth=1
	s_wait_dscnt 0x1
	v_add_co_u32 v21, vcc_lo, v5, v47
	s_wait_alu 0xfffd
	v_add_co_ci_u32_e64 v6, null, 0, v6, vcc_lo
	s_delay_alu instid0(VALU_DEP_2) | instskip(SKIP_2) | instid1(VALU_DEP_2)
	v_add_co_u32 v5, vcc_lo, 0, v21
	s_wait_dscnt 0x0
	s_wait_alu 0xfffd
	v_add_co_ci_u32_e64 v6, null, v22, v6, vcc_lo
.LBB2274_75:                            ;   in Loop: Header=BB2274_66 Depth=1
	s_wait_alu 0xfffe
	s_or_b32 exec_lo, exec_lo, s3
	s_wait_dscnt 0x1
	ds_bpermute_b32 v47, v41, v21
	s_wait_dscnt 0x1
	ds_bpermute_b32 v22, v41, v6
	s_mov_b32 s3, exec_lo
	v_cmpx_le_u32_e64 v42, v8
	;; [unrolled: 20-line block ×3, first 2 shown]
	s_cbranch_execz .LBB2274_79
; %bb.78:                               ;   in Loop: Header=BB2274_66 Depth=1
	s_wait_dscnt 0x1
	v_add_co_u32 v21, vcc_lo, v5, v47
	s_wait_alu 0xfffd
	v_add_co_ci_u32_e64 v6, null, 0, v6, vcc_lo
	s_delay_alu instid0(VALU_DEP_2) | instskip(SKIP_2) | instid1(VALU_DEP_2)
	v_add_co_u32 v5, vcc_lo, 0, v21
	s_wait_dscnt 0x0
	s_wait_alu 0xfffd
	v_add_co_ci_u32_e64 v6, null, v22, v6, vcc_lo
.LBB2274_79:                            ;   in Loop: Header=BB2274_66 Depth=1
	s_wait_alu 0xfffe
	s_or_b32 exec_lo, exec_lo, s3
	s_wait_dscnt 0x0
	ds_bpermute_b32 v22, v45, v21
	ds_bpermute_b32 v21, v45, v6
	s_mov_b32 s3, exec_lo
	v_cmpx_le_u32_e64 v46, v8
	s_cbranch_execz .LBB2274_64
; %bb.80:                               ;   in Loop: Header=BB2274_66 Depth=1
	s_wait_dscnt 0x1
	v_add_co_u32 v5, vcc_lo, v5, v22
	s_wait_alu 0xfffd
	v_add_co_ci_u32_e64 v6, null, 0, v6, vcc_lo
	s_delay_alu instid0(VALU_DEP_2) | instskip(SKIP_2) | instid1(VALU_DEP_2)
	v_add_co_u32 v5, vcc_lo, v5, 0
	s_wait_dscnt 0x0
	s_wait_alu 0xfffd
	v_add_co_ci_u32_e64 v6, null, v6, v21, vcc_lo
	s_branch .LBB2274_64
.LBB2274_81:
                                        ; implicit-def: $vgpr17_vgpr18
                                        ; implicit-def: $vgpr7_vgpr8
                                        ; implicit-def: $vgpr5_vgpr6
                                        ; implicit-def: $vgpr3_vgpr4
                                        ; implicit-def: $vgpr18_vgpr19
                                        ; implicit-def: $vgpr19_vgpr20
                                        ; implicit-def: $vgpr20_vgpr21
                                        ; implicit-def: $vgpr21_vgpr22
	s_and_b32 vcc_lo, exec_lo, s1
	s_wait_alu 0xfffe
	s_cbranch_vccnz .LBB2274_87
	s_branch .LBB2274_114
.LBB2274_82:
	s_and_saveexec_b32 s3, s1
	s_cbranch_execz .LBB2274_84
; %bb.83:
	s_add_co_i32 s6, ttmp9, 32
	s_mov_b32 s7, 0
	v_add_co_u32 v5, vcc_lo, v3, v1
	s_wait_alu 0xfffe
	s_lshl_b64 s[6:7], s[6:7], 4
	v_dual_mov_b32 v7, 2 :: v_dual_mov_b32 v8, 0
	s_wait_alu 0xfffe
	s_add_nc_u64 s[6:7], s[4:5], s[6:7]
	s_wait_alu 0xfffd
	v_add_co_ci_u32_e64 v6, null, v4, v2, vcc_lo
	s_wait_alu 0xfffe
	v_dual_mov_b32 v20, s7 :: v_dual_mov_b32 v19, s6
	;;#ASMSTART
	global_store_b128 v[19:20], v[5:8] off scope:SCOPE_DEV	
s_wait_storecnt 0x0
	;;#ASMEND
	ds_store_b128 v8, v[1:4] offset:10752
.LBB2274_84:
	s_wait_alu 0xfffe
	s_or_b32 exec_lo, exec_lo, s3
	v_cmp_eq_u32_e32 vcc_lo, 0, v0
	s_and_b32 exec_lo, exec_lo, vcc_lo
; %bb.85:
	v_mov_b32_e32 v1, 0
	ds_store_b64 v1, v[3:4] offset:88
.LBB2274_86:
	s_wait_alu 0xfffe
	s_or_b32 exec_lo, exec_lo, s2
	s_wait_dscnt 0x0
	v_cndmask_b32_e64 v4, v36, v17, s1
	v_cmp_ne_u32_e32 vcc_lo, 0, v0
	v_mov_b32_e32 v3, 0
	s_wait_loadcnt 0x0
	s_barrier_signal -1
	s_barrier_wait -1
	global_inv scope:SCOPE_SE
	s_wait_alu 0xfffd
	v_cndmask_b32_e32 v4, 0, v4, vcc_lo
	ds_load_b64 v[1:2], v3 offset:88
	v_cndmask_b32_e64 v5, 0, v18, s1
	s_wait_loadcnt_dscnt 0x0
	s_barrier_signal -1
	s_barrier_wait -1
	global_inv scope:SCOPE_SE
	v_cndmask_b32_e32 v5, 0, v5, vcc_lo
	v_add_co_u32 v21, vcc_lo, v1, v4
	s_wait_alu 0xfffd
	s_delay_alu instid0(VALU_DEP_2) | instskip(NEXT) | instid1(VALU_DEP_2)
	v_add_co_ci_u32_e64 v1, null, v2, v5, vcc_lo
	v_add_co_u32 v20, vcc_lo, v21, v31
	s_wait_alu 0xfffd
	s_delay_alu instid0(VALU_DEP_2) | instskip(NEXT) | instid1(VALU_DEP_2)
	v_add_co_ci_u32_e64 v1, null, 0, v1, vcc_lo
	v_add_co_u32 v19, vcc_lo, v20, v30
	s_wait_alu 0xfffd
	s_delay_alu instid0(VALU_DEP_2) | instskip(SKIP_4) | instid1(VALU_DEP_2)
	v_add_co_ci_u32_e64 v5, null, 0, v1, vcc_lo
	ds_load_b128 v[1:4], v3 offset:10752
	v_add_co_u32 v18, vcc_lo, v19, v33
	s_wait_alu 0xfffd
	v_add_co_ci_u32_e64 v5, null, 0, v5, vcc_lo
	v_add_co_u32 v17, vcc_lo, v18, v28
	s_wait_alu 0xfffd
	s_delay_alu instid0(VALU_DEP_2) | instskip(NEXT) | instid1(VALU_DEP_2)
	v_add_co_ci_u32_e64 v6, null, 0, v5, vcc_lo
	v_add_co_u32 v5, vcc_lo, v17, v32
	s_wait_alu 0xfffd
	s_delay_alu instid0(VALU_DEP_2) | instskip(NEXT) | instid1(VALU_DEP_2)
	v_add_co_ci_u32_e64 v6, null, 0, v6, vcc_lo
	v_add_co_u32 v7, vcc_lo, v5, v29
	s_wait_alu 0xfffd
	s_delay_alu instid0(VALU_DEP_2)
	v_add_co_ci_u32_e64 v6, null, 0, v6, vcc_lo
	s_branch .LBB2274_114
.LBB2274_87:
	s_wait_dscnt 0x0
	v_dual_mov_b32 v2, 0 :: v_dual_mov_b32 v3, v15
	v_mov_b32_dpp v4, v15 row_shr:1 row_mask:0xf bank_mask:0xf
	s_delay_alu instid0(VALU_DEP_2)
	v_mov_b32_dpp v1, v2 row_shr:1 row_mask:0xf bank_mask:0xf
	s_and_saveexec_b32 s1, s0
; %bb.88:
	s_delay_alu instid0(VALU_DEP_2) | instskip(SKIP_2) | instid1(VALU_DEP_2)
	v_add_co_u32 v3, vcc_lo, v15, v4
	s_wait_alu 0xfffd
	v_add_co_ci_u32_e64 v2, null, 0, v16, vcc_lo
	v_add_co_u32 v15, vcc_lo, 0, v3
	s_wait_alu 0xfffd
	s_delay_alu instid0(VALU_DEP_2) | instskip(NEXT) | instid1(VALU_DEP_1)
	v_add_co_ci_u32_e64 v16, null, v1, v2, vcc_lo
	v_mov_b32_e32 v2, v16
; %bb.89:
	s_wait_alu 0xfffe
	s_or_b32 exec_lo, exec_lo, s1
	v_mov_b32_dpp v1, v3 row_shr:2 row_mask:0xf bank_mask:0xf
	s_delay_alu instid0(VALU_DEP_2)
	v_mov_b32_dpp v4, v2 row_shr:2 row_mask:0xf bank_mask:0xf
	v_cmp_lt_u32_e32 vcc_lo, 1, v35
	s_and_saveexec_b32 s2, vcc_lo
; %bb.90:
	s_delay_alu instid0(VALU_DEP_3) | instskip(SKIP_2) | instid1(VALU_DEP_2)
	v_add_co_u32 v3, s1, v15, v1
	s_wait_alu 0xf1ff
	v_add_co_ci_u32_e64 v2, null, 0, v16, s1
	v_add_co_u32 v1, s1, 0, v3
	s_wait_alu 0xf1ff
	s_delay_alu instid0(VALU_DEP_2) | instskip(NEXT) | instid1(VALU_DEP_1)
	v_add_co_ci_u32_e64 v2, null, v4, v2, s1
	v_dual_mov_b32 v16, v2 :: v_dual_mov_b32 v15, v1
; %bb.91:
	s_wait_alu 0xfffe
	s_or_b32 exec_lo, exec_lo, s2
	v_mov_b32_dpp v1, v3 row_shr:4 row_mask:0xf bank_mask:0xf
	v_mov_b32_dpp v4, v2 row_shr:4 row_mask:0xf bank_mask:0xf
	v_cmp_lt_u32_e64 s1, 3, v35
	s_and_saveexec_b32 s3, s1
; %bb.92:
	v_add_co_u32 v3, s2, v15, v1
	s_wait_alu 0xf1ff
	v_add_co_ci_u32_e64 v2, null, 0, v16, s2
	s_delay_alu instid0(VALU_DEP_2) | instskip(SKIP_1) | instid1(VALU_DEP_2)
	v_add_co_u32 v1, s2, 0, v3
	s_wait_alu 0xf1ff
	v_add_co_ci_u32_e64 v2, null, v4, v2, s2
	s_delay_alu instid0(VALU_DEP_1)
	v_dual_mov_b32 v16, v2 :: v_dual_mov_b32 v15, v1
; %bb.93:
	s_wait_alu 0xfffe
	s_or_b32 exec_lo, exec_lo, s3
	v_mov_b32_dpp v4, v3 row_shr:8 row_mask:0xf bank_mask:0xf
	v_mov_b32_dpp v1, v2 row_shr:8 row_mask:0xf bank_mask:0xf
	v_cmp_lt_u32_e64 s2, 7, v35
	s_and_saveexec_b32 s6, s2
; %bb.94:
	v_add_co_u32 v3, s3, v15, v4
	s_wait_alu 0xf1ff
	v_add_co_ci_u32_e64 v2, null, 0, v16, s3
	s_delay_alu instid0(VALU_DEP_2) | instskip(SKIP_1) | instid1(VALU_DEP_2)
	v_add_co_u32 v15, s3, 0, v3
	s_wait_alu 0xf1ff
	v_add_co_ci_u32_e64 v16, null, v1, v2, s3
	s_delay_alu instid0(VALU_DEP_1)
	v_mov_b32_e32 v2, v16
; %bb.95:
	s_wait_alu 0xfffe
	s_or_b32 exec_lo, exec_lo, s6
	ds_swizzle_b32 v3, v3 offset:swizzle(BROADCAST,32,15)
	ds_swizzle_b32 v1, v2 offset:swizzle(BROADCAST,32,15)
	v_and_b32_e32 v2, 16, v34
	s_mov_b32 s6, exec_lo
	s_delay_alu instid0(VALU_DEP_1)
	v_cmpx_ne_u32_e32 0, v2
	s_cbranch_execz .LBB2274_97
; %bb.96:
	s_wait_dscnt 0x1
	v_add_co_u32 v2, s3, v15, v3
	s_wait_alu 0xf1ff
	v_add_co_ci_u32_e64 v3, null, 0, v16, s3
	s_delay_alu instid0(VALU_DEP_2) | instskip(SKIP_2) | instid1(VALU_DEP_2)
	v_add_co_u32 v15, s3, v2, 0
	s_wait_dscnt 0x0
	s_wait_alu 0xf1ff
	v_add_co_ci_u32_e64 v16, null, v3, v1, s3
.LBB2274_97:
	s_wait_alu 0xfffe
	s_or_b32 exec_lo, exec_lo, s6
	s_wait_dscnt 0x0
	v_and_b32_e32 v1, 0x1e0, v0
	v_lshrrev_b32_e32 v3, 5, v0
	s_mov_b32 s6, exec_lo
	s_delay_alu instid0(VALU_DEP_2) | instskip(NEXT) | instid1(VALU_DEP_1)
	v_min_u32_e32 v1, 0x160, v1
	v_or_b32_e32 v1, 31, v1
	s_delay_alu instid0(VALU_DEP_1)
	v_cmpx_eq_u32_e64 v0, v1
; %bb.98:
	v_lshlrev_b32_e32 v1, 3, v3
	ds_store_b64 v1, v[15:16]
; %bb.99:
	s_wait_alu 0xfffe
	s_or_b32 exec_lo, exec_lo, s6
	s_delay_alu instid0(SALU_CYCLE_1)
	s_mov_b32 s6, exec_lo
	s_wait_loadcnt_dscnt 0x0
	s_barrier_signal -1
	s_barrier_wait -1
	global_inv scope:SCOPE_SE
	v_cmpx_gt_u32_e32 12, v0
	s_cbranch_execz .LBB2274_109
; %bb.100:
	v_mad_i32_i24 v1, 0xffffffec, v0, v27
	ds_load_b64 v[1:2], v1
	s_wait_dscnt 0x0
	v_mov_b32_dpp v6, v1 row_shr:1 row_mask:0xf bank_mask:0xf
	v_mov_b32_dpp v5, v2 row_shr:1 row_mask:0xf bank_mask:0xf
	v_mov_b32_e32 v4, v1
	s_and_saveexec_b32 s3, s0
; %bb.101:
	s_delay_alu instid0(VALU_DEP_3) | instskip(SKIP_2) | instid1(VALU_DEP_2)
	v_add_co_u32 v4, s0, v1, v6
	s_wait_alu 0xf1ff
	v_add_co_ci_u32_e64 v2, null, 0, v2, s0
	v_add_co_u32 v1, s0, 0, v4
	s_wait_alu 0xf1ff
	s_delay_alu instid0(VALU_DEP_2)
	v_add_co_ci_u32_e64 v2, null, v5, v2, s0
; %bb.102:
	s_wait_alu 0xfffe
	s_or_b32 exec_lo, exec_lo, s3
	v_mov_b32_dpp v6, v4 row_shr:2 row_mask:0xf bank_mask:0xf
	s_delay_alu instid0(VALU_DEP_2)
	v_mov_b32_dpp v5, v2 row_shr:2 row_mask:0xf bank_mask:0xf
	s_and_saveexec_b32 s0, vcc_lo
; %bb.103:
	s_delay_alu instid0(VALU_DEP_2) | instskip(SKIP_2) | instid1(VALU_DEP_2)
	v_add_co_u32 v4, vcc_lo, v1, v6
	s_wait_alu 0xfffd
	v_add_co_ci_u32_e64 v2, null, 0, v2, vcc_lo
	v_add_co_u32 v1, vcc_lo, 0, v4
	s_wait_alu 0xfffd
	s_delay_alu instid0(VALU_DEP_2)
	v_add_co_ci_u32_e64 v2, null, v5, v2, vcc_lo
; %bb.104:
	s_wait_alu 0xfffe
	s_or_b32 exec_lo, exec_lo, s0
	v_mov_b32_dpp v6, v4 row_shr:4 row_mask:0xf bank_mask:0xf
	s_delay_alu instid0(VALU_DEP_2)
	v_mov_b32_dpp v5, v2 row_shr:4 row_mask:0xf bank_mask:0xf
	s_and_saveexec_b32 s0, s1
; %bb.105:
	s_delay_alu instid0(VALU_DEP_2) | instskip(SKIP_2) | instid1(VALU_DEP_2)
	v_add_co_u32 v4, vcc_lo, v1, v6
	s_wait_alu 0xfffd
	v_add_co_ci_u32_e64 v2, null, 0, v2, vcc_lo
	v_add_co_u32 v1, vcc_lo, 0, v4
	s_wait_alu 0xfffd
	s_delay_alu instid0(VALU_DEP_2)
	v_add_co_ci_u32_e64 v2, null, v5, v2, vcc_lo
; %bb.106:
	s_wait_alu 0xfffe
	s_or_b32 exec_lo, exec_lo, s0
	v_mul_i32_i24_e32 v5, 0xffffffec, v0
	v_mov_b32_dpp v6, v4 row_shr:8 row_mask:0xf bank_mask:0xf
	v_mov_b32_dpp v4, v2 row_shr:8 row_mask:0xf bank_mask:0xf
	s_and_saveexec_b32 s0, s2
; %bb.107:
	s_delay_alu instid0(VALU_DEP_2) | instskip(SKIP_2) | instid1(VALU_DEP_2)
	v_add_co_u32 v1, vcc_lo, v1, v6
	s_wait_alu 0xfffd
	v_add_co_ci_u32_e64 v2, null, 0, v2, vcc_lo
	v_add_co_u32 v1, vcc_lo, v1, 0
	s_wait_alu 0xfffd
	s_delay_alu instid0(VALU_DEP_2)
	v_add_co_ci_u32_e64 v2, null, v2, v4, vcc_lo
; %bb.108:
	s_wait_alu 0xfffe
	s_or_b32 exec_lo, exec_lo, s0
	v_add_nc_u32_e32 v4, v27, v5
	ds_store_b64 v4, v[1:2]
.LBB2274_109:
	s_wait_alu 0xfffe
	s_or_b32 exec_lo, exec_lo, s6
	v_mov_b32_e32 v5, 0
	v_mov_b32_e32 v6, 0
	s_mov_b32 s0, exec_lo
	s_wait_loadcnt_dscnt 0x0
	s_barrier_signal -1
	s_barrier_wait -1
	global_inv scope:SCOPE_SE
	v_cmpx_lt_u32_e32 31, v0
; %bb.110:
	v_lshl_add_u32 v1, v3, 3, -8
	ds_load_b64 v[5:6], v1
; %bb.111:
	s_wait_alu 0xfffe
	s_or_b32 exec_lo, exec_lo, s0
	v_sub_co_u32 v1, vcc_lo, v34, 1
	s_wait_dscnt 0x0
	v_add_nc_u32_e32 v2, v5, v15
	v_mov_b32_e32 v4, 0
	s_delay_alu instid0(VALU_DEP_3) | instskip(SKIP_1) | instid1(VALU_DEP_1)
	v_cmp_gt_i32_e64 s0, 0, v1
	s_wait_alu 0xf1ff
	v_cndmask_b32_e64 v1, v1, v34, s0
	v_cmp_eq_u32_e64 s0, 0, v0
	s_delay_alu instid0(VALU_DEP_2)
	v_lshlrev_b32_e32 v1, 2, v1
	ds_bpermute_b32 v7, v1, v2
	ds_load_b64 v[1:2], v4 offset:88
	s_and_saveexec_b32 s1, s0
	s_cbranch_execz .LBB2274_113
; %bb.112:
	s_wait_kmcnt 0x0
	s_add_nc_u64 s[2:3], s[4:5], 0x200
	s_wait_alu 0xfffe
	v_dual_mov_b32 v3, 2 :: v_dual_mov_b32 v16, s3
	v_mov_b32_e32 v15, s2
	s_wait_dscnt 0x0
	;;#ASMSTART
	global_store_b128 v[15:16], v[1:4] off scope:SCOPE_DEV	
s_wait_storecnt 0x0
	;;#ASMEND
.LBB2274_113:
	s_wait_alu 0xfffe
	s_or_b32 exec_lo, exec_lo, s1
	s_wait_dscnt 0x1
	s_wait_alu 0xfffd
	v_dual_cndmask_b32 v3, v7, v5 :: v_dual_cndmask_b32 v4, 0, v6
	s_wait_loadcnt_dscnt 0x0
	s_barrier_signal -1
	s_barrier_wait -1
	s_delay_alu instid0(VALU_DEP_1)
	v_cndmask_b32_e64 v21, v3, 0, s0
	v_cndmask_b32_e64 v3, v4, 0, s0
	global_inv scope:SCOPE_SE
	v_add_co_u32 v20, vcc_lo, v21, v31
	s_wait_alu 0xfffd
	v_add_co_ci_u32_e64 v3, null, 0, v3, vcc_lo
	s_delay_alu instid0(VALU_DEP_2) | instskip(SKIP_1) | instid1(VALU_DEP_2)
	v_add_co_u32 v19, vcc_lo, v20, v30
	s_wait_alu 0xfffd
	v_add_co_ci_u32_e64 v3, null, 0, v3, vcc_lo
	s_delay_alu instid0(VALU_DEP_2) | instskip(SKIP_1) | instid1(VALU_DEP_2)
	;; [unrolled: 4-line block ×4, first 2 shown]
	v_add_co_u32 v5, vcc_lo, v17, v32
	s_wait_alu 0xfffd
	v_add_co_ci_u32_e64 v6, null, 0, v3, vcc_lo
	v_mov_b32_e32 v3, 0
	v_mov_b32_e32 v4, 0
	v_add_co_u32 v7, vcc_lo, v5, v29
	s_wait_alu 0xfffd
	v_add_co_ci_u32_e64 v6, null, 0, v6, vcc_lo
.LBB2274_114:
	s_wait_dscnt 0x0
	v_cmp_gt_u64_e32 vcc_lo, 0x181, v[1:2]
	v_lshrrev_b32_e32 v8, 8, v26
	v_lshrrev_b32_e32 v6, 16, v26
	s_cbranch_vccz .LBB2274_117
; %bb.115:
	v_cmp_eq_u32_e32 vcc_lo, 0, v0
	s_and_b32 s0, vcc_lo, s12
	s_wait_alu 0xfffe
	s_and_saveexec_b32 s1, s0
	s_cbranch_execnz .LBB2274_132
.LBB2274_116:
	s_endpgm
.LBB2274_117:
	v_and_b32_e32 v15, 1, v26
	s_mov_b32 s0, exec_lo
	s_delay_alu instid0(VALU_DEP_1)
	v_cmpx_eq_u32_e32 1, v15
; %bb.118:
	v_sub_nc_u32_e32 v15, v21, v3
	s_delay_alu instid0(VALU_DEP_1)
	v_lshlrev_b32_e32 v15, 2, v15
	ds_store_b32 v15, v13
; %bb.119:
	s_wait_alu 0xfffe
	s_or_b32 exec_lo, exec_lo, s0
	v_and_b32_e32 v8, 1, v8
	s_mov_b32 s0, exec_lo
	s_delay_alu instid0(VALU_DEP_1)
	v_cmpx_eq_u32_e32 1, v8
; %bb.120:
	v_sub_nc_u32_e32 v8, v20, v3
	s_delay_alu instid0(VALU_DEP_1)
	v_lshlrev_b32_e32 v8, 2, v8
	ds_store_b32 v8, v14
; %bb.121:
	s_wait_alu 0xfffe
	s_or_b32 exec_lo, exec_lo, s0
	;; [unrolled: 12-line block ×6, first 2 shown]
	s_and_saveexec_b32 s0, s13
; %bb.130:
	v_sub_nc_u32_e32 v5, v7, v3
	s_delay_alu instid0(VALU_DEP_1)
	v_lshlrev_b32_e32 v5, 2, v5
	ds_store_b32 v5, v23
; %bb.131:
	s_wait_alu 0xfffe
	s_or_b32 exec_lo, exec_lo, s0
	s_wait_loadcnt_dscnt 0x0
	s_barrier_signal -1
	s_barrier_wait -1
	global_inv scope:SCOPE_SE
	v_cmp_eq_u32_e32 vcc_lo, 0, v0
	s_and_b32 s0, vcc_lo, s12
	s_wait_alu 0xfffe
	s_and_saveexec_b32 s1, s0
	s_cbranch_execz .LBB2274_116
.LBB2274_132:
	s_wait_kmcnt 0x0
	v_add_co_u32 v0, vcc_lo, v1, s10
	s_wait_alu 0xfffd
	v_add_co_ci_u32_e64 v1, null, s11, v2, vcc_lo
	v_mov_b32_e32 v2, 0
	s_delay_alu instid0(VALU_DEP_3) | instskip(SKIP_1) | instid1(VALU_DEP_3)
	v_add_co_u32 v0, vcc_lo, v0, v3
	s_wait_alu 0xfffd
	v_add_co_ci_u32_e64 v1, null, v1, v4, vcc_lo
	global_store_b64 v2, v[0:1], s[8:9]
	s_endpgm
	.section	.rodata,"a",@progbits
	.p2align	6, 0x0
	.amdhsa_kernel _ZN7rocprim17ROCPRIM_400000_NS6detail17trampoline_kernelINS0_14default_configENS1_25partition_config_selectorILNS1_17partition_subalgoE6EiNS0_10empty_typeEbEEZZNS1_14partition_implILS5_6ELb0ES3_mN6thrust23THRUST_200600_302600_NS6detail15normal_iteratorINSA_10device_ptrIiEEEEPS6_SG_NS0_5tupleIJNSA_16discard_iteratorINSA_11use_defaultEEES6_EEENSH_IJSG_SG_EEES6_PlJNSB_9not_fun_tI7is_trueIiEEEEEE10hipError_tPvRmT3_T4_T5_T6_T7_T9_mT8_P12ihipStream_tbDpT10_ENKUlT_T0_E_clISt17integral_constantIbLb0EES1B_EEDaS16_S17_EUlS16_E_NS1_11comp_targetILNS1_3genE10ELNS1_11target_archE1200ELNS1_3gpuE4ELNS1_3repE0EEENS1_30default_config_static_selectorELNS0_4arch9wavefront6targetE0EEEvT1_
		.amdhsa_group_segment_fixed_size 10768
		.amdhsa_private_segment_fixed_size 0
		.amdhsa_kernarg_size 120
		.amdhsa_user_sgpr_count 2
		.amdhsa_user_sgpr_dispatch_ptr 0
		.amdhsa_user_sgpr_queue_ptr 0
		.amdhsa_user_sgpr_kernarg_segment_ptr 1
		.amdhsa_user_sgpr_dispatch_id 0
		.amdhsa_user_sgpr_private_segment_size 0
		.amdhsa_wavefront_size32 1
		.amdhsa_uses_dynamic_stack 0
		.amdhsa_enable_private_segment 0
		.amdhsa_system_sgpr_workgroup_id_x 1
		.amdhsa_system_sgpr_workgroup_id_y 0
		.amdhsa_system_sgpr_workgroup_id_z 0
		.amdhsa_system_sgpr_workgroup_info 0
		.amdhsa_system_vgpr_workitem_id 0
		.amdhsa_next_free_vgpr 48
		.amdhsa_next_free_sgpr 21
		.amdhsa_reserve_vcc 1
		.amdhsa_float_round_mode_32 0
		.amdhsa_float_round_mode_16_64 0
		.amdhsa_float_denorm_mode_32 3
		.amdhsa_float_denorm_mode_16_64 3
		.amdhsa_fp16_overflow 0
		.amdhsa_workgroup_processor_mode 1
		.amdhsa_memory_ordered 1
		.amdhsa_forward_progress 1
		.amdhsa_inst_pref_size 51
		.amdhsa_round_robin_scheduling 0
		.amdhsa_exception_fp_ieee_invalid_op 0
		.amdhsa_exception_fp_denorm_src 0
		.amdhsa_exception_fp_ieee_div_zero 0
		.amdhsa_exception_fp_ieee_overflow 0
		.amdhsa_exception_fp_ieee_underflow 0
		.amdhsa_exception_fp_ieee_inexact 0
		.amdhsa_exception_int_div_zero 0
	.end_amdhsa_kernel
	.section	.text._ZN7rocprim17ROCPRIM_400000_NS6detail17trampoline_kernelINS0_14default_configENS1_25partition_config_selectorILNS1_17partition_subalgoE6EiNS0_10empty_typeEbEEZZNS1_14partition_implILS5_6ELb0ES3_mN6thrust23THRUST_200600_302600_NS6detail15normal_iteratorINSA_10device_ptrIiEEEEPS6_SG_NS0_5tupleIJNSA_16discard_iteratorINSA_11use_defaultEEES6_EEENSH_IJSG_SG_EEES6_PlJNSB_9not_fun_tI7is_trueIiEEEEEE10hipError_tPvRmT3_T4_T5_T6_T7_T9_mT8_P12ihipStream_tbDpT10_ENKUlT_T0_E_clISt17integral_constantIbLb0EES1B_EEDaS16_S17_EUlS16_E_NS1_11comp_targetILNS1_3genE10ELNS1_11target_archE1200ELNS1_3gpuE4ELNS1_3repE0EEENS1_30default_config_static_selectorELNS0_4arch9wavefront6targetE0EEEvT1_,"axG",@progbits,_ZN7rocprim17ROCPRIM_400000_NS6detail17trampoline_kernelINS0_14default_configENS1_25partition_config_selectorILNS1_17partition_subalgoE6EiNS0_10empty_typeEbEEZZNS1_14partition_implILS5_6ELb0ES3_mN6thrust23THRUST_200600_302600_NS6detail15normal_iteratorINSA_10device_ptrIiEEEEPS6_SG_NS0_5tupleIJNSA_16discard_iteratorINSA_11use_defaultEEES6_EEENSH_IJSG_SG_EEES6_PlJNSB_9not_fun_tI7is_trueIiEEEEEE10hipError_tPvRmT3_T4_T5_T6_T7_T9_mT8_P12ihipStream_tbDpT10_ENKUlT_T0_E_clISt17integral_constantIbLb0EES1B_EEDaS16_S17_EUlS16_E_NS1_11comp_targetILNS1_3genE10ELNS1_11target_archE1200ELNS1_3gpuE4ELNS1_3repE0EEENS1_30default_config_static_selectorELNS0_4arch9wavefront6targetE0EEEvT1_,comdat
.Lfunc_end2274:
	.size	_ZN7rocprim17ROCPRIM_400000_NS6detail17trampoline_kernelINS0_14default_configENS1_25partition_config_selectorILNS1_17partition_subalgoE6EiNS0_10empty_typeEbEEZZNS1_14partition_implILS5_6ELb0ES3_mN6thrust23THRUST_200600_302600_NS6detail15normal_iteratorINSA_10device_ptrIiEEEEPS6_SG_NS0_5tupleIJNSA_16discard_iteratorINSA_11use_defaultEEES6_EEENSH_IJSG_SG_EEES6_PlJNSB_9not_fun_tI7is_trueIiEEEEEE10hipError_tPvRmT3_T4_T5_T6_T7_T9_mT8_P12ihipStream_tbDpT10_ENKUlT_T0_E_clISt17integral_constantIbLb0EES1B_EEDaS16_S17_EUlS16_E_NS1_11comp_targetILNS1_3genE10ELNS1_11target_archE1200ELNS1_3gpuE4ELNS1_3repE0EEENS1_30default_config_static_selectorELNS0_4arch9wavefront6targetE0EEEvT1_, .Lfunc_end2274-_ZN7rocprim17ROCPRIM_400000_NS6detail17trampoline_kernelINS0_14default_configENS1_25partition_config_selectorILNS1_17partition_subalgoE6EiNS0_10empty_typeEbEEZZNS1_14partition_implILS5_6ELb0ES3_mN6thrust23THRUST_200600_302600_NS6detail15normal_iteratorINSA_10device_ptrIiEEEEPS6_SG_NS0_5tupleIJNSA_16discard_iteratorINSA_11use_defaultEEES6_EEENSH_IJSG_SG_EEES6_PlJNSB_9not_fun_tI7is_trueIiEEEEEE10hipError_tPvRmT3_T4_T5_T6_T7_T9_mT8_P12ihipStream_tbDpT10_ENKUlT_T0_E_clISt17integral_constantIbLb0EES1B_EEDaS16_S17_EUlS16_E_NS1_11comp_targetILNS1_3genE10ELNS1_11target_archE1200ELNS1_3gpuE4ELNS1_3repE0EEENS1_30default_config_static_selectorELNS0_4arch9wavefront6targetE0EEEvT1_
                                        ; -- End function
	.set _ZN7rocprim17ROCPRIM_400000_NS6detail17trampoline_kernelINS0_14default_configENS1_25partition_config_selectorILNS1_17partition_subalgoE6EiNS0_10empty_typeEbEEZZNS1_14partition_implILS5_6ELb0ES3_mN6thrust23THRUST_200600_302600_NS6detail15normal_iteratorINSA_10device_ptrIiEEEEPS6_SG_NS0_5tupleIJNSA_16discard_iteratorINSA_11use_defaultEEES6_EEENSH_IJSG_SG_EEES6_PlJNSB_9not_fun_tI7is_trueIiEEEEEE10hipError_tPvRmT3_T4_T5_T6_T7_T9_mT8_P12ihipStream_tbDpT10_ENKUlT_T0_E_clISt17integral_constantIbLb0EES1B_EEDaS16_S17_EUlS16_E_NS1_11comp_targetILNS1_3genE10ELNS1_11target_archE1200ELNS1_3gpuE4ELNS1_3repE0EEENS1_30default_config_static_selectorELNS0_4arch9wavefront6targetE0EEEvT1_.num_vgpr, 48
	.set _ZN7rocprim17ROCPRIM_400000_NS6detail17trampoline_kernelINS0_14default_configENS1_25partition_config_selectorILNS1_17partition_subalgoE6EiNS0_10empty_typeEbEEZZNS1_14partition_implILS5_6ELb0ES3_mN6thrust23THRUST_200600_302600_NS6detail15normal_iteratorINSA_10device_ptrIiEEEEPS6_SG_NS0_5tupleIJNSA_16discard_iteratorINSA_11use_defaultEEES6_EEENSH_IJSG_SG_EEES6_PlJNSB_9not_fun_tI7is_trueIiEEEEEE10hipError_tPvRmT3_T4_T5_T6_T7_T9_mT8_P12ihipStream_tbDpT10_ENKUlT_T0_E_clISt17integral_constantIbLb0EES1B_EEDaS16_S17_EUlS16_E_NS1_11comp_targetILNS1_3genE10ELNS1_11target_archE1200ELNS1_3gpuE4ELNS1_3repE0EEENS1_30default_config_static_selectorELNS0_4arch9wavefront6targetE0EEEvT1_.num_agpr, 0
	.set _ZN7rocprim17ROCPRIM_400000_NS6detail17trampoline_kernelINS0_14default_configENS1_25partition_config_selectorILNS1_17partition_subalgoE6EiNS0_10empty_typeEbEEZZNS1_14partition_implILS5_6ELb0ES3_mN6thrust23THRUST_200600_302600_NS6detail15normal_iteratorINSA_10device_ptrIiEEEEPS6_SG_NS0_5tupleIJNSA_16discard_iteratorINSA_11use_defaultEEES6_EEENSH_IJSG_SG_EEES6_PlJNSB_9not_fun_tI7is_trueIiEEEEEE10hipError_tPvRmT3_T4_T5_T6_T7_T9_mT8_P12ihipStream_tbDpT10_ENKUlT_T0_E_clISt17integral_constantIbLb0EES1B_EEDaS16_S17_EUlS16_E_NS1_11comp_targetILNS1_3genE10ELNS1_11target_archE1200ELNS1_3gpuE4ELNS1_3repE0EEENS1_30default_config_static_selectorELNS0_4arch9wavefront6targetE0EEEvT1_.numbered_sgpr, 21
	.set _ZN7rocprim17ROCPRIM_400000_NS6detail17trampoline_kernelINS0_14default_configENS1_25partition_config_selectorILNS1_17partition_subalgoE6EiNS0_10empty_typeEbEEZZNS1_14partition_implILS5_6ELb0ES3_mN6thrust23THRUST_200600_302600_NS6detail15normal_iteratorINSA_10device_ptrIiEEEEPS6_SG_NS0_5tupleIJNSA_16discard_iteratorINSA_11use_defaultEEES6_EEENSH_IJSG_SG_EEES6_PlJNSB_9not_fun_tI7is_trueIiEEEEEE10hipError_tPvRmT3_T4_T5_T6_T7_T9_mT8_P12ihipStream_tbDpT10_ENKUlT_T0_E_clISt17integral_constantIbLb0EES1B_EEDaS16_S17_EUlS16_E_NS1_11comp_targetILNS1_3genE10ELNS1_11target_archE1200ELNS1_3gpuE4ELNS1_3repE0EEENS1_30default_config_static_selectorELNS0_4arch9wavefront6targetE0EEEvT1_.num_named_barrier, 0
	.set _ZN7rocprim17ROCPRIM_400000_NS6detail17trampoline_kernelINS0_14default_configENS1_25partition_config_selectorILNS1_17partition_subalgoE6EiNS0_10empty_typeEbEEZZNS1_14partition_implILS5_6ELb0ES3_mN6thrust23THRUST_200600_302600_NS6detail15normal_iteratorINSA_10device_ptrIiEEEEPS6_SG_NS0_5tupleIJNSA_16discard_iteratorINSA_11use_defaultEEES6_EEENSH_IJSG_SG_EEES6_PlJNSB_9not_fun_tI7is_trueIiEEEEEE10hipError_tPvRmT3_T4_T5_T6_T7_T9_mT8_P12ihipStream_tbDpT10_ENKUlT_T0_E_clISt17integral_constantIbLb0EES1B_EEDaS16_S17_EUlS16_E_NS1_11comp_targetILNS1_3genE10ELNS1_11target_archE1200ELNS1_3gpuE4ELNS1_3repE0EEENS1_30default_config_static_selectorELNS0_4arch9wavefront6targetE0EEEvT1_.private_seg_size, 0
	.set _ZN7rocprim17ROCPRIM_400000_NS6detail17trampoline_kernelINS0_14default_configENS1_25partition_config_selectorILNS1_17partition_subalgoE6EiNS0_10empty_typeEbEEZZNS1_14partition_implILS5_6ELb0ES3_mN6thrust23THRUST_200600_302600_NS6detail15normal_iteratorINSA_10device_ptrIiEEEEPS6_SG_NS0_5tupleIJNSA_16discard_iteratorINSA_11use_defaultEEES6_EEENSH_IJSG_SG_EEES6_PlJNSB_9not_fun_tI7is_trueIiEEEEEE10hipError_tPvRmT3_T4_T5_T6_T7_T9_mT8_P12ihipStream_tbDpT10_ENKUlT_T0_E_clISt17integral_constantIbLb0EES1B_EEDaS16_S17_EUlS16_E_NS1_11comp_targetILNS1_3genE10ELNS1_11target_archE1200ELNS1_3gpuE4ELNS1_3repE0EEENS1_30default_config_static_selectorELNS0_4arch9wavefront6targetE0EEEvT1_.uses_vcc, 1
	.set _ZN7rocprim17ROCPRIM_400000_NS6detail17trampoline_kernelINS0_14default_configENS1_25partition_config_selectorILNS1_17partition_subalgoE6EiNS0_10empty_typeEbEEZZNS1_14partition_implILS5_6ELb0ES3_mN6thrust23THRUST_200600_302600_NS6detail15normal_iteratorINSA_10device_ptrIiEEEEPS6_SG_NS0_5tupleIJNSA_16discard_iteratorINSA_11use_defaultEEES6_EEENSH_IJSG_SG_EEES6_PlJNSB_9not_fun_tI7is_trueIiEEEEEE10hipError_tPvRmT3_T4_T5_T6_T7_T9_mT8_P12ihipStream_tbDpT10_ENKUlT_T0_E_clISt17integral_constantIbLb0EES1B_EEDaS16_S17_EUlS16_E_NS1_11comp_targetILNS1_3genE10ELNS1_11target_archE1200ELNS1_3gpuE4ELNS1_3repE0EEENS1_30default_config_static_selectorELNS0_4arch9wavefront6targetE0EEEvT1_.uses_flat_scratch, 1
	.set _ZN7rocprim17ROCPRIM_400000_NS6detail17trampoline_kernelINS0_14default_configENS1_25partition_config_selectorILNS1_17partition_subalgoE6EiNS0_10empty_typeEbEEZZNS1_14partition_implILS5_6ELb0ES3_mN6thrust23THRUST_200600_302600_NS6detail15normal_iteratorINSA_10device_ptrIiEEEEPS6_SG_NS0_5tupleIJNSA_16discard_iteratorINSA_11use_defaultEEES6_EEENSH_IJSG_SG_EEES6_PlJNSB_9not_fun_tI7is_trueIiEEEEEE10hipError_tPvRmT3_T4_T5_T6_T7_T9_mT8_P12ihipStream_tbDpT10_ENKUlT_T0_E_clISt17integral_constantIbLb0EES1B_EEDaS16_S17_EUlS16_E_NS1_11comp_targetILNS1_3genE10ELNS1_11target_archE1200ELNS1_3gpuE4ELNS1_3repE0EEENS1_30default_config_static_selectorELNS0_4arch9wavefront6targetE0EEEvT1_.has_dyn_sized_stack, 0
	.set _ZN7rocprim17ROCPRIM_400000_NS6detail17trampoline_kernelINS0_14default_configENS1_25partition_config_selectorILNS1_17partition_subalgoE6EiNS0_10empty_typeEbEEZZNS1_14partition_implILS5_6ELb0ES3_mN6thrust23THRUST_200600_302600_NS6detail15normal_iteratorINSA_10device_ptrIiEEEEPS6_SG_NS0_5tupleIJNSA_16discard_iteratorINSA_11use_defaultEEES6_EEENSH_IJSG_SG_EEES6_PlJNSB_9not_fun_tI7is_trueIiEEEEEE10hipError_tPvRmT3_T4_T5_T6_T7_T9_mT8_P12ihipStream_tbDpT10_ENKUlT_T0_E_clISt17integral_constantIbLb0EES1B_EEDaS16_S17_EUlS16_E_NS1_11comp_targetILNS1_3genE10ELNS1_11target_archE1200ELNS1_3gpuE4ELNS1_3repE0EEENS1_30default_config_static_selectorELNS0_4arch9wavefront6targetE0EEEvT1_.has_recursion, 0
	.set _ZN7rocprim17ROCPRIM_400000_NS6detail17trampoline_kernelINS0_14default_configENS1_25partition_config_selectorILNS1_17partition_subalgoE6EiNS0_10empty_typeEbEEZZNS1_14partition_implILS5_6ELb0ES3_mN6thrust23THRUST_200600_302600_NS6detail15normal_iteratorINSA_10device_ptrIiEEEEPS6_SG_NS0_5tupleIJNSA_16discard_iteratorINSA_11use_defaultEEES6_EEENSH_IJSG_SG_EEES6_PlJNSB_9not_fun_tI7is_trueIiEEEEEE10hipError_tPvRmT3_T4_T5_T6_T7_T9_mT8_P12ihipStream_tbDpT10_ENKUlT_T0_E_clISt17integral_constantIbLb0EES1B_EEDaS16_S17_EUlS16_E_NS1_11comp_targetILNS1_3genE10ELNS1_11target_archE1200ELNS1_3gpuE4ELNS1_3repE0EEENS1_30default_config_static_selectorELNS0_4arch9wavefront6targetE0EEEvT1_.has_indirect_call, 0
	.section	.AMDGPU.csdata,"",@progbits
; Kernel info:
; codeLenInByte = 6516
; TotalNumSgprs: 23
; NumVgprs: 48
; ScratchSize: 0
; MemoryBound: 0
; FloatMode: 240
; IeeeMode: 1
; LDSByteSize: 10768 bytes/workgroup (compile time only)
; SGPRBlocks: 0
; VGPRBlocks: 5
; NumSGPRsForWavesPerEU: 23
; NumVGPRsForWavesPerEU: 48
; Occupancy: 15
; WaveLimiterHint : 1
; COMPUTE_PGM_RSRC2:SCRATCH_EN: 0
; COMPUTE_PGM_RSRC2:USER_SGPR: 2
; COMPUTE_PGM_RSRC2:TRAP_HANDLER: 0
; COMPUTE_PGM_RSRC2:TGID_X_EN: 1
; COMPUTE_PGM_RSRC2:TGID_Y_EN: 0
; COMPUTE_PGM_RSRC2:TGID_Z_EN: 0
; COMPUTE_PGM_RSRC2:TIDIG_COMP_CNT: 0
	.section	.text._ZN7rocprim17ROCPRIM_400000_NS6detail17trampoline_kernelINS0_14default_configENS1_25partition_config_selectorILNS1_17partition_subalgoE6EiNS0_10empty_typeEbEEZZNS1_14partition_implILS5_6ELb0ES3_mN6thrust23THRUST_200600_302600_NS6detail15normal_iteratorINSA_10device_ptrIiEEEEPS6_SG_NS0_5tupleIJNSA_16discard_iteratorINSA_11use_defaultEEES6_EEENSH_IJSG_SG_EEES6_PlJNSB_9not_fun_tI7is_trueIiEEEEEE10hipError_tPvRmT3_T4_T5_T6_T7_T9_mT8_P12ihipStream_tbDpT10_ENKUlT_T0_E_clISt17integral_constantIbLb0EES1B_EEDaS16_S17_EUlS16_E_NS1_11comp_targetILNS1_3genE9ELNS1_11target_archE1100ELNS1_3gpuE3ELNS1_3repE0EEENS1_30default_config_static_selectorELNS0_4arch9wavefront6targetE0EEEvT1_,"axG",@progbits,_ZN7rocprim17ROCPRIM_400000_NS6detail17trampoline_kernelINS0_14default_configENS1_25partition_config_selectorILNS1_17partition_subalgoE6EiNS0_10empty_typeEbEEZZNS1_14partition_implILS5_6ELb0ES3_mN6thrust23THRUST_200600_302600_NS6detail15normal_iteratorINSA_10device_ptrIiEEEEPS6_SG_NS0_5tupleIJNSA_16discard_iteratorINSA_11use_defaultEEES6_EEENSH_IJSG_SG_EEES6_PlJNSB_9not_fun_tI7is_trueIiEEEEEE10hipError_tPvRmT3_T4_T5_T6_T7_T9_mT8_P12ihipStream_tbDpT10_ENKUlT_T0_E_clISt17integral_constantIbLb0EES1B_EEDaS16_S17_EUlS16_E_NS1_11comp_targetILNS1_3genE9ELNS1_11target_archE1100ELNS1_3gpuE3ELNS1_3repE0EEENS1_30default_config_static_selectorELNS0_4arch9wavefront6targetE0EEEvT1_,comdat
	.protected	_ZN7rocprim17ROCPRIM_400000_NS6detail17trampoline_kernelINS0_14default_configENS1_25partition_config_selectorILNS1_17partition_subalgoE6EiNS0_10empty_typeEbEEZZNS1_14partition_implILS5_6ELb0ES3_mN6thrust23THRUST_200600_302600_NS6detail15normal_iteratorINSA_10device_ptrIiEEEEPS6_SG_NS0_5tupleIJNSA_16discard_iteratorINSA_11use_defaultEEES6_EEENSH_IJSG_SG_EEES6_PlJNSB_9not_fun_tI7is_trueIiEEEEEE10hipError_tPvRmT3_T4_T5_T6_T7_T9_mT8_P12ihipStream_tbDpT10_ENKUlT_T0_E_clISt17integral_constantIbLb0EES1B_EEDaS16_S17_EUlS16_E_NS1_11comp_targetILNS1_3genE9ELNS1_11target_archE1100ELNS1_3gpuE3ELNS1_3repE0EEENS1_30default_config_static_selectorELNS0_4arch9wavefront6targetE0EEEvT1_ ; -- Begin function _ZN7rocprim17ROCPRIM_400000_NS6detail17trampoline_kernelINS0_14default_configENS1_25partition_config_selectorILNS1_17partition_subalgoE6EiNS0_10empty_typeEbEEZZNS1_14partition_implILS5_6ELb0ES3_mN6thrust23THRUST_200600_302600_NS6detail15normal_iteratorINSA_10device_ptrIiEEEEPS6_SG_NS0_5tupleIJNSA_16discard_iteratorINSA_11use_defaultEEES6_EEENSH_IJSG_SG_EEES6_PlJNSB_9not_fun_tI7is_trueIiEEEEEE10hipError_tPvRmT3_T4_T5_T6_T7_T9_mT8_P12ihipStream_tbDpT10_ENKUlT_T0_E_clISt17integral_constantIbLb0EES1B_EEDaS16_S17_EUlS16_E_NS1_11comp_targetILNS1_3genE9ELNS1_11target_archE1100ELNS1_3gpuE3ELNS1_3repE0EEENS1_30default_config_static_selectorELNS0_4arch9wavefront6targetE0EEEvT1_
	.globl	_ZN7rocprim17ROCPRIM_400000_NS6detail17trampoline_kernelINS0_14default_configENS1_25partition_config_selectorILNS1_17partition_subalgoE6EiNS0_10empty_typeEbEEZZNS1_14partition_implILS5_6ELb0ES3_mN6thrust23THRUST_200600_302600_NS6detail15normal_iteratorINSA_10device_ptrIiEEEEPS6_SG_NS0_5tupleIJNSA_16discard_iteratorINSA_11use_defaultEEES6_EEENSH_IJSG_SG_EEES6_PlJNSB_9not_fun_tI7is_trueIiEEEEEE10hipError_tPvRmT3_T4_T5_T6_T7_T9_mT8_P12ihipStream_tbDpT10_ENKUlT_T0_E_clISt17integral_constantIbLb0EES1B_EEDaS16_S17_EUlS16_E_NS1_11comp_targetILNS1_3genE9ELNS1_11target_archE1100ELNS1_3gpuE3ELNS1_3repE0EEENS1_30default_config_static_selectorELNS0_4arch9wavefront6targetE0EEEvT1_
	.p2align	8
	.type	_ZN7rocprim17ROCPRIM_400000_NS6detail17trampoline_kernelINS0_14default_configENS1_25partition_config_selectorILNS1_17partition_subalgoE6EiNS0_10empty_typeEbEEZZNS1_14partition_implILS5_6ELb0ES3_mN6thrust23THRUST_200600_302600_NS6detail15normal_iteratorINSA_10device_ptrIiEEEEPS6_SG_NS0_5tupleIJNSA_16discard_iteratorINSA_11use_defaultEEES6_EEENSH_IJSG_SG_EEES6_PlJNSB_9not_fun_tI7is_trueIiEEEEEE10hipError_tPvRmT3_T4_T5_T6_T7_T9_mT8_P12ihipStream_tbDpT10_ENKUlT_T0_E_clISt17integral_constantIbLb0EES1B_EEDaS16_S17_EUlS16_E_NS1_11comp_targetILNS1_3genE9ELNS1_11target_archE1100ELNS1_3gpuE3ELNS1_3repE0EEENS1_30default_config_static_selectorELNS0_4arch9wavefront6targetE0EEEvT1_,@function
_ZN7rocprim17ROCPRIM_400000_NS6detail17trampoline_kernelINS0_14default_configENS1_25partition_config_selectorILNS1_17partition_subalgoE6EiNS0_10empty_typeEbEEZZNS1_14partition_implILS5_6ELb0ES3_mN6thrust23THRUST_200600_302600_NS6detail15normal_iteratorINSA_10device_ptrIiEEEEPS6_SG_NS0_5tupleIJNSA_16discard_iteratorINSA_11use_defaultEEES6_EEENSH_IJSG_SG_EEES6_PlJNSB_9not_fun_tI7is_trueIiEEEEEE10hipError_tPvRmT3_T4_T5_T6_T7_T9_mT8_P12ihipStream_tbDpT10_ENKUlT_T0_E_clISt17integral_constantIbLb0EES1B_EEDaS16_S17_EUlS16_E_NS1_11comp_targetILNS1_3genE9ELNS1_11target_archE1100ELNS1_3gpuE3ELNS1_3repE0EEENS1_30default_config_static_selectorELNS0_4arch9wavefront6targetE0EEEvT1_: ; @_ZN7rocprim17ROCPRIM_400000_NS6detail17trampoline_kernelINS0_14default_configENS1_25partition_config_selectorILNS1_17partition_subalgoE6EiNS0_10empty_typeEbEEZZNS1_14partition_implILS5_6ELb0ES3_mN6thrust23THRUST_200600_302600_NS6detail15normal_iteratorINSA_10device_ptrIiEEEEPS6_SG_NS0_5tupleIJNSA_16discard_iteratorINSA_11use_defaultEEES6_EEENSH_IJSG_SG_EEES6_PlJNSB_9not_fun_tI7is_trueIiEEEEEE10hipError_tPvRmT3_T4_T5_T6_T7_T9_mT8_P12ihipStream_tbDpT10_ENKUlT_T0_E_clISt17integral_constantIbLb0EES1B_EEDaS16_S17_EUlS16_E_NS1_11comp_targetILNS1_3genE9ELNS1_11target_archE1100ELNS1_3gpuE3ELNS1_3repE0EEENS1_30default_config_static_selectorELNS0_4arch9wavefront6targetE0EEEvT1_
; %bb.0:
	.section	.rodata,"a",@progbits
	.p2align	6, 0x0
	.amdhsa_kernel _ZN7rocprim17ROCPRIM_400000_NS6detail17trampoline_kernelINS0_14default_configENS1_25partition_config_selectorILNS1_17partition_subalgoE6EiNS0_10empty_typeEbEEZZNS1_14partition_implILS5_6ELb0ES3_mN6thrust23THRUST_200600_302600_NS6detail15normal_iteratorINSA_10device_ptrIiEEEEPS6_SG_NS0_5tupleIJNSA_16discard_iteratorINSA_11use_defaultEEES6_EEENSH_IJSG_SG_EEES6_PlJNSB_9not_fun_tI7is_trueIiEEEEEE10hipError_tPvRmT3_T4_T5_T6_T7_T9_mT8_P12ihipStream_tbDpT10_ENKUlT_T0_E_clISt17integral_constantIbLb0EES1B_EEDaS16_S17_EUlS16_E_NS1_11comp_targetILNS1_3genE9ELNS1_11target_archE1100ELNS1_3gpuE3ELNS1_3repE0EEENS1_30default_config_static_selectorELNS0_4arch9wavefront6targetE0EEEvT1_
		.amdhsa_group_segment_fixed_size 0
		.amdhsa_private_segment_fixed_size 0
		.amdhsa_kernarg_size 120
		.amdhsa_user_sgpr_count 2
		.amdhsa_user_sgpr_dispatch_ptr 0
		.amdhsa_user_sgpr_queue_ptr 0
		.amdhsa_user_sgpr_kernarg_segment_ptr 1
		.amdhsa_user_sgpr_dispatch_id 0
		.amdhsa_user_sgpr_private_segment_size 0
		.amdhsa_wavefront_size32 1
		.amdhsa_uses_dynamic_stack 0
		.amdhsa_enable_private_segment 0
		.amdhsa_system_sgpr_workgroup_id_x 1
		.amdhsa_system_sgpr_workgroup_id_y 0
		.amdhsa_system_sgpr_workgroup_id_z 0
		.amdhsa_system_sgpr_workgroup_info 0
		.amdhsa_system_vgpr_workitem_id 0
		.amdhsa_next_free_vgpr 1
		.amdhsa_next_free_sgpr 1
		.amdhsa_reserve_vcc 0
		.amdhsa_float_round_mode_32 0
		.amdhsa_float_round_mode_16_64 0
		.amdhsa_float_denorm_mode_32 3
		.amdhsa_float_denorm_mode_16_64 3
		.amdhsa_fp16_overflow 0
		.amdhsa_workgroup_processor_mode 1
		.amdhsa_memory_ordered 1
		.amdhsa_forward_progress 1
		.amdhsa_inst_pref_size 0
		.amdhsa_round_robin_scheduling 0
		.amdhsa_exception_fp_ieee_invalid_op 0
		.amdhsa_exception_fp_denorm_src 0
		.amdhsa_exception_fp_ieee_div_zero 0
		.amdhsa_exception_fp_ieee_overflow 0
		.amdhsa_exception_fp_ieee_underflow 0
		.amdhsa_exception_fp_ieee_inexact 0
		.amdhsa_exception_int_div_zero 0
	.end_amdhsa_kernel
	.section	.text._ZN7rocprim17ROCPRIM_400000_NS6detail17trampoline_kernelINS0_14default_configENS1_25partition_config_selectorILNS1_17partition_subalgoE6EiNS0_10empty_typeEbEEZZNS1_14partition_implILS5_6ELb0ES3_mN6thrust23THRUST_200600_302600_NS6detail15normal_iteratorINSA_10device_ptrIiEEEEPS6_SG_NS0_5tupleIJNSA_16discard_iteratorINSA_11use_defaultEEES6_EEENSH_IJSG_SG_EEES6_PlJNSB_9not_fun_tI7is_trueIiEEEEEE10hipError_tPvRmT3_T4_T5_T6_T7_T9_mT8_P12ihipStream_tbDpT10_ENKUlT_T0_E_clISt17integral_constantIbLb0EES1B_EEDaS16_S17_EUlS16_E_NS1_11comp_targetILNS1_3genE9ELNS1_11target_archE1100ELNS1_3gpuE3ELNS1_3repE0EEENS1_30default_config_static_selectorELNS0_4arch9wavefront6targetE0EEEvT1_,"axG",@progbits,_ZN7rocprim17ROCPRIM_400000_NS6detail17trampoline_kernelINS0_14default_configENS1_25partition_config_selectorILNS1_17partition_subalgoE6EiNS0_10empty_typeEbEEZZNS1_14partition_implILS5_6ELb0ES3_mN6thrust23THRUST_200600_302600_NS6detail15normal_iteratorINSA_10device_ptrIiEEEEPS6_SG_NS0_5tupleIJNSA_16discard_iteratorINSA_11use_defaultEEES6_EEENSH_IJSG_SG_EEES6_PlJNSB_9not_fun_tI7is_trueIiEEEEEE10hipError_tPvRmT3_T4_T5_T6_T7_T9_mT8_P12ihipStream_tbDpT10_ENKUlT_T0_E_clISt17integral_constantIbLb0EES1B_EEDaS16_S17_EUlS16_E_NS1_11comp_targetILNS1_3genE9ELNS1_11target_archE1100ELNS1_3gpuE3ELNS1_3repE0EEENS1_30default_config_static_selectorELNS0_4arch9wavefront6targetE0EEEvT1_,comdat
.Lfunc_end2275:
	.size	_ZN7rocprim17ROCPRIM_400000_NS6detail17trampoline_kernelINS0_14default_configENS1_25partition_config_selectorILNS1_17partition_subalgoE6EiNS0_10empty_typeEbEEZZNS1_14partition_implILS5_6ELb0ES3_mN6thrust23THRUST_200600_302600_NS6detail15normal_iteratorINSA_10device_ptrIiEEEEPS6_SG_NS0_5tupleIJNSA_16discard_iteratorINSA_11use_defaultEEES6_EEENSH_IJSG_SG_EEES6_PlJNSB_9not_fun_tI7is_trueIiEEEEEE10hipError_tPvRmT3_T4_T5_T6_T7_T9_mT8_P12ihipStream_tbDpT10_ENKUlT_T0_E_clISt17integral_constantIbLb0EES1B_EEDaS16_S17_EUlS16_E_NS1_11comp_targetILNS1_3genE9ELNS1_11target_archE1100ELNS1_3gpuE3ELNS1_3repE0EEENS1_30default_config_static_selectorELNS0_4arch9wavefront6targetE0EEEvT1_, .Lfunc_end2275-_ZN7rocprim17ROCPRIM_400000_NS6detail17trampoline_kernelINS0_14default_configENS1_25partition_config_selectorILNS1_17partition_subalgoE6EiNS0_10empty_typeEbEEZZNS1_14partition_implILS5_6ELb0ES3_mN6thrust23THRUST_200600_302600_NS6detail15normal_iteratorINSA_10device_ptrIiEEEEPS6_SG_NS0_5tupleIJNSA_16discard_iteratorINSA_11use_defaultEEES6_EEENSH_IJSG_SG_EEES6_PlJNSB_9not_fun_tI7is_trueIiEEEEEE10hipError_tPvRmT3_T4_T5_T6_T7_T9_mT8_P12ihipStream_tbDpT10_ENKUlT_T0_E_clISt17integral_constantIbLb0EES1B_EEDaS16_S17_EUlS16_E_NS1_11comp_targetILNS1_3genE9ELNS1_11target_archE1100ELNS1_3gpuE3ELNS1_3repE0EEENS1_30default_config_static_selectorELNS0_4arch9wavefront6targetE0EEEvT1_
                                        ; -- End function
	.set _ZN7rocprim17ROCPRIM_400000_NS6detail17trampoline_kernelINS0_14default_configENS1_25partition_config_selectorILNS1_17partition_subalgoE6EiNS0_10empty_typeEbEEZZNS1_14partition_implILS5_6ELb0ES3_mN6thrust23THRUST_200600_302600_NS6detail15normal_iteratorINSA_10device_ptrIiEEEEPS6_SG_NS0_5tupleIJNSA_16discard_iteratorINSA_11use_defaultEEES6_EEENSH_IJSG_SG_EEES6_PlJNSB_9not_fun_tI7is_trueIiEEEEEE10hipError_tPvRmT3_T4_T5_T6_T7_T9_mT8_P12ihipStream_tbDpT10_ENKUlT_T0_E_clISt17integral_constantIbLb0EES1B_EEDaS16_S17_EUlS16_E_NS1_11comp_targetILNS1_3genE9ELNS1_11target_archE1100ELNS1_3gpuE3ELNS1_3repE0EEENS1_30default_config_static_selectorELNS0_4arch9wavefront6targetE0EEEvT1_.num_vgpr, 0
	.set _ZN7rocprim17ROCPRIM_400000_NS6detail17trampoline_kernelINS0_14default_configENS1_25partition_config_selectorILNS1_17partition_subalgoE6EiNS0_10empty_typeEbEEZZNS1_14partition_implILS5_6ELb0ES3_mN6thrust23THRUST_200600_302600_NS6detail15normal_iteratorINSA_10device_ptrIiEEEEPS6_SG_NS0_5tupleIJNSA_16discard_iteratorINSA_11use_defaultEEES6_EEENSH_IJSG_SG_EEES6_PlJNSB_9not_fun_tI7is_trueIiEEEEEE10hipError_tPvRmT3_T4_T5_T6_T7_T9_mT8_P12ihipStream_tbDpT10_ENKUlT_T0_E_clISt17integral_constantIbLb0EES1B_EEDaS16_S17_EUlS16_E_NS1_11comp_targetILNS1_3genE9ELNS1_11target_archE1100ELNS1_3gpuE3ELNS1_3repE0EEENS1_30default_config_static_selectorELNS0_4arch9wavefront6targetE0EEEvT1_.num_agpr, 0
	.set _ZN7rocprim17ROCPRIM_400000_NS6detail17trampoline_kernelINS0_14default_configENS1_25partition_config_selectorILNS1_17partition_subalgoE6EiNS0_10empty_typeEbEEZZNS1_14partition_implILS5_6ELb0ES3_mN6thrust23THRUST_200600_302600_NS6detail15normal_iteratorINSA_10device_ptrIiEEEEPS6_SG_NS0_5tupleIJNSA_16discard_iteratorINSA_11use_defaultEEES6_EEENSH_IJSG_SG_EEES6_PlJNSB_9not_fun_tI7is_trueIiEEEEEE10hipError_tPvRmT3_T4_T5_T6_T7_T9_mT8_P12ihipStream_tbDpT10_ENKUlT_T0_E_clISt17integral_constantIbLb0EES1B_EEDaS16_S17_EUlS16_E_NS1_11comp_targetILNS1_3genE9ELNS1_11target_archE1100ELNS1_3gpuE3ELNS1_3repE0EEENS1_30default_config_static_selectorELNS0_4arch9wavefront6targetE0EEEvT1_.numbered_sgpr, 0
	.set _ZN7rocprim17ROCPRIM_400000_NS6detail17trampoline_kernelINS0_14default_configENS1_25partition_config_selectorILNS1_17partition_subalgoE6EiNS0_10empty_typeEbEEZZNS1_14partition_implILS5_6ELb0ES3_mN6thrust23THRUST_200600_302600_NS6detail15normal_iteratorINSA_10device_ptrIiEEEEPS6_SG_NS0_5tupleIJNSA_16discard_iteratorINSA_11use_defaultEEES6_EEENSH_IJSG_SG_EEES6_PlJNSB_9not_fun_tI7is_trueIiEEEEEE10hipError_tPvRmT3_T4_T5_T6_T7_T9_mT8_P12ihipStream_tbDpT10_ENKUlT_T0_E_clISt17integral_constantIbLb0EES1B_EEDaS16_S17_EUlS16_E_NS1_11comp_targetILNS1_3genE9ELNS1_11target_archE1100ELNS1_3gpuE3ELNS1_3repE0EEENS1_30default_config_static_selectorELNS0_4arch9wavefront6targetE0EEEvT1_.num_named_barrier, 0
	.set _ZN7rocprim17ROCPRIM_400000_NS6detail17trampoline_kernelINS0_14default_configENS1_25partition_config_selectorILNS1_17partition_subalgoE6EiNS0_10empty_typeEbEEZZNS1_14partition_implILS5_6ELb0ES3_mN6thrust23THRUST_200600_302600_NS6detail15normal_iteratorINSA_10device_ptrIiEEEEPS6_SG_NS0_5tupleIJNSA_16discard_iteratorINSA_11use_defaultEEES6_EEENSH_IJSG_SG_EEES6_PlJNSB_9not_fun_tI7is_trueIiEEEEEE10hipError_tPvRmT3_T4_T5_T6_T7_T9_mT8_P12ihipStream_tbDpT10_ENKUlT_T0_E_clISt17integral_constantIbLb0EES1B_EEDaS16_S17_EUlS16_E_NS1_11comp_targetILNS1_3genE9ELNS1_11target_archE1100ELNS1_3gpuE3ELNS1_3repE0EEENS1_30default_config_static_selectorELNS0_4arch9wavefront6targetE0EEEvT1_.private_seg_size, 0
	.set _ZN7rocprim17ROCPRIM_400000_NS6detail17trampoline_kernelINS0_14default_configENS1_25partition_config_selectorILNS1_17partition_subalgoE6EiNS0_10empty_typeEbEEZZNS1_14partition_implILS5_6ELb0ES3_mN6thrust23THRUST_200600_302600_NS6detail15normal_iteratorINSA_10device_ptrIiEEEEPS6_SG_NS0_5tupleIJNSA_16discard_iteratorINSA_11use_defaultEEES6_EEENSH_IJSG_SG_EEES6_PlJNSB_9not_fun_tI7is_trueIiEEEEEE10hipError_tPvRmT3_T4_T5_T6_T7_T9_mT8_P12ihipStream_tbDpT10_ENKUlT_T0_E_clISt17integral_constantIbLb0EES1B_EEDaS16_S17_EUlS16_E_NS1_11comp_targetILNS1_3genE9ELNS1_11target_archE1100ELNS1_3gpuE3ELNS1_3repE0EEENS1_30default_config_static_selectorELNS0_4arch9wavefront6targetE0EEEvT1_.uses_vcc, 0
	.set _ZN7rocprim17ROCPRIM_400000_NS6detail17trampoline_kernelINS0_14default_configENS1_25partition_config_selectorILNS1_17partition_subalgoE6EiNS0_10empty_typeEbEEZZNS1_14partition_implILS5_6ELb0ES3_mN6thrust23THRUST_200600_302600_NS6detail15normal_iteratorINSA_10device_ptrIiEEEEPS6_SG_NS0_5tupleIJNSA_16discard_iteratorINSA_11use_defaultEEES6_EEENSH_IJSG_SG_EEES6_PlJNSB_9not_fun_tI7is_trueIiEEEEEE10hipError_tPvRmT3_T4_T5_T6_T7_T9_mT8_P12ihipStream_tbDpT10_ENKUlT_T0_E_clISt17integral_constantIbLb0EES1B_EEDaS16_S17_EUlS16_E_NS1_11comp_targetILNS1_3genE9ELNS1_11target_archE1100ELNS1_3gpuE3ELNS1_3repE0EEENS1_30default_config_static_selectorELNS0_4arch9wavefront6targetE0EEEvT1_.uses_flat_scratch, 0
	.set _ZN7rocprim17ROCPRIM_400000_NS6detail17trampoline_kernelINS0_14default_configENS1_25partition_config_selectorILNS1_17partition_subalgoE6EiNS0_10empty_typeEbEEZZNS1_14partition_implILS5_6ELb0ES3_mN6thrust23THRUST_200600_302600_NS6detail15normal_iteratorINSA_10device_ptrIiEEEEPS6_SG_NS0_5tupleIJNSA_16discard_iteratorINSA_11use_defaultEEES6_EEENSH_IJSG_SG_EEES6_PlJNSB_9not_fun_tI7is_trueIiEEEEEE10hipError_tPvRmT3_T4_T5_T6_T7_T9_mT8_P12ihipStream_tbDpT10_ENKUlT_T0_E_clISt17integral_constantIbLb0EES1B_EEDaS16_S17_EUlS16_E_NS1_11comp_targetILNS1_3genE9ELNS1_11target_archE1100ELNS1_3gpuE3ELNS1_3repE0EEENS1_30default_config_static_selectorELNS0_4arch9wavefront6targetE0EEEvT1_.has_dyn_sized_stack, 0
	.set _ZN7rocprim17ROCPRIM_400000_NS6detail17trampoline_kernelINS0_14default_configENS1_25partition_config_selectorILNS1_17partition_subalgoE6EiNS0_10empty_typeEbEEZZNS1_14partition_implILS5_6ELb0ES3_mN6thrust23THRUST_200600_302600_NS6detail15normal_iteratorINSA_10device_ptrIiEEEEPS6_SG_NS0_5tupleIJNSA_16discard_iteratorINSA_11use_defaultEEES6_EEENSH_IJSG_SG_EEES6_PlJNSB_9not_fun_tI7is_trueIiEEEEEE10hipError_tPvRmT3_T4_T5_T6_T7_T9_mT8_P12ihipStream_tbDpT10_ENKUlT_T0_E_clISt17integral_constantIbLb0EES1B_EEDaS16_S17_EUlS16_E_NS1_11comp_targetILNS1_3genE9ELNS1_11target_archE1100ELNS1_3gpuE3ELNS1_3repE0EEENS1_30default_config_static_selectorELNS0_4arch9wavefront6targetE0EEEvT1_.has_recursion, 0
	.set _ZN7rocprim17ROCPRIM_400000_NS6detail17trampoline_kernelINS0_14default_configENS1_25partition_config_selectorILNS1_17partition_subalgoE6EiNS0_10empty_typeEbEEZZNS1_14partition_implILS5_6ELb0ES3_mN6thrust23THRUST_200600_302600_NS6detail15normal_iteratorINSA_10device_ptrIiEEEEPS6_SG_NS0_5tupleIJNSA_16discard_iteratorINSA_11use_defaultEEES6_EEENSH_IJSG_SG_EEES6_PlJNSB_9not_fun_tI7is_trueIiEEEEEE10hipError_tPvRmT3_T4_T5_T6_T7_T9_mT8_P12ihipStream_tbDpT10_ENKUlT_T0_E_clISt17integral_constantIbLb0EES1B_EEDaS16_S17_EUlS16_E_NS1_11comp_targetILNS1_3genE9ELNS1_11target_archE1100ELNS1_3gpuE3ELNS1_3repE0EEENS1_30default_config_static_selectorELNS0_4arch9wavefront6targetE0EEEvT1_.has_indirect_call, 0
	.section	.AMDGPU.csdata,"",@progbits
; Kernel info:
; codeLenInByte = 0
; TotalNumSgprs: 0
; NumVgprs: 0
; ScratchSize: 0
; MemoryBound: 0
; FloatMode: 240
; IeeeMode: 1
; LDSByteSize: 0 bytes/workgroup (compile time only)
; SGPRBlocks: 0
; VGPRBlocks: 0
; NumSGPRsForWavesPerEU: 1
; NumVGPRsForWavesPerEU: 1
; Occupancy: 16
; WaveLimiterHint : 0
; COMPUTE_PGM_RSRC2:SCRATCH_EN: 0
; COMPUTE_PGM_RSRC2:USER_SGPR: 2
; COMPUTE_PGM_RSRC2:TRAP_HANDLER: 0
; COMPUTE_PGM_RSRC2:TGID_X_EN: 1
; COMPUTE_PGM_RSRC2:TGID_Y_EN: 0
; COMPUTE_PGM_RSRC2:TGID_Z_EN: 0
; COMPUTE_PGM_RSRC2:TIDIG_COMP_CNT: 0
	.section	.text._ZN7rocprim17ROCPRIM_400000_NS6detail17trampoline_kernelINS0_14default_configENS1_25partition_config_selectorILNS1_17partition_subalgoE6EiNS0_10empty_typeEbEEZZNS1_14partition_implILS5_6ELb0ES3_mN6thrust23THRUST_200600_302600_NS6detail15normal_iteratorINSA_10device_ptrIiEEEEPS6_SG_NS0_5tupleIJNSA_16discard_iteratorINSA_11use_defaultEEES6_EEENSH_IJSG_SG_EEES6_PlJNSB_9not_fun_tI7is_trueIiEEEEEE10hipError_tPvRmT3_T4_T5_T6_T7_T9_mT8_P12ihipStream_tbDpT10_ENKUlT_T0_E_clISt17integral_constantIbLb0EES1B_EEDaS16_S17_EUlS16_E_NS1_11comp_targetILNS1_3genE8ELNS1_11target_archE1030ELNS1_3gpuE2ELNS1_3repE0EEENS1_30default_config_static_selectorELNS0_4arch9wavefront6targetE0EEEvT1_,"axG",@progbits,_ZN7rocprim17ROCPRIM_400000_NS6detail17trampoline_kernelINS0_14default_configENS1_25partition_config_selectorILNS1_17partition_subalgoE6EiNS0_10empty_typeEbEEZZNS1_14partition_implILS5_6ELb0ES3_mN6thrust23THRUST_200600_302600_NS6detail15normal_iteratorINSA_10device_ptrIiEEEEPS6_SG_NS0_5tupleIJNSA_16discard_iteratorINSA_11use_defaultEEES6_EEENSH_IJSG_SG_EEES6_PlJNSB_9not_fun_tI7is_trueIiEEEEEE10hipError_tPvRmT3_T4_T5_T6_T7_T9_mT8_P12ihipStream_tbDpT10_ENKUlT_T0_E_clISt17integral_constantIbLb0EES1B_EEDaS16_S17_EUlS16_E_NS1_11comp_targetILNS1_3genE8ELNS1_11target_archE1030ELNS1_3gpuE2ELNS1_3repE0EEENS1_30default_config_static_selectorELNS0_4arch9wavefront6targetE0EEEvT1_,comdat
	.protected	_ZN7rocprim17ROCPRIM_400000_NS6detail17trampoline_kernelINS0_14default_configENS1_25partition_config_selectorILNS1_17partition_subalgoE6EiNS0_10empty_typeEbEEZZNS1_14partition_implILS5_6ELb0ES3_mN6thrust23THRUST_200600_302600_NS6detail15normal_iteratorINSA_10device_ptrIiEEEEPS6_SG_NS0_5tupleIJNSA_16discard_iteratorINSA_11use_defaultEEES6_EEENSH_IJSG_SG_EEES6_PlJNSB_9not_fun_tI7is_trueIiEEEEEE10hipError_tPvRmT3_T4_T5_T6_T7_T9_mT8_P12ihipStream_tbDpT10_ENKUlT_T0_E_clISt17integral_constantIbLb0EES1B_EEDaS16_S17_EUlS16_E_NS1_11comp_targetILNS1_3genE8ELNS1_11target_archE1030ELNS1_3gpuE2ELNS1_3repE0EEENS1_30default_config_static_selectorELNS0_4arch9wavefront6targetE0EEEvT1_ ; -- Begin function _ZN7rocprim17ROCPRIM_400000_NS6detail17trampoline_kernelINS0_14default_configENS1_25partition_config_selectorILNS1_17partition_subalgoE6EiNS0_10empty_typeEbEEZZNS1_14partition_implILS5_6ELb0ES3_mN6thrust23THRUST_200600_302600_NS6detail15normal_iteratorINSA_10device_ptrIiEEEEPS6_SG_NS0_5tupleIJNSA_16discard_iteratorINSA_11use_defaultEEES6_EEENSH_IJSG_SG_EEES6_PlJNSB_9not_fun_tI7is_trueIiEEEEEE10hipError_tPvRmT3_T4_T5_T6_T7_T9_mT8_P12ihipStream_tbDpT10_ENKUlT_T0_E_clISt17integral_constantIbLb0EES1B_EEDaS16_S17_EUlS16_E_NS1_11comp_targetILNS1_3genE8ELNS1_11target_archE1030ELNS1_3gpuE2ELNS1_3repE0EEENS1_30default_config_static_selectorELNS0_4arch9wavefront6targetE0EEEvT1_
	.globl	_ZN7rocprim17ROCPRIM_400000_NS6detail17trampoline_kernelINS0_14default_configENS1_25partition_config_selectorILNS1_17partition_subalgoE6EiNS0_10empty_typeEbEEZZNS1_14partition_implILS5_6ELb0ES3_mN6thrust23THRUST_200600_302600_NS6detail15normal_iteratorINSA_10device_ptrIiEEEEPS6_SG_NS0_5tupleIJNSA_16discard_iteratorINSA_11use_defaultEEES6_EEENSH_IJSG_SG_EEES6_PlJNSB_9not_fun_tI7is_trueIiEEEEEE10hipError_tPvRmT3_T4_T5_T6_T7_T9_mT8_P12ihipStream_tbDpT10_ENKUlT_T0_E_clISt17integral_constantIbLb0EES1B_EEDaS16_S17_EUlS16_E_NS1_11comp_targetILNS1_3genE8ELNS1_11target_archE1030ELNS1_3gpuE2ELNS1_3repE0EEENS1_30default_config_static_selectorELNS0_4arch9wavefront6targetE0EEEvT1_
	.p2align	8
	.type	_ZN7rocprim17ROCPRIM_400000_NS6detail17trampoline_kernelINS0_14default_configENS1_25partition_config_selectorILNS1_17partition_subalgoE6EiNS0_10empty_typeEbEEZZNS1_14partition_implILS5_6ELb0ES3_mN6thrust23THRUST_200600_302600_NS6detail15normal_iteratorINSA_10device_ptrIiEEEEPS6_SG_NS0_5tupleIJNSA_16discard_iteratorINSA_11use_defaultEEES6_EEENSH_IJSG_SG_EEES6_PlJNSB_9not_fun_tI7is_trueIiEEEEEE10hipError_tPvRmT3_T4_T5_T6_T7_T9_mT8_P12ihipStream_tbDpT10_ENKUlT_T0_E_clISt17integral_constantIbLb0EES1B_EEDaS16_S17_EUlS16_E_NS1_11comp_targetILNS1_3genE8ELNS1_11target_archE1030ELNS1_3gpuE2ELNS1_3repE0EEENS1_30default_config_static_selectorELNS0_4arch9wavefront6targetE0EEEvT1_,@function
_ZN7rocprim17ROCPRIM_400000_NS6detail17trampoline_kernelINS0_14default_configENS1_25partition_config_selectorILNS1_17partition_subalgoE6EiNS0_10empty_typeEbEEZZNS1_14partition_implILS5_6ELb0ES3_mN6thrust23THRUST_200600_302600_NS6detail15normal_iteratorINSA_10device_ptrIiEEEEPS6_SG_NS0_5tupleIJNSA_16discard_iteratorINSA_11use_defaultEEES6_EEENSH_IJSG_SG_EEES6_PlJNSB_9not_fun_tI7is_trueIiEEEEEE10hipError_tPvRmT3_T4_T5_T6_T7_T9_mT8_P12ihipStream_tbDpT10_ENKUlT_T0_E_clISt17integral_constantIbLb0EES1B_EEDaS16_S17_EUlS16_E_NS1_11comp_targetILNS1_3genE8ELNS1_11target_archE1030ELNS1_3gpuE2ELNS1_3repE0EEENS1_30default_config_static_selectorELNS0_4arch9wavefront6targetE0EEEvT1_: ; @_ZN7rocprim17ROCPRIM_400000_NS6detail17trampoline_kernelINS0_14default_configENS1_25partition_config_selectorILNS1_17partition_subalgoE6EiNS0_10empty_typeEbEEZZNS1_14partition_implILS5_6ELb0ES3_mN6thrust23THRUST_200600_302600_NS6detail15normal_iteratorINSA_10device_ptrIiEEEEPS6_SG_NS0_5tupleIJNSA_16discard_iteratorINSA_11use_defaultEEES6_EEENSH_IJSG_SG_EEES6_PlJNSB_9not_fun_tI7is_trueIiEEEEEE10hipError_tPvRmT3_T4_T5_T6_T7_T9_mT8_P12ihipStream_tbDpT10_ENKUlT_T0_E_clISt17integral_constantIbLb0EES1B_EEDaS16_S17_EUlS16_E_NS1_11comp_targetILNS1_3genE8ELNS1_11target_archE1030ELNS1_3gpuE2ELNS1_3repE0EEENS1_30default_config_static_selectorELNS0_4arch9wavefront6targetE0EEEvT1_
; %bb.0:
	.section	.rodata,"a",@progbits
	.p2align	6, 0x0
	.amdhsa_kernel _ZN7rocprim17ROCPRIM_400000_NS6detail17trampoline_kernelINS0_14default_configENS1_25partition_config_selectorILNS1_17partition_subalgoE6EiNS0_10empty_typeEbEEZZNS1_14partition_implILS5_6ELb0ES3_mN6thrust23THRUST_200600_302600_NS6detail15normal_iteratorINSA_10device_ptrIiEEEEPS6_SG_NS0_5tupleIJNSA_16discard_iteratorINSA_11use_defaultEEES6_EEENSH_IJSG_SG_EEES6_PlJNSB_9not_fun_tI7is_trueIiEEEEEE10hipError_tPvRmT3_T4_T5_T6_T7_T9_mT8_P12ihipStream_tbDpT10_ENKUlT_T0_E_clISt17integral_constantIbLb0EES1B_EEDaS16_S17_EUlS16_E_NS1_11comp_targetILNS1_3genE8ELNS1_11target_archE1030ELNS1_3gpuE2ELNS1_3repE0EEENS1_30default_config_static_selectorELNS0_4arch9wavefront6targetE0EEEvT1_
		.amdhsa_group_segment_fixed_size 0
		.amdhsa_private_segment_fixed_size 0
		.amdhsa_kernarg_size 120
		.amdhsa_user_sgpr_count 2
		.amdhsa_user_sgpr_dispatch_ptr 0
		.amdhsa_user_sgpr_queue_ptr 0
		.amdhsa_user_sgpr_kernarg_segment_ptr 1
		.amdhsa_user_sgpr_dispatch_id 0
		.amdhsa_user_sgpr_private_segment_size 0
		.amdhsa_wavefront_size32 1
		.amdhsa_uses_dynamic_stack 0
		.amdhsa_enable_private_segment 0
		.amdhsa_system_sgpr_workgroup_id_x 1
		.amdhsa_system_sgpr_workgroup_id_y 0
		.amdhsa_system_sgpr_workgroup_id_z 0
		.amdhsa_system_sgpr_workgroup_info 0
		.amdhsa_system_vgpr_workitem_id 0
		.amdhsa_next_free_vgpr 1
		.amdhsa_next_free_sgpr 1
		.amdhsa_reserve_vcc 0
		.amdhsa_float_round_mode_32 0
		.amdhsa_float_round_mode_16_64 0
		.amdhsa_float_denorm_mode_32 3
		.amdhsa_float_denorm_mode_16_64 3
		.amdhsa_fp16_overflow 0
		.amdhsa_workgroup_processor_mode 1
		.amdhsa_memory_ordered 1
		.amdhsa_forward_progress 1
		.amdhsa_inst_pref_size 0
		.amdhsa_round_robin_scheduling 0
		.amdhsa_exception_fp_ieee_invalid_op 0
		.amdhsa_exception_fp_denorm_src 0
		.amdhsa_exception_fp_ieee_div_zero 0
		.amdhsa_exception_fp_ieee_overflow 0
		.amdhsa_exception_fp_ieee_underflow 0
		.amdhsa_exception_fp_ieee_inexact 0
		.amdhsa_exception_int_div_zero 0
	.end_amdhsa_kernel
	.section	.text._ZN7rocprim17ROCPRIM_400000_NS6detail17trampoline_kernelINS0_14default_configENS1_25partition_config_selectorILNS1_17partition_subalgoE6EiNS0_10empty_typeEbEEZZNS1_14partition_implILS5_6ELb0ES3_mN6thrust23THRUST_200600_302600_NS6detail15normal_iteratorINSA_10device_ptrIiEEEEPS6_SG_NS0_5tupleIJNSA_16discard_iteratorINSA_11use_defaultEEES6_EEENSH_IJSG_SG_EEES6_PlJNSB_9not_fun_tI7is_trueIiEEEEEE10hipError_tPvRmT3_T4_T5_T6_T7_T9_mT8_P12ihipStream_tbDpT10_ENKUlT_T0_E_clISt17integral_constantIbLb0EES1B_EEDaS16_S17_EUlS16_E_NS1_11comp_targetILNS1_3genE8ELNS1_11target_archE1030ELNS1_3gpuE2ELNS1_3repE0EEENS1_30default_config_static_selectorELNS0_4arch9wavefront6targetE0EEEvT1_,"axG",@progbits,_ZN7rocprim17ROCPRIM_400000_NS6detail17trampoline_kernelINS0_14default_configENS1_25partition_config_selectorILNS1_17partition_subalgoE6EiNS0_10empty_typeEbEEZZNS1_14partition_implILS5_6ELb0ES3_mN6thrust23THRUST_200600_302600_NS6detail15normal_iteratorINSA_10device_ptrIiEEEEPS6_SG_NS0_5tupleIJNSA_16discard_iteratorINSA_11use_defaultEEES6_EEENSH_IJSG_SG_EEES6_PlJNSB_9not_fun_tI7is_trueIiEEEEEE10hipError_tPvRmT3_T4_T5_T6_T7_T9_mT8_P12ihipStream_tbDpT10_ENKUlT_T0_E_clISt17integral_constantIbLb0EES1B_EEDaS16_S17_EUlS16_E_NS1_11comp_targetILNS1_3genE8ELNS1_11target_archE1030ELNS1_3gpuE2ELNS1_3repE0EEENS1_30default_config_static_selectorELNS0_4arch9wavefront6targetE0EEEvT1_,comdat
.Lfunc_end2276:
	.size	_ZN7rocprim17ROCPRIM_400000_NS6detail17trampoline_kernelINS0_14default_configENS1_25partition_config_selectorILNS1_17partition_subalgoE6EiNS0_10empty_typeEbEEZZNS1_14partition_implILS5_6ELb0ES3_mN6thrust23THRUST_200600_302600_NS6detail15normal_iteratorINSA_10device_ptrIiEEEEPS6_SG_NS0_5tupleIJNSA_16discard_iteratorINSA_11use_defaultEEES6_EEENSH_IJSG_SG_EEES6_PlJNSB_9not_fun_tI7is_trueIiEEEEEE10hipError_tPvRmT3_T4_T5_T6_T7_T9_mT8_P12ihipStream_tbDpT10_ENKUlT_T0_E_clISt17integral_constantIbLb0EES1B_EEDaS16_S17_EUlS16_E_NS1_11comp_targetILNS1_3genE8ELNS1_11target_archE1030ELNS1_3gpuE2ELNS1_3repE0EEENS1_30default_config_static_selectorELNS0_4arch9wavefront6targetE0EEEvT1_, .Lfunc_end2276-_ZN7rocprim17ROCPRIM_400000_NS6detail17trampoline_kernelINS0_14default_configENS1_25partition_config_selectorILNS1_17partition_subalgoE6EiNS0_10empty_typeEbEEZZNS1_14partition_implILS5_6ELb0ES3_mN6thrust23THRUST_200600_302600_NS6detail15normal_iteratorINSA_10device_ptrIiEEEEPS6_SG_NS0_5tupleIJNSA_16discard_iteratorINSA_11use_defaultEEES6_EEENSH_IJSG_SG_EEES6_PlJNSB_9not_fun_tI7is_trueIiEEEEEE10hipError_tPvRmT3_T4_T5_T6_T7_T9_mT8_P12ihipStream_tbDpT10_ENKUlT_T0_E_clISt17integral_constantIbLb0EES1B_EEDaS16_S17_EUlS16_E_NS1_11comp_targetILNS1_3genE8ELNS1_11target_archE1030ELNS1_3gpuE2ELNS1_3repE0EEENS1_30default_config_static_selectorELNS0_4arch9wavefront6targetE0EEEvT1_
                                        ; -- End function
	.set _ZN7rocprim17ROCPRIM_400000_NS6detail17trampoline_kernelINS0_14default_configENS1_25partition_config_selectorILNS1_17partition_subalgoE6EiNS0_10empty_typeEbEEZZNS1_14partition_implILS5_6ELb0ES3_mN6thrust23THRUST_200600_302600_NS6detail15normal_iteratorINSA_10device_ptrIiEEEEPS6_SG_NS0_5tupleIJNSA_16discard_iteratorINSA_11use_defaultEEES6_EEENSH_IJSG_SG_EEES6_PlJNSB_9not_fun_tI7is_trueIiEEEEEE10hipError_tPvRmT3_T4_T5_T6_T7_T9_mT8_P12ihipStream_tbDpT10_ENKUlT_T0_E_clISt17integral_constantIbLb0EES1B_EEDaS16_S17_EUlS16_E_NS1_11comp_targetILNS1_3genE8ELNS1_11target_archE1030ELNS1_3gpuE2ELNS1_3repE0EEENS1_30default_config_static_selectorELNS0_4arch9wavefront6targetE0EEEvT1_.num_vgpr, 0
	.set _ZN7rocprim17ROCPRIM_400000_NS6detail17trampoline_kernelINS0_14default_configENS1_25partition_config_selectorILNS1_17partition_subalgoE6EiNS0_10empty_typeEbEEZZNS1_14partition_implILS5_6ELb0ES3_mN6thrust23THRUST_200600_302600_NS6detail15normal_iteratorINSA_10device_ptrIiEEEEPS6_SG_NS0_5tupleIJNSA_16discard_iteratorINSA_11use_defaultEEES6_EEENSH_IJSG_SG_EEES6_PlJNSB_9not_fun_tI7is_trueIiEEEEEE10hipError_tPvRmT3_T4_T5_T6_T7_T9_mT8_P12ihipStream_tbDpT10_ENKUlT_T0_E_clISt17integral_constantIbLb0EES1B_EEDaS16_S17_EUlS16_E_NS1_11comp_targetILNS1_3genE8ELNS1_11target_archE1030ELNS1_3gpuE2ELNS1_3repE0EEENS1_30default_config_static_selectorELNS0_4arch9wavefront6targetE0EEEvT1_.num_agpr, 0
	.set _ZN7rocprim17ROCPRIM_400000_NS6detail17trampoline_kernelINS0_14default_configENS1_25partition_config_selectorILNS1_17partition_subalgoE6EiNS0_10empty_typeEbEEZZNS1_14partition_implILS5_6ELb0ES3_mN6thrust23THRUST_200600_302600_NS6detail15normal_iteratorINSA_10device_ptrIiEEEEPS6_SG_NS0_5tupleIJNSA_16discard_iteratorINSA_11use_defaultEEES6_EEENSH_IJSG_SG_EEES6_PlJNSB_9not_fun_tI7is_trueIiEEEEEE10hipError_tPvRmT3_T4_T5_T6_T7_T9_mT8_P12ihipStream_tbDpT10_ENKUlT_T0_E_clISt17integral_constantIbLb0EES1B_EEDaS16_S17_EUlS16_E_NS1_11comp_targetILNS1_3genE8ELNS1_11target_archE1030ELNS1_3gpuE2ELNS1_3repE0EEENS1_30default_config_static_selectorELNS0_4arch9wavefront6targetE0EEEvT1_.numbered_sgpr, 0
	.set _ZN7rocprim17ROCPRIM_400000_NS6detail17trampoline_kernelINS0_14default_configENS1_25partition_config_selectorILNS1_17partition_subalgoE6EiNS0_10empty_typeEbEEZZNS1_14partition_implILS5_6ELb0ES3_mN6thrust23THRUST_200600_302600_NS6detail15normal_iteratorINSA_10device_ptrIiEEEEPS6_SG_NS0_5tupleIJNSA_16discard_iteratorINSA_11use_defaultEEES6_EEENSH_IJSG_SG_EEES6_PlJNSB_9not_fun_tI7is_trueIiEEEEEE10hipError_tPvRmT3_T4_T5_T6_T7_T9_mT8_P12ihipStream_tbDpT10_ENKUlT_T0_E_clISt17integral_constantIbLb0EES1B_EEDaS16_S17_EUlS16_E_NS1_11comp_targetILNS1_3genE8ELNS1_11target_archE1030ELNS1_3gpuE2ELNS1_3repE0EEENS1_30default_config_static_selectorELNS0_4arch9wavefront6targetE0EEEvT1_.num_named_barrier, 0
	.set _ZN7rocprim17ROCPRIM_400000_NS6detail17trampoline_kernelINS0_14default_configENS1_25partition_config_selectorILNS1_17partition_subalgoE6EiNS0_10empty_typeEbEEZZNS1_14partition_implILS5_6ELb0ES3_mN6thrust23THRUST_200600_302600_NS6detail15normal_iteratorINSA_10device_ptrIiEEEEPS6_SG_NS0_5tupleIJNSA_16discard_iteratorINSA_11use_defaultEEES6_EEENSH_IJSG_SG_EEES6_PlJNSB_9not_fun_tI7is_trueIiEEEEEE10hipError_tPvRmT3_T4_T5_T6_T7_T9_mT8_P12ihipStream_tbDpT10_ENKUlT_T0_E_clISt17integral_constantIbLb0EES1B_EEDaS16_S17_EUlS16_E_NS1_11comp_targetILNS1_3genE8ELNS1_11target_archE1030ELNS1_3gpuE2ELNS1_3repE0EEENS1_30default_config_static_selectorELNS0_4arch9wavefront6targetE0EEEvT1_.private_seg_size, 0
	.set _ZN7rocprim17ROCPRIM_400000_NS6detail17trampoline_kernelINS0_14default_configENS1_25partition_config_selectorILNS1_17partition_subalgoE6EiNS0_10empty_typeEbEEZZNS1_14partition_implILS5_6ELb0ES3_mN6thrust23THRUST_200600_302600_NS6detail15normal_iteratorINSA_10device_ptrIiEEEEPS6_SG_NS0_5tupleIJNSA_16discard_iteratorINSA_11use_defaultEEES6_EEENSH_IJSG_SG_EEES6_PlJNSB_9not_fun_tI7is_trueIiEEEEEE10hipError_tPvRmT3_T4_T5_T6_T7_T9_mT8_P12ihipStream_tbDpT10_ENKUlT_T0_E_clISt17integral_constantIbLb0EES1B_EEDaS16_S17_EUlS16_E_NS1_11comp_targetILNS1_3genE8ELNS1_11target_archE1030ELNS1_3gpuE2ELNS1_3repE0EEENS1_30default_config_static_selectorELNS0_4arch9wavefront6targetE0EEEvT1_.uses_vcc, 0
	.set _ZN7rocprim17ROCPRIM_400000_NS6detail17trampoline_kernelINS0_14default_configENS1_25partition_config_selectorILNS1_17partition_subalgoE6EiNS0_10empty_typeEbEEZZNS1_14partition_implILS5_6ELb0ES3_mN6thrust23THRUST_200600_302600_NS6detail15normal_iteratorINSA_10device_ptrIiEEEEPS6_SG_NS0_5tupleIJNSA_16discard_iteratorINSA_11use_defaultEEES6_EEENSH_IJSG_SG_EEES6_PlJNSB_9not_fun_tI7is_trueIiEEEEEE10hipError_tPvRmT3_T4_T5_T6_T7_T9_mT8_P12ihipStream_tbDpT10_ENKUlT_T0_E_clISt17integral_constantIbLb0EES1B_EEDaS16_S17_EUlS16_E_NS1_11comp_targetILNS1_3genE8ELNS1_11target_archE1030ELNS1_3gpuE2ELNS1_3repE0EEENS1_30default_config_static_selectorELNS0_4arch9wavefront6targetE0EEEvT1_.uses_flat_scratch, 0
	.set _ZN7rocprim17ROCPRIM_400000_NS6detail17trampoline_kernelINS0_14default_configENS1_25partition_config_selectorILNS1_17partition_subalgoE6EiNS0_10empty_typeEbEEZZNS1_14partition_implILS5_6ELb0ES3_mN6thrust23THRUST_200600_302600_NS6detail15normal_iteratorINSA_10device_ptrIiEEEEPS6_SG_NS0_5tupleIJNSA_16discard_iteratorINSA_11use_defaultEEES6_EEENSH_IJSG_SG_EEES6_PlJNSB_9not_fun_tI7is_trueIiEEEEEE10hipError_tPvRmT3_T4_T5_T6_T7_T9_mT8_P12ihipStream_tbDpT10_ENKUlT_T0_E_clISt17integral_constantIbLb0EES1B_EEDaS16_S17_EUlS16_E_NS1_11comp_targetILNS1_3genE8ELNS1_11target_archE1030ELNS1_3gpuE2ELNS1_3repE0EEENS1_30default_config_static_selectorELNS0_4arch9wavefront6targetE0EEEvT1_.has_dyn_sized_stack, 0
	.set _ZN7rocprim17ROCPRIM_400000_NS6detail17trampoline_kernelINS0_14default_configENS1_25partition_config_selectorILNS1_17partition_subalgoE6EiNS0_10empty_typeEbEEZZNS1_14partition_implILS5_6ELb0ES3_mN6thrust23THRUST_200600_302600_NS6detail15normal_iteratorINSA_10device_ptrIiEEEEPS6_SG_NS0_5tupleIJNSA_16discard_iteratorINSA_11use_defaultEEES6_EEENSH_IJSG_SG_EEES6_PlJNSB_9not_fun_tI7is_trueIiEEEEEE10hipError_tPvRmT3_T4_T5_T6_T7_T9_mT8_P12ihipStream_tbDpT10_ENKUlT_T0_E_clISt17integral_constantIbLb0EES1B_EEDaS16_S17_EUlS16_E_NS1_11comp_targetILNS1_3genE8ELNS1_11target_archE1030ELNS1_3gpuE2ELNS1_3repE0EEENS1_30default_config_static_selectorELNS0_4arch9wavefront6targetE0EEEvT1_.has_recursion, 0
	.set _ZN7rocprim17ROCPRIM_400000_NS6detail17trampoline_kernelINS0_14default_configENS1_25partition_config_selectorILNS1_17partition_subalgoE6EiNS0_10empty_typeEbEEZZNS1_14partition_implILS5_6ELb0ES3_mN6thrust23THRUST_200600_302600_NS6detail15normal_iteratorINSA_10device_ptrIiEEEEPS6_SG_NS0_5tupleIJNSA_16discard_iteratorINSA_11use_defaultEEES6_EEENSH_IJSG_SG_EEES6_PlJNSB_9not_fun_tI7is_trueIiEEEEEE10hipError_tPvRmT3_T4_T5_T6_T7_T9_mT8_P12ihipStream_tbDpT10_ENKUlT_T0_E_clISt17integral_constantIbLb0EES1B_EEDaS16_S17_EUlS16_E_NS1_11comp_targetILNS1_3genE8ELNS1_11target_archE1030ELNS1_3gpuE2ELNS1_3repE0EEENS1_30default_config_static_selectorELNS0_4arch9wavefront6targetE0EEEvT1_.has_indirect_call, 0
	.section	.AMDGPU.csdata,"",@progbits
; Kernel info:
; codeLenInByte = 0
; TotalNumSgprs: 0
; NumVgprs: 0
; ScratchSize: 0
; MemoryBound: 0
; FloatMode: 240
; IeeeMode: 1
; LDSByteSize: 0 bytes/workgroup (compile time only)
; SGPRBlocks: 0
; VGPRBlocks: 0
; NumSGPRsForWavesPerEU: 1
; NumVGPRsForWavesPerEU: 1
; Occupancy: 16
; WaveLimiterHint : 0
; COMPUTE_PGM_RSRC2:SCRATCH_EN: 0
; COMPUTE_PGM_RSRC2:USER_SGPR: 2
; COMPUTE_PGM_RSRC2:TRAP_HANDLER: 0
; COMPUTE_PGM_RSRC2:TGID_X_EN: 1
; COMPUTE_PGM_RSRC2:TGID_Y_EN: 0
; COMPUTE_PGM_RSRC2:TGID_Z_EN: 0
; COMPUTE_PGM_RSRC2:TIDIG_COMP_CNT: 0
	.section	.text._ZN7rocprim17ROCPRIM_400000_NS6detail17trampoline_kernelINS0_14default_configENS1_25partition_config_selectorILNS1_17partition_subalgoE6EiNS0_10empty_typeEbEEZZNS1_14partition_implILS5_6ELb0ES3_mN6thrust23THRUST_200600_302600_NS6detail15normal_iteratorINSA_10device_ptrIiEEEEPS6_SG_NS0_5tupleIJNSA_16discard_iteratorINSA_11use_defaultEEES6_EEENSH_IJSG_SG_EEES6_PlJNSB_9not_fun_tI7is_trueIiEEEEEE10hipError_tPvRmT3_T4_T5_T6_T7_T9_mT8_P12ihipStream_tbDpT10_ENKUlT_T0_E_clISt17integral_constantIbLb1EES1B_EEDaS16_S17_EUlS16_E_NS1_11comp_targetILNS1_3genE0ELNS1_11target_archE4294967295ELNS1_3gpuE0ELNS1_3repE0EEENS1_30default_config_static_selectorELNS0_4arch9wavefront6targetE0EEEvT1_,"axG",@progbits,_ZN7rocprim17ROCPRIM_400000_NS6detail17trampoline_kernelINS0_14default_configENS1_25partition_config_selectorILNS1_17partition_subalgoE6EiNS0_10empty_typeEbEEZZNS1_14partition_implILS5_6ELb0ES3_mN6thrust23THRUST_200600_302600_NS6detail15normal_iteratorINSA_10device_ptrIiEEEEPS6_SG_NS0_5tupleIJNSA_16discard_iteratorINSA_11use_defaultEEES6_EEENSH_IJSG_SG_EEES6_PlJNSB_9not_fun_tI7is_trueIiEEEEEE10hipError_tPvRmT3_T4_T5_T6_T7_T9_mT8_P12ihipStream_tbDpT10_ENKUlT_T0_E_clISt17integral_constantIbLb1EES1B_EEDaS16_S17_EUlS16_E_NS1_11comp_targetILNS1_3genE0ELNS1_11target_archE4294967295ELNS1_3gpuE0ELNS1_3repE0EEENS1_30default_config_static_selectorELNS0_4arch9wavefront6targetE0EEEvT1_,comdat
	.protected	_ZN7rocprim17ROCPRIM_400000_NS6detail17trampoline_kernelINS0_14default_configENS1_25partition_config_selectorILNS1_17partition_subalgoE6EiNS0_10empty_typeEbEEZZNS1_14partition_implILS5_6ELb0ES3_mN6thrust23THRUST_200600_302600_NS6detail15normal_iteratorINSA_10device_ptrIiEEEEPS6_SG_NS0_5tupleIJNSA_16discard_iteratorINSA_11use_defaultEEES6_EEENSH_IJSG_SG_EEES6_PlJNSB_9not_fun_tI7is_trueIiEEEEEE10hipError_tPvRmT3_T4_T5_T6_T7_T9_mT8_P12ihipStream_tbDpT10_ENKUlT_T0_E_clISt17integral_constantIbLb1EES1B_EEDaS16_S17_EUlS16_E_NS1_11comp_targetILNS1_3genE0ELNS1_11target_archE4294967295ELNS1_3gpuE0ELNS1_3repE0EEENS1_30default_config_static_selectorELNS0_4arch9wavefront6targetE0EEEvT1_ ; -- Begin function _ZN7rocprim17ROCPRIM_400000_NS6detail17trampoline_kernelINS0_14default_configENS1_25partition_config_selectorILNS1_17partition_subalgoE6EiNS0_10empty_typeEbEEZZNS1_14partition_implILS5_6ELb0ES3_mN6thrust23THRUST_200600_302600_NS6detail15normal_iteratorINSA_10device_ptrIiEEEEPS6_SG_NS0_5tupleIJNSA_16discard_iteratorINSA_11use_defaultEEES6_EEENSH_IJSG_SG_EEES6_PlJNSB_9not_fun_tI7is_trueIiEEEEEE10hipError_tPvRmT3_T4_T5_T6_T7_T9_mT8_P12ihipStream_tbDpT10_ENKUlT_T0_E_clISt17integral_constantIbLb1EES1B_EEDaS16_S17_EUlS16_E_NS1_11comp_targetILNS1_3genE0ELNS1_11target_archE4294967295ELNS1_3gpuE0ELNS1_3repE0EEENS1_30default_config_static_selectorELNS0_4arch9wavefront6targetE0EEEvT1_
	.globl	_ZN7rocprim17ROCPRIM_400000_NS6detail17trampoline_kernelINS0_14default_configENS1_25partition_config_selectorILNS1_17partition_subalgoE6EiNS0_10empty_typeEbEEZZNS1_14partition_implILS5_6ELb0ES3_mN6thrust23THRUST_200600_302600_NS6detail15normal_iteratorINSA_10device_ptrIiEEEEPS6_SG_NS0_5tupleIJNSA_16discard_iteratorINSA_11use_defaultEEES6_EEENSH_IJSG_SG_EEES6_PlJNSB_9not_fun_tI7is_trueIiEEEEEE10hipError_tPvRmT3_T4_T5_T6_T7_T9_mT8_P12ihipStream_tbDpT10_ENKUlT_T0_E_clISt17integral_constantIbLb1EES1B_EEDaS16_S17_EUlS16_E_NS1_11comp_targetILNS1_3genE0ELNS1_11target_archE4294967295ELNS1_3gpuE0ELNS1_3repE0EEENS1_30default_config_static_selectorELNS0_4arch9wavefront6targetE0EEEvT1_
	.p2align	8
	.type	_ZN7rocprim17ROCPRIM_400000_NS6detail17trampoline_kernelINS0_14default_configENS1_25partition_config_selectorILNS1_17partition_subalgoE6EiNS0_10empty_typeEbEEZZNS1_14partition_implILS5_6ELb0ES3_mN6thrust23THRUST_200600_302600_NS6detail15normal_iteratorINSA_10device_ptrIiEEEEPS6_SG_NS0_5tupleIJNSA_16discard_iteratorINSA_11use_defaultEEES6_EEENSH_IJSG_SG_EEES6_PlJNSB_9not_fun_tI7is_trueIiEEEEEE10hipError_tPvRmT3_T4_T5_T6_T7_T9_mT8_P12ihipStream_tbDpT10_ENKUlT_T0_E_clISt17integral_constantIbLb1EES1B_EEDaS16_S17_EUlS16_E_NS1_11comp_targetILNS1_3genE0ELNS1_11target_archE4294967295ELNS1_3gpuE0ELNS1_3repE0EEENS1_30default_config_static_selectorELNS0_4arch9wavefront6targetE0EEEvT1_,@function
_ZN7rocprim17ROCPRIM_400000_NS6detail17trampoline_kernelINS0_14default_configENS1_25partition_config_selectorILNS1_17partition_subalgoE6EiNS0_10empty_typeEbEEZZNS1_14partition_implILS5_6ELb0ES3_mN6thrust23THRUST_200600_302600_NS6detail15normal_iteratorINSA_10device_ptrIiEEEEPS6_SG_NS0_5tupleIJNSA_16discard_iteratorINSA_11use_defaultEEES6_EEENSH_IJSG_SG_EEES6_PlJNSB_9not_fun_tI7is_trueIiEEEEEE10hipError_tPvRmT3_T4_T5_T6_T7_T9_mT8_P12ihipStream_tbDpT10_ENKUlT_T0_E_clISt17integral_constantIbLb1EES1B_EEDaS16_S17_EUlS16_E_NS1_11comp_targetILNS1_3genE0ELNS1_11target_archE4294967295ELNS1_3gpuE0ELNS1_3repE0EEENS1_30default_config_static_selectorELNS0_4arch9wavefront6targetE0EEEvT1_: ; @_ZN7rocprim17ROCPRIM_400000_NS6detail17trampoline_kernelINS0_14default_configENS1_25partition_config_selectorILNS1_17partition_subalgoE6EiNS0_10empty_typeEbEEZZNS1_14partition_implILS5_6ELb0ES3_mN6thrust23THRUST_200600_302600_NS6detail15normal_iteratorINSA_10device_ptrIiEEEEPS6_SG_NS0_5tupleIJNSA_16discard_iteratorINSA_11use_defaultEEES6_EEENSH_IJSG_SG_EEES6_PlJNSB_9not_fun_tI7is_trueIiEEEEEE10hipError_tPvRmT3_T4_T5_T6_T7_T9_mT8_P12ihipStream_tbDpT10_ENKUlT_T0_E_clISt17integral_constantIbLb1EES1B_EEDaS16_S17_EUlS16_E_NS1_11comp_targetILNS1_3genE0ELNS1_11target_archE4294967295ELNS1_3gpuE0ELNS1_3repE0EEENS1_30default_config_static_selectorELNS0_4arch9wavefront6targetE0EEEvT1_
; %bb.0:
	.section	.rodata,"a",@progbits
	.p2align	6, 0x0
	.amdhsa_kernel _ZN7rocprim17ROCPRIM_400000_NS6detail17trampoline_kernelINS0_14default_configENS1_25partition_config_selectorILNS1_17partition_subalgoE6EiNS0_10empty_typeEbEEZZNS1_14partition_implILS5_6ELb0ES3_mN6thrust23THRUST_200600_302600_NS6detail15normal_iteratorINSA_10device_ptrIiEEEEPS6_SG_NS0_5tupleIJNSA_16discard_iteratorINSA_11use_defaultEEES6_EEENSH_IJSG_SG_EEES6_PlJNSB_9not_fun_tI7is_trueIiEEEEEE10hipError_tPvRmT3_T4_T5_T6_T7_T9_mT8_P12ihipStream_tbDpT10_ENKUlT_T0_E_clISt17integral_constantIbLb1EES1B_EEDaS16_S17_EUlS16_E_NS1_11comp_targetILNS1_3genE0ELNS1_11target_archE4294967295ELNS1_3gpuE0ELNS1_3repE0EEENS1_30default_config_static_selectorELNS0_4arch9wavefront6targetE0EEEvT1_
		.amdhsa_group_segment_fixed_size 0
		.amdhsa_private_segment_fixed_size 0
		.amdhsa_kernarg_size 136
		.amdhsa_user_sgpr_count 2
		.amdhsa_user_sgpr_dispatch_ptr 0
		.amdhsa_user_sgpr_queue_ptr 0
		.amdhsa_user_sgpr_kernarg_segment_ptr 1
		.amdhsa_user_sgpr_dispatch_id 0
		.amdhsa_user_sgpr_private_segment_size 0
		.amdhsa_wavefront_size32 1
		.amdhsa_uses_dynamic_stack 0
		.amdhsa_enable_private_segment 0
		.amdhsa_system_sgpr_workgroup_id_x 1
		.amdhsa_system_sgpr_workgroup_id_y 0
		.amdhsa_system_sgpr_workgroup_id_z 0
		.amdhsa_system_sgpr_workgroup_info 0
		.amdhsa_system_vgpr_workitem_id 0
		.amdhsa_next_free_vgpr 1
		.amdhsa_next_free_sgpr 1
		.amdhsa_reserve_vcc 0
		.amdhsa_float_round_mode_32 0
		.amdhsa_float_round_mode_16_64 0
		.amdhsa_float_denorm_mode_32 3
		.amdhsa_float_denorm_mode_16_64 3
		.amdhsa_fp16_overflow 0
		.amdhsa_workgroup_processor_mode 1
		.amdhsa_memory_ordered 1
		.amdhsa_forward_progress 1
		.amdhsa_inst_pref_size 0
		.amdhsa_round_robin_scheduling 0
		.amdhsa_exception_fp_ieee_invalid_op 0
		.amdhsa_exception_fp_denorm_src 0
		.amdhsa_exception_fp_ieee_div_zero 0
		.amdhsa_exception_fp_ieee_overflow 0
		.amdhsa_exception_fp_ieee_underflow 0
		.amdhsa_exception_fp_ieee_inexact 0
		.amdhsa_exception_int_div_zero 0
	.end_amdhsa_kernel
	.section	.text._ZN7rocprim17ROCPRIM_400000_NS6detail17trampoline_kernelINS0_14default_configENS1_25partition_config_selectorILNS1_17partition_subalgoE6EiNS0_10empty_typeEbEEZZNS1_14partition_implILS5_6ELb0ES3_mN6thrust23THRUST_200600_302600_NS6detail15normal_iteratorINSA_10device_ptrIiEEEEPS6_SG_NS0_5tupleIJNSA_16discard_iteratorINSA_11use_defaultEEES6_EEENSH_IJSG_SG_EEES6_PlJNSB_9not_fun_tI7is_trueIiEEEEEE10hipError_tPvRmT3_T4_T5_T6_T7_T9_mT8_P12ihipStream_tbDpT10_ENKUlT_T0_E_clISt17integral_constantIbLb1EES1B_EEDaS16_S17_EUlS16_E_NS1_11comp_targetILNS1_3genE0ELNS1_11target_archE4294967295ELNS1_3gpuE0ELNS1_3repE0EEENS1_30default_config_static_selectorELNS0_4arch9wavefront6targetE0EEEvT1_,"axG",@progbits,_ZN7rocprim17ROCPRIM_400000_NS6detail17trampoline_kernelINS0_14default_configENS1_25partition_config_selectorILNS1_17partition_subalgoE6EiNS0_10empty_typeEbEEZZNS1_14partition_implILS5_6ELb0ES3_mN6thrust23THRUST_200600_302600_NS6detail15normal_iteratorINSA_10device_ptrIiEEEEPS6_SG_NS0_5tupleIJNSA_16discard_iteratorINSA_11use_defaultEEES6_EEENSH_IJSG_SG_EEES6_PlJNSB_9not_fun_tI7is_trueIiEEEEEE10hipError_tPvRmT3_T4_T5_T6_T7_T9_mT8_P12ihipStream_tbDpT10_ENKUlT_T0_E_clISt17integral_constantIbLb1EES1B_EEDaS16_S17_EUlS16_E_NS1_11comp_targetILNS1_3genE0ELNS1_11target_archE4294967295ELNS1_3gpuE0ELNS1_3repE0EEENS1_30default_config_static_selectorELNS0_4arch9wavefront6targetE0EEEvT1_,comdat
.Lfunc_end2277:
	.size	_ZN7rocprim17ROCPRIM_400000_NS6detail17trampoline_kernelINS0_14default_configENS1_25partition_config_selectorILNS1_17partition_subalgoE6EiNS0_10empty_typeEbEEZZNS1_14partition_implILS5_6ELb0ES3_mN6thrust23THRUST_200600_302600_NS6detail15normal_iteratorINSA_10device_ptrIiEEEEPS6_SG_NS0_5tupleIJNSA_16discard_iteratorINSA_11use_defaultEEES6_EEENSH_IJSG_SG_EEES6_PlJNSB_9not_fun_tI7is_trueIiEEEEEE10hipError_tPvRmT3_T4_T5_T6_T7_T9_mT8_P12ihipStream_tbDpT10_ENKUlT_T0_E_clISt17integral_constantIbLb1EES1B_EEDaS16_S17_EUlS16_E_NS1_11comp_targetILNS1_3genE0ELNS1_11target_archE4294967295ELNS1_3gpuE0ELNS1_3repE0EEENS1_30default_config_static_selectorELNS0_4arch9wavefront6targetE0EEEvT1_, .Lfunc_end2277-_ZN7rocprim17ROCPRIM_400000_NS6detail17trampoline_kernelINS0_14default_configENS1_25partition_config_selectorILNS1_17partition_subalgoE6EiNS0_10empty_typeEbEEZZNS1_14partition_implILS5_6ELb0ES3_mN6thrust23THRUST_200600_302600_NS6detail15normal_iteratorINSA_10device_ptrIiEEEEPS6_SG_NS0_5tupleIJNSA_16discard_iteratorINSA_11use_defaultEEES6_EEENSH_IJSG_SG_EEES6_PlJNSB_9not_fun_tI7is_trueIiEEEEEE10hipError_tPvRmT3_T4_T5_T6_T7_T9_mT8_P12ihipStream_tbDpT10_ENKUlT_T0_E_clISt17integral_constantIbLb1EES1B_EEDaS16_S17_EUlS16_E_NS1_11comp_targetILNS1_3genE0ELNS1_11target_archE4294967295ELNS1_3gpuE0ELNS1_3repE0EEENS1_30default_config_static_selectorELNS0_4arch9wavefront6targetE0EEEvT1_
                                        ; -- End function
	.set _ZN7rocprim17ROCPRIM_400000_NS6detail17trampoline_kernelINS0_14default_configENS1_25partition_config_selectorILNS1_17partition_subalgoE6EiNS0_10empty_typeEbEEZZNS1_14partition_implILS5_6ELb0ES3_mN6thrust23THRUST_200600_302600_NS6detail15normal_iteratorINSA_10device_ptrIiEEEEPS6_SG_NS0_5tupleIJNSA_16discard_iteratorINSA_11use_defaultEEES6_EEENSH_IJSG_SG_EEES6_PlJNSB_9not_fun_tI7is_trueIiEEEEEE10hipError_tPvRmT3_T4_T5_T6_T7_T9_mT8_P12ihipStream_tbDpT10_ENKUlT_T0_E_clISt17integral_constantIbLb1EES1B_EEDaS16_S17_EUlS16_E_NS1_11comp_targetILNS1_3genE0ELNS1_11target_archE4294967295ELNS1_3gpuE0ELNS1_3repE0EEENS1_30default_config_static_selectorELNS0_4arch9wavefront6targetE0EEEvT1_.num_vgpr, 0
	.set _ZN7rocprim17ROCPRIM_400000_NS6detail17trampoline_kernelINS0_14default_configENS1_25partition_config_selectorILNS1_17partition_subalgoE6EiNS0_10empty_typeEbEEZZNS1_14partition_implILS5_6ELb0ES3_mN6thrust23THRUST_200600_302600_NS6detail15normal_iteratorINSA_10device_ptrIiEEEEPS6_SG_NS0_5tupleIJNSA_16discard_iteratorINSA_11use_defaultEEES6_EEENSH_IJSG_SG_EEES6_PlJNSB_9not_fun_tI7is_trueIiEEEEEE10hipError_tPvRmT3_T4_T5_T6_T7_T9_mT8_P12ihipStream_tbDpT10_ENKUlT_T0_E_clISt17integral_constantIbLb1EES1B_EEDaS16_S17_EUlS16_E_NS1_11comp_targetILNS1_3genE0ELNS1_11target_archE4294967295ELNS1_3gpuE0ELNS1_3repE0EEENS1_30default_config_static_selectorELNS0_4arch9wavefront6targetE0EEEvT1_.num_agpr, 0
	.set _ZN7rocprim17ROCPRIM_400000_NS6detail17trampoline_kernelINS0_14default_configENS1_25partition_config_selectorILNS1_17partition_subalgoE6EiNS0_10empty_typeEbEEZZNS1_14partition_implILS5_6ELb0ES3_mN6thrust23THRUST_200600_302600_NS6detail15normal_iteratorINSA_10device_ptrIiEEEEPS6_SG_NS0_5tupleIJNSA_16discard_iteratorINSA_11use_defaultEEES6_EEENSH_IJSG_SG_EEES6_PlJNSB_9not_fun_tI7is_trueIiEEEEEE10hipError_tPvRmT3_T4_T5_T6_T7_T9_mT8_P12ihipStream_tbDpT10_ENKUlT_T0_E_clISt17integral_constantIbLb1EES1B_EEDaS16_S17_EUlS16_E_NS1_11comp_targetILNS1_3genE0ELNS1_11target_archE4294967295ELNS1_3gpuE0ELNS1_3repE0EEENS1_30default_config_static_selectorELNS0_4arch9wavefront6targetE0EEEvT1_.numbered_sgpr, 0
	.set _ZN7rocprim17ROCPRIM_400000_NS6detail17trampoline_kernelINS0_14default_configENS1_25partition_config_selectorILNS1_17partition_subalgoE6EiNS0_10empty_typeEbEEZZNS1_14partition_implILS5_6ELb0ES3_mN6thrust23THRUST_200600_302600_NS6detail15normal_iteratorINSA_10device_ptrIiEEEEPS6_SG_NS0_5tupleIJNSA_16discard_iteratorINSA_11use_defaultEEES6_EEENSH_IJSG_SG_EEES6_PlJNSB_9not_fun_tI7is_trueIiEEEEEE10hipError_tPvRmT3_T4_T5_T6_T7_T9_mT8_P12ihipStream_tbDpT10_ENKUlT_T0_E_clISt17integral_constantIbLb1EES1B_EEDaS16_S17_EUlS16_E_NS1_11comp_targetILNS1_3genE0ELNS1_11target_archE4294967295ELNS1_3gpuE0ELNS1_3repE0EEENS1_30default_config_static_selectorELNS0_4arch9wavefront6targetE0EEEvT1_.num_named_barrier, 0
	.set _ZN7rocprim17ROCPRIM_400000_NS6detail17trampoline_kernelINS0_14default_configENS1_25partition_config_selectorILNS1_17partition_subalgoE6EiNS0_10empty_typeEbEEZZNS1_14partition_implILS5_6ELb0ES3_mN6thrust23THRUST_200600_302600_NS6detail15normal_iteratorINSA_10device_ptrIiEEEEPS6_SG_NS0_5tupleIJNSA_16discard_iteratorINSA_11use_defaultEEES6_EEENSH_IJSG_SG_EEES6_PlJNSB_9not_fun_tI7is_trueIiEEEEEE10hipError_tPvRmT3_T4_T5_T6_T7_T9_mT8_P12ihipStream_tbDpT10_ENKUlT_T0_E_clISt17integral_constantIbLb1EES1B_EEDaS16_S17_EUlS16_E_NS1_11comp_targetILNS1_3genE0ELNS1_11target_archE4294967295ELNS1_3gpuE0ELNS1_3repE0EEENS1_30default_config_static_selectorELNS0_4arch9wavefront6targetE0EEEvT1_.private_seg_size, 0
	.set _ZN7rocprim17ROCPRIM_400000_NS6detail17trampoline_kernelINS0_14default_configENS1_25partition_config_selectorILNS1_17partition_subalgoE6EiNS0_10empty_typeEbEEZZNS1_14partition_implILS5_6ELb0ES3_mN6thrust23THRUST_200600_302600_NS6detail15normal_iteratorINSA_10device_ptrIiEEEEPS6_SG_NS0_5tupleIJNSA_16discard_iteratorINSA_11use_defaultEEES6_EEENSH_IJSG_SG_EEES6_PlJNSB_9not_fun_tI7is_trueIiEEEEEE10hipError_tPvRmT3_T4_T5_T6_T7_T9_mT8_P12ihipStream_tbDpT10_ENKUlT_T0_E_clISt17integral_constantIbLb1EES1B_EEDaS16_S17_EUlS16_E_NS1_11comp_targetILNS1_3genE0ELNS1_11target_archE4294967295ELNS1_3gpuE0ELNS1_3repE0EEENS1_30default_config_static_selectorELNS0_4arch9wavefront6targetE0EEEvT1_.uses_vcc, 0
	.set _ZN7rocprim17ROCPRIM_400000_NS6detail17trampoline_kernelINS0_14default_configENS1_25partition_config_selectorILNS1_17partition_subalgoE6EiNS0_10empty_typeEbEEZZNS1_14partition_implILS5_6ELb0ES3_mN6thrust23THRUST_200600_302600_NS6detail15normal_iteratorINSA_10device_ptrIiEEEEPS6_SG_NS0_5tupleIJNSA_16discard_iteratorINSA_11use_defaultEEES6_EEENSH_IJSG_SG_EEES6_PlJNSB_9not_fun_tI7is_trueIiEEEEEE10hipError_tPvRmT3_T4_T5_T6_T7_T9_mT8_P12ihipStream_tbDpT10_ENKUlT_T0_E_clISt17integral_constantIbLb1EES1B_EEDaS16_S17_EUlS16_E_NS1_11comp_targetILNS1_3genE0ELNS1_11target_archE4294967295ELNS1_3gpuE0ELNS1_3repE0EEENS1_30default_config_static_selectorELNS0_4arch9wavefront6targetE0EEEvT1_.uses_flat_scratch, 0
	.set _ZN7rocprim17ROCPRIM_400000_NS6detail17trampoline_kernelINS0_14default_configENS1_25partition_config_selectorILNS1_17partition_subalgoE6EiNS0_10empty_typeEbEEZZNS1_14partition_implILS5_6ELb0ES3_mN6thrust23THRUST_200600_302600_NS6detail15normal_iteratorINSA_10device_ptrIiEEEEPS6_SG_NS0_5tupleIJNSA_16discard_iteratorINSA_11use_defaultEEES6_EEENSH_IJSG_SG_EEES6_PlJNSB_9not_fun_tI7is_trueIiEEEEEE10hipError_tPvRmT3_T4_T5_T6_T7_T9_mT8_P12ihipStream_tbDpT10_ENKUlT_T0_E_clISt17integral_constantIbLb1EES1B_EEDaS16_S17_EUlS16_E_NS1_11comp_targetILNS1_3genE0ELNS1_11target_archE4294967295ELNS1_3gpuE0ELNS1_3repE0EEENS1_30default_config_static_selectorELNS0_4arch9wavefront6targetE0EEEvT1_.has_dyn_sized_stack, 0
	.set _ZN7rocprim17ROCPRIM_400000_NS6detail17trampoline_kernelINS0_14default_configENS1_25partition_config_selectorILNS1_17partition_subalgoE6EiNS0_10empty_typeEbEEZZNS1_14partition_implILS5_6ELb0ES3_mN6thrust23THRUST_200600_302600_NS6detail15normal_iteratorINSA_10device_ptrIiEEEEPS6_SG_NS0_5tupleIJNSA_16discard_iteratorINSA_11use_defaultEEES6_EEENSH_IJSG_SG_EEES6_PlJNSB_9not_fun_tI7is_trueIiEEEEEE10hipError_tPvRmT3_T4_T5_T6_T7_T9_mT8_P12ihipStream_tbDpT10_ENKUlT_T0_E_clISt17integral_constantIbLb1EES1B_EEDaS16_S17_EUlS16_E_NS1_11comp_targetILNS1_3genE0ELNS1_11target_archE4294967295ELNS1_3gpuE0ELNS1_3repE0EEENS1_30default_config_static_selectorELNS0_4arch9wavefront6targetE0EEEvT1_.has_recursion, 0
	.set _ZN7rocprim17ROCPRIM_400000_NS6detail17trampoline_kernelINS0_14default_configENS1_25partition_config_selectorILNS1_17partition_subalgoE6EiNS0_10empty_typeEbEEZZNS1_14partition_implILS5_6ELb0ES3_mN6thrust23THRUST_200600_302600_NS6detail15normal_iteratorINSA_10device_ptrIiEEEEPS6_SG_NS0_5tupleIJNSA_16discard_iteratorINSA_11use_defaultEEES6_EEENSH_IJSG_SG_EEES6_PlJNSB_9not_fun_tI7is_trueIiEEEEEE10hipError_tPvRmT3_T4_T5_T6_T7_T9_mT8_P12ihipStream_tbDpT10_ENKUlT_T0_E_clISt17integral_constantIbLb1EES1B_EEDaS16_S17_EUlS16_E_NS1_11comp_targetILNS1_3genE0ELNS1_11target_archE4294967295ELNS1_3gpuE0ELNS1_3repE0EEENS1_30default_config_static_selectorELNS0_4arch9wavefront6targetE0EEEvT1_.has_indirect_call, 0
	.section	.AMDGPU.csdata,"",@progbits
; Kernel info:
; codeLenInByte = 0
; TotalNumSgprs: 0
; NumVgprs: 0
; ScratchSize: 0
; MemoryBound: 0
; FloatMode: 240
; IeeeMode: 1
; LDSByteSize: 0 bytes/workgroup (compile time only)
; SGPRBlocks: 0
; VGPRBlocks: 0
; NumSGPRsForWavesPerEU: 1
; NumVGPRsForWavesPerEU: 1
; Occupancy: 16
; WaveLimiterHint : 0
; COMPUTE_PGM_RSRC2:SCRATCH_EN: 0
; COMPUTE_PGM_RSRC2:USER_SGPR: 2
; COMPUTE_PGM_RSRC2:TRAP_HANDLER: 0
; COMPUTE_PGM_RSRC2:TGID_X_EN: 1
; COMPUTE_PGM_RSRC2:TGID_Y_EN: 0
; COMPUTE_PGM_RSRC2:TGID_Z_EN: 0
; COMPUTE_PGM_RSRC2:TIDIG_COMP_CNT: 0
	.section	.text._ZN7rocprim17ROCPRIM_400000_NS6detail17trampoline_kernelINS0_14default_configENS1_25partition_config_selectorILNS1_17partition_subalgoE6EiNS0_10empty_typeEbEEZZNS1_14partition_implILS5_6ELb0ES3_mN6thrust23THRUST_200600_302600_NS6detail15normal_iteratorINSA_10device_ptrIiEEEEPS6_SG_NS0_5tupleIJNSA_16discard_iteratorINSA_11use_defaultEEES6_EEENSH_IJSG_SG_EEES6_PlJNSB_9not_fun_tI7is_trueIiEEEEEE10hipError_tPvRmT3_T4_T5_T6_T7_T9_mT8_P12ihipStream_tbDpT10_ENKUlT_T0_E_clISt17integral_constantIbLb1EES1B_EEDaS16_S17_EUlS16_E_NS1_11comp_targetILNS1_3genE5ELNS1_11target_archE942ELNS1_3gpuE9ELNS1_3repE0EEENS1_30default_config_static_selectorELNS0_4arch9wavefront6targetE0EEEvT1_,"axG",@progbits,_ZN7rocprim17ROCPRIM_400000_NS6detail17trampoline_kernelINS0_14default_configENS1_25partition_config_selectorILNS1_17partition_subalgoE6EiNS0_10empty_typeEbEEZZNS1_14partition_implILS5_6ELb0ES3_mN6thrust23THRUST_200600_302600_NS6detail15normal_iteratorINSA_10device_ptrIiEEEEPS6_SG_NS0_5tupleIJNSA_16discard_iteratorINSA_11use_defaultEEES6_EEENSH_IJSG_SG_EEES6_PlJNSB_9not_fun_tI7is_trueIiEEEEEE10hipError_tPvRmT3_T4_T5_T6_T7_T9_mT8_P12ihipStream_tbDpT10_ENKUlT_T0_E_clISt17integral_constantIbLb1EES1B_EEDaS16_S17_EUlS16_E_NS1_11comp_targetILNS1_3genE5ELNS1_11target_archE942ELNS1_3gpuE9ELNS1_3repE0EEENS1_30default_config_static_selectorELNS0_4arch9wavefront6targetE0EEEvT1_,comdat
	.protected	_ZN7rocprim17ROCPRIM_400000_NS6detail17trampoline_kernelINS0_14default_configENS1_25partition_config_selectorILNS1_17partition_subalgoE6EiNS0_10empty_typeEbEEZZNS1_14partition_implILS5_6ELb0ES3_mN6thrust23THRUST_200600_302600_NS6detail15normal_iteratorINSA_10device_ptrIiEEEEPS6_SG_NS0_5tupleIJNSA_16discard_iteratorINSA_11use_defaultEEES6_EEENSH_IJSG_SG_EEES6_PlJNSB_9not_fun_tI7is_trueIiEEEEEE10hipError_tPvRmT3_T4_T5_T6_T7_T9_mT8_P12ihipStream_tbDpT10_ENKUlT_T0_E_clISt17integral_constantIbLb1EES1B_EEDaS16_S17_EUlS16_E_NS1_11comp_targetILNS1_3genE5ELNS1_11target_archE942ELNS1_3gpuE9ELNS1_3repE0EEENS1_30default_config_static_selectorELNS0_4arch9wavefront6targetE0EEEvT1_ ; -- Begin function _ZN7rocprim17ROCPRIM_400000_NS6detail17trampoline_kernelINS0_14default_configENS1_25partition_config_selectorILNS1_17partition_subalgoE6EiNS0_10empty_typeEbEEZZNS1_14partition_implILS5_6ELb0ES3_mN6thrust23THRUST_200600_302600_NS6detail15normal_iteratorINSA_10device_ptrIiEEEEPS6_SG_NS0_5tupleIJNSA_16discard_iteratorINSA_11use_defaultEEES6_EEENSH_IJSG_SG_EEES6_PlJNSB_9not_fun_tI7is_trueIiEEEEEE10hipError_tPvRmT3_T4_T5_T6_T7_T9_mT8_P12ihipStream_tbDpT10_ENKUlT_T0_E_clISt17integral_constantIbLb1EES1B_EEDaS16_S17_EUlS16_E_NS1_11comp_targetILNS1_3genE5ELNS1_11target_archE942ELNS1_3gpuE9ELNS1_3repE0EEENS1_30default_config_static_selectorELNS0_4arch9wavefront6targetE0EEEvT1_
	.globl	_ZN7rocprim17ROCPRIM_400000_NS6detail17trampoline_kernelINS0_14default_configENS1_25partition_config_selectorILNS1_17partition_subalgoE6EiNS0_10empty_typeEbEEZZNS1_14partition_implILS5_6ELb0ES3_mN6thrust23THRUST_200600_302600_NS6detail15normal_iteratorINSA_10device_ptrIiEEEEPS6_SG_NS0_5tupleIJNSA_16discard_iteratorINSA_11use_defaultEEES6_EEENSH_IJSG_SG_EEES6_PlJNSB_9not_fun_tI7is_trueIiEEEEEE10hipError_tPvRmT3_T4_T5_T6_T7_T9_mT8_P12ihipStream_tbDpT10_ENKUlT_T0_E_clISt17integral_constantIbLb1EES1B_EEDaS16_S17_EUlS16_E_NS1_11comp_targetILNS1_3genE5ELNS1_11target_archE942ELNS1_3gpuE9ELNS1_3repE0EEENS1_30default_config_static_selectorELNS0_4arch9wavefront6targetE0EEEvT1_
	.p2align	8
	.type	_ZN7rocprim17ROCPRIM_400000_NS6detail17trampoline_kernelINS0_14default_configENS1_25partition_config_selectorILNS1_17partition_subalgoE6EiNS0_10empty_typeEbEEZZNS1_14partition_implILS5_6ELb0ES3_mN6thrust23THRUST_200600_302600_NS6detail15normal_iteratorINSA_10device_ptrIiEEEEPS6_SG_NS0_5tupleIJNSA_16discard_iteratorINSA_11use_defaultEEES6_EEENSH_IJSG_SG_EEES6_PlJNSB_9not_fun_tI7is_trueIiEEEEEE10hipError_tPvRmT3_T4_T5_T6_T7_T9_mT8_P12ihipStream_tbDpT10_ENKUlT_T0_E_clISt17integral_constantIbLb1EES1B_EEDaS16_S17_EUlS16_E_NS1_11comp_targetILNS1_3genE5ELNS1_11target_archE942ELNS1_3gpuE9ELNS1_3repE0EEENS1_30default_config_static_selectorELNS0_4arch9wavefront6targetE0EEEvT1_,@function
_ZN7rocprim17ROCPRIM_400000_NS6detail17trampoline_kernelINS0_14default_configENS1_25partition_config_selectorILNS1_17partition_subalgoE6EiNS0_10empty_typeEbEEZZNS1_14partition_implILS5_6ELb0ES3_mN6thrust23THRUST_200600_302600_NS6detail15normal_iteratorINSA_10device_ptrIiEEEEPS6_SG_NS0_5tupleIJNSA_16discard_iteratorINSA_11use_defaultEEES6_EEENSH_IJSG_SG_EEES6_PlJNSB_9not_fun_tI7is_trueIiEEEEEE10hipError_tPvRmT3_T4_T5_T6_T7_T9_mT8_P12ihipStream_tbDpT10_ENKUlT_T0_E_clISt17integral_constantIbLb1EES1B_EEDaS16_S17_EUlS16_E_NS1_11comp_targetILNS1_3genE5ELNS1_11target_archE942ELNS1_3gpuE9ELNS1_3repE0EEENS1_30default_config_static_selectorELNS0_4arch9wavefront6targetE0EEEvT1_: ; @_ZN7rocprim17ROCPRIM_400000_NS6detail17trampoline_kernelINS0_14default_configENS1_25partition_config_selectorILNS1_17partition_subalgoE6EiNS0_10empty_typeEbEEZZNS1_14partition_implILS5_6ELb0ES3_mN6thrust23THRUST_200600_302600_NS6detail15normal_iteratorINSA_10device_ptrIiEEEEPS6_SG_NS0_5tupleIJNSA_16discard_iteratorINSA_11use_defaultEEES6_EEENSH_IJSG_SG_EEES6_PlJNSB_9not_fun_tI7is_trueIiEEEEEE10hipError_tPvRmT3_T4_T5_T6_T7_T9_mT8_P12ihipStream_tbDpT10_ENKUlT_T0_E_clISt17integral_constantIbLb1EES1B_EEDaS16_S17_EUlS16_E_NS1_11comp_targetILNS1_3genE5ELNS1_11target_archE942ELNS1_3gpuE9ELNS1_3repE0EEENS1_30default_config_static_selectorELNS0_4arch9wavefront6targetE0EEEvT1_
; %bb.0:
	.section	.rodata,"a",@progbits
	.p2align	6, 0x0
	.amdhsa_kernel _ZN7rocprim17ROCPRIM_400000_NS6detail17trampoline_kernelINS0_14default_configENS1_25partition_config_selectorILNS1_17partition_subalgoE6EiNS0_10empty_typeEbEEZZNS1_14partition_implILS5_6ELb0ES3_mN6thrust23THRUST_200600_302600_NS6detail15normal_iteratorINSA_10device_ptrIiEEEEPS6_SG_NS0_5tupleIJNSA_16discard_iteratorINSA_11use_defaultEEES6_EEENSH_IJSG_SG_EEES6_PlJNSB_9not_fun_tI7is_trueIiEEEEEE10hipError_tPvRmT3_T4_T5_T6_T7_T9_mT8_P12ihipStream_tbDpT10_ENKUlT_T0_E_clISt17integral_constantIbLb1EES1B_EEDaS16_S17_EUlS16_E_NS1_11comp_targetILNS1_3genE5ELNS1_11target_archE942ELNS1_3gpuE9ELNS1_3repE0EEENS1_30default_config_static_selectorELNS0_4arch9wavefront6targetE0EEEvT1_
		.amdhsa_group_segment_fixed_size 0
		.amdhsa_private_segment_fixed_size 0
		.amdhsa_kernarg_size 136
		.amdhsa_user_sgpr_count 2
		.amdhsa_user_sgpr_dispatch_ptr 0
		.amdhsa_user_sgpr_queue_ptr 0
		.amdhsa_user_sgpr_kernarg_segment_ptr 1
		.amdhsa_user_sgpr_dispatch_id 0
		.amdhsa_user_sgpr_private_segment_size 0
		.amdhsa_wavefront_size32 1
		.amdhsa_uses_dynamic_stack 0
		.amdhsa_enable_private_segment 0
		.amdhsa_system_sgpr_workgroup_id_x 1
		.amdhsa_system_sgpr_workgroup_id_y 0
		.amdhsa_system_sgpr_workgroup_id_z 0
		.amdhsa_system_sgpr_workgroup_info 0
		.amdhsa_system_vgpr_workitem_id 0
		.amdhsa_next_free_vgpr 1
		.amdhsa_next_free_sgpr 1
		.amdhsa_reserve_vcc 0
		.amdhsa_float_round_mode_32 0
		.amdhsa_float_round_mode_16_64 0
		.amdhsa_float_denorm_mode_32 3
		.amdhsa_float_denorm_mode_16_64 3
		.amdhsa_fp16_overflow 0
		.amdhsa_workgroup_processor_mode 1
		.amdhsa_memory_ordered 1
		.amdhsa_forward_progress 1
		.amdhsa_inst_pref_size 0
		.amdhsa_round_robin_scheduling 0
		.amdhsa_exception_fp_ieee_invalid_op 0
		.amdhsa_exception_fp_denorm_src 0
		.amdhsa_exception_fp_ieee_div_zero 0
		.amdhsa_exception_fp_ieee_overflow 0
		.amdhsa_exception_fp_ieee_underflow 0
		.amdhsa_exception_fp_ieee_inexact 0
		.amdhsa_exception_int_div_zero 0
	.end_amdhsa_kernel
	.section	.text._ZN7rocprim17ROCPRIM_400000_NS6detail17trampoline_kernelINS0_14default_configENS1_25partition_config_selectorILNS1_17partition_subalgoE6EiNS0_10empty_typeEbEEZZNS1_14partition_implILS5_6ELb0ES3_mN6thrust23THRUST_200600_302600_NS6detail15normal_iteratorINSA_10device_ptrIiEEEEPS6_SG_NS0_5tupleIJNSA_16discard_iteratorINSA_11use_defaultEEES6_EEENSH_IJSG_SG_EEES6_PlJNSB_9not_fun_tI7is_trueIiEEEEEE10hipError_tPvRmT3_T4_T5_T6_T7_T9_mT8_P12ihipStream_tbDpT10_ENKUlT_T0_E_clISt17integral_constantIbLb1EES1B_EEDaS16_S17_EUlS16_E_NS1_11comp_targetILNS1_3genE5ELNS1_11target_archE942ELNS1_3gpuE9ELNS1_3repE0EEENS1_30default_config_static_selectorELNS0_4arch9wavefront6targetE0EEEvT1_,"axG",@progbits,_ZN7rocprim17ROCPRIM_400000_NS6detail17trampoline_kernelINS0_14default_configENS1_25partition_config_selectorILNS1_17partition_subalgoE6EiNS0_10empty_typeEbEEZZNS1_14partition_implILS5_6ELb0ES3_mN6thrust23THRUST_200600_302600_NS6detail15normal_iteratorINSA_10device_ptrIiEEEEPS6_SG_NS0_5tupleIJNSA_16discard_iteratorINSA_11use_defaultEEES6_EEENSH_IJSG_SG_EEES6_PlJNSB_9not_fun_tI7is_trueIiEEEEEE10hipError_tPvRmT3_T4_T5_T6_T7_T9_mT8_P12ihipStream_tbDpT10_ENKUlT_T0_E_clISt17integral_constantIbLb1EES1B_EEDaS16_S17_EUlS16_E_NS1_11comp_targetILNS1_3genE5ELNS1_11target_archE942ELNS1_3gpuE9ELNS1_3repE0EEENS1_30default_config_static_selectorELNS0_4arch9wavefront6targetE0EEEvT1_,comdat
.Lfunc_end2278:
	.size	_ZN7rocprim17ROCPRIM_400000_NS6detail17trampoline_kernelINS0_14default_configENS1_25partition_config_selectorILNS1_17partition_subalgoE6EiNS0_10empty_typeEbEEZZNS1_14partition_implILS5_6ELb0ES3_mN6thrust23THRUST_200600_302600_NS6detail15normal_iteratorINSA_10device_ptrIiEEEEPS6_SG_NS0_5tupleIJNSA_16discard_iteratorINSA_11use_defaultEEES6_EEENSH_IJSG_SG_EEES6_PlJNSB_9not_fun_tI7is_trueIiEEEEEE10hipError_tPvRmT3_T4_T5_T6_T7_T9_mT8_P12ihipStream_tbDpT10_ENKUlT_T0_E_clISt17integral_constantIbLb1EES1B_EEDaS16_S17_EUlS16_E_NS1_11comp_targetILNS1_3genE5ELNS1_11target_archE942ELNS1_3gpuE9ELNS1_3repE0EEENS1_30default_config_static_selectorELNS0_4arch9wavefront6targetE0EEEvT1_, .Lfunc_end2278-_ZN7rocprim17ROCPRIM_400000_NS6detail17trampoline_kernelINS0_14default_configENS1_25partition_config_selectorILNS1_17partition_subalgoE6EiNS0_10empty_typeEbEEZZNS1_14partition_implILS5_6ELb0ES3_mN6thrust23THRUST_200600_302600_NS6detail15normal_iteratorINSA_10device_ptrIiEEEEPS6_SG_NS0_5tupleIJNSA_16discard_iteratorINSA_11use_defaultEEES6_EEENSH_IJSG_SG_EEES6_PlJNSB_9not_fun_tI7is_trueIiEEEEEE10hipError_tPvRmT3_T4_T5_T6_T7_T9_mT8_P12ihipStream_tbDpT10_ENKUlT_T0_E_clISt17integral_constantIbLb1EES1B_EEDaS16_S17_EUlS16_E_NS1_11comp_targetILNS1_3genE5ELNS1_11target_archE942ELNS1_3gpuE9ELNS1_3repE0EEENS1_30default_config_static_selectorELNS0_4arch9wavefront6targetE0EEEvT1_
                                        ; -- End function
	.set _ZN7rocprim17ROCPRIM_400000_NS6detail17trampoline_kernelINS0_14default_configENS1_25partition_config_selectorILNS1_17partition_subalgoE6EiNS0_10empty_typeEbEEZZNS1_14partition_implILS5_6ELb0ES3_mN6thrust23THRUST_200600_302600_NS6detail15normal_iteratorINSA_10device_ptrIiEEEEPS6_SG_NS0_5tupleIJNSA_16discard_iteratorINSA_11use_defaultEEES6_EEENSH_IJSG_SG_EEES6_PlJNSB_9not_fun_tI7is_trueIiEEEEEE10hipError_tPvRmT3_T4_T5_T6_T7_T9_mT8_P12ihipStream_tbDpT10_ENKUlT_T0_E_clISt17integral_constantIbLb1EES1B_EEDaS16_S17_EUlS16_E_NS1_11comp_targetILNS1_3genE5ELNS1_11target_archE942ELNS1_3gpuE9ELNS1_3repE0EEENS1_30default_config_static_selectorELNS0_4arch9wavefront6targetE0EEEvT1_.num_vgpr, 0
	.set _ZN7rocprim17ROCPRIM_400000_NS6detail17trampoline_kernelINS0_14default_configENS1_25partition_config_selectorILNS1_17partition_subalgoE6EiNS0_10empty_typeEbEEZZNS1_14partition_implILS5_6ELb0ES3_mN6thrust23THRUST_200600_302600_NS6detail15normal_iteratorINSA_10device_ptrIiEEEEPS6_SG_NS0_5tupleIJNSA_16discard_iteratorINSA_11use_defaultEEES6_EEENSH_IJSG_SG_EEES6_PlJNSB_9not_fun_tI7is_trueIiEEEEEE10hipError_tPvRmT3_T4_T5_T6_T7_T9_mT8_P12ihipStream_tbDpT10_ENKUlT_T0_E_clISt17integral_constantIbLb1EES1B_EEDaS16_S17_EUlS16_E_NS1_11comp_targetILNS1_3genE5ELNS1_11target_archE942ELNS1_3gpuE9ELNS1_3repE0EEENS1_30default_config_static_selectorELNS0_4arch9wavefront6targetE0EEEvT1_.num_agpr, 0
	.set _ZN7rocprim17ROCPRIM_400000_NS6detail17trampoline_kernelINS0_14default_configENS1_25partition_config_selectorILNS1_17partition_subalgoE6EiNS0_10empty_typeEbEEZZNS1_14partition_implILS5_6ELb0ES3_mN6thrust23THRUST_200600_302600_NS6detail15normal_iteratorINSA_10device_ptrIiEEEEPS6_SG_NS0_5tupleIJNSA_16discard_iteratorINSA_11use_defaultEEES6_EEENSH_IJSG_SG_EEES6_PlJNSB_9not_fun_tI7is_trueIiEEEEEE10hipError_tPvRmT3_T4_T5_T6_T7_T9_mT8_P12ihipStream_tbDpT10_ENKUlT_T0_E_clISt17integral_constantIbLb1EES1B_EEDaS16_S17_EUlS16_E_NS1_11comp_targetILNS1_3genE5ELNS1_11target_archE942ELNS1_3gpuE9ELNS1_3repE0EEENS1_30default_config_static_selectorELNS0_4arch9wavefront6targetE0EEEvT1_.numbered_sgpr, 0
	.set _ZN7rocprim17ROCPRIM_400000_NS6detail17trampoline_kernelINS0_14default_configENS1_25partition_config_selectorILNS1_17partition_subalgoE6EiNS0_10empty_typeEbEEZZNS1_14partition_implILS5_6ELb0ES3_mN6thrust23THRUST_200600_302600_NS6detail15normal_iteratorINSA_10device_ptrIiEEEEPS6_SG_NS0_5tupleIJNSA_16discard_iteratorINSA_11use_defaultEEES6_EEENSH_IJSG_SG_EEES6_PlJNSB_9not_fun_tI7is_trueIiEEEEEE10hipError_tPvRmT3_T4_T5_T6_T7_T9_mT8_P12ihipStream_tbDpT10_ENKUlT_T0_E_clISt17integral_constantIbLb1EES1B_EEDaS16_S17_EUlS16_E_NS1_11comp_targetILNS1_3genE5ELNS1_11target_archE942ELNS1_3gpuE9ELNS1_3repE0EEENS1_30default_config_static_selectorELNS0_4arch9wavefront6targetE0EEEvT1_.num_named_barrier, 0
	.set _ZN7rocprim17ROCPRIM_400000_NS6detail17trampoline_kernelINS0_14default_configENS1_25partition_config_selectorILNS1_17partition_subalgoE6EiNS0_10empty_typeEbEEZZNS1_14partition_implILS5_6ELb0ES3_mN6thrust23THRUST_200600_302600_NS6detail15normal_iteratorINSA_10device_ptrIiEEEEPS6_SG_NS0_5tupleIJNSA_16discard_iteratorINSA_11use_defaultEEES6_EEENSH_IJSG_SG_EEES6_PlJNSB_9not_fun_tI7is_trueIiEEEEEE10hipError_tPvRmT3_T4_T5_T6_T7_T9_mT8_P12ihipStream_tbDpT10_ENKUlT_T0_E_clISt17integral_constantIbLb1EES1B_EEDaS16_S17_EUlS16_E_NS1_11comp_targetILNS1_3genE5ELNS1_11target_archE942ELNS1_3gpuE9ELNS1_3repE0EEENS1_30default_config_static_selectorELNS0_4arch9wavefront6targetE0EEEvT1_.private_seg_size, 0
	.set _ZN7rocprim17ROCPRIM_400000_NS6detail17trampoline_kernelINS0_14default_configENS1_25partition_config_selectorILNS1_17partition_subalgoE6EiNS0_10empty_typeEbEEZZNS1_14partition_implILS5_6ELb0ES3_mN6thrust23THRUST_200600_302600_NS6detail15normal_iteratorINSA_10device_ptrIiEEEEPS6_SG_NS0_5tupleIJNSA_16discard_iteratorINSA_11use_defaultEEES6_EEENSH_IJSG_SG_EEES6_PlJNSB_9not_fun_tI7is_trueIiEEEEEE10hipError_tPvRmT3_T4_T5_T6_T7_T9_mT8_P12ihipStream_tbDpT10_ENKUlT_T0_E_clISt17integral_constantIbLb1EES1B_EEDaS16_S17_EUlS16_E_NS1_11comp_targetILNS1_3genE5ELNS1_11target_archE942ELNS1_3gpuE9ELNS1_3repE0EEENS1_30default_config_static_selectorELNS0_4arch9wavefront6targetE0EEEvT1_.uses_vcc, 0
	.set _ZN7rocprim17ROCPRIM_400000_NS6detail17trampoline_kernelINS0_14default_configENS1_25partition_config_selectorILNS1_17partition_subalgoE6EiNS0_10empty_typeEbEEZZNS1_14partition_implILS5_6ELb0ES3_mN6thrust23THRUST_200600_302600_NS6detail15normal_iteratorINSA_10device_ptrIiEEEEPS6_SG_NS0_5tupleIJNSA_16discard_iteratorINSA_11use_defaultEEES6_EEENSH_IJSG_SG_EEES6_PlJNSB_9not_fun_tI7is_trueIiEEEEEE10hipError_tPvRmT3_T4_T5_T6_T7_T9_mT8_P12ihipStream_tbDpT10_ENKUlT_T0_E_clISt17integral_constantIbLb1EES1B_EEDaS16_S17_EUlS16_E_NS1_11comp_targetILNS1_3genE5ELNS1_11target_archE942ELNS1_3gpuE9ELNS1_3repE0EEENS1_30default_config_static_selectorELNS0_4arch9wavefront6targetE0EEEvT1_.uses_flat_scratch, 0
	.set _ZN7rocprim17ROCPRIM_400000_NS6detail17trampoline_kernelINS0_14default_configENS1_25partition_config_selectorILNS1_17partition_subalgoE6EiNS0_10empty_typeEbEEZZNS1_14partition_implILS5_6ELb0ES3_mN6thrust23THRUST_200600_302600_NS6detail15normal_iteratorINSA_10device_ptrIiEEEEPS6_SG_NS0_5tupleIJNSA_16discard_iteratorINSA_11use_defaultEEES6_EEENSH_IJSG_SG_EEES6_PlJNSB_9not_fun_tI7is_trueIiEEEEEE10hipError_tPvRmT3_T4_T5_T6_T7_T9_mT8_P12ihipStream_tbDpT10_ENKUlT_T0_E_clISt17integral_constantIbLb1EES1B_EEDaS16_S17_EUlS16_E_NS1_11comp_targetILNS1_3genE5ELNS1_11target_archE942ELNS1_3gpuE9ELNS1_3repE0EEENS1_30default_config_static_selectorELNS0_4arch9wavefront6targetE0EEEvT1_.has_dyn_sized_stack, 0
	.set _ZN7rocprim17ROCPRIM_400000_NS6detail17trampoline_kernelINS0_14default_configENS1_25partition_config_selectorILNS1_17partition_subalgoE6EiNS0_10empty_typeEbEEZZNS1_14partition_implILS5_6ELb0ES3_mN6thrust23THRUST_200600_302600_NS6detail15normal_iteratorINSA_10device_ptrIiEEEEPS6_SG_NS0_5tupleIJNSA_16discard_iteratorINSA_11use_defaultEEES6_EEENSH_IJSG_SG_EEES6_PlJNSB_9not_fun_tI7is_trueIiEEEEEE10hipError_tPvRmT3_T4_T5_T6_T7_T9_mT8_P12ihipStream_tbDpT10_ENKUlT_T0_E_clISt17integral_constantIbLb1EES1B_EEDaS16_S17_EUlS16_E_NS1_11comp_targetILNS1_3genE5ELNS1_11target_archE942ELNS1_3gpuE9ELNS1_3repE0EEENS1_30default_config_static_selectorELNS0_4arch9wavefront6targetE0EEEvT1_.has_recursion, 0
	.set _ZN7rocprim17ROCPRIM_400000_NS6detail17trampoline_kernelINS0_14default_configENS1_25partition_config_selectorILNS1_17partition_subalgoE6EiNS0_10empty_typeEbEEZZNS1_14partition_implILS5_6ELb0ES3_mN6thrust23THRUST_200600_302600_NS6detail15normal_iteratorINSA_10device_ptrIiEEEEPS6_SG_NS0_5tupleIJNSA_16discard_iteratorINSA_11use_defaultEEES6_EEENSH_IJSG_SG_EEES6_PlJNSB_9not_fun_tI7is_trueIiEEEEEE10hipError_tPvRmT3_T4_T5_T6_T7_T9_mT8_P12ihipStream_tbDpT10_ENKUlT_T0_E_clISt17integral_constantIbLb1EES1B_EEDaS16_S17_EUlS16_E_NS1_11comp_targetILNS1_3genE5ELNS1_11target_archE942ELNS1_3gpuE9ELNS1_3repE0EEENS1_30default_config_static_selectorELNS0_4arch9wavefront6targetE0EEEvT1_.has_indirect_call, 0
	.section	.AMDGPU.csdata,"",@progbits
; Kernel info:
; codeLenInByte = 0
; TotalNumSgprs: 0
; NumVgprs: 0
; ScratchSize: 0
; MemoryBound: 0
; FloatMode: 240
; IeeeMode: 1
; LDSByteSize: 0 bytes/workgroup (compile time only)
; SGPRBlocks: 0
; VGPRBlocks: 0
; NumSGPRsForWavesPerEU: 1
; NumVGPRsForWavesPerEU: 1
; Occupancy: 16
; WaveLimiterHint : 0
; COMPUTE_PGM_RSRC2:SCRATCH_EN: 0
; COMPUTE_PGM_RSRC2:USER_SGPR: 2
; COMPUTE_PGM_RSRC2:TRAP_HANDLER: 0
; COMPUTE_PGM_RSRC2:TGID_X_EN: 1
; COMPUTE_PGM_RSRC2:TGID_Y_EN: 0
; COMPUTE_PGM_RSRC2:TGID_Z_EN: 0
; COMPUTE_PGM_RSRC2:TIDIG_COMP_CNT: 0
	.section	.text._ZN7rocprim17ROCPRIM_400000_NS6detail17trampoline_kernelINS0_14default_configENS1_25partition_config_selectorILNS1_17partition_subalgoE6EiNS0_10empty_typeEbEEZZNS1_14partition_implILS5_6ELb0ES3_mN6thrust23THRUST_200600_302600_NS6detail15normal_iteratorINSA_10device_ptrIiEEEEPS6_SG_NS0_5tupleIJNSA_16discard_iteratorINSA_11use_defaultEEES6_EEENSH_IJSG_SG_EEES6_PlJNSB_9not_fun_tI7is_trueIiEEEEEE10hipError_tPvRmT3_T4_T5_T6_T7_T9_mT8_P12ihipStream_tbDpT10_ENKUlT_T0_E_clISt17integral_constantIbLb1EES1B_EEDaS16_S17_EUlS16_E_NS1_11comp_targetILNS1_3genE4ELNS1_11target_archE910ELNS1_3gpuE8ELNS1_3repE0EEENS1_30default_config_static_selectorELNS0_4arch9wavefront6targetE0EEEvT1_,"axG",@progbits,_ZN7rocprim17ROCPRIM_400000_NS6detail17trampoline_kernelINS0_14default_configENS1_25partition_config_selectorILNS1_17partition_subalgoE6EiNS0_10empty_typeEbEEZZNS1_14partition_implILS5_6ELb0ES3_mN6thrust23THRUST_200600_302600_NS6detail15normal_iteratorINSA_10device_ptrIiEEEEPS6_SG_NS0_5tupleIJNSA_16discard_iteratorINSA_11use_defaultEEES6_EEENSH_IJSG_SG_EEES6_PlJNSB_9not_fun_tI7is_trueIiEEEEEE10hipError_tPvRmT3_T4_T5_T6_T7_T9_mT8_P12ihipStream_tbDpT10_ENKUlT_T0_E_clISt17integral_constantIbLb1EES1B_EEDaS16_S17_EUlS16_E_NS1_11comp_targetILNS1_3genE4ELNS1_11target_archE910ELNS1_3gpuE8ELNS1_3repE0EEENS1_30default_config_static_selectorELNS0_4arch9wavefront6targetE0EEEvT1_,comdat
	.protected	_ZN7rocprim17ROCPRIM_400000_NS6detail17trampoline_kernelINS0_14default_configENS1_25partition_config_selectorILNS1_17partition_subalgoE6EiNS0_10empty_typeEbEEZZNS1_14partition_implILS5_6ELb0ES3_mN6thrust23THRUST_200600_302600_NS6detail15normal_iteratorINSA_10device_ptrIiEEEEPS6_SG_NS0_5tupleIJNSA_16discard_iteratorINSA_11use_defaultEEES6_EEENSH_IJSG_SG_EEES6_PlJNSB_9not_fun_tI7is_trueIiEEEEEE10hipError_tPvRmT3_T4_T5_T6_T7_T9_mT8_P12ihipStream_tbDpT10_ENKUlT_T0_E_clISt17integral_constantIbLb1EES1B_EEDaS16_S17_EUlS16_E_NS1_11comp_targetILNS1_3genE4ELNS1_11target_archE910ELNS1_3gpuE8ELNS1_3repE0EEENS1_30default_config_static_selectorELNS0_4arch9wavefront6targetE0EEEvT1_ ; -- Begin function _ZN7rocprim17ROCPRIM_400000_NS6detail17trampoline_kernelINS0_14default_configENS1_25partition_config_selectorILNS1_17partition_subalgoE6EiNS0_10empty_typeEbEEZZNS1_14partition_implILS5_6ELb0ES3_mN6thrust23THRUST_200600_302600_NS6detail15normal_iteratorINSA_10device_ptrIiEEEEPS6_SG_NS0_5tupleIJNSA_16discard_iteratorINSA_11use_defaultEEES6_EEENSH_IJSG_SG_EEES6_PlJNSB_9not_fun_tI7is_trueIiEEEEEE10hipError_tPvRmT3_T4_T5_T6_T7_T9_mT8_P12ihipStream_tbDpT10_ENKUlT_T0_E_clISt17integral_constantIbLb1EES1B_EEDaS16_S17_EUlS16_E_NS1_11comp_targetILNS1_3genE4ELNS1_11target_archE910ELNS1_3gpuE8ELNS1_3repE0EEENS1_30default_config_static_selectorELNS0_4arch9wavefront6targetE0EEEvT1_
	.globl	_ZN7rocprim17ROCPRIM_400000_NS6detail17trampoline_kernelINS0_14default_configENS1_25partition_config_selectorILNS1_17partition_subalgoE6EiNS0_10empty_typeEbEEZZNS1_14partition_implILS5_6ELb0ES3_mN6thrust23THRUST_200600_302600_NS6detail15normal_iteratorINSA_10device_ptrIiEEEEPS6_SG_NS0_5tupleIJNSA_16discard_iteratorINSA_11use_defaultEEES6_EEENSH_IJSG_SG_EEES6_PlJNSB_9not_fun_tI7is_trueIiEEEEEE10hipError_tPvRmT3_T4_T5_T6_T7_T9_mT8_P12ihipStream_tbDpT10_ENKUlT_T0_E_clISt17integral_constantIbLb1EES1B_EEDaS16_S17_EUlS16_E_NS1_11comp_targetILNS1_3genE4ELNS1_11target_archE910ELNS1_3gpuE8ELNS1_3repE0EEENS1_30default_config_static_selectorELNS0_4arch9wavefront6targetE0EEEvT1_
	.p2align	8
	.type	_ZN7rocprim17ROCPRIM_400000_NS6detail17trampoline_kernelINS0_14default_configENS1_25partition_config_selectorILNS1_17partition_subalgoE6EiNS0_10empty_typeEbEEZZNS1_14partition_implILS5_6ELb0ES3_mN6thrust23THRUST_200600_302600_NS6detail15normal_iteratorINSA_10device_ptrIiEEEEPS6_SG_NS0_5tupleIJNSA_16discard_iteratorINSA_11use_defaultEEES6_EEENSH_IJSG_SG_EEES6_PlJNSB_9not_fun_tI7is_trueIiEEEEEE10hipError_tPvRmT3_T4_T5_T6_T7_T9_mT8_P12ihipStream_tbDpT10_ENKUlT_T0_E_clISt17integral_constantIbLb1EES1B_EEDaS16_S17_EUlS16_E_NS1_11comp_targetILNS1_3genE4ELNS1_11target_archE910ELNS1_3gpuE8ELNS1_3repE0EEENS1_30default_config_static_selectorELNS0_4arch9wavefront6targetE0EEEvT1_,@function
_ZN7rocprim17ROCPRIM_400000_NS6detail17trampoline_kernelINS0_14default_configENS1_25partition_config_selectorILNS1_17partition_subalgoE6EiNS0_10empty_typeEbEEZZNS1_14partition_implILS5_6ELb0ES3_mN6thrust23THRUST_200600_302600_NS6detail15normal_iteratorINSA_10device_ptrIiEEEEPS6_SG_NS0_5tupleIJNSA_16discard_iteratorINSA_11use_defaultEEES6_EEENSH_IJSG_SG_EEES6_PlJNSB_9not_fun_tI7is_trueIiEEEEEE10hipError_tPvRmT3_T4_T5_T6_T7_T9_mT8_P12ihipStream_tbDpT10_ENKUlT_T0_E_clISt17integral_constantIbLb1EES1B_EEDaS16_S17_EUlS16_E_NS1_11comp_targetILNS1_3genE4ELNS1_11target_archE910ELNS1_3gpuE8ELNS1_3repE0EEENS1_30default_config_static_selectorELNS0_4arch9wavefront6targetE0EEEvT1_: ; @_ZN7rocprim17ROCPRIM_400000_NS6detail17trampoline_kernelINS0_14default_configENS1_25partition_config_selectorILNS1_17partition_subalgoE6EiNS0_10empty_typeEbEEZZNS1_14partition_implILS5_6ELb0ES3_mN6thrust23THRUST_200600_302600_NS6detail15normal_iteratorINSA_10device_ptrIiEEEEPS6_SG_NS0_5tupleIJNSA_16discard_iteratorINSA_11use_defaultEEES6_EEENSH_IJSG_SG_EEES6_PlJNSB_9not_fun_tI7is_trueIiEEEEEE10hipError_tPvRmT3_T4_T5_T6_T7_T9_mT8_P12ihipStream_tbDpT10_ENKUlT_T0_E_clISt17integral_constantIbLb1EES1B_EEDaS16_S17_EUlS16_E_NS1_11comp_targetILNS1_3genE4ELNS1_11target_archE910ELNS1_3gpuE8ELNS1_3repE0EEENS1_30default_config_static_selectorELNS0_4arch9wavefront6targetE0EEEvT1_
; %bb.0:
	.section	.rodata,"a",@progbits
	.p2align	6, 0x0
	.amdhsa_kernel _ZN7rocprim17ROCPRIM_400000_NS6detail17trampoline_kernelINS0_14default_configENS1_25partition_config_selectorILNS1_17partition_subalgoE6EiNS0_10empty_typeEbEEZZNS1_14partition_implILS5_6ELb0ES3_mN6thrust23THRUST_200600_302600_NS6detail15normal_iteratorINSA_10device_ptrIiEEEEPS6_SG_NS0_5tupleIJNSA_16discard_iteratorINSA_11use_defaultEEES6_EEENSH_IJSG_SG_EEES6_PlJNSB_9not_fun_tI7is_trueIiEEEEEE10hipError_tPvRmT3_T4_T5_T6_T7_T9_mT8_P12ihipStream_tbDpT10_ENKUlT_T0_E_clISt17integral_constantIbLb1EES1B_EEDaS16_S17_EUlS16_E_NS1_11comp_targetILNS1_3genE4ELNS1_11target_archE910ELNS1_3gpuE8ELNS1_3repE0EEENS1_30default_config_static_selectorELNS0_4arch9wavefront6targetE0EEEvT1_
		.amdhsa_group_segment_fixed_size 0
		.amdhsa_private_segment_fixed_size 0
		.amdhsa_kernarg_size 136
		.amdhsa_user_sgpr_count 2
		.amdhsa_user_sgpr_dispatch_ptr 0
		.amdhsa_user_sgpr_queue_ptr 0
		.amdhsa_user_sgpr_kernarg_segment_ptr 1
		.amdhsa_user_sgpr_dispatch_id 0
		.amdhsa_user_sgpr_private_segment_size 0
		.amdhsa_wavefront_size32 1
		.amdhsa_uses_dynamic_stack 0
		.amdhsa_enable_private_segment 0
		.amdhsa_system_sgpr_workgroup_id_x 1
		.amdhsa_system_sgpr_workgroup_id_y 0
		.amdhsa_system_sgpr_workgroup_id_z 0
		.amdhsa_system_sgpr_workgroup_info 0
		.amdhsa_system_vgpr_workitem_id 0
		.amdhsa_next_free_vgpr 1
		.amdhsa_next_free_sgpr 1
		.amdhsa_reserve_vcc 0
		.amdhsa_float_round_mode_32 0
		.amdhsa_float_round_mode_16_64 0
		.amdhsa_float_denorm_mode_32 3
		.amdhsa_float_denorm_mode_16_64 3
		.amdhsa_fp16_overflow 0
		.amdhsa_workgroup_processor_mode 1
		.amdhsa_memory_ordered 1
		.amdhsa_forward_progress 1
		.amdhsa_inst_pref_size 0
		.amdhsa_round_robin_scheduling 0
		.amdhsa_exception_fp_ieee_invalid_op 0
		.amdhsa_exception_fp_denorm_src 0
		.amdhsa_exception_fp_ieee_div_zero 0
		.amdhsa_exception_fp_ieee_overflow 0
		.amdhsa_exception_fp_ieee_underflow 0
		.amdhsa_exception_fp_ieee_inexact 0
		.amdhsa_exception_int_div_zero 0
	.end_amdhsa_kernel
	.section	.text._ZN7rocprim17ROCPRIM_400000_NS6detail17trampoline_kernelINS0_14default_configENS1_25partition_config_selectorILNS1_17partition_subalgoE6EiNS0_10empty_typeEbEEZZNS1_14partition_implILS5_6ELb0ES3_mN6thrust23THRUST_200600_302600_NS6detail15normal_iteratorINSA_10device_ptrIiEEEEPS6_SG_NS0_5tupleIJNSA_16discard_iteratorINSA_11use_defaultEEES6_EEENSH_IJSG_SG_EEES6_PlJNSB_9not_fun_tI7is_trueIiEEEEEE10hipError_tPvRmT3_T4_T5_T6_T7_T9_mT8_P12ihipStream_tbDpT10_ENKUlT_T0_E_clISt17integral_constantIbLb1EES1B_EEDaS16_S17_EUlS16_E_NS1_11comp_targetILNS1_3genE4ELNS1_11target_archE910ELNS1_3gpuE8ELNS1_3repE0EEENS1_30default_config_static_selectorELNS0_4arch9wavefront6targetE0EEEvT1_,"axG",@progbits,_ZN7rocprim17ROCPRIM_400000_NS6detail17trampoline_kernelINS0_14default_configENS1_25partition_config_selectorILNS1_17partition_subalgoE6EiNS0_10empty_typeEbEEZZNS1_14partition_implILS5_6ELb0ES3_mN6thrust23THRUST_200600_302600_NS6detail15normal_iteratorINSA_10device_ptrIiEEEEPS6_SG_NS0_5tupleIJNSA_16discard_iteratorINSA_11use_defaultEEES6_EEENSH_IJSG_SG_EEES6_PlJNSB_9not_fun_tI7is_trueIiEEEEEE10hipError_tPvRmT3_T4_T5_T6_T7_T9_mT8_P12ihipStream_tbDpT10_ENKUlT_T0_E_clISt17integral_constantIbLb1EES1B_EEDaS16_S17_EUlS16_E_NS1_11comp_targetILNS1_3genE4ELNS1_11target_archE910ELNS1_3gpuE8ELNS1_3repE0EEENS1_30default_config_static_selectorELNS0_4arch9wavefront6targetE0EEEvT1_,comdat
.Lfunc_end2279:
	.size	_ZN7rocprim17ROCPRIM_400000_NS6detail17trampoline_kernelINS0_14default_configENS1_25partition_config_selectorILNS1_17partition_subalgoE6EiNS0_10empty_typeEbEEZZNS1_14partition_implILS5_6ELb0ES3_mN6thrust23THRUST_200600_302600_NS6detail15normal_iteratorINSA_10device_ptrIiEEEEPS6_SG_NS0_5tupleIJNSA_16discard_iteratorINSA_11use_defaultEEES6_EEENSH_IJSG_SG_EEES6_PlJNSB_9not_fun_tI7is_trueIiEEEEEE10hipError_tPvRmT3_T4_T5_T6_T7_T9_mT8_P12ihipStream_tbDpT10_ENKUlT_T0_E_clISt17integral_constantIbLb1EES1B_EEDaS16_S17_EUlS16_E_NS1_11comp_targetILNS1_3genE4ELNS1_11target_archE910ELNS1_3gpuE8ELNS1_3repE0EEENS1_30default_config_static_selectorELNS0_4arch9wavefront6targetE0EEEvT1_, .Lfunc_end2279-_ZN7rocprim17ROCPRIM_400000_NS6detail17trampoline_kernelINS0_14default_configENS1_25partition_config_selectorILNS1_17partition_subalgoE6EiNS0_10empty_typeEbEEZZNS1_14partition_implILS5_6ELb0ES3_mN6thrust23THRUST_200600_302600_NS6detail15normal_iteratorINSA_10device_ptrIiEEEEPS6_SG_NS0_5tupleIJNSA_16discard_iteratorINSA_11use_defaultEEES6_EEENSH_IJSG_SG_EEES6_PlJNSB_9not_fun_tI7is_trueIiEEEEEE10hipError_tPvRmT3_T4_T5_T6_T7_T9_mT8_P12ihipStream_tbDpT10_ENKUlT_T0_E_clISt17integral_constantIbLb1EES1B_EEDaS16_S17_EUlS16_E_NS1_11comp_targetILNS1_3genE4ELNS1_11target_archE910ELNS1_3gpuE8ELNS1_3repE0EEENS1_30default_config_static_selectorELNS0_4arch9wavefront6targetE0EEEvT1_
                                        ; -- End function
	.set _ZN7rocprim17ROCPRIM_400000_NS6detail17trampoline_kernelINS0_14default_configENS1_25partition_config_selectorILNS1_17partition_subalgoE6EiNS0_10empty_typeEbEEZZNS1_14partition_implILS5_6ELb0ES3_mN6thrust23THRUST_200600_302600_NS6detail15normal_iteratorINSA_10device_ptrIiEEEEPS6_SG_NS0_5tupleIJNSA_16discard_iteratorINSA_11use_defaultEEES6_EEENSH_IJSG_SG_EEES6_PlJNSB_9not_fun_tI7is_trueIiEEEEEE10hipError_tPvRmT3_T4_T5_T6_T7_T9_mT8_P12ihipStream_tbDpT10_ENKUlT_T0_E_clISt17integral_constantIbLb1EES1B_EEDaS16_S17_EUlS16_E_NS1_11comp_targetILNS1_3genE4ELNS1_11target_archE910ELNS1_3gpuE8ELNS1_3repE0EEENS1_30default_config_static_selectorELNS0_4arch9wavefront6targetE0EEEvT1_.num_vgpr, 0
	.set _ZN7rocprim17ROCPRIM_400000_NS6detail17trampoline_kernelINS0_14default_configENS1_25partition_config_selectorILNS1_17partition_subalgoE6EiNS0_10empty_typeEbEEZZNS1_14partition_implILS5_6ELb0ES3_mN6thrust23THRUST_200600_302600_NS6detail15normal_iteratorINSA_10device_ptrIiEEEEPS6_SG_NS0_5tupleIJNSA_16discard_iteratorINSA_11use_defaultEEES6_EEENSH_IJSG_SG_EEES6_PlJNSB_9not_fun_tI7is_trueIiEEEEEE10hipError_tPvRmT3_T4_T5_T6_T7_T9_mT8_P12ihipStream_tbDpT10_ENKUlT_T0_E_clISt17integral_constantIbLb1EES1B_EEDaS16_S17_EUlS16_E_NS1_11comp_targetILNS1_3genE4ELNS1_11target_archE910ELNS1_3gpuE8ELNS1_3repE0EEENS1_30default_config_static_selectorELNS0_4arch9wavefront6targetE0EEEvT1_.num_agpr, 0
	.set _ZN7rocprim17ROCPRIM_400000_NS6detail17trampoline_kernelINS0_14default_configENS1_25partition_config_selectorILNS1_17partition_subalgoE6EiNS0_10empty_typeEbEEZZNS1_14partition_implILS5_6ELb0ES3_mN6thrust23THRUST_200600_302600_NS6detail15normal_iteratorINSA_10device_ptrIiEEEEPS6_SG_NS0_5tupleIJNSA_16discard_iteratorINSA_11use_defaultEEES6_EEENSH_IJSG_SG_EEES6_PlJNSB_9not_fun_tI7is_trueIiEEEEEE10hipError_tPvRmT3_T4_T5_T6_T7_T9_mT8_P12ihipStream_tbDpT10_ENKUlT_T0_E_clISt17integral_constantIbLb1EES1B_EEDaS16_S17_EUlS16_E_NS1_11comp_targetILNS1_3genE4ELNS1_11target_archE910ELNS1_3gpuE8ELNS1_3repE0EEENS1_30default_config_static_selectorELNS0_4arch9wavefront6targetE0EEEvT1_.numbered_sgpr, 0
	.set _ZN7rocprim17ROCPRIM_400000_NS6detail17trampoline_kernelINS0_14default_configENS1_25partition_config_selectorILNS1_17partition_subalgoE6EiNS0_10empty_typeEbEEZZNS1_14partition_implILS5_6ELb0ES3_mN6thrust23THRUST_200600_302600_NS6detail15normal_iteratorINSA_10device_ptrIiEEEEPS6_SG_NS0_5tupleIJNSA_16discard_iteratorINSA_11use_defaultEEES6_EEENSH_IJSG_SG_EEES6_PlJNSB_9not_fun_tI7is_trueIiEEEEEE10hipError_tPvRmT3_T4_T5_T6_T7_T9_mT8_P12ihipStream_tbDpT10_ENKUlT_T0_E_clISt17integral_constantIbLb1EES1B_EEDaS16_S17_EUlS16_E_NS1_11comp_targetILNS1_3genE4ELNS1_11target_archE910ELNS1_3gpuE8ELNS1_3repE0EEENS1_30default_config_static_selectorELNS0_4arch9wavefront6targetE0EEEvT1_.num_named_barrier, 0
	.set _ZN7rocprim17ROCPRIM_400000_NS6detail17trampoline_kernelINS0_14default_configENS1_25partition_config_selectorILNS1_17partition_subalgoE6EiNS0_10empty_typeEbEEZZNS1_14partition_implILS5_6ELb0ES3_mN6thrust23THRUST_200600_302600_NS6detail15normal_iteratorINSA_10device_ptrIiEEEEPS6_SG_NS0_5tupleIJNSA_16discard_iteratorINSA_11use_defaultEEES6_EEENSH_IJSG_SG_EEES6_PlJNSB_9not_fun_tI7is_trueIiEEEEEE10hipError_tPvRmT3_T4_T5_T6_T7_T9_mT8_P12ihipStream_tbDpT10_ENKUlT_T0_E_clISt17integral_constantIbLb1EES1B_EEDaS16_S17_EUlS16_E_NS1_11comp_targetILNS1_3genE4ELNS1_11target_archE910ELNS1_3gpuE8ELNS1_3repE0EEENS1_30default_config_static_selectorELNS0_4arch9wavefront6targetE0EEEvT1_.private_seg_size, 0
	.set _ZN7rocprim17ROCPRIM_400000_NS6detail17trampoline_kernelINS0_14default_configENS1_25partition_config_selectorILNS1_17partition_subalgoE6EiNS0_10empty_typeEbEEZZNS1_14partition_implILS5_6ELb0ES3_mN6thrust23THRUST_200600_302600_NS6detail15normal_iteratorINSA_10device_ptrIiEEEEPS6_SG_NS0_5tupleIJNSA_16discard_iteratorINSA_11use_defaultEEES6_EEENSH_IJSG_SG_EEES6_PlJNSB_9not_fun_tI7is_trueIiEEEEEE10hipError_tPvRmT3_T4_T5_T6_T7_T9_mT8_P12ihipStream_tbDpT10_ENKUlT_T0_E_clISt17integral_constantIbLb1EES1B_EEDaS16_S17_EUlS16_E_NS1_11comp_targetILNS1_3genE4ELNS1_11target_archE910ELNS1_3gpuE8ELNS1_3repE0EEENS1_30default_config_static_selectorELNS0_4arch9wavefront6targetE0EEEvT1_.uses_vcc, 0
	.set _ZN7rocprim17ROCPRIM_400000_NS6detail17trampoline_kernelINS0_14default_configENS1_25partition_config_selectorILNS1_17partition_subalgoE6EiNS0_10empty_typeEbEEZZNS1_14partition_implILS5_6ELb0ES3_mN6thrust23THRUST_200600_302600_NS6detail15normal_iteratorINSA_10device_ptrIiEEEEPS6_SG_NS0_5tupleIJNSA_16discard_iteratorINSA_11use_defaultEEES6_EEENSH_IJSG_SG_EEES6_PlJNSB_9not_fun_tI7is_trueIiEEEEEE10hipError_tPvRmT3_T4_T5_T6_T7_T9_mT8_P12ihipStream_tbDpT10_ENKUlT_T0_E_clISt17integral_constantIbLb1EES1B_EEDaS16_S17_EUlS16_E_NS1_11comp_targetILNS1_3genE4ELNS1_11target_archE910ELNS1_3gpuE8ELNS1_3repE0EEENS1_30default_config_static_selectorELNS0_4arch9wavefront6targetE0EEEvT1_.uses_flat_scratch, 0
	.set _ZN7rocprim17ROCPRIM_400000_NS6detail17trampoline_kernelINS0_14default_configENS1_25partition_config_selectorILNS1_17partition_subalgoE6EiNS0_10empty_typeEbEEZZNS1_14partition_implILS5_6ELb0ES3_mN6thrust23THRUST_200600_302600_NS6detail15normal_iteratorINSA_10device_ptrIiEEEEPS6_SG_NS0_5tupleIJNSA_16discard_iteratorINSA_11use_defaultEEES6_EEENSH_IJSG_SG_EEES6_PlJNSB_9not_fun_tI7is_trueIiEEEEEE10hipError_tPvRmT3_T4_T5_T6_T7_T9_mT8_P12ihipStream_tbDpT10_ENKUlT_T0_E_clISt17integral_constantIbLb1EES1B_EEDaS16_S17_EUlS16_E_NS1_11comp_targetILNS1_3genE4ELNS1_11target_archE910ELNS1_3gpuE8ELNS1_3repE0EEENS1_30default_config_static_selectorELNS0_4arch9wavefront6targetE0EEEvT1_.has_dyn_sized_stack, 0
	.set _ZN7rocprim17ROCPRIM_400000_NS6detail17trampoline_kernelINS0_14default_configENS1_25partition_config_selectorILNS1_17partition_subalgoE6EiNS0_10empty_typeEbEEZZNS1_14partition_implILS5_6ELb0ES3_mN6thrust23THRUST_200600_302600_NS6detail15normal_iteratorINSA_10device_ptrIiEEEEPS6_SG_NS0_5tupleIJNSA_16discard_iteratorINSA_11use_defaultEEES6_EEENSH_IJSG_SG_EEES6_PlJNSB_9not_fun_tI7is_trueIiEEEEEE10hipError_tPvRmT3_T4_T5_T6_T7_T9_mT8_P12ihipStream_tbDpT10_ENKUlT_T0_E_clISt17integral_constantIbLb1EES1B_EEDaS16_S17_EUlS16_E_NS1_11comp_targetILNS1_3genE4ELNS1_11target_archE910ELNS1_3gpuE8ELNS1_3repE0EEENS1_30default_config_static_selectorELNS0_4arch9wavefront6targetE0EEEvT1_.has_recursion, 0
	.set _ZN7rocprim17ROCPRIM_400000_NS6detail17trampoline_kernelINS0_14default_configENS1_25partition_config_selectorILNS1_17partition_subalgoE6EiNS0_10empty_typeEbEEZZNS1_14partition_implILS5_6ELb0ES3_mN6thrust23THRUST_200600_302600_NS6detail15normal_iteratorINSA_10device_ptrIiEEEEPS6_SG_NS0_5tupleIJNSA_16discard_iteratorINSA_11use_defaultEEES6_EEENSH_IJSG_SG_EEES6_PlJNSB_9not_fun_tI7is_trueIiEEEEEE10hipError_tPvRmT3_T4_T5_T6_T7_T9_mT8_P12ihipStream_tbDpT10_ENKUlT_T0_E_clISt17integral_constantIbLb1EES1B_EEDaS16_S17_EUlS16_E_NS1_11comp_targetILNS1_3genE4ELNS1_11target_archE910ELNS1_3gpuE8ELNS1_3repE0EEENS1_30default_config_static_selectorELNS0_4arch9wavefront6targetE0EEEvT1_.has_indirect_call, 0
	.section	.AMDGPU.csdata,"",@progbits
; Kernel info:
; codeLenInByte = 0
; TotalNumSgprs: 0
; NumVgprs: 0
; ScratchSize: 0
; MemoryBound: 0
; FloatMode: 240
; IeeeMode: 1
; LDSByteSize: 0 bytes/workgroup (compile time only)
; SGPRBlocks: 0
; VGPRBlocks: 0
; NumSGPRsForWavesPerEU: 1
; NumVGPRsForWavesPerEU: 1
; Occupancy: 16
; WaveLimiterHint : 0
; COMPUTE_PGM_RSRC2:SCRATCH_EN: 0
; COMPUTE_PGM_RSRC2:USER_SGPR: 2
; COMPUTE_PGM_RSRC2:TRAP_HANDLER: 0
; COMPUTE_PGM_RSRC2:TGID_X_EN: 1
; COMPUTE_PGM_RSRC2:TGID_Y_EN: 0
; COMPUTE_PGM_RSRC2:TGID_Z_EN: 0
; COMPUTE_PGM_RSRC2:TIDIG_COMP_CNT: 0
	.section	.text._ZN7rocprim17ROCPRIM_400000_NS6detail17trampoline_kernelINS0_14default_configENS1_25partition_config_selectorILNS1_17partition_subalgoE6EiNS0_10empty_typeEbEEZZNS1_14partition_implILS5_6ELb0ES3_mN6thrust23THRUST_200600_302600_NS6detail15normal_iteratorINSA_10device_ptrIiEEEEPS6_SG_NS0_5tupleIJNSA_16discard_iteratorINSA_11use_defaultEEES6_EEENSH_IJSG_SG_EEES6_PlJNSB_9not_fun_tI7is_trueIiEEEEEE10hipError_tPvRmT3_T4_T5_T6_T7_T9_mT8_P12ihipStream_tbDpT10_ENKUlT_T0_E_clISt17integral_constantIbLb1EES1B_EEDaS16_S17_EUlS16_E_NS1_11comp_targetILNS1_3genE3ELNS1_11target_archE908ELNS1_3gpuE7ELNS1_3repE0EEENS1_30default_config_static_selectorELNS0_4arch9wavefront6targetE0EEEvT1_,"axG",@progbits,_ZN7rocprim17ROCPRIM_400000_NS6detail17trampoline_kernelINS0_14default_configENS1_25partition_config_selectorILNS1_17partition_subalgoE6EiNS0_10empty_typeEbEEZZNS1_14partition_implILS5_6ELb0ES3_mN6thrust23THRUST_200600_302600_NS6detail15normal_iteratorINSA_10device_ptrIiEEEEPS6_SG_NS0_5tupleIJNSA_16discard_iteratorINSA_11use_defaultEEES6_EEENSH_IJSG_SG_EEES6_PlJNSB_9not_fun_tI7is_trueIiEEEEEE10hipError_tPvRmT3_T4_T5_T6_T7_T9_mT8_P12ihipStream_tbDpT10_ENKUlT_T0_E_clISt17integral_constantIbLb1EES1B_EEDaS16_S17_EUlS16_E_NS1_11comp_targetILNS1_3genE3ELNS1_11target_archE908ELNS1_3gpuE7ELNS1_3repE0EEENS1_30default_config_static_selectorELNS0_4arch9wavefront6targetE0EEEvT1_,comdat
	.protected	_ZN7rocprim17ROCPRIM_400000_NS6detail17trampoline_kernelINS0_14default_configENS1_25partition_config_selectorILNS1_17partition_subalgoE6EiNS0_10empty_typeEbEEZZNS1_14partition_implILS5_6ELb0ES3_mN6thrust23THRUST_200600_302600_NS6detail15normal_iteratorINSA_10device_ptrIiEEEEPS6_SG_NS0_5tupleIJNSA_16discard_iteratorINSA_11use_defaultEEES6_EEENSH_IJSG_SG_EEES6_PlJNSB_9not_fun_tI7is_trueIiEEEEEE10hipError_tPvRmT3_T4_T5_T6_T7_T9_mT8_P12ihipStream_tbDpT10_ENKUlT_T0_E_clISt17integral_constantIbLb1EES1B_EEDaS16_S17_EUlS16_E_NS1_11comp_targetILNS1_3genE3ELNS1_11target_archE908ELNS1_3gpuE7ELNS1_3repE0EEENS1_30default_config_static_selectorELNS0_4arch9wavefront6targetE0EEEvT1_ ; -- Begin function _ZN7rocprim17ROCPRIM_400000_NS6detail17trampoline_kernelINS0_14default_configENS1_25partition_config_selectorILNS1_17partition_subalgoE6EiNS0_10empty_typeEbEEZZNS1_14partition_implILS5_6ELb0ES3_mN6thrust23THRUST_200600_302600_NS6detail15normal_iteratorINSA_10device_ptrIiEEEEPS6_SG_NS0_5tupleIJNSA_16discard_iteratorINSA_11use_defaultEEES6_EEENSH_IJSG_SG_EEES6_PlJNSB_9not_fun_tI7is_trueIiEEEEEE10hipError_tPvRmT3_T4_T5_T6_T7_T9_mT8_P12ihipStream_tbDpT10_ENKUlT_T0_E_clISt17integral_constantIbLb1EES1B_EEDaS16_S17_EUlS16_E_NS1_11comp_targetILNS1_3genE3ELNS1_11target_archE908ELNS1_3gpuE7ELNS1_3repE0EEENS1_30default_config_static_selectorELNS0_4arch9wavefront6targetE0EEEvT1_
	.globl	_ZN7rocprim17ROCPRIM_400000_NS6detail17trampoline_kernelINS0_14default_configENS1_25partition_config_selectorILNS1_17partition_subalgoE6EiNS0_10empty_typeEbEEZZNS1_14partition_implILS5_6ELb0ES3_mN6thrust23THRUST_200600_302600_NS6detail15normal_iteratorINSA_10device_ptrIiEEEEPS6_SG_NS0_5tupleIJNSA_16discard_iteratorINSA_11use_defaultEEES6_EEENSH_IJSG_SG_EEES6_PlJNSB_9not_fun_tI7is_trueIiEEEEEE10hipError_tPvRmT3_T4_T5_T6_T7_T9_mT8_P12ihipStream_tbDpT10_ENKUlT_T0_E_clISt17integral_constantIbLb1EES1B_EEDaS16_S17_EUlS16_E_NS1_11comp_targetILNS1_3genE3ELNS1_11target_archE908ELNS1_3gpuE7ELNS1_3repE0EEENS1_30default_config_static_selectorELNS0_4arch9wavefront6targetE0EEEvT1_
	.p2align	8
	.type	_ZN7rocprim17ROCPRIM_400000_NS6detail17trampoline_kernelINS0_14default_configENS1_25partition_config_selectorILNS1_17partition_subalgoE6EiNS0_10empty_typeEbEEZZNS1_14partition_implILS5_6ELb0ES3_mN6thrust23THRUST_200600_302600_NS6detail15normal_iteratorINSA_10device_ptrIiEEEEPS6_SG_NS0_5tupleIJNSA_16discard_iteratorINSA_11use_defaultEEES6_EEENSH_IJSG_SG_EEES6_PlJNSB_9not_fun_tI7is_trueIiEEEEEE10hipError_tPvRmT3_T4_T5_T6_T7_T9_mT8_P12ihipStream_tbDpT10_ENKUlT_T0_E_clISt17integral_constantIbLb1EES1B_EEDaS16_S17_EUlS16_E_NS1_11comp_targetILNS1_3genE3ELNS1_11target_archE908ELNS1_3gpuE7ELNS1_3repE0EEENS1_30default_config_static_selectorELNS0_4arch9wavefront6targetE0EEEvT1_,@function
_ZN7rocprim17ROCPRIM_400000_NS6detail17trampoline_kernelINS0_14default_configENS1_25partition_config_selectorILNS1_17partition_subalgoE6EiNS0_10empty_typeEbEEZZNS1_14partition_implILS5_6ELb0ES3_mN6thrust23THRUST_200600_302600_NS6detail15normal_iteratorINSA_10device_ptrIiEEEEPS6_SG_NS0_5tupleIJNSA_16discard_iteratorINSA_11use_defaultEEES6_EEENSH_IJSG_SG_EEES6_PlJNSB_9not_fun_tI7is_trueIiEEEEEE10hipError_tPvRmT3_T4_T5_T6_T7_T9_mT8_P12ihipStream_tbDpT10_ENKUlT_T0_E_clISt17integral_constantIbLb1EES1B_EEDaS16_S17_EUlS16_E_NS1_11comp_targetILNS1_3genE3ELNS1_11target_archE908ELNS1_3gpuE7ELNS1_3repE0EEENS1_30default_config_static_selectorELNS0_4arch9wavefront6targetE0EEEvT1_: ; @_ZN7rocprim17ROCPRIM_400000_NS6detail17trampoline_kernelINS0_14default_configENS1_25partition_config_selectorILNS1_17partition_subalgoE6EiNS0_10empty_typeEbEEZZNS1_14partition_implILS5_6ELb0ES3_mN6thrust23THRUST_200600_302600_NS6detail15normal_iteratorINSA_10device_ptrIiEEEEPS6_SG_NS0_5tupleIJNSA_16discard_iteratorINSA_11use_defaultEEES6_EEENSH_IJSG_SG_EEES6_PlJNSB_9not_fun_tI7is_trueIiEEEEEE10hipError_tPvRmT3_T4_T5_T6_T7_T9_mT8_P12ihipStream_tbDpT10_ENKUlT_T0_E_clISt17integral_constantIbLb1EES1B_EEDaS16_S17_EUlS16_E_NS1_11comp_targetILNS1_3genE3ELNS1_11target_archE908ELNS1_3gpuE7ELNS1_3repE0EEENS1_30default_config_static_selectorELNS0_4arch9wavefront6targetE0EEEvT1_
; %bb.0:
	.section	.rodata,"a",@progbits
	.p2align	6, 0x0
	.amdhsa_kernel _ZN7rocprim17ROCPRIM_400000_NS6detail17trampoline_kernelINS0_14default_configENS1_25partition_config_selectorILNS1_17partition_subalgoE6EiNS0_10empty_typeEbEEZZNS1_14partition_implILS5_6ELb0ES3_mN6thrust23THRUST_200600_302600_NS6detail15normal_iteratorINSA_10device_ptrIiEEEEPS6_SG_NS0_5tupleIJNSA_16discard_iteratorINSA_11use_defaultEEES6_EEENSH_IJSG_SG_EEES6_PlJNSB_9not_fun_tI7is_trueIiEEEEEE10hipError_tPvRmT3_T4_T5_T6_T7_T9_mT8_P12ihipStream_tbDpT10_ENKUlT_T0_E_clISt17integral_constantIbLb1EES1B_EEDaS16_S17_EUlS16_E_NS1_11comp_targetILNS1_3genE3ELNS1_11target_archE908ELNS1_3gpuE7ELNS1_3repE0EEENS1_30default_config_static_selectorELNS0_4arch9wavefront6targetE0EEEvT1_
		.amdhsa_group_segment_fixed_size 0
		.amdhsa_private_segment_fixed_size 0
		.amdhsa_kernarg_size 136
		.amdhsa_user_sgpr_count 2
		.amdhsa_user_sgpr_dispatch_ptr 0
		.amdhsa_user_sgpr_queue_ptr 0
		.amdhsa_user_sgpr_kernarg_segment_ptr 1
		.amdhsa_user_sgpr_dispatch_id 0
		.amdhsa_user_sgpr_private_segment_size 0
		.amdhsa_wavefront_size32 1
		.amdhsa_uses_dynamic_stack 0
		.amdhsa_enable_private_segment 0
		.amdhsa_system_sgpr_workgroup_id_x 1
		.amdhsa_system_sgpr_workgroup_id_y 0
		.amdhsa_system_sgpr_workgroup_id_z 0
		.amdhsa_system_sgpr_workgroup_info 0
		.amdhsa_system_vgpr_workitem_id 0
		.amdhsa_next_free_vgpr 1
		.amdhsa_next_free_sgpr 1
		.amdhsa_reserve_vcc 0
		.amdhsa_float_round_mode_32 0
		.amdhsa_float_round_mode_16_64 0
		.amdhsa_float_denorm_mode_32 3
		.amdhsa_float_denorm_mode_16_64 3
		.amdhsa_fp16_overflow 0
		.amdhsa_workgroup_processor_mode 1
		.amdhsa_memory_ordered 1
		.amdhsa_forward_progress 1
		.amdhsa_inst_pref_size 0
		.amdhsa_round_robin_scheduling 0
		.amdhsa_exception_fp_ieee_invalid_op 0
		.amdhsa_exception_fp_denorm_src 0
		.amdhsa_exception_fp_ieee_div_zero 0
		.amdhsa_exception_fp_ieee_overflow 0
		.amdhsa_exception_fp_ieee_underflow 0
		.amdhsa_exception_fp_ieee_inexact 0
		.amdhsa_exception_int_div_zero 0
	.end_amdhsa_kernel
	.section	.text._ZN7rocprim17ROCPRIM_400000_NS6detail17trampoline_kernelINS0_14default_configENS1_25partition_config_selectorILNS1_17partition_subalgoE6EiNS0_10empty_typeEbEEZZNS1_14partition_implILS5_6ELb0ES3_mN6thrust23THRUST_200600_302600_NS6detail15normal_iteratorINSA_10device_ptrIiEEEEPS6_SG_NS0_5tupleIJNSA_16discard_iteratorINSA_11use_defaultEEES6_EEENSH_IJSG_SG_EEES6_PlJNSB_9not_fun_tI7is_trueIiEEEEEE10hipError_tPvRmT3_T4_T5_T6_T7_T9_mT8_P12ihipStream_tbDpT10_ENKUlT_T0_E_clISt17integral_constantIbLb1EES1B_EEDaS16_S17_EUlS16_E_NS1_11comp_targetILNS1_3genE3ELNS1_11target_archE908ELNS1_3gpuE7ELNS1_3repE0EEENS1_30default_config_static_selectorELNS0_4arch9wavefront6targetE0EEEvT1_,"axG",@progbits,_ZN7rocprim17ROCPRIM_400000_NS6detail17trampoline_kernelINS0_14default_configENS1_25partition_config_selectorILNS1_17partition_subalgoE6EiNS0_10empty_typeEbEEZZNS1_14partition_implILS5_6ELb0ES3_mN6thrust23THRUST_200600_302600_NS6detail15normal_iteratorINSA_10device_ptrIiEEEEPS6_SG_NS0_5tupleIJNSA_16discard_iteratorINSA_11use_defaultEEES6_EEENSH_IJSG_SG_EEES6_PlJNSB_9not_fun_tI7is_trueIiEEEEEE10hipError_tPvRmT3_T4_T5_T6_T7_T9_mT8_P12ihipStream_tbDpT10_ENKUlT_T0_E_clISt17integral_constantIbLb1EES1B_EEDaS16_S17_EUlS16_E_NS1_11comp_targetILNS1_3genE3ELNS1_11target_archE908ELNS1_3gpuE7ELNS1_3repE0EEENS1_30default_config_static_selectorELNS0_4arch9wavefront6targetE0EEEvT1_,comdat
.Lfunc_end2280:
	.size	_ZN7rocprim17ROCPRIM_400000_NS6detail17trampoline_kernelINS0_14default_configENS1_25partition_config_selectorILNS1_17partition_subalgoE6EiNS0_10empty_typeEbEEZZNS1_14partition_implILS5_6ELb0ES3_mN6thrust23THRUST_200600_302600_NS6detail15normal_iteratorINSA_10device_ptrIiEEEEPS6_SG_NS0_5tupleIJNSA_16discard_iteratorINSA_11use_defaultEEES6_EEENSH_IJSG_SG_EEES6_PlJNSB_9not_fun_tI7is_trueIiEEEEEE10hipError_tPvRmT3_T4_T5_T6_T7_T9_mT8_P12ihipStream_tbDpT10_ENKUlT_T0_E_clISt17integral_constantIbLb1EES1B_EEDaS16_S17_EUlS16_E_NS1_11comp_targetILNS1_3genE3ELNS1_11target_archE908ELNS1_3gpuE7ELNS1_3repE0EEENS1_30default_config_static_selectorELNS0_4arch9wavefront6targetE0EEEvT1_, .Lfunc_end2280-_ZN7rocprim17ROCPRIM_400000_NS6detail17trampoline_kernelINS0_14default_configENS1_25partition_config_selectorILNS1_17partition_subalgoE6EiNS0_10empty_typeEbEEZZNS1_14partition_implILS5_6ELb0ES3_mN6thrust23THRUST_200600_302600_NS6detail15normal_iteratorINSA_10device_ptrIiEEEEPS6_SG_NS0_5tupleIJNSA_16discard_iteratorINSA_11use_defaultEEES6_EEENSH_IJSG_SG_EEES6_PlJNSB_9not_fun_tI7is_trueIiEEEEEE10hipError_tPvRmT3_T4_T5_T6_T7_T9_mT8_P12ihipStream_tbDpT10_ENKUlT_T0_E_clISt17integral_constantIbLb1EES1B_EEDaS16_S17_EUlS16_E_NS1_11comp_targetILNS1_3genE3ELNS1_11target_archE908ELNS1_3gpuE7ELNS1_3repE0EEENS1_30default_config_static_selectorELNS0_4arch9wavefront6targetE0EEEvT1_
                                        ; -- End function
	.set _ZN7rocprim17ROCPRIM_400000_NS6detail17trampoline_kernelINS0_14default_configENS1_25partition_config_selectorILNS1_17partition_subalgoE6EiNS0_10empty_typeEbEEZZNS1_14partition_implILS5_6ELb0ES3_mN6thrust23THRUST_200600_302600_NS6detail15normal_iteratorINSA_10device_ptrIiEEEEPS6_SG_NS0_5tupleIJNSA_16discard_iteratorINSA_11use_defaultEEES6_EEENSH_IJSG_SG_EEES6_PlJNSB_9not_fun_tI7is_trueIiEEEEEE10hipError_tPvRmT3_T4_T5_T6_T7_T9_mT8_P12ihipStream_tbDpT10_ENKUlT_T0_E_clISt17integral_constantIbLb1EES1B_EEDaS16_S17_EUlS16_E_NS1_11comp_targetILNS1_3genE3ELNS1_11target_archE908ELNS1_3gpuE7ELNS1_3repE0EEENS1_30default_config_static_selectorELNS0_4arch9wavefront6targetE0EEEvT1_.num_vgpr, 0
	.set _ZN7rocprim17ROCPRIM_400000_NS6detail17trampoline_kernelINS0_14default_configENS1_25partition_config_selectorILNS1_17partition_subalgoE6EiNS0_10empty_typeEbEEZZNS1_14partition_implILS5_6ELb0ES3_mN6thrust23THRUST_200600_302600_NS6detail15normal_iteratorINSA_10device_ptrIiEEEEPS6_SG_NS0_5tupleIJNSA_16discard_iteratorINSA_11use_defaultEEES6_EEENSH_IJSG_SG_EEES6_PlJNSB_9not_fun_tI7is_trueIiEEEEEE10hipError_tPvRmT3_T4_T5_T6_T7_T9_mT8_P12ihipStream_tbDpT10_ENKUlT_T0_E_clISt17integral_constantIbLb1EES1B_EEDaS16_S17_EUlS16_E_NS1_11comp_targetILNS1_3genE3ELNS1_11target_archE908ELNS1_3gpuE7ELNS1_3repE0EEENS1_30default_config_static_selectorELNS0_4arch9wavefront6targetE0EEEvT1_.num_agpr, 0
	.set _ZN7rocprim17ROCPRIM_400000_NS6detail17trampoline_kernelINS0_14default_configENS1_25partition_config_selectorILNS1_17partition_subalgoE6EiNS0_10empty_typeEbEEZZNS1_14partition_implILS5_6ELb0ES3_mN6thrust23THRUST_200600_302600_NS6detail15normal_iteratorINSA_10device_ptrIiEEEEPS6_SG_NS0_5tupleIJNSA_16discard_iteratorINSA_11use_defaultEEES6_EEENSH_IJSG_SG_EEES6_PlJNSB_9not_fun_tI7is_trueIiEEEEEE10hipError_tPvRmT3_T4_T5_T6_T7_T9_mT8_P12ihipStream_tbDpT10_ENKUlT_T0_E_clISt17integral_constantIbLb1EES1B_EEDaS16_S17_EUlS16_E_NS1_11comp_targetILNS1_3genE3ELNS1_11target_archE908ELNS1_3gpuE7ELNS1_3repE0EEENS1_30default_config_static_selectorELNS0_4arch9wavefront6targetE0EEEvT1_.numbered_sgpr, 0
	.set _ZN7rocprim17ROCPRIM_400000_NS6detail17trampoline_kernelINS0_14default_configENS1_25partition_config_selectorILNS1_17partition_subalgoE6EiNS0_10empty_typeEbEEZZNS1_14partition_implILS5_6ELb0ES3_mN6thrust23THRUST_200600_302600_NS6detail15normal_iteratorINSA_10device_ptrIiEEEEPS6_SG_NS0_5tupleIJNSA_16discard_iteratorINSA_11use_defaultEEES6_EEENSH_IJSG_SG_EEES6_PlJNSB_9not_fun_tI7is_trueIiEEEEEE10hipError_tPvRmT3_T4_T5_T6_T7_T9_mT8_P12ihipStream_tbDpT10_ENKUlT_T0_E_clISt17integral_constantIbLb1EES1B_EEDaS16_S17_EUlS16_E_NS1_11comp_targetILNS1_3genE3ELNS1_11target_archE908ELNS1_3gpuE7ELNS1_3repE0EEENS1_30default_config_static_selectorELNS0_4arch9wavefront6targetE0EEEvT1_.num_named_barrier, 0
	.set _ZN7rocprim17ROCPRIM_400000_NS6detail17trampoline_kernelINS0_14default_configENS1_25partition_config_selectorILNS1_17partition_subalgoE6EiNS0_10empty_typeEbEEZZNS1_14partition_implILS5_6ELb0ES3_mN6thrust23THRUST_200600_302600_NS6detail15normal_iteratorINSA_10device_ptrIiEEEEPS6_SG_NS0_5tupleIJNSA_16discard_iteratorINSA_11use_defaultEEES6_EEENSH_IJSG_SG_EEES6_PlJNSB_9not_fun_tI7is_trueIiEEEEEE10hipError_tPvRmT3_T4_T5_T6_T7_T9_mT8_P12ihipStream_tbDpT10_ENKUlT_T0_E_clISt17integral_constantIbLb1EES1B_EEDaS16_S17_EUlS16_E_NS1_11comp_targetILNS1_3genE3ELNS1_11target_archE908ELNS1_3gpuE7ELNS1_3repE0EEENS1_30default_config_static_selectorELNS0_4arch9wavefront6targetE0EEEvT1_.private_seg_size, 0
	.set _ZN7rocprim17ROCPRIM_400000_NS6detail17trampoline_kernelINS0_14default_configENS1_25partition_config_selectorILNS1_17partition_subalgoE6EiNS0_10empty_typeEbEEZZNS1_14partition_implILS5_6ELb0ES3_mN6thrust23THRUST_200600_302600_NS6detail15normal_iteratorINSA_10device_ptrIiEEEEPS6_SG_NS0_5tupleIJNSA_16discard_iteratorINSA_11use_defaultEEES6_EEENSH_IJSG_SG_EEES6_PlJNSB_9not_fun_tI7is_trueIiEEEEEE10hipError_tPvRmT3_T4_T5_T6_T7_T9_mT8_P12ihipStream_tbDpT10_ENKUlT_T0_E_clISt17integral_constantIbLb1EES1B_EEDaS16_S17_EUlS16_E_NS1_11comp_targetILNS1_3genE3ELNS1_11target_archE908ELNS1_3gpuE7ELNS1_3repE0EEENS1_30default_config_static_selectorELNS0_4arch9wavefront6targetE0EEEvT1_.uses_vcc, 0
	.set _ZN7rocprim17ROCPRIM_400000_NS6detail17trampoline_kernelINS0_14default_configENS1_25partition_config_selectorILNS1_17partition_subalgoE6EiNS0_10empty_typeEbEEZZNS1_14partition_implILS5_6ELb0ES3_mN6thrust23THRUST_200600_302600_NS6detail15normal_iteratorINSA_10device_ptrIiEEEEPS6_SG_NS0_5tupleIJNSA_16discard_iteratorINSA_11use_defaultEEES6_EEENSH_IJSG_SG_EEES6_PlJNSB_9not_fun_tI7is_trueIiEEEEEE10hipError_tPvRmT3_T4_T5_T6_T7_T9_mT8_P12ihipStream_tbDpT10_ENKUlT_T0_E_clISt17integral_constantIbLb1EES1B_EEDaS16_S17_EUlS16_E_NS1_11comp_targetILNS1_3genE3ELNS1_11target_archE908ELNS1_3gpuE7ELNS1_3repE0EEENS1_30default_config_static_selectorELNS0_4arch9wavefront6targetE0EEEvT1_.uses_flat_scratch, 0
	.set _ZN7rocprim17ROCPRIM_400000_NS6detail17trampoline_kernelINS0_14default_configENS1_25partition_config_selectorILNS1_17partition_subalgoE6EiNS0_10empty_typeEbEEZZNS1_14partition_implILS5_6ELb0ES3_mN6thrust23THRUST_200600_302600_NS6detail15normal_iteratorINSA_10device_ptrIiEEEEPS6_SG_NS0_5tupleIJNSA_16discard_iteratorINSA_11use_defaultEEES6_EEENSH_IJSG_SG_EEES6_PlJNSB_9not_fun_tI7is_trueIiEEEEEE10hipError_tPvRmT3_T4_T5_T6_T7_T9_mT8_P12ihipStream_tbDpT10_ENKUlT_T0_E_clISt17integral_constantIbLb1EES1B_EEDaS16_S17_EUlS16_E_NS1_11comp_targetILNS1_3genE3ELNS1_11target_archE908ELNS1_3gpuE7ELNS1_3repE0EEENS1_30default_config_static_selectorELNS0_4arch9wavefront6targetE0EEEvT1_.has_dyn_sized_stack, 0
	.set _ZN7rocprim17ROCPRIM_400000_NS6detail17trampoline_kernelINS0_14default_configENS1_25partition_config_selectorILNS1_17partition_subalgoE6EiNS0_10empty_typeEbEEZZNS1_14partition_implILS5_6ELb0ES3_mN6thrust23THRUST_200600_302600_NS6detail15normal_iteratorINSA_10device_ptrIiEEEEPS6_SG_NS0_5tupleIJNSA_16discard_iteratorINSA_11use_defaultEEES6_EEENSH_IJSG_SG_EEES6_PlJNSB_9not_fun_tI7is_trueIiEEEEEE10hipError_tPvRmT3_T4_T5_T6_T7_T9_mT8_P12ihipStream_tbDpT10_ENKUlT_T0_E_clISt17integral_constantIbLb1EES1B_EEDaS16_S17_EUlS16_E_NS1_11comp_targetILNS1_3genE3ELNS1_11target_archE908ELNS1_3gpuE7ELNS1_3repE0EEENS1_30default_config_static_selectorELNS0_4arch9wavefront6targetE0EEEvT1_.has_recursion, 0
	.set _ZN7rocprim17ROCPRIM_400000_NS6detail17trampoline_kernelINS0_14default_configENS1_25partition_config_selectorILNS1_17partition_subalgoE6EiNS0_10empty_typeEbEEZZNS1_14partition_implILS5_6ELb0ES3_mN6thrust23THRUST_200600_302600_NS6detail15normal_iteratorINSA_10device_ptrIiEEEEPS6_SG_NS0_5tupleIJNSA_16discard_iteratorINSA_11use_defaultEEES6_EEENSH_IJSG_SG_EEES6_PlJNSB_9not_fun_tI7is_trueIiEEEEEE10hipError_tPvRmT3_T4_T5_T6_T7_T9_mT8_P12ihipStream_tbDpT10_ENKUlT_T0_E_clISt17integral_constantIbLb1EES1B_EEDaS16_S17_EUlS16_E_NS1_11comp_targetILNS1_3genE3ELNS1_11target_archE908ELNS1_3gpuE7ELNS1_3repE0EEENS1_30default_config_static_selectorELNS0_4arch9wavefront6targetE0EEEvT1_.has_indirect_call, 0
	.section	.AMDGPU.csdata,"",@progbits
; Kernel info:
; codeLenInByte = 0
; TotalNumSgprs: 0
; NumVgprs: 0
; ScratchSize: 0
; MemoryBound: 0
; FloatMode: 240
; IeeeMode: 1
; LDSByteSize: 0 bytes/workgroup (compile time only)
; SGPRBlocks: 0
; VGPRBlocks: 0
; NumSGPRsForWavesPerEU: 1
; NumVGPRsForWavesPerEU: 1
; Occupancy: 16
; WaveLimiterHint : 0
; COMPUTE_PGM_RSRC2:SCRATCH_EN: 0
; COMPUTE_PGM_RSRC2:USER_SGPR: 2
; COMPUTE_PGM_RSRC2:TRAP_HANDLER: 0
; COMPUTE_PGM_RSRC2:TGID_X_EN: 1
; COMPUTE_PGM_RSRC2:TGID_Y_EN: 0
; COMPUTE_PGM_RSRC2:TGID_Z_EN: 0
; COMPUTE_PGM_RSRC2:TIDIG_COMP_CNT: 0
	.section	.text._ZN7rocprim17ROCPRIM_400000_NS6detail17trampoline_kernelINS0_14default_configENS1_25partition_config_selectorILNS1_17partition_subalgoE6EiNS0_10empty_typeEbEEZZNS1_14partition_implILS5_6ELb0ES3_mN6thrust23THRUST_200600_302600_NS6detail15normal_iteratorINSA_10device_ptrIiEEEEPS6_SG_NS0_5tupleIJNSA_16discard_iteratorINSA_11use_defaultEEES6_EEENSH_IJSG_SG_EEES6_PlJNSB_9not_fun_tI7is_trueIiEEEEEE10hipError_tPvRmT3_T4_T5_T6_T7_T9_mT8_P12ihipStream_tbDpT10_ENKUlT_T0_E_clISt17integral_constantIbLb1EES1B_EEDaS16_S17_EUlS16_E_NS1_11comp_targetILNS1_3genE2ELNS1_11target_archE906ELNS1_3gpuE6ELNS1_3repE0EEENS1_30default_config_static_selectorELNS0_4arch9wavefront6targetE0EEEvT1_,"axG",@progbits,_ZN7rocprim17ROCPRIM_400000_NS6detail17trampoline_kernelINS0_14default_configENS1_25partition_config_selectorILNS1_17partition_subalgoE6EiNS0_10empty_typeEbEEZZNS1_14partition_implILS5_6ELb0ES3_mN6thrust23THRUST_200600_302600_NS6detail15normal_iteratorINSA_10device_ptrIiEEEEPS6_SG_NS0_5tupleIJNSA_16discard_iteratorINSA_11use_defaultEEES6_EEENSH_IJSG_SG_EEES6_PlJNSB_9not_fun_tI7is_trueIiEEEEEE10hipError_tPvRmT3_T4_T5_T6_T7_T9_mT8_P12ihipStream_tbDpT10_ENKUlT_T0_E_clISt17integral_constantIbLb1EES1B_EEDaS16_S17_EUlS16_E_NS1_11comp_targetILNS1_3genE2ELNS1_11target_archE906ELNS1_3gpuE6ELNS1_3repE0EEENS1_30default_config_static_selectorELNS0_4arch9wavefront6targetE0EEEvT1_,comdat
	.protected	_ZN7rocprim17ROCPRIM_400000_NS6detail17trampoline_kernelINS0_14default_configENS1_25partition_config_selectorILNS1_17partition_subalgoE6EiNS0_10empty_typeEbEEZZNS1_14partition_implILS5_6ELb0ES3_mN6thrust23THRUST_200600_302600_NS6detail15normal_iteratorINSA_10device_ptrIiEEEEPS6_SG_NS0_5tupleIJNSA_16discard_iteratorINSA_11use_defaultEEES6_EEENSH_IJSG_SG_EEES6_PlJNSB_9not_fun_tI7is_trueIiEEEEEE10hipError_tPvRmT3_T4_T5_T6_T7_T9_mT8_P12ihipStream_tbDpT10_ENKUlT_T0_E_clISt17integral_constantIbLb1EES1B_EEDaS16_S17_EUlS16_E_NS1_11comp_targetILNS1_3genE2ELNS1_11target_archE906ELNS1_3gpuE6ELNS1_3repE0EEENS1_30default_config_static_selectorELNS0_4arch9wavefront6targetE0EEEvT1_ ; -- Begin function _ZN7rocprim17ROCPRIM_400000_NS6detail17trampoline_kernelINS0_14default_configENS1_25partition_config_selectorILNS1_17partition_subalgoE6EiNS0_10empty_typeEbEEZZNS1_14partition_implILS5_6ELb0ES3_mN6thrust23THRUST_200600_302600_NS6detail15normal_iteratorINSA_10device_ptrIiEEEEPS6_SG_NS0_5tupleIJNSA_16discard_iteratorINSA_11use_defaultEEES6_EEENSH_IJSG_SG_EEES6_PlJNSB_9not_fun_tI7is_trueIiEEEEEE10hipError_tPvRmT3_T4_T5_T6_T7_T9_mT8_P12ihipStream_tbDpT10_ENKUlT_T0_E_clISt17integral_constantIbLb1EES1B_EEDaS16_S17_EUlS16_E_NS1_11comp_targetILNS1_3genE2ELNS1_11target_archE906ELNS1_3gpuE6ELNS1_3repE0EEENS1_30default_config_static_selectorELNS0_4arch9wavefront6targetE0EEEvT1_
	.globl	_ZN7rocprim17ROCPRIM_400000_NS6detail17trampoline_kernelINS0_14default_configENS1_25partition_config_selectorILNS1_17partition_subalgoE6EiNS0_10empty_typeEbEEZZNS1_14partition_implILS5_6ELb0ES3_mN6thrust23THRUST_200600_302600_NS6detail15normal_iteratorINSA_10device_ptrIiEEEEPS6_SG_NS0_5tupleIJNSA_16discard_iteratorINSA_11use_defaultEEES6_EEENSH_IJSG_SG_EEES6_PlJNSB_9not_fun_tI7is_trueIiEEEEEE10hipError_tPvRmT3_T4_T5_T6_T7_T9_mT8_P12ihipStream_tbDpT10_ENKUlT_T0_E_clISt17integral_constantIbLb1EES1B_EEDaS16_S17_EUlS16_E_NS1_11comp_targetILNS1_3genE2ELNS1_11target_archE906ELNS1_3gpuE6ELNS1_3repE0EEENS1_30default_config_static_selectorELNS0_4arch9wavefront6targetE0EEEvT1_
	.p2align	8
	.type	_ZN7rocprim17ROCPRIM_400000_NS6detail17trampoline_kernelINS0_14default_configENS1_25partition_config_selectorILNS1_17partition_subalgoE6EiNS0_10empty_typeEbEEZZNS1_14partition_implILS5_6ELb0ES3_mN6thrust23THRUST_200600_302600_NS6detail15normal_iteratorINSA_10device_ptrIiEEEEPS6_SG_NS0_5tupleIJNSA_16discard_iteratorINSA_11use_defaultEEES6_EEENSH_IJSG_SG_EEES6_PlJNSB_9not_fun_tI7is_trueIiEEEEEE10hipError_tPvRmT3_T4_T5_T6_T7_T9_mT8_P12ihipStream_tbDpT10_ENKUlT_T0_E_clISt17integral_constantIbLb1EES1B_EEDaS16_S17_EUlS16_E_NS1_11comp_targetILNS1_3genE2ELNS1_11target_archE906ELNS1_3gpuE6ELNS1_3repE0EEENS1_30default_config_static_selectorELNS0_4arch9wavefront6targetE0EEEvT1_,@function
_ZN7rocprim17ROCPRIM_400000_NS6detail17trampoline_kernelINS0_14default_configENS1_25partition_config_selectorILNS1_17partition_subalgoE6EiNS0_10empty_typeEbEEZZNS1_14partition_implILS5_6ELb0ES3_mN6thrust23THRUST_200600_302600_NS6detail15normal_iteratorINSA_10device_ptrIiEEEEPS6_SG_NS0_5tupleIJNSA_16discard_iteratorINSA_11use_defaultEEES6_EEENSH_IJSG_SG_EEES6_PlJNSB_9not_fun_tI7is_trueIiEEEEEE10hipError_tPvRmT3_T4_T5_T6_T7_T9_mT8_P12ihipStream_tbDpT10_ENKUlT_T0_E_clISt17integral_constantIbLb1EES1B_EEDaS16_S17_EUlS16_E_NS1_11comp_targetILNS1_3genE2ELNS1_11target_archE906ELNS1_3gpuE6ELNS1_3repE0EEENS1_30default_config_static_selectorELNS0_4arch9wavefront6targetE0EEEvT1_: ; @_ZN7rocprim17ROCPRIM_400000_NS6detail17trampoline_kernelINS0_14default_configENS1_25partition_config_selectorILNS1_17partition_subalgoE6EiNS0_10empty_typeEbEEZZNS1_14partition_implILS5_6ELb0ES3_mN6thrust23THRUST_200600_302600_NS6detail15normal_iteratorINSA_10device_ptrIiEEEEPS6_SG_NS0_5tupleIJNSA_16discard_iteratorINSA_11use_defaultEEES6_EEENSH_IJSG_SG_EEES6_PlJNSB_9not_fun_tI7is_trueIiEEEEEE10hipError_tPvRmT3_T4_T5_T6_T7_T9_mT8_P12ihipStream_tbDpT10_ENKUlT_T0_E_clISt17integral_constantIbLb1EES1B_EEDaS16_S17_EUlS16_E_NS1_11comp_targetILNS1_3genE2ELNS1_11target_archE906ELNS1_3gpuE6ELNS1_3repE0EEENS1_30default_config_static_selectorELNS0_4arch9wavefront6targetE0EEEvT1_
; %bb.0:
	.section	.rodata,"a",@progbits
	.p2align	6, 0x0
	.amdhsa_kernel _ZN7rocprim17ROCPRIM_400000_NS6detail17trampoline_kernelINS0_14default_configENS1_25partition_config_selectorILNS1_17partition_subalgoE6EiNS0_10empty_typeEbEEZZNS1_14partition_implILS5_6ELb0ES3_mN6thrust23THRUST_200600_302600_NS6detail15normal_iteratorINSA_10device_ptrIiEEEEPS6_SG_NS0_5tupleIJNSA_16discard_iteratorINSA_11use_defaultEEES6_EEENSH_IJSG_SG_EEES6_PlJNSB_9not_fun_tI7is_trueIiEEEEEE10hipError_tPvRmT3_T4_T5_T6_T7_T9_mT8_P12ihipStream_tbDpT10_ENKUlT_T0_E_clISt17integral_constantIbLb1EES1B_EEDaS16_S17_EUlS16_E_NS1_11comp_targetILNS1_3genE2ELNS1_11target_archE906ELNS1_3gpuE6ELNS1_3repE0EEENS1_30default_config_static_selectorELNS0_4arch9wavefront6targetE0EEEvT1_
		.amdhsa_group_segment_fixed_size 0
		.amdhsa_private_segment_fixed_size 0
		.amdhsa_kernarg_size 136
		.amdhsa_user_sgpr_count 2
		.amdhsa_user_sgpr_dispatch_ptr 0
		.amdhsa_user_sgpr_queue_ptr 0
		.amdhsa_user_sgpr_kernarg_segment_ptr 1
		.amdhsa_user_sgpr_dispatch_id 0
		.amdhsa_user_sgpr_private_segment_size 0
		.amdhsa_wavefront_size32 1
		.amdhsa_uses_dynamic_stack 0
		.amdhsa_enable_private_segment 0
		.amdhsa_system_sgpr_workgroup_id_x 1
		.amdhsa_system_sgpr_workgroup_id_y 0
		.amdhsa_system_sgpr_workgroup_id_z 0
		.amdhsa_system_sgpr_workgroup_info 0
		.amdhsa_system_vgpr_workitem_id 0
		.amdhsa_next_free_vgpr 1
		.amdhsa_next_free_sgpr 1
		.amdhsa_reserve_vcc 0
		.amdhsa_float_round_mode_32 0
		.amdhsa_float_round_mode_16_64 0
		.amdhsa_float_denorm_mode_32 3
		.amdhsa_float_denorm_mode_16_64 3
		.amdhsa_fp16_overflow 0
		.amdhsa_workgroup_processor_mode 1
		.amdhsa_memory_ordered 1
		.amdhsa_forward_progress 1
		.amdhsa_inst_pref_size 0
		.amdhsa_round_robin_scheduling 0
		.amdhsa_exception_fp_ieee_invalid_op 0
		.amdhsa_exception_fp_denorm_src 0
		.amdhsa_exception_fp_ieee_div_zero 0
		.amdhsa_exception_fp_ieee_overflow 0
		.amdhsa_exception_fp_ieee_underflow 0
		.amdhsa_exception_fp_ieee_inexact 0
		.amdhsa_exception_int_div_zero 0
	.end_amdhsa_kernel
	.section	.text._ZN7rocprim17ROCPRIM_400000_NS6detail17trampoline_kernelINS0_14default_configENS1_25partition_config_selectorILNS1_17partition_subalgoE6EiNS0_10empty_typeEbEEZZNS1_14partition_implILS5_6ELb0ES3_mN6thrust23THRUST_200600_302600_NS6detail15normal_iteratorINSA_10device_ptrIiEEEEPS6_SG_NS0_5tupleIJNSA_16discard_iteratorINSA_11use_defaultEEES6_EEENSH_IJSG_SG_EEES6_PlJNSB_9not_fun_tI7is_trueIiEEEEEE10hipError_tPvRmT3_T4_T5_T6_T7_T9_mT8_P12ihipStream_tbDpT10_ENKUlT_T0_E_clISt17integral_constantIbLb1EES1B_EEDaS16_S17_EUlS16_E_NS1_11comp_targetILNS1_3genE2ELNS1_11target_archE906ELNS1_3gpuE6ELNS1_3repE0EEENS1_30default_config_static_selectorELNS0_4arch9wavefront6targetE0EEEvT1_,"axG",@progbits,_ZN7rocprim17ROCPRIM_400000_NS6detail17trampoline_kernelINS0_14default_configENS1_25partition_config_selectorILNS1_17partition_subalgoE6EiNS0_10empty_typeEbEEZZNS1_14partition_implILS5_6ELb0ES3_mN6thrust23THRUST_200600_302600_NS6detail15normal_iteratorINSA_10device_ptrIiEEEEPS6_SG_NS0_5tupleIJNSA_16discard_iteratorINSA_11use_defaultEEES6_EEENSH_IJSG_SG_EEES6_PlJNSB_9not_fun_tI7is_trueIiEEEEEE10hipError_tPvRmT3_T4_T5_T6_T7_T9_mT8_P12ihipStream_tbDpT10_ENKUlT_T0_E_clISt17integral_constantIbLb1EES1B_EEDaS16_S17_EUlS16_E_NS1_11comp_targetILNS1_3genE2ELNS1_11target_archE906ELNS1_3gpuE6ELNS1_3repE0EEENS1_30default_config_static_selectorELNS0_4arch9wavefront6targetE0EEEvT1_,comdat
.Lfunc_end2281:
	.size	_ZN7rocprim17ROCPRIM_400000_NS6detail17trampoline_kernelINS0_14default_configENS1_25partition_config_selectorILNS1_17partition_subalgoE6EiNS0_10empty_typeEbEEZZNS1_14partition_implILS5_6ELb0ES3_mN6thrust23THRUST_200600_302600_NS6detail15normal_iteratorINSA_10device_ptrIiEEEEPS6_SG_NS0_5tupleIJNSA_16discard_iteratorINSA_11use_defaultEEES6_EEENSH_IJSG_SG_EEES6_PlJNSB_9not_fun_tI7is_trueIiEEEEEE10hipError_tPvRmT3_T4_T5_T6_T7_T9_mT8_P12ihipStream_tbDpT10_ENKUlT_T0_E_clISt17integral_constantIbLb1EES1B_EEDaS16_S17_EUlS16_E_NS1_11comp_targetILNS1_3genE2ELNS1_11target_archE906ELNS1_3gpuE6ELNS1_3repE0EEENS1_30default_config_static_selectorELNS0_4arch9wavefront6targetE0EEEvT1_, .Lfunc_end2281-_ZN7rocprim17ROCPRIM_400000_NS6detail17trampoline_kernelINS0_14default_configENS1_25partition_config_selectorILNS1_17partition_subalgoE6EiNS0_10empty_typeEbEEZZNS1_14partition_implILS5_6ELb0ES3_mN6thrust23THRUST_200600_302600_NS6detail15normal_iteratorINSA_10device_ptrIiEEEEPS6_SG_NS0_5tupleIJNSA_16discard_iteratorINSA_11use_defaultEEES6_EEENSH_IJSG_SG_EEES6_PlJNSB_9not_fun_tI7is_trueIiEEEEEE10hipError_tPvRmT3_T4_T5_T6_T7_T9_mT8_P12ihipStream_tbDpT10_ENKUlT_T0_E_clISt17integral_constantIbLb1EES1B_EEDaS16_S17_EUlS16_E_NS1_11comp_targetILNS1_3genE2ELNS1_11target_archE906ELNS1_3gpuE6ELNS1_3repE0EEENS1_30default_config_static_selectorELNS0_4arch9wavefront6targetE0EEEvT1_
                                        ; -- End function
	.set _ZN7rocprim17ROCPRIM_400000_NS6detail17trampoline_kernelINS0_14default_configENS1_25partition_config_selectorILNS1_17partition_subalgoE6EiNS0_10empty_typeEbEEZZNS1_14partition_implILS5_6ELb0ES3_mN6thrust23THRUST_200600_302600_NS6detail15normal_iteratorINSA_10device_ptrIiEEEEPS6_SG_NS0_5tupleIJNSA_16discard_iteratorINSA_11use_defaultEEES6_EEENSH_IJSG_SG_EEES6_PlJNSB_9not_fun_tI7is_trueIiEEEEEE10hipError_tPvRmT3_T4_T5_T6_T7_T9_mT8_P12ihipStream_tbDpT10_ENKUlT_T0_E_clISt17integral_constantIbLb1EES1B_EEDaS16_S17_EUlS16_E_NS1_11comp_targetILNS1_3genE2ELNS1_11target_archE906ELNS1_3gpuE6ELNS1_3repE0EEENS1_30default_config_static_selectorELNS0_4arch9wavefront6targetE0EEEvT1_.num_vgpr, 0
	.set _ZN7rocprim17ROCPRIM_400000_NS6detail17trampoline_kernelINS0_14default_configENS1_25partition_config_selectorILNS1_17partition_subalgoE6EiNS0_10empty_typeEbEEZZNS1_14partition_implILS5_6ELb0ES3_mN6thrust23THRUST_200600_302600_NS6detail15normal_iteratorINSA_10device_ptrIiEEEEPS6_SG_NS0_5tupleIJNSA_16discard_iteratorINSA_11use_defaultEEES6_EEENSH_IJSG_SG_EEES6_PlJNSB_9not_fun_tI7is_trueIiEEEEEE10hipError_tPvRmT3_T4_T5_T6_T7_T9_mT8_P12ihipStream_tbDpT10_ENKUlT_T0_E_clISt17integral_constantIbLb1EES1B_EEDaS16_S17_EUlS16_E_NS1_11comp_targetILNS1_3genE2ELNS1_11target_archE906ELNS1_3gpuE6ELNS1_3repE0EEENS1_30default_config_static_selectorELNS0_4arch9wavefront6targetE0EEEvT1_.num_agpr, 0
	.set _ZN7rocprim17ROCPRIM_400000_NS6detail17trampoline_kernelINS0_14default_configENS1_25partition_config_selectorILNS1_17partition_subalgoE6EiNS0_10empty_typeEbEEZZNS1_14partition_implILS5_6ELb0ES3_mN6thrust23THRUST_200600_302600_NS6detail15normal_iteratorINSA_10device_ptrIiEEEEPS6_SG_NS0_5tupleIJNSA_16discard_iteratorINSA_11use_defaultEEES6_EEENSH_IJSG_SG_EEES6_PlJNSB_9not_fun_tI7is_trueIiEEEEEE10hipError_tPvRmT3_T4_T5_T6_T7_T9_mT8_P12ihipStream_tbDpT10_ENKUlT_T0_E_clISt17integral_constantIbLb1EES1B_EEDaS16_S17_EUlS16_E_NS1_11comp_targetILNS1_3genE2ELNS1_11target_archE906ELNS1_3gpuE6ELNS1_3repE0EEENS1_30default_config_static_selectorELNS0_4arch9wavefront6targetE0EEEvT1_.numbered_sgpr, 0
	.set _ZN7rocprim17ROCPRIM_400000_NS6detail17trampoline_kernelINS0_14default_configENS1_25partition_config_selectorILNS1_17partition_subalgoE6EiNS0_10empty_typeEbEEZZNS1_14partition_implILS5_6ELb0ES3_mN6thrust23THRUST_200600_302600_NS6detail15normal_iteratorINSA_10device_ptrIiEEEEPS6_SG_NS0_5tupleIJNSA_16discard_iteratorINSA_11use_defaultEEES6_EEENSH_IJSG_SG_EEES6_PlJNSB_9not_fun_tI7is_trueIiEEEEEE10hipError_tPvRmT3_T4_T5_T6_T7_T9_mT8_P12ihipStream_tbDpT10_ENKUlT_T0_E_clISt17integral_constantIbLb1EES1B_EEDaS16_S17_EUlS16_E_NS1_11comp_targetILNS1_3genE2ELNS1_11target_archE906ELNS1_3gpuE6ELNS1_3repE0EEENS1_30default_config_static_selectorELNS0_4arch9wavefront6targetE0EEEvT1_.num_named_barrier, 0
	.set _ZN7rocprim17ROCPRIM_400000_NS6detail17trampoline_kernelINS0_14default_configENS1_25partition_config_selectorILNS1_17partition_subalgoE6EiNS0_10empty_typeEbEEZZNS1_14partition_implILS5_6ELb0ES3_mN6thrust23THRUST_200600_302600_NS6detail15normal_iteratorINSA_10device_ptrIiEEEEPS6_SG_NS0_5tupleIJNSA_16discard_iteratorINSA_11use_defaultEEES6_EEENSH_IJSG_SG_EEES6_PlJNSB_9not_fun_tI7is_trueIiEEEEEE10hipError_tPvRmT3_T4_T5_T6_T7_T9_mT8_P12ihipStream_tbDpT10_ENKUlT_T0_E_clISt17integral_constantIbLb1EES1B_EEDaS16_S17_EUlS16_E_NS1_11comp_targetILNS1_3genE2ELNS1_11target_archE906ELNS1_3gpuE6ELNS1_3repE0EEENS1_30default_config_static_selectorELNS0_4arch9wavefront6targetE0EEEvT1_.private_seg_size, 0
	.set _ZN7rocprim17ROCPRIM_400000_NS6detail17trampoline_kernelINS0_14default_configENS1_25partition_config_selectorILNS1_17partition_subalgoE6EiNS0_10empty_typeEbEEZZNS1_14partition_implILS5_6ELb0ES3_mN6thrust23THRUST_200600_302600_NS6detail15normal_iteratorINSA_10device_ptrIiEEEEPS6_SG_NS0_5tupleIJNSA_16discard_iteratorINSA_11use_defaultEEES6_EEENSH_IJSG_SG_EEES6_PlJNSB_9not_fun_tI7is_trueIiEEEEEE10hipError_tPvRmT3_T4_T5_T6_T7_T9_mT8_P12ihipStream_tbDpT10_ENKUlT_T0_E_clISt17integral_constantIbLb1EES1B_EEDaS16_S17_EUlS16_E_NS1_11comp_targetILNS1_3genE2ELNS1_11target_archE906ELNS1_3gpuE6ELNS1_3repE0EEENS1_30default_config_static_selectorELNS0_4arch9wavefront6targetE0EEEvT1_.uses_vcc, 0
	.set _ZN7rocprim17ROCPRIM_400000_NS6detail17trampoline_kernelINS0_14default_configENS1_25partition_config_selectorILNS1_17partition_subalgoE6EiNS0_10empty_typeEbEEZZNS1_14partition_implILS5_6ELb0ES3_mN6thrust23THRUST_200600_302600_NS6detail15normal_iteratorINSA_10device_ptrIiEEEEPS6_SG_NS0_5tupleIJNSA_16discard_iteratorINSA_11use_defaultEEES6_EEENSH_IJSG_SG_EEES6_PlJNSB_9not_fun_tI7is_trueIiEEEEEE10hipError_tPvRmT3_T4_T5_T6_T7_T9_mT8_P12ihipStream_tbDpT10_ENKUlT_T0_E_clISt17integral_constantIbLb1EES1B_EEDaS16_S17_EUlS16_E_NS1_11comp_targetILNS1_3genE2ELNS1_11target_archE906ELNS1_3gpuE6ELNS1_3repE0EEENS1_30default_config_static_selectorELNS0_4arch9wavefront6targetE0EEEvT1_.uses_flat_scratch, 0
	.set _ZN7rocprim17ROCPRIM_400000_NS6detail17trampoline_kernelINS0_14default_configENS1_25partition_config_selectorILNS1_17partition_subalgoE6EiNS0_10empty_typeEbEEZZNS1_14partition_implILS5_6ELb0ES3_mN6thrust23THRUST_200600_302600_NS6detail15normal_iteratorINSA_10device_ptrIiEEEEPS6_SG_NS0_5tupleIJNSA_16discard_iteratorINSA_11use_defaultEEES6_EEENSH_IJSG_SG_EEES6_PlJNSB_9not_fun_tI7is_trueIiEEEEEE10hipError_tPvRmT3_T4_T5_T6_T7_T9_mT8_P12ihipStream_tbDpT10_ENKUlT_T0_E_clISt17integral_constantIbLb1EES1B_EEDaS16_S17_EUlS16_E_NS1_11comp_targetILNS1_3genE2ELNS1_11target_archE906ELNS1_3gpuE6ELNS1_3repE0EEENS1_30default_config_static_selectorELNS0_4arch9wavefront6targetE0EEEvT1_.has_dyn_sized_stack, 0
	.set _ZN7rocprim17ROCPRIM_400000_NS6detail17trampoline_kernelINS0_14default_configENS1_25partition_config_selectorILNS1_17partition_subalgoE6EiNS0_10empty_typeEbEEZZNS1_14partition_implILS5_6ELb0ES3_mN6thrust23THRUST_200600_302600_NS6detail15normal_iteratorINSA_10device_ptrIiEEEEPS6_SG_NS0_5tupleIJNSA_16discard_iteratorINSA_11use_defaultEEES6_EEENSH_IJSG_SG_EEES6_PlJNSB_9not_fun_tI7is_trueIiEEEEEE10hipError_tPvRmT3_T4_T5_T6_T7_T9_mT8_P12ihipStream_tbDpT10_ENKUlT_T0_E_clISt17integral_constantIbLb1EES1B_EEDaS16_S17_EUlS16_E_NS1_11comp_targetILNS1_3genE2ELNS1_11target_archE906ELNS1_3gpuE6ELNS1_3repE0EEENS1_30default_config_static_selectorELNS0_4arch9wavefront6targetE0EEEvT1_.has_recursion, 0
	.set _ZN7rocprim17ROCPRIM_400000_NS6detail17trampoline_kernelINS0_14default_configENS1_25partition_config_selectorILNS1_17partition_subalgoE6EiNS0_10empty_typeEbEEZZNS1_14partition_implILS5_6ELb0ES3_mN6thrust23THRUST_200600_302600_NS6detail15normal_iteratorINSA_10device_ptrIiEEEEPS6_SG_NS0_5tupleIJNSA_16discard_iteratorINSA_11use_defaultEEES6_EEENSH_IJSG_SG_EEES6_PlJNSB_9not_fun_tI7is_trueIiEEEEEE10hipError_tPvRmT3_T4_T5_T6_T7_T9_mT8_P12ihipStream_tbDpT10_ENKUlT_T0_E_clISt17integral_constantIbLb1EES1B_EEDaS16_S17_EUlS16_E_NS1_11comp_targetILNS1_3genE2ELNS1_11target_archE906ELNS1_3gpuE6ELNS1_3repE0EEENS1_30default_config_static_selectorELNS0_4arch9wavefront6targetE0EEEvT1_.has_indirect_call, 0
	.section	.AMDGPU.csdata,"",@progbits
; Kernel info:
; codeLenInByte = 0
; TotalNumSgprs: 0
; NumVgprs: 0
; ScratchSize: 0
; MemoryBound: 0
; FloatMode: 240
; IeeeMode: 1
; LDSByteSize: 0 bytes/workgroup (compile time only)
; SGPRBlocks: 0
; VGPRBlocks: 0
; NumSGPRsForWavesPerEU: 1
; NumVGPRsForWavesPerEU: 1
; Occupancy: 16
; WaveLimiterHint : 0
; COMPUTE_PGM_RSRC2:SCRATCH_EN: 0
; COMPUTE_PGM_RSRC2:USER_SGPR: 2
; COMPUTE_PGM_RSRC2:TRAP_HANDLER: 0
; COMPUTE_PGM_RSRC2:TGID_X_EN: 1
; COMPUTE_PGM_RSRC2:TGID_Y_EN: 0
; COMPUTE_PGM_RSRC2:TGID_Z_EN: 0
; COMPUTE_PGM_RSRC2:TIDIG_COMP_CNT: 0
	.section	.text._ZN7rocprim17ROCPRIM_400000_NS6detail17trampoline_kernelINS0_14default_configENS1_25partition_config_selectorILNS1_17partition_subalgoE6EiNS0_10empty_typeEbEEZZNS1_14partition_implILS5_6ELb0ES3_mN6thrust23THRUST_200600_302600_NS6detail15normal_iteratorINSA_10device_ptrIiEEEEPS6_SG_NS0_5tupleIJNSA_16discard_iteratorINSA_11use_defaultEEES6_EEENSH_IJSG_SG_EEES6_PlJNSB_9not_fun_tI7is_trueIiEEEEEE10hipError_tPvRmT3_T4_T5_T6_T7_T9_mT8_P12ihipStream_tbDpT10_ENKUlT_T0_E_clISt17integral_constantIbLb1EES1B_EEDaS16_S17_EUlS16_E_NS1_11comp_targetILNS1_3genE10ELNS1_11target_archE1200ELNS1_3gpuE4ELNS1_3repE0EEENS1_30default_config_static_selectorELNS0_4arch9wavefront6targetE0EEEvT1_,"axG",@progbits,_ZN7rocprim17ROCPRIM_400000_NS6detail17trampoline_kernelINS0_14default_configENS1_25partition_config_selectorILNS1_17partition_subalgoE6EiNS0_10empty_typeEbEEZZNS1_14partition_implILS5_6ELb0ES3_mN6thrust23THRUST_200600_302600_NS6detail15normal_iteratorINSA_10device_ptrIiEEEEPS6_SG_NS0_5tupleIJNSA_16discard_iteratorINSA_11use_defaultEEES6_EEENSH_IJSG_SG_EEES6_PlJNSB_9not_fun_tI7is_trueIiEEEEEE10hipError_tPvRmT3_T4_T5_T6_T7_T9_mT8_P12ihipStream_tbDpT10_ENKUlT_T0_E_clISt17integral_constantIbLb1EES1B_EEDaS16_S17_EUlS16_E_NS1_11comp_targetILNS1_3genE10ELNS1_11target_archE1200ELNS1_3gpuE4ELNS1_3repE0EEENS1_30default_config_static_selectorELNS0_4arch9wavefront6targetE0EEEvT1_,comdat
	.protected	_ZN7rocprim17ROCPRIM_400000_NS6detail17trampoline_kernelINS0_14default_configENS1_25partition_config_selectorILNS1_17partition_subalgoE6EiNS0_10empty_typeEbEEZZNS1_14partition_implILS5_6ELb0ES3_mN6thrust23THRUST_200600_302600_NS6detail15normal_iteratorINSA_10device_ptrIiEEEEPS6_SG_NS0_5tupleIJNSA_16discard_iteratorINSA_11use_defaultEEES6_EEENSH_IJSG_SG_EEES6_PlJNSB_9not_fun_tI7is_trueIiEEEEEE10hipError_tPvRmT3_T4_T5_T6_T7_T9_mT8_P12ihipStream_tbDpT10_ENKUlT_T0_E_clISt17integral_constantIbLb1EES1B_EEDaS16_S17_EUlS16_E_NS1_11comp_targetILNS1_3genE10ELNS1_11target_archE1200ELNS1_3gpuE4ELNS1_3repE0EEENS1_30default_config_static_selectorELNS0_4arch9wavefront6targetE0EEEvT1_ ; -- Begin function _ZN7rocprim17ROCPRIM_400000_NS6detail17trampoline_kernelINS0_14default_configENS1_25partition_config_selectorILNS1_17partition_subalgoE6EiNS0_10empty_typeEbEEZZNS1_14partition_implILS5_6ELb0ES3_mN6thrust23THRUST_200600_302600_NS6detail15normal_iteratorINSA_10device_ptrIiEEEEPS6_SG_NS0_5tupleIJNSA_16discard_iteratorINSA_11use_defaultEEES6_EEENSH_IJSG_SG_EEES6_PlJNSB_9not_fun_tI7is_trueIiEEEEEE10hipError_tPvRmT3_T4_T5_T6_T7_T9_mT8_P12ihipStream_tbDpT10_ENKUlT_T0_E_clISt17integral_constantIbLb1EES1B_EEDaS16_S17_EUlS16_E_NS1_11comp_targetILNS1_3genE10ELNS1_11target_archE1200ELNS1_3gpuE4ELNS1_3repE0EEENS1_30default_config_static_selectorELNS0_4arch9wavefront6targetE0EEEvT1_
	.globl	_ZN7rocprim17ROCPRIM_400000_NS6detail17trampoline_kernelINS0_14default_configENS1_25partition_config_selectorILNS1_17partition_subalgoE6EiNS0_10empty_typeEbEEZZNS1_14partition_implILS5_6ELb0ES3_mN6thrust23THRUST_200600_302600_NS6detail15normal_iteratorINSA_10device_ptrIiEEEEPS6_SG_NS0_5tupleIJNSA_16discard_iteratorINSA_11use_defaultEEES6_EEENSH_IJSG_SG_EEES6_PlJNSB_9not_fun_tI7is_trueIiEEEEEE10hipError_tPvRmT3_T4_T5_T6_T7_T9_mT8_P12ihipStream_tbDpT10_ENKUlT_T0_E_clISt17integral_constantIbLb1EES1B_EEDaS16_S17_EUlS16_E_NS1_11comp_targetILNS1_3genE10ELNS1_11target_archE1200ELNS1_3gpuE4ELNS1_3repE0EEENS1_30default_config_static_selectorELNS0_4arch9wavefront6targetE0EEEvT1_
	.p2align	8
	.type	_ZN7rocprim17ROCPRIM_400000_NS6detail17trampoline_kernelINS0_14default_configENS1_25partition_config_selectorILNS1_17partition_subalgoE6EiNS0_10empty_typeEbEEZZNS1_14partition_implILS5_6ELb0ES3_mN6thrust23THRUST_200600_302600_NS6detail15normal_iteratorINSA_10device_ptrIiEEEEPS6_SG_NS0_5tupleIJNSA_16discard_iteratorINSA_11use_defaultEEES6_EEENSH_IJSG_SG_EEES6_PlJNSB_9not_fun_tI7is_trueIiEEEEEE10hipError_tPvRmT3_T4_T5_T6_T7_T9_mT8_P12ihipStream_tbDpT10_ENKUlT_T0_E_clISt17integral_constantIbLb1EES1B_EEDaS16_S17_EUlS16_E_NS1_11comp_targetILNS1_3genE10ELNS1_11target_archE1200ELNS1_3gpuE4ELNS1_3repE0EEENS1_30default_config_static_selectorELNS0_4arch9wavefront6targetE0EEEvT1_,@function
_ZN7rocprim17ROCPRIM_400000_NS6detail17trampoline_kernelINS0_14default_configENS1_25partition_config_selectorILNS1_17partition_subalgoE6EiNS0_10empty_typeEbEEZZNS1_14partition_implILS5_6ELb0ES3_mN6thrust23THRUST_200600_302600_NS6detail15normal_iteratorINSA_10device_ptrIiEEEEPS6_SG_NS0_5tupleIJNSA_16discard_iteratorINSA_11use_defaultEEES6_EEENSH_IJSG_SG_EEES6_PlJNSB_9not_fun_tI7is_trueIiEEEEEE10hipError_tPvRmT3_T4_T5_T6_T7_T9_mT8_P12ihipStream_tbDpT10_ENKUlT_T0_E_clISt17integral_constantIbLb1EES1B_EEDaS16_S17_EUlS16_E_NS1_11comp_targetILNS1_3genE10ELNS1_11target_archE1200ELNS1_3gpuE4ELNS1_3repE0EEENS1_30default_config_static_selectorELNS0_4arch9wavefront6targetE0EEEvT1_: ; @_ZN7rocprim17ROCPRIM_400000_NS6detail17trampoline_kernelINS0_14default_configENS1_25partition_config_selectorILNS1_17partition_subalgoE6EiNS0_10empty_typeEbEEZZNS1_14partition_implILS5_6ELb0ES3_mN6thrust23THRUST_200600_302600_NS6detail15normal_iteratorINSA_10device_ptrIiEEEEPS6_SG_NS0_5tupleIJNSA_16discard_iteratorINSA_11use_defaultEEES6_EEENSH_IJSG_SG_EEES6_PlJNSB_9not_fun_tI7is_trueIiEEEEEE10hipError_tPvRmT3_T4_T5_T6_T7_T9_mT8_P12ihipStream_tbDpT10_ENKUlT_T0_E_clISt17integral_constantIbLb1EES1B_EEDaS16_S17_EUlS16_E_NS1_11comp_targetILNS1_3genE10ELNS1_11target_archE1200ELNS1_3gpuE4ELNS1_3repE0EEENS1_30default_config_static_selectorELNS0_4arch9wavefront6targetE0EEEvT1_
; %bb.0:
	s_endpgm
	.section	.rodata,"a",@progbits
	.p2align	6, 0x0
	.amdhsa_kernel _ZN7rocprim17ROCPRIM_400000_NS6detail17trampoline_kernelINS0_14default_configENS1_25partition_config_selectorILNS1_17partition_subalgoE6EiNS0_10empty_typeEbEEZZNS1_14partition_implILS5_6ELb0ES3_mN6thrust23THRUST_200600_302600_NS6detail15normal_iteratorINSA_10device_ptrIiEEEEPS6_SG_NS0_5tupleIJNSA_16discard_iteratorINSA_11use_defaultEEES6_EEENSH_IJSG_SG_EEES6_PlJNSB_9not_fun_tI7is_trueIiEEEEEE10hipError_tPvRmT3_T4_T5_T6_T7_T9_mT8_P12ihipStream_tbDpT10_ENKUlT_T0_E_clISt17integral_constantIbLb1EES1B_EEDaS16_S17_EUlS16_E_NS1_11comp_targetILNS1_3genE10ELNS1_11target_archE1200ELNS1_3gpuE4ELNS1_3repE0EEENS1_30default_config_static_selectorELNS0_4arch9wavefront6targetE0EEEvT1_
		.amdhsa_group_segment_fixed_size 0
		.amdhsa_private_segment_fixed_size 0
		.amdhsa_kernarg_size 136
		.amdhsa_user_sgpr_count 2
		.amdhsa_user_sgpr_dispatch_ptr 0
		.amdhsa_user_sgpr_queue_ptr 0
		.amdhsa_user_sgpr_kernarg_segment_ptr 1
		.amdhsa_user_sgpr_dispatch_id 0
		.amdhsa_user_sgpr_private_segment_size 0
		.amdhsa_wavefront_size32 1
		.amdhsa_uses_dynamic_stack 0
		.amdhsa_enable_private_segment 0
		.amdhsa_system_sgpr_workgroup_id_x 1
		.amdhsa_system_sgpr_workgroup_id_y 0
		.amdhsa_system_sgpr_workgroup_id_z 0
		.amdhsa_system_sgpr_workgroup_info 0
		.amdhsa_system_vgpr_workitem_id 0
		.amdhsa_next_free_vgpr 1
		.amdhsa_next_free_sgpr 1
		.amdhsa_reserve_vcc 0
		.amdhsa_float_round_mode_32 0
		.amdhsa_float_round_mode_16_64 0
		.amdhsa_float_denorm_mode_32 3
		.amdhsa_float_denorm_mode_16_64 3
		.amdhsa_fp16_overflow 0
		.amdhsa_workgroup_processor_mode 1
		.amdhsa_memory_ordered 1
		.amdhsa_forward_progress 1
		.amdhsa_inst_pref_size 1
		.amdhsa_round_robin_scheduling 0
		.amdhsa_exception_fp_ieee_invalid_op 0
		.amdhsa_exception_fp_denorm_src 0
		.amdhsa_exception_fp_ieee_div_zero 0
		.amdhsa_exception_fp_ieee_overflow 0
		.amdhsa_exception_fp_ieee_underflow 0
		.amdhsa_exception_fp_ieee_inexact 0
		.amdhsa_exception_int_div_zero 0
	.end_amdhsa_kernel
	.section	.text._ZN7rocprim17ROCPRIM_400000_NS6detail17trampoline_kernelINS0_14default_configENS1_25partition_config_selectorILNS1_17partition_subalgoE6EiNS0_10empty_typeEbEEZZNS1_14partition_implILS5_6ELb0ES3_mN6thrust23THRUST_200600_302600_NS6detail15normal_iteratorINSA_10device_ptrIiEEEEPS6_SG_NS0_5tupleIJNSA_16discard_iteratorINSA_11use_defaultEEES6_EEENSH_IJSG_SG_EEES6_PlJNSB_9not_fun_tI7is_trueIiEEEEEE10hipError_tPvRmT3_T4_T5_T6_T7_T9_mT8_P12ihipStream_tbDpT10_ENKUlT_T0_E_clISt17integral_constantIbLb1EES1B_EEDaS16_S17_EUlS16_E_NS1_11comp_targetILNS1_3genE10ELNS1_11target_archE1200ELNS1_3gpuE4ELNS1_3repE0EEENS1_30default_config_static_selectorELNS0_4arch9wavefront6targetE0EEEvT1_,"axG",@progbits,_ZN7rocprim17ROCPRIM_400000_NS6detail17trampoline_kernelINS0_14default_configENS1_25partition_config_selectorILNS1_17partition_subalgoE6EiNS0_10empty_typeEbEEZZNS1_14partition_implILS5_6ELb0ES3_mN6thrust23THRUST_200600_302600_NS6detail15normal_iteratorINSA_10device_ptrIiEEEEPS6_SG_NS0_5tupleIJNSA_16discard_iteratorINSA_11use_defaultEEES6_EEENSH_IJSG_SG_EEES6_PlJNSB_9not_fun_tI7is_trueIiEEEEEE10hipError_tPvRmT3_T4_T5_T6_T7_T9_mT8_P12ihipStream_tbDpT10_ENKUlT_T0_E_clISt17integral_constantIbLb1EES1B_EEDaS16_S17_EUlS16_E_NS1_11comp_targetILNS1_3genE10ELNS1_11target_archE1200ELNS1_3gpuE4ELNS1_3repE0EEENS1_30default_config_static_selectorELNS0_4arch9wavefront6targetE0EEEvT1_,comdat
.Lfunc_end2282:
	.size	_ZN7rocprim17ROCPRIM_400000_NS6detail17trampoline_kernelINS0_14default_configENS1_25partition_config_selectorILNS1_17partition_subalgoE6EiNS0_10empty_typeEbEEZZNS1_14partition_implILS5_6ELb0ES3_mN6thrust23THRUST_200600_302600_NS6detail15normal_iteratorINSA_10device_ptrIiEEEEPS6_SG_NS0_5tupleIJNSA_16discard_iteratorINSA_11use_defaultEEES6_EEENSH_IJSG_SG_EEES6_PlJNSB_9not_fun_tI7is_trueIiEEEEEE10hipError_tPvRmT3_T4_T5_T6_T7_T9_mT8_P12ihipStream_tbDpT10_ENKUlT_T0_E_clISt17integral_constantIbLb1EES1B_EEDaS16_S17_EUlS16_E_NS1_11comp_targetILNS1_3genE10ELNS1_11target_archE1200ELNS1_3gpuE4ELNS1_3repE0EEENS1_30default_config_static_selectorELNS0_4arch9wavefront6targetE0EEEvT1_, .Lfunc_end2282-_ZN7rocprim17ROCPRIM_400000_NS6detail17trampoline_kernelINS0_14default_configENS1_25partition_config_selectorILNS1_17partition_subalgoE6EiNS0_10empty_typeEbEEZZNS1_14partition_implILS5_6ELb0ES3_mN6thrust23THRUST_200600_302600_NS6detail15normal_iteratorINSA_10device_ptrIiEEEEPS6_SG_NS0_5tupleIJNSA_16discard_iteratorINSA_11use_defaultEEES6_EEENSH_IJSG_SG_EEES6_PlJNSB_9not_fun_tI7is_trueIiEEEEEE10hipError_tPvRmT3_T4_T5_T6_T7_T9_mT8_P12ihipStream_tbDpT10_ENKUlT_T0_E_clISt17integral_constantIbLb1EES1B_EEDaS16_S17_EUlS16_E_NS1_11comp_targetILNS1_3genE10ELNS1_11target_archE1200ELNS1_3gpuE4ELNS1_3repE0EEENS1_30default_config_static_selectorELNS0_4arch9wavefront6targetE0EEEvT1_
                                        ; -- End function
	.set _ZN7rocprim17ROCPRIM_400000_NS6detail17trampoline_kernelINS0_14default_configENS1_25partition_config_selectorILNS1_17partition_subalgoE6EiNS0_10empty_typeEbEEZZNS1_14partition_implILS5_6ELb0ES3_mN6thrust23THRUST_200600_302600_NS6detail15normal_iteratorINSA_10device_ptrIiEEEEPS6_SG_NS0_5tupleIJNSA_16discard_iteratorINSA_11use_defaultEEES6_EEENSH_IJSG_SG_EEES6_PlJNSB_9not_fun_tI7is_trueIiEEEEEE10hipError_tPvRmT3_T4_T5_T6_T7_T9_mT8_P12ihipStream_tbDpT10_ENKUlT_T0_E_clISt17integral_constantIbLb1EES1B_EEDaS16_S17_EUlS16_E_NS1_11comp_targetILNS1_3genE10ELNS1_11target_archE1200ELNS1_3gpuE4ELNS1_3repE0EEENS1_30default_config_static_selectorELNS0_4arch9wavefront6targetE0EEEvT1_.num_vgpr, 0
	.set _ZN7rocprim17ROCPRIM_400000_NS6detail17trampoline_kernelINS0_14default_configENS1_25partition_config_selectorILNS1_17partition_subalgoE6EiNS0_10empty_typeEbEEZZNS1_14partition_implILS5_6ELb0ES3_mN6thrust23THRUST_200600_302600_NS6detail15normal_iteratorINSA_10device_ptrIiEEEEPS6_SG_NS0_5tupleIJNSA_16discard_iteratorINSA_11use_defaultEEES6_EEENSH_IJSG_SG_EEES6_PlJNSB_9not_fun_tI7is_trueIiEEEEEE10hipError_tPvRmT3_T4_T5_T6_T7_T9_mT8_P12ihipStream_tbDpT10_ENKUlT_T0_E_clISt17integral_constantIbLb1EES1B_EEDaS16_S17_EUlS16_E_NS1_11comp_targetILNS1_3genE10ELNS1_11target_archE1200ELNS1_3gpuE4ELNS1_3repE0EEENS1_30default_config_static_selectorELNS0_4arch9wavefront6targetE0EEEvT1_.num_agpr, 0
	.set _ZN7rocprim17ROCPRIM_400000_NS6detail17trampoline_kernelINS0_14default_configENS1_25partition_config_selectorILNS1_17partition_subalgoE6EiNS0_10empty_typeEbEEZZNS1_14partition_implILS5_6ELb0ES3_mN6thrust23THRUST_200600_302600_NS6detail15normal_iteratorINSA_10device_ptrIiEEEEPS6_SG_NS0_5tupleIJNSA_16discard_iteratorINSA_11use_defaultEEES6_EEENSH_IJSG_SG_EEES6_PlJNSB_9not_fun_tI7is_trueIiEEEEEE10hipError_tPvRmT3_T4_T5_T6_T7_T9_mT8_P12ihipStream_tbDpT10_ENKUlT_T0_E_clISt17integral_constantIbLb1EES1B_EEDaS16_S17_EUlS16_E_NS1_11comp_targetILNS1_3genE10ELNS1_11target_archE1200ELNS1_3gpuE4ELNS1_3repE0EEENS1_30default_config_static_selectorELNS0_4arch9wavefront6targetE0EEEvT1_.numbered_sgpr, 0
	.set _ZN7rocprim17ROCPRIM_400000_NS6detail17trampoline_kernelINS0_14default_configENS1_25partition_config_selectorILNS1_17partition_subalgoE6EiNS0_10empty_typeEbEEZZNS1_14partition_implILS5_6ELb0ES3_mN6thrust23THRUST_200600_302600_NS6detail15normal_iteratorINSA_10device_ptrIiEEEEPS6_SG_NS0_5tupleIJNSA_16discard_iteratorINSA_11use_defaultEEES6_EEENSH_IJSG_SG_EEES6_PlJNSB_9not_fun_tI7is_trueIiEEEEEE10hipError_tPvRmT3_T4_T5_T6_T7_T9_mT8_P12ihipStream_tbDpT10_ENKUlT_T0_E_clISt17integral_constantIbLb1EES1B_EEDaS16_S17_EUlS16_E_NS1_11comp_targetILNS1_3genE10ELNS1_11target_archE1200ELNS1_3gpuE4ELNS1_3repE0EEENS1_30default_config_static_selectorELNS0_4arch9wavefront6targetE0EEEvT1_.num_named_barrier, 0
	.set _ZN7rocprim17ROCPRIM_400000_NS6detail17trampoline_kernelINS0_14default_configENS1_25partition_config_selectorILNS1_17partition_subalgoE6EiNS0_10empty_typeEbEEZZNS1_14partition_implILS5_6ELb0ES3_mN6thrust23THRUST_200600_302600_NS6detail15normal_iteratorINSA_10device_ptrIiEEEEPS6_SG_NS0_5tupleIJNSA_16discard_iteratorINSA_11use_defaultEEES6_EEENSH_IJSG_SG_EEES6_PlJNSB_9not_fun_tI7is_trueIiEEEEEE10hipError_tPvRmT3_T4_T5_T6_T7_T9_mT8_P12ihipStream_tbDpT10_ENKUlT_T0_E_clISt17integral_constantIbLb1EES1B_EEDaS16_S17_EUlS16_E_NS1_11comp_targetILNS1_3genE10ELNS1_11target_archE1200ELNS1_3gpuE4ELNS1_3repE0EEENS1_30default_config_static_selectorELNS0_4arch9wavefront6targetE0EEEvT1_.private_seg_size, 0
	.set _ZN7rocprim17ROCPRIM_400000_NS6detail17trampoline_kernelINS0_14default_configENS1_25partition_config_selectorILNS1_17partition_subalgoE6EiNS0_10empty_typeEbEEZZNS1_14partition_implILS5_6ELb0ES3_mN6thrust23THRUST_200600_302600_NS6detail15normal_iteratorINSA_10device_ptrIiEEEEPS6_SG_NS0_5tupleIJNSA_16discard_iteratorINSA_11use_defaultEEES6_EEENSH_IJSG_SG_EEES6_PlJNSB_9not_fun_tI7is_trueIiEEEEEE10hipError_tPvRmT3_T4_T5_T6_T7_T9_mT8_P12ihipStream_tbDpT10_ENKUlT_T0_E_clISt17integral_constantIbLb1EES1B_EEDaS16_S17_EUlS16_E_NS1_11comp_targetILNS1_3genE10ELNS1_11target_archE1200ELNS1_3gpuE4ELNS1_3repE0EEENS1_30default_config_static_selectorELNS0_4arch9wavefront6targetE0EEEvT1_.uses_vcc, 0
	.set _ZN7rocprim17ROCPRIM_400000_NS6detail17trampoline_kernelINS0_14default_configENS1_25partition_config_selectorILNS1_17partition_subalgoE6EiNS0_10empty_typeEbEEZZNS1_14partition_implILS5_6ELb0ES3_mN6thrust23THRUST_200600_302600_NS6detail15normal_iteratorINSA_10device_ptrIiEEEEPS6_SG_NS0_5tupleIJNSA_16discard_iteratorINSA_11use_defaultEEES6_EEENSH_IJSG_SG_EEES6_PlJNSB_9not_fun_tI7is_trueIiEEEEEE10hipError_tPvRmT3_T4_T5_T6_T7_T9_mT8_P12ihipStream_tbDpT10_ENKUlT_T0_E_clISt17integral_constantIbLb1EES1B_EEDaS16_S17_EUlS16_E_NS1_11comp_targetILNS1_3genE10ELNS1_11target_archE1200ELNS1_3gpuE4ELNS1_3repE0EEENS1_30default_config_static_selectorELNS0_4arch9wavefront6targetE0EEEvT1_.uses_flat_scratch, 0
	.set _ZN7rocprim17ROCPRIM_400000_NS6detail17trampoline_kernelINS0_14default_configENS1_25partition_config_selectorILNS1_17partition_subalgoE6EiNS0_10empty_typeEbEEZZNS1_14partition_implILS5_6ELb0ES3_mN6thrust23THRUST_200600_302600_NS6detail15normal_iteratorINSA_10device_ptrIiEEEEPS6_SG_NS0_5tupleIJNSA_16discard_iteratorINSA_11use_defaultEEES6_EEENSH_IJSG_SG_EEES6_PlJNSB_9not_fun_tI7is_trueIiEEEEEE10hipError_tPvRmT3_T4_T5_T6_T7_T9_mT8_P12ihipStream_tbDpT10_ENKUlT_T0_E_clISt17integral_constantIbLb1EES1B_EEDaS16_S17_EUlS16_E_NS1_11comp_targetILNS1_3genE10ELNS1_11target_archE1200ELNS1_3gpuE4ELNS1_3repE0EEENS1_30default_config_static_selectorELNS0_4arch9wavefront6targetE0EEEvT1_.has_dyn_sized_stack, 0
	.set _ZN7rocprim17ROCPRIM_400000_NS6detail17trampoline_kernelINS0_14default_configENS1_25partition_config_selectorILNS1_17partition_subalgoE6EiNS0_10empty_typeEbEEZZNS1_14partition_implILS5_6ELb0ES3_mN6thrust23THRUST_200600_302600_NS6detail15normal_iteratorINSA_10device_ptrIiEEEEPS6_SG_NS0_5tupleIJNSA_16discard_iteratorINSA_11use_defaultEEES6_EEENSH_IJSG_SG_EEES6_PlJNSB_9not_fun_tI7is_trueIiEEEEEE10hipError_tPvRmT3_T4_T5_T6_T7_T9_mT8_P12ihipStream_tbDpT10_ENKUlT_T0_E_clISt17integral_constantIbLb1EES1B_EEDaS16_S17_EUlS16_E_NS1_11comp_targetILNS1_3genE10ELNS1_11target_archE1200ELNS1_3gpuE4ELNS1_3repE0EEENS1_30default_config_static_selectorELNS0_4arch9wavefront6targetE0EEEvT1_.has_recursion, 0
	.set _ZN7rocprim17ROCPRIM_400000_NS6detail17trampoline_kernelINS0_14default_configENS1_25partition_config_selectorILNS1_17partition_subalgoE6EiNS0_10empty_typeEbEEZZNS1_14partition_implILS5_6ELb0ES3_mN6thrust23THRUST_200600_302600_NS6detail15normal_iteratorINSA_10device_ptrIiEEEEPS6_SG_NS0_5tupleIJNSA_16discard_iteratorINSA_11use_defaultEEES6_EEENSH_IJSG_SG_EEES6_PlJNSB_9not_fun_tI7is_trueIiEEEEEE10hipError_tPvRmT3_T4_T5_T6_T7_T9_mT8_P12ihipStream_tbDpT10_ENKUlT_T0_E_clISt17integral_constantIbLb1EES1B_EEDaS16_S17_EUlS16_E_NS1_11comp_targetILNS1_3genE10ELNS1_11target_archE1200ELNS1_3gpuE4ELNS1_3repE0EEENS1_30default_config_static_selectorELNS0_4arch9wavefront6targetE0EEEvT1_.has_indirect_call, 0
	.section	.AMDGPU.csdata,"",@progbits
; Kernel info:
; codeLenInByte = 4
; TotalNumSgprs: 0
; NumVgprs: 0
; ScratchSize: 0
; MemoryBound: 0
; FloatMode: 240
; IeeeMode: 1
; LDSByteSize: 0 bytes/workgroup (compile time only)
; SGPRBlocks: 0
; VGPRBlocks: 0
; NumSGPRsForWavesPerEU: 1
; NumVGPRsForWavesPerEU: 1
; Occupancy: 16
; WaveLimiterHint : 0
; COMPUTE_PGM_RSRC2:SCRATCH_EN: 0
; COMPUTE_PGM_RSRC2:USER_SGPR: 2
; COMPUTE_PGM_RSRC2:TRAP_HANDLER: 0
; COMPUTE_PGM_RSRC2:TGID_X_EN: 1
; COMPUTE_PGM_RSRC2:TGID_Y_EN: 0
; COMPUTE_PGM_RSRC2:TGID_Z_EN: 0
; COMPUTE_PGM_RSRC2:TIDIG_COMP_CNT: 0
	.section	.text._ZN7rocprim17ROCPRIM_400000_NS6detail17trampoline_kernelINS0_14default_configENS1_25partition_config_selectorILNS1_17partition_subalgoE6EiNS0_10empty_typeEbEEZZNS1_14partition_implILS5_6ELb0ES3_mN6thrust23THRUST_200600_302600_NS6detail15normal_iteratorINSA_10device_ptrIiEEEEPS6_SG_NS0_5tupleIJNSA_16discard_iteratorINSA_11use_defaultEEES6_EEENSH_IJSG_SG_EEES6_PlJNSB_9not_fun_tI7is_trueIiEEEEEE10hipError_tPvRmT3_T4_T5_T6_T7_T9_mT8_P12ihipStream_tbDpT10_ENKUlT_T0_E_clISt17integral_constantIbLb1EES1B_EEDaS16_S17_EUlS16_E_NS1_11comp_targetILNS1_3genE9ELNS1_11target_archE1100ELNS1_3gpuE3ELNS1_3repE0EEENS1_30default_config_static_selectorELNS0_4arch9wavefront6targetE0EEEvT1_,"axG",@progbits,_ZN7rocprim17ROCPRIM_400000_NS6detail17trampoline_kernelINS0_14default_configENS1_25partition_config_selectorILNS1_17partition_subalgoE6EiNS0_10empty_typeEbEEZZNS1_14partition_implILS5_6ELb0ES3_mN6thrust23THRUST_200600_302600_NS6detail15normal_iteratorINSA_10device_ptrIiEEEEPS6_SG_NS0_5tupleIJNSA_16discard_iteratorINSA_11use_defaultEEES6_EEENSH_IJSG_SG_EEES6_PlJNSB_9not_fun_tI7is_trueIiEEEEEE10hipError_tPvRmT3_T4_T5_T6_T7_T9_mT8_P12ihipStream_tbDpT10_ENKUlT_T0_E_clISt17integral_constantIbLb1EES1B_EEDaS16_S17_EUlS16_E_NS1_11comp_targetILNS1_3genE9ELNS1_11target_archE1100ELNS1_3gpuE3ELNS1_3repE0EEENS1_30default_config_static_selectorELNS0_4arch9wavefront6targetE0EEEvT1_,comdat
	.protected	_ZN7rocprim17ROCPRIM_400000_NS6detail17trampoline_kernelINS0_14default_configENS1_25partition_config_selectorILNS1_17partition_subalgoE6EiNS0_10empty_typeEbEEZZNS1_14partition_implILS5_6ELb0ES3_mN6thrust23THRUST_200600_302600_NS6detail15normal_iteratorINSA_10device_ptrIiEEEEPS6_SG_NS0_5tupleIJNSA_16discard_iteratorINSA_11use_defaultEEES6_EEENSH_IJSG_SG_EEES6_PlJNSB_9not_fun_tI7is_trueIiEEEEEE10hipError_tPvRmT3_T4_T5_T6_T7_T9_mT8_P12ihipStream_tbDpT10_ENKUlT_T0_E_clISt17integral_constantIbLb1EES1B_EEDaS16_S17_EUlS16_E_NS1_11comp_targetILNS1_3genE9ELNS1_11target_archE1100ELNS1_3gpuE3ELNS1_3repE0EEENS1_30default_config_static_selectorELNS0_4arch9wavefront6targetE0EEEvT1_ ; -- Begin function _ZN7rocprim17ROCPRIM_400000_NS6detail17trampoline_kernelINS0_14default_configENS1_25partition_config_selectorILNS1_17partition_subalgoE6EiNS0_10empty_typeEbEEZZNS1_14partition_implILS5_6ELb0ES3_mN6thrust23THRUST_200600_302600_NS6detail15normal_iteratorINSA_10device_ptrIiEEEEPS6_SG_NS0_5tupleIJNSA_16discard_iteratorINSA_11use_defaultEEES6_EEENSH_IJSG_SG_EEES6_PlJNSB_9not_fun_tI7is_trueIiEEEEEE10hipError_tPvRmT3_T4_T5_T6_T7_T9_mT8_P12ihipStream_tbDpT10_ENKUlT_T0_E_clISt17integral_constantIbLb1EES1B_EEDaS16_S17_EUlS16_E_NS1_11comp_targetILNS1_3genE9ELNS1_11target_archE1100ELNS1_3gpuE3ELNS1_3repE0EEENS1_30default_config_static_selectorELNS0_4arch9wavefront6targetE0EEEvT1_
	.globl	_ZN7rocprim17ROCPRIM_400000_NS6detail17trampoline_kernelINS0_14default_configENS1_25partition_config_selectorILNS1_17partition_subalgoE6EiNS0_10empty_typeEbEEZZNS1_14partition_implILS5_6ELb0ES3_mN6thrust23THRUST_200600_302600_NS6detail15normal_iteratorINSA_10device_ptrIiEEEEPS6_SG_NS0_5tupleIJNSA_16discard_iteratorINSA_11use_defaultEEES6_EEENSH_IJSG_SG_EEES6_PlJNSB_9not_fun_tI7is_trueIiEEEEEE10hipError_tPvRmT3_T4_T5_T6_T7_T9_mT8_P12ihipStream_tbDpT10_ENKUlT_T0_E_clISt17integral_constantIbLb1EES1B_EEDaS16_S17_EUlS16_E_NS1_11comp_targetILNS1_3genE9ELNS1_11target_archE1100ELNS1_3gpuE3ELNS1_3repE0EEENS1_30default_config_static_selectorELNS0_4arch9wavefront6targetE0EEEvT1_
	.p2align	8
	.type	_ZN7rocprim17ROCPRIM_400000_NS6detail17trampoline_kernelINS0_14default_configENS1_25partition_config_selectorILNS1_17partition_subalgoE6EiNS0_10empty_typeEbEEZZNS1_14partition_implILS5_6ELb0ES3_mN6thrust23THRUST_200600_302600_NS6detail15normal_iteratorINSA_10device_ptrIiEEEEPS6_SG_NS0_5tupleIJNSA_16discard_iteratorINSA_11use_defaultEEES6_EEENSH_IJSG_SG_EEES6_PlJNSB_9not_fun_tI7is_trueIiEEEEEE10hipError_tPvRmT3_T4_T5_T6_T7_T9_mT8_P12ihipStream_tbDpT10_ENKUlT_T0_E_clISt17integral_constantIbLb1EES1B_EEDaS16_S17_EUlS16_E_NS1_11comp_targetILNS1_3genE9ELNS1_11target_archE1100ELNS1_3gpuE3ELNS1_3repE0EEENS1_30default_config_static_selectorELNS0_4arch9wavefront6targetE0EEEvT1_,@function
_ZN7rocprim17ROCPRIM_400000_NS6detail17trampoline_kernelINS0_14default_configENS1_25partition_config_selectorILNS1_17partition_subalgoE6EiNS0_10empty_typeEbEEZZNS1_14partition_implILS5_6ELb0ES3_mN6thrust23THRUST_200600_302600_NS6detail15normal_iteratorINSA_10device_ptrIiEEEEPS6_SG_NS0_5tupleIJNSA_16discard_iteratorINSA_11use_defaultEEES6_EEENSH_IJSG_SG_EEES6_PlJNSB_9not_fun_tI7is_trueIiEEEEEE10hipError_tPvRmT3_T4_T5_T6_T7_T9_mT8_P12ihipStream_tbDpT10_ENKUlT_T0_E_clISt17integral_constantIbLb1EES1B_EEDaS16_S17_EUlS16_E_NS1_11comp_targetILNS1_3genE9ELNS1_11target_archE1100ELNS1_3gpuE3ELNS1_3repE0EEENS1_30default_config_static_selectorELNS0_4arch9wavefront6targetE0EEEvT1_: ; @_ZN7rocprim17ROCPRIM_400000_NS6detail17trampoline_kernelINS0_14default_configENS1_25partition_config_selectorILNS1_17partition_subalgoE6EiNS0_10empty_typeEbEEZZNS1_14partition_implILS5_6ELb0ES3_mN6thrust23THRUST_200600_302600_NS6detail15normal_iteratorINSA_10device_ptrIiEEEEPS6_SG_NS0_5tupleIJNSA_16discard_iteratorINSA_11use_defaultEEES6_EEENSH_IJSG_SG_EEES6_PlJNSB_9not_fun_tI7is_trueIiEEEEEE10hipError_tPvRmT3_T4_T5_T6_T7_T9_mT8_P12ihipStream_tbDpT10_ENKUlT_T0_E_clISt17integral_constantIbLb1EES1B_EEDaS16_S17_EUlS16_E_NS1_11comp_targetILNS1_3genE9ELNS1_11target_archE1100ELNS1_3gpuE3ELNS1_3repE0EEENS1_30default_config_static_selectorELNS0_4arch9wavefront6targetE0EEEvT1_
; %bb.0:
	.section	.rodata,"a",@progbits
	.p2align	6, 0x0
	.amdhsa_kernel _ZN7rocprim17ROCPRIM_400000_NS6detail17trampoline_kernelINS0_14default_configENS1_25partition_config_selectorILNS1_17partition_subalgoE6EiNS0_10empty_typeEbEEZZNS1_14partition_implILS5_6ELb0ES3_mN6thrust23THRUST_200600_302600_NS6detail15normal_iteratorINSA_10device_ptrIiEEEEPS6_SG_NS0_5tupleIJNSA_16discard_iteratorINSA_11use_defaultEEES6_EEENSH_IJSG_SG_EEES6_PlJNSB_9not_fun_tI7is_trueIiEEEEEE10hipError_tPvRmT3_T4_T5_T6_T7_T9_mT8_P12ihipStream_tbDpT10_ENKUlT_T0_E_clISt17integral_constantIbLb1EES1B_EEDaS16_S17_EUlS16_E_NS1_11comp_targetILNS1_3genE9ELNS1_11target_archE1100ELNS1_3gpuE3ELNS1_3repE0EEENS1_30default_config_static_selectorELNS0_4arch9wavefront6targetE0EEEvT1_
		.amdhsa_group_segment_fixed_size 0
		.amdhsa_private_segment_fixed_size 0
		.amdhsa_kernarg_size 136
		.amdhsa_user_sgpr_count 2
		.amdhsa_user_sgpr_dispatch_ptr 0
		.amdhsa_user_sgpr_queue_ptr 0
		.amdhsa_user_sgpr_kernarg_segment_ptr 1
		.amdhsa_user_sgpr_dispatch_id 0
		.amdhsa_user_sgpr_private_segment_size 0
		.amdhsa_wavefront_size32 1
		.amdhsa_uses_dynamic_stack 0
		.amdhsa_enable_private_segment 0
		.amdhsa_system_sgpr_workgroup_id_x 1
		.amdhsa_system_sgpr_workgroup_id_y 0
		.amdhsa_system_sgpr_workgroup_id_z 0
		.amdhsa_system_sgpr_workgroup_info 0
		.amdhsa_system_vgpr_workitem_id 0
		.amdhsa_next_free_vgpr 1
		.amdhsa_next_free_sgpr 1
		.amdhsa_reserve_vcc 0
		.amdhsa_float_round_mode_32 0
		.amdhsa_float_round_mode_16_64 0
		.amdhsa_float_denorm_mode_32 3
		.amdhsa_float_denorm_mode_16_64 3
		.amdhsa_fp16_overflow 0
		.amdhsa_workgroup_processor_mode 1
		.amdhsa_memory_ordered 1
		.amdhsa_forward_progress 1
		.amdhsa_inst_pref_size 0
		.amdhsa_round_robin_scheduling 0
		.amdhsa_exception_fp_ieee_invalid_op 0
		.amdhsa_exception_fp_denorm_src 0
		.amdhsa_exception_fp_ieee_div_zero 0
		.amdhsa_exception_fp_ieee_overflow 0
		.amdhsa_exception_fp_ieee_underflow 0
		.amdhsa_exception_fp_ieee_inexact 0
		.amdhsa_exception_int_div_zero 0
	.end_amdhsa_kernel
	.section	.text._ZN7rocprim17ROCPRIM_400000_NS6detail17trampoline_kernelINS0_14default_configENS1_25partition_config_selectorILNS1_17partition_subalgoE6EiNS0_10empty_typeEbEEZZNS1_14partition_implILS5_6ELb0ES3_mN6thrust23THRUST_200600_302600_NS6detail15normal_iteratorINSA_10device_ptrIiEEEEPS6_SG_NS0_5tupleIJNSA_16discard_iteratorINSA_11use_defaultEEES6_EEENSH_IJSG_SG_EEES6_PlJNSB_9not_fun_tI7is_trueIiEEEEEE10hipError_tPvRmT3_T4_T5_T6_T7_T9_mT8_P12ihipStream_tbDpT10_ENKUlT_T0_E_clISt17integral_constantIbLb1EES1B_EEDaS16_S17_EUlS16_E_NS1_11comp_targetILNS1_3genE9ELNS1_11target_archE1100ELNS1_3gpuE3ELNS1_3repE0EEENS1_30default_config_static_selectorELNS0_4arch9wavefront6targetE0EEEvT1_,"axG",@progbits,_ZN7rocprim17ROCPRIM_400000_NS6detail17trampoline_kernelINS0_14default_configENS1_25partition_config_selectorILNS1_17partition_subalgoE6EiNS0_10empty_typeEbEEZZNS1_14partition_implILS5_6ELb0ES3_mN6thrust23THRUST_200600_302600_NS6detail15normal_iteratorINSA_10device_ptrIiEEEEPS6_SG_NS0_5tupleIJNSA_16discard_iteratorINSA_11use_defaultEEES6_EEENSH_IJSG_SG_EEES6_PlJNSB_9not_fun_tI7is_trueIiEEEEEE10hipError_tPvRmT3_T4_T5_T6_T7_T9_mT8_P12ihipStream_tbDpT10_ENKUlT_T0_E_clISt17integral_constantIbLb1EES1B_EEDaS16_S17_EUlS16_E_NS1_11comp_targetILNS1_3genE9ELNS1_11target_archE1100ELNS1_3gpuE3ELNS1_3repE0EEENS1_30default_config_static_selectorELNS0_4arch9wavefront6targetE0EEEvT1_,comdat
.Lfunc_end2283:
	.size	_ZN7rocprim17ROCPRIM_400000_NS6detail17trampoline_kernelINS0_14default_configENS1_25partition_config_selectorILNS1_17partition_subalgoE6EiNS0_10empty_typeEbEEZZNS1_14partition_implILS5_6ELb0ES3_mN6thrust23THRUST_200600_302600_NS6detail15normal_iteratorINSA_10device_ptrIiEEEEPS6_SG_NS0_5tupleIJNSA_16discard_iteratorINSA_11use_defaultEEES6_EEENSH_IJSG_SG_EEES6_PlJNSB_9not_fun_tI7is_trueIiEEEEEE10hipError_tPvRmT3_T4_T5_T6_T7_T9_mT8_P12ihipStream_tbDpT10_ENKUlT_T0_E_clISt17integral_constantIbLb1EES1B_EEDaS16_S17_EUlS16_E_NS1_11comp_targetILNS1_3genE9ELNS1_11target_archE1100ELNS1_3gpuE3ELNS1_3repE0EEENS1_30default_config_static_selectorELNS0_4arch9wavefront6targetE0EEEvT1_, .Lfunc_end2283-_ZN7rocprim17ROCPRIM_400000_NS6detail17trampoline_kernelINS0_14default_configENS1_25partition_config_selectorILNS1_17partition_subalgoE6EiNS0_10empty_typeEbEEZZNS1_14partition_implILS5_6ELb0ES3_mN6thrust23THRUST_200600_302600_NS6detail15normal_iteratorINSA_10device_ptrIiEEEEPS6_SG_NS0_5tupleIJNSA_16discard_iteratorINSA_11use_defaultEEES6_EEENSH_IJSG_SG_EEES6_PlJNSB_9not_fun_tI7is_trueIiEEEEEE10hipError_tPvRmT3_T4_T5_T6_T7_T9_mT8_P12ihipStream_tbDpT10_ENKUlT_T0_E_clISt17integral_constantIbLb1EES1B_EEDaS16_S17_EUlS16_E_NS1_11comp_targetILNS1_3genE9ELNS1_11target_archE1100ELNS1_3gpuE3ELNS1_3repE0EEENS1_30default_config_static_selectorELNS0_4arch9wavefront6targetE0EEEvT1_
                                        ; -- End function
	.set _ZN7rocprim17ROCPRIM_400000_NS6detail17trampoline_kernelINS0_14default_configENS1_25partition_config_selectorILNS1_17partition_subalgoE6EiNS0_10empty_typeEbEEZZNS1_14partition_implILS5_6ELb0ES3_mN6thrust23THRUST_200600_302600_NS6detail15normal_iteratorINSA_10device_ptrIiEEEEPS6_SG_NS0_5tupleIJNSA_16discard_iteratorINSA_11use_defaultEEES6_EEENSH_IJSG_SG_EEES6_PlJNSB_9not_fun_tI7is_trueIiEEEEEE10hipError_tPvRmT3_T4_T5_T6_T7_T9_mT8_P12ihipStream_tbDpT10_ENKUlT_T0_E_clISt17integral_constantIbLb1EES1B_EEDaS16_S17_EUlS16_E_NS1_11comp_targetILNS1_3genE9ELNS1_11target_archE1100ELNS1_3gpuE3ELNS1_3repE0EEENS1_30default_config_static_selectorELNS0_4arch9wavefront6targetE0EEEvT1_.num_vgpr, 0
	.set _ZN7rocprim17ROCPRIM_400000_NS6detail17trampoline_kernelINS0_14default_configENS1_25partition_config_selectorILNS1_17partition_subalgoE6EiNS0_10empty_typeEbEEZZNS1_14partition_implILS5_6ELb0ES3_mN6thrust23THRUST_200600_302600_NS6detail15normal_iteratorINSA_10device_ptrIiEEEEPS6_SG_NS0_5tupleIJNSA_16discard_iteratorINSA_11use_defaultEEES6_EEENSH_IJSG_SG_EEES6_PlJNSB_9not_fun_tI7is_trueIiEEEEEE10hipError_tPvRmT3_T4_T5_T6_T7_T9_mT8_P12ihipStream_tbDpT10_ENKUlT_T0_E_clISt17integral_constantIbLb1EES1B_EEDaS16_S17_EUlS16_E_NS1_11comp_targetILNS1_3genE9ELNS1_11target_archE1100ELNS1_3gpuE3ELNS1_3repE0EEENS1_30default_config_static_selectorELNS0_4arch9wavefront6targetE0EEEvT1_.num_agpr, 0
	.set _ZN7rocprim17ROCPRIM_400000_NS6detail17trampoline_kernelINS0_14default_configENS1_25partition_config_selectorILNS1_17partition_subalgoE6EiNS0_10empty_typeEbEEZZNS1_14partition_implILS5_6ELb0ES3_mN6thrust23THRUST_200600_302600_NS6detail15normal_iteratorINSA_10device_ptrIiEEEEPS6_SG_NS0_5tupleIJNSA_16discard_iteratorINSA_11use_defaultEEES6_EEENSH_IJSG_SG_EEES6_PlJNSB_9not_fun_tI7is_trueIiEEEEEE10hipError_tPvRmT3_T4_T5_T6_T7_T9_mT8_P12ihipStream_tbDpT10_ENKUlT_T0_E_clISt17integral_constantIbLb1EES1B_EEDaS16_S17_EUlS16_E_NS1_11comp_targetILNS1_3genE9ELNS1_11target_archE1100ELNS1_3gpuE3ELNS1_3repE0EEENS1_30default_config_static_selectorELNS0_4arch9wavefront6targetE0EEEvT1_.numbered_sgpr, 0
	.set _ZN7rocprim17ROCPRIM_400000_NS6detail17trampoline_kernelINS0_14default_configENS1_25partition_config_selectorILNS1_17partition_subalgoE6EiNS0_10empty_typeEbEEZZNS1_14partition_implILS5_6ELb0ES3_mN6thrust23THRUST_200600_302600_NS6detail15normal_iteratorINSA_10device_ptrIiEEEEPS6_SG_NS0_5tupleIJNSA_16discard_iteratorINSA_11use_defaultEEES6_EEENSH_IJSG_SG_EEES6_PlJNSB_9not_fun_tI7is_trueIiEEEEEE10hipError_tPvRmT3_T4_T5_T6_T7_T9_mT8_P12ihipStream_tbDpT10_ENKUlT_T0_E_clISt17integral_constantIbLb1EES1B_EEDaS16_S17_EUlS16_E_NS1_11comp_targetILNS1_3genE9ELNS1_11target_archE1100ELNS1_3gpuE3ELNS1_3repE0EEENS1_30default_config_static_selectorELNS0_4arch9wavefront6targetE0EEEvT1_.num_named_barrier, 0
	.set _ZN7rocprim17ROCPRIM_400000_NS6detail17trampoline_kernelINS0_14default_configENS1_25partition_config_selectorILNS1_17partition_subalgoE6EiNS0_10empty_typeEbEEZZNS1_14partition_implILS5_6ELb0ES3_mN6thrust23THRUST_200600_302600_NS6detail15normal_iteratorINSA_10device_ptrIiEEEEPS6_SG_NS0_5tupleIJNSA_16discard_iteratorINSA_11use_defaultEEES6_EEENSH_IJSG_SG_EEES6_PlJNSB_9not_fun_tI7is_trueIiEEEEEE10hipError_tPvRmT3_T4_T5_T6_T7_T9_mT8_P12ihipStream_tbDpT10_ENKUlT_T0_E_clISt17integral_constantIbLb1EES1B_EEDaS16_S17_EUlS16_E_NS1_11comp_targetILNS1_3genE9ELNS1_11target_archE1100ELNS1_3gpuE3ELNS1_3repE0EEENS1_30default_config_static_selectorELNS0_4arch9wavefront6targetE0EEEvT1_.private_seg_size, 0
	.set _ZN7rocprim17ROCPRIM_400000_NS6detail17trampoline_kernelINS0_14default_configENS1_25partition_config_selectorILNS1_17partition_subalgoE6EiNS0_10empty_typeEbEEZZNS1_14partition_implILS5_6ELb0ES3_mN6thrust23THRUST_200600_302600_NS6detail15normal_iteratorINSA_10device_ptrIiEEEEPS6_SG_NS0_5tupleIJNSA_16discard_iteratorINSA_11use_defaultEEES6_EEENSH_IJSG_SG_EEES6_PlJNSB_9not_fun_tI7is_trueIiEEEEEE10hipError_tPvRmT3_T4_T5_T6_T7_T9_mT8_P12ihipStream_tbDpT10_ENKUlT_T0_E_clISt17integral_constantIbLb1EES1B_EEDaS16_S17_EUlS16_E_NS1_11comp_targetILNS1_3genE9ELNS1_11target_archE1100ELNS1_3gpuE3ELNS1_3repE0EEENS1_30default_config_static_selectorELNS0_4arch9wavefront6targetE0EEEvT1_.uses_vcc, 0
	.set _ZN7rocprim17ROCPRIM_400000_NS6detail17trampoline_kernelINS0_14default_configENS1_25partition_config_selectorILNS1_17partition_subalgoE6EiNS0_10empty_typeEbEEZZNS1_14partition_implILS5_6ELb0ES3_mN6thrust23THRUST_200600_302600_NS6detail15normal_iteratorINSA_10device_ptrIiEEEEPS6_SG_NS0_5tupleIJNSA_16discard_iteratorINSA_11use_defaultEEES6_EEENSH_IJSG_SG_EEES6_PlJNSB_9not_fun_tI7is_trueIiEEEEEE10hipError_tPvRmT3_T4_T5_T6_T7_T9_mT8_P12ihipStream_tbDpT10_ENKUlT_T0_E_clISt17integral_constantIbLb1EES1B_EEDaS16_S17_EUlS16_E_NS1_11comp_targetILNS1_3genE9ELNS1_11target_archE1100ELNS1_3gpuE3ELNS1_3repE0EEENS1_30default_config_static_selectorELNS0_4arch9wavefront6targetE0EEEvT1_.uses_flat_scratch, 0
	.set _ZN7rocprim17ROCPRIM_400000_NS6detail17trampoline_kernelINS0_14default_configENS1_25partition_config_selectorILNS1_17partition_subalgoE6EiNS0_10empty_typeEbEEZZNS1_14partition_implILS5_6ELb0ES3_mN6thrust23THRUST_200600_302600_NS6detail15normal_iteratorINSA_10device_ptrIiEEEEPS6_SG_NS0_5tupleIJNSA_16discard_iteratorINSA_11use_defaultEEES6_EEENSH_IJSG_SG_EEES6_PlJNSB_9not_fun_tI7is_trueIiEEEEEE10hipError_tPvRmT3_T4_T5_T6_T7_T9_mT8_P12ihipStream_tbDpT10_ENKUlT_T0_E_clISt17integral_constantIbLb1EES1B_EEDaS16_S17_EUlS16_E_NS1_11comp_targetILNS1_3genE9ELNS1_11target_archE1100ELNS1_3gpuE3ELNS1_3repE0EEENS1_30default_config_static_selectorELNS0_4arch9wavefront6targetE0EEEvT1_.has_dyn_sized_stack, 0
	.set _ZN7rocprim17ROCPRIM_400000_NS6detail17trampoline_kernelINS0_14default_configENS1_25partition_config_selectorILNS1_17partition_subalgoE6EiNS0_10empty_typeEbEEZZNS1_14partition_implILS5_6ELb0ES3_mN6thrust23THRUST_200600_302600_NS6detail15normal_iteratorINSA_10device_ptrIiEEEEPS6_SG_NS0_5tupleIJNSA_16discard_iteratorINSA_11use_defaultEEES6_EEENSH_IJSG_SG_EEES6_PlJNSB_9not_fun_tI7is_trueIiEEEEEE10hipError_tPvRmT3_T4_T5_T6_T7_T9_mT8_P12ihipStream_tbDpT10_ENKUlT_T0_E_clISt17integral_constantIbLb1EES1B_EEDaS16_S17_EUlS16_E_NS1_11comp_targetILNS1_3genE9ELNS1_11target_archE1100ELNS1_3gpuE3ELNS1_3repE0EEENS1_30default_config_static_selectorELNS0_4arch9wavefront6targetE0EEEvT1_.has_recursion, 0
	.set _ZN7rocprim17ROCPRIM_400000_NS6detail17trampoline_kernelINS0_14default_configENS1_25partition_config_selectorILNS1_17partition_subalgoE6EiNS0_10empty_typeEbEEZZNS1_14partition_implILS5_6ELb0ES3_mN6thrust23THRUST_200600_302600_NS6detail15normal_iteratorINSA_10device_ptrIiEEEEPS6_SG_NS0_5tupleIJNSA_16discard_iteratorINSA_11use_defaultEEES6_EEENSH_IJSG_SG_EEES6_PlJNSB_9not_fun_tI7is_trueIiEEEEEE10hipError_tPvRmT3_T4_T5_T6_T7_T9_mT8_P12ihipStream_tbDpT10_ENKUlT_T0_E_clISt17integral_constantIbLb1EES1B_EEDaS16_S17_EUlS16_E_NS1_11comp_targetILNS1_3genE9ELNS1_11target_archE1100ELNS1_3gpuE3ELNS1_3repE0EEENS1_30default_config_static_selectorELNS0_4arch9wavefront6targetE0EEEvT1_.has_indirect_call, 0
	.section	.AMDGPU.csdata,"",@progbits
; Kernel info:
; codeLenInByte = 0
; TotalNumSgprs: 0
; NumVgprs: 0
; ScratchSize: 0
; MemoryBound: 0
; FloatMode: 240
; IeeeMode: 1
; LDSByteSize: 0 bytes/workgroup (compile time only)
; SGPRBlocks: 0
; VGPRBlocks: 0
; NumSGPRsForWavesPerEU: 1
; NumVGPRsForWavesPerEU: 1
; Occupancy: 16
; WaveLimiterHint : 0
; COMPUTE_PGM_RSRC2:SCRATCH_EN: 0
; COMPUTE_PGM_RSRC2:USER_SGPR: 2
; COMPUTE_PGM_RSRC2:TRAP_HANDLER: 0
; COMPUTE_PGM_RSRC2:TGID_X_EN: 1
; COMPUTE_PGM_RSRC2:TGID_Y_EN: 0
; COMPUTE_PGM_RSRC2:TGID_Z_EN: 0
; COMPUTE_PGM_RSRC2:TIDIG_COMP_CNT: 0
	.section	.text._ZN7rocprim17ROCPRIM_400000_NS6detail17trampoline_kernelINS0_14default_configENS1_25partition_config_selectorILNS1_17partition_subalgoE6EiNS0_10empty_typeEbEEZZNS1_14partition_implILS5_6ELb0ES3_mN6thrust23THRUST_200600_302600_NS6detail15normal_iteratorINSA_10device_ptrIiEEEEPS6_SG_NS0_5tupleIJNSA_16discard_iteratorINSA_11use_defaultEEES6_EEENSH_IJSG_SG_EEES6_PlJNSB_9not_fun_tI7is_trueIiEEEEEE10hipError_tPvRmT3_T4_T5_T6_T7_T9_mT8_P12ihipStream_tbDpT10_ENKUlT_T0_E_clISt17integral_constantIbLb1EES1B_EEDaS16_S17_EUlS16_E_NS1_11comp_targetILNS1_3genE8ELNS1_11target_archE1030ELNS1_3gpuE2ELNS1_3repE0EEENS1_30default_config_static_selectorELNS0_4arch9wavefront6targetE0EEEvT1_,"axG",@progbits,_ZN7rocprim17ROCPRIM_400000_NS6detail17trampoline_kernelINS0_14default_configENS1_25partition_config_selectorILNS1_17partition_subalgoE6EiNS0_10empty_typeEbEEZZNS1_14partition_implILS5_6ELb0ES3_mN6thrust23THRUST_200600_302600_NS6detail15normal_iteratorINSA_10device_ptrIiEEEEPS6_SG_NS0_5tupleIJNSA_16discard_iteratorINSA_11use_defaultEEES6_EEENSH_IJSG_SG_EEES6_PlJNSB_9not_fun_tI7is_trueIiEEEEEE10hipError_tPvRmT3_T4_T5_T6_T7_T9_mT8_P12ihipStream_tbDpT10_ENKUlT_T0_E_clISt17integral_constantIbLb1EES1B_EEDaS16_S17_EUlS16_E_NS1_11comp_targetILNS1_3genE8ELNS1_11target_archE1030ELNS1_3gpuE2ELNS1_3repE0EEENS1_30default_config_static_selectorELNS0_4arch9wavefront6targetE0EEEvT1_,comdat
	.protected	_ZN7rocprim17ROCPRIM_400000_NS6detail17trampoline_kernelINS0_14default_configENS1_25partition_config_selectorILNS1_17partition_subalgoE6EiNS0_10empty_typeEbEEZZNS1_14partition_implILS5_6ELb0ES3_mN6thrust23THRUST_200600_302600_NS6detail15normal_iteratorINSA_10device_ptrIiEEEEPS6_SG_NS0_5tupleIJNSA_16discard_iteratorINSA_11use_defaultEEES6_EEENSH_IJSG_SG_EEES6_PlJNSB_9not_fun_tI7is_trueIiEEEEEE10hipError_tPvRmT3_T4_T5_T6_T7_T9_mT8_P12ihipStream_tbDpT10_ENKUlT_T0_E_clISt17integral_constantIbLb1EES1B_EEDaS16_S17_EUlS16_E_NS1_11comp_targetILNS1_3genE8ELNS1_11target_archE1030ELNS1_3gpuE2ELNS1_3repE0EEENS1_30default_config_static_selectorELNS0_4arch9wavefront6targetE0EEEvT1_ ; -- Begin function _ZN7rocprim17ROCPRIM_400000_NS6detail17trampoline_kernelINS0_14default_configENS1_25partition_config_selectorILNS1_17partition_subalgoE6EiNS0_10empty_typeEbEEZZNS1_14partition_implILS5_6ELb0ES3_mN6thrust23THRUST_200600_302600_NS6detail15normal_iteratorINSA_10device_ptrIiEEEEPS6_SG_NS0_5tupleIJNSA_16discard_iteratorINSA_11use_defaultEEES6_EEENSH_IJSG_SG_EEES6_PlJNSB_9not_fun_tI7is_trueIiEEEEEE10hipError_tPvRmT3_T4_T5_T6_T7_T9_mT8_P12ihipStream_tbDpT10_ENKUlT_T0_E_clISt17integral_constantIbLb1EES1B_EEDaS16_S17_EUlS16_E_NS1_11comp_targetILNS1_3genE8ELNS1_11target_archE1030ELNS1_3gpuE2ELNS1_3repE0EEENS1_30default_config_static_selectorELNS0_4arch9wavefront6targetE0EEEvT1_
	.globl	_ZN7rocprim17ROCPRIM_400000_NS6detail17trampoline_kernelINS0_14default_configENS1_25partition_config_selectorILNS1_17partition_subalgoE6EiNS0_10empty_typeEbEEZZNS1_14partition_implILS5_6ELb0ES3_mN6thrust23THRUST_200600_302600_NS6detail15normal_iteratorINSA_10device_ptrIiEEEEPS6_SG_NS0_5tupleIJNSA_16discard_iteratorINSA_11use_defaultEEES6_EEENSH_IJSG_SG_EEES6_PlJNSB_9not_fun_tI7is_trueIiEEEEEE10hipError_tPvRmT3_T4_T5_T6_T7_T9_mT8_P12ihipStream_tbDpT10_ENKUlT_T0_E_clISt17integral_constantIbLb1EES1B_EEDaS16_S17_EUlS16_E_NS1_11comp_targetILNS1_3genE8ELNS1_11target_archE1030ELNS1_3gpuE2ELNS1_3repE0EEENS1_30default_config_static_selectorELNS0_4arch9wavefront6targetE0EEEvT1_
	.p2align	8
	.type	_ZN7rocprim17ROCPRIM_400000_NS6detail17trampoline_kernelINS0_14default_configENS1_25partition_config_selectorILNS1_17partition_subalgoE6EiNS0_10empty_typeEbEEZZNS1_14partition_implILS5_6ELb0ES3_mN6thrust23THRUST_200600_302600_NS6detail15normal_iteratorINSA_10device_ptrIiEEEEPS6_SG_NS0_5tupleIJNSA_16discard_iteratorINSA_11use_defaultEEES6_EEENSH_IJSG_SG_EEES6_PlJNSB_9not_fun_tI7is_trueIiEEEEEE10hipError_tPvRmT3_T4_T5_T6_T7_T9_mT8_P12ihipStream_tbDpT10_ENKUlT_T0_E_clISt17integral_constantIbLb1EES1B_EEDaS16_S17_EUlS16_E_NS1_11comp_targetILNS1_3genE8ELNS1_11target_archE1030ELNS1_3gpuE2ELNS1_3repE0EEENS1_30default_config_static_selectorELNS0_4arch9wavefront6targetE0EEEvT1_,@function
_ZN7rocprim17ROCPRIM_400000_NS6detail17trampoline_kernelINS0_14default_configENS1_25partition_config_selectorILNS1_17partition_subalgoE6EiNS0_10empty_typeEbEEZZNS1_14partition_implILS5_6ELb0ES3_mN6thrust23THRUST_200600_302600_NS6detail15normal_iteratorINSA_10device_ptrIiEEEEPS6_SG_NS0_5tupleIJNSA_16discard_iteratorINSA_11use_defaultEEES6_EEENSH_IJSG_SG_EEES6_PlJNSB_9not_fun_tI7is_trueIiEEEEEE10hipError_tPvRmT3_T4_T5_T6_T7_T9_mT8_P12ihipStream_tbDpT10_ENKUlT_T0_E_clISt17integral_constantIbLb1EES1B_EEDaS16_S17_EUlS16_E_NS1_11comp_targetILNS1_3genE8ELNS1_11target_archE1030ELNS1_3gpuE2ELNS1_3repE0EEENS1_30default_config_static_selectorELNS0_4arch9wavefront6targetE0EEEvT1_: ; @_ZN7rocprim17ROCPRIM_400000_NS6detail17trampoline_kernelINS0_14default_configENS1_25partition_config_selectorILNS1_17partition_subalgoE6EiNS0_10empty_typeEbEEZZNS1_14partition_implILS5_6ELb0ES3_mN6thrust23THRUST_200600_302600_NS6detail15normal_iteratorINSA_10device_ptrIiEEEEPS6_SG_NS0_5tupleIJNSA_16discard_iteratorINSA_11use_defaultEEES6_EEENSH_IJSG_SG_EEES6_PlJNSB_9not_fun_tI7is_trueIiEEEEEE10hipError_tPvRmT3_T4_T5_T6_T7_T9_mT8_P12ihipStream_tbDpT10_ENKUlT_T0_E_clISt17integral_constantIbLb1EES1B_EEDaS16_S17_EUlS16_E_NS1_11comp_targetILNS1_3genE8ELNS1_11target_archE1030ELNS1_3gpuE2ELNS1_3repE0EEENS1_30default_config_static_selectorELNS0_4arch9wavefront6targetE0EEEvT1_
; %bb.0:
	.section	.rodata,"a",@progbits
	.p2align	6, 0x0
	.amdhsa_kernel _ZN7rocprim17ROCPRIM_400000_NS6detail17trampoline_kernelINS0_14default_configENS1_25partition_config_selectorILNS1_17partition_subalgoE6EiNS0_10empty_typeEbEEZZNS1_14partition_implILS5_6ELb0ES3_mN6thrust23THRUST_200600_302600_NS6detail15normal_iteratorINSA_10device_ptrIiEEEEPS6_SG_NS0_5tupleIJNSA_16discard_iteratorINSA_11use_defaultEEES6_EEENSH_IJSG_SG_EEES6_PlJNSB_9not_fun_tI7is_trueIiEEEEEE10hipError_tPvRmT3_T4_T5_T6_T7_T9_mT8_P12ihipStream_tbDpT10_ENKUlT_T0_E_clISt17integral_constantIbLb1EES1B_EEDaS16_S17_EUlS16_E_NS1_11comp_targetILNS1_3genE8ELNS1_11target_archE1030ELNS1_3gpuE2ELNS1_3repE0EEENS1_30default_config_static_selectorELNS0_4arch9wavefront6targetE0EEEvT1_
		.amdhsa_group_segment_fixed_size 0
		.amdhsa_private_segment_fixed_size 0
		.amdhsa_kernarg_size 136
		.amdhsa_user_sgpr_count 2
		.amdhsa_user_sgpr_dispatch_ptr 0
		.amdhsa_user_sgpr_queue_ptr 0
		.amdhsa_user_sgpr_kernarg_segment_ptr 1
		.amdhsa_user_sgpr_dispatch_id 0
		.amdhsa_user_sgpr_private_segment_size 0
		.amdhsa_wavefront_size32 1
		.amdhsa_uses_dynamic_stack 0
		.amdhsa_enable_private_segment 0
		.amdhsa_system_sgpr_workgroup_id_x 1
		.amdhsa_system_sgpr_workgroup_id_y 0
		.amdhsa_system_sgpr_workgroup_id_z 0
		.amdhsa_system_sgpr_workgroup_info 0
		.amdhsa_system_vgpr_workitem_id 0
		.amdhsa_next_free_vgpr 1
		.amdhsa_next_free_sgpr 1
		.amdhsa_reserve_vcc 0
		.amdhsa_float_round_mode_32 0
		.amdhsa_float_round_mode_16_64 0
		.amdhsa_float_denorm_mode_32 3
		.amdhsa_float_denorm_mode_16_64 3
		.amdhsa_fp16_overflow 0
		.amdhsa_workgroup_processor_mode 1
		.amdhsa_memory_ordered 1
		.amdhsa_forward_progress 1
		.amdhsa_inst_pref_size 0
		.amdhsa_round_robin_scheduling 0
		.amdhsa_exception_fp_ieee_invalid_op 0
		.amdhsa_exception_fp_denorm_src 0
		.amdhsa_exception_fp_ieee_div_zero 0
		.amdhsa_exception_fp_ieee_overflow 0
		.amdhsa_exception_fp_ieee_underflow 0
		.amdhsa_exception_fp_ieee_inexact 0
		.amdhsa_exception_int_div_zero 0
	.end_amdhsa_kernel
	.section	.text._ZN7rocprim17ROCPRIM_400000_NS6detail17trampoline_kernelINS0_14default_configENS1_25partition_config_selectorILNS1_17partition_subalgoE6EiNS0_10empty_typeEbEEZZNS1_14partition_implILS5_6ELb0ES3_mN6thrust23THRUST_200600_302600_NS6detail15normal_iteratorINSA_10device_ptrIiEEEEPS6_SG_NS0_5tupleIJNSA_16discard_iteratorINSA_11use_defaultEEES6_EEENSH_IJSG_SG_EEES6_PlJNSB_9not_fun_tI7is_trueIiEEEEEE10hipError_tPvRmT3_T4_T5_T6_T7_T9_mT8_P12ihipStream_tbDpT10_ENKUlT_T0_E_clISt17integral_constantIbLb1EES1B_EEDaS16_S17_EUlS16_E_NS1_11comp_targetILNS1_3genE8ELNS1_11target_archE1030ELNS1_3gpuE2ELNS1_3repE0EEENS1_30default_config_static_selectorELNS0_4arch9wavefront6targetE0EEEvT1_,"axG",@progbits,_ZN7rocprim17ROCPRIM_400000_NS6detail17trampoline_kernelINS0_14default_configENS1_25partition_config_selectorILNS1_17partition_subalgoE6EiNS0_10empty_typeEbEEZZNS1_14partition_implILS5_6ELb0ES3_mN6thrust23THRUST_200600_302600_NS6detail15normal_iteratorINSA_10device_ptrIiEEEEPS6_SG_NS0_5tupleIJNSA_16discard_iteratorINSA_11use_defaultEEES6_EEENSH_IJSG_SG_EEES6_PlJNSB_9not_fun_tI7is_trueIiEEEEEE10hipError_tPvRmT3_T4_T5_T6_T7_T9_mT8_P12ihipStream_tbDpT10_ENKUlT_T0_E_clISt17integral_constantIbLb1EES1B_EEDaS16_S17_EUlS16_E_NS1_11comp_targetILNS1_3genE8ELNS1_11target_archE1030ELNS1_3gpuE2ELNS1_3repE0EEENS1_30default_config_static_selectorELNS0_4arch9wavefront6targetE0EEEvT1_,comdat
.Lfunc_end2284:
	.size	_ZN7rocprim17ROCPRIM_400000_NS6detail17trampoline_kernelINS0_14default_configENS1_25partition_config_selectorILNS1_17partition_subalgoE6EiNS0_10empty_typeEbEEZZNS1_14partition_implILS5_6ELb0ES3_mN6thrust23THRUST_200600_302600_NS6detail15normal_iteratorINSA_10device_ptrIiEEEEPS6_SG_NS0_5tupleIJNSA_16discard_iteratorINSA_11use_defaultEEES6_EEENSH_IJSG_SG_EEES6_PlJNSB_9not_fun_tI7is_trueIiEEEEEE10hipError_tPvRmT3_T4_T5_T6_T7_T9_mT8_P12ihipStream_tbDpT10_ENKUlT_T0_E_clISt17integral_constantIbLb1EES1B_EEDaS16_S17_EUlS16_E_NS1_11comp_targetILNS1_3genE8ELNS1_11target_archE1030ELNS1_3gpuE2ELNS1_3repE0EEENS1_30default_config_static_selectorELNS0_4arch9wavefront6targetE0EEEvT1_, .Lfunc_end2284-_ZN7rocprim17ROCPRIM_400000_NS6detail17trampoline_kernelINS0_14default_configENS1_25partition_config_selectorILNS1_17partition_subalgoE6EiNS0_10empty_typeEbEEZZNS1_14partition_implILS5_6ELb0ES3_mN6thrust23THRUST_200600_302600_NS6detail15normal_iteratorINSA_10device_ptrIiEEEEPS6_SG_NS0_5tupleIJNSA_16discard_iteratorINSA_11use_defaultEEES6_EEENSH_IJSG_SG_EEES6_PlJNSB_9not_fun_tI7is_trueIiEEEEEE10hipError_tPvRmT3_T4_T5_T6_T7_T9_mT8_P12ihipStream_tbDpT10_ENKUlT_T0_E_clISt17integral_constantIbLb1EES1B_EEDaS16_S17_EUlS16_E_NS1_11comp_targetILNS1_3genE8ELNS1_11target_archE1030ELNS1_3gpuE2ELNS1_3repE0EEENS1_30default_config_static_selectorELNS0_4arch9wavefront6targetE0EEEvT1_
                                        ; -- End function
	.set _ZN7rocprim17ROCPRIM_400000_NS6detail17trampoline_kernelINS0_14default_configENS1_25partition_config_selectorILNS1_17partition_subalgoE6EiNS0_10empty_typeEbEEZZNS1_14partition_implILS5_6ELb0ES3_mN6thrust23THRUST_200600_302600_NS6detail15normal_iteratorINSA_10device_ptrIiEEEEPS6_SG_NS0_5tupleIJNSA_16discard_iteratorINSA_11use_defaultEEES6_EEENSH_IJSG_SG_EEES6_PlJNSB_9not_fun_tI7is_trueIiEEEEEE10hipError_tPvRmT3_T4_T5_T6_T7_T9_mT8_P12ihipStream_tbDpT10_ENKUlT_T0_E_clISt17integral_constantIbLb1EES1B_EEDaS16_S17_EUlS16_E_NS1_11comp_targetILNS1_3genE8ELNS1_11target_archE1030ELNS1_3gpuE2ELNS1_3repE0EEENS1_30default_config_static_selectorELNS0_4arch9wavefront6targetE0EEEvT1_.num_vgpr, 0
	.set _ZN7rocprim17ROCPRIM_400000_NS6detail17trampoline_kernelINS0_14default_configENS1_25partition_config_selectorILNS1_17partition_subalgoE6EiNS0_10empty_typeEbEEZZNS1_14partition_implILS5_6ELb0ES3_mN6thrust23THRUST_200600_302600_NS6detail15normal_iteratorINSA_10device_ptrIiEEEEPS6_SG_NS0_5tupleIJNSA_16discard_iteratorINSA_11use_defaultEEES6_EEENSH_IJSG_SG_EEES6_PlJNSB_9not_fun_tI7is_trueIiEEEEEE10hipError_tPvRmT3_T4_T5_T6_T7_T9_mT8_P12ihipStream_tbDpT10_ENKUlT_T0_E_clISt17integral_constantIbLb1EES1B_EEDaS16_S17_EUlS16_E_NS1_11comp_targetILNS1_3genE8ELNS1_11target_archE1030ELNS1_3gpuE2ELNS1_3repE0EEENS1_30default_config_static_selectorELNS0_4arch9wavefront6targetE0EEEvT1_.num_agpr, 0
	.set _ZN7rocprim17ROCPRIM_400000_NS6detail17trampoline_kernelINS0_14default_configENS1_25partition_config_selectorILNS1_17partition_subalgoE6EiNS0_10empty_typeEbEEZZNS1_14partition_implILS5_6ELb0ES3_mN6thrust23THRUST_200600_302600_NS6detail15normal_iteratorINSA_10device_ptrIiEEEEPS6_SG_NS0_5tupleIJNSA_16discard_iteratorINSA_11use_defaultEEES6_EEENSH_IJSG_SG_EEES6_PlJNSB_9not_fun_tI7is_trueIiEEEEEE10hipError_tPvRmT3_T4_T5_T6_T7_T9_mT8_P12ihipStream_tbDpT10_ENKUlT_T0_E_clISt17integral_constantIbLb1EES1B_EEDaS16_S17_EUlS16_E_NS1_11comp_targetILNS1_3genE8ELNS1_11target_archE1030ELNS1_3gpuE2ELNS1_3repE0EEENS1_30default_config_static_selectorELNS0_4arch9wavefront6targetE0EEEvT1_.numbered_sgpr, 0
	.set _ZN7rocprim17ROCPRIM_400000_NS6detail17trampoline_kernelINS0_14default_configENS1_25partition_config_selectorILNS1_17partition_subalgoE6EiNS0_10empty_typeEbEEZZNS1_14partition_implILS5_6ELb0ES3_mN6thrust23THRUST_200600_302600_NS6detail15normal_iteratorINSA_10device_ptrIiEEEEPS6_SG_NS0_5tupleIJNSA_16discard_iteratorINSA_11use_defaultEEES6_EEENSH_IJSG_SG_EEES6_PlJNSB_9not_fun_tI7is_trueIiEEEEEE10hipError_tPvRmT3_T4_T5_T6_T7_T9_mT8_P12ihipStream_tbDpT10_ENKUlT_T0_E_clISt17integral_constantIbLb1EES1B_EEDaS16_S17_EUlS16_E_NS1_11comp_targetILNS1_3genE8ELNS1_11target_archE1030ELNS1_3gpuE2ELNS1_3repE0EEENS1_30default_config_static_selectorELNS0_4arch9wavefront6targetE0EEEvT1_.num_named_barrier, 0
	.set _ZN7rocprim17ROCPRIM_400000_NS6detail17trampoline_kernelINS0_14default_configENS1_25partition_config_selectorILNS1_17partition_subalgoE6EiNS0_10empty_typeEbEEZZNS1_14partition_implILS5_6ELb0ES3_mN6thrust23THRUST_200600_302600_NS6detail15normal_iteratorINSA_10device_ptrIiEEEEPS6_SG_NS0_5tupleIJNSA_16discard_iteratorINSA_11use_defaultEEES6_EEENSH_IJSG_SG_EEES6_PlJNSB_9not_fun_tI7is_trueIiEEEEEE10hipError_tPvRmT3_T4_T5_T6_T7_T9_mT8_P12ihipStream_tbDpT10_ENKUlT_T0_E_clISt17integral_constantIbLb1EES1B_EEDaS16_S17_EUlS16_E_NS1_11comp_targetILNS1_3genE8ELNS1_11target_archE1030ELNS1_3gpuE2ELNS1_3repE0EEENS1_30default_config_static_selectorELNS0_4arch9wavefront6targetE0EEEvT1_.private_seg_size, 0
	.set _ZN7rocprim17ROCPRIM_400000_NS6detail17trampoline_kernelINS0_14default_configENS1_25partition_config_selectorILNS1_17partition_subalgoE6EiNS0_10empty_typeEbEEZZNS1_14partition_implILS5_6ELb0ES3_mN6thrust23THRUST_200600_302600_NS6detail15normal_iteratorINSA_10device_ptrIiEEEEPS6_SG_NS0_5tupleIJNSA_16discard_iteratorINSA_11use_defaultEEES6_EEENSH_IJSG_SG_EEES6_PlJNSB_9not_fun_tI7is_trueIiEEEEEE10hipError_tPvRmT3_T4_T5_T6_T7_T9_mT8_P12ihipStream_tbDpT10_ENKUlT_T0_E_clISt17integral_constantIbLb1EES1B_EEDaS16_S17_EUlS16_E_NS1_11comp_targetILNS1_3genE8ELNS1_11target_archE1030ELNS1_3gpuE2ELNS1_3repE0EEENS1_30default_config_static_selectorELNS0_4arch9wavefront6targetE0EEEvT1_.uses_vcc, 0
	.set _ZN7rocprim17ROCPRIM_400000_NS6detail17trampoline_kernelINS0_14default_configENS1_25partition_config_selectorILNS1_17partition_subalgoE6EiNS0_10empty_typeEbEEZZNS1_14partition_implILS5_6ELb0ES3_mN6thrust23THRUST_200600_302600_NS6detail15normal_iteratorINSA_10device_ptrIiEEEEPS6_SG_NS0_5tupleIJNSA_16discard_iteratorINSA_11use_defaultEEES6_EEENSH_IJSG_SG_EEES6_PlJNSB_9not_fun_tI7is_trueIiEEEEEE10hipError_tPvRmT3_T4_T5_T6_T7_T9_mT8_P12ihipStream_tbDpT10_ENKUlT_T0_E_clISt17integral_constantIbLb1EES1B_EEDaS16_S17_EUlS16_E_NS1_11comp_targetILNS1_3genE8ELNS1_11target_archE1030ELNS1_3gpuE2ELNS1_3repE0EEENS1_30default_config_static_selectorELNS0_4arch9wavefront6targetE0EEEvT1_.uses_flat_scratch, 0
	.set _ZN7rocprim17ROCPRIM_400000_NS6detail17trampoline_kernelINS0_14default_configENS1_25partition_config_selectorILNS1_17partition_subalgoE6EiNS0_10empty_typeEbEEZZNS1_14partition_implILS5_6ELb0ES3_mN6thrust23THRUST_200600_302600_NS6detail15normal_iteratorINSA_10device_ptrIiEEEEPS6_SG_NS0_5tupleIJNSA_16discard_iteratorINSA_11use_defaultEEES6_EEENSH_IJSG_SG_EEES6_PlJNSB_9not_fun_tI7is_trueIiEEEEEE10hipError_tPvRmT3_T4_T5_T6_T7_T9_mT8_P12ihipStream_tbDpT10_ENKUlT_T0_E_clISt17integral_constantIbLb1EES1B_EEDaS16_S17_EUlS16_E_NS1_11comp_targetILNS1_3genE8ELNS1_11target_archE1030ELNS1_3gpuE2ELNS1_3repE0EEENS1_30default_config_static_selectorELNS0_4arch9wavefront6targetE0EEEvT1_.has_dyn_sized_stack, 0
	.set _ZN7rocprim17ROCPRIM_400000_NS6detail17trampoline_kernelINS0_14default_configENS1_25partition_config_selectorILNS1_17partition_subalgoE6EiNS0_10empty_typeEbEEZZNS1_14partition_implILS5_6ELb0ES3_mN6thrust23THRUST_200600_302600_NS6detail15normal_iteratorINSA_10device_ptrIiEEEEPS6_SG_NS0_5tupleIJNSA_16discard_iteratorINSA_11use_defaultEEES6_EEENSH_IJSG_SG_EEES6_PlJNSB_9not_fun_tI7is_trueIiEEEEEE10hipError_tPvRmT3_T4_T5_T6_T7_T9_mT8_P12ihipStream_tbDpT10_ENKUlT_T0_E_clISt17integral_constantIbLb1EES1B_EEDaS16_S17_EUlS16_E_NS1_11comp_targetILNS1_3genE8ELNS1_11target_archE1030ELNS1_3gpuE2ELNS1_3repE0EEENS1_30default_config_static_selectorELNS0_4arch9wavefront6targetE0EEEvT1_.has_recursion, 0
	.set _ZN7rocprim17ROCPRIM_400000_NS6detail17trampoline_kernelINS0_14default_configENS1_25partition_config_selectorILNS1_17partition_subalgoE6EiNS0_10empty_typeEbEEZZNS1_14partition_implILS5_6ELb0ES3_mN6thrust23THRUST_200600_302600_NS6detail15normal_iteratorINSA_10device_ptrIiEEEEPS6_SG_NS0_5tupleIJNSA_16discard_iteratorINSA_11use_defaultEEES6_EEENSH_IJSG_SG_EEES6_PlJNSB_9not_fun_tI7is_trueIiEEEEEE10hipError_tPvRmT3_T4_T5_T6_T7_T9_mT8_P12ihipStream_tbDpT10_ENKUlT_T0_E_clISt17integral_constantIbLb1EES1B_EEDaS16_S17_EUlS16_E_NS1_11comp_targetILNS1_3genE8ELNS1_11target_archE1030ELNS1_3gpuE2ELNS1_3repE0EEENS1_30default_config_static_selectorELNS0_4arch9wavefront6targetE0EEEvT1_.has_indirect_call, 0
	.section	.AMDGPU.csdata,"",@progbits
; Kernel info:
; codeLenInByte = 0
; TotalNumSgprs: 0
; NumVgprs: 0
; ScratchSize: 0
; MemoryBound: 0
; FloatMode: 240
; IeeeMode: 1
; LDSByteSize: 0 bytes/workgroup (compile time only)
; SGPRBlocks: 0
; VGPRBlocks: 0
; NumSGPRsForWavesPerEU: 1
; NumVGPRsForWavesPerEU: 1
; Occupancy: 16
; WaveLimiterHint : 0
; COMPUTE_PGM_RSRC2:SCRATCH_EN: 0
; COMPUTE_PGM_RSRC2:USER_SGPR: 2
; COMPUTE_PGM_RSRC2:TRAP_HANDLER: 0
; COMPUTE_PGM_RSRC2:TGID_X_EN: 1
; COMPUTE_PGM_RSRC2:TGID_Y_EN: 0
; COMPUTE_PGM_RSRC2:TGID_Z_EN: 0
; COMPUTE_PGM_RSRC2:TIDIG_COMP_CNT: 0
	.section	.text._ZN7rocprim17ROCPRIM_400000_NS6detail17trampoline_kernelINS0_14default_configENS1_25partition_config_selectorILNS1_17partition_subalgoE6EiNS0_10empty_typeEbEEZZNS1_14partition_implILS5_6ELb0ES3_mN6thrust23THRUST_200600_302600_NS6detail15normal_iteratorINSA_10device_ptrIiEEEEPS6_SG_NS0_5tupleIJNSA_16discard_iteratorINSA_11use_defaultEEES6_EEENSH_IJSG_SG_EEES6_PlJNSB_9not_fun_tI7is_trueIiEEEEEE10hipError_tPvRmT3_T4_T5_T6_T7_T9_mT8_P12ihipStream_tbDpT10_ENKUlT_T0_E_clISt17integral_constantIbLb1EES1A_IbLb0EEEEDaS16_S17_EUlS16_E_NS1_11comp_targetILNS1_3genE0ELNS1_11target_archE4294967295ELNS1_3gpuE0ELNS1_3repE0EEENS1_30default_config_static_selectorELNS0_4arch9wavefront6targetE0EEEvT1_,"axG",@progbits,_ZN7rocprim17ROCPRIM_400000_NS6detail17trampoline_kernelINS0_14default_configENS1_25partition_config_selectorILNS1_17partition_subalgoE6EiNS0_10empty_typeEbEEZZNS1_14partition_implILS5_6ELb0ES3_mN6thrust23THRUST_200600_302600_NS6detail15normal_iteratorINSA_10device_ptrIiEEEEPS6_SG_NS0_5tupleIJNSA_16discard_iteratorINSA_11use_defaultEEES6_EEENSH_IJSG_SG_EEES6_PlJNSB_9not_fun_tI7is_trueIiEEEEEE10hipError_tPvRmT3_T4_T5_T6_T7_T9_mT8_P12ihipStream_tbDpT10_ENKUlT_T0_E_clISt17integral_constantIbLb1EES1A_IbLb0EEEEDaS16_S17_EUlS16_E_NS1_11comp_targetILNS1_3genE0ELNS1_11target_archE4294967295ELNS1_3gpuE0ELNS1_3repE0EEENS1_30default_config_static_selectorELNS0_4arch9wavefront6targetE0EEEvT1_,comdat
	.protected	_ZN7rocprim17ROCPRIM_400000_NS6detail17trampoline_kernelINS0_14default_configENS1_25partition_config_selectorILNS1_17partition_subalgoE6EiNS0_10empty_typeEbEEZZNS1_14partition_implILS5_6ELb0ES3_mN6thrust23THRUST_200600_302600_NS6detail15normal_iteratorINSA_10device_ptrIiEEEEPS6_SG_NS0_5tupleIJNSA_16discard_iteratorINSA_11use_defaultEEES6_EEENSH_IJSG_SG_EEES6_PlJNSB_9not_fun_tI7is_trueIiEEEEEE10hipError_tPvRmT3_T4_T5_T6_T7_T9_mT8_P12ihipStream_tbDpT10_ENKUlT_T0_E_clISt17integral_constantIbLb1EES1A_IbLb0EEEEDaS16_S17_EUlS16_E_NS1_11comp_targetILNS1_3genE0ELNS1_11target_archE4294967295ELNS1_3gpuE0ELNS1_3repE0EEENS1_30default_config_static_selectorELNS0_4arch9wavefront6targetE0EEEvT1_ ; -- Begin function _ZN7rocprim17ROCPRIM_400000_NS6detail17trampoline_kernelINS0_14default_configENS1_25partition_config_selectorILNS1_17partition_subalgoE6EiNS0_10empty_typeEbEEZZNS1_14partition_implILS5_6ELb0ES3_mN6thrust23THRUST_200600_302600_NS6detail15normal_iteratorINSA_10device_ptrIiEEEEPS6_SG_NS0_5tupleIJNSA_16discard_iteratorINSA_11use_defaultEEES6_EEENSH_IJSG_SG_EEES6_PlJNSB_9not_fun_tI7is_trueIiEEEEEE10hipError_tPvRmT3_T4_T5_T6_T7_T9_mT8_P12ihipStream_tbDpT10_ENKUlT_T0_E_clISt17integral_constantIbLb1EES1A_IbLb0EEEEDaS16_S17_EUlS16_E_NS1_11comp_targetILNS1_3genE0ELNS1_11target_archE4294967295ELNS1_3gpuE0ELNS1_3repE0EEENS1_30default_config_static_selectorELNS0_4arch9wavefront6targetE0EEEvT1_
	.globl	_ZN7rocprim17ROCPRIM_400000_NS6detail17trampoline_kernelINS0_14default_configENS1_25partition_config_selectorILNS1_17partition_subalgoE6EiNS0_10empty_typeEbEEZZNS1_14partition_implILS5_6ELb0ES3_mN6thrust23THRUST_200600_302600_NS6detail15normal_iteratorINSA_10device_ptrIiEEEEPS6_SG_NS0_5tupleIJNSA_16discard_iteratorINSA_11use_defaultEEES6_EEENSH_IJSG_SG_EEES6_PlJNSB_9not_fun_tI7is_trueIiEEEEEE10hipError_tPvRmT3_T4_T5_T6_T7_T9_mT8_P12ihipStream_tbDpT10_ENKUlT_T0_E_clISt17integral_constantIbLb1EES1A_IbLb0EEEEDaS16_S17_EUlS16_E_NS1_11comp_targetILNS1_3genE0ELNS1_11target_archE4294967295ELNS1_3gpuE0ELNS1_3repE0EEENS1_30default_config_static_selectorELNS0_4arch9wavefront6targetE0EEEvT1_
	.p2align	8
	.type	_ZN7rocprim17ROCPRIM_400000_NS6detail17trampoline_kernelINS0_14default_configENS1_25partition_config_selectorILNS1_17partition_subalgoE6EiNS0_10empty_typeEbEEZZNS1_14partition_implILS5_6ELb0ES3_mN6thrust23THRUST_200600_302600_NS6detail15normal_iteratorINSA_10device_ptrIiEEEEPS6_SG_NS0_5tupleIJNSA_16discard_iteratorINSA_11use_defaultEEES6_EEENSH_IJSG_SG_EEES6_PlJNSB_9not_fun_tI7is_trueIiEEEEEE10hipError_tPvRmT3_T4_T5_T6_T7_T9_mT8_P12ihipStream_tbDpT10_ENKUlT_T0_E_clISt17integral_constantIbLb1EES1A_IbLb0EEEEDaS16_S17_EUlS16_E_NS1_11comp_targetILNS1_3genE0ELNS1_11target_archE4294967295ELNS1_3gpuE0ELNS1_3repE0EEENS1_30default_config_static_selectorELNS0_4arch9wavefront6targetE0EEEvT1_,@function
_ZN7rocprim17ROCPRIM_400000_NS6detail17trampoline_kernelINS0_14default_configENS1_25partition_config_selectorILNS1_17partition_subalgoE6EiNS0_10empty_typeEbEEZZNS1_14partition_implILS5_6ELb0ES3_mN6thrust23THRUST_200600_302600_NS6detail15normal_iteratorINSA_10device_ptrIiEEEEPS6_SG_NS0_5tupleIJNSA_16discard_iteratorINSA_11use_defaultEEES6_EEENSH_IJSG_SG_EEES6_PlJNSB_9not_fun_tI7is_trueIiEEEEEE10hipError_tPvRmT3_T4_T5_T6_T7_T9_mT8_P12ihipStream_tbDpT10_ENKUlT_T0_E_clISt17integral_constantIbLb1EES1A_IbLb0EEEEDaS16_S17_EUlS16_E_NS1_11comp_targetILNS1_3genE0ELNS1_11target_archE4294967295ELNS1_3gpuE0ELNS1_3repE0EEENS1_30default_config_static_selectorELNS0_4arch9wavefront6targetE0EEEvT1_: ; @_ZN7rocprim17ROCPRIM_400000_NS6detail17trampoline_kernelINS0_14default_configENS1_25partition_config_selectorILNS1_17partition_subalgoE6EiNS0_10empty_typeEbEEZZNS1_14partition_implILS5_6ELb0ES3_mN6thrust23THRUST_200600_302600_NS6detail15normal_iteratorINSA_10device_ptrIiEEEEPS6_SG_NS0_5tupleIJNSA_16discard_iteratorINSA_11use_defaultEEES6_EEENSH_IJSG_SG_EEES6_PlJNSB_9not_fun_tI7is_trueIiEEEEEE10hipError_tPvRmT3_T4_T5_T6_T7_T9_mT8_P12ihipStream_tbDpT10_ENKUlT_T0_E_clISt17integral_constantIbLb1EES1A_IbLb0EEEEDaS16_S17_EUlS16_E_NS1_11comp_targetILNS1_3genE0ELNS1_11target_archE4294967295ELNS1_3gpuE0ELNS1_3repE0EEENS1_30default_config_static_selectorELNS0_4arch9wavefront6targetE0EEEvT1_
; %bb.0:
	.section	.rodata,"a",@progbits
	.p2align	6, 0x0
	.amdhsa_kernel _ZN7rocprim17ROCPRIM_400000_NS6detail17trampoline_kernelINS0_14default_configENS1_25partition_config_selectorILNS1_17partition_subalgoE6EiNS0_10empty_typeEbEEZZNS1_14partition_implILS5_6ELb0ES3_mN6thrust23THRUST_200600_302600_NS6detail15normal_iteratorINSA_10device_ptrIiEEEEPS6_SG_NS0_5tupleIJNSA_16discard_iteratorINSA_11use_defaultEEES6_EEENSH_IJSG_SG_EEES6_PlJNSB_9not_fun_tI7is_trueIiEEEEEE10hipError_tPvRmT3_T4_T5_T6_T7_T9_mT8_P12ihipStream_tbDpT10_ENKUlT_T0_E_clISt17integral_constantIbLb1EES1A_IbLb0EEEEDaS16_S17_EUlS16_E_NS1_11comp_targetILNS1_3genE0ELNS1_11target_archE4294967295ELNS1_3gpuE0ELNS1_3repE0EEENS1_30default_config_static_selectorELNS0_4arch9wavefront6targetE0EEEvT1_
		.amdhsa_group_segment_fixed_size 0
		.amdhsa_private_segment_fixed_size 0
		.amdhsa_kernarg_size 120
		.amdhsa_user_sgpr_count 2
		.amdhsa_user_sgpr_dispatch_ptr 0
		.amdhsa_user_sgpr_queue_ptr 0
		.amdhsa_user_sgpr_kernarg_segment_ptr 1
		.amdhsa_user_sgpr_dispatch_id 0
		.amdhsa_user_sgpr_private_segment_size 0
		.amdhsa_wavefront_size32 1
		.amdhsa_uses_dynamic_stack 0
		.amdhsa_enable_private_segment 0
		.amdhsa_system_sgpr_workgroup_id_x 1
		.amdhsa_system_sgpr_workgroup_id_y 0
		.amdhsa_system_sgpr_workgroup_id_z 0
		.amdhsa_system_sgpr_workgroup_info 0
		.amdhsa_system_vgpr_workitem_id 0
		.amdhsa_next_free_vgpr 1
		.amdhsa_next_free_sgpr 1
		.amdhsa_reserve_vcc 0
		.amdhsa_float_round_mode_32 0
		.amdhsa_float_round_mode_16_64 0
		.amdhsa_float_denorm_mode_32 3
		.amdhsa_float_denorm_mode_16_64 3
		.amdhsa_fp16_overflow 0
		.amdhsa_workgroup_processor_mode 1
		.amdhsa_memory_ordered 1
		.amdhsa_forward_progress 1
		.amdhsa_inst_pref_size 0
		.amdhsa_round_robin_scheduling 0
		.amdhsa_exception_fp_ieee_invalid_op 0
		.amdhsa_exception_fp_denorm_src 0
		.amdhsa_exception_fp_ieee_div_zero 0
		.amdhsa_exception_fp_ieee_overflow 0
		.amdhsa_exception_fp_ieee_underflow 0
		.amdhsa_exception_fp_ieee_inexact 0
		.amdhsa_exception_int_div_zero 0
	.end_amdhsa_kernel
	.section	.text._ZN7rocprim17ROCPRIM_400000_NS6detail17trampoline_kernelINS0_14default_configENS1_25partition_config_selectorILNS1_17partition_subalgoE6EiNS0_10empty_typeEbEEZZNS1_14partition_implILS5_6ELb0ES3_mN6thrust23THRUST_200600_302600_NS6detail15normal_iteratorINSA_10device_ptrIiEEEEPS6_SG_NS0_5tupleIJNSA_16discard_iteratorINSA_11use_defaultEEES6_EEENSH_IJSG_SG_EEES6_PlJNSB_9not_fun_tI7is_trueIiEEEEEE10hipError_tPvRmT3_T4_T5_T6_T7_T9_mT8_P12ihipStream_tbDpT10_ENKUlT_T0_E_clISt17integral_constantIbLb1EES1A_IbLb0EEEEDaS16_S17_EUlS16_E_NS1_11comp_targetILNS1_3genE0ELNS1_11target_archE4294967295ELNS1_3gpuE0ELNS1_3repE0EEENS1_30default_config_static_selectorELNS0_4arch9wavefront6targetE0EEEvT1_,"axG",@progbits,_ZN7rocprim17ROCPRIM_400000_NS6detail17trampoline_kernelINS0_14default_configENS1_25partition_config_selectorILNS1_17partition_subalgoE6EiNS0_10empty_typeEbEEZZNS1_14partition_implILS5_6ELb0ES3_mN6thrust23THRUST_200600_302600_NS6detail15normal_iteratorINSA_10device_ptrIiEEEEPS6_SG_NS0_5tupleIJNSA_16discard_iteratorINSA_11use_defaultEEES6_EEENSH_IJSG_SG_EEES6_PlJNSB_9not_fun_tI7is_trueIiEEEEEE10hipError_tPvRmT3_T4_T5_T6_T7_T9_mT8_P12ihipStream_tbDpT10_ENKUlT_T0_E_clISt17integral_constantIbLb1EES1A_IbLb0EEEEDaS16_S17_EUlS16_E_NS1_11comp_targetILNS1_3genE0ELNS1_11target_archE4294967295ELNS1_3gpuE0ELNS1_3repE0EEENS1_30default_config_static_selectorELNS0_4arch9wavefront6targetE0EEEvT1_,comdat
.Lfunc_end2285:
	.size	_ZN7rocprim17ROCPRIM_400000_NS6detail17trampoline_kernelINS0_14default_configENS1_25partition_config_selectorILNS1_17partition_subalgoE6EiNS0_10empty_typeEbEEZZNS1_14partition_implILS5_6ELb0ES3_mN6thrust23THRUST_200600_302600_NS6detail15normal_iteratorINSA_10device_ptrIiEEEEPS6_SG_NS0_5tupleIJNSA_16discard_iteratorINSA_11use_defaultEEES6_EEENSH_IJSG_SG_EEES6_PlJNSB_9not_fun_tI7is_trueIiEEEEEE10hipError_tPvRmT3_T4_T5_T6_T7_T9_mT8_P12ihipStream_tbDpT10_ENKUlT_T0_E_clISt17integral_constantIbLb1EES1A_IbLb0EEEEDaS16_S17_EUlS16_E_NS1_11comp_targetILNS1_3genE0ELNS1_11target_archE4294967295ELNS1_3gpuE0ELNS1_3repE0EEENS1_30default_config_static_selectorELNS0_4arch9wavefront6targetE0EEEvT1_, .Lfunc_end2285-_ZN7rocprim17ROCPRIM_400000_NS6detail17trampoline_kernelINS0_14default_configENS1_25partition_config_selectorILNS1_17partition_subalgoE6EiNS0_10empty_typeEbEEZZNS1_14partition_implILS5_6ELb0ES3_mN6thrust23THRUST_200600_302600_NS6detail15normal_iteratorINSA_10device_ptrIiEEEEPS6_SG_NS0_5tupleIJNSA_16discard_iteratorINSA_11use_defaultEEES6_EEENSH_IJSG_SG_EEES6_PlJNSB_9not_fun_tI7is_trueIiEEEEEE10hipError_tPvRmT3_T4_T5_T6_T7_T9_mT8_P12ihipStream_tbDpT10_ENKUlT_T0_E_clISt17integral_constantIbLb1EES1A_IbLb0EEEEDaS16_S17_EUlS16_E_NS1_11comp_targetILNS1_3genE0ELNS1_11target_archE4294967295ELNS1_3gpuE0ELNS1_3repE0EEENS1_30default_config_static_selectorELNS0_4arch9wavefront6targetE0EEEvT1_
                                        ; -- End function
	.set _ZN7rocprim17ROCPRIM_400000_NS6detail17trampoline_kernelINS0_14default_configENS1_25partition_config_selectorILNS1_17partition_subalgoE6EiNS0_10empty_typeEbEEZZNS1_14partition_implILS5_6ELb0ES3_mN6thrust23THRUST_200600_302600_NS6detail15normal_iteratorINSA_10device_ptrIiEEEEPS6_SG_NS0_5tupleIJNSA_16discard_iteratorINSA_11use_defaultEEES6_EEENSH_IJSG_SG_EEES6_PlJNSB_9not_fun_tI7is_trueIiEEEEEE10hipError_tPvRmT3_T4_T5_T6_T7_T9_mT8_P12ihipStream_tbDpT10_ENKUlT_T0_E_clISt17integral_constantIbLb1EES1A_IbLb0EEEEDaS16_S17_EUlS16_E_NS1_11comp_targetILNS1_3genE0ELNS1_11target_archE4294967295ELNS1_3gpuE0ELNS1_3repE0EEENS1_30default_config_static_selectorELNS0_4arch9wavefront6targetE0EEEvT1_.num_vgpr, 0
	.set _ZN7rocprim17ROCPRIM_400000_NS6detail17trampoline_kernelINS0_14default_configENS1_25partition_config_selectorILNS1_17partition_subalgoE6EiNS0_10empty_typeEbEEZZNS1_14partition_implILS5_6ELb0ES3_mN6thrust23THRUST_200600_302600_NS6detail15normal_iteratorINSA_10device_ptrIiEEEEPS6_SG_NS0_5tupleIJNSA_16discard_iteratorINSA_11use_defaultEEES6_EEENSH_IJSG_SG_EEES6_PlJNSB_9not_fun_tI7is_trueIiEEEEEE10hipError_tPvRmT3_T4_T5_T6_T7_T9_mT8_P12ihipStream_tbDpT10_ENKUlT_T0_E_clISt17integral_constantIbLb1EES1A_IbLb0EEEEDaS16_S17_EUlS16_E_NS1_11comp_targetILNS1_3genE0ELNS1_11target_archE4294967295ELNS1_3gpuE0ELNS1_3repE0EEENS1_30default_config_static_selectorELNS0_4arch9wavefront6targetE0EEEvT1_.num_agpr, 0
	.set _ZN7rocprim17ROCPRIM_400000_NS6detail17trampoline_kernelINS0_14default_configENS1_25partition_config_selectorILNS1_17partition_subalgoE6EiNS0_10empty_typeEbEEZZNS1_14partition_implILS5_6ELb0ES3_mN6thrust23THRUST_200600_302600_NS6detail15normal_iteratorINSA_10device_ptrIiEEEEPS6_SG_NS0_5tupleIJNSA_16discard_iteratorINSA_11use_defaultEEES6_EEENSH_IJSG_SG_EEES6_PlJNSB_9not_fun_tI7is_trueIiEEEEEE10hipError_tPvRmT3_T4_T5_T6_T7_T9_mT8_P12ihipStream_tbDpT10_ENKUlT_T0_E_clISt17integral_constantIbLb1EES1A_IbLb0EEEEDaS16_S17_EUlS16_E_NS1_11comp_targetILNS1_3genE0ELNS1_11target_archE4294967295ELNS1_3gpuE0ELNS1_3repE0EEENS1_30default_config_static_selectorELNS0_4arch9wavefront6targetE0EEEvT1_.numbered_sgpr, 0
	.set _ZN7rocprim17ROCPRIM_400000_NS6detail17trampoline_kernelINS0_14default_configENS1_25partition_config_selectorILNS1_17partition_subalgoE6EiNS0_10empty_typeEbEEZZNS1_14partition_implILS5_6ELb0ES3_mN6thrust23THRUST_200600_302600_NS6detail15normal_iteratorINSA_10device_ptrIiEEEEPS6_SG_NS0_5tupleIJNSA_16discard_iteratorINSA_11use_defaultEEES6_EEENSH_IJSG_SG_EEES6_PlJNSB_9not_fun_tI7is_trueIiEEEEEE10hipError_tPvRmT3_T4_T5_T6_T7_T9_mT8_P12ihipStream_tbDpT10_ENKUlT_T0_E_clISt17integral_constantIbLb1EES1A_IbLb0EEEEDaS16_S17_EUlS16_E_NS1_11comp_targetILNS1_3genE0ELNS1_11target_archE4294967295ELNS1_3gpuE0ELNS1_3repE0EEENS1_30default_config_static_selectorELNS0_4arch9wavefront6targetE0EEEvT1_.num_named_barrier, 0
	.set _ZN7rocprim17ROCPRIM_400000_NS6detail17trampoline_kernelINS0_14default_configENS1_25partition_config_selectorILNS1_17partition_subalgoE6EiNS0_10empty_typeEbEEZZNS1_14partition_implILS5_6ELb0ES3_mN6thrust23THRUST_200600_302600_NS6detail15normal_iteratorINSA_10device_ptrIiEEEEPS6_SG_NS0_5tupleIJNSA_16discard_iteratorINSA_11use_defaultEEES6_EEENSH_IJSG_SG_EEES6_PlJNSB_9not_fun_tI7is_trueIiEEEEEE10hipError_tPvRmT3_T4_T5_T6_T7_T9_mT8_P12ihipStream_tbDpT10_ENKUlT_T0_E_clISt17integral_constantIbLb1EES1A_IbLb0EEEEDaS16_S17_EUlS16_E_NS1_11comp_targetILNS1_3genE0ELNS1_11target_archE4294967295ELNS1_3gpuE0ELNS1_3repE0EEENS1_30default_config_static_selectorELNS0_4arch9wavefront6targetE0EEEvT1_.private_seg_size, 0
	.set _ZN7rocprim17ROCPRIM_400000_NS6detail17trampoline_kernelINS0_14default_configENS1_25partition_config_selectorILNS1_17partition_subalgoE6EiNS0_10empty_typeEbEEZZNS1_14partition_implILS5_6ELb0ES3_mN6thrust23THRUST_200600_302600_NS6detail15normal_iteratorINSA_10device_ptrIiEEEEPS6_SG_NS0_5tupleIJNSA_16discard_iteratorINSA_11use_defaultEEES6_EEENSH_IJSG_SG_EEES6_PlJNSB_9not_fun_tI7is_trueIiEEEEEE10hipError_tPvRmT3_T4_T5_T6_T7_T9_mT8_P12ihipStream_tbDpT10_ENKUlT_T0_E_clISt17integral_constantIbLb1EES1A_IbLb0EEEEDaS16_S17_EUlS16_E_NS1_11comp_targetILNS1_3genE0ELNS1_11target_archE4294967295ELNS1_3gpuE0ELNS1_3repE0EEENS1_30default_config_static_selectorELNS0_4arch9wavefront6targetE0EEEvT1_.uses_vcc, 0
	.set _ZN7rocprim17ROCPRIM_400000_NS6detail17trampoline_kernelINS0_14default_configENS1_25partition_config_selectorILNS1_17partition_subalgoE6EiNS0_10empty_typeEbEEZZNS1_14partition_implILS5_6ELb0ES3_mN6thrust23THRUST_200600_302600_NS6detail15normal_iteratorINSA_10device_ptrIiEEEEPS6_SG_NS0_5tupleIJNSA_16discard_iteratorINSA_11use_defaultEEES6_EEENSH_IJSG_SG_EEES6_PlJNSB_9not_fun_tI7is_trueIiEEEEEE10hipError_tPvRmT3_T4_T5_T6_T7_T9_mT8_P12ihipStream_tbDpT10_ENKUlT_T0_E_clISt17integral_constantIbLb1EES1A_IbLb0EEEEDaS16_S17_EUlS16_E_NS1_11comp_targetILNS1_3genE0ELNS1_11target_archE4294967295ELNS1_3gpuE0ELNS1_3repE0EEENS1_30default_config_static_selectorELNS0_4arch9wavefront6targetE0EEEvT1_.uses_flat_scratch, 0
	.set _ZN7rocprim17ROCPRIM_400000_NS6detail17trampoline_kernelINS0_14default_configENS1_25partition_config_selectorILNS1_17partition_subalgoE6EiNS0_10empty_typeEbEEZZNS1_14partition_implILS5_6ELb0ES3_mN6thrust23THRUST_200600_302600_NS6detail15normal_iteratorINSA_10device_ptrIiEEEEPS6_SG_NS0_5tupleIJNSA_16discard_iteratorINSA_11use_defaultEEES6_EEENSH_IJSG_SG_EEES6_PlJNSB_9not_fun_tI7is_trueIiEEEEEE10hipError_tPvRmT3_T4_T5_T6_T7_T9_mT8_P12ihipStream_tbDpT10_ENKUlT_T0_E_clISt17integral_constantIbLb1EES1A_IbLb0EEEEDaS16_S17_EUlS16_E_NS1_11comp_targetILNS1_3genE0ELNS1_11target_archE4294967295ELNS1_3gpuE0ELNS1_3repE0EEENS1_30default_config_static_selectorELNS0_4arch9wavefront6targetE0EEEvT1_.has_dyn_sized_stack, 0
	.set _ZN7rocprim17ROCPRIM_400000_NS6detail17trampoline_kernelINS0_14default_configENS1_25partition_config_selectorILNS1_17partition_subalgoE6EiNS0_10empty_typeEbEEZZNS1_14partition_implILS5_6ELb0ES3_mN6thrust23THRUST_200600_302600_NS6detail15normal_iteratorINSA_10device_ptrIiEEEEPS6_SG_NS0_5tupleIJNSA_16discard_iteratorINSA_11use_defaultEEES6_EEENSH_IJSG_SG_EEES6_PlJNSB_9not_fun_tI7is_trueIiEEEEEE10hipError_tPvRmT3_T4_T5_T6_T7_T9_mT8_P12ihipStream_tbDpT10_ENKUlT_T0_E_clISt17integral_constantIbLb1EES1A_IbLb0EEEEDaS16_S17_EUlS16_E_NS1_11comp_targetILNS1_3genE0ELNS1_11target_archE4294967295ELNS1_3gpuE0ELNS1_3repE0EEENS1_30default_config_static_selectorELNS0_4arch9wavefront6targetE0EEEvT1_.has_recursion, 0
	.set _ZN7rocprim17ROCPRIM_400000_NS6detail17trampoline_kernelINS0_14default_configENS1_25partition_config_selectorILNS1_17partition_subalgoE6EiNS0_10empty_typeEbEEZZNS1_14partition_implILS5_6ELb0ES3_mN6thrust23THRUST_200600_302600_NS6detail15normal_iteratorINSA_10device_ptrIiEEEEPS6_SG_NS0_5tupleIJNSA_16discard_iteratorINSA_11use_defaultEEES6_EEENSH_IJSG_SG_EEES6_PlJNSB_9not_fun_tI7is_trueIiEEEEEE10hipError_tPvRmT3_T4_T5_T6_T7_T9_mT8_P12ihipStream_tbDpT10_ENKUlT_T0_E_clISt17integral_constantIbLb1EES1A_IbLb0EEEEDaS16_S17_EUlS16_E_NS1_11comp_targetILNS1_3genE0ELNS1_11target_archE4294967295ELNS1_3gpuE0ELNS1_3repE0EEENS1_30default_config_static_selectorELNS0_4arch9wavefront6targetE0EEEvT1_.has_indirect_call, 0
	.section	.AMDGPU.csdata,"",@progbits
; Kernel info:
; codeLenInByte = 0
; TotalNumSgprs: 0
; NumVgprs: 0
; ScratchSize: 0
; MemoryBound: 0
; FloatMode: 240
; IeeeMode: 1
; LDSByteSize: 0 bytes/workgroup (compile time only)
; SGPRBlocks: 0
; VGPRBlocks: 0
; NumSGPRsForWavesPerEU: 1
; NumVGPRsForWavesPerEU: 1
; Occupancy: 16
; WaveLimiterHint : 0
; COMPUTE_PGM_RSRC2:SCRATCH_EN: 0
; COMPUTE_PGM_RSRC2:USER_SGPR: 2
; COMPUTE_PGM_RSRC2:TRAP_HANDLER: 0
; COMPUTE_PGM_RSRC2:TGID_X_EN: 1
; COMPUTE_PGM_RSRC2:TGID_Y_EN: 0
; COMPUTE_PGM_RSRC2:TGID_Z_EN: 0
; COMPUTE_PGM_RSRC2:TIDIG_COMP_CNT: 0
	.section	.text._ZN7rocprim17ROCPRIM_400000_NS6detail17trampoline_kernelINS0_14default_configENS1_25partition_config_selectorILNS1_17partition_subalgoE6EiNS0_10empty_typeEbEEZZNS1_14partition_implILS5_6ELb0ES3_mN6thrust23THRUST_200600_302600_NS6detail15normal_iteratorINSA_10device_ptrIiEEEEPS6_SG_NS0_5tupleIJNSA_16discard_iteratorINSA_11use_defaultEEES6_EEENSH_IJSG_SG_EEES6_PlJNSB_9not_fun_tI7is_trueIiEEEEEE10hipError_tPvRmT3_T4_T5_T6_T7_T9_mT8_P12ihipStream_tbDpT10_ENKUlT_T0_E_clISt17integral_constantIbLb1EES1A_IbLb0EEEEDaS16_S17_EUlS16_E_NS1_11comp_targetILNS1_3genE5ELNS1_11target_archE942ELNS1_3gpuE9ELNS1_3repE0EEENS1_30default_config_static_selectorELNS0_4arch9wavefront6targetE0EEEvT1_,"axG",@progbits,_ZN7rocprim17ROCPRIM_400000_NS6detail17trampoline_kernelINS0_14default_configENS1_25partition_config_selectorILNS1_17partition_subalgoE6EiNS0_10empty_typeEbEEZZNS1_14partition_implILS5_6ELb0ES3_mN6thrust23THRUST_200600_302600_NS6detail15normal_iteratorINSA_10device_ptrIiEEEEPS6_SG_NS0_5tupleIJNSA_16discard_iteratorINSA_11use_defaultEEES6_EEENSH_IJSG_SG_EEES6_PlJNSB_9not_fun_tI7is_trueIiEEEEEE10hipError_tPvRmT3_T4_T5_T6_T7_T9_mT8_P12ihipStream_tbDpT10_ENKUlT_T0_E_clISt17integral_constantIbLb1EES1A_IbLb0EEEEDaS16_S17_EUlS16_E_NS1_11comp_targetILNS1_3genE5ELNS1_11target_archE942ELNS1_3gpuE9ELNS1_3repE0EEENS1_30default_config_static_selectorELNS0_4arch9wavefront6targetE0EEEvT1_,comdat
	.protected	_ZN7rocprim17ROCPRIM_400000_NS6detail17trampoline_kernelINS0_14default_configENS1_25partition_config_selectorILNS1_17partition_subalgoE6EiNS0_10empty_typeEbEEZZNS1_14partition_implILS5_6ELb0ES3_mN6thrust23THRUST_200600_302600_NS6detail15normal_iteratorINSA_10device_ptrIiEEEEPS6_SG_NS0_5tupleIJNSA_16discard_iteratorINSA_11use_defaultEEES6_EEENSH_IJSG_SG_EEES6_PlJNSB_9not_fun_tI7is_trueIiEEEEEE10hipError_tPvRmT3_T4_T5_T6_T7_T9_mT8_P12ihipStream_tbDpT10_ENKUlT_T0_E_clISt17integral_constantIbLb1EES1A_IbLb0EEEEDaS16_S17_EUlS16_E_NS1_11comp_targetILNS1_3genE5ELNS1_11target_archE942ELNS1_3gpuE9ELNS1_3repE0EEENS1_30default_config_static_selectorELNS0_4arch9wavefront6targetE0EEEvT1_ ; -- Begin function _ZN7rocprim17ROCPRIM_400000_NS6detail17trampoline_kernelINS0_14default_configENS1_25partition_config_selectorILNS1_17partition_subalgoE6EiNS0_10empty_typeEbEEZZNS1_14partition_implILS5_6ELb0ES3_mN6thrust23THRUST_200600_302600_NS6detail15normal_iteratorINSA_10device_ptrIiEEEEPS6_SG_NS0_5tupleIJNSA_16discard_iteratorINSA_11use_defaultEEES6_EEENSH_IJSG_SG_EEES6_PlJNSB_9not_fun_tI7is_trueIiEEEEEE10hipError_tPvRmT3_T4_T5_T6_T7_T9_mT8_P12ihipStream_tbDpT10_ENKUlT_T0_E_clISt17integral_constantIbLb1EES1A_IbLb0EEEEDaS16_S17_EUlS16_E_NS1_11comp_targetILNS1_3genE5ELNS1_11target_archE942ELNS1_3gpuE9ELNS1_3repE0EEENS1_30default_config_static_selectorELNS0_4arch9wavefront6targetE0EEEvT1_
	.globl	_ZN7rocprim17ROCPRIM_400000_NS6detail17trampoline_kernelINS0_14default_configENS1_25partition_config_selectorILNS1_17partition_subalgoE6EiNS0_10empty_typeEbEEZZNS1_14partition_implILS5_6ELb0ES3_mN6thrust23THRUST_200600_302600_NS6detail15normal_iteratorINSA_10device_ptrIiEEEEPS6_SG_NS0_5tupleIJNSA_16discard_iteratorINSA_11use_defaultEEES6_EEENSH_IJSG_SG_EEES6_PlJNSB_9not_fun_tI7is_trueIiEEEEEE10hipError_tPvRmT3_T4_T5_T6_T7_T9_mT8_P12ihipStream_tbDpT10_ENKUlT_T0_E_clISt17integral_constantIbLb1EES1A_IbLb0EEEEDaS16_S17_EUlS16_E_NS1_11comp_targetILNS1_3genE5ELNS1_11target_archE942ELNS1_3gpuE9ELNS1_3repE0EEENS1_30default_config_static_selectorELNS0_4arch9wavefront6targetE0EEEvT1_
	.p2align	8
	.type	_ZN7rocprim17ROCPRIM_400000_NS6detail17trampoline_kernelINS0_14default_configENS1_25partition_config_selectorILNS1_17partition_subalgoE6EiNS0_10empty_typeEbEEZZNS1_14partition_implILS5_6ELb0ES3_mN6thrust23THRUST_200600_302600_NS6detail15normal_iteratorINSA_10device_ptrIiEEEEPS6_SG_NS0_5tupleIJNSA_16discard_iteratorINSA_11use_defaultEEES6_EEENSH_IJSG_SG_EEES6_PlJNSB_9not_fun_tI7is_trueIiEEEEEE10hipError_tPvRmT3_T4_T5_T6_T7_T9_mT8_P12ihipStream_tbDpT10_ENKUlT_T0_E_clISt17integral_constantIbLb1EES1A_IbLb0EEEEDaS16_S17_EUlS16_E_NS1_11comp_targetILNS1_3genE5ELNS1_11target_archE942ELNS1_3gpuE9ELNS1_3repE0EEENS1_30default_config_static_selectorELNS0_4arch9wavefront6targetE0EEEvT1_,@function
_ZN7rocprim17ROCPRIM_400000_NS6detail17trampoline_kernelINS0_14default_configENS1_25partition_config_selectorILNS1_17partition_subalgoE6EiNS0_10empty_typeEbEEZZNS1_14partition_implILS5_6ELb0ES3_mN6thrust23THRUST_200600_302600_NS6detail15normal_iteratorINSA_10device_ptrIiEEEEPS6_SG_NS0_5tupleIJNSA_16discard_iteratorINSA_11use_defaultEEES6_EEENSH_IJSG_SG_EEES6_PlJNSB_9not_fun_tI7is_trueIiEEEEEE10hipError_tPvRmT3_T4_T5_T6_T7_T9_mT8_P12ihipStream_tbDpT10_ENKUlT_T0_E_clISt17integral_constantIbLb1EES1A_IbLb0EEEEDaS16_S17_EUlS16_E_NS1_11comp_targetILNS1_3genE5ELNS1_11target_archE942ELNS1_3gpuE9ELNS1_3repE0EEENS1_30default_config_static_selectorELNS0_4arch9wavefront6targetE0EEEvT1_: ; @_ZN7rocprim17ROCPRIM_400000_NS6detail17trampoline_kernelINS0_14default_configENS1_25partition_config_selectorILNS1_17partition_subalgoE6EiNS0_10empty_typeEbEEZZNS1_14partition_implILS5_6ELb0ES3_mN6thrust23THRUST_200600_302600_NS6detail15normal_iteratorINSA_10device_ptrIiEEEEPS6_SG_NS0_5tupleIJNSA_16discard_iteratorINSA_11use_defaultEEES6_EEENSH_IJSG_SG_EEES6_PlJNSB_9not_fun_tI7is_trueIiEEEEEE10hipError_tPvRmT3_T4_T5_T6_T7_T9_mT8_P12ihipStream_tbDpT10_ENKUlT_T0_E_clISt17integral_constantIbLb1EES1A_IbLb0EEEEDaS16_S17_EUlS16_E_NS1_11comp_targetILNS1_3genE5ELNS1_11target_archE942ELNS1_3gpuE9ELNS1_3repE0EEENS1_30default_config_static_selectorELNS0_4arch9wavefront6targetE0EEEvT1_
; %bb.0:
	.section	.rodata,"a",@progbits
	.p2align	6, 0x0
	.amdhsa_kernel _ZN7rocprim17ROCPRIM_400000_NS6detail17trampoline_kernelINS0_14default_configENS1_25partition_config_selectorILNS1_17partition_subalgoE6EiNS0_10empty_typeEbEEZZNS1_14partition_implILS5_6ELb0ES3_mN6thrust23THRUST_200600_302600_NS6detail15normal_iteratorINSA_10device_ptrIiEEEEPS6_SG_NS0_5tupleIJNSA_16discard_iteratorINSA_11use_defaultEEES6_EEENSH_IJSG_SG_EEES6_PlJNSB_9not_fun_tI7is_trueIiEEEEEE10hipError_tPvRmT3_T4_T5_T6_T7_T9_mT8_P12ihipStream_tbDpT10_ENKUlT_T0_E_clISt17integral_constantIbLb1EES1A_IbLb0EEEEDaS16_S17_EUlS16_E_NS1_11comp_targetILNS1_3genE5ELNS1_11target_archE942ELNS1_3gpuE9ELNS1_3repE0EEENS1_30default_config_static_selectorELNS0_4arch9wavefront6targetE0EEEvT1_
		.amdhsa_group_segment_fixed_size 0
		.amdhsa_private_segment_fixed_size 0
		.amdhsa_kernarg_size 120
		.amdhsa_user_sgpr_count 2
		.amdhsa_user_sgpr_dispatch_ptr 0
		.amdhsa_user_sgpr_queue_ptr 0
		.amdhsa_user_sgpr_kernarg_segment_ptr 1
		.amdhsa_user_sgpr_dispatch_id 0
		.amdhsa_user_sgpr_private_segment_size 0
		.amdhsa_wavefront_size32 1
		.amdhsa_uses_dynamic_stack 0
		.amdhsa_enable_private_segment 0
		.amdhsa_system_sgpr_workgroup_id_x 1
		.amdhsa_system_sgpr_workgroup_id_y 0
		.amdhsa_system_sgpr_workgroup_id_z 0
		.amdhsa_system_sgpr_workgroup_info 0
		.amdhsa_system_vgpr_workitem_id 0
		.amdhsa_next_free_vgpr 1
		.amdhsa_next_free_sgpr 1
		.amdhsa_reserve_vcc 0
		.amdhsa_float_round_mode_32 0
		.amdhsa_float_round_mode_16_64 0
		.amdhsa_float_denorm_mode_32 3
		.amdhsa_float_denorm_mode_16_64 3
		.amdhsa_fp16_overflow 0
		.amdhsa_workgroup_processor_mode 1
		.amdhsa_memory_ordered 1
		.amdhsa_forward_progress 1
		.amdhsa_inst_pref_size 0
		.amdhsa_round_robin_scheduling 0
		.amdhsa_exception_fp_ieee_invalid_op 0
		.amdhsa_exception_fp_denorm_src 0
		.amdhsa_exception_fp_ieee_div_zero 0
		.amdhsa_exception_fp_ieee_overflow 0
		.amdhsa_exception_fp_ieee_underflow 0
		.amdhsa_exception_fp_ieee_inexact 0
		.amdhsa_exception_int_div_zero 0
	.end_amdhsa_kernel
	.section	.text._ZN7rocprim17ROCPRIM_400000_NS6detail17trampoline_kernelINS0_14default_configENS1_25partition_config_selectorILNS1_17partition_subalgoE6EiNS0_10empty_typeEbEEZZNS1_14partition_implILS5_6ELb0ES3_mN6thrust23THRUST_200600_302600_NS6detail15normal_iteratorINSA_10device_ptrIiEEEEPS6_SG_NS0_5tupleIJNSA_16discard_iteratorINSA_11use_defaultEEES6_EEENSH_IJSG_SG_EEES6_PlJNSB_9not_fun_tI7is_trueIiEEEEEE10hipError_tPvRmT3_T4_T5_T6_T7_T9_mT8_P12ihipStream_tbDpT10_ENKUlT_T0_E_clISt17integral_constantIbLb1EES1A_IbLb0EEEEDaS16_S17_EUlS16_E_NS1_11comp_targetILNS1_3genE5ELNS1_11target_archE942ELNS1_3gpuE9ELNS1_3repE0EEENS1_30default_config_static_selectorELNS0_4arch9wavefront6targetE0EEEvT1_,"axG",@progbits,_ZN7rocprim17ROCPRIM_400000_NS6detail17trampoline_kernelINS0_14default_configENS1_25partition_config_selectorILNS1_17partition_subalgoE6EiNS0_10empty_typeEbEEZZNS1_14partition_implILS5_6ELb0ES3_mN6thrust23THRUST_200600_302600_NS6detail15normal_iteratorINSA_10device_ptrIiEEEEPS6_SG_NS0_5tupleIJNSA_16discard_iteratorINSA_11use_defaultEEES6_EEENSH_IJSG_SG_EEES6_PlJNSB_9not_fun_tI7is_trueIiEEEEEE10hipError_tPvRmT3_T4_T5_T6_T7_T9_mT8_P12ihipStream_tbDpT10_ENKUlT_T0_E_clISt17integral_constantIbLb1EES1A_IbLb0EEEEDaS16_S17_EUlS16_E_NS1_11comp_targetILNS1_3genE5ELNS1_11target_archE942ELNS1_3gpuE9ELNS1_3repE0EEENS1_30default_config_static_selectorELNS0_4arch9wavefront6targetE0EEEvT1_,comdat
.Lfunc_end2286:
	.size	_ZN7rocprim17ROCPRIM_400000_NS6detail17trampoline_kernelINS0_14default_configENS1_25partition_config_selectorILNS1_17partition_subalgoE6EiNS0_10empty_typeEbEEZZNS1_14partition_implILS5_6ELb0ES3_mN6thrust23THRUST_200600_302600_NS6detail15normal_iteratorINSA_10device_ptrIiEEEEPS6_SG_NS0_5tupleIJNSA_16discard_iteratorINSA_11use_defaultEEES6_EEENSH_IJSG_SG_EEES6_PlJNSB_9not_fun_tI7is_trueIiEEEEEE10hipError_tPvRmT3_T4_T5_T6_T7_T9_mT8_P12ihipStream_tbDpT10_ENKUlT_T0_E_clISt17integral_constantIbLb1EES1A_IbLb0EEEEDaS16_S17_EUlS16_E_NS1_11comp_targetILNS1_3genE5ELNS1_11target_archE942ELNS1_3gpuE9ELNS1_3repE0EEENS1_30default_config_static_selectorELNS0_4arch9wavefront6targetE0EEEvT1_, .Lfunc_end2286-_ZN7rocprim17ROCPRIM_400000_NS6detail17trampoline_kernelINS0_14default_configENS1_25partition_config_selectorILNS1_17partition_subalgoE6EiNS0_10empty_typeEbEEZZNS1_14partition_implILS5_6ELb0ES3_mN6thrust23THRUST_200600_302600_NS6detail15normal_iteratorINSA_10device_ptrIiEEEEPS6_SG_NS0_5tupleIJNSA_16discard_iteratorINSA_11use_defaultEEES6_EEENSH_IJSG_SG_EEES6_PlJNSB_9not_fun_tI7is_trueIiEEEEEE10hipError_tPvRmT3_T4_T5_T6_T7_T9_mT8_P12ihipStream_tbDpT10_ENKUlT_T0_E_clISt17integral_constantIbLb1EES1A_IbLb0EEEEDaS16_S17_EUlS16_E_NS1_11comp_targetILNS1_3genE5ELNS1_11target_archE942ELNS1_3gpuE9ELNS1_3repE0EEENS1_30default_config_static_selectorELNS0_4arch9wavefront6targetE0EEEvT1_
                                        ; -- End function
	.set _ZN7rocprim17ROCPRIM_400000_NS6detail17trampoline_kernelINS0_14default_configENS1_25partition_config_selectorILNS1_17partition_subalgoE6EiNS0_10empty_typeEbEEZZNS1_14partition_implILS5_6ELb0ES3_mN6thrust23THRUST_200600_302600_NS6detail15normal_iteratorINSA_10device_ptrIiEEEEPS6_SG_NS0_5tupleIJNSA_16discard_iteratorINSA_11use_defaultEEES6_EEENSH_IJSG_SG_EEES6_PlJNSB_9not_fun_tI7is_trueIiEEEEEE10hipError_tPvRmT3_T4_T5_T6_T7_T9_mT8_P12ihipStream_tbDpT10_ENKUlT_T0_E_clISt17integral_constantIbLb1EES1A_IbLb0EEEEDaS16_S17_EUlS16_E_NS1_11comp_targetILNS1_3genE5ELNS1_11target_archE942ELNS1_3gpuE9ELNS1_3repE0EEENS1_30default_config_static_selectorELNS0_4arch9wavefront6targetE0EEEvT1_.num_vgpr, 0
	.set _ZN7rocprim17ROCPRIM_400000_NS6detail17trampoline_kernelINS0_14default_configENS1_25partition_config_selectorILNS1_17partition_subalgoE6EiNS0_10empty_typeEbEEZZNS1_14partition_implILS5_6ELb0ES3_mN6thrust23THRUST_200600_302600_NS6detail15normal_iteratorINSA_10device_ptrIiEEEEPS6_SG_NS0_5tupleIJNSA_16discard_iteratorINSA_11use_defaultEEES6_EEENSH_IJSG_SG_EEES6_PlJNSB_9not_fun_tI7is_trueIiEEEEEE10hipError_tPvRmT3_T4_T5_T6_T7_T9_mT8_P12ihipStream_tbDpT10_ENKUlT_T0_E_clISt17integral_constantIbLb1EES1A_IbLb0EEEEDaS16_S17_EUlS16_E_NS1_11comp_targetILNS1_3genE5ELNS1_11target_archE942ELNS1_3gpuE9ELNS1_3repE0EEENS1_30default_config_static_selectorELNS0_4arch9wavefront6targetE0EEEvT1_.num_agpr, 0
	.set _ZN7rocprim17ROCPRIM_400000_NS6detail17trampoline_kernelINS0_14default_configENS1_25partition_config_selectorILNS1_17partition_subalgoE6EiNS0_10empty_typeEbEEZZNS1_14partition_implILS5_6ELb0ES3_mN6thrust23THRUST_200600_302600_NS6detail15normal_iteratorINSA_10device_ptrIiEEEEPS6_SG_NS0_5tupleIJNSA_16discard_iteratorINSA_11use_defaultEEES6_EEENSH_IJSG_SG_EEES6_PlJNSB_9not_fun_tI7is_trueIiEEEEEE10hipError_tPvRmT3_T4_T5_T6_T7_T9_mT8_P12ihipStream_tbDpT10_ENKUlT_T0_E_clISt17integral_constantIbLb1EES1A_IbLb0EEEEDaS16_S17_EUlS16_E_NS1_11comp_targetILNS1_3genE5ELNS1_11target_archE942ELNS1_3gpuE9ELNS1_3repE0EEENS1_30default_config_static_selectorELNS0_4arch9wavefront6targetE0EEEvT1_.numbered_sgpr, 0
	.set _ZN7rocprim17ROCPRIM_400000_NS6detail17trampoline_kernelINS0_14default_configENS1_25partition_config_selectorILNS1_17partition_subalgoE6EiNS0_10empty_typeEbEEZZNS1_14partition_implILS5_6ELb0ES3_mN6thrust23THRUST_200600_302600_NS6detail15normal_iteratorINSA_10device_ptrIiEEEEPS6_SG_NS0_5tupleIJNSA_16discard_iteratorINSA_11use_defaultEEES6_EEENSH_IJSG_SG_EEES6_PlJNSB_9not_fun_tI7is_trueIiEEEEEE10hipError_tPvRmT3_T4_T5_T6_T7_T9_mT8_P12ihipStream_tbDpT10_ENKUlT_T0_E_clISt17integral_constantIbLb1EES1A_IbLb0EEEEDaS16_S17_EUlS16_E_NS1_11comp_targetILNS1_3genE5ELNS1_11target_archE942ELNS1_3gpuE9ELNS1_3repE0EEENS1_30default_config_static_selectorELNS0_4arch9wavefront6targetE0EEEvT1_.num_named_barrier, 0
	.set _ZN7rocprim17ROCPRIM_400000_NS6detail17trampoline_kernelINS0_14default_configENS1_25partition_config_selectorILNS1_17partition_subalgoE6EiNS0_10empty_typeEbEEZZNS1_14partition_implILS5_6ELb0ES3_mN6thrust23THRUST_200600_302600_NS6detail15normal_iteratorINSA_10device_ptrIiEEEEPS6_SG_NS0_5tupleIJNSA_16discard_iteratorINSA_11use_defaultEEES6_EEENSH_IJSG_SG_EEES6_PlJNSB_9not_fun_tI7is_trueIiEEEEEE10hipError_tPvRmT3_T4_T5_T6_T7_T9_mT8_P12ihipStream_tbDpT10_ENKUlT_T0_E_clISt17integral_constantIbLb1EES1A_IbLb0EEEEDaS16_S17_EUlS16_E_NS1_11comp_targetILNS1_3genE5ELNS1_11target_archE942ELNS1_3gpuE9ELNS1_3repE0EEENS1_30default_config_static_selectorELNS0_4arch9wavefront6targetE0EEEvT1_.private_seg_size, 0
	.set _ZN7rocprim17ROCPRIM_400000_NS6detail17trampoline_kernelINS0_14default_configENS1_25partition_config_selectorILNS1_17partition_subalgoE6EiNS0_10empty_typeEbEEZZNS1_14partition_implILS5_6ELb0ES3_mN6thrust23THRUST_200600_302600_NS6detail15normal_iteratorINSA_10device_ptrIiEEEEPS6_SG_NS0_5tupleIJNSA_16discard_iteratorINSA_11use_defaultEEES6_EEENSH_IJSG_SG_EEES6_PlJNSB_9not_fun_tI7is_trueIiEEEEEE10hipError_tPvRmT3_T4_T5_T6_T7_T9_mT8_P12ihipStream_tbDpT10_ENKUlT_T0_E_clISt17integral_constantIbLb1EES1A_IbLb0EEEEDaS16_S17_EUlS16_E_NS1_11comp_targetILNS1_3genE5ELNS1_11target_archE942ELNS1_3gpuE9ELNS1_3repE0EEENS1_30default_config_static_selectorELNS0_4arch9wavefront6targetE0EEEvT1_.uses_vcc, 0
	.set _ZN7rocprim17ROCPRIM_400000_NS6detail17trampoline_kernelINS0_14default_configENS1_25partition_config_selectorILNS1_17partition_subalgoE6EiNS0_10empty_typeEbEEZZNS1_14partition_implILS5_6ELb0ES3_mN6thrust23THRUST_200600_302600_NS6detail15normal_iteratorINSA_10device_ptrIiEEEEPS6_SG_NS0_5tupleIJNSA_16discard_iteratorINSA_11use_defaultEEES6_EEENSH_IJSG_SG_EEES6_PlJNSB_9not_fun_tI7is_trueIiEEEEEE10hipError_tPvRmT3_T4_T5_T6_T7_T9_mT8_P12ihipStream_tbDpT10_ENKUlT_T0_E_clISt17integral_constantIbLb1EES1A_IbLb0EEEEDaS16_S17_EUlS16_E_NS1_11comp_targetILNS1_3genE5ELNS1_11target_archE942ELNS1_3gpuE9ELNS1_3repE0EEENS1_30default_config_static_selectorELNS0_4arch9wavefront6targetE0EEEvT1_.uses_flat_scratch, 0
	.set _ZN7rocprim17ROCPRIM_400000_NS6detail17trampoline_kernelINS0_14default_configENS1_25partition_config_selectorILNS1_17partition_subalgoE6EiNS0_10empty_typeEbEEZZNS1_14partition_implILS5_6ELb0ES3_mN6thrust23THRUST_200600_302600_NS6detail15normal_iteratorINSA_10device_ptrIiEEEEPS6_SG_NS0_5tupleIJNSA_16discard_iteratorINSA_11use_defaultEEES6_EEENSH_IJSG_SG_EEES6_PlJNSB_9not_fun_tI7is_trueIiEEEEEE10hipError_tPvRmT3_T4_T5_T6_T7_T9_mT8_P12ihipStream_tbDpT10_ENKUlT_T0_E_clISt17integral_constantIbLb1EES1A_IbLb0EEEEDaS16_S17_EUlS16_E_NS1_11comp_targetILNS1_3genE5ELNS1_11target_archE942ELNS1_3gpuE9ELNS1_3repE0EEENS1_30default_config_static_selectorELNS0_4arch9wavefront6targetE0EEEvT1_.has_dyn_sized_stack, 0
	.set _ZN7rocprim17ROCPRIM_400000_NS6detail17trampoline_kernelINS0_14default_configENS1_25partition_config_selectorILNS1_17partition_subalgoE6EiNS0_10empty_typeEbEEZZNS1_14partition_implILS5_6ELb0ES3_mN6thrust23THRUST_200600_302600_NS6detail15normal_iteratorINSA_10device_ptrIiEEEEPS6_SG_NS0_5tupleIJNSA_16discard_iteratorINSA_11use_defaultEEES6_EEENSH_IJSG_SG_EEES6_PlJNSB_9not_fun_tI7is_trueIiEEEEEE10hipError_tPvRmT3_T4_T5_T6_T7_T9_mT8_P12ihipStream_tbDpT10_ENKUlT_T0_E_clISt17integral_constantIbLb1EES1A_IbLb0EEEEDaS16_S17_EUlS16_E_NS1_11comp_targetILNS1_3genE5ELNS1_11target_archE942ELNS1_3gpuE9ELNS1_3repE0EEENS1_30default_config_static_selectorELNS0_4arch9wavefront6targetE0EEEvT1_.has_recursion, 0
	.set _ZN7rocprim17ROCPRIM_400000_NS6detail17trampoline_kernelINS0_14default_configENS1_25partition_config_selectorILNS1_17partition_subalgoE6EiNS0_10empty_typeEbEEZZNS1_14partition_implILS5_6ELb0ES3_mN6thrust23THRUST_200600_302600_NS6detail15normal_iteratorINSA_10device_ptrIiEEEEPS6_SG_NS0_5tupleIJNSA_16discard_iteratorINSA_11use_defaultEEES6_EEENSH_IJSG_SG_EEES6_PlJNSB_9not_fun_tI7is_trueIiEEEEEE10hipError_tPvRmT3_T4_T5_T6_T7_T9_mT8_P12ihipStream_tbDpT10_ENKUlT_T0_E_clISt17integral_constantIbLb1EES1A_IbLb0EEEEDaS16_S17_EUlS16_E_NS1_11comp_targetILNS1_3genE5ELNS1_11target_archE942ELNS1_3gpuE9ELNS1_3repE0EEENS1_30default_config_static_selectorELNS0_4arch9wavefront6targetE0EEEvT1_.has_indirect_call, 0
	.section	.AMDGPU.csdata,"",@progbits
; Kernel info:
; codeLenInByte = 0
; TotalNumSgprs: 0
; NumVgprs: 0
; ScratchSize: 0
; MemoryBound: 0
; FloatMode: 240
; IeeeMode: 1
; LDSByteSize: 0 bytes/workgroup (compile time only)
; SGPRBlocks: 0
; VGPRBlocks: 0
; NumSGPRsForWavesPerEU: 1
; NumVGPRsForWavesPerEU: 1
; Occupancy: 16
; WaveLimiterHint : 0
; COMPUTE_PGM_RSRC2:SCRATCH_EN: 0
; COMPUTE_PGM_RSRC2:USER_SGPR: 2
; COMPUTE_PGM_RSRC2:TRAP_HANDLER: 0
; COMPUTE_PGM_RSRC2:TGID_X_EN: 1
; COMPUTE_PGM_RSRC2:TGID_Y_EN: 0
; COMPUTE_PGM_RSRC2:TGID_Z_EN: 0
; COMPUTE_PGM_RSRC2:TIDIG_COMP_CNT: 0
	.section	.text._ZN7rocprim17ROCPRIM_400000_NS6detail17trampoline_kernelINS0_14default_configENS1_25partition_config_selectorILNS1_17partition_subalgoE6EiNS0_10empty_typeEbEEZZNS1_14partition_implILS5_6ELb0ES3_mN6thrust23THRUST_200600_302600_NS6detail15normal_iteratorINSA_10device_ptrIiEEEEPS6_SG_NS0_5tupleIJNSA_16discard_iteratorINSA_11use_defaultEEES6_EEENSH_IJSG_SG_EEES6_PlJNSB_9not_fun_tI7is_trueIiEEEEEE10hipError_tPvRmT3_T4_T5_T6_T7_T9_mT8_P12ihipStream_tbDpT10_ENKUlT_T0_E_clISt17integral_constantIbLb1EES1A_IbLb0EEEEDaS16_S17_EUlS16_E_NS1_11comp_targetILNS1_3genE4ELNS1_11target_archE910ELNS1_3gpuE8ELNS1_3repE0EEENS1_30default_config_static_selectorELNS0_4arch9wavefront6targetE0EEEvT1_,"axG",@progbits,_ZN7rocprim17ROCPRIM_400000_NS6detail17trampoline_kernelINS0_14default_configENS1_25partition_config_selectorILNS1_17partition_subalgoE6EiNS0_10empty_typeEbEEZZNS1_14partition_implILS5_6ELb0ES3_mN6thrust23THRUST_200600_302600_NS6detail15normal_iteratorINSA_10device_ptrIiEEEEPS6_SG_NS0_5tupleIJNSA_16discard_iteratorINSA_11use_defaultEEES6_EEENSH_IJSG_SG_EEES6_PlJNSB_9not_fun_tI7is_trueIiEEEEEE10hipError_tPvRmT3_T4_T5_T6_T7_T9_mT8_P12ihipStream_tbDpT10_ENKUlT_T0_E_clISt17integral_constantIbLb1EES1A_IbLb0EEEEDaS16_S17_EUlS16_E_NS1_11comp_targetILNS1_3genE4ELNS1_11target_archE910ELNS1_3gpuE8ELNS1_3repE0EEENS1_30default_config_static_selectorELNS0_4arch9wavefront6targetE0EEEvT1_,comdat
	.protected	_ZN7rocprim17ROCPRIM_400000_NS6detail17trampoline_kernelINS0_14default_configENS1_25partition_config_selectorILNS1_17partition_subalgoE6EiNS0_10empty_typeEbEEZZNS1_14partition_implILS5_6ELb0ES3_mN6thrust23THRUST_200600_302600_NS6detail15normal_iteratorINSA_10device_ptrIiEEEEPS6_SG_NS0_5tupleIJNSA_16discard_iteratorINSA_11use_defaultEEES6_EEENSH_IJSG_SG_EEES6_PlJNSB_9not_fun_tI7is_trueIiEEEEEE10hipError_tPvRmT3_T4_T5_T6_T7_T9_mT8_P12ihipStream_tbDpT10_ENKUlT_T0_E_clISt17integral_constantIbLb1EES1A_IbLb0EEEEDaS16_S17_EUlS16_E_NS1_11comp_targetILNS1_3genE4ELNS1_11target_archE910ELNS1_3gpuE8ELNS1_3repE0EEENS1_30default_config_static_selectorELNS0_4arch9wavefront6targetE0EEEvT1_ ; -- Begin function _ZN7rocprim17ROCPRIM_400000_NS6detail17trampoline_kernelINS0_14default_configENS1_25partition_config_selectorILNS1_17partition_subalgoE6EiNS0_10empty_typeEbEEZZNS1_14partition_implILS5_6ELb0ES3_mN6thrust23THRUST_200600_302600_NS6detail15normal_iteratorINSA_10device_ptrIiEEEEPS6_SG_NS0_5tupleIJNSA_16discard_iteratorINSA_11use_defaultEEES6_EEENSH_IJSG_SG_EEES6_PlJNSB_9not_fun_tI7is_trueIiEEEEEE10hipError_tPvRmT3_T4_T5_T6_T7_T9_mT8_P12ihipStream_tbDpT10_ENKUlT_T0_E_clISt17integral_constantIbLb1EES1A_IbLb0EEEEDaS16_S17_EUlS16_E_NS1_11comp_targetILNS1_3genE4ELNS1_11target_archE910ELNS1_3gpuE8ELNS1_3repE0EEENS1_30default_config_static_selectorELNS0_4arch9wavefront6targetE0EEEvT1_
	.globl	_ZN7rocprim17ROCPRIM_400000_NS6detail17trampoline_kernelINS0_14default_configENS1_25partition_config_selectorILNS1_17partition_subalgoE6EiNS0_10empty_typeEbEEZZNS1_14partition_implILS5_6ELb0ES3_mN6thrust23THRUST_200600_302600_NS6detail15normal_iteratorINSA_10device_ptrIiEEEEPS6_SG_NS0_5tupleIJNSA_16discard_iteratorINSA_11use_defaultEEES6_EEENSH_IJSG_SG_EEES6_PlJNSB_9not_fun_tI7is_trueIiEEEEEE10hipError_tPvRmT3_T4_T5_T6_T7_T9_mT8_P12ihipStream_tbDpT10_ENKUlT_T0_E_clISt17integral_constantIbLb1EES1A_IbLb0EEEEDaS16_S17_EUlS16_E_NS1_11comp_targetILNS1_3genE4ELNS1_11target_archE910ELNS1_3gpuE8ELNS1_3repE0EEENS1_30default_config_static_selectorELNS0_4arch9wavefront6targetE0EEEvT1_
	.p2align	8
	.type	_ZN7rocprim17ROCPRIM_400000_NS6detail17trampoline_kernelINS0_14default_configENS1_25partition_config_selectorILNS1_17partition_subalgoE6EiNS0_10empty_typeEbEEZZNS1_14partition_implILS5_6ELb0ES3_mN6thrust23THRUST_200600_302600_NS6detail15normal_iteratorINSA_10device_ptrIiEEEEPS6_SG_NS0_5tupleIJNSA_16discard_iteratorINSA_11use_defaultEEES6_EEENSH_IJSG_SG_EEES6_PlJNSB_9not_fun_tI7is_trueIiEEEEEE10hipError_tPvRmT3_T4_T5_T6_T7_T9_mT8_P12ihipStream_tbDpT10_ENKUlT_T0_E_clISt17integral_constantIbLb1EES1A_IbLb0EEEEDaS16_S17_EUlS16_E_NS1_11comp_targetILNS1_3genE4ELNS1_11target_archE910ELNS1_3gpuE8ELNS1_3repE0EEENS1_30default_config_static_selectorELNS0_4arch9wavefront6targetE0EEEvT1_,@function
_ZN7rocprim17ROCPRIM_400000_NS6detail17trampoline_kernelINS0_14default_configENS1_25partition_config_selectorILNS1_17partition_subalgoE6EiNS0_10empty_typeEbEEZZNS1_14partition_implILS5_6ELb0ES3_mN6thrust23THRUST_200600_302600_NS6detail15normal_iteratorINSA_10device_ptrIiEEEEPS6_SG_NS0_5tupleIJNSA_16discard_iteratorINSA_11use_defaultEEES6_EEENSH_IJSG_SG_EEES6_PlJNSB_9not_fun_tI7is_trueIiEEEEEE10hipError_tPvRmT3_T4_T5_T6_T7_T9_mT8_P12ihipStream_tbDpT10_ENKUlT_T0_E_clISt17integral_constantIbLb1EES1A_IbLb0EEEEDaS16_S17_EUlS16_E_NS1_11comp_targetILNS1_3genE4ELNS1_11target_archE910ELNS1_3gpuE8ELNS1_3repE0EEENS1_30default_config_static_selectorELNS0_4arch9wavefront6targetE0EEEvT1_: ; @_ZN7rocprim17ROCPRIM_400000_NS6detail17trampoline_kernelINS0_14default_configENS1_25partition_config_selectorILNS1_17partition_subalgoE6EiNS0_10empty_typeEbEEZZNS1_14partition_implILS5_6ELb0ES3_mN6thrust23THRUST_200600_302600_NS6detail15normal_iteratorINSA_10device_ptrIiEEEEPS6_SG_NS0_5tupleIJNSA_16discard_iteratorINSA_11use_defaultEEES6_EEENSH_IJSG_SG_EEES6_PlJNSB_9not_fun_tI7is_trueIiEEEEEE10hipError_tPvRmT3_T4_T5_T6_T7_T9_mT8_P12ihipStream_tbDpT10_ENKUlT_T0_E_clISt17integral_constantIbLb1EES1A_IbLb0EEEEDaS16_S17_EUlS16_E_NS1_11comp_targetILNS1_3genE4ELNS1_11target_archE910ELNS1_3gpuE8ELNS1_3repE0EEENS1_30default_config_static_selectorELNS0_4arch9wavefront6targetE0EEEvT1_
; %bb.0:
	.section	.rodata,"a",@progbits
	.p2align	6, 0x0
	.amdhsa_kernel _ZN7rocprim17ROCPRIM_400000_NS6detail17trampoline_kernelINS0_14default_configENS1_25partition_config_selectorILNS1_17partition_subalgoE6EiNS0_10empty_typeEbEEZZNS1_14partition_implILS5_6ELb0ES3_mN6thrust23THRUST_200600_302600_NS6detail15normal_iteratorINSA_10device_ptrIiEEEEPS6_SG_NS0_5tupleIJNSA_16discard_iteratorINSA_11use_defaultEEES6_EEENSH_IJSG_SG_EEES6_PlJNSB_9not_fun_tI7is_trueIiEEEEEE10hipError_tPvRmT3_T4_T5_T6_T7_T9_mT8_P12ihipStream_tbDpT10_ENKUlT_T0_E_clISt17integral_constantIbLb1EES1A_IbLb0EEEEDaS16_S17_EUlS16_E_NS1_11comp_targetILNS1_3genE4ELNS1_11target_archE910ELNS1_3gpuE8ELNS1_3repE0EEENS1_30default_config_static_selectorELNS0_4arch9wavefront6targetE0EEEvT1_
		.amdhsa_group_segment_fixed_size 0
		.amdhsa_private_segment_fixed_size 0
		.amdhsa_kernarg_size 120
		.amdhsa_user_sgpr_count 2
		.amdhsa_user_sgpr_dispatch_ptr 0
		.amdhsa_user_sgpr_queue_ptr 0
		.amdhsa_user_sgpr_kernarg_segment_ptr 1
		.amdhsa_user_sgpr_dispatch_id 0
		.amdhsa_user_sgpr_private_segment_size 0
		.amdhsa_wavefront_size32 1
		.amdhsa_uses_dynamic_stack 0
		.amdhsa_enable_private_segment 0
		.amdhsa_system_sgpr_workgroup_id_x 1
		.amdhsa_system_sgpr_workgroup_id_y 0
		.amdhsa_system_sgpr_workgroup_id_z 0
		.amdhsa_system_sgpr_workgroup_info 0
		.amdhsa_system_vgpr_workitem_id 0
		.amdhsa_next_free_vgpr 1
		.amdhsa_next_free_sgpr 1
		.amdhsa_reserve_vcc 0
		.amdhsa_float_round_mode_32 0
		.amdhsa_float_round_mode_16_64 0
		.amdhsa_float_denorm_mode_32 3
		.amdhsa_float_denorm_mode_16_64 3
		.amdhsa_fp16_overflow 0
		.amdhsa_workgroup_processor_mode 1
		.amdhsa_memory_ordered 1
		.amdhsa_forward_progress 1
		.amdhsa_inst_pref_size 0
		.amdhsa_round_robin_scheduling 0
		.amdhsa_exception_fp_ieee_invalid_op 0
		.amdhsa_exception_fp_denorm_src 0
		.amdhsa_exception_fp_ieee_div_zero 0
		.amdhsa_exception_fp_ieee_overflow 0
		.amdhsa_exception_fp_ieee_underflow 0
		.amdhsa_exception_fp_ieee_inexact 0
		.amdhsa_exception_int_div_zero 0
	.end_amdhsa_kernel
	.section	.text._ZN7rocprim17ROCPRIM_400000_NS6detail17trampoline_kernelINS0_14default_configENS1_25partition_config_selectorILNS1_17partition_subalgoE6EiNS0_10empty_typeEbEEZZNS1_14partition_implILS5_6ELb0ES3_mN6thrust23THRUST_200600_302600_NS6detail15normal_iteratorINSA_10device_ptrIiEEEEPS6_SG_NS0_5tupleIJNSA_16discard_iteratorINSA_11use_defaultEEES6_EEENSH_IJSG_SG_EEES6_PlJNSB_9not_fun_tI7is_trueIiEEEEEE10hipError_tPvRmT3_T4_T5_T6_T7_T9_mT8_P12ihipStream_tbDpT10_ENKUlT_T0_E_clISt17integral_constantIbLb1EES1A_IbLb0EEEEDaS16_S17_EUlS16_E_NS1_11comp_targetILNS1_3genE4ELNS1_11target_archE910ELNS1_3gpuE8ELNS1_3repE0EEENS1_30default_config_static_selectorELNS0_4arch9wavefront6targetE0EEEvT1_,"axG",@progbits,_ZN7rocprim17ROCPRIM_400000_NS6detail17trampoline_kernelINS0_14default_configENS1_25partition_config_selectorILNS1_17partition_subalgoE6EiNS0_10empty_typeEbEEZZNS1_14partition_implILS5_6ELb0ES3_mN6thrust23THRUST_200600_302600_NS6detail15normal_iteratorINSA_10device_ptrIiEEEEPS6_SG_NS0_5tupleIJNSA_16discard_iteratorINSA_11use_defaultEEES6_EEENSH_IJSG_SG_EEES6_PlJNSB_9not_fun_tI7is_trueIiEEEEEE10hipError_tPvRmT3_T4_T5_T6_T7_T9_mT8_P12ihipStream_tbDpT10_ENKUlT_T0_E_clISt17integral_constantIbLb1EES1A_IbLb0EEEEDaS16_S17_EUlS16_E_NS1_11comp_targetILNS1_3genE4ELNS1_11target_archE910ELNS1_3gpuE8ELNS1_3repE0EEENS1_30default_config_static_selectorELNS0_4arch9wavefront6targetE0EEEvT1_,comdat
.Lfunc_end2287:
	.size	_ZN7rocprim17ROCPRIM_400000_NS6detail17trampoline_kernelINS0_14default_configENS1_25partition_config_selectorILNS1_17partition_subalgoE6EiNS0_10empty_typeEbEEZZNS1_14partition_implILS5_6ELb0ES3_mN6thrust23THRUST_200600_302600_NS6detail15normal_iteratorINSA_10device_ptrIiEEEEPS6_SG_NS0_5tupleIJNSA_16discard_iteratorINSA_11use_defaultEEES6_EEENSH_IJSG_SG_EEES6_PlJNSB_9not_fun_tI7is_trueIiEEEEEE10hipError_tPvRmT3_T4_T5_T6_T7_T9_mT8_P12ihipStream_tbDpT10_ENKUlT_T0_E_clISt17integral_constantIbLb1EES1A_IbLb0EEEEDaS16_S17_EUlS16_E_NS1_11comp_targetILNS1_3genE4ELNS1_11target_archE910ELNS1_3gpuE8ELNS1_3repE0EEENS1_30default_config_static_selectorELNS0_4arch9wavefront6targetE0EEEvT1_, .Lfunc_end2287-_ZN7rocprim17ROCPRIM_400000_NS6detail17trampoline_kernelINS0_14default_configENS1_25partition_config_selectorILNS1_17partition_subalgoE6EiNS0_10empty_typeEbEEZZNS1_14partition_implILS5_6ELb0ES3_mN6thrust23THRUST_200600_302600_NS6detail15normal_iteratorINSA_10device_ptrIiEEEEPS6_SG_NS0_5tupleIJNSA_16discard_iteratorINSA_11use_defaultEEES6_EEENSH_IJSG_SG_EEES6_PlJNSB_9not_fun_tI7is_trueIiEEEEEE10hipError_tPvRmT3_T4_T5_T6_T7_T9_mT8_P12ihipStream_tbDpT10_ENKUlT_T0_E_clISt17integral_constantIbLb1EES1A_IbLb0EEEEDaS16_S17_EUlS16_E_NS1_11comp_targetILNS1_3genE4ELNS1_11target_archE910ELNS1_3gpuE8ELNS1_3repE0EEENS1_30default_config_static_selectorELNS0_4arch9wavefront6targetE0EEEvT1_
                                        ; -- End function
	.set _ZN7rocprim17ROCPRIM_400000_NS6detail17trampoline_kernelINS0_14default_configENS1_25partition_config_selectorILNS1_17partition_subalgoE6EiNS0_10empty_typeEbEEZZNS1_14partition_implILS5_6ELb0ES3_mN6thrust23THRUST_200600_302600_NS6detail15normal_iteratorINSA_10device_ptrIiEEEEPS6_SG_NS0_5tupleIJNSA_16discard_iteratorINSA_11use_defaultEEES6_EEENSH_IJSG_SG_EEES6_PlJNSB_9not_fun_tI7is_trueIiEEEEEE10hipError_tPvRmT3_T4_T5_T6_T7_T9_mT8_P12ihipStream_tbDpT10_ENKUlT_T0_E_clISt17integral_constantIbLb1EES1A_IbLb0EEEEDaS16_S17_EUlS16_E_NS1_11comp_targetILNS1_3genE4ELNS1_11target_archE910ELNS1_3gpuE8ELNS1_3repE0EEENS1_30default_config_static_selectorELNS0_4arch9wavefront6targetE0EEEvT1_.num_vgpr, 0
	.set _ZN7rocprim17ROCPRIM_400000_NS6detail17trampoline_kernelINS0_14default_configENS1_25partition_config_selectorILNS1_17partition_subalgoE6EiNS0_10empty_typeEbEEZZNS1_14partition_implILS5_6ELb0ES3_mN6thrust23THRUST_200600_302600_NS6detail15normal_iteratorINSA_10device_ptrIiEEEEPS6_SG_NS0_5tupleIJNSA_16discard_iteratorINSA_11use_defaultEEES6_EEENSH_IJSG_SG_EEES6_PlJNSB_9not_fun_tI7is_trueIiEEEEEE10hipError_tPvRmT3_T4_T5_T6_T7_T9_mT8_P12ihipStream_tbDpT10_ENKUlT_T0_E_clISt17integral_constantIbLb1EES1A_IbLb0EEEEDaS16_S17_EUlS16_E_NS1_11comp_targetILNS1_3genE4ELNS1_11target_archE910ELNS1_3gpuE8ELNS1_3repE0EEENS1_30default_config_static_selectorELNS0_4arch9wavefront6targetE0EEEvT1_.num_agpr, 0
	.set _ZN7rocprim17ROCPRIM_400000_NS6detail17trampoline_kernelINS0_14default_configENS1_25partition_config_selectorILNS1_17partition_subalgoE6EiNS0_10empty_typeEbEEZZNS1_14partition_implILS5_6ELb0ES3_mN6thrust23THRUST_200600_302600_NS6detail15normal_iteratorINSA_10device_ptrIiEEEEPS6_SG_NS0_5tupleIJNSA_16discard_iteratorINSA_11use_defaultEEES6_EEENSH_IJSG_SG_EEES6_PlJNSB_9not_fun_tI7is_trueIiEEEEEE10hipError_tPvRmT3_T4_T5_T6_T7_T9_mT8_P12ihipStream_tbDpT10_ENKUlT_T0_E_clISt17integral_constantIbLb1EES1A_IbLb0EEEEDaS16_S17_EUlS16_E_NS1_11comp_targetILNS1_3genE4ELNS1_11target_archE910ELNS1_3gpuE8ELNS1_3repE0EEENS1_30default_config_static_selectorELNS0_4arch9wavefront6targetE0EEEvT1_.numbered_sgpr, 0
	.set _ZN7rocprim17ROCPRIM_400000_NS6detail17trampoline_kernelINS0_14default_configENS1_25partition_config_selectorILNS1_17partition_subalgoE6EiNS0_10empty_typeEbEEZZNS1_14partition_implILS5_6ELb0ES3_mN6thrust23THRUST_200600_302600_NS6detail15normal_iteratorINSA_10device_ptrIiEEEEPS6_SG_NS0_5tupleIJNSA_16discard_iteratorINSA_11use_defaultEEES6_EEENSH_IJSG_SG_EEES6_PlJNSB_9not_fun_tI7is_trueIiEEEEEE10hipError_tPvRmT3_T4_T5_T6_T7_T9_mT8_P12ihipStream_tbDpT10_ENKUlT_T0_E_clISt17integral_constantIbLb1EES1A_IbLb0EEEEDaS16_S17_EUlS16_E_NS1_11comp_targetILNS1_3genE4ELNS1_11target_archE910ELNS1_3gpuE8ELNS1_3repE0EEENS1_30default_config_static_selectorELNS0_4arch9wavefront6targetE0EEEvT1_.num_named_barrier, 0
	.set _ZN7rocprim17ROCPRIM_400000_NS6detail17trampoline_kernelINS0_14default_configENS1_25partition_config_selectorILNS1_17partition_subalgoE6EiNS0_10empty_typeEbEEZZNS1_14partition_implILS5_6ELb0ES3_mN6thrust23THRUST_200600_302600_NS6detail15normal_iteratorINSA_10device_ptrIiEEEEPS6_SG_NS0_5tupleIJNSA_16discard_iteratorINSA_11use_defaultEEES6_EEENSH_IJSG_SG_EEES6_PlJNSB_9not_fun_tI7is_trueIiEEEEEE10hipError_tPvRmT3_T4_T5_T6_T7_T9_mT8_P12ihipStream_tbDpT10_ENKUlT_T0_E_clISt17integral_constantIbLb1EES1A_IbLb0EEEEDaS16_S17_EUlS16_E_NS1_11comp_targetILNS1_3genE4ELNS1_11target_archE910ELNS1_3gpuE8ELNS1_3repE0EEENS1_30default_config_static_selectorELNS0_4arch9wavefront6targetE0EEEvT1_.private_seg_size, 0
	.set _ZN7rocprim17ROCPRIM_400000_NS6detail17trampoline_kernelINS0_14default_configENS1_25partition_config_selectorILNS1_17partition_subalgoE6EiNS0_10empty_typeEbEEZZNS1_14partition_implILS5_6ELb0ES3_mN6thrust23THRUST_200600_302600_NS6detail15normal_iteratorINSA_10device_ptrIiEEEEPS6_SG_NS0_5tupleIJNSA_16discard_iteratorINSA_11use_defaultEEES6_EEENSH_IJSG_SG_EEES6_PlJNSB_9not_fun_tI7is_trueIiEEEEEE10hipError_tPvRmT3_T4_T5_T6_T7_T9_mT8_P12ihipStream_tbDpT10_ENKUlT_T0_E_clISt17integral_constantIbLb1EES1A_IbLb0EEEEDaS16_S17_EUlS16_E_NS1_11comp_targetILNS1_3genE4ELNS1_11target_archE910ELNS1_3gpuE8ELNS1_3repE0EEENS1_30default_config_static_selectorELNS0_4arch9wavefront6targetE0EEEvT1_.uses_vcc, 0
	.set _ZN7rocprim17ROCPRIM_400000_NS6detail17trampoline_kernelINS0_14default_configENS1_25partition_config_selectorILNS1_17partition_subalgoE6EiNS0_10empty_typeEbEEZZNS1_14partition_implILS5_6ELb0ES3_mN6thrust23THRUST_200600_302600_NS6detail15normal_iteratorINSA_10device_ptrIiEEEEPS6_SG_NS0_5tupleIJNSA_16discard_iteratorINSA_11use_defaultEEES6_EEENSH_IJSG_SG_EEES6_PlJNSB_9not_fun_tI7is_trueIiEEEEEE10hipError_tPvRmT3_T4_T5_T6_T7_T9_mT8_P12ihipStream_tbDpT10_ENKUlT_T0_E_clISt17integral_constantIbLb1EES1A_IbLb0EEEEDaS16_S17_EUlS16_E_NS1_11comp_targetILNS1_3genE4ELNS1_11target_archE910ELNS1_3gpuE8ELNS1_3repE0EEENS1_30default_config_static_selectorELNS0_4arch9wavefront6targetE0EEEvT1_.uses_flat_scratch, 0
	.set _ZN7rocprim17ROCPRIM_400000_NS6detail17trampoline_kernelINS0_14default_configENS1_25partition_config_selectorILNS1_17partition_subalgoE6EiNS0_10empty_typeEbEEZZNS1_14partition_implILS5_6ELb0ES3_mN6thrust23THRUST_200600_302600_NS6detail15normal_iteratorINSA_10device_ptrIiEEEEPS6_SG_NS0_5tupleIJNSA_16discard_iteratorINSA_11use_defaultEEES6_EEENSH_IJSG_SG_EEES6_PlJNSB_9not_fun_tI7is_trueIiEEEEEE10hipError_tPvRmT3_T4_T5_T6_T7_T9_mT8_P12ihipStream_tbDpT10_ENKUlT_T0_E_clISt17integral_constantIbLb1EES1A_IbLb0EEEEDaS16_S17_EUlS16_E_NS1_11comp_targetILNS1_3genE4ELNS1_11target_archE910ELNS1_3gpuE8ELNS1_3repE0EEENS1_30default_config_static_selectorELNS0_4arch9wavefront6targetE0EEEvT1_.has_dyn_sized_stack, 0
	.set _ZN7rocprim17ROCPRIM_400000_NS6detail17trampoline_kernelINS0_14default_configENS1_25partition_config_selectorILNS1_17partition_subalgoE6EiNS0_10empty_typeEbEEZZNS1_14partition_implILS5_6ELb0ES3_mN6thrust23THRUST_200600_302600_NS6detail15normal_iteratorINSA_10device_ptrIiEEEEPS6_SG_NS0_5tupleIJNSA_16discard_iteratorINSA_11use_defaultEEES6_EEENSH_IJSG_SG_EEES6_PlJNSB_9not_fun_tI7is_trueIiEEEEEE10hipError_tPvRmT3_T4_T5_T6_T7_T9_mT8_P12ihipStream_tbDpT10_ENKUlT_T0_E_clISt17integral_constantIbLb1EES1A_IbLb0EEEEDaS16_S17_EUlS16_E_NS1_11comp_targetILNS1_3genE4ELNS1_11target_archE910ELNS1_3gpuE8ELNS1_3repE0EEENS1_30default_config_static_selectorELNS0_4arch9wavefront6targetE0EEEvT1_.has_recursion, 0
	.set _ZN7rocprim17ROCPRIM_400000_NS6detail17trampoline_kernelINS0_14default_configENS1_25partition_config_selectorILNS1_17partition_subalgoE6EiNS0_10empty_typeEbEEZZNS1_14partition_implILS5_6ELb0ES3_mN6thrust23THRUST_200600_302600_NS6detail15normal_iteratorINSA_10device_ptrIiEEEEPS6_SG_NS0_5tupleIJNSA_16discard_iteratorINSA_11use_defaultEEES6_EEENSH_IJSG_SG_EEES6_PlJNSB_9not_fun_tI7is_trueIiEEEEEE10hipError_tPvRmT3_T4_T5_T6_T7_T9_mT8_P12ihipStream_tbDpT10_ENKUlT_T0_E_clISt17integral_constantIbLb1EES1A_IbLb0EEEEDaS16_S17_EUlS16_E_NS1_11comp_targetILNS1_3genE4ELNS1_11target_archE910ELNS1_3gpuE8ELNS1_3repE0EEENS1_30default_config_static_selectorELNS0_4arch9wavefront6targetE0EEEvT1_.has_indirect_call, 0
	.section	.AMDGPU.csdata,"",@progbits
; Kernel info:
; codeLenInByte = 0
; TotalNumSgprs: 0
; NumVgprs: 0
; ScratchSize: 0
; MemoryBound: 0
; FloatMode: 240
; IeeeMode: 1
; LDSByteSize: 0 bytes/workgroup (compile time only)
; SGPRBlocks: 0
; VGPRBlocks: 0
; NumSGPRsForWavesPerEU: 1
; NumVGPRsForWavesPerEU: 1
; Occupancy: 16
; WaveLimiterHint : 0
; COMPUTE_PGM_RSRC2:SCRATCH_EN: 0
; COMPUTE_PGM_RSRC2:USER_SGPR: 2
; COMPUTE_PGM_RSRC2:TRAP_HANDLER: 0
; COMPUTE_PGM_RSRC2:TGID_X_EN: 1
; COMPUTE_PGM_RSRC2:TGID_Y_EN: 0
; COMPUTE_PGM_RSRC2:TGID_Z_EN: 0
; COMPUTE_PGM_RSRC2:TIDIG_COMP_CNT: 0
	.section	.text._ZN7rocprim17ROCPRIM_400000_NS6detail17trampoline_kernelINS0_14default_configENS1_25partition_config_selectorILNS1_17partition_subalgoE6EiNS0_10empty_typeEbEEZZNS1_14partition_implILS5_6ELb0ES3_mN6thrust23THRUST_200600_302600_NS6detail15normal_iteratorINSA_10device_ptrIiEEEEPS6_SG_NS0_5tupleIJNSA_16discard_iteratorINSA_11use_defaultEEES6_EEENSH_IJSG_SG_EEES6_PlJNSB_9not_fun_tI7is_trueIiEEEEEE10hipError_tPvRmT3_T4_T5_T6_T7_T9_mT8_P12ihipStream_tbDpT10_ENKUlT_T0_E_clISt17integral_constantIbLb1EES1A_IbLb0EEEEDaS16_S17_EUlS16_E_NS1_11comp_targetILNS1_3genE3ELNS1_11target_archE908ELNS1_3gpuE7ELNS1_3repE0EEENS1_30default_config_static_selectorELNS0_4arch9wavefront6targetE0EEEvT1_,"axG",@progbits,_ZN7rocprim17ROCPRIM_400000_NS6detail17trampoline_kernelINS0_14default_configENS1_25partition_config_selectorILNS1_17partition_subalgoE6EiNS0_10empty_typeEbEEZZNS1_14partition_implILS5_6ELb0ES3_mN6thrust23THRUST_200600_302600_NS6detail15normal_iteratorINSA_10device_ptrIiEEEEPS6_SG_NS0_5tupleIJNSA_16discard_iteratorINSA_11use_defaultEEES6_EEENSH_IJSG_SG_EEES6_PlJNSB_9not_fun_tI7is_trueIiEEEEEE10hipError_tPvRmT3_T4_T5_T6_T7_T9_mT8_P12ihipStream_tbDpT10_ENKUlT_T0_E_clISt17integral_constantIbLb1EES1A_IbLb0EEEEDaS16_S17_EUlS16_E_NS1_11comp_targetILNS1_3genE3ELNS1_11target_archE908ELNS1_3gpuE7ELNS1_3repE0EEENS1_30default_config_static_selectorELNS0_4arch9wavefront6targetE0EEEvT1_,comdat
	.protected	_ZN7rocprim17ROCPRIM_400000_NS6detail17trampoline_kernelINS0_14default_configENS1_25partition_config_selectorILNS1_17partition_subalgoE6EiNS0_10empty_typeEbEEZZNS1_14partition_implILS5_6ELb0ES3_mN6thrust23THRUST_200600_302600_NS6detail15normal_iteratorINSA_10device_ptrIiEEEEPS6_SG_NS0_5tupleIJNSA_16discard_iteratorINSA_11use_defaultEEES6_EEENSH_IJSG_SG_EEES6_PlJNSB_9not_fun_tI7is_trueIiEEEEEE10hipError_tPvRmT3_T4_T5_T6_T7_T9_mT8_P12ihipStream_tbDpT10_ENKUlT_T0_E_clISt17integral_constantIbLb1EES1A_IbLb0EEEEDaS16_S17_EUlS16_E_NS1_11comp_targetILNS1_3genE3ELNS1_11target_archE908ELNS1_3gpuE7ELNS1_3repE0EEENS1_30default_config_static_selectorELNS0_4arch9wavefront6targetE0EEEvT1_ ; -- Begin function _ZN7rocprim17ROCPRIM_400000_NS6detail17trampoline_kernelINS0_14default_configENS1_25partition_config_selectorILNS1_17partition_subalgoE6EiNS0_10empty_typeEbEEZZNS1_14partition_implILS5_6ELb0ES3_mN6thrust23THRUST_200600_302600_NS6detail15normal_iteratorINSA_10device_ptrIiEEEEPS6_SG_NS0_5tupleIJNSA_16discard_iteratorINSA_11use_defaultEEES6_EEENSH_IJSG_SG_EEES6_PlJNSB_9not_fun_tI7is_trueIiEEEEEE10hipError_tPvRmT3_T4_T5_T6_T7_T9_mT8_P12ihipStream_tbDpT10_ENKUlT_T0_E_clISt17integral_constantIbLb1EES1A_IbLb0EEEEDaS16_S17_EUlS16_E_NS1_11comp_targetILNS1_3genE3ELNS1_11target_archE908ELNS1_3gpuE7ELNS1_3repE0EEENS1_30default_config_static_selectorELNS0_4arch9wavefront6targetE0EEEvT1_
	.globl	_ZN7rocprim17ROCPRIM_400000_NS6detail17trampoline_kernelINS0_14default_configENS1_25partition_config_selectorILNS1_17partition_subalgoE6EiNS0_10empty_typeEbEEZZNS1_14partition_implILS5_6ELb0ES3_mN6thrust23THRUST_200600_302600_NS6detail15normal_iteratorINSA_10device_ptrIiEEEEPS6_SG_NS0_5tupleIJNSA_16discard_iteratorINSA_11use_defaultEEES6_EEENSH_IJSG_SG_EEES6_PlJNSB_9not_fun_tI7is_trueIiEEEEEE10hipError_tPvRmT3_T4_T5_T6_T7_T9_mT8_P12ihipStream_tbDpT10_ENKUlT_T0_E_clISt17integral_constantIbLb1EES1A_IbLb0EEEEDaS16_S17_EUlS16_E_NS1_11comp_targetILNS1_3genE3ELNS1_11target_archE908ELNS1_3gpuE7ELNS1_3repE0EEENS1_30default_config_static_selectorELNS0_4arch9wavefront6targetE0EEEvT1_
	.p2align	8
	.type	_ZN7rocprim17ROCPRIM_400000_NS6detail17trampoline_kernelINS0_14default_configENS1_25partition_config_selectorILNS1_17partition_subalgoE6EiNS0_10empty_typeEbEEZZNS1_14partition_implILS5_6ELb0ES3_mN6thrust23THRUST_200600_302600_NS6detail15normal_iteratorINSA_10device_ptrIiEEEEPS6_SG_NS0_5tupleIJNSA_16discard_iteratorINSA_11use_defaultEEES6_EEENSH_IJSG_SG_EEES6_PlJNSB_9not_fun_tI7is_trueIiEEEEEE10hipError_tPvRmT3_T4_T5_T6_T7_T9_mT8_P12ihipStream_tbDpT10_ENKUlT_T0_E_clISt17integral_constantIbLb1EES1A_IbLb0EEEEDaS16_S17_EUlS16_E_NS1_11comp_targetILNS1_3genE3ELNS1_11target_archE908ELNS1_3gpuE7ELNS1_3repE0EEENS1_30default_config_static_selectorELNS0_4arch9wavefront6targetE0EEEvT1_,@function
_ZN7rocprim17ROCPRIM_400000_NS6detail17trampoline_kernelINS0_14default_configENS1_25partition_config_selectorILNS1_17partition_subalgoE6EiNS0_10empty_typeEbEEZZNS1_14partition_implILS5_6ELb0ES3_mN6thrust23THRUST_200600_302600_NS6detail15normal_iteratorINSA_10device_ptrIiEEEEPS6_SG_NS0_5tupleIJNSA_16discard_iteratorINSA_11use_defaultEEES6_EEENSH_IJSG_SG_EEES6_PlJNSB_9not_fun_tI7is_trueIiEEEEEE10hipError_tPvRmT3_T4_T5_T6_T7_T9_mT8_P12ihipStream_tbDpT10_ENKUlT_T0_E_clISt17integral_constantIbLb1EES1A_IbLb0EEEEDaS16_S17_EUlS16_E_NS1_11comp_targetILNS1_3genE3ELNS1_11target_archE908ELNS1_3gpuE7ELNS1_3repE0EEENS1_30default_config_static_selectorELNS0_4arch9wavefront6targetE0EEEvT1_: ; @_ZN7rocprim17ROCPRIM_400000_NS6detail17trampoline_kernelINS0_14default_configENS1_25partition_config_selectorILNS1_17partition_subalgoE6EiNS0_10empty_typeEbEEZZNS1_14partition_implILS5_6ELb0ES3_mN6thrust23THRUST_200600_302600_NS6detail15normal_iteratorINSA_10device_ptrIiEEEEPS6_SG_NS0_5tupleIJNSA_16discard_iteratorINSA_11use_defaultEEES6_EEENSH_IJSG_SG_EEES6_PlJNSB_9not_fun_tI7is_trueIiEEEEEE10hipError_tPvRmT3_T4_T5_T6_T7_T9_mT8_P12ihipStream_tbDpT10_ENKUlT_T0_E_clISt17integral_constantIbLb1EES1A_IbLb0EEEEDaS16_S17_EUlS16_E_NS1_11comp_targetILNS1_3genE3ELNS1_11target_archE908ELNS1_3gpuE7ELNS1_3repE0EEENS1_30default_config_static_selectorELNS0_4arch9wavefront6targetE0EEEvT1_
; %bb.0:
	.section	.rodata,"a",@progbits
	.p2align	6, 0x0
	.amdhsa_kernel _ZN7rocprim17ROCPRIM_400000_NS6detail17trampoline_kernelINS0_14default_configENS1_25partition_config_selectorILNS1_17partition_subalgoE6EiNS0_10empty_typeEbEEZZNS1_14partition_implILS5_6ELb0ES3_mN6thrust23THRUST_200600_302600_NS6detail15normal_iteratorINSA_10device_ptrIiEEEEPS6_SG_NS0_5tupleIJNSA_16discard_iteratorINSA_11use_defaultEEES6_EEENSH_IJSG_SG_EEES6_PlJNSB_9not_fun_tI7is_trueIiEEEEEE10hipError_tPvRmT3_T4_T5_T6_T7_T9_mT8_P12ihipStream_tbDpT10_ENKUlT_T0_E_clISt17integral_constantIbLb1EES1A_IbLb0EEEEDaS16_S17_EUlS16_E_NS1_11comp_targetILNS1_3genE3ELNS1_11target_archE908ELNS1_3gpuE7ELNS1_3repE0EEENS1_30default_config_static_selectorELNS0_4arch9wavefront6targetE0EEEvT1_
		.amdhsa_group_segment_fixed_size 0
		.amdhsa_private_segment_fixed_size 0
		.amdhsa_kernarg_size 120
		.amdhsa_user_sgpr_count 2
		.amdhsa_user_sgpr_dispatch_ptr 0
		.amdhsa_user_sgpr_queue_ptr 0
		.amdhsa_user_sgpr_kernarg_segment_ptr 1
		.amdhsa_user_sgpr_dispatch_id 0
		.amdhsa_user_sgpr_private_segment_size 0
		.amdhsa_wavefront_size32 1
		.amdhsa_uses_dynamic_stack 0
		.amdhsa_enable_private_segment 0
		.amdhsa_system_sgpr_workgroup_id_x 1
		.amdhsa_system_sgpr_workgroup_id_y 0
		.amdhsa_system_sgpr_workgroup_id_z 0
		.amdhsa_system_sgpr_workgroup_info 0
		.amdhsa_system_vgpr_workitem_id 0
		.amdhsa_next_free_vgpr 1
		.amdhsa_next_free_sgpr 1
		.amdhsa_reserve_vcc 0
		.amdhsa_float_round_mode_32 0
		.amdhsa_float_round_mode_16_64 0
		.amdhsa_float_denorm_mode_32 3
		.amdhsa_float_denorm_mode_16_64 3
		.amdhsa_fp16_overflow 0
		.amdhsa_workgroup_processor_mode 1
		.amdhsa_memory_ordered 1
		.amdhsa_forward_progress 1
		.amdhsa_inst_pref_size 0
		.amdhsa_round_robin_scheduling 0
		.amdhsa_exception_fp_ieee_invalid_op 0
		.amdhsa_exception_fp_denorm_src 0
		.amdhsa_exception_fp_ieee_div_zero 0
		.amdhsa_exception_fp_ieee_overflow 0
		.amdhsa_exception_fp_ieee_underflow 0
		.amdhsa_exception_fp_ieee_inexact 0
		.amdhsa_exception_int_div_zero 0
	.end_amdhsa_kernel
	.section	.text._ZN7rocprim17ROCPRIM_400000_NS6detail17trampoline_kernelINS0_14default_configENS1_25partition_config_selectorILNS1_17partition_subalgoE6EiNS0_10empty_typeEbEEZZNS1_14partition_implILS5_6ELb0ES3_mN6thrust23THRUST_200600_302600_NS6detail15normal_iteratorINSA_10device_ptrIiEEEEPS6_SG_NS0_5tupleIJNSA_16discard_iteratorINSA_11use_defaultEEES6_EEENSH_IJSG_SG_EEES6_PlJNSB_9not_fun_tI7is_trueIiEEEEEE10hipError_tPvRmT3_T4_T5_T6_T7_T9_mT8_P12ihipStream_tbDpT10_ENKUlT_T0_E_clISt17integral_constantIbLb1EES1A_IbLb0EEEEDaS16_S17_EUlS16_E_NS1_11comp_targetILNS1_3genE3ELNS1_11target_archE908ELNS1_3gpuE7ELNS1_3repE0EEENS1_30default_config_static_selectorELNS0_4arch9wavefront6targetE0EEEvT1_,"axG",@progbits,_ZN7rocprim17ROCPRIM_400000_NS6detail17trampoline_kernelINS0_14default_configENS1_25partition_config_selectorILNS1_17partition_subalgoE6EiNS0_10empty_typeEbEEZZNS1_14partition_implILS5_6ELb0ES3_mN6thrust23THRUST_200600_302600_NS6detail15normal_iteratorINSA_10device_ptrIiEEEEPS6_SG_NS0_5tupleIJNSA_16discard_iteratorINSA_11use_defaultEEES6_EEENSH_IJSG_SG_EEES6_PlJNSB_9not_fun_tI7is_trueIiEEEEEE10hipError_tPvRmT3_T4_T5_T6_T7_T9_mT8_P12ihipStream_tbDpT10_ENKUlT_T0_E_clISt17integral_constantIbLb1EES1A_IbLb0EEEEDaS16_S17_EUlS16_E_NS1_11comp_targetILNS1_3genE3ELNS1_11target_archE908ELNS1_3gpuE7ELNS1_3repE0EEENS1_30default_config_static_selectorELNS0_4arch9wavefront6targetE0EEEvT1_,comdat
.Lfunc_end2288:
	.size	_ZN7rocprim17ROCPRIM_400000_NS6detail17trampoline_kernelINS0_14default_configENS1_25partition_config_selectorILNS1_17partition_subalgoE6EiNS0_10empty_typeEbEEZZNS1_14partition_implILS5_6ELb0ES3_mN6thrust23THRUST_200600_302600_NS6detail15normal_iteratorINSA_10device_ptrIiEEEEPS6_SG_NS0_5tupleIJNSA_16discard_iteratorINSA_11use_defaultEEES6_EEENSH_IJSG_SG_EEES6_PlJNSB_9not_fun_tI7is_trueIiEEEEEE10hipError_tPvRmT3_T4_T5_T6_T7_T9_mT8_P12ihipStream_tbDpT10_ENKUlT_T0_E_clISt17integral_constantIbLb1EES1A_IbLb0EEEEDaS16_S17_EUlS16_E_NS1_11comp_targetILNS1_3genE3ELNS1_11target_archE908ELNS1_3gpuE7ELNS1_3repE0EEENS1_30default_config_static_selectorELNS0_4arch9wavefront6targetE0EEEvT1_, .Lfunc_end2288-_ZN7rocprim17ROCPRIM_400000_NS6detail17trampoline_kernelINS0_14default_configENS1_25partition_config_selectorILNS1_17partition_subalgoE6EiNS0_10empty_typeEbEEZZNS1_14partition_implILS5_6ELb0ES3_mN6thrust23THRUST_200600_302600_NS6detail15normal_iteratorINSA_10device_ptrIiEEEEPS6_SG_NS0_5tupleIJNSA_16discard_iteratorINSA_11use_defaultEEES6_EEENSH_IJSG_SG_EEES6_PlJNSB_9not_fun_tI7is_trueIiEEEEEE10hipError_tPvRmT3_T4_T5_T6_T7_T9_mT8_P12ihipStream_tbDpT10_ENKUlT_T0_E_clISt17integral_constantIbLb1EES1A_IbLb0EEEEDaS16_S17_EUlS16_E_NS1_11comp_targetILNS1_3genE3ELNS1_11target_archE908ELNS1_3gpuE7ELNS1_3repE0EEENS1_30default_config_static_selectorELNS0_4arch9wavefront6targetE0EEEvT1_
                                        ; -- End function
	.set _ZN7rocprim17ROCPRIM_400000_NS6detail17trampoline_kernelINS0_14default_configENS1_25partition_config_selectorILNS1_17partition_subalgoE6EiNS0_10empty_typeEbEEZZNS1_14partition_implILS5_6ELb0ES3_mN6thrust23THRUST_200600_302600_NS6detail15normal_iteratorINSA_10device_ptrIiEEEEPS6_SG_NS0_5tupleIJNSA_16discard_iteratorINSA_11use_defaultEEES6_EEENSH_IJSG_SG_EEES6_PlJNSB_9not_fun_tI7is_trueIiEEEEEE10hipError_tPvRmT3_T4_T5_T6_T7_T9_mT8_P12ihipStream_tbDpT10_ENKUlT_T0_E_clISt17integral_constantIbLb1EES1A_IbLb0EEEEDaS16_S17_EUlS16_E_NS1_11comp_targetILNS1_3genE3ELNS1_11target_archE908ELNS1_3gpuE7ELNS1_3repE0EEENS1_30default_config_static_selectorELNS0_4arch9wavefront6targetE0EEEvT1_.num_vgpr, 0
	.set _ZN7rocprim17ROCPRIM_400000_NS6detail17trampoline_kernelINS0_14default_configENS1_25partition_config_selectorILNS1_17partition_subalgoE6EiNS0_10empty_typeEbEEZZNS1_14partition_implILS5_6ELb0ES3_mN6thrust23THRUST_200600_302600_NS6detail15normal_iteratorINSA_10device_ptrIiEEEEPS6_SG_NS0_5tupleIJNSA_16discard_iteratorINSA_11use_defaultEEES6_EEENSH_IJSG_SG_EEES6_PlJNSB_9not_fun_tI7is_trueIiEEEEEE10hipError_tPvRmT3_T4_T5_T6_T7_T9_mT8_P12ihipStream_tbDpT10_ENKUlT_T0_E_clISt17integral_constantIbLb1EES1A_IbLb0EEEEDaS16_S17_EUlS16_E_NS1_11comp_targetILNS1_3genE3ELNS1_11target_archE908ELNS1_3gpuE7ELNS1_3repE0EEENS1_30default_config_static_selectorELNS0_4arch9wavefront6targetE0EEEvT1_.num_agpr, 0
	.set _ZN7rocprim17ROCPRIM_400000_NS6detail17trampoline_kernelINS0_14default_configENS1_25partition_config_selectorILNS1_17partition_subalgoE6EiNS0_10empty_typeEbEEZZNS1_14partition_implILS5_6ELb0ES3_mN6thrust23THRUST_200600_302600_NS6detail15normal_iteratorINSA_10device_ptrIiEEEEPS6_SG_NS0_5tupleIJNSA_16discard_iteratorINSA_11use_defaultEEES6_EEENSH_IJSG_SG_EEES6_PlJNSB_9not_fun_tI7is_trueIiEEEEEE10hipError_tPvRmT3_T4_T5_T6_T7_T9_mT8_P12ihipStream_tbDpT10_ENKUlT_T0_E_clISt17integral_constantIbLb1EES1A_IbLb0EEEEDaS16_S17_EUlS16_E_NS1_11comp_targetILNS1_3genE3ELNS1_11target_archE908ELNS1_3gpuE7ELNS1_3repE0EEENS1_30default_config_static_selectorELNS0_4arch9wavefront6targetE0EEEvT1_.numbered_sgpr, 0
	.set _ZN7rocprim17ROCPRIM_400000_NS6detail17trampoline_kernelINS0_14default_configENS1_25partition_config_selectorILNS1_17partition_subalgoE6EiNS0_10empty_typeEbEEZZNS1_14partition_implILS5_6ELb0ES3_mN6thrust23THRUST_200600_302600_NS6detail15normal_iteratorINSA_10device_ptrIiEEEEPS6_SG_NS0_5tupleIJNSA_16discard_iteratorINSA_11use_defaultEEES6_EEENSH_IJSG_SG_EEES6_PlJNSB_9not_fun_tI7is_trueIiEEEEEE10hipError_tPvRmT3_T4_T5_T6_T7_T9_mT8_P12ihipStream_tbDpT10_ENKUlT_T0_E_clISt17integral_constantIbLb1EES1A_IbLb0EEEEDaS16_S17_EUlS16_E_NS1_11comp_targetILNS1_3genE3ELNS1_11target_archE908ELNS1_3gpuE7ELNS1_3repE0EEENS1_30default_config_static_selectorELNS0_4arch9wavefront6targetE0EEEvT1_.num_named_barrier, 0
	.set _ZN7rocprim17ROCPRIM_400000_NS6detail17trampoline_kernelINS0_14default_configENS1_25partition_config_selectorILNS1_17partition_subalgoE6EiNS0_10empty_typeEbEEZZNS1_14partition_implILS5_6ELb0ES3_mN6thrust23THRUST_200600_302600_NS6detail15normal_iteratorINSA_10device_ptrIiEEEEPS6_SG_NS0_5tupleIJNSA_16discard_iteratorINSA_11use_defaultEEES6_EEENSH_IJSG_SG_EEES6_PlJNSB_9not_fun_tI7is_trueIiEEEEEE10hipError_tPvRmT3_T4_T5_T6_T7_T9_mT8_P12ihipStream_tbDpT10_ENKUlT_T0_E_clISt17integral_constantIbLb1EES1A_IbLb0EEEEDaS16_S17_EUlS16_E_NS1_11comp_targetILNS1_3genE3ELNS1_11target_archE908ELNS1_3gpuE7ELNS1_3repE0EEENS1_30default_config_static_selectorELNS0_4arch9wavefront6targetE0EEEvT1_.private_seg_size, 0
	.set _ZN7rocprim17ROCPRIM_400000_NS6detail17trampoline_kernelINS0_14default_configENS1_25partition_config_selectorILNS1_17partition_subalgoE6EiNS0_10empty_typeEbEEZZNS1_14partition_implILS5_6ELb0ES3_mN6thrust23THRUST_200600_302600_NS6detail15normal_iteratorINSA_10device_ptrIiEEEEPS6_SG_NS0_5tupleIJNSA_16discard_iteratorINSA_11use_defaultEEES6_EEENSH_IJSG_SG_EEES6_PlJNSB_9not_fun_tI7is_trueIiEEEEEE10hipError_tPvRmT3_T4_T5_T6_T7_T9_mT8_P12ihipStream_tbDpT10_ENKUlT_T0_E_clISt17integral_constantIbLb1EES1A_IbLb0EEEEDaS16_S17_EUlS16_E_NS1_11comp_targetILNS1_3genE3ELNS1_11target_archE908ELNS1_3gpuE7ELNS1_3repE0EEENS1_30default_config_static_selectorELNS0_4arch9wavefront6targetE0EEEvT1_.uses_vcc, 0
	.set _ZN7rocprim17ROCPRIM_400000_NS6detail17trampoline_kernelINS0_14default_configENS1_25partition_config_selectorILNS1_17partition_subalgoE6EiNS0_10empty_typeEbEEZZNS1_14partition_implILS5_6ELb0ES3_mN6thrust23THRUST_200600_302600_NS6detail15normal_iteratorINSA_10device_ptrIiEEEEPS6_SG_NS0_5tupleIJNSA_16discard_iteratorINSA_11use_defaultEEES6_EEENSH_IJSG_SG_EEES6_PlJNSB_9not_fun_tI7is_trueIiEEEEEE10hipError_tPvRmT3_T4_T5_T6_T7_T9_mT8_P12ihipStream_tbDpT10_ENKUlT_T0_E_clISt17integral_constantIbLb1EES1A_IbLb0EEEEDaS16_S17_EUlS16_E_NS1_11comp_targetILNS1_3genE3ELNS1_11target_archE908ELNS1_3gpuE7ELNS1_3repE0EEENS1_30default_config_static_selectorELNS0_4arch9wavefront6targetE0EEEvT1_.uses_flat_scratch, 0
	.set _ZN7rocprim17ROCPRIM_400000_NS6detail17trampoline_kernelINS0_14default_configENS1_25partition_config_selectorILNS1_17partition_subalgoE6EiNS0_10empty_typeEbEEZZNS1_14partition_implILS5_6ELb0ES3_mN6thrust23THRUST_200600_302600_NS6detail15normal_iteratorINSA_10device_ptrIiEEEEPS6_SG_NS0_5tupleIJNSA_16discard_iteratorINSA_11use_defaultEEES6_EEENSH_IJSG_SG_EEES6_PlJNSB_9not_fun_tI7is_trueIiEEEEEE10hipError_tPvRmT3_T4_T5_T6_T7_T9_mT8_P12ihipStream_tbDpT10_ENKUlT_T0_E_clISt17integral_constantIbLb1EES1A_IbLb0EEEEDaS16_S17_EUlS16_E_NS1_11comp_targetILNS1_3genE3ELNS1_11target_archE908ELNS1_3gpuE7ELNS1_3repE0EEENS1_30default_config_static_selectorELNS0_4arch9wavefront6targetE0EEEvT1_.has_dyn_sized_stack, 0
	.set _ZN7rocprim17ROCPRIM_400000_NS6detail17trampoline_kernelINS0_14default_configENS1_25partition_config_selectorILNS1_17partition_subalgoE6EiNS0_10empty_typeEbEEZZNS1_14partition_implILS5_6ELb0ES3_mN6thrust23THRUST_200600_302600_NS6detail15normal_iteratorINSA_10device_ptrIiEEEEPS6_SG_NS0_5tupleIJNSA_16discard_iteratorINSA_11use_defaultEEES6_EEENSH_IJSG_SG_EEES6_PlJNSB_9not_fun_tI7is_trueIiEEEEEE10hipError_tPvRmT3_T4_T5_T6_T7_T9_mT8_P12ihipStream_tbDpT10_ENKUlT_T0_E_clISt17integral_constantIbLb1EES1A_IbLb0EEEEDaS16_S17_EUlS16_E_NS1_11comp_targetILNS1_3genE3ELNS1_11target_archE908ELNS1_3gpuE7ELNS1_3repE0EEENS1_30default_config_static_selectorELNS0_4arch9wavefront6targetE0EEEvT1_.has_recursion, 0
	.set _ZN7rocprim17ROCPRIM_400000_NS6detail17trampoline_kernelINS0_14default_configENS1_25partition_config_selectorILNS1_17partition_subalgoE6EiNS0_10empty_typeEbEEZZNS1_14partition_implILS5_6ELb0ES3_mN6thrust23THRUST_200600_302600_NS6detail15normal_iteratorINSA_10device_ptrIiEEEEPS6_SG_NS0_5tupleIJNSA_16discard_iteratorINSA_11use_defaultEEES6_EEENSH_IJSG_SG_EEES6_PlJNSB_9not_fun_tI7is_trueIiEEEEEE10hipError_tPvRmT3_T4_T5_T6_T7_T9_mT8_P12ihipStream_tbDpT10_ENKUlT_T0_E_clISt17integral_constantIbLb1EES1A_IbLb0EEEEDaS16_S17_EUlS16_E_NS1_11comp_targetILNS1_3genE3ELNS1_11target_archE908ELNS1_3gpuE7ELNS1_3repE0EEENS1_30default_config_static_selectorELNS0_4arch9wavefront6targetE0EEEvT1_.has_indirect_call, 0
	.section	.AMDGPU.csdata,"",@progbits
; Kernel info:
; codeLenInByte = 0
; TotalNumSgprs: 0
; NumVgprs: 0
; ScratchSize: 0
; MemoryBound: 0
; FloatMode: 240
; IeeeMode: 1
; LDSByteSize: 0 bytes/workgroup (compile time only)
; SGPRBlocks: 0
; VGPRBlocks: 0
; NumSGPRsForWavesPerEU: 1
; NumVGPRsForWavesPerEU: 1
; Occupancy: 16
; WaveLimiterHint : 0
; COMPUTE_PGM_RSRC2:SCRATCH_EN: 0
; COMPUTE_PGM_RSRC2:USER_SGPR: 2
; COMPUTE_PGM_RSRC2:TRAP_HANDLER: 0
; COMPUTE_PGM_RSRC2:TGID_X_EN: 1
; COMPUTE_PGM_RSRC2:TGID_Y_EN: 0
; COMPUTE_PGM_RSRC2:TGID_Z_EN: 0
; COMPUTE_PGM_RSRC2:TIDIG_COMP_CNT: 0
	.section	.text._ZN7rocprim17ROCPRIM_400000_NS6detail17trampoline_kernelINS0_14default_configENS1_25partition_config_selectorILNS1_17partition_subalgoE6EiNS0_10empty_typeEbEEZZNS1_14partition_implILS5_6ELb0ES3_mN6thrust23THRUST_200600_302600_NS6detail15normal_iteratorINSA_10device_ptrIiEEEEPS6_SG_NS0_5tupleIJNSA_16discard_iteratorINSA_11use_defaultEEES6_EEENSH_IJSG_SG_EEES6_PlJNSB_9not_fun_tI7is_trueIiEEEEEE10hipError_tPvRmT3_T4_T5_T6_T7_T9_mT8_P12ihipStream_tbDpT10_ENKUlT_T0_E_clISt17integral_constantIbLb1EES1A_IbLb0EEEEDaS16_S17_EUlS16_E_NS1_11comp_targetILNS1_3genE2ELNS1_11target_archE906ELNS1_3gpuE6ELNS1_3repE0EEENS1_30default_config_static_selectorELNS0_4arch9wavefront6targetE0EEEvT1_,"axG",@progbits,_ZN7rocprim17ROCPRIM_400000_NS6detail17trampoline_kernelINS0_14default_configENS1_25partition_config_selectorILNS1_17partition_subalgoE6EiNS0_10empty_typeEbEEZZNS1_14partition_implILS5_6ELb0ES3_mN6thrust23THRUST_200600_302600_NS6detail15normal_iteratorINSA_10device_ptrIiEEEEPS6_SG_NS0_5tupleIJNSA_16discard_iteratorINSA_11use_defaultEEES6_EEENSH_IJSG_SG_EEES6_PlJNSB_9not_fun_tI7is_trueIiEEEEEE10hipError_tPvRmT3_T4_T5_T6_T7_T9_mT8_P12ihipStream_tbDpT10_ENKUlT_T0_E_clISt17integral_constantIbLb1EES1A_IbLb0EEEEDaS16_S17_EUlS16_E_NS1_11comp_targetILNS1_3genE2ELNS1_11target_archE906ELNS1_3gpuE6ELNS1_3repE0EEENS1_30default_config_static_selectorELNS0_4arch9wavefront6targetE0EEEvT1_,comdat
	.protected	_ZN7rocprim17ROCPRIM_400000_NS6detail17trampoline_kernelINS0_14default_configENS1_25partition_config_selectorILNS1_17partition_subalgoE6EiNS0_10empty_typeEbEEZZNS1_14partition_implILS5_6ELb0ES3_mN6thrust23THRUST_200600_302600_NS6detail15normal_iteratorINSA_10device_ptrIiEEEEPS6_SG_NS0_5tupleIJNSA_16discard_iteratorINSA_11use_defaultEEES6_EEENSH_IJSG_SG_EEES6_PlJNSB_9not_fun_tI7is_trueIiEEEEEE10hipError_tPvRmT3_T4_T5_T6_T7_T9_mT8_P12ihipStream_tbDpT10_ENKUlT_T0_E_clISt17integral_constantIbLb1EES1A_IbLb0EEEEDaS16_S17_EUlS16_E_NS1_11comp_targetILNS1_3genE2ELNS1_11target_archE906ELNS1_3gpuE6ELNS1_3repE0EEENS1_30default_config_static_selectorELNS0_4arch9wavefront6targetE0EEEvT1_ ; -- Begin function _ZN7rocprim17ROCPRIM_400000_NS6detail17trampoline_kernelINS0_14default_configENS1_25partition_config_selectorILNS1_17partition_subalgoE6EiNS0_10empty_typeEbEEZZNS1_14partition_implILS5_6ELb0ES3_mN6thrust23THRUST_200600_302600_NS6detail15normal_iteratorINSA_10device_ptrIiEEEEPS6_SG_NS0_5tupleIJNSA_16discard_iteratorINSA_11use_defaultEEES6_EEENSH_IJSG_SG_EEES6_PlJNSB_9not_fun_tI7is_trueIiEEEEEE10hipError_tPvRmT3_T4_T5_T6_T7_T9_mT8_P12ihipStream_tbDpT10_ENKUlT_T0_E_clISt17integral_constantIbLb1EES1A_IbLb0EEEEDaS16_S17_EUlS16_E_NS1_11comp_targetILNS1_3genE2ELNS1_11target_archE906ELNS1_3gpuE6ELNS1_3repE0EEENS1_30default_config_static_selectorELNS0_4arch9wavefront6targetE0EEEvT1_
	.globl	_ZN7rocprim17ROCPRIM_400000_NS6detail17trampoline_kernelINS0_14default_configENS1_25partition_config_selectorILNS1_17partition_subalgoE6EiNS0_10empty_typeEbEEZZNS1_14partition_implILS5_6ELb0ES3_mN6thrust23THRUST_200600_302600_NS6detail15normal_iteratorINSA_10device_ptrIiEEEEPS6_SG_NS0_5tupleIJNSA_16discard_iteratorINSA_11use_defaultEEES6_EEENSH_IJSG_SG_EEES6_PlJNSB_9not_fun_tI7is_trueIiEEEEEE10hipError_tPvRmT3_T4_T5_T6_T7_T9_mT8_P12ihipStream_tbDpT10_ENKUlT_T0_E_clISt17integral_constantIbLb1EES1A_IbLb0EEEEDaS16_S17_EUlS16_E_NS1_11comp_targetILNS1_3genE2ELNS1_11target_archE906ELNS1_3gpuE6ELNS1_3repE0EEENS1_30default_config_static_selectorELNS0_4arch9wavefront6targetE0EEEvT1_
	.p2align	8
	.type	_ZN7rocprim17ROCPRIM_400000_NS6detail17trampoline_kernelINS0_14default_configENS1_25partition_config_selectorILNS1_17partition_subalgoE6EiNS0_10empty_typeEbEEZZNS1_14partition_implILS5_6ELb0ES3_mN6thrust23THRUST_200600_302600_NS6detail15normal_iteratorINSA_10device_ptrIiEEEEPS6_SG_NS0_5tupleIJNSA_16discard_iteratorINSA_11use_defaultEEES6_EEENSH_IJSG_SG_EEES6_PlJNSB_9not_fun_tI7is_trueIiEEEEEE10hipError_tPvRmT3_T4_T5_T6_T7_T9_mT8_P12ihipStream_tbDpT10_ENKUlT_T0_E_clISt17integral_constantIbLb1EES1A_IbLb0EEEEDaS16_S17_EUlS16_E_NS1_11comp_targetILNS1_3genE2ELNS1_11target_archE906ELNS1_3gpuE6ELNS1_3repE0EEENS1_30default_config_static_selectorELNS0_4arch9wavefront6targetE0EEEvT1_,@function
_ZN7rocprim17ROCPRIM_400000_NS6detail17trampoline_kernelINS0_14default_configENS1_25partition_config_selectorILNS1_17partition_subalgoE6EiNS0_10empty_typeEbEEZZNS1_14partition_implILS5_6ELb0ES3_mN6thrust23THRUST_200600_302600_NS6detail15normal_iteratorINSA_10device_ptrIiEEEEPS6_SG_NS0_5tupleIJNSA_16discard_iteratorINSA_11use_defaultEEES6_EEENSH_IJSG_SG_EEES6_PlJNSB_9not_fun_tI7is_trueIiEEEEEE10hipError_tPvRmT3_T4_T5_T6_T7_T9_mT8_P12ihipStream_tbDpT10_ENKUlT_T0_E_clISt17integral_constantIbLb1EES1A_IbLb0EEEEDaS16_S17_EUlS16_E_NS1_11comp_targetILNS1_3genE2ELNS1_11target_archE906ELNS1_3gpuE6ELNS1_3repE0EEENS1_30default_config_static_selectorELNS0_4arch9wavefront6targetE0EEEvT1_: ; @_ZN7rocprim17ROCPRIM_400000_NS6detail17trampoline_kernelINS0_14default_configENS1_25partition_config_selectorILNS1_17partition_subalgoE6EiNS0_10empty_typeEbEEZZNS1_14partition_implILS5_6ELb0ES3_mN6thrust23THRUST_200600_302600_NS6detail15normal_iteratorINSA_10device_ptrIiEEEEPS6_SG_NS0_5tupleIJNSA_16discard_iteratorINSA_11use_defaultEEES6_EEENSH_IJSG_SG_EEES6_PlJNSB_9not_fun_tI7is_trueIiEEEEEE10hipError_tPvRmT3_T4_T5_T6_T7_T9_mT8_P12ihipStream_tbDpT10_ENKUlT_T0_E_clISt17integral_constantIbLb1EES1A_IbLb0EEEEDaS16_S17_EUlS16_E_NS1_11comp_targetILNS1_3genE2ELNS1_11target_archE906ELNS1_3gpuE6ELNS1_3repE0EEENS1_30default_config_static_selectorELNS0_4arch9wavefront6targetE0EEEvT1_
; %bb.0:
	.section	.rodata,"a",@progbits
	.p2align	6, 0x0
	.amdhsa_kernel _ZN7rocprim17ROCPRIM_400000_NS6detail17trampoline_kernelINS0_14default_configENS1_25partition_config_selectorILNS1_17partition_subalgoE6EiNS0_10empty_typeEbEEZZNS1_14partition_implILS5_6ELb0ES3_mN6thrust23THRUST_200600_302600_NS6detail15normal_iteratorINSA_10device_ptrIiEEEEPS6_SG_NS0_5tupleIJNSA_16discard_iteratorINSA_11use_defaultEEES6_EEENSH_IJSG_SG_EEES6_PlJNSB_9not_fun_tI7is_trueIiEEEEEE10hipError_tPvRmT3_T4_T5_T6_T7_T9_mT8_P12ihipStream_tbDpT10_ENKUlT_T0_E_clISt17integral_constantIbLb1EES1A_IbLb0EEEEDaS16_S17_EUlS16_E_NS1_11comp_targetILNS1_3genE2ELNS1_11target_archE906ELNS1_3gpuE6ELNS1_3repE0EEENS1_30default_config_static_selectorELNS0_4arch9wavefront6targetE0EEEvT1_
		.amdhsa_group_segment_fixed_size 0
		.amdhsa_private_segment_fixed_size 0
		.amdhsa_kernarg_size 120
		.amdhsa_user_sgpr_count 2
		.amdhsa_user_sgpr_dispatch_ptr 0
		.amdhsa_user_sgpr_queue_ptr 0
		.amdhsa_user_sgpr_kernarg_segment_ptr 1
		.amdhsa_user_sgpr_dispatch_id 0
		.amdhsa_user_sgpr_private_segment_size 0
		.amdhsa_wavefront_size32 1
		.amdhsa_uses_dynamic_stack 0
		.amdhsa_enable_private_segment 0
		.amdhsa_system_sgpr_workgroup_id_x 1
		.amdhsa_system_sgpr_workgroup_id_y 0
		.amdhsa_system_sgpr_workgroup_id_z 0
		.amdhsa_system_sgpr_workgroup_info 0
		.amdhsa_system_vgpr_workitem_id 0
		.amdhsa_next_free_vgpr 1
		.amdhsa_next_free_sgpr 1
		.amdhsa_reserve_vcc 0
		.amdhsa_float_round_mode_32 0
		.amdhsa_float_round_mode_16_64 0
		.amdhsa_float_denorm_mode_32 3
		.amdhsa_float_denorm_mode_16_64 3
		.amdhsa_fp16_overflow 0
		.amdhsa_workgroup_processor_mode 1
		.amdhsa_memory_ordered 1
		.amdhsa_forward_progress 1
		.amdhsa_inst_pref_size 0
		.amdhsa_round_robin_scheduling 0
		.amdhsa_exception_fp_ieee_invalid_op 0
		.amdhsa_exception_fp_denorm_src 0
		.amdhsa_exception_fp_ieee_div_zero 0
		.amdhsa_exception_fp_ieee_overflow 0
		.amdhsa_exception_fp_ieee_underflow 0
		.amdhsa_exception_fp_ieee_inexact 0
		.amdhsa_exception_int_div_zero 0
	.end_amdhsa_kernel
	.section	.text._ZN7rocprim17ROCPRIM_400000_NS6detail17trampoline_kernelINS0_14default_configENS1_25partition_config_selectorILNS1_17partition_subalgoE6EiNS0_10empty_typeEbEEZZNS1_14partition_implILS5_6ELb0ES3_mN6thrust23THRUST_200600_302600_NS6detail15normal_iteratorINSA_10device_ptrIiEEEEPS6_SG_NS0_5tupleIJNSA_16discard_iteratorINSA_11use_defaultEEES6_EEENSH_IJSG_SG_EEES6_PlJNSB_9not_fun_tI7is_trueIiEEEEEE10hipError_tPvRmT3_T4_T5_T6_T7_T9_mT8_P12ihipStream_tbDpT10_ENKUlT_T0_E_clISt17integral_constantIbLb1EES1A_IbLb0EEEEDaS16_S17_EUlS16_E_NS1_11comp_targetILNS1_3genE2ELNS1_11target_archE906ELNS1_3gpuE6ELNS1_3repE0EEENS1_30default_config_static_selectorELNS0_4arch9wavefront6targetE0EEEvT1_,"axG",@progbits,_ZN7rocprim17ROCPRIM_400000_NS6detail17trampoline_kernelINS0_14default_configENS1_25partition_config_selectorILNS1_17partition_subalgoE6EiNS0_10empty_typeEbEEZZNS1_14partition_implILS5_6ELb0ES3_mN6thrust23THRUST_200600_302600_NS6detail15normal_iteratorINSA_10device_ptrIiEEEEPS6_SG_NS0_5tupleIJNSA_16discard_iteratorINSA_11use_defaultEEES6_EEENSH_IJSG_SG_EEES6_PlJNSB_9not_fun_tI7is_trueIiEEEEEE10hipError_tPvRmT3_T4_T5_T6_T7_T9_mT8_P12ihipStream_tbDpT10_ENKUlT_T0_E_clISt17integral_constantIbLb1EES1A_IbLb0EEEEDaS16_S17_EUlS16_E_NS1_11comp_targetILNS1_3genE2ELNS1_11target_archE906ELNS1_3gpuE6ELNS1_3repE0EEENS1_30default_config_static_selectorELNS0_4arch9wavefront6targetE0EEEvT1_,comdat
.Lfunc_end2289:
	.size	_ZN7rocprim17ROCPRIM_400000_NS6detail17trampoline_kernelINS0_14default_configENS1_25partition_config_selectorILNS1_17partition_subalgoE6EiNS0_10empty_typeEbEEZZNS1_14partition_implILS5_6ELb0ES3_mN6thrust23THRUST_200600_302600_NS6detail15normal_iteratorINSA_10device_ptrIiEEEEPS6_SG_NS0_5tupleIJNSA_16discard_iteratorINSA_11use_defaultEEES6_EEENSH_IJSG_SG_EEES6_PlJNSB_9not_fun_tI7is_trueIiEEEEEE10hipError_tPvRmT3_T4_T5_T6_T7_T9_mT8_P12ihipStream_tbDpT10_ENKUlT_T0_E_clISt17integral_constantIbLb1EES1A_IbLb0EEEEDaS16_S17_EUlS16_E_NS1_11comp_targetILNS1_3genE2ELNS1_11target_archE906ELNS1_3gpuE6ELNS1_3repE0EEENS1_30default_config_static_selectorELNS0_4arch9wavefront6targetE0EEEvT1_, .Lfunc_end2289-_ZN7rocprim17ROCPRIM_400000_NS6detail17trampoline_kernelINS0_14default_configENS1_25partition_config_selectorILNS1_17partition_subalgoE6EiNS0_10empty_typeEbEEZZNS1_14partition_implILS5_6ELb0ES3_mN6thrust23THRUST_200600_302600_NS6detail15normal_iteratorINSA_10device_ptrIiEEEEPS6_SG_NS0_5tupleIJNSA_16discard_iteratorINSA_11use_defaultEEES6_EEENSH_IJSG_SG_EEES6_PlJNSB_9not_fun_tI7is_trueIiEEEEEE10hipError_tPvRmT3_T4_T5_T6_T7_T9_mT8_P12ihipStream_tbDpT10_ENKUlT_T0_E_clISt17integral_constantIbLb1EES1A_IbLb0EEEEDaS16_S17_EUlS16_E_NS1_11comp_targetILNS1_3genE2ELNS1_11target_archE906ELNS1_3gpuE6ELNS1_3repE0EEENS1_30default_config_static_selectorELNS0_4arch9wavefront6targetE0EEEvT1_
                                        ; -- End function
	.set _ZN7rocprim17ROCPRIM_400000_NS6detail17trampoline_kernelINS0_14default_configENS1_25partition_config_selectorILNS1_17partition_subalgoE6EiNS0_10empty_typeEbEEZZNS1_14partition_implILS5_6ELb0ES3_mN6thrust23THRUST_200600_302600_NS6detail15normal_iteratorINSA_10device_ptrIiEEEEPS6_SG_NS0_5tupleIJNSA_16discard_iteratorINSA_11use_defaultEEES6_EEENSH_IJSG_SG_EEES6_PlJNSB_9not_fun_tI7is_trueIiEEEEEE10hipError_tPvRmT3_T4_T5_T6_T7_T9_mT8_P12ihipStream_tbDpT10_ENKUlT_T0_E_clISt17integral_constantIbLb1EES1A_IbLb0EEEEDaS16_S17_EUlS16_E_NS1_11comp_targetILNS1_3genE2ELNS1_11target_archE906ELNS1_3gpuE6ELNS1_3repE0EEENS1_30default_config_static_selectorELNS0_4arch9wavefront6targetE0EEEvT1_.num_vgpr, 0
	.set _ZN7rocprim17ROCPRIM_400000_NS6detail17trampoline_kernelINS0_14default_configENS1_25partition_config_selectorILNS1_17partition_subalgoE6EiNS0_10empty_typeEbEEZZNS1_14partition_implILS5_6ELb0ES3_mN6thrust23THRUST_200600_302600_NS6detail15normal_iteratorINSA_10device_ptrIiEEEEPS6_SG_NS0_5tupleIJNSA_16discard_iteratorINSA_11use_defaultEEES6_EEENSH_IJSG_SG_EEES6_PlJNSB_9not_fun_tI7is_trueIiEEEEEE10hipError_tPvRmT3_T4_T5_T6_T7_T9_mT8_P12ihipStream_tbDpT10_ENKUlT_T0_E_clISt17integral_constantIbLb1EES1A_IbLb0EEEEDaS16_S17_EUlS16_E_NS1_11comp_targetILNS1_3genE2ELNS1_11target_archE906ELNS1_3gpuE6ELNS1_3repE0EEENS1_30default_config_static_selectorELNS0_4arch9wavefront6targetE0EEEvT1_.num_agpr, 0
	.set _ZN7rocprim17ROCPRIM_400000_NS6detail17trampoline_kernelINS0_14default_configENS1_25partition_config_selectorILNS1_17partition_subalgoE6EiNS0_10empty_typeEbEEZZNS1_14partition_implILS5_6ELb0ES3_mN6thrust23THRUST_200600_302600_NS6detail15normal_iteratorINSA_10device_ptrIiEEEEPS6_SG_NS0_5tupleIJNSA_16discard_iteratorINSA_11use_defaultEEES6_EEENSH_IJSG_SG_EEES6_PlJNSB_9not_fun_tI7is_trueIiEEEEEE10hipError_tPvRmT3_T4_T5_T6_T7_T9_mT8_P12ihipStream_tbDpT10_ENKUlT_T0_E_clISt17integral_constantIbLb1EES1A_IbLb0EEEEDaS16_S17_EUlS16_E_NS1_11comp_targetILNS1_3genE2ELNS1_11target_archE906ELNS1_3gpuE6ELNS1_3repE0EEENS1_30default_config_static_selectorELNS0_4arch9wavefront6targetE0EEEvT1_.numbered_sgpr, 0
	.set _ZN7rocprim17ROCPRIM_400000_NS6detail17trampoline_kernelINS0_14default_configENS1_25partition_config_selectorILNS1_17partition_subalgoE6EiNS0_10empty_typeEbEEZZNS1_14partition_implILS5_6ELb0ES3_mN6thrust23THRUST_200600_302600_NS6detail15normal_iteratorINSA_10device_ptrIiEEEEPS6_SG_NS0_5tupleIJNSA_16discard_iteratorINSA_11use_defaultEEES6_EEENSH_IJSG_SG_EEES6_PlJNSB_9not_fun_tI7is_trueIiEEEEEE10hipError_tPvRmT3_T4_T5_T6_T7_T9_mT8_P12ihipStream_tbDpT10_ENKUlT_T0_E_clISt17integral_constantIbLb1EES1A_IbLb0EEEEDaS16_S17_EUlS16_E_NS1_11comp_targetILNS1_3genE2ELNS1_11target_archE906ELNS1_3gpuE6ELNS1_3repE0EEENS1_30default_config_static_selectorELNS0_4arch9wavefront6targetE0EEEvT1_.num_named_barrier, 0
	.set _ZN7rocprim17ROCPRIM_400000_NS6detail17trampoline_kernelINS0_14default_configENS1_25partition_config_selectorILNS1_17partition_subalgoE6EiNS0_10empty_typeEbEEZZNS1_14partition_implILS5_6ELb0ES3_mN6thrust23THRUST_200600_302600_NS6detail15normal_iteratorINSA_10device_ptrIiEEEEPS6_SG_NS0_5tupleIJNSA_16discard_iteratorINSA_11use_defaultEEES6_EEENSH_IJSG_SG_EEES6_PlJNSB_9not_fun_tI7is_trueIiEEEEEE10hipError_tPvRmT3_T4_T5_T6_T7_T9_mT8_P12ihipStream_tbDpT10_ENKUlT_T0_E_clISt17integral_constantIbLb1EES1A_IbLb0EEEEDaS16_S17_EUlS16_E_NS1_11comp_targetILNS1_3genE2ELNS1_11target_archE906ELNS1_3gpuE6ELNS1_3repE0EEENS1_30default_config_static_selectorELNS0_4arch9wavefront6targetE0EEEvT1_.private_seg_size, 0
	.set _ZN7rocprim17ROCPRIM_400000_NS6detail17trampoline_kernelINS0_14default_configENS1_25partition_config_selectorILNS1_17partition_subalgoE6EiNS0_10empty_typeEbEEZZNS1_14partition_implILS5_6ELb0ES3_mN6thrust23THRUST_200600_302600_NS6detail15normal_iteratorINSA_10device_ptrIiEEEEPS6_SG_NS0_5tupleIJNSA_16discard_iteratorINSA_11use_defaultEEES6_EEENSH_IJSG_SG_EEES6_PlJNSB_9not_fun_tI7is_trueIiEEEEEE10hipError_tPvRmT3_T4_T5_T6_T7_T9_mT8_P12ihipStream_tbDpT10_ENKUlT_T0_E_clISt17integral_constantIbLb1EES1A_IbLb0EEEEDaS16_S17_EUlS16_E_NS1_11comp_targetILNS1_3genE2ELNS1_11target_archE906ELNS1_3gpuE6ELNS1_3repE0EEENS1_30default_config_static_selectorELNS0_4arch9wavefront6targetE0EEEvT1_.uses_vcc, 0
	.set _ZN7rocprim17ROCPRIM_400000_NS6detail17trampoline_kernelINS0_14default_configENS1_25partition_config_selectorILNS1_17partition_subalgoE6EiNS0_10empty_typeEbEEZZNS1_14partition_implILS5_6ELb0ES3_mN6thrust23THRUST_200600_302600_NS6detail15normal_iteratorINSA_10device_ptrIiEEEEPS6_SG_NS0_5tupleIJNSA_16discard_iteratorINSA_11use_defaultEEES6_EEENSH_IJSG_SG_EEES6_PlJNSB_9not_fun_tI7is_trueIiEEEEEE10hipError_tPvRmT3_T4_T5_T6_T7_T9_mT8_P12ihipStream_tbDpT10_ENKUlT_T0_E_clISt17integral_constantIbLb1EES1A_IbLb0EEEEDaS16_S17_EUlS16_E_NS1_11comp_targetILNS1_3genE2ELNS1_11target_archE906ELNS1_3gpuE6ELNS1_3repE0EEENS1_30default_config_static_selectorELNS0_4arch9wavefront6targetE0EEEvT1_.uses_flat_scratch, 0
	.set _ZN7rocprim17ROCPRIM_400000_NS6detail17trampoline_kernelINS0_14default_configENS1_25partition_config_selectorILNS1_17partition_subalgoE6EiNS0_10empty_typeEbEEZZNS1_14partition_implILS5_6ELb0ES3_mN6thrust23THRUST_200600_302600_NS6detail15normal_iteratorINSA_10device_ptrIiEEEEPS6_SG_NS0_5tupleIJNSA_16discard_iteratorINSA_11use_defaultEEES6_EEENSH_IJSG_SG_EEES6_PlJNSB_9not_fun_tI7is_trueIiEEEEEE10hipError_tPvRmT3_T4_T5_T6_T7_T9_mT8_P12ihipStream_tbDpT10_ENKUlT_T0_E_clISt17integral_constantIbLb1EES1A_IbLb0EEEEDaS16_S17_EUlS16_E_NS1_11comp_targetILNS1_3genE2ELNS1_11target_archE906ELNS1_3gpuE6ELNS1_3repE0EEENS1_30default_config_static_selectorELNS0_4arch9wavefront6targetE0EEEvT1_.has_dyn_sized_stack, 0
	.set _ZN7rocprim17ROCPRIM_400000_NS6detail17trampoline_kernelINS0_14default_configENS1_25partition_config_selectorILNS1_17partition_subalgoE6EiNS0_10empty_typeEbEEZZNS1_14partition_implILS5_6ELb0ES3_mN6thrust23THRUST_200600_302600_NS6detail15normal_iteratorINSA_10device_ptrIiEEEEPS6_SG_NS0_5tupleIJNSA_16discard_iteratorINSA_11use_defaultEEES6_EEENSH_IJSG_SG_EEES6_PlJNSB_9not_fun_tI7is_trueIiEEEEEE10hipError_tPvRmT3_T4_T5_T6_T7_T9_mT8_P12ihipStream_tbDpT10_ENKUlT_T0_E_clISt17integral_constantIbLb1EES1A_IbLb0EEEEDaS16_S17_EUlS16_E_NS1_11comp_targetILNS1_3genE2ELNS1_11target_archE906ELNS1_3gpuE6ELNS1_3repE0EEENS1_30default_config_static_selectorELNS0_4arch9wavefront6targetE0EEEvT1_.has_recursion, 0
	.set _ZN7rocprim17ROCPRIM_400000_NS6detail17trampoline_kernelINS0_14default_configENS1_25partition_config_selectorILNS1_17partition_subalgoE6EiNS0_10empty_typeEbEEZZNS1_14partition_implILS5_6ELb0ES3_mN6thrust23THRUST_200600_302600_NS6detail15normal_iteratorINSA_10device_ptrIiEEEEPS6_SG_NS0_5tupleIJNSA_16discard_iteratorINSA_11use_defaultEEES6_EEENSH_IJSG_SG_EEES6_PlJNSB_9not_fun_tI7is_trueIiEEEEEE10hipError_tPvRmT3_T4_T5_T6_T7_T9_mT8_P12ihipStream_tbDpT10_ENKUlT_T0_E_clISt17integral_constantIbLb1EES1A_IbLb0EEEEDaS16_S17_EUlS16_E_NS1_11comp_targetILNS1_3genE2ELNS1_11target_archE906ELNS1_3gpuE6ELNS1_3repE0EEENS1_30default_config_static_selectorELNS0_4arch9wavefront6targetE0EEEvT1_.has_indirect_call, 0
	.section	.AMDGPU.csdata,"",@progbits
; Kernel info:
; codeLenInByte = 0
; TotalNumSgprs: 0
; NumVgprs: 0
; ScratchSize: 0
; MemoryBound: 0
; FloatMode: 240
; IeeeMode: 1
; LDSByteSize: 0 bytes/workgroup (compile time only)
; SGPRBlocks: 0
; VGPRBlocks: 0
; NumSGPRsForWavesPerEU: 1
; NumVGPRsForWavesPerEU: 1
; Occupancy: 16
; WaveLimiterHint : 0
; COMPUTE_PGM_RSRC2:SCRATCH_EN: 0
; COMPUTE_PGM_RSRC2:USER_SGPR: 2
; COMPUTE_PGM_RSRC2:TRAP_HANDLER: 0
; COMPUTE_PGM_RSRC2:TGID_X_EN: 1
; COMPUTE_PGM_RSRC2:TGID_Y_EN: 0
; COMPUTE_PGM_RSRC2:TGID_Z_EN: 0
; COMPUTE_PGM_RSRC2:TIDIG_COMP_CNT: 0
	.section	.text._ZN7rocprim17ROCPRIM_400000_NS6detail17trampoline_kernelINS0_14default_configENS1_25partition_config_selectorILNS1_17partition_subalgoE6EiNS0_10empty_typeEbEEZZNS1_14partition_implILS5_6ELb0ES3_mN6thrust23THRUST_200600_302600_NS6detail15normal_iteratorINSA_10device_ptrIiEEEEPS6_SG_NS0_5tupleIJNSA_16discard_iteratorINSA_11use_defaultEEES6_EEENSH_IJSG_SG_EEES6_PlJNSB_9not_fun_tI7is_trueIiEEEEEE10hipError_tPvRmT3_T4_T5_T6_T7_T9_mT8_P12ihipStream_tbDpT10_ENKUlT_T0_E_clISt17integral_constantIbLb1EES1A_IbLb0EEEEDaS16_S17_EUlS16_E_NS1_11comp_targetILNS1_3genE10ELNS1_11target_archE1200ELNS1_3gpuE4ELNS1_3repE0EEENS1_30default_config_static_selectorELNS0_4arch9wavefront6targetE0EEEvT1_,"axG",@progbits,_ZN7rocprim17ROCPRIM_400000_NS6detail17trampoline_kernelINS0_14default_configENS1_25partition_config_selectorILNS1_17partition_subalgoE6EiNS0_10empty_typeEbEEZZNS1_14partition_implILS5_6ELb0ES3_mN6thrust23THRUST_200600_302600_NS6detail15normal_iteratorINSA_10device_ptrIiEEEEPS6_SG_NS0_5tupleIJNSA_16discard_iteratorINSA_11use_defaultEEES6_EEENSH_IJSG_SG_EEES6_PlJNSB_9not_fun_tI7is_trueIiEEEEEE10hipError_tPvRmT3_T4_T5_T6_T7_T9_mT8_P12ihipStream_tbDpT10_ENKUlT_T0_E_clISt17integral_constantIbLb1EES1A_IbLb0EEEEDaS16_S17_EUlS16_E_NS1_11comp_targetILNS1_3genE10ELNS1_11target_archE1200ELNS1_3gpuE4ELNS1_3repE0EEENS1_30default_config_static_selectorELNS0_4arch9wavefront6targetE0EEEvT1_,comdat
	.protected	_ZN7rocprim17ROCPRIM_400000_NS6detail17trampoline_kernelINS0_14default_configENS1_25partition_config_selectorILNS1_17partition_subalgoE6EiNS0_10empty_typeEbEEZZNS1_14partition_implILS5_6ELb0ES3_mN6thrust23THRUST_200600_302600_NS6detail15normal_iteratorINSA_10device_ptrIiEEEEPS6_SG_NS0_5tupleIJNSA_16discard_iteratorINSA_11use_defaultEEES6_EEENSH_IJSG_SG_EEES6_PlJNSB_9not_fun_tI7is_trueIiEEEEEE10hipError_tPvRmT3_T4_T5_T6_T7_T9_mT8_P12ihipStream_tbDpT10_ENKUlT_T0_E_clISt17integral_constantIbLb1EES1A_IbLb0EEEEDaS16_S17_EUlS16_E_NS1_11comp_targetILNS1_3genE10ELNS1_11target_archE1200ELNS1_3gpuE4ELNS1_3repE0EEENS1_30default_config_static_selectorELNS0_4arch9wavefront6targetE0EEEvT1_ ; -- Begin function _ZN7rocprim17ROCPRIM_400000_NS6detail17trampoline_kernelINS0_14default_configENS1_25partition_config_selectorILNS1_17partition_subalgoE6EiNS0_10empty_typeEbEEZZNS1_14partition_implILS5_6ELb0ES3_mN6thrust23THRUST_200600_302600_NS6detail15normal_iteratorINSA_10device_ptrIiEEEEPS6_SG_NS0_5tupleIJNSA_16discard_iteratorINSA_11use_defaultEEES6_EEENSH_IJSG_SG_EEES6_PlJNSB_9not_fun_tI7is_trueIiEEEEEE10hipError_tPvRmT3_T4_T5_T6_T7_T9_mT8_P12ihipStream_tbDpT10_ENKUlT_T0_E_clISt17integral_constantIbLb1EES1A_IbLb0EEEEDaS16_S17_EUlS16_E_NS1_11comp_targetILNS1_3genE10ELNS1_11target_archE1200ELNS1_3gpuE4ELNS1_3repE0EEENS1_30default_config_static_selectorELNS0_4arch9wavefront6targetE0EEEvT1_
	.globl	_ZN7rocprim17ROCPRIM_400000_NS6detail17trampoline_kernelINS0_14default_configENS1_25partition_config_selectorILNS1_17partition_subalgoE6EiNS0_10empty_typeEbEEZZNS1_14partition_implILS5_6ELb0ES3_mN6thrust23THRUST_200600_302600_NS6detail15normal_iteratorINSA_10device_ptrIiEEEEPS6_SG_NS0_5tupleIJNSA_16discard_iteratorINSA_11use_defaultEEES6_EEENSH_IJSG_SG_EEES6_PlJNSB_9not_fun_tI7is_trueIiEEEEEE10hipError_tPvRmT3_T4_T5_T6_T7_T9_mT8_P12ihipStream_tbDpT10_ENKUlT_T0_E_clISt17integral_constantIbLb1EES1A_IbLb0EEEEDaS16_S17_EUlS16_E_NS1_11comp_targetILNS1_3genE10ELNS1_11target_archE1200ELNS1_3gpuE4ELNS1_3repE0EEENS1_30default_config_static_selectorELNS0_4arch9wavefront6targetE0EEEvT1_
	.p2align	8
	.type	_ZN7rocprim17ROCPRIM_400000_NS6detail17trampoline_kernelINS0_14default_configENS1_25partition_config_selectorILNS1_17partition_subalgoE6EiNS0_10empty_typeEbEEZZNS1_14partition_implILS5_6ELb0ES3_mN6thrust23THRUST_200600_302600_NS6detail15normal_iteratorINSA_10device_ptrIiEEEEPS6_SG_NS0_5tupleIJNSA_16discard_iteratorINSA_11use_defaultEEES6_EEENSH_IJSG_SG_EEES6_PlJNSB_9not_fun_tI7is_trueIiEEEEEE10hipError_tPvRmT3_T4_T5_T6_T7_T9_mT8_P12ihipStream_tbDpT10_ENKUlT_T0_E_clISt17integral_constantIbLb1EES1A_IbLb0EEEEDaS16_S17_EUlS16_E_NS1_11comp_targetILNS1_3genE10ELNS1_11target_archE1200ELNS1_3gpuE4ELNS1_3repE0EEENS1_30default_config_static_selectorELNS0_4arch9wavefront6targetE0EEEvT1_,@function
_ZN7rocprim17ROCPRIM_400000_NS6detail17trampoline_kernelINS0_14default_configENS1_25partition_config_selectorILNS1_17partition_subalgoE6EiNS0_10empty_typeEbEEZZNS1_14partition_implILS5_6ELb0ES3_mN6thrust23THRUST_200600_302600_NS6detail15normal_iteratorINSA_10device_ptrIiEEEEPS6_SG_NS0_5tupleIJNSA_16discard_iteratorINSA_11use_defaultEEES6_EEENSH_IJSG_SG_EEES6_PlJNSB_9not_fun_tI7is_trueIiEEEEEE10hipError_tPvRmT3_T4_T5_T6_T7_T9_mT8_P12ihipStream_tbDpT10_ENKUlT_T0_E_clISt17integral_constantIbLb1EES1A_IbLb0EEEEDaS16_S17_EUlS16_E_NS1_11comp_targetILNS1_3genE10ELNS1_11target_archE1200ELNS1_3gpuE4ELNS1_3repE0EEENS1_30default_config_static_selectorELNS0_4arch9wavefront6targetE0EEEvT1_: ; @_ZN7rocprim17ROCPRIM_400000_NS6detail17trampoline_kernelINS0_14default_configENS1_25partition_config_selectorILNS1_17partition_subalgoE6EiNS0_10empty_typeEbEEZZNS1_14partition_implILS5_6ELb0ES3_mN6thrust23THRUST_200600_302600_NS6detail15normal_iteratorINSA_10device_ptrIiEEEEPS6_SG_NS0_5tupleIJNSA_16discard_iteratorINSA_11use_defaultEEES6_EEENSH_IJSG_SG_EEES6_PlJNSB_9not_fun_tI7is_trueIiEEEEEE10hipError_tPvRmT3_T4_T5_T6_T7_T9_mT8_P12ihipStream_tbDpT10_ENKUlT_T0_E_clISt17integral_constantIbLb1EES1A_IbLb0EEEEDaS16_S17_EUlS16_E_NS1_11comp_targetILNS1_3genE10ELNS1_11target_archE1200ELNS1_3gpuE4ELNS1_3repE0EEENS1_30default_config_static_selectorELNS0_4arch9wavefront6targetE0EEEvT1_
; %bb.0:
	s_endpgm
	.section	.rodata,"a",@progbits
	.p2align	6, 0x0
	.amdhsa_kernel _ZN7rocprim17ROCPRIM_400000_NS6detail17trampoline_kernelINS0_14default_configENS1_25partition_config_selectorILNS1_17partition_subalgoE6EiNS0_10empty_typeEbEEZZNS1_14partition_implILS5_6ELb0ES3_mN6thrust23THRUST_200600_302600_NS6detail15normal_iteratorINSA_10device_ptrIiEEEEPS6_SG_NS0_5tupleIJNSA_16discard_iteratorINSA_11use_defaultEEES6_EEENSH_IJSG_SG_EEES6_PlJNSB_9not_fun_tI7is_trueIiEEEEEE10hipError_tPvRmT3_T4_T5_T6_T7_T9_mT8_P12ihipStream_tbDpT10_ENKUlT_T0_E_clISt17integral_constantIbLb1EES1A_IbLb0EEEEDaS16_S17_EUlS16_E_NS1_11comp_targetILNS1_3genE10ELNS1_11target_archE1200ELNS1_3gpuE4ELNS1_3repE0EEENS1_30default_config_static_selectorELNS0_4arch9wavefront6targetE0EEEvT1_
		.amdhsa_group_segment_fixed_size 0
		.amdhsa_private_segment_fixed_size 0
		.amdhsa_kernarg_size 120
		.amdhsa_user_sgpr_count 2
		.amdhsa_user_sgpr_dispatch_ptr 0
		.amdhsa_user_sgpr_queue_ptr 0
		.amdhsa_user_sgpr_kernarg_segment_ptr 1
		.amdhsa_user_sgpr_dispatch_id 0
		.amdhsa_user_sgpr_private_segment_size 0
		.amdhsa_wavefront_size32 1
		.amdhsa_uses_dynamic_stack 0
		.amdhsa_enable_private_segment 0
		.amdhsa_system_sgpr_workgroup_id_x 1
		.amdhsa_system_sgpr_workgroup_id_y 0
		.amdhsa_system_sgpr_workgroup_id_z 0
		.amdhsa_system_sgpr_workgroup_info 0
		.amdhsa_system_vgpr_workitem_id 0
		.amdhsa_next_free_vgpr 1
		.amdhsa_next_free_sgpr 1
		.amdhsa_reserve_vcc 0
		.amdhsa_float_round_mode_32 0
		.amdhsa_float_round_mode_16_64 0
		.amdhsa_float_denorm_mode_32 3
		.amdhsa_float_denorm_mode_16_64 3
		.amdhsa_fp16_overflow 0
		.amdhsa_workgroup_processor_mode 1
		.amdhsa_memory_ordered 1
		.amdhsa_forward_progress 1
		.amdhsa_inst_pref_size 1
		.amdhsa_round_robin_scheduling 0
		.amdhsa_exception_fp_ieee_invalid_op 0
		.amdhsa_exception_fp_denorm_src 0
		.amdhsa_exception_fp_ieee_div_zero 0
		.amdhsa_exception_fp_ieee_overflow 0
		.amdhsa_exception_fp_ieee_underflow 0
		.amdhsa_exception_fp_ieee_inexact 0
		.amdhsa_exception_int_div_zero 0
	.end_amdhsa_kernel
	.section	.text._ZN7rocprim17ROCPRIM_400000_NS6detail17trampoline_kernelINS0_14default_configENS1_25partition_config_selectorILNS1_17partition_subalgoE6EiNS0_10empty_typeEbEEZZNS1_14partition_implILS5_6ELb0ES3_mN6thrust23THRUST_200600_302600_NS6detail15normal_iteratorINSA_10device_ptrIiEEEEPS6_SG_NS0_5tupleIJNSA_16discard_iteratorINSA_11use_defaultEEES6_EEENSH_IJSG_SG_EEES6_PlJNSB_9not_fun_tI7is_trueIiEEEEEE10hipError_tPvRmT3_T4_T5_T6_T7_T9_mT8_P12ihipStream_tbDpT10_ENKUlT_T0_E_clISt17integral_constantIbLb1EES1A_IbLb0EEEEDaS16_S17_EUlS16_E_NS1_11comp_targetILNS1_3genE10ELNS1_11target_archE1200ELNS1_3gpuE4ELNS1_3repE0EEENS1_30default_config_static_selectorELNS0_4arch9wavefront6targetE0EEEvT1_,"axG",@progbits,_ZN7rocprim17ROCPRIM_400000_NS6detail17trampoline_kernelINS0_14default_configENS1_25partition_config_selectorILNS1_17partition_subalgoE6EiNS0_10empty_typeEbEEZZNS1_14partition_implILS5_6ELb0ES3_mN6thrust23THRUST_200600_302600_NS6detail15normal_iteratorINSA_10device_ptrIiEEEEPS6_SG_NS0_5tupleIJNSA_16discard_iteratorINSA_11use_defaultEEES6_EEENSH_IJSG_SG_EEES6_PlJNSB_9not_fun_tI7is_trueIiEEEEEE10hipError_tPvRmT3_T4_T5_T6_T7_T9_mT8_P12ihipStream_tbDpT10_ENKUlT_T0_E_clISt17integral_constantIbLb1EES1A_IbLb0EEEEDaS16_S17_EUlS16_E_NS1_11comp_targetILNS1_3genE10ELNS1_11target_archE1200ELNS1_3gpuE4ELNS1_3repE0EEENS1_30default_config_static_selectorELNS0_4arch9wavefront6targetE0EEEvT1_,comdat
.Lfunc_end2290:
	.size	_ZN7rocprim17ROCPRIM_400000_NS6detail17trampoline_kernelINS0_14default_configENS1_25partition_config_selectorILNS1_17partition_subalgoE6EiNS0_10empty_typeEbEEZZNS1_14partition_implILS5_6ELb0ES3_mN6thrust23THRUST_200600_302600_NS6detail15normal_iteratorINSA_10device_ptrIiEEEEPS6_SG_NS0_5tupleIJNSA_16discard_iteratorINSA_11use_defaultEEES6_EEENSH_IJSG_SG_EEES6_PlJNSB_9not_fun_tI7is_trueIiEEEEEE10hipError_tPvRmT3_T4_T5_T6_T7_T9_mT8_P12ihipStream_tbDpT10_ENKUlT_T0_E_clISt17integral_constantIbLb1EES1A_IbLb0EEEEDaS16_S17_EUlS16_E_NS1_11comp_targetILNS1_3genE10ELNS1_11target_archE1200ELNS1_3gpuE4ELNS1_3repE0EEENS1_30default_config_static_selectorELNS0_4arch9wavefront6targetE0EEEvT1_, .Lfunc_end2290-_ZN7rocprim17ROCPRIM_400000_NS6detail17trampoline_kernelINS0_14default_configENS1_25partition_config_selectorILNS1_17partition_subalgoE6EiNS0_10empty_typeEbEEZZNS1_14partition_implILS5_6ELb0ES3_mN6thrust23THRUST_200600_302600_NS6detail15normal_iteratorINSA_10device_ptrIiEEEEPS6_SG_NS0_5tupleIJNSA_16discard_iteratorINSA_11use_defaultEEES6_EEENSH_IJSG_SG_EEES6_PlJNSB_9not_fun_tI7is_trueIiEEEEEE10hipError_tPvRmT3_T4_T5_T6_T7_T9_mT8_P12ihipStream_tbDpT10_ENKUlT_T0_E_clISt17integral_constantIbLb1EES1A_IbLb0EEEEDaS16_S17_EUlS16_E_NS1_11comp_targetILNS1_3genE10ELNS1_11target_archE1200ELNS1_3gpuE4ELNS1_3repE0EEENS1_30default_config_static_selectorELNS0_4arch9wavefront6targetE0EEEvT1_
                                        ; -- End function
	.set _ZN7rocprim17ROCPRIM_400000_NS6detail17trampoline_kernelINS0_14default_configENS1_25partition_config_selectorILNS1_17partition_subalgoE6EiNS0_10empty_typeEbEEZZNS1_14partition_implILS5_6ELb0ES3_mN6thrust23THRUST_200600_302600_NS6detail15normal_iteratorINSA_10device_ptrIiEEEEPS6_SG_NS0_5tupleIJNSA_16discard_iteratorINSA_11use_defaultEEES6_EEENSH_IJSG_SG_EEES6_PlJNSB_9not_fun_tI7is_trueIiEEEEEE10hipError_tPvRmT3_T4_T5_T6_T7_T9_mT8_P12ihipStream_tbDpT10_ENKUlT_T0_E_clISt17integral_constantIbLb1EES1A_IbLb0EEEEDaS16_S17_EUlS16_E_NS1_11comp_targetILNS1_3genE10ELNS1_11target_archE1200ELNS1_3gpuE4ELNS1_3repE0EEENS1_30default_config_static_selectorELNS0_4arch9wavefront6targetE0EEEvT1_.num_vgpr, 0
	.set _ZN7rocprim17ROCPRIM_400000_NS6detail17trampoline_kernelINS0_14default_configENS1_25partition_config_selectorILNS1_17partition_subalgoE6EiNS0_10empty_typeEbEEZZNS1_14partition_implILS5_6ELb0ES3_mN6thrust23THRUST_200600_302600_NS6detail15normal_iteratorINSA_10device_ptrIiEEEEPS6_SG_NS0_5tupleIJNSA_16discard_iteratorINSA_11use_defaultEEES6_EEENSH_IJSG_SG_EEES6_PlJNSB_9not_fun_tI7is_trueIiEEEEEE10hipError_tPvRmT3_T4_T5_T6_T7_T9_mT8_P12ihipStream_tbDpT10_ENKUlT_T0_E_clISt17integral_constantIbLb1EES1A_IbLb0EEEEDaS16_S17_EUlS16_E_NS1_11comp_targetILNS1_3genE10ELNS1_11target_archE1200ELNS1_3gpuE4ELNS1_3repE0EEENS1_30default_config_static_selectorELNS0_4arch9wavefront6targetE0EEEvT1_.num_agpr, 0
	.set _ZN7rocprim17ROCPRIM_400000_NS6detail17trampoline_kernelINS0_14default_configENS1_25partition_config_selectorILNS1_17partition_subalgoE6EiNS0_10empty_typeEbEEZZNS1_14partition_implILS5_6ELb0ES3_mN6thrust23THRUST_200600_302600_NS6detail15normal_iteratorINSA_10device_ptrIiEEEEPS6_SG_NS0_5tupleIJNSA_16discard_iteratorINSA_11use_defaultEEES6_EEENSH_IJSG_SG_EEES6_PlJNSB_9not_fun_tI7is_trueIiEEEEEE10hipError_tPvRmT3_T4_T5_T6_T7_T9_mT8_P12ihipStream_tbDpT10_ENKUlT_T0_E_clISt17integral_constantIbLb1EES1A_IbLb0EEEEDaS16_S17_EUlS16_E_NS1_11comp_targetILNS1_3genE10ELNS1_11target_archE1200ELNS1_3gpuE4ELNS1_3repE0EEENS1_30default_config_static_selectorELNS0_4arch9wavefront6targetE0EEEvT1_.numbered_sgpr, 0
	.set _ZN7rocprim17ROCPRIM_400000_NS6detail17trampoline_kernelINS0_14default_configENS1_25partition_config_selectorILNS1_17partition_subalgoE6EiNS0_10empty_typeEbEEZZNS1_14partition_implILS5_6ELb0ES3_mN6thrust23THRUST_200600_302600_NS6detail15normal_iteratorINSA_10device_ptrIiEEEEPS6_SG_NS0_5tupleIJNSA_16discard_iteratorINSA_11use_defaultEEES6_EEENSH_IJSG_SG_EEES6_PlJNSB_9not_fun_tI7is_trueIiEEEEEE10hipError_tPvRmT3_T4_T5_T6_T7_T9_mT8_P12ihipStream_tbDpT10_ENKUlT_T0_E_clISt17integral_constantIbLb1EES1A_IbLb0EEEEDaS16_S17_EUlS16_E_NS1_11comp_targetILNS1_3genE10ELNS1_11target_archE1200ELNS1_3gpuE4ELNS1_3repE0EEENS1_30default_config_static_selectorELNS0_4arch9wavefront6targetE0EEEvT1_.num_named_barrier, 0
	.set _ZN7rocprim17ROCPRIM_400000_NS6detail17trampoline_kernelINS0_14default_configENS1_25partition_config_selectorILNS1_17partition_subalgoE6EiNS0_10empty_typeEbEEZZNS1_14partition_implILS5_6ELb0ES3_mN6thrust23THRUST_200600_302600_NS6detail15normal_iteratorINSA_10device_ptrIiEEEEPS6_SG_NS0_5tupleIJNSA_16discard_iteratorINSA_11use_defaultEEES6_EEENSH_IJSG_SG_EEES6_PlJNSB_9not_fun_tI7is_trueIiEEEEEE10hipError_tPvRmT3_T4_T5_T6_T7_T9_mT8_P12ihipStream_tbDpT10_ENKUlT_T0_E_clISt17integral_constantIbLb1EES1A_IbLb0EEEEDaS16_S17_EUlS16_E_NS1_11comp_targetILNS1_3genE10ELNS1_11target_archE1200ELNS1_3gpuE4ELNS1_3repE0EEENS1_30default_config_static_selectorELNS0_4arch9wavefront6targetE0EEEvT1_.private_seg_size, 0
	.set _ZN7rocprim17ROCPRIM_400000_NS6detail17trampoline_kernelINS0_14default_configENS1_25partition_config_selectorILNS1_17partition_subalgoE6EiNS0_10empty_typeEbEEZZNS1_14partition_implILS5_6ELb0ES3_mN6thrust23THRUST_200600_302600_NS6detail15normal_iteratorINSA_10device_ptrIiEEEEPS6_SG_NS0_5tupleIJNSA_16discard_iteratorINSA_11use_defaultEEES6_EEENSH_IJSG_SG_EEES6_PlJNSB_9not_fun_tI7is_trueIiEEEEEE10hipError_tPvRmT3_T4_T5_T6_T7_T9_mT8_P12ihipStream_tbDpT10_ENKUlT_T0_E_clISt17integral_constantIbLb1EES1A_IbLb0EEEEDaS16_S17_EUlS16_E_NS1_11comp_targetILNS1_3genE10ELNS1_11target_archE1200ELNS1_3gpuE4ELNS1_3repE0EEENS1_30default_config_static_selectorELNS0_4arch9wavefront6targetE0EEEvT1_.uses_vcc, 0
	.set _ZN7rocprim17ROCPRIM_400000_NS6detail17trampoline_kernelINS0_14default_configENS1_25partition_config_selectorILNS1_17partition_subalgoE6EiNS0_10empty_typeEbEEZZNS1_14partition_implILS5_6ELb0ES3_mN6thrust23THRUST_200600_302600_NS6detail15normal_iteratorINSA_10device_ptrIiEEEEPS6_SG_NS0_5tupleIJNSA_16discard_iteratorINSA_11use_defaultEEES6_EEENSH_IJSG_SG_EEES6_PlJNSB_9not_fun_tI7is_trueIiEEEEEE10hipError_tPvRmT3_T4_T5_T6_T7_T9_mT8_P12ihipStream_tbDpT10_ENKUlT_T0_E_clISt17integral_constantIbLb1EES1A_IbLb0EEEEDaS16_S17_EUlS16_E_NS1_11comp_targetILNS1_3genE10ELNS1_11target_archE1200ELNS1_3gpuE4ELNS1_3repE0EEENS1_30default_config_static_selectorELNS0_4arch9wavefront6targetE0EEEvT1_.uses_flat_scratch, 0
	.set _ZN7rocprim17ROCPRIM_400000_NS6detail17trampoline_kernelINS0_14default_configENS1_25partition_config_selectorILNS1_17partition_subalgoE6EiNS0_10empty_typeEbEEZZNS1_14partition_implILS5_6ELb0ES3_mN6thrust23THRUST_200600_302600_NS6detail15normal_iteratorINSA_10device_ptrIiEEEEPS6_SG_NS0_5tupleIJNSA_16discard_iteratorINSA_11use_defaultEEES6_EEENSH_IJSG_SG_EEES6_PlJNSB_9not_fun_tI7is_trueIiEEEEEE10hipError_tPvRmT3_T4_T5_T6_T7_T9_mT8_P12ihipStream_tbDpT10_ENKUlT_T0_E_clISt17integral_constantIbLb1EES1A_IbLb0EEEEDaS16_S17_EUlS16_E_NS1_11comp_targetILNS1_3genE10ELNS1_11target_archE1200ELNS1_3gpuE4ELNS1_3repE0EEENS1_30default_config_static_selectorELNS0_4arch9wavefront6targetE0EEEvT1_.has_dyn_sized_stack, 0
	.set _ZN7rocprim17ROCPRIM_400000_NS6detail17trampoline_kernelINS0_14default_configENS1_25partition_config_selectorILNS1_17partition_subalgoE6EiNS0_10empty_typeEbEEZZNS1_14partition_implILS5_6ELb0ES3_mN6thrust23THRUST_200600_302600_NS6detail15normal_iteratorINSA_10device_ptrIiEEEEPS6_SG_NS0_5tupleIJNSA_16discard_iteratorINSA_11use_defaultEEES6_EEENSH_IJSG_SG_EEES6_PlJNSB_9not_fun_tI7is_trueIiEEEEEE10hipError_tPvRmT3_T4_T5_T6_T7_T9_mT8_P12ihipStream_tbDpT10_ENKUlT_T0_E_clISt17integral_constantIbLb1EES1A_IbLb0EEEEDaS16_S17_EUlS16_E_NS1_11comp_targetILNS1_3genE10ELNS1_11target_archE1200ELNS1_3gpuE4ELNS1_3repE0EEENS1_30default_config_static_selectorELNS0_4arch9wavefront6targetE0EEEvT1_.has_recursion, 0
	.set _ZN7rocprim17ROCPRIM_400000_NS6detail17trampoline_kernelINS0_14default_configENS1_25partition_config_selectorILNS1_17partition_subalgoE6EiNS0_10empty_typeEbEEZZNS1_14partition_implILS5_6ELb0ES3_mN6thrust23THRUST_200600_302600_NS6detail15normal_iteratorINSA_10device_ptrIiEEEEPS6_SG_NS0_5tupleIJNSA_16discard_iteratorINSA_11use_defaultEEES6_EEENSH_IJSG_SG_EEES6_PlJNSB_9not_fun_tI7is_trueIiEEEEEE10hipError_tPvRmT3_T4_T5_T6_T7_T9_mT8_P12ihipStream_tbDpT10_ENKUlT_T0_E_clISt17integral_constantIbLb1EES1A_IbLb0EEEEDaS16_S17_EUlS16_E_NS1_11comp_targetILNS1_3genE10ELNS1_11target_archE1200ELNS1_3gpuE4ELNS1_3repE0EEENS1_30default_config_static_selectorELNS0_4arch9wavefront6targetE0EEEvT1_.has_indirect_call, 0
	.section	.AMDGPU.csdata,"",@progbits
; Kernel info:
; codeLenInByte = 4
; TotalNumSgprs: 0
; NumVgprs: 0
; ScratchSize: 0
; MemoryBound: 0
; FloatMode: 240
; IeeeMode: 1
; LDSByteSize: 0 bytes/workgroup (compile time only)
; SGPRBlocks: 0
; VGPRBlocks: 0
; NumSGPRsForWavesPerEU: 1
; NumVGPRsForWavesPerEU: 1
; Occupancy: 16
; WaveLimiterHint : 0
; COMPUTE_PGM_RSRC2:SCRATCH_EN: 0
; COMPUTE_PGM_RSRC2:USER_SGPR: 2
; COMPUTE_PGM_RSRC2:TRAP_HANDLER: 0
; COMPUTE_PGM_RSRC2:TGID_X_EN: 1
; COMPUTE_PGM_RSRC2:TGID_Y_EN: 0
; COMPUTE_PGM_RSRC2:TGID_Z_EN: 0
; COMPUTE_PGM_RSRC2:TIDIG_COMP_CNT: 0
	.section	.text._ZN7rocprim17ROCPRIM_400000_NS6detail17trampoline_kernelINS0_14default_configENS1_25partition_config_selectorILNS1_17partition_subalgoE6EiNS0_10empty_typeEbEEZZNS1_14partition_implILS5_6ELb0ES3_mN6thrust23THRUST_200600_302600_NS6detail15normal_iteratorINSA_10device_ptrIiEEEEPS6_SG_NS0_5tupleIJNSA_16discard_iteratorINSA_11use_defaultEEES6_EEENSH_IJSG_SG_EEES6_PlJNSB_9not_fun_tI7is_trueIiEEEEEE10hipError_tPvRmT3_T4_T5_T6_T7_T9_mT8_P12ihipStream_tbDpT10_ENKUlT_T0_E_clISt17integral_constantIbLb1EES1A_IbLb0EEEEDaS16_S17_EUlS16_E_NS1_11comp_targetILNS1_3genE9ELNS1_11target_archE1100ELNS1_3gpuE3ELNS1_3repE0EEENS1_30default_config_static_selectorELNS0_4arch9wavefront6targetE0EEEvT1_,"axG",@progbits,_ZN7rocprim17ROCPRIM_400000_NS6detail17trampoline_kernelINS0_14default_configENS1_25partition_config_selectorILNS1_17partition_subalgoE6EiNS0_10empty_typeEbEEZZNS1_14partition_implILS5_6ELb0ES3_mN6thrust23THRUST_200600_302600_NS6detail15normal_iteratorINSA_10device_ptrIiEEEEPS6_SG_NS0_5tupleIJNSA_16discard_iteratorINSA_11use_defaultEEES6_EEENSH_IJSG_SG_EEES6_PlJNSB_9not_fun_tI7is_trueIiEEEEEE10hipError_tPvRmT3_T4_T5_T6_T7_T9_mT8_P12ihipStream_tbDpT10_ENKUlT_T0_E_clISt17integral_constantIbLb1EES1A_IbLb0EEEEDaS16_S17_EUlS16_E_NS1_11comp_targetILNS1_3genE9ELNS1_11target_archE1100ELNS1_3gpuE3ELNS1_3repE0EEENS1_30default_config_static_selectorELNS0_4arch9wavefront6targetE0EEEvT1_,comdat
	.protected	_ZN7rocprim17ROCPRIM_400000_NS6detail17trampoline_kernelINS0_14default_configENS1_25partition_config_selectorILNS1_17partition_subalgoE6EiNS0_10empty_typeEbEEZZNS1_14partition_implILS5_6ELb0ES3_mN6thrust23THRUST_200600_302600_NS6detail15normal_iteratorINSA_10device_ptrIiEEEEPS6_SG_NS0_5tupleIJNSA_16discard_iteratorINSA_11use_defaultEEES6_EEENSH_IJSG_SG_EEES6_PlJNSB_9not_fun_tI7is_trueIiEEEEEE10hipError_tPvRmT3_T4_T5_T6_T7_T9_mT8_P12ihipStream_tbDpT10_ENKUlT_T0_E_clISt17integral_constantIbLb1EES1A_IbLb0EEEEDaS16_S17_EUlS16_E_NS1_11comp_targetILNS1_3genE9ELNS1_11target_archE1100ELNS1_3gpuE3ELNS1_3repE0EEENS1_30default_config_static_selectorELNS0_4arch9wavefront6targetE0EEEvT1_ ; -- Begin function _ZN7rocprim17ROCPRIM_400000_NS6detail17trampoline_kernelINS0_14default_configENS1_25partition_config_selectorILNS1_17partition_subalgoE6EiNS0_10empty_typeEbEEZZNS1_14partition_implILS5_6ELb0ES3_mN6thrust23THRUST_200600_302600_NS6detail15normal_iteratorINSA_10device_ptrIiEEEEPS6_SG_NS0_5tupleIJNSA_16discard_iteratorINSA_11use_defaultEEES6_EEENSH_IJSG_SG_EEES6_PlJNSB_9not_fun_tI7is_trueIiEEEEEE10hipError_tPvRmT3_T4_T5_T6_T7_T9_mT8_P12ihipStream_tbDpT10_ENKUlT_T0_E_clISt17integral_constantIbLb1EES1A_IbLb0EEEEDaS16_S17_EUlS16_E_NS1_11comp_targetILNS1_3genE9ELNS1_11target_archE1100ELNS1_3gpuE3ELNS1_3repE0EEENS1_30default_config_static_selectorELNS0_4arch9wavefront6targetE0EEEvT1_
	.globl	_ZN7rocprim17ROCPRIM_400000_NS6detail17trampoline_kernelINS0_14default_configENS1_25partition_config_selectorILNS1_17partition_subalgoE6EiNS0_10empty_typeEbEEZZNS1_14partition_implILS5_6ELb0ES3_mN6thrust23THRUST_200600_302600_NS6detail15normal_iteratorINSA_10device_ptrIiEEEEPS6_SG_NS0_5tupleIJNSA_16discard_iteratorINSA_11use_defaultEEES6_EEENSH_IJSG_SG_EEES6_PlJNSB_9not_fun_tI7is_trueIiEEEEEE10hipError_tPvRmT3_T4_T5_T6_T7_T9_mT8_P12ihipStream_tbDpT10_ENKUlT_T0_E_clISt17integral_constantIbLb1EES1A_IbLb0EEEEDaS16_S17_EUlS16_E_NS1_11comp_targetILNS1_3genE9ELNS1_11target_archE1100ELNS1_3gpuE3ELNS1_3repE0EEENS1_30default_config_static_selectorELNS0_4arch9wavefront6targetE0EEEvT1_
	.p2align	8
	.type	_ZN7rocprim17ROCPRIM_400000_NS6detail17trampoline_kernelINS0_14default_configENS1_25partition_config_selectorILNS1_17partition_subalgoE6EiNS0_10empty_typeEbEEZZNS1_14partition_implILS5_6ELb0ES3_mN6thrust23THRUST_200600_302600_NS6detail15normal_iteratorINSA_10device_ptrIiEEEEPS6_SG_NS0_5tupleIJNSA_16discard_iteratorINSA_11use_defaultEEES6_EEENSH_IJSG_SG_EEES6_PlJNSB_9not_fun_tI7is_trueIiEEEEEE10hipError_tPvRmT3_T4_T5_T6_T7_T9_mT8_P12ihipStream_tbDpT10_ENKUlT_T0_E_clISt17integral_constantIbLb1EES1A_IbLb0EEEEDaS16_S17_EUlS16_E_NS1_11comp_targetILNS1_3genE9ELNS1_11target_archE1100ELNS1_3gpuE3ELNS1_3repE0EEENS1_30default_config_static_selectorELNS0_4arch9wavefront6targetE0EEEvT1_,@function
_ZN7rocprim17ROCPRIM_400000_NS6detail17trampoline_kernelINS0_14default_configENS1_25partition_config_selectorILNS1_17partition_subalgoE6EiNS0_10empty_typeEbEEZZNS1_14partition_implILS5_6ELb0ES3_mN6thrust23THRUST_200600_302600_NS6detail15normal_iteratorINSA_10device_ptrIiEEEEPS6_SG_NS0_5tupleIJNSA_16discard_iteratorINSA_11use_defaultEEES6_EEENSH_IJSG_SG_EEES6_PlJNSB_9not_fun_tI7is_trueIiEEEEEE10hipError_tPvRmT3_T4_T5_T6_T7_T9_mT8_P12ihipStream_tbDpT10_ENKUlT_T0_E_clISt17integral_constantIbLb1EES1A_IbLb0EEEEDaS16_S17_EUlS16_E_NS1_11comp_targetILNS1_3genE9ELNS1_11target_archE1100ELNS1_3gpuE3ELNS1_3repE0EEENS1_30default_config_static_selectorELNS0_4arch9wavefront6targetE0EEEvT1_: ; @_ZN7rocprim17ROCPRIM_400000_NS6detail17trampoline_kernelINS0_14default_configENS1_25partition_config_selectorILNS1_17partition_subalgoE6EiNS0_10empty_typeEbEEZZNS1_14partition_implILS5_6ELb0ES3_mN6thrust23THRUST_200600_302600_NS6detail15normal_iteratorINSA_10device_ptrIiEEEEPS6_SG_NS0_5tupleIJNSA_16discard_iteratorINSA_11use_defaultEEES6_EEENSH_IJSG_SG_EEES6_PlJNSB_9not_fun_tI7is_trueIiEEEEEE10hipError_tPvRmT3_T4_T5_T6_T7_T9_mT8_P12ihipStream_tbDpT10_ENKUlT_T0_E_clISt17integral_constantIbLb1EES1A_IbLb0EEEEDaS16_S17_EUlS16_E_NS1_11comp_targetILNS1_3genE9ELNS1_11target_archE1100ELNS1_3gpuE3ELNS1_3repE0EEENS1_30default_config_static_selectorELNS0_4arch9wavefront6targetE0EEEvT1_
; %bb.0:
	.section	.rodata,"a",@progbits
	.p2align	6, 0x0
	.amdhsa_kernel _ZN7rocprim17ROCPRIM_400000_NS6detail17trampoline_kernelINS0_14default_configENS1_25partition_config_selectorILNS1_17partition_subalgoE6EiNS0_10empty_typeEbEEZZNS1_14partition_implILS5_6ELb0ES3_mN6thrust23THRUST_200600_302600_NS6detail15normal_iteratorINSA_10device_ptrIiEEEEPS6_SG_NS0_5tupleIJNSA_16discard_iteratorINSA_11use_defaultEEES6_EEENSH_IJSG_SG_EEES6_PlJNSB_9not_fun_tI7is_trueIiEEEEEE10hipError_tPvRmT3_T4_T5_T6_T7_T9_mT8_P12ihipStream_tbDpT10_ENKUlT_T0_E_clISt17integral_constantIbLb1EES1A_IbLb0EEEEDaS16_S17_EUlS16_E_NS1_11comp_targetILNS1_3genE9ELNS1_11target_archE1100ELNS1_3gpuE3ELNS1_3repE0EEENS1_30default_config_static_selectorELNS0_4arch9wavefront6targetE0EEEvT1_
		.amdhsa_group_segment_fixed_size 0
		.amdhsa_private_segment_fixed_size 0
		.amdhsa_kernarg_size 120
		.amdhsa_user_sgpr_count 2
		.amdhsa_user_sgpr_dispatch_ptr 0
		.amdhsa_user_sgpr_queue_ptr 0
		.amdhsa_user_sgpr_kernarg_segment_ptr 1
		.amdhsa_user_sgpr_dispatch_id 0
		.amdhsa_user_sgpr_private_segment_size 0
		.amdhsa_wavefront_size32 1
		.amdhsa_uses_dynamic_stack 0
		.amdhsa_enable_private_segment 0
		.amdhsa_system_sgpr_workgroup_id_x 1
		.amdhsa_system_sgpr_workgroup_id_y 0
		.amdhsa_system_sgpr_workgroup_id_z 0
		.amdhsa_system_sgpr_workgroup_info 0
		.amdhsa_system_vgpr_workitem_id 0
		.amdhsa_next_free_vgpr 1
		.amdhsa_next_free_sgpr 1
		.amdhsa_reserve_vcc 0
		.amdhsa_float_round_mode_32 0
		.amdhsa_float_round_mode_16_64 0
		.amdhsa_float_denorm_mode_32 3
		.amdhsa_float_denorm_mode_16_64 3
		.amdhsa_fp16_overflow 0
		.amdhsa_workgroup_processor_mode 1
		.amdhsa_memory_ordered 1
		.amdhsa_forward_progress 1
		.amdhsa_inst_pref_size 0
		.amdhsa_round_robin_scheduling 0
		.amdhsa_exception_fp_ieee_invalid_op 0
		.amdhsa_exception_fp_denorm_src 0
		.amdhsa_exception_fp_ieee_div_zero 0
		.amdhsa_exception_fp_ieee_overflow 0
		.amdhsa_exception_fp_ieee_underflow 0
		.amdhsa_exception_fp_ieee_inexact 0
		.amdhsa_exception_int_div_zero 0
	.end_amdhsa_kernel
	.section	.text._ZN7rocprim17ROCPRIM_400000_NS6detail17trampoline_kernelINS0_14default_configENS1_25partition_config_selectorILNS1_17partition_subalgoE6EiNS0_10empty_typeEbEEZZNS1_14partition_implILS5_6ELb0ES3_mN6thrust23THRUST_200600_302600_NS6detail15normal_iteratorINSA_10device_ptrIiEEEEPS6_SG_NS0_5tupleIJNSA_16discard_iteratorINSA_11use_defaultEEES6_EEENSH_IJSG_SG_EEES6_PlJNSB_9not_fun_tI7is_trueIiEEEEEE10hipError_tPvRmT3_T4_T5_T6_T7_T9_mT8_P12ihipStream_tbDpT10_ENKUlT_T0_E_clISt17integral_constantIbLb1EES1A_IbLb0EEEEDaS16_S17_EUlS16_E_NS1_11comp_targetILNS1_3genE9ELNS1_11target_archE1100ELNS1_3gpuE3ELNS1_3repE0EEENS1_30default_config_static_selectorELNS0_4arch9wavefront6targetE0EEEvT1_,"axG",@progbits,_ZN7rocprim17ROCPRIM_400000_NS6detail17trampoline_kernelINS0_14default_configENS1_25partition_config_selectorILNS1_17partition_subalgoE6EiNS0_10empty_typeEbEEZZNS1_14partition_implILS5_6ELb0ES3_mN6thrust23THRUST_200600_302600_NS6detail15normal_iteratorINSA_10device_ptrIiEEEEPS6_SG_NS0_5tupleIJNSA_16discard_iteratorINSA_11use_defaultEEES6_EEENSH_IJSG_SG_EEES6_PlJNSB_9not_fun_tI7is_trueIiEEEEEE10hipError_tPvRmT3_T4_T5_T6_T7_T9_mT8_P12ihipStream_tbDpT10_ENKUlT_T0_E_clISt17integral_constantIbLb1EES1A_IbLb0EEEEDaS16_S17_EUlS16_E_NS1_11comp_targetILNS1_3genE9ELNS1_11target_archE1100ELNS1_3gpuE3ELNS1_3repE0EEENS1_30default_config_static_selectorELNS0_4arch9wavefront6targetE0EEEvT1_,comdat
.Lfunc_end2291:
	.size	_ZN7rocprim17ROCPRIM_400000_NS6detail17trampoline_kernelINS0_14default_configENS1_25partition_config_selectorILNS1_17partition_subalgoE6EiNS0_10empty_typeEbEEZZNS1_14partition_implILS5_6ELb0ES3_mN6thrust23THRUST_200600_302600_NS6detail15normal_iteratorINSA_10device_ptrIiEEEEPS6_SG_NS0_5tupleIJNSA_16discard_iteratorINSA_11use_defaultEEES6_EEENSH_IJSG_SG_EEES6_PlJNSB_9not_fun_tI7is_trueIiEEEEEE10hipError_tPvRmT3_T4_T5_T6_T7_T9_mT8_P12ihipStream_tbDpT10_ENKUlT_T0_E_clISt17integral_constantIbLb1EES1A_IbLb0EEEEDaS16_S17_EUlS16_E_NS1_11comp_targetILNS1_3genE9ELNS1_11target_archE1100ELNS1_3gpuE3ELNS1_3repE0EEENS1_30default_config_static_selectorELNS0_4arch9wavefront6targetE0EEEvT1_, .Lfunc_end2291-_ZN7rocprim17ROCPRIM_400000_NS6detail17trampoline_kernelINS0_14default_configENS1_25partition_config_selectorILNS1_17partition_subalgoE6EiNS0_10empty_typeEbEEZZNS1_14partition_implILS5_6ELb0ES3_mN6thrust23THRUST_200600_302600_NS6detail15normal_iteratorINSA_10device_ptrIiEEEEPS6_SG_NS0_5tupleIJNSA_16discard_iteratorINSA_11use_defaultEEES6_EEENSH_IJSG_SG_EEES6_PlJNSB_9not_fun_tI7is_trueIiEEEEEE10hipError_tPvRmT3_T4_T5_T6_T7_T9_mT8_P12ihipStream_tbDpT10_ENKUlT_T0_E_clISt17integral_constantIbLb1EES1A_IbLb0EEEEDaS16_S17_EUlS16_E_NS1_11comp_targetILNS1_3genE9ELNS1_11target_archE1100ELNS1_3gpuE3ELNS1_3repE0EEENS1_30default_config_static_selectorELNS0_4arch9wavefront6targetE0EEEvT1_
                                        ; -- End function
	.set _ZN7rocprim17ROCPRIM_400000_NS6detail17trampoline_kernelINS0_14default_configENS1_25partition_config_selectorILNS1_17partition_subalgoE6EiNS0_10empty_typeEbEEZZNS1_14partition_implILS5_6ELb0ES3_mN6thrust23THRUST_200600_302600_NS6detail15normal_iteratorINSA_10device_ptrIiEEEEPS6_SG_NS0_5tupleIJNSA_16discard_iteratorINSA_11use_defaultEEES6_EEENSH_IJSG_SG_EEES6_PlJNSB_9not_fun_tI7is_trueIiEEEEEE10hipError_tPvRmT3_T4_T5_T6_T7_T9_mT8_P12ihipStream_tbDpT10_ENKUlT_T0_E_clISt17integral_constantIbLb1EES1A_IbLb0EEEEDaS16_S17_EUlS16_E_NS1_11comp_targetILNS1_3genE9ELNS1_11target_archE1100ELNS1_3gpuE3ELNS1_3repE0EEENS1_30default_config_static_selectorELNS0_4arch9wavefront6targetE0EEEvT1_.num_vgpr, 0
	.set _ZN7rocprim17ROCPRIM_400000_NS6detail17trampoline_kernelINS0_14default_configENS1_25partition_config_selectorILNS1_17partition_subalgoE6EiNS0_10empty_typeEbEEZZNS1_14partition_implILS5_6ELb0ES3_mN6thrust23THRUST_200600_302600_NS6detail15normal_iteratorINSA_10device_ptrIiEEEEPS6_SG_NS0_5tupleIJNSA_16discard_iteratorINSA_11use_defaultEEES6_EEENSH_IJSG_SG_EEES6_PlJNSB_9not_fun_tI7is_trueIiEEEEEE10hipError_tPvRmT3_T4_T5_T6_T7_T9_mT8_P12ihipStream_tbDpT10_ENKUlT_T0_E_clISt17integral_constantIbLb1EES1A_IbLb0EEEEDaS16_S17_EUlS16_E_NS1_11comp_targetILNS1_3genE9ELNS1_11target_archE1100ELNS1_3gpuE3ELNS1_3repE0EEENS1_30default_config_static_selectorELNS0_4arch9wavefront6targetE0EEEvT1_.num_agpr, 0
	.set _ZN7rocprim17ROCPRIM_400000_NS6detail17trampoline_kernelINS0_14default_configENS1_25partition_config_selectorILNS1_17partition_subalgoE6EiNS0_10empty_typeEbEEZZNS1_14partition_implILS5_6ELb0ES3_mN6thrust23THRUST_200600_302600_NS6detail15normal_iteratorINSA_10device_ptrIiEEEEPS6_SG_NS0_5tupleIJNSA_16discard_iteratorINSA_11use_defaultEEES6_EEENSH_IJSG_SG_EEES6_PlJNSB_9not_fun_tI7is_trueIiEEEEEE10hipError_tPvRmT3_T4_T5_T6_T7_T9_mT8_P12ihipStream_tbDpT10_ENKUlT_T0_E_clISt17integral_constantIbLb1EES1A_IbLb0EEEEDaS16_S17_EUlS16_E_NS1_11comp_targetILNS1_3genE9ELNS1_11target_archE1100ELNS1_3gpuE3ELNS1_3repE0EEENS1_30default_config_static_selectorELNS0_4arch9wavefront6targetE0EEEvT1_.numbered_sgpr, 0
	.set _ZN7rocprim17ROCPRIM_400000_NS6detail17trampoline_kernelINS0_14default_configENS1_25partition_config_selectorILNS1_17partition_subalgoE6EiNS0_10empty_typeEbEEZZNS1_14partition_implILS5_6ELb0ES3_mN6thrust23THRUST_200600_302600_NS6detail15normal_iteratorINSA_10device_ptrIiEEEEPS6_SG_NS0_5tupleIJNSA_16discard_iteratorINSA_11use_defaultEEES6_EEENSH_IJSG_SG_EEES6_PlJNSB_9not_fun_tI7is_trueIiEEEEEE10hipError_tPvRmT3_T4_T5_T6_T7_T9_mT8_P12ihipStream_tbDpT10_ENKUlT_T0_E_clISt17integral_constantIbLb1EES1A_IbLb0EEEEDaS16_S17_EUlS16_E_NS1_11comp_targetILNS1_3genE9ELNS1_11target_archE1100ELNS1_3gpuE3ELNS1_3repE0EEENS1_30default_config_static_selectorELNS0_4arch9wavefront6targetE0EEEvT1_.num_named_barrier, 0
	.set _ZN7rocprim17ROCPRIM_400000_NS6detail17trampoline_kernelINS0_14default_configENS1_25partition_config_selectorILNS1_17partition_subalgoE6EiNS0_10empty_typeEbEEZZNS1_14partition_implILS5_6ELb0ES3_mN6thrust23THRUST_200600_302600_NS6detail15normal_iteratorINSA_10device_ptrIiEEEEPS6_SG_NS0_5tupleIJNSA_16discard_iteratorINSA_11use_defaultEEES6_EEENSH_IJSG_SG_EEES6_PlJNSB_9not_fun_tI7is_trueIiEEEEEE10hipError_tPvRmT3_T4_T5_T6_T7_T9_mT8_P12ihipStream_tbDpT10_ENKUlT_T0_E_clISt17integral_constantIbLb1EES1A_IbLb0EEEEDaS16_S17_EUlS16_E_NS1_11comp_targetILNS1_3genE9ELNS1_11target_archE1100ELNS1_3gpuE3ELNS1_3repE0EEENS1_30default_config_static_selectorELNS0_4arch9wavefront6targetE0EEEvT1_.private_seg_size, 0
	.set _ZN7rocprim17ROCPRIM_400000_NS6detail17trampoline_kernelINS0_14default_configENS1_25partition_config_selectorILNS1_17partition_subalgoE6EiNS0_10empty_typeEbEEZZNS1_14partition_implILS5_6ELb0ES3_mN6thrust23THRUST_200600_302600_NS6detail15normal_iteratorINSA_10device_ptrIiEEEEPS6_SG_NS0_5tupleIJNSA_16discard_iteratorINSA_11use_defaultEEES6_EEENSH_IJSG_SG_EEES6_PlJNSB_9not_fun_tI7is_trueIiEEEEEE10hipError_tPvRmT3_T4_T5_T6_T7_T9_mT8_P12ihipStream_tbDpT10_ENKUlT_T0_E_clISt17integral_constantIbLb1EES1A_IbLb0EEEEDaS16_S17_EUlS16_E_NS1_11comp_targetILNS1_3genE9ELNS1_11target_archE1100ELNS1_3gpuE3ELNS1_3repE0EEENS1_30default_config_static_selectorELNS0_4arch9wavefront6targetE0EEEvT1_.uses_vcc, 0
	.set _ZN7rocprim17ROCPRIM_400000_NS6detail17trampoline_kernelINS0_14default_configENS1_25partition_config_selectorILNS1_17partition_subalgoE6EiNS0_10empty_typeEbEEZZNS1_14partition_implILS5_6ELb0ES3_mN6thrust23THRUST_200600_302600_NS6detail15normal_iteratorINSA_10device_ptrIiEEEEPS6_SG_NS0_5tupleIJNSA_16discard_iteratorINSA_11use_defaultEEES6_EEENSH_IJSG_SG_EEES6_PlJNSB_9not_fun_tI7is_trueIiEEEEEE10hipError_tPvRmT3_T4_T5_T6_T7_T9_mT8_P12ihipStream_tbDpT10_ENKUlT_T0_E_clISt17integral_constantIbLb1EES1A_IbLb0EEEEDaS16_S17_EUlS16_E_NS1_11comp_targetILNS1_3genE9ELNS1_11target_archE1100ELNS1_3gpuE3ELNS1_3repE0EEENS1_30default_config_static_selectorELNS0_4arch9wavefront6targetE0EEEvT1_.uses_flat_scratch, 0
	.set _ZN7rocprim17ROCPRIM_400000_NS6detail17trampoline_kernelINS0_14default_configENS1_25partition_config_selectorILNS1_17partition_subalgoE6EiNS0_10empty_typeEbEEZZNS1_14partition_implILS5_6ELb0ES3_mN6thrust23THRUST_200600_302600_NS6detail15normal_iteratorINSA_10device_ptrIiEEEEPS6_SG_NS0_5tupleIJNSA_16discard_iteratorINSA_11use_defaultEEES6_EEENSH_IJSG_SG_EEES6_PlJNSB_9not_fun_tI7is_trueIiEEEEEE10hipError_tPvRmT3_T4_T5_T6_T7_T9_mT8_P12ihipStream_tbDpT10_ENKUlT_T0_E_clISt17integral_constantIbLb1EES1A_IbLb0EEEEDaS16_S17_EUlS16_E_NS1_11comp_targetILNS1_3genE9ELNS1_11target_archE1100ELNS1_3gpuE3ELNS1_3repE0EEENS1_30default_config_static_selectorELNS0_4arch9wavefront6targetE0EEEvT1_.has_dyn_sized_stack, 0
	.set _ZN7rocprim17ROCPRIM_400000_NS6detail17trampoline_kernelINS0_14default_configENS1_25partition_config_selectorILNS1_17partition_subalgoE6EiNS0_10empty_typeEbEEZZNS1_14partition_implILS5_6ELb0ES3_mN6thrust23THRUST_200600_302600_NS6detail15normal_iteratorINSA_10device_ptrIiEEEEPS6_SG_NS0_5tupleIJNSA_16discard_iteratorINSA_11use_defaultEEES6_EEENSH_IJSG_SG_EEES6_PlJNSB_9not_fun_tI7is_trueIiEEEEEE10hipError_tPvRmT3_T4_T5_T6_T7_T9_mT8_P12ihipStream_tbDpT10_ENKUlT_T0_E_clISt17integral_constantIbLb1EES1A_IbLb0EEEEDaS16_S17_EUlS16_E_NS1_11comp_targetILNS1_3genE9ELNS1_11target_archE1100ELNS1_3gpuE3ELNS1_3repE0EEENS1_30default_config_static_selectorELNS0_4arch9wavefront6targetE0EEEvT1_.has_recursion, 0
	.set _ZN7rocprim17ROCPRIM_400000_NS6detail17trampoline_kernelINS0_14default_configENS1_25partition_config_selectorILNS1_17partition_subalgoE6EiNS0_10empty_typeEbEEZZNS1_14partition_implILS5_6ELb0ES3_mN6thrust23THRUST_200600_302600_NS6detail15normal_iteratorINSA_10device_ptrIiEEEEPS6_SG_NS0_5tupleIJNSA_16discard_iteratorINSA_11use_defaultEEES6_EEENSH_IJSG_SG_EEES6_PlJNSB_9not_fun_tI7is_trueIiEEEEEE10hipError_tPvRmT3_T4_T5_T6_T7_T9_mT8_P12ihipStream_tbDpT10_ENKUlT_T0_E_clISt17integral_constantIbLb1EES1A_IbLb0EEEEDaS16_S17_EUlS16_E_NS1_11comp_targetILNS1_3genE9ELNS1_11target_archE1100ELNS1_3gpuE3ELNS1_3repE0EEENS1_30default_config_static_selectorELNS0_4arch9wavefront6targetE0EEEvT1_.has_indirect_call, 0
	.section	.AMDGPU.csdata,"",@progbits
; Kernel info:
; codeLenInByte = 0
; TotalNumSgprs: 0
; NumVgprs: 0
; ScratchSize: 0
; MemoryBound: 0
; FloatMode: 240
; IeeeMode: 1
; LDSByteSize: 0 bytes/workgroup (compile time only)
; SGPRBlocks: 0
; VGPRBlocks: 0
; NumSGPRsForWavesPerEU: 1
; NumVGPRsForWavesPerEU: 1
; Occupancy: 16
; WaveLimiterHint : 0
; COMPUTE_PGM_RSRC2:SCRATCH_EN: 0
; COMPUTE_PGM_RSRC2:USER_SGPR: 2
; COMPUTE_PGM_RSRC2:TRAP_HANDLER: 0
; COMPUTE_PGM_RSRC2:TGID_X_EN: 1
; COMPUTE_PGM_RSRC2:TGID_Y_EN: 0
; COMPUTE_PGM_RSRC2:TGID_Z_EN: 0
; COMPUTE_PGM_RSRC2:TIDIG_COMP_CNT: 0
	.section	.text._ZN7rocprim17ROCPRIM_400000_NS6detail17trampoline_kernelINS0_14default_configENS1_25partition_config_selectorILNS1_17partition_subalgoE6EiNS0_10empty_typeEbEEZZNS1_14partition_implILS5_6ELb0ES3_mN6thrust23THRUST_200600_302600_NS6detail15normal_iteratorINSA_10device_ptrIiEEEEPS6_SG_NS0_5tupleIJNSA_16discard_iteratorINSA_11use_defaultEEES6_EEENSH_IJSG_SG_EEES6_PlJNSB_9not_fun_tI7is_trueIiEEEEEE10hipError_tPvRmT3_T4_T5_T6_T7_T9_mT8_P12ihipStream_tbDpT10_ENKUlT_T0_E_clISt17integral_constantIbLb1EES1A_IbLb0EEEEDaS16_S17_EUlS16_E_NS1_11comp_targetILNS1_3genE8ELNS1_11target_archE1030ELNS1_3gpuE2ELNS1_3repE0EEENS1_30default_config_static_selectorELNS0_4arch9wavefront6targetE0EEEvT1_,"axG",@progbits,_ZN7rocprim17ROCPRIM_400000_NS6detail17trampoline_kernelINS0_14default_configENS1_25partition_config_selectorILNS1_17partition_subalgoE6EiNS0_10empty_typeEbEEZZNS1_14partition_implILS5_6ELb0ES3_mN6thrust23THRUST_200600_302600_NS6detail15normal_iteratorINSA_10device_ptrIiEEEEPS6_SG_NS0_5tupleIJNSA_16discard_iteratorINSA_11use_defaultEEES6_EEENSH_IJSG_SG_EEES6_PlJNSB_9not_fun_tI7is_trueIiEEEEEE10hipError_tPvRmT3_T4_T5_T6_T7_T9_mT8_P12ihipStream_tbDpT10_ENKUlT_T0_E_clISt17integral_constantIbLb1EES1A_IbLb0EEEEDaS16_S17_EUlS16_E_NS1_11comp_targetILNS1_3genE8ELNS1_11target_archE1030ELNS1_3gpuE2ELNS1_3repE0EEENS1_30default_config_static_selectorELNS0_4arch9wavefront6targetE0EEEvT1_,comdat
	.protected	_ZN7rocprim17ROCPRIM_400000_NS6detail17trampoline_kernelINS0_14default_configENS1_25partition_config_selectorILNS1_17partition_subalgoE6EiNS0_10empty_typeEbEEZZNS1_14partition_implILS5_6ELb0ES3_mN6thrust23THRUST_200600_302600_NS6detail15normal_iteratorINSA_10device_ptrIiEEEEPS6_SG_NS0_5tupleIJNSA_16discard_iteratorINSA_11use_defaultEEES6_EEENSH_IJSG_SG_EEES6_PlJNSB_9not_fun_tI7is_trueIiEEEEEE10hipError_tPvRmT3_T4_T5_T6_T7_T9_mT8_P12ihipStream_tbDpT10_ENKUlT_T0_E_clISt17integral_constantIbLb1EES1A_IbLb0EEEEDaS16_S17_EUlS16_E_NS1_11comp_targetILNS1_3genE8ELNS1_11target_archE1030ELNS1_3gpuE2ELNS1_3repE0EEENS1_30default_config_static_selectorELNS0_4arch9wavefront6targetE0EEEvT1_ ; -- Begin function _ZN7rocprim17ROCPRIM_400000_NS6detail17trampoline_kernelINS0_14default_configENS1_25partition_config_selectorILNS1_17partition_subalgoE6EiNS0_10empty_typeEbEEZZNS1_14partition_implILS5_6ELb0ES3_mN6thrust23THRUST_200600_302600_NS6detail15normal_iteratorINSA_10device_ptrIiEEEEPS6_SG_NS0_5tupleIJNSA_16discard_iteratorINSA_11use_defaultEEES6_EEENSH_IJSG_SG_EEES6_PlJNSB_9not_fun_tI7is_trueIiEEEEEE10hipError_tPvRmT3_T4_T5_T6_T7_T9_mT8_P12ihipStream_tbDpT10_ENKUlT_T0_E_clISt17integral_constantIbLb1EES1A_IbLb0EEEEDaS16_S17_EUlS16_E_NS1_11comp_targetILNS1_3genE8ELNS1_11target_archE1030ELNS1_3gpuE2ELNS1_3repE0EEENS1_30default_config_static_selectorELNS0_4arch9wavefront6targetE0EEEvT1_
	.globl	_ZN7rocprim17ROCPRIM_400000_NS6detail17trampoline_kernelINS0_14default_configENS1_25partition_config_selectorILNS1_17partition_subalgoE6EiNS0_10empty_typeEbEEZZNS1_14partition_implILS5_6ELb0ES3_mN6thrust23THRUST_200600_302600_NS6detail15normal_iteratorINSA_10device_ptrIiEEEEPS6_SG_NS0_5tupleIJNSA_16discard_iteratorINSA_11use_defaultEEES6_EEENSH_IJSG_SG_EEES6_PlJNSB_9not_fun_tI7is_trueIiEEEEEE10hipError_tPvRmT3_T4_T5_T6_T7_T9_mT8_P12ihipStream_tbDpT10_ENKUlT_T0_E_clISt17integral_constantIbLb1EES1A_IbLb0EEEEDaS16_S17_EUlS16_E_NS1_11comp_targetILNS1_3genE8ELNS1_11target_archE1030ELNS1_3gpuE2ELNS1_3repE0EEENS1_30default_config_static_selectorELNS0_4arch9wavefront6targetE0EEEvT1_
	.p2align	8
	.type	_ZN7rocprim17ROCPRIM_400000_NS6detail17trampoline_kernelINS0_14default_configENS1_25partition_config_selectorILNS1_17partition_subalgoE6EiNS0_10empty_typeEbEEZZNS1_14partition_implILS5_6ELb0ES3_mN6thrust23THRUST_200600_302600_NS6detail15normal_iteratorINSA_10device_ptrIiEEEEPS6_SG_NS0_5tupleIJNSA_16discard_iteratorINSA_11use_defaultEEES6_EEENSH_IJSG_SG_EEES6_PlJNSB_9not_fun_tI7is_trueIiEEEEEE10hipError_tPvRmT3_T4_T5_T6_T7_T9_mT8_P12ihipStream_tbDpT10_ENKUlT_T0_E_clISt17integral_constantIbLb1EES1A_IbLb0EEEEDaS16_S17_EUlS16_E_NS1_11comp_targetILNS1_3genE8ELNS1_11target_archE1030ELNS1_3gpuE2ELNS1_3repE0EEENS1_30default_config_static_selectorELNS0_4arch9wavefront6targetE0EEEvT1_,@function
_ZN7rocprim17ROCPRIM_400000_NS6detail17trampoline_kernelINS0_14default_configENS1_25partition_config_selectorILNS1_17partition_subalgoE6EiNS0_10empty_typeEbEEZZNS1_14partition_implILS5_6ELb0ES3_mN6thrust23THRUST_200600_302600_NS6detail15normal_iteratorINSA_10device_ptrIiEEEEPS6_SG_NS0_5tupleIJNSA_16discard_iteratorINSA_11use_defaultEEES6_EEENSH_IJSG_SG_EEES6_PlJNSB_9not_fun_tI7is_trueIiEEEEEE10hipError_tPvRmT3_T4_T5_T6_T7_T9_mT8_P12ihipStream_tbDpT10_ENKUlT_T0_E_clISt17integral_constantIbLb1EES1A_IbLb0EEEEDaS16_S17_EUlS16_E_NS1_11comp_targetILNS1_3genE8ELNS1_11target_archE1030ELNS1_3gpuE2ELNS1_3repE0EEENS1_30default_config_static_selectorELNS0_4arch9wavefront6targetE0EEEvT1_: ; @_ZN7rocprim17ROCPRIM_400000_NS6detail17trampoline_kernelINS0_14default_configENS1_25partition_config_selectorILNS1_17partition_subalgoE6EiNS0_10empty_typeEbEEZZNS1_14partition_implILS5_6ELb0ES3_mN6thrust23THRUST_200600_302600_NS6detail15normal_iteratorINSA_10device_ptrIiEEEEPS6_SG_NS0_5tupleIJNSA_16discard_iteratorINSA_11use_defaultEEES6_EEENSH_IJSG_SG_EEES6_PlJNSB_9not_fun_tI7is_trueIiEEEEEE10hipError_tPvRmT3_T4_T5_T6_T7_T9_mT8_P12ihipStream_tbDpT10_ENKUlT_T0_E_clISt17integral_constantIbLb1EES1A_IbLb0EEEEDaS16_S17_EUlS16_E_NS1_11comp_targetILNS1_3genE8ELNS1_11target_archE1030ELNS1_3gpuE2ELNS1_3repE0EEENS1_30default_config_static_selectorELNS0_4arch9wavefront6targetE0EEEvT1_
; %bb.0:
	.section	.rodata,"a",@progbits
	.p2align	6, 0x0
	.amdhsa_kernel _ZN7rocprim17ROCPRIM_400000_NS6detail17trampoline_kernelINS0_14default_configENS1_25partition_config_selectorILNS1_17partition_subalgoE6EiNS0_10empty_typeEbEEZZNS1_14partition_implILS5_6ELb0ES3_mN6thrust23THRUST_200600_302600_NS6detail15normal_iteratorINSA_10device_ptrIiEEEEPS6_SG_NS0_5tupleIJNSA_16discard_iteratorINSA_11use_defaultEEES6_EEENSH_IJSG_SG_EEES6_PlJNSB_9not_fun_tI7is_trueIiEEEEEE10hipError_tPvRmT3_T4_T5_T6_T7_T9_mT8_P12ihipStream_tbDpT10_ENKUlT_T0_E_clISt17integral_constantIbLb1EES1A_IbLb0EEEEDaS16_S17_EUlS16_E_NS1_11comp_targetILNS1_3genE8ELNS1_11target_archE1030ELNS1_3gpuE2ELNS1_3repE0EEENS1_30default_config_static_selectorELNS0_4arch9wavefront6targetE0EEEvT1_
		.amdhsa_group_segment_fixed_size 0
		.amdhsa_private_segment_fixed_size 0
		.amdhsa_kernarg_size 120
		.amdhsa_user_sgpr_count 2
		.amdhsa_user_sgpr_dispatch_ptr 0
		.amdhsa_user_sgpr_queue_ptr 0
		.amdhsa_user_sgpr_kernarg_segment_ptr 1
		.amdhsa_user_sgpr_dispatch_id 0
		.amdhsa_user_sgpr_private_segment_size 0
		.amdhsa_wavefront_size32 1
		.amdhsa_uses_dynamic_stack 0
		.amdhsa_enable_private_segment 0
		.amdhsa_system_sgpr_workgroup_id_x 1
		.amdhsa_system_sgpr_workgroup_id_y 0
		.amdhsa_system_sgpr_workgroup_id_z 0
		.amdhsa_system_sgpr_workgroup_info 0
		.amdhsa_system_vgpr_workitem_id 0
		.amdhsa_next_free_vgpr 1
		.amdhsa_next_free_sgpr 1
		.amdhsa_reserve_vcc 0
		.amdhsa_float_round_mode_32 0
		.amdhsa_float_round_mode_16_64 0
		.amdhsa_float_denorm_mode_32 3
		.amdhsa_float_denorm_mode_16_64 3
		.amdhsa_fp16_overflow 0
		.amdhsa_workgroup_processor_mode 1
		.amdhsa_memory_ordered 1
		.amdhsa_forward_progress 1
		.amdhsa_inst_pref_size 0
		.amdhsa_round_robin_scheduling 0
		.amdhsa_exception_fp_ieee_invalid_op 0
		.amdhsa_exception_fp_denorm_src 0
		.amdhsa_exception_fp_ieee_div_zero 0
		.amdhsa_exception_fp_ieee_overflow 0
		.amdhsa_exception_fp_ieee_underflow 0
		.amdhsa_exception_fp_ieee_inexact 0
		.amdhsa_exception_int_div_zero 0
	.end_amdhsa_kernel
	.section	.text._ZN7rocprim17ROCPRIM_400000_NS6detail17trampoline_kernelINS0_14default_configENS1_25partition_config_selectorILNS1_17partition_subalgoE6EiNS0_10empty_typeEbEEZZNS1_14partition_implILS5_6ELb0ES3_mN6thrust23THRUST_200600_302600_NS6detail15normal_iteratorINSA_10device_ptrIiEEEEPS6_SG_NS0_5tupleIJNSA_16discard_iteratorINSA_11use_defaultEEES6_EEENSH_IJSG_SG_EEES6_PlJNSB_9not_fun_tI7is_trueIiEEEEEE10hipError_tPvRmT3_T4_T5_T6_T7_T9_mT8_P12ihipStream_tbDpT10_ENKUlT_T0_E_clISt17integral_constantIbLb1EES1A_IbLb0EEEEDaS16_S17_EUlS16_E_NS1_11comp_targetILNS1_3genE8ELNS1_11target_archE1030ELNS1_3gpuE2ELNS1_3repE0EEENS1_30default_config_static_selectorELNS0_4arch9wavefront6targetE0EEEvT1_,"axG",@progbits,_ZN7rocprim17ROCPRIM_400000_NS6detail17trampoline_kernelINS0_14default_configENS1_25partition_config_selectorILNS1_17partition_subalgoE6EiNS0_10empty_typeEbEEZZNS1_14partition_implILS5_6ELb0ES3_mN6thrust23THRUST_200600_302600_NS6detail15normal_iteratorINSA_10device_ptrIiEEEEPS6_SG_NS0_5tupleIJNSA_16discard_iteratorINSA_11use_defaultEEES6_EEENSH_IJSG_SG_EEES6_PlJNSB_9not_fun_tI7is_trueIiEEEEEE10hipError_tPvRmT3_T4_T5_T6_T7_T9_mT8_P12ihipStream_tbDpT10_ENKUlT_T0_E_clISt17integral_constantIbLb1EES1A_IbLb0EEEEDaS16_S17_EUlS16_E_NS1_11comp_targetILNS1_3genE8ELNS1_11target_archE1030ELNS1_3gpuE2ELNS1_3repE0EEENS1_30default_config_static_selectorELNS0_4arch9wavefront6targetE0EEEvT1_,comdat
.Lfunc_end2292:
	.size	_ZN7rocprim17ROCPRIM_400000_NS6detail17trampoline_kernelINS0_14default_configENS1_25partition_config_selectorILNS1_17partition_subalgoE6EiNS0_10empty_typeEbEEZZNS1_14partition_implILS5_6ELb0ES3_mN6thrust23THRUST_200600_302600_NS6detail15normal_iteratorINSA_10device_ptrIiEEEEPS6_SG_NS0_5tupleIJNSA_16discard_iteratorINSA_11use_defaultEEES6_EEENSH_IJSG_SG_EEES6_PlJNSB_9not_fun_tI7is_trueIiEEEEEE10hipError_tPvRmT3_T4_T5_T6_T7_T9_mT8_P12ihipStream_tbDpT10_ENKUlT_T0_E_clISt17integral_constantIbLb1EES1A_IbLb0EEEEDaS16_S17_EUlS16_E_NS1_11comp_targetILNS1_3genE8ELNS1_11target_archE1030ELNS1_3gpuE2ELNS1_3repE0EEENS1_30default_config_static_selectorELNS0_4arch9wavefront6targetE0EEEvT1_, .Lfunc_end2292-_ZN7rocprim17ROCPRIM_400000_NS6detail17trampoline_kernelINS0_14default_configENS1_25partition_config_selectorILNS1_17partition_subalgoE6EiNS0_10empty_typeEbEEZZNS1_14partition_implILS5_6ELb0ES3_mN6thrust23THRUST_200600_302600_NS6detail15normal_iteratorINSA_10device_ptrIiEEEEPS6_SG_NS0_5tupleIJNSA_16discard_iteratorINSA_11use_defaultEEES6_EEENSH_IJSG_SG_EEES6_PlJNSB_9not_fun_tI7is_trueIiEEEEEE10hipError_tPvRmT3_T4_T5_T6_T7_T9_mT8_P12ihipStream_tbDpT10_ENKUlT_T0_E_clISt17integral_constantIbLb1EES1A_IbLb0EEEEDaS16_S17_EUlS16_E_NS1_11comp_targetILNS1_3genE8ELNS1_11target_archE1030ELNS1_3gpuE2ELNS1_3repE0EEENS1_30default_config_static_selectorELNS0_4arch9wavefront6targetE0EEEvT1_
                                        ; -- End function
	.set _ZN7rocprim17ROCPRIM_400000_NS6detail17trampoline_kernelINS0_14default_configENS1_25partition_config_selectorILNS1_17partition_subalgoE6EiNS0_10empty_typeEbEEZZNS1_14partition_implILS5_6ELb0ES3_mN6thrust23THRUST_200600_302600_NS6detail15normal_iteratorINSA_10device_ptrIiEEEEPS6_SG_NS0_5tupleIJNSA_16discard_iteratorINSA_11use_defaultEEES6_EEENSH_IJSG_SG_EEES6_PlJNSB_9not_fun_tI7is_trueIiEEEEEE10hipError_tPvRmT3_T4_T5_T6_T7_T9_mT8_P12ihipStream_tbDpT10_ENKUlT_T0_E_clISt17integral_constantIbLb1EES1A_IbLb0EEEEDaS16_S17_EUlS16_E_NS1_11comp_targetILNS1_3genE8ELNS1_11target_archE1030ELNS1_3gpuE2ELNS1_3repE0EEENS1_30default_config_static_selectorELNS0_4arch9wavefront6targetE0EEEvT1_.num_vgpr, 0
	.set _ZN7rocprim17ROCPRIM_400000_NS6detail17trampoline_kernelINS0_14default_configENS1_25partition_config_selectorILNS1_17partition_subalgoE6EiNS0_10empty_typeEbEEZZNS1_14partition_implILS5_6ELb0ES3_mN6thrust23THRUST_200600_302600_NS6detail15normal_iteratorINSA_10device_ptrIiEEEEPS6_SG_NS0_5tupleIJNSA_16discard_iteratorINSA_11use_defaultEEES6_EEENSH_IJSG_SG_EEES6_PlJNSB_9not_fun_tI7is_trueIiEEEEEE10hipError_tPvRmT3_T4_T5_T6_T7_T9_mT8_P12ihipStream_tbDpT10_ENKUlT_T0_E_clISt17integral_constantIbLb1EES1A_IbLb0EEEEDaS16_S17_EUlS16_E_NS1_11comp_targetILNS1_3genE8ELNS1_11target_archE1030ELNS1_3gpuE2ELNS1_3repE0EEENS1_30default_config_static_selectorELNS0_4arch9wavefront6targetE0EEEvT1_.num_agpr, 0
	.set _ZN7rocprim17ROCPRIM_400000_NS6detail17trampoline_kernelINS0_14default_configENS1_25partition_config_selectorILNS1_17partition_subalgoE6EiNS0_10empty_typeEbEEZZNS1_14partition_implILS5_6ELb0ES3_mN6thrust23THRUST_200600_302600_NS6detail15normal_iteratorINSA_10device_ptrIiEEEEPS6_SG_NS0_5tupleIJNSA_16discard_iteratorINSA_11use_defaultEEES6_EEENSH_IJSG_SG_EEES6_PlJNSB_9not_fun_tI7is_trueIiEEEEEE10hipError_tPvRmT3_T4_T5_T6_T7_T9_mT8_P12ihipStream_tbDpT10_ENKUlT_T0_E_clISt17integral_constantIbLb1EES1A_IbLb0EEEEDaS16_S17_EUlS16_E_NS1_11comp_targetILNS1_3genE8ELNS1_11target_archE1030ELNS1_3gpuE2ELNS1_3repE0EEENS1_30default_config_static_selectorELNS0_4arch9wavefront6targetE0EEEvT1_.numbered_sgpr, 0
	.set _ZN7rocprim17ROCPRIM_400000_NS6detail17trampoline_kernelINS0_14default_configENS1_25partition_config_selectorILNS1_17partition_subalgoE6EiNS0_10empty_typeEbEEZZNS1_14partition_implILS5_6ELb0ES3_mN6thrust23THRUST_200600_302600_NS6detail15normal_iteratorINSA_10device_ptrIiEEEEPS6_SG_NS0_5tupleIJNSA_16discard_iteratorINSA_11use_defaultEEES6_EEENSH_IJSG_SG_EEES6_PlJNSB_9not_fun_tI7is_trueIiEEEEEE10hipError_tPvRmT3_T4_T5_T6_T7_T9_mT8_P12ihipStream_tbDpT10_ENKUlT_T0_E_clISt17integral_constantIbLb1EES1A_IbLb0EEEEDaS16_S17_EUlS16_E_NS1_11comp_targetILNS1_3genE8ELNS1_11target_archE1030ELNS1_3gpuE2ELNS1_3repE0EEENS1_30default_config_static_selectorELNS0_4arch9wavefront6targetE0EEEvT1_.num_named_barrier, 0
	.set _ZN7rocprim17ROCPRIM_400000_NS6detail17trampoline_kernelINS0_14default_configENS1_25partition_config_selectorILNS1_17partition_subalgoE6EiNS0_10empty_typeEbEEZZNS1_14partition_implILS5_6ELb0ES3_mN6thrust23THRUST_200600_302600_NS6detail15normal_iteratorINSA_10device_ptrIiEEEEPS6_SG_NS0_5tupleIJNSA_16discard_iteratorINSA_11use_defaultEEES6_EEENSH_IJSG_SG_EEES6_PlJNSB_9not_fun_tI7is_trueIiEEEEEE10hipError_tPvRmT3_T4_T5_T6_T7_T9_mT8_P12ihipStream_tbDpT10_ENKUlT_T0_E_clISt17integral_constantIbLb1EES1A_IbLb0EEEEDaS16_S17_EUlS16_E_NS1_11comp_targetILNS1_3genE8ELNS1_11target_archE1030ELNS1_3gpuE2ELNS1_3repE0EEENS1_30default_config_static_selectorELNS0_4arch9wavefront6targetE0EEEvT1_.private_seg_size, 0
	.set _ZN7rocprim17ROCPRIM_400000_NS6detail17trampoline_kernelINS0_14default_configENS1_25partition_config_selectorILNS1_17partition_subalgoE6EiNS0_10empty_typeEbEEZZNS1_14partition_implILS5_6ELb0ES3_mN6thrust23THRUST_200600_302600_NS6detail15normal_iteratorINSA_10device_ptrIiEEEEPS6_SG_NS0_5tupleIJNSA_16discard_iteratorINSA_11use_defaultEEES6_EEENSH_IJSG_SG_EEES6_PlJNSB_9not_fun_tI7is_trueIiEEEEEE10hipError_tPvRmT3_T4_T5_T6_T7_T9_mT8_P12ihipStream_tbDpT10_ENKUlT_T0_E_clISt17integral_constantIbLb1EES1A_IbLb0EEEEDaS16_S17_EUlS16_E_NS1_11comp_targetILNS1_3genE8ELNS1_11target_archE1030ELNS1_3gpuE2ELNS1_3repE0EEENS1_30default_config_static_selectorELNS0_4arch9wavefront6targetE0EEEvT1_.uses_vcc, 0
	.set _ZN7rocprim17ROCPRIM_400000_NS6detail17trampoline_kernelINS0_14default_configENS1_25partition_config_selectorILNS1_17partition_subalgoE6EiNS0_10empty_typeEbEEZZNS1_14partition_implILS5_6ELb0ES3_mN6thrust23THRUST_200600_302600_NS6detail15normal_iteratorINSA_10device_ptrIiEEEEPS6_SG_NS0_5tupleIJNSA_16discard_iteratorINSA_11use_defaultEEES6_EEENSH_IJSG_SG_EEES6_PlJNSB_9not_fun_tI7is_trueIiEEEEEE10hipError_tPvRmT3_T4_T5_T6_T7_T9_mT8_P12ihipStream_tbDpT10_ENKUlT_T0_E_clISt17integral_constantIbLb1EES1A_IbLb0EEEEDaS16_S17_EUlS16_E_NS1_11comp_targetILNS1_3genE8ELNS1_11target_archE1030ELNS1_3gpuE2ELNS1_3repE0EEENS1_30default_config_static_selectorELNS0_4arch9wavefront6targetE0EEEvT1_.uses_flat_scratch, 0
	.set _ZN7rocprim17ROCPRIM_400000_NS6detail17trampoline_kernelINS0_14default_configENS1_25partition_config_selectorILNS1_17partition_subalgoE6EiNS0_10empty_typeEbEEZZNS1_14partition_implILS5_6ELb0ES3_mN6thrust23THRUST_200600_302600_NS6detail15normal_iteratorINSA_10device_ptrIiEEEEPS6_SG_NS0_5tupleIJNSA_16discard_iteratorINSA_11use_defaultEEES6_EEENSH_IJSG_SG_EEES6_PlJNSB_9not_fun_tI7is_trueIiEEEEEE10hipError_tPvRmT3_T4_T5_T6_T7_T9_mT8_P12ihipStream_tbDpT10_ENKUlT_T0_E_clISt17integral_constantIbLb1EES1A_IbLb0EEEEDaS16_S17_EUlS16_E_NS1_11comp_targetILNS1_3genE8ELNS1_11target_archE1030ELNS1_3gpuE2ELNS1_3repE0EEENS1_30default_config_static_selectorELNS0_4arch9wavefront6targetE0EEEvT1_.has_dyn_sized_stack, 0
	.set _ZN7rocprim17ROCPRIM_400000_NS6detail17trampoline_kernelINS0_14default_configENS1_25partition_config_selectorILNS1_17partition_subalgoE6EiNS0_10empty_typeEbEEZZNS1_14partition_implILS5_6ELb0ES3_mN6thrust23THRUST_200600_302600_NS6detail15normal_iteratorINSA_10device_ptrIiEEEEPS6_SG_NS0_5tupleIJNSA_16discard_iteratorINSA_11use_defaultEEES6_EEENSH_IJSG_SG_EEES6_PlJNSB_9not_fun_tI7is_trueIiEEEEEE10hipError_tPvRmT3_T4_T5_T6_T7_T9_mT8_P12ihipStream_tbDpT10_ENKUlT_T0_E_clISt17integral_constantIbLb1EES1A_IbLb0EEEEDaS16_S17_EUlS16_E_NS1_11comp_targetILNS1_3genE8ELNS1_11target_archE1030ELNS1_3gpuE2ELNS1_3repE0EEENS1_30default_config_static_selectorELNS0_4arch9wavefront6targetE0EEEvT1_.has_recursion, 0
	.set _ZN7rocprim17ROCPRIM_400000_NS6detail17trampoline_kernelINS0_14default_configENS1_25partition_config_selectorILNS1_17partition_subalgoE6EiNS0_10empty_typeEbEEZZNS1_14partition_implILS5_6ELb0ES3_mN6thrust23THRUST_200600_302600_NS6detail15normal_iteratorINSA_10device_ptrIiEEEEPS6_SG_NS0_5tupleIJNSA_16discard_iteratorINSA_11use_defaultEEES6_EEENSH_IJSG_SG_EEES6_PlJNSB_9not_fun_tI7is_trueIiEEEEEE10hipError_tPvRmT3_T4_T5_T6_T7_T9_mT8_P12ihipStream_tbDpT10_ENKUlT_T0_E_clISt17integral_constantIbLb1EES1A_IbLb0EEEEDaS16_S17_EUlS16_E_NS1_11comp_targetILNS1_3genE8ELNS1_11target_archE1030ELNS1_3gpuE2ELNS1_3repE0EEENS1_30default_config_static_selectorELNS0_4arch9wavefront6targetE0EEEvT1_.has_indirect_call, 0
	.section	.AMDGPU.csdata,"",@progbits
; Kernel info:
; codeLenInByte = 0
; TotalNumSgprs: 0
; NumVgprs: 0
; ScratchSize: 0
; MemoryBound: 0
; FloatMode: 240
; IeeeMode: 1
; LDSByteSize: 0 bytes/workgroup (compile time only)
; SGPRBlocks: 0
; VGPRBlocks: 0
; NumSGPRsForWavesPerEU: 1
; NumVGPRsForWavesPerEU: 1
; Occupancy: 16
; WaveLimiterHint : 0
; COMPUTE_PGM_RSRC2:SCRATCH_EN: 0
; COMPUTE_PGM_RSRC2:USER_SGPR: 2
; COMPUTE_PGM_RSRC2:TRAP_HANDLER: 0
; COMPUTE_PGM_RSRC2:TGID_X_EN: 1
; COMPUTE_PGM_RSRC2:TGID_Y_EN: 0
; COMPUTE_PGM_RSRC2:TGID_Z_EN: 0
; COMPUTE_PGM_RSRC2:TIDIG_COMP_CNT: 0
	.section	.text._ZN7rocprim17ROCPRIM_400000_NS6detail17trampoline_kernelINS0_14default_configENS1_25partition_config_selectorILNS1_17partition_subalgoE6EiNS0_10empty_typeEbEEZZNS1_14partition_implILS5_6ELb0ES3_mN6thrust23THRUST_200600_302600_NS6detail15normal_iteratorINSA_10device_ptrIiEEEEPS6_SG_NS0_5tupleIJNSA_16discard_iteratorINSA_11use_defaultEEES6_EEENSH_IJSG_SG_EEES6_PlJNSB_9not_fun_tI7is_trueIiEEEEEE10hipError_tPvRmT3_T4_T5_T6_T7_T9_mT8_P12ihipStream_tbDpT10_ENKUlT_T0_E_clISt17integral_constantIbLb0EES1A_IbLb1EEEEDaS16_S17_EUlS16_E_NS1_11comp_targetILNS1_3genE0ELNS1_11target_archE4294967295ELNS1_3gpuE0ELNS1_3repE0EEENS1_30default_config_static_selectorELNS0_4arch9wavefront6targetE0EEEvT1_,"axG",@progbits,_ZN7rocprim17ROCPRIM_400000_NS6detail17trampoline_kernelINS0_14default_configENS1_25partition_config_selectorILNS1_17partition_subalgoE6EiNS0_10empty_typeEbEEZZNS1_14partition_implILS5_6ELb0ES3_mN6thrust23THRUST_200600_302600_NS6detail15normal_iteratorINSA_10device_ptrIiEEEEPS6_SG_NS0_5tupleIJNSA_16discard_iteratorINSA_11use_defaultEEES6_EEENSH_IJSG_SG_EEES6_PlJNSB_9not_fun_tI7is_trueIiEEEEEE10hipError_tPvRmT3_T4_T5_T6_T7_T9_mT8_P12ihipStream_tbDpT10_ENKUlT_T0_E_clISt17integral_constantIbLb0EES1A_IbLb1EEEEDaS16_S17_EUlS16_E_NS1_11comp_targetILNS1_3genE0ELNS1_11target_archE4294967295ELNS1_3gpuE0ELNS1_3repE0EEENS1_30default_config_static_selectorELNS0_4arch9wavefront6targetE0EEEvT1_,comdat
	.protected	_ZN7rocprim17ROCPRIM_400000_NS6detail17trampoline_kernelINS0_14default_configENS1_25partition_config_selectorILNS1_17partition_subalgoE6EiNS0_10empty_typeEbEEZZNS1_14partition_implILS5_6ELb0ES3_mN6thrust23THRUST_200600_302600_NS6detail15normal_iteratorINSA_10device_ptrIiEEEEPS6_SG_NS0_5tupleIJNSA_16discard_iteratorINSA_11use_defaultEEES6_EEENSH_IJSG_SG_EEES6_PlJNSB_9not_fun_tI7is_trueIiEEEEEE10hipError_tPvRmT3_T4_T5_T6_T7_T9_mT8_P12ihipStream_tbDpT10_ENKUlT_T0_E_clISt17integral_constantIbLb0EES1A_IbLb1EEEEDaS16_S17_EUlS16_E_NS1_11comp_targetILNS1_3genE0ELNS1_11target_archE4294967295ELNS1_3gpuE0ELNS1_3repE0EEENS1_30default_config_static_selectorELNS0_4arch9wavefront6targetE0EEEvT1_ ; -- Begin function _ZN7rocprim17ROCPRIM_400000_NS6detail17trampoline_kernelINS0_14default_configENS1_25partition_config_selectorILNS1_17partition_subalgoE6EiNS0_10empty_typeEbEEZZNS1_14partition_implILS5_6ELb0ES3_mN6thrust23THRUST_200600_302600_NS6detail15normal_iteratorINSA_10device_ptrIiEEEEPS6_SG_NS0_5tupleIJNSA_16discard_iteratorINSA_11use_defaultEEES6_EEENSH_IJSG_SG_EEES6_PlJNSB_9not_fun_tI7is_trueIiEEEEEE10hipError_tPvRmT3_T4_T5_T6_T7_T9_mT8_P12ihipStream_tbDpT10_ENKUlT_T0_E_clISt17integral_constantIbLb0EES1A_IbLb1EEEEDaS16_S17_EUlS16_E_NS1_11comp_targetILNS1_3genE0ELNS1_11target_archE4294967295ELNS1_3gpuE0ELNS1_3repE0EEENS1_30default_config_static_selectorELNS0_4arch9wavefront6targetE0EEEvT1_
	.globl	_ZN7rocprim17ROCPRIM_400000_NS6detail17trampoline_kernelINS0_14default_configENS1_25partition_config_selectorILNS1_17partition_subalgoE6EiNS0_10empty_typeEbEEZZNS1_14partition_implILS5_6ELb0ES3_mN6thrust23THRUST_200600_302600_NS6detail15normal_iteratorINSA_10device_ptrIiEEEEPS6_SG_NS0_5tupleIJNSA_16discard_iteratorINSA_11use_defaultEEES6_EEENSH_IJSG_SG_EEES6_PlJNSB_9not_fun_tI7is_trueIiEEEEEE10hipError_tPvRmT3_T4_T5_T6_T7_T9_mT8_P12ihipStream_tbDpT10_ENKUlT_T0_E_clISt17integral_constantIbLb0EES1A_IbLb1EEEEDaS16_S17_EUlS16_E_NS1_11comp_targetILNS1_3genE0ELNS1_11target_archE4294967295ELNS1_3gpuE0ELNS1_3repE0EEENS1_30default_config_static_selectorELNS0_4arch9wavefront6targetE0EEEvT1_
	.p2align	8
	.type	_ZN7rocprim17ROCPRIM_400000_NS6detail17trampoline_kernelINS0_14default_configENS1_25partition_config_selectorILNS1_17partition_subalgoE6EiNS0_10empty_typeEbEEZZNS1_14partition_implILS5_6ELb0ES3_mN6thrust23THRUST_200600_302600_NS6detail15normal_iteratorINSA_10device_ptrIiEEEEPS6_SG_NS0_5tupleIJNSA_16discard_iteratorINSA_11use_defaultEEES6_EEENSH_IJSG_SG_EEES6_PlJNSB_9not_fun_tI7is_trueIiEEEEEE10hipError_tPvRmT3_T4_T5_T6_T7_T9_mT8_P12ihipStream_tbDpT10_ENKUlT_T0_E_clISt17integral_constantIbLb0EES1A_IbLb1EEEEDaS16_S17_EUlS16_E_NS1_11comp_targetILNS1_3genE0ELNS1_11target_archE4294967295ELNS1_3gpuE0ELNS1_3repE0EEENS1_30default_config_static_selectorELNS0_4arch9wavefront6targetE0EEEvT1_,@function
_ZN7rocprim17ROCPRIM_400000_NS6detail17trampoline_kernelINS0_14default_configENS1_25partition_config_selectorILNS1_17partition_subalgoE6EiNS0_10empty_typeEbEEZZNS1_14partition_implILS5_6ELb0ES3_mN6thrust23THRUST_200600_302600_NS6detail15normal_iteratorINSA_10device_ptrIiEEEEPS6_SG_NS0_5tupleIJNSA_16discard_iteratorINSA_11use_defaultEEES6_EEENSH_IJSG_SG_EEES6_PlJNSB_9not_fun_tI7is_trueIiEEEEEE10hipError_tPvRmT3_T4_T5_T6_T7_T9_mT8_P12ihipStream_tbDpT10_ENKUlT_T0_E_clISt17integral_constantIbLb0EES1A_IbLb1EEEEDaS16_S17_EUlS16_E_NS1_11comp_targetILNS1_3genE0ELNS1_11target_archE4294967295ELNS1_3gpuE0ELNS1_3repE0EEENS1_30default_config_static_selectorELNS0_4arch9wavefront6targetE0EEEvT1_: ; @_ZN7rocprim17ROCPRIM_400000_NS6detail17trampoline_kernelINS0_14default_configENS1_25partition_config_selectorILNS1_17partition_subalgoE6EiNS0_10empty_typeEbEEZZNS1_14partition_implILS5_6ELb0ES3_mN6thrust23THRUST_200600_302600_NS6detail15normal_iteratorINSA_10device_ptrIiEEEEPS6_SG_NS0_5tupleIJNSA_16discard_iteratorINSA_11use_defaultEEES6_EEENSH_IJSG_SG_EEES6_PlJNSB_9not_fun_tI7is_trueIiEEEEEE10hipError_tPvRmT3_T4_T5_T6_T7_T9_mT8_P12ihipStream_tbDpT10_ENKUlT_T0_E_clISt17integral_constantIbLb0EES1A_IbLb1EEEEDaS16_S17_EUlS16_E_NS1_11comp_targetILNS1_3genE0ELNS1_11target_archE4294967295ELNS1_3gpuE0ELNS1_3repE0EEENS1_30default_config_static_selectorELNS0_4arch9wavefront6targetE0EEEvT1_
; %bb.0:
	.section	.rodata,"a",@progbits
	.p2align	6, 0x0
	.amdhsa_kernel _ZN7rocprim17ROCPRIM_400000_NS6detail17trampoline_kernelINS0_14default_configENS1_25partition_config_selectorILNS1_17partition_subalgoE6EiNS0_10empty_typeEbEEZZNS1_14partition_implILS5_6ELb0ES3_mN6thrust23THRUST_200600_302600_NS6detail15normal_iteratorINSA_10device_ptrIiEEEEPS6_SG_NS0_5tupleIJNSA_16discard_iteratorINSA_11use_defaultEEES6_EEENSH_IJSG_SG_EEES6_PlJNSB_9not_fun_tI7is_trueIiEEEEEE10hipError_tPvRmT3_T4_T5_T6_T7_T9_mT8_P12ihipStream_tbDpT10_ENKUlT_T0_E_clISt17integral_constantIbLb0EES1A_IbLb1EEEEDaS16_S17_EUlS16_E_NS1_11comp_targetILNS1_3genE0ELNS1_11target_archE4294967295ELNS1_3gpuE0ELNS1_3repE0EEENS1_30default_config_static_selectorELNS0_4arch9wavefront6targetE0EEEvT1_
		.amdhsa_group_segment_fixed_size 0
		.amdhsa_private_segment_fixed_size 0
		.amdhsa_kernarg_size 136
		.amdhsa_user_sgpr_count 2
		.amdhsa_user_sgpr_dispatch_ptr 0
		.amdhsa_user_sgpr_queue_ptr 0
		.amdhsa_user_sgpr_kernarg_segment_ptr 1
		.amdhsa_user_sgpr_dispatch_id 0
		.amdhsa_user_sgpr_private_segment_size 0
		.amdhsa_wavefront_size32 1
		.amdhsa_uses_dynamic_stack 0
		.amdhsa_enable_private_segment 0
		.amdhsa_system_sgpr_workgroup_id_x 1
		.amdhsa_system_sgpr_workgroup_id_y 0
		.amdhsa_system_sgpr_workgroup_id_z 0
		.amdhsa_system_sgpr_workgroup_info 0
		.amdhsa_system_vgpr_workitem_id 0
		.amdhsa_next_free_vgpr 1
		.amdhsa_next_free_sgpr 1
		.amdhsa_reserve_vcc 0
		.amdhsa_float_round_mode_32 0
		.amdhsa_float_round_mode_16_64 0
		.amdhsa_float_denorm_mode_32 3
		.amdhsa_float_denorm_mode_16_64 3
		.amdhsa_fp16_overflow 0
		.amdhsa_workgroup_processor_mode 1
		.amdhsa_memory_ordered 1
		.amdhsa_forward_progress 1
		.amdhsa_inst_pref_size 0
		.amdhsa_round_robin_scheduling 0
		.amdhsa_exception_fp_ieee_invalid_op 0
		.amdhsa_exception_fp_denorm_src 0
		.amdhsa_exception_fp_ieee_div_zero 0
		.amdhsa_exception_fp_ieee_overflow 0
		.amdhsa_exception_fp_ieee_underflow 0
		.amdhsa_exception_fp_ieee_inexact 0
		.amdhsa_exception_int_div_zero 0
	.end_amdhsa_kernel
	.section	.text._ZN7rocprim17ROCPRIM_400000_NS6detail17trampoline_kernelINS0_14default_configENS1_25partition_config_selectorILNS1_17partition_subalgoE6EiNS0_10empty_typeEbEEZZNS1_14partition_implILS5_6ELb0ES3_mN6thrust23THRUST_200600_302600_NS6detail15normal_iteratorINSA_10device_ptrIiEEEEPS6_SG_NS0_5tupleIJNSA_16discard_iteratorINSA_11use_defaultEEES6_EEENSH_IJSG_SG_EEES6_PlJNSB_9not_fun_tI7is_trueIiEEEEEE10hipError_tPvRmT3_T4_T5_T6_T7_T9_mT8_P12ihipStream_tbDpT10_ENKUlT_T0_E_clISt17integral_constantIbLb0EES1A_IbLb1EEEEDaS16_S17_EUlS16_E_NS1_11comp_targetILNS1_3genE0ELNS1_11target_archE4294967295ELNS1_3gpuE0ELNS1_3repE0EEENS1_30default_config_static_selectorELNS0_4arch9wavefront6targetE0EEEvT1_,"axG",@progbits,_ZN7rocprim17ROCPRIM_400000_NS6detail17trampoline_kernelINS0_14default_configENS1_25partition_config_selectorILNS1_17partition_subalgoE6EiNS0_10empty_typeEbEEZZNS1_14partition_implILS5_6ELb0ES3_mN6thrust23THRUST_200600_302600_NS6detail15normal_iteratorINSA_10device_ptrIiEEEEPS6_SG_NS0_5tupleIJNSA_16discard_iteratorINSA_11use_defaultEEES6_EEENSH_IJSG_SG_EEES6_PlJNSB_9not_fun_tI7is_trueIiEEEEEE10hipError_tPvRmT3_T4_T5_T6_T7_T9_mT8_P12ihipStream_tbDpT10_ENKUlT_T0_E_clISt17integral_constantIbLb0EES1A_IbLb1EEEEDaS16_S17_EUlS16_E_NS1_11comp_targetILNS1_3genE0ELNS1_11target_archE4294967295ELNS1_3gpuE0ELNS1_3repE0EEENS1_30default_config_static_selectorELNS0_4arch9wavefront6targetE0EEEvT1_,comdat
.Lfunc_end2293:
	.size	_ZN7rocprim17ROCPRIM_400000_NS6detail17trampoline_kernelINS0_14default_configENS1_25partition_config_selectorILNS1_17partition_subalgoE6EiNS0_10empty_typeEbEEZZNS1_14partition_implILS5_6ELb0ES3_mN6thrust23THRUST_200600_302600_NS6detail15normal_iteratorINSA_10device_ptrIiEEEEPS6_SG_NS0_5tupleIJNSA_16discard_iteratorINSA_11use_defaultEEES6_EEENSH_IJSG_SG_EEES6_PlJNSB_9not_fun_tI7is_trueIiEEEEEE10hipError_tPvRmT3_T4_T5_T6_T7_T9_mT8_P12ihipStream_tbDpT10_ENKUlT_T0_E_clISt17integral_constantIbLb0EES1A_IbLb1EEEEDaS16_S17_EUlS16_E_NS1_11comp_targetILNS1_3genE0ELNS1_11target_archE4294967295ELNS1_3gpuE0ELNS1_3repE0EEENS1_30default_config_static_selectorELNS0_4arch9wavefront6targetE0EEEvT1_, .Lfunc_end2293-_ZN7rocprim17ROCPRIM_400000_NS6detail17trampoline_kernelINS0_14default_configENS1_25partition_config_selectorILNS1_17partition_subalgoE6EiNS0_10empty_typeEbEEZZNS1_14partition_implILS5_6ELb0ES3_mN6thrust23THRUST_200600_302600_NS6detail15normal_iteratorINSA_10device_ptrIiEEEEPS6_SG_NS0_5tupleIJNSA_16discard_iteratorINSA_11use_defaultEEES6_EEENSH_IJSG_SG_EEES6_PlJNSB_9not_fun_tI7is_trueIiEEEEEE10hipError_tPvRmT3_T4_T5_T6_T7_T9_mT8_P12ihipStream_tbDpT10_ENKUlT_T0_E_clISt17integral_constantIbLb0EES1A_IbLb1EEEEDaS16_S17_EUlS16_E_NS1_11comp_targetILNS1_3genE0ELNS1_11target_archE4294967295ELNS1_3gpuE0ELNS1_3repE0EEENS1_30default_config_static_selectorELNS0_4arch9wavefront6targetE0EEEvT1_
                                        ; -- End function
	.set _ZN7rocprim17ROCPRIM_400000_NS6detail17trampoline_kernelINS0_14default_configENS1_25partition_config_selectorILNS1_17partition_subalgoE6EiNS0_10empty_typeEbEEZZNS1_14partition_implILS5_6ELb0ES3_mN6thrust23THRUST_200600_302600_NS6detail15normal_iteratorINSA_10device_ptrIiEEEEPS6_SG_NS0_5tupleIJNSA_16discard_iteratorINSA_11use_defaultEEES6_EEENSH_IJSG_SG_EEES6_PlJNSB_9not_fun_tI7is_trueIiEEEEEE10hipError_tPvRmT3_T4_T5_T6_T7_T9_mT8_P12ihipStream_tbDpT10_ENKUlT_T0_E_clISt17integral_constantIbLb0EES1A_IbLb1EEEEDaS16_S17_EUlS16_E_NS1_11comp_targetILNS1_3genE0ELNS1_11target_archE4294967295ELNS1_3gpuE0ELNS1_3repE0EEENS1_30default_config_static_selectorELNS0_4arch9wavefront6targetE0EEEvT1_.num_vgpr, 0
	.set _ZN7rocprim17ROCPRIM_400000_NS6detail17trampoline_kernelINS0_14default_configENS1_25partition_config_selectorILNS1_17partition_subalgoE6EiNS0_10empty_typeEbEEZZNS1_14partition_implILS5_6ELb0ES3_mN6thrust23THRUST_200600_302600_NS6detail15normal_iteratorINSA_10device_ptrIiEEEEPS6_SG_NS0_5tupleIJNSA_16discard_iteratorINSA_11use_defaultEEES6_EEENSH_IJSG_SG_EEES6_PlJNSB_9not_fun_tI7is_trueIiEEEEEE10hipError_tPvRmT3_T4_T5_T6_T7_T9_mT8_P12ihipStream_tbDpT10_ENKUlT_T0_E_clISt17integral_constantIbLb0EES1A_IbLb1EEEEDaS16_S17_EUlS16_E_NS1_11comp_targetILNS1_3genE0ELNS1_11target_archE4294967295ELNS1_3gpuE0ELNS1_3repE0EEENS1_30default_config_static_selectorELNS0_4arch9wavefront6targetE0EEEvT1_.num_agpr, 0
	.set _ZN7rocprim17ROCPRIM_400000_NS6detail17trampoline_kernelINS0_14default_configENS1_25partition_config_selectorILNS1_17partition_subalgoE6EiNS0_10empty_typeEbEEZZNS1_14partition_implILS5_6ELb0ES3_mN6thrust23THRUST_200600_302600_NS6detail15normal_iteratorINSA_10device_ptrIiEEEEPS6_SG_NS0_5tupleIJNSA_16discard_iteratorINSA_11use_defaultEEES6_EEENSH_IJSG_SG_EEES6_PlJNSB_9not_fun_tI7is_trueIiEEEEEE10hipError_tPvRmT3_T4_T5_T6_T7_T9_mT8_P12ihipStream_tbDpT10_ENKUlT_T0_E_clISt17integral_constantIbLb0EES1A_IbLb1EEEEDaS16_S17_EUlS16_E_NS1_11comp_targetILNS1_3genE0ELNS1_11target_archE4294967295ELNS1_3gpuE0ELNS1_3repE0EEENS1_30default_config_static_selectorELNS0_4arch9wavefront6targetE0EEEvT1_.numbered_sgpr, 0
	.set _ZN7rocprim17ROCPRIM_400000_NS6detail17trampoline_kernelINS0_14default_configENS1_25partition_config_selectorILNS1_17partition_subalgoE6EiNS0_10empty_typeEbEEZZNS1_14partition_implILS5_6ELb0ES3_mN6thrust23THRUST_200600_302600_NS6detail15normal_iteratorINSA_10device_ptrIiEEEEPS6_SG_NS0_5tupleIJNSA_16discard_iteratorINSA_11use_defaultEEES6_EEENSH_IJSG_SG_EEES6_PlJNSB_9not_fun_tI7is_trueIiEEEEEE10hipError_tPvRmT3_T4_T5_T6_T7_T9_mT8_P12ihipStream_tbDpT10_ENKUlT_T0_E_clISt17integral_constantIbLb0EES1A_IbLb1EEEEDaS16_S17_EUlS16_E_NS1_11comp_targetILNS1_3genE0ELNS1_11target_archE4294967295ELNS1_3gpuE0ELNS1_3repE0EEENS1_30default_config_static_selectorELNS0_4arch9wavefront6targetE0EEEvT1_.num_named_barrier, 0
	.set _ZN7rocprim17ROCPRIM_400000_NS6detail17trampoline_kernelINS0_14default_configENS1_25partition_config_selectorILNS1_17partition_subalgoE6EiNS0_10empty_typeEbEEZZNS1_14partition_implILS5_6ELb0ES3_mN6thrust23THRUST_200600_302600_NS6detail15normal_iteratorINSA_10device_ptrIiEEEEPS6_SG_NS0_5tupleIJNSA_16discard_iteratorINSA_11use_defaultEEES6_EEENSH_IJSG_SG_EEES6_PlJNSB_9not_fun_tI7is_trueIiEEEEEE10hipError_tPvRmT3_T4_T5_T6_T7_T9_mT8_P12ihipStream_tbDpT10_ENKUlT_T0_E_clISt17integral_constantIbLb0EES1A_IbLb1EEEEDaS16_S17_EUlS16_E_NS1_11comp_targetILNS1_3genE0ELNS1_11target_archE4294967295ELNS1_3gpuE0ELNS1_3repE0EEENS1_30default_config_static_selectorELNS0_4arch9wavefront6targetE0EEEvT1_.private_seg_size, 0
	.set _ZN7rocprim17ROCPRIM_400000_NS6detail17trampoline_kernelINS0_14default_configENS1_25partition_config_selectorILNS1_17partition_subalgoE6EiNS0_10empty_typeEbEEZZNS1_14partition_implILS5_6ELb0ES3_mN6thrust23THRUST_200600_302600_NS6detail15normal_iteratorINSA_10device_ptrIiEEEEPS6_SG_NS0_5tupleIJNSA_16discard_iteratorINSA_11use_defaultEEES6_EEENSH_IJSG_SG_EEES6_PlJNSB_9not_fun_tI7is_trueIiEEEEEE10hipError_tPvRmT3_T4_T5_T6_T7_T9_mT8_P12ihipStream_tbDpT10_ENKUlT_T0_E_clISt17integral_constantIbLb0EES1A_IbLb1EEEEDaS16_S17_EUlS16_E_NS1_11comp_targetILNS1_3genE0ELNS1_11target_archE4294967295ELNS1_3gpuE0ELNS1_3repE0EEENS1_30default_config_static_selectorELNS0_4arch9wavefront6targetE0EEEvT1_.uses_vcc, 0
	.set _ZN7rocprim17ROCPRIM_400000_NS6detail17trampoline_kernelINS0_14default_configENS1_25partition_config_selectorILNS1_17partition_subalgoE6EiNS0_10empty_typeEbEEZZNS1_14partition_implILS5_6ELb0ES3_mN6thrust23THRUST_200600_302600_NS6detail15normal_iteratorINSA_10device_ptrIiEEEEPS6_SG_NS0_5tupleIJNSA_16discard_iteratorINSA_11use_defaultEEES6_EEENSH_IJSG_SG_EEES6_PlJNSB_9not_fun_tI7is_trueIiEEEEEE10hipError_tPvRmT3_T4_T5_T6_T7_T9_mT8_P12ihipStream_tbDpT10_ENKUlT_T0_E_clISt17integral_constantIbLb0EES1A_IbLb1EEEEDaS16_S17_EUlS16_E_NS1_11comp_targetILNS1_3genE0ELNS1_11target_archE4294967295ELNS1_3gpuE0ELNS1_3repE0EEENS1_30default_config_static_selectorELNS0_4arch9wavefront6targetE0EEEvT1_.uses_flat_scratch, 0
	.set _ZN7rocprim17ROCPRIM_400000_NS6detail17trampoline_kernelINS0_14default_configENS1_25partition_config_selectorILNS1_17partition_subalgoE6EiNS0_10empty_typeEbEEZZNS1_14partition_implILS5_6ELb0ES3_mN6thrust23THRUST_200600_302600_NS6detail15normal_iteratorINSA_10device_ptrIiEEEEPS6_SG_NS0_5tupleIJNSA_16discard_iteratorINSA_11use_defaultEEES6_EEENSH_IJSG_SG_EEES6_PlJNSB_9not_fun_tI7is_trueIiEEEEEE10hipError_tPvRmT3_T4_T5_T6_T7_T9_mT8_P12ihipStream_tbDpT10_ENKUlT_T0_E_clISt17integral_constantIbLb0EES1A_IbLb1EEEEDaS16_S17_EUlS16_E_NS1_11comp_targetILNS1_3genE0ELNS1_11target_archE4294967295ELNS1_3gpuE0ELNS1_3repE0EEENS1_30default_config_static_selectorELNS0_4arch9wavefront6targetE0EEEvT1_.has_dyn_sized_stack, 0
	.set _ZN7rocprim17ROCPRIM_400000_NS6detail17trampoline_kernelINS0_14default_configENS1_25partition_config_selectorILNS1_17partition_subalgoE6EiNS0_10empty_typeEbEEZZNS1_14partition_implILS5_6ELb0ES3_mN6thrust23THRUST_200600_302600_NS6detail15normal_iteratorINSA_10device_ptrIiEEEEPS6_SG_NS0_5tupleIJNSA_16discard_iteratorINSA_11use_defaultEEES6_EEENSH_IJSG_SG_EEES6_PlJNSB_9not_fun_tI7is_trueIiEEEEEE10hipError_tPvRmT3_T4_T5_T6_T7_T9_mT8_P12ihipStream_tbDpT10_ENKUlT_T0_E_clISt17integral_constantIbLb0EES1A_IbLb1EEEEDaS16_S17_EUlS16_E_NS1_11comp_targetILNS1_3genE0ELNS1_11target_archE4294967295ELNS1_3gpuE0ELNS1_3repE0EEENS1_30default_config_static_selectorELNS0_4arch9wavefront6targetE0EEEvT1_.has_recursion, 0
	.set _ZN7rocprim17ROCPRIM_400000_NS6detail17trampoline_kernelINS0_14default_configENS1_25partition_config_selectorILNS1_17partition_subalgoE6EiNS0_10empty_typeEbEEZZNS1_14partition_implILS5_6ELb0ES3_mN6thrust23THRUST_200600_302600_NS6detail15normal_iteratorINSA_10device_ptrIiEEEEPS6_SG_NS0_5tupleIJNSA_16discard_iteratorINSA_11use_defaultEEES6_EEENSH_IJSG_SG_EEES6_PlJNSB_9not_fun_tI7is_trueIiEEEEEE10hipError_tPvRmT3_T4_T5_T6_T7_T9_mT8_P12ihipStream_tbDpT10_ENKUlT_T0_E_clISt17integral_constantIbLb0EES1A_IbLb1EEEEDaS16_S17_EUlS16_E_NS1_11comp_targetILNS1_3genE0ELNS1_11target_archE4294967295ELNS1_3gpuE0ELNS1_3repE0EEENS1_30default_config_static_selectorELNS0_4arch9wavefront6targetE0EEEvT1_.has_indirect_call, 0
	.section	.AMDGPU.csdata,"",@progbits
; Kernel info:
; codeLenInByte = 0
; TotalNumSgprs: 0
; NumVgprs: 0
; ScratchSize: 0
; MemoryBound: 0
; FloatMode: 240
; IeeeMode: 1
; LDSByteSize: 0 bytes/workgroup (compile time only)
; SGPRBlocks: 0
; VGPRBlocks: 0
; NumSGPRsForWavesPerEU: 1
; NumVGPRsForWavesPerEU: 1
; Occupancy: 16
; WaveLimiterHint : 0
; COMPUTE_PGM_RSRC2:SCRATCH_EN: 0
; COMPUTE_PGM_RSRC2:USER_SGPR: 2
; COMPUTE_PGM_RSRC2:TRAP_HANDLER: 0
; COMPUTE_PGM_RSRC2:TGID_X_EN: 1
; COMPUTE_PGM_RSRC2:TGID_Y_EN: 0
; COMPUTE_PGM_RSRC2:TGID_Z_EN: 0
; COMPUTE_PGM_RSRC2:TIDIG_COMP_CNT: 0
	.section	.text._ZN7rocprim17ROCPRIM_400000_NS6detail17trampoline_kernelINS0_14default_configENS1_25partition_config_selectorILNS1_17partition_subalgoE6EiNS0_10empty_typeEbEEZZNS1_14partition_implILS5_6ELb0ES3_mN6thrust23THRUST_200600_302600_NS6detail15normal_iteratorINSA_10device_ptrIiEEEEPS6_SG_NS0_5tupleIJNSA_16discard_iteratorINSA_11use_defaultEEES6_EEENSH_IJSG_SG_EEES6_PlJNSB_9not_fun_tI7is_trueIiEEEEEE10hipError_tPvRmT3_T4_T5_T6_T7_T9_mT8_P12ihipStream_tbDpT10_ENKUlT_T0_E_clISt17integral_constantIbLb0EES1A_IbLb1EEEEDaS16_S17_EUlS16_E_NS1_11comp_targetILNS1_3genE5ELNS1_11target_archE942ELNS1_3gpuE9ELNS1_3repE0EEENS1_30default_config_static_selectorELNS0_4arch9wavefront6targetE0EEEvT1_,"axG",@progbits,_ZN7rocprim17ROCPRIM_400000_NS6detail17trampoline_kernelINS0_14default_configENS1_25partition_config_selectorILNS1_17partition_subalgoE6EiNS0_10empty_typeEbEEZZNS1_14partition_implILS5_6ELb0ES3_mN6thrust23THRUST_200600_302600_NS6detail15normal_iteratorINSA_10device_ptrIiEEEEPS6_SG_NS0_5tupleIJNSA_16discard_iteratorINSA_11use_defaultEEES6_EEENSH_IJSG_SG_EEES6_PlJNSB_9not_fun_tI7is_trueIiEEEEEE10hipError_tPvRmT3_T4_T5_T6_T7_T9_mT8_P12ihipStream_tbDpT10_ENKUlT_T0_E_clISt17integral_constantIbLb0EES1A_IbLb1EEEEDaS16_S17_EUlS16_E_NS1_11comp_targetILNS1_3genE5ELNS1_11target_archE942ELNS1_3gpuE9ELNS1_3repE0EEENS1_30default_config_static_selectorELNS0_4arch9wavefront6targetE0EEEvT1_,comdat
	.protected	_ZN7rocprim17ROCPRIM_400000_NS6detail17trampoline_kernelINS0_14default_configENS1_25partition_config_selectorILNS1_17partition_subalgoE6EiNS0_10empty_typeEbEEZZNS1_14partition_implILS5_6ELb0ES3_mN6thrust23THRUST_200600_302600_NS6detail15normal_iteratorINSA_10device_ptrIiEEEEPS6_SG_NS0_5tupleIJNSA_16discard_iteratorINSA_11use_defaultEEES6_EEENSH_IJSG_SG_EEES6_PlJNSB_9not_fun_tI7is_trueIiEEEEEE10hipError_tPvRmT3_T4_T5_T6_T7_T9_mT8_P12ihipStream_tbDpT10_ENKUlT_T0_E_clISt17integral_constantIbLb0EES1A_IbLb1EEEEDaS16_S17_EUlS16_E_NS1_11comp_targetILNS1_3genE5ELNS1_11target_archE942ELNS1_3gpuE9ELNS1_3repE0EEENS1_30default_config_static_selectorELNS0_4arch9wavefront6targetE0EEEvT1_ ; -- Begin function _ZN7rocprim17ROCPRIM_400000_NS6detail17trampoline_kernelINS0_14default_configENS1_25partition_config_selectorILNS1_17partition_subalgoE6EiNS0_10empty_typeEbEEZZNS1_14partition_implILS5_6ELb0ES3_mN6thrust23THRUST_200600_302600_NS6detail15normal_iteratorINSA_10device_ptrIiEEEEPS6_SG_NS0_5tupleIJNSA_16discard_iteratorINSA_11use_defaultEEES6_EEENSH_IJSG_SG_EEES6_PlJNSB_9not_fun_tI7is_trueIiEEEEEE10hipError_tPvRmT3_T4_T5_T6_T7_T9_mT8_P12ihipStream_tbDpT10_ENKUlT_T0_E_clISt17integral_constantIbLb0EES1A_IbLb1EEEEDaS16_S17_EUlS16_E_NS1_11comp_targetILNS1_3genE5ELNS1_11target_archE942ELNS1_3gpuE9ELNS1_3repE0EEENS1_30default_config_static_selectorELNS0_4arch9wavefront6targetE0EEEvT1_
	.globl	_ZN7rocprim17ROCPRIM_400000_NS6detail17trampoline_kernelINS0_14default_configENS1_25partition_config_selectorILNS1_17partition_subalgoE6EiNS0_10empty_typeEbEEZZNS1_14partition_implILS5_6ELb0ES3_mN6thrust23THRUST_200600_302600_NS6detail15normal_iteratorINSA_10device_ptrIiEEEEPS6_SG_NS0_5tupleIJNSA_16discard_iteratorINSA_11use_defaultEEES6_EEENSH_IJSG_SG_EEES6_PlJNSB_9not_fun_tI7is_trueIiEEEEEE10hipError_tPvRmT3_T4_T5_T6_T7_T9_mT8_P12ihipStream_tbDpT10_ENKUlT_T0_E_clISt17integral_constantIbLb0EES1A_IbLb1EEEEDaS16_S17_EUlS16_E_NS1_11comp_targetILNS1_3genE5ELNS1_11target_archE942ELNS1_3gpuE9ELNS1_3repE0EEENS1_30default_config_static_selectorELNS0_4arch9wavefront6targetE0EEEvT1_
	.p2align	8
	.type	_ZN7rocprim17ROCPRIM_400000_NS6detail17trampoline_kernelINS0_14default_configENS1_25partition_config_selectorILNS1_17partition_subalgoE6EiNS0_10empty_typeEbEEZZNS1_14partition_implILS5_6ELb0ES3_mN6thrust23THRUST_200600_302600_NS6detail15normal_iteratorINSA_10device_ptrIiEEEEPS6_SG_NS0_5tupleIJNSA_16discard_iteratorINSA_11use_defaultEEES6_EEENSH_IJSG_SG_EEES6_PlJNSB_9not_fun_tI7is_trueIiEEEEEE10hipError_tPvRmT3_T4_T5_T6_T7_T9_mT8_P12ihipStream_tbDpT10_ENKUlT_T0_E_clISt17integral_constantIbLb0EES1A_IbLb1EEEEDaS16_S17_EUlS16_E_NS1_11comp_targetILNS1_3genE5ELNS1_11target_archE942ELNS1_3gpuE9ELNS1_3repE0EEENS1_30default_config_static_selectorELNS0_4arch9wavefront6targetE0EEEvT1_,@function
_ZN7rocprim17ROCPRIM_400000_NS6detail17trampoline_kernelINS0_14default_configENS1_25partition_config_selectorILNS1_17partition_subalgoE6EiNS0_10empty_typeEbEEZZNS1_14partition_implILS5_6ELb0ES3_mN6thrust23THRUST_200600_302600_NS6detail15normal_iteratorINSA_10device_ptrIiEEEEPS6_SG_NS0_5tupleIJNSA_16discard_iteratorINSA_11use_defaultEEES6_EEENSH_IJSG_SG_EEES6_PlJNSB_9not_fun_tI7is_trueIiEEEEEE10hipError_tPvRmT3_T4_T5_T6_T7_T9_mT8_P12ihipStream_tbDpT10_ENKUlT_T0_E_clISt17integral_constantIbLb0EES1A_IbLb1EEEEDaS16_S17_EUlS16_E_NS1_11comp_targetILNS1_3genE5ELNS1_11target_archE942ELNS1_3gpuE9ELNS1_3repE0EEENS1_30default_config_static_selectorELNS0_4arch9wavefront6targetE0EEEvT1_: ; @_ZN7rocprim17ROCPRIM_400000_NS6detail17trampoline_kernelINS0_14default_configENS1_25partition_config_selectorILNS1_17partition_subalgoE6EiNS0_10empty_typeEbEEZZNS1_14partition_implILS5_6ELb0ES3_mN6thrust23THRUST_200600_302600_NS6detail15normal_iteratorINSA_10device_ptrIiEEEEPS6_SG_NS0_5tupleIJNSA_16discard_iteratorINSA_11use_defaultEEES6_EEENSH_IJSG_SG_EEES6_PlJNSB_9not_fun_tI7is_trueIiEEEEEE10hipError_tPvRmT3_T4_T5_T6_T7_T9_mT8_P12ihipStream_tbDpT10_ENKUlT_T0_E_clISt17integral_constantIbLb0EES1A_IbLb1EEEEDaS16_S17_EUlS16_E_NS1_11comp_targetILNS1_3genE5ELNS1_11target_archE942ELNS1_3gpuE9ELNS1_3repE0EEENS1_30default_config_static_selectorELNS0_4arch9wavefront6targetE0EEEvT1_
; %bb.0:
	.section	.rodata,"a",@progbits
	.p2align	6, 0x0
	.amdhsa_kernel _ZN7rocprim17ROCPRIM_400000_NS6detail17trampoline_kernelINS0_14default_configENS1_25partition_config_selectorILNS1_17partition_subalgoE6EiNS0_10empty_typeEbEEZZNS1_14partition_implILS5_6ELb0ES3_mN6thrust23THRUST_200600_302600_NS6detail15normal_iteratorINSA_10device_ptrIiEEEEPS6_SG_NS0_5tupleIJNSA_16discard_iteratorINSA_11use_defaultEEES6_EEENSH_IJSG_SG_EEES6_PlJNSB_9not_fun_tI7is_trueIiEEEEEE10hipError_tPvRmT3_T4_T5_T6_T7_T9_mT8_P12ihipStream_tbDpT10_ENKUlT_T0_E_clISt17integral_constantIbLb0EES1A_IbLb1EEEEDaS16_S17_EUlS16_E_NS1_11comp_targetILNS1_3genE5ELNS1_11target_archE942ELNS1_3gpuE9ELNS1_3repE0EEENS1_30default_config_static_selectorELNS0_4arch9wavefront6targetE0EEEvT1_
		.amdhsa_group_segment_fixed_size 0
		.amdhsa_private_segment_fixed_size 0
		.amdhsa_kernarg_size 136
		.amdhsa_user_sgpr_count 2
		.amdhsa_user_sgpr_dispatch_ptr 0
		.amdhsa_user_sgpr_queue_ptr 0
		.amdhsa_user_sgpr_kernarg_segment_ptr 1
		.amdhsa_user_sgpr_dispatch_id 0
		.amdhsa_user_sgpr_private_segment_size 0
		.amdhsa_wavefront_size32 1
		.amdhsa_uses_dynamic_stack 0
		.amdhsa_enable_private_segment 0
		.amdhsa_system_sgpr_workgroup_id_x 1
		.amdhsa_system_sgpr_workgroup_id_y 0
		.amdhsa_system_sgpr_workgroup_id_z 0
		.amdhsa_system_sgpr_workgroup_info 0
		.amdhsa_system_vgpr_workitem_id 0
		.amdhsa_next_free_vgpr 1
		.amdhsa_next_free_sgpr 1
		.amdhsa_reserve_vcc 0
		.amdhsa_float_round_mode_32 0
		.amdhsa_float_round_mode_16_64 0
		.amdhsa_float_denorm_mode_32 3
		.amdhsa_float_denorm_mode_16_64 3
		.amdhsa_fp16_overflow 0
		.amdhsa_workgroup_processor_mode 1
		.amdhsa_memory_ordered 1
		.amdhsa_forward_progress 1
		.amdhsa_inst_pref_size 0
		.amdhsa_round_robin_scheduling 0
		.amdhsa_exception_fp_ieee_invalid_op 0
		.amdhsa_exception_fp_denorm_src 0
		.amdhsa_exception_fp_ieee_div_zero 0
		.amdhsa_exception_fp_ieee_overflow 0
		.amdhsa_exception_fp_ieee_underflow 0
		.amdhsa_exception_fp_ieee_inexact 0
		.amdhsa_exception_int_div_zero 0
	.end_amdhsa_kernel
	.section	.text._ZN7rocprim17ROCPRIM_400000_NS6detail17trampoline_kernelINS0_14default_configENS1_25partition_config_selectorILNS1_17partition_subalgoE6EiNS0_10empty_typeEbEEZZNS1_14partition_implILS5_6ELb0ES3_mN6thrust23THRUST_200600_302600_NS6detail15normal_iteratorINSA_10device_ptrIiEEEEPS6_SG_NS0_5tupleIJNSA_16discard_iteratorINSA_11use_defaultEEES6_EEENSH_IJSG_SG_EEES6_PlJNSB_9not_fun_tI7is_trueIiEEEEEE10hipError_tPvRmT3_T4_T5_T6_T7_T9_mT8_P12ihipStream_tbDpT10_ENKUlT_T0_E_clISt17integral_constantIbLb0EES1A_IbLb1EEEEDaS16_S17_EUlS16_E_NS1_11comp_targetILNS1_3genE5ELNS1_11target_archE942ELNS1_3gpuE9ELNS1_3repE0EEENS1_30default_config_static_selectorELNS0_4arch9wavefront6targetE0EEEvT1_,"axG",@progbits,_ZN7rocprim17ROCPRIM_400000_NS6detail17trampoline_kernelINS0_14default_configENS1_25partition_config_selectorILNS1_17partition_subalgoE6EiNS0_10empty_typeEbEEZZNS1_14partition_implILS5_6ELb0ES3_mN6thrust23THRUST_200600_302600_NS6detail15normal_iteratorINSA_10device_ptrIiEEEEPS6_SG_NS0_5tupleIJNSA_16discard_iteratorINSA_11use_defaultEEES6_EEENSH_IJSG_SG_EEES6_PlJNSB_9not_fun_tI7is_trueIiEEEEEE10hipError_tPvRmT3_T4_T5_T6_T7_T9_mT8_P12ihipStream_tbDpT10_ENKUlT_T0_E_clISt17integral_constantIbLb0EES1A_IbLb1EEEEDaS16_S17_EUlS16_E_NS1_11comp_targetILNS1_3genE5ELNS1_11target_archE942ELNS1_3gpuE9ELNS1_3repE0EEENS1_30default_config_static_selectorELNS0_4arch9wavefront6targetE0EEEvT1_,comdat
.Lfunc_end2294:
	.size	_ZN7rocprim17ROCPRIM_400000_NS6detail17trampoline_kernelINS0_14default_configENS1_25partition_config_selectorILNS1_17partition_subalgoE6EiNS0_10empty_typeEbEEZZNS1_14partition_implILS5_6ELb0ES3_mN6thrust23THRUST_200600_302600_NS6detail15normal_iteratorINSA_10device_ptrIiEEEEPS6_SG_NS0_5tupleIJNSA_16discard_iteratorINSA_11use_defaultEEES6_EEENSH_IJSG_SG_EEES6_PlJNSB_9not_fun_tI7is_trueIiEEEEEE10hipError_tPvRmT3_T4_T5_T6_T7_T9_mT8_P12ihipStream_tbDpT10_ENKUlT_T0_E_clISt17integral_constantIbLb0EES1A_IbLb1EEEEDaS16_S17_EUlS16_E_NS1_11comp_targetILNS1_3genE5ELNS1_11target_archE942ELNS1_3gpuE9ELNS1_3repE0EEENS1_30default_config_static_selectorELNS0_4arch9wavefront6targetE0EEEvT1_, .Lfunc_end2294-_ZN7rocprim17ROCPRIM_400000_NS6detail17trampoline_kernelINS0_14default_configENS1_25partition_config_selectorILNS1_17partition_subalgoE6EiNS0_10empty_typeEbEEZZNS1_14partition_implILS5_6ELb0ES3_mN6thrust23THRUST_200600_302600_NS6detail15normal_iteratorINSA_10device_ptrIiEEEEPS6_SG_NS0_5tupleIJNSA_16discard_iteratorINSA_11use_defaultEEES6_EEENSH_IJSG_SG_EEES6_PlJNSB_9not_fun_tI7is_trueIiEEEEEE10hipError_tPvRmT3_T4_T5_T6_T7_T9_mT8_P12ihipStream_tbDpT10_ENKUlT_T0_E_clISt17integral_constantIbLb0EES1A_IbLb1EEEEDaS16_S17_EUlS16_E_NS1_11comp_targetILNS1_3genE5ELNS1_11target_archE942ELNS1_3gpuE9ELNS1_3repE0EEENS1_30default_config_static_selectorELNS0_4arch9wavefront6targetE0EEEvT1_
                                        ; -- End function
	.set _ZN7rocprim17ROCPRIM_400000_NS6detail17trampoline_kernelINS0_14default_configENS1_25partition_config_selectorILNS1_17partition_subalgoE6EiNS0_10empty_typeEbEEZZNS1_14partition_implILS5_6ELb0ES3_mN6thrust23THRUST_200600_302600_NS6detail15normal_iteratorINSA_10device_ptrIiEEEEPS6_SG_NS0_5tupleIJNSA_16discard_iteratorINSA_11use_defaultEEES6_EEENSH_IJSG_SG_EEES6_PlJNSB_9not_fun_tI7is_trueIiEEEEEE10hipError_tPvRmT3_T4_T5_T6_T7_T9_mT8_P12ihipStream_tbDpT10_ENKUlT_T0_E_clISt17integral_constantIbLb0EES1A_IbLb1EEEEDaS16_S17_EUlS16_E_NS1_11comp_targetILNS1_3genE5ELNS1_11target_archE942ELNS1_3gpuE9ELNS1_3repE0EEENS1_30default_config_static_selectorELNS0_4arch9wavefront6targetE0EEEvT1_.num_vgpr, 0
	.set _ZN7rocprim17ROCPRIM_400000_NS6detail17trampoline_kernelINS0_14default_configENS1_25partition_config_selectorILNS1_17partition_subalgoE6EiNS0_10empty_typeEbEEZZNS1_14partition_implILS5_6ELb0ES3_mN6thrust23THRUST_200600_302600_NS6detail15normal_iteratorINSA_10device_ptrIiEEEEPS6_SG_NS0_5tupleIJNSA_16discard_iteratorINSA_11use_defaultEEES6_EEENSH_IJSG_SG_EEES6_PlJNSB_9not_fun_tI7is_trueIiEEEEEE10hipError_tPvRmT3_T4_T5_T6_T7_T9_mT8_P12ihipStream_tbDpT10_ENKUlT_T0_E_clISt17integral_constantIbLb0EES1A_IbLb1EEEEDaS16_S17_EUlS16_E_NS1_11comp_targetILNS1_3genE5ELNS1_11target_archE942ELNS1_3gpuE9ELNS1_3repE0EEENS1_30default_config_static_selectorELNS0_4arch9wavefront6targetE0EEEvT1_.num_agpr, 0
	.set _ZN7rocprim17ROCPRIM_400000_NS6detail17trampoline_kernelINS0_14default_configENS1_25partition_config_selectorILNS1_17partition_subalgoE6EiNS0_10empty_typeEbEEZZNS1_14partition_implILS5_6ELb0ES3_mN6thrust23THRUST_200600_302600_NS6detail15normal_iteratorINSA_10device_ptrIiEEEEPS6_SG_NS0_5tupleIJNSA_16discard_iteratorINSA_11use_defaultEEES6_EEENSH_IJSG_SG_EEES6_PlJNSB_9not_fun_tI7is_trueIiEEEEEE10hipError_tPvRmT3_T4_T5_T6_T7_T9_mT8_P12ihipStream_tbDpT10_ENKUlT_T0_E_clISt17integral_constantIbLb0EES1A_IbLb1EEEEDaS16_S17_EUlS16_E_NS1_11comp_targetILNS1_3genE5ELNS1_11target_archE942ELNS1_3gpuE9ELNS1_3repE0EEENS1_30default_config_static_selectorELNS0_4arch9wavefront6targetE0EEEvT1_.numbered_sgpr, 0
	.set _ZN7rocprim17ROCPRIM_400000_NS6detail17trampoline_kernelINS0_14default_configENS1_25partition_config_selectorILNS1_17partition_subalgoE6EiNS0_10empty_typeEbEEZZNS1_14partition_implILS5_6ELb0ES3_mN6thrust23THRUST_200600_302600_NS6detail15normal_iteratorINSA_10device_ptrIiEEEEPS6_SG_NS0_5tupleIJNSA_16discard_iteratorINSA_11use_defaultEEES6_EEENSH_IJSG_SG_EEES6_PlJNSB_9not_fun_tI7is_trueIiEEEEEE10hipError_tPvRmT3_T4_T5_T6_T7_T9_mT8_P12ihipStream_tbDpT10_ENKUlT_T0_E_clISt17integral_constantIbLb0EES1A_IbLb1EEEEDaS16_S17_EUlS16_E_NS1_11comp_targetILNS1_3genE5ELNS1_11target_archE942ELNS1_3gpuE9ELNS1_3repE0EEENS1_30default_config_static_selectorELNS0_4arch9wavefront6targetE0EEEvT1_.num_named_barrier, 0
	.set _ZN7rocprim17ROCPRIM_400000_NS6detail17trampoline_kernelINS0_14default_configENS1_25partition_config_selectorILNS1_17partition_subalgoE6EiNS0_10empty_typeEbEEZZNS1_14partition_implILS5_6ELb0ES3_mN6thrust23THRUST_200600_302600_NS6detail15normal_iteratorINSA_10device_ptrIiEEEEPS6_SG_NS0_5tupleIJNSA_16discard_iteratorINSA_11use_defaultEEES6_EEENSH_IJSG_SG_EEES6_PlJNSB_9not_fun_tI7is_trueIiEEEEEE10hipError_tPvRmT3_T4_T5_T6_T7_T9_mT8_P12ihipStream_tbDpT10_ENKUlT_T0_E_clISt17integral_constantIbLb0EES1A_IbLb1EEEEDaS16_S17_EUlS16_E_NS1_11comp_targetILNS1_3genE5ELNS1_11target_archE942ELNS1_3gpuE9ELNS1_3repE0EEENS1_30default_config_static_selectorELNS0_4arch9wavefront6targetE0EEEvT1_.private_seg_size, 0
	.set _ZN7rocprim17ROCPRIM_400000_NS6detail17trampoline_kernelINS0_14default_configENS1_25partition_config_selectorILNS1_17partition_subalgoE6EiNS0_10empty_typeEbEEZZNS1_14partition_implILS5_6ELb0ES3_mN6thrust23THRUST_200600_302600_NS6detail15normal_iteratorINSA_10device_ptrIiEEEEPS6_SG_NS0_5tupleIJNSA_16discard_iteratorINSA_11use_defaultEEES6_EEENSH_IJSG_SG_EEES6_PlJNSB_9not_fun_tI7is_trueIiEEEEEE10hipError_tPvRmT3_T4_T5_T6_T7_T9_mT8_P12ihipStream_tbDpT10_ENKUlT_T0_E_clISt17integral_constantIbLb0EES1A_IbLb1EEEEDaS16_S17_EUlS16_E_NS1_11comp_targetILNS1_3genE5ELNS1_11target_archE942ELNS1_3gpuE9ELNS1_3repE0EEENS1_30default_config_static_selectorELNS0_4arch9wavefront6targetE0EEEvT1_.uses_vcc, 0
	.set _ZN7rocprim17ROCPRIM_400000_NS6detail17trampoline_kernelINS0_14default_configENS1_25partition_config_selectorILNS1_17partition_subalgoE6EiNS0_10empty_typeEbEEZZNS1_14partition_implILS5_6ELb0ES3_mN6thrust23THRUST_200600_302600_NS6detail15normal_iteratorINSA_10device_ptrIiEEEEPS6_SG_NS0_5tupleIJNSA_16discard_iteratorINSA_11use_defaultEEES6_EEENSH_IJSG_SG_EEES6_PlJNSB_9not_fun_tI7is_trueIiEEEEEE10hipError_tPvRmT3_T4_T5_T6_T7_T9_mT8_P12ihipStream_tbDpT10_ENKUlT_T0_E_clISt17integral_constantIbLb0EES1A_IbLb1EEEEDaS16_S17_EUlS16_E_NS1_11comp_targetILNS1_3genE5ELNS1_11target_archE942ELNS1_3gpuE9ELNS1_3repE0EEENS1_30default_config_static_selectorELNS0_4arch9wavefront6targetE0EEEvT1_.uses_flat_scratch, 0
	.set _ZN7rocprim17ROCPRIM_400000_NS6detail17trampoline_kernelINS0_14default_configENS1_25partition_config_selectorILNS1_17partition_subalgoE6EiNS0_10empty_typeEbEEZZNS1_14partition_implILS5_6ELb0ES3_mN6thrust23THRUST_200600_302600_NS6detail15normal_iteratorINSA_10device_ptrIiEEEEPS6_SG_NS0_5tupleIJNSA_16discard_iteratorINSA_11use_defaultEEES6_EEENSH_IJSG_SG_EEES6_PlJNSB_9not_fun_tI7is_trueIiEEEEEE10hipError_tPvRmT3_T4_T5_T6_T7_T9_mT8_P12ihipStream_tbDpT10_ENKUlT_T0_E_clISt17integral_constantIbLb0EES1A_IbLb1EEEEDaS16_S17_EUlS16_E_NS1_11comp_targetILNS1_3genE5ELNS1_11target_archE942ELNS1_3gpuE9ELNS1_3repE0EEENS1_30default_config_static_selectorELNS0_4arch9wavefront6targetE0EEEvT1_.has_dyn_sized_stack, 0
	.set _ZN7rocprim17ROCPRIM_400000_NS6detail17trampoline_kernelINS0_14default_configENS1_25partition_config_selectorILNS1_17partition_subalgoE6EiNS0_10empty_typeEbEEZZNS1_14partition_implILS5_6ELb0ES3_mN6thrust23THRUST_200600_302600_NS6detail15normal_iteratorINSA_10device_ptrIiEEEEPS6_SG_NS0_5tupleIJNSA_16discard_iteratorINSA_11use_defaultEEES6_EEENSH_IJSG_SG_EEES6_PlJNSB_9not_fun_tI7is_trueIiEEEEEE10hipError_tPvRmT3_T4_T5_T6_T7_T9_mT8_P12ihipStream_tbDpT10_ENKUlT_T0_E_clISt17integral_constantIbLb0EES1A_IbLb1EEEEDaS16_S17_EUlS16_E_NS1_11comp_targetILNS1_3genE5ELNS1_11target_archE942ELNS1_3gpuE9ELNS1_3repE0EEENS1_30default_config_static_selectorELNS0_4arch9wavefront6targetE0EEEvT1_.has_recursion, 0
	.set _ZN7rocprim17ROCPRIM_400000_NS6detail17trampoline_kernelINS0_14default_configENS1_25partition_config_selectorILNS1_17partition_subalgoE6EiNS0_10empty_typeEbEEZZNS1_14partition_implILS5_6ELb0ES3_mN6thrust23THRUST_200600_302600_NS6detail15normal_iteratorINSA_10device_ptrIiEEEEPS6_SG_NS0_5tupleIJNSA_16discard_iteratorINSA_11use_defaultEEES6_EEENSH_IJSG_SG_EEES6_PlJNSB_9not_fun_tI7is_trueIiEEEEEE10hipError_tPvRmT3_T4_T5_T6_T7_T9_mT8_P12ihipStream_tbDpT10_ENKUlT_T0_E_clISt17integral_constantIbLb0EES1A_IbLb1EEEEDaS16_S17_EUlS16_E_NS1_11comp_targetILNS1_3genE5ELNS1_11target_archE942ELNS1_3gpuE9ELNS1_3repE0EEENS1_30default_config_static_selectorELNS0_4arch9wavefront6targetE0EEEvT1_.has_indirect_call, 0
	.section	.AMDGPU.csdata,"",@progbits
; Kernel info:
; codeLenInByte = 0
; TotalNumSgprs: 0
; NumVgprs: 0
; ScratchSize: 0
; MemoryBound: 0
; FloatMode: 240
; IeeeMode: 1
; LDSByteSize: 0 bytes/workgroup (compile time only)
; SGPRBlocks: 0
; VGPRBlocks: 0
; NumSGPRsForWavesPerEU: 1
; NumVGPRsForWavesPerEU: 1
; Occupancy: 16
; WaveLimiterHint : 0
; COMPUTE_PGM_RSRC2:SCRATCH_EN: 0
; COMPUTE_PGM_RSRC2:USER_SGPR: 2
; COMPUTE_PGM_RSRC2:TRAP_HANDLER: 0
; COMPUTE_PGM_RSRC2:TGID_X_EN: 1
; COMPUTE_PGM_RSRC2:TGID_Y_EN: 0
; COMPUTE_PGM_RSRC2:TGID_Z_EN: 0
; COMPUTE_PGM_RSRC2:TIDIG_COMP_CNT: 0
	.section	.text._ZN7rocprim17ROCPRIM_400000_NS6detail17trampoline_kernelINS0_14default_configENS1_25partition_config_selectorILNS1_17partition_subalgoE6EiNS0_10empty_typeEbEEZZNS1_14partition_implILS5_6ELb0ES3_mN6thrust23THRUST_200600_302600_NS6detail15normal_iteratorINSA_10device_ptrIiEEEEPS6_SG_NS0_5tupleIJNSA_16discard_iteratorINSA_11use_defaultEEES6_EEENSH_IJSG_SG_EEES6_PlJNSB_9not_fun_tI7is_trueIiEEEEEE10hipError_tPvRmT3_T4_T5_T6_T7_T9_mT8_P12ihipStream_tbDpT10_ENKUlT_T0_E_clISt17integral_constantIbLb0EES1A_IbLb1EEEEDaS16_S17_EUlS16_E_NS1_11comp_targetILNS1_3genE4ELNS1_11target_archE910ELNS1_3gpuE8ELNS1_3repE0EEENS1_30default_config_static_selectorELNS0_4arch9wavefront6targetE0EEEvT1_,"axG",@progbits,_ZN7rocprim17ROCPRIM_400000_NS6detail17trampoline_kernelINS0_14default_configENS1_25partition_config_selectorILNS1_17partition_subalgoE6EiNS0_10empty_typeEbEEZZNS1_14partition_implILS5_6ELb0ES3_mN6thrust23THRUST_200600_302600_NS6detail15normal_iteratorINSA_10device_ptrIiEEEEPS6_SG_NS0_5tupleIJNSA_16discard_iteratorINSA_11use_defaultEEES6_EEENSH_IJSG_SG_EEES6_PlJNSB_9not_fun_tI7is_trueIiEEEEEE10hipError_tPvRmT3_T4_T5_T6_T7_T9_mT8_P12ihipStream_tbDpT10_ENKUlT_T0_E_clISt17integral_constantIbLb0EES1A_IbLb1EEEEDaS16_S17_EUlS16_E_NS1_11comp_targetILNS1_3genE4ELNS1_11target_archE910ELNS1_3gpuE8ELNS1_3repE0EEENS1_30default_config_static_selectorELNS0_4arch9wavefront6targetE0EEEvT1_,comdat
	.protected	_ZN7rocprim17ROCPRIM_400000_NS6detail17trampoline_kernelINS0_14default_configENS1_25partition_config_selectorILNS1_17partition_subalgoE6EiNS0_10empty_typeEbEEZZNS1_14partition_implILS5_6ELb0ES3_mN6thrust23THRUST_200600_302600_NS6detail15normal_iteratorINSA_10device_ptrIiEEEEPS6_SG_NS0_5tupleIJNSA_16discard_iteratorINSA_11use_defaultEEES6_EEENSH_IJSG_SG_EEES6_PlJNSB_9not_fun_tI7is_trueIiEEEEEE10hipError_tPvRmT3_T4_T5_T6_T7_T9_mT8_P12ihipStream_tbDpT10_ENKUlT_T0_E_clISt17integral_constantIbLb0EES1A_IbLb1EEEEDaS16_S17_EUlS16_E_NS1_11comp_targetILNS1_3genE4ELNS1_11target_archE910ELNS1_3gpuE8ELNS1_3repE0EEENS1_30default_config_static_selectorELNS0_4arch9wavefront6targetE0EEEvT1_ ; -- Begin function _ZN7rocprim17ROCPRIM_400000_NS6detail17trampoline_kernelINS0_14default_configENS1_25partition_config_selectorILNS1_17partition_subalgoE6EiNS0_10empty_typeEbEEZZNS1_14partition_implILS5_6ELb0ES3_mN6thrust23THRUST_200600_302600_NS6detail15normal_iteratorINSA_10device_ptrIiEEEEPS6_SG_NS0_5tupleIJNSA_16discard_iteratorINSA_11use_defaultEEES6_EEENSH_IJSG_SG_EEES6_PlJNSB_9not_fun_tI7is_trueIiEEEEEE10hipError_tPvRmT3_T4_T5_T6_T7_T9_mT8_P12ihipStream_tbDpT10_ENKUlT_T0_E_clISt17integral_constantIbLb0EES1A_IbLb1EEEEDaS16_S17_EUlS16_E_NS1_11comp_targetILNS1_3genE4ELNS1_11target_archE910ELNS1_3gpuE8ELNS1_3repE0EEENS1_30default_config_static_selectorELNS0_4arch9wavefront6targetE0EEEvT1_
	.globl	_ZN7rocprim17ROCPRIM_400000_NS6detail17trampoline_kernelINS0_14default_configENS1_25partition_config_selectorILNS1_17partition_subalgoE6EiNS0_10empty_typeEbEEZZNS1_14partition_implILS5_6ELb0ES3_mN6thrust23THRUST_200600_302600_NS6detail15normal_iteratorINSA_10device_ptrIiEEEEPS6_SG_NS0_5tupleIJNSA_16discard_iteratorINSA_11use_defaultEEES6_EEENSH_IJSG_SG_EEES6_PlJNSB_9not_fun_tI7is_trueIiEEEEEE10hipError_tPvRmT3_T4_T5_T6_T7_T9_mT8_P12ihipStream_tbDpT10_ENKUlT_T0_E_clISt17integral_constantIbLb0EES1A_IbLb1EEEEDaS16_S17_EUlS16_E_NS1_11comp_targetILNS1_3genE4ELNS1_11target_archE910ELNS1_3gpuE8ELNS1_3repE0EEENS1_30default_config_static_selectorELNS0_4arch9wavefront6targetE0EEEvT1_
	.p2align	8
	.type	_ZN7rocprim17ROCPRIM_400000_NS6detail17trampoline_kernelINS0_14default_configENS1_25partition_config_selectorILNS1_17partition_subalgoE6EiNS0_10empty_typeEbEEZZNS1_14partition_implILS5_6ELb0ES3_mN6thrust23THRUST_200600_302600_NS6detail15normal_iteratorINSA_10device_ptrIiEEEEPS6_SG_NS0_5tupleIJNSA_16discard_iteratorINSA_11use_defaultEEES6_EEENSH_IJSG_SG_EEES6_PlJNSB_9not_fun_tI7is_trueIiEEEEEE10hipError_tPvRmT3_T4_T5_T6_T7_T9_mT8_P12ihipStream_tbDpT10_ENKUlT_T0_E_clISt17integral_constantIbLb0EES1A_IbLb1EEEEDaS16_S17_EUlS16_E_NS1_11comp_targetILNS1_3genE4ELNS1_11target_archE910ELNS1_3gpuE8ELNS1_3repE0EEENS1_30default_config_static_selectorELNS0_4arch9wavefront6targetE0EEEvT1_,@function
_ZN7rocprim17ROCPRIM_400000_NS6detail17trampoline_kernelINS0_14default_configENS1_25partition_config_selectorILNS1_17partition_subalgoE6EiNS0_10empty_typeEbEEZZNS1_14partition_implILS5_6ELb0ES3_mN6thrust23THRUST_200600_302600_NS6detail15normal_iteratorINSA_10device_ptrIiEEEEPS6_SG_NS0_5tupleIJNSA_16discard_iteratorINSA_11use_defaultEEES6_EEENSH_IJSG_SG_EEES6_PlJNSB_9not_fun_tI7is_trueIiEEEEEE10hipError_tPvRmT3_T4_T5_T6_T7_T9_mT8_P12ihipStream_tbDpT10_ENKUlT_T0_E_clISt17integral_constantIbLb0EES1A_IbLb1EEEEDaS16_S17_EUlS16_E_NS1_11comp_targetILNS1_3genE4ELNS1_11target_archE910ELNS1_3gpuE8ELNS1_3repE0EEENS1_30default_config_static_selectorELNS0_4arch9wavefront6targetE0EEEvT1_: ; @_ZN7rocprim17ROCPRIM_400000_NS6detail17trampoline_kernelINS0_14default_configENS1_25partition_config_selectorILNS1_17partition_subalgoE6EiNS0_10empty_typeEbEEZZNS1_14partition_implILS5_6ELb0ES3_mN6thrust23THRUST_200600_302600_NS6detail15normal_iteratorINSA_10device_ptrIiEEEEPS6_SG_NS0_5tupleIJNSA_16discard_iteratorINSA_11use_defaultEEES6_EEENSH_IJSG_SG_EEES6_PlJNSB_9not_fun_tI7is_trueIiEEEEEE10hipError_tPvRmT3_T4_T5_T6_T7_T9_mT8_P12ihipStream_tbDpT10_ENKUlT_T0_E_clISt17integral_constantIbLb0EES1A_IbLb1EEEEDaS16_S17_EUlS16_E_NS1_11comp_targetILNS1_3genE4ELNS1_11target_archE910ELNS1_3gpuE8ELNS1_3repE0EEENS1_30default_config_static_selectorELNS0_4arch9wavefront6targetE0EEEvT1_
; %bb.0:
	.section	.rodata,"a",@progbits
	.p2align	6, 0x0
	.amdhsa_kernel _ZN7rocprim17ROCPRIM_400000_NS6detail17trampoline_kernelINS0_14default_configENS1_25partition_config_selectorILNS1_17partition_subalgoE6EiNS0_10empty_typeEbEEZZNS1_14partition_implILS5_6ELb0ES3_mN6thrust23THRUST_200600_302600_NS6detail15normal_iteratorINSA_10device_ptrIiEEEEPS6_SG_NS0_5tupleIJNSA_16discard_iteratorINSA_11use_defaultEEES6_EEENSH_IJSG_SG_EEES6_PlJNSB_9not_fun_tI7is_trueIiEEEEEE10hipError_tPvRmT3_T4_T5_T6_T7_T9_mT8_P12ihipStream_tbDpT10_ENKUlT_T0_E_clISt17integral_constantIbLb0EES1A_IbLb1EEEEDaS16_S17_EUlS16_E_NS1_11comp_targetILNS1_3genE4ELNS1_11target_archE910ELNS1_3gpuE8ELNS1_3repE0EEENS1_30default_config_static_selectorELNS0_4arch9wavefront6targetE0EEEvT1_
		.amdhsa_group_segment_fixed_size 0
		.amdhsa_private_segment_fixed_size 0
		.amdhsa_kernarg_size 136
		.amdhsa_user_sgpr_count 2
		.amdhsa_user_sgpr_dispatch_ptr 0
		.amdhsa_user_sgpr_queue_ptr 0
		.amdhsa_user_sgpr_kernarg_segment_ptr 1
		.amdhsa_user_sgpr_dispatch_id 0
		.amdhsa_user_sgpr_private_segment_size 0
		.amdhsa_wavefront_size32 1
		.amdhsa_uses_dynamic_stack 0
		.amdhsa_enable_private_segment 0
		.amdhsa_system_sgpr_workgroup_id_x 1
		.amdhsa_system_sgpr_workgroup_id_y 0
		.amdhsa_system_sgpr_workgroup_id_z 0
		.amdhsa_system_sgpr_workgroup_info 0
		.amdhsa_system_vgpr_workitem_id 0
		.amdhsa_next_free_vgpr 1
		.amdhsa_next_free_sgpr 1
		.amdhsa_reserve_vcc 0
		.amdhsa_float_round_mode_32 0
		.amdhsa_float_round_mode_16_64 0
		.amdhsa_float_denorm_mode_32 3
		.amdhsa_float_denorm_mode_16_64 3
		.amdhsa_fp16_overflow 0
		.amdhsa_workgroup_processor_mode 1
		.amdhsa_memory_ordered 1
		.amdhsa_forward_progress 1
		.amdhsa_inst_pref_size 0
		.amdhsa_round_robin_scheduling 0
		.amdhsa_exception_fp_ieee_invalid_op 0
		.amdhsa_exception_fp_denorm_src 0
		.amdhsa_exception_fp_ieee_div_zero 0
		.amdhsa_exception_fp_ieee_overflow 0
		.amdhsa_exception_fp_ieee_underflow 0
		.amdhsa_exception_fp_ieee_inexact 0
		.amdhsa_exception_int_div_zero 0
	.end_amdhsa_kernel
	.section	.text._ZN7rocprim17ROCPRIM_400000_NS6detail17trampoline_kernelINS0_14default_configENS1_25partition_config_selectorILNS1_17partition_subalgoE6EiNS0_10empty_typeEbEEZZNS1_14partition_implILS5_6ELb0ES3_mN6thrust23THRUST_200600_302600_NS6detail15normal_iteratorINSA_10device_ptrIiEEEEPS6_SG_NS0_5tupleIJNSA_16discard_iteratorINSA_11use_defaultEEES6_EEENSH_IJSG_SG_EEES6_PlJNSB_9not_fun_tI7is_trueIiEEEEEE10hipError_tPvRmT3_T4_T5_T6_T7_T9_mT8_P12ihipStream_tbDpT10_ENKUlT_T0_E_clISt17integral_constantIbLb0EES1A_IbLb1EEEEDaS16_S17_EUlS16_E_NS1_11comp_targetILNS1_3genE4ELNS1_11target_archE910ELNS1_3gpuE8ELNS1_3repE0EEENS1_30default_config_static_selectorELNS0_4arch9wavefront6targetE0EEEvT1_,"axG",@progbits,_ZN7rocprim17ROCPRIM_400000_NS6detail17trampoline_kernelINS0_14default_configENS1_25partition_config_selectorILNS1_17partition_subalgoE6EiNS0_10empty_typeEbEEZZNS1_14partition_implILS5_6ELb0ES3_mN6thrust23THRUST_200600_302600_NS6detail15normal_iteratorINSA_10device_ptrIiEEEEPS6_SG_NS0_5tupleIJNSA_16discard_iteratorINSA_11use_defaultEEES6_EEENSH_IJSG_SG_EEES6_PlJNSB_9not_fun_tI7is_trueIiEEEEEE10hipError_tPvRmT3_T4_T5_T6_T7_T9_mT8_P12ihipStream_tbDpT10_ENKUlT_T0_E_clISt17integral_constantIbLb0EES1A_IbLb1EEEEDaS16_S17_EUlS16_E_NS1_11comp_targetILNS1_3genE4ELNS1_11target_archE910ELNS1_3gpuE8ELNS1_3repE0EEENS1_30default_config_static_selectorELNS0_4arch9wavefront6targetE0EEEvT1_,comdat
.Lfunc_end2295:
	.size	_ZN7rocprim17ROCPRIM_400000_NS6detail17trampoline_kernelINS0_14default_configENS1_25partition_config_selectorILNS1_17partition_subalgoE6EiNS0_10empty_typeEbEEZZNS1_14partition_implILS5_6ELb0ES3_mN6thrust23THRUST_200600_302600_NS6detail15normal_iteratorINSA_10device_ptrIiEEEEPS6_SG_NS0_5tupleIJNSA_16discard_iteratorINSA_11use_defaultEEES6_EEENSH_IJSG_SG_EEES6_PlJNSB_9not_fun_tI7is_trueIiEEEEEE10hipError_tPvRmT3_T4_T5_T6_T7_T9_mT8_P12ihipStream_tbDpT10_ENKUlT_T0_E_clISt17integral_constantIbLb0EES1A_IbLb1EEEEDaS16_S17_EUlS16_E_NS1_11comp_targetILNS1_3genE4ELNS1_11target_archE910ELNS1_3gpuE8ELNS1_3repE0EEENS1_30default_config_static_selectorELNS0_4arch9wavefront6targetE0EEEvT1_, .Lfunc_end2295-_ZN7rocprim17ROCPRIM_400000_NS6detail17trampoline_kernelINS0_14default_configENS1_25partition_config_selectorILNS1_17partition_subalgoE6EiNS0_10empty_typeEbEEZZNS1_14partition_implILS5_6ELb0ES3_mN6thrust23THRUST_200600_302600_NS6detail15normal_iteratorINSA_10device_ptrIiEEEEPS6_SG_NS0_5tupleIJNSA_16discard_iteratorINSA_11use_defaultEEES6_EEENSH_IJSG_SG_EEES6_PlJNSB_9not_fun_tI7is_trueIiEEEEEE10hipError_tPvRmT3_T4_T5_T6_T7_T9_mT8_P12ihipStream_tbDpT10_ENKUlT_T0_E_clISt17integral_constantIbLb0EES1A_IbLb1EEEEDaS16_S17_EUlS16_E_NS1_11comp_targetILNS1_3genE4ELNS1_11target_archE910ELNS1_3gpuE8ELNS1_3repE0EEENS1_30default_config_static_selectorELNS0_4arch9wavefront6targetE0EEEvT1_
                                        ; -- End function
	.set _ZN7rocprim17ROCPRIM_400000_NS6detail17trampoline_kernelINS0_14default_configENS1_25partition_config_selectorILNS1_17partition_subalgoE6EiNS0_10empty_typeEbEEZZNS1_14partition_implILS5_6ELb0ES3_mN6thrust23THRUST_200600_302600_NS6detail15normal_iteratorINSA_10device_ptrIiEEEEPS6_SG_NS0_5tupleIJNSA_16discard_iteratorINSA_11use_defaultEEES6_EEENSH_IJSG_SG_EEES6_PlJNSB_9not_fun_tI7is_trueIiEEEEEE10hipError_tPvRmT3_T4_T5_T6_T7_T9_mT8_P12ihipStream_tbDpT10_ENKUlT_T0_E_clISt17integral_constantIbLb0EES1A_IbLb1EEEEDaS16_S17_EUlS16_E_NS1_11comp_targetILNS1_3genE4ELNS1_11target_archE910ELNS1_3gpuE8ELNS1_3repE0EEENS1_30default_config_static_selectorELNS0_4arch9wavefront6targetE0EEEvT1_.num_vgpr, 0
	.set _ZN7rocprim17ROCPRIM_400000_NS6detail17trampoline_kernelINS0_14default_configENS1_25partition_config_selectorILNS1_17partition_subalgoE6EiNS0_10empty_typeEbEEZZNS1_14partition_implILS5_6ELb0ES3_mN6thrust23THRUST_200600_302600_NS6detail15normal_iteratorINSA_10device_ptrIiEEEEPS6_SG_NS0_5tupleIJNSA_16discard_iteratorINSA_11use_defaultEEES6_EEENSH_IJSG_SG_EEES6_PlJNSB_9not_fun_tI7is_trueIiEEEEEE10hipError_tPvRmT3_T4_T5_T6_T7_T9_mT8_P12ihipStream_tbDpT10_ENKUlT_T0_E_clISt17integral_constantIbLb0EES1A_IbLb1EEEEDaS16_S17_EUlS16_E_NS1_11comp_targetILNS1_3genE4ELNS1_11target_archE910ELNS1_3gpuE8ELNS1_3repE0EEENS1_30default_config_static_selectorELNS0_4arch9wavefront6targetE0EEEvT1_.num_agpr, 0
	.set _ZN7rocprim17ROCPRIM_400000_NS6detail17trampoline_kernelINS0_14default_configENS1_25partition_config_selectorILNS1_17partition_subalgoE6EiNS0_10empty_typeEbEEZZNS1_14partition_implILS5_6ELb0ES3_mN6thrust23THRUST_200600_302600_NS6detail15normal_iteratorINSA_10device_ptrIiEEEEPS6_SG_NS0_5tupleIJNSA_16discard_iteratorINSA_11use_defaultEEES6_EEENSH_IJSG_SG_EEES6_PlJNSB_9not_fun_tI7is_trueIiEEEEEE10hipError_tPvRmT3_T4_T5_T6_T7_T9_mT8_P12ihipStream_tbDpT10_ENKUlT_T0_E_clISt17integral_constantIbLb0EES1A_IbLb1EEEEDaS16_S17_EUlS16_E_NS1_11comp_targetILNS1_3genE4ELNS1_11target_archE910ELNS1_3gpuE8ELNS1_3repE0EEENS1_30default_config_static_selectorELNS0_4arch9wavefront6targetE0EEEvT1_.numbered_sgpr, 0
	.set _ZN7rocprim17ROCPRIM_400000_NS6detail17trampoline_kernelINS0_14default_configENS1_25partition_config_selectorILNS1_17partition_subalgoE6EiNS0_10empty_typeEbEEZZNS1_14partition_implILS5_6ELb0ES3_mN6thrust23THRUST_200600_302600_NS6detail15normal_iteratorINSA_10device_ptrIiEEEEPS6_SG_NS0_5tupleIJNSA_16discard_iteratorINSA_11use_defaultEEES6_EEENSH_IJSG_SG_EEES6_PlJNSB_9not_fun_tI7is_trueIiEEEEEE10hipError_tPvRmT3_T4_T5_T6_T7_T9_mT8_P12ihipStream_tbDpT10_ENKUlT_T0_E_clISt17integral_constantIbLb0EES1A_IbLb1EEEEDaS16_S17_EUlS16_E_NS1_11comp_targetILNS1_3genE4ELNS1_11target_archE910ELNS1_3gpuE8ELNS1_3repE0EEENS1_30default_config_static_selectorELNS0_4arch9wavefront6targetE0EEEvT1_.num_named_barrier, 0
	.set _ZN7rocprim17ROCPRIM_400000_NS6detail17trampoline_kernelINS0_14default_configENS1_25partition_config_selectorILNS1_17partition_subalgoE6EiNS0_10empty_typeEbEEZZNS1_14partition_implILS5_6ELb0ES3_mN6thrust23THRUST_200600_302600_NS6detail15normal_iteratorINSA_10device_ptrIiEEEEPS6_SG_NS0_5tupleIJNSA_16discard_iteratorINSA_11use_defaultEEES6_EEENSH_IJSG_SG_EEES6_PlJNSB_9not_fun_tI7is_trueIiEEEEEE10hipError_tPvRmT3_T4_T5_T6_T7_T9_mT8_P12ihipStream_tbDpT10_ENKUlT_T0_E_clISt17integral_constantIbLb0EES1A_IbLb1EEEEDaS16_S17_EUlS16_E_NS1_11comp_targetILNS1_3genE4ELNS1_11target_archE910ELNS1_3gpuE8ELNS1_3repE0EEENS1_30default_config_static_selectorELNS0_4arch9wavefront6targetE0EEEvT1_.private_seg_size, 0
	.set _ZN7rocprim17ROCPRIM_400000_NS6detail17trampoline_kernelINS0_14default_configENS1_25partition_config_selectorILNS1_17partition_subalgoE6EiNS0_10empty_typeEbEEZZNS1_14partition_implILS5_6ELb0ES3_mN6thrust23THRUST_200600_302600_NS6detail15normal_iteratorINSA_10device_ptrIiEEEEPS6_SG_NS0_5tupleIJNSA_16discard_iteratorINSA_11use_defaultEEES6_EEENSH_IJSG_SG_EEES6_PlJNSB_9not_fun_tI7is_trueIiEEEEEE10hipError_tPvRmT3_T4_T5_T6_T7_T9_mT8_P12ihipStream_tbDpT10_ENKUlT_T0_E_clISt17integral_constantIbLb0EES1A_IbLb1EEEEDaS16_S17_EUlS16_E_NS1_11comp_targetILNS1_3genE4ELNS1_11target_archE910ELNS1_3gpuE8ELNS1_3repE0EEENS1_30default_config_static_selectorELNS0_4arch9wavefront6targetE0EEEvT1_.uses_vcc, 0
	.set _ZN7rocprim17ROCPRIM_400000_NS6detail17trampoline_kernelINS0_14default_configENS1_25partition_config_selectorILNS1_17partition_subalgoE6EiNS0_10empty_typeEbEEZZNS1_14partition_implILS5_6ELb0ES3_mN6thrust23THRUST_200600_302600_NS6detail15normal_iteratorINSA_10device_ptrIiEEEEPS6_SG_NS0_5tupleIJNSA_16discard_iteratorINSA_11use_defaultEEES6_EEENSH_IJSG_SG_EEES6_PlJNSB_9not_fun_tI7is_trueIiEEEEEE10hipError_tPvRmT3_T4_T5_T6_T7_T9_mT8_P12ihipStream_tbDpT10_ENKUlT_T0_E_clISt17integral_constantIbLb0EES1A_IbLb1EEEEDaS16_S17_EUlS16_E_NS1_11comp_targetILNS1_3genE4ELNS1_11target_archE910ELNS1_3gpuE8ELNS1_3repE0EEENS1_30default_config_static_selectorELNS0_4arch9wavefront6targetE0EEEvT1_.uses_flat_scratch, 0
	.set _ZN7rocprim17ROCPRIM_400000_NS6detail17trampoline_kernelINS0_14default_configENS1_25partition_config_selectorILNS1_17partition_subalgoE6EiNS0_10empty_typeEbEEZZNS1_14partition_implILS5_6ELb0ES3_mN6thrust23THRUST_200600_302600_NS6detail15normal_iteratorINSA_10device_ptrIiEEEEPS6_SG_NS0_5tupleIJNSA_16discard_iteratorINSA_11use_defaultEEES6_EEENSH_IJSG_SG_EEES6_PlJNSB_9not_fun_tI7is_trueIiEEEEEE10hipError_tPvRmT3_T4_T5_T6_T7_T9_mT8_P12ihipStream_tbDpT10_ENKUlT_T0_E_clISt17integral_constantIbLb0EES1A_IbLb1EEEEDaS16_S17_EUlS16_E_NS1_11comp_targetILNS1_3genE4ELNS1_11target_archE910ELNS1_3gpuE8ELNS1_3repE0EEENS1_30default_config_static_selectorELNS0_4arch9wavefront6targetE0EEEvT1_.has_dyn_sized_stack, 0
	.set _ZN7rocprim17ROCPRIM_400000_NS6detail17trampoline_kernelINS0_14default_configENS1_25partition_config_selectorILNS1_17partition_subalgoE6EiNS0_10empty_typeEbEEZZNS1_14partition_implILS5_6ELb0ES3_mN6thrust23THRUST_200600_302600_NS6detail15normal_iteratorINSA_10device_ptrIiEEEEPS6_SG_NS0_5tupleIJNSA_16discard_iteratorINSA_11use_defaultEEES6_EEENSH_IJSG_SG_EEES6_PlJNSB_9not_fun_tI7is_trueIiEEEEEE10hipError_tPvRmT3_T4_T5_T6_T7_T9_mT8_P12ihipStream_tbDpT10_ENKUlT_T0_E_clISt17integral_constantIbLb0EES1A_IbLb1EEEEDaS16_S17_EUlS16_E_NS1_11comp_targetILNS1_3genE4ELNS1_11target_archE910ELNS1_3gpuE8ELNS1_3repE0EEENS1_30default_config_static_selectorELNS0_4arch9wavefront6targetE0EEEvT1_.has_recursion, 0
	.set _ZN7rocprim17ROCPRIM_400000_NS6detail17trampoline_kernelINS0_14default_configENS1_25partition_config_selectorILNS1_17partition_subalgoE6EiNS0_10empty_typeEbEEZZNS1_14partition_implILS5_6ELb0ES3_mN6thrust23THRUST_200600_302600_NS6detail15normal_iteratorINSA_10device_ptrIiEEEEPS6_SG_NS0_5tupleIJNSA_16discard_iteratorINSA_11use_defaultEEES6_EEENSH_IJSG_SG_EEES6_PlJNSB_9not_fun_tI7is_trueIiEEEEEE10hipError_tPvRmT3_T4_T5_T6_T7_T9_mT8_P12ihipStream_tbDpT10_ENKUlT_T0_E_clISt17integral_constantIbLb0EES1A_IbLb1EEEEDaS16_S17_EUlS16_E_NS1_11comp_targetILNS1_3genE4ELNS1_11target_archE910ELNS1_3gpuE8ELNS1_3repE0EEENS1_30default_config_static_selectorELNS0_4arch9wavefront6targetE0EEEvT1_.has_indirect_call, 0
	.section	.AMDGPU.csdata,"",@progbits
; Kernel info:
; codeLenInByte = 0
; TotalNumSgprs: 0
; NumVgprs: 0
; ScratchSize: 0
; MemoryBound: 0
; FloatMode: 240
; IeeeMode: 1
; LDSByteSize: 0 bytes/workgroup (compile time only)
; SGPRBlocks: 0
; VGPRBlocks: 0
; NumSGPRsForWavesPerEU: 1
; NumVGPRsForWavesPerEU: 1
; Occupancy: 16
; WaveLimiterHint : 0
; COMPUTE_PGM_RSRC2:SCRATCH_EN: 0
; COMPUTE_PGM_RSRC2:USER_SGPR: 2
; COMPUTE_PGM_RSRC2:TRAP_HANDLER: 0
; COMPUTE_PGM_RSRC2:TGID_X_EN: 1
; COMPUTE_PGM_RSRC2:TGID_Y_EN: 0
; COMPUTE_PGM_RSRC2:TGID_Z_EN: 0
; COMPUTE_PGM_RSRC2:TIDIG_COMP_CNT: 0
	.section	.text._ZN7rocprim17ROCPRIM_400000_NS6detail17trampoline_kernelINS0_14default_configENS1_25partition_config_selectorILNS1_17partition_subalgoE6EiNS0_10empty_typeEbEEZZNS1_14partition_implILS5_6ELb0ES3_mN6thrust23THRUST_200600_302600_NS6detail15normal_iteratorINSA_10device_ptrIiEEEEPS6_SG_NS0_5tupleIJNSA_16discard_iteratorINSA_11use_defaultEEES6_EEENSH_IJSG_SG_EEES6_PlJNSB_9not_fun_tI7is_trueIiEEEEEE10hipError_tPvRmT3_T4_T5_T6_T7_T9_mT8_P12ihipStream_tbDpT10_ENKUlT_T0_E_clISt17integral_constantIbLb0EES1A_IbLb1EEEEDaS16_S17_EUlS16_E_NS1_11comp_targetILNS1_3genE3ELNS1_11target_archE908ELNS1_3gpuE7ELNS1_3repE0EEENS1_30default_config_static_selectorELNS0_4arch9wavefront6targetE0EEEvT1_,"axG",@progbits,_ZN7rocprim17ROCPRIM_400000_NS6detail17trampoline_kernelINS0_14default_configENS1_25partition_config_selectorILNS1_17partition_subalgoE6EiNS0_10empty_typeEbEEZZNS1_14partition_implILS5_6ELb0ES3_mN6thrust23THRUST_200600_302600_NS6detail15normal_iteratorINSA_10device_ptrIiEEEEPS6_SG_NS0_5tupleIJNSA_16discard_iteratorINSA_11use_defaultEEES6_EEENSH_IJSG_SG_EEES6_PlJNSB_9not_fun_tI7is_trueIiEEEEEE10hipError_tPvRmT3_T4_T5_T6_T7_T9_mT8_P12ihipStream_tbDpT10_ENKUlT_T0_E_clISt17integral_constantIbLb0EES1A_IbLb1EEEEDaS16_S17_EUlS16_E_NS1_11comp_targetILNS1_3genE3ELNS1_11target_archE908ELNS1_3gpuE7ELNS1_3repE0EEENS1_30default_config_static_selectorELNS0_4arch9wavefront6targetE0EEEvT1_,comdat
	.protected	_ZN7rocprim17ROCPRIM_400000_NS6detail17trampoline_kernelINS0_14default_configENS1_25partition_config_selectorILNS1_17partition_subalgoE6EiNS0_10empty_typeEbEEZZNS1_14partition_implILS5_6ELb0ES3_mN6thrust23THRUST_200600_302600_NS6detail15normal_iteratorINSA_10device_ptrIiEEEEPS6_SG_NS0_5tupleIJNSA_16discard_iteratorINSA_11use_defaultEEES6_EEENSH_IJSG_SG_EEES6_PlJNSB_9not_fun_tI7is_trueIiEEEEEE10hipError_tPvRmT3_T4_T5_T6_T7_T9_mT8_P12ihipStream_tbDpT10_ENKUlT_T0_E_clISt17integral_constantIbLb0EES1A_IbLb1EEEEDaS16_S17_EUlS16_E_NS1_11comp_targetILNS1_3genE3ELNS1_11target_archE908ELNS1_3gpuE7ELNS1_3repE0EEENS1_30default_config_static_selectorELNS0_4arch9wavefront6targetE0EEEvT1_ ; -- Begin function _ZN7rocprim17ROCPRIM_400000_NS6detail17trampoline_kernelINS0_14default_configENS1_25partition_config_selectorILNS1_17partition_subalgoE6EiNS0_10empty_typeEbEEZZNS1_14partition_implILS5_6ELb0ES3_mN6thrust23THRUST_200600_302600_NS6detail15normal_iteratorINSA_10device_ptrIiEEEEPS6_SG_NS0_5tupleIJNSA_16discard_iteratorINSA_11use_defaultEEES6_EEENSH_IJSG_SG_EEES6_PlJNSB_9not_fun_tI7is_trueIiEEEEEE10hipError_tPvRmT3_T4_T5_T6_T7_T9_mT8_P12ihipStream_tbDpT10_ENKUlT_T0_E_clISt17integral_constantIbLb0EES1A_IbLb1EEEEDaS16_S17_EUlS16_E_NS1_11comp_targetILNS1_3genE3ELNS1_11target_archE908ELNS1_3gpuE7ELNS1_3repE0EEENS1_30default_config_static_selectorELNS0_4arch9wavefront6targetE0EEEvT1_
	.globl	_ZN7rocprim17ROCPRIM_400000_NS6detail17trampoline_kernelINS0_14default_configENS1_25partition_config_selectorILNS1_17partition_subalgoE6EiNS0_10empty_typeEbEEZZNS1_14partition_implILS5_6ELb0ES3_mN6thrust23THRUST_200600_302600_NS6detail15normal_iteratorINSA_10device_ptrIiEEEEPS6_SG_NS0_5tupleIJNSA_16discard_iteratorINSA_11use_defaultEEES6_EEENSH_IJSG_SG_EEES6_PlJNSB_9not_fun_tI7is_trueIiEEEEEE10hipError_tPvRmT3_T4_T5_T6_T7_T9_mT8_P12ihipStream_tbDpT10_ENKUlT_T0_E_clISt17integral_constantIbLb0EES1A_IbLb1EEEEDaS16_S17_EUlS16_E_NS1_11comp_targetILNS1_3genE3ELNS1_11target_archE908ELNS1_3gpuE7ELNS1_3repE0EEENS1_30default_config_static_selectorELNS0_4arch9wavefront6targetE0EEEvT1_
	.p2align	8
	.type	_ZN7rocprim17ROCPRIM_400000_NS6detail17trampoline_kernelINS0_14default_configENS1_25partition_config_selectorILNS1_17partition_subalgoE6EiNS0_10empty_typeEbEEZZNS1_14partition_implILS5_6ELb0ES3_mN6thrust23THRUST_200600_302600_NS6detail15normal_iteratorINSA_10device_ptrIiEEEEPS6_SG_NS0_5tupleIJNSA_16discard_iteratorINSA_11use_defaultEEES6_EEENSH_IJSG_SG_EEES6_PlJNSB_9not_fun_tI7is_trueIiEEEEEE10hipError_tPvRmT3_T4_T5_T6_T7_T9_mT8_P12ihipStream_tbDpT10_ENKUlT_T0_E_clISt17integral_constantIbLb0EES1A_IbLb1EEEEDaS16_S17_EUlS16_E_NS1_11comp_targetILNS1_3genE3ELNS1_11target_archE908ELNS1_3gpuE7ELNS1_3repE0EEENS1_30default_config_static_selectorELNS0_4arch9wavefront6targetE0EEEvT1_,@function
_ZN7rocprim17ROCPRIM_400000_NS6detail17trampoline_kernelINS0_14default_configENS1_25partition_config_selectorILNS1_17partition_subalgoE6EiNS0_10empty_typeEbEEZZNS1_14partition_implILS5_6ELb0ES3_mN6thrust23THRUST_200600_302600_NS6detail15normal_iteratorINSA_10device_ptrIiEEEEPS6_SG_NS0_5tupleIJNSA_16discard_iteratorINSA_11use_defaultEEES6_EEENSH_IJSG_SG_EEES6_PlJNSB_9not_fun_tI7is_trueIiEEEEEE10hipError_tPvRmT3_T4_T5_T6_T7_T9_mT8_P12ihipStream_tbDpT10_ENKUlT_T0_E_clISt17integral_constantIbLb0EES1A_IbLb1EEEEDaS16_S17_EUlS16_E_NS1_11comp_targetILNS1_3genE3ELNS1_11target_archE908ELNS1_3gpuE7ELNS1_3repE0EEENS1_30default_config_static_selectorELNS0_4arch9wavefront6targetE0EEEvT1_: ; @_ZN7rocprim17ROCPRIM_400000_NS6detail17trampoline_kernelINS0_14default_configENS1_25partition_config_selectorILNS1_17partition_subalgoE6EiNS0_10empty_typeEbEEZZNS1_14partition_implILS5_6ELb0ES3_mN6thrust23THRUST_200600_302600_NS6detail15normal_iteratorINSA_10device_ptrIiEEEEPS6_SG_NS0_5tupleIJNSA_16discard_iteratorINSA_11use_defaultEEES6_EEENSH_IJSG_SG_EEES6_PlJNSB_9not_fun_tI7is_trueIiEEEEEE10hipError_tPvRmT3_T4_T5_T6_T7_T9_mT8_P12ihipStream_tbDpT10_ENKUlT_T0_E_clISt17integral_constantIbLb0EES1A_IbLb1EEEEDaS16_S17_EUlS16_E_NS1_11comp_targetILNS1_3genE3ELNS1_11target_archE908ELNS1_3gpuE7ELNS1_3repE0EEENS1_30default_config_static_selectorELNS0_4arch9wavefront6targetE0EEEvT1_
; %bb.0:
	.section	.rodata,"a",@progbits
	.p2align	6, 0x0
	.amdhsa_kernel _ZN7rocprim17ROCPRIM_400000_NS6detail17trampoline_kernelINS0_14default_configENS1_25partition_config_selectorILNS1_17partition_subalgoE6EiNS0_10empty_typeEbEEZZNS1_14partition_implILS5_6ELb0ES3_mN6thrust23THRUST_200600_302600_NS6detail15normal_iteratorINSA_10device_ptrIiEEEEPS6_SG_NS0_5tupleIJNSA_16discard_iteratorINSA_11use_defaultEEES6_EEENSH_IJSG_SG_EEES6_PlJNSB_9not_fun_tI7is_trueIiEEEEEE10hipError_tPvRmT3_T4_T5_T6_T7_T9_mT8_P12ihipStream_tbDpT10_ENKUlT_T0_E_clISt17integral_constantIbLb0EES1A_IbLb1EEEEDaS16_S17_EUlS16_E_NS1_11comp_targetILNS1_3genE3ELNS1_11target_archE908ELNS1_3gpuE7ELNS1_3repE0EEENS1_30default_config_static_selectorELNS0_4arch9wavefront6targetE0EEEvT1_
		.amdhsa_group_segment_fixed_size 0
		.amdhsa_private_segment_fixed_size 0
		.amdhsa_kernarg_size 136
		.amdhsa_user_sgpr_count 2
		.amdhsa_user_sgpr_dispatch_ptr 0
		.amdhsa_user_sgpr_queue_ptr 0
		.amdhsa_user_sgpr_kernarg_segment_ptr 1
		.amdhsa_user_sgpr_dispatch_id 0
		.amdhsa_user_sgpr_private_segment_size 0
		.amdhsa_wavefront_size32 1
		.amdhsa_uses_dynamic_stack 0
		.amdhsa_enable_private_segment 0
		.amdhsa_system_sgpr_workgroup_id_x 1
		.amdhsa_system_sgpr_workgroup_id_y 0
		.amdhsa_system_sgpr_workgroup_id_z 0
		.amdhsa_system_sgpr_workgroup_info 0
		.amdhsa_system_vgpr_workitem_id 0
		.amdhsa_next_free_vgpr 1
		.amdhsa_next_free_sgpr 1
		.amdhsa_reserve_vcc 0
		.amdhsa_float_round_mode_32 0
		.amdhsa_float_round_mode_16_64 0
		.amdhsa_float_denorm_mode_32 3
		.amdhsa_float_denorm_mode_16_64 3
		.amdhsa_fp16_overflow 0
		.amdhsa_workgroup_processor_mode 1
		.amdhsa_memory_ordered 1
		.amdhsa_forward_progress 1
		.amdhsa_inst_pref_size 0
		.amdhsa_round_robin_scheduling 0
		.amdhsa_exception_fp_ieee_invalid_op 0
		.amdhsa_exception_fp_denorm_src 0
		.amdhsa_exception_fp_ieee_div_zero 0
		.amdhsa_exception_fp_ieee_overflow 0
		.amdhsa_exception_fp_ieee_underflow 0
		.amdhsa_exception_fp_ieee_inexact 0
		.amdhsa_exception_int_div_zero 0
	.end_amdhsa_kernel
	.section	.text._ZN7rocprim17ROCPRIM_400000_NS6detail17trampoline_kernelINS0_14default_configENS1_25partition_config_selectorILNS1_17partition_subalgoE6EiNS0_10empty_typeEbEEZZNS1_14partition_implILS5_6ELb0ES3_mN6thrust23THRUST_200600_302600_NS6detail15normal_iteratorINSA_10device_ptrIiEEEEPS6_SG_NS0_5tupleIJNSA_16discard_iteratorINSA_11use_defaultEEES6_EEENSH_IJSG_SG_EEES6_PlJNSB_9not_fun_tI7is_trueIiEEEEEE10hipError_tPvRmT3_T4_T5_T6_T7_T9_mT8_P12ihipStream_tbDpT10_ENKUlT_T0_E_clISt17integral_constantIbLb0EES1A_IbLb1EEEEDaS16_S17_EUlS16_E_NS1_11comp_targetILNS1_3genE3ELNS1_11target_archE908ELNS1_3gpuE7ELNS1_3repE0EEENS1_30default_config_static_selectorELNS0_4arch9wavefront6targetE0EEEvT1_,"axG",@progbits,_ZN7rocprim17ROCPRIM_400000_NS6detail17trampoline_kernelINS0_14default_configENS1_25partition_config_selectorILNS1_17partition_subalgoE6EiNS0_10empty_typeEbEEZZNS1_14partition_implILS5_6ELb0ES3_mN6thrust23THRUST_200600_302600_NS6detail15normal_iteratorINSA_10device_ptrIiEEEEPS6_SG_NS0_5tupleIJNSA_16discard_iteratorINSA_11use_defaultEEES6_EEENSH_IJSG_SG_EEES6_PlJNSB_9not_fun_tI7is_trueIiEEEEEE10hipError_tPvRmT3_T4_T5_T6_T7_T9_mT8_P12ihipStream_tbDpT10_ENKUlT_T0_E_clISt17integral_constantIbLb0EES1A_IbLb1EEEEDaS16_S17_EUlS16_E_NS1_11comp_targetILNS1_3genE3ELNS1_11target_archE908ELNS1_3gpuE7ELNS1_3repE0EEENS1_30default_config_static_selectorELNS0_4arch9wavefront6targetE0EEEvT1_,comdat
.Lfunc_end2296:
	.size	_ZN7rocprim17ROCPRIM_400000_NS6detail17trampoline_kernelINS0_14default_configENS1_25partition_config_selectorILNS1_17partition_subalgoE6EiNS0_10empty_typeEbEEZZNS1_14partition_implILS5_6ELb0ES3_mN6thrust23THRUST_200600_302600_NS6detail15normal_iteratorINSA_10device_ptrIiEEEEPS6_SG_NS0_5tupleIJNSA_16discard_iteratorINSA_11use_defaultEEES6_EEENSH_IJSG_SG_EEES6_PlJNSB_9not_fun_tI7is_trueIiEEEEEE10hipError_tPvRmT3_T4_T5_T6_T7_T9_mT8_P12ihipStream_tbDpT10_ENKUlT_T0_E_clISt17integral_constantIbLb0EES1A_IbLb1EEEEDaS16_S17_EUlS16_E_NS1_11comp_targetILNS1_3genE3ELNS1_11target_archE908ELNS1_3gpuE7ELNS1_3repE0EEENS1_30default_config_static_selectorELNS0_4arch9wavefront6targetE0EEEvT1_, .Lfunc_end2296-_ZN7rocprim17ROCPRIM_400000_NS6detail17trampoline_kernelINS0_14default_configENS1_25partition_config_selectorILNS1_17partition_subalgoE6EiNS0_10empty_typeEbEEZZNS1_14partition_implILS5_6ELb0ES3_mN6thrust23THRUST_200600_302600_NS6detail15normal_iteratorINSA_10device_ptrIiEEEEPS6_SG_NS0_5tupleIJNSA_16discard_iteratorINSA_11use_defaultEEES6_EEENSH_IJSG_SG_EEES6_PlJNSB_9not_fun_tI7is_trueIiEEEEEE10hipError_tPvRmT3_T4_T5_T6_T7_T9_mT8_P12ihipStream_tbDpT10_ENKUlT_T0_E_clISt17integral_constantIbLb0EES1A_IbLb1EEEEDaS16_S17_EUlS16_E_NS1_11comp_targetILNS1_3genE3ELNS1_11target_archE908ELNS1_3gpuE7ELNS1_3repE0EEENS1_30default_config_static_selectorELNS0_4arch9wavefront6targetE0EEEvT1_
                                        ; -- End function
	.set _ZN7rocprim17ROCPRIM_400000_NS6detail17trampoline_kernelINS0_14default_configENS1_25partition_config_selectorILNS1_17partition_subalgoE6EiNS0_10empty_typeEbEEZZNS1_14partition_implILS5_6ELb0ES3_mN6thrust23THRUST_200600_302600_NS6detail15normal_iteratorINSA_10device_ptrIiEEEEPS6_SG_NS0_5tupleIJNSA_16discard_iteratorINSA_11use_defaultEEES6_EEENSH_IJSG_SG_EEES6_PlJNSB_9not_fun_tI7is_trueIiEEEEEE10hipError_tPvRmT3_T4_T5_T6_T7_T9_mT8_P12ihipStream_tbDpT10_ENKUlT_T0_E_clISt17integral_constantIbLb0EES1A_IbLb1EEEEDaS16_S17_EUlS16_E_NS1_11comp_targetILNS1_3genE3ELNS1_11target_archE908ELNS1_3gpuE7ELNS1_3repE0EEENS1_30default_config_static_selectorELNS0_4arch9wavefront6targetE0EEEvT1_.num_vgpr, 0
	.set _ZN7rocprim17ROCPRIM_400000_NS6detail17trampoline_kernelINS0_14default_configENS1_25partition_config_selectorILNS1_17partition_subalgoE6EiNS0_10empty_typeEbEEZZNS1_14partition_implILS5_6ELb0ES3_mN6thrust23THRUST_200600_302600_NS6detail15normal_iteratorINSA_10device_ptrIiEEEEPS6_SG_NS0_5tupleIJNSA_16discard_iteratorINSA_11use_defaultEEES6_EEENSH_IJSG_SG_EEES6_PlJNSB_9not_fun_tI7is_trueIiEEEEEE10hipError_tPvRmT3_T4_T5_T6_T7_T9_mT8_P12ihipStream_tbDpT10_ENKUlT_T0_E_clISt17integral_constantIbLb0EES1A_IbLb1EEEEDaS16_S17_EUlS16_E_NS1_11comp_targetILNS1_3genE3ELNS1_11target_archE908ELNS1_3gpuE7ELNS1_3repE0EEENS1_30default_config_static_selectorELNS0_4arch9wavefront6targetE0EEEvT1_.num_agpr, 0
	.set _ZN7rocprim17ROCPRIM_400000_NS6detail17trampoline_kernelINS0_14default_configENS1_25partition_config_selectorILNS1_17partition_subalgoE6EiNS0_10empty_typeEbEEZZNS1_14partition_implILS5_6ELb0ES3_mN6thrust23THRUST_200600_302600_NS6detail15normal_iteratorINSA_10device_ptrIiEEEEPS6_SG_NS0_5tupleIJNSA_16discard_iteratorINSA_11use_defaultEEES6_EEENSH_IJSG_SG_EEES6_PlJNSB_9not_fun_tI7is_trueIiEEEEEE10hipError_tPvRmT3_T4_T5_T6_T7_T9_mT8_P12ihipStream_tbDpT10_ENKUlT_T0_E_clISt17integral_constantIbLb0EES1A_IbLb1EEEEDaS16_S17_EUlS16_E_NS1_11comp_targetILNS1_3genE3ELNS1_11target_archE908ELNS1_3gpuE7ELNS1_3repE0EEENS1_30default_config_static_selectorELNS0_4arch9wavefront6targetE0EEEvT1_.numbered_sgpr, 0
	.set _ZN7rocprim17ROCPRIM_400000_NS6detail17trampoline_kernelINS0_14default_configENS1_25partition_config_selectorILNS1_17partition_subalgoE6EiNS0_10empty_typeEbEEZZNS1_14partition_implILS5_6ELb0ES3_mN6thrust23THRUST_200600_302600_NS6detail15normal_iteratorINSA_10device_ptrIiEEEEPS6_SG_NS0_5tupleIJNSA_16discard_iteratorINSA_11use_defaultEEES6_EEENSH_IJSG_SG_EEES6_PlJNSB_9not_fun_tI7is_trueIiEEEEEE10hipError_tPvRmT3_T4_T5_T6_T7_T9_mT8_P12ihipStream_tbDpT10_ENKUlT_T0_E_clISt17integral_constantIbLb0EES1A_IbLb1EEEEDaS16_S17_EUlS16_E_NS1_11comp_targetILNS1_3genE3ELNS1_11target_archE908ELNS1_3gpuE7ELNS1_3repE0EEENS1_30default_config_static_selectorELNS0_4arch9wavefront6targetE0EEEvT1_.num_named_barrier, 0
	.set _ZN7rocprim17ROCPRIM_400000_NS6detail17trampoline_kernelINS0_14default_configENS1_25partition_config_selectorILNS1_17partition_subalgoE6EiNS0_10empty_typeEbEEZZNS1_14partition_implILS5_6ELb0ES3_mN6thrust23THRUST_200600_302600_NS6detail15normal_iteratorINSA_10device_ptrIiEEEEPS6_SG_NS0_5tupleIJNSA_16discard_iteratorINSA_11use_defaultEEES6_EEENSH_IJSG_SG_EEES6_PlJNSB_9not_fun_tI7is_trueIiEEEEEE10hipError_tPvRmT3_T4_T5_T6_T7_T9_mT8_P12ihipStream_tbDpT10_ENKUlT_T0_E_clISt17integral_constantIbLb0EES1A_IbLb1EEEEDaS16_S17_EUlS16_E_NS1_11comp_targetILNS1_3genE3ELNS1_11target_archE908ELNS1_3gpuE7ELNS1_3repE0EEENS1_30default_config_static_selectorELNS0_4arch9wavefront6targetE0EEEvT1_.private_seg_size, 0
	.set _ZN7rocprim17ROCPRIM_400000_NS6detail17trampoline_kernelINS0_14default_configENS1_25partition_config_selectorILNS1_17partition_subalgoE6EiNS0_10empty_typeEbEEZZNS1_14partition_implILS5_6ELb0ES3_mN6thrust23THRUST_200600_302600_NS6detail15normal_iteratorINSA_10device_ptrIiEEEEPS6_SG_NS0_5tupleIJNSA_16discard_iteratorINSA_11use_defaultEEES6_EEENSH_IJSG_SG_EEES6_PlJNSB_9not_fun_tI7is_trueIiEEEEEE10hipError_tPvRmT3_T4_T5_T6_T7_T9_mT8_P12ihipStream_tbDpT10_ENKUlT_T0_E_clISt17integral_constantIbLb0EES1A_IbLb1EEEEDaS16_S17_EUlS16_E_NS1_11comp_targetILNS1_3genE3ELNS1_11target_archE908ELNS1_3gpuE7ELNS1_3repE0EEENS1_30default_config_static_selectorELNS0_4arch9wavefront6targetE0EEEvT1_.uses_vcc, 0
	.set _ZN7rocprim17ROCPRIM_400000_NS6detail17trampoline_kernelINS0_14default_configENS1_25partition_config_selectorILNS1_17partition_subalgoE6EiNS0_10empty_typeEbEEZZNS1_14partition_implILS5_6ELb0ES3_mN6thrust23THRUST_200600_302600_NS6detail15normal_iteratorINSA_10device_ptrIiEEEEPS6_SG_NS0_5tupleIJNSA_16discard_iteratorINSA_11use_defaultEEES6_EEENSH_IJSG_SG_EEES6_PlJNSB_9not_fun_tI7is_trueIiEEEEEE10hipError_tPvRmT3_T4_T5_T6_T7_T9_mT8_P12ihipStream_tbDpT10_ENKUlT_T0_E_clISt17integral_constantIbLb0EES1A_IbLb1EEEEDaS16_S17_EUlS16_E_NS1_11comp_targetILNS1_3genE3ELNS1_11target_archE908ELNS1_3gpuE7ELNS1_3repE0EEENS1_30default_config_static_selectorELNS0_4arch9wavefront6targetE0EEEvT1_.uses_flat_scratch, 0
	.set _ZN7rocprim17ROCPRIM_400000_NS6detail17trampoline_kernelINS0_14default_configENS1_25partition_config_selectorILNS1_17partition_subalgoE6EiNS0_10empty_typeEbEEZZNS1_14partition_implILS5_6ELb0ES3_mN6thrust23THRUST_200600_302600_NS6detail15normal_iteratorINSA_10device_ptrIiEEEEPS6_SG_NS0_5tupleIJNSA_16discard_iteratorINSA_11use_defaultEEES6_EEENSH_IJSG_SG_EEES6_PlJNSB_9not_fun_tI7is_trueIiEEEEEE10hipError_tPvRmT3_T4_T5_T6_T7_T9_mT8_P12ihipStream_tbDpT10_ENKUlT_T0_E_clISt17integral_constantIbLb0EES1A_IbLb1EEEEDaS16_S17_EUlS16_E_NS1_11comp_targetILNS1_3genE3ELNS1_11target_archE908ELNS1_3gpuE7ELNS1_3repE0EEENS1_30default_config_static_selectorELNS0_4arch9wavefront6targetE0EEEvT1_.has_dyn_sized_stack, 0
	.set _ZN7rocprim17ROCPRIM_400000_NS6detail17trampoline_kernelINS0_14default_configENS1_25partition_config_selectorILNS1_17partition_subalgoE6EiNS0_10empty_typeEbEEZZNS1_14partition_implILS5_6ELb0ES3_mN6thrust23THRUST_200600_302600_NS6detail15normal_iteratorINSA_10device_ptrIiEEEEPS6_SG_NS0_5tupleIJNSA_16discard_iteratorINSA_11use_defaultEEES6_EEENSH_IJSG_SG_EEES6_PlJNSB_9not_fun_tI7is_trueIiEEEEEE10hipError_tPvRmT3_T4_T5_T6_T7_T9_mT8_P12ihipStream_tbDpT10_ENKUlT_T0_E_clISt17integral_constantIbLb0EES1A_IbLb1EEEEDaS16_S17_EUlS16_E_NS1_11comp_targetILNS1_3genE3ELNS1_11target_archE908ELNS1_3gpuE7ELNS1_3repE0EEENS1_30default_config_static_selectorELNS0_4arch9wavefront6targetE0EEEvT1_.has_recursion, 0
	.set _ZN7rocprim17ROCPRIM_400000_NS6detail17trampoline_kernelINS0_14default_configENS1_25partition_config_selectorILNS1_17partition_subalgoE6EiNS0_10empty_typeEbEEZZNS1_14partition_implILS5_6ELb0ES3_mN6thrust23THRUST_200600_302600_NS6detail15normal_iteratorINSA_10device_ptrIiEEEEPS6_SG_NS0_5tupleIJNSA_16discard_iteratorINSA_11use_defaultEEES6_EEENSH_IJSG_SG_EEES6_PlJNSB_9not_fun_tI7is_trueIiEEEEEE10hipError_tPvRmT3_T4_T5_T6_T7_T9_mT8_P12ihipStream_tbDpT10_ENKUlT_T0_E_clISt17integral_constantIbLb0EES1A_IbLb1EEEEDaS16_S17_EUlS16_E_NS1_11comp_targetILNS1_3genE3ELNS1_11target_archE908ELNS1_3gpuE7ELNS1_3repE0EEENS1_30default_config_static_selectorELNS0_4arch9wavefront6targetE0EEEvT1_.has_indirect_call, 0
	.section	.AMDGPU.csdata,"",@progbits
; Kernel info:
; codeLenInByte = 0
; TotalNumSgprs: 0
; NumVgprs: 0
; ScratchSize: 0
; MemoryBound: 0
; FloatMode: 240
; IeeeMode: 1
; LDSByteSize: 0 bytes/workgroup (compile time only)
; SGPRBlocks: 0
; VGPRBlocks: 0
; NumSGPRsForWavesPerEU: 1
; NumVGPRsForWavesPerEU: 1
; Occupancy: 16
; WaveLimiterHint : 0
; COMPUTE_PGM_RSRC2:SCRATCH_EN: 0
; COMPUTE_PGM_RSRC2:USER_SGPR: 2
; COMPUTE_PGM_RSRC2:TRAP_HANDLER: 0
; COMPUTE_PGM_RSRC2:TGID_X_EN: 1
; COMPUTE_PGM_RSRC2:TGID_Y_EN: 0
; COMPUTE_PGM_RSRC2:TGID_Z_EN: 0
; COMPUTE_PGM_RSRC2:TIDIG_COMP_CNT: 0
	.section	.text._ZN7rocprim17ROCPRIM_400000_NS6detail17trampoline_kernelINS0_14default_configENS1_25partition_config_selectorILNS1_17partition_subalgoE6EiNS0_10empty_typeEbEEZZNS1_14partition_implILS5_6ELb0ES3_mN6thrust23THRUST_200600_302600_NS6detail15normal_iteratorINSA_10device_ptrIiEEEEPS6_SG_NS0_5tupleIJNSA_16discard_iteratorINSA_11use_defaultEEES6_EEENSH_IJSG_SG_EEES6_PlJNSB_9not_fun_tI7is_trueIiEEEEEE10hipError_tPvRmT3_T4_T5_T6_T7_T9_mT8_P12ihipStream_tbDpT10_ENKUlT_T0_E_clISt17integral_constantIbLb0EES1A_IbLb1EEEEDaS16_S17_EUlS16_E_NS1_11comp_targetILNS1_3genE2ELNS1_11target_archE906ELNS1_3gpuE6ELNS1_3repE0EEENS1_30default_config_static_selectorELNS0_4arch9wavefront6targetE0EEEvT1_,"axG",@progbits,_ZN7rocprim17ROCPRIM_400000_NS6detail17trampoline_kernelINS0_14default_configENS1_25partition_config_selectorILNS1_17partition_subalgoE6EiNS0_10empty_typeEbEEZZNS1_14partition_implILS5_6ELb0ES3_mN6thrust23THRUST_200600_302600_NS6detail15normal_iteratorINSA_10device_ptrIiEEEEPS6_SG_NS0_5tupleIJNSA_16discard_iteratorINSA_11use_defaultEEES6_EEENSH_IJSG_SG_EEES6_PlJNSB_9not_fun_tI7is_trueIiEEEEEE10hipError_tPvRmT3_T4_T5_T6_T7_T9_mT8_P12ihipStream_tbDpT10_ENKUlT_T0_E_clISt17integral_constantIbLb0EES1A_IbLb1EEEEDaS16_S17_EUlS16_E_NS1_11comp_targetILNS1_3genE2ELNS1_11target_archE906ELNS1_3gpuE6ELNS1_3repE0EEENS1_30default_config_static_selectorELNS0_4arch9wavefront6targetE0EEEvT1_,comdat
	.protected	_ZN7rocprim17ROCPRIM_400000_NS6detail17trampoline_kernelINS0_14default_configENS1_25partition_config_selectorILNS1_17partition_subalgoE6EiNS0_10empty_typeEbEEZZNS1_14partition_implILS5_6ELb0ES3_mN6thrust23THRUST_200600_302600_NS6detail15normal_iteratorINSA_10device_ptrIiEEEEPS6_SG_NS0_5tupleIJNSA_16discard_iteratorINSA_11use_defaultEEES6_EEENSH_IJSG_SG_EEES6_PlJNSB_9not_fun_tI7is_trueIiEEEEEE10hipError_tPvRmT3_T4_T5_T6_T7_T9_mT8_P12ihipStream_tbDpT10_ENKUlT_T0_E_clISt17integral_constantIbLb0EES1A_IbLb1EEEEDaS16_S17_EUlS16_E_NS1_11comp_targetILNS1_3genE2ELNS1_11target_archE906ELNS1_3gpuE6ELNS1_3repE0EEENS1_30default_config_static_selectorELNS0_4arch9wavefront6targetE0EEEvT1_ ; -- Begin function _ZN7rocprim17ROCPRIM_400000_NS6detail17trampoline_kernelINS0_14default_configENS1_25partition_config_selectorILNS1_17partition_subalgoE6EiNS0_10empty_typeEbEEZZNS1_14partition_implILS5_6ELb0ES3_mN6thrust23THRUST_200600_302600_NS6detail15normal_iteratorINSA_10device_ptrIiEEEEPS6_SG_NS0_5tupleIJNSA_16discard_iteratorINSA_11use_defaultEEES6_EEENSH_IJSG_SG_EEES6_PlJNSB_9not_fun_tI7is_trueIiEEEEEE10hipError_tPvRmT3_T4_T5_T6_T7_T9_mT8_P12ihipStream_tbDpT10_ENKUlT_T0_E_clISt17integral_constantIbLb0EES1A_IbLb1EEEEDaS16_S17_EUlS16_E_NS1_11comp_targetILNS1_3genE2ELNS1_11target_archE906ELNS1_3gpuE6ELNS1_3repE0EEENS1_30default_config_static_selectorELNS0_4arch9wavefront6targetE0EEEvT1_
	.globl	_ZN7rocprim17ROCPRIM_400000_NS6detail17trampoline_kernelINS0_14default_configENS1_25partition_config_selectorILNS1_17partition_subalgoE6EiNS0_10empty_typeEbEEZZNS1_14partition_implILS5_6ELb0ES3_mN6thrust23THRUST_200600_302600_NS6detail15normal_iteratorINSA_10device_ptrIiEEEEPS6_SG_NS0_5tupleIJNSA_16discard_iteratorINSA_11use_defaultEEES6_EEENSH_IJSG_SG_EEES6_PlJNSB_9not_fun_tI7is_trueIiEEEEEE10hipError_tPvRmT3_T4_T5_T6_T7_T9_mT8_P12ihipStream_tbDpT10_ENKUlT_T0_E_clISt17integral_constantIbLb0EES1A_IbLb1EEEEDaS16_S17_EUlS16_E_NS1_11comp_targetILNS1_3genE2ELNS1_11target_archE906ELNS1_3gpuE6ELNS1_3repE0EEENS1_30default_config_static_selectorELNS0_4arch9wavefront6targetE0EEEvT1_
	.p2align	8
	.type	_ZN7rocprim17ROCPRIM_400000_NS6detail17trampoline_kernelINS0_14default_configENS1_25partition_config_selectorILNS1_17partition_subalgoE6EiNS0_10empty_typeEbEEZZNS1_14partition_implILS5_6ELb0ES3_mN6thrust23THRUST_200600_302600_NS6detail15normal_iteratorINSA_10device_ptrIiEEEEPS6_SG_NS0_5tupleIJNSA_16discard_iteratorINSA_11use_defaultEEES6_EEENSH_IJSG_SG_EEES6_PlJNSB_9not_fun_tI7is_trueIiEEEEEE10hipError_tPvRmT3_T4_T5_T6_T7_T9_mT8_P12ihipStream_tbDpT10_ENKUlT_T0_E_clISt17integral_constantIbLb0EES1A_IbLb1EEEEDaS16_S17_EUlS16_E_NS1_11comp_targetILNS1_3genE2ELNS1_11target_archE906ELNS1_3gpuE6ELNS1_3repE0EEENS1_30default_config_static_selectorELNS0_4arch9wavefront6targetE0EEEvT1_,@function
_ZN7rocprim17ROCPRIM_400000_NS6detail17trampoline_kernelINS0_14default_configENS1_25partition_config_selectorILNS1_17partition_subalgoE6EiNS0_10empty_typeEbEEZZNS1_14partition_implILS5_6ELb0ES3_mN6thrust23THRUST_200600_302600_NS6detail15normal_iteratorINSA_10device_ptrIiEEEEPS6_SG_NS0_5tupleIJNSA_16discard_iteratorINSA_11use_defaultEEES6_EEENSH_IJSG_SG_EEES6_PlJNSB_9not_fun_tI7is_trueIiEEEEEE10hipError_tPvRmT3_T4_T5_T6_T7_T9_mT8_P12ihipStream_tbDpT10_ENKUlT_T0_E_clISt17integral_constantIbLb0EES1A_IbLb1EEEEDaS16_S17_EUlS16_E_NS1_11comp_targetILNS1_3genE2ELNS1_11target_archE906ELNS1_3gpuE6ELNS1_3repE0EEENS1_30default_config_static_selectorELNS0_4arch9wavefront6targetE0EEEvT1_: ; @_ZN7rocprim17ROCPRIM_400000_NS6detail17trampoline_kernelINS0_14default_configENS1_25partition_config_selectorILNS1_17partition_subalgoE6EiNS0_10empty_typeEbEEZZNS1_14partition_implILS5_6ELb0ES3_mN6thrust23THRUST_200600_302600_NS6detail15normal_iteratorINSA_10device_ptrIiEEEEPS6_SG_NS0_5tupleIJNSA_16discard_iteratorINSA_11use_defaultEEES6_EEENSH_IJSG_SG_EEES6_PlJNSB_9not_fun_tI7is_trueIiEEEEEE10hipError_tPvRmT3_T4_T5_T6_T7_T9_mT8_P12ihipStream_tbDpT10_ENKUlT_T0_E_clISt17integral_constantIbLb0EES1A_IbLb1EEEEDaS16_S17_EUlS16_E_NS1_11comp_targetILNS1_3genE2ELNS1_11target_archE906ELNS1_3gpuE6ELNS1_3repE0EEENS1_30default_config_static_selectorELNS0_4arch9wavefront6targetE0EEEvT1_
; %bb.0:
	.section	.rodata,"a",@progbits
	.p2align	6, 0x0
	.amdhsa_kernel _ZN7rocprim17ROCPRIM_400000_NS6detail17trampoline_kernelINS0_14default_configENS1_25partition_config_selectorILNS1_17partition_subalgoE6EiNS0_10empty_typeEbEEZZNS1_14partition_implILS5_6ELb0ES3_mN6thrust23THRUST_200600_302600_NS6detail15normal_iteratorINSA_10device_ptrIiEEEEPS6_SG_NS0_5tupleIJNSA_16discard_iteratorINSA_11use_defaultEEES6_EEENSH_IJSG_SG_EEES6_PlJNSB_9not_fun_tI7is_trueIiEEEEEE10hipError_tPvRmT3_T4_T5_T6_T7_T9_mT8_P12ihipStream_tbDpT10_ENKUlT_T0_E_clISt17integral_constantIbLb0EES1A_IbLb1EEEEDaS16_S17_EUlS16_E_NS1_11comp_targetILNS1_3genE2ELNS1_11target_archE906ELNS1_3gpuE6ELNS1_3repE0EEENS1_30default_config_static_selectorELNS0_4arch9wavefront6targetE0EEEvT1_
		.amdhsa_group_segment_fixed_size 0
		.amdhsa_private_segment_fixed_size 0
		.amdhsa_kernarg_size 136
		.amdhsa_user_sgpr_count 2
		.amdhsa_user_sgpr_dispatch_ptr 0
		.amdhsa_user_sgpr_queue_ptr 0
		.amdhsa_user_sgpr_kernarg_segment_ptr 1
		.amdhsa_user_sgpr_dispatch_id 0
		.amdhsa_user_sgpr_private_segment_size 0
		.amdhsa_wavefront_size32 1
		.amdhsa_uses_dynamic_stack 0
		.amdhsa_enable_private_segment 0
		.amdhsa_system_sgpr_workgroup_id_x 1
		.amdhsa_system_sgpr_workgroup_id_y 0
		.amdhsa_system_sgpr_workgroup_id_z 0
		.amdhsa_system_sgpr_workgroup_info 0
		.amdhsa_system_vgpr_workitem_id 0
		.amdhsa_next_free_vgpr 1
		.amdhsa_next_free_sgpr 1
		.amdhsa_reserve_vcc 0
		.amdhsa_float_round_mode_32 0
		.amdhsa_float_round_mode_16_64 0
		.amdhsa_float_denorm_mode_32 3
		.amdhsa_float_denorm_mode_16_64 3
		.amdhsa_fp16_overflow 0
		.amdhsa_workgroup_processor_mode 1
		.amdhsa_memory_ordered 1
		.amdhsa_forward_progress 1
		.amdhsa_inst_pref_size 0
		.amdhsa_round_robin_scheduling 0
		.amdhsa_exception_fp_ieee_invalid_op 0
		.amdhsa_exception_fp_denorm_src 0
		.amdhsa_exception_fp_ieee_div_zero 0
		.amdhsa_exception_fp_ieee_overflow 0
		.amdhsa_exception_fp_ieee_underflow 0
		.amdhsa_exception_fp_ieee_inexact 0
		.amdhsa_exception_int_div_zero 0
	.end_amdhsa_kernel
	.section	.text._ZN7rocprim17ROCPRIM_400000_NS6detail17trampoline_kernelINS0_14default_configENS1_25partition_config_selectorILNS1_17partition_subalgoE6EiNS0_10empty_typeEbEEZZNS1_14partition_implILS5_6ELb0ES3_mN6thrust23THRUST_200600_302600_NS6detail15normal_iteratorINSA_10device_ptrIiEEEEPS6_SG_NS0_5tupleIJNSA_16discard_iteratorINSA_11use_defaultEEES6_EEENSH_IJSG_SG_EEES6_PlJNSB_9not_fun_tI7is_trueIiEEEEEE10hipError_tPvRmT3_T4_T5_T6_T7_T9_mT8_P12ihipStream_tbDpT10_ENKUlT_T0_E_clISt17integral_constantIbLb0EES1A_IbLb1EEEEDaS16_S17_EUlS16_E_NS1_11comp_targetILNS1_3genE2ELNS1_11target_archE906ELNS1_3gpuE6ELNS1_3repE0EEENS1_30default_config_static_selectorELNS0_4arch9wavefront6targetE0EEEvT1_,"axG",@progbits,_ZN7rocprim17ROCPRIM_400000_NS6detail17trampoline_kernelINS0_14default_configENS1_25partition_config_selectorILNS1_17partition_subalgoE6EiNS0_10empty_typeEbEEZZNS1_14partition_implILS5_6ELb0ES3_mN6thrust23THRUST_200600_302600_NS6detail15normal_iteratorINSA_10device_ptrIiEEEEPS6_SG_NS0_5tupleIJNSA_16discard_iteratorINSA_11use_defaultEEES6_EEENSH_IJSG_SG_EEES6_PlJNSB_9not_fun_tI7is_trueIiEEEEEE10hipError_tPvRmT3_T4_T5_T6_T7_T9_mT8_P12ihipStream_tbDpT10_ENKUlT_T0_E_clISt17integral_constantIbLb0EES1A_IbLb1EEEEDaS16_S17_EUlS16_E_NS1_11comp_targetILNS1_3genE2ELNS1_11target_archE906ELNS1_3gpuE6ELNS1_3repE0EEENS1_30default_config_static_selectorELNS0_4arch9wavefront6targetE0EEEvT1_,comdat
.Lfunc_end2297:
	.size	_ZN7rocprim17ROCPRIM_400000_NS6detail17trampoline_kernelINS0_14default_configENS1_25partition_config_selectorILNS1_17partition_subalgoE6EiNS0_10empty_typeEbEEZZNS1_14partition_implILS5_6ELb0ES3_mN6thrust23THRUST_200600_302600_NS6detail15normal_iteratorINSA_10device_ptrIiEEEEPS6_SG_NS0_5tupleIJNSA_16discard_iteratorINSA_11use_defaultEEES6_EEENSH_IJSG_SG_EEES6_PlJNSB_9not_fun_tI7is_trueIiEEEEEE10hipError_tPvRmT3_T4_T5_T6_T7_T9_mT8_P12ihipStream_tbDpT10_ENKUlT_T0_E_clISt17integral_constantIbLb0EES1A_IbLb1EEEEDaS16_S17_EUlS16_E_NS1_11comp_targetILNS1_3genE2ELNS1_11target_archE906ELNS1_3gpuE6ELNS1_3repE0EEENS1_30default_config_static_selectorELNS0_4arch9wavefront6targetE0EEEvT1_, .Lfunc_end2297-_ZN7rocprim17ROCPRIM_400000_NS6detail17trampoline_kernelINS0_14default_configENS1_25partition_config_selectorILNS1_17partition_subalgoE6EiNS0_10empty_typeEbEEZZNS1_14partition_implILS5_6ELb0ES3_mN6thrust23THRUST_200600_302600_NS6detail15normal_iteratorINSA_10device_ptrIiEEEEPS6_SG_NS0_5tupleIJNSA_16discard_iteratorINSA_11use_defaultEEES6_EEENSH_IJSG_SG_EEES6_PlJNSB_9not_fun_tI7is_trueIiEEEEEE10hipError_tPvRmT3_T4_T5_T6_T7_T9_mT8_P12ihipStream_tbDpT10_ENKUlT_T0_E_clISt17integral_constantIbLb0EES1A_IbLb1EEEEDaS16_S17_EUlS16_E_NS1_11comp_targetILNS1_3genE2ELNS1_11target_archE906ELNS1_3gpuE6ELNS1_3repE0EEENS1_30default_config_static_selectorELNS0_4arch9wavefront6targetE0EEEvT1_
                                        ; -- End function
	.set _ZN7rocprim17ROCPRIM_400000_NS6detail17trampoline_kernelINS0_14default_configENS1_25partition_config_selectorILNS1_17partition_subalgoE6EiNS0_10empty_typeEbEEZZNS1_14partition_implILS5_6ELb0ES3_mN6thrust23THRUST_200600_302600_NS6detail15normal_iteratorINSA_10device_ptrIiEEEEPS6_SG_NS0_5tupleIJNSA_16discard_iteratorINSA_11use_defaultEEES6_EEENSH_IJSG_SG_EEES6_PlJNSB_9not_fun_tI7is_trueIiEEEEEE10hipError_tPvRmT3_T4_T5_T6_T7_T9_mT8_P12ihipStream_tbDpT10_ENKUlT_T0_E_clISt17integral_constantIbLb0EES1A_IbLb1EEEEDaS16_S17_EUlS16_E_NS1_11comp_targetILNS1_3genE2ELNS1_11target_archE906ELNS1_3gpuE6ELNS1_3repE0EEENS1_30default_config_static_selectorELNS0_4arch9wavefront6targetE0EEEvT1_.num_vgpr, 0
	.set _ZN7rocprim17ROCPRIM_400000_NS6detail17trampoline_kernelINS0_14default_configENS1_25partition_config_selectorILNS1_17partition_subalgoE6EiNS0_10empty_typeEbEEZZNS1_14partition_implILS5_6ELb0ES3_mN6thrust23THRUST_200600_302600_NS6detail15normal_iteratorINSA_10device_ptrIiEEEEPS6_SG_NS0_5tupleIJNSA_16discard_iteratorINSA_11use_defaultEEES6_EEENSH_IJSG_SG_EEES6_PlJNSB_9not_fun_tI7is_trueIiEEEEEE10hipError_tPvRmT3_T4_T5_T6_T7_T9_mT8_P12ihipStream_tbDpT10_ENKUlT_T0_E_clISt17integral_constantIbLb0EES1A_IbLb1EEEEDaS16_S17_EUlS16_E_NS1_11comp_targetILNS1_3genE2ELNS1_11target_archE906ELNS1_3gpuE6ELNS1_3repE0EEENS1_30default_config_static_selectorELNS0_4arch9wavefront6targetE0EEEvT1_.num_agpr, 0
	.set _ZN7rocprim17ROCPRIM_400000_NS6detail17trampoline_kernelINS0_14default_configENS1_25partition_config_selectorILNS1_17partition_subalgoE6EiNS0_10empty_typeEbEEZZNS1_14partition_implILS5_6ELb0ES3_mN6thrust23THRUST_200600_302600_NS6detail15normal_iteratorINSA_10device_ptrIiEEEEPS6_SG_NS0_5tupleIJNSA_16discard_iteratorINSA_11use_defaultEEES6_EEENSH_IJSG_SG_EEES6_PlJNSB_9not_fun_tI7is_trueIiEEEEEE10hipError_tPvRmT3_T4_T5_T6_T7_T9_mT8_P12ihipStream_tbDpT10_ENKUlT_T0_E_clISt17integral_constantIbLb0EES1A_IbLb1EEEEDaS16_S17_EUlS16_E_NS1_11comp_targetILNS1_3genE2ELNS1_11target_archE906ELNS1_3gpuE6ELNS1_3repE0EEENS1_30default_config_static_selectorELNS0_4arch9wavefront6targetE0EEEvT1_.numbered_sgpr, 0
	.set _ZN7rocprim17ROCPRIM_400000_NS6detail17trampoline_kernelINS0_14default_configENS1_25partition_config_selectorILNS1_17partition_subalgoE6EiNS0_10empty_typeEbEEZZNS1_14partition_implILS5_6ELb0ES3_mN6thrust23THRUST_200600_302600_NS6detail15normal_iteratorINSA_10device_ptrIiEEEEPS6_SG_NS0_5tupleIJNSA_16discard_iteratorINSA_11use_defaultEEES6_EEENSH_IJSG_SG_EEES6_PlJNSB_9not_fun_tI7is_trueIiEEEEEE10hipError_tPvRmT3_T4_T5_T6_T7_T9_mT8_P12ihipStream_tbDpT10_ENKUlT_T0_E_clISt17integral_constantIbLb0EES1A_IbLb1EEEEDaS16_S17_EUlS16_E_NS1_11comp_targetILNS1_3genE2ELNS1_11target_archE906ELNS1_3gpuE6ELNS1_3repE0EEENS1_30default_config_static_selectorELNS0_4arch9wavefront6targetE0EEEvT1_.num_named_barrier, 0
	.set _ZN7rocprim17ROCPRIM_400000_NS6detail17trampoline_kernelINS0_14default_configENS1_25partition_config_selectorILNS1_17partition_subalgoE6EiNS0_10empty_typeEbEEZZNS1_14partition_implILS5_6ELb0ES3_mN6thrust23THRUST_200600_302600_NS6detail15normal_iteratorINSA_10device_ptrIiEEEEPS6_SG_NS0_5tupleIJNSA_16discard_iteratorINSA_11use_defaultEEES6_EEENSH_IJSG_SG_EEES6_PlJNSB_9not_fun_tI7is_trueIiEEEEEE10hipError_tPvRmT3_T4_T5_T6_T7_T9_mT8_P12ihipStream_tbDpT10_ENKUlT_T0_E_clISt17integral_constantIbLb0EES1A_IbLb1EEEEDaS16_S17_EUlS16_E_NS1_11comp_targetILNS1_3genE2ELNS1_11target_archE906ELNS1_3gpuE6ELNS1_3repE0EEENS1_30default_config_static_selectorELNS0_4arch9wavefront6targetE0EEEvT1_.private_seg_size, 0
	.set _ZN7rocprim17ROCPRIM_400000_NS6detail17trampoline_kernelINS0_14default_configENS1_25partition_config_selectorILNS1_17partition_subalgoE6EiNS0_10empty_typeEbEEZZNS1_14partition_implILS5_6ELb0ES3_mN6thrust23THRUST_200600_302600_NS6detail15normal_iteratorINSA_10device_ptrIiEEEEPS6_SG_NS0_5tupleIJNSA_16discard_iteratorINSA_11use_defaultEEES6_EEENSH_IJSG_SG_EEES6_PlJNSB_9not_fun_tI7is_trueIiEEEEEE10hipError_tPvRmT3_T4_T5_T6_T7_T9_mT8_P12ihipStream_tbDpT10_ENKUlT_T0_E_clISt17integral_constantIbLb0EES1A_IbLb1EEEEDaS16_S17_EUlS16_E_NS1_11comp_targetILNS1_3genE2ELNS1_11target_archE906ELNS1_3gpuE6ELNS1_3repE0EEENS1_30default_config_static_selectorELNS0_4arch9wavefront6targetE0EEEvT1_.uses_vcc, 0
	.set _ZN7rocprim17ROCPRIM_400000_NS6detail17trampoline_kernelINS0_14default_configENS1_25partition_config_selectorILNS1_17partition_subalgoE6EiNS0_10empty_typeEbEEZZNS1_14partition_implILS5_6ELb0ES3_mN6thrust23THRUST_200600_302600_NS6detail15normal_iteratorINSA_10device_ptrIiEEEEPS6_SG_NS0_5tupleIJNSA_16discard_iteratorINSA_11use_defaultEEES6_EEENSH_IJSG_SG_EEES6_PlJNSB_9not_fun_tI7is_trueIiEEEEEE10hipError_tPvRmT3_T4_T5_T6_T7_T9_mT8_P12ihipStream_tbDpT10_ENKUlT_T0_E_clISt17integral_constantIbLb0EES1A_IbLb1EEEEDaS16_S17_EUlS16_E_NS1_11comp_targetILNS1_3genE2ELNS1_11target_archE906ELNS1_3gpuE6ELNS1_3repE0EEENS1_30default_config_static_selectorELNS0_4arch9wavefront6targetE0EEEvT1_.uses_flat_scratch, 0
	.set _ZN7rocprim17ROCPRIM_400000_NS6detail17trampoline_kernelINS0_14default_configENS1_25partition_config_selectorILNS1_17partition_subalgoE6EiNS0_10empty_typeEbEEZZNS1_14partition_implILS5_6ELb0ES3_mN6thrust23THRUST_200600_302600_NS6detail15normal_iteratorINSA_10device_ptrIiEEEEPS6_SG_NS0_5tupleIJNSA_16discard_iteratorINSA_11use_defaultEEES6_EEENSH_IJSG_SG_EEES6_PlJNSB_9not_fun_tI7is_trueIiEEEEEE10hipError_tPvRmT3_T4_T5_T6_T7_T9_mT8_P12ihipStream_tbDpT10_ENKUlT_T0_E_clISt17integral_constantIbLb0EES1A_IbLb1EEEEDaS16_S17_EUlS16_E_NS1_11comp_targetILNS1_3genE2ELNS1_11target_archE906ELNS1_3gpuE6ELNS1_3repE0EEENS1_30default_config_static_selectorELNS0_4arch9wavefront6targetE0EEEvT1_.has_dyn_sized_stack, 0
	.set _ZN7rocprim17ROCPRIM_400000_NS6detail17trampoline_kernelINS0_14default_configENS1_25partition_config_selectorILNS1_17partition_subalgoE6EiNS0_10empty_typeEbEEZZNS1_14partition_implILS5_6ELb0ES3_mN6thrust23THRUST_200600_302600_NS6detail15normal_iteratorINSA_10device_ptrIiEEEEPS6_SG_NS0_5tupleIJNSA_16discard_iteratorINSA_11use_defaultEEES6_EEENSH_IJSG_SG_EEES6_PlJNSB_9not_fun_tI7is_trueIiEEEEEE10hipError_tPvRmT3_T4_T5_T6_T7_T9_mT8_P12ihipStream_tbDpT10_ENKUlT_T0_E_clISt17integral_constantIbLb0EES1A_IbLb1EEEEDaS16_S17_EUlS16_E_NS1_11comp_targetILNS1_3genE2ELNS1_11target_archE906ELNS1_3gpuE6ELNS1_3repE0EEENS1_30default_config_static_selectorELNS0_4arch9wavefront6targetE0EEEvT1_.has_recursion, 0
	.set _ZN7rocprim17ROCPRIM_400000_NS6detail17trampoline_kernelINS0_14default_configENS1_25partition_config_selectorILNS1_17partition_subalgoE6EiNS0_10empty_typeEbEEZZNS1_14partition_implILS5_6ELb0ES3_mN6thrust23THRUST_200600_302600_NS6detail15normal_iteratorINSA_10device_ptrIiEEEEPS6_SG_NS0_5tupleIJNSA_16discard_iteratorINSA_11use_defaultEEES6_EEENSH_IJSG_SG_EEES6_PlJNSB_9not_fun_tI7is_trueIiEEEEEE10hipError_tPvRmT3_T4_T5_T6_T7_T9_mT8_P12ihipStream_tbDpT10_ENKUlT_T0_E_clISt17integral_constantIbLb0EES1A_IbLb1EEEEDaS16_S17_EUlS16_E_NS1_11comp_targetILNS1_3genE2ELNS1_11target_archE906ELNS1_3gpuE6ELNS1_3repE0EEENS1_30default_config_static_selectorELNS0_4arch9wavefront6targetE0EEEvT1_.has_indirect_call, 0
	.section	.AMDGPU.csdata,"",@progbits
; Kernel info:
; codeLenInByte = 0
; TotalNumSgprs: 0
; NumVgprs: 0
; ScratchSize: 0
; MemoryBound: 0
; FloatMode: 240
; IeeeMode: 1
; LDSByteSize: 0 bytes/workgroup (compile time only)
; SGPRBlocks: 0
; VGPRBlocks: 0
; NumSGPRsForWavesPerEU: 1
; NumVGPRsForWavesPerEU: 1
; Occupancy: 16
; WaveLimiterHint : 0
; COMPUTE_PGM_RSRC2:SCRATCH_EN: 0
; COMPUTE_PGM_RSRC2:USER_SGPR: 2
; COMPUTE_PGM_RSRC2:TRAP_HANDLER: 0
; COMPUTE_PGM_RSRC2:TGID_X_EN: 1
; COMPUTE_PGM_RSRC2:TGID_Y_EN: 0
; COMPUTE_PGM_RSRC2:TGID_Z_EN: 0
; COMPUTE_PGM_RSRC2:TIDIG_COMP_CNT: 0
	.section	.text._ZN7rocprim17ROCPRIM_400000_NS6detail17trampoline_kernelINS0_14default_configENS1_25partition_config_selectorILNS1_17partition_subalgoE6EiNS0_10empty_typeEbEEZZNS1_14partition_implILS5_6ELb0ES3_mN6thrust23THRUST_200600_302600_NS6detail15normal_iteratorINSA_10device_ptrIiEEEEPS6_SG_NS0_5tupleIJNSA_16discard_iteratorINSA_11use_defaultEEES6_EEENSH_IJSG_SG_EEES6_PlJNSB_9not_fun_tI7is_trueIiEEEEEE10hipError_tPvRmT3_T4_T5_T6_T7_T9_mT8_P12ihipStream_tbDpT10_ENKUlT_T0_E_clISt17integral_constantIbLb0EES1A_IbLb1EEEEDaS16_S17_EUlS16_E_NS1_11comp_targetILNS1_3genE10ELNS1_11target_archE1200ELNS1_3gpuE4ELNS1_3repE0EEENS1_30default_config_static_selectorELNS0_4arch9wavefront6targetE0EEEvT1_,"axG",@progbits,_ZN7rocprim17ROCPRIM_400000_NS6detail17trampoline_kernelINS0_14default_configENS1_25partition_config_selectorILNS1_17partition_subalgoE6EiNS0_10empty_typeEbEEZZNS1_14partition_implILS5_6ELb0ES3_mN6thrust23THRUST_200600_302600_NS6detail15normal_iteratorINSA_10device_ptrIiEEEEPS6_SG_NS0_5tupleIJNSA_16discard_iteratorINSA_11use_defaultEEES6_EEENSH_IJSG_SG_EEES6_PlJNSB_9not_fun_tI7is_trueIiEEEEEE10hipError_tPvRmT3_T4_T5_T6_T7_T9_mT8_P12ihipStream_tbDpT10_ENKUlT_T0_E_clISt17integral_constantIbLb0EES1A_IbLb1EEEEDaS16_S17_EUlS16_E_NS1_11comp_targetILNS1_3genE10ELNS1_11target_archE1200ELNS1_3gpuE4ELNS1_3repE0EEENS1_30default_config_static_selectorELNS0_4arch9wavefront6targetE0EEEvT1_,comdat
	.protected	_ZN7rocprim17ROCPRIM_400000_NS6detail17trampoline_kernelINS0_14default_configENS1_25partition_config_selectorILNS1_17partition_subalgoE6EiNS0_10empty_typeEbEEZZNS1_14partition_implILS5_6ELb0ES3_mN6thrust23THRUST_200600_302600_NS6detail15normal_iteratorINSA_10device_ptrIiEEEEPS6_SG_NS0_5tupleIJNSA_16discard_iteratorINSA_11use_defaultEEES6_EEENSH_IJSG_SG_EEES6_PlJNSB_9not_fun_tI7is_trueIiEEEEEE10hipError_tPvRmT3_T4_T5_T6_T7_T9_mT8_P12ihipStream_tbDpT10_ENKUlT_T0_E_clISt17integral_constantIbLb0EES1A_IbLb1EEEEDaS16_S17_EUlS16_E_NS1_11comp_targetILNS1_3genE10ELNS1_11target_archE1200ELNS1_3gpuE4ELNS1_3repE0EEENS1_30default_config_static_selectorELNS0_4arch9wavefront6targetE0EEEvT1_ ; -- Begin function _ZN7rocprim17ROCPRIM_400000_NS6detail17trampoline_kernelINS0_14default_configENS1_25partition_config_selectorILNS1_17partition_subalgoE6EiNS0_10empty_typeEbEEZZNS1_14partition_implILS5_6ELb0ES3_mN6thrust23THRUST_200600_302600_NS6detail15normal_iteratorINSA_10device_ptrIiEEEEPS6_SG_NS0_5tupleIJNSA_16discard_iteratorINSA_11use_defaultEEES6_EEENSH_IJSG_SG_EEES6_PlJNSB_9not_fun_tI7is_trueIiEEEEEE10hipError_tPvRmT3_T4_T5_T6_T7_T9_mT8_P12ihipStream_tbDpT10_ENKUlT_T0_E_clISt17integral_constantIbLb0EES1A_IbLb1EEEEDaS16_S17_EUlS16_E_NS1_11comp_targetILNS1_3genE10ELNS1_11target_archE1200ELNS1_3gpuE4ELNS1_3repE0EEENS1_30default_config_static_selectorELNS0_4arch9wavefront6targetE0EEEvT1_
	.globl	_ZN7rocprim17ROCPRIM_400000_NS6detail17trampoline_kernelINS0_14default_configENS1_25partition_config_selectorILNS1_17partition_subalgoE6EiNS0_10empty_typeEbEEZZNS1_14partition_implILS5_6ELb0ES3_mN6thrust23THRUST_200600_302600_NS6detail15normal_iteratorINSA_10device_ptrIiEEEEPS6_SG_NS0_5tupleIJNSA_16discard_iteratorINSA_11use_defaultEEES6_EEENSH_IJSG_SG_EEES6_PlJNSB_9not_fun_tI7is_trueIiEEEEEE10hipError_tPvRmT3_T4_T5_T6_T7_T9_mT8_P12ihipStream_tbDpT10_ENKUlT_T0_E_clISt17integral_constantIbLb0EES1A_IbLb1EEEEDaS16_S17_EUlS16_E_NS1_11comp_targetILNS1_3genE10ELNS1_11target_archE1200ELNS1_3gpuE4ELNS1_3repE0EEENS1_30default_config_static_selectorELNS0_4arch9wavefront6targetE0EEEvT1_
	.p2align	8
	.type	_ZN7rocprim17ROCPRIM_400000_NS6detail17trampoline_kernelINS0_14default_configENS1_25partition_config_selectorILNS1_17partition_subalgoE6EiNS0_10empty_typeEbEEZZNS1_14partition_implILS5_6ELb0ES3_mN6thrust23THRUST_200600_302600_NS6detail15normal_iteratorINSA_10device_ptrIiEEEEPS6_SG_NS0_5tupleIJNSA_16discard_iteratorINSA_11use_defaultEEES6_EEENSH_IJSG_SG_EEES6_PlJNSB_9not_fun_tI7is_trueIiEEEEEE10hipError_tPvRmT3_T4_T5_T6_T7_T9_mT8_P12ihipStream_tbDpT10_ENKUlT_T0_E_clISt17integral_constantIbLb0EES1A_IbLb1EEEEDaS16_S17_EUlS16_E_NS1_11comp_targetILNS1_3genE10ELNS1_11target_archE1200ELNS1_3gpuE4ELNS1_3repE0EEENS1_30default_config_static_selectorELNS0_4arch9wavefront6targetE0EEEvT1_,@function
_ZN7rocprim17ROCPRIM_400000_NS6detail17trampoline_kernelINS0_14default_configENS1_25partition_config_selectorILNS1_17partition_subalgoE6EiNS0_10empty_typeEbEEZZNS1_14partition_implILS5_6ELb0ES3_mN6thrust23THRUST_200600_302600_NS6detail15normal_iteratorINSA_10device_ptrIiEEEEPS6_SG_NS0_5tupleIJNSA_16discard_iteratorINSA_11use_defaultEEES6_EEENSH_IJSG_SG_EEES6_PlJNSB_9not_fun_tI7is_trueIiEEEEEE10hipError_tPvRmT3_T4_T5_T6_T7_T9_mT8_P12ihipStream_tbDpT10_ENKUlT_T0_E_clISt17integral_constantIbLb0EES1A_IbLb1EEEEDaS16_S17_EUlS16_E_NS1_11comp_targetILNS1_3genE10ELNS1_11target_archE1200ELNS1_3gpuE4ELNS1_3repE0EEENS1_30default_config_static_selectorELNS0_4arch9wavefront6targetE0EEEvT1_: ; @_ZN7rocprim17ROCPRIM_400000_NS6detail17trampoline_kernelINS0_14default_configENS1_25partition_config_selectorILNS1_17partition_subalgoE6EiNS0_10empty_typeEbEEZZNS1_14partition_implILS5_6ELb0ES3_mN6thrust23THRUST_200600_302600_NS6detail15normal_iteratorINSA_10device_ptrIiEEEEPS6_SG_NS0_5tupleIJNSA_16discard_iteratorINSA_11use_defaultEEES6_EEENSH_IJSG_SG_EEES6_PlJNSB_9not_fun_tI7is_trueIiEEEEEE10hipError_tPvRmT3_T4_T5_T6_T7_T9_mT8_P12ihipStream_tbDpT10_ENKUlT_T0_E_clISt17integral_constantIbLb0EES1A_IbLb1EEEEDaS16_S17_EUlS16_E_NS1_11comp_targetILNS1_3genE10ELNS1_11target_archE1200ELNS1_3gpuE4ELNS1_3repE0EEENS1_30default_config_static_selectorELNS0_4arch9wavefront6targetE0EEEvT1_
; %bb.0:
	s_clause 0x2
	s_load_b64 s[14:15], s[0:1], 0x58
	s_load_b128 s[8:11], s[0:1], 0x48
	s_load_b64 s[12:13], s[0:1], 0x68
	v_cmp_eq_u32_e64 s2, 0, v0
	s_and_saveexec_b32 s3, s2
	s_cbranch_execz .LBB2298_4
; %bb.1:
	s_mov_b32 s5, exec_lo
	s_mov_b32 s4, exec_lo
	v_mbcnt_lo_u32_b32 v1, s5, 0
                                        ; implicit-def: $vgpr2
	s_delay_alu instid0(VALU_DEP_1)
	v_cmpx_eq_u32_e32 0, v1
	s_cbranch_execz .LBB2298_3
; %bb.2:
	s_load_b64 s[6:7], s[0:1], 0x78
	s_bcnt1_i32_b32 s5, s5
	s_wait_alu 0xfffe
	v_dual_mov_b32 v2, 0 :: v_dual_mov_b32 v3, s5
	s_wait_kmcnt 0x0
	global_atomic_add_u32 v2, v2, v3, s[6:7] th:TH_ATOMIC_RETURN scope:SCOPE_DEV
.LBB2298_3:
	s_or_b32 exec_lo, exec_lo, s4
	s_wait_loadcnt 0x0
	v_readfirstlane_b32 s4, v2
	s_wait_alu 0xf1ff
	s_delay_alu instid0(VALU_DEP_1)
	v_dual_mov_b32 v2, 0 :: v_dual_add_nc_u32 v1, s4, v1
	ds_store_b32 v2, v1
.LBB2298_4:
	s_or_b32 exec_lo, exec_lo, s3
	v_mov_b32_e32 v2, 0
	s_clause 0x1
	s_load_b128 s[4:7], s[0:1], 0x8
	s_load_b32 s0, s[0:1], 0x70
	s_wait_dscnt 0x0
	s_barrier_signal -1
	s_barrier_wait -1
	global_inv scope:SCOPE_SE
	ds_load_b32 v3, v2
	s_wait_loadcnt_dscnt 0x0
	s_barrier_signal -1
	s_barrier_wait -1
	global_inv scope:SCOPE_SE
	s_wait_kmcnt 0x0
	global_load_b64 v[9:10], v2, s[10:11]
	s_mov_b32 s1, 0
	v_lshlrev_b32_e32 v8, 2, v0
	s_lshl_b64 s[16:17], s[6:7], 2
	s_add_co_i32 s3, s0, -1
	s_mulk_i32 s0, 0xa80
	s_add_nc_u64 s[4:5], s[4:5], s[16:17]
	s_add_co_i32 s10, s0, s6
	s_add_nc_u64 s[6:7], s[6:7], s[0:1]
	v_mul_lo_u32 v1, 0xa80, v3
	v_readfirstlane_b32 s11, v3
	v_cmp_gt_u64_e64 s1, s[14:15], s[6:7]
	v_cmp_ne_u32_e32 vcc_lo, s3, v3
	s_sub_co_i32 s0, s14, s10
	s_cmp_eq_u32 s11, s3
	v_lshlrev_b64_e32 v[1:2], 2, v[1:2]
	s_cselect_b32 s7, -1, 0
	s_or_b32 s15, s1, vcc_lo
	s_mov_b32 s1, -1
	s_wait_alu 0xfffe
	s_delay_alu instid0(VALU_DEP_1) | instskip(NEXT) | instid1(VALU_DEP_1)
	v_add_co_u32 v11, vcc_lo, s4, v1
	v_add_co_ci_u32_e64 v12, null, s5, v2, vcc_lo
	s_and_b32 vcc_lo, exec_lo, s15
	s_wait_alu 0xfffe
	s_cbranch_vccz .LBB2298_6
; %bb.5:
	v_add_co_u32 v1, vcc_lo, v11, v8
	s_wait_alu 0xfffd
	v_add_co_ci_u32_e64 v2, null, 0, v12, vcc_lo
	s_mov_b32 s1, 0
	s_clause 0x6
	flat_load_b32 v3, v[1:2]
	flat_load_b32 v4, v[1:2] offset:1536
	flat_load_b32 v5, v[1:2] offset:3072
	;; [unrolled: 1-line block ×6, first 2 shown]
	s_wait_loadcnt_dscnt 0x505
	ds_store_2addr_stride64_b32 v8, v3, v4 offset1:6
	s_wait_loadcnt_dscnt 0x304
	ds_store_2addr_stride64_b32 v8, v5, v6 offset0:12 offset1:18
	s_wait_loadcnt_dscnt 0x103
	ds_store_2addr_stride64_b32 v8, v7, v13 offset0:24 offset1:30
	s_wait_loadcnt_dscnt 0x3
	ds_store_b32 v8, v1 offset:9216
	s_wait_dscnt 0x0
	s_barrier_signal -1
	s_barrier_wait -1
.LBB2298_6:
	s_and_not1_b32 vcc_lo, exec_lo, s1
	s_add_co_i32 s14, s0, 0xa80
	s_wait_alu 0xfffe
	s_cbranch_vccnz .LBB2298_22
; %bb.7:
	v_mov_b32_e32 v1, 0
	s_mov_b32 s0, exec_lo
	s_delay_alu instid0(VALU_DEP_1)
	v_dual_mov_b32 v2, v1 :: v_dual_mov_b32 v3, v1
	v_dual_mov_b32 v4, v1 :: v_dual_mov_b32 v5, v1
	;; [unrolled: 1-line block ×3, first 2 shown]
	v_cmpx_gt_u32_e64 s14, v0
	s_cbranch_execz .LBB2298_9
; %bb.8:
	v_add_co_u32 v2, vcc_lo, v11, v8
	s_wait_alu 0xfffd
	v_add_co_ci_u32_e64 v3, null, 0, v12, vcc_lo
	v_dual_mov_b32 v14, v1 :: v_dual_mov_b32 v15, v1
	v_dual_mov_b32 v16, v1 :: v_dual_mov_b32 v17, v1
	flat_load_b32 v13, v[2:3]
	v_dual_mov_b32 v18, v1 :: v_dual_mov_b32 v19, v1
	s_wait_loadcnt_dscnt 0x0
	v_dual_mov_b32 v1, v13 :: v_dual_mov_b32 v2, v14
	v_dual_mov_b32 v3, v15 :: v_dual_mov_b32 v4, v16
	s_delay_alu instid0(VALU_DEP_3)
	v_dual_mov_b32 v5, v17 :: v_dual_mov_b32 v6, v18
	v_mov_b32_e32 v7, v19
.LBB2298_9:
	s_or_b32 exec_lo, exec_lo, s0
	v_add_nc_u32_e32 v13, 0x180, v0
	s_mov_b32 s0, exec_lo
	s_delay_alu instid0(VALU_DEP_1)
	v_cmpx_gt_u32_e64 s14, v13
	s_cbranch_execz .LBB2298_11
; %bb.10:
	v_add_co_u32 v13, vcc_lo, v11, v8
	s_wait_alu 0xfffd
	v_add_co_ci_u32_e64 v14, null, 0, v12, vcc_lo
	flat_load_b32 v2, v[13:14] offset:1536
.LBB2298_11:
	s_or_b32 exec_lo, exec_lo, s0
	v_add_nc_u32_e32 v13, 0x300, v0
	s_mov_b32 s0, exec_lo
	s_delay_alu instid0(VALU_DEP_1)
	v_cmpx_gt_u32_e64 s14, v13
	s_cbranch_execz .LBB2298_13
; %bb.12:
	v_add_co_u32 v13, vcc_lo, v11, v8
	s_wait_alu 0xfffd
	v_add_co_ci_u32_e64 v14, null, 0, v12, vcc_lo
	flat_load_b32 v3, v[13:14] offset:3072
.LBB2298_13:
	;; [unrolled: 12-line block ×3, first 2 shown]
	s_or_b32 exec_lo, exec_lo, s0
	v_or_b32_e32 v13, 0x600, v0
	s_mov_b32 s0, exec_lo
	s_delay_alu instid0(VALU_DEP_1)
	v_cmpx_gt_u32_e64 s14, v13
	s_cbranch_execz .LBB2298_17
; %bb.16:
	v_add_co_u32 v13, vcc_lo, v11, v8
	s_wait_alu 0xfffd
	v_add_co_ci_u32_e64 v14, null, 0, v12, vcc_lo
	flat_load_b32 v5, v[13:14] offset:6144
.LBB2298_17:
	s_or_b32 exec_lo, exec_lo, s0
	v_add_nc_u32_e32 v13, 0x780, v0
	s_mov_b32 s0, exec_lo
	s_delay_alu instid0(VALU_DEP_1)
	v_cmpx_gt_u32_e64 s14, v13
	s_cbranch_execz .LBB2298_19
; %bb.18:
	v_add_co_u32 v13, vcc_lo, v11, v8
	s_wait_alu 0xfffd
	v_add_co_ci_u32_e64 v14, null, 0, v12, vcc_lo
	flat_load_b32 v6, v[13:14] offset:7680
.LBB2298_19:
	s_or_b32 exec_lo, exec_lo, s0
	v_add_nc_u32_e32 v13, 0x900, v0
	s_mov_b32 s0, exec_lo
	s_delay_alu instid0(VALU_DEP_1)
	v_cmpx_gt_u32_e64 s14, v13
	s_cbranch_execz .LBB2298_21
; %bb.20:
	v_add_co_u32 v11, vcc_lo, v11, v8
	s_wait_alu 0xfffd
	v_add_co_ci_u32_e64 v12, null, 0, v12, vcc_lo
	flat_load_b32 v7, v[11:12] offset:9216
.LBB2298_21:
	s_or_b32 exec_lo, exec_lo, s0
	s_wait_loadcnt_dscnt 0x0
	ds_store_2addr_stride64_b32 v8, v1, v2 offset1:6
	ds_store_2addr_stride64_b32 v8, v3, v4 offset0:12 offset1:18
	ds_store_2addr_stride64_b32 v8, v5, v6 offset0:24 offset1:30
	ds_store_b32 v8, v7 offset:9216
	s_wait_dscnt 0x0
	s_barrier_signal -1
	s_barrier_wait -1
.LBB2298_22:
	v_mul_u32_u24_e32 v1, 7, v0
	s_wait_loadcnt 0x0
	global_inv scope:SCOPE_SE
	s_and_not1_b32 vcc_lo, exec_lo, s15
	v_lshlrev_b32_e32 v29, 2, v1
	ds_load_2addr_b32 v[11:12], v29 offset0:4 offset1:5
	ds_load_b32 v25, v29 offset:24
	ds_load_2addr_b32 v[15:16], v29 offset1:1
	ds_load_2addr_b32 v[13:14], v29 offset0:2 offset1:3
	s_wait_loadcnt_dscnt 0x0
	s_barrier_signal -1
	s_barrier_wait -1
	global_inv scope:SCOPE_SE
	v_cmp_eq_u32_e64 s0, 0, v11
	v_cmp_eq_u32_e64 s1, 0, v12
	;; [unrolled: 1-line block ×7, first 2 shown]
	s_wait_alu 0xfffe
	s_cbranch_vccnz .LBB2298_24
; %bb.23:
	s_wait_alu 0xf1ff
	v_cndmask_b32_e64 v2, 0, 1, s5
	v_cndmask_b32_e64 v3, 0, 1, s6
	;; [unrolled: 1-line block ×5, first 2 shown]
	v_lshlrev_b16 v2, 8, v2
	v_lshlrev_b16 v3, 8, v3
	v_cndmask_b32_e64 v26, 0, 1, s1
	s_delay_alu instid0(VALU_DEP_3) | instskip(NEXT) | instid1(VALU_DEP_3)
	v_or_b32_e32 v2, v4, v2
	v_or_b32_e32 v3, v5, v3
	s_delay_alu instid0(VALU_DEP_2) | instskip(NEXT) | instid1(VALU_DEP_2)
	v_and_b32_e32 v2, 0xffff, v2
	v_lshlrev_b32_e32 v3, 16, v3
	s_delay_alu instid0(VALU_DEP_1)
	v_or_b32_e32 v28, v2, v3
	s_cbranch_execz .LBB2298_25
	s_branch .LBB2298_26
.LBB2298_24:
                                        ; implicit-def: $sgpr10
                                        ; implicit-def: $vgpr26
                                        ; implicit-def: $vgpr27
                                        ; implicit-def: $vgpr28
.LBB2298_25:
	v_add_nc_u32_e32 v2, 1, v1
	v_cmp_eq_u32_e32 vcc_lo, 0, v16
	v_add_nc_u32_e32 v3, 3, v1
	v_cmp_eq_u32_e64 s0, 0, v15
	v_cmp_eq_u32_e64 s3, 0, v14
	v_cmp_gt_u32_e64 s1, s14, v2
	v_add_nc_u32_e32 v2, 2, v1
	v_cmp_gt_u32_e64 s5, s14, v3
	v_cmp_eq_u32_e64 s4, 0, v13
	v_add_nc_u32_e32 v5, 5, v1
	s_and_b32 s1, s1, vcc_lo
	v_cmp_gt_u32_e32 vcc_lo, s14, v1
	s_wait_alu 0xfffe
	v_cndmask_b32_e64 v3, 0, 1, s1
	v_cmp_gt_u32_e64 s1, s14, v2
	s_and_b32 s3, s5, s3
	s_and_b32 s0, vcc_lo, s0
	v_lshlrev_b16 v3, 8, v3
	s_wait_alu 0xfffe
	v_cndmask_b32_e64 v4, 0, 1, s0
	v_cndmask_b32_e64 v2, 0, 1, s3
	s_and_b32 s0, s1, s4
	v_cmp_eq_u32_e32 vcc_lo, 0, v12
	s_wait_alu 0xfffe
	v_cndmask_b32_e64 v6, 0, 1, s0
	v_cmp_gt_u32_e64 s0, s14, v5
	v_or_b32_e32 v3, v4, v3
	v_add_nc_u32_e32 v4, 4, v1
	v_lshlrev_b16 v2, 8, v2
	v_cmp_eq_u32_e64 s1, 0, v11
	s_and_b32 s0, s0, vcc_lo
	v_add_nc_u32_e32 v1, 6, v1
	v_cmp_gt_u32_e32 vcc_lo, s14, v4
	v_or_b32_e32 v2, v6, v2
	s_wait_alu 0xfffe
	v_cndmask_b32_e64 v26, 0, 1, s0
	v_and_b32_e32 v3, 0xffff, v3
	s_and_b32 s0, vcc_lo, s1
	v_cmp_gt_u32_e32 vcc_lo, s14, v1
	s_wait_alu 0xfffe
	v_cndmask_b32_e64 v5, 0, 1, s0
	v_cmp_eq_u32_e64 s0, 0, v25
	v_lshlrev_b32_e32 v2, 16, v2
	v_lshlrev_b16 v4, 8, v26
	s_and_not1_b32 s1, s10, exec_lo
	s_and_b32 s0, vcc_lo, s0
	s_delay_alu instid0(VALU_DEP_2) | instskip(NEXT) | instid1(VALU_DEP_2)
	v_or_b32_e32 v28, v3, v2
	v_or_b32_e32 v27, v5, v4
	s_wait_alu 0xfffe
	s_and_b32 s0, s0, exec_lo
	s_wait_alu 0xfffe
	s_or_b32 s10, s1, s0
.LBB2298_26:
	s_delay_alu instid0(VALU_DEP_1)
	v_dual_mov_b32 v2, 0 :: v_dual_and_b32 v33, 0xff, v28
	v_bfe_u32 v32, v28, 8, 8
	v_cndmask_b32_e64 v1, 0, 1, s10
	v_bfe_u32 v35, v28, 16, 8
	v_lshrrev_b32_e32 v30, 24, v28
	v_and_b32_e32 v34, 0xff, v27
	v_mbcnt_lo_u32_b32 v36, -1, 0
	v_add3_u32 v1, v33, v1, v32
	v_and_b32_e32 v31, 0xff, v26
	s_cmp_lg_u32 s11, 0
	s_mov_b32 s1, -1
	v_and_b32_e32 v37, 15, v36
	v_add_co_u32 v1, s0, v1, v35
	s_wait_alu 0xf1ff
	v_add_co_ci_u32_e64 v3, null, 0, 0, s0
	s_delay_alu instid0(VALU_DEP_3) | instskip(NEXT) | instid1(VALU_DEP_3)
	v_cmp_ne_u32_e64 s0, 0, v37
	v_add_co_u32 v1, vcc_lo, v1, v30
	s_wait_alu 0xfffd
	s_delay_alu instid0(VALU_DEP_3) | instskip(NEXT) | instid1(VALU_DEP_2)
	v_add_co_ci_u32_e64 v3, null, 0, v3, vcc_lo
	v_add_co_u32 v1, vcc_lo, v1, v34
	s_wait_alu 0xfffd
	s_delay_alu instid0(VALU_DEP_2) | instskip(NEXT) | instid1(VALU_DEP_2)
	v_add_co_ci_u32_e64 v3, null, 0, v3, vcc_lo
	v_add_co_u32 v17, vcc_lo, v1, v31
	s_wait_alu 0xfffd
	s_delay_alu instid0(VALU_DEP_2)
	v_add_co_ci_u32_e64 v18, null, 0, v3, vcc_lo
	s_cbranch_scc0 .LBB2298_85
; %bb.27:
	v_mov_b32_e32 v3, v17
	v_mov_b32_dpp v1, v17 row_shr:1 row_mask:0xf bank_mask:0xf
	v_mov_b32_dpp v6, v2 row_shr:1 row_mask:0xf bank_mask:0xf
	v_dual_mov_b32 v5, v17 :: v_dual_mov_b32 v4, v18
	s_and_saveexec_b32 s1, s0
; %bb.28:
	s_delay_alu instid0(VALU_DEP_3) | instskip(SKIP_2) | instid1(VALU_DEP_2)
	v_add_co_u32 v5, vcc_lo, v17, v1
	s_wait_alu 0xfffd
	v_add_co_ci_u32_e64 v2, null, 0, v18, vcc_lo
	v_add_co_u32 v1, vcc_lo, 0, v5
	s_wait_alu 0xfffd
	s_delay_alu instid0(VALU_DEP_2) | instskip(NEXT) | instid1(VALU_DEP_1)
	v_add_co_ci_u32_e64 v2, null, v6, v2, vcc_lo
	v_dual_mov_b32 v4, v2 :: v_dual_mov_b32 v3, v1
; %bb.29:
	s_wait_alu 0xfffe
	s_or_b32 exec_lo, exec_lo, s1
	v_mov_b32_dpp v1, v5 row_shr:2 row_mask:0xf bank_mask:0xf
	v_mov_b32_dpp v6, v2 row_shr:2 row_mask:0xf bank_mask:0xf
	v_cmp_lt_u32_e32 vcc_lo, 1, v37
	s_and_saveexec_b32 s3, vcc_lo
; %bb.30:
	s_delay_alu instid0(VALU_DEP_3) | instskip(SKIP_2) | instid1(VALU_DEP_2)
	v_add_co_u32 v5, s1, v3, v1
	s_wait_alu 0xf1ff
	v_add_co_ci_u32_e64 v2, null, 0, v4, s1
	v_add_co_u32 v1, s1, 0, v5
	s_wait_alu 0xf1ff
	s_delay_alu instid0(VALU_DEP_2) | instskip(NEXT) | instid1(VALU_DEP_1)
	v_add_co_ci_u32_e64 v2, null, v6, v2, s1
	v_dual_mov_b32 v4, v2 :: v_dual_mov_b32 v3, v1
; %bb.31:
	s_wait_alu 0xfffe
	s_or_b32 exec_lo, exec_lo, s3
	v_mov_b32_dpp v1, v5 row_shr:4 row_mask:0xf bank_mask:0xf
	v_mov_b32_dpp v6, v2 row_shr:4 row_mask:0xf bank_mask:0xf
	v_cmp_lt_u32_e64 s1, 3, v37
	s_and_saveexec_b32 s4, s1
; %bb.32:
	v_add_co_u32 v5, s3, v3, v1
	s_wait_alu 0xf1ff
	v_add_co_ci_u32_e64 v2, null, 0, v4, s3
	s_delay_alu instid0(VALU_DEP_2) | instskip(SKIP_1) | instid1(VALU_DEP_2)
	v_add_co_u32 v1, s3, 0, v5
	s_wait_alu 0xf1ff
	v_add_co_ci_u32_e64 v2, null, v6, v2, s3
	s_delay_alu instid0(VALU_DEP_1)
	v_dual_mov_b32 v4, v2 :: v_dual_mov_b32 v3, v1
; %bb.33:
	s_wait_alu 0xfffe
	s_or_b32 exec_lo, exec_lo, s4
	v_mov_b32_dpp v6, v5 row_shr:8 row_mask:0xf bank_mask:0xf
	v_mov_b32_dpp v1, v2 row_shr:8 row_mask:0xf bank_mask:0xf
	v_cmp_lt_u32_e64 s3, 7, v37
	s_and_saveexec_b32 s5, s3
; %bb.34:
	v_add_co_u32 v5, s4, v3, v6
	s_wait_alu 0xf1ff
	v_add_co_ci_u32_e64 v2, null, 0, v4, s4
	s_delay_alu instid0(VALU_DEP_2) | instskip(SKIP_1) | instid1(VALU_DEP_2)
	v_add_co_u32 v3, s4, 0, v5
	s_wait_alu 0xf1ff
	v_add_co_ci_u32_e64 v4, null, v1, v2, s4
	s_delay_alu instid0(VALU_DEP_1)
	v_mov_b32_e32 v2, v4
; %bb.35:
	s_wait_alu 0xfffe
	s_or_b32 exec_lo, exec_lo, s5
	ds_swizzle_b32 v6, v5 offset:swizzle(BROADCAST,32,15)
	ds_swizzle_b32 v1, v2 offset:swizzle(BROADCAST,32,15)
	v_and_b32_e32 v2, 16, v36
	s_mov_b32 s5, exec_lo
	s_delay_alu instid0(VALU_DEP_1)
	v_cmpx_ne_u32_e32 0, v2
	s_cbranch_execz .LBB2298_37
; %bb.36:
	s_wait_dscnt 0x1
	v_add_co_u32 v5, s4, v3, v6
	s_wait_alu 0xf1ff
	v_add_co_ci_u32_e64 v2, null, 0, v4, s4
	s_delay_alu instid0(VALU_DEP_2) | instskip(SKIP_2) | instid1(VALU_DEP_2)
	v_add_co_u32 v3, s4, 0, v5
	s_wait_dscnt 0x0
	s_wait_alu 0xf1ff
	v_add_co_ci_u32_e64 v4, null, v1, v2, s4
.LBB2298_37:
	s_wait_alu 0xfffe
	s_or_b32 exec_lo, exec_lo, s5
	s_wait_dscnt 0x0
	v_and_b32_e32 v1, 0x1e0, v0
	v_lshrrev_b32_e32 v6, 5, v0
	s_mov_b32 s5, exec_lo
	s_delay_alu instid0(VALU_DEP_2) | instskip(NEXT) | instid1(VALU_DEP_1)
	v_min_u32_e32 v1, 0x160, v1
	v_or_b32_e32 v1, 31, v1
	s_delay_alu instid0(VALU_DEP_1)
	v_cmpx_eq_u32_e64 v0, v1
; %bb.38:
	v_lshlrev_b32_e32 v1, 3, v6
	ds_store_b64 v1, v[3:4]
; %bb.39:
	s_wait_alu 0xfffe
	s_or_b32 exec_lo, exec_lo, s5
	s_delay_alu instid0(SALU_CYCLE_1)
	s_mov_b32 s5, exec_lo
	s_wait_loadcnt_dscnt 0x0
	s_barrier_signal -1
	s_barrier_wait -1
	global_inv scope:SCOPE_SE
	v_cmpx_gt_u32_e32 12, v0
	s_cbranch_execz .LBB2298_49
; %bb.40:
	v_lshlrev_b32_e32 v3, 3, v0
	ds_load_b64 v[1:2], v3
	s_wait_dscnt 0x0
	v_mov_b32_dpp v8, v1 row_shr:1 row_mask:0xf bank_mask:0xf
	v_mov_b32_dpp v7, v2 row_shr:1 row_mask:0xf bank_mask:0xf
	v_mov_b32_e32 v4, v1
	s_and_saveexec_b32 s6, s0
; %bb.41:
	s_delay_alu instid0(VALU_DEP_3) | instskip(SKIP_2) | instid1(VALU_DEP_2)
	v_add_co_u32 v4, s4, v1, v8
	s_wait_alu 0xf1ff
	v_add_co_ci_u32_e64 v2, null, 0, v2, s4
	v_add_co_u32 v1, s4, 0, v4
	s_wait_alu 0xf1ff
	s_delay_alu instid0(VALU_DEP_2)
	v_add_co_ci_u32_e64 v2, null, v7, v2, s4
; %bb.42:
	s_wait_alu 0xfffe
	s_or_b32 exec_lo, exec_lo, s6
	v_mov_b32_dpp v8, v4 row_shr:2 row_mask:0xf bank_mask:0xf
	s_delay_alu instid0(VALU_DEP_2)
	v_mov_b32_dpp v7, v2 row_shr:2 row_mask:0xf bank_mask:0xf
	s_and_saveexec_b32 s4, vcc_lo
; %bb.43:
	s_delay_alu instid0(VALU_DEP_2) | instskip(SKIP_2) | instid1(VALU_DEP_2)
	v_add_co_u32 v4, vcc_lo, v1, v8
	s_wait_alu 0xfffd
	v_add_co_ci_u32_e64 v2, null, 0, v2, vcc_lo
	v_add_co_u32 v1, vcc_lo, 0, v4
	s_wait_alu 0xfffd
	s_delay_alu instid0(VALU_DEP_2)
	v_add_co_ci_u32_e64 v2, null, v7, v2, vcc_lo
; %bb.44:
	s_wait_alu 0xfffe
	s_or_b32 exec_lo, exec_lo, s4
	v_mov_b32_dpp v8, v4 row_shr:4 row_mask:0xf bank_mask:0xf
	s_delay_alu instid0(VALU_DEP_2)
	v_mov_b32_dpp v7, v2 row_shr:4 row_mask:0xf bank_mask:0xf
	s_and_saveexec_b32 s4, s1
; %bb.45:
	s_delay_alu instid0(VALU_DEP_2) | instskip(SKIP_2) | instid1(VALU_DEP_2)
	v_add_co_u32 v4, vcc_lo, v1, v8
	s_wait_alu 0xfffd
	v_add_co_ci_u32_e64 v2, null, 0, v2, vcc_lo
	v_add_co_u32 v1, vcc_lo, 0, v4
	s_wait_alu 0xfffd
	s_delay_alu instid0(VALU_DEP_2)
	v_add_co_ci_u32_e64 v2, null, v7, v2, vcc_lo
; %bb.46:
	s_wait_alu 0xfffe
	s_or_b32 exec_lo, exec_lo, s4
	v_mov_b32_dpp v7, v4 row_shr:8 row_mask:0xf bank_mask:0xf
	s_delay_alu instid0(VALU_DEP_2)
	v_mov_b32_dpp v4, v2 row_shr:8 row_mask:0xf bank_mask:0xf
	s_and_saveexec_b32 s1, s3
; %bb.47:
	s_delay_alu instid0(VALU_DEP_2) | instskip(SKIP_2) | instid1(VALU_DEP_2)
	v_add_co_u32 v1, vcc_lo, v1, v7
	s_wait_alu 0xfffd
	v_add_co_ci_u32_e64 v2, null, 0, v2, vcc_lo
	v_add_co_u32 v1, vcc_lo, v1, 0
	s_wait_alu 0xfffd
	s_delay_alu instid0(VALU_DEP_2)
	v_add_co_ci_u32_e64 v2, null, v2, v4, vcc_lo
; %bb.48:
	s_wait_alu 0xfffe
	s_or_b32 exec_lo, exec_lo, s1
	ds_store_b64 v3, v[1:2]
.LBB2298_49:
	s_wait_alu 0xfffe
	s_or_b32 exec_lo, exec_lo, s5
	s_delay_alu instid0(SALU_CYCLE_1)
	s_mov_b32 s3, exec_lo
	v_cmp_gt_u32_e32 vcc_lo, 32, v0
	s_wait_loadcnt_dscnt 0x0
	s_barrier_signal -1
	s_barrier_wait -1
	global_inv scope:SCOPE_SE
                                        ; implicit-def: $vgpr19_vgpr20
	v_cmpx_lt_u32_e32 31, v0
	s_cbranch_execz .LBB2298_51
; %bb.50:
	v_lshl_add_u32 v1, v6, 3, -8
	ds_load_b64 v[19:20], v1
	s_wait_dscnt 0x0
	v_add_nc_u32_e32 v5, v5, v19
.LBB2298_51:
	s_wait_alu 0xfffe
	s_or_b32 exec_lo, exec_lo, s3
	v_sub_co_u32 v1, s1, v36, 1
	s_delay_alu instid0(VALU_DEP_1) | instskip(SKIP_1) | instid1(VALU_DEP_1)
	v_cmp_gt_i32_e64 s3, 0, v1
	s_wait_alu 0xf1ff
	v_cndmask_b32_e64 v1, v1, v36, s3
	s_delay_alu instid0(VALU_DEP_1)
	v_lshlrev_b32_e32 v1, 2, v1
	ds_bpermute_b32 v38, v1, v5
	s_and_saveexec_b32 s3, vcc_lo
	s_cbranch_execz .LBB2298_90
; %bb.52:
	v_mov_b32_e32 v4, 0
	ds_load_b64 v[1:2], v4 offset:88
	s_and_saveexec_b32 s4, s1
	s_cbranch_execz .LBB2298_54
; %bb.53:
	s_add_co_i32 s14, s11, 32
	s_mov_b32 s15, 0
	s_wait_alu 0xfffe
	s_lshl_b64 s[14:15], s[14:15], 4
	s_wait_alu 0xfffe
	s_add_nc_u64 s[14:15], s[12:13], s[14:15]
	v_mov_b32_e32 v3, 1
	s_wait_alu 0xfffe
	v_dual_mov_b32 v5, s14 :: v_dual_mov_b32 v6, s15
	s_wait_dscnt 0x0
	;;#ASMSTART
	global_store_b128 v[5:6], v[1:4] off scope:SCOPE_DEV	
s_wait_storecnt 0x0
	;;#ASMEND
.LBB2298_54:
	s_wait_alu 0xfffe
	s_or_b32 exec_lo, exec_lo, s4
	v_xad_u32 v21, v36, -1, s11
	s_mov_b32 s5, 0
	s_mov_b32 s4, exec_lo
	s_delay_alu instid0(VALU_DEP_1) | instskip(NEXT) | instid1(VALU_DEP_1)
	v_add_nc_u32_e32 v3, 32, v21
	v_lshlrev_b64_e32 v[3:4], 4, v[3:4]
	s_delay_alu instid0(VALU_DEP_1) | instskip(SKIP_1) | instid1(VALU_DEP_2)
	v_add_co_u32 v3, vcc_lo, s12, v3
	s_wait_alu 0xfffd
	v_add_co_ci_u32_e64 v4, null, s13, v4, vcc_lo
	;;#ASMSTART
	global_load_b128 v[5:8], v[3:4] off scope:SCOPE_DEV	
s_wait_loadcnt 0x0
	;;#ASMEND
	v_and_b32_e32 v8, 0xff, v7
	s_delay_alu instid0(VALU_DEP_1)
	v_cmpx_eq_u16_e32 0, v8
	s_cbranch_execz .LBB2298_57
.LBB2298_55:                            ; =>This Inner Loop Header: Depth=1
	;;#ASMSTART
	global_load_b128 v[5:8], v[3:4] off scope:SCOPE_DEV	
s_wait_loadcnt 0x0
	;;#ASMEND
	v_and_b32_e32 v8, 0xff, v7
	s_delay_alu instid0(VALU_DEP_1)
	v_cmp_ne_u16_e32 vcc_lo, 0, v8
	s_wait_alu 0xfffe
	s_or_b32 s5, vcc_lo, s5
	s_wait_alu 0xfffe
	s_and_not1_b32 exec_lo, exec_lo, s5
	s_cbranch_execnz .LBB2298_55
; %bb.56:
	s_or_b32 exec_lo, exec_lo, s5
.LBB2298_57:
	s_wait_alu 0xfffe
	s_or_b32 exec_lo, exec_lo, s4
	v_cmp_ne_u32_e32 vcc_lo, 31, v36
	v_and_b32_e32 v4, 0xff, v7
	v_lshlrev_b32_e64 v40, v36, -1
	s_mov_b32 s4, exec_lo
	s_wait_alu 0xfffd
	v_add_co_ci_u32_e64 v3, null, 0, v36, vcc_lo
	v_cmp_eq_u16_e32 vcc_lo, 2, v4
	s_delay_alu instid0(VALU_DEP_2)
	v_dual_mov_b32 v4, v5 :: v_dual_lshlrev_b32 v39, 2, v3
	s_wait_alu 0xfffd
	v_and_or_b32 v3, vcc_lo, v40, 0x80000000
	ds_bpermute_b32 v22, v39, v5
	ds_bpermute_b32 v8, v39, v6
	v_ctz_i32_b32_e32 v3, v3
	s_delay_alu instid0(VALU_DEP_1)
	v_cmpx_lt_u32_e64 v36, v3
	s_cbranch_execz .LBB2298_59
; %bb.58:
	s_wait_dscnt 0x1
	v_add_co_u32 v4, vcc_lo, v5, v22
	s_wait_alu 0xfffd
	v_add_co_ci_u32_e64 v6, null, 0, v6, vcc_lo
	s_delay_alu instid0(VALU_DEP_2) | instskip(SKIP_2) | instid1(VALU_DEP_2)
	v_add_co_u32 v5, vcc_lo, 0, v4
	s_wait_dscnt 0x0
	s_wait_alu 0xfffd
	v_add_co_ci_u32_e64 v6, null, v8, v6, vcc_lo
.LBB2298_59:
	s_wait_alu 0xfffe
	s_or_b32 exec_lo, exec_lo, s4
	v_cmp_gt_u32_e32 vcc_lo, 30, v36
	v_add_nc_u32_e32 v42, 2, v36
	s_mov_b32 s4, exec_lo
	s_wait_dscnt 0x0
	s_wait_alu 0xfffd
	v_cndmask_b32_e64 v8, 0, 2, vcc_lo
	s_delay_alu instid0(VALU_DEP_1)
	v_add_lshl_u32 v41, v8, v36, 2
	ds_bpermute_b32 v22, v41, v4
	ds_bpermute_b32 v8, v41, v6
	v_cmpx_le_u32_e64 v42, v3
	s_cbranch_execz .LBB2298_61
; %bb.60:
	s_wait_dscnt 0x1
	v_add_co_u32 v4, vcc_lo, v5, v22
	s_wait_alu 0xfffd
	v_add_co_ci_u32_e64 v6, null, 0, v6, vcc_lo
	s_delay_alu instid0(VALU_DEP_2) | instskip(SKIP_2) | instid1(VALU_DEP_2)
	v_add_co_u32 v5, vcc_lo, 0, v4
	s_wait_dscnt 0x0
	s_wait_alu 0xfffd
	v_add_co_ci_u32_e64 v6, null, v8, v6, vcc_lo
.LBB2298_61:
	s_wait_alu 0xfffe
	s_or_b32 exec_lo, exec_lo, s4
	v_cmp_gt_u32_e32 vcc_lo, 28, v36
	v_add_nc_u32_e32 v44, 4, v36
	s_mov_b32 s4, exec_lo
	s_wait_dscnt 0x0
	s_wait_alu 0xfffd
	v_cndmask_b32_e64 v8, 0, 4, vcc_lo
	s_delay_alu instid0(VALU_DEP_1)
	v_add_lshl_u32 v43, v8, v36, 2
	ds_bpermute_b32 v22, v43, v4
	ds_bpermute_b32 v8, v43, v6
	v_cmpx_le_u32_e64 v44, v3
	;; [unrolled: 25-line block ×3, first 2 shown]
	s_cbranch_execz .LBB2298_65
; %bb.64:
	s_wait_dscnt 0x1
	v_add_co_u32 v4, vcc_lo, v5, v22
	s_wait_alu 0xfffd
	v_add_co_ci_u32_e64 v6, null, 0, v6, vcc_lo
	s_delay_alu instid0(VALU_DEP_2) | instskip(SKIP_2) | instid1(VALU_DEP_2)
	v_add_co_u32 v5, vcc_lo, 0, v4
	s_wait_dscnt 0x0
	s_wait_alu 0xfffd
	v_add_co_ci_u32_e64 v6, null, v8, v6, vcc_lo
.LBB2298_65:
	s_wait_alu 0xfffe
	s_or_b32 exec_lo, exec_lo, s4
	v_lshl_or_b32 v47, v36, 2, 64
	v_add_nc_u32_e32 v48, 16, v36
	s_mov_b32 s4, exec_lo
	s_wait_dscnt 0x0
	ds_bpermute_b32 v8, v47, v4
	ds_bpermute_b32 v4, v47, v6
	v_cmpx_le_u32_e64 v48, v3
	s_cbranch_execz .LBB2298_67
; %bb.66:
	s_wait_dscnt 0x1
	v_add_co_u32 v3, vcc_lo, v5, v8
	s_wait_alu 0xfffd
	v_add_co_ci_u32_e64 v6, null, 0, v6, vcc_lo
	s_delay_alu instid0(VALU_DEP_2) | instskip(SKIP_2) | instid1(VALU_DEP_2)
	v_add_co_u32 v5, vcc_lo, v3, 0
	s_wait_dscnt 0x0
	s_wait_alu 0xfffd
	v_add_co_ci_u32_e64 v6, null, v6, v4, vcc_lo
.LBB2298_67:
	s_wait_alu 0xfffe
	s_or_b32 exec_lo, exec_lo, s4
	v_mov_b32_e32 v22, 0
	s_branch .LBB2298_70
.LBB2298_68:                            ;   in Loop: Header=BB2298_70 Depth=1
	s_wait_alu 0xfffe
	s_or_b32 exec_lo, exec_lo, s4
	v_add_co_u32 v5, vcc_lo, v5, v3
	v_subrev_nc_u32_e32 v21, 32, v21
	s_wait_alu 0xfffd
	v_add_co_ci_u32_e64 v6, null, v6, v4, vcc_lo
	s_mov_b32 s4, 0
.LBB2298_69:                            ;   in Loop: Header=BB2298_70 Depth=1
	s_wait_alu 0xfffe
	s_and_b32 vcc_lo, exec_lo, s4
	s_wait_alu 0xfffe
	s_cbranch_vccnz .LBB2298_86
.LBB2298_70:                            ; =>This Loop Header: Depth=1
                                        ;     Child Loop BB2298_73 Depth 2
	v_and_b32_e32 v3, 0xff, v7
	s_mov_b32 s4, -1
	s_delay_alu instid0(VALU_DEP_1)
	v_cmp_ne_u16_e32 vcc_lo, 2, v3
	s_wait_dscnt 0x0
	v_dual_mov_b32 v3, v5 :: v_dual_mov_b32 v4, v6
                                        ; implicit-def: $vgpr5_vgpr6
	s_cmp_lg_u32 vcc_lo, exec_lo
	s_cbranch_scc1 .LBB2298_69
; %bb.71:                               ;   in Loop: Header=BB2298_70 Depth=1
	v_lshlrev_b64_e32 v[5:6], 4, v[21:22]
	s_mov_b32 s4, exec_lo
	s_delay_alu instid0(VALU_DEP_1) | instskip(SKIP_1) | instid1(VALU_DEP_2)
	v_add_co_u32 v23, vcc_lo, s12, v5
	s_wait_alu 0xfffd
	v_add_co_ci_u32_e64 v24, null, s13, v6, vcc_lo
	;;#ASMSTART
	global_load_b128 v[5:8], v[23:24] off scope:SCOPE_DEV	
s_wait_loadcnt 0x0
	;;#ASMEND
	v_and_b32_e32 v8, 0xff, v7
	s_delay_alu instid0(VALU_DEP_1)
	v_cmpx_eq_u16_e32 0, v8
	s_cbranch_execz .LBB2298_75
; %bb.72:                               ;   in Loop: Header=BB2298_70 Depth=1
	s_mov_b32 s5, 0
.LBB2298_73:                            ;   Parent Loop BB2298_70 Depth=1
                                        ; =>  This Inner Loop Header: Depth=2
	;;#ASMSTART
	global_load_b128 v[5:8], v[23:24] off scope:SCOPE_DEV	
s_wait_loadcnt 0x0
	;;#ASMEND
	v_and_b32_e32 v8, 0xff, v7
	s_delay_alu instid0(VALU_DEP_1)
	v_cmp_ne_u16_e32 vcc_lo, 0, v8
	s_wait_alu 0xfffe
	s_or_b32 s5, vcc_lo, s5
	s_wait_alu 0xfffe
	s_and_not1_b32 exec_lo, exec_lo, s5
	s_cbranch_execnz .LBB2298_73
; %bb.74:                               ;   in Loop: Header=BB2298_70 Depth=1
	s_or_b32 exec_lo, exec_lo, s5
.LBB2298_75:                            ;   in Loop: Header=BB2298_70 Depth=1
	s_wait_alu 0xfffe
	s_or_b32 exec_lo, exec_lo, s4
	v_dual_mov_b32 v23, v5 :: v_dual_and_b32 v8, 0xff, v7
	ds_bpermute_b32 v49, v39, v5
	ds_bpermute_b32 v24, v39, v6
	s_mov_b32 s4, exec_lo
	v_cmp_eq_u16_e32 vcc_lo, 2, v8
	s_wait_alu 0xfffd
	v_and_or_b32 v8, vcc_lo, v40, 0x80000000
	s_delay_alu instid0(VALU_DEP_1) | instskip(NEXT) | instid1(VALU_DEP_1)
	v_ctz_i32_b32_e32 v8, v8
	v_cmpx_lt_u32_e64 v36, v8
	s_cbranch_execz .LBB2298_77
; %bb.76:                               ;   in Loop: Header=BB2298_70 Depth=1
	s_wait_dscnt 0x1
	v_add_co_u32 v23, vcc_lo, v5, v49
	s_wait_alu 0xfffd
	v_add_co_ci_u32_e64 v6, null, 0, v6, vcc_lo
	s_delay_alu instid0(VALU_DEP_2) | instskip(SKIP_2) | instid1(VALU_DEP_2)
	v_add_co_u32 v5, vcc_lo, 0, v23
	s_wait_dscnt 0x0
	s_wait_alu 0xfffd
	v_add_co_ci_u32_e64 v6, null, v24, v6, vcc_lo
.LBB2298_77:                            ;   in Loop: Header=BB2298_70 Depth=1
	s_wait_alu 0xfffe
	s_or_b32 exec_lo, exec_lo, s4
	s_wait_dscnt 0x1
	ds_bpermute_b32 v49, v41, v23
	s_wait_dscnt 0x1
	ds_bpermute_b32 v24, v41, v6
	s_mov_b32 s4, exec_lo
	v_cmpx_le_u32_e64 v42, v8
	s_cbranch_execz .LBB2298_79
; %bb.78:                               ;   in Loop: Header=BB2298_70 Depth=1
	s_wait_dscnt 0x1
	v_add_co_u32 v23, vcc_lo, v5, v49
	s_wait_alu 0xfffd
	v_add_co_ci_u32_e64 v6, null, 0, v6, vcc_lo
	s_delay_alu instid0(VALU_DEP_2) | instskip(SKIP_2) | instid1(VALU_DEP_2)
	v_add_co_u32 v5, vcc_lo, 0, v23
	s_wait_dscnt 0x0
	s_wait_alu 0xfffd
	v_add_co_ci_u32_e64 v6, null, v24, v6, vcc_lo
.LBB2298_79:                            ;   in Loop: Header=BB2298_70 Depth=1
	s_wait_alu 0xfffe
	s_or_b32 exec_lo, exec_lo, s4
	s_wait_dscnt 0x1
	ds_bpermute_b32 v49, v43, v23
	s_wait_dscnt 0x1
	ds_bpermute_b32 v24, v43, v6
	s_mov_b32 s4, exec_lo
	v_cmpx_le_u32_e64 v44, v8
	;; [unrolled: 20-line block ×3, first 2 shown]
	s_cbranch_execz .LBB2298_83
; %bb.82:                               ;   in Loop: Header=BB2298_70 Depth=1
	s_wait_dscnt 0x1
	v_add_co_u32 v23, vcc_lo, v5, v49
	s_wait_alu 0xfffd
	v_add_co_ci_u32_e64 v6, null, 0, v6, vcc_lo
	s_delay_alu instid0(VALU_DEP_2) | instskip(SKIP_2) | instid1(VALU_DEP_2)
	v_add_co_u32 v5, vcc_lo, 0, v23
	s_wait_dscnt 0x0
	s_wait_alu 0xfffd
	v_add_co_ci_u32_e64 v6, null, v24, v6, vcc_lo
.LBB2298_83:                            ;   in Loop: Header=BB2298_70 Depth=1
	s_wait_alu 0xfffe
	s_or_b32 exec_lo, exec_lo, s4
	s_wait_dscnt 0x0
	ds_bpermute_b32 v24, v47, v23
	ds_bpermute_b32 v23, v47, v6
	s_mov_b32 s4, exec_lo
	v_cmpx_le_u32_e64 v48, v8
	s_cbranch_execz .LBB2298_68
; %bb.84:                               ;   in Loop: Header=BB2298_70 Depth=1
	s_wait_dscnt 0x1
	v_add_co_u32 v5, vcc_lo, v5, v24
	s_wait_alu 0xfffd
	v_add_co_ci_u32_e64 v6, null, 0, v6, vcc_lo
	s_delay_alu instid0(VALU_DEP_2) | instskip(SKIP_2) | instid1(VALU_DEP_2)
	v_add_co_u32 v5, vcc_lo, v5, 0
	s_wait_dscnt 0x0
	s_wait_alu 0xfffd
	v_add_co_ci_u32_e64 v6, null, v6, v23, vcc_lo
	s_branch .LBB2298_68
.LBB2298_85:
                                        ; implicit-def: $vgpr19_vgpr20
                                        ; implicit-def: $vgpr7_vgpr8
                                        ; implicit-def: $vgpr5_vgpr6
                                        ; implicit-def: $vgpr3_vgpr4
                                        ; implicit-def: $vgpr20_vgpr21
                                        ; implicit-def: $vgpr21_vgpr22
                                        ; implicit-def: $vgpr22_vgpr23
                                        ; implicit-def: $vgpr23_vgpr24
	s_wait_alu 0xfffe
	s_and_b32 vcc_lo, exec_lo, s1
	s_wait_alu 0xfffe
	s_cbranch_vccnz .LBB2298_91
	s_branch .LBB2298_118
.LBB2298_86:
	s_and_saveexec_b32 s4, s1
	s_cbranch_execz .LBB2298_88
; %bb.87:
	s_add_co_i32 s14, s11, 32
	s_mov_b32 s15, 0
	v_add_co_u32 v5, vcc_lo, v3, v1
	s_wait_alu 0xfffe
	s_lshl_b64 s[14:15], s[14:15], 4
	v_dual_mov_b32 v7, 2 :: v_dual_mov_b32 v8, 0
	s_wait_alu 0xfffe
	s_add_nc_u64 s[14:15], s[12:13], s[14:15]
	s_wait_alu 0xfffd
	v_add_co_ci_u32_e64 v6, null, v4, v2, vcc_lo
	s_wait_alu 0xfffe
	v_dual_mov_b32 v22, s15 :: v_dual_mov_b32 v21, s14
	;;#ASMSTART
	global_store_b128 v[21:22], v[5:8] off scope:SCOPE_DEV	
s_wait_storecnt 0x0
	;;#ASMEND
	ds_store_b128 v8, v[1:4] offset:10752
.LBB2298_88:
	s_wait_alu 0xfffe
	s_or_b32 exec_lo, exec_lo, s4
	s_delay_alu instid0(SALU_CYCLE_1)
	s_and_b32 exec_lo, exec_lo, s2
; %bb.89:
	v_mov_b32_e32 v1, 0
	ds_store_b64 v1, v[3:4] offset:88
.LBB2298_90:
	s_wait_alu 0xfffe
	s_or_b32 exec_lo, exec_lo, s3
	v_mov_b32_e32 v3, 0
	s_wait_loadcnt_dscnt 0x0
	s_barrier_signal -1
	s_barrier_wait -1
	global_inv scope:SCOPE_SE
	ds_load_b64 v[1:2], v3 offset:88
	v_cndmask_b32_e64 v4, v38, v19, s1
	v_cndmask_b32_e64 v5, 0, v20, s1
	s_wait_loadcnt_dscnt 0x0
	s_barrier_signal -1
	s_barrier_wait -1
	v_cndmask_b32_e64 v4, v4, 0, s2
	v_cndmask_b32_e64 v5, v5, 0, s2
	global_inv scope:SCOPE_SE
	v_add_co_u32 v23, vcc_lo, v1, v4
	s_wait_alu 0xfffd
	v_add_co_ci_u32_e64 v1, null, v2, v5, vcc_lo
	s_delay_alu instid0(VALU_DEP_2) | instskip(SKIP_1) | instid1(VALU_DEP_2)
	v_add_co_u32 v22, vcc_lo, v23, v33
	s_wait_alu 0xfffd
	v_add_co_ci_u32_e64 v1, null, 0, v1, vcc_lo
	s_delay_alu instid0(VALU_DEP_2) | instskip(SKIP_1) | instid1(VALU_DEP_2)
	v_add_co_u32 v21, vcc_lo, v22, v32
	s_wait_alu 0xfffd
	v_add_co_ci_u32_e64 v5, null, 0, v1, vcc_lo
	ds_load_b128 v[1:4], v3 offset:10752
	v_add_co_u32 v20, vcc_lo, v21, v35
	s_wait_alu 0xfffd
	v_add_co_ci_u32_e64 v5, null, 0, v5, vcc_lo
	s_delay_alu instid0(VALU_DEP_2) | instskip(SKIP_1) | instid1(VALU_DEP_2)
	v_add_co_u32 v19, vcc_lo, v20, v30
	s_wait_alu 0xfffd
	v_add_co_ci_u32_e64 v6, null, 0, v5, vcc_lo
	s_delay_alu instid0(VALU_DEP_2) | instskip(SKIP_1) | instid1(VALU_DEP_2)
	;; [unrolled: 4-line block ×3, first 2 shown]
	v_add_co_u32 v7, vcc_lo, v5, v31
	s_wait_alu 0xfffd
	v_add_co_ci_u32_e64 v6, null, 0, v6, vcc_lo
	s_branch .LBB2298_118
.LBB2298_91:
	s_wait_dscnt 0x0
	v_dual_mov_b32 v2, 0 :: v_dual_mov_b32 v3, v17
	v_mov_b32_dpp v4, v17 row_shr:1 row_mask:0xf bank_mask:0xf
	s_delay_alu instid0(VALU_DEP_2)
	v_mov_b32_dpp v1, v2 row_shr:1 row_mask:0xf bank_mask:0xf
	s_and_saveexec_b32 s1, s0
; %bb.92:
	s_delay_alu instid0(VALU_DEP_2) | instskip(SKIP_2) | instid1(VALU_DEP_2)
	v_add_co_u32 v3, vcc_lo, v17, v4
	s_wait_alu 0xfffd
	v_add_co_ci_u32_e64 v2, null, 0, v18, vcc_lo
	v_add_co_u32 v17, vcc_lo, 0, v3
	s_wait_alu 0xfffd
	s_delay_alu instid0(VALU_DEP_2) | instskip(NEXT) | instid1(VALU_DEP_1)
	v_add_co_ci_u32_e64 v18, null, v1, v2, vcc_lo
	v_mov_b32_e32 v2, v18
; %bb.93:
	s_wait_alu 0xfffe
	s_or_b32 exec_lo, exec_lo, s1
	v_mov_b32_dpp v1, v3 row_shr:2 row_mask:0xf bank_mask:0xf
	s_delay_alu instid0(VALU_DEP_2)
	v_mov_b32_dpp v4, v2 row_shr:2 row_mask:0xf bank_mask:0xf
	v_cmp_lt_u32_e32 vcc_lo, 1, v37
	s_and_saveexec_b32 s3, vcc_lo
; %bb.94:
	s_delay_alu instid0(VALU_DEP_3) | instskip(SKIP_2) | instid1(VALU_DEP_2)
	v_add_co_u32 v3, s1, v17, v1
	s_wait_alu 0xf1ff
	v_add_co_ci_u32_e64 v2, null, 0, v18, s1
	v_add_co_u32 v1, s1, 0, v3
	s_wait_alu 0xf1ff
	s_delay_alu instid0(VALU_DEP_2) | instskip(NEXT) | instid1(VALU_DEP_1)
	v_add_co_ci_u32_e64 v2, null, v4, v2, s1
	v_dual_mov_b32 v18, v2 :: v_dual_mov_b32 v17, v1
; %bb.95:
	s_wait_alu 0xfffe
	s_or_b32 exec_lo, exec_lo, s3
	v_mov_b32_dpp v1, v3 row_shr:4 row_mask:0xf bank_mask:0xf
	v_mov_b32_dpp v4, v2 row_shr:4 row_mask:0xf bank_mask:0xf
	v_cmp_lt_u32_e64 s1, 3, v37
	s_and_saveexec_b32 s4, s1
; %bb.96:
	v_add_co_u32 v3, s3, v17, v1
	s_wait_alu 0xf1ff
	v_add_co_ci_u32_e64 v2, null, 0, v18, s3
	s_delay_alu instid0(VALU_DEP_2) | instskip(SKIP_1) | instid1(VALU_DEP_2)
	v_add_co_u32 v1, s3, 0, v3
	s_wait_alu 0xf1ff
	v_add_co_ci_u32_e64 v2, null, v4, v2, s3
	s_delay_alu instid0(VALU_DEP_1)
	v_dual_mov_b32 v18, v2 :: v_dual_mov_b32 v17, v1
; %bb.97:
	s_wait_alu 0xfffe
	s_or_b32 exec_lo, exec_lo, s4
	v_mov_b32_dpp v4, v3 row_shr:8 row_mask:0xf bank_mask:0xf
	v_mov_b32_dpp v1, v2 row_shr:8 row_mask:0xf bank_mask:0xf
	v_cmp_lt_u32_e64 s3, 7, v37
	s_and_saveexec_b32 s5, s3
; %bb.98:
	v_add_co_u32 v3, s4, v17, v4
	s_wait_alu 0xf1ff
	v_add_co_ci_u32_e64 v2, null, 0, v18, s4
	s_delay_alu instid0(VALU_DEP_2) | instskip(SKIP_1) | instid1(VALU_DEP_2)
	v_add_co_u32 v17, s4, 0, v3
	s_wait_alu 0xf1ff
	v_add_co_ci_u32_e64 v18, null, v1, v2, s4
	s_delay_alu instid0(VALU_DEP_1)
	v_mov_b32_e32 v2, v18
; %bb.99:
	s_wait_alu 0xfffe
	s_or_b32 exec_lo, exec_lo, s5
	ds_swizzle_b32 v3, v3 offset:swizzle(BROADCAST,32,15)
	ds_swizzle_b32 v1, v2 offset:swizzle(BROADCAST,32,15)
	v_and_b32_e32 v2, 16, v36
	s_mov_b32 s5, exec_lo
	s_delay_alu instid0(VALU_DEP_1)
	v_cmpx_ne_u32_e32 0, v2
	s_cbranch_execz .LBB2298_101
; %bb.100:
	s_wait_dscnt 0x1
	v_add_co_u32 v2, s4, v17, v3
	s_wait_alu 0xf1ff
	v_add_co_ci_u32_e64 v3, null, 0, v18, s4
	s_delay_alu instid0(VALU_DEP_2) | instskip(SKIP_2) | instid1(VALU_DEP_2)
	v_add_co_u32 v17, s4, v2, 0
	s_wait_dscnt 0x0
	s_wait_alu 0xf1ff
	v_add_co_ci_u32_e64 v18, null, v3, v1, s4
.LBB2298_101:
	s_wait_alu 0xfffe
	s_or_b32 exec_lo, exec_lo, s5
	s_wait_dscnt 0x0
	v_and_b32_e32 v1, 0x1e0, v0
	v_lshrrev_b32_e32 v3, 5, v0
	s_mov_b32 s5, exec_lo
	s_delay_alu instid0(VALU_DEP_2) | instskip(NEXT) | instid1(VALU_DEP_1)
	v_min_u32_e32 v1, 0x160, v1
	v_or_b32_e32 v1, 31, v1
	s_delay_alu instid0(VALU_DEP_1)
	v_cmpx_eq_u32_e64 v0, v1
; %bb.102:
	v_lshlrev_b32_e32 v1, 3, v3
	ds_store_b64 v1, v[17:18]
; %bb.103:
	s_wait_alu 0xfffe
	s_or_b32 exec_lo, exec_lo, s5
	s_delay_alu instid0(SALU_CYCLE_1)
	s_mov_b32 s5, exec_lo
	s_wait_loadcnt_dscnt 0x0
	s_barrier_signal -1
	s_barrier_wait -1
	global_inv scope:SCOPE_SE
	v_cmpx_gt_u32_e32 12, v0
	s_cbranch_execz .LBB2298_113
; %bb.104:
	v_mad_i32_i24 v1, 0xffffffec, v0, v29
	ds_load_b64 v[1:2], v1
	s_wait_dscnt 0x0
	v_mov_b32_dpp v6, v1 row_shr:1 row_mask:0xf bank_mask:0xf
	v_mov_b32_dpp v5, v2 row_shr:1 row_mask:0xf bank_mask:0xf
	v_mov_b32_e32 v4, v1
	s_and_saveexec_b32 s4, s0
; %bb.105:
	s_delay_alu instid0(VALU_DEP_3) | instskip(SKIP_2) | instid1(VALU_DEP_2)
	v_add_co_u32 v4, s0, v1, v6
	s_wait_alu 0xf1ff
	v_add_co_ci_u32_e64 v2, null, 0, v2, s0
	v_add_co_u32 v1, s0, 0, v4
	s_wait_alu 0xf1ff
	s_delay_alu instid0(VALU_DEP_2)
	v_add_co_ci_u32_e64 v2, null, v5, v2, s0
; %bb.106:
	s_wait_alu 0xfffe
	s_or_b32 exec_lo, exec_lo, s4
	v_mov_b32_dpp v6, v4 row_shr:2 row_mask:0xf bank_mask:0xf
	s_delay_alu instid0(VALU_DEP_2)
	v_mov_b32_dpp v5, v2 row_shr:2 row_mask:0xf bank_mask:0xf
	s_and_saveexec_b32 s0, vcc_lo
; %bb.107:
	s_delay_alu instid0(VALU_DEP_2) | instskip(SKIP_2) | instid1(VALU_DEP_2)
	v_add_co_u32 v4, vcc_lo, v1, v6
	s_wait_alu 0xfffd
	v_add_co_ci_u32_e64 v2, null, 0, v2, vcc_lo
	v_add_co_u32 v1, vcc_lo, 0, v4
	s_wait_alu 0xfffd
	s_delay_alu instid0(VALU_DEP_2)
	v_add_co_ci_u32_e64 v2, null, v5, v2, vcc_lo
; %bb.108:
	s_wait_alu 0xfffe
	s_or_b32 exec_lo, exec_lo, s0
	v_mov_b32_dpp v6, v4 row_shr:4 row_mask:0xf bank_mask:0xf
	s_delay_alu instid0(VALU_DEP_2)
	v_mov_b32_dpp v5, v2 row_shr:4 row_mask:0xf bank_mask:0xf
	s_and_saveexec_b32 s0, s1
; %bb.109:
	s_delay_alu instid0(VALU_DEP_2) | instskip(SKIP_2) | instid1(VALU_DEP_2)
	v_add_co_u32 v4, vcc_lo, v1, v6
	s_wait_alu 0xfffd
	v_add_co_ci_u32_e64 v2, null, 0, v2, vcc_lo
	v_add_co_u32 v1, vcc_lo, 0, v4
	s_wait_alu 0xfffd
	s_delay_alu instid0(VALU_DEP_2)
	v_add_co_ci_u32_e64 v2, null, v5, v2, vcc_lo
; %bb.110:
	s_wait_alu 0xfffe
	s_or_b32 exec_lo, exec_lo, s0
	v_mul_i32_i24_e32 v5, 0xffffffec, v0
	v_mov_b32_dpp v6, v4 row_shr:8 row_mask:0xf bank_mask:0xf
	v_mov_b32_dpp v4, v2 row_shr:8 row_mask:0xf bank_mask:0xf
	s_and_saveexec_b32 s0, s3
; %bb.111:
	s_delay_alu instid0(VALU_DEP_2) | instskip(SKIP_2) | instid1(VALU_DEP_2)
	v_add_co_u32 v1, vcc_lo, v1, v6
	s_wait_alu 0xfffd
	v_add_co_ci_u32_e64 v2, null, 0, v2, vcc_lo
	v_add_co_u32 v1, vcc_lo, v1, 0
	s_wait_alu 0xfffd
	s_delay_alu instid0(VALU_DEP_2)
	v_add_co_ci_u32_e64 v2, null, v2, v4, vcc_lo
; %bb.112:
	s_wait_alu 0xfffe
	s_or_b32 exec_lo, exec_lo, s0
	v_add_nc_u32_e32 v4, v29, v5
	ds_store_b64 v4, v[1:2]
.LBB2298_113:
	s_wait_alu 0xfffe
	s_or_b32 exec_lo, exec_lo, s5
	v_mov_b32_e32 v5, 0
	v_mov_b32_e32 v6, 0
	s_mov_b32 s0, exec_lo
	s_wait_loadcnt_dscnt 0x0
	s_barrier_signal -1
	s_barrier_wait -1
	global_inv scope:SCOPE_SE
	v_cmpx_lt_u32_e32 31, v0
; %bb.114:
	v_lshl_add_u32 v0, v3, 3, -8
	ds_load_b64 v[5:6], v0
; %bb.115:
	s_wait_alu 0xfffe
	s_or_b32 exec_lo, exec_lo, s0
	v_sub_co_u32 v0, vcc_lo, v36, 1
	s_wait_dscnt 0x0
	v_dual_mov_b32 v4, 0 :: v_dual_add_nc_u32 v1, v5, v17
	s_delay_alu instid0(VALU_DEP_2) | instskip(SKIP_1) | instid1(VALU_DEP_1)
	v_cmp_gt_i32_e64 s0, 0, v0
	s_wait_alu 0xf1ff
	v_cndmask_b32_e64 v0, v0, v36, s0
	s_delay_alu instid0(VALU_DEP_1)
	v_lshlrev_b32_e32 v0, 2, v0
	ds_bpermute_b32 v0, v0, v1
	ds_load_b64 v[1:2], v4 offset:88
	s_and_saveexec_b32 s0, s2
	s_cbranch_execz .LBB2298_117
; %bb.116:
	s_add_nc_u64 s[4:5], s[12:13], 0x200
	s_wait_alu 0xfffe
	v_dual_mov_b32 v3, 2 :: v_dual_mov_b32 v8, s5
	v_mov_b32_e32 v7, s4
	s_wait_dscnt 0x0
	;;#ASMSTART
	global_store_b128 v[7:8], v[1:4] off scope:SCOPE_DEV	
s_wait_storecnt 0x0
	;;#ASMEND
.LBB2298_117:
	s_wait_alu 0xfffe
	s_or_b32 exec_lo, exec_lo, s0
	s_wait_dscnt 0x1
	s_wait_alu 0xfffd
	v_dual_cndmask_b32 v0, v0, v5 :: v_dual_cndmask_b32 v3, 0, v6
	s_wait_loadcnt_dscnt 0x0
	s_barrier_signal -1
	s_barrier_wait -1
	s_delay_alu instid0(VALU_DEP_1)
	v_cndmask_b32_e64 v23, v0, 0, s2
	v_cndmask_b32_e64 v0, v3, 0, s2
	v_mov_b32_e32 v3, 0
	v_mov_b32_e32 v4, 0
	global_inv scope:SCOPE_SE
	v_add_co_u32 v22, vcc_lo, v23, v33
	s_wait_alu 0xfffd
	v_add_co_ci_u32_e64 v0, null, 0, v0, vcc_lo
	s_delay_alu instid0(VALU_DEP_2) | instskip(SKIP_1) | instid1(VALU_DEP_2)
	v_add_co_u32 v21, vcc_lo, v22, v32
	s_wait_alu 0xfffd
	v_add_co_ci_u32_e64 v0, null, 0, v0, vcc_lo
	s_delay_alu instid0(VALU_DEP_2) | instskip(SKIP_1) | instid1(VALU_DEP_2)
	;; [unrolled: 4-line block ×5, first 2 shown]
	v_add_co_u32 v7, vcc_lo, v5, v31
	s_wait_alu 0xfffd
	v_add_co_ci_u32_e64 v0, null, 0, v0, vcc_lo
.LBB2298_118:
	s_wait_dscnt 0x0
	v_cmp_gt_u64_e32 vcc_lo, 0x181, v[1:2]
	v_lshrrev_b32_e32 v6, 8, v28
	v_lshrrev_b32_e32 v0, 16, v28
	s_cbranch_vccz .LBB2298_121
; %bb.119:
	s_and_b32 s0, s2, s7
	s_wait_alu 0xfffe
	s_and_saveexec_b32 s1, s0
	s_cbranch_execnz .LBB2298_136
.LBB2298_120:
	s_endpgm
.LBB2298_121:
	v_and_b32_e32 v8, 1, v28
	s_mov_b32 s0, exec_lo
	s_delay_alu instid0(VALU_DEP_1)
	v_cmpx_eq_u32_e32 1, v8
; %bb.122:
	v_sub_nc_u32_e32 v8, v23, v3
	s_delay_alu instid0(VALU_DEP_1)
	v_lshlrev_b32_e32 v8, 2, v8
	ds_store_b32 v8, v15
; %bb.123:
	s_wait_alu 0xfffe
	s_or_b32 exec_lo, exec_lo, s0
	v_and_b32_e32 v6, 1, v6
	s_mov_b32 s0, exec_lo
	s_delay_alu instid0(VALU_DEP_1)
	v_cmpx_eq_u32_e32 1, v6
; %bb.124:
	v_sub_nc_u32_e32 v6, v22, v3
	s_delay_alu instid0(VALU_DEP_1)
	v_lshlrev_b32_e32 v6, 2, v6
	ds_store_b32 v6, v16
; %bb.125:
	s_wait_alu 0xfffe
	s_or_b32 exec_lo, exec_lo, s0
	;; [unrolled: 12-line block ×6, first 2 shown]
	s_and_saveexec_b32 s0, s10
; %bb.134:
	v_sub_nc_u32_e32 v0, v7, v3
	s_delay_alu instid0(VALU_DEP_1)
	v_lshlrev_b32_e32 v0, 2, v0
	ds_store_b32 v0, v25
; %bb.135:
	s_wait_alu 0xfffe
	s_or_b32 exec_lo, exec_lo, s0
	s_wait_loadcnt_dscnt 0x0
	s_barrier_signal -1
	s_barrier_wait -1
	global_inv scope:SCOPE_SE
	s_and_b32 s0, s2, s7
	s_wait_alu 0xfffe
	s_and_saveexec_b32 s1, s0
	s_cbranch_execz .LBB2298_120
.LBB2298_136:
	v_add_co_u32 v0, vcc_lo, v1, v9
	s_wait_alu 0xfffd
	v_add_co_ci_u32_e64 v1, null, v2, v10, vcc_lo
	v_mov_b32_e32 v2, 0
	s_delay_alu instid0(VALU_DEP_3) | instskip(SKIP_1) | instid1(VALU_DEP_3)
	v_add_co_u32 v0, vcc_lo, v0, v3
	s_wait_alu 0xfffd
	v_add_co_ci_u32_e64 v1, null, v1, v4, vcc_lo
	global_store_b64 v2, v[0:1], s[8:9]
	s_endpgm
	.section	.rodata,"a",@progbits
	.p2align	6, 0x0
	.amdhsa_kernel _ZN7rocprim17ROCPRIM_400000_NS6detail17trampoline_kernelINS0_14default_configENS1_25partition_config_selectorILNS1_17partition_subalgoE6EiNS0_10empty_typeEbEEZZNS1_14partition_implILS5_6ELb0ES3_mN6thrust23THRUST_200600_302600_NS6detail15normal_iteratorINSA_10device_ptrIiEEEEPS6_SG_NS0_5tupleIJNSA_16discard_iteratorINSA_11use_defaultEEES6_EEENSH_IJSG_SG_EEES6_PlJNSB_9not_fun_tI7is_trueIiEEEEEE10hipError_tPvRmT3_T4_T5_T6_T7_T9_mT8_P12ihipStream_tbDpT10_ENKUlT_T0_E_clISt17integral_constantIbLb0EES1A_IbLb1EEEEDaS16_S17_EUlS16_E_NS1_11comp_targetILNS1_3genE10ELNS1_11target_archE1200ELNS1_3gpuE4ELNS1_3repE0EEENS1_30default_config_static_selectorELNS0_4arch9wavefront6targetE0EEEvT1_
		.amdhsa_group_segment_fixed_size 10768
		.amdhsa_private_segment_fixed_size 0
		.amdhsa_kernarg_size 136
		.amdhsa_user_sgpr_count 2
		.amdhsa_user_sgpr_dispatch_ptr 0
		.amdhsa_user_sgpr_queue_ptr 0
		.amdhsa_user_sgpr_kernarg_segment_ptr 1
		.amdhsa_user_sgpr_dispatch_id 0
		.amdhsa_user_sgpr_private_segment_size 0
		.amdhsa_wavefront_size32 1
		.amdhsa_uses_dynamic_stack 0
		.amdhsa_enable_private_segment 0
		.amdhsa_system_sgpr_workgroup_id_x 1
		.amdhsa_system_sgpr_workgroup_id_y 0
		.amdhsa_system_sgpr_workgroup_id_z 0
		.amdhsa_system_sgpr_workgroup_info 0
		.amdhsa_system_vgpr_workitem_id 0
		.amdhsa_next_free_vgpr 50
		.amdhsa_next_free_sgpr 18
		.amdhsa_reserve_vcc 1
		.amdhsa_float_round_mode_32 0
		.amdhsa_float_round_mode_16_64 0
		.amdhsa_float_denorm_mode_32 3
		.amdhsa_float_denorm_mode_16_64 3
		.amdhsa_fp16_overflow 0
		.amdhsa_workgroup_processor_mode 1
		.amdhsa_memory_ordered 1
		.amdhsa_forward_progress 1
		.amdhsa_inst_pref_size 53
		.amdhsa_round_robin_scheduling 0
		.amdhsa_exception_fp_ieee_invalid_op 0
		.amdhsa_exception_fp_denorm_src 0
		.amdhsa_exception_fp_ieee_div_zero 0
		.amdhsa_exception_fp_ieee_overflow 0
		.amdhsa_exception_fp_ieee_underflow 0
		.amdhsa_exception_fp_ieee_inexact 0
		.amdhsa_exception_int_div_zero 0
	.end_amdhsa_kernel
	.section	.text._ZN7rocprim17ROCPRIM_400000_NS6detail17trampoline_kernelINS0_14default_configENS1_25partition_config_selectorILNS1_17partition_subalgoE6EiNS0_10empty_typeEbEEZZNS1_14partition_implILS5_6ELb0ES3_mN6thrust23THRUST_200600_302600_NS6detail15normal_iteratorINSA_10device_ptrIiEEEEPS6_SG_NS0_5tupleIJNSA_16discard_iteratorINSA_11use_defaultEEES6_EEENSH_IJSG_SG_EEES6_PlJNSB_9not_fun_tI7is_trueIiEEEEEE10hipError_tPvRmT3_T4_T5_T6_T7_T9_mT8_P12ihipStream_tbDpT10_ENKUlT_T0_E_clISt17integral_constantIbLb0EES1A_IbLb1EEEEDaS16_S17_EUlS16_E_NS1_11comp_targetILNS1_3genE10ELNS1_11target_archE1200ELNS1_3gpuE4ELNS1_3repE0EEENS1_30default_config_static_selectorELNS0_4arch9wavefront6targetE0EEEvT1_,"axG",@progbits,_ZN7rocprim17ROCPRIM_400000_NS6detail17trampoline_kernelINS0_14default_configENS1_25partition_config_selectorILNS1_17partition_subalgoE6EiNS0_10empty_typeEbEEZZNS1_14partition_implILS5_6ELb0ES3_mN6thrust23THRUST_200600_302600_NS6detail15normal_iteratorINSA_10device_ptrIiEEEEPS6_SG_NS0_5tupleIJNSA_16discard_iteratorINSA_11use_defaultEEES6_EEENSH_IJSG_SG_EEES6_PlJNSB_9not_fun_tI7is_trueIiEEEEEE10hipError_tPvRmT3_T4_T5_T6_T7_T9_mT8_P12ihipStream_tbDpT10_ENKUlT_T0_E_clISt17integral_constantIbLb0EES1A_IbLb1EEEEDaS16_S17_EUlS16_E_NS1_11comp_targetILNS1_3genE10ELNS1_11target_archE1200ELNS1_3gpuE4ELNS1_3repE0EEENS1_30default_config_static_selectorELNS0_4arch9wavefront6targetE0EEEvT1_,comdat
.Lfunc_end2298:
	.size	_ZN7rocprim17ROCPRIM_400000_NS6detail17trampoline_kernelINS0_14default_configENS1_25partition_config_selectorILNS1_17partition_subalgoE6EiNS0_10empty_typeEbEEZZNS1_14partition_implILS5_6ELb0ES3_mN6thrust23THRUST_200600_302600_NS6detail15normal_iteratorINSA_10device_ptrIiEEEEPS6_SG_NS0_5tupleIJNSA_16discard_iteratorINSA_11use_defaultEEES6_EEENSH_IJSG_SG_EEES6_PlJNSB_9not_fun_tI7is_trueIiEEEEEE10hipError_tPvRmT3_T4_T5_T6_T7_T9_mT8_P12ihipStream_tbDpT10_ENKUlT_T0_E_clISt17integral_constantIbLb0EES1A_IbLb1EEEEDaS16_S17_EUlS16_E_NS1_11comp_targetILNS1_3genE10ELNS1_11target_archE1200ELNS1_3gpuE4ELNS1_3repE0EEENS1_30default_config_static_selectorELNS0_4arch9wavefront6targetE0EEEvT1_, .Lfunc_end2298-_ZN7rocprim17ROCPRIM_400000_NS6detail17trampoline_kernelINS0_14default_configENS1_25partition_config_selectorILNS1_17partition_subalgoE6EiNS0_10empty_typeEbEEZZNS1_14partition_implILS5_6ELb0ES3_mN6thrust23THRUST_200600_302600_NS6detail15normal_iteratorINSA_10device_ptrIiEEEEPS6_SG_NS0_5tupleIJNSA_16discard_iteratorINSA_11use_defaultEEES6_EEENSH_IJSG_SG_EEES6_PlJNSB_9not_fun_tI7is_trueIiEEEEEE10hipError_tPvRmT3_T4_T5_T6_T7_T9_mT8_P12ihipStream_tbDpT10_ENKUlT_T0_E_clISt17integral_constantIbLb0EES1A_IbLb1EEEEDaS16_S17_EUlS16_E_NS1_11comp_targetILNS1_3genE10ELNS1_11target_archE1200ELNS1_3gpuE4ELNS1_3repE0EEENS1_30default_config_static_selectorELNS0_4arch9wavefront6targetE0EEEvT1_
                                        ; -- End function
	.set _ZN7rocprim17ROCPRIM_400000_NS6detail17trampoline_kernelINS0_14default_configENS1_25partition_config_selectorILNS1_17partition_subalgoE6EiNS0_10empty_typeEbEEZZNS1_14partition_implILS5_6ELb0ES3_mN6thrust23THRUST_200600_302600_NS6detail15normal_iteratorINSA_10device_ptrIiEEEEPS6_SG_NS0_5tupleIJNSA_16discard_iteratorINSA_11use_defaultEEES6_EEENSH_IJSG_SG_EEES6_PlJNSB_9not_fun_tI7is_trueIiEEEEEE10hipError_tPvRmT3_T4_T5_T6_T7_T9_mT8_P12ihipStream_tbDpT10_ENKUlT_T0_E_clISt17integral_constantIbLb0EES1A_IbLb1EEEEDaS16_S17_EUlS16_E_NS1_11comp_targetILNS1_3genE10ELNS1_11target_archE1200ELNS1_3gpuE4ELNS1_3repE0EEENS1_30default_config_static_selectorELNS0_4arch9wavefront6targetE0EEEvT1_.num_vgpr, 50
	.set _ZN7rocprim17ROCPRIM_400000_NS6detail17trampoline_kernelINS0_14default_configENS1_25partition_config_selectorILNS1_17partition_subalgoE6EiNS0_10empty_typeEbEEZZNS1_14partition_implILS5_6ELb0ES3_mN6thrust23THRUST_200600_302600_NS6detail15normal_iteratorINSA_10device_ptrIiEEEEPS6_SG_NS0_5tupleIJNSA_16discard_iteratorINSA_11use_defaultEEES6_EEENSH_IJSG_SG_EEES6_PlJNSB_9not_fun_tI7is_trueIiEEEEEE10hipError_tPvRmT3_T4_T5_T6_T7_T9_mT8_P12ihipStream_tbDpT10_ENKUlT_T0_E_clISt17integral_constantIbLb0EES1A_IbLb1EEEEDaS16_S17_EUlS16_E_NS1_11comp_targetILNS1_3genE10ELNS1_11target_archE1200ELNS1_3gpuE4ELNS1_3repE0EEENS1_30default_config_static_selectorELNS0_4arch9wavefront6targetE0EEEvT1_.num_agpr, 0
	.set _ZN7rocprim17ROCPRIM_400000_NS6detail17trampoline_kernelINS0_14default_configENS1_25partition_config_selectorILNS1_17partition_subalgoE6EiNS0_10empty_typeEbEEZZNS1_14partition_implILS5_6ELb0ES3_mN6thrust23THRUST_200600_302600_NS6detail15normal_iteratorINSA_10device_ptrIiEEEEPS6_SG_NS0_5tupleIJNSA_16discard_iteratorINSA_11use_defaultEEES6_EEENSH_IJSG_SG_EEES6_PlJNSB_9not_fun_tI7is_trueIiEEEEEE10hipError_tPvRmT3_T4_T5_T6_T7_T9_mT8_P12ihipStream_tbDpT10_ENKUlT_T0_E_clISt17integral_constantIbLb0EES1A_IbLb1EEEEDaS16_S17_EUlS16_E_NS1_11comp_targetILNS1_3genE10ELNS1_11target_archE1200ELNS1_3gpuE4ELNS1_3repE0EEENS1_30default_config_static_selectorELNS0_4arch9wavefront6targetE0EEEvT1_.numbered_sgpr, 18
	.set _ZN7rocprim17ROCPRIM_400000_NS6detail17trampoline_kernelINS0_14default_configENS1_25partition_config_selectorILNS1_17partition_subalgoE6EiNS0_10empty_typeEbEEZZNS1_14partition_implILS5_6ELb0ES3_mN6thrust23THRUST_200600_302600_NS6detail15normal_iteratorINSA_10device_ptrIiEEEEPS6_SG_NS0_5tupleIJNSA_16discard_iteratorINSA_11use_defaultEEES6_EEENSH_IJSG_SG_EEES6_PlJNSB_9not_fun_tI7is_trueIiEEEEEE10hipError_tPvRmT3_T4_T5_T6_T7_T9_mT8_P12ihipStream_tbDpT10_ENKUlT_T0_E_clISt17integral_constantIbLb0EES1A_IbLb1EEEEDaS16_S17_EUlS16_E_NS1_11comp_targetILNS1_3genE10ELNS1_11target_archE1200ELNS1_3gpuE4ELNS1_3repE0EEENS1_30default_config_static_selectorELNS0_4arch9wavefront6targetE0EEEvT1_.num_named_barrier, 0
	.set _ZN7rocprim17ROCPRIM_400000_NS6detail17trampoline_kernelINS0_14default_configENS1_25partition_config_selectorILNS1_17partition_subalgoE6EiNS0_10empty_typeEbEEZZNS1_14partition_implILS5_6ELb0ES3_mN6thrust23THRUST_200600_302600_NS6detail15normal_iteratorINSA_10device_ptrIiEEEEPS6_SG_NS0_5tupleIJNSA_16discard_iteratorINSA_11use_defaultEEES6_EEENSH_IJSG_SG_EEES6_PlJNSB_9not_fun_tI7is_trueIiEEEEEE10hipError_tPvRmT3_T4_T5_T6_T7_T9_mT8_P12ihipStream_tbDpT10_ENKUlT_T0_E_clISt17integral_constantIbLb0EES1A_IbLb1EEEEDaS16_S17_EUlS16_E_NS1_11comp_targetILNS1_3genE10ELNS1_11target_archE1200ELNS1_3gpuE4ELNS1_3repE0EEENS1_30default_config_static_selectorELNS0_4arch9wavefront6targetE0EEEvT1_.private_seg_size, 0
	.set _ZN7rocprim17ROCPRIM_400000_NS6detail17trampoline_kernelINS0_14default_configENS1_25partition_config_selectorILNS1_17partition_subalgoE6EiNS0_10empty_typeEbEEZZNS1_14partition_implILS5_6ELb0ES3_mN6thrust23THRUST_200600_302600_NS6detail15normal_iteratorINSA_10device_ptrIiEEEEPS6_SG_NS0_5tupleIJNSA_16discard_iteratorINSA_11use_defaultEEES6_EEENSH_IJSG_SG_EEES6_PlJNSB_9not_fun_tI7is_trueIiEEEEEE10hipError_tPvRmT3_T4_T5_T6_T7_T9_mT8_P12ihipStream_tbDpT10_ENKUlT_T0_E_clISt17integral_constantIbLb0EES1A_IbLb1EEEEDaS16_S17_EUlS16_E_NS1_11comp_targetILNS1_3genE10ELNS1_11target_archE1200ELNS1_3gpuE4ELNS1_3repE0EEENS1_30default_config_static_selectorELNS0_4arch9wavefront6targetE0EEEvT1_.uses_vcc, 1
	.set _ZN7rocprim17ROCPRIM_400000_NS6detail17trampoline_kernelINS0_14default_configENS1_25partition_config_selectorILNS1_17partition_subalgoE6EiNS0_10empty_typeEbEEZZNS1_14partition_implILS5_6ELb0ES3_mN6thrust23THRUST_200600_302600_NS6detail15normal_iteratorINSA_10device_ptrIiEEEEPS6_SG_NS0_5tupleIJNSA_16discard_iteratorINSA_11use_defaultEEES6_EEENSH_IJSG_SG_EEES6_PlJNSB_9not_fun_tI7is_trueIiEEEEEE10hipError_tPvRmT3_T4_T5_T6_T7_T9_mT8_P12ihipStream_tbDpT10_ENKUlT_T0_E_clISt17integral_constantIbLb0EES1A_IbLb1EEEEDaS16_S17_EUlS16_E_NS1_11comp_targetILNS1_3genE10ELNS1_11target_archE1200ELNS1_3gpuE4ELNS1_3repE0EEENS1_30default_config_static_selectorELNS0_4arch9wavefront6targetE0EEEvT1_.uses_flat_scratch, 1
	.set _ZN7rocprim17ROCPRIM_400000_NS6detail17trampoline_kernelINS0_14default_configENS1_25partition_config_selectorILNS1_17partition_subalgoE6EiNS0_10empty_typeEbEEZZNS1_14partition_implILS5_6ELb0ES3_mN6thrust23THRUST_200600_302600_NS6detail15normal_iteratorINSA_10device_ptrIiEEEEPS6_SG_NS0_5tupleIJNSA_16discard_iteratorINSA_11use_defaultEEES6_EEENSH_IJSG_SG_EEES6_PlJNSB_9not_fun_tI7is_trueIiEEEEEE10hipError_tPvRmT3_T4_T5_T6_T7_T9_mT8_P12ihipStream_tbDpT10_ENKUlT_T0_E_clISt17integral_constantIbLb0EES1A_IbLb1EEEEDaS16_S17_EUlS16_E_NS1_11comp_targetILNS1_3genE10ELNS1_11target_archE1200ELNS1_3gpuE4ELNS1_3repE0EEENS1_30default_config_static_selectorELNS0_4arch9wavefront6targetE0EEEvT1_.has_dyn_sized_stack, 0
	.set _ZN7rocprim17ROCPRIM_400000_NS6detail17trampoline_kernelINS0_14default_configENS1_25partition_config_selectorILNS1_17partition_subalgoE6EiNS0_10empty_typeEbEEZZNS1_14partition_implILS5_6ELb0ES3_mN6thrust23THRUST_200600_302600_NS6detail15normal_iteratorINSA_10device_ptrIiEEEEPS6_SG_NS0_5tupleIJNSA_16discard_iteratorINSA_11use_defaultEEES6_EEENSH_IJSG_SG_EEES6_PlJNSB_9not_fun_tI7is_trueIiEEEEEE10hipError_tPvRmT3_T4_T5_T6_T7_T9_mT8_P12ihipStream_tbDpT10_ENKUlT_T0_E_clISt17integral_constantIbLb0EES1A_IbLb1EEEEDaS16_S17_EUlS16_E_NS1_11comp_targetILNS1_3genE10ELNS1_11target_archE1200ELNS1_3gpuE4ELNS1_3repE0EEENS1_30default_config_static_selectorELNS0_4arch9wavefront6targetE0EEEvT1_.has_recursion, 0
	.set _ZN7rocprim17ROCPRIM_400000_NS6detail17trampoline_kernelINS0_14default_configENS1_25partition_config_selectorILNS1_17partition_subalgoE6EiNS0_10empty_typeEbEEZZNS1_14partition_implILS5_6ELb0ES3_mN6thrust23THRUST_200600_302600_NS6detail15normal_iteratorINSA_10device_ptrIiEEEEPS6_SG_NS0_5tupleIJNSA_16discard_iteratorINSA_11use_defaultEEES6_EEENSH_IJSG_SG_EEES6_PlJNSB_9not_fun_tI7is_trueIiEEEEEE10hipError_tPvRmT3_T4_T5_T6_T7_T9_mT8_P12ihipStream_tbDpT10_ENKUlT_T0_E_clISt17integral_constantIbLb0EES1A_IbLb1EEEEDaS16_S17_EUlS16_E_NS1_11comp_targetILNS1_3genE10ELNS1_11target_archE1200ELNS1_3gpuE4ELNS1_3repE0EEENS1_30default_config_static_selectorELNS0_4arch9wavefront6targetE0EEEvT1_.has_indirect_call, 0
	.section	.AMDGPU.csdata,"",@progbits
; Kernel info:
; codeLenInByte = 6676
; TotalNumSgprs: 20
; NumVgprs: 50
; ScratchSize: 0
; MemoryBound: 0
; FloatMode: 240
; IeeeMode: 1
; LDSByteSize: 10768 bytes/workgroup (compile time only)
; SGPRBlocks: 0
; VGPRBlocks: 6
; NumSGPRsForWavesPerEU: 20
; NumVGPRsForWavesPerEU: 50
; Occupancy: 15
; WaveLimiterHint : 1
; COMPUTE_PGM_RSRC2:SCRATCH_EN: 0
; COMPUTE_PGM_RSRC2:USER_SGPR: 2
; COMPUTE_PGM_RSRC2:TRAP_HANDLER: 0
; COMPUTE_PGM_RSRC2:TGID_X_EN: 1
; COMPUTE_PGM_RSRC2:TGID_Y_EN: 0
; COMPUTE_PGM_RSRC2:TGID_Z_EN: 0
; COMPUTE_PGM_RSRC2:TIDIG_COMP_CNT: 0
	.section	.text._ZN7rocprim17ROCPRIM_400000_NS6detail17trampoline_kernelINS0_14default_configENS1_25partition_config_selectorILNS1_17partition_subalgoE6EiNS0_10empty_typeEbEEZZNS1_14partition_implILS5_6ELb0ES3_mN6thrust23THRUST_200600_302600_NS6detail15normal_iteratorINSA_10device_ptrIiEEEEPS6_SG_NS0_5tupleIJNSA_16discard_iteratorINSA_11use_defaultEEES6_EEENSH_IJSG_SG_EEES6_PlJNSB_9not_fun_tI7is_trueIiEEEEEE10hipError_tPvRmT3_T4_T5_T6_T7_T9_mT8_P12ihipStream_tbDpT10_ENKUlT_T0_E_clISt17integral_constantIbLb0EES1A_IbLb1EEEEDaS16_S17_EUlS16_E_NS1_11comp_targetILNS1_3genE9ELNS1_11target_archE1100ELNS1_3gpuE3ELNS1_3repE0EEENS1_30default_config_static_selectorELNS0_4arch9wavefront6targetE0EEEvT1_,"axG",@progbits,_ZN7rocprim17ROCPRIM_400000_NS6detail17trampoline_kernelINS0_14default_configENS1_25partition_config_selectorILNS1_17partition_subalgoE6EiNS0_10empty_typeEbEEZZNS1_14partition_implILS5_6ELb0ES3_mN6thrust23THRUST_200600_302600_NS6detail15normal_iteratorINSA_10device_ptrIiEEEEPS6_SG_NS0_5tupleIJNSA_16discard_iteratorINSA_11use_defaultEEES6_EEENSH_IJSG_SG_EEES6_PlJNSB_9not_fun_tI7is_trueIiEEEEEE10hipError_tPvRmT3_T4_T5_T6_T7_T9_mT8_P12ihipStream_tbDpT10_ENKUlT_T0_E_clISt17integral_constantIbLb0EES1A_IbLb1EEEEDaS16_S17_EUlS16_E_NS1_11comp_targetILNS1_3genE9ELNS1_11target_archE1100ELNS1_3gpuE3ELNS1_3repE0EEENS1_30default_config_static_selectorELNS0_4arch9wavefront6targetE0EEEvT1_,comdat
	.protected	_ZN7rocprim17ROCPRIM_400000_NS6detail17trampoline_kernelINS0_14default_configENS1_25partition_config_selectorILNS1_17partition_subalgoE6EiNS0_10empty_typeEbEEZZNS1_14partition_implILS5_6ELb0ES3_mN6thrust23THRUST_200600_302600_NS6detail15normal_iteratorINSA_10device_ptrIiEEEEPS6_SG_NS0_5tupleIJNSA_16discard_iteratorINSA_11use_defaultEEES6_EEENSH_IJSG_SG_EEES6_PlJNSB_9not_fun_tI7is_trueIiEEEEEE10hipError_tPvRmT3_T4_T5_T6_T7_T9_mT8_P12ihipStream_tbDpT10_ENKUlT_T0_E_clISt17integral_constantIbLb0EES1A_IbLb1EEEEDaS16_S17_EUlS16_E_NS1_11comp_targetILNS1_3genE9ELNS1_11target_archE1100ELNS1_3gpuE3ELNS1_3repE0EEENS1_30default_config_static_selectorELNS0_4arch9wavefront6targetE0EEEvT1_ ; -- Begin function _ZN7rocprim17ROCPRIM_400000_NS6detail17trampoline_kernelINS0_14default_configENS1_25partition_config_selectorILNS1_17partition_subalgoE6EiNS0_10empty_typeEbEEZZNS1_14partition_implILS5_6ELb0ES3_mN6thrust23THRUST_200600_302600_NS6detail15normal_iteratorINSA_10device_ptrIiEEEEPS6_SG_NS0_5tupleIJNSA_16discard_iteratorINSA_11use_defaultEEES6_EEENSH_IJSG_SG_EEES6_PlJNSB_9not_fun_tI7is_trueIiEEEEEE10hipError_tPvRmT3_T4_T5_T6_T7_T9_mT8_P12ihipStream_tbDpT10_ENKUlT_T0_E_clISt17integral_constantIbLb0EES1A_IbLb1EEEEDaS16_S17_EUlS16_E_NS1_11comp_targetILNS1_3genE9ELNS1_11target_archE1100ELNS1_3gpuE3ELNS1_3repE0EEENS1_30default_config_static_selectorELNS0_4arch9wavefront6targetE0EEEvT1_
	.globl	_ZN7rocprim17ROCPRIM_400000_NS6detail17trampoline_kernelINS0_14default_configENS1_25partition_config_selectorILNS1_17partition_subalgoE6EiNS0_10empty_typeEbEEZZNS1_14partition_implILS5_6ELb0ES3_mN6thrust23THRUST_200600_302600_NS6detail15normal_iteratorINSA_10device_ptrIiEEEEPS6_SG_NS0_5tupleIJNSA_16discard_iteratorINSA_11use_defaultEEES6_EEENSH_IJSG_SG_EEES6_PlJNSB_9not_fun_tI7is_trueIiEEEEEE10hipError_tPvRmT3_T4_T5_T6_T7_T9_mT8_P12ihipStream_tbDpT10_ENKUlT_T0_E_clISt17integral_constantIbLb0EES1A_IbLb1EEEEDaS16_S17_EUlS16_E_NS1_11comp_targetILNS1_3genE9ELNS1_11target_archE1100ELNS1_3gpuE3ELNS1_3repE0EEENS1_30default_config_static_selectorELNS0_4arch9wavefront6targetE0EEEvT1_
	.p2align	8
	.type	_ZN7rocprim17ROCPRIM_400000_NS6detail17trampoline_kernelINS0_14default_configENS1_25partition_config_selectorILNS1_17partition_subalgoE6EiNS0_10empty_typeEbEEZZNS1_14partition_implILS5_6ELb0ES3_mN6thrust23THRUST_200600_302600_NS6detail15normal_iteratorINSA_10device_ptrIiEEEEPS6_SG_NS0_5tupleIJNSA_16discard_iteratorINSA_11use_defaultEEES6_EEENSH_IJSG_SG_EEES6_PlJNSB_9not_fun_tI7is_trueIiEEEEEE10hipError_tPvRmT3_T4_T5_T6_T7_T9_mT8_P12ihipStream_tbDpT10_ENKUlT_T0_E_clISt17integral_constantIbLb0EES1A_IbLb1EEEEDaS16_S17_EUlS16_E_NS1_11comp_targetILNS1_3genE9ELNS1_11target_archE1100ELNS1_3gpuE3ELNS1_3repE0EEENS1_30default_config_static_selectorELNS0_4arch9wavefront6targetE0EEEvT1_,@function
_ZN7rocprim17ROCPRIM_400000_NS6detail17trampoline_kernelINS0_14default_configENS1_25partition_config_selectorILNS1_17partition_subalgoE6EiNS0_10empty_typeEbEEZZNS1_14partition_implILS5_6ELb0ES3_mN6thrust23THRUST_200600_302600_NS6detail15normal_iteratorINSA_10device_ptrIiEEEEPS6_SG_NS0_5tupleIJNSA_16discard_iteratorINSA_11use_defaultEEES6_EEENSH_IJSG_SG_EEES6_PlJNSB_9not_fun_tI7is_trueIiEEEEEE10hipError_tPvRmT3_T4_T5_T6_T7_T9_mT8_P12ihipStream_tbDpT10_ENKUlT_T0_E_clISt17integral_constantIbLb0EES1A_IbLb1EEEEDaS16_S17_EUlS16_E_NS1_11comp_targetILNS1_3genE9ELNS1_11target_archE1100ELNS1_3gpuE3ELNS1_3repE0EEENS1_30default_config_static_selectorELNS0_4arch9wavefront6targetE0EEEvT1_: ; @_ZN7rocprim17ROCPRIM_400000_NS6detail17trampoline_kernelINS0_14default_configENS1_25partition_config_selectorILNS1_17partition_subalgoE6EiNS0_10empty_typeEbEEZZNS1_14partition_implILS5_6ELb0ES3_mN6thrust23THRUST_200600_302600_NS6detail15normal_iteratorINSA_10device_ptrIiEEEEPS6_SG_NS0_5tupleIJNSA_16discard_iteratorINSA_11use_defaultEEES6_EEENSH_IJSG_SG_EEES6_PlJNSB_9not_fun_tI7is_trueIiEEEEEE10hipError_tPvRmT3_T4_T5_T6_T7_T9_mT8_P12ihipStream_tbDpT10_ENKUlT_T0_E_clISt17integral_constantIbLb0EES1A_IbLb1EEEEDaS16_S17_EUlS16_E_NS1_11comp_targetILNS1_3genE9ELNS1_11target_archE1100ELNS1_3gpuE3ELNS1_3repE0EEENS1_30default_config_static_selectorELNS0_4arch9wavefront6targetE0EEEvT1_
; %bb.0:
	.section	.rodata,"a",@progbits
	.p2align	6, 0x0
	.amdhsa_kernel _ZN7rocprim17ROCPRIM_400000_NS6detail17trampoline_kernelINS0_14default_configENS1_25partition_config_selectorILNS1_17partition_subalgoE6EiNS0_10empty_typeEbEEZZNS1_14partition_implILS5_6ELb0ES3_mN6thrust23THRUST_200600_302600_NS6detail15normal_iteratorINSA_10device_ptrIiEEEEPS6_SG_NS0_5tupleIJNSA_16discard_iteratorINSA_11use_defaultEEES6_EEENSH_IJSG_SG_EEES6_PlJNSB_9not_fun_tI7is_trueIiEEEEEE10hipError_tPvRmT3_T4_T5_T6_T7_T9_mT8_P12ihipStream_tbDpT10_ENKUlT_T0_E_clISt17integral_constantIbLb0EES1A_IbLb1EEEEDaS16_S17_EUlS16_E_NS1_11comp_targetILNS1_3genE9ELNS1_11target_archE1100ELNS1_3gpuE3ELNS1_3repE0EEENS1_30default_config_static_selectorELNS0_4arch9wavefront6targetE0EEEvT1_
		.amdhsa_group_segment_fixed_size 0
		.amdhsa_private_segment_fixed_size 0
		.amdhsa_kernarg_size 136
		.amdhsa_user_sgpr_count 2
		.amdhsa_user_sgpr_dispatch_ptr 0
		.amdhsa_user_sgpr_queue_ptr 0
		.amdhsa_user_sgpr_kernarg_segment_ptr 1
		.amdhsa_user_sgpr_dispatch_id 0
		.amdhsa_user_sgpr_private_segment_size 0
		.amdhsa_wavefront_size32 1
		.amdhsa_uses_dynamic_stack 0
		.amdhsa_enable_private_segment 0
		.amdhsa_system_sgpr_workgroup_id_x 1
		.amdhsa_system_sgpr_workgroup_id_y 0
		.amdhsa_system_sgpr_workgroup_id_z 0
		.amdhsa_system_sgpr_workgroup_info 0
		.amdhsa_system_vgpr_workitem_id 0
		.amdhsa_next_free_vgpr 1
		.amdhsa_next_free_sgpr 1
		.amdhsa_reserve_vcc 0
		.amdhsa_float_round_mode_32 0
		.amdhsa_float_round_mode_16_64 0
		.amdhsa_float_denorm_mode_32 3
		.amdhsa_float_denorm_mode_16_64 3
		.amdhsa_fp16_overflow 0
		.amdhsa_workgroup_processor_mode 1
		.amdhsa_memory_ordered 1
		.amdhsa_forward_progress 1
		.amdhsa_inst_pref_size 0
		.amdhsa_round_robin_scheduling 0
		.amdhsa_exception_fp_ieee_invalid_op 0
		.amdhsa_exception_fp_denorm_src 0
		.amdhsa_exception_fp_ieee_div_zero 0
		.amdhsa_exception_fp_ieee_overflow 0
		.amdhsa_exception_fp_ieee_underflow 0
		.amdhsa_exception_fp_ieee_inexact 0
		.amdhsa_exception_int_div_zero 0
	.end_amdhsa_kernel
	.section	.text._ZN7rocprim17ROCPRIM_400000_NS6detail17trampoline_kernelINS0_14default_configENS1_25partition_config_selectorILNS1_17partition_subalgoE6EiNS0_10empty_typeEbEEZZNS1_14partition_implILS5_6ELb0ES3_mN6thrust23THRUST_200600_302600_NS6detail15normal_iteratorINSA_10device_ptrIiEEEEPS6_SG_NS0_5tupleIJNSA_16discard_iteratorINSA_11use_defaultEEES6_EEENSH_IJSG_SG_EEES6_PlJNSB_9not_fun_tI7is_trueIiEEEEEE10hipError_tPvRmT3_T4_T5_T6_T7_T9_mT8_P12ihipStream_tbDpT10_ENKUlT_T0_E_clISt17integral_constantIbLb0EES1A_IbLb1EEEEDaS16_S17_EUlS16_E_NS1_11comp_targetILNS1_3genE9ELNS1_11target_archE1100ELNS1_3gpuE3ELNS1_3repE0EEENS1_30default_config_static_selectorELNS0_4arch9wavefront6targetE0EEEvT1_,"axG",@progbits,_ZN7rocprim17ROCPRIM_400000_NS6detail17trampoline_kernelINS0_14default_configENS1_25partition_config_selectorILNS1_17partition_subalgoE6EiNS0_10empty_typeEbEEZZNS1_14partition_implILS5_6ELb0ES3_mN6thrust23THRUST_200600_302600_NS6detail15normal_iteratorINSA_10device_ptrIiEEEEPS6_SG_NS0_5tupleIJNSA_16discard_iteratorINSA_11use_defaultEEES6_EEENSH_IJSG_SG_EEES6_PlJNSB_9not_fun_tI7is_trueIiEEEEEE10hipError_tPvRmT3_T4_T5_T6_T7_T9_mT8_P12ihipStream_tbDpT10_ENKUlT_T0_E_clISt17integral_constantIbLb0EES1A_IbLb1EEEEDaS16_S17_EUlS16_E_NS1_11comp_targetILNS1_3genE9ELNS1_11target_archE1100ELNS1_3gpuE3ELNS1_3repE0EEENS1_30default_config_static_selectorELNS0_4arch9wavefront6targetE0EEEvT1_,comdat
.Lfunc_end2299:
	.size	_ZN7rocprim17ROCPRIM_400000_NS6detail17trampoline_kernelINS0_14default_configENS1_25partition_config_selectorILNS1_17partition_subalgoE6EiNS0_10empty_typeEbEEZZNS1_14partition_implILS5_6ELb0ES3_mN6thrust23THRUST_200600_302600_NS6detail15normal_iteratorINSA_10device_ptrIiEEEEPS6_SG_NS0_5tupleIJNSA_16discard_iteratorINSA_11use_defaultEEES6_EEENSH_IJSG_SG_EEES6_PlJNSB_9not_fun_tI7is_trueIiEEEEEE10hipError_tPvRmT3_T4_T5_T6_T7_T9_mT8_P12ihipStream_tbDpT10_ENKUlT_T0_E_clISt17integral_constantIbLb0EES1A_IbLb1EEEEDaS16_S17_EUlS16_E_NS1_11comp_targetILNS1_3genE9ELNS1_11target_archE1100ELNS1_3gpuE3ELNS1_3repE0EEENS1_30default_config_static_selectorELNS0_4arch9wavefront6targetE0EEEvT1_, .Lfunc_end2299-_ZN7rocprim17ROCPRIM_400000_NS6detail17trampoline_kernelINS0_14default_configENS1_25partition_config_selectorILNS1_17partition_subalgoE6EiNS0_10empty_typeEbEEZZNS1_14partition_implILS5_6ELb0ES3_mN6thrust23THRUST_200600_302600_NS6detail15normal_iteratorINSA_10device_ptrIiEEEEPS6_SG_NS0_5tupleIJNSA_16discard_iteratorINSA_11use_defaultEEES6_EEENSH_IJSG_SG_EEES6_PlJNSB_9not_fun_tI7is_trueIiEEEEEE10hipError_tPvRmT3_T4_T5_T6_T7_T9_mT8_P12ihipStream_tbDpT10_ENKUlT_T0_E_clISt17integral_constantIbLb0EES1A_IbLb1EEEEDaS16_S17_EUlS16_E_NS1_11comp_targetILNS1_3genE9ELNS1_11target_archE1100ELNS1_3gpuE3ELNS1_3repE0EEENS1_30default_config_static_selectorELNS0_4arch9wavefront6targetE0EEEvT1_
                                        ; -- End function
	.set _ZN7rocprim17ROCPRIM_400000_NS6detail17trampoline_kernelINS0_14default_configENS1_25partition_config_selectorILNS1_17partition_subalgoE6EiNS0_10empty_typeEbEEZZNS1_14partition_implILS5_6ELb0ES3_mN6thrust23THRUST_200600_302600_NS6detail15normal_iteratorINSA_10device_ptrIiEEEEPS6_SG_NS0_5tupleIJNSA_16discard_iteratorINSA_11use_defaultEEES6_EEENSH_IJSG_SG_EEES6_PlJNSB_9not_fun_tI7is_trueIiEEEEEE10hipError_tPvRmT3_T4_T5_T6_T7_T9_mT8_P12ihipStream_tbDpT10_ENKUlT_T0_E_clISt17integral_constantIbLb0EES1A_IbLb1EEEEDaS16_S17_EUlS16_E_NS1_11comp_targetILNS1_3genE9ELNS1_11target_archE1100ELNS1_3gpuE3ELNS1_3repE0EEENS1_30default_config_static_selectorELNS0_4arch9wavefront6targetE0EEEvT1_.num_vgpr, 0
	.set _ZN7rocprim17ROCPRIM_400000_NS6detail17trampoline_kernelINS0_14default_configENS1_25partition_config_selectorILNS1_17partition_subalgoE6EiNS0_10empty_typeEbEEZZNS1_14partition_implILS5_6ELb0ES3_mN6thrust23THRUST_200600_302600_NS6detail15normal_iteratorINSA_10device_ptrIiEEEEPS6_SG_NS0_5tupleIJNSA_16discard_iteratorINSA_11use_defaultEEES6_EEENSH_IJSG_SG_EEES6_PlJNSB_9not_fun_tI7is_trueIiEEEEEE10hipError_tPvRmT3_T4_T5_T6_T7_T9_mT8_P12ihipStream_tbDpT10_ENKUlT_T0_E_clISt17integral_constantIbLb0EES1A_IbLb1EEEEDaS16_S17_EUlS16_E_NS1_11comp_targetILNS1_3genE9ELNS1_11target_archE1100ELNS1_3gpuE3ELNS1_3repE0EEENS1_30default_config_static_selectorELNS0_4arch9wavefront6targetE0EEEvT1_.num_agpr, 0
	.set _ZN7rocprim17ROCPRIM_400000_NS6detail17trampoline_kernelINS0_14default_configENS1_25partition_config_selectorILNS1_17partition_subalgoE6EiNS0_10empty_typeEbEEZZNS1_14partition_implILS5_6ELb0ES3_mN6thrust23THRUST_200600_302600_NS6detail15normal_iteratorINSA_10device_ptrIiEEEEPS6_SG_NS0_5tupleIJNSA_16discard_iteratorINSA_11use_defaultEEES6_EEENSH_IJSG_SG_EEES6_PlJNSB_9not_fun_tI7is_trueIiEEEEEE10hipError_tPvRmT3_T4_T5_T6_T7_T9_mT8_P12ihipStream_tbDpT10_ENKUlT_T0_E_clISt17integral_constantIbLb0EES1A_IbLb1EEEEDaS16_S17_EUlS16_E_NS1_11comp_targetILNS1_3genE9ELNS1_11target_archE1100ELNS1_3gpuE3ELNS1_3repE0EEENS1_30default_config_static_selectorELNS0_4arch9wavefront6targetE0EEEvT1_.numbered_sgpr, 0
	.set _ZN7rocprim17ROCPRIM_400000_NS6detail17trampoline_kernelINS0_14default_configENS1_25partition_config_selectorILNS1_17partition_subalgoE6EiNS0_10empty_typeEbEEZZNS1_14partition_implILS5_6ELb0ES3_mN6thrust23THRUST_200600_302600_NS6detail15normal_iteratorINSA_10device_ptrIiEEEEPS6_SG_NS0_5tupleIJNSA_16discard_iteratorINSA_11use_defaultEEES6_EEENSH_IJSG_SG_EEES6_PlJNSB_9not_fun_tI7is_trueIiEEEEEE10hipError_tPvRmT3_T4_T5_T6_T7_T9_mT8_P12ihipStream_tbDpT10_ENKUlT_T0_E_clISt17integral_constantIbLb0EES1A_IbLb1EEEEDaS16_S17_EUlS16_E_NS1_11comp_targetILNS1_3genE9ELNS1_11target_archE1100ELNS1_3gpuE3ELNS1_3repE0EEENS1_30default_config_static_selectorELNS0_4arch9wavefront6targetE0EEEvT1_.num_named_barrier, 0
	.set _ZN7rocprim17ROCPRIM_400000_NS6detail17trampoline_kernelINS0_14default_configENS1_25partition_config_selectorILNS1_17partition_subalgoE6EiNS0_10empty_typeEbEEZZNS1_14partition_implILS5_6ELb0ES3_mN6thrust23THRUST_200600_302600_NS6detail15normal_iteratorINSA_10device_ptrIiEEEEPS6_SG_NS0_5tupleIJNSA_16discard_iteratorINSA_11use_defaultEEES6_EEENSH_IJSG_SG_EEES6_PlJNSB_9not_fun_tI7is_trueIiEEEEEE10hipError_tPvRmT3_T4_T5_T6_T7_T9_mT8_P12ihipStream_tbDpT10_ENKUlT_T0_E_clISt17integral_constantIbLb0EES1A_IbLb1EEEEDaS16_S17_EUlS16_E_NS1_11comp_targetILNS1_3genE9ELNS1_11target_archE1100ELNS1_3gpuE3ELNS1_3repE0EEENS1_30default_config_static_selectorELNS0_4arch9wavefront6targetE0EEEvT1_.private_seg_size, 0
	.set _ZN7rocprim17ROCPRIM_400000_NS6detail17trampoline_kernelINS0_14default_configENS1_25partition_config_selectorILNS1_17partition_subalgoE6EiNS0_10empty_typeEbEEZZNS1_14partition_implILS5_6ELb0ES3_mN6thrust23THRUST_200600_302600_NS6detail15normal_iteratorINSA_10device_ptrIiEEEEPS6_SG_NS0_5tupleIJNSA_16discard_iteratorINSA_11use_defaultEEES6_EEENSH_IJSG_SG_EEES6_PlJNSB_9not_fun_tI7is_trueIiEEEEEE10hipError_tPvRmT3_T4_T5_T6_T7_T9_mT8_P12ihipStream_tbDpT10_ENKUlT_T0_E_clISt17integral_constantIbLb0EES1A_IbLb1EEEEDaS16_S17_EUlS16_E_NS1_11comp_targetILNS1_3genE9ELNS1_11target_archE1100ELNS1_3gpuE3ELNS1_3repE0EEENS1_30default_config_static_selectorELNS0_4arch9wavefront6targetE0EEEvT1_.uses_vcc, 0
	.set _ZN7rocprim17ROCPRIM_400000_NS6detail17trampoline_kernelINS0_14default_configENS1_25partition_config_selectorILNS1_17partition_subalgoE6EiNS0_10empty_typeEbEEZZNS1_14partition_implILS5_6ELb0ES3_mN6thrust23THRUST_200600_302600_NS6detail15normal_iteratorINSA_10device_ptrIiEEEEPS6_SG_NS0_5tupleIJNSA_16discard_iteratorINSA_11use_defaultEEES6_EEENSH_IJSG_SG_EEES6_PlJNSB_9not_fun_tI7is_trueIiEEEEEE10hipError_tPvRmT3_T4_T5_T6_T7_T9_mT8_P12ihipStream_tbDpT10_ENKUlT_T0_E_clISt17integral_constantIbLb0EES1A_IbLb1EEEEDaS16_S17_EUlS16_E_NS1_11comp_targetILNS1_3genE9ELNS1_11target_archE1100ELNS1_3gpuE3ELNS1_3repE0EEENS1_30default_config_static_selectorELNS0_4arch9wavefront6targetE0EEEvT1_.uses_flat_scratch, 0
	.set _ZN7rocprim17ROCPRIM_400000_NS6detail17trampoline_kernelINS0_14default_configENS1_25partition_config_selectorILNS1_17partition_subalgoE6EiNS0_10empty_typeEbEEZZNS1_14partition_implILS5_6ELb0ES3_mN6thrust23THRUST_200600_302600_NS6detail15normal_iteratorINSA_10device_ptrIiEEEEPS6_SG_NS0_5tupleIJNSA_16discard_iteratorINSA_11use_defaultEEES6_EEENSH_IJSG_SG_EEES6_PlJNSB_9not_fun_tI7is_trueIiEEEEEE10hipError_tPvRmT3_T4_T5_T6_T7_T9_mT8_P12ihipStream_tbDpT10_ENKUlT_T0_E_clISt17integral_constantIbLb0EES1A_IbLb1EEEEDaS16_S17_EUlS16_E_NS1_11comp_targetILNS1_3genE9ELNS1_11target_archE1100ELNS1_3gpuE3ELNS1_3repE0EEENS1_30default_config_static_selectorELNS0_4arch9wavefront6targetE0EEEvT1_.has_dyn_sized_stack, 0
	.set _ZN7rocprim17ROCPRIM_400000_NS6detail17trampoline_kernelINS0_14default_configENS1_25partition_config_selectorILNS1_17partition_subalgoE6EiNS0_10empty_typeEbEEZZNS1_14partition_implILS5_6ELb0ES3_mN6thrust23THRUST_200600_302600_NS6detail15normal_iteratorINSA_10device_ptrIiEEEEPS6_SG_NS0_5tupleIJNSA_16discard_iteratorINSA_11use_defaultEEES6_EEENSH_IJSG_SG_EEES6_PlJNSB_9not_fun_tI7is_trueIiEEEEEE10hipError_tPvRmT3_T4_T5_T6_T7_T9_mT8_P12ihipStream_tbDpT10_ENKUlT_T0_E_clISt17integral_constantIbLb0EES1A_IbLb1EEEEDaS16_S17_EUlS16_E_NS1_11comp_targetILNS1_3genE9ELNS1_11target_archE1100ELNS1_3gpuE3ELNS1_3repE0EEENS1_30default_config_static_selectorELNS0_4arch9wavefront6targetE0EEEvT1_.has_recursion, 0
	.set _ZN7rocprim17ROCPRIM_400000_NS6detail17trampoline_kernelINS0_14default_configENS1_25partition_config_selectorILNS1_17partition_subalgoE6EiNS0_10empty_typeEbEEZZNS1_14partition_implILS5_6ELb0ES3_mN6thrust23THRUST_200600_302600_NS6detail15normal_iteratorINSA_10device_ptrIiEEEEPS6_SG_NS0_5tupleIJNSA_16discard_iteratorINSA_11use_defaultEEES6_EEENSH_IJSG_SG_EEES6_PlJNSB_9not_fun_tI7is_trueIiEEEEEE10hipError_tPvRmT3_T4_T5_T6_T7_T9_mT8_P12ihipStream_tbDpT10_ENKUlT_T0_E_clISt17integral_constantIbLb0EES1A_IbLb1EEEEDaS16_S17_EUlS16_E_NS1_11comp_targetILNS1_3genE9ELNS1_11target_archE1100ELNS1_3gpuE3ELNS1_3repE0EEENS1_30default_config_static_selectorELNS0_4arch9wavefront6targetE0EEEvT1_.has_indirect_call, 0
	.section	.AMDGPU.csdata,"",@progbits
; Kernel info:
; codeLenInByte = 0
; TotalNumSgprs: 0
; NumVgprs: 0
; ScratchSize: 0
; MemoryBound: 0
; FloatMode: 240
; IeeeMode: 1
; LDSByteSize: 0 bytes/workgroup (compile time only)
; SGPRBlocks: 0
; VGPRBlocks: 0
; NumSGPRsForWavesPerEU: 1
; NumVGPRsForWavesPerEU: 1
; Occupancy: 16
; WaveLimiterHint : 0
; COMPUTE_PGM_RSRC2:SCRATCH_EN: 0
; COMPUTE_PGM_RSRC2:USER_SGPR: 2
; COMPUTE_PGM_RSRC2:TRAP_HANDLER: 0
; COMPUTE_PGM_RSRC2:TGID_X_EN: 1
; COMPUTE_PGM_RSRC2:TGID_Y_EN: 0
; COMPUTE_PGM_RSRC2:TGID_Z_EN: 0
; COMPUTE_PGM_RSRC2:TIDIG_COMP_CNT: 0
	.section	.text._ZN7rocprim17ROCPRIM_400000_NS6detail17trampoline_kernelINS0_14default_configENS1_25partition_config_selectorILNS1_17partition_subalgoE6EiNS0_10empty_typeEbEEZZNS1_14partition_implILS5_6ELb0ES3_mN6thrust23THRUST_200600_302600_NS6detail15normal_iteratorINSA_10device_ptrIiEEEEPS6_SG_NS0_5tupleIJNSA_16discard_iteratorINSA_11use_defaultEEES6_EEENSH_IJSG_SG_EEES6_PlJNSB_9not_fun_tI7is_trueIiEEEEEE10hipError_tPvRmT3_T4_T5_T6_T7_T9_mT8_P12ihipStream_tbDpT10_ENKUlT_T0_E_clISt17integral_constantIbLb0EES1A_IbLb1EEEEDaS16_S17_EUlS16_E_NS1_11comp_targetILNS1_3genE8ELNS1_11target_archE1030ELNS1_3gpuE2ELNS1_3repE0EEENS1_30default_config_static_selectorELNS0_4arch9wavefront6targetE0EEEvT1_,"axG",@progbits,_ZN7rocprim17ROCPRIM_400000_NS6detail17trampoline_kernelINS0_14default_configENS1_25partition_config_selectorILNS1_17partition_subalgoE6EiNS0_10empty_typeEbEEZZNS1_14partition_implILS5_6ELb0ES3_mN6thrust23THRUST_200600_302600_NS6detail15normal_iteratorINSA_10device_ptrIiEEEEPS6_SG_NS0_5tupleIJNSA_16discard_iteratorINSA_11use_defaultEEES6_EEENSH_IJSG_SG_EEES6_PlJNSB_9not_fun_tI7is_trueIiEEEEEE10hipError_tPvRmT3_T4_T5_T6_T7_T9_mT8_P12ihipStream_tbDpT10_ENKUlT_T0_E_clISt17integral_constantIbLb0EES1A_IbLb1EEEEDaS16_S17_EUlS16_E_NS1_11comp_targetILNS1_3genE8ELNS1_11target_archE1030ELNS1_3gpuE2ELNS1_3repE0EEENS1_30default_config_static_selectorELNS0_4arch9wavefront6targetE0EEEvT1_,comdat
	.protected	_ZN7rocprim17ROCPRIM_400000_NS6detail17trampoline_kernelINS0_14default_configENS1_25partition_config_selectorILNS1_17partition_subalgoE6EiNS0_10empty_typeEbEEZZNS1_14partition_implILS5_6ELb0ES3_mN6thrust23THRUST_200600_302600_NS6detail15normal_iteratorINSA_10device_ptrIiEEEEPS6_SG_NS0_5tupleIJNSA_16discard_iteratorINSA_11use_defaultEEES6_EEENSH_IJSG_SG_EEES6_PlJNSB_9not_fun_tI7is_trueIiEEEEEE10hipError_tPvRmT3_T4_T5_T6_T7_T9_mT8_P12ihipStream_tbDpT10_ENKUlT_T0_E_clISt17integral_constantIbLb0EES1A_IbLb1EEEEDaS16_S17_EUlS16_E_NS1_11comp_targetILNS1_3genE8ELNS1_11target_archE1030ELNS1_3gpuE2ELNS1_3repE0EEENS1_30default_config_static_selectorELNS0_4arch9wavefront6targetE0EEEvT1_ ; -- Begin function _ZN7rocprim17ROCPRIM_400000_NS6detail17trampoline_kernelINS0_14default_configENS1_25partition_config_selectorILNS1_17partition_subalgoE6EiNS0_10empty_typeEbEEZZNS1_14partition_implILS5_6ELb0ES3_mN6thrust23THRUST_200600_302600_NS6detail15normal_iteratorINSA_10device_ptrIiEEEEPS6_SG_NS0_5tupleIJNSA_16discard_iteratorINSA_11use_defaultEEES6_EEENSH_IJSG_SG_EEES6_PlJNSB_9not_fun_tI7is_trueIiEEEEEE10hipError_tPvRmT3_T4_T5_T6_T7_T9_mT8_P12ihipStream_tbDpT10_ENKUlT_T0_E_clISt17integral_constantIbLb0EES1A_IbLb1EEEEDaS16_S17_EUlS16_E_NS1_11comp_targetILNS1_3genE8ELNS1_11target_archE1030ELNS1_3gpuE2ELNS1_3repE0EEENS1_30default_config_static_selectorELNS0_4arch9wavefront6targetE0EEEvT1_
	.globl	_ZN7rocprim17ROCPRIM_400000_NS6detail17trampoline_kernelINS0_14default_configENS1_25partition_config_selectorILNS1_17partition_subalgoE6EiNS0_10empty_typeEbEEZZNS1_14partition_implILS5_6ELb0ES3_mN6thrust23THRUST_200600_302600_NS6detail15normal_iteratorINSA_10device_ptrIiEEEEPS6_SG_NS0_5tupleIJNSA_16discard_iteratorINSA_11use_defaultEEES6_EEENSH_IJSG_SG_EEES6_PlJNSB_9not_fun_tI7is_trueIiEEEEEE10hipError_tPvRmT3_T4_T5_T6_T7_T9_mT8_P12ihipStream_tbDpT10_ENKUlT_T0_E_clISt17integral_constantIbLb0EES1A_IbLb1EEEEDaS16_S17_EUlS16_E_NS1_11comp_targetILNS1_3genE8ELNS1_11target_archE1030ELNS1_3gpuE2ELNS1_3repE0EEENS1_30default_config_static_selectorELNS0_4arch9wavefront6targetE0EEEvT1_
	.p2align	8
	.type	_ZN7rocprim17ROCPRIM_400000_NS6detail17trampoline_kernelINS0_14default_configENS1_25partition_config_selectorILNS1_17partition_subalgoE6EiNS0_10empty_typeEbEEZZNS1_14partition_implILS5_6ELb0ES3_mN6thrust23THRUST_200600_302600_NS6detail15normal_iteratorINSA_10device_ptrIiEEEEPS6_SG_NS0_5tupleIJNSA_16discard_iteratorINSA_11use_defaultEEES6_EEENSH_IJSG_SG_EEES6_PlJNSB_9not_fun_tI7is_trueIiEEEEEE10hipError_tPvRmT3_T4_T5_T6_T7_T9_mT8_P12ihipStream_tbDpT10_ENKUlT_T0_E_clISt17integral_constantIbLb0EES1A_IbLb1EEEEDaS16_S17_EUlS16_E_NS1_11comp_targetILNS1_3genE8ELNS1_11target_archE1030ELNS1_3gpuE2ELNS1_3repE0EEENS1_30default_config_static_selectorELNS0_4arch9wavefront6targetE0EEEvT1_,@function
_ZN7rocprim17ROCPRIM_400000_NS6detail17trampoline_kernelINS0_14default_configENS1_25partition_config_selectorILNS1_17partition_subalgoE6EiNS0_10empty_typeEbEEZZNS1_14partition_implILS5_6ELb0ES3_mN6thrust23THRUST_200600_302600_NS6detail15normal_iteratorINSA_10device_ptrIiEEEEPS6_SG_NS0_5tupleIJNSA_16discard_iteratorINSA_11use_defaultEEES6_EEENSH_IJSG_SG_EEES6_PlJNSB_9not_fun_tI7is_trueIiEEEEEE10hipError_tPvRmT3_T4_T5_T6_T7_T9_mT8_P12ihipStream_tbDpT10_ENKUlT_T0_E_clISt17integral_constantIbLb0EES1A_IbLb1EEEEDaS16_S17_EUlS16_E_NS1_11comp_targetILNS1_3genE8ELNS1_11target_archE1030ELNS1_3gpuE2ELNS1_3repE0EEENS1_30default_config_static_selectorELNS0_4arch9wavefront6targetE0EEEvT1_: ; @_ZN7rocprim17ROCPRIM_400000_NS6detail17trampoline_kernelINS0_14default_configENS1_25partition_config_selectorILNS1_17partition_subalgoE6EiNS0_10empty_typeEbEEZZNS1_14partition_implILS5_6ELb0ES3_mN6thrust23THRUST_200600_302600_NS6detail15normal_iteratorINSA_10device_ptrIiEEEEPS6_SG_NS0_5tupleIJNSA_16discard_iteratorINSA_11use_defaultEEES6_EEENSH_IJSG_SG_EEES6_PlJNSB_9not_fun_tI7is_trueIiEEEEEE10hipError_tPvRmT3_T4_T5_T6_T7_T9_mT8_P12ihipStream_tbDpT10_ENKUlT_T0_E_clISt17integral_constantIbLb0EES1A_IbLb1EEEEDaS16_S17_EUlS16_E_NS1_11comp_targetILNS1_3genE8ELNS1_11target_archE1030ELNS1_3gpuE2ELNS1_3repE0EEENS1_30default_config_static_selectorELNS0_4arch9wavefront6targetE0EEEvT1_
; %bb.0:
	.section	.rodata,"a",@progbits
	.p2align	6, 0x0
	.amdhsa_kernel _ZN7rocprim17ROCPRIM_400000_NS6detail17trampoline_kernelINS0_14default_configENS1_25partition_config_selectorILNS1_17partition_subalgoE6EiNS0_10empty_typeEbEEZZNS1_14partition_implILS5_6ELb0ES3_mN6thrust23THRUST_200600_302600_NS6detail15normal_iteratorINSA_10device_ptrIiEEEEPS6_SG_NS0_5tupleIJNSA_16discard_iteratorINSA_11use_defaultEEES6_EEENSH_IJSG_SG_EEES6_PlJNSB_9not_fun_tI7is_trueIiEEEEEE10hipError_tPvRmT3_T4_T5_T6_T7_T9_mT8_P12ihipStream_tbDpT10_ENKUlT_T0_E_clISt17integral_constantIbLb0EES1A_IbLb1EEEEDaS16_S17_EUlS16_E_NS1_11comp_targetILNS1_3genE8ELNS1_11target_archE1030ELNS1_3gpuE2ELNS1_3repE0EEENS1_30default_config_static_selectorELNS0_4arch9wavefront6targetE0EEEvT1_
		.amdhsa_group_segment_fixed_size 0
		.amdhsa_private_segment_fixed_size 0
		.amdhsa_kernarg_size 136
		.amdhsa_user_sgpr_count 2
		.amdhsa_user_sgpr_dispatch_ptr 0
		.amdhsa_user_sgpr_queue_ptr 0
		.amdhsa_user_sgpr_kernarg_segment_ptr 1
		.amdhsa_user_sgpr_dispatch_id 0
		.amdhsa_user_sgpr_private_segment_size 0
		.amdhsa_wavefront_size32 1
		.amdhsa_uses_dynamic_stack 0
		.amdhsa_enable_private_segment 0
		.amdhsa_system_sgpr_workgroup_id_x 1
		.amdhsa_system_sgpr_workgroup_id_y 0
		.amdhsa_system_sgpr_workgroup_id_z 0
		.amdhsa_system_sgpr_workgroup_info 0
		.amdhsa_system_vgpr_workitem_id 0
		.amdhsa_next_free_vgpr 1
		.amdhsa_next_free_sgpr 1
		.amdhsa_reserve_vcc 0
		.amdhsa_float_round_mode_32 0
		.amdhsa_float_round_mode_16_64 0
		.amdhsa_float_denorm_mode_32 3
		.amdhsa_float_denorm_mode_16_64 3
		.amdhsa_fp16_overflow 0
		.amdhsa_workgroup_processor_mode 1
		.amdhsa_memory_ordered 1
		.amdhsa_forward_progress 1
		.amdhsa_inst_pref_size 0
		.amdhsa_round_robin_scheduling 0
		.amdhsa_exception_fp_ieee_invalid_op 0
		.amdhsa_exception_fp_denorm_src 0
		.amdhsa_exception_fp_ieee_div_zero 0
		.amdhsa_exception_fp_ieee_overflow 0
		.amdhsa_exception_fp_ieee_underflow 0
		.amdhsa_exception_fp_ieee_inexact 0
		.amdhsa_exception_int_div_zero 0
	.end_amdhsa_kernel
	.section	.text._ZN7rocprim17ROCPRIM_400000_NS6detail17trampoline_kernelINS0_14default_configENS1_25partition_config_selectorILNS1_17partition_subalgoE6EiNS0_10empty_typeEbEEZZNS1_14partition_implILS5_6ELb0ES3_mN6thrust23THRUST_200600_302600_NS6detail15normal_iteratorINSA_10device_ptrIiEEEEPS6_SG_NS0_5tupleIJNSA_16discard_iteratorINSA_11use_defaultEEES6_EEENSH_IJSG_SG_EEES6_PlJNSB_9not_fun_tI7is_trueIiEEEEEE10hipError_tPvRmT3_T4_T5_T6_T7_T9_mT8_P12ihipStream_tbDpT10_ENKUlT_T0_E_clISt17integral_constantIbLb0EES1A_IbLb1EEEEDaS16_S17_EUlS16_E_NS1_11comp_targetILNS1_3genE8ELNS1_11target_archE1030ELNS1_3gpuE2ELNS1_3repE0EEENS1_30default_config_static_selectorELNS0_4arch9wavefront6targetE0EEEvT1_,"axG",@progbits,_ZN7rocprim17ROCPRIM_400000_NS6detail17trampoline_kernelINS0_14default_configENS1_25partition_config_selectorILNS1_17partition_subalgoE6EiNS0_10empty_typeEbEEZZNS1_14partition_implILS5_6ELb0ES3_mN6thrust23THRUST_200600_302600_NS6detail15normal_iteratorINSA_10device_ptrIiEEEEPS6_SG_NS0_5tupleIJNSA_16discard_iteratorINSA_11use_defaultEEES6_EEENSH_IJSG_SG_EEES6_PlJNSB_9not_fun_tI7is_trueIiEEEEEE10hipError_tPvRmT3_T4_T5_T6_T7_T9_mT8_P12ihipStream_tbDpT10_ENKUlT_T0_E_clISt17integral_constantIbLb0EES1A_IbLb1EEEEDaS16_S17_EUlS16_E_NS1_11comp_targetILNS1_3genE8ELNS1_11target_archE1030ELNS1_3gpuE2ELNS1_3repE0EEENS1_30default_config_static_selectorELNS0_4arch9wavefront6targetE0EEEvT1_,comdat
.Lfunc_end2300:
	.size	_ZN7rocprim17ROCPRIM_400000_NS6detail17trampoline_kernelINS0_14default_configENS1_25partition_config_selectorILNS1_17partition_subalgoE6EiNS0_10empty_typeEbEEZZNS1_14partition_implILS5_6ELb0ES3_mN6thrust23THRUST_200600_302600_NS6detail15normal_iteratorINSA_10device_ptrIiEEEEPS6_SG_NS0_5tupleIJNSA_16discard_iteratorINSA_11use_defaultEEES6_EEENSH_IJSG_SG_EEES6_PlJNSB_9not_fun_tI7is_trueIiEEEEEE10hipError_tPvRmT3_T4_T5_T6_T7_T9_mT8_P12ihipStream_tbDpT10_ENKUlT_T0_E_clISt17integral_constantIbLb0EES1A_IbLb1EEEEDaS16_S17_EUlS16_E_NS1_11comp_targetILNS1_3genE8ELNS1_11target_archE1030ELNS1_3gpuE2ELNS1_3repE0EEENS1_30default_config_static_selectorELNS0_4arch9wavefront6targetE0EEEvT1_, .Lfunc_end2300-_ZN7rocprim17ROCPRIM_400000_NS6detail17trampoline_kernelINS0_14default_configENS1_25partition_config_selectorILNS1_17partition_subalgoE6EiNS0_10empty_typeEbEEZZNS1_14partition_implILS5_6ELb0ES3_mN6thrust23THRUST_200600_302600_NS6detail15normal_iteratorINSA_10device_ptrIiEEEEPS6_SG_NS0_5tupleIJNSA_16discard_iteratorINSA_11use_defaultEEES6_EEENSH_IJSG_SG_EEES6_PlJNSB_9not_fun_tI7is_trueIiEEEEEE10hipError_tPvRmT3_T4_T5_T6_T7_T9_mT8_P12ihipStream_tbDpT10_ENKUlT_T0_E_clISt17integral_constantIbLb0EES1A_IbLb1EEEEDaS16_S17_EUlS16_E_NS1_11comp_targetILNS1_3genE8ELNS1_11target_archE1030ELNS1_3gpuE2ELNS1_3repE0EEENS1_30default_config_static_selectorELNS0_4arch9wavefront6targetE0EEEvT1_
                                        ; -- End function
	.set _ZN7rocprim17ROCPRIM_400000_NS6detail17trampoline_kernelINS0_14default_configENS1_25partition_config_selectorILNS1_17partition_subalgoE6EiNS0_10empty_typeEbEEZZNS1_14partition_implILS5_6ELb0ES3_mN6thrust23THRUST_200600_302600_NS6detail15normal_iteratorINSA_10device_ptrIiEEEEPS6_SG_NS0_5tupleIJNSA_16discard_iteratorINSA_11use_defaultEEES6_EEENSH_IJSG_SG_EEES6_PlJNSB_9not_fun_tI7is_trueIiEEEEEE10hipError_tPvRmT3_T4_T5_T6_T7_T9_mT8_P12ihipStream_tbDpT10_ENKUlT_T0_E_clISt17integral_constantIbLb0EES1A_IbLb1EEEEDaS16_S17_EUlS16_E_NS1_11comp_targetILNS1_3genE8ELNS1_11target_archE1030ELNS1_3gpuE2ELNS1_3repE0EEENS1_30default_config_static_selectorELNS0_4arch9wavefront6targetE0EEEvT1_.num_vgpr, 0
	.set _ZN7rocprim17ROCPRIM_400000_NS6detail17trampoline_kernelINS0_14default_configENS1_25partition_config_selectorILNS1_17partition_subalgoE6EiNS0_10empty_typeEbEEZZNS1_14partition_implILS5_6ELb0ES3_mN6thrust23THRUST_200600_302600_NS6detail15normal_iteratorINSA_10device_ptrIiEEEEPS6_SG_NS0_5tupleIJNSA_16discard_iteratorINSA_11use_defaultEEES6_EEENSH_IJSG_SG_EEES6_PlJNSB_9not_fun_tI7is_trueIiEEEEEE10hipError_tPvRmT3_T4_T5_T6_T7_T9_mT8_P12ihipStream_tbDpT10_ENKUlT_T0_E_clISt17integral_constantIbLb0EES1A_IbLb1EEEEDaS16_S17_EUlS16_E_NS1_11comp_targetILNS1_3genE8ELNS1_11target_archE1030ELNS1_3gpuE2ELNS1_3repE0EEENS1_30default_config_static_selectorELNS0_4arch9wavefront6targetE0EEEvT1_.num_agpr, 0
	.set _ZN7rocprim17ROCPRIM_400000_NS6detail17trampoline_kernelINS0_14default_configENS1_25partition_config_selectorILNS1_17partition_subalgoE6EiNS0_10empty_typeEbEEZZNS1_14partition_implILS5_6ELb0ES3_mN6thrust23THRUST_200600_302600_NS6detail15normal_iteratorINSA_10device_ptrIiEEEEPS6_SG_NS0_5tupleIJNSA_16discard_iteratorINSA_11use_defaultEEES6_EEENSH_IJSG_SG_EEES6_PlJNSB_9not_fun_tI7is_trueIiEEEEEE10hipError_tPvRmT3_T4_T5_T6_T7_T9_mT8_P12ihipStream_tbDpT10_ENKUlT_T0_E_clISt17integral_constantIbLb0EES1A_IbLb1EEEEDaS16_S17_EUlS16_E_NS1_11comp_targetILNS1_3genE8ELNS1_11target_archE1030ELNS1_3gpuE2ELNS1_3repE0EEENS1_30default_config_static_selectorELNS0_4arch9wavefront6targetE0EEEvT1_.numbered_sgpr, 0
	.set _ZN7rocprim17ROCPRIM_400000_NS6detail17trampoline_kernelINS0_14default_configENS1_25partition_config_selectorILNS1_17partition_subalgoE6EiNS0_10empty_typeEbEEZZNS1_14partition_implILS5_6ELb0ES3_mN6thrust23THRUST_200600_302600_NS6detail15normal_iteratorINSA_10device_ptrIiEEEEPS6_SG_NS0_5tupleIJNSA_16discard_iteratorINSA_11use_defaultEEES6_EEENSH_IJSG_SG_EEES6_PlJNSB_9not_fun_tI7is_trueIiEEEEEE10hipError_tPvRmT3_T4_T5_T6_T7_T9_mT8_P12ihipStream_tbDpT10_ENKUlT_T0_E_clISt17integral_constantIbLb0EES1A_IbLb1EEEEDaS16_S17_EUlS16_E_NS1_11comp_targetILNS1_3genE8ELNS1_11target_archE1030ELNS1_3gpuE2ELNS1_3repE0EEENS1_30default_config_static_selectorELNS0_4arch9wavefront6targetE0EEEvT1_.num_named_barrier, 0
	.set _ZN7rocprim17ROCPRIM_400000_NS6detail17trampoline_kernelINS0_14default_configENS1_25partition_config_selectorILNS1_17partition_subalgoE6EiNS0_10empty_typeEbEEZZNS1_14partition_implILS5_6ELb0ES3_mN6thrust23THRUST_200600_302600_NS6detail15normal_iteratorINSA_10device_ptrIiEEEEPS6_SG_NS0_5tupleIJNSA_16discard_iteratorINSA_11use_defaultEEES6_EEENSH_IJSG_SG_EEES6_PlJNSB_9not_fun_tI7is_trueIiEEEEEE10hipError_tPvRmT3_T4_T5_T6_T7_T9_mT8_P12ihipStream_tbDpT10_ENKUlT_T0_E_clISt17integral_constantIbLb0EES1A_IbLb1EEEEDaS16_S17_EUlS16_E_NS1_11comp_targetILNS1_3genE8ELNS1_11target_archE1030ELNS1_3gpuE2ELNS1_3repE0EEENS1_30default_config_static_selectorELNS0_4arch9wavefront6targetE0EEEvT1_.private_seg_size, 0
	.set _ZN7rocprim17ROCPRIM_400000_NS6detail17trampoline_kernelINS0_14default_configENS1_25partition_config_selectorILNS1_17partition_subalgoE6EiNS0_10empty_typeEbEEZZNS1_14partition_implILS5_6ELb0ES3_mN6thrust23THRUST_200600_302600_NS6detail15normal_iteratorINSA_10device_ptrIiEEEEPS6_SG_NS0_5tupleIJNSA_16discard_iteratorINSA_11use_defaultEEES6_EEENSH_IJSG_SG_EEES6_PlJNSB_9not_fun_tI7is_trueIiEEEEEE10hipError_tPvRmT3_T4_T5_T6_T7_T9_mT8_P12ihipStream_tbDpT10_ENKUlT_T0_E_clISt17integral_constantIbLb0EES1A_IbLb1EEEEDaS16_S17_EUlS16_E_NS1_11comp_targetILNS1_3genE8ELNS1_11target_archE1030ELNS1_3gpuE2ELNS1_3repE0EEENS1_30default_config_static_selectorELNS0_4arch9wavefront6targetE0EEEvT1_.uses_vcc, 0
	.set _ZN7rocprim17ROCPRIM_400000_NS6detail17trampoline_kernelINS0_14default_configENS1_25partition_config_selectorILNS1_17partition_subalgoE6EiNS0_10empty_typeEbEEZZNS1_14partition_implILS5_6ELb0ES3_mN6thrust23THRUST_200600_302600_NS6detail15normal_iteratorINSA_10device_ptrIiEEEEPS6_SG_NS0_5tupleIJNSA_16discard_iteratorINSA_11use_defaultEEES6_EEENSH_IJSG_SG_EEES6_PlJNSB_9not_fun_tI7is_trueIiEEEEEE10hipError_tPvRmT3_T4_T5_T6_T7_T9_mT8_P12ihipStream_tbDpT10_ENKUlT_T0_E_clISt17integral_constantIbLb0EES1A_IbLb1EEEEDaS16_S17_EUlS16_E_NS1_11comp_targetILNS1_3genE8ELNS1_11target_archE1030ELNS1_3gpuE2ELNS1_3repE0EEENS1_30default_config_static_selectorELNS0_4arch9wavefront6targetE0EEEvT1_.uses_flat_scratch, 0
	.set _ZN7rocprim17ROCPRIM_400000_NS6detail17trampoline_kernelINS0_14default_configENS1_25partition_config_selectorILNS1_17partition_subalgoE6EiNS0_10empty_typeEbEEZZNS1_14partition_implILS5_6ELb0ES3_mN6thrust23THRUST_200600_302600_NS6detail15normal_iteratorINSA_10device_ptrIiEEEEPS6_SG_NS0_5tupleIJNSA_16discard_iteratorINSA_11use_defaultEEES6_EEENSH_IJSG_SG_EEES6_PlJNSB_9not_fun_tI7is_trueIiEEEEEE10hipError_tPvRmT3_T4_T5_T6_T7_T9_mT8_P12ihipStream_tbDpT10_ENKUlT_T0_E_clISt17integral_constantIbLb0EES1A_IbLb1EEEEDaS16_S17_EUlS16_E_NS1_11comp_targetILNS1_3genE8ELNS1_11target_archE1030ELNS1_3gpuE2ELNS1_3repE0EEENS1_30default_config_static_selectorELNS0_4arch9wavefront6targetE0EEEvT1_.has_dyn_sized_stack, 0
	.set _ZN7rocprim17ROCPRIM_400000_NS6detail17trampoline_kernelINS0_14default_configENS1_25partition_config_selectorILNS1_17partition_subalgoE6EiNS0_10empty_typeEbEEZZNS1_14partition_implILS5_6ELb0ES3_mN6thrust23THRUST_200600_302600_NS6detail15normal_iteratorINSA_10device_ptrIiEEEEPS6_SG_NS0_5tupleIJNSA_16discard_iteratorINSA_11use_defaultEEES6_EEENSH_IJSG_SG_EEES6_PlJNSB_9not_fun_tI7is_trueIiEEEEEE10hipError_tPvRmT3_T4_T5_T6_T7_T9_mT8_P12ihipStream_tbDpT10_ENKUlT_T0_E_clISt17integral_constantIbLb0EES1A_IbLb1EEEEDaS16_S17_EUlS16_E_NS1_11comp_targetILNS1_3genE8ELNS1_11target_archE1030ELNS1_3gpuE2ELNS1_3repE0EEENS1_30default_config_static_selectorELNS0_4arch9wavefront6targetE0EEEvT1_.has_recursion, 0
	.set _ZN7rocprim17ROCPRIM_400000_NS6detail17trampoline_kernelINS0_14default_configENS1_25partition_config_selectorILNS1_17partition_subalgoE6EiNS0_10empty_typeEbEEZZNS1_14partition_implILS5_6ELb0ES3_mN6thrust23THRUST_200600_302600_NS6detail15normal_iteratorINSA_10device_ptrIiEEEEPS6_SG_NS0_5tupleIJNSA_16discard_iteratorINSA_11use_defaultEEES6_EEENSH_IJSG_SG_EEES6_PlJNSB_9not_fun_tI7is_trueIiEEEEEE10hipError_tPvRmT3_T4_T5_T6_T7_T9_mT8_P12ihipStream_tbDpT10_ENKUlT_T0_E_clISt17integral_constantIbLb0EES1A_IbLb1EEEEDaS16_S17_EUlS16_E_NS1_11comp_targetILNS1_3genE8ELNS1_11target_archE1030ELNS1_3gpuE2ELNS1_3repE0EEENS1_30default_config_static_selectorELNS0_4arch9wavefront6targetE0EEEvT1_.has_indirect_call, 0
	.section	.AMDGPU.csdata,"",@progbits
; Kernel info:
; codeLenInByte = 0
; TotalNumSgprs: 0
; NumVgprs: 0
; ScratchSize: 0
; MemoryBound: 0
; FloatMode: 240
; IeeeMode: 1
; LDSByteSize: 0 bytes/workgroup (compile time only)
; SGPRBlocks: 0
; VGPRBlocks: 0
; NumSGPRsForWavesPerEU: 1
; NumVGPRsForWavesPerEU: 1
; Occupancy: 16
; WaveLimiterHint : 0
; COMPUTE_PGM_RSRC2:SCRATCH_EN: 0
; COMPUTE_PGM_RSRC2:USER_SGPR: 2
; COMPUTE_PGM_RSRC2:TRAP_HANDLER: 0
; COMPUTE_PGM_RSRC2:TGID_X_EN: 1
; COMPUTE_PGM_RSRC2:TGID_Y_EN: 0
; COMPUTE_PGM_RSRC2:TGID_Z_EN: 0
; COMPUTE_PGM_RSRC2:TIDIG_COMP_CNT: 0
	.section	.text._ZN7rocprim17ROCPRIM_400000_NS6detail17trampoline_kernelINS0_14default_configENS1_25partition_config_selectorILNS1_17partition_subalgoE6EsNS0_10empty_typeEbEEZZNS1_14partition_implILS5_6ELb0ES3_mN6thrust23THRUST_200600_302600_NS6detail15normal_iteratorINSA_10device_ptrIsEEEEPS6_SG_NS0_5tupleIJNSA_16discard_iteratorINSA_11use_defaultEEES6_EEENSH_IJSG_SG_EEES6_PlJNSB_9not_fun_tI7is_trueIsEEEEEE10hipError_tPvRmT3_T4_T5_T6_T7_T9_mT8_P12ihipStream_tbDpT10_ENKUlT_T0_E_clISt17integral_constantIbLb0EES1B_EEDaS16_S17_EUlS16_E_NS1_11comp_targetILNS1_3genE0ELNS1_11target_archE4294967295ELNS1_3gpuE0ELNS1_3repE0EEENS1_30default_config_static_selectorELNS0_4arch9wavefront6targetE0EEEvT1_,"axG",@progbits,_ZN7rocprim17ROCPRIM_400000_NS6detail17trampoline_kernelINS0_14default_configENS1_25partition_config_selectorILNS1_17partition_subalgoE6EsNS0_10empty_typeEbEEZZNS1_14partition_implILS5_6ELb0ES3_mN6thrust23THRUST_200600_302600_NS6detail15normal_iteratorINSA_10device_ptrIsEEEEPS6_SG_NS0_5tupleIJNSA_16discard_iteratorINSA_11use_defaultEEES6_EEENSH_IJSG_SG_EEES6_PlJNSB_9not_fun_tI7is_trueIsEEEEEE10hipError_tPvRmT3_T4_T5_T6_T7_T9_mT8_P12ihipStream_tbDpT10_ENKUlT_T0_E_clISt17integral_constantIbLb0EES1B_EEDaS16_S17_EUlS16_E_NS1_11comp_targetILNS1_3genE0ELNS1_11target_archE4294967295ELNS1_3gpuE0ELNS1_3repE0EEENS1_30default_config_static_selectorELNS0_4arch9wavefront6targetE0EEEvT1_,comdat
	.protected	_ZN7rocprim17ROCPRIM_400000_NS6detail17trampoline_kernelINS0_14default_configENS1_25partition_config_selectorILNS1_17partition_subalgoE6EsNS0_10empty_typeEbEEZZNS1_14partition_implILS5_6ELb0ES3_mN6thrust23THRUST_200600_302600_NS6detail15normal_iteratorINSA_10device_ptrIsEEEEPS6_SG_NS0_5tupleIJNSA_16discard_iteratorINSA_11use_defaultEEES6_EEENSH_IJSG_SG_EEES6_PlJNSB_9not_fun_tI7is_trueIsEEEEEE10hipError_tPvRmT3_T4_T5_T6_T7_T9_mT8_P12ihipStream_tbDpT10_ENKUlT_T0_E_clISt17integral_constantIbLb0EES1B_EEDaS16_S17_EUlS16_E_NS1_11comp_targetILNS1_3genE0ELNS1_11target_archE4294967295ELNS1_3gpuE0ELNS1_3repE0EEENS1_30default_config_static_selectorELNS0_4arch9wavefront6targetE0EEEvT1_ ; -- Begin function _ZN7rocprim17ROCPRIM_400000_NS6detail17trampoline_kernelINS0_14default_configENS1_25partition_config_selectorILNS1_17partition_subalgoE6EsNS0_10empty_typeEbEEZZNS1_14partition_implILS5_6ELb0ES3_mN6thrust23THRUST_200600_302600_NS6detail15normal_iteratorINSA_10device_ptrIsEEEEPS6_SG_NS0_5tupleIJNSA_16discard_iteratorINSA_11use_defaultEEES6_EEENSH_IJSG_SG_EEES6_PlJNSB_9not_fun_tI7is_trueIsEEEEEE10hipError_tPvRmT3_T4_T5_T6_T7_T9_mT8_P12ihipStream_tbDpT10_ENKUlT_T0_E_clISt17integral_constantIbLb0EES1B_EEDaS16_S17_EUlS16_E_NS1_11comp_targetILNS1_3genE0ELNS1_11target_archE4294967295ELNS1_3gpuE0ELNS1_3repE0EEENS1_30default_config_static_selectorELNS0_4arch9wavefront6targetE0EEEvT1_
	.globl	_ZN7rocprim17ROCPRIM_400000_NS6detail17trampoline_kernelINS0_14default_configENS1_25partition_config_selectorILNS1_17partition_subalgoE6EsNS0_10empty_typeEbEEZZNS1_14partition_implILS5_6ELb0ES3_mN6thrust23THRUST_200600_302600_NS6detail15normal_iteratorINSA_10device_ptrIsEEEEPS6_SG_NS0_5tupleIJNSA_16discard_iteratorINSA_11use_defaultEEES6_EEENSH_IJSG_SG_EEES6_PlJNSB_9not_fun_tI7is_trueIsEEEEEE10hipError_tPvRmT3_T4_T5_T6_T7_T9_mT8_P12ihipStream_tbDpT10_ENKUlT_T0_E_clISt17integral_constantIbLb0EES1B_EEDaS16_S17_EUlS16_E_NS1_11comp_targetILNS1_3genE0ELNS1_11target_archE4294967295ELNS1_3gpuE0ELNS1_3repE0EEENS1_30default_config_static_selectorELNS0_4arch9wavefront6targetE0EEEvT1_
	.p2align	8
	.type	_ZN7rocprim17ROCPRIM_400000_NS6detail17trampoline_kernelINS0_14default_configENS1_25partition_config_selectorILNS1_17partition_subalgoE6EsNS0_10empty_typeEbEEZZNS1_14partition_implILS5_6ELb0ES3_mN6thrust23THRUST_200600_302600_NS6detail15normal_iteratorINSA_10device_ptrIsEEEEPS6_SG_NS0_5tupleIJNSA_16discard_iteratorINSA_11use_defaultEEES6_EEENSH_IJSG_SG_EEES6_PlJNSB_9not_fun_tI7is_trueIsEEEEEE10hipError_tPvRmT3_T4_T5_T6_T7_T9_mT8_P12ihipStream_tbDpT10_ENKUlT_T0_E_clISt17integral_constantIbLb0EES1B_EEDaS16_S17_EUlS16_E_NS1_11comp_targetILNS1_3genE0ELNS1_11target_archE4294967295ELNS1_3gpuE0ELNS1_3repE0EEENS1_30default_config_static_selectorELNS0_4arch9wavefront6targetE0EEEvT1_,@function
_ZN7rocprim17ROCPRIM_400000_NS6detail17trampoline_kernelINS0_14default_configENS1_25partition_config_selectorILNS1_17partition_subalgoE6EsNS0_10empty_typeEbEEZZNS1_14partition_implILS5_6ELb0ES3_mN6thrust23THRUST_200600_302600_NS6detail15normal_iteratorINSA_10device_ptrIsEEEEPS6_SG_NS0_5tupleIJNSA_16discard_iteratorINSA_11use_defaultEEES6_EEENSH_IJSG_SG_EEES6_PlJNSB_9not_fun_tI7is_trueIsEEEEEE10hipError_tPvRmT3_T4_T5_T6_T7_T9_mT8_P12ihipStream_tbDpT10_ENKUlT_T0_E_clISt17integral_constantIbLb0EES1B_EEDaS16_S17_EUlS16_E_NS1_11comp_targetILNS1_3genE0ELNS1_11target_archE4294967295ELNS1_3gpuE0ELNS1_3repE0EEENS1_30default_config_static_selectorELNS0_4arch9wavefront6targetE0EEEvT1_: ; @_ZN7rocprim17ROCPRIM_400000_NS6detail17trampoline_kernelINS0_14default_configENS1_25partition_config_selectorILNS1_17partition_subalgoE6EsNS0_10empty_typeEbEEZZNS1_14partition_implILS5_6ELb0ES3_mN6thrust23THRUST_200600_302600_NS6detail15normal_iteratorINSA_10device_ptrIsEEEEPS6_SG_NS0_5tupleIJNSA_16discard_iteratorINSA_11use_defaultEEES6_EEENSH_IJSG_SG_EEES6_PlJNSB_9not_fun_tI7is_trueIsEEEEEE10hipError_tPvRmT3_T4_T5_T6_T7_T9_mT8_P12ihipStream_tbDpT10_ENKUlT_T0_E_clISt17integral_constantIbLb0EES1B_EEDaS16_S17_EUlS16_E_NS1_11comp_targetILNS1_3genE0ELNS1_11target_archE4294967295ELNS1_3gpuE0ELNS1_3repE0EEENS1_30default_config_static_selectorELNS0_4arch9wavefront6targetE0EEEvT1_
; %bb.0:
	.section	.rodata,"a",@progbits
	.p2align	6, 0x0
	.amdhsa_kernel _ZN7rocprim17ROCPRIM_400000_NS6detail17trampoline_kernelINS0_14default_configENS1_25partition_config_selectorILNS1_17partition_subalgoE6EsNS0_10empty_typeEbEEZZNS1_14partition_implILS5_6ELb0ES3_mN6thrust23THRUST_200600_302600_NS6detail15normal_iteratorINSA_10device_ptrIsEEEEPS6_SG_NS0_5tupleIJNSA_16discard_iteratorINSA_11use_defaultEEES6_EEENSH_IJSG_SG_EEES6_PlJNSB_9not_fun_tI7is_trueIsEEEEEE10hipError_tPvRmT3_T4_T5_T6_T7_T9_mT8_P12ihipStream_tbDpT10_ENKUlT_T0_E_clISt17integral_constantIbLb0EES1B_EEDaS16_S17_EUlS16_E_NS1_11comp_targetILNS1_3genE0ELNS1_11target_archE4294967295ELNS1_3gpuE0ELNS1_3repE0EEENS1_30default_config_static_selectorELNS0_4arch9wavefront6targetE0EEEvT1_
		.amdhsa_group_segment_fixed_size 0
		.amdhsa_private_segment_fixed_size 0
		.amdhsa_kernarg_size 120
		.amdhsa_user_sgpr_count 2
		.amdhsa_user_sgpr_dispatch_ptr 0
		.amdhsa_user_sgpr_queue_ptr 0
		.amdhsa_user_sgpr_kernarg_segment_ptr 1
		.amdhsa_user_sgpr_dispatch_id 0
		.amdhsa_user_sgpr_private_segment_size 0
		.amdhsa_wavefront_size32 1
		.amdhsa_uses_dynamic_stack 0
		.amdhsa_enable_private_segment 0
		.amdhsa_system_sgpr_workgroup_id_x 1
		.amdhsa_system_sgpr_workgroup_id_y 0
		.amdhsa_system_sgpr_workgroup_id_z 0
		.amdhsa_system_sgpr_workgroup_info 0
		.amdhsa_system_vgpr_workitem_id 0
		.amdhsa_next_free_vgpr 1
		.amdhsa_next_free_sgpr 1
		.amdhsa_reserve_vcc 0
		.amdhsa_float_round_mode_32 0
		.amdhsa_float_round_mode_16_64 0
		.amdhsa_float_denorm_mode_32 3
		.amdhsa_float_denorm_mode_16_64 3
		.amdhsa_fp16_overflow 0
		.amdhsa_workgroup_processor_mode 1
		.amdhsa_memory_ordered 1
		.amdhsa_forward_progress 1
		.amdhsa_inst_pref_size 0
		.amdhsa_round_robin_scheduling 0
		.amdhsa_exception_fp_ieee_invalid_op 0
		.amdhsa_exception_fp_denorm_src 0
		.amdhsa_exception_fp_ieee_div_zero 0
		.amdhsa_exception_fp_ieee_overflow 0
		.amdhsa_exception_fp_ieee_underflow 0
		.amdhsa_exception_fp_ieee_inexact 0
		.amdhsa_exception_int_div_zero 0
	.end_amdhsa_kernel
	.section	.text._ZN7rocprim17ROCPRIM_400000_NS6detail17trampoline_kernelINS0_14default_configENS1_25partition_config_selectorILNS1_17partition_subalgoE6EsNS0_10empty_typeEbEEZZNS1_14partition_implILS5_6ELb0ES3_mN6thrust23THRUST_200600_302600_NS6detail15normal_iteratorINSA_10device_ptrIsEEEEPS6_SG_NS0_5tupleIJNSA_16discard_iteratorINSA_11use_defaultEEES6_EEENSH_IJSG_SG_EEES6_PlJNSB_9not_fun_tI7is_trueIsEEEEEE10hipError_tPvRmT3_T4_T5_T6_T7_T9_mT8_P12ihipStream_tbDpT10_ENKUlT_T0_E_clISt17integral_constantIbLb0EES1B_EEDaS16_S17_EUlS16_E_NS1_11comp_targetILNS1_3genE0ELNS1_11target_archE4294967295ELNS1_3gpuE0ELNS1_3repE0EEENS1_30default_config_static_selectorELNS0_4arch9wavefront6targetE0EEEvT1_,"axG",@progbits,_ZN7rocprim17ROCPRIM_400000_NS6detail17trampoline_kernelINS0_14default_configENS1_25partition_config_selectorILNS1_17partition_subalgoE6EsNS0_10empty_typeEbEEZZNS1_14partition_implILS5_6ELb0ES3_mN6thrust23THRUST_200600_302600_NS6detail15normal_iteratorINSA_10device_ptrIsEEEEPS6_SG_NS0_5tupleIJNSA_16discard_iteratorINSA_11use_defaultEEES6_EEENSH_IJSG_SG_EEES6_PlJNSB_9not_fun_tI7is_trueIsEEEEEE10hipError_tPvRmT3_T4_T5_T6_T7_T9_mT8_P12ihipStream_tbDpT10_ENKUlT_T0_E_clISt17integral_constantIbLb0EES1B_EEDaS16_S17_EUlS16_E_NS1_11comp_targetILNS1_3genE0ELNS1_11target_archE4294967295ELNS1_3gpuE0ELNS1_3repE0EEENS1_30default_config_static_selectorELNS0_4arch9wavefront6targetE0EEEvT1_,comdat
.Lfunc_end2301:
	.size	_ZN7rocprim17ROCPRIM_400000_NS6detail17trampoline_kernelINS0_14default_configENS1_25partition_config_selectorILNS1_17partition_subalgoE6EsNS0_10empty_typeEbEEZZNS1_14partition_implILS5_6ELb0ES3_mN6thrust23THRUST_200600_302600_NS6detail15normal_iteratorINSA_10device_ptrIsEEEEPS6_SG_NS0_5tupleIJNSA_16discard_iteratorINSA_11use_defaultEEES6_EEENSH_IJSG_SG_EEES6_PlJNSB_9not_fun_tI7is_trueIsEEEEEE10hipError_tPvRmT3_T4_T5_T6_T7_T9_mT8_P12ihipStream_tbDpT10_ENKUlT_T0_E_clISt17integral_constantIbLb0EES1B_EEDaS16_S17_EUlS16_E_NS1_11comp_targetILNS1_3genE0ELNS1_11target_archE4294967295ELNS1_3gpuE0ELNS1_3repE0EEENS1_30default_config_static_selectorELNS0_4arch9wavefront6targetE0EEEvT1_, .Lfunc_end2301-_ZN7rocprim17ROCPRIM_400000_NS6detail17trampoline_kernelINS0_14default_configENS1_25partition_config_selectorILNS1_17partition_subalgoE6EsNS0_10empty_typeEbEEZZNS1_14partition_implILS5_6ELb0ES3_mN6thrust23THRUST_200600_302600_NS6detail15normal_iteratorINSA_10device_ptrIsEEEEPS6_SG_NS0_5tupleIJNSA_16discard_iteratorINSA_11use_defaultEEES6_EEENSH_IJSG_SG_EEES6_PlJNSB_9not_fun_tI7is_trueIsEEEEEE10hipError_tPvRmT3_T4_T5_T6_T7_T9_mT8_P12ihipStream_tbDpT10_ENKUlT_T0_E_clISt17integral_constantIbLb0EES1B_EEDaS16_S17_EUlS16_E_NS1_11comp_targetILNS1_3genE0ELNS1_11target_archE4294967295ELNS1_3gpuE0ELNS1_3repE0EEENS1_30default_config_static_selectorELNS0_4arch9wavefront6targetE0EEEvT1_
                                        ; -- End function
	.set _ZN7rocprim17ROCPRIM_400000_NS6detail17trampoline_kernelINS0_14default_configENS1_25partition_config_selectorILNS1_17partition_subalgoE6EsNS0_10empty_typeEbEEZZNS1_14partition_implILS5_6ELb0ES3_mN6thrust23THRUST_200600_302600_NS6detail15normal_iteratorINSA_10device_ptrIsEEEEPS6_SG_NS0_5tupleIJNSA_16discard_iteratorINSA_11use_defaultEEES6_EEENSH_IJSG_SG_EEES6_PlJNSB_9not_fun_tI7is_trueIsEEEEEE10hipError_tPvRmT3_T4_T5_T6_T7_T9_mT8_P12ihipStream_tbDpT10_ENKUlT_T0_E_clISt17integral_constantIbLb0EES1B_EEDaS16_S17_EUlS16_E_NS1_11comp_targetILNS1_3genE0ELNS1_11target_archE4294967295ELNS1_3gpuE0ELNS1_3repE0EEENS1_30default_config_static_selectorELNS0_4arch9wavefront6targetE0EEEvT1_.num_vgpr, 0
	.set _ZN7rocprim17ROCPRIM_400000_NS6detail17trampoline_kernelINS0_14default_configENS1_25partition_config_selectorILNS1_17partition_subalgoE6EsNS0_10empty_typeEbEEZZNS1_14partition_implILS5_6ELb0ES3_mN6thrust23THRUST_200600_302600_NS6detail15normal_iteratorINSA_10device_ptrIsEEEEPS6_SG_NS0_5tupleIJNSA_16discard_iteratorINSA_11use_defaultEEES6_EEENSH_IJSG_SG_EEES6_PlJNSB_9not_fun_tI7is_trueIsEEEEEE10hipError_tPvRmT3_T4_T5_T6_T7_T9_mT8_P12ihipStream_tbDpT10_ENKUlT_T0_E_clISt17integral_constantIbLb0EES1B_EEDaS16_S17_EUlS16_E_NS1_11comp_targetILNS1_3genE0ELNS1_11target_archE4294967295ELNS1_3gpuE0ELNS1_3repE0EEENS1_30default_config_static_selectorELNS0_4arch9wavefront6targetE0EEEvT1_.num_agpr, 0
	.set _ZN7rocprim17ROCPRIM_400000_NS6detail17trampoline_kernelINS0_14default_configENS1_25partition_config_selectorILNS1_17partition_subalgoE6EsNS0_10empty_typeEbEEZZNS1_14partition_implILS5_6ELb0ES3_mN6thrust23THRUST_200600_302600_NS6detail15normal_iteratorINSA_10device_ptrIsEEEEPS6_SG_NS0_5tupleIJNSA_16discard_iteratorINSA_11use_defaultEEES6_EEENSH_IJSG_SG_EEES6_PlJNSB_9not_fun_tI7is_trueIsEEEEEE10hipError_tPvRmT3_T4_T5_T6_T7_T9_mT8_P12ihipStream_tbDpT10_ENKUlT_T0_E_clISt17integral_constantIbLb0EES1B_EEDaS16_S17_EUlS16_E_NS1_11comp_targetILNS1_3genE0ELNS1_11target_archE4294967295ELNS1_3gpuE0ELNS1_3repE0EEENS1_30default_config_static_selectorELNS0_4arch9wavefront6targetE0EEEvT1_.numbered_sgpr, 0
	.set _ZN7rocprim17ROCPRIM_400000_NS6detail17trampoline_kernelINS0_14default_configENS1_25partition_config_selectorILNS1_17partition_subalgoE6EsNS0_10empty_typeEbEEZZNS1_14partition_implILS5_6ELb0ES3_mN6thrust23THRUST_200600_302600_NS6detail15normal_iteratorINSA_10device_ptrIsEEEEPS6_SG_NS0_5tupleIJNSA_16discard_iteratorINSA_11use_defaultEEES6_EEENSH_IJSG_SG_EEES6_PlJNSB_9not_fun_tI7is_trueIsEEEEEE10hipError_tPvRmT3_T4_T5_T6_T7_T9_mT8_P12ihipStream_tbDpT10_ENKUlT_T0_E_clISt17integral_constantIbLb0EES1B_EEDaS16_S17_EUlS16_E_NS1_11comp_targetILNS1_3genE0ELNS1_11target_archE4294967295ELNS1_3gpuE0ELNS1_3repE0EEENS1_30default_config_static_selectorELNS0_4arch9wavefront6targetE0EEEvT1_.num_named_barrier, 0
	.set _ZN7rocprim17ROCPRIM_400000_NS6detail17trampoline_kernelINS0_14default_configENS1_25partition_config_selectorILNS1_17partition_subalgoE6EsNS0_10empty_typeEbEEZZNS1_14partition_implILS5_6ELb0ES3_mN6thrust23THRUST_200600_302600_NS6detail15normal_iteratorINSA_10device_ptrIsEEEEPS6_SG_NS0_5tupleIJNSA_16discard_iteratorINSA_11use_defaultEEES6_EEENSH_IJSG_SG_EEES6_PlJNSB_9not_fun_tI7is_trueIsEEEEEE10hipError_tPvRmT3_T4_T5_T6_T7_T9_mT8_P12ihipStream_tbDpT10_ENKUlT_T0_E_clISt17integral_constantIbLb0EES1B_EEDaS16_S17_EUlS16_E_NS1_11comp_targetILNS1_3genE0ELNS1_11target_archE4294967295ELNS1_3gpuE0ELNS1_3repE0EEENS1_30default_config_static_selectorELNS0_4arch9wavefront6targetE0EEEvT1_.private_seg_size, 0
	.set _ZN7rocprim17ROCPRIM_400000_NS6detail17trampoline_kernelINS0_14default_configENS1_25partition_config_selectorILNS1_17partition_subalgoE6EsNS0_10empty_typeEbEEZZNS1_14partition_implILS5_6ELb0ES3_mN6thrust23THRUST_200600_302600_NS6detail15normal_iteratorINSA_10device_ptrIsEEEEPS6_SG_NS0_5tupleIJNSA_16discard_iteratorINSA_11use_defaultEEES6_EEENSH_IJSG_SG_EEES6_PlJNSB_9not_fun_tI7is_trueIsEEEEEE10hipError_tPvRmT3_T4_T5_T6_T7_T9_mT8_P12ihipStream_tbDpT10_ENKUlT_T0_E_clISt17integral_constantIbLb0EES1B_EEDaS16_S17_EUlS16_E_NS1_11comp_targetILNS1_3genE0ELNS1_11target_archE4294967295ELNS1_3gpuE0ELNS1_3repE0EEENS1_30default_config_static_selectorELNS0_4arch9wavefront6targetE0EEEvT1_.uses_vcc, 0
	.set _ZN7rocprim17ROCPRIM_400000_NS6detail17trampoline_kernelINS0_14default_configENS1_25partition_config_selectorILNS1_17partition_subalgoE6EsNS0_10empty_typeEbEEZZNS1_14partition_implILS5_6ELb0ES3_mN6thrust23THRUST_200600_302600_NS6detail15normal_iteratorINSA_10device_ptrIsEEEEPS6_SG_NS0_5tupleIJNSA_16discard_iteratorINSA_11use_defaultEEES6_EEENSH_IJSG_SG_EEES6_PlJNSB_9not_fun_tI7is_trueIsEEEEEE10hipError_tPvRmT3_T4_T5_T6_T7_T9_mT8_P12ihipStream_tbDpT10_ENKUlT_T0_E_clISt17integral_constantIbLb0EES1B_EEDaS16_S17_EUlS16_E_NS1_11comp_targetILNS1_3genE0ELNS1_11target_archE4294967295ELNS1_3gpuE0ELNS1_3repE0EEENS1_30default_config_static_selectorELNS0_4arch9wavefront6targetE0EEEvT1_.uses_flat_scratch, 0
	.set _ZN7rocprim17ROCPRIM_400000_NS6detail17trampoline_kernelINS0_14default_configENS1_25partition_config_selectorILNS1_17partition_subalgoE6EsNS0_10empty_typeEbEEZZNS1_14partition_implILS5_6ELb0ES3_mN6thrust23THRUST_200600_302600_NS6detail15normal_iteratorINSA_10device_ptrIsEEEEPS6_SG_NS0_5tupleIJNSA_16discard_iteratorINSA_11use_defaultEEES6_EEENSH_IJSG_SG_EEES6_PlJNSB_9not_fun_tI7is_trueIsEEEEEE10hipError_tPvRmT3_T4_T5_T6_T7_T9_mT8_P12ihipStream_tbDpT10_ENKUlT_T0_E_clISt17integral_constantIbLb0EES1B_EEDaS16_S17_EUlS16_E_NS1_11comp_targetILNS1_3genE0ELNS1_11target_archE4294967295ELNS1_3gpuE0ELNS1_3repE0EEENS1_30default_config_static_selectorELNS0_4arch9wavefront6targetE0EEEvT1_.has_dyn_sized_stack, 0
	.set _ZN7rocprim17ROCPRIM_400000_NS6detail17trampoline_kernelINS0_14default_configENS1_25partition_config_selectorILNS1_17partition_subalgoE6EsNS0_10empty_typeEbEEZZNS1_14partition_implILS5_6ELb0ES3_mN6thrust23THRUST_200600_302600_NS6detail15normal_iteratorINSA_10device_ptrIsEEEEPS6_SG_NS0_5tupleIJNSA_16discard_iteratorINSA_11use_defaultEEES6_EEENSH_IJSG_SG_EEES6_PlJNSB_9not_fun_tI7is_trueIsEEEEEE10hipError_tPvRmT3_T4_T5_T6_T7_T9_mT8_P12ihipStream_tbDpT10_ENKUlT_T0_E_clISt17integral_constantIbLb0EES1B_EEDaS16_S17_EUlS16_E_NS1_11comp_targetILNS1_3genE0ELNS1_11target_archE4294967295ELNS1_3gpuE0ELNS1_3repE0EEENS1_30default_config_static_selectorELNS0_4arch9wavefront6targetE0EEEvT1_.has_recursion, 0
	.set _ZN7rocprim17ROCPRIM_400000_NS6detail17trampoline_kernelINS0_14default_configENS1_25partition_config_selectorILNS1_17partition_subalgoE6EsNS0_10empty_typeEbEEZZNS1_14partition_implILS5_6ELb0ES3_mN6thrust23THRUST_200600_302600_NS6detail15normal_iteratorINSA_10device_ptrIsEEEEPS6_SG_NS0_5tupleIJNSA_16discard_iteratorINSA_11use_defaultEEES6_EEENSH_IJSG_SG_EEES6_PlJNSB_9not_fun_tI7is_trueIsEEEEEE10hipError_tPvRmT3_T4_T5_T6_T7_T9_mT8_P12ihipStream_tbDpT10_ENKUlT_T0_E_clISt17integral_constantIbLb0EES1B_EEDaS16_S17_EUlS16_E_NS1_11comp_targetILNS1_3genE0ELNS1_11target_archE4294967295ELNS1_3gpuE0ELNS1_3repE0EEENS1_30default_config_static_selectorELNS0_4arch9wavefront6targetE0EEEvT1_.has_indirect_call, 0
	.section	.AMDGPU.csdata,"",@progbits
; Kernel info:
; codeLenInByte = 0
; TotalNumSgprs: 0
; NumVgprs: 0
; ScratchSize: 0
; MemoryBound: 0
; FloatMode: 240
; IeeeMode: 1
; LDSByteSize: 0 bytes/workgroup (compile time only)
; SGPRBlocks: 0
; VGPRBlocks: 0
; NumSGPRsForWavesPerEU: 1
; NumVGPRsForWavesPerEU: 1
; Occupancy: 16
; WaveLimiterHint : 0
; COMPUTE_PGM_RSRC2:SCRATCH_EN: 0
; COMPUTE_PGM_RSRC2:USER_SGPR: 2
; COMPUTE_PGM_RSRC2:TRAP_HANDLER: 0
; COMPUTE_PGM_RSRC2:TGID_X_EN: 1
; COMPUTE_PGM_RSRC2:TGID_Y_EN: 0
; COMPUTE_PGM_RSRC2:TGID_Z_EN: 0
; COMPUTE_PGM_RSRC2:TIDIG_COMP_CNT: 0
	.section	.text._ZN7rocprim17ROCPRIM_400000_NS6detail17trampoline_kernelINS0_14default_configENS1_25partition_config_selectorILNS1_17partition_subalgoE6EsNS0_10empty_typeEbEEZZNS1_14partition_implILS5_6ELb0ES3_mN6thrust23THRUST_200600_302600_NS6detail15normal_iteratorINSA_10device_ptrIsEEEEPS6_SG_NS0_5tupleIJNSA_16discard_iteratorINSA_11use_defaultEEES6_EEENSH_IJSG_SG_EEES6_PlJNSB_9not_fun_tI7is_trueIsEEEEEE10hipError_tPvRmT3_T4_T5_T6_T7_T9_mT8_P12ihipStream_tbDpT10_ENKUlT_T0_E_clISt17integral_constantIbLb0EES1B_EEDaS16_S17_EUlS16_E_NS1_11comp_targetILNS1_3genE5ELNS1_11target_archE942ELNS1_3gpuE9ELNS1_3repE0EEENS1_30default_config_static_selectorELNS0_4arch9wavefront6targetE0EEEvT1_,"axG",@progbits,_ZN7rocprim17ROCPRIM_400000_NS6detail17trampoline_kernelINS0_14default_configENS1_25partition_config_selectorILNS1_17partition_subalgoE6EsNS0_10empty_typeEbEEZZNS1_14partition_implILS5_6ELb0ES3_mN6thrust23THRUST_200600_302600_NS6detail15normal_iteratorINSA_10device_ptrIsEEEEPS6_SG_NS0_5tupleIJNSA_16discard_iteratorINSA_11use_defaultEEES6_EEENSH_IJSG_SG_EEES6_PlJNSB_9not_fun_tI7is_trueIsEEEEEE10hipError_tPvRmT3_T4_T5_T6_T7_T9_mT8_P12ihipStream_tbDpT10_ENKUlT_T0_E_clISt17integral_constantIbLb0EES1B_EEDaS16_S17_EUlS16_E_NS1_11comp_targetILNS1_3genE5ELNS1_11target_archE942ELNS1_3gpuE9ELNS1_3repE0EEENS1_30default_config_static_selectorELNS0_4arch9wavefront6targetE0EEEvT1_,comdat
	.protected	_ZN7rocprim17ROCPRIM_400000_NS6detail17trampoline_kernelINS0_14default_configENS1_25partition_config_selectorILNS1_17partition_subalgoE6EsNS0_10empty_typeEbEEZZNS1_14partition_implILS5_6ELb0ES3_mN6thrust23THRUST_200600_302600_NS6detail15normal_iteratorINSA_10device_ptrIsEEEEPS6_SG_NS0_5tupleIJNSA_16discard_iteratorINSA_11use_defaultEEES6_EEENSH_IJSG_SG_EEES6_PlJNSB_9not_fun_tI7is_trueIsEEEEEE10hipError_tPvRmT3_T4_T5_T6_T7_T9_mT8_P12ihipStream_tbDpT10_ENKUlT_T0_E_clISt17integral_constantIbLb0EES1B_EEDaS16_S17_EUlS16_E_NS1_11comp_targetILNS1_3genE5ELNS1_11target_archE942ELNS1_3gpuE9ELNS1_3repE0EEENS1_30default_config_static_selectorELNS0_4arch9wavefront6targetE0EEEvT1_ ; -- Begin function _ZN7rocprim17ROCPRIM_400000_NS6detail17trampoline_kernelINS0_14default_configENS1_25partition_config_selectorILNS1_17partition_subalgoE6EsNS0_10empty_typeEbEEZZNS1_14partition_implILS5_6ELb0ES3_mN6thrust23THRUST_200600_302600_NS6detail15normal_iteratorINSA_10device_ptrIsEEEEPS6_SG_NS0_5tupleIJNSA_16discard_iteratorINSA_11use_defaultEEES6_EEENSH_IJSG_SG_EEES6_PlJNSB_9not_fun_tI7is_trueIsEEEEEE10hipError_tPvRmT3_T4_T5_T6_T7_T9_mT8_P12ihipStream_tbDpT10_ENKUlT_T0_E_clISt17integral_constantIbLb0EES1B_EEDaS16_S17_EUlS16_E_NS1_11comp_targetILNS1_3genE5ELNS1_11target_archE942ELNS1_3gpuE9ELNS1_3repE0EEENS1_30default_config_static_selectorELNS0_4arch9wavefront6targetE0EEEvT1_
	.globl	_ZN7rocprim17ROCPRIM_400000_NS6detail17trampoline_kernelINS0_14default_configENS1_25partition_config_selectorILNS1_17partition_subalgoE6EsNS0_10empty_typeEbEEZZNS1_14partition_implILS5_6ELb0ES3_mN6thrust23THRUST_200600_302600_NS6detail15normal_iteratorINSA_10device_ptrIsEEEEPS6_SG_NS0_5tupleIJNSA_16discard_iteratorINSA_11use_defaultEEES6_EEENSH_IJSG_SG_EEES6_PlJNSB_9not_fun_tI7is_trueIsEEEEEE10hipError_tPvRmT3_T4_T5_T6_T7_T9_mT8_P12ihipStream_tbDpT10_ENKUlT_T0_E_clISt17integral_constantIbLb0EES1B_EEDaS16_S17_EUlS16_E_NS1_11comp_targetILNS1_3genE5ELNS1_11target_archE942ELNS1_3gpuE9ELNS1_3repE0EEENS1_30default_config_static_selectorELNS0_4arch9wavefront6targetE0EEEvT1_
	.p2align	8
	.type	_ZN7rocprim17ROCPRIM_400000_NS6detail17trampoline_kernelINS0_14default_configENS1_25partition_config_selectorILNS1_17partition_subalgoE6EsNS0_10empty_typeEbEEZZNS1_14partition_implILS5_6ELb0ES3_mN6thrust23THRUST_200600_302600_NS6detail15normal_iteratorINSA_10device_ptrIsEEEEPS6_SG_NS0_5tupleIJNSA_16discard_iteratorINSA_11use_defaultEEES6_EEENSH_IJSG_SG_EEES6_PlJNSB_9not_fun_tI7is_trueIsEEEEEE10hipError_tPvRmT3_T4_T5_T6_T7_T9_mT8_P12ihipStream_tbDpT10_ENKUlT_T0_E_clISt17integral_constantIbLb0EES1B_EEDaS16_S17_EUlS16_E_NS1_11comp_targetILNS1_3genE5ELNS1_11target_archE942ELNS1_3gpuE9ELNS1_3repE0EEENS1_30default_config_static_selectorELNS0_4arch9wavefront6targetE0EEEvT1_,@function
_ZN7rocprim17ROCPRIM_400000_NS6detail17trampoline_kernelINS0_14default_configENS1_25partition_config_selectorILNS1_17partition_subalgoE6EsNS0_10empty_typeEbEEZZNS1_14partition_implILS5_6ELb0ES3_mN6thrust23THRUST_200600_302600_NS6detail15normal_iteratorINSA_10device_ptrIsEEEEPS6_SG_NS0_5tupleIJNSA_16discard_iteratorINSA_11use_defaultEEES6_EEENSH_IJSG_SG_EEES6_PlJNSB_9not_fun_tI7is_trueIsEEEEEE10hipError_tPvRmT3_T4_T5_T6_T7_T9_mT8_P12ihipStream_tbDpT10_ENKUlT_T0_E_clISt17integral_constantIbLb0EES1B_EEDaS16_S17_EUlS16_E_NS1_11comp_targetILNS1_3genE5ELNS1_11target_archE942ELNS1_3gpuE9ELNS1_3repE0EEENS1_30default_config_static_selectorELNS0_4arch9wavefront6targetE0EEEvT1_: ; @_ZN7rocprim17ROCPRIM_400000_NS6detail17trampoline_kernelINS0_14default_configENS1_25partition_config_selectorILNS1_17partition_subalgoE6EsNS0_10empty_typeEbEEZZNS1_14partition_implILS5_6ELb0ES3_mN6thrust23THRUST_200600_302600_NS6detail15normal_iteratorINSA_10device_ptrIsEEEEPS6_SG_NS0_5tupleIJNSA_16discard_iteratorINSA_11use_defaultEEES6_EEENSH_IJSG_SG_EEES6_PlJNSB_9not_fun_tI7is_trueIsEEEEEE10hipError_tPvRmT3_T4_T5_T6_T7_T9_mT8_P12ihipStream_tbDpT10_ENKUlT_T0_E_clISt17integral_constantIbLb0EES1B_EEDaS16_S17_EUlS16_E_NS1_11comp_targetILNS1_3genE5ELNS1_11target_archE942ELNS1_3gpuE9ELNS1_3repE0EEENS1_30default_config_static_selectorELNS0_4arch9wavefront6targetE0EEEvT1_
; %bb.0:
	.section	.rodata,"a",@progbits
	.p2align	6, 0x0
	.amdhsa_kernel _ZN7rocprim17ROCPRIM_400000_NS6detail17trampoline_kernelINS0_14default_configENS1_25partition_config_selectorILNS1_17partition_subalgoE6EsNS0_10empty_typeEbEEZZNS1_14partition_implILS5_6ELb0ES3_mN6thrust23THRUST_200600_302600_NS6detail15normal_iteratorINSA_10device_ptrIsEEEEPS6_SG_NS0_5tupleIJNSA_16discard_iteratorINSA_11use_defaultEEES6_EEENSH_IJSG_SG_EEES6_PlJNSB_9not_fun_tI7is_trueIsEEEEEE10hipError_tPvRmT3_T4_T5_T6_T7_T9_mT8_P12ihipStream_tbDpT10_ENKUlT_T0_E_clISt17integral_constantIbLb0EES1B_EEDaS16_S17_EUlS16_E_NS1_11comp_targetILNS1_3genE5ELNS1_11target_archE942ELNS1_3gpuE9ELNS1_3repE0EEENS1_30default_config_static_selectorELNS0_4arch9wavefront6targetE0EEEvT1_
		.amdhsa_group_segment_fixed_size 0
		.amdhsa_private_segment_fixed_size 0
		.amdhsa_kernarg_size 120
		.amdhsa_user_sgpr_count 2
		.amdhsa_user_sgpr_dispatch_ptr 0
		.amdhsa_user_sgpr_queue_ptr 0
		.amdhsa_user_sgpr_kernarg_segment_ptr 1
		.amdhsa_user_sgpr_dispatch_id 0
		.amdhsa_user_sgpr_private_segment_size 0
		.amdhsa_wavefront_size32 1
		.amdhsa_uses_dynamic_stack 0
		.amdhsa_enable_private_segment 0
		.amdhsa_system_sgpr_workgroup_id_x 1
		.amdhsa_system_sgpr_workgroup_id_y 0
		.amdhsa_system_sgpr_workgroup_id_z 0
		.amdhsa_system_sgpr_workgroup_info 0
		.amdhsa_system_vgpr_workitem_id 0
		.amdhsa_next_free_vgpr 1
		.amdhsa_next_free_sgpr 1
		.amdhsa_reserve_vcc 0
		.amdhsa_float_round_mode_32 0
		.amdhsa_float_round_mode_16_64 0
		.amdhsa_float_denorm_mode_32 3
		.amdhsa_float_denorm_mode_16_64 3
		.amdhsa_fp16_overflow 0
		.amdhsa_workgroup_processor_mode 1
		.amdhsa_memory_ordered 1
		.amdhsa_forward_progress 1
		.amdhsa_inst_pref_size 0
		.amdhsa_round_robin_scheduling 0
		.amdhsa_exception_fp_ieee_invalid_op 0
		.amdhsa_exception_fp_denorm_src 0
		.amdhsa_exception_fp_ieee_div_zero 0
		.amdhsa_exception_fp_ieee_overflow 0
		.amdhsa_exception_fp_ieee_underflow 0
		.amdhsa_exception_fp_ieee_inexact 0
		.amdhsa_exception_int_div_zero 0
	.end_amdhsa_kernel
	.section	.text._ZN7rocprim17ROCPRIM_400000_NS6detail17trampoline_kernelINS0_14default_configENS1_25partition_config_selectorILNS1_17partition_subalgoE6EsNS0_10empty_typeEbEEZZNS1_14partition_implILS5_6ELb0ES3_mN6thrust23THRUST_200600_302600_NS6detail15normal_iteratorINSA_10device_ptrIsEEEEPS6_SG_NS0_5tupleIJNSA_16discard_iteratorINSA_11use_defaultEEES6_EEENSH_IJSG_SG_EEES6_PlJNSB_9not_fun_tI7is_trueIsEEEEEE10hipError_tPvRmT3_T4_T5_T6_T7_T9_mT8_P12ihipStream_tbDpT10_ENKUlT_T0_E_clISt17integral_constantIbLb0EES1B_EEDaS16_S17_EUlS16_E_NS1_11comp_targetILNS1_3genE5ELNS1_11target_archE942ELNS1_3gpuE9ELNS1_3repE0EEENS1_30default_config_static_selectorELNS0_4arch9wavefront6targetE0EEEvT1_,"axG",@progbits,_ZN7rocprim17ROCPRIM_400000_NS6detail17trampoline_kernelINS0_14default_configENS1_25partition_config_selectorILNS1_17partition_subalgoE6EsNS0_10empty_typeEbEEZZNS1_14partition_implILS5_6ELb0ES3_mN6thrust23THRUST_200600_302600_NS6detail15normal_iteratorINSA_10device_ptrIsEEEEPS6_SG_NS0_5tupleIJNSA_16discard_iteratorINSA_11use_defaultEEES6_EEENSH_IJSG_SG_EEES6_PlJNSB_9not_fun_tI7is_trueIsEEEEEE10hipError_tPvRmT3_T4_T5_T6_T7_T9_mT8_P12ihipStream_tbDpT10_ENKUlT_T0_E_clISt17integral_constantIbLb0EES1B_EEDaS16_S17_EUlS16_E_NS1_11comp_targetILNS1_3genE5ELNS1_11target_archE942ELNS1_3gpuE9ELNS1_3repE0EEENS1_30default_config_static_selectorELNS0_4arch9wavefront6targetE0EEEvT1_,comdat
.Lfunc_end2302:
	.size	_ZN7rocprim17ROCPRIM_400000_NS6detail17trampoline_kernelINS0_14default_configENS1_25partition_config_selectorILNS1_17partition_subalgoE6EsNS0_10empty_typeEbEEZZNS1_14partition_implILS5_6ELb0ES3_mN6thrust23THRUST_200600_302600_NS6detail15normal_iteratorINSA_10device_ptrIsEEEEPS6_SG_NS0_5tupleIJNSA_16discard_iteratorINSA_11use_defaultEEES6_EEENSH_IJSG_SG_EEES6_PlJNSB_9not_fun_tI7is_trueIsEEEEEE10hipError_tPvRmT3_T4_T5_T6_T7_T9_mT8_P12ihipStream_tbDpT10_ENKUlT_T0_E_clISt17integral_constantIbLb0EES1B_EEDaS16_S17_EUlS16_E_NS1_11comp_targetILNS1_3genE5ELNS1_11target_archE942ELNS1_3gpuE9ELNS1_3repE0EEENS1_30default_config_static_selectorELNS0_4arch9wavefront6targetE0EEEvT1_, .Lfunc_end2302-_ZN7rocprim17ROCPRIM_400000_NS6detail17trampoline_kernelINS0_14default_configENS1_25partition_config_selectorILNS1_17partition_subalgoE6EsNS0_10empty_typeEbEEZZNS1_14partition_implILS5_6ELb0ES3_mN6thrust23THRUST_200600_302600_NS6detail15normal_iteratorINSA_10device_ptrIsEEEEPS6_SG_NS0_5tupleIJNSA_16discard_iteratorINSA_11use_defaultEEES6_EEENSH_IJSG_SG_EEES6_PlJNSB_9not_fun_tI7is_trueIsEEEEEE10hipError_tPvRmT3_T4_T5_T6_T7_T9_mT8_P12ihipStream_tbDpT10_ENKUlT_T0_E_clISt17integral_constantIbLb0EES1B_EEDaS16_S17_EUlS16_E_NS1_11comp_targetILNS1_3genE5ELNS1_11target_archE942ELNS1_3gpuE9ELNS1_3repE0EEENS1_30default_config_static_selectorELNS0_4arch9wavefront6targetE0EEEvT1_
                                        ; -- End function
	.set _ZN7rocprim17ROCPRIM_400000_NS6detail17trampoline_kernelINS0_14default_configENS1_25partition_config_selectorILNS1_17partition_subalgoE6EsNS0_10empty_typeEbEEZZNS1_14partition_implILS5_6ELb0ES3_mN6thrust23THRUST_200600_302600_NS6detail15normal_iteratorINSA_10device_ptrIsEEEEPS6_SG_NS0_5tupleIJNSA_16discard_iteratorINSA_11use_defaultEEES6_EEENSH_IJSG_SG_EEES6_PlJNSB_9not_fun_tI7is_trueIsEEEEEE10hipError_tPvRmT3_T4_T5_T6_T7_T9_mT8_P12ihipStream_tbDpT10_ENKUlT_T0_E_clISt17integral_constantIbLb0EES1B_EEDaS16_S17_EUlS16_E_NS1_11comp_targetILNS1_3genE5ELNS1_11target_archE942ELNS1_3gpuE9ELNS1_3repE0EEENS1_30default_config_static_selectorELNS0_4arch9wavefront6targetE0EEEvT1_.num_vgpr, 0
	.set _ZN7rocprim17ROCPRIM_400000_NS6detail17trampoline_kernelINS0_14default_configENS1_25partition_config_selectorILNS1_17partition_subalgoE6EsNS0_10empty_typeEbEEZZNS1_14partition_implILS5_6ELb0ES3_mN6thrust23THRUST_200600_302600_NS6detail15normal_iteratorINSA_10device_ptrIsEEEEPS6_SG_NS0_5tupleIJNSA_16discard_iteratorINSA_11use_defaultEEES6_EEENSH_IJSG_SG_EEES6_PlJNSB_9not_fun_tI7is_trueIsEEEEEE10hipError_tPvRmT3_T4_T5_T6_T7_T9_mT8_P12ihipStream_tbDpT10_ENKUlT_T0_E_clISt17integral_constantIbLb0EES1B_EEDaS16_S17_EUlS16_E_NS1_11comp_targetILNS1_3genE5ELNS1_11target_archE942ELNS1_3gpuE9ELNS1_3repE0EEENS1_30default_config_static_selectorELNS0_4arch9wavefront6targetE0EEEvT1_.num_agpr, 0
	.set _ZN7rocprim17ROCPRIM_400000_NS6detail17trampoline_kernelINS0_14default_configENS1_25partition_config_selectorILNS1_17partition_subalgoE6EsNS0_10empty_typeEbEEZZNS1_14partition_implILS5_6ELb0ES3_mN6thrust23THRUST_200600_302600_NS6detail15normal_iteratorINSA_10device_ptrIsEEEEPS6_SG_NS0_5tupleIJNSA_16discard_iteratorINSA_11use_defaultEEES6_EEENSH_IJSG_SG_EEES6_PlJNSB_9not_fun_tI7is_trueIsEEEEEE10hipError_tPvRmT3_T4_T5_T6_T7_T9_mT8_P12ihipStream_tbDpT10_ENKUlT_T0_E_clISt17integral_constantIbLb0EES1B_EEDaS16_S17_EUlS16_E_NS1_11comp_targetILNS1_3genE5ELNS1_11target_archE942ELNS1_3gpuE9ELNS1_3repE0EEENS1_30default_config_static_selectorELNS0_4arch9wavefront6targetE0EEEvT1_.numbered_sgpr, 0
	.set _ZN7rocprim17ROCPRIM_400000_NS6detail17trampoline_kernelINS0_14default_configENS1_25partition_config_selectorILNS1_17partition_subalgoE6EsNS0_10empty_typeEbEEZZNS1_14partition_implILS5_6ELb0ES3_mN6thrust23THRUST_200600_302600_NS6detail15normal_iteratorINSA_10device_ptrIsEEEEPS6_SG_NS0_5tupleIJNSA_16discard_iteratorINSA_11use_defaultEEES6_EEENSH_IJSG_SG_EEES6_PlJNSB_9not_fun_tI7is_trueIsEEEEEE10hipError_tPvRmT3_T4_T5_T6_T7_T9_mT8_P12ihipStream_tbDpT10_ENKUlT_T0_E_clISt17integral_constantIbLb0EES1B_EEDaS16_S17_EUlS16_E_NS1_11comp_targetILNS1_3genE5ELNS1_11target_archE942ELNS1_3gpuE9ELNS1_3repE0EEENS1_30default_config_static_selectorELNS0_4arch9wavefront6targetE0EEEvT1_.num_named_barrier, 0
	.set _ZN7rocprim17ROCPRIM_400000_NS6detail17trampoline_kernelINS0_14default_configENS1_25partition_config_selectorILNS1_17partition_subalgoE6EsNS0_10empty_typeEbEEZZNS1_14partition_implILS5_6ELb0ES3_mN6thrust23THRUST_200600_302600_NS6detail15normal_iteratorINSA_10device_ptrIsEEEEPS6_SG_NS0_5tupleIJNSA_16discard_iteratorINSA_11use_defaultEEES6_EEENSH_IJSG_SG_EEES6_PlJNSB_9not_fun_tI7is_trueIsEEEEEE10hipError_tPvRmT3_T4_T5_T6_T7_T9_mT8_P12ihipStream_tbDpT10_ENKUlT_T0_E_clISt17integral_constantIbLb0EES1B_EEDaS16_S17_EUlS16_E_NS1_11comp_targetILNS1_3genE5ELNS1_11target_archE942ELNS1_3gpuE9ELNS1_3repE0EEENS1_30default_config_static_selectorELNS0_4arch9wavefront6targetE0EEEvT1_.private_seg_size, 0
	.set _ZN7rocprim17ROCPRIM_400000_NS6detail17trampoline_kernelINS0_14default_configENS1_25partition_config_selectorILNS1_17partition_subalgoE6EsNS0_10empty_typeEbEEZZNS1_14partition_implILS5_6ELb0ES3_mN6thrust23THRUST_200600_302600_NS6detail15normal_iteratorINSA_10device_ptrIsEEEEPS6_SG_NS0_5tupleIJNSA_16discard_iteratorINSA_11use_defaultEEES6_EEENSH_IJSG_SG_EEES6_PlJNSB_9not_fun_tI7is_trueIsEEEEEE10hipError_tPvRmT3_T4_T5_T6_T7_T9_mT8_P12ihipStream_tbDpT10_ENKUlT_T0_E_clISt17integral_constantIbLb0EES1B_EEDaS16_S17_EUlS16_E_NS1_11comp_targetILNS1_3genE5ELNS1_11target_archE942ELNS1_3gpuE9ELNS1_3repE0EEENS1_30default_config_static_selectorELNS0_4arch9wavefront6targetE0EEEvT1_.uses_vcc, 0
	.set _ZN7rocprim17ROCPRIM_400000_NS6detail17trampoline_kernelINS0_14default_configENS1_25partition_config_selectorILNS1_17partition_subalgoE6EsNS0_10empty_typeEbEEZZNS1_14partition_implILS5_6ELb0ES3_mN6thrust23THRUST_200600_302600_NS6detail15normal_iteratorINSA_10device_ptrIsEEEEPS6_SG_NS0_5tupleIJNSA_16discard_iteratorINSA_11use_defaultEEES6_EEENSH_IJSG_SG_EEES6_PlJNSB_9not_fun_tI7is_trueIsEEEEEE10hipError_tPvRmT3_T4_T5_T6_T7_T9_mT8_P12ihipStream_tbDpT10_ENKUlT_T0_E_clISt17integral_constantIbLb0EES1B_EEDaS16_S17_EUlS16_E_NS1_11comp_targetILNS1_3genE5ELNS1_11target_archE942ELNS1_3gpuE9ELNS1_3repE0EEENS1_30default_config_static_selectorELNS0_4arch9wavefront6targetE0EEEvT1_.uses_flat_scratch, 0
	.set _ZN7rocprim17ROCPRIM_400000_NS6detail17trampoline_kernelINS0_14default_configENS1_25partition_config_selectorILNS1_17partition_subalgoE6EsNS0_10empty_typeEbEEZZNS1_14partition_implILS5_6ELb0ES3_mN6thrust23THRUST_200600_302600_NS6detail15normal_iteratorINSA_10device_ptrIsEEEEPS6_SG_NS0_5tupleIJNSA_16discard_iteratorINSA_11use_defaultEEES6_EEENSH_IJSG_SG_EEES6_PlJNSB_9not_fun_tI7is_trueIsEEEEEE10hipError_tPvRmT3_T4_T5_T6_T7_T9_mT8_P12ihipStream_tbDpT10_ENKUlT_T0_E_clISt17integral_constantIbLb0EES1B_EEDaS16_S17_EUlS16_E_NS1_11comp_targetILNS1_3genE5ELNS1_11target_archE942ELNS1_3gpuE9ELNS1_3repE0EEENS1_30default_config_static_selectorELNS0_4arch9wavefront6targetE0EEEvT1_.has_dyn_sized_stack, 0
	.set _ZN7rocprim17ROCPRIM_400000_NS6detail17trampoline_kernelINS0_14default_configENS1_25partition_config_selectorILNS1_17partition_subalgoE6EsNS0_10empty_typeEbEEZZNS1_14partition_implILS5_6ELb0ES3_mN6thrust23THRUST_200600_302600_NS6detail15normal_iteratorINSA_10device_ptrIsEEEEPS6_SG_NS0_5tupleIJNSA_16discard_iteratorINSA_11use_defaultEEES6_EEENSH_IJSG_SG_EEES6_PlJNSB_9not_fun_tI7is_trueIsEEEEEE10hipError_tPvRmT3_T4_T5_T6_T7_T9_mT8_P12ihipStream_tbDpT10_ENKUlT_T0_E_clISt17integral_constantIbLb0EES1B_EEDaS16_S17_EUlS16_E_NS1_11comp_targetILNS1_3genE5ELNS1_11target_archE942ELNS1_3gpuE9ELNS1_3repE0EEENS1_30default_config_static_selectorELNS0_4arch9wavefront6targetE0EEEvT1_.has_recursion, 0
	.set _ZN7rocprim17ROCPRIM_400000_NS6detail17trampoline_kernelINS0_14default_configENS1_25partition_config_selectorILNS1_17partition_subalgoE6EsNS0_10empty_typeEbEEZZNS1_14partition_implILS5_6ELb0ES3_mN6thrust23THRUST_200600_302600_NS6detail15normal_iteratorINSA_10device_ptrIsEEEEPS6_SG_NS0_5tupleIJNSA_16discard_iteratorINSA_11use_defaultEEES6_EEENSH_IJSG_SG_EEES6_PlJNSB_9not_fun_tI7is_trueIsEEEEEE10hipError_tPvRmT3_T4_T5_T6_T7_T9_mT8_P12ihipStream_tbDpT10_ENKUlT_T0_E_clISt17integral_constantIbLb0EES1B_EEDaS16_S17_EUlS16_E_NS1_11comp_targetILNS1_3genE5ELNS1_11target_archE942ELNS1_3gpuE9ELNS1_3repE0EEENS1_30default_config_static_selectorELNS0_4arch9wavefront6targetE0EEEvT1_.has_indirect_call, 0
	.section	.AMDGPU.csdata,"",@progbits
; Kernel info:
; codeLenInByte = 0
; TotalNumSgprs: 0
; NumVgprs: 0
; ScratchSize: 0
; MemoryBound: 0
; FloatMode: 240
; IeeeMode: 1
; LDSByteSize: 0 bytes/workgroup (compile time only)
; SGPRBlocks: 0
; VGPRBlocks: 0
; NumSGPRsForWavesPerEU: 1
; NumVGPRsForWavesPerEU: 1
; Occupancy: 16
; WaveLimiterHint : 0
; COMPUTE_PGM_RSRC2:SCRATCH_EN: 0
; COMPUTE_PGM_RSRC2:USER_SGPR: 2
; COMPUTE_PGM_RSRC2:TRAP_HANDLER: 0
; COMPUTE_PGM_RSRC2:TGID_X_EN: 1
; COMPUTE_PGM_RSRC2:TGID_Y_EN: 0
; COMPUTE_PGM_RSRC2:TGID_Z_EN: 0
; COMPUTE_PGM_RSRC2:TIDIG_COMP_CNT: 0
	.section	.text._ZN7rocprim17ROCPRIM_400000_NS6detail17trampoline_kernelINS0_14default_configENS1_25partition_config_selectorILNS1_17partition_subalgoE6EsNS0_10empty_typeEbEEZZNS1_14partition_implILS5_6ELb0ES3_mN6thrust23THRUST_200600_302600_NS6detail15normal_iteratorINSA_10device_ptrIsEEEEPS6_SG_NS0_5tupleIJNSA_16discard_iteratorINSA_11use_defaultEEES6_EEENSH_IJSG_SG_EEES6_PlJNSB_9not_fun_tI7is_trueIsEEEEEE10hipError_tPvRmT3_T4_T5_T6_T7_T9_mT8_P12ihipStream_tbDpT10_ENKUlT_T0_E_clISt17integral_constantIbLb0EES1B_EEDaS16_S17_EUlS16_E_NS1_11comp_targetILNS1_3genE4ELNS1_11target_archE910ELNS1_3gpuE8ELNS1_3repE0EEENS1_30default_config_static_selectorELNS0_4arch9wavefront6targetE0EEEvT1_,"axG",@progbits,_ZN7rocprim17ROCPRIM_400000_NS6detail17trampoline_kernelINS0_14default_configENS1_25partition_config_selectorILNS1_17partition_subalgoE6EsNS0_10empty_typeEbEEZZNS1_14partition_implILS5_6ELb0ES3_mN6thrust23THRUST_200600_302600_NS6detail15normal_iteratorINSA_10device_ptrIsEEEEPS6_SG_NS0_5tupleIJNSA_16discard_iteratorINSA_11use_defaultEEES6_EEENSH_IJSG_SG_EEES6_PlJNSB_9not_fun_tI7is_trueIsEEEEEE10hipError_tPvRmT3_T4_T5_T6_T7_T9_mT8_P12ihipStream_tbDpT10_ENKUlT_T0_E_clISt17integral_constantIbLb0EES1B_EEDaS16_S17_EUlS16_E_NS1_11comp_targetILNS1_3genE4ELNS1_11target_archE910ELNS1_3gpuE8ELNS1_3repE0EEENS1_30default_config_static_selectorELNS0_4arch9wavefront6targetE0EEEvT1_,comdat
	.protected	_ZN7rocprim17ROCPRIM_400000_NS6detail17trampoline_kernelINS0_14default_configENS1_25partition_config_selectorILNS1_17partition_subalgoE6EsNS0_10empty_typeEbEEZZNS1_14partition_implILS5_6ELb0ES3_mN6thrust23THRUST_200600_302600_NS6detail15normal_iteratorINSA_10device_ptrIsEEEEPS6_SG_NS0_5tupleIJNSA_16discard_iteratorINSA_11use_defaultEEES6_EEENSH_IJSG_SG_EEES6_PlJNSB_9not_fun_tI7is_trueIsEEEEEE10hipError_tPvRmT3_T4_T5_T6_T7_T9_mT8_P12ihipStream_tbDpT10_ENKUlT_T0_E_clISt17integral_constantIbLb0EES1B_EEDaS16_S17_EUlS16_E_NS1_11comp_targetILNS1_3genE4ELNS1_11target_archE910ELNS1_3gpuE8ELNS1_3repE0EEENS1_30default_config_static_selectorELNS0_4arch9wavefront6targetE0EEEvT1_ ; -- Begin function _ZN7rocprim17ROCPRIM_400000_NS6detail17trampoline_kernelINS0_14default_configENS1_25partition_config_selectorILNS1_17partition_subalgoE6EsNS0_10empty_typeEbEEZZNS1_14partition_implILS5_6ELb0ES3_mN6thrust23THRUST_200600_302600_NS6detail15normal_iteratorINSA_10device_ptrIsEEEEPS6_SG_NS0_5tupleIJNSA_16discard_iteratorINSA_11use_defaultEEES6_EEENSH_IJSG_SG_EEES6_PlJNSB_9not_fun_tI7is_trueIsEEEEEE10hipError_tPvRmT3_T4_T5_T6_T7_T9_mT8_P12ihipStream_tbDpT10_ENKUlT_T0_E_clISt17integral_constantIbLb0EES1B_EEDaS16_S17_EUlS16_E_NS1_11comp_targetILNS1_3genE4ELNS1_11target_archE910ELNS1_3gpuE8ELNS1_3repE0EEENS1_30default_config_static_selectorELNS0_4arch9wavefront6targetE0EEEvT1_
	.globl	_ZN7rocprim17ROCPRIM_400000_NS6detail17trampoline_kernelINS0_14default_configENS1_25partition_config_selectorILNS1_17partition_subalgoE6EsNS0_10empty_typeEbEEZZNS1_14partition_implILS5_6ELb0ES3_mN6thrust23THRUST_200600_302600_NS6detail15normal_iteratorINSA_10device_ptrIsEEEEPS6_SG_NS0_5tupleIJNSA_16discard_iteratorINSA_11use_defaultEEES6_EEENSH_IJSG_SG_EEES6_PlJNSB_9not_fun_tI7is_trueIsEEEEEE10hipError_tPvRmT3_T4_T5_T6_T7_T9_mT8_P12ihipStream_tbDpT10_ENKUlT_T0_E_clISt17integral_constantIbLb0EES1B_EEDaS16_S17_EUlS16_E_NS1_11comp_targetILNS1_3genE4ELNS1_11target_archE910ELNS1_3gpuE8ELNS1_3repE0EEENS1_30default_config_static_selectorELNS0_4arch9wavefront6targetE0EEEvT1_
	.p2align	8
	.type	_ZN7rocprim17ROCPRIM_400000_NS6detail17trampoline_kernelINS0_14default_configENS1_25partition_config_selectorILNS1_17partition_subalgoE6EsNS0_10empty_typeEbEEZZNS1_14partition_implILS5_6ELb0ES3_mN6thrust23THRUST_200600_302600_NS6detail15normal_iteratorINSA_10device_ptrIsEEEEPS6_SG_NS0_5tupleIJNSA_16discard_iteratorINSA_11use_defaultEEES6_EEENSH_IJSG_SG_EEES6_PlJNSB_9not_fun_tI7is_trueIsEEEEEE10hipError_tPvRmT3_T4_T5_T6_T7_T9_mT8_P12ihipStream_tbDpT10_ENKUlT_T0_E_clISt17integral_constantIbLb0EES1B_EEDaS16_S17_EUlS16_E_NS1_11comp_targetILNS1_3genE4ELNS1_11target_archE910ELNS1_3gpuE8ELNS1_3repE0EEENS1_30default_config_static_selectorELNS0_4arch9wavefront6targetE0EEEvT1_,@function
_ZN7rocprim17ROCPRIM_400000_NS6detail17trampoline_kernelINS0_14default_configENS1_25partition_config_selectorILNS1_17partition_subalgoE6EsNS0_10empty_typeEbEEZZNS1_14partition_implILS5_6ELb0ES3_mN6thrust23THRUST_200600_302600_NS6detail15normal_iteratorINSA_10device_ptrIsEEEEPS6_SG_NS0_5tupleIJNSA_16discard_iteratorINSA_11use_defaultEEES6_EEENSH_IJSG_SG_EEES6_PlJNSB_9not_fun_tI7is_trueIsEEEEEE10hipError_tPvRmT3_T4_T5_T6_T7_T9_mT8_P12ihipStream_tbDpT10_ENKUlT_T0_E_clISt17integral_constantIbLb0EES1B_EEDaS16_S17_EUlS16_E_NS1_11comp_targetILNS1_3genE4ELNS1_11target_archE910ELNS1_3gpuE8ELNS1_3repE0EEENS1_30default_config_static_selectorELNS0_4arch9wavefront6targetE0EEEvT1_: ; @_ZN7rocprim17ROCPRIM_400000_NS6detail17trampoline_kernelINS0_14default_configENS1_25partition_config_selectorILNS1_17partition_subalgoE6EsNS0_10empty_typeEbEEZZNS1_14partition_implILS5_6ELb0ES3_mN6thrust23THRUST_200600_302600_NS6detail15normal_iteratorINSA_10device_ptrIsEEEEPS6_SG_NS0_5tupleIJNSA_16discard_iteratorINSA_11use_defaultEEES6_EEENSH_IJSG_SG_EEES6_PlJNSB_9not_fun_tI7is_trueIsEEEEEE10hipError_tPvRmT3_T4_T5_T6_T7_T9_mT8_P12ihipStream_tbDpT10_ENKUlT_T0_E_clISt17integral_constantIbLb0EES1B_EEDaS16_S17_EUlS16_E_NS1_11comp_targetILNS1_3genE4ELNS1_11target_archE910ELNS1_3gpuE8ELNS1_3repE0EEENS1_30default_config_static_selectorELNS0_4arch9wavefront6targetE0EEEvT1_
; %bb.0:
	.section	.rodata,"a",@progbits
	.p2align	6, 0x0
	.amdhsa_kernel _ZN7rocprim17ROCPRIM_400000_NS6detail17trampoline_kernelINS0_14default_configENS1_25partition_config_selectorILNS1_17partition_subalgoE6EsNS0_10empty_typeEbEEZZNS1_14partition_implILS5_6ELb0ES3_mN6thrust23THRUST_200600_302600_NS6detail15normal_iteratorINSA_10device_ptrIsEEEEPS6_SG_NS0_5tupleIJNSA_16discard_iteratorINSA_11use_defaultEEES6_EEENSH_IJSG_SG_EEES6_PlJNSB_9not_fun_tI7is_trueIsEEEEEE10hipError_tPvRmT3_T4_T5_T6_T7_T9_mT8_P12ihipStream_tbDpT10_ENKUlT_T0_E_clISt17integral_constantIbLb0EES1B_EEDaS16_S17_EUlS16_E_NS1_11comp_targetILNS1_3genE4ELNS1_11target_archE910ELNS1_3gpuE8ELNS1_3repE0EEENS1_30default_config_static_selectorELNS0_4arch9wavefront6targetE0EEEvT1_
		.amdhsa_group_segment_fixed_size 0
		.amdhsa_private_segment_fixed_size 0
		.amdhsa_kernarg_size 120
		.amdhsa_user_sgpr_count 2
		.amdhsa_user_sgpr_dispatch_ptr 0
		.amdhsa_user_sgpr_queue_ptr 0
		.amdhsa_user_sgpr_kernarg_segment_ptr 1
		.amdhsa_user_sgpr_dispatch_id 0
		.amdhsa_user_sgpr_private_segment_size 0
		.amdhsa_wavefront_size32 1
		.amdhsa_uses_dynamic_stack 0
		.amdhsa_enable_private_segment 0
		.amdhsa_system_sgpr_workgroup_id_x 1
		.amdhsa_system_sgpr_workgroup_id_y 0
		.amdhsa_system_sgpr_workgroup_id_z 0
		.amdhsa_system_sgpr_workgroup_info 0
		.amdhsa_system_vgpr_workitem_id 0
		.amdhsa_next_free_vgpr 1
		.amdhsa_next_free_sgpr 1
		.amdhsa_reserve_vcc 0
		.amdhsa_float_round_mode_32 0
		.amdhsa_float_round_mode_16_64 0
		.amdhsa_float_denorm_mode_32 3
		.amdhsa_float_denorm_mode_16_64 3
		.amdhsa_fp16_overflow 0
		.amdhsa_workgroup_processor_mode 1
		.amdhsa_memory_ordered 1
		.amdhsa_forward_progress 1
		.amdhsa_inst_pref_size 0
		.amdhsa_round_robin_scheduling 0
		.amdhsa_exception_fp_ieee_invalid_op 0
		.amdhsa_exception_fp_denorm_src 0
		.amdhsa_exception_fp_ieee_div_zero 0
		.amdhsa_exception_fp_ieee_overflow 0
		.amdhsa_exception_fp_ieee_underflow 0
		.amdhsa_exception_fp_ieee_inexact 0
		.amdhsa_exception_int_div_zero 0
	.end_amdhsa_kernel
	.section	.text._ZN7rocprim17ROCPRIM_400000_NS6detail17trampoline_kernelINS0_14default_configENS1_25partition_config_selectorILNS1_17partition_subalgoE6EsNS0_10empty_typeEbEEZZNS1_14partition_implILS5_6ELb0ES3_mN6thrust23THRUST_200600_302600_NS6detail15normal_iteratorINSA_10device_ptrIsEEEEPS6_SG_NS0_5tupleIJNSA_16discard_iteratorINSA_11use_defaultEEES6_EEENSH_IJSG_SG_EEES6_PlJNSB_9not_fun_tI7is_trueIsEEEEEE10hipError_tPvRmT3_T4_T5_T6_T7_T9_mT8_P12ihipStream_tbDpT10_ENKUlT_T0_E_clISt17integral_constantIbLb0EES1B_EEDaS16_S17_EUlS16_E_NS1_11comp_targetILNS1_3genE4ELNS1_11target_archE910ELNS1_3gpuE8ELNS1_3repE0EEENS1_30default_config_static_selectorELNS0_4arch9wavefront6targetE0EEEvT1_,"axG",@progbits,_ZN7rocprim17ROCPRIM_400000_NS6detail17trampoline_kernelINS0_14default_configENS1_25partition_config_selectorILNS1_17partition_subalgoE6EsNS0_10empty_typeEbEEZZNS1_14partition_implILS5_6ELb0ES3_mN6thrust23THRUST_200600_302600_NS6detail15normal_iteratorINSA_10device_ptrIsEEEEPS6_SG_NS0_5tupleIJNSA_16discard_iteratorINSA_11use_defaultEEES6_EEENSH_IJSG_SG_EEES6_PlJNSB_9not_fun_tI7is_trueIsEEEEEE10hipError_tPvRmT3_T4_T5_T6_T7_T9_mT8_P12ihipStream_tbDpT10_ENKUlT_T0_E_clISt17integral_constantIbLb0EES1B_EEDaS16_S17_EUlS16_E_NS1_11comp_targetILNS1_3genE4ELNS1_11target_archE910ELNS1_3gpuE8ELNS1_3repE0EEENS1_30default_config_static_selectorELNS0_4arch9wavefront6targetE0EEEvT1_,comdat
.Lfunc_end2303:
	.size	_ZN7rocprim17ROCPRIM_400000_NS6detail17trampoline_kernelINS0_14default_configENS1_25partition_config_selectorILNS1_17partition_subalgoE6EsNS0_10empty_typeEbEEZZNS1_14partition_implILS5_6ELb0ES3_mN6thrust23THRUST_200600_302600_NS6detail15normal_iteratorINSA_10device_ptrIsEEEEPS6_SG_NS0_5tupleIJNSA_16discard_iteratorINSA_11use_defaultEEES6_EEENSH_IJSG_SG_EEES6_PlJNSB_9not_fun_tI7is_trueIsEEEEEE10hipError_tPvRmT3_T4_T5_T6_T7_T9_mT8_P12ihipStream_tbDpT10_ENKUlT_T0_E_clISt17integral_constantIbLb0EES1B_EEDaS16_S17_EUlS16_E_NS1_11comp_targetILNS1_3genE4ELNS1_11target_archE910ELNS1_3gpuE8ELNS1_3repE0EEENS1_30default_config_static_selectorELNS0_4arch9wavefront6targetE0EEEvT1_, .Lfunc_end2303-_ZN7rocprim17ROCPRIM_400000_NS6detail17trampoline_kernelINS0_14default_configENS1_25partition_config_selectorILNS1_17partition_subalgoE6EsNS0_10empty_typeEbEEZZNS1_14partition_implILS5_6ELb0ES3_mN6thrust23THRUST_200600_302600_NS6detail15normal_iteratorINSA_10device_ptrIsEEEEPS6_SG_NS0_5tupleIJNSA_16discard_iteratorINSA_11use_defaultEEES6_EEENSH_IJSG_SG_EEES6_PlJNSB_9not_fun_tI7is_trueIsEEEEEE10hipError_tPvRmT3_T4_T5_T6_T7_T9_mT8_P12ihipStream_tbDpT10_ENKUlT_T0_E_clISt17integral_constantIbLb0EES1B_EEDaS16_S17_EUlS16_E_NS1_11comp_targetILNS1_3genE4ELNS1_11target_archE910ELNS1_3gpuE8ELNS1_3repE0EEENS1_30default_config_static_selectorELNS0_4arch9wavefront6targetE0EEEvT1_
                                        ; -- End function
	.set _ZN7rocprim17ROCPRIM_400000_NS6detail17trampoline_kernelINS0_14default_configENS1_25partition_config_selectorILNS1_17partition_subalgoE6EsNS0_10empty_typeEbEEZZNS1_14partition_implILS5_6ELb0ES3_mN6thrust23THRUST_200600_302600_NS6detail15normal_iteratorINSA_10device_ptrIsEEEEPS6_SG_NS0_5tupleIJNSA_16discard_iteratorINSA_11use_defaultEEES6_EEENSH_IJSG_SG_EEES6_PlJNSB_9not_fun_tI7is_trueIsEEEEEE10hipError_tPvRmT3_T4_T5_T6_T7_T9_mT8_P12ihipStream_tbDpT10_ENKUlT_T0_E_clISt17integral_constantIbLb0EES1B_EEDaS16_S17_EUlS16_E_NS1_11comp_targetILNS1_3genE4ELNS1_11target_archE910ELNS1_3gpuE8ELNS1_3repE0EEENS1_30default_config_static_selectorELNS0_4arch9wavefront6targetE0EEEvT1_.num_vgpr, 0
	.set _ZN7rocprim17ROCPRIM_400000_NS6detail17trampoline_kernelINS0_14default_configENS1_25partition_config_selectorILNS1_17partition_subalgoE6EsNS0_10empty_typeEbEEZZNS1_14partition_implILS5_6ELb0ES3_mN6thrust23THRUST_200600_302600_NS6detail15normal_iteratorINSA_10device_ptrIsEEEEPS6_SG_NS0_5tupleIJNSA_16discard_iteratorINSA_11use_defaultEEES6_EEENSH_IJSG_SG_EEES6_PlJNSB_9not_fun_tI7is_trueIsEEEEEE10hipError_tPvRmT3_T4_T5_T6_T7_T9_mT8_P12ihipStream_tbDpT10_ENKUlT_T0_E_clISt17integral_constantIbLb0EES1B_EEDaS16_S17_EUlS16_E_NS1_11comp_targetILNS1_3genE4ELNS1_11target_archE910ELNS1_3gpuE8ELNS1_3repE0EEENS1_30default_config_static_selectorELNS0_4arch9wavefront6targetE0EEEvT1_.num_agpr, 0
	.set _ZN7rocprim17ROCPRIM_400000_NS6detail17trampoline_kernelINS0_14default_configENS1_25partition_config_selectorILNS1_17partition_subalgoE6EsNS0_10empty_typeEbEEZZNS1_14partition_implILS5_6ELb0ES3_mN6thrust23THRUST_200600_302600_NS6detail15normal_iteratorINSA_10device_ptrIsEEEEPS6_SG_NS0_5tupleIJNSA_16discard_iteratorINSA_11use_defaultEEES6_EEENSH_IJSG_SG_EEES6_PlJNSB_9not_fun_tI7is_trueIsEEEEEE10hipError_tPvRmT3_T4_T5_T6_T7_T9_mT8_P12ihipStream_tbDpT10_ENKUlT_T0_E_clISt17integral_constantIbLb0EES1B_EEDaS16_S17_EUlS16_E_NS1_11comp_targetILNS1_3genE4ELNS1_11target_archE910ELNS1_3gpuE8ELNS1_3repE0EEENS1_30default_config_static_selectorELNS0_4arch9wavefront6targetE0EEEvT1_.numbered_sgpr, 0
	.set _ZN7rocprim17ROCPRIM_400000_NS6detail17trampoline_kernelINS0_14default_configENS1_25partition_config_selectorILNS1_17partition_subalgoE6EsNS0_10empty_typeEbEEZZNS1_14partition_implILS5_6ELb0ES3_mN6thrust23THRUST_200600_302600_NS6detail15normal_iteratorINSA_10device_ptrIsEEEEPS6_SG_NS0_5tupleIJNSA_16discard_iteratorINSA_11use_defaultEEES6_EEENSH_IJSG_SG_EEES6_PlJNSB_9not_fun_tI7is_trueIsEEEEEE10hipError_tPvRmT3_T4_T5_T6_T7_T9_mT8_P12ihipStream_tbDpT10_ENKUlT_T0_E_clISt17integral_constantIbLb0EES1B_EEDaS16_S17_EUlS16_E_NS1_11comp_targetILNS1_3genE4ELNS1_11target_archE910ELNS1_3gpuE8ELNS1_3repE0EEENS1_30default_config_static_selectorELNS0_4arch9wavefront6targetE0EEEvT1_.num_named_barrier, 0
	.set _ZN7rocprim17ROCPRIM_400000_NS6detail17trampoline_kernelINS0_14default_configENS1_25partition_config_selectorILNS1_17partition_subalgoE6EsNS0_10empty_typeEbEEZZNS1_14partition_implILS5_6ELb0ES3_mN6thrust23THRUST_200600_302600_NS6detail15normal_iteratorINSA_10device_ptrIsEEEEPS6_SG_NS0_5tupleIJNSA_16discard_iteratorINSA_11use_defaultEEES6_EEENSH_IJSG_SG_EEES6_PlJNSB_9not_fun_tI7is_trueIsEEEEEE10hipError_tPvRmT3_T4_T5_T6_T7_T9_mT8_P12ihipStream_tbDpT10_ENKUlT_T0_E_clISt17integral_constantIbLb0EES1B_EEDaS16_S17_EUlS16_E_NS1_11comp_targetILNS1_3genE4ELNS1_11target_archE910ELNS1_3gpuE8ELNS1_3repE0EEENS1_30default_config_static_selectorELNS0_4arch9wavefront6targetE0EEEvT1_.private_seg_size, 0
	.set _ZN7rocprim17ROCPRIM_400000_NS6detail17trampoline_kernelINS0_14default_configENS1_25partition_config_selectorILNS1_17partition_subalgoE6EsNS0_10empty_typeEbEEZZNS1_14partition_implILS5_6ELb0ES3_mN6thrust23THRUST_200600_302600_NS6detail15normal_iteratorINSA_10device_ptrIsEEEEPS6_SG_NS0_5tupleIJNSA_16discard_iteratorINSA_11use_defaultEEES6_EEENSH_IJSG_SG_EEES6_PlJNSB_9not_fun_tI7is_trueIsEEEEEE10hipError_tPvRmT3_T4_T5_T6_T7_T9_mT8_P12ihipStream_tbDpT10_ENKUlT_T0_E_clISt17integral_constantIbLb0EES1B_EEDaS16_S17_EUlS16_E_NS1_11comp_targetILNS1_3genE4ELNS1_11target_archE910ELNS1_3gpuE8ELNS1_3repE0EEENS1_30default_config_static_selectorELNS0_4arch9wavefront6targetE0EEEvT1_.uses_vcc, 0
	.set _ZN7rocprim17ROCPRIM_400000_NS6detail17trampoline_kernelINS0_14default_configENS1_25partition_config_selectorILNS1_17partition_subalgoE6EsNS0_10empty_typeEbEEZZNS1_14partition_implILS5_6ELb0ES3_mN6thrust23THRUST_200600_302600_NS6detail15normal_iteratorINSA_10device_ptrIsEEEEPS6_SG_NS0_5tupleIJNSA_16discard_iteratorINSA_11use_defaultEEES6_EEENSH_IJSG_SG_EEES6_PlJNSB_9not_fun_tI7is_trueIsEEEEEE10hipError_tPvRmT3_T4_T5_T6_T7_T9_mT8_P12ihipStream_tbDpT10_ENKUlT_T0_E_clISt17integral_constantIbLb0EES1B_EEDaS16_S17_EUlS16_E_NS1_11comp_targetILNS1_3genE4ELNS1_11target_archE910ELNS1_3gpuE8ELNS1_3repE0EEENS1_30default_config_static_selectorELNS0_4arch9wavefront6targetE0EEEvT1_.uses_flat_scratch, 0
	.set _ZN7rocprim17ROCPRIM_400000_NS6detail17trampoline_kernelINS0_14default_configENS1_25partition_config_selectorILNS1_17partition_subalgoE6EsNS0_10empty_typeEbEEZZNS1_14partition_implILS5_6ELb0ES3_mN6thrust23THRUST_200600_302600_NS6detail15normal_iteratorINSA_10device_ptrIsEEEEPS6_SG_NS0_5tupleIJNSA_16discard_iteratorINSA_11use_defaultEEES6_EEENSH_IJSG_SG_EEES6_PlJNSB_9not_fun_tI7is_trueIsEEEEEE10hipError_tPvRmT3_T4_T5_T6_T7_T9_mT8_P12ihipStream_tbDpT10_ENKUlT_T0_E_clISt17integral_constantIbLb0EES1B_EEDaS16_S17_EUlS16_E_NS1_11comp_targetILNS1_3genE4ELNS1_11target_archE910ELNS1_3gpuE8ELNS1_3repE0EEENS1_30default_config_static_selectorELNS0_4arch9wavefront6targetE0EEEvT1_.has_dyn_sized_stack, 0
	.set _ZN7rocprim17ROCPRIM_400000_NS6detail17trampoline_kernelINS0_14default_configENS1_25partition_config_selectorILNS1_17partition_subalgoE6EsNS0_10empty_typeEbEEZZNS1_14partition_implILS5_6ELb0ES3_mN6thrust23THRUST_200600_302600_NS6detail15normal_iteratorINSA_10device_ptrIsEEEEPS6_SG_NS0_5tupleIJNSA_16discard_iteratorINSA_11use_defaultEEES6_EEENSH_IJSG_SG_EEES6_PlJNSB_9not_fun_tI7is_trueIsEEEEEE10hipError_tPvRmT3_T4_T5_T6_T7_T9_mT8_P12ihipStream_tbDpT10_ENKUlT_T0_E_clISt17integral_constantIbLb0EES1B_EEDaS16_S17_EUlS16_E_NS1_11comp_targetILNS1_3genE4ELNS1_11target_archE910ELNS1_3gpuE8ELNS1_3repE0EEENS1_30default_config_static_selectorELNS0_4arch9wavefront6targetE0EEEvT1_.has_recursion, 0
	.set _ZN7rocprim17ROCPRIM_400000_NS6detail17trampoline_kernelINS0_14default_configENS1_25partition_config_selectorILNS1_17partition_subalgoE6EsNS0_10empty_typeEbEEZZNS1_14partition_implILS5_6ELb0ES3_mN6thrust23THRUST_200600_302600_NS6detail15normal_iteratorINSA_10device_ptrIsEEEEPS6_SG_NS0_5tupleIJNSA_16discard_iteratorINSA_11use_defaultEEES6_EEENSH_IJSG_SG_EEES6_PlJNSB_9not_fun_tI7is_trueIsEEEEEE10hipError_tPvRmT3_T4_T5_T6_T7_T9_mT8_P12ihipStream_tbDpT10_ENKUlT_T0_E_clISt17integral_constantIbLb0EES1B_EEDaS16_S17_EUlS16_E_NS1_11comp_targetILNS1_3genE4ELNS1_11target_archE910ELNS1_3gpuE8ELNS1_3repE0EEENS1_30default_config_static_selectorELNS0_4arch9wavefront6targetE0EEEvT1_.has_indirect_call, 0
	.section	.AMDGPU.csdata,"",@progbits
; Kernel info:
; codeLenInByte = 0
; TotalNumSgprs: 0
; NumVgprs: 0
; ScratchSize: 0
; MemoryBound: 0
; FloatMode: 240
; IeeeMode: 1
; LDSByteSize: 0 bytes/workgroup (compile time only)
; SGPRBlocks: 0
; VGPRBlocks: 0
; NumSGPRsForWavesPerEU: 1
; NumVGPRsForWavesPerEU: 1
; Occupancy: 16
; WaveLimiterHint : 0
; COMPUTE_PGM_RSRC2:SCRATCH_EN: 0
; COMPUTE_PGM_RSRC2:USER_SGPR: 2
; COMPUTE_PGM_RSRC2:TRAP_HANDLER: 0
; COMPUTE_PGM_RSRC2:TGID_X_EN: 1
; COMPUTE_PGM_RSRC2:TGID_Y_EN: 0
; COMPUTE_PGM_RSRC2:TGID_Z_EN: 0
; COMPUTE_PGM_RSRC2:TIDIG_COMP_CNT: 0
	.section	.text._ZN7rocprim17ROCPRIM_400000_NS6detail17trampoline_kernelINS0_14default_configENS1_25partition_config_selectorILNS1_17partition_subalgoE6EsNS0_10empty_typeEbEEZZNS1_14partition_implILS5_6ELb0ES3_mN6thrust23THRUST_200600_302600_NS6detail15normal_iteratorINSA_10device_ptrIsEEEEPS6_SG_NS0_5tupleIJNSA_16discard_iteratorINSA_11use_defaultEEES6_EEENSH_IJSG_SG_EEES6_PlJNSB_9not_fun_tI7is_trueIsEEEEEE10hipError_tPvRmT3_T4_T5_T6_T7_T9_mT8_P12ihipStream_tbDpT10_ENKUlT_T0_E_clISt17integral_constantIbLb0EES1B_EEDaS16_S17_EUlS16_E_NS1_11comp_targetILNS1_3genE3ELNS1_11target_archE908ELNS1_3gpuE7ELNS1_3repE0EEENS1_30default_config_static_selectorELNS0_4arch9wavefront6targetE0EEEvT1_,"axG",@progbits,_ZN7rocprim17ROCPRIM_400000_NS6detail17trampoline_kernelINS0_14default_configENS1_25partition_config_selectorILNS1_17partition_subalgoE6EsNS0_10empty_typeEbEEZZNS1_14partition_implILS5_6ELb0ES3_mN6thrust23THRUST_200600_302600_NS6detail15normal_iteratorINSA_10device_ptrIsEEEEPS6_SG_NS0_5tupleIJNSA_16discard_iteratorINSA_11use_defaultEEES6_EEENSH_IJSG_SG_EEES6_PlJNSB_9not_fun_tI7is_trueIsEEEEEE10hipError_tPvRmT3_T4_T5_T6_T7_T9_mT8_P12ihipStream_tbDpT10_ENKUlT_T0_E_clISt17integral_constantIbLb0EES1B_EEDaS16_S17_EUlS16_E_NS1_11comp_targetILNS1_3genE3ELNS1_11target_archE908ELNS1_3gpuE7ELNS1_3repE0EEENS1_30default_config_static_selectorELNS0_4arch9wavefront6targetE0EEEvT1_,comdat
	.protected	_ZN7rocprim17ROCPRIM_400000_NS6detail17trampoline_kernelINS0_14default_configENS1_25partition_config_selectorILNS1_17partition_subalgoE6EsNS0_10empty_typeEbEEZZNS1_14partition_implILS5_6ELb0ES3_mN6thrust23THRUST_200600_302600_NS6detail15normal_iteratorINSA_10device_ptrIsEEEEPS6_SG_NS0_5tupleIJNSA_16discard_iteratorINSA_11use_defaultEEES6_EEENSH_IJSG_SG_EEES6_PlJNSB_9not_fun_tI7is_trueIsEEEEEE10hipError_tPvRmT3_T4_T5_T6_T7_T9_mT8_P12ihipStream_tbDpT10_ENKUlT_T0_E_clISt17integral_constantIbLb0EES1B_EEDaS16_S17_EUlS16_E_NS1_11comp_targetILNS1_3genE3ELNS1_11target_archE908ELNS1_3gpuE7ELNS1_3repE0EEENS1_30default_config_static_selectorELNS0_4arch9wavefront6targetE0EEEvT1_ ; -- Begin function _ZN7rocprim17ROCPRIM_400000_NS6detail17trampoline_kernelINS0_14default_configENS1_25partition_config_selectorILNS1_17partition_subalgoE6EsNS0_10empty_typeEbEEZZNS1_14partition_implILS5_6ELb0ES3_mN6thrust23THRUST_200600_302600_NS6detail15normal_iteratorINSA_10device_ptrIsEEEEPS6_SG_NS0_5tupleIJNSA_16discard_iteratorINSA_11use_defaultEEES6_EEENSH_IJSG_SG_EEES6_PlJNSB_9not_fun_tI7is_trueIsEEEEEE10hipError_tPvRmT3_T4_T5_T6_T7_T9_mT8_P12ihipStream_tbDpT10_ENKUlT_T0_E_clISt17integral_constantIbLb0EES1B_EEDaS16_S17_EUlS16_E_NS1_11comp_targetILNS1_3genE3ELNS1_11target_archE908ELNS1_3gpuE7ELNS1_3repE0EEENS1_30default_config_static_selectorELNS0_4arch9wavefront6targetE0EEEvT1_
	.globl	_ZN7rocprim17ROCPRIM_400000_NS6detail17trampoline_kernelINS0_14default_configENS1_25partition_config_selectorILNS1_17partition_subalgoE6EsNS0_10empty_typeEbEEZZNS1_14partition_implILS5_6ELb0ES3_mN6thrust23THRUST_200600_302600_NS6detail15normal_iteratorINSA_10device_ptrIsEEEEPS6_SG_NS0_5tupleIJNSA_16discard_iteratorINSA_11use_defaultEEES6_EEENSH_IJSG_SG_EEES6_PlJNSB_9not_fun_tI7is_trueIsEEEEEE10hipError_tPvRmT3_T4_T5_T6_T7_T9_mT8_P12ihipStream_tbDpT10_ENKUlT_T0_E_clISt17integral_constantIbLb0EES1B_EEDaS16_S17_EUlS16_E_NS1_11comp_targetILNS1_3genE3ELNS1_11target_archE908ELNS1_3gpuE7ELNS1_3repE0EEENS1_30default_config_static_selectorELNS0_4arch9wavefront6targetE0EEEvT1_
	.p2align	8
	.type	_ZN7rocprim17ROCPRIM_400000_NS6detail17trampoline_kernelINS0_14default_configENS1_25partition_config_selectorILNS1_17partition_subalgoE6EsNS0_10empty_typeEbEEZZNS1_14partition_implILS5_6ELb0ES3_mN6thrust23THRUST_200600_302600_NS6detail15normal_iteratorINSA_10device_ptrIsEEEEPS6_SG_NS0_5tupleIJNSA_16discard_iteratorINSA_11use_defaultEEES6_EEENSH_IJSG_SG_EEES6_PlJNSB_9not_fun_tI7is_trueIsEEEEEE10hipError_tPvRmT3_T4_T5_T6_T7_T9_mT8_P12ihipStream_tbDpT10_ENKUlT_T0_E_clISt17integral_constantIbLb0EES1B_EEDaS16_S17_EUlS16_E_NS1_11comp_targetILNS1_3genE3ELNS1_11target_archE908ELNS1_3gpuE7ELNS1_3repE0EEENS1_30default_config_static_selectorELNS0_4arch9wavefront6targetE0EEEvT1_,@function
_ZN7rocprim17ROCPRIM_400000_NS6detail17trampoline_kernelINS0_14default_configENS1_25partition_config_selectorILNS1_17partition_subalgoE6EsNS0_10empty_typeEbEEZZNS1_14partition_implILS5_6ELb0ES3_mN6thrust23THRUST_200600_302600_NS6detail15normal_iteratorINSA_10device_ptrIsEEEEPS6_SG_NS0_5tupleIJNSA_16discard_iteratorINSA_11use_defaultEEES6_EEENSH_IJSG_SG_EEES6_PlJNSB_9not_fun_tI7is_trueIsEEEEEE10hipError_tPvRmT3_T4_T5_T6_T7_T9_mT8_P12ihipStream_tbDpT10_ENKUlT_T0_E_clISt17integral_constantIbLb0EES1B_EEDaS16_S17_EUlS16_E_NS1_11comp_targetILNS1_3genE3ELNS1_11target_archE908ELNS1_3gpuE7ELNS1_3repE0EEENS1_30default_config_static_selectorELNS0_4arch9wavefront6targetE0EEEvT1_: ; @_ZN7rocprim17ROCPRIM_400000_NS6detail17trampoline_kernelINS0_14default_configENS1_25partition_config_selectorILNS1_17partition_subalgoE6EsNS0_10empty_typeEbEEZZNS1_14partition_implILS5_6ELb0ES3_mN6thrust23THRUST_200600_302600_NS6detail15normal_iteratorINSA_10device_ptrIsEEEEPS6_SG_NS0_5tupleIJNSA_16discard_iteratorINSA_11use_defaultEEES6_EEENSH_IJSG_SG_EEES6_PlJNSB_9not_fun_tI7is_trueIsEEEEEE10hipError_tPvRmT3_T4_T5_T6_T7_T9_mT8_P12ihipStream_tbDpT10_ENKUlT_T0_E_clISt17integral_constantIbLb0EES1B_EEDaS16_S17_EUlS16_E_NS1_11comp_targetILNS1_3genE3ELNS1_11target_archE908ELNS1_3gpuE7ELNS1_3repE0EEENS1_30default_config_static_selectorELNS0_4arch9wavefront6targetE0EEEvT1_
; %bb.0:
	.section	.rodata,"a",@progbits
	.p2align	6, 0x0
	.amdhsa_kernel _ZN7rocprim17ROCPRIM_400000_NS6detail17trampoline_kernelINS0_14default_configENS1_25partition_config_selectorILNS1_17partition_subalgoE6EsNS0_10empty_typeEbEEZZNS1_14partition_implILS5_6ELb0ES3_mN6thrust23THRUST_200600_302600_NS6detail15normal_iteratorINSA_10device_ptrIsEEEEPS6_SG_NS0_5tupleIJNSA_16discard_iteratorINSA_11use_defaultEEES6_EEENSH_IJSG_SG_EEES6_PlJNSB_9not_fun_tI7is_trueIsEEEEEE10hipError_tPvRmT3_T4_T5_T6_T7_T9_mT8_P12ihipStream_tbDpT10_ENKUlT_T0_E_clISt17integral_constantIbLb0EES1B_EEDaS16_S17_EUlS16_E_NS1_11comp_targetILNS1_3genE3ELNS1_11target_archE908ELNS1_3gpuE7ELNS1_3repE0EEENS1_30default_config_static_selectorELNS0_4arch9wavefront6targetE0EEEvT1_
		.amdhsa_group_segment_fixed_size 0
		.amdhsa_private_segment_fixed_size 0
		.amdhsa_kernarg_size 120
		.amdhsa_user_sgpr_count 2
		.amdhsa_user_sgpr_dispatch_ptr 0
		.amdhsa_user_sgpr_queue_ptr 0
		.amdhsa_user_sgpr_kernarg_segment_ptr 1
		.amdhsa_user_sgpr_dispatch_id 0
		.amdhsa_user_sgpr_private_segment_size 0
		.amdhsa_wavefront_size32 1
		.amdhsa_uses_dynamic_stack 0
		.amdhsa_enable_private_segment 0
		.amdhsa_system_sgpr_workgroup_id_x 1
		.amdhsa_system_sgpr_workgroup_id_y 0
		.amdhsa_system_sgpr_workgroup_id_z 0
		.amdhsa_system_sgpr_workgroup_info 0
		.amdhsa_system_vgpr_workitem_id 0
		.amdhsa_next_free_vgpr 1
		.amdhsa_next_free_sgpr 1
		.amdhsa_reserve_vcc 0
		.amdhsa_float_round_mode_32 0
		.amdhsa_float_round_mode_16_64 0
		.amdhsa_float_denorm_mode_32 3
		.amdhsa_float_denorm_mode_16_64 3
		.amdhsa_fp16_overflow 0
		.amdhsa_workgroup_processor_mode 1
		.amdhsa_memory_ordered 1
		.amdhsa_forward_progress 1
		.amdhsa_inst_pref_size 0
		.amdhsa_round_robin_scheduling 0
		.amdhsa_exception_fp_ieee_invalid_op 0
		.amdhsa_exception_fp_denorm_src 0
		.amdhsa_exception_fp_ieee_div_zero 0
		.amdhsa_exception_fp_ieee_overflow 0
		.amdhsa_exception_fp_ieee_underflow 0
		.amdhsa_exception_fp_ieee_inexact 0
		.amdhsa_exception_int_div_zero 0
	.end_amdhsa_kernel
	.section	.text._ZN7rocprim17ROCPRIM_400000_NS6detail17trampoline_kernelINS0_14default_configENS1_25partition_config_selectorILNS1_17partition_subalgoE6EsNS0_10empty_typeEbEEZZNS1_14partition_implILS5_6ELb0ES3_mN6thrust23THRUST_200600_302600_NS6detail15normal_iteratorINSA_10device_ptrIsEEEEPS6_SG_NS0_5tupleIJNSA_16discard_iteratorINSA_11use_defaultEEES6_EEENSH_IJSG_SG_EEES6_PlJNSB_9not_fun_tI7is_trueIsEEEEEE10hipError_tPvRmT3_T4_T5_T6_T7_T9_mT8_P12ihipStream_tbDpT10_ENKUlT_T0_E_clISt17integral_constantIbLb0EES1B_EEDaS16_S17_EUlS16_E_NS1_11comp_targetILNS1_3genE3ELNS1_11target_archE908ELNS1_3gpuE7ELNS1_3repE0EEENS1_30default_config_static_selectorELNS0_4arch9wavefront6targetE0EEEvT1_,"axG",@progbits,_ZN7rocprim17ROCPRIM_400000_NS6detail17trampoline_kernelINS0_14default_configENS1_25partition_config_selectorILNS1_17partition_subalgoE6EsNS0_10empty_typeEbEEZZNS1_14partition_implILS5_6ELb0ES3_mN6thrust23THRUST_200600_302600_NS6detail15normal_iteratorINSA_10device_ptrIsEEEEPS6_SG_NS0_5tupleIJNSA_16discard_iteratorINSA_11use_defaultEEES6_EEENSH_IJSG_SG_EEES6_PlJNSB_9not_fun_tI7is_trueIsEEEEEE10hipError_tPvRmT3_T4_T5_T6_T7_T9_mT8_P12ihipStream_tbDpT10_ENKUlT_T0_E_clISt17integral_constantIbLb0EES1B_EEDaS16_S17_EUlS16_E_NS1_11comp_targetILNS1_3genE3ELNS1_11target_archE908ELNS1_3gpuE7ELNS1_3repE0EEENS1_30default_config_static_selectorELNS0_4arch9wavefront6targetE0EEEvT1_,comdat
.Lfunc_end2304:
	.size	_ZN7rocprim17ROCPRIM_400000_NS6detail17trampoline_kernelINS0_14default_configENS1_25partition_config_selectorILNS1_17partition_subalgoE6EsNS0_10empty_typeEbEEZZNS1_14partition_implILS5_6ELb0ES3_mN6thrust23THRUST_200600_302600_NS6detail15normal_iteratorINSA_10device_ptrIsEEEEPS6_SG_NS0_5tupleIJNSA_16discard_iteratorINSA_11use_defaultEEES6_EEENSH_IJSG_SG_EEES6_PlJNSB_9not_fun_tI7is_trueIsEEEEEE10hipError_tPvRmT3_T4_T5_T6_T7_T9_mT8_P12ihipStream_tbDpT10_ENKUlT_T0_E_clISt17integral_constantIbLb0EES1B_EEDaS16_S17_EUlS16_E_NS1_11comp_targetILNS1_3genE3ELNS1_11target_archE908ELNS1_3gpuE7ELNS1_3repE0EEENS1_30default_config_static_selectorELNS0_4arch9wavefront6targetE0EEEvT1_, .Lfunc_end2304-_ZN7rocprim17ROCPRIM_400000_NS6detail17trampoline_kernelINS0_14default_configENS1_25partition_config_selectorILNS1_17partition_subalgoE6EsNS0_10empty_typeEbEEZZNS1_14partition_implILS5_6ELb0ES3_mN6thrust23THRUST_200600_302600_NS6detail15normal_iteratorINSA_10device_ptrIsEEEEPS6_SG_NS0_5tupleIJNSA_16discard_iteratorINSA_11use_defaultEEES6_EEENSH_IJSG_SG_EEES6_PlJNSB_9not_fun_tI7is_trueIsEEEEEE10hipError_tPvRmT3_T4_T5_T6_T7_T9_mT8_P12ihipStream_tbDpT10_ENKUlT_T0_E_clISt17integral_constantIbLb0EES1B_EEDaS16_S17_EUlS16_E_NS1_11comp_targetILNS1_3genE3ELNS1_11target_archE908ELNS1_3gpuE7ELNS1_3repE0EEENS1_30default_config_static_selectorELNS0_4arch9wavefront6targetE0EEEvT1_
                                        ; -- End function
	.set _ZN7rocprim17ROCPRIM_400000_NS6detail17trampoline_kernelINS0_14default_configENS1_25partition_config_selectorILNS1_17partition_subalgoE6EsNS0_10empty_typeEbEEZZNS1_14partition_implILS5_6ELb0ES3_mN6thrust23THRUST_200600_302600_NS6detail15normal_iteratorINSA_10device_ptrIsEEEEPS6_SG_NS0_5tupleIJNSA_16discard_iteratorINSA_11use_defaultEEES6_EEENSH_IJSG_SG_EEES6_PlJNSB_9not_fun_tI7is_trueIsEEEEEE10hipError_tPvRmT3_T4_T5_T6_T7_T9_mT8_P12ihipStream_tbDpT10_ENKUlT_T0_E_clISt17integral_constantIbLb0EES1B_EEDaS16_S17_EUlS16_E_NS1_11comp_targetILNS1_3genE3ELNS1_11target_archE908ELNS1_3gpuE7ELNS1_3repE0EEENS1_30default_config_static_selectorELNS0_4arch9wavefront6targetE0EEEvT1_.num_vgpr, 0
	.set _ZN7rocprim17ROCPRIM_400000_NS6detail17trampoline_kernelINS0_14default_configENS1_25partition_config_selectorILNS1_17partition_subalgoE6EsNS0_10empty_typeEbEEZZNS1_14partition_implILS5_6ELb0ES3_mN6thrust23THRUST_200600_302600_NS6detail15normal_iteratorINSA_10device_ptrIsEEEEPS6_SG_NS0_5tupleIJNSA_16discard_iteratorINSA_11use_defaultEEES6_EEENSH_IJSG_SG_EEES6_PlJNSB_9not_fun_tI7is_trueIsEEEEEE10hipError_tPvRmT3_T4_T5_T6_T7_T9_mT8_P12ihipStream_tbDpT10_ENKUlT_T0_E_clISt17integral_constantIbLb0EES1B_EEDaS16_S17_EUlS16_E_NS1_11comp_targetILNS1_3genE3ELNS1_11target_archE908ELNS1_3gpuE7ELNS1_3repE0EEENS1_30default_config_static_selectorELNS0_4arch9wavefront6targetE0EEEvT1_.num_agpr, 0
	.set _ZN7rocprim17ROCPRIM_400000_NS6detail17trampoline_kernelINS0_14default_configENS1_25partition_config_selectorILNS1_17partition_subalgoE6EsNS0_10empty_typeEbEEZZNS1_14partition_implILS5_6ELb0ES3_mN6thrust23THRUST_200600_302600_NS6detail15normal_iteratorINSA_10device_ptrIsEEEEPS6_SG_NS0_5tupleIJNSA_16discard_iteratorINSA_11use_defaultEEES6_EEENSH_IJSG_SG_EEES6_PlJNSB_9not_fun_tI7is_trueIsEEEEEE10hipError_tPvRmT3_T4_T5_T6_T7_T9_mT8_P12ihipStream_tbDpT10_ENKUlT_T0_E_clISt17integral_constantIbLb0EES1B_EEDaS16_S17_EUlS16_E_NS1_11comp_targetILNS1_3genE3ELNS1_11target_archE908ELNS1_3gpuE7ELNS1_3repE0EEENS1_30default_config_static_selectorELNS0_4arch9wavefront6targetE0EEEvT1_.numbered_sgpr, 0
	.set _ZN7rocprim17ROCPRIM_400000_NS6detail17trampoline_kernelINS0_14default_configENS1_25partition_config_selectorILNS1_17partition_subalgoE6EsNS0_10empty_typeEbEEZZNS1_14partition_implILS5_6ELb0ES3_mN6thrust23THRUST_200600_302600_NS6detail15normal_iteratorINSA_10device_ptrIsEEEEPS6_SG_NS0_5tupleIJNSA_16discard_iteratorINSA_11use_defaultEEES6_EEENSH_IJSG_SG_EEES6_PlJNSB_9not_fun_tI7is_trueIsEEEEEE10hipError_tPvRmT3_T4_T5_T6_T7_T9_mT8_P12ihipStream_tbDpT10_ENKUlT_T0_E_clISt17integral_constantIbLb0EES1B_EEDaS16_S17_EUlS16_E_NS1_11comp_targetILNS1_3genE3ELNS1_11target_archE908ELNS1_3gpuE7ELNS1_3repE0EEENS1_30default_config_static_selectorELNS0_4arch9wavefront6targetE0EEEvT1_.num_named_barrier, 0
	.set _ZN7rocprim17ROCPRIM_400000_NS6detail17trampoline_kernelINS0_14default_configENS1_25partition_config_selectorILNS1_17partition_subalgoE6EsNS0_10empty_typeEbEEZZNS1_14partition_implILS5_6ELb0ES3_mN6thrust23THRUST_200600_302600_NS6detail15normal_iteratorINSA_10device_ptrIsEEEEPS6_SG_NS0_5tupleIJNSA_16discard_iteratorINSA_11use_defaultEEES6_EEENSH_IJSG_SG_EEES6_PlJNSB_9not_fun_tI7is_trueIsEEEEEE10hipError_tPvRmT3_T4_T5_T6_T7_T9_mT8_P12ihipStream_tbDpT10_ENKUlT_T0_E_clISt17integral_constantIbLb0EES1B_EEDaS16_S17_EUlS16_E_NS1_11comp_targetILNS1_3genE3ELNS1_11target_archE908ELNS1_3gpuE7ELNS1_3repE0EEENS1_30default_config_static_selectorELNS0_4arch9wavefront6targetE0EEEvT1_.private_seg_size, 0
	.set _ZN7rocprim17ROCPRIM_400000_NS6detail17trampoline_kernelINS0_14default_configENS1_25partition_config_selectorILNS1_17partition_subalgoE6EsNS0_10empty_typeEbEEZZNS1_14partition_implILS5_6ELb0ES3_mN6thrust23THRUST_200600_302600_NS6detail15normal_iteratorINSA_10device_ptrIsEEEEPS6_SG_NS0_5tupleIJNSA_16discard_iteratorINSA_11use_defaultEEES6_EEENSH_IJSG_SG_EEES6_PlJNSB_9not_fun_tI7is_trueIsEEEEEE10hipError_tPvRmT3_T4_T5_T6_T7_T9_mT8_P12ihipStream_tbDpT10_ENKUlT_T0_E_clISt17integral_constantIbLb0EES1B_EEDaS16_S17_EUlS16_E_NS1_11comp_targetILNS1_3genE3ELNS1_11target_archE908ELNS1_3gpuE7ELNS1_3repE0EEENS1_30default_config_static_selectorELNS0_4arch9wavefront6targetE0EEEvT1_.uses_vcc, 0
	.set _ZN7rocprim17ROCPRIM_400000_NS6detail17trampoline_kernelINS0_14default_configENS1_25partition_config_selectorILNS1_17partition_subalgoE6EsNS0_10empty_typeEbEEZZNS1_14partition_implILS5_6ELb0ES3_mN6thrust23THRUST_200600_302600_NS6detail15normal_iteratorINSA_10device_ptrIsEEEEPS6_SG_NS0_5tupleIJNSA_16discard_iteratorINSA_11use_defaultEEES6_EEENSH_IJSG_SG_EEES6_PlJNSB_9not_fun_tI7is_trueIsEEEEEE10hipError_tPvRmT3_T4_T5_T6_T7_T9_mT8_P12ihipStream_tbDpT10_ENKUlT_T0_E_clISt17integral_constantIbLb0EES1B_EEDaS16_S17_EUlS16_E_NS1_11comp_targetILNS1_3genE3ELNS1_11target_archE908ELNS1_3gpuE7ELNS1_3repE0EEENS1_30default_config_static_selectorELNS0_4arch9wavefront6targetE0EEEvT1_.uses_flat_scratch, 0
	.set _ZN7rocprim17ROCPRIM_400000_NS6detail17trampoline_kernelINS0_14default_configENS1_25partition_config_selectorILNS1_17partition_subalgoE6EsNS0_10empty_typeEbEEZZNS1_14partition_implILS5_6ELb0ES3_mN6thrust23THRUST_200600_302600_NS6detail15normal_iteratorINSA_10device_ptrIsEEEEPS6_SG_NS0_5tupleIJNSA_16discard_iteratorINSA_11use_defaultEEES6_EEENSH_IJSG_SG_EEES6_PlJNSB_9not_fun_tI7is_trueIsEEEEEE10hipError_tPvRmT3_T4_T5_T6_T7_T9_mT8_P12ihipStream_tbDpT10_ENKUlT_T0_E_clISt17integral_constantIbLb0EES1B_EEDaS16_S17_EUlS16_E_NS1_11comp_targetILNS1_3genE3ELNS1_11target_archE908ELNS1_3gpuE7ELNS1_3repE0EEENS1_30default_config_static_selectorELNS0_4arch9wavefront6targetE0EEEvT1_.has_dyn_sized_stack, 0
	.set _ZN7rocprim17ROCPRIM_400000_NS6detail17trampoline_kernelINS0_14default_configENS1_25partition_config_selectorILNS1_17partition_subalgoE6EsNS0_10empty_typeEbEEZZNS1_14partition_implILS5_6ELb0ES3_mN6thrust23THRUST_200600_302600_NS6detail15normal_iteratorINSA_10device_ptrIsEEEEPS6_SG_NS0_5tupleIJNSA_16discard_iteratorINSA_11use_defaultEEES6_EEENSH_IJSG_SG_EEES6_PlJNSB_9not_fun_tI7is_trueIsEEEEEE10hipError_tPvRmT3_T4_T5_T6_T7_T9_mT8_P12ihipStream_tbDpT10_ENKUlT_T0_E_clISt17integral_constantIbLb0EES1B_EEDaS16_S17_EUlS16_E_NS1_11comp_targetILNS1_3genE3ELNS1_11target_archE908ELNS1_3gpuE7ELNS1_3repE0EEENS1_30default_config_static_selectorELNS0_4arch9wavefront6targetE0EEEvT1_.has_recursion, 0
	.set _ZN7rocprim17ROCPRIM_400000_NS6detail17trampoline_kernelINS0_14default_configENS1_25partition_config_selectorILNS1_17partition_subalgoE6EsNS0_10empty_typeEbEEZZNS1_14partition_implILS5_6ELb0ES3_mN6thrust23THRUST_200600_302600_NS6detail15normal_iteratorINSA_10device_ptrIsEEEEPS6_SG_NS0_5tupleIJNSA_16discard_iteratorINSA_11use_defaultEEES6_EEENSH_IJSG_SG_EEES6_PlJNSB_9not_fun_tI7is_trueIsEEEEEE10hipError_tPvRmT3_T4_T5_T6_T7_T9_mT8_P12ihipStream_tbDpT10_ENKUlT_T0_E_clISt17integral_constantIbLb0EES1B_EEDaS16_S17_EUlS16_E_NS1_11comp_targetILNS1_3genE3ELNS1_11target_archE908ELNS1_3gpuE7ELNS1_3repE0EEENS1_30default_config_static_selectorELNS0_4arch9wavefront6targetE0EEEvT1_.has_indirect_call, 0
	.section	.AMDGPU.csdata,"",@progbits
; Kernel info:
; codeLenInByte = 0
; TotalNumSgprs: 0
; NumVgprs: 0
; ScratchSize: 0
; MemoryBound: 0
; FloatMode: 240
; IeeeMode: 1
; LDSByteSize: 0 bytes/workgroup (compile time only)
; SGPRBlocks: 0
; VGPRBlocks: 0
; NumSGPRsForWavesPerEU: 1
; NumVGPRsForWavesPerEU: 1
; Occupancy: 16
; WaveLimiterHint : 0
; COMPUTE_PGM_RSRC2:SCRATCH_EN: 0
; COMPUTE_PGM_RSRC2:USER_SGPR: 2
; COMPUTE_PGM_RSRC2:TRAP_HANDLER: 0
; COMPUTE_PGM_RSRC2:TGID_X_EN: 1
; COMPUTE_PGM_RSRC2:TGID_Y_EN: 0
; COMPUTE_PGM_RSRC2:TGID_Z_EN: 0
; COMPUTE_PGM_RSRC2:TIDIG_COMP_CNT: 0
	.section	.text._ZN7rocprim17ROCPRIM_400000_NS6detail17trampoline_kernelINS0_14default_configENS1_25partition_config_selectorILNS1_17partition_subalgoE6EsNS0_10empty_typeEbEEZZNS1_14partition_implILS5_6ELb0ES3_mN6thrust23THRUST_200600_302600_NS6detail15normal_iteratorINSA_10device_ptrIsEEEEPS6_SG_NS0_5tupleIJNSA_16discard_iteratorINSA_11use_defaultEEES6_EEENSH_IJSG_SG_EEES6_PlJNSB_9not_fun_tI7is_trueIsEEEEEE10hipError_tPvRmT3_T4_T5_T6_T7_T9_mT8_P12ihipStream_tbDpT10_ENKUlT_T0_E_clISt17integral_constantIbLb0EES1B_EEDaS16_S17_EUlS16_E_NS1_11comp_targetILNS1_3genE2ELNS1_11target_archE906ELNS1_3gpuE6ELNS1_3repE0EEENS1_30default_config_static_selectorELNS0_4arch9wavefront6targetE0EEEvT1_,"axG",@progbits,_ZN7rocprim17ROCPRIM_400000_NS6detail17trampoline_kernelINS0_14default_configENS1_25partition_config_selectorILNS1_17partition_subalgoE6EsNS0_10empty_typeEbEEZZNS1_14partition_implILS5_6ELb0ES3_mN6thrust23THRUST_200600_302600_NS6detail15normal_iteratorINSA_10device_ptrIsEEEEPS6_SG_NS0_5tupleIJNSA_16discard_iteratorINSA_11use_defaultEEES6_EEENSH_IJSG_SG_EEES6_PlJNSB_9not_fun_tI7is_trueIsEEEEEE10hipError_tPvRmT3_T4_T5_T6_T7_T9_mT8_P12ihipStream_tbDpT10_ENKUlT_T0_E_clISt17integral_constantIbLb0EES1B_EEDaS16_S17_EUlS16_E_NS1_11comp_targetILNS1_3genE2ELNS1_11target_archE906ELNS1_3gpuE6ELNS1_3repE0EEENS1_30default_config_static_selectorELNS0_4arch9wavefront6targetE0EEEvT1_,comdat
	.protected	_ZN7rocprim17ROCPRIM_400000_NS6detail17trampoline_kernelINS0_14default_configENS1_25partition_config_selectorILNS1_17partition_subalgoE6EsNS0_10empty_typeEbEEZZNS1_14partition_implILS5_6ELb0ES3_mN6thrust23THRUST_200600_302600_NS6detail15normal_iteratorINSA_10device_ptrIsEEEEPS6_SG_NS0_5tupleIJNSA_16discard_iteratorINSA_11use_defaultEEES6_EEENSH_IJSG_SG_EEES6_PlJNSB_9not_fun_tI7is_trueIsEEEEEE10hipError_tPvRmT3_T4_T5_T6_T7_T9_mT8_P12ihipStream_tbDpT10_ENKUlT_T0_E_clISt17integral_constantIbLb0EES1B_EEDaS16_S17_EUlS16_E_NS1_11comp_targetILNS1_3genE2ELNS1_11target_archE906ELNS1_3gpuE6ELNS1_3repE0EEENS1_30default_config_static_selectorELNS0_4arch9wavefront6targetE0EEEvT1_ ; -- Begin function _ZN7rocprim17ROCPRIM_400000_NS6detail17trampoline_kernelINS0_14default_configENS1_25partition_config_selectorILNS1_17partition_subalgoE6EsNS0_10empty_typeEbEEZZNS1_14partition_implILS5_6ELb0ES3_mN6thrust23THRUST_200600_302600_NS6detail15normal_iteratorINSA_10device_ptrIsEEEEPS6_SG_NS0_5tupleIJNSA_16discard_iteratorINSA_11use_defaultEEES6_EEENSH_IJSG_SG_EEES6_PlJNSB_9not_fun_tI7is_trueIsEEEEEE10hipError_tPvRmT3_T4_T5_T6_T7_T9_mT8_P12ihipStream_tbDpT10_ENKUlT_T0_E_clISt17integral_constantIbLb0EES1B_EEDaS16_S17_EUlS16_E_NS1_11comp_targetILNS1_3genE2ELNS1_11target_archE906ELNS1_3gpuE6ELNS1_3repE0EEENS1_30default_config_static_selectorELNS0_4arch9wavefront6targetE0EEEvT1_
	.globl	_ZN7rocprim17ROCPRIM_400000_NS6detail17trampoline_kernelINS0_14default_configENS1_25partition_config_selectorILNS1_17partition_subalgoE6EsNS0_10empty_typeEbEEZZNS1_14partition_implILS5_6ELb0ES3_mN6thrust23THRUST_200600_302600_NS6detail15normal_iteratorINSA_10device_ptrIsEEEEPS6_SG_NS0_5tupleIJNSA_16discard_iteratorINSA_11use_defaultEEES6_EEENSH_IJSG_SG_EEES6_PlJNSB_9not_fun_tI7is_trueIsEEEEEE10hipError_tPvRmT3_T4_T5_T6_T7_T9_mT8_P12ihipStream_tbDpT10_ENKUlT_T0_E_clISt17integral_constantIbLb0EES1B_EEDaS16_S17_EUlS16_E_NS1_11comp_targetILNS1_3genE2ELNS1_11target_archE906ELNS1_3gpuE6ELNS1_3repE0EEENS1_30default_config_static_selectorELNS0_4arch9wavefront6targetE0EEEvT1_
	.p2align	8
	.type	_ZN7rocprim17ROCPRIM_400000_NS6detail17trampoline_kernelINS0_14default_configENS1_25partition_config_selectorILNS1_17partition_subalgoE6EsNS0_10empty_typeEbEEZZNS1_14partition_implILS5_6ELb0ES3_mN6thrust23THRUST_200600_302600_NS6detail15normal_iteratorINSA_10device_ptrIsEEEEPS6_SG_NS0_5tupleIJNSA_16discard_iteratorINSA_11use_defaultEEES6_EEENSH_IJSG_SG_EEES6_PlJNSB_9not_fun_tI7is_trueIsEEEEEE10hipError_tPvRmT3_T4_T5_T6_T7_T9_mT8_P12ihipStream_tbDpT10_ENKUlT_T0_E_clISt17integral_constantIbLb0EES1B_EEDaS16_S17_EUlS16_E_NS1_11comp_targetILNS1_3genE2ELNS1_11target_archE906ELNS1_3gpuE6ELNS1_3repE0EEENS1_30default_config_static_selectorELNS0_4arch9wavefront6targetE0EEEvT1_,@function
_ZN7rocprim17ROCPRIM_400000_NS6detail17trampoline_kernelINS0_14default_configENS1_25partition_config_selectorILNS1_17partition_subalgoE6EsNS0_10empty_typeEbEEZZNS1_14partition_implILS5_6ELb0ES3_mN6thrust23THRUST_200600_302600_NS6detail15normal_iteratorINSA_10device_ptrIsEEEEPS6_SG_NS0_5tupleIJNSA_16discard_iteratorINSA_11use_defaultEEES6_EEENSH_IJSG_SG_EEES6_PlJNSB_9not_fun_tI7is_trueIsEEEEEE10hipError_tPvRmT3_T4_T5_T6_T7_T9_mT8_P12ihipStream_tbDpT10_ENKUlT_T0_E_clISt17integral_constantIbLb0EES1B_EEDaS16_S17_EUlS16_E_NS1_11comp_targetILNS1_3genE2ELNS1_11target_archE906ELNS1_3gpuE6ELNS1_3repE0EEENS1_30default_config_static_selectorELNS0_4arch9wavefront6targetE0EEEvT1_: ; @_ZN7rocprim17ROCPRIM_400000_NS6detail17trampoline_kernelINS0_14default_configENS1_25partition_config_selectorILNS1_17partition_subalgoE6EsNS0_10empty_typeEbEEZZNS1_14partition_implILS5_6ELb0ES3_mN6thrust23THRUST_200600_302600_NS6detail15normal_iteratorINSA_10device_ptrIsEEEEPS6_SG_NS0_5tupleIJNSA_16discard_iteratorINSA_11use_defaultEEES6_EEENSH_IJSG_SG_EEES6_PlJNSB_9not_fun_tI7is_trueIsEEEEEE10hipError_tPvRmT3_T4_T5_T6_T7_T9_mT8_P12ihipStream_tbDpT10_ENKUlT_T0_E_clISt17integral_constantIbLb0EES1B_EEDaS16_S17_EUlS16_E_NS1_11comp_targetILNS1_3genE2ELNS1_11target_archE906ELNS1_3gpuE6ELNS1_3repE0EEENS1_30default_config_static_selectorELNS0_4arch9wavefront6targetE0EEEvT1_
; %bb.0:
	.section	.rodata,"a",@progbits
	.p2align	6, 0x0
	.amdhsa_kernel _ZN7rocprim17ROCPRIM_400000_NS6detail17trampoline_kernelINS0_14default_configENS1_25partition_config_selectorILNS1_17partition_subalgoE6EsNS0_10empty_typeEbEEZZNS1_14partition_implILS5_6ELb0ES3_mN6thrust23THRUST_200600_302600_NS6detail15normal_iteratorINSA_10device_ptrIsEEEEPS6_SG_NS0_5tupleIJNSA_16discard_iteratorINSA_11use_defaultEEES6_EEENSH_IJSG_SG_EEES6_PlJNSB_9not_fun_tI7is_trueIsEEEEEE10hipError_tPvRmT3_T4_T5_T6_T7_T9_mT8_P12ihipStream_tbDpT10_ENKUlT_T0_E_clISt17integral_constantIbLb0EES1B_EEDaS16_S17_EUlS16_E_NS1_11comp_targetILNS1_3genE2ELNS1_11target_archE906ELNS1_3gpuE6ELNS1_3repE0EEENS1_30default_config_static_selectorELNS0_4arch9wavefront6targetE0EEEvT1_
		.amdhsa_group_segment_fixed_size 0
		.amdhsa_private_segment_fixed_size 0
		.amdhsa_kernarg_size 120
		.amdhsa_user_sgpr_count 2
		.amdhsa_user_sgpr_dispatch_ptr 0
		.amdhsa_user_sgpr_queue_ptr 0
		.amdhsa_user_sgpr_kernarg_segment_ptr 1
		.amdhsa_user_sgpr_dispatch_id 0
		.amdhsa_user_sgpr_private_segment_size 0
		.amdhsa_wavefront_size32 1
		.amdhsa_uses_dynamic_stack 0
		.amdhsa_enable_private_segment 0
		.amdhsa_system_sgpr_workgroup_id_x 1
		.amdhsa_system_sgpr_workgroup_id_y 0
		.amdhsa_system_sgpr_workgroup_id_z 0
		.amdhsa_system_sgpr_workgroup_info 0
		.amdhsa_system_vgpr_workitem_id 0
		.amdhsa_next_free_vgpr 1
		.amdhsa_next_free_sgpr 1
		.amdhsa_reserve_vcc 0
		.amdhsa_float_round_mode_32 0
		.amdhsa_float_round_mode_16_64 0
		.amdhsa_float_denorm_mode_32 3
		.amdhsa_float_denorm_mode_16_64 3
		.amdhsa_fp16_overflow 0
		.amdhsa_workgroup_processor_mode 1
		.amdhsa_memory_ordered 1
		.amdhsa_forward_progress 1
		.amdhsa_inst_pref_size 0
		.amdhsa_round_robin_scheduling 0
		.amdhsa_exception_fp_ieee_invalid_op 0
		.amdhsa_exception_fp_denorm_src 0
		.amdhsa_exception_fp_ieee_div_zero 0
		.amdhsa_exception_fp_ieee_overflow 0
		.amdhsa_exception_fp_ieee_underflow 0
		.amdhsa_exception_fp_ieee_inexact 0
		.amdhsa_exception_int_div_zero 0
	.end_amdhsa_kernel
	.section	.text._ZN7rocprim17ROCPRIM_400000_NS6detail17trampoline_kernelINS0_14default_configENS1_25partition_config_selectorILNS1_17partition_subalgoE6EsNS0_10empty_typeEbEEZZNS1_14partition_implILS5_6ELb0ES3_mN6thrust23THRUST_200600_302600_NS6detail15normal_iteratorINSA_10device_ptrIsEEEEPS6_SG_NS0_5tupleIJNSA_16discard_iteratorINSA_11use_defaultEEES6_EEENSH_IJSG_SG_EEES6_PlJNSB_9not_fun_tI7is_trueIsEEEEEE10hipError_tPvRmT3_T4_T5_T6_T7_T9_mT8_P12ihipStream_tbDpT10_ENKUlT_T0_E_clISt17integral_constantIbLb0EES1B_EEDaS16_S17_EUlS16_E_NS1_11comp_targetILNS1_3genE2ELNS1_11target_archE906ELNS1_3gpuE6ELNS1_3repE0EEENS1_30default_config_static_selectorELNS0_4arch9wavefront6targetE0EEEvT1_,"axG",@progbits,_ZN7rocprim17ROCPRIM_400000_NS6detail17trampoline_kernelINS0_14default_configENS1_25partition_config_selectorILNS1_17partition_subalgoE6EsNS0_10empty_typeEbEEZZNS1_14partition_implILS5_6ELb0ES3_mN6thrust23THRUST_200600_302600_NS6detail15normal_iteratorINSA_10device_ptrIsEEEEPS6_SG_NS0_5tupleIJNSA_16discard_iteratorINSA_11use_defaultEEES6_EEENSH_IJSG_SG_EEES6_PlJNSB_9not_fun_tI7is_trueIsEEEEEE10hipError_tPvRmT3_T4_T5_T6_T7_T9_mT8_P12ihipStream_tbDpT10_ENKUlT_T0_E_clISt17integral_constantIbLb0EES1B_EEDaS16_S17_EUlS16_E_NS1_11comp_targetILNS1_3genE2ELNS1_11target_archE906ELNS1_3gpuE6ELNS1_3repE0EEENS1_30default_config_static_selectorELNS0_4arch9wavefront6targetE0EEEvT1_,comdat
.Lfunc_end2305:
	.size	_ZN7rocprim17ROCPRIM_400000_NS6detail17trampoline_kernelINS0_14default_configENS1_25partition_config_selectorILNS1_17partition_subalgoE6EsNS0_10empty_typeEbEEZZNS1_14partition_implILS5_6ELb0ES3_mN6thrust23THRUST_200600_302600_NS6detail15normal_iteratorINSA_10device_ptrIsEEEEPS6_SG_NS0_5tupleIJNSA_16discard_iteratorINSA_11use_defaultEEES6_EEENSH_IJSG_SG_EEES6_PlJNSB_9not_fun_tI7is_trueIsEEEEEE10hipError_tPvRmT3_T4_T5_T6_T7_T9_mT8_P12ihipStream_tbDpT10_ENKUlT_T0_E_clISt17integral_constantIbLb0EES1B_EEDaS16_S17_EUlS16_E_NS1_11comp_targetILNS1_3genE2ELNS1_11target_archE906ELNS1_3gpuE6ELNS1_3repE0EEENS1_30default_config_static_selectorELNS0_4arch9wavefront6targetE0EEEvT1_, .Lfunc_end2305-_ZN7rocprim17ROCPRIM_400000_NS6detail17trampoline_kernelINS0_14default_configENS1_25partition_config_selectorILNS1_17partition_subalgoE6EsNS0_10empty_typeEbEEZZNS1_14partition_implILS5_6ELb0ES3_mN6thrust23THRUST_200600_302600_NS6detail15normal_iteratorINSA_10device_ptrIsEEEEPS6_SG_NS0_5tupleIJNSA_16discard_iteratorINSA_11use_defaultEEES6_EEENSH_IJSG_SG_EEES6_PlJNSB_9not_fun_tI7is_trueIsEEEEEE10hipError_tPvRmT3_T4_T5_T6_T7_T9_mT8_P12ihipStream_tbDpT10_ENKUlT_T0_E_clISt17integral_constantIbLb0EES1B_EEDaS16_S17_EUlS16_E_NS1_11comp_targetILNS1_3genE2ELNS1_11target_archE906ELNS1_3gpuE6ELNS1_3repE0EEENS1_30default_config_static_selectorELNS0_4arch9wavefront6targetE0EEEvT1_
                                        ; -- End function
	.set _ZN7rocprim17ROCPRIM_400000_NS6detail17trampoline_kernelINS0_14default_configENS1_25partition_config_selectorILNS1_17partition_subalgoE6EsNS0_10empty_typeEbEEZZNS1_14partition_implILS5_6ELb0ES3_mN6thrust23THRUST_200600_302600_NS6detail15normal_iteratorINSA_10device_ptrIsEEEEPS6_SG_NS0_5tupleIJNSA_16discard_iteratorINSA_11use_defaultEEES6_EEENSH_IJSG_SG_EEES6_PlJNSB_9not_fun_tI7is_trueIsEEEEEE10hipError_tPvRmT3_T4_T5_T6_T7_T9_mT8_P12ihipStream_tbDpT10_ENKUlT_T0_E_clISt17integral_constantIbLb0EES1B_EEDaS16_S17_EUlS16_E_NS1_11comp_targetILNS1_3genE2ELNS1_11target_archE906ELNS1_3gpuE6ELNS1_3repE0EEENS1_30default_config_static_selectorELNS0_4arch9wavefront6targetE0EEEvT1_.num_vgpr, 0
	.set _ZN7rocprim17ROCPRIM_400000_NS6detail17trampoline_kernelINS0_14default_configENS1_25partition_config_selectorILNS1_17partition_subalgoE6EsNS0_10empty_typeEbEEZZNS1_14partition_implILS5_6ELb0ES3_mN6thrust23THRUST_200600_302600_NS6detail15normal_iteratorINSA_10device_ptrIsEEEEPS6_SG_NS0_5tupleIJNSA_16discard_iteratorINSA_11use_defaultEEES6_EEENSH_IJSG_SG_EEES6_PlJNSB_9not_fun_tI7is_trueIsEEEEEE10hipError_tPvRmT3_T4_T5_T6_T7_T9_mT8_P12ihipStream_tbDpT10_ENKUlT_T0_E_clISt17integral_constantIbLb0EES1B_EEDaS16_S17_EUlS16_E_NS1_11comp_targetILNS1_3genE2ELNS1_11target_archE906ELNS1_3gpuE6ELNS1_3repE0EEENS1_30default_config_static_selectorELNS0_4arch9wavefront6targetE0EEEvT1_.num_agpr, 0
	.set _ZN7rocprim17ROCPRIM_400000_NS6detail17trampoline_kernelINS0_14default_configENS1_25partition_config_selectorILNS1_17partition_subalgoE6EsNS0_10empty_typeEbEEZZNS1_14partition_implILS5_6ELb0ES3_mN6thrust23THRUST_200600_302600_NS6detail15normal_iteratorINSA_10device_ptrIsEEEEPS6_SG_NS0_5tupleIJNSA_16discard_iteratorINSA_11use_defaultEEES6_EEENSH_IJSG_SG_EEES6_PlJNSB_9not_fun_tI7is_trueIsEEEEEE10hipError_tPvRmT3_T4_T5_T6_T7_T9_mT8_P12ihipStream_tbDpT10_ENKUlT_T0_E_clISt17integral_constantIbLb0EES1B_EEDaS16_S17_EUlS16_E_NS1_11comp_targetILNS1_3genE2ELNS1_11target_archE906ELNS1_3gpuE6ELNS1_3repE0EEENS1_30default_config_static_selectorELNS0_4arch9wavefront6targetE0EEEvT1_.numbered_sgpr, 0
	.set _ZN7rocprim17ROCPRIM_400000_NS6detail17trampoline_kernelINS0_14default_configENS1_25partition_config_selectorILNS1_17partition_subalgoE6EsNS0_10empty_typeEbEEZZNS1_14partition_implILS5_6ELb0ES3_mN6thrust23THRUST_200600_302600_NS6detail15normal_iteratorINSA_10device_ptrIsEEEEPS6_SG_NS0_5tupleIJNSA_16discard_iteratorINSA_11use_defaultEEES6_EEENSH_IJSG_SG_EEES6_PlJNSB_9not_fun_tI7is_trueIsEEEEEE10hipError_tPvRmT3_T4_T5_T6_T7_T9_mT8_P12ihipStream_tbDpT10_ENKUlT_T0_E_clISt17integral_constantIbLb0EES1B_EEDaS16_S17_EUlS16_E_NS1_11comp_targetILNS1_3genE2ELNS1_11target_archE906ELNS1_3gpuE6ELNS1_3repE0EEENS1_30default_config_static_selectorELNS0_4arch9wavefront6targetE0EEEvT1_.num_named_barrier, 0
	.set _ZN7rocprim17ROCPRIM_400000_NS6detail17trampoline_kernelINS0_14default_configENS1_25partition_config_selectorILNS1_17partition_subalgoE6EsNS0_10empty_typeEbEEZZNS1_14partition_implILS5_6ELb0ES3_mN6thrust23THRUST_200600_302600_NS6detail15normal_iteratorINSA_10device_ptrIsEEEEPS6_SG_NS0_5tupleIJNSA_16discard_iteratorINSA_11use_defaultEEES6_EEENSH_IJSG_SG_EEES6_PlJNSB_9not_fun_tI7is_trueIsEEEEEE10hipError_tPvRmT3_T4_T5_T6_T7_T9_mT8_P12ihipStream_tbDpT10_ENKUlT_T0_E_clISt17integral_constantIbLb0EES1B_EEDaS16_S17_EUlS16_E_NS1_11comp_targetILNS1_3genE2ELNS1_11target_archE906ELNS1_3gpuE6ELNS1_3repE0EEENS1_30default_config_static_selectorELNS0_4arch9wavefront6targetE0EEEvT1_.private_seg_size, 0
	.set _ZN7rocprim17ROCPRIM_400000_NS6detail17trampoline_kernelINS0_14default_configENS1_25partition_config_selectorILNS1_17partition_subalgoE6EsNS0_10empty_typeEbEEZZNS1_14partition_implILS5_6ELb0ES3_mN6thrust23THRUST_200600_302600_NS6detail15normal_iteratorINSA_10device_ptrIsEEEEPS6_SG_NS0_5tupleIJNSA_16discard_iteratorINSA_11use_defaultEEES6_EEENSH_IJSG_SG_EEES6_PlJNSB_9not_fun_tI7is_trueIsEEEEEE10hipError_tPvRmT3_T4_T5_T6_T7_T9_mT8_P12ihipStream_tbDpT10_ENKUlT_T0_E_clISt17integral_constantIbLb0EES1B_EEDaS16_S17_EUlS16_E_NS1_11comp_targetILNS1_3genE2ELNS1_11target_archE906ELNS1_3gpuE6ELNS1_3repE0EEENS1_30default_config_static_selectorELNS0_4arch9wavefront6targetE0EEEvT1_.uses_vcc, 0
	.set _ZN7rocprim17ROCPRIM_400000_NS6detail17trampoline_kernelINS0_14default_configENS1_25partition_config_selectorILNS1_17partition_subalgoE6EsNS0_10empty_typeEbEEZZNS1_14partition_implILS5_6ELb0ES3_mN6thrust23THRUST_200600_302600_NS6detail15normal_iteratorINSA_10device_ptrIsEEEEPS6_SG_NS0_5tupleIJNSA_16discard_iteratorINSA_11use_defaultEEES6_EEENSH_IJSG_SG_EEES6_PlJNSB_9not_fun_tI7is_trueIsEEEEEE10hipError_tPvRmT3_T4_T5_T6_T7_T9_mT8_P12ihipStream_tbDpT10_ENKUlT_T0_E_clISt17integral_constantIbLb0EES1B_EEDaS16_S17_EUlS16_E_NS1_11comp_targetILNS1_3genE2ELNS1_11target_archE906ELNS1_3gpuE6ELNS1_3repE0EEENS1_30default_config_static_selectorELNS0_4arch9wavefront6targetE0EEEvT1_.uses_flat_scratch, 0
	.set _ZN7rocprim17ROCPRIM_400000_NS6detail17trampoline_kernelINS0_14default_configENS1_25partition_config_selectorILNS1_17partition_subalgoE6EsNS0_10empty_typeEbEEZZNS1_14partition_implILS5_6ELb0ES3_mN6thrust23THRUST_200600_302600_NS6detail15normal_iteratorINSA_10device_ptrIsEEEEPS6_SG_NS0_5tupleIJNSA_16discard_iteratorINSA_11use_defaultEEES6_EEENSH_IJSG_SG_EEES6_PlJNSB_9not_fun_tI7is_trueIsEEEEEE10hipError_tPvRmT3_T4_T5_T6_T7_T9_mT8_P12ihipStream_tbDpT10_ENKUlT_T0_E_clISt17integral_constantIbLb0EES1B_EEDaS16_S17_EUlS16_E_NS1_11comp_targetILNS1_3genE2ELNS1_11target_archE906ELNS1_3gpuE6ELNS1_3repE0EEENS1_30default_config_static_selectorELNS0_4arch9wavefront6targetE0EEEvT1_.has_dyn_sized_stack, 0
	.set _ZN7rocprim17ROCPRIM_400000_NS6detail17trampoline_kernelINS0_14default_configENS1_25partition_config_selectorILNS1_17partition_subalgoE6EsNS0_10empty_typeEbEEZZNS1_14partition_implILS5_6ELb0ES3_mN6thrust23THRUST_200600_302600_NS6detail15normal_iteratorINSA_10device_ptrIsEEEEPS6_SG_NS0_5tupleIJNSA_16discard_iteratorINSA_11use_defaultEEES6_EEENSH_IJSG_SG_EEES6_PlJNSB_9not_fun_tI7is_trueIsEEEEEE10hipError_tPvRmT3_T4_T5_T6_T7_T9_mT8_P12ihipStream_tbDpT10_ENKUlT_T0_E_clISt17integral_constantIbLb0EES1B_EEDaS16_S17_EUlS16_E_NS1_11comp_targetILNS1_3genE2ELNS1_11target_archE906ELNS1_3gpuE6ELNS1_3repE0EEENS1_30default_config_static_selectorELNS0_4arch9wavefront6targetE0EEEvT1_.has_recursion, 0
	.set _ZN7rocprim17ROCPRIM_400000_NS6detail17trampoline_kernelINS0_14default_configENS1_25partition_config_selectorILNS1_17partition_subalgoE6EsNS0_10empty_typeEbEEZZNS1_14partition_implILS5_6ELb0ES3_mN6thrust23THRUST_200600_302600_NS6detail15normal_iteratorINSA_10device_ptrIsEEEEPS6_SG_NS0_5tupleIJNSA_16discard_iteratorINSA_11use_defaultEEES6_EEENSH_IJSG_SG_EEES6_PlJNSB_9not_fun_tI7is_trueIsEEEEEE10hipError_tPvRmT3_T4_T5_T6_T7_T9_mT8_P12ihipStream_tbDpT10_ENKUlT_T0_E_clISt17integral_constantIbLb0EES1B_EEDaS16_S17_EUlS16_E_NS1_11comp_targetILNS1_3genE2ELNS1_11target_archE906ELNS1_3gpuE6ELNS1_3repE0EEENS1_30default_config_static_selectorELNS0_4arch9wavefront6targetE0EEEvT1_.has_indirect_call, 0
	.section	.AMDGPU.csdata,"",@progbits
; Kernel info:
; codeLenInByte = 0
; TotalNumSgprs: 0
; NumVgprs: 0
; ScratchSize: 0
; MemoryBound: 0
; FloatMode: 240
; IeeeMode: 1
; LDSByteSize: 0 bytes/workgroup (compile time only)
; SGPRBlocks: 0
; VGPRBlocks: 0
; NumSGPRsForWavesPerEU: 1
; NumVGPRsForWavesPerEU: 1
; Occupancy: 16
; WaveLimiterHint : 0
; COMPUTE_PGM_RSRC2:SCRATCH_EN: 0
; COMPUTE_PGM_RSRC2:USER_SGPR: 2
; COMPUTE_PGM_RSRC2:TRAP_HANDLER: 0
; COMPUTE_PGM_RSRC2:TGID_X_EN: 1
; COMPUTE_PGM_RSRC2:TGID_Y_EN: 0
; COMPUTE_PGM_RSRC2:TGID_Z_EN: 0
; COMPUTE_PGM_RSRC2:TIDIG_COMP_CNT: 0
	.section	.text._ZN7rocprim17ROCPRIM_400000_NS6detail17trampoline_kernelINS0_14default_configENS1_25partition_config_selectorILNS1_17partition_subalgoE6EsNS0_10empty_typeEbEEZZNS1_14partition_implILS5_6ELb0ES3_mN6thrust23THRUST_200600_302600_NS6detail15normal_iteratorINSA_10device_ptrIsEEEEPS6_SG_NS0_5tupleIJNSA_16discard_iteratorINSA_11use_defaultEEES6_EEENSH_IJSG_SG_EEES6_PlJNSB_9not_fun_tI7is_trueIsEEEEEE10hipError_tPvRmT3_T4_T5_T6_T7_T9_mT8_P12ihipStream_tbDpT10_ENKUlT_T0_E_clISt17integral_constantIbLb0EES1B_EEDaS16_S17_EUlS16_E_NS1_11comp_targetILNS1_3genE10ELNS1_11target_archE1200ELNS1_3gpuE4ELNS1_3repE0EEENS1_30default_config_static_selectorELNS0_4arch9wavefront6targetE0EEEvT1_,"axG",@progbits,_ZN7rocprim17ROCPRIM_400000_NS6detail17trampoline_kernelINS0_14default_configENS1_25partition_config_selectorILNS1_17partition_subalgoE6EsNS0_10empty_typeEbEEZZNS1_14partition_implILS5_6ELb0ES3_mN6thrust23THRUST_200600_302600_NS6detail15normal_iteratorINSA_10device_ptrIsEEEEPS6_SG_NS0_5tupleIJNSA_16discard_iteratorINSA_11use_defaultEEES6_EEENSH_IJSG_SG_EEES6_PlJNSB_9not_fun_tI7is_trueIsEEEEEE10hipError_tPvRmT3_T4_T5_T6_T7_T9_mT8_P12ihipStream_tbDpT10_ENKUlT_T0_E_clISt17integral_constantIbLb0EES1B_EEDaS16_S17_EUlS16_E_NS1_11comp_targetILNS1_3genE10ELNS1_11target_archE1200ELNS1_3gpuE4ELNS1_3repE0EEENS1_30default_config_static_selectorELNS0_4arch9wavefront6targetE0EEEvT1_,comdat
	.protected	_ZN7rocprim17ROCPRIM_400000_NS6detail17trampoline_kernelINS0_14default_configENS1_25partition_config_selectorILNS1_17partition_subalgoE6EsNS0_10empty_typeEbEEZZNS1_14partition_implILS5_6ELb0ES3_mN6thrust23THRUST_200600_302600_NS6detail15normal_iteratorINSA_10device_ptrIsEEEEPS6_SG_NS0_5tupleIJNSA_16discard_iteratorINSA_11use_defaultEEES6_EEENSH_IJSG_SG_EEES6_PlJNSB_9not_fun_tI7is_trueIsEEEEEE10hipError_tPvRmT3_T4_T5_T6_T7_T9_mT8_P12ihipStream_tbDpT10_ENKUlT_T0_E_clISt17integral_constantIbLb0EES1B_EEDaS16_S17_EUlS16_E_NS1_11comp_targetILNS1_3genE10ELNS1_11target_archE1200ELNS1_3gpuE4ELNS1_3repE0EEENS1_30default_config_static_selectorELNS0_4arch9wavefront6targetE0EEEvT1_ ; -- Begin function _ZN7rocprim17ROCPRIM_400000_NS6detail17trampoline_kernelINS0_14default_configENS1_25partition_config_selectorILNS1_17partition_subalgoE6EsNS0_10empty_typeEbEEZZNS1_14partition_implILS5_6ELb0ES3_mN6thrust23THRUST_200600_302600_NS6detail15normal_iteratorINSA_10device_ptrIsEEEEPS6_SG_NS0_5tupleIJNSA_16discard_iteratorINSA_11use_defaultEEES6_EEENSH_IJSG_SG_EEES6_PlJNSB_9not_fun_tI7is_trueIsEEEEEE10hipError_tPvRmT3_T4_T5_T6_T7_T9_mT8_P12ihipStream_tbDpT10_ENKUlT_T0_E_clISt17integral_constantIbLb0EES1B_EEDaS16_S17_EUlS16_E_NS1_11comp_targetILNS1_3genE10ELNS1_11target_archE1200ELNS1_3gpuE4ELNS1_3repE0EEENS1_30default_config_static_selectorELNS0_4arch9wavefront6targetE0EEEvT1_
	.globl	_ZN7rocprim17ROCPRIM_400000_NS6detail17trampoline_kernelINS0_14default_configENS1_25partition_config_selectorILNS1_17partition_subalgoE6EsNS0_10empty_typeEbEEZZNS1_14partition_implILS5_6ELb0ES3_mN6thrust23THRUST_200600_302600_NS6detail15normal_iteratorINSA_10device_ptrIsEEEEPS6_SG_NS0_5tupleIJNSA_16discard_iteratorINSA_11use_defaultEEES6_EEENSH_IJSG_SG_EEES6_PlJNSB_9not_fun_tI7is_trueIsEEEEEE10hipError_tPvRmT3_T4_T5_T6_T7_T9_mT8_P12ihipStream_tbDpT10_ENKUlT_T0_E_clISt17integral_constantIbLb0EES1B_EEDaS16_S17_EUlS16_E_NS1_11comp_targetILNS1_3genE10ELNS1_11target_archE1200ELNS1_3gpuE4ELNS1_3repE0EEENS1_30default_config_static_selectorELNS0_4arch9wavefront6targetE0EEEvT1_
	.p2align	8
	.type	_ZN7rocprim17ROCPRIM_400000_NS6detail17trampoline_kernelINS0_14default_configENS1_25partition_config_selectorILNS1_17partition_subalgoE6EsNS0_10empty_typeEbEEZZNS1_14partition_implILS5_6ELb0ES3_mN6thrust23THRUST_200600_302600_NS6detail15normal_iteratorINSA_10device_ptrIsEEEEPS6_SG_NS0_5tupleIJNSA_16discard_iteratorINSA_11use_defaultEEES6_EEENSH_IJSG_SG_EEES6_PlJNSB_9not_fun_tI7is_trueIsEEEEEE10hipError_tPvRmT3_T4_T5_T6_T7_T9_mT8_P12ihipStream_tbDpT10_ENKUlT_T0_E_clISt17integral_constantIbLb0EES1B_EEDaS16_S17_EUlS16_E_NS1_11comp_targetILNS1_3genE10ELNS1_11target_archE1200ELNS1_3gpuE4ELNS1_3repE0EEENS1_30default_config_static_selectorELNS0_4arch9wavefront6targetE0EEEvT1_,@function
_ZN7rocprim17ROCPRIM_400000_NS6detail17trampoline_kernelINS0_14default_configENS1_25partition_config_selectorILNS1_17partition_subalgoE6EsNS0_10empty_typeEbEEZZNS1_14partition_implILS5_6ELb0ES3_mN6thrust23THRUST_200600_302600_NS6detail15normal_iteratorINSA_10device_ptrIsEEEEPS6_SG_NS0_5tupleIJNSA_16discard_iteratorINSA_11use_defaultEEES6_EEENSH_IJSG_SG_EEES6_PlJNSB_9not_fun_tI7is_trueIsEEEEEE10hipError_tPvRmT3_T4_T5_T6_T7_T9_mT8_P12ihipStream_tbDpT10_ENKUlT_T0_E_clISt17integral_constantIbLb0EES1B_EEDaS16_S17_EUlS16_E_NS1_11comp_targetILNS1_3genE10ELNS1_11target_archE1200ELNS1_3gpuE4ELNS1_3repE0EEENS1_30default_config_static_selectorELNS0_4arch9wavefront6targetE0EEEvT1_: ; @_ZN7rocprim17ROCPRIM_400000_NS6detail17trampoline_kernelINS0_14default_configENS1_25partition_config_selectorILNS1_17partition_subalgoE6EsNS0_10empty_typeEbEEZZNS1_14partition_implILS5_6ELb0ES3_mN6thrust23THRUST_200600_302600_NS6detail15normal_iteratorINSA_10device_ptrIsEEEEPS6_SG_NS0_5tupleIJNSA_16discard_iteratorINSA_11use_defaultEEES6_EEENSH_IJSG_SG_EEES6_PlJNSB_9not_fun_tI7is_trueIsEEEEEE10hipError_tPvRmT3_T4_T5_T6_T7_T9_mT8_P12ihipStream_tbDpT10_ENKUlT_T0_E_clISt17integral_constantIbLb0EES1B_EEDaS16_S17_EUlS16_E_NS1_11comp_targetILNS1_3genE10ELNS1_11target_archE1200ELNS1_3gpuE4ELNS1_3repE0EEENS1_30default_config_static_selectorELNS0_4arch9wavefront6targetE0EEEvT1_
; %bb.0:
	s_clause 0x3
	s_load_b128 s[4:7], s[0:1], 0x8
	s_load_b128 s[20:23], s[0:1], 0x48
	s_load_b32 s9, s[0:1], 0x70
	s_load_b64 s[2:3], s[0:1], 0x58
	s_mov_b32 s11, 0
	s_mul_i32 s8, ttmp9, 0x1b00
	v_lshlrev_b32_e32 v17, 1, v0
	s_wait_kmcnt 0x0
	s_lshl_b64 s[12:13], s[6:7], 1
	s_load_b64 s[22:23], s[22:23], 0x0
	s_mul_i32 s10, s9, 0x1b00
	s_add_co_i32 s9, s9, -1
	s_add_co_i32 s14, s10, s6
	s_add_nc_u64 s[12:13], s[4:5], s[12:13]
	s_add_nc_u64 s[4:5], s[6:7], s[10:11]
	s_sub_co_i32 s25, s2, s14
	s_cmp_eq_u32 ttmp9, s9
	v_cmp_gt_u64_e64 s2, s[2:3], s[4:5]
	s_cselect_b32 s19, -1, 0
	s_cmp_lg_u32 ttmp9, s9
	s_mov_b32 s9, s11
	s_cselect_b32 s3, -1, 0
	s_mov_b32 s4, -1
	s_wait_alu 0xfffe
	s_or_b32 s11, s3, s2
	s_lshl_b64 s[2:3], s[8:9], 1
	s_and_b32 vcc_lo, exec_lo, s11
	s_wait_alu 0xfffe
	s_add_nc_u64 s[2:3], s[12:13], s[2:3]
	s_cbranch_vccz .LBB2306_2
; %bb.1:
	s_wait_alu 0xfffe
	v_add_co_u32 v1, s4, s2, v17
	s_wait_alu 0xf1ff
	v_add_co_ci_u32_e64 v2, null, s3, 0, s4
	s_mov_b32 s4, 0
	s_clause 0x11
	flat_load_u16 v3, v[1:2]
	flat_load_u16 v4, v[1:2] offset:768
	flat_load_u16 v5, v[1:2] offset:1536
	;; [unrolled: 1-line block ×17, first 2 shown]
	s_wait_loadcnt_dscnt 0x1111
	ds_store_b16 v17, v3
	s_wait_loadcnt_dscnt 0x1011
	ds_store_b16 v17, v4 offset:768
	s_wait_loadcnt_dscnt 0xf11
	ds_store_b16 v17, v5 offset:1536
	;; [unrolled: 2-line block ×17, first 2 shown]
	s_wait_dscnt 0x0
	s_barrier_signal -1
	s_barrier_wait -1
.LBB2306_2:
	s_wait_alu 0xfffe
	s_and_not1_b32 vcc_lo, exec_lo, s4
	s_addk_co_i32 s25, 0x1b00
	s_cbranch_vccnz .LBB2306_40
; %bb.3:
	v_mov_b32_e32 v1, 0
	s_mov_b32 s4, exec_lo
	s_delay_alu instid0(VALU_DEP_1)
	v_dual_mov_b32 v2, v1 :: v_dual_mov_b32 v3, v1
	v_dual_mov_b32 v4, v1 :: v_dual_mov_b32 v5, v1
	;; [unrolled: 1-line block ×4, first 2 shown]
	v_cmpx_gt_u32_e64 s25, v0
	s_cbranch_execz .LBB2306_5
; %bb.4:
	v_add_co_u32 v3, s5, s2, v17
	s_wait_alu 0xf1ff
	v_add_co_ci_u32_e64 v4, null, s3, 0, s5
	v_mov_b32_e32 v2, v1
	v_dual_mov_b32 v6, v1 :: v_dual_mov_b32 v7, v1
	v_dual_mov_b32 v5, v1 :: v_dual_mov_b32 v8, v1
	v_mov_b32_e32 v9, v1
	flat_load_d16_b16 v2, v[3:4]
	v_dual_mov_b32 v3, v1 :: v_dual_mov_b32 v4, v1
	v_mov_b32_e32 v10, v1
	s_wait_loadcnt_dscnt 0x0
	v_mov_b32_e32 v1, v2
	s_delay_alu instid0(VALU_DEP_3)
	v_mov_b32_e32 v2, v3
	v_mov_b32_e32 v3, v4
	;; [unrolled: 1-line block ×15, first 2 shown]
.LBB2306_5:
	s_wait_alu 0xfffe
	s_or_b32 exec_lo, exec_lo, s4
	v_add_nc_u32_e32 v10, 0x180, v0
	s_mov_b32 s4, exec_lo
	s_delay_alu instid0(VALU_DEP_1)
	v_cmpx_gt_u32_e64 s25, v10
	s_cbranch_execz .LBB2306_7
; %bb.6:
	v_add_co_u32 v10, s5, s2, v17
	s_wait_alu 0xf1ff
	v_add_co_ci_u32_e64 v11, null, s3, 0, s5
	flat_load_d16_hi_b16 v1, v[10:11] offset:768
.LBB2306_7:
	s_wait_alu 0xfffe
	s_or_b32 exec_lo, exec_lo, s4
	v_add_nc_u32_e32 v10, 0x300, v0
	s_mov_b32 s4, exec_lo
	s_delay_alu instid0(VALU_DEP_1)
	v_cmpx_gt_u32_e64 s25, v10
	s_cbranch_execz .LBB2306_9
; %bb.8:
	v_add_co_u32 v10, s5, s2, v17
	s_wait_alu 0xf1ff
	v_add_co_ci_u32_e64 v11, null, s3, 0, s5
	flat_load_d16_b16 v2, v[10:11] offset:1536
.LBB2306_9:
	s_wait_alu 0xfffe
	s_or_b32 exec_lo, exec_lo, s4
	v_add_nc_u32_e32 v10, 0x480, v0
	s_mov_b32 s4, exec_lo
	s_delay_alu instid0(VALU_DEP_1)
	v_cmpx_gt_u32_e64 s25, v10
	s_cbranch_execz .LBB2306_11
; %bb.10:
	v_add_co_u32 v10, s5, s2, v17
	s_wait_alu 0xf1ff
	v_add_co_ci_u32_e64 v11, null, s3, 0, s5
	s_wait_loadcnt_dscnt 0x0
	flat_load_d16_hi_b16 v2, v[10:11] offset:2304
.LBB2306_11:
	s_wait_alu 0xfffe
	s_or_b32 exec_lo, exec_lo, s4
	v_or_b32_e32 v10, 0x600, v0
	s_mov_b32 s4, exec_lo
	s_delay_alu instid0(VALU_DEP_1)
	v_cmpx_gt_u32_e64 s25, v10
	s_cbranch_execz .LBB2306_13
; %bb.12:
	v_add_co_u32 v10, s5, s2, v17
	s_wait_alu 0xf1ff
	v_add_co_ci_u32_e64 v11, null, s3, 0, s5
	flat_load_d16_b16 v3, v[10:11] offset:3072
.LBB2306_13:
	s_wait_alu 0xfffe
	s_or_b32 exec_lo, exec_lo, s4
	v_add_nc_u32_e32 v10, 0x780, v0
	s_mov_b32 s4, exec_lo
	s_delay_alu instid0(VALU_DEP_1)
	v_cmpx_gt_u32_e64 s25, v10
	s_cbranch_execz .LBB2306_15
; %bb.14:
	v_add_co_u32 v10, s5, s2, v17
	s_wait_alu 0xf1ff
	v_add_co_ci_u32_e64 v11, null, s3, 0, s5
	s_wait_loadcnt_dscnt 0x0
	flat_load_d16_hi_b16 v3, v[10:11] offset:3840
.LBB2306_15:
	s_wait_alu 0xfffe
	s_or_b32 exec_lo, exec_lo, s4
	v_add_nc_u32_e32 v10, 0x900, v0
	s_mov_b32 s4, exec_lo
	s_delay_alu instid0(VALU_DEP_1)
	v_cmpx_gt_u32_e64 s25, v10
	s_cbranch_execz .LBB2306_17
; %bb.16:
	v_add_co_u32 v10, s5, s2, v17
	s_wait_alu 0xf1ff
	v_add_co_ci_u32_e64 v11, null, s3, 0, s5
	flat_load_d16_b16 v4, v[10:11] offset:4608
.LBB2306_17:
	s_wait_alu 0xfffe
	s_or_b32 exec_lo, exec_lo, s4
	v_add_nc_u32_e32 v10, 0xa80, v0
	s_mov_b32 s4, exec_lo
	s_delay_alu instid0(VALU_DEP_1)
	v_cmpx_gt_u32_e64 s25, v10
	s_cbranch_execz .LBB2306_19
; %bb.18:
	v_add_co_u32 v10, s5, s2, v17
	s_wait_alu 0xf1ff
	v_add_co_ci_u32_e64 v11, null, s3, 0, s5
	s_wait_loadcnt_dscnt 0x0
	flat_load_d16_hi_b16 v4, v[10:11] offset:5376
.LBB2306_19:
	s_wait_alu 0xfffe
	s_or_b32 exec_lo, exec_lo, s4
	v_or_b32_e32 v10, 0xc00, v0
	s_mov_b32 s4, exec_lo
	s_delay_alu instid0(VALU_DEP_1)
	v_cmpx_gt_u32_e64 s25, v10
	s_cbranch_execz .LBB2306_21
; %bb.20:
	v_add_co_u32 v10, s5, s2, v17
	s_wait_alu 0xf1ff
	v_add_co_ci_u32_e64 v11, null, s3, 0, s5
	flat_load_d16_b16 v5, v[10:11] offset:6144
.LBB2306_21:
	s_wait_alu 0xfffe
	s_or_b32 exec_lo, exec_lo, s4
	v_add_nc_u32_e32 v10, 0xd80, v0
	s_mov_b32 s4, exec_lo
	s_delay_alu instid0(VALU_DEP_1)
	v_cmpx_gt_u32_e64 s25, v10
	s_cbranch_execz .LBB2306_23
; %bb.22:
	v_add_co_u32 v10, s5, s2, v17
	s_wait_alu 0xf1ff
	v_add_co_ci_u32_e64 v11, null, s3, 0, s5
	s_wait_loadcnt_dscnt 0x0
	flat_load_d16_hi_b16 v5, v[10:11] offset:6912
.LBB2306_23:
	;; [unrolled: 54-line block ×4, first 2 shown]
	s_wait_alu 0xfffe
	s_or_b32 exec_lo, exec_lo, s4
	s_wait_loadcnt_dscnt 0x0
	ds_store_b16 v17, v1
	ds_store_b16_d16_hi v17, v1 offset:768
	ds_store_b16 v17, v2 offset:1536
	ds_store_b16_d16_hi v17, v2 offset:2304
	ds_store_b16 v17, v3 offset:3072
	;; [unrolled: 2-line block ×8, first 2 shown]
	ds_store_b16_d16_hi v17, v9 offset:13056
	s_wait_dscnt 0x0
	s_barrier_signal -1
	s_barrier_wait -1
.LBB2306_40:
	v_mul_u32_u24_e32 v1, 18, v0
	global_inv scope:SCOPE_SE
	s_and_not1_b32 vcc_lo, exec_lo, s11
	v_lshlrev_b32_e32 v2, 1, v1
	ds_load_2addr_b32 v[9:10], v2 offset0:7 offset1:8
	ds_load_b32 v26, v2
	ds_load_2addr_b32 v[15:16], v2 offset0:1 offset1:2
	ds_load_2addr_b32 v[13:14], v2 offset0:3 offset1:4
	;; [unrolled: 1-line block ×3, first 2 shown]
	s_wait_loadcnt_dscnt 0x0
	s_barrier_signal -1
	s_barrier_wait -1
	global_inv scope:SCOPE_SE
	v_alignbit_b32 v25, v10, v9, 16
	v_lshrrev_b32_e32 v10, 16, v10
	v_cmp_eq_u16_e64 s8, 0, v26
	v_lshrrev_b32_e32 v17, 16, v26
	v_cmp_eq_u16_e64 s9, 0, v15
	;; [unrolled: 2-line block ×8, first 2 shown]
	v_cmp_eq_u16_e64 s10, 0, v25
	v_lshrrev_b32_e32 v2, 16, v25
	v_cmp_eq_u16_e64 s24, 0, v10
	s_cbranch_vccnz .LBB2306_42
; %bb.41:
	v_cmp_eq_u16_e32 vcc_lo, 0, v17
	v_cndmask_b32_e64 v27, 0, 1, s10
	v_cndmask_b32_e64 v28, 0, 1, s8
	;; [unrolled: 1-line block ×4, first 2 shown]
	v_cndmask_b32_e64 v18, 0, 1, vcc_lo
	v_cmp_eq_u16_e32 vcc_lo, 0, v8
	v_lshlrev_b16 v27, 8, v27
	s_wait_alu 0xf1ff
	v_cndmask_b32_e64 v31, 0, 1, s3
	v_cndmask_b32_e64 v32, 0, 1, s2
	v_lshlrev_b16 v18, 8, v18
	s_wait_alu 0xfffd
	v_cndmask_b32_e64 v19, 0, 1, vcc_lo
	v_cmp_eq_u16_e32 vcc_lo, 0, v7
	v_or_b32_e32 v27, v32, v27
	v_lshrrev_b32_e32 v18, 8, v18
	s_delay_alu instid0(VALU_DEP_4)
	v_lshlrev_b16 v19, 8, v19
	s_wait_alu 0xfffd
	v_cndmask_b32_e64 v20, 0, 1, vcc_lo
	v_cmp_eq_u16_e32 vcc_lo, 0, v6
	v_lshlrev_b16 v18, 8, v18
	v_lshrrev_b32_e32 v19, 8, v19
	s_delay_alu instid0(VALU_DEP_4)
	v_lshlrev_b16 v20, 8, v20
	s_wait_alu 0xfffd
	v_cndmask_b32_e64 v21, 0, 1, vcc_lo
	v_cmp_eq_u16_e32 vcc_lo, 0, v5
	v_or_b32_e32 v18, v28, v18
	v_lshlrev_b16 v19, 8, v19
	v_lshrrev_b32_e32 v20, 8, v20
	v_lshlrev_b16 v21, 8, v21
	s_wait_alu 0xfffd
	v_cndmask_b32_e64 v22, 0, 1, vcc_lo
	v_cmp_eq_u16_e32 vcc_lo, 0, v3
	v_or_b32_e32 v19, v30, v19
	v_lshlrev_b16 v20, 8, v20
	v_cndmask_b32_e64 v28, 0, 1, s4
	v_lshlrev_b16 v22, 8, v22
	s_wait_alu 0xfffd
	v_cndmask_b32_e64 v23, 0, 1, vcc_lo
	v_cmp_eq_u16_e32 vcc_lo, 0, v4
	v_or_b32_e32 v20, v29, v20
	v_cndmask_b32_e64 v29, 0, 1, s5
	v_lshrrev_b32_e32 v22, 8, v22
	v_lshlrev_b16 v23, 8, v23
	s_wait_alu 0xfffd
	v_cndmask_b32_e64 v24, 0, 1, vcc_lo
	v_cndmask_b32_e64 v30, 0, 1, s6
	v_or_b32_e32 v21, v28, v21
	v_lshlrev_b16 v22, 8, v22
	v_lshrrev_b32_e32 v23, 8, v23
	v_lshlrev_b16 v24, 8, v24
	v_and_b32_e32 v18, 0xffff, v18
	v_lshlrev_b32_e32 v20, 16, v20
	v_or_b32_e32 v22, v29, v22
	v_lshlrev_b16 v23, 8, v23
	v_lshrrev_b32_e32 v24, 8, v24
	v_and_b32_e32 v19, 0xffff, v19
	v_lshlrev_b32_e32 v21, 16, v21
	v_and_b32_e32 v22, 0xffff, v22
	v_or_b32_e32 v23, v30, v23
	v_lshlrev_b16 v24, 8, v24
	v_lshlrev_b32_e32 v28, 16, v27
	v_cmp_eq_u16_e32 vcc_lo, 0, v2
	v_or_b32_e32 v42, v18, v20
	v_lshlrev_b32_e32 v23, 16, v23
	v_or_b32_e32 v24, v31, v24
	v_or_b32_e32 v36, v19, v21
	s_wait_alu 0xfffd
	v_cndmask_b32_e64 v27, 0, 1, vcc_lo
	v_or_b32_e32 v30, v22, v23
	v_and_b32_e32 v24, 0xffff, v24
	s_delay_alu instid0(VALU_DEP_1)
	v_or_b32_e32 v28, v24, v28
	s_cbranch_execz .LBB2306_43
	s_branch .LBB2306_44
.LBB2306_42:
                                        ; implicit-def: $sgpr24
                                        ; implicit-def: $vgpr27
                                        ; implicit-def: $vgpr28
                                        ; implicit-def: $vgpr30
                                        ; implicit-def: $vgpr36
                                        ; implicit-def: $vgpr42
.LBB2306_43:
	v_or_b32_e32 v18, 1, v1
	v_cmp_eq_u16_e32 vcc_lo, 0, v17
	v_add_nc_u32_e32 v20, 3, v1
	v_add_nc_u32_e32 v19, 5, v1
	;; [unrolled: 1-line block ×3, first 2 shown]
	v_cmp_gt_u32_e64 s4, s25, v18
	v_add_nc_u32_e32 v18, 2, v1
	v_cmp_gt_u32_e64 s6, s25, v20
	v_cmp_gt_u32_e64 s8, s25, v19
	v_add_nc_u32_e32 v19, 9, v1
	s_and_b32 s4, s4, vcc_lo
	v_cmp_eq_u16_e32 vcc_lo, 0, v7
	s_wait_alu 0xfffe
	v_cndmask_b32_e64 v21, 0, 1, s4
	v_cmp_eq_u16_e64 s4, 0, v8
	v_cmp_gt_u32_e64 s9, s25, v18
	v_cmp_gt_u32_e64 s10, s25, v19
	s_and_b32 s6, s6, vcc_lo
	v_cmp_gt_u32_e32 vcc_lo, s25, v17
	v_add_nc_u32_e32 v17, 7, v1
	s_and_b32 s4, s8, s4
	s_wait_alu 0xfffe
	v_cndmask_b32_e64 v8, 0, 1, s6
	v_cndmask_b32_e64 v18, 0, 1, s4
	v_cmp_eq_u16_e64 s4, 0, v6
	v_cmp_gt_u32_e64 s6, s25, v17
	v_cmp_eq_u16_e64 s8, 0, v5
	v_add_nc_u32_e32 v17, 8, v1
	v_lshlrev_b16 v7, 8, v21
	v_add_nc_u32_e32 v21, 13, v1
	s_and_b32 s4, s6, s4
	s_and_b32 s6, s10, s8
	v_cmp_gt_u32_e64 s10, s25, v17
	s_wait_alu 0xfffe
	v_cndmask_b32_e64 v19, 0, 1, s6
	v_cmp_eq_u16_e64 s11, 0, v3
	v_lshlrev_b16 v6, 8, v18
	v_add_nc_u32_e32 v18, 6, v1
	v_cmp_eq_u16_e64 s12, 0, v4
	v_lshlrev_b16 v17, 8, v19
	v_add_nc_u32_e32 v19, 11, v1
	v_cmp_gt_u32_e64 s16, s25, v21
	v_cmp_gt_u32_e64 s8, s25, v18
	v_add_nc_u32_e32 v18, 12, v1
	v_add_nc_u32_e32 v4, 15, v1
	v_cmp_gt_u32_e64 s13, s25, v19
	v_lshlrev_b16 v8, 8, v8
	v_cmp_eq_u16_e64 s2, 0, v26
	v_cmp_gt_u32_e64 s3, s25, v1
	v_cmp_eq_u16_e64 s5, 0, v15
	s_and_b32 s11, s13, s11
	v_cmp_gt_u32_e64 s13, s25, v4
	s_wait_alu 0xfffe
	v_cndmask_b32_e64 v3, 0, 1, s11
	s_and_b32 s11, s16, s12
	v_cmp_eq_u16_e64 s12, 0, v25
	s_wait_alu 0xfffe
	v_cndmask_b32_e64 v19, 0, 1, s11
	v_cmp_gt_u32_e64 s11, s25, v18
	v_add_nc_u32_e32 v18, 16, v1
	v_lshrrev_b32_e32 v7, 8, v7
	v_lshrrev_b32_e32 v8, 8, v8
	v_lshlrev_b16 v4, 8, v19
	v_add_nc_u32_e32 v19, 14, v1
	s_and_b32 s2, s3, s2
	v_add_nc_u32_e32 v20, 10, v1
	s_and_b32 s12, s13, s12
	v_cmp_gt_u32_e64 s13, s25, v18
	s_wait_alu 0xfffe
	v_cndmask_b32_e64 v18, 0, 1, s2
	s_and_b32 s2, s9, s5
	v_cmp_gt_u32_e64 s16, s25, v19
	v_lshlrev_b16 v7, 8, v7
	v_lshlrev_b16 v8, 8, v8
	s_wait_alu 0xfffe
	v_cndmask_b32_e64 v19, 0, 1, s2
	v_cndmask_b32_e64 v5, 0, 1, s4
	v_cmp_eq_u16_e64 s4, 0, v13
	v_cmp_gt_u32_e64 s17, s25, v20
	v_cndmask_b32_e64 v20, 0, 1, s12
	v_cmp_eq_u16_e64 s7, 0, v16
	v_cmp_eq_u16_e64 s6, 0, v14
	v_add_nc_u32_e32 v1, 17, v1
	v_or_b32_e32 v7, v18, v7
	v_or_b32_e32 v8, v19, v8
	v_lshrrev_b32_e32 v6, 8, v6
	v_cmp_eq_u16_e64 s14, 0, v11
	v_lshlrev_b16 v5, 8, v5
	v_lshlrev_b16 v3, 8, v3
	v_cmp_eq_u16_e64 s12, 0, v2
	v_lshlrev_b16 v2, 8, v20
	s_and_b32 s3, s8, s4
	v_cmp_eq_u16_e64 s15, 0, v12
	s_and_b32 s2, vcc_lo, s7
	v_cmp_gt_u32_e32 vcc_lo, s25, v1
	v_and_b32_e32 v1, 0xffff, v7
	v_lshlrev_b32_e32 v7, 16, v8
	v_lshrrev_b32_e32 v8, 8, v17
	s_wait_alu 0xfffe
	v_cndmask_b32_e64 v17, 0, 1, s3
	s_and_b32 s3, s10, s6
	v_cmp_eq_u16_e64 s18, 0, v9
	v_lshlrev_b16 v6, 8, v6
	v_cndmask_b32_e64 v20, 0, 1, s2
	s_wait_alu 0xfffe
	v_cndmask_b32_e64 v18, 0, 1, s3
	s_and_b32 s3, s17, s14
	v_lshrrev_b32_e32 v5, 8, v5
	v_lshrrev_b32_e32 v2, 8, v2
	;; [unrolled: 1-line block ×4, first 2 shown]
	s_wait_alu 0xfffe
	v_cndmask_b32_e64 v19, 0, 1, s3
	s_and_b32 s3, s11, s15
	v_or_b32_e32 v6, v20, v6
	s_wait_alu 0xfffe
	v_cndmask_b32_e64 v20, 0, 1, s3
	s_and_b32 s3, s16, s18
	v_lshlrev_b16 v5, 8, v5
	v_lshlrev_b16 v8, 8, v8
	;; [unrolled: 1-line block ×5, first 2 shown]
	s_wait_alu 0xfffe
	v_cndmask_b32_e64 v21, 0, 1, s3
	v_or_b32_e32 v5, v17, v5
	v_or_b32_e32 v8, v18, v8
	;; [unrolled: 1-line block ×5, first 2 shown]
	v_cmp_eq_u16_e64 s2, 0, v10
	v_and_b32_e32 v6, 0xffff, v6
	v_lshlrev_b32_e32 v5, 16, v5
	v_and_b32_e32 v8, 0xffff, v8
	v_lshlrev_b32_e32 v3, 16, v3
	;; [unrolled: 2-line block ×3, first 2 shown]
	s_and_b32 s12, s13, s12
	s_and_b32 s2, vcc_lo, s2
	s_wait_alu 0xfffe
	v_cndmask_b32_e64 v27, 0, 1, s12
	v_or_b32_e32 v42, v1, v7
	v_or_b32_e32 v36, v6, v5
	;; [unrolled: 1-line block ×4, first 2 shown]
	s_and_not1_b32 s3, s24, exec_lo
	s_and_b32 s2, s2, exec_lo
	s_wait_alu 0xfffe
	s_or_b32 s24, s3, s2
.LBB2306_44:
	v_dual_mov_b32 v2, 0 :: v_dual_and_b32 v47, 0xff, v42
	v_bfe_u32 v45, v42, 8, 8
	s_wait_alu 0xfffe
	v_cndmask_b32_e64 v1, 0, 1, s24
	v_bfe_u32 v48, v42, 16, 8
	s_load_b64 s[4:5], s[0:1], 0x68
	v_lshrrev_b32_e32 v46, 24, v42
	v_and_b32_e32 v44, 0xff, v36
	v_add3_u32 v1, v47, v1, v45
	v_bfe_u32 v43, v36, 8, 8
	v_bfe_u32 v41, v36, 16, 8
	v_lshrrev_b32_e32 v40, 24, v36
	v_and_b32_e32 v39, 0xff, v30
	v_add_co_u32 v1, s0, v1, v48
	s_delay_alu instid0(VALU_DEP_1) | instskip(SKIP_1) | instid1(VALU_DEP_3)
	v_add_co_ci_u32_e64 v3, null, 0, 0, s0
	v_bfe_u32 v38, v30, 8, 8
	v_add_co_u32 v1, vcc_lo, v1, v46
	s_wait_alu 0xfffd
	s_delay_alu instid0(VALU_DEP_3) | instskip(SKIP_1) | instid1(VALU_DEP_3)
	v_add_co_ci_u32_e64 v3, null, 0, v3, vcc_lo
	v_bfe_u32 v37, v30, 16, 8
	v_add_co_u32 v1, vcc_lo, v1, v44
	s_wait_alu 0xfffd
	s_delay_alu instid0(VALU_DEP_3) | instskip(SKIP_1) | instid1(VALU_DEP_3)
	v_add_co_ci_u32_e64 v3, null, 0, v3, vcc_lo
	v_lshrrev_b32_e32 v35, 24, v30
	v_add_co_u32 v1, vcc_lo, v1, v43
	s_wait_alu 0xfffd
	s_delay_alu instid0(VALU_DEP_3) | instskip(SKIP_1) | instid1(VALU_DEP_3)
	v_add_co_ci_u32_e64 v3, null, 0, v3, vcc_lo
	v_and_b32_e32 v34, 0xff, v28
	v_add_co_u32 v1, vcc_lo, v1, v41
	s_wait_alu 0xfffd
	s_delay_alu instid0(VALU_DEP_3) | instskip(SKIP_1) | instid1(VALU_DEP_3)
	v_add_co_ci_u32_e64 v3, null, 0, v3, vcc_lo
	v_bfe_u32 v33, v28, 8, 8
	v_add_co_u32 v1, vcc_lo, v1, v40
	s_wait_alu 0xfffd
	s_delay_alu instid0(VALU_DEP_3) | instskip(SKIP_1) | instid1(VALU_DEP_3)
	v_add_co_ci_u32_e64 v3, null, 0, v3, vcc_lo
	v_bfe_u32 v32, v28, 16, 8
	v_add_co_u32 v1, vcc_lo, v1, v39
	s_wait_alu 0xfffd
	s_delay_alu instid0(VALU_DEP_3) | instskip(SKIP_1) | instid1(VALU_DEP_3)
	v_add_co_ci_u32_e64 v3, null, 0, v3, vcc_lo
	v_lshrrev_b32_e32 v31, 24, v28
	v_add_co_u32 v1, vcc_lo, v1, v38
	s_wait_alu 0xfffd
	s_delay_alu instid0(VALU_DEP_3) | instskip(SKIP_1) | instid1(VALU_DEP_3)
	v_add_co_ci_u32_e64 v3, null, 0, v3, vcc_lo
	v_mbcnt_lo_u32_b32 v49, -1, 0
	v_add_co_u32 v1, vcc_lo, v1, v37
	s_wait_alu 0xfffd
	s_delay_alu instid0(VALU_DEP_3) | instskip(SKIP_1) | instid1(VALU_DEP_3)
	v_add_co_ci_u32_e64 v3, null, 0, v3, vcc_lo
	v_and_b32_e32 v29, 0xff, v27
	v_add_co_u32 v1, vcc_lo, v1, v35
	s_wait_alu 0xfffd
	s_delay_alu instid0(VALU_DEP_3) | instskip(SKIP_1) | instid1(VALU_DEP_3)
	v_add_co_ci_u32_e64 v3, null, 0, v3, vcc_lo
	v_and_b32_e32 v50, 15, v49
	v_add_co_u32 v1, vcc_lo, v1, v34
	s_wait_alu 0xfffd
	s_delay_alu instid0(VALU_DEP_3) | instskip(NEXT) | instid1(VALU_DEP_3)
	v_add_co_ci_u32_e64 v3, null, 0, v3, vcc_lo
	v_cmp_ne_u32_e64 s0, 0, v50
	s_delay_alu instid0(VALU_DEP_3) | instskip(SKIP_1) | instid1(VALU_DEP_3)
	v_add_co_u32 v1, vcc_lo, v1, v33
	s_wait_alu 0xfffd
	v_add_co_ci_u32_e64 v3, null, 0, v3, vcc_lo
	s_cmp_lg_u32 ttmp9, 0
	v_add_co_u32 v1, vcc_lo, v1, v32
	s_wait_alu 0xfffd
	v_add_co_ci_u32_e64 v3, null, 0, v3, vcc_lo
	s_mov_b32 s1, -1
	v_add_co_u32 v1, vcc_lo, v1, v31
	s_wait_alu 0xfffd
	v_add_co_ci_u32_e64 v3, null, 0, v3, vcc_lo
	s_delay_alu instid0(VALU_DEP_2) | instskip(SKIP_1) | instid1(VALU_DEP_2)
	v_add_co_u32 v17, vcc_lo, v1, v29
	s_wait_alu 0xfffd
	v_add_co_ci_u32_e64 v18, null, 0, v3, vcc_lo
	s_cbranch_scc0 .LBB2306_103
; %bb.45:
	v_mov_b32_e32 v3, v17
	v_mov_b32_dpp v1, v17 row_shr:1 row_mask:0xf bank_mask:0xf
	v_mov_b32_dpp v6, v2 row_shr:1 row_mask:0xf bank_mask:0xf
	v_dual_mov_b32 v5, v17 :: v_dual_mov_b32 v4, v18
	s_and_saveexec_b32 s1, s0
; %bb.46:
	s_delay_alu instid0(VALU_DEP_3) | instskip(SKIP_2) | instid1(VALU_DEP_2)
	v_add_co_u32 v5, vcc_lo, v17, v1
	s_wait_alu 0xfffd
	v_add_co_ci_u32_e64 v2, null, 0, v18, vcc_lo
	v_add_co_u32 v1, vcc_lo, 0, v5
	s_wait_alu 0xfffd
	s_delay_alu instid0(VALU_DEP_2) | instskip(NEXT) | instid1(VALU_DEP_1)
	v_add_co_ci_u32_e64 v2, null, v6, v2, vcc_lo
	v_dual_mov_b32 v4, v2 :: v_dual_mov_b32 v3, v1
; %bb.47:
	s_wait_alu 0xfffe
	s_or_b32 exec_lo, exec_lo, s1
	v_mov_b32_dpp v1, v5 row_shr:2 row_mask:0xf bank_mask:0xf
	v_mov_b32_dpp v6, v2 row_shr:2 row_mask:0xf bank_mask:0xf
	v_cmp_lt_u32_e32 vcc_lo, 1, v50
	s_and_saveexec_b32 s2, vcc_lo
; %bb.48:
	s_delay_alu instid0(VALU_DEP_3) | instskip(SKIP_2) | instid1(VALU_DEP_2)
	v_add_co_u32 v5, s1, v3, v1
	s_wait_alu 0xf1ff
	v_add_co_ci_u32_e64 v2, null, 0, v4, s1
	v_add_co_u32 v1, s1, 0, v5
	s_wait_alu 0xf1ff
	s_delay_alu instid0(VALU_DEP_2) | instskip(NEXT) | instid1(VALU_DEP_1)
	v_add_co_ci_u32_e64 v2, null, v6, v2, s1
	v_dual_mov_b32 v4, v2 :: v_dual_mov_b32 v3, v1
; %bb.49:
	s_wait_alu 0xfffe
	s_or_b32 exec_lo, exec_lo, s2
	v_mov_b32_dpp v1, v5 row_shr:4 row_mask:0xf bank_mask:0xf
	v_mov_b32_dpp v6, v2 row_shr:4 row_mask:0xf bank_mask:0xf
	v_cmp_lt_u32_e64 s1, 3, v50
	s_and_saveexec_b32 s3, s1
; %bb.50:
	v_add_co_u32 v5, s2, v3, v1
	s_wait_alu 0xf1ff
	v_add_co_ci_u32_e64 v2, null, 0, v4, s2
	s_delay_alu instid0(VALU_DEP_2) | instskip(SKIP_1) | instid1(VALU_DEP_2)
	v_add_co_u32 v1, s2, 0, v5
	s_wait_alu 0xf1ff
	v_add_co_ci_u32_e64 v2, null, v6, v2, s2
	s_delay_alu instid0(VALU_DEP_1)
	v_dual_mov_b32 v4, v2 :: v_dual_mov_b32 v3, v1
; %bb.51:
	s_wait_alu 0xfffe
	s_or_b32 exec_lo, exec_lo, s3
	v_mov_b32_dpp v6, v5 row_shr:8 row_mask:0xf bank_mask:0xf
	v_mov_b32_dpp v1, v2 row_shr:8 row_mask:0xf bank_mask:0xf
	v_cmp_lt_u32_e64 s2, 7, v50
	s_and_saveexec_b32 s6, s2
; %bb.52:
	v_add_co_u32 v5, s3, v3, v6
	s_wait_alu 0xf1ff
	v_add_co_ci_u32_e64 v2, null, 0, v4, s3
	s_delay_alu instid0(VALU_DEP_2) | instskip(SKIP_1) | instid1(VALU_DEP_2)
	v_add_co_u32 v3, s3, 0, v5
	s_wait_alu 0xf1ff
	v_add_co_ci_u32_e64 v4, null, v1, v2, s3
	s_delay_alu instid0(VALU_DEP_1)
	v_mov_b32_e32 v2, v4
; %bb.53:
	s_wait_alu 0xfffe
	s_or_b32 exec_lo, exec_lo, s6
	ds_swizzle_b32 v6, v5 offset:swizzle(BROADCAST,32,15)
	ds_swizzle_b32 v1, v2 offset:swizzle(BROADCAST,32,15)
	v_and_b32_e32 v2, 16, v49
	s_mov_b32 s6, exec_lo
	s_delay_alu instid0(VALU_DEP_1)
	v_cmpx_ne_u32_e32 0, v2
	s_cbranch_execz .LBB2306_55
; %bb.54:
	s_wait_dscnt 0x1
	v_add_co_u32 v5, s3, v3, v6
	s_wait_alu 0xf1ff
	v_add_co_ci_u32_e64 v2, null, 0, v4, s3
	s_delay_alu instid0(VALU_DEP_2) | instskip(SKIP_2) | instid1(VALU_DEP_2)
	v_add_co_u32 v3, s3, 0, v5
	s_wait_dscnt 0x0
	s_wait_alu 0xf1ff
	v_add_co_ci_u32_e64 v4, null, v1, v2, s3
.LBB2306_55:
	s_wait_alu 0xfffe
	s_or_b32 exec_lo, exec_lo, s6
	s_wait_dscnt 0x0
	v_and_b32_e32 v1, 0x1e0, v0
	v_lshrrev_b32_e32 v6, 5, v0
	s_mov_b32 s6, exec_lo
	s_delay_alu instid0(VALU_DEP_2) | instskip(NEXT) | instid1(VALU_DEP_1)
	v_min_u32_e32 v1, 0x160, v1
	v_or_b32_e32 v1, 31, v1
	s_delay_alu instid0(VALU_DEP_1)
	v_cmpx_eq_u32_e64 v0, v1
; %bb.56:
	v_lshlrev_b32_e32 v1, 3, v6
	ds_store_b64 v1, v[3:4]
; %bb.57:
	s_wait_alu 0xfffe
	s_or_b32 exec_lo, exec_lo, s6
	s_delay_alu instid0(SALU_CYCLE_1)
	s_mov_b32 s6, exec_lo
	s_wait_loadcnt_dscnt 0x0
	s_barrier_signal -1
	s_barrier_wait -1
	global_inv scope:SCOPE_SE
	v_cmpx_gt_u32_e32 12, v0
	s_cbranch_execz .LBB2306_67
; %bb.58:
	v_lshlrev_b32_e32 v3, 3, v0
	ds_load_b64 v[1:2], v3
	s_wait_dscnt 0x0
	v_mov_b32_dpp v8, v1 row_shr:1 row_mask:0xf bank_mask:0xf
	v_mov_b32_dpp v7, v2 row_shr:1 row_mask:0xf bank_mask:0xf
	v_mov_b32_e32 v4, v1
	s_and_saveexec_b32 s7, s0
; %bb.59:
	s_delay_alu instid0(VALU_DEP_3) | instskip(SKIP_2) | instid1(VALU_DEP_2)
	v_add_co_u32 v4, s3, v1, v8
	s_wait_alu 0xf1ff
	v_add_co_ci_u32_e64 v2, null, 0, v2, s3
	v_add_co_u32 v1, s3, 0, v4
	s_wait_alu 0xf1ff
	s_delay_alu instid0(VALU_DEP_2)
	v_add_co_ci_u32_e64 v2, null, v7, v2, s3
; %bb.60:
	s_wait_alu 0xfffe
	s_or_b32 exec_lo, exec_lo, s7
	v_mov_b32_dpp v8, v4 row_shr:2 row_mask:0xf bank_mask:0xf
	s_delay_alu instid0(VALU_DEP_2)
	v_mov_b32_dpp v7, v2 row_shr:2 row_mask:0xf bank_mask:0xf
	s_and_saveexec_b32 s3, vcc_lo
; %bb.61:
	s_delay_alu instid0(VALU_DEP_2) | instskip(SKIP_2) | instid1(VALU_DEP_2)
	v_add_co_u32 v4, vcc_lo, v1, v8
	s_wait_alu 0xfffd
	v_add_co_ci_u32_e64 v2, null, 0, v2, vcc_lo
	v_add_co_u32 v1, vcc_lo, 0, v4
	s_wait_alu 0xfffd
	s_delay_alu instid0(VALU_DEP_2)
	v_add_co_ci_u32_e64 v2, null, v7, v2, vcc_lo
; %bb.62:
	s_wait_alu 0xfffe
	s_or_b32 exec_lo, exec_lo, s3
	v_mov_b32_dpp v8, v4 row_shr:4 row_mask:0xf bank_mask:0xf
	s_delay_alu instid0(VALU_DEP_2)
	v_mov_b32_dpp v7, v2 row_shr:4 row_mask:0xf bank_mask:0xf
	s_and_saveexec_b32 s3, s1
; %bb.63:
	s_delay_alu instid0(VALU_DEP_2) | instskip(SKIP_2) | instid1(VALU_DEP_2)
	v_add_co_u32 v4, vcc_lo, v1, v8
	s_wait_alu 0xfffd
	v_add_co_ci_u32_e64 v2, null, 0, v2, vcc_lo
	v_add_co_u32 v1, vcc_lo, 0, v4
	s_wait_alu 0xfffd
	s_delay_alu instid0(VALU_DEP_2)
	v_add_co_ci_u32_e64 v2, null, v7, v2, vcc_lo
; %bb.64:
	s_wait_alu 0xfffe
	s_or_b32 exec_lo, exec_lo, s3
	v_mov_b32_dpp v7, v4 row_shr:8 row_mask:0xf bank_mask:0xf
	s_delay_alu instid0(VALU_DEP_2)
	v_mov_b32_dpp v4, v2 row_shr:8 row_mask:0xf bank_mask:0xf
	s_and_saveexec_b32 s1, s2
; %bb.65:
	s_delay_alu instid0(VALU_DEP_2) | instskip(SKIP_2) | instid1(VALU_DEP_2)
	v_add_co_u32 v1, vcc_lo, v1, v7
	s_wait_alu 0xfffd
	v_add_co_ci_u32_e64 v2, null, 0, v2, vcc_lo
	v_add_co_u32 v1, vcc_lo, v1, 0
	s_wait_alu 0xfffd
	s_delay_alu instid0(VALU_DEP_2)
	v_add_co_ci_u32_e64 v2, null, v2, v4, vcc_lo
; %bb.66:
	s_wait_alu 0xfffe
	s_or_b32 exec_lo, exec_lo, s1
	ds_store_b64 v3, v[1:2]
.LBB2306_67:
	s_wait_alu 0xfffe
	s_or_b32 exec_lo, exec_lo, s6
	s_delay_alu instid0(SALU_CYCLE_1)
	s_mov_b32 s2, exec_lo
	v_cmp_gt_u32_e32 vcc_lo, 32, v0
	s_wait_loadcnt_dscnt 0x0
	s_barrier_signal -1
	s_barrier_wait -1
	global_inv scope:SCOPE_SE
                                        ; implicit-def: $vgpr19_vgpr20
	v_cmpx_lt_u32_e32 31, v0
	s_cbranch_execz .LBB2306_69
; %bb.68:
	v_lshl_add_u32 v1, v6, 3, -8
	ds_load_b64 v[19:20], v1
	s_wait_dscnt 0x0
	v_add_nc_u32_e32 v5, v5, v19
.LBB2306_69:
	s_wait_alu 0xfffe
	s_or_b32 exec_lo, exec_lo, s2
	v_sub_co_u32 v1, s1, v49, 1
	s_delay_alu instid0(VALU_DEP_1) | instskip(SKIP_1) | instid1(VALU_DEP_1)
	v_cmp_gt_i32_e64 s2, 0, v1
	s_wait_alu 0xf1ff
	v_cndmask_b32_e64 v1, v1, v49, s2
	s_delay_alu instid0(VALU_DEP_1)
	v_lshlrev_b32_e32 v1, 2, v1
	ds_bpermute_b32 v51, v1, v5
	s_and_saveexec_b32 s2, vcc_lo
	s_cbranch_execz .LBB2306_108
; %bb.70:
	v_mov_b32_e32 v4, 0
	ds_load_b64 v[1:2], v4 offset:88
	s_and_saveexec_b32 s3, s1
	s_cbranch_execz .LBB2306_72
; %bb.71:
	s_add_co_i32 s6, ttmp9, 32
	s_mov_b32 s7, 0
	s_wait_alu 0xfffe
	s_lshl_b64 s[6:7], s[6:7], 4
	s_wait_kmcnt 0x0
	s_wait_alu 0xfffe
	s_add_nc_u64 s[6:7], s[4:5], s[6:7]
	v_mov_b32_e32 v3, 1
	s_wait_alu 0xfffe
	v_dual_mov_b32 v5, s6 :: v_dual_mov_b32 v6, s7
	s_wait_dscnt 0x0
	;;#ASMSTART
	global_store_b128 v[5:6], v[1:4] off scope:SCOPE_DEV	
s_wait_storecnt 0x0
	;;#ASMEND
.LBB2306_72:
	s_wait_alu 0xfffe
	s_or_b32 exec_lo, exec_lo, s3
	v_xad_u32 v21, v49, -1, ttmp9
	s_mov_b32 s6, 0
	s_mov_b32 s3, exec_lo
	s_delay_alu instid0(VALU_DEP_1) | instskip(NEXT) | instid1(VALU_DEP_1)
	v_add_nc_u32_e32 v3, 32, v21
	v_lshlrev_b64_e32 v[3:4], 4, v[3:4]
	s_wait_kmcnt 0x0
	s_delay_alu instid0(VALU_DEP_1) | instskip(SKIP_1) | instid1(VALU_DEP_2)
	v_add_co_u32 v3, vcc_lo, s4, v3
	s_wait_alu 0xfffd
	v_add_co_ci_u32_e64 v4, null, s5, v4, vcc_lo
	;;#ASMSTART
	global_load_b128 v[5:8], v[3:4] off scope:SCOPE_DEV	
s_wait_loadcnt 0x0
	;;#ASMEND
	v_and_b32_e32 v8, 0xff, v7
	s_delay_alu instid0(VALU_DEP_1)
	v_cmpx_eq_u16_e32 0, v8
	s_cbranch_execz .LBB2306_75
.LBB2306_73:                            ; =>This Inner Loop Header: Depth=1
	;;#ASMSTART
	global_load_b128 v[5:8], v[3:4] off scope:SCOPE_DEV	
s_wait_loadcnt 0x0
	;;#ASMEND
	v_and_b32_e32 v8, 0xff, v7
	s_delay_alu instid0(VALU_DEP_1)
	v_cmp_ne_u16_e32 vcc_lo, 0, v8
	s_wait_alu 0xfffe
	s_or_b32 s6, vcc_lo, s6
	s_wait_alu 0xfffe
	s_and_not1_b32 exec_lo, exec_lo, s6
	s_cbranch_execnz .LBB2306_73
; %bb.74:
	s_or_b32 exec_lo, exec_lo, s6
.LBB2306_75:
	s_wait_alu 0xfffe
	s_or_b32 exec_lo, exec_lo, s3
	v_cmp_ne_u32_e32 vcc_lo, 31, v49
	v_and_b32_e32 v4, 0xff, v7
	v_lshlrev_b32_e64 v53, v49, -1
	s_mov_b32 s3, exec_lo
	s_wait_alu 0xfffd
	v_add_co_ci_u32_e64 v3, null, 0, v49, vcc_lo
	v_cmp_eq_u16_e32 vcc_lo, 2, v4
	v_mov_b32_e32 v4, v5
	s_delay_alu instid0(VALU_DEP_3)
	v_lshlrev_b32_e32 v52, 2, v3
	s_wait_alu 0xfffd
	v_and_or_b32 v3, vcc_lo, v53, 0x80000000
	ds_bpermute_b32 v22, v52, v5
	ds_bpermute_b32 v8, v52, v6
	v_ctz_i32_b32_e32 v3, v3
	s_delay_alu instid0(VALU_DEP_1)
	v_cmpx_lt_u32_e64 v49, v3
	s_cbranch_execz .LBB2306_77
; %bb.76:
	s_wait_dscnt 0x1
	v_add_co_u32 v4, vcc_lo, v5, v22
	s_wait_alu 0xfffd
	v_add_co_ci_u32_e64 v6, null, 0, v6, vcc_lo
	s_delay_alu instid0(VALU_DEP_2) | instskip(SKIP_2) | instid1(VALU_DEP_2)
	v_add_co_u32 v5, vcc_lo, 0, v4
	s_wait_dscnt 0x0
	s_wait_alu 0xfffd
	v_add_co_ci_u32_e64 v6, null, v8, v6, vcc_lo
.LBB2306_77:
	s_wait_alu 0xfffe
	s_or_b32 exec_lo, exec_lo, s3
	v_cmp_gt_u32_e32 vcc_lo, 30, v49
	v_add_nc_u32_e32 v55, 2, v49
	s_mov_b32 s3, exec_lo
	s_wait_dscnt 0x0
	s_wait_alu 0xfffd
	v_cndmask_b32_e64 v8, 0, 2, vcc_lo
	s_delay_alu instid0(VALU_DEP_1)
	v_add_lshl_u32 v54, v8, v49, 2
	ds_bpermute_b32 v22, v54, v4
	ds_bpermute_b32 v8, v54, v6
	v_cmpx_le_u32_e64 v55, v3
	s_cbranch_execz .LBB2306_79
; %bb.78:
	s_wait_dscnt 0x1
	v_add_co_u32 v4, vcc_lo, v5, v22
	s_wait_alu 0xfffd
	v_add_co_ci_u32_e64 v6, null, 0, v6, vcc_lo
	s_delay_alu instid0(VALU_DEP_2) | instskip(SKIP_2) | instid1(VALU_DEP_2)
	v_add_co_u32 v5, vcc_lo, 0, v4
	s_wait_dscnt 0x0
	s_wait_alu 0xfffd
	v_add_co_ci_u32_e64 v6, null, v8, v6, vcc_lo
.LBB2306_79:
	s_wait_alu 0xfffe
	s_or_b32 exec_lo, exec_lo, s3
	v_cmp_gt_u32_e32 vcc_lo, 28, v49
	v_add_nc_u32_e32 v57, 4, v49
	s_mov_b32 s3, exec_lo
	s_wait_dscnt 0x0
	s_wait_alu 0xfffd
	v_cndmask_b32_e64 v8, 0, 4, vcc_lo
	s_delay_alu instid0(VALU_DEP_1)
	v_add_lshl_u32 v56, v8, v49, 2
	ds_bpermute_b32 v22, v56, v4
	ds_bpermute_b32 v8, v56, v6
	v_cmpx_le_u32_e64 v57, v3
	;; [unrolled: 25-line block ×3, first 2 shown]
	s_cbranch_execz .LBB2306_83
; %bb.82:
	s_wait_dscnt 0x1
	v_add_co_u32 v4, vcc_lo, v5, v22
	s_wait_alu 0xfffd
	v_add_co_ci_u32_e64 v6, null, 0, v6, vcc_lo
	s_delay_alu instid0(VALU_DEP_2) | instskip(SKIP_2) | instid1(VALU_DEP_2)
	v_add_co_u32 v5, vcc_lo, 0, v4
	s_wait_dscnt 0x0
	s_wait_alu 0xfffd
	v_add_co_ci_u32_e64 v6, null, v8, v6, vcc_lo
.LBB2306_83:
	s_wait_alu 0xfffe
	s_or_b32 exec_lo, exec_lo, s3
	v_lshl_or_b32 v60, v49, 2, 64
	v_add_nc_u32_e32 v61, 16, v49
	s_mov_b32 s3, exec_lo
	s_wait_dscnt 0x0
	ds_bpermute_b32 v8, v60, v4
	ds_bpermute_b32 v4, v60, v6
	v_cmpx_le_u32_e64 v61, v3
	s_cbranch_execz .LBB2306_85
; %bb.84:
	s_wait_dscnt 0x1
	v_add_co_u32 v3, vcc_lo, v5, v8
	s_wait_alu 0xfffd
	v_add_co_ci_u32_e64 v6, null, 0, v6, vcc_lo
	s_delay_alu instid0(VALU_DEP_2) | instskip(SKIP_2) | instid1(VALU_DEP_2)
	v_add_co_u32 v5, vcc_lo, v3, 0
	s_wait_dscnt 0x0
	s_wait_alu 0xfffd
	v_add_co_ci_u32_e64 v6, null, v6, v4, vcc_lo
.LBB2306_85:
	s_wait_alu 0xfffe
	s_or_b32 exec_lo, exec_lo, s3
	v_mov_b32_e32 v22, 0
	s_branch .LBB2306_88
.LBB2306_86:                            ;   in Loop: Header=BB2306_88 Depth=1
	s_wait_alu 0xfffe
	s_or_b32 exec_lo, exec_lo, s3
	v_add_co_u32 v5, vcc_lo, v5, v3
	v_subrev_nc_u32_e32 v21, 32, v21
	s_wait_alu 0xfffd
	v_add_co_ci_u32_e64 v6, null, v6, v4, vcc_lo
	s_mov_b32 s3, 0
.LBB2306_87:                            ;   in Loop: Header=BB2306_88 Depth=1
	s_wait_alu 0xfffe
	s_and_b32 vcc_lo, exec_lo, s3
	s_wait_alu 0xfffe
	s_cbranch_vccnz .LBB2306_104
.LBB2306_88:                            ; =>This Loop Header: Depth=1
                                        ;     Child Loop BB2306_91 Depth 2
	v_and_b32_e32 v3, 0xff, v7
	s_mov_b32 s3, -1
	s_delay_alu instid0(VALU_DEP_1)
	v_cmp_ne_u16_e32 vcc_lo, 2, v3
	s_wait_dscnt 0x0
	v_dual_mov_b32 v3, v5 :: v_dual_mov_b32 v4, v6
                                        ; implicit-def: $vgpr5_vgpr6
	s_cmp_lg_u32 vcc_lo, exec_lo
	s_cbranch_scc1 .LBB2306_87
; %bb.89:                               ;   in Loop: Header=BB2306_88 Depth=1
	v_lshlrev_b64_e32 v[5:6], 4, v[21:22]
	s_mov_b32 s3, exec_lo
	s_delay_alu instid0(VALU_DEP_1) | instskip(SKIP_1) | instid1(VALU_DEP_2)
	v_add_co_u32 v23, vcc_lo, s4, v5
	s_wait_alu 0xfffd
	v_add_co_ci_u32_e64 v24, null, s5, v6, vcc_lo
	;;#ASMSTART
	global_load_b128 v[5:8], v[23:24] off scope:SCOPE_DEV	
s_wait_loadcnt 0x0
	;;#ASMEND
	v_and_b32_e32 v8, 0xff, v7
	s_delay_alu instid0(VALU_DEP_1)
	v_cmpx_eq_u16_e32 0, v8
	s_cbranch_execz .LBB2306_93
; %bb.90:                               ;   in Loop: Header=BB2306_88 Depth=1
	s_mov_b32 s6, 0
.LBB2306_91:                            ;   Parent Loop BB2306_88 Depth=1
                                        ; =>  This Inner Loop Header: Depth=2
	;;#ASMSTART
	global_load_b128 v[5:8], v[23:24] off scope:SCOPE_DEV	
s_wait_loadcnt 0x0
	;;#ASMEND
	v_and_b32_e32 v8, 0xff, v7
	s_delay_alu instid0(VALU_DEP_1)
	v_cmp_ne_u16_e32 vcc_lo, 0, v8
	s_wait_alu 0xfffe
	s_or_b32 s6, vcc_lo, s6
	s_wait_alu 0xfffe
	s_and_not1_b32 exec_lo, exec_lo, s6
	s_cbranch_execnz .LBB2306_91
; %bb.92:                               ;   in Loop: Header=BB2306_88 Depth=1
	s_or_b32 exec_lo, exec_lo, s6
.LBB2306_93:                            ;   in Loop: Header=BB2306_88 Depth=1
	s_wait_alu 0xfffe
	s_or_b32 exec_lo, exec_lo, s3
	v_dual_mov_b32 v23, v5 :: v_dual_and_b32 v8, 0xff, v7
	ds_bpermute_b32 v62, v52, v5
	ds_bpermute_b32 v24, v52, v6
	s_mov_b32 s3, exec_lo
	v_cmp_eq_u16_e32 vcc_lo, 2, v8
	s_wait_alu 0xfffd
	v_and_or_b32 v8, vcc_lo, v53, 0x80000000
	s_delay_alu instid0(VALU_DEP_1) | instskip(NEXT) | instid1(VALU_DEP_1)
	v_ctz_i32_b32_e32 v8, v8
	v_cmpx_lt_u32_e64 v49, v8
	s_cbranch_execz .LBB2306_95
; %bb.94:                               ;   in Loop: Header=BB2306_88 Depth=1
	s_wait_dscnt 0x1
	v_add_co_u32 v23, vcc_lo, v5, v62
	s_wait_alu 0xfffd
	v_add_co_ci_u32_e64 v6, null, 0, v6, vcc_lo
	s_delay_alu instid0(VALU_DEP_2) | instskip(SKIP_2) | instid1(VALU_DEP_2)
	v_add_co_u32 v5, vcc_lo, 0, v23
	s_wait_dscnt 0x0
	s_wait_alu 0xfffd
	v_add_co_ci_u32_e64 v6, null, v24, v6, vcc_lo
.LBB2306_95:                            ;   in Loop: Header=BB2306_88 Depth=1
	s_wait_alu 0xfffe
	s_or_b32 exec_lo, exec_lo, s3
	s_wait_dscnt 0x1
	ds_bpermute_b32 v62, v54, v23
	s_wait_dscnt 0x1
	ds_bpermute_b32 v24, v54, v6
	s_mov_b32 s3, exec_lo
	v_cmpx_le_u32_e64 v55, v8
	s_cbranch_execz .LBB2306_97
; %bb.96:                               ;   in Loop: Header=BB2306_88 Depth=1
	s_wait_dscnt 0x1
	v_add_co_u32 v23, vcc_lo, v5, v62
	s_wait_alu 0xfffd
	v_add_co_ci_u32_e64 v6, null, 0, v6, vcc_lo
	s_delay_alu instid0(VALU_DEP_2) | instskip(SKIP_2) | instid1(VALU_DEP_2)
	v_add_co_u32 v5, vcc_lo, 0, v23
	s_wait_dscnt 0x0
	s_wait_alu 0xfffd
	v_add_co_ci_u32_e64 v6, null, v24, v6, vcc_lo
.LBB2306_97:                            ;   in Loop: Header=BB2306_88 Depth=1
	s_wait_alu 0xfffe
	s_or_b32 exec_lo, exec_lo, s3
	s_wait_dscnt 0x1
	ds_bpermute_b32 v62, v56, v23
	s_wait_dscnt 0x1
	ds_bpermute_b32 v24, v56, v6
	s_mov_b32 s3, exec_lo
	v_cmpx_le_u32_e64 v57, v8
	;; [unrolled: 20-line block ×3, first 2 shown]
	s_cbranch_execz .LBB2306_101
; %bb.100:                              ;   in Loop: Header=BB2306_88 Depth=1
	s_wait_dscnt 0x1
	v_add_co_u32 v23, vcc_lo, v5, v62
	s_wait_alu 0xfffd
	v_add_co_ci_u32_e64 v6, null, 0, v6, vcc_lo
	s_delay_alu instid0(VALU_DEP_2) | instskip(SKIP_2) | instid1(VALU_DEP_2)
	v_add_co_u32 v5, vcc_lo, 0, v23
	s_wait_dscnt 0x0
	s_wait_alu 0xfffd
	v_add_co_ci_u32_e64 v6, null, v24, v6, vcc_lo
.LBB2306_101:                           ;   in Loop: Header=BB2306_88 Depth=1
	s_wait_alu 0xfffe
	s_or_b32 exec_lo, exec_lo, s3
	s_wait_dscnt 0x0
	ds_bpermute_b32 v24, v60, v23
	ds_bpermute_b32 v23, v60, v6
	s_mov_b32 s3, exec_lo
	v_cmpx_le_u32_e64 v61, v8
	s_cbranch_execz .LBB2306_86
; %bb.102:                              ;   in Loop: Header=BB2306_88 Depth=1
	s_wait_dscnt 0x1
	v_add_co_u32 v5, vcc_lo, v5, v24
	s_wait_alu 0xfffd
	v_add_co_ci_u32_e64 v6, null, 0, v6, vcc_lo
	s_delay_alu instid0(VALU_DEP_2) | instskip(SKIP_2) | instid1(VALU_DEP_2)
	v_add_co_u32 v5, vcc_lo, v5, 0
	s_wait_dscnt 0x0
	s_wait_alu 0xfffd
	v_add_co_ci_u32_e64 v6, null, v6, v23, vcc_lo
	s_branch .LBB2306_86
.LBB2306_103:
                                        ; implicit-def: $vgpr3_vgpr4
                                        ; implicit-def: $vgpr5_vgpr6
	s_wait_alu 0xfffe
	s_and_b32 vcc_lo, exec_lo, s1
	s_wait_alu 0xfffe
	s_cbranch_vccnz .LBB2306_109
	s_branch .LBB2306_136
.LBB2306_104:
	s_and_saveexec_b32 s3, s1
	s_cbranch_execz .LBB2306_106
; %bb.105:
	s_add_co_i32 s6, ttmp9, 32
	s_mov_b32 s7, 0
	v_add_co_u32 v5, vcc_lo, v3, v1
	s_wait_alu 0xfffe
	s_lshl_b64 s[6:7], s[6:7], 4
	v_dual_mov_b32 v7, 2 :: v_dual_mov_b32 v8, 0
	s_wait_alu 0xfffe
	s_add_nc_u64 s[6:7], s[4:5], s[6:7]
	s_wait_alu 0xfffd
	v_add_co_ci_u32_e64 v6, null, v4, v2, vcc_lo
	s_wait_alu 0xfffe
	v_dual_mov_b32 v22, s7 :: v_dual_mov_b32 v21, s6
	;;#ASMSTART
	global_store_b128 v[21:22], v[5:8] off scope:SCOPE_DEV	
s_wait_storecnt 0x0
	;;#ASMEND
	ds_store_b128 v8, v[1:4] offset:13824
.LBB2306_106:
	s_wait_alu 0xfffe
	s_or_b32 exec_lo, exec_lo, s3
	v_cmp_eq_u32_e32 vcc_lo, 0, v0
	s_and_b32 exec_lo, exec_lo, vcc_lo
; %bb.107:
	v_mov_b32_e32 v1, 0
	ds_store_b64 v1, v[3:4] offset:88
.LBB2306_108:
	s_wait_alu 0xfffe
	s_or_b32 exec_lo, exec_lo, s2
	v_cndmask_b32_e64 v8, 0, v20, s1
	v_cmp_ne_u32_e32 vcc_lo, 0, v0
	v_mov_b32_e32 v1, 0
	s_wait_loadcnt_dscnt 0x0
	s_barrier_signal -1
	s_barrier_wait -1
	global_inv scope:SCOPE_SE
	s_wait_alu 0xfffd
	v_cndmask_b32_e32 v8, 0, v8, vcc_lo
	ds_load_b64 v[5:6], v1 offset:88
	s_wait_loadcnt_dscnt 0x0
	s_barrier_signal -1
	s_barrier_wait -1
	global_inv scope:SCOPE_SE
	ds_load_b128 v[1:4], v1 offset:13824
	v_cndmask_b32_e64 v7, v51, v19, s1
	s_delay_alu instid0(VALU_DEP_1) | instskip(NEXT) | instid1(VALU_DEP_1)
	v_cndmask_b32_e32 v7, 0, v7, vcc_lo
	v_add_co_u32 v5, vcc_lo, v5, v7
	s_wait_alu 0xfffd
	v_add_co_ci_u32_e64 v6, null, v6, v8, vcc_lo
	s_branch .LBB2306_136
.LBB2306_109:
	s_wait_dscnt 0x0
	v_dual_mov_b32 v2, 0 :: v_dual_mov_b32 v3, v17
	v_mov_b32_dpp v4, v17 row_shr:1 row_mask:0xf bank_mask:0xf
	s_delay_alu instid0(VALU_DEP_2)
	v_mov_b32_dpp v1, v2 row_shr:1 row_mask:0xf bank_mask:0xf
	s_and_saveexec_b32 s1, s0
; %bb.110:
	s_delay_alu instid0(VALU_DEP_2) | instskip(SKIP_2) | instid1(VALU_DEP_2)
	v_add_co_u32 v3, vcc_lo, v17, v4
	s_wait_alu 0xfffd
	v_add_co_ci_u32_e64 v2, null, 0, v18, vcc_lo
	v_add_co_u32 v17, vcc_lo, 0, v3
	s_wait_alu 0xfffd
	s_delay_alu instid0(VALU_DEP_2) | instskip(NEXT) | instid1(VALU_DEP_1)
	v_add_co_ci_u32_e64 v18, null, v1, v2, vcc_lo
	v_mov_b32_e32 v2, v18
; %bb.111:
	s_wait_alu 0xfffe
	s_or_b32 exec_lo, exec_lo, s1
	v_mov_b32_dpp v1, v3 row_shr:2 row_mask:0xf bank_mask:0xf
	s_delay_alu instid0(VALU_DEP_2)
	v_mov_b32_dpp v4, v2 row_shr:2 row_mask:0xf bank_mask:0xf
	v_cmp_lt_u32_e32 vcc_lo, 1, v50
	s_and_saveexec_b32 s2, vcc_lo
; %bb.112:
	s_delay_alu instid0(VALU_DEP_3) | instskip(SKIP_2) | instid1(VALU_DEP_2)
	v_add_co_u32 v3, s1, v17, v1
	s_wait_alu 0xf1ff
	v_add_co_ci_u32_e64 v2, null, 0, v18, s1
	v_add_co_u32 v1, s1, 0, v3
	s_wait_alu 0xf1ff
	s_delay_alu instid0(VALU_DEP_2) | instskip(NEXT) | instid1(VALU_DEP_1)
	v_add_co_ci_u32_e64 v2, null, v4, v2, s1
	v_dual_mov_b32 v18, v2 :: v_dual_mov_b32 v17, v1
; %bb.113:
	s_wait_alu 0xfffe
	s_or_b32 exec_lo, exec_lo, s2
	v_mov_b32_dpp v1, v3 row_shr:4 row_mask:0xf bank_mask:0xf
	v_mov_b32_dpp v4, v2 row_shr:4 row_mask:0xf bank_mask:0xf
	v_cmp_lt_u32_e64 s1, 3, v50
	s_and_saveexec_b32 s3, s1
; %bb.114:
	v_add_co_u32 v3, s2, v17, v1
	s_wait_alu 0xf1ff
	v_add_co_ci_u32_e64 v2, null, 0, v18, s2
	s_delay_alu instid0(VALU_DEP_2) | instskip(SKIP_1) | instid1(VALU_DEP_2)
	v_add_co_u32 v1, s2, 0, v3
	s_wait_alu 0xf1ff
	v_add_co_ci_u32_e64 v2, null, v4, v2, s2
	s_delay_alu instid0(VALU_DEP_1)
	v_dual_mov_b32 v18, v2 :: v_dual_mov_b32 v17, v1
; %bb.115:
	s_wait_alu 0xfffe
	s_or_b32 exec_lo, exec_lo, s3
	v_mov_b32_dpp v4, v3 row_shr:8 row_mask:0xf bank_mask:0xf
	v_mov_b32_dpp v1, v2 row_shr:8 row_mask:0xf bank_mask:0xf
	v_cmp_lt_u32_e64 s2, 7, v50
	s_and_saveexec_b32 s6, s2
; %bb.116:
	v_add_co_u32 v3, s3, v17, v4
	s_wait_alu 0xf1ff
	v_add_co_ci_u32_e64 v2, null, 0, v18, s3
	s_delay_alu instid0(VALU_DEP_2) | instskip(SKIP_1) | instid1(VALU_DEP_2)
	v_add_co_u32 v17, s3, 0, v3
	s_wait_alu 0xf1ff
	v_add_co_ci_u32_e64 v18, null, v1, v2, s3
	s_delay_alu instid0(VALU_DEP_1)
	v_mov_b32_e32 v2, v18
; %bb.117:
	s_wait_alu 0xfffe
	s_or_b32 exec_lo, exec_lo, s6
	ds_swizzle_b32 v3, v3 offset:swizzle(BROADCAST,32,15)
	ds_swizzle_b32 v1, v2 offset:swizzle(BROADCAST,32,15)
	v_and_b32_e32 v2, 16, v49
	s_mov_b32 s6, exec_lo
	s_delay_alu instid0(VALU_DEP_1)
	v_cmpx_ne_u32_e32 0, v2
	s_cbranch_execz .LBB2306_119
; %bb.118:
	s_wait_dscnt 0x1
	v_add_co_u32 v2, s3, v17, v3
	s_wait_alu 0xf1ff
	v_add_co_ci_u32_e64 v3, null, 0, v18, s3
	s_delay_alu instid0(VALU_DEP_2) | instskip(SKIP_2) | instid1(VALU_DEP_2)
	v_add_co_u32 v17, s3, v2, 0
	s_wait_dscnt 0x0
	s_wait_alu 0xf1ff
	v_add_co_ci_u32_e64 v18, null, v3, v1, s3
.LBB2306_119:
	s_wait_alu 0xfffe
	s_or_b32 exec_lo, exec_lo, s6
	s_wait_dscnt 0x0
	v_and_b32_e32 v1, 0x1e0, v0
	v_lshrrev_b32_e32 v3, 5, v0
	s_mov_b32 s6, exec_lo
	s_delay_alu instid0(VALU_DEP_2) | instskip(NEXT) | instid1(VALU_DEP_1)
	v_min_u32_e32 v1, 0x160, v1
	v_or_b32_e32 v1, 31, v1
	s_delay_alu instid0(VALU_DEP_1)
	v_cmpx_eq_u32_e64 v0, v1
; %bb.120:
	v_lshlrev_b32_e32 v1, 3, v3
	ds_store_b64 v1, v[17:18]
; %bb.121:
	s_wait_alu 0xfffe
	s_or_b32 exec_lo, exec_lo, s6
	s_delay_alu instid0(SALU_CYCLE_1)
	s_mov_b32 s6, exec_lo
	s_wait_loadcnt_dscnt 0x0
	s_barrier_signal -1
	s_barrier_wait -1
	global_inv scope:SCOPE_SE
	v_cmpx_gt_u32_e32 12, v0
	s_cbranch_execz .LBB2306_131
; %bb.122:
	v_lshlrev_b32_e32 v4, 3, v0
	ds_load_b64 v[1:2], v4
	s_wait_dscnt 0x0
	v_mov_b32_dpp v7, v1 row_shr:1 row_mask:0xf bank_mask:0xf
	v_mov_b32_dpp v6, v2 row_shr:1 row_mask:0xf bank_mask:0xf
	v_mov_b32_e32 v5, v1
	s_and_saveexec_b32 s3, s0
; %bb.123:
	s_delay_alu instid0(VALU_DEP_3) | instskip(SKIP_2) | instid1(VALU_DEP_2)
	v_add_co_u32 v5, s0, v1, v7
	s_wait_alu 0xf1ff
	v_add_co_ci_u32_e64 v2, null, 0, v2, s0
	v_add_co_u32 v1, s0, 0, v5
	s_wait_alu 0xf1ff
	s_delay_alu instid0(VALU_DEP_2)
	v_add_co_ci_u32_e64 v2, null, v6, v2, s0
; %bb.124:
	s_wait_alu 0xfffe
	s_or_b32 exec_lo, exec_lo, s3
	v_mov_b32_dpp v7, v5 row_shr:2 row_mask:0xf bank_mask:0xf
	s_delay_alu instid0(VALU_DEP_2)
	v_mov_b32_dpp v6, v2 row_shr:2 row_mask:0xf bank_mask:0xf
	s_and_saveexec_b32 s0, vcc_lo
; %bb.125:
	s_delay_alu instid0(VALU_DEP_2) | instskip(SKIP_2) | instid1(VALU_DEP_2)
	v_add_co_u32 v5, vcc_lo, v1, v7
	s_wait_alu 0xfffd
	v_add_co_ci_u32_e64 v2, null, 0, v2, vcc_lo
	v_add_co_u32 v1, vcc_lo, 0, v5
	s_wait_alu 0xfffd
	s_delay_alu instid0(VALU_DEP_2)
	v_add_co_ci_u32_e64 v2, null, v6, v2, vcc_lo
; %bb.126:
	s_wait_alu 0xfffe
	s_or_b32 exec_lo, exec_lo, s0
	v_mov_b32_dpp v7, v5 row_shr:4 row_mask:0xf bank_mask:0xf
	s_delay_alu instid0(VALU_DEP_2)
	v_mov_b32_dpp v6, v2 row_shr:4 row_mask:0xf bank_mask:0xf
	s_and_saveexec_b32 s0, s1
; %bb.127:
	s_delay_alu instid0(VALU_DEP_2) | instskip(SKIP_2) | instid1(VALU_DEP_2)
	v_add_co_u32 v5, vcc_lo, v1, v7
	s_wait_alu 0xfffd
	v_add_co_ci_u32_e64 v2, null, 0, v2, vcc_lo
	v_add_co_u32 v1, vcc_lo, 0, v5
	s_wait_alu 0xfffd
	s_delay_alu instid0(VALU_DEP_2)
	v_add_co_ci_u32_e64 v2, null, v6, v2, vcc_lo
; %bb.128:
	s_wait_alu 0xfffe
	s_or_b32 exec_lo, exec_lo, s0
	v_mov_b32_dpp v6, v5 row_shr:8 row_mask:0xf bank_mask:0xf
	s_delay_alu instid0(VALU_DEP_2)
	v_mov_b32_dpp v5, v2 row_shr:8 row_mask:0xf bank_mask:0xf
	s_and_saveexec_b32 s0, s2
; %bb.129:
	s_delay_alu instid0(VALU_DEP_2) | instskip(SKIP_2) | instid1(VALU_DEP_2)
	v_add_co_u32 v1, vcc_lo, v1, v6
	s_wait_alu 0xfffd
	v_add_co_ci_u32_e64 v2, null, 0, v2, vcc_lo
	v_add_co_u32 v1, vcc_lo, v1, 0
	s_wait_alu 0xfffd
	s_delay_alu instid0(VALU_DEP_2)
	v_add_co_ci_u32_e64 v2, null, v2, v5, vcc_lo
; %bb.130:
	s_wait_alu 0xfffe
	s_or_b32 exec_lo, exec_lo, s0
	ds_store_b64 v4, v[1:2]
.LBB2306_131:
	s_wait_alu 0xfffe
	s_or_b32 exec_lo, exec_lo, s6
	s_delay_alu instid0(SALU_CYCLE_1)
	s_mov_b32 s0, exec_lo
	v_mov_b32_e32 v5, 0
	v_mov_b32_e32 v6, 0
	s_wait_loadcnt_dscnt 0x0
	s_barrier_signal -1
	s_barrier_wait -1
	global_inv scope:SCOPE_SE
	v_cmpx_lt_u32_e32 31, v0
; %bb.132:
	v_lshl_add_u32 v1, v3, 3, -8
	ds_load_b64 v[5:6], v1
; %bb.133:
	s_wait_alu 0xfffe
	s_or_b32 exec_lo, exec_lo, s0
	v_sub_co_u32 v1, vcc_lo, v49, 1
	s_wait_dscnt 0x0
	v_add_nc_u32_e32 v2, v5, v17
	v_mov_b32_e32 v4, 0
	s_delay_alu instid0(VALU_DEP_3) | instskip(SKIP_1) | instid1(VALU_DEP_1)
	v_cmp_gt_i32_e64 s0, 0, v1
	s_wait_alu 0xf1ff
	v_cndmask_b32_e64 v1, v1, v49, s0
	v_cmp_eq_u32_e64 s0, 0, v0
	s_delay_alu instid0(VALU_DEP_2)
	v_lshlrev_b32_e32 v1, 2, v1
	ds_bpermute_b32 v6, v1, v2
	ds_load_b64 v[1:2], v4 offset:88
	s_and_saveexec_b32 s1, s0
	s_cbranch_execz .LBB2306_135
; %bb.134:
	s_wait_kmcnt 0x0
	s_add_nc_u64 s[2:3], s[4:5], 0x200
	s_wait_alu 0xfffe
	v_dual_mov_b32 v3, 2 :: v_dual_mov_b32 v8, s3
	v_mov_b32_e32 v7, s2
	s_wait_dscnt 0x0
	;;#ASMSTART
	global_store_b128 v[7:8], v[1:4] off scope:SCOPE_DEV	
s_wait_storecnt 0x0
	;;#ASMEND
.LBB2306_135:
	s_wait_alu 0xfffe
	s_or_b32 exec_lo, exec_lo, s1
	s_wait_dscnt 0x1
	s_wait_alu 0xfffd
	v_cndmask_b32_e32 v5, v6, v5, vcc_lo
	v_mov_b32_e32 v3, 0
	v_mov_b32_e32 v4, 0
	s_wait_loadcnt_dscnt 0x0
	s_barrier_signal -1
	v_cndmask_b32_e64 v5, v5, 0, s0
	s_barrier_wait -1
	global_inv scope:SCOPE_SE
.LBB2306_136:
	s_wait_dscnt 0x0
	v_cmp_gt_u64_e32 vcc_lo, 0x181, v[1:2]
	v_lshrrev_b32_e32 v18, 16, v36
	v_lshrrev_b32_e32 v19, 8, v36
	;; [unrolled: 1-line block ×8, first 2 shown]
	s_cbranch_vccz .LBB2306_139
; %bb.137:
	v_cmp_eq_u32_e32 vcc_lo, 0, v0
	s_and_b32 s0, vcc_lo, s19
	s_wait_alu 0xfffe
	s_and_saveexec_b32 s1, s0
	s_cbranch_execnz .LBB2306_176
.LBB2306_138:
	s_endpgm
.LBB2306_139:
	v_and_b32_e32 v22, 1, v42
	s_mov_b32 s0, exec_lo
	s_delay_alu instid0(VALU_DEP_1)
	v_cmpx_eq_u32_e32 1, v22
; %bb.140:
	v_sub_nc_u32_e32 v22, v5, v3
	s_delay_alu instid0(VALU_DEP_1)
	v_lshlrev_b32_e32 v22, 1, v22
	ds_store_b16 v22, v26
; %bb.141:
	s_wait_alu 0xfffe
	s_or_b32 exec_lo, exec_lo, s0
	v_and_b32_e32 v21, 1, v21
	v_add_co_u32 v5, null, v5, v47
	s_mov_b32 s0, exec_lo
	v_cmpx_eq_u32_e32 1, v21
; %bb.142:
	v_sub_nc_u32_e32 v21, v5, v3
	s_delay_alu instid0(VALU_DEP_1)
	v_lshlrev_b32_e32 v21, 1, v21
	ds_store_b16_d16_hi v21, v26
; %bb.143:
	s_wait_alu 0xfffe
	s_or_b32 exec_lo, exec_lo, s0
	v_and_b32_e32 v20, 1, v20
	v_add_co_u32 v5, null, v5, v45
	s_mov_b32 s0, exec_lo
	v_cmpx_eq_u32_e32 1, v20
; %bb.144:
	v_sub_nc_u32_e32 v20, v5, v3
	s_delay_alu instid0(VALU_DEP_1)
	v_lshlrev_b32_e32 v20, 1, v20
	ds_store_b16 v20, v15
; %bb.145:
	s_wait_alu 0xfffe
	s_or_b32 exec_lo, exec_lo, s0
	v_and_b32_e32 v20, 1, v46
	v_add_co_u32 v5, null, v5, v48
	s_mov_b32 s0, exec_lo
	v_cmpx_eq_u32_e32 1, v20
; %bb.146:
	v_sub_nc_u32_e32 v20, v5, v3
	s_delay_alu instid0(VALU_DEP_1)
	v_lshlrev_b32_e32 v20, 1, v20
	ds_store_b16_d16_hi v20, v15
; %bb.147:
	s_wait_alu 0xfffe
	s_or_b32 exec_lo, exec_lo, s0
	v_and_b32_e32 v15, 1, v36
	v_add_co_u32 v5, null, v5, v46
	s_mov_b32 s0, exec_lo
	;; [unrolled: 24-line block ×7, first 2 shown]
	v_cmpx_eq_u32_e32 1, v6
; %bb.168:
	v_sub_nc_u32_e32 v6, v5, v3
	s_delay_alu instid0(VALU_DEP_1)
	v_lshlrev_b32_e32 v6, 1, v6
	ds_store_b16 v6, v9
; %bb.169:
	s_wait_alu 0xfffe
	s_or_b32 exec_lo, exec_lo, s0
	v_and_b32_e32 v6, 1, v31
	v_add_co_u32 v5, null, v5, v32
	s_mov_b32 s0, exec_lo
	v_cmpx_eq_u32_e32 1, v6
; %bb.170:
	v_sub_nc_u32_e32 v6, v5, v3
	s_delay_alu instid0(VALU_DEP_1)
	v_lshlrev_b32_e32 v6, 1, v6
	ds_store_b16 v6, v25
; %bb.171:
	s_wait_alu 0xfffe
	s_or_b32 exec_lo, exec_lo, s0
	v_and_b32_e32 v6, 1, v27
	v_add_co_u32 v5, null, v5, v31
	s_mov_b32 s0, exec_lo
	v_cmpx_eq_u32_e32 1, v6
; %bb.172:
	v_sub_nc_u32_e32 v6, v5, v3
	s_delay_alu instid0(VALU_DEP_1)
	v_lshlrev_b32_e32 v6, 1, v6
	ds_store_b16_d16_hi v6, v25
; %bb.173:
	s_wait_alu 0xfffe
	s_or_b32 exec_lo, exec_lo, s0
	s_and_saveexec_b32 s0, s24
; %bb.174:
	v_sub_nc_u32_e32 v6, v29, v3
	s_delay_alu instid0(VALU_DEP_1)
	v_add_lshl_u32 v5, v6, v5, 1
	ds_store_b16 v5, v10
; %bb.175:
	s_wait_alu 0xfffe
	s_or_b32 exec_lo, exec_lo, s0
	s_wait_loadcnt_dscnt 0x0
	s_barrier_signal -1
	s_barrier_wait -1
	global_inv scope:SCOPE_SE
	v_cmp_eq_u32_e32 vcc_lo, 0, v0
	s_and_b32 s0, vcc_lo, s19
	s_wait_alu 0xfffe
	s_and_saveexec_b32 s1, s0
	s_cbranch_execz .LBB2306_138
.LBB2306_176:
	s_wait_kmcnt 0x0
	v_add_co_u32 v0, vcc_lo, v1, s22
	s_wait_alu 0xfffd
	v_add_co_ci_u32_e64 v1, null, s23, v2, vcc_lo
	v_mov_b32_e32 v2, 0
	s_delay_alu instid0(VALU_DEP_3) | instskip(SKIP_1) | instid1(VALU_DEP_3)
	v_add_co_u32 v0, vcc_lo, v0, v3
	s_wait_alu 0xfffd
	v_add_co_ci_u32_e64 v1, null, v1, v4, vcc_lo
	global_store_b64 v2, v[0:1], s[20:21]
	s_endpgm
	.section	.rodata,"a",@progbits
	.p2align	6, 0x0
	.amdhsa_kernel _ZN7rocprim17ROCPRIM_400000_NS6detail17trampoline_kernelINS0_14default_configENS1_25partition_config_selectorILNS1_17partition_subalgoE6EsNS0_10empty_typeEbEEZZNS1_14partition_implILS5_6ELb0ES3_mN6thrust23THRUST_200600_302600_NS6detail15normal_iteratorINSA_10device_ptrIsEEEEPS6_SG_NS0_5tupleIJNSA_16discard_iteratorINSA_11use_defaultEEES6_EEENSH_IJSG_SG_EEES6_PlJNSB_9not_fun_tI7is_trueIsEEEEEE10hipError_tPvRmT3_T4_T5_T6_T7_T9_mT8_P12ihipStream_tbDpT10_ENKUlT_T0_E_clISt17integral_constantIbLb0EES1B_EEDaS16_S17_EUlS16_E_NS1_11comp_targetILNS1_3genE10ELNS1_11target_archE1200ELNS1_3gpuE4ELNS1_3repE0EEENS1_30default_config_static_selectorELNS0_4arch9wavefront6targetE0EEEvT1_
		.amdhsa_group_segment_fixed_size 13840
		.amdhsa_private_segment_fixed_size 0
		.amdhsa_kernarg_size 120
		.amdhsa_user_sgpr_count 2
		.amdhsa_user_sgpr_dispatch_ptr 0
		.amdhsa_user_sgpr_queue_ptr 0
		.amdhsa_user_sgpr_kernarg_segment_ptr 1
		.amdhsa_user_sgpr_dispatch_id 0
		.amdhsa_user_sgpr_private_segment_size 0
		.amdhsa_wavefront_size32 1
		.amdhsa_uses_dynamic_stack 0
		.amdhsa_enable_private_segment 0
		.amdhsa_system_sgpr_workgroup_id_x 1
		.amdhsa_system_sgpr_workgroup_id_y 0
		.amdhsa_system_sgpr_workgroup_id_z 0
		.amdhsa_system_sgpr_workgroup_info 0
		.amdhsa_system_vgpr_workitem_id 0
		.amdhsa_next_free_vgpr 63
		.amdhsa_next_free_sgpr 26
		.amdhsa_reserve_vcc 1
		.amdhsa_float_round_mode_32 0
		.amdhsa_float_round_mode_16_64 0
		.amdhsa_float_denorm_mode_32 3
		.amdhsa_float_denorm_mode_16_64 3
		.amdhsa_fp16_overflow 0
		.amdhsa_workgroup_processor_mode 1
		.amdhsa_memory_ordered 1
		.amdhsa_forward_progress 1
		.amdhsa_inst_pref_size 74
		.amdhsa_round_robin_scheduling 0
		.amdhsa_exception_fp_ieee_invalid_op 0
		.amdhsa_exception_fp_denorm_src 0
		.amdhsa_exception_fp_ieee_div_zero 0
		.amdhsa_exception_fp_ieee_overflow 0
		.amdhsa_exception_fp_ieee_underflow 0
		.amdhsa_exception_fp_ieee_inexact 0
		.amdhsa_exception_int_div_zero 0
	.end_amdhsa_kernel
	.section	.text._ZN7rocprim17ROCPRIM_400000_NS6detail17trampoline_kernelINS0_14default_configENS1_25partition_config_selectorILNS1_17partition_subalgoE6EsNS0_10empty_typeEbEEZZNS1_14partition_implILS5_6ELb0ES3_mN6thrust23THRUST_200600_302600_NS6detail15normal_iteratorINSA_10device_ptrIsEEEEPS6_SG_NS0_5tupleIJNSA_16discard_iteratorINSA_11use_defaultEEES6_EEENSH_IJSG_SG_EEES6_PlJNSB_9not_fun_tI7is_trueIsEEEEEE10hipError_tPvRmT3_T4_T5_T6_T7_T9_mT8_P12ihipStream_tbDpT10_ENKUlT_T0_E_clISt17integral_constantIbLb0EES1B_EEDaS16_S17_EUlS16_E_NS1_11comp_targetILNS1_3genE10ELNS1_11target_archE1200ELNS1_3gpuE4ELNS1_3repE0EEENS1_30default_config_static_selectorELNS0_4arch9wavefront6targetE0EEEvT1_,"axG",@progbits,_ZN7rocprim17ROCPRIM_400000_NS6detail17trampoline_kernelINS0_14default_configENS1_25partition_config_selectorILNS1_17partition_subalgoE6EsNS0_10empty_typeEbEEZZNS1_14partition_implILS5_6ELb0ES3_mN6thrust23THRUST_200600_302600_NS6detail15normal_iteratorINSA_10device_ptrIsEEEEPS6_SG_NS0_5tupleIJNSA_16discard_iteratorINSA_11use_defaultEEES6_EEENSH_IJSG_SG_EEES6_PlJNSB_9not_fun_tI7is_trueIsEEEEEE10hipError_tPvRmT3_T4_T5_T6_T7_T9_mT8_P12ihipStream_tbDpT10_ENKUlT_T0_E_clISt17integral_constantIbLb0EES1B_EEDaS16_S17_EUlS16_E_NS1_11comp_targetILNS1_3genE10ELNS1_11target_archE1200ELNS1_3gpuE4ELNS1_3repE0EEENS1_30default_config_static_selectorELNS0_4arch9wavefront6targetE0EEEvT1_,comdat
.Lfunc_end2306:
	.size	_ZN7rocprim17ROCPRIM_400000_NS6detail17trampoline_kernelINS0_14default_configENS1_25partition_config_selectorILNS1_17partition_subalgoE6EsNS0_10empty_typeEbEEZZNS1_14partition_implILS5_6ELb0ES3_mN6thrust23THRUST_200600_302600_NS6detail15normal_iteratorINSA_10device_ptrIsEEEEPS6_SG_NS0_5tupleIJNSA_16discard_iteratorINSA_11use_defaultEEES6_EEENSH_IJSG_SG_EEES6_PlJNSB_9not_fun_tI7is_trueIsEEEEEE10hipError_tPvRmT3_T4_T5_T6_T7_T9_mT8_P12ihipStream_tbDpT10_ENKUlT_T0_E_clISt17integral_constantIbLb0EES1B_EEDaS16_S17_EUlS16_E_NS1_11comp_targetILNS1_3genE10ELNS1_11target_archE1200ELNS1_3gpuE4ELNS1_3repE0EEENS1_30default_config_static_selectorELNS0_4arch9wavefront6targetE0EEEvT1_, .Lfunc_end2306-_ZN7rocprim17ROCPRIM_400000_NS6detail17trampoline_kernelINS0_14default_configENS1_25partition_config_selectorILNS1_17partition_subalgoE6EsNS0_10empty_typeEbEEZZNS1_14partition_implILS5_6ELb0ES3_mN6thrust23THRUST_200600_302600_NS6detail15normal_iteratorINSA_10device_ptrIsEEEEPS6_SG_NS0_5tupleIJNSA_16discard_iteratorINSA_11use_defaultEEES6_EEENSH_IJSG_SG_EEES6_PlJNSB_9not_fun_tI7is_trueIsEEEEEE10hipError_tPvRmT3_T4_T5_T6_T7_T9_mT8_P12ihipStream_tbDpT10_ENKUlT_T0_E_clISt17integral_constantIbLb0EES1B_EEDaS16_S17_EUlS16_E_NS1_11comp_targetILNS1_3genE10ELNS1_11target_archE1200ELNS1_3gpuE4ELNS1_3repE0EEENS1_30default_config_static_selectorELNS0_4arch9wavefront6targetE0EEEvT1_
                                        ; -- End function
	.set _ZN7rocprim17ROCPRIM_400000_NS6detail17trampoline_kernelINS0_14default_configENS1_25partition_config_selectorILNS1_17partition_subalgoE6EsNS0_10empty_typeEbEEZZNS1_14partition_implILS5_6ELb0ES3_mN6thrust23THRUST_200600_302600_NS6detail15normal_iteratorINSA_10device_ptrIsEEEEPS6_SG_NS0_5tupleIJNSA_16discard_iteratorINSA_11use_defaultEEES6_EEENSH_IJSG_SG_EEES6_PlJNSB_9not_fun_tI7is_trueIsEEEEEE10hipError_tPvRmT3_T4_T5_T6_T7_T9_mT8_P12ihipStream_tbDpT10_ENKUlT_T0_E_clISt17integral_constantIbLb0EES1B_EEDaS16_S17_EUlS16_E_NS1_11comp_targetILNS1_3genE10ELNS1_11target_archE1200ELNS1_3gpuE4ELNS1_3repE0EEENS1_30default_config_static_selectorELNS0_4arch9wavefront6targetE0EEEvT1_.num_vgpr, 63
	.set _ZN7rocprim17ROCPRIM_400000_NS6detail17trampoline_kernelINS0_14default_configENS1_25partition_config_selectorILNS1_17partition_subalgoE6EsNS0_10empty_typeEbEEZZNS1_14partition_implILS5_6ELb0ES3_mN6thrust23THRUST_200600_302600_NS6detail15normal_iteratorINSA_10device_ptrIsEEEEPS6_SG_NS0_5tupleIJNSA_16discard_iteratorINSA_11use_defaultEEES6_EEENSH_IJSG_SG_EEES6_PlJNSB_9not_fun_tI7is_trueIsEEEEEE10hipError_tPvRmT3_T4_T5_T6_T7_T9_mT8_P12ihipStream_tbDpT10_ENKUlT_T0_E_clISt17integral_constantIbLb0EES1B_EEDaS16_S17_EUlS16_E_NS1_11comp_targetILNS1_3genE10ELNS1_11target_archE1200ELNS1_3gpuE4ELNS1_3repE0EEENS1_30default_config_static_selectorELNS0_4arch9wavefront6targetE0EEEvT1_.num_agpr, 0
	.set _ZN7rocprim17ROCPRIM_400000_NS6detail17trampoline_kernelINS0_14default_configENS1_25partition_config_selectorILNS1_17partition_subalgoE6EsNS0_10empty_typeEbEEZZNS1_14partition_implILS5_6ELb0ES3_mN6thrust23THRUST_200600_302600_NS6detail15normal_iteratorINSA_10device_ptrIsEEEEPS6_SG_NS0_5tupleIJNSA_16discard_iteratorINSA_11use_defaultEEES6_EEENSH_IJSG_SG_EEES6_PlJNSB_9not_fun_tI7is_trueIsEEEEEE10hipError_tPvRmT3_T4_T5_T6_T7_T9_mT8_P12ihipStream_tbDpT10_ENKUlT_T0_E_clISt17integral_constantIbLb0EES1B_EEDaS16_S17_EUlS16_E_NS1_11comp_targetILNS1_3genE10ELNS1_11target_archE1200ELNS1_3gpuE4ELNS1_3repE0EEENS1_30default_config_static_selectorELNS0_4arch9wavefront6targetE0EEEvT1_.numbered_sgpr, 26
	.set _ZN7rocprim17ROCPRIM_400000_NS6detail17trampoline_kernelINS0_14default_configENS1_25partition_config_selectorILNS1_17partition_subalgoE6EsNS0_10empty_typeEbEEZZNS1_14partition_implILS5_6ELb0ES3_mN6thrust23THRUST_200600_302600_NS6detail15normal_iteratorINSA_10device_ptrIsEEEEPS6_SG_NS0_5tupleIJNSA_16discard_iteratorINSA_11use_defaultEEES6_EEENSH_IJSG_SG_EEES6_PlJNSB_9not_fun_tI7is_trueIsEEEEEE10hipError_tPvRmT3_T4_T5_T6_T7_T9_mT8_P12ihipStream_tbDpT10_ENKUlT_T0_E_clISt17integral_constantIbLb0EES1B_EEDaS16_S17_EUlS16_E_NS1_11comp_targetILNS1_3genE10ELNS1_11target_archE1200ELNS1_3gpuE4ELNS1_3repE0EEENS1_30default_config_static_selectorELNS0_4arch9wavefront6targetE0EEEvT1_.num_named_barrier, 0
	.set _ZN7rocprim17ROCPRIM_400000_NS6detail17trampoline_kernelINS0_14default_configENS1_25partition_config_selectorILNS1_17partition_subalgoE6EsNS0_10empty_typeEbEEZZNS1_14partition_implILS5_6ELb0ES3_mN6thrust23THRUST_200600_302600_NS6detail15normal_iteratorINSA_10device_ptrIsEEEEPS6_SG_NS0_5tupleIJNSA_16discard_iteratorINSA_11use_defaultEEES6_EEENSH_IJSG_SG_EEES6_PlJNSB_9not_fun_tI7is_trueIsEEEEEE10hipError_tPvRmT3_T4_T5_T6_T7_T9_mT8_P12ihipStream_tbDpT10_ENKUlT_T0_E_clISt17integral_constantIbLb0EES1B_EEDaS16_S17_EUlS16_E_NS1_11comp_targetILNS1_3genE10ELNS1_11target_archE1200ELNS1_3gpuE4ELNS1_3repE0EEENS1_30default_config_static_selectorELNS0_4arch9wavefront6targetE0EEEvT1_.private_seg_size, 0
	.set _ZN7rocprim17ROCPRIM_400000_NS6detail17trampoline_kernelINS0_14default_configENS1_25partition_config_selectorILNS1_17partition_subalgoE6EsNS0_10empty_typeEbEEZZNS1_14partition_implILS5_6ELb0ES3_mN6thrust23THRUST_200600_302600_NS6detail15normal_iteratorINSA_10device_ptrIsEEEEPS6_SG_NS0_5tupleIJNSA_16discard_iteratorINSA_11use_defaultEEES6_EEENSH_IJSG_SG_EEES6_PlJNSB_9not_fun_tI7is_trueIsEEEEEE10hipError_tPvRmT3_T4_T5_T6_T7_T9_mT8_P12ihipStream_tbDpT10_ENKUlT_T0_E_clISt17integral_constantIbLb0EES1B_EEDaS16_S17_EUlS16_E_NS1_11comp_targetILNS1_3genE10ELNS1_11target_archE1200ELNS1_3gpuE4ELNS1_3repE0EEENS1_30default_config_static_selectorELNS0_4arch9wavefront6targetE0EEEvT1_.uses_vcc, 1
	.set _ZN7rocprim17ROCPRIM_400000_NS6detail17trampoline_kernelINS0_14default_configENS1_25partition_config_selectorILNS1_17partition_subalgoE6EsNS0_10empty_typeEbEEZZNS1_14partition_implILS5_6ELb0ES3_mN6thrust23THRUST_200600_302600_NS6detail15normal_iteratorINSA_10device_ptrIsEEEEPS6_SG_NS0_5tupleIJNSA_16discard_iteratorINSA_11use_defaultEEES6_EEENSH_IJSG_SG_EEES6_PlJNSB_9not_fun_tI7is_trueIsEEEEEE10hipError_tPvRmT3_T4_T5_T6_T7_T9_mT8_P12ihipStream_tbDpT10_ENKUlT_T0_E_clISt17integral_constantIbLb0EES1B_EEDaS16_S17_EUlS16_E_NS1_11comp_targetILNS1_3genE10ELNS1_11target_archE1200ELNS1_3gpuE4ELNS1_3repE0EEENS1_30default_config_static_selectorELNS0_4arch9wavefront6targetE0EEEvT1_.uses_flat_scratch, 1
	.set _ZN7rocprim17ROCPRIM_400000_NS6detail17trampoline_kernelINS0_14default_configENS1_25partition_config_selectorILNS1_17partition_subalgoE6EsNS0_10empty_typeEbEEZZNS1_14partition_implILS5_6ELb0ES3_mN6thrust23THRUST_200600_302600_NS6detail15normal_iteratorINSA_10device_ptrIsEEEEPS6_SG_NS0_5tupleIJNSA_16discard_iteratorINSA_11use_defaultEEES6_EEENSH_IJSG_SG_EEES6_PlJNSB_9not_fun_tI7is_trueIsEEEEEE10hipError_tPvRmT3_T4_T5_T6_T7_T9_mT8_P12ihipStream_tbDpT10_ENKUlT_T0_E_clISt17integral_constantIbLb0EES1B_EEDaS16_S17_EUlS16_E_NS1_11comp_targetILNS1_3genE10ELNS1_11target_archE1200ELNS1_3gpuE4ELNS1_3repE0EEENS1_30default_config_static_selectorELNS0_4arch9wavefront6targetE0EEEvT1_.has_dyn_sized_stack, 0
	.set _ZN7rocprim17ROCPRIM_400000_NS6detail17trampoline_kernelINS0_14default_configENS1_25partition_config_selectorILNS1_17partition_subalgoE6EsNS0_10empty_typeEbEEZZNS1_14partition_implILS5_6ELb0ES3_mN6thrust23THRUST_200600_302600_NS6detail15normal_iteratorINSA_10device_ptrIsEEEEPS6_SG_NS0_5tupleIJNSA_16discard_iteratorINSA_11use_defaultEEES6_EEENSH_IJSG_SG_EEES6_PlJNSB_9not_fun_tI7is_trueIsEEEEEE10hipError_tPvRmT3_T4_T5_T6_T7_T9_mT8_P12ihipStream_tbDpT10_ENKUlT_T0_E_clISt17integral_constantIbLb0EES1B_EEDaS16_S17_EUlS16_E_NS1_11comp_targetILNS1_3genE10ELNS1_11target_archE1200ELNS1_3gpuE4ELNS1_3repE0EEENS1_30default_config_static_selectorELNS0_4arch9wavefront6targetE0EEEvT1_.has_recursion, 0
	.set _ZN7rocprim17ROCPRIM_400000_NS6detail17trampoline_kernelINS0_14default_configENS1_25partition_config_selectorILNS1_17partition_subalgoE6EsNS0_10empty_typeEbEEZZNS1_14partition_implILS5_6ELb0ES3_mN6thrust23THRUST_200600_302600_NS6detail15normal_iteratorINSA_10device_ptrIsEEEEPS6_SG_NS0_5tupleIJNSA_16discard_iteratorINSA_11use_defaultEEES6_EEENSH_IJSG_SG_EEES6_PlJNSB_9not_fun_tI7is_trueIsEEEEEE10hipError_tPvRmT3_T4_T5_T6_T7_T9_mT8_P12ihipStream_tbDpT10_ENKUlT_T0_E_clISt17integral_constantIbLb0EES1B_EEDaS16_S17_EUlS16_E_NS1_11comp_targetILNS1_3genE10ELNS1_11target_archE1200ELNS1_3gpuE4ELNS1_3repE0EEENS1_30default_config_static_selectorELNS0_4arch9wavefront6targetE0EEEvT1_.has_indirect_call, 0
	.section	.AMDGPU.csdata,"",@progbits
; Kernel info:
; codeLenInByte = 9372
; TotalNumSgprs: 28
; NumVgprs: 63
; ScratchSize: 0
; MemoryBound: 0
; FloatMode: 240
; IeeeMode: 1
; LDSByteSize: 13840 bytes/workgroup (compile time only)
; SGPRBlocks: 0
; VGPRBlocks: 7
; NumSGPRsForWavesPerEU: 28
; NumVGPRsForWavesPerEU: 63
; Occupancy: 15
; WaveLimiterHint : 1
; COMPUTE_PGM_RSRC2:SCRATCH_EN: 0
; COMPUTE_PGM_RSRC2:USER_SGPR: 2
; COMPUTE_PGM_RSRC2:TRAP_HANDLER: 0
; COMPUTE_PGM_RSRC2:TGID_X_EN: 1
; COMPUTE_PGM_RSRC2:TGID_Y_EN: 0
; COMPUTE_PGM_RSRC2:TGID_Z_EN: 0
; COMPUTE_PGM_RSRC2:TIDIG_COMP_CNT: 0
	.section	.text._ZN7rocprim17ROCPRIM_400000_NS6detail17trampoline_kernelINS0_14default_configENS1_25partition_config_selectorILNS1_17partition_subalgoE6EsNS0_10empty_typeEbEEZZNS1_14partition_implILS5_6ELb0ES3_mN6thrust23THRUST_200600_302600_NS6detail15normal_iteratorINSA_10device_ptrIsEEEEPS6_SG_NS0_5tupleIJNSA_16discard_iteratorINSA_11use_defaultEEES6_EEENSH_IJSG_SG_EEES6_PlJNSB_9not_fun_tI7is_trueIsEEEEEE10hipError_tPvRmT3_T4_T5_T6_T7_T9_mT8_P12ihipStream_tbDpT10_ENKUlT_T0_E_clISt17integral_constantIbLb0EES1B_EEDaS16_S17_EUlS16_E_NS1_11comp_targetILNS1_3genE9ELNS1_11target_archE1100ELNS1_3gpuE3ELNS1_3repE0EEENS1_30default_config_static_selectorELNS0_4arch9wavefront6targetE0EEEvT1_,"axG",@progbits,_ZN7rocprim17ROCPRIM_400000_NS6detail17trampoline_kernelINS0_14default_configENS1_25partition_config_selectorILNS1_17partition_subalgoE6EsNS0_10empty_typeEbEEZZNS1_14partition_implILS5_6ELb0ES3_mN6thrust23THRUST_200600_302600_NS6detail15normal_iteratorINSA_10device_ptrIsEEEEPS6_SG_NS0_5tupleIJNSA_16discard_iteratorINSA_11use_defaultEEES6_EEENSH_IJSG_SG_EEES6_PlJNSB_9not_fun_tI7is_trueIsEEEEEE10hipError_tPvRmT3_T4_T5_T6_T7_T9_mT8_P12ihipStream_tbDpT10_ENKUlT_T0_E_clISt17integral_constantIbLb0EES1B_EEDaS16_S17_EUlS16_E_NS1_11comp_targetILNS1_3genE9ELNS1_11target_archE1100ELNS1_3gpuE3ELNS1_3repE0EEENS1_30default_config_static_selectorELNS0_4arch9wavefront6targetE0EEEvT1_,comdat
	.protected	_ZN7rocprim17ROCPRIM_400000_NS6detail17trampoline_kernelINS0_14default_configENS1_25partition_config_selectorILNS1_17partition_subalgoE6EsNS0_10empty_typeEbEEZZNS1_14partition_implILS5_6ELb0ES3_mN6thrust23THRUST_200600_302600_NS6detail15normal_iteratorINSA_10device_ptrIsEEEEPS6_SG_NS0_5tupleIJNSA_16discard_iteratorINSA_11use_defaultEEES6_EEENSH_IJSG_SG_EEES6_PlJNSB_9not_fun_tI7is_trueIsEEEEEE10hipError_tPvRmT3_T4_T5_T6_T7_T9_mT8_P12ihipStream_tbDpT10_ENKUlT_T0_E_clISt17integral_constantIbLb0EES1B_EEDaS16_S17_EUlS16_E_NS1_11comp_targetILNS1_3genE9ELNS1_11target_archE1100ELNS1_3gpuE3ELNS1_3repE0EEENS1_30default_config_static_selectorELNS0_4arch9wavefront6targetE0EEEvT1_ ; -- Begin function _ZN7rocprim17ROCPRIM_400000_NS6detail17trampoline_kernelINS0_14default_configENS1_25partition_config_selectorILNS1_17partition_subalgoE6EsNS0_10empty_typeEbEEZZNS1_14partition_implILS5_6ELb0ES3_mN6thrust23THRUST_200600_302600_NS6detail15normal_iteratorINSA_10device_ptrIsEEEEPS6_SG_NS0_5tupleIJNSA_16discard_iteratorINSA_11use_defaultEEES6_EEENSH_IJSG_SG_EEES6_PlJNSB_9not_fun_tI7is_trueIsEEEEEE10hipError_tPvRmT3_T4_T5_T6_T7_T9_mT8_P12ihipStream_tbDpT10_ENKUlT_T0_E_clISt17integral_constantIbLb0EES1B_EEDaS16_S17_EUlS16_E_NS1_11comp_targetILNS1_3genE9ELNS1_11target_archE1100ELNS1_3gpuE3ELNS1_3repE0EEENS1_30default_config_static_selectorELNS0_4arch9wavefront6targetE0EEEvT1_
	.globl	_ZN7rocprim17ROCPRIM_400000_NS6detail17trampoline_kernelINS0_14default_configENS1_25partition_config_selectorILNS1_17partition_subalgoE6EsNS0_10empty_typeEbEEZZNS1_14partition_implILS5_6ELb0ES3_mN6thrust23THRUST_200600_302600_NS6detail15normal_iteratorINSA_10device_ptrIsEEEEPS6_SG_NS0_5tupleIJNSA_16discard_iteratorINSA_11use_defaultEEES6_EEENSH_IJSG_SG_EEES6_PlJNSB_9not_fun_tI7is_trueIsEEEEEE10hipError_tPvRmT3_T4_T5_T6_T7_T9_mT8_P12ihipStream_tbDpT10_ENKUlT_T0_E_clISt17integral_constantIbLb0EES1B_EEDaS16_S17_EUlS16_E_NS1_11comp_targetILNS1_3genE9ELNS1_11target_archE1100ELNS1_3gpuE3ELNS1_3repE0EEENS1_30default_config_static_selectorELNS0_4arch9wavefront6targetE0EEEvT1_
	.p2align	8
	.type	_ZN7rocprim17ROCPRIM_400000_NS6detail17trampoline_kernelINS0_14default_configENS1_25partition_config_selectorILNS1_17partition_subalgoE6EsNS0_10empty_typeEbEEZZNS1_14partition_implILS5_6ELb0ES3_mN6thrust23THRUST_200600_302600_NS6detail15normal_iteratorINSA_10device_ptrIsEEEEPS6_SG_NS0_5tupleIJNSA_16discard_iteratorINSA_11use_defaultEEES6_EEENSH_IJSG_SG_EEES6_PlJNSB_9not_fun_tI7is_trueIsEEEEEE10hipError_tPvRmT3_T4_T5_T6_T7_T9_mT8_P12ihipStream_tbDpT10_ENKUlT_T0_E_clISt17integral_constantIbLb0EES1B_EEDaS16_S17_EUlS16_E_NS1_11comp_targetILNS1_3genE9ELNS1_11target_archE1100ELNS1_3gpuE3ELNS1_3repE0EEENS1_30default_config_static_selectorELNS0_4arch9wavefront6targetE0EEEvT1_,@function
_ZN7rocprim17ROCPRIM_400000_NS6detail17trampoline_kernelINS0_14default_configENS1_25partition_config_selectorILNS1_17partition_subalgoE6EsNS0_10empty_typeEbEEZZNS1_14partition_implILS5_6ELb0ES3_mN6thrust23THRUST_200600_302600_NS6detail15normal_iteratorINSA_10device_ptrIsEEEEPS6_SG_NS0_5tupleIJNSA_16discard_iteratorINSA_11use_defaultEEES6_EEENSH_IJSG_SG_EEES6_PlJNSB_9not_fun_tI7is_trueIsEEEEEE10hipError_tPvRmT3_T4_T5_T6_T7_T9_mT8_P12ihipStream_tbDpT10_ENKUlT_T0_E_clISt17integral_constantIbLb0EES1B_EEDaS16_S17_EUlS16_E_NS1_11comp_targetILNS1_3genE9ELNS1_11target_archE1100ELNS1_3gpuE3ELNS1_3repE0EEENS1_30default_config_static_selectorELNS0_4arch9wavefront6targetE0EEEvT1_: ; @_ZN7rocprim17ROCPRIM_400000_NS6detail17trampoline_kernelINS0_14default_configENS1_25partition_config_selectorILNS1_17partition_subalgoE6EsNS0_10empty_typeEbEEZZNS1_14partition_implILS5_6ELb0ES3_mN6thrust23THRUST_200600_302600_NS6detail15normal_iteratorINSA_10device_ptrIsEEEEPS6_SG_NS0_5tupleIJNSA_16discard_iteratorINSA_11use_defaultEEES6_EEENSH_IJSG_SG_EEES6_PlJNSB_9not_fun_tI7is_trueIsEEEEEE10hipError_tPvRmT3_T4_T5_T6_T7_T9_mT8_P12ihipStream_tbDpT10_ENKUlT_T0_E_clISt17integral_constantIbLb0EES1B_EEDaS16_S17_EUlS16_E_NS1_11comp_targetILNS1_3genE9ELNS1_11target_archE1100ELNS1_3gpuE3ELNS1_3repE0EEENS1_30default_config_static_selectorELNS0_4arch9wavefront6targetE0EEEvT1_
; %bb.0:
	.section	.rodata,"a",@progbits
	.p2align	6, 0x0
	.amdhsa_kernel _ZN7rocprim17ROCPRIM_400000_NS6detail17trampoline_kernelINS0_14default_configENS1_25partition_config_selectorILNS1_17partition_subalgoE6EsNS0_10empty_typeEbEEZZNS1_14partition_implILS5_6ELb0ES3_mN6thrust23THRUST_200600_302600_NS6detail15normal_iteratorINSA_10device_ptrIsEEEEPS6_SG_NS0_5tupleIJNSA_16discard_iteratorINSA_11use_defaultEEES6_EEENSH_IJSG_SG_EEES6_PlJNSB_9not_fun_tI7is_trueIsEEEEEE10hipError_tPvRmT3_T4_T5_T6_T7_T9_mT8_P12ihipStream_tbDpT10_ENKUlT_T0_E_clISt17integral_constantIbLb0EES1B_EEDaS16_S17_EUlS16_E_NS1_11comp_targetILNS1_3genE9ELNS1_11target_archE1100ELNS1_3gpuE3ELNS1_3repE0EEENS1_30default_config_static_selectorELNS0_4arch9wavefront6targetE0EEEvT1_
		.amdhsa_group_segment_fixed_size 0
		.amdhsa_private_segment_fixed_size 0
		.amdhsa_kernarg_size 120
		.amdhsa_user_sgpr_count 2
		.amdhsa_user_sgpr_dispatch_ptr 0
		.amdhsa_user_sgpr_queue_ptr 0
		.amdhsa_user_sgpr_kernarg_segment_ptr 1
		.amdhsa_user_sgpr_dispatch_id 0
		.amdhsa_user_sgpr_private_segment_size 0
		.amdhsa_wavefront_size32 1
		.amdhsa_uses_dynamic_stack 0
		.amdhsa_enable_private_segment 0
		.amdhsa_system_sgpr_workgroup_id_x 1
		.amdhsa_system_sgpr_workgroup_id_y 0
		.amdhsa_system_sgpr_workgroup_id_z 0
		.amdhsa_system_sgpr_workgroup_info 0
		.amdhsa_system_vgpr_workitem_id 0
		.amdhsa_next_free_vgpr 1
		.amdhsa_next_free_sgpr 1
		.amdhsa_reserve_vcc 0
		.amdhsa_float_round_mode_32 0
		.amdhsa_float_round_mode_16_64 0
		.amdhsa_float_denorm_mode_32 3
		.amdhsa_float_denorm_mode_16_64 3
		.amdhsa_fp16_overflow 0
		.amdhsa_workgroup_processor_mode 1
		.amdhsa_memory_ordered 1
		.amdhsa_forward_progress 1
		.amdhsa_inst_pref_size 0
		.amdhsa_round_robin_scheduling 0
		.amdhsa_exception_fp_ieee_invalid_op 0
		.amdhsa_exception_fp_denorm_src 0
		.amdhsa_exception_fp_ieee_div_zero 0
		.amdhsa_exception_fp_ieee_overflow 0
		.amdhsa_exception_fp_ieee_underflow 0
		.amdhsa_exception_fp_ieee_inexact 0
		.amdhsa_exception_int_div_zero 0
	.end_amdhsa_kernel
	.section	.text._ZN7rocprim17ROCPRIM_400000_NS6detail17trampoline_kernelINS0_14default_configENS1_25partition_config_selectorILNS1_17partition_subalgoE6EsNS0_10empty_typeEbEEZZNS1_14partition_implILS5_6ELb0ES3_mN6thrust23THRUST_200600_302600_NS6detail15normal_iteratorINSA_10device_ptrIsEEEEPS6_SG_NS0_5tupleIJNSA_16discard_iteratorINSA_11use_defaultEEES6_EEENSH_IJSG_SG_EEES6_PlJNSB_9not_fun_tI7is_trueIsEEEEEE10hipError_tPvRmT3_T4_T5_T6_T7_T9_mT8_P12ihipStream_tbDpT10_ENKUlT_T0_E_clISt17integral_constantIbLb0EES1B_EEDaS16_S17_EUlS16_E_NS1_11comp_targetILNS1_3genE9ELNS1_11target_archE1100ELNS1_3gpuE3ELNS1_3repE0EEENS1_30default_config_static_selectorELNS0_4arch9wavefront6targetE0EEEvT1_,"axG",@progbits,_ZN7rocprim17ROCPRIM_400000_NS6detail17trampoline_kernelINS0_14default_configENS1_25partition_config_selectorILNS1_17partition_subalgoE6EsNS0_10empty_typeEbEEZZNS1_14partition_implILS5_6ELb0ES3_mN6thrust23THRUST_200600_302600_NS6detail15normal_iteratorINSA_10device_ptrIsEEEEPS6_SG_NS0_5tupleIJNSA_16discard_iteratorINSA_11use_defaultEEES6_EEENSH_IJSG_SG_EEES6_PlJNSB_9not_fun_tI7is_trueIsEEEEEE10hipError_tPvRmT3_T4_T5_T6_T7_T9_mT8_P12ihipStream_tbDpT10_ENKUlT_T0_E_clISt17integral_constantIbLb0EES1B_EEDaS16_S17_EUlS16_E_NS1_11comp_targetILNS1_3genE9ELNS1_11target_archE1100ELNS1_3gpuE3ELNS1_3repE0EEENS1_30default_config_static_selectorELNS0_4arch9wavefront6targetE0EEEvT1_,comdat
.Lfunc_end2307:
	.size	_ZN7rocprim17ROCPRIM_400000_NS6detail17trampoline_kernelINS0_14default_configENS1_25partition_config_selectorILNS1_17partition_subalgoE6EsNS0_10empty_typeEbEEZZNS1_14partition_implILS5_6ELb0ES3_mN6thrust23THRUST_200600_302600_NS6detail15normal_iteratorINSA_10device_ptrIsEEEEPS6_SG_NS0_5tupleIJNSA_16discard_iteratorINSA_11use_defaultEEES6_EEENSH_IJSG_SG_EEES6_PlJNSB_9not_fun_tI7is_trueIsEEEEEE10hipError_tPvRmT3_T4_T5_T6_T7_T9_mT8_P12ihipStream_tbDpT10_ENKUlT_T0_E_clISt17integral_constantIbLb0EES1B_EEDaS16_S17_EUlS16_E_NS1_11comp_targetILNS1_3genE9ELNS1_11target_archE1100ELNS1_3gpuE3ELNS1_3repE0EEENS1_30default_config_static_selectorELNS0_4arch9wavefront6targetE0EEEvT1_, .Lfunc_end2307-_ZN7rocprim17ROCPRIM_400000_NS6detail17trampoline_kernelINS0_14default_configENS1_25partition_config_selectorILNS1_17partition_subalgoE6EsNS0_10empty_typeEbEEZZNS1_14partition_implILS5_6ELb0ES3_mN6thrust23THRUST_200600_302600_NS6detail15normal_iteratorINSA_10device_ptrIsEEEEPS6_SG_NS0_5tupleIJNSA_16discard_iteratorINSA_11use_defaultEEES6_EEENSH_IJSG_SG_EEES6_PlJNSB_9not_fun_tI7is_trueIsEEEEEE10hipError_tPvRmT3_T4_T5_T6_T7_T9_mT8_P12ihipStream_tbDpT10_ENKUlT_T0_E_clISt17integral_constantIbLb0EES1B_EEDaS16_S17_EUlS16_E_NS1_11comp_targetILNS1_3genE9ELNS1_11target_archE1100ELNS1_3gpuE3ELNS1_3repE0EEENS1_30default_config_static_selectorELNS0_4arch9wavefront6targetE0EEEvT1_
                                        ; -- End function
	.set _ZN7rocprim17ROCPRIM_400000_NS6detail17trampoline_kernelINS0_14default_configENS1_25partition_config_selectorILNS1_17partition_subalgoE6EsNS0_10empty_typeEbEEZZNS1_14partition_implILS5_6ELb0ES3_mN6thrust23THRUST_200600_302600_NS6detail15normal_iteratorINSA_10device_ptrIsEEEEPS6_SG_NS0_5tupleIJNSA_16discard_iteratorINSA_11use_defaultEEES6_EEENSH_IJSG_SG_EEES6_PlJNSB_9not_fun_tI7is_trueIsEEEEEE10hipError_tPvRmT3_T4_T5_T6_T7_T9_mT8_P12ihipStream_tbDpT10_ENKUlT_T0_E_clISt17integral_constantIbLb0EES1B_EEDaS16_S17_EUlS16_E_NS1_11comp_targetILNS1_3genE9ELNS1_11target_archE1100ELNS1_3gpuE3ELNS1_3repE0EEENS1_30default_config_static_selectorELNS0_4arch9wavefront6targetE0EEEvT1_.num_vgpr, 0
	.set _ZN7rocprim17ROCPRIM_400000_NS6detail17trampoline_kernelINS0_14default_configENS1_25partition_config_selectorILNS1_17partition_subalgoE6EsNS0_10empty_typeEbEEZZNS1_14partition_implILS5_6ELb0ES3_mN6thrust23THRUST_200600_302600_NS6detail15normal_iteratorINSA_10device_ptrIsEEEEPS6_SG_NS0_5tupleIJNSA_16discard_iteratorINSA_11use_defaultEEES6_EEENSH_IJSG_SG_EEES6_PlJNSB_9not_fun_tI7is_trueIsEEEEEE10hipError_tPvRmT3_T4_T5_T6_T7_T9_mT8_P12ihipStream_tbDpT10_ENKUlT_T0_E_clISt17integral_constantIbLb0EES1B_EEDaS16_S17_EUlS16_E_NS1_11comp_targetILNS1_3genE9ELNS1_11target_archE1100ELNS1_3gpuE3ELNS1_3repE0EEENS1_30default_config_static_selectorELNS0_4arch9wavefront6targetE0EEEvT1_.num_agpr, 0
	.set _ZN7rocprim17ROCPRIM_400000_NS6detail17trampoline_kernelINS0_14default_configENS1_25partition_config_selectorILNS1_17partition_subalgoE6EsNS0_10empty_typeEbEEZZNS1_14partition_implILS5_6ELb0ES3_mN6thrust23THRUST_200600_302600_NS6detail15normal_iteratorINSA_10device_ptrIsEEEEPS6_SG_NS0_5tupleIJNSA_16discard_iteratorINSA_11use_defaultEEES6_EEENSH_IJSG_SG_EEES6_PlJNSB_9not_fun_tI7is_trueIsEEEEEE10hipError_tPvRmT3_T4_T5_T6_T7_T9_mT8_P12ihipStream_tbDpT10_ENKUlT_T0_E_clISt17integral_constantIbLb0EES1B_EEDaS16_S17_EUlS16_E_NS1_11comp_targetILNS1_3genE9ELNS1_11target_archE1100ELNS1_3gpuE3ELNS1_3repE0EEENS1_30default_config_static_selectorELNS0_4arch9wavefront6targetE0EEEvT1_.numbered_sgpr, 0
	.set _ZN7rocprim17ROCPRIM_400000_NS6detail17trampoline_kernelINS0_14default_configENS1_25partition_config_selectorILNS1_17partition_subalgoE6EsNS0_10empty_typeEbEEZZNS1_14partition_implILS5_6ELb0ES3_mN6thrust23THRUST_200600_302600_NS6detail15normal_iteratorINSA_10device_ptrIsEEEEPS6_SG_NS0_5tupleIJNSA_16discard_iteratorINSA_11use_defaultEEES6_EEENSH_IJSG_SG_EEES6_PlJNSB_9not_fun_tI7is_trueIsEEEEEE10hipError_tPvRmT3_T4_T5_T6_T7_T9_mT8_P12ihipStream_tbDpT10_ENKUlT_T0_E_clISt17integral_constantIbLb0EES1B_EEDaS16_S17_EUlS16_E_NS1_11comp_targetILNS1_3genE9ELNS1_11target_archE1100ELNS1_3gpuE3ELNS1_3repE0EEENS1_30default_config_static_selectorELNS0_4arch9wavefront6targetE0EEEvT1_.num_named_barrier, 0
	.set _ZN7rocprim17ROCPRIM_400000_NS6detail17trampoline_kernelINS0_14default_configENS1_25partition_config_selectorILNS1_17partition_subalgoE6EsNS0_10empty_typeEbEEZZNS1_14partition_implILS5_6ELb0ES3_mN6thrust23THRUST_200600_302600_NS6detail15normal_iteratorINSA_10device_ptrIsEEEEPS6_SG_NS0_5tupleIJNSA_16discard_iteratorINSA_11use_defaultEEES6_EEENSH_IJSG_SG_EEES6_PlJNSB_9not_fun_tI7is_trueIsEEEEEE10hipError_tPvRmT3_T4_T5_T6_T7_T9_mT8_P12ihipStream_tbDpT10_ENKUlT_T0_E_clISt17integral_constantIbLb0EES1B_EEDaS16_S17_EUlS16_E_NS1_11comp_targetILNS1_3genE9ELNS1_11target_archE1100ELNS1_3gpuE3ELNS1_3repE0EEENS1_30default_config_static_selectorELNS0_4arch9wavefront6targetE0EEEvT1_.private_seg_size, 0
	.set _ZN7rocprim17ROCPRIM_400000_NS6detail17trampoline_kernelINS0_14default_configENS1_25partition_config_selectorILNS1_17partition_subalgoE6EsNS0_10empty_typeEbEEZZNS1_14partition_implILS5_6ELb0ES3_mN6thrust23THRUST_200600_302600_NS6detail15normal_iteratorINSA_10device_ptrIsEEEEPS6_SG_NS0_5tupleIJNSA_16discard_iteratorINSA_11use_defaultEEES6_EEENSH_IJSG_SG_EEES6_PlJNSB_9not_fun_tI7is_trueIsEEEEEE10hipError_tPvRmT3_T4_T5_T6_T7_T9_mT8_P12ihipStream_tbDpT10_ENKUlT_T0_E_clISt17integral_constantIbLb0EES1B_EEDaS16_S17_EUlS16_E_NS1_11comp_targetILNS1_3genE9ELNS1_11target_archE1100ELNS1_3gpuE3ELNS1_3repE0EEENS1_30default_config_static_selectorELNS0_4arch9wavefront6targetE0EEEvT1_.uses_vcc, 0
	.set _ZN7rocprim17ROCPRIM_400000_NS6detail17trampoline_kernelINS0_14default_configENS1_25partition_config_selectorILNS1_17partition_subalgoE6EsNS0_10empty_typeEbEEZZNS1_14partition_implILS5_6ELb0ES3_mN6thrust23THRUST_200600_302600_NS6detail15normal_iteratorINSA_10device_ptrIsEEEEPS6_SG_NS0_5tupleIJNSA_16discard_iteratorINSA_11use_defaultEEES6_EEENSH_IJSG_SG_EEES6_PlJNSB_9not_fun_tI7is_trueIsEEEEEE10hipError_tPvRmT3_T4_T5_T6_T7_T9_mT8_P12ihipStream_tbDpT10_ENKUlT_T0_E_clISt17integral_constantIbLb0EES1B_EEDaS16_S17_EUlS16_E_NS1_11comp_targetILNS1_3genE9ELNS1_11target_archE1100ELNS1_3gpuE3ELNS1_3repE0EEENS1_30default_config_static_selectorELNS0_4arch9wavefront6targetE0EEEvT1_.uses_flat_scratch, 0
	.set _ZN7rocprim17ROCPRIM_400000_NS6detail17trampoline_kernelINS0_14default_configENS1_25partition_config_selectorILNS1_17partition_subalgoE6EsNS0_10empty_typeEbEEZZNS1_14partition_implILS5_6ELb0ES3_mN6thrust23THRUST_200600_302600_NS6detail15normal_iteratorINSA_10device_ptrIsEEEEPS6_SG_NS0_5tupleIJNSA_16discard_iteratorINSA_11use_defaultEEES6_EEENSH_IJSG_SG_EEES6_PlJNSB_9not_fun_tI7is_trueIsEEEEEE10hipError_tPvRmT3_T4_T5_T6_T7_T9_mT8_P12ihipStream_tbDpT10_ENKUlT_T0_E_clISt17integral_constantIbLb0EES1B_EEDaS16_S17_EUlS16_E_NS1_11comp_targetILNS1_3genE9ELNS1_11target_archE1100ELNS1_3gpuE3ELNS1_3repE0EEENS1_30default_config_static_selectorELNS0_4arch9wavefront6targetE0EEEvT1_.has_dyn_sized_stack, 0
	.set _ZN7rocprim17ROCPRIM_400000_NS6detail17trampoline_kernelINS0_14default_configENS1_25partition_config_selectorILNS1_17partition_subalgoE6EsNS0_10empty_typeEbEEZZNS1_14partition_implILS5_6ELb0ES3_mN6thrust23THRUST_200600_302600_NS6detail15normal_iteratorINSA_10device_ptrIsEEEEPS6_SG_NS0_5tupleIJNSA_16discard_iteratorINSA_11use_defaultEEES6_EEENSH_IJSG_SG_EEES6_PlJNSB_9not_fun_tI7is_trueIsEEEEEE10hipError_tPvRmT3_T4_T5_T6_T7_T9_mT8_P12ihipStream_tbDpT10_ENKUlT_T0_E_clISt17integral_constantIbLb0EES1B_EEDaS16_S17_EUlS16_E_NS1_11comp_targetILNS1_3genE9ELNS1_11target_archE1100ELNS1_3gpuE3ELNS1_3repE0EEENS1_30default_config_static_selectorELNS0_4arch9wavefront6targetE0EEEvT1_.has_recursion, 0
	.set _ZN7rocprim17ROCPRIM_400000_NS6detail17trampoline_kernelINS0_14default_configENS1_25partition_config_selectorILNS1_17partition_subalgoE6EsNS0_10empty_typeEbEEZZNS1_14partition_implILS5_6ELb0ES3_mN6thrust23THRUST_200600_302600_NS6detail15normal_iteratorINSA_10device_ptrIsEEEEPS6_SG_NS0_5tupleIJNSA_16discard_iteratorINSA_11use_defaultEEES6_EEENSH_IJSG_SG_EEES6_PlJNSB_9not_fun_tI7is_trueIsEEEEEE10hipError_tPvRmT3_T4_T5_T6_T7_T9_mT8_P12ihipStream_tbDpT10_ENKUlT_T0_E_clISt17integral_constantIbLb0EES1B_EEDaS16_S17_EUlS16_E_NS1_11comp_targetILNS1_3genE9ELNS1_11target_archE1100ELNS1_3gpuE3ELNS1_3repE0EEENS1_30default_config_static_selectorELNS0_4arch9wavefront6targetE0EEEvT1_.has_indirect_call, 0
	.section	.AMDGPU.csdata,"",@progbits
; Kernel info:
; codeLenInByte = 0
; TotalNumSgprs: 0
; NumVgprs: 0
; ScratchSize: 0
; MemoryBound: 0
; FloatMode: 240
; IeeeMode: 1
; LDSByteSize: 0 bytes/workgroup (compile time only)
; SGPRBlocks: 0
; VGPRBlocks: 0
; NumSGPRsForWavesPerEU: 1
; NumVGPRsForWavesPerEU: 1
; Occupancy: 16
; WaveLimiterHint : 0
; COMPUTE_PGM_RSRC2:SCRATCH_EN: 0
; COMPUTE_PGM_RSRC2:USER_SGPR: 2
; COMPUTE_PGM_RSRC2:TRAP_HANDLER: 0
; COMPUTE_PGM_RSRC2:TGID_X_EN: 1
; COMPUTE_PGM_RSRC2:TGID_Y_EN: 0
; COMPUTE_PGM_RSRC2:TGID_Z_EN: 0
; COMPUTE_PGM_RSRC2:TIDIG_COMP_CNT: 0
	.section	.text._ZN7rocprim17ROCPRIM_400000_NS6detail17trampoline_kernelINS0_14default_configENS1_25partition_config_selectorILNS1_17partition_subalgoE6EsNS0_10empty_typeEbEEZZNS1_14partition_implILS5_6ELb0ES3_mN6thrust23THRUST_200600_302600_NS6detail15normal_iteratorINSA_10device_ptrIsEEEEPS6_SG_NS0_5tupleIJNSA_16discard_iteratorINSA_11use_defaultEEES6_EEENSH_IJSG_SG_EEES6_PlJNSB_9not_fun_tI7is_trueIsEEEEEE10hipError_tPvRmT3_T4_T5_T6_T7_T9_mT8_P12ihipStream_tbDpT10_ENKUlT_T0_E_clISt17integral_constantIbLb0EES1B_EEDaS16_S17_EUlS16_E_NS1_11comp_targetILNS1_3genE8ELNS1_11target_archE1030ELNS1_3gpuE2ELNS1_3repE0EEENS1_30default_config_static_selectorELNS0_4arch9wavefront6targetE0EEEvT1_,"axG",@progbits,_ZN7rocprim17ROCPRIM_400000_NS6detail17trampoline_kernelINS0_14default_configENS1_25partition_config_selectorILNS1_17partition_subalgoE6EsNS0_10empty_typeEbEEZZNS1_14partition_implILS5_6ELb0ES3_mN6thrust23THRUST_200600_302600_NS6detail15normal_iteratorINSA_10device_ptrIsEEEEPS6_SG_NS0_5tupleIJNSA_16discard_iteratorINSA_11use_defaultEEES6_EEENSH_IJSG_SG_EEES6_PlJNSB_9not_fun_tI7is_trueIsEEEEEE10hipError_tPvRmT3_T4_T5_T6_T7_T9_mT8_P12ihipStream_tbDpT10_ENKUlT_T0_E_clISt17integral_constantIbLb0EES1B_EEDaS16_S17_EUlS16_E_NS1_11comp_targetILNS1_3genE8ELNS1_11target_archE1030ELNS1_3gpuE2ELNS1_3repE0EEENS1_30default_config_static_selectorELNS0_4arch9wavefront6targetE0EEEvT1_,comdat
	.protected	_ZN7rocprim17ROCPRIM_400000_NS6detail17trampoline_kernelINS0_14default_configENS1_25partition_config_selectorILNS1_17partition_subalgoE6EsNS0_10empty_typeEbEEZZNS1_14partition_implILS5_6ELb0ES3_mN6thrust23THRUST_200600_302600_NS6detail15normal_iteratorINSA_10device_ptrIsEEEEPS6_SG_NS0_5tupleIJNSA_16discard_iteratorINSA_11use_defaultEEES6_EEENSH_IJSG_SG_EEES6_PlJNSB_9not_fun_tI7is_trueIsEEEEEE10hipError_tPvRmT3_T4_T5_T6_T7_T9_mT8_P12ihipStream_tbDpT10_ENKUlT_T0_E_clISt17integral_constantIbLb0EES1B_EEDaS16_S17_EUlS16_E_NS1_11comp_targetILNS1_3genE8ELNS1_11target_archE1030ELNS1_3gpuE2ELNS1_3repE0EEENS1_30default_config_static_selectorELNS0_4arch9wavefront6targetE0EEEvT1_ ; -- Begin function _ZN7rocprim17ROCPRIM_400000_NS6detail17trampoline_kernelINS0_14default_configENS1_25partition_config_selectorILNS1_17partition_subalgoE6EsNS0_10empty_typeEbEEZZNS1_14partition_implILS5_6ELb0ES3_mN6thrust23THRUST_200600_302600_NS6detail15normal_iteratorINSA_10device_ptrIsEEEEPS6_SG_NS0_5tupleIJNSA_16discard_iteratorINSA_11use_defaultEEES6_EEENSH_IJSG_SG_EEES6_PlJNSB_9not_fun_tI7is_trueIsEEEEEE10hipError_tPvRmT3_T4_T5_T6_T7_T9_mT8_P12ihipStream_tbDpT10_ENKUlT_T0_E_clISt17integral_constantIbLb0EES1B_EEDaS16_S17_EUlS16_E_NS1_11comp_targetILNS1_3genE8ELNS1_11target_archE1030ELNS1_3gpuE2ELNS1_3repE0EEENS1_30default_config_static_selectorELNS0_4arch9wavefront6targetE0EEEvT1_
	.globl	_ZN7rocprim17ROCPRIM_400000_NS6detail17trampoline_kernelINS0_14default_configENS1_25partition_config_selectorILNS1_17partition_subalgoE6EsNS0_10empty_typeEbEEZZNS1_14partition_implILS5_6ELb0ES3_mN6thrust23THRUST_200600_302600_NS6detail15normal_iteratorINSA_10device_ptrIsEEEEPS6_SG_NS0_5tupleIJNSA_16discard_iteratorINSA_11use_defaultEEES6_EEENSH_IJSG_SG_EEES6_PlJNSB_9not_fun_tI7is_trueIsEEEEEE10hipError_tPvRmT3_T4_T5_T6_T7_T9_mT8_P12ihipStream_tbDpT10_ENKUlT_T0_E_clISt17integral_constantIbLb0EES1B_EEDaS16_S17_EUlS16_E_NS1_11comp_targetILNS1_3genE8ELNS1_11target_archE1030ELNS1_3gpuE2ELNS1_3repE0EEENS1_30default_config_static_selectorELNS0_4arch9wavefront6targetE0EEEvT1_
	.p2align	8
	.type	_ZN7rocprim17ROCPRIM_400000_NS6detail17trampoline_kernelINS0_14default_configENS1_25partition_config_selectorILNS1_17partition_subalgoE6EsNS0_10empty_typeEbEEZZNS1_14partition_implILS5_6ELb0ES3_mN6thrust23THRUST_200600_302600_NS6detail15normal_iteratorINSA_10device_ptrIsEEEEPS6_SG_NS0_5tupleIJNSA_16discard_iteratorINSA_11use_defaultEEES6_EEENSH_IJSG_SG_EEES6_PlJNSB_9not_fun_tI7is_trueIsEEEEEE10hipError_tPvRmT3_T4_T5_T6_T7_T9_mT8_P12ihipStream_tbDpT10_ENKUlT_T0_E_clISt17integral_constantIbLb0EES1B_EEDaS16_S17_EUlS16_E_NS1_11comp_targetILNS1_3genE8ELNS1_11target_archE1030ELNS1_3gpuE2ELNS1_3repE0EEENS1_30default_config_static_selectorELNS0_4arch9wavefront6targetE0EEEvT1_,@function
_ZN7rocprim17ROCPRIM_400000_NS6detail17trampoline_kernelINS0_14default_configENS1_25partition_config_selectorILNS1_17partition_subalgoE6EsNS0_10empty_typeEbEEZZNS1_14partition_implILS5_6ELb0ES3_mN6thrust23THRUST_200600_302600_NS6detail15normal_iteratorINSA_10device_ptrIsEEEEPS6_SG_NS0_5tupleIJNSA_16discard_iteratorINSA_11use_defaultEEES6_EEENSH_IJSG_SG_EEES6_PlJNSB_9not_fun_tI7is_trueIsEEEEEE10hipError_tPvRmT3_T4_T5_T6_T7_T9_mT8_P12ihipStream_tbDpT10_ENKUlT_T0_E_clISt17integral_constantIbLb0EES1B_EEDaS16_S17_EUlS16_E_NS1_11comp_targetILNS1_3genE8ELNS1_11target_archE1030ELNS1_3gpuE2ELNS1_3repE0EEENS1_30default_config_static_selectorELNS0_4arch9wavefront6targetE0EEEvT1_: ; @_ZN7rocprim17ROCPRIM_400000_NS6detail17trampoline_kernelINS0_14default_configENS1_25partition_config_selectorILNS1_17partition_subalgoE6EsNS0_10empty_typeEbEEZZNS1_14partition_implILS5_6ELb0ES3_mN6thrust23THRUST_200600_302600_NS6detail15normal_iteratorINSA_10device_ptrIsEEEEPS6_SG_NS0_5tupleIJNSA_16discard_iteratorINSA_11use_defaultEEES6_EEENSH_IJSG_SG_EEES6_PlJNSB_9not_fun_tI7is_trueIsEEEEEE10hipError_tPvRmT3_T4_T5_T6_T7_T9_mT8_P12ihipStream_tbDpT10_ENKUlT_T0_E_clISt17integral_constantIbLb0EES1B_EEDaS16_S17_EUlS16_E_NS1_11comp_targetILNS1_3genE8ELNS1_11target_archE1030ELNS1_3gpuE2ELNS1_3repE0EEENS1_30default_config_static_selectorELNS0_4arch9wavefront6targetE0EEEvT1_
; %bb.0:
	.section	.rodata,"a",@progbits
	.p2align	6, 0x0
	.amdhsa_kernel _ZN7rocprim17ROCPRIM_400000_NS6detail17trampoline_kernelINS0_14default_configENS1_25partition_config_selectorILNS1_17partition_subalgoE6EsNS0_10empty_typeEbEEZZNS1_14partition_implILS5_6ELb0ES3_mN6thrust23THRUST_200600_302600_NS6detail15normal_iteratorINSA_10device_ptrIsEEEEPS6_SG_NS0_5tupleIJNSA_16discard_iteratorINSA_11use_defaultEEES6_EEENSH_IJSG_SG_EEES6_PlJNSB_9not_fun_tI7is_trueIsEEEEEE10hipError_tPvRmT3_T4_T5_T6_T7_T9_mT8_P12ihipStream_tbDpT10_ENKUlT_T0_E_clISt17integral_constantIbLb0EES1B_EEDaS16_S17_EUlS16_E_NS1_11comp_targetILNS1_3genE8ELNS1_11target_archE1030ELNS1_3gpuE2ELNS1_3repE0EEENS1_30default_config_static_selectorELNS0_4arch9wavefront6targetE0EEEvT1_
		.amdhsa_group_segment_fixed_size 0
		.amdhsa_private_segment_fixed_size 0
		.amdhsa_kernarg_size 120
		.amdhsa_user_sgpr_count 2
		.amdhsa_user_sgpr_dispatch_ptr 0
		.amdhsa_user_sgpr_queue_ptr 0
		.amdhsa_user_sgpr_kernarg_segment_ptr 1
		.amdhsa_user_sgpr_dispatch_id 0
		.amdhsa_user_sgpr_private_segment_size 0
		.amdhsa_wavefront_size32 1
		.amdhsa_uses_dynamic_stack 0
		.amdhsa_enable_private_segment 0
		.amdhsa_system_sgpr_workgroup_id_x 1
		.amdhsa_system_sgpr_workgroup_id_y 0
		.amdhsa_system_sgpr_workgroup_id_z 0
		.amdhsa_system_sgpr_workgroup_info 0
		.amdhsa_system_vgpr_workitem_id 0
		.amdhsa_next_free_vgpr 1
		.amdhsa_next_free_sgpr 1
		.amdhsa_reserve_vcc 0
		.amdhsa_float_round_mode_32 0
		.amdhsa_float_round_mode_16_64 0
		.amdhsa_float_denorm_mode_32 3
		.amdhsa_float_denorm_mode_16_64 3
		.amdhsa_fp16_overflow 0
		.amdhsa_workgroup_processor_mode 1
		.amdhsa_memory_ordered 1
		.amdhsa_forward_progress 1
		.amdhsa_inst_pref_size 0
		.amdhsa_round_robin_scheduling 0
		.amdhsa_exception_fp_ieee_invalid_op 0
		.amdhsa_exception_fp_denorm_src 0
		.amdhsa_exception_fp_ieee_div_zero 0
		.amdhsa_exception_fp_ieee_overflow 0
		.amdhsa_exception_fp_ieee_underflow 0
		.amdhsa_exception_fp_ieee_inexact 0
		.amdhsa_exception_int_div_zero 0
	.end_amdhsa_kernel
	.section	.text._ZN7rocprim17ROCPRIM_400000_NS6detail17trampoline_kernelINS0_14default_configENS1_25partition_config_selectorILNS1_17partition_subalgoE6EsNS0_10empty_typeEbEEZZNS1_14partition_implILS5_6ELb0ES3_mN6thrust23THRUST_200600_302600_NS6detail15normal_iteratorINSA_10device_ptrIsEEEEPS6_SG_NS0_5tupleIJNSA_16discard_iteratorINSA_11use_defaultEEES6_EEENSH_IJSG_SG_EEES6_PlJNSB_9not_fun_tI7is_trueIsEEEEEE10hipError_tPvRmT3_T4_T5_T6_T7_T9_mT8_P12ihipStream_tbDpT10_ENKUlT_T0_E_clISt17integral_constantIbLb0EES1B_EEDaS16_S17_EUlS16_E_NS1_11comp_targetILNS1_3genE8ELNS1_11target_archE1030ELNS1_3gpuE2ELNS1_3repE0EEENS1_30default_config_static_selectorELNS0_4arch9wavefront6targetE0EEEvT1_,"axG",@progbits,_ZN7rocprim17ROCPRIM_400000_NS6detail17trampoline_kernelINS0_14default_configENS1_25partition_config_selectorILNS1_17partition_subalgoE6EsNS0_10empty_typeEbEEZZNS1_14partition_implILS5_6ELb0ES3_mN6thrust23THRUST_200600_302600_NS6detail15normal_iteratorINSA_10device_ptrIsEEEEPS6_SG_NS0_5tupleIJNSA_16discard_iteratorINSA_11use_defaultEEES6_EEENSH_IJSG_SG_EEES6_PlJNSB_9not_fun_tI7is_trueIsEEEEEE10hipError_tPvRmT3_T4_T5_T6_T7_T9_mT8_P12ihipStream_tbDpT10_ENKUlT_T0_E_clISt17integral_constantIbLb0EES1B_EEDaS16_S17_EUlS16_E_NS1_11comp_targetILNS1_3genE8ELNS1_11target_archE1030ELNS1_3gpuE2ELNS1_3repE0EEENS1_30default_config_static_selectorELNS0_4arch9wavefront6targetE0EEEvT1_,comdat
.Lfunc_end2308:
	.size	_ZN7rocprim17ROCPRIM_400000_NS6detail17trampoline_kernelINS0_14default_configENS1_25partition_config_selectorILNS1_17partition_subalgoE6EsNS0_10empty_typeEbEEZZNS1_14partition_implILS5_6ELb0ES3_mN6thrust23THRUST_200600_302600_NS6detail15normal_iteratorINSA_10device_ptrIsEEEEPS6_SG_NS0_5tupleIJNSA_16discard_iteratorINSA_11use_defaultEEES6_EEENSH_IJSG_SG_EEES6_PlJNSB_9not_fun_tI7is_trueIsEEEEEE10hipError_tPvRmT3_T4_T5_T6_T7_T9_mT8_P12ihipStream_tbDpT10_ENKUlT_T0_E_clISt17integral_constantIbLb0EES1B_EEDaS16_S17_EUlS16_E_NS1_11comp_targetILNS1_3genE8ELNS1_11target_archE1030ELNS1_3gpuE2ELNS1_3repE0EEENS1_30default_config_static_selectorELNS0_4arch9wavefront6targetE0EEEvT1_, .Lfunc_end2308-_ZN7rocprim17ROCPRIM_400000_NS6detail17trampoline_kernelINS0_14default_configENS1_25partition_config_selectorILNS1_17partition_subalgoE6EsNS0_10empty_typeEbEEZZNS1_14partition_implILS5_6ELb0ES3_mN6thrust23THRUST_200600_302600_NS6detail15normal_iteratorINSA_10device_ptrIsEEEEPS6_SG_NS0_5tupleIJNSA_16discard_iteratorINSA_11use_defaultEEES6_EEENSH_IJSG_SG_EEES6_PlJNSB_9not_fun_tI7is_trueIsEEEEEE10hipError_tPvRmT3_T4_T5_T6_T7_T9_mT8_P12ihipStream_tbDpT10_ENKUlT_T0_E_clISt17integral_constantIbLb0EES1B_EEDaS16_S17_EUlS16_E_NS1_11comp_targetILNS1_3genE8ELNS1_11target_archE1030ELNS1_3gpuE2ELNS1_3repE0EEENS1_30default_config_static_selectorELNS0_4arch9wavefront6targetE0EEEvT1_
                                        ; -- End function
	.set _ZN7rocprim17ROCPRIM_400000_NS6detail17trampoline_kernelINS0_14default_configENS1_25partition_config_selectorILNS1_17partition_subalgoE6EsNS0_10empty_typeEbEEZZNS1_14partition_implILS5_6ELb0ES3_mN6thrust23THRUST_200600_302600_NS6detail15normal_iteratorINSA_10device_ptrIsEEEEPS6_SG_NS0_5tupleIJNSA_16discard_iteratorINSA_11use_defaultEEES6_EEENSH_IJSG_SG_EEES6_PlJNSB_9not_fun_tI7is_trueIsEEEEEE10hipError_tPvRmT3_T4_T5_T6_T7_T9_mT8_P12ihipStream_tbDpT10_ENKUlT_T0_E_clISt17integral_constantIbLb0EES1B_EEDaS16_S17_EUlS16_E_NS1_11comp_targetILNS1_3genE8ELNS1_11target_archE1030ELNS1_3gpuE2ELNS1_3repE0EEENS1_30default_config_static_selectorELNS0_4arch9wavefront6targetE0EEEvT1_.num_vgpr, 0
	.set _ZN7rocprim17ROCPRIM_400000_NS6detail17trampoline_kernelINS0_14default_configENS1_25partition_config_selectorILNS1_17partition_subalgoE6EsNS0_10empty_typeEbEEZZNS1_14partition_implILS5_6ELb0ES3_mN6thrust23THRUST_200600_302600_NS6detail15normal_iteratorINSA_10device_ptrIsEEEEPS6_SG_NS0_5tupleIJNSA_16discard_iteratorINSA_11use_defaultEEES6_EEENSH_IJSG_SG_EEES6_PlJNSB_9not_fun_tI7is_trueIsEEEEEE10hipError_tPvRmT3_T4_T5_T6_T7_T9_mT8_P12ihipStream_tbDpT10_ENKUlT_T0_E_clISt17integral_constantIbLb0EES1B_EEDaS16_S17_EUlS16_E_NS1_11comp_targetILNS1_3genE8ELNS1_11target_archE1030ELNS1_3gpuE2ELNS1_3repE0EEENS1_30default_config_static_selectorELNS0_4arch9wavefront6targetE0EEEvT1_.num_agpr, 0
	.set _ZN7rocprim17ROCPRIM_400000_NS6detail17trampoline_kernelINS0_14default_configENS1_25partition_config_selectorILNS1_17partition_subalgoE6EsNS0_10empty_typeEbEEZZNS1_14partition_implILS5_6ELb0ES3_mN6thrust23THRUST_200600_302600_NS6detail15normal_iteratorINSA_10device_ptrIsEEEEPS6_SG_NS0_5tupleIJNSA_16discard_iteratorINSA_11use_defaultEEES6_EEENSH_IJSG_SG_EEES6_PlJNSB_9not_fun_tI7is_trueIsEEEEEE10hipError_tPvRmT3_T4_T5_T6_T7_T9_mT8_P12ihipStream_tbDpT10_ENKUlT_T0_E_clISt17integral_constantIbLb0EES1B_EEDaS16_S17_EUlS16_E_NS1_11comp_targetILNS1_3genE8ELNS1_11target_archE1030ELNS1_3gpuE2ELNS1_3repE0EEENS1_30default_config_static_selectorELNS0_4arch9wavefront6targetE0EEEvT1_.numbered_sgpr, 0
	.set _ZN7rocprim17ROCPRIM_400000_NS6detail17trampoline_kernelINS0_14default_configENS1_25partition_config_selectorILNS1_17partition_subalgoE6EsNS0_10empty_typeEbEEZZNS1_14partition_implILS5_6ELb0ES3_mN6thrust23THRUST_200600_302600_NS6detail15normal_iteratorINSA_10device_ptrIsEEEEPS6_SG_NS0_5tupleIJNSA_16discard_iteratorINSA_11use_defaultEEES6_EEENSH_IJSG_SG_EEES6_PlJNSB_9not_fun_tI7is_trueIsEEEEEE10hipError_tPvRmT3_T4_T5_T6_T7_T9_mT8_P12ihipStream_tbDpT10_ENKUlT_T0_E_clISt17integral_constantIbLb0EES1B_EEDaS16_S17_EUlS16_E_NS1_11comp_targetILNS1_3genE8ELNS1_11target_archE1030ELNS1_3gpuE2ELNS1_3repE0EEENS1_30default_config_static_selectorELNS0_4arch9wavefront6targetE0EEEvT1_.num_named_barrier, 0
	.set _ZN7rocprim17ROCPRIM_400000_NS6detail17trampoline_kernelINS0_14default_configENS1_25partition_config_selectorILNS1_17partition_subalgoE6EsNS0_10empty_typeEbEEZZNS1_14partition_implILS5_6ELb0ES3_mN6thrust23THRUST_200600_302600_NS6detail15normal_iteratorINSA_10device_ptrIsEEEEPS6_SG_NS0_5tupleIJNSA_16discard_iteratorINSA_11use_defaultEEES6_EEENSH_IJSG_SG_EEES6_PlJNSB_9not_fun_tI7is_trueIsEEEEEE10hipError_tPvRmT3_T4_T5_T6_T7_T9_mT8_P12ihipStream_tbDpT10_ENKUlT_T0_E_clISt17integral_constantIbLb0EES1B_EEDaS16_S17_EUlS16_E_NS1_11comp_targetILNS1_3genE8ELNS1_11target_archE1030ELNS1_3gpuE2ELNS1_3repE0EEENS1_30default_config_static_selectorELNS0_4arch9wavefront6targetE0EEEvT1_.private_seg_size, 0
	.set _ZN7rocprim17ROCPRIM_400000_NS6detail17trampoline_kernelINS0_14default_configENS1_25partition_config_selectorILNS1_17partition_subalgoE6EsNS0_10empty_typeEbEEZZNS1_14partition_implILS5_6ELb0ES3_mN6thrust23THRUST_200600_302600_NS6detail15normal_iteratorINSA_10device_ptrIsEEEEPS6_SG_NS0_5tupleIJNSA_16discard_iteratorINSA_11use_defaultEEES6_EEENSH_IJSG_SG_EEES6_PlJNSB_9not_fun_tI7is_trueIsEEEEEE10hipError_tPvRmT3_T4_T5_T6_T7_T9_mT8_P12ihipStream_tbDpT10_ENKUlT_T0_E_clISt17integral_constantIbLb0EES1B_EEDaS16_S17_EUlS16_E_NS1_11comp_targetILNS1_3genE8ELNS1_11target_archE1030ELNS1_3gpuE2ELNS1_3repE0EEENS1_30default_config_static_selectorELNS0_4arch9wavefront6targetE0EEEvT1_.uses_vcc, 0
	.set _ZN7rocprim17ROCPRIM_400000_NS6detail17trampoline_kernelINS0_14default_configENS1_25partition_config_selectorILNS1_17partition_subalgoE6EsNS0_10empty_typeEbEEZZNS1_14partition_implILS5_6ELb0ES3_mN6thrust23THRUST_200600_302600_NS6detail15normal_iteratorINSA_10device_ptrIsEEEEPS6_SG_NS0_5tupleIJNSA_16discard_iteratorINSA_11use_defaultEEES6_EEENSH_IJSG_SG_EEES6_PlJNSB_9not_fun_tI7is_trueIsEEEEEE10hipError_tPvRmT3_T4_T5_T6_T7_T9_mT8_P12ihipStream_tbDpT10_ENKUlT_T0_E_clISt17integral_constantIbLb0EES1B_EEDaS16_S17_EUlS16_E_NS1_11comp_targetILNS1_3genE8ELNS1_11target_archE1030ELNS1_3gpuE2ELNS1_3repE0EEENS1_30default_config_static_selectorELNS0_4arch9wavefront6targetE0EEEvT1_.uses_flat_scratch, 0
	.set _ZN7rocprim17ROCPRIM_400000_NS6detail17trampoline_kernelINS0_14default_configENS1_25partition_config_selectorILNS1_17partition_subalgoE6EsNS0_10empty_typeEbEEZZNS1_14partition_implILS5_6ELb0ES3_mN6thrust23THRUST_200600_302600_NS6detail15normal_iteratorINSA_10device_ptrIsEEEEPS6_SG_NS0_5tupleIJNSA_16discard_iteratorINSA_11use_defaultEEES6_EEENSH_IJSG_SG_EEES6_PlJNSB_9not_fun_tI7is_trueIsEEEEEE10hipError_tPvRmT3_T4_T5_T6_T7_T9_mT8_P12ihipStream_tbDpT10_ENKUlT_T0_E_clISt17integral_constantIbLb0EES1B_EEDaS16_S17_EUlS16_E_NS1_11comp_targetILNS1_3genE8ELNS1_11target_archE1030ELNS1_3gpuE2ELNS1_3repE0EEENS1_30default_config_static_selectorELNS0_4arch9wavefront6targetE0EEEvT1_.has_dyn_sized_stack, 0
	.set _ZN7rocprim17ROCPRIM_400000_NS6detail17trampoline_kernelINS0_14default_configENS1_25partition_config_selectorILNS1_17partition_subalgoE6EsNS0_10empty_typeEbEEZZNS1_14partition_implILS5_6ELb0ES3_mN6thrust23THRUST_200600_302600_NS6detail15normal_iteratorINSA_10device_ptrIsEEEEPS6_SG_NS0_5tupleIJNSA_16discard_iteratorINSA_11use_defaultEEES6_EEENSH_IJSG_SG_EEES6_PlJNSB_9not_fun_tI7is_trueIsEEEEEE10hipError_tPvRmT3_T4_T5_T6_T7_T9_mT8_P12ihipStream_tbDpT10_ENKUlT_T0_E_clISt17integral_constantIbLb0EES1B_EEDaS16_S17_EUlS16_E_NS1_11comp_targetILNS1_3genE8ELNS1_11target_archE1030ELNS1_3gpuE2ELNS1_3repE0EEENS1_30default_config_static_selectorELNS0_4arch9wavefront6targetE0EEEvT1_.has_recursion, 0
	.set _ZN7rocprim17ROCPRIM_400000_NS6detail17trampoline_kernelINS0_14default_configENS1_25partition_config_selectorILNS1_17partition_subalgoE6EsNS0_10empty_typeEbEEZZNS1_14partition_implILS5_6ELb0ES3_mN6thrust23THRUST_200600_302600_NS6detail15normal_iteratorINSA_10device_ptrIsEEEEPS6_SG_NS0_5tupleIJNSA_16discard_iteratorINSA_11use_defaultEEES6_EEENSH_IJSG_SG_EEES6_PlJNSB_9not_fun_tI7is_trueIsEEEEEE10hipError_tPvRmT3_T4_T5_T6_T7_T9_mT8_P12ihipStream_tbDpT10_ENKUlT_T0_E_clISt17integral_constantIbLb0EES1B_EEDaS16_S17_EUlS16_E_NS1_11comp_targetILNS1_3genE8ELNS1_11target_archE1030ELNS1_3gpuE2ELNS1_3repE0EEENS1_30default_config_static_selectorELNS0_4arch9wavefront6targetE0EEEvT1_.has_indirect_call, 0
	.section	.AMDGPU.csdata,"",@progbits
; Kernel info:
; codeLenInByte = 0
; TotalNumSgprs: 0
; NumVgprs: 0
; ScratchSize: 0
; MemoryBound: 0
; FloatMode: 240
; IeeeMode: 1
; LDSByteSize: 0 bytes/workgroup (compile time only)
; SGPRBlocks: 0
; VGPRBlocks: 0
; NumSGPRsForWavesPerEU: 1
; NumVGPRsForWavesPerEU: 1
; Occupancy: 16
; WaveLimiterHint : 0
; COMPUTE_PGM_RSRC2:SCRATCH_EN: 0
; COMPUTE_PGM_RSRC2:USER_SGPR: 2
; COMPUTE_PGM_RSRC2:TRAP_HANDLER: 0
; COMPUTE_PGM_RSRC2:TGID_X_EN: 1
; COMPUTE_PGM_RSRC2:TGID_Y_EN: 0
; COMPUTE_PGM_RSRC2:TGID_Z_EN: 0
; COMPUTE_PGM_RSRC2:TIDIG_COMP_CNT: 0
	.section	.text._ZN7rocprim17ROCPRIM_400000_NS6detail17trampoline_kernelINS0_14default_configENS1_25partition_config_selectorILNS1_17partition_subalgoE6EsNS0_10empty_typeEbEEZZNS1_14partition_implILS5_6ELb0ES3_mN6thrust23THRUST_200600_302600_NS6detail15normal_iteratorINSA_10device_ptrIsEEEEPS6_SG_NS0_5tupleIJNSA_16discard_iteratorINSA_11use_defaultEEES6_EEENSH_IJSG_SG_EEES6_PlJNSB_9not_fun_tI7is_trueIsEEEEEE10hipError_tPvRmT3_T4_T5_T6_T7_T9_mT8_P12ihipStream_tbDpT10_ENKUlT_T0_E_clISt17integral_constantIbLb1EES1B_EEDaS16_S17_EUlS16_E_NS1_11comp_targetILNS1_3genE0ELNS1_11target_archE4294967295ELNS1_3gpuE0ELNS1_3repE0EEENS1_30default_config_static_selectorELNS0_4arch9wavefront6targetE0EEEvT1_,"axG",@progbits,_ZN7rocprim17ROCPRIM_400000_NS6detail17trampoline_kernelINS0_14default_configENS1_25partition_config_selectorILNS1_17partition_subalgoE6EsNS0_10empty_typeEbEEZZNS1_14partition_implILS5_6ELb0ES3_mN6thrust23THRUST_200600_302600_NS6detail15normal_iteratorINSA_10device_ptrIsEEEEPS6_SG_NS0_5tupleIJNSA_16discard_iteratorINSA_11use_defaultEEES6_EEENSH_IJSG_SG_EEES6_PlJNSB_9not_fun_tI7is_trueIsEEEEEE10hipError_tPvRmT3_T4_T5_T6_T7_T9_mT8_P12ihipStream_tbDpT10_ENKUlT_T0_E_clISt17integral_constantIbLb1EES1B_EEDaS16_S17_EUlS16_E_NS1_11comp_targetILNS1_3genE0ELNS1_11target_archE4294967295ELNS1_3gpuE0ELNS1_3repE0EEENS1_30default_config_static_selectorELNS0_4arch9wavefront6targetE0EEEvT1_,comdat
	.protected	_ZN7rocprim17ROCPRIM_400000_NS6detail17trampoline_kernelINS0_14default_configENS1_25partition_config_selectorILNS1_17partition_subalgoE6EsNS0_10empty_typeEbEEZZNS1_14partition_implILS5_6ELb0ES3_mN6thrust23THRUST_200600_302600_NS6detail15normal_iteratorINSA_10device_ptrIsEEEEPS6_SG_NS0_5tupleIJNSA_16discard_iteratorINSA_11use_defaultEEES6_EEENSH_IJSG_SG_EEES6_PlJNSB_9not_fun_tI7is_trueIsEEEEEE10hipError_tPvRmT3_T4_T5_T6_T7_T9_mT8_P12ihipStream_tbDpT10_ENKUlT_T0_E_clISt17integral_constantIbLb1EES1B_EEDaS16_S17_EUlS16_E_NS1_11comp_targetILNS1_3genE0ELNS1_11target_archE4294967295ELNS1_3gpuE0ELNS1_3repE0EEENS1_30default_config_static_selectorELNS0_4arch9wavefront6targetE0EEEvT1_ ; -- Begin function _ZN7rocprim17ROCPRIM_400000_NS6detail17trampoline_kernelINS0_14default_configENS1_25partition_config_selectorILNS1_17partition_subalgoE6EsNS0_10empty_typeEbEEZZNS1_14partition_implILS5_6ELb0ES3_mN6thrust23THRUST_200600_302600_NS6detail15normal_iteratorINSA_10device_ptrIsEEEEPS6_SG_NS0_5tupleIJNSA_16discard_iteratorINSA_11use_defaultEEES6_EEENSH_IJSG_SG_EEES6_PlJNSB_9not_fun_tI7is_trueIsEEEEEE10hipError_tPvRmT3_T4_T5_T6_T7_T9_mT8_P12ihipStream_tbDpT10_ENKUlT_T0_E_clISt17integral_constantIbLb1EES1B_EEDaS16_S17_EUlS16_E_NS1_11comp_targetILNS1_3genE0ELNS1_11target_archE4294967295ELNS1_3gpuE0ELNS1_3repE0EEENS1_30default_config_static_selectorELNS0_4arch9wavefront6targetE0EEEvT1_
	.globl	_ZN7rocprim17ROCPRIM_400000_NS6detail17trampoline_kernelINS0_14default_configENS1_25partition_config_selectorILNS1_17partition_subalgoE6EsNS0_10empty_typeEbEEZZNS1_14partition_implILS5_6ELb0ES3_mN6thrust23THRUST_200600_302600_NS6detail15normal_iteratorINSA_10device_ptrIsEEEEPS6_SG_NS0_5tupleIJNSA_16discard_iteratorINSA_11use_defaultEEES6_EEENSH_IJSG_SG_EEES6_PlJNSB_9not_fun_tI7is_trueIsEEEEEE10hipError_tPvRmT3_T4_T5_T6_T7_T9_mT8_P12ihipStream_tbDpT10_ENKUlT_T0_E_clISt17integral_constantIbLb1EES1B_EEDaS16_S17_EUlS16_E_NS1_11comp_targetILNS1_3genE0ELNS1_11target_archE4294967295ELNS1_3gpuE0ELNS1_3repE0EEENS1_30default_config_static_selectorELNS0_4arch9wavefront6targetE0EEEvT1_
	.p2align	8
	.type	_ZN7rocprim17ROCPRIM_400000_NS6detail17trampoline_kernelINS0_14default_configENS1_25partition_config_selectorILNS1_17partition_subalgoE6EsNS0_10empty_typeEbEEZZNS1_14partition_implILS5_6ELb0ES3_mN6thrust23THRUST_200600_302600_NS6detail15normal_iteratorINSA_10device_ptrIsEEEEPS6_SG_NS0_5tupleIJNSA_16discard_iteratorINSA_11use_defaultEEES6_EEENSH_IJSG_SG_EEES6_PlJNSB_9not_fun_tI7is_trueIsEEEEEE10hipError_tPvRmT3_T4_T5_T6_T7_T9_mT8_P12ihipStream_tbDpT10_ENKUlT_T0_E_clISt17integral_constantIbLb1EES1B_EEDaS16_S17_EUlS16_E_NS1_11comp_targetILNS1_3genE0ELNS1_11target_archE4294967295ELNS1_3gpuE0ELNS1_3repE0EEENS1_30default_config_static_selectorELNS0_4arch9wavefront6targetE0EEEvT1_,@function
_ZN7rocprim17ROCPRIM_400000_NS6detail17trampoline_kernelINS0_14default_configENS1_25partition_config_selectorILNS1_17partition_subalgoE6EsNS0_10empty_typeEbEEZZNS1_14partition_implILS5_6ELb0ES3_mN6thrust23THRUST_200600_302600_NS6detail15normal_iteratorINSA_10device_ptrIsEEEEPS6_SG_NS0_5tupleIJNSA_16discard_iteratorINSA_11use_defaultEEES6_EEENSH_IJSG_SG_EEES6_PlJNSB_9not_fun_tI7is_trueIsEEEEEE10hipError_tPvRmT3_T4_T5_T6_T7_T9_mT8_P12ihipStream_tbDpT10_ENKUlT_T0_E_clISt17integral_constantIbLb1EES1B_EEDaS16_S17_EUlS16_E_NS1_11comp_targetILNS1_3genE0ELNS1_11target_archE4294967295ELNS1_3gpuE0ELNS1_3repE0EEENS1_30default_config_static_selectorELNS0_4arch9wavefront6targetE0EEEvT1_: ; @_ZN7rocprim17ROCPRIM_400000_NS6detail17trampoline_kernelINS0_14default_configENS1_25partition_config_selectorILNS1_17partition_subalgoE6EsNS0_10empty_typeEbEEZZNS1_14partition_implILS5_6ELb0ES3_mN6thrust23THRUST_200600_302600_NS6detail15normal_iteratorINSA_10device_ptrIsEEEEPS6_SG_NS0_5tupleIJNSA_16discard_iteratorINSA_11use_defaultEEES6_EEENSH_IJSG_SG_EEES6_PlJNSB_9not_fun_tI7is_trueIsEEEEEE10hipError_tPvRmT3_T4_T5_T6_T7_T9_mT8_P12ihipStream_tbDpT10_ENKUlT_T0_E_clISt17integral_constantIbLb1EES1B_EEDaS16_S17_EUlS16_E_NS1_11comp_targetILNS1_3genE0ELNS1_11target_archE4294967295ELNS1_3gpuE0ELNS1_3repE0EEENS1_30default_config_static_selectorELNS0_4arch9wavefront6targetE0EEEvT1_
; %bb.0:
	.section	.rodata,"a",@progbits
	.p2align	6, 0x0
	.amdhsa_kernel _ZN7rocprim17ROCPRIM_400000_NS6detail17trampoline_kernelINS0_14default_configENS1_25partition_config_selectorILNS1_17partition_subalgoE6EsNS0_10empty_typeEbEEZZNS1_14partition_implILS5_6ELb0ES3_mN6thrust23THRUST_200600_302600_NS6detail15normal_iteratorINSA_10device_ptrIsEEEEPS6_SG_NS0_5tupleIJNSA_16discard_iteratorINSA_11use_defaultEEES6_EEENSH_IJSG_SG_EEES6_PlJNSB_9not_fun_tI7is_trueIsEEEEEE10hipError_tPvRmT3_T4_T5_T6_T7_T9_mT8_P12ihipStream_tbDpT10_ENKUlT_T0_E_clISt17integral_constantIbLb1EES1B_EEDaS16_S17_EUlS16_E_NS1_11comp_targetILNS1_3genE0ELNS1_11target_archE4294967295ELNS1_3gpuE0ELNS1_3repE0EEENS1_30default_config_static_selectorELNS0_4arch9wavefront6targetE0EEEvT1_
		.amdhsa_group_segment_fixed_size 0
		.amdhsa_private_segment_fixed_size 0
		.amdhsa_kernarg_size 136
		.amdhsa_user_sgpr_count 2
		.amdhsa_user_sgpr_dispatch_ptr 0
		.amdhsa_user_sgpr_queue_ptr 0
		.amdhsa_user_sgpr_kernarg_segment_ptr 1
		.amdhsa_user_sgpr_dispatch_id 0
		.amdhsa_user_sgpr_private_segment_size 0
		.amdhsa_wavefront_size32 1
		.amdhsa_uses_dynamic_stack 0
		.amdhsa_enable_private_segment 0
		.amdhsa_system_sgpr_workgroup_id_x 1
		.amdhsa_system_sgpr_workgroup_id_y 0
		.amdhsa_system_sgpr_workgroup_id_z 0
		.amdhsa_system_sgpr_workgroup_info 0
		.amdhsa_system_vgpr_workitem_id 0
		.amdhsa_next_free_vgpr 1
		.amdhsa_next_free_sgpr 1
		.amdhsa_reserve_vcc 0
		.amdhsa_float_round_mode_32 0
		.amdhsa_float_round_mode_16_64 0
		.amdhsa_float_denorm_mode_32 3
		.amdhsa_float_denorm_mode_16_64 3
		.amdhsa_fp16_overflow 0
		.amdhsa_workgroup_processor_mode 1
		.amdhsa_memory_ordered 1
		.amdhsa_forward_progress 1
		.amdhsa_inst_pref_size 0
		.amdhsa_round_robin_scheduling 0
		.amdhsa_exception_fp_ieee_invalid_op 0
		.amdhsa_exception_fp_denorm_src 0
		.amdhsa_exception_fp_ieee_div_zero 0
		.amdhsa_exception_fp_ieee_overflow 0
		.amdhsa_exception_fp_ieee_underflow 0
		.amdhsa_exception_fp_ieee_inexact 0
		.amdhsa_exception_int_div_zero 0
	.end_amdhsa_kernel
	.section	.text._ZN7rocprim17ROCPRIM_400000_NS6detail17trampoline_kernelINS0_14default_configENS1_25partition_config_selectorILNS1_17partition_subalgoE6EsNS0_10empty_typeEbEEZZNS1_14partition_implILS5_6ELb0ES3_mN6thrust23THRUST_200600_302600_NS6detail15normal_iteratorINSA_10device_ptrIsEEEEPS6_SG_NS0_5tupleIJNSA_16discard_iteratorINSA_11use_defaultEEES6_EEENSH_IJSG_SG_EEES6_PlJNSB_9not_fun_tI7is_trueIsEEEEEE10hipError_tPvRmT3_T4_T5_T6_T7_T9_mT8_P12ihipStream_tbDpT10_ENKUlT_T0_E_clISt17integral_constantIbLb1EES1B_EEDaS16_S17_EUlS16_E_NS1_11comp_targetILNS1_3genE0ELNS1_11target_archE4294967295ELNS1_3gpuE0ELNS1_3repE0EEENS1_30default_config_static_selectorELNS0_4arch9wavefront6targetE0EEEvT1_,"axG",@progbits,_ZN7rocprim17ROCPRIM_400000_NS6detail17trampoline_kernelINS0_14default_configENS1_25partition_config_selectorILNS1_17partition_subalgoE6EsNS0_10empty_typeEbEEZZNS1_14partition_implILS5_6ELb0ES3_mN6thrust23THRUST_200600_302600_NS6detail15normal_iteratorINSA_10device_ptrIsEEEEPS6_SG_NS0_5tupleIJNSA_16discard_iteratorINSA_11use_defaultEEES6_EEENSH_IJSG_SG_EEES6_PlJNSB_9not_fun_tI7is_trueIsEEEEEE10hipError_tPvRmT3_T4_T5_T6_T7_T9_mT8_P12ihipStream_tbDpT10_ENKUlT_T0_E_clISt17integral_constantIbLb1EES1B_EEDaS16_S17_EUlS16_E_NS1_11comp_targetILNS1_3genE0ELNS1_11target_archE4294967295ELNS1_3gpuE0ELNS1_3repE0EEENS1_30default_config_static_selectorELNS0_4arch9wavefront6targetE0EEEvT1_,comdat
.Lfunc_end2309:
	.size	_ZN7rocprim17ROCPRIM_400000_NS6detail17trampoline_kernelINS0_14default_configENS1_25partition_config_selectorILNS1_17partition_subalgoE6EsNS0_10empty_typeEbEEZZNS1_14partition_implILS5_6ELb0ES3_mN6thrust23THRUST_200600_302600_NS6detail15normal_iteratorINSA_10device_ptrIsEEEEPS6_SG_NS0_5tupleIJNSA_16discard_iteratorINSA_11use_defaultEEES6_EEENSH_IJSG_SG_EEES6_PlJNSB_9not_fun_tI7is_trueIsEEEEEE10hipError_tPvRmT3_T4_T5_T6_T7_T9_mT8_P12ihipStream_tbDpT10_ENKUlT_T0_E_clISt17integral_constantIbLb1EES1B_EEDaS16_S17_EUlS16_E_NS1_11comp_targetILNS1_3genE0ELNS1_11target_archE4294967295ELNS1_3gpuE0ELNS1_3repE0EEENS1_30default_config_static_selectorELNS0_4arch9wavefront6targetE0EEEvT1_, .Lfunc_end2309-_ZN7rocprim17ROCPRIM_400000_NS6detail17trampoline_kernelINS0_14default_configENS1_25partition_config_selectorILNS1_17partition_subalgoE6EsNS0_10empty_typeEbEEZZNS1_14partition_implILS5_6ELb0ES3_mN6thrust23THRUST_200600_302600_NS6detail15normal_iteratorINSA_10device_ptrIsEEEEPS6_SG_NS0_5tupleIJNSA_16discard_iteratorINSA_11use_defaultEEES6_EEENSH_IJSG_SG_EEES6_PlJNSB_9not_fun_tI7is_trueIsEEEEEE10hipError_tPvRmT3_T4_T5_T6_T7_T9_mT8_P12ihipStream_tbDpT10_ENKUlT_T0_E_clISt17integral_constantIbLb1EES1B_EEDaS16_S17_EUlS16_E_NS1_11comp_targetILNS1_3genE0ELNS1_11target_archE4294967295ELNS1_3gpuE0ELNS1_3repE0EEENS1_30default_config_static_selectorELNS0_4arch9wavefront6targetE0EEEvT1_
                                        ; -- End function
	.set _ZN7rocprim17ROCPRIM_400000_NS6detail17trampoline_kernelINS0_14default_configENS1_25partition_config_selectorILNS1_17partition_subalgoE6EsNS0_10empty_typeEbEEZZNS1_14partition_implILS5_6ELb0ES3_mN6thrust23THRUST_200600_302600_NS6detail15normal_iteratorINSA_10device_ptrIsEEEEPS6_SG_NS0_5tupleIJNSA_16discard_iteratorINSA_11use_defaultEEES6_EEENSH_IJSG_SG_EEES6_PlJNSB_9not_fun_tI7is_trueIsEEEEEE10hipError_tPvRmT3_T4_T5_T6_T7_T9_mT8_P12ihipStream_tbDpT10_ENKUlT_T0_E_clISt17integral_constantIbLb1EES1B_EEDaS16_S17_EUlS16_E_NS1_11comp_targetILNS1_3genE0ELNS1_11target_archE4294967295ELNS1_3gpuE0ELNS1_3repE0EEENS1_30default_config_static_selectorELNS0_4arch9wavefront6targetE0EEEvT1_.num_vgpr, 0
	.set _ZN7rocprim17ROCPRIM_400000_NS6detail17trampoline_kernelINS0_14default_configENS1_25partition_config_selectorILNS1_17partition_subalgoE6EsNS0_10empty_typeEbEEZZNS1_14partition_implILS5_6ELb0ES3_mN6thrust23THRUST_200600_302600_NS6detail15normal_iteratorINSA_10device_ptrIsEEEEPS6_SG_NS0_5tupleIJNSA_16discard_iteratorINSA_11use_defaultEEES6_EEENSH_IJSG_SG_EEES6_PlJNSB_9not_fun_tI7is_trueIsEEEEEE10hipError_tPvRmT3_T4_T5_T6_T7_T9_mT8_P12ihipStream_tbDpT10_ENKUlT_T0_E_clISt17integral_constantIbLb1EES1B_EEDaS16_S17_EUlS16_E_NS1_11comp_targetILNS1_3genE0ELNS1_11target_archE4294967295ELNS1_3gpuE0ELNS1_3repE0EEENS1_30default_config_static_selectorELNS0_4arch9wavefront6targetE0EEEvT1_.num_agpr, 0
	.set _ZN7rocprim17ROCPRIM_400000_NS6detail17trampoline_kernelINS0_14default_configENS1_25partition_config_selectorILNS1_17partition_subalgoE6EsNS0_10empty_typeEbEEZZNS1_14partition_implILS5_6ELb0ES3_mN6thrust23THRUST_200600_302600_NS6detail15normal_iteratorINSA_10device_ptrIsEEEEPS6_SG_NS0_5tupleIJNSA_16discard_iteratorINSA_11use_defaultEEES6_EEENSH_IJSG_SG_EEES6_PlJNSB_9not_fun_tI7is_trueIsEEEEEE10hipError_tPvRmT3_T4_T5_T6_T7_T9_mT8_P12ihipStream_tbDpT10_ENKUlT_T0_E_clISt17integral_constantIbLb1EES1B_EEDaS16_S17_EUlS16_E_NS1_11comp_targetILNS1_3genE0ELNS1_11target_archE4294967295ELNS1_3gpuE0ELNS1_3repE0EEENS1_30default_config_static_selectorELNS0_4arch9wavefront6targetE0EEEvT1_.numbered_sgpr, 0
	.set _ZN7rocprim17ROCPRIM_400000_NS6detail17trampoline_kernelINS0_14default_configENS1_25partition_config_selectorILNS1_17partition_subalgoE6EsNS0_10empty_typeEbEEZZNS1_14partition_implILS5_6ELb0ES3_mN6thrust23THRUST_200600_302600_NS6detail15normal_iteratorINSA_10device_ptrIsEEEEPS6_SG_NS0_5tupleIJNSA_16discard_iteratorINSA_11use_defaultEEES6_EEENSH_IJSG_SG_EEES6_PlJNSB_9not_fun_tI7is_trueIsEEEEEE10hipError_tPvRmT3_T4_T5_T6_T7_T9_mT8_P12ihipStream_tbDpT10_ENKUlT_T0_E_clISt17integral_constantIbLb1EES1B_EEDaS16_S17_EUlS16_E_NS1_11comp_targetILNS1_3genE0ELNS1_11target_archE4294967295ELNS1_3gpuE0ELNS1_3repE0EEENS1_30default_config_static_selectorELNS0_4arch9wavefront6targetE0EEEvT1_.num_named_barrier, 0
	.set _ZN7rocprim17ROCPRIM_400000_NS6detail17trampoline_kernelINS0_14default_configENS1_25partition_config_selectorILNS1_17partition_subalgoE6EsNS0_10empty_typeEbEEZZNS1_14partition_implILS5_6ELb0ES3_mN6thrust23THRUST_200600_302600_NS6detail15normal_iteratorINSA_10device_ptrIsEEEEPS6_SG_NS0_5tupleIJNSA_16discard_iteratorINSA_11use_defaultEEES6_EEENSH_IJSG_SG_EEES6_PlJNSB_9not_fun_tI7is_trueIsEEEEEE10hipError_tPvRmT3_T4_T5_T6_T7_T9_mT8_P12ihipStream_tbDpT10_ENKUlT_T0_E_clISt17integral_constantIbLb1EES1B_EEDaS16_S17_EUlS16_E_NS1_11comp_targetILNS1_3genE0ELNS1_11target_archE4294967295ELNS1_3gpuE0ELNS1_3repE0EEENS1_30default_config_static_selectorELNS0_4arch9wavefront6targetE0EEEvT1_.private_seg_size, 0
	.set _ZN7rocprim17ROCPRIM_400000_NS6detail17trampoline_kernelINS0_14default_configENS1_25partition_config_selectorILNS1_17partition_subalgoE6EsNS0_10empty_typeEbEEZZNS1_14partition_implILS5_6ELb0ES3_mN6thrust23THRUST_200600_302600_NS6detail15normal_iteratorINSA_10device_ptrIsEEEEPS6_SG_NS0_5tupleIJNSA_16discard_iteratorINSA_11use_defaultEEES6_EEENSH_IJSG_SG_EEES6_PlJNSB_9not_fun_tI7is_trueIsEEEEEE10hipError_tPvRmT3_T4_T5_T6_T7_T9_mT8_P12ihipStream_tbDpT10_ENKUlT_T0_E_clISt17integral_constantIbLb1EES1B_EEDaS16_S17_EUlS16_E_NS1_11comp_targetILNS1_3genE0ELNS1_11target_archE4294967295ELNS1_3gpuE0ELNS1_3repE0EEENS1_30default_config_static_selectorELNS0_4arch9wavefront6targetE0EEEvT1_.uses_vcc, 0
	.set _ZN7rocprim17ROCPRIM_400000_NS6detail17trampoline_kernelINS0_14default_configENS1_25partition_config_selectorILNS1_17partition_subalgoE6EsNS0_10empty_typeEbEEZZNS1_14partition_implILS5_6ELb0ES3_mN6thrust23THRUST_200600_302600_NS6detail15normal_iteratorINSA_10device_ptrIsEEEEPS6_SG_NS0_5tupleIJNSA_16discard_iteratorINSA_11use_defaultEEES6_EEENSH_IJSG_SG_EEES6_PlJNSB_9not_fun_tI7is_trueIsEEEEEE10hipError_tPvRmT3_T4_T5_T6_T7_T9_mT8_P12ihipStream_tbDpT10_ENKUlT_T0_E_clISt17integral_constantIbLb1EES1B_EEDaS16_S17_EUlS16_E_NS1_11comp_targetILNS1_3genE0ELNS1_11target_archE4294967295ELNS1_3gpuE0ELNS1_3repE0EEENS1_30default_config_static_selectorELNS0_4arch9wavefront6targetE0EEEvT1_.uses_flat_scratch, 0
	.set _ZN7rocprim17ROCPRIM_400000_NS6detail17trampoline_kernelINS0_14default_configENS1_25partition_config_selectorILNS1_17partition_subalgoE6EsNS0_10empty_typeEbEEZZNS1_14partition_implILS5_6ELb0ES3_mN6thrust23THRUST_200600_302600_NS6detail15normal_iteratorINSA_10device_ptrIsEEEEPS6_SG_NS0_5tupleIJNSA_16discard_iteratorINSA_11use_defaultEEES6_EEENSH_IJSG_SG_EEES6_PlJNSB_9not_fun_tI7is_trueIsEEEEEE10hipError_tPvRmT3_T4_T5_T6_T7_T9_mT8_P12ihipStream_tbDpT10_ENKUlT_T0_E_clISt17integral_constantIbLb1EES1B_EEDaS16_S17_EUlS16_E_NS1_11comp_targetILNS1_3genE0ELNS1_11target_archE4294967295ELNS1_3gpuE0ELNS1_3repE0EEENS1_30default_config_static_selectorELNS0_4arch9wavefront6targetE0EEEvT1_.has_dyn_sized_stack, 0
	.set _ZN7rocprim17ROCPRIM_400000_NS6detail17trampoline_kernelINS0_14default_configENS1_25partition_config_selectorILNS1_17partition_subalgoE6EsNS0_10empty_typeEbEEZZNS1_14partition_implILS5_6ELb0ES3_mN6thrust23THRUST_200600_302600_NS6detail15normal_iteratorINSA_10device_ptrIsEEEEPS6_SG_NS0_5tupleIJNSA_16discard_iteratorINSA_11use_defaultEEES6_EEENSH_IJSG_SG_EEES6_PlJNSB_9not_fun_tI7is_trueIsEEEEEE10hipError_tPvRmT3_T4_T5_T6_T7_T9_mT8_P12ihipStream_tbDpT10_ENKUlT_T0_E_clISt17integral_constantIbLb1EES1B_EEDaS16_S17_EUlS16_E_NS1_11comp_targetILNS1_3genE0ELNS1_11target_archE4294967295ELNS1_3gpuE0ELNS1_3repE0EEENS1_30default_config_static_selectorELNS0_4arch9wavefront6targetE0EEEvT1_.has_recursion, 0
	.set _ZN7rocprim17ROCPRIM_400000_NS6detail17trampoline_kernelINS0_14default_configENS1_25partition_config_selectorILNS1_17partition_subalgoE6EsNS0_10empty_typeEbEEZZNS1_14partition_implILS5_6ELb0ES3_mN6thrust23THRUST_200600_302600_NS6detail15normal_iteratorINSA_10device_ptrIsEEEEPS6_SG_NS0_5tupleIJNSA_16discard_iteratorINSA_11use_defaultEEES6_EEENSH_IJSG_SG_EEES6_PlJNSB_9not_fun_tI7is_trueIsEEEEEE10hipError_tPvRmT3_T4_T5_T6_T7_T9_mT8_P12ihipStream_tbDpT10_ENKUlT_T0_E_clISt17integral_constantIbLb1EES1B_EEDaS16_S17_EUlS16_E_NS1_11comp_targetILNS1_3genE0ELNS1_11target_archE4294967295ELNS1_3gpuE0ELNS1_3repE0EEENS1_30default_config_static_selectorELNS0_4arch9wavefront6targetE0EEEvT1_.has_indirect_call, 0
	.section	.AMDGPU.csdata,"",@progbits
; Kernel info:
; codeLenInByte = 0
; TotalNumSgprs: 0
; NumVgprs: 0
; ScratchSize: 0
; MemoryBound: 0
; FloatMode: 240
; IeeeMode: 1
; LDSByteSize: 0 bytes/workgroup (compile time only)
; SGPRBlocks: 0
; VGPRBlocks: 0
; NumSGPRsForWavesPerEU: 1
; NumVGPRsForWavesPerEU: 1
; Occupancy: 16
; WaveLimiterHint : 0
; COMPUTE_PGM_RSRC2:SCRATCH_EN: 0
; COMPUTE_PGM_RSRC2:USER_SGPR: 2
; COMPUTE_PGM_RSRC2:TRAP_HANDLER: 0
; COMPUTE_PGM_RSRC2:TGID_X_EN: 1
; COMPUTE_PGM_RSRC2:TGID_Y_EN: 0
; COMPUTE_PGM_RSRC2:TGID_Z_EN: 0
; COMPUTE_PGM_RSRC2:TIDIG_COMP_CNT: 0
	.section	.text._ZN7rocprim17ROCPRIM_400000_NS6detail17trampoline_kernelINS0_14default_configENS1_25partition_config_selectorILNS1_17partition_subalgoE6EsNS0_10empty_typeEbEEZZNS1_14partition_implILS5_6ELb0ES3_mN6thrust23THRUST_200600_302600_NS6detail15normal_iteratorINSA_10device_ptrIsEEEEPS6_SG_NS0_5tupleIJNSA_16discard_iteratorINSA_11use_defaultEEES6_EEENSH_IJSG_SG_EEES6_PlJNSB_9not_fun_tI7is_trueIsEEEEEE10hipError_tPvRmT3_T4_T5_T6_T7_T9_mT8_P12ihipStream_tbDpT10_ENKUlT_T0_E_clISt17integral_constantIbLb1EES1B_EEDaS16_S17_EUlS16_E_NS1_11comp_targetILNS1_3genE5ELNS1_11target_archE942ELNS1_3gpuE9ELNS1_3repE0EEENS1_30default_config_static_selectorELNS0_4arch9wavefront6targetE0EEEvT1_,"axG",@progbits,_ZN7rocprim17ROCPRIM_400000_NS6detail17trampoline_kernelINS0_14default_configENS1_25partition_config_selectorILNS1_17partition_subalgoE6EsNS0_10empty_typeEbEEZZNS1_14partition_implILS5_6ELb0ES3_mN6thrust23THRUST_200600_302600_NS6detail15normal_iteratorINSA_10device_ptrIsEEEEPS6_SG_NS0_5tupleIJNSA_16discard_iteratorINSA_11use_defaultEEES6_EEENSH_IJSG_SG_EEES6_PlJNSB_9not_fun_tI7is_trueIsEEEEEE10hipError_tPvRmT3_T4_T5_T6_T7_T9_mT8_P12ihipStream_tbDpT10_ENKUlT_T0_E_clISt17integral_constantIbLb1EES1B_EEDaS16_S17_EUlS16_E_NS1_11comp_targetILNS1_3genE5ELNS1_11target_archE942ELNS1_3gpuE9ELNS1_3repE0EEENS1_30default_config_static_selectorELNS0_4arch9wavefront6targetE0EEEvT1_,comdat
	.protected	_ZN7rocprim17ROCPRIM_400000_NS6detail17trampoline_kernelINS0_14default_configENS1_25partition_config_selectorILNS1_17partition_subalgoE6EsNS0_10empty_typeEbEEZZNS1_14partition_implILS5_6ELb0ES3_mN6thrust23THRUST_200600_302600_NS6detail15normal_iteratorINSA_10device_ptrIsEEEEPS6_SG_NS0_5tupleIJNSA_16discard_iteratorINSA_11use_defaultEEES6_EEENSH_IJSG_SG_EEES6_PlJNSB_9not_fun_tI7is_trueIsEEEEEE10hipError_tPvRmT3_T4_T5_T6_T7_T9_mT8_P12ihipStream_tbDpT10_ENKUlT_T0_E_clISt17integral_constantIbLb1EES1B_EEDaS16_S17_EUlS16_E_NS1_11comp_targetILNS1_3genE5ELNS1_11target_archE942ELNS1_3gpuE9ELNS1_3repE0EEENS1_30default_config_static_selectorELNS0_4arch9wavefront6targetE0EEEvT1_ ; -- Begin function _ZN7rocprim17ROCPRIM_400000_NS6detail17trampoline_kernelINS0_14default_configENS1_25partition_config_selectorILNS1_17partition_subalgoE6EsNS0_10empty_typeEbEEZZNS1_14partition_implILS5_6ELb0ES3_mN6thrust23THRUST_200600_302600_NS6detail15normal_iteratorINSA_10device_ptrIsEEEEPS6_SG_NS0_5tupleIJNSA_16discard_iteratorINSA_11use_defaultEEES6_EEENSH_IJSG_SG_EEES6_PlJNSB_9not_fun_tI7is_trueIsEEEEEE10hipError_tPvRmT3_T4_T5_T6_T7_T9_mT8_P12ihipStream_tbDpT10_ENKUlT_T0_E_clISt17integral_constantIbLb1EES1B_EEDaS16_S17_EUlS16_E_NS1_11comp_targetILNS1_3genE5ELNS1_11target_archE942ELNS1_3gpuE9ELNS1_3repE0EEENS1_30default_config_static_selectorELNS0_4arch9wavefront6targetE0EEEvT1_
	.globl	_ZN7rocprim17ROCPRIM_400000_NS6detail17trampoline_kernelINS0_14default_configENS1_25partition_config_selectorILNS1_17partition_subalgoE6EsNS0_10empty_typeEbEEZZNS1_14partition_implILS5_6ELb0ES3_mN6thrust23THRUST_200600_302600_NS6detail15normal_iteratorINSA_10device_ptrIsEEEEPS6_SG_NS0_5tupleIJNSA_16discard_iteratorINSA_11use_defaultEEES6_EEENSH_IJSG_SG_EEES6_PlJNSB_9not_fun_tI7is_trueIsEEEEEE10hipError_tPvRmT3_T4_T5_T6_T7_T9_mT8_P12ihipStream_tbDpT10_ENKUlT_T0_E_clISt17integral_constantIbLb1EES1B_EEDaS16_S17_EUlS16_E_NS1_11comp_targetILNS1_3genE5ELNS1_11target_archE942ELNS1_3gpuE9ELNS1_3repE0EEENS1_30default_config_static_selectorELNS0_4arch9wavefront6targetE0EEEvT1_
	.p2align	8
	.type	_ZN7rocprim17ROCPRIM_400000_NS6detail17trampoline_kernelINS0_14default_configENS1_25partition_config_selectorILNS1_17partition_subalgoE6EsNS0_10empty_typeEbEEZZNS1_14partition_implILS5_6ELb0ES3_mN6thrust23THRUST_200600_302600_NS6detail15normal_iteratorINSA_10device_ptrIsEEEEPS6_SG_NS0_5tupleIJNSA_16discard_iteratorINSA_11use_defaultEEES6_EEENSH_IJSG_SG_EEES6_PlJNSB_9not_fun_tI7is_trueIsEEEEEE10hipError_tPvRmT3_T4_T5_T6_T7_T9_mT8_P12ihipStream_tbDpT10_ENKUlT_T0_E_clISt17integral_constantIbLb1EES1B_EEDaS16_S17_EUlS16_E_NS1_11comp_targetILNS1_3genE5ELNS1_11target_archE942ELNS1_3gpuE9ELNS1_3repE0EEENS1_30default_config_static_selectorELNS0_4arch9wavefront6targetE0EEEvT1_,@function
_ZN7rocprim17ROCPRIM_400000_NS6detail17trampoline_kernelINS0_14default_configENS1_25partition_config_selectorILNS1_17partition_subalgoE6EsNS0_10empty_typeEbEEZZNS1_14partition_implILS5_6ELb0ES3_mN6thrust23THRUST_200600_302600_NS6detail15normal_iteratorINSA_10device_ptrIsEEEEPS6_SG_NS0_5tupleIJNSA_16discard_iteratorINSA_11use_defaultEEES6_EEENSH_IJSG_SG_EEES6_PlJNSB_9not_fun_tI7is_trueIsEEEEEE10hipError_tPvRmT3_T4_T5_T6_T7_T9_mT8_P12ihipStream_tbDpT10_ENKUlT_T0_E_clISt17integral_constantIbLb1EES1B_EEDaS16_S17_EUlS16_E_NS1_11comp_targetILNS1_3genE5ELNS1_11target_archE942ELNS1_3gpuE9ELNS1_3repE0EEENS1_30default_config_static_selectorELNS0_4arch9wavefront6targetE0EEEvT1_: ; @_ZN7rocprim17ROCPRIM_400000_NS6detail17trampoline_kernelINS0_14default_configENS1_25partition_config_selectorILNS1_17partition_subalgoE6EsNS0_10empty_typeEbEEZZNS1_14partition_implILS5_6ELb0ES3_mN6thrust23THRUST_200600_302600_NS6detail15normal_iteratorINSA_10device_ptrIsEEEEPS6_SG_NS0_5tupleIJNSA_16discard_iteratorINSA_11use_defaultEEES6_EEENSH_IJSG_SG_EEES6_PlJNSB_9not_fun_tI7is_trueIsEEEEEE10hipError_tPvRmT3_T4_T5_T6_T7_T9_mT8_P12ihipStream_tbDpT10_ENKUlT_T0_E_clISt17integral_constantIbLb1EES1B_EEDaS16_S17_EUlS16_E_NS1_11comp_targetILNS1_3genE5ELNS1_11target_archE942ELNS1_3gpuE9ELNS1_3repE0EEENS1_30default_config_static_selectorELNS0_4arch9wavefront6targetE0EEEvT1_
; %bb.0:
	.section	.rodata,"a",@progbits
	.p2align	6, 0x0
	.amdhsa_kernel _ZN7rocprim17ROCPRIM_400000_NS6detail17trampoline_kernelINS0_14default_configENS1_25partition_config_selectorILNS1_17partition_subalgoE6EsNS0_10empty_typeEbEEZZNS1_14partition_implILS5_6ELb0ES3_mN6thrust23THRUST_200600_302600_NS6detail15normal_iteratorINSA_10device_ptrIsEEEEPS6_SG_NS0_5tupleIJNSA_16discard_iteratorINSA_11use_defaultEEES6_EEENSH_IJSG_SG_EEES6_PlJNSB_9not_fun_tI7is_trueIsEEEEEE10hipError_tPvRmT3_T4_T5_T6_T7_T9_mT8_P12ihipStream_tbDpT10_ENKUlT_T0_E_clISt17integral_constantIbLb1EES1B_EEDaS16_S17_EUlS16_E_NS1_11comp_targetILNS1_3genE5ELNS1_11target_archE942ELNS1_3gpuE9ELNS1_3repE0EEENS1_30default_config_static_selectorELNS0_4arch9wavefront6targetE0EEEvT1_
		.amdhsa_group_segment_fixed_size 0
		.amdhsa_private_segment_fixed_size 0
		.amdhsa_kernarg_size 136
		.amdhsa_user_sgpr_count 2
		.amdhsa_user_sgpr_dispatch_ptr 0
		.amdhsa_user_sgpr_queue_ptr 0
		.amdhsa_user_sgpr_kernarg_segment_ptr 1
		.amdhsa_user_sgpr_dispatch_id 0
		.amdhsa_user_sgpr_private_segment_size 0
		.amdhsa_wavefront_size32 1
		.amdhsa_uses_dynamic_stack 0
		.amdhsa_enable_private_segment 0
		.amdhsa_system_sgpr_workgroup_id_x 1
		.amdhsa_system_sgpr_workgroup_id_y 0
		.amdhsa_system_sgpr_workgroup_id_z 0
		.amdhsa_system_sgpr_workgroup_info 0
		.amdhsa_system_vgpr_workitem_id 0
		.amdhsa_next_free_vgpr 1
		.amdhsa_next_free_sgpr 1
		.amdhsa_reserve_vcc 0
		.amdhsa_float_round_mode_32 0
		.amdhsa_float_round_mode_16_64 0
		.amdhsa_float_denorm_mode_32 3
		.amdhsa_float_denorm_mode_16_64 3
		.amdhsa_fp16_overflow 0
		.amdhsa_workgroup_processor_mode 1
		.amdhsa_memory_ordered 1
		.amdhsa_forward_progress 1
		.amdhsa_inst_pref_size 0
		.amdhsa_round_robin_scheduling 0
		.amdhsa_exception_fp_ieee_invalid_op 0
		.amdhsa_exception_fp_denorm_src 0
		.amdhsa_exception_fp_ieee_div_zero 0
		.amdhsa_exception_fp_ieee_overflow 0
		.amdhsa_exception_fp_ieee_underflow 0
		.amdhsa_exception_fp_ieee_inexact 0
		.amdhsa_exception_int_div_zero 0
	.end_amdhsa_kernel
	.section	.text._ZN7rocprim17ROCPRIM_400000_NS6detail17trampoline_kernelINS0_14default_configENS1_25partition_config_selectorILNS1_17partition_subalgoE6EsNS0_10empty_typeEbEEZZNS1_14partition_implILS5_6ELb0ES3_mN6thrust23THRUST_200600_302600_NS6detail15normal_iteratorINSA_10device_ptrIsEEEEPS6_SG_NS0_5tupleIJNSA_16discard_iteratorINSA_11use_defaultEEES6_EEENSH_IJSG_SG_EEES6_PlJNSB_9not_fun_tI7is_trueIsEEEEEE10hipError_tPvRmT3_T4_T5_T6_T7_T9_mT8_P12ihipStream_tbDpT10_ENKUlT_T0_E_clISt17integral_constantIbLb1EES1B_EEDaS16_S17_EUlS16_E_NS1_11comp_targetILNS1_3genE5ELNS1_11target_archE942ELNS1_3gpuE9ELNS1_3repE0EEENS1_30default_config_static_selectorELNS0_4arch9wavefront6targetE0EEEvT1_,"axG",@progbits,_ZN7rocprim17ROCPRIM_400000_NS6detail17trampoline_kernelINS0_14default_configENS1_25partition_config_selectorILNS1_17partition_subalgoE6EsNS0_10empty_typeEbEEZZNS1_14partition_implILS5_6ELb0ES3_mN6thrust23THRUST_200600_302600_NS6detail15normal_iteratorINSA_10device_ptrIsEEEEPS6_SG_NS0_5tupleIJNSA_16discard_iteratorINSA_11use_defaultEEES6_EEENSH_IJSG_SG_EEES6_PlJNSB_9not_fun_tI7is_trueIsEEEEEE10hipError_tPvRmT3_T4_T5_T6_T7_T9_mT8_P12ihipStream_tbDpT10_ENKUlT_T0_E_clISt17integral_constantIbLb1EES1B_EEDaS16_S17_EUlS16_E_NS1_11comp_targetILNS1_3genE5ELNS1_11target_archE942ELNS1_3gpuE9ELNS1_3repE0EEENS1_30default_config_static_selectorELNS0_4arch9wavefront6targetE0EEEvT1_,comdat
.Lfunc_end2310:
	.size	_ZN7rocprim17ROCPRIM_400000_NS6detail17trampoline_kernelINS0_14default_configENS1_25partition_config_selectorILNS1_17partition_subalgoE6EsNS0_10empty_typeEbEEZZNS1_14partition_implILS5_6ELb0ES3_mN6thrust23THRUST_200600_302600_NS6detail15normal_iteratorINSA_10device_ptrIsEEEEPS6_SG_NS0_5tupleIJNSA_16discard_iteratorINSA_11use_defaultEEES6_EEENSH_IJSG_SG_EEES6_PlJNSB_9not_fun_tI7is_trueIsEEEEEE10hipError_tPvRmT3_T4_T5_T6_T7_T9_mT8_P12ihipStream_tbDpT10_ENKUlT_T0_E_clISt17integral_constantIbLb1EES1B_EEDaS16_S17_EUlS16_E_NS1_11comp_targetILNS1_3genE5ELNS1_11target_archE942ELNS1_3gpuE9ELNS1_3repE0EEENS1_30default_config_static_selectorELNS0_4arch9wavefront6targetE0EEEvT1_, .Lfunc_end2310-_ZN7rocprim17ROCPRIM_400000_NS6detail17trampoline_kernelINS0_14default_configENS1_25partition_config_selectorILNS1_17partition_subalgoE6EsNS0_10empty_typeEbEEZZNS1_14partition_implILS5_6ELb0ES3_mN6thrust23THRUST_200600_302600_NS6detail15normal_iteratorINSA_10device_ptrIsEEEEPS6_SG_NS0_5tupleIJNSA_16discard_iteratorINSA_11use_defaultEEES6_EEENSH_IJSG_SG_EEES6_PlJNSB_9not_fun_tI7is_trueIsEEEEEE10hipError_tPvRmT3_T4_T5_T6_T7_T9_mT8_P12ihipStream_tbDpT10_ENKUlT_T0_E_clISt17integral_constantIbLb1EES1B_EEDaS16_S17_EUlS16_E_NS1_11comp_targetILNS1_3genE5ELNS1_11target_archE942ELNS1_3gpuE9ELNS1_3repE0EEENS1_30default_config_static_selectorELNS0_4arch9wavefront6targetE0EEEvT1_
                                        ; -- End function
	.set _ZN7rocprim17ROCPRIM_400000_NS6detail17trampoline_kernelINS0_14default_configENS1_25partition_config_selectorILNS1_17partition_subalgoE6EsNS0_10empty_typeEbEEZZNS1_14partition_implILS5_6ELb0ES3_mN6thrust23THRUST_200600_302600_NS6detail15normal_iteratorINSA_10device_ptrIsEEEEPS6_SG_NS0_5tupleIJNSA_16discard_iteratorINSA_11use_defaultEEES6_EEENSH_IJSG_SG_EEES6_PlJNSB_9not_fun_tI7is_trueIsEEEEEE10hipError_tPvRmT3_T4_T5_T6_T7_T9_mT8_P12ihipStream_tbDpT10_ENKUlT_T0_E_clISt17integral_constantIbLb1EES1B_EEDaS16_S17_EUlS16_E_NS1_11comp_targetILNS1_3genE5ELNS1_11target_archE942ELNS1_3gpuE9ELNS1_3repE0EEENS1_30default_config_static_selectorELNS0_4arch9wavefront6targetE0EEEvT1_.num_vgpr, 0
	.set _ZN7rocprim17ROCPRIM_400000_NS6detail17trampoline_kernelINS0_14default_configENS1_25partition_config_selectorILNS1_17partition_subalgoE6EsNS0_10empty_typeEbEEZZNS1_14partition_implILS5_6ELb0ES3_mN6thrust23THRUST_200600_302600_NS6detail15normal_iteratorINSA_10device_ptrIsEEEEPS6_SG_NS0_5tupleIJNSA_16discard_iteratorINSA_11use_defaultEEES6_EEENSH_IJSG_SG_EEES6_PlJNSB_9not_fun_tI7is_trueIsEEEEEE10hipError_tPvRmT3_T4_T5_T6_T7_T9_mT8_P12ihipStream_tbDpT10_ENKUlT_T0_E_clISt17integral_constantIbLb1EES1B_EEDaS16_S17_EUlS16_E_NS1_11comp_targetILNS1_3genE5ELNS1_11target_archE942ELNS1_3gpuE9ELNS1_3repE0EEENS1_30default_config_static_selectorELNS0_4arch9wavefront6targetE0EEEvT1_.num_agpr, 0
	.set _ZN7rocprim17ROCPRIM_400000_NS6detail17trampoline_kernelINS0_14default_configENS1_25partition_config_selectorILNS1_17partition_subalgoE6EsNS0_10empty_typeEbEEZZNS1_14partition_implILS5_6ELb0ES3_mN6thrust23THRUST_200600_302600_NS6detail15normal_iteratorINSA_10device_ptrIsEEEEPS6_SG_NS0_5tupleIJNSA_16discard_iteratorINSA_11use_defaultEEES6_EEENSH_IJSG_SG_EEES6_PlJNSB_9not_fun_tI7is_trueIsEEEEEE10hipError_tPvRmT3_T4_T5_T6_T7_T9_mT8_P12ihipStream_tbDpT10_ENKUlT_T0_E_clISt17integral_constantIbLb1EES1B_EEDaS16_S17_EUlS16_E_NS1_11comp_targetILNS1_3genE5ELNS1_11target_archE942ELNS1_3gpuE9ELNS1_3repE0EEENS1_30default_config_static_selectorELNS0_4arch9wavefront6targetE0EEEvT1_.numbered_sgpr, 0
	.set _ZN7rocprim17ROCPRIM_400000_NS6detail17trampoline_kernelINS0_14default_configENS1_25partition_config_selectorILNS1_17partition_subalgoE6EsNS0_10empty_typeEbEEZZNS1_14partition_implILS5_6ELb0ES3_mN6thrust23THRUST_200600_302600_NS6detail15normal_iteratorINSA_10device_ptrIsEEEEPS6_SG_NS0_5tupleIJNSA_16discard_iteratorINSA_11use_defaultEEES6_EEENSH_IJSG_SG_EEES6_PlJNSB_9not_fun_tI7is_trueIsEEEEEE10hipError_tPvRmT3_T4_T5_T6_T7_T9_mT8_P12ihipStream_tbDpT10_ENKUlT_T0_E_clISt17integral_constantIbLb1EES1B_EEDaS16_S17_EUlS16_E_NS1_11comp_targetILNS1_3genE5ELNS1_11target_archE942ELNS1_3gpuE9ELNS1_3repE0EEENS1_30default_config_static_selectorELNS0_4arch9wavefront6targetE0EEEvT1_.num_named_barrier, 0
	.set _ZN7rocprim17ROCPRIM_400000_NS6detail17trampoline_kernelINS0_14default_configENS1_25partition_config_selectorILNS1_17partition_subalgoE6EsNS0_10empty_typeEbEEZZNS1_14partition_implILS5_6ELb0ES3_mN6thrust23THRUST_200600_302600_NS6detail15normal_iteratorINSA_10device_ptrIsEEEEPS6_SG_NS0_5tupleIJNSA_16discard_iteratorINSA_11use_defaultEEES6_EEENSH_IJSG_SG_EEES6_PlJNSB_9not_fun_tI7is_trueIsEEEEEE10hipError_tPvRmT3_T4_T5_T6_T7_T9_mT8_P12ihipStream_tbDpT10_ENKUlT_T0_E_clISt17integral_constantIbLb1EES1B_EEDaS16_S17_EUlS16_E_NS1_11comp_targetILNS1_3genE5ELNS1_11target_archE942ELNS1_3gpuE9ELNS1_3repE0EEENS1_30default_config_static_selectorELNS0_4arch9wavefront6targetE0EEEvT1_.private_seg_size, 0
	.set _ZN7rocprim17ROCPRIM_400000_NS6detail17trampoline_kernelINS0_14default_configENS1_25partition_config_selectorILNS1_17partition_subalgoE6EsNS0_10empty_typeEbEEZZNS1_14partition_implILS5_6ELb0ES3_mN6thrust23THRUST_200600_302600_NS6detail15normal_iteratorINSA_10device_ptrIsEEEEPS6_SG_NS0_5tupleIJNSA_16discard_iteratorINSA_11use_defaultEEES6_EEENSH_IJSG_SG_EEES6_PlJNSB_9not_fun_tI7is_trueIsEEEEEE10hipError_tPvRmT3_T4_T5_T6_T7_T9_mT8_P12ihipStream_tbDpT10_ENKUlT_T0_E_clISt17integral_constantIbLb1EES1B_EEDaS16_S17_EUlS16_E_NS1_11comp_targetILNS1_3genE5ELNS1_11target_archE942ELNS1_3gpuE9ELNS1_3repE0EEENS1_30default_config_static_selectorELNS0_4arch9wavefront6targetE0EEEvT1_.uses_vcc, 0
	.set _ZN7rocprim17ROCPRIM_400000_NS6detail17trampoline_kernelINS0_14default_configENS1_25partition_config_selectorILNS1_17partition_subalgoE6EsNS0_10empty_typeEbEEZZNS1_14partition_implILS5_6ELb0ES3_mN6thrust23THRUST_200600_302600_NS6detail15normal_iteratorINSA_10device_ptrIsEEEEPS6_SG_NS0_5tupleIJNSA_16discard_iteratorINSA_11use_defaultEEES6_EEENSH_IJSG_SG_EEES6_PlJNSB_9not_fun_tI7is_trueIsEEEEEE10hipError_tPvRmT3_T4_T5_T6_T7_T9_mT8_P12ihipStream_tbDpT10_ENKUlT_T0_E_clISt17integral_constantIbLb1EES1B_EEDaS16_S17_EUlS16_E_NS1_11comp_targetILNS1_3genE5ELNS1_11target_archE942ELNS1_3gpuE9ELNS1_3repE0EEENS1_30default_config_static_selectorELNS0_4arch9wavefront6targetE0EEEvT1_.uses_flat_scratch, 0
	.set _ZN7rocprim17ROCPRIM_400000_NS6detail17trampoline_kernelINS0_14default_configENS1_25partition_config_selectorILNS1_17partition_subalgoE6EsNS0_10empty_typeEbEEZZNS1_14partition_implILS5_6ELb0ES3_mN6thrust23THRUST_200600_302600_NS6detail15normal_iteratorINSA_10device_ptrIsEEEEPS6_SG_NS0_5tupleIJNSA_16discard_iteratorINSA_11use_defaultEEES6_EEENSH_IJSG_SG_EEES6_PlJNSB_9not_fun_tI7is_trueIsEEEEEE10hipError_tPvRmT3_T4_T5_T6_T7_T9_mT8_P12ihipStream_tbDpT10_ENKUlT_T0_E_clISt17integral_constantIbLb1EES1B_EEDaS16_S17_EUlS16_E_NS1_11comp_targetILNS1_3genE5ELNS1_11target_archE942ELNS1_3gpuE9ELNS1_3repE0EEENS1_30default_config_static_selectorELNS0_4arch9wavefront6targetE0EEEvT1_.has_dyn_sized_stack, 0
	.set _ZN7rocprim17ROCPRIM_400000_NS6detail17trampoline_kernelINS0_14default_configENS1_25partition_config_selectorILNS1_17partition_subalgoE6EsNS0_10empty_typeEbEEZZNS1_14partition_implILS5_6ELb0ES3_mN6thrust23THRUST_200600_302600_NS6detail15normal_iteratorINSA_10device_ptrIsEEEEPS6_SG_NS0_5tupleIJNSA_16discard_iteratorINSA_11use_defaultEEES6_EEENSH_IJSG_SG_EEES6_PlJNSB_9not_fun_tI7is_trueIsEEEEEE10hipError_tPvRmT3_T4_T5_T6_T7_T9_mT8_P12ihipStream_tbDpT10_ENKUlT_T0_E_clISt17integral_constantIbLb1EES1B_EEDaS16_S17_EUlS16_E_NS1_11comp_targetILNS1_3genE5ELNS1_11target_archE942ELNS1_3gpuE9ELNS1_3repE0EEENS1_30default_config_static_selectorELNS0_4arch9wavefront6targetE0EEEvT1_.has_recursion, 0
	.set _ZN7rocprim17ROCPRIM_400000_NS6detail17trampoline_kernelINS0_14default_configENS1_25partition_config_selectorILNS1_17partition_subalgoE6EsNS0_10empty_typeEbEEZZNS1_14partition_implILS5_6ELb0ES3_mN6thrust23THRUST_200600_302600_NS6detail15normal_iteratorINSA_10device_ptrIsEEEEPS6_SG_NS0_5tupleIJNSA_16discard_iteratorINSA_11use_defaultEEES6_EEENSH_IJSG_SG_EEES6_PlJNSB_9not_fun_tI7is_trueIsEEEEEE10hipError_tPvRmT3_T4_T5_T6_T7_T9_mT8_P12ihipStream_tbDpT10_ENKUlT_T0_E_clISt17integral_constantIbLb1EES1B_EEDaS16_S17_EUlS16_E_NS1_11comp_targetILNS1_3genE5ELNS1_11target_archE942ELNS1_3gpuE9ELNS1_3repE0EEENS1_30default_config_static_selectorELNS0_4arch9wavefront6targetE0EEEvT1_.has_indirect_call, 0
	.section	.AMDGPU.csdata,"",@progbits
; Kernel info:
; codeLenInByte = 0
; TotalNumSgprs: 0
; NumVgprs: 0
; ScratchSize: 0
; MemoryBound: 0
; FloatMode: 240
; IeeeMode: 1
; LDSByteSize: 0 bytes/workgroup (compile time only)
; SGPRBlocks: 0
; VGPRBlocks: 0
; NumSGPRsForWavesPerEU: 1
; NumVGPRsForWavesPerEU: 1
; Occupancy: 16
; WaveLimiterHint : 0
; COMPUTE_PGM_RSRC2:SCRATCH_EN: 0
; COMPUTE_PGM_RSRC2:USER_SGPR: 2
; COMPUTE_PGM_RSRC2:TRAP_HANDLER: 0
; COMPUTE_PGM_RSRC2:TGID_X_EN: 1
; COMPUTE_PGM_RSRC2:TGID_Y_EN: 0
; COMPUTE_PGM_RSRC2:TGID_Z_EN: 0
; COMPUTE_PGM_RSRC2:TIDIG_COMP_CNT: 0
	.section	.text._ZN7rocprim17ROCPRIM_400000_NS6detail17trampoline_kernelINS0_14default_configENS1_25partition_config_selectorILNS1_17partition_subalgoE6EsNS0_10empty_typeEbEEZZNS1_14partition_implILS5_6ELb0ES3_mN6thrust23THRUST_200600_302600_NS6detail15normal_iteratorINSA_10device_ptrIsEEEEPS6_SG_NS0_5tupleIJNSA_16discard_iteratorINSA_11use_defaultEEES6_EEENSH_IJSG_SG_EEES6_PlJNSB_9not_fun_tI7is_trueIsEEEEEE10hipError_tPvRmT3_T4_T5_T6_T7_T9_mT8_P12ihipStream_tbDpT10_ENKUlT_T0_E_clISt17integral_constantIbLb1EES1B_EEDaS16_S17_EUlS16_E_NS1_11comp_targetILNS1_3genE4ELNS1_11target_archE910ELNS1_3gpuE8ELNS1_3repE0EEENS1_30default_config_static_selectorELNS0_4arch9wavefront6targetE0EEEvT1_,"axG",@progbits,_ZN7rocprim17ROCPRIM_400000_NS6detail17trampoline_kernelINS0_14default_configENS1_25partition_config_selectorILNS1_17partition_subalgoE6EsNS0_10empty_typeEbEEZZNS1_14partition_implILS5_6ELb0ES3_mN6thrust23THRUST_200600_302600_NS6detail15normal_iteratorINSA_10device_ptrIsEEEEPS6_SG_NS0_5tupleIJNSA_16discard_iteratorINSA_11use_defaultEEES6_EEENSH_IJSG_SG_EEES6_PlJNSB_9not_fun_tI7is_trueIsEEEEEE10hipError_tPvRmT3_T4_T5_T6_T7_T9_mT8_P12ihipStream_tbDpT10_ENKUlT_T0_E_clISt17integral_constantIbLb1EES1B_EEDaS16_S17_EUlS16_E_NS1_11comp_targetILNS1_3genE4ELNS1_11target_archE910ELNS1_3gpuE8ELNS1_3repE0EEENS1_30default_config_static_selectorELNS0_4arch9wavefront6targetE0EEEvT1_,comdat
	.protected	_ZN7rocprim17ROCPRIM_400000_NS6detail17trampoline_kernelINS0_14default_configENS1_25partition_config_selectorILNS1_17partition_subalgoE6EsNS0_10empty_typeEbEEZZNS1_14partition_implILS5_6ELb0ES3_mN6thrust23THRUST_200600_302600_NS6detail15normal_iteratorINSA_10device_ptrIsEEEEPS6_SG_NS0_5tupleIJNSA_16discard_iteratorINSA_11use_defaultEEES6_EEENSH_IJSG_SG_EEES6_PlJNSB_9not_fun_tI7is_trueIsEEEEEE10hipError_tPvRmT3_T4_T5_T6_T7_T9_mT8_P12ihipStream_tbDpT10_ENKUlT_T0_E_clISt17integral_constantIbLb1EES1B_EEDaS16_S17_EUlS16_E_NS1_11comp_targetILNS1_3genE4ELNS1_11target_archE910ELNS1_3gpuE8ELNS1_3repE0EEENS1_30default_config_static_selectorELNS0_4arch9wavefront6targetE0EEEvT1_ ; -- Begin function _ZN7rocprim17ROCPRIM_400000_NS6detail17trampoline_kernelINS0_14default_configENS1_25partition_config_selectorILNS1_17partition_subalgoE6EsNS0_10empty_typeEbEEZZNS1_14partition_implILS5_6ELb0ES3_mN6thrust23THRUST_200600_302600_NS6detail15normal_iteratorINSA_10device_ptrIsEEEEPS6_SG_NS0_5tupleIJNSA_16discard_iteratorINSA_11use_defaultEEES6_EEENSH_IJSG_SG_EEES6_PlJNSB_9not_fun_tI7is_trueIsEEEEEE10hipError_tPvRmT3_T4_T5_T6_T7_T9_mT8_P12ihipStream_tbDpT10_ENKUlT_T0_E_clISt17integral_constantIbLb1EES1B_EEDaS16_S17_EUlS16_E_NS1_11comp_targetILNS1_3genE4ELNS1_11target_archE910ELNS1_3gpuE8ELNS1_3repE0EEENS1_30default_config_static_selectorELNS0_4arch9wavefront6targetE0EEEvT1_
	.globl	_ZN7rocprim17ROCPRIM_400000_NS6detail17trampoline_kernelINS0_14default_configENS1_25partition_config_selectorILNS1_17partition_subalgoE6EsNS0_10empty_typeEbEEZZNS1_14partition_implILS5_6ELb0ES3_mN6thrust23THRUST_200600_302600_NS6detail15normal_iteratorINSA_10device_ptrIsEEEEPS6_SG_NS0_5tupleIJNSA_16discard_iteratorINSA_11use_defaultEEES6_EEENSH_IJSG_SG_EEES6_PlJNSB_9not_fun_tI7is_trueIsEEEEEE10hipError_tPvRmT3_T4_T5_T6_T7_T9_mT8_P12ihipStream_tbDpT10_ENKUlT_T0_E_clISt17integral_constantIbLb1EES1B_EEDaS16_S17_EUlS16_E_NS1_11comp_targetILNS1_3genE4ELNS1_11target_archE910ELNS1_3gpuE8ELNS1_3repE0EEENS1_30default_config_static_selectorELNS0_4arch9wavefront6targetE0EEEvT1_
	.p2align	8
	.type	_ZN7rocprim17ROCPRIM_400000_NS6detail17trampoline_kernelINS0_14default_configENS1_25partition_config_selectorILNS1_17partition_subalgoE6EsNS0_10empty_typeEbEEZZNS1_14partition_implILS5_6ELb0ES3_mN6thrust23THRUST_200600_302600_NS6detail15normal_iteratorINSA_10device_ptrIsEEEEPS6_SG_NS0_5tupleIJNSA_16discard_iteratorINSA_11use_defaultEEES6_EEENSH_IJSG_SG_EEES6_PlJNSB_9not_fun_tI7is_trueIsEEEEEE10hipError_tPvRmT3_T4_T5_T6_T7_T9_mT8_P12ihipStream_tbDpT10_ENKUlT_T0_E_clISt17integral_constantIbLb1EES1B_EEDaS16_S17_EUlS16_E_NS1_11comp_targetILNS1_3genE4ELNS1_11target_archE910ELNS1_3gpuE8ELNS1_3repE0EEENS1_30default_config_static_selectorELNS0_4arch9wavefront6targetE0EEEvT1_,@function
_ZN7rocprim17ROCPRIM_400000_NS6detail17trampoline_kernelINS0_14default_configENS1_25partition_config_selectorILNS1_17partition_subalgoE6EsNS0_10empty_typeEbEEZZNS1_14partition_implILS5_6ELb0ES3_mN6thrust23THRUST_200600_302600_NS6detail15normal_iteratorINSA_10device_ptrIsEEEEPS6_SG_NS0_5tupleIJNSA_16discard_iteratorINSA_11use_defaultEEES6_EEENSH_IJSG_SG_EEES6_PlJNSB_9not_fun_tI7is_trueIsEEEEEE10hipError_tPvRmT3_T4_T5_T6_T7_T9_mT8_P12ihipStream_tbDpT10_ENKUlT_T0_E_clISt17integral_constantIbLb1EES1B_EEDaS16_S17_EUlS16_E_NS1_11comp_targetILNS1_3genE4ELNS1_11target_archE910ELNS1_3gpuE8ELNS1_3repE0EEENS1_30default_config_static_selectorELNS0_4arch9wavefront6targetE0EEEvT1_: ; @_ZN7rocprim17ROCPRIM_400000_NS6detail17trampoline_kernelINS0_14default_configENS1_25partition_config_selectorILNS1_17partition_subalgoE6EsNS0_10empty_typeEbEEZZNS1_14partition_implILS5_6ELb0ES3_mN6thrust23THRUST_200600_302600_NS6detail15normal_iteratorINSA_10device_ptrIsEEEEPS6_SG_NS0_5tupleIJNSA_16discard_iteratorINSA_11use_defaultEEES6_EEENSH_IJSG_SG_EEES6_PlJNSB_9not_fun_tI7is_trueIsEEEEEE10hipError_tPvRmT3_T4_T5_T6_T7_T9_mT8_P12ihipStream_tbDpT10_ENKUlT_T0_E_clISt17integral_constantIbLb1EES1B_EEDaS16_S17_EUlS16_E_NS1_11comp_targetILNS1_3genE4ELNS1_11target_archE910ELNS1_3gpuE8ELNS1_3repE0EEENS1_30default_config_static_selectorELNS0_4arch9wavefront6targetE0EEEvT1_
; %bb.0:
	.section	.rodata,"a",@progbits
	.p2align	6, 0x0
	.amdhsa_kernel _ZN7rocprim17ROCPRIM_400000_NS6detail17trampoline_kernelINS0_14default_configENS1_25partition_config_selectorILNS1_17partition_subalgoE6EsNS0_10empty_typeEbEEZZNS1_14partition_implILS5_6ELb0ES3_mN6thrust23THRUST_200600_302600_NS6detail15normal_iteratorINSA_10device_ptrIsEEEEPS6_SG_NS0_5tupleIJNSA_16discard_iteratorINSA_11use_defaultEEES6_EEENSH_IJSG_SG_EEES6_PlJNSB_9not_fun_tI7is_trueIsEEEEEE10hipError_tPvRmT3_T4_T5_T6_T7_T9_mT8_P12ihipStream_tbDpT10_ENKUlT_T0_E_clISt17integral_constantIbLb1EES1B_EEDaS16_S17_EUlS16_E_NS1_11comp_targetILNS1_3genE4ELNS1_11target_archE910ELNS1_3gpuE8ELNS1_3repE0EEENS1_30default_config_static_selectorELNS0_4arch9wavefront6targetE0EEEvT1_
		.amdhsa_group_segment_fixed_size 0
		.amdhsa_private_segment_fixed_size 0
		.amdhsa_kernarg_size 136
		.amdhsa_user_sgpr_count 2
		.amdhsa_user_sgpr_dispatch_ptr 0
		.amdhsa_user_sgpr_queue_ptr 0
		.amdhsa_user_sgpr_kernarg_segment_ptr 1
		.amdhsa_user_sgpr_dispatch_id 0
		.amdhsa_user_sgpr_private_segment_size 0
		.amdhsa_wavefront_size32 1
		.amdhsa_uses_dynamic_stack 0
		.amdhsa_enable_private_segment 0
		.amdhsa_system_sgpr_workgroup_id_x 1
		.amdhsa_system_sgpr_workgroup_id_y 0
		.amdhsa_system_sgpr_workgroup_id_z 0
		.amdhsa_system_sgpr_workgroup_info 0
		.amdhsa_system_vgpr_workitem_id 0
		.amdhsa_next_free_vgpr 1
		.amdhsa_next_free_sgpr 1
		.amdhsa_reserve_vcc 0
		.amdhsa_float_round_mode_32 0
		.amdhsa_float_round_mode_16_64 0
		.amdhsa_float_denorm_mode_32 3
		.amdhsa_float_denorm_mode_16_64 3
		.amdhsa_fp16_overflow 0
		.amdhsa_workgroup_processor_mode 1
		.amdhsa_memory_ordered 1
		.amdhsa_forward_progress 1
		.amdhsa_inst_pref_size 0
		.amdhsa_round_robin_scheduling 0
		.amdhsa_exception_fp_ieee_invalid_op 0
		.amdhsa_exception_fp_denorm_src 0
		.amdhsa_exception_fp_ieee_div_zero 0
		.amdhsa_exception_fp_ieee_overflow 0
		.amdhsa_exception_fp_ieee_underflow 0
		.amdhsa_exception_fp_ieee_inexact 0
		.amdhsa_exception_int_div_zero 0
	.end_amdhsa_kernel
	.section	.text._ZN7rocprim17ROCPRIM_400000_NS6detail17trampoline_kernelINS0_14default_configENS1_25partition_config_selectorILNS1_17partition_subalgoE6EsNS0_10empty_typeEbEEZZNS1_14partition_implILS5_6ELb0ES3_mN6thrust23THRUST_200600_302600_NS6detail15normal_iteratorINSA_10device_ptrIsEEEEPS6_SG_NS0_5tupleIJNSA_16discard_iteratorINSA_11use_defaultEEES6_EEENSH_IJSG_SG_EEES6_PlJNSB_9not_fun_tI7is_trueIsEEEEEE10hipError_tPvRmT3_T4_T5_T6_T7_T9_mT8_P12ihipStream_tbDpT10_ENKUlT_T0_E_clISt17integral_constantIbLb1EES1B_EEDaS16_S17_EUlS16_E_NS1_11comp_targetILNS1_3genE4ELNS1_11target_archE910ELNS1_3gpuE8ELNS1_3repE0EEENS1_30default_config_static_selectorELNS0_4arch9wavefront6targetE0EEEvT1_,"axG",@progbits,_ZN7rocprim17ROCPRIM_400000_NS6detail17trampoline_kernelINS0_14default_configENS1_25partition_config_selectorILNS1_17partition_subalgoE6EsNS0_10empty_typeEbEEZZNS1_14partition_implILS5_6ELb0ES3_mN6thrust23THRUST_200600_302600_NS6detail15normal_iteratorINSA_10device_ptrIsEEEEPS6_SG_NS0_5tupleIJNSA_16discard_iteratorINSA_11use_defaultEEES6_EEENSH_IJSG_SG_EEES6_PlJNSB_9not_fun_tI7is_trueIsEEEEEE10hipError_tPvRmT3_T4_T5_T6_T7_T9_mT8_P12ihipStream_tbDpT10_ENKUlT_T0_E_clISt17integral_constantIbLb1EES1B_EEDaS16_S17_EUlS16_E_NS1_11comp_targetILNS1_3genE4ELNS1_11target_archE910ELNS1_3gpuE8ELNS1_3repE0EEENS1_30default_config_static_selectorELNS0_4arch9wavefront6targetE0EEEvT1_,comdat
.Lfunc_end2311:
	.size	_ZN7rocprim17ROCPRIM_400000_NS6detail17trampoline_kernelINS0_14default_configENS1_25partition_config_selectorILNS1_17partition_subalgoE6EsNS0_10empty_typeEbEEZZNS1_14partition_implILS5_6ELb0ES3_mN6thrust23THRUST_200600_302600_NS6detail15normal_iteratorINSA_10device_ptrIsEEEEPS6_SG_NS0_5tupleIJNSA_16discard_iteratorINSA_11use_defaultEEES6_EEENSH_IJSG_SG_EEES6_PlJNSB_9not_fun_tI7is_trueIsEEEEEE10hipError_tPvRmT3_T4_T5_T6_T7_T9_mT8_P12ihipStream_tbDpT10_ENKUlT_T0_E_clISt17integral_constantIbLb1EES1B_EEDaS16_S17_EUlS16_E_NS1_11comp_targetILNS1_3genE4ELNS1_11target_archE910ELNS1_3gpuE8ELNS1_3repE0EEENS1_30default_config_static_selectorELNS0_4arch9wavefront6targetE0EEEvT1_, .Lfunc_end2311-_ZN7rocprim17ROCPRIM_400000_NS6detail17trampoline_kernelINS0_14default_configENS1_25partition_config_selectorILNS1_17partition_subalgoE6EsNS0_10empty_typeEbEEZZNS1_14partition_implILS5_6ELb0ES3_mN6thrust23THRUST_200600_302600_NS6detail15normal_iteratorINSA_10device_ptrIsEEEEPS6_SG_NS0_5tupleIJNSA_16discard_iteratorINSA_11use_defaultEEES6_EEENSH_IJSG_SG_EEES6_PlJNSB_9not_fun_tI7is_trueIsEEEEEE10hipError_tPvRmT3_T4_T5_T6_T7_T9_mT8_P12ihipStream_tbDpT10_ENKUlT_T0_E_clISt17integral_constantIbLb1EES1B_EEDaS16_S17_EUlS16_E_NS1_11comp_targetILNS1_3genE4ELNS1_11target_archE910ELNS1_3gpuE8ELNS1_3repE0EEENS1_30default_config_static_selectorELNS0_4arch9wavefront6targetE0EEEvT1_
                                        ; -- End function
	.set _ZN7rocprim17ROCPRIM_400000_NS6detail17trampoline_kernelINS0_14default_configENS1_25partition_config_selectorILNS1_17partition_subalgoE6EsNS0_10empty_typeEbEEZZNS1_14partition_implILS5_6ELb0ES3_mN6thrust23THRUST_200600_302600_NS6detail15normal_iteratorINSA_10device_ptrIsEEEEPS6_SG_NS0_5tupleIJNSA_16discard_iteratorINSA_11use_defaultEEES6_EEENSH_IJSG_SG_EEES6_PlJNSB_9not_fun_tI7is_trueIsEEEEEE10hipError_tPvRmT3_T4_T5_T6_T7_T9_mT8_P12ihipStream_tbDpT10_ENKUlT_T0_E_clISt17integral_constantIbLb1EES1B_EEDaS16_S17_EUlS16_E_NS1_11comp_targetILNS1_3genE4ELNS1_11target_archE910ELNS1_3gpuE8ELNS1_3repE0EEENS1_30default_config_static_selectorELNS0_4arch9wavefront6targetE0EEEvT1_.num_vgpr, 0
	.set _ZN7rocprim17ROCPRIM_400000_NS6detail17trampoline_kernelINS0_14default_configENS1_25partition_config_selectorILNS1_17partition_subalgoE6EsNS0_10empty_typeEbEEZZNS1_14partition_implILS5_6ELb0ES3_mN6thrust23THRUST_200600_302600_NS6detail15normal_iteratorINSA_10device_ptrIsEEEEPS6_SG_NS0_5tupleIJNSA_16discard_iteratorINSA_11use_defaultEEES6_EEENSH_IJSG_SG_EEES6_PlJNSB_9not_fun_tI7is_trueIsEEEEEE10hipError_tPvRmT3_T4_T5_T6_T7_T9_mT8_P12ihipStream_tbDpT10_ENKUlT_T0_E_clISt17integral_constantIbLb1EES1B_EEDaS16_S17_EUlS16_E_NS1_11comp_targetILNS1_3genE4ELNS1_11target_archE910ELNS1_3gpuE8ELNS1_3repE0EEENS1_30default_config_static_selectorELNS0_4arch9wavefront6targetE0EEEvT1_.num_agpr, 0
	.set _ZN7rocprim17ROCPRIM_400000_NS6detail17trampoline_kernelINS0_14default_configENS1_25partition_config_selectorILNS1_17partition_subalgoE6EsNS0_10empty_typeEbEEZZNS1_14partition_implILS5_6ELb0ES3_mN6thrust23THRUST_200600_302600_NS6detail15normal_iteratorINSA_10device_ptrIsEEEEPS6_SG_NS0_5tupleIJNSA_16discard_iteratorINSA_11use_defaultEEES6_EEENSH_IJSG_SG_EEES6_PlJNSB_9not_fun_tI7is_trueIsEEEEEE10hipError_tPvRmT3_T4_T5_T6_T7_T9_mT8_P12ihipStream_tbDpT10_ENKUlT_T0_E_clISt17integral_constantIbLb1EES1B_EEDaS16_S17_EUlS16_E_NS1_11comp_targetILNS1_3genE4ELNS1_11target_archE910ELNS1_3gpuE8ELNS1_3repE0EEENS1_30default_config_static_selectorELNS0_4arch9wavefront6targetE0EEEvT1_.numbered_sgpr, 0
	.set _ZN7rocprim17ROCPRIM_400000_NS6detail17trampoline_kernelINS0_14default_configENS1_25partition_config_selectorILNS1_17partition_subalgoE6EsNS0_10empty_typeEbEEZZNS1_14partition_implILS5_6ELb0ES3_mN6thrust23THRUST_200600_302600_NS6detail15normal_iteratorINSA_10device_ptrIsEEEEPS6_SG_NS0_5tupleIJNSA_16discard_iteratorINSA_11use_defaultEEES6_EEENSH_IJSG_SG_EEES6_PlJNSB_9not_fun_tI7is_trueIsEEEEEE10hipError_tPvRmT3_T4_T5_T6_T7_T9_mT8_P12ihipStream_tbDpT10_ENKUlT_T0_E_clISt17integral_constantIbLb1EES1B_EEDaS16_S17_EUlS16_E_NS1_11comp_targetILNS1_3genE4ELNS1_11target_archE910ELNS1_3gpuE8ELNS1_3repE0EEENS1_30default_config_static_selectorELNS0_4arch9wavefront6targetE0EEEvT1_.num_named_barrier, 0
	.set _ZN7rocprim17ROCPRIM_400000_NS6detail17trampoline_kernelINS0_14default_configENS1_25partition_config_selectorILNS1_17partition_subalgoE6EsNS0_10empty_typeEbEEZZNS1_14partition_implILS5_6ELb0ES3_mN6thrust23THRUST_200600_302600_NS6detail15normal_iteratorINSA_10device_ptrIsEEEEPS6_SG_NS0_5tupleIJNSA_16discard_iteratorINSA_11use_defaultEEES6_EEENSH_IJSG_SG_EEES6_PlJNSB_9not_fun_tI7is_trueIsEEEEEE10hipError_tPvRmT3_T4_T5_T6_T7_T9_mT8_P12ihipStream_tbDpT10_ENKUlT_T0_E_clISt17integral_constantIbLb1EES1B_EEDaS16_S17_EUlS16_E_NS1_11comp_targetILNS1_3genE4ELNS1_11target_archE910ELNS1_3gpuE8ELNS1_3repE0EEENS1_30default_config_static_selectorELNS0_4arch9wavefront6targetE0EEEvT1_.private_seg_size, 0
	.set _ZN7rocprim17ROCPRIM_400000_NS6detail17trampoline_kernelINS0_14default_configENS1_25partition_config_selectorILNS1_17partition_subalgoE6EsNS0_10empty_typeEbEEZZNS1_14partition_implILS5_6ELb0ES3_mN6thrust23THRUST_200600_302600_NS6detail15normal_iteratorINSA_10device_ptrIsEEEEPS6_SG_NS0_5tupleIJNSA_16discard_iteratorINSA_11use_defaultEEES6_EEENSH_IJSG_SG_EEES6_PlJNSB_9not_fun_tI7is_trueIsEEEEEE10hipError_tPvRmT3_T4_T5_T6_T7_T9_mT8_P12ihipStream_tbDpT10_ENKUlT_T0_E_clISt17integral_constantIbLb1EES1B_EEDaS16_S17_EUlS16_E_NS1_11comp_targetILNS1_3genE4ELNS1_11target_archE910ELNS1_3gpuE8ELNS1_3repE0EEENS1_30default_config_static_selectorELNS0_4arch9wavefront6targetE0EEEvT1_.uses_vcc, 0
	.set _ZN7rocprim17ROCPRIM_400000_NS6detail17trampoline_kernelINS0_14default_configENS1_25partition_config_selectorILNS1_17partition_subalgoE6EsNS0_10empty_typeEbEEZZNS1_14partition_implILS5_6ELb0ES3_mN6thrust23THRUST_200600_302600_NS6detail15normal_iteratorINSA_10device_ptrIsEEEEPS6_SG_NS0_5tupleIJNSA_16discard_iteratorINSA_11use_defaultEEES6_EEENSH_IJSG_SG_EEES6_PlJNSB_9not_fun_tI7is_trueIsEEEEEE10hipError_tPvRmT3_T4_T5_T6_T7_T9_mT8_P12ihipStream_tbDpT10_ENKUlT_T0_E_clISt17integral_constantIbLb1EES1B_EEDaS16_S17_EUlS16_E_NS1_11comp_targetILNS1_3genE4ELNS1_11target_archE910ELNS1_3gpuE8ELNS1_3repE0EEENS1_30default_config_static_selectorELNS0_4arch9wavefront6targetE0EEEvT1_.uses_flat_scratch, 0
	.set _ZN7rocprim17ROCPRIM_400000_NS6detail17trampoline_kernelINS0_14default_configENS1_25partition_config_selectorILNS1_17partition_subalgoE6EsNS0_10empty_typeEbEEZZNS1_14partition_implILS5_6ELb0ES3_mN6thrust23THRUST_200600_302600_NS6detail15normal_iteratorINSA_10device_ptrIsEEEEPS6_SG_NS0_5tupleIJNSA_16discard_iteratorINSA_11use_defaultEEES6_EEENSH_IJSG_SG_EEES6_PlJNSB_9not_fun_tI7is_trueIsEEEEEE10hipError_tPvRmT3_T4_T5_T6_T7_T9_mT8_P12ihipStream_tbDpT10_ENKUlT_T0_E_clISt17integral_constantIbLb1EES1B_EEDaS16_S17_EUlS16_E_NS1_11comp_targetILNS1_3genE4ELNS1_11target_archE910ELNS1_3gpuE8ELNS1_3repE0EEENS1_30default_config_static_selectorELNS0_4arch9wavefront6targetE0EEEvT1_.has_dyn_sized_stack, 0
	.set _ZN7rocprim17ROCPRIM_400000_NS6detail17trampoline_kernelINS0_14default_configENS1_25partition_config_selectorILNS1_17partition_subalgoE6EsNS0_10empty_typeEbEEZZNS1_14partition_implILS5_6ELb0ES3_mN6thrust23THRUST_200600_302600_NS6detail15normal_iteratorINSA_10device_ptrIsEEEEPS6_SG_NS0_5tupleIJNSA_16discard_iteratorINSA_11use_defaultEEES6_EEENSH_IJSG_SG_EEES6_PlJNSB_9not_fun_tI7is_trueIsEEEEEE10hipError_tPvRmT3_T4_T5_T6_T7_T9_mT8_P12ihipStream_tbDpT10_ENKUlT_T0_E_clISt17integral_constantIbLb1EES1B_EEDaS16_S17_EUlS16_E_NS1_11comp_targetILNS1_3genE4ELNS1_11target_archE910ELNS1_3gpuE8ELNS1_3repE0EEENS1_30default_config_static_selectorELNS0_4arch9wavefront6targetE0EEEvT1_.has_recursion, 0
	.set _ZN7rocprim17ROCPRIM_400000_NS6detail17trampoline_kernelINS0_14default_configENS1_25partition_config_selectorILNS1_17partition_subalgoE6EsNS0_10empty_typeEbEEZZNS1_14partition_implILS5_6ELb0ES3_mN6thrust23THRUST_200600_302600_NS6detail15normal_iteratorINSA_10device_ptrIsEEEEPS6_SG_NS0_5tupleIJNSA_16discard_iteratorINSA_11use_defaultEEES6_EEENSH_IJSG_SG_EEES6_PlJNSB_9not_fun_tI7is_trueIsEEEEEE10hipError_tPvRmT3_T4_T5_T6_T7_T9_mT8_P12ihipStream_tbDpT10_ENKUlT_T0_E_clISt17integral_constantIbLb1EES1B_EEDaS16_S17_EUlS16_E_NS1_11comp_targetILNS1_3genE4ELNS1_11target_archE910ELNS1_3gpuE8ELNS1_3repE0EEENS1_30default_config_static_selectorELNS0_4arch9wavefront6targetE0EEEvT1_.has_indirect_call, 0
	.section	.AMDGPU.csdata,"",@progbits
; Kernel info:
; codeLenInByte = 0
; TotalNumSgprs: 0
; NumVgprs: 0
; ScratchSize: 0
; MemoryBound: 0
; FloatMode: 240
; IeeeMode: 1
; LDSByteSize: 0 bytes/workgroup (compile time only)
; SGPRBlocks: 0
; VGPRBlocks: 0
; NumSGPRsForWavesPerEU: 1
; NumVGPRsForWavesPerEU: 1
; Occupancy: 16
; WaveLimiterHint : 0
; COMPUTE_PGM_RSRC2:SCRATCH_EN: 0
; COMPUTE_PGM_RSRC2:USER_SGPR: 2
; COMPUTE_PGM_RSRC2:TRAP_HANDLER: 0
; COMPUTE_PGM_RSRC2:TGID_X_EN: 1
; COMPUTE_PGM_RSRC2:TGID_Y_EN: 0
; COMPUTE_PGM_RSRC2:TGID_Z_EN: 0
; COMPUTE_PGM_RSRC2:TIDIG_COMP_CNT: 0
	.section	.text._ZN7rocprim17ROCPRIM_400000_NS6detail17trampoline_kernelINS0_14default_configENS1_25partition_config_selectorILNS1_17partition_subalgoE6EsNS0_10empty_typeEbEEZZNS1_14partition_implILS5_6ELb0ES3_mN6thrust23THRUST_200600_302600_NS6detail15normal_iteratorINSA_10device_ptrIsEEEEPS6_SG_NS0_5tupleIJNSA_16discard_iteratorINSA_11use_defaultEEES6_EEENSH_IJSG_SG_EEES6_PlJNSB_9not_fun_tI7is_trueIsEEEEEE10hipError_tPvRmT3_T4_T5_T6_T7_T9_mT8_P12ihipStream_tbDpT10_ENKUlT_T0_E_clISt17integral_constantIbLb1EES1B_EEDaS16_S17_EUlS16_E_NS1_11comp_targetILNS1_3genE3ELNS1_11target_archE908ELNS1_3gpuE7ELNS1_3repE0EEENS1_30default_config_static_selectorELNS0_4arch9wavefront6targetE0EEEvT1_,"axG",@progbits,_ZN7rocprim17ROCPRIM_400000_NS6detail17trampoline_kernelINS0_14default_configENS1_25partition_config_selectorILNS1_17partition_subalgoE6EsNS0_10empty_typeEbEEZZNS1_14partition_implILS5_6ELb0ES3_mN6thrust23THRUST_200600_302600_NS6detail15normal_iteratorINSA_10device_ptrIsEEEEPS6_SG_NS0_5tupleIJNSA_16discard_iteratorINSA_11use_defaultEEES6_EEENSH_IJSG_SG_EEES6_PlJNSB_9not_fun_tI7is_trueIsEEEEEE10hipError_tPvRmT3_T4_T5_T6_T7_T9_mT8_P12ihipStream_tbDpT10_ENKUlT_T0_E_clISt17integral_constantIbLb1EES1B_EEDaS16_S17_EUlS16_E_NS1_11comp_targetILNS1_3genE3ELNS1_11target_archE908ELNS1_3gpuE7ELNS1_3repE0EEENS1_30default_config_static_selectorELNS0_4arch9wavefront6targetE0EEEvT1_,comdat
	.protected	_ZN7rocprim17ROCPRIM_400000_NS6detail17trampoline_kernelINS0_14default_configENS1_25partition_config_selectorILNS1_17partition_subalgoE6EsNS0_10empty_typeEbEEZZNS1_14partition_implILS5_6ELb0ES3_mN6thrust23THRUST_200600_302600_NS6detail15normal_iteratorINSA_10device_ptrIsEEEEPS6_SG_NS0_5tupleIJNSA_16discard_iteratorINSA_11use_defaultEEES6_EEENSH_IJSG_SG_EEES6_PlJNSB_9not_fun_tI7is_trueIsEEEEEE10hipError_tPvRmT3_T4_T5_T6_T7_T9_mT8_P12ihipStream_tbDpT10_ENKUlT_T0_E_clISt17integral_constantIbLb1EES1B_EEDaS16_S17_EUlS16_E_NS1_11comp_targetILNS1_3genE3ELNS1_11target_archE908ELNS1_3gpuE7ELNS1_3repE0EEENS1_30default_config_static_selectorELNS0_4arch9wavefront6targetE0EEEvT1_ ; -- Begin function _ZN7rocprim17ROCPRIM_400000_NS6detail17trampoline_kernelINS0_14default_configENS1_25partition_config_selectorILNS1_17partition_subalgoE6EsNS0_10empty_typeEbEEZZNS1_14partition_implILS5_6ELb0ES3_mN6thrust23THRUST_200600_302600_NS6detail15normal_iteratorINSA_10device_ptrIsEEEEPS6_SG_NS0_5tupleIJNSA_16discard_iteratorINSA_11use_defaultEEES6_EEENSH_IJSG_SG_EEES6_PlJNSB_9not_fun_tI7is_trueIsEEEEEE10hipError_tPvRmT3_T4_T5_T6_T7_T9_mT8_P12ihipStream_tbDpT10_ENKUlT_T0_E_clISt17integral_constantIbLb1EES1B_EEDaS16_S17_EUlS16_E_NS1_11comp_targetILNS1_3genE3ELNS1_11target_archE908ELNS1_3gpuE7ELNS1_3repE0EEENS1_30default_config_static_selectorELNS0_4arch9wavefront6targetE0EEEvT1_
	.globl	_ZN7rocprim17ROCPRIM_400000_NS6detail17trampoline_kernelINS0_14default_configENS1_25partition_config_selectorILNS1_17partition_subalgoE6EsNS0_10empty_typeEbEEZZNS1_14partition_implILS5_6ELb0ES3_mN6thrust23THRUST_200600_302600_NS6detail15normal_iteratorINSA_10device_ptrIsEEEEPS6_SG_NS0_5tupleIJNSA_16discard_iteratorINSA_11use_defaultEEES6_EEENSH_IJSG_SG_EEES6_PlJNSB_9not_fun_tI7is_trueIsEEEEEE10hipError_tPvRmT3_T4_T5_T6_T7_T9_mT8_P12ihipStream_tbDpT10_ENKUlT_T0_E_clISt17integral_constantIbLb1EES1B_EEDaS16_S17_EUlS16_E_NS1_11comp_targetILNS1_3genE3ELNS1_11target_archE908ELNS1_3gpuE7ELNS1_3repE0EEENS1_30default_config_static_selectorELNS0_4arch9wavefront6targetE0EEEvT1_
	.p2align	8
	.type	_ZN7rocprim17ROCPRIM_400000_NS6detail17trampoline_kernelINS0_14default_configENS1_25partition_config_selectorILNS1_17partition_subalgoE6EsNS0_10empty_typeEbEEZZNS1_14partition_implILS5_6ELb0ES3_mN6thrust23THRUST_200600_302600_NS6detail15normal_iteratorINSA_10device_ptrIsEEEEPS6_SG_NS0_5tupleIJNSA_16discard_iteratorINSA_11use_defaultEEES6_EEENSH_IJSG_SG_EEES6_PlJNSB_9not_fun_tI7is_trueIsEEEEEE10hipError_tPvRmT3_T4_T5_T6_T7_T9_mT8_P12ihipStream_tbDpT10_ENKUlT_T0_E_clISt17integral_constantIbLb1EES1B_EEDaS16_S17_EUlS16_E_NS1_11comp_targetILNS1_3genE3ELNS1_11target_archE908ELNS1_3gpuE7ELNS1_3repE0EEENS1_30default_config_static_selectorELNS0_4arch9wavefront6targetE0EEEvT1_,@function
_ZN7rocprim17ROCPRIM_400000_NS6detail17trampoline_kernelINS0_14default_configENS1_25partition_config_selectorILNS1_17partition_subalgoE6EsNS0_10empty_typeEbEEZZNS1_14partition_implILS5_6ELb0ES3_mN6thrust23THRUST_200600_302600_NS6detail15normal_iteratorINSA_10device_ptrIsEEEEPS6_SG_NS0_5tupleIJNSA_16discard_iteratorINSA_11use_defaultEEES6_EEENSH_IJSG_SG_EEES6_PlJNSB_9not_fun_tI7is_trueIsEEEEEE10hipError_tPvRmT3_T4_T5_T6_T7_T9_mT8_P12ihipStream_tbDpT10_ENKUlT_T0_E_clISt17integral_constantIbLb1EES1B_EEDaS16_S17_EUlS16_E_NS1_11comp_targetILNS1_3genE3ELNS1_11target_archE908ELNS1_3gpuE7ELNS1_3repE0EEENS1_30default_config_static_selectorELNS0_4arch9wavefront6targetE0EEEvT1_: ; @_ZN7rocprim17ROCPRIM_400000_NS6detail17trampoline_kernelINS0_14default_configENS1_25partition_config_selectorILNS1_17partition_subalgoE6EsNS0_10empty_typeEbEEZZNS1_14partition_implILS5_6ELb0ES3_mN6thrust23THRUST_200600_302600_NS6detail15normal_iteratorINSA_10device_ptrIsEEEEPS6_SG_NS0_5tupleIJNSA_16discard_iteratorINSA_11use_defaultEEES6_EEENSH_IJSG_SG_EEES6_PlJNSB_9not_fun_tI7is_trueIsEEEEEE10hipError_tPvRmT3_T4_T5_T6_T7_T9_mT8_P12ihipStream_tbDpT10_ENKUlT_T0_E_clISt17integral_constantIbLb1EES1B_EEDaS16_S17_EUlS16_E_NS1_11comp_targetILNS1_3genE3ELNS1_11target_archE908ELNS1_3gpuE7ELNS1_3repE0EEENS1_30default_config_static_selectorELNS0_4arch9wavefront6targetE0EEEvT1_
; %bb.0:
	.section	.rodata,"a",@progbits
	.p2align	6, 0x0
	.amdhsa_kernel _ZN7rocprim17ROCPRIM_400000_NS6detail17trampoline_kernelINS0_14default_configENS1_25partition_config_selectorILNS1_17partition_subalgoE6EsNS0_10empty_typeEbEEZZNS1_14partition_implILS5_6ELb0ES3_mN6thrust23THRUST_200600_302600_NS6detail15normal_iteratorINSA_10device_ptrIsEEEEPS6_SG_NS0_5tupleIJNSA_16discard_iteratorINSA_11use_defaultEEES6_EEENSH_IJSG_SG_EEES6_PlJNSB_9not_fun_tI7is_trueIsEEEEEE10hipError_tPvRmT3_T4_T5_T6_T7_T9_mT8_P12ihipStream_tbDpT10_ENKUlT_T0_E_clISt17integral_constantIbLb1EES1B_EEDaS16_S17_EUlS16_E_NS1_11comp_targetILNS1_3genE3ELNS1_11target_archE908ELNS1_3gpuE7ELNS1_3repE0EEENS1_30default_config_static_selectorELNS0_4arch9wavefront6targetE0EEEvT1_
		.amdhsa_group_segment_fixed_size 0
		.amdhsa_private_segment_fixed_size 0
		.amdhsa_kernarg_size 136
		.amdhsa_user_sgpr_count 2
		.amdhsa_user_sgpr_dispatch_ptr 0
		.amdhsa_user_sgpr_queue_ptr 0
		.amdhsa_user_sgpr_kernarg_segment_ptr 1
		.amdhsa_user_sgpr_dispatch_id 0
		.amdhsa_user_sgpr_private_segment_size 0
		.amdhsa_wavefront_size32 1
		.amdhsa_uses_dynamic_stack 0
		.amdhsa_enable_private_segment 0
		.amdhsa_system_sgpr_workgroup_id_x 1
		.amdhsa_system_sgpr_workgroup_id_y 0
		.amdhsa_system_sgpr_workgroup_id_z 0
		.amdhsa_system_sgpr_workgroup_info 0
		.amdhsa_system_vgpr_workitem_id 0
		.amdhsa_next_free_vgpr 1
		.amdhsa_next_free_sgpr 1
		.amdhsa_reserve_vcc 0
		.amdhsa_float_round_mode_32 0
		.amdhsa_float_round_mode_16_64 0
		.amdhsa_float_denorm_mode_32 3
		.amdhsa_float_denorm_mode_16_64 3
		.amdhsa_fp16_overflow 0
		.amdhsa_workgroup_processor_mode 1
		.amdhsa_memory_ordered 1
		.amdhsa_forward_progress 1
		.amdhsa_inst_pref_size 0
		.amdhsa_round_robin_scheduling 0
		.amdhsa_exception_fp_ieee_invalid_op 0
		.amdhsa_exception_fp_denorm_src 0
		.amdhsa_exception_fp_ieee_div_zero 0
		.amdhsa_exception_fp_ieee_overflow 0
		.amdhsa_exception_fp_ieee_underflow 0
		.amdhsa_exception_fp_ieee_inexact 0
		.amdhsa_exception_int_div_zero 0
	.end_amdhsa_kernel
	.section	.text._ZN7rocprim17ROCPRIM_400000_NS6detail17trampoline_kernelINS0_14default_configENS1_25partition_config_selectorILNS1_17partition_subalgoE6EsNS0_10empty_typeEbEEZZNS1_14partition_implILS5_6ELb0ES3_mN6thrust23THRUST_200600_302600_NS6detail15normal_iteratorINSA_10device_ptrIsEEEEPS6_SG_NS0_5tupleIJNSA_16discard_iteratorINSA_11use_defaultEEES6_EEENSH_IJSG_SG_EEES6_PlJNSB_9not_fun_tI7is_trueIsEEEEEE10hipError_tPvRmT3_T4_T5_T6_T7_T9_mT8_P12ihipStream_tbDpT10_ENKUlT_T0_E_clISt17integral_constantIbLb1EES1B_EEDaS16_S17_EUlS16_E_NS1_11comp_targetILNS1_3genE3ELNS1_11target_archE908ELNS1_3gpuE7ELNS1_3repE0EEENS1_30default_config_static_selectorELNS0_4arch9wavefront6targetE0EEEvT1_,"axG",@progbits,_ZN7rocprim17ROCPRIM_400000_NS6detail17trampoline_kernelINS0_14default_configENS1_25partition_config_selectorILNS1_17partition_subalgoE6EsNS0_10empty_typeEbEEZZNS1_14partition_implILS5_6ELb0ES3_mN6thrust23THRUST_200600_302600_NS6detail15normal_iteratorINSA_10device_ptrIsEEEEPS6_SG_NS0_5tupleIJNSA_16discard_iteratorINSA_11use_defaultEEES6_EEENSH_IJSG_SG_EEES6_PlJNSB_9not_fun_tI7is_trueIsEEEEEE10hipError_tPvRmT3_T4_T5_T6_T7_T9_mT8_P12ihipStream_tbDpT10_ENKUlT_T0_E_clISt17integral_constantIbLb1EES1B_EEDaS16_S17_EUlS16_E_NS1_11comp_targetILNS1_3genE3ELNS1_11target_archE908ELNS1_3gpuE7ELNS1_3repE0EEENS1_30default_config_static_selectorELNS0_4arch9wavefront6targetE0EEEvT1_,comdat
.Lfunc_end2312:
	.size	_ZN7rocprim17ROCPRIM_400000_NS6detail17trampoline_kernelINS0_14default_configENS1_25partition_config_selectorILNS1_17partition_subalgoE6EsNS0_10empty_typeEbEEZZNS1_14partition_implILS5_6ELb0ES3_mN6thrust23THRUST_200600_302600_NS6detail15normal_iteratorINSA_10device_ptrIsEEEEPS6_SG_NS0_5tupleIJNSA_16discard_iteratorINSA_11use_defaultEEES6_EEENSH_IJSG_SG_EEES6_PlJNSB_9not_fun_tI7is_trueIsEEEEEE10hipError_tPvRmT3_T4_T5_T6_T7_T9_mT8_P12ihipStream_tbDpT10_ENKUlT_T0_E_clISt17integral_constantIbLb1EES1B_EEDaS16_S17_EUlS16_E_NS1_11comp_targetILNS1_3genE3ELNS1_11target_archE908ELNS1_3gpuE7ELNS1_3repE0EEENS1_30default_config_static_selectorELNS0_4arch9wavefront6targetE0EEEvT1_, .Lfunc_end2312-_ZN7rocprim17ROCPRIM_400000_NS6detail17trampoline_kernelINS0_14default_configENS1_25partition_config_selectorILNS1_17partition_subalgoE6EsNS0_10empty_typeEbEEZZNS1_14partition_implILS5_6ELb0ES3_mN6thrust23THRUST_200600_302600_NS6detail15normal_iteratorINSA_10device_ptrIsEEEEPS6_SG_NS0_5tupleIJNSA_16discard_iteratorINSA_11use_defaultEEES6_EEENSH_IJSG_SG_EEES6_PlJNSB_9not_fun_tI7is_trueIsEEEEEE10hipError_tPvRmT3_T4_T5_T6_T7_T9_mT8_P12ihipStream_tbDpT10_ENKUlT_T0_E_clISt17integral_constantIbLb1EES1B_EEDaS16_S17_EUlS16_E_NS1_11comp_targetILNS1_3genE3ELNS1_11target_archE908ELNS1_3gpuE7ELNS1_3repE0EEENS1_30default_config_static_selectorELNS0_4arch9wavefront6targetE0EEEvT1_
                                        ; -- End function
	.set _ZN7rocprim17ROCPRIM_400000_NS6detail17trampoline_kernelINS0_14default_configENS1_25partition_config_selectorILNS1_17partition_subalgoE6EsNS0_10empty_typeEbEEZZNS1_14partition_implILS5_6ELb0ES3_mN6thrust23THRUST_200600_302600_NS6detail15normal_iteratorINSA_10device_ptrIsEEEEPS6_SG_NS0_5tupleIJNSA_16discard_iteratorINSA_11use_defaultEEES6_EEENSH_IJSG_SG_EEES6_PlJNSB_9not_fun_tI7is_trueIsEEEEEE10hipError_tPvRmT3_T4_T5_T6_T7_T9_mT8_P12ihipStream_tbDpT10_ENKUlT_T0_E_clISt17integral_constantIbLb1EES1B_EEDaS16_S17_EUlS16_E_NS1_11comp_targetILNS1_3genE3ELNS1_11target_archE908ELNS1_3gpuE7ELNS1_3repE0EEENS1_30default_config_static_selectorELNS0_4arch9wavefront6targetE0EEEvT1_.num_vgpr, 0
	.set _ZN7rocprim17ROCPRIM_400000_NS6detail17trampoline_kernelINS0_14default_configENS1_25partition_config_selectorILNS1_17partition_subalgoE6EsNS0_10empty_typeEbEEZZNS1_14partition_implILS5_6ELb0ES3_mN6thrust23THRUST_200600_302600_NS6detail15normal_iteratorINSA_10device_ptrIsEEEEPS6_SG_NS0_5tupleIJNSA_16discard_iteratorINSA_11use_defaultEEES6_EEENSH_IJSG_SG_EEES6_PlJNSB_9not_fun_tI7is_trueIsEEEEEE10hipError_tPvRmT3_T4_T5_T6_T7_T9_mT8_P12ihipStream_tbDpT10_ENKUlT_T0_E_clISt17integral_constantIbLb1EES1B_EEDaS16_S17_EUlS16_E_NS1_11comp_targetILNS1_3genE3ELNS1_11target_archE908ELNS1_3gpuE7ELNS1_3repE0EEENS1_30default_config_static_selectorELNS0_4arch9wavefront6targetE0EEEvT1_.num_agpr, 0
	.set _ZN7rocprim17ROCPRIM_400000_NS6detail17trampoline_kernelINS0_14default_configENS1_25partition_config_selectorILNS1_17partition_subalgoE6EsNS0_10empty_typeEbEEZZNS1_14partition_implILS5_6ELb0ES3_mN6thrust23THRUST_200600_302600_NS6detail15normal_iteratorINSA_10device_ptrIsEEEEPS6_SG_NS0_5tupleIJNSA_16discard_iteratorINSA_11use_defaultEEES6_EEENSH_IJSG_SG_EEES6_PlJNSB_9not_fun_tI7is_trueIsEEEEEE10hipError_tPvRmT3_T4_T5_T6_T7_T9_mT8_P12ihipStream_tbDpT10_ENKUlT_T0_E_clISt17integral_constantIbLb1EES1B_EEDaS16_S17_EUlS16_E_NS1_11comp_targetILNS1_3genE3ELNS1_11target_archE908ELNS1_3gpuE7ELNS1_3repE0EEENS1_30default_config_static_selectorELNS0_4arch9wavefront6targetE0EEEvT1_.numbered_sgpr, 0
	.set _ZN7rocprim17ROCPRIM_400000_NS6detail17trampoline_kernelINS0_14default_configENS1_25partition_config_selectorILNS1_17partition_subalgoE6EsNS0_10empty_typeEbEEZZNS1_14partition_implILS5_6ELb0ES3_mN6thrust23THRUST_200600_302600_NS6detail15normal_iteratorINSA_10device_ptrIsEEEEPS6_SG_NS0_5tupleIJNSA_16discard_iteratorINSA_11use_defaultEEES6_EEENSH_IJSG_SG_EEES6_PlJNSB_9not_fun_tI7is_trueIsEEEEEE10hipError_tPvRmT3_T4_T5_T6_T7_T9_mT8_P12ihipStream_tbDpT10_ENKUlT_T0_E_clISt17integral_constantIbLb1EES1B_EEDaS16_S17_EUlS16_E_NS1_11comp_targetILNS1_3genE3ELNS1_11target_archE908ELNS1_3gpuE7ELNS1_3repE0EEENS1_30default_config_static_selectorELNS0_4arch9wavefront6targetE0EEEvT1_.num_named_barrier, 0
	.set _ZN7rocprim17ROCPRIM_400000_NS6detail17trampoline_kernelINS0_14default_configENS1_25partition_config_selectorILNS1_17partition_subalgoE6EsNS0_10empty_typeEbEEZZNS1_14partition_implILS5_6ELb0ES3_mN6thrust23THRUST_200600_302600_NS6detail15normal_iteratorINSA_10device_ptrIsEEEEPS6_SG_NS0_5tupleIJNSA_16discard_iteratorINSA_11use_defaultEEES6_EEENSH_IJSG_SG_EEES6_PlJNSB_9not_fun_tI7is_trueIsEEEEEE10hipError_tPvRmT3_T4_T5_T6_T7_T9_mT8_P12ihipStream_tbDpT10_ENKUlT_T0_E_clISt17integral_constantIbLb1EES1B_EEDaS16_S17_EUlS16_E_NS1_11comp_targetILNS1_3genE3ELNS1_11target_archE908ELNS1_3gpuE7ELNS1_3repE0EEENS1_30default_config_static_selectorELNS0_4arch9wavefront6targetE0EEEvT1_.private_seg_size, 0
	.set _ZN7rocprim17ROCPRIM_400000_NS6detail17trampoline_kernelINS0_14default_configENS1_25partition_config_selectorILNS1_17partition_subalgoE6EsNS0_10empty_typeEbEEZZNS1_14partition_implILS5_6ELb0ES3_mN6thrust23THRUST_200600_302600_NS6detail15normal_iteratorINSA_10device_ptrIsEEEEPS6_SG_NS0_5tupleIJNSA_16discard_iteratorINSA_11use_defaultEEES6_EEENSH_IJSG_SG_EEES6_PlJNSB_9not_fun_tI7is_trueIsEEEEEE10hipError_tPvRmT3_T4_T5_T6_T7_T9_mT8_P12ihipStream_tbDpT10_ENKUlT_T0_E_clISt17integral_constantIbLb1EES1B_EEDaS16_S17_EUlS16_E_NS1_11comp_targetILNS1_3genE3ELNS1_11target_archE908ELNS1_3gpuE7ELNS1_3repE0EEENS1_30default_config_static_selectorELNS0_4arch9wavefront6targetE0EEEvT1_.uses_vcc, 0
	.set _ZN7rocprim17ROCPRIM_400000_NS6detail17trampoline_kernelINS0_14default_configENS1_25partition_config_selectorILNS1_17partition_subalgoE6EsNS0_10empty_typeEbEEZZNS1_14partition_implILS5_6ELb0ES3_mN6thrust23THRUST_200600_302600_NS6detail15normal_iteratorINSA_10device_ptrIsEEEEPS6_SG_NS0_5tupleIJNSA_16discard_iteratorINSA_11use_defaultEEES6_EEENSH_IJSG_SG_EEES6_PlJNSB_9not_fun_tI7is_trueIsEEEEEE10hipError_tPvRmT3_T4_T5_T6_T7_T9_mT8_P12ihipStream_tbDpT10_ENKUlT_T0_E_clISt17integral_constantIbLb1EES1B_EEDaS16_S17_EUlS16_E_NS1_11comp_targetILNS1_3genE3ELNS1_11target_archE908ELNS1_3gpuE7ELNS1_3repE0EEENS1_30default_config_static_selectorELNS0_4arch9wavefront6targetE0EEEvT1_.uses_flat_scratch, 0
	.set _ZN7rocprim17ROCPRIM_400000_NS6detail17trampoline_kernelINS0_14default_configENS1_25partition_config_selectorILNS1_17partition_subalgoE6EsNS0_10empty_typeEbEEZZNS1_14partition_implILS5_6ELb0ES3_mN6thrust23THRUST_200600_302600_NS6detail15normal_iteratorINSA_10device_ptrIsEEEEPS6_SG_NS0_5tupleIJNSA_16discard_iteratorINSA_11use_defaultEEES6_EEENSH_IJSG_SG_EEES6_PlJNSB_9not_fun_tI7is_trueIsEEEEEE10hipError_tPvRmT3_T4_T5_T6_T7_T9_mT8_P12ihipStream_tbDpT10_ENKUlT_T0_E_clISt17integral_constantIbLb1EES1B_EEDaS16_S17_EUlS16_E_NS1_11comp_targetILNS1_3genE3ELNS1_11target_archE908ELNS1_3gpuE7ELNS1_3repE0EEENS1_30default_config_static_selectorELNS0_4arch9wavefront6targetE0EEEvT1_.has_dyn_sized_stack, 0
	.set _ZN7rocprim17ROCPRIM_400000_NS6detail17trampoline_kernelINS0_14default_configENS1_25partition_config_selectorILNS1_17partition_subalgoE6EsNS0_10empty_typeEbEEZZNS1_14partition_implILS5_6ELb0ES3_mN6thrust23THRUST_200600_302600_NS6detail15normal_iteratorINSA_10device_ptrIsEEEEPS6_SG_NS0_5tupleIJNSA_16discard_iteratorINSA_11use_defaultEEES6_EEENSH_IJSG_SG_EEES6_PlJNSB_9not_fun_tI7is_trueIsEEEEEE10hipError_tPvRmT3_T4_T5_T6_T7_T9_mT8_P12ihipStream_tbDpT10_ENKUlT_T0_E_clISt17integral_constantIbLb1EES1B_EEDaS16_S17_EUlS16_E_NS1_11comp_targetILNS1_3genE3ELNS1_11target_archE908ELNS1_3gpuE7ELNS1_3repE0EEENS1_30default_config_static_selectorELNS0_4arch9wavefront6targetE0EEEvT1_.has_recursion, 0
	.set _ZN7rocprim17ROCPRIM_400000_NS6detail17trampoline_kernelINS0_14default_configENS1_25partition_config_selectorILNS1_17partition_subalgoE6EsNS0_10empty_typeEbEEZZNS1_14partition_implILS5_6ELb0ES3_mN6thrust23THRUST_200600_302600_NS6detail15normal_iteratorINSA_10device_ptrIsEEEEPS6_SG_NS0_5tupleIJNSA_16discard_iteratorINSA_11use_defaultEEES6_EEENSH_IJSG_SG_EEES6_PlJNSB_9not_fun_tI7is_trueIsEEEEEE10hipError_tPvRmT3_T4_T5_T6_T7_T9_mT8_P12ihipStream_tbDpT10_ENKUlT_T0_E_clISt17integral_constantIbLb1EES1B_EEDaS16_S17_EUlS16_E_NS1_11comp_targetILNS1_3genE3ELNS1_11target_archE908ELNS1_3gpuE7ELNS1_3repE0EEENS1_30default_config_static_selectorELNS0_4arch9wavefront6targetE0EEEvT1_.has_indirect_call, 0
	.section	.AMDGPU.csdata,"",@progbits
; Kernel info:
; codeLenInByte = 0
; TotalNumSgprs: 0
; NumVgprs: 0
; ScratchSize: 0
; MemoryBound: 0
; FloatMode: 240
; IeeeMode: 1
; LDSByteSize: 0 bytes/workgroup (compile time only)
; SGPRBlocks: 0
; VGPRBlocks: 0
; NumSGPRsForWavesPerEU: 1
; NumVGPRsForWavesPerEU: 1
; Occupancy: 16
; WaveLimiterHint : 0
; COMPUTE_PGM_RSRC2:SCRATCH_EN: 0
; COMPUTE_PGM_RSRC2:USER_SGPR: 2
; COMPUTE_PGM_RSRC2:TRAP_HANDLER: 0
; COMPUTE_PGM_RSRC2:TGID_X_EN: 1
; COMPUTE_PGM_RSRC2:TGID_Y_EN: 0
; COMPUTE_PGM_RSRC2:TGID_Z_EN: 0
; COMPUTE_PGM_RSRC2:TIDIG_COMP_CNT: 0
	.section	.text._ZN7rocprim17ROCPRIM_400000_NS6detail17trampoline_kernelINS0_14default_configENS1_25partition_config_selectorILNS1_17partition_subalgoE6EsNS0_10empty_typeEbEEZZNS1_14partition_implILS5_6ELb0ES3_mN6thrust23THRUST_200600_302600_NS6detail15normal_iteratorINSA_10device_ptrIsEEEEPS6_SG_NS0_5tupleIJNSA_16discard_iteratorINSA_11use_defaultEEES6_EEENSH_IJSG_SG_EEES6_PlJNSB_9not_fun_tI7is_trueIsEEEEEE10hipError_tPvRmT3_T4_T5_T6_T7_T9_mT8_P12ihipStream_tbDpT10_ENKUlT_T0_E_clISt17integral_constantIbLb1EES1B_EEDaS16_S17_EUlS16_E_NS1_11comp_targetILNS1_3genE2ELNS1_11target_archE906ELNS1_3gpuE6ELNS1_3repE0EEENS1_30default_config_static_selectorELNS0_4arch9wavefront6targetE0EEEvT1_,"axG",@progbits,_ZN7rocprim17ROCPRIM_400000_NS6detail17trampoline_kernelINS0_14default_configENS1_25partition_config_selectorILNS1_17partition_subalgoE6EsNS0_10empty_typeEbEEZZNS1_14partition_implILS5_6ELb0ES3_mN6thrust23THRUST_200600_302600_NS6detail15normal_iteratorINSA_10device_ptrIsEEEEPS6_SG_NS0_5tupleIJNSA_16discard_iteratorINSA_11use_defaultEEES6_EEENSH_IJSG_SG_EEES6_PlJNSB_9not_fun_tI7is_trueIsEEEEEE10hipError_tPvRmT3_T4_T5_T6_T7_T9_mT8_P12ihipStream_tbDpT10_ENKUlT_T0_E_clISt17integral_constantIbLb1EES1B_EEDaS16_S17_EUlS16_E_NS1_11comp_targetILNS1_3genE2ELNS1_11target_archE906ELNS1_3gpuE6ELNS1_3repE0EEENS1_30default_config_static_selectorELNS0_4arch9wavefront6targetE0EEEvT1_,comdat
	.protected	_ZN7rocprim17ROCPRIM_400000_NS6detail17trampoline_kernelINS0_14default_configENS1_25partition_config_selectorILNS1_17partition_subalgoE6EsNS0_10empty_typeEbEEZZNS1_14partition_implILS5_6ELb0ES3_mN6thrust23THRUST_200600_302600_NS6detail15normal_iteratorINSA_10device_ptrIsEEEEPS6_SG_NS0_5tupleIJNSA_16discard_iteratorINSA_11use_defaultEEES6_EEENSH_IJSG_SG_EEES6_PlJNSB_9not_fun_tI7is_trueIsEEEEEE10hipError_tPvRmT3_T4_T5_T6_T7_T9_mT8_P12ihipStream_tbDpT10_ENKUlT_T0_E_clISt17integral_constantIbLb1EES1B_EEDaS16_S17_EUlS16_E_NS1_11comp_targetILNS1_3genE2ELNS1_11target_archE906ELNS1_3gpuE6ELNS1_3repE0EEENS1_30default_config_static_selectorELNS0_4arch9wavefront6targetE0EEEvT1_ ; -- Begin function _ZN7rocprim17ROCPRIM_400000_NS6detail17trampoline_kernelINS0_14default_configENS1_25partition_config_selectorILNS1_17partition_subalgoE6EsNS0_10empty_typeEbEEZZNS1_14partition_implILS5_6ELb0ES3_mN6thrust23THRUST_200600_302600_NS6detail15normal_iteratorINSA_10device_ptrIsEEEEPS6_SG_NS0_5tupleIJNSA_16discard_iteratorINSA_11use_defaultEEES6_EEENSH_IJSG_SG_EEES6_PlJNSB_9not_fun_tI7is_trueIsEEEEEE10hipError_tPvRmT3_T4_T5_T6_T7_T9_mT8_P12ihipStream_tbDpT10_ENKUlT_T0_E_clISt17integral_constantIbLb1EES1B_EEDaS16_S17_EUlS16_E_NS1_11comp_targetILNS1_3genE2ELNS1_11target_archE906ELNS1_3gpuE6ELNS1_3repE0EEENS1_30default_config_static_selectorELNS0_4arch9wavefront6targetE0EEEvT1_
	.globl	_ZN7rocprim17ROCPRIM_400000_NS6detail17trampoline_kernelINS0_14default_configENS1_25partition_config_selectorILNS1_17partition_subalgoE6EsNS0_10empty_typeEbEEZZNS1_14partition_implILS5_6ELb0ES3_mN6thrust23THRUST_200600_302600_NS6detail15normal_iteratorINSA_10device_ptrIsEEEEPS6_SG_NS0_5tupleIJNSA_16discard_iteratorINSA_11use_defaultEEES6_EEENSH_IJSG_SG_EEES6_PlJNSB_9not_fun_tI7is_trueIsEEEEEE10hipError_tPvRmT3_T4_T5_T6_T7_T9_mT8_P12ihipStream_tbDpT10_ENKUlT_T0_E_clISt17integral_constantIbLb1EES1B_EEDaS16_S17_EUlS16_E_NS1_11comp_targetILNS1_3genE2ELNS1_11target_archE906ELNS1_3gpuE6ELNS1_3repE0EEENS1_30default_config_static_selectorELNS0_4arch9wavefront6targetE0EEEvT1_
	.p2align	8
	.type	_ZN7rocprim17ROCPRIM_400000_NS6detail17trampoline_kernelINS0_14default_configENS1_25partition_config_selectorILNS1_17partition_subalgoE6EsNS0_10empty_typeEbEEZZNS1_14partition_implILS5_6ELb0ES3_mN6thrust23THRUST_200600_302600_NS6detail15normal_iteratorINSA_10device_ptrIsEEEEPS6_SG_NS0_5tupleIJNSA_16discard_iteratorINSA_11use_defaultEEES6_EEENSH_IJSG_SG_EEES6_PlJNSB_9not_fun_tI7is_trueIsEEEEEE10hipError_tPvRmT3_T4_T5_T6_T7_T9_mT8_P12ihipStream_tbDpT10_ENKUlT_T0_E_clISt17integral_constantIbLb1EES1B_EEDaS16_S17_EUlS16_E_NS1_11comp_targetILNS1_3genE2ELNS1_11target_archE906ELNS1_3gpuE6ELNS1_3repE0EEENS1_30default_config_static_selectorELNS0_4arch9wavefront6targetE0EEEvT1_,@function
_ZN7rocprim17ROCPRIM_400000_NS6detail17trampoline_kernelINS0_14default_configENS1_25partition_config_selectorILNS1_17partition_subalgoE6EsNS0_10empty_typeEbEEZZNS1_14partition_implILS5_6ELb0ES3_mN6thrust23THRUST_200600_302600_NS6detail15normal_iteratorINSA_10device_ptrIsEEEEPS6_SG_NS0_5tupleIJNSA_16discard_iteratorINSA_11use_defaultEEES6_EEENSH_IJSG_SG_EEES6_PlJNSB_9not_fun_tI7is_trueIsEEEEEE10hipError_tPvRmT3_T4_T5_T6_T7_T9_mT8_P12ihipStream_tbDpT10_ENKUlT_T0_E_clISt17integral_constantIbLb1EES1B_EEDaS16_S17_EUlS16_E_NS1_11comp_targetILNS1_3genE2ELNS1_11target_archE906ELNS1_3gpuE6ELNS1_3repE0EEENS1_30default_config_static_selectorELNS0_4arch9wavefront6targetE0EEEvT1_: ; @_ZN7rocprim17ROCPRIM_400000_NS6detail17trampoline_kernelINS0_14default_configENS1_25partition_config_selectorILNS1_17partition_subalgoE6EsNS0_10empty_typeEbEEZZNS1_14partition_implILS5_6ELb0ES3_mN6thrust23THRUST_200600_302600_NS6detail15normal_iteratorINSA_10device_ptrIsEEEEPS6_SG_NS0_5tupleIJNSA_16discard_iteratorINSA_11use_defaultEEES6_EEENSH_IJSG_SG_EEES6_PlJNSB_9not_fun_tI7is_trueIsEEEEEE10hipError_tPvRmT3_T4_T5_T6_T7_T9_mT8_P12ihipStream_tbDpT10_ENKUlT_T0_E_clISt17integral_constantIbLb1EES1B_EEDaS16_S17_EUlS16_E_NS1_11comp_targetILNS1_3genE2ELNS1_11target_archE906ELNS1_3gpuE6ELNS1_3repE0EEENS1_30default_config_static_selectorELNS0_4arch9wavefront6targetE0EEEvT1_
; %bb.0:
	.section	.rodata,"a",@progbits
	.p2align	6, 0x0
	.amdhsa_kernel _ZN7rocprim17ROCPRIM_400000_NS6detail17trampoline_kernelINS0_14default_configENS1_25partition_config_selectorILNS1_17partition_subalgoE6EsNS0_10empty_typeEbEEZZNS1_14partition_implILS5_6ELb0ES3_mN6thrust23THRUST_200600_302600_NS6detail15normal_iteratorINSA_10device_ptrIsEEEEPS6_SG_NS0_5tupleIJNSA_16discard_iteratorINSA_11use_defaultEEES6_EEENSH_IJSG_SG_EEES6_PlJNSB_9not_fun_tI7is_trueIsEEEEEE10hipError_tPvRmT3_T4_T5_T6_T7_T9_mT8_P12ihipStream_tbDpT10_ENKUlT_T0_E_clISt17integral_constantIbLb1EES1B_EEDaS16_S17_EUlS16_E_NS1_11comp_targetILNS1_3genE2ELNS1_11target_archE906ELNS1_3gpuE6ELNS1_3repE0EEENS1_30default_config_static_selectorELNS0_4arch9wavefront6targetE0EEEvT1_
		.amdhsa_group_segment_fixed_size 0
		.amdhsa_private_segment_fixed_size 0
		.amdhsa_kernarg_size 136
		.amdhsa_user_sgpr_count 2
		.amdhsa_user_sgpr_dispatch_ptr 0
		.amdhsa_user_sgpr_queue_ptr 0
		.amdhsa_user_sgpr_kernarg_segment_ptr 1
		.amdhsa_user_sgpr_dispatch_id 0
		.amdhsa_user_sgpr_private_segment_size 0
		.amdhsa_wavefront_size32 1
		.amdhsa_uses_dynamic_stack 0
		.amdhsa_enable_private_segment 0
		.amdhsa_system_sgpr_workgroup_id_x 1
		.amdhsa_system_sgpr_workgroup_id_y 0
		.amdhsa_system_sgpr_workgroup_id_z 0
		.amdhsa_system_sgpr_workgroup_info 0
		.amdhsa_system_vgpr_workitem_id 0
		.amdhsa_next_free_vgpr 1
		.amdhsa_next_free_sgpr 1
		.amdhsa_reserve_vcc 0
		.amdhsa_float_round_mode_32 0
		.amdhsa_float_round_mode_16_64 0
		.amdhsa_float_denorm_mode_32 3
		.amdhsa_float_denorm_mode_16_64 3
		.amdhsa_fp16_overflow 0
		.amdhsa_workgroup_processor_mode 1
		.amdhsa_memory_ordered 1
		.amdhsa_forward_progress 1
		.amdhsa_inst_pref_size 0
		.amdhsa_round_robin_scheduling 0
		.amdhsa_exception_fp_ieee_invalid_op 0
		.amdhsa_exception_fp_denorm_src 0
		.amdhsa_exception_fp_ieee_div_zero 0
		.amdhsa_exception_fp_ieee_overflow 0
		.amdhsa_exception_fp_ieee_underflow 0
		.amdhsa_exception_fp_ieee_inexact 0
		.amdhsa_exception_int_div_zero 0
	.end_amdhsa_kernel
	.section	.text._ZN7rocprim17ROCPRIM_400000_NS6detail17trampoline_kernelINS0_14default_configENS1_25partition_config_selectorILNS1_17partition_subalgoE6EsNS0_10empty_typeEbEEZZNS1_14partition_implILS5_6ELb0ES3_mN6thrust23THRUST_200600_302600_NS6detail15normal_iteratorINSA_10device_ptrIsEEEEPS6_SG_NS0_5tupleIJNSA_16discard_iteratorINSA_11use_defaultEEES6_EEENSH_IJSG_SG_EEES6_PlJNSB_9not_fun_tI7is_trueIsEEEEEE10hipError_tPvRmT3_T4_T5_T6_T7_T9_mT8_P12ihipStream_tbDpT10_ENKUlT_T0_E_clISt17integral_constantIbLb1EES1B_EEDaS16_S17_EUlS16_E_NS1_11comp_targetILNS1_3genE2ELNS1_11target_archE906ELNS1_3gpuE6ELNS1_3repE0EEENS1_30default_config_static_selectorELNS0_4arch9wavefront6targetE0EEEvT1_,"axG",@progbits,_ZN7rocprim17ROCPRIM_400000_NS6detail17trampoline_kernelINS0_14default_configENS1_25partition_config_selectorILNS1_17partition_subalgoE6EsNS0_10empty_typeEbEEZZNS1_14partition_implILS5_6ELb0ES3_mN6thrust23THRUST_200600_302600_NS6detail15normal_iteratorINSA_10device_ptrIsEEEEPS6_SG_NS0_5tupleIJNSA_16discard_iteratorINSA_11use_defaultEEES6_EEENSH_IJSG_SG_EEES6_PlJNSB_9not_fun_tI7is_trueIsEEEEEE10hipError_tPvRmT3_T4_T5_T6_T7_T9_mT8_P12ihipStream_tbDpT10_ENKUlT_T0_E_clISt17integral_constantIbLb1EES1B_EEDaS16_S17_EUlS16_E_NS1_11comp_targetILNS1_3genE2ELNS1_11target_archE906ELNS1_3gpuE6ELNS1_3repE0EEENS1_30default_config_static_selectorELNS0_4arch9wavefront6targetE0EEEvT1_,comdat
.Lfunc_end2313:
	.size	_ZN7rocprim17ROCPRIM_400000_NS6detail17trampoline_kernelINS0_14default_configENS1_25partition_config_selectorILNS1_17partition_subalgoE6EsNS0_10empty_typeEbEEZZNS1_14partition_implILS5_6ELb0ES3_mN6thrust23THRUST_200600_302600_NS6detail15normal_iteratorINSA_10device_ptrIsEEEEPS6_SG_NS0_5tupleIJNSA_16discard_iteratorINSA_11use_defaultEEES6_EEENSH_IJSG_SG_EEES6_PlJNSB_9not_fun_tI7is_trueIsEEEEEE10hipError_tPvRmT3_T4_T5_T6_T7_T9_mT8_P12ihipStream_tbDpT10_ENKUlT_T0_E_clISt17integral_constantIbLb1EES1B_EEDaS16_S17_EUlS16_E_NS1_11comp_targetILNS1_3genE2ELNS1_11target_archE906ELNS1_3gpuE6ELNS1_3repE0EEENS1_30default_config_static_selectorELNS0_4arch9wavefront6targetE0EEEvT1_, .Lfunc_end2313-_ZN7rocprim17ROCPRIM_400000_NS6detail17trampoline_kernelINS0_14default_configENS1_25partition_config_selectorILNS1_17partition_subalgoE6EsNS0_10empty_typeEbEEZZNS1_14partition_implILS5_6ELb0ES3_mN6thrust23THRUST_200600_302600_NS6detail15normal_iteratorINSA_10device_ptrIsEEEEPS6_SG_NS0_5tupleIJNSA_16discard_iteratorINSA_11use_defaultEEES6_EEENSH_IJSG_SG_EEES6_PlJNSB_9not_fun_tI7is_trueIsEEEEEE10hipError_tPvRmT3_T4_T5_T6_T7_T9_mT8_P12ihipStream_tbDpT10_ENKUlT_T0_E_clISt17integral_constantIbLb1EES1B_EEDaS16_S17_EUlS16_E_NS1_11comp_targetILNS1_3genE2ELNS1_11target_archE906ELNS1_3gpuE6ELNS1_3repE0EEENS1_30default_config_static_selectorELNS0_4arch9wavefront6targetE0EEEvT1_
                                        ; -- End function
	.set _ZN7rocprim17ROCPRIM_400000_NS6detail17trampoline_kernelINS0_14default_configENS1_25partition_config_selectorILNS1_17partition_subalgoE6EsNS0_10empty_typeEbEEZZNS1_14partition_implILS5_6ELb0ES3_mN6thrust23THRUST_200600_302600_NS6detail15normal_iteratorINSA_10device_ptrIsEEEEPS6_SG_NS0_5tupleIJNSA_16discard_iteratorINSA_11use_defaultEEES6_EEENSH_IJSG_SG_EEES6_PlJNSB_9not_fun_tI7is_trueIsEEEEEE10hipError_tPvRmT3_T4_T5_T6_T7_T9_mT8_P12ihipStream_tbDpT10_ENKUlT_T0_E_clISt17integral_constantIbLb1EES1B_EEDaS16_S17_EUlS16_E_NS1_11comp_targetILNS1_3genE2ELNS1_11target_archE906ELNS1_3gpuE6ELNS1_3repE0EEENS1_30default_config_static_selectorELNS0_4arch9wavefront6targetE0EEEvT1_.num_vgpr, 0
	.set _ZN7rocprim17ROCPRIM_400000_NS6detail17trampoline_kernelINS0_14default_configENS1_25partition_config_selectorILNS1_17partition_subalgoE6EsNS0_10empty_typeEbEEZZNS1_14partition_implILS5_6ELb0ES3_mN6thrust23THRUST_200600_302600_NS6detail15normal_iteratorINSA_10device_ptrIsEEEEPS6_SG_NS0_5tupleIJNSA_16discard_iteratorINSA_11use_defaultEEES6_EEENSH_IJSG_SG_EEES6_PlJNSB_9not_fun_tI7is_trueIsEEEEEE10hipError_tPvRmT3_T4_T5_T6_T7_T9_mT8_P12ihipStream_tbDpT10_ENKUlT_T0_E_clISt17integral_constantIbLb1EES1B_EEDaS16_S17_EUlS16_E_NS1_11comp_targetILNS1_3genE2ELNS1_11target_archE906ELNS1_3gpuE6ELNS1_3repE0EEENS1_30default_config_static_selectorELNS0_4arch9wavefront6targetE0EEEvT1_.num_agpr, 0
	.set _ZN7rocprim17ROCPRIM_400000_NS6detail17trampoline_kernelINS0_14default_configENS1_25partition_config_selectorILNS1_17partition_subalgoE6EsNS0_10empty_typeEbEEZZNS1_14partition_implILS5_6ELb0ES3_mN6thrust23THRUST_200600_302600_NS6detail15normal_iteratorINSA_10device_ptrIsEEEEPS6_SG_NS0_5tupleIJNSA_16discard_iteratorINSA_11use_defaultEEES6_EEENSH_IJSG_SG_EEES6_PlJNSB_9not_fun_tI7is_trueIsEEEEEE10hipError_tPvRmT3_T4_T5_T6_T7_T9_mT8_P12ihipStream_tbDpT10_ENKUlT_T0_E_clISt17integral_constantIbLb1EES1B_EEDaS16_S17_EUlS16_E_NS1_11comp_targetILNS1_3genE2ELNS1_11target_archE906ELNS1_3gpuE6ELNS1_3repE0EEENS1_30default_config_static_selectorELNS0_4arch9wavefront6targetE0EEEvT1_.numbered_sgpr, 0
	.set _ZN7rocprim17ROCPRIM_400000_NS6detail17trampoline_kernelINS0_14default_configENS1_25partition_config_selectorILNS1_17partition_subalgoE6EsNS0_10empty_typeEbEEZZNS1_14partition_implILS5_6ELb0ES3_mN6thrust23THRUST_200600_302600_NS6detail15normal_iteratorINSA_10device_ptrIsEEEEPS6_SG_NS0_5tupleIJNSA_16discard_iteratorINSA_11use_defaultEEES6_EEENSH_IJSG_SG_EEES6_PlJNSB_9not_fun_tI7is_trueIsEEEEEE10hipError_tPvRmT3_T4_T5_T6_T7_T9_mT8_P12ihipStream_tbDpT10_ENKUlT_T0_E_clISt17integral_constantIbLb1EES1B_EEDaS16_S17_EUlS16_E_NS1_11comp_targetILNS1_3genE2ELNS1_11target_archE906ELNS1_3gpuE6ELNS1_3repE0EEENS1_30default_config_static_selectorELNS0_4arch9wavefront6targetE0EEEvT1_.num_named_barrier, 0
	.set _ZN7rocprim17ROCPRIM_400000_NS6detail17trampoline_kernelINS0_14default_configENS1_25partition_config_selectorILNS1_17partition_subalgoE6EsNS0_10empty_typeEbEEZZNS1_14partition_implILS5_6ELb0ES3_mN6thrust23THRUST_200600_302600_NS6detail15normal_iteratorINSA_10device_ptrIsEEEEPS6_SG_NS0_5tupleIJNSA_16discard_iteratorINSA_11use_defaultEEES6_EEENSH_IJSG_SG_EEES6_PlJNSB_9not_fun_tI7is_trueIsEEEEEE10hipError_tPvRmT3_T4_T5_T6_T7_T9_mT8_P12ihipStream_tbDpT10_ENKUlT_T0_E_clISt17integral_constantIbLb1EES1B_EEDaS16_S17_EUlS16_E_NS1_11comp_targetILNS1_3genE2ELNS1_11target_archE906ELNS1_3gpuE6ELNS1_3repE0EEENS1_30default_config_static_selectorELNS0_4arch9wavefront6targetE0EEEvT1_.private_seg_size, 0
	.set _ZN7rocprim17ROCPRIM_400000_NS6detail17trampoline_kernelINS0_14default_configENS1_25partition_config_selectorILNS1_17partition_subalgoE6EsNS0_10empty_typeEbEEZZNS1_14partition_implILS5_6ELb0ES3_mN6thrust23THRUST_200600_302600_NS6detail15normal_iteratorINSA_10device_ptrIsEEEEPS6_SG_NS0_5tupleIJNSA_16discard_iteratorINSA_11use_defaultEEES6_EEENSH_IJSG_SG_EEES6_PlJNSB_9not_fun_tI7is_trueIsEEEEEE10hipError_tPvRmT3_T4_T5_T6_T7_T9_mT8_P12ihipStream_tbDpT10_ENKUlT_T0_E_clISt17integral_constantIbLb1EES1B_EEDaS16_S17_EUlS16_E_NS1_11comp_targetILNS1_3genE2ELNS1_11target_archE906ELNS1_3gpuE6ELNS1_3repE0EEENS1_30default_config_static_selectorELNS0_4arch9wavefront6targetE0EEEvT1_.uses_vcc, 0
	.set _ZN7rocprim17ROCPRIM_400000_NS6detail17trampoline_kernelINS0_14default_configENS1_25partition_config_selectorILNS1_17partition_subalgoE6EsNS0_10empty_typeEbEEZZNS1_14partition_implILS5_6ELb0ES3_mN6thrust23THRUST_200600_302600_NS6detail15normal_iteratorINSA_10device_ptrIsEEEEPS6_SG_NS0_5tupleIJNSA_16discard_iteratorINSA_11use_defaultEEES6_EEENSH_IJSG_SG_EEES6_PlJNSB_9not_fun_tI7is_trueIsEEEEEE10hipError_tPvRmT3_T4_T5_T6_T7_T9_mT8_P12ihipStream_tbDpT10_ENKUlT_T0_E_clISt17integral_constantIbLb1EES1B_EEDaS16_S17_EUlS16_E_NS1_11comp_targetILNS1_3genE2ELNS1_11target_archE906ELNS1_3gpuE6ELNS1_3repE0EEENS1_30default_config_static_selectorELNS0_4arch9wavefront6targetE0EEEvT1_.uses_flat_scratch, 0
	.set _ZN7rocprim17ROCPRIM_400000_NS6detail17trampoline_kernelINS0_14default_configENS1_25partition_config_selectorILNS1_17partition_subalgoE6EsNS0_10empty_typeEbEEZZNS1_14partition_implILS5_6ELb0ES3_mN6thrust23THRUST_200600_302600_NS6detail15normal_iteratorINSA_10device_ptrIsEEEEPS6_SG_NS0_5tupleIJNSA_16discard_iteratorINSA_11use_defaultEEES6_EEENSH_IJSG_SG_EEES6_PlJNSB_9not_fun_tI7is_trueIsEEEEEE10hipError_tPvRmT3_T4_T5_T6_T7_T9_mT8_P12ihipStream_tbDpT10_ENKUlT_T0_E_clISt17integral_constantIbLb1EES1B_EEDaS16_S17_EUlS16_E_NS1_11comp_targetILNS1_3genE2ELNS1_11target_archE906ELNS1_3gpuE6ELNS1_3repE0EEENS1_30default_config_static_selectorELNS0_4arch9wavefront6targetE0EEEvT1_.has_dyn_sized_stack, 0
	.set _ZN7rocprim17ROCPRIM_400000_NS6detail17trampoline_kernelINS0_14default_configENS1_25partition_config_selectorILNS1_17partition_subalgoE6EsNS0_10empty_typeEbEEZZNS1_14partition_implILS5_6ELb0ES3_mN6thrust23THRUST_200600_302600_NS6detail15normal_iteratorINSA_10device_ptrIsEEEEPS6_SG_NS0_5tupleIJNSA_16discard_iteratorINSA_11use_defaultEEES6_EEENSH_IJSG_SG_EEES6_PlJNSB_9not_fun_tI7is_trueIsEEEEEE10hipError_tPvRmT3_T4_T5_T6_T7_T9_mT8_P12ihipStream_tbDpT10_ENKUlT_T0_E_clISt17integral_constantIbLb1EES1B_EEDaS16_S17_EUlS16_E_NS1_11comp_targetILNS1_3genE2ELNS1_11target_archE906ELNS1_3gpuE6ELNS1_3repE0EEENS1_30default_config_static_selectorELNS0_4arch9wavefront6targetE0EEEvT1_.has_recursion, 0
	.set _ZN7rocprim17ROCPRIM_400000_NS6detail17trampoline_kernelINS0_14default_configENS1_25partition_config_selectorILNS1_17partition_subalgoE6EsNS0_10empty_typeEbEEZZNS1_14partition_implILS5_6ELb0ES3_mN6thrust23THRUST_200600_302600_NS6detail15normal_iteratorINSA_10device_ptrIsEEEEPS6_SG_NS0_5tupleIJNSA_16discard_iteratorINSA_11use_defaultEEES6_EEENSH_IJSG_SG_EEES6_PlJNSB_9not_fun_tI7is_trueIsEEEEEE10hipError_tPvRmT3_T4_T5_T6_T7_T9_mT8_P12ihipStream_tbDpT10_ENKUlT_T0_E_clISt17integral_constantIbLb1EES1B_EEDaS16_S17_EUlS16_E_NS1_11comp_targetILNS1_3genE2ELNS1_11target_archE906ELNS1_3gpuE6ELNS1_3repE0EEENS1_30default_config_static_selectorELNS0_4arch9wavefront6targetE0EEEvT1_.has_indirect_call, 0
	.section	.AMDGPU.csdata,"",@progbits
; Kernel info:
; codeLenInByte = 0
; TotalNumSgprs: 0
; NumVgprs: 0
; ScratchSize: 0
; MemoryBound: 0
; FloatMode: 240
; IeeeMode: 1
; LDSByteSize: 0 bytes/workgroup (compile time only)
; SGPRBlocks: 0
; VGPRBlocks: 0
; NumSGPRsForWavesPerEU: 1
; NumVGPRsForWavesPerEU: 1
; Occupancy: 16
; WaveLimiterHint : 0
; COMPUTE_PGM_RSRC2:SCRATCH_EN: 0
; COMPUTE_PGM_RSRC2:USER_SGPR: 2
; COMPUTE_PGM_RSRC2:TRAP_HANDLER: 0
; COMPUTE_PGM_RSRC2:TGID_X_EN: 1
; COMPUTE_PGM_RSRC2:TGID_Y_EN: 0
; COMPUTE_PGM_RSRC2:TGID_Z_EN: 0
; COMPUTE_PGM_RSRC2:TIDIG_COMP_CNT: 0
	.section	.text._ZN7rocprim17ROCPRIM_400000_NS6detail17trampoline_kernelINS0_14default_configENS1_25partition_config_selectorILNS1_17partition_subalgoE6EsNS0_10empty_typeEbEEZZNS1_14partition_implILS5_6ELb0ES3_mN6thrust23THRUST_200600_302600_NS6detail15normal_iteratorINSA_10device_ptrIsEEEEPS6_SG_NS0_5tupleIJNSA_16discard_iteratorINSA_11use_defaultEEES6_EEENSH_IJSG_SG_EEES6_PlJNSB_9not_fun_tI7is_trueIsEEEEEE10hipError_tPvRmT3_T4_T5_T6_T7_T9_mT8_P12ihipStream_tbDpT10_ENKUlT_T0_E_clISt17integral_constantIbLb1EES1B_EEDaS16_S17_EUlS16_E_NS1_11comp_targetILNS1_3genE10ELNS1_11target_archE1200ELNS1_3gpuE4ELNS1_3repE0EEENS1_30default_config_static_selectorELNS0_4arch9wavefront6targetE0EEEvT1_,"axG",@progbits,_ZN7rocprim17ROCPRIM_400000_NS6detail17trampoline_kernelINS0_14default_configENS1_25partition_config_selectorILNS1_17partition_subalgoE6EsNS0_10empty_typeEbEEZZNS1_14partition_implILS5_6ELb0ES3_mN6thrust23THRUST_200600_302600_NS6detail15normal_iteratorINSA_10device_ptrIsEEEEPS6_SG_NS0_5tupleIJNSA_16discard_iteratorINSA_11use_defaultEEES6_EEENSH_IJSG_SG_EEES6_PlJNSB_9not_fun_tI7is_trueIsEEEEEE10hipError_tPvRmT3_T4_T5_T6_T7_T9_mT8_P12ihipStream_tbDpT10_ENKUlT_T0_E_clISt17integral_constantIbLb1EES1B_EEDaS16_S17_EUlS16_E_NS1_11comp_targetILNS1_3genE10ELNS1_11target_archE1200ELNS1_3gpuE4ELNS1_3repE0EEENS1_30default_config_static_selectorELNS0_4arch9wavefront6targetE0EEEvT1_,comdat
	.protected	_ZN7rocprim17ROCPRIM_400000_NS6detail17trampoline_kernelINS0_14default_configENS1_25partition_config_selectorILNS1_17partition_subalgoE6EsNS0_10empty_typeEbEEZZNS1_14partition_implILS5_6ELb0ES3_mN6thrust23THRUST_200600_302600_NS6detail15normal_iteratorINSA_10device_ptrIsEEEEPS6_SG_NS0_5tupleIJNSA_16discard_iteratorINSA_11use_defaultEEES6_EEENSH_IJSG_SG_EEES6_PlJNSB_9not_fun_tI7is_trueIsEEEEEE10hipError_tPvRmT3_T4_T5_T6_T7_T9_mT8_P12ihipStream_tbDpT10_ENKUlT_T0_E_clISt17integral_constantIbLb1EES1B_EEDaS16_S17_EUlS16_E_NS1_11comp_targetILNS1_3genE10ELNS1_11target_archE1200ELNS1_3gpuE4ELNS1_3repE0EEENS1_30default_config_static_selectorELNS0_4arch9wavefront6targetE0EEEvT1_ ; -- Begin function _ZN7rocprim17ROCPRIM_400000_NS6detail17trampoline_kernelINS0_14default_configENS1_25partition_config_selectorILNS1_17partition_subalgoE6EsNS0_10empty_typeEbEEZZNS1_14partition_implILS5_6ELb0ES3_mN6thrust23THRUST_200600_302600_NS6detail15normal_iteratorINSA_10device_ptrIsEEEEPS6_SG_NS0_5tupleIJNSA_16discard_iteratorINSA_11use_defaultEEES6_EEENSH_IJSG_SG_EEES6_PlJNSB_9not_fun_tI7is_trueIsEEEEEE10hipError_tPvRmT3_T4_T5_T6_T7_T9_mT8_P12ihipStream_tbDpT10_ENKUlT_T0_E_clISt17integral_constantIbLb1EES1B_EEDaS16_S17_EUlS16_E_NS1_11comp_targetILNS1_3genE10ELNS1_11target_archE1200ELNS1_3gpuE4ELNS1_3repE0EEENS1_30default_config_static_selectorELNS0_4arch9wavefront6targetE0EEEvT1_
	.globl	_ZN7rocprim17ROCPRIM_400000_NS6detail17trampoline_kernelINS0_14default_configENS1_25partition_config_selectorILNS1_17partition_subalgoE6EsNS0_10empty_typeEbEEZZNS1_14partition_implILS5_6ELb0ES3_mN6thrust23THRUST_200600_302600_NS6detail15normal_iteratorINSA_10device_ptrIsEEEEPS6_SG_NS0_5tupleIJNSA_16discard_iteratorINSA_11use_defaultEEES6_EEENSH_IJSG_SG_EEES6_PlJNSB_9not_fun_tI7is_trueIsEEEEEE10hipError_tPvRmT3_T4_T5_T6_T7_T9_mT8_P12ihipStream_tbDpT10_ENKUlT_T0_E_clISt17integral_constantIbLb1EES1B_EEDaS16_S17_EUlS16_E_NS1_11comp_targetILNS1_3genE10ELNS1_11target_archE1200ELNS1_3gpuE4ELNS1_3repE0EEENS1_30default_config_static_selectorELNS0_4arch9wavefront6targetE0EEEvT1_
	.p2align	8
	.type	_ZN7rocprim17ROCPRIM_400000_NS6detail17trampoline_kernelINS0_14default_configENS1_25partition_config_selectorILNS1_17partition_subalgoE6EsNS0_10empty_typeEbEEZZNS1_14partition_implILS5_6ELb0ES3_mN6thrust23THRUST_200600_302600_NS6detail15normal_iteratorINSA_10device_ptrIsEEEEPS6_SG_NS0_5tupleIJNSA_16discard_iteratorINSA_11use_defaultEEES6_EEENSH_IJSG_SG_EEES6_PlJNSB_9not_fun_tI7is_trueIsEEEEEE10hipError_tPvRmT3_T4_T5_T6_T7_T9_mT8_P12ihipStream_tbDpT10_ENKUlT_T0_E_clISt17integral_constantIbLb1EES1B_EEDaS16_S17_EUlS16_E_NS1_11comp_targetILNS1_3genE10ELNS1_11target_archE1200ELNS1_3gpuE4ELNS1_3repE0EEENS1_30default_config_static_selectorELNS0_4arch9wavefront6targetE0EEEvT1_,@function
_ZN7rocprim17ROCPRIM_400000_NS6detail17trampoline_kernelINS0_14default_configENS1_25partition_config_selectorILNS1_17partition_subalgoE6EsNS0_10empty_typeEbEEZZNS1_14partition_implILS5_6ELb0ES3_mN6thrust23THRUST_200600_302600_NS6detail15normal_iteratorINSA_10device_ptrIsEEEEPS6_SG_NS0_5tupleIJNSA_16discard_iteratorINSA_11use_defaultEEES6_EEENSH_IJSG_SG_EEES6_PlJNSB_9not_fun_tI7is_trueIsEEEEEE10hipError_tPvRmT3_T4_T5_T6_T7_T9_mT8_P12ihipStream_tbDpT10_ENKUlT_T0_E_clISt17integral_constantIbLb1EES1B_EEDaS16_S17_EUlS16_E_NS1_11comp_targetILNS1_3genE10ELNS1_11target_archE1200ELNS1_3gpuE4ELNS1_3repE0EEENS1_30default_config_static_selectorELNS0_4arch9wavefront6targetE0EEEvT1_: ; @_ZN7rocprim17ROCPRIM_400000_NS6detail17trampoline_kernelINS0_14default_configENS1_25partition_config_selectorILNS1_17partition_subalgoE6EsNS0_10empty_typeEbEEZZNS1_14partition_implILS5_6ELb0ES3_mN6thrust23THRUST_200600_302600_NS6detail15normal_iteratorINSA_10device_ptrIsEEEEPS6_SG_NS0_5tupleIJNSA_16discard_iteratorINSA_11use_defaultEEES6_EEENSH_IJSG_SG_EEES6_PlJNSB_9not_fun_tI7is_trueIsEEEEEE10hipError_tPvRmT3_T4_T5_T6_T7_T9_mT8_P12ihipStream_tbDpT10_ENKUlT_T0_E_clISt17integral_constantIbLb1EES1B_EEDaS16_S17_EUlS16_E_NS1_11comp_targetILNS1_3genE10ELNS1_11target_archE1200ELNS1_3gpuE4ELNS1_3repE0EEENS1_30default_config_static_selectorELNS0_4arch9wavefront6targetE0EEEvT1_
; %bb.0:
	s_endpgm
	.section	.rodata,"a",@progbits
	.p2align	6, 0x0
	.amdhsa_kernel _ZN7rocprim17ROCPRIM_400000_NS6detail17trampoline_kernelINS0_14default_configENS1_25partition_config_selectorILNS1_17partition_subalgoE6EsNS0_10empty_typeEbEEZZNS1_14partition_implILS5_6ELb0ES3_mN6thrust23THRUST_200600_302600_NS6detail15normal_iteratorINSA_10device_ptrIsEEEEPS6_SG_NS0_5tupleIJNSA_16discard_iteratorINSA_11use_defaultEEES6_EEENSH_IJSG_SG_EEES6_PlJNSB_9not_fun_tI7is_trueIsEEEEEE10hipError_tPvRmT3_T4_T5_T6_T7_T9_mT8_P12ihipStream_tbDpT10_ENKUlT_T0_E_clISt17integral_constantIbLb1EES1B_EEDaS16_S17_EUlS16_E_NS1_11comp_targetILNS1_3genE10ELNS1_11target_archE1200ELNS1_3gpuE4ELNS1_3repE0EEENS1_30default_config_static_selectorELNS0_4arch9wavefront6targetE0EEEvT1_
		.amdhsa_group_segment_fixed_size 0
		.amdhsa_private_segment_fixed_size 0
		.amdhsa_kernarg_size 136
		.amdhsa_user_sgpr_count 2
		.amdhsa_user_sgpr_dispatch_ptr 0
		.amdhsa_user_sgpr_queue_ptr 0
		.amdhsa_user_sgpr_kernarg_segment_ptr 1
		.amdhsa_user_sgpr_dispatch_id 0
		.amdhsa_user_sgpr_private_segment_size 0
		.amdhsa_wavefront_size32 1
		.amdhsa_uses_dynamic_stack 0
		.amdhsa_enable_private_segment 0
		.amdhsa_system_sgpr_workgroup_id_x 1
		.amdhsa_system_sgpr_workgroup_id_y 0
		.amdhsa_system_sgpr_workgroup_id_z 0
		.amdhsa_system_sgpr_workgroup_info 0
		.amdhsa_system_vgpr_workitem_id 0
		.amdhsa_next_free_vgpr 1
		.amdhsa_next_free_sgpr 1
		.amdhsa_reserve_vcc 0
		.amdhsa_float_round_mode_32 0
		.amdhsa_float_round_mode_16_64 0
		.amdhsa_float_denorm_mode_32 3
		.amdhsa_float_denorm_mode_16_64 3
		.amdhsa_fp16_overflow 0
		.amdhsa_workgroup_processor_mode 1
		.amdhsa_memory_ordered 1
		.amdhsa_forward_progress 1
		.amdhsa_inst_pref_size 1
		.amdhsa_round_robin_scheduling 0
		.amdhsa_exception_fp_ieee_invalid_op 0
		.amdhsa_exception_fp_denorm_src 0
		.amdhsa_exception_fp_ieee_div_zero 0
		.amdhsa_exception_fp_ieee_overflow 0
		.amdhsa_exception_fp_ieee_underflow 0
		.amdhsa_exception_fp_ieee_inexact 0
		.amdhsa_exception_int_div_zero 0
	.end_amdhsa_kernel
	.section	.text._ZN7rocprim17ROCPRIM_400000_NS6detail17trampoline_kernelINS0_14default_configENS1_25partition_config_selectorILNS1_17partition_subalgoE6EsNS0_10empty_typeEbEEZZNS1_14partition_implILS5_6ELb0ES3_mN6thrust23THRUST_200600_302600_NS6detail15normal_iteratorINSA_10device_ptrIsEEEEPS6_SG_NS0_5tupleIJNSA_16discard_iteratorINSA_11use_defaultEEES6_EEENSH_IJSG_SG_EEES6_PlJNSB_9not_fun_tI7is_trueIsEEEEEE10hipError_tPvRmT3_T4_T5_T6_T7_T9_mT8_P12ihipStream_tbDpT10_ENKUlT_T0_E_clISt17integral_constantIbLb1EES1B_EEDaS16_S17_EUlS16_E_NS1_11comp_targetILNS1_3genE10ELNS1_11target_archE1200ELNS1_3gpuE4ELNS1_3repE0EEENS1_30default_config_static_selectorELNS0_4arch9wavefront6targetE0EEEvT1_,"axG",@progbits,_ZN7rocprim17ROCPRIM_400000_NS6detail17trampoline_kernelINS0_14default_configENS1_25partition_config_selectorILNS1_17partition_subalgoE6EsNS0_10empty_typeEbEEZZNS1_14partition_implILS5_6ELb0ES3_mN6thrust23THRUST_200600_302600_NS6detail15normal_iteratorINSA_10device_ptrIsEEEEPS6_SG_NS0_5tupleIJNSA_16discard_iteratorINSA_11use_defaultEEES6_EEENSH_IJSG_SG_EEES6_PlJNSB_9not_fun_tI7is_trueIsEEEEEE10hipError_tPvRmT3_T4_T5_T6_T7_T9_mT8_P12ihipStream_tbDpT10_ENKUlT_T0_E_clISt17integral_constantIbLb1EES1B_EEDaS16_S17_EUlS16_E_NS1_11comp_targetILNS1_3genE10ELNS1_11target_archE1200ELNS1_3gpuE4ELNS1_3repE0EEENS1_30default_config_static_selectorELNS0_4arch9wavefront6targetE0EEEvT1_,comdat
.Lfunc_end2314:
	.size	_ZN7rocprim17ROCPRIM_400000_NS6detail17trampoline_kernelINS0_14default_configENS1_25partition_config_selectorILNS1_17partition_subalgoE6EsNS0_10empty_typeEbEEZZNS1_14partition_implILS5_6ELb0ES3_mN6thrust23THRUST_200600_302600_NS6detail15normal_iteratorINSA_10device_ptrIsEEEEPS6_SG_NS0_5tupleIJNSA_16discard_iteratorINSA_11use_defaultEEES6_EEENSH_IJSG_SG_EEES6_PlJNSB_9not_fun_tI7is_trueIsEEEEEE10hipError_tPvRmT3_T4_T5_T6_T7_T9_mT8_P12ihipStream_tbDpT10_ENKUlT_T0_E_clISt17integral_constantIbLb1EES1B_EEDaS16_S17_EUlS16_E_NS1_11comp_targetILNS1_3genE10ELNS1_11target_archE1200ELNS1_3gpuE4ELNS1_3repE0EEENS1_30default_config_static_selectorELNS0_4arch9wavefront6targetE0EEEvT1_, .Lfunc_end2314-_ZN7rocprim17ROCPRIM_400000_NS6detail17trampoline_kernelINS0_14default_configENS1_25partition_config_selectorILNS1_17partition_subalgoE6EsNS0_10empty_typeEbEEZZNS1_14partition_implILS5_6ELb0ES3_mN6thrust23THRUST_200600_302600_NS6detail15normal_iteratorINSA_10device_ptrIsEEEEPS6_SG_NS0_5tupleIJNSA_16discard_iteratorINSA_11use_defaultEEES6_EEENSH_IJSG_SG_EEES6_PlJNSB_9not_fun_tI7is_trueIsEEEEEE10hipError_tPvRmT3_T4_T5_T6_T7_T9_mT8_P12ihipStream_tbDpT10_ENKUlT_T0_E_clISt17integral_constantIbLb1EES1B_EEDaS16_S17_EUlS16_E_NS1_11comp_targetILNS1_3genE10ELNS1_11target_archE1200ELNS1_3gpuE4ELNS1_3repE0EEENS1_30default_config_static_selectorELNS0_4arch9wavefront6targetE0EEEvT1_
                                        ; -- End function
	.set _ZN7rocprim17ROCPRIM_400000_NS6detail17trampoline_kernelINS0_14default_configENS1_25partition_config_selectorILNS1_17partition_subalgoE6EsNS0_10empty_typeEbEEZZNS1_14partition_implILS5_6ELb0ES3_mN6thrust23THRUST_200600_302600_NS6detail15normal_iteratorINSA_10device_ptrIsEEEEPS6_SG_NS0_5tupleIJNSA_16discard_iteratorINSA_11use_defaultEEES6_EEENSH_IJSG_SG_EEES6_PlJNSB_9not_fun_tI7is_trueIsEEEEEE10hipError_tPvRmT3_T4_T5_T6_T7_T9_mT8_P12ihipStream_tbDpT10_ENKUlT_T0_E_clISt17integral_constantIbLb1EES1B_EEDaS16_S17_EUlS16_E_NS1_11comp_targetILNS1_3genE10ELNS1_11target_archE1200ELNS1_3gpuE4ELNS1_3repE0EEENS1_30default_config_static_selectorELNS0_4arch9wavefront6targetE0EEEvT1_.num_vgpr, 0
	.set _ZN7rocprim17ROCPRIM_400000_NS6detail17trampoline_kernelINS0_14default_configENS1_25partition_config_selectorILNS1_17partition_subalgoE6EsNS0_10empty_typeEbEEZZNS1_14partition_implILS5_6ELb0ES3_mN6thrust23THRUST_200600_302600_NS6detail15normal_iteratorINSA_10device_ptrIsEEEEPS6_SG_NS0_5tupleIJNSA_16discard_iteratorINSA_11use_defaultEEES6_EEENSH_IJSG_SG_EEES6_PlJNSB_9not_fun_tI7is_trueIsEEEEEE10hipError_tPvRmT3_T4_T5_T6_T7_T9_mT8_P12ihipStream_tbDpT10_ENKUlT_T0_E_clISt17integral_constantIbLb1EES1B_EEDaS16_S17_EUlS16_E_NS1_11comp_targetILNS1_3genE10ELNS1_11target_archE1200ELNS1_3gpuE4ELNS1_3repE0EEENS1_30default_config_static_selectorELNS0_4arch9wavefront6targetE0EEEvT1_.num_agpr, 0
	.set _ZN7rocprim17ROCPRIM_400000_NS6detail17trampoline_kernelINS0_14default_configENS1_25partition_config_selectorILNS1_17partition_subalgoE6EsNS0_10empty_typeEbEEZZNS1_14partition_implILS5_6ELb0ES3_mN6thrust23THRUST_200600_302600_NS6detail15normal_iteratorINSA_10device_ptrIsEEEEPS6_SG_NS0_5tupleIJNSA_16discard_iteratorINSA_11use_defaultEEES6_EEENSH_IJSG_SG_EEES6_PlJNSB_9not_fun_tI7is_trueIsEEEEEE10hipError_tPvRmT3_T4_T5_T6_T7_T9_mT8_P12ihipStream_tbDpT10_ENKUlT_T0_E_clISt17integral_constantIbLb1EES1B_EEDaS16_S17_EUlS16_E_NS1_11comp_targetILNS1_3genE10ELNS1_11target_archE1200ELNS1_3gpuE4ELNS1_3repE0EEENS1_30default_config_static_selectorELNS0_4arch9wavefront6targetE0EEEvT1_.numbered_sgpr, 0
	.set _ZN7rocprim17ROCPRIM_400000_NS6detail17trampoline_kernelINS0_14default_configENS1_25partition_config_selectorILNS1_17partition_subalgoE6EsNS0_10empty_typeEbEEZZNS1_14partition_implILS5_6ELb0ES3_mN6thrust23THRUST_200600_302600_NS6detail15normal_iteratorINSA_10device_ptrIsEEEEPS6_SG_NS0_5tupleIJNSA_16discard_iteratorINSA_11use_defaultEEES6_EEENSH_IJSG_SG_EEES6_PlJNSB_9not_fun_tI7is_trueIsEEEEEE10hipError_tPvRmT3_T4_T5_T6_T7_T9_mT8_P12ihipStream_tbDpT10_ENKUlT_T0_E_clISt17integral_constantIbLb1EES1B_EEDaS16_S17_EUlS16_E_NS1_11comp_targetILNS1_3genE10ELNS1_11target_archE1200ELNS1_3gpuE4ELNS1_3repE0EEENS1_30default_config_static_selectorELNS0_4arch9wavefront6targetE0EEEvT1_.num_named_barrier, 0
	.set _ZN7rocprim17ROCPRIM_400000_NS6detail17trampoline_kernelINS0_14default_configENS1_25partition_config_selectorILNS1_17partition_subalgoE6EsNS0_10empty_typeEbEEZZNS1_14partition_implILS5_6ELb0ES3_mN6thrust23THRUST_200600_302600_NS6detail15normal_iteratorINSA_10device_ptrIsEEEEPS6_SG_NS0_5tupleIJNSA_16discard_iteratorINSA_11use_defaultEEES6_EEENSH_IJSG_SG_EEES6_PlJNSB_9not_fun_tI7is_trueIsEEEEEE10hipError_tPvRmT3_T4_T5_T6_T7_T9_mT8_P12ihipStream_tbDpT10_ENKUlT_T0_E_clISt17integral_constantIbLb1EES1B_EEDaS16_S17_EUlS16_E_NS1_11comp_targetILNS1_3genE10ELNS1_11target_archE1200ELNS1_3gpuE4ELNS1_3repE0EEENS1_30default_config_static_selectorELNS0_4arch9wavefront6targetE0EEEvT1_.private_seg_size, 0
	.set _ZN7rocprim17ROCPRIM_400000_NS6detail17trampoline_kernelINS0_14default_configENS1_25partition_config_selectorILNS1_17partition_subalgoE6EsNS0_10empty_typeEbEEZZNS1_14partition_implILS5_6ELb0ES3_mN6thrust23THRUST_200600_302600_NS6detail15normal_iteratorINSA_10device_ptrIsEEEEPS6_SG_NS0_5tupleIJNSA_16discard_iteratorINSA_11use_defaultEEES6_EEENSH_IJSG_SG_EEES6_PlJNSB_9not_fun_tI7is_trueIsEEEEEE10hipError_tPvRmT3_T4_T5_T6_T7_T9_mT8_P12ihipStream_tbDpT10_ENKUlT_T0_E_clISt17integral_constantIbLb1EES1B_EEDaS16_S17_EUlS16_E_NS1_11comp_targetILNS1_3genE10ELNS1_11target_archE1200ELNS1_3gpuE4ELNS1_3repE0EEENS1_30default_config_static_selectorELNS0_4arch9wavefront6targetE0EEEvT1_.uses_vcc, 0
	.set _ZN7rocprim17ROCPRIM_400000_NS6detail17trampoline_kernelINS0_14default_configENS1_25partition_config_selectorILNS1_17partition_subalgoE6EsNS0_10empty_typeEbEEZZNS1_14partition_implILS5_6ELb0ES3_mN6thrust23THRUST_200600_302600_NS6detail15normal_iteratorINSA_10device_ptrIsEEEEPS6_SG_NS0_5tupleIJNSA_16discard_iteratorINSA_11use_defaultEEES6_EEENSH_IJSG_SG_EEES6_PlJNSB_9not_fun_tI7is_trueIsEEEEEE10hipError_tPvRmT3_T4_T5_T6_T7_T9_mT8_P12ihipStream_tbDpT10_ENKUlT_T0_E_clISt17integral_constantIbLb1EES1B_EEDaS16_S17_EUlS16_E_NS1_11comp_targetILNS1_3genE10ELNS1_11target_archE1200ELNS1_3gpuE4ELNS1_3repE0EEENS1_30default_config_static_selectorELNS0_4arch9wavefront6targetE0EEEvT1_.uses_flat_scratch, 0
	.set _ZN7rocprim17ROCPRIM_400000_NS6detail17trampoline_kernelINS0_14default_configENS1_25partition_config_selectorILNS1_17partition_subalgoE6EsNS0_10empty_typeEbEEZZNS1_14partition_implILS5_6ELb0ES3_mN6thrust23THRUST_200600_302600_NS6detail15normal_iteratorINSA_10device_ptrIsEEEEPS6_SG_NS0_5tupleIJNSA_16discard_iteratorINSA_11use_defaultEEES6_EEENSH_IJSG_SG_EEES6_PlJNSB_9not_fun_tI7is_trueIsEEEEEE10hipError_tPvRmT3_T4_T5_T6_T7_T9_mT8_P12ihipStream_tbDpT10_ENKUlT_T0_E_clISt17integral_constantIbLb1EES1B_EEDaS16_S17_EUlS16_E_NS1_11comp_targetILNS1_3genE10ELNS1_11target_archE1200ELNS1_3gpuE4ELNS1_3repE0EEENS1_30default_config_static_selectorELNS0_4arch9wavefront6targetE0EEEvT1_.has_dyn_sized_stack, 0
	.set _ZN7rocprim17ROCPRIM_400000_NS6detail17trampoline_kernelINS0_14default_configENS1_25partition_config_selectorILNS1_17partition_subalgoE6EsNS0_10empty_typeEbEEZZNS1_14partition_implILS5_6ELb0ES3_mN6thrust23THRUST_200600_302600_NS6detail15normal_iteratorINSA_10device_ptrIsEEEEPS6_SG_NS0_5tupleIJNSA_16discard_iteratorINSA_11use_defaultEEES6_EEENSH_IJSG_SG_EEES6_PlJNSB_9not_fun_tI7is_trueIsEEEEEE10hipError_tPvRmT3_T4_T5_T6_T7_T9_mT8_P12ihipStream_tbDpT10_ENKUlT_T0_E_clISt17integral_constantIbLb1EES1B_EEDaS16_S17_EUlS16_E_NS1_11comp_targetILNS1_3genE10ELNS1_11target_archE1200ELNS1_3gpuE4ELNS1_3repE0EEENS1_30default_config_static_selectorELNS0_4arch9wavefront6targetE0EEEvT1_.has_recursion, 0
	.set _ZN7rocprim17ROCPRIM_400000_NS6detail17trampoline_kernelINS0_14default_configENS1_25partition_config_selectorILNS1_17partition_subalgoE6EsNS0_10empty_typeEbEEZZNS1_14partition_implILS5_6ELb0ES3_mN6thrust23THRUST_200600_302600_NS6detail15normal_iteratorINSA_10device_ptrIsEEEEPS6_SG_NS0_5tupleIJNSA_16discard_iteratorINSA_11use_defaultEEES6_EEENSH_IJSG_SG_EEES6_PlJNSB_9not_fun_tI7is_trueIsEEEEEE10hipError_tPvRmT3_T4_T5_T6_T7_T9_mT8_P12ihipStream_tbDpT10_ENKUlT_T0_E_clISt17integral_constantIbLb1EES1B_EEDaS16_S17_EUlS16_E_NS1_11comp_targetILNS1_3genE10ELNS1_11target_archE1200ELNS1_3gpuE4ELNS1_3repE0EEENS1_30default_config_static_selectorELNS0_4arch9wavefront6targetE0EEEvT1_.has_indirect_call, 0
	.section	.AMDGPU.csdata,"",@progbits
; Kernel info:
; codeLenInByte = 4
; TotalNumSgprs: 0
; NumVgprs: 0
; ScratchSize: 0
; MemoryBound: 0
; FloatMode: 240
; IeeeMode: 1
; LDSByteSize: 0 bytes/workgroup (compile time only)
; SGPRBlocks: 0
; VGPRBlocks: 0
; NumSGPRsForWavesPerEU: 1
; NumVGPRsForWavesPerEU: 1
; Occupancy: 16
; WaveLimiterHint : 0
; COMPUTE_PGM_RSRC2:SCRATCH_EN: 0
; COMPUTE_PGM_RSRC2:USER_SGPR: 2
; COMPUTE_PGM_RSRC2:TRAP_HANDLER: 0
; COMPUTE_PGM_RSRC2:TGID_X_EN: 1
; COMPUTE_PGM_RSRC2:TGID_Y_EN: 0
; COMPUTE_PGM_RSRC2:TGID_Z_EN: 0
; COMPUTE_PGM_RSRC2:TIDIG_COMP_CNT: 0
	.section	.text._ZN7rocprim17ROCPRIM_400000_NS6detail17trampoline_kernelINS0_14default_configENS1_25partition_config_selectorILNS1_17partition_subalgoE6EsNS0_10empty_typeEbEEZZNS1_14partition_implILS5_6ELb0ES3_mN6thrust23THRUST_200600_302600_NS6detail15normal_iteratorINSA_10device_ptrIsEEEEPS6_SG_NS0_5tupleIJNSA_16discard_iteratorINSA_11use_defaultEEES6_EEENSH_IJSG_SG_EEES6_PlJNSB_9not_fun_tI7is_trueIsEEEEEE10hipError_tPvRmT3_T4_T5_T6_T7_T9_mT8_P12ihipStream_tbDpT10_ENKUlT_T0_E_clISt17integral_constantIbLb1EES1B_EEDaS16_S17_EUlS16_E_NS1_11comp_targetILNS1_3genE9ELNS1_11target_archE1100ELNS1_3gpuE3ELNS1_3repE0EEENS1_30default_config_static_selectorELNS0_4arch9wavefront6targetE0EEEvT1_,"axG",@progbits,_ZN7rocprim17ROCPRIM_400000_NS6detail17trampoline_kernelINS0_14default_configENS1_25partition_config_selectorILNS1_17partition_subalgoE6EsNS0_10empty_typeEbEEZZNS1_14partition_implILS5_6ELb0ES3_mN6thrust23THRUST_200600_302600_NS6detail15normal_iteratorINSA_10device_ptrIsEEEEPS6_SG_NS0_5tupleIJNSA_16discard_iteratorINSA_11use_defaultEEES6_EEENSH_IJSG_SG_EEES6_PlJNSB_9not_fun_tI7is_trueIsEEEEEE10hipError_tPvRmT3_T4_T5_T6_T7_T9_mT8_P12ihipStream_tbDpT10_ENKUlT_T0_E_clISt17integral_constantIbLb1EES1B_EEDaS16_S17_EUlS16_E_NS1_11comp_targetILNS1_3genE9ELNS1_11target_archE1100ELNS1_3gpuE3ELNS1_3repE0EEENS1_30default_config_static_selectorELNS0_4arch9wavefront6targetE0EEEvT1_,comdat
	.protected	_ZN7rocprim17ROCPRIM_400000_NS6detail17trampoline_kernelINS0_14default_configENS1_25partition_config_selectorILNS1_17partition_subalgoE6EsNS0_10empty_typeEbEEZZNS1_14partition_implILS5_6ELb0ES3_mN6thrust23THRUST_200600_302600_NS6detail15normal_iteratorINSA_10device_ptrIsEEEEPS6_SG_NS0_5tupleIJNSA_16discard_iteratorINSA_11use_defaultEEES6_EEENSH_IJSG_SG_EEES6_PlJNSB_9not_fun_tI7is_trueIsEEEEEE10hipError_tPvRmT3_T4_T5_T6_T7_T9_mT8_P12ihipStream_tbDpT10_ENKUlT_T0_E_clISt17integral_constantIbLb1EES1B_EEDaS16_S17_EUlS16_E_NS1_11comp_targetILNS1_3genE9ELNS1_11target_archE1100ELNS1_3gpuE3ELNS1_3repE0EEENS1_30default_config_static_selectorELNS0_4arch9wavefront6targetE0EEEvT1_ ; -- Begin function _ZN7rocprim17ROCPRIM_400000_NS6detail17trampoline_kernelINS0_14default_configENS1_25partition_config_selectorILNS1_17partition_subalgoE6EsNS0_10empty_typeEbEEZZNS1_14partition_implILS5_6ELb0ES3_mN6thrust23THRUST_200600_302600_NS6detail15normal_iteratorINSA_10device_ptrIsEEEEPS6_SG_NS0_5tupleIJNSA_16discard_iteratorINSA_11use_defaultEEES6_EEENSH_IJSG_SG_EEES6_PlJNSB_9not_fun_tI7is_trueIsEEEEEE10hipError_tPvRmT3_T4_T5_T6_T7_T9_mT8_P12ihipStream_tbDpT10_ENKUlT_T0_E_clISt17integral_constantIbLb1EES1B_EEDaS16_S17_EUlS16_E_NS1_11comp_targetILNS1_3genE9ELNS1_11target_archE1100ELNS1_3gpuE3ELNS1_3repE0EEENS1_30default_config_static_selectorELNS0_4arch9wavefront6targetE0EEEvT1_
	.globl	_ZN7rocprim17ROCPRIM_400000_NS6detail17trampoline_kernelINS0_14default_configENS1_25partition_config_selectorILNS1_17partition_subalgoE6EsNS0_10empty_typeEbEEZZNS1_14partition_implILS5_6ELb0ES3_mN6thrust23THRUST_200600_302600_NS6detail15normal_iteratorINSA_10device_ptrIsEEEEPS6_SG_NS0_5tupleIJNSA_16discard_iteratorINSA_11use_defaultEEES6_EEENSH_IJSG_SG_EEES6_PlJNSB_9not_fun_tI7is_trueIsEEEEEE10hipError_tPvRmT3_T4_T5_T6_T7_T9_mT8_P12ihipStream_tbDpT10_ENKUlT_T0_E_clISt17integral_constantIbLb1EES1B_EEDaS16_S17_EUlS16_E_NS1_11comp_targetILNS1_3genE9ELNS1_11target_archE1100ELNS1_3gpuE3ELNS1_3repE0EEENS1_30default_config_static_selectorELNS0_4arch9wavefront6targetE0EEEvT1_
	.p2align	8
	.type	_ZN7rocprim17ROCPRIM_400000_NS6detail17trampoline_kernelINS0_14default_configENS1_25partition_config_selectorILNS1_17partition_subalgoE6EsNS0_10empty_typeEbEEZZNS1_14partition_implILS5_6ELb0ES3_mN6thrust23THRUST_200600_302600_NS6detail15normal_iteratorINSA_10device_ptrIsEEEEPS6_SG_NS0_5tupleIJNSA_16discard_iteratorINSA_11use_defaultEEES6_EEENSH_IJSG_SG_EEES6_PlJNSB_9not_fun_tI7is_trueIsEEEEEE10hipError_tPvRmT3_T4_T5_T6_T7_T9_mT8_P12ihipStream_tbDpT10_ENKUlT_T0_E_clISt17integral_constantIbLb1EES1B_EEDaS16_S17_EUlS16_E_NS1_11comp_targetILNS1_3genE9ELNS1_11target_archE1100ELNS1_3gpuE3ELNS1_3repE0EEENS1_30default_config_static_selectorELNS0_4arch9wavefront6targetE0EEEvT1_,@function
_ZN7rocprim17ROCPRIM_400000_NS6detail17trampoline_kernelINS0_14default_configENS1_25partition_config_selectorILNS1_17partition_subalgoE6EsNS0_10empty_typeEbEEZZNS1_14partition_implILS5_6ELb0ES3_mN6thrust23THRUST_200600_302600_NS6detail15normal_iteratorINSA_10device_ptrIsEEEEPS6_SG_NS0_5tupleIJNSA_16discard_iteratorINSA_11use_defaultEEES6_EEENSH_IJSG_SG_EEES6_PlJNSB_9not_fun_tI7is_trueIsEEEEEE10hipError_tPvRmT3_T4_T5_T6_T7_T9_mT8_P12ihipStream_tbDpT10_ENKUlT_T0_E_clISt17integral_constantIbLb1EES1B_EEDaS16_S17_EUlS16_E_NS1_11comp_targetILNS1_3genE9ELNS1_11target_archE1100ELNS1_3gpuE3ELNS1_3repE0EEENS1_30default_config_static_selectorELNS0_4arch9wavefront6targetE0EEEvT1_: ; @_ZN7rocprim17ROCPRIM_400000_NS6detail17trampoline_kernelINS0_14default_configENS1_25partition_config_selectorILNS1_17partition_subalgoE6EsNS0_10empty_typeEbEEZZNS1_14partition_implILS5_6ELb0ES3_mN6thrust23THRUST_200600_302600_NS6detail15normal_iteratorINSA_10device_ptrIsEEEEPS6_SG_NS0_5tupleIJNSA_16discard_iteratorINSA_11use_defaultEEES6_EEENSH_IJSG_SG_EEES6_PlJNSB_9not_fun_tI7is_trueIsEEEEEE10hipError_tPvRmT3_T4_T5_T6_T7_T9_mT8_P12ihipStream_tbDpT10_ENKUlT_T0_E_clISt17integral_constantIbLb1EES1B_EEDaS16_S17_EUlS16_E_NS1_11comp_targetILNS1_3genE9ELNS1_11target_archE1100ELNS1_3gpuE3ELNS1_3repE0EEENS1_30default_config_static_selectorELNS0_4arch9wavefront6targetE0EEEvT1_
; %bb.0:
	.section	.rodata,"a",@progbits
	.p2align	6, 0x0
	.amdhsa_kernel _ZN7rocprim17ROCPRIM_400000_NS6detail17trampoline_kernelINS0_14default_configENS1_25partition_config_selectorILNS1_17partition_subalgoE6EsNS0_10empty_typeEbEEZZNS1_14partition_implILS5_6ELb0ES3_mN6thrust23THRUST_200600_302600_NS6detail15normal_iteratorINSA_10device_ptrIsEEEEPS6_SG_NS0_5tupleIJNSA_16discard_iteratorINSA_11use_defaultEEES6_EEENSH_IJSG_SG_EEES6_PlJNSB_9not_fun_tI7is_trueIsEEEEEE10hipError_tPvRmT3_T4_T5_T6_T7_T9_mT8_P12ihipStream_tbDpT10_ENKUlT_T0_E_clISt17integral_constantIbLb1EES1B_EEDaS16_S17_EUlS16_E_NS1_11comp_targetILNS1_3genE9ELNS1_11target_archE1100ELNS1_3gpuE3ELNS1_3repE0EEENS1_30default_config_static_selectorELNS0_4arch9wavefront6targetE0EEEvT1_
		.amdhsa_group_segment_fixed_size 0
		.amdhsa_private_segment_fixed_size 0
		.amdhsa_kernarg_size 136
		.amdhsa_user_sgpr_count 2
		.amdhsa_user_sgpr_dispatch_ptr 0
		.amdhsa_user_sgpr_queue_ptr 0
		.amdhsa_user_sgpr_kernarg_segment_ptr 1
		.amdhsa_user_sgpr_dispatch_id 0
		.amdhsa_user_sgpr_private_segment_size 0
		.amdhsa_wavefront_size32 1
		.amdhsa_uses_dynamic_stack 0
		.amdhsa_enable_private_segment 0
		.amdhsa_system_sgpr_workgroup_id_x 1
		.amdhsa_system_sgpr_workgroup_id_y 0
		.amdhsa_system_sgpr_workgroup_id_z 0
		.amdhsa_system_sgpr_workgroup_info 0
		.amdhsa_system_vgpr_workitem_id 0
		.amdhsa_next_free_vgpr 1
		.amdhsa_next_free_sgpr 1
		.amdhsa_reserve_vcc 0
		.amdhsa_float_round_mode_32 0
		.amdhsa_float_round_mode_16_64 0
		.amdhsa_float_denorm_mode_32 3
		.amdhsa_float_denorm_mode_16_64 3
		.amdhsa_fp16_overflow 0
		.amdhsa_workgroup_processor_mode 1
		.amdhsa_memory_ordered 1
		.amdhsa_forward_progress 1
		.amdhsa_inst_pref_size 0
		.amdhsa_round_robin_scheduling 0
		.amdhsa_exception_fp_ieee_invalid_op 0
		.amdhsa_exception_fp_denorm_src 0
		.amdhsa_exception_fp_ieee_div_zero 0
		.amdhsa_exception_fp_ieee_overflow 0
		.amdhsa_exception_fp_ieee_underflow 0
		.amdhsa_exception_fp_ieee_inexact 0
		.amdhsa_exception_int_div_zero 0
	.end_amdhsa_kernel
	.section	.text._ZN7rocprim17ROCPRIM_400000_NS6detail17trampoline_kernelINS0_14default_configENS1_25partition_config_selectorILNS1_17partition_subalgoE6EsNS0_10empty_typeEbEEZZNS1_14partition_implILS5_6ELb0ES3_mN6thrust23THRUST_200600_302600_NS6detail15normal_iteratorINSA_10device_ptrIsEEEEPS6_SG_NS0_5tupleIJNSA_16discard_iteratorINSA_11use_defaultEEES6_EEENSH_IJSG_SG_EEES6_PlJNSB_9not_fun_tI7is_trueIsEEEEEE10hipError_tPvRmT3_T4_T5_T6_T7_T9_mT8_P12ihipStream_tbDpT10_ENKUlT_T0_E_clISt17integral_constantIbLb1EES1B_EEDaS16_S17_EUlS16_E_NS1_11comp_targetILNS1_3genE9ELNS1_11target_archE1100ELNS1_3gpuE3ELNS1_3repE0EEENS1_30default_config_static_selectorELNS0_4arch9wavefront6targetE0EEEvT1_,"axG",@progbits,_ZN7rocprim17ROCPRIM_400000_NS6detail17trampoline_kernelINS0_14default_configENS1_25partition_config_selectorILNS1_17partition_subalgoE6EsNS0_10empty_typeEbEEZZNS1_14partition_implILS5_6ELb0ES3_mN6thrust23THRUST_200600_302600_NS6detail15normal_iteratorINSA_10device_ptrIsEEEEPS6_SG_NS0_5tupleIJNSA_16discard_iteratorINSA_11use_defaultEEES6_EEENSH_IJSG_SG_EEES6_PlJNSB_9not_fun_tI7is_trueIsEEEEEE10hipError_tPvRmT3_T4_T5_T6_T7_T9_mT8_P12ihipStream_tbDpT10_ENKUlT_T0_E_clISt17integral_constantIbLb1EES1B_EEDaS16_S17_EUlS16_E_NS1_11comp_targetILNS1_3genE9ELNS1_11target_archE1100ELNS1_3gpuE3ELNS1_3repE0EEENS1_30default_config_static_selectorELNS0_4arch9wavefront6targetE0EEEvT1_,comdat
.Lfunc_end2315:
	.size	_ZN7rocprim17ROCPRIM_400000_NS6detail17trampoline_kernelINS0_14default_configENS1_25partition_config_selectorILNS1_17partition_subalgoE6EsNS0_10empty_typeEbEEZZNS1_14partition_implILS5_6ELb0ES3_mN6thrust23THRUST_200600_302600_NS6detail15normal_iteratorINSA_10device_ptrIsEEEEPS6_SG_NS0_5tupleIJNSA_16discard_iteratorINSA_11use_defaultEEES6_EEENSH_IJSG_SG_EEES6_PlJNSB_9not_fun_tI7is_trueIsEEEEEE10hipError_tPvRmT3_T4_T5_T6_T7_T9_mT8_P12ihipStream_tbDpT10_ENKUlT_T0_E_clISt17integral_constantIbLb1EES1B_EEDaS16_S17_EUlS16_E_NS1_11comp_targetILNS1_3genE9ELNS1_11target_archE1100ELNS1_3gpuE3ELNS1_3repE0EEENS1_30default_config_static_selectorELNS0_4arch9wavefront6targetE0EEEvT1_, .Lfunc_end2315-_ZN7rocprim17ROCPRIM_400000_NS6detail17trampoline_kernelINS0_14default_configENS1_25partition_config_selectorILNS1_17partition_subalgoE6EsNS0_10empty_typeEbEEZZNS1_14partition_implILS5_6ELb0ES3_mN6thrust23THRUST_200600_302600_NS6detail15normal_iteratorINSA_10device_ptrIsEEEEPS6_SG_NS0_5tupleIJNSA_16discard_iteratorINSA_11use_defaultEEES6_EEENSH_IJSG_SG_EEES6_PlJNSB_9not_fun_tI7is_trueIsEEEEEE10hipError_tPvRmT3_T4_T5_T6_T7_T9_mT8_P12ihipStream_tbDpT10_ENKUlT_T0_E_clISt17integral_constantIbLb1EES1B_EEDaS16_S17_EUlS16_E_NS1_11comp_targetILNS1_3genE9ELNS1_11target_archE1100ELNS1_3gpuE3ELNS1_3repE0EEENS1_30default_config_static_selectorELNS0_4arch9wavefront6targetE0EEEvT1_
                                        ; -- End function
	.set _ZN7rocprim17ROCPRIM_400000_NS6detail17trampoline_kernelINS0_14default_configENS1_25partition_config_selectorILNS1_17partition_subalgoE6EsNS0_10empty_typeEbEEZZNS1_14partition_implILS5_6ELb0ES3_mN6thrust23THRUST_200600_302600_NS6detail15normal_iteratorINSA_10device_ptrIsEEEEPS6_SG_NS0_5tupleIJNSA_16discard_iteratorINSA_11use_defaultEEES6_EEENSH_IJSG_SG_EEES6_PlJNSB_9not_fun_tI7is_trueIsEEEEEE10hipError_tPvRmT3_T4_T5_T6_T7_T9_mT8_P12ihipStream_tbDpT10_ENKUlT_T0_E_clISt17integral_constantIbLb1EES1B_EEDaS16_S17_EUlS16_E_NS1_11comp_targetILNS1_3genE9ELNS1_11target_archE1100ELNS1_3gpuE3ELNS1_3repE0EEENS1_30default_config_static_selectorELNS0_4arch9wavefront6targetE0EEEvT1_.num_vgpr, 0
	.set _ZN7rocprim17ROCPRIM_400000_NS6detail17trampoline_kernelINS0_14default_configENS1_25partition_config_selectorILNS1_17partition_subalgoE6EsNS0_10empty_typeEbEEZZNS1_14partition_implILS5_6ELb0ES3_mN6thrust23THRUST_200600_302600_NS6detail15normal_iteratorINSA_10device_ptrIsEEEEPS6_SG_NS0_5tupleIJNSA_16discard_iteratorINSA_11use_defaultEEES6_EEENSH_IJSG_SG_EEES6_PlJNSB_9not_fun_tI7is_trueIsEEEEEE10hipError_tPvRmT3_T4_T5_T6_T7_T9_mT8_P12ihipStream_tbDpT10_ENKUlT_T0_E_clISt17integral_constantIbLb1EES1B_EEDaS16_S17_EUlS16_E_NS1_11comp_targetILNS1_3genE9ELNS1_11target_archE1100ELNS1_3gpuE3ELNS1_3repE0EEENS1_30default_config_static_selectorELNS0_4arch9wavefront6targetE0EEEvT1_.num_agpr, 0
	.set _ZN7rocprim17ROCPRIM_400000_NS6detail17trampoline_kernelINS0_14default_configENS1_25partition_config_selectorILNS1_17partition_subalgoE6EsNS0_10empty_typeEbEEZZNS1_14partition_implILS5_6ELb0ES3_mN6thrust23THRUST_200600_302600_NS6detail15normal_iteratorINSA_10device_ptrIsEEEEPS6_SG_NS0_5tupleIJNSA_16discard_iteratorINSA_11use_defaultEEES6_EEENSH_IJSG_SG_EEES6_PlJNSB_9not_fun_tI7is_trueIsEEEEEE10hipError_tPvRmT3_T4_T5_T6_T7_T9_mT8_P12ihipStream_tbDpT10_ENKUlT_T0_E_clISt17integral_constantIbLb1EES1B_EEDaS16_S17_EUlS16_E_NS1_11comp_targetILNS1_3genE9ELNS1_11target_archE1100ELNS1_3gpuE3ELNS1_3repE0EEENS1_30default_config_static_selectorELNS0_4arch9wavefront6targetE0EEEvT1_.numbered_sgpr, 0
	.set _ZN7rocprim17ROCPRIM_400000_NS6detail17trampoline_kernelINS0_14default_configENS1_25partition_config_selectorILNS1_17partition_subalgoE6EsNS0_10empty_typeEbEEZZNS1_14partition_implILS5_6ELb0ES3_mN6thrust23THRUST_200600_302600_NS6detail15normal_iteratorINSA_10device_ptrIsEEEEPS6_SG_NS0_5tupleIJNSA_16discard_iteratorINSA_11use_defaultEEES6_EEENSH_IJSG_SG_EEES6_PlJNSB_9not_fun_tI7is_trueIsEEEEEE10hipError_tPvRmT3_T4_T5_T6_T7_T9_mT8_P12ihipStream_tbDpT10_ENKUlT_T0_E_clISt17integral_constantIbLb1EES1B_EEDaS16_S17_EUlS16_E_NS1_11comp_targetILNS1_3genE9ELNS1_11target_archE1100ELNS1_3gpuE3ELNS1_3repE0EEENS1_30default_config_static_selectorELNS0_4arch9wavefront6targetE0EEEvT1_.num_named_barrier, 0
	.set _ZN7rocprim17ROCPRIM_400000_NS6detail17trampoline_kernelINS0_14default_configENS1_25partition_config_selectorILNS1_17partition_subalgoE6EsNS0_10empty_typeEbEEZZNS1_14partition_implILS5_6ELb0ES3_mN6thrust23THRUST_200600_302600_NS6detail15normal_iteratorINSA_10device_ptrIsEEEEPS6_SG_NS0_5tupleIJNSA_16discard_iteratorINSA_11use_defaultEEES6_EEENSH_IJSG_SG_EEES6_PlJNSB_9not_fun_tI7is_trueIsEEEEEE10hipError_tPvRmT3_T4_T5_T6_T7_T9_mT8_P12ihipStream_tbDpT10_ENKUlT_T0_E_clISt17integral_constantIbLb1EES1B_EEDaS16_S17_EUlS16_E_NS1_11comp_targetILNS1_3genE9ELNS1_11target_archE1100ELNS1_3gpuE3ELNS1_3repE0EEENS1_30default_config_static_selectorELNS0_4arch9wavefront6targetE0EEEvT1_.private_seg_size, 0
	.set _ZN7rocprim17ROCPRIM_400000_NS6detail17trampoline_kernelINS0_14default_configENS1_25partition_config_selectorILNS1_17partition_subalgoE6EsNS0_10empty_typeEbEEZZNS1_14partition_implILS5_6ELb0ES3_mN6thrust23THRUST_200600_302600_NS6detail15normal_iteratorINSA_10device_ptrIsEEEEPS6_SG_NS0_5tupleIJNSA_16discard_iteratorINSA_11use_defaultEEES6_EEENSH_IJSG_SG_EEES6_PlJNSB_9not_fun_tI7is_trueIsEEEEEE10hipError_tPvRmT3_T4_T5_T6_T7_T9_mT8_P12ihipStream_tbDpT10_ENKUlT_T0_E_clISt17integral_constantIbLb1EES1B_EEDaS16_S17_EUlS16_E_NS1_11comp_targetILNS1_3genE9ELNS1_11target_archE1100ELNS1_3gpuE3ELNS1_3repE0EEENS1_30default_config_static_selectorELNS0_4arch9wavefront6targetE0EEEvT1_.uses_vcc, 0
	.set _ZN7rocprim17ROCPRIM_400000_NS6detail17trampoline_kernelINS0_14default_configENS1_25partition_config_selectorILNS1_17partition_subalgoE6EsNS0_10empty_typeEbEEZZNS1_14partition_implILS5_6ELb0ES3_mN6thrust23THRUST_200600_302600_NS6detail15normal_iteratorINSA_10device_ptrIsEEEEPS6_SG_NS0_5tupleIJNSA_16discard_iteratorINSA_11use_defaultEEES6_EEENSH_IJSG_SG_EEES6_PlJNSB_9not_fun_tI7is_trueIsEEEEEE10hipError_tPvRmT3_T4_T5_T6_T7_T9_mT8_P12ihipStream_tbDpT10_ENKUlT_T0_E_clISt17integral_constantIbLb1EES1B_EEDaS16_S17_EUlS16_E_NS1_11comp_targetILNS1_3genE9ELNS1_11target_archE1100ELNS1_3gpuE3ELNS1_3repE0EEENS1_30default_config_static_selectorELNS0_4arch9wavefront6targetE0EEEvT1_.uses_flat_scratch, 0
	.set _ZN7rocprim17ROCPRIM_400000_NS6detail17trampoline_kernelINS0_14default_configENS1_25partition_config_selectorILNS1_17partition_subalgoE6EsNS0_10empty_typeEbEEZZNS1_14partition_implILS5_6ELb0ES3_mN6thrust23THRUST_200600_302600_NS6detail15normal_iteratorINSA_10device_ptrIsEEEEPS6_SG_NS0_5tupleIJNSA_16discard_iteratorINSA_11use_defaultEEES6_EEENSH_IJSG_SG_EEES6_PlJNSB_9not_fun_tI7is_trueIsEEEEEE10hipError_tPvRmT3_T4_T5_T6_T7_T9_mT8_P12ihipStream_tbDpT10_ENKUlT_T0_E_clISt17integral_constantIbLb1EES1B_EEDaS16_S17_EUlS16_E_NS1_11comp_targetILNS1_3genE9ELNS1_11target_archE1100ELNS1_3gpuE3ELNS1_3repE0EEENS1_30default_config_static_selectorELNS0_4arch9wavefront6targetE0EEEvT1_.has_dyn_sized_stack, 0
	.set _ZN7rocprim17ROCPRIM_400000_NS6detail17trampoline_kernelINS0_14default_configENS1_25partition_config_selectorILNS1_17partition_subalgoE6EsNS0_10empty_typeEbEEZZNS1_14partition_implILS5_6ELb0ES3_mN6thrust23THRUST_200600_302600_NS6detail15normal_iteratorINSA_10device_ptrIsEEEEPS6_SG_NS0_5tupleIJNSA_16discard_iteratorINSA_11use_defaultEEES6_EEENSH_IJSG_SG_EEES6_PlJNSB_9not_fun_tI7is_trueIsEEEEEE10hipError_tPvRmT3_T4_T5_T6_T7_T9_mT8_P12ihipStream_tbDpT10_ENKUlT_T0_E_clISt17integral_constantIbLb1EES1B_EEDaS16_S17_EUlS16_E_NS1_11comp_targetILNS1_3genE9ELNS1_11target_archE1100ELNS1_3gpuE3ELNS1_3repE0EEENS1_30default_config_static_selectorELNS0_4arch9wavefront6targetE0EEEvT1_.has_recursion, 0
	.set _ZN7rocprim17ROCPRIM_400000_NS6detail17trampoline_kernelINS0_14default_configENS1_25partition_config_selectorILNS1_17partition_subalgoE6EsNS0_10empty_typeEbEEZZNS1_14partition_implILS5_6ELb0ES3_mN6thrust23THRUST_200600_302600_NS6detail15normal_iteratorINSA_10device_ptrIsEEEEPS6_SG_NS0_5tupleIJNSA_16discard_iteratorINSA_11use_defaultEEES6_EEENSH_IJSG_SG_EEES6_PlJNSB_9not_fun_tI7is_trueIsEEEEEE10hipError_tPvRmT3_T4_T5_T6_T7_T9_mT8_P12ihipStream_tbDpT10_ENKUlT_T0_E_clISt17integral_constantIbLb1EES1B_EEDaS16_S17_EUlS16_E_NS1_11comp_targetILNS1_3genE9ELNS1_11target_archE1100ELNS1_3gpuE3ELNS1_3repE0EEENS1_30default_config_static_selectorELNS0_4arch9wavefront6targetE0EEEvT1_.has_indirect_call, 0
	.section	.AMDGPU.csdata,"",@progbits
; Kernel info:
; codeLenInByte = 0
; TotalNumSgprs: 0
; NumVgprs: 0
; ScratchSize: 0
; MemoryBound: 0
; FloatMode: 240
; IeeeMode: 1
; LDSByteSize: 0 bytes/workgroup (compile time only)
; SGPRBlocks: 0
; VGPRBlocks: 0
; NumSGPRsForWavesPerEU: 1
; NumVGPRsForWavesPerEU: 1
; Occupancy: 16
; WaveLimiterHint : 0
; COMPUTE_PGM_RSRC2:SCRATCH_EN: 0
; COMPUTE_PGM_RSRC2:USER_SGPR: 2
; COMPUTE_PGM_RSRC2:TRAP_HANDLER: 0
; COMPUTE_PGM_RSRC2:TGID_X_EN: 1
; COMPUTE_PGM_RSRC2:TGID_Y_EN: 0
; COMPUTE_PGM_RSRC2:TGID_Z_EN: 0
; COMPUTE_PGM_RSRC2:TIDIG_COMP_CNT: 0
	.section	.text._ZN7rocprim17ROCPRIM_400000_NS6detail17trampoline_kernelINS0_14default_configENS1_25partition_config_selectorILNS1_17partition_subalgoE6EsNS0_10empty_typeEbEEZZNS1_14partition_implILS5_6ELb0ES3_mN6thrust23THRUST_200600_302600_NS6detail15normal_iteratorINSA_10device_ptrIsEEEEPS6_SG_NS0_5tupleIJNSA_16discard_iteratorINSA_11use_defaultEEES6_EEENSH_IJSG_SG_EEES6_PlJNSB_9not_fun_tI7is_trueIsEEEEEE10hipError_tPvRmT3_T4_T5_T6_T7_T9_mT8_P12ihipStream_tbDpT10_ENKUlT_T0_E_clISt17integral_constantIbLb1EES1B_EEDaS16_S17_EUlS16_E_NS1_11comp_targetILNS1_3genE8ELNS1_11target_archE1030ELNS1_3gpuE2ELNS1_3repE0EEENS1_30default_config_static_selectorELNS0_4arch9wavefront6targetE0EEEvT1_,"axG",@progbits,_ZN7rocprim17ROCPRIM_400000_NS6detail17trampoline_kernelINS0_14default_configENS1_25partition_config_selectorILNS1_17partition_subalgoE6EsNS0_10empty_typeEbEEZZNS1_14partition_implILS5_6ELb0ES3_mN6thrust23THRUST_200600_302600_NS6detail15normal_iteratorINSA_10device_ptrIsEEEEPS6_SG_NS0_5tupleIJNSA_16discard_iteratorINSA_11use_defaultEEES6_EEENSH_IJSG_SG_EEES6_PlJNSB_9not_fun_tI7is_trueIsEEEEEE10hipError_tPvRmT3_T4_T5_T6_T7_T9_mT8_P12ihipStream_tbDpT10_ENKUlT_T0_E_clISt17integral_constantIbLb1EES1B_EEDaS16_S17_EUlS16_E_NS1_11comp_targetILNS1_3genE8ELNS1_11target_archE1030ELNS1_3gpuE2ELNS1_3repE0EEENS1_30default_config_static_selectorELNS0_4arch9wavefront6targetE0EEEvT1_,comdat
	.protected	_ZN7rocprim17ROCPRIM_400000_NS6detail17trampoline_kernelINS0_14default_configENS1_25partition_config_selectorILNS1_17partition_subalgoE6EsNS0_10empty_typeEbEEZZNS1_14partition_implILS5_6ELb0ES3_mN6thrust23THRUST_200600_302600_NS6detail15normal_iteratorINSA_10device_ptrIsEEEEPS6_SG_NS0_5tupleIJNSA_16discard_iteratorINSA_11use_defaultEEES6_EEENSH_IJSG_SG_EEES6_PlJNSB_9not_fun_tI7is_trueIsEEEEEE10hipError_tPvRmT3_T4_T5_T6_T7_T9_mT8_P12ihipStream_tbDpT10_ENKUlT_T0_E_clISt17integral_constantIbLb1EES1B_EEDaS16_S17_EUlS16_E_NS1_11comp_targetILNS1_3genE8ELNS1_11target_archE1030ELNS1_3gpuE2ELNS1_3repE0EEENS1_30default_config_static_selectorELNS0_4arch9wavefront6targetE0EEEvT1_ ; -- Begin function _ZN7rocprim17ROCPRIM_400000_NS6detail17trampoline_kernelINS0_14default_configENS1_25partition_config_selectorILNS1_17partition_subalgoE6EsNS0_10empty_typeEbEEZZNS1_14partition_implILS5_6ELb0ES3_mN6thrust23THRUST_200600_302600_NS6detail15normal_iteratorINSA_10device_ptrIsEEEEPS6_SG_NS0_5tupleIJNSA_16discard_iteratorINSA_11use_defaultEEES6_EEENSH_IJSG_SG_EEES6_PlJNSB_9not_fun_tI7is_trueIsEEEEEE10hipError_tPvRmT3_T4_T5_T6_T7_T9_mT8_P12ihipStream_tbDpT10_ENKUlT_T0_E_clISt17integral_constantIbLb1EES1B_EEDaS16_S17_EUlS16_E_NS1_11comp_targetILNS1_3genE8ELNS1_11target_archE1030ELNS1_3gpuE2ELNS1_3repE0EEENS1_30default_config_static_selectorELNS0_4arch9wavefront6targetE0EEEvT1_
	.globl	_ZN7rocprim17ROCPRIM_400000_NS6detail17trampoline_kernelINS0_14default_configENS1_25partition_config_selectorILNS1_17partition_subalgoE6EsNS0_10empty_typeEbEEZZNS1_14partition_implILS5_6ELb0ES3_mN6thrust23THRUST_200600_302600_NS6detail15normal_iteratorINSA_10device_ptrIsEEEEPS6_SG_NS0_5tupleIJNSA_16discard_iteratorINSA_11use_defaultEEES6_EEENSH_IJSG_SG_EEES6_PlJNSB_9not_fun_tI7is_trueIsEEEEEE10hipError_tPvRmT3_T4_T5_T6_T7_T9_mT8_P12ihipStream_tbDpT10_ENKUlT_T0_E_clISt17integral_constantIbLb1EES1B_EEDaS16_S17_EUlS16_E_NS1_11comp_targetILNS1_3genE8ELNS1_11target_archE1030ELNS1_3gpuE2ELNS1_3repE0EEENS1_30default_config_static_selectorELNS0_4arch9wavefront6targetE0EEEvT1_
	.p2align	8
	.type	_ZN7rocprim17ROCPRIM_400000_NS6detail17trampoline_kernelINS0_14default_configENS1_25partition_config_selectorILNS1_17partition_subalgoE6EsNS0_10empty_typeEbEEZZNS1_14partition_implILS5_6ELb0ES3_mN6thrust23THRUST_200600_302600_NS6detail15normal_iteratorINSA_10device_ptrIsEEEEPS6_SG_NS0_5tupleIJNSA_16discard_iteratorINSA_11use_defaultEEES6_EEENSH_IJSG_SG_EEES6_PlJNSB_9not_fun_tI7is_trueIsEEEEEE10hipError_tPvRmT3_T4_T5_T6_T7_T9_mT8_P12ihipStream_tbDpT10_ENKUlT_T0_E_clISt17integral_constantIbLb1EES1B_EEDaS16_S17_EUlS16_E_NS1_11comp_targetILNS1_3genE8ELNS1_11target_archE1030ELNS1_3gpuE2ELNS1_3repE0EEENS1_30default_config_static_selectorELNS0_4arch9wavefront6targetE0EEEvT1_,@function
_ZN7rocprim17ROCPRIM_400000_NS6detail17trampoline_kernelINS0_14default_configENS1_25partition_config_selectorILNS1_17partition_subalgoE6EsNS0_10empty_typeEbEEZZNS1_14partition_implILS5_6ELb0ES3_mN6thrust23THRUST_200600_302600_NS6detail15normal_iteratorINSA_10device_ptrIsEEEEPS6_SG_NS0_5tupleIJNSA_16discard_iteratorINSA_11use_defaultEEES6_EEENSH_IJSG_SG_EEES6_PlJNSB_9not_fun_tI7is_trueIsEEEEEE10hipError_tPvRmT3_T4_T5_T6_T7_T9_mT8_P12ihipStream_tbDpT10_ENKUlT_T0_E_clISt17integral_constantIbLb1EES1B_EEDaS16_S17_EUlS16_E_NS1_11comp_targetILNS1_3genE8ELNS1_11target_archE1030ELNS1_3gpuE2ELNS1_3repE0EEENS1_30default_config_static_selectorELNS0_4arch9wavefront6targetE0EEEvT1_: ; @_ZN7rocprim17ROCPRIM_400000_NS6detail17trampoline_kernelINS0_14default_configENS1_25partition_config_selectorILNS1_17partition_subalgoE6EsNS0_10empty_typeEbEEZZNS1_14partition_implILS5_6ELb0ES3_mN6thrust23THRUST_200600_302600_NS6detail15normal_iteratorINSA_10device_ptrIsEEEEPS6_SG_NS0_5tupleIJNSA_16discard_iteratorINSA_11use_defaultEEES6_EEENSH_IJSG_SG_EEES6_PlJNSB_9not_fun_tI7is_trueIsEEEEEE10hipError_tPvRmT3_T4_T5_T6_T7_T9_mT8_P12ihipStream_tbDpT10_ENKUlT_T0_E_clISt17integral_constantIbLb1EES1B_EEDaS16_S17_EUlS16_E_NS1_11comp_targetILNS1_3genE8ELNS1_11target_archE1030ELNS1_3gpuE2ELNS1_3repE0EEENS1_30default_config_static_selectorELNS0_4arch9wavefront6targetE0EEEvT1_
; %bb.0:
	.section	.rodata,"a",@progbits
	.p2align	6, 0x0
	.amdhsa_kernel _ZN7rocprim17ROCPRIM_400000_NS6detail17trampoline_kernelINS0_14default_configENS1_25partition_config_selectorILNS1_17partition_subalgoE6EsNS0_10empty_typeEbEEZZNS1_14partition_implILS5_6ELb0ES3_mN6thrust23THRUST_200600_302600_NS6detail15normal_iteratorINSA_10device_ptrIsEEEEPS6_SG_NS0_5tupleIJNSA_16discard_iteratorINSA_11use_defaultEEES6_EEENSH_IJSG_SG_EEES6_PlJNSB_9not_fun_tI7is_trueIsEEEEEE10hipError_tPvRmT3_T4_T5_T6_T7_T9_mT8_P12ihipStream_tbDpT10_ENKUlT_T0_E_clISt17integral_constantIbLb1EES1B_EEDaS16_S17_EUlS16_E_NS1_11comp_targetILNS1_3genE8ELNS1_11target_archE1030ELNS1_3gpuE2ELNS1_3repE0EEENS1_30default_config_static_selectorELNS0_4arch9wavefront6targetE0EEEvT1_
		.amdhsa_group_segment_fixed_size 0
		.amdhsa_private_segment_fixed_size 0
		.amdhsa_kernarg_size 136
		.amdhsa_user_sgpr_count 2
		.amdhsa_user_sgpr_dispatch_ptr 0
		.amdhsa_user_sgpr_queue_ptr 0
		.amdhsa_user_sgpr_kernarg_segment_ptr 1
		.amdhsa_user_sgpr_dispatch_id 0
		.amdhsa_user_sgpr_private_segment_size 0
		.amdhsa_wavefront_size32 1
		.amdhsa_uses_dynamic_stack 0
		.amdhsa_enable_private_segment 0
		.amdhsa_system_sgpr_workgroup_id_x 1
		.amdhsa_system_sgpr_workgroup_id_y 0
		.amdhsa_system_sgpr_workgroup_id_z 0
		.amdhsa_system_sgpr_workgroup_info 0
		.amdhsa_system_vgpr_workitem_id 0
		.amdhsa_next_free_vgpr 1
		.amdhsa_next_free_sgpr 1
		.amdhsa_reserve_vcc 0
		.amdhsa_float_round_mode_32 0
		.amdhsa_float_round_mode_16_64 0
		.amdhsa_float_denorm_mode_32 3
		.amdhsa_float_denorm_mode_16_64 3
		.amdhsa_fp16_overflow 0
		.amdhsa_workgroup_processor_mode 1
		.amdhsa_memory_ordered 1
		.amdhsa_forward_progress 1
		.amdhsa_inst_pref_size 0
		.amdhsa_round_robin_scheduling 0
		.amdhsa_exception_fp_ieee_invalid_op 0
		.amdhsa_exception_fp_denorm_src 0
		.amdhsa_exception_fp_ieee_div_zero 0
		.amdhsa_exception_fp_ieee_overflow 0
		.amdhsa_exception_fp_ieee_underflow 0
		.amdhsa_exception_fp_ieee_inexact 0
		.amdhsa_exception_int_div_zero 0
	.end_amdhsa_kernel
	.section	.text._ZN7rocprim17ROCPRIM_400000_NS6detail17trampoline_kernelINS0_14default_configENS1_25partition_config_selectorILNS1_17partition_subalgoE6EsNS0_10empty_typeEbEEZZNS1_14partition_implILS5_6ELb0ES3_mN6thrust23THRUST_200600_302600_NS6detail15normal_iteratorINSA_10device_ptrIsEEEEPS6_SG_NS0_5tupleIJNSA_16discard_iteratorINSA_11use_defaultEEES6_EEENSH_IJSG_SG_EEES6_PlJNSB_9not_fun_tI7is_trueIsEEEEEE10hipError_tPvRmT3_T4_T5_T6_T7_T9_mT8_P12ihipStream_tbDpT10_ENKUlT_T0_E_clISt17integral_constantIbLb1EES1B_EEDaS16_S17_EUlS16_E_NS1_11comp_targetILNS1_3genE8ELNS1_11target_archE1030ELNS1_3gpuE2ELNS1_3repE0EEENS1_30default_config_static_selectorELNS0_4arch9wavefront6targetE0EEEvT1_,"axG",@progbits,_ZN7rocprim17ROCPRIM_400000_NS6detail17trampoline_kernelINS0_14default_configENS1_25partition_config_selectorILNS1_17partition_subalgoE6EsNS0_10empty_typeEbEEZZNS1_14partition_implILS5_6ELb0ES3_mN6thrust23THRUST_200600_302600_NS6detail15normal_iteratorINSA_10device_ptrIsEEEEPS6_SG_NS0_5tupleIJNSA_16discard_iteratorINSA_11use_defaultEEES6_EEENSH_IJSG_SG_EEES6_PlJNSB_9not_fun_tI7is_trueIsEEEEEE10hipError_tPvRmT3_T4_T5_T6_T7_T9_mT8_P12ihipStream_tbDpT10_ENKUlT_T0_E_clISt17integral_constantIbLb1EES1B_EEDaS16_S17_EUlS16_E_NS1_11comp_targetILNS1_3genE8ELNS1_11target_archE1030ELNS1_3gpuE2ELNS1_3repE0EEENS1_30default_config_static_selectorELNS0_4arch9wavefront6targetE0EEEvT1_,comdat
.Lfunc_end2316:
	.size	_ZN7rocprim17ROCPRIM_400000_NS6detail17trampoline_kernelINS0_14default_configENS1_25partition_config_selectorILNS1_17partition_subalgoE6EsNS0_10empty_typeEbEEZZNS1_14partition_implILS5_6ELb0ES3_mN6thrust23THRUST_200600_302600_NS6detail15normal_iteratorINSA_10device_ptrIsEEEEPS6_SG_NS0_5tupleIJNSA_16discard_iteratorINSA_11use_defaultEEES6_EEENSH_IJSG_SG_EEES6_PlJNSB_9not_fun_tI7is_trueIsEEEEEE10hipError_tPvRmT3_T4_T5_T6_T7_T9_mT8_P12ihipStream_tbDpT10_ENKUlT_T0_E_clISt17integral_constantIbLb1EES1B_EEDaS16_S17_EUlS16_E_NS1_11comp_targetILNS1_3genE8ELNS1_11target_archE1030ELNS1_3gpuE2ELNS1_3repE0EEENS1_30default_config_static_selectorELNS0_4arch9wavefront6targetE0EEEvT1_, .Lfunc_end2316-_ZN7rocprim17ROCPRIM_400000_NS6detail17trampoline_kernelINS0_14default_configENS1_25partition_config_selectorILNS1_17partition_subalgoE6EsNS0_10empty_typeEbEEZZNS1_14partition_implILS5_6ELb0ES3_mN6thrust23THRUST_200600_302600_NS6detail15normal_iteratorINSA_10device_ptrIsEEEEPS6_SG_NS0_5tupleIJNSA_16discard_iteratorINSA_11use_defaultEEES6_EEENSH_IJSG_SG_EEES6_PlJNSB_9not_fun_tI7is_trueIsEEEEEE10hipError_tPvRmT3_T4_T5_T6_T7_T9_mT8_P12ihipStream_tbDpT10_ENKUlT_T0_E_clISt17integral_constantIbLb1EES1B_EEDaS16_S17_EUlS16_E_NS1_11comp_targetILNS1_3genE8ELNS1_11target_archE1030ELNS1_3gpuE2ELNS1_3repE0EEENS1_30default_config_static_selectorELNS0_4arch9wavefront6targetE0EEEvT1_
                                        ; -- End function
	.set _ZN7rocprim17ROCPRIM_400000_NS6detail17trampoline_kernelINS0_14default_configENS1_25partition_config_selectorILNS1_17partition_subalgoE6EsNS0_10empty_typeEbEEZZNS1_14partition_implILS5_6ELb0ES3_mN6thrust23THRUST_200600_302600_NS6detail15normal_iteratorINSA_10device_ptrIsEEEEPS6_SG_NS0_5tupleIJNSA_16discard_iteratorINSA_11use_defaultEEES6_EEENSH_IJSG_SG_EEES6_PlJNSB_9not_fun_tI7is_trueIsEEEEEE10hipError_tPvRmT3_T4_T5_T6_T7_T9_mT8_P12ihipStream_tbDpT10_ENKUlT_T0_E_clISt17integral_constantIbLb1EES1B_EEDaS16_S17_EUlS16_E_NS1_11comp_targetILNS1_3genE8ELNS1_11target_archE1030ELNS1_3gpuE2ELNS1_3repE0EEENS1_30default_config_static_selectorELNS0_4arch9wavefront6targetE0EEEvT1_.num_vgpr, 0
	.set _ZN7rocprim17ROCPRIM_400000_NS6detail17trampoline_kernelINS0_14default_configENS1_25partition_config_selectorILNS1_17partition_subalgoE6EsNS0_10empty_typeEbEEZZNS1_14partition_implILS5_6ELb0ES3_mN6thrust23THRUST_200600_302600_NS6detail15normal_iteratorINSA_10device_ptrIsEEEEPS6_SG_NS0_5tupleIJNSA_16discard_iteratorINSA_11use_defaultEEES6_EEENSH_IJSG_SG_EEES6_PlJNSB_9not_fun_tI7is_trueIsEEEEEE10hipError_tPvRmT3_T4_T5_T6_T7_T9_mT8_P12ihipStream_tbDpT10_ENKUlT_T0_E_clISt17integral_constantIbLb1EES1B_EEDaS16_S17_EUlS16_E_NS1_11comp_targetILNS1_3genE8ELNS1_11target_archE1030ELNS1_3gpuE2ELNS1_3repE0EEENS1_30default_config_static_selectorELNS0_4arch9wavefront6targetE0EEEvT1_.num_agpr, 0
	.set _ZN7rocprim17ROCPRIM_400000_NS6detail17trampoline_kernelINS0_14default_configENS1_25partition_config_selectorILNS1_17partition_subalgoE6EsNS0_10empty_typeEbEEZZNS1_14partition_implILS5_6ELb0ES3_mN6thrust23THRUST_200600_302600_NS6detail15normal_iteratorINSA_10device_ptrIsEEEEPS6_SG_NS0_5tupleIJNSA_16discard_iteratorINSA_11use_defaultEEES6_EEENSH_IJSG_SG_EEES6_PlJNSB_9not_fun_tI7is_trueIsEEEEEE10hipError_tPvRmT3_T4_T5_T6_T7_T9_mT8_P12ihipStream_tbDpT10_ENKUlT_T0_E_clISt17integral_constantIbLb1EES1B_EEDaS16_S17_EUlS16_E_NS1_11comp_targetILNS1_3genE8ELNS1_11target_archE1030ELNS1_3gpuE2ELNS1_3repE0EEENS1_30default_config_static_selectorELNS0_4arch9wavefront6targetE0EEEvT1_.numbered_sgpr, 0
	.set _ZN7rocprim17ROCPRIM_400000_NS6detail17trampoline_kernelINS0_14default_configENS1_25partition_config_selectorILNS1_17partition_subalgoE6EsNS0_10empty_typeEbEEZZNS1_14partition_implILS5_6ELb0ES3_mN6thrust23THRUST_200600_302600_NS6detail15normal_iteratorINSA_10device_ptrIsEEEEPS6_SG_NS0_5tupleIJNSA_16discard_iteratorINSA_11use_defaultEEES6_EEENSH_IJSG_SG_EEES6_PlJNSB_9not_fun_tI7is_trueIsEEEEEE10hipError_tPvRmT3_T4_T5_T6_T7_T9_mT8_P12ihipStream_tbDpT10_ENKUlT_T0_E_clISt17integral_constantIbLb1EES1B_EEDaS16_S17_EUlS16_E_NS1_11comp_targetILNS1_3genE8ELNS1_11target_archE1030ELNS1_3gpuE2ELNS1_3repE0EEENS1_30default_config_static_selectorELNS0_4arch9wavefront6targetE0EEEvT1_.num_named_barrier, 0
	.set _ZN7rocprim17ROCPRIM_400000_NS6detail17trampoline_kernelINS0_14default_configENS1_25partition_config_selectorILNS1_17partition_subalgoE6EsNS0_10empty_typeEbEEZZNS1_14partition_implILS5_6ELb0ES3_mN6thrust23THRUST_200600_302600_NS6detail15normal_iteratorINSA_10device_ptrIsEEEEPS6_SG_NS0_5tupleIJNSA_16discard_iteratorINSA_11use_defaultEEES6_EEENSH_IJSG_SG_EEES6_PlJNSB_9not_fun_tI7is_trueIsEEEEEE10hipError_tPvRmT3_T4_T5_T6_T7_T9_mT8_P12ihipStream_tbDpT10_ENKUlT_T0_E_clISt17integral_constantIbLb1EES1B_EEDaS16_S17_EUlS16_E_NS1_11comp_targetILNS1_3genE8ELNS1_11target_archE1030ELNS1_3gpuE2ELNS1_3repE0EEENS1_30default_config_static_selectorELNS0_4arch9wavefront6targetE0EEEvT1_.private_seg_size, 0
	.set _ZN7rocprim17ROCPRIM_400000_NS6detail17trampoline_kernelINS0_14default_configENS1_25partition_config_selectorILNS1_17partition_subalgoE6EsNS0_10empty_typeEbEEZZNS1_14partition_implILS5_6ELb0ES3_mN6thrust23THRUST_200600_302600_NS6detail15normal_iteratorINSA_10device_ptrIsEEEEPS6_SG_NS0_5tupleIJNSA_16discard_iteratorINSA_11use_defaultEEES6_EEENSH_IJSG_SG_EEES6_PlJNSB_9not_fun_tI7is_trueIsEEEEEE10hipError_tPvRmT3_T4_T5_T6_T7_T9_mT8_P12ihipStream_tbDpT10_ENKUlT_T0_E_clISt17integral_constantIbLb1EES1B_EEDaS16_S17_EUlS16_E_NS1_11comp_targetILNS1_3genE8ELNS1_11target_archE1030ELNS1_3gpuE2ELNS1_3repE0EEENS1_30default_config_static_selectorELNS0_4arch9wavefront6targetE0EEEvT1_.uses_vcc, 0
	.set _ZN7rocprim17ROCPRIM_400000_NS6detail17trampoline_kernelINS0_14default_configENS1_25partition_config_selectorILNS1_17partition_subalgoE6EsNS0_10empty_typeEbEEZZNS1_14partition_implILS5_6ELb0ES3_mN6thrust23THRUST_200600_302600_NS6detail15normal_iteratorINSA_10device_ptrIsEEEEPS6_SG_NS0_5tupleIJNSA_16discard_iteratorINSA_11use_defaultEEES6_EEENSH_IJSG_SG_EEES6_PlJNSB_9not_fun_tI7is_trueIsEEEEEE10hipError_tPvRmT3_T4_T5_T6_T7_T9_mT8_P12ihipStream_tbDpT10_ENKUlT_T0_E_clISt17integral_constantIbLb1EES1B_EEDaS16_S17_EUlS16_E_NS1_11comp_targetILNS1_3genE8ELNS1_11target_archE1030ELNS1_3gpuE2ELNS1_3repE0EEENS1_30default_config_static_selectorELNS0_4arch9wavefront6targetE0EEEvT1_.uses_flat_scratch, 0
	.set _ZN7rocprim17ROCPRIM_400000_NS6detail17trampoline_kernelINS0_14default_configENS1_25partition_config_selectorILNS1_17partition_subalgoE6EsNS0_10empty_typeEbEEZZNS1_14partition_implILS5_6ELb0ES3_mN6thrust23THRUST_200600_302600_NS6detail15normal_iteratorINSA_10device_ptrIsEEEEPS6_SG_NS0_5tupleIJNSA_16discard_iteratorINSA_11use_defaultEEES6_EEENSH_IJSG_SG_EEES6_PlJNSB_9not_fun_tI7is_trueIsEEEEEE10hipError_tPvRmT3_T4_T5_T6_T7_T9_mT8_P12ihipStream_tbDpT10_ENKUlT_T0_E_clISt17integral_constantIbLb1EES1B_EEDaS16_S17_EUlS16_E_NS1_11comp_targetILNS1_3genE8ELNS1_11target_archE1030ELNS1_3gpuE2ELNS1_3repE0EEENS1_30default_config_static_selectorELNS0_4arch9wavefront6targetE0EEEvT1_.has_dyn_sized_stack, 0
	.set _ZN7rocprim17ROCPRIM_400000_NS6detail17trampoline_kernelINS0_14default_configENS1_25partition_config_selectorILNS1_17partition_subalgoE6EsNS0_10empty_typeEbEEZZNS1_14partition_implILS5_6ELb0ES3_mN6thrust23THRUST_200600_302600_NS6detail15normal_iteratorINSA_10device_ptrIsEEEEPS6_SG_NS0_5tupleIJNSA_16discard_iteratorINSA_11use_defaultEEES6_EEENSH_IJSG_SG_EEES6_PlJNSB_9not_fun_tI7is_trueIsEEEEEE10hipError_tPvRmT3_T4_T5_T6_T7_T9_mT8_P12ihipStream_tbDpT10_ENKUlT_T0_E_clISt17integral_constantIbLb1EES1B_EEDaS16_S17_EUlS16_E_NS1_11comp_targetILNS1_3genE8ELNS1_11target_archE1030ELNS1_3gpuE2ELNS1_3repE0EEENS1_30default_config_static_selectorELNS0_4arch9wavefront6targetE0EEEvT1_.has_recursion, 0
	.set _ZN7rocprim17ROCPRIM_400000_NS6detail17trampoline_kernelINS0_14default_configENS1_25partition_config_selectorILNS1_17partition_subalgoE6EsNS0_10empty_typeEbEEZZNS1_14partition_implILS5_6ELb0ES3_mN6thrust23THRUST_200600_302600_NS6detail15normal_iteratorINSA_10device_ptrIsEEEEPS6_SG_NS0_5tupleIJNSA_16discard_iteratorINSA_11use_defaultEEES6_EEENSH_IJSG_SG_EEES6_PlJNSB_9not_fun_tI7is_trueIsEEEEEE10hipError_tPvRmT3_T4_T5_T6_T7_T9_mT8_P12ihipStream_tbDpT10_ENKUlT_T0_E_clISt17integral_constantIbLb1EES1B_EEDaS16_S17_EUlS16_E_NS1_11comp_targetILNS1_3genE8ELNS1_11target_archE1030ELNS1_3gpuE2ELNS1_3repE0EEENS1_30default_config_static_selectorELNS0_4arch9wavefront6targetE0EEEvT1_.has_indirect_call, 0
	.section	.AMDGPU.csdata,"",@progbits
; Kernel info:
; codeLenInByte = 0
; TotalNumSgprs: 0
; NumVgprs: 0
; ScratchSize: 0
; MemoryBound: 0
; FloatMode: 240
; IeeeMode: 1
; LDSByteSize: 0 bytes/workgroup (compile time only)
; SGPRBlocks: 0
; VGPRBlocks: 0
; NumSGPRsForWavesPerEU: 1
; NumVGPRsForWavesPerEU: 1
; Occupancy: 16
; WaveLimiterHint : 0
; COMPUTE_PGM_RSRC2:SCRATCH_EN: 0
; COMPUTE_PGM_RSRC2:USER_SGPR: 2
; COMPUTE_PGM_RSRC2:TRAP_HANDLER: 0
; COMPUTE_PGM_RSRC2:TGID_X_EN: 1
; COMPUTE_PGM_RSRC2:TGID_Y_EN: 0
; COMPUTE_PGM_RSRC2:TGID_Z_EN: 0
; COMPUTE_PGM_RSRC2:TIDIG_COMP_CNT: 0
	.section	.text._ZN7rocprim17ROCPRIM_400000_NS6detail17trampoline_kernelINS0_14default_configENS1_25partition_config_selectorILNS1_17partition_subalgoE6EsNS0_10empty_typeEbEEZZNS1_14partition_implILS5_6ELb0ES3_mN6thrust23THRUST_200600_302600_NS6detail15normal_iteratorINSA_10device_ptrIsEEEEPS6_SG_NS0_5tupleIJNSA_16discard_iteratorINSA_11use_defaultEEES6_EEENSH_IJSG_SG_EEES6_PlJNSB_9not_fun_tI7is_trueIsEEEEEE10hipError_tPvRmT3_T4_T5_T6_T7_T9_mT8_P12ihipStream_tbDpT10_ENKUlT_T0_E_clISt17integral_constantIbLb1EES1A_IbLb0EEEEDaS16_S17_EUlS16_E_NS1_11comp_targetILNS1_3genE0ELNS1_11target_archE4294967295ELNS1_3gpuE0ELNS1_3repE0EEENS1_30default_config_static_selectorELNS0_4arch9wavefront6targetE0EEEvT1_,"axG",@progbits,_ZN7rocprim17ROCPRIM_400000_NS6detail17trampoline_kernelINS0_14default_configENS1_25partition_config_selectorILNS1_17partition_subalgoE6EsNS0_10empty_typeEbEEZZNS1_14partition_implILS5_6ELb0ES3_mN6thrust23THRUST_200600_302600_NS6detail15normal_iteratorINSA_10device_ptrIsEEEEPS6_SG_NS0_5tupleIJNSA_16discard_iteratorINSA_11use_defaultEEES6_EEENSH_IJSG_SG_EEES6_PlJNSB_9not_fun_tI7is_trueIsEEEEEE10hipError_tPvRmT3_T4_T5_T6_T7_T9_mT8_P12ihipStream_tbDpT10_ENKUlT_T0_E_clISt17integral_constantIbLb1EES1A_IbLb0EEEEDaS16_S17_EUlS16_E_NS1_11comp_targetILNS1_3genE0ELNS1_11target_archE4294967295ELNS1_3gpuE0ELNS1_3repE0EEENS1_30default_config_static_selectorELNS0_4arch9wavefront6targetE0EEEvT1_,comdat
	.protected	_ZN7rocprim17ROCPRIM_400000_NS6detail17trampoline_kernelINS0_14default_configENS1_25partition_config_selectorILNS1_17partition_subalgoE6EsNS0_10empty_typeEbEEZZNS1_14partition_implILS5_6ELb0ES3_mN6thrust23THRUST_200600_302600_NS6detail15normal_iteratorINSA_10device_ptrIsEEEEPS6_SG_NS0_5tupleIJNSA_16discard_iteratorINSA_11use_defaultEEES6_EEENSH_IJSG_SG_EEES6_PlJNSB_9not_fun_tI7is_trueIsEEEEEE10hipError_tPvRmT3_T4_T5_T6_T7_T9_mT8_P12ihipStream_tbDpT10_ENKUlT_T0_E_clISt17integral_constantIbLb1EES1A_IbLb0EEEEDaS16_S17_EUlS16_E_NS1_11comp_targetILNS1_3genE0ELNS1_11target_archE4294967295ELNS1_3gpuE0ELNS1_3repE0EEENS1_30default_config_static_selectorELNS0_4arch9wavefront6targetE0EEEvT1_ ; -- Begin function _ZN7rocprim17ROCPRIM_400000_NS6detail17trampoline_kernelINS0_14default_configENS1_25partition_config_selectorILNS1_17partition_subalgoE6EsNS0_10empty_typeEbEEZZNS1_14partition_implILS5_6ELb0ES3_mN6thrust23THRUST_200600_302600_NS6detail15normal_iteratorINSA_10device_ptrIsEEEEPS6_SG_NS0_5tupleIJNSA_16discard_iteratorINSA_11use_defaultEEES6_EEENSH_IJSG_SG_EEES6_PlJNSB_9not_fun_tI7is_trueIsEEEEEE10hipError_tPvRmT3_T4_T5_T6_T7_T9_mT8_P12ihipStream_tbDpT10_ENKUlT_T0_E_clISt17integral_constantIbLb1EES1A_IbLb0EEEEDaS16_S17_EUlS16_E_NS1_11comp_targetILNS1_3genE0ELNS1_11target_archE4294967295ELNS1_3gpuE0ELNS1_3repE0EEENS1_30default_config_static_selectorELNS0_4arch9wavefront6targetE0EEEvT1_
	.globl	_ZN7rocprim17ROCPRIM_400000_NS6detail17trampoline_kernelINS0_14default_configENS1_25partition_config_selectorILNS1_17partition_subalgoE6EsNS0_10empty_typeEbEEZZNS1_14partition_implILS5_6ELb0ES3_mN6thrust23THRUST_200600_302600_NS6detail15normal_iteratorINSA_10device_ptrIsEEEEPS6_SG_NS0_5tupleIJNSA_16discard_iteratorINSA_11use_defaultEEES6_EEENSH_IJSG_SG_EEES6_PlJNSB_9not_fun_tI7is_trueIsEEEEEE10hipError_tPvRmT3_T4_T5_T6_T7_T9_mT8_P12ihipStream_tbDpT10_ENKUlT_T0_E_clISt17integral_constantIbLb1EES1A_IbLb0EEEEDaS16_S17_EUlS16_E_NS1_11comp_targetILNS1_3genE0ELNS1_11target_archE4294967295ELNS1_3gpuE0ELNS1_3repE0EEENS1_30default_config_static_selectorELNS0_4arch9wavefront6targetE0EEEvT1_
	.p2align	8
	.type	_ZN7rocprim17ROCPRIM_400000_NS6detail17trampoline_kernelINS0_14default_configENS1_25partition_config_selectorILNS1_17partition_subalgoE6EsNS0_10empty_typeEbEEZZNS1_14partition_implILS5_6ELb0ES3_mN6thrust23THRUST_200600_302600_NS6detail15normal_iteratorINSA_10device_ptrIsEEEEPS6_SG_NS0_5tupleIJNSA_16discard_iteratorINSA_11use_defaultEEES6_EEENSH_IJSG_SG_EEES6_PlJNSB_9not_fun_tI7is_trueIsEEEEEE10hipError_tPvRmT3_T4_T5_T6_T7_T9_mT8_P12ihipStream_tbDpT10_ENKUlT_T0_E_clISt17integral_constantIbLb1EES1A_IbLb0EEEEDaS16_S17_EUlS16_E_NS1_11comp_targetILNS1_3genE0ELNS1_11target_archE4294967295ELNS1_3gpuE0ELNS1_3repE0EEENS1_30default_config_static_selectorELNS0_4arch9wavefront6targetE0EEEvT1_,@function
_ZN7rocprim17ROCPRIM_400000_NS6detail17trampoline_kernelINS0_14default_configENS1_25partition_config_selectorILNS1_17partition_subalgoE6EsNS0_10empty_typeEbEEZZNS1_14partition_implILS5_6ELb0ES3_mN6thrust23THRUST_200600_302600_NS6detail15normal_iteratorINSA_10device_ptrIsEEEEPS6_SG_NS0_5tupleIJNSA_16discard_iteratorINSA_11use_defaultEEES6_EEENSH_IJSG_SG_EEES6_PlJNSB_9not_fun_tI7is_trueIsEEEEEE10hipError_tPvRmT3_T4_T5_T6_T7_T9_mT8_P12ihipStream_tbDpT10_ENKUlT_T0_E_clISt17integral_constantIbLb1EES1A_IbLb0EEEEDaS16_S17_EUlS16_E_NS1_11comp_targetILNS1_3genE0ELNS1_11target_archE4294967295ELNS1_3gpuE0ELNS1_3repE0EEENS1_30default_config_static_selectorELNS0_4arch9wavefront6targetE0EEEvT1_: ; @_ZN7rocprim17ROCPRIM_400000_NS6detail17trampoline_kernelINS0_14default_configENS1_25partition_config_selectorILNS1_17partition_subalgoE6EsNS0_10empty_typeEbEEZZNS1_14partition_implILS5_6ELb0ES3_mN6thrust23THRUST_200600_302600_NS6detail15normal_iteratorINSA_10device_ptrIsEEEEPS6_SG_NS0_5tupleIJNSA_16discard_iteratorINSA_11use_defaultEEES6_EEENSH_IJSG_SG_EEES6_PlJNSB_9not_fun_tI7is_trueIsEEEEEE10hipError_tPvRmT3_T4_T5_T6_T7_T9_mT8_P12ihipStream_tbDpT10_ENKUlT_T0_E_clISt17integral_constantIbLb1EES1A_IbLb0EEEEDaS16_S17_EUlS16_E_NS1_11comp_targetILNS1_3genE0ELNS1_11target_archE4294967295ELNS1_3gpuE0ELNS1_3repE0EEENS1_30default_config_static_selectorELNS0_4arch9wavefront6targetE0EEEvT1_
; %bb.0:
	.section	.rodata,"a",@progbits
	.p2align	6, 0x0
	.amdhsa_kernel _ZN7rocprim17ROCPRIM_400000_NS6detail17trampoline_kernelINS0_14default_configENS1_25partition_config_selectorILNS1_17partition_subalgoE6EsNS0_10empty_typeEbEEZZNS1_14partition_implILS5_6ELb0ES3_mN6thrust23THRUST_200600_302600_NS6detail15normal_iteratorINSA_10device_ptrIsEEEEPS6_SG_NS0_5tupleIJNSA_16discard_iteratorINSA_11use_defaultEEES6_EEENSH_IJSG_SG_EEES6_PlJNSB_9not_fun_tI7is_trueIsEEEEEE10hipError_tPvRmT3_T4_T5_T6_T7_T9_mT8_P12ihipStream_tbDpT10_ENKUlT_T0_E_clISt17integral_constantIbLb1EES1A_IbLb0EEEEDaS16_S17_EUlS16_E_NS1_11comp_targetILNS1_3genE0ELNS1_11target_archE4294967295ELNS1_3gpuE0ELNS1_3repE0EEENS1_30default_config_static_selectorELNS0_4arch9wavefront6targetE0EEEvT1_
		.amdhsa_group_segment_fixed_size 0
		.amdhsa_private_segment_fixed_size 0
		.amdhsa_kernarg_size 120
		.amdhsa_user_sgpr_count 2
		.amdhsa_user_sgpr_dispatch_ptr 0
		.amdhsa_user_sgpr_queue_ptr 0
		.amdhsa_user_sgpr_kernarg_segment_ptr 1
		.amdhsa_user_sgpr_dispatch_id 0
		.amdhsa_user_sgpr_private_segment_size 0
		.amdhsa_wavefront_size32 1
		.amdhsa_uses_dynamic_stack 0
		.amdhsa_enable_private_segment 0
		.amdhsa_system_sgpr_workgroup_id_x 1
		.amdhsa_system_sgpr_workgroup_id_y 0
		.amdhsa_system_sgpr_workgroup_id_z 0
		.amdhsa_system_sgpr_workgroup_info 0
		.amdhsa_system_vgpr_workitem_id 0
		.amdhsa_next_free_vgpr 1
		.amdhsa_next_free_sgpr 1
		.amdhsa_reserve_vcc 0
		.amdhsa_float_round_mode_32 0
		.amdhsa_float_round_mode_16_64 0
		.amdhsa_float_denorm_mode_32 3
		.amdhsa_float_denorm_mode_16_64 3
		.amdhsa_fp16_overflow 0
		.amdhsa_workgroup_processor_mode 1
		.amdhsa_memory_ordered 1
		.amdhsa_forward_progress 1
		.amdhsa_inst_pref_size 0
		.amdhsa_round_robin_scheduling 0
		.amdhsa_exception_fp_ieee_invalid_op 0
		.amdhsa_exception_fp_denorm_src 0
		.amdhsa_exception_fp_ieee_div_zero 0
		.amdhsa_exception_fp_ieee_overflow 0
		.amdhsa_exception_fp_ieee_underflow 0
		.amdhsa_exception_fp_ieee_inexact 0
		.amdhsa_exception_int_div_zero 0
	.end_amdhsa_kernel
	.section	.text._ZN7rocprim17ROCPRIM_400000_NS6detail17trampoline_kernelINS0_14default_configENS1_25partition_config_selectorILNS1_17partition_subalgoE6EsNS0_10empty_typeEbEEZZNS1_14partition_implILS5_6ELb0ES3_mN6thrust23THRUST_200600_302600_NS6detail15normal_iteratorINSA_10device_ptrIsEEEEPS6_SG_NS0_5tupleIJNSA_16discard_iteratorINSA_11use_defaultEEES6_EEENSH_IJSG_SG_EEES6_PlJNSB_9not_fun_tI7is_trueIsEEEEEE10hipError_tPvRmT3_T4_T5_T6_T7_T9_mT8_P12ihipStream_tbDpT10_ENKUlT_T0_E_clISt17integral_constantIbLb1EES1A_IbLb0EEEEDaS16_S17_EUlS16_E_NS1_11comp_targetILNS1_3genE0ELNS1_11target_archE4294967295ELNS1_3gpuE0ELNS1_3repE0EEENS1_30default_config_static_selectorELNS0_4arch9wavefront6targetE0EEEvT1_,"axG",@progbits,_ZN7rocprim17ROCPRIM_400000_NS6detail17trampoline_kernelINS0_14default_configENS1_25partition_config_selectorILNS1_17partition_subalgoE6EsNS0_10empty_typeEbEEZZNS1_14partition_implILS5_6ELb0ES3_mN6thrust23THRUST_200600_302600_NS6detail15normal_iteratorINSA_10device_ptrIsEEEEPS6_SG_NS0_5tupleIJNSA_16discard_iteratorINSA_11use_defaultEEES6_EEENSH_IJSG_SG_EEES6_PlJNSB_9not_fun_tI7is_trueIsEEEEEE10hipError_tPvRmT3_T4_T5_T6_T7_T9_mT8_P12ihipStream_tbDpT10_ENKUlT_T0_E_clISt17integral_constantIbLb1EES1A_IbLb0EEEEDaS16_S17_EUlS16_E_NS1_11comp_targetILNS1_3genE0ELNS1_11target_archE4294967295ELNS1_3gpuE0ELNS1_3repE0EEENS1_30default_config_static_selectorELNS0_4arch9wavefront6targetE0EEEvT1_,comdat
.Lfunc_end2317:
	.size	_ZN7rocprim17ROCPRIM_400000_NS6detail17trampoline_kernelINS0_14default_configENS1_25partition_config_selectorILNS1_17partition_subalgoE6EsNS0_10empty_typeEbEEZZNS1_14partition_implILS5_6ELb0ES3_mN6thrust23THRUST_200600_302600_NS6detail15normal_iteratorINSA_10device_ptrIsEEEEPS6_SG_NS0_5tupleIJNSA_16discard_iteratorINSA_11use_defaultEEES6_EEENSH_IJSG_SG_EEES6_PlJNSB_9not_fun_tI7is_trueIsEEEEEE10hipError_tPvRmT3_T4_T5_T6_T7_T9_mT8_P12ihipStream_tbDpT10_ENKUlT_T0_E_clISt17integral_constantIbLb1EES1A_IbLb0EEEEDaS16_S17_EUlS16_E_NS1_11comp_targetILNS1_3genE0ELNS1_11target_archE4294967295ELNS1_3gpuE0ELNS1_3repE0EEENS1_30default_config_static_selectorELNS0_4arch9wavefront6targetE0EEEvT1_, .Lfunc_end2317-_ZN7rocprim17ROCPRIM_400000_NS6detail17trampoline_kernelINS0_14default_configENS1_25partition_config_selectorILNS1_17partition_subalgoE6EsNS0_10empty_typeEbEEZZNS1_14partition_implILS5_6ELb0ES3_mN6thrust23THRUST_200600_302600_NS6detail15normal_iteratorINSA_10device_ptrIsEEEEPS6_SG_NS0_5tupleIJNSA_16discard_iteratorINSA_11use_defaultEEES6_EEENSH_IJSG_SG_EEES6_PlJNSB_9not_fun_tI7is_trueIsEEEEEE10hipError_tPvRmT3_T4_T5_T6_T7_T9_mT8_P12ihipStream_tbDpT10_ENKUlT_T0_E_clISt17integral_constantIbLb1EES1A_IbLb0EEEEDaS16_S17_EUlS16_E_NS1_11comp_targetILNS1_3genE0ELNS1_11target_archE4294967295ELNS1_3gpuE0ELNS1_3repE0EEENS1_30default_config_static_selectorELNS0_4arch9wavefront6targetE0EEEvT1_
                                        ; -- End function
	.set _ZN7rocprim17ROCPRIM_400000_NS6detail17trampoline_kernelINS0_14default_configENS1_25partition_config_selectorILNS1_17partition_subalgoE6EsNS0_10empty_typeEbEEZZNS1_14partition_implILS5_6ELb0ES3_mN6thrust23THRUST_200600_302600_NS6detail15normal_iteratorINSA_10device_ptrIsEEEEPS6_SG_NS0_5tupleIJNSA_16discard_iteratorINSA_11use_defaultEEES6_EEENSH_IJSG_SG_EEES6_PlJNSB_9not_fun_tI7is_trueIsEEEEEE10hipError_tPvRmT3_T4_T5_T6_T7_T9_mT8_P12ihipStream_tbDpT10_ENKUlT_T0_E_clISt17integral_constantIbLb1EES1A_IbLb0EEEEDaS16_S17_EUlS16_E_NS1_11comp_targetILNS1_3genE0ELNS1_11target_archE4294967295ELNS1_3gpuE0ELNS1_3repE0EEENS1_30default_config_static_selectorELNS0_4arch9wavefront6targetE0EEEvT1_.num_vgpr, 0
	.set _ZN7rocprim17ROCPRIM_400000_NS6detail17trampoline_kernelINS0_14default_configENS1_25partition_config_selectorILNS1_17partition_subalgoE6EsNS0_10empty_typeEbEEZZNS1_14partition_implILS5_6ELb0ES3_mN6thrust23THRUST_200600_302600_NS6detail15normal_iteratorINSA_10device_ptrIsEEEEPS6_SG_NS0_5tupleIJNSA_16discard_iteratorINSA_11use_defaultEEES6_EEENSH_IJSG_SG_EEES6_PlJNSB_9not_fun_tI7is_trueIsEEEEEE10hipError_tPvRmT3_T4_T5_T6_T7_T9_mT8_P12ihipStream_tbDpT10_ENKUlT_T0_E_clISt17integral_constantIbLb1EES1A_IbLb0EEEEDaS16_S17_EUlS16_E_NS1_11comp_targetILNS1_3genE0ELNS1_11target_archE4294967295ELNS1_3gpuE0ELNS1_3repE0EEENS1_30default_config_static_selectorELNS0_4arch9wavefront6targetE0EEEvT1_.num_agpr, 0
	.set _ZN7rocprim17ROCPRIM_400000_NS6detail17trampoline_kernelINS0_14default_configENS1_25partition_config_selectorILNS1_17partition_subalgoE6EsNS0_10empty_typeEbEEZZNS1_14partition_implILS5_6ELb0ES3_mN6thrust23THRUST_200600_302600_NS6detail15normal_iteratorINSA_10device_ptrIsEEEEPS6_SG_NS0_5tupleIJNSA_16discard_iteratorINSA_11use_defaultEEES6_EEENSH_IJSG_SG_EEES6_PlJNSB_9not_fun_tI7is_trueIsEEEEEE10hipError_tPvRmT3_T4_T5_T6_T7_T9_mT8_P12ihipStream_tbDpT10_ENKUlT_T0_E_clISt17integral_constantIbLb1EES1A_IbLb0EEEEDaS16_S17_EUlS16_E_NS1_11comp_targetILNS1_3genE0ELNS1_11target_archE4294967295ELNS1_3gpuE0ELNS1_3repE0EEENS1_30default_config_static_selectorELNS0_4arch9wavefront6targetE0EEEvT1_.numbered_sgpr, 0
	.set _ZN7rocprim17ROCPRIM_400000_NS6detail17trampoline_kernelINS0_14default_configENS1_25partition_config_selectorILNS1_17partition_subalgoE6EsNS0_10empty_typeEbEEZZNS1_14partition_implILS5_6ELb0ES3_mN6thrust23THRUST_200600_302600_NS6detail15normal_iteratorINSA_10device_ptrIsEEEEPS6_SG_NS0_5tupleIJNSA_16discard_iteratorINSA_11use_defaultEEES6_EEENSH_IJSG_SG_EEES6_PlJNSB_9not_fun_tI7is_trueIsEEEEEE10hipError_tPvRmT3_T4_T5_T6_T7_T9_mT8_P12ihipStream_tbDpT10_ENKUlT_T0_E_clISt17integral_constantIbLb1EES1A_IbLb0EEEEDaS16_S17_EUlS16_E_NS1_11comp_targetILNS1_3genE0ELNS1_11target_archE4294967295ELNS1_3gpuE0ELNS1_3repE0EEENS1_30default_config_static_selectorELNS0_4arch9wavefront6targetE0EEEvT1_.num_named_barrier, 0
	.set _ZN7rocprim17ROCPRIM_400000_NS6detail17trampoline_kernelINS0_14default_configENS1_25partition_config_selectorILNS1_17partition_subalgoE6EsNS0_10empty_typeEbEEZZNS1_14partition_implILS5_6ELb0ES3_mN6thrust23THRUST_200600_302600_NS6detail15normal_iteratorINSA_10device_ptrIsEEEEPS6_SG_NS0_5tupleIJNSA_16discard_iteratorINSA_11use_defaultEEES6_EEENSH_IJSG_SG_EEES6_PlJNSB_9not_fun_tI7is_trueIsEEEEEE10hipError_tPvRmT3_T4_T5_T6_T7_T9_mT8_P12ihipStream_tbDpT10_ENKUlT_T0_E_clISt17integral_constantIbLb1EES1A_IbLb0EEEEDaS16_S17_EUlS16_E_NS1_11comp_targetILNS1_3genE0ELNS1_11target_archE4294967295ELNS1_3gpuE0ELNS1_3repE0EEENS1_30default_config_static_selectorELNS0_4arch9wavefront6targetE0EEEvT1_.private_seg_size, 0
	.set _ZN7rocprim17ROCPRIM_400000_NS6detail17trampoline_kernelINS0_14default_configENS1_25partition_config_selectorILNS1_17partition_subalgoE6EsNS0_10empty_typeEbEEZZNS1_14partition_implILS5_6ELb0ES3_mN6thrust23THRUST_200600_302600_NS6detail15normal_iteratorINSA_10device_ptrIsEEEEPS6_SG_NS0_5tupleIJNSA_16discard_iteratorINSA_11use_defaultEEES6_EEENSH_IJSG_SG_EEES6_PlJNSB_9not_fun_tI7is_trueIsEEEEEE10hipError_tPvRmT3_T4_T5_T6_T7_T9_mT8_P12ihipStream_tbDpT10_ENKUlT_T0_E_clISt17integral_constantIbLb1EES1A_IbLb0EEEEDaS16_S17_EUlS16_E_NS1_11comp_targetILNS1_3genE0ELNS1_11target_archE4294967295ELNS1_3gpuE0ELNS1_3repE0EEENS1_30default_config_static_selectorELNS0_4arch9wavefront6targetE0EEEvT1_.uses_vcc, 0
	.set _ZN7rocprim17ROCPRIM_400000_NS6detail17trampoline_kernelINS0_14default_configENS1_25partition_config_selectorILNS1_17partition_subalgoE6EsNS0_10empty_typeEbEEZZNS1_14partition_implILS5_6ELb0ES3_mN6thrust23THRUST_200600_302600_NS6detail15normal_iteratorINSA_10device_ptrIsEEEEPS6_SG_NS0_5tupleIJNSA_16discard_iteratorINSA_11use_defaultEEES6_EEENSH_IJSG_SG_EEES6_PlJNSB_9not_fun_tI7is_trueIsEEEEEE10hipError_tPvRmT3_T4_T5_T6_T7_T9_mT8_P12ihipStream_tbDpT10_ENKUlT_T0_E_clISt17integral_constantIbLb1EES1A_IbLb0EEEEDaS16_S17_EUlS16_E_NS1_11comp_targetILNS1_3genE0ELNS1_11target_archE4294967295ELNS1_3gpuE0ELNS1_3repE0EEENS1_30default_config_static_selectorELNS0_4arch9wavefront6targetE0EEEvT1_.uses_flat_scratch, 0
	.set _ZN7rocprim17ROCPRIM_400000_NS6detail17trampoline_kernelINS0_14default_configENS1_25partition_config_selectorILNS1_17partition_subalgoE6EsNS0_10empty_typeEbEEZZNS1_14partition_implILS5_6ELb0ES3_mN6thrust23THRUST_200600_302600_NS6detail15normal_iteratorINSA_10device_ptrIsEEEEPS6_SG_NS0_5tupleIJNSA_16discard_iteratorINSA_11use_defaultEEES6_EEENSH_IJSG_SG_EEES6_PlJNSB_9not_fun_tI7is_trueIsEEEEEE10hipError_tPvRmT3_T4_T5_T6_T7_T9_mT8_P12ihipStream_tbDpT10_ENKUlT_T0_E_clISt17integral_constantIbLb1EES1A_IbLb0EEEEDaS16_S17_EUlS16_E_NS1_11comp_targetILNS1_3genE0ELNS1_11target_archE4294967295ELNS1_3gpuE0ELNS1_3repE0EEENS1_30default_config_static_selectorELNS0_4arch9wavefront6targetE0EEEvT1_.has_dyn_sized_stack, 0
	.set _ZN7rocprim17ROCPRIM_400000_NS6detail17trampoline_kernelINS0_14default_configENS1_25partition_config_selectorILNS1_17partition_subalgoE6EsNS0_10empty_typeEbEEZZNS1_14partition_implILS5_6ELb0ES3_mN6thrust23THRUST_200600_302600_NS6detail15normal_iteratorINSA_10device_ptrIsEEEEPS6_SG_NS0_5tupleIJNSA_16discard_iteratorINSA_11use_defaultEEES6_EEENSH_IJSG_SG_EEES6_PlJNSB_9not_fun_tI7is_trueIsEEEEEE10hipError_tPvRmT3_T4_T5_T6_T7_T9_mT8_P12ihipStream_tbDpT10_ENKUlT_T0_E_clISt17integral_constantIbLb1EES1A_IbLb0EEEEDaS16_S17_EUlS16_E_NS1_11comp_targetILNS1_3genE0ELNS1_11target_archE4294967295ELNS1_3gpuE0ELNS1_3repE0EEENS1_30default_config_static_selectorELNS0_4arch9wavefront6targetE0EEEvT1_.has_recursion, 0
	.set _ZN7rocprim17ROCPRIM_400000_NS6detail17trampoline_kernelINS0_14default_configENS1_25partition_config_selectorILNS1_17partition_subalgoE6EsNS0_10empty_typeEbEEZZNS1_14partition_implILS5_6ELb0ES3_mN6thrust23THRUST_200600_302600_NS6detail15normal_iteratorINSA_10device_ptrIsEEEEPS6_SG_NS0_5tupleIJNSA_16discard_iteratorINSA_11use_defaultEEES6_EEENSH_IJSG_SG_EEES6_PlJNSB_9not_fun_tI7is_trueIsEEEEEE10hipError_tPvRmT3_T4_T5_T6_T7_T9_mT8_P12ihipStream_tbDpT10_ENKUlT_T0_E_clISt17integral_constantIbLb1EES1A_IbLb0EEEEDaS16_S17_EUlS16_E_NS1_11comp_targetILNS1_3genE0ELNS1_11target_archE4294967295ELNS1_3gpuE0ELNS1_3repE0EEENS1_30default_config_static_selectorELNS0_4arch9wavefront6targetE0EEEvT1_.has_indirect_call, 0
	.section	.AMDGPU.csdata,"",@progbits
; Kernel info:
; codeLenInByte = 0
; TotalNumSgprs: 0
; NumVgprs: 0
; ScratchSize: 0
; MemoryBound: 0
; FloatMode: 240
; IeeeMode: 1
; LDSByteSize: 0 bytes/workgroup (compile time only)
; SGPRBlocks: 0
; VGPRBlocks: 0
; NumSGPRsForWavesPerEU: 1
; NumVGPRsForWavesPerEU: 1
; Occupancy: 16
; WaveLimiterHint : 0
; COMPUTE_PGM_RSRC2:SCRATCH_EN: 0
; COMPUTE_PGM_RSRC2:USER_SGPR: 2
; COMPUTE_PGM_RSRC2:TRAP_HANDLER: 0
; COMPUTE_PGM_RSRC2:TGID_X_EN: 1
; COMPUTE_PGM_RSRC2:TGID_Y_EN: 0
; COMPUTE_PGM_RSRC2:TGID_Z_EN: 0
; COMPUTE_PGM_RSRC2:TIDIG_COMP_CNT: 0
	.section	.text._ZN7rocprim17ROCPRIM_400000_NS6detail17trampoline_kernelINS0_14default_configENS1_25partition_config_selectorILNS1_17partition_subalgoE6EsNS0_10empty_typeEbEEZZNS1_14partition_implILS5_6ELb0ES3_mN6thrust23THRUST_200600_302600_NS6detail15normal_iteratorINSA_10device_ptrIsEEEEPS6_SG_NS0_5tupleIJNSA_16discard_iteratorINSA_11use_defaultEEES6_EEENSH_IJSG_SG_EEES6_PlJNSB_9not_fun_tI7is_trueIsEEEEEE10hipError_tPvRmT3_T4_T5_T6_T7_T9_mT8_P12ihipStream_tbDpT10_ENKUlT_T0_E_clISt17integral_constantIbLb1EES1A_IbLb0EEEEDaS16_S17_EUlS16_E_NS1_11comp_targetILNS1_3genE5ELNS1_11target_archE942ELNS1_3gpuE9ELNS1_3repE0EEENS1_30default_config_static_selectorELNS0_4arch9wavefront6targetE0EEEvT1_,"axG",@progbits,_ZN7rocprim17ROCPRIM_400000_NS6detail17trampoline_kernelINS0_14default_configENS1_25partition_config_selectorILNS1_17partition_subalgoE6EsNS0_10empty_typeEbEEZZNS1_14partition_implILS5_6ELb0ES3_mN6thrust23THRUST_200600_302600_NS6detail15normal_iteratorINSA_10device_ptrIsEEEEPS6_SG_NS0_5tupleIJNSA_16discard_iteratorINSA_11use_defaultEEES6_EEENSH_IJSG_SG_EEES6_PlJNSB_9not_fun_tI7is_trueIsEEEEEE10hipError_tPvRmT3_T4_T5_T6_T7_T9_mT8_P12ihipStream_tbDpT10_ENKUlT_T0_E_clISt17integral_constantIbLb1EES1A_IbLb0EEEEDaS16_S17_EUlS16_E_NS1_11comp_targetILNS1_3genE5ELNS1_11target_archE942ELNS1_3gpuE9ELNS1_3repE0EEENS1_30default_config_static_selectorELNS0_4arch9wavefront6targetE0EEEvT1_,comdat
	.protected	_ZN7rocprim17ROCPRIM_400000_NS6detail17trampoline_kernelINS0_14default_configENS1_25partition_config_selectorILNS1_17partition_subalgoE6EsNS0_10empty_typeEbEEZZNS1_14partition_implILS5_6ELb0ES3_mN6thrust23THRUST_200600_302600_NS6detail15normal_iteratorINSA_10device_ptrIsEEEEPS6_SG_NS0_5tupleIJNSA_16discard_iteratorINSA_11use_defaultEEES6_EEENSH_IJSG_SG_EEES6_PlJNSB_9not_fun_tI7is_trueIsEEEEEE10hipError_tPvRmT3_T4_T5_T6_T7_T9_mT8_P12ihipStream_tbDpT10_ENKUlT_T0_E_clISt17integral_constantIbLb1EES1A_IbLb0EEEEDaS16_S17_EUlS16_E_NS1_11comp_targetILNS1_3genE5ELNS1_11target_archE942ELNS1_3gpuE9ELNS1_3repE0EEENS1_30default_config_static_selectorELNS0_4arch9wavefront6targetE0EEEvT1_ ; -- Begin function _ZN7rocprim17ROCPRIM_400000_NS6detail17trampoline_kernelINS0_14default_configENS1_25partition_config_selectorILNS1_17partition_subalgoE6EsNS0_10empty_typeEbEEZZNS1_14partition_implILS5_6ELb0ES3_mN6thrust23THRUST_200600_302600_NS6detail15normal_iteratorINSA_10device_ptrIsEEEEPS6_SG_NS0_5tupleIJNSA_16discard_iteratorINSA_11use_defaultEEES6_EEENSH_IJSG_SG_EEES6_PlJNSB_9not_fun_tI7is_trueIsEEEEEE10hipError_tPvRmT3_T4_T5_T6_T7_T9_mT8_P12ihipStream_tbDpT10_ENKUlT_T0_E_clISt17integral_constantIbLb1EES1A_IbLb0EEEEDaS16_S17_EUlS16_E_NS1_11comp_targetILNS1_3genE5ELNS1_11target_archE942ELNS1_3gpuE9ELNS1_3repE0EEENS1_30default_config_static_selectorELNS0_4arch9wavefront6targetE0EEEvT1_
	.globl	_ZN7rocprim17ROCPRIM_400000_NS6detail17trampoline_kernelINS0_14default_configENS1_25partition_config_selectorILNS1_17partition_subalgoE6EsNS0_10empty_typeEbEEZZNS1_14partition_implILS5_6ELb0ES3_mN6thrust23THRUST_200600_302600_NS6detail15normal_iteratorINSA_10device_ptrIsEEEEPS6_SG_NS0_5tupleIJNSA_16discard_iteratorINSA_11use_defaultEEES6_EEENSH_IJSG_SG_EEES6_PlJNSB_9not_fun_tI7is_trueIsEEEEEE10hipError_tPvRmT3_T4_T5_T6_T7_T9_mT8_P12ihipStream_tbDpT10_ENKUlT_T0_E_clISt17integral_constantIbLb1EES1A_IbLb0EEEEDaS16_S17_EUlS16_E_NS1_11comp_targetILNS1_3genE5ELNS1_11target_archE942ELNS1_3gpuE9ELNS1_3repE0EEENS1_30default_config_static_selectorELNS0_4arch9wavefront6targetE0EEEvT1_
	.p2align	8
	.type	_ZN7rocprim17ROCPRIM_400000_NS6detail17trampoline_kernelINS0_14default_configENS1_25partition_config_selectorILNS1_17partition_subalgoE6EsNS0_10empty_typeEbEEZZNS1_14partition_implILS5_6ELb0ES3_mN6thrust23THRUST_200600_302600_NS6detail15normal_iteratorINSA_10device_ptrIsEEEEPS6_SG_NS0_5tupleIJNSA_16discard_iteratorINSA_11use_defaultEEES6_EEENSH_IJSG_SG_EEES6_PlJNSB_9not_fun_tI7is_trueIsEEEEEE10hipError_tPvRmT3_T4_T5_T6_T7_T9_mT8_P12ihipStream_tbDpT10_ENKUlT_T0_E_clISt17integral_constantIbLb1EES1A_IbLb0EEEEDaS16_S17_EUlS16_E_NS1_11comp_targetILNS1_3genE5ELNS1_11target_archE942ELNS1_3gpuE9ELNS1_3repE0EEENS1_30default_config_static_selectorELNS0_4arch9wavefront6targetE0EEEvT1_,@function
_ZN7rocprim17ROCPRIM_400000_NS6detail17trampoline_kernelINS0_14default_configENS1_25partition_config_selectorILNS1_17partition_subalgoE6EsNS0_10empty_typeEbEEZZNS1_14partition_implILS5_6ELb0ES3_mN6thrust23THRUST_200600_302600_NS6detail15normal_iteratorINSA_10device_ptrIsEEEEPS6_SG_NS0_5tupleIJNSA_16discard_iteratorINSA_11use_defaultEEES6_EEENSH_IJSG_SG_EEES6_PlJNSB_9not_fun_tI7is_trueIsEEEEEE10hipError_tPvRmT3_T4_T5_T6_T7_T9_mT8_P12ihipStream_tbDpT10_ENKUlT_T0_E_clISt17integral_constantIbLb1EES1A_IbLb0EEEEDaS16_S17_EUlS16_E_NS1_11comp_targetILNS1_3genE5ELNS1_11target_archE942ELNS1_3gpuE9ELNS1_3repE0EEENS1_30default_config_static_selectorELNS0_4arch9wavefront6targetE0EEEvT1_: ; @_ZN7rocprim17ROCPRIM_400000_NS6detail17trampoline_kernelINS0_14default_configENS1_25partition_config_selectorILNS1_17partition_subalgoE6EsNS0_10empty_typeEbEEZZNS1_14partition_implILS5_6ELb0ES3_mN6thrust23THRUST_200600_302600_NS6detail15normal_iteratorINSA_10device_ptrIsEEEEPS6_SG_NS0_5tupleIJNSA_16discard_iteratorINSA_11use_defaultEEES6_EEENSH_IJSG_SG_EEES6_PlJNSB_9not_fun_tI7is_trueIsEEEEEE10hipError_tPvRmT3_T4_T5_T6_T7_T9_mT8_P12ihipStream_tbDpT10_ENKUlT_T0_E_clISt17integral_constantIbLb1EES1A_IbLb0EEEEDaS16_S17_EUlS16_E_NS1_11comp_targetILNS1_3genE5ELNS1_11target_archE942ELNS1_3gpuE9ELNS1_3repE0EEENS1_30default_config_static_selectorELNS0_4arch9wavefront6targetE0EEEvT1_
; %bb.0:
	.section	.rodata,"a",@progbits
	.p2align	6, 0x0
	.amdhsa_kernel _ZN7rocprim17ROCPRIM_400000_NS6detail17trampoline_kernelINS0_14default_configENS1_25partition_config_selectorILNS1_17partition_subalgoE6EsNS0_10empty_typeEbEEZZNS1_14partition_implILS5_6ELb0ES3_mN6thrust23THRUST_200600_302600_NS6detail15normal_iteratorINSA_10device_ptrIsEEEEPS6_SG_NS0_5tupleIJNSA_16discard_iteratorINSA_11use_defaultEEES6_EEENSH_IJSG_SG_EEES6_PlJNSB_9not_fun_tI7is_trueIsEEEEEE10hipError_tPvRmT3_T4_T5_T6_T7_T9_mT8_P12ihipStream_tbDpT10_ENKUlT_T0_E_clISt17integral_constantIbLb1EES1A_IbLb0EEEEDaS16_S17_EUlS16_E_NS1_11comp_targetILNS1_3genE5ELNS1_11target_archE942ELNS1_3gpuE9ELNS1_3repE0EEENS1_30default_config_static_selectorELNS0_4arch9wavefront6targetE0EEEvT1_
		.amdhsa_group_segment_fixed_size 0
		.amdhsa_private_segment_fixed_size 0
		.amdhsa_kernarg_size 120
		.amdhsa_user_sgpr_count 2
		.amdhsa_user_sgpr_dispatch_ptr 0
		.amdhsa_user_sgpr_queue_ptr 0
		.amdhsa_user_sgpr_kernarg_segment_ptr 1
		.amdhsa_user_sgpr_dispatch_id 0
		.amdhsa_user_sgpr_private_segment_size 0
		.amdhsa_wavefront_size32 1
		.amdhsa_uses_dynamic_stack 0
		.amdhsa_enable_private_segment 0
		.amdhsa_system_sgpr_workgroup_id_x 1
		.amdhsa_system_sgpr_workgroup_id_y 0
		.amdhsa_system_sgpr_workgroup_id_z 0
		.amdhsa_system_sgpr_workgroup_info 0
		.amdhsa_system_vgpr_workitem_id 0
		.amdhsa_next_free_vgpr 1
		.amdhsa_next_free_sgpr 1
		.amdhsa_reserve_vcc 0
		.amdhsa_float_round_mode_32 0
		.amdhsa_float_round_mode_16_64 0
		.amdhsa_float_denorm_mode_32 3
		.amdhsa_float_denorm_mode_16_64 3
		.amdhsa_fp16_overflow 0
		.amdhsa_workgroup_processor_mode 1
		.amdhsa_memory_ordered 1
		.amdhsa_forward_progress 1
		.amdhsa_inst_pref_size 0
		.amdhsa_round_robin_scheduling 0
		.amdhsa_exception_fp_ieee_invalid_op 0
		.amdhsa_exception_fp_denorm_src 0
		.amdhsa_exception_fp_ieee_div_zero 0
		.amdhsa_exception_fp_ieee_overflow 0
		.amdhsa_exception_fp_ieee_underflow 0
		.amdhsa_exception_fp_ieee_inexact 0
		.amdhsa_exception_int_div_zero 0
	.end_amdhsa_kernel
	.section	.text._ZN7rocprim17ROCPRIM_400000_NS6detail17trampoline_kernelINS0_14default_configENS1_25partition_config_selectorILNS1_17partition_subalgoE6EsNS0_10empty_typeEbEEZZNS1_14partition_implILS5_6ELb0ES3_mN6thrust23THRUST_200600_302600_NS6detail15normal_iteratorINSA_10device_ptrIsEEEEPS6_SG_NS0_5tupleIJNSA_16discard_iteratorINSA_11use_defaultEEES6_EEENSH_IJSG_SG_EEES6_PlJNSB_9not_fun_tI7is_trueIsEEEEEE10hipError_tPvRmT3_T4_T5_T6_T7_T9_mT8_P12ihipStream_tbDpT10_ENKUlT_T0_E_clISt17integral_constantIbLb1EES1A_IbLb0EEEEDaS16_S17_EUlS16_E_NS1_11comp_targetILNS1_3genE5ELNS1_11target_archE942ELNS1_3gpuE9ELNS1_3repE0EEENS1_30default_config_static_selectorELNS0_4arch9wavefront6targetE0EEEvT1_,"axG",@progbits,_ZN7rocprim17ROCPRIM_400000_NS6detail17trampoline_kernelINS0_14default_configENS1_25partition_config_selectorILNS1_17partition_subalgoE6EsNS0_10empty_typeEbEEZZNS1_14partition_implILS5_6ELb0ES3_mN6thrust23THRUST_200600_302600_NS6detail15normal_iteratorINSA_10device_ptrIsEEEEPS6_SG_NS0_5tupleIJNSA_16discard_iteratorINSA_11use_defaultEEES6_EEENSH_IJSG_SG_EEES6_PlJNSB_9not_fun_tI7is_trueIsEEEEEE10hipError_tPvRmT3_T4_T5_T6_T7_T9_mT8_P12ihipStream_tbDpT10_ENKUlT_T0_E_clISt17integral_constantIbLb1EES1A_IbLb0EEEEDaS16_S17_EUlS16_E_NS1_11comp_targetILNS1_3genE5ELNS1_11target_archE942ELNS1_3gpuE9ELNS1_3repE0EEENS1_30default_config_static_selectorELNS0_4arch9wavefront6targetE0EEEvT1_,comdat
.Lfunc_end2318:
	.size	_ZN7rocprim17ROCPRIM_400000_NS6detail17trampoline_kernelINS0_14default_configENS1_25partition_config_selectorILNS1_17partition_subalgoE6EsNS0_10empty_typeEbEEZZNS1_14partition_implILS5_6ELb0ES3_mN6thrust23THRUST_200600_302600_NS6detail15normal_iteratorINSA_10device_ptrIsEEEEPS6_SG_NS0_5tupleIJNSA_16discard_iteratorINSA_11use_defaultEEES6_EEENSH_IJSG_SG_EEES6_PlJNSB_9not_fun_tI7is_trueIsEEEEEE10hipError_tPvRmT3_T4_T5_T6_T7_T9_mT8_P12ihipStream_tbDpT10_ENKUlT_T0_E_clISt17integral_constantIbLb1EES1A_IbLb0EEEEDaS16_S17_EUlS16_E_NS1_11comp_targetILNS1_3genE5ELNS1_11target_archE942ELNS1_3gpuE9ELNS1_3repE0EEENS1_30default_config_static_selectorELNS0_4arch9wavefront6targetE0EEEvT1_, .Lfunc_end2318-_ZN7rocprim17ROCPRIM_400000_NS6detail17trampoline_kernelINS0_14default_configENS1_25partition_config_selectorILNS1_17partition_subalgoE6EsNS0_10empty_typeEbEEZZNS1_14partition_implILS5_6ELb0ES3_mN6thrust23THRUST_200600_302600_NS6detail15normal_iteratorINSA_10device_ptrIsEEEEPS6_SG_NS0_5tupleIJNSA_16discard_iteratorINSA_11use_defaultEEES6_EEENSH_IJSG_SG_EEES6_PlJNSB_9not_fun_tI7is_trueIsEEEEEE10hipError_tPvRmT3_T4_T5_T6_T7_T9_mT8_P12ihipStream_tbDpT10_ENKUlT_T0_E_clISt17integral_constantIbLb1EES1A_IbLb0EEEEDaS16_S17_EUlS16_E_NS1_11comp_targetILNS1_3genE5ELNS1_11target_archE942ELNS1_3gpuE9ELNS1_3repE0EEENS1_30default_config_static_selectorELNS0_4arch9wavefront6targetE0EEEvT1_
                                        ; -- End function
	.set _ZN7rocprim17ROCPRIM_400000_NS6detail17trampoline_kernelINS0_14default_configENS1_25partition_config_selectorILNS1_17partition_subalgoE6EsNS0_10empty_typeEbEEZZNS1_14partition_implILS5_6ELb0ES3_mN6thrust23THRUST_200600_302600_NS6detail15normal_iteratorINSA_10device_ptrIsEEEEPS6_SG_NS0_5tupleIJNSA_16discard_iteratorINSA_11use_defaultEEES6_EEENSH_IJSG_SG_EEES6_PlJNSB_9not_fun_tI7is_trueIsEEEEEE10hipError_tPvRmT3_T4_T5_T6_T7_T9_mT8_P12ihipStream_tbDpT10_ENKUlT_T0_E_clISt17integral_constantIbLb1EES1A_IbLb0EEEEDaS16_S17_EUlS16_E_NS1_11comp_targetILNS1_3genE5ELNS1_11target_archE942ELNS1_3gpuE9ELNS1_3repE0EEENS1_30default_config_static_selectorELNS0_4arch9wavefront6targetE0EEEvT1_.num_vgpr, 0
	.set _ZN7rocprim17ROCPRIM_400000_NS6detail17trampoline_kernelINS0_14default_configENS1_25partition_config_selectorILNS1_17partition_subalgoE6EsNS0_10empty_typeEbEEZZNS1_14partition_implILS5_6ELb0ES3_mN6thrust23THRUST_200600_302600_NS6detail15normal_iteratorINSA_10device_ptrIsEEEEPS6_SG_NS0_5tupleIJNSA_16discard_iteratorINSA_11use_defaultEEES6_EEENSH_IJSG_SG_EEES6_PlJNSB_9not_fun_tI7is_trueIsEEEEEE10hipError_tPvRmT3_T4_T5_T6_T7_T9_mT8_P12ihipStream_tbDpT10_ENKUlT_T0_E_clISt17integral_constantIbLb1EES1A_IbLb0EEEEDaS16_S17_EUlS16_E_NS1_11comp_targetILNS1_3genE5ELNS1_11target_archE942ELNS1_3gpuE9ELNS1_3repE0EEENS1_30default_config_static_selectorELNS0_4arch9wavefront6targetE0EEEvT1_.num_agpr, 0
	.set _ZN7rocprim17ROCPRIM_400000_NS6detail17trampoline_kernelINS0_14default_configENS1_25partition_config_selectorILNS1_17partition_subalgoE6EsNS0_10empty_typeEbEEZZNS1_14partition_implILS5_6ELb0ES3_mN6thrust23THRUST_200600_302600_NS6detail15normal_iteratorINSA_10device_ptrIsEEEEPS6_SG_NS0_5tupleIJNSA_16discard_iteratorINSA_11use_defaultEEES6_EEENSH_IJSG_SG_EEES6_PlJNSB_9not_fun_tI7is_trueIsEEEEEE10hipError_tPvRmT3_T4_T5_T6_T7_T9_mT8_P12ihipStream_tbDpT10_ENKUlT_T0_E_clISt17integral_constantIbLb1EES1A_IbLb0EEEEDaS16_S17_EUlS16_E_NS1_11comp_targetILNS1_3genE5ELNS1_11target_archE942ELNS1_3gpuE9ELNS1_3repE0EEENS1_30default_config_static_selectorELNS0_4arch9wavefront6targetE0EEEvT1_.numbered_sgpr, 0
	.set _ZN7rocprim17ROCPRIM_400000_NS6detail17trampoline_kernelINS0_14default_configENS1_25partition_config_selectorILNS1_17partition_subalgoE6EsNS0_10empty_typeEbEEZZNS1_14partition_implILS5_6ELb0ES3_mN6thrust23THRUST_200600_302600_NS6detail15normal_iteratorINSA_10device_ptrIsEEEEPS6_SG_NS0_5tupleIJNSA_16discard_iteratorINSA_11use_defaultEEES6_EEENSH_IJSG_SG_EEES6_PlJNSB_9not_fun_tI7is_trueIsEEEEEE10hipError_tPvRmT3_T4_T5_T6_T7_T9_mT8_P12ihipStream_tbDpT10_ENKUlT_T0_E_clISt17integral_constantIbLb1EES1A_IbLb0EEEEDaS16_S17_EUlS16_E_NS1_11comp_targetILNS1_3genE5ELNS1_11target_archE942ELNS1_3gpuE9ELNS1_3repE0EEENS1_30default_config_static_selectorELNS0_4arch9wavefront6targetE0EEEvT1_.num_named_barrier, 0
	.set _ZN7rocprim17ROCPRIM_400000_NS6detail17trampoline_kernelINS0_14default_configENS1_25partition_config_selectorILNS1_17partition_subalgoE6EsNS0_10empty_typeEbEEZZNS1_14partition_implILS5_6ELb0ES3_mN6thrust23THRUST_200600_302600_NS6detail15normal_iteratorINSA_10device_ptrIsEEEEPS6_SG_NS0_5tupleIJNSA_16discard_iteratorINSA_11use_defaultEEES6_EEENSH_IJSG_SG_EEES6_PlJNSB_9not_fun_tI7is_trueIsEEEEEE10hipError_tPvRmT3_T4_T5_T6_T7_T9_mT8_P12ihipStream_tbDpT10_ENKUlT_T0_E_clISt17integral_constantIbLb1EES1A_IbLb0EEEEDaS16_S17_EUlS16_E_NS1_11comp_targetILNS1_3genE5ELNS1_11target_archE942ELNS1_3gpuE9ELNS1_3repE0EEENS1_30default_config_static_selectorELNS0_4arch9wavefront6targetE0EEEvT1_.private_seg_size, 0
	.set _ZN7rocprim17ROCPRIM_400000_NS6detail17trampoline_kernelINS0_14default_configENS1_25partition_config_selectorILNS1_17partition_subalgoE6EsNS0_10empty_typeEbEEZZNS1_14partition_implILS5_6ELb0ES3_mN6thrust23THRUST_200600_302600_NS6detail15normal_iteratorINSA_10device_ptrIsEEEEPS6_SG_NS0_5tupleIJNSA_16discard_iteratorINSA_11use_defaultEEES6_EEENSH_IJSG_SG_EEES6_PlJNSB_9not_fun_tI7is_trueIsEEEEEE10hipError_tPvRmT3_T4_T5_T6_T7_T9_mT8_P12ihipStream_tbDpT10_ENKUlT_T0_E_clISt17integral_constantIbLb1EES1A_IbLb0EEEEDaS16_S17_EUlS16_E_NS1_11comp_targetILNS1_3genE5ELNS1_11target_archE942ELNS1_3gpuE9ELNS1_3repE0EEENS1_30default_config_static_selectorELNS0_4arch9wavefront6targetE0EEEvT1_.uses_vcc, 0
	.set _ZN7rocprim17ROCPRIM_400000_NS6detail17trampoline_kernelINS0_14default_configENS1_25partition_config_selectorILNS1_17partition_subalgoE6EsNS0_10empty_typeEbEEZZNS1_14partition_implILS5_6ELb0ES3_mN6thrust23THRUST_200600_302600_NS6detail15normal_iteratorINSA_10device_ptrIsEEEEPS6_SG_NS0_5tupleIJNSA_16discard_iteratorINSA_11use_defaultEEES6_EEENSH_IJSG_SG_EEES6_PlJNSB_9not_fun_tI7is_trueIsEEEEEE10hipError_tPvRmT3_T4_T5_T6_T7_T9_mT8_P12ihipStream_tbDpT10_ENKUlT_T0_E_clISt17integral_constantIbLb1EES1A_IbLb0EEEEDaS16_S17_EUlS16_E_NS1_11comp_targetILNS1_3genE5ELNS1_11target_archE942ELNS1_3gpuE9ELNS1_3repE0EEENS1_30default_config_static_selectorELNS0_4arch9wavefront6targetE0EEEvT1_.uses_flat_scratch, 0
	.set _ZN7rocprim17ROCPRIM_400000_NS6detail17trampoline_kernelINS0_14default_configENS1_25partition_config_selectorILNS1_17partition_subalgoE6EsNS0_10empty_typeEbEEZZNS1_14partition_implILS5_6ELb0ES3_mN6thrust23THRUST_200600_302600_NS6detail15normal_iteratorINSA_10device_ptrIsEEEEPS6_SG_NS0_5tupleIJNSA_16discard_iteratorINSA_11use_defaultEEES6_EEENSH_IJSG_SG_EEES6_PlJNSB_9not_fun_tI7is_trueIsEEEEEE10hipError_tPvRmT3_T4_T5_T6_T7_T9_mT8_P12ihipStream_tbDpT10_ENKUlT_T0_E_clISt17integral_constantIbLb1EES1A_IbLb0EEEEDaS16_S17_EUlS16_E_NS1_11comp_targetILNS1_3genE5ELNS1_11target_archE942ELNS1_3gpuE9ELNS1_3repE0EEENS1_30default_config_static_selectorELNS0_4arch9wavefront6targetE0EEEvT1_.has_dyn_sized_stack, 0
	.set _ZN7rocprim17ROCPRIM_400000_NS6detail17trampoline_kernelINS0_14default_configENS1_25partition_config_selectorILNS1_17partition_subalgoE6EsNS0_10empty_typeEbEEZZNS1_14partition_implILS5_6ELb0ES3_mN6thrust23THRUST_200600_302600_NS6detail15normal_iteratorINSA_10device_ptrIsEEEEPS6_SG_NS0_5tupleIJNSA_16discard_iteratorINSA_11use_defaultEEES6_EEENSH_IJSG_SG_EEES6_PlJNSB_9not_fun_tI7is_trueIsEEEEEE10hipError_tPvRmT3_T4_T5_T6_T7_T9_mT8_P12ihipStream_tbDpT10_ENKUlT_T0_E_clISt17integral_constantIbLb1EES1A_IbLb0EEEEDaS16_S17_EUlS16_E_NS1_11comp_targetILNS1_3genE5ELNS1_11target_archE942ELNS1_3gpuE9ELNS1_3repE0EEENS1_30default_config_static_selectorELNS0_4arch9wavefront6targetE0EEEvT1_.has_recursion, 0
	.set _ZN7rocprim17ROCPRIM_400000_NS6detail17trampoline_kernelINS0_14default_configENS1_25partition_config_selectorILNS1_17partition_subalgoE6EsNS0_10empty_typeEbEEZZNS1_14partition_implILS5_6ELb0ES3_mN6thrust23THRUST_200600_302600_NS6detail15normal_iteratorINSA_10device_ptrIsEEEEPS6_SG_NS0_5tupleIJNSA_16discard_iteratorINSA_11use_defaultEEES6_EEENSH_IJSG_SG_EEES6_PlJNSB_9not_fun_tI7is_trueIsEEEEEE10hipError_tPvRmT3_T4_T5_T6_T7_T9_mT8_P12ihipStream_tbDpT10_ENKUlT_T0_E_clISt17integral_constantIbLb1EES1A_IbLb0EEEEDaS16_S17_EUlS16_E_NS1_11comp_targetILNS1_3genE5ELNS1_11target_archE942ELNS1_3gpuE9ELNS1_3repE0EEENS1_30default_config_static_selectorELNS0_4arch9wavefront6targetE0EEEvT1_.has_indirect_call, 0
	.section	.AMDGPU.csdata,"",@progbits
; Kernel info:
; codeLenInByte = 0
; TotalNumSgprs: 0
; NumVgprs: 0
; ScratchSize: 0
; MemoryBound: 0
; FloatMode: 240
; IeeeMode: 1
; LDSByteSize: 0 bytes/workgroup (compile time only)
; SGPRBlocks: 0
; VGPRBlocks: 0
; NumSGPRsForWavesPerEU: 1
; NumVGPRsForWavesPerEU: 1
; Occupancy: 16
; WaveLimiterHint : 0
; COMPUTE_PGM_RSRC2:SCRATCH_EN: 0
; COMPUTE_PGM_RSRC2:USER_SGPR: 2
; COMPUTE_PGM_RSRC2:TRAP_HANDLER: 0
; COMPUTE_PGM_RSRC2:TGID_X_EN: 1
; COMPUTE_PGM_RSRC2:TGID_Y_EN: 0
; COMPUTE_PGM_RSRC2:TGID_Z_EN: 0
; COMPUTE_PGM_RSRC2:TIDIG_COMP_CNT: 0
	.section	.text._ZN7rocprim17ROCPRIM_400000_NS6detail17trampoline_kernelINS0_14default_configENS1_25partition_config_selectorILNS1_17partition_subalgoE6EsNS0_10empty_typeEbEEZZNS1_14partition_implILS5_6ELb0ES3_mN6thrust23THRUST_200600_302600_NS6detail15normal_iteratorINSA_10device_ptrIsEEEEPS6_SG_NS0_5tupleIJNSA_16discard_iteratorINSA_11use_defaultEEES6_EEENSH_IJSG_SG_EEES6_PlJNSB_9not_fun_tI7is_trueIsEEEEEE10hipError_tPvRmT3_T4_T5_T6_T7_T9_mT8_P12ihipStream_tbDpT10_ENKUlT_T0_E_clISt17integral_constantIbLb1EES1A_IbLb0EEEEDaS16_S17_EUlS16_E_NS1_11comp_targetILNS1_3genE4ELNS1_11target_archE910ELNS1_3gpuE8ELNS1_3repE0EEENS1_30default_config_static_selectorELNS0_4arch9wavefront6targetE0EEEvT1_,"axG",@progbits,_ZN7rocprim17ROCPRIM_400000_NS6detail17trampoline_kernelINS0_14default_configENS1_25partition_config_selectorILNS1_17partition_subalgoE6EsNS0_10empty_typeEbEEZZNS1_14partition_implILS5_6ELb0ES3_mN6thrust23THRUST_200600_302600_NS6detail15normal_iteratorINSA_10device_ptrIsEEEEPS6_SG_NS0_5tupleIJNSA_16discard_iteratorINSA_11use_defaultEEES6_EEENSH_IJSG_SG_EEES6_PlJNSB_9not_fun_tI7is_trueIsEEEEEE10hipError_tPvRmT3_T4_T5_T6_T7_T9_mT8_P12ihipStream_tbDpT10_ENKUlT_T0_E_clISt17integral_constantIbLb1EES1A_IbLb0EEEEDaS16_S17_EUlS16_E_NS1_11comp_targetILNS1_3genE4ELNS1_11target_archE910ELNS1_3gpuE8ELNS1_3repE0EEENS1_30default_config_static_selectorELNS0_4arch9wavefront6targetE0EEEvT1_,comdat
	.protected	_ZN7rocprim17ROCPRIM_400000_NS6detail17trampoline_kernelINS0_14default_configENS1_25partition_config_selectorILNS1_17partition_subalgoE6EsNS0_10empty_typeEbEEZZNS1_14partition_implILS5_6ELb0ES3_mN6thrust23THRUST_200600_302600_NS6detail15normal_iteratorINSA_10device_ptrIsEEEEPS6_SG_NS0_5tupleIJNSA_16discard_iteratorINSA_11use_defaultEEES6_EEENSH_IJSG_SG_EEES6_PlJNSB_9not_fun_tI7is_trueIsEEEEEE10hipError_tPvRmT3_T4_T5_T6_T7_T9_mT8_P12ihipStream_tbDpT10_ENKUlT_T0_E_clISt17integral_constantIbLb1EES1A_IbLb0EEEEDaS16_S17_EUlS16_E_NS1_11comp_targetILNS1_3genE4ELNS1_11target_archE910ELNS1_3gpuE8ELNS1_3repE0EEENS1_30default_config_static_selectorELNS0_4arch9wavefront6targetE0EEEvT1_ ; -- Begin function _ZN7rocprim17ROCPRIM_400000_NS6detail17trampoline_kernelINS0_14default_configENS1_25partition_config_selectorILNS1_17partition_subalgoE6EsNS0_10empty_typeEbEEZZNS1_14partition_implILS5_6ELb0ES3_mN6thrust23THRUST_200600_302600_NS6detail15normal_iteratorINSA_10device_ptrIsEEEEPS6_SG_NS0_5tupleIJNSA_16discard_iteratorINSA_11use_defaultEEES6_EEENSH_IJSG_SG_EEES6_PlJNSB_9not_fun_tI7is_trueIsEEEEEE10hipError_tPvRmT3_T4_T5_T6_T7_T9_mT8_P12ihipStream_tbDpT10_ENKUlT_T0_E_clISt17integral_constantIbLb1EES1A_IbLb0EEEEDaS16_S17_EUlS16_E_NS1_11comp_targetILNS1_3genE4ELNS1_11target_archE910ELNS1_3gpuE8ELNS1_3repE0EEENS1_30default_config_static_selectorELNS0_4arch9wavefront6targetE0EEEvT1_
	.globl	_ZN7rocprim17ROCPRIM_400000_NS6detail17trampoline_kernelINS0_14default_configENS1_25partition_config_selectorILNS1_17partition_subalgoE6EsNS0_10empty_typeEbEEZZNS1_14partition_implILS5_6ELb0ES3_mN6thrust23THRUST_200600_302600_NS6detail15normal_iteratorINSA_10device_ptrIsEEEEPS6_SG_NS0_5tupleIJNSA_16discard_iteratorINSA_11use_defaultEEES6_EEENSH_IJSG_SG_EEES6_PlJNSB_9not_fun_tI7is_trueIsEEEEEE10hipError_tPvRmT3_T4_T5_T6_T7_T9_mT8_P12ihipStream_tbDpT10_ENKUlT_T0_E_clISt17integral_constantIbLb1EES1A_IbLb0EEEEDaS16_S17_EUlS16_E_NS1_11comp_targetILNS1_3genE4ELNS1_11target_archE910ELNS1_3gpuE8ELNS1_3repE0EEENS1_30default_config_static_selectorELNS0_4arch9wavefront6targetE0EEEvT1_
	.p2align	8
	.type	_ZN7rocprim17ROCPRIM_400000_NS6detail17trampoline_kernelINS0_14default_configENS1_25partition_config_selectorILNS1_17partition_subalgoE6EsNS0_10empty_typeEbEEZZNS1_14partition_implILS5_6ELb0ES3_mN6thrust23THRUST_200600_302600_NS6detail15normal_iteratorINSA_10device_ptrIsEEEEPS6_SG_NS0_5tupleIJNSA_16discard_iteratorINSA_11use_defaultEEES6_EEENSH_IJSG_SG_EEES6_PlJNSB_9not_fun_tI7is_trueIsEEEEEE10hipError_tPvRmT3_T4_T5_T6_T7_T9_mT8_P12ihipStream_tbDpT10_ENKUlT_T0_E_clISt17integral_constantIbLb1EES1A_IbLb0EEEEDaS16_S17_EUlS16_E_NS1_11comp_targetILNS1_3genE4ELNS1_11target_archE910ELNS1_3gpuE8ELNS1_3repE0EEENS1_30default_config_static_selectorELNS0_4arch9wavefront6targetE0EEEvT1_,@function
_ZN7rocprim17ROCPRIM_400000_NS6detail17trampoline_kernelINS0_14default_configENS1_25partition_config_selectorILNS1_17partition_subalgoE6EsNS0_10empty_typeEbEEZZNS1_14partition_implILS5_6ELb0ES3_mN6thrust23THRUST_200600_302600_NS6detail15normal_iteratorINSA_10device_ptrIsEEEEPS6_SG_NS0_5tupleIJNSA_16discard_iteratorINSA_11use_defaultEEES6_EEENSH_IJSG_SG_EEES6_PlJNSB_9not_fun_tI7is_trueIsEEEEEE10hipError_tPvRmT3_T4_T5_T6_T7_T9_mT8_P12ihipStream_tbDpT10_ENKUlT_T0_E_clISt17integral_constantIbLb1EES1A_IbLb0EEEEDaS16_S17_EUlS16_E_NS1_11comp_targetILNS1_3genE4ELNS1_11target_archE910ELNS1_3gpuE8ELNS1_3repE0EEENS1_30default_config_static_selectorELNS0_4arch9wavefront6targetE0EEEvT1_: ; @_ZN7rocprim17ROCPRIM_400000_NS6detail17trampoline_kernelINS0_14default_configENS1_25partition_config_selectorILNS1_17partition_subalgoE6EsNS0_10empty_typeEbEEZZNS1_14partition_implILS5_6ELb0ES3_mN6thrust23THRUST_200600_302600_NS6detail15normal_iteratorINSA_10device_ptrIsEEEEPS6_SG_NS0_5tupleIJNSA_16discard_iteratorINSA_11use_defaultEEES6_EEENSH_IJSG_SG_EEES6_PlJNSB_9not_fun_tI7is_trueIsEEEEEE10hipError_tPvRmT3_T4_T5_T6_T7_T9_mT8_P12ihipStream_tbDpT10_ENKUlT_T0_E_clISt17integral_constantIbLb1EES1A_IbLb0EEEEDaS16_S17_EUlS16_E_NS1_11comp_targetILNS1_3genE4ELNS1_11target_archE910ELNS1_3gpuE8ELNS1_3repE0EEENS1_30default_config_static_selectorELNS0_4arch9wavefront6targetE0EEEvT1_
; %bb.0:
	.section	.rodata,"a",@progbits
	.p2align	6, 0x0
	.amdhsa_kernel _ZN7rocprim17ROCPRIM_400000_NS6detail17trampoline_kernelINS0_14default_configENS1_25partition_config_selectorILNS1_17partition_subalgoE6EsNS0_10empty_typeEbEEZZNS1_14partition_implILS5_6ELb0ES3_mN6thrust23THRUST_200600_302600_NS6detail15normal_iteratorINSA_10device_ptrIsEEEEPS6_SG_NS0_5tupleIJNSA_16discard_iteratorINSA_11use_defaultEEES6_EEENSH_IJSG_SG_EEES6_PlJNSB_9not_fun_tI7is_trueIsEEEEEE10hipError_tPvRmT3_T4_T5_T6_T7_T9_mT8_P12ihipStream_tbDpT10_ENKUlT_T0_E_clISt17integral_constantIbLb1EES1A_IbLb0EEEEDaS16_S17_EUlS16_E_NS1_11comp_targetILNS1_3genE4ELNS1_11target_archE910ELNS1_3gpuE8ELNS1_3repE0EEENS1_30default_config_static_selectorELNS0_4arch9wavefront6targetE0EEEvT1_
		.amdhsa_group_segment_fixed_size 0
		.amdhsa_private_segment_fixed_size 0
		.amdhsa_kernarg_size 120
		.amdhsa_user_sgpr_count 2
		.amdhsa_user_sgpr_dispatch_ptr 0
		.amdhsa_user_sgpr_queue_ptr 0
		.amdhsa_user_sgpr_kernarg_segment_ptr 1
		.amdhsa_user_sgpr_dispatch_id 0
		.amdhsa_user_sgpr_private_segment_size 0
		.amdhsa_wavefront_size32 1
		.amdhsa_uses_dynamic_stack 0
		.amdhsa_enable_private_segment 0
		.amdhsa_system_sgpr_workgroup_id_x 1
		.amdhsa_system_sgpr_workgroup_id_y 0
		.amdhsa_system_sgpr_workgroup_id_z 0
		.amdhsa_system_sgpr_workgroup_info 0
		.amdhsa_system_vgpr_workitem_id 0
		.amdhsa_next_free_vgpr 1
		.amdhsa_next_free_sgpr 1
		.amdhsa_reserve_vcc 0
		.amdhsa_float_round_mode_32 0
		.amdhsa_float_round_mode_16_64 0
		.amdhsa_float_denorm_mode_32 3
		.amdhsa_float_denorm_mode_16_64 3
		.amdhsa_fp16_overflow 0
		.amdhsa_workgroup_processor_mode 1
		.amdhsa_memory_ordered 1
		.amdhsa_forward_progress 1
		.amdhsa_inst_pref_size 0
		.amdhsa_round_robin_scheduling 0
		.amdhsa_exception_fp_ieee_invalid_op 0
		.amdhsa_exception_fp_denorm_src 0
		.amdhsa_exception_fp_ieee_div_zero 0
		.amdhsa_exception_fp_ieee_overflow 0
		.amdhsa_exception_fp_ieee_underflow 0
		.amdhsa_exception_fp_ieee_inexact 0
		.amdhsa_exception_int_div_zero 0
	.end_amdhsa_kernel
	.section	.text._ZN7rocprim17ROCPRIM_400000_NS6detail17trampoline_kernelINS0_14default_configENS1_25partition_config_selectorILNS1_17partition_subalgoE6EsNS0_10empty_typeEbEEZZNS1_14partition_implILS5_6ELb0ES3_mN6thrust23THRUST_200600_302600_NS6detail15normal_iteratorINSA_10device_ptrIsEEEEPS6_SG_NS0_5tupleIJNSA_16discard_iteratorINSA_11use_defaultEEES6_EEENSH_IJSG_SG_EEES6_PlJNSB_9not_fun_tI7is_trueIsEEEEEE10hipError_tPvRmT3_T4_T5_T6_T7_T9_mT8_P12ihipStream_tbDpT10_ENKUlT_T0_E_clISt17integral_constantIbLb1EES1A_IbLb0EEEEDaS16_S17_EUlS16_E_NS1_11comp_targetILNS1_3genE4ELNS1_11target_archE910ELNS1_3gpuE8ELNS1_3repE0EEENS1_30default_config_static_selectorELNS0_4arch9wavefront6targetE0EEEvT1_,"axG",@progbits,_ZN7rocprim17ROCPRIM_400000_NS6detail17trampoline_kernelINS0_14default_configENS1_25partition_config_selectorILNS1_17partition_subalgoE6EsNS0_10empty_typeEbEEZZNS1_14partition_implILS5_6ELb0ES3_mN6thrust23THRUST_200600_302600_NS6detail15normal_iteratorINSA_10device_ptrIsEEEEPS6_SG_NS0_5tupleIJNSA_16discard_iteratorINSA_11use_defaultEEES6_EEENSH_IJSG_SG_EEES6_PlJNSB_9not_fun_tI7is_trueIsEEEEEE10hipError_tPvRmT3_T4_T5_T6_T7_T9_mT8_P12ihipStream_tbDpT10_ENKUlT_T0_E_clISt17integral_constantIbLb1EES1A_IbLb0EEEEDaS16_S17_EUlS16_E_NS1_11comp_targetILNS1_3genE4ELNS1_11target_archE910ELNS1_3gpuE8ELNS1_3repE0EEENS1_30default_config_static_selectorELNS0_4arch9wavefront6targetE0EEEvT1_,comdat
.Lfunc_end2319:
	.size	_ZN7rocprim17ROCPRIM_400000_NS6detail17trampoline_kernelINS0_14default_configENS1_25partition_config_selectorILNS1_17partition_subalgoE6EsNS0_10empty_typeEbEEZZNS1_14partition_implILS5_6ELb0ES3_mN6thrust23THRUST_200600_302600_NS6detail15normal_iteratorINSA_10device_ptrIsEEEEPS6_SG_NS0_5tupleIJNSA_16discard_iteratorINSA_11use_defaultEEES6_EEENSH_IJSG_SG_EEES6_PlJNSB_9not_fun_tI7is_trueIsEEEEEE10hipError_tPvRmT3_T4_T5_T6_T7_T9_mT8_P12ihipStream_tbDpT10_ENKUlT_T0_E_clISt17integral_constantIbLb1EES1A_IbLb0EEEEDaS16_S17_EUlS16_E_NS1_11comp_targetILNS1_3genE4ELNS1_11target_archE910ELNS1_3gpuE8ELNS1_3repE0EEENS1_30default_config_static_selectorELNS0_4arch9wavefront6targetE0EEEvT1_, .Lfunc_end2319-_ZN7rocprim17ROCPRIM_400000_NS6detail17trampoline_kernelINS0_14default_configENS1_25partition_config_selectorILNS1_17partition_subalgoE6EsNS0_10empty_typeEbEEZZNS1_14partition_implILS5_6ELb0ES3_mN6thrust23THRUST_200600_302600_NS6detail15normal_iteratorINSA_10device_ptrIsEEEEPS6_SG_NS0_5tupleIJNSA_16discard_iteratorINSA_11use_defaultEEES6_EEENSH_IJSG_SG_EEES6_PlJNSB_9not_fun_tI7is_trueIsEEEEEE10hipError_tPvRmT3_T4_T5_T6_T7_T9_mT8_P12ihipStream_tbDpT10_ENKUlT_T0_E_clISt17integral_constantIbLb1EES1A_IbLb0EEEEDaS16_S17_EUlS16_E_NS1_11comp_targetILNS1_3genE4ELNS1_11target_archE910ELNS1_3gpuE8ELNS1_3repE0EEENS1_30default_config_static_selectorELNS0_4arch9wavefront6targetE0EEEvT1_
                                        ; -- End function
	.set _ZN7rocprim17ROCPRIM_400000_NS6detail17trampoline_kernelINS0_14default_configENS1_25partition_config_selectorILNS1_17partition_subalgoE6EsNS0_10empty_typeEbEEZZNS1_14partition_implILS5_6ELb0ES3_mN6thrust23THRUST_200600_302600_NS6detail15normal_iteratorINSA_10device_ptrIsEEEEPS6_SG_NS0_5tupleIJNSA_16discard_iteratorINSA_11use_defaultEEES6_EEENSH_IJSG_SG_EEES6_PlJNSB_9not_fun_tI7is_trueIsEEEEEE10hipError_tPvRmT3_T4_T5_T6_T7_T9_mT8_P12ihipStream_tbDpT10_ENKUlT_T0_E_clISt17integral_constantIbLb1EES1A_IbLb0EEEEDaS16_S17_EUlS16_E_NS1_11comp_targetILNS1_3genE4ELNS1_11target_archE910ELNS1_3gpuE8ELNS1_3repE0EEENS1_30default_config_static_selectorELNS0_4arch9wavefront6targetE0EEEvT1_.num_vgpr, 0
	.set _ZN7rocprim17ROCPRIM_400000_NS6detail17trampoline_kernelINS0_14default_configENS1_25partition_config_selectorILNS1_17partition_subalgoE6EsNS0_10empty_typeEbEEZZNS1_14partition_implILS5_6ELb0ES3_mN6thrust23THRUST_200600_302600_NS6detail15normal_iteratorINSA_10device_ptrIsEEEEPS6_SG_NS0_5tupleIJNSA_16discard_iteratorINSA_11use_defaultEEES6_EEENSH_IJSG_SG_EEES6_PlJNSB_9not_fun_tI7is_trueIsEEEEEE10hipError_tPvRmT3_T4_T5_T6_T7_T9_mT8_P12ihipStream_tbDpT10_ENKUlT_T0_E_clISt17integral_constantIbLb1EES1A_IbLb0EEEEDaS16_S17_EUlS16_E_NS1_11comp_targetILNS1_3genE4ELNS1_11target_archE910ELNS1_3gpuE8ELNS1_3repE0EEENS1_30default_config_static_selectorELNS0_4arch9wavefront6targetE0EEEvT1_.num_agpr, 0
	.set _ZN7rocprim17ROCPRIM_400000_NS6detail17trampoline_kernelINS0_14default_configENS1_25partition_config_selectorILNS1_17partition_subalgoE6EsNS0_10empty_typeEbEEZZNS1_14partition_implILS5_6ELb0ES3_mN6thrust23THRUST_200600_302600_NS6detail15normal_iteratorINSA_10device_ptrIsEEEEPS6_SG_NS0_5tupleIJNSA_16discard_iteratorINSA_11use_defaultEEES6_EEENSH_IJSG_SG_EEES6_PlJNSB_9not_fun_tI7is_trueIsEEEEEE10hipError_tPvRmT3_T4_T5_T6_T7_T9_mT8_P12ihipStream_tbDpT10_ENKUlT_T0_E_clISt17integral_constantIbLb1EES1A_IbLb0EEEEDaS16_S17_EUlS16_E_NS1_11comp_targetILNS1_3genE4ELNS1_11target_archE910ELNS1_3gpuE8ELNS1_3repE0EEENS1_30default_config_static_selectorELNS0_4arch9wavefront6targetE0EEEvT1_.numbered_sgpr, 0
	.set _ZN7rocprim17ROCPRIM_400000_NS6detail17trampoline_kernelINS0_14default_configENS1_25partition_config_selectorILNS1_17partition_subalgoE6EsNS0_10empty_typeEbEEZZNS1_14partition_implILS5_6ELb0ES3_mN6thrust23THRUST_200600_302600_NS6detail15normal_iteratorINSA_10device_ptrIsEEEEPS6_SG_NS0_5tupleIJNSA_16discard_iteratorINSA_11use_defaultEEES6_EEENSH_IJSG_SG_EEES6_PlJNSB_9not_fun_tI7is_trueIsEEEEEE10hipError_tPvRmT3_T4_T5_T6_T7_T9_mT8_P12ihipStream_tbDpT10_ENKUlT_T0_E_clISt17integral_constantIbLb1EES1A_IbLb0EEEEDaS16_S17_EUlS16_E_NS1_11comp_targetILNS1_3genE4ELNS1_11target_archE910ELNS1_3gpuE8ELNS1_3repE0EEENS1_30default_config_static_selectorELNS0_4arch9wavefront6targetE0EEEvT1_.num_named_barrier, 0
	.set _ZN7rocprim17ROCPRIM_400000_NS6detail17trampoline_kernelINS0_14default_configENS1_25partition_config_selectorILNS1_17partition_subalgoE6EsNS0_10empty_typeEbEEZZNS1_14partition_implILS5_6ELb0ES3_mN6thrust23THRUST_200600_302600_NS6detail15normal_iteratorINSA_10device_ptrIsEEEEPS6_SG_NS0_5tupleIJNSA_16discard_iteratorINSA_11use_defaultEEES6_EEENSH_IJSG_SG_EEES6_PlJNSB_9not_fun_tI7is_trueIsEEEEEE10hipError_tPvRmT3_T4_T5_T6_T7_T9_mT8_P12ihipStream_tbDpT10_ENKUlT_T0_E_clISt17integral_constantIbLb1EES1A_IbLb0EEEEDaS16_S17_EUlS16_E_NS1_11comp_targetILNS1_3genE4ELNS1_11target_archE910ELNS1_3gpuE8ELNS1_3repE0EEENS1_30default_config_static_selectorELNS0_4arch9wavefront6targetE0EEEvT1_.private_seg_size, 0
	.set _ZN7rocprim17ROCPRIM_400000_NS6detail17trampoline_kernelINS0_14default_configENS1_25partition_config_selectorILNS1_17partition_subalgoE6EsNS0_10empty_typeEbEEZZNS1_14partition_implILS5_6ELb0ES3_mN6thrust23THRUST_200600_302600_NS6detail15normal_iteratorINSA_10device_ptrIsEEEEPS6_SG_NS0_5tupleIJNSA_16discard_iteratorINSA_11use_defaultEEES6_EEENSH_IJSG_SG_EEES6_PlJNSB_9not_fun_tI7is_trueIsEEEEEE10hipError_tPvRmT3_T4_T5_T6_T7_T9_mT8_P12ihipStream_tbDpT10_ENKUlT_T0_E_clISt17integral_constantIbLb1EES1A_IbLb0EEEEDaS16_S17_EUlS16_E_NS1_11comp_targetILNS1_3genE4ELNS1_11target_archE910ELNS1_3gpuE8ELNS1_3repE0EEENS1_30default_config_static_selectorELNS0_4arch9wavefront6targetE0EEEvT1_.uses_vcc, 0
	.set _ZN7rocprim17ROCPRIM_400000_NS6detail17trampoline_kernelINS0_14default_configENS1_25partition_config_selectorILNS1_17partition_subalgoE6EsNS0_10empty_typeEbEEZZNS1_14partition_implILS5_6ELb0ES3_mN6thrust23THRUST_200600_302600_NS6detail15normal_iteratorINSA_10device_ptrIsEEEEPS6_SG_NS0_5tupleIJNSA_16discard_iteratorINSA_11use_defaultEEES6_EEENSH_IJSG_SG_EEES6_PlJNSB_9not_fun_tI7is_trueIsEEEEEE10hipError_tPvRmT3_T4_T5_T6_T7_T9_mT8_P12ihipStream_tbDpT10_ENKUlT_T0_E_clISt17integral_constantIbLb1EES1A_IbLb0EEEEDaS16_S17_EUlS16_E_NS1_11comp_targetILNS1_3genE4ELNS1_11target_archE910ELNS1_3gpuE8ELNS1_3repE0EEENS1_30default_config_static_selectorELNS0_4arch9wavefront6targetE0EEEvT1_.uses_flat_scratch, 0
	.set _ZN7rocprim17ROCPRIM_400000_NS6detail17trampoline_kernelINS0_14default_configENS1_25partition_config_selectorILNS1_17partition_subalgoE6EsNS0_10empty_typeEbEEZZNS1_14partition_implILS5_6ELb0ES3_mN6thrust23THRUST_200600_302600_NS6detail15normal_iteratorINSA_10device_ptrIsEEEEPS6_SG_NS0_5tupleIJNSA_16discard_iteratorINSA_11use_defaultEEES6_EEENSH_IJSG_SG_EEES6_PlJNSB_9not_fun_tI7is_trueIsEEEEEE10hipError_tPvRmT3_T4_T5_T6_T7_T9_mT8_P12ihipStream_tbDpT10_ENKUlT_T0_E_clISt17integral_constantIbLb1EES1A_IbLb0EEEEDaS16_S17_EUlS16_E_NS1_11comp_targetILNS1_3genE4ELNS1_11target_archE910ELNS1_3gpuE8ELNS1_3repE0EEENS1_30default_config_static_selectorELNS0_4arch9wavefront6targetE0EEEvT1_.has_dyn_sized_stack, 0
	.set _ZN7rocprim17ROCPRIM_400000_NS6detail17trampoline_kernelINS0_14default_configENS1_25partition_config_selectorILNS1_17partition_subalgoE6EsNS0_10empty_typeEbEEZZNS1_14partition_implILS5_6ELb0ES3_mN6thrust23THRUST_200600_302600_NS6detail15normal_iteratorINSA_10device_ptrIsEEEEPS6_SG_NS0_5tupleIJNSA_16discard_iteratorINSA_11use_defaultEEES6_EEENSH_IJSG_SG_EEES6_PlJNSB_9not_fun_tI7is_trueIsEEEEEE10hipError_tPvRmT3_T4_T5_T6_T7_T9_mT8_P12ihipStream_tbDpT10_ENKUlT_T0_E_clISt17integral_constantIbLb1EES1A_IbLb0EEEEDaS16_S17_EUlS16_E_NS1_11comp_targetILNS1_3genE4ELNS1_11target_archE910ELNS1_3gpuE8ELNS1_3repE0EEENS1_30default_config_static_selectorELNS0_4arch9wavefront6targetE0EEEvT1_.has_recursion, 0
	.set _ZN7rocprim17ROCPRIM_400000_NS6detail17trampoline_kernelINS0_14default_configENS1_25partition_config_selectorILNS1_17partition_subalgoE6EsNS0_10empty_typeEbEEZZNS1_14partition_implILS5_6ELb0ES3_mN6thrust23THRUST_200600_302600_NS6detail15normal_iteratorINSA_10device_ptrIsEEEEPS6_SG_NS0_5tupleIJNSA_16discard_iteratorINSA_11use_defaultEEES6_EEENSH_IJSG_SG_EEES6_PlJNSB_9not_fun_tI7is_trueIsEEEEEE10hipError_tPvRmT3_T4_T5_T6_T7_T9_mT8_P12ihipStream_tbDpT10_ENKUlT_T0_E_clISt17integral_constantIbLb1EES1A_IbLb0EEEEDaS16_S17_EUlS16_E_NS1_11comp_targetILNS1_3genE4ELNS1_11target_archE910ELNS1_3gpuE8ELNS1_3repE0EEENS1_30default_config_static_selectorELNS0_4arch9wavefront6targetE0EEEvT1_.has_indirect_call, 0
	.section	.AMDGPU.csdata,"",@progbits
; Kernel info:
; codeLenInByte = 0
; TotalNumSgprs: 0
; NumVgprs: 0
; ScratchSize: 0
; MemoryBound: 0
; FloatMode: 240
; IeeeMode: 1
; LDSByteSize: 0 bytes/workgroup (compile time only)
; SGPRBlocks: 0
; VGPRBlocks: 0
; NumSGPRsForWavesPerEU: 1
; NumVGPRsForWavesPerEU: 1
; Occupancy: 16
; WaveLimiterHint : 0
; COMPUTE_PGM_RSRC2:SCRATCH_EN: 0
; COMPUTE_PGM_RSRC2:USER_SGPR: 2
; COMPUTE_PGM_RSRC2:TRAP_HANDLER: 0
; COMPUTE_PGM_RSRC2:TGID_X_EN: 1
; COMPUTE_PGM_RSRC2:TGID_Y_EN: 0
; COMPUTE_PGM_RSRC2:TGID_Z_EN: 0
; COMPUTE_PGM_RSRC2:TIDIG_COMP_CNT: 0
	.section	.text._ZN7rocprim17ROCPRIM_400000_NS6detail17trampoline_kernelINS0_14default_configENS1_25partition_config_selectorILNS1_17partition_subalgoE6EsNS0_10empty_typeEbEEZZNS1_14partition_implILS5_6ELb0ES3_mN6thrust23THRUST_200600_302600_NS6detail15normal_iteratorINSA_10device_ptrIsEEEEPS6_SG_NS0_5tupleIJNSA_16discard_iteratorINSA_11use_defaultEEES6_EEENSH_IJSG_SG_EEES6_PlJNSB_9not_fun_tI7is_trueIsEEEEEE10hipError_tPvRmT3_T4_T5_T6_T7_T9_mT8_P12ihipStream_tbDpT10_ENKUlT_T0_E_clISt17integral_constantIbLb1EES1A_IbLb0EEEEDaS16_S17_EUlS16_E_NS1_11comp_targetILNS1_3genE3ELNS1_11target_archE908ELNS1_3gpuE7ELNS1_3repE0EEENS1_30default_config_static_selectorELNS0_4arch9wavefront6targetE0EEEvT1_,"axG",@progbits,_ZN7rocprim17ROCPRIM_400000_NS6detail17trampoline_kernelINS0_14default_configENS1_25partition_config_selectorILNS1_17partition_subalgoE6EsNS0_10empty_typeEbEEZZNS1_14partition_implILS5_6ELb0ES3_mN6thrust23THRUST_200600_302600_NS6detail15normal_iteratorINSA_10device_ptrIsEEEEPS6_SG_NS0_5tupleIJNSA_16discard_iteratorINSA_11use_defaultEEES6_EEENSH_IJSG_SG_EEES6_PlJNSB_9not_fun_tI7is_trueIsEEEEEE10hipError_tPvRmT3_T4_T5_T6_T7_T9_mT8_P12ihipStream_tbDpT10_ENKUlT_T0_E_clISt17integral_constantIbLb1EES1A_IbLb0EEEEDaS16_S17_EUlS16_E_NS1_11comp_targetILNS1_3genE3ELNS1_11target_archE908ELNS1_3gpuE7ELNS1_3repE0EEENS1_30default_config_static_selectorELNS0_4arch9wavefront6targetE0EEEvT1_,comdat
	.protected	_ZN7rocprim17ROCPRIM_400000_NS6detail17trampoline_kernelINS0_14default_configENS1_25partition_config_selectorILNS1_17partition_subalgoE6EsNS0_10empty_typeEbEEZZNS1_14partition_implILS5_6ELb0ES3_mN6thrust23THRUST_200600_302600_NS6detail15normal_iteratorINSA_10device_ptrIsEEEEPS6_SG_NS0_5tupleIJNSA_16discard_iteratorINSA_11use_defaultEEES6_EEENSH_IJSG_SG_EEES6_PlJNSB_9not_fun_tI7is_trueIsEEEEEE10hipError_tPvRmT3_T4_T5_T6_T7_T9_mT8_P12ihipStream_tbDpT10_ENKUlT_T0_E_clISt17integral_constantIbLb1EES1A_IbLb0EEEEDaS16_S17_EUlS16_E_NS1_11comp_targetILNS1_3genE3ELNS1_11target_archE908ELNS1_3gpuE7ELNS1_3repE0EEENS1_30default_config_static_selectorELNS0_4arch9wavefront6targetE0EEEvT1_ ; -- Begin function _ZN7rocprim17ROCPRIM_400000_NS6detail17trampoline_kernelINS0_14default_configENS1_25partition_config_selectorILNS1_17partition_subalgoE6EsNS0_10empty_typeEbEEZZNS1_14partition_implILS5_6ELb0ES3_mN6thrust23THRUST_200600_302600_NS6detail15normal_iteratorINSA_10device_ptrIsEEEEPS6_SG_NS0_5tupleIJNSA_16discard_iteratorINSA_11use_defaultEEES6_EEENSH_IJSG_SG_EEES6_PlJNSB_9not_fun_tI7is_trueIsEEEEEE10hipError_tPvRmT3_T4_T5_T6_T7_T9_mT8_P12ihipStream_tbDpT10_ENKUlT_T0_E_clISt17integral_constantIbLb1EES1A_IbLb0EEEEDaS16_S17_EUlS16_E_NS1_11comp_targetILNS1_3genE3ELNS1_11target_archE908ELNS1_3gpuE7ELNS1_3repE0EEENS1_30default_config_static_selectorELNS0_4arch9wavefront6targetE0EEEvT1_
	.globl	_ZN7rocprim17ROCPRIM_400000_NS6detail17trampoline_kernelINS0_14default_configENS1_25partition_config_selectorILNS1_17partition_subalgoE6EsNS0_10empty_typeEbEEZZNS1_14partition_implILS5_6ELb0ES3_mN6thrust23THRUST_200600_302600_NS6detail15normal_iteratorINSA_10device_ptrIsEEEEPS6_SG_NS0_5tupleIJNSA_16discard_iteratorINSA_11use_defaultEEES6_EEENSH_IJSG_SG_EEES6_PlJNSB_9not_fun_tI7is_trueIsEEEEEE10hipError_tPvRmT3_T4_T5_T6_T7_T9_mT8_P12ihipStream_tbDpT10_ENKUlT_T0_E_clISt17integral_constantIbLb1EES1A_IbLb0EEEEDaS16_S17_EUlS16_E_NS1_11comp_targetILNS1_3genE3ELNS1_11target_archE908ELNS1_3gpuE7ELNS1_3repE0EEENS1_30default_config_static_selectorELNS0_4arch9wavefront6targetE0EEEvT1_
	.p2align	8
	.type	_ZN7rocprim17ROCPRIM_400000_NS6detail17trampoline_kernelINS0_14default_configENS1_25partition_config_selectorILNS1_17partition_subalgoE6EsNS0_10empty_typeEbEEZZNS1_14partition_implILS5_6ELb0ES3_mN6thrust23THRUST_200600_302600_NS6detail15normal_iteratorINSA_10device_ptrIsEEEEPS6_SG_NS0_5tupleIJNSA_16discard_iteratorINSA_11use_defaultEEES6_EEENSH_IJSG_SG_EEES6_PlJNSB_9not_fun_tI7is_trueIsEEEEEE10hipError_tPvRmT3_T4_T5_T6_T7_T9_mT8_P12ihipStream_tbDpT10_ENKUlT_T0_E_clISt17integral_constantIbLb1EES1A_IbLb0EEEEDaS16_S17_EUlS16_E_NS1_11comp_targetILNS1_3genE3ELNS1_11target_archE908ELNS1_3gpuE7ELNS1_3repE0EEENS1_30default_config_static_selectorELNS0_4arch9wavefront6targetE0EEEvT1_,@function
_ZN7rocprim17ROCPRIM_400000_NS6detail17trampoline_kernelINS0_14default_configENS1_25partition_config_selectorILNS1_17partition_subalgoE6EsNS0_10empty_typeEbEEZZNS1_14partition_implILS5_6ELb0ES3_mN6thrust23THRUST_200600_302600_NS6detail15normal_iteratorINSA_10device_ptrIsEEEEPS6_SG_NS0_5tupleIJNSA_16discard_iteratorINSA_11use_defaultEEES6_EEENSH_IJSG_SG_EEES6_PlJNSB_9not_fun_tI7is_trueIsEEEEEE10hipError_tPvRmT3_T4_T5_T6_T7_T9_mT8_P12ihipStream_tbDpT10_ENKUlT_T0_E_clISt17integral_constantIbLb1EES1A_IbLb0EEEEDaS16_S17_EUlS16_E_NS1_11comp_targetILNS1_3genE3ELNS1_11target_archE908ELNS1_3gpuE7ELNS1_3repE0EEENS1_30default_config_static_selectorELNS0_4arch9wavefront6targetE0EEEvT1_: ; @_ZN7rocprim17ROCPRIM_400000_NS6detail17trampoline_kernelINS0_14default_configENS1_25partition_config_selectorILNS1_17partition_subalgoE6EsNS0_10empty_typeEbEEZZNS1_14partition_implILS5_6ELb0ES3_mN6thrust23THRUST_200600_302600_NS6detail15normal_iteratorINSA_10device_ptrIsEEEEPS6_SG_NS0_5tupleIJNSA_16discard_iteratorINSA_11use_defaultEEES6_EEENSH_IJSG_SG_EEES6_PlJNSB_9not_fun_tI7is_trueIsEEEEEE10hipError_tPvRmT3_T4_T5_T6_T7_T9_mT8_P12ihipStream_tbDpT10_ENKUlT_T0_E_clISt17integral_constantIbLb1EES1A_IbLb0EEEEDaS16_S17_EUlS16_E_NS1_11comp_targetILNS1_3genE3ELNS1_11target_archE908ELNS1_3gpuE7ELNS1_3repE0EEENS1_30default_config_static_selectorELNS0_4arch9wavefront6targetE0EEEvT1_
; %bb.0:
	.section	.rodata,"a",@progbits
	.p2align	6, 0x0
	.amdhsa_kernel _ZN7rocprim17ROCPRIM_400000_NS6detail17trampoline_kernelINS0_14default_configENS1_25partition_config_selectorILNS1_17partition_subalgoE6EsNS0_10empty_typeEbEEZZNS1_14partition_implILS5_6ELb0ES3_mN6thrust23THRUST_200600_302600_NS6detail15normal_iteratorINSA_10device_ptrIsEEEEPS6_SG_NS0_5tupleIJNSA_16discard_iteratorINSA_11use_defaultEEES6_EEENSH_IJSG_SG_EEES6_PlJNSB_9not_fun_tI7is_trueIsEEEEEE10hipError_tPvRmT3_T4_T5_T6_T7_T9_mT8_P12ihipStream_tbDpT10_ENKUlT_T0_E_clISt17integral_constantIbLb1EES1A_IbLb0EEEEDaS16_S17_EUlS16_E_NS1_11comp_targetILNS1_3genE3ELNS1_11target_archE908ELNS1_3gpuE7ELNS1_3repE0EEENS1_30default_config_static_selectorELNS0_4arch9wavefront6targetE0EEEvT1_
		.amdhsa_group_segment_fixed_size 0
		.amdhsa_private_segment_fixed_size 0
		.amdhsa_kernarg_size 120
		.amdhsa_user_sgpr_count 2
		.amdhsa_user_sgpr_dispatch_ptr 0
		.amdhsa_user_sgpr_queue_ptr 0
		.amdhsa_user_sgpr_kernarg_segment_ptr 1
		.amdhsa_user_sgpr_dispatch_id 0
		.amdhsa_user_sgpr_private_segment_size 0
		.amdhsa_wavefront_size32 1
		.amdhsa_uses_dynamic_stack 0
		.amdhsa_enable_private_segment 0
		.amdhsa_system_sgpr_workgroup_id_x 1
		.amdhsa_system_sgpr_workgroup_id_y 0
		.amdhsa_system_sgpr_workgroup_id_z 0
		.amdhsa_system_sgpr_workgroup_info 0
		.amdhsa_system_vgpr_workitem_id 0
		.amdhsa_next_free_vgpr 1
		.amdhsa_next_free_sgpr 1
		.amdhsa_reserve_vcc 0
		.amdhsa_float_round_mode_32 0
		.amdhsa_float_round_mode_16_64 0
		.amdhsa_float_denorm_mode_32 3
		.amdhsa_float_denorm_mode_16_64 3
		.amdhsa_fp16_overflow 0
		.amdhsa_workgroup_processor_mode 1
		.amdhsa_memory_ordered 1
		.amdhsa_forward_progress 1
		.amdhsa_inst_pref_size 0
		.amdhsa_round_robin_scheduling 0
		.amdhsa_exception_fp_ieee_invalid_op 0
		.amdhsa_exception_fp_denorm_src 0
		.amdhsa_exception_fp_ieee_div_zero 0
		.amdhsa_exception_fp_ieee_overflow 0
		.amdhsa_exception_fp_ieee_underflow 0
		.amdhsa_exception_fp_ieee_inexact 0
		.amdhsa_exception_int_div_zero 0
	.end_amdhsa_kernel
	.section	.text._ZN7rocprim17ROCPRIM_400000_NS6detail17trampoline_kernelINS0_14default_configENS1_25partition_config_selectorILNS1_17partition_subalgoE6EsNS0_10empty_typeEbEEZZNS1_14partition_implILS5_6ELb0ES3_mN6thrust23THRUST_200600_302600_NS6detail15normal_iteratorINSA_10device_ptrIsEEEEPS6_SG_NS0_5tupleIJNSA_16discard_iteratorINSA_11use_defaultEEES6_EEENSH_IJSG_SG_EEES6_PlJNSB_9not_fun_tI7is_trueIsEEEEEE10hipError_tPvRmT3_T4_T5_T6_T7_T9_mT8_P12ihipStream_tbDpT10_ENKUlT_T0_E_clISt17integral_constantIbLb1EES1A_IbLb0EEEEDaS16_S17_EUlS16_E_NS1_11comp_targetILNS1_3genE3ELNS1_11target_archE908ELNS1_3gpuE7ELNS1_3repE0EEENS1_30default_config_static_selectorELNS0_4arch9wavefront6targetE0EEEvT1_,"axG",@progbits,_ZN7rocprim17ROCPRIM_400000_NS6detail17trampoline_kernelINS0_14default_configENS1_25partition_config_selectorILNS1_17partition_subalgoE6EsNS0_10empty_typeEbEEZZNS1_14partition_implILS5_6ELb0ES3_mN6thrust23THRUST_200600_302600_NS6detail15normal_iteratorINSA_10device_ptrIsEEEEPS6_SG_NS0_5tupleIJNSA_16discard_iteratorINSA_11use_defaultEEES6_EEENSH_IJSG_SG_EEES6_PlJNSB_9not_fun_tI7is_trueIsEEEEEE10hipError_tPvRmT3_T4_T5_T6_T7_T9_mT8_P12ihipStream_tbDpT10_ENKUlT_T0_E_clISt17integral_constantIbLb1EES1A_IbLb0EEEEDaS16_S17_EUlS16_E_NS1_11comp_targetILNS1_3genE3ELNS1_11target_archE908ELNS1_3gpuE7ELNS1_3repE0EEENS1_30default_config_static_selectorELNS0_4arch9wavefront6targetE0EEEvT1_,comdat
.Lfunc_end2320:
	.size	_ZN7rocprim17ROCPRIM_400000_NS6detail17trampoline_kernelINS0_14default_configENS1_25partition_config_selectorILNS1_17partition_subalgoE6EsNS0_10empty_typeEbEEZZNS1_14partition_implILS5_6ELb0ES3_mN6thrust23THRUST_200600_302600_NS6detail15normal_iteratorINSA_10device_ptrIsEEEEPS6_SG_NS0_5tupleIJNSA_16discard_iteratorINSA_11use_defaultEEES6_EEENSH_IJSG_SG_EEES6_PlJNSB_9not_fun_tI7is_trueIsEEEEEE10hipError_tPvRmT3_T4_T5_T6_T7_T9_mT8_P12ihipStream_tbDpT10_ENKUlT_T0_E_clISt17integral_constantIbLb1EES1A_IbLb0EEEEDaS16_S17_EUlS16_E_NS1_11comp_targetILNS1_3genE3ELNS1_11target_archE908ELNS1_3gpuE7ELNS1_3repE0EEENS1_30default_config_static_selectorELNS0_4arch9wavefront6targetE0EEEvT1_, .Lfunc_end2320-_ZN7rocprim17ROCPRIM_400000_NS6detail17trampoline_kernelINS0_14default_configENS1_25partition_config_selectorILNS1_17partition_subalgoE6EsNS0_10empty_typeEbEEZZNS1_14partition_implILS5_6ELb0ES3_mN6thrust23THRUST_200600_302600_NS6detail15normal_iteratorINSA_10device_ptrIsEEEEPS6_SG_NS0_5tupleIJNSA_16discard_iteratorINSA_11use_defaultEEES6_EEENSH_IJSG_SG_EEES6_PlJNSB_9not_fun_tI7is_trueIsEEEEEE10hipError_tPvRmT3_T4_T5_T6_T7_T9_mT8_P12ihipStream_tbDpT10_ENKUlT_T0_E_clISt17integral_constantIbLb1EES1A_IbLb0EEEEDaS16_S17_EUlS16_E_NS1_11comp_targetILNS1_3genE3ELNS1_11target_archE908ELNS1_3gpuE7ELNS1_3repE0EEENS1_30default_config_static_selectorELNS0_4arch9wavefront6targetE0EEEvT1_
                                        ; -- End function
	.set _ZN7rocprim17ROCPRIM_400000_NS6detail17trampoline_kernelINS0_14default_configENS1_25partition_config_selectorILNS1_17partition_subalgoE6EsNS0_10empty_typeEbEEZZNS1_14partition_implILS5_6ELb0ES3_mN6thrust23THRUST_200600_302600_NS6detail15normal_iteratorINSA_10device_ptrIsEEEEPS6_SG_NS0_5tupleIJNSA_16discard_iteratorINSA_11use_defaultEEES6_EEENSH_IJSG_SG_EEES6_PlJNSB_9not_fun_tI7is_trueIsEEEEEE10hipError_tPvRmT3_T4_T5_T6_T7_T9_mT8_P12ihipStream_tbDpT10_ENKUlT_T0_E_clISt17integral_constantIbLb1EES1A_IbLb0EEEEDaS16_S17_EUlS16_E_NS1_11comp_targetILNS1_3genE3ELNS1_11target_archE908ELNS1_3gpuE7ELNS1_3repE0EEENS1_30default_config_static_selectorELNS0_4arch9wavefront6targetE0EEEvT1_.num_vgpr, 0
	.set _ZN7rocprim17ROCPRIM_400000_NS6detail17trampoline_kernelINS0_14default_configENS1_25partition_config_selectorILNS1_17partition_subalgoE6EsNS0_10empty_typeEbEEZZNS1_14partition_implILS5_6ELb0ES3_mN6thrust23THRUST_200600_302600_NS6detail15normal_iteratorINSA_10device_ptrIsEEEEPS6_SG_NS0_5tupleIJNSA_16discard_iteratorINSA_11use_defaultEEES6_EEENSH_IJSG_SG_EEES6_PlJNSB_9not_fun_tI7is_trueIsEEEEEE10hipError_tPvRmT3_T4_T5_T6_T7_T9_mT8_P12ihipStream_tbDpT10_ENKUlT_T0_E_clISt17integral_constantIbLb1EES1A_IbLb0EEEEDaS16_S17_EUlS16_E_NS1_11comp_targetILNS1_3genE3ELNS1_11target_archE908ELNS1_3gpuE7ELNS1_3repE0EEENS1_30default_config_static_selectorELNS0_4arch9wavefront6targetE0EEEvT1_.num_agpr, 0
	.set _ZN7rocprim17ROCPRIM_400000_NS6detail17trampoline_kernelINS0_14default_configENS1_25partition_config_selectorILNS1_17partition_subalgoE6EsNS0_10empty_typeEbEEZZNS1_14partition_implILS5_6ELb0ES3_mN6thrust23THRUST_200600_302600_NS6detail15normal_iteratorINSA_10device_ptrIsEEEEPS6_SG_NS0_5tupleIJNSA_16discard_iteratorINSA_11use_defaultEEES6_EEENSH_IJSG_SG_EEES6_PlJNSB_9not_fun_tI7is_trueIsEEEEEE10hipError_tPvRmT3_T4_T5_T6_T7_T9_mT8_P12ihipStream_tbDpT10_ENKUlT_T0_E_clISt17integral_constantIbLb1EES1A_IbLb0EEEEDaS16_S17_EUlS16_E_NS1_11comp_targetILNS1_3genE3ELNS1_11target_archE908ELNS1_3gpuE7ELNS1_3repE0EEENS1_30default_config_static_selectorELNS0_4arch9wavefront6targetE0EEEvT1_.numbered_sgpr, 0
	.set _ZN7rocprim17ROCPRIM_400000_NS6detail17trampoline_kernelINS0_14default_configENS1_25partition_config_selectorILNS1_17partition_subalgoE6EsNS0_10empty_typeEbEEZZNS1_14partition_implILS5_6ELb0ES3_mN6thrust23THRUST_200600_302600_NS6detail15normal_iteratorINSA_10device_ptrIsEEEEPS6_SG_NS0_5tupleIJNSA_16discard_iteratorINSA_11use_defaultEEES6_EEENSH_IJSG_SG_EEES6_PlJNSB_9not_fun_tI7is_trueIsEEEEEE10hipError_tPvRmT3_T4_T5_T6_T7_T9_mT8_P12ihipStream_tbDpT10_ENKUlT_T0_E_clISt17integral_constantIbLb1EES1A_IbLb0EEEEDaS16_S17_EUlS16_E_NS1_11comp_targetILNS1_3genE3ELNS1_11target_archE908ELNS1_3gpuE7ELNS1_3repE0EEENS1_30default_config_static_selectorELNS0_4arch9wavefront6targetE0EEEvT1_.num_named_barrier, 0
	.set _ZN7rocprim17ROCPRIM_400000_NS6detail17trampoline_kernelINS0_14default_configENS1_25partition_config_selectorILNS1_17partition_subalgoE6EsNS0_10empty_typeEbEEZZNS1_14partition_implILS5_6ELb0ES3_mN6thrust23THRUST_200600_302600_NS6detail15normal_iteratorINSA_10device_ptrIsEEEEPS6_SG_NS0_5tupleIJNSA_16discard_iteratorINSA_11use_defaultEEES6_EEENSH_IJSG_SG_EEES6_PlJNSB_9not_fun_tI7is_trueIsEEEEEE10hipError_tPvRmT3_T4_T5_T6_T7_T9_mT8_P12ihipStream_tbDpT10_ENKUlT_T0_E_clISt17integral_constantIbLb1EES1A_IbLb0EEEEDaS16_S17_EUlS16_E_NS1_11comp_targetILNS1_3genE3ELNS1_11target_archE908ELNS1_3gpuE7ELNS1_3repE0EEENS1_30default_config_static_selectorELNS0_4arch9wavefront6targetE0EEEvT1_.private_seg_size, 0
	.set _ZN7rocprim17ROCPRIM_400000_NS6detail17trampoline_kernelINS0_14default_configENS1_25partition_config_selectorILNS1_17partition_subalgoE6EsNS0_10empty_typeEbEEZZNS1_14partition_implILS5_6ELb0ES3_mN6thrust23THRUST_200600_302600_NS6detail15normal_iteratorINSA_10device_ptrIsEEEEPS6_SG_NS0_5tupleIJNSA_16discard_iteratorINSA_11use_defaultEEES6_EEENSH_IJSG_SG_EEES6_PlJNSB_9not_fun_tI7is_trueIsEEEEEE10hipError_tPvRmT3_T4_T5_T6_T7_T9_mT8_P12ihipStream_tbDpT10_ENKUlT_T0_E_clISt17integral_constantIbLb1EES1A_IbLb0EEEEDaS16_S17_EUlS16_E_NS1_11comp_targetILNS1_3genE3ELNS1_11target_archE908ELNS1_3gpuE7ELNS1_3repE0EEENS1_30default_config_static_selectorELNS0_4arch9wavefront6targetE0EEEvT1_.uses_vcc, 0
	.set _ZN7rocprim17ROCPRIM_400000_NS6detail17trampoline_kernelINS0_14default_configENS1_25partition_config_selectorILNS1_17partition_subalgoE6EsNS0_10empty_typeEbEEZZNS1_14partition_implILS5_6ELb0ES3_mN6thrust23THRUST_200600_302600_NS6detail15normal_iteratorINSA_10device_ptrIsEEEEPS6_SG_NS0_5tupleIJNSA_16discard_iteratorINSA_11use_defaultEEES6_EEENSH_IJSG_SG_EEES6_PlJNSB_9not_fun_tI7is_trueIsEEEEEE10hipError_tPvRmT3_T4_T5_T6_T7_T9_mT8_P12ihipStream_tbDpT10_ENKUlT_T0_E_clISt17integral_constantIbLb1EES1A_IbLb0EEEEDaS16_S17_EUlS16_E_NS1_11comp_targetILNS1_3genE3ELNS1_11target_archE908ELNS1_3gpuE7ELNS1_3repE0EEENS1_30default_config_static_selectorELNS0_4arch9wavefront6targetE0EEEvT1_.uses_flat_scratch, 0
	.set _ZN7rocprim17ROCPRIM_400000_NS6detail17trampoline_kernelINS0_14default_configENS1_25partition_config_selectorILNS1_17partition_subalgoE6EsNS0_10empty_typeEbEEZZNS1_14partition_implILS5_6ELb0ES3_mN6thrust23THRUST_200600_302600_NS6detail15normal_iteratorINSA_10device_ptrIsEEEEPS6_SG_NS0_5tupleIJNSA_16discard_iteratorINSA_11use_defaultEEES6_EEENSH_IJSG_SG_EEES6_PlJNSB_9not_fun_tI7is_trueIsEEEEEE10hipError_tPvRmT3_T4_T5_T6_T7_T9_mT8_P12ihipStream_tbDpT10_ENKUlT_T0_E_clISt17integral_constantIbLb1EES1A_IbLb0EEEEDaS16_S17_EUlS16_E_NS1_11comp_targetILNS1_3genE3ELNS1_11target_archE908ELNS1_3gpuE7ELNS1_3repE0EEENS1_30default_config_static_selectorELNS0_4arch9wavefront6targetE0EEEvT1_.has_dyn_sized_stack, 0
	.set _ZN7rocprim17ROCPRIM_400000_NS6detail17trampoline_kernelINS0_14default_configENS1_25partition_config_selectorILNS1_17partition_subalgoE6EsNS0_10empty_typeEbEEZZNS1_14partition_implILS5_6ELb0ES3_mN6thrust23THRUST_200600_302600_NS6detail15normal_iteratorINSA_10device_ptrIsEEEEPS6_SG_NS0_5tupleIJNSA_16discard_iteratorINSA_11use_defaultEEES6_EEENSH_IJSG_SG_EEES6_PlJNSB_9not_fun_tI7is_trueIsEEEEEE10hipError_tPvRmT3_T4_T5_T6_T7_T9_mT8_P12ihipStream_tbDpT10_ENKUlT_T0_E_clISt17integral_constantIbLb1EES1A_IbLb0EEEEDaS16_S17_EUlS16_E_NS1_11comp_targetILNS1_3genE3ELNS1_11target_archE908ELNS1_3gpuE7ELNS1_3repE0EEENS1_30default_config_static_selectorELNS0_4arch9wavefront6targetE0EEEvT1_.has_recursion, 0
	.set _ZN7rocprim17ROCPRIM_400000_NS6detail17trampoline_kernelINS0_14default_configENS1_25partition_config_selectorILNS1_17partition_subalgoE6EsNS0_10empty_typeEbEEZZNS1_14partition_implILS5_6ELb0ES3_mN6thrust23THRUST_200600_302600_NS6detail15normal_iteratorINSA_10device_ptrIsEEEEPS6_SG_NS0_5tupleIJNSA_16discard_iteratorINSA_11use_defaultEEES6_EEENSH_IJSG_SG_EEES6_PlJNSB_9not_fun_tI7is_trueIsEEEEEE10hipError_tPvRmT3_T4_T5_T6_T7_T9_mT8_P12ihipStream_tbDpT10_ENKUlT_T0_E_clISt17integral_constantIbLb1EES1A_IbLb0EEEEDaS16_S17_EUlS16_E_NS1_11comp_targetILNS1_3genE3ELNS1_11target_archE908ELNS1_3gpuE7ELNS1_3repE0EEENS1_30default_config_static_selectorELNS0_4arch9wavefront6targetE0EEEvT1_.has_indirect_call, 0
	.section	.AMDGPU.csdata,"",@progbits
; Kernel info:
; codeLenInByte = 0
; TotalNumSgprs: 0
; NumVgprs: 0
; ScratchSize: 0
; MemoryBound: 0
; FloatMode: 240
; IeeeMode: 1
; LDSByteSize: 0 bytes/workgroup (compile time only)
; SGPRBlocks: 0
; VGPRBlocks: 0
; NumSGPRsForWavesPerEU: 1
; NumVGPRsForWavesPerEU: 1
; Occupancy: 16
; WaveLimiterHint : 0
; COMPUTE_PGM_RSRC2:SCRATCH_EN: 0
; COMPUTE_PGM_RSRC2:USER_SGPR: 2
; COMPUTE_PGM_RSRC2:TRAP_HANDLER: 0
; COMPUTE_PGM_RSRC2:TGID_X_EN: 1
; COMPUTE_PGM_RSRC2:TGID_Y_EN: 0
; COMPUTE_PGM_RSRC2:TGID_Z_EN: 0
; COMPUTE_PGM_RSRC2:TIDIG_COMP_CNT: 0
	.section	.text._ZN7rocprim17ROCPRIM_400000_NS6detail17trampoline_kernelINS0_14default_configENS1_25partition_config_selectorILNS1_17partition_subalgoE6EsNS0_10empty_typeEbEEZZNS1_14partition_implILS5_6ELb0ES3_mN6thrust23THRUST_200600_302600_NS6detail15normal_iteratorINSA_10device_ptrIsEEEEPS6_SG_NS0_5tupleIJNSA_16discard_iteratorINSA_11use_defaultEEES6_EEENSH_IJSG_SG_EEES6_PlJNSB_9not_fun_tI7is_trueIsEEEEEE10hipError_tPvRmT3_T4_T5_T6_T7_T9_mT8_P12ihipStream_tbDpT10_ENKUlT_T0_E_clISt17integral_constantIbLb1EES1A_IbLb0EEEEDaS16_S17_EUlS16_E_NS1_11comp_targetILNS1_3genE2ELNS1_11target_archE906ELNS1_3gpuE6ELNS1_3repE0EEENS1_30default_config_static_selectorELNS0_4arch9wavefront6targetE0EEEvT1_,"axG",@progbits,_ZN7rocprim17ROCPRIM_400000_NS6detail17trampoline_kernelINS0_14default_configENS1_25partition_config_selectorILNS1_17partition_subalgoE6EsNS0_10empty_typeEbEEZZNS1_14partition_implILS5_6ELb0ES3_mN6thrust23THRUST_200600_302600_NS6detail15normal_iteratorINSA_10device_ptrIsEEEEPS6_SG_NS0_5tupleIJNSA_16discard_iteratorINSA_11use_defaultEEES6_EEENSH_IJSG_SG_EEES6_PlJNSB_9not_fun_tI7is_trueIsEEEEEE10hipError_tPvRmT3_T4_T5_T6_T7_T9_mT8_P12ihipStream_tbDpT10_ENKUlT_T0_E_clISt17integral_constantIbLb1EES1A_IbLb0EEEEDaS16_S17_EUlS16_E_NS1_11comp_targetILNS1_3genE2ELNS1_11target_archE906ELNS1_3gpuE6ELNS1_3repE0EEENS1_30default_config_static_selectorELNS0_4arch9wavefront6targetE0EEEvT1_,comdat
	.protected	_ZN7rocprim17ROCPRIM_400000_NS6detail17trampoline_kernelINS0_14default_configENS1_25partition_config_selectorILNS1_17partition_subalgoE6EsNS0_10empty_typeEbEEZZNS1_14partition_implILS5_6ELb0ES3_mN6thrust23THRUST_200600_302600_NS6detail15normal_iteratorINSA_10device_ptrIsEEEEPS6_SG_NS0_5tupleIJNSA_16discard_iteratorINSA_11use_defaultEEES6_EEENSH_IJSG_SG_EEES6_PlJNSB_9not_fun_tI7is_trueIsEEEEEE10hipError_tPvRmT3_T4_T5_T6_T7_T9_mT8_P12ihipStream_tbDpT10_ENKUlT_T0_E_clISt17integral_constantIbLb1EES1A_IbLb0EEEEDaS16_S17_EUlS16_E_NS1_11comp_targetILNS1_3genE2ELNS1_11target_archE906ELNS1_3gpuE6ELNS1_3repE0EEENS1_30default_config_static_selectorELNS0_4arch9wavefront6targetE0EEEvT1_ ; -- Begin function _ZN7rocprim17ROCPRIM_400000_NS6detail17trampoline_kernelINS0_14default_configENS1_25partition_config_selectorILNS1_17partition_subalgoE6EsNS0_10empty_typeEbEEZZNS1_14partition_implILS5_6ELb0ES3_mN6thrust23THRUST_200600_302600_NS6detail15normal_iteratorINSA_10device_ptrIsEEEEPS6_SG_NS0_5tupleIJNSA_16discard_iteratorINSA_11use_defaultEEES6_EEENSH_IJSG_SG_EEES6_PlJNSB_9not_fun_tI7is_trueIsEEEEEE10hipError_tPvRmT3_T4_T5_T6_T7_T9_mT8_P12ihipStream_tbDpT10_ENKUlT_T0_E_clISt17integral_constantIbLb1EES1A_IbLb0EEEEDaS16_S17_EUlS16_E_NS1_11comp_targetILNS1_3genE2ELNS1_11target_archE906ELNS1_3gpuE6ELNS1_3repE0EEENS1_30default_config_static_selectorELNS0_4arch9wavefront6targetE0EEEvT1_
	.globl	_ZN7rocprim17ROCPRIM_400000_NS6detail17trampoline_kernelINS0_14default_configENS1_25partition_config_selectorILNS1_17partition_subalgoE6EsNS0_10empty_typeEbEEZZNS1_14partition_implILS5_6ELb0ES3_mN6thrust23THRUST_200600_302600_NS6detail15normal_iteratorINSA_10device_ptrIsEEEEPS6_SG_NS0_5tupleIJNSA_16discard_iteratorINSA_11use_defaultEEES6_EEENSH_IJSG_SG_EEES6_PlJNSB_9not_fun_tI7is_trueIsEEEEEE10hipError_tPvRmT3_T4_T5_T6_T7_T9_mT8_P12ihipStream_tbDpT10_ENKUlT_T0_E_clISt17integral_constantIbLb1EES1A_IbLb0EEEEDaS16_S17_EUlS16_E_NS1_11comp_targetILNS1_3genE2ELNS1_11target_archE906ELNS1_3gpuE6ELNS1_3repE0EEENS1_30default_config_static_selectorELNS0_4arch9wavefront6targetE0EEEvT1_
	.p2align	8
	.type	_ZN7rocprim17ROCPRIM_400000_NS6detail17trampoline_kernelINS0_14default_configENS1_25partition_config_selectorILNS1_17partition_subalgoE6EsNS0_10empty_typeEbEEZZNS1_14partition_implILS5_6ELb0ES3_mN6thrust23THRUST_200600_302600_NS6detail15normal_iteratorINSA_10device_ptrIsEEEEPS6_SG_NS0_5tupleIJNSA_16discard_iteratorINSA_11use_defaultEEES6_EEENSH_IJSG_SG_EEES6_PlJNSB_9not_fun_tI7is_trueIsEEEEEE10hipError_tPvRmT3_T4_T5_T6_T7_T9_mT8_P12ihipStream_tbDpT10_ENKUlT_T0_E_clISt17integral_constantIbLb1EES1A_IbLb0EEEEDaS16_S17_EUlS16_E_NS1_11comp_targetILNS1_3genE2ELNS1_11target_archE906ELNS1_3gpuE6ELNS1_3repE0EEENS1_30default_config_static_selectorELNS0_4arch9wavefront6targetE0EEEvT1_,@function
_ZN7rocprim17ROCPRIM_400000_NS6detail17trampoline_kernelINS0_14default_configENS1_25partition_config_selectorILNS1_17partition_subalgoE6EsNS0_10empty_typeEbEEZZNS1_14partition_implILS5_6ELb0ES3_mN6thrust23THRUST_200600_302600_NS6detail15normal_iteratorINSA_10device_ptrIsEEEEPS6_SG_NS0_5tupleIJNSA_16discard_iteratorINSA_11use_defaultEEES6_EEENSH_IJSG_SG_EEES6_PlJNSB_9not_fun_tI7is_trueIsEEEEEE10hipError_tPvRmT3_T4_T5_T6_T7_T9_mT8_P12ihipStream_tbDpT10_ENKUlT_T0_E_clISt17integral_constantIbLb1EES1A_IbLb0EEEEDaS16_S17_EUlS16_E_NS1_11comp_targetILNS1_3genE2ELNS1_11target_archE906ELNS1_3gpuE6ELNS1_3repE0EEENS1_30default_config_static_selectorELNS0_4arch9wavefront6targetE0EEEvT1_: ; @_ZN7rocprim17ROCPRIM_400000_NS6detail17trampoline_kernelINS0_14default_configENS1_25partition_config_selectorILNS1_17partition_subalgoE6EsNS0_10empty_typeEbEEZZNS1_14partition_implILS5_6ELb0ES3_mN6thrust23THRUST_200600_302600_NS6detail15normal_iteratorINSA_10device_ptrIsEEEEPS6_SG_NS0_5tupleIJNSA_16discard_iteratorINSA_11use_defaultEEES6_EEENSH_IJSG_SG_EEES6_PlJNSB_9not_fun_tI7is_trueIsEEEEEE10hipError_tPvRmT3_T4_T5_T6_T7_T9_mT8_P12ihipStream_tbDpT10_ENKUlT_T0_E_clISt17integral_constantIbLb1EES1A_IbLb0EEEEDaS16_S17_EUlS16_E_NS1_11comp_targetILNS1_3genE2ELNS1_11target_archE906ELNS1_3gpuE6ELNS1_3repE0EEENS1_30default_config_static_selectorELNS0_4arch9wavefront6targetE0EEEvT1_
; %bb.0:
	.section	.rodata,"a",@progbits
	.p2align	6, 0x0
	.amdhsa_kernel _ZN7rocprim17ROCPRIM_400000_NS6detail17trampoline_kernelINS0_14default_configENS1_25partition_config_selectorILNS1_17partition_subalgoE6EsNS0_10empty_typeEbEEZZNS1_14partition_implILS5_6ELb0ES3_mN6thrust23THRUST_200600_302600_NS6detail15normal_iteratorINSA_10device_ptrIsEEEEPS6_SG_NS0_5tupleIJNSA_16discard_iteratorINSA_11use_defaultEEES6_EEENSH_IJSG_SG_EEES6_PlJNSB_9not_fun_tI7is_trueIsEEEEEE10hipError_tPvRmT3_T4_T5_T6_T7_T9_mT8_P12ihipStream_tbDpT10_ENKUlT_T0_E_clISt17integral_constantIbLb1EES1A_IbLb0EEEEDaS16_S17_EUlS16_E_NS1_11comp_targetILNS1_3genE2ELNS1_11target_archE906ELNS1_3gpuE6ELNS1_3repE0EEENS1_30default_config_static_selectorELNS0_4arch9wavefront6targetE0EEEvT1_
		.amdhsa_group_segment_fixed_size 0
		.amdhsa_private_segment_fixed_size 0
		.amdhsa_kernarg_size 120
		.amdhsa_user_sgpr_count 2
		.amdhsa_user_sgpr_dispatch_ptr 0
		.amdhsa_user_sgpr_queue_ptr 0
		.amdhsa_user_sgpr_kernarg_segment_ptr 1
		.amdhsa_user_sgpr_dispatch_id 0
		.amdhsa_user_sgpr_private_segment_size 0
		.amdhsa_wavefront_size32 1
		.amdhsa_uses_dynamic_stack 0
		.amdhsa_enable_private_segment 0
		.amdhsa_system_sgpr_workgroup_id_x 1
		.amdhsa_system_sgpr_workgroup_id_y 0
		.amdhsa_system_sgpr_workgroup_id_z 0
		.amdhsa_system_sgpr_workgroup_info 0
		.amdhsa_system_vgpr_workitem_id 0
		.amdhsa_next_free_vgpr 1
		.amdhsa_next_free_sgpr 1
		.amdhsa_reserve_vcc 0
		.amdhsa_float_round_mode_32 0
		.amdhsa_float_round_mode_16_64 0
		.amdhsa_float_denorm_mode_32 3
		.amdhsa_float_denorm_mode_16_64 3
		.amdhsa_fp16_overflow 0
		.amdhsa_workgroup_processor_mode 1
		.amdhsa_memory_ordered 1
		.amdhsa_forward_progress 1
		.amdhsa_inst_pref_size 0
		.amdhsa_round_robin_scheduling 0
		.amdhsa_exception_fp_ieee_invalid_op 0
		.amdhsa_exception_fp_denorm_src 0
		.amdhsa_exception_fp_ieee_div_zero 0
		.amdhsa_exception_fp_ieee_overflow 0
		.amdhsa_exception_fp_ieee_underflow 0
		.amdhsa_exception_fp_ieee_inexact 0
		.amdhsa_exception_int_div_zero 0
	.end_amdhsa_kernel
	.section	.text._ZN7rocprim17ROCPRIM_400000_NS6detail17trampoline_kernelINS0_14default_configENS1_25partition_config_selectorILNS1_17partition_subalgoE6EsNS0_10empty_typeEbEEZZNS1_14partition_implILS5_6ELb0ES3_mN6thrust23THRUST_200600_302600_NS6detail15normal_iteratorINSA_10device_ptrIsEEEEPS6_SG_NS0_5tupleIJNSA_16discard_iteratorINSA_11use_defaultEEES6_EEENSH_IJSG_SG_EEES6_PlJNSB_9not_fun_tI7is_trueIsEEEEEE10hipError_tPvRmT3_T4_T5_T6_T7_T9_mT8_P12ihipStream_tbDpT10_ENKUlT_T0_E_clISt17integral_constantIbLb1EES1A_IbLb0EEEEDaS16_S17_EUlS16_E_NS1_11comp_targetILNS1_3genE2ELNS1_11target_archE906ELNS1_3gpuE6ELNS1_3repE0EEENS1_30default_config_static_selectorELNS0_4arch9wavefront6targetE0EEEvT1_,"axG",@progbits,_ZN7rocprim17ROCPRIM_400000_NS6detail17trampoline_kernelINS0_14default_configENS1_25partition_config_selectorILNS1_17partition_subalgoE6EsNS0_10empty_typeEbEEZZNS1_14partition_implILS5_6ELb0ES3_mN6thrust23THRUST_200600_302600_NS6detail15normal_iteratorINSA_10device_ptrIsEEEEPS6_SG_NS0_5tupleIJNSA_16discard_iteratorINSA_11use_defaultEEES6_EEENSH_IJSG_SG_EEES6_PlJNSB_9not_fun_tI7is_trueIsEEEEEE10hipError_tPvRmT3_T4_T5_T6_T7_T9_mT8_P12ihipStream_tbDpT10_ENKUlT_T0_E_clISt17integral_constantIbLb1EES1A_IbLb0EEEEDaS16_S17_EUlS16_E_NS1_11comp_targetILNS1_3genE2ELNS1_11target_archE906ELNS1_3gpuE6ELNS1_3repE0EEENS1_30default_config_static_selectorELNS0_4arch9wavefront6targetE0EEEvT1_,comdat
.Lfunc_end2321:
	.size	_ZN7rocprim17ROCPRIM_400000_NS6detail17trampoline_kernelINS0_14default_configENS1_25partition_config_selectorILNS1_17partition_subalgoE6EsNS0_10empty_typeEbEEZZNS1_14partition_implILS5_6ELb0ES3_mN6thrust23THRUST_200600_302600_NS6detail15normal_iteratorINSA_10device_ptrIsEEEEPS6_SG_NS0_5tupleIJNSA_16discard_iteratorINSA_11use_defaultEEES6_EEENSH_IJSG_SG_EEES6_PlJNSB_9not_fun_tI7is_trueIsEEEEEE10hipError_tPvRmT3_T4_T5_T6_T7_T9_mT8_P12ihipStream_tbDpT10_ENKUlT_T0_E_clISt17integral_constantIbLb1EES1A_IbLb0EEEEDaS16_S17_EUlS16_E_NS1_11comp_targetILNS1_3genE2ELNS1_11target_archE906ELNS1_3gpuE6ELNS1_3repE0EEENS1_30default_config_static_selectorELNS0_4arch9wavefront6targetE0EEEvT1_, .Lfunc_end2321-_ZN7rocprim17ROCPRIM_400000_NS6detail17trampoline_kernelINS0_14default_configENS1_25partition_config_selectorILNS1_17partition_subalgoE6EsNS0_10empty_typeEbEEZZNS1_14partition_implILS5_6ELb0ES3_mN6thrust23THRUST_200600_302600_NS6detail15normal_iteratorINSA_10device_ptrIsEEEEPS6_SG_NS0_5tupleIJNSA_16discard_iteratorINSA_11use_defaultEEES6_EEENSH_IJSG_SG_EEES6_PlJNSB_9not_fun_tI7is_trueIsEEEEEE10hipError_tPvRmT3_T4_T5_T6_T7_T9_mT8_P12ihipStream_tbDpT10_ENKUlT_T0_E_clISt17integral_constantIbLb1EES1A_IbLb0EEEEDaS16_S17_EUlS16_E_NS1_11comp_targetILNS1_3genE2ELNS1_11target_archE906ELNS1_3gpuE6ELNS1_3repE0EEENS1_30default_config_static_selectorELNS0_4arch9wavefront6targetE0EEEvT1_
                                        ; -- End function
	.set _ZN7rocprim17ROCPRIM_400000_NS6detail17trampoline_kernelINS0_14default_configENS1_25partition_config_selectorILNS1_17partition_subalgoE6EsNS0_10empty_typeEbEEZZNS1_14partition_implILS5_6ELb0ES3_mN6thrust23THRUST_200600_302600_NS6detail15normal_iteratorINSA_10device_ptrIsEEEEPS6_SG_NS0_5tupleIJNSA_16discard_iteratorINSA_11use_defaultEEES6_EEENSH_IJSG_SG_EEES6_PlJNSB_9not_fun_tI7is_trueIsEEEEEE10hipError_tPvRmT3_T4_T5_T6_T7_T9_mT8_P12ihipStream_tbDpT10_ENKUlT_T0_E_clISt17integral_constantIbLb1EES1A_IbLb0EEEEDaS16_S17_EUlS16_E_NS1_11comp_targetILNS1_3genE2ELNS1_11target_archE906ELNS1_3gpuE6ELNS1_3repE0EEENS1_30default_config_static_selectorELNS0_4arch9wavefront6targetE0EEEvT1_.num_vgpr, 0
	.set _ZN7rocprim17ROCPRIM_400000_NS6detail17trampoline_kernelINS0_14default_configENS1_25partition_config_selectorILNS1_17partition_subalgoE6EsNS0_10empty_typeEbEEZZNS1_14partition_implILS5_6ELb0ES3_mN6thrust23THRUST_200600_302600_NS6detail15normal_iteratorINSA_10device_ptrIsEEEEPS6_SG_NS0_5tupleIJNSA_16discard_iteratorINSA_11use_defaultEEES6_EEENSH_IJSG_SG_EEES6_PlJNSB_9not_fun_tI7is_trueIsEEEEEE10hipError_tPvRmT3_T4_T5_T6_T7_T9_mT8_P12ihipStream_tbDpT10_ENKUlT_T0_E_clISt17integral_constantIbLb1EES1A_IbLb0EEEEDaS16_S17_EUlS16_E_NS1_11comp_targetILNS1_3genE2ELNS1_11target_archE906ELNS1_3gpuE6ELNS1_3repE0EEENS1_30default_config_static_selectorELNS0_4arch9wavefront6targetE0EEEvT1_.num_agpr, 0
	.set _ZN7rocprim17ROCPRIM_400000_NS6detail17trampoline_kernelINS0_14default_configENS1_25partition_config_selectorILNS1_17partition_subalgoE6EsNS0_10empty_typeEbEEZZNS1_14partition_implILS5_6ELb0ES3_mN6thrust23THRUST_200600_302600_NS6detail15normal_iteratorINSA_10device_ptrIsEEEEPS6_SG_NS0_5tupleIJNSA_16discard_iteratorINSA_11use_defaultEEES6_EEENSH_IJSG_SG_EEES6_PlJNSB_9not_fun_tI7is_trueIsEEEEEE10hipError_tPvRmT3_T4_T5_T6_T7_T9_mT8_P12ihipStream_tbDpT10_ENKUlT_T0_E_clISt17integral_constantIbLb1EES1A_IbLb0EEEEDaS16_S17_EUlS16_E_NS1_11comp_targetILNS1_3genE2ELNS1_11target_archE906ELNS1_3gpuE6ELNS1_3repE0EEENS1_30default_config_static_selectorELNS0_4arch9wavefront6targetE0EEEvT1_.numbered_sgpr, 0
	.set _ZN7rocprim17ROCPRIM_400000_NS6detail17trampoline_kernelINS0_14default_configENS1_25partition_config_selectorILNS1_17partition_subalgoE6EsNS0_10empty_typeEbEEZZNS1_14partition_implILS5_6ELb0ES3_mN6thrust23THRUST_200600_302600_NS6detail15normal_iteratorINSA_10device_ptrIsEEEEPS6_SG_NS0_5tupleIJNSA_16discard_iteratorINSA_11use_defaultEEES6_EEENSH_IJSG_SG_EEES6_PlJNSB_9not_fun_tI7is_trueIsEEEEEE10hipError_tPvRmT3_T4_T5_T6_T7_T9_mT8_P12ihipStream_tbDpT10_ENKUlT_T0_E_clISt17integral_constantIbLb1EES1A_IbLb0EEEEDaS16_S17_EUlS16_E_NS1_11comp_targetILNS1_3genE2ELNS1_11target_archE906ELNS1_3gpuE6ELNS1_3repE0EEENS1_30default_config_static_selectorELNS0_4arch9wavefront6targetE0EEEvT1_.num_named_barrier, 0
	.set _ZN7rocprim17ROCPRIM_400000_NS6detail17trampoline_kernelINS0_14default_configENS1_25partition_config_selectorILNS1_17partition_subalgoE6EsNS0_10empty_typeEbEEZZNS1_14partition_implILS5_6ELb0ES3_mN6thrust23THRUST_200600_302600_NS6detail15normal_iteratorINSA_10device_ptrIsEEEEPS6_SG_NS0_5tupleIJNSA_16discard_iteratorINSA_11use_defaultEEES6_EEENSH_IJSG_SG_EEES6_PlJNSB_9not_fun_tI7is_trueIsEEEEEE10hipError_tPvRmT3_T4_T5_T6_T7_T9_mT8_P12ihipStream_tbDpT10_ENKUlT_T0_E_clISt17integral_constantIbLb1EES1A_IbLb0EEEEDaS16_S17_EUlS16_E_NS1_11comp_targetILNS1_3genE2ELNS1_11target_archE906ELNS1_3gpuE6ELNS1_3repE0EEENS1_30default_config_static_selectorELNS0_4arch9wavefront6targetE0EEEvT1_.private_seg_size, 0
	.set _ZN7rocprim17ROCPRIM_400000_NS6detail17trampoline_kernelINS0_14default_configENS1_25partition_config_selectorILNS1_17partition_subalgoE6EsNS0_10empty_typeEbEEZZNS1_14partition_implILS5_6ELb0ES3_mN6thrust23THRUST_200600_302600_NS6detail15normal_iteratorINSA_10device_ptrIsEEEEPS6_SG_NS0_5tupleIJNSA_16discard_iteratorINSA_11use_defaultEEES6_EEENSH_IJSG_SG_EEES6_PlJNSB_9not_fun_tI7is_trueIsEEEEEE10hipError_tPvRmT3_T4_T5_T6_T7_T9_mT8_P12ihipStream_tbDpT10_ENKUlT_T0_E_clISt17integral_constantIbLb1EES1A_IbLb0EEEEDaS16_S17_EUlS16_E_NS1_11comp_targetILNS1_3genE2ELNS1_11target_archE906ELNS1_3gpuE6ELNS1_3repE0EEENS1_30default_config_static_selectorELNS0_4arch9wavefront6targetE0EEEvT1_.uses_vcc, 0
	.set _ZN7rocprim17ROCPRIM_400000_NS6detail17trampoline_kernelINS0_14default_configENS1_25partition_config_selectorILNS1_17partition_subalgoE6EsNS0_10empty_typeEbEEZZNS1_14partition_implILS5_6ELb0ES3_mN6thrust23THRUST_200600_302600_NS6detail15normal_iteratorINSA_10device_ptrIsEEEEPS6_SG_NS0_5tupleIJNSA_16discard_iteratorINSA_11use_defaultEEES6_EEENSH_IJSG_SG_EEES6_PlJNSB_9not_fun_tI7is_trueIsEEEEEE10hipError_tPvRmT3_T4_T5_T6_T7_T9_mT8_P12ihipStream_tbDpT10_ENKUlT_T0_E_clISt17integral_constantIbLb1EES1A_IbLb0EEEEDaS16_S17_EUlS16_E_NS1_11comp_targetILNS1_3genE2ELNS1_11target_archE906ELNS1_3gpuE6ELNS1_3repE0EEENS1_30default_config_static_selectorELNS0_4arch9wavefront6targetE0EEEvT1_.uses_flat_scratch, 0
	.set _ZN7rocprim17ROCPRIM_400000_NS6detail17trampoline_kernelINS0_14default_configENS1_25partition_config_selectorILNS1_17partition_subalgoE6EsNS0_10empty_typeEbEEZZNS1_14partition_implILS5_6ELb0ES3_mN6thrust23THRUST_200600_302600_NS6detail15normal_iteratorINSA_10device_ptrIsEEEEPS6_SG_NS0_5tupleIJNSA_16discard_iteratorINSA_11use_defaultEEES6_EEENSH_IJSG_SG_EEES6_PlJNSB_9not_fun_tI7is_trueIsEEEEEE10hipError_tPvRmT3_T4_T5_T6_T7_T9_mT8_P12ihipStream_tbDpT10_ENKUlT_T0_E_clISt17integral_constantIbLb1EES1A_IbLb0EEEEDaS16_S17_EUlS16_E_NS1_11comp_targetILNS1_3genE2ELNS1_11target_archE906ELNS1_3gpuE6ELNS1_3repE0EEENS1_30default_config_static_selectorELNS0_4arch9wavefront6targetE0EEEvT1_.has_dyn_sized_stack, 0
	.set _ZN7rocprim17ROCPRIM_400000_NS6detail17trampoline_kernelINS0_14default_configENS1_25partition_config_selectorILNS1_17partition_subalgoE6EsNS0_10empty_typeEbEEZZNS1_14partition_implILS5_6ELb0ES3_mN6thrust23THRUST_200600_302600_NS6detail15normal_iteratorINSA_10device_ptrIsEEEEPS6_SG_NS0_5tupleIJNSA_16discard_iteratorINSA_11use_defaultEEES6_EEENSH_IJSG_SG_EEES6_PlJNSB_9not_fun_tI7is_trueIsEEEEEE10hipError_tPvRmT3_T4_T5_T6_T7_T9_mT8_P12ihipStream_tbDpT10_ENKUlT_T0_E_clISt17integral_constantIbLb1EES1A_IbLb0EEEEDaS16_S17_EUlS16_E_NS1_11comp_targetILNS1_3genE2ELNS1_11target_archE906ELNS1_3gpuE6ELNS1_3repE0EEENS1_30default_config_static_selectorELNS0_4arch9wavefront6targetE0EEEvT1_.has_recursion, 0
	.set _ZN7rocprim17ROCPRIM_400000_NS6detail17trampoline_kernelINS0_14default_configENS1_25partition_config_selectorILNS1_17partition_subalgoE6EsNS0_10empty_typeEbEEZZNS1_14partition_implILS5_6ELb0ES3_mN6thrust23THRUST_200600_302600_NS6detail15normal_iteratorINSA_10device_ptrIsEEEEPS6_SG_NS0_5tupleIJNSA_16discard_iteratorINSA_11use_defaultEEES6_EEENSH_IJSG_SG_EEES6_PlJNSB_9not_fun_tI7is_trueIsEEEEEE10hipError_tPvRmT3_T4_T5_T6_T7_T9_mT8_P12ihipStream_tbDpT10_ENKUlT_T0_E_clISt17integral_constantIbLb1EES1A_IbLb0EEEEDaS16_S17_EUlS16_E_NS1_11comp_targetILNS1_3genE2ELNS1_11target_archE906ELNS1_3gpuE6ELNS1_3repE0EEENS1_30default_config_static_selectorELNS0_4arch9wavefront6targetE0EEEvT1_.has_indirect_call, 0
	.section	.AMDGPU.csdata,"",@progbits
; Kernel info:
; codeLenInByte = 0
; TotalNumSgprs: 0
; NumVgprs: 0
; ScratchSize: 0
; MemoryBound: 0
; FloatMode: 240
; IeeeMode: 1
; LDSByteSize: 0 bytes/workgroup (compile time only)
; SGPRBlocks: 0
; VGPRBlocks: 0
; NumSGPRsForWavesPerEU: 1
; NumVGPRsForWavesPerEU: 1
; Occupancy: 16
; WaveLimiterHint : 0
; COMPUTE_PGM_RSRC2:SCRATCH_EN: 0
; COMPUTE_PGM_RSRC2:USER_SGPR: 2
; COMPUTE_PGM_RSRC2:TRAP_HANDLER: 0
; COMPUTE_PGM_RSRC2:TGID_X_EN: 1
; COMPUTE_PGM_RSRC2:TGID_Y_EN: 0
; COMPUTE_PGM_RSRC2:TGID_Z_EN: 0
; COMPUTE_PGM_RSRC2:TIDIG_COMP_CNT: 0
	.section	.text._ZN7rocprim17ROCPRIM_400000_NS6detail17trampoline_kernelINS0_14default_configENS1_25partition_config_selectorILNS1_17partition_subalgoE6EsNS0_10empty_typeEbEEZZNS1_14partition_implILS5_6ELb0ES3_mN6thrust23THRUST_200600_302600_NS6detail15normal_iteratorINSA_10device_ptrIsEEEEPS6_SG_NS0_5tupleIJNSA_16discard_iteratorINSA_11use_defaultEEES6_EEENSH_IJSG_SG_EEES6_PlJNSB_9not_fun_tI7is_trueIsEEEEEE10hipError_tPvRmT3_T4_T5_T6_T7_T9_mT8_P12ihipStream_tbDpT10_ENKUlT_T0_E_clISt17integral_constantIbLb1EES1A_IbLb0EEEEDaS16_S17_EUlS16_E_NS1_11comp_targetILNS1_3genE10ELNS1_11target_archE1200ELNS1_3gpuE4ELNS1_3repE0EEENS1_30default_config_static_selectorELNS0_4arch9wavefront6targetE0EEEvT1_,"axG",@progbits,_ZN7rocprim17ROCPRIM_400000_NS6detail17trampoline_kernelINS0_14default_configENS1_25partition_config_selectorILNS1_17partition_subalgoE6EsNS0_10empty_typeEbEEZZNS1_14partition_implILS5_6ELb0ES3_mN6thrust23THRUST_200600_302600_NS6detail15normal_iteratorINSA_10device_ptrIsEEEEPS6_SG_NS0_5tupleIJNSA_16discard_iteratorINSA_11use_defaultEEES6_EEENSH_IJSG_SG_EEES6_PlJNSB_9not_fun_tI7is_trueIsEEEEEE10hipError_tPvRmT3_T4_T5_T6_T7_T9_mT8_P12ihipStream_tbDpT10_ENKUlT_T0_E_clISt17integral_constantIbLb1EES1A_IbLb0EEEEDaS16_S17_EUlS16_E_NS1_11comp_targetILNS1_3genE10ELNS1_11target_archE1200ELNS1_3gpuE4ELNS1_3repE0EEENS1_30default_config_static_selectorELNS0_4arch9wavefront6targetE0EEEvT1_,comdat
	.protected	_ZN7rocprim17ROCPRIM_400000_NS6detail17trampoline_kernelINS0_14default_configENS1_25partition_config_selectorILNS1_17partition_subalgoE6EsNS0_10empty_typeEbEEZZNS1_14partition_implILS5_6ELb0ES3_mN6thrust23THRUST_200600_302600_NS6detail15normal_iteratorINSA_10device_ptrIsEEEEPS6_SG_NS0_5tupleIJNSA_16discard_iteratorINSA_11use_defaultEEES6_EEENSH_IJSG_SG_EEES6_PlJNSB_9not_fun_tI7is_trueIsEEEEEE10hipError_tPvRmT3_T4_T5_T6_T7_T9_mT8_P12ihipStream_tbDpT10_ENKUlT_T0_E_clISt17integral_constantIbLb1EES1A_IbLb0EEEEDaS16_S17_EUlS16_E_NS1_11comp_targetILNS1_3genE10ELNS1_11target_archE1200ELNS1_3gpuE4ELNS1_3repE0EEENS1_30default_config_static_selectorELNS0_4arch9wavefront6targetE0EEEvT1_ ; -- Begin function _ZN7rocprim17ROCPRIM_400000_NS6detail17trampoline_kernelINS0_14default_configENS1_25partition_config_selectorILNS1_17partition_subalgoE6EsNS0_10empty_typeEbEEZZNS1_14partition_implILS5_6ELb0ES3_mN6thrust23THRUST_200600_302600_NS6detail15normal_iteratorINSA_10device_ptrIsEEEEPS6_SG_NS0_5tupleIJNSA_16discard_iteratorINSA_11use_defaultEEES6_EEENSH_IJSG_SG_EEES6_PlJNSB_9not_fun_tI7is_trueIsEEEEEE10hipError_tPvRmT3_T4_T5_T6_T7_T9_mT8_P12ihipStream_tbDpT10_ENKUlT_T0_E_clISt17integral_constantIbLb1EES1A_IbLb0EEEEDaS16_S17_EUlS16_E_NS1_11comp_targetILNS1_3genE10ELNS1_11target_archE1200ELNS1_3gpuE4ELNS1_3repE0EEENS1_30default_config_static_selectorELNS0_4arch9wavefront6targetE0EEEvT1_
	.globl	_ZN7rocprim17ROCPRIM_400000_NS6detail17trampoline_kernelINS0_14default_configENS1_25partition_config_selectorILNS1_17partition_subalgoE6EsNS0_10empty_typeEbEEZZNS1_14partition_implILS5_6ELb0ES3_mN6thrust23THRUST_200600_302600_NS6detail15normal_iteratorINSA_10device_ptrIsEEEEPS6_SG_NS0_5tupleIJNSA_16discard_iteratorINSA_11use_defaultEEES6_EEENSH_IJSG_SG_EEES6_PlJNSB_9not_fun_tI7is_trueIsEEEEEE10hipError_tPvRmT3_T4_T5_T6_T7_T9_mT8_P12ihipStream_tbDpT10_ENKUlT_T0_E_clISt17integral_constantIbLb1EES1A_IbLb0EEEEDaS16_S17_EUlS16_E_NS1_11comp_targetILNS1_3genE10ELNS1_11target_archE1200ELNS1_3gpuE4ELNS1_3repE0EEENS1_30default_config_static_selectorELNS0_4arch9wavefront6targetE0EEEvT1_
	.p2align	8
	.type	_ZN7rocprim17ROCPRIM_400000_NS6detail17trampoline_kernelINS0_14default_configENS1_25partition_config_selectorILNS1_17partition_subalgoE6EsNS0_10empty_typeEbEEZZNS1_14partition_implILS5_6ELb0ES3_mN6thrust23THRUST_200600_302600_NS6detail15normal_iteratorINSA_10device_ptrIsEEEEPS6_SG_NS0_5tupleIJNSA_16discard_iteratorINSA_11use_defaultEEES6_EEENSH_IJSG_SG_EEES6_PlJNSB_9not_fun_tI7is_trueIsEEEEEE10hipError_tPvRmT3_T4_T5_T6_T7_T9_mT8_P12ihipStream_tbDpT10_ENKUlT_T0_E_clISt17integral_constantIbLb1EES1A_IbLb0EEEEDaS16_S17_EUlS16_E_NS1_11comp_targetILNS1_3genE10ELNS1_11target_archE1200ELNS1_3gpuE4ELNS1_3repE0EEENS1_30default_config_static_selectorELNS0_4arch9wavefront6targetE0EEEvT1_,@function
_ZN7rocprim17ROCPRIM_400000_NS6detail17trampoline_kernelINS0_14default_configENS1_25partition_config_selectorILNS1_17partition_subalgoE6EsNS0_10empty_typeEbEEZZNS1_14partition_implILS5_6ELb0ES3_mN6thrust23THRUST_200600_302600_NS6detail15normal_iteratorINSA_10device_ptrIsEEEEPS6_SG_NS0_5tupleIJNSA_16discard_iteratorINSA_11use_defaultEEES6_EEENSH_IJSG_SG_EEES6_PlJNSB_9not_fun_tI7is_trueIsEEEEEE10hipError_tPvRmT3_T4_T5_T6_T7_T9_mT8_P12ihipStream_tbDpT10_ENKUlT_T0_E_clISt17integral_constantIbLb1EES1A_IbLb0EEEEDaS16_S17_EUlS16_E_NS1_11comp_targetILNS1_3genE10ELNS1_11target_archE1200ELNS1_3gpuE4ELNS1_3repE0EEENS1_30default_config_static_selectorELNS0_4arch9wavefront6targetE0EEEvT1_: ; @_ZN7rocprim17ROCPRIM_400000_NS6detail17trampoline_kernelINS0_14default_configENS1_25partition_config_selectorILNS1_17partition_subalgoE6EsNS0_10empty_typeEbEEZZNS1_14partition_implILS5_6ELb0ES3_mN6thrust23THRUST_200600_302600_NS6detail15normal_iteratorINSA_10device_ptrIsEEEEPS6_SG_NS0_5tupleIJNSA_16discard_iteratorINSA_11use_defaultEEES6_EEENSH_IJSG_SG_EEES6_PlJNSB_9not_fun_tI7is_trueIsEEEEEE10hipError_tPvRmT3_T4_T5_T6_T7_T9_mT8_P12ihipStream_tbDpT10_ENKUlT_T0_E_clISt17integral_constantIbLb1EES1A_IbLb0EEEEDaS16_S17_EUlS16_E_NS1_11comp_targetILNS1_3genE10ELNS1_11target_archE1200ELNS1_3gpuE4ELNS1_3repE0EEENS1_30default_config_static_selectorELNS0_4arch9wavefront6targetE0EEEvT1_
; %bb.0:
	s_endpgm
	.section	.rodata,"a",@progbits
	.p2align	6, 0x0
	.amdhsa_kernel _ZN7rocprim17ROCPRIM_400000_NS6detail17trampoline_kernelINS0_14default_configENS1_25partition_config_selectorILNS1_17partition_subalgoE6EsNS0_10empty_typeEbEEZZNS1_14partition_implILS5_6ELb0ES3_mN6thrust23THRUST_200600_302600_NS6detail15normal_iteratorINSA_10device_ptrIsEEEEPS6_SG_NS0_5tupleIJNSA_16discard_iteratorINSA_11use_defaultEEES6_EEENSH_IJSG_SG_EEES6_PlJNSB_9not_fun_tI7is_trueIsEEEEEE10hipError_tPvRmT3_T4_T5_T6_T7_T9_mT8_P12ihipStream_tbDpT10_ENKUlT_T0_E_clISt17integral_constantIbLb1EES1A_IbLb0EEEEDaS16_S17_EUlS16_E_NS1_11comp_targetILNS1_3genE10ELNS1_11target_archE1200ELNS1_3gpuE4ELNS1_3repE0EEENS1_30default_config_static_selectorELNS0_4arch9wavefront6targetE0EEEvT1_
		.amdhsa_group_segment_fixed_size 0
		.amdhsa_private_segment_fixed_size 0
		.amdhsa_kernarg_size 120
		.amdhsa_user_sgpr_count 2
		.amdhsa_user_sgpr_dispatch_ptr 0
		.amdhsa_user_sgpr_queue_ptr 0
		.amdhsa_user_sgpr_kernarg_segment_ptr 1
		.amdhsa_user_sgpr_dispatch_id 0
		.amdhsa_user_sgpr_private_segment_size 0
		.amdhsa_wavefront_size32 1
		.amdhsa_uses_dynamic_stack 0
		.amdhsa_enable_private_segment 0
		.amdhsa_system_sgpr_workgroup_id_x 1
		.amdhsa_system_sgpr_workgroup_id_y 0
		.amdhsa_system_sgpr_workgroup_id_z 0
		.amdhsa_system_sgpr_workgroup_info 0
		.amdhsa_system_vgpr_workitem_id 0
		.amdhsa_next_free_vgpr 1
		.amdhsa_next_free_sgpr 1
		.amdhsa_reserve_vcc 0
		.amdhsa_float_round_mode_32 0
		.amdhsa_float_round_mode_16_64 0
		.amdhsa_float_denorm_mode_32 3
		.amdhsa_float_denorm_mode_16_64 3
		.amdhsa_fp16_overflow 0
		.amdhsa_workgroup_processor_mode 1
		.amdhsa_memory_ordered 1
		.amdhsa_forward_progress 1
		.amdhsa_inst_pref_size 1
		.amdhsa_round_robin_scheduling 0
		.amdhsa_exception_fp_ieee_invalid_op 0
		.amdhsa_exception_fp_denorm_src 0
		.amdhsa_exception_fp_ieee_div_zero 0
		.amdhsa_exception_fp_ieee_overflow 0
		.amdhsa_exception_fp_ieee_underflow 0
		.amdhsa_exception_fp_ieee_inexact 0
		.amdhsa_exception_int_div_zero 0
	.end_amdhsa_kernel
	.section	.text._ZN7rocprim17ROCPRIM_400000_NS6detail17trampoline_kernelINS0_14default_configENS1_25partition_config_selectorILNS1_17partition_subalgoE6EsNS0_10empty_typeEbEEZZNS1_14partition_implILS5_6ELb0ES3_mN6thrust23THRUST_200600_302600_NS6detail15normal_iteratorINSA_10device_ptrIsEEEEPS6_SG_NS0_5tupleIJNSA_16discard_iteratorINSA_11use_defaultEEES6_EEENSH_IJSG_SG_EEES6_PlJNSB_9not_fun_tI7is_trueIsEEEEEE10hipError_tPvRmT3_T4_T5_T6_T7_T9_mT8_P12ihipStream_tbDpT10_ENKUlT_T0_E_clISt17integral_constantIbLb1EES1A_IbLb0EEEEDaS16_S17_EUlS16_E_NS1_11comp_targetILNS1_3genE10ELNS1_11target_archE1200ELNS1_3gpuE4ELNS1_3repE0EEENS1_30default_config_static_selectorELNS0_4arch9wavefront6targetE0EEEvT1_,"axG",@progbits,_ZN7rocprim17ROCPRIM_400000_NS6detail17trampoline_kernelINS0_14default_configENS1_25partition_config_selectorILNS1_17partition_subalgoE6EsNS0_10empty_typeEbEEZZNS1_14partition_implILS5_6ELb0ES3_mN6thrust23THRUST_200600_302600_NS6detail15normal_iteratorINSA_10device_ptrIsEEEEPS6_SG_NS0_5tupleIJNSA_16discard_iteratorINSA_11use_defaultEEES6_EEENSH_IJSG_SG_EEES6_PlJNSB_9not_fun_tI7is_trueIsEEEEEE10hipError_tPvRmT3_T4_T5_T6_T7_T9_mT8_P12ihipStream_tbDpT10_ENKUlT_T0_E_clISt17integral_constantIbLb1EES1A_IbLb0EEEEDaS16_S17_EUlS16_E_NS1_11comp_targetILNS1_3genE10ELNS1_11target_archE1200ELNS1_3gpuE4ELNS1_3repE0EEENS1_30default_config_static_selectorELNS0_4arch9wavefront6targetE0EEEvT1_,comdat
.Lfunc_end2322:
	.size	_ZN7rocprim17ROCPRIM_400000_NS6detail17trampoline_kernelINS0_14default_configENS1_25partition_config_selectorILNS1_17partition_subalgoE6EsNS0_10empty_typeEbEEZZNS1_14partition_implILS5_6ELb0ES3_mN6thrust23THRUST_200600_302600_NS6detail15normal_iteratorINSA_10device_ptrIsEEEEPS6_SG_NS0_5tupleIJNSA_16discard_iteratorINSA_11use_defaultEEES6_EEENSH_IJSG_SG_EEES6_PlJNSB_9not_fun_tI7is_trueIsEEEEEE10hipError_tPvRmT3_T4_T5_T6_T7_T9_mT8_P12ihipStream_tbDpT10_ENKUlT_T0_E_clISt17integral_constantIbLb1EES1A_IbLb0EEEEDaS16_S17_EUlS16_E_NS1_11comp_targetILNS1_3genE10ELNS1_11target_archE1200ELNS1_3gpuE4ELNS1_3repE0EEENS1_30default_config_static_selectorELNS0_4arch9wavefront6targetE0EEEvT1_, .Lfunc_end2322-_ZN7rocprim17ROCPRIM_400000_NS6detail17trampoline_kernelINS0_14default_configENS1_25partition_config_selectorILNS1_17partition_subalgoE6EsNS0_10empty_typeEbEEZZNS1_14partition_implILS5_6ELb0ES3_mN6thrust23THRUST_200600_302600_NS6detail15normal_iteratorINSA_10device_ptrIsEEEEPS6_SG_NS0_5tupleIJNSA_16discard_iteratorINSA_11use_defaultEEES6_EEENSH_IJSG_SG_EEES6_PlJNSB_9not_fun_tI7is_trueIsEEEEEE10hipError_tPvRmT3_T4_T5_T6_T7_T9_mT8_P12ihipStream_tbDpT10_ENKUlT_T0_E_clISt17integral_constantIbLb1EES1A_IbLb0EEEEDaS16_S17_EUlS16_E_NS1_11comp_targetILNS1_3genE10ELNS1_11target_archE1200ELNS1_3gpuE4ELNS1_3repE0EEENS1_30default_config_static_selectorELNS0_4arch9wavefront6targetE0EEEvT1_
                                        ; -- End function
	.set _ZN7rocprim17ROCPRIM_400000_NS6detail17trampoline_kernelINS0_14default_configENS1_25partition_config_selectorILNS1_17partition_subalgoE6EsNS0_10empty_typeEbEEZZNS1_14partition_implILS5_6ELb0ES3_mN6thrust23THRUST_200600_302600_NS6detail15normal_iteratorINSA_10device_ptrIsEEEEPS6_SG_NS0_5tupleIJNSA_16discard_iteratorINSA_11use_defaultEEES6_EEENSH_IJSG_SG_EEES6_PlJNSB_9not_fun_tI7is_trueIsEEEEEE10hipError_tPvRmT3_T4_T5_T6_T7_T9_mT8_P12ihipStream_tbDpT10_ENKUlT_T0_E_clISt17integral_constantIbLb1EES1A_IbLb0EEEEDaS16_S17_EUlS16_E_NS1_11comp_targetILNS1_3genE10ELNS1_11target_archE1200ELNS1_3gpuE4ELNS1_3repE0EEENS1_30default_config_static_selectorELNS0_4arch9wavefront6targetE0EEEvT1_.num_vgpr, 0
	.set _ZN7rocprim17ROCPRIM_400000_NS6detail17trampoline_kernelINS0_14default_configENS1_25partition_config_selectorILNS1_17partition_subalgoE6EsNS0_10empty_typeEbEEZZNS1_14partition_implILS5_6ELb0ES3_mN6thrust23THRUST_200600_302600_NS6detail15normal_iteratorINSA_10device_ptrIsEEEEPS6_SG_NS0_5tupleIJNSA_16discard_iteratorINSA_11use_defaultEEES6_EEENSH_IJSG_SG_EEES6_PlJNSB_9not_fun_tI7is_trueIsEEEEEE10hipError_tPvRmT3_T4_T5_T6_T7_T9_mT8_P12ihipStream_tbDpT10_ENKUlT_T0_E_clISt17integral_constantIbLb1EES1A_IbLb0EEEEDaS16_S17_EUlS16_E_NS1_11comp_targetILNS1_3genE10ELNS1_11target_archE1200ELNS1_3gpuE4ELNS1_3repE0EEENS1_30default_config_static_selectorELNS0_4arch9wavefront6targetE0EEEvT1_.num_agpr, 0
	.set _ZN7rocprim17ROCPRIM_400000_NS6detail17trampoline_kernelINS0_14default_configENS1_25partition_config_selectorILNS1_17partition_subalgoE6EsNS0_10empty_typeEbEEZZNS1_14partition_implILS5_6ELb0ES3_mN6thrust23THRUST_200600_302600_NS6detail15normal_iteratorINSA_10device_ptrIsEEEEPS6_SG_NS0_5tupleIJNSA_16discard_iteratorINSA_11use_defaultEEES6_EEENSH_IJSG_SG_EEES6_PlJNSB_9not_fun_tI7is_trueIsEEEEEE10hipError_tPvRmT3_T4_T5_T6_T7_T9_mT8_P12ihipStream_tbDpT10_ENKUlT_T0_E_clISt17integral_constantIbLb1EES1A_IbLb0EEEEDaS16_S17_EUlS16_E_NS1_11comp_targetILNS1_3genE10ELNS1_11target_archE1200ELNS1_3gpuE4ELNS1_3repE0EEENS1_30default_config_static_selectorELNS0_4arch9wavefront6targetE0EEEvT1_.numbered_sgpr, 0
	.set _ZN7rocprim17ROCPRIM_400000_NS6detail17trampoline_kernelINS0_14default_configENS1_25partition_config_selectorILNS1_17partition_subalgoE6EsNS0_10empty_typeEbEEZZNS1_14partition_implILS5_6ELb0ES3_mN6thrust23THRUST_200600_302600_NS6detail15normal_iteratorINSA_10device_ptrIsEEEEPS6_SG_NS0_5tupleIJNSA_16discard_iteratorINSA_11use_defaultEEES6_EEENSH_IJSG_SG_EEES6_PlJNSB_9not_fun_tI7is_trueIsEEEEEE10hipError_tPvRmT3_T4_T5_T6_T7_T9_mT8_P12ihipStream_tbDpT10_ENKUlT_T0_E_clISt17integral_constantIbLb1EES1A_IbLb0EEEEDaS16_S17_EUlS16_E_NS1_11comp_targetILNS1_3genE10ELNS1_11target_archE1200ELNS1_3gpuE4ELNS1_3repE0EEENS1_30default_config_static_selectorELNS0_4arch9wavefront6targetE0EEEvT1_.num_named_barrier, 0
	.set _ZN7rocprim17ROCPRIM_400000_NS6detail17trampoline_kernelINS0_14default_configENS1_25partition_config_selectorILNS1_17partition_subalgoE6EsNS0_10empty_typeEbEEZZNS1_14partition_implILS5_6ELb0ES3_mN6thrust23THRUST_200600_302600_NS6detail15normal_iteratorINSA_10device_ptrIsEEEEPS6_SG_NS0_5tupleIJNSA_16discard_iteratorINSA_11use_defaultEEES6_EEENSH_IJSG_SG_EEES6_PlJNSB_9not_fun_tI7is_trueIsEEEEEE10hipError_tPvRmT3_T4_T5_T6_T7_T9_mT8_P12ihipStream_tbDpT10_ENKUlT_T0_E_clISt17integral_constantIbLb1EES1A_IbLb0EEEEDaS16_S17_EUlS16_E_NS1_11comp_targetILNS1_3genE10ELNS1_11target_archE1200ELNS1_3gpuE4ELNS1_3repE0EEENS1_30default_config_static_selectorELNS0_4arch9wavefront6targetE0EEEvT1_.private_seg_size, 0
	.set _ZN7rocprim17ROCPRIM_400000_NS6detail17trampoline_kernelINS0_14default_configENS1_25partition_config_selectorILNS1_17partition_subalgoE6EsNS0_10empty_typeEbEEZZNS1_14partition_implILS5_6ELb0ES3_mN6thrust23THRUST_200600_302600_NS6detail15normal_iteratorINSA_10device_ptrIsEEEEPS6_SG_NS0_5tupleIJNSA_16discard_iteratorINSA_11use_defaultEEES6_EEENSH_IJSG_SG_EEES6_PlJNSB_9not_fun_tI7is_trueIsEEEEEE10hipError_tPvRmT3_T4_T5_T6_T7_T9_mT8_P12ihipStream_tbDpT10_ENKUlT_T0_E_clISt17integral_constantIbLb1EES1A_IbLb0EEEEDaS16_S17_EUlS16_E_NS1_11comp_targetILNS1_3genE10ELNS1_11target_archE1200ELNS1_3gpuE4ELNS1_3repE0EEENS1_30default_config_static_selectorELNS0_4arch9wavefront6targetE0EEEvT1_.uses_vcc, 0
	.set _ZN7rocprim17ROCPRIM_400000_NS6detail17trampoline_kernelINS0_14default_configENS1_25partition_config_selectorILNS1_17partition_subalgoE6EsNS0_10empty_typeEbEEZZNS1_14partition_implILS5_6ELb0ES3_mN6thrust23THRUST_200600_302600_NS6detail15normal_iteratorINSA_10device_ptrIsEEEEPS6_SG_NS0_5tupleIJNSA_16discard_iteratorINSA_11use_defaultEEES6_EEENSH_IJSG_SG_EEES6_PlJNSB_9not_fun_tI7is_trueIsEEEEEE10hipError_tPvRmT3_T4_T5_T6_T7_T9_mT8_P12ihipStream_tbDpT10_ENKUlT_T0_E_clISt17integral_constantIbLb1EES1A_IbLb0EEEEDaS16_S17_EUlS16_E_NS1_11comp_targetILNS1_3genE10ELNS1_11target_archE1200ELNS1_3gpuE4ELNS1_3repE0EEENS1_30default_config_static_selectorELNS0_4arch9wavefront6targetE0EEEvT1_.uses_flat_scratch, 0
	.set _ZN7rocprim17ROCPRIM_400000_NS6detail17trampoline_kernelINS0_14default_configENS1_25partition_config_selectorILNS1_17partition_subalgoE6EsNS0_10empty_typeEbEEZZNS1_14partition_implILS5_6ELb0ES3_mN6thrust23THRUST_200600_302600_NS6detail15normal_iteratorINSA_10device_ptrIsEEEEPS6_SG_NS0_5tupleIJNSA_16discard_iteratorINSA_11use_defaultEEES6_EEENSH_IJSG_SG_EEES6_PlJNSB_9not_fun_tI7is_trueIsEEEEEE10hipError_tPvRmT3_T4_T5_T6_T7_T9_mT8_P12ihipStream_tbDpT10_ENKUlT_T0_E_clISt17integral_constantIbLb1EES1A_IbLb0EEEEDaS16_S17_EUlS16_E_NS1_11comp_targetILNS1_3genE10ELNS1_11target_archE1200ELNS1_3gpuE4ELNS1_3repE0EEENS1_30default_config_static_selectorELNS0_4arch9wavefront6targetE0EEEvT1_.has_dyn_sized_stack, 0
	.set _ZN7rocprim17ROCPRIM_400000_NS6detail17trampoline_kernelINS0_14default_configENS1_25partition_config_selectorILNS1_17partition_subalgoE6EsNS0_10empty_typeEbEEZZNS1_14partition_implILS5_6ELb0ES3_mN6thrust23THRUST_200600_302600_NS6detail15normal_iteratorINSA_10device_ptrIsEEEEPS6_SG_NS0_5tupleIJNSA_16discard_iteratorINSA_11use_defaultEEES6_EEENSH_IJSG_SG_EEES6_PlJNSB_9not_fun_tI7is_trueIsEEEEEE10hipError_tPvRmT3_T4_T5_T6_T7_T9_mT8_P12ihipStream_tbDpT10_ENKUlT_T0_E_clISt17integral_constantIbLb1EES1A_IbLb0EEEEDaS16_S17_EUlS16_E_NS1_11comp_targetILNS1_3genE10ELNS1_11target_archE1200ELNS1_3gpuE4ELNS1_3repE0EEENS1_30default_config_static_selectorELNS0_4arch9wavefront6targetE0EEEvT1_.has_recursion, 0
	.set _ZN7rocprim17ROCPRIM_400000_NS6detail17trampoline_kernelINS0_14default_configENS1_25partition_config_selectorILNS1_17partition_subalgoE6EsNS0_10empty_typeEbEEZZNS1_14partition_implILS5_6ELb0ES3_mN6thrust23THRUST_200600_302600_NS6detail15normal_iteratorINSA_10device_ptrIsEEEEPS6_SG_NS0_5tupleIJNSA_16discard_iteratorINSA_11use_defaultEEES6_EEENSH_IJSG_SG_EEES6_PlJNSB_9not_fun_tI7is_trueIsEEEEEE10hipError_tPvRmT3_T4_T5_T6_T7_T9_mT8_P12ihipStream_tbDpT10_ENKUlT_T0_E_clISt17integral_constantIbLb1EES1A_IbLb0EEEEDaS16_S17_EUlS16_E_NS1_11comp_targetILNS1_3genE10ELNS1_11target_archE1200ELNS1_3gpuE4ELNS1_3repE0EEENS1_30default_config_static_selectorELNS0_4arch9wavefront6targetE0EEEvT1_.has_indirect_call, 0
	.section	.AMDGPU.csdata,"",@progbits
; Kernel info:
; codeLenInByte = 4
; TotalNumSgprs: 0
; NumVgprs: 0
; ScratchSize: 0
; MemoryBound: 0
; FloatMode: 240
; IeeeMode: 1
; LDSByteSize: 0 bytes/workgroup (compile time only)
; SGPRBlocks: 0
; VGPRBlocks: 0
; NumSGPRsForWavesPerEU: 1
; NumVGPRsForWavesPerEU: 1
; Occupancy: 16
; WaveLimiterHint : 0
; COMPUTE_PGM_RSRC2:SCRATCH_EN: 0
; COMPUTE_PGM_RSRC2:USER_SGPR: 2
; COMPUTE_PGM_RSRC2:TRAP_HANDLER: 0
; COMPUTE_PGM_RSRC2:TGID_X_EN: 1
; COMPUTE_PGM_RSRC2:TGID_Y_EN: 0
; COMPUTE_PGM_RSRC2:TGID_Z_EN: 0
; COMPUTE_PGM_RSRC2:TIDIG_COMP_CNT: 0
	.section	.text._ZN7rocprim17ROCPRIM_400000_NS6detail17trampoline_kernelINS0_14default_configENS1_25partition_config_selectorILNS1_17partition_subalgoE6EsNS0_10empty_typeEbEEZZNS1_14partition_implILS5_6ELb0ES3_mN6thrust23THRUST_200600_302600_NS6detail15normal_iteratorINSA_10device_ptrIsEEEEPS6_SG_NS0_5tupleIJNSA_16discard_iteratorINSA_11use_defaultEEES6_EEENSH_IJSG_SG_EEES6_PlJNSB_9not_fun_tI7is_trueIsEEEEEE10hipError_tPvRmT3_T4_T5_T6_T7_T9_mT8_P12ihipStream_tbDpT10_ENKUlT_T0_E_clISt17integral_constantIbLb1EES1A_IbLb0EEEEDaS16_S17_EUlS16_E_NS1_11comp_targetILNS1_3genE9ELNS1_11target_archE1100ELNS1_3gpuE3ELNS1_3repE0EEENS1_30default_config_static_selectorELNS0_4arch9wavefront6targetE0EEEvT1_,"axG",@progbits,_ZN7rocprim17ROCPRIM_400000_NS6detail17trampoline_kernelINS0_14default_configENS1_25partition_config_selectorILNS1_17partition_subalgoE6EsNS0_10empty_typeEbEEZZNS1_14partition_implILS5_6ELb0ES3_mN6thrust23THRUST_200600_302600_NS6detail15normal_iteratorINSA_10device_ptrIsEEEEPS6_SG_NS0_5tupleIJNSA_16discard_iteratorINSA_11use_defaultEEES6_EEENSH_IJSG_SG_EEES6_PlJNSB_9not_fun_tI7is_trueIsEEEEEE10hipError_tPvRmT3_T4_T5_T6_T7_T9_mT8_P12ihipStream_tbDpT10_ENKUlT_T0_E_clISt17integral_constantIbLb1EES1A_IbLb0EEEEDaS16_S17_EUlS16_E_NS1_11comp_targetILNS1_3genE9ELNS1_11target_archE1100ELNS1_3gpuE3ELNS1_3repE0EEENS1_30default_config_static_selectorELNS0_4arch9wavefront6targetE0EEEvT1_,comdat
	.protected	_ZN7rocprim17ROCPRIM_400000_NS6detail17trampoline_kernelINS0_14default_configENS1_25partition_config_selectorILNS1_17partition_subalgoE6EsNS0_10empty_typeEbEEZZNS1_14partition_implILS5_6ELb0ES3_mN6thrust23THRUST_200600_302600_NS6detail15normal_iteratorINSA_10device_ptrIsEEEEPS6_SG_NS0_5tupleIJNSA_16discard_iteratorINSA_11use_defaultEEES6_EEENSH_IJSG_SG_EEES6_PlJNSB_9not_fun_tI7is_trueIsEEEEEE10hipError_tPvRmT3_T4_T5_T6_T7_T9_mT8_P12ihipStream_tbDpT10_ENKUlT_T0_E_clISt17integral_constantIbLb1EES1A_IbLb0EEEEDaS16_S17_EUlS16_E_NS1_11comp_targetILNS1_3genE9ELNS1_11target_archE1100ELNS1_3gpuE3ELNS1_3repE0EEENS1_30default_config_static_selectorELNS0_4arch9wavefront6targetE0EEEvT1_ ; -- Begin function _ZN7rocprim17ROCPRIM_400000_NS6detail17trampoline_kernelINS0_14default_configENS1_25partition_config_selectorILNS1_17partition_subalgoE6EsNS0_10empty_typeEbEEZZNS1_14partition_implILS5_6ELb0ES3_mN6thrust23THRUST_200600_302600_NS6detail15normal_iteratorINSA_10device_ptrIsEEEEPS6_SG_NS0_5tupleIJNSA_16discard_iteratorINSA_11use_defaultEEES6_EEENSH_IJSG_SG_EEES6_PlJNSB_9not_fun_tI7is_trueIsEEEEEE10hipError_tPvRmT3_T4_T5_T6_T7_T9_mT8_P12ihipStream_tbDpT10_ENKUlT_T0_E_clISt17integral_constantIbLb1EES1A_IbLb0EEEEDaS16_S17_EUlS16_E_NS1_11comp_targetILNS1_3genE9ELNS1_11target_archE1100ELNS1_3gpuE3ELNS1_3repE0EEENS1_30default_config_static_selectorELNS0_4arch9wavefront6targetE0EEEvT1_
	.globl	_ZN7rocprim17ROCPRIM_400000_NS6detail17trampoline_kernelINS0_14default_configENS1_25partition_config_selectorILNS1_17partition_subalgoE6EsNS0_10empty_typeEbEEZZNS1_14partition_implILS5_6ELb0ES3_mN6thrust23THRUST_200600_302600_NS6detail15normal_iteratorINSA_10device_ptrIsEEEEPS6_SG_NS0_5tupleIJNSA_16discard_iteratorINSA_11use_defaultEEES6_EEENSH_IJSG_SG_EEES6_PlJNSB_9not_fun_tI7is_trueIsEEEEEE10hipError_tPvRmT3_T4_T5_T6_T7_T9_mT8_P12ihipStream_tbDpT10_ENKUlT_T0_E_clISt17integral_constantIbLb1EES1A_IbLb0EEEEDaS16_S17_EUlS16_E_NS1_11comp_targetILNS1_3genE9ELNS1_11target_archE1100ELNS1_3gpuE3ELNS1_3repE0EEENS1_30default_config_static_selectorELNS0_4arch9wavefront6targetE0EEEvT1_
	.p2align	8
	.type	_ZN7rocprim17ROCPRIM_400000_NS6detail17trampoline_kernelINS0_14default_configENS1_25partition_config_selectorILNS1_17partition_subalgoE6EsNS0_10empty_typeEbEEZZNS1_14partition_implILS5_6ELb0ES3_mN6thrust23THRUST_200600_302600_NS6detail15normal_iteratorINSA_10device_ptrIsEEEEPS6_SG_NS0_5tupleIJNSA_16discard_iteratorINSA_11use_defaultEEES6_EEENSH_IJSG_SG_EEES6_PlJNSB_9not_fun_tI7is_trueIsEEEEEE10hipError_tPvRmT3_T4_T5_T6_T7_T9_mT8_P12ihipStream_tbDpT10_ENKUlT_T0_E_clISt17integral_constantIbLb1EES1A_IbLb0EEEEDaS16_S17_EUlS16_E_NS1_11comp_targetILNS1_3genE9ELNS1_11target_archE1100ELNS1_3gpuE3ELNS1_3repE0EEENS1_30default_config_static_selectorELNS0_4arch9wavefront6targetE0EEEvT1_,@function
_ZN7rocprim17ROCPRIM_400000_NS6detail17trampoline_kernelINS0_14default_configENS1_25partition_config_selectorILNS1_17partition_subalgoE6EsNS0_10empty_typeEbEEZZNS1_14partition_implILS5_6ELb0ES3_mN6thrust23THRUST_200600_302600_NS6detail15normal_iteratorINSA_10device_ptrIsEEEEPS6_SG_NS0_5tupleIJNSA_16discard_iteratorINSA_11use_defaultEEES6_EEENSH_IJSG_SG_EEES6_PlJNSB_9not_fun_tI7is_trueIsEEEEEE10hipError_tPvRmT3_T4_T5_T6_T7_T9_mT8_P12ihipStream_tbDpT10_ENKUlT_T0_E_clISt17integral_constantIbLb1EES1A_IbLb0EEEEDaS16_S17_EUlS16_E_NS1_11comp_targetILNS1_3genE9ELNS1_11target_archE1100ELNS1_3gpuE3ELNS1_3repE0EEENS1_30default_config_static_selectorELNS0_4arch9wavefront6targetE0EEEvT1_: ; @_ZN7rocprim17ROCPRIM_400000_NS6detail17trampoline_kernelINS0_14default_configENS1_25partition_config_selectorILNS1_17partition_subalgoE6EsNS0_10empty_typeEbEEZZNS1_14partition_implILS5_6ELb0ES3_mN6thrust23THRUST_200600_302600_NS6detail15normal_iteratorINSA_10device_ptrIsEEEEPS6_SG_NS0_5tupleIJNSA_16discard_iteratorINSA_11use_defaultEEES6_EEENSH_IJSG_SG_EEES6_PlJNSB_9not_fun_tI7is_trueIsEEEEEE10hipError_tPvRmT3_T4_T5_T6_T7_T9_mT8_P12ihipStream_tbDpT10_ENKUlT_T0_E_clISt17integral_constantIbLb1EES1A_IbLb0EEEEDaS16_S17_EUlS16_E_NS1_11comp_targetILNS1_3genE9ELNS1_11target_archE1100ELNS1_3gpuE3ELNS1_3repE0EEENS1_30default_config_static_selectorELNS0_4arch9wavefront6targetE0EEEvT1_
; %bb.0:
	.section	.rodata,"a",@progbits
	.p2align	6, 0x0
	.amdhsa_kernel _ZN7rocprim17ROCPRIM_400000_NS6detail17trampoline_kernelINS0_14default_configENS1_25partition_config_selectorILNS1_17partition_subalgoE6EsNS0_10empty_typeEbEEZZNS1_14partition_implILS5_6ELb0ES3_mN6thrust23THRUST_200600_302600_NS6detail15normal_iteratorINSA_10device_ptrIsEEEEPS6_SG_NS0_5tupleIJNSA_16discard_iteratorINSA_11use_defaultEEES6_EEENSH_IJSG_SG_EEES6_PlJNSB_9not_fun_tI7is_trueIsEEEEEE10hipError_tPvRmT3_T4_T5_T6_T7_T9_mT8_P12ihipStream_tbDpT10_ENKUlT_T0_E_clISt17integral_constantIbLb1EES1A_IbLb0EEEEDaS16_S17_EUlS16_E_NS1_11comp_targetILNS1_3genE9ELNS1_11target_archE1100ELNS1_3gpuE3ELNS1_3repE0EEENS1_30default_config_static_selectorELNS0_4arch9wavefront6targetE0EEEvT1_
		.amdhsa_group_segment_fixed_size 0
		.amdhsa_private_segment_fixed_size 0
		.amdhsa_kernarg_size 120
		.amdhsa_user_sgpr_count 2
		.amdhsa_user_sgpr_dispatch_ptr 0
		.amdhsa_user_sgpr_queue_ptr 0
		.amdhsa_user_sgpr_kernarg_segment_ptr 1
		.amdhsa_user_sgpr_dispatch_id 0
		.amdhsa_user_sgpr_private_segment_size 0
		.amdhsa_wavefront_size32 1
		.amdhsa_uses_dynamic_stack 0
		.amdhsa_enable_private_segment 0
		.amdhsa_system_sgpr_workgroup_id_x 1
		.amdhsa_system_sgpr_workgroup_id_y 0
		.amdhsa_system_sgpr_workgroup_id_z 0
		.amdhsa_system_sgpr_workgroup_info 0
		.amdhsa_system_vgpr_workitem_id 0
		.amdhsa_next_free_vgpr 1
		.amdhsa_next_free_sgpr 1
		.amdhsa_reserve_vcc 0
		.amdhsa_float_round_mode_32 0
		.amdhsa_float_round_mode_16_64 0
		.amdhsa_float_denorm_mode_32 3
		.amdhsa_float_denorm_mode_16_64 3
		.amdhsa_fp16_overflow 0
		.amdhsa_workgroup_processor_mode 1
		.amdhsa_memory_ordered 1
		.amdhsa_forward_progress 1
		.amdhsa_inst_pref_size 0
		.amdhsa_round_robin_scheduling 0
		.amdhsa_exception_fp_ieee_invalid_op 0
		.amdhsa_exception_fp_denorm_src 0
		.amdhsa_exception_fp_ieee_div_zero 0
		.amdhsa_exception_fp_ieee_overflow 0
		.amdhsa_exception_fp_ieee_underflow 0
		.amdhsa_exception_fp_ieee_inexact 0
		.amdhsa_exception_int_div_zero 0
	.end_amdhsa_kernel
	.section	.text._ZN7rocprim17ROCPRIM_400000_NS6detail17trampoline_kernelINS0_14default_configENS1_25partition_config_selectorILNS1_17partition_subalgoE6EsNS0_10empty_typeEbEEZZNS1_14partition_implILS5_6ELb0ES3_mN6thrust23THRUST_200600_302600_NS6detail15normal_iteratorINSA_10device_ptrIsEEEEPS6_SG_NS0_5tupleIJNSA_16discard_iteratorINSA_11use_defaultEEES6_EEENSH_IJSG_SG_EEES6_PlJNSB_9not_fun_tI7is_trueIsEEEEEE10hipError_tPvRmT3_T4_T5_T6_T7_T9_mT8_P12ihipStream_tbDpT10_ENKUlT_T0_E_clISt17integral_constantIbLb1EES1A_IbLb0EEEEDaS16_S17_EUlS16_E_NS1_11comp_targetILNS1_3genE9ELNS1_11target_archE1100ELNS1_3gpuE3ELNS1_3repE0EEENS1_30default_config_static_selectorELNS0_4arch9wavefront6targetE0EEEvT1_,"axG",@progbits,_ZN7rocprim17ROCPRIM_400000_NS6detail17trampoline_kernelINS0_14default_configENS1_25partition_config_selectorILNS1_17partition_subalgoE6EsNS0_10empty_typeEbEEZZNS1_14partition_implILS5_6ELb0ES3_mN6thrust23THRUST_200600_302600_NS6detail15normal_iteratorINSA_10device_ptrIsEEEEPS6_SG_NS0_5tupleIJNSA_16discard_iteratorINSA_11use_defaultEEES6_EEENSH_IJSG_SG_EEES6_PlJNSB_9not_fun_tI7is_trueIsEEEEEE10hipError_tPvRmT3_T4_T5_T6_T7_T9_mT8_P12ihipStream_tbDpT10_ENKUlT_T0_E_clISt17integral_constantIbLb1EES1A_IbLb0EEEEDaS16_S17_EUlS16_E_NS1_11comp_targetILNS1_3genE9ELNS1_11target_archE1100ELNS1_3gpuE3ELNS1_3repE0EEENS1_30default_config_static_selectorELNS0_4arch9wavefront6targetE0EEEvT1_,comdat
.Lfunc_end2323:
	.size	_ZN7rocprim17ROCPRIM_400000_NS6detail17trampoline_kernelINS0_14default_configENS1_25partition_config_selectorILNS1_17partition_subalgoE6EsNS0_10empty_typeEbEEZZNS1_14partition_implILS5_6ELb0ES3_mN6thrust23THRUST_200600_302600_NS6detail15normal_iteratorINSA_10device_ptrIsEEEEPS6_SG_NS0_5tupleIJNSA_16discard_iteratorINSA_11use_defaultEEES6_EEENSH_IJSG_SG_EEES6_PlJNSB_9not_fun_tI7is_trueIsEEEEEE10hipError_tPvRmT3_T4_T5_T6_T7_T9_mT8_P12ihipStream_tbDpT10_ENKUlT_T0_E_clISt17integral_constantIbLb1EES1A_IbLb0EEEEDaS16_S17_EUlS16_E_NS1_11comp_targetILNS1_3genE9ELNS1_11target_archE1100ELNS1_3gpuE3ELNS1_3repE0EEENS1_30default_config_static_selectorELNS0_4arch9wavefront6targetE0EEEvT1_, .Lfunc_end2323-_ZN7rocprim17ROCPRIM_400000_NS6detail17trampoline_kernelINS0_14default_configENS1_25partition_config_selectorILNS1_17partition_subalgoE6EsNS0_10empty_typeEbEEZZNS1_14partition_implILS5_6ELb0ES3_mN6thrust23THRUST_200600_302600_NS6detail15normal_iteratorINSA_10device_ptrIsEEEEPS6_SG_NS0_5tupleIJNSA_16discard_iteratorINSA_11use_defaultEEES6_EEENSH_IJSG_SG_EEES6_PlJNSB_9not_fun_tI7is_trueIsEEEEEE10hipError_tPvRmT3_T4_T5_T6_T7_T9_mT8_P12ihipStream_tbDpT10_ENKUlT_T0_E_clISt17integral_constantIbLb1EES1A_IbLb0EEEEDaS16_S17_EUlS16_E_NS1_11comp_targetILNS1_3genE9ELNS1_11target_archE1100ELNS1_3gpuE3ELNS1_3repE0EEENS1_30default_config_static_selectorELNS0_4arch9wavefront6targetE0EEEvT1_
                                        ; -- End function
	.set _ZN7rocprim17ROCPRIM_400000_NS6detail17trampoline_kernelINS0_14default_configENS1_25partition_config_selectorILNS1_17partition_subalgoE6EsNS0_10empty_typeEbEEZZNS1_14partition_implILS5_6ELb0ES3_mN6thrust23THRUST_200600_302600_NS6detail15normal_iteratorINSA_10device_ptrIsEEEEPS6_SG_NS0_5tupleIJNSA_16discard_iteratorINSA_11use_defaultEEES6_EEENSH_IJSG_SG_EEES6_PlJNSB_9not_fun_tI7is_trueIsEEEEEE10hipError_tPvRmT3_T4_T5_T6_T7_T9_mT8_P12ihipStream_tbDpT10_ENKUlT_T0_E_clISt17integral_constantIbLb1EES1A_IbLb0EEEEDaS16_S17_EUlS16_E_NS1_11comp_targetILNS1_3genE9ELNS1_11target_archE1100ELNS1_3gpuE3ELNS1_3repE0EEENS1_30default_config_static_selectorELNS0_4arch9wavefront6targetE0EEEvT1_.num_vgpr, 0
	.set _ZN7rocprim17ROCPRIM_400000_NS6detail17trampoline_kernelINS0_14default_configENS1_25partition_config_selectorILNS1_17partition_subalgoE6EsNS0_10empty_typeEbEEZZNS1_14partition_implILS5_6ELb0ES3_mN6thrust23THRUST_200600_302600_NS6detail15normal_iteratorINSA_10device_ptrIsEEEEPS6_SG_NS0_5tupleIJNSA_16discard_iteratorINSA_11use_defaultEEES6_EEENSH_IJSG_SG_EEES6_PlJNSB_9not_fun_tI7is_trueIsEEEEEE10hipError_tPvRmT3_T4_T5_T6_T7_T9_mT8_P12ihipStream_tbDpT10_ENKUlT_T0_E_clISt17integral_constantIbLb1EES1A_IbLb0EEEEDaS16_S17_EUlS16_E_NS1_11comp_targetILNS1_3genE9ELNS1_11target_archE1100ELNS1_3gpuE3ELNS1_3repE0EEENS1_30default_config_static_selectorELNS0_4arch9wavefront6targetE0EEEvT1_.num_agpr, 0
	.set _ZN7rocprim17ROCPRIM_400000_NS6detail17trampoline_kernelINS0_14default_configENS1_25partition_config_selectorILNS1_17partition_subalgoE6EsNS0_10empty_typeEbEEZZNS1_14partition_implILS5_6ELb0ES3_mN6thrust23THRUST_200600_302600_NS6detail15normal_iteratorINSA_10device_ptrIsEEEEPS6_SG_NS0_5tupleIJNSA_16discard_iteratorINSA_11use_defaultEEES6_EEENSH_IJSG_SG_EEES6_PlJNSB_9not_fun_tI7is_trueIsEEEEEE10hipError_tPvRmT3_T4_T5_T6_T7_T9_mT8_P12ihipStream_tbDpT10_ENKUlT_T0_E_clISt17integral_constantIbLb1EES1A_IbLb0EEEEDaS16_S17_EUlS16_E_NS1_11comp_targetILNS1_3genE9ELNS1_11target_archE1100ELNS1_3gpuE3ELNS1_3repE0EEENS1_30default_config_static_selectorELNS0_4arch9wavefront6targetE0EEEvT1_.numbered_sgpr, 0
	.set _ZN7rocprim17ROCPRIM_400000_NS6detail17trampoline_kernelINS0_14default_configENS1_25partition_config_selectorILNS1_17partition_subalgoE6EsNS0_10empty_typeEbEEZZNS1_14partition_implILS5_6ELb0ES3_mN6thrust23THRUST_200600_302600_NS6detail15normal_iteratorINSA_10device_ptrIsEEEEPS6_SG_NS0_5tupleIJNSA_16discard_iteratorINSA_11use_defaultEEES6_EEENSH_IJSG_SG_EEES6_PlJNSB_9not_fun_tI7is_trueIsEEEEEE10hipError_tPvRmT3_T4_T5_T6_T7_T9_mT8_P12ihipStream_tbDpT10_ENKUlT_T0_E_clISt17integral_constantIbLb1EES1A_IbLb0EEEEDaS16_S17_EUlS16_E_NS1_11comp_targetILNS1_3genE9ELNS1_11target_archE1100ELNS1_3gpuE3ELNS1_3repE0EEENS1_30default_config_static_selectorELNS0_4arch9wavefront6targetE0EEEvT1_.num_named_barrier, 0
	.set _ZN7rocprim17ROCPRIM_400000_NS6detail17trampoline_kernelINS0_14default_configENS1_25partition_config_selectorILNS1_17partition_subalgoE6EsNS0_10empty_typeEbEEZZNS1_14partition_implILS5_6ELb0ES3_mN6thrust23THRUST_200600_302600_NS6detail15normal_iteratorINSA_10device_ptrIsEEEEPS6_SG_NS0_5tupleIJNSA_16discard_iteratorINSA_11use_defaultEEES6_EEENSH_IJSG_SG_EEES6_PlJNSB_9not_fun_tI7is_trueIsEEEEEE10hipError_tPvRmT3_T4_T5_T6_T7_T9_mT8_P12ihipStream_tbDpT10_ENKUlT_T0_E_clISt17integral_constantIbLb1EES1A_IbLb0EEEEDaS16_S17_EUlS16_E_NS1_11comp_targetILNS1_3genE9ELNS1_11target_archE1100ELNS1_3gpuE3ELNS1_3repE0EEENS1_30default_config_static_selectorELNS0_4arch9wavefront6targetE0EEEvT1_.private_seg_size, 0
	.set _ZN7rocprim17ROCPRIM_400000_NS6detail17trampoline_kernelINS0_14default_configENS1_25partition_config_selectorILNS1_17partition_subalgoE6EsNS0_10empty_typeEbEEZZNS1_14partition_implILS5_6ELb0ES3_mN6thrust23THRUST_200600_302600_NS6detail15normal_iteratorINSA_10device_ptrIsEEEEPS6_SG_NS0_5tupleIJNSA_16discard_iteratorINSA_11use_defaultEEES6_EEENSH_IJSG_SG_EEES6_PlJNSB_9not_fun_tI7is_trueIsEEEEEE10hipError_tPvRmT3_T4_T5_T6_T7_T9_mT8_P12ihipStream_tbDpT10_ENKUlT_T0_E_clISt17integral_constantIbLb1EES1A_IbLb0EEEEDaS16_S17_EUlS16_E_NS1_11comp_targetILNS1_3genE9ELNS1_11target_archE1100ELNS1_3gpuE3ELNS1_3repE0EEENS1_30default_config_static_selectorELNS0_4arch9wavefront6targetE0EEEvT1_.uses_vcc, 0
	.set _ZN7rocprim17ROCPRIM_400000_NS6detail17trampoline_kernelINS0_14default_configENS1_25partition_config_selectorILNS1_17partition_subalgoE6EsNS0_10empty_typeEbEEZZNS1_14partition_implILS5_6ELb0ES3_mN6thrust23THRUST_200600_302600_NS6detail15normal_iteratorINSA_10device_ptrIsEEEEPS6_SG_NS0_5tupleIJNSA_16discard_iteratorINSA_11use_defaultEEES6_EEENSH_IJSG_SG_EEES6_PlJNSB_9not_fun_tI7is_trueIsEEEEEE10hipError_tPvRmT3_T4_T5_T6_T7_T9_mT8_P12ihipStream_tbDpT10_ENKUlT_T0_E_clISt17integral_constantIbLb1EES1A_IbLb0EEEEDaS16_S17_EUlS16_E_NS1_11comp_targetILNS1_3genE9ELNS1_11target_archE1100ELNS1_3gpuE3ELNS1_3repE0EEENS1_30default_config_static_selectorELNS0_4arch9wavefront6targetE0EEEvT1_.uses_flat_scratch, 0
	.set _ZN7rocprim17ROCPRIM_400000_NS6detail17trampoline_kernelINS0_14default_configENS1_25partition_config_selectorILNS1_17partition_subalgoE6EsNS0_10empty_typeEbEEZZNS1_14partition_implILS5_6ELb0ES3_mN6thrust23THRUST_200600_302600_NS6detail15normal_iteratorINSA_10device_ptrIsEEEEPS6_SG_NS0_5tupleIJNSA_16discard_iteratorINSA_11use_defaultEEES6_EEENSH_IJSG_SG_EEES6_PlJNSB_9not_fun_tI7is_trueIsEEEEEE10hipError_tPvRmT3_T4_T5_T6_T7_T9_mT8_P12ihipStream_tbDpT10_ENKUlT_T0_E_clISt17integral_constantIbLb1EES1A_IbLb0EEEEDaS16_S17_EUlS16_E_NS1_11comp_targetILNS1_3genE9ELNS1_11target_archE1100ELNS1_3gpuE3ELNS1_3repE0EEENS1_30default_config_static_selectorELNS0_4arch9wavefront6targetE0EEEvT1_.has_dyn_sized_stack, 0
	.set _ZN7rocprim17ROCPRIM_400000_NS6detail17trampoline_kernelINS0_14default_configENS1_25partition_config_selectorILNS1_17partition_subalgoE6EsNS0_10empty_typeEbEEZZNS1_14partition_implILS5_6ELb0ES3_mN6thrust23THRUST_200600_302600_NS6detail15normal_iteratorINSA_10device_ptrIsEEEEPS6_SG_NS0_5tupleIJNSA_16discard_iteratorINSA_11use_defaultEEES6_EEENSH_IJSG_SG_EEES6_PlJNSB_9not_fun_tI7is_trueIsEEEEEE10hipError_tPvRmT3_T4_T5_T6_T7_T9_mT8_P12ihipStream_tbDpT10_ENKUlT_T0_E_clISt17integral_constantIbLb1EES1A_IbLb0EEEEDaS16_S17_EUlS16_E_NS1_11comp_targetILNS1_3genE9ELNS1_11target_archE1100ELNS1_3gpuE3ELNS1_3repE0EEENS1_30default_config_static_selectorELNS0_4arch9wavefront6targetE0EEEvT1_.has_recursion, 0
	.set _ZN7rocprim17ROCPRIM_400000_NS6detail17trampoline_kernelINS0_14default_configENS1_25partition_config_selectorILNS1_17partition_subalgoE6EsNS0_10empty_typeEbEEZZNS1_14partition_implILS5_6ELb0ES3_mN6thrust23THRUST_200600_302600_NS6detail15normal_iteratorINSA_10device_ptrIsEEEEPS6_SG_NS0_5tupleIJNSA_16discard_iteratorINSA_11use_defaultEEES6_EEENSH_IJSG_SG_EEES6_PlJNSB_9not_fun_tI7is_trueIsEEEEEE10hipError_tPvRmT3_T4_T5_T6_T7_T9_mT8_P12ihipStream_tbDpT10_ENKUlT_T0_E_clISt17integral_constantIbLb1EES1A_IbLb0EEEEDaS16_S17_EUlS16_E_NS1_11comp_targetILNS1_3genE9ELNS1_11target_archE1100ELNS1_3gpuE3ELNS1_3repE0EEENS1_30default_config_static_selectorELNS0_4arch9wavefront6targetE0EEEvT1_.has_indirect_call, 0
	.section	.AMDGPU.csdata,"",@progbits
; Kernel info:
; codeLenInByte = 0
; TotalNumSgprs: 0
; NumVgprs: 0
; ScratchSize: 0
; MemoryBound: 0
; FloatMode: 240
; IeeeMode: 1
; LDSByteSize: 0 bytes/workgroup (compile time only)
; SGPRBlocks: 0
; VGPRBlocks: 0
; NumSGPRsForWavesPerEU: 1
; NumVGPRsForWavesPerEU: 1
; Occupancy: 16
; WaveLimiterHint : 0
; COMPUTE_PGM_RSRC2:SCRATCH_EN: 0
; COMPUTE_PGM_RSRC2:USER_SGPR: 2
; COMPUTE_PGM_RSRC2:TRAP_HANDLER: 0
; COMPUTE_PGM_RSRC2:TGID_X_EN: 1
; COMPUTE_PGM_RSRC2:TGID_Y_EN: 0
; COMPUTE_PGM_RSRC2:TGID_Z_EN: 0
; COMPUTE_PGM_RSRC2:TIDIG_COMP_CNT: 0
	.section	.text._ZN7rocprim17ROCPRIM_400000_NS6detail17trampoline_kernelINS0_14default_configENS1_25partition_config_selectorILNS1_17partition_subalgoE6EsNS0_10empty_typeEbEEZZNS1_14partition_implILS5_6ELb0ES3_mN6thrust23THRUST_200600_302600_NS6detail15normal_iteratorINSA_10device_ptrIsEEEEPS6_SG_NS0_5tupleIJNSA_16discard_iteratorINSA_11use_defaultEEES6_EEENSH_IJSG_SG_EEES6_PlJNSB_9not_fun_tI7is_trueIsEEEEEE10hipError_tPvRmT3_T4_T5_T6_T7_T9_mT8_P12ihipStream_tbDpT10_ENKUlT_T0_E_clISt17integral_constantIbLb1EES1A_IbLb0EEEEDaS16_S17_EUlS16_E_NS1_11comp_targetILNS1_3genE8ELNS1_11target_archE1030ELNS1_3gpuE2ELNS1_3repE0EEENS1_30default_config_static_selectorELNS0_4arch9wavefront6targetE0EEEvT1_,"axG",@progbits,_ZN7rocprim17ROCPRIM_400000_NS6detail17trampoline_kernelINS0_14default_configENS1_25partition_config_selectorILNS1_17partition_subalgoE6EsNS0_10empty_typeEbEEZZNS1_14partition_implILS5_6ELb0ES3_mN6thrust23THRUST_200600_302600_NS6detail15normal_iteratorINSA_10device_ptrIsEEEEPS6_SG_NS0_5tupleIJNSA_16discard_iteratorINSA_11use_defaultEEES6_EEENSH_IJSG_SG_EEES6_PlJNSB_9not_fun_tI7is_trueIsEEEEEE10hipError_tPvRmT3_T4_T5_T6_T7_T9_mT8_P12ihipStream_tbDpT10_ENKUlT_T0_E_clISt17integral_constantIbLb1EES1A_IbLb0EEEEDaS16_S17_EUlS16_E_NS1_11comp_targetILNS1_3genE8ELNS1_11target_archE1030ELNS1_3gpuE2ELNS1_3repE0EEENS1_30default_config_static_selectorELNS0_4arch9wavefront6targetE0EEEvT1_,comdat
	.protected	_ZN7rocprim17ROCPRIM_400000_NS6detail17trampoline_kernelINS0_14default_configENS1_25partition_config_selectorILNS1_17partition_subalgoE6EsNS0_10empty_typeEbEEZZNS1_14partition_implILS5_6ELb0ES3_mN6thrust23THRUST_200600_302600_NS6detail15normal_iteratorINSA_10device_ptrIsEEEEPS6_SG_NS0_5tupleIJNSA_16discard_iteratorINSA_11use_defaultEEES6_EEENSH_IJSG_SG_EEES6_PlJNSB_9not_fun_tI7is_trueIsEEEEEE10hipError_tPvRmT3_T4_T5_T6_T7_T9_mT8_P12ihipStream_tbDpT10_ENKUlT_T0_E_clISt17integral_constantIbLb1EES1A_IbLb0EEEEDaS16_S17_EUlS16_E_NS1_11comp_targetILNS1_3genE8ELNS1_11target_archE1030ELNS1_3gpuE2ELNS1_3repE0EEENS1_30default_config_static_selectorELNS0_4arch9wavefront6targetE0EEEvT1_ ; -- Begin function _ZN7rocprim17ROCPRIM_400000_NS6detail17trampoline_kernelINS0_14default_configENS1_25partition_config_selectorILNS1_17partition_subalgoE6EsNS0_10empty_typeEbEEZZNS1_14partition_implILS5_6ELb0ES3_mN6thrust23THRUST_200600_302600_NS6detail15normal_iteratorINSA_10device_ptrIsEEEEPS6_SG_NS0_5tupleIJNSA_16discard_iteratorINSA_11use_defaultEEES6_EEENSH_IJSG_SG_EEES6_PlJNSB_9not_fun_tI7is_trueIsEEEEEE10hipError_tPvRmT3_T4_T5_T6_T7_T9_mT8_P12ihipStream_tbDpT10_ENKUlT_T0_E_clISt17integral_constantIbLb1EES1A_IbLb0EEEEDaS16_S17_EUlS16_E_NS1_11comp_targetILNS1_3genE8ELNS1_11target_archE1030ELNS1_3gpuE2ELNS1_3repE0EEENS1_30default_config_static_selectorELNS0_4arch9wavefront6targetE0EEEvT1_
	.globl	_ZN7rocprim17ROCPRIM_400000_NS6detail17trampoline_kernelINS0_14default_configENS1_25partition_config_selectorILNS1_17partition_subalgoE6EsNS0_10empty_typeEbEEZZNS1_14partition_implILS5_6ELb0ES3_mN6thrust23THRUST_200600_302600_NS6detail15normal_iteratorINSA_10device_ptrIsEEEEPS6_SG_NS0_5tupleIJNSA_16discard_iteratorINSA_11use_defaultEEES6_EEENSH_IJSG_SG_EEES6_PlJNSB_9not_fun_tI7is_trueIsEEEEEE10hipError_tPvRmT3_T4_T5_T6_T7_T9_mT8_P12ihipStream_tbDpT10_ENKUlT_T0_E_clISt17integral_constantIbLb1EES1A_IbLb0EEEEDaS16_S17_EUlS16_E_NS1_11comp_targetILNS1_3genE8ELNS1_11target_archE1030ELNS1_3gpuE2ELNS1_3repE0EEENS1_30default_config_static_selectorELNS0_4arch9wavefront6targetE0EEEvT1_
	.p2align	8
	.type	_ZN7rocprim17ROCPRIM_400000_NS6detail17trampoline_kernelINS0_14default_configENS1_25partition_config_selectorILNS1_17partition_subalgoE6EsNS0_10empty_typeEbEEZZNS1_14partition_implILS5_6ELb0ES3_mN6thrust23THRUST_200600_302600_NS6detail15normal_iteratorINSA_10device_ptrIsEEEEPS6_SG_NS0_5tupleIJNSA_16discard_iteratorINSA_11use_defaultEEES6_EEENSH_IJSG_SG_EEES6_PlJNSB_9not_fun_tI7is_trueIsEEEEEE10hipError_tPvRmT3_T4_T5_T6_T7_T9_mT8_P12ihipStream_tbDpT10_ENKUlT_T0_E_clISt17integral_constantIbLb1EES1A_IbLb0EEEEDaS16_S17_EUlS16_E_NS1_11comp_targetILNS1_3genE8ELNS1_11target_archE1030ELNS1_3gpuE2ELNS1_3repE0EEENS1_30default_config_static_selectorELNS0_4arch9wavefront6targetE0EEEvT1_,@function
_ZN7rocprim17ROCPRIM_400000_NS6detail17trampoline_kernelINS0_14default_configENS1_25partition_config_selectorILNS1_17partition_subalgoE6EsNS0_10empty_typeEbEEZZNS1_14partition_implILS5_6ELb0ES3_mN6thrust23THRUST_200600_302600_NS6detail15normal_iteratorINSA_10device_ptrIsEEEEPS6_SG_NS0_5tupleIJNSA_16discard_iteratorINSA_11use_defaultEEES6_EEENSH_IJSG_SG_EEES6_PlJNSB_9not_fun_tI7is_trueIsEEEEEE10hipError_tPvRmT3_T4_T5_T6_T7_T9_mT8_P12ihipStream_tbDpT10_ENKUlT_T0_E_clISt17integral_constantIbLb1EES1A_IbLb0EEEEDaS16_S17_EUlS16_E_NS1_11comp_targetILNS1_3genE8ELNS1_11target_archE1030ELNS1_3gpuE2ELNS1_3repE0EEENS1_30default_config_static_selectorELNS0_4arch9wavefront6targetE0EEEvT1_: ; @_ZN7rocprim17ROCPRIM_400000_NS6detail17trampoline_kernelINS0_14default_configENS1_25partition_config_selectorILNS1_17partition_subalgoE6EsNS0_10empty_typeEbEEZZNS1_14partition_implILS5_6ELb0ES3_mN6thrust23THRUST_200600_302600_NS6detail15normal_iteratorINSA_10device_ptrIsEEEEPS6_SG_NS0_5tupleIJNSA_16discard_iteratorINSA_11use_defaultEEES6_EEENSH_IJSG_SG_EEES6_PlJNSB_9not_fun_tI7is_trueIsEEEEEE10hipError_tPvRmT3_T4_T5_T6_T7_T9_mT8_P12ihipStream_tbDpT10_ENKUlT_T0_E_clISt17integral_constantIbLb1EES1A_IbLb0EEEEDaS16_S17_EUlS16_E_NS1_11comp_targetILNS1_3genE8ELNS1_11target_archE1030ELNS1_3gpuE2ELNS1_3repE0EEENS1_30default_config_static_selectorELNS0_4arch9wavefront6targetE0EEEvT1_
; %bb.0:
	.section	.rodata,"a",@progbits
	.p2align	6, 0x0
	.amdhsa_kernel _ZN7rocprim17ROCPRIM_400000_NS6detail17trampoline_kernelINS0_14default_configENS1_25partition_config_selectorILNS1_17partition_subalgoE6EsNS0_10empty_typeEbEEZZNS1_14partition_implILS5_6ELb0ES3_mN6thrust23THRUST_200600_302600_NS6detail15normal_iteratorINSA_10device_ptrIsEEEEPS6_SG_NS0_5tupleIJNSA_16discard_iteratorINSA_11use_defaultEEES6_EEENSH_IJSG_SG_EEES6_PlJNSB_9not_fun_tI7is_trueIsEEEEEE10hipError_tPvRmT3_T4_T5_T6_T7_T9_mT8_P12ihipStream_tbDpT10_ENKUlT_T0_E_clISt17integral_constantIbLb1EES1A_IbLb0EEEEDaS16_S17_EUlS16_E_NS1_11comp_targetILNS1_3genE8ELNS1_11target_archE1030ELNS1_3gpuE2ELNS1_3repE0EEENS1_30default_config_static_selectorELNS0_4arch9wavefront6targetE0EEEvT1_
		.amdhsa_group_segment_fixed_size 0
		.amdhsa_private_segment_fixed_size 0
		.amdhsa_kernarg_size 120
		.amdhsa_user_sgpr_count 2
		.amdhsa_user_sgpr_dispatch_ptr 0
		.amdhsa_user_sgpr_queue_ptr 0
		.amdhsa_user_sgpr_kernarg_segment_ptr 1
		.amdhsa_user_sgpr_dispatch_id 0
		.amdhsa_user_sgpr_private_segment_size 0
		.amdhsa_wavefront_size32 1
		.amdhsa_uses_dynamic_stack 0
		.amdhsa_enable_private_segment 0
		.amdhsa_system_sgpr_workgroup_id_x 1
		.amdhsa_system_sgpr_workgroup_id_y 0
		.amdhsa_system_sgpr_workgroup_id_z 0
		.amdhsa_system_sgpr_workgroup_info 0
		.amdhsa_system_vgpr_workitem_id 0
		.amdhsa_next_free_vgpr 1
		.amdhsa_next_free_sgpr 1
		.amdhsa_reserve_vcc 0
		.amdhsa_float_round_mode_32 0
		.amdhsa_float_round_mode_16_64 0
		.amdhsa_float_denorm_mode_32 3
		.amdhsa_float_denorm_mode_16_64 3
		.amdhsa_fp16_overflow 0
		.amdhsa_workgroup_processor_mode 1
		.amdhsa_memory_ordered 1
		.amdhsa_forward_progress 1
		.amdhsa_inst_pref_size 0
		.amdhsa_round_robin_scheduling 0
		.amdhsa_exception_fp_ieee_invalid_op 0
		.amdhsa_exception_fp_denorm_src 0
		.amdhsa_exception_fp_ieee_div_zero 0
		.amdhsa_exception_fp_ieee_overflow 0
		.amdhsa_exception_fp_ieee_underflow 0
		.amdhsa_exception_fp_ieee_inexact 0
		.amdhsa_exception_int_div_zero 0
	.end_amdhsa_kernel
	.section	.text._ZN7rocprim17ROCPRIM_400000_NS6detail17trampoline_kernelINS0_14default_configENS1_25partition_config_selectorILNS1_17partition_subalgoE6EsNS0_10empty_typeEbEEZZNS1_14partition_implILS5_6ELb0ES3_mN6thrust23THRUST_200600_302600_NS6detail15normal_iteratorINSA_10device_ptrIsEEEEPS6_SG_NS0_5tupleIJNSA_16discard_iteratorINSA_11use_defaultEEES6_EEENSH_IJSG_SG_EEES6_PlJNSB_9not_fun_tI7is_trueIsEEEEEE10hipError_tPvRmT3_T4_T5_T6_T7_T9_mT8_P12ihipStream_tbDpT10_ENKUlT_T0_E_clISt17integral_constantIbLb1EES1A_IbLb0EEEEDaS16_S17_EUlS16_E_NS1_11comp_targetILNS1_3genE8ELNS1_11target_archE1030ELNS1_3gpuE2ELNS1_3repE0EEENS1_30default_config_static_selectorELNS0_4arch9wavefront6targetE0EEEvT1_,"axG",@progbits,_ZN7rocprim17ROCPRIM_400000_NS6detail17trampoline_kernelINS0_14default_configENS1_25partition_config_selectorILNS1_17partition_subalgoE6EsNS0_10empty_typeEbEEZZNS1_14partition_implILS5_6ELb0ES3_mN6thrust23THRUST_200600_302600_NS6detail15normal_iteratorINSA_10device_ptrIsEEEEPS6_SG_NS0_5tupleIJNSA_16discard_iteratorINSA_11use_defaultEEES6_EEENSH_IJSG_SG_EEES6_PlJNSB_9not_fun_tI7is_trueIsEEEEEE10hipError_tPvRmT3_T4_T5_T6_T7_T9_mT8_P12ihipStream_tbDpT10_ENKUlT_T0_E_clISt17integral_constantIbLb1EES1A_IbLb0EEEEDaS16_S17_EUlS16_E_NS1_11comp_targetILNS1_3genE8ELNS1_11target_archE1030ELNS1_3gpuE2ELNS1_3repE0EEENS1_30default_config_static_selectorELNS0_4arch9wavefront6targetE0EEEvT1_,comdat
.Lfunc_end2324:
	.size	_ZN7rocprim17ROCPRIM_400000_NS6detail17trampoline_kernelINS0_14default_configENS1_25partition_config_selectorILNS1_17partition_subalgoE6EsNS0_10empty_typeEbEEZZNS1_14partition_implILS5_6ELb0ES3_mN6thrust23THRUST_200600_302600_NS6detail15normal_iteratorINSA_10device_ptrIsEEEEPS6_SG_NS0_5tupleIJNSA_16discard_iteratorINSA_11use_defaultEEES6_EEENSH_IJSG_SG_EEES6_PlJNSB_9not_fun_tI7is_trueIsEEEEEE10hipError_tPvRmT3_T4_T5_T6_T7_T9_mT8_P12ihipStream_tbDpT10_ENKUlT_T0_E_clISt17integral_constantIbLb1EES1A_IbLb0EEEEDaS16_S17_EUlS16_E_NS1_11comp_targetILNS1_3genE8ELNS1_11target_archE1030ELNS1_3gpuE2ELNS1_3repE0EEENS1_30default_config_static_selectorELNS0_4arch9wavefront6targetE0EEEvT1_, .Lfunc_end2324-_ZN7rocprim17ROCPRIM_400000_NS6detail17trampoline_kernelINS0_14default_configENS1_25partition_config_selectorILNS1_17partition_subalgoE6EsNS0_10empty_typeEbEEZZNS1_14partition_implILS5_6ELb0ES3_mN6thrust23THRUST_200600_302600_NS6detail15normal_iteratorINSA_10device_ptrIsEEEEPS6_SG_NS0_5tupleIJNSA_16discard_iteratorINSA_11use_defaultEEES6_EEENSH_IJSG_SG_EEES6_PlJNSB_9not_fun_tI7is_trueIsEEEEEE10hipError_tPvRmT3_T4_T5_T6_T7_T9_mT8_P12ihipStream_tbDpT10_ENKUlT_T0_E_clISt17integral_constantIbLb1EES1A_IbLb0EEEEDaS16_S17_EUlS16_E_NS1_11comp_targetILNS1_3genE8ELNS1_11target_archE1030ELNS1_3gpuE2ELNS1_3repE0EEENS1_30default_config_static_selectorELNS0_4arch9wavefront6targetE0EEEvT1_
                                        ; -- End function
	.set _ZN7rocprim17ROCPRIM_400000_NS6detail17trampoline_kernelINS0_14default_configENS1_25partition_config_selectorILNS1_17partition_subalgoE6EsNS0_10empty_typeEbEEZZNS1_14partition_implILS5_6ELb0ES3_mN6thrust23THRUST_200600_302600_NS6detail15normal_iteratorINSA_10device_ptrIsEEEEPS6_SG_NS0_5tupleIJNSA_16discard_iteratorINSA_11use_defaultEEES6_EEENSH_IJSG_SG_EEES6_PlJNSB_9not_fun_tI7is_trueIsEEEEEE10hipError_tPvRmT3_T4_T5_T6_T7_T9_mT8_P12ihipStream_tbDpT10_ENKUlT_T0_E_clISt17integral_constantIbLb1EES1A_IbLb0EEEEDaS16_S17_EUlS16_E_NS1_11comp_targetILNS1_3genE8ELNS1_11target_archE1030ELNS1_3gpuE2ELNS1_3repE0EEENS1_30default_config_static_selectorELNS0_4arch9wavefront6targetE0EEEvT1_.num_vgpr, 0
	.set _ZN7rocprim17ROCPRIM_400000_NS6detail17trampoline_kernelINS0_14default_configENS1_25partition_config_selectorILNS1_17partition_subalgoE6EsNS0_10empty_typeEbEEZZNS1_14partition_implILS5_6ELb0ES3_mN6thrust23THRUST_200600_302600_NS6detail15normal_iteratorINSA_10device_ptrIsEEEEPS6_SG_NS0_5tupleIJNSA_16discard_iteratorINSA_11use_defaultEEES6_EEENSH_IJSG_SG_EEES6_PlJNSB_9not_fun_tI7is_trueIsEEEEEE10hipError_tPvRmT3_T4_T5_T6_T7_T9_mT8_P12ihipStream_tbDpT10_ENKUlT_T0_E_clISt17integral_constantIbLb1EES1A_IbLb0EEEEDaS16_S17_EUlS16_E_NS1_11comp_targetILNS1_3genE8ELNS1_11target_archE1030ELNS1_3gpuE2ELNS1_3repE0EEENS1_30default_config_static_selectorELNS0_4arch9wavefront6targetE0EEEvT1_.num_agpr, 0
	.set _ZN7rocprim17ROCPRIM_400000_NS6detail17trampoline_kernelINS0_14default_configENS1_25partition_config_selectorILNS1_17partition_subalgoE6EsNS0_10empty_typeEbEEZZNS1_14partition_implILS5_6ELb0ES3_mN6thrust23THRUST_200600_302600_NS6detail15normal_iteratorINSA_10device_ptrIsEEEEPS6_SG_NS0_5tupleIJNSA_16discard_iteratorINSA_11use_defaultEEES6_EEENSH_IJSG_SG_EEES6_PlJNSB_9not_fun_tI7is_trueIsEEEEEE10hipError_tPvRmT3_T4_T5_T6_T7_T9_mT8_P12ihipStream_tbDpT10_ENKUlT_T0_E_clISt17integral_constantIbLb1EES1A_IbLb0EEEEDaS16_S17_EUlS16_E_NS1_11comp_targetILNS1_3genE8ELNS1_11target_archE1030ELNS1_3gpuE2ELNS1_3repE0EEENS1_30default_config_static_selectorELNS0_4arch9wavefront6targetE0EEEvT1_.numbered_sgpr, 0
	.set _ZN7rocprim17ROCPRIM_400000_NS6detail17trampoline_kernelINS0_14default_configENS1_25partition_config_selectorILNS1_17partition_subalgoE6EsNS0_10empty_typeEbEEZZNS1_14partition_implILS5_6ELb0ES3_mN6thrust23THRUST_200600_302600_NS6detail15normal_iteratorINSA_10device_ptrIsEEEEPS6_SG_NS0_5tupleIJNSA_16discard_iteratorINSA_11use_defaultEEES6_EEENSH_IJSG_SG_EEES6_PlJNSB_9not_fun_tI7is_trueIsEEEEEE10hipError_tPvRmT3_T4_T5_T6_T7_T9_mT8_P12ihipStream_tbDpT10_ENKUlT_T0_E_clISt17integral_constantIbLb1EES1A_IbLb0EEEEDaS16_S17_EUlS16_E_NS1_11comp_targetILNS1_3genE8ELNS1_11target_archE1030ELNS1_3gpuE2ELNS1_3repE0EEENS1_30default_config_static_selectorELNS0_4arch9wavefront6targetE0EEEvT1_.num_named_barrier, 0
	.set _ZN7rocprim17ROCPRIM_400000_NS6detail17trampoline_kernelINS0_14default_configENS1_25partition_config_selectorILNS1_17partition_subalgoE6EsNS0_10empty_typeEbEEZZNS1_14partition_implILS5_6ELb0ES3_mN6thrust23THRUST_200600_302600_NS6detail15normal_iteratorINSA_10device_ptrIsEEEEPS6_SG_NS0_5tupleIJNSA_16discard_iteratorINSA_11use_defaultEEES6_EEENSH_IJSG_SG_EEES6_PlJNSB_9not_fun_tI7is_trueIsEEEEEE10hipError_tPvRmT3_T4_T5_T6_T7_T9_mT8_P12ihipStream_tbDpT10_ENKUlT_T0_E_clISt17integral_constantIbLb1EES1A_IbLb0EEEEDaS16_S17_EUlS16_E_NS1_11comp_targetILNS1_3genE8ELNS1_11target_archE1030ELNS1_3gpuE2ELNS1_3repE0EEENS1_30default_config_static_selectorELNS0_4arch9wavefront6targetE0EEEvT1_.private_seg_size, 0
	.set _ZN7rocprim17ROCPRIM_400000_NS6detail17trampoline_kernelINS0_14default_configENS1_25partition_config_selectorILNS1_17partition_subalgoE6EsNS0_10empty_typeEbEEZZNS1_14partition_implILS5_6ELb0ES3_mN6thrust23THRUST_200600_302600_NS6detail15normal_iteratorINSA_10device_ptrIsEEEEPS6_SG_NS0_5tupleIJNSA_16discard_iteratorINSA_11use_defaultEEES6_EEENSH_IJSG_SG_EEES6_PlJNSB_9not_fun_tI7is_trueIsEEEEEE10hipError_tPvRmT3_T4_T5_T6_T7_T9_mT8_P12ihipStream_tbDpT10_ENKUlT_T0_E_clISt17integral_constantIbLb1EES1A_IbLb0EEEEDaS16_S17_EUlS16_E_NS1_11comp_targetILNS1_3genE8ELNS1_11target_archE1030ELNS1_3gpuE2ELNS1_3repE0EEENS1_30default_config_static_selectorELNS0_4arch9wavefront6targetE0EEEvT1_.uses_vcc, 0
	.set _ZN7rocprim17ROCPRIM_400000_NS6detail17trampoline_kernelINS0_14default_configENS1_25partition_config_selectorILNS1_17partition_subalgoE6EsNS0_10empty_typeEbEEZZNS1_14partition_implILS5_6ELb0ES3_mN6thrust23THRUST_200600_302600_NS6detail15normal_iteratorINSA_10device_ptrIsEEEEPS6_SG_NS0_5tupleIJNSA_16discard_iteratorINSA_11use_defaultEEES6_EEENSH_IJSG_SG_EEES6_PlJNSB_9not_fun_tI7is_trueIsEEEEEE10hipError_tPvRmT3_T4_T5_T6_T7_T9_mT8_P12ihipStream_tbDpT10_ENKUlT_T0_E_clISt17integral_constantIbLb1EES1A_IbLb0EEEEDaS16_S17_EUlS16_E_NS1_11comp_targetILNS1_3genE8ELNS1_11target_archE1030ELNS1_3gpuE2ELNS1_3repE0EEENS1_30default_config_static_selectorELNS0_4arch9wavefront6targetE0EEEvT1_.uses_flat_scratch, 0
	.set _ZN7rocprim17ROCPRIM_400000_NS6detail17trampoline_kernelINS0_14default_configENS1_25partition_config_selectorILNS1_17partition_subalgoE6EsNS0_10empty_typeEbEEZZNS1_14partition_implILS5_6ELb0ES3_mN6thrust23THRUST_200600_302600_NS6detail15normal_iteratorINSA_10device_ptrIsEEEEPS6_SG_NS0_5tupleIJNSA_16discard_iteratorINSA_11use_defaultEEES6_EEENSH_IJSG_SG_EEES6_PlJNSB_9not_fun_tI7is_trueIsEEEEEE10hipError_tPvRmT3_T4_T5_T6_T7_T9_mT8_P12ihipStream_tbDpT10_ENKUlT_T0_E_clISt17integral_constantIbLb1EES1A_IbLb0EEEEDaS16_S17_EUlS16_E_NS1_11comp_targetILNS1_3genE8ELNS1_11target_archE1030ELNS1_3gpuE2ELNS1_3repE0EEENS1_30default_config_static_selectorELNS0_4arch9wavefront6targetE0EEEvT1_.has_dyn_sized_stack, 0
	.set _ZN7rocprim17ROCPRIM_400000_NS6detail17trampoline_kernelINS0_14default_configENS1_25partition_config_selectorILNS1_17partition_subalgoE6EsNS0_10empty_typeEbEEZZNS1_14partition_implILS5_6ELb0ES3_mN6thrust23THRUST_200600_302600_NS6detail15normal_iteratorINSA_10device_ptrIsEEEEPS6_SG_NS0_5tupleIJNSA_16discard_iteratorINSA_11use_defaultEEES6_EEENSH_IJSG_SG_EEES6_PlJNSB_9not_fun_tI7is_trueIsEEEEEE10hipError_tPvRmT3_T4_T5_T6_T7_T9_mT8_P12ihipStream_tbDpT10_ENKUlT_T0_E_clISt17integral_constantIbLb1EES1A_IbLb0EEEEDaS16_S17_EUlS16_E_NS1_11comp_targetILNS1_3genE8ELNS1_11target_archE1030ELNS1_3gpuE2ELNS1_3repE0EEENS1_30default_config_static_selectorELNS0_4arch9wavefront6targetE0EEEvT1_.has_recursion, 0
	.set _ZN7rocprim17ROCPRIM_400000_NS6detail17trampoline_kernelINS0_14default_configENS1_25partition_config_selectorILNS1_17partition_subalgoE6EsNS0_10empty_typeEbEEZZNS1_14partition_implILS5_6ELb0ES3_mN6thrust23THRUST_200600_302600_NS6detail15normal_iteratorINSA_10device_ptrIsEEEEPS6_SG_NS0_5tupleIJNSA_16discard_iteratorINSA_11use_defaultEEES6_EEENSH_IJSG_SG_EEES6_PlJNSB_9not_fun_tI7is_trueIsEEEEEE10hipError_tPvRmT3_T4_T5_T6_T7_T9_mT8_P12ihipStream_tbDpT10_ENKUlT_T0_E_clISt17integral_constantIbLb1EES1A_IbLb0EEEEDaS16_S17_EUlS16_E_NS1_11comp_targetILNS1_3genE8ELNS1_11target_archE1030ELNS1_3gpuE2ELNS1_3repE0EEENS1_30default_config_static_selectorELNS0_4arch9wavefront6targetE0EEEvT1_.has_indirect_call, 0
	.section	.AMDGPU.csdata,"",@progbits
; Kernel info:
; codeLenInByte = 0
; TotalNumSgprs: 0
; NumVgprs: 0
; ScratchSize: 0
; MemoryBound: 0
; FloatMode: 240
; IeeeMode: 1
; LDSByteSize: 0 bytes/workgroup (compile time only)
; SGPRBlocks: 0
; VGPRBlocks: 0
; NumSGPRsForWavesPerEU: 1
; NumVGPRsForWavesPerEU: 1
; Occupancy: 16
; WaveLimiterHint : 0
; COMPUTE_PGM_RSRC2:SCRATCH_EN: 0
; COMPUTE_PGM_RSRC2:USER_SGPR: 2
; COMPUTE_PGM_RSRC2:TRAP_HANDLER: 0
; COMPUTE_PGM_RSRC2:TGID_X_EN: 1
; COMPUTE_PGM_RSRC2:TGID_Y_EN: 0
; COMPUTE_PGM_RSRC2:TGID_Z_EN: 0
; COMPUTE_PGM_RSRC2:TIDIG_COMP_CNT: 0
	.section	.text._ZN7rocprim17ROCPRIM_400000_NS6detail17trampoline_kernelINS0_14default_configENS1_25partition_config_selectorILNS1_17partition_subalgoE6EsNS0_10empty_typeEbEEZZNS1_14partition_implILS5_6ELb0ES3_mN6thrust23THRUST_200600_302600_NS6detail15normal_iteratorINSA_10device_ptrIsEEEEPS6_SG_NS0_5tupleIJNSA_16discard_iteratorINSA_11use_defaultEEES6_EEENSH_IJSG_SG_EEES6_PlJNSB_9not_fun_tI7is_trueIsEEEEEE10hipError_tPvRmT3_T4_T5_T6_T7_T9_mT8_P12ihipStream_tbDpT10_ENKUlT_T0_E_clISt17integral_constantIbLb0EES1A_IbLb1EEEEDaS16_S17_EUlS16_E_NS1_11comp_targetILNS1_3genE0ELNS1_11target_archE4294967295ELNS1_3gpuE0ELNS1_3repE0EEENS1_30default_config_static_selectorELNS0_4arch9wavefront6targetE0EEEvT1_,"axG",@progbits,_ZN7rocprim17ROCPRIM_400000_NS6detail17trampoline_kernelINS0_14default_configENS1_25partition_config_selectorILNS1_17partition_subalgoE6EsNS0_10empty_typeEbEEZZNS1_14partition_implILS5_6ELb0ES3_mN6thrust23THRUST_200600_302600_NS6detail15normal_iteratorINSA_10device_ptrIsEEEEPS6_SG_NS0_5tupleIJNSA_16discard_iteratorINSA_11use_defaultEEES6_EEENSH_IJSG_SG_EEES6_PlJNSB_9not_fun_tI7is_trueIsEEEEEE10hipError_tPvRmT3_T4_T5_T6_T7_T9_mT8_P12ihipStream_tbDpT10_ENKUlT_T0_E_clISt17integral_constantIbLb0EES1A_IbLb1EEEEDaS16_S17_EUlS16_E_NS1_11comp_targetILNS1_3genE0ELNS1_11target_archE4294967295ELNS1_3gpuE0ELNS1_3repE0EEENS1_30default_config_static_selectorELNS0_4arch9wavefront6targetE0EEEvT1_,comdat
	.protected	_ZN7rocprim17ROCPRIM_400000_NS6detail17trampoline_kernelINS0_14default_configENS1_25partition_config_selectorILNS1_17partition_subalgoE6EsNS0_10empty_typeEbEEZZNS1_14partition_implILS5_6ELb0ES3_mN6thrust23THRUST_200600_302600_NS6detail15normal_iteratorINSA_10device_ptrIsEEEEPS6_SG_NS0_5tupleIJNSA_16discard_iteratorINSA_11use_defaultEEES6_EEENSH_IJSG_SG_EEES6_PlJNSB_9not_fun_tI7is_trueIsEEEEEE10hipError_tPvRmT3_T4_T5_T6_T7_T9_mT8_P12ihipStream_tbDpT10_ENKUlT_T0_E_clISt17integral_constantIbLb0EES1A_IbLb1EEEEDaS16_S17_EUlS16_E_NS1_11comp_targetILNS1_3genE0ELNS1_11target_archE4294967295ELNS1_3gpuE0ELNS1_3repE0EEENS1_30default_config_static_selectorELNS0_4arch9wavefront6targetE0EEEvT1_ ; -- Begin function _ZN7rocprim17ROCPRIM_400000_NS6detail17trampoline_kernelINS0_14default_configENS1_25partition_config_selectorILNS1_17partition_subalgoE6EsNS0_10empty_typeEbEEZZNS1_14partition_implILS5_6ELb0ES3_mN6thrust23THRUST_200600_302600_NS6detail15normal_iteratorINSA_10device_ptrIsEEEEPS6_SG_NS0_5tupleIJNSA_16discard_iteratorINSA_11use_defaultEEES6_EEENSH_IJSG_SG_EEES6_PlJNSB_9not_fun_tI7is_trueIsEEEEEE10hipError_tPvRmT3_T4_T5_T6_T7_T9_mT8_P12ihipStream_tbDpT10_ENKUlT_T0_E_clISt17integral_constantIbLb0EES1A_IbLb1EEEEDaS16_S17_EUlS16_E_NS1_11comp_targetILNS1_3genE0ELNS1_11target_archE4294967295ELNS1_3gpuE0ELNS1_3repE0EEENS1_30default_config_static_selectorELNS0_4arch9wavefront6targetE0EEEvT1_
	.globl	_ZN7rocprim17ROCPRIM_400000_NS6detail17trampoline_kernelINS0_14default_configENS1_25partition_config_selectorILNS1_17partition_subalgoE6EsNS0_10empty_typeEbEEZZNS1_14partition_implILS5_6ELb0ES3_mN6thrust23THRUST_200600_302600_NS6detail15normal_iteratorINSA_10device_ptrIsEEEEPS6_SG_NS0_5tupleIJNSA_16discard_iteratorINSA_11use_defaultEEES6_EEENSH_IJSG_SG_EEES6_PlJNSB_9not_fun_tI7is_trueIsEEEEEE10hipError_tPvRmT3_T4_T5_T6_T7_T9_mT8_P12ihipStream_tbDpT10_ENKUlT_T0_E_clISt17integral_constantIbLb0EES1A_IbLb1EEEEDaS16_S17_EUlS16_E_NS1_11comp_targetILNS1_3genE0ELNS1_11target_archE4294967295ELNS1_3gpuE0ELNS1_3repE0EEENS1_30default_config_static_selectorELNS0_4arch9wavefront6targetE0EEEvT1_
	.p2align	8
	.type	_ZN7rocprim17ROCPRIM_400000_NS6detail17trampoline_kernelINS0_14default_configENS1_25partition_config_selectorILNS1_17partition_subalgoE6EsNS0_10empty_typeEbEEZZNS1_14partition_implILS5_6ELb0ES3_mN6thrust23THRUST_200600_302600_NS6detail15normal_iteratorINSA_10device_ptrIsEEEEPS6_SG_NS0_5tupleIJNSA_16discard_iteratorINSA_11use_defaultEEES6_EEENSH_IJSG_SG_EEES6_PlJNSB_9not_fun_tI7is_trueIsEEEEEE10hipError_tPvRmT3_T4_T5_T6_T7_T9_mT8_P12ihipStream_tbDpT10_ENKUlT_T0_E_clISt17integral_constantIbLb0EES1A_IbLb1EEEEDaS16_S17_EUlS16_E_NS1_11comp_targetILNS1_3genE0ELNS1_11target_archE4294967295ELNS1_3gpuE0ELNS1_3repE0EEENS1_30default_config_static_selectorELNS0_4arch9wavefront6targetE0EEEvT1_,@function
_ZN7rocprim17ROCPRIM_400000_NS6detail17trampoline_kernelINS0_14default_configENS1_25partition_config_selectorILNS1_17partition_subalgoE6EsNS0_10empty_typeEbEEZZNS1_14partition_implILS5_6ELb0ES3_mN6thrust23THRUST_200600_302600_NS6detail15normal_iteratorINSA_10device_ptrIsEEEEPS6_SG_NS0_5tupleIJNSA_16discard_iteratorINSA_11use_defaultEEES6_EEENSH_IJSG_SG_EEES6_PlJNSB_9not_fun_tI7is_trueIsEEEEEE10hipError_tPvRmT3_T4_T5_T6_T7_T9_mT8_P12ihipStream_tbDpT10_ENKUlT_T0_E_clISt17integral_constantIbLb0EES1A_IbLb1EEEEDaS16_S17_EUlS16_E_NS1_11comp_targetILNS1_3genE0ELNS1_11target_archE4294967295ELNS1_3gpuE0ELNS1_3repE0EEENS1_30default_config_static_selectorELNS0_4arch9wavefront6targetE0EEEvT1_: ; @_ZN7rocprim17ROCPRIM_400000_NS6detail17trampoline_kernelINS0_14default_configENS1_25partition_config_selectorILNS1_17partition_subalgoE6EsNS0_10empty_typeEbEEZZNS1_14partition_implILS5_6ELb0ES3_mN6thrust23THRUST_200600_302600_NS6detail15normal_iteratorINSA_10device_ptrIsEEEEPS6_SG_NS0_5tupleIJNSA_16discard_iteratorINSA_11use_defaultEEES6_EEENSH_IJSG_SG_EEES6_PlJNSB_9not_fun_tI7is_trueIsEEEEEE10hipError_tPvRmT3_T4_T5_T6_T7_T9_mT8_P12ihipStream_tbDpT10_ENKUlT_T0_E_clISt17integral_constantIbLb0EES1A_IbLb1EEEEDaS16_S17_EUlS16_E_NS1_11comp_targetILNS1_3genE0ELNS1_11target_archE4294967295ELNS1_3gpuE0ELNS1_3repE0EEENS1_30default_config_static_selectorELNS0_4arch9wavefront6targetE0EEEvT1_
; %bb.0:
	.section	.rodata,"a",@progbits
	.p2align	6, 0x0
	.amdhsa_kernel _ZN7rocprim17ROCPRIM_400000_NS6detail17trampoline_kernelINS0_14default_configENS1_25partition_config_selectorILNS1_17partition_subalgoE6EsNS0_10empty_typeEbEEZZNS1_14partition_implILS5_6ELb0ES3_mN6thrust23THRUST_200600_302600_NS6detail15normal_iteratorINSA_10device_ptrIsEEEEPS6_SG_NS0_5tupleIJNSA_16discard_iteratorINSA_11use_defaultEEES6_EEENSH_IJSG_SG_EEES6_PlJNSB_9not_fun_tI7is_trueIsEEEEEE10hipError_tPvRmT3_T4_T5_T6_T7_T9_mT8_P12ihipStream_tbDpT10_ENKUlT_T0_E_clISt17integral_constantIbLb0EES1A_IbLb1EEEEDaS16_S17_EUlS16_E_NS1_11comp_targetILNS1_3genE0ELNS1_11target_archE4294967295ELNS1_3gpuE0ELNS1_3repE0EEENS1_30default_config_static_selectorELNS0_4arch9wavefront6targetE0EEEvT1_
		.amdhsa_group_segment_fixed_size 0
		.amdhsa_private_segment_fixed_size 0
		.amdhsa_kernarg_size 136
		.amdhsa_user_sgpr_count 2
		.amdhsa_user_sgpr_dispatch_ptr 0
		.amdhsa_user_sgpr_queue_ptr 0
		.amdhsa_user_sgpr_kernarg_segment_ptr 1
		.amdhsa_user_sgpr_dispatch_id 0
		.amdhsa_user_sgpr_private_segment_size 0
		.amdhsa_wavefront_size32 1
		.amdhsa_uses_dynamic_stack 0
		.amdhsa_enable_private_segment 0
		.amdhsa_system_sgpr_workgroup_id_x 1
		.amdhsa_system_sgpr_workgroup_id_y 0
		.amdhsa_system_sgpr_workgroup_id_z 0
		.amdhsa_system_sgpr_workgroup_info 0
		.amdhsa_system_vgpr_workitem_id 0
		.amdhsa_next_free_vgpr 1
		.amdhsa_next_free_sgpr 1
		.amdhsa_reserve_vcc 0
		.amdhsa_float_round_mode_32 0
		.amdhsa_float_round_mode_16_64 0
		.amdhsa_float_denorm_mode_32 3
		.amdhsa_float_denorm_mode_16_64 3
		.amdhsa_fp16_overflow 0
		.amdhsa_workgroup_processor_mode 1
		.amdhsa_memory_ordered 1
		.amdhsa_forward_progress 1
		.amdhsa_inst_pref_size 0
		.amdhsa_round_robin_scheduling 0
		.amdhsa_exception_fp_ieee_invalid_op 0
		.amdhsa_exception_fp_denorm_src 0
		.amdhsa_exception_fp_ieee_div_zero 0
		.amdhsa_exception_fp_ieee_overflow 0
		.amdhsa_exception_fp_ieee_underflow 0
		.amdhsa_exception_fp_ieee_inexact 0
		.amdhsa_exception_int_div_zero 0
	.end_amdhsa_kernel
	.section	.text._ZN7rocprim17ROCPRIM_400000_NS6detail17trampoline_kernelINS0_14default_configENS1_25partition_config_selectorILNS1_17partition_subalgoE6EsNS0_10empty_typeEbEEZZNS1_14partition_implILS5_6ELb0ES3_mN6thrust23THRUST_200600_302600_NS6detail15normal_iteratorINSA_10device_ptrIsEEEEPS6_SG_NS0_5tupleIJNSA_16discard_iteratorINSA_11use_defaultEEES6_EEENSH_IJSG_SG_EEES6_PlJNSB_9not_fun_tI7is_trueIsEEEEEE10hipError_tPvRmT3_T4_T5_T6_T7_T9_mT8_P12ihipStream_tbDpT10_ENKUlT_T0_E_clISt17integral_constantIbLb0EES1A_IbLb1EEEEDaS16_S17_EUlS16_E_NS1_11comp_targetILNS1_3genE0ELNS1_11target_archE4294967295ELNS1_3gpuE0ELNS1_3repE0EEENS1_30default_config_static_selectorELNS0_4arch9wavefront6targetE0EEEvT1_,"axG",@progbits,_ZN7rocprim17ROCPRIM_400000_NS6detail17trampoline_kernelINS0_14default_configENS1_25partition_config_selectorILNS1_17partition_subalgoE6EsNS0_10empty_typeEbEEZZNS1_14partition_implILS5_6ELb0ES3_mN6thrust23THRUST_200600_302600_NS6detail15normal_iteratorINSA_10device_ptrIsEEEEPS6_SG_NS0_5tupleIJNSA_16discard_iteratorINSA_11use_defaultEEES6_EEENSH_IJSG_SG_EEES6_PlJNSB_9not_fun_tI7is_trueIsEEEEEE10hipError_tPvRmT3_T4_T5_T6_T7_T9_mT8_P12ihipStream_tbDpT10_ENKUlT_T0_E_clISt17integral_constantIbLb0EES1A_IbLb1EEEEDaS16_S17_EUlS16_E_NS1_11comp_targetILNS1_3genE0ELNS1_11target_archE4294967295ELNS1_3gpuE0ELNS1_3repE0EEENS1_30default_config_static_selectorELNS0_4arch9wavefront6targetE0EEEvT1_,comdat
.Lfunc_end2325:
	.size	_ZN7rocprim17ROCPRIM_400000_NS6detail17trampoline_kernelINS0_14default_configENS1_25partition_config_selectorILNS1_17partition_subalgoE6EsNS0_10empty_typeEbEEZZNS1_14partition_implILS5_6ELb0ES3_mN6thrust23THRUST_200600_302600_NS6detail15normal_iteratorINSA_10device_ptrIsEEEEPS6_SG_NS0_5tupleIJNSA_16discard_iteratorINSA_11use_defaultEEES6_EEENSH_IJSG_SG_EEES6_PlJNSB_9not_fun_tI7is_trueIsEEEEEE10hipError_tPvRmT3_T4_T5_T6_T7_T9_mT8_P12ihipStream_tbDpT10_ENKUlT_T0_E_clISt17integral_constantIbLb0EES1A_IbLb1EEEEDaS16_S17_EUlS16_E_NS1_11comp_targetILNS1_3genE0ELNS1_11target_archE4294967295ELNS1_3gpuE0ELNS1_3repE0EEENS1_30default_config_static_selectorELNS0_4arch9wavefront6targetE0EEEvT1_, .Lfunc_end2325-_ZN7rocprim17ROCPRIM_400000_NS6detail17trampoline_kernelINS0_14default_configENS1_25partition_config_selectorILNS1_17partition_subalgoE6EsNS0_10empty_typeEbEEZZNS1_14partition_implILS5_6ELb0ES3_mN6thrust23THRUST_200600_302600_NS6detail15normal_iteratorINSA_10device_ptrIsEEEEPS6_SG_NS0_5tupleIJNSA_16discard_iteratorINSA_11use_defaultEEES6_EEENSH_IJSG_SG_EEES6_PlJNSB_9not_fun_tI7is_trueIsEEEEEE10hipError_tPvRmT3_T4_T5_T6_T7_T9_mT8_P12ihipStream_tbDpT10_ENKUlT_T0_E_clISt17integral_constantIbLb0EES1A_IbLb1EEEEDaS16_S17_EUlS16_E_NS1_11comp_targetILNS1_3genE0ELNS1_11target_archE4294967295ELNS1_3gpuE0ELNS1_3repE0EEENS1_30default_config_static_selectorELNS0_4arch9wavefront6targetE0EEEvT1_
                                        ; -- End function
	.set _ZN7rocprim17ROCPRIM_400000_NS6detail17trampoline_kernelINS0_14default_configENS1_25partition_config_selectorILNS1_17partition_subalgoE6EsNS0_10empty_typeEbEEZZNS1_14partition_implILS5_6ELb0ES3_mN6thrust23THRUST_200600_302600_NS6detail15normal_iteratorINSA_10device_ptrIsEEEEPS6_SG_NS0_5tupleIJNSA_16discard_iteratorINSA_11use_defaultEEES6_EEENSH_IJSG_SG_EEES6_PlJNSB_9not_fun_tI7is_trueIsEEEEEE10hipError_tPvRmT3_T4_T5_T6_T7_T9_mT8_P12ihipStream_tbDpT10_ENKUlT_T0_E_clISt17integral_constantIbLb0EES1A_IbLb1EEEEDaS16_S17_EUlS16_E_NS1_11comp_targetILNS1_3genE0ELNS1_11target_archE4294967295ELNS1_3gpuE0ELNS1_3repE0EEENS1_30default_config_static_selectorELNS0_4arch9wavefront6targetE0EEEvT1_.num_vgpr, 0
	.set _ZN7rocprim17ROCPRIM_400000_NS6detail17trampoline_kernelINS0_14default_configENS1_25partition_config_selectorILNS1_17partition_subalgoE6EsNS0_10empty_typeEbEEZZNS1_14partition_implILS5_6ELb0ES3_mN6thrust23THRUST_200600_302600_NS6detail15normal_iteratorINSA_10device_ptrIsEEEEPS6_SG_NS0_5tupleIJNSA_16discard_iteratorINSA_11use_defaultEEES6_EEENSH_IJSG_SG_EEES6_PlJNSB_9not_fun_tI7is_trueIsEEEEEE10hipError_tPvRmT3_T4_T5_T6_T7_T9_mT8_P12ihipStream_tbDpT10_ENKUlT_T0_E_clISt17integral_constantIbLb0EES1A_IbLb1EEEEDaS16_S17_EUlS16_E_NS1_11comp_targetILNS1_3genE0ELNS1_11target_archE4294967295ELNS1_3gpuE0ELNS1_3repE0EEENS1_30default_config_static_selectorELNS0_4arch9wavefront6targetE0EEEvT1_.num_agpr, 0
	.set _ZN7rocprim17ROCPRIM_400000_NS6detail17trampoline_kernelINS0_14default_configENS1_25partition_config_selectorILNS1_17partition_subalgoE6EsNS0_10empty_typeEbEEZZNS1_14partition_implILS5_6ELb0ES3_mN6thrust23THRUST_200600_302600_NS6detail15normal_iteratorINSA_10device_ptrIsEEEEPS6_SG_NS0_5tupleIJNSA_16discard_iteratorINSA_11use_defaultEEES6_EEENSH_IJSG_SG_EEES6_PlJNSB_9not_fun_tI7is_trueIsEEEEEE10hipError_tPvRmT3_T4_T5_T6_T7_T9_mT8_P12ihipStream_tbDpT10_ENKUlT_T0_E_clISt17integral_constantIbLb0EES1A_IbLb1EEEEDaS16_S17_EUlS16_E_NS1_11comp_targetILNS1_3genE0ELNS1_11target_archE4294967295ELNS1_3gpuE0ELNS1_3repE0EEENS1_30default_config_static_selectorELNS0_4arch9wavefront6targetE0EEEvT1_.numbered_sgpr, 0
	.set _ZN7rocprim17ROCPRIM_400000_NS6detail17trampoline_kernelINS0_14default_configENS1_25partition_config_selectorILNS1_17partition_subalgoE6EsNS0_10empty_typeEbEEZZNS1_14partition_implILS5_6ELb0ES3_mN6thrust23THRUST_200600_302600_NS6detail15normal_iteratorINSA_10device_ptrIsEEEEPS6_SG_NS0_5tupleIJNSA_16discard_iteratorINSA_11use_defaultEEES6_EEENSH_IJSG_SG_EEES6_PlJNSB_9not_fun_tI7is_trueIsEEEEEE10hipError_tPvRmT3_T4_T5_T6_T7_T9_mT8_P12ihipStream_tbDpT10_ENKUlT_T0_E_clISt17integral_constantIbLb0EES1A_IbLb1EEEEDaS16_S17_EUlS16_E_NS1_11comp_targetILNS1_3genE0ELNS1_11target_archE4294967295ELNS1_3gpuE0ELNS1_3repE0EEENS1_30default_config_static_selectorELNS0_4arch9wavefront6targetE0EEEvT1_.num_named_barrier, 0
	.set _ZN7rocprim17ROCPRIM_400000_NS6detail17trampoline_kernelINS0_14default_configENS1_25partition_config_selectorILNS1_17partition_subalgoE6EsNS0_10empty_typeEbEEZZNS1_14partition_implILS5_6ELb0ES3_mN6thrust23THRUST_200600_302600_NS6detail15normal_iteratorINSA_10device_ptrIsEEEEPS6_SG_NS0_5tupleIJNSA_16discard_iteratorINSA_11use_defaultEEES6_EEENSH_IJSG_SG_EEES6_PlJNSB_9not_fun_tI7is_trueIsEEEEEE10hipError_tPvRmT3_T4_T5_T6_T7_T9_mT8_P12ihipStream_tbDpT10_ENKUlT_T0_E_clISt17integral_constantIbLb0EES1A_IbLb1EEEEDaS16_S17_EUlS16_E_NS1_11comp_targetILNS1_3genE0ELNS1_11target_archE4294967295ELNS1_3gpuE0ELNS1_3repE0EEENS1_30default_config_static_selectorELNS0_4arch9wavefront6targetE0EEEvT1_.private_seg_size, 0
	.set _ZN7rocprim17ROCPRIM_400000_NS6detail17trampoline_kernelINS0_14default_configENS1_25partition_config_selectorILNS1_17partition_subalgoE6EsNS0_10empty_typeEbEEZZNS1_14partition_implILS5_6ELb0ES3_mN6thrust23THRUST_200600_302600_NS6detail15normal_iteratorINSA_10device_ptrIsEEEEPS6_SG_NS0_5tupleIJNSA_16discard_iteratorINSA_11use_defaultEEES6_EEENSH_IJSG_SG_EEES6_PlJNSB_9not_fun_tI7is_trueIsEEEEEE10hipError_tPvRmT3_T4_T5_T6_T7_T9_mT8_P12ihipStream_tbDpT10_ENKUlT_T0_E_clISt17integral_constantIbLb0EES1A_IbLb1EEEEDaS16_S17_EUlS16_E_NS1_11comp_targetILNS1_3genE0ELNS1_11target_archE4294967295ELNS1_3gpuE0ELNS1_3repE0EEENS1_30default_config_static_selectorELNS0_4arch9wavefront6targetE0EEEvT1_.uses_vcc, 0
	.set _ZN7rocprim17ROCPRIM_400000_NS6detail17trampoline_kernelINS0_14default_configENS1_25partition_config_selectorILNS1_17partition_subalgoE6EsNS0_10empty_typeEbEEZZNS1_14partition_implILS5_6ELb0ES3_mN6thrust23THRUST_200600_302600_NS6detail15normal_iteratorINSA_10device_ptrIsEEEEPS6_SG_NS0_5tupleIJNSA_16discard_iteratorINSA_11use_defaultEEES6_EEENSH_IJSG_SG_EEES6_PlJNSB_9not_fun_tI7is_trueIsEEEEEE10hipError_tPvRmT3_T4_T5_T6_T7_T9_mT8_P12ihipStream_tbDpT10_ENKUlT_T0_E_clISt17integral_constantIbLb0EES1A_IbLb1EEEEDaS16_S17_EUlS16_E_NS1_11comp_targetILNS1_3genE0ELNS1_11target_archE4294967295ELNS1_3gpuE0ELNS1_3repE0EEENS1_30default_config_static_selectorELNS0_4arch9wavefront6targetE0EEEvT1_.uses_flat_scratch, 0
	.set _ZN7rocprim17ROCPRIM_400000_NS6detail17trampoline_kernelINS0_14default_configENS1_25partition_config_selectorILNS1_17partition_subalgoE6EsNS0_10empty_typeEbEEZZNS1_14partition_implILS5_6ELb0ES3_mN6thrust23THRUST_200600_302600_NS6detail15normal_iteratorINSA_10device_ptrIsEEEEPS6_SG_NS0_5tupleIJNSA_16discard_iteratorINSA_11use_defaultEEES6_EEENSH_IJSG_SG_EEES6_PlJNSB_9not_fun_tI7is_trueIsEEEEEE10hipError_tPvRmT3_T4_T5_T6_T7_T9_mT8_P12ihipStream_tbDpT10_ENKUlT_T0_E_clISt17integral_constantIbLb0EES1A_IbLb1EEEEDaS16_S17_EUlS16_E_NS1_11comp_targetILNS1_3genE0ELNS1_11target_archE4294967295ELNS1_3gpuE0ELNS1_3repE0EEENS1_30default_config_static_selectorELNS0_4arch9wavefront6targetE0EEEvT1_.has_dyn_sized_stack, 0
	.set _ZN7rocprim17ROCPRIM_400000_NS6detail17trampoline_kernelINS0_14default_configENS1_25partition_config_selectorILNS1_17partition_subalgoE6EsNS0_10empty_typeEbEEZZNS1_14partition_implILS5_6ELb0ES3_mN6thrust23THRUST_200600_302600_NS6detail15normal_iteratorINSA_10device_ptrIsEEEEPS6_SG_NS0_5tupleIJNSA_16discard_iteratorINSA_11use_defaultEEES6_EEENSH_IJSG_SG_EEES6_PlJNSB_9not_fun_tI7is_trueIsEEEEEE10hipError_tPvRmT3_T4_T5_T6_T7_T9_mT8_P12ihipStream_tbDpT10_ENKUlT_T0_E_clISt17integral_constantIbLb0EES1A_IbLb1EEEEDaS16_S17_EUlS16_E_NS1_11comp_targetILNS1_3genE0ELNS1_11target_archE4294967295ELNS1_3gpuE0ELNS1_3repE0EEENS1_30default_config_static_selectorELNS0_4arch9wavefront6targetE0EEEvT1_.has_recursion, 0
	.set _ZN7rocprim17ROCPRIM_400000_NS6detail17trampoline_kernelINS0_14default_configENS1_25partition_config_selectorILNS1_17partition_subalgoE6EsNS0_10empty_typeEbEEZZNS1_14partition_implILS5_6ELb0ES3_mN6thrust23THRUST_200600_302600_NS6detail15normal_iteratorINSA_10device_ptrIsEEEEPS6_SG_NS0_5tupleIJNSA_16discard_iteratorINSA_11use_defaultEEES6_EEENSH_IJSG_SG_EEES6_PlJNSB_9not_fun_tI7is_trueIsEEEEEE10hipError_tPvRmT3_T4_T5_T6_T7_T9_mT8_P12ihipStream_tbDpT10_ENKUlT_T0_E_clISt17integral_constantIbLb0EES1A_IbLb1EEEEDaS16_S17_EUlS16_E_NS1_11comp_targetILNS1_3genE0ELNS1_11target_archE4294967295ELNS1_3gpuE0ELNS1_3repE0EEENS1_30default_config_static_selectorELNS0_4arch9wavefront6targetE0EEEvT1_.has_indirect_call, 0
	.section	.AMDGPU.csdata,"",@progbits
; Kernel info:
; codeLenInByte = 0
; TotalNumSgprs: 0
; NumVgprs: 0
; ScratchSize: 0
; MemoryBound: 0
; FloatMode: 240
; IeeeMode: 1
; LDSByteSize: 0 bytes/workgroup (compile time only)
; SGPRBlocks: 0
; VGPRBlocks: 0
; NumSGPRsForWavesPerEU: 1
; NumVGPRsForWavesPerEU: 1
; Occupancy: 16
; WaveLimiterHint : 0
; COMPUTE_PGM_RSRC2:SCRATCH_EN: 0
; COMPUTE_PGM_RSRC2:USER_SGPR: 2
; COMPUTE_PGM_RSRC2:TRAP_HANDLER: 0
; COMPUTE_PGM_RSRC2:TGID_X_EN: 1
; COMPUTE_PGM_RSRC2:TGID_Y_EN: 0
; COMPUTE_PGM_RSRC2:TGID_Z_EN: 0
; COMPUTE_PGM_RSRC2:TIDIG_COMP_CNT: 0
	.section	.text._ZN7rocprim17ROCPRIM_400000_NS6detail17trampoline_kernelINS0_14default_configENS1_25partition_config_selectorILNS1_17partition_subalgoE6EsNS0_10empty_typeEbEEZZNS1_14partition_implILS5_6ELb0ES3_mN6thrust23THRUST_200600_302600_NS6detail15normal_iteratorINSA_10device_ptrIsEEEEPS6_SG_NS0_5tupleIJNSA_16discard_iteratorINSA_11use_defaultEEES6_EEENSH_IJSG_SG_EEES6_PlJNSB_9not_fun_tI7is_trueIsEEEEEE10hipError_tPvRmT3_T4_T5_T6_T7_T9_mT8_P12ihipStream_tbDpT10_ENKUlT_T0_E_clISt17integral_constantIbLb0EES1A_IbLb1EEEEDaS16_S17_EUlS16_E_NS1_11comp_targetILNS1_3genE5ELNS1_11target_archE942ELNS1_3gpuE9ELNS1_3repE0EEENS1_30default_config_static_selectorELNS0_4arch9wavefront6targetE0EEEvT1_,"axG",@progbits,_ZN7rocprim17ROCPRIM_400000_NS6detail17trampoline_kernelINS0_14default_configENS1_25partition_config_selectorILNS1_17partition_subalgoE6EsNS0_10empty_typeEbEEZZNS1_14partition_implILS5_6ELb0ES3_mN6thrust23THRUST_200600_302600_NS6detail15normal_iteratorINSA_10device_ptrIsEEEEPS6_SG_NS0_5tupleIJNSA_16discard_iteratorINSA_11use_defaultEEES6_EEENSH_IJSG_SG_EEES6_PlJNSB_9not_fun_tI7is_trueIsEEEEEE10hipError_tPvRmT3_T4_T5_T6_T7_T9_mT8_P12ihipStream_tbDpT10_ENKUlT_T0_E_clISt17integral_constantIbLb0EES1A_IbLb1EEEEDaS16_S17_EUlS16_E_NS1_11comp_targetILNS1_3genE5ELNS1_11target_archE942ELNS1_3gpuE9ELNS1_3repE0EEENS1_30default_config_static_selectorELNS0_4arch9wavefront6targetE0EEEvT1_,comdat
	.protected	_ZN7rocprim17ROCPRIM_400000_NS6detail17trampoline_kernelINS0_14default_configENS1_25partition_config_selectorILNS1_17partition_subalgoE6EsNS0_10empty_typeEbEEZZNS1_14partition_implILS5_6ELb0ES3_mN6thrust23THRUST_200600_302600_NS6detail15normal_iteratorINSA_10device_ptrIsEEEEPS6_SG_NS0_5tupleIJNSA_16discard_iteratorINSA_11use_defaultEEES6_EEENSH_IJSG_SG_EEES6_PlJNSB_9not_fun_tI7is_trueIsEEEEEE10hipError_tPvRmT3_T4_T5_T6_T7_T9_mT8_P12ihipStream_tbDpT10_ENKUlT_T0_E_clISt17integral_constantIbLb0EES1A_IbLb1EEEEDaS16_S17_EUlS16_E_NS1_11comp_targetILNS1_3genE5ELNS1_11target_archE942ELNS1_3gpuE9ELNS1_3repE0EEENS1_30default_config_static_selectorELNS0_4arch9wavefront6targetE0EEEvT1_ ; -- Begin function _ZN7rocprim17ROCPRIM_400000_NS6detail17trampoline_kernelINS0_14default_configENS1_25partition_config_selectorILNS1_17partition_subalgoE6EsNS0_10empty_typeEbEEZZNS1_14partition_implILS5_6ELb0ES3_mN6thrust23THRUST_200600_302600_NS6detail15normal_iteratorINSA_10device_ptrIsEEEEPS6_SG_NS0_5tupleIJNSA_16discard_iteratorINSA_11use_defaultEEES6_EEENSH_IJSG_SG_EEES6_PlJNSB_9not_fun_tI7is_trueIsEEEEEE10hipError_tPvRmT3_T4_T5_T6_T7_T9_mT8_P12ihipStream_tbDpT10_ENKUlT_T0_E_clISt17integral_constantIbLb0EES1A_IbLb1EEEEDaS16_S17_EUlS16_E_NS1_11comp_targetILNS1_3genE5ELNS1_11target_archE942ELNS1_3gpuE9ELNS1_3repE0EEENS1_30default_config_static_selectorELNS0_4arch9wavefront6targetE0EEEvT1_
	.globl	_ZN7rocprim17ROCPRIM_400000_NS6detail17trampoline_kernelINS0_14default_configENS1_25partition_config_selectorILNS1_17partition_subalgoE6EsNS0_10empty_typeEbEEZZNS1_14partition_implILS5_6ELb0ES3_mN6thrust23THRUST_200600_302600_NS6detail15normal_iteratorINSA_10device_ptrIsEEEEPS6_SG_NS0_5tupleIJNSA_16discard_iteratorINSA_11use_defaultEEES6_EEENSH_IJSG_SG_EEES6_PlJNSB_9not_fun_tI7is_trueIsEEEEEE10hipError_tPvRmT3_T4_T5_T6_T7_T9_mT8_P12ihipStream_tbDpT10_ENKUlT_T0_E_clISt17integral_constantIbLb0EES1A_IbLb1EEEEDaS16_S17_EUlS16_E_NS1_11comp_targetILNS1_3genE5ELNS1_11target_archE942ELNS1_3gpuE9ELNS1_3repE0EEENS1_30default_config_static_selectorELNS0_4arch9wavefront6targetE0EEEvT1_
	.p2align	8
	.type	_ZN7rocprim17ROCPRIM_400000_NS6detail17trampoline_kernelINS0_14default_configENS1_25partition_config_selectorILNS1_17partition_subalgoE6EsNS0_10empty_typeEbEEZZNS1_14partition_implILS5_6ELb0ES3_mN6thrust23THRUST_200600_302600_NS6detail15normal_iteratorINSA_10device_ptrIsEEEEPS6_SG_NS0_5tupleIJNSA_16discard_iteratorINSA_11use_defaultEEES6_EEENSH_IJSG_SG_EEES6_PlJNSB_9not_fun_tI7is_trueIsEEEEEE10hipError_tPvRmT3_T4_T5_T6_T7_T9_mT8_P12ihipStream_tbDpT10_ENKUlT_T0_E_clISt17integral_constantIbLb0EES1A_IbLb1EEEEDaS16_S17_EUlS16_E_NS1_11comp_targetILNS1_3genE5ELNS1_11target_archE942ELNS1_3gpuE9ELNS1_3repE0EEENS1_30default_config_static_selectorELNS0_4arch9wavefront6targetE0EEEvT1_,@function
_ZN7rocprim17ROCPRIM_400000_NS6detail17trampoline_kernelINS0_14default_configENS1_25partition_config_selectorILNS1_17partition_subalgoE6EsNS0_10empty_typeEbEEZZNS1_14partition_implILS5_6ELb0ES3_mN6thrust23THRUST_200600_302600_NS6detail15normal_iteratorINSA_10device_ptrIsEEEEPS6_SG_NS0_5tupleIJNSA_16discard_iteratorINSA_11use_defaultEEES6_EEENSH_IJSG_SG_EEES6_PlJNSB_9not_fun_tI7is_trueIsEEEEEE10hipError_tPvRmT3_T4_T5_T6_T7_T9_mT8_P12ihipStream_tbDpT10_ENKUlT_T0_E_clISt17integral_constantIbLb0EES1A_IbLb1EEEEDaS16_S17_EUlS16_E_NS1_11comp_targetILNS1_3genE5ELNS1_11target_archE942ELNS1_3gpuE9ELNS1_3repE0EEENS1_30default_config_static_selectorELNS0_4arch9wavefront6targetE0EEEvT1_: ; @_ZN7rocprim17ROCPRIM_400000_NS6detail17trampoline_kernelINS0_14default_configENS1_25partition_config_selectorILNS1_17partition_subalgoE6EsNS0_10empty_typeEbEEZZNS1_14partition_implILS5_6ELb0ES3_mN6thrust23THRUST_200600_302600_NS6detail15normal_iteratorINSA_10device_ptrIsEEEEPS6_SG_NS0_5tupleIJNSA_16discard_iteratorINSA_11use_defaultEEES6_EEENSH_IJSG_SG_EEES6_PlJNSB_9not_fun_tI7is_trueIsEEEEEE10hipError_tPvRmT3_T4_T5_T6_T7_T9_mT8_P12ihipStream_tbDpT10_ENKUlT_T0_E_clISt17integral_constantIbLb0EES1A_IbLb1EEEEDaS16_S17_EUlS16_E_NS1_11comp_targetILNS1_3genE5ELNS1_11target_archE942ELNS1_3gpuE9ELNS1_3repE0EEENS1_30default_config_static_selectorELNS0_4arch9wavefront6targetE0EEEvT1_
; %bb.0:
	.section	.rodata,"a",@progbits
	.p2align	6, 0x0
	.amdhsa_kernel _ZN7rocprim17ROCPRIM_400000_NS6detail17trampoline_kernelINS0_14default_configENS1_25partition_config_selectorILNS1_17partition_subalgoE6EsNS0_10empty_typeEbEEZZNS1_14partition_implILS5_6ELb0ES3_mN6thrust23THRUST_200600_302600_NS6detail15normal_iteratorINSA_10device_ptrIsEEEEPS6_SG_NS0_5tupleIJNSA_16discard_iteratorINSA_11use_defaultEEES6_EEENSH_IJSG_SG_EEES6_PlJNSB_9not_fun_tI7is_trueIsEEEEEE10hipError_tPvRmT3_T4_T5_T6_T7_T9_mT8_P12ihipStream_tbDpT10_ENKUlT_T0_E_clISt17integral_constantIbLb0EES1A_IbLb1EEEEDaS16_S17_EUlS16_E_NS1_11comp_targetILNS1_3genE5ELNS1_11target_archE942ELNS1_3gpuE9ELNS1_3repE0EEENS1_30default_config_static_selectorELNS0_4arch9wavefront6targetE0EEEvT1_
		.amdhsa_group_segment_fixed_size 0
		.amdhsa_private_segment_fixed_size 0
		.amdhsa_kernarg_size 136
		.amdhsa_user_sgpr_count 2
		.amdhsa_user_sgpr_dispatch_ptr 0
		.amdhsa_user_sgpr_queue_ptr 0
		.amdhsa_user_sgpr_kernarg_segment_ptr 1
		.amdhsa_user_sgpr_dispatch_id 0
		.amdhsa_user_sgpr_private_segment_size 0
		.amdhsa_wavefront_size32 1
		.amdhsa_uses_dynamic_stack 0
		.amdhsa_enable_private_segment 0
		.amdhsa_system_sgpr_workgroup_id_x 1
		.amdhsa_system_sgpr_workgroup_id_y 0
		.amdhsa_system_sgpr_workgroup_id_z 0
		.amdhsa_system_sgpr_workgroup_info 0
		.amdhsa_system_vgpr_workitem_id 0
		.amdhsa_next_free_vgpr 1
		.amdhsa_next_free_sgpr 1
		.amdhsa_reserve_vcc 0
		.amdhsa_float_round_mode_32 0
		.amdhsa_float_round_mode_16_64 0
		.amdhsa_float_denorm_mode_32 3
		.amdhsa_float_denorm_mode_16_64 3
		.amdhsa_fp16_overflow 0
		.amdhsa_workgroup_processor_mode 1
		.amdhsa_memory_ordered 1
		.amdhsa_forward_progress 1
		.amdhsa_inst_pref_size 0
		.amdhsa_round_robin_scheduling 0
		.amdhsa_exception_fp_ieee_invalid_op 0
		.amdhsa_exception_fp_denorm_src 0
		.amdhsa_exception_fp_ieee_div_zero 0
		.amdhsa_exception_fp_ieee_overflow 0
		.amdhsa_exception_fp_ieee_underflow 0
		.amdhsa_exception_fp_ieee_inexact 0
		.amdhsa_exception_int_div_zero 0
	.end_amdhsa_kernel
	.section	.text._ZN7rocprim17ROCPRIM_400000_NS6detail17trampoline_kernelINS0_14default_configENS1_25partition_config_selectorILNS1_17partition_subalgoE6EsNS0_10empty_typeEbEEZZNS1_14partition_implILS5_6ELb0ES3_mN6thrust23THRUST_200600_302600_NS6detail15normal_iteratorINSA_10device_ptrIsEEEEPS6_SG_NS0_5tupleIJNSA_16discard_iteratorINSA_11use_defaultEEES6_EEENSH_IJSG_SG_EEES6_PlJNSB_9not_fun_tI7is_trueIsEEEEEE10hipError_tPvRmT3_T4_T5_T6_T7_T9_mT8_P12ihipStream_tbDpT10_ENKUlT_T0_E_clISt17integral_constantIbLb0EES1A_IbLb1EEEEDaS16_S17_EUlS16_E_NS1_11comp_targetILNS1_3genE5ELNS1_11target_archE942ELNS1_3gpuE9ELNS1_3repE0EEENS1_30default_config_static_selectorELNS0_4arch9wavefront6targetE0EEEvT1_,"axG",@progbits,_ZN7rocprim17ROCPRIM_400000_NS6detail17trampoline_kernelINS0_14default_configENS1_25partition_config_selectorILNS1_17partition_subalgoE6EsNS0_10empty_typeEbEEZZNS1_14partition_implILS5_6ELb0ES3_mN6thrust23THRUST_200600_302600_NS6detail15normal_iteratorINSA_10device_ptrIsEEEEPS6_SG_NS0_5tupleIJNSA_16discard_iteratorINSA_11use_defaultEEES6_EEENSH_IJSG_SG_EEES6_PlJNSB_9not_fun_tI7is_trueIsEEEEEE10hipError_tPvRmT3_T4_T5_T6_T7_T9_mT8_P12ihipStream_tbDpT10_ENKUlT_T0_E_clISt17integral_constantIbLb0EES1A_IbLb1EEEEDaS16_S17_EUlS16_E_NS1_11comp_targetILNS1_3genE5ELNS1_11target_archE942ELNS1_3gpuE9ELNS1_3repE0EEENS1_30default_config_static_selectorELNS0_4arch9wavefront6targetE0EEEvT1_,comdat
.Lfunc_end2326:
	.size	_ZN7rocprim17ROCPRIM_400000_NS6detail17trampoline_kernelINS0_14default_configENS1_25partition_config_selectorILNS1_17partition_subalgoE6EsNS0_10empty_typeEbEEZZNS1_14partition_implILS5_6ELb0ES3_mN6thrust23THRUST_200600_302600_NS6detail15normal_iteratorINSA_10device_ptrIsEEEEPS6_SG_NS0_5tupleIJNSA_16discard_iteratorINSA_11use_defaultEEES6_EEENSH_IJSG_SG_EEES6_PlJNSB_9not_fun_tI7is_trueIsEEEEEE10hipError_tPvRmT3_T4_T5_T6_T7_T9_mT8_P12ihipStream_tbDpT10_ENKUlT_T0_E_clISt17integral_constantIbLb0EES1A_IbLb1EEEEDaS16_S17_EUlS16_E_NS1_11comp_targetILNS1_3genE5ELNS1_11target_archE942ELNS1_3gpuE9ELNS1_3repE0EEENS1_30default_config_static_selectorELNS0_4arch9wavefront6targetE0EEEvT1_, .Lfunc_end2326-_ZN7rocprim17ROCPRIM_400000_NS6detail17trampoline_kernelINS0_14default_configENS1_25partition_config_selectorILNS1_17partition_subalgoE6EsNS0_10empty_typeEbEEZZNS1_14partition_implILS5_6ELb0ES3_mN6thrust23THRUST_200600_302600_NS6detail15normal_iteratorINSA_10device_ptrIsEEEEPS6_SG_NS0_5tupleIJNSA_16discard_iteratorINSA_11use_defaultEEES6_EEENSH_IJSG_SG_EEES6_PlJNSB_9not_fun_tI7is_trueIsEEEEEE10hipError_tPvRmT3_T4_T5_T6_T7_T9_mT8_P12ihipStream_tbDpT10_ENKUlT_T0_E_clISt17integral_constantIbLb0EES1A_IbLb1EEEEDaS16_S17_EUlS16_E_NS1_11comp_targetILNS1_3genE5ELNS1_11target_archE942ELNS1_3gpuE9ELNS1_3repE0EEENS1_30default_config_static_selectorELNS0_4arch9wavefront6targetE0EEEvT1_
                                        ; -- End function
	.set _ZN7rocprim17ROCPRIM_400000_NS6detail17trampoline_kernelINS0_14default_configENS1_25partition_config_selectorILNS1_17partition_subalgoE6EsNS0_10empty_typeEbEEZZNS1_14partition_implILS5_6ELb0ES3_mN6thrust23THRUST_200600_302600_NS6detail15normal_iteratorINSA_10device_ptrIsEEEEPS6_SG_NS0_5tupleIJNSA_16discard_iteratorINSA_11use_defaultEEES6_EEENSH_IJSG_SG_EEES6_PlJNSB_9not_fun_tI7is_trueIsEEEEEE10hipError_tPvRmT3_T4_T5_T6_T7_T9_mT8_P12ihipStream_tbDpT10_ENKUlT_T0_E_clISt17integral_constantIbLb0EES1A_IbLb1EEEEDaS16_S17_EUlS16_E_NS1_11comp_targetILNS1_3genE5ELNS1_11target_archE942ELNS1_3gpuE9ELNS1_3repE0EEENS1_30default_config_static_selectorELNS0_4arch9wavefront6targetE0EEEvT1_.num_vgpr, 0
	.set _ZN7rocprim17ROCPRIM_400000_NS6detail17trampoline_kernelINS0_14default_configENS1_25partition_config_selectorILNS1_17partition_subalgoE6EsNS0_10empty_typeEbEEZZNS1_14partition_implILS5_6ELb0ES3_mN6thrust23THRUST_200600_302600_NS6detail15normal_iteratorINSA_10device_ptrIsEEEEPS6_SG_NS0_5tupleIJNSA_16discard_iteratorINSA_11use_defaultEEES6_EEENSH_IJSG_SG_EEES6_PlJNSB_9not_fun_tI7is_trueIsEEEEEE10hipError_tPvRmT3_T4_T5_T6_T7_T9_mT8_P12ihipStream_tbDpT10_ENKUlT_T0_E_clISt17integral_constantIbLb0EES1A_IbLb1EEEEDaS16_S17_EUlS16_E_NS1_11comp_targetILNS1_3genE5ELNS1_11target_archE942ELNS1_3gpuE9ELNS1_3repE0EEENS1_30default_config_static_selectorELNS0_4arch9wavefront6targetE0EEEvT1_.num_agpr, 0
	.set _ZN7rocprim17ROCPRIM_400000_NS6detail17trampoline_kernelINS0_14default_configENS1_25partition_config_selectorILNS1_17partition_subalgoE6EsNS0_10empty_typeEbEEZZNS1_14partition_implILS5_6ELb0ES3_mN6thrust23THRUST_200600_302600_NS6detail15normal_iteratorINSA_10device_ptrIsEEEEPS6_SG_NS0_5tupleIJNSA_16discard_iteratorINSA_11use_defaultEEES6_EEENSH_IJSG_SG_EEES6_PlJNSB_9not_fun_tI7is_trueIsEEEEEE10hipError_tPvRmT3_T4_T5_T6_T7_T9_mT8_P12ihipStream_tbDpT10_ENKUlT_T0_E_clISt17integral_constantIbLb0EES1A_IbLb1EEEEDaS16_S17_EUlS16_E_NS1_11comp_targetILNS1_3genE5ELNS1_11target_archE942ELNS1_3gpuE9ELNS1_3repE0EEENS1_30default_config_static_selectorELNS0_4arch9wavefront6targetE0EEEvT1_.numbered_sgpr, 0
	.set _ZN7rocprim17ROCPRIM_400000_NS6detail17trampoline_kernelINS0_14default_configENS1_25partition_config_selectorILNS1_17partition_subalgoE6EsNS0_10empty_typeEbEEZZNS1_14partition_implILS5_6ELb0ES3_mN6thrust23THRUST_200600_302600_NS6detail15normal_iteratorINSA_10device_ptrIsEEEEPS6_SG_NS0_5tupleIJNSA_16discard_iteratorINSA_11use_defaultEEES6_EEENSH_IJSG_SG_EEES6_PlJNSB_9not_fun_tI7is_trueIsEEEEEE10hipError_tPvRmT3_T4_T5_T6_T7_T9_mT8_P12ihipStream_tbDpT10_ENKUlT_T0_E_clISt17integral_constantIbLb0EES1A_IbLb1EEEEDaS16_S17_EUlS16_E_NS1_11comp_targetILNS1_3genE5ELNS1_11target_archE942ELNS1_3gpuE9ELNS1_3repE0EEENS1_30default_config_static_selectorELNS0_4arch9wavefront6targetE0EEEvT1_.num_named_barrier, 0
	.set _ZN7rocprim17ROCPRIM_400000_NS6detail17trampoline_kernelINS0_14default_configENS1_25partition_config_selectorILNS1_17partition_subalgoE6EsNS0_10empty_typeEbEEZZNS1_14partition_implILS5_6ELb0ES3_mN6thrust23THRUST_200600_302600_NS6detail15normal_iteratorINSA_10device_ptrIsEEEEPS6_SG_NS0_5tupleIJNSA_16discard_iteratorINSA_11use_defaultEEES6_EEENSH_IJSG_SG_EEES6_PlJNSB_9not_fun_tI7is_trueIsEEEEEE10hipError_tPvRmT3_T4_T5_T6_T7_T9_mT8_P12ihipStream_tbDpT10_ENKUlT_T0_E_clISt17integral_constantIbLb0EES1A_IbLb1EEEEDaS16_S17_EUlS16_E_NS1_11comp_targetILNS1_3genE5ELNS1_11target_archE942ELNS1_3gpuE9ELNS1_3repE0EEENS1_30default_config_static_selectorELNS0_4arch9wavefront6targetE0EEEvT1_.private_seg_size, 0
	.set _ZN7rocprim17ROCPRIM_400000_NS6detail17trampoline_kernelINS0_14default_configENS1_25partition_config_selectorILNS1_17partition_subalgoE6EsNS0_10empty_typeEbEEZZNS1_14partition_implILS5_6ELb0ES3_mN6thrust23THRUST_200600_302600_NS6detail15normal_iteratorINSA_10device_ptrIsEEEEPS6_SG_NS0_5tupleIJNSA_16discard_iteratorINSA_11use_defaultEEES6_EEENSH_IJSG_SG_EEES6_PlJNSB_9not_fun_tI7is_trueIsEEEEEE10hipError_tPvRmT3_T4_T5_T6_T7_T9_mT8_P12ihipStream_tbDpT10_ENKUlT_T0_E_clISt17integral_constantIbLb0EES1A_IbLb1EEEEDaS16_S17_EUlS16_E_NS1_11comp_targetILNS1_3genE5ELNS1_11target_archE942ELNS1_3gpuE9ELNS1_3repE0EEENS1_30default_config_static_selectorELNS0_4arch9wavefront6targetE0EEEvT1_.uses_vcc, 0
	.set _ZN7rocprim17ROCPRIM_400000_NS6detail17trampoline_kernelINS0_14default_configENS1_25partition_config_selectorILNS1_17partition_subalgoE6EsNS0_10empty_typeEbEEZZNS1_14partition_implILS5_6ELb0ES3_mN6thrust23THRUST_200600_302600_NS6detail15normal_iteratorINSA_10device_ptrIsEEEEPS6_SG_NS0_5tupleIJNSA_16discard_iteratorINSA_11use_defaultEEES6_EEENSH_IJSG_SG_EEES6_PlJNSB_9not_fun_tI7is_trueIsEEEEEE10hipError_tPvRmT3_T4_T5_T6_T7_T9_mT8_P12ihipStream_tbDpT10_ENKUlT_T0_E_clISt17integral_constantIbLb0EES1A_IbLb1EEEEDaS16_S17_EUlS16_E_NS1_11comp_targetILNS1_3genE5ELNS1_11target_archE942ELNS1_3gpuE9ELNS1_3repE0EEENS1_30default_config_static_selectorELNS0_4arch9wavefront6targetE0EEEvT1_.uses_flat_scratch, 0
	.set _ZN7rocprim17ROCPRIM_400000_NS6detail17trampoline_kernelINS0_14default_configENS1_25partition_config_selectorILNS1_17partition_subalgoE6EsNS0_10empty_typeEbEEZZNS1_14partition_implILS5_6ELb0ES3_mN6thrust23THRUST_200600_302600_NS6detail15normal_iteratorINSA_10device_ptrIsEEEEPS6_SG_NS0_5tupleIJNSA_16discard_iteratorINSA_11use_defaultEEES6_EEENSH_IJSG_SG_EEES6_PlJNSB_9not_fun_tI7is_trueIsEEEEEE10hipError_tPvRmT3_T4_T5_T6_T7_T9_mT8_P12ihipStream_tbDpT10_ENKUlT_T0_E_clISt17integral_constantIbLb0EES1A_IbLb1EEEEDaS16_S17_EUlS16_E_NS1_11comp_targetILNS1_3genE5ELNS1_11target_archE942ELNS1_3gpuE9ELNS1_3repE0EEENS1_30default_config_static_selectorELNS0_4arch9wavefront6targetE0EEEvT1_.has_dyn_sized_stack, 0
	.set _ZN7rocprim17ROCPRIM_400000_NS6detail17trampoline_kernelINS0_14default_configENS1_25partition_config_selectorILNS1_17partition_subalgoE6EsNS0_10empty_typeEbEEZZNS1_14partition_implILS5_6ELb0ES3_mN6thrust23THRUST_200600_302600_NS6detail15normal_iteratorINSA_10device_ptrIsEEEEPS6_SG_NS0_5tupleIJNSA_16discard_iteratorINSA_11use_defaultEEES6_EEENSH_IJSG_SG_EEES6_PlJNSB_9not_fun_tI7is_trueIsEEEEEE10hipError_tPvRmT3_T4_T5_T6_T7_T9_mT8_P12ihipStream_tbDpT10_ENKUlT_T0_E_clISt17integral_constantIbLb0EES1A_IbLb1EEEEDaS16_S17_EUlS16_E_NS1_11comp_targetILNS1_3genE5ELNS1_11target_archE942ELNS1_3gpuE9ELNS1_3repE0EEENS1_30default_config_static_selectorELNS0_4arch9wavefront6targetE0EEEvT1_.has_recursion, 0
	.set _ZN7rocprim17ROCPRIM_400000_NS6detail17trampoline_kernelINS0_14default_configENS1_25partition_config_selectorILNS1_17partition_subalgoE6EsNS0_10empty_typeEbEEZZNS1_14partition_implILS5_6ELb0ES3_mN6thrust23THRUST_200600_302600_NS6detail15normal_iteratorINSA_10device_ptrIsEEEEPS6_SG_NS0_5tupleIJNSA_16discard_iteratorINSA_11use_defaultEEES6_EEENSH_IJSG_SG_EEES6_PlJNSB_9not_fun_tI7is_trueIsEEEEEE10hipError_tPvRmT3_T4_T5_T6_T7_T9_mT8_P12ihipStream_tbDpT10_ENKUlT_T0_E_clISt17integral_constantIbLb0EES1A_IbLb1EEEEDaS16_S17_EUlS16_E_NS1_11comp_targetILNS1_3genE5ELNS1_11target_archE942ELNS1_3gpuE9ELNS1_3repE0EEENS1_30default_config_static_selectorELNS0_4arch9wavefront6targetE0EEEvT1_.has_indirect_call, 0
	.section	.AMDGPU.csdata,"",@progbits
; Kernel info:
; codeLenInByte = 0
; TotalNumSgprs: 0
; NumVgprs: 0
; ScratchSize: 0
; MemoryBound: 0
; FloatMode: 240
; IeeeMode: 1
; LDSByteSize: 0 bytes/workgroup (compile time only)
; SGPRBlocks: 0
; VGPRBlocks: 0
; NumSGPRsForWavesPerEU: 1
; NumVGPRsForWavesPerEU: 1
; Occupancy: 16
; WaveLimiterHint : 0
; COMPUTE_PGM_RSRC2:SCRATCH_EN: 0
; COMPUTE_PGM_RSRC2:USER_SGPR: 2
; COMPUTE_PGM_RSRC2:TRAP_HANDLER: 0
; COMPUTE_PGM_RSRC2:TGID_X_EN: 1
; COMPUTE_PGM_RSRC2:TGID_Y_EN: 0
; COMPUTE_PGM_RSRC2:TGID_Z_EN: 0
; COMPUTE_PGM_RSRC2:TIDIG_COMP_CNT: 0
	.section	.text._ZN7rocprim17ROCPRIM_400000_NS6detail17trampoline_kernelINS0_14default_configENS1_25partition_config_selectorILNS1_17partition_subalgoE6EsNS0_10empty_typeEbEEZZNS1_14partition_implILS5_6ELb0ES3_mN6thrust23THRUST_200600_302600_NS6detail15normal_iteratorINSA_10device_ptrIsEEEEPS6_SG_NS0_5tupleIJNSA_16discard_iteratorINSA_11use_defaultEEES6_EEENSH_IJSG_SG_EEES6_PlJNSB_9not_fun_tI7is_trueIsEEEEEE10hipError_tPvRmT3_T4_T5_T6_T7_T9_mT8_P12ihipStream_tbDpT10_ENKUlT_T0_E_clISt17integral_constantIbLb0EES1A_IbLb1EEEEDaS16_S17_EUlS16_E_NS1_11comp_targetILNS1_3genE4ELNS1_11target_archE910ELNS1_3gpuE8ELNS1_3repE0EEENS1_30default_config_static_selectorELNS0_4arch9wavefront6targetE0EEEvT1_,"axG",@progbits,_ZN7rocprim17ROCPRIM_400000_NS6detail17trampoline_kernelINS0_14default_configENS1_25partition_config_selectorILNS1_17partition_subalgoE6EsNS0_10empty_typeEbEEZZNS1_14partition_implILS5_6ELb0ES3_mN6thrust23THRUST_200600_302600_NS6detail15normal_iteratorINSA_10device_ptrIsEEEEPS6_SG_NS0_5tupleIJNSA_16discard_iteratorINSA_11use_defaultEEES6_EEENSH_IJSG_SG_EEES6_PlJNSB_9not_fun_tI7is_trueIsEEEEEE10hipError_tPvRmT3_T4_T5_T6_T7_T9_mT8_P12ihipStream_tbDpT10_ENKUlT_T0_E_clISt17integral_constantIbLb0EES1A_IbLb1EEEEDaS16_S17_EUlS16_E_NS1_11comp_targetILNS1_3genE4ELNS1_11target_archE910ELNS1_3gpuE8ELNS1_3repE0EEENS1_30default_config_static_selectorELNS0_4arch9wavefront6targetE0EEEvT1_,comdat
	.protected	_ZN7rocprim17ROCPRIM_400000_NS6detail17trampoline_kernelINS0_14default_configENS1_25partition_config_selectorILNS1_17partition_subalgoE6EsNS0_10empty_typeEbEEZZNS1_14partition_implILS5_6ELb0ES3_mN6thrust23THRUST_200600_302600_NS6detail15normal_iteratorINSA_10device_ptrIsEEEEPS6_SG_NS0_5tupleIJNSA_16discard_iteratorINSA_11use_defaultEEES6_EEENSH_IJSG_SG_EEES6_PlJNSB_9not_fun_tI7is_trueIsEEEEEE10hipError_tPvRmT3_T4_T5_T6_T7_T9_mT8_P12ihipStream_tbDpT10_ENKUlT_T0_E_clISt17integral_constantIbLb0EES1A_IbLb1EEEEDaS16_S17_EUlS16_E_NS1_11comp_targetILNS1_3genE4ELNS1_11target_archE910ELNS1_3gpuE8ELNS1_3repE0EEENS1_30default_config_static_selectorELNS0_4arch9wavefront6targetE0EEEvT1_ ; -- Begin function _ZN7rocprim17ROCPRIM_400000_NS6detail17trampoline_kernelINS0_14default_configENS1_25partition_config_selectorILNS1_17partition_subalgoE6EsNS0_10empty_typeEbEEZZNS1_14partition_implILS5_6ELb0ES3_mN6thrust23THRUST_200600_302600_NS6detail15normal_iteratorINSA_10device_ptrIsEEEEPS6_SG_NS0_5tupleIJNSA_16discard_iteratorINSA_11use_defaultEEES6_EEENSH_IJSG_SG_EEES6_PlJNSB_9not_fun_tI7is_trueIsEEEEEE10hipError_tPvRmT3_T4_T5_T6_T7_T9_mT8_P12ihipStream_tbDpT10_ENKUlT_T0_E_clISt17integral_constantIbLb0EES1A_IbLb1EEEEDaS16_S17_EUlS16_E_NS1_11comp_targetILNS1_3genE4ELNS1_11target_archE910ELNS1_3gpuE8ELNS1_3repE0EEENS1_30default_config_static_selectorELNS0_4arch9wavefront6targetE0EEEvT1_
	.globl	_ZN7rocprim17ROCPRIM_400000_NS6detail17trampoline_kernelINS0_14default_configENS1_25partition_config_selectorILNS1_17partition_subalgoE6EsNS0_10empty_typeEbEEZZNS1_14partition_implILS5_6ELb0ES3_mN6thrust23THRUST_200600_302600_NS6detail15normal_iteratorINSA_10device_ptrIsEEEEPS6_SG_NS0_5tupleIJNSA_16discard_iteratorINSA_11use_defaultEEES6_EEENSH_IJSG_SG_EEES6_PlJNSB_9not_fun_tI7is_trueIsEEEEEE10hipError_tPvRmT3_T4_T5_T6_T7_T9_mT8_P12ihipStream_tbDpT10_ENKUlT_T0_E_clISt17integral_constantIbLb0EES1A_IbLb1EEEEDaS16_S17_EUlS16_E_NS1_11comp_targetILNS1_3genE4ELNS1_11target_archE910ELNS1_3gpuE8ELNS1_3repE0EEENS1_30default_config_static_selectorELNS0_4arch9wavefront6targetE0EEEvT1_
	.p2align	8
	.type	_ZN7rocprim17ROCPRIM_400000_NS6detail17trampoline_kernelINS0_14default_configENS1_25partition_config_selectorILNS1_17partition_subalgoE6EsNS0_10empty_typeEbEEZZNS1_14partition_implILS5_6ELb0ES3_mN6thrust23THRUST_200600_302600_NS6detail15normal_iteratorINSA_10device_ptrIsEEEEPS6_SG_NS0_5tupleIJNSA_16discard_iteratorINSA_11use_defaultEEES6_EEENSH_IJSG_SG_EEES6_PlJNSB_9not_fun_tI7is_trueIsEEEEEE10hipError_tPvRmT3_T4_T5_T6_T7_T9_mT8_P12ihipStream_tbDpT10_ENKUlT_T0_E_clISt17integral_constantIbLb0EES1A_IbLb1EEEEDaS16_S17_EUlS16_E_NS1_11comp_targetILNS1_3genE4ELNS1_11target_archE910ELNS1_3gpuE8ELNS1_3repE0EEENS1_30default_config_static_selectorELNS0_4arch9wavefront6targetE0EEEvT1_,@function
_ZN7rocprim17ROCPRIM_400000_NS6detail17trampoline_kernelINS0_14default_configENS1_25partition_config_selectorILNS1_17partition_subalgoE6EsNS0_10empty_typeEbEEZZNS1_14partition_implILS5_6ELb0ES3_mN6thrust23THRUST_200600_302600_NS6detail15normal_iteratorINSA_10device_ptrIsEEEEPS6_SG_NS0_5tupleIJNSA_16discard_iteratorINSA_11use_defaultEEES6_EEENSH_IJSG_SG_EEES6_PlJNSB_9not_fun_tI7is_trueIsEEEEEE10hipError_tPvRmT3_T4_T5_T6_T7_T9_mT8_P12ihipStream_tbDpT10_ENKUlT_T0_E_clISt17integral_constantIbLb0EES1A_IbLb1EEEEDaS16_S17_EUlS16_E_NS1_11comp_targetILNS1_3genE4ELNS1_11target_archE910ELNS1_3gpuE8ELNS1_3repE0EEENS1_30default_config_static_selectorELNS0_4arch9wavefront6targetE0EEEvT1_: ; @_ZN7rocprim17ROCPRIM_400000_NS6detail17trampoline_kernelINS0_14default_configENS1_25partition_config_selectorILNS1_17partition_subalgoE6EsNS0_10empty_typeEbEEZZNS1_14partition_implILS5_6ELb0ES3_mN6thrust23THRUST_200600_302600_NS6detail15normal_iteratorINSA_10device_ptrIsEEEEPS6_SG_NS0_5tupleIJNSA_16discard_iteratorINSA_11use_defaultEEES6_EEENSH_IJSG_SG_EEES6_PlJNSB_9not_fun_tI7is_trueIsEEEEEE10hipError_tPvRmT3_T4_T5_T6_T7_T9_mT8_P12ihipStream_tbDpT10_ENKUlT_T0_E_clISt17integral_constantIbLb0EES1A_IbLb1EEEEDaS16_S17_EUlS16_E_NS1_11comp_targetILNS1_3genE4ELNS1_11target_archE910ELNS1_3gpuE8ELNS1_3repE0EEENS1_30default_config_static_selectorELNS0_4arch9wavefront6targetE0EEEvT1_
; %bb.0:
	.section	.rodata,"a",@progbits
	.p2align	6, 0x0
	.amdhsa_kernel _ZN7rocprim17ROCPRIM_400000_NS6detail17trampoline_kernelINS0_14default_configENS1_25partition_config_selectorILNS1_17partition_subalgoE6EsNS0_10empty_typeEbEEZZNS1_14partition_implILS5_6ELb0ES3_mN6thrust23THRUST_200600_302600_NS6detail15normal_iteratorINSA_10device_ptrIsEEEEPS6_SG_NS0_5tupleIJNSA_16discard_iteratorINSA_11use_defaultEEES6_EEENSH_IJSG_SG_EEES6_PlJNSB_9not_fun_tI7is_trueIsEEEEEE10hipError_tPvRmT3_T4_T5_T6_T7_T9_mT8_P12ihipStream_tbDpT10_ENKUlT_T0_E_clISt17integral_constantIbLb0EES1A_IbLb1EEEEDaS16_S17_EUlS16_E_NS1_11comp_targetILNS1_3genE4ELNS1_11target_archE910ELNS1_3gpuE8ELNS1_3repE0EEENS1_30default_config_static_selectorELNS0_4arch9wavefront6targetE0EEEvT1_
		.amdhsa_group_segment_fixed_size 0
		.amdhsa_private_segment_fixed_size 0
		.amdhsa_kernarg_size 136
		.amdhsa_user_sgpr_count 2
		.amdhsa_user_sgpr_dispatch_ptr 0
		.amdhsa_user_sgpr_queue_ptr 0
		.amdhsa_user_sgpr_kernarg_segment_ptr 1
		.amdhsa_user_sgpr_dispatch_id 0
		.amdhsa_user_sgpr_private_segment_size 0
		.amdhsa_wavefront_size32 1
		.amdhsa_uses_dynamic_stack 0
		.amdhsa_enable_private_segment 0
		.amdhsa_system_sgpr_workgroup_id_x 1
		.amdhsa_system_sgpr_workgroup_id_y 0
		.amdhsa_system_sgpr_workgroup_id_z 0
		.amdhsa_system_sgpr_workgroup_info 0
		.amdhsa_system_vgpr_workitem_id 0
		.amdhsa_next_free_vgpr 1
		.amdhsa_next_free_sgpr 1
		.amdhsa_reserve_vcc 0
		.amdhsa_float_round_mode_32 0
		.amdhsa_float_round_mode_16_64 0
		.amdhsa_float_denorm_mode_32 3
		.amdhsa_float_denorm_mode_16_64 3
		.amdhsa_fp16_overflow 0
		.amdhsa_workgroup_processor_mode 1
		.amdhsa_memory_ordered 1
		.amdhsa_forward_progress 1
		.amdhsa_inst_pref_size 0
		.amdhsa_round_robin_scheduling 0
		.amdhsa_exception_fp_ieee_invalid_op 0
		.amdhsa_exception_fp_denorm_src 0
		.amdhsa_exception_fp_ieee_div_zero 0
		.amdhsa_exception_fp_ieee_overflow 0
		.amdhsa_exception_fp_ieee_underflow 0
		.amdhsa_exception_fp_ieee_inexact 0
		.amdhsa_exception_int_div_zero 0
	.end_amdhsa_kernel
	.section	.text._ZN7rocprim17ROCPRIM_400000_NS6detail17trampoline_kernelINS0_14default_configENS1_25partition_config_selectorILNS1_17partition_subalgoE6EsNS0_10empty_typeEbEEZZNS1_14partition_implILS5_6ELb0ES3_mN6thrust23THRUST_200600_302600_NS6detail15normal_iteratorINSA_10device_ptrIsEEEEPS6_SG_NS0_5tupleIJNSA_16discard_iteratorINSA_11use_defaultEEES6_EEENSH_IJSG_SG_EEES6_PlJNSB_9not_fun_tI7is_trueIsEEEEEE10hipError_tPvRmT3_T4_T5_T6_T7_T9_mT8_P12ihipStream_tbDpT10_ENKUlT_T0_E_clISt17integral_constantIbLb0EES1A_IbLb1EEEEDaS16_S17_EUlS16_E_NS1_11comp_targetILNS1_3genE4ELNS1_11target_archE910ELNS1_3gpuE8ELNS1_3repE0EEENS1_30default_config_static_selectorELNS0_4arch9wavefront6targetE0EEEvT1_,"axG",@progbits,_ZN7rocprim17ROCPRIM_400000_NS6detail17trampoline_kernelINS0_14default_configENS1_25partition_config_selectorILNS1_17partition_subalgoE6EsNS0_10empty_typeEbEEZZNS1_14partition_implILS5_6ELb0ES3_mN6thrust23THRUST_200600_302600_NS6detail15normal_iteratorINSA_10device_ptrIsEEEEPS6_SG_NS0_5tupleIJNSA_16discard_iteratorINSA_11use_defaultEEES6_EEENSH_IJSG_SG_EEES6_PlJNSB_9not_fun_tI7is_trueIsEEEEEE10hipError_tPvRmT3_T4_T5_T6_T7_T9_mT8_P12ihipStream_tbDpT10_ENKUlT_T0_E_clISt17integral_constantIbLb0EES1A_IbLb1EEEEDaS16_S17_EUlS16_E_NS1_11comp_targetILNS1_3genE4ELNS1_11target_archE910ELNS1_3gpuE8ELNS1_3repE0EEENS1_30default_config_static_selectorELNS0_4arch9wavefront6targetE0EEEvT1_,comdat
.Lfunc_end2327:
	.size	_ZN7rocprim17ROCPRIM_400000_NS6detail17trampoline_kernelINS0_14default_configENS1_25partition_config_selectorILNS1_17partition_subalgoE6EsNS0_10empty_typeEbEEZZNS1_14partition_implILS5_6ELb0ES3_mN6thrust23THRUST_200600_302600_NS6detail15normal_iteratorINSA_10device_ptrIsEEEEPS6_SG_NS0_5tupleIJNSA_16discard_iteratorINSA_11use_defaultEEES6_EEENSH_IJSG_SG_EEES6_PlJNSB_9not_fun_tI7is_trueIsEEEEEE10hipError_tPvRmT3_T4_T5_T6_T7_T9_mT8_P12ihipStream_tbDpT10_ENKUlT_T0_E_clISt17integral_constantIbLb0EES1A_IbLb1EEEEDaS16_S17_EUlS16_E_NS1_11comp_targetILNS1_3genE4ELNS1_11target_archE910ELNS1_3gpuE8ELNS1_3repE0EEENS1_30default_config_static_selectorELNS0_4arch9wavefront6targetE0EEEvT1_, .Lfunc_end2327-_ZN7rocprim17ROCPRIM_400000_NS6detail17trampoline_kernelINS0_14default_configENS1_25partition_config_selectorILNS1_17partition_subalgoE6EsNS0_10empty_typeEbEEZZNS1_14partition_implILS5_6ELb0ES3_mN6thrust23THRUST_200600_302600_NS6detail15normal_iteratorINSA_10device_ptrIsEEEEPS6_SG_NS0_5tupleIJNSA_16discard_iteratorINSA_11use_defaultEEES6_EEENSH_IJSG_SG_EEES6_PlJNSB_9not_fun_tI7is_trueIsEEEEEE10hipError_tPvRmT3_T4_T5_T6_T7_T9_mT8_P12ihipStream_tbDpT10_ENKUlT_T0_E_clISt17integral_constantIbLb0EES1A_IbLb1EEEEDaS16_S17_EUlS16_E_NS1_11comp_targetILNS1_3genE4ELNS1_11target_archE910ELNS1_3gpuE8ELNS1_3repE0EEENS1_30default_config_static_selectorELNS0_4arch9wavefront6targetE0EEEvT1_
                                        ; -- End function
	.set _ZN7rocprim17ROCPRIM_400000_NS6detail17trampoline_kernelINS0_14default_configENS1_25partition_config_selectorILNS1_17partition_subalgoE6EsNS0_10empty_typeEbEEZZNS1_14partition_implILS5_6ELb0ES3_mN6thrust23THRUST_200600_302600_NS6detail15normal_iteratorINSA_10device_ptrIsEEEEPS6_SG_NS0_5tupleIJNSA_16discard_iteratorINSA_11use_defaultEEES6_EEENSH_IJSG_SG_EEES6_PlJNSB_9not_fun_tI7is_trueIsEEEEEE10hipError_tPvRmT3_T4_T5_T6_T7_T9_mT8_P12ihipStream_tbDpT10_ENKUlT_T0_E_clISt17integral_constantIbLb0EES1A_IbLb1EEEEDaS16_S17_EUlS16_E_NS1_11comp_targetILNS1_3genE4ELNS1_11target_archE910ELNS1_3gpuE8ELNS1_3repE0EEENS1_30default_config_static_selectorELNS0_4arch9wavefront6targetE0EEEvT1_.num_vgpr, 0
	.set _ZN7rocprim17ROCPRIM_400000_NS6detail17trampoline_kernelINS0_14default_configENS1_25partition_config_selectorILNS1_17partition_subalgoE6EsNS0_10empty_typeEbEEZZNS1_14partition_implILS5_6ELb0ES3_mN6thrust23THRUST_200600_302600_NS6detail15normal_iteratorINSA_10device_ptrIsEEEEPS6_SG_NS0_5tupleIJNSA_16discard_iteratorINSA_11use_defaultEEES6_EEENSH_IJSG_SG_EEES6_PlJNSB_9not_fun_tI7is_trueIsEEEEEE10hipError_tPvRmT3_T4_T5_T6_T7_T9_mT8_P12ihipStream_tbDpT10_ENKUlT_T0_E_clISt17integral_constantIbLb0EES1A_IbLb1EEEEDaS16_S17_EUlS16_E_NS1_11comp_targetILNS1_3genE4ELNS1_11target_archE910ELNS1_3gpuE8ELNS1_3repE0EEENS1_30default_config_static_selectorELNS0_4arch9wavefront6targetE0EEEvT1_.num_agpr, 0
	.set _ZN7rocprim17ROCPRIM_400000_NS6detail17trampoline_kernelINS0_14default_configENS1_25partition_config_selectorILNS1_17partition_subalgoE6EsNS0_10empty_typeEbEEZZNS1_14partition_implILS5_6ELb0ES3_mN6thrust23THRUST_200600_302600_NS6detail15normal_iteratorINSA_10device_ptrIsEEEEPS6_SG_NS0_5tupleIJNSA_16discard_iteratorINSA_11use_defaultEEES6_EEENSH_IJSG_SG_EEES6_PlJNSB_9not_fun_tI7is_trueIsEEEEEE10hipError_tPvRmT3_T4_T5_T6_T7_T9_mT8_P12ihipStream_tbDpT10_ENKUlT_T0_E_clISt17integral_constantIbLb0EES1A_IbLb1EEEEDaS16_S17_EUlS16_E_NS1_11comp_targetILNS1_3genE4ELNS1_11target_archE910ELNS1_3gpuE8ELNS1_3repE0EEENS1_30default_config_static_selectorELNS0_4arch9wavefront6targetE0EEEvT1_.numbered_sgpr, 0
	.set _ZN7rocprim17ROCPRIM_400000_NS6detail17trampoline_kernelINS0_14default_configENS1_25partition_config_selectorILNS1_17partition_subalgoE6EsNS0_10empty_typeEbEEZZNS1_14partition_implILS5_6ELb0ES3_mN6thrust23THRUST_200600_302600_NS6detail15normal_iteratorINSA_10device_ptrIsEEEEPS6_SG_NS0_5tupleIJNSA_16discard_iteratorINSA_11use_defaultEEES6_EEENSH_IJSG_SG_EEES6_PlJNSB_9not_fun_tI7is_trueIsEEEEEE10hipError_tPvRmT3_T4_T5_T6_T7_T9_mT8_P12ihipStream_tbDpT10_ENKUlT_T0_E_clISt17integral_constantIbLb0EES1A_IbLb1EEEEDaS16_S17_EUlS16_E_NS1_11comp_targetILNS1_3genE4ELNS1_11target_archE910ELNS1_3gpuE8ELNS1_3repE0EEENS1_30default_config_static_selectorELNS0_4arch9wavefront6targetE0EEEvT1_.num_named_barrier, 0
	.set _ZN7rocprim17ROCPRIM_400000_NS6detail17trampoline_kernelINS0_14default_configENS1_25partition_config_selectorILNS1_17partition_subalgoE6EsNS0_10empty_typeEbEEZZNS1_14partition_implILS5_6ELb0ES3_mN6thrust23THRUST_200600_302600_NS6detail15normal_iteratorINSA_10device_ptrIsEEEEPS6_SG_NS0_5tupleIJNSA_16discard_iteratorINSA_11use_defaultEEES6_EEENSH_IJSG_SG_EEES6_PlJNSB_9not_fun_tI7is_trueIsEEEEEE10hipError_tPvRmT3_T4_T5_T6_T7_T9_mT8_P12ihipStream_tbDpT10_ENKUlT_T0_E_clISt17integral_constantIbLb0EES1A_IbLb1EEEEDaS16_S17_EUlS16_E_NS1_11comp_targetILNS1_3genE4ELNS1_11target_archE910ELNS1_3gpuE8ELNS1_3repE0EEENS1_30default_config_static_selectorELNS0_4arch9wavefront6targetE0EEEvT1_.private_seg_size, 0
	.set _ZN7rocprim17ROCPRIM_400000_NS6detail17trampoline_kernelINS0_14default_configENS1_25partition_config_selectorILNS1_17partition_subalgoE6EsNS0_10empty_typeEbEEZZNS1_14partition_implILS5_6ELb0ES3_mN6thrust23THRUST_200600_302600_NS6detail15normal_iteratorINSA_10device_ptrIsEEEEPS6_SG_NS0_5tupleIJNSA_16discard_iteratorINSA_11use_defaultEEES6_EEENSH_IJSG_SG_EEES6_PlJNSB_9not_fun_tI7is_trueIsEEEEEE10hipError_tPvRmT3_T4_T5_T6_T7_T9_mT8_P12ihipStream_tbDpT10_ENKUlT_T0_E_clISt17integral_constantIbLb0EES1A_IbLb1EEEEDaS16_S17_EUlS16_E_NS1_11comp_targetILNS1_3genE4ELNS1_11target_archE910ELNS1_3gpuE8ELNS1_3repE0EEENS1_30default_config_static_selectorELNS0_4arch9wavefront6targetE0EEEvT1_.uses_vcc, 0
	.set _ZN7rocprim17ROCPRIM_400000_NS6detail17trampoline_kernelINS0_14default_configENS1_25partition_config_selectorILNS1_17partition_subalgoE6EsNS0_10empty_typeEbEEZZNS1_14partition_implILS5_6ELb0ES3_mN6thrust23THRUST_200600_302600_NS6detail15normal_iteratorINSA_10device_ptrIsEEEEPS6_SG_NS0_5tupleIJNSA_16discard_iteratorINSA_11use_defaultEEES6_EEENSH_IJSG_SG_EEES6_PlJNSB_9not_fun_tI7is_trueIsEEEEEE10hipError_tPvRmT3_T4_T5_T6_T7_T9_mT8_P12ihipStream_tbDpT10_ENKUlT_T0_E_clISt17integral_constantIbLb0EES1A_IbLb1EEEEDaS16_S17_EUlS16_E_NS1_11comp_targetILNS1_3genE4ELNS1_11target_archE910ELNS1_3gpuE8ELNS1_3repE0EEENS1_30default_config_static_selectorELNS0_4arch9wavefront6targetE0EEEvT1_.uses_flat_scratch, 0
	.set _ZN7rocprim17ROCPRIM_400000_NS6detail17trampoline_kernelINS0_14default_configENS1_25partition_config_selectorILNS1_17partition_subalgoE6EsNS0_10empty_typeEbEEZZNS1_14partition_implILS5_6ELb0ES3_mN6thrust23THRUST_200600_302600_NS6detail15normal_iteratorINSA_10device_ptrIsEEEEPS6_SG_NS0_5tupleIJNSA_16discard_iteratorINSA_11use_defaultEEES6_EEENSH_IJSG_SG_EEES6_PlJNSB_9not_fun_tI7is_trueIsEEEEEE10hipError_tPvRmT3_T4_T5_T6_T7_T9_mT8_P12ihipStream_tbDpT10_ENKUlT_T0_E_clISt17integral_constantIbLb0EES1A_IbLb1EEEEDaS16_S17_EUlS16_E_NS1_11comp_targetILNS1_3genE4ELNS1_11target_archE910ELNS1_3gpuE8ELNS1_3repE0EEENS1_30default_config_static_selectorELNS0_4arch9wavefront6targetE0EEEvT1_.has_dyn_sized_stack, 0
	.set _ZN7rocprim17ROCPRIM_400000_NS6detail17trampoline_kernelINS0_14default_configENS1_25partition_config_selectorILNS1_17partition_subalgoE6EsNS0_10empty_typeEbEEZZNS1_14partition_implILS5_6ELb0ES3_mN6thrust23THRUST_200600_302600_NS6detail15normal_iteratorINSA_10device_ptrIsEEEEPS6_SG_NS0_5tupleIJNSA_16discard_iteratorINSA_11use_defaultEEES6_EEENSH_IJSG_SG_EEES6_PlJNSB_9not_fun_tI7is_trueIsEEEEEE10hipError_tPvRmT3_T4_T5_T6_T7_T9_mT8_P12ihipStream_tbDpT10_ENKUlT_T0_E_clISt17integral_constantIbLb0EES1A_IbLb1EEEEDaS16_S17_EUlS16_E_NS1_11comp_targetILNS1_3genE4ELNS1_11target_archE910ELNS1_3gpuE8ELNS1_3repE0EEENS1_30default_config_static_selectorELNS0_4arch9wavefront6targetE0EEEvT1_.has_recursion, 0
	.set _ZN7rocprim17ROCPRIM_400000_NS6detail17trampoline_kernelINS0_14default_configENS1_25partition_config_selectorILNS1_17partition_subalgoE6EsNS0_10empty_typeEbEEZZNS1_14partition_implILS5_6ELb0ES3_mN6thrust23THRUST_200600_302600_NS6detail15normal_iteratorINSA_10device_ptrIsEEEEPS6_SG_NS0_5tupleIJNSA_16discard_iteratorINSA_11use_defaultEEES6_EEENSH_IJSG_SG_EEES6_PlJNSB_9not_fun_tI7is_trueIsEEEEEE10hipError_tPvRmT3_T4_T5_T6_T7_T9_mT8_P12ihipStream_tbDpT10_ENKUlT_T0_E_clISt17integral_constantIbLb0EES1A_IbLb1EEEEDaS16_S17_EUlS16_E_NS1_11comp_targetILNS1_3genE4ELNS1_11target_archE910ELNS1_3gpuE8ELNS1_3repE0EEENS1_30default_config_static_selectorELNS0_4arch9wavefront6targetE0EEEvT1_.has_indirect_call, 0
	.section	.AMDGPU.csdata,"",@progbits
; Kernel info:
; codeLenInByte = 0
; TotalNumSgprs: 0
; NumVgprs: 0
; ScratchSize: 0
; MemoryBound: 0
; FloatMode: 240
; IeeeMode: 1
; LDSByteSize: 0 bytes/workgroup (compile time only)
; SGPRBlocks: 0
; VGPRBlocks: 0
; NumSGPRsForWavesPerEU: 1
; NumVGPRsForWavesPerEU: 1
; Occupancy: 16
; WaveLimiterHint : 0
; COMPUTE_PGM_RSRC2:SCRATCH_EN: 0
; COMPUTE_PGM_RSRC2:USER_SGPR: 2
; COMPUTE_PGM_RSRC2:TRAP_HANDLER: 0
; COMPUTE_PGM_RSRC2:TGID_X_EN: 1
; COMPUTE_PGM_RSRC2:TGID_Y_EN: 0
; COMPUTE_PGM_RSRC2:TGID_Z_EN: 0
; COMPUTE_PGM_RSRC2:TIDIG_COMP_CNT: 0
	.section	.text._ZN7rocprim17ROCPRIM_400000_NS6detail17trampoline_kernelINS0_14default_configENS1_25partition_config_selectorILNS1_17partition_subalgoE6EsNS0_10empty_typeEbEEZZNS1_14partition_implILS5_6ELb0ES3_mN6thrust23THRUST_200600_302600_NS6detail15normal_iteratorINSA_10device_ptrIsEEEEPS6_SG_NS0_5tupleIJNSA_16discard_iteratorINSA_11use_defaultEEES6_EEENSH_IJSG_SG_EEES6_PlJNSB_9not_fun_tI7is_trueIsEEEEEE10hipError_tPvRmT3_T4_T5_T6_T7_T9_mT8_P12ihipStream_tbDpT10_ENKUlT_T0_E_clISt17integral_constantIbLb0EES1A_IbLb1EEEEDaS16_S17_EUlS16_E_NS1_11comp_targetILNS1_3genE3ELNS1_11target_archE908ELNS1_3gpuE7ELNS1_3repE0EEENS1_30default_config_static_selectorELNS0_4arch9wavefront6targetE0EEEvT1_,"axG",@progbits,_ZN7rocprim17ROCPRIM_400000_NS6detail17trampoline_kernelINS0_14default_configENS1_25partition_config_selectorILNS1_17partition_subalgoE6EsNS0_10empty_typeEbEEZZNS1_14partition_implILS5_6ELb0ES3_mN6thrust23THRUST_200600_302600_NS6detail15normal_iteratorINSA_10device_ptrIsEEEEPS6_SG_NS0_5tupleIJNSA_16discard_iteratorINSA_11use_defaultEEES6_EEENSH_IJSG_SG_EEES6_PlJNSB_9not_fun_tI7is_trueIsEEEEEE10hipError_tPvRmT3_T4_T5_T6_T7_T9_mT8_P12ihipStream_tbDpT10_ENKUlT_T0_E_clISt17integral_constantIbLb0EES1A_IbLb1EEEEDaS16_S17_EUlS16_E_NS1_11comp_targetILNS1_3genE3ELNS1_11target_archE908ELNS1_3gpuE7ELNS1_3repE0EEENS1_30default_config_static_selectorELNS0_4arch9wavefront6targetE0EEEvT1_,comdat
	.protected	_ZN7rocprim17ROCPRIM_400000_NS6detail17trampoline_kernelINS0_14default_configENS1_25partition_config_selectorILNS1_17partition_subalgoE6EsNS0_10empty_typeEbEEZZNS1_14partition_implILS5_6ELb0ES3_mN6thrust23THRUST_200600_302600_NS6detail15normal_iteratorINSA_10device_ptrIsEEEEPS6_SG_NS0_5tupleIJNSA_16discard_iteratorINSA_11use_defaultEEES6_EEENSH_IJSG_SG_EEES6_PlJNSB_9not_fun_tI7is_trueIsEEEEEE10hipError_tPvRmT3_T4_T5_T6_T7_T9_mT8_P12ihipStream_tbDpT10_ENKUlT_T0_E_clISt17integral_constantIbLb0EES1A_IbLb1EEEEDaS16_S17_EUlS16_E_NS1_11comp_targetILNS1_3genE3ELNS1_11target_archE908ELNS1_3gpuE7ELNS1_3repE0EEENS1_30default_config_static_selectorELNS0_4arch9wavefront6targetE0EEEvT1_ ; -- Begin function _ZN7rocprim17ROCPRIM_400000_NS6detail17trampoline_kernelINS0_14default_configENS1_25partition_config_selectorILNS1_17partition_subalgoE6EsNS0_10empty_typeEbEEZZNS1_14partition_implILS5_6ELb0ES3_mN6thrust23THRUST_200600_302600_NS6detail15normal_iteratorINSA_10device_ptrIsEEEEPS6_SG_NS0_5tupleIJNSA_16discard_iteratorINSA_11use_defaultEEES6_EEENSH_IJSG_SG_EEES6_PlJNSB_9not_fun_tI7is_trueIsEEEEEE10hipError_tPvRmT3_T4_T5_T6_T7_T9_mT8_P12ihipStream_tbDpT10_ENKUlT_T0_E_clISt17integral_constantIbLb0EES1A_IbLb1EEEEDaS16_S17_EUlS16_E_NS1_11comp_targetILNS1_3genE3ELNS1_11target_archE908ELNS1_3gpuE7ELNS1_3repE0EEENS1_30default_config_static_selectorELNS0_4arch9wavefront6targetE0EEEvT1_
	.globl	_ZN7rocprim17ROCPRIM_400000_NS6detail17trampoline_kernelINS0_14default_configENS1_25partition_config_selectorILNS1_17partition_subalgoE6EsNS0_10empty_typeEbEEZZNS1_14partition_implILS5_6ELb0ES3_mN6thrust23THRUST_200600_302600_NS6detail15normal_iteratorINSA_10device_ptrIsEEEEPS6_SG_NS0_5tupleIJNSA_16discard_iteratorINSA_11use_defaultEEES6_EEENSH_IJSG_SG_EEES6_PlJNSB_9not_fun_tI7is_trueIsEEEEEE10hipError_tPvRmT3_T4_T5_T6_T7_T9_mT8_P12ihipStream_tbDpT10_ENKUlT_T0_E_clISt17integral_constantIbLb0EES1A_IbLb1EEEEDaS16_S17_EUlS16_E_NS1_11comp_targetILNS1_3genE3ELNS1_11target_archE908ELNS1_3gpuE7ELNS1_3repE0EEENS1_30default_config_static_selectorELNS0_4arch9wavefront6targetE0EEEvT1_
	.p2align	8
	.type	_ZN7rocprim17ROCPRIM_400000_NS6detail17trampoline_kernelINS0_14default_configENS1_25partition_config_selectorILNS1_17partition_subalgoE6EsNS0_10empty_typeEbEEZZNS1_14partition_implILS5_6ELb0ES3_mN6thrust23THRUST_200600_302600_NS6detail15normal_iteratorINSA_10device_ptrIsEEEEPS6_SG_NS0_5tupleIJNSA_16discard_iteratorINSA_11use_defaultEEES6_EEENSH_IJSG_SG_EEES6_PlJNSB_9not_fun_tI7is_trueIsEEEEEE10hipError_tPvRmT3_T4_T5_T6_T7_T9_mT8_P12ihipStream_tbDpT10_ENKUlT_T0_E_clISt17integral_constantIbLb0EES1A_IbLb1EEEEDaS16_S17_EUlS16_E_NS1_11comp_targetILNS1_3genE3ELNS1_11target_archE908ELNS1_3gpuE7ELNS1_3repE0EEENS1_30default_config_static_selectorELNS0_4arch9wavefront6targetE0EEEvT1_,@function
_ZN7rocprim17ROCPRIM_400000_NS6detail17trampoline_kernelINS0_14default_configENS1_25partition_config_selectorILNS1_17partition_subalgoE6EsNS0_10empty_typeEbEEZZNS1_14partition_implILS5_6ELb0ES3_mN6thrust23THRUST_200600_302600_NS6detail15normal_iteratorINSA_10device_ptrIsEEEEPS6_SG_NS0_5tupleIJNSA_16discard_iteratorINSA_11use_defaultEEES6_EEENSH_IJSG_SG_EEES6_PlJNSB_9not_fun_tI7is_trueIsEEEEEE10hipError_tPvRmT3_T4_T5_T6_T7_T9_mT8_P12ihipStream_tbDpT10_ENKUlT_T0_E_clISt17integral_constantIbLb0EES1A_IbLb1EEEEDaS16_S17_EUlS16_E_NS1_11comp_targetILNS1_3genE3ELNS1_11target_archE908ELNS1_3gpuE7ELNS1_3repE0EEENS1_30default_config_static_selectorELNS0_4arch9wavefront6targetE0EEEvT1_: ; @_ZN7rocprim17ROCPRIM_400000_NS6detail17trampoline_kernelINS0_14default_configENS1_25partition_config_selectorILNS1_17partition_subalgoE6EsNS0_10empty_typeEbEEZZNS1_14partition_implILS5_6ELb0ES3_mN6thrust23THRUST_200600_302600_NS6detail15normal_iteratorINSA_10device_ptrIsEEEEPS6_SG_NS0_5tupleIJNSA_16discard_iteratorINSA_11use_defaultEEES6_EEENSH_IJSG_SG_EEES6_PlJNSB_9not_fun_tI7is_trueIsEEEEEE10hipError_tPvRmT3_T4_T5_T6_T7_T9_mT8_P12ihipStream_tbDpT10_ENKUlT_T0_E_clISt17integral_constantIbLb0EES1A_IbLb1EEEEDaS16_S17_EUlS16_E_NS1_11comp_targetILNS1_3genE3ELNS1_11target_archE908ELNS1_3gpuE7ELNS1_3repE0EEENS1_30default_config_static_selectorELNS0_4arch9wavefront6targetE0EEEvT1_
; %bb.0:
	.section	.rodata,"a",@progbits
	.p2align	6, 0x0
	.amdhsa_kernel _ZN7rocprim17ROCPRIM_400000_NS6detail17trampoline_kernelINS0_14default_configENS1_25partition_config_selectorILNS1_17partition_subalgoE6EsNS0_10empty_typeEbEEZZNS1_14partition_implILS5_6ELb0ES3_mN6thrust23THRUST_200600_302600_NS6detail15normal_iteratorINSA_10device_ptrIsEEEEPS6_SG_NS0_5tupleIJNSA_16discard_iteratorINSA_11use_defaultEEES6_EEENSH_IJSG_SG_EEES6_PlJNSB_9not_fun_tI7is_trueIsEEEEEE10hipError_tPvRmT3_T4_T5_T6_T7_T9_mT8_P12ihipStream_tbDpT10_ENKUlT_T0_E_clISt17integral_constantIbLb0EES1A_IbLb1EEEEDaS16_S17_EUlS16_E_NS1_11comp_targetILNS1_3genE3ELNS1_11target_archE908ELNS1_3gpuE7ELNS1_3repE0EEENS1_30default_config_static_selectorELNS0_4arch9wavefront6targetE0EEEvT1_
		.amdhsa_group_segment_fixed_size 0
		.amdhsa_private_segment_fixed_size 0
		.amdhsa_kernarg_size 136
		.amdhsa_user_sgpr_count 2
		.amdhsa_user_sgpr_dispatch_ptr 0
		.amdhsa_user_sgpr_queue_ptr 0
		.amdhsa_user_sgpr_kernarg_segment_ptr 1
		.amdhsa_user_sgpr_dispatch_id 0
		.amdhsa_user_sgpr_private_segment_size 0
		.amdhsa_wavefront_size32 1
		.amdhsa_uses_dynamic_stack 0
		.amdhsa_enable_private_segment 0
		.amdhsa_system_sgpr_workgroup_id_x 1
		.amdhsa_system_sgpr_workgroup_id_y 0
		.amdhsa_system_sgpr_workgroup_id_z 0
		.amdhsa_system_sgpr_workgroup_info 0
		.amdhsa_system_vgpr_workitem_id 0
		.amdhsa_next_free_vgpr 1
		.amdhsa_next_free_sgpr 1
		.amdhsa_reserve_vcc 0
		.amdhsa_float_round_mode_32 0
		.amdhsa_float_round_mode_16_64 0
		.amdhsa_float_denorm_mode_32 3
		.amdhsa_float_denorm_mode_16_64 3
		.amdhsa_fp16_overflow 0
		.amdhsa_workgroup_processor_mode 1
		.amdhsa_memory_ordered 1
		.amdhsa_forward_progress 1
		.amdhsa_inst_pref_size 0
		.amdhsa_round_robin_scheduling 0
		.amdhsa_exception_fp_ieee_invalid_op 0
		.amdhsa_exception_fp_denorm_src 0
		.amdhsa_exception_fp_ieee_div_zero 0
		.amdhsa_exception_fp_ieee_overflow 0
		.amdhsa_exception_fp_ieee_underflow 0
		.amdhsa_exception_fp_ieee_inexact 0
		.amdhsa_exception_int_div_zero 0
	.end_amdhsa_kernel
	.section	.text._ZN7rocprim17ROCPRIM_400000_NS6detail17trampoline_kernelINS0_14default_configENS1_25partition_config_selectorILNS1_17partition_subalgoE6EsNS0_10empty_typeEbEEZZNS1_14partition_implILS5_6ELb0ES3_mN6thrust23THRUST_200600_302600_NS6detail15normal_iteratorINSA_10device_ptrIsEEEEPS6_SG_NS0_5tupleIJNSA_16discard_iteratorINSA_11use_defaultEEES6_EEENSH_IJSG_SG_EEES6_PlJNSB_9not_fun_tI7is_trueIsEEEEEE10hipError_tPvRmT3_T4_T5_T6_T7_T9_mT8_P12ihipStream_tbDpT10_ENKUlT_T0_E_clISt17integral_constantIbLb0EES1A_IbLb1EEEEDaS16_S17_EUlS16_E_NS1_11comp_targetILNS1_3genE3ELNS1_11target_archE908ELNS1_3gpuE7ELNS1_3repE0EEENS1_30default_config_static_selectorELNS0_4arch9wavefront6targetE0EEEvT1_,"axG",@progbits,_ZN7rocprim17ROCPRIM_400000_NS6detail17trampoline_kernelINS0_14default_configENS1_25partition_config_selectorILNS1_17partition_subalgoE6EsNS0_10empty_typeEbEEZZNS1_14partition_implILS5_6ELb0ES3_mN6thrust23THRUST_200600_302600_NS6detail15normal_iteratorINSA_10device_ptrIsEEEEPS6_SG_NS0_5tupleIJNSA_16discard_iteratorINSA_11use_defaultEEES6_EEENSH_IJSG_SG_EEES6_PlJNSB_9not_fun_tI7is_trueIsEEEEEE10hipError_tPvRmT3_T4_T5_T6_T7_T9_mT8_P12ihipStream_tbDpT10_ENKUlT_T0_E_clISt17integral_constantIbLb0EES1A_IbLb1EEEEDaS16_S17_EUlS16_E_NS1_11comp_targetILNS1_3genE3ELNS1_11target_archE908ELNS1_3gpuE7ELNS1_3repE0EEENS1_30default_config_static_selectorELNS0_4arch9wavefront6targetE0EEEvT1_,comdat
.Lfunc_end2328:
	.size	_ZN7rocprim17ROCPRIM_400000_NS6detail17trampoline_kernelINS0_14default_configENS1_25partition_config_selectorILNS1_17partition_subalgoE6EsNS0_10empty_typeEbEEZZNS1_14partition_implILS5_6ELb0ES3_mN6thrust23THRUST_200600_302600_NS6detail15normal_iteratorINSA_10device_ptrIsEEEEPS6_SG_NS0_5tupleIJNSA_16discard_iteratorINSA_11use_defaultEEES6_EEENSH_IJSG_SG_EEES6_PlJNSB_9not_fun_tI7is_trueIsEEEEEE10hipError_tPvRmT3_T4_T5_T6_T7_T9_mT8_P12ihipStream_tbDpT10_ENKUlT_T0_E_clISt17integral_constantIbLb0EES1A_IbLb1EEEEDaS16_S17_EUlS16_E_NS1_11comp_targetILNS1_3genE3ELNS1_11target_archE908ELNS1_3gpuE7ELNS1_3repE0EEENS1_30default_config_static_selectorELNS0_4arch9wavefront6targetE0EEEvT1_, .Lfunc_end2328-_ZN7rocprim17ROCPRIM_400000_NS6detail17trampoline_kernelINS0_14default_configENS1_25partition_config_selectorILNS1_17partition_subalgoE6EsNS0_10empty_typeEbEEZZNS1_14partition_implILS5_6ELb0ES3_mN6thrust23THRUST_200600_302600_NS6detail15normal_iteratorINSA_10device_ptrIsEEEEPS6_SG_NS0_5tupleIJNSA_16discard_iteratorINSA_11use_defaultEEES6_EEENSH_IJSG_SG_EEES6_PlJNSB_9not_fun_tI7is_trueIsEEEEEE10hipError_tPvRmT3_T4_T5_T6_T7_T9_mT8_P12ihipStream_tbDpT10_ENKUlT_T0_E_clISt17integral_constantIbLb0EES1A_IbLb1EEEEDaS16_S17_EUlS16_E_NS1_11comp_targetILNS1_3genE3ELNS1_11target_archE908ELNS1_3gpuE7ELNS1_3repE0EEENS1_30default_config_static_selectorELNS0_4arch9wavefront6targetE0EEEvT1_
                                        ; -- End function
	.set _ZN7rocprim17ROCPRIM_400000_NS6detail17trampoline_kernelINS0_14default_configENS1_25partition_config_selectorILNS1_17partition_subalgoE6EsNS0_10empty_typeEbEEZZNS1_14partition_implILS5_6ELb0ES3_mN6thrust23THRUST_200600_302600_NS6detail15normal_iteratorINSA_10device_ptrIsEEEEPS6_SG_NS0_5tupleIJNSA_16discard_iteratorINSA_11use_defaultEEES6_EEENSH_IJSG_SG_EEES6_PlJNSB_9not_fun_tI7is_trueIsEEEEEE10hipError_tPvRmT3_T4_T5_T6_T7_T9_mT8_P12ihipStream_tbDpT10_ENKUlT_T0_E_clISt17integral_constantIbLb0EES1A_IbLb1EEEEDaS16_S17_EUlS16_E_NS1_11comp_targetILNS1_3genE3ELNS1_11target_archE908ELNS1_3gpuE7ELNS1_3repE0EEENS1_30default_config_static_selectorELNS0_4arch9wavefront6targetE0EEEvT1_.num_vgpr, 0
	.set _ZN7rocprim17ROCPRIM_400000_NS6detail17trampoline_kernelINS0_14default_configENS1_25partition_config_selectorILNS1_17partition_subalgoE6EsNS0_10empty_typeEbEEZZNS1_14partition_implILS5_6ELb0ES3_mN6thrust23THRUST_200600_302600_NS6detail15normal_iteratorINSA_10device_ptrIsEEEEPS6_SG_NS0_5tupleIJNSA_16discard_iteratorINSA_11use_defaultEEES6_EEENSH_IJSG_SG_EEES6_PlJNSB_9not_fun_tI7is_trueIsEEEEEE10hipError_tPvRmT3_T4_T5_T6_T7_T9_mT8_P12ihipStream_tbDpT10_ENKUlT_T0_E_clISt17integral_constantIbLb0EES1A_IbLb1EEEEDaS16_S17_EUlS16_E_NS1_11comp_targetILNS1_3genE3ELNS1_11target_archE908ELNS1_3gpuE7ELNS1_3repE0EEENS1_30default_config_static_selectorELNS0_4arch9wavefront6targetE0EEEvT1_.num_agpr, 0
	.set _ZN7rocprim17ROCPRIM_400000_NS6detail17trampoline_kernelINS0_14default_configENS1_25partition_config_selectorILNS1_17partition_subalgoE6EsNS0_10empty_typeEbEEZZNS1_14partition_implILS5_6ELb0ES3_mN6thrust23THRUST_200600_302600_NS6detail15normal_iteratorINSA_10device_ptrIsEEEEPS6_SG_NS0_5tupleIJNSA_16discard_iteratorINSA_11use_defaultEEES6_EEENSH_IJSG_SG_EEES6_PlJNSB_9not_fun_tI7is_trueIsEEEEEE10hipError_tPvRmT3_T4_T5_T6_T7_T9_mT8_P12ihipStream_tbDpT10_ENKUlT_T0_E_clISt17integral_constantIbLb0EES1A_IbLb1EEEEDaS16_S17_EUlS16_E_NS1_11comp_targetILNS1_3genE3ELNS1_11target_archE908ELNS1_3gpuE7ELNS1_3repE0EEENS1_30default_config_static_selectorELNS0_4arch9wavefront6targetE0EEEvT1_.numbered_sgpr, 0
	.set _ZN7rocprim17ROCPRIM_400000_NS6detail17trampoline_kernelINS0_14default_configENS1_25partition_config_selectorILNS1_17partition_subalgoE6EsNS0_10empty_typeEbEEZZNS1_14partition_implILS5_6ELb0ES3_mN6thrust23THRUST_200600_302600_NS6detail15normal_iteratorINSA_10device_ptrIsEEEEPS6_SG_NS0_5tupleIJNSA_16discard_iteratorINSA_11use_defaultEEES6_EEENSH_IJSG_SG_EEES6_PlJNSB_9not_fun_tI7is_trueIsEEEEEE10hipError_tPvRmT3_T4_T5_T6_T7_T9_mT8_P12ihipStream_tbDpT10_ENKUlT_T0_E_clISt17integral_constantIbLb0EES1A_IbLb1EEEEDaS16_S17_EUlS16_E_NS1_11comp_targetILNS1_3genE3ELNS1_11target_archE908ELNS1_3gpuE7ELNS1_3repE0EEENS1_30default_config_static_selectorELNS0_4arch9wavefront6targetE0EEEvT1_.num_named_barrier, 0
	.set _ZN7rocprim17ROCPRIM_400000_NS6detail17trampoline_kernelINS0_14default_configENS1_25partition_config_selectorILNS1_17partition_subalgoE6EsNS0_10empty_typeEbEEZZNS1_14partition_implILS5_6ELb0ES3_mN6thrust23THRUST_200600_302600_NS6detail15normal_iteratorINSA_10device_ptrIsEEEEPS6_SG_NS0_5tupleIJNSA_16discard_iteratorINSA_11use_defaultEEES6_EEENSH_IJSG_SG_EEES6_PlJNSB_9not_fun_tI7is_trueIsEEEEEE10hipError_tPvRmT3_T4_T5_T6_T7_T9_mT8_P12ihipStream_tbDpT10_ENKUlT_T0_E_clISt17integral_constantIbLb0EES1A_IbLb1EEEEDaS16_S17_EUlS16_E_NS1_11comp_targetILNS1_3genE3ELNS1_11target_archE908ELNS1_3gpuE7ELNS1_3repE0EEENS1_30default_config_static_selectorELNS0_4arch9wavefront6targetE0EEEvT1_.private_seg_size, 0
	.set _ZN7rocprim17ROCPRIM_400000_NS6detail17trampoline_kernelINS0_14default_configENS1_25partition_config_selectorILNS1_17partition_subalgoE6EsNS0_10empty_typeEbEEZZNS1_14partition_implILS5_6ELb0ES3_mN6thrust23THRUST_200600_302600_NS6detail15normal_iteratorINSA_10device_ptrIsEEEEPS6_SG_NS0_5tupleIJNSA_16discard_iteratorINSA_11use_defaultEEES6_EEENSH_IJSG_SG_EEES6_PlJNSB_9not_fun_tI7is_trueIsEEEEEE10hipError_tPvRmT3_T4_T5_T6_T7_T9_mT8_P12ihipStream_tbDpT10_ENKUlT_T0_E_clISt17integral_constantIbLb0EES1A_IbLb1EEEEDaS16_S17_EUlS16_E_NS1_11comp_targetILNS1_3genE3ELNS1_11target_archE908ELNS1_3gpuE7ELNS1_3repE0EEENS1_30default_config_static_selectorELNS0_4arch9wavefront6targetE0EEEvT1_.uses_vcc, 0
	.set _ZN7rocprim17ROCPRIM_400000_NS6detail17trampoline_kernelINS0_14default_configENS1_25partition_config_selectorILNS1_17partition_subalgoE6EsNS0_10empty_typeEbEEZZNS1_14partition_implILS5_6ELb0ES3_mN6thrust23THRUST_200600_302600_NS6detail15normal_iteratorINSA_10device_ptrIsEEEEPS6_SG_NS0_5tupleIJNSA_16discard_iteratorINSA_11use_defaultEEES6_EEENSH_IJSG_SG_EEES6_PlJNSB_9not_fun_tI7is_trueIsEEEEEE10hipError_tPvRmT3_T4_T5_T6_T7_T9_mT8_P12ihipStream_tbDpT10_ENKUlT_T0_E_clISt17integral_constantIbLb0EES1A_IbLb1EEEEDaS16_S17_EUlS16_E_NS1_11comp_targetILNS1_3genE3ELNS1_11target_archE908ELNS1_3gpuE7ELNS1_3repE0EEENS1_30default_config_static_selectorELNS0_4arch9wavefront6targetE0EEEvT1_.uses_flat_scratch, 0
	.set _ZN7rocprim17ROCPRIM_400000_NS6detail17trampoline_kernelINS0_14default_configENS1_25partition_config_selectorILNS1_17partition_subalgoE6EsNS0_10empty_typeEbEEZZNS1_14partition_implILS5_6ELb0ES3_mN6thrust23THRUST_200600_302600_NS6detail15normal_iteratorINSA_10device_ptrIsEEEEPS6_SG_NS0_5tupleIJNSA_16discard_iteratorINSA_11use_defaultEEES6_EEENSH_IJSG_SG_EEES6_PlJNSB_9not_fun_tI7is_trueIsEEEEEE10hipError_tPvRmT3_T4_T5_T6_T7_T9_mT8_P12ihipStream_tbDpT10_ENKUlT_T0_E_clISt17integral_constantIbLb0EES1A_IbLb1EEEEDaS16_S17_EUlS16_E_NS1_11comp_targetILNS1_3genE3ELNS1_11target_archE908ELNS1_3gpuE7ELNS1_3repE0EEENS1_30default_config_static_selectorELNS0_4arch9wavefront6targetE0EEEvT1_.has_dyn_sized_stack, 0
	.set _ZN7rocprim17ROCPRIM_400000_NS6detail17trampoline_kernelINS0_14default_configENS1_25partition_config_selectorILNS1_17partition_subalgoE6EsNS0_10empty_typeEbEEZZNS1_14partition_implILS5_6ELb0ES3_mN6thrust23THRUST_200600_302600_NS6detail15normal_iteratorINSA_10device_ptrIsEEEEPS6_SG_NS0_5tupleIJNSA_16discard_iteratorINSA_11use_defaultEEES6_EEENSH_IJSG_SG_EEES6_PlJNSB_9not_fun_tI7is_trueIsEEEEEE10hipError_tPvRmT3_T4_T5_T6_T7_T9_mT8_P12ihipStream_tbDpT10_ENKUlT_T0_E_clISt17integral_constantIbLb0EES1A_IbLb1EEEEDaS16_S17_EUlS16_E_NS1_11comp_targetILNS1_3genE3ELNS1_11target_archE908ELNS1_3gpuE7ELNS1_3repE0EEENS1_30default_config_static_selectorELNS0_4arch9wavefront6targetE0EEEvT1_.has_recursion, 0
	.set _ZN7rocprim17ROCPRIM_400000_NS6detail17trampoline_kernelINS0_14default_configENS1_25partition_config_selectorILNS1_17partition_subalgoE6EsNS0_10empty_typeEbEEZZNS1_14partition_implILS5_6ELb0ES3_mN6thrust23THRUST_200600_302600_NS6detail15normal_iteratorINSA_10device_ptrIsEEEEPS6_SG_NS0_5tupleIJNSA_16discard_iteratorINSA_11use_defaultEEES6_EEENSH_IJSG_SG_EEES6_PlJNSB_9not_fun_tI7is_trueIsEEEEEE10hipError_tPvRmT3_T4_T5_T6_T7_T9_mT8_P12ihipStream_tbDpT10_ENKUlT_T0_E_clISt17integral_constantIbLb0EES1A_IbLb1EEEEDaS16_S17_EUlS16_E_NS1_11comp_targetILNS1_3genE3ELNS1_11target_archE908ELNS1_3gpuE7ELNS1_3repE0EEENS1_30default_config_static_selectorELNS0_4arch9wavefront6targetE0EEEvT1_.has_indirect_call, 0
	.section	.AMDGPU.csdata,"",@progbits
; Kernel info:
; codeLenInByte = 0
; TotalNumSgprs: 0
; NumVgprs: 0
; ScratchSize: 0
; MemoryBound: 0
; FloatMode: 240
; IeeeMode: 1
; LDSByteSize: 0 bytes/workgroup (compile time only)
; SGPRBlocks: 0
; VGPRBlocks: 0
; NumSGPRsForWavesPerEU: 1
; NumVGPRsForWavesPerEU: 1
; Occupancy: 16
; WaveLimiterHint : 0
; COMPUTE_PGM_RSRC2:SCRATCH_EN: 0
; COMPUTE_PGM_RSRC2:USER_SGPR: 2
; COMPUTE_PGM_RSRC2:TRAP_HANDLER: 0
; COMPUTE_PGM_RSRC2:TGID_X_EN: 1
; COMPUTE_PGM_RSRC2:TGID_Y_EN: 0
; COMPUTE_PGM_RSRC2:TGID_Z_EN: 0
; COMPUTE_PGM_RSRC2:TIDIG_COMP_CNT: 0
	.section	.text._ZN7rocprim17ROCPRIM_400000_NS6detail17trampoline_kernelINS0_14default_configENS1_25partition_config_selectorILNS1_17partition_subalgoE6EsNS0_10empty_typeEbEEZZNS1_14partition_implILS5_6ELb0ES3_mN6thrust23THRUST_200600_302600_NS6detail15normal_iteratorINSA_10device_ptrIsEEEEPS6_SG_NS0_5tupleIJNSA_16discard_iteratorINSA_11use_defaultEEES6_EEENSH_IJSG_SG_EEES6_PlJNSB_9not_fun_tI7is_trueIsEEEEEE10hipError_tPvRmT3_T4_T5_T6_T7_T9_mT8_P12ihipStream_tbDpT10_ENKUlT_T0_E_clISt17integral_constantIbLb0EES1A_IbLb1EEEEDaS16_S17_EUlS16_E_NS1_11comp_targetILNS1_3genE2ELNS1_11target_archE906ELNS1_3gpuE6ELNS1_3repE0EEENS1_30default_config_static_selectorELNS0_4arch9wavefront6targetE0EEEvT1_,"axG",@progbits,_ZN7rocprim17ROCPRIM_400000_NS6detail17trampoline_kernelINS0_14default_configENS1_25partition_config_selectorILNS1_17partition_subalgoE6EsNS0_10empty_typeEbEEZZNS1_14partition_implILS5_6ELb0ES3_mN6thrust23THRUST_200600_302600_NS6detail15normal_iteratorINSA_10device_ptrIsEEEEPS6_SG_NS0_5tupleIJNSA_16discard_iteratorINSA_11use_defaultEEES6_EEENSH_IJSG_SG_EEES6_PlJNSB_9not_fun_tI7is_trueIsEEEEEE10hipError_tPvRmT3_T4_T5_T6_T7_T9_mT8_P12ihipStream_tbDpT10_ENKUlT_T0_E_clISt17integral_constantIbLb0EES1A_IbLb1EEEEDaS16_S17_EUlS16_E_NS1_11comp_targetILNS1_3genE2ELNS1_11target_archE906ELNS1_3gpuE6ELNS1_3repE0EEENS1_30default_config_static_selectorELNS0_4arch9wavefront6targetE0EEEvT1_,comdat
	.protected	_ZN7rocprim17ROCPRIM_400000_NS6detail17trampoline_kernelINS0_14default_configENS1_25partition_config_selectorILNS1_17partition_subalgoE6EsNS0_10empty_typeEbEEZZNS1_14partition_implILS5_6ELb0ES3_mN6thrust23THRUST_200600_302600_NS6detail15normal_iteratorINSA_10device_ptrIsEEEEPS6_SG_NS0_5tupleIJNSA_16discard_iteratorINSA_11use_defaultEEES6_EEENSH_IJSG_SG_EEES6_PlJNSB_9not_fun_tI7is_trueIsEEEEEE10hipError_tPvRmT3_T4_T5_T6_T7_T9_mT8_P12ihipStream_tbDpT10_ENKUlT_T0_E_clISt17integral_constantIbLb0EES1A_IbLb1EEEEDaS16_S17_EUlS16_E_NS1_11comp_targetILNS1_3genE2ELNS1_11target_archE906ELNS1_3gpuE6ELNS1_3repE0EEENS1_30default_config_static_selectorELNS0_4arch9wavefront6targetE0EEEvT1_ ; -- Begin function _ZN7rocprim17ROCPRIM_400000_NS6detail17trampoline_kernelINS0_14default_configENS1_25partition_config_selectorILNS1_17partition_subalgoE6EsNS0_10empty_typeEbEEZZNS1_14partition_implILS5_6ELb0ES3_mN6thrust23THRUST_200600_302600_NS6detail15normal_iteratorINSA_10device_ptrIsEEEEPS6_SG_NS0_5tupleIJNSA_16discard_iteratorINSA_11use_defaultEEES6_EEENSH_IJSG_SG_EEES6_PlJNSB_9not_fun_tI7is_trueIsEEEEEE10hipError_tPvRmT3_T4_T5_T6_T7_T9_mT8_P12ihipStream_tbDpT10_ENKUlT_T0_E_clISt17integral_constantIbLb0EES1A_IbLb1EEEEDaS16_S17_EUlS16_E_NS1_11comp_targetILNS1_3genE2ELNS1_11target_archE906ELNS1_3gpuE6ELNS1_3repE0EEENS1_30default_config_static_selectorELNS0_4arch9wavefront6targetE0EEEvT1_
	.globl	_ZN7rocprim17ROCPRIM_400000_NS6detail17trampoline_kernelINS0_14default_configENS1_25partition_config_selectorILNS1_17partition_subalgoE6EsNS0_10empty_typeEbEEZZNS1_14partition_implILS5_6ELb0ES3_mN6thrust23THRUST_200600_302600_NS6detail15normal_iteratorINSA_10device_ptrIsEEEEPS6_SG_NS0_5tupleIJNSA_16discard_iteratorINSA_11use_defaultEEES6_EEENSH_IJSG_SG_EEES6_PlJNSB_9not_fun_tI7is_trueIsEEEEEE10hipError_tPvRmT3_T4_T5_T6_T7_T9_mT8_P12ihipStream_tbDpT10_ENKUlT_T0_E_clISt17integral_constantIbLb0EES1A_IbLb1EEEEDaS16_S17_EUlS16_E_NS1_11comp_targetILNS1_3genE2ELNS1_11target_archE906ELNS1_3gpuE6ELNS1_3repE0EEENS1_30default_config_static_selectorELNS0_4arch9wavefront6targetE0EEEvT1_
	.p2align	8
	.type	_ZN7rocprim17ROCPRIM_400000_NS6detail17trampoline_kernelINS0_14default_configENS1_25partition_config_selectorILNS1_17partition_subalgoE6EsNS0_10empty_typeEbEEZZNS1_14partition_implILS5_6ELb0ES3_mN6thrust23THRUST_200600_302600_NS6detail15normal_iteratorINSA_10device_ptrIsEEEEPS6_SG_NS0_5tupleIJNSA_16discard_iteratorINSA_11use_defaultEEES6_EEENSH_IJSG_SG_EEES6_PlJNSB_9not_fun_tI7is_trueIsEEEEEE10hipError_tPvRmT3_T4_T5_T6_T7_T9_mT8_P12ihipStream_tbDpT10_ENKUlT_T0_E_clISt17integral_constantIbLb0EES1A_IbLb1EEEEDaS16_S17_EUlS16_E_NS1_11comp_targetILNS1_3genE2ELNS1_11target_archE906ELNS1_3gpuE6ELNS1_3repE0EEENS1_30default_config_static_selectorELNS0_4arch9wavefront6targetE0EEEvT1_,@function
_ZN7rocprim17ROCPRIM_400000_NS6detail17trampoline_kernelINS0_14default_configENS1_25partition_config_selectorILNS1_17partition_subalgoE6EsNS0_10empty_typeEbEEZZNS1_14partition_implILS5_6ELb0ES3_mN6thrust23THRUST_200600_302600_NS6detail15normal_iteratorINSA_10device_ptrIsEEEEPS6_SG_NS0_5tupleIJNSA_16discard_iteratorINSA_11use_defaultEEES6_EEENSH_IJSG_SG_EEES6_PlJNSB_9not_fun_tI7is_trueIsEEEEEE10hipError_tPvRmT3_T4_T5_T6_T7_T9_mT8_P12ihipStream_tbDpT10_ENKUlT_T0_E_clISt17integral_constantIbLb0EES1A_IbLb1EEEEDaS16_S17_EUlS16_E_NS1_11comp_targetILNS1_3genE2ELNS1_11target_archE906ELNS1_3gpuE6ELNS1_3repE0EEENS1_30default_config_static_selectorELNS0_4arch9wavefront6targetE0EEEvT1_: ; @_ZN7rocprim17ROCPRIM_400000_NS6detail17trampoline_kernelINS0_14default_configENS1_25partition_config_selectorILNS1_17partition_subalgoE6EsNS0_10empty_typeEbEEZZNS1_14partition_implILS5_6ELb0ES3_mN6thrust23THRUST_200600_302600_NS6detail15normal_iteratorINSA_10device_ptrIsEEEEPS6_SG_NS0_5tupleIJNSA_16discard_iteratorINSA_11use_defaultEEES6_EEENSH_IJSG_SG_EEES6_PlJNSB_9not_fun_tI7is_trueIsEEEEEE10hipError_tPvRmT3_T4_T5_T6_T7_T9_mT8_P12ihipStream_tbDpT10_ENKUlT_T0_E_clISt17integral_constantIbLb0EES1A_IbLb1EEEEDaS16_S17_EUlS16_E_NS1_11comp_targetILNS1_3genE2ELNS1_11target_archE906ELNS1_3gpuE6ELNS1_3repE0EEENS1_30default_config_static_selectorELNS0_4arch9wavefront6targetE0EEEvT1_
; %bb.0:
	.section	.rodata,"a",@progbits
	.p2align	6, 0x0
	.amdhsa_kernel _ZN7rocprim17ROCPRIM_400000_NS6detail17trampoline_kernelINS0_14default_configENS1_25partition_config_selectorILNS1_17partition_subalgoE6EsNS0_10empty_typeEbEEZZNS1_14partition_implILS5_6ELb0ES3_mN6thrust23THRUST_200600_302600_NS6detail15normal_iteratorINSA_10device_ptrIsEEEEPS6_SG_NS0_5tupleIJNSA_16discard_iteratorINSA_11use_defaultEEES6_EEENSH_IJSG_SG_EEES6_PlJNSB_9not_fun_tI7is_trueIsEEEEEE10hipError_tPvRmT3_T4_T5_T6_T7_T9_mT8_P12ihipStream_tbDpT10_ENKUlT_T0_E_clISt17integral_constantIbLb0EES1A_IbLb1EEEEDaS16_S17_EUlS16_E_NS1_11comp_targetILNS1_3genE2ELNS1_11target_archE906ELNS1_3gpuE6ELNS1_3repE0EEENS1_30default_config_static_selectorELNS0_4arch9wavefront6targetE0EEEvT1_
		.amdhsa_group_segment_fixed_size 0
		.amdhsa_private_segment_fixed_size 0
		.amdhsa_kernarg_size 136
		.amdhsa_user_sgpr_count 2
		.amdhsa_user_sgpr_dispatch_ptr 0
		.amdhsa_user_sgpr_queue_ptr 0
		.amdhsa_user_sgpr_kernarg_segment_ptr 1
		.amdhsa_user_sgpr_dispatch_id 0
		.amdhsa_user_sgpr_private_segment_size 0
		.amdhsa_wavefront_size32 1
		.amdhsa_uses_dynamic_stack 0
		.amdhsa_enable_private_segment 0
		.amdhsa_system_sgpr_workgroup_id_x 1
		.amdhsa_system_sgpr_workgroup_id_y 0
		.amdhsa_system_sgpr_workgroup_id_z 0
		.amdhsa_system_sgpr_workgroup_info 0
		.amdhsa_system_vgpr_workitem_id 0
		.amdhsa_next_free_vgpr 1
		.amdhsa_next_free_sgpr 1
		.amdhsa_reserve_vcc 0
		.amdhsa_float_round_mode_32 0
		.amdhsa_float_round_mode_16_64 0
		.amdhsa_float_denorm_mode_32 3
		.amdhsa_float_denorm_mode_16_64 3
		.amdhsa_fp16_overflow 0
		.amdhsa_workgroup_processor_mode 1
		.amdhsa_memory_ordered 1
		.amdhsa_forward_progress 1
		.amdhsa_inst_pref_size 0
		.amdhsa_round_robin_scheduling 0
		.amdhsa_exception_fp_ieee_invalid_op 0
		.amdhsa_exception_fp_denorm_src 0
		.amdhsa_exception_fp_ieee_div_zero 0
		.amdhsa_exception_fp_ieee_overflow 0
		.amdhsa_exception_fp_ieee_underflow 0
		.amdhsa_exception_fp_ieee_inexact 0
		.amdhsa_exception_int_div_zero 0
	.end_amdhsa_kernel
	.section	.text._ZN7rocprim17ROCPRIM_400000_NS6detail17trampoline_kernelINS0_14default_configENS1_25partition_config_selectorILNS1_17partition_subalgoE6EsNS0_10empty_typeEbEEZZNS1_14partition_implILS5_6ELb0ES3_mN6thrust23THRUST_200600_302600_NS6detail15normal_iteratorINSA_10device_ptrIsEEEEPS6_SG_NS0_5tupleIJNSA_16discard_iteratorINSA_11use_defaultEEES6_EEENSH_IJSG_SG_EEES6_PlJNSB_9not_fun_tI7is_trueIsEEEEEE10hipError_tPvRmT3_T4_T5_T6_T7_T9_mT8_P12ihipStream_tbDpT10_ENKUlT_T0_E_clISt17integral_constantIbLb0EES1A_IbLb1EEEEDaS16_S17_EUlS16_E_NS1_11comp_targetILNS1_3genE2ELNS1_11target_archE906ELNS1_3gpuE6ELNS1_3repE0EEENS1_30default_config_static_selectorELNS0_4arch9wavefront6targetE0EEEvT1_,"axG",@progbits,_ZN7rocprim17ROCPRIM_400000_NS6detail17trampoline_kernelINS0_14default_configENS1_25partition_config_selectorILNS1_17partition_subalgoE6EsNS0_10empty_typeEbEEZZNS1_14partition_implILS5_6ELb0ES3_mN6thrust23THRUST_200600_302600_NS6detail15normal_iteratorINSA_10device_ptrIsEEEEPS6_SG_NS0_5tupleIJNSA_16discard_iteratorINSA_11use_defaultEEES6_EEENSH_IJSG_SG_EEES6_PlJNSB_9not_fun_tI7is_trueIsEEEEEE10hipError_tPvRmT3_T4_T5_T6_T7_T9_mT8_P12ihipStream_tbDpT10_ENKUlT_T0_E_clISt17integral_constantIbLb0EES1A_IbLb1EEEEDaS16_S17_EUlS16_E_NS1_11comp_targetILNS1_3genE2ELNS1_11target_archE906ELNS1_3gpuE6ELNS1_3repE0EEENS1_30default_config_static_selectorELNS0_4arch9wavefront6targetE0EEEvT1_,comdat
.Lfunc_end2329:
	.size	_ZN7rocprim17ROCPRIM_400000_NS6detail17trampoline_kernelINS0_14default_configENS1_25partition_config_selectorILNS1_17partition_subalgoE6EsNS0_10empty_typeEbEEZZNS1_14partition_implILS5_6ELb0ES3_mN6thrust23THRUST_200600_302600_NS6detail15normal_iteratorINSA_10device_ptrIsEEEEPS6_SG_NS0_5tupleIJNSA_16discard_iteratorINSA_11use_defaultEEES6_EEENSH_IJSG_SG_EEES6_PlJNSB_9not_fun_tI7is_trueIsEEEEEE10hipError_tPvRmT3_T4_T5_T6_T7_T9_mT8_P12ihipStream_tbDpT10_ENKUlT_T0_E_clISt17integral_constantIbLb0EES1A_IbLb1EEEEDaS16_S17_EUlS16_E_NS1_11comp_targetILNS1_3genE2ELNS1_11target_archE906ELNS1_3gpuE6ELNS1_3repE0EEENS1_30default_config_static_selectorELNS0_4arch9wavefront6targetE0EEEvT1_, .Lfunc_end2329-_ZN7rocprim17ROCPRIM_400000_NS6detail17trampoline_kernelINS0_14default_configENS1_25partition_config_selectorILNS1_17partition_subalgoE6EsNS0_10empty_typeEbEEZZNS1_14partition_implILS5_6ELb0ES3_mN6thrust23THRUST_200600_302600_NS6detail15normal_iteratorINSA_10device_ptrIsEEEEPS6_SG_NS0_5tupleIJNSA_16discard_iteratorINSA_11use_defaultEEES6_EEENSH_IJSG_SG_EEES6_PlJNSB_9not_fun_tI7is_trueIsEEEEEE10hipError_tPvRmT3_T4_T5_T6_T7_T9_mT8_P12ihipStream_tbDpT10_ENKUlT_T0_E_clISt17integral_constantIbLb0EES1A_IbLb1EEEEDaS16_S17_EUlS16_E_NS1_11comp_targetILNS1_3genE2ELNS1_11target_archE906ELNS1_3gpuE6ELNS1_3repE0EEENS1_30default_config_static_selectorELNS0_4arch9wavefront6targetE0EEEvT1_
                                        ; -- End function
	.set _ZN7rocprim17ROCPRIM_400000_NS6detail17trampoline_kernelINS0_14default_configENS1_25partition_config_selectorILNS1_17partition_subalgoE6EsNS0_10empty_typeEbEEZZNS1_14partition_implILS5_6ELb0ES3_mN6thrust23THRUST_200600_302600_NS6detail15normal_iteratorINSA_10device_ptrIsEEEEPS6_SG_NS0_5tupleIJNSA_16discard_iteratorINSA_11use_defaultEEES6_EEENSH_IJSG_SG_EEES6_PlJNSB_9not_fun_tI7is_trueIsEEEEEE10hipError_tPvRmT3_T4_T5_T6_T7_T9_mT8_P12ihipStream_tbDpT10_ENKUlT_T0_E_clISt17integral_constantIbLb0EES1A_IbLb1EEEEDaS16_S17_EUlS16_E_NS1_11comp_targetILNS1_3genE2ELNS1_11target_archE906ELNS1_3gpuE6ELNS1_3repE0EEENS1_30default_config_static_selectorELNS0_4arch9wavefront6targetE0EEEvT1_.num_vgpr, 0
	.set _ZN7rocprim17ROCPRIM_400000_NS6detail17trampoline_kernelINS0_14default_configENS1_25partition_config_selectorILNS1_17partition_subalgoE6EsNS0_10empty_typeEbEEZZNS1_14partition_implILS5_6ELb0ES3_mN6thrust23THRUST_200600_302600_NS6detail15normal_iteratorINSA_10device_ptrIsEEEEPS6_SG_NS0_5tupleIJNSA_16discard_iteratorINSA_11use_defaultEEES6_EEENSH_IJSG_SG_EEES6_PlJNSB_9not_fun_tI7is_trueIsEEEEEE10hipError_tPvRmT3_T4_T5_T6_T7_T9_mT8_P12ihipStream_tbDpT10_ENKUlT_T0_E_clISt17integral_constantIbLb0EES1A_IbLb1EEEEDaS16_S17_EUlS16_E_NS1_11comp_targetILNS1_3genE2ELNS1_11target_archE906ELNS1_3gpuE6ELNS1_3repE0EEENS1_30default_config_static_selectorELNS0_4arch9wavefront6targetE0EEEvT1_.num_agpr, 0
	.set _ZN7rocprim17ROCPRIM_400000_NS6detail17trampoline_kernelINS0_14default_configENS1_25partition_config_selectorILNS1_17partition_subalgoE6EsNS0_10empty_typeEbEEZZNS1_14partition_implILS5_6ELb0ES3_mN6thrust23THRUST_200600_302600_NS6detail15normal_iteratorINSA_10device_ptrIsEEEEPS6_SG_NS0_5tupleIJNSA_16discard_iteratorINSA_11use_defaultEEES6_EEENSH_IJSG_SG_EEES6_PlJNSB_9not_fun_tI7is_trueIsEEEEEE10hipError_tPvRmT3_T4_T5_T6_T7_T9_mT8_P12ihipStream_tbDpT10_ENKUlT_T0_E_clISt17integral_constantIbLb0EES1A_IbLb1EEEEDaS16_S17_EUlS16_E_NS1_11comp_targetILNS1_3genE2ELNS1_11target_archE906ELNS1_3gpuE6ELNS1_3repE0EEENS1_30default_config_static_selectorELNS0_4arch9wavefront6targetE0EEEvT1_.numbered_sgpr, 0
	.set _ZN7rocprim17ROCPRIM_400000_NS6detail17trampoline_kernelINS0_14default_configENS1_25partition_config_selectorILNS1_17partition_subalgoE6EsNS0_10empty_typeEbEEZZNS1_14partition_implILS5_6ELb0ES3_mN6thrust23THRUST_200600_302600_NS6detail15normal_iteratorINSA_10device_ptrIsEEEEPS6_SG_NS0_5tupleIJNSA_16discard_iteratorINSA_11use_defaultEEES6_EEENSH_IJSG_SG_EEES6_PlJNSB_9not_fun_tI7is_trueIsEEEEEE10hipError_tPvRmT3_T4_T5_T6_T7_T9_mT8_P12ihipStream_tbDpT10_ENKUlT_T0_E_clISt17integral_constantIbLb0EES1A_IbLb1EEEEDaS16_S17_EUlS16_E_NS1_11comp_targetILNS1_3genE2ELNS1_11target_archE906ELNS1_3gpuE6ELNS1_3repE0EEENS1_30default_config_static_selectorELNS0_4arch9wavefront6targetE0EEEvT1_.num_named_barrier, 0
	.set _ZN7rocprim17ROCPRIM_400000_NS6detail17trampoline_kernelINS0_14default_configENS1_25partition_config_selectorILNS1_17partition_subalgoE6EsNS0_10empty_typeEbEEZZNS1_14partition_implILS5_6ELb0ES3_mN6thrust23THRUST_200600_302600_NS6detail15normal_iteratorINSA_10device_ptrIsEEEEPS6_SG_NS0_5tupleIJNSA_16discard_iteratorINSA_11use_defaultEEES6_EEENSH_IJSG_SG_EEES6_PlJNSB_9not_fun_tI7is_trueIsEEEEEE10hipError_tPvRmT3_T4_T5_T6_T7_T9_mT8_P12ihipStream_tbDpT10_ENKUlT_T0_E_clISt17integral_constantIbLb0EES1A_IbLb1EEEEDaS16_S17_EUlS16_E_NS1_11comp_targetILNS1_3genE2ELNS1_11target_archE906ELNS1_3gpuE6ELNS1_3repE0EEENS1_30default_config_static_selectorELNS0_4arch9wavefront6targetE0EEEvT1_.private_seg_size, 0
	.set _ZN7rocprim17ROCPRIM_400000_NS6detail17trampoline_kernelINS0_14default_configENS1_25partition_config_selectorILNS1_17partition_subalgoE6EsNS0_10empty_typeEbEEZZNS1_14partition_implILS5_6ELb0ES3_mN6thrust23THRUST_200600_302600_NS6detail15normal_iteratorINSA_10device_ptrIsEEEEPS6_SG_NS0_5tupleIJNSA_16discard_iteratorINSA_11use_defaultEEES6_EEENSH_IJSG_SG_EEES6_PlJNSB_9not_fun_tI7is_trueIsEEEEEE10hipError_tPvRmT3_T4_T5_T6_T7_T9_mT8_P12ihipStream_tbDpT10_ENKUlT_T0_E_clISt17integral_constantIbLb0EES1A_IbLb1EEEEDaS16_S17_EUlS16_E_NS1_11comp_targetILNS1_3genE2ELNS1_11target_archE906ELNS1_3gpuE6ELNS1_3repE0EEENS1_30default_config_static_selectorELNS0_4arch9wavefront6targetE0EEEvT1_.uses_vcc, 0
	.set _ZN7rocprim17ROCPRIM_400000_NS6detail17trampoline_kernelINS0_14default_configENS1_25partition_config_selectorILNS1_17partition_subalgoE6EsNS0_10empty_typeEbEEZZNS1_14partition_implILS5_6ELb0ES3_mN6thrust23THRUST_200600_302600_NS6detail15normal_iteratorINSA_10device_ptrIsEEEEPS6_SG_NS0_5tupleIJNSA_16discard_iteratorINSA_11use_defaultEEES6_EEENSH_IJSG_SG_EEES6_PlJNSB_9not_fun_tI7is_trueIsEEEEEE10hipError_tPvRmT3_T4_T5_T6_T7_T9_mT8_P12ihipStream_tbDpT10_ENKUlT_T0_E_clISt17integral_constantIbLb0EES1A_IbLb1EEEEDaS16_S17_EUlS16_E_NS1_11comp_targetILNS1_3genE2ELNS1_11target_archE906ELNS1_3gpuE6ELNS1_3repE0EEENS1_30default_config_static_selectorELNS0_4arch9wavefront6targetE0EEEvT1_.uses_flat_scratch, 0
	.set _ZN7rocprim17ROCPRIM_400000_NS6detail17trampoline_kernelINS0_14default_configENS1_25partition_config_selectorILNS1_17partition_subalgoE6EsNS0_10empty_typeEbEEZZNS1_14partition_implILS5_6ELb0ES3_mN6thrust23THRUST_200600_302600_NS6detail15normal_iteratorINSA_10device_ptrIsEEEEPS6_SG_NS0_5tupleIJNSA_16discard_iteratorINSA_11use_defaultEEES6_EEENSH_IJSG_SG_EEES6_PlJNSB_9not_fun_tI7is_trueIsEEEEEE10hipError_tPvRmT3_T4_T5_T6_T7_T9_mT8_P12ihipStream_tbDpT10_ENKUlT_T0_E_clISt17integral_constantIbLb0EES1A_IbLb1EEEEDaS16_S17_EUlS16_E_NS1_11comp_targetILNS1_3genE2ELNS1_11target_archE906ELNS1_3gpuE6ELNS1_3repE0EEENS1_30default_config_static_selectorELNS0_4arch9wavefront6targetE0EEEvT1_.has_dyn_sized_stack, 0
	.set _ZN7rocprim17ROCPRIM_400000_NS6detail17trampoline_kernelINS0_14default_configENS1_25partition_config_selectorILNS1_17partition_subalgoE6EsNS0_10empty_typeEbEEZZNS1_14partition_implILS5_6ELb0ES3_mN6thrust23THRUST_200600_302600_NS6detail15normal_iteratorINSA_10device_ptrIsEEEEPS6_SG_NS0_5tupleIJNSA_16discard_iteratorINSA_11use_defaultEEES6_EEENSH_IJSG_SG_EEES6_PlJNSB_9not_fun_tI7is_trueIsEEEEEE10hipError_tPvRmT3_T4_T5_T6_T7_T9_mT8_P12ihipStream_tbDpT10_ENKUlT_T0_E_clISt17integral_constantIbLb0EES1A_IbLb1EEEEDaS16_S17_EUlS16_E_NS1_11comp_targetILNS1_3genE2ELNS1_11target_archE906ELNS1_3gpuE6ELNS1_3repE0EEENS1_30default_config_static_selectorELNS0_4arch9wavefront6targetE0EEEvT1_.has_recursion, 0
	.set _ZN7rocprim17ROCPRIM_400000_NS6detail17trampoline_kernelINS0_14default_configENS1_25partition_config_selectorILNS1_17partition_subalgoE6EsNS0_10empty_typeEbEEZZNS1_14partition_implILS5_6ELb0ES3_mN6thrust23THRUST_200600_302600_NS6detail15normal_iteratorINSA_10device_ptrIsEEEEPS6_SG_NS0_5tupleIJNSA_16discard_iteratorINSA_11use_defaultEEES6_EEENSH_IJSG_SG_EEES6_PlJNSB_9not_fun_tI7is_trueIsEEEEEE10hipError_tPvRmT3_T4_T5_T6_T7_T9_mT8_P12ihipStream_tbDpT10_ENKUlT_T0_E_clISt17integral_constantIbLb0EES1A_IbLb1EEEEDaS16_S17_EUlS16_E_NS1_11comp_targetILNS1_3genE2ELNS1_11target_archE906ELNS1_3gpuE6ELNS1_3repE0EEENS1_30default_config_static_selectorELNS0_4arch9wavefront6targetE0EEEvT1_.has_indirect_call, 0
	.section	.AMDGPU.csdata,"",@progbits
; Kernel info:
; codeLenInByte = 0
; TotalNumSgprs: 0
; NumVgprs: 0
; ScratchSize: 0
; MemoryBound: 0
; FloatMode: 240
; IeeeMode: 1
; LDSByteSize: 0 bytes/workgroup (compile time only)
; SGPRBlocks: 0
; VGPRBlocks: 0
; NumSGPRsForWavesPerEU: 1
; NumVGPRsForWavesPerEU: 1
; Occupancy: 16
; WaveLimiterHint : 0
; COMPUTE_PGM_RSRC2:SCRATCH_EN: 0
; COMPUTE_PGM_RSRC2:USER_SGPR: 2
; COMPUTE_PGM_RSRC2:TRAP_HANDLER: 0
; COMPUTE_PGM_RSRC2:TGID_X_EN: 1
; COMPUTE_PGM_RSRC2:TGID_Y_EN: 0
; COMPUTE_PGM_RSRC2:TGID_Z_EN: 0
; COMPUTE_PGM_RSRC2:TIDIG_COMP_CNT: 0
	.section	.text._ZN7rocprim17ROCPRIM_400000_NS6detail17trampoline_kernelINS0_14default_configENS1_25partition_config_selectorILNS1_17partition_subalgoE6EsNS0_10empty_typeEbEEZZNS1_14partition_implILS5_6ELb0ES3_mN6thrust23THRUST_200600_302600_NS6detail15normal_iteratorINSA_10device_ptrIsEEEEPS6_SG_NS0_5tupleIJNSA_16discard_iteratorINSA_11use_defaultEEES6_EEENSH_IJSG_SG_EEES6_PlJNSB_9not_fun_tI7is_trueIsEEEEEE10hipError_tPvRmT3_T4_T5_T6_T7_T9_mT8_P12ihipStream_tbDpT10_ENKUlT_T0_E_clISt17integral_constantIbLb0EES1A_IbLb1EEEEDaS16_S17_EUlS16_E_NS1_11comp_targetILNS1_3genE10ELNS1_11target_archE1200ELNS1_3gpuE4ELNS1_3repE0EEENS1_30default_config_static_selectorELNS0_4arch9wavefront6targetE0EEEvT1_,"axG",@progbits,_ZN7rocprim17ROCPRIM_400000_NS6detail17trampoline_kernelINS0_14default_configENS1_25partition_config_selectorILNS1_17partition_subalgoE6EsNS0_10empty_typeEbEEZZNS1_14partition_implILS5_6ELb0ES3_mN6thrust23THRUST_200600_302600_NS6detail15normal_iteratorINSA_10device_ptrIsEEEEPS6_SG_NS0_5tupleIJNSA_16discard_iteratorINSA_11use_defaultEEES6_EEENSH_IJSG_SG_EEES6_PlJNSB_9not_fun_tI7is_trueIsEEEEEE10hipError_tPvRmT3_T4_T5_T6_T7_T9_mT8_P12ihipStream_tbDpT10_ENKUlT_T0_E_clISt17integral_constantIbLb0EES1A_IbLb1EEEEDaS16_S17_EUlS16_E_NS1_11comp_targetILNS1_3genE10ELNS1_11target_archE1200ELNS1_3gpuE4ELNS1_3repE0EEENS1_30default_config_static_selectorELNS0_4arch9wavefront6targetE0EEEvT1_,comdat
	.protected	_ZN7rocprim17ROCPRIM_400000_NS6detail17trampoline_kernelINS0_14default_configENS1_25partition_config_selectorILNS1_17partition_subalgoE6EsNS0_10empty_typeEbEEZZNS1_14partition_implILS5_6ELb0ES3_mN6thrust23THRUST_200600_302600_NS6detail15normal_iteratorINSA_10device_ptrIsEEEEPS6_SG_NS0_5tupleIJNSA_16discard_iteratorINSA_11use_defaultEEES6_EEENSH_IJSG_SG_EEES6_PlJNSB_9not_fun_tI7is_trueIsEEEEEE10hipError_tPvRmT3_T4_T5_T6_T7_T9_mT8_P12ihipStream_tbDpT10_ENKUlT_T0_E_clISt17integral_constantIbLb0EES1A_IbLb1EEEEDaS16_S17_EUlS16_E_NS1_11comp_targetILNS1_3genE10ELNS1_11target_archE1200ELNS1_3gpuE4ELNS1_3repE0EEENS1_30default_config_static_selectorELNS0_4arch9wavefront6targetE0EEEvT1_ ; -- Begin function _ZN7rocprim17ROCPRIM_400000_NS6detail17trampoline_kernelINS0_14default_configENS1_25partition_config_selectorILNS1_17partition_subalgoE6EsNS0_10empty_typeEbEEZZNS1_14partition_implILS5_6ELb0ES3_mN6thrust23THRUST_200600_302600_NS6detail15normal_iteratorINSA_10device_ptrIsEEEEPS6_SG_NS0_5tupleIJNSA_16discard_iteratorINSA_11use_defaultEEES6_EEENSH_IJSG_SG_EEES6_PlJNSB_9not_fun_tI7is_trueIsEEEEEE10hipError_tPvRmT3_T4_T5_T6_T7_T9_mT8_P12ihipStream_tbDpT10_ENKUlT_T0_E_clISt17integral_constantIbLb0EES1A_IbLb1EEEEDaS16_S17_EUlS16_E_NS1_11comp_targetILNS1_3genE10ELNS1_11target_archE1200ELNS1_3gpuE4ELNS1_3repE0EEENS1_30default_config_static_selectorELNS0_4arch9wavefront6targetE0EEEvT1_
	.globl	_ZN7rocprim17ROCPRIM_400000_NS6detail17trampoline_kernelINS0_14default_configENS1_25partition_config_selectorILNS1_17partition_subalgoE6EsNS0_10empty_typeEbEEZZNS1_14partition_implILS5_6ELb0ES3_mN6thrust23THRUST_200600_302600_NS6detail15normal_iteratorINSA_10device_ptrIsEEEEPS6_SG_NS0_5tupleIJNSA_16discard_iteratorINSA_11use_defaultEEES6_EEENSH_IJSG_SG_EEES6_PlJNSB_9not_fun_tI7is_trueIsEEEEEE10hipError_tPvRmT3_T4_T5_T6_T7_T9_mT8_P12ihipStream_tbDpT10_ENKUlT_T0_E_clISt17integral_constantIbLb0EES1A_IbLb1EEEEDaS16_S17_EUlS16_E_NS1_11comp_targetILNS1_3genE10ELNS1_11target_archE1200ELNS1_3gpuE4ELNS1_3repE0EEENS1_30default_config_static_selectorELNS0_4arch9wavefront6targetE0EEEvT1_
	.p2align	8
	.type	_ZN7rocprim17ROCPRIM_400000_NS6detail17trampoline_kernelINS0_14default_configENS1_25partition_config_selectorILNS1_17partition_subalgoE6EsNS0_10empty_typeEbEEZZNS1_14partition_implILS5_6ELb0ES3_mN6thrust23THRUST_200600_302600_NS6detail15normal_iteratorINSA_10device_ptrIsEEEEPS6_SG_NS0_5tupleIJNSA_16discard_iteratorINSA_11use_defaultEEES6_EEENSH_IJSG_SG_EEES6_PlJNSB_9not_fun_tI7is_trueIsEEEEEE10hipError_tPvRmT3_T4_T5_T6_T7_T9_mT8_P12ihipStream_tbDpT10_ENKUlT_T0_E_clISt17integral_constantIbLb0EES1A_IbLb1EEEEDaS16_S17_EUlS16_E_NS1_11comp_targetILNS1_3genE10ELNS1_11target_archE1200ELNS1_3gpuE4ELNS1_3repE0EEENS1_30default_config_static_selectorELNS0_4arch9wavefront6targetE0EEEvT1_,@function
_ZN7rocprim17ROCPRIM_400000_NS6detail17trampoline_kernelINS0_14default_configENS1_25partition_config_selectorILNS1_17partition_subalgoE6EsNS0_10empty_typeEbEEZZNS1_14partition_implILS5_6ELb0ES3_mN6thrust23THRUST_200600_302600_NS6detail15normal_iteratorINSA_10device_ptrIsEEEEPS6_SG_NS0_5tupleIJNSA_16discard_iteratorINSA_11use_defaultEEES6_EEENSH_IJSG_SG_EEES6_PlJNSB_9not_fun_tI7is_trueIsEEEEEE10hipError_tPvRmT3_T4_T5_T6_T7_T9_mT8_P12ihipStream_tbDpT10_ENKUlT_T0_E_clISt17integral_constantIbLb0EES1A_IbLb1EEEEDaS16_S17_EUlS16_E_NS1_11comp_targetILNS1_3genE10ELNS1_11target_archE1200ELNS1_3gpuE4ELNS1_3repE0EEENS1_30default_config_static_selectorELNS0_4arch9wavefront6targetE0EEEvT1_: ; @_ZN7rocprim17ROCPRIM_400000_NS6detail17trampoline_kernelINS0_14default_configENS1_25partition_config_selectorILNS1_17partition_subalgoE6EsNS0_10empty_typeEbEEZZNS1_14partition_implILS5_6ELb0ES3_mN6thrust23THRUST_200600_302600_NS6detail15normal_iteratorINSA_10device_ptrIsEEEEPS6_SG_NS0_5tupleIJNSA_16discard_iteratorINSA_11use_defaultEEES6_EEENSH_IJSG_SG_EEES6_PlJNSB_9not_fun_tI7is_trueIsEEEEEE10hipError_tPvRmT3_T4_T5_T6_T7_T9_mT8_P12ihipStream_tbDpT10_ENKUlT_T0_E_clISt17integral_constantIbLb0EES1A_IbLb1EEEEDaS16_S17_EUlS16_E_NS1_11comp_targetILNS1_3genE10ELNS1_11target_archE1200ELNS1_3gpuE4ELNS1_3repE0EEENS1_30default_config_static_selectorELNS0_4arch9wavefront6targetE0EEEvT1_
; %bb.0:
	s_clause 0x2
	s_load_b64 s[8:9], s[0:1], 0x58
	s_load_b128 s[20:23], s[0:1], 0x48
	s_load_b64 s[18:19], s[0:1], 0x68
	v_cmp_eq_u32_e64 s2, 0, v0
	s_and_saveexec_b32 s3, s2
	s_cbranch_execz .LBB2330_4
; %bb.1:
	s_mov_b32 s5, exec_lo
	s_mov_b32 s4, exec_lo
	v_mbcnt_lo_u32_b32 v1, s5, 0
                                        ; implicit-def: $vgpr2
	s_delay_alu instid0(VALU_DEP_1)
	v_cmpx_eq_u32_e32 0, v1
	s_cbranch_execz .LBB2330_3
; %bb.2:
	s_load_b64 s[6:7], s[0:1], 0x78
	s_bcnt1_i32_b32 s5, s5
	s_wait_alu 0xfffe
	v_dual_mov_b32 v2, 0 :: v_dual_mov_b32 v3, s5
	s_wait_kmcnt 0x0
	global_atomic_add_u32 v2, v2, v3, s[6:7] th:TH_ATOMIC_RETURN scope:SCOPE_DEV
.LBB2330_3:
	s_or_b32 exec_lo, exec_lo, s4
	s_wait_loadcnt 0x0
	v_readfirstlane_b32 s4, v2
	s_wait_alu 0xf1ff
	s_delay_alu instid0(VALU_DEP_1)
	v_dual_mov_b32 v2, 0 :: v_dual_add_nc_u32 v1, s4, v1
	ds_store_b32 v2, v1
.LBB2330_4:
	s_or_b32 exec_lo, exec_lo, s3
	v_dual_mov_b32 v2, 0 :: v_dual_lshlrev_b32 v19, 1, v0
	s_clause 0x1
	s_load_b128 s[4:7], s[0:1], 0x8
	s_load_b32 s0, s[0:1], 0x70
	s_wait_dscnt 0x0
	s_barrier_signal -1
	s_barrier_wait -1
	global_inv scope:SCOPE_SE
	ds_load_b32 v3, v2
	s_wait_loadcnt_dscnt 0x0
	s_barrier_signal -1
	s_barrier_wait -1
	global_inv scope:SCOPE_SE
	s_wait_kmcnt 0x0
	global_load_b64 v[17:18], v2, s[22:23]
	s_mov_b32 s1, 0
	s_lshl_b64 s[10:11], s[6:7], 1
	s_add_co_i32 s3, s0, -1
	s_mulk_i32 s0, 0x1b00
	s_delay_alu instid0(SALU_CYCLE_1)
	s_add_co_i32 s12, s0, s6
	s_add_nc_u64 s[0:1], s[6:7], s[0:1]
	v_mul_lo_u32 v1, 0x1b00, v3
	v_readfirstlane_b32 s23, v3
	v_cmp_gt_u64_e64 s6, s[8:9], s[0:1]
	v_cmp_ne_u32_e32 vcc_lo, s3, v3
	s_sub_co_i32 s25, s8, s12
	s_add_nc_u64 s[0:1], s[4:5], s[10:11]
	s_cmp_eq_u32 s23, s3
	v_lshlrev_b64_e32 v[1:2], 1, v[1:2]
	s_cselect_b32 s22, -1, 0
	s_or_b32 s10, s6, vcc_lo
	s_wait_alu 0xfffe
	s_delay_alu instid0(VALU_DEP_1) | instskip(NEXT) | instid1(VALU_DEP_1)
	v_add_co_u32 v20, vcc_lo, s0, v1
	v_add_co_ci_u32_e64 v21, null, s1, v2, vcc_lo
	s_and_b32 vcc_lo, exec_lo, s10
	s_mov_b32 s0, -1
	s_wait_alu 0xfffe
	s_cbranch_vccz .LBB2330_6
; %bb.5:
	v_add_co_u32 v1, vcc_lo, v20, v19
	s_wait_alu 0xfffd
	v_add_co_ci_u32_e64 v2, null, 0, v21, vcc_lo
	s_mov_b32 s0, 0
	s_clause 0x11
	flat_load_u16 v3, v[1:2]
	flat_load_u16 v4, v[1:2] offset:768
	flat_load_u16 v5, v[1:2] offset:1536
	;; [unrolled: 1-line block ×17, first 2 shown]
	s_wait_loadcnt_dscnt 0x1111
	ds_store_b16 v19, v3
	s_wait_loadcnt_dscnt 0x1011
	ds_store_b16 v19, v4 offset:768
	s_wait_loadcnt_dscnt 0xf11
	ds_store_b16 v19, v5 offset:1536
	;; [unrolled: 2-line block ×17, first 2 shown]
	s_wait_dscnt 0x0
	s_barrier_signal -1
	s_barrier_wait -1
.LBB2330_6:
	s_wait_alu 0xfffe
	s_and_not1_b32 vcc_lo, exec_lo, s0
	s_addk_co_i32 s25, 0x1b00
	s_wait_alu 0xfffe
	s_cbranch_vccnz .LBB2330_44
; %bb.7:
	v_mov_b32_e32 v1, 0
	s_mov_b32 s0, exec_lo
	s_delay_alu instid0(VALU_DEP_1)
	v_dual_mov_b32 v2, v1 :: v_dual_mov_b32 v3, v1
	v_dual_mov_b32 v4, v1 :: v_dual_mov_b32 v5, v1
	;; [unrolled: 1-line block ×4, first 2 shown]
	v_cmpx_gt_u32_e64 s25, v0
	s_cbranch_execz .LBB2330_9
; %bb.8:
	v_add_co_u32 v3, vcc_lo, v20, v19
	s_wait_alu 0xfffd
	v_add_co_ci_u32_e64 v4, null, 0, v21, vcc_lo
	v_mov_b32_e32 v2, v1
	v_dual_mov_b32 v6, v1 :: v_dual_mov_b32 v7, v1
	v_dual_mov_b32 v5, v1 :: v_dual_mov_b32 v8, v1
	v_mov_b32_e32 v9, v1
	flat_load_d16_b16 v2, v[3:4]
	v_dual_mov_b32 v3, v1 :: v_dual_mov_b32 v4, v1
	v_mov_b32_e32 v10, v1
	s_wait_loadcnt_dscnt 0x0
	v_mov_b32_e32 v1, v2
	s_delay_alu instid0(VALU_DEP_3)
	v_mov_b32_e32 v2, v3
	v_mov_b32_e32 v3, v4
	;; [unrolled: 1-line block ×15, first 2 shown]
.LBB2330_9:
	s_wait_alu 0xfffe
	s_or_b32 exec_lo, exec_lo, s0
	v_add_nc_u32_e32 v10, 0x180, v0
	s_mov_b32 s0, exec_lo
	s_delay_alu instid0(VALU_DEP_1)
	v_cmpx_gt_u32_e64 s25, v10
	s_cbranch_execz .LBB2330_11
; %bb.10:
	v_add_co_u32 v10, vcc_lo, v20, v19
	s_wait_alu 0xfffd
	v_add_co_ci_u32_e64 v11, null, 0, v21, vcc_lo
	flat_load_d16_hi_b16 v1, v[10:11] offset:768
.LBB2330_11:
	s_wait_alu 0xfffe
	s_or_b32 exec_lo, exec_lo, s0
	v_add_nc_u32_e32 v10, 0x300, v0
	s_mov_b32 s0, exec_lo
	s_delay_alu instid0(VALU_DEP_1)
	v_cmpx_gt_u32_e64 s25, v10
	s_cbranch_execz .LBB2330_13
; %bb.12:
	v_add_co_u32 v10, vcc_lo, v20, v19
	s_wait_alu 0xfffd
	v_add_co_ci_u32_e64 v11, null, 0, v21, vcc_lo
	flat_load_d16_b16 v2, v[10:11] offset:1536
.LBB2330_13:
	s_wait_alu 0xfffe
	s_or_b32 exec_lo, exec_lo, s0
	v_add_nc_u32_e32 v10, 0x480, v0
	s_mov_b32 s0, exec_lo
	s_delay_alu instid0(VALU_DEP_1)
	v_cmpx_gt_u32_e64 s25, v10
	s_cbranch_execz .LBB2330_15
; %bb.14:
	v_add_co_u32 v10, vcc_lo, v20, v19
	s_wait_alu 0xfffd
	v_add_co_ci_u32_e64 v11, null, 0, v21, vcc_lo
	s_wait_loadcnt_dscnt 0x0
	flat_load_d16_hi_b16 v2, v[10:11] offset:2304
.LBB2330_15:
	s_wait_alu 0xfffe
	s_or_b32 exec_lo, exec_lo, s0
	v_or_b32_e32 v10, 0x600, v0
	s_mov_b32 s0, exec_lo
	s_delay_alu instid0(VALU_DEP_1)
	v_cmpx_gt_u32_e64 s25, v10
	s_cbranch_execz .LBB2330_17
; %bb.16:
	v_add_co_u32 v10, vcc_lo, v20, v19
	s_wait_alu 0xfffd
	v_add_co_ci_u32_e64 v11, null, 0, v21, vcc_lo
	flat_load_d16_b16 v3, v[10:11] offset:3072
.LBB2330_17:
	s_wait_alu 0xfffe
	s_or_b32 exec_lo, exec_lo, s0
	v_add_nc_u32_e32 v10, 0x780, v0
	s_mov_b32 s0, exec_lo
	s_delay_alu instid0(VALU_DEP_1)
	v_cmpx_gt_u32_e64 s25, v10
	s_cbranch_execz .LBB2330_19
; %bb.18:
	v_add_co_u32 v10, vcc_lo, v20, v19
	s_wait_alu 0xfffd
	v_add_co_ci_u32_e64 v11, null, 0, v21, vcc_lo
	s_wait_loadcnt_dscnt 0x0
	flat_load_d16_hi_b16 v3, v[10:11] offset:3840
.LBB2330_19:
	s_wait_alu 0xfffe
	s_or_b32 exec_lo, exec_lo, s0
	v_add_nc_u32_e32 v10, 0x900, v0
	s_mov_b32 s0, exec_lo
	s_delay_alu instid0(VALU_DEP_1)
	v_cmpx_gt_u32_e64 s25, v10
	s_cbranch_execz .LBB2330_21
; %bb.20:
	v_add_co_u32 v10, vcc_lo, v20, v19
	s_wait_alu 0xfffd
	v_add_co_ci_u32_e64 v11, null, 0, v21, vcc_lo
	flat_load_d16_b16 v4, v[10:11] offset:4608
.LBB2330_21:
	s_wait_alu 0xfffe
	s_or_b32 exec_lo, exec_lo, s0
	v_add_nc_u32_e32 v10, 0xa80, v0
	s_mov_b32 s0, exec_lo
	s_delay_alu instid0(VALU_DEP_1)
	v_cmpx_gt_u32_e64 s25, v10
	s_cbranch_execz .LBB2330_23
; %bb.22:
	v_add_co_u32 v10, vcc_lo, v20, v19
	s_wait_alu 0xfffd
	v_add_co_ci_u32_e64 v11, null, 0, v21, vcc_lo
	s_wait_loadcnt_dscnt 0x0
	flat_load_d16_hi_b16 v4, v[10:11] offset:5376
.LBB2330_23:
	s_wait_alu 0xfffe
	s_or_b32 exec_lo, exec_lo, s0
	v_or_b32_e32 v10, 0xc00, v0
	s_mov_b32 s0, exec_lo
	s_delay_alu instid0(VALU_DEP_1)
	v_cmpx_gt_u32_e64 s25, v10
	s_cbranch_execz .LBB2330_25
; %bb.24:
	v_add_co_u32 v10, vcc_lo, v20, v19
	s_wait_alu 0xfffd
	v_add_co_ci_u32_e64 v11, null, 0, v21, vcc_lo
	flat_load_d16_b16 v5, v[10:11] offset:6144
.LBB2330_25:
	s_wait_alu 0xfffe
	s_or_b32 exec_lo, exec_lo, s0
	v_add_nc_u32_e32 v10, 0xd80, v0
	s_mov_b32 s0, exec_lo
	s_delay_alu instid0(VALU_DEP_1)
	v_cmpx_gt_u32_e64 s25, v10
	s_cbranch_execz .LBB2330_27
; %bb.26:
	v_add_co_u32 v10, vcc_lo, v20, v19
	s_wait_alu 0xfffd
	v_add_co_ci_u32_e64 v11, null, 0, v21, vcc_lo
	s_wait_loadcnt_dscnt 0x0
	flat_load_d16_hi_b16 v5, v[10:11] offset:6912
.LBB2330_27:
	;; [unrolled: 54-line block ×4, first 2 shown]
	s_wait_alu 0xfffe
	s_or_b32 exec_lo, exec_lo, s0
	s_wait_loadcnt_dscnt 0x0
	ds_store_b16 v19, v1
	ds_store_b16_d16_hi v19, v1 offset:768
	ds_store_b16 v19, v2 offset:1536
	ds_store_b16_d16_hi v19, v2 offset:2304
	ds_store_b16 v19, v3 offset:3072
	;; [unrolled: 2-line block ×8, first 2 shown]
	ds_store_b16_d16_hi v19, v9 offset:13056
	s_wait_dscnt 0x0
	s_barrier_signal -1
	s_barrier_wait -1
.LBB2330_44:
	v_mul_u32_u24_e32 v1, 18, v0
	s_wait_loadcnt 0x0
	global_inv scope:SCOPE_SE
	s_and_not1_b32 vcc_lo, exec_lo, s10
	v_lshlrev_b32_e32 v2, 1, v1
	ds_load_2addr_b32 v[9:10], v2 offset0:7 offset1:8
	ds_load_b32 v28, v2
	ds_load_2addr_b32 v[15:16], v2 offset0:1 offset1:2
	ds_load_2addr_b32 v[13:14], v2 offset0:3 offset1:4
	;; [unrolled: 1-line block ×3, first 2 shown]
	s_wait_loadcnt_dscnt 0x0
	s_barrier_signal -1
	s_barrier_wait -1
	global_inv scope:SCOPE_SE
	v_alignbit_b32 v27, v10, v9, 16
	v_lshrrev_b32_e32 v10, 16, v10
	v_cmp_eq_u16_e64 s7, 0, v28
	v_lshrrev_b32_e32 v19, 16, v28
	v_cmp_eq_u16_e64 s8, 0, v15
	;; [unrolled: 2-line block ×8, first 2 shown]
	v_cmp_eq_u16_e64 s9, 0, v27
	v_lshrrev_b32_e32 v2, 16, v27
	v_cmp_eq_u16_e64 s24, 0, v10
	s_wait_alu 0xfffe
	s_cbranch_vccnz .LBB2330_46
; %bb.45:
	v_cmp_eq_u16_e32 vcc_lo, 0, v19
	s_wait_alu 0xf1ff
	v_cndmask_b32_e64 v29, 0, 1, s9
	v_cndmask_b32_e64 v30, 0, 1, s7
	;; [unrolled: 1-line block ×4, first 2 shown]
	s_wait_alu 0xfffd
	v_cndmask_b32_e64 v20, 0, 1, vcc_lo
	v_cmp_eq_u16_e32 vcc_lo, 0, v8
	v_lshlrev_b16 v29, 8, v29
	v_cndmask_b32_e64 v33, 0, 1, s1
	v_cndmask_b32_e64 v34, 0, 1, s0
	v_lshlrev_b16 v20, 8, v20
	s_wait_alu 0xfffd
	v_cndmask_b32_e64 v21, 0, 1, vcc_lo
	v_cmp_eq_u16_e32 vcc_lo, 0, v7
	v_or_b32_e32 v29, v34, v29
	v_lshrrev_b32_e32 v20, 8, v20
	s_delay_alu instid0(VALU_DEP_4)
	v_lshlrev_b16 v21, 8, v21
	s_wait_alu 0xfffd
	v_cndmask_b32_e64 v22, 0, 1, vcc_lo
	v_cmp_eq_u16_e32 vcc_lo, 0, v6
	v_lshlrev_b16 v20, 8, v20
	v_lshrrev_b32_e32 v21, 8, v21
	s_delay_alu instid0(VALU_DEP_4)
	v_lshlrev_b16 v22, 8, v22
	s_wait_alu 0xfffd
	v_cndmask_b32_e64 v23, 0, 1, vcc_lo
	v_cmp_eq_u16_e32 vcc_lo, 0, v5
	v_or_b32_e32 v20, v30, v20
	v_lshlrev_b16 v21, 8, v21
	v_lshrrev_b32_e32 v22, 8, v22
	v_lshlrev_b16 v23, 8, v23
	s_wait_alu 0xfffd
	v_cndmask_b32_e64 v24, 0, 1, vcc_lo
	v_cmp_eq_u16_e32 vcc_lo, 0, v3
	v_or_b32_e32 v21, v32, v21
	v_lshlrev_b16 v22, 8, v22
	v_cndmask_b32_e64 v30, 0, 1, s3
	v_lshlrev_b16 v24, 8, v24
	s_wait_alu 0xfffd
	v_cndmask_b32_e64 v25, 0, 1, vcc_lo
	v_cmp_eq_u16_e32 vcc_lo, 0, v4
	v_or_b32_e32 v22, v31, v22
	v_cndmask_b32_e64 v31, 0, 1, s4
	v_lshrrev_b32_e32 v24, 8, v24
	v_lshlrev_b16 v25, 8, v25
	s_wait_alu 0xfffd
	v_cndmask_b32_e64 v26, 0, 1, vcc_lo
	v_cndmask_b32_e64 v32, 0, 1, s5
	v_or_b32_e32 v23, v30, v23
	v_lshlrev_b16 v24, 8, v24
	v_lshrrev_b32_e32 v25, 8, v25
	v_lshlrev_b16 v26, 8, v26
	v_and_b32_e32 v20, 0xffff, v20
	v_lshlrev_b32_e32 v22, 16, v22
	v_or_b32_e32 v24, v31, v24
	v_lshlrev_b16 v25, 8, v25
	v_lshrrev_b32_e32 v26, 8, v26
	v_and_b32_e32 v21, 0xffff, v21
	v_lshlrev_b32_e32 v23, 16, v23
	v_and_b32_e32 v24, 0xffff, v24
	v_or_b32_e32 v25, v32, v25
	v_lshlrev_b16 v26, 8, v26
	v_lshlrev_b32_e32 v30, 16, v29
	v_cmp_eq_u16_e32 vcc_lo, 0, v2
	v_or_b32_e32 v44, v20, v22
	v_lshlrev_b32_e32 v25, 16, v25
	v_or_b32_e32 v26, v33, v26
	v_or_b32_e32 v38, v21, v23
	s_wait_alu 0xfffd
	v_cndmask_b32_e64 v29, 0, 1, vcc_lo
	v_or_b32_e32 v32, v24, v25
	v_and_b32_e32 v26, 0xffff, v26
	s_delay_alu instid0(VALU_DEP_1)
	v_or_b32_e32 v30, v26, v30
	s_cbranch_execz .LBB2330_47
	s_branch .LBB2330_48
.LBB2330_46:
                                        ; implicit-def: $sgpr24
                                        ; implicit-def: $vgpr29
                                        ; implicit-def: $vgpr30
                                        ; implicit-def: $vgpr32
                                        ; implicit-def: $vgpr38
                                        ; implicit-def: $vgpr44
.LBB2330_47:
	v_or_b32_e32 v20, 1, v1
	v_cmp_eq_u16_e32 vcc_lo, 0, v19
	v_add_nc_u32_e32 v22, 3, v1
	v_add_nc_u32_e32 v21, 5, v1
	;; [unrolled: 1-line block ×3, first 2 shown]
	v_cmp_gt_u32_e64 s3, s25, v20
	v_add_nc_u32_e32 v20, 2, v1
	v_cmp_gt_u32_e64 s5, s25, v22
	v_cmp_gt_u32_e64 s7, s25, v21
	v_add_nc_u32_e32 v21, 9, v1
	s_and_b32 s3, s3, vcc_lo
	v_cmp_eq_u16_e32 vcc_lo, 0, v7
	s_wait_alu 0xfffe
	v_cndmask_b32_e64 v23, 0, 1, s3
	v_cmp_eq_u16_e64 s3, 0, v8
	v_cmp_gt_u32_e64 s8, s25, v20
	v_cmp_gt_u32_e64 s9, s25, v21
	s_and_b32 s5, s5, vcc_lo
	v_cmp_gt_u32_e32 vcc_lo, s25, v19
	v_add_nc_u32_e32 v19, 7, v1
	s_and_b32 s3, s7, s3
	s_wait_alu 0xfffe
	v_cndmask_b32_e64 v8, 0, 1, s5
	v_cndmask_b32_e64 v20, 0, 1, s3
	v_cmp_eq_u16_e64 s3, 0, v6
	v_cmp_gt_u32_e64 s5, s25, v19
	v_cmp_eq_u16_e64 s7, 0, v5
	v_add_nc_u32_e32 v19, 8, v1
	v_lshlrev_b16 v7, 8, v23
	v_add_nc_u32_e32 v23, 13, v1
	s_and_b32 s3, s5, s3
	s_and_b32 s5, s9, s7
	v_cmp_gt_u32_e64 s9, s25, v19
	s_wait_alu 0xfffe
	v_cndmask_b32_e64 v21, 0, 1, s5
	v_cmp_eq_u16_e64 s10, 0, v3
	v_lshlrev_b16 v6, 8, v20
	v_add_nc_u32_e32 v20, 6, v1
	v_cmp_eq_u16_e64 s11, 0, v4
	v_lshlrev_b16 v19, 8, v21
	v_add_nc_u32_e32 v21, 11, v1
	v_cmp_gt_u32_e64 s15, s25, v23
	v_cmp_gt_u32_e64 s7, s25, v20
	v_add_nc_u32_e32 v20, 12, v1
	v_add_nc_u32_e32 v4, 15, v1
	v_cmp_gt_u32_e64 s12, s25, v21
	v_lshlrev_b16 v8, 8, v8
	v_cmp_eq_u16_e64 s0, 0, v28
	v_cmp_gt_u32_e64 s1, s25, v1
	v_cmp_eq_u16_e64 s4, 0, v15
	s_and_b32 s10, s12, s10
	v_cmp_gt_u32_e64 s12, s25, v4
	v_cndmask_b32_e64 v3, 0, 1, s10
	s_and_b32 s10, s15, s11
	v_cmp_eq_u16_e64 s11, 0, v27
	s_wait_alu 0xfffe
	v_cndmask_b32_e64 v21, 0, 1, s10
	v_cmp_gt_u32_e64 s10, s25, v20
	v_add_nc_u32_e32 v20, 16, v1
	v_lshrrev_b32_e32 v7, 8, v7
	v_lshrrev_b32_e32 v8, 8, v8
	v_lshlrev_b16 v4, 8, v21
	v_add_nc_u32_e32 v21, 14, v1
	s_and_b32 s0, s1, s0
	v_add_nc_u32_e32 v22, 10, v1
	s_and_b32 s11, s12, s11
	v_cmp_gt_u32_e64 s12, s25, v20
	s_wait_alu 0xfffe
	v_cndmask_b32_e64 v20, 0, 1, s0
	s_and_b32 s0, s8, s4
	v_cmp_gt_u32_e64 s15, s25, v21
	v_lshlrev_b16 v7, 8, v7
	v_lshlrev_b16 v8, 8, v8
	s_wait_alu 0xfffe
	v_cndmask_b32_e64 v21, 0, 1, s0
	v_cndmask_b32_e64 v5, 0, 1, s3
	v_cmp_eq_u16_e64 s3, 0, v13
	v_cmp_gt_u32_e64 s16, s25, v22
	v_cndmask_b32_e64 v22, 0, 1, s11
	v_cmp_eq_u16_e64 s6, 0, v16
	v_cmp_eq_u16_e64 s5, 0, v14
	v_add_nc_u32_e32 v1, 17, v1
	v_or_b32_e32 v7, v20, v7
	v_or_b32_e32 v8, v21, v8
	v_lshrrev_b32_e32 v6, 8, v6
	v_cmp_eq_u16_e64 s13, 0, v11
	v_lshlrev_b16 v5, 8, v5
	v_lshlrev_b16 v3, 8, v3
	v_cmp_eq_u16_e64 s11, 0, v2
	v_lshlrev_b16 v2, 8, v22
	s_and_b32 s1, s7, s3
	v_cmp_eq_u16_e64 s14, 0, v12
	s_and_b32 s0, vcc_lo, s6
	v_cmp_gt_u32_e32 vcc_lo, s25, v1
	v_and_b32_e32 v1, 0xffff, v7
	v_lshlrev_b32_e32 v7, 16, v8
	v_lshrrev_b32_e32 v8, 8, v19
	s_wait_alu 0xfffe
	v_cndmask_b32_e64 v19, 0, 1, s1
	s_and_b32 s1, s9, s5
	v_cmp_eq_u16_e64 s17, 0, v9
	v_lshlrev_b16 v6, 8, v6
	v_cndmask_b32_e64 v22, 0, 1, s0
	s_wait_alu 0xfffe
	v_cndmask_b32_e64 v20, 0, 1, s1
	s_and_b32 s1, s16, s13
	v_lshrrev_b32_e32 v5, 8, v5
	v_lshrrev_b32_e32 v2, 8, v2
	;; [unrolled: 1-line block ×4, first 2 shown]
	s_wait_alu 0xfffe
	v_cndmask_b32_e64 v21, 0, 1, s1
	s_and_b32 s1, s10, s14
	v_or_b32_e32 v6, v22, v6
	s_wait_alu 0xfffe
	v_cndmask_b32_e64 v22, 0, 1, s1
	s_and_b32 s1, s15, s17
	v_lshlrev_b16 v5, 8, v5
	v_lshlrev_b16 v8, 8, v8
	;; [unrolled: 1-line block ×5, first 2 shown]
	s_wait_alu 0xfffe
	v_cndmask_b32_e64 v23, 0, 1, s1
	v_or_b32_e32 v5, v19, v5
	v_or_b32_e32 v8, v20, v8
	v_or_b32_e32 v3, v21, v3
	v_or_b32_e32 v4, v22, v4
	v_or_b32_e32 v2, v23, v2
	v_cmp_eq_u16_e64 s0, 0, v10
	v_and_b32_e32 v6, 0xffff, v6
	v_lshlrev_b32_e32 v5, 16, v5
	v_and_b32_e32 v8, 0xffff, v8
	v_lshlrev_b32_e32 v3, 16, v3
	;; [unrolled: 2-line block ×3, first 2 shown]
	s_and_b32 s11, s12, s11
	s_and_b32 s0, vcc_lo, s0
	s_wait_alu 0xfffe
	v_cndmask_b32_e64 v29, 0, 1, s11
	v_or_b32_e32 v44, v1, v7
	v_or_b32_e32 v38, v6, v5
	;; [unrolled: 1-line block ×4, first 2 shown]
	s_and_not1_b32 s1, s24, exec_lo
	s_and_b32 s0, s0, exec_lo
	s_wait_alu 0xfffe
	s_or_b32 s24, s1, s0
.LBB2330_48:
	v_dual_mov_b32 v2, 0 :: v_dual_and_b32 v49, 0xff, v44
	v_bfe_u32 v47, v44, 8, 8
	s_wait_alu 0xfffe
	v_cndmask_b32_e64 v1, 0, 1, s24
	v_bfe_u32 v50, v44, 16, 8
	v_lshrrev_b32_e32 v48, 24, v44
	v_and_b32_e32 v46, 0xff, v38
	v_bfe_u32 v45, v38, 8, 8
	v_add3_u32 v1, v49, v1, v47
	v_bfe_u32 v43, v38, 16, 8
	v_lshrrev_b32_e32 v42, 24, v38
	v_and_b32_e32 v41, 0xff, v32
	v_bfe_u32 v40, v32, 8, 8
	v_add_co_u32 v1, s0, v1, v50
	s_wait_alu 0xf1ff
	v_add_co_ci_u32_e64 v3, null, 0, 0, s0
	v_bfe_u32 v39, v32, 16, 8
	s_delay_alu instid0(VALU_DEP_3) | instskip(SKIP_1) | instid1(VALU_DEP_3)
	v_add_co_u32 v1, vcc_lo, v1, v48
	s_wait_alu 0xfffd
	v_add_co_ci_u32_e64 v3, null, 0, v3, vcc_lo
	v_lshrrev_b32_e32 v37, 24, v32
	s_delay_alu instid0(VALU_DEP_3) | instskip(SKIP_1) | instid1(VALU_DEP_3)
	v_add_co_u32 v1, vcc_lo, v1, v46
	s_wait_alu 0xfffd
	v_add_co_ci_u32_e64 v3, null, 0, v3, vcc_lo
	v_and_b32_e32 v36, 0xff, v30
	s_delay_alu instid0(VALU_DEP_3) | instskip(SKIP_1) | instid1(VALU_DEP_3)
	v_add_co_u32 v1, vcc_lo, v1, v45
	s_wait_alu 0xfffd
	v_add_co_ci_u32_e64 v3, null, 0, v3, vcc_lo
	v_bfe_u32 v35, v30, 8, 8
	s_delay_alu instid0(VALU_DEP_3) | instskip(SKIP_1) | instid1(VALU_DEP_3)
	v_add_co_u32 v1, vcc_lo, v1, v43
	s_wait_alu 0xfffd
	v_add_co_ci_u32_e64 v3, null, 0, v3, vcc_lo
	v_bfe_u32 v34, v30, 16, 8
	s_delay_alu instid0(VALU_DEP_3) | instskip(SKIP_1) | instid1(VALU_DEP_3)
	v_add_co_u32 v1, vcc_lo, v1, v42
	s_wait_alu 0xfffd
	v_add_co_ci_u32_e64 v3, null, 0, v3, vcc_lo
	v_lshrrev_b32_e32 v33, 24, v30
	s_delay_alu instid0(VALU_DEP_3) | instskip(SKIP_1) | instid1(VALU_DEP_3)
	v_add_co_u32 v1, vcc_lo, v1, v41
	s_wait_alu 0xfffd
	v_add_co_ci_u32_e64 v3, null, 0, v3, vcc_lo
	v_mbcnt_lo_u32_b32 v51, -1, 0
	s_delay_alu instid0(VALU_DEP_3) | instskip(SKIP_1) | instid1(VALU_DEP_3)
	v_add_co_u32 v1, vcc_lo, v1, v40
	s_wait_alu 0xfffd
	v_add_co_ci_u32_e64 v3, null, 0, v3, vcc_lo
	v_and_b32_e32 v31, 0xff, v29
	s_delay_alu instid0(VALU_DEP_3) | instskip(SKIP_1) | instid1(VALU_DEP_3)
	v_add_co_u32 v1, vcc_lo, v1, v39
	s_wait_alu 0xfffd
	v_add_co_ci_u32_e64 v3, null, 0, v3, vcc_lo
	v_and_b32_e32 v52, 15, v51
	s_delay_alu instid0(VALU_DEP_3) | instskip(SKIP_1) | instid1(VALU_DEP_3)
	v_add_co_u32 v1, vcc_lo, v1, v37
	s_wait_alu 0xfffd
	v_add_co_ci_u32_e64 v3, null, 0, v3, vcc_lo
	s_delay_alu instid0(VALU_DEP_3) | instskip(NEXT) | instid1(VALU_DEP_3)
	v_cmp_ne_u32_e64 s0, 0, v52
	v_add_co_u32 v1, vcc_lo, v1, v36
	s_wait_alu 0xfffd
	s_delay_alu instid0(VALU_DEP_3)
	v_add_co_ci_u32_e64 v3, null, 0, v3, vcc_lo
	s_cmp_lg_u32 s23, 0
	v_add_co_u32 v1, vcc_lo, v1, v35
	s_wait_alu 0xfffd
	v_add_co_ci_u32_e64 v3, null, 0, v3, vcc_lo
	s_mov_b32 s1, -1
	v_add_co_u32 v1, vcc_lo, v1, v34
	s_wait_alu 0xfffd
	v_add_co_ci_u32_e64 v3, null, 0, v3, vcc_lo
	s_delay_alu instid0(VALU_DEP_2) | instskip(SKIP_1) | instid1(VALU_DEP_2)
	v_add_co_u32 v1, vcc_lo, v1, v33
	s_wait_alu 0xfffd
	v_add_co_ci_u32_e64 v3, null, 0, v3, vcc_lo
	s_delay_alu instid0(VALU_DEP_2) | instskip(SKIP_1) | instid1(VALU_DEP_2)
	v_add_co_u32 v19, vcc_lo, v1, v31
	s_wait_alu 0xfffd
	v_add_co_ci_u32_e64 v20, null, 0, v3, vcc_lo
	s_cbranch_scc0 .LBB2330_107
; %bb.49:
	v_mov_b32_e32 v3, v19
	v_mov_b32_dpp v1, v19 row_shr:1 row_mask:0xf bank_mask:0xf
	v_mov_b32_dpp v6, v2 row_shr:1 row_mask:0xf bank_mask:0xf
	v_dual_mov_b32 v5, v19 :: v_dual_mov_b32 v4, v20
	s_and_saveexec_b32 s1, s0
; %bb.50:
	s_delay_alu instid0(VALU_DEP_3) | instskip(SKIP_2) | instid1(VALU_DEP_2)
	v_add_co_u32 v5, vcc_lo, v19, v1
	s_wait_alu 0xfffd
	v_add_co_ci_u32_e64 v2, null, 0, v20, vcc_lo
	v_add_co_u32 v1, vcc_lo, 0, v5
	s_wait_alu 0xfffd
	s_delay_alu instid0(VALU_DEP_2) | instskip(NEXT) | instid1(VALU_DEP_1)
	v_add_co_ci_u32_e64 v2, null, v6, v2, vcc_lo
	v_dual_mov_b32 v4, v2 :: v_dual_mov_b32 v3, v1
; %bb.51:
	s_wait_alu 0xfffe
	s_or_b32 exec_lo, exec_lo, s1
	v_mov_b32_dpp v1, v5 row_shr:2 row_mask:0xf bank_mask:0xf
	v_mov_b32_dpp v6, v2 row_shr:2 row_mask:0xf bank_mask:0xf
	v_cmp_lt_u32_e32 vcc_lo, 1, v52
	s_and_saveexec_b32 s3, vcc_lo
; %bb.52:
	s_delay_alu instid0(VALU_DEP_3) | instskip(SKIP_2) | instid1(VALU_DEP_2)
	v_add_co_u32 v5, s1, v3, v1
	s_wait_alu 0xf1ff
	v_add_co_ci_u32_e64 v2, null, 0, v4, s1
	v_add_co_u32 v1, s1, 0, v5
	s_wait_alu 0xf1ff
	s_delay_alu instid0(VALU_DEP_2) | instskip(NEXT) | instid1(VALU_DEP_1)
	v_add_co_ci_u32_e64 v2, null, v6, v2, s1
	v_dual_mov_b32 v4, v2 :: v_dual_mov_b32 v3, v1
; %bb.53:
	s_wait_alu 0xfffe
	s_or_b32 exec_lo, exec_lo, s3
	v_mov_b32_dpp v1, v5 row_shr:4 row_mask:0xf bank_mask:0xf
	v_mov_b32_dpp v6, v2 row_shr:4 row_mask:0xf bank_mask:0xf
	v_cmp_lt_u32_e64 s1, 3, v52
	s_and_saveexec_b32 s4, s1
; %bb.54:
	v_add_co_u32 v5, s3, v3, v1
	s_wait_alu 0xf1ff
	v_add_co_ci_u32_e64 v2, null, 0, v4, s3
	s_delay_alu instid0(VALU_DEP_2) | instskip(SKIP_1) | instid1(VALU_DEP_2)
	v_add_co_u32 v1, s3, 0, v5
	s_wait_alu 0xf1ff
	v_add_co_ci_u32_e64 v2, null, v6, v2, s3
	s_delay_alu instid0(VALU_DEP_1)
	v_dual_mov_b32 v4, v2 :: v_dual_mov_b32 v3, v1
; %bb.55:
	s_wait_alu 0xfffe
	s_or_b32 exec_lo, exec_lo, s4
	v_mov_b32_dpp v6, v5 row_shr:8 row_mask:0xf bank_mask:0xf
	v_mov_b32_dpp v1, v2 row_shr:8 row_mask:0xf bank_mask:0xf
	v_cmp_lt_u32_e64 s3, 7, v52
	s_and_saveexec_b32 s5, s3
; %bb.56:
	v_add_co_u32 v5, s4, v3, v6
	s_wait_alu 0xf1ff
	v_add_co_ci_u32_e64 v2, null, 0, v4, s4
	s_delay_alu instid0(VALU_DEP_2) | instskip(SKIP_1) | instid1(VALU_DEP_2)
	v_add_co_u32 v3, s4, 0, v5
	s_wait_alu 0xf1ff
	v_add_co_ci_u32_e64 v4, null, v1, v2, s4
	s_delay_alu instid0(VALU_DEP_1)
	v_mov_b32_e32 v2, v4
; %bb.57:
	s_wait_alu 0xfffe
	s_or_b32 exec_lo, exec_lo, s5
	ds_swizzle_b32 v6, v5 offset:swizzle(BROADCAST,32,15)
	ds_swizzle_b32 v1, v2 offset:swizzle(BROADCAST,32,15)
	v_and_b32_e32 v2, 16, v51
	s_mov_b32 s5, exec_lo
	s_delay_alu instid0(VALU_DEP_1)
	v_cmpx_ne_u32_e32 0, v2
	s_cbranch_execz .LBB2330_59
; %bb.58:
	s_wait_dscnt 0x1
	v_add_co_u32 v5, s4, v3, v6
	s_wait_alu 0xf1ff
	v_add_co_ci_u32_e64 v2, null, 0, v4, s4
	s_delay_alu instid0(VALU_DEP_2) | instskip(SKIP_2) | instid1(VALU_DEP_2)
	v_add_co_u32 v3, s4, 0, v5
	s_wait_dscnt 0x0
	s_wait_alu 0xf1ff
	v_add_co_ci_u32_e64 v4, null, v1, v2, s4
.LBB2330_59:
	s_wait_alu 0xfffe
	s_or_b32 exec_lo, exec_lo, s5
	s_wait_dscnt 0x0
	v_and_b32_e32 v1, 0x1e0, v0
	v_lshrrev_b32_e32 v6, 5, v0
	s_mov_b32 s5, exec_lo
	s_delay_alu instid0(VALU_DEP_2) | instskip(NEXT) | instid1(VALU_DEP_1)
	v_min_u32_e32 v1, 0x160, v1
	v_or_b32_e32 v1, 31, v1
	s_delay_alu instid0(VALU_DEP_1)
	v_cmpx_eq_u32_e64 v0, v1
; %bb.60:
	v_lshlrev_b32_e32 v1, 3, v6
	ds_store_b64 v1, v[3:4]
; %bb.61:
	s_wait_alu 0xfffe
	s_or_b32 exec_lo, exec_lo, s5
	s_delay_alu instid0(SALU_CYCLE_1)
	s_mov_b32 s5, exec_lo
	s_wait_loadcnt_dscnt 0x0
	s_barrier_signal -1
	s_barrier_wait -1
	global_inv scope:SCOPE_SE
	v_cmpx_gt_u32_e32 12, v0
	s_cbranch_execz .LBB2330_71
; %bb.62:
	v_lshlrev_b32_e32 v3, 3, v0
	ds_load_b64 v[1:2], v3
	s_wait_dscnt 0x0
	v_mov_b32_dpp v8, v1 row_shr:1 row_mask:0xf bank_mask:0xf
	v_mov_b32_dpp v7, v2 row_shr:1 row_mask:0xf bank_mask:0xf
	v_mov_b32_e32 v4, v1
	s_and_saveexec_b32 s6, s0
; %bb.63:
	s_delay_alu instid0(VALU_DEP_3) | instskip(SKIP_2) | instid1(VALU_DEP_2)
	v_add_co_u32 v4, s4, v1, v8
	s_wait_alu 0xf1ff
	v_add_co_ci_u32_e64 v2, null, 0, v2, s4
	v_add_co_u32 v1, s4, 0, v4
	s_wait_alu 0xf1ff
	s_delay_alu instid0(VALU_DEP_2)
	v_add_co_ci_u32_e64 v2, null, v7, v2, s4
; %bb.64:
	s_wait_alu 0xfffe
	s_or_b32 exec_lo, exec_lo, s6
	v_mov_b32_dpp v8, v4 row_shr:2 row_mask:0xf bank_mask:0xf
	s_delay_alu instid0(VALU_DEP_2)
	v_mov_b32_dpp v7, v2 row_shr:2 row_mask:0xf bank_mask:0xf
	s_and_saveexec_b32 s4, vcc_lo
; %bb.65:
	s_delay_alu instid0(VALU_DEP_2) | instskip(SKIP_2) | instid1(VALU_DEP_2)
	v_add_co_u32 v4, vcc_lo, v1, v8
	s_wait_alu 0xfffd
	v_add_co_ci_u32_e64 v2, null, 0, v2, vcc_lo
	v_add_co_u32 v1, vcc_lo, 0, v4
	s_wait_alu 0xfffd
	s_delay_alu instid0(VALU_DEP_2)
	v_add_co_ci_u32_e64 v2, null, v7, v2, vcc_lo
; %bb.66:
	s_wait_alu 0xfffe
	s_or_b32 exec_lo, exec_lo, s4
	v_mov_b32_dpp v8, v4 row_shr:4 row_mask:0xf bank_mask:0xf
	s_delay_alu instid0(VALU_DEP_2)
	v_mov_b32_dpp v7, v2 row_shr:4 row_mask:0xf bank_mask:0xf
	s_and_saveexec_b32 s4, s1
; %bb.67:
	s_delay_alu instid0(VALU_DEP_2) | instskip(SKIP_2) | instid1(VALU_DEP_2)
	v_add_co_u32 v4, vcc_lo, v1, v8
	s_wait_alu 0xfffd
	v_add_co_ci_u32_e64 v2, null, 0, v2, vcc_lo
	v_add_co_u32 v1, vcc_lo, 0, v4
	s_wait_alu 0xfffd
	s_delay_alu instid0(VALU_DEP_2)
	v_add_co_ci_u32_e64 v2, null, v7, v2, vcc_lo
; %bb.68:
	s_wait_alu 0xfffe
	s_or_b32 exec_lo, exec_lo, s4
	v_mov_b32_dpp v7, v4 row_shr:8 row_mask:0xf bank_mask:0xf
	s_delay_alu instid0(VALU_DEP_2)
	v_mov_b32_dpp v4, v2 row_shr:8 row_mask:0xf bank_mask:0xf
	s_and_saveexec_b32 s1, s3
; %bb.69:
	s_delay_alu instid0(VALU_DEP_2) | instskip(SKIP_2) | instid1(VALU_DEP_2)
	v_add_co_u32 v1, vcc_lo, v1, v7
	s_wait_alu 0xfffd
	v_add_co_ci_u32_e64 v2, null, 0, v2, vcc_lo
	v_add_co_u32 v1, vcc_lo, v1, 0
	s_wait_alu 0xfffd
	s_delay_alu instid0(VALU_DEP_2)
	v_add_co_ci_u32_e64 v2, null, v2, v4, vcc_lo
; %bb.70:
	s_wait_alu 0xfffe
	s_or_b32 exec_lo, exec_lo, s1
	ds_store_b64 v3, v[1:2]
.LBB2330_71:
	s_wait_alu 0xfffe
	s_or_b32 exec_lo, exec_lo, s5
	s_delay_alu instid0(SALU_CYCLE_1)
	s_mov_b32 s3, exec_lo
	v_cmp_gt_u32_e32 vcc_lo, 32, v0
	s_wait_loadcnt_dscnt 0x0
	s_barrier_signal -1
	s_barrier_wait -1
	global_inv scope:SCOPE_SE
                                        ; implicit-def: $vgpr21_vgpr22
	v_cmpx_lt_u32_e32 31, v0
	s_cbranch_execz .LBB2330_73
; %bb.72:
	v_lshl_add_u32 v1, v6, 3, -8
	ds_load_b64 v[21:22], v1
	s_wait_dscnt 0x0
	v_add_nc_u32_e32 v5, v5, v21
.LBB2330_73:
	s_wait_alu 0xfffe
	s_or_b32 exec_lo, exec_lo, s3
	v_sub_co_u32 v1, s1, v51, 1
	s_delay_alu instid0(VALU_DEP_1) | instskip(SKIP_1) | instid1(VALU_DEP_1)
	v_cmp_gt_i32_e64 s3, 0, v1
	s_wait_alu 0xf1ff
	v_cndmask_b32_e64 v1, v1, v51, s3
	s_delay_alu instid0(VALU_DEP_1)
	v_lshlrev_b32_e32 v1, 2, v1
	ds_bpermute_b32 v53, v1, v5
	s_and_saveexec_b32 s3, vcc_lo
	s_cbranch_execz .LBB2330_112
; %bb.74:
	v_mov_b32_e32 v4, 0
	ds_load_b64 v[1:2], v4 offset:88
	s_and_saveexec_b32 s4, s1
	s_cbranch_execz .LBB2330_76
; %bb.75:
	s_add_co_i32 s6, s23, 32
	s_mov_b32 s7, 0
	s_wait_alu 0xfffe
	s_lshl_b64 s[6:7], s[6:7], 4
	s_wait_alu 0xfffe
	s_add_nc_u64 s[6:7], s[18:19], s[6:7]
	v_mov_b32_e32 v3, 1
	s_wait_alu 0xfffe
	v_dual_mov_b32 v5, s6 :: v_dual_mov_b32 v6, s7
	s_wait_dscnt 0x0
	;;#ASMSTART
	global_store_b128 v[5:6], v[1:4] off scope:SCOPE_DEV	
s_wait_storecnt 0x0
	;;#ASMEND
.LBB2330_76:
	s_wait_alu 0xfffe
	s_or_b32 exec_lo, exec_lo, s4
	v_xad_u32 v23, v51, -1, s23
	s_mov_b32 s5, 0
	s_mov_b32 s4, exec_lo
	s_delay_alu instid0(VALU_DEP_1) | instskip(NEXT) | instid1(VALU_DEP_1)
	v_add_nc_u32_e32 v3, 32, v23
	v_lshlrev_b64_e32 v[3:4], 4, v[3:4]
	s_delay_alu instid0(VALU_DEP_1) | instskip(SKIP_1) | instid1(VALU_DEP_2)
	v_add_co_u32 v3, vcc_lo, s18, v3
	s_wait_alu 0xfffd
	v_add_co_ci_u32_e64 v4, null, s19, v4, vcc_lo
	;;#ASMSTART
	global_load_b128 v[5:8], v[3:4] off scope:SCOPE_DEV	
s_wait_loadcnt 0x0
	;;#ASMEND
	v_and_b32_e32 v8, 0xff, v7
	s_delay_alu instid0(VALU_DEP_1)
	v_cmpx_eq_u16_e32 0, v8
	s_cbranch_execz .LBB2330_79
.LBB2330_77:                            ; =>This Inner Loop Header: Depth=1
	;;#ASMSTART
	global_load_b128 v[5:8], v[3:4] off scope:SCOPE_DEV	
s_wait_loadcnt 0x0
	;;#ASMEND
	v_and_b32_e32 v8, 0xff, v7
	s_delay_alu instid0(VALU_DEP_1)
	v_cmp_ne_u16_e32 vcc_lo, 0, v8
	s_wait_alu 0xfffe
	s_or_b32 s5, vcc_lo, s5
	s_wait_alu 0xfffe
	s_and_not1_b32 exec_lo, exec_lo, s5
	s_cbranch_execnz .LBB2330_77
; %bb.78:
	s_or_b32 exec_lo, exec_lo, s5
.LBB2330_79:
	s_wait_alu 0xfffe
	s_or_b32 exec_lo, exec_lo, s4
	v_cmp_ne_u32_e32 vcc_lo, 31, v51
	v_and_b32_e32 v4, 0xff, v7
	v_lshlrev_b32_e64 v55, v51, -1
	s_mov_b32 s4, exec_lo
	s_wait_alu 0xfffd
	v_add_co_ci_u32_e64 v3, null, 0, v51, vcc_lo
	v_cmp_eq_u16_e32 vcc_lo, 2, v4
	v_mov_b32_e32 v4, v5
	s_delay_alu instid0(VALU_DEP_3)
	v_lshlrev_b32_e32 v54, 2, v3
	s_wait_alu 0xfffd
	v_and_or_b32 v3, vcc_lo, v55, 0x80000000
	ds_bpermute_b32 v24, v54, v5
	ds_bpermute_b32 v8, v54, v6
	v_ctz_i32_b32_e32 v3, v3
	s_delay_alu instid0(VALU_DEP_1)
	v_cmpx_lt_u32_e64 v51, v3
	s_cbranch_execz .LBB2330_81
; %bb.80:
	s_wait_dscnt 0x1
	v_add_co_u32 v4, vcc_lo, v5, v24
	s_wait_alu 0xfffd
	v_add_co_ci_u32_e64 v6, null, 0, v6, vcc_lo
	s_delay_alu instid0(VALU_DEP_2) | instskip(SKIP_2) | instid1(VALU_DEP_2)
	v_add_co_u32 v5, vcc_lo, 0, v4
	s_wait_dscnt 0x0
	s_wait_alu 0xfffd
	v_add_co_ci_u32_e64 v6, null, v8, v6, vcc_lo
.LBB2330_81:
	s_wait_alu 0xfffe
	s_or_b32 exec_lo, exec_lo, s4
	v_cmp_gt_u32_e32 vcc_lo, 30, v51
	v_add_nc_u32_e32 v57, 2, v51
	s_mov_b32 s4, exec_lo
	s_wait_dscnt 0x0
	s_wait_alu 0xfffd
	v_cndmask_b32_e64 v8, 0, 2, vcc_lo
	s_delay_alu instid0(VALU_DEP_1)
	v_add_lshl_u32 v56, v8, v51, 2
	ds_bpermute_b32 v24, v56, v4
	ds_bpermute_b32 v8, v56, v6
	v_cmpx_le_u32_e64 v57, v3
	s_cbranch_execz .LBB2330_83
; %bb.82:
	s_wait_dscnt 0x1
	v_add_co_u32 v4, vcc_lo, v5, v24
	s_wait_alu 0xfffd
	v_add_co_ci_u32_e64 v6, null, 0, v6, vcc_lo
	s_delay_alu instid0(VALU_DEP_2) | instskip(SKIP_2) | instid1(VALU_DEP_2)
	v_add_co_u32 v5, vcc_lo, 0, v4
	s_wait_dscnt 0x0
	s_wait_alu 0xfffd
	v_add_co_ci_u32_e64 v6, null, v8, v6, vcc_lo
.LBB2330_83:
	s_wait_alu 0xfffe
	s_or_b32 exec_lo, exec_lo, s4
	v_cmp_gt_u32_e32 vcc_lo, 28, v51
	v_add_nc_u32_e32 v59, 4, v51
	s_mov_b32 s4, exec_lo
	s_wait_dscnt 0x0
	s_wait_alu 0xfffd
	v_cndmask_b32_e64 v8, 0, 4, vcc_lo
	s_delay_alu instid0(VALU_DEP_1)
	v_add_lshl_u32 v58, v8, v51, 2
	ds_bpermute_b32 v24, v58, v4
	ds_bpermute_b32 v8, v58, v6
	v_cmpx_le_u32_e64 v59, v3
	;; [unrolled: 25-line block ×3, first 2 shown]
	s_cbranch_execz .LBB2330_87
; %bb.86:
	s_wait_dscnt 0x1
	v_add_co_u32 v4, vcc_lo, v5, v24
	s_wait_alu 0xfffd
	v_add_co_ci_u32_e64 v6, null, 0, v6, vcc_lo
	s_delay_alu instid0(VALU_DEP_2) | instskip(SKIP_2) | instid1(VALU_DEP_2)
	v_add_co_u32 v5, vcc_lo, 0, v4
	s_wait_dscnt 0x0
	s_wait_alu 0xfffd
	v_add_co_ci_u32_e64 v6, null, v8, v6, vcc_lo
.LBB2330_87:
	s_wait_alu 0xfffe
	s_or_b32 exec_lo, exec_lo, s4
	v_lshl_or_b32 v62, v51, 2, 64
	v_add_nc_u32_e32 v63, 16, v51
	s_mov_b32 s4, exec_lo
	s_wait_dscnt 0x0
	ds_bpermute_b32 v8, v62, v4
	ds_bpermute_b32 v4, v62, v6
	v_cmpx_le_u32_e64 v63, v3
	s_cbranch_execz .LBB2330_89
; %bb.88:
	s_wait_dscnt 0x1
	v_add_co_u32 v3, vcc_lo, v5, v8
	s_wait_alu 0xfffd
	v_add_co_ci_u32_e64 v6, null, 0, v6, vcc_lo
	s_delay_alu instid0(VALU_DEP_2) | instskip(SKIP_2) | instid1(VALU_DEP_2)
	v_add_co_u32 v5, vcc_lo, v3, 0
	s_wait_dscnt 0x0
	s_wait_alu 0xfffd
	v_add_co_ci_u32_e64 v6, null, v6, v4, vcc_lo
.LBB2330_89:
	s_wait_alu 0xfffe
	s_or_b32 exec_lo, exec_lo, s4
	v_mov_b32_e32 v24, 0
	s_branch .LBB2330_92
.LBB2330_90:                            ;   in Loop: Header=BB2330_92 Depth=1
	s_wait_alu 0xfffe
	s_or_b32 exec_lo, exec_lo, s4
	v_add_co_u32 v5, vcc_lo, v5, v3
	v_subrev_nc_u32_e32 v23, 32, v23
	s_wait_alu 0xfffd
	v_add_co_ci_u32_e64 v6, null, v6, v4, vcc_lo
	s_mov_b32 s4, 0
.LBB2330_91:                            ;   in Loop: Header=BB2330_92 Depth=1
	s_wait_alu 0xfffe
	s_and_b32 vcc_lo, exec_lo, s4
	s_wait_alu 0xfffe
	s_cbranch_vccnz .LBB2330_108
.LBB2330_92:                            ; =>This Loop Header: Depth=1
                                        ;     Child Loop BB2330_95 Depth 2
	v_and_b32_e32 v3, 0xff, v7
	s_mov_b32 s4, -1
	s_delay_alu instid0(VALU_DEP_1)
	v_cmp_ne_u16_e32 vcc_lo, 2, v3
	s_wait_dscnt 0x0
	v_dual_mov_b32 v3, v5 :: v_dual_mov_b32 v4, v6
                                        ; implicit-def: $vgpr5_vgpr6
	s_cmp_lg_u32 vcc_lo, exec_lo
	s_cbranch_scc1 .LBB2330_91
; %bb.93:                               ;   in Loop: Header=BB2330_92 Depth=1
	v_lshlrev_b64_e32 v[5:6], 4, v[23:24]
	s_mov_b32 s4, exec_lo
	s_delay_alu instid0(VALU_DEP_1) | instskip(SKIP_1) | instid1(VALU_DEP_2)
	v_add_co_u32 v25, vcc_lo, s18, v5
	s_wait_alu 0xfffd
	v_add_co_ci_u32_e64 v26, null, s19, v6, vcc_lo
	;;#ASMSTART
	global_load_b128 v[5:8], v[25:26] off scope:SCOPE_DEV	
s_wait_loadcnt 0x0
	;;#ASMEND
	v_and_b32_e32 v8, 0xff, v7
	s_delay_alu instid0(VALU_DEP_1)
	v_cmpx_eq_u16_e32 0, v8
	s_cbranch_execz .LBB2330_97
; %bb.94:                               ;   in Loop: Header=BB2330_92 Depth=1
	s_mov_b32 s5, 0
.LBB2330_95:                            ;   Parent Loop BB2330_92 Depth=1
                                        ; =>  This Inner Loop Header: Depth=2
	;;#ASMSTART
	global_load_b128 v[5:8], v[25:26] off scope:SCOPE_DEV	
s_wait_loadcnt 0x0
	;;#ASMEND
	v_and_b32_e32 v8, 0xff, v7
	s_delay_alu instid0(VALU_DEP_1)
	v_cmp_ne_u16_e32 vcc_lo, 0, v8
	s_wait_alu 0xfffe
	s_or_b32 s5, vcc_lo, s5
	s_wait_alu 0xfffe
	s_and_not1_b32 exec_lo, exec_lo, s5
	s_cbranch_execnz .LBB2330_95
; %bb.96:                               ;   in Loop: Header=BB2330_92 Depth=1
	s_or_b32 exec_lo, exec_lo, s5
.LBB2330_97:                            ;   in Loop: Header=BB2330_92 Depth=1
	s_wait_alu 0xfffe
	s_or_b32 exec_lo, exec_lo, s4
	v_dual_mov_b32 v25, v5 :: v_dual_and_b32 v8, 0xff, v7
	ds_bpermute_b32 v64, v54, v5
	ds_bpermute_b32 v26, v54, v6
	s_mov_b32 s4, exec_lo
	v_cmp_eq_u16_e32 vcc_lo, 2, v8
	s_wait_alu 0xfffd
	v_and_or_b32 v8, vcc_lo, v55, 0x80000000
	s_delay_alu instid0(VALU_DEP_1) | instskip(NEXT) | instid1(VALU_DEP_1)
	v_ctz_i32_b32_e32 v8, v8
	v_cmpx_lt_u32_e64 v51, v8
	s_cbranch_execz .LBB2330_99
; %bb.98:                               ;   in Loop: Header=BB2330_92 Depth=1
	s_wait_dscnt 0x1
	v_add_co_u32 v25, vcc_lo, v5, v64
	s_wait_alu 0xfffd
	v_add_co_ci_u32_e64 v6, null, 0, v6, vcc_lo
	s_delay_alu instid0(VALU_DEP_2) | instskip(SKIP_2) | instid1(VALU_DEP_2)
	v_add_co_u32 v5, vcc_lo, 0, v25
	s_wait_dscnt 0x0
	s_wait_alu 0xfffd
	v_add_co_ci_u32_e64 v6, null, v26, v6, vcc_lo
.LBB2330_99:                            ;   in Loop: Header=BB2330_92 Depth=1
	s_wait_alu 0xfffe
	s_or_b32 exec_lo, exec_lo, s4
	s_wait_dscnt 0x1
	ds_bpermute_b32 v64, v56, v25
	s_wait_dscnt 0x1
	ds_bpermute_b32 v26, v56, v6
	s_mov_b32 s4, exec_lo
	v_cmpx_le_u32_e64 v57, v8
	s_cbranch_execz .LBB2330_101
; %bb.100:                              ;   in Loop: Header=BB2330_92 Depth=1
	s_wait_dscnt 0x1
	v_add_co_u32 v25, vcc_lo, v5, v64
	s_wait_alu 0xfffd
	v_add_co_ci_u32_e64 v6, null, 0, v6, vcc_lo
	s_delay_alu instid0(VALU_DEP_2) | instskip(SKIP_2) | instid1(VALU_DEP_2)
	v_add_co_u32 v5, vcc_lo, 0, v25
	s_wait_dscnt 0x0
	s_wait_alu 0xfffd
	v_add_co_ci_u32_e64 v6, null, v26, v6, vcc_lo
.LBB2330_101:                           ;   in Loop: Header=BB2330_92 Depth=1
	s_wait_alu 0xfffe
	s_or_b32 exec_lo, exec_lo, s4
	s_wait_dscnt 0x1
	ds_bpermute_b32 v64, v58, v25
	s_wait_dscnt 0x1
	ds_bpermute_b32 v26, v58, v6
	s_mov_b32 s4, exec_lo
	v_cmpx_le_u32_e64 v59, v8
	s_cbranch_execz .LBB2330_103
; %bb.102:                              ;   in Loop: Header=BB2330_92 Depth=1
	s_wait_dscnt 0x1
	v_add_co_u32 v25, vcc_lo, v5, v64
	s_wait_alu 0xfffd
	v_add_co_ci_u32_e64 v6, null, 0, v6, vcc_lo
	s_delay_alu instid0(VALU_DEP_2) | instskip(SKIP_2) | instid1(VALU_DEP_2)
	v_add_co_u32 v5, vcc_lo, 0, v25
	s_wait_dscnt 0x0
	s_wait_alu 0xfffd
	v_add_co_ci_u32_e64 v6, null, v26, v6, vcc_lo
.LBB2330_103:                           ;   in Loop: Header=BB2330_92 Depth=1
	;; [unrolled: 20-line block ×3, first 2 shown]
	s_wait_alu 0xfffe
	s_or_b32 exec_lo, exec_lo, s4
	s_wait_dscnt 0x0
	ds_bpermute_b32 v26, v62, v25
	ds_bpermute_b32 v25, v62, v6
	s_mov_b32 s4, exec_lo
	v_cmpx_le_u32_e64 v63, v8
	s_cbranch_execz .LBB2330_90
; %bb.106:                              ;   in Loop: Header=BB2330_92 Depth=1
	s_wait_dscnt 0x1
	v_add_co_u32 v5, vcc_lo, v5, v26
	s_wait_alu 0xfffd
	v_add_co_ci_u32_e64 v6, null, 0, v6, vcc_lo
	s_delay_alu instid0(VALU_DEP_2) | instskip(SKIP_2) | instid1(VALU_DEP_2)
	v_add_co_u32 v5, vcc_lo, v5, 0
	s_wait_dscnt 0x0
	s_wait_alu 0xfffd
	v_add_co_ci_u32_e64 v6, null, v6, v25, vcc_lo
	s_branch .LBB2330_90
.LBB2330_107:
                                        ; implicit-def: $vgpr3_vgpr4
                                        ; implicit-def: $vgpr5_vgpr6
	s_wait_alu 0xfffe
	s_and_b32 vcc_lo, exec_lo, s1
	s_wait_alu 0xfffe
	s_cbranch_vccnz .LBB2330_113
	s_branch .LBB2330_140
.LBB2330_108:
	s_and_saveexec_b32 s4, s1
	s_cbranch_execz .LBB2330_110
; %bb.109:
	s_add_co_i32 s6, s23, 32
	s_mov_b32 s7, 0
	v_add_co_u32 v5, vcc_lo, v3, v1
	s_wait_alu 0xfffe
	s_lshl_b64 s[6:7], s[6:7], 4
	v_dual_mov_b32 v7, 2 :: v_dual_mov_b32 v8, 0
	s_wait_alu 0xfffe
	s_add_nc_u64 s[6:7], s[18:19], s[6:7]
	s_wait_alu 0xfffd
	v_add_co_ci_u32_e64 v6, null, v4, v2, vcc_lo
	s_wait_alu 0xfffe
	v_dual_mov_b32 v24, s7 :: v_dual_mov_b32 v23, s6
	;;#ASMSTART
	global_store_b128 v[23:24], v[5:8] off scope:SCOPE_DEV	
s_wait_storecnt 0x0
	;;#ASMEND
	ds_store_b128 v8, v[1:4] offset:13824
.LBB2330_110:
	s_wait_alu 0xfffe
	s_or_b32 exec_lo, exec_lo, s4
	s_delay_alu instid0(SALU_CYCLE_1)
	s_and_b32 exec_lo, exec_lo, s2
; %bb.111:
	v_mov_b32_e32 v1, 0
	ds_store_b64 v1, v[3:4] offset:88
.LBB2330_112:
	s_wait_alu 0xfffe
	s_or_b32 exec_lo, exec_lo, s3
	v_mov_b32_e32 v1, 0
	s_wait_loadcnt_dscnt 0x0
	s_barrier_signal -1
	s_barrier_wait -1
	global_inv scope:SCOPE_SE
	ds_load_b64 v[5:6], v1 offset:88
	s_wait_loadcnt_dscnt 0x0
	s_barrier_signal -1
	s_barrier_wait -1
	global_inv scope:SCOPE_SE
	ds_load_b128 v[1:4], v1 offset:13824
	v_cndmask_b32_e64 v7, v53, v21, s1
	v_cndmask_b32_e64 v8, 0, v22, s1
	s_delay_alu instid0(VALU_DEP_2) | instskip(NEXT) | instid1(VALU_DEP_2)
	v_cndmask_b32_e64 v7, v7, 0, s2
	v_cndmask_b32_e64 v8, v8, 0, s2
	s_delay_alu instid0(VALU_DEP_2) | instskip(SKIP_1) | instid1(VALU_DEP_2)
	v_add_co_u32 v5, vcc_lo, v5, v7
	s_wait_alu 0xfffd
	v_add_co_ci_u32_e64 v6, null, v6, v8, vcc_lo
	s_branch .LBB2330_140
.LBB2330_113:
	s_wait_dscnt 0x0
	v_dual_mov_b32 v2, 0 :: v_dual_mov_b32 v3, v19
	v_mov_b32_dpp v4, v19 row_shr:1 row_mask:0xf bank_mask:0xf
	s_delay_alu instid0(VALU_DEP_2)
	v_mov_b32_dpp v1, v2 row_shr:1 row_mask:0xf bank_mask:0xf
	s_and_saveexec_b32 s1, s0
; %bb.114:
	s_delay_alu instid0(VALU_DEP_2) | instskip(SKIP_2) | instid1(VALU_DEP_2)
	v_add_co_u32 v3, vcc_lo, v19, v4
	s_wait_alu 0xfffd
	v_add_co_ci_u32_e64 v2, null, 0, v20, vcc_lo
	v_add_co_u32 v19, vcc_lo, 0, v3
	s_wait_alu 0xfffd
	s_delay_alu instid0(VALU_DEP_2) | instskip(NEXT) | instid1(VALU_DEP_1)
	v_add_co_ci_u32_e64 v20, null, v1, v2, vcc_lo
	v_mov_b32_e32 v2, v20
; %bb.115:
	s_wait_alu 0xfffe
	s_or_b32 exec_lo, exec_lo, s1
	v_mov_b32_dpp v1, v3 row_shr:2 row_mask:0xf bank_mask:0xf
	s_delay_alu instid0(VALU_DEP_2)
	v_mov_b32_dpp v4, v2 row_shr:2 row_mask:0xf bank_mask:0xf
	v_cmp_lt_u32_e32 vcc_lo, 1, v52
	s_and_saveexec_b32 s3, vcc_lo
; %bb.116:
	s_delay_alu instid0(VALU_DEP_3) | instskip(SKIP_2) | instid1(VALU_DEP_2)
	v_add_co_u32 v3, s1, v19, v1
	s_wait_alu 0xf1ff
	v_add_co_ci_u32_e64 v2, null, 0, v20, s1
	v_add_co_u32 v1, s1, 0, v3
	s_wait_alu 0xf1ff
	s_delay_alu instid0(VALU_DEP_2) | instskip(NEXT) | instid1(VALU_DEP_1)
	v_add_co_ci_u32_e64 v2, null, v4, v2, s1
	v_dual_mov_b32 v20, v2 :: v_dual_mov_b32 v19, v1
; %bb.117:
	s_wait_alu 0xfffe
	s_or_b32 exec_lo, exec_lo, s3
	v_mov_b32_dpp v1, v3 row_shr:4 row_mask:0xf bank_mask:0xf
	v_mov_b32_dpp v4, v2 row_shr:4 row_mask:0xf bank_mask:0xf
	v_cmp_lt_u32_e64 s1, 3, v52
	s_and_saveexec_b32 s4, s1
; %bb.118:
	v_add_co_u32 v3, s3, v19, v1
	s_wait_alu 0xf1ff
	v_add_co_ci_u32_e64 v2, null, 0, v20, s3
	s_delay_alu instid0(VALU_DEP_2) | instskip(SKIP_1) | instid1(VALU_DEP_2)
	v_add_co_u32 v1, s3, 0, v3
	s_wait_alu 0xf1ff
	v_add_co_ci_u32_e64 v2, null, v4, v2, s3
	s_delay_alu instid0(VALU_DEP_1)
	v_dual_mov_b32 v20, v2 :: v_dual_mov_b32 v19, v1
; %bb.119:
	s_wait_alu 0xfffe
	s_or_b32 exec_lo, exec_lo, s4
	v_mov_b32_dpp v4, v3 row_shr:8 row_mask:0xf bank_mask:0xf
	v_mov_b32_dpp v1, v2 row_shr:8 row_mask:0xf bank_mask:0xf
	v_cmp_lt_u32_e64 s3, 7, v52
	s_and_saveexec_b32 s5, s3
; %bb.120:
	v_add_co_u32 v3, s4, v19, v4
	s_wait_alu 0xf1ff
	v_add_co_ci_u32_e64 v2, null, 0, v20, s4
	s_delay_alu instid0(VALU_DEP_2) | instskip(SKIP_1) | instid1(VALU_DEP_2)
	v_add_co_u32 v19, s4, 0, v3
	s_wait_alu 0xf1ff
	v_add_co_ci_u32_e64 v20, null, v1, v2, s4
	s_delay_alu instid0(VALU_DEP_1)
	v_mov_b32_e32 v2, v20
; %bb.121:
	s_wait_alu 0xfffe
	s_or_b32 exec_lo, exec_lo, s5
	ds_swizzle_b32 v3, v3 offset:swizzle(BROADCAST,32,15)
	ds_swizzle_b32 v1, v2 offset:swizzle(BROADCAST,32,15)
	v_and_b32_e32 v2, 16, v51
	s_mov_b32 s5, exec_lo
	s_delay_alu instid0(VALU_DEP_1)
	v_cmpx_ne_u32_e32 0, v2
	s_cbranch_execz .LBB2330_123
; %bb.122:
	s_wait_dscnt 0x1
	v_add_co_u32 v2, s4, v19, v3
	s_wait_alu 0xf1ff
	v_add_co_ci_u32_e64 v3, null, 0, v20, s4
	s_delay_alu instid0(VALU_DEP_2) | instskip(SKIP_2) | instid1(VALU_DEP_2)
	v_add_co_u32 v19, s4, v2, 0
	s_wait_dscnt 0x0
	s_wait_alu 0xf1ff
	v_add_co_ci_u32_e64 v20, null, v3, v1, s4
.LBB2330_123:
	s_wait_alu 0xfffe
	s_or_b32 exec_lo, exec_lo, s5
	s_wait_dscnt 0x0
	v_and_b32_e32 v1, 0x1e0, v0
	v_lshrrev_b32_e32 v3, 5, v0
	s_mov_b32 s5, exec_lo
	s_delay_alu instid0(VALU_DEP_2) | instskip(NEXT) | instid1(VALU_DEP_1)
	v_min_u32_e32 v1, 0x160, v1
	v_or_b32_e32 v1, 31, v1
	s_delay_alu instid0(VALU_DEP_1)
	v_cmpx_eq_u32_e64 v0, v1
; %bb.124:
	v_lshlrev_b32_e32 v1, 3, v3
	ds_store_b64 v1, v[19:20]
; %bb.125:
	s_wait_alu 0xfffe
	s_or_b32 exec_lo, exec_lo, s5
	s_delay_alu instid0(SALU_CYCLE_1)
	s_mov_b32 s5, exec_lo
	s_wait_loadcnt_dscnt 0x0
	s_barrier_signal -1
	s_barrier_wait -1
	global_inv scope:SCOPE_SE
	v_cmpx_gt_u32_e32 12, v0
	s_cbranch_execz .LBB2330_135
; %bb.126:
	v_lshlrev_b32_e32 v4, 3, v0
	ds_load_b64 v[1:2], v4
	s_wait_dscnt 0x0
	v_mov_b32_dpp v7, v1 row_shr:1 row_mask:0xf bank_mask:0xf
	v_mov_b32_dpp v6, v2 row_shr:1 row_mask:0xf bank_mask:0xf
	v_mov_b32_e32 v5, v1
	s_and_saveexec_b32 s4, s0
; %bb.127:
	s_delay_alu instid0(VALU_DEP_3) | instskip(SKIP_2) | instid1(VALU_DEP_2)
	v_add_co_u32 v5, s0, v1, v7
	s_wait_alu 0xf1ff
	v_add_co_ci_u32_e64 v2, null, 0, v2, s0
	v_add_co_u32 v1, s0, 0, v5
	s_wait_alu 0xf1ff
	s_delay_alu instid0(VALU_DEP_2)
	v_add_co_ci_u32_e64 v2, null, v6, v2, s0
; %bb.128:
	s_wait_alu 0xfffe
	s_or_b32 exec_lo, exec_lo, s4
	v_mov_b32_dpp v7, v5 row_shr:2 row_mask:0xf bank_mask:0xf
	s_delay_alu instid0(VALU_DEP_2)
	v_mov_b32_dpp v6, v2 row_shr:2 row_mask:0xf bank_mask:0xf
	s_and_saveexec_b32 s0, vcc_lo
; %bb.129:
	s_delay_alu instid0(VALU_DEP_2) | instskip(SKIP_2) | instid1(VALU_DEP_2)
	v_add_co_u32 v5, vcc_lo, v1, v7
	s_wait_alu 0xfffd
	v_add_co_ci_u32_e64 v2, null, 0, v2, vcc_lo
	v_add_co_u32 v1, vcc_lo, 0, v5
	s_wait_alu 0xfffd
	s_delay_alu instid0(VALU_DEP_2)
	v_add_co_ci_u32_e64 v2, null, v6, v2, vcc_lo
; %bb.130:
	s_wait_alu 0xfffe
	s_or_b32 exec_lo, exec_lo, s0
	v_mov_b32_dpp v7, v5 row_shr:4 row_mask:0xf bank_mask:0xf
	s_delay_alu instid0(VALU_DEP_2)
	v_mov_b32_dpp v6, v2 row_shr:4 row_mask:0xf bank_mask:0xf
	s_and_saveexec_b32 s0, s1
; %bb.131:
	s_delay_alu instid0(VALU_DEP_2) | instskip(SKIP_2) | instid1(VALU_DEP_2)
	v_add_co_u32 v5, vcc_lo, v1, v7
	s_wait_alu 0xfffd
	v_add_co_ci_u32_e64 v2, null, 0, v2, vcc_lo
	v_add_co_u32 v1, vcc_lo, 0, v5
	s_wait_alu 0xfffd
	s_delay_alu instid0(VALU_DEP_2)
	v_add_co_ci_u32_e64 v2, null, v6, v2, vcc_lo
; %bb.132:
	s_wait_alu 0xfffe
	s_or_b32 exec_lo, exec_lo, s0
	v_mov_b32_dpp v6, v5 row_shr:8 row_mask:0xf bank_mask:0xf
	s_delay_alu instid0(VALU_DEP_2)
	v_mov_b32_dpp v5, v2 row_shr:8 row_mask:0xf bank_mask:0xf
	s_and_saveexec_b32 s0, s3
; %bb.133:
	s_delay_alu instid0(VALU_DEP_2) | instskip(SKIP_2) | instid1(VALU_DEP_2)
	v_add_co_u32 v1, vcc_lo, v1, v6
	s_wait_alu 0xfffd
	v_add_co_ci_u32_e64 v2, null, 0, v2, vcc_lo
	v_add_co_u32 v1, vcc_lo, v1, 0
	s_wait_alu 0xfffd
	s_delay_alu instid0(VALU_DEP_2)
	v_add_co_ci_u32_e64 v2, null, v2, v5, vcc_lo
; %bb.134:
	s_wait_alu 0xfffe
	s_or_b32 exec_lo, exec_lo, s0
	ds_store_b64 v4, v[1:2]
.LBB2330_135:
	s_wait_alu 0xfffe
	s_or_b32 exec_lo, exec_lo, s5
	s_delay_alu instid0(SALU_CYCLE_1)
	s_mov_b32 s0, exec_lo
	v_mov_b32_e32 v5, 0
	v_mov_b32_e32 v6, 0
	s_wait_loadcnt_dscnt 0x0
	s_barrier_signal -1
	s_barrier_wait -1
	global_inv scope:SCOPE_SE
	v_cmpx_lt_u32_e32 31, v0
; %bb.136:
	v_lshl_add_u32 v0, v3, 3, -8
	ds_load_b64 v[5:6], v0
; %bb.137:
	s_wait_alu 0xfffe
	s_or_b32 exec_lo, exec_lo, s0
	v_sub_co_u32 v0, vcc_lo, v51, 1
	s_wait_dscnt 0x0
	v_dual_mov_b32 v4, 0 :: v_dual_add_nc_u32 v1, v5, v19
	s_delay_alu instid0(VALU_DEP_2) | instskip(SKIP_1) | instid1(VALU_DEP_1)
	v_cmp_gt_i32_e64 s0, 0, v0
	s_wait_alu 0xf1ff
	v_cndmask_b32_e64 v0, v0, v51, s0
	s_delay_alu instid0(VALU_DEP_1)
	v_lshlrev_b32_e32 v0, 2, v0
	ds_bpermute_b32 v0, v0, v1
	ds_load_b64 v[1:2], v4 offset:88
	s_and_saveexec_b32 s0, s2
	s_cbranch_execz .LBB2330_139
; %bb.138:
	s_add_nc_u64 s[4:5], s[18:19], 0x200
	v_mov_b32_e32 v3, 2
	s_wait_alu 0xfffe
	v_dual_mov_b32 v7, s5 :: v_dual_mov_b32 v6, s4
	s_wait_dscnt 0x0
	;;#ASMSTART
	global_store_b128 v[6:7], v[1:4] off scope:SCOPE_DEV	
s_wait_storecnt 0x0
	;;#ASMEND
.LBB2330_139:
	s_wait_alu 0xfffe
	s_or_b32 exec_lo, exec_lo, s0
	s_wait_dscnt 0x1
	s_wait_alu 0xfffd
	v_dual_cndmask_b32 v0, v0, v5 :: v_dual_mov_b32 v3, 0
	v_mov_b32_e32 v4, 0
	s_wait_loadcnt_dscnt 0x0
	s_barrier_signal -1
	s_delay_alu instid0(VALU_DEP_2)
	v_cndmask_b32_e64 v5, v0, 0, s2
	s_barrier_wait -1
	global_inv scope:SCOPE_SE
.LBB2330_140:
	s_wait_dscnt 0x0
	v_cmp_gt_u64_e32 vcc_lo, 0x181, v[1:2]
	v_lshrrev_b32_e32 v19, 16, v38
	v_lshrrev_b32_e32 v20, 8, v38
	;; [unrolled: 1-line block ×8, first 2 shown]
	s_cbranch_vccz .LBB2330_143
; %bb.141:
	s_and_b32 s0, s2, s22
	s_wait_alu 0xfffe
	s_and_saveexec_b32 s1, s0
	s_cbranch_execnz .LBB2330_180
.LBB2330_142:
	s_endpgm
.LBB2330_143:
	v_and_b32_e32 v23, 1, v44
	s_mov_b32 s0, exec_lo
	s_delay_alu instid0(VALU_DEP_1)
	v_cmpx_eq_u32_e32 1, v23
; %bb.144:
	v_sub_nc_u32_e32 v23, v5, v3
	s_delay_alu instid0(VALU_DEP_1)
	v_lshlrev_b32_e32 v23, 1, v23
	ds_store_b16 v23, v28
; %bb.145:
	s_wait_alu 0xfffe
	s_or_b32 exec_lo, exec_lo, s0
	v_and_b32_e32 v22, 1, v22
	v_add_co_u32 v5, null, v5, v49
	s_mov_b32 s0, exec_lo
	v_cmpx_eq_u32_e32 1, v22
; %bb.146:
	v_sub_nc_u32_e32 v22, v5, v3
	s_delay_alu instid0(VALU_DEP_1)
	v_lshlrev_b32_e32 v22, 1, v22
	ds_store_b16_d16_hi v22, v28
; %bb.147:
	s_wait_alu 0xfffe
	s_or_b32 exec_lo, exec_lo, s0
	v_and_b32_e32 v21, 1, v21
	v_add_co_u32 v5, null, v5, v47
	s_mov_b32 s0, exec_lo
	v_cmpx_eq_u32_e32 1, v21
; %bb.148:
	v_sub_nc_u32_e32 v21, v5, v3
	s_delay_alu instid0(VALU_DEP_1)
	v_lshlrev_b32_e32 v21, 1, v21
	ds_store_b16 v21, v15
; %bb.149:
	s_wait_alu 0xfffe
	s_or_b32 exec_lo, exec_lo, s0
	v_and_b32_e32 v21, 1, v48
	v_add_co_u32 v5, null, v5, v50
	s_mov_b32 s0, exec_lo
	v_cmpx_eq_u32_e32 1, v21
; %bb.150:
	v_sub_nc_u32_e32 v21, v5, v3
	s_delay_alu instid0(VALU_DEP_1)
	v_lshlrev_b32_e32 v21, 1, v21
	ds_store_b16_d16_hi v21, v15
; %bb.151:
	s_wait_alu 0xfffe
	s_or_b32 exec_lo, exec_lo, s0
	v_and_b32_e32 v15, 1, v38
	v_add_co_u32 v5, null, v5, v48
	s_mov_b32 s0, exec_lo
	;; [unrolled: 24-line block ×7, first 2 shown]
	v_cmpx_eq_u32_e32 1, v6
; %bb.172:
	v_sub_nc_u32_e32 v5, v0, v3
	s_delay_alu instid0(VALU_DEP_1)
	v_lshlrev_b32_e32 v5, 1, v5
	ds_store_b16 v5, v9
; %bb.173:
	s_wait_alu 0xfffe
	s_or_b32 exec_lo, exec_lo, s0
	v_and_b32_e32 v5, 1, v33
	v_add_co_u32 v0, null, v0, v34
	s_mov_b32 s0, exec_lo
	v_cmpx_eq_u32_e32 1, v5
; %bb.174:
	v_sub_nc_u32_e32 v5, v0, v3
	s_delay_alu instid0(VALU_DEP_1)
	v_lshlrev_b32_e32 v5, 1, v5
	ds_store_b16 v5, v27
; %bb.175:
	s_wait_alu 0xfffe
	s_or_b32 exec_lo, exec_lo, s0
	v_and_b32_e32 v5, 1, v29
	v_add_co_u32 v0, null, v0, v33
	s_mov_b32 s0, exec_lo
	v_cmpx_eq_u32_e32 1, v5
; %bb.176:
	v_sub_nc_u32_e32 v5, v0, v3
	s_delay_alu instid0(VALU_DEP_1)
	v_lshlrev_b32_e32 v5, 1, v5
	ds_store_b16_d16_hi v5, v27
; %bb.177:
	s_wait_alu 0xfffe
	s_or_b32 exec_lo, exec_lo, s0
	s_and_saveexec_b32 s0, s24
; %bb.178:
	v_sub_nc_u32_e32 v5, v31, v3
	s_delay_alu instid0(VALU_DEP_1)
	v_add_lshl_u32 v0, v5, v0, 1
	ds_store_b16 v0, v10
; %bb.179:
	s_wait_alu 0xfffe
	s_or_b32 exec_lo, exec_lo, s0
	s_wait_loadcnt_dscnt 0x0
	s_barrier_signal -1
	s_barrier_wait -1
	global_inv scope:SCOPE_SE
	s_and_b32 s0, s2, s22
	s_wait_alu 0xfffe
	s_and_saveexec_b32 s1, s0
	s_cbranch_execz .LBB2330_142
.LBB2330_180:
	v_add_co_u32 v0, vcc_lo, v1, v17
	s_wait_alu 0xfffd
	v_add_co_ci_u32_e64 v1, null, v2, v18, vcc_lo
	v_mov_b32_e32 v2, 0
	s_delay_alu instid0(VALU_DEP_3) | instskip(SKIP_1) | instid1(VALU_DEP_3)
	v_add_co_u32 v0, vcc_lo, v0, v3
	s_wait_alu 0xfffd
	v_add_co_ci_u32_e64 v1, null, v1, v4, vcc_lo
	global_store_b64 v2, v[0:1], s[20:21]
	s_endpgm
	.section	.rodata,"a",@progbits
	.p2align	6, 0x0
	.amdhsa_kernel _ZN7rocprim17ROCPRIM_400000_NS6detail17trampoline_kernelINS0_14default_configENS1_25partition_config_selectorILNS1_17partition_subalgoE6EsNS0_10empty_typeEbEEZZNS1_14partition_implILS5_6ELb0ES3_mN6thrust23THRUST_200600_302600_NS6detail15normal_iteratorINSA_10device_ptrIsEEEEPS6_SG_NS0_5tupleIJNSA_16discard_iteratorINSA_11use_defaultEEES6_EEENSH_IJSG_SG_EEES6_PlJNSB_9not_fun_tI7is_trueIsEEEEEE10hipError_tPvRmT3_T4_T5_T6_T7_T9_mT8_P12ihipStream_tbDpT10_ENKUlT_T0_E_clISt17integral_constantIbLb0EES1A_IbLb1EEEEDaS16_S17_EUlS16_E_NS1_11comp_targetILNS1_3genE10ELNS1_11target_archE1200ELNS1_3gpuE4ELNS1_3repE0EEENS1_30default_config_static_selectorELNS0_4arch9wavefront6targetE0EEEvT1_
		.amdhsa_group_segment_fixed_size 13840
		.amdhsa_private_segment_fixed_size 0
		.amdhsa_kernarg_size 136
		.amdhsa_user_sgpr_count 2
		.amdhsa_user_sgpr_dispatch_ptr 0
		.amdhsa_user_sgpr_queue_ptr 0
		.amdhsa_user_sgpr_kernarg_segment_ptr 1
		.amdhsa_user_sgpr_dispatch_id 0
		.amdhsa_user_sgpr_private_segment_size 0
		.amdhsa_wavefront_size32 1
		.amdhsa_uses_dynamic_stack 0
		.amdhsa_enable_private_segment 0
		.amdhsa_system_sgpr_workgroup_id_x 1
		.amdhsa_system_sgpr_workgroup_id_y 0
		.amdhsa_system_sgpr_workgroup_id_z 0
		.amdhsa_system_sgpr_workgroup_info 0
		.amdhsa_system_vgpr_workitem_id 0
		.amdhsa_next_free_vgpr 65
		.amdhsa_next_free_sgpr 26
		.amdhsa_reserve_vcc 1
		.amdhsa_float_round_mode_32 0
		.amdhsa_float_round_mode_16_64 0
		.amdhsa_float_denorm_mode_32 3
		.amdhsa_float_denorm_mode_16_64 3
		.amdhsa_fp16_overflow 0
		.amdhsa_workgroup_processor_mode 1
		.amdhsa_memory_ordered 1
		.amdhsa_forward_progress 1
		.amdhsa_inst_pref_size 75
		.amdhsa_round_robin_scheduling 0
		.amdhsa_exception_fp_ieee_invalid_op 0
		.amdhsa_exception_fp_denorm_src 0
		.amdhsa_exception_fp_ieee_div_zero 0
		.amdhsa_exception_fp_ieee_overflow 0
		.amdhsa_exception_fp_ieee_underflow 0
		.amdhsa_exception_fp_ieee_inexact 0
		.amdhsa_exception_int_div_zero 0
	.end_amdhsa_kernel
	.section	.text._ZN7rocprim17ROCPRIM_400000_NS6detail17trampoline_kernelINS0_14default_configENS1_25partition_config_selectorILNS1_17partition_subalgoE6EsNS0_10empty_typeEbEEZZNS1_14partition_implILS5_6ELb0ES3_mN6thrust23THRUST_200600_302600_NS6detail15normal_iteratorINSA_10device_ptrIsEEEEPS6_SG_NS0_5tupleIJNSA_16discard_iteratorINSA_11use_defaultEEES6_EEENSH_IJSG_SG_EEES6_PlJNSB_9not_fun_tI7is_trueIsEEEEEE10hipError_tPvRmT3_T4_T5_T6_T7_T9_mT8_P12ihipStream_tbDpT10_ENKUlT_T0_E_clISt17integral_constantIbLb0EES1A_IbLb1EEEEDaS16_S17_EUlS16_E_NS1_11comp_targetILNS1_3genE10ELNS1_11target_archE1200ELNS1_3gpuE4ELNS1_3repE0EEENS1_30default_config_static_selectorELNS0_4arch9wavefront6targetE0EEEvT1_,"axG",@progbits,_ZN7rocprim17ROCPRIM_400000_NS6detail17trampoline_kernelINS0_14default_configENS1_25partition_config_selectorILNS1_17partition_subalgoE6EsNS0_10empty_typeEbEEZZNS1_14partition_implILS5_6ELb0ES3_mN6thrust23THRUST_200600_302600_NS6detail15normal_iteratorINSA_10device_ptrIsEEEEPS6_SG_NS0_5tupleIJNSA_16discard_iteratorINSA_11use_defaultEEES6_EEENSH_IJSG_SG_EEES6_PlJNSB_9not_fun_tI7is_trueIsEEEEEE10hipError_tPvRmT3_T4_T5_T6_T7_T9_mT8_P12ihipStream_tbDpT10_ENKUlT_T0_E_clISt17integral_constantIbLb0EES1A_IbLb1EEEEDaS16_S17_EUlS16_E_NS1_11comp_targetILNS1_3genE10ELNS1_11target_archE1200ELNS1_3gpuE4ELNS1_3repE0EEENS1_30default_config_static_selectorELNS0_4arch9wavefront6targetE0EEEvT1_,comdat
.Lfunc_end2330:
	.size	_ZN7rocprim17ROCPRIM_400000_NS6detail17trampoline_kernelINS0_14default_configENS1_25partition_config_selectorILNS1_17partition_subalgoE6EsNS0_10empty_typeEbEEZZNS1_14partition_implILS5_6ELb0ES3_mN6thrust23THRUST_200600_302600_NS6detail15normal_iteratorINSA_10device_ptrIsEEEEPS6_SG_NS0_5tupleIJNSA_16discard_iteratorINSA_11use_defaultEEES6_EEENSH_IJSG_SG_EEES6_PlJNSB_9not_fun_tI7is_trueIsEEEEEE10hipError_tPvRmT3_T4_T5_T6_T7_T9_mT8_P12ihipStream_tbDpT10_ENKUlT_T0_E_clISt17integral_constantIbLb0EES1A_IbLb1EEEEDaS16_S17_EUlS16_E_NS1_11comp_targetILNS1_3genE10ELNS1_11target_archE1200ELNS1_3gpuE4ELNS1_3repE0EEENS1_30default_config_static_selectorELNS0_4arch9wavefront6targetE0EEEvT1_, .Lfunc_end2330-_ZN7rocprim17ROCPRIM_400000_NS6detail17trampoline_kernelINS0_14default_configENS1_25partition_config_selectorILNS1_17partition_subalgoE6EsNS0_10empty_typeEbEEZZNS1_14partition_implILS5_6ELb0ES3_mN6thrust23THRUST_200600_302600_NS6detail15normal_iteratorINSA_10device_ptrIsEEEEPS6_SG_NS0_5tupleIJNSA_16discard_iteratorINSA_11use_defaultEEES6_EEENSH_IJSG_SG_EEES6_PlJNSB_9not_fun_tI7is_trueIsEEEEEE10hipError_tPvRmT3_T4_T5_T6_T7_T9_mT8_P12ihipStream_tbDpT10_ENKUlT_T0_E_clISt17integral_constantIbLb0EES1A_IbLb1EEEEDaS16_S17_EUlS16_E_NS1_11comp_targetILNS1_3genE10ELNS1_11target_archE1200ELNS1_3gpuE4ELNS1_3repE0EEENS1_30default_config_static_selectorELNS0_4arch9wavefront6targetE0EEEvT1_
                                        ; -- End function
	.set _ZN7rocprim17ROCPRIM_400000_NS6detail17trampoline_kernelINS0_14default_configENS1_25partition_config_selectorILNS1_17partition_subalgoE6EsNS0_10empty_typeEbEEZZNS1_14partition_implILS5_6ELb0ES3_mN6thrust23THRUST_200600_302600_NS6detail15normal_iteratorINSA_10device_ptrIsEEEEPS6_SG_NS0_5tupleIJNSA_16discard_iteratorINSA_11use_defaultEEES6_EEENSH_IJSG_SG_EEES6_PlJNSB_9not_fun_tI7is_trueIsEEEEEE10hipError_tPvRmT3_T4_T5_T6_T7_T9_mT8_P12ihipStream_tbDpT10_ENKUlT_T0_E_clISt17integral_constantIbLb0EES1A_IbLb1EEEEDaS16_S17_EUlS16_E_NS1_11comp_targetILNS1_3genE10ELNS1_11target_archE1200ELNS1_3gpuE4ELNS1_3repE0EEENS1_30default_config_static_selectorELNS0_4arch9wavefront6targetE0EEEvT1_.num_vgpr, 65
	.set _ZN7rocprim17ROCPRIM_400000_NS6detail17trampoline_kernelINS0_14default_configENS1_25partition_config_selectorILNS1_17partition_subalgoE6EsNS0_10empty_typeEbEEZZNS1_14partition_implILS5_6ELb0ES3_mN6thrust23THRUST_200600_302600_NS6detail15normal_iteratorINSA_10device_ptrIsEEEEPS6_SG_NS0_5tupleIJNSA_16discard_iteratorINSA_11use_defaultEEES6_EEENSH_IJSG_SG_EEES6_PlJNSB_9not_fun_tI7is_trueIsEEEEEE10hipError_tPvRmT3_T4_T5_T6_T7_T9_mT8_P12ihipStream_tbDpT10_ENKUlT_T0_E_clISt17integral_constantIbLb0EES1A_IbLb1EEEEDaS16_S17_EUlS16_E_NS1_11comp_targetILNS1_3genE10ELNS1_11target_archE1200ELNS1_3gpuE4ELNS1_3repE0EEENS1_30default_config_static_selectorELNS0_4arch9wavefront6targetE0EEEvT1_.num_agpr, 0
	.set _ZN7rocprim17ROCPRIM_400000_NS6detail17trampoline_kernelINS0_14default_configENS1_25partition_config_selectorILNS1_17partition_subalgoE6EsNS0_10empty_typeEbEEZZNS1_14partition_implILS5_6ELb0ES3_mN6thrust23THRUST_200600_302600_NS6detail15normal_iteratorINSA_10device_ptrIsEEEEPS6_SG_NS0_5tupleIJNSA_16discard_iteratorINSA_11use_defaultEEES6_EEENSH_IJSG_SG_EEES6_PlJNSB_9not_fun_tI7is_trueIsEEEEEE10hipError_tPvRmT3_T4_T5_T6_T7_T9_mT8_P12ihipStream_tbDpT10_ENKUlT_T0_E_clISt17integral_constantIbLb0EES1A_IbLb1EEEEDaS16_S17_EUlS16_E_NS1_11comp_targetILNS1_3genE10ELNS1_11target_archE1200ELNS1_3gpuE4ELNS1_3repE0EEENS1_30default_config_static_selectorELNS0_4arch9wavefront6targetE0EEEvT1_.numbered_sgpr, 26
	.set _ZN7rocprim17ROCPRIM_400000_NS6detail17trampoline_kernelINS0_14default_configENS1_25partition_config_selectorILNS1_17partition_subalgoE6EsNS0_10empty_typeEbEEZZNS1_14partition_implILS5_6ELb0ES3_mN6thrust23THRUST_200600_302600_NS6detail15normal_iteratorINSA_10device_ptrIsEEEEPS6_SG_NS0_5tupleIJNSA_16discard_iteratorINSA_11use_defaultEEES6_EEENSH_IJSG_SG_EEES6_PlJNSB_9not_fun_tI7is_trueIsEEEEEE10hipError_tPvRmT3_T4_T5_T6_T7_T9_mT8_P12ihipStream_tbDpT10_ENKUlT_T0_E_clISt17integral_constantIbLb0EES1A_IbLb1EEEEDaS16_S17_EUlS16_E_NS1_11comp_targetILNS1_3genE10ELNS1_11target_archE1200ELNS1_3gpuE4ELNS1_3repE0EEENS1_30default_config_static_selectorELNS0_4arch9wavefront6targetE0EEEvT1_.num_named_barrier, 0
	.set _ZN7rocprim17ROCPRIM_400000_NS6detail17trampoline_kernelINS0_14default_configENS1_25partition_config_selectorILNS1_17partition_subalgoE6EsNS0_10empty_typeEbEEZZNS1_14partition_implILS5_6ELb0ES3_mN6thrust23THRUST_200600_302600_NS6detail15normal_iteratorINSA_10device_ptrIsEEEEPS6_SG_NS0_5tupleIJNSA_16discard_iteratorINSA_11use_defaultEEES6_EEENSH_IJSG_SG_EEES6_PlJNSB_9not_fun_tI7is_trueIsEEEEEE10hipError_tPvRmT3_T4_T5_T6_T7_T9_mT8_P12ihipStream_tbDpT10_ENKUlT_T0_E_clISt17integral_constantIbLb0EES1A_IbLb1EEEEDaS16_S17_EUlS16_E_NS1_11comp_targetILNS1_3genE10ELNS1_11target_archE1200ELNS1_3gpuE4ELNS1_3repE0EEENS1_30default_config_static_selectorELNS0_4arch9wavefront6targetE0EEEvT1_.private_seg_size, 0
	.set _ZN7rocprim17ROCPRIM_400000_NS6detail17trampoline_kernelINS0_14default_configENS1_25partition_config_selectorILNS1_17partition_subalgoE6EsNS0_10empty_typeEbEEZZNS1_14partition_implILS5_6ELb0ES3_mN6thrust23THRUST_200600_302600_NS6detail15normal_iteratorINSA_10device_ptrIsEEEEPS6_SG_NS0_5tupleIJNSA_16discard_iteratorINSA_11use_defaultEEES6_EEENSH_IJSG_SG_EEES6_PlJNSB_9not_fun_tI7is_trueIsEEEEEE10hipError_tPvRmT3_T4_T5_T6_T7_T9_mT8_P12ihipStream_tbDpT10_ENKUlT_T0_E_clISt17integral_constantIbLb0EES1A_IbLb1EEEEDaS16_S17_EUlS16_E_NS1_11comp_targetILNS1_3genE10ELNS1_11target_archE1200ELNS1_3gpuE4ELNS1_3repE0EEENS1_30default_config_static_selectorELNS0_4arch9wavefront6targetE0EEEvT1_.uses_vcc, 1
	.set _ZN7rocprim17ROCPRIM_400000_NS6detail17trampoline_kernelINS0_14default_configENS1_25partition_config_selectorILNS1_17partition_subalgoE6EsNS0_10empty_typeEbEEZZNS1_14partition_implILS5_6ELb0ES3_mN6thrust23THRUST_200600_302600_NS6detail15normal_iteratorINSA_10device_ptrIsEEEEPS6_SG_NS0_5tupleIJNSA_16discard_iteratorINSA_11use_defaultEEES6_EEENSH_IJSG_SG_EEES6_PlJNSB_9not_fun_tI7is_trueIsEEEEEE10hipError_tPvRmT3_T4_T5_T6_T7_T9_mT8_P12ihipStream_tbDpT10_ENKUlT_T0_E_clISt17integral_constantIbLb0EES1A_IbLb1EEEEDaS16_S17_EUlS16_E_NS1_11comp_targetILNS1_3genE10ELNS1_11target_archE1200ELNS1_3gpuE4ELNS1_3repE0EEENS1_30default_config_static_selectorELNS0_4arch9wavefront6targetE0EEEvT1_.uses_flat_scratch, 1
	.set _ZN7rocprim17ROCPRIM_400000_NS6detail17trampoline_kernelINS0_14default_configENS1_25partition_config_selectorILNS1_17partition_subalgoE6EsNS0_10empty_typeEbEEZZNS1_14partition_implILS5_6ELb0ES3_mN6thrust23THRUST_200600_302600_NS6detail15normal_iteratorINSA_10device_ptrIsEEEEPS6_SG_NS0_5tupleIJNSA_16discard_iteratorINSA_11use_defaultEEES6_EEENSH_IJSG_SG_EEES6_PlJNSB_9not_fun_tI7is_trueIsEEEEEE10hipError_tPvRmT3_T4_T5_T6_T7_T9_mT8_P12ihipStream_tbDpT10_ENKUlT_T0_E_clISt17integral_constantIbLb0EES1A_IbLb1EEEEDaS16_S17_EUlS16_E_NS1_11comp_targetILNS1_3genE10ELNS1_11target_archE1200ELNS1_3gpuE4ELNS1_3repE0EEENS1_30default_config_static_selectorELNS0_4arch9wavefront6targetE0EEEvT1_.has_dyn_sized_stack, 0
	.set _ZN7rocprim17ROCPRIM_400000_NS6detail17trampoline_kernelINS0_14default_configENS1_25partition_config_selectorILNS1_17partition_subalgoE6EsNS0_10empty_typeEbEEZZNS1_14partition_implILS5_6ELb0ES3_mN6thrust23THRUST_200600_302600_NS6detail15normal_iteratorINSA_10device_ptrIsEEEEPS6_SG_NS0_5tupleIJNSA_16discard_iteratorINSA_11use_defaultEEES6_EEENSH_IJSG_SG_EEES6_PlJNSB_9not_fun_tI7is_trueIsEEEEEE10hipError_tPvRmT3_T4_T5_T6_T7_T9_mT8_P12ihipStream_tbDpT10_ENKUlT_T0_E_clISt17integral_constantIbLb0EES1A_IbLb1EEEEDaS16_S17_EUlS16_E_NS1_11comp_targetILNS1_3genE10ELNS1_11target_archE1200ELNS1_3gpuE4ELNS1_3repE0EEENS1_30default_config_static_selectorELNS0_4arch9wavefront6targetE0EEEvT1_.has_recursion, 0
	.set _ZN7rocprim17ROCPRIM_400000_NS6detail17trampoline_kernelINS0_14default_configENS1_25partition_config_selectorILNS1_17partition_subalgoE6EsNS0_10empty_typeEbEEZZNS1_14partition_implILS5_6ELb0ES3_mN6thrust23THRUST_200600_302600_NS6detail15normal_iteratorINSA_10device_ptrIsEEEEPS6_SG_NS0_5tupleIJNSA_16discard_iteratorINSA_11use_defaultEEES6_EEENSH_IJSG_SG_EEES6_PlJNSB_9not_fun_tI7is_trueIsEEEEEE10hipError_tPvRmT3_T4_T5_T6_T7_T9_mT8_P12ihipStream_tbDpT10_ENKUlT_T0_E_clISt17integral_constantIbLb0EES1A_IbLb1EEEEDaS16_S17_EUlS16_E_NS1_11comp_targetILNS1_3genE10ELNS1_11target_archE1200ELNS1_3gpuE4ELNS1_3repE0EEENS1_30default_config_static_selectorELNS0_4arch9wavefront6targetE0EEEvT1_.has_indirect_call, 0
	.section	.AMDGPU.csdata,"",@progbits
; Kernel info:
; codeLenInByte = 9568
; TotalNumSgprs: 28
; NumVgprs: 65
; ScratchSize: 0
; MemoryBound: 0
; FloatMode: 240
; IeeeMode: 1
; LDSByteSize: 13840 bytes/workgroup (compile time only)
; SGPRBlocks: 0
; VGPRBlocks: 8
; NumSGPRsForWavesPerEU: 28
; NumVGPRsForWavesPerEU: 65
; Occupancy: 15
; WaveLimiterHint : 1
; COMPUTE_PGM_RSRC2:SCRATCH_EN: 0
; COMPUTE_PGM_RSRC2:USER_SGPR: 2
; COMPUTE_PGM_RSRC2:TRAP_HANDLER: 0
; COMPUTE_PGM_RSRC2:TGID_X_EN: 1
; COMPUTE_PGM_RSRC2:TGID_Y_EN: 0
; COMPUTE_PGM_RSRC2:TGID_Z_EN: 0
; COMPUTE_PGM_RSRC2:TIDIG_COMP_CNT: 0
	.section	.text._ZN7rocprim17ROCPRIM_400000_NS6detail17trampoline_kernelINS0_14default_configENS1_25partition_config_selectorILNS1_17partition_subalgoE6EsNS0_10empty_typeEbEEZZNS1_14partition_implILS5_6ELb0ES3_mN6thrust23THRUST_200600_302600_NS6detail15normal_iteratorINSA_10device_ptrIsEEEEPS6_SG_NS0_5tupleIJNSA_16discard_iteratorINSA_11use_defaultEEES6_EEENSH_IJSG_SG_EEES6_PlJNSB_9not_fun_tI7is_trueIsEEEEEE10hipError_tPvRmT3_T4_T5_T6_T7_T9_mT8_P12ihipStream_tbDpT10_ENKUlT_T0_E_clISt17integral_constantIbLb0EES1A_IbLb1EEEEDaS16_S17_EUlS16_E_NS1_11comp_targetILNS1_3genE9ELNS1_11target_archE1100ELNS1_3gpuE3ELNS1_3repE0EEENS1_30default_config_static_selectorELNS0_4arch9wavefront6targetE0EEEvT1_,"axG",@progbits,_ZN7rocprim17ROCPRIM_400000_NS6detail17trampoline_kernelINS0_14default_configENS1_25partition_config_selectorILNS1_17partition_subalgoE6EsNS0_10empty_typeEbEEZZNS1_14partition_implILS5_6ELb0ES3_mN6thrust23THRUST_200600_302600_NS6detail15normal_iteratorINSA_10device_ptrIsEEEEPS6_SG_NS0_5tupleIJNSA_16discard_iteratorINSA_11use_defaultEEES6_EEENSH_IJSG_SG_EEES6_PlJNSB_9not_fun_tI7is_trueIsEEEEEE10hipError_tPvRmT3_T4_T5_T6_T7_T9_mT8_P12ihipStream_tbDpT10_ENKUlT_T0_E_clISt17integral_constantIbLb0EES1A_IbLb1EEEEDaS16_S17_EUlS16_E_NS1_11comp_targetILNS1_3genE9ELNS1_11target_archE1100ELNS1_3gpuE3ELNS1_3repE0EEENS1_30default_config_static_selectorELNS0_4arch9wavefront6targetE0EEEvT1_,comdat
	.protected	_ZN7rocprim17ROCPRIM_400000_NS6detail17trampoline_kernelINS0_14default_configENS1_25partition_config_selectorILNS1_17partition_subalgoE6EsNS0_10empty_typeEbEEZZNS1_14partition_implILS5_6ELb0ES3_mN6thrust23THRUST_200600_302600_NS6detail15normal_iteratorINSA_10device_ptrIsEEEEPS6_SG_NS0_5tupleIJNSA_16discard_iteratorINSA_11use_defaultEEES6_EEENSH_IJSG_SG_EEES6_PlJNSB_9not_fun_tI7is_trueIsEEEEEE10hipError_tPvRmT3_T4_T5_T6_T7_T9_mT8_P12ihipStream_tbDpT10_ENKUlT_T0_E_clISt17integral_constantIbLb0EES1A_IbLb1EEEEDaS16_S17_EUlS16_E_NS1_11comp_targetILNS1_3genE9ELNS1_11target_archE1100ELNS1_3gpuE3ELNS1_3repE0EEENS1_30default_config_static_selectorELNS0_4arch9wavefront6targetE0EEEvT1_ ; -- Begin function _ZN7rocprim17ROCPRIM_400000_NS6detail17trampoline_kernelINS0_14default_configENS1_25partition_config_selectorILNS1_17partition_subalgoE6EsNS0_10empty_typeEbEEZZNS1_14partition_implILS5_6ELb0ES3_mN6thrust23THRUST_200600_302600_NS6detail15normal_iteratorINSA_10device_ptrIsEEEEPS6_SG_NS0_5tupleIJNSA_16discard_iteratorINSA_11use_defaultEEES6_EEENSH_IJSG_SG_EEES6_PlJNSB_9not_fun_tI7is_trueIsEEEEEE10hipError_tPvRmT3_T4_T5_T6_T7_T9_mT8_P12ihipStream_tbDpT10_ENKUlT_T0_E_clISt17integral_constantIbLb0EES1A_IbLb1EEEEDaS16_S17_EUlS16_E_NS1_11comp_targetILNS1_3genE9ELNS1_11target_archE1100ELNS1_3gpuE3ELNS1_3repE0EEENS1_30default_config_static_selectorELNS0_4arch9wavefront6targetE0EEEvT1_
	.globl	_ZN7rocprim17ROCPRIM_400000_NS6detail17trampoline_kernelINS0_14default_configENS1_25partition_config_selectorILNS1_17partition_subalgoE6EsNS0_10empty_typeEbEEZZNS1_14partition_implILS5_6ELb0ES3_mN6thrust23THRUST_200600_302600_NS6detail15normal_iteratorINSA_10device_ptrIsEEEEPS6_SG_NS0_5tupleIJNSA_16discard_iteratorINSA_11use_defaultEEES6_EEENSH_IJSG_SG_EEES6_PlJNSB_9not_fun_tI7is_trueIsEEEEEE10hipError_tPvRmT3_T4_T5_T6_T7_T9_mT8_P12ihipStream_tbDpT10_ENKUlT_T0_E_clISt17integral_constantIbLb0EES1A_IbLb1EEEEDaS16_S17_EUlS16_E_NS1_11comp_targetILNS1_3genE9ELNS1_11target_archE1100ELNS1_3gpuE3ELNS1_3repE0EEENS1_30default_config_static_selectorELNS0_4arch9wavefront6targetE0EEEvT1_
	.p2align	8
	.type	_ZN7rocprim17ROCPRIM_400000_NS6detail17trampoline_kernelINS0_14default_configENS1_25partition_config_selectorILNS1_17partition_subalgoE6EsNS0_10empty_typeEbEEZZNS1_14partition_implILS5_6ELb0ES3_mN6thrust23THRUST_200600_302600_NS6detail15normal_iteratorINSA_10device_ptrIsEEEEPS6_SG_NS0_5tupleIJNSA_16discard_iteratorINSA_11use_defaultEEES6_EEENSH_IJSG_SG_EEES6_PlJNSB_9not_fun_tI7is_trueIsEEEEEE10hipError_tPvRmT3_T4_T5_T6_T7_T9_mT8_P12ihipStream_tbDpT10_ENKUlT_T0_E_clISt17integral_constantIbLb0EES1A_IbLb1EEEEDaS16_S17_EUlS16_E_NS1_11comp_targetILNS1_3genE9ELNS1_11target_archE1100ELNS1_3gpuE3ELNS1_3repE0EEENS1_30default_config_static_selectorELNS0_4arch9wavefront6targetE0EEEvT1_,@function
_ZN7rocprim17ROCPRIM_400000_NS6detail17trampoline_kernelINS0_14default_configENS1_25partition_config_selectorILNS1_17partition_subalgoE6EsNS0_10empty_typeEbEEZZNS1_14partition_implILS5_6ELb0ES3_mN6thrust23THRUST_200600_302600_NS6detail15normal_iteratorINSA_10device_ptrIsEEEEPS6_SG_NS0_5tupleIJNSA_16discard_iteratorINSA_11use_defaultEEES6_EEENSH_IJSG_SG_EEES6_PlJNSB_9not_fun_tI7is_trueIsEEEEEE10hipError_tPvRmT3_T4_T5_T6_T7_T9_mT8_P12ihipStream_tbDpT10_ENKUlT_T0_E_clISt17integral_constantIbLb0EES1A_IbLb1EEEEDaS16_S17_EUlS16_E_NS1_11comp_targetILNS1_3genE9ELNS1_11target_archE1100ELNS1_3gpuE3ELNS1_3repE0EEENS1_30default_config_static_selectorELNS0_4arch9wavefront6targetE0EEEvT1_: ; @_ZN7rocprim17ROCPRIM_400000_NS6detail17trampoline_kernelINS0_14default_configENS1_25partition_config_selectorILNS1_17partition_subalgoE6EsNS0_10empty_typeEbEEZZNS1_14partition_implILS5_6ELb0ES3_mN6thrust23THRUST_200600_302600_NS6detail15normal_iteratorINSA_10device_ptrIsEEEEPS6_SG_NS0_5tupleIJNSA_16discard_iteratorINSA_11use_defaultEEES6_EEENSH_IJSG_SG_EEES6_PlJNSB_9not_fun_tI7is_trueIsEEEEEE10hipError_tPvRmT3_T4_T5_T6_T7_T9_mT8_P12ihipStream_tbDpT10_ENKUlT_T0_E_clISt17integral_constantIbLb0EES1A_IbLb1EEEEDaS16_S17_EUlS16_E_NS1_11comp_targetILNS1_3genE9ELNS1_11target_archE1100ELNS1_3gpuE3ELNS1_3repE0EEENS1_30default_config_static_selectorELNS0_4arch9wavefront6targetE0EEEvT1_
; %bb.0:
	.section	.rodata,"a",@progbits
	.p2align	6, 0x0
	.amdhsa_kernel _ZN7rocprim17ROCPRIM_400000_NS6detail17trampoline_kernelINS0_14default_configENS1_25partition_config_selectorILNS1_17partition_subalgoE6EsNS0_10empty_typeEbEEZZNS1_14partition_implILS5_6ELb0ES3_mN6thrust23THRUST_200600_302600_NS6detail15normal_iteratorINSA_10device_ptrIsEEEEPS6_SG_NS0_5tupleIJNSA_16discard_iteratorINSA_11use_defaultEEES6_EEENSH_IJSG_SG_EEES6_PlJNSB_9not_fun_tI7is_trueIsEEEEEE10hipError_tPvRmT3_T4_T5_T6_T7_T9_mT8_P12ihipStream_tbDpT10_ENKUlT_T0_E_clISt17integral_constantIbLb0EES1A_IbLb1EEEEDaS16_S17_EUlS16_E_NS1_11comp_targetILNS1_3genE9ELNS1_11target_archE1100ELNS1_3gpuE3ELNS1_3repE0EEENS1_30default_config_static_selectorELNS0_4arch9wavefront6targetE0EEEvT1_
		.amdhsa_group_segment_fixed_size 0
		.amdhsa_private_segment_fixed_size 0
		.amdhsa_kernarg_size 136
		.amdhsa_user_sgpr_count 2
		.amdhsa_user_sgpr_dispatch_ptr 0
		.amdhsa_user_sgpr_queue_ptr 0
		.amdhsa_user_sgpr_kernarg_segment_ptr 1
		.amdhsa_user_sgpr_dispatch_id 0
		.amdhsa_user_sgpr_private_segment_size 0
		.amdhsa_wavefront_size32 1
		.amdhsa_uses_dynamic_stack 0
		.amdhsa_enable_private_segment 0
		.amdhsa_system_sgpr_workgroup_id_x 1
		.amdhsa_system_sgpr_workgroup_id_y 0
		.amdhsa_system_sgpr_workgroup_id_z 0
		.amdhsa_system_sgpr_workgroup_info 0
		.amdhsa_system_vgpr_workitem_id 0
		.amdhsa_next_free_vgpr 1
		.amdhsa_next_free_sgpr 1
		.amdhsa_reserve_vcc 0
		.amdhsa_float_round_mode_32 0
		.amdhsa_float_round_mode_16_64 0
		.amdhsa_float_denorm_mode_32 3
		.amdhsa_float_denorm_mode_16_64 3
		.amdhsa_fp16_overflow 0
		.amdhsa_workgroup_processor_mode 1
		.amdhsa_memory_ordered 1
		.amdhsa_forward_progress 1
		.amdhsa_inst_pref_size 0
		.amdhsa_round_robin_scheduling 0
		.amdhsa_exception_fp_ieee_invalid_op 0
		.amdhsa_exception_fp_denorm_src 0
		.amdhsa_exception_fp_ieee_div_zero 0
		.amdhsa_exception_fp_ieee_overflow 0
		.amdhsa_exception_fp_ieee_underflow 0
		.amdhsa_exception_fp_ieee_inexact 0
		.amdhsa_exception_int_div_zero 0
	.end_amdhsa_kernel
	.section	.text._ZN7rocprim17ROCPRIM_400000_NS6detail17trampoline_kernelINS0_14default_configENS1_25partition_config_selectorILNS1_17partition_subalgoE6EsNS0_10empty_typeEbEEZZNS1_14partition_implILS5_6ELb0ES3_mN6thrust23THRUST_200600_302600_NS6detail15normal_iteratorINSA_10device_ptrIsEEEEPS6_SG_NS0_5tupleIJNSA_16discard_iteratorINSA_11use_defaultEEES6_EEENSH_IJSG_SG_EEES6_PlJNSB_9not_fun_tI7is_trueIsEEEEEE10hipError_tPvRmT3_T4_T5_T6_T7_T9_mT8_P12ihipStream_tbDpT10_ENKUlT_T0_E_clISt17integral_constantIbLb0EES1A_IbLb1EEEEDaS16_S17_EUlS16_E_NS1_11comp_targetILNS1_3genE9ELNS1_11target_archE1100ELNS1_3gpuE3ELNS1_3repE0EEENS1_30default_config_static_selectorELNS0_4arch9wavefront6targetE0EEEvT1_,"axG",@progbits,_ZN7rocprim17ROCPRIM_400000_NS6detail17trampoline_kernelINS0_14default_configENS1_25partition_config_selectorILNS1_17partition_subalgoE6EsNS0_10empty_typeEbEEZZNS1_14partition_implILS5_6ELb0ES3_mN6thrust23THRUST_200600_302600_NS6detail15normal_iteratorINSA_10device_ptrIsEEEEPS6_SG_NS0_5tupleIJNSA_16discard_iteratorINSA_11use_defaultEEES6_EEENSH_IJSG_SG_EEES6_PlJNSB_9not_fun_tI7is_trueIsEEEEEE10hipError_tPvRmT3_T4_T5_T6_T7_T9_mT8_P12ihipStream_tbDpT10_ENKUlT_T0_E_clISt17integral_constantIbLb0EES1A_IbLb1EEEEDaS16_S17_EUlS16_E_NS1_11comp_targetILNS1_3genE9ELNS1_11target_archE1100ELNS1_3gpuE3ELNS1_3repE0EEENS1_30default_config_static_selectorELNS0_4arch9wavefront6targetE0EEEvT1_,comdat
.Lfunc_end2331:
	.size	_ZN7rocprim17ROCPRIM_400000_NS6detail17trampoline_kernelINS0_14default_configENS1_25partition_config_selectorILNS1_17partition_subalgoE6EsNS0_10empty_typeEbEEZZNS1_14partition_implILS5_6ELb0ES3_mN6thrust23THRUST_200600_302600_NS6detail15normal_iteratorINSA_10device_ptrIsEEEEPS6_SG_NS0_5tupleIJNSA_16discard_iteratorINSA_11use_defaultEEES6_EEENSH_IJSG_SG_EEES6_PlJNSB_9not_fun_tI7is_trueIsEEEEEE10hipError_tPvRmT3_T4_T5_T6_T7_T9_mT8_P12ihipStream_tbDpT10_ENKUlT_T0_E_clISt17integral_constantIbLb0EES1A_IbLb1EEEEDaS16_S17_EUlS16_E_NS1_11comp_targetILNS1_3genE9ELNS1_11target_archE1100ELNS1_3gpuE3ELNS1_3repE0EEENS1_30default_config_static_selectorELNS0_4arch9wavefront6targetE0EEEvT1_, .Lfunc_end2331-_ZN7rocprim17ROCPRIM_400000_NS6detail17trampoline_kernelINS0_14default_configENS1_25partition_config_selectorILNS1_17partition_subalgoE6EsNS0_10empty_typeEbEEZZNS1_14partition_implILS5_6ELb0ES3_mN6thrust23THRUST_200600_302600_NS6detail15normal_iteratorINSA_10device_ptrIsEEEEPS6_SG_NS0_5tupleIJNSA_16discard_iteratorINSA_11use_defaultEEES6_EEENSH_IJSG_SG_EEES6_PlJNSB_9not_fun_tI7is_trueIsEEEEEE10hipError_tPvRmT3_T4_T5_T6_T7_T9_mT8_P12ihipStream_tbDpT10_ENKUlT_T0_E_clISt17integral_constantIbLb0EES1A_IbLb1EEEEDaS16_S17_EUlS16_E_NS1_11comp_targetILNS1_3genE9ELNS1_11target_archE1100ELNS1_3gpuE3ELNS1_3repE0EEENS1_30default_config_static_selectorELNS0_4arch9wavefront6targetE0EEEvT1_
                                        ; -- End function
	.set _ZN7rocprim17ROCPRIM_400000_NS6detail17trampoline_kernelINS0_14default_configENS1_25partition_config_selectorILNS1_17partition_subalgoE6EsNS0_10empty_typeEbEEZZNS1_14partition_implILS5_6ELb0ES3_mN6thrust23THRUST_200600_302600_NS6detail15normal_iteratorINSA_10device_ptrIsEEEEPS6_SG_NS0_5tupleIJNSA_16discard_iteratorINSA_11use_defaultEEES6_EEENSH_IJSG_SG_EEES6_PlJNSB_9not_fun_tI7is_trueIsEEEEEE10hipError_tPvRmT3_T4_T5_T6_T7_T9_mT8_P12ihipStream_tbDpT10_ENKUlT_T0_E_clISt17integral_constantIbLb0EES1A_IbLb1EEEEDaS16_S17_EUlS16_E_NS1_11comp_targetILNS1_3genE9ELNS1_11target_archE1100ELNS1_3gpuE3ELNS1_3repE0EEENS1_30default_config_static_selectorELNS0_4arch9wavefront6targetE0EEEvT1_.num_vgpr, 0
	.set _ZN7rocprim17ROCPRIM_400000_NS6detail17trampoline_kernelINS0_14default_configENS1_25partition_config_selectorILNS1_17partition_subalgoE6EsNS0_10empty_typeEbEEZZNS1_14partition_implILS5_6ELb0ES3_mN6thrust23THRUST_200600_302600_NS6detail15normal_iteratorINSA_10device_ptrIsEEEEPS6_SG_NS0_5tupleIJNSA_16discard_iteratorINSA_11use_defaultEEES6_EEENSH_IJSG_SG_EEES6_PlJNSB_9not_fun_tI7is_trueIsEEEEEE10hipError_tPvRmT3_T4_T5_T6_T7_T9_mT8_P12ihipStream_tbDpT10_ENKUlT_T0_E_clISt17integral_constantIbLb0EES1A_IbLb1EEEEDaS16_S17_EUlS16_E_NS1_11comp_targetILNS1_3genE9ELNS1_11target_archE1100ELNS1_3gpuE3ELNS1_3repE0EEENS1_30default_config_static_selectorELNS0_4arch9wavefront6targetE0EEEvT1_.num_agpr, 0
	.set _ZN7rocprim17ROCPRIM_400000_NS6detail17trampoline_kernelINS0_14default_configENS1_25partition_config_selectorILNS1_17partition_subalgoE6EsNS0_10empty_typeEbEEZZNS1_14partition_implILS5_6ELb0ES3_mN6thrust23THRUST_200600_302600_NS6detail15normal_iteratorINSA_10device_ptrIsEEEEPS6_SG_NS0_5tupleIJNSA_16discard_iteratorINSA_11use_defaultEEES6_EEENSH_IJSG_SG_EEES6_PlJNSB_9not_fun_tI7is_trueIsEEEEEE10hipError_tPvRmT3_T4_T5_T6_T7_T9_mT8_P12ihipStream_tbDpT10_ENKUlT_T0_E_clISt17integral_constantIbLb0EES1A_IbLb1EEEEDaS16_S17_EUlS16_E_NS1_11comp_targetILNS1_3genE9ELNS1_11target_archE1100ELNS1_3gpuE3ELNS1_3repE0EEENS1_30default_config_static_selectorELNS0_4arch9wavefront6targetE0EEEvT1_.numbered_sgpr, 0
	.set _ZN7rocprim17ROCPRIM_400000_NS6detail17trampoline_kernelINS0_14default_configENS1_25partition_config_selectorILNS1_17partition_subalgoE6EsNS0_10empty_typeEbEEZZNS1_14partition_implILS5_6ELb0ES3_mN6thrust23THRUST_200600_302600_NS6detail15normal_iteratorINSA_10device_ptrIsEEEEPS6_SG_NS0_5tupleIJNSA_16discard_iteratorINSA_11use_defaultEEES6_EEENSH_IJSG_SG_EEES6_PlJNSB_9not_fun_tI7is_trueIsEEEEEE10hipError_tPvRmT3_T4_T5_T6_T7_T9_mT8_P12ihipStream_tbDpT10_ENKUlT_T0_E_clISt17integral_constantIbLb0EES1A_IbLb1EEEEDaS16_S17_EUlS16_E_NS1_11comp_targetILNS1_3genE9ELNS1_11target_archE1100ELNS1_3gpuE3ELNS1_3repE0EEENS1_30default_config_static_selectorELNS0_4arch9wavefront6targetE0EEEvT1_.num_named_barrier, 0
	.set _ZN7rocprim17ROCPRIM_400000_NS6detail17trampoline_kernelINS0_14default_configENS1_25partition_config_selectorILNS1_17partition_subalgoE6EsNS0_10empty_typeEbEEZZNS1_14partition_implILS5_6ELb0ES3_mN6thrust23THRUST_200600_302600_NS6detail15normal_iteratorINSA_10device_ptrIsEEEEPS6_SG_NS0_5tupleIJNSA_16discard_iteratorINSA_11use_defaultEEES6_EEENSH_IJSG_SG_EEES6_PlJNSB_9not_fun_tI7is_trueIsEEEEEE10hipError_tPvRmT3_T4_T5_T6_T7_T9_mT8_P12ihipStream_tbDpT10_ENKUlT_T0_E_clISt17integral_constantIbLb0EES1A_IbLb1EEEEDaS16_S17_EUlS16_E_NS1_11comp_targetILNS1_3genE9ELNS1_11target_archE1100ELNS1_3gpuE3ELNS1_3repE0EEENS1_30default_config_static_selectorELNS0_4arch9wavefront6targetE0EEEvT1_.private_seg_size, 0
	.set _ZN7rocprim17ROCPRIM_400000_NS6detail17trampoline_kernelINS0_14default_configENS1_25partition_config_selectorILNS1_17partition_subalgoE6EsNS0_10empty_typeEbEEZZNS1_14partition_implILS5_6ELb0ES3_mN6thrust23THRUST_200600_302600_NS6detail15normal_iteratorINSA_10device_ptrIsEEEEPS6_SG_NS0_5tupleIJNSA_16discard_iteratorINSA_11use_defaultEEES6_EEENSH_IJSG_SG_EEES6_PlJNSB_9not_fun_tI7is_trueIsEEEEEE10hipError_tPvRmT3_T4_T5_T6_T7_T9_mT8_P12ihipStream_tbDpT10_ENKUlT_T0_E_clISt17integral_constantIbLb0EES1A_IbLb1EEEEDaS16_S17_EUlS16_E_NS1_11comp_targetILNS1_3genE9ELNS1_11target_archE1100ELNS1_3gpuE3ELNS1_3repE0EEENS1_30default_config_static_selectorELNS0_4arch9wavefront6targetE0EEEvT1_.uses_vcc, 0
	.set _ZN7rocprim17ROCPRIM_400000_NS6detail17trampoline_kernelINS0_14default_configENS1_25partition_config_selectorILNS1_17partition_subalgoE6EsNS0_10empty_typeEbEEZZNS1_14partition_implILS5_6ELb0ES3_mN6thrust23THRUST_200600_302600_NS6detail15normal_iteratorINSA_10device_ptrIsEEEEPS6_SG_NS0_5tupleIJNSA_16discard_iteratorINSA_11use_defaultEEES6_EEENSH_IJSG_SG_EEES6_PlJNSB_9not_fun_tI7is_trueIsEEEEEE10hipError_tPvRmT3_T4_T5_T6_T7_T9_mT8_P12ihipStream_tbDpT10_ENKUlT_T0_E_clISt17integral_constantIbLb0EES1A_IbLb1EEEEDaS16_S17_EUlS16_E_NS1_11comp_targetILNS1_3genE9ELNS1_11target_archE1100ELNS1_3gpuE3ELNS1_3repE0EEENS1_30default_config_static_selectorELNS0_4arch9wavefront6targetE0EEEvT1_.uses_flat_scratch, 0
	.set _ZN7rocprim17ROCPRIM_400000_NS6detail17trampoline_kernelINS0_14default_configENS1_25partition_config_selectorILNS1_17partition_subalgoE6EsNS0_10empty_typeEbEEZZNS1_14partition_implILS5_6ELb0ES3_mN6thrust23THRUST_200600_302600_NS6detail15normal_iteratorINSA_10device_ptrIsEEEEPS6_SG_NS0_5tupleIJNSA_16discard_iteratorINSA_11use_defaultEEES6_EEENSH_IJSG_SG_EEES6_PlJNSB_9not_fun_tI7is_trueIsEEEEEE10hipError_tPvRmT3_T4_T5_T6_T7_T9_mT8_P12ihipStream_tbDpT10_ENKUlT_T0_E_clISt17integral_constantIbLb0EES1A_IbLb1EEEEDaS16_S17_EUlS16_E_NS1_11comp_targetILNS1_3genE9ELNS1_11target_archE1100ELNS1_3gpuE3ELNS1_3repE0EEENS1_30default_config_static_selectorELNS0_4arch9wavefront6targetE0EEEvT1_.has_dyn_sized_stack, 0
	.set _ZN7rocprim17ROCPRIM_400000_NS6detail17trampoline_kernelINS0_14default_configENS1_25partition_config_selectorILNS1_17partition_subalgoE6EsNS0_10empty_typeEbEEZZNS1_14partition_implILS5_6ELb0ES3_mN6thrust23THRUST_200600_302600_NS6detail15normal_iteratorINSA_10device_ptrIsEEEEPS6_SG_NS0_5tupleIJNSA_16discard_iteratorINSA_11use_defaultEEES6_EEENSH_IJSG_SG_EEES6_PlJNSB_9not_fun_tI7is_trueIsEEEEEE10hipError_tPvRmT3_T4_T5_T6_T7_T9_mT8_P12ihipStream_tbDpT10_ENKUlT_T0_E_clISt17integral_constantIbLb0EES1A_IbLb1EEEEDaS16_S17_EUlS16_E_NS1_11comp_targetILNS1_3genE9ELNS1_11target_archE1100ELNS1_3gpuE3ELNS1_3repE0EEENS1_30default_config_static_selectorELNS0_4arch9wavefront6targetE0EEEvT1_.has_recursion, 0
	.set _ZN7rocprim17ROCPRIM_400000_NS6detail17trampoline_kernelINS0_14default_configENS1_25partition_config_selectorILNS1_17partition_subalgoE6EsNS0_10empty_typeEbEEZZNS1_14partition_implILS5_6ELb0ES3_mN6thrust23THRUST_200600_302600_NS6detail15normal_iteratorINSA_10device_ptrIsEEEEPS6_SG_NS0_5tupleIJNSA_16discard_iteratorINSA_11use_defaultEEES6_EEENSH_IJSG_SG_EEES6_PlJNSB_9not_fun_tI7is_trueIsEEEEEE10hipError_tPvRmT3_T4_T5_T6_T7_T9_mT8_P12ihipStream_tbDpT10_ENKUlT_T0_E_clISt17integral_constantIbLb0EES1A_IbLb1EEEEDaS16_S17_EUlS16_E_NS1_11comp_targetILNS1_3genE9ELNS1_11target_archE1100ELNS1_3gpuE3ELNS1_3repE0EEENS1_30default_config_static_selectorELNS0_4arch9wavefront6targetE0EEEvT1_.has_indirect_call, 0
	.section	.AMDGPU.csdata,"",@progbits
; Kernel info:
; codeLenInByte = 0
; TotalNumSgprs: 0
; NumVgprs: 0
; ScratchSize: 0
; MemoryBound: 0
; FloatMode: 240
; IeeeMode: 1
; LDSByteSize: 0 bytes/workgroup (compile time only)
; SGPRBlocks: 0
; VGPRBlocks: 0
; NumSGPRsForWavesPerEU: 1
; NumVGPRsForWavesPerEU: 1
; Occupancy: 16
; WaveLimiterHint : 0
; COMPUTE_PGM_RSRC2:SCRATCH_EN: 0
; COMPUTE_PGM_RSRC2:USER_SGPR: 2
; COMPUTE_PGM_RSRC2:TRAP_HANDLER: 0
; COMPUTE_PGM_RSRC2:TGID_X_EN: 1
; COMPUTE_PGM_RSRC2:TGID_Y_EN: 0
; COMPUTE_PGM_RSRC2:TGID_Z_EN: 0
; COMPUTE_PGM_RSRC2:TIDIG_COMP_CNT: 0
	.section	.text._ZN7rocprim17ROCPRIM_400000_NS6detail17trampoline_kernelINS0_14default_configENS1_25partition_config_selectorILNS1_17partition_subalgoE6EsNS0_10empty_typeEbEEZZNS1_14partition_implILS5_6ELb0ES3_mN6thrust23THRUST_200600_302600_NS6detail15normal_iteratorINSA_10device_ptrIsEEEEPS6_SG_NS0_5tupleIJNSA_16discard_iteratorINSA_11use_defaultEEES6_EEENSH_IJSG_SG_EEES6_PlJNSB_9not_fun_tI7is_trueIsEEEEEE10hipError_tPvRmT3_T4_T5_T6_T7_T9_mT8_P12ihipStream_tbDpT10_ENKUlT_T0_E_clISt17integral_constantIbLb0EES1A_IbLb1EEEEDaS16_S17_EUlS16_E_NS1_11comp_targetILNS1_3genE8ELNS1_11target_archE1030ELNS1_3gpuE2ELNS1_3repE0EEENS1_30default_config_static_selectorELNS0_4arch9wavefront6targetE0EEEvT1_,"axG",@progbits,_ZN7rocprim17ROCPRIM_400000_NS6detail17trampoline_kernelINS0_14default_configENS1_25partition_config_selectorILNS1_17partition_subalgoE6EsNS0_10empty_typeEbEEZZNS1_14partition_implILS5_6ELb0ES3_mN6thrust23THRUST_200600_302600_NS6detail15normal_iteratorINSA_10device_ptrIsEEEEPS6_SG_NS0_5tupleIJNSA_16discard_iteratorINSA_11use_defaultEEES6_EEENSH_IJSG_SG_EEES6_PlJNSB_9not_fun_tI7is_trueIsEEEEEE10hipError_tPvRmT3_T4_T5_T6_T7_T9_mT8_P12ihipStream_tbDpT10_ENKUlT_T0_E_clISt17integral_constantIbLb0EES1A_IbLb1EEEEDaS16_S17_EUlS16_E_NS1_11comp_targetILNS1_3genE8ELNS1_11target_archE1030ELNS1_3gpuE2ELNS1_3repE0EEENS1_30default_config_static_selectorELNS0_4arch9wavefront6targetE0EEEvT1_,comdat
	.protected	_ZN7rocprim17ROCPRIM_400000_NS6detail17trampoline_kernelINS0_14default_configENS1_25partition_config_selectorILNS1_17partition_subalgoE6EsNS0_10empty_typeEbEEZZNS1_14partition_implILS5_6ELb0ES3_mN6thrust23THRUST_200600_302600_NS6detail15normal_iteratorINSA_10device_ptrIsEEEEPS6_SG_NS0_5tupleIJNSA_16discard_iteratorINSA_11use_defaultEEES6_EEENSH_IJSG_SG_EEES6_PlJNSB_9not_fun_tI7is_trueIsEEEEEE10hipError_tPvRmT3_T4_T5_T6_T7_T9_mT8_P12ihipStream_tbDpT10_ENKUlT_T0_E_clISt17integral_constantIbLb0EES1A_IbLb1EEEEDaS16_S17_EUlS16_E_NS1_11comp_targetILNS1_3genE8ELNS1_11target_archE1030ELNS1_3gpuE2ELNS1_3repE0EEENS1_30default_config_static_selectorELNS0_4arch9wavefront6targetE0EEEvT1_ ; -- Begin function _ZN7rocprim17ROCPRIM_400000_NS6detail17trampoline_kernelINS0_14default_configENS1_25partition_config_selectorILNS1_17partition_subalgoE6EsNS0_10empty_typeEbEEZZNS1_14partition_implILS5_6ELb0ES3_mN6thrust23THRUST_200600_302600_NS6detail15normal_iteratorINSA_10device_ptrIsEEEEPS6_SG_NS0_5tupleIJNSA_16discard_iteratorINSA_11use_defaultEEES6_EEENSH_IJSG_SG_EEES6_PlJNSB_9not_fun_tI7is_trueIsEEEEEE10hipError_tPvRmT3_T4_T5_T6_T7_T9_mT8_P12ihipStream_tbDpT10_ENKUlT_T0_E_clISt17integral_constantIbLb0EES1A_IbLb1EEEEDaS16_S17_EUlS16_E_NS1_11comp_targetILNS1_3genE8ELNS1_11target_archE1030ELNS1_3gpuE2ELNS1_3repE0EEENS1_30default_config_static_selectorELNS0_4arch9wavefront6targetE0EEEvT1_
	.globl	_ZN7rocprim17ROCPRIM_400000_NS6detail17trampoline_kernelINS0_14default_configENS1_25partition_config_selectorILNS1_17partition_subalgoE6EsNS0_10empty_typeEbEEZZNS1_14partition_implILS5_6ELb0ES3_mN6thrust23THRUST_200600_302600_NS6detail15normal_iteratorINSA_10device_ptrIsEEEEPS6_SG_NS0_5tupleIJNSA_16discard_iteratorINSA_11use_defaultEEES6_EEENSH_IJSG_SG_EEES6_PlJNSB_9not_fun_tI7is_trueIsEEEEEE10hipError_tPvRmT3_T4_T5_T6_T7_T9_mT8_P12ihipStream_tbDpT10_ENKUlT_T0_E_clISt17integral_constantIbLb0EES1A_IbLb1EEEEDaS16_S17_EUlS16_E_NS1_11comp_targetILNS1_3genE8ELNS1_11target_archE1030ELNS1_3gpuE2ELNS1_3repE0EEENS1_30default_config_static_selectorELNS0_4arch9wavefront6targetE0EEEvT1_
	.p2align	8
	.type	_ZN7rocprim17ROCPRIM_400000_NS6detail17trampoline_kernelINS0_14default_configENS1_25partition_config_selectorILNS1_17partition_subalgoE6EsNS0_10empty_typeEbEEZZNS1_14partition_implILS5_6ELb0ES3_mN6thrust23THRUST_200600_302600_NS6detail15normal_iteratorINSA_10device_ptrIsEEEEPS6_SG_NS0_5tupleIJNSA_16discard_iteratorINSA_11use_defaultEEES6_EEENSH_IJSG_SG_EEES6_PlJNSB_9not_fun_tI7is_trueIsEEEEEE10hipError_tPvRmT3_T4_T5_T6_T7_T9_mT8_P12ihipStream_tbDpT10_ENKUlT_T0_E_clISt17integral_constantIbLb0EES1A_IbLb1EEEEDaS16_S17_EUlS16_E_NS1_11comp_targetILNS1_3genE8ELNS1_11target_archE1030ELNS1_3gpuE2ELNS1_3repE0EEENS1_30default_config_static_selectorELNS0_4arch9wavefront6targetE0EEEvT1_,@function
_ZN7rocprim17ROCPRIM_400000_NS6detail17trampoline_kernelINS0_14default_configENS1_25partition_config_selectorILNS1_17partition_subalgoE6EsNS0_10empty_typeEbEEZZNS1_14partition_implILS5_6ELb0ES3_mN6thrust23THRUST_200600_302600_NS6detail15normal_iteratorINSA_10device_ptrIsEEEEPS6_SG_NS0_5tupleIJNSA_16discard_iteratorINSA_11use_defaultEEES6_EEENSH_IJSG_SG_EEES6_PlJNSB_9not_fun_tI7is_trueIsEEEEEE10hipError_tPvRmT3_T4_T5_T6_T7_T9_mT8_P12ihipStream_tbDpT10_ENKUlT_T0_E_clISt17integral_constantIbLb0EES1A_IbLb1EEEEDaS16_S17_EUlS16_E_NS1_11comp_targetILNS1_3genE8ELNS1_11target_archE1030ELNS1_3gpuE2ELNS1_3repE0EEENS1_30default_config_static_selectorELNS0_4arch9wavefront6targetE0EEEvT1_: ; @_ZN7rocprim17ROCPRIM_400000_NS6detail17trampoline_kernelINS0_14default_configENS1_25partition_config_selectorILNS1_17partition_subalgoE6EsNS0_10empty_typeEbEEZZNS1_14partition_implILS5_6ELb0ES3_mN6thrust23THRUST_200600_302600_NS6detail15normal_iteratorINSA_10device_ptrIsEEEEPS6_SG_NS0_5tupleIJNSA_16discard_iteratorINSA_11use_defaultEEES6_EEENSH_IJSG_SG_EEES6_PlJNSB_9not_fun_tI7is_trueIsEEEEEE10hipError_tPvRmT3_T4_T5_T6_T7_T9_mT8_P12ihipStream_tbDpT10_ENKUlT_T0_E_clISt17integral_constantIbLb0EES1A_IbLb1EEEEDaS16_S17_EUlS16_E_NS1_11comp_targetILNS1_3genE8ELNS1_11target_archE1030ELNS1_3gpuE2ELNS1_3repE0EEENS1_30default_config_static_selectorELNS0_4arch9wavefront6targetE0EEEvT1_
; %bb.0:
	.section	.rodata,"a",@progbits
	.p2align	6, 0x0
	.amdhsa_kernel _ZN7rocprim17ROCPRIM_400000_NS6detail17trampoline_kernelINS0_14default_configENS1_25partition_config_selectorILNS1_17partition_subalgoE6EsNS0_10empty_typeEbEEZZNS1_14partition_implILS5_6ELb0ES3_mN6thrust23THRUST_200600_302600_NS6detail15normal_iteratorINSA_10device_ptrIsEEEEPS6_SG_NS0_5tupleIJNSA_16discard_iteratorINSA_11use_defaultEEES6_EEENSH_IJSG_SG_EEES6_PlJNSB_9not_fun_tI7is_trueIsEEEEEE10hipError_tPvRmT3_T4_T5_T6_T7_T9_mT8_P12ihipStream_tbDpT10_ENKUlT_T0_E_clISt17integral_constantIbLb0EES1A_IbLb1EEEEDaS16_S17_EUlS16_E_NS1_11comp_targetILNS1_3genE8ELNS1_11target_archE1030ELNS1_3gpuE2ELNS1_3repE0EEENS1_30default_config_static_selectorELNS0_4arch9wavefront6targetE0EEEvT1_
		.amdhsa_group_segment_fixed_size 0
		.amdhsa_private_segment_fixed_size 0
		.amdhsa_kernarg_size 136
		.amdhsa_user_sgpr_count 2
		.amdhsa_user_sgpr_dispatch_ptr 0
		.amdhsa_user_sgpr_queue_ptr 0
		.amdhsa_user_sgpr_kernarg_segment_ptr 1
		.amdhsa_user_sgpr_dispatch_id 0
		.amdhsa_user_sgpr_private_segment_size 0
		.amdhsa_wavefront_size32 1
		.amdhsa_uses_dynamic_stack 0
		.amdhsa_enable_private_segment 0
		.amdhsa_system_sgpr_workgroup_id_x 1
		.amdhsa_system_sgpr_workgroup_id_y 0
		.amdhsa_system_sgpr_workgroup_id_z 0
		.amdhsa_system_sgpr_workgroup_info 0
		.amdhsa_system_vgpr_workitem_id 0
		.amdhsa_next_free_vgpr 1
		.amdhsa_next_free_sgpr 1
		.amdhsa_reserve_vcc 0
		.amdhsa_float_round_mode_32 0
		.amdhsa_float_round_mode_16_64 0
		.amdhsa_float_denorm_mode_32 3
		.amdhsa_float_denorm_mode_16_64 3
		.amdhsa_fp16_overflow 0
		.amdhsa_workgroup_processor_mode 1
		.amdhsa_memory_ordered 1
		.amdhsa_forward_progress 1
		.amdhsa_inst_pref_size 0
		.amdhsa_round_robin_scheduling 0
		.amdhsa_exception_fp_ieee_invalid_op 0
		.amdhsa_exception_fp_denorm_src 0
		.amdhsa_exception_fp_ieee_div_zero 0
		.amdhsa_exception_fp_ieee_overflow 0
		.amdhsa_exception_fp_ieee_underflow 0
		.amdhsa_exception_fp_ieee_inexact 0
		.amdhsa_exception_int_div_zero 0
	.end_amdhsa_kernel
	.section	.text._ZN7rocprim17ROCPRIM_400000_NS6detail17trampoline_kernelINS0_14default_configENS1_25partition_config_selectorILNS1_17partition_subalgoE6EsNS0_10empty_typeEbEEZZNS1_14partition_implILS5_6ELb0ES3_mN6thrust23THRUST_200600_302600_NS6detail15normal_iteratorINSA_10device_ptrIsEEEEPS6_SG_NS0_5tupleIJNSA_16discard_iteratorINSA_11use_defaultEEES6_EEENSH_IJSG_SG_EEES6_PlJNSB_9not_fun_tI7is_trueIsEEEEEE10hipError_tPvRmT3_T4_T5_T6_T7_T9_mT8_P12ihipStream_tbDpT10_ENKUlT_T0_E_clISt17integral_constantIbLb0EES1A_IbLb1EEEEDaS16_S17_EUlS16_E_NS1_11comp_targetILNS1_3genE8ELNS1_11target_archE1030ELNS1_3gpuE2ELNS1_3repE0EEENS1_30default_config_static_selectorELNS0_4arch9wavefront6targetE0EEEvT1_,"axG",@progbits,_ZN7rocprim17ROCPRIM_400000_NS6detail17trampoline_kernelINS0_14default_configENS1_25partition_config_selectorILNS1_17partition_subalgoE6EsNS0_10empty_typeEbEEZZNS1_14partition_implILS5_6ELb0ES3_mN6thrust23THRUST_200600_302600_NS6detail15normal_iteratorINSA_10device_ptrIsEEEEPS6_SG_NS0_5tupleIJNSA_16discard_iteratorINSA_11use_defaultEEES6_EEENSH_IJSG_SG_EEES6_PlJNSB_9not_fun_tI7is_trueIsEEEEEE10hipError_tPvRmT3_T4_T5_T6_T7_T9_mT8_P12ihipStream_tbDpT10_ENKUlT_T0_E_clISt17integral_constantIbLb0EES1A_IbLb1EEEEDaS16_S17_EUlS16_E_NS1_11comp_targetILNS1_3genE8ELNS1_11target_archE1030ELNS1_3gpuE2ELNS1_3repE0EEENS1_30default_config_static_selectorELNS0_4arch9wavefront6targetE0EEEvT1_,comdat
.Lfunc_end2332:
	.size	_ZN7rocprim17ROCPRIM_400000_NS6detail17trampoline_kernelINS0_14default_configENS1_25partition_config_selectorILNS1_17partition_subalgoE6EsNS0_10empty_typeEbEEZZNS1_14partition_implILS5_6ELb0ES3_mN6thrust23THRUST_200600_302600_NS6detail15normal_iteratorINSA_10device_ptrIsEEEEPS6_SG_NS0_5tupleIJNSA_16discard_iteratorINSA_11use_defaultEEES6_EEENSH_IJSG_SG_EEES6_PlJNSB_9not_fun_tI7is_trueIsEEEEEE10hipError_tPvRmT3_T4_T5_T6_T7_T9_mT8_P12ihipStream_tbDpT10_ENKUlT_T0_E_clISt17integral_constantIbLb0EES1A_IbLb1EEEEDaS16_S17_EUlS16_E_NS1_11comp_targetILNS1_3genE8ELNS1_11target_archE1030ELNS1_3gpuE2ELNS1_3repE0EEENS1_30default_config_static_selectorELNS0_4arch9wavefront6targetE0EEEvT1_, .Lfunc_end2332-_ZN7rocprim17ROCPRIM_400000_NS6detail17trampoline_kernelINS0_14default_configENS1_25partition_config_selectorILNS1_17partition_subalgoE6EsNS0_10empty_typeEbEEZZNS1_14partition_implILS5_6ELb0ES3_mN6thrust23THRUST_200600_302600_NS6detail15normal_iteratorINSA_10device_ptrIsEEEEPS6_SG_NS0_5tupleIJNSA_16discard_iteratorINSA_11use_defaultEEES6_EEENSH_IJSG_SG_EEES6_PlJNSB_9not_fun_tI7is_trueIsEEEEEE10hipError_tPvRmT3_T4_T5_T6_T7_T9_mT8_P12ihipStream_tbDpT10_ENKUlT_T0_E_clISt17integral_constantIbLb0EES1A_IbLb1EEEEDaS16_S17_EUlS16_E_NS1_11comp_targetILNS1_3genE8ELNS1_11target_archE1030ELNS1_3gpuE2ELNS1_3repE0EEENS1_30default_config_static_selectorELNS0_4arch9wavefront6targetE0EEEvT1_
                                        ; -- End function
	.set _ZN7rocprim17ROCPRIM_400000_NS6detail17trampoline_kernelINS0_14default_configENS1_25partition_config_selectorILNS1_17partition_subalgoE6EsNS0_10empty_typeEbEEZZNS1_14partition_implILS5_6ELb0ES3_mN6thrust23THRUST_200600_302600_NS6detail15normal_iteratorINSA_10device_ptrIsEEEEPS6_SG_NS0_5tupleIJNSA_16discard_iteratorINSA_11use_defaultEEES6_EEENSH_IJSG_SG_EEES6_PlJNSB_9not_fun_tI7is_trueIsEEEEEE10hipError_tPvRmT3_T4_T5_T6_T7_T9_mT8_P12ihipStream_tbDpT10_ENKUlT_T0_E_clISt17integral_constantIbLb0EES1A_IbLb1EEEEDaS16_S17_EUlS16_E_NS1_11comp_targetILNS1_3genE8ELNS1_11target_archE1030ELNS1_3gpuE2ELNS1_3repE0EEENS1_30default_config_static_selectorELNS0_4arch9wavefront6targetE0EEEvT1_.num_vgpr, 0
	.set _ZN7rocprim17ROCPRIM_400000_NS6detail17trampoline_kernelINS0_14default_configENS1_25partition_config_selectorILNS1_17partition_subalgoE6EsNS0_10empty_typeEbEEZZNS1_14partition_implILS5_6ELb0ES3_mN6thrust23THRUST_200600_302600_NS6detail15normal_iteratorINSA_10device_ptrIsEEEEPS6_SG_NS0_5tupleIJNSA_16discard_iteratorINSA_11use_defaultEEES6_EEENSH_IJSG_SG_EEES6_PlJNSB_9not_fun_tI7is_trueIsEEEEEE10hipError_tPvRmT3_T4_T5_T6_T7_T9_mT8_P12ihipStream_tbDpT10_ENKUlT_T0_E_clISt17integral_constantIbLb0EES1A_IbLb1EEEEDaS16_S17_EUlS16_E_NS1_11comp_targetILNS1_3genE8ELNS1_11target_archE1030ELNS1_3gpuE2ELNS1_3repE0EEENS1_30default_config_static_selectorELNS0_4arch9wavefront6targetE0EEEvT1_.num_agpr, 0
	.set _ZN7rocprim17ROCPRIM_400000_NS6detail17trampoline_kernelINS0_14default_configENS1_25partition_config_selectorILNS1_17partition_subalgoE6EsNS0_10empty_typeEbEEZZNS1_14partition_implILS5_6ELb0ES3_mN6thrust23THRUST_200600_302600_NS6detail15normal_iteratorINSA_10device_ptrIsEEEEPS6_SG_NS0_5tupleIJNSA_16discard_iteratorINSA_11use_defaultEEES6_EEENSH_IJSG_SG_EEES6_PlJNSB_9not_fun_tI7is_trueIsEEEEEE10hipError_tPvRmT3_T4_T5_T6_T7_T9_mT8_P12ihipStream_tbDpT10_ENKUlT_T0_E_clISt17integral_constantIbLb0EES1A_IbLb1EEEEDaS16_S17_EUlS16_E_NS1_11comp_targetILNS1_3genE8ELNS1_11target_archE1030ELNS1_3gpuE2ELNS1_3repE0EEENS1_30default_config_static_selectorELNS0_4arch9wavefront6targetE0EEEvT1_.numbered_sgpr, 0
	.set _ZN7rocprim17ROCPRIM_400000_NS6detail17trampoline_kernelINS0_14default_configENS1_25partition_config_selectorILNS1_17partition_subalgoE6EsNS0_10empty_typeEbEEZZNS1_14partition_implILS5_6ELb0ES3_mN6thrust23THRUST_200600_302600_NS6detail15normal_iteratorINSA_10device_ptrIsEEEEPS6_SG_NS0_5tupleIJNSA_16discard_iteratorINSA_11use_defaultEEES6_EEENSH_IJSG_SG_EEES6_PlJNSB_9not_fun_tI7is_trueIsEEEEEE10hipError_tPvRmT3_T4_T5_T6_T7_T9_mT8_P12ihipStream_tbDpT10_ENKUlT_T0_E_clISt17integral_constantIbLb0EES1A_IbLb1EEEEDaS16_S17_EUlS16_E_NS1_11comp_targetILNS1_3genE8ELNS1_11target_archE1030ELNS1_3gpuE2ELNS1_3repE0EEENS1_30default_config_static_selectorELNS0_4arch9wavefront6targetE0EEEvT1_.num_named_barrier, 0
	.set _ZN7rocprim17ROCPRIM_400000_NS6detail17trampoline_kernelINS0_14default_configENS1_25partition_config_selectorILNS1_17partition_subalgoE6EsNS0_10empty_typeEbEEZZNS1_14partition_implILS5_6ELb0ES3_mN6thrust23THRUST_200600_302600_NS6detail15normal_iteratorINSA_10device_ptrIsEEEEPS6_SG_NS0_5tupleIJNSA_16discard_iteratorINSA_11use_defaultEEES6_EEENSH_IJSG_SG_EEES6_PlJNSB_9not_fun_tI7is_trueIsEEEEEE10hipError_tPvRmT3_T4_T5_T6_T7_T9_mT8_P12ihipStream_tbDpT10_ENKUlT_T0_E_clISt17integral_constantIbLb0EES1A_IbLb1EEEEDaS16_S17_EUlS16_E_NS1_11comp_targetILNS1_3genE8ELNS1_11target_archE1030ELNS1_3gpuE2ELNS1_3repE0EEENS1_30default_config_static_selectorELNS0_4arch9wavefront6targetE0EEEvT1_.private_seg_size, 0
	.set _ZN7rocprim17ROCPRIM_400000_NS6detail17trampoline_kernelINS0_14default_configENS1_25partition_config_selectorILNS1_17partition_subalgoE6EsNS0_10empty_typeEbEEZZNS1_14partition_implILS5_6ELb0ES3_mN6thrust23THRUST_200600_302600_NS6detail15normal_iteratorINSA_10device_ptrIsEEEEPS6_SG_NS0_5tupleIJNSA_16discard_iteratorINSA_11use_defaultEEES6_EEENSH_IJSG_SG_EEES6_PlJNSB_9not_fun_tI7is_trueIsEEEEEE10hipError_tPvRmT3_T4_T5_T6_T7_T9_mT8_P12ihipStream_tbDpT10_ENKUlT_T0_E_clISt17integral_constantIbLb0EES1A_IbLb1EEEEDaS16_S17_EUlS16_E_NS1_11comp_targetILNS1_3genE8ELNS1_11target_archE1030ELNS1_3gpuE2ELNS1_3repE0EEENS1_30default_config_static_selectorELNS0_4arch9wavefront6targetE0EEEvT1_.uses_vcc, 0
	.set _ZN7rocprim17ROCPRIM_400000_NS6detail17trampoline_kernelINS0_14default_configENS1_25partition_config_selectorILNS1_17partition_subalgoE6EsNS0_10empty_typeEbEEZZNS1_14partition_implILS5_6ELb0ES3_mN6thrust23THRUST_200600_302600_NS6detail15normal_iteratorINSA_10device_ptrIsEEEEPS6_SG_NS0_5tupleIJNSA_16discard_iteratorINSA_11use_defaultEEES6_EEENSH_IJSG_SG_EEES6_PlJNSB_9not_fun_tI7is_trueIsEEEEEE10hipError_tPvRmT3_T4_T5_T6_T7_T9_mT8_P12ihipStream_tbDpT10_ENKUlT_T0_E_clISt17integral_constantIbLb0EES1A_IbLb1EEEEDaS16_S17_EUlS16_E_NS1_11comp_targetILNS1_3genE8ELNS1_11target_archE1030ELNS1_3gpuE2ELNS1_3repE0EEENS1_30default_config_static_selectorELNS0_4arch9wavefront6targetE0EEEvT1_.uses_flat_scratch, 0
	.set _ZN7rocprim17ROCPRIM_400000_NS6detail17trampoline_kernelINS0_14default_configENS1_25partition_config_selectorILNS1_17partition_subalgoE6EsNS0_10empty_typeEbEEZZNS1_14partition_implILS5_6ELb0ES3_mN6thrust23THRUST_200600_302600_NS6detail15normal_iteratorINSA_10device_ptrIsEEEEPS6_SG_NS0_5tupleIJNSA_16discard_iteratorINSA_11use_defaultEEES6_EEENSH_IJSG_SG_EEES6_PlJNSB_9not_fun_tI7is_trueIsEEEEEE10hipError_tPvRmT3_T4_T5_T6_T7_T9_mT8_P12ihipStream_tbDpT10_ENKUlT_T0_E_clISt17integral_constantIbLb0EES1A_IbLb1EEEEDaS16_S17_EUlS16_E_NS1_11comp_targetILNS1_3genE8ELNS1_11target_archE1030ELNS1_3gpuE2ELNS1_3repE0EEENS1_30default_config_static_selectorELNS0_4arch9wavefront6targetE0EEEvT1_.has_dyn_sized_stack, 0
	.set _ZN7rocprim17ROCPRIM_400000_NS6detail17trampoline_kernelINS0_14default_configENS1_25partition_config_selectorILNS1_17partition_subalgoE6EsNS0_10empty_typeEbEEZZNS1_14partition_implILS5_6ELb0ES3_mN6thrust23THRUST_200600_302600_NS6detail15normal_iteratorINSA_10device_ptrIsEEEEPS6_SG_NS0_5tupleIJNSA_16discard_iteratorINSA_11use_defaultEEES6_EEENSH_IJSG_SG_EEES6_PlJNSB_9not_fun_tI7is_trueIsEEEEEE10hipError_tPvRmT3_T4_T5_T6_T7_T9_mT8_P12ihipStream_tbDpT10_ENKUlT_T0_E_clISt17integral_constantIbLb0EES1A_IbLb1EEEEDaS16_S17_EUlS16_E_NS1_11comp_targetILNS1_3genE8ELNS1_11target_archE1030ELNS1_3gpuE2ELNS1_3repE0EEENS1_30default_config_static_selectorELNS0_4arch9wavefront6targetE0EEEvT1_.has_recursion, 0
	.set _ZN7rocprim17ROCPRIM_400000_NS6detail17trampoline_kernelINS0_14default_configENS1_25partition_config_selectorILNS1_17partition_subalgoE6EsNS0_10empty_typeEbEEZZNS1_14partition_implILS5_6ELb0ES3_mN6thrust23THRUST_200600_302600_NS6detail15normal_iteratorINSA_10device_ptrIsEEEEPS6_SG_NS0_5tupleIJNSA_16discard_iteratorINSA_11use_defaultEEES6_EEENSH_IJSG_SG_EEES6_PlJNSB_9not_fun_tI7is_trueIsEEEEEE10hipError_tPvRmT3_T4_T5_T6_T7_T9_mT8_P12ihipStream_tbDpT10_ENKUlT_T0_E_clISt17integral_constantIbLb0EES1A_IbLb1EEEEDaS16_S17_EUlS16_E_NS1_11comp_targetILNS1_3genE8ELNS1_11target_archE1030ELNS1_3gpuE2ELNS1_3repE0EEENS1_30default_config_static_selectorELNS0_4arch9wavefront6targetE0EEEvT1_.has_indirect_call, 0
	.section	.AMDGPU.csdata,"",@progbits
; Kernel info:
; codeLenInByte = 0
; TotalNumSgprs: 0
; NumVgprs: 0
; ScratchSize: 0
; MemoryBound: 0
; FloatMode: 240
; IeeeMode: 1
; LDSByteSize: 0 bytes/workgroup (compile time only)
; SGPRBlocks: 0
; VGPRBlocks: 0
; NumSGPRsForWavesPerEU: 1
; NumVGPRsForWavesPerEU: 1
; Occupancy: 16
; WaveLimiterHint : 0
; COMPUTE_PGM_RSRC2:SCRATCH_EN: 0
; COMPUTE_PGM_RSRC2:USER_SGPR: 2
; COMPUTE_PGM_RSRC2:TRAP_HANDLER: 0
; COMPUTE_PGM_RSRC2:TGID_X_EN: 1
; COMPUTE_PGM_RSRC2:TGID_Y_EN: 0
; COMPUTE_PGM_RSRC2:TGID_Z_EN: 0
; COMPUTE_PGM_RSRC2:TIDIG_COMP_CNT: 0
	.section	.text._ZN7rocprim17ROCPRIM_400000_NS6detail17trampoline_kernelINS0_14default_configENS1_25partition_config_selectorILNS1_17partition_subalgoE5EdNS0_10empty_typeEbEEZZNS1_14partition_implILS5_5ELb0ES3_mN6thrust23THRUST_200600_302600_NS6detail15normal_iteratorINSA_10device_ptrIdEEEEPS6_NSA_18transform_iteratorINSB_9not_fun_tI7is_trueIdEEENSC_INSD_IbEEEENSA_11use_defaultESO_EENS0_5tupleIJSF_S6_EEENSQ_IJSG_SG_EEES6_PlJS6_EEE10hipError_tPvRmT3_T4_T5_T6_T7_T9_mT8_P12ihipStream_tbDpT10_ENKUlT_T0_E_clISt17integral_constantIbLb0EES1D_EEDaS18_S19_EUlS18_E_NS1_11comp_targetILNS1_3genE0ELNS1_11target_archE4294967295ELNS1_3gpuE0ELNS1_3repE0EEENS1_30default_config_static_selectorELNS0_4arch9wavefront6targetE0EEEvT1_,"axG",@progbits,_ZN7rocprim17ROCPRIM_400000_NS6detail17trampoline_kernelINS0_14default_configENS1_25partition_config_selectorILNS1_17partition_subalgoE5EdNS0_10empty_typeEbEEZZNS1_14partition_implILS5_5ELb0ES3_mN6thrust23THRUST_200600_302600_NS6detail15normal_iteratorINSA_10device_ptrIdEEEEPS6_NSA_18transform_iteratorINSB_9not_fun_tI7is_trueIdEEENSC_INSD_IbEEEENSA_11use_defaultESO_EENS0_5tupleIJSF_S6_EEENSQ_IJSG_SG_EEES6_PlJS6_EEE10hipError_tPvRmT3_T4_T5_T6_T7_T9_mT8_P12ihipStream_tbDpT10_ENKUlT_T0_E_clISt17integral_constantIbLb0EES1D_EEDaS18_S19_EUlS18_E_NS1_11comp_targetILNS1_3genE0ELNS1_11target_archE4294967295ELNS1_3gpuE0ELNS1_3repE0EEENS1_30default_config_static_selectorELNS0_4arch9wavefront6targetE0EEEvT1_,comdat
	.protected	_ZN7rocprim17ROCPRIM_400000_NS6detail17trampoline_kernelINS0_14default_configENS1_25partition_config_selectorILNS1_17partition_subalgoE5EdNS0_10empty_typeEbEEZZNS1_14partition_implILS5_5ELb0ES3_mN6thrust23THRUST_200600_302600_NS6detail15normal_iteratorINSA_10device_ptrIdEEEEPS6_NSA_18transform_iteratorINSB_9not_fun_tI7is_trueIdEEENSC_INSD_IbEEEENSA_11use_defaultESO_EENS0_5tupleIJSF_S6_EEENSQ_IJSG_SG_EEES6_PlJS6_EEE10hipError_tPvRmT3_T4_T5_T6_T7_T9_mT8_P12ihipStream_tbDpT10_ENKUlT_T0_E_clISt17integral_constantIbLb0EES1D_EEDaS18_S19_EUlS18_E_NS1_11comp_targetILNS1_3genE0ELNS1_11target_archE4294967295ELNS1_3gpuE0ELNS1_3repE0EEENS1_30default_config_static_selectorELNS0_4arch9wavefront6targetE0EEEvT1_ ; -- Begin function _ZN7rocprim17ROCPRIM_400000_NS6detail17trampoline_kernelINS0_14default_configENS1_25partition_config_selectorILNS1_17partition_subalgoE5EdNS0_10empty_typeEbEEZZNS1_14partition_implILS5_5ELb0ES3_mN6thrust23THRUST_200600_302600_NS6detail15normal_iteratorINSA_10device_ptrIdEEEEPS6_NSA_18transform_iteratorINSB_9not_fun_tI7is_trueIdEEENSC_INSD_IbEEEENSA_11use_defaultESO_EENS0_5tupleIJSF_S6_EEENSQ_IJSG_SG_EEES6_PlJS6_EEE10hipError_tPvRmT3_T4_T5_T6_T7_T9_mT8_P12ihipStream_tbDpT10_ENKUlT_T0_E_clISt17integral_constantIbLb0EES1D_EEDaS18_S19_EUlS18_E_NS1_11comp_targetILNS1_3genE0ELNS1_11target_archE4294967295ELNS1_3gpuE0ELNS1_3repE0EEENS1_30default_config_static_selectorELNS0_4arch9wavefront6targetE0EEEvT1_
	.globl	_ZN7rocprim17ROCPRIM_400000_NS6detail17trampoline_kernelINS0_14default_configENS1_25partition_config_selectorILNS1_17partition_subalgoE5EdNS0_10empty_typeEbEEZZNS1_14partition_implILS5_5ELb0ES3_mN6thrust23THRUST_200600_302600_NS6detail15normal_iteratorINSA_10device_ptrIdEEEEPS6_NSA_18transform_iteratorINSB_9not_fun_tI7is_trueIdEEENSC_INSD_IbEEEENSA_11use_defaultESO_EENS0_5tupleIJSF_S6_EEENSQ_IJSG_SG_EEES6_PlJS6_EEE10hipError_tPvRmT3_T4_T5_T6_T7_T9_mT8_P12ihipStream_tbDpT10_ENKUlT_T0_E_clISt17integral_constantIbLb0EES1D_EEDaS18_S19_EUlS18_E_NS1_11comp_targetILNS1_3genE0ELNS1_11target_archE4294967295ELNS1_3gpuE0ELNS1_3repE0EEENS1_30default_config_static_selectorELNS0_4arch9wavefront6targetE0EEEvT1_
	.p2align	8
	.type	_ZN7rocprim17ROCPRIM_400000_NS6detail17trampoline_kernelINS0_14default_configENS1_25partition_config_selectorILNS1_17partition_subalgoE5EdNS0_10empty_typeEbEEZZNS1_14partition_implILS5_5ELb0ES3_mN6thrust23THRUST_200600_302600_NS6detail15normal_iteratorINSA_10device_ptrIdEEEEPS6_NSA_18transform_iteratorINSB_9not_fun_tI7is_trueIdEEENSC_INSD_IbEEEENSA_11use_defaultESO_EENS0_5tupleIJSF_S6_EEENSQ_IJSG_SG_EEES6_PlJS6_EEE10hipError_tPvRmT3_T4_T5_T6_T7_T9_mT8_P12ihipStream_tbDpT10_ENKUlT_T0_E_clISt17integral_constantIbLb0EES1D_EEDaS18_S19_EUlS18_E_NS1_11comp_targetILNS1_3genE0ELNS1_11target_archE4294967295ELNS1_3gpuE0ELNS1_3repE0EEENS1_30default_config_static_selectorELNS0_4arch9wavefront6targetE0EEEvT1_,@function
_ZN7rocprim17ROCPRIM_400000_NS6detail17trampoline_kernelINS0_14default_configENS1_25partition_config_selectorILNS1_17partition_subalgoE5EdNS0_10empty_typeEbEEZZNS1_14partition_implILS5_5ELb0ES3_mN6thrust23THRUST_200600_302600_NS6detail15normal_iteratorINSA_10device_ptrIdEEEEPS6_NSA_18transform_iteratorINSB_9not_fun_tI7is_trueIdEEENSC_INSD_IbEEEENSA_11use_defaultESO_EENS0_5tupleIJSF_S6_EEENSQ_IJSG_SG_EEES6_PlJS6_EEE10hipError_tPvRmT3_T4_T5_T6_T7_T9_mT8_P12ihipStream_tbDpT10_ENKUlT_T0_E_clISt17integral_constantIbLb0EES1D_EEDaS18_S19_EUlS18_E_NS1_11comp_targetILNS1_3genE0ELNS1_11target_archE4294967295ELNS1_3gpuE0ELNS1_3repE0EEENS1_30default_config_static_selectorELNS0_4arch9wavefront6targetE0EEEvT1_: ; @_ZN7rocprim17ROCPRIM_400000_NS6detail17trampoline_kernelINS0_14default_configENS1_25partition_config_selectorILNS1_17partition_subalgoE5EdNS0_10empty_typeEbEEZZNS1_14partition_implILS5_5ELb0ES3_mN6thrust23THRUST_200600_302600_NS6detail15normal_iteratorINSA_10device_ptrIdEEEEPS6_NSA_18transform_iteratorINSB_9not_fun_tI7is_trueIdEEENSC_INSD_IbEEEENSA_11use_defaultESO_EENS0_5tupleIJSF_S6_EEENSQ_IJSG_SG_EEES6_PlJS6_EEE10hipError_tPvRmT3_T4_T5_T6_T7_T9_mT8_P12ihipStream_tbDpT10_ENKUlT_T0_E_clISt17integral_constantIbLb0EES1D_EEDaS18_S19_EUlS18_E_NS1_11comp_targetILNS1_3genE0ELNS1_11target_archE4294967295ELNS1_3gpuE0ELNS1_3repE0EEENS1_30default_config_static_selectorELNS0_4arch9wavefront6targetE0EEEvT1_
; %bb.0:
	.section	.rodata,"a",@progbits
	.p2align	6, 0x0
	.amdhsa_kernel _ZN7rocprim17ROCPRIM_400000_NS6detail17trampoline_kernelINS0_14default_configENS1_25partition_config_selectorILNS1_17partition_subalgoE5EdNS0_10empty_typeEbEEZZNS1_14partition_implILS5_5ELb0ES3_mN6thrust23THRUST_200600_302600_NS6detail15normal_iteratorINSA_10device_ptrIdEEEEPS6_NSA_18transform_iteratorINSB_9not_fun_tI7is_trueIdEEENSC_INSD_IbEEEENSA_11use_defaultESO_EENS0_5tupleIJSF_S6_EEENSQ_IJSG_SG_EEES6_PlJS6_EEE10hipError_tPvRmT3_T4_T5_T6_T7_T9_mT8_P12ihipStream_tbDpT10_ENKUlT_T0_E_clISt17integral_constantIbLb0EES1D_EEDaS18_S19_EUlS18_E_NS1_11comp_targetILNS1_3genE0ELNS1_11target_archE4294967295ELNS1_3gpuE0ELNS1_3repE0EEENS1_30default_config_static_selectorELNS0_4arch9wavefront6targetE0EEEvT1_
		.amdhsa_group_segment_fixed_size 0
		.amdhsa_private_segment_fixed_size 0
		.amdhsa_kernarg_size 120
		.amdhsa_user_sgpr_count 2
		.amdhsa_user_sgpr_dispatch_ptr 0
		.amdhsa_user_sgpr_queue_ptr 0
		.amdhsa_user_sgpr_kernarg_segment_ptr 1
		.amdhsa_user_sgpr_dispatch_id 0
		.amdhsa_user_sgpr_private_segment_size 0
		.amdhsa_wavefront_size32 1
		.amdhsa_uses_dynamic_stack 0
		.amdhsa_enable_private_segment 0
		.amdhsa_system_sgpr_workgroup_id_x 1
		.amdhsa_system_sgpr_workgroup_id_y 0
		.amdhsa_system_sgpr_workgroup_id_z 0
		.amdhsa_system_sgpr_workgroup_info 0
		.amdhsa_system_vgpr_workitem_id 0
		.amdhsa_next_free_vgpr 1
		.amdhsa_next_free_sgpr 1
		.amdhsa_reserve_vcc 0
		.amdhsa_float_round_mode_32 0
		.amdhsa_float_round_mode_16_64 0
		.amdhsa_float_denorm_mode_32 3
		.amdhsa_float_denorm_mode_16_64 3
		.amdhsa_fp16_overflow 0
		.amdhsa_workgroup_processor_mode 1
		.amdhsa_memory_ordered 1
		.amdhsa_forward_progress 1
		.amdhsa_inst_pref_size 0
		.amdhsa_round_robin_scheduling 0
		.amdhsa_exception_fp_ieee_invalid_op 0
		.amdhsa_exception_fp_denorm_src 0
		.amdhsa_exception_fp_ieee_div_zero 0
		.amdhsa_exception_fp_ieee_overflow 0
		.amdhsa_exception_fp_ieee_underflow 0
		.amdhsa_exception_fp_ieee_inexact 0
		.amdhsa_exception_int_div_zero 0
	.end_amdhsa_kernel
	.section	.text._ZN7rocprim17ROCPRIM_400000_NS6detail17trampoline_kernelINS0_14default_configENS1_25partition_config_selectorILNS1_17partition_subalgoE5EdNS0_10empty_typeEbEEZZNS1_14partition_implILS5_5ELb0ES3_mN6thrust23THRUST_200600_302600_NS6detail15normal_iteratorINSA_10device_ptrIdEEEEPS6_NSA_18transform_iteratorINSB_9not_fun_tI7is_trueIdEEENSC_INSD_IbEEEENSA_11use_defaultESO_EENS0_5tupleIJSF_S6_EEENSQ_IJSG_SG_EEES6_PlJS6_EEE10hipError_tPvRmT3_T4_T5_T6_T7_T9_mT8_P12ihipStream_tbDpT10_ENKUlT_T0_E_clISt17integral_constantIbLb0EES1D_EEDaS18_S19_EUlS18_E_NS1_11comp_targetILNS1_3genE0ELNS1_11target_archE4294967295ELNS1_3gpuE0ELNS1_3repE0EEENS1_30default_config_static_selectorELNS0_4arch9wavefront6targetE0EEEvT1_,"axG",@progbits,_ZN7rocprim17ROCPRIM_400000_NS6detail17trampoline_kernelINS0_14default_configENS1_25partition_config_selectorILNS1_17partition_subalgoE5EdNS0_10empty_typeEbEEZZNS1_14partition_implILS5_5ELb0ES3_mN6thrust23THRUST_200600_302600_NS6detail15normal_iteratorINSA_10device_ptrIdEEEEPS6_NSA_18transform_iteratorINSB_9not_fun_tI7is_trueIdEEENSC_INSD_IbEEEENSA_11use_defaultESO_EENS0_5tupleIJSF_S6_EEENSQ_IJSG_SG_EEES6_PlJS6_EEE10hipError_tPvRmT3_T4_T5_T6_T7_T9_mT8_P12ihipStream_tbDpT10_ENKUlT_T0_E_clISt17integral_constantIbLb0EES1D_EEDaS18_S19_EUlS18_E_NS1_11comp_targetILNS1_3genE0ELNS1_11target_archE4294967295ELNS1_3gpuE0ELNS1_3repE0EEENS1_30default_config_static_selectorELNS0_4arch9wavefront6targetE0EEEvT1_,comdat
.Lfunc_end2333:
	.size	_ZN7rocprim17ROCPRIM_400000_NS6detail17trampoline_kernelINS0_14default_configENS1_25partition_config_selectorILNS1_17partition_subalgoE5EdNS0_10empty_typeEbEEZZNS1_14partition_implILS5_5ELb0ES3_mN6thrust23THRUST_200600_302600_NS6detail15normal_iteratorINSA_10device_ptrIdEEEEPS6_NSA_18transform_iteratorINSB_9not_fun_tI7is_trueIdEEENSC_INSD_IbEEEENSA_11use_defaultESO_EENS0_5tupleIJSF_S6_EEENSQ_IJSG_SG_EEES6_PlJS6_EEE10hipError_tPvRmT3_T4_T5_T6_T7_T9_mT8_P12ihipStream_tbDpT10_ENKUlT_T0_E_clISt17integral_constantIbLb0EES1D_EEDaS18_S19_EUlS18_E_NS1_11comp_targetILNS1_3genE0ELNS1_11target_archE4294967295ELNS1_3gpuE0ELNS1_3repE0EEENS1_30default_config_static_selectorELNS0_4arch9wavefront6targetE0EEEvT1_, .Lfunc_end2333-_ZN7rocprim17ROCPRIM_400000_NS6detail17trampoline_kernelINS0_14default_configENS1_25partition_config_selectorILNS1_17partition_subalgoE5EdNS0_10empty_typeEbEEZZNS1_14partition_implILS5_5ELb0ES3_mN6thrust23THRUST_200600_302600_NS6detail15normal_iteratorINSA_10device_ptrIdEEEEPS6_NSA_18transform_iteratorINSB_9not_fun_tI7is_trueIdEEENSC_INSD_IbEEEENSA_11use_defaultESO_EENS0_5tupleIJSF_S6_EEENSQ_IJSG_SG_EEES6_PlJS6_EEE10hipError_tPvRmT3_T4_T5_T6_T7_T9_mT8_P12ihipStream_tbDpT10_ENKUlT_T0_E_clISt17integral_constantIbLb0EES1D_EEDaS18_S19_EUlS18_E_NS1_11comp_targetILNS1_3genE0ELNS1_11target_archE4294967295ELNS1_3gpuE0ELNS1_3repE0EEENS1_30default_config_static_selectorELNS0_4arch9wavefront6targetE0EEEvT1_
                                        ; -- End function
	.set _ZN7rocprim17ROCPRIM_400000_NS6detail17trampoline_kernelINS0_14default_configENS1_25partition_config_selectorILNS1_17partition_subalgoE5EdNS0_10empty_typeEbEEZZNS1_14partition_implILS5_5ELb0ES3_mN6thrust23THRUST_200600_302600_NS6detail15normal_iteratorINSA_10device_ptrIdEEEEPS6_NSA_18transform_iteratorINSB_9not_fun_tI7is_trueIdEEENSC_INSD_IbEEEENSA_11use_defaultESO_EENS0_5tupleIJSF_S6_EEENSQ_IJSG_SG_EEES6_PlJS6_EEE10hipError_tPvRmT3_T4_T5_T6_T7_T9_mT8_P12ihipStream_tbDpT10_ENKUlT_T0_E_clISt17integral_constantIbLb0EES1D_EEDaS18_S19_EUlS18_E_NS1_11comp_targetILNS1_3genE0ELNS1_11target_archE4294967295ELNS1_3gpuE0ELNS1_3repE0EEENS1_30default_config_static_selectorELNS0_4arch9wavefront6targetE0EEEvT1_.num_vgpr, 0
	.set _ZN7rocprim17ROCPRIM_400000_NS6detail17trampoline_kernelINS0_14default_configENS1_25partition_config_selectorILNS1_17partition_subalgoE5EdNS0_10empty_typeEbEEZZNS1_14partition_implILS5_5ELb0ES3_mN6thrust23THRUST_200600_302600_NS6detail15normal_iteratorINSA_10device_ptrIdEEEEPS6_NSA_18transform_iteratorINSB_9not_fun_tI7is_trueIdEEENSC_INSD_IbEEEENSA_11use_defaultESO_EENS0_5tupleIJSF_S6_EEENSQ_IJSG_SG_EEES6_PlJS6_EEE10hipError_tPvRmT3_T4_T5_T6_T7_T9_mT8_P12ihipStream_tbDpT10_ENKUlT_T0_E_clISt17integral_constantIbLb0EES1D_EEDaS18_S19_EUlS18_E_NS1_11comp_targetILNS1_3genE0ELNS1_11target_archE4294967295ELNS1_3gpuE0ELNS1_3repE0EEENS1_30default_config_static_selectorELNS0_4arch9wavefront6targetE0EEEvT1_.num_agpr, 0
	.set _ZN7rocprim17ROCPRIM_400000_NS6detail17trampoline_kernelINS0_14default_configENS1_25partition_config_selectorILNS1_17partition_subalgoE5EdNS0_10empty_typeEbEEZZNS1_14partition_implILS5_5ELb0ES3_mN6thrust23THRUST_200600_302600_NS6detail15normal_iteratorINSA_10device_ptrIdEEEEPS6_NSA_18transform_iteratorINSB_9not_fun_tI7is_trueIdEEENSC_INSD_IbEEEENSA_11use_defaultESO_EENS0_5tupleIJSF_S6_EEENSQ_IJSG_SG_EEES6_PlJS6_EEE10hipError_tPvRmT3_T4_T5_T6_T7_T9_mT8_P12ihipStream_tbDpT10_ENKUlT_T0_E_clISt17integral_constantIbLb0EES1D_EEDaS18_S19_EUlS18_E_NS1_11comp_targetILNS1_3genE0ELNS1_11target_archE4294967295ELNS1_3gpuE0ELNS1_3repE0EEENS1_30default_config_static_selectorELNS0_4arch9wavefront6targetE0EEEvT1_.numbered_sgpr, 0
	.set _ZN7rocprim17ROCPRIM_400000_NS6detail17trampoline_kernelINS0_14default_configENS1_25partition_config_selectorILNS1_17partition_subalgoE5EdNS0_10empty_typeEbEEZZNS1_14partition_implILS5_5ELb0ES3_mN6thrust23THRUST_200600_302600_NS6detail15normal_iteratorINSA_10device_ptrIdEEEEPS6_NSA_18transform_iteratorINSB_9not_fun_tI7is_trueIdEEENSC_INSD_IbEEEENSA_11use_defaultESO_EENS0_5tupleIJSF_S6_EEENSQ_IJSG_SG_EEES6_PlJS6_EEE10hipError_tPvRmT3_T4_T5_T6_T7_T9_mT8_P12ihipStream_tbDpT10_ENKUlT_T0_E_clISt17integral_constantIbLb0EES1D_EEDaS18_S19_EUlS18_E_NS1_11comp_targetILNS1_3genE0ELNS1_11target_archE4294967295ELNS1_3gpuE0ELNS1_3repE0EEENS1_30default_config_static_selectorELNS0_4arch9wavefront6targetE0EEEvT1_.num_named_barrier, 0
	.set _ZN7rocprim17ROCPRIM_400000_NS6detail17trampoline_kernelINS0_14default_configENS1_25partition_config_selectorILNS1_17partition_subalgoE5EdNS0_10empty_typeEbEEZZNS1_14partition_implILS5_5ELb0ES3_mN6thrust23THRUST_200600_302600_NS6detail15normal_iteratorINSA_10device_ptrIdEEEEPS6_NSA_18transform_iteratorINSB_9not_fun_tI7is_trueIdEEENSC_INSD_IbEEEENSA_11use_defaultESO_EENS0_5tupleIJSF_S6_EEENSQ_IJSG_SG_EEES6_PlJS6_EEE10hipError_tPvRmT3_T4_T5_T6_T7_T9_mT8_P12ihipStream_tbDpT10_ENKUlT_T0_E_clISt17integral_constantIbLb0EES1D_EEDaS18_S19_EUlS18_E_NS1_11comp_targetILNS1_3genE0ELNS1_11target_archE4294967295ELNS1_3gpuE0ELNS1_3repE0EEENS1_30default_config_static_selectorELNS0_4arch9wavefront6targetE0EEEvT1_.private_seg_size, 0
	.set _ZN7rocprim17ROCPRIM_400000_NS6detail17trampoline_kernelINS0_14default_configENS1_25partition_config_selectorILNS1_17partition_subalgoE5EdNS0_10empty_typeEbEEZZNS1_14partition_implILS5_5ELb0ES3_mN6thrust23THRUST_200600_302600_NS6detail15normal_iteratorINSA_10device_ptrIdEEEEPS6_NSA_18transform_iteratorINSB_9not_fun_tI7is_trueIdEEENSC_INSD_IbEEEENSA_11use_defaultESO_EENS0_5tupleIJSF_S6_EEENSQ_IJSG_SG_EEES6_PlJS6_EEE10hipError_tPvRmT3_T4_T5_T6_T7_T9_mT8_P12ihipStream_tbDpT10_ENKUlT_T0_E_clISt17integral_constantIbLb0EES1D_EEDaS18_S19_EUlS18_E_NS1_11comp_targetILNS1_3genE0ELNS1_11target_archE4294967295ELNS1_3gpuE0ELNS1_3repE0EEENS1_30default_config_static_selectorELNS0_4arch9wavefront6targetE0EEEvT1_.uses_vcc, 0
	.set _ZN7rocprim17ROCPRIM_400000_NS6detail17trampoline_kernelINS0_14default_configENS1_25partition_config_selectorILNS1_17partition_subalgoE5EdNS0_10empty_typeEbEEZZNS1_14partition_implILS5_5ELb0ES3_mN6thrust23THRUST_200600_302600_NS6detail15normal_iteratorINSA_10device_ptrIdEEEEPS6_NSA_18transform_iteratorINSB_9not_fun_tI7is_trueIdEEENSC_INSD_IbEEEENSA_11use_defaultESO_EENS0_5tupleIJSF_S6_EEENSQ_IJSG_SG_EEES6_PlJS6_EEE10hipError_tPvRmT3_T4_T5_T6_T7_T9_mT8_P12ihipStream_tbDpT10_ENKUlT_T0_E_clISt17integral_constantIbLb0EES1D_EEDaS18_S19_EUlS18_E_NS1_11comp_targetILNS1_3genE0ELNS1_11target_archE4294967295ELNS1_3gpuE0ELNS1_3repE0EEENS1_30default_config_static_selectorELNS0_4arch9wavefront6targetE0EEEvT1_.uses_flat_scratch, 0
	.set _ZN7rocprim17ROCPRIM_400000_NS6detail17trampoline_kernelINS0_14default_configENS1_25partition_config_selectorILNS1_17partition_subalgoE5EdNS0_10empty_typeEbEEZZNS1_14partition_implILS5_5ELb0ES3_mN6thrust23THRUST_200600_302600_NS6detail15normal_iteratorINSA_10device_ptrIdEEEEPS6_NSA_18transform_iteratorINSB_9not_fun_tI7is_trueIdEEENSC_INSD_IbEEEENSA_11use_defaultESO_EENS0_5tupleIJSF_S6_EEENSQ_IJSG_SG_EEES6_PlJS6_EEE10hipError_tPvRmT3_T4_T5_T6_T7_T9_mT8_P12ihipStream_tbDpT10_ENKUlT_T0_E_clISt17integral_constantIbLb0EES1D_EEDaS18_S19_EUlS18_E_NS1_11comp_targetILNS1_3genE0ELNS1_11target_archE4294967295ELNS1_3gpuE0ELNS1_3repE0EEENS1_30default_config_static_selectorELNS0_4arch9wavefront6targetE0EEEvT1_.has_dyn_sized_stack, 0
	.set _ZN7rocprim17ROCPRIM_400000_NS6detail17trampoline_kernelINS0_14default_configENS1_25partition_config_selectorILNS1_17partition_subalgoE5EdNS0_10empty_typeEbEEZZNS1_14partition_implILS5_5ELb0ES3_mN6thrust23THRUST_200600_302600_NS6detail15normal_iteratorINSA_10device_ptrIdEEEEPS6_NSA_18transform_iteratorINSB_9not_fun_tI7is_trueIdEEENSC_INSD_IbEEEENSA_11use_defaultESO_EENS0_5tupleIJSF_S6_EEENSQ_IJSG_SG_EEES6_PlJS6_EEE10hipError_tPvRmT3_T4_T5_T6_T7_T9_mT8_P12ihipStream_tbDpT10_ENKUlT_T0_E_clISt17integral_constantIbLb0EES1D_EEDaS18_S19_EUlS18_E_NS1_11comp_targetILNS1_3genE0ELNS1_11target_archE4294967295ELNS1_3gpuE0ELNS1_3repE0EEENS1_30default_config_static_selectorELNS0_4arch9wavefront6targetE0EEEvT1_.has_recursion, 0
	.set _ZN7rocprim17ROCPRIM_400000_NS6detail17trampoline_kernelINS0_14default_configENS1_25partition_config_selectorILNS1_17partition_subalgoE5EdNS0_10empty_typeEbEEZZNS1_14partition_implILS5_5ELb0ES3_mN6thrust23THRUST_200600_302600_NS6detail15normal_iteratorINSA_10device_ptrIdEEEEPS6_NSA_18transform_iteratorINSB_9not_fun_tI7is_trueIdEEENSC_INSD_IbEEEENSA_11use_defaultESO_EENS0_5tupleIJSF_S6_EEENSQ_IJSG_SG_EEES6_PlJS6_EEE10hipError_tPvRmT3_T4_T5_T6_T7_T9_mT8_P12ihipStream_tbDpT10_ENKUlT_T0_E_clISt17integral_constantIbLb0EES1D_EEDaS18_S19_EUlS18_E_NS1_11comp_targetILNS1_3genE0ELNS1_11target_archE4294967295ELNS1_3gpuE0ELNS1_3repE0EEENS1_30default_config_static_selectorELNS0_4arch9wavefront6targetE0EEEvT1_.has_indirect_call, 0
	.section	.AMDGPU.csdata,"",@progbits
; Kernel info:
; codeLenInByte = 0
; TotalNumSgprs: 0
; NumVgprs: 0
; ScratchSize: 0
; MemoryBound: 0
; FloatMode: 240
; IeeeMode: 1
; LDSByteSize: 0 bytes/workgroup (compile time only)
; SGPRBlocks: 0
; VGPRBlocks: 0
; NumSGPRsForWavesPerEU: 1
; NumVGPRsForWavesPerEU: 1
; Occupancy: 16
; WaveLimiterHint : 0
; COMPUTE_PGM_RSRC2:SCRATCH_EN: 0
; COMPUTE_PGM_RSRC2:USER_SGPR: 2
; COMPUTE_PGM_RSRC2:TRAP_HANDLER: 0
; COMPUTE_PGM_RSRC2:TGID_X_EN: 1
; COMPUTE_PGM_RSRC2:TGID_Y_EN: 0
; COMPUTE_PGM_RSRC2:TGID_Z_EN: 0
; COMPUTE_PGM_RSRC2:TIDIG_COMP_CNT: 0
	.section	.text._ZN7rocprim17ROCPRIM_400000_NS6detail17trampoline_kernelINS0_14default_configENS1_25partition_config_selectorILNS1_17partition_subalgoE5EdNS0_10empty_typeEbEEZZNS1_14partition_implILS5_5ELb0ES3_mN6thrust23THRUST_200600_302600_NS6detail15normal_iteratorINSA_10device_ptrIdEEEEPS6_NSA_18transform_iteratorINSB_9not_fun_tI7is_trueIdEEENSC_INSD_IbEEEENSA_11use_defaultESO_EENS0_5tupleIJSF_S6_EEENSQ_IJSG_SG_EEES6_PlJS6_EEE10hipError_tPvRmT3_T4_T5_T6_T7_T9_mT8_P12ihipStream_tbDpT10_ENKUlT_T0_E_clISt17integral_constantIbLb0EES1D_EEDaS18_S19_EUlS18_E_NS1_11comp_targetILNS1_3genE5ELNS1_11target_archE942ELNS1_3gpuE9ELNS1_3repE0EEENS1_30default_config_static_selectorELNS0_4arch9wavefront6targetE0EEEvT1_,"axG",@progbits,_ZN7rocprim17ROCPRIM_400000_NS6detail17trampoline_kernelINS0_14default_configENS1_25partition_config_selectorILNS1_17partition_subalgoE5EdNS0_10empty_typeEbEEZZNS1_14partition_implILS5_5ELb0ES3_mN6thrust23THRUST_200600_302600_NS6detail15normal_iteratorINSA_10device_ptrIdEEEEPS6_NSA_18transform_iteratorINSB_9not_fun_tI7is_trueIdEEENSC_INSD_IbEEEENSA_11use_defaultESO_EENS0_5tupleIJSF_S6_EEENSQ_IJSG_SG_EEES6_PlJS6_EEE10hipError_tPvRmT3_T4_T5_T6_T7_T9_mT8_P12ihipStream_tbDpT10_ENKUlT_T0_E_clISt17integral_constantIbLb0EES1D_EEDaS18_S19_EUlS18_E_NS1_11comp_targetILNS1_3genE5ELNS1_11target_archE942ELNS1_3gpuE9ELNS1_3repE0EEENS1_30default_config_static_selectorELNS0_4arch9wavefront6targetE0EEEvT1_,comdat
	.protected	_ZN7rocprim17ROCPRIM_400000_NS6detail17trampoline_kernelINS0_14default_configENS1_25partition_config_selectorILNS1_17partition_subalgoE5EdNS0_10empty_typeEbEEZZNS1_14partition_implILS5_5ELb0ES3_mN6thrust23THRUST_200600_302600_NS6detail15normal_iteratorINSA_10device_ptrIdEEEEPS6_NSA_18transform_iteratorINSB_9not_fun_tI7is_trueIdEEENSC_INSD_IbEEEENSA_11use_defaultESO_EENS0_5tupleIJSF_S6_EEENSQ_IJSG_SG_EEES6_PlJS6_EEE10hipError_tPvRmT3_T4_T5_T6_T7_T9_mT8_P12ihipStream_tbDpT10_ENKUlT_T0_E_clISt17integral_constantIbLb0EES1D_EEDaS18_S19_EUlS18_E_NS1_11comp_targetILNS1_3genE5ELNS1_11target_archE942ELNS1_3gpuE9ELNS1_3repE0EEENS1_30default_config_static_selectorELNS0_4arch9wavefront6targetE0EEEvT1_ ; -- Begin function _ZN7rocprim17ROCPRIM_400000_NS6detail17trampoline_kernelINS0_14default_configENS1_25partition_config_selectorILNS1_17partition_subalgoE5EdNS0_10empty_typeEbEEZZNS1_14partition_implILS5_5ELb0ES3_mN6thrust23THRUST_200600_302600_NS6detail15normal_iteratorINSA_10device_ptrIdEEEEPS6_NSA_18transform_iteratorINSB_9not_fun_tI7is_trueIdEEENSC_INSD_IbEEEENSA_11use_defaultESO_EENS0_5tupleIJSF_S6_EEENSQ_IJSG_SG_EEES6_PlJS6_EEE10hipError_tPvRmT3_T4_T5_T6_T7_T9_mT8_P12ihipStream_tbDpT10_ENKUlT_T0_E_clISt17integral_constantIbLb0EES1D_EEDaS18_S19_EUlS18_E_NS1_11comp_targetILNS1_3genE5ELNS1_11target_archE942ELNS1_3gpuE9ELNS1_3repE0EEENS1_30default_config_static_selectorELNS0_4arch9wavefront6targetE0EEEvT1_
	.globl	_ZN7rocprim17ROCPRIM_400000_NS6detail17trampoline_kernelINS0_14default_configENS1_25partition_config_selectorILNS1_17partition_subalgoE5EdNS0_10empty_typeEbEEZZNS1_14partition_implILS5_5ELb0ES3_mN6thrust23THRUST_200600_302600_NS6detail15normal_iteratorINSA_10device_ptrIdEEEEPS6_NSA_18transform_iteratorINSB_9not_fun_tI7is_trueIdEEENSC_INSD_IbEEEENSA_11use_defaultESO_EENS0_5tupleIJSF_S6_EEENSQ_IJSG_SG_EEES6_PlJS6_EEE10hipError_tPvRmT3_T4_T5_T6_T7_T9_mT8_P12ihipStream_tbDpT10_ENKUlT_T0_E_clISt17integral_constantIbLb0EES1D_EEDaS18_S19_EUlS18_E_NS1_11comp_targetILNS1_3genE5ELNS1_11target_archE942ELNS1_3gpuE9ELNS1_3repE0EEENS1_30default_config_static_selectorELNS0_4arch9wavefront6targetE0EEEvT1_
	.p2align	8
	.type	_ZN7rocprim17ROCPRIM_400000_NS6detail17trampoline_kernelINS0_14default_configENS1_25partition_config_selectorILNS1_17partition_subalgoE5EdNS0_10empty_typeEbEEZZNS1_14partition_implILS5_5ELb0ES3_mN6thrust23THRUST_200600_302600_NS6detail15normal_iteratorINSA_10device_ptrIdEEEEPS6_NSA_18transform_iteratorINSB_9not_fun_tI7is_trueIdEEENSC_INSD_IbEEEENSA_11use_defaultESO_EENS0_5tupleIJSF_S6_EEENSQ_IJSG_SG_EEES6_PlJS6_EEE10hipError_tPvRmT3_T4_T5_T6_T7_T9_mT8_P12ihipStream_tbDpT10_ENKUlT_T0_E_clISt17integral_constantIbLb0EES1D_EEDaS18_S19_EUlS18_E_NS1_11comp_targetILNS1_3genE5ELNS1_11target_archE942ELNS1_3gpuE9ELNS1_3repE0EEENS1_30default_config_static_selectorELNS0_4arch9wavefront6targetE0EEEvT1_,@function
_ZN7rocprim17ROCPRIM_400000_NS6detail17trampoline_kernelINS0_14default_configENS1_25partition_config_selectorILNS1_17partition_subalgoE5EdNS0_10empty_typeEbEEZZNS1_14partition_implILS5_5ELb0ES3_mN6thrust23THRUST_200600_302600_NS6detail15normal_iteratorINSA_10device_ptrIdEEEEPS6_NSA_18transform_iteratorINSB_9not_fun_tI7is_trueIdEEENSC_INSD_IbEEEENSA_11use_defaultESO_EENS0_5tupleIJSF_S6_EEENSQ_IJSG_SG_EEES6_PlJS6_EEE10hipError_tPvRmT3_T4_T5_T6_T7_T9_mT8_P12ihipStream_tbDpT10_ENKUlT_T0_E_clISt17integral_constantIbLb0EES1D_EEDaS18_S19_EUlS18_E_NS1_11comp_targetILNS1_3genE5ELNS1_11target_archE942ELNS1_3gpuE9ELNS1_3repE0EEENS1_30default_config_static_selectorELNS0_4arch9wavefront6targetE0EEEvT1_: ; @_ZN7rocprim17ROCPRIM_400000_NS6detail17trampoline_kernelINS0_14default_configENS1_25partition_config_selectorILNS1_17partition_subalgoE5EdNS0_10empty_typeEbEEZZNS1_14partition_implILS5_5ELb0ES3_mN6thrust23THRUST_200600_302600_NS6detail15normal_iteratorINSA_10device_ptrIdEEEEPS6_NSA_18transform_iteratorINSB_9not_fun_tI7is_trueIdEEENSC_INSD_IbEEEENSA_11use_defaultESO_EENS0_5tupleIJSF_S6_EEENSQ_IJSG_SG_EEES6_PlJS6_EEE10hipError_tPvRmT3_T4_T5_T6_T7_T9_mT8_P12ihipStream_tbDpT10_ENKUlT_T0_E_clISt17integral_constantIbLb0EES1D_EEDaS18_S19_EUlS18_E_NS1_11comp_targetILNS1_3genE5ELNS1_11target_archE942ELNS1_3gpuE9ELNS1_3repE0EEENS1_30default_config_static_selectorELNS0_4arch9wavefront6targetE0EEEvT1_
; %bb.0:
	.section	.rodata,"a",@progbits
	.p2align	6, 0x0
	.amdhsa_kernel _ZN7rocprim17ROCPRIM_400000_NS6detail17trampoline_kernelINS0_14default_configENS1_25partition_config_selectorILNS1_17partition_subalgoE5EdNS0_10empty_typeEbEEZZNS1_14partition_implILS5_5ELb0ES3_mN6thrust23THRUST_200600_302600_NS6detail15normal_iteratorINSA_10device_ptrIdEEEEPS6_NSA_18transform_iteratorINSB_9not_fun_tI7is_trueIdEEENSC_INSD_IbEEEENSA_11use_defaultESO_EENS0_5tupleIJSF_S6_EEENSQ_IJSG_SG_EEES6_PlJS6_EEE10hipError_tPvRmT3_T4_T5_T6_T7_T9_mT8_P12ihipStream_tbDpT10_ENKUlT_T0_E_clISt17integral_constantIbLb0EES1D_EEDaS18_S19_EUlS18_E_NS1_11comp_targetILNS1_3genE5ELNS1_11target_archE942ELNS1_3gpuE9ELNS1_3repE0EEENS1_30default_config_static_selectorELNS0_4arch9wavefront6targetE0EEEvT1_
		.amdhsa_group_segment_fixed_size 0
		.amdhsa_private_segment_fixed_size 0
		.amdhsa_kernarg_size 120
		.amdhsa_user_sgpr_count 2
		.amdhsa_user_sgpr_dispatch_ptr 0
		.amdhsa_user_sgpr_queue_ptr 0
		.amdhsa_user_sgpr_kernarg_segment_ptr 1
		.amdhsa_user_sgpr_dispatch_id 0
		.amdhsa_user_sgpr_private_segment_size 0
		.amdhsa_wavefront_size32 1
		.amdhsa_uses_dynamic_stack 0
		.amdhsa_enable_private_segment 0
		.amdhsa_system_sgpr_workgroup_id_x 1
		.amdhsa_system_sgpr_workgroup_id_y 0
		.amdhsa_system_sgpr_workgroup_id_z 0
		.amdhsa_system_sgpr_workgroup_info 0
		.amdhsa_system_vgpr_workitem_id 0
		.amdhsa_next_free_vgpr 1
		.amdhsa_next_free_sgpr 1
		.amdhsa_reserve_vcc 0
		.amdhsa_float_round_mode_32 0
		.amdhsa_float_round_mode_16_64 0
		.amdhsa_float_denorm_mode_32 3
		.amdhsa_float_denorm_mode_16_64 3
		.amdhsa_fp16_overflow 0
		.amdhsa_workgroup_processor_mode 1
		.amdhsa_memory_ordered 1
		.amdhsa_forward_progress 1
		.amdhsa_inst_pref_size 0
		.amdhsa_round_robin_scheduling 0
		.amdhsa_exception_fp_ieee_invalid_op 0
		.amdhsa_exception_fp_denorm_src 0
		.amdhsa_exception_fp_ieee_div_zero 0
		.amdhsa_exception_fp_ieee_overflow 0
		.amdhsa_exception_fp_ieee_underflow 0
		.amdhsa_exception_fp_ieee_inexact 0
		.amdhsa_exception_int_div_zero 0
	.end_amdhsa_kernel
	.section	.text._ZN7rocprim17ROCPRIM_400000_NS6detail17trampoline_kernelINS0_14default_configENS1_25partition_config_selectorILNS1_17partition_subalgoE5EdNS0_10empty_typeEbEEZZNS1_14partition_implILS5_5ELb0ES3_mN6thrust23THRUST_200600_302600_NS6detail15normal_iteratorINSA_10device_ptrIdEEEEPS6_NSA_18transform_iteratorINSB_9not_fun_tI7is_trueIdEEENSC_INSD_IbEEEENSA_11use_defaultESO_EENS0_5tupleIJSF_S6_EEENSQ_IJSG_SG_EEES6_PlJS6_EEE10hipError_tPvRmT3_T4_T5_T6_T7_T9_mT8_P12ihipStream_tbDpT10_ENKUlT_T0_E_clISt17integral_constantIbLb0EES1D_EEDaS18_S19_EUlS18_E_NS1_11comp_targetILNS1_3genE5ELNS1_11target_archE942ELNS1_3gpuE9ELNS1_3repE0EEENS1_30default_config_static_selectorELNS0_4arch9wavefront6targetE0EEEvT1_,"axG",@progbits,_ZN7rocprim17ROCPRIM_400000_NS6detail17trampoline_kernelINS0_14default_configENS1_25partition_config_selectorILNS1_17partition_subalgoE5EdNS0_10empty_typeEbEEZZNS1_14partition_implILS5_5ELb0ES3_mN6thrust23THRUST_200600_302600_NS6detail15normal_iteratorINSA_10device_ptrIdEEEEPS6_NSA_18transform_iteratorINSB_9not_fun_tI7is_trueIdEEENSC_INSD_IbEEEENSA_11use_defaultESO_EENS0_5tupleIJSF_S6_EEENSQ_IJSG_SG_EEES6_PlJS6_EEE10hipError_tPvRmT3_T4_T5_T6_T7_T9_mT8_P12ihipStream_tbDpT10_ENKUlT_T0_E_clISt17integral_constantIbLb0EES1D_EEDaS18_S19_EUlS18_E_NS1_11comp_targetILNS1_3genE5ELNS1_11target_archE942ELNS1_3gpuE9ELNS1_3repE0EEENS1_30default_config_static_selectorELNS0_4arch9wavefront6targetE0EEEvT1_,comdat
.Lfunc_end2334:
	.size	_ZN7rocprim17ROCPRIM_400000_NS6detail17trampoline_kernelINS0_14default_configENS1_25partition_config_selectorILNS1_17partition_subalgoE5EdNS0_10empty_typeEbEEZZNS1_14partition_implILS5_5ELb0ES3_mN6thrust23THRUST_200600_302600_NS6detail15normal_iteratorINSA_10device_ptrIdEEEEPS6_NSA_18transform_iteratorINSB_9not_fun_tI7is_trueIdEEENSC_INSD_IbEEEENSA_11use_defaultESO_EENS0_5tupleIJSF_S6_EEENSQ_IJSG_SG_EEES6_PlJS6_EEE10hipError_tPvRmT3_T4_T5_T6_T7_T9_mT8_P12ihipStream_tbDpT10_ENKUlT_T0_E_clISt17integral_constantIbLb0EES1D_EEDaS18_S19_EUlS18_E_NS1_11comp_targetILNS1_3genE5ELNS1_11target_archE942ELNS1_3gpuE9ELNS1_3repE0EEENS1_30default_config_static_selectorELNS0_4arch9wavefront6targetE0EEEvT1_, .Lfunc_end2334-_ZN7rocprim17ROCPRIM_400000_NS6detail17trampoline_kernelINS0_14default_configENS1_25partition_config_selectorILNS1_17partition_subalgoE5EdNS0_10empty_typeEbEEZZNS1_14partition_implILS5_5ELb0ES3_mN6thrust23THRUST_200600_302600_NS6detail15normal_iteratorINSA_10device_ptrIdEEEEPS6_NSA_18transform_iteratorINSB_9not_fun_tI7is_trueIdEEENSC_INSD_IbEEEENSA_11use_defaultESO_EENS0_5tupleIJSF_S6_EEENSQ_IJSG_SG_EEES6_PlJS6_EEE10hipError_tPvRmT3_T4_T5_T6_T7_T9_mT8_P12ihipStream_tbDpT10_ENKUlT_T0_E_clISt17integral_constantIbLb0EES1D_EEDaS18_S19_EUlS18_E_NS1_11comp_targetILNS1_3genE5ELNS1_11target_archE942ELNS1_3gpuE9ELNS1_3repE0EEENS1_30default_config_static_selectorELNS0_4arch9wavefront6targetE0EEEvT1_
                                        ; -- End function
	.set _ZN7rocprim17ROCPRIM_400000_NS6detail17trampoline_kernelINS0_14default_configENS1_25partition_config_selectorILNS1_17partition_subalgoE5EdNS0_10empty_typeEbEEZZNS1_14partition_implILS5_5ELb0ES3_mN6thrust23THRUST_200600_302600_NS6detail15normal_iteratorINSA_10device_ptrIdEEEEPS6_NSA_18transform_iteratorINSB_9not_fun_tI7is_trueIdEEENSC_INSD_IbEEEENSA_11use_defaultESO_EENS0_5tupleIJSF_S6_EEENSQ_IJSG_SG_EEES6_PlJS6_EEE10hipError_tPvRmT3_T4_T5_T6_T7_T9_mT8_P12ihipStream_tbDpT10_ENKUlT_T0_E_clISt17integral_constantIbLb0EES1D_EEDaS18_S19_EUlS18_E_NS1_11comp_targetILNS1_3genE5ELNS1_11target_archE942ELNS1_3gpuE9ELNS1_3repE0EEENS1_30default_config_static_selectorELNS0_4arch9wavefront6targetE0EEEvT1_.num_vgpr, 0
	.set _ZN7rocprim17ROCPRIM_400000_NS6detail17trampoline_kernelINS0_14default_configENS1_25partition_config_selectorILNS1_17partition_subalgoE5EdNS0_10empty_typeEbEEZZNS1_14partition_implILS5_5ELb0ES3_mN6thrust23THRUST_200600_302600_NS6detail15normal_iteratorINSA_10device_ptrIdEEEEPS6_NSA_18transform_iteratorINSB_9not_fun_tI7is_trueIdEEENSC_INSD_IbEEEENSA_11use_defaultESO_EENS0_5tupleIJSF_S6_EEENSQ_IJSG_SG_EEES6_PlJS6_EEE10hipError_tPvRmT3_T4_T5_T6_T7_T9_mT8_P12ihipStream_tbDpT10_ENKUlT_T0_E_clISt17integral_constantIbLb0EES1D_EEDaS18_S19_EUlS18_E_NS1_11comp_targetILNS1_3genE5ELNS1_11target_archE942ELNS1_3gpuE9ELNS1_3repE0EEENS1_30default_config_static_selectorELNS0_4arch9wavefront6targetE0EEEvT1_.num_agpr, 0
	.set _ZN7rocprim17ROCPRIM_400000_NS6detail17trampoline_kernelINS0_14default_configENS1_25partition_config_selectorILNS1_17partition_subalgoE5EdNS0_10empty_typeEbEEZZNS1_14partition_implILS5_5ELb0ES3_mN6thrust23THRUST_200600_302600_NS6detail15normal_iteratorINSA_10device_ptrIdEEEEPS6_NSA_18transform_iteratorINSB_9not_fun_tI7is_trueIdEEENSC_INSD_IbEEEENSA_11use_defaultESO_EENS0_5tupleIJSF_S6_EEENSQ_IJSG_SG_EEES6_PlJS6_EEE10hipError_tPvRmT3_T4_T5_T6_T7_T9_mT8_P12ihipStream_tbDpT10_ENKUlT_T0_E_clISt17integral_constantIbLb0EES1D_EEDaS18_S19_EUlS18_E_NS1_11comp_targetILNS1_3genE5ELNS1_11target_archE942ELNS1_3gpuE9ELNS1_3repE0EEENS1_30default_config_static_selectorELNS0_4arch9wavefront6targetE0EEEvT1_.numbered_sgpr, 0
	.set _ZN7rocprim17ROCPRIM_400000_NS6detail17trampoline_kernelINS0_14default_configENS1_25partition_config_selectorILNS1_17partition_subalgoE5EdNS0_10empty_typeEbEEZZNS1_14partition_implILS5_5ELb0ES3_mN6thrust23THRUST_200600_302600_NS6detail15normal_iteratorINSA_10device_ptrIdEEEEPS6_NSA_18transform_iteratorINSB_9not_fun_tI7is_trueIdEEENSC_INSD_IbEEEENSA_11use_defaultESO_EENS0_5tupleIJSF_S6_EEENSQ_IJSG_SG_EEES6_PlJS6_EEE10hipError_tPvRmT3_T4_T5_T6_T7_T9_mT8_P12ihipStream_tbDpT10_ENKUlT_T0_E_clISt17integral_constantIbLb0EES1D_EEDaS18_S19_EUlS18_E_NS1_11comp_targetILNS1_3genE5ELNS1_11target_archE942ELNS1_3gpuE9ELNS1_3repE0EEENS1_30default_config_static_selectorELNS0_4arch9wavefront6targetE0EEEvT1_.num_named_barrier, 0
	.set _ZN7rocprim17ROCPRIM_400000_NS6detail17trampoline_kernelINS0_14default_configENS1_25partition_config_selectorILNS1_17partition_subalgoE5EdNS0_10empty_typeEbEEZZNS1_14partition_implILS5_5ELb0ES3_mN6thrust23THRUST_200600_302600_NS6detail15normal_iteratorINSA_10device_ptrIdEEEEPS6_NSA_18transform_iteratorINSB_9not_fun_tI7is_trueIdEEENSC_INSD_IbEEEENSA_11use_defaultESO_EENS0_5tupleIJSF_S6_EEENSQ_IJSG_SG_EEES6_PlJS6_EEE10hipError_tPvRmT3_T4_T5_T6_T7_T9_mT8_P12ihipStream_tbDpT10_ENKUlT_T0_E_clISt17integral_constantIbLb0EES1D_EEDaS18_S19_EUlS18_E_NS1_11comp_targetILNS1_3genE5ELNS1_11target_archE942ELNS1_3gpuE9ELNS1_3repE0EEENS1_30default_config_static_selectorELNS0_4arch9wavefront6targetE0EEEvT1_.private_seg_size, 0
	.set _ZN7rocprim17ROCPRIM_400000_NS6detail17trampoline_kernelINS0_14default_configENS1_25partition_config_selectorILNS1_17partition_subalgoE5EdNS0_10empty_typeEbEEZZNS1_14partition_implILS5_5ELb0ES3_mN6thrust23THRUST_200600_302600_NS6detail15normal_iteratorINSA_10device_ptrIdEEEEPS6_NSA_18transform_iteratorINSB_9not_fun_tI7is_trueIdEEENSC_INSD_IbEEEENSA_11use_defaultESO_EENS0_5tupleIJSF_S6_EEENSQ_IJSG_SG_EEES6_PlJS6_EEE10hipError_tPvRmT3_T4_T5_T6_T7_T9_mT8_P12ihipStream_tbDpT10_ENKUlT_T0_E_clISt17integral_constantIbLb0EES1D_EEDaS18_S19_EUlS18_E_NS1_11comp_targetILNS1_3genE5ELNS1_11target_archE942ELNS1_3gpuE9ELNS1_3repE0EEENS1_30default_config_static_selectorELNS0_4arch9wavefront6targetE0EEEvT1_.uses_vcc, 0
	.set _ZN7rocprim17ROCPRIM_400000_NS6detail17trampoline_kernelINS0_14default_configENS1_25partition_config_selectorILNS1_17partition_subalgoE5EdNS0_10empty_typeEbEEZZNS1_14partition_implILS5_5ELb0ES3_mN6thrust23THRUST_200600_302600_NS6detail15normal_iteratorINSA_10device_ptrIdEEEEPS6_NSA_18transform_iteratorINSB_9not_fun_tI7is_trueIdEEENSC_INSD_IbEEEENSA_11use_defaultESO_EENS0_5tupleIJSF_S6_EEENSQ_IJSG_SG_EEES6_PlJS6_EEE10hipError_tPvRmT3_T4_T5_T6_T7_T9_mT8_P12ihipStream_tbDpT10_ENKUlT_T0_E_clISt17integral_constantIbLb0EES1D_EEDaS18_S19_EUlS18_E_NS1_11comp_targetILNS1_3genE5ELNS1_11target_archE942ELNS1_3gpuE9ELNS1_3repE0EEENS1_30default_config_static_selectorELNS0_4arch9wavefront6targetE0EEEvT1_.uses_flat_scratch, 0
	.set _ZN7rocprim17ROCPRIM_400000_NS6detail17trampoline_kernelINS0_14default_configENS1_25partition_config_selectorILNS1_17partition_subalgoE5EdNS0_10empty_typeEbEEZZNS1_14partition_implILS5_5ELb0ES3_mN6thrust23THRUST_200600_302600_NS6detail15normal_iteratorINSA_10device_ptrIdEEEEPS6_NSA_18transform_iteratorINSB_9not_fun_tI7is_trueIdEEENSC_INSD_IbEEEENSA_11use_defaultESO_EENS0_5tupleIJSF_S6_EEENSQ_IJSG_SG_EEES6_PlJS6_EEE10hipError_tPvRmT3_T4_T5_T6_T7_T9_mT8_P12ihipStream_tbDpT10_ENKUlT_T0_E_clISt17integral_constantIbLb0EES1D_EEDaS18_S19_EUlS18_E_NS1_11comp_targetILNS1_3genE5ELNS1_11target_archE942ELNS1_3gpuE9ELNS1_3repE0EEENS1_30default_config_static_selectorELNS0_4arch9wavefront6targetE0EEEvT1_.has_dyn_sized_stack, 0
	.set _ZN7rocprim17ROCPRIM_400000_NS6detail17trampoline_kernelINS0_14default_configENS1_25partition_config_selectorILNS1_17partition_subalgoE5EdNS0_10empty_typeEbEEZZNS1_14partition_implILS5_5ELb0ES3_mN6thrust23THRUST_200600_302600_NS6detail15normal_iteratorINSA_10device_ptrIdEEEEPS6_NSA_18transform_iteratorINSB_9not_fun_tI7is_trueIdEEENSC_INSD_IbEEEENSA_11use_defaultESO_EENS0_5tupleIJSF_S6_EEENSQ_IJSG_SG_EEES6_PlJS6_EEE10hipError_tPvRmT3_T4_T5_T6_T7_T9_mT8_P12ihipStream_tbDpT10_ENKUlT_T0_E_clISt17integral_constantIbLb0EES1D_EEDaS18_S19_EUlS18_E_NS1_11comp_targetILNS1_3genE5ELNS1_11target_archE942ELNS1_3gpuE9ELNS1_3repE0EEENS1_30default_config_static_selectorELNS0_4arch9wavefront6targetE0EEEvT1_.has_recursion, 0
	.set _ZN7rocprim17ROCPRIM_400000_NS6detail17trampoline_kernelINS0_14default_configENS1_25partition_config_selectorILNS1_17partition_subalgoE5EdNS0_10empty_typeEbEEZZNS1_14partition_implILS5_5ELb0ES3_mN6thrust23THRUST_200600_302600_NS6detail15normal_iteratorINSA_10device_ptrIdEEEEPS6_NSA_18transform_iteratorINSB_9not_fun_tI7is_trueIdEEENSC_INSD_IbEEEENSA_11use_defaultESO_EENS0_5tupleIJSF_S6_EEENSQ_IJSG_SG_EEES6_PlJS6_EEE10hipError_tPvRmT3_T4_T5_T6_T7_T9_mT8_P12ihipStream_tbDpT10_ENKUlT_T0_E_clISt17integral_constantIbLb0EES1D_EEDaS18_S19_EUlS18_E_NS1_11comp_targetILNS1_3genE5ELNS1_11target_archE942ELNS1_3gpuE9ELNS1_3repE0EEENS1_30default_config_static_selectorELNS0_4arch9wavefront6targetE0EEEvT1_.has_indirect_call, 0
	.section	.AMDGPU.csdata,"",@progbits
; Kernel info:
; codeLenInByte = 0
; TotalNumSgprs: 0
; NumVgprs: 0
; ScratchSize: 0
; MemoryBound: 0
; FloatMode: 240
; IeeeMode: 1
; LDSByteSize: 0 bytes/workgroup (compile time only)
; SGPRBlocks: 0
; VGPRBlocks: 0
; NumSGPRsForWavesPerEU: 1
; NumVGPRsForWavesPerEU: 1
; Occupancy: 16
; WaveLimiterHint : 0
; COMPUTE_PGM_RSRC2:SCRATCH_EN: 0
; COMPUTE_PGM_RSRC2:USER_SGPR: 2
; COMPUTE_PGM_RSRC2:TRAP_HANDLER: 0
; COMPUTE_PGM_RSRC2:TGID_X_EN: 1
; COMPUTE_PGM_RSRC2:TGID_Y_EN: 0
; COMPUTE_PGM_RSRC2:TGID_Z_EN: 0
; COMPUTE_PGM_RSRC2:TIDIG_COMP_CNT: 0
	.section	.text._ZN7rocprim17ROCPRIM_400000_NS6detail17trampoline_kernelINS0_14default_configENS1_25partition_config_selectorILNS1_17partition_subalgoE5EdNS0_10empty_typeEbEEZZNS1_14partition_implILS5_5ELb0ES3_mN6thrust23THRUST_200600_302600_NS6detail15normal_iteratorINSA_10device_ptrIdEEEEPS6_NSA_18transform_iteratorINSB_9not_fun_tI7is_trueIdEEENSC_INSD_IbEEEENSA_11use_defaultESO_EENS0_5tupleIJSF_S6_EEENSQ_IJSG_SG_EEES6_PlJS6_EEE10hipError_tPvRmT3_T4_T5_T6_T7_T9_mT8_P12ihipStream_tbDpT10_ENKUlT_T0_E_clISt17integral_constantIbLb0EES1D_EEDaS18_S19_EUlS18_E_NS1_11comp_targetILNS1_3genE4ELNS1_11target_archE910ELNS1_3gpuE8ELNS1_3repE0EEENS1_30default_config_static_selectorELNS0_4arch9wavefront6targetE0EEEvT1_,"axG",@progbits,_ZN7rocprim17ROCPRIM_400000_NS6detail17trampoline_kernelINS0_14default_configENS1_25partition_config_selectorILNS1_17partition_subalgoE5EdNS0_10empty_typeEbEEZZNS1_14partition_implILS5_5ELb0ES3_mN6thrust23THRUST_200600_302600_NS6detail15normal_iteratorINSA_10device_ptrIdEEEEPS6_NSA_18transform_iteratorINSB_9not_fun_tI7is_trueIdEEENSC_INSD_IbEEEENSA_11use_defaultESO_EENS0_5tupleIJSF_S6_EEENSQ_IJSG_SG_EEES6_PlJS6_EEE10hipError_tPvRmT3_T4_T5_T6_T7_T9_mT8_P12ihipStream_tbDpT10_ENKUlT_T0_E_clISt17integral_constantIbLb0EES1D_EEDaS18_S19_EUlS18_E_NS1_11comp_targetILNS1_3genE4ELNS1_11target_archE910ELNS1_3gpuE8ELNS1_3repE0EEENS1_30default_config_static_selectorELNS0_4arch9wavefront6targetE0EEEvT1_,comdat
	.protected	_ZN7rocprim17ROCPRIM_400000_NS6detail17trampoline_kernelINS0_14default_configENS1_25partition_config_selectorILNS1_17partition_subalgoE5EdNS0_10empty_typeEbEEZZNS1_14partition_implILS5_5ELb0ES3_mN6thrust23THRUST_200600_302600_NS6detail15normal_iteratorINSA_10device_ptrIdEEEEPS6_NSA_18transform_iteratorINSB_9not_fun_tI7is_trueIdEEENSC_INSD_IbEEEENSA_11use_defaultESO_EENS0_5tupleIJSF_S6_EEENSQ_IJSG_SG_EEES6_PlJS6_EEE10hipError_tPvRmT3_T4_T5_T6_T7_T9_mT8_P12ihipStream_tbDpT10_ENKUlT_T0_E_clISt17integral_constantIbLb0EES1D_EEDaS18_S19_EUlS18_E_NS1_11comp_targetILNS1_3genE4ELNS1_11target_archE910ELNS1_3gpuE8ELNS1_3repE0EEENS1_30default_config_static_selectorELNS0_4arch9wavefront6targetE0EEEvT1_ ; -- Begin function _ZN7rocprim17ROCPRIM_400000_NS6detail17trampoline_kernelINS0_14default_configENS1_25partition_config_selectorILNS1_17partition_subalgoE5EdNS0_10empty_typeEbEEZZNS1_14partition_implILS5_5ELb0ES3_mN6thrust23THRUST_200600_302600_NS6detail15normal_iteratorINSA_10device_ptrIdEEEEPS6_NSA_18transform_iteratorINSB_9not_fun_tI7is_trueIdEEENSC_INSD_IbEEEENSA_11use_defaultESO_EENS0_5tupleIJSF_S6_EEENSQ_IJSG_SG_EEES6_PlJS6_EEE10hipError_tPvRmT3_T4_T5_T6_T7_T9_mT8_P12ihipStream_tbDpT10_ENKUlT_T0_E_clISt17integral_constantIbLb0EES1D_EEDaS18_S19_EUlS18_E_NS1_11comp_targetILNS1_3genE4ELNS1_11target_archE910ELNS1_3gpuE8ELNS1_3repE0EEENS1_30default_config_static_selectorELNS0_4arch9wavefront6targetE0EEEvT1_
	.globl	_ZN7rocprim17ROCPRIM_400000_NS6detail17trampoline_kernelINS0_14default_configENS1_25partition_config_selectorILNS1_17partition_subalgoE5EdNS0_10empty_typeEbEEZZNS1_14partition_implILS5_5ELb0ES3_mN6thrust23THRUST_200600_302600_NS6detail15normal_iteratorINSA_10device_ptrIdEEEEPS6_NSA_18transform_iteratorINSB_9not_fun_tI7is_trueIdEEENSC_INSD_IbEEEENSA_11use_defaultESO_EENS0_5tupleIJSF_S6_EEENSQ_IJSG_SG_EEES6_PlJS6_EEE10hipError_tPvRmT3_T4_T5_T6_T7_T9_mT8_P12ihipStream_tbDpT10_ENKUlT_T0_E_clISt17integral_constantIbLb0EES1D_EEDaS18_S19_EUlS18_E_NS1_11comp_targetILNS1_3genE4ELNS1_11target_archE910ELNS1_3gpuE8ELNS1_3repE0EEENS1_30default_config_static_selectorELNS0_4arch9wavefront6targetE0EEEvT1_
	.p2align	8
	.type	_ZN7rocprim17ROCPRIM_400000_NS6detail17trampoline_kernelINS0_14default_configENS1_25partition_config_selectorILNS1_17partition_subalgoE5EdNS0_10empty_typeEbEEZZNS1_14partition_implILS5_5ELb0ES3_mN6thrust23THRUST_200600_302600_NS6detail15normal_iteratorINSA_10device_ptrIdEEEEPS6_NSA_18transform_iteratorINSB_9not_fun_tI7is_trueIdEEENSC_INSD_IbEEEENSA_11use_defaultESO_EENS0_5tupleIJSF_S6_EEENSQ_IJSG_SG_EEES6_PlJS6_EEE10hipError_tPvRmT3_T4_T5_T6_T7_T9_mT8_P12ihipStream_tbDpT10_ENKUlT_T0_E_clISt17integral_constantIbLb0EES1D_EEDaS18_S19_EUlS18_E_NS1_11comp_targetILNS1_3genE4ELNS1_11target_archE910ELNS1_3gpuE8ELNS1_3repE0EEENS1_30default_config_static_selectorELNS0_4arch9wavefront6targetE0EEEvT1_,@function
_ZN7rocprim17ROCPRIM_400000_NS6detail17trampoline_kernelINS0_14default_configENS1_25partition_config_selectorILNS1_17partition_subalgoE5EdNS0_10empty_typeEbEEZZNS1_14partition_implILS5_5ELb0ES3_mN6thrust23THRUST_200600_302600_NS6detail15normal_iteratorINSA_10device_ptrIdEEEEPS6_NSA_18transform_iteratorINSB_9not_fun_tI7is_trueIdEEENSC_INSD_IbEEEENSA_11use_defaultESO_EENS0_5tupleIJSF_S6_EEENSQ_IJSG_SG_EEES6_PlJS6_EEE10hipError_tPvRmT3_T4_T5_T6_T7_T9_mT8_P12ihipStream_tbDpT10_ENKUlT_T0_E_clISt17integral_constantIbLb0EES1D_EEDaS18_S19_EUlS18_E_NS1_11comp_targetILNS1_3genE4ELNS1_11target_archE910ELNS1_3gpuE8ELNS1_3repE0EEENS1_30default_config_static_selectorELNS0_4arch9wavefront6targetE0EEEvT1_: ; @_ZN7rocprim17ROCPRIM_400000_NS6detail17trampoline_kernelINS0_14default_configENS1_25partition_config_selectorILNS1_17partition_subalgoE5EdNS0_10empty_typeEbEEZZNS1_14partition_implILS5_5ELb0ES3_mN6thrust23THRUST_200600_302600_NS6detail15normal_iteratorINSA_10device_ptrIdEEEEPS6_NSA_18transform_iteratorINSB_9not_fun_tI7is_trueIdEEENSC_INSD_IbEEEENSA_11use_defaultESO_EENS0_5tupleIJSF_S6_EEENSQ_IJSG_SG_EEES6_PlJS6_EEE10hipError_tPvRmT3_T4_T5_T6_T7_T9_mT8_P12ihipStream_tbDpT10_ENKUlT_T0_E_clISt17integral_constantIbLb0EES1D_EEDaS18_S19_EUlS18_E_NS1_11comp_targetILNS1_3genE4ELNS1_11target_archE910ELNS1_3gpuE8ELNS1_3repE0EEENS1_30default_config_static_selectorELNS0_4arch9wavefront6targetE0EEEvT1_
; %bb.0:
	.section	.rodata,"a",@progbits
	.p2align	6, 0x0
	.amdhsa_kernel _ZN7rocprim17ROCPRIM_400000_NS6detail17trampoline_kernelINS0_14default_configENS1_25partition_config_selectorILNS1_17partition_subalgoE5EdNS0_10empty_typeEbEEZZNS1_14partition_implILS5_5ELb0ES3_mN6thrust23THRUST_200600_302600_NS6detail15normal_iteratorINSA_10device_ptrIdEEEEPS6_NSA_18transform_iteratorINSB_9not_fun_tI7is_trueIdEEENSC_INSD_IbEEEENSA_11use_defaultESO_EENS0_5tupleIJSF_S6_EEENSQ_IJSG_SG_EEES6_PlJS6_EEE10hipError_tPvRmT3_T4_T5_T6_T7_T9_mT8_P12ihipStream_tbDpT10_ENKUlT_T0_E_clISt17integral_constantIbLb0EES1D_EEDaS18_S19_EUlS18_E_NS1_11comp_targetILNS1_3genE4ELNS1_11target_archE910ELNS1_3gpuE8ELNS1_3repE0EEENS1_30default_config_static_selectorELNS0_4arch9wavefront6targetE0EEEvT1_
		.amdhsa_group_segment_fixed_size 0
		.amdhsa_private_segment_fixed_size 0
		.amdhsa_kernarg_size 120
		.amdhsa_user_sgpr_count 2
		.amdhsa_user_sgpr_dispatch_ptr 0
		.amdhsa_user_sgpr_queue_ptr 0
		.amdhsa_user_sgpr_kernarg_segment_ptr 1
		.amdhsa_user_sgpr_dispatch_id 0
		.amdhsa_user_sgpr_private_segment_size 0
		.amdhsa_wavefront_size32 1
		.amdhsa_uses_dynamic_stack 0
		.amdhsa_enable_private_segment 0
		.amdhsa_system_sgpr_workgroup_id_x 1
		.amdhsa_system_sgpr_workgroup_id_y 0
		.amdhsa_system_sgpr_workgroup_id_z 0
		.amdhsa_system_sgpr_workgroup_info 0
		.amdhsa_system_vgpr_workitem_id 0
		.amdhsa_next_free_vgpr 1
		.amdhsa_next_free_sgpr 1
		.amdhsa_reserve_vcc 0
		.amdhsa_float_round_mode_32 0
		.amdhsa_float_round_mode_16_64 0
		.amdhsa_float_denorm_mode_32 3
		.amdhsa_float_denorm_mode_16_64 3
		.amdhsa_fp16_overflow 0
		.amdhsa_workgroup_processor_mode 1
		.amdhsa_memory_ordered 1
		.amdhsa_forward_progress 1
		.amdhsa_inst_pref_size 0
		.amdhsa_round_robin_scheduling 0
		.amdhsa_exception_fp_ieee_invalid_op 0
		.amdhsa_exception_fp_denorm_src 0
		.amdhsa_exception_fp_ieee_div_zero 0
		.amdhsa_exception_fp_ieee_overflow 0
		.amdhsa_exception_fp_ieee_underflow 0
		.amdhsa_exception_fp_ieee_inexact 0
		.amdhsa_exception_int_div_zero 0
	.end_amdhsa_kernel
	.section	.text._ZN7rocprim17ROCPRIM_400000_NS6detail17trampoline_kernelINS0_14default_configENS1_25partition_config_selectorILNS1_17partition_subalgoE5EdNS0_10empty_typeEbEEZZNS1_14partition_implILS5_5ELb0ES3_mN6thrust23THRUST_200600_302600_NS6detail15normal_iteratorINSA_10device_ptrIdEEEEPS6_NSA_18transform_iteratorINSB_9not_fun_tI7is_trueIdEEENSC_INSD_IbEEEENSA_11use_defaultESO_EENS0_5tupleIJSF_S6_EEENSQ_IJSG_SG_EEES6_PlJS6_EEE10hipError_tPvRmT3_T4_T5_T6_T7_T9_mT8_P12ihipStream_tbDpT10_ENKUlT_T0_E_clISt17integral_constantIbLb0EES1D_EEDaS18_S19_EUlS18_E_NS1_11comp_targetILNS1_3genE4ELNS1_11target_archE910ELNS1_3gpuE8ELNS1_3repE0EEENS1_30default_config_static_selectorELNS0_4arch9wavefront6targetE0EEEvT1_,"axG",@progbits,_ZN7rocprim17ROCPRIM_400000_NS6detail17trampoline_kernelINS0_14default_configENS1_25partition_config_selectorILNS1_17partition_subalgoE5EdNS0_10empty_typeEbEEZZNS1_14partition_implILS5_5ELb0ES3_mN6thrust23THRUST_200600_302600_NS6detail15normal_iteratorINSA_10device_ptrIdEEEEPS6_NSA_18transform_iteratorINSB_9not_fun_tI7is_trueIdEEENSC_INSD_IbEEEENSA_11use_defaultESO_EENS0_5tupleIJSF_S6_EEENSQ_IJSG_SG_EEES6_PlJS6_EEE10hipError_tPvRmT3_T4_T5_T6_T7_T9_mT8_P12ihipStream_tbDpT10_ENKUlT_T0_E_clISt17integral_constantIbLb0EES1D_EEDaS18_S19_EUlS18_E_NS1_11comp_targetILNS1_3genE4ELNS1_11target_archE910ELNS1_3gpuE8ELNS1_3repE0EEENS1_30default_config_static_selectorELNS0_4arch9wavefront6targetE0EEEvT1_,comdat
.Lfunc_end2335:
	.size	_ZN7rocprim17ROCPRIM_400000_NS6detail17trampoline_kernelINS0_14default_configENS1_25partition_config_selectorILNS1_17partition_subalgoE5EdNS0_10empty_typeEbEEZZNS1_14partition_implILS5_5ELb0ES3_mN6thrust23THRUST_200600_302600_NS6detail15normal_iteratorINSA_10device_ptrIdEEEEPS6_NSA_18transform_iteratorINSB_9not_fun_tI7is_trueIdEEENSC_INSD_IbEEEENSA_11use_defaultESO_EENS0_5tupleIJSF_S6_EEENSQ_IJSG_SG_EEES6_PlJS6_EEE10hipError_tPvRmT3_T4_T5_T6_T7_T9_mT8_P12ihipStream_tbDpT10_ENKUlT_T0_E_clISt17integral_constantIbLb0EES1D_EEDaS18_S19_EUlS18_E_NS1_11comp_targetILNS1_3genE4ELNS1_11target_archE910ELNS1_3gpuE8ELNS1_3repE0EEENS1_30default_config_static_selectorELNS0_4arch9wavefront6targetE0EEEvT1_, .Lfunc_end2335-_ZN7rocprim17ROCPRIM_400000_NS6detail17trampoline_kernelINS0_14default_configENS1_25partition_config_selectorILNS1_17partition_subalgoE5EdNS0_10empty_typeEbEEZZNS1_14partition_implILS5_5ELb0ES3_mN6thrust23THRUST_200600_302600_NS6detail15normal_iteratorINSA_10device_ptrIdEEEEPS6_NSA_18transform_iteratorINSB_9not_fun_tI7is_trueIdEEENSC_INSD_IbEEEENSA_11use_defaultESO_EENS0_5tupleIJSF_S6_EEENSQ_IJSG_SG_EEES6_PlJS6_EEE10hipError_tPvRmT3_T4_T5_T6_T7_T9_mT8_P12ihipStream_tbDpT10_ENKUlT_T0_E_clISt17integral_constantIbLb0EES1D_EEDaS18_S19_EUlS18_E_NS1_11comp_targetILNS1_3genE4ELNS1_11target_archE910ELNS1_3gpuE8ELNS1_3repE0EEENS1_30default_config_static_selectorELNS0_4arch9wavefront6targetE0EEEvT1_
                                        ; -- End function
	.set _ZN7rocprim17ROCPRIM_400000_NS6detail17trampoline_kernelINS0_14default_configENS1_25partition_config_selectorILNS1_17partition_subalgoE5EdNS0_10empty_typeEbEEZZNS1_14partition_implILS5_5ELb0ES3_mN6thrust23THRUST_200600_302600_NS6detail15normal_iteratorINSA_10device_ptrIdEEEEPS6_NSA_18transform_iteratorINSB_9not_fun_tI7is_trueIdEEENSC_INSD_IbEEEENSA_11use_defaultESO_EENS0_5tupleIJSF_S6_EEENSQ_IJSG_SG_EEES6_PlJS6_EEE10hipError_tPvRmT3_T4_T5_T6_T7_T9_mT8_P12ihipStream_tbDpT10_ENKUlT_T0_E_clISt17integral_constantIbLb0EES1D_EEDaS18_S19_EUlS18_E_NS1_11comp_targetILNS1_3genE4ELNS1_11target_archE910ELNS1_3gpuE8ELNS1_3repE0EEENS1_30default_config_static_selectorELNS0_4arch9wavefront6targetE0EEEvT1_.num_vgpr, 0
	.set _ZN7rocprim17ROCPRIM_400000_NS6detail17trampoline_kernelINS0_14default_configENS1_25partition_config_selectorILNS1_17partition_subalgoE5EdNS0_10empty_typeEbEEZZNS1_14partition_implILS5_5ELb0ES3_mN6thrust23THRUST_200600_302600_NS6detail15normal_iteratorINSA_10device_ptrIdEEEEPS6_NSA_18transform_iteratorINSB_9not_fun_tI7is_trueIdEEENSC_INSD_IbEEEENSA_11use_defaultESO_EENS0_5tupleIJSF_S6_EEENSQ_IJSG_SG_EEES6_PlJS6_EEE10hipError_tPvRmT3_T4_T5_T6_T7_T9_mT8_P12ihipStream_tbDpT10_ENKUlT_T0_E_clISt17integral_constantIbLb0EES1D_EEDaS18_S19_EUlS18_E_NS1_11comp_targetILNS1_3genE4ELNS1_11target_archE910ELNS1_3gpuE8ELNS1_3repE0EEENS1_30default_config_static_selectorELNS0_4arch9wavefront6targetE0EEEvT1_.num_agpr, 0
	.set _ZN7rocprim17ROCPRIM_400000_NS6detail17trampoline_kernelINS0_14default_configENS1_25partition_config_selectorILNS1_17partition_subalgoE5EdNS0_10empty_typeEbEEZZNS1_14partition_implILS5_5ELb0ES3_mN6thrust23THRUST_200600_302600_NS6detail15normal_iteratorINSA_10device_ptrIdEEEEPS6_NSA_18transform_iteratorINSB_9not_fun_tI7is_trueIdEEENSC_INSD_IbEEEENSA_11use_defaultESO_EENS0_5tupleIJSF_S6_EEENSQ_IJSG_SG_EEES6_PlJS6_EEE10hipError_tPvRmT3_T4_T5_T6_T7_T9_mT8_P12ihipStream_tbDpT10_ENKUlT_T0_E_clISt17integral_constantIbLb0EES1D_EEDaS18_S19_EUlS18_E_NS1_11comp_targetILNS1_3genE4ELNS1_11target_archE910ELNS1_3gpuE8ELNS1_3repE0EEENS1_30default_config_static_selectorELNS0_4arch9wavefront6targetE0EEEvT1_.numbered_sgpr, 0
	.set _ZN7rocprim17ROCPRIM_400000_NS6detail17trampoline_kernelINS0_14default_configENS1_25partition_config_selectorILNS1_17partition_subalgoE5EdNS0_10empty_typeEbEEZZNS1_14partition_implILS5_5ELb0ES3_mN6thrust23THRUST_200600_302600_NS6detail15normal_iteratorINSA_10device_ptrIdEEEEPS6_NSA_18transform_iteratorINSB_9not_fun_tI7is_trueIdEEENSC_INSD_IbEEEENSA_11use_defaultESO_EENS0_5tupleIJSF_S6_EEENSQ_IJSG_SG_EEES6_PlJS6_EEE10hipError_tPvRmT3_T4_T5_T6_T7_T9_mT8_P12ihipStream_tbDpT10_ENKUlT_T0_E_clISt17integral_constantIbLb0EES1D_EEDaS18_S19_EUlS18_E_NS1_11comp_targetILNS1_3genE4ELNS1_11target_archE910ELNS1_3gpuE8ELNS1_3repE0EEENS1_30default_config_static_selectorELNS0_4arch9wavefront6targetE0EEEvT1_.num_named_barrier, 0
	.set _ZN7rocprim17ROCPRIM_400000_NS6detail17trampoline_kernelINS0_14default_configENS1_25partition_config_selectorILNS1_17partition_subalgoE5EdNS0_10empty_typeEbEEZZNS1_14partition_implILS5_5ELb0ES3_mN6thrust23THRUST_200600_302600_NS6detail15normal_iteratorINSA_10device_ptrIdEEEEPS6_NSA_18transform_iteratorINSB_9not_fun_tI7is_trueIdEEENSC_INSD_IbEEEENSA_11use_defaultESO_EENS0_5tupleIJSF_S6_EEENSQ_IJSG_SG_EEES6_PlJS6_EEE10hipError_tPvRmT3_T4_T5_T6_T7_T9_mT8_P12ihipStream_tbDpT10_ENKUlT_T0_E_clISt17integral_constantIbLb0EES1D_EEDaS18_S19_EUlS18_E_NS1_11comp_targetILNS1_3genE4ELNS1_11target_archE910ELNS1_3gpuE8ELNS1_3repE0EEENS1_30default_config_static_selectorELNS0_4arch9wavefront6targetE0EEEvT1_.private_seg_size, 0
	.set _ZN7rocprim17ROCPRIM_400000_NS6detail17trampoline_kernelINS0_14default_configENS1_25partition_config_selectorILNS1_17partition_subalgoE5EdNS0_10empty_typeEbEEZZNS1_14partition_implILS5_5ELb0ES3_mN6thrust23THRUST_200600_302600_NS6detail15normal_iteratorINSA_10device_ptrIdEEEEPS6_NSA_18transform_iteratorINSB_9not_fun_tI7is_trueIdEEENSC_INSD_IbEEEENSA_11use_defaultESO_EENS0_5tupleIJSF_S6_EEENSQ_IJSG_SG_EEES6_PlJS6_EEE10hipError_tPvRmT3_T4_T5_T6_T7_T9_mT8_P12ihipStream_tbDpT10_ENKUlT_T0_E_clISt17integral_constantIbLb0EES1D_EEDaS18_S19_EUlS18_E_NS1_11comp_targetILNS1_3genE4ELNS1_11target_archE910ELNS1_3gpuE8ELNS1_3repE0EEENS1_30default_config_static_selectorELNS0_4arch9wavefront6targetE0EEEvT1_.uses_vcc, 0
	.set _ZN7rocprim17ROCPRIM_400000_NS6detail17trampoline_kernelINS0_14default_configENS1_25partition_config_selectorILNS1_17partition_subalgoE5EdNS0_10empty_typeEbEEZZNS1_14partition_implILS5_5ELb0ES3_mN6thrust23THRUST_200600_302600_NS6detail15normal_iteratorINSA_10device_ptrIdEEEEPS6_NSA_18transform_iteratorINSB_9not_fun_tI7is_trueIdEEENSC_INSD_IbEEEENSA_11use_defaultESO_EENS0_5tupleIJSF_S6_EEENSQ_IJSG_SG_EEES6_PlJS6_EEE10hipError_tPvRmT3_T4_T5_T6_T7_T9_mT8_P12ihipStream_tbDpT10_ENKUlT_T0_E_clISt17integral_constantIbLb0EES1D_EEDaS18_S19_EUlS18_E_NS1_11comp_targetILNS1_3genE4ELNS1_11target_archE910ELNS1_3gpuE8ELNS1_3repE0EEENS1_30default_config_static_selectorELNS0_4arch9wavefront6targetE0EEEvT1_.uses_flat_scratch, 0
	.set _ZN7rocprim17ROCPRIM_400000_NS6detail17trampoline_kernelINS0_14default_configENS1_25partition_config_selectorILNS1_17partition_subalgoE5EdNS0_10empty_typeEbEEZZNS1_14partition_implILS5_5ELb0ES3_mN6thrust23THRUST_200600_302600_NS6detail15normal_iteratorINSA_10device_ptrIdEEEEPS6_NSA_18transform_iteratorINSB_9not_fun_tI7is_trueIdEEENSC_INSD_IbEEEENSA_11use_defaultESO_EENS0_5tupleIJSF_S6_EEENSQ_IJSG_SG_EEES6_PlJS6_EEE10hipError_tPvRmT3_T4_T5_T6_T7_T9_mT8_P12ihipStream_tbDpT10_ENKUlT_T0_E_clISt17integral_constantIbLb0EES1D_EEDaS18_S19_EUlS18_E_NS1_11comp_targetILNS1_3genE4ELNS1_11target_archE910ELNS1_3gpuE8ELNS1_3repE0EEENS1_30default_config_static_selectorELNS0_4arch9wavefront6targetE0EEEvT1_.has_dyn_sized_stack, 0
	.set _ZN7rocprim17ROCPRIM_400000_NS6detail17trampoline_kernelINS0_14default_configENS1_25partition_config_selectorILNS1_17partition_subalgoE5EdNS0_10empty_typeEbEEZZNS1_14partition_implILS5_5ELb0ES3_mN6thrust23THRUST_200600_302600_NS6detail15normal_iteratorINSA_10device_ptrIdEEEEPS6_NSA_18transform_iteratorINSB_9not_fun_tI7is_trueIdEEENSC_INSD_IbEEEENSA_11use_defaultESO_EENS0_5tupleIJSF_S6_EEENSQ_IJSG_SG_EEES6_PlJS6_EEE10hipError_tPvRmT3_T4_T5_T6_T7_T9_mT8_P12ihipStream_tbDpT10_ENKUlT_T0_E_clISt17integral_constantIbLb0EES1D_EEDaS18_S19_EUlS18_E_NS1_11comp_targetILNS1_3genE4ELNS1_11target_archE910ELNS1_3gpuE8ELNS1_3repE0EEENS1_30default_config_static_selectorELNS0_4arch9wavefront6targetE0EEEvT1_.has_recursion, 0
	.set _ZN7rocprim17ROCPRIM_400000_NS6detail17trampoline_kernelINS0_14default_configENS1_25partition_config_selectorILNS1_17partition_subalgoE5EdNS0_10empty_typeEbEEZZNS1_14partition_implILS5_5ELb0ES3_mN6thrust23THRUST_200600_302600_NS6detail15normal_iteratorINSA_10device_ptrIdEEEEPS6_NSA_18transform_iteratorINSB_9not_fun_tI7is_trueIdEEENSC_INSD_IbEEEENSA_11use_defaultESO_EENS0_5tupleIJSF_S6_EEENSQ_IJSG_SG_EEES6_PlJS6_EEE10hipError_tPvRmT3_T4_T5_T6_T7_T9_mT8_P12ihipStream_tbDpT10_ENKUlT_T0_E_clISt17integral_constantIbLb0EES1D_EEDaS18_S19_EUlS18_E_NS1_11comp_targetILNS1_3genE4ELNS1_11target_archE910ELNS1_3gpuE8ELNS1_3repE0EEENS1_30default_config_static_selectorELNS0_4arch9wavefront6targetE0EEEvT1_.has_indirect_call, 0
	.section	.AMDGPU.csdata,"",@progbits
; Kernel info:
; codeLenInByte = 0
; TotalNumSgprs: 0
; NumVgprs: 0
; ScratchSize: 0
; MemoryBound: 0
; FloatMode: 240
; IeeeMode: 1
; LDSByteSize: 0 bytes/workgroup (compile time only)
; SGPRBlocks: 0
; VGPRBlocks: 0
; NumSGPRsForWavesPerEU: 1
; NumVGPRsForWavesPerEU: 1
; Occupancy: 16
; WaveLimiterHint : 0
; COMPUTE_PGM_RSRC2:SCRATCH_EN: 0
; COMPUTE_PGM_RSRC2:USER_SGPR: 2
; COMPUTE_PGM_RSRC2:TRAP_HANDLER: 0
; COMPUTE_PGM_RSRC2:TGID_X_EN: 1
; COMPUTE_PGM_RSRC2:TGID_Y_EN: 0
; COMPUTE_PGM_RSRC2:TGID_Z_EN: 0
; COMPUTE_PGM_RSRC2:TIDIG_COMP_CNT: 0
	.section	.text._ZN7rocprim17ROCPRIM_400000_NS6detail17trampoline_kernelINS0_14default_configENS1_25partition_config_selectorILNS1_17partition_subalgoE5EdNS0_10empty_typeEbEEZZNS1_14partition_implILS5_5ELb0ES3_mN6thrust23THRUST_200600_302600_NS6detail15normal_iteratorINSA_10device_ptrIdEEEEPS6_NSA_18transform_iteratorINSB_9not_fun_tI7is_trueIdEEENSC_INSD_IbEEEENSA_11use_defaultESO_EENS0_5tupleIJSF_S6_EEENSQ_IJSG_SG_EEES6_PlJS6_EEE10hipError_tPvRmT3_T4_T5_T6_T7_T9_mT8_P12ihipStream_tbDpT10_ENKUlT_T0_E_clISt17integral_constantIbLb0EES1D_EEDaS18_S19_EUlS18_E_NS1_11comp_targetILNS1_3genE3ELNS1_11target_archE908ELNS1_3gpuE7ELNS1_3repE0EEENS1_30default_config_static_selectorELNS0_4arch9wavefront6targetE0EEEvT1_,"axG",@progbits,_ZN7rocprim17ROCPRIM_400000_NS6detail17trampoline_kernelINS0_14default_configENS1_25partition_config_selectorILNS1_17partition_subalgoE5EdNS0_10empty_typeEbEEZZNS1_14partition_implILS5_5ELb0ES3_mN6thrust23THRUST_200600_302600_NS6detail15normal_iteratorINSA_10device_ptrIdEEEEPS6_NSA_18transform_iteratorINSB_9not_fun_tI7is_trueIdEEENSC_INSD_IbEEEENSA_11use_defaultESO_EENS0_5tupleIJSF_S6_EEENSQ_IJSG_SG_EEES6_PlJS6_EEE10hipError_tPvRmT3_T4_T5_T6_T7_T9_mT8_P12ihipStream_tbDpT10_ENKUlT_T0_E_clISt17integral_constantIbLb0EES1D_EEDaS18_S19_EUlS18_E_NS1_11comp_targetILNS1_3genE3ELNS1_11target_archE908ELNS1_3gpuE7ELNS1_3repE0EEENS1_30default_config_static_selectorELNS0_4arch9wavefront6targetE0EEEvT1_,comdat
	.protected	_ZN7rocprim17ROCPRIM_400000_NS6detail17trampoline_kernelINS0_14default_configENS1_25partition_config_selectorILNS1_17partition_subalgoE5EdNS0_10empty_typeEbEEZZNS1_14partition_implILS5_5ELb0ES3_mN6thrust23THRUST_200600_302600_NS6detail15normal_iteratorINSA_10device_ptrIdEEEEPS6_NSA_18transform_iteratorINSB_9not_fun_tI7is_trueIdEEENSC_INSD_IbEEEENSA_11use_defaultESO_EENS0_5tupleIJSF_S6_EEENSQ_IJSG_SG_EEES6_PlJS6_EEE10hipError_tPvRmT3_T4_T5_T6_T7_T9_mT8_P12ihipStream_tbDpT10_ENKUlT_T0_E_clISt17integral_constantIbLb0EES1D_EEDaS18_S19_EUlS18_E_NS1_11comp_targetILNS1_3genE3ELNS1_11target_archE908ELNS1_3gpuE7ELNS1_3repE0EEENS1_30default_config_static_selectorELNS0_4arch9wavefront6targetE0EEEvT1_ ; -- Begin function _ZN7rocprim17ROCPRIM_400000_NS6detail17trampoline_kernelINS0_14default_configENS1_25partition_config_selectorILNS1_17partition_subalgoE5EdNS0_10empty_typeEbEEZZNS1_14partition_implILS5_5ELb0ES3_mN6thrust23THRUST_200600_302600_NS6detail15normal_iteratorINSA_10device_ptrIdEEEEPS6_NSA_18transform_iteratorINSB_9not_fun_tI7is_trueIdEEENSC_INSD_IbEEEENSA_11use_defaultESO_EENS0_5tupleIJSF_S6_EEENSQ_IJSG_SG_EEES6_PlJS6_EEE10hipError_tPvRmT3_T4_T5_T6_T7_T9_mT8_P12ihipStream_tbDpT10_ENKUlT_T0_E_clISt17integral_constantIbLb0EES1D_EEDaS18_S19_EUlS18_E_NS1_11comp_targetILNS1_3genE3ELNS1_11target_archE908ELNS1_3gpuE7ELNS1_3repE0EEENS1_30default_config_static_selectorELNS0_4arch9wavefront6targetE0EEEvT1_
	.globl	_ZN7rocprim17ROCPRIM_400000_NS6detail17trampoline_kernelINS0_14default_configENS1_25partition_config_selectorILNS1_17partition_subalgoE5EdNS0_10empty_typeEbEEZZNS1_14partition_implILS5_5ELb0ES3_mN6thrust23THRUST_200600_302600_NS6detail15normal_iteratorINSA_10device_ptrIdEEEEPS6_NSA_18transform_iteratorINSB_9not_fun_tI7is_trueIdEEENSC_INSD_IbEEEENSA_11use_defaultESO_EENS0_5tupleIJSF_S6_EEENSQ_IJSG_SG_EEES6_PlJS6_EEE10hipError_tPvRmT3_T4_T5_T6_T7_T9_mT8_P12ihipStream_tbDpT10_ENKUlT_T0_E_clISt17integral_constantIbLb0EES1D_EEDaS18_S19_EUlS18_E_NS1_11comp_targetILNS1_3genE3ELNS1_11target_archE908ELNS1_3gpuE7ELNS1_3repE0EEENS1_30default_config_static_selectorELNS0_4arch9wavefront6targetE0EEEvT1_
	.p2align	8
	.type	_ZN7rocprim17ROCPRIM_400000_NS6detail17trampoline_kernelINS0_14default_configENS1_25partition_config_selectorILNS1_17partition_subalgoE5EdNS0_10empty_typeEbEEZZNS1_14partition_implILS5_5ELb0ES3_mN6thrust23THRUST_200600_302600_NS6detail15normal_iteratorINSA_10device_ptrIdEEEEPS6_NSA_18transform_iteratorINSB_9not_fun_tI7is_trueIdEEENSC_INSD_IbEEEENSA_11use_defaultESO_EENS0_5tupleIJSF_S6_EEENSQ_IJSG_SG_EEES6_PlJS6_EEE10hipError_tPvRmT3_T4_T5_T6_T7_T9_mT8_P12ihipStream_tbDpT10_ENKUlT_T0_E_clISt17integral_constantIbLb0EES1D_EEDaS18_S19_EUlS18_E_NS1_11comp_targetILNS1_3genE3ELNS1_11target_archE908ELNS1_3gpuE7ELNS1_3repE0EEENS1_30default_config_static_selectorELNS0_4arch9wavefront6targetE0EEEvT1_,@function
_ZN7rocprim17ROCPRIM_400000_NS6detail17trampoline_kernelINS0_14default_configENS1_25partition_config_selectorILNS1_17partition_subalgoE5EdNS0_10empty_typeEbEEZZNS1_14partition_implILS5_5ELb0ES3_mN6thrust23THRUST_200600_302600_NS6detail15normal_iteratorINSA_10device_ptrIdEEEEPS6_NSA_18transform_iteratorINSB_9not_fun_tI7is_trueIdEEENSC_INSD_IbEEEENSA_11use_defaultESO_EENS0_5tupleIJSF_S6_EEENSQ_IJSG_SG_EEES6_PlJS6_EEE10hipError_tPvRmT3_T4_T5_T6_T7_T9_mT8_P12ihipStream_tbDpT10_ENKUlT_T0_E_clISt17integral_constantIbLb0EES1D_EEDaS18_S19_EUlS18_E_NS1_11comp_targetILNS1_3genE3ELNS1_11target_archE908ELNS1_3gpuE7ELNS1_3repE0EEENS1_30default_config_static_selectorELNS0_4arch9wavefront6targetE0EEEvT1_: ; @_ZN7rocprim17ROCPRIM_400000_NS6detail17trampoline_kernelINS0_14default_configENS1_25partition_config_selectorILNS1_17partition_subalgoE5EdNS0_10empty_typeEbEEZZNS1_14partition_implILS5_5ELb0ES3_mN6thrust23THRUST_200600_302600_NS6detail15normal_iteratorINSA_10device_ptrIdEEEEPS6_NSA_18transform_iteratorINSB_9not_fun_tI7is_trueIdEEENSC_INSD_IbEEEENSA_11use_defaultESO_EENS0_5tupleIJSF_S6_EEENSQ_IJSG_SG_EEES6_PlJS6_EEE10hipError_tPvRmT3_T4_T5_T6_T7_T9_mT8_P12ihipStream_tbDpT10_ENKUlT_T0_E_clISt17integral_constantIbLb0EES1D_EEDaS18_S19_EUlS18_E_NS1_11comp_targetILNS1_3genE3ELNS1_11target_archE908ELNS1_3gpuE7ELNS1_3repE0EEENS1_30default_config_static_selectorELNS0_4arch9wavefront6targetE0EEEvT1_
; %bb.0:
	.section	.rodata,"a",@progbits
	.p2align	6, 0x0
	.amdhsa_kernel _ZN7rocprim17ROCPRIM_400000_NS6detail17trampoline_kernelINS0_14default_configENS1_25partition_config_selectorILNS1_17partition_subalgoE5EdNS0_10empty_typeEbEEZZNS1_14partition_implILS5_5ELb0ES3_mN6thrust23THRUST_200600_302600_NS6detail15normal_iteratorINSA_10device_ptrIdEEEEPS6_NSA_18transform_iteratorINSB_9not_fun_tI7is_trueIdEEENSC_INSD_IbEEEENSA_11use_defaultESO_EENS0_5tupleIJSF_S6_EEENSQ_IJSG_SG_EEES6_PlJS6_EEE10hipError_tPvRmT3_T4_T5_T6_T7_T9_mT8_P12ihipStream_tbDpT10_ENKUlT_T0_E_clISt17integral_constantIbLb0EES1D_EEDaS18_S19_EUlS18_E_NS1_11comp_targetILNS1_3genE3ELNS1_11target_archE908ELNS1_3gpuE7ELNS1_3repE0EEENS1_30default_config_static_selectorELNS0_4arch9wavefront6targetE0EEEvT1_
		.amdhsa_group_segment_fixed_size 0
		.amdhsa_private_segment_fixed_size 0
		.amdhsa_kernarg_size 120
		.amdhsa_user_sgpr_count 2
		.amdhsa_user_sgpr_dispatch_ptr 0
		.amdhsa_user_sgpr_queue_ptr 0
		.amdhsa_user_sgpr_kernarg_segment_ptr 1
		.amdhsa_user_sgpr_dispatch_id 0
		.amdhsa_user_sgpr_private_segment_size 0
		.amdhsa_wavefront_size32 1
		.amdhsa_uses_dynamic_stack 0
		.amdhsa_enable_private_segment 0
		.amdhsa_system_sgpr_workgroup_id_x 1
		.amdhsa_system_sgpr_workgroup_id_y 0
		.amdhsa_system_sgpr_workgroup_id_z 0
		.amdhsa_system_sgpr_workgroup_info 0
		.amdhsa_system_vgpr_workitem_id 0
		.amdhsa_next_free_vgpr 1
		.amdhsa_next_free_sgpr 1
		.amdhsa_reserve_vcc 0
		.amdhsa_float_round_mode_32 0
		.amdhsa_float_round_mode_16_64 0
		.amdhsa_float_denorm_mode_32 3
		.amdhsa_float_denorm_mode_16_64 3
		.amdhsa_fp16_overflow 0
		.amdhsa_workgroup_processor_mode 1
		.amdhsa_memory_ordered 1
		.amdhsa_forward_progress 1
		.amdhsa_inst_pref_size 0
		.amdhsa_round_robin_scheduling 0
		.amdhsa_exception_fp_ieee_invalid_op 0
		.amdhsa_exception_fp_denorm_src 0
		.amdhsa_exception_fp_ieee_div_zero 0
		.amdhsa_exception_fp_ieee_overflow 0
		.amdhsa_exception_fp_ieee_underflow 0
		.amdhsa_exception_fp_ieee_inexact 0
		.amdhsa_exception_int_div_zero 0
	.end_amdhsa_kernel
	.section	.text._ZN7rocprim17ROCPRIM_400000_NS6detail17trampoline_kernelINS0_14default_configENS1_25partition_config_selectorILNS1_17partition_subalgoE5EdNS0_10empty_typeEbEEZZNS1_14partition_implILS5_5ELb0ES3_mN6thrust23THRUST_200600_302600_NS6detail15normal_iteratorINSA_10device_ptrIdEEEEPS6_NSA_18transform_iteratorINSB_9not_fun_tI7is_trueIdEEENSC_INSD_IbEEEENSA_11use_defaultESO_EENS0_5tupleIJSF_S6_EEENSQ_IJSG_SG_EEES6_PlJS6_EEE10hipError_tPvRmT3_T4_T5_T6_T7_T9_mT8_P12ihipStream_tbDpT10_ENKUlT_T0_E_clISt17integral_constantIbLb0EES1D_EEDaS18_S19_EUlS18_E_NS1_11comp_targetILNS1_3genE3ELNS1_11target_archE908ELNS1_3gpuE7ELNS1_3repE0EEENS1_30default_config_static_selectorELNS0_4arch9wavefront6targetE0EEEvT1_,"axG",@progbits,_ZN7rocprim17ROCPRIM_400000_NS6detail17trampoline_kernelINS0_14default_configENS1_25partition_config_selectorILNS1_17partition_subalgoE5EdNS0_10empty_typeEbEEZZNS1_14partition_implILS5_5ELb0ES3_mN6thrust23THRUST_200600_302600_NS6detail15normal_iteratorINSA_10device_ptrIdEEEEPS6_NSA_18transform_iteratorINSB_9not_fun_tI7is_trueIdEEENSC_INSD_IbEEEENSA_11use_defaultESO_EENS0_5tupleIJSF_S6_EEENSQ_IJSG_SG_EEES6_PlJS6_EEE10hipError_tPvRmT3_T4_T5_T6_T7_T9_mT8_P12ihipStream_tbDpT10_ENKUlT_T0_E_clISt17integral_constantIbLb0EES1D_EEDaS18_S19_EUlS18_E_NS1_11comp_targetILNS1_3genE3ELNS1_11target_archE908ELNS1_3gpuE7ELNS1_3repE0EEENS1_30default_config_static_selectorELNS0_4arch9wavefront6targetE0EEEvT1_,comdat
.Lfunc_end2336:
	.size	_ZN7rocprim17ROCPRIM_400000_NS6detail17trampoline_kernelINS0_14default_configENS1_25partition_config_selectorILNS1_17partition_subalgoE5EdNS0_10empty_typeEbEEZZNS1_14partition_implILS5_5ELb0ES3_mN6thrust23THRUST_200600_302600_NS6detail15normal_iteratorINSA_10device_ptrIdEEEEPS6_NSA_18transform_iteratorINSB_9not_fun_tI7is_trueIdEEENSC_INSD_IbEEEENSA_11use_defaultESO_EENS0_5tupleIJSF_S6_EEENSQ_IJSG_SG_EEES6_PlJS6_EEE10hipError_tPvRmT3_T4_T5_T6_T7_T9_mT8_P12ihipStream_tbDpT10_ENKUlT_T0_E_clISt17integral_constantIbLb0EES1D_EEDaS18_S19_EUlS18_E_NS1_11comp_targetILNS1_3genE3ELNS1_11target_archE908ELNS1_3gpuE7ELNS1_3repE0EEENS1_30default_config_static_selectorELNS0_4arch9wavefront6targetE0EEEvT1_, .Lfunc_end2336-_ZN7rocprim17ROCPRIM_400000_NS6detail17trampoline_kernelINS0_14default_configENS1_25partition_config_selectorILNS1_17partition_subalgoE5EdNS0_10empty_typeEbEEZZNS1_14partition_implILS5_5ELb0ES3_mN6thrust23THRUST_200600_302600_NS6detail15normal_iteratorINSA_10device_ptrIdEEEEPS6_NSA_18transform_iteratorINSB_9not_fun_tI7is_trueIdEEENSC_INSD_IbEEEENSA_11use_defaultESO_EENS0_5tupleIJSF_S6_EEENSQ_IJSG_SG_EEES6_PlJS6_EEE10hipError_tPvRmT3_T4_T5_T6_T7_T9_mT8_P12ihipStream_tbDpT10_ENKUlT_T0_E_clISt17integral_constantIbLb0EES1D_EEDaS18_S19_EUlS18_E_NS1_11comp_targetILNS1_3genE3ELNS1_11target_archE908ELNS1_3gpuE7ELNS1_3repE0EEENS1_30default_config_static_selectorELNS0_4arch9wavefront6targetE0EEEvT1_
                                        ; -- End function
	.set _ZN7rocprim17ROCPRIM_400000_NS6detail17trampoline_kernelINS0_14default_configENS1_25partition_config_selectorILNS1_17partition_subalgoE5EdNS0_10empty_typeEbEEZZNS1_14partition_implILS5_5ELb0ES3_mN6thrust23THRUST_200600_302600_NS6detail15normal_iteratorINSA_10device_ptrIdEEEEPS6_NSA_18transform_iteratorINSB_9not_fun_tI7is_trueIdEEENSC_INSD_IbEEEENSA_11use_defaultESO_EENS0_5tupleIJSF_S6_EEENSQ_IJSG_SG_EEES6_PlJS6_EEE10hipError_tPvRmT3_T4_T5_T6_T7_T9_mT8_P12ihipStream_tbDpT10_ENKUlT_T0_E_clISt17integral_constantIbLb0EES1D_EEDaS18_S19_EUlS18_E_NS1_11comp_targetILNS1_3genE3ELNS1_11target_archE908ELNS1_3gpuE7ELNS1_3repE0EEENS1_30default_config_static_selectorELNS0_4arch9wavefront6targetE0EEEvT1_.num_vgpr, 0
	.set _ZN7rocprim17ROCPRIM_400000_NS6detail17trampoline_kernelINS0_14default_configENS1_25partition_config_selectorILNS1_17partition_subalgoE5EdNS0_10empty_typeEbEEZZNS1_14partition_implILS5_5ELb0ES3_mN6thrust23THRUST_200600_302600_NS6detail15normal_iteratorINSA_10device_ptrIdEEEEPS6_NSA_18transform_iteratorINSB_9not_fun_tI7is_trueIdEEENSC_INSD_IbEEEENSA_11use_defaultESO_EENS0_5tupleIJSF_S6_EEENSQ_IJSG_SG_EEES6_PlJS6_EEE10hipError_tPvRmT3_T4_T5_T6_T7_T9_mT8_P12ihipStream_tbDpT10_ENKUlT_T0_E_clISt17integral_constantIbLb0EES1D_EEDaS18_S19_EUlS18_E_NS1_11comp_targetILNS1_3genE3ELNS1_11target_archE908ELNS1_3gpuE7ELNS1_3repE0EEENS1_30default_config_static_selectorELNS0_4arch9wavefront6targetE0EEEvT1_.num_agpr, 0
	.set _ZN7rocprim17ROCPRIM_400000_NS6detail17trampoline_kernelINS0_14default_configENS1_25partition_config_selectorILNS1_17partition_subalgoE5EdNS0_10empty_typeEbEEZZNS1_14partition_implILS5_5ELb0ES3_mN6thrust23THRUST_200600_302600_NS6detail15normal_iteratorINSA_10device_ptrIdEEEEPS6_NSA_18transform_iteratorINSB_9not_fun_tI7is_trueIdEEENSC_INSD_IbEEEENSA_11use_defaultESO_EENS0_5tupleIJSF_S6_EEENSQ_IJSG_SG_EEES6_PlJS6_EEE10hipError_tPvRmT3_T4_T5_T6_T7_T9_mT8_P12ihipStream_tbDpT10_ENKUlT_T0_E_clISt17integral_constantIbLb0EES1D_EEDaS18_S19_EUlS18_E_NS1_11comp_targetILNS1_3genE3ELNS1_11target_archE908ELNS1_3gpuE7ELNS1_3repE0EEENS1_30default_config_static_selectorELNS0_4arch9wavefront6targetE0EEEvT1_.numbered_sgpr, 0
	.set _ZN7rocprim17ROCPRIM_400000_NS6detail17trampoline_kernelINS0_14default_configENS1_25partition_config_selectorILNS1_17partition_subalgoE5EdNS0_10empty_typeEbEEZZNS1_14partition_implILS5_5ELb0ES3_mN6thrust23THRUST_200600_302600_NS6detail15normal_iteratorINSA_10device_ptrIdEEEEPS6_NSA_18transform_iteratorINSB_9not_fun_tI7is_trueIdEEENSC_INSD_IbEEEENSA_11use_defaultESO_EENS0_5tupleIJSF_S6_EEENSQ_IJSG_SG_EEES6_PlJS6_EEE10hipError_tPvRmT3_T4_T5_T6_T7_T9_mT8_P12ihipStream_tbDpT10_ENKUlT_T0_E_clISt17integral_constantIbLb0EES1D_EEDaS18_S19_EUlS18_E_NS1_11comp_targetILNS1_3genE3ELNS1_11target_archE908ELNS1_3gpuE7ELNS1_3repE0EEENS1_30default_config_static_selectorELNS0_4arch9wavefront6targetE0EEEvT1_.num_named_barrier, 0
	.set _ZN7rocprim17ROCPRIM_400000_NS6detail17trampoline_kernelINS0_14default_configENS1_25partition_config_selectorILNS1_17partition_subalgoE5EdNS0_10empty_typeEbEEZZNS1_14partition_implILS5_5ELb0ES3_mN6thrust23THRUST_200600_302600_NS6detail15normal_iteratorINSA_10device_ptrIdEEEEPS6_NSA_18transform_iteratorINSB_9not_fun_tI7is_trueIdEEENSC_INSD_IbEEEENSA_11use_defaultESO_EENS0_5tupleIJSF_S6_EEENSQ_IJSG_SG_EEES6_PlJS6_EEE10hipError_tPvRmT3_T4_T5_T6_T7_T9_mT8_P12ihipStream_tbDpT10_ENKUlT_T0_E_clISt17integral_constantIbLb0EES1D_EEDaS18_S19_EUlS18_E_NS1_11comp_targetILNS1_3genE3ELNS1_11target_archE908ELNS1_3gpuE7ELNS1_3repE0EEENS1_30default_config_static_selectorELNS0_4arch9wavefront6targetE0EEEvT1_.private_seg_size, 0
	.set _ZN7rocprim17ROCPRIM_400000_NS6detail17trampoline_kernelINS0_14default_configENS1_25partition_config_selectorILNS1_17partition_subalgoE5EdNS0_10empty_typeEbEEZZNS1_14partition_implILS5_5ELb0ES3_mN6thrust23THRUST_200600_302600_NS6detail15normal_iteratorINSA_10device_ptrIdEEEEPS6_NSA_18transform_iteratorINSB_9not_fun_tI7is_trueIdEEENSC_INSD_IbEEEENSA_11use_defaultESO_EENS0_5tupleIJSF_S6_EEENSQ_IJSG_SG_EEES6_PlJS6_EEE10hipError_tPvRmT3_T4_T5_T6_T7_T9_mT8_P12ihipStream_tbDpT10_ENKUlT_T0_E_clISt17integral_constantIbLb0EES1D_EEDaS18_S19_EUlS18_E_NS1_11comp_targetILNS1_3genE3ELNS1_11target_archE908ELNS1_3gpuE7ELNS1_3repE0EEENS1_30default_config_static_selectorELNS0_4arch9wavefront6targetE0EEEvT1_.uses_vcc, 0
	.set _ZN7rocprim17ROCPRIM_400000_NS6detail17trampoline_kernelINS0_14default_configENS1_25partition_config_selectorILNS1_17partition_subalgoE5EdNS0_10empty_typeEbEEZZNS1_14partition_implILS5_5ELb0ES3_mN6thrust23THRUST_200600_302600_NS6detail15normal_iteratorINSA_10device_ptrIdEEEEPS6_NSA_18transform_iteratorINSB_9not_fun_tI7is_trueIdEEENSC_INSD_IbEEEENSA_11use_defaultESO_EENS0_5tupleIJSF_S6_EEENSQ_IJSG_SG_EEES6_PlJS6_EEE10hipError_tPvRmT3_T4_T5_T6_T7_T9_mT8_P12ihipStream_tbDpT10_ENKUlT_T0_E_clISt17integral_constantIbLb0EES1D_EEDaS18_S19_EUlS18_E_NS1_11comp_targetILNS1_3genE3ELNS1_11target_archE908ELNS1_3gpuE7ELNS1_3repE0EEENS1_30default_config_static_selectorELNS0_4arch9wavefront6targetE0EEEvT1_.uses_flat_scratch, 0
	.set _ZN7rocprim17ROCPRIM_400000_NS6detail17trampoline_kernelINS0_14default_configENS1_25partition_config_selectorILNS1_17partition_subalgoE5EdNS0_10empty_typeEbEEZZNS1_14partition_implILS5_5ELb0ES3_mN6thrust23THRUST_200600_302600_NS6detail15normal_iteratorINSA_10device_ptrIdEEEEPS6_NSA_18transform_iteratorINSB_9not_fun_tI7is_trueIdEEENSC_INSD_IbEEEENSA_11use_defaultESO_EENS0_5tupleIJSF_S6_EEENSQ_IJSG_SG_EEES6_PlJS6_EEE10hipError_tPvRmT3_T4_T5_T6_T7_T9_mT8_P12ihipStream_tbDpT10_ENKUlT_T0_E_clISt17integral_constantIbLb0EES1D_EEDaS18_S19_EUlS18_E_NS1_11comp_targetILNS1_3genE3ELNS1_11target_archE908ELNS1_3gpuE7ELNS1_3repE0EEENS1_30default_config_static_selectorELNS0_4arch9wavefront6targetE0EEEvT1_.has_dyn_sized_stack, 0
	.set _ZN7rocprim17ROCPRIM_400000_NS6detail17trampoline_kernelINS0_14default_configENS1_25partition_config_selectorILNS1_17partition_subalgoE5EdNS0_10empty_typeEbEEZZNS1_14partition_implILS5_5ELb0ES3_mN6thrust23THRUST_200600_302600_NS6detail15normal_iteratorINSA_10device_ptrIdEEEEPS6_NSA_18transform_iteratorINSB_9not_fun_tI7is_trueIdEEENSC_INSD_IbEEEENSA_11use_defaultESO_EENS0_5tupleIJSF_S6_EEENSQ_IJSG_SG_EEES6_PlJS6_EEE10hipError_tPvRmT3_T4_T5_T6_T7_T9_mT8_P12ihipStream_tbDpT10_ENKUlT_T0_E_clISt17integral_constantIbLb0EES1D_EEDaS18_S19_EUlS18_E_NS1_11comp_targetILNS1_3genE3ELNS1_11target_archE908ELNS1_3gpuE7ELNS1_3repE0EEENS1_30default_config_static_selectorELNS0_4arch9wavefront6targetE0EEEvT1_.has_recursion, 0
	.set _ZN7rocprim17ROCPRIM_400000_NS6detail17trampoline_kernelINS0_14default_configENS1_25partition_config_selectorILNS1_17partition_subalgoE5EdNS0_10empty_typeEbEEZZNS1_14partition_implILS5_5ELb0ES3_mN6thrust23THRUST_200600_302600_NS6detail15normal_iteratorINSA_10device_ptrIdEEEEPS6_NSA_18transform_iteratorINSB_9not_fun_tI7is_trueIdEEENSC_INSD_IbEEEENSA_11use_defaultESO_EENS0_5tupleIJSF_S6_EEENSQ_IJSG_SG_EEES6_PlJS6_EEE10hipError_tPvRmT3_T4_T5_T6_T7_T9_mT8_P12ihipStream_tbDpT10_ENKUlT_T0_E_clISt17integral_constantIbLb0EES1D_EEDaS18_S19_EUlS18_E_NS1_11comp_targetILNS1_3genE3ELNS1_11target_archE908ELNS1_3gpuE7ELNS1_3repE0EEENS1_30default_config_static_selectorELNS0_4arch9wavefront6targetE0EEEvT1_.has_indirect_call, 0
	.section	.AMDGPU.csdata,"",@progbits
; Kernel info:
; codeLenInByte = 0
; TotalNumSgprs: 0
; NumVgprs: 0
; ScratchSize: 0
; MemoryBound: 0
; FloatMode: 240
; IeeeMode: 1
; LDSByteSize: 0 bytes/workgroup (compile time only)
; SGPRBlocks: 0
; VGPRBlocks: 0
; NumSGPRsForWavesPerEU: 1
; NumVGPRsForWavesPerEU: 1
; Occupancy: 16
; WaveLimiterHint : 0
; COMPUTE_PGM_RSRC2:SCRATCH_EN: 0
; COMPUTE_PGM_RSRC2:USER_SGPR: 2
; COMPUTE_PGM_RSRC2:TRAP_HANDLER: 0
; COMPUTE_PGM_RSRC2:TGID_X_EN: 1
; COMPUTE_PGM_RSRC2:TGID_Y_EN: 0
; COMPUTE_PGM_RSRC2:TGID_Z_EN: 0
; COMPUTE_PGM_RSRC2:TIDIG_COMP_CNT: 0
	.section	.text._ZN7rocprim17ROCPRIM_400000_NS6detail17trampoline_kernelINS0_14default_configENS1_25partition_config_selectorILNS1_17partition_subalgoE5EdNS0_10empty_typeEbEEZZNS1_14partition_implILS5_5ELb0ES3_mN6thrust23THRUST_200600_302600_NS6detail15normal_iteratorINSA_10device_ptrIdEEEEPS6_NSA_18transform_iteratorINSB_9not_fun_tI7is_trueIdEEENSC_INSD_IbEEEENSA_11use_defaultESO_EENS0_5tupleIJSF_S6_EEENSQ_IJSG_SG_EEES6_PlJS6_EEE10hipError_tPvRmT3_T4_T5_T6_T7_T9_mT8_P12ihipStream_tbDpT10_ENKUlT_T0_E_clISt17integral_constantIbLb0EES1D_EEDaS18_S19_EUlS18_E_NS1_11comp_targetILNS1_3genE2ELNS1_11target_archE906ELNS1_3gpuE6ELNS1_3repE0EEENS1_30default_config_static_selectorELNS0_4arch9wavefront6targetE0EEEvT1_,"axG",@progbits,_ZN7rocprim17ROCPRIM_400000_NS6detail17trampoline_kernelINS0_14default_configENS1_25partition_config_selectorILNS1_17partition_subalgoE5EdNS0_10empty_typeEbEEZZNS1_14partition_implILS5_5ELb0ES3_mN6thrust23THRUST_200600_302600_NS6detail15normal_iteratorINSA_10device_ptrIdEEEEPS6_NSA_18transform_iteratorINSB_9not_fun_tI7is_trueIdEEENSC_INSD_IbEEEENSA_11use_defaultESO_EENS0_5tupleIJSF_S6_EEENSQ_IJSG_SG_EEES6_PlJS6_EEE10hipError_tPvRmT3_T4_T5_T6_T7_T9_mT8_P12ihipStream_tbDpT10_ENKUlT_T0_E_clISt17integral_constantIbLb0EES1D_EEDaS18_S19_EUlS18_E_NS1_11comp_targetILNS1_3genE2ELNS1_11target_archE906ELNS1_3gpuE6ELNS1_3repE0EEENS1_30default_config_static_selectorELNS0_4arch9wavefront6targetE0EEEvT1_,comdat
	.protected	_ZN7rocprim17ROCPRIM_400000_NS6detail17trampoline_kernelINS0_14default_configENS1_25partition_config_selectorILNS1_17partition_subalgoE5EdNS0_10empty_typeEbEEZZNS1_14partition_implILS5_5ELb0ES3_mN6thrust23THRUST_200600_302600_NS6detail15normal_iteratorINSA_10device_ptrIdEEEEPS6_NSA_18transform_iteratorINSB_9not_fun_tI7is_trueIdEEENSC_INSD_IbEEEENSA_11use_defaultESO_EENS0_5tupleIJSF_S6_EEENSQ_IJSG_SG_EEES6_PlJS6_EEE10hipError_tPvRmT3_T4_T5_T6_T7_T9_mT8_P12ihipStream_tbDpT10_ENKUlT_T0_E_clISt17integral_constantIbLb0EES1D_EEDaS18_S19_EUlS18_E_NS1_11comp_targetILNS1_3genE2ELNS1_11target_archE906ELNS1_3gpuE6ELNS1_3repE0EEENS1_30default_config_static_selectorELNS0_4arch9wavefront6targetE0EEEvT1_ ; -- Begin function _ZN7rocprim17ROCPRIM_400000_NS6detail17trampoline_kernelINS0_14default_configENS1_25partition_config_selectorILNS1_17partition_subalgoE5EdNS0_10empty_typeEbEEZZNS1_14partition_implILS5_5ELb0ES3_mN6thrust23THRUST_200600_302600_NS6detail15normal_iteratorINSA_10device_ptrIdEEEEPS6_NSA_18transform_iteratorINSB_9not_fun_tI7is_trueIdEEENSC_INSD_IbEEEENSA_11use_defaultESO_EENS0_5tupleIJSF_S6_EEENSQ_IJSG_SG_EEES6_PlJS6_EEE10hipError_tPvRmT3_T4_T5_T6_T7_T9_mT8_P12ihipStream_tbDpT10_ENKUlT_T0_E_clISt17integral_constantIbLb0EES1D_EEDaS18_S19_EUlS18_E_NS1_11comp_targetILNS1_3genE2ELNS1_11target_archE906ELNS1_3gpuE6ELNS1_3repE0EEENS1_30default_config_static_selectorELNS0_4arch9wavefront6targetE0EEEvT1_
	.globl	_ZN7rocprim17ROCPRIM_400000_NS6detail17trampoline_kernelINS0_14default_configENS1_25partition_config_selectorILNS1_17partition_subalgoE5EdNS0_10empty_typeEbEEZZNS1_14partition_implILS5_5ELb0ES3_mN6thrust23THRUST_200600_302600_NS6detail15normal_iteratorINSA_10device_ptrIdEEEEPS6_NSA_18transform_iteratorINSB_9not_fun_tI7is_trueIdEEENSC_INSD_IbEEEENSA_11use_defaultESO_EENS0_5tupleIJSF_S6_EEENSQ_IJSG_SG_EEES6_PlJS6_EEE10hipError_tPvRmT3_T4_T5_T6_T7_T9_mT8_P12ihipStream_tbDpT10_ENKUlT_T0_E_clISt17integral_constantIbLb0EES1D_EEDaS18_S19_EUlS18_E_NS1_11comp_targetILNS1_3genE2ELNS1_11target_archE906ELNS1_3gpuE6ELNS1_3repE0EEENS1_30default_config_static_selectorELNS0_4arch9wavefront6targetE0EEEvT1_
	.p2align	8
	.type	_ZN7rocprim17ROCPRIM_400000_NS6detail17trampoline_kernelINS0_14default_configENS1_25partition_config_selectorILNS1_17partition_subalgoE5EdNS0_10empty_typeEbEEZZNS1_14partition_implILS5_5ELb0ES3_mN6thrust23THRUST_200600_302600_NS6detail15normal_iteratorINSA_10device_ptrIdEEEEPS6_NSA_18transform_iteratorINSB_9not_fun_tI7is_trueIdEEENSC_INSD_IbEEEENSA_11use_defaultESO_EENS0_5tupleIJSF_S6_EEENSQ_IJSG_SG_EEES6_PlJS6_EEE10hipError_tPvRmT3_T4_T5_T6_T7_T9_mT8_P12ihipStream_tbDpT10_ENKUlT_T0_E_clISt17integral_constantIbLb0EES1D_EEDaS18_S19_EUlS18_E_NS1_11comp_targetILNS1_3genE2ELNS1_11target_archE906ELNS1_3gpuE6ELNS1_3repE0EEENS1_30default_config_static_selectorELNS0_4arch9wavefront6targetE0EEEvT1_,@function
_ZN7rocprim17ROCPRIM_400000_NS6detail17trampoline_kernelINS0_14default_configENS1_25partition_config_selectorILNS1_17partition_subalgoE5EdNS0_10empty_typeEbEEZZNS1_14partition_implILS5_5ELb0ES3_mN6thrust23THRUST_200600_302600_NS6detail15normal_iteratorINSA_10device_ptrIdEEEEPS6_NSA_18transform_iteratorINSB_9not_fun_tI7is_trueIdEEENSC_INSD_IbEEEENSA_11use_defaultESO_EENS0_5tupleIJSF_S6_EEENSQ_IJSG_SG_EEES6_PlJS6_EEE10hipError_tPvRmT3_T4_T5_T6_T7_T9_mT8_P12ihipStream_tbDpT10_ENKUlT_T0_E_clISt17integral_constantIbLb0EES1D_EEDaS18_S19_EUlS18_E_NS1_11comp_targetILNS1_3genE2ELNS1_11target_archE906ELNS1_3gpuE6ELNS1_3repE0EEENS1_30default_config_static_selectorELNS0_4arch9wavefront6targetE0EEEvT1_: ; @_ZN7rocprim17ROCPRIM_400000_NS6detail17trampoline_kernelINS0_14default_configENS1_25partition_config_selectorILNS1_17partition_subalgoE5EdNS0_10empty_typeEbEEZZNS1_14partition_implILS5_5ELb0ES3_mN6thrust23THRUST_200600_302600_NS6detail15normal_iteratorINSA_10device_ptrIdEEEEPS6_NSA_18transform_iteratorINSB_9not_fun_tI7is_trueIdEEENSC_INSD_IbEEEENSA_11use_defaultESO_EENS0_5tupleIJSF_S6_EEENSQ_IJSG_SG_EEES6_PlJS6_EEE10hipError_tPvRmT3_T4_T5_T6_T7_T9_mT8_P12ihipStream_tbDpT10_ENKUlT_T0_E_clISt17integral_constantIbLb0EES1D_EEDaS18_S19_EUlS18_E_NS1_11comp_targetILNS1_3genE2ELNS1_11target_archE906ELNS1_3gpuE6ELNS1_3repE0EEENS1_30default_config_static_selectorELNS0_4arch9wavefront6targetE0EEEvT1_
; %bb.0:
	.section	.rodata,"a",@progbits
	.p2align	6, 0x0
	.amdhsa_kernel _ZN7rocprim17ROCPRIM_400000_NS6detail17trampoline_kernelINS0_14default_configENS1_25partition_config_selectorILNS1_17partition_subalgoE5EdNS0_10empty_typeEbEEZZNS1_14partition_implILS5_5ELb0ES3_mN6thrust23THRUST_200600_302600_NS6detail15normal_iteratorINSA_10device_ptrIdEEEEPS6_NSA_18transform_iteratorINSB_9not_fun_tI7is_trueIdEEENSC_INSD_IbEEEENSA_11use_defaultESO_EENS0_5tupleIJSF_S6_EEENSQ_IJSG_SG_EEES6_PlJS6_EEE10hipError_tPvRmT3_T4_T5_T6_T7_T9_mT8_P12ihipStream_tbDpT10_ENKUlT_T0_E_clISt17integral_constantIbLb0EES1D_EEDaS18_S19_EUlS18_E_NS1_11comp_targetILNS1_3genE2ELNS1_11target_archE906ELNS1_3gpuE6ELNS1_3repE0EEENS1_30default_config_static_selectorELNS0_4arch9wavefront6targetE0EEEvT1_
		.amdhsa_group_segment_fixed_size 0
		.amdhsa_private_segment_fixed_size 0
		.amdhsa_kernarg_size 120
		.amdhsa_user_sgpr_count 2
		.amdhsa_user_sgpr_dispatch_ptr 0
		.amdhsa_user_sgpr_queue_ptr 0
		.amdhsa_user_sgpr_kernarg_segment_ptr 1
		.amdhsa_user_sgpr_dispatch_id 0
		.amdhsa_user_sgpr_private_segment_size 0
		.amdhsa_wavefront_size32 1
		.amdhsa_uses_dynamic_stack 0
		.amdhsa_enable_private_segment 0
		.amdhsa_system_sgpr_workgroup_id_x 1
		.amdhsa_system_sgpr_workgroup_id_y 0
		.amdhsa_system_sgpr_workgroup_id_z 0
		.amdhsa_system_sgpr_workgroup_info 0
		.amdhsa_system_vgpr_workitem_id 0
		.amdhsa_next_free_vgpr 1
		.amdhsa_next_free_sgpr 1
		.amdhsa_reserve_vcc 0
		.amdhsa_float_round_mode_32 0
		.amdhsa_float_round_mode_16_64 0
		.amdhsa_float_denorm_mode_32 3
		.amdhsa_float_denorm_mode_16_64 3
		.amdhsa_fp16_overflow 0
		.amdhsa_workgroup_processor_mode 1
		.amdhsa_memory_ordered 1
		.amdhsa_forward_progress 1
		.amdhsa_inst_pref_size 0
		.amdhsa_round_robin_scheduling 0
		.amdhsa_exception_fp_ieee_invalid_op 0
		.amdhsa_exception_fp_denorm_src 0
		.amdhsa_exception_fp_ieee_div_zero 0
		.amdhsa_exception_fp_ieee_overflow 0
		.amdhsa_exception_fp_ieee_underflow 0
		.amdhsa_exception_fp_ieee_inexact 0
		.amdhsa_exception_int_div_zero 0
	.end_amdhsa_kernel
	.section	.text._ZN7rocprim17ROCPRIM_400000_NS6detail17trampoline_kernelINS0_14default_configENS1_25partition_config_selectorILNS1_17partition_subalgoE5EdNS0_10empty_typeEbEEZZNS1_14partition_implILS5_5ELb0ES3_mN6thrust23THRUST_200600_302600_NS6detail15normal_iteratorINSA_10device_ptrIdEEEEPS6_NSA_18transform_iteratorINSB_9not_fun_tI7is_trueIdEEENSC_INSD_IbEEEENSA_11use_defaultESO_EENS0_5tupleIJSF_S6_EEENSQ_IJSG_SG_EEES6_PlJS6_EEE10hipError_tPvRmT3_T4_T5_T6_T7_T9_mT8_P12ihipStream_tbDpT10_ENKUlT_T0_E_clISt17integral_constantIbLb0EES1D_EEDaS18_S19_EUlS18_E_NS1_11comp_targetILNS1_3genE2ELNS1_11target_archE906ELNS1_3gpuE6ELNS1_3repE0EEENS1_30default_config_static_selectorELNS0_4arch9wavefront6targetE0EEEvT1_,"axG",@progbits,_ZN7rocprim17ROCPRIM_400000_NS6detail17trampoline_kernelINS0_14default_configENS1_25partition_config_selectorILNS1_17partition_subalgoE5EdNS0_10empty_typeEbEEZZNS1_14partition_implILS5_5ELb0ES3_mN6thrust23THRUST_200600_302600_NS6detail15normal_iteratorINSA_10device_ptrIdEEEEPS6_NSA_18transform_iteratorINSB_9not_fun_tI7is_trueIdEEENSC_INSD_IbEEEENSA_11use_defaultESO_EENS0_5tupleIJSF_S6_EEENSQ_IJSG_SG_EEES6_PlJS6_EEE10hipError_tPvRmT3_T4_T5_T6_T7_T9_mT8_P12ihipStream_tbDpT10_ENKUlT_T0_E_clISt17integral_constantIbLb0EES1D_EEDaS18_S19_EUlS18_E_NS1_11comp_targetILNS1_3genE2ELNS1_11target_archE906ELNS1_3gpuE6ELNS1_3repE0EEENS1_30default_config_static_selectorELNS0_4arch9wavefront6targetE0EEEvT1_,comdat
.Lfunc_end2337:
	.size	_ZN7rocprim17ROCPRIM_400000_NS6detail17trampoline_kernelINS0_14default_configENS1_25partition_config_selectorILNS1_17partition_subalgoE5EdNS0_10empty_typeEbEEZZNS1_14partition_implILS5_5ELb0ES3_mN6thrust23THRUST_200600_302600_NS6detail15normal_iteratorINSA_10device_ptrIdEEEEPS6_NSA_18transform_iteratorINSB_9not_fun_tI7is_trueIdEEENSC_INSD_IbEEEENSA_11use_defaultESO_EENS0_5tupleIJSF_S6_EEENSQ_IJSG_SG_EEES6_PlJS6_EEE10hipError_tPvRmT3_T4_T5_T6_T7_T9_mT8_P12ihipStream_tbDpT10_ENKUlT_T0_E_clISt17integral_constantIbLb0EES1D_EEDaS18_S19_EUlS18_E_NS1_11comp_targetILNS1_3genE2ELNS1_11target_archE906ELNS1_3gpuE6ELNS1_3repE0EEENS1_30default_config_static_selectorELNS0_4arch9wavefront6targetE0EEEvT1_, .Lfunc_end2337-_ZN7rocprim17ROCPRIM_400000_NS6detail17trampoline_kernelINS0_14default_configENS1_25partition_config_selectorILNS1_17partition_subalgoE5EdNS0_10empty_typeEbEEZZNS1_14partition_implILS5_5ELb0ES3_mN6thrust23THRUST_200600_302600_NS6detail15normal_iteratorINSA_10device_ptrIdEEEEPS6_NSA_18transform_iteratorINSB_9not_fun_tI7is_trueIdEEENSC_INSD_IbEEEENSA_11use_defaultESO_EENS0_5tupleIJSF_S6_EEENSQ_IJSG_SG_EEES6_PlJS6_EEE10hipError_tPvRmT3_T4_T5_T6_T7_T9_mT8_P12ihipStream_tbDpT10_ENKUlT_T0_E_clISt17integral_constantIbLb0EES1D_EEDaS18_S19_EUlS18_E_NS1_11comp_targetILNS1_3genE2ELNS1_11target_archE906ELNS1_3gpuE6ELNS1_3repE0EEENS1_30default_config_static_selectorELNS0_4arch9wavefront6targetE0EEEvT1_
                                        ; -- End function
	.set _ZN7rocprim17ROCPRIM_400000_NS6detail17trampoline_kernelINS0_14default_configENS1_25partition_config_selectorILNS1_17partition_subalgoE5EdNS0_10empty_typeEbEEZZNS1_14partition_implILS5_5ELb0ES3_mN6thrust23THRUST_200600_302600_NS6detail15normal_iteratorINSA_10device_ptrIdEEEEPS6_NSA_18transform_iteratorINSB_9not_fun_tI7is_trueIdEEENSC_INSD_IbEEEENSA_11use_defaultESO_EENS0_5tupleIJSF_S6_EEENSQ_IJSG_SG_EEES6_PlJS6_EEE10hipError_tPvRmT3_T4_T5_T6_T7_T9_mT8_P12ihipStream_tbDpT10_ENKUlT_T0_E_clISt17integral_constantIbLb0EES1D_EEDaS18_S19_EUlS18_E_NS1_11comp_targetILNS1_3genE2ELNS1_11target_archE906ELNS1_3gpuE6ELNS1_3repE0EEENS1_30default_config_static_selectorELNS0_4arch9wavefront6targetE0EEEvT1_.num_vgpr, 0
	.set _ZN7rocprim17ROCPRIM_400000_NS6detail17trampoline_kernelINS0_14default_configENS1_25partition_config_selectorILNS1_17partition_subalgoE5EdNS0_10empty_typeEbEEZZNS1_14partition_implILS5_5ELb0ES3_mN6thrust23THRUST_200600_302600_NS6detail15normal_iteratorINSA_10device_ptrIdEEEEPS6_NSA_18transform_iteratorINSB_9not_fun_tI7is_trueIdEEENSC_INSD_IbEEEENSA_11use_defaultESO_EENS0_5tupleIJSF_S6_EEENSQ_IJSG_SG_EEES6_PlJS6_EEE10hipError_tPvRmT3_T4_T5_T6_T7_T9_mT8_P12ihipStream_tbDpT10_ENKUlT_T0_E_clISt17integral_constantIbLb0EES1D_EEDaS18_S19_EUlS18_E_NS1_11comp_targetILNS1_3genE2ELNS1_11target_archE906ELNS1_3gpuE6ELNS1_3repE0EEENS1_30default_config_static_selectorELNS0_4arch9wavefront6targetE0EEEvT1_.num_agpr, 0
	.set _ZN7rocprim17ROCPRIM_400000_NS6detail17trampoline_kernelINS0_14default_configENS1_25partition_config_selectorILNS1_17partition_subalgoE5EdNS0_10empty_typeEbEEZZNS1_14partition_implILS5_5ELb0ES3_mN6thrust23THRUST_200600_302600_NS6detail15normal_iteratorINSA_10device_ptrIdEEEEPS6_NSA_18transform_iteratorINSB_9not_fun_tI7is_trueIdEEENSC_INSD_IbEEEENSA_11use_defaultESO_EENS0_5tupleIJSF_S6_EEENSQ_IJSG_SG_EEES6_PlJS6_EEE10hipError_tPvRmT3_T4_T5_T6_T7_T9_mT8_P12ihipStream_tbDpT10_ENKUlT_T0_E_clISt17integral_constantIbLb0EES1D_EEDaS18_S19_EUlS18_E_NS1_11comp_targetILNS1_3genE2ELNS1_11target_archE906ELNS1_3gpuE6ELNS1_3repE0EEENS1_30default_config_static_selectorELNS0_4arch9wavefront6targetE0EEEvT1_.numbered_sgpr, 0
	.set _ZN7rocprim17ROCPRIM_400000_NS6detail17trampoline_kernelINS0_14default_configENS1_25partition_config_selectorILNS1_17partition_subalgoE5EdNS0_10empty_typeEbEEZZNS1_14partition_implILS5_5ELb0ES3_mN6thrust23THRUST_200600_302600_NS6detail15normal_iteratorINSA_10device_ptrIdEEEEPS6_NSA_18transform_iteratorINSB_9not_fun_tI7is_trueIdEEENSC_INSD_IbEEEENSA_11use_defaultESO_EENS0_5tupleIJSF_S6_EEENSQ_IJSG_SG_EEES6_PlJS6_EEE10hipError_tPvRmT3_T4_T5_T6_T7_T9_mT8_P12ihipStream_tbDpT10_ENKUlT_T0_E_clISt17integral_constantIbLb0EES1D_EEDaS18_S19_EUlS18_E_NS1_11comp_targetILNS1_3genE2ELNS1_11target_archE906ELNS1_3gpuE6ELNS1_3repE0EEENS1_30default_config_static_selectorELNS0_4arch9wavefront6targetE0EEEvT1_.num_named_barrier, 0
	.set _ZN7rocprim17ROCPRIM_400000_NS6detail17trampoline_kernelINS0_14default_configENS1_25partition_config_selectorILNS1_17partition_subalgoE5EdNS0_10empty_typeEbEEZZNS1_14partition_implILS5_5ELb0ES3_mN6thrust23THRUST_200600_302600_NS6detail15normal_iteratorINSA_10device_ptrIdEEEEPS6_NSA_18transform_iteratorINSB_9not_fun_tI7is_trueIdEEENSC_INSD_IbEEEENSA_11use_defaultESO_EENS0_5tupleIJSF_S6_EEENSQ_IJSG_SG_EEES6_PlJS6_EEE10hipError_tPvRmT3_T4_T5_T6_T7_T9_mT8_P12ihipStream_tbDpT10_ENKUlT_T0_E_clISt17integral_constantIbLb0EES1D_EEDaS18_S19_EUlS18_E_NS1_11comp_targetILNS1_3genE2ELNS1_11target_archE906ELNS1_3gpuE6ELNS1_3repE0EEENS1_30default_config_static_selectorELNS0_4arch9wavefront6targetE0EEEvT1_.private_seg_size, 0
	.set _ZN7rocprim17ROCPRIM_400000_NS6detail17trampoline_kernelINS0_14default_configENS1_25partition_config_selectorILNS1_17partition_subalgoE5EdNS0_10empty_typeEbEEZZNS1_14partition_implILS5_5ELb0ES3_mN6thrust23THRUST_200600_302600_NS6detail15normal_iteratorINSA_10device_ptrIdEEEEPS6_NSA_18transform_iteratorINSB_9not_fun_tI7is_trueIdEEENSC_INSD_IbEEEENSA_11use_defaultESO_EENS0_5tupleIJSF_S6_EEENSQ_IJSG_SG_EEES6_PlJS6_EEE10hipError_tPvRmT3_T4_T5_T6_T7_T9_mT8_P12ihipStream_tbDpT10_ENKUlT_T0_E_clISt17integral_constantIbLb0EES1D_EEDaS18_S19_EUlS18_E_NS1_11comp_targetILNS1_3genE2ELNS1_11target_archE906ELNS1_3gpuE6ELNS1_3repE0EEENS1_30default_config_static_selectorELNS0_4arch9wavefront6targetE0EEEvT1_.uses_vcc, 0
	.set _ZN7rocprim17ROCPRIM_400000_NS6detail17trampoline_kernelINS0_14default_configENS1_25partition_config_selectorILNS1_17partition_subalgoE5EdNS0_10empty_typeEbEEZZNS1_14partition_implILS5_5ELb0ES3_mN6thrust23THRUST_200600_302600_NS6detail15normal_iteratorINSA_10device_ptrIdEEEEPS6_NSA_18transform_iteratorINSB_9not_fun_tI7is_trueIdEEENSC_INSD_IbEEEENSA_11use_defaultESO_EENS0_5tupleIJSF_S6_EEENSQ_IJSG_SG_EEES6_PlJS6_EEE10hipError_tPvRmT3_T4_T5_T6_T7_T9_mT8_P12ihipStream_tbDpT10_ENKUlT_T0_E_clISt17integral_constantIbLb0EES1D_EEDaS18_S19_EUlS18_E_NS1_11comp_targetILNS1_3genE2ELNS1_11target_archE906ELNS1_3gpuE6ELNS1_3repE0EEENS1_30default_config_static_selectorELNS0_4arch9wavefront6targetE0EEEvT1_.uses_flat_scratch, 0
	.set _ZN7rocprim17ROCPRIM_400000_NS6detail17trampoline_kernelINS0_14default_configENS1_25partition_config_selectorILNS1_17partition_subalgoE5EdNS0_10empty_typeEbEEZZNS1_14partition_implILS5_5ELb0ES3_mN6thrust23THRUST_200600_302600_NS6detail15normal_iteratorINSA_10device_ptrIdEEEEPS6_NSA_18transform_iteratorINSB_9not_fun_tI7is_trueIdEEENSC_INSD_IbEEEENSA_11use_defaultESO_EENS0_5tupleIJSF_S6_EEENSQ_IJSG_SG_EEES6_PlJS6_EEE10hipError_tPvRmT3_T4_T5_T6_T7_T9_mT8_P12ihipStream_tbDpT10_ENKUlT_T0_E_clISt17integral_constantIbLb0EES1D_EEDaS18_S19_EUlS18_E_NS1_11comp_targetILNS1_3genE2ELNS1_11target_archE906ELNS1_3gpuE6ELNS1_3repE0EEENS1_30default_config_static_selectorELNS0_4arch9wavefront6targetE0EEEvT1_.has_dyn_sized_stack, 0
	.set _ZN7rocprim17ROCPRIM_400000_NS6detail17trampoline_kernelINS0_14default_configENS1_25partition_config_selectorILNS1_17partition_subalgoE5EdNS0_10empty_typeEbEEZZNS1_14partition_implILS5_5ELb0ES3_mN6thrust23THRUST_200600_302600_NS6detail15normal_iteratorINSA_10device_ptrIdEEEEPS6_NSA_18transform_iteratorINSB_9not_fun_tI7is_trueIdEEENSC_INSD_IbEEEENSA_11use_defaultESO_EENS0_5tupleIJSF_S6_EEENSQ_IJSG_SG_EEES6_PlJS6_EEE10hipError_tPvRmT3_T4_T5_T6_T7_T9_mT8_P12ihipStream_tbDpT10_ENKUlT_T0_E_clISt17integral_constantIbLb0EES1D_EEDaS18_S19_EUlS18_E_NS1_11comp_targetILNS1_3genE2ELNS1_11target_archE906ELNS1_3gpuE6ELNS1_3repE0EEENS1_30default_config_static_selectorELNS0_4arch9wavefront6targetE0EEEvT1_.has_recursion, 0
	.set _ZN7rocprim17ROCPRIM_400000_NS6detail17trampoline_kernelINS0_14default_configENS1_25partition_config_selectorILNS1_17partition_subalgoE5EdNS0_10empty_typeEbEEZZNS1_14partition_implILS5_5ELb0ES3_mN6thrust23THRUST_200600_302600_NS6detail15normal_iteratorINSA_10device_ptrIdEEEEPS6_NSA_18transform_iteratorINSB_9not_fun_tI7is_trueIdEEENSC_INSD_IbEEEENSA_11use_defaultESO_EENS0_5tupleIJSF_S6_EEENSQ_IJSG_SG_EEES6_PlJS6_EEE10hipError_tPvRmT3_T4_T5_T6_T7_T9_mT8_P12ihipStream_tbDpT10_ENKUlT_T0_E_clISt17integral_constantIbLb0EES1D_EEDaS18_S19_EUlS18_E_NS1_11comp_targetILNS1_3genE2ELNS1_11target_archE906ELNS1_3gpuE6ELNS1_3repE0EEENS1_30default_config_static_selectorELNS0_4arch9wavefront6targetE0EEEvT1_.has_indirect_call, 0
	.section	.AMDGPU.csdata,"",@progbits
; Kernel info:
; codeLenInByte = 0
; TotalNumSgprs: 0
; NumVgprs: 0
; ScratchSize: 0
; MemoryBound: 0
; FloatMode: 240
; IeeeMode: 1
; LDSByteSize: 0 bytes/workgroup (compile time only)
; SGPRBlocks: 0
; VGPRBlocks: 0
; NumSGPRsForWavesPerEU: 1
; NumVGPRsForWavesPerEU: 1
; Occupancy: 16
; WaveLimiterHint : 0
; COMPUTE_PGM_RSRC2:SCRATCH_EN: 0
; COMPUTE_PGM_RSRC2:USER_SGPR: 2
; COMPUTE_PGM_RSRC2:TRAP_HANDLER: 0
; COMPUTE_PGM_RSRC2:TGID_X_EN: 1
; COMPUTE_PGM_RSRC2:TGID_Y_EN: 0
; COMPUTE_PGM_RSRC2:TGID_Z_EN: 0
; COMPUTE_PGM_RSRC2:TIDIG_COMP_CNT: 0
	.section	.text._ZN7rocprim17ROCPRIM_400000_NS6detail17trampoline_kernelINS0_14default_configENS1_25partition_config_selectorILNS1_17partition_subalgoE5EdNS0_10empty_typeEbEEZZNS1_14partition_implILS5_5ELb0ES3_mN6thrust23THRUST_200600_302600_NS6detail15normal_iteratorINSA_10device_ptrIdEEEEPS6_NSA_18transform_iteratorINSB_9not_fun_tI7is_trueIdEEENSC_INSD_IbEEEENSA_11use_defaultESO_EENS0_5tupleIJSF_S6_EEENSQ_IJSG_SG_EEES6_PlJS6_EEE10hipError_tPvRmT3_T4_T5_T6_T7_T9_mT8_P12ihipStream_tbDpT10_ENKUlT_T0_E_clISt17integral_constantIbLb0EES1D_EEDaS18_S19_EUlS18_E_NS1_11comp_targetILNS1_3genE10ELNS1_11target_archE1200ELNS1_3gpuE4ELNS1_3repE0EEENS1_30default_config_static_selectorELNS0_4arch9wavefront6targetE0EEEvT1_,"axG",@progbits,_ZN7rocprim17ROCPRIM_400000_NS6detail17trampoline_kernelINS0_14default_configENS1_25partition_config_selectorILNS1_17partition_subalgoE5EdNS0_10empty_typeEbEEZZNS1_14partition_implILS5_5ELb0ES3_mN6thrust23THRUST_200600_302600_NS6detail15normal_iteratorINSA_10device_ptrIdEEEEPS6_NSA_18transform_iteratorINSB_9not_fun_tI7is_trueIdEEENSC_INSD_IbEEEENSA_11use_defaultESO_EENS0_5tupleIJSF_S6_EEENSQ_IJSG_SG_EEES6_PlJS6_EEE10hipError_tPvRmT3_T4_T5_T6_T7_T9_mT8_P12ihipStream_tbDpT10_ENKUlT_T0_E_clISt17integral_constantIbLb0EES1D_EEDaS18_S19_EUlS18_E_NS1_11comp_targetILNS1_3genE10ELNS1_11target_archE1200ELNS1_3gpuE4ELNS1_3repE0EEENS1_30default_config_static_selectorELNS0_4arch9wavefront6targetE0EEEvT1_,comdat
	.protected	_ZN7rocprim17ROCPRIM_400000_NS6detail17trampoline_kernelINS0_14default_configENS1_25partition_config_selectorILNS1_17partition_subalgoE5EdNS0_10empty_typeEbEEZZNS1_14partition_implILS5_5ELb0ES3_mN6thrust23THRUST_200600_302600_NS6detail15normal_iteratorINSA_10device_ptrIdEEEEPS6_NSA_18transform_iteratorINSB_9not_fun_tI7is_trueIdEEENSC_INSD_IbEEEENSA_11use_defaultESO_EENS0_5tupleIJSF_S6_EEENSQ_IJSG_SG_EEES6_PlJS6_EEE10hipError_tPvRmT3_T4_T5_T6_T7_T9_mT8_P12ihipStream_tbDpT10_ENKUlT_T0_E_clISt17integral_constantIbLb0EES1D_EEDaS18_S19_EUlS18_E_NS1_11comp_targetILNS1_3genE10ELNS1_11target_archE1200ELNS1_3gpuE4ELNS1_3repE0EEENS1_30default_config_static_selectorELNS0_4arch9wavefront6targetE0EEEvT1_ ; -- Begin function _ZN7rocprim17ROCPRIM_400000_NS6detail17trampoline_kernelINS0_14default_configENS1_25partition_config_selectorILNS1_17partition_subalgoE5EdNS0_10empty_typeEbEEZZNS1_14partition_implILS5_5ELb0ES3_mN6thrust23THRUST_200600_302600_NS6detail15normal_iteratorINSA_10device_ptrIdEEEEPS6_NSA_18transform_iteratorINSB_9not_fun_tI7is_trueIdEEENSC_INSD_IbEEEENSA_11use_defaultESO_EENS0_5tupleIJSF_S6_EEENSQ_IJSG_SG_EEES6_PlJS6_EEE10hipError_tPvRmT3_T4_T5_T6_T7_T9_mT8_P12ihipStream_tbDpT10_ENKUlT_T0_E_clISt17integral_constantIbLb0EES1D_EEDaS18_S19_EUlS18_E_NS1_11comp_targetILNS1_3genE10ELNS1_11target_archE1200ELNS1_3gpuE4ELNS1_3repE0EEENS1_30default_config_static_selectorELNS0_4arch9wavefront6targetE0EEEvT1_
	.globl	_ZN7rocprim17ROCPRIM_400000_NS6detail17trampoline_kernelINS0_14default_configENS1_25partition_config_selectorILNS1_17partition_subalgoE5EdNS0_10empty_typeEbEEZZNS1_14partition_implILS5_5ELb0ES3_mN6thrust23THRUST_200600_302600_NS6detail15normal_iteratorINSA_10device_ptrIdEEEEPS6_NSA_18transform_iteratorINSB_9not_fun_tI7is_trueIdEEENSC_INSD_IbEEEENSA_11use_defaultESO_EENS0_5tupleIJSF_S6_EEENSQ_IJSG_SG_EEES6_PlJS6_EEE10hipError_tPvRmT3_T4_T5_T6_T7_T9_mT8_P12ihipStream_tbDpT10_ENKUlT_T0_E_clISt17integral_constantIbLb0EES1D_EEDaS18_S19_EUlS18_E_NS1_11comp_targetILNS1_3genE10ELNS1_11target_archE1200ELNS1_3gpuE4ELNS1_3repE0EEENS1_30default_config_static_selectorELNS0_4arch9wavefront6targetE0EEEvT1_
	.p2align	8
	.type	_ZN7rocprim17ROCPRIM_400000_NS6detail17trampoline_kernelINS0_14default_configENS1_25partition_config_selectorILNS1_17partition_subalgoE5EdNS0_10empty_typeEbEEZZNS1_14partition_implILS5_5ELb0ES3_mN6thrust23THRUST_200600_302600_NS6detail15normal_iteratorINSA_10device_ptrIdEEEEPS6_NSA_18transform_iteratorINSB_9not_fun_tI7is_trueIdEEENSC_INSD_IbEEEENSA_11use_defaultESO_EENS0_5tupleIJSF_S6_EEENSQ_IJSG_SG_EEES6_PlJS6_EEE10hipError_tPvRmT3_T4_T5_T6_T7_T9_mT8_P12ihipStream_tbDpT10_ENKUlT_T0_E_clISt17integral_constantIbLb0EES1D_EEDaS18_S19_EUlS18_E_NS1_11comp_targetILNS1_3genE10ELNS1_11target_archE1200ELNS1_3gpuE4ELNS1_3repE0EEENS1_30default_config_static_selectorELNS0_4arch9wavefront6targetE0EEEvT1_,@function
_ZN7rocprim17ROCPRIM_400000_NS6detail17trampoline_kernelINS0_14default_configENS1_25partition_config_selectorILNS1_17partition_subalgoE5EdNS0_10empty_typeEbEEZZNS1_14partition_implILS5_5ELb0ES3_mN6thrust23THRUST_200600_302600_NS6detail15normal_iteratorINSA_10device_ptrIdEEEEPS6_NSA_18transform_iteratorINSB_9not_fun_tI7is_trueIdEEENSC_INSD_IbEEEENSA_11use_defaultESO_EENS0_5tupleIJSF_S6_EEENSQ_IJSG_SG_EEES6_PlJS6_EEE10hipError_tPvRmT3_T4_T5_T6_T7_T9_mT8_P12ihipStream_tbDpT10_ENKUlT_T0_E_clISt17integral_constantIbLb0EES1D_EEDaS18_S19_EUlS18_E_NS1_11comp_targetILNS1_3genE10ELNS1_11target_archE1200ELNS1_3gpuE4ELNS1_3repE0EEENS1_30default_config_static_selectorELNS0_4arch9wavefront6targetE0EEEvT1_: ; @_ZN7rocprim17ROCPRIM_400000_NS6detail17trampoline_kernelINS0_14default_configENS1_25partition_config_selectorILNS1_17partition_subalgoE5EdNS0_10empty_typeEbEEZZNS1_14partition_implILS5_5ELb0ES3_mN6thrust23THRUST_200600_302600_NS6detail15normal_iteratorINSA_10device_ptrIdEEEEPS6_NSA_18transform_iteratorINSB_9not_fun_tI7is_trueIdEEENSC_INSD_IbEEEENSA_11use_defaultESO_EENS0_5tupleIJSF_S6_EEENSQ_IJSG_SG_EEES6_PlJS6_EEE10hipError_tPvRmT3_T4_T5_T6_T7_T9_mT8_P12ihipStream_tbDpT10_ENKUlT_T0_E_clISt17integral_constantIbLb0EES1D_EEDaS18_S19_EUlS18_E_NS1_11comp_targetILNS1_3genE10ELNS1_11target_archE1200ELNS1_3gpuE4ELNS1_3repE0EEENS1_30default_config_static_selectorELNS0_4arch9wavefront6targetE0EEEvT1_
; %bb.0:
	s_clause 0x3
	s_load_b128 s[4:7], s[0:1], 0x8
	s_load_b128 s[8:11], s[0:1], 0x48
	s_load_b32 s12, s[0:1], 0x70
	s_load_b64 s[2:3], s[0:1], 0x58
	s_mov_b32 s13, 0
	s_wait_kmcnt 0x0
	s_lshl_b64 s[14:15], s[6:7], 3
	s_load_b64 s[10:11], s[10:11], 0x0
	s_add_co_i32 s16, s12, -1
	s_mulk_i32 s12, 0x500
	s_add_nc_u64 s[4:5], s[4:5], s[14:15]
	s_add_co_i32 s17, s12, s6
	s_add_nc_u64 s[14:15], s[6:7], s[12:13]
	s_sub_co_i32 s18, s2, s17
	v_cmp_le_u64_e64 s2, s[2:3], s[14:15]
	s_addk_co_i32 s18, 0x500
	s_cmp_eq_u32 ttmp9, s16
	s_mul_i32 s12, ttmp9, 0x500
	s_cselect_b32 s16, -1, 0
	s_lshl_b64 s[14:15], s[12:13], 3
	s_and_b32 s2, s16, s2
	s_mov_b32 s3, -1
	s_wait_alu 0xfffe
	s_xor_b32 s17, s2, -1
	s_add_nc_u64 s[14:15], s[4:5], s[14:15]
	s_and_b32 vcc_lo, exec_lo, s17
	s_cbranch_vccz .LBB2338_2
; %bb.1:
	v_lshlrev_b32_e32 v11, 3, v0
	s_mov_b32 s3, s13
	s_wait_alu 0xfffe
	s_delay_alu instid0(VALU_DEP_1)
	v_add_co_u32 v1, s2, s14, v11
	s_wait_alu 0xf1ff
	v_add_co_ci_u32_e64 v2, null, s15, 0, s2
	s_clause 0x4
	flat_load_b64 v[3:4], v[1:2]
	flat_load_b64 v[5:6], v[1:2] offset:2048
	flat_load_b64 v[7:8], v[1:2] offset:4096
	;; [unrolled: 1-line block ×4, first 2 shown]
	s_wait_loadcnt_dscnt 0x303
	ds_store_2addr_stride64_b64 v11, v[3:4], v[5:6] offset1:4
	s_wait_loadcnt_dscnt 0x102
	ds_store_2addr_stride64_b64 v11, v[7:8], v[9:10] offset0:8 offset1:12
	s_wait_loadcnt_dscnt 0x2
	ds_store_b64 v11, v[1:2] offset:8192
	s_wait_dscnt 0x0
	s_barrier_signal -1
	s_barrier_wait -1
.LBB2338_2:
	s_load_b64 s[4:5], s[0:1], 0x20
	v_cmp_gt_u32_e64 s2, s18, v0
	s_and_not1_b32 vcc_lo, exec_lo, s3
	s_cbranch_vccnz .LBB2338_14
; %bb.3:
	v_mov_b32_e32 v1, 0
	s_delay_alu instid0(VALU_DEP_1)
	v_dual_mov_b32 v2, v1 :: v_dual_mov_b32 v3, v1
	v_dual_mov_b32 v4, v1 :: v_dual_mov_b32 v5, v1
	;; [unrolled: 1-line block ×4, first 2 shown]
	v_mov_b32_e32 v10, v1
	s_and_saveexec_b32 s3, s2
	s_cbranch_execz .LBB2338_5
; %bb.4:
	v_dual_mov_b32 v5, v1 :: v_dual_lshlrev_b32 v2, 3, v0
	v_dual_mov_b32 v4, v1 :: v_dual_mov_b32 v7, v1
	v_dual_mov_b32 v6, v1 :: v_dual_mov_b32 v9, v1
	s_delay_alu instid0(VALU_DEP_3)
	v_add_co_u32 v2, s2, s14, v2
	s_wait_alu 0xf1ff
	v_add_co_ci_u32_e64 v3, null, s15, 0, s2
	v_dual_mov_b32 v8, v1 :: v_dual_mov_b32 v11, v1
	v_mov_b32_e32 v10, v1
	flat_load_b64 v[2:3], v[2:3]
	s_wait_loadcnt_dscnt 0x0
	v_mov_b32_e32 v1, v2
	v_mov_b32_e32 v2, v3
	;; [unrolled: 1-line block ×16, first 2 shown]
.LBB2338_5:
	s_wait_alu 0xfffe
	s_or_b32 exec_lo, exec_lo, s3
	v_or_b32_e32 v11, 0x100, v0
	s_mov_b32 s2, exec_lo
	s_delay_alu instid0(VALU_DEP_1)
	v_cmpx_gt_u32_e64 s18, v11
	s_cbranch_execz .LBB2338_7
; %bb.6:
	v_lshlrev_b32_e32 v3, 3, v0
	s_delay_alu instid0(VALU_DEP_1)
	v_add_co_u32 v3, s3, s14, v3
	s_wait_alu 0xf1ff
	v_add_co_ci_u32_e64 v4, null, s15, 0, s3
	flat_load_b64 v[3:4], v[3:4] offset:2048
.LBB2338_7:
	s_wait_alu 0xfffe
	s_or_b32 exec_lo, exec_lo, s2
	v_or_b32_e32 v11, 0x200, v0
	s_mov_b32 s2, exec_lo
	s_delay_alu instid0(VALU_DEP_1)
	v_cmpx_gt_u32_e64 s18, v11
	s_cbranch_execz .LBB2338_9
; %bb.8:
	v_lshlrev_b32_e32 v5, 3, v0
	s_delay_alu instid0(VALU_DEP_1)
	v_add_co_u32 v5, s3, s14, v5
	s_wait_alu 0xf1ff
	v_add_co_ci_u32_e64 v6, null, s15, 0, s3
	flat_load_b64 v[5:6], v[5:6] offset:4096
.LBB2338_9:
	;; [unrolled: 15-line block ×4, first 2 shown]
	s_wait_alu 0xfffe
	s_or_b32 exec_lo, exec_lo, s2
	v_lshlrev_b32_e32 v11, 3, v0
	s_wait_loadcnt_dscnt 0x0
	ds_store_2addr_stride64_b64 v11, v[1:2], v[3:4] offset1:4
	ds_store_2addr_stride64_b64 v11, v[5:6], v[7:8] offset0:8 offset1:12
	ds_store_b64 v11, v[9:10] offset:8192
	s_wait_dscnt 0x0
	s_barrier_signal -1
	s_barrier_wait -1
.LBB2338_14:
	v_mul_u32_u24_e32 v1, 5, v0
	global_inv scope:SCOPE_SE
	s_wait_kmcnt 0x0
	s_add_nc_u64 s[2:3], s[4:5], s[6:7]
	s_and_b32 vcc_lo, exec_lo, s17
	s_wait_alu 0xfffe
	s_add_nc_u64 s[6:7], s[2:3], s[12:13]
	v_lshlrev_b32_e32 v9, 3, v1
	s_mov_b32 s12, -1
	ds_load_2addr_b64 v[5:8], v9 offset1:1
	ds_load_2addr_b64 v[1:4], v9 offset0:2 offset1:3
	ds_load_b64 v[17:18], v9 offset:32
	s_wait_loadcnt_dscnt 0x0
	s_barrier_signal -1
	s_barrier_wait -1
	global_inv scope:SCOPE_SE
	s_cbranch_vccz .LBB2338_16
; %bb.15:
	s_clause 0x4
	global_load_u8 v10, v0, s[6:7]
	global_load_u8 v11, v0, s[6:7] offset:256
	global_load_u8 v12, v0, s[6:7] offset:512
	;; [unrolled: 1-line block ×4, first 2 shown]
	s_mov_b32 s12, 0
	s_wait_loadcnt 0x4
	v_and_b32_e32 v10, 1, v10
	s_wait_loadcnt 0x3
	v_and_b32_e32 v11, 1, v11
	s_wait_loadcnt 0x2
	v_and_b32_e32 v12, 1, v12
	s_wait_loadcnt 0x1
	v_and_b32_e32 v13, 1, v13
	s_wait_loadcnt 0x0
	v_and_b32_e32 v14, 1, v14
	v_cmp_eq_u32_e32 vcc_lo, 1, v10
	v_cmp_eq_u32_e64 s2, 1, v11
	v_cmp_eq_u32_e64 s3, 1, v12
	;; [unrolled: 1-line block ×4, first 2 shown]
	s_xor_b32 s13, vcc_lo, -1
	s_xor_b32 s2, s2, -1
	v_cndmask_b32_e64 v10, 0, 1, s13
	s_wait_alu 0xfffe
	v_cndmask_b32_e64 v11, 0, 1, s2
	s_xor_b32 s2, s3, -1
	s_wait_alu 0xfffe
	v_cndmask_b32_e64 v12, 0, 1, s2
	s_xor_b32 s2, s4, -1
	;; [unrolled: 3-line block ×3, first 2 shown]
	s_wait_alu 0xfffe
	v_cndmask_b32_e64 v14, 0, 1, s2
	ds_store_b8 v0, v10
	ds_store_b8 v0, v11 offset:256
	ds_store_b8 v0, v12 offset:512
	;; [unrolled: 1-line block ×4, first 2 shown]
	s_wait_dscnt 0x0
	s_barrier_signal -1
	s_barrier_wait -1
.LBB2338_16:
	s_and_not1_b32 vcc_lo, exec_lo, s12
	s_cbranch_vccnz .LBB2338_28
; %bb.17:
	v_mov_b32_e32 v12, 0
	s_mov_b32 s3, 0
	s_mov_b32 s2, exec_lo
	s_delay_alu instid0(VALU_DEP_1)
	v_dual_mov_b32 v10, v12 :: v_dual_mov_b32 v11, v12
	v_cmpx_gt_u32_e64 s18, v0
	s_cbranch_execz .LBB2338_19
; %bb.18:
	global_load_u8 v10, v0, s[6:7]
	s_wait_loadcnt 0x0
	v_and_b32_e32 v10, 1, v10
	s_delay_alu instid0(VALU_DEP_1) | instskip(SKIP_3) | instid1(SALU_CYCLE_1)
	v_cmp_eq_u32_e32 vcc_lo, 1, v10
	s_wait_alu 0xfffe
	v_mov_b32_e32 v10, s3
	s_xor_b32 s4, vcc_lo, -1
	v_cndmask_b32_e64 v12, 0, 1, s4
	s_delay_alu instid0(VALU_DEP_1)
	v_mov_b32_e32 v11, v12
.LBB2338_19:
	s_wait_alu 0xfffe
	s_or_b32 exec_lo, exec_lo, s2
	v_or_b32_e32 v13, 0x100, v0
	s_mov_b32 s2, exec_lo
	s_delay_alu instid0(VALU_DEP_1)
	v_cmpx_gt_u32_e64 s18, v13
	s_cbranch_execz .LBB2338_21
; %bb.20:
	global_load_u8 v13, v0, s[6:7] offset:256
	v_lshrrev_b32_e32 v14, 16, v12
	v_and_b32_e32 v10, 0xff, v10
	s_delay_alu instid0(VALU_DEP_2) | instskip(SKIP_2) | instid1(VALU_DEP_1)
	v_and_b32_e32 v14, 0xff, v14
	s_wait_loadcnt 0x0
	v_and_b32_e32 v13, 1, v13
	v_cmp_eq_u32_e32 vcc_lo, 1, v13
	v_lshrrev_b32_e32 v13, 24, v12
	v_and_b32_e32 v12, 0xff, v12
	s_xor_b32 s3, vcc_lo, -1
	s_delay_alu instid0(VALU_DEP_2) | instskip(SKIP_2) | instid1(VALU_DEP_2)
	v_lshlrev_b16 v13, 8, v13
	s_wait_alu 0xfffe
	v_cndmask_b32_e64 v15, 0, 1, s3
	v_or_b32_e32 v13, v14, v13
	s_delay_alu instid0(VALU_DEP_2) | instskip(NEXT) | instid1(VALU_DEP_2)
	v_lshlrev_b16 v15, 8, v15
	v_lshlrev_b32_e32 v13, 16, v13
	s_delay_alu instid0(VALU_DEP_2) | instskip(NEXT) | instid1(VALU_DEP_1)
	v_or_b32_e32 v12, v12, v15
	v_and_b32_e32 v12, 0xffff, v12
	s_delay_alu instid0(VALU_DEP_1)
	v_or_b32_e32 v12, v12, v13
.LBB2338_21:
	s_wait_alu 0xfffe
	s_or_b32 exec_lo, exec_lo, s2
	v_or_b32_e32 v13, 0x200, v0
	s_mov_b32 s2, exec_lo
	s_delay_alu instid0(VALU_DEP_1)
	v_cmpx_gt_u32_e64 s18, v13
	s_cbranch_execz .LBB2338_23
; %bb.22:
	global_load_u8 v13, v0, s[6:7] offset:512
	v_lshrrev_b32_e32 v14, 24, v12
	v_perm_b32 v12, v12, v12, 0xc0c0104
	v_and_b32_e32 v10, 0xff, v10
	s_wait_loadcnt 0x0
	v_and_b32_e32 v13, 1, v13
	s_delay_alu instid0(VALU_DEP_1) | instskip(SKIP_4) | instid1(VALU_DEP_1)
	v_cmp_eq_u32_e32 vcc_lo, 1, v13
	v_lshlrev_b16 v13, 8, v14
	s_xor_b32 s3, vcc_lo, -1
	s_wait_alu 0xfffe
	v_cndmask_b32_e64 v14, 0, 1, s3
	v_or_b32_e32 v13, v14, v13
	s_delay_alu instid0(VALU_DEP_1) | instskip(NEXT) | instid1(VALU_DEP_1)
	v_lshlrev_b32_e32 v13, 16, v13
	v_or_b32_e32 v12, v12, v13
.LBB2338_23:
	s_wait_alu 0xfffe
	s_or_b32 exec_lo, exec_lo, s2
	v_or_b32_e32 v13, 0x300, v0
	s_mov_b32 s2, exec_lo
	s_delay_alu instid0(VALU_DEP_1)
	v_cmpx_gt_u32_e64 s18, v13
	s_cbranch_execz .LBB2338_25
; %bb.24:
	global_load_u8 v13, v0, s[6:7] offset:768
	v_and_b32_e32 v10, 0xff, v10
	s_wait_loadcnt 0x0
	v_and_b32_e32 v13, 1, v13
	s_delay_alu instid0(VALU_DEP_1) | instskip(SKIP_3) | instid1(VALU_DEP_2)
	v_cmp_eq_u32_e32 vcc_lo, 1, v13
	v_lshrrev_b32_e32 v13, 16, v12
	v_perm_b32 v12, v12, v12, 0xc0c0104
	s_xor_b32 s3, vcc_lo, -1
	v_and_b32_e32 v13, 0xff, v13
	s_wait_alu 0xfffe
	v_cndmask_b32_e64 v14, 0, 1, s3
	s_delay_alu instid0(VALU_DEP_1) | instskip(NEXT) | instid1(VALU_DEP_1)
	v_lshlrev_b16 v14, 8, v14
	v_or_b32_e32 v13, v13, v14
	s_delay_alu instid0(VALU_DEP_1) | instskip(NEXT) | instid1(VALU_DEP_1)
	v_lshlrev_b32_e32 v13, 16, v13
	v_or_b32_e32 v12, v12, v13
.LBB2338_25:
	s_wait_alu 0xfffe
	s_or_b32 exec_lo, exec_lo, s2
	v_or_b32_e32 v13, 0x400, v0
	s_mov_b32 s2, exec_lo
	s_delay_alu instid0(VALU_DEP_1)
	v_cmpx_gt_u32_e64 s18, v13
	s_cbranch_execz .LBB2338_27
; %bb.26:
	global_load_u8 v10, v0, s[6:7] offset:1024
	v_perm_b32 v12, v12, v12, 0x3020104
	s_wait_loadcnt 0x0
	v_and_b32_e32 v10, 1, v10
	s_delay_alu instid0(VALU_DEP_1)
	v_cmp_eq_u32_e32 vcc_lo, 1, v10
	s_xor_b32 s3, vcc_lo, -1
	s_wait_alu 0xfffe
	v_cndmask_b32_e64 v10, 0, 1, s3
.LBB2338_27:
	s_wait_alu 0xfffe
	s_or_b32 exec_lo, exec_lo, s2
	v_lshrrev_b32_e32 v13, 8, v12
	v_lshrrev_b32_e32 v14, 24, v12
	ds_store_b8 v0, v11
	ds_store_b8 v0, v13 offset:256
	ds_store_b8_d16_hi v0, v12 offset:512
	ds_store_b8 v0, v14 offset:768
	ds_store_b8 v0, v10 offset:1024
	s_wait_loadcnt_dscnt 0x0
	s_barrier_signal -1
	s_barrier_wait -1
.LBB2338_28:
	v_mad_i32_i24 v33, 0xffffffdd, v0, v9
	s_wait_loadcnt 0x0
	global_inv scope:SCOPE_SE
	s_load_b64 s[6:7], s[0:1], 0x68
	v_mbcnt_lo_u32_b32 v32, -1, 0
	s_cmp_lg_u32 ttmp9, 0
	ds_load_u8 v9, v33
	ds_load_u8 v10, v33 offset:1
	ds_load_u8 v11, v33 offset:2
	;; [unrolled: 1-line block ×4, first 2 shown]
	s_mov_b32 s3, -1
	s_wait_loadcnt_dscnt 0x0
	v_and_b32_e32 v34, 15, v32
	s_barrier_signal -1
	s_barrier_wait -1
	global_inv scope:SCOPE_SE
	v_and_b32_e32 v31, 1, v9
	v_and_b32_e32 v30, 1, v10
	v_dual_mov_b32 v10, 0 :: v_dual_and_b32 v29, 1, v11
	v_and_b32_e32 v27, 1, v12
	v_and_b32_e32 v28, 1, v13
	s_delay_alu instid0(VALU_DEP_3) | instskip(NEXT) | instid1(VALU_DEP_1)
	v_add3_u32 v9, v30, v31, v29
	v_add_co_u32 v9, s2, v9, v27
	s_wait_alu 0xf1ff
	v_add_co_ci_u32_e64 v11, null, 0, 0, s2
	v_cmp_ne_u32_e64 s2, 0, v34
	s_delay_alu instid0(VALU_DEP_3) | instskip(NEXT) | instid1(VALU_DEP_1)
	v_add_co_u32 v19, vcc_lo, v9, v28
	v_add_co_ci_u32_e64 v20, null, 0, v11, vcc_lo
	s_cbranch_scc0 .LBB2338_85
; %bb.29:
	v_mov_b32_e32 v11, v19
	v_mov_b32_dpp v9, v19 row_shr:1 row_mask:0xf bank_mask:0xf
	v_mov_b32_dpp v14, v10 row_shr:1 row_mask:0xf bank_mask:0xf
	v_dual_mov_b32 v13, v19 :: v_dual_mov_b32 v12, v20
	s_and_saveexec_b32 s3, s2
; %bb.30:
	s_delay_alu instid0(VALU_DEP_3) | instskip(SKIP_2) | instid1(VALU_DEP_2)
	v_add_co_u32 v13, vcc_lo, v19, v9
	s_wait_alu 0xfffd
	v_add_co_ci_u32_e64 v10, null, 0, v20, vcc_lo
	v_add_co_u32 v9, vcc_lo, 0, v13
	s_wait_alu 0xfffd
	s_delay_alu instid0(VALU_DEP_2) | instskip(NEXT) | instid1(VALU_DEP_1)
	v_add_co_ci_u32_e64 v10, null, v14, v10, vcc_lo
	v_dual_mov_b32 v12, v10 :: v_dual_mov_b32 v11, v9
; %bb.31:
	s_wait_alu 0xfffe
	s_or_b32 exec_lo, exec_lo, s3
	v_mov_b32_dpp v9, v13 row_shr:2 row_mask:0xf bank_mask:0xf
	v_mov_b32_dpp v14, v10 row_shr:2 row_mask:0xf bank_mask:0xf
	s_mov_b32 s3, exec_lo
	v_cmpx_lt_u32_e32 1, v34
; %bb.32:
	s_delay_alu instid0(VALU_DEP_3) | instskip(SKIP_2) | instid1(VALU_DEP_2)
	v_add_co_u32 v13, vcc_lo, v11, v9
	s_wait_alu 0xfffd
	v_add_co_ci_u32_e64 v10, null, 0, v12, vcc_lo
	v_add_co_u32 v9, vcc_lo, 0, v13
	s_wait_alu 0xfffd
	s_delay_alu instid0(VALU_DEP_2) | instskip(NEXT) | instid1(VALU_DEP_1)
	v_add_co_ci_u32_e64 v10, null, v14, v10, vcc_lo
	v_dual_mov_b32 v12, v10 :: v_dual_mov_b32 v11, v9
; %bb.33:
	s_wait_alu 0xfffe
	s_or_b32 exec_lo, exec_lo, s3
	v_mov_b32_dpp v9, v13 row_shr:4 row_mask:0xf bank_mask:0xf
	v_mov_b32_dpp v14, v10 row_shr:4 row_mask:0xf bank_mask:0xf
	s_mov_b32 s3, exec_lo
	v_cmpx_lt_u32_e32 3, v34
	;; [unrolled: 17-line block ×3, first 2 shown]
; %bb.36:
	s_delay_alu instid0(VALU_DEP_3) | instskip(SKIP_2) | instid1(VALU_DEP_2)
	v_add_co_u32 v13, vcc_lo, v11, v14
	s_wait_alu 0xfffd
	v_add_co_ci_u32_e64 v10, null, 0, v12, vcc_lo
	v_add_co_u32 v11, vcc_lo, 0, v13
	s_wait_alu 0xfffd
	s_delay_alu instid0(VALU_DEP_2) | instskip(NEXT) | instid1(VALU_DEP_1)
	v_add_co_ci_u32_e64 v12, null, v9, v10, vcc_lo
	v_mov_b32_e32 v10, v12
; %bb.37:
	s_wait_alu 0xfffe
	s_or_b32 exec_lo, exec_lo, s3
	ds_swizzle_b32 v9, v13 offset:swizzle(BROADCAST,32,15)
	ds_swizzle_b32 v14, v10 offset:swizzle(BROADCAST,32,15)
	v_and_b32_e32 v15, 16, v32
	s_mov_b32 s3, exec_lo
	s_delay_alu instid0(VALU_DEP_1)
	v_cmpx_ne_u32_e32 0, v15
	s_cbranch_execz .LBB2338_39
; %bb.38:
	s_wait_dscnt 0x1
	v_add_co_u32 v13, vcc_lo, v11, v9
	s_wait_alu 0xfffd
	v_add_co_ci_u32_e64 v10, null, 0, v12, vcc_lo
	s_delay_alu instid0(VALU_DEP_2) | instskip(SKIP_2) | instid1(VALU_DEP_2)
	v_add_co_u32 v9, vcc_lo, 0, v13
	s_wait_dscnt 0x0
	s_wait_alu 0xfffd
	v_add_co_ci_u32_e64 v10, null, v14, v10, vcc_lo
	s_delay_alu instid0(VALU_DEP_1)
	v_dual_mov_b32 v12, v10 :: v_dual_mov_b32 v11, v9
.LBB2338_39:
	s_wait_alu 0xfffe
	s_or_b32 exec_lo, exec_lo, s3
	s_wait_dscnt 0x0
	v_or_b32_e32 v14, 31, v0
	v_lshrrev_b32_e32 v9, 5, v0
	s_mov_b32 s3, exec_lo
	s_delay_alu instid0(VALU_DEP_2)
	v_cmpx_eq_u32_e64 v0, v14
; %bb.40:
	s_delay_alu instid0(VALU_DEP_2)
	v_lshlrev_b32_e32 v14, 3, v9
	ds_store_b64 v14, v[11:12]
; %bb.41:
	s_wait_alu 0xfffe
	s_or_b32 exec_lo, exec_lo, s3
	s_delay_alu instid0(SALU_CYCLE_1)
	s_mov_b32 s3, exec_lo
	s_wait_loadcnt_dscnt 0x0
	s_barrier_signal -1
	s_barrier_wait -1
	global_inv scope:SCOPE_SE
	v_cmpx_gt_u32_e32 8, v0
	s_cbranch_execz .LBB2338_49
; %bb.42:
	v_lshlrev_b32_e32 v14, 3, v0
	s_mov_b32 s4, exec_lo
	ds_load_b64 v[11:12], v14
	s_wait_dscnt 0x0
	v_dual_mov_b32 v16, v11 :: v_dual_and_b32 v15, 7, v32
	v_mov_b32_dpp v22, v11 row_shr:1 row_mask:0xf bank_mask:0xf
	v_mov_b32_dpp v21, v12 row_shr:1 row_mask:0xf bank_mask:0xf
	s_delay_alu instid0(VALU_DEP_3)
	v_cmpx_ne_u32_e32 0, v15
; %bb.43:
	s_delay_alu instid0(VALU_DEP_3) | instskip(SKIP_2) | instid1(VALU_DEP_2)
	v_add_co_u32 v16, vcc_lo, v11, v22
	s_wait_alu 0xfffd
	v_add_co_ci_u32_e64 v12, null, 0, v12, vcc_lo
	v_add_co_u32 v11, vcc_lo, 0, v16
	s_wait_alu 0xfffd
	s_delay_alu instid0(VALU_DEP_2)
	v_add_co_ci_u32_e64 v12, null, v21, v12, vcc_lo
; %bb.44:
	s_wait_alu 0xfffe
	s_or_b32 exec_lo, exec_lo, s4
	v_mov_b32_dpp v22, v16 row_shr:2 row_mask:0xf bank_mask:0xf
	s_delay_alu instid0(VALU_DEP_2)
	v_mov_b32_dpp v21, v12 row_shr:2 row_mask:0xf bank_mask:0xf
	s_mov_b32 s4, exec_lo
	v_cmpx_lt_u32_e32 1, v15
; %bb.45:
	s_delay_alu instid0(VALU_DEP_3) | instskip(SKIP_2) | instid1(VALU_DEP_2)
	v_add_co_u32 v16, vcc_lo, v11, v22
	s_wait_alu 0xfffd
	v_add_co_ci_u32_e64 v12, null, 0, v12, vcc_lo
	v_add_co_u32 v11, vcc_lo, 0, v16
	s_wait_alu 0xfffd
	s_delay_alu instid0(VALU_DEP_2)
	v_add_co_ci_u32_e64 v12, null, v21, v12, vcc_lo
; %bb.46:
	s_wait_alu 0xfffe
	s_or_b32 exec_lo, exec_lo, s4
	v_mov_b32_dpp v21, v16 row_shr:4 row_mask:0xf bank_mask:0xf
	s_delay_alu instid0(VALU_DEP_2)
	v_mov_b32_dpp v16, v12 row_shr:4 row_mask:0xf bank_mask:0xf
	s_mov_b32 s4, exec_lo
	v_cmpx_lt_u32_e32 3, v15
; %bb.47:
	s_delay_alu instid0(VALU_DEP_3) | instskip(SKIP_2) | instid1(VALU_DEP_2)
	v_add_co_u32 v11, vcc_lo, v11, v21
	s_wait_alu 0xfffd
	v_add_co_ci_u32_e64 v12, null, 0, v12, vcc_lo
	v_add_co_u32 v11, vcc_lo, v11, 0
	s_wait_alu 0xfffd
	s_delay_alu instid0(VALU_DEP_2)
	v_add_co_ci_u32_e64 v12, null, v12, v16, vcc_lo
; %bb.48:
	s_wait_alu 0xfffe
	s_or_b32 exec_lo, exec_lo, s4
	ds_store_b64 v14, v[11:12]
.LBB2338_49:
	s_wait_alu 0xfffe
	s_or_b32 exec_lo, exec_lo, s3
	s_delay_alu instid0(SALU_CYCLE_1)
	s_mov_b32 s4, exec_lo
	v_cmp_gt_u32_e32 vcc_lo, 32, v0
	s_wait_loadcnt_dscnt 0x0
	s_barrier_signal -1
	s_barrier_wait -1
	global_inv scope:SCOPE_SE
                                        ; implicit-def: $vgpr21_vgpr22
	v_cmpx_lt_u32_e32 31, v0
	s_cbranch_execz .LBB2338_51
; %bb.50:
	v_lshl_add_u32 v9, v9, 3, -8
	ds_load_b64 v[21:22], v9
	s_wait_dscnt 0x0
	v_add_co_u32 v13, s3, v13, v21
	s_wait_alu 0xf1ff
	v_add_co_ci_u32_e64 v10, null, v10, v22, s3
.LBB2338_51:
	s_wait_alu 0xfffe
	s_or_b32 exec_lo, exec_lo, s4
	v_sub_co_u32 v9, s3, v32, 1
	s_delay_alu instid0(VALU_DEP_1) | instskip(SKIP_1) | instid1(VALU_DEP_1)
	v_cmp_gt_i32_e64 s4, 0, v9
	s_wait_alu 0xf1ff
	v_cndmask_b32_e64 v9, v9, v32, s4
	s_delay_alu instid0(VALU_DEP_1)
	v_lshlrev_b32_e32 v9, 2, v9
	ds_bpermute_b32 v35, v9, v13
	ds_bpermute_b32 v36, v9, v10
	s_and_saveexec_b32 s4, vcc_lo
	s_cbranch_execz .LBB2338_90
; %bb.52:
	v_mov_b32_e32 v12, 0
	ds_load_b64 v[9:10], v12 offset:56
	s_and_saveexec_b32 s5, s3
	s_cbranch_execz .LBB2338_54
; %bb.53:
	s_add_co_i32 s12, ttmp9, 32
	s_mov_b32 s13, 0
	s_wait_alu 0xfffe
	s_lshl_b64 s[12:13], s[12:13], 4
	s_wait_kmcnt 0x0
	s_wait_alu 0xfffe
	s_add_nc_u64 s[12:13], s[6:7], s[12:13]
	s_wait_alu 0xfffe
	v_dual_mov_b32 v11, 1 :: v_dual_mov_b32 v14, s13
	v_mov_b32_e32 v13, s12
	s_wait_dscnt 0x0
	;;#ASMSTART
	global_store_b128 v[13:14], v[9:12] off scope:SCOPE_DEV	
s_wait_storecnt 0x0
	;;#ASMEND
.LBB2338_54:
	s_wait_alu 0xfffe
	s_or_b32 exec_lo, exec_lo, s5
	v_xad_u32 v23, v32, -1, ttmp9
	s_mov_b32 s12, 0
	s_mov_b32 s5, exec_lo
	s_delay_alu instid0(VALU_DEP_1) | instskip(NEXT) | instid1(VALU_DEP_1)
	v_add_nc_u32_e32 v11, 32, v23
	v_lshlrev_b64_e32 v[11:12], 4, v[11:12]
	s_wait_kmcnt 0x0
	s_delay_alu instid0(VALU_DEP_1) | instskip(SKIP_1) | instid1(VALU_DEP_2)
	v_add_co_u32 v11, vcc_lo, s6, v11
	s_wait_alu 0xfffd
	v_add_co_ci_u32_e64 v12, null, s7, v12, vcc_lo
	;;#ASMSTART
	global_load_b128 v[13:16], v[11:12] off scope:SCOPE_DEV	
s_wait_loadcnt 0x0
	;;#ASMEND
	v_and_b32_e32 v16, 0xff, v15
	s_delay_alu instid0(VALU_DEP_1)
	v_cmpx_eq_u16_e32 0, v16
	s_cbranch_execz .LBB2338_57
.LBB2338_55:                            ; =>This Inner Loop Header: Depth=1
	;;#ASMSTART
	global_load_b128 v[13:16], v[11:12] off scope:SCOPE_DEV	
s_wait_loadcnt 0x0
	;;#ASMEND
	v_and_b32_e32 v16, 0xff, v15
	s_delay_alu instid0(VALU_DEP_1)
	v_cmp_ne_u16_e32 vcc_lo, 0, v16
	s_wait_alu 0xfffe
	s_or_b32 s12, vcc_lo, s12
	s_wait_alu 0xfffe
	s_and_not1_b32 exec_lo, exec_lo, s12
	s_cbranch_execnz .LBB2338_55
; %bb.56:
	s_or_b32 exec_lo, exec_lo, s12
.LBB2338_57:
	s_wait_alu 0xfffe
	s_or_b32 exec_lo, exec_lo, s5
	v_cmp_ne_u32_e32 vcc_lo, 31, v32
	v_and_b32_e32 v12, 0xff, v15
	v_lshlrev_b32_e64 v38, v32, -1
	s_mov_b32 s5, exec_lo
	s_wait_alu 0xfffd
	v_add_co_ci_u32_e64 v11, null, 0, v32, vcc_lo
	v_cmp_eq_u16_e32 vcc_lo, 2, v12
	s_delay_alu instid0(VALU_DEP_2)
	v_dual_mov_b32 v12, v13 :: v_dual_lshlrev_b32 v37, 2, v11
	s_wait_alu 0xfffd
	v_and_or_b32 v11, vcc_lo, v38, 0x80000000
	ds_bpermute_b32 v24, v37, v13
	ds_bpermute_b32 v16, v37, v14
	v_ctz_i32_b32_e32 v11, v11
	s_delay_alu instid0(VALU_DEP_1)
	v_cmpx_lt_u32_e64 v32, v11
	s_cbranch_execz .LBB2338_59
; %bb.58:
	s_wait_dscnt 0x1
	v_add_co_u32 v12, vcc_lo, v13, v24
	s_wait_alu 0xfffd
	v_add_co_ci_u32_e64 v14, null, 0, v14, vcc_lo
	s_delay_alu instid0(VALU_DEP_2) | instskip(SKIP_2) | instid1(VALU_DEP_2)
	v_add_co_u32 v13, vcc_lo, 0, v12
	s_wait_dscnt 0x0
	s_wait_alu 0xfffd
	v_add_co_ci_u32_e64 v14, null, v16, v14, vcc_lo
.LBB2338_59:
	s_wait_alu 0xfffe
	s_or_b32 exec_lo, exec_lo, s5
	v_cmp_gt_u32_e32 vcc_lo, 30, v32
	v_add_nc_u32_e32 v40, 2, v32
	s_mov_b32 s5, exec_lo
	s_wait_dscnt 0x0
	s_wait_alu 0xfffd
	v_cndmask_b32_e64 v16, 0, 2, vcc_lo
	s_delay_alu instid0(VALU_DEP_1)
	v_add_lshl_u32 v39, v16, v32, 2
	ds_bpermute_b32 v24, v39, v12
	ds_bpermute_b32 v16, v39, v14
	v_cmpx_le_u32_e64 v40, v11
	s_cbranch_execz .LBB2338_61
; %bb.60:
	s_wait_dscnt 0x1
	v_add_co_u32 v12, vcc_lo, v13, v24
	s_wait_alu 0xfffd
	v_add_co_ci_u32_e64 v14, null, 0, v14, vcc_lo
	s_delay_alu instid0(VALU_DEP_2) | instskip(SKIP_2) | instid1(VALU_DEP_2)
	v_add_co_u32 v13, vcc_lo, 0, v12
	s_wait_dscnt 0x0
	s_wait_alu 0xfffd
	v_add_co_ci_u32_e64 v14, null, v16, v14, vcc_lo
.LBB2338_61:
	s_wait_alu 0xfffe
	s_or_b32 exec_lo, exec_lo, s5
	v_cmp_gt_u32_e32 vcc_lo, 28, v32
	v_add_nc_u32_e32 v42, 4, v32
	s_mov_b32 s5, exec_lo
	s_wait_dscnt 0x0
	s_wait_alu 0xfffd
	v_cndmask_b32_e64 v16, 0, 4, vcc_lo
	s_delay_alu instid0(VALU_DEP_1)
	v_add_lshl_u32 v41, v16, v32, 2
	ds_bpermute_b32 v24, v41, v12
	ds_bpermute_b32 v16, v41, v14
	v_cmpx_le_u32_e64 v42, v11
	;; [unrolled: 25-line block ×3, first 2 shown]
	s_cbranch_execz .LBB2338_65
; %bb.64:
	s_wait_dscnt 0x1
	v_add_co_u32 v12, vcc_lo, v13, v24
	s_wait_alu 0xfffd
	v_add_co_ci_u32_e64 v14, null, 0, v14, vcc_lo
	s_delay_alu instid0(VALU_DEP_2) | instskip(SKIP_2) | instid1(VALU_DEP_2)
	v_add_co_u32 v13, vcc_lo, 0, v12
	s_wait_dscnt 0x0
	s_wait_alu 0xfffd
	v_add_co_ci_u32_e64 v14, null, v16, v14, vcc_lo
.LBB2338_65:
	s_wait_alu 0xfffe
	s_or_b32 exec_lo, exec_lo, s5
	v_lshl_or_b32 v45, v32, 2, 64
	v_add_nc_u32_e32 v46, 16, v32
	s_mov_b32 s5, exec_lo
	s_wait_dscnt 0x0
	ds_bpermute_b32 v16, v45, v12
	ds_bpermute_b32 v12, v45, v14
	v_cmpx_le_u32_e64 v46, v11
	s_cbranch_execz .LBB2338_67
; %bb.66:
	s_wait_dscnt 0x1
	v_add_co_u32 v11, vcc_lo, v13, v16
	s_wait_alu 0xfffd
	v_add_co_ci_u32_e64 v14, null, 0, v14, vcc_lo
	s_delay_alu instid0(VALU_DEP_2) | instskip(SKIP_2) | instid1(VALU_DEP_2)
	v_add_co_u32 v13, vcc_lo, v11, 0
	s_wait_dscnt 0x0
	s_wait_alu 0xfffd
	v_add_co_ci_u32_e64 v14, null, v14, v12, vcc_lo
.LBB2338_67:
	s_wait_alu 0xfffe
	s_or_b32 exec_lo, exec_lo, s5
	v_mov_b32_e32 v24, 0
	s_branch .LBB2338_70
.LBB2338_68:                            ;   in Loop: Header=BB2338_70 Depth=1
	s_wait_alu 0xfffe
	s_or_b32 exec_lo, exec_lo, s5
	v_add_co_u32 v13, vcc_lo, v13, v11
	v_subrev_nc_u32_e32 v23, 32, v23
	s_wait_alu 0xfffd
	v_add_co_ci_u32_e64 v14, null, v14, v12, vcc_lo
	s_mov_b32 s5, 0
.LBB2338_69:                            ;   in Loop: Header=BB2338_70 Depth=1
	s_wait_alu 0xfffe
	s_and_b32 vcc_lo, exec_lo, s5
	s_wait_alu 0xfffe
	s_cbranch_vccnz .LBB2338_86
.LBB2338_70:                            ; =>This Loop Header: Depth=1
                                        ;     Child Loop BB2338_73 Depth 2
	v_and_b32_e32 v11, 0xff, v15
	s_mov_b32 s5, -1
	s_delay_alu instid0(VALU_DEP_1)
	v_cmp_ne_u16_e32 vcc_lo, 2, v11
	s_wait_dscnt 0x0
	v_dual_mov_b32 v11, v13 :: v_dual_mov_b32 v12, v14
                                        ; implicit-def: $vgpr13_vgpr14
	s_cmp_lg_u32 vcc_lo, exec_lo
	s_cbranch_scc1 .LBB2338_69
; %bb.71:                               ;   in Loop: Header=BB2338_70 Depth=1
	v_lshlrev_b64_e32 v[13:14], 4, v[23:24]
	s_mov_b32 s5, exec_lo
	s_delay_alu instid0(VALU_DEP_1) | instskip(SKIP_1) | instid1(VALU_DEP_2)
	v_add_co_u32 v25, vcc_lo, s6, v13
	s_wait_alu 0xfffd
	v_add_co_ci_u32_e64 v26, null, s7, v14, vcc_lo
	;;#ASMSTART
	global_load_b128 v[13:16], v[25:26] off scope:SCOPE_DEV	
s_wait_loadcnt 0x0
	;;#ASMEND
	v_and_b32_e32 v16, 0xff, v15
	s_delay_alu instid0(VALU_DEP_1)
	v_cmpx_eq_u16_e32 0, v16
	s_cbranch_execz .LBB2338_75
; %bb.72:                               ;   in Loop: Header=BB2338_70 Depth=1
	s_mov_b32 s12, 0
.LBB2338_73:                            ;   Parent Loop BB2338_70 Depth=1
                                        ; =>  This Inner Loop Header: Depth=2
	;;#ASMSTART
	global_load_b128 v[13:16], v[25:26] off scope:SCOPE_DEV	
s_wait_loadcnt 0x0
	;;#ASMEND
	v_and_b32_e32 v16, 0xff, v15
	s_delay_alu instid0(VALU_DEP_1)
	v_cmp_ne_u16_e32 vcc_lo, 0, v16
	s_wait_alu 0xfffe
	s_or_b32 s12, vcc_lo, s12
	s_wait_alu 0xfffe
	s_and_not1_b32 exec_lo, exec_lo, s12
	s_cbranch_execnz .LBB2338_73
; %bb.74:                               ;   in Loop: Header=BB2338_70 Depth=1
	s_or_b32 exec_lo, exec_lo, s12
.LBB2338_75:                            ;   in Loop: Header=BB2338_70 Depth=1
	s_wait_alu 0xfffe
	s_or_b32 exec_lo, exec_lo, s5
	v_dual_mov_b32 v25, v13 :: v_dual_and_b32 v16, 0xff, v15
	ds_bpermute_b32 v47, v37, v13
	ds_bpermute_b32 v26, v37, v14
	s_mov_b32 s5, exec_lo
	v_cmp_eq_u16_e32 vcc_lo, 2, v16
	s_wait_alu 0xfffd
	v_and_or_b32 v16, vcc_lo, v38, 0x80000000
	s_delay_alu instid0(VALU_DEP_1) | instskip(NEXT) | instid1(VALU_DEP_1)
	v_ctz_i32_b32_e32 v16, v16
	v_cmpx_lt_u32_e64 v32, v16
	s_cbranch_execz .LBB2338_77
; %bb.76:                               ;   in Loop: Header=BB2338_70 Depth=1
	s_wait_dscnt 0x1
	v_add_co_u32 v25, vcc_lo, v13, v47
	s_wait_alu 0xfffd
	v_add_co_ci_u32_e64 v14, null, 0, v14, vcc_lo
	s_delay_alu instid0(VALU_DEP_2) | instskip(SKIP_2) | instid1(VALU_DEP_2)
	v_add_co_u32 v13, vcc_lo, 0, v25
	s_wait_dscnt 0x0
	s_wait_alu 0xfffd
	v_add_co_ci_u32_e64 v14, null, v26, v14, vcc_lo
.LBB2338_77:                            ;   in Loop: Header=BB2338_70 Depth=1
	s_wait_alu 0xfffe
	s_or_b32 exec_lo, exec_lo, s5
	s_wait_dscnt 0x1
	ds_bpermute_b32 v47, v39, v25
	s_wait_dscnt 0x1
	ds_bpermute_b32 v26, v39, v14
	s_mov_b32 s5, exec_lo
	v_cmpx_le_u32_e64 v40, v16
	s_cbranch_execz .LBB2338_79
; %bb.78:                               ;   in Loop: Header=BB2338_70 Depth=1
	s_wait_dscnt 0x1
	v_add_co_u32 v25, vcc_lo, v13, v47
	s_wait_alu 0xfffd
	v_add_co_ci_u32_e64 v14, null, 0, v14, vcc_lo
	s_delay_alu instid0(VALU_DEP_2) | instskip(SKIP_2) | instid1(VALU_DEP_2)
	v_add_co_u32 v13, vcc_lo, 0, v25
	s_wait_dscnt 0x0
	s_wait_alu 0xfffd
	v_add_co_ci_u32_e64 v14, null, v26, v14, vcc_lo
.LBB2338_79:                            ;   in Loop: Header=BB2338_70 Depth=1
	s_wait_alu 0xfffe
	s_or_b32 exec_lo, exec_lo, s5
	s_wait_dscnt 0x1
	ds_bpermute_b32 v47, v41, v25
	s_wait_dscnt 0x1
	ds_bpermute_b32 v26, v41, v14
	s_mov_b32 s5, exec_lo
	v_cmpx_le_u32_e64 v42, v16
	;; [unrolled: 20-line block ×3, first 2 shown]
	s_cbranch_execz .LBB2338_83
; %bb.82:                               ;   in Loop: Header=BB2338_70 Depth=1
	s_wait_dscnt 0x1
	v_add_co_u32 v25, vcc_lo, v13, v47
	s_wait_alu 0xfffd
	v_add_co_ci_u32_e64 v14, null, 0, v14, vcc_lo
	s_delay_alu instid0(VALU_DEP_2) | instskip(SKIP_2) | instid1(VALU_DEP_2)
	v_add_co_u32 v13, vcc_lo, 0, v25
	s_wait_dscnt 0x0
	s_wait_alu 0xfffd
	v_add_co_ci_u32_e64 v14, null, v26, v14, vcc_lo
.LBB2338_83:                            ;   in Loop: Header=BB2338_70 Depth=1
	s_wait_alu 0xfffe
	s_or_b32 exec_lo, exec_lo, s5
	s_wait_dscnt 0x0
	ds_bpermute_b32 v26, v45, v25
	ds_bpermute_b32 v25, v45, v14
	s_mov_b32 s5, exec_lo
	v_cmpx_le_u32_e64 v46, v16
	s_cbranch_execz .LBB2338_68
; %bb.84:                               ;   in Loop: Header=BB2338_70 Depth=1
	s_wait_dscnt 0x1
	v_add_co_u32 v13, vcc_lo, v13, v26
	s_wait_alu 0xfffd
	v_add_co_ci_u32_e64 v14, null, 0, v14, vcc_lo
	s_delay_alu instid0(VALU_DEP_2) | instskip(SKIP_2) | instid1(VALU_DEP_2)
	v_add_co_u32 v13, vcc_lo, v13, 0
	s_wait_dscnt 0x0
	s_wait_alu 0xfffd
	v_add_co_ci_u32_e64 v14, null, v14, v25, vcc_lo
	s_branch .LBB2338_68
.LBB2338_85:
                                        ; implicit-def: $vgpr15_vgpr16
                                        ; implicit-def: $vgpr13_vgpr14
                                        ; implicit-def: $vgpr21_vgpr22
                                        ; implicit-def: $vgpr23_vgpr24
                                        ; implicit-def: $vgpr25_vgpr26
                                        ; implicit-def: $vgpr11_vgpr12
	s_load_b64 s[4:5], s[0:1], 0x30
	s_and_b32 vcc_lo, exec_lo, s3
	s_wait_alu 0xfffe
	s_cbranch_vccnz .LBB2338_91
	s_branch .LBB2338_116
.LBB2338_86:
	s_and_saveexec_b32 s5, s3
	s_cbranch_execz .LBB2338_88
; %bb.87:
	s_add_co_i32 s12, ttmp9, 32
	s_mov_b32 s13, 0
	v_add_co_u32 v13, vcc_lo, v11, v9
	s_wait_alu 0xfffe
	s_lshl_b64 s[12:13], s[12:13], 4
	v_dual_mov_b32 v15, 2 :: v_dual_mov_b32 v16, 0
	s_wait_alu 0xfffe
	s_add_nc_u64 s[12:13], s[6:7], s[12:13]
	s_wait_alu 0xfffd
	v_add_co_ci_u32_e64 v14, null, v12, v10, vcc_lo
	s_wait_alu 0xfffe
	v_dual_mov_b32 v24, s13 :: v_dual_mov_b32 v23, s12
	;;#ASMSTART
	global_store_b128 v[23:24], v[13:16] off scope:SCOPE_DEV	
s_wait_storecnt 0x0
	;;#ASMEND
	ds_store_b128 v16, v[9:12] offset:10240
.LBB2338_88:
	s_wait_alu 0xfffe
	s_or_b32 exec_lo, exec_lo, s5
	v_cmp_eq_u32_e32 vcc_lo, 0, v0
	s_and_b32 exec_lo, exec_lo, vcc_lo
; %bb.89:
	v_mov_b32_e32 v9, 0
	ds_store_b64 v9, v[11:12] offset:56
.LBB2338_90:
	s_wait_alu 0xfffe
	s_or_b32 exec_lo, exec_lo, s4
	s_wait_dscnt 0x1
	v_cndmask_b32_e64 v12, v35, v21, s3
	v_cmp_ne_u32_e32 vcc_lo, 0, v0
	v_mov_b32_e32 v11, 0
	s_wait_loadcnt_dscnt 0x0
	s_barrier_signal -1
	s_barrier_wait -1
	global_inv scope:SCOPE_SE
	s_wait_alu 0xfffd
	v_cndmask_b32_e32 v12, 0, v12, vcc_lo
	ds_load_b64 v[9:10], v11 offset:56
	v_cndmask_b32_e64 v13, v36, v22, s3
	s_wait_loadcnt_dscnt 0x0
	s_barrier_signal -1
	s_barrier_wait -1
	global_inv scope:SCOPE_SE
	v_cndmask_b32_e32 v13, 0, v13, vcc_lo
	v_add_co_u32 v25, vcc_lo, v9, v12
	s_wait_alu 0xfffd
	s_delay_alu instid0(VALU_DEP_2) | instskip(SKIP_4) | instid1(VALU_DEP_2)
	v_add_co_ci_u32_e64 v26, null, v10, v13, vcc_lo
	ds_load_b128 v[9:12], v11 offset:10240
	v_add_co_u32 v23, vcc_lo, v25, v31
	s_wait_alu 0xfffd
	v_add_co_ci_u32_e64 v24, null, 0, v26, vcc_lo
	v_add_co_u32 v21, vcc_lo, v23, v30
	s_wait_alu 0xfffd
	s_delay_alu instid0(VALU_DEP_2) | instskip(NEXT) | instid1(VALU_DEP_2)
	v_add_co_ci_u32_e64 v22, null, 0, v24, vcc_lo
	v_add_co_u32 v13, vcc_lo, v21, v29
	s_wait_alu 0xfffd
	s_delay_alu instid0(VALU_DEP_2) | instskip(NEXT) | instid1(VALU_DEP_2)
	v_add_co_ci_u32_e64 v14, null, 0, v22, vcc_lo
	v_add_co_u32 v15, vcc_lo, v13, v27
	s_wait_alu 0xfffd
	s_delay_alu instid0(VALU_DEP_2)
	v_add_co_ci_u32_e64 v16, null, 0, v14, vcc_lo
	s_load_b64 s[4:5], s[0:1], 0x30
	s_branch .LBB2338_116
.LBB2338_91:
	s_wait_dscnt 0x0
	v_dual_mov_b32 v10, 0 :: v_dual_mov_b32 v11, v19
	v_mov_b32_dpp v12, v19 row_shr:1 row_mask:0xf bank_mask:0xf
	s_delay_alu instid0(VALU_DEP_2)
	v_mov_b32_dpp v9, v10 row_shr:1 row_mask:0xf bank_mask:0xf
	s_and_saveexec_b32 s0, s2
; %bb.92:
	s_delay_alu instid0(VALU_DEP_2) | instskip(SKIP_2) | instid1(VALU_DEP_2)
	v_add_co_u32 v11, vcc_lo, v19, v12
	s_wait_alu 0xfffd
	v_add_co_ci_u32_e64 v10, null, 0, v20, vcc_lo
	v_add_co_u32 v19, vcc_lo, 0, v11
	s_wait_alu 0xfffd
	s_delay_alu instid0(VALU_DEP_2) | instskip(NEXT) | instid1(VALU_DEP_1)
	v_add_co_ci_u32_e64 v20, null, v9, v10, vcc_lo
	v_mov_b32_e32 v10, v20
; %bb.93:
	s_or_b32 exec_lo, exec_lo, s0
	v_mov_b32_dpp v9, v11 row_shr:2 row_mask:0xf bank_mask:0xf
	s_delay_alu instid0(VALU_DEP_2)
	v_mov_b32_dpp v12, v10 row_shr:2 row_mask:0xf bank_mask:0xf
	s_mov_b32 s0, exec_lo
	v_cmpx_lt_u32_e32 1, v34
; %bb.94:
	s_delay_alu instid0(VALU_DEP_3) | instskip(SKIP_2) | instid1(VALU_DEP_2)
	v_add_co_u32 v11, vcc_lo, v19, v9
	s_wait_alu 0xfffd
	v_add_co_ci_u32_e64 v10, null, 0, v20, vcc_lo
	v_add_co_u32 v9, vcc_lo, 0, v11
	s_wait_alu 0xfffd
	s_delay_alu instid0(VALU_DEP_2) | instskip(NEXT) | instid1(VALU_DEP_1)
	v_add_co_ci_u32_e64 v10, null, v12, v10, vcc_lo
	v_dual_mov_b32 v20, v10 :: v_dual_mov_b32 v19, v9
; %bb.95:
	s_or_b32 exec_lo, exec_lo, s0
	v_mov_b32_dpp v9, v11 row_shr:4 row_mask:0xf bank_mask:0xf
	v_mov_b32_dpp v12, v10 row_shr:4 row_mask:0xf bank_mask:0xf
	s_mov_b32 s0, exec_lo
	v_cmpx_lt_u32_e32 3, v34
; %bb.96:
	s_delay_alu instid0(VALU_DEP_3) | instskip(SKIP_2) | instid1(VALU_DEP_2)
	v_add_co_u32 v11, vcc_lo, v19, v9
	s_wait_alu 0xfffd
	v_add_co_ci_u32_e64 v10, null, 0, v20, vcc_lo
	v_add_co_u32 v9, vcc_lo, 0, v11
	s_wait_alu 0xfffd
	s_delay_alu instid0(VALU_DEP_2) | instskip(NEXT) | instid1(VALU_DEP_1)
	v_add_co_ci_u32_e64 v10, null, v12, v10, vcc_lo
	v_dual_mov_b32 v20, v10 :: v_dual_mov_b32 v19, v9
; %bb.97:
	s_or_b32 exec_lo, exec_lo, s0
	v_mov_b32_dpp v12, v11 row_shr:8 row_mask:0xf bank_mask:0xf
	v_mov_b32_dpp v9, v10 row_shr:8 row_mask:0xf bank_mask:0xf
	s_mov_b32 s0, exec_lo
	v_cmpx_lt_u32_e32 7, v34
; %bb.98:
	s_delay_alu instid0(VALU_DEP_3) | instskip(SKIP_2) | instid1(VALU_DEP_2)
	v_add_co_u32 v11, vcc_lo, v19, v12
	s_wait_alu 0xfffd
	v_add_co_ci_u32_e64 v10, null, 0, v20, vcc_lo
	v_add_co_u32 v19, vcc_lo, 0, v11
	s_wait_alu 0xfffd
	s_delay_alu instid0(VALU_DEP_2) | instskip(NEXT) | instid1(VALU_DEP_1)
	v_add_co_ci_u32_e64 v20, null, v9, v10, vcc_lo
	v_mov_b32_e32 v10, v20
; %bb.99:
	s_or_b32 exec_lo, exec_lo, s0
	ds_swizzle_b32 v11, v11 offset:swizzle(BROADCAST,32,15)
	ds_swizzle_b32 v9, v10 offset:swizzle(BROADCAST,32,15)
	v_and_b32_e32 v10, 16, v32
	s_mov_b32 s0, exec_lo
	s_delay_alu instid0(VALU_DEP_1)
	v_cmpx_ne_u32_e32 0, v10
	s_cbranch_execz .LBB2338_101
; %bb.100:
	s_wait_dscnt 0x1
	v_add_co_u32 v10, vcc_lo, v19, v11
	s_wait_alu 0xfffd
	v_add_co_ci_u32_e64 v11, null, 0, v20, vcc_lo
	s_delay_alu instid0(VALU_DEP_2) | instskip(SKIP_2) | instid1(VALU_DEP_2)
	v_add_co_u32 v19, vcc_lo, v10, 0
	s_wait_dscnt 0x0
	s_wait_alu 0xfffd
	v_add_co_ci_u32_e64 v20, null, v11, v9, vcc_lo
.LBB2338_101:
	s_or_b32 exec_lo, exec_lo, s0
	s_wait_dscnt 0x0
	v_or_b32_e32 v9, 31, v0
	v_lshrrev_b32_e32 v11, 5, v0
	s_mov_b32 s0, exec_lo
	s_delay_alu instid0(VALU_DEP_2)
	v_cmpx_eq_u32_e64 v0, v9
; %bb.102:
	s_delay_alu instid0(VALU_DEP_2)
	v_lshlrev_b32_e32 v9, 3, v11
	ds_store_b64 v9, v[19:20]
; %bb.103:
	s_or_b32 exec_lo, exec_lo, s0
	s_delay_alu instid0(SALU_CYCLE_1)
	s_mov_b32 s0, exec_lo
	s_wait_loadcnt_dscnt 0x0
	s_barrier_signal -1
	s_barrier_wait -1
	global_inv scope:SCOPE_SE
	v_cmpx_gt_u32_e32 8, v0
	s_cbranch_execz .LBB2338_111
; %bb.104:
	v_mad_u32_u24 v9, v0, 3, v33
	s_mov_b32 s1, exec_lo
	ds_load_b64 v[9:10], v9
	s_wait_dscnt 0x0
	v_dual_mov_b32 v13, v9 :: v_dual_and_b32 v12, 7, v32
	v_mov_b32_dpp v15, v9 row_shr:1 row_mask:0xf bank_mask:0xf
	v_mov_b32_dpp v14, v10 row_shr:1 row_mask:0xf bank_mask:0xf
	s_delay_alu instid0(VALU_DEP_3)
	v_cmpx_ne_u32_e32 0, v12
; %bb.105:
	s_delay_alu instid0(VALU_DEP_3) | instskip(SKIP_2) | instid1(VALU_DEP_2)
	v_add_co_u32 v13, vcc_lo, v9, v15
	s_wait_alu 0xfffd
	v_add_co_ci_u32_e64 v10, null, 0, v10, vcc_lo
	v_add_co_u32 v9, vcc_lo, 0, v13
	s_wait_alu 0xfffd
	s_delay_alu instid0(VALU_DEP_2)
	v_add_co_ci_u32_e64 v10, null, v14, v10, vcc_lo
; %bb.106:
	s_or_b32 exec_lo, exec_lo, s1
	v_mov_b32_dpp v15, v13 row_shr:2 row_mask:0xf bank_mask:0xf
	s_delay_alu instid0(VALU_DEP_2)
	v_mov_b32_dpp v14, v10 row_shr:2 row_mask:0xf bank_mask:0xf
	s_mov_b32 s1, exec_lo
	v_cmpx_lt_u32_e32 1, v12
; %bb.107:
	s_delay_alu instid0(VALU_DEP_3) | instskip(SKIP_2) | instid1(VALU_DEP_2)
	v_add_co_u32 v13, vcc_lo, v9, v15
	s_wait_alu 0xfffd
	v_add_co_ci_u32_e64 v10, null, 0, v10, vcc_lo
	v_add_co_u32 v9, vcc_lo, 0, v13
	s_wait_alu 0xfffd
	s_delay_alu instid0(VALU_DEP_2)
	v_add_co_ci_u32_e64 v10, null, v14, v10, vcc_lo
; %bb.108:
	s_or_b32 exec_lo, exec_lo, s1
	v_mul_u32_u24_e32 v14, 3, v0
	v_mov_b32_dpp v15, v13 row_shr:4 row_mask:0xf bank_mask:0xf
	s_delay_alu instid0(VALU_DEP_3)
	v_mov_b32_dpp v13, v10 row_shr:4 row_mask:0xf bank_mask:0xf
	s_mov_b32 s1, exec_lo
	v_cmpx_lt_u32_e32 3, v12
; %bb.109:
	s_delay_alu instid0(VALU_DEP_3) | instskip(SKIP_2) | instid1(VALU_DEP_2)
	v_add_co_u32 v9, vcc_lo, v9, v15
	s_wait_alu 0xfffd
	v_add_co_ci_u32_e64 v10, null, 0, v10, vcc_lo
	v_add_co_u32 v9, vcc_lo, v9, 0
	s_wait_alu 0xfffd
	s_delay_alu instid0(VALU_DEP_2)
	v_add_co_ci_u32_e64 v10, null, v10, v13, vcc_lo
; %bb.110:
	s_or_b32 exec_lo, exec_lo, s1
	v_add_nc_u32_e32 v12, v33, v14
	ds_store_b64 v12, v[9:10]
.LBB2338_111:
	s_or_b32 exec_lo, exec_lo, s0
	v_mov_b32_e32 v13, 0
	v_mov_b32_e32 v14, 0
	s_mov_b32 s0, exec_lo
	s_wait_loadcnt_dscnt 0x0
	s_barrier_signal -1
	s_barrier_wait -1
	global_inv scope:SCOPE_SE
	v_cmpx_lt_u32_e32 31, v0
; %bb.112:
	v_lshl_add_u32 v9, v11, 3, -8
	ds_load_b64 v[13:14], v9
; %bb.113:
	s_or_b32 exec_lo, exec_lo, s0
	v_sub_co_u32 v9, vcc_lo, v32, 1
	v_mov_b32_e32 v12, 0
	s_delay_alu instid0(VALU_DEP_2) | instskip(NEXT) | instid1(VALU_DEP_1)
	v_cmp_gt_i32_e64 s0, 0, v9
	v_cndmask_b32_e64 v9, v9, v32, s0
	s_wait_dscnt 0x0
	v_add_co_u32 v10, s0, v13, v19
	s_wait_alu 0xf1ff
	v_add_co_ci_u32_e64 v11, null, v14, v20, s0
	v_lshlrev_b32_e32 v9, 2, v9
	v_cmp_eq_u32_e64 s0, 0, v0
	ds_bpermute_b32 v15, v9, v10
	ds_bpermute_b32 v16, v9, v11
	ds_load_b64 v[9:10], v12 offset:56
	s_and_saveexec_b32 s1, s0
	s_cbranch_execz .LBB2338_115
; %bb.114:
	s_wait_kmcnt 0x0
	s_add_nc_u64 s[2:3], s[6:7], 0x200
	s_wait_alu 0xfffe
	v_dual_mov_b32 v11, 2 :: v_dual_mov_b32 v20, s3
	v_mov_b32_e32 v19, s2
	s_wait_dscnt 0x0
	;;#ASMSTART
	global_store_b128 v[19:20], v[9:12] off scope:SCOPE_DEV	
s_wait_storecnt 0x0
	;;#ASMEND
.LBB2338_115:
	s_wait_alu 0xfffe
	s_or_b32 exec_lo, exec_lo, s1
	s_wait_dscnt 0x1
	s_wait_alu 0xfffd
	v_dual_cndmask_b32 v11, v15, v13 :: v_dual_cndmask_b32 v12, v16, v14
	s_wait_loadcnt_dscnt 0x0
	s_barrier_signal -1
	s_barrier_wait -1
	s_delay_alu instid0(VALU_DEP_1)
	v_cndmask_b32_e64 v25, v11, 0, s0
	v_cndmask_b32_e64 v26, v12, 0, s0
	v_mov_b32_e32 v11, 0
	v_mov_b32_e32 v12, 0
	global_inv scope:SCOPE_SE
	v_add_co_u32 v23, vcc_lo, v25, v31
	s_wait_alu 0xfffd
	v_add_co_ci_u32_e64 v24, null, 0, v26, vcc_lo
	s_delay_alu instid0(VALU_DEP_2) | instskip(SKIP_1) | instid1(VALU_DEP_2)
	v_add_co_u32 v21, vcc_lo, v23, v30
	s_wait_alu 0xfffd
	v_add_co_ci_u32_e64 v22, null, 0, v24, vcc_lo
	s_delay_alu instid0(VALU_DEP_2) | instskip(SKIP_1) | instid1(VALU_DEP_2)
	;; [unrolled: 4-line block ×3, first 2 shown]
	v_add_co_u32 v15, vcc_lo, v13, v27
	s_wait_alu 0xfffd
	v_add_co_ci_u32_e64 v16, null, 0, v14, vcc_lo
.LBB2338_116:
	s_wait_dscnt 0x0
	v_cmp_gt_u64_e32 vcc_lo, 0x101, v[9:10]
	v_cmp_eq_u32_e64 s0, 1, v31
	s_mov_b32 s1, -1
	s_cbranch_vccnz .LBB2338_120
; %bb.117:
	s_wait_alu 0xfffe
	s_and_b32 vcc_lo, exec_lo, s1
	s_wait_alu 0xfffe
	s_cbranch_vccnz .LBB2338_131
.LBB2338_118:
	v_cmp_eq_u32_e32 vcc_lo, 0, v0
	s_and_b32 s0, vcc_lo, s16
	s_wait_alu 0xfffe
	s_and_saveexec_b32 s1, s0
	s_cbranch_execnz .LBB2338_144
.LBB2338_119:
	s_endpgm
.LBB2338_120:
	v_add_co_u32 v19, vcc_lo, v11, v9
	s_wait_alu 0xfffd
	v_add_co_ci_u32_e64 v20, null, v12, v10, vcc_lo
	s_lshl_b64 s[2:3], s[10:11], 3
	s_wait_kmcnt 0x0
	s_wait_alu 0xfffe
	s_add_nc_u64 s[2:3], s[4:5], s[2:3]
	v_cmp_lt_u64_e32 vcc_lo, v[25:26], v[19:20]
	s_or_b32 s1, s17, vcc_lo
	s_wait_alu 0xfffe
	s_and_b32 s1, s1, s0
	s_wait_alu 0xfffe
	s_and_saveexec_b32 s0, s1
	s_cbranch_execz .LBB2338_122
; %bb.121:
	v_lshlrev_b64_e32 v[32:33], 3, v[25:26]
	s_delay_alu instid0(VALU_DEP_1) | instskip(SKIP_1) | instid1(VALU_DEP_2)
	v_add_co_u32 v32, vcc_lo, s2, v32
	s_wait_alu 0xfffd
	v_add_co_ci_u32_e64 v33, null, s3, v33, vcc_lo
	global_store_b64 v[32:33], v[5:6], off
.LBB2338_122:
	s_wait_alu 0xfffe
	s_or_b32 exec_lo, exec_lo, s0
	v_cmp_lt_u64_e32 vcc_lo, v[23:24], v[19:20]
	v_cmp_eq_u32_e64 s0, 1, v30
	s_or_b32 s1, s17, vcc_lo
	s_wait_alu 0xfffe
	s_and_b32 s1, s1, s0
	s_wait_alu 0xfffe
	s_and_saveexec_b32 s0, s1
	s_cbranch_execz .LBB2338_124
; %bb.123:
	v_lshlrev_b64_e32 v[32:33], 3, v[23:24]
	s_delay_alu instid0(VALU_DEP_1) | instskip(SKIP_1) | instid1(VALU_DEP_2)
	v_add_co_u32 v32, vcc_lo, s2, v32
	s_wait_alu 0xfffd
	v_add_co_ci_u32_e64 v33, null, s3, v33, vcc_lo
	global_store_b64 v[32:33], v[7:8], off
.LBB2338_124:
	s_wait_alu 0xfffe
	s_or_b32 exec_lo, exec_lo, s0
	v_cmp_lt_u64_e32 vcc_lo, v[21:22], v[19:20]
	v_cmp_eq_u32_e64 s0, 1, v29
	;; [unrolled: 18-line block ×4, first 2 shown]
	s_or_b32 s1, s17, vcc_lo
	s_wait_alu 0xfffe
	s_and_b32 s1, s1, s0
	s_wait_alu 0xfffe
	s_and_saveexec_b32 s0, s1
	s_cbranch_execz .LBB2338_130
; %bb.129:
	v_lshlrev_b64_e32 v[19:20], 3, v[15:16]
	s_delay_alu instid0(VALU_DEP_1) | instskip(SKIP_1) | instid1(VALU_DEP_2)
	v_add_co_u32 v19, vcc_lo, s2, v19
	s_wait_alu 0xfffd
	v_add_co_ci_u32_e64 v20, null, s3, v20, vcc_lo
	global_store_b64 v[19:20], v[17:18], off
.LBB2338_130:
	s_wait_alu 0xfffe
	s_or_b32 exec_lo, exec_lo, s0
	s_branch .LBB2338_118
.LBB2338_131:
	s_mov_b32 s0, exec_lo
	v_cmpx_eq_u32_e32 1, v31
; %bb.132:
	v_sub_nc_u32_e32 v14, v25, v11
	s_delay_alu instid0(VALU_DEP_1)
	v_lshlrev_b32_e32 v14, 3, v14
	ds_store_b64 v14, v[5:6]
; %bb.133:
	s_wait_alu 0xfffe
	s_or_b32 exec_lo, exec_lo, s0
	s_delay_alu instid0(SALU_CYCLE_1)
	s_mov_b32 s0, exec_lo
	v_cmpx_eq_u32_e32 1, v30
; %bb.134:
	v_sub_nc_u32_e32 v5, v23, v11
	s_delay_alu instid0(VALU_DEP_1)
	v_lshlrev_b32_e32 v5, 3, v5
	ds_store_b64 v5, v[7:8]
; %bb.135:
	s_wait_alu 0xfffe
	s_or_b32 exec_lo, exec_lo, s0
	s_delay_alu instid0(SALU_CYCLE_1)
	;; [unrolled: 11-line block ×4, first 2 shown]
	s_mov_b32 s0, exec_lo
	v_cmpx_eq_u32_e32 1, v28
; %bb.140:
	v_sub_nc_u32_e32 v1, v15, v11
	s_delay_alu instid0(VALU_DEP_1)
	v_lshlrev_b32_e32 v1, 3, v1
	ds_store_b64 v1, v[17:18]
; %bb.141:
	s_wait_alu 0xfffe
	s_or_b32 exec_lo, exec_lo, s0
	v_lshlrev_b64_e32 v[1:2], 3, v[11:12]
	v_mov_b32_e32 v3, 0
	s_lshl_b64 s[0:1], s[10:11], 3
	s_wait_storecnt 0x0
	s_wait_loadcnt_dscnt 0x0
	s_barrier_signal -1
	s_barrier_wait -1
	s_wait_kmcnt 0x0
	v_add_co_u32 v4, vcc_lo, s4, v1
	v_mov_b32_e32 v1, v3
	s_wait_alu 0xfffd
	v_add_co_ci_u32_e64 v2, null, s5, v2, vcc_lo
	s_wait_alu 0xfffe
	v_add_co_u32 v6, vcc_lo, v4, s0
	v_mov_b32_e32 v5, v1
	s_wait_alu 0xfffd
	v_add_co_ci_u32_e64 v7, null, s1, v2, vcc_lo
	v_or_b32_e32 v2, 0x100, v0
	v_mov_b32_e32 v4, v0
	s_mov_b32 s1, 0
	global_inv scope:SCOPE_SE
.LBB2338_142:                           ; =>This Inner Loop Header: Depth=1
	v_lshlrev_b32_e32 v1, 3, v4
	v_lshlrev_b64_e32 v[15:16], 3, v[4:5]
	v_dual_mov_b32 v5, v3 :: v_dual_mov_b32 v4, v2
	v_cmp_le_u64_e32 vcc_lo, v[9:10], v[2:3]
	ds_load_b64 v[13:14], v1
	v_add_nc_u32_e32 v2, 0x100, v2
	v_add_co_u32 v15, s0, v6, v15
	s_wait_alu 0xf1ff
	v_add_co_ci_u32_e64 v16, null, v7, v16, s0
	s_wait_alu 0xfffe
	s_or_b32 s1, vcc_lo, s1
	s_wait_dscnt 0x0
	global_store_b64 v[15:16], v[13:14], off
	s_wait_alu 0xfffe
	s_and_not1_b32 exec_lo, exec_lo, s1
	s_cbranch_execnz .LBB2338_142
; %bb.143:
	s_or_b32 exec_lo, exec_lo, s1
	v_cmp_eq_u32_e32 vcc_lo, 0, v0
	s_and_b32 s0, vcc_lo, s16
	s_wait_alu 0xfffe
	s_and_saveexec_b32 s1, s0
	s_cbranch_execz .LBB2338_119
.LBB2338_144:
	v_add_co_u32 v0, vcc_lo, v11, v9
	s_wait_alu 0xfffd
	v_add_co_ci_u32_e64 v1, null, v12, v10, vcc_lo
	v_mov_b32_e32 v2, 0
	s_delay_alu instid0(VALU_DEP_3) | instskip(SKIP_1) | instid1(VALU_DEP_3)
	v_add_co_u32 v0, vcc_lo, v0, s10
	s_wait_alu 0xfffd
	v_add_co_ci_u32_e64 v1, null, s11, v1, vcc_lo
	global_store_b64 v2, v[0:1], s[8:9]
	s_endpgm
	.section	.rodata,"a",@progbits
	.p2align	6, 0x0
	.amdhsa_kernel _ZN7rocprim17ROCPRIM_400000_NS6detail17trampoline_kernelINS0_14default_configENS1_25partition_config_selectorILNS1_17partition_subalgoE5EdNS0_10empty_typeEbEEZZNS1_14partition_implILS5_5ELb0ES3_mN6thrust23THRUST_200600_302600_NS6detail15normal_iteratorINSA_10device_ptrIdEEEEPS6_NSA_18transform_iteratorINSB_9not_fun_tI7is_trueIdEEENSC_INSD_IbEEEENSA_11use_defaultESO_EENS0_5tupleIJSF_S6_EEENSQ_IJSG_SG_EEES6_PlJS6_EEE10hipError_tPvRmT3_T4_T5_T6_T7_T9_mT8_P12ihipStream_tbDpT10_ENKUlT_T0_E_clISt17integral_constantIbLb0EES1D_EEDaS18_S19_EUlS18_E_NS1_11comp_targetILNS1_3genE10ELNS1_11target_archE1200ELNS1_3gpuE4ELNS1_3repE0EEENS1_30default_config_static_selectorELNS0_4arch9wavefront6targetE0EEEvT1_
		.amdhsa_group_segment_fixed_size 10256
		.amdhsa_private_segment_fixed_size 0
		.amdhsa_kernarg_size 120
		.amdhsa_user_sgpr_count 2
		.amdhsa_user_sgpr_dispatch_ptr 0
		.amdhsa_user_sgpr_queue_ptr 0
		.amdhsa_user_sgpr_kernarg_segment_ptr 1
		.amdhsa_user_sgpr_dispatch_id 0
		.amdhsa_user_sgpr_private_segment_size 0
		.amdhsa_wavefront_size32 1
		.amdhsa_uses_dynamic_stack 0
		.amdhsa_enable_private_segment 0
		.amdhsa_system_sgpr_workgroup_id_x 1
		.amdhsa_system_sgpr_workgroup_id_y 0
		.amdhsa_system_sgpr_workgroup_id_z 0
		.amdhsa_system_sgpr_workgroup_info 0
		.amdhsa_system_vgpr_workitem_id 0
		.amdhsa_next_free_vgpr 48
		.amdhsa_next_free_sgpr 19
		.amdhsa_reserve_vcc 1
		.amdhsa_float_round_mode_32 0
		.amdhsa_float_round_mode_16_64 0
		.amdhsa_float_denorm_mode_32 3
		.amdhsa_float_denorm_mode_16_64 3
		.amdhsa_fp16_overflow 0
		.amdhsa_workgroup_processor_mode 1
		.amdhsa_memory_ordered 1
		.amdhsa_forward_progress 1
		.amdhsa_inst_pref_size 57
		.amdhsa_round_robin_scheduling 0
		.amdhsa_exception_fp_ieee_invalid_op 0
		.amdhsa_exception_fp_denorm_src 0
		.amdhsa_exception_fp_ieee_div_zero 0
		.amdhsa_exception_fp_ieee_overflow 0
		.amdhsa_exception_fp_ieee_underflow 0
		.amdhsa_exception_fp_ieee_inexact 0
		.amdhsa_exception_int_div_zero 0
	.end_amdhsa_kernel
	.section	.text._ZN7rocprim17ROCPRIM_400000_NS6detail17trampoline_kernelINS0_14default_configENS1_25partition_config_selectorILNS1_17partition_subalgoE5EdNS0_10empty_typeEbEEZZNS1_14partition_implILS5_5ELb0ES3_mN6thrust23THRUST_200600_302600_NS6detail15normal_iteratorINSA_10device_ptrIdEEEEPS6_NSA_18transform_iteratorINSB_9not_fun_tI7is_trueIdEEENSC_INSD_IbEEEENSA_11use_defaultESO_EENS0_5tupleIJSF_S6_EEENSQ_IJSG_SG_EEES6_PlJS6_EEE10hipError_tPvRmT3_T4_T5_T6_T7_T9_mT8_P12ihipStream_tbDpT10_ENKUlT_T0_E_clISt17integral_constantIbLb0EES1D_EEDaS18_S19_EUlS18_E_NS1_11comp_targetILNS1_3genE10ELNS1_11target_archE1200ELNS1_3gpuE4ELNS1_3repE0EEENS1_30default_config_static_selectorELNS0_4arch9wavefront6targetE0EEEvT1_,"axG",@progbits,_ZN7rocprim17ROCPRIM_400000_NS6detail17trampoline_kernelINS0_14default_configENS1_25partition_config_selectorILNS1_17partition_subalgoE5EdNS0_10empty_typeEbEEZZNS1_14partition_implILS5_5ELb0ES3_mN6thrust23THRUST_200600_302600_NS6detail15normal_iteratorINSA_10device_ptrIdEEEEPS6_NSA_18transform_iteratorINSB_9not_fun_tI7is_trueIdEEENSC_INSD_IbEEEENSA_11use_defaultESO_EENS0_5tupleIJSF_S6_EEENSQ_IJSG_SG_EEES6_PlJS6_EEE10hipError_tPvRmT3_T4_T5_T6_T7_T9_mT8_P12ihipStream_tbDpT10_ENKUlT_T0_E_clISt17integral_constantIbLb0EES1D_EEDaS18_S19_EUlS18_E_NS1_11comp_targetILNS1_3genE10ELNS1_11target_archE1200ELNS1_3gpuE4ELNS1_3repE0EEENS1_30default_config_static_selectorELNS0_4arch9wavefront6targetE0EEEvT1_,comdat
.Lfunc_end2338:
	.size	_ZN7rocprim17ROCPRIM_400000_NS6detail17trampoline_kernelINS0_14default_configENS1_25partition_config_selectorILNS1_17partition_subalgoE5EdNS0_10empty_typeEbEEZZNS1_14partition_implILS5_5ELb0ES3_mN6thrust23THRUST_200600_302600_NS6detail15normal_iteratorINSA_10device_ptrIdEEEEPS6_NSA_18transform_iteratorINSB_9not_fun_tI7is_trueIdEEENSC_INSD_IbEEEENSA_11use_defaultESO_EENS0_5tupleIJSF_S6_EEENSQ_IJSG_SG_EEES6_PlJS6_EEE10hipError_tPvRmT3_T4_T5_T6_T7_T9_mT8_P12ihipStream_tbDpT10_ENKUlT_T0_E_clISt17integral_constantIbLb0EES1D_EEDaS18_S19_EUlS18_E_NS1_11comp_targetILNS1_3genE10ELNS1_11target_archE1200ELNS1_3gpuE4ELNS1_3repE0EEENS1_30default_config_static_selectorELNS0_4arch9wavefront6targetE0EEEvT1_, .Lfunc_end2338-_ZN7rocprim17ROCPRIM_400000_NS6detail17trampoline_kernelINS0_14default_configENS1_25partition_config_selectorILNS1_17partition_subalgoE5EdNS0_10empty_typeEbEEZZNS1_14partition_implILS5_5ELb0ES3_mN6thrust23THRUST_200600_302600_NS6detail15normal_iteratorINSA_10device_ptrIdEEEEPS6_NSA_18transform_iteratorINSB_9not_fun_tI7is_trueIdEEENSC_INSD_IbEEEENSA_11use_defaultESO_EENS0_5tupleIJSF_S6_EEENSQ_IJSG_SG_EEES6_PlJS6_EEE10hipError_tPvRmT3_T4_T5_T6_T7_T9_mT8_P12ihipStream_tbDpT10_ENKUlT_T0_E_clISt17integral_constantIbLb0EES1D_EEDaS18_S19_EUlS18_E_NS1_11comp_targetILNS1_3genE10ELNS1_11target_archE1200ELNS1_3gpuE4ELNS1_3repE0EEENS1_30default_config_static_selectorELNS0_4arch9wavefront6targetE0EEEvT1_
                                        ; -- End function
	.set _ZN7rocprim17ROCPRIM_400000_NS6detail17trampoline_kernelINS0_14default_configENS1_25partition_config_selectorILNS1_17partition_subalgoE5EdNS0_10empty_typeEbEEZZNS1_14partition_implILS5_5ELb0ES3_mN6thrust23THRUST_200600_302600_NS6detail15normal_iteratorINSA_10device_ptrIdEEEEPS6_NSA_18transform_iteratorINSB_9not_fun_tI7is_trueIdEEENSC_INSD_IbEEEENSA_11use_defaultESO_EENS0_5tupleIJSF_S6_EEENSQ_IJSG_SG_EEES6_PlJS6_EEE10hipError_tPvRmT3_T4_T5_T6_T7_T9_mT8_P12ihipStream_tbDpT10_ENKUlT_T0_E_clISt17integral_constantIbLb0EES1D_EEDaS18_S19_EUlS18_E_NS1_11comp_targetILNS1_3genE10ELNS1_11target_archE1200ELNS1_3gpuE4ELNS1_3repE0EEENS1_30default_config_static_selectorELNS0_4arch9wavefront6targetE0EEEvT1_.num_vgpr, 48
	.set _ZN7rocprim17ROCPRIM_400000_NS6detail17trampoline_kernelINS0_14default_configENS1_25partition_config_selectorILNS1_17partition_subalgoE5EdNS0_10empty_typeEbEEZZNS1_14partition_implILS5_5ELb0ES3_mN6thrust23THRUST_200600_302600_NS6detail15normal_iteratorINSA_10device_ptrIdEEEEPS6_NSA_18transform_iteratorINSB_9not_fun_tI7is_trueIdEEENSC_INSD_IbEEEENSA_11use_defaultESO_EENS0_5tupleIJSF_S6_EEENSQ_IJSG_SG_EEES6_PlJS6_EEE10hipError_tPvRmT3_T4_T5_T6_T7_T9_mT8_P12ihipStream_tbDpT10_ENKUlT_T0_E_clISt17integral_constantIbLb0EES1D_EEDaS18_S19_EUlS18_E_NS1_11comp_targetILNS1_3genE10ELNS1_11target_archE1200ELNS1_3gpuE4ELNS1_3repE0EEENS1_30default_config_static_selectorELNS0_4arch9wavefront6targetE0EEEvT1_.num_agpr, 0
	.set _ZN7rocprim17ROCPRIM_400000_NS6detail17trampoline_kernelINS0_14default_configENS1_25partition_config_selectorILNS1_17partition_subalgoE5EdNS0_10empty_typeEbEEZZNS1_14partition_implILS5_5ELb0ES3_mN6thrust23THRUST_200600_302600_NS6detail15normal_iteratorINSA_10device_ptrIdEEEEPS6_NSA_18transform_iteratorINSB_9not_fun_tI7is_trueIdEEENSC_INSD_IbEEEENSA_11use_defaultESO_EENS0_5tupleIJSF_S6_EEENSQ_IJSG_SG_EEES6_PlJS6_EEE10hipError_tPvRmT3_T4_T5_T6_T7_T9_mT8_P12ihipStream_tbDpT10_ENKUlT_T0_E_clISt17integral_constantIbLb0EES1D_EEDaS18_S19_EUlS18_E_NS1_11comp_targetILNS1_3genE10ELNS1_11target_archE1200ELNS1_3gpuE4ELNS1_3repE0EEENS1_30default_config_static_selectorELNS0_4arch9wavefront6targetE0EEEvT1_.numbered_sgpr, 19
	.set _ZN7rocprim17ROCPRIM_400000_NS6detail17trampoline_kernelINS0_14default_configENS1_25partition_config_selectorILNS1_17partition_subalgoE5EdNS0_10empty_typeEbEEZZNS1_14partition_implILS5_5ELb0ES3_mN6thrust23THRUST_200600_302600_NS6detail15normal_iteratorINSA_10device_ptrIdEEEEPS6_NSA_18transform_iteratorINSB_9not_fun_tI7is_trueIdEEENSC_INSD_IbEEEENSA_11use_defaultESO_EENS0_5tupleIJSF_S6_EEENSQ_IJSG_SG_EEES6_PlJS6_EEE10hipError_tPvRmT3_T4_T5_T6_T7_T9_mT8_P12ihipStream_tbDpT10_ENKUlT_T0_E_clISt17integral_constantIbLb0EES1D_EEDaS18_S19_EUlS18_E_NS1_11comp_targetILNS1_3genE10ELNS1_11target_archE1200ELNS1_3gpuE4ELNS1_3repE0EEENS1_30default_config_static_selectorELNS0_4arch9wavefront6targetE0EEEvT1_.num_named_barrier, 0
	.set _ZN7rocprim17ROCPRIM_400000_NS6detail17trampoline_kernelINS0_14default_configENS1_25partition_config_selectorILNS1_17partition_subalgoE5EdNS0_10empty_typeEbEEZZNS1_14partition_implILS5_5ELb0ES3_mN6thrust23THRUST_200600_302600_NS6detail15normal_iteratorINSA_10device_ptrIdEEEEPS6_NSA_18transform_iteratorINSB_9not_fun_tI7is_trueIdEEENSC_INSD_IbEEEENSA_11use_defaultESO_EENS0_5tupleIJSF_S6_EEENSQ_IJSG_SG_EEES6_PlJS6_EEE10hipError_tPvRmT3_T4_T5_T6_T7_T9_mT8_P12ihipStream_tbDpT10_ENKUlT_T0_E_clISt17integral_constantIbLb0EES1D_EEDaS18_S19_EUlS18_E_NS1_11comp_targetILNS1_3genE10ELNS1_11target_archE1200ELNS1_3gpuE4ELNS1_3repE0EEENS1_30default_config_static_selectorELNS0_4arch9wavefront6targetE0EEEvT1_.private_seg_size, 0
	.set _ZN7rocprim17ROCPRIM_400000_NS6detail17trampoline_kernelINS0_14default_configENS1_25partition_config_selectorILNS1_17partition_subalgoE5EdNS0_10empty_typeEbEEZZNS1_14partition_implILS5_5ELb0ES3_mN6thrust23THRUST_200600_302600_NS6detail15normal_iteratorINSA_10device_ptrIdEEEEPS6_NSA_18transform_iteratorINSB_9not_fun_tI7is_trueIdEEENSC_INSD_IbEEEENSA_11use_defaultESO_EENS0_5tupleIJSF_S6_EEENSQ_IJSG_SG_EEES6_PlJS6_EEE10hipError_tPvRmT3_T4_T5_T6_T7_T9_mT8_P12ihipStream_tbDpT10_ENKUlT_T0_E_clISt17integral_constantIbLb0EES1D_EEDaS18_S19_EUlS18_E_NS1_11comp_targetILNS1_3genE10ELNS1_11target_archE1200ELNS1_3gpuE4ELNS1_3repE0EEENS1_30default_config_static_selectorELNS0_4arch9wavefront6targetE0EEEvT1_.uses_vcc, 1
	.set _ZN7rocprim17ROCPRIM_400000_NS6detail17trampoline_kernelINS0_14default_configENS1_25partition_config_selectorILNS1_17partition_subalgoE5EdNS0_10empty_typeEbEEZZNS1_14partition_implILS5_5ELb0ES3_mN6thrust23THRUST_200600_302600_NS6detail15normal_iteratorINSA_10device_ptrIdEEEEPS6_NSA_18transform_iteratorINSB_9not_fun_tI7is_trueIdEEENSC_INSD_IbEEEENSA_11use_defaultESO_EENS0_5tupleIJSF_S6_EEENSQ_IJSG_SG_EEES6_PlJS6_EEE10hipError_tPvRmT3_T4_T5_T6_T7_T9_mT8_P12ihipStream_tbDpT10_ENKUlT_T0_E_clISt17integral_constantIbLb0EES1D_EEDaS18_S19_EUlS18_E_NS1_11comp_targetILNS1_3genE10ELNS1_11target_archE1200ELNS1_3gpuE4ELNS1_3repE0EEENS1_30default_config_static_selectorELNS0_4arch9wavefront6targetE0EEEvT1_.uses_flat_scratch, 1
	.set _ZN7rocprim17ROCPRIM_400000_NS6detail17trampoline_kernelINS0_14default_configENS1_25partition_config_selectorILNS1_17partition_subalgoE5EdNS0_10empty_typeEbEEZZNS1_14partition_implILS5_5ELb0ES3_mN6thrust23THRUST_200600_302600_NS6detail15normal_iteratorINSA_10device_ptrIdEEEEPS6_NSA_18transform_iteratorINSB_9not_fun_tI7is_trueIdEEENSC_INSD_IbEEEENSA_11use_defaultESO_EENS0_5tupleIJSF_S6_EEENSQ_IJSG_SG_EEES6_PlJS6_EEE10hipError_tPvRmT3_T4_T5_T6_T7_T9_mT8_P12ihipStream_tbDpT10_ENKUlT_T0_E_clISt17integral_constantIbLb0EES1D_EEDaS18_S19_EUlS18_E_NS1_11comp_targetILNS1_3genE10ELNS1_11target_archE1200ELNS1_3gpuE4ELNS1_3repE0EEENS1_30default_config_static_selectorELNS0_4arch9wavefront6targetE0EEEvT1_.has_dyn_sized_stack, 0
	.set _ZN7rocprim17ROCPRIM_400000_NS6detail17trampoline_kernelINS0_14default_configENS1_25partition_config_selectorILNS1_17partition_subalgoE5EdNS0_10empty_typeEbEEZZNS1_14partition_implILS5_5ELb0ES3_mN6thrust23THRUST_200600_302600_NS6detail15normal_iteratorINSA_10device_ptrIdEEEEPS6_NSA_18transform_iteratorINSB_9not_fun_tI7is_trueIdEEENSC_INSD_IbEEEENSA_11use_defaultESO_EENS0_5tupleIJSF_S6_EEENSQ_IJSG_SG_EEES6_PlJS6_EEE10hipError_tPvRmT3_T4_T5_T6_T7_T9_mT8_P12ihipStream_tbDpT10_ENKUlT_T0_E_clISt17integral_constantIbLb0EES1D_EEDaS18_S19_EUlS18_E_NS1_11comp_targetILNS1_3genE10ELNS1_11target_archE1200ELNS1_3gpuE4ELNS1_3repE0EEENS1_30default_config_static_selectorELNS0_4arch9wavefront6targetE0EEEvT1_.has_recursion, 0
	.set _ZN7rocprim17ROCPRIM_400000_NS6detail17trampoline_kernelINS0_14default_configENS1_25partition_config_selectorILNS1_17partition_subalgoE5EdNS0_10empty_typeEbEEZZNS1_14partition_implILS5_5ELb0ES3_mN6thrust23THRUST_200600_302600_NS6detail15normal_iteratorINSA_10device_ptrIdEEEEPS6_NSA_18transform_iteratorINSB_9not_fun_tI7is_trueIdEEENSC_INSD_IbEEEENSA_11use_defaultESO_EENS0_5tupleIJSF_S6_EEENSQ_IJSG_SG_EEES6_PlJS6_EEE10hipError_tPvRmT3_T4_T5_T6_T7_T9_mT8_P12ihipStream_tbDpT10_ENKUlT_T0_E_clISt17integral_constantIbLb0EES1D_EEDaS18_S19_EUlS18_E_NS1_11comp_targetILNS1_3genE10ELNS1_11target_archE1200ELNS1_3gpuE4ELNS1_3repE0EEENS1_30default_config_static_selectorELNS0_4arch9wavefront6targetE0EEEvT1_.has_indirect_call, 0
	.section	.AMDGPU.csdata,"",@progbits
; Kernel info:
; codeLenInByte = 7272
; TotalNumSgprs: 21
; NumVgprs: 48
; ScratchSize: 0
; MemoryBound: 0
; FloatMode: 240
; IeeeMode: 1
; LDSByteSize: 10256 bytes/workgroup (compile time only)
; SGPRBlocks: 0
; VGPRBlocks: 5
; NumSGPRsForWavesPerEU: 21
; NumVGPRsForWavesPerEU: 48
; Occupancy: 16
; WaveLimiterHint : 1
; COMPUTE_PGM_RSRC2:SCRATCH_EN: 0
; COMPUTE_PGM_RSRC2:USER_SGPR: 2
; COMPUTE_PGM_RSRC2:TRAP_HANDLER: 0
; COMPUTE_PGM_RSRC2:TGID_X_EN: 1
; COMPUTE_PGM_RSRC2:TGID_Y_EN: 0
; COMPUTE_PGM_RSRC2:TGID_Z_EN: 0
; COMPUTE_PGM_RSRC2:TIDIG_COMP_CNT: 0
	.section	.text._ZN7rocprim17ROCPRIM_400000_NS6detail17trampoline_kernelINS0_14default_configENS1_25partition_config_selectorILNS1_17partition_subalgoE5EdNS0_10empty_typeEbEEZZNS1_14partition_implILS5_5ELb0ES3_mN6thrust23THRUST_200600_302600_NS6detail15normal_iteratorINSA_10device_ptrIdEEEEPS6_NSA_18transform_iteratorINSB_9not_fun_tI7is_trueIdEEENSC_INSD_IbEEEENSA_11use_defaultESO_EENS0_5tupleIJSF_S6_EEENSQ_IJSG_SG_EEES6_PlJS6_EEE10hipError_tPvRmT3_T4_T5_T6_T7_T9_mT8_P12ihipStream_tbDpT10_ENKUlT_T0_E_clISt17integral_constantIbLb0EES1D_EEDaS18_S19_EUlS18_E_NS1_11comp_targetILNS1_3genE9ELNS1_11target_archE1100ELNS1_3gpuE3ELNS1_3repE0EEENS1_30default_config_static_selectorELNS0_4arch9wavefront6targetE0EEEvT1_,"axG",@progbits,_ZN7rocprim17ROCPRIM_400000_NS6detail17trampoline_kernelINS0_14default_configENS1_25partition_config_selectorILNS1_17partition_subalgoE5EdNS0_10empty_typeEbEEZZNS1_14partition_implILS5_5ELb0ES3_mN6thrust23THRUST_200600_302600_NS6detail15normal_iteratorINSA_10device_ptrIdEEEEPS6_NSA_18transform_iteratorINSB_9not_fun_tI7is_trueIdEEENSC_INSD_IbEEEENSA_11use_defaultESO_EENS0_5tupleIJSF_S6_EEENSQ_IJSG_SG_EEES6_PlJS6_EEE10hipError_tPvRmT3_T4_T5_T6_T7_T9_mT8_P12ihipStream_tbDpT10_ENKUlT_T0_E_clISt17integral_constantIbLb0EES1D_EEDaS18_S19_EUlS18_E_NS1_11comp_targetILNS1_3genE9ELNS1_11target_archE1100ELNS1_3gpuE3ELNS1_3repE0EEENS1_30default_config_static_selectorELNS0_4arch9wavefront6targetE0EEEvT1_,comdat
	.protected	_ZN7rocprim17ROCPRIM_400000_NS6detail17trampoline_kernelINS0_14default_configENS1_25partition_config_selectorILNS1_17partition_subalgoE5EdNS0_10empty_typeEbEEZZNS1_14partition_implILS5_5ELb0ES3_mN6thrust23THRUST_200600_302600_NS6detail15normal_iteratorINSA_10device_ptrIdEEEEPS6_NSA_18transform_iteratorINSB_9not_fun_tI7is_trueIdEEENSC_INSD_IbEEEENSA_11use_defaultESO_EENS0_5tupleIJSF_S6_EEENSQ_IJSG_SG_EEES6_PlJS6_EEE10hipError_tPvRmT3_T4_T5_T6_T7_T9_mT8_P12ihipStream_tbDpT10_ENKUlT_T0_E_clISt17integral_constantIbLb0EES1D_EEDaS18_S19_EUlS18_E_NS1_11comp_targetILNS1_3genE9ELNS1_11target_archE1100ELNS1_3gpuE3ELNS1_3repE0EEENS1_30default_config_static_selectorELNS0_4arch9wavefront6targetE0EEEvT1_ ; -- Begin function _ZN7rocprim17ROCPRIM_400000_NS6detail17trampoline_kernelINS0_14default_configENS1_25partition_config_selectorILNS1_17partition_subalgoE5EdNS0_10empty_typeEbEEZZNS1_14partition_implILS5_5ELb0ES3_mN6thrust23THRUST_200600_302600_NS6detail15normal_iteratorINSA_10device_ptrIdEEEEPS6_NSA_18transform_iteratorINSB_9not_fun_tI7is_trueIdEEENSC_INSD_IbEEEENSA_11use_defaultESO_EENS0_5tupleIJSF_S6_EEENSQ_IJSG_SG_EEES6_PlJS6_EEE10hipError_tPvRmT3_T4_T5_T6_T7_T9_mT8_P12ihipStream_tbDpT10_ENKUlT_T0_E_clISt17integral_constantIbLb0EES1D_EEDaS18_S19_EUlS18_E_NS1_11comp_targetILNS1_3genE9ELNS1_11target_archE1100ELNS1_3gpuE3ELNS1_3repE0EEENS1_30default_config_static_selectorELNS0_4arch9wavefront6targetE0EEEvT1_
	.globl	_ZN7rocprim17ROCPRIM_400000_NS6detail17trampoline_kernelINS0_14default_configENS1_25partition_config_selectorILNS1_17partition_subalgoE5EdNS0_10empty_typeEbEEZZNS1_14partition_implILS5_5ELb0ES3_mN6thrust23THRUST_200600_302600_NS6detail15normal_iteratorINSA_10device_ptrIdEEEEPS6_NSA_18transform_iteratorINSB_9not_fun_tI7is_trueIdEEENSC_INSD_IbEEEENSA_11use_defaultESO_EENS0_5tupleIJSF_S6_EEENSQ_IJSG_SG_EEES6_PlJS6_EEE10hipError_tPvRmT3_T4_T5_T6_T7_T9_mT8_P12ihipStream_tbDpT10_ENKUlT_T0_E_clISt17integral_constantIbLb0EES1D_EEDaS18_S19_EUlS18_E_NS1_11comp_targetILNS1_3genE9ELNS1_11target_archE1100ELNS1_3gpuE3ELNS1_3repE0EEENS1_30default_config_static_selectorELNS0_4arch9wavefront6targetE0EEEvT1_
	.p2align	8
	.type	_ZN7rocprim17ROCPRIM_400000_NS6detail17trampoline_kernelINS0_14default_configENS1_25partition_config_selectorILNS1_17partition_subalgoE5EdNS0_10empty_typeEbEEZZNS1_14partition_implILS5_5ELb0ES3_mN6thrust23THRUST_200600_302600_NS6detail15normal_iteratorINSA_10device_ptrIdEEEEPS6_NSA_18transform_iteratorINSB_9not_fun_tI7is_trueIdEEENSC_INSD_IbEEEENSA_11use_defaultESO_EENS0_5tupleIJSF_S6_EEENSQ_IJSG_SG_EEES6_PlJS6_EEE10hipError_tPvRmT3_T4_T5_T6_T7_T9_mT8_P12ihipStream_tbDpT10_ENKUlT_T0_E_clISt17integral_constantIbLb0EES1D_EEDaS18_S19_EUlS18_E_NS1_11comp_targetILNS1_3genE9ELNS1_11target_archE1100ELNS1_3gpuE3ELNS1_3repE0EEENS1_30default_config_static_selectorELNS0_4arch9wavefront6targetE0EEEvT1_,@function
_ZN7rocprim17ROCPRIM_400000_NS6detail17trampoline_kernelINS0_14default_configENS1_25partition_config_selectorILNS1_17partition_subalgoE5EdNS0_10empty_typeEbEEZZNS1_14partition_implILS5_5ELb0ES3_mN6thrust23THRUST_200600_302600_NS6detail15normal_iteratorINSA_10device_ptrIdEEEEPS6_NSA_18transform_iteratorINSB_9not_fun_tI7is_trueIdEEENSC_INSD_IbEEEENSA_11use_defaultESO_EENS0_5tupleIJSF_S6_EEENSQ_IJSG_SG_EEES6_PlJS6_EEE10hipError_tPvRmT3_T4_T5_T6_T7_T9_mT8_P12ihipStream_tbDpT10_ENKUlT_T0_E_clISt17integral_constantIbLb0EES1D_EEDaS18_S19_EUlS18_E_NS1_11comp_targetILNS1_3genE9ELNS1_11target_archE1100ELNS1_3gpuE3ELNS1_3repE0EEENS1_30default_config_static_selectorELNS0_4arch9wavefront6targetE0EEEvT1_: ; @_ZN7rocprim17ROCPRIM_400000_NS6detail17trampoline_kernelINS0_14default_configENS1_25partition_config_selectorILNS1_17partition_subalgoE5EdNS0_10empty_typeEbEEZZNS1_14partition_implILS5_5ELb0ES3_mN6thrust23THRUST_200600_302600_NS6detail15normal_iteratorINSA_10device_ptrIdEEEEPS6_NSA_18transform_iteratorINSB_9not_fun_tI7is_trueIdEEENSC_INSD_IbEEEENSA_11use_defaultESO_EENS0_5tupleIJSF_S6_EEENSQ_IJSG_SG_EEES6_PlJS6_EEE10hipError_tPvRmT3_T4_T5_T6_T7_T9_mT8_P12ihipStream_tbDpT10_ENKUlT_T0_E_clISt17integral_constantIbLb0EES1D_EEDaS18_S19_EUlS18_E_NS1_11comp_targetILNS1_3genE9ELNS1_11target_archE1100ELNS1_3gpuE3ELNS1_3repE0EEENS1_30default_config_static_selectorELNS0_4arch9wavefront6targetE0EEEvT1_
; %bb.0:
	.section	.rodata,"a",@progbits
	.p2align	6, 0x0
	.amdhsa_kernel _ZN7rocprim17ROCPRIM_400000_NS6detail17trampoline_kernelINS0_14default_configENS1_25partition_config_selectorILNS1_17partition_subalgoE5EdNS0_10empty_typeEbEEZZNS1_14partition_implILS5_5ELb0ES3_mN6thrust23THRUST_200600_302600_NS6detail15normal_iteratorINSA_10device_ptrIdEEEEPS6_NSA_18transform_iteratorINSB_9not_fun_tI7is_trueIdEEENSC_INSD_IbEEEENSA_11use_defaultESO_EENS0_5tupleIJSF_S6_EEENSQ_IJSG_SG_EEES6_PlJS6_EEE10hipError_tPvRmT3_T4_T5_T6_T7_T9_mT8_P12ihipStream_tbDpT10_ENKUlT_T0_E_clISt17integral_constantIbLb0EES1D_EEDaS18_S19_EUlS18_E_NS1_11comp_targetILNS1_3genE9ELNS1_11target_archE1100ELNS1_3gpuE3ELNS1_3repE0EEENS1_30default_config_static_selectorELNS0_4arch9wavefront6targetE0EEEvT1_
		.amdhsa_group_segment_fixed_size 0
		.amdhsa_private_segment_fixed_size 0
		.amdhsa_kernarg_size 120
		.amdhsa_user_sgpr_count 2
		.amdhsa_user_sgpr_dispatch_ptr 0
		.amdhsa_user_sgpr_queue_ptr 0
		.amdhsa_user_sgpr_kernarg_segment_ptr 1
		.amdhsa_user_sgpr_dispatch_id 0
		.amdhsa_user_sgpr_private_segment_size 0
		.amdhsa_wavefront_size32 1
		.amdhsa_uses_dynamic_stack 0
		.amdhsa_enable_private_segment 0
		.amdhsa_system_sgpr_workgroup_id_x 1
		.amdhsa_system_sgpr_workgroup_id_y 0
		.amdhsa_system_sgpr_workgroup_id_z 0
		.amdhsa_system_sgpr_workgroup_info 0
		.amdhsa_system_vgpr_workitem_id 0
		.amdhsa_next_free_vgpr 1
		.amdhsa_next_free_sgpr 1
		.amdhsa_reserve_vcc 0
		.amdhsa_float_round_mode_32 0
		.amdhsa_float_round_mode_16_64 0
		.amdhsa_float_denorm_mode_32 3
		.amdhsa_float_denorm_mode_16_64 3
		.amdhsa_fp16_overflow 0
		.amdhsa_workgroup_processor_mode 1
		.amdhsa_memory_ordered 1
		.amdhsa_forward_progress 1
		.amdhsa_inst_pref_size 0
		.amdhsa_round_robin_scheduling 0
		.amdhsa_exception_fp_ieee_invalid_op 0
		.amdhsa_exception_fp_denorm_src 0
		.amdhsa_exception_fp_ieee_div_zero 0
		.amdhsa_exception_fp_ieee_overflow 0
		.amdhsa_exception_fp_ieee_underflow 0
		.amdhsa_exception_fp_ieee_inexact 0
		.amdhsa_exception_int_div_zero 0
	.end_amdhsa_kernel
	.section	.text._ZN7rocprim17ROCPRIM_400000_NS6detail17trampoline_kernelINS0_14default_configENS1_25partition_config_selectorILNS1_17partition_subalgoE5EdNS0_10empty_typeEbEEZZNS1_14partition_implILS5_5ELb0ES3_mN6thrust23THRUST_200600_302600_NS6detail15normal_iteratorINSA_10device_ptrIdEEEEPS6_NSA_18transform_iteratorINSB_9not_fun_tI7is_trueIdEEENSC_INSD_IbEEEENSA_11use_defaultESO_EENS0_5tupleIJSF_S6_EEENSQ_IJSG_SG_EEES6_PlJS6_EEE10hipError_tPvRmT3_T4_T5_T6_T7_T9_mT8_P12ihipStream_tbDpT10_ENKUlT_T0_E_clISt17integral_constantIbLb0EES1D_EEDaS18_S19_EUlS18_E_NS1_11comp_targetILNS1_3genE9ELNS1_11target_archE1100ELNS1_3gpuE3ELNS1_3repE0EEENS1_30default_config_static_selectorELNS0_4arch9wavefront6targetE0EEEvT1_,"axG",@progbits,_ZN7rocprim17ROCPRIM_400000_NS6detail17trampoline_kernelINS0_14default_configENS1_25partition_config_selectorILNS1_17partition_subalgoE5EdNS0_10empty_typeEbEEZZNS1_14partition_implILS5_5ELb0ES3_mN6thrust23THRUST_200600_302600_NS6detail15normal_iteratorINSA_10device_ptrIdEEEEPS6_NSA_18transform_iteratorINSB_9not_fun_tI7is_trueIdEEENSC_INSD_IbEEEENSA_11use_defaultESO_EENS0_5tupleIJSF_S6_EEENSQ_IJSG_SG_EEES6_PlJS6_EEE10hipError_tPvRmT3_T4_T5_T6_T7_T9_mT8_P12ihipStream_tbDpT10_ENKUlT_T0_E_clISt17integral_constantIbLb0EES1D_EEDaS18_S19_EUlS18_E_NS1_11comp_targetILNS1_3genE9ELNS1_11target_archE1100ELNS1_3gpuE3ELNS1_3repE0EEENS1_30default_config_static_selectorELNS0_4arch9wavefront6targetE0EEEvT1_,comdat
.Lfunc_end2339:
	.size	_ZN7rocprim17ROCPRIM_400000_NS6detail17trampoline_kernelINS0_14default_configENS1_25partition_config_selectorILNS1_17partition_subalgoE5EdNS0_10empty_typeEbEEZZNS1_14partition_implILS5_5ELb0ES3_mN6thrust23THRUST_200600_302600_NS6detail15normal_iteratorINSA_10device_ptrIdEEEEPS6_NSA_18transform_iteratorINSB_9not_fun_tI7is_trueIdEEENSC_INSD_IbEEEENSA_11use_defaultESO_EENS0_5tupleIJSF_S6_EEENSQ_IJSG_SG_EEES6_PlJS6_EEE10hipError_tPvRmT3_T4_T5_T6_T7_T9_mT8_P12ihipStream_tbDpT10_ENKUlT_T0_E_clISt17integral_constantIbLb0EES1D_EEDaS18_S19_EUlS18_E_NS1_11comp_targetILNS1_3genE9ELNS1_11target_archE1100ELNS1_3gpuE3ELNS1_3repE0EEENS1_30default_config_static_selectorELNS0_4arch9wavefront6targetE0EEEvT1_, .Lfunc_end2339-_ZN7rocprim17ROCPRIM_400000_NS6detail17trampoline_kernelINS0_14default_configENS1_25partition_config_selectorILNS1_17partition_subalgoE5EdNS0_10empty_typeEbEEZZNS1_14partition_implILS5_5ELb0ES3_mN6thrust23THRUST_200600_302600_NS6detail15normal_iteratorINSA_10device_ptrIdEEEEPS6_NSA_18transform_iteratorINSB_9not_fun_tI7is_trueIdEEENSC_INSD_IbEEEENSA_11use_defaultESO_EENS0_5tupleIJSF_S6_EEENSQ_IJSG_SG_EEES6_PlJS6_EEE10hipError_tPvRmT3_T4_T5_T6_T7_T9_mT8_P12ihipStream_tbDpT10_ENKUlT_T0_E_clISt17integral_constantIbLb0EES1D_EEDaS18_S19_EUlS18_E_NS1_11comp_targetILNS1_3genE9ELNS1_11target_archE1100ELNS1_3gpuE3ELNS1_3repE0EEENS1_30default_config_static_selectorELNS0_4arch9wavefront6targetE0EEEvT1_
                                        ; -- End function
	.set _ZN7rocprim17ROCPRIM_400000_NS6detail17trampoline_kernelINS0_14default_configENS1_25partition_config_selectorILNS1_17partition_subalgoE5EdNS0_10empty_typeEbEEZZNS1_14partition_implILS5_5ELb0ES3_mN6thrust23THRUST_200600_302600_NS6detail15normal_iteratorINSA_10device_ptrIdEEEEPS6_NSA_18transform_iteratorINSB_9not_fun_tI7is_trueIdEEENSC_INSD_IbEEEENSA_11use_defaultESO_EENS0_5tupleIJSF_S6_EEENSQ_IJSG_SG_EEES6_PlJS6_EEE10hipError_tPvRmT3_T4_T5_T6_T7_T9_mT8_P12ihipStream_tbDpT10_ENKUlT_T0_E_clISt17integral_constantIbLb0EES1D_EEDaS18_S19_EUlS18_E_NS1_11comp_targetILNS1_3genE9ELNS1_11target_archE1100ELNS1_3gpuE3ELNS1_3repE0EEENS1_30default_config_static_selectorELNS0_4arch9wavefront6targetE0EEEvT1_.num_vgpr, 0
	.set _ZN7rocprim17ROCPRIM_400000_NS6detail17trampoline_kernelINS0_14default_configENS1_25partition_config_selectorILNS1_17partition_subalgoE5EdNS0_10empty_typeEbEEZZNS1_14partition_implILS5_5ELb0ES3_mN6thrust23THRUST_200600_302600_NS6detail15normal_iteratorINSA_10device_ptrIdEEEEPS6_NSA_18transform_iteratorINSB_9not_fun_tI7is_trueIdEEENSC_INSD_IbEEEENSA_11use_defaultESO_EENS0_5tupleIJSF_S6_EEENSQ_IJSG_SG_EEES6_PlJS6_EEE10hipError_tPvRmT3_T4_T5_T6_T7_T9_mT8_P12ihipStream_tbDpT10_ENKUlT_T0_E_clISt17integral_constantIbLb0EES1D_EEDaS18_S19_EUlS18_E_NS1_11comp_targetILNS1_3genE9ELNS1_11target_archE1100ELNS1_3gpuE3ELNS1_3repE0EEENS1_30default_config_static_selectorELNS0_4arch9wavefront6targetE0EEEvT1_.num_agpr, 0
	.set _ZN7rocprim17ROCPRIM_400000_NS6detail17trampoline_kernelINS0_14default_configENS1_25partition_config_selectorILNS1_17partition_subalgoE5EdNS0_10empty_typeEbEEZZNS1_14partition_implILS5_5ELb0ES3_mN6thrust23THRUST_200600_302600_NS6detail15normal_iteratorINSA_10device_ptrIdEEEEPS6_NSA_18transform_iteratorINSB_9not_fun_tI7is_trueIdEEENSC_INSD_IbEEEENSA_11use_defaultESO_EENS0_5tupleIJSF_S6_EEENSQ_IJSG_SG_EEES6_PlJS6_EEE10hipError_tPvRmT3_T4_T5_T6_T7_T9_mT8_P12ihipStream_tbDpT10_ENKUlT_T0_E_clISt17integral_constantIbLb0EES1D_EEDaS18_S19_EUlS18_E_NS1_11comp_targetILNS1_3genE9ELNS1_11target_archE1100ELNS1_3gpuE3ELNS1_3repE0EEENS1_30default_config_static_selectorELNS0_4arch9wavefront6targetE0EEEvT1_.numbered_sgpr, 0
	.set _ZN7rocprim17ROCPRIM_400000_NS6detail17trampoline_kernelINS0_14default_configENS1_25partition_config_selectorILNS1_17partition_subalgoE5EdNS0_10empty_typeEbEEZZNS1_14partition_implILS5_5ELb0ES3_mN6thrust23THRUST_200600_302600_NS6detail15normal_iteratorINSA_10device_ptrIdEEEEPS6_NSA_18transform_iteratorINSB_9not_fun_tI7is_trueIdEEENSC_INSD_IbEEEENSA_11use_defaultESO_EENS0_5tupleIJSF_S6_EEENSQ_IJSG_SG_EEES6_PlJS6_EEE10hipError_tPvRmT3_T4_T5_T6_T7_T9_mT8_P12ihipStream_tbDpT10_ENKUlT_T0_E_clISt17integral_constantIbLb0EES1D_EEDaS18_S19_EUlS18_E_NS1_11comp_targetILNS1_3genE9ELNS1_11target_archE1100ELNS1_3gpuE3ELNS1_3repE0EEENS1_30default_config_static_selectorELNS0_4arch9wavefront6targetE0EEEvT1_.num_named_barrier, 0
	.set _ZN7rocprim17ROCPRIM_400000_NS6detail17trampoline_kernelINS0_14default_configENS1_25partition_config_selectorILNS1_17partition_subalgoE5EdNS0_10empty_typeEbEEZZNS1_14partition_implILS5_5ELb0ES3_mN6thrust23THRUST_200600_302600_NS6detail15normal_iteratorINSA_10device_ptrIdEEEEPS6_NSA_18transform_iteratorINSB_9not_fun_tI7is_trueIdEEENSC_INSD_IbEEEENSA_11use_defaultESO_EENS0_5tupleIJSF_S6_EEENSQ_IJSG_SG_EEES6_PlJS6_EEE10hipError_tPvRmT3_T4_T5_T6_T7_T9_mT8_P12ihipStream_tbDpT10_ENKUlT_T0_E_clISt17integral_constantIbLb0EES1D_EEDaS18_S19_EUlS18_E_NS1_11comp_targetILNS1_3genE9ELNS1_11target_archE1100ELNS1_3gpuE3ELNS1_3repE0EEENS1_30default_config_static_selectorELNS0_4arch9wavefront6targetE0EEEvT1_.private_seg_size, 0
	.set _ZN7rocprim17ROCPRIM_400000_NS6detail17trampoline_kernelINS0_14default_configENS1_25partition_config_selectorILNS1_17partition_subalgoE5EdNS0_10empty_typeEbEEZZNS1_14partition_implILS5_5ELb0ES3_mN6thrust23THRUST_200600_302600_NS6detail15normal_iteratorINSA_10device_ptrIdEEEEPS6_NSA_18transform_iteratorINSB_9not_fun_tI7is_trueIdEEENSC_INSD_IbEEEENSA_11use_defaultESO_EENS0_5tupleIJSF_S6_EEENSQ_IJSG_SG_EEES6_PlJS6_EEE10hipError_tPvRmT3_T4_T5_T6_T7_T9_mT8_P12ihipStream_tbDpT10_ENKUlT_T0_E_clISt17integral_constantIbLb0EES1D_EEDaS18_S19_EUlS18_E_NS1_11comp_targetILNS1_3genE9ELNS1_11target_archE1100ELNS1_3gpuE3ELNS1_3repE0EEENS1_30default_config_static_selectorELNS0_4arch9wavefront6targetE0EEEvT1_.uses_vcc, 0
	.set _ZN7rocprim17ROCPRIM_400000_NS6detail17trampoline_kernelINS0_14default_configENS1_25partition_config_selectorILNS1_17partition_subalgoE5EdNS0_10empty_typeEbEEZZNS1_14partition_implILS5_5ELb0ES3_mN6thrust23THRUST_200600_302600_NS6detail15normal_iteratorINSA_10device_ptrIdEEEEPS6_NSA_18transform_iteratorINSB_9not_fun_tI7is_trueIdEEENSC_INSD_IbEEEENSA_11use_defaultESO_EENS0_5tupleIJSF_S6_EEENSQ_IJSG_SG_EEES6_PlJS6_EEE10hipError_tPvRmT3_T4_T5_T6_T7_T9_mT8_P12ihipStream_tbDpT10_ENKUlT_T0_E_clISt17integral_constantIbLb0EES1D_EEDaS18_S19_EUlS18_E_NS1_11comp_targetILNS1_3genE9ELNS1_11target_archE1100ELNS1_3gpuE3ELNS1_3repE0EEENS1_30default_config_static_selectorELNS0_4arch9wavefront6targetE0EEEvT1_.uses_flat_scratch, 0
	.set _ZN7rocprim17ROCPRIM_400000_NS6detail17trampoline_kernelINS0_14default_configENS1_25partition_config_selectorILNS1_17partition_subalgoE5EdNS0_10empty_typeEbEEZZNS1_14partition_implILS5_5ELb0ES3_mN6thrust23THRUST_200600_302600_NS6detail15normal_iteratorINSA_10device_ptrIdEEEEPS6_NSA_18transform_iteratorINSB_9not_fun_tI7is_trueIdEEENSC_INSD_IbEEEENSA_11use_defaultESO_EENS0_5tupleIJSF_S6_EEENSQ_IJSG_SG_EEES6_PlJS6_EEE10hipError_tPvRmT3_T4_T5_T6_T7_T9_mT8_P12ihipStream_tbDpT10_ENKUlT_T0_E_clISt17integral_constantIbLb0EES1D_EEDaS18_S19_EUlS18_E_NS1_11comp_targetILNS1_3genE9ELNS1_11target_archE1100ELNS1_3gpuE3ELNS1_3repE0EEENS1_30default_config_static_selectorELNS0_4arch9wavefront6targetE0EEEvT1_.has_dyn_sized_stack, 0
	.set _ZN7rocprim17ROCPRIM_400000_NS6detail17trampoline_kernelINS0_14default_configENS1_25partition_config_selectorILNS1_17partition_subalgoE5EdNS0_10empty_typeEbEEZZNS1_14partition_implILS5_5ELb0ES3_mN6thrust23THRUST_200600_302600_NS6detail15normal_iteratorINSA_10device_ptrIdEEEEPS6_NSA_18transform_iteratorINSB_9not_fun_tI7is_trueIdEEENSC_INSD_IbEEEENSA_11use_defaultESO_EENS0_5tupleIJSF_S6_EEENSQ_IJSG_SG_EEES6_PlJS6_EEE10hipError_tPvRmT3_T4_T5_T6_T7_T9_mT8_P12ihipStream_tbDpT10_ENKUlT_T0_E_clISt17integral_constantIbLb0EES1D_EEDaS18_S19_EUlS18_E_NS1_11comp_targetILNS1_3genE9ELNS1_11target_archE1100ELNS1_3gpuE3ELNS1_3repE0EEENS1_30default_config_static_selectorELNS0_4arch9wavefront6targetE0EEEvT1_.has_recursion, 0
	.set _ZN7rocprim17ROCPRIM_400000_NS6detail17trampoline_kernelINS0_14default_configENS1_25partition_config_selectorILNS1_17partition_subalgoE5EdNS0_10empty_typeEbEEZZNS1_14partition_implILS5_5ELb0ES3_mN6thrust23THRUST_200600_302600_NS6detail15normal_iteratorINSA_10device_ptrIdEEEEPS6_NSA_18transform_iteratorINSB_9not_fun_tI7is_trueIdEEENSC_INSD_IbEEEENSA_11use_defaultESO_EENS0_5tupleIJSF_S6_EEENSQ_IJSG_SG_EEES6_PlJS6_EEE10hipError_tPvRmT3_T4_T5_T6_T7_T9_mT8_P12ihipStream_tbDpT10_ENKUlT_T0_E_clISt17integral_constantIbLb0EES1D_EEDaS18_S19_EUlS18_E_NS1_11comp_targetILNS1_3genE9ELNS1_11target_archE1100ELNS1_3gpuE3ELNS1_3repE0EEENS1_30default_config_static_selectorELNS0_4arch9wavefront6targetE0EEEvT1_.has_indirect_call, 0
	.section	.AMDGPU.csdata,"",@progbits
; Kernel info:
; codeLenInByte = 0
; TotalNumSgprs: 0
; NumVgprs: 0
; ScratchSize: 0
; MemoryBound: 0
; FloatMode: 240
; IeeeMode: 1
; LDSByteSize: 0 bytes/workgroup (compile time only)
; SGPRBlocks: 0
; VGPRBlocks: 0
; NumSGPRsForWavesPerEU: 1
; NumVGPRsForWavesPerEU: 1
; Occupancy: 16
; WaveLimiterHint : 0
; COMPUTE_PGM_RSRC2:SCRATCH_EN: 0
; COMPUTE_PGM_RSRC2:USER_SGPR: 2
; COMPUTE_PGM_RSRC2:TRAP_HANDLER: 0
; COMPUTE_PGM_RSRC2:TGID_X_EN: 1
; COMPUTE_PGM_RSRC2:TGID_Y_EN: 0
; COMPUTE_PGM_RSRC2:TGID_Z_EN: 0
; COMPUTE_PGM_RSRC2:TIDIG_COMP_CNT: 0
	.section	.text._ZN7rocprim17ROCPRIM_400000_NS6detail17trampoline_kernelINS0_14default_configENS1_25partition_config_selectorILNS1_17partition_subalgoE5EdNS0_10empty_typeEbEEZZNS1_14partition_implILS5_5ELb0ES3_mN6thrust23THRUST_200600_302600_NS6detail15normal_iteratorINSA_10device_ptrIdEEEEPS6_NSA_18transform_iteratorINSB_9not_fun_tI7is_trueIdEEENSC_INSD_IbEEEENSA_11use_defaultESO_EENS0_5tupleIJSF_S6_EEENSQ_IJSG_SG_EEES6_PlJS6_EEE10hipError_tPvRmT3_T4_T5_T6_T7_T9_mT8_P12ihipStream_tbDpT10_ENKUlT_T0_E_clISt17integral_constantIbLb0EES1D_EEDaS18_S19_EUlS18_E_NS1_11comp_targetILNS1_3genE8ELNS1_11target_archE1030ELNS1_3gpuE2ELNS1_3repE0EEENS1_30default_config_static_selectorELNS0_4arch9wavefront6targetE0EEEvT1_,"axG",@progbits,_ZN7rocprim17ROCPRIM_400000_NS6detail17trampoline_kernelINS0_14default_configENS1_25partition_config_selectorILNS1_17partition_subalgoE5EdNS0_10empty_typeEbEEZZNS1_14partition_implILS5_5ELb0ES3_mN6thrust23THRUST_200600_302600_NS6detail15normal_iteratorINSA_10device_ptrIdEEEEPS6_NSA_18transform_iteratorINSB_9not_fun_tI7is_trueIdEEENSC_INSD_IbEEEENSA_11use_defaultESO_EENS0_5tupleIJSF_S6_EEENSQ_IJSG_SG_EEES6_PlJS6_EEE10hipError_tPvRmT3_T4_T5_T6_T7_T9_mT8_P12ihipStream_tbDpT10_ENKUlT_T0_E_clISt17integral_constantIbLb0EES1D_EEDaS18_S19_EUlS18_E_NS1_11comp_targetILNS1_3genE8ELNS1_11target_archE1030ELNS1_3gpuE2ELNS1_3repE0EEENS1_30default_config_static_selectorELNS0_4arch9wavefront6targetE0EEEvT1_,comdat
	.protected	_ZN7rocprim17ROCPRIM_400000_NS6detail17trampoline_kernelINS0_14default_configENS1_25partition_config_selectorILNS1_17partition_subalgoE5EdNS0_10empty_typeEbEEZZNS1_14partition_implILS5_5ELb0ES3_mN6thrust23THRUST_200600_302600_NS6detail15normal_iteratorINSA_10device_ptrIdEEEEPS6_NSA_18transform_iteratorINSB_9not_fun_tI7is_trueIdEEENSC_INSD_IbEEEENSA_11use_defaultESO_EENS0_5tupleIJSF_S6_EEENSQ_IJSG_SG_EEES6_PlJS6_EEE10hipError_tPvRmT3_T4_T5_T6_T7_T9_mT8_P12ihipStream_tbDpT10_ENKUlT_T0_E_clISt17integral_constantIbLb0EES1D_EEDaS18_S19_EUlS18_E_NS1_11comp_targetILNS1_3genE8ELNS1_11target_archE1030ELNS1_3gpuE2ELNS1_3repE0EEENS1_30default_config_static_selectorELNS0_4arch9wavefront6targetE0EEEvT1_ ; -- Begin function _ZN7rocprim17ROCPRIM_400000_NS6detail17trampoline_kernelINS0_14default_configENS1_25partition_config_selectorILNS1_17partition_subalgoE5EdNS0_10empty_typeEbEEZZNS1_14partition_implILS5_5ELb0ES3_mN6thrust23THRUST_200600_302600_NS6detail15normal_iteratorINSA_10device_ptrIdEEEEPS6_NSA_18transform_iteratorINSB_9not_fun_tI7is_trueIdEEENSC_INSD_IbEEEENSA_11use_defaultESO_EENS0_5tupleIJSF_S6_EEENSQ_IJSG_SG_EEES6_PlJS6_EEE10hipError_tPvRmT3_T4_T5_T6_T7_T9_mT8_P12ihipStream_tbDpT10_ENKUlT_T0_E_clISt17integral_constantIbLb0EES1D_EEDaS18_S19_EUlS18_E_NS1_11comp_targetILNS1_3genE8ELNS1_11target_archE1030ELNS1_3gpuE2ELNS1_3repE0EEENS1_30default_config_static_selectorELNS0_4arch9wavefront6targetE0EEEvT1_
	.globl	_ZN7rocprim17ROCPRIM_400000_NS6detail17trampoline_kernelINS0_14default_configENS1_25partition_config_selectorILNS1_17partition_subalgoE5EdNS0_10empty_typeEbEEZZNS1_14partition_implILS5_5ELb0ES3_mN6thrust23THRUST_200600_302600_NS6detail15normal_iteratorINSA_10device_ptrIdEEEEPS6_NSA_18transform_iteratorINSB_9not_fun_tI7is_trueIdEEENSC_INSD_IbEEEENSA_11use_defaultESO_EENS0_5tupleIJSF_S6_EEENSQ_IJSG_SG_EEES6_PlJS6_EEE10hipError_tPvRmT3_T4_T5_T6_T7_T9_mT8_P12ihipStream_tbDpT10_ENKUlT_T0_E_clISt17integral_constantIbLb0EES1D_EEDaS18_S19_EUlS18_E_NS1_11comp_targetILNS1_3genE8ELNS1_11target_archE1030ELNS1_3gpuE2ELNS1_3repE0EEENS1_30default_config_static_selectorELNS0_4arch9wavefront6targetE0EEEvT1_
	.p2align	8
	.type	_ZN7rocprim17ROCPRIM_400000_NS6detail17trampoline_kernelINS0_14default_configENS1_25partition_config_selectorILNS1_17partition_subalgoE5EdNS0_10empty_typeEbEEZZNS1_14partition_implILS5_5ELb0ES3_mN6thrust23THRUST_200600_302600_NS6detail15normal_iteratorINSA_10device_ptrIdEEEEPS6_NSA_18transform_iteratorINSB_9not_fun_tI7is_trueIdEEENSC_INSD_IbEEEENSA_11use_defaultESO_EENS0_5tupleIJSF_S6_EEENSQ_IJSG_SG_EEES6_PlJS6_EEE10hipError_tPvRmT3_T4_T5_T6_T7_T9_mT8_P12ihipStream_tbDpT10_ENKUlT_T0_E_clISt17integral_constantIbLb0EES1D_EEDaS18_S19_EUlS18_E_NS1_11comp_targetILNS1_3genE8ELNS1_11target_archE1030ELNS1_3gpuE2ELNS1_3repE0EEENS1_30default_config_static_selectorELNS0_4arch9wavefront6targetE0EEEvT1_,@function
_ZN7rocprim17ROCPRIM_400000_NS6detail17trampoline_kernelINS0_14default_configENS1_25partition_config_selectorILNS1_17partition_subalgoE5EdNS0_10empty_typeEbEEZZNS1_14partition_implILS5_5ELb0ES3_mN6thrust23THRUST_200600_302600_NS6detail15normal_iteratorINSA_10device_ptrIdEEEEPS6_NSA_18transform_iteratorINSB_9not_fun_tI7is_trueIdEEENSC_INSD_IbEEEENSA_11use_defaultESO_EENS0_5tupleIJSF_S6_EEENSQ_IJSG_SG_EEES6_PlJS6_EEE10hipError_tPvRmT3_T4_T5_T6_T7_T9_mT8_P12ihipStream_tbDpT10_ENKUlT_T0_E_clISt17integral_constantIbLb0EES1D_EEDaS18_S19_EUlS18_E_NS1_11comp_targetILNS1_3genE8ELNS1_11target_archE1030ELNS1_3gpuE2ELNS1_3repE0EEENS1_30default_config_static_selectorELNS0_4arch9wavefront6targetE0EEEvT1_: ; @_ZN7rocprim17ROCPRIM_400000_NS6detail17trampoline_kernelINS0_14default_configENS1_25partition_config_selectorILNS1_17partition_subalgoE5EdNS0_10empty_typeEbEEZZNS1_14partition_implILS5_5ELb0ES3_mN6thrust23THRUST_200600_302600_NS6detail15normal_iteratorINSA_10device_ptrIdEEEEPS6_NSA_18transform_iteratorINSB_9not_fun_tI7is_trueIdEEENSC_INSD_IbEEEENSA_11use_defaultESO_EENS0_5tupleIJSF_S6_EEENSQ_IJSG_SG_EEES6_PlJS6_EEE10hipError_tPvRmT3_T4_T5_T6_T7_T9_mT8_P12ihipStream_tbDpT10_ENKUlT_T0_E_clISt17integral_constantIbLb0EES1D_EEDaS18_S19_EUlS18_E_NS1_11comp_targetILNS1_3genE8ELNS1_11target_archE1030ELNS1_3gpuE2ELNS1_3repE0EEENS1_30default_config_static_selectorELNS0_4arch9wavefront6targetE0EEEvT1_
; %bb.0:
	.section	.rodata,"a",@progbits
	.p2align	6, 0x0
	.amdhsa_kernel _ZN7rocprim17ROCPRIM_400000_NS6detail17trampoline_kernelINS0_14default_configENS1_25partition_config_selectorILNS1_17partition_subalgoE5EdNS0_10empty_typeEbEEZZNS1_14partition_implILS5_5ELb0ES3_mN6thrust23THRUST_200600_302600_NS6detail15normal_iteratorINSA_10device_ptrIdEEEEPS6_NSA_18transform_iteratorINSB_9not_fun_tI7is_trueIdEEENSC_INSD_IbEEEENSA_11use_defaultESO_EENS0_5tupleIJSF_S6_EEENSQ_IJSG_SG_EEES6_PlJS6_EEE10hipError_tPvRmT3_T4_T5_T6_T7_T9_mT8_P12ihipStream_tbDpT10_ENKUlT_T0_E_clISt17integral_constantIbLb0EES1D_EEDaS18_S19_EUlS18_E_NS1_11comp_targetILNS1_3genE8ELNS1_11target_archE1030ELNS1_3gpuE2ELNS1_3repE0EEENS1_30default_config_static_selectorELNS0_4arch9wavefront6targetE0EEEvT1_
		.amdhsa_group_segment_fixed_size 0
		.amdhsa_private_segment_fixed_size 0
		.amdhsa_kernarg_size 120
		.amdhsa_user_sgpr_count 2
		.amdhsa_user_sgpr_dispatch_ptr 0
		.amdhsa_user_sgpr_queue_ptr 0
		.amdhsa_user_sgpr_kernarg_segment_ptr 1
		.amdhsa_user_sgpr_dispatch_id 0
		.amdhsa_user_sgpr_private_segment_size 0
		.amdhsa_wavefront_size32 1
		.amdhsa_uses_dynamic_stack 0
		.amdhsa_enable_private_segment 0
		.amdhsa_system_sgpr_workgroup_id_x 1
		.amdhsa_system_sgpr_workgroup_id_y 0
		.amdhsa_system_sgpr_workgroup_id_z 0
		.amdhsa_system_sgpr_workgroup_info 0
		.amdhsa_system_vgpr_workitem_id 0
		.amdhsa_next_free_vgpr 1
		.amdhsa_next_free_sgpr 1
		.amdhsa_reserve_vcc 0
		.amdhsa_float_round_mode_32 0
		.amdhsa_float_round_mode_16_64 0
		.amdhsa_float_denorm_mode_32 3
		.amdhsa_float_denorm_mode_16_64 3
		.amdhsa_fp16_overflow 0
		.amdhsa_workgroup_processor_mode 1
		.amdhsa_memory_ordered 1
		.amdhsa_forward_progress 1
		.amdhsa_inst_pref_size 0
		.amdhsa_round_robin_scheduling 0
		.amdhsa_exception_fp_ieee_invalid_op 0
		.amdhsa_exception_fp_denorm_src 0
		.amdhsa_exception_fp_ieee_div_zero 0
		.amdhsa_exception_fp_ieee_overflow 0
		.amdhsa_exception_fp_ieee_underflow 0
		.amdhsa_exception_fp_ieee_inexact 0
		.amdhsa_exception_int_div_zero 0
	.end_amdhsa_kernel
	.section	.text._ZN7rocprim17ROCPRIM_400000_NS6detail17trampoline_kernelINS0_14default_configENS1_25partition_config_selectorILNS1_17partition_subalgoE5EdNS0_10empty_typeEbEEZZNS1_14partition_implILS5_5ELb0ES3_mN6thrust23THRUST_200600_302600_NS6detail15normal_iteratorINSA_10device_ptrIdEEEEPS6_NSA_18transform_iteratorINSB_9not_fun_tI7is_trueIdEEENSC_INSD_IbEEEENSA_11use_defaultESO_EENS0_5tupleIJSF_S6_EEENSQ_IJSG_SG_EEES6_PlJS6_EEE10hipError_tPvRmT3_T4_T5_T6_T7_T9_mT8_P12ihipStream_tbDpT10_ENKUlT_T0_E_clISt17integral_constantIbLb0EES1D_EEDaS18_S19_EUlS18_E_NS1_11comp_targetILNS1_3genE8ELNS1_11target_archE1030ELNS1_3gpuE2ELNS1_3repE0EEENS1_30default_config_static_selectorELNS0_4arch9wavefront6targetE0EEEvT1_,"axG",@progbits,_ZN7rocprim17ROCPRIM_400000_NS6detail17trampoline_kernelINS0_14default_configENS1_25partition_config_selectorILNS1_17partition_subalgoE5EdNS0_10empty_typeEbEEZZNS1_14partition_implILS5_5ELb0ES3_mN6thrust23THRUST_200600_302600_NS6detail15normal_iteratorINSA_10device_ptrIdEEEEPS6_NSA_18transform_iteratorINSB_9not_fun_tI7is_trueIdEEENSC_INSD_IbEEEENSA_11use_defaultESO_EENS0_5tupleIJSF_S6_EEENSQ_IJSG_SG_EEES6_PlJS6_EEE10hipError_tPvRmT3_T4_T5_T6_T7_T9_mT8_P12ihipStream_tbDpT10_ENKUlT_T0_E_clISt17integral_constantIbLb0EES1D_EEDaS18_S19_EUlS18_E_NS1_11comp_targetILNS1_3genE8ELNS1_11target_archE1030ELNS1_3gpuE2ELNS1_3repE0EEENS1_30default_config_static_selectorELNS0_4arch9wavefront6targetE0EEEvT1_,comdat
.Lfunc_end2340:
	.size	_ZN7rocprim17ROCPRIM_400000_NS6detail17trampoline_kernelINS0_14default_configENS1_25partition_config_selectorILNS1_17partition_subalgoE5EdNS0_10empty_typeEbEEZZNS1_14partition_implILS5_5ELb0ES3_mN6thrust23THRUST_200600_302600_NS6detail15normal_iteratorINSA_10device_ptrIdEEEEPS6_NSA_18transform_iteratorINSB_9not_fun_tI7is_trueIdEEENSC_INSD_IbEEEENSA_11use_defaultESO_EENS0_5tupleIJSF_S6_EEENSQ_IJSG_SG_EEES6_PlJS6_EEE10hipError_tPvRmT3_T4_T5_T6_T7_T9_mT8_P12ihipStream_tbDpT10_ENKUlT_T0_E_clISt17integral_constantIbLb0EES1D_EEDaS18_S19_EUlS18_E_NS1_11comp_targetILNS1_3genE8ELNS1_11target_archE1030ELNS1_3gpuE2ELNS1_3repE0EEENS1_30default_config_static_selectorELNS0_4arch9wavefront6targetE0EEEvT1_, .Lfunc_end2340-_ZN7rocprim17ROCPRIM_400000_NS6detail17trampoline_kernelINS0_14default_configENS1_25partition_config_selectorILNS1_17partition_subalgoE5EdNS0_10empty_typeEbEEZZNS1_14partition_implILS5_5ELb0ES3_mN6thrust23THRUST_200600_302600_NS6detail15normal_iteratorINSA_10device_ptrIdEEEEPS6_NSA_18transform_iteratorINSB_9not_fun_tI7is_trueIdEEENSC_INSD_IbEEEENSA_11use_defaultESO_EENS0_5tupleIJSF_S6_EEENSQ_IJSG_SG_EEES6_PlJS6_EEE10hipError_tPvRmT3_T4_T5_T6_T7_T9_mT8_P12ihipStream_tbDpT10_ENKUlT_T0_E_clISt17integral_constantIbLb0EES1D_EEDaS18_S19_EUlS18_E_NS1_11comp_targetILNS1_3genE8ELNS1_11target_archE1030ELNS1_3gpuE2ELNS1_3repE0EEENS1_30default_config_static_selectorELNS0_4arch9wavefront6targetE0EEEvT1_
                                        ; -- End function
	.set _ZN7rocprim17ROCPRIM_400000_NS6detail17trampoline_kernelINS0_14default_configENS1_25partition_config_selectorILNS1_17partition_subalgoE5EdNS0_10empty_typeEbEEZZNS1_14partition_implILS5_5ELb0ES3_mN6thrust23THRUST_200600_302600_NS6detail15normal_iteratorINSA_10device_ptrIdEEEEPS6_NSA_18transform_iteratorINSB_9not_fun_tI7is_trueIdEEENSC_INSD_IbEEEENSA_11use_defaultESO_EENS0_5tupleIJSF_S6_EEENSQ_IJSG_SG_EEES6_PlJS6_EEE10hipError_tPvRmT3_T4_T5_T6_T7_T9_mT8_P12ihipStream_tbDpT10_ENKUlT_T0_E_clISt17integral_constantIbLb0EES1D_EEDaS18_S19_EUlS18_E_NS1_11comp_targetILNS1_3genE8ELNS1_11target_archE1030ELNS1_3gpuE2ELNS1_3repE0EEENS1_30default_config_static_selectorELNS0_4arch9wavefront6targetE0EEEvT1_.num_vgpr, 0
	.set _ZN7rocprim17ROCPRIM_400000_NS6detail17trampoline_kernelINS0_14default_configENS1_25partition_config_selectorILNS1_17partition_subalgoE5EdNS0_10empty_typeEbEEZZNS1_14partition_implILS5_5ELb0ES3_mN6thrust23THRUST_200600_302600_NS6detail15normal_iteratorINSA_10device_ptrIdEEEEPS6_NSA_18transform_iteratorINSB_9not_fun_tI7is_trueIdEEENSC_INSD_IbEEEENSA_11use_defaultESO_EENS0_5tupleIJSF_S6_EEENSQ_IJSG_SG_EEES6_PlJS6_EEE10hipError_tPvRmT3_T4_T5_T6_T7_T9_mT8_P12ihipStream_tbDpT10_ENKUlT_T0_E_clISt17integral_constantIbLb0EES1D_EEDaS18_S19_EUlS18_E_NS1_11comp_targetILNS1_3genE8ELNS1_11target_archE1030ELNS1_3gpuE2ELNS1_3repE0EEENS1_30default_config_static_selectorELNS0_4arch9wavefront6targetE0EEEvT1_.num_agpr, 0
	.set _ZN7rocprim17ROCPRIM_400000_NS6detail17trampoline_kernelINS0_14default_configENS1_25partition_config_selectorILNS1_17partition_subalgoE5EdNS0_10empty_typeEbEEZZNS1_14partition_implILS5_5ELb0ES3_mN6thrust23THRUST_200600_302600_NS6detail15normal_iteratorINSA_10device_ptrIdEEEEPS6_NSA_18transform_iteratorINSB_9not_fun_tI7is_trueIdEEENSC_INSD_IbEEEENSA_11use_defaultESO_EENS0_5tupleIJSF_S6_EEENSQ_IJSG_SG_EEES6_PlJS6_EEE10hipError_tPvRmT3_T4_T5_T6_T7_T9_mT8_P12ihipStream_tbDpT10_ENKUlT_T0_E_clISt17integral_constantIbLb0EES1D_EEDaS18_S19_EUlS18_E_NS1_11comp_targetILNS1_3genE8ELNS1_11target_archE1030ELNS1_3gpuE2ELNS1_3repE0EEENS1_30default_config_static_selectorELNS0_4arch9wavefront6targetE0EEEvT1_.numbered_sgpr, 0
	.set _ZN7rocprim17ROCPRIM_400000_NS6detail17trampoline_kernelINS0_14default_configENS1_25partition_config_selectorILNS1_17partition_subalgoE5EdNS0_10empty_typeEbEEZZNS1_14partition_implILS5_5ELb0ES3_mN6thrust23THRUST_200600_302600_NS6detail15normal_iteratorINSA_10device_ptrIdEEEEPS6_NSA_18transform_iteratorINSB_9not_fun_tI7is_trueIdEEENSC_INSD_IbEEEENSA_11use_defaultESO_EENS0_5tupleIJSF_S6_EEENSQ_IJSG_SG_EEES6_PlJS6_EEE10hipError_tPvRmT3_T4_T5_T6_T7_T9_mT8_P12ihipStream_tbDpT10_ENKUlT_T0_E_clISt17integral_constantIbLb0EES1D_EEDaS18_S19_EUlS18_E_NS1_11comp_targetILNS1_3genE8ELNS1_11target_archE1030ELNS1_3gpuE2ELNS1_3repE0EEENS1_30default_config_static_selectorELNS0_4arch9wavefront6targetE0EEEvT1_.num_named_barrier, 0
	.set _ZN7rocprim17ROCPRIM_400000_NS6detail17trampoline_kernelINS0_14default_configENS1_25partition_config_selectorILNS1_17partition_subalgoE5EdNS0_10empty_typeEbEEZZNS1_14partition_implILS5_5ELb0ES3_mN6thrust23THRUST_200600_302600_NS6detail15normal_iteratorINSA_10device_ptrIdEEEEPS6_NSA_18transform_iteratorINSB_9not_fun_tI7is_trueIdEEENSC_INSD_IbEEEENSA_11use_defaultESO_EENS0_5tupleIJSF_S6_EEENSQ_IJSG_SG_EEES6_PlJS6_EEE10hipError_tPvRmT3_T4_T5_T6_T7_T9_mT8_P12ihipStream_tbDpT10_ENKUlT_T0_E_clISt17integral_constantIbLb0EES1D_EEDaS18_S19_EUlS18_E_NS1_11comp_targetILNS1_3genE8ELNS1_11target_archE1030ELNS1_3gpuE2ELNS1_3repE0EEENS1_30default_config_static_selectorELNS0_4arch9wavefront6targetE0EEEvT1_.private_seg_size, 0
	.set _ZN7rocprim17ROCPRIM_400000_NS6detail17trampoline_kernelINS0_14default_configENS1_25partition_config_selectorILNS1_17partition_subalgoE5EdNS0_10empty_typeEbEEZZNS1_14partition_implILS5_5ELb0ES3_mN6thrust23THRUST_200600_302600_NS6detail15normal_iteratorINSA_10device_ptrIdEEEEPS6_NSA_18transform_iteratorINSB_9not_fun_tI7is_trueIdEEENSC_INSD_IbEEEENSA_11use_defaultESO_EENS0_5tupleIJSF_S6_EEENSQ_IJSG_SG_EEES6_PlJS6_EEE10hipError_tPvRmT3_T4_T5_T6_T7_T9_mT8_P12ihipStream_tbDpT10_ENKUlT_T0_E_clISt17integral_constantIbLb0EES1D_EEDaS18_S19_EUlS18_E_NS1_11comp_targetILNS1_3genE8ELNS1_11target_archE1030ELNS1_3gpuE2ELNS1_3repE0EEENS1_30default_config_static_selectorELNS0_4arch9wavefront6targetE0EEEvT1_.uses_vcc, 0
	.set _ZN7rocprim17ROCPRIM_400000_NS6detail17trampoline_kernelINS0_14default_configENS1_25partition_config_selectorILNS1_17partition_subalgoE5EdNS0_10empty_typeEbEEZZNS1_14partition_implILS5_5ELb0ES3_mN6thrust23THRUST_200600_302600_NS6detail15normal_iteratorINSA_10device_ptrIdEEEEPS6_NSA_18transform_iteratorINSB_9not_fun_tI7is_trueIdEEENSC_INSD_IbEEEENSA_11use_defaultESO_EENS0_5tupleIJSF_S6_EEENSQ_IJSG_SG_EEES6_PlJS6_EEE10hipError_tPvRmT3_T4_T5_T6_T7_T9_mT8_P12ihipStream_tbDpT10_ENKUlT_T0_E_clISt17integral_constantIbLb0EES1D_EEDaS18_S19_EUlS18_E_NS1_11comp_targetILNS1_3genE8ELNS1_11target_archE1030ELNS1_3gpuE2ELNS1_3repE0EEENS1_30default_config_static_selectorELNS0_4arch9wavefront6targetE0EEEvT1_.uses_flat_scratch, 0
	.set _ZN7rocprim17ROCPRIM_400000_NS6detail17trampoline_kernelINS0_14default_configENS1_25partition_config_selectorILNS1_17partition_subalgoE5EdNS0_10empty_typeEbEEZZNS1_14partition_implILS5_5ELb0ES3_mN6thrust23THRUST_200600_302600_NS6detail15normal_iteratorINSA_10device_ptrIdEEEEPS6_NSA_18transform_iteratorINSB_9not_fun_tI7is_trueIdEEENSC_INSD_IbEEEENSA_11use_defaultESO_EENS0_5tupleIJSF_S6_EEENSQ_IJSG_SG_EEES6_PlJS6_EEE10hipError_tPvRmT3_T4_T5_T6_T7_T9_mT8_P12ihipStream_tbDpT10_ENKUlT_T0_E_clISt17integral_constantIbLb0EES1D_EEDaS18_S19_EUlS18_E_NS1_11comp_targetILNS1_3genE8ELNS1_11target_archE1030ELNS1_3gpuE2ELNS1_3repE0EEENS1_30default_config_static_selectorELNS0_4arch9wavefront6targetE0EEEvT1_.has_dyn_sized_stack, 0
	.set _ZN7rocprim17ROCPRIM_400000_NS6detail17trampoline_kernelINS0_14default_configENS1_25partition_config_selectorILNS1_17partition_subalgoE5EdNS0_10empty_typeEbEEZZNS1_14partition_implILS5_5ELb0ES3_mN6thrust23THRUST_200600_302600_NS6detail15normal_iteratorINSA_10device_ptrIdEEEEPS6_NSA_18transform_iteratorINSB_9not_fun_tI7is_trueIdEEENSC_INSD_IbEEEENSA_11use_defaultESO_EENS0_5tupleIJSF_S6_EEENSQ_IJSG_SG_EEES6_PlJS6_EEE10hipError_tPvRmT3_T4_T5_T6_T7_T9_mT8_P12ihipStream_tbDpT10_ENKUlT_T0_E_clISt17integral_constantIbLb0EES1D_EEDaS18_S19_EUlS18_E_NS1_11comp_targetILNS1_3genE8ELNS1_11target_archE1030ELNS1_3gpuE2ELNS1_3repE0EEENS1_30default_config_static_selectorELNS0_4arch9wavefront6targetE0EEEvT1_.has_recursion, 0
	.set _ZN7rocprim17ROCPRIM_400000_NS6detail17trampoline_kernelINS0_14default_configENS1_25partition_config_selectorILNS1_17partition_subalgoE5EdNS0_10empty_typeEbEEZZNS1_14partition_implILS5_5ELb0ES3_mN6thrust23THRUST_200600_302600_NS6detail15normal_iteratorINSA_10device_ptrIdEEEEPS6_NSA_18transform_iteratorINSB_9not_fun_tI7is_trueIdEEENSC_INSD_IbEEEENSA_11use_defaultESO_EENS0_5tupleIJSF_S6_EEENSQ_IJSG_SG_EEES6_PlJS6_EEE10hipError_tPvRmT3_T4_T5_T6_T7_T9_mT8_P12ihipStream_tbDpT10_ENKUlT_T0_E_clISt17integral_constantIbLb0EES1D_EEDaS18_S19_EUlS18_E_NS1_11comp_targetILNS1_3genE8ELNS1_11target_archE1030ELNS1_3gpuE2ELNS1_3repE0EEENS1_30default_config_static_selectorELNS0_4arch9wavefront6targetE0EEEvT1_.has_indirect_call, 0
	.section	.AMDGPU.csdata,"",@progbits
; Kernel info:
; codeLenInByte = 0
; TotalNumSgprs: 0
; NumVgprs: 0
; ScratchSize: 0
; MemoryBound: 0
; FloatMode: 240
; IeeeMode: 1
; LDSByteSize: 0 bytes/workgroup (compile time only)
; SGPRBlocks: 0
; VGPRBlocks: 0
; NumSGPRsForWavesPerEU: 1
; NumVGPRsForWavesPerEU: 1
; Occupancy: 16
; WaveLimiterHint : 0
; COMPUTE_PGM_RSRC2:SCRATCH_EN: 0
; COMPUTE_PGM_RSRC2:USER_SGPR: 2
; COMPUTE_PGM_RSRC2:TRAP_HANDLER: 0
; COMPUTE_PGM_RSRC2:TGID_X_EN: 1
; COMPUTE_PGM_RSRC2:TGID_Y_EN: 0
; COMPUTE_PGM_RSRC2:TGID_Z_EN: 0
; COMPUTE_PGM_RSRC2:TIDIG_COMP_CNT: 0
	.section	.text._ZN7rocprim17ROCPRIM_400000_NS6detail17trampoline_kernelINS0_14default_configENS1_25partition_config_selectorILNS1_17partition_subalgoE5EdNS0_10empty_typeEbEEZZNS1_14partition_implILS5_5ELb0ES3_mN6thrust23THRUST_200600_302600_NS6detail15normal_iteratorINSA_10device_ptrIdEEEEPS6_NSA_18transform_iteratorINSB_9not_fun_tI7is_trueIdEEENSC_INSD_IbEEEENSA_11use_defaultESO_EENS0_5tupleIJSF_S6_EEENSQ_IJSG_SG_EEES6_PlJS6_EEE10hipError_tPvRmT3_T4_T5_T6_T7_T9_mT8_P12ihipStream_tbDpT10_ENKUlT_T0_E_clISt17integral_constantIbLb1EES1D_EEDaS18_S19_EUlS18_E_NS1_11comp_targetILNS1_3genE0ELNS1_11target_archE4294967295ELNS1_3gpuE0ELNS1_3repE0EEENS1_30default_config_static_selectorELNS0_4arch9wavefront6targetE0EEEvT1_,"axG",@progbits,_ZN7rocprim17ROCPRIM_400000_NS6detail17trampoline_kernelINS0_14default_configENS1_25partition_config_selectorILNS1_17partition_subalgoE5EdNS0_10empty_typeEbEEZZNS1_14partition_implILS5_5ELb0ES3_mN6thrust23THRUST_200600_302600_NS6detail15normal_iteratorINSA_10device_ptrIdEEEEPS6_NSA_18transform_iteratorINSB_9not_fun_tI7is_trueIdEEENSC_INSD_IbEEEENSA_11use_defaultESO_EENS0_5tupleIJSF_S6_EEENSQ_IJSG_SG_EEES6_PlJS6_EEE10hipError_tPvRmT3_T4_T5_T6_T7_T9_mT8_P12ihipStream_tbDpT10_ENKUlT_T0_E_clISt17integral_constantIbLb1EES1D_EEDaS18_S19_EUlS18_E_NS1_11comp_targetILNS1_3genE0ELNS1_11target_archE4294967295ELNS1_3gpuE0ELNS1_3repE0EEENS1_30default_config_static_selectorELNS0_4arch9wavefront6targetE0EEEvT1_,comdat
	.protected	_ZN7rocprim17ROCPRIM_400000_NS6detail17trampoline_kernelINS0_14default_configENS1_25partition_config_selectorILNS1_17partition_subalgoE5EdNS0_10empty_typeEbEEZZNS1_14partition_implILS5_5ELb0ES3_mN6thrust23THRUST_200600_302600_NS6detail15normal_iteratorINSA_10device_ptrIdEEEEPS6_NSA_18transform_iteratorINSB_9not_fun_tI7is_trueIdEEENSC_INSD_IbEEEENSA_11use_defaultESO_EENS0_5tupleIJSF_S6_EEENSQ_IJSG_SG_EEES6_PlJS6_EEE10hipError_tPvRmT3_T4_T5_T6_T7_T9_mT8_P12ihipStream_tbDpT10_ENKUlT_T0_E_clISt17integral_constantIbLb1EES1D_EEDaS18_S19_EUlS18_E_NS1_11comp_targetILNS1_3genE0ELNS1_11target_archE4294967295ELNS1_3gpuE0ELNS1_3repE0EEENS1_30default_config_static_selectorELNS0_4arch9wavefront6targetE0EEEvT1_ ; -- Begin function _ZN7rocprim17ROCPRIM_400000_NS6detail17trampoline_kernelINS0_14default_configENS1_25partition_config_selectorILNS1_17partition_subalgoE5EdNS0_10empty_typeEbEEZZNS1_14partition_implILS5_5ELb0ES3_mN6thrust23THRUST_200600_302600_NS6detail15normal_iteratorINSA_10device_ptrIdEEEEPS6_NSA_18transform_iteratorINSB_9not_fun_tI7is_trueIdEEENSC_INSD_IbEEEENSA_11use_defaultESO_EENS0_5tupleIJSF_S6_EEENSQ_IJSG_SG_EEES6_PlJS6_EEE10hipError_tPvRmT3_T4_T5_T6_T7_T9_mT8_P12ihipStream_tbDpT10_ENKUlT_T0_E_clISt17integral_constantIbLb1EES1D_EEDaS18_S19_EUlS18_E_NS1_11comp_targetILNS1_3genE0ELNS1_11target_archE4294967295ELNS1_3gpuE0ELNS1_3repE0EEENS1_30default_config_static_selectorELNS0_4arch9wavefront6targetE0EEEvT1_
	.globl	_ZN7rocprim17ROCPRIM_400000_NS6detail17trampoline_kernelINS0_14default_configENS1_25partition_config_selectorILNS1_17partition_subalgoE5EdNS0_10empty_typeEbEEZZNS1_14partition_implILS5_5ELb0ES3_mN6thrust23THRUST_200600_302600_NS6detail15normal_iteratorINSA_10device_ptrIdEEEEPS6_NSA_18transform_iteratorINSB_9not_fun_tI7is_trueIdEEENSC_INSD_IbEEEENSA_11use_defaultESO_EENS0_5tupleIJSF_S6_EEENSQ_IJSG_SG_EEES6_PlJS6_EEE10hipError_tPvRmT3_T4_T5_T6_T7_T9_mT8_P12ihipStream_tbDpT10_ENKUlT_T0_E_clISt17integral_constantIbLb1EES1D_EEDaS18_S19_EUlS18_E_NS1_11comp_targetILNS1_3genE0ELNS1_11target_archE4294967295ELNS1_3gpuE0ELNS1_3repE0EEENS1_30default_config_static_selectorELNS0_4arch9wavefront6targetE0EEEvT1_
	.p2align	8
	.type	_ZN7rocprim17ROCPRIM_400000_NS6detail17trampoline_kernelINS0_14default_configENS1_25partition_config_selectorILNS1_17partition_subalgoE5EdNS0_10empty_typeEbEEZZNS1_14partition_implILS5_5ELb0ES3_mN6thrust23THRUST_200600_302600_NS6detail15normal_iteratorINSA_10device_ptrIdEEEEPS6_NSA_18transform_iteratorINSB_9not_fun_tI7is_trueIdEEENSC_INSD_IbEEEENSA_11use_defaultESO_EENS0_5tupleIJSF_S6_EEENSQ_IJSG_SG_EEES6_PlJS6_EEE10hipError_tPvRmT3_T4_T5_T6_T7_T9_mT8_P12ihipStream_tbDpT10_ENKUlT_T0_E_clISt17integral_constantIbLb1EES1D_EEDaS18_S19_EUlS18_E_NS1_11comp_targetILNS1_3genE0ELNS1_11target_archE4294967295ELNS1_3gpuE0ELNS1_3repE0EEENS1_30default_config_static_selectorELNS0_4arch9wavefront6targetE0EEEvT1_,@function
_ZN7rocprim17ROCPRIM_400000_NS6detail17trampoline_kernelINS0_14default_configENS1_25partition_config_selectorILNS1_17partition_subalgoE5EdNS0_10empty_typeEbEEZZNS1_14partition_implILS5_5ELb0ES3_mN6thrust23THRUST_200600_302600_NS6detail15normal_iteratorINSA_10device_ptrIdEEEEPS6_NSA_18transform_iteratorINSB_9not_fun_tI7is_trueIdEEENSC_INSD_IbEEEENSA_11use_defaultESO_EENS0_5tupleIJSF_S6_EEENSQ_IJSG_SG_EEES6_PlJS6_EEE10hipError_tPvRmT3_T4_T5_T6_T7_T9_mT8_P12ihipStream_tbDpT10_ENKUlT_T0_E_clISt17integral_constantIbLb1EES1D_EEDaS18_S19_EUlS18_E_NS1_11comp_targetILNS1_3genE0ELNS1_11target_archE4294967295ELNS1_3gpuE0ELNS1_3repE0EEENS1_30default_config_static_selectorELNS0_4arch9wavefront6targetE0EEEvT1_: ; @_ZN7rocprim17ROCPRIM_400000_NS6detail17trampoline_kernelINS0_14default_configENS1_25partition_config_selectorILNS1_17partition_subalgoE5EdNS0_10empty_typeEbEEZZNS1_14partition_implILS5_5ELb0ES3_mN6thrust23THRUST_200600_302600_NS6detail15normal_iteratorINSA_10device_ptrIdEEEEPS6_NSA_18transform_iteratorINSB_9not_fun_tI7is_trueIdEEENSC_INSD_IbEEEENSA_11use_defaultESO_EENS0_5tupleIJSF_S6_EEENSQ_IJSG_SG_EEES6_PlJS6_EEE10hipError_tPvRmT3_T4_T5_T6_T7_T9_mT8_P12ihipStream_tbDpT10_ENKUlT_T0_E_clISt17integral_constantIbLb1EES1D_EEDaS18_S19_EUlS18_E_NS1_11comp_targetILNS1_3genE0ELNS1_11target_archE4294967295ELNS1_3gpuE0ELNS1_3repE0EEENS1_30default_config_static_selectorELNS0_4arch9wavefront6targetE0EEEvT1_
; %bb.0:
	.section	.rodata,"a",@progbits
	.p2align	6, 0x0
	.amdhsa_kernel _ZN7rocprim17ROCPRIM_400000_NS6detail17trampoline_kernelINS0_14default_configENS1_25partition_config_selectorILNS1_17partition_subalgoE5EdNS0_10empty_typeEbEEZZNS1_14partition_implILS5_5ELb0ES3_mN6thrust23THRUST_200600_302600_NS6detail15normal_iteratorINSA_10device_ptrIdEEEEPS6_NSA_18transform_iteratorINSB_9not_fun_tI7is_trueIdEEENSC_INSD_IbEEEENSA_11use_defaultESO_EENS0_5tupleIJSF_S6_EEENSQ_IJSG_SG_EEES6_PlJS6_EEE10hipError_tPvRmT3_T4_T5_T6_T7_T9_mT8_P12ihipStream_tbDpT10_ENKUlT_T0_E_clISt17integral_constantIbLb1EES1D_EEDaS18_S19_EUlS18_E_NS1_11comp_targetILNS1_3genE0ELNS1_11target_archE4294967295ELNS1_3gpuE0ELNS1_3repE0EEENS1_30default_config_static_selectorELNS0_4arch9wavefront6targetE0EEEvT1_
		.amdhsa_group_segment_fixed_size 0
		.amdhsa_private_segment_fixed_size 0
		.amdhsa_kernarg_size 136
		.amdhsa_user_sgpr_count 2
		.amdhsa_user_sgpr_dispatch_ptr 0
		.amdhsa_user_sgpr_queue_ptr 0
		.amdhsa_user_sgpr_kernarg_segment_ptr 1
		.amdhsa_user_sgpr_dispatch_id 0
		.amdhsa_user_sgpr_private_segment_size 0
		.amdhsa_wavefront_size32 1
		.amdhsa_uses_dynamic_stack 0
		.amdhsa_enable_private_segment 0
		.amdhsa_system_sgpr_workgroup_id_x 1
		.amdhsa_system_sgpr_workgroup_id_y 0
		.amdhsa_system_sgpr_workgroup_id_z 0
		.amdhsa_system_sgpr_workgroup_info 0
		.amdhsa_system_vgpr_workitem_id 0
		.amdhsa_next_free_vgpr 1
		.amdhsa_next_free_sgpr 1
		.amdhsa_reserve_vcc 0
		.amdhsa_float_round_mode_32 0
		.amdhsa_float_round_mode_16_64 0
		.amdhsa_float_denorm_mode_32 3
		.amdhsa_float_denorm_mode_16_64 3
		.amdhsa_fp16_overflow 0
		.amdhsa_workgroup_processor_mode 1
		.amdhsa_memory_ordered 1
		.amdhsa_forward_progress 1
		.amdhsa_inst_pref_size 0
		.amdhsa_round_robin_scheduling 0
		.amdhsa_exception_fp_ieee_invalid_op 0
		.amdhsa_exception_fp_denorm_src 0
		.amdhsa_exception_fp_ieee_div_zero 0
		.amdhsa_exception_fp_ieee_overflow 0
		.amdhsa_exception_fp_ieee_underflow 0
		.amdhsa_exception_fp_ieee_inexact 0
		.amdhsa_exception_int_div_zero 0
	.end_amdhsa_kernel
	.section	.text._ZN7rocprim17ROCPRIM_400000_NS6detail17trampoline_kernelINS0_14default_configENS1_25partition_config_selectorILNS1_17partition_subalgoE5EdNS0_10empty_typeEbEEZZNS1_14partition_implILS5_5ELb0ES3_mN6thrust23THRUST_200600_302600_NS6detail15normal_iteratorINSA_10device_ptrIdEEEEPS6_NSA_18transform_iteratorINSB_9not_fun_tI7is_trueIdEEENSC_INSD_IbEEEENSA_11use_defaultESO_EENS0_5tupleIJSF_S6_EEENSQ_IJSG_SG_EEES6_PlJS6_EEE10hipError_tPvRmT3_T4_T5_T6_T7_T9_mT8_P12ihipStream_tbDpT10_ENKUlT_T0_E_clISt17integral_constantIbLb1EES1D_EEDaS18_S19_EUlS18_E_NS1_11comp_targetILNS1_3genE0ELNS1_11target_archE4294967295ELNS1_3gpuE0ELNS1_3repE0EEENS1_30default_config_static_selectorELNS0_4arch9wavefront6targetE0EEEvT1_,"axG",@progbits,_ZN7rocprim17ROCPRIM_400000_NS6detail17trampoline_kernelINS0_14default_configENS1_25partition_config_selectorILNS1_17partition_subalgoE5EdNS0_10empty_typeEbEEZZNS1_14partition_implILS5_5ELb0ES3_mN6thrust23THRUST_200600_302600_NS6detail15normal_iteratorINSA_10device_ptrIdEEEEPS6_NSA_18transform_iteratorINSB_9not_fun_tI7is_trueIdEEENSC_INSD_IbEEEENSA_11use_defaultESO_EENS0_5tupleIJSF_S6_EEENSQ_IJSG_SG_EEES6_PlJS6_EEE10hipError_tPvRmT3_T4_T5_T6_T7_T9_mT8_P12ihipStream_tbDpT10_ENKUlT_T0_E_clISt17integral_constantIbLb1EES1D_EEDaS18_S19_EUlS18_E_NS1_11comp_targetILNS1_3genE0ELNS1_11target_archE4294967295ELNS1_3gpuE0ELNS1_3repE0EEENS1_30default_config_static_selectorELNS0_4arch9wavefront6targetE0EEEvT1_,comdat
.Lfunc_end2341:
	.size	_ZN7rocprim17ROCPRIM_400000_NS6detail17trampoline_kernelINS0_14default_configENS1_25partition_config_selectorILNS1_17partition_subalgoE5EdNS0_10empty_typeEbEEZZNS1_14partition_implILS5_5ELb0ES3_mN6thrust23THRUST_200600_302600_NS6detail15normal_iteratorINSA_10device_ptrIdEEEEPS6_NSA_18transform_iteratorINSB_9not_fun_tI7is_trueIdEEENSC_INSD_IbEEEENSA_11use_defaultESO_EENS0_5tupleIJSF_S6_EEENSQ_IJSG_SG_EEES6_PlJS6_EEE10hipError_tPvRmT3_T4_T5_T6_T7_T9_mT8_P12ihipStream_tbDpT10_ENKUlT_T0_E_clISt17integral_constantIbLb1EES1D_EEDaS18_S19_EUlS18_E_NS1_11comp_targetILNS1_3genE0ELNS1_11target_archE4294967295ELNS1_3gpuE0ELNS1_3repE0EEENS1_30default_config_static_selectorELNS0_4arch9wavefront6targetE0EEEvT1_, .Lfunc_end2341-_ZN7rocprim17ROCPRIM_400000_NS6detail17trampoline_kernelINS0_14default_configENS1_25partition_config_selectorILNS1_17partition_subalgoE5EdNS0_10empty_typeEbEEZZNS1_14partition_implILS5_5ELb0ES3_mN6thrust23THRUST_200600_302600_NS6detail15normal_iteratorINSA_10device_ptrIdEEEEPS6_NSA_18transform_iteratorINSB_9not_fun_tI7is_trueIdEEENSC_INSD_IbEEEENSA_11use_defaultESO_EENS0_5tupleIJSF_S6_EEENSQ_IJSG_SG_EEES6_PlJS6_EEE10hipError_tPvRmT3_T4_T5_T6_T7_T9_mT8_P12ihipStream_tbDpT10_ENKUlT_T0_E_clISt17integral_constantIbLb1EES1D_EEDaS18_S19_EUlS18_E_NS1_11comp_targetILNS1_3genE0ELNS1_11target_archE4294967295ELNS1_3gpuE0ELNS1_3repE0EEENS1_30default_config_static_selectorELNS0_4arch9wavefront6targetE0EEEvT1_
                                        ; -- End function
	.set _ZN7rocprim17ROCPRIM_400000_NS6detail17trampoline_kernelINS0_14default_configENS1_25partition_config_selectorILNS1_17partition_subalgoE5EdNS0_10empty_typeEbEEZZNS1_14partition_implILS5_5ELb0ES3_mN6thrust23THRUST_200600_302600_NS6detail15normal_iteratorINSA_10device_ptrIdEEEEPS6_NSA_18transform_iteratorINSB_9not_fun_tI7is_trueIdEEENSC_INSD_IbEEEENSA_11use_defaultESO_EENS0_5tupleIJSF_S6_EEENSQ_IJSG_SG_EEES6_PlJS6_EEE10hipError_tPvRmT3_T4_T5_T6_T7_T9_mT8_P12ihipStream_tbDpT10_ENKUlT_T0_E_clISt17integral_constantIbLb1EES1D_EEDaS18_S19_EUlS18_E_NS1_11comp_targetILNS1_3genE0ELNS1_11target_archE4294967295ELNS1_3gpuE0ELNS1_3repE0EEENS1_30default_config_static_selectorELNS0_4arch9wavefront6targetE0EEEvT1_.num_vgpr, 0
	.set _ZN7rocprim17ROCPRIM_400000_NS6detail17trampoline_kernelINS0_14default_configENS1_25partition_config_selectorILNS1_17partition_subalgoE5EdNS0_10empty_typeEbEEZZNS1_14partition_implILS5_5ELb0ES3_mN6thrust23THRUST_200600_302600_NS6detail15normal_iteratorINSA_10device_ptrIdEEEEPS6_NSA_18transform_iteratorINSB_9not_fun_tI7is_trueIdEEENSC_INSD_IbEEEENSA_11use_defaultESO_EENS0_5tupleIJSF_S6_EEENSQ_IJSG_SG_EEES6_PlJS6_EEE10hipError_tPvRmT3_T4_T5_T6_T7_T9_mT8_P12ihipStream_tbDpT10_ENKUlT_T0_E_clISt17integral_constantIbLb1EES1D_EEDaS18_S19_EUlS18_E_NS1_11comp_targetILNS1_3genE0ELNS1_11target_archE4294967295ELNS1_3gpuE0ELNS1_3repE0EEENS1_30default_config_static_selectorELNS0_4arch9wavefront6targetE0EEEvT1_.num_agpr, 0
	.set _ZN7rocprim17ROCPRIM_400000_NS6detail17trampoline_kernelINS0_14default_configENS1_25partition_config_selectorILNS1_17partition_subalgoE5EdNS0_10empty_typeEbEEZZNS1_14partition_implILS5_5ELb0ES3_mN6thrust23THRUST_200600_302600_NS6detail15normal_iteratorINSA_10device_ptrIdEEEEPS6_NSA_18transform_iteratorINSB_9not_fun_tI7is_trueIdEEENSC_INSD_IbEEEENSA_11use_defaultESO_EENS0_5tupleIJSF_S6_EEENSQ_IJSG_SG_EEES6_PlJS6_EEE10hipError_tPvRmT3_T4_T5_T6_T7_T9_mT8_P12ihipStream_tbDpT10_ENKUlT_T0_E_clISt17integral_constantIbLb1EES1D_EEDaS18_S19_EUlS18_E_NS1_11comp_targetILNS1_3genE0ELNS1_11target_archE4294967295ELNS1_3gpuE0ELNS1_3repE0EEENS1_30default_config_static_selectorELNS0_4arch9wavefront6targetE0EEEvT1_.numbered_sgpr, 0
	.set _ZN7rocprim17ROCPRIM_400000_NS6detail17trampoline_kernelINS0_14default_configENS1_25partition_config_selectorILNS1_17partition_subalgoE5EdNS0_10empty_typeEbEEZZNS1_14partition_implILS5_5ELb0ES3_mN6thrust23THRUST_200600_302600_NS6detail15normal_iteratorINSA_10device_ptrIdEEEEPS6_NSA_18transform_iteratorINSB_9not_fun_tI7is_trueIdEEENSC_INSD_IbEEEENSA_11use_defaultESO_EENS0_5tupleIJSF_S6_EEENSQ_IJSG_SG_EEES6_PlJS6_EEE10hipError_tPvRmT3_T4_T5_T6_T7_T9_mT8_P12ihipStream_tbDpT10_ENKUlT_T0_E_clISt17integral_constantIbLb1EES1D_EEDaS18_S19_EUlS18_E_NS1_11comp_targetILNS1_3genE0ELNS1_11target_archE4294967295ELNS1_3gpuE0ELNS1_3repE0EEENS1_30default_config_static_selectorELNS0_4arch9wavefront6targetE0EEEvT1_.num_named_barrier, 0
	.set _ZN7rocprim17ROCPRIM_400000_NS6detail17trampoline_kernelINS0_14default_configENS1_25partition_config_selectorILNS1_17partition_subalgoE5EdNS0_10empty_typeEbEEZZNS1_14partition_implILS5_5ELb0ES3_mN6thrust23THRUST_200600_302600_NS6detail15normal_iteratorINSA_10device_ptrIdEEEEPS6_NSA_18transform_iteratorINSB_9not_fun_tI7is_trueIdEEENSC_INSD_IbEEEENSA_11use_defaultESO_EENS0_5tupleIJSF_S6_EEENSQ_IJSG_SG_EEES6_PlJS6_EEE10hipError_tPvRmT3_T4_T5_T6_T7_T9_mT8_P12ihipStream_tbDpT10_ENKUlT_T0_E_clISt17integral_constantIbLb1EES1D_EEDaS18_S19_EUlS18_E_NS1_11comp_targetILNS1_3genE0ELNS1_11target_archE4294967295ELNS1_3gpuE0ELNS1_3repE0EEENS1_30default_config_static_selectorELNS0_4arch9wavefront6targetE0EEEvT1_.private_seg_size, 0
	.set _ZN7rocprim17ROCPRIM_400000_NS6detail17trampoline_kernelINS0_14default_configENS1_25partition_config_selectorILNS1_17partition_subalgoE5EdNS0_10empty_typeEbEEZZNS1_14partition_implILS5_5ELb0ES3_mN6thrust23THRUST_200600_302600_NS6detail15normal_iteratorINSA_10device_ptrIdEEEEPS6_NSA_18transform_iteratorINSB_9not_fun_tI7is_trueIdEEENSC_INSD_IbEEEENSA_11use_defaultESO_EENS0_5tupleIJSF_S6_EEENSQ_IJSG_SG_EEES6_PlJS6_EEE10hipError_tPvRmT3_T4_T5_T6_T7_T9_mT8_P12ihipStream_tbDpT10_ENKUlT_T0_E_clISt17integral_constantIbLb1EES1D_EEDaS18_S19_EUlS18_E_NS1_11comp_targetILNS1_3genE0ELNS1_11target_archE4294967295ELNS1_3gpuE0ELNS1_3repE0EEENS1_30default_config_static_selectorELNS0_4arch9wavefront6targetE0EEEvT1_.uses_vcc, 0
	.set _ZN7rocprim17ROCPRIM_400000_NS6detail17trampoline_kernelINS0_14default_configENS1_25partition_config_selectorILNS1_17partition_subalgoE5EdNS0_10empty_typeEbEEZZNS1_14partition_implILS5_5ELb0ES3_mN6thrust23THRUST_200600_302600_NS6detail15normal_iteratorINSA_10device_ptrIdEEEEPS6_NSA_18transform_iteratorINSB_9not_fun_tI7is_trueIdEEENSC_INSD_IbEEEENSA_11use_defaultESO_EENS0_5tupleIJSF_S6_EEENSQ_IJSG_SG_EEES6_PlJS6_EEE10hipError_tPvRmT3_T4_T5_T6_T7_T9_mT8_P12ihipStream_tbDpT10_ENKUlT_T0_E_clISt17integral_constantIbLb1EES1D_EEDaS18_S19_EUlS18_E_NS1_11comp_targetILNS1_3genE0ELNS1_11target_archE4294967295ELNS1_3gpuE0ELNS1_3repE0EEENS1_30default_config_static_selectorELNS0_4arch9wavefront6targetE0EEEvT1_.uses_flat_scratch, 0
	.set _ZN7rocprim17ROCPRIM_400000_NS6detail17trampoline_kernelINS0_14default_configENS1_25partition_config_selectorILNS1_17partition_subalgoE5EdNS0_10empty_typeEbEEZZNS1_14partition_implILS5_5ELb0ES3_mN6thrust23THRUST_200600_302600_NS6detail15normal_iteratorINSA_10device_ptrIdEEEEPS6_NSA_18transform_iteratorINSB_9not_fun_tI7is_trueIdEEENSC_INSD_IbEEEENSA_11use_defaultESO_EENS0_5tupleIJSF_S6_EEENSQ_IJSG_SG_EEES6_PlJS6_EEE10hipError_tPvRmT3_T4_T5_T6_T7_T9_mT8_P12ihipStream_tbDpT10_ENKUlT_T0_E_clISt17integral_constantIbLb1EES1D_EEDaS18_S19_EUlS18_E_NS1_11comp_targetILNS1_3genE0ELNS1_11target_archE4294967295ELNS1_3gpuE0ELNS1_3repE0EEENS1_30default_config_static_selectorELNS0_4arch9wavefront6targetE0EEEvT1_.has_dyn_sized_stack, 0
	.set _ZN7rocprim17ROCPRIM_400000_NS6detail17trampoline_kernelINS0_14default_configENS1_25partition_config_selectorILNS1_17partition_subalgoE5EdNS0_10empty_typeEbEEZZNS1_14partition_implILS5_5ELb0ES3_mN6thrust23THRUST_200600_302600_NS6detail15normal_iteratorINSA_10device_ptrIdEEEEPS6_NSA_18transform_iteratorINSB_9not_fun_tI7is_trueIdEEENSC_INSD_IbEEEENSA_11use_defaultESO_EENS0_5tupleIJSF_S6_EEENSQ_IJSG_SG_EEES6_PlJS6_EEE10hipError_tPvRmT3_T4_T5_T6_T7_T9_mT8_P12ihipStream_tbDpT10_ENKUlT_T0_E_clISt17integral_constantIbLb1EES1D_EEDaS18_S19_EUlS18_E_NS1_11comp_targetILNS1_3genE0ELNS1_11target_archE4294967295ELNS1_3gpuE0ELNS1_3repE0EEENS1_30default_config_static_selectorELNS0_4arch9wavefront6targetE0EEEvT1_.has_recursion, 0
	.set _ZN7rocprim17ROCPRIM_400000_NS6detail17trampoline_kernelINS0_14default_configENS1_25partition_config_selectorILNS1_17partition_subalgoE5EdNS0_10empty_typeEbEEZZNS1_14partition_implILS5_5ELb0ES3_mN6thrust23THRUST_200600_302600_NS6detail15normal_iteratorINSA_10device_ptrIdEEEEPS6_NSA_18transform_iteratorINSB_9not_fun_tI7is_trueIdEEENSC_INSD_IbEEEENSA_11use_defaultESO_EENS0_5tupleIJSF_S6_EEENSQ_IJSG_SG_EEES6_PlJS6_EEE10hipError_tPvRmT3_T4_T5_T6_T7_T9_mT8_P12ihipStream_tbDpT10_ENKUlT_T0_E_clISt17integral_constantIbLb1EES1D_EEDaS18_S19_EUlS18_E_NS1_11comp_targetILNS1_3genE0ELNS1_11target_archE4294967295ELNS1_3gpuE0ELNS1_3repE0EEENS1_30default_config_static_selectorELNS0_4arch9wavefront6targetE0EEEvT1_.has_indirect_call, 0
	.section	.AMDGPU.csdata,"",@progbits
; Kernel info:
; codeLenInByte = 0
; TotalNumSgprs: 0
; NumVgprs: 0
; ScratchSize: 0
; MemoryBound: 0
; FloatMode: 240
; IeeeMode: 1
; LDSByteSize: 0 bytes/workgroup (compile time only)
; SGPRBlocks: 0
; VGPRBlocks: 0
; NumSGPRsForWavesPerEU: 1
; NumVGPRsForWavesPerEU: 1
; Occupancy: 16
; WaveLimiterHint : 0
; COMPUTE_PGM_RSRC2:SCRATCH_EN: 0
; COMPUTE_PGM_RSRC2:USER_SGPR: 2
; COMPUTE_PGM_RSRC2:TRAP_HANDLER: 0
; COMPUTE_PGM_RSRC2:TGID_X_EN: 1
; COMPUTE_PGM_RSRC2:TGID_Y_EN: 0
; COMPUTE_PGM_RSRC2:TGID_Z_EN: 0
; COMPUTE_PGM_RSRC2:TIDIG_COMP_CNT: 0
	.section	.text._ZN7rocprim17ROCPRIM_400000_NS6detail17trampoline_kernelINS0_14default_configENS1_25partition_config_selectorILNS1_17partition_subalgoE5EdNS0_10empty_typeEbEEZZNS1_14partition_implILS5_5ELb0ES3_mN6thrust23THRUST_200600_302600_NS6detail15normal_iteratorINSA_10device_ptrIdEEEEPS6_NSA_18transform_iteratorINSB_9not_fun_tI7is_trueIdEEENSC_INSD_IbEEEENSA_11use_defaultESO_EENS0_5tupleIJSF_S6_EEENSQ_IJSG_SG_EEES6_PlJS6_EEE10hipError_tPvRmT3_T4_T5_T6_T7_T9_mT8_P12ihipStream_tbDpT10_ENKUlT_T0_E_clISt17integral_constantIbLb1EES1D_EEDaS18_S19_EUlS18_E_NS1_11comp_targetILNS1_3genE5ELNS1_11target_archE942ELNS1_3gpuE9ELNS1_3repE0EEENS1_30default_config_static_selectorELNS0_4arch9wavefront6targetE0EEEvT1_,"axG",@progbits,_ZN7rocprim17ROCPRIM_400000_NS6detail17trampoline_kernelINS0_14default_configENS1_25partition_config_selectorILNS1_17partition_subalgoE5EdNS0_10empty_typeEbEEZZNS1_14partition_implILS5_5ELb0ES3_mN6thrust23THRUST_200600_302600_NS6detail15normal_iteratorINSA_10device_ptrIdEEEEPS6_NSA_18transform_iteratorINSB_9not_fun_tI7is_trueIdEEENSC_INSD_IbEEEENSA_11use_defaultESO_EENS0_5tupleIJSF_S6_EEENSQ_IJSG_SG_EEES6_PlJS6_EEE10hipError_tPvRmT3_T4_T5_T6_T7_T9_mT8_P12ihipStream_tbDpT10_ENKUlT_T0_E_clISt17integral_constantIbLb1EES1D_EEDaS18_S19_EUlS18_E_NS1_11comp_targetILNS1_3genE5ELNS1_11target_archE942ELNS1_3gpuE9ELNS1_3repE0EEENS1_30default_config_static_selectorELNS0_4arch9wavefront6targetE0EEEvT1_,comdat
	.protected	_ZN7rocprim17ROCPRIM_400000_NS6detail17trampoline_kernelINS0_14default_configENS1_25partition_config_selectorILNS1_17partition_subalgoE5EdNS0_10empty_typeEbEEZZNS1_14partition_implILS5_5ELb0ES3_mN6thrust23THRUST_200600_302600_NS6detail15normal_iteratorINSA_10device_ptrIdEEEEPS6_NSA_18transform_iteratorINSB_9not_fun_tI7is_trueIdEEENSC_INSD_IbEEEENSA_11use_defaultESO_EENS0_5tupleIJSF_S6_EEENSQ_IJSG_SG_EEES6_PlJS6_EEE10hipError_tPvRmT3_T4_T5_T6_T7_T9_mT8_P12ihipStream_tbDpT10_ENKUlT_T0_E_clISt17integral_constantIbLb1EES1D_EEDaS18_S19_EUlS18_E_NS1_11comp_targetILNS1_3genE5ELNS1_11target_archE942ELNS1_3gpuE9ELNS1_3repE0EEENS1_30default_config_static_selectorELNS0_4arch9wavefront6targetE0EEEvT1_ ; -- Begin function _ZN7rocprim17ROCPRIM_400000_NS6detail17trampoline_kernelINS0_14default_configENS1_25partition_config_selectorILNS1_17partition_subalgoE5EdNS0_10empty_typeEbEEZZNS1_14partition_implILS5_5ELb0ES3_mN6thrust23THRUST_200600_302600_NS6detail15normal_iteratorINSA_10device_ptrIdEEEEPS6_NSA_18transform_iteratorINSB_9not_fun_tI7is_trueIdEEENSC_INSD_IbEEEENSA_11use_defaultESO_EENS0_5tupleIJSF_S6_EEENSQ_IJSG_SG_EEES6_PlJS6_EEE10hipError_tPvRmT3_T4_T5_T6_T7_T9_mT8_P12ihipStream_tbDpT10_ENKUlT_T0_E_clISt17integral_constantIbLb1EES1D_EEDaS18_S19_EUlS18_E_NS1_11comp_targetILNS1_3genE5ELNS1_11target_archE942ELNS1_3gpuE9ELNS1_3repE0EEENS1_30default_config_static_selectorELNS0_4arch9wavefront6targetE0EEEvT1_
	.globl	_ZN7rocprim17ROCPRIM_400000_NS6detail17trampoline_kernelINS0_14default_configENS1_25partition_config_selectorILNS1_17partition_subalgoE5EdNS0_10empty_typeEbEEZZNS1_14partition_implILS5_5ELb0ES3_mN6thrust23THRUST_200600_302600_NS6detail15normal_iteratorINSA_10device_ptrIdEEEEPS6_NSA_18transform_iteratorINSB_9not_fun_tI7is_trueIdEEENSC_INSD_IbEEEENSA_11use_defaultESO_EENS0_5tupleIJSF_S6_EEENSQ_IJSG_SG_EEES6_PlJS6_EEE10hipError_tPvRmT3_T4_T5_T6_T7_T9_mT8_P12ihipStream_tbDpT10_ENKUlT_T0_E_clISt17integral_constantIbLb1EES1D_EEDaS18_S19_EUlS18_E_NS1_11comp_targetILNS1_3genE5ELNS1_11target_archE942ELNS1_3gpuE9ELNS1_3repE0EEENS1_30default_config_static_selectorELNS0_4arch9wavefront6targetE0EEEvT1_
	.p2align	8
	.type	_ZN7rocprim17ROCPRIM_400000_NS6detail17trampoline_kernelINS0_14default_configENS1_25partition_config_selectorILNS1_17partition_subalgoE5EdNS0_10empty_typeEbEEZZNS1_14partition_implILS5_5ELb0ES3_mN6thrust23THRUST_200600_302600_NS6detail15normal_iteratorINSA_10device_ptrIdEEEEPS6_NSA_18transform_iteratorINSB_9not_fun_tI7is_trueIdEEENSC_INSD_IbEEEENSA_11use_defaultESO_EENS0_5tupleIJSF_S6_EEENSQ_IJSG_SG_EEES6_PlJS6_EEE10hipError_tPvRmT3_T4_T5_T6_T7_T9_mT8_P12ihipStream_tbDpT10_ENKUlT_T0_E_clISt17integral_constantIbLb1EES1D_EEDaS18_S19_EUlS18_E_NS1_11comp_targetILNS1_3genE5ELNS1_11target_archE942ELNS1_3gpuE9ELNS1_3repE0EEENS1_30default_config_static_selectorELNS0_4arch9wavefront6targetE0EEEvT1_,@function
_ZN7rocprim17ROCPRIM_400000_NS6detail17trampoline_kernelINS0_14default_configENS1_25partition_config_selectorILNS1_17partition_subalgoE5EdNS0_10empty_typeEbEEZZNS1_14partition_implILS5_5ELb0ES3_mN6thrust23THRUST_200600_302600_NS6detail15normal_iteratorINSA_10device_ptrIdEEEEPS6_NSA_18transform_iteratorINSB_9not_fun_tI7is_trueIdEEENSC_INSD_IbEEEENSA_11use_defaultESO_EENS0_5tupleIJSF_S6_EEENSQ_IJSG_SG_EEES6_PlJS6_EEE10hipError_tPvRmT3_T4_T5_T6_T7_T9_mT8_P12ihipStream_tbDpT10_ENKUlT_T0_E_clISt17integral_constantIbLb1EES1D_EEDaS18_S19_EUlS18_E_NS1_11comp_targetILNS1_3genE5ELNS1_11target_archE942ELNS1_3gpuE9ELNS1_3repE0EEENS1_30default_config_static_selectorELNS0_4arch9wavefront6targetE0EEEvT1_: ; @_ZN7rocprim17ROCPRIM_400000_NS6detail17trampoline_kernelINS0_14default_configENS1_25partition_config_selectorILNS1_17partition_subalgoE5EdNS0_10empty_typeEbEEZZNS1_14partition_implILS5_5ELb0ES3_mN6thrust23THRUST_200600_302600_NS6detail15normal_iteratorINSA_10device_ptrIdEEEEPS6_NSA_18transform_iteratorINSB_9not_fun_tI7is_trueIdEEENSC_INSD_IbEEEENSA_11use_defaultESO_EENS0_5tupleIJSF_S6_EEENSQ_IJSG_SG_EEES6_PlJS6_EEE10hipError_tPvRmT3_T4_T5_T6_T7_T9_mT8_P12ihipStream_tbDpT10_ENKUlT_T0_E_clISt17integral_constantIbLb1EES1D_EEDaS18_S19_EUlS18_E_NS1_11comp_targetILNS1_3genE5ELNS1_11target_archE942ELNS1_3gpuE9ELNS1_3repE0EEENS1_30default_config_static_selectorELNS0_4arch9wavefront6targetE0EEEvT1_
; %bb.0:
	.section	.rodata,"a",@progbits
	.p2align	6, 0x0
	.amdhsa_kernel _ZN7rocprim17ROCPRIM_400000_NS6detail17trampoline_kernelINS0_14default_configENS1_25partition_config_selectorILNS1_17partition_subalgoE5EdNS0_10empty_typeEbEEZZNS1_14partition_implILS5_5ELb0ES3_mN6thrust23THRUST_200600_302600_NS6detail15normal_iteratorINSA_10device_ptrIdEEEEPS6_NSA_18transform_iteratorINSB_9not_fun_tI7is_trueIdEEENSC_INSD_IbEEEENSA_11use_defaultESO_EENS0_5tupleIJSF_S6_EEENSQ_IJSG_SG_EEES6_PlJS6_EEE10hipError_tPvRmT3_T4_T5_T6_T7_T9_mT8_P12ihipStream_tbDpT10_ENKUlT_T0_E_clISt17integral_constantIbLb1EES1D_EEDaS18_S19_EUlS18_E_NS1_11comp_targetILNS1_3genE5ELNS1_11target_archE942ELNS1_3gpuE9ELNS1_3repE0EEENS1_30default_config_static_selectorELNS0_4arch9wavefront6targetE0EEEvT1_
		.amdhsa_group_segment_fixed_size 0
		.amdhsa_private_segment_fixed_size 0
		.amdhsa_kernarg_size 136
		.amdhsa_user_sgpr_count 2
		.amdhsa_user_sgpr_dispatch_ptr 0
		.amdhsa_user_sgpr_queue_ptr 0
		.amdhsa_user_sgpr_kernarg_segment_ptr 1
		.amdhsa_user_sgpr_dispatch_id 0
		.amdhsa_user_sgpr_private_segment_size 0
		.amdhsa_wavefront_size32 1
		.amdhsa_uses_dynamic_stack 0
		.amdhsa_enable_private_segment 0
		.amdhsa_system_sgpr_workgroup_id_x 1
		.amdhsa_system_sgpr_workgroup_id_y 0
		.amdhsa_system_sgpr_workgroup_id_z 0
		.amdhsa_system_sgpr_workgroup_info 0
		.amdhsa_system_vgpr_workitem_id 0
		.amdhsa_next_free_vgpr 1
		.amdhsa_next_free_sgpr 1
		.amdhsa_reserve_vcc 0
		.amdhsa_float_round_mode_32 0
		.amdhsa_float_round_mode_16_64 0
		.amdhsa_float_denorm_mode_32 3
		.amdhsa_float_denorm_mode_16_64 3
		.amdhsa_fp16_overflow 0
		.amdhsa_workgroup_processor_mode 1
		.amdhsa_memory_ordered 1
		.amdhsa_forward_progress 1
		.amdhsa_inst_pref_size 0
		.amdhsa_round_robin_scheduling 0
		.amdhsa_exception_fp_ieee_invalid_op 0
		.amdhsa_exception_fp_denorm_src 0
		.amdhsa_exception_fp_ieee_div_zero 0
		.amdhsa_exception_fp_ieee_overflow 0
		.amdhsa_exception_fp_ieee_underflow 0
		.amdhsa_exception_fp_ieee_inexact 0
		.amdhsa_exception_int_div_zero 0
	.end_amdhsa_kernel
	.section	.text._ZN7rocprim17ROCPRIM_400000_NS6detail17trampoline_kernelINS0_14default_configENS1_25partition_config_selectorILNS1_17partition_subalgoE5EdNS0_10empty_typeEbEEZZNS1_14partition_implILS5_5ELb0ES3_mN6thrust23THRUST_200600_302600_NS6detail15normal_iteratorINSA_10device_ptrIdEEEEPS6_NSA_18transform_iteratorINSB_9not_fun_tI7is_trueIdEEENSC_INSD_IbEEEENSA_11use_defaultESO_EENS0_5tupleIJSF_S6_EEENSQ_IJSG_SG_EEES6_PlJS6_EEE10hipError_tPvRmT3_T4_T5_T6_T7_T9_mT8_P12ihipStream_tbDpT10_ENKUlT_T0_E_clISt17integral_constantIbLb1EES1D_EEDaS18_S19_EUlS18_E_NS1_11comp_targetILNS1_3genE5ELNS1_11target_archE942ELNS1_3gpuE9ELNS1_3repE0EEENS1_30default_config_static_selectorELNS0_4arch9wavefront6targetE0EEEvT1_,"axG",@progbits,_ZN7rocprim17ROCPRIM_400000_NS6detail17trampoline_kernelINS0_14default_configENS1_25partition_config_selectorILNS1_17partition_subalgoE5EdNS0_10empty_typeEbEEZZNS1_14partition_implILS5_5ELb0ES3_mN6thrust23THRUST_200600_302600_NS6detail15normal_iteratorINSA_10device_ptrIdEEEEPS6_NSA_18transform_iteratorINSB_9not_fun_tI7is_trueIdEEENSC_INSD_IbEEEENSA_11use_defaultESO_EENS0_5tupleIJSF_S6_EEENSQ_IJSG_SG_EEES6_PlJS6_EEE10hipError_tPvRmT3_T4_T5_T6_T7_T9_mT8_P12ihipStream_tbDpT10_ENKUlT_T0_E_clISt17integral_constantIbLb1EES1D_EEDaS18_S19_EUlS18_E_NS1_11comp_targetILNS1_3genE5ELNS1_11target_archE942ELNS1_3gpuE9ELNS1_3repE0EEENS1_30default_config_static_selectorELNS0_4arch9wavefront6targetE0EEEvT1_,comdat
.Lfunc_end2342:
	.size	_ZN7rocprim17ROCPRIM_400000_NS6detail17trampoline_kernelINS0_14default_configENS1_25partition_config_selectorILNS1_17partition_subalgoE5EdNS0_10empty_typeEbEEZZNS1_14partition_implILS5_5ELb0ES3_mN6thrust23THRUST_200600_302600_NS6detail15normal_iteratorINSA_10device_ptrIdEEEEPS6_NSA_18transform_iteratorINSB_9not_fun_tI7is_trueIdEEENSC_INSD_IbEEEENSA_11use_defaultESO_EENS0_5tupleIJSF_S6_EEENSQ_IJSG_SG_EEES6_PlJS6_EEE10hipError_tPvRmT3_T4_T5_T6_T7_T9_mT8_P12ihipStream_tbDpT10_ENKUlT_T0_E_clISt17integral_constantIbLb1EES1D_EEDaS18_S19_EUlS18_E_NS1_11comp_targetILNS1_3genE5ELNS1_11target_archE942ELNS1_3gpuE9ELNS1_3repE0EEENS1_30default_config_static_selectorELNS0_4arch9wavefront6targetE0EEEvT1_, .Lfunc_end2342-_ZN7rocprim17ROCPRIM_400000_NS6detail17trampoline_kernelINS0_14default_configENS1_25partition_config_selectorILNS1_17partition_subalgoE5EdNS0_10empty_typeEbEEZZNS1_14partition_implILS5_5ELb0ES3_mN6thrust23THRUST_200600_302600_NS6detail15normal_iteratorINSA_10device_ptrIdEEEEPS6_NSA_18transform_iteratorINSB_9not_fun_tI7is_trueIdEEENSC_INSD_IbEEEENSA_11use_defaultESO_EENS0_5tupleIJSF_S6_EEENSQ_IJSG_SG_EEES6_PlJS6_EEE10hipError_tPvRmT3_T4_T5_T6_T7_T9_mT8_P12ihipStream_tbDpT10_ENKUlT_T0_E_clISt17integral_constantIbLb1EES1D_EEDaS18_S19_EUlS18_E_NS1_11comp_targetILNS1_3genE5ELNS1_11target_archE942ELNS1_3gpuE9ELNS1_3repE0EEENS1_30default_config_static_selectorELNS0_4arch9wavefront6targetE0EEEvT1_
                                        ; -- End function
	.set _ZN7rocprim17ROCPRIM_400000_NS6detail17trampoline_kernelINS0_14default_configENS1_25partition_config_selectorILNS1_17partition_subalgoE5EdNS0_10empty_typeEbEEZZNS1_14partition_implILS5_5ELb0ES3_mN6thrust23THRUST_200600_302600_NS6detail15normal_iteratorINSA_10device_ptrIdEEEEPS6_NSA_18transform_iteratorINSB_9not_fun_tI7is_trueIdEEENSC_INSD_IbEEEENSA_11use_defaultESO_EENS0_5tupleIJSF_S6_EEENSQ_IJSG_SG_EEES6_PlJS6_EEE10hipError_tPvRmT3_T4_T5_T6_T7_T9_mT8_P12ihipStream_tbDpT10_ENKUlT_T0_E_clISt17integral_constantIbLb1EES1D_EEDaS18_S19_EUlS18_E_NS1_11comp_targetILNS1_3genE5ELNS1_11target_archE942ELNS1_3gpuE9ELNS1_3repE0EEENS1_30default_config_static_selectorELNS0_4arch9wavefront6targetE0EEEvT1_.num_vgpr, 0
	.set _ZN7rocprim17ROCPRIM_400000_NS6detail17trampoline_kernelINS0_14default_configENS1_25partition_config_selectorILNS1_17partition_subalgoE5EdNS0_10empty_typeEbEEZZNS1_14partition_implILS5_5ELb0ES3_mN6thrust23THRUST_200600_302600_NS6detail15normal_iteratorINSA_10device_ptrIdEEEEPS6_NSA_18transform_iteratorINSB_9not_fun_tI7is_trueIdEEENSC_INSD_IbEEEENSA_11use_defaultESO_EENS0_5tupleIJSF_S6_EEENSQ_IJSG_SG_EEES6_PlJS6_EEE10hipError_tPvRmT3_T4_T5_T6_T7_T9_mT8_P12ihipStream_tbDpT10_ENKUlT_T0_E_clISt17integral_constantIbLb1EES1D_EEDaS18_S19_EUlS18_E_NS1_11comp_targetILNS1_3genE5ELNS1_11target_archE942ELNS1_3gpuE9ELNS1_3repE0EEENS1_30default_config_static_selectorELNS0_4arch9wavefront6targetE0EEEvT1_.num_agpr, 0
	.set _ZN7rocprim17ROCPRIM_400000_NS6detail17trampoline_kernelINS0_14default_configENS1_25partition_config_selectorILNS1_17partition_subalgoE5EdNS0_10empty_typeEbEEZZNS1_14partition_implILS5_5ELb0ES3_mN6thrust23THRUST_200600_302600_NS6detail15normal_iteratorINSA_10device_ptrIdEEEEPS6_NSA_18transform_iteratorINSB_9not_fun_tI7is_trueIdEEENSC_INSD_IbEEEENSA_11use_defaultESO_EENS0_5tupleIJSF_S6_EEENSQ_IJSG_SG_EEES6_PlJS6_EEE10hipError_tPvRmT3_T4_T5_T6_T7_T9_mT8_P12ihipStream_tbDpT10_ENKUlT_T0_E_clISt17integral_constantIbLb1EES1D_EEDaS18_S19_EUlS18_E_NS1_11comp_targetILNS1_3genE5ELNS1_11target_archE942ELNS1_3gpuE9ELNS1_3repE0EEENS1_30default_config_static_selectorELNS0_4arch9wavefront6targetE0EEEvT1_.numbered_sgpr, 0
	.set _ZN7rocprim17ROCPRIM_400000_NS6detail17trampoline_kernelINS0_14default_configENS1_25partition_config_selectorILNS1_17partition_subalgoE5EdNS0_10empty_typeEbEEZZNS1_14partition_implILS5_5ELb0ES3_mN6thrust23THRUST_200600_302600_NS6detail15normal_iteratorINSA_10device_ptrIdEEEEPS6_NSA_18transform_iteratorINSB_9not_fun_tI7is_trueIdEEENSC_INSD_IbEEEENSA_11use_defaultESO_EENS0_5tupleIJSF_S6_EEENSQ_IJSG_SG_EEES6_PlJS6_EEE10hipError_tPvRmT3_T4_T5_T6_T7_T9_mT8_P12ihipStream_tbDpT10_ENKUlT_T0_E_clISt17integral_constantIbLb1EES1D_EEDaS18_S19_EUlS18_E_NS1_11comp_targetILNS1_3genE5ELNS1_11target_archE942ELNS1_3gpuE9ELNS1_3repE0EEENS1_30default_config_static_selectorELNS0_4arch9wavefront6targetE0EEEvT1_.num_named_barrier, 0
	.set _ZN7rocprim17ROCPRIM_400000_NS6detail17trampoline_kernelINS0_14default_configENS1_25partition_config_selectorILNS1_17partition_subalgoE5EdNS0_10empty_typeEbEEZZNS1_14partition_implILS5_5ELb0ES3_mN6thrust23THRUST_200600_302600_NS6detail15normal_iteratorINSA_10device_ptrIdEEEEPS6_NSA_18transform_iteratorINSB_9not_fun_tI7is_trueIdEEENSC_INSD_IbEEEENSA_11use_defaultESO_EENS0_5tupleIJSF_S6_EEENSQ_IJSG_SG_EEES6_PlJS6_EEE10hipError_tPvRmT3_T4_T5_T6_T7_T9_mT8_P12ihipStream_tbDpT10_ENKUlT_T0_E_clISt17integral_constantIbLb1EES1D_EEDaS18_S19_EUlS18_E_NS1_11comp_targetILNS1_3genE5ELNS1_11target_archE942ELNS1_3gpuE9ELNS1_3repE0EEENS1_30default_config_static_selectorELNS0_4arch9wavefront6targetE0EEEvT1_.private_seg_size, 0
	.set _ZN7rocprim17ROCPRIM_400000_NS6detail17trampoline_kernelINS0_14default_configENS1_25partition_config_selectorILNS1_17partition_subalgoE5EdNS0_10empty_typeEbEEZZNS1_14partition_implILS5_5ELb0ES3_mN6thrust23THRUST_200600_302600_NS6detail15normal_iteratorINSA_10device_ptrIdEEEEPS6_NSA_18transform_iteratorINSB_9not_fun_tI7is_trueIdEEENSC_INSD_IbEEEENSA_11use_defaultESO_EENS0_5tupleIJSF_S6_EEENSQ_IJSG_SG_EEES6_PlJS6_EEE10hipError_tPvRmT3_T4_T5_T6_T7_T9_mT8_P12ihipStream_tbDpT10_ENKUlT_T0_E_clISt17integral_constantIbLb1EES1D_EEDaS18_S19_EUlS18_E_NS1_11comp_targetILNS1_3genE5ELNS1_11target_archE942ELNS1_3gpuE9ELNS1_3repE0EEENS1_30default_config_static_selectorELNS0_4arch9wavefront6targetE0EEEvT1_.uses_vcc, 0
	.set _ZN7rocprim17ROCPRIM_400000_NS6detail17trampoline_kernelINS0_14default_configENS1_25partition_config_selectorILNS1_17partition_subalgoE5EdNS0_10empty_typeEbEEZZNS1_14partition_implILS5_5ELb0ES3_mN6thrust23THRUST_200600_302600_NS6detail15normal_iteratorINSA_10device_ptrIdEEEEPS6_NSA_18transform_iteratorINSB_9not_fun_tI7is_trueIdEEENSC_INSD_IbEEEENSA_11use_defaultESO_EENS0_5tupleIJSF_S6_EEENSQ_IJSG_SG_EEES6_PlJS6_EEE10hipError_tPvRmT3_T4_T5_T6_T7_T9_mT8_P12ihipStream_tbDpT10_ENKUlT_T0_E_clISt17integral_constantIbLb1EES1D_EEDaS18_S19_EUlS18_E_NS1_11comp_targetILNS1_3genE5ELNS1_11target_archE942ELNS1_3gpuE9ELNS1_3repE0EEENS1_30default_config_static_selectorELNS0_4arch9wavefront6targetE0EEEvT1_.uses_flat_scratch, 0
	.set _ZN7rocprim17ROCPRIM_400000_NS6detail17trampoline_kernelINS0_14default_configENS1_25partition_config_selectorILNS1_17partition_subalgoE5EdNS0_10empty_typeEbEEZZNS1_14partition_implILS5_5ELb0ES3_mN6thrust23THRUST_200600_302600_NS6detail15normal_iteratorINSA_10device_ptrIdEEEEPS6_NSA_18transform_iteratorINSB_9not_fun_tI7is_trueIdEEENSC_INSD_IbEEEENSA_11use_defaultESO_EENS0_5tupleIJSF_S6_EEENSQ_IJSG_SG_EEES6_PlJS6_EEE10hipError_tPvRmT3_T4_T5_T6_T7_T9_mT8_P12ihipStream_tbDpT10_ENKUlT_T0_E_clISt17integral_constantIbLb1EES1D_EEDaS18_S19_EUlS18_E_NS1_11comp_targetILNS1_3genE5ELNS1_11target_archE942ELNS1_3gpuE9ELNS1_3repE0EEENS1_30default_config_static_selectorELNS0_4arch9wavefront6targetE0EEEvT1_.has_dyn_sized_stack, 0
	.set _ZN7rocprim17ROCPRIM_400000_NS6detail17trampoline_kernelINS0_14default_configENS1_25partition_config_selectorILNS1_17partition_subalgoE5EdNS0_10empty_typeEbEEZZNS1_14partition_implILS5_5ELb0ES3_mN6thrust23THRUST_200600_302600_NS6detail15normal_iteratorINSA_10device_ptrIdEEEEPS6_NSA_18transform_iteratorINSB_9not_fun_tI7is_trueIdEEENSC_INSD_IbEEEENSA_11use_defaultESO_EENS0_5tupleIJSF_S6_EEENSQ_IJSG_SG_EEES6_PlJS6_EEE10hipError_tPvRmT3_T4_T5_T6_T7_T9_mT8_P12ihipStream_tbDpT10_ENKUlT_T0_E_clISt17integral_constantIbLb1EES1D_EEDaS18_S19_EUlS18_E_NS1_11comp_targetILNS1_3genE5ELNS1_11target_archE942ELNS1_3gpuE9ELNS1_3repE0EEENS1_30default_config_static_selectorELNS0_4arch9wavefront6targetE0EEEvT1_.has_recursion, 0
	.set _ZN7rocprim17ROCPRIM_400000_NS6detail17trampoline_kernelINS0_14default_configENS1_25partition_config_selectorILNS1_17partition_subalgoE5EdNS0_10empty_typeEbEEZZNS1_14partition_implILS5_5ELb0ES3_mN6thrust23THRUST_200600_302600_NS6detail15normal_iteratorINSA_10device_ptrIdEEEEPS6_NSA_18transform_iteratorINSB_9not_fun_tI7is_trueIdEEENSC_INSD_IbEEEENSA_11use_defaultESO_EENS0_5tupleIJSF_S6_EEENSQ_IJSG_SG_EEES6_PlJS6_EEE10hipError_tPvRmT3_T4_T5_T6_T7_T9_mT8_P12ihipStream_tbDpT10_ENKUlT_T0_E_clISt17integral_constantIbLb1EES1D_EEDaS18_S19_EUlS18_E_NS1_11comp_targetILNS1_3genE5ELNS1_11target_archE942ELNS1_3gpuE9ELNS1_3repE0EEENS1_30default_config_static_selectorELNS0_4arch9wavefront6targetE0EEEvT1_.has_indirect_call, 0
	.section	.AMDGPU.csdata,"",@progbits
; Kernel info:
; codeLenInByte = 0
; TotalNumSgprs: 0
; NumVgprs: 0
; ScratchSize: 0
; MemoryBound: 0
; FloatMode: 240
; IeeeMode: 1
; LDSByteSize: 0 bytes/workgroup (compile time only)
; SGPRBlocks: 0
; VGPRBlocks: 0
; NumSGPRsForWavesPerEU: 1
; NumVGPRsForWavesPerEU: 1
; Occupancy: 16
; WaveLimiterHint : 0
; COMPUTE_PGM_RSRC2:SCRATCH_EN: 0
; COMPUTE_PGM_RSRC2:USER_SGPR: 2
; COMPUTE_PGM_RSRC2:TRAP_HANDLER: 0
; COMPUTE_PGM_RSRC2:TGID_X_EN: 1
; COMPUTE_PGM_RSRC2:TGID_Y_EN: 0
; COMPUTE_PGM_RSRC2:TGID_Z_EN: 0
; COMPUTE_PGM_RSRC2:TIDIG_COMP_CNT: 0
	.section	.text._ZN7rocprim17ROCPRIM_400000_NS6detail17trampoline_kernelINS0_14default_configENS1_25partition_config_selectorILNS1_17partition_subalgoE5EdNS0_10empty_typeEbEEZZNS1_14partition_implILS5_5ELb0ES3_mN6thrust23THRUST_200600_302600_NS6detail15normal_iteratorINSA_10device_ptrIdEEEEPS6_NSA_18transform_iteratorINSB_9not_fun_tI7is_trueIdEEENSC_INSD_IbEEEENSA_11use_defaultESO_EENS0_5tupleIJSF_S6_EEENSQ_IJSG_SG_EEES6_PlJS6_EEE10hipError_tPvRmT3_T4_T5_T6_T7_T9_mT8_P12ihipStream_tbDpT10_ENKUlT_T0_E_clISt17integral_constantIbLb1EES1D_EEDaS18_S19_EUlS18_E_NS1_11comp_targetILNS1_3genE4ELNS1_11target_archE910ELNS1_3gpuE8ELNS1_3repE0EEENS1_30default_config_static_selectorELNS0_4arch9wavefront6targetE0EEEvT1_,"axG",@progbits,_ZN7rocprim17ROCPRIM_400000_NS6detail17trampoline_kernelINS0_14default_configENS1_25partition_config_selectorILNS1_17partition_subalgoE5EdNS0_10empty_typeEbEEZZNS1_14partition_implILS5_5ELb0ES3_mN6thrust23THRUST_200600_302600_NS6detail15normal_iteratorINSA_10device_ptrIdEEEEPS6_NSA_18transform_iteratorINSB_9not_fun_tI7is_trueIdEEENSC_INSD_IbEEEENSA_11use_defaultESO_EENS0_5tupleIJSF_S6_EEENSQ_IJSG_SG_EEES6_PlJS6_EEE10hipError_tPvRmT3_T4_T5_T6_T7_T9_mT8_P12ihipStream_tbDpT10_ENKUlT_T0_E_clISt17integral_constantIbLb1EES1D_EEDaS18_S19_EUlS18_E_NS1_11comp_targetILNS1_3genE4ELNS1_11target_archE910ELNS1_3gpuE8ELNS1_3repE0EEENS1_30default_config_static_selectorELNS0_4arch9wavefront6targetE0EEEvT1_,comdat
	.protected	_ZN7rocprim17ROCPRIM_400000_NS6detail17trampoline_kernelINS0_14default_configENS1_25partition_config_selectorILNS1_17partition_subalgoE5EdNS0_10empty_typeEbEEZZNS1_14partition_implILS5_5ELb0ES3_mN6thrust23THRUST_200600_302600_NS6detail15normal_iteratorINSA_10device_ptrIdEEEEPS6_NSA_18transform_iteratorINSB_9not_fun_tI7is_trueIdEEENSC_INSD_IbEEEENSA_11use_defaultESO_EENS0_5tupleIJSF_S6_EEENSQ_IJSG_SG_EEES6_PlJS6_EEE10hipError_tPvRmT3_T4_T5_T6_T7_T9_mT8_P12ihipStream_tbDpT10_ENKUlT_T0_E_clISt17integral_constantIbLb1EES1D_EEDaS18_S19_EUlS18_E_NS1_11comp_targetILNS1_3genE4ELNS1_11target_archE910ELNS1_3gpuE8ELNS1_3repE0EEENS1_30default_config_static_selectorELNS0_4arch9wavefront6targetE0EEEvT1_ ; -- Begin function _ZN7rocprim17ROCPRIM_400000_NS6detail17trampoline_kernelINS0_14default_configENS1_25partition_config_selectorILNS1_17partition_subalgoE5EdNS0_10empty_typeEbEEZZNS1_14partition_implILS5_5ELb0ES3_mN6thrust23THRUST_200600_302600_NS6detail15normal_iteratorINSA_10device_ptrIdEEEEPS6_NSA_18transform_iteratorINSB_9not_fun_tI7is_trueIdEEENSC_INSD_IbEEEENSA_11use_defaultESO_EENS0_5tupleIJSF_S6_EEENSQ_IJSG_SG_EEES6_PlJS6_EEE10hipError_tPvRmT3_T4_T5_T6_T7_T9_mT8_P12ihipStream_tbDpT10_ENKUlT_T0_E_clISt17integral_constantIbLb1EES1D_EEDaS18_S19_EUlS18_E_NS1_11comp_targetILNS1_3genE4ELNS1_11target_archE910ELNS1_3gpuE8ELNS1_3repE0EEENS1_30default_config_static_selectorELNS0_4arch9wavefront6targetE0EEEvT1_
	.globl	_ZN7rocprim17ROCPRIM_400000_NS6detail17trampoline_kernelINS0_14default_configENS1_25partition_config_selectorILNS1_17partition_subalgoE5EdNS0_10empty_typeEbEEZZNS1_14partition_implILS5_5ELb0ES3_mN6thrust23THRUST_200600_302600_NS6detail15normal_iteratorINSA_10device_ptrIdEEEEPS6_NSA_18transform_iteratorINSB_9not_fun_tI7is_trueIdEEENSC_INSD_IbEEEENSA_11use_defaultESO_EENS0_5tupleIJSF_S6_EEENSQ_IJSG_SG_EEES6_PlJS6_EEE10hipError_tPvRmT3_T4_T5_T6_T7_T9_mT8_P12ihipStream_tbDpT10_ENKUlT_T0_E_clISt17integral_constantIbLb1EES1D_EEDaS18_S19_EUlS18_E_NS1_11comp_targetILNS1_3genE4ELNS1_11target_archE910ELNS1_3gpuE8ELNS1_3repE0EEENS1_30default_config_static_selectorELNS0_4arch9wavefront6targetE0EEEvT1_
	.p2align	8
	.type	_ZN7rocprim17ROCPRIM_400000_NS6detail17trampoline_kernelINS0_14default_configENS1_25partition_config_selectorILNS1_17partition_subalgoE5EdNS0_10empty_typeEbEEZZNS1_14partition_implILS5_5ELb0ES3_mN6thrust23THRUST_200600_302600_NS6detail15normal_iteratorINSA_10device_ptrIdEEEEPS6_NSA_18transform_iteratorINSB_9not_fun_tI7is_trueIdEEENSC_INSD_IbEEEENSA_11use_defaultESO_EENS0_5tupleIJSF_S6_EEENSQ_IJSG_SG_EEES6_PlJS6_EEE10hipError_tPvRmT3_T4_T5_T6_T7_T9_mT8_P12ihipStream_tbDpT10_ENKUlT_T0_E_clISt17integral_constantIbLb1EES1D_EEDaS18_S19_EUlS18_E_NS1_11comp_targetILNS1_3genE4ELNS1_11target_archE910ELNS1_3gpuE8ELNS1_3repE0EEENS1_30default_config_static_selectorELNS0_4arch9wavefront6targetE0EEEvT1_,@function
_ZN7rocprim17ROCPRIM_400000_NS6detail17trampoline_kernelINS0_14default_configENS1_25partition_config_selectorILNS1_17partition_subalgoE5EdNS0_10empty_typeEbEEZZNS1_14partition_implILS5_5ELb0ES3_mN6thrust23THRUST_200600_302600_NS6detail15normal_iteratorINSA_10device_ptrIdEEEEPS6_NSA_18transform_iteratorINSB_9not_fun_tI7is_trueIdEEENSC_INSD_IbEEEENSA_11use_defaultESO_EENS0_5tupleIJSF_S6_EEENSQ_IJSG_SG_EEES6_PlJS6_EEE10hipError_tPvRmT3_T4_T5_T6_T7_T9_mT8_P12ihipStream_tbDpT10_ENKUlT_T0_E_clISt17integral_constantIbLb1EES1D_EEDaS18_S19_EUlS18_E_NS1_11comp_targetILNS1_3genE4ELNS1_11target_archE910ELNS1_3gpuE8ELNS1_3repE0EEENS1_30default_config_static_selectorELNS0_4arch9wavefront6targetE0EEEvT1_: ; @_ZN7rocprim17ROCPRIM_400000_NS6detail17trampoline_kernelINS0_14default_configENS1_25partition_config_selectorILNS1_17partition_subalgoE5EdNS0_10empty_typeEbEEZZNS1_14partition_implILS5_5ELb0ES3_mN6thrust23THRUST_200600_302600_NS6detail15normal_iteratorINSA_10device_ptrIdEEEEPS6_NSA_18transform_iteratorINSB_9not_fun_tI7is_trueIdEEENSC_INSD_IbEEEENSA_11use_defaultESO_EENS0_5tupleIJSF_S6_EEENSQ_IJSG_SG_EEES6_PlJS6_EEE10hipError_tPvRmT3_T4_T5_T6_T7_T9_mT8_P12ihipStream_tbDpT10_ENKUlT_T0_E_clISt17integral_constantIbLb1EES1D_EEDaS18_S19_EUlS18_E_NS1_11comp_targetILNS1_3genE4ELNS1_11target_archE910ELNS1_3gpuE8ELNS1_3repE0EEENS1_30default_config_static_selectorELNS0_4arch9wavefront6targetE0EEEvT1_
; %bb.0:
	.section	.rodata,"a",@progbits
	.p2align	6, 0x0
	.amdhsa_kernel _ZN7rocprim17ROCPRIM_400000_NS6detail17trampoline_kernelINS0_14default_configENS1_25partition_config_selectorILNS1_17partition_subalgoE5EdNS0_10empty_typeEbEEZZNS1_14partition_implILS5_5ELb0ES3_mN6thrust23THRUST_200600_302600_NS6detail15normal_iteratorINSA_10device_ptrIdEEEEPS6_NSA_18transform_iteratorINSB_9not_fun_tI7is_trueIdEEENSC_INSD_IbEEEENSA_11use_defaultESO_EENS0_5tupleIJSF_S6_EEENSQ_IJSG_SG_EEES6_PlJS6_EEE10hipError_tPvRmT3_T4_T5_T6_T7_T9_mT8_P12ihipStream_tbDpT10_ENKUlT_T0_E_clISt17integral_constantIbLb1EES1D_EEDaS18_S19_EUlS18_E_NS1_11comp_targetILNS1_3genE4ELNS1_11target_archE910ELNS1_3gpuE8ELNS1_3repE0EEENS1_30default_config_static_selectorELNS0_4arch9wavefront6targetE0EEEvT1_
		.amdhsa_group_segment_fixed_size 0
		.amdhsa_private_segment_fixed_size 0
		.amdhsa_kernarg_size 136
		.amdhsa_user_sgpr_count 2
		.amdhsa_user_sgpr_dispatch_ptr 0
		.amdhsa_user_sgpr_queue_ptr 0
		.amdhsa_user_sgpr_kernarg_segment_ptr 1
		.amdhsa_user_sgpr_dispatch_id 0
		.amdhsa_user_sgpr_private_segment_size 0
		.amdhsa_wavefront_size32 1
		.amdhsa_uses_dynamic_stack 0
		.amdhsa_enable_private_segment 0
		.amdhsa_system_sgpr_workgroup_id_x 1
		.amdhsa_system_sgpr_workgroup_id_y 0
		.amdhsa_system_sgpr_workgroup_id_z 0
		.amdhsa_system_sgpr_workgroup_info 0
		.amdhsa_system_vgpr_workitem_id 0
		.amdhsa_next_free_vgpr 1
		.amdhsa_next_free_sgpr 1
		.amdhsa_reserve_vcc 0
		.amdhsa_float_round_mode_32 0
		.amdhsa_float_round_mode_16_64 0
		.amdhsa_float_denorm_mode_32 3
		.amdhsa_float_denorm_mode_16_64 3
		.amdhsa_fp16_overflow 0
		.amdhsa_workgroup_processor_mode 1
		.amdhsa_memory_ordered 1
		.amdhsa_forward_progress 1
		.amdhsa_inst_pref_size 0
		.amdhsa_round_robin_scheduling 0
		.amdhsa_exception_fp_ieee_invalid_op 0
		.amdhsa_exception_fp_denorm_src 0
		.amdhsa_exception_fp_ieee_div_zero 0
		.amdhsa_exception_fp_ieee_overflow 0
		.amdhsa_exception_fp_ieee_underflow 0
		.amdhsa_exception_fp_ieee_inexact 0
		.amdhsa_exception_int_div_zero 0
	.end_amdhsa_kernel
	.section	.text._ZN7rocprim17ROCPRIM_400000_NS6detail17trampoline_kernelINS0_14default_configENS1_25partition_config_selectorILNS1_17partition_subalgoE5EdNS0_10empty_typeEbEEZZNS1_14partition_implILS5_5ELb0ES3_mN6thrust23THRUST_200600_302600_NS6detail15normal_iteratorINSA_10device_ptrIdEEEEPS6_NSA_18transform_iteratorINSB_9not_fun_tI7is_trueIdEEENSC_INSD_IbEEEENSA_11use_defaultESO_EENS0_5tupleIJSF_S6_EEENSQ_IJSG_SG_EEES6_PlJS6_EEE10hipError_tPvRmT3_T4_T5_T6_T7_T9_mT8_P12ihipStream_tbDpT10_ENKUlT_T0_E_clISt17integral_constantIbLb1EES1D_EEDaS18_S19_EUlS18_E_NS1_11comp_targetILNS1_3genE4ELNS1_11target_archE910ELNS1_3gpuE8ELNS1_3repE0EEENS1_30default_config_static_selectorELNS0_4arch9wavefront6targetE0EEEvT1_,"axG",@progbits,_ZN7rocprim17ROCPRIM_400000_NS6detail17trampoline_kernelINS0_14default_configENS1_25partition_config_selectorILNS1_17partition_subalgoE5EdNS0_10empty_typeEbEEZZNS1_14partition_implILS5_5ELb0ES3_mN6thrust23THRUST_200600_302600_NS6detail15normal_iteratorINSA_10device_ptrIdEEEEPS6_NSA_18transform_iteratorINSB_9not_fun_tI7is_trueIdEEENSC_INSD_IbEEEENSA_11use_defaultESO_EENS0_5tupleIJSF_S6_EEENSQ_IJSG_SG_EEES6_PlJS6_EEE10hipError_tPvRmT3_T4_T5_T6_T7_T9_mT8_P12ihipStream_tbDpT10_ENKUlT_T0_E_clISt17integral_constantIbLb1EES1D_EEDaS18_S19_EUlS18_E_NS1_11comp_targetILNS1_3genE4ELNS1_11target_archE910ELNS1_3gpuE8ELNS1_3repE0EEENS1_30default_config_static_selectorELNS0_4arch9wavefront6targetE0EEEvT1_,comdat
.Lfunc_end2343:
	.size	_ZN7rocprim17ROCPRIM_400000_NS6detail17trampoline_kernelINS0_14default_configENS1_25partition_config_selectorILNS1_17partition_subalgoE5EdNS0_10empty_typeEbEEZZNS1_14partition_implILS5_5ELb0ES3_mN6thrust23THRUST_200600_302600_NS6detail15normal_iteratorINSA_10device_ptrIdEEEEPS6_NSA_18transform_iteratorINSB_9not_fun_tI7is_trueIdEEENSC_INSD_IbEEEENSA_11use_defaultESO_EENS0_5tupleIJSF_S6_EEENSQ_IJSG_SG_EEES6_PlJS6_EEE10hipError_tPvRmT3_T4_T5_T6_T7_T9_mT8_P12ihipStream_tbDpT10_ENKUlT_T0_E_clISt17integral_constantIbLb1EES1D_EEDaS18_S19_EUlS18_E_NS1_11comp_targetILNS1_3genE4ELNS1_11target_archE910ELNS1_3gpuE8ELNS1_3repE0EEENS1_30default_config_static_selectorELNS0_4arch9wavefront6targetE0EEEvT1_, .Lfunc_end2343-_ZN7rocprim17ROCPRIM_400000_NS6detail17trampoline_kernelINS0_14default_configENS1_25partition_config_selectorILNS1_17partition_subalgoE5EdNS0_10empty_typeEbEEZZNS1_14partition_implILS5_5ELb0ES3_mN6thrust23THRUST_200600_302600_NS6detail15normal_iteratorINSA_10device_ptrIdEEEEPS6_NSA_18transform_iteratorINSB_9not_fun_tI7is_trueIdEEENSC_INSD_IbEEEENSA_11use_defaultESO_EENS0_5tupleIJSF_S6_EEENSQ_IJSG_SG_EEES6_PlJS6_EEE10hipError_tPvRmT3_T4_T5_T6_T7_T9_mT8_P12ihipStream_tbDpT10_ENKUlT_T0_E_clISt17integral_constantIbLb1EES1D_EEDaS18_S19_EUlS18_E_NS1_11comp_targetILNS1_3genE4ELNS1_11target_archE910ELNS1_3gpuE8ELNS1_3repE0EEENS1_30default_config_static_selectorELNS0_4arch9wavefront6targetE0EEEvT1_
                                        ; -- End function
	.set _ZN7rocprim17ROCPRIM_400000_NS6detail17trampoline_kernelINS0_14default_configENS1_25partition_config_selectorILNS1_17partition_subalgoE5EdNS0_10empty_typeEbEEZZNS1_14partition_implILS5_5ELb0ES3_mN6thrust23THRUST_200600_302600_NS6detail15normal_iteratorINSA_10device_ptrIdEEEEPS6_NSA_18transform_iteratorINSB_9not_fun_tI7is_trueIdEEENSC_INSD_IbEEEENSA_11use_defaultESO_EENS0_5tupleIJSF_S6_EEENSQ_IJSG_SG_EEES6_PlJS6_EEE10hipError_tPvRmT3_T4_T5_T6_T7_T9_mT8_P12ihipStream_tbDpT10_ENKUlT_T0_E_clISt17integral_constantIbLb1EES1D_EEDaS18_S19_EUlS18_E_NS1_11comp_targetILNS1_3genE4ELNS1_11target_archE910ELNS1_3gpuE8ELNS1_3repE0EEENS1_30default_config_static_selectorELNS0_4arch9wavefront6targetE0EEEvT1_.num_vgpr, 0
	.set _ZN7rocprim17ROCPRIM_400000_NS6detail17trampoline_kernelINS0_14default_configENS1_25partition_config_selectorILNS1_17partition_subalgoE5EdNS0_10empty_typeEbEEZZNS1_14partition_implILS5_5ELb0ES3_mN6thrust23THRUST_200600_302600_NS6detail15normal_iteratorINSA_10device_ptrIdEEEEPS6_NSA_18transform_iteratorINSB_9not_fun_tI7is_trueIdEEENSC_INSD_IbEEEENSA_11use_defaultESO_EENS0_5tupleIJSF_S6_EEENSQ_IJSG_SG_EEES6_PlJS6_EEE10hipError_tPvRmT3_T4_T5_T6_T7_T9_mT8_P12ihipStream_tbDpT10_ENKUlT_T0_E_clISt17integral_constantIbLb1EES1D_EEDaS18_S19_EUlS18_E_NS1_11comp_targetILNS1_3genE4ELNS1_11target_archE910ELNS1_3gpuE8ELNS1_3repE0EEENS1_30default_config_static_selectorELNS0_4arch9wavefront6targetE0EEEvT1_.num_agpr, 0
	.set _ZN7rocprim17ROCPRIM_400000_NS6detail17trampoline_kernelINS0_14default_configENS1_25partition_config_selectorILNS1_17partition_subalgoE5EdNS0_10empty_typeEbEEZZNS1_14partition_implILS5_5ELb0ES3_mN6thrust23THRUST_200600_302600_NS6detail15normal_iteratorINSA_10device_ptrIdEEEEPS6_NSA_18transform_iteratorINSB_9not_fun_tI7is_trueIdEEENSC_INSD_IbEEEENSA_11use_defaultESO_EENS0_5tupleIJSF_S6_EEENSQ_IJSG_SG_EEES6_PlJS6_EEE10hipError_tPvRmT3_T4_T5_T6_T7_T9_mT8_P12ihipStream_tbDpT10_ENKUlT_T0_E_clISt17integral_constantIbLb1EES1D_EEDaS18_S19_EUlS18_E_NS1_11comp_targetILNS1_3genE4ELNS1_11target_archE910ELNS1_3gpuE8ELNS1_3repE0EEENS1_30default_config_static_selectorELNS0_4arch9wavefront6targetE0EEEvT1_.numbered_sgpr, 0
	.set _ZN7rocprim17ROCPRIM_400000_NS6detail17trampoline_kernelINS0_14default_configENS1_25partition_config_selectorILNS1_17partition_subalgoE5EdNS0_10empty_typeEbEEZZNS1_14partition_implILS5_5ELb0ES3_mN6thrust23THRUST_200600_302600_NS6detail15normal_iteratorINSA_10device_ptrIdEEEEPS6_NSA_18transform_iteratorINSB_9not_fun_tI7is_trueIdEEENSC_INSD_IbEEEENSA_11use_defaultESO_EENS0_5tupleIJSF_S6_EEENSQ_IJSG_SG_EEES6_PlJS6_EEE10hipError_tPvRmT3_T4_T5_T6_T7_T9_mT8_P12ihipStream_tbDpT10_ENKUlT_T0_E_clISt17integral_constantIbLb1EES1D_EEDaS18_S19_EUlS18_E_NS1_11comp_targetILNS1_3genE4ELNS1_11target_archE910ELNS1_3gpuE8ELNS1_3repE0EEENS1_30default_config_static_selectorELNS0_4arch9wavefront6targetE0EEEvT1_.num_named_barrier, 0
	.set _ZN7rocprim17ROCPRIM_400000_NS6detail17trampoline_kernelINS0_14default_configENS1_25partition_config_selectorILNS1_17partition_subalgoE5EdNS0_10empty_typeEbEEZZNS1_14partition_implILS5_5ELb0ES3_mN6thrust23THRUST_200600_302600_NS6detail15normal_iteratorINSA_10device_ptrIdEEEEPS6_NSA_18transform_iteratorINSB_9not_fun_tI7is_trueIdEEENSC_INSD_IbEEEENSA_11use_defaultESO_EENS0_5tupleIJSF_S6_EEENSQ_IJSG_SG_EEES6_PlJS6_EEE10hipError_tPvRmT3_T4_T5_T6_T7_T9_mT8_P12ihipStream_tbDpT10_ENKUlT_T0_E_clISt17integral_constantIbLb1EES1D_EEDaS18_S19_EUlS18_E_NS1_11comp_targetILNS1_3genE4ELNS1_11target_archE910ELNS1_3gpuE8ELNS1_3repE0EEENS1_30default_config_static_selectorELNS0_4arch9wavefront6targetE0EEEvT1_.private_seg_size, 0
	.set _ZN7rocprim17ROCPRIM_400000_NS6detail17trampoline_kernelINS0_14default_configENS1_25partition_config_selectorILNS1_17partition_subalgoE5EdNS0_10empty_typeEbEEZZNS1_14partition_implILS5_5ELb0ES3_mN6thrust23THRUST_200600_302600_NS6detail15normal_iteratorINSA_10device_ptrIdEEEEPS6_NSA_18transform_iteratorINSB_9not_fun_tI7is_trueIdEEENSC_INSD_IbEEEENSA_11use_defaultESO_EENS0_5tupleIJSF_S6_EEENSQ_IJSG_SG_EEES6_PlJS6_EEE10hipError_tPvRmT3_T4_T5_T6_T7_T9_mT8_P12ihipStream_tbDpT10_ENKUlT_T0_E_clISt17integral_constantIbLb1EES1D_EEDaS18_S19_EUlS18_E_NS1_11comp_targetILNS1_3genE4ELNS1_11target_archE910ELNS1_3gpuE8ELNS1_3repE0EEENS1_30default_config_static_selectorELNS0_4arch9wavefront6targetE0EEEvT1_.uses_vcc, 0
	.set _ZN7rocprim17ROCPRIM_400000_NS6detail17trampoline_kernelINS0_14default_configENS1_25partition_config_selectorILNS1_17partition_subalgoE5EdNS0_10empty_typeEbEEZZNS1_14partition_implILS5_5ELb0ES3_mN6thrust23THRUST_200600_302600_NS6detail15normal_iteratorINSA_10device_ptrIdEEEEPS6_NSA_18transform_iteratorINSB_9not_fun_tI7is_trueIdEEENSC_INSD_IbEEEENSA_11use_defaultESO_EENS0_5tupleIJSF_S6_EEENSQ_IJSG_SG_EEES6_PlJS6_EEE10hipError_tPvRmT3_T4_T5_T6_T7_T9_mT8_P12ihipStream_tbDpT10_ENKUlT_T0_E_clISt17integral_constantIbLb1EES1D_EEDaS18_S19_EUlS18_E_NS1_11comp_targetILNS1_3genE4ELNS1_11target_archE910ELNS1_3gpuE8ELNS1_3repE0EEENS1_30default_config_static_selectorELNS0_4arch9wavefront6targetE0EEEvT1_.uses_flat_scratch, 0
	.set _ZN7rocprim17ROCPRIM_400000_NS6detail17trampoline_kernelINS0_14default_configENS1_25partition_config_selectorILNS1_17partition_subalgoE5EdNS0_10empty_typeEbEEZZNS1_14partition_implILS5_5ELb0ES3_mN6thrust23THRUST_200600_302600_NS6detail15normal_iteratorINSA_10device_ptrIdEEEEPS6_NSA_18transform_iteratorINSB_9not_fun_tI7is_trueIdEEENSC_INSD_IbEEEENSA_11use_defaultESO_EENS0_5tupleIJSF_S6_EEENSQ_IJSG_SG_EEES6_PlJS6_EEE10hipError_tPvRmT3_T4_T5_T6_T7_T9_mT8_P12ihipStream_tbDpT10_ENKUlT_T0_E_clISt17integral_constantIbLb1EES1D_EEDaS18_S19_EUlS18_E_NS1_11comp_targetILNS1_3genE4ELNS1_11target_archE910ELNS1_3gpuE8ELNS1_3repE0EEENS1_30default_config_static_selectorELNS0_4arch9wavefront6targetE0EEEvT1_.has_dyn_sized_stack, 0
	.set _ZN7rocprim17ROCPRIM_400000_NS6detail17trampoline_kernelINS0_14default_configENS1_25partition_config_selectorILNS1_17partition_subalgoE5EdNS0_10empty_typeEbEEZZNS1_14partition_implILS5_5ELb0ES3_mN6thrust23THRUST_200600_302600_NS6detail15normal_iteratorINSA_10device_ptrIdEEEEPS6_NSA_18transform_iteratorINSB_9not_fun_tI7is_trueIdEEENSC_INSD_IbEEEENSA_11use_defaultESO_EENS0_5tupleIJSF_S6_EEENSQ_IJSG_SG_EEES6_PlJS6_EEE10hipError_tPvRmT3_T4_T5_T6_T7_T9_mT8_P12ihipStream_tbDpT10_ENKUlT_T0_E_clISt17integral_constantIbLb1EES1D_EEDaS18_S19_EUlS18_E_NS1_11comp_targetILNS1_3genE4ELNS1_11target_archE910ELNS1_3gpuE8ELNS1_3repE0EEENS1_30default_config_static_selectorELNS0_4arch9wavefront6targetE0EEEvT1_.has_recursion, 0
	.set _ZN7rocprim17ROCPRIM_400000_NS6detail17trampoline_kernelINS0_14default_configENS1_25partition_config_selectorILNS1_17partition_subalgoE5EdNS0_10empty_typeEbEEZZNS1_14partition_implILS5_5ELb0ES3_mN6thrust23THRUST_200600_302600_NS6detail15normal_iteratorINSA_10device_ptrIdEEEEPS6_NSA_18transform_iteratorINSB_9not_fun_tI7is_trueIdEEENSC_INSD_IbEEEENSA_11use_defaultESO_EENS0_5tupleIJSF_S6_EEENSQ_IJSG_SG_EEES6_PlJS6_EEE10hipError_tPvRmT3_T4_T5_T6_T7_T9_mT8_P12ihipStream_tbDpT10_ENKUlT_T0_E_clISt17integral_constantIbLb1EES1D_EEDaS18_S19_EUlS18_E_NS1_11comp_targetILNS1_3genE4ELNS1_11target_archE910ELNS1_3gpuE8ELNS1_3repE0EEENS1_30default_config_static_selectorELNS0_4arch9wavefront6targetE0EEEvT1_.has_indirect_call, 0
	.section	.AMDGPU.csdata,"",@progbits
; Kernel info:
; codeLenInByte = 0
; TotalNumSgprs: 0
; NumVgprs: 0
; ScratchSize: 0
; MemoryBound: 0
; FloatMode: 240
; IeeeMode: 1
; LDSByteSize: 0 bytes/workgroup (compile time only)
; SGPRBlocks: 0
; VGPRBlocks: 0
; NumSGPRsForWavesPerEU: 1
; NumVGPRsForWavesPerEU: 1
; Occupancy: 16
; WaveLimiterHint : 0
; COMPUTE_PGM_RSRC2:SCRATCH_EN: 0
; COMPUTE_PGM_RSRC2:USER_SGPR: 2
; COMPUTE_PGM_RSRC2:TRAP_HANDLER: 0
; COMPUTE_PGM_RSRC2:TGID_X_EN: 1
; COMPUTE_PGM_RSRC2:TGID_Y_EN: 0
; COMPUTE_PGM_RSRC2:TGID_Z_EN: 0
; COMPUTE_PGM_RSRC2:TIDIG_COMP_CNT: 0
	.section	.text._ZN7rocprim17ROCPRIM_400000_NS6detail17trampoline_kernelINS0_14default_configENS1_25partition_config_selectorILNS1_17partition_subalgoE5EdNS0_10empty_typeEbEEZZNS1_14partition_implILS5_5ELb0ES3_mN6thrust23THRUST_200600_302600_NS6detail15normal_iteratorINSA_10device_ptrIdEEEEPS6_NSA_18transform_iteratorINSB_9not_fun_tI7is_trueIdEEENSC_INSD_IbEEEENSA_11use_defaultESO_EENS0_5tupleIJSF_S6_EEENSQ_IJSG_SG_EEES6_PlJS6_EEE10hipError_tPvRmT3_T4_T5_T6_T7_T9_mT8_P12ihipStream_tbDpT10_ENKUlT_T0_E_clISt17integral_constantIbLb1EES1D_EEDaS18_S19_EUlS18_E_NS1_11comp_targetILNS1_3genE3ELNS1_11target_archE908ELNS1_3gpuE7ELNS1_3repE0EEENS1_30default_config_static_selectorELNS0_4arch9wavefront6targetE0EEEvT1_,"axG",@progbits,_ZN7rocprim17ROCPRIM_400000_NS6detail17trampoline_kernelINS0_14default_configENS1_25partition_config_selectorILNS1_17partition_subalgoE5EdNS0_10empty_typeEbEEZZNS1_14partition_implILS5_5ELb0ES3_mN6thrust23THRUST_200600_302600_NS6detail15normal_iteratorINSA_10device_ptrIdEEEEPS6_NSA_18transform_iteratorINSB_9not_fun_tI7is_trueIdEEENSC_INSD_IbEEEENSA_11use_defaultESO_EENS0_5tupleIJSF_S6_EEENSQ_IJSG_SG_EEES6_PlJS6_EEE10hipError_tPvRmT3_T4_T5_T6_T7_T9_mT8_P12ihipStream_tbDpT10_ENKUlT_T0_E_clISt17integral_constantIbLb1EES1D_EEDaS18_S19_EUlS18_E_NS1_11comp_targetILNS1_3genE3ELNS1_11target_archE908ELNS1_3gpuE7ELNS1_3repE0EEENS1_30default_config_static_selectorELNS0_4arch9wavefront6targetE0EEEvT1_,comdat
	.protected	_ZN7rocprim17ROCPRIM_400000_NS6detail17trampoline_kernelINS0_14default_configENS1_25partition_config_selectorILNS1_17partition_subalgoE5EdNS0_10empty_typeEbEEZZNS1_14partition_implILS5_5ELb0ES3_mN6thrust23THRUST_200600_302600_NS6detail15normal_iteratorINSA_10device_ptrIdEEEEPS6_NSA_18transform_iteratorINSB_9not_fun_tI7is_trueIdEEENSC_INSD_IbEEEENSA_11use_defaultESO_EENS0_5tupleIJSF_S6_EEENSQ_IJSG_SG_EEES6_PlJS6_EEE10hipError_tPvRmT3_T4_T5_T6_T7_T9_mT8_P12ihipStream_tbDpT10_ENKUlT_T0_E_clISt17integral_constantIbLb1EES1D_EEDaS18_S19_EUlS18_E_NS1_11comp_targetILNS1_3genE3ELNS1_11target_archE908ELNS1_3gpuE7ELNS1_3repE0EEENS1_30default_config_static_selectorELNS0_4arch9wavefront6targetE0EEEvT1_ ; -- Begin function _ZN7rocprim17ROCPRIM_400000_NS6detail17trampoline_kernelINS0_14default_configENS1_25partition_config_selectorILNS1_17partition_subalgoE5EdNS0_10empty_typeEbEEZZNS1_14partition_implILS5_5ELb0ES3_mN6thrust23THRUST_200600_302600_NS6detail15normal_iteratorINSA_10device_ptrIdEEEEPS6_NSA_18transform_iteratorINSB_9not_fun_tI7is_trueIdEEENSC_INSD_IbEEEENSA_11use_defaultESO_EENS0_5tupleIJSF_S6_EEENSQ_IJSG_SG_EEES6_PlJS6_EEE10hipError_tPvRmT3_T4_T5_T6_T7_T9_mT8_P12ihipStream_tbDpT10_ENKUlT_T0_E_clISt17integral_constantIbLb1EES1D_EEDaS18_S19_EUlS18_E_NS1_11comp_targetILNS1_3genE3ELNS1_11target_archE908ELNS1_3gpuE7ELNS1_3repE0EEENS1_30default_config_static_selectorELNS0_4arch9wavefront6targetE0EEEvT1_
	.globl	_ZN7rocprim17ROCPRIM_400000_NS6detail17trampoline_kernelINS0_14default_configENS1_25partition_config_selectorILNS1_17partition_subalgoE5EdNS0_10empty_typeEbEEZZNS1_14partition_implILS5_5ELb0ES3_mN6thrust23THRUST_200600_302600_NS6detail15normal_iteratorINSA_10device_ptrIdEEEEPS6_NSA_18transform_iteratorINSB_9not_fun_tI7is_trueIdEEENSC_INSD_IbEEEENSA_11use_defaultESO_EENS0_5tupleIJSF_S6_EEENSQ_IJSG_SG_EEES6_PlJS6_EEE10hipError_tPvRmT3_T4_T5_T6_T7_T9_mT8_P12ihipStream_tbDpT10_ENKUlT_T0_E_clISt17integral_constantIbLb1EES1D_EEDaS18_S19_EUlS18_E_NS1_11comp_targetILNS1_3genE3ELNS1_11target_archE908ELNS1_3gpuE7ELNS1_3repE0EEENS1_30default_config_static_selectorELNS0_4arch9wavefront6targetE0EEEvT1_
	.p2align	8
	.type	_ZN7rocprim17ROCPRIM_400000_NS6detail17trampoline_kernelINS0_14default_configENS1_25partition_config_selectorILNS1_17partition_subalgoE5EdNS0_10empty_typeEbEEZZNS1_14partition_implILS5_5ELb0ES3_mN6thrust23THRUST_200600_302600_NS6detail15normal_iteratorINSA_10device_ptrIdEEEEPS6_NSA_18transform_iteratorINSB_9not_fun_tI7is_trueIdEEENSC_INSD_IbEEEENSA_11use_defaultESO_EENS0_5tupleIJSF_S6_EEENSQ_IJSG_SG_EEES6_PlJS6_EEE10hipError_tPvRmT3_T4_T5_T6_T7_T9_mT8_P12ihipStream_tbDpT10_ENKUlT_T0_E_clISt17integral_constantIbLb1EES1D_EEDaS18_S19_EUlS18_E_NS1_11comp_targetILNS1_3genE3ELNS1_11target_archE908ELNS1_3gpuE7ELNS1_3repE0EEENS1_30default_config_static_selectorELNS0_4arch9wavefront6targetE0EEEvT1_,@function
_ZN7rocprim17ROCPRIM_400000_NS6detail17trampoline_kernelINS0_14default_configENS1_25partition_config_selectorILNS1_17partition_subalgoE5EdNS0_10empty_typeEbEEZZNS1_14partition_implILS5_5ELb0ES3_mN6thrust23THRUST_200600_302600_NS6detail15normal_iteratorINSA_10device_ptrIdEEEEPS6_NSA_18transform_iteratorINSB_9not_fun_tI7is_trueIdEEENSC_INSD_IbEEEENSA_11use_defaultESO_EENS0_5tupleIJSF_S6_EEENSQ_IJSG_SG_EEES6_PlJS6_EEE10hipError_tPvRmT3_T4_T5_T6_T7_T9_mT8_P12ihipStream_tbDpT10_ENKUlT_T0_E_clISt17integral_constantIbLb1EES1D_EEDaS18_S19_EUlS18_E_NS1_11comp_targetILNS1_3genE3ELNS1_11target_archE908ELNS1_3gpuE7ELNS1_3repE0EEENS1_30default_config_static_selectorELNS0_4arch9wavefront6targetE0EEEvT1_: ; @_ZN7rocprim17ROCPRIM_400000_NS6detail17trampoline_kernelINS0_14default_configENS1_25partition_config_selectorILNS1_17partition_subalgoE5EdNS0_10empty_typeEbEEZZNS1_14partition_implILS5_5ELb0ES3_mN6thrust23THRUST_200600_302600_NS6detail15normal_iteratorINSA_10device_ptrIdEEEEPS6_NSA_18transform_iteratorINSB_9not_fun_tI7is_trueIdEEENSC_INSD_IbEEEENSA_11use_defaultESO_EENS0_5tupleIJSF_S6_EEENSQ_IJSG_SG_EEES6_PlJS6_EEE10hipError_tPvRmT3_T4_T5_T6_T7_T9_mT8_P12ihipStream_tbDpT10_ENKUlT_T0_E_clISt17integral_constantIbLb1EES1D_EEDaS18_S19_EUlS18_E_NS1_11comp_targetILNS1_3genE3ELNS1_11target_archE908ELNS1_3gpuE7ELNS1_3repE0EEENS1_30default_config_static_selectorELNS0_4arch9wavefront6targetE0EEEvT1_
; %bb.0:
	.section	.rodata,"a",@progbits
	.p2align	6, 0x0
	.amdhsa_kernel _ZN7rocprim17ROCPRIM_400000_NS6detail17trampoline_kernelINS0_14default_configENS1_25partition_config_selectorILNS1_17partition_subalgoE5EdNS0_10empty_typeEbEEZZNS1_14partition_implILS5_5ELb0ES3_mN6thrust23THRUST_200600_302600_NS6detail15normal_iteratorINSA_10device_ptrIdEEEEPS6_NSA_18transform_iteratorINSB_9not_fun_tI7is_trueIdEEENSC_INSD_IbEEEENSA_11use_defaultESO_EENS0_5tupleIJSF_S6_EEENSQ_IJSG_SG_EEES6_PlJS6_EEE10hipError_tPvRmT3_T4_T5_T6_T7_T9_mT8_P12ihipStream_tbDpT10_ENKUlT_T0_E_clISt17integral_constantIbLb1EES1D_EEDaS18_S19_EUlS18_E_NS1_11comp_targetILNS1_3genE3ELNS1_11target_archE908ELNS1_3gpuE7ELNS1_3repE0EEENS1_30default_config_static_selectorELNS0_4arch9wavefront6targetE0EEEvT1_
		.amdhsa_group_segment_fixed_size 0
		.amdhsa_private_segment_fixed_size 0
		.amdhsa_kernarg_size 136
		.amdhsa_user_sgpr_count 2
		.amdhsa_user_sgpr_dispatch_ptr 0
		.amdhsa_user_sgpr_queue_ptr 0
		.amdhsa_user_sgpr_kernarg_segment_ptr 1
		.amdhsa_user_sgpr_dispatch_id 0
		.amdhsa_user_sgpr_private_segment_size 0
		.amdhsa_wavefront_size32 1
		.amdhsa_uses_dynamic_stack 0
		.amdhsa_enable_private_segment 0
		.amdhsa_system_sgpr_workgroup_id_x 1
		.amdhsa_system_sgpr_workgroup_id_y 0
		.amdhsa_system_sgpr_workgroup_id_z 0
		.amdhsa_system_sgpr_workgroup_info 0
		.amdhsa_system_vgpr_workitem_id 0
		.amdhsa_next_free_vgpr 1
		.amdhsa_next_free_sgpr 1
		.amdhsa_reserve_vcc 0
		.amdhsa_float_round_mode_32 0
		.amdhsa_float_round_mode_16_64 0
		.amdhsa_float_denorm_mode_32 3
		.amdhsa_float_denorm_mode_16_64 3
		.amdhsa_fp16_overflow 0
		.amdhsa_workgroup_processor_mode 1
		.amdhsa_memory_ordered 1
		.amdhsa_forward_progress 1
		.amdhsa_inst_pref_size 0
		.amdhsa_round_robin_scheduling 0
		.amdhsa_exception_fp_ieee_invalid_op 0
		.amdhsa_exception_fp_denorm_src 0
		.amdhsa_exception_fp_ieee_div_zero 0
		.amdhsa_exception_fp_ieee_overflow 0
		.amdhsa_exception_fp_ieee_underflow 0
		.amdhsa_exception_fp_ieee_inexact 0
		.amdhsa_exception_int_div_zero 0
	.end_amdhsa_kernel
	.section	.text._ZN7rocprim17ROCPRIM_400000_NS6detail17trampoline_kernelINS0_14default_configENS1_25partition_config_selectorILNS1_17partition_subalgoE5EdNS0_10empty_typeEbEEZZNS1_14partition_implILS5_5ELb0ES3_mN6thrust23THRUST_200600_302600_NS6detail15normal_iteratorINSA_10device_ptrIdEEEEPS6_NSA_18transform_iteratorINSB_9not_fun_tI7is_trueIdEEENSC_INSD_IbEEEENSA_11use_defaultESO_EENS0_5tupleIJSF_S6_EEENSQ_IJSG_SG_EEES6_PlJS6_EEE10hipError_tPvRmT3_T4_T5_T6_T7_T9_mT8_P12ihipStream_tbDpT10_ENKUlT_T0_E_clISt17integral_constantIbLb1EES1D_EEDaS18_S19_EUlS18_E_NS1_11comp_targetILNS1_3genE3ELNS1_11target_archE908ELNS1_3gpuE7ELNS1_3repE0EEENS1_30default_config_static_selectorELNS0_4arch9wavefront6targetE0EEEvT1_,"axG",@progbits,_ZN7rocprim17ROCPRIM_400000_NS6detail17trampoline_kernelINS0_14default_configENS1_25partition_config_selectorILNS1_17partition_subalgoE5EdNS0_10empty_typeEbEEZZNS1_14partition_implILS5_5ELb0ES3_mN6thrust23THRUST_200600_302600_NS6detail15normal_iteratorINSA_10device_ptrIdEEEEPS6_NSA_18transform_iteratorINSB_9not_fun_tI7is_trueIdEEENSC_INSD_IbEEEENSA_11use_defaultESO_EENS0_5tupleIJSF_S6_EEENSQ_IJSG_SG_EEES6_PlJS6_EEE10hipError_tPvRmT3_T4_T5_T6_T7_T9_mT8_P12ihipStream_tbDpT10_ENKUlT_T0_E_clISt17integral_constantIbLb1EES1D_EEDaS18_S19_EUlS18_E_NS1_11comp_targetILNS1_3genE3ELNS1_11target_archE908ELNS1_3gpuE7ELNS1_3repE0EEENS1_30default_config_static_selectorELNS0_4arch9wavefront6targetE0EEEvT1_,comdat
.Lfunc_end2344:
	.size	_ZN7rocprim17ROCPRIM_400000_NS6detail17trampoline_kernelINS0_14default_configENS1_25partition_config_selectorILNS1_17partition_subalgoE5EdNS0_10empty_typeEbEEZZNS1_14partition_implILS5_5ELb0ES3_mN6thrust23THRUST_200600_302600_NS6detail15normal_iteratorINSA_10device_ptrIdEEEEPS6_NSA_18transform_iteratorINSB_9not_fun_tI7is_trueIdEEENSC_INSD_IbEEEENSA_11use_defaultESO_EENS0_5tupleIJSF_S6_EEENSQ_IJSG_SG_EEES6_PlJS6_EEE10hipError_tPvRmT3_T4_T5_T6_T7_T9_mT8_P12ihipStream_tbDpT10_ENKUlT_T0_E_clISt17integral_constantIbLb1EES1D_EEDaS18_S19_EUlS18_E_NS1_11comp_targetILNS1_3genE3ELNS1_11target_archE908ELNS1_3gpuE7ELNS1_3repE0EEENS1_30default_config_static_selectorELNS0_4arch9wavefront6targetE0EEEvT1_, .Lfunc_end2344-_ZN7rocprim17ROCPRIM_400000_NS6detail17trampoline_kernelINS0_14default_configENS1_25partition_config_selectorILNS1_17partition_subalgoE5EdNS0_10empty_typeEbEEZZNS1_14partition_implILS5_5ELb0ES3_mN6thrust23THRUST_200600_302600_NS6detail15normal_iteratorINSA_10device_ptrIdEEEEPS6_NSA_18transform_iteratorINSB_9not_fun_tI7is_trueIdEEENSC_INSD_IbEEEENSA_11use_defaultESO_EENS0_5tupleIJSF_S6_EEENSQ_IJSG_SG_EEES6_PlJS6_EEE10hipError_tPvRmT3_T4_T5_T6_T7_T9_mT8_P12ihipStream_tbDpT10_ENKUlT_T0_E_clISt17integral_constantIbLb1EES1D_EEDaS18_S19_EUlS18_E_NS1_11comp_targetILNS1_3genE3ELNS1_11target_archE908ELNS1_3gpuE7ELNS1_3repE0EEENS1_30default_config_static_selectorELNS0_4arch9wavefront6targetE0EEEvT1_
                                        ; -- End function
	.set _ZN7rocprim17ROCPRIM_400000_NS6detail17trampoline_kernelINS0_14default_configENS1_25partition_config_selectorILNS1_17partition_subalgoE5EdNS0_10empty_typeEbEEZZNS1_14partition_implILS5_5ELb0ES3_mN6thrust23THRUST_200600_302600_NS6detail15normal_iteratorINSA_10device_ptrIdEEEEPS6_NSA_18transform_iteratorINSB_9not_fun_tI7is_trueIdEEENSC_INSD_IbEEEENSA_11use_defaultESO_EENS0_5tupleIJSF_S6_EEENSQ_IJSG_SG_EEES6_PlJS6_EEE10hipError_tPvRmT3_T4_T5_T6_T7_T9_mT8_P12ihipStream_tbDpT10_ENKUlT_T0_E_clISt17integral_constantIbLb1EES1D_EEDaS18_S19_EUlS18_E_NS1_11comp_targetILNS1_3genE3ELNS1_11target_archE908ELNS1_3gpuE7ELNS1_3repE0EEENS1_30default_config_static_selectorELNS0_4arch9wavefront6targetE0EEEvT1_.num_vgpr, 0
	.set _ZN7rocprim17ROCPRIM_400000_NS6detail17trampoline_kernelINS0_14default_configENS1_25partition_config_selectorILNS1_17partition_subalgoE5EdNS0_10empty_typeEbEEZZNS1_14partition_implILS5_5ELb0ES3_mN6thrust23THRUST_200600_302600_NS6detail15normal_iteratorINSA_10device_ptrIdEEEEPS6_NSA_18transform_iteratorINSB_9not_fun_tI7is_trueIdEEENSC_INSD_IbEEEENSA_11use_defaultESO_EENS0_5tupleIJSF_S6_EEENSQ_IJSG_SG_EEES6_PlJS6_EEE10hipError_tPvRmT3_T4_T5_T6_T7_T9_mT8_P12ihipStream_tbDpT10_ENKUlT_T0_E_clISt17integral_constantIbLb1EES1D_EEDaS18_S19_EUlS18_E_NS1_11comp_targetILNS1_3genE3ELNS1_11target_archE908ELNS1_3gpuE7ELNS1_3repE0EEENS1_30default_config_static_selectorELNS0_4arch9wavefront6targetE0EEEvT1_.num_agpr, 0
	.set _ZN7rocprim17ROCPRIM_400000_NS6detail17trampoline_kernelINS0_14default_configENS1_25partition_config_selectorILNS1_17partition_subalgoE5EdNS0_10empty_typeEbEEZZNS1_14partition_implILS5_5ELb0ES3_mN6thrust23THRUST_200600_302600_NS6detail15normal_iteratorINSA_10device_ptrIdEEEEPS6_NSA_18transform_iteratorINSB_9not_fun_tI7is_trueIdEEENSC_INSD_IbEEEENSA_11use_defaultESO_EENS0_5tupleIJSF_S6_EEENSQ_IJSG_SG_EEES6_PlJS6_EEE10hipError_tPvRmT3_T4_T5_T6_T7_T9_mT8_P12ihipStream_tbDpT10_ENKUlT_T0_E_clISt17integral_constantIbLb1EES1D_EEDaS18_S19_EUlS18_E_NS1_11comp_targetILNS1_3genE3ELNS1_11target_archE908ELNS1_3gpuE7ELNS1_3repE0EEENS1_30default_config_static_selectorELNS0_4arch9wavefront6targetE0EEEvT1_.numbered_sgpr, 0
	.set _ZN7rocprim17ROCPRIM_400000_NS6detail17trampoline_kernelINS0_14default_configENS1_25partition_config_selectorILNS1_17partition_subalgoE5EdNS0_10empty_typeEbEEZZNS1_14partition_implILS5_5ELb0ES3_mN6thrust23THRUST_200600_302600_NS6detail15normal_iteratorINSA_10device_ptrIdEEEEPS6_NSA_18transform_iteratorINSB_9not_fun_tI7is_trueIdEEENSC_INSD_IbEEEENSA_11use_defaultESO_EENS0_5tupleIJSF_S6_EEENSQ_IJSG_SG_EEES6_PlJS6_EEE10hipError_tPvRmT3_T4_T5_T6_T7_T9_mT8_P12ihipStream_tbDpT10_ENKUlT_T0_E_clISt17integral_constantIbLb1EES1D_EEDaS18_S19_EUlS18_E_NS1_11comp_targetILNS1_3genE3ELNS1_11target_archE908ELNS1_3gpuE7ELNS1_3repE0EEENS1_30default_config_static_selectorELNS0_4arch9wavefront6targetE0EEEvT1_.num_named_barrier, 0
	.set _ZN7rocprim17ROCPRIM_400000_NS6detail17trampoline_kernelINS0_14default_configENS1_25partition_config_selectorILNS1_17partition_subalgoE5EdNS0_10empty_typeEbEEZZNS1_14partition_implILS5_5ELb0ES3_mN6thrust23THRUST_200600_302600_NS6detail15normal_iteratorINSA_10device_ptrIdEEEEPS6_NSA_18transform_iteratorINSB_9not_fun_tI7is_trueIdEEENSC_INSD_IbEEEENSA_11use_defaultESO_EENS0_5tupleIJSF_S6_EEENSQ_IJSG_SG_EEES6_PlJS6_EEE10hipError_tPvRmT3_T4_T5_T6_T7_T9_mT8_P12ihipStream_tbDpT10_ENKUlT_T0_E_clISt17integral_constantIbLb1EES1D_EEDaS18_S19_EUlS18_E_NS1_11comp_targetILNS1_3genE3ELNS1_11target_archE908ELNS1_3gpuE7ELNS1_3repE0EEENS1_30default_config_static_selectorELNS0_4arch9wavefront6targetE0EEEvT1_.private_seg_size, 0
	.set _ZN7rocprim17ROCPRIM_400000_NS6detail17trampoline_kernelINS0_14default_configENS1_25partition_config_selectorILNS1_17partition_subalgoE5EdNS0_10empty_typeEbEEZZNS1_14partition_implILS5_5ELb0ES3_mN6thrust23THRUST_200600_302600_NS6detail15normal_iteratorINSA_10device_ptrIdEEEEPS6_NSA_18transform_iteratorINSB_9not_fun_tI7is_trueIdEEENSC_INSD_IbEEEENSA_11use_defaultESO_EENS0_5tupleIJSF_S6_EEENSQ_IJSG_SG_EEES6_PlJS6_EEE10hipError_tPvRmT3_T4_T5_T6_T7_T9_mT8_P12ihipStream_tbDpT10_ENKUlT_T0_E_clISt17integral_constantIbLb1EES1D_EEDaS18_S19_EUlS18_E_NS1_11comp_targetILNS1_3genE3ELNS1_11target_archE908ELNS1_3gpuE7ELNS1_3repE0EEENS1_30default_config_static_selectorELNS0_4arch9wavefront6targetE0EEEvT1_.uses_vcc, 0
	.set _ZN7rocprim17ROCPRIM_400000_NS6detail17trampoline_kernelINS0_14default_configENS1_25partition_config_selectorILNS1_17partition_subalgoE5EdNS0_10empty_typeEbEEZZNS1_14partition_implILS5_5ELb0ES3_mN6thrust23THRUST_200600_302600_NS6detail15normal_iteratorINSA_10device_ptrIdEEEEPS6_NSA_18transform_iteratorINSB_9not_fun_tI7is_trueIdEEENSC_INSD_IbEEEENSA_11use_defaultESO_EENS0_5tupleIJSF_S6_EEENSQ_IJSG_SG_EEES6_PlJS6_EEE10hipError_tPvRmT3_T4_T5_T6_T7_T9_mT8_P12ihipStream_tbDpT10_ENKUlT_T0_E_clISt17integral_constantIbLb1EES1D_EEDaS18_S19_EUlS18_E_NS1_11comp_targetILNS1_3genE3ELNS1_11target_archE908ELNS1_3gpuE7ELNS1_3repE0EEENS1_30default_config_static_selectorELNS0_4arch9wavefront6targetE0EEEvT1_.uses_flat_scratch, 0
	.set _ZN7rocprim17ROCPRIM_400000_NS6detail17trampoline_kernelINS0_14default_configENS1_25partition_config_selectorILNS1_17partition_subalgoE5EdNS0_10empty_typeEbEEZZNS1_14partition_implILS5_5ELb0ES3_mN6thrust23THRUST_200600_302600_NS6detail15normal_iteratorINSA_10device_ptrIdEEEEPS6_NSA_18transform_iteratorINSB_9not_fun_tI7is_trueIdEEENSC_INSD_IbEEEENSA_11use_defaultESO_EENS0_5tupleIJSF_S6_EEENSQ_IJSG_SG_EEES6_PlJS6_EEE10hipError_tPvRmT3_T4_T5_T6_T7_T9_mT8_P12ihipStream_tbDpT10_ENKUlT_T0_E_clISt17integral_constantIbLb1EES1D_EEDaS18_S19_EUlS18_E_NS1_11comp_targetILNS1_3genE3ELNS1_11target_archE908ELNS1_3gpuE7ELNS1_3repE0EEENS1_30default_config_static_selectorELNS0_4arch9wavefront6targetE0EEEvT1_.has_dyn_sized_stack, 0
	.set _ZN7rocprim17ROCPRIM_400000_NS6detail17trampoline_kernelINS0_14default_configENS1_25partition_config_selectorILNS1_17partition_subalgoE5EdNS0_10empty_typeEbEEZZNS1_14partition_implILS5_5ELb0ES3_mN6thrust23THRUST_200600_302600_NS6detail15normal_iteratorINSA_10device_ptrIdEEEEPS6_NSA_18transform_iteratorINSB_9not_fun_tI7is_trueIdEEENSC_INSD_IbEEEENSA_11use_defaultESO_EENS0_5tupleIJSF_S6_EEENSQ_IJSG_SG_EEES6_PlJS6_EEE10hipError_tPvRmT3_T4_T5_T6_T7_T9_mT8_P12ihipStream_tbDpT10_ENKUlT_T0_E_clISt17integral_constantIbLb1EES1D_EEDaS18_S19_EUlS18_E_NS1_11comp_targetILNS1_3genE3ELNS1_11target_archE908ELNS1_3gpuE7ELNS1_3repE0EEENS1_30default_config_static_selectorELNS0_4arch9wavefront6targetE0EEEvT1_.has_recursion, 0
	.set _ZN7rocprim17ROCPRIM_400000_NS6detail17trampoline_kernelINS0_14default_configENS1_25partition_config_selectorILNS1_17partition_subalgoE5EdNS0_10empty_typeEbEEZZNS1_14partition_implILS5_5ELb0ES3_mN6thrust23THRUST_200600_302600_NS6detail15normal_iteratorINSA_10device_ptrIdEEEEPS6_NSA_18transform_iteratorINSB_9not_fun_tI7is_trueIdEEENSC_INSD_IbEEEENSA_11use_defaultESO_EENS0_5tupleIJSF_S6_EEENSQ_IJSG_SG_EEES6_PlJS6_EEE10hipError_tPvRmT3_T4_T5_T6_T7_T9_mT8_P12ihipStream_tbDpT10_ENKUlT_T0_E_clISt17integral_constantIbLb1EES1D_EEDaS18_S19_EUlS18_E_NS1_11comp_targetILNS1_3genE3ELNS1_11target_archE908ELNS1_3gpuE7ELNS1_3repE0EEENS1_30default_config_static_selectorELNS0_4arch9wavefront6targetE0EEEvT1_.has_indirect_call, 0
	.section	.AMDGPU.csdata,"",@progbits
; Kernel info:
; codeLenInByte = 0
; TotalNumSgprs: 0
; NumVgprs: 0
; ScratchSize: 0
; MemoryBound: 0
; FloatMode: 240
; IeeeMode: 1
; LDSByteSize: 0 bytes/workgroup (compile time only)
; SGPRBlocks: 0
; VGPRBlocks: 0
; NumSGPRsForWavesPerEU: 1
; NumVGPRsForWavesPerEU: 1
; Occupancy: 16
; WaveLimiterHint : 0
; COMPUTE_PGM_RSRC2:SCRATCH_EN: 0
; COMPUTE_PGM_RSRC2:USER_SGPR: 2
; COMPUTE_PGM_RSRC2:TRAP_HANDLER: 0
; COMPUTE_PGM_RSRC2:TGID_X_EN: 1
; COMPUTE_PGM_RSRC2:TGID_Y_EN: 0
; COMPUTE_PGM_RSRC2:TGID_Z_EN: 0
; COMPUTE_PGM_RSRC2:TIDIG_COMP_CNT: 0
	.section	.text._ZN7rocprim17ROCPRIM_400000_NS6detail17trampoline_kernelINS0_14default_configENS1_25partition_config_selectorILNS1_17partition_subalgoE5EdNS0_10empty_typeEbEEZZNS1_14partition_implILS5_5ELb0ES3_mN6thrust23THRUST_200600_302600_NS6detail15normal_iteratorINSA_10device_ptrIdEEEEPS6_NSA_18transform_iteratorINSB_9not_fun_tI7is_trueIdEEENSC_INSD_IbEEEENSA_11use_defaultESO_EENS0_5tupleIJSF_S6_EEENSQ_IJSG_SG_EEES6_PlJS6_EEE10hipError_tPvRmT3_T4_T5_T6_T7_T9_mT8_P12ihipStream_tbDpT10_ENKUlT_T0_E_clISt17integral_constantIbLb1EES1D_EEDaS18_S19_EUlS18_E_NS1_11comp_targetILNS1_3genE2ELNS1_11target_archE906ELNS1_3gpuE6ELNS1_3repE0EEENS1_30default_config_static_selectorELNS0_4arch9wavefront6targetE0EEEvT1_,"axG",@progbits,_ZN7rocprim17ROCPRIM_400000_NS6detail17trampoline_kernelINS0_14default_configENS1_25partition_config_selectorILNS1_17partition_subalgoE5EdNS0_10empty_typeEbEEZZNS1_14partition_implILS5_5ELb0ES3_mN6thrust23THRUST_200600_302600_NS6detail15normal_iteratorINSA_10device_ptrIdEEEEPS6_NSA_18transform_iteratorINSB_9not_fun_tI7is_trueIdEEENSC_INSD_IbEEEENSA_11use_defaultESO_EENS0_5tupleIJSF_S6_EEENSQ_IJSG_SG_EEES6_PlJS6_EEE10hipError_tPvRmT3_T4_T5_T6_T7_T9_mT8_P12ihipStream_tbDpT10_ENKUlT_T0_E_clISt17integral_constantIbLb1EES1D_EEDaS18_S19_EUlS18_E_NS1_11comp_targetILNS1_3genE2ELNS1_11target_archE906ELNS1_3gpuE6ELNS1_3repE0EEENS1_30default_config_static_selectorELNS0_4arch9wavefront6targetE0EEEvT1_,comdat
	.protected	_ZN7rocprim17ROCPRIM_400000_NS6detail17trampoline_kernelINS0_14default_configENS1_25partition_config_selectorILNS1_17partition_subalgoE5EdNS0_10empty_typeEbEEZZNS1_14partition_implILS5_5ELb0ES3_mN6thrust23THRUST_200600_302600_NS6detail15normal_iteratorINSA_10device_ptrIdEEEEPS6_NSA_18transform_iteratorINSB_9not_fun_tI7is_trueIdEEENSC_INSD_IbEEEENSA_11use_defaultESO_EENS0_5tupleIJSF_S6_EEENSQ_IJSG_SG_EEES6_PlJS6_EEE10hipError_tPvRmT3_T4_T5_T6_T7_T9_mT8_P12ihipStream_tbDpT10_ENKUlT_T0_E_clISt17integral_constantIbLb1EES1D_EEDaS18_S19_EUlS18_E_NS1_11comp_targetILNS1_3genE2ELNS1_11target_archE906ELNS1_3gpuE6ELNS1_3repE0EEENS1_30default_config_static_selectorELNS0_4arch9wavefront6targetE0EEEvT1_ ; -- Begin function _ZN7rocprim17ROCPRIM_400000_NS6detail17trampoline_kernelINS0_14default_configENS1_25partition_config_selectorILNS1_17partition_subalgoE5EdNS0_10empty_typeEbEEZZNS1_14partition_implILS5_5ELb0ES3_mN6thrust23THRUST_200600_302600_NS6detail15normal_iteratorINSA_10device_ptrIdEEEEPS6_NSA_18transform_iteratorINSB_9not_fun_tI7is_trueIdEEENSC_INSD_IbEEEENSA_11use_defaultESO_EENS0_5tupleIJSF_S6_EEENSQ_IJSG_SG_EEES6_PlJS6_EEE10hipError_tPvRmT3_T4_T5_T6_T7_T9_mT8_P12ihipStream_tbDpT10_ENKUlT_T0_E_clISt17integral_constantIbLb1EES1D_EEDaS18_S19_EUlS18_E_NS1_11comp_targetILNS1_3genE2ELNS1_11target_archE906ELNS1_3gpuE6ELNS1_3repE0EEENS1_30default_config_static_selectorELNS0_4arch9wavefront6targetE0EEEvT1_
	.globl	_ZN7rocprim17ROCPRIM_400000_NS6detail17trampoline_kernelINS0_14default_configENS1_25partition_config_selectorILNS1_17partition_subalgoE5EdNS0_10empty_typeEbEEZZNS1_14partition_implILS5_5ELb0ES3_mN6thrust23THRUST_200600_302600_NS6detail15normal_iteratorINSA_10device_ptrIdEEEEPS6_NSA_18transform_iteratorINSB_9not_fun_tI7is_trueIdEEENSC_INSD_IbEEEENSA_11use_defaultESO_EENS0_5tupleIJSF_S6_EEENSQ_IJSG_SG_EEES6_PlJS6_EEE10hipError_tPvRmT3_T4_T5_T6_T7_T9_mT8_P12ihipStream_tbDpT10_ENKUlT_T0_E_clISt17integral_constantIbLb1EES1D_EEDaS18_S19_EUlS18_E_NS1_11comp_targetILNS1_3genE2ELNS1_11target_archE906ELNS1_3gpuE6ELNS1_3repE0EEENS1_30default_config_static_selectorELNS0_4arch9wavefront6targetE0EEEvT1_
	.p2align	8
	.type	_ZN7rocprim17ROCPRIM_400000_NS6detail17trampoline_kernelINS0_14default_configENS1_25partition_config_selectorILNS1_17partition_subalgoE5EdNS0_10empty_typeEbEEZZNS1_14partition_implILS5_5ELb0ES3_mN6thrust23THRUST_200600_302600_NS6detail15normal_iteratorINSA_10device_ptrIdEEEEPS6_NSA_18transform_iteratorINSB_9not_fun_tI7is_trueIdEEENSC_INSD_IbEEEENSA_11use_defaultESO_EENS0_5tupleIJSF_S6_EEENSQ_IJSG_SG_EEES6_PlJS6_EEE10hipError_tPvRmT3_T4_T5_T6_T7_T9_mT8_P12ihipStream_tbDpT10_ENKUlT_T0_E_clISt17integral_constantIbLb1EES1D_EEDaS18_S19_EUlS18_E_NS1_11comp_targetILNS1_3genE2ELNS1_11target_archE906ELNS1_3gpuE6ELNS1_3repE0EEENS1_30default_config_static_selectorELNS0_4arch9wavefront6targetE0EEEvT1_,@function
_ZN7rocprim17ROCPRIM_400000_NS6detail17trampoline_kernelINS0_14default_configENS1_25partition_config_selectorILNS1_17partition_subalgoE5EdNS0_10empty_typeEbEEZZNS1_14partition_implILS5_5ELb0ES3_mN6thrust23THRUST_200600_302600_NS6detail15normal_iteratorINSA_10device_ptrIdEEEEPS6_NSA_18transform_iteratorINSB_9not_fun_tI7is_trueIdEEENSC_INSD_IbEEEENSA_11use_defaultESO_EENS0_5tupleIJSF_S6_EEENSQ_IJSG_SG_EEES6_PlJS6_EEE10hipError_tPvRmT3_T4_T5_T6_T7_T9_mT8_P12ihipStream_tbDpT10_ENKUlT_T0_E_clISt17integral_constantIbLb1EES1D_EEDaS18_S19_EUlS18_E_NS1_11comp_targetILNS1_3genE2ELNS1_11target_archE906ELNS1_3gpuE6ELNS1_3repE0EEENS1_30default_config_static_selectorELNS0_4arch9wavefront6targetE0EEEvT1_: ; @_ZN7rocprim17ROCPRIM_400000_NS6detail17trampoline_kernelINS0_14default_configENS1_25partition_config_selectorILNS1_17partition_subalgoE5EdNS0_10empty_typeEbEEZZNS1_14partition_implILS5_5ELb0ES3_mN6thrust23THRUST_200600_302600_NS6detail15normal_iteratorINSA_10device_ptrIdEEEEPS6_NSA_18transform_iteratorINSB_9not_fun_tI7is_trueIdEEENSC_INSD_IbEEEENSA_11use_defaultESO_EENS0_5tupleIJSF_S6_EEENSQ_IJSG_SG_EEES6_PlJS6_EEE10hipError_tPvRmT3_T4_T5_T6_T7_T9_mT8_P12ihipStream_tbDpT10_ENKUlT_T0_E_clISt17integral_constantIbLb1EES1D_EEDaS18_S19_EUlS18_E_NS1_11comp_targetILNS1_3genE2ELNS1_11target_archE906ELNS1_3gpuE6ELNS1_3repE0EEENS1_30default_config_static_selectorELNS0_4arch9wavefront6targetE0EEEvT1_
; %bb.0:
	.section	.rodata,"a",@progbits
	.p2align	6, 0x0
	.amdhsa_kernel _ZN7rocprim17ROCPRIM_400000_NS6detail17trampoline_kernelINS0_14default_configENS1_25partition_config_selectorILNS1_17partition_subalgoE5EdNS0_10empty_typeEbEEZZNS1_14partition_implILS5_5ELb0ES3_mN6thrust23THRUST_200600_302600_NS6detail15normal_iteratorINSA_10device_ptrIdEEEEPS6_NSA_18transform_iteratorINSB_9not_fun_tI7is_trueIdEEENSC_INSD_IbEEEENSA_11use_defaultESO_EENS0_5tupleIJSF_S6_EEENSQ_IJSG_SG_EEES6_PlJS6_EEE10hipError_tPvRmT3_T4_T5_T6_T7_T9_mT8_P12ihipStream_tbDpT10_ENKUlT_T0_E_clISt17integral_constantIbLb1EES1D_EEDaS18_S19_EUlS18_E_NS1_11comp_targetILNS1_3genE2ELNS1_11target_archE906ELNS1_3gpuE6ELNS1_3repE0EEENS1_30default_config_static_selectorELNS0_4arch9wavefront6targetE0EEEvT1_
		.amdhsa_group_segment_fixed_size 0
		.amdhsa_private_segment_fixed_size 0
		.amdhsa_kernarg_size 136
		.amdhsa_user_sgpr_count 2
		.amdhsa_user_sgpr_dispatch_ptr 0
		.amdhsa_user_sgpr_queue_ptr 0
		.amdhsa_user_sgpr_kernarg_segment_ptr 1
		.amdhsa_user_sgpr_dispatch_id 0
		.amdhsa_user_sgpr_private_segment_size 0
		.amdhsa_wavefront_size32 1
		.amdhsa_uses_dynamic_stack 0
		.amdhsa_enable_private_segment 0
		.amdhsa_system_sgpr_workgroup_id_x 1
		.amdhsa_system_sgpr_workgroup_id_y 0
		.amdhsa_system_sgpr_workgroup_id_z 0
		.amdhsa_system_sgpr_workgroup_info 0
		.amdhsa_system_vgpr_workitem_id 0
		.amdhsa_next_free_vgpr 1
		.amdhsa_next_free_sgpr 1
		.amdhsa_reserve_vcc 0
		.amdhsa_float_round_mode_32 0
		.amdhsa_float_round_mode_16_64 0
		.amdhsa_float_denorm_mode_32 3
		.amdhsa_float_denorm_mode_16_64 3
		.amdhsa_fp16_overflow 0
		.amdhsa_workgroup_processor_mode 1
		.amdhsa_memory_ordered 1
		.amdhsa_forward_progress 1
		.amdhsa_inst_pref_size 0
		.amdhsa_round_robin_scheduling 0
		.amdhsa_exception_fp_ieee_invalid_op 0
		.amdhsa_exception_fp_denorm_src 0
		.amdhsa_exception_fp_ieee_div_zero 0
		.amdhsa_exception_fp_ieee_overflow 0
		.amdhsa_exception_fp_ieee_underflow 0
		.amdhsa_exception_fp_ieee_inexact 0
		.amdhsa_exception_int_div_zero 0
	.end_amdhsa_kernel
	.section	.text._ZN7rocprim17ROCPRIM_400000_NS6detail17trampoline_kernelINS0_14default_configENS1_25partition_config_selectorILNS1_17partition_subalgoE5EdNS0_10empty_typeEbEEZZNS1_14partition_implILS5_5ELb0ES3_mN6thrust23THRUST_200600_302600_NS6detail15normal_iteratorINSA_10device_ptrIdEEEEPS6_NSA_18transform_iteratorINSB_9not_fun_tI7is_trueIdEEENSC_INSD_IbEEEENSA_11use_defaultESO_EENS0_5tupleIJSF_S6_EEENSQ_IJSG_SG_EEES6_PlJS6_EEE10hipError_tPvRmT3_T4_T5_T6_T7_T9_mT8_P12ihipStream_tbDpT10_ENKUlT_T0_E_clISt17integral_constantIbLb1EES1D_EEDaS18_S19_EUlS18_E_NS1_11comp_targetILNS1_3genE2ELNS1_11target_archE906ELNS1_3gpuE6ELNS1_3repE0EEENS1_30default_config_static_selectorELNS0_4arch9wavefront6targetE0EEEvT1_,"axG",@progbits,_ZN7rocprim17ROCPRIM_400000_NS6detail17trampoline_kernelINS0_14default_configENS1_25partition_config_selectorILNS1_17partition_subalgoE5EdNS0_10empty_typeEbEEZZNS1_14partition_implILS5_5ELb0ES3_mN6thrust23THRUST_200600_302600_NS6detail15normal_iteratorINSA_10device_ptrIdEEEEPS6_NSA_18transform_iteratorINSB_9not_fun_tI7is_trueIdEEENSC_INSD_IbEEEENSA_11use_defaultESO_EENS0_5tupleIJSF_S6_EEENSQ_IJSG_SG_EEES6_PlJS6_EEE10hipError_tPvRmT3_T4_T5_T6_T7_T9_mT8_P12ihipStream_tbDpT10_ENKUlT_T0_E_clISt17integral_constantIbLb1EES1D_EEDaS18_S19_EUlS18_E_NS1_11comp_targetILNS1_3genE2ELNS1_11target_archE906ELNS1_3gpuE6ELNS1_3repE0EEENS1_30default_config_static_selectorELNS0_4arch9wavefront6targetE0EEEvT1_,comdat
.Lfunc_end2345:
	.size	_ZN7rocprim17ROCPRIM_400000_NS6detail17trampoline_kernelINS0_14default_configENS1_25partition_config_selectorILNS1_17partition_subalgoE5EdNS0_10empty_typeEbEEZZNS1_14partition_implILS5_5ELb0ES3_mN6thrust23THRUST_200600_302600_NS6detail15normal_iteratorINSA_10device_ptrIdEEEEPS6_NSA_18transform_iteratorINSB_9not_fun_tI7is_trueIdEEENSC_INSD_IbEEEENSA_11use_defaultESO_EENS0_5tupleIJSF_S6_EEENSQ_IJSG_SG_EEES6_PlJS6_EEE10hipError_tPvRmT3_T4_T5_T6_T7_T9_mT8_P12ihipStream_tbDpT10_ENKUlT_T0_E_clISt17integral_constantIbLb1EES1D_EEDaS18_S19_EUlS18_E_NS1_11comp_targetILNS1_3genE2ELNS1_11target_archE906ELNS1_3gpuE6ELNS1_3repE0EEENS1_30default_config_static_selectorELNS0_4arch9wavefront6targetE0EEEvT1_, .Lfunc_end2345-_ZN7rocprim17ROCPRIM_400000_NS6detail17trampoline_kernelINS0_14default_configENS1_25partition_config_selectorILNS1_17partition_subalgoE5EdNS0_10empty_typeEbEEZZNS1_14partition_implILS5_5ELb0ES3_mN6thrust23THRUST_200600_302600_NS6detail15normal_iteratorINSA_10device_ptrIdEEEEPS6_NSA_18transform_iteratorINSB_9not_fun_tI7is_trueIdEEENSC_INSD_IbEEEENSA_11use_defaultESO_EENS0_5tupleIJSF_S6_EEENSQ_IJSG_SG_EEES6_PlJS6_EEE10hipError_tPvRmT3_T4_T5_T6_T7_T9_mT8_P12ihipStream_tbDpT10_ENKUlT_T0_E_clISt17integral_constantIbLb1EES1D_EEDaS18_S19_EUlS18_E_NS1_11comp_targetILNS1_3genE2ELNS1_11target_archE906ELNS1_3gpuE6ELNS1_3repE0EEENS1_30default_config_static_selectorELNS0_4arch9wavefront6targetE0EEEvT1_
                                        ; -- End function
	.set _ZN7rocprim17ROCPRIM_400000_NS6detail17trampoline_kernelINS0_14default_configENS1_25partition_config_selectorILNS1_17partition_subalgoE5EdNS0_10empty_typeEbEEZZNS1_14partition_implILS5_5ELb0ES3_mN6thrust23THRUST_200600_302600_NS6detail15normal_iteratorINSA_10device_ptrIdEEEEPS6_NSA_18transform_iteratorINSB_9not_fun_tI7is_trueIdEEENSC_INSD_IbEEEENSA_11use_defaultESO_EENS0_5tupleIJSF_S6_EEENSQ_IJSG_SG_EEES6_PlJS6_EEE10hipError_tPvRmT3_T4_T5_T6_T7_T9_mT8_P12ihipStream_tbDpT10_ENKUlT_T0_E_clISt17integral_constantIbLb1EES1D_EEDaS18_S19_EUlS18_E_NS1_11comp_targetILNS1_3genE2ELNS1_11target_archE906ELNS1_3gpuE6ELNS1_3repE0EEENS1_30default_config_static_selectorELNS0_4arch9wavefront6targetE0EEEvT1_.num_vgpr, 0
	.set _ZN7rocprim17ROCPRIM_400000_NS6detail17trampoline_kernelINS0_14default_configENS1_25partition_config_selectorILNS1_17partition_subalgoE5EdNS0_10empty_typeEbEEZZNS1_14partition_implILS5_5ELb0ES3_mN6thrust23THRUST_200600_302600_NS6detail15normal_iteratorINSA_10device_ptrIdEEEEPS6_NSA_18transform_iteratorINSB_9not_fun_tI7is_trueIdEEENSC_INSD_IbEEEENSA_11use_defaultESO_EENS0_5tupleIJSF_S6_EEENSQ_IJSG_SG_EEES6_PlJS6_EEE10hipError_tPvRmT3_T4_T5_T6_T7_T9_mT8_P12ihipStream_tbDpT10_ENKUlT_T0_E_clISt17integral_constantIbLb1EES1D_EEDaS18_S19_EUlS18_E_NS1_11comp_targetILNS1_3genE2ELNS1_11target_archE906ELNS1_3gpuE6ELNS1_3repE0EEENS1_30default_config_static_selectorELNS0_4arch9wavefront6targetE0EEEvT1_.num_agpr, 0
	.set _ZN7rocprim17ROCPRIM_400000_NS6detail17trampoline_kernelINS0_14default_configENS1_25partition_config_selectorILNS1_17partition_subalgoE5EdNS0_10empty_typeEbEEZZNS1_14partition_implILS5_5ELb0ES3_mN6thrust23THRUST_200600_302600_NS6detail15normal_iteratorINSA_10device_ptrIdEEEEPS6_NSA_18transform_iteratorINSB_9not_fun_tI7is_trueIdEEENSC_INSD_IbEEEENSA_11use_defaultESO_EENS0_5tupleIJSF_S6_EEENSQ_IJSG_SG_EEES6_PlJS6_EEE10hipError_tPvRmT3_T4_T5_T6_T7_T9_mT8_P12ihipStream_tbDpT10_ENKUlT_T0_E_clISt17integral_constantIbLb1EES1D_EEDaS18_S19_EUlS18_E_NS1_11comp_targetILNS1_3genE2ELNS1_11target_archE906ELNS1_3gpuE6ELNS1_3repE0EEENS1_30default_config_static_selectorELNS0_4arch9wavefront6targetE0EEEvT1_.numbered_sgpr, 0
	.set _ZN7rocprim17ROCPRIM_400000_NS6detail17trampoline_kernelINS0_14default_configENS1_25partition_config_selectorILNS1_17partition_subalgoE5EdNS0_10empty_typeEbEEZZNS1_14partition_implILS5_5ELb0ES3_mN6thrust23THRUST_200600_302600_NS6detail15normal_iteratorINSA_10device_ptrIdEEEEPS6_NSA_18transform_iteratorINSB_9not_fun_tI7is_trueIdEEENSC_INSD_IbEEEENSA_11use_defaultESO_EENS0_5tupleIJSF_S6_EEENSQ_IJSG_SG_EEES6_PlJS6_EEE10hipError_tPvRmT3_T4_T5_T6_T7_T9_mT8_P12ihipStream_tbDpT10_ENKUlT_T0_E_clISt17integral_constantIbLb1EES1D_EEDaS18_S19_EUlS18_E_NS1_11comp_targetILNS1_3genE2ELNS1_11target_archE906ELNS1_3gpuE6ELNS1_3repE0EEENS1_30default_config_static_selectorELNS0_4arch9wavefront6targetE0EEEvT1_.num_named_barrier, 0
	.set _ZN7rocprim17ROCPRIM_400000_NS6detail17trampoline_kernelINS0_14default_configENS1_25partition_config_selectorILNS1_17partition_subalgoE5EdNS0_10empty_typeEbEEZZNS1_14partition_implILS5_5ELb0ES3_mN6thrust23THRUST_200600_302600_NS6detail15normal_iteratorINSA_10device_ptrIdEEEEPS6_NSA_18transform_iteratorINSB_9not_fun_tI7is_trueIdEEENSC_INSD_IbEEEENSA_11use_defaultESO_EENS0_5tupleIJSF_S6_EEENSQ_IJSG_SG_EEES6_PlJS6_EEE10hipError_tPvRmT3_T4_T5_T6_T7_T9_mT8_P12ihipStream_tbDpT10_ENKUlT_T0_E_clISt17integral_constantIbLb1EES1D_EEDaS18_S19_EUlS18_E_NS1_11comp_targetILNS1_3genE2ELNS1_11target_archE906ELNS1_3gpuE6ELNS1_3repE0EEENS1_30default_config_static_selectorELNS0_4arch9wavefront6targetE0EEEvT1_.private_seg_size, 0
	.set _ZN7rocprim17ROCPRIM_400000_NS6detail17trampoline_kernelINS0_14default_configENS1_25partition_config_selectorILNS1_17partition_subalgoE5EdNS0_10empty_typeEbEEZZNS1_14partition_implILS5_5ELb0ES3_mN6thrust23THRUST_200600_302600_NS6detail15normal_iteratorINSA_10device_ptrIdEEEEPS6_NSA_18transform_iteratorINSB_9not_fun_tI7is_trueIdEEENSC_INSD_IbEEEENSA_11use_defaultESO_EENS0_5tupleIJSF_S6_EEENSQ_IJSG_SG_EEES6_PlJS6_EEE10hipError_tPvRmT3_T4_T5_T6_T7_T9_mT8_P12ihipStream_tbDpT10_ENKUlT_T0_E_clISt17integral_constantIbLb1EES1D_EEDaS18_S19_EUlS18_E_NS1_11comp_targetILNS1_3genE2ELNS1_11target_archE906ELNS1_3gpuE6ELNS1_3repE0EEENS1_30default_config_static_selectorELNS0_4arch9wavefront6targetE0EEEvT1_.uses_vcc, 0
	.set _ZN7rocprim17ROCPRIM_400000_NS6detail17trampoline_kernelINS0_14default_configENS1_25partition_config_selectorILNS1_17partition_subalgoE5EdNS0_10empty_typeEbEEZZNS1_14partition_implILS5_5ELb0ES3_mN6thrust23THRUST_200600_302600_NS6detail15normal_iteratorINSA_10device_ptrIdEEEEPS6_NSA_18transform_iteratorINSB_9not_fun_tI7is_trueIdEEENSC_INSD_IbEEEENSA_11use_defaultESO_EENS0_5tupleIJSF_S6_EEENSQ_IJSG_SG_EEES6_PlJS6_EEE10hipError_tPvRmT3_T4_T5_T6_T7_T9_mT8_P12ihipStream_tbDpT10_ENKUlT_T0_E_clISt17integral_constantIbLb1EES1D_EEDaS18_S19_EUlS18_E_NS1_11comp_targetILNS1_3genE2ELNS1_11target_archE906ELNS1_3gpuE6ELNS1_3repE0EEENS1_30default_config_static_selectorELNS0_4arch9wavefront6targetE0EEEvT1_.uses_flat_scratch, 0
	.set _ZN7rocprim17ROCPRIM_400000_NS6detail17trampoline_kernelINS0_14default_configENS1_25partition_config_selectorILNS1_17partition_subalgoE5EdNS0_10empty_typeEbEEZZNS1_14partition_implILS5_5ELb0ES3_mN6thrust23THRUST_200600_302600_NS6detail15normal_iteratorINSA_10device_ptrIdEEEEPS6_NSA_18transform_iteratorINSB_9not_fun_tI7is_trueIdEEENSC_INSD_IbEEEENSA_11use_defaultESO_EENS0_5tupleIJSF_S6_EEENSQ_IJSG_SG_EEES6_PlJS6_EEE10hipError_tPvRmT3_T4_T5_T6_T7_T9_mT8_P12ihipStream_tbDpT10_ENKUlT_T0_E_clISt17integral_constantIbLb1EES1D_EEDaS18_S19_EUlS18_E_NS1_11comp_targetILNS1_3genE2ELNS1_11target_archE906ELNS1_3gpuE6ELNS1_3repE0EEENS1_30default_config_static_selectorELNS0_4arch9wavefront6targetE0EEEvT1_.has_dyn_sized_stack, 0
	.set _ZN7rocprim17ROCPRIM_400000_NS6detail17trampoline_kernelINS0_14default_configENS1_25partition_config_selectorILNS1_17partition_subalgoE5EdNS0_10empty_typeEbEEZZNS1_14partition_implILS5_5ELb0ES3_mN6thrust23THRUST_200600_302600_NS6detail15normal_iteratorINSA_10device_ptrIdEEEEPS6_NSA_18transform_iteratorINSB_9not_fun_tI7is_trueIdEEENSC_INSD_IbEEEENSA_11use_defaultESO_EENS0_5tupleIJSF_S6_EEENSQ_IJSG_SG_EEES6_PlJS6_EEE10hipError_tPvRmT3_T4_T5_T6_T7_T9_mT8_P12ihipStream_tbDpT10_ENKUlT_T0_E_clISt17integral_constantIbLb1EES1D_EEDaS18_S19_EUlS18_E_NS1_11comp_targetILNS1_3genE2ELNS1_11target_archE906ELNS1_3gpuE6ELNS1_3repE0EEENS1_30default_config_static_selectorELNS0_4arch9wavefront6targetE0EEEvT1_.has_recursion, 0
	.set _ZN7rocprim17ROCPRIM_400000_NS6detail17trampoline_kernelINS0_14default_configENS1_25partition_config_selectorILNS1_17partition_subalgoE5EdNS0_10empty_typeEbEEZZNS1_14partition_implILS5_5ELb0ES3_mN6thrust23THRUST_200600_302600_NS6detail15normal_iteratorINSA_10device_ptrIdEEEEPS6_NSA_18transform_iteratorINSB_9not_fun_tI7is_trueIdEEENSC_INSD_IbEEEENSA_11use_defaultESO_EENS0_5tupleIJSF_S6_EEENSQ_IJSG_SG_EEES6_PlJS6_EEE10hipError_tPvRmT3_T4_T5_T6_T7_T9_mT8_P12ihipStream_tbDpT10_ENKUlT_T0_E_clISt17integral_constantIbLb1EES1D_EEDaS18_S19_EUlS18_E_NS1_11comp_targetILNS1_3genE2ELNS1_11target_archE906ELNS1_3gpuE6ELNS1_3repE0EEENS1_30default_config_static_selectorELNS0_4arch9wavefront6targetE0EEEvT1_.has_indirect_call, 0
	.section	.AMDGPU.csdata,"",@progbits
; Kernel info:
; codeLenInByte = 0
; TotalNumSgprs: 0
; NumVgprs: 0
; ScratchSize: 0
; MemoryBound: 0
; FloatMode: 240
; IeeeMode: 1
; LDSByteSize: 0 bytes/workgroup (compile time only)
; SGPRBlocks: 0
; VGPRBlocks: 0
; NumSGPRsForWavesPerEU: 1
; NumVGPRsForWavesPerEU: 1
; Occupancy: 16
; WaveLimiterHint : 0
; COMPUTE_PGM_RSRC2:SCRATCH_EN: 0
; COMPUTE_PGM_RSRC2:USER_SGPR: 2
; COMPUTE_PGM_RSRC2:TRAP_HANDLER: 0
; COMPUTE_PGM_RSRC2:TGID_X_EN: 1
; COMPUTE_PGM_RSRC2:TGID_Y_EN: 0
; COMPUTE_PGM_RSRC2:TGID_Z_EN: 0
; COMPUTE_PGM_RSRC2:TIDIG_COMP_CNT: 0
	.section	.text._ZN7rocprim17ROCPRIM_400000_NS6detail17trampoline_kernelINS0_14default_configENS1_25partition_config_selectorILNS1_17partition_subalgoE5EdNS0_10empty_typeEbEEZZNS1_14partition_implILS5_5ELb0ES3_mN6thrust23THRUST_200600_302600_NS6detail15normal_iteratorINSA_10device_ptrIdEEEEPS6_NSA_18transform_iteratorINSB_9not_fun_tI7is_trueIdEEENSC_INSD_IbEEEENSA_11use_defaultESO_EENS0_5tupleIJSF_S6_EEENSQ_IJSG_SG_EEES6_PlJS6_EEE10hipError_tPvRmT3_T4_T5_T6_T7_T9_mT8_P12ihipStream_tbDpT10_ENKUlT_T0_E_clISt17integral_constantIbLb1EES1D_EEDaS18_S19_EUlS18_E_NS1_11comp_targetILNS1_3genE10ELNS1_11target_archE1200ELNS1_3gpuE4ELNS1_3repE0EEENS1_30default_config_static_selectorELNS0_4arch9wavefront6targetE0EEEvT1_,"axG",@progbits,_ZN7rocprim17ROCPRIM_400000_NS6detail17trampoline_kernelINS0_14default_configENS1_25partition_config_selectorILNS1_17partition_subalgoE5EdNS0_10empty_typeEbEEZZNS1_14partition_implILS5_5ELb0ES3_mN6thrust23THRUST_200600_302600_NS6detail15normal_iteratorINSA_10device_ptrIdEEEEPS6_NSA_18transform_iteratorINSB_9not_fun_tI7is_trueIdEEENSC_INSD_IbEEEENSA_11use_defaultESO_EENS0_5tupleIJSF_S6_EEENSQ_IJSG_SG_EEES6_PlJS6_EEE10hipError_tPvRmT3_T4_T5_T6_T7_T9_mT8_P12ihipStream_tbDpT10_ENKUlT_T0_E_clISt17integral_constantIbLb1EES1D_EEDaS18_S19_EUlS18_E_NS1_11comp_targetILNS1_3genE10ELNS1_11target_archE1200ELNS1_3gpuE4ELNS1_3repE0EEENS1_30default_config_static_selectorELNS0_4arch9wavefront6targetE0EEEvT1_,comdat
	.protected	_ZN7rocprim17ROCPRIM_400000_NS6detail17trampoline_kernelINS0_14default_configENS1_25partition_config_selectorILNS1_17partition_subalgoE5EdNS0_10empty_typeEbEEZZNS1_14partition_implILS5_5ELb0ES3_mN6thrust23THRUST_200600_302600_NS6detail15normal_iteratorINSA_10device_ptrIdEEEEPS6_NSA_18transform_iteratorINSB_9not_fun_tI7is_trueIdEEENSC_INSD_IbEEEENSA_11use_defaultESO_EENS0_5tupleIJSF_S6_EEENSQ_IJSG_SG_EEES6_PlJS6_EEE10hipError_tPvRmT3_T4_T5_T6_T7_T9_mT8_P12ihipStream_tbDpT10_ENKUlT_T0_E_clISt17integral_constantIbLb1EES1D_EEDaS18_S19_EUlS18_E_NS1_11comp_targetILNS1_3genE10ELNS1_11target_archE1200ELNS1_3gpuE4ELNS1_3repE0EEENS1_30default_config_static_selectorELNS0_4arch9wavefront6targetE0EEEvT1_ ; -- Begin function _ZN7rocprim17ROCPRIM_400000_NS6detail17trampoline_kernelINS0_14default_configENS1_25partition_config_selectorILNS1_17partition_subalgoE5EdNS0_10empty_typeEbEEZZNS1_14partition_implILS5_5ELb0ES3_mN6thrust23THRUST_200600_302600_NS6detail15normal_iteratorINSA_10device_ptrIdEEEEPS6_NSA_18transform_iteratorINSB_9not_fun_tI7is_trueIdEEENSC_INSD_IbEEEENSA_11use_defaultESO_EENS0_5tupleIJSF_S6_EEENSQ_IJSG_SG_EEES6_PlJS6_EEE10hipError_tPvRmT3_T4_T5_T6_T7_T9_mT8_P12ihipStream_tbDpT10_ENKUlT_T0_E_clISt17integral_constantIbLb1EES1D_EEDaS18_S19_EUlS18_E_NS1_11comp_targetILNS1_3genE10ELNS1_11target_archE1200ELNS1_3gpuE4ELNS1_3repE0EEENS1_30default_config_static_selectorELNS0_4arch9wavefront6targetE0EEEvT1_
	.globl	_ZN7rocprim17ROCPRIM_400000_NS6detail17trampoline_kernelINS0_14default_configENS1_25partition_config_selectorILNS1_17partition_subalgoE5EdNS0_10empty_typeEbEEZZNS1_14partition_implILS5_5ELb0ES3_mN6thrust23THRUST_200600_302600_NS6detail15normal_iteratorINSA_10device_ptrIdEEEEPS6_NSA_18transform_iteratorINSB_9not_fun_tI7is_trueIdEEENSC_INSD_IbEEEENSA_11use_defaultESO_EENS0_5tupleIJSF_S6_EEENSQ_IJSG_SG_EEES6_PlJS6_EEE10hipError_tPvRmT3_T4_T5_T6_T7_T9_mT8_P12ihipStream_tbDpT10_ENKUlT_T0_E_clISt17integral_constantIbLb1EES1D_EEDaS18_S19_EUlS18_E_NS1_11comp_targetILNS1_3genE10ELNS1_11target_archE1200ELNS1_3gpuE4ELNS1_3repE0EEENS1_30default_config_static_selectorELNS0_4arch9wavefront6targetE0EEEvT1_
	.p2align	8
	.type	_ZN7rocprim17ROCPRIM_400000_NS6detail17trampoline_kernelINS0_14default_configENS1_25partition_config_selectorILNS1_17partition_subalgoE5EdNS0_10empty_typeEbEEZZNS1_14partition_implILS5_5ELb0ES3_mN6thrust23THRUST_200600_302600_NS6detail15normal_iteratorINSA_10device_ptrIdEEEEPS6_NSA_18transform_iteratorINSB_9not_fun_tI7is_trueIdEEENSC_INSD_IbEEEENSA_11use_defaultESO_EENS0_5tupleIJSF_S6_EEENSQ_IJSG_SG_EEES6_PlJS6_EEE10hipError_tPvRmT3_T4_T5_T6_T7_T9_mT8_P12ihipStream_tbDpT10_ENKUlT_T0_E_clISt17integral_constantIbLb1EES1D_EEDaS18_S19_EUlS18_E_NS1_11comp_targetILNS1_3genE10ELNS1_11target_archE1200ELNS1_3gpuE4ELNS1_3repE0EEENS1_30default_config_static_selectorELNS0_4arch9wavefront6targetE0EEEvT1_,@function
_ZN7rocprim17ROCPRIM_400000_NS6detail17trampoline_kernelINS0_14default_configENS1_25partition_config_selectorILNS1_17partition_subalgoE5EdNS0_10empty_typeEbEEZZNS1_14partition_implILS5_5ELb0ES3_mN6thrust23THRUST_200600_302600_NS6detail15normal_iteratorINSA_10device_ptrIdEEEEPS6_NSA_18transform_iteratorINSB_9not_fun_tI7is_trueIdEEENSC_INSD_IbEEEENSA_11use_defaultESO_EENS0_5tupleIJSF_S6_EEENSQ_IJSG_SG_EEES6_PlJS6_EEE10hipError_tPvRmT3_T4_T5_T6_T7_T9_mT8_P12ihipStream_tbDpT10_ENKUlT_T0_E_clISt17integral_constantIbLb1EES1D_EEDaS18_S19_EUlS18_E_NS1_11comp_targetILNS1_3genE10ELNS1_11target_archE1200ELNS1_3gpuE4ELNS1_3repE0EEENS1_30default_config_static_selectorELNS0_4arch9wavefront6targetE0EEEvT1_: ; @_ZN7rocprim17ROCPRIM_400000_NS6detail17trampoline_kernelINS0_14default_configENS1_25partition_config_selectorILNS1_17partition_subalgoE5EdNS0_10empty_typeEbEEZZNS1_14partition_implILS5_5ELb0ES3_mN6thrust23THRUST_200600_302600_NS6detail15normal_iteratorINSA_10device_ptrIdEEEEPS6_NSA_18transform_iteratorINSB_9not_fun_tI7is_trueIdEEENSC_INSD_IbEEEENSA_11use_defaultESO_EENS0_5tupleIJSF_S6_EEENSQ_IJSG_SG_EEES6_PlJS6_EEE10hipError_tPvRmT3_T4_T5_T6_T7_T9_mT8_P12ihipStream_tbDpT10_ENKUlT_T0_E_clISt17integral_constantIbLb1EES1D_EEDaS18_S19_EUlS18_E_NS1_11comp_targetILNS1_3genE10ELNS1_11target_archE1200ELNS1_3gpuE4ELNS1_3repE0EEENS1_30default_config_static_selectorELNS0_4arch9wavefront6targetE0EEEvT1_
; %bb.0:
	s_endpgm
	.section	.rodata,"a",@progbits
	.p2align	6, 0x0
	.amdhsa_kernel _ZN7rocprim17ROCPRIM_400000_NS6detail17trampoline_kernelINS0_14default_configENS1_25partition_config_selectorILNS1_17partition_subalgoE5EdNS0_10empty_typeEbEEZZNS1_14partition_implILS5_5ELb0ES3_mN6thrust23THRUST_200600_302600_NS6detail15normal_iteratorINSA_10device_ptrIdEEEEPS6_NSA_18transform_iteratorINSB_9not_fun_tI7is_trueIdEEENSC_INSD_IbEEEENSA_11use_defaultESO_EENS0_5tupleIJSF_S6_EEENSQ_IJSG_SG_EEES6_PlJS6_EEE10hipError_tPvRmT3_T4_T5_T6_T7_T9_mT8_P12ihipStream_tbDpT10_ENKUlT_T0_E_clISt17integral_constantIbLb1EES1D_EEDaS18_S19_EUlS18_E_NS1_11comp_targetILNS1_3genE10ELNS1_11target_archE1200ELNS1_3gpuE4ELNS1_3repE0EEENS1_30default_config_static_selectorELNS0_4arch9wavefront6targetE0EEEvT1_
		.amdhsa_group_segment_fixed_size 0
		.amdhsa_private_segment_fixed_size 0
		.amdhsa_kernarg_size 136
		.amdhsa_user_sgpr_count 2
		.amdhsa_user_sgpr_dispatch_ptr 0
		.amdhsa_user_sgpr_queue_ptr 0
		.amdhsa_user_sgpr_kernarg_segment_ptr 1
		.amdhsa_user_sgpr_dispatch_id 0
		.amdhsa_user_sgpr_private_segment_size 0
		.amdhsa_wavefront_size32 1
		.amdhsa_uses_dynamic_stack 0
		.amdhsa_enable_private_segment 0
		.amdhsa_system_sgpr_workgroup_id_x 1
		.amdhsa_system_sgpr_workgroup_id_y 0
		.amdhsa_system_sgpr_workgroup_id_z 0
		.amdhsa_system_sgpr_workgroup_info 0
		.amdhsa_system_vgpr_workitem_id 0
		.amdhsa_next_free_vgpr 1
		.amdhsa_next_free_sgpr 1
		.amdhsa_reserve_vcc 0
		.amdhsa_float_round_mode_32 0
		.amdhsa_float_round_mode_16_64 0
		.amdhsa_float_denorm_mode_32 3
		.amdhsa_float_denorm_mode_16_64 3
		.amdhsa_fp16_overflow 0
		.amdhsa_workgroup_processor_mode 1
		.amdhsa_memory_ordered 1
		.amdhsa_forward_progress 1
		.amdhsa_inst_pref_size 1
		.amdhsa_round_robin_scheduling 0
		.amdhsa_exception_fp_ieee_invalid_op 0
		.amdhsa_exception_fp_denorm_src 0
		.amdhsa_exception_fp_ieee_div_zero 0
		.amdhsa_exception_fp_ieee_overflow 0
		.amdhsa_exception_fp_ieee_underflow 0
		.amdhsa_exception_fp_ieee_inexact 0
		.amdhsa_exception_int_div_zero 0
	.end_amdhsa_kernel
	.section	.text._ZN7rocprim17ROCPRIM_400000_NS6detail17trampoline_kernelINS0_14default_configENS1_25partition_config_selectorILNS1_17partition_subalgoE5EdNS0_10empty_typeEbEEZZNS1_14partition_implILS5_5ELb0ES3_mN6thrust23THRUST_200600_302600_NS6detail15normal_iteratorINSA_10device_ptrIdEEEEPS6_NSA_18transform_iteratorINSB_9not_fun_tI7is_trueIdEEENSC_INSD_IbEEEENSA_11use_defaultESO_EENS0_5tupleIJSF_S6_EEENSQ_IJSG_SG_EEES6_PlJS6_EEE10hipError_tPvRmT3_T4_T5_T6_T7_T9_mT8_P12ihipStream_tbDpT10_ENKUlT_T0_E_clISt17integral_constantIbLb1EES1D_EEDaS18_S19_EUlS18_E_NS1_11comp_targetILNS1_3genE10ELNS1_11target_archE1200ELNS1_3gpuE4ELNS1_3repE0EEENS1_30default_config_static_selectorELNS0_4arch9wavefront6targetE0EEEvT1_,"axG",@progbits,_ZN7rocprim17ROCPRIM_400000_NS6detail17trampoline_kernelINS0_14default_configENS1_25partition_config_selectorILNS1_17partition_subalgoE5EdNS0_10empty_typeEbEEZZNS1_14partition_implILS5_5ELb0ES3_mN6thrust23THRUST_200600_302600_NS6detail15normal_iteratorINSA_10device_ptrIdEEEEPS6_NSA_18transform_iteratorINSB_9not_fun_tI7is_trueIdEEENSC_INSD_IbEEEENSA_11use_defaultESO_EENS0_5tupleIJSF_S6_EEENSQ_IJSG_SG_EEES6_PlJS6_EEE10hipError_tPvRmT3_T4_T5_T6_T7_T9_mT8_P12ihipStream_tbDpT10_ENKUlT_T0_E_clISt17integral_constantIbLb1EES1D_EEDaS18_S19_EUlS18_E_NS1_11comp_targetILNS1_3genE10ELNS1_11target_archE1200ELNS1_3gpuE4ELNS1_3repE0EEENS1_30default_config_static_selectorELNS0_4arch9wavefront6targetE0EEEvT1_,comdat
.Lfunc_end2346:
	.size	_ZN7rocprim17ROCPRIM_400000_NS6detail17trampoline_kernelINS0_14default_configENS1_25partition_config_selectorILNS1_17partition_subalgoE5EdNS0_10empty_typeEbEEZZNS1_14partition_implILS5_5ELb0ES3_mN6thrust23THRUST_200600_302600_NS6detail15normal_iteratorINSA_10device_ptrIdEEEEPS6_NSA_18transform_iteratorINSB_9not_fun_tI7is_trueIdEEENSC_INSD_IbEEEENSA_11use_defaultESO_EENS0_5tupleIJSF_S6_EEENSQ_IJSG_SG_EEES6_PlJS6_EEE10hipError_tPvRmT3_T4_T5_T6_T7_T9_mT8_P12ihipStream_tbDpT10_ENKUlT_T0_E_clISt17integral_constantIbLb1EES1D_EEDaS18_S19_EUlS18_E_NS1_11comp_targetILNS1_3genE10ELNS1_11target_archE1200ELNS1_3gpuE4ELNS1_3repE0EEENS1_30default_config_static_selectorELNS0_4arch9wavefront6targetE0EEEvT1_, .Lfunc_end2346-_ZN7rocprim17ROCPRIM_400000_NS6detail17trampoline_kernelINS0_14default_configENS1_25partition_config_selectorILNS1_17partition_subalgoE5EdNS0_10empty_typeEbEEZZNS1_14partition_implILS5_5ELb0ES3_mN6thrust23THRUST_200600_302600_NS6detail15normal_iteratorINSA_10device_ptrIdEEEEPS6_NSA_18transform_iteratorINSB_9not_fun_tI7is_trueIdEEENSC_INSD_IbEEEENSA_11use_defaultESO_EENS0_5tupleIJSF_S6_EEENSQ_IJSG_SG_EEES6_PlJS6_EEE10hipError_tPvRmT3_T4_T5_T6_T7_T9_mT8_P12ihipStream_tbDpT10_ENKUlT_T0_E_clISt17integral_constantIbLb1EES1D_EEDaS18_S19_EUlS18_E_NS1_11comp_targetILNS1_3genE10ELNS1_11target_archE1200ELNS1_3gpuE4ELNS1_3repE0EEENS1_30default_config_static_selectorELNS0_4arch9wavefront6targetE0EEEvT1_
                                        ; -- End function
	.set _ZN7rocprim17ROCPRIM_400000_NS6detail17trampoline_kernelINS0_14default_configENS1_25partition_config_selectorILNS1_17partition_subalgoE5EdNS0_10empty_typeEbEEZZNS1_14partition_implILS5_5ELb0ES3_mN6thrust23THRUST_200600_302600_NS6detail15normal_iteratorINSA_10device_ptrIdEEEEPS6_NSA_18transform_iteratorINSB_9not_fun_tI7is_trueIdEEENSC_INSD_IbEEEENSA_11use_defaultESO_EENS0_5tupleIJSF_S6_EEENSQ_IJSG_SG_EEES6_PlJS6_EEE10hipError_tPvRmT3_T4_T5_T6_T7_T9_mT8_P12ihipStream_tbDpT10_ENKUlT_T0_E_clISt17integral_constantIbLb1EES1D_EEDaS18_S19_EUlS18_E_NS1_11comp_targetILNS1_3genE10ELNS1_11target_archE1200ELNS1_3gpuE4ELNS1_3repE0EEENS1_30default_config_static_selectorELNS0_4arch9wavefront6targetE0EEEvT1_.num_vgpr, 0
	.set _ZN7rocprim17ROCPRIM_400000_NS6detail17trampoline_kernelINS0_14default_configENS1_25partition_config_selectorILNS1_17partition_subalgoE5EdNS0_10empty_typeEbEEZZNS1_14partition_implILS5_5ELb0ES3_mN6thrust23THRUST_200600_302600_NS6detail15normal_iteratorINSA_10device_ptrIdEEEEPS6_NSA_18transform_iteratorINSB_9not_fun_tI7is_trueIdEEENSC_INSD_IbEEEENSA_11use_defaultESO_EENS0_5tupleIJSF_S6_EEENSQ_IJSG_SG_EEES6_PlJS6_EEE10hipError_tPvRmT3_T4_T5_T6_T7_T9_mT8_P12ihipStream_tbDpT10_ENKUlT_T0_E_clISt17integral_constantIbLb1EES1D_EEDaS18_S19_EUlS18_E_NS1_11comp_targetILNS1_3genE10ELNS1_11target_archE1200ELNS1_3gpuE4ELNS1_3repE0EEENS1_30default_config_static_selectorELNS0_4arch9wavefront6targetE0EEEvT1_.num_agpr, 0
	.set _ZN7rocprim17ROCPRIM_400000_NS6detail17trampoline_kernelINS0_14default_configENS1_25partition_config_selectorILNS1_17partition_subalgoE5EdNS0_10empty_typeEbEEZZNS1_14partition_implILS5_5ELb0ES3_mN6thrust23THRUST_200600_302600_NS6detail15normal_iteratorINSA_10device_ptrIdEEEEPS6_NSA_18transform_iteratorINSB_9not_fun_tI7is_trueIdEEENSC_INSD_IbEEEENSA_11use_defaultESO_EENS0_5tupleIJSF_S6_EEENSQ_IJSG_SG_EEES6_PlJS6_EEE10hipError_tPvRmT3_T4_T5_T6_T7_T9_mT8_P12ihipStream_tbDpT10_ENKUlT_T0_E_clISt17integral_constantIbLb1EES1D_EEDaS18_S19_EUlS18_E_NS1_11comp_targetILNS1_3genE10ELNS1_11target_archE1200ELNS1_3gpuE4ELNS1_3repE0EEENS1_30default_config_static_selectorELNS0_4arch9wavefront6targetE0EEEvT1_.numbered_sgpr, 0
	.set _ZN7rocprim17ROCPRIM_400000_NS6detail17trampoline_kernelINS0_14default_configENS1_25partition_config_selectorILNS1_17partition_subalgoE5EdNS0_10empty_typeEbEEZZNS1_14partition_implILS5_5ELb0ES3_mN6thrust23THRUST_200600_302600_NS6detail15normal_iteratorINSA_10device_ptrIdEEEEPS6_NSA_18transform_iteratorINSB_9not_fun_tI7is_trueIdEEENSC_INSD_IbEEEENSA_11use_defaultESO_EENS0_5tupleIJSF_S6_EEENSQ_IJSG_SG_EEES6_PlJS6_EEE10hipError_tPvRmT3_T4_T5_T6_T7_T9_mT8_P12ihipStream_tbDpT10_ENKUlT_T0_E_clISt17integral_constantIbLb1EES1D_EEDaS18_S19_EUlS18_E_NS1_11comp_targetILNS1_3genE10ELNS1_11target_archE1200ELNS1_3gpuE4ELNS1_3repE0EEENS1_30default_config_static_selectorELNS0_4arch9wavefront6targetE0EEEvT1_.num_named_barrier, 0
	.set _ZN7rocprim17ROCPRIM_400000_NS6detail17trampoline_kernelINS0_14default_configENS1_25partition_config_selectorILNS1_17partition_subalgoE5EdNS0_10empty_typeEbEEZZNS1_14partition_implILS5_5ELb0ES3_mN6thrust23THRUST_200600_302600_NS6detail15normal_iteratorINSA_10device_ptrIdEEEEPS6_NSA_18transform_iteratorINSB_9not_fun_tI7is_trueIdEEENSC_INSD_IbEEEENSA_11use_defaultESO_EENS0_5tupleIJSF_S6_EEENSQ_IJSG_SG_EEES6_PlJS6_EEE10hipError_tPvRmT3_T4_T5_T6_T7_T9_mT8_P12ihipStream_tbDpT10_ENKUlT_T0_E_clISt17integral_constantIbLb1EES1D_EEDaS18_S19_EUlS18_E_NS1_11comp_targetILNS1_3genE10ELNS1_11target_archE1200ELNS1_3gpuE4ELNS1_3repE0EEENS1_30default_config_static_selectorELNS0_4arch9wavefront6targetE0EEEvT1_.private_seg_size, 0
	.set _ZN7rocprim17ROCPRIM_400000_NS6detail17trampoline_kernelINS0_14default_configENS1_25partition_config_selectorILNS1_17partition_subalgoE5EdNS0_10empty_typeEbEEZZNS1_14partition_implILS5_5ELb0ES3_mN6thrust23THRUST_200600_302600_NS6detail15normal_iteratorINSA_10device_ptrIdEEEEPS6_NSA_18transform_iteratorINSB_9not_fun_tI7is_trueIdEEENSC_INSD_IbEEEENSA_11use_defaultESO_EENS0_5tupleIJSF_S6_EEENSQ_IJSG_SG_EEES6_PlJS6_EEE10hipError_tPvRmT3_T4_T5_T6_T7_T9_mT8_P12ihipStream_tbDpT10_ENKUlT_T0_E_clISt17integral_constantIbLb1EES1D_EEDaS18_S19_EUlS18_E_NS1_11comp_targetILNS1_3genE10ELNS1_11target_archE1200ELNS1_3gpuE4ELNS1_3repE0EEENS1_30default_config_static_selectorELNS0_4arch9wavefront6targetE0EEEvT1_.uses_vcc, 0
	.set _ZN7rocprim17ROCPRIM_400000_NS6detail17trampoline_kernelINS0_14default_configENS1_25partition_config_selectorILNS1_17partition_subalgoE5EdNS0_10empty_typeEbEEZZNS1_14partition_implILS5_5ELb0ES3_mN6thrust23THRUST_200600_302600_NS6detail15normal_iteratorINSA_10device_ptrIdEEEEPS6_NSA_18transform_iteratorINSB_9not_fun_tI7is_trueIdEEENSC_INSD_IbEEEENSA_11use_defaultESO_EENS0_5tupleIJSF_S6_EEENSQ_IJSG_SG_EEES6_PlJS6_EEE10hipError_tPvRmT3_T4_T5_T6_T7_T9_mT8_P12ihipStream_tbDpT10_ENKUlT_T0_E_clISt17integral_constantIbLb1EES1D_EEDaS18_S19_EUlS18_E_NS1_11comp_targetILNS1_3genE10ELNS1_11target_archE1200ELNS1_3gpuE4ELNS1_3repE0EEENS1_30default_config_static_selectorELNS0_4arch9wavefront6targetE0EEEvT1_.uses_flat_scratch, 0
	.set _ZN7rocprim17ROCPRIM_400000_NS6detail17trampoline_kernelINS0_14default_configENS1_25partition_config_selectorILNS1_17partition_subalgoE5EdNS0_10empty_typeEbEEZZNS1_14partition_implILS5_5ELb0ES3_mN6thrust23THRUST_200600_302600_NS6detail15normal_iteratorINSA_10device_ptrIdEEEEPS6_NSA_18transform_iteratorINSB_9not_fun_tI7is_trueIdEEENSC_INSD_IbEEEENSA_11use_defaultESO_EENS0_5tupleIJSF_S6_EEENSQ_IJSG_SG_EEES6_PlJS6_EEE10hipError_tPvRmT3_T4_T5_T6_T7_T9_mT8_P12ihipStream_tbDpT10_ENKUlT_T0_E_clISt17integral_constantIbLb1EES1D_EEDaS18_S19_EUlS18_E_NS1_11comp_targetILNS1_3genE10ELNS1_11target_archE1200ELNS1_3gpuE4ELNS1_3repE0EEENS1_30default_config_static_selectorELNS0_4arch9wavefront6targetE0EEEvT1_.has_dyn_sized_stack, 0
	.set _ZN7rocprim17ROCPRIM_400000_NS6detail17trampoline_kernelINS0_14default_configENS1_25partition_config_selectorILNS1_17partition_subalgoE5EdNS0_10empty_typeEbEEZZNS1_14partition_implILS5_5ELb0ES3_mN6thrust23THRUST_200600_302600_NS6detail15normal_iteratorINSA_10device_ptrIdEEEEPS6_NSA_18transform_iteratorINSB_9not_fun_tI7is_trueIdEEENSC_INSD_IbEEEENSA_11use_defaultESO_EENS0_5tupleIJSF_S6_EEENSQ_IJSG_SG_EEES6_PlJS6_EEE10hipError_tPvRmT3_T4_T5_T6_T7_T9_mT8_P12ihipStream_tbDpT10_ENKUlT_T0_E_clISt17integral_constantIbLb1EES1D_EEDaS18_S19_EUlS18_E_NS1_11comp_targetILNS1_3genE10ELNS1_11target_archE1200ELNS1_3gpuE4ELNS1_3repE0EEENS1_30default_config_static_selectorELNS0_4arch9wavefront6targetE0EEEvT1_.has_recursion, 0
	.set _ZN7rocprim17ROCPRIM_400000_NS6detail17trampoline_kernelINS0_14default_configENS1_25partition_config_selectorILNS1_17partition_subalgoE5EdNS0_10empty_typeEbEEZZNS1_14partition_implILS5_5ELb0ES3_mN6thrust23THRUST_200600_302600_NS6detail15normal_iteratorINSA_10device_ptrIdEEEEPS6_NSA_18transform_iteratorINSB_9not_fun_tI7is_trueIdEEENSC_INSD_IbEEEENSA_11use_defaultESO_EENS0_5tupleIJSF_S6_EEENSQ_IJSG_SG_EEES6_PlJS6_EEE10hipError_tPvRmT3_T4_T5_T6_T7_T9_mT8_P12ihipStream_tbDpT10_ENKUlT_T0_E_clISt17integral_constantIbLb1EES1D_EEDaS18_S19_EUlS18_E_NS1_11comp_targetILNS1_3genE10ELNS1_11target_archE1200ELNS1_3gpuE4ELNS1_3repE0EEENS1_30default_config_static_selectorELNS0_4arch9wavefront6targetE0EEEvT1_.has_indirect_call, 0
	.section	.AMDGPU.csdata,"",@progbits
; Kernel info:
; codeLenInByte = 4
; TotalNumSgprs: 0
; NumVgprs: 0
; ScratchSize: 0
; MemoryBound: 0
; FloatMode: 240
; IeeeMode: 1
; LDSByteSize: 0 bytes/workgroup (compile time only)
; SGPRBlocks: 0
; VGPRBlocks: 0
; NumSGPRsForWavesPerEU: 1
; NumVGPRsForWavesPerEU: 1
; Occupancy: 16
; WaveLimiterHint : 0
; COMPUTE_PGM_RSRC2:SCRATCH_EN: 0
; COMPUTE_PGM_RSRC2:USER_SGPR: 2
; COMPUTE_PGM_RSRC2:TRAP_HANDLER: 0
; COMPUTE_PGM_RSRC2:TGID_X_EN: 1
; COMPUTE_PGM_RSRC2:TGID_Y_EN: 0
; COMPUTE_PGM_RSRC2:TGID_Z_EN: 0
; COMPUTE_PGM_RSRC2:TIDIG_COMP_CNT: 0
	.section	.text._ZN7rocprim17ROCPRIM_400000_NS6detail17trampoline_kernelINS0_14default_configENS1_25partition_config_selectorILNS1_17partition_subalgoE5EdNS0_10empty_typeEbEEZZNS1_14partition_implILS5_5ELb0ES3_mN6thrust23THRUST_200600_302600_NS6detail15normal_iteratorINSA_10device_ptrIdEEEEPS6_NSA_18transform_iteratorINSB_9not_fun_tI7is_trueIdEEENSC_INSD_IbEEEENSA_11use_defaultESO_EENS0_5tupleIJSF_S6_EEENSQ_IJSG_SG_EEES6_PlJS6_EEE10hipError_tPvRmT3_T4_T5_T6_T7_T9_mT8_P12ihipStream_tbDpT10_ENKUlT_T0_E_clISt17integral_constantIbLb1EES1D_EEDaS18_S19_EUlS18_E_NS1_11comp_targetILNS1_3genE9ELNS1_11target_archE1100ELNS1_3gpuE3ELNS1_3repE0EEENS1_30default_config_static_selectorELNS0_4arch9wavefront6targetE0EEEvT1_,"axG",@progbits,_ZN7rocprim17ROCPRIM_400000_NS6detail17trampoline_kernelINS0_14default_configENS1_25partition_config_selectorILNS1_17partition_subalgoE5EdNS0_10empty_typeEbEEZZNS1_14partition_implILS5_5ELb0ES3_mN6thrust23THRUST_200600_302600_NS6detail15normal_iteratorINSA_10device_ptrIdEEEEPS6_NSA_18transform_iteratorINSB_9not_fun_tI7is_trueIdEEENSC_INSD_IbEEEENSA_11use_defaultESO_EENS0_5tupleIJSF_S6_EEENSQ_IJSG_SG_EEES6_PlJS6_EEE10hipError_tPvRmT3_T4_T5_T6_T7_T9_mT8_P12ihipStream_tbDpT10_ENKUlT_T0_E_clISt17integral_constantIbLb1EES1D_EEDaS18_S19_EUlS18_E_NS1_11comp_targetILNS1_3genE9ELNS1_11target_archE1100ELNS1_3gpuE3ELNS1_3repE0EEENS1_30default_config_static_selectorELNS0_4arch9wavefront6targetE0EEEvT1_,comdat
	.protected	_ZN7rocprim17ROCPRIM_400000_NS6detail17trampoline_kernelINS0_14default_configENS1_25partition_config_selectorILNS1_17partition_subalgoE5EdNS0_10empty_typeEbEEZZNS1_14partition_implILS5_5ELb0ES3_mN6thrust23THRUST_200600_302600_NS6detail15normal_iteratorINSA_10device_ptrIdEEEEPS6_NSA_18transform_iteratorINSB_9not_fun_tI7is_trueIdEEENSC_INSD_IbEEEENSA_11use_defaultESO_EENS0_5tupleIJSF_S6_EEENSQ_IJSG_SG_EEES6_PlJS6_EEE10hipError_tPvRmT3_T4_T5_T6_T7_T9_mT8_P12ihipStream_tbDpT10_ENKUlT_T0_E_clISt17integral_constantIbLb1EES1D_EEDaS18_S19_EUlS18_E_NS1_11comp_targetILNS1_3genE9ELNS1_11target_archE1100ELNS1_3gpuE3ELNS1_3repE0EEENS1_30default_config_static_selectorELNS0_4arch9wavefront6targetE0EEEvT1_ ; -- Begin function _ZN7rocprim17ROCPRIM_400000_NS6detail17trampoline_kernelINS0_14default_configENS1_25partition_config_selectorILNS1_17partition_subalgoE5EdNS0_10empty_typeEbEEZZNS1_14partition_implILS5_5ELb0ES3_mN6thrust23THRUST_200600_302600_NS6detail15normal_iteratorINSA_10device_ptrIdEEEEPS6_NSA_18transform_iteratorINSB_9not_fun_tI7is_trueIdEEENSC_INSD_IbEEEENSA_11use_defaultESO_EENS0_5tupleIJSF_S6_EEENSQ_IJSG_SG_EEES6_PlJS6_EEE10hipError_tPvRmT3_T4_T5_T6_T7_T9_mT8_P12ihipStream_tbDpT10_ENKUlT_T0_E_clISt17integral_constantIbLb1EES1D_EEDaS18_S19_EUlS18_E_NS1_11comp_targetILNS1_3genE9ELNS1_11target_archE1100ELNS1_3gpuE3ELNS1_3repE0EEENS1_30default_config_static_selectorELNS0_4arch9wavefront6targetE0EEEvT1_
	.globl	_ZN7rocprim17ROCPRIM_400000_NS6detail17trampoline_kernelINS0_14default_configENS1_25partition_config_selectorILNS1_17partition_subalgoE5EdNS0_10empty_typeEbEEZZNS1_14partition_implILS5_5ELb0ES3_mN6thrust23THRUST_200600_302600_NS6detail15normal_iteratorINSA_10device_ptrIdEEEEPS6_NSA_18transform_iteratorINSB_9not_fun_tI7is_trueIdEEENSC_INSD_IbEEEENSA_11use_defaultESO_EENS0_5tupleIJSF_S6_EEENSQ_IJSG_SG_EEES6_PlJS6_EEE10hipError_tPvRmT3_T4_T5_T6_T7_T9_mT8_P12ihipStream_tbDpT10_ENKUlT_T0_E_clISt17integral_constantIbLb1EES1D_EEDaS18_S19_EUlS18_E_NS1_11comp_targetILNS1_3genE9ELNS1_11target_archE1100ELNS1_3gpuE3ELNS1_3repE0EEENS1_30default_config_static_selectorELNS0_4arch9wavefront6targetE0EEEvT1_
	.p2align	8
	.type	_ZN7rocprim17ROCPRIM_400000_NS6detail17trampoline_kernelINS0_14default_configENS1_25partition_config_selectorILNS1_17partition_subalgoE5EdNS0_10empty_typeEbEEZZNS1_14partition_implILS5_5ELb0ES3_mN6thrust23THRUST_200600_302600_NS6detail15normal_iteratorINSA_10device_ptrIdEEEEPS6_NSA_18transform_iteratorINSB_9not_fun_tI7is_trueIdEEENSC_INSD_IbEEEENSA_11use_defaultESO_EENS0_5tupleIJSF_S6_EEENSQ_IJSG_SG_EEES6_PlJS6_EEE10hipError_tPvRmT3_T4_T5_T6_T7_T9_mT8_P12ihipStream_tbDpT10_ENKUlT_T0_E_clISt17integral_constantIbLb1EES1D_EEDaS18_S19_EUlS18_E_NS1_11comp_targetILNS1_3genE9ELNS1_11target_archE1100ELNS1_3gpuE3ELNS1_3repE0EEENS1_30default_config_static_selectorELNS0_4arch9wavefront6targetE0EEEvT1_,@function
_ZN7rocprim17ROCPRIM_400000_NS6detail17trampoline_kernelINS0_14default_configENS1_25partition_config_selectorILNS1_17partition_subalgoE5EdNS0_10empty_typeEbEEZZNS1_14partition_implILS5_5ELb0ES3_mN6thrust23THRUST_200600_302600_NS6detail15normal_iteratorINSA_10device_ptrIdEEEEPS6_NSA_18transform_iteratorINSB_9not_fun_tI7is_trueIdEEENSC_INSD_IbEEEENSA_11use_defaultESO_EENS0_5tupleIJSF_S6_EEENSQ_IJSG_SG_EEES6_PlJS6_EEE10hipError_tPvRmT3_T4_T5_T6_T7_T9_mT8_P12ihipStream_tbDpT10_ENKUlT_T0_E_clISt17integral_constantIbLb1EES1D_EEDaS18_S19_EUlS18_E_NS1_11comp_targetILNS1_3genE9ELNS1_11target_archE1100ELNS1_3gpuE3ELNS1_3repE0EEENS1_30default_config_static_selectorELNS0_4arch9wavefront6targetE0EEEvT1_: ; @_ZN7rocprim17ROCPRIM_400000_NS6detail17trampoline_kernelINS0_14default_configENS1_25partition_config_selectorILNS1_17partition_subalgoE5EdNS0_10empty_typeEbEEZZNS1_14partition_implILS5_5ELb0ES3_mN6thrust23THRUST_200600_302600_NS6detail15normal_iteratorINSA_10device_ptrIdEEEEPS6_NSA_18transform_iteratorINSB_9not_fun_tI7is_trueIdEEENSC_INSD_IbEEEENSA_11use_defaultESO_EENS0_5tupleIJSF_S6_EEENSQ_IJSG_SG_EEES6_PlJS6_EEE10hipError_tPvRmT3_T4_T5_T6_T7_T9_mT8_P12ihipStream_tbDpT10_ENKUlT_T0_E_clISt17integral_constantIbLb1EES1D_EEDaS18_S19_EUlS18_E_NS1_11comp_targetILNS1_3genE9ELNS1_11target_archE1100ELNS1_3gpuE3ELNS1_3repE0EEENS1_30default_config_static_selectorELNS0_4arch9wavefront6targetE0EEEvT1_
; %bb.0:
	.section	.rodata,"a",@progbits
	.p2align	6, 0x0
	.amdhsa_kernel _ZN7rocprim17ROCPRIM_400000_NS6detail17trampoline_kernelINS0_14default_configENS1_25partition_config_selectorILNS1_17partition_subalgoE5EdNS0_10empty_typeEbEEZZNS1_14partition_implILS5_5ELb0ES3_mN6thrust23THRUST_200600_302600_NS6detail15normal_iteratorINSA_10device_ptrIdEEEEPS6_NSA_18transform_iteratorINSB_9not_fun_tI7is_trueIdEEENSC_INSD_IbEEEENSA_11use_defaultESO_EENS0_5tupleIJSF_S6_EEENSQ_IJSG_SG_EEES6_PlJS6_EEE10hipError_tPvRmT3_T4_T5_T6_T7_T9_mT8_P12ihipStream_tbDpT10_ENKUlT_T0_E_clISt17integral_constantIbLb1EES1D_EEDaS18_S19_EUlS18_E_NS1_11comp_targetILNS1_3genE9ELNS1_11target_archE1100ELNS1_3gpuE3ELNS1_3repE0EEENS1_30default_config_static_selectorELNS0_4arch9wavefront6targetE0EEEvT1_
		.amdhsa_group_segment_fixed_size 0
		.amdhsa_private_segment_fixed_size 0
		.amdhsa_kernarg_size 136
		.amdhsa_user_sgpr_count 2
		.amdhsa_user_sgpr_dispatch_ptr 0
		.amdhsa_user_sgpr_queue_ptr 0
		.amdhsa_user_sgpr_kernarg_segment_ptr 1
		.amdhsa_user_sgpr_dispatch_id 0
		.amdhsa_user_sgpr_private_segment_size 0
		.amdhsa_wavefront_size32 1
		.amdhsa_uses_dynamic_stack 0
		.amdhsa_enable_private_segment 0
		.amdhsa_system_sgpr_workgroup_id_x 1
		.amdhsa_system_sgpr_workgroup_id_y 0
		.amdhsa_system_sgpr_workgroup_id_z 0
		.amdhsa_system_sgpr_workgroup_info 0
		.amdhsa_system_vgpr_workitem_id 0
		.amdhsa_next_free_vgpr 1
		.amdhsa_next_free_sgpr 1
		.amdhsa_reserve_vcc 0
		.amdhsa_float_round_mode_32 0
		.amdhsa_float_round_mode_16_64 0
		.amdhsa_float_denorm_mode_32 3
		.amdhsa_float_denorm_mode_16_64 3
		.amdhsa_fp16_overflow 0
		.amdhsa_workgroup_processor_mode 1
		.amdhsa_memory_ordered 1
		.amdhsa_forward_progress 1
		.amdhsa_inst_pref_size 0
		.amdhsa_round_robin_scheduling 0
		.amdhsa_exception_fp_ieee_invalid_op 0
		.amdhsa_exception_fp_denorm_src 0
		.amdhsa_exception_fp_ieee_div_zero 0
		.amdhsa_exception_fp_ieee_overflow 0
		.amdhsa_exception_fp_ieee_underflow 0
		.amdhsa_exception_fp_ieee_inexact 0
		.amdhsa_exception_int_div_zero 0
	.end_amdhsa_kernel
	.section	.text._ZN7rocprim17ROCPRIM_400000_NS6detail17trampoline_kernelINS0_14default_configENS1_25partition_config_selectorILNS1_17partition_subalgoE5EdNS0_10empty_typeEbEEZZNS1_14partition_implILS5_5ELb0ES3_mN6thrust23THRUST_200600_302600_NS6detail15normal_iteratorINSA_10device_ptrIdEEEEPS6_NSA_18transform_iteratorINSB_9not_fun_tI7is_trueIdEEENSC_INSD_IbEEEENSA_11use_defaultESO_EENS0_5tupleIJSF_S6_EEENSQ_IJSG_SG_EEES6_PlJS6_EEE10hipError_tPvRmT3_T4_T5_T6_T7_T9_mT8_P12ihipStream_tbDpT10_ENKUlT_T0_E_clISt17integral_constantIbLb1EES1D_EEDaS18_S19_EUlS18_E_NS1_11comp_targetILNS1_3genE9ELNS1_11target_archE1100ELNS1_3gpuE3ELNS1_3repE0EEENS1_30default_config_static_selectorELNS0_4arch9wavefront6targetE0EEEvT1_,"axG",@progbits,_ZN7rocprim17ROCPRIM_400000_NS6detail17trampoline_kernelINS0_14default_configENS1_25partition_config_selectorILNS1_17partition_subalgoE5EdNS0_10empty_typeEbEEZZNS1_14partition_implILS5_5ELb0ES3_mN6thrust23THRUST_200600_302600_NS6detail15normal_iteratorINSA_10device_ptrIdEEEEPS6_NSA_18transform_iteratorINSB_9not_fun_tI7is_trueIdEEENSC_INSD_IbEEEENSA_11use_defaultESO_EENS0_5tupleIJSF_S6_EEENSQ_IJSG_SG_EEES6_PlJS6_EEE10hipError_tPvRmT3_T4_T5_T6_T7_T9_mT8_P12ihipStream_tbDpT10_ENKUlT_T0_E_clISt17integral_constantIbLb1EES1D_EEDaS18_S19_EUlS18_E_NS1_11comp_targetILNS1_3genE9ELNS1_11target_archE1100ELNS1_3gpuE3ELNS1_3repE0EEENS1_30default_config_static_selectorELNS0_4arch9wavefront6targetE0EEEvT1_,comdat
.Lfunc_end2347:
	.size	_ZN7rocprim17ROCPRIM_400000_NS6detail17trampoline_kernelINS0_14default_configENS1_25partition_config_selectorILNS1_17partition_subalgoE5EdNS0_10empty_typeEbEEZZNS1_14partition_implILS5_5ELb0ES3_mN6thrust23THRUST_200600_302600_NS6detail15normal_iteratorINSA_10device_ptrIdEEEEPS6_NSA_18transform_iteratorINSB_9not_fun_tI7is_trueIdEEENSC_INSD_IbEEEENSA_11use_defaultESO_EENS0_5tupleIJSF_S6_EEENSQ_IJSG_SG_EEES6_PlJS6_EEE10hipError_tPvRmT3_T4_T5_T6_T7_T9_mT8_P12ihipStream_tbDpT10_ENKUlT_T0_E_clISt17integral_constantIbLb1EES1D_EEDaS18_S19_EUlS18_E_NS1_11comp_targetILNS1_3genE9ELNS1_11target_archE1100ELNS1_3gpuE3ELNS1_3repE0EEENS1_30default_config_static_selectorELNS0_4arch9wavefront6targetE0EEEvT1_, .Lfunc_end2347-_ZN7rocprim17ROCPRIM_400000_NS6detail17trampoline_kernelINS0_14default_configENS1_25partition_config_selectorILNS1_17partition_subalgoE5EdNS0_10empty_typeEbEEZZNS1_14partition_implILS5_5ELb0ES3_mN6thrust23THRUST_200600_302600_NS6detail15normal_iteratorINSA_10device_ptrIdEEEEPS6_NSA_18transform_iteratorINSB_9not_fun_tI7is_trueIdEEENSC_INSD_IbEEEENSA_11use_defaultESO_EENS0_5tupleIJSF_S6_EEENSQ_IJSG_SG_EEES6_PlJS6_EEE10hipError_tPvRmT3_T4_T5_T6_T7_T9_mT8_P12ihipStream_tbDpT10_ENKUlT_T0_E_clISt17integral_constantIbLb1EES1D_EEDaS18_S19_EUlS18_E_NS1_11comp_targetILNS1_3genE9ELNS1_11target_archE1100ELNS1_3gpuE3ELNS1_3repE0EEENS1_30default_config_static_selectorELNS0_4arch9wavefront6targetE0EEEvT1_
                                        ; -- End function
	.set _ZN7rocprim17ROCPRIM_400000_NS6detail17trampoline_kernelINS0_14default_configENS1_25partition_config_selectorILNS1_17partition_subalgoE5EdNS0_10empty_typeEbEEZZNS1_14partition_implILS5_5ELb0ES3_mN6thrust23THRUST_200600_302600_NS6detail15normal_iteratorINSA_10device_ptrIdEEEEPS6_NSA_18transform_iteratorINSB_9not_fun_tI7is_trueIdEEENSC_INSD_IbEEEENSA_11use_defaultESO_EENS0_5tupleIJSF_S6_EEENSQ_IJSG_SG_EEES6_PlJS6_EEE10hipError_tPvRmT3_T4_T5_T6_T7_T9_mT8_P12ihipStream_tbDpT10_ENKUlT_T0_E_clISt17integral_constantIbLb1EES1D_EEDaS18_S19_EUlS18_E_NS1_11comp_targetILNS1_3genE9ELNS1_11target_archE1100ELNS1_3gpuE3ELNS1_3repE0EEENS1_30default_config_static_selectorELNS0_4arch9wavefront6targetE0EEEvT1_.num_vgpr, 0
	.set _ZN7rocprim17ROCPRIM_400000_NS6detail17trampoline_kernelINS0_14default_configENS1_25partition_config_selectorILNS1_17partition_subalgoE5EdNS0_10empty_typeEbEEZZNS1_14partition_implILS5_5ELb0ES3_mN6thrust23THRUST_200600_302600_NS6detail15normal_iteratorINSA_10device_ptrIdEEEEPS6_NSA_18transform_iteratorINSB_9not_fun_tI7is_trueIdEEENSC_INSD_IbEEEENSA_11use_defaultESO_EENS0_5tupleIJSF_S6_EEENSQ_IJSG_SG_EEES6_PlJS6_EEE10hipError_tPvRmT3_T4_T5_T6_T7_T9_mT8_P12ihipStream_tbDpT10_ENKUlT_T0_E_clISt17integral_constantIbLb1EES1D_EEDaS18_S19_EUlS18_E_NS1_11comp_targetILNS1_3genE9ELNS1_11target_archE1100ELNS1_3gpuE3ELNS1_3repE0EEENS1_30default_config_static_selectorELNS0_4arch9wavefront6targetE0EEEvT1_.num_agpr, 0
	.set _ZN7rocprim17ROCPRIM_400000_NS6detail17trampoline_kernelINS0_14default_configENS1_25partition_config_selectorILNS1_17partition_subalgoE5EdNS0_10empty_typeEbEEZZNS1_14partition_implILS5_5ELb0ES3_mN6thrust23THRUST_200600_302600_NS6detail15normal_iteratorINSA_10device_ptrIdEEEEPS6_NSA_18transform_iteratorINSB_9not_fun_tI7is_trueIdEEENSC_INSD_IbEEEENSA_11use_defaultESO_EENS0_5tupleIJSF_S6_EEENSQ_IJSG_SG_EEES6_PlJS6_EEE10hipError_tPvRmT3_T4_T5_T6_T7_T9_mT8_P12ihipStream_tbDpT10_ENKUlT_T0_E_clISt17integral_constantIbLb1EES1D_EEDaS18_S19_EUlS18_E_NS1_11comp_targetILNS1_3genE9ELNS1_11target_archE1100ELNS1_3gpuE3ELNS1_3repE0EEENS1_30default_config_static_selectorELNS0_4arch9wavefront6targetE0EEEvT1_.numbered_sgpr, 0
	.set _ZN7rocprim17ROCPRIM_400000_NS6detail17trampoline_kernelINS0_14default_configENS1_25partition_config_selectorILNS1_17partition_subalgoE5EdNS0_10empty_typeEbEEZZNS1_14partition_implILS5_5ELb0ES3_mN6thrust23THRUST_200600_302600_NS6detail15normal_iteratorINSA_10device_ptrIdEEEEPS6_NSA_18transform_iteratorINSB_9not_fun_tI7is_trueIdEEENSC_INSD_IbEEEENSA_11use_defaultESO_EENS0_5tupleIJSF_S6_EEENSQ_IJSG_SG_EEES6_PlJS6_EEE10hipError_tPvRmT3_T4_T5_T6_T7_T9_mT8_P12ihipStream_tbDpT10_ENKUlT_T0_E_clISt17integral_constantIbLb1EES1D_EEDaS18_S19_EUlS18_E_NS1_11comp_targetILNS1_3genE9ELNS1_11target_archE1100ELNS1_3gpuE3ELNS1_3repE0EEENS1_30default_config_static_selectorELNS0_4arch9wavefront6targetE0EEEvT1_.num_named_barrier, 0
	.set _ZN7rocprim17ROCPRIM_400000_NS6detail17trampoline_kernelINS0_14default_configENS1_25partition_config_selectorILNS1_17partition_subalgoE5EdNS0_10empty_typeEbEEZZNS1_14partition_implILS5_5ELb0ES3_mN6thrust23THRUST_200600_302600_NS6detail15normal_iteratorINSA_10device_ptrIdEEEEPS6_NSA_18transform_iteratorINSB_9not_fun_tI7is_trueIdEEENSC_INSD_IbEEEENSA_11use_defaultESO_EENS0_5tupleIJSF_S6_EEENSQ_IJSG_SG_EEES6_PlJS6_EEE10hipError_tPvRmT3_T4_T5_T6_T7_T9_mT8_P12ihipStream_tbDpT10_ENKUlT_T0_E_clISt17integral_constantIbLb1EES1D_EEDaS18_S19_EUlS18_E_NS1_11comp_targetILNS1_3genE9ELNS1_11target_archE1100ELNS1_3gpuE3ELNS1_3repE0EEENS1_30default_config_static_selectorELNS0_4arch9wavefront6targetE0EEEvT1_.private_seg_size, 0
	.set _ZN7rocprim17ROCPRIM_400000_NS6detail17trampoline_kernelINS0_14default_configENS1_25partition_config_selectorILNS1_17partition_subalgoE5EdNS0_10empty_typeEbEEZZNS1_14partition_implILS5_5ELb0ES3_mN6thrust23THRUST_200600_302600_NS6detail15normal_iteratorINSA_10device_ptrIdEEEEPS6_NSA_18transform_iteratorINSB_9not_fun_tI7is_trueIdEEENSC_INSD_IbEEEENSA_11use_defaultESO_EENS0_5tupleIJSF_S6_EEENSQ_IJSG_SG_EEES6_PlJS6_EEE10hipError_tPvRmT3_T4_T5_T6_T7_T9_mT8_P12ihipStream_tbDpT10_ENKUlT_T0_E_clISt17integral_constantIbLb1EES1D_EEDaS18_S19_EUlS18_E_NS1_11comp_targetILNS1_3genE9ELNS1_11target_archE1100ELNS1_3gpuE3ELNS1_3repE0EEENS1_30default_config_static_selectorELNS0_4arch9wavefront6targetE0EEEvT1_.uses_vcc, 0
	.set _ZN7rocprim17ROCPRIM_400000_NS6detail17trampoline_kernelINS0_14default_configENS1_25partition_config_selectorILNS1_17partition_subalgoE5EdNS0_10empty_typeEbEEZZNS1_14partition_implILS5_5ELb0ES3_mN6thrust23THRUST_200600_302600_NS6detail15normal_iteratorINSA_10device_ptrIdEEEEPS6_NSA_18transform_iteratorINSB_9not_fun_tI7is_trueIdEEENSC_INSD_IbEEEENSA_11use_defaultESO_EENS0_5tupleIJSF_S6_EEENSQ_IJSG_SG_EEES6_PlJS6_EEE10hipError_tPvRmT3_T4_T5_T6_T7_T9_mT8_P12ihipStream_tbDpT10_ENKUlT_T0_E_clISt17integral_constantIbLb1EES1D_EEDaS18_S19_EUlS18_E_NS1_11comp_targetILNS1_3genE9ELNS1_11target_archE1100ELNS1_3gpuE3ELNS1_3repE0EEENS1_30default_config_static_selectorELNS0_4arch9wavefront6targetE0EEEvT1_.uses_flat_scratch, 0
	.set _ZN7rocprim17ROCPRIM_400000_NS6detail17trampoline_kernelINS0_14default_configENS1_25partition_config_selectorILNS1_17partition_subalgoE5EdNS0_10empty_typeEbEEZZNS1_14partition_implILS5_5ELb0ES3_mN6thrust23THRUST_200600_302600_NS6detail15normal_iteratorINSA_10device_ptrIdEEEEPS6_NSA_18transform_iteratorINSB_9not_fun_tI7is_trueIdEEENSC_INSD_IbEEEENSA_11use_defaultESO_EENS0_5tupleIJSF_S6_EEENSQ_IJSG_SG_EEES6_PlJS6_EEE10hipError_tPvRmT3_T4_T5_T6_T7_T9_mT8_P12ihipStream_tbDpT10_ENKUlT_T0_E_clISt17integral_constantIbLb1EES1D_EEDaS18_S19_EUlS18_E_NS1_11comp_targetILNS1_3genE9ELNS1_11target_archE1100ELNS1_3gpuE3ELNS1_3repE0EEENS1_30default_config_static_selectorELNS0_4arch9wavefront6targetE0EEEvT1_.has_dyn_sized_stack, 0
	.set _ZN7rocprim17ROCPRIM_400000_NS6detail17trampoline_kernelINS0_14default_configENS1_25partition_config_selectorILNS1_17partition_subalgoE5EdNS0_10empty_typeEbEEZZNS1_14partition_implILS5_5ELb0ES3_mN6thrust23THRUST_200600_302600_NS6detail15normal_iteratorINSA_10device_ptrIdEEEEPS6_NSA_18transform_iteratorINSB_9not_fun_tI7is_trueIdEEENSC_INSD_IbEEEENSA_11use_defaultESO_EENS0_5tupleIJSF_S6_EEENSQ_IJSG_SG_EEES6_PlJS6_EEE10hipError_tPvRmT3_T4_T5_T6_T7_T9_mT8_P12ihipStream_tbDpT10_ENKUlT_T0_E_clISt17integral_constantIbLb1EES1D_EEDaS18_S19_EUlS18_E_NS1_11comp_targetILNS1_3genE9ELNS1_11target_archE1100ELNS1_3gpuE3ELNS1_3repE0EEENS1_30default_config_static_selectorELNS0_4arch9wavefront6targetE0EEEvT1_.has_recursion, 0
	.set _ZN7rocprim17ROCPRIM_400000_NS6detail17trampoline_kernelINS0_14default_configENS1_25partition_config_selectorILNS1_17partition_subalgoE5EdNS0_10empty_typeEbEEZZNS1_14partition_implILS5_5ELb0ES3_mN6thrust23THRUST_200600_302600_NS6detail15normal_iteratorINSA_10device_ptrIdEEEEPS6_NSA_18transform_iteratorINSB_9not_fun_tI7is_trueIdEEENSC_INSD_IbEEEENSA_11use_defaultESO_EENS0_5tupleIJSF_S6_EEENSQ_IJSG_SG_EEES6_PlJS6_EEE10hipError_tPvRmT3_T4_T5_T6_T7_T9_mT8_P12ihipStream_tbDpT10_ENKUlT_T0_E_clISt17integral_constantIbLb1EES1D_EEDaS18_S19_EUlS18_E_NS1_11comp_targetILNS1_3genE9ELNS1_11target_archE1100ELNS1_3gpuE3ELNS1_3repE0EEENS1_30default_config_static_selectorELNS0_4arch9wavefront6targetE0EEEvT1_.has_indirect_call, 0
	.section	.AMDGPU.csdata,"",@progbits
; Kernel info:
; codeLenInByte = 0
; TotalNumSgprs: 0
; NumVgprs: 0
; ScratchSize: 0
; MemoryBound: 0
; FloatMode: 240
; IeeeMode: 1
; LDSByteSize: 0 bytes/workgroup (compile time only)
; SGPRBlocks: 0
; VGPRBlocks: 0
; NumSGPRsForWavesPerEU: 1
; NumVGPRsForWavesPerEU: 1
; Occupancy: 16
; WaveLimiterHint : 0
; COMPUTE_PGM_RSRC2:SCRATCH_EN: 0
; COMPUTE_PGM_RSRC2:USER_SGPR: 2
; COMPUTE_PGM_RSRC2:TRAP_HANDLER: 0
; COMPUTE_PGM_RSRC2:TGID_X_EN: 1
; COMPUTE_PGM_RSRC2:TGID_Y_EN: 0
; COMPUTE_PGM_RSRC2:TGID_Z_EN: 0
; COMPUTE_PGM_RSRC2:TIDIG_COMP_CNT: 0
	.section	.text._ZN7rocprim17ROCPRIM_400000_NS6detail17trampoline_kernelINS0_14default_configENS1_25partition_config_selectorILNS1_17partition_subalgoE5EdNS0_10empty_typeEbEEZZNS1_14partition_implILS5_5ELb0ES3_mN6thrust23THRUST_200600_302600_NS6detail15normal_iteratorINSA_10device_ptrIdEEEEPS6_NSA_18transform_iteratorINSB_9not_fun_tI7is_trueIdEEENSC_INSD_IbEEEENSA_11use_defaultESO_EENS0_5tupleIJSF_S6_EEENSQ_IJSG_SG_EEES6_PlJS6_EEE10hipError_tPvRmT3_T4_T5_T6_T7_T9_mT8_P12ihipStream_tbDpT10_ENKUlT_T0_E_clISt17integral_constantIbLb1EES1D_EEDaS18_S19_EUlS18_E_NS1_11comp_targetILNS1_3genE8ELNS1_11target_archE1030ELNS1_3gpuE2ELNS1_3repE0EEENS1_30default_config_static_selectorELNS0_4arch9wavefront6targetE0EEEvT1_,"axG",@progbits,_ZN7rocprim17ROCPRIM_400000_NS6detail17trampoline_kernelINS0_14default_configENS1_25partition_config_selectorILNS1_17partition_subalgoE5EdNS0_10empty_typeEbEEZZNS1_14partition_implILS5_5ELb0ES3_mN6thrust23THRUST_200600_302600_NS6detail15normal_iteratorINSA_10device_ptrIdEEEEPS6_NSA_18transform_iteratorINSB_9not_fun_tI7is_trueIdEEENSC_INSD_IbEEEENSA_11use_defaultESO_EENS0_5tupleIJSF_S6_EEENSQ_IJSG_SG_EEES6_PlJS6_EEE10hipError_tPvRmT3_T4_T5_T6_T7_T9_mT8_P12ihipStream_tbDpT10_ENKUlT_T0_E_clISt17integral_constantIbLb1EES1D_EEDaS18_S19_EUlS18_E_NS1_11comp_targetILNS1_3genE8ELNS1_11target_archE1030ELNS1_3gpuE2ELNS1_3repE0EEENS1_30default_config_static_selectorELNS0_4arch9wavefront6targetE0EEEvT1_,comdat
	.protected	_ZN7rocprim17ROCPRIM_400000_NS6detail17trampoline_kernelINS0_14default_configENS1_25partition_config_selectorILNS1_17partition_subalgoE5EdNS0_10empty_typeEbEEZZNS1_14partition_implILS5_5ELb0ES3_mN6thrust23THRUST_200600_302600_NS6detail15normal_iteratorINSA_10device_ptrIdEEEEPS6_NSA_18transform_iteratorINSB_9not_fun_tI7is_trueIdEEENSC_INSD_IbEEEENSA_11use_defaultESO_EENS0_5tupleIJSF_S6_EEENSQ_IJSG_SG_EEES6_PlJS6_EEE10hipError_tPvRmT3_T4_T5_T6_T7_T9_mT8_P12ihipStream_tbDpT10_ENKUlT_T0_E_clISt17integral_constantIbLb1EES1D_EEDaS18_S19_EUlS18_E_NS1_11comp_targetILNS1_3genE8ELNS1_11target_archE1030ELNS1_3gpuE2ELNS1_3repE0EEENS1_30default_config_static_selectorELNS0_4arch9wavefront6targetE0EEEvT1_ ; -- Begin function _ZN7rocprim17ROCPRIM_400000_NS6detail17trampoline_kernelINS0_14default_configENS1_25partition_config_selectorILNS1_17partition_subalgoE5EdNS0_10empty_typeEbEEZZNS1_14partition_implILS5_5ELb0ES3_mN6thrust23THRUST_200600_302600_NS6detail15normal_iteratorINSA_10device_ptrIdEEEEPS6_NSA_18transform_iteratorINSB_9not_fun_tI7is_trueIdEEENSC_INSD_IbEEEENSA_11use_defaultESO_EENS0_5tupleIJSF_S6_EEENSQ_IJSG_SG_EEES6_PlJS6_EEE10hipError_tPvRmT3_T4_T5_T6_T7_T9_mT8_P12ihipStream_tbDpT10_ENKUlT_T0_E_clISt17integral_constantIbLb1EES1D_EEDaS18_S19_EUlS18_E_NS1_11comp_targetILNS1_3genE8ELNS1_11target_archE1030ELNS1_3gpuE2ELNS1_3repE0EEENS1_30default_config_static_selectorELNS0_4arch9wavefront6targetE0EEEvT1_
	.globl	_ZN7rocprim17ROCPRIM_400000_NS6detail17trampoline_kernelINS0_14default_configENS1_25partition_config_selectorILNS1_17partition_subalgoE5EdNS0_10empty_typeEbEEZZNS1_14partition_implILS5_5ELb0ES3_mN6thrust23THRUST_200600_302600_NS6detail15normal_iteratorINSA_10device_ptrIdEEEEPS6_NSA_18transform_iteratorINSB_9not_fun_tI7is_trueIdEEENSC_INSD_IbEEEENSA_11use_defaultESO_EENS0_5tupleIJSF_S6_EEENSQ_IJSG_SG_EEES6_PlJS6_EEE10hipError_tPvRmT3_T4_T5_T6_T7_T9_mT8_P12ihipStream_tbDpT10_ENKUlT_T0_E_clISt17integral_constantIbLb1EES1D_EEDaS18_S19_EUlS18_E_NS1_11comp_targetILNS1_3genE8ELNS1_11target_archE1030ELNS1_3gpuE2ELNS1_3repE0EEENS1_30default_config_static_selectorELNS0_4arch9wavefront6targetE0EEEvT1_
	.p2align	8
	.type	_ZN7rocprim17ROCPRIM_400000_NS6detail17trampoline_kernelINS0_14default_configENS1_25partition_config_selectorILNS1_17partition_subalgoE5EdNS0_10empty_typeEbEEZZNS1_14partition_implILS5_5ELb0ES3_mN6thrust23THRUST_200600_302600_NS6detail15normal_iteratorINSA_10device_ptrIdEEEEPS6_NSA_18transform_iteratorINSB_9not_fun_tI7is_trueIdEEENSC_INSD_IbEEEENSA_11use_defaultESO_EENS0_5tupleIJSF_S6_EEENSQ_IJSG_SG_EEES6_PlJS6_EEE10hipError_tPvRmT3_T4_T5_T6_T7_T9_mT8_P12ihipStream_tbDpT10_ENKUlT_T0_E_clISt17integral_constantIbLb1EES1D_EEDaS18_S19_EUlS18_E_NS1_11comp_targetILNS1_3genE8ELNS1_11target_archE1030ELNS1_3gpuE2ELNS1_3repE0EEENS1_30default_config_static_selectorELNS0_4arch9wavefront6targetE0EEEvT1_,@function
_ZN7rocprim17ROCPRIM_400000_NS6detail17trampoline_kernelINS0_14default_configENS1_25partition_config_selectorILNS1_17partition_subalgoE5EdNS0_10empty_typeEbEEZZNS1_14partition_implILS5_5ELb0ES3_mN6thrust23THRUST_200600_302600_NS6detail15normal_iteratorINSA_10device_ptrIdEEEEPS6_NSA_18transform_iteratorINSB_9not_fun_tI7is_trueIdEEENSC_INSD_IbEEEENSA_11use_defaultESO_EENS0_5tupleIJSF_S6_EEENSQ_IJSG_SG_EEES6_PlJS6_EEE10hipError_tPvRmT3_T4_T5_T6_T7_T9_mT8_P12ihipStream_tbDpT10_ENKUlT_T0_E_clISt17integral_constantIbLb1EES1D_EEDaS18_S19_EUlS18_E_NS1_11comp_targetILNS1_3genE8ELNS1_11target_archE1030ELNS1_3gpuE2ELNS1_3repE0EEENS1_30default_config_static_selectorELNS0_4arch9wavefront6targetE0EEEvT1_: ; @_ZN7rocprim17ROCPRIM_400000_NS6detail17trampoline_kernelINS0_14default_configENS1_25partition_config_selectorILNS1_17partition_subalgoE5EdNS0_10empty_typeEbEEZZNS1_14partition_implILS5_5ELb0ES3_mN6thrust23THRUST_200600_302600_NS6detail15normal_iteratorINSA_10device_ptrIdEEEEPS6_NSA_18transform_iteratorINSB_9not_fun_tI7is_trueIdEEENSC_INSD_IbEEEENSA_11use_defaultESO_EENS0_5tupleIJSF_S6_EEENSQ_IJSG_SG_EEES6_PlJS6_EEE10hipError_tPvRmT3_T4_T5_T6_T7_T9_mT8_P12ihipStream_tbDpT10_ENKUlT_T0_E_clISt17integral_constantIbLb1EES1D_EEDaS18_S19_EUlS18_E_NS1_11comp_targetILNS1_3genE8ELNS1_11target_archE1030ELNS1_3gpuE2ELNS1_3repE0EEENS1_30default_config_static_selectorELNS0_4arch9wavefront6targetE0EEEvT1_
; %bb.0:
	.section	.rodata,"a",@progbits
	.p2align	6, 0x0
	.amdhsa_kernel _ZN7rocprim17ROCPRIM_400000_NS6detail17trampoline_kernelINS0_14default_configENS1_25partition_config_selectorILNS1_17partition_subalgoE5EdNS0_10empty_typeEbEEZZNS1_14partition_implILS5_5ELb0ES3_mN6thrust23THRUST_200600_302600_NS6detail15normal_iteratorINSA_10device_ptrIdEEEEPS6_NSA_18transform_iteratorINSB_9not_fun_tI7is_trueIdEEENSC_INSD_IbEEEENSA_11use_defaultESO_EENS0_5tupleIJSF_S6_EEENSQ_IJSG_SG_EEES6_PlJS6_EEE10hipError_tPvRmT3_T4_T5_T6_T7_T9_mT8_P12ihipStream_tbDpT10_ENKUlT_T0_E_clISt17integral_constantIbLb1EES1D_EEDaS18_S19_EUlS18_E_NS1_11comp_targetILNS1_3genE8ELNS1_11target_archE1030ELNS1_3gpuE2ELNS1_3repE0EEENS1_30default_config_static_selectorELNS0_4arch9wavefront6targetE0EEEvT1_
		.amdhsa_group_segment_fixed_size 0
		.amdhsa_private_segment_fixed_size 0
		.amdhsa_kernarg_size 136
		.amdhsa_user_sgpr_count 2
		.amdhsa_user_sgpr_dispatch_ptr 0
		.amdhsa_user_sgpr_queue_ptr 0
		.amdhsa_user_sgpr_kernarg_segment_ptr 1
		.amdhsa_user_sgpr_dispatch_id 0
		.amdhsa_user_sgpr_private_segment_size 0
		.amdhsa_wavefront_size32 1
		.amdhsa_uses_dynamic_stack 0
		.amdhsa_enable_private_segment 0
		.amdhsa_system_sgpr_workgroup_id_x 1
		.amdhsa_system_sgpr_workgroup_id_y 0
		.amdhsa_system_sgpr_workgroup_id_z 0
		.amdhsa_system_sgpr_workgroup_info 0
		.amdhsa_system_vgpr_workitem_id 0
		.amdhsa_next_free_vgpr 1
		.amdhsa_next_free_sgpr 1
		.amdhsa_reserve_vcc 0
		.amdhsa_float_round_mode_32 0
		.amdhsa_float_round_mode_16_64 0
		.amdhsa_float_denorm_mode_32 3
		.amdhsa_float_denorm_mode_16_64 3
		.amdhsa_fp16_overflow 0
		.amdhsa_workgroup_processor_mode 1
		.amdhsa_memory_ordered 1
		.amdhsa_forward_progress 1
		.amdhsa_inst_pref_size 0
		.amdhsa_round_robin_scheduling 0
		.amdhsa_exception_fp_ieee_invalid_op 0
		.amdhsa_exception_fp_denorm_src 0
		.amdhsa_exception_fp_ieee_div_zero 0
		.amdhsa_exception_fp_ieee_overflow 0
		.amdhsa_exception_fp_ieee_underflow 0
		.amdhsa_exception_fp_ieee_inexact 0
		.amdhsa_exception_int_div_zero 0
	.end_amdhsa_kernel
	.section	.text._ZN7rocprim17ROCPRIM_400000_NS6detail17trampoline_kernelINS0_14default_configENS1_25partition_config_selectorILNS1_17partition_subalgoE5EdNS0_10empty_typeEbEEZZNS1_14partition_implILS5_5ELb0ES3_mN6thrust23THRUST_200600_302600_NS6detail15normal_iteratorINSA_10device_ptrIdEEEEPS6_NSA_18transform_iteratorINSB_9not_fun_tI7is_trueIdEEENSC_INSD_IbEEEENSA_11use_defaultESO_EENS0_5tupleIJSF_S6_EEENSQ_IJSG_SG_EEES6_PlJS6_EEE10hipError_tPvRmT3_T4_T5_T6_T7_T9_mT8_P12ihipStream_tbDpT10_ENKUlT_T0_E_clISt17integral_constantIbLb1EES1D_EEDaS18_S19_EUlS18_E_NS1_11comp_targetILNS1_3genE8ELNS1_11target_archE1030ELNS1_3gpuE2ELNS1_3repE0EEENS1_30default_config_static_selectorELNS0_4arch9wavefront6targetE0EEEvT1_,"axG",@progbits,_ZN7rocprim17ROCPRIM_400000_NS6detail17trampoline_kernelINS0_14default_configENS1_25partition_config_selectorILNS1_17partition_subalgoE5EdNS0_10empty_typeEbEEZZNS1_14partition_implILS5_5ELb0ES3_mN6thrust23THRUST_200600_302600_NS6detail15normal_iteratorINSA_10device_ptrIdEEEEPS6_NSA_18transform_iteratorINSB_9not_fun_tI7is_trueIdEEENSC_INSD_IbEEEENSA_11use_defaultESO_EENS0_5tupleIJSF_S6_EEENSQ_IJSG_SG_EEES6_PlJS6_EEE10hipError_tPvRmT3_T4_T5_T6_T7_T9_mT8_P12ihipStream_tbDpT10_ENKUlT_T0_E_clISt17integral_constantIbLb1EES1D_EEDaS18_S19_EUlS18_E_NS1_11comp_targetILNS1_3genE8ELNS1_11target_archE1030ELNS1_3gpuE2ELNS1_3repE0EEENS1_30default_config_static_selectorELNS0_4arch9wavefront6targetE0EEEvT1_,comdat
.Lfunc_end2348:
	.size	_ZN7rocprim17ROCPRIM_400000_NS6detail17trampoline_kernelINS0_14default_configENS1_25partition_config_selectorILNS1_17partition_subalgoE5EdNS0_10empty_typeEbEEZZNS1_14partition_implILS5_5ELb0ES3_mN6thrust23THRUST_200600_302600_NS6detail15normal_iteratorINSA_10device_ptrIdEEEEPS6_NSA_18transform_iteratorINSB_9not_fun_tI7is_trueIdEEENSC_INSD_IbEEEENSA_11use_defaultESO_EENS0_5tupleIJSF_S6_EEENSQ_IJSG_SG_EEES6_PlJS6_EEE10hipError_tPvRmT3_T4_T5_T6_T7_T9_mT8_P12ihipStream_tbDpT10_ENKUlT_T0_E_clISt17integral_constantIbLb1EES1D_EEDaS18_S19_EUlS18_E_NS1_11comp_targetILNS1_3genE8ELNS1_11target_archE1030ELNS1_3gpuE2ELNS1_3repE0EEENS1_30default_config_static_selectorELNS0_4arch9wavefront6targetE0EEEvT1_, .Lfunc_end2348-_ZN7rocprim17ROCPRIM_400000_NS6detail17trampoline_kernelINS0_14default_configENS1_25partition_config_selectorILNS1_17partition_subalgoE5EdNS0_10empty_typeEbEEZZNS1_14partition_implILS5_5ELb0ES3_mN6thrust23THRUST_200600_302600_NS6detail15normal_iteratorINSA_10device_ptrIdEEEEPS6_NSA_18transform_iteratorINSB_9not_fun_tI7is_trueIdEEENSC_INSD_IbEEEENSA_11use_defaultESO_EENS0_5tupleIJSF_S6_EEENSQ_IJSG_SG_EEES6_PlJS6_EEE10hipError_tPvRmT3_T4_T5_T6_T7_T9_mT8_P12ihipStream_tbDpT10_ENKUlT_T0_E_clISt17integral_constantIbLb1EES1D_EEDaS18_S19_EUlS18_E_NS1_11comp_targetILNS1_3genE8ELNS1_11target_archE1030ELNS1_3gpuE2ELNS1_3repE0EEENS1_30default_config_static_selectorELNS0_4arch9wavefront6targetE0EEEvT1_
                                        ; -- End function
	.set _ZN7rocprim17ROCPRIM_400000_NS6detail17trampoline_kernelINS0_14default_configENS1_25partition_config_selectorILNS1_17partition_subalgoE5EdNS0_10empty_typeEbEEZZNS1_14partition_implILS5_5ELb0ES3_mN6thrust23THRUST_200600_302600_NS6detail15normal_iteratorINSA_10device_ptrIdEEEEPS6_NSA_18transform_iteratorINSB_9not_fun_tI7is_trueIdEEENSC_INSD_IbEEEENSA_11use_defaultESO_EENS0_5tupleIJSF_S6_EEENSQ_IJSG_SG_EEES6_PlJS6_EEE10hipError_tPvRmT3_T4_T5_T6_T7_T9_mT8_P12ihipStream_tbDpT10_ENKUlT_T0_E_clISt17integral_constantIbLb1EES1D_EEDaS18_S19_EUlS18_E_NS1_11comp_targetILNS1_3genE8ELNS1_11target_archE1030ELNS1_3gpuE2ELNS1_3repE0EEENS1_30default_config_static_selectorELNS0_4arch9wavefront6targetE0EEEvT1_.num_vgpr, 0
	.set _ZN7rocprim17ROCPRIM_400000_NS6detail17trampoline_kernelINS0_14default_configENS1_25partition_config_selectorILNS1_17partition_subalgoE5EdNS0_10empty_typeEbEEZZNS1_14partition_implILS5_5ELb0ES3_mN6thrust23THRUST_200600_302600_NS6detail15normal_iteratorINSA_10device_ptrIdEEEEPS6_NSA_18transform_iteratorINSB_9not_fun_tI7is_trueIdEEENSC_INSD_IbEEEENSA_11use_defaultESO_EENS0_5tupleIJSF_S6_EEENSQ_IJSG_SG_EEES6_PlJS6_EEE10hipError_tPvRmT3_T4_T5_T6_T7_T9_mT8_P12ihipStream_tbDpT10_ENKUlT_T0_E_clISt17integral_constantIbLb1EES1D_EEDaS18_S19_EUlS18_E_NS1_11comp_targetILNS1_3genE8ELNS1_11target_archE1030ELNS1_3gpuE2ELNS1_3repE0EEENS1_30default_config_static_selectorELNS0_4arch9wavefront6targetE0EEEvT1_.num_agpr, 0
	.set _ZN7rocprim17ROCPRIM_400000_NS6detail17trampoline_kernelINS0_14default_configENS1_25partition_config_selectorILNS1_17partition_subalgoE5EdNS0_10empty_typeEbEEZZNS1_14partition_implILS5_5ELb0ES3_mN6thrust23THRUST_200600_302600_NS6detail15normal_iteratorINSA_10device_ptrIdEEEEPS6_NSA_18transform_iteratorINSB_9not_fun_tI7is_trueIdEEENSC_INSD_IbEEEENSA_11use_defaultESO_EENS0_5tupleIJSF_S6_EEENSQ_IJSG_SG_EEES6_PlJS6_EEE10hipError_tPvRmT3_T4_T5_T6_T7_T9_mT8_P12ihipStream_tbDpT10_ENKUlT_T0_E_clISt17integral_constantIbLb1EES1D_EEDaS18_S19_EUlS18_E_NS1_11comp_targetILNS1_3genE8ELNS1_11target_archE1030ELNS1_3gpuE2ELNS1_3repE0EEENS1_30default_config_static_selectorELNS0_4arch9wavefront6targetE0EEEvT1_.numbered_sgpr, 0
	.set _ZN7rocprim17ROCPRIM_400000_NS6detail17trampoline_kernelINS0_14default_configENS1_25partition_config_selectorILNS1_17partition_subalgoE5EdNS0_10empty_typeEbEEZZNS1_14partition_implILS5_5ELb0ES3_mN6thrust23THRUST_200600_302600_NS6detail15normal_iteratorINSA_10device_ptrIdEEEEPS6_NSA_18transform_iteratorINSB_9not_fun_tI7is_trueIdEEENSC_INSD_IbEEEENSA_11use_defaultESO_EENS0_5tupleIJSF_S6_EEENSQ_IJSG_SG_EEES6_PlJS6_EEE10hipError_tPvRmT3_T4_T5_T6_T7_T9_mT8_P12ihipStream_tbDpT10_ENKUlT_T0_E_clISt17integral_constantIbLb1EES1D_EEDaS18_S19_EUlS18_E_NS1_11comp_targetILNS1_3genE8ELNS1_11target_archE1030ELNS1_3gpuE2ELNS1_3repE0EEENS1_30default_config_static_selectorELNS0_4arch9wavefront6targetE0EEEvT1_.num_named_barrier, 0
	.set _ZN7rocprim17ROCPRIM_400000_NS6detail17trampoline_kernelINS0_14default_configENS1_25partition_config_selectorILNS1_17partition_subalgoE5EdNS0_10empty_typeEbEEZZNS1_14partition_implILS5_5ELb0ES3_mN6thrust23THRUST_200600_302600_NS6detail15normal_iteratorINSA_10device_ptrIdEEEEPS6_NSA_18transform_iteratorINSB_9not_fun_tI7is_trueIdEEENSC_INSD_IbEEEENSA_11use_defaultESO_EENS0_5tupleIJSF_S6_EEENSQ_IJSG_SG_EEES6_PlJS6_EEE10hipError_tPvRmT3_T4_T5_T6_T7_T9_mT8_P12ihipStream_tbDpT10_ENKUlT_T0_E_clISt17integral_constantIbLb1EES1D_EEDaS18_S19_EUlS18_E_NS1_11comp_targetILNS1_3genE8ELNS1_11target_archE1030ELNS1_3gpuE2ELNS1_3repE0EEENS1_30default_config_static_selectorELNS0_4arch9wavefront6targetE0EEEvT1_.private_seg_size, 0
	.set _ZN7rocprim17ROCPRIM_400000_NS6detail17trampoline_kernelINS0_14default_configENS1_25partition_config_selectorILNS1_17partition_subalgoE5EdNS0_10empty_typeEbEEZZNS1_14partition_implILS5_5ELb0ES3_mN6thrust23THRUST_200600_302600_NS6detail15normal_iteratorINSA_10device_ptrIdEEEEPS6_NSA_18transform_iteratorINSB_9not_fun_tI7is_trueIdEEENSC_INSD_IbEEEENSA_11use_defaultESO_EENS0_5tupleIJSF_S6_EEENSQ_IJSG_SG_EEES6_PlJS6_EEE10hipError_tPvRmT3_T4_T5_T6_T7_T9_mT8_P12ihipStream_tbDpT10_ENKUlT_T0_E_clISt17integral_constantIbLb1EES1D_EEDaS18_S19_EUlS18_E_NS1_11comp_targetILNS1_3genE8ELNS1_11target_archE1030ELNS1_3gpuE2ELNS1_3repE0EEENS1_30default_config_static_selectorELNS0_4arch9wavefront6targetE0EEEvT1_.uses_vcc, 0
	.set _ZN7rocprim17ROCPRIM_400000_NS6detail17trampoline_kernelINS0_14default_configENS1_25partition_config_selectorILNS1_17partition_subalgoE5EdNS0_10empty_typeEbEEZZNS1_14partition_implILS5_5ELb0ES3_mN6thrust23THRUST_200600_302600_NS6detail15normal_iteratorINSA_10device_ptrIdEEEEPS6_NSA_18transform_iteratorINSB_9not_fun_tI7is_trueIdEEENSC_INSD_IbEEEENSA_11use_defaultESO_EENS0_5tupleIJSF_S6_EEENSQ_IJSG_SG_EEES6_PlJS6_EEE10hipError_tPvRmT3_T4_T5_T6_T7_T9_mT8_P12ihipStream_tbDpT10_ENKUlT_T0_E_clISt17integral_constantIbLb1EES1D_EEDaS18_S19_EUlS18_E_NS1_11comp_targetILNS1_3genE8ELNS1_11target_archE1030ELNS1_3gpuE2ELNS1_3repE0EEENS1_30default_config_static_selectorELNS0_4arch9wavefront6targetE0EEEvT1_.uses_flat_scratch, 0
	.set _ZN7rocprim17ROCPRIM_400000_NS6detail17trampoline_kernelINS0_14default_configENS1_25partition_config_selectorILNS1_17partition_subalgoE5EdNS0_10empty_typeEbEEZZNS1_14partition_implILS5_5ELb0ES3_mN6thrust23THRUST_200600_302600_NS6detail15normal_iteratorINSA_10device_ptrIdEEEEPS6_NSA_18transform_iteratorINSB_9not_fun_tI7is_trueIdEEENSC_INSD_IbEEEENSA_11use_defaultESO_EENS0_5tupleIJSF_S6_EEENSQ_IJSG_SG_EEES6_PlJS6_EEE10hipError_tPvRmT3_T4_T5_T6_T7_T9_mT8_P12ihipStream_tbDpT10_ENKUlT_T0_E_clISt17integral_constantIbLb1EES1D_EEDaS18_S19_EUlS18_E_NS1_11comp_targetILNS1_3genE8ELNS1_11target_archE1030ELNS1_3gpuE2ELNS1_3repE0EEENS1_30default_config_static_selectorELNS0_4arch9wavefront6targetE0EEEvT1_.has_dyn_sized_stack, 0
	.set _ZN7rocprim17ROCPRIM_400000_NS6detail17trampoline_kernelINS0_14default_configENS1_25partition_config_selectorILNS1_17partition_subalgoE5EdNS0_10empty_typeEbEEZZNS1_14partition_implILS5_5ELb0ES3_mN6thrust23THRUST_200600_302600_NS6detail15normal_iteratorINSA_10device_ptrIdEEEEPS6_NSA_18transform_iteratorINSB_9not_fun_tI7is_trueIdEEENSC_INSD_IbEEEENSA_11use_defaultESO_EENS0_5tupleIJSF_S6_EEENSQ_IJSG_SG_EEES6_PlJS6_EEE10hipError_tPvRmT3_T4_T5_T6_T7_T9_mT8_P12ihipStream_tbDpT10_ENKUlT_T0_E_clISt17integral_constantIbLb1EES1D_EEDaS18_S19_EUlS18_E_NS1_11comp_targetILNS1_3genE8ELNS1_11target_archE1030ELNS1_3gpuE2ELNS1_3repE0EEENS1_30default_config_static_selectorELNS0_4arch9wavefront6targetE0EEEvT1_.has_recursion, 0
	.set _ZN7rocprim17ROCPRIM_400000_NS6detail17trampoline_kernelINS0_14default_configENS1_25partition_config_selectorILNS1_17partition_subalgoE5EdNS0_10empty_typeEbEEZZNS1_14partition_implILS5_5ELb0ES3_mN6thrust23THRUST_200600_302600_NS6detail15normal_iteratorINSA_10device_ptrIdEEEEPS6_NSA_18transform_iteratorINSB_9not_fun_tI7is_trueIdEEENSC_INSD_IbEEEENSA_11use_defaultESO_EENS0_5tupleIJSF_S6_EEENSQ_IJSG_SG_EEES6_PlJS6_EEE10hipError_tPvRmT3_T4_T5_T6_T7_T9_mT8_P12ihipStream_tbDpT10_ENKUlT_T0_E_clISt17integral_constantIbLb1EES1D_EEDaS18_S19_EUlS18_E_NS1_11comp_targetILNS1_3genE8ELNS1_11target_archE1030ELNS1_3gpuE2ELNS1_3repE0EEENS1_30default_config_static_selectorELNS0_4arch9wavefront6targetE0EEEvT1_.has_indirect_call, 0
	.section	.AMDGPU.csdata,"",@progbits
; Kernel info:
; codeLenInByte = 0
; TotalNumSgprs: 0
; NumVgprs: 0
; ScratchSize: 0
; MemoryBound: 0
; FloatMode: 240
; IeeeMode: 1
; LDSByteSize: 0 bytes/workgroup (compile time only)
; SGPRBlocks: 0
; VGPRBlocks: 0
; NumSGPRsForWavesPerEU: 1
; NumVGPRsForWavesPerEU: 1
; Occupancy: 16
; WaveLimiterHint : 0
; COMPUTE_PGM_RSRC2:SCRATCH_EN: 0
; COMPUTE_PGM_RSRC2:USER_SGPR: 2
; COMPUTE_PGM_RSRC2:TRAP_HANDLER: 0
; COMPUTE_PGM_RSRC2:TGID_X_EN: 1
; COMPUTE_PGM_RSRC2:TGID_Y_EN: 0
; COMPUTE_PGM_RSRC2:TGID_Z_EN: 0
; COMPUTE_PGM_RSRC2:TIDIG_COMP_CNT: 0
	.section	.text._ZN7rocprim17ROCPRIM_400000_NS6detail17trampoline_kernelINS0_14default_configENS1_25partition_config_selectorILNS1_17partition_subalgoE5EdNS0_10empty_typeEbEEZZNS1_14partition_implILS5_5ELb0ES3_mN6thrust23THRUST_200600_302600_NS6detail15normal_iteratorINSA_10device_ptrIdEEEEPS6_NSA_18transform_iteratorINSB_9not_fun_tI7is_trueIdEEENSC_INSD_IbEEEENSA_11use_defaultESO_EENS0_5tupleIJSF_S6_EEENSQ_IJSG_SG_EEES6_PlJS6_EEE10hipError_tPvRmT3_T4_T5_T6_T7_T9_mT8_P12ihipStream_tbDpT10_ENKUlT_T0_E_clISt17integral_constantIbLb1EES1C_IbLb0EEEEDaS18_S19_EUlS18_E_NS1_11comp_targetILNS1_3genE0ELNS1_11target_archE4294967295ELNS1_3gpuE0ELNS1_3repE0EEENS1_30default_config_static_selectorELNS0_4arch9wavefront6targetE0EEEvT1_,"axG",@progbits,_ZN7rocprim17ROCPRIM_400000_NS6detail17trampoline_kernelINS0_14default_configENS1_25partition_config_selectorILNS1_17partition_subalgoE5EdNS0_10empty_typeEbEEZZNS1_14partition_implILS5_5ELb0ES3_mN6thrust23THRUST_200600_302600_NS6detail15normal_iteratorINSA_10device_ptrIdEEEEPS6_NSA_18transform_iteratorINSB_9not_fun_tI7is_trueIdEEENSC_INSD_IbEEEENSA_11use_defaultESO_EENS0_5tupleIJSF_S6_EEENSQ_IJSG_SG_EEES6_PlJS6_EEE10hipError_tPvRmT3_T4_T5_T6_T7_T9_mT8_P12ihipStream_tbDpT10_ENKUlT_T0_E_clISt17integral_constantIbLb1EES1C_IbLb0EEEEDaS18_S19_EUlS18_E_NS1_11comp_targetILNS1_3genE0ELNS1_11target_archE4294967295ELNS1_3gpuE0ELNS1_3repE0EEENS1_30default_config_static_selectorELNS0_4arch9wavefront6targetE0EEEvT1_,comdat
	.protected	_ZN7rocprim17ROCPRIM_400000_NS6detail17trampoline_kernelINS0_14default_configENS1_25partition_config_selectorILNS1_17partition_subalgoE5EdNS0_10empty_typeEbEEZZNS1_14partition_implILS5_5ELb0ES3_mN6thrust23THRUST_200600_302600_NS6detail15normal_iteratorINSA_10device_ptrIdEEEEPS6_NSA_18transform_iteratorINSB_9not_fun_tI7is_trueIdEEENSC_INSD_IbEEEENSA_11use_defaultESO_EENS0_5tupleIJSF_S6_EEENSQ_IJSG_SG_EEES6_PlJS6_EEE10hipError_tPvRmT3_T4_T5_T6_T7_T9_mT8_P12ihipStream_tbDpT10_ENKUlT_T0_E_clISt17integral_constantIbLb1EES1C_IbLb0EEEEDaS18_S19_EUlS18_E_NS1_11comp_targetILNS1_3genE0ELNS1_11target_archE4294967295ELNS1_3gpuE0ELNS1_3repE0EEENS1_30default_config_static_selectorELNS0_4arch9wavefront6targetE0EEEvT1_ ; -- Begin function _ZN7rocprim17ROCPRIM_400000_NS6detail17trampoline_kernelINS0_14default_configENS1_25partition_config_selectorILNS1_17partition_subalgoE5EdNS0_10empty_typeEbEEZZNS1_14partition_implILS5_5ELb0ES3_mN6thrust23THRUST_200600_302600_NS6detail15normal_iteratorINSA_10device_ptrIdEEEEPS6_NSA_18transform_iteratorINSB_9not_fun_tI7is_trueIdEEENSC_INSD_IbEEEENSA_11use_defaultESO_EENS0_5tupleIJSF_S6_EEENSQ_IJSG_SG_EEES6_PlJS6_EEE10hipError_tPvRmT3_T4_T5_T6_T7_T9_mT8_P12ihipStream_tbDpT10_ENKUlT_T0_E_clISt17integral_constantIbLb1EES1C_IbLb0EEEEDaS18_S19_EUlS18_E_NS1_11comp_targetILNS1_3genE0ELNS1_11target_archE4294967295ELNS1_3gpuE0ELNS1_3repE0EEENS1_30default_config_static_selectorELNS0_4arch9wavefront6targetE0EEEvT1_
	.globl	_ZN7rocprim17ROCPRIM_400000_NS6detail17trampoline_kernelINS0_14default_configENS1_25partition_config_selectorILNS1_17partition_subalgoE5EdNS0_10empty_typeEbEEZZNS1_14partition_implILS5_5ELb0ES3_mN6thrust23THRUST_200600_302600_NS6detail15normal_iteratorINSA_10device_ptrIdEEEEPS6_NSA_18transform_iteratorINSB_9not_fun_tI7is_trueIdEEENSC_INSD_IbEEEENSA_11use_defaultESO_EENS0_5tupleIJSF_S6_EEENSQ_IJSG_SG_EEES6_PlJS6_EEE10hipError_tPvRmT3_T4_T5_T6_T7_T9_mT8_P12ihipStream_tbDpT10_ENKUlT_T0_E_clISt17integral_constantIbLb1EES1C_IbLb0EEEEDaS18_S19_EUlS18_E_NS1_11comp_targetILNS1_3genE0ELNS1_11target_archE4294967295ELNS1_3gpuE0ELNS1_3repE0EEENS1_30default_config_static_selectorELNS0_4arch9wavefront6targetE0EEEvT1_
	.p2align	8
	.type	_ZN7rocprim17ROCPRIM_400000_NS6detail17trampoline_kernelINS0_14default_configENS1_25partition_config_selectorILNS1_17partition_subalgoE5EdNS0_10empty_typeEbEEZZNS1_14partition_implILS5_5ELb0ES3_mN6thrust23THRUST_200600_302600_NS6detail15normal_iteratorINSA_10device_ptrIdEEEEPS6_NSA_18transform_iteratorINSB_9not_fun_tI7is_trueIdEEENSC_INSD_IbEEEENSA_11use_defaultESO_EENS0_5tupleIJSF_S6_EEENSQ_IJSG_SG_EEES6_PlJS6_EEE10hipError_tPvRmT3_T4_T5_T6_T7_T9_mT8_P12ihipStream_tbDpT10_ENKUlT_T0_E_clISt17integral_constantIbLb1EES1C_IbLb0EEEEDaS18_S19_EUlS18_E_NS1_11comp_targetILNS1_3genE0ELNS1_11target_archE4294967295ELNS1_3gpuE0ELNS1_3repE0EEENS1_30default_config_static_selectorELNS0_4arch9wavefront6targetE0EEEvT1_,@function
_ZN7rocprim17ROCPRIM_400000_NS6detail17trampoline_kernelINS0_14default_configENS1_25partition_config_selectorILNS1_17partition_subalgoE5EdNS0_10empty_typeEbEEZZNS1_14partition_implILS5_5ELb0ES3_mN6thrust23THRUST_200600_302600_NS6detail15normal_iteratorINSA_10device_ptrIdEEEEPS6_NSA_18transform_iteratorINSB_9not_fun_tI7is_trueIdEEENSC_INSD_IbEEEENSA_11use_defaultESO_EENS0_5tupleIJSF_S6_EEENSQ_IJSG_SG_EEES6_PlJS6_EEE10hipError_tPvRmT3_T4_T5_T6_T7_T9_mT8_P12ihipStream_tbDpT10_ENKUlT_T0_E_clISt17integral_constantIbLb1EES1C_IbLb0EEEEDaS18_S19_EUlS18_E_NS1_11comp_targetILNS1_3genE0ELNS1_11target_archE4294967295ELNS1_3gpuE0ELNS1_3repE0EEENS1_30default_config_static_selectorELNS0_4arch9wavefront6targetE0EEEvT1_: ; @_ZN7rocprim17ROCPRIM_400000_NS6detail17trampoline_kernelINS0_14default_configENS1_25partition_config_selectorILNS1_17partition_subalgoE5EdNS0_10empty_typeEbEEZZNS1_14partition_implILS5_5ELb0ES3_mN6thrust23THRUST_200600_302600_NS6detail15normal_iteratorINSA_10device_ptrIdEEEEPS6_NSA_18transform_iteratorINSB_9not_fun_tI7is_trueIdEEENSC_INSD_IbEEEENSA_11use_defaultESO_EENS0_5tupleIJSF_S6_EEENSQ_IJSG_SG_EEES6_PlJS6_EEE10hipError_tPvRmT3_T4_T5_T6_T7_T9_mT8_P12ihipStream_tbDpT10_ENKUlT_T0_E_clISt17integral_constantIbLb1EES1C_IbLb0EEEEDaS18_S19_EUlS18_E_NS1_11comp_targetILNS1_3genE0ELNS1_11target_archE4294967295ELNS1_3gpuE0ELNS1_3repE0EEENS1_30default_config_static_selectorELNS0_4arch9wavefront6targetE0EEEvT1_
; %bb.0:
	.section	.rodata,"a",@progbits
	.p2align	6, 0x0
	.amdhsa_kernel _ZN7rocprim17ROCPRIM_400000_NS6detail17trampoline_kernelINS0_14default_configENS1_25partition_config_selectorILNS1_17partition_subalgoE5EdNS0_10empty_typeEbEEZZNS1_14partition_implILS5_5ELb0ES3_mN6thrust23THRUST_200600_302600_NS6detail15normal_iteratorINSA_10device_ptrIdEEEEPS6_NSA_18transform_iteratorINSB_9not_fun_tI7is_trueIdEEENSC_INSD_IbEEEENSA_11use_defaultESO_EENS0_5tupleIJSF_S6_EEENSQ_IJSG_SG_EEES6_PlJS6_EEE10hipError_tPvRmT3_T4_T5_T6_T7_T9_mT8_P12ihipStream_tbDpT10_ENKUlT_T0_E_clISt17integral_constantIbLb1EES1C_IbLb0EEEEDaS18_S19_EUlS18_E_NS1_11comp_targetILNS1_3genE0ELNS1_11target_archE4294967295ELNS1_3gpuE0ELNS1_3repE0EEENS1_30default_config_static_selectorELNS0_4arch9wavefront6targetE0EEEvT1_
		.amdhsa_group_segment_fixed_size 0
		.amdhsa_private_segment_fixed_size 0
		.amdhsa_kernarg_size 120
		.amdhsa_user_sgpr_count 2
		.amdhsa_user_sgpr_dispatch_ptr 0
		.amdhsa_user_sgpr_queue_ptr 0
		.amdhsa_user_sgpr_kernarg_segment_ptr 1
		.amdhsa_user_sgpr_dispatch_id 0
		.amdhsa_user_sgpr_private_segment_size 0
		.amdhsa_wavefront_size32 1
		.amdhsa_uses_dynamic_stack 0
		.amdhsa_enable_private_segment 0
		.amdhsa_system_sgpr_workgroup_id_x 1
		.amdhsa_system_sgpr_workgroup_id_y 0
		.amdhsa_system_sgpr_workgroup_id_z 0
		.amdhsa_system_sgpr_workgroup_info 0
		.amdhsa_system_vgpr_workitem_id 0
		.amdhsa_next_free_vgpr 1
		.amdhsa_next_free_sgpr 1
		.amdhsa_reserve_vcc 0
		.amdhsa_float_round_mode_32 0
		.amdhsa_float_round_mode_16_64 0
		.amdhsa_float_denorm_mode_32 3
		.amdhsa_float_denorm_mode_16_64 3
		.amdhsa_fp16_overflow 0
		.amdhsa_workgroup_processor_mode 1
		.amdhsa_memory_ordered 1
		.amdhsa_forward_progress 1
		.amdhsa_inst_pref_size 0
		.amdhsa_round_robin_scheduling 0
		.amdhsa_exception_fp_ieee_invalid_op 0
		.amdhsa_exception_fp_denorm_src 0
		.amdhsa_exception_fp_ieee_div_zero 0
		.amdhsa_exception_fp_ieee_overflow 0
		.amdhsa_exception_fp_ieee_underflow 0
		.amdhsa_exception_fp_ieee_inexact 0
		.amdhsa_exception_int_div_zero 0
	.end_amdhsa_kernel
	.section	.text._ZN7rocprim17ROCPRIM_400000_NS6detail17trampoline_kernelINS0_14default_configENS1_25partition_config_selectorILNS1_17partition_subalgoE5EdNS0_10empty_typeEbEEZZNS1_14partition_implILS5_5ELb0ES3_mN6thrust23THRUST_200600_302600_NS6detail15normal_iteratorINSA_10device_ptrIdEEEEPS6_NSA_18transform_iteratorINSB_9not_fun_tI7is_trueIdEEENSC_INSD_IbEEEENSA_11use_defaultESO_EENS0_5tupleIJSF_S6_EEENSQ_IJSG_SG_EEES6_PlJS6_EEE10hipError_tPvRmT3_T4_T5_T6_T7_T9_mT8_P12ihipStream_tbDpT10_ENKUlT_T0_E_clISt17integral_constantIbLb1EES1C_IbLb0EEEEDaS18_S19_EUlS18_E_NS1_11comp_targetILNS1_3genE0ELNS1_11target_archE4294967295ELNS1_3gpuE0ELNS1_3repE0EEENS1_30default_config_static_selectorELNS0_4arch9wavefront6targetE0EEEvT1_,"axG",@progbits,_ZN7rocprim17ROCPRIM_400000_NS6detail17trampoline_kernelINS0_14default_configENS1_25partition_config_selectorILNS1_17partition_subalgoE5EdNS0_10empty_typeEbEEZZNS1_14partition_implILS5_5ELb0ES3_mN6thrust23THRUST_200600_302600_NS6detail15normal_iteratorINSA_10device_ptrIdEEEEPS6_NSA_18transform_iteratorINSB_9not_fun_tI7is_trueIdEEENSC_INSD_IbEEEENSA_11use_defaultESO_EENS0_5tupleIJSF_S6_EEENSQ_IJSG_SG_EEES6_PlJS6_EEE10hipError_tPvRmT3_T4_T5_T6_T7_T9_mT8_P12ihipStream_tbDpT10_ENKUlT_T0_E_clISt17integral_constantIbLb1EES1C_IbLb0EEEEDaS18_S19_EUlS18_E_NS1_11comp_targetILNS1_3genE0ELNS1_11target_archE4294967295ELNS1_3gpuE0ELNS1_3repE0EEENS1_30default_config_static_selectorELNS0_4arch9wavefront6targetE0EEEvT1_,comdat
.Lfunc_end2349:
	.size	_ZN7rocprim17ROCPRIM_400000_NS6detail17trampoline_kernelINS0_14default_configENS1_25partition_config_selectorILNS1_17partition_subalgoE5EdNS0_10empty_typeEbEEZZNS1_14partition_implILS5_5ELb0ES3_mN6thrust23THRUST_200600_302600_NS6detail15normal_iteratorINSA_10device_ptrIdEEEEPS6_NSA_18transform_iteratorINSB_9not_fun_tI7is_trueIdEEENSC_INSD_IbEEEENSA_11use_defaultESO_EENS0_5tupleIJSF_S6_EEENSQ_IJSG_SG_EEES6_PlJS6_EEE10hipError_tPvRmT3_T4_T5_T6_T7_T9_mT8_P12ihipStream_tbDpT10_ENKUlT_T0_E_clISt17integral_constantIbLb1EES1C_IbLb0EEEEDaS18_S19_EUlS18_E_NS1_11comp_targetILNS1_3genE0ELNS1_11target_archE4294967295ELNS1_3gpuE0ELNS1_3repE0EEENS1_30default_config_static_selectorELNS0_4arch9wavefront6targetE0EEEvT1_, .Lfunc_end2349-_ZN7rocprim17ROCPRIM_400000_NS6detail17trampoline_kernelINS0_14default_configENS1_25partition_config_selectorILNS1_17partition_subalgoE5EdNS0_10empty_typeEbEEZZNS1_14partition_implILS5_5ELb0ES3_mN6thrust23THRUST_200600_302600_NS6detail15normal_iteratorINSA_10device_ptrIdEEEEPS6_NSA_18transform_iteratorINSB_9not_fun_tI7is_trueIdEEENSC_INSD_IbEEEENSA_11use_defaultESO_EENS0_5tupleIJSF_S6_EEENSQ_IJSG_SG_EEES6_PlJS6_EEE10hipError_tPvRmT3_T4_T5_T6_T7_T9_mT8_P12ihipStream_tbDpT10_ENKUlT_T0_E_clISt17integral_constantIbLb1EES1C_IbLb0EEEEDaS18_S19_EUlS18_E_NS1_11comp_targetILNS1_3genE0ELNS1_11target_archE4294967295ELNS1_3gpuE0ELNS1_3repE0EEENS1_30default_config_static_selectorELNS0_4arch9wavefront6targetE0EEEvT1_
                                        ; -- End function
	.set _ZN7rocprim17ROCPRIM_400000_NS6detail17trampoline_kernelINS0_14default_configENS1_25partition_config_selectorILNS1_17partition_subalgoE5EdNS0_10empty_typeEbEEZZNS1_14partition_implILS5_5ELb0ES3_mN6thrust23THRUST_200600_302600_NS6detail15normal_iteratorINSA_10device_ptrIdEEEEPS6_NSA_18transform_iteratorINSB_9not_fun_tI7is_trueIdEEENSC_INSD_IbEEEENSA_11use_defaultESO_EENS0_5tupleIJSF_S6_EEENSQ_IJSG_SG_EEES6_PlJS6_EEE10hipError_tPvRmT3_T4_T5_T6_T7_T9_mT8_P12ihipStream_tbDpT10_ENKUlT_T0_E_clISt17integral_constantIbLb1EES1C_IbLb0EEEEDaS18_S19_EUlS18_E_NS1_11comp_targetILNS1_3genE0ELNS1_11target_archE4294967295ELNS1_3gpuE0ELNS1_3repE0EEENS1_30default_config_static_selectorELNS0_4arch9wavefront6targetE0EEEvT1_.num_vgpr, 0
	.set _ZN7rocprim17ROCPRIM_400000_NS6detail17trampoline_kernelINS0_14default_configENS1_25partition_config_selectorILNS1_17partition_subalgoE5EdNS0_10empty_typeEbEEZZNS1_14partition_implILS5_5ELb0ES3_mN6thrust23THRUST_200600_302600_NS6detail15normal_iteratorINSA_10device_ptrIdEEEEPS6_NSA_18transform_iteratorINSB_9not_fun_tI7is_trueIdEEENSC_INSD_IbEEEENSA_11use_defaultESO_EENS0_5tupleIJSF_S6_EEENSQ_IJSG_SG_EEES6_PlJS6_EEE10hipError_tPvRmT3_T4_T5_T6_T7_T9_mT8_P12ihipStream_tbDpT10_ENKUlT_T0_E_clISt17integral_constantIbLb1EES1C_IbLb0EEEEDaS18_S19_EUlS18_E_NS1_11comp_targetILNS1_3genE0ELNS1_11target_archE4294967295ELNS1_3gpuE0ELNS1_3repE0EEENS1_30default_config_static_selectorELNS0_4arch9wavefront6targetE0EEEvT1_.num_agpr, 0
	.set _ZN7rocprim17ROCPRIM_400000_NS6detail17trampoline_kernelINS0_14default_configENS1_25partition_config_selectorILNS1_17partition_subalgoE5EdNS0_10empty_typeEbEEZZNS1_14partition_implILS5_5ELb0ES3_mN6thrust23THRUST_200600_302600_NS6detail15normal_iteratorINSA_10device_ptrIdEEEEPS6_NSA_18transform_iteratorINSB_9not_fun_tI7is_trueIdEEENSC_INSD_IbEEEENSA_11use_defaultESO_EENS0_5tupleIJSF_S6_EEENSQ_IJSG_SG_EEES6_PlJS6_EEE10hipError_tPvRmT3_T4_T5_T6_T7_T9_mT8_P12ihipStream_tbDpT10_ENKUlT_T0_E_clISt17integral_constantIbLb1EES1C_IbLb0EEEEDaS18_S19_EUlS18_E_NS1_11comp_targetILNS1_3genE0ELNS1_11target_archE4294967295ELNS1_3gpuE0ELNS1_3repE0EEENS1_30default_config_static_selectorELNS0_4arch9wavefront6targetE0EEEvT1_.numbered_sgpr, 0
	.set _ZN7rocprim17ROCPRIM_400000_NS6detail17trampoline_kernelINS0_14default_configENS1_25partition_config_selectorILNS1_17partition_subalgoE5EdNS0_10empty_typeEbEEZZNS1_14partition_implILS5_5ELb0ES3_mN6thrust23THRUST_200600_302600_NS6detail15normal_iteratorINSA_10device_ptrIdEEEEPS6_NSA_18transform_iteratorINSB_9not_fun_tI7is_trueIdEEENSC_INSD_IbEEEENSA_11use_defaultESO_EENS0_5tupleIJSF_S6_EEENSQ_IJSG_SG_EEES6_PlJS6_EEE10hipError_tPvRmT3_T4_T5_T6_T7_T9_mT8_P12ihipStream_tbDpT10_ENKUlT_T0_E_clISt17integral_constantIbLb1EES1C_IbLb0EEEEDaS18_S19_EUlS18_E_NS1_11comp_targetILNS1_3genE0ELNS1_11target_archE4294967295ELNS1_3gpuE0ELNS1_3repE0EEENS1_30default_config_static_selectorELNS0_4arch9wavefront6targetE0EEEvT1_.num_named_barrier, 0
	.set _ZN7rocprim17ROCPRIM_400000_NS6detail17trampoline_kernelINS0_14default_configENS1_25partition_config_selectorILNS1_17partition_subalgoE5EdNS0_10empty_typeEbEEZZNS1_14partition_implILS5_5ELb0ES3_mN6thrust23THRUST_200600_302600_NS6detail15normal_iteratorINSA_10device_ptrIdEEEEPS6_NSA_18transform_iteratorINSB_9not_fun_tI7is_trueIdEEENSC_INSD_IbEEEENSA_11use_defaultESO_EENS0_5tupleIJSF_S6_EEENSQ_IJSG_SG_EEES6_PlJS6_EEE10hipError_tPvRmT3_T4_T5_T6_T7_T9_mT8_P12ihipStream_tbDpT10_ENKUlT_T0_E_clISt17integral_constantIbLb1EES1C_IbLb0EEEEDaS18_S19_EUlS18_E_NS1_11comp_targetILNS1_3genE0ELNS1_11target_archE4294967295ELNS1_3gpuE0ELNS1_3repE0EEENS1_30default_config_static_selectorELNS0_4arch9wavefront6targetE0EEEvT1_.private_seg_size, 0
	.set _ZN7rocprim17ROCPRIM_400000_NS6detail17trampoline_kernelINS0_14default_configENS1_25partition_config_selectorILNS1_17partition_subalgoE5EdNS0_10empty_typeEbEEZZNS1_14partition_implILS5_5ELb0ES3_mN6thrust23THRUST_200600_302600_NS6detail15normal_iteratorINSA_10device_ptrIdEEEEPS6_NSA_18transform_iteratorINSB_9not_fun_tI7is_trueIdEEENSC_INSD_IbEEEENSA_11use_defaultESO_EENS0_5tupleIJSF_S6_EEENSQ_IJSG_SG_EEES6_PlJS6_EEE10hipError_tPvRmT3_T4_T5_T6_T7_T9_mT8_P12ihipStream_tbDpT10_ENKUlT_T0_E_clISt17integral_constantIbLb1EES1C_IbLb0EEEEDaS18_S19_EUlS18_E_NS1_11comp_targetILNS1_3genE0ELNS1_11target_archE4294967295ELNS1_3gpuE0ELNS1_3repE0EEENS1_30default_config_static_selectorELNS0_4arch9wavefront6targetE0EEEvT1_.uses_vcc, 0
	.set _ZN7rocprim17ROCPRIM_400000_NS6detail17trampoline_kernelINS0_14default_configENS1_25partition_config_selectorILNS1_17partition_subalgoE5EdNS0_10empty_typeEbEEZZNS1_14partition_implILS5_5ELb0ES3_mN6thrust23THRUST_200600_302600_NS6detail15normal_iteratorINSA_10device_ptrIdEEEEPS6_NSA_18transform_iteratorINSB_9not_fun_tI7is_trueIdEEENSC_INSD_IbEEEENSA_11use_defaultESO_EENS0_5tupleIJSF_S6_EEENSQ_IJSG_SG_EEES6_PlJS6_EEE10hipError_tPvRmT3_T4_T5_T6_T7_T9_mT8_P12ihipStream_tbDpT10_ENKUlT_T0_E_clISt17integral_constantIbLb1EES1C_IbLb0EEEEDaS18_S19_EUlS18_E_NS1_11comp_targetILNS1_3genE0ELNS1_11target_archE4294967295ELNS1_3gpuE0ELNS1_3repE0EEENS1_30default_config_static_selectorELNS0_4arch9wavefront6targetE0EEEvT1_.uses_flat_scratch, 0
	.set _ZN7rocprim17ROCPRIM_400000_NS6detail17trampoline_kernelINS0_14default_configENS1_25partition_config_selectorILNS1_17partition_subalgoE5EdNS0_10empty_typeEbEEZZNS1_14partition_implILS5_5ELb0ES3_mN6thrust23THRUST_200600_302600_NS6detail15normal_iteratorINSA_10device_ptrIdEEEEPS6_NSA_18transform_iteratorINSB_9not_fun_tI7is_trueIdEEENSC_INSD_IbEEEENSA_11use_defaultESO_EENS0_5tupleIJSF_S6_EEENSQ_IJSG_SG_EEES6_PlJS6_EEE10hipError_tPvRmT3_T4_T5_T6_T7_T9_mT8_P12ihipStream_tbDpT10_ENKUlT_T0_E_clISt17integral_constantIbLb1EES1C_IbLb0EEEEDaS18_S19_EUlS18_E_NS1_11comp_targetILNS1_3genE0ELNS1_11target_archE4294967295ELNS1_3gpuE0ELNS1_3repE0EEENS1_30default_config_static_selectorELNS0_4arch9wavefront6targetE0EEEvT1_.has_dyn_sized_stack, 0
	.set _ZN7rocprim17ROCPRIM_400000_NS6detail17trampoline_kernelINS0_14default_configENS1_25partition_config_selectorILNS1_17partition_subalgoE5EdNS0_10empty_typeEbEEZZNS1_14partition_implILS5_5ELb0ES3_mN6thrust23THRUST_200600_302600_NS6detail15normal_iteratorINSA_10device_ptrIdEEEEPS6_NSA_18transform_iteratorINSB_9not_fun_tI7is_trueIdEEENSC_INSD_IbEEEENSA_11use_defaultESO_EENS0_5tupleIJSF_S6_EEENSQ_IJSG_SG_EEES6_PlJS6_EEE10hipError_tPvRmT3_T4_T5_T6_T7_T9_mT8_P12ihipStream_tbDpT10_ENKUlT_T0_E_clISt17integral_constantIbLb1EES1C_IbLb0EEEEDaS18_S19_EUlS18_E_NS1_11comp_targetILNS1_3genE0ELNS1_11target_archE4294967295ELNS1_3gpuE0ELNS1_3repE0EEENS1_30default_config_static_selectorELNS0_4arch9wavefront6targetE0EEEvT1_.has_recursion, 0
	.set _ZN7rocprim17ROCPRIM_400000_NS6detail17trampoline_kernelINS0_14default_configENS1_25partition_config_selectorILNS1_17partition_subalgoE5EdNS0_10empty_typeEbEEZZNS1_14partition_implILS5_5ELb0ES3_mN6thrust23THRUST_200600_302600_NS6detail15normal_iteratorINSA_10device_ptrIdEEEEPS6_NSA_18transform_iteratorINSB_9not_fun_tI7is_trueIdEEENSC_INSD_IbEEEENSA_11use_defaultESO_EENS0_5tupleIJSF_S6_EEENSQ_IJSG_SG_EEES6_PlJS6_EEE10hipError_tPvRmT3_T4_T5_T6_T7_T9_mT8_P12ihipStream_tbDpT10_ENKUlT_T0_E_clISt17integral_constantIbLb1EES1C_IbLb0EEEEDaS18_S19_EUlS18_E_NS1_11comp_targetILNS1_3genE0ELNS1_11target_archE4294967295ELNS1_3gpuE0ELNS1_3repE0EEENS1_30default_config_static_selectorELNS0_4arch9wavefront6targetE0EEEvT1_.has_indirect_call, 0
	.section	.AMDGPU.csdata,"",@progbits
; Kernel info:
; codeLenInByte = 0
; TotalNumSgprs: 0
; NumVgprs: 0
; ScratchSize: 0
; MemoryBound: 0
; FloatMode: 240
; IeeeMode: 1
; LDSByteSize: 0 bytes/workgroup (compile time only)
; SGPRBlocks: 0
; VGPRBlocks: 0
; NumSGPRsForWavesPerEU: 1
; NumVGPRsForWavesPerEU: 1
; Occupancy: 16
; WaveLimiterHint : 0
; COMPUTE_PGM_RSRC2:SCRATCH_EN: 0
; COMPUTE_PGM_RSRC2:USER_SGPR: 2
; COMPUTE_PGM_RSRC2:TRAP_HANDLER: 0
; COMPUTE_PGM_RSRC2:TGID_X_EN: 1
; COMPUTE_PGM_RSRC2:TGID_Y_EN: 0
; COMPUTE_PGM_RSRC2:TGID_Z_EN: 0
; COMPUTE_PGM_RSRC2:TIDIG_COMP_CNT: 0
	.section	.text._ZN7rocprim17ROCPRIM_400000_NS6detail17trampoline_kernelINS0_14default_configENS1_25partition_config_selectorILNS1_17partition_subalgoE5EdNS0_10empty_typeEbEEZZNS1_14partition_implILS5_5ELb0ES3_mN6thrust23THRUST_200600_302600_NS6detail15normal_iteratorINSA_10device_ptrIdEEEEPS6_NSA_18transform_iteratorINSB_9not_fun_tI7is_trueIdEEENSC_INSD_IbEEEENSA_11use_defaultESO_EENS0_5tupleIJSF_S6_EEENSQ_IJSG_SG_EEES6_PlJS6_EEE10hipError_tPvRmT3_T4_T5_T6_T7_T9_mT8_P12ihipStream_tbDpT10_ENKUlT_T0_E_clISt17integral_constantIbLb1EES1C_IbLb0EEEEDaS18_S19_EUlS18_E_NS1_11comp_targetILNS1_3genE5ELNS1_11target_archE942ELNS1_3gpuE9ELNS1_3repE0EEENS1_30default_config_static_selectorELNS0_4arch9wavefront6targetE0EEEvT1_,"axG",@progbits,_ZN7rocprim17ROCPRIM_400000_NS6detail17trampoline_kernelINS0_14default_configENS1_25partition_config_selectorILNS1_17partition_subalgoE5EdNS0_10empty_typeEbEEZZNS1_14partition_implILS5_5ELb0ES3_mN6thrust23THRUST_200600_302600_NS6detail15normal_iteratorINSA_10device_ptrIdEEEEPS6_NSA_18transform_iteratorINSB_9not_fun_tI7is_trueIdEEENSC_INSD_IbEEEENSA_11use_defaultESO_EENS0_5tupleIJSF_S6_EEENSQ_IJSG_SG_EEES6_PlJS6_EEE10hipError_tPvRmT3_T4_T5_T6_T7_T9_mT8_P12ihipStream_tbDpT10_ENKUlT_T0_E_clISt17integral_constantIbLb1EES1C_IbLb0EEEEDaS18_S19_EUlS18_E_NS1_11comp_targetILNS1_3genE5ELNS1_11target_archE942ELNS1_3gpuE9ELNS1_3repE0EEENS1_30default_config_static_selectorELNS0_4arch9wavefront6targetE0EEEvT1_,comdat
	.protected	_ZN7rocprim17ROCPRIM_400000_NS6detail17trampoline_kernelINS0_14default_configENS1_25partition_config_selectorILNS1_17partition_subalgoE5EdNS0_10empty_typeEbEEZZNS1_14partition_implILS5_5ELb0ES3_mN6thrust23THRUST_200600_302600_NS6detail15normal_iteratorINSA_10device_ptrIdEEEEPS6_NSA_18transform_iteratorINSB_9not_fun_tI7is_trueIdEEENSC_INSD_IbEEEENSA_11use_defaultESO_EENS0_5tupleIJSF_S6_EEENSQ_IJSG_SG_EEES6_PlJS6_EEE10hipError_tPvRmT3_T4_T5_T6_T7_T9_mT8_P12ihipStream_tbDpT10_ENKUlT_T0_E_clISt17integral_constantIbLb1EES1C_IbLb0EEEEDaS18_S19_EUlS18_E_NS1_11comp_targetILNS1_3genE5ELNS1_11target_archE942ELNS1_3gpuE9ELNS1_3repE0EEENS1_30default_config_static_selectorELNS0_4arch9wavefront6targetE0EEEvT1_ ; -- Begin function _ZN7rocprim17ROCPRIM_400000_NS6detail17trampoline_kernelINS0_14default_configENS1_25partition_config_selectorILNS1_17partition_subalgoE5EdNS0_10empty_typeEbEEZZNS1_14partition_implILS5_5ELb0ES3_mN6thrust23THRUST_200600_302600_NS6detail15normal_iteratorINSA_10device_ptrIdEEEEPS6_NSA_18transform_iteratorINSB_9not_fun_tI7is_trueIdEEENSC_INSD_IbEEEENSA_11use_defaultESO_EENS0_5tupleIJSF_S6_EEENSQ_IJSG_SG_EEES6_PlJS6_EEE10hipError_tPvRmT3_T4_T5_T6_T7_T9_mT8_P12ihipStream_tbDpT10_ENKUlT_T0_E_clISt17integral_constantIbLb1EES1C_IbLb0EEEEDaS18_S19_EUlS18_E_NS1_11comp_targetILNS1_3genE5ELNS1_11target_archE942ELNS1_3gpuE9ELNS1_3repE0EEENS1_30default_config_static_selectorELNS0_4arch9wavefront6targetE0EEEvT1_
	.globl	_ZN7rocprim17ROCPRIM_400000_NS6detail17trampoline_kernelINS0_14default_configENS1_25partition_config_selectorILNS1_17partition_subalgoE5EdNS0_10empty_typeEbEEZZNS1_14partition_implILS5_5ELb0ES3_mN6thrust23THRUST_200600_302600_NS6detail15normal_iteratorINSA_10device_ptrIdEEEEPS6_NSA_18transform_iteratorINSB_9not_fun_tI7is_trueIdEEENSC_INSD_IbEEEENSA_11use_defaultESO_EENS0_5tupleIJSF_S6_EEENSQ_IJSG_SG_EEES6_PlJS6_EEE10hipError_tPvRmT3_T4_T5_T6_T7_T9_mT8_P12ihipStream_tbDpT10_ENKUlT_T0_E_clISt17integral_constantIbLb1EES1C_IbLb0EEEEDaS18_S19_EUlS18_E_NS1_11comp_targetILNS1_3genE5ELNS1_11target_archE942ELNS1_3gpuE9ELNS1_3repE0EEENS1_30default_config_static_selectorELNS0_4arch9wavefront6targetE0EEEvT1_
	.p2align	8
	.type	_ZN7rocprim17ROCPRIM_400000_NS6detail17trampoline_kernelINS0_14default_configENS1_25partition_config_selectorILNS1_17partition_subalgoE5EdNS0_10empty_typeEbEEZZNS1_14partition_implILS5_5ELb0ES3_mN6thrust23THRUST_200600_302600_NS6detail15normal_iteratorINSA_10device_ptrIdEEEEPS6_NSA_18transform_iteratorINSB_9not_fun_tI7is_trueIdEEENSC_INSD_IbEEEENSA_11use_defaultESO_EENS0_5tupleIJSF_S6_EEENSQ_IJSG_SG_EEES6_PlJS6_EEE10hipError_tPvRmT3_T4_T5_T6_T7_T9_mT8_P12ihipStream_tbDpT10_ENKUlT_T0_E_clISt17integral_constantIbLb1EES1C_IbLb0EEEEDaS18_S19_EUlS18_E_NS1_11comp_targetILNS1_3genE5ELNS1_11target_archE942ELNS1_3gpuE9ELNS1_3repE0EEENS1_30default_config_static_selectorELNS0_4arch9wavefront6targetE0EEEvT1_,@function
_ZN7rocprim17ROCPRIM_400000_NS6detail17trampoline_kernelINS0_14default_configENS1_25partition_config_selectorILNS1_17partition_subalgoE5EdNS0_10empty_typeEbEEZZNS1_14partition_implILS5_5ELb0ES3_mN6thrust23THRUST_200600_302600_NS6detail15normal_iteratorINSA_10device_ptrIdEEEEPS6_NSA_18transform_iteratorINSB_9not_fun_tI7is_trueIdEEENSC_INSD_IbEEEENSA_11use_defaultESO_EENS0_5tupleIJSF_S6_EEENSQ_IJSG_SG_EEES6_PlJS6_EEE10hipError_tPvRmT3_T4_T5_T6_T7_T9_mT8_P12ihipStream_tbDpT10_ENKUlT_T0_E_clISt17integral_constantIbLb1EES1C_IbLb0EEEEDaS18_S19_EUlS18_E_NS1_11comp_targetILNS1_3genE5ELNS1_11target_archE942ELNS1_3gpuE9ELNS1_3repE0EEENS1_30default_config_static_selectorELNS0_4arch9wavefront6targetE0EEEvT1_: ; @_ZN7rocprim17ROCPRIM_400000_NS6detail17trampoline_kernelINS0_14default_configENS1_25partition_config_selectorILNS1_17partition_subalgoE5EdNS0_10empty_typeEbEEZZNS1_14partition_implILS5_5ELb0ES3_mN6thrust23THRUST_200600_302600_NS6detail15normal_iteratorINSA_10device_ptrIdEEEEPS6_NSA_18transform_iteratorINSB_9not_fun_tI7is_trueIdEEENSC_INSD_IbEEEENSA_11use_defaultESO_EENS0_5tupleIJSF_S6_EEENSQ_IJSG_SG_EEES6_PlJS6_EEE10hipError_tPvRmT3_T4_T5_T6_T7_T9_mT8_P12ihipStream_tbDpT10_ENKUlT_T0_E_clISt17integral_constantIbLb1EES1C_IbLb0EEEEDaS18_S19_EUlS18_E_NS1_11comp_targetILNS1_3genE5ELNS1_11target_archE942ELNS1_3gpuE9ELNS1_3repE0EEENS1_30default_config_static_selectorELNS0_4arch9wavefront6targetE0EEEvT1_
; %bb.0:
	.section	.rodata,"a",@progbits
	.p2align	6, 0x0
	.amdhsa_kernel _ZN7rocprim17ROCPRIM_400000_NS6detail17trampoline_kernelINS0_14default_configENS1_25partition_config_selectorILNS1_17partition_subalgoE5EdNS0_10empty_typeEbEEZZNS1_14partition_implILS5_5ELb0ES3_mN6thrust23THRUST_200600_302600_NS6detail15normal_iteratorINSA_10device_ptrIdEEEEPS6_NSA_18transform_iteratorINSB_9not_fun_tI7is_trueIdEEENSC_INSD_IbEEEENSA_11use_defaultESO_EENS0_5tupleIJSF_S6_EEENSQ_IJSG_SG_EEES6_PlJS6_EEE10hipError_tPvRmT3_T4_T5_T6_T7_T9_mT8_P12ihipStream_tbDpT10_ENKUlT_T0_E_clISt17integral_constantIbLb1EES1C_IbLb0EEEEDaS18_S19_EUlS18_E_NS1_11comp_targetILNS1_3genE5ELNS1_11target_archE942ELNS1_3gpuE9ELNS1_3repE0EEENS1_30default_config_static_selectorELNS0_4arch9wavefront6targetE0EEEvT1_
		.amdhsa_group_segment_fixed_size 0
		.amdhsa_private_segment_fixed_size 0
		.amdhsa_kernarg_size 120
		.amdhsa_user_sgpr_count 2
		.amdhsa_user_sgpr_dispatch_ptr 0
		.amdhsa_user_sgpr_queue_ptr 0
		.amdhsa_user_sgpr_kernarg_segment_ptr 1
		.amdhsa_user_sgpr_dispatch_id 0
		.amdhsa_user_sgpr_private_segment_size 0
		.amdhsa_wavefront_size32 1
		.amdhsa_uses_dynamic_stack 0
		.amdhsa_enable_private_segment 0
		.amdhsa_system_sgpr_workgroup_id_x 1
		.amdhsa_system_sgpr_workgroup_id_y 0
		.amdhsa_system_sgpr_workgroup_id_z 0
		.amdhsa_system_sgpr_workgroup_info 0
		.amdhsa_system_vgpr_workitem_id 0
		.amdhsa_next_free_vgpr 1
		.amdhsa_next_free_sgpr 1
		.amdhsa_reserve_vcc 0
		.amdhsa_float_round_mode_32 0
		.amdhsa_float_round_mode_16_64 0
		.amdhsa_float_denorm_mode_32 3
		.amdhsa_float_denorm_mode_16_64 3
		.amdhsa_fp16_overflow 0
		.amdhsa_workgroup_processor_mode 1
		.amdhsa_memory_ordered 1
		.amdhsa_forward_progress 1
		.amdhsa_inst_pref_size 0
		.amdhsa_round_robin_scheduling 0
		.amdhsa_exception_fp_ieee_invalid_op 0
		.amdhsa_exception_fp_denorm_src 0
		.amdhsa_exception_fp_ieee_div_zero 0
		.amdhsa_exception_fp_ieee_overflow 0
		.amdhsa_exception_fp_ieee_underflow 0
		.amdhsa_exception_fp_ieee_inexact 0
		.amdhsa_exception_int_div_zero 0
	.end_amdhsa_kernel
	.section	.text._ZN7rocprim17ROCPRIM_400000_NS6detail17trampoline_kernelINS0_14default_configENS1_25partition_config_selectorILNS1_17partition_subalgoE5EdNS0_10empty_typeEbEEZZNS1_14partition_implILS5_5ELb0ES3_mN6thrust23THRUST_200600_302600_NS6detail15normal_iteratorINSA_10device_ptrIdEEEEPS6_NSA_18transform_iteratorINSB_9not_fun_tI7is_trueIdEEENSC_INSD_IbEEEENSA_11use_defaultESO_EENS0_5tupleIJSF_S6_EEENSQ_IJSG_SG_EEES6_PlJS6_EEE10hipError_tPvRmT3_T4_T5_T6_T7_T9_mT8_P12ihipStream_tbDpT10_ENKUlT_T0_E_clISt17integral_constantIbLb1EES1C_IbLb0EEEEDaS18_S19_EUlS18_E_NS1_11comp_targetILNS1_3genE5ELNS1_11target_archE942ELNS1_3gpuE9ELNS1_3repE0EEENS1_30default_config_static_selectorELNS0_4arch9wavefront6targetE0EEEvT1_,"axG",@progbits,_ZN7rocprim17ROCPRIM_400000_NS6detail17trampoline_kernelINS0_14default_configENS1_25partition_config_selectorILNS1_17partition_subalgoE5EdNS0_10empty_typeEbEEZZNS1_14partition_implILS5_5ELb0ES3_mN6thrust23THRUST_200600_302600_NS6detail15normal_iteratorINSA_10device_ptrIdEEEEPS6_NSA_18transform_iteratorINSB_9not_fun_tI7is_trueIdEEENSC_INSD_IbEEEENSA_11use_defaultESO_EENS0_5tupleIJSF_S6_EEENSQ_IJSG_SG_EEES6_PlJS6_EEE10hipError_tPvRmT3_T4_T5_T6_T7_T9_mT8_P12ihipStream_tbDpT10_ENKUlT_T0_E_clISt17integral_constantIbLb1EES1C_IbLb0EEEEDaS18_S19_EUlS18_E_NS1_11comp_targetILNS1_3genE5ELNS1_11target_archE942ELNS1_3gpuE9ELNS1_3repE0EEENS1_30default_config_static_selectorELNS0_4arch9wavefront6targetE0EEEvT1_,comdat
.Lfunc_end2350:
	.size	_ZN7rocprim17ROCPRIM_400000_NS6detail17trampoline_kernelINS0_14default_configENS1_25partition_config_selectorILNS1_17partition_subalgoE5EdNS0_10empty_typeEbEEZZNS1_14partition_implILS5_5ELb0ES3_mN6thrust23THRUST_200600_302600_NS6detail15normal_iteratorINSA_10device_ptrIdEEEEPS6_NSA_18transform_iteratorINSB_9not_fun_tI7is_trueIdEEENSC_INSD_IbEEEENSA_11use_defaultESO_EENS0_5tupleIJSF_S6_EEENSQ_IJSG_SG_EEES6_PlJS6_EEE10hipError_tPvRmT3_T4_T5_T6_T7_T9_mT8_P12ihipStream_tbDpT10_ENKUlT_T0_E_clISt17integral_constantIbLb1EES1C_IbLb0EEEEDaS18_S19_EUlS18_E_NS1_11comp_targetILNS1_3genE5ELNS1_11target_archE942ELNS1_3gpuE9ELNS1_3repE0EEENS1_30default_config_static_selectorELNS0_4arch9wavefront6targetE0EEEvT1_, .Lfunc_end2350-_ZN7rocprim17ROCPRIM_400000_NS6detail17trampoline_kernelINS0_14default_configENS1_25partition_config_selectorILNS1_17partition_subalgoE5EdNS0_10empty_typeEbEEZZNS1_14partition_implILS5_5ELb0ES3_mN6thrust23THRUST_200600_302600_NS6detail15normal_iteratorINSA_10device_ptrIdEEEEPS6_NSA_18transform_iteratorINSB_9not_fun_tI7is_trueIdEEENSC_INSD_IbEEEENSA_11use_defaultESO_EENS0_5tupleIJSF_S6_EEENSQ_IJSG_SG_EEES6_PlJS6_EEE10hipError_tPvRmT3_T4_T5_T6_T7_T9_mT8_P12ihipStream_tbDpT10_ENKUlT_T0_E_clISt17integral_constantIbLb1EES1C_IbLb0EEEEDaS18_S19_EUlS18_E_NS1_11comp_targetILNS1_3genE5ELNS1_11target_archE942ELNS1_3gpuE9ELNS1_3repE0EEENS1_30default_config_static_selectorELNS0_4arch9wavefront6targetE0EEEvT1_
                                        ; -- End function
	.set _ZN7rocprim17ROCPRIM_400000_NS6detail17trampoline_kernelINS0_14default_configENS1_25partition_config_selectorILNS1_17partition_subalgoE5EdNS0_10empty_typeEbEEZZNS1_14partition_implILS5_5ELb0ES3_mN6thrust23THRUST_200600_302600_NS6detail15normal_iteratorINSA_10device_ptrIdEEEEPS6_NSA_18transform_iteratorINSB_9not_fun_tI7is_trueIdEEENSC_INSD_IbEEEENSA_11use_defaultESO_EENS0_5tupleIJSF_S6_EEENSQ_IJSG_SG_EEES6_PlJS6_EEE10hipError_tPvRmT3_T4_T5_T6_T7_T9_mT8_P12ihipStream_tbDpT10_ENKUlT_T0_E_clISt17integral_constantIbLb1EES1C_IbLb0EEEEDaS18_S19_EUlS18_E_NS1_11comp_targetILNS1_3genE5ELNS1_11target_archE942ELNS1_3gpuE9ELNS1_3repE0EEENS1_30default_config_static_selectorELNS0_4arch9wavefront6targetE0EEEvT1_.num_vgpr, 0
	.set _ZN7rocprim17ROCPRIM_400000_NS6detail17trampoline_kernelINS0_14default_configENS1_25partition_config_selectorILNS1_17partition_subalgoE5EdNS0_10empty_typeEbEEZZNS1_14partition_implILS5_5ELb0ES3_mN6thrust23THRUST_200600_302600_NS6detail15normal_iteratorINSA_10device_ptrIdEEEEPS6_NSA_18transform_iteratorINSB_9not_fun_tI7is_trueIdEEENSC_INSD_IbEEEENSA_11use_defaultESO_EENS0_5tupleIJSF_S6_EEENSQ_IJSG_SG_EEES6_PlJS6_EEE10hipError_tPvRmT3_T4_T5_T6_T7_T9_mT8_P12ihipStream_tbDpT10_ENKUlT_T0_E_clISt17integral_constantIbLb1EES1C_IbLb0EEEEDaS18_S19_EUlS18_E_NS1_11comp_targetILNS1_3genE5ELNS1_11target_archE942ELNS1_3gpuE9ELNS1_3repE0EEENS1_30default_config_static_selectorELNS0_4arch9wavefront6targetE0EEEvT1_.num_agpr, 0
	.set _ZN7rocprim17ROCPRIM_400000_NS6detail17trampoline_kernelINS0_14default_configENS1_25partition_config_selectorILNS1_17partition_subalgoE5EdNS0_10empty_typeEbEEZZNS1_14partition_implILS5_5ELb0ES3_mN6thrust23THRUST_200600_302600_NS6detail15normal_iteratorINSA_10device_ptrIdEEEEPS6_NSA_18transform_iteratorINSB_9not_fun_tI7is_trueIdEEENSC_INSD_IbEEEENSA_11use_defaultESO_EENS0_5tupleIJSF_S6_EEENSQ_IJSG_SG_EEES6_PlJS6_EEE10hipError_tPvRmT3_T4_T5_T6_T7_T9_mT8_P12ihipStream_tbDpT10_ENKUlT_T0_E_clISt17integral_constantIbLb1EES1C_IbLb0EEEEDaS18_S19_EUlS18_E_NS1_11comp_targetILNS1_3genE5ELNS1_11target_archE942ELNS1_3gpuE9ELNS1_3repE0EEENS1_30default_config_static_selectorELNS0_4arch9wavefront6targetE0EEEvT1_.numbered_sgpr, 0
	.set _ZN7rocprim17ROCPRIM_400000_NS6detail17trampoline_kernelINS0_14default_configENS1_25partition_config_selectorILNS1_17partition_subalgoE5EdNS0_10empty_typeEbEEZZNS1_14partition_implILS5_5ELb0ES3_mN6thrust23THRUST_200600_302600_NS6detail15normal_iteratorINSA_10device_ptrIdEEEEPS6_NSA_18transform_iteratorINSB_9not_fun_tI7is_trueIdEEENSC_INSD_IbEEEENSA_11use_defaultESO_EENS0_5tupleIJSF_S6_EEENSQ_IJSG_SG_EEES6_PlJS6_EEE10hipError_tPvRmT3_T4_T5_T6_T7_T9_mT8_P12ihipStream_tbDpT10_ENKUlT_T0_E_clISt17integral_constantIbLb1EES1C_IbLb0EEEEDaS18_S19_EUlS18_E_NS1_11comp_targetILNS1_3genE5ELNS1_11target_archE942ELNS1_3gpuE9ELNS1_3repE0EEENS1_30default_config_static_selectorELNS0_4arch9wavefront6targetE0EEEvT1_.num_named_barrier, 0
	.set _ZN7rocprim17ROCPRIM_400000_NS6detail17trampoline_kernelINS0_14default_configENS1_25partition_config_selectorILNS1_17partition_subalgoE5EdNS0_10empty_typeEbEEZZNS1_14partition_implILS5_5ELb0ES3_mN6thrust23THRUST_200600_302600_NS6detail15normal_iteratorINSA_10device_ptrIdEEEEPS6_NSA_18transform_iteratorINSB_9not_fun_tI7is_trueIdEEENSC_INSD_IbEEEENSA_11use_defaultESO_EENS0_5tupleIJSF_S6_EEENSQ_IJSG_SG_EEES6_PlJS6_EEE10hipError_tPvRmT3_T4_T5_T6_T7_T9_mT8_P12ihipStream_tbDpT10_ENKUlT_T0_E_clISt17integral_constantIbLb1EES1C_IbLb0EEEEDaS18_S19_EUlS18_E_NS1_11comp_targetILNS1_3genE5ELNS1_11target_archE942ELNS1_3gpuE9ELNS1_3repE0EEENS1_30default_config_static_selectorELNS0_4arch9wavefront6targetE0EEEvT1_.private_seg_size, 0
	.set _ZN7rocprim17ROCPRIM_400000_NS6detail17trampoline_kernelINS0_14default_configENS1_25partition_config_selectorILNS1_17partition_subalgoE5EdNS0_10empty_typeEbEEZZNS1_14partition_implILS5_5ELb0ES3_mN6thrust23THRUST_200600_302600_NS6detail15normal_iteratorINSA_10device_ptrIdEEEEPS6_NSA_18transform_iteratorINSB_9not_fun_tI7is_trueIdEEENSC_INSD_IbEEEENSA_11use_defaultESO_EENS0_5tupleIJSF_S6_EEENSQ_IJSG_SG_EEES6_PlJS6_EEE10hipError_tPvRmT3_T4_T5_T6_T7_T9_mT8_P12ihipStream_tbDpT10_ENKUlT_T0_E_clISt17integral_constantIbLb1EES1C_IbLb0EEEEDaS18_S19_EUlS18_E_NS1_11comp_targetILNS1_3genE5ELNS1_11target_archE942ELNS1_3gpuE9ELNS1_3repE0EEENS1_30default_config_static_selectorELNS0_4arch9wavefront6targetE0EEEvT1_.uses_vcc, 0
	.set _ZN7rocprim17ROCPRIM_400000_NS6detail17trampoline_kernelINS0_14default_configENS1_25partition_config_selectorILNS1_17partition_subalgoE5EdNS0_10empty_typeEbEEZZNS1_14partition_implILS5_5ELb0ES3_mN6thrust23THRUST_200600_302600_NS6detail15normal_iteratorINSA_10device_ptrIdEEEEPS6_NSA_18transform_iteratorINSB_9not_fun_tI7is_trueIdEEENSC_INSD_IbEEEENSA_11use_defaultESO_EENS0_5tupleIJSF_S6_EEENSQ_IJSG_SG_EEES6_PlJS6_EEE10hipError_tPvRmT3_T4_T5_T6_T7_T9_mT8_P12ihipStream_tbDpT10_ENKUlT_T0_E_clISt17integral_constantIbLb1EES1C_IbLb0EEEEDaS18_S19_EUlS18_E_NS1_11comp_targetILNS1_3genE5ELNS1_11target_archE942ELNS1_3gpuE9ELNS1_3repE0EEENS1_30default_config_static_selectorELNS0_4arch9wavefront6targetE0EEEvT1_.uses_flat_scratch, 0
	.set _ZN7rocprim17ROCPRIM_400000_NS6detail17trampoline_kernelINS0_14default_configENS1_25partition_config_selectorILNS1_17partition_subalgoE5EdNS0_10empty_typeEbEEZZNS1_14partition_implILS5_5ELb0ES3_mN6thrust23THRUST_200600_302600_NS6detail15normal_iteratorINSA_10device_ptrIdEEEEPS6_NSA_18transform_iteratorINSB_9not_fun_tI7is_trueIdEEENSC_INSD_IbEEEENSA_11use_defaultESO_EENS0_5tupleIJSF_S6_EEENSQ_IJSG_SG_EEES6_PlJS6_EEE10hipError_tPvRmT3_T4_T5_T6_T7_T9_mT8_P12ihipStream_tbDpT10_ENKUlT_T0_E_clISt17integral_constantIbLb1EES1C_IbLb0EEEEDaS18_S19_EUlS18_E_NS1_11comp_targetILNS1_3genE5ELNS1_11target_archE942ELNS1_3gpuE9ELNS1_3repE0EEENS1_30default_config_static_selectorELNS0_4arch9wavefront6targetE0EEEvT1_.has_dyn_sized_stack, 0
	.set _ZN7rocprim17ROCPRIM_400000_NS6detail17trampoline_kernelINS0_14default_configENS1_25partition_config_selectorILNS1_17partition_subalgoE5EdNS0_10empty_typeEbEEZZNS1_14partition_implILS5_5ELb0ES3_mN6thrust23THRUST_200600_302600_NS6detail15normal_iteratorINSA_10device_ptrIdEEEEPS6_NSA_18transform_iteratorINSB_9not_fun_tI7is_trueIdEEENSC_INSD_IbEEEENSA_11use_defaultESO_EENS0_5tupleIJSF_S6_EEENSQ_IJSG_SG_EEES6_PlJS6_EEE10hipError_tPvRmT3_T4_T5_T6_T7_T9_mT8_P12ihipStream_tbDpT10_ENKUlT_T0_E_clISt17integral_constantIbLb1EES1C_IbLb0EEEEDaS18_S19_EUlS18_E_NS1_11comp_targetILNS1_3genE5ELNS1_11target_archE942ELNS1_3gpuE9ELNS1_3repE0EEENS1_30default_config_static_selectorELNS0_4arch9wavefront6targetE0EEEvT1_.has_recursion, 0
	.set _ZN7rocprim17ROCPRIM_400000_NS6detail17trampoline_kernelINS0_14default_configENS1_25partition_config_selectorILNS1_17partition_subalgoE5EdNS0_10empty_typeEbEEZZNS1_14partition_implILS5_5ELb0ES3_mN6thrust23THRUST_200600_302600_NS6detail15normal_iteratorINSA_10device_ptrIdEEEEPS6_NSA_18transform_iteratorINSB_9not_fun_tI7is_trueIdEEENSC_INSD_IbEEEENSA_11use_defaultESO_EENS0_5tupleIJSF_S6_EEENSQ_IJSG_SG_EEES6_PlJS6_EEE10hipError_tPvRmT3_T4_T5_T6_T7_T9_mT8_P12ihipStream_tbDpT10_ENKUlT_T0_E_clISt17integral_constantIbLb1EES1C_IbLb0EEEEDaS18_S19_EUlS18_E_NS1_11comp_targetILNS1_3genE5ELNS1_11target_archE942ELNS1_3gpuE9ELNS1_3repE0EEENS1_30default_config_static_selectorELNS0_4arch9wavefront6targetE0EEEvT1_.has_indirect_call, 0
	.section	.AMDGPU.csdata,"",@progbits
; Kernel info:
; codeLenInByte = 0
; TotalNumSgprs: 0
; NumVgprs: 0
; ScratchSize: 0
; MemoryBound: 0
; FloatMode: 240
; IeeeMode: 1
; LDSByteSize: 0 bytes/workgroup (compile time only)
; SGPRBlocks: 0
; VGPRBlocks: 0
; NumSGPRsForWavesPerEU: 1
; NumVGPRsForWavesPerEU: 1
; Occupancy: 16
; WaveLimiterHint : 0
; COMPUTE_PGM_RSRC2:SCRATCH_EN: 0
; COMPUTE_PGM_RSRC2:USER_SGPR: 2
; COMPUTE_PGM_RSRC2:TRAP_HANDLER: 0
; COMPUTE_PGM_RSRC2:TGID_X_EN: 1
; COMPUTE_PGM_RSRC2:TGID_Y_EN: 0
; COMPUTE_PGM_RSRC2:TGID_Z_EN: 0
; COMPUTE_PGM_RSRC2:TIDIG_COMP_CNT: 0
	.section	.text._ZN7rocprim17ROCPRIM_400000_NS6detail17trampoline_kernelINS0_14default_configENS1_25partition_config_selectorILNS1_17partition_subalgoE5EdNS0_10empty_typeEbEEZZNS1_14partition_implILS5_5ELb0ES3_mN6thrust23THRUST_200600_302600_NS6detail15normal_iteratorINSA_10device_ptrIdEEEEPS6_NSA_18transform_iteratorINSB_9not_fun_tI7is_trueIdEEENSC_INSD_IbEEEENSA_11use_defaultESO_EENS0_5tupleIJSF_S6_EEENSQ_IJSG_SG_EEES6_PlJS6_EEE10hipError_tPvRmT3_T4_T5_T6_T7_T9_mT8_P12ihipStream_tbDpT10_ENKUlT_T0_E_clISt17integral_constantIbLb1EES1C_IbLb0EEEEDaS18_S19_EUlS18_E_NS1_11comp_targetILNS1_3genE4ELNS1_11target_archE910ELNS1_3gpuE8ELNS1_3repE0EEENS1_30default_config_static_selectorELNS0_4arch9wavefront6targetE0EEEvT1_,"axG",@progbits,_ZN7rocprim17ROCPRIM_400000_NS6detail17trampoline_kernelINS0_14default_configENS1_25partition_config_selectorILNS1_17partition_subalgoE5EdNS0_10empty_typeEbEEZZNS1_14partition_implILS5_5ELb0ES3_mN6thrust23THRUST_200600_302600_NS6detail15normal_iteratorINSA_10device_ptrIdEEEEPS6_NSA_18transform_iteratorINSB_9not_fun_tI7is_trueIdEEENSC_INSD_IbEEEENSA_11use_defaultESO_EENS0_5tupleIJSF_S6_EEENSQ_IJSG_SG_EEES6_PlJS6_EEE10hipError_tPvRmT3_T4_T5_T6_T7_T9_mT8_P12ihipStream_tbDpT10_ENKUlT_T0_E_clISt17integral_constantIbLb1EES1C_IbLb0EEEEDaS18_S19_EUlS18_E_NS1_11comp_targetILNS1_3genE4ELNS1_11target_archE910ELNS1_3gpuE8ELNS1_3repE0EEENS1_30default_config_static_selectorELNS0_4arch9wavefront6targetE0EEEvT1_,comdat
	.protected	_ZN7rocprim17ROCPRIM_400000_NS6detail17trampoline_kernelINS0_14default_configENS1_25partition_config_selectorILNS1_17partition_subalgoE5EdNS0_10empty_typeEbEEZZNS1_14partition_implILS5_5ELb0ES3_mN6thrust23THRUST_200600_302600_NS6detail15normal_iteratorINSA_10device_ptrIdEEEEPS6_NSA_18transform_iteratorINSB_9not_fun_tI7is_trueIdEEENSC_INSD_IbEEEENSA_11use_defaultESO_EENS0_5tupleIJSF_S6_EEENSQ_IJSG_SG_EEES6_PlJS6_EEE10hipError_tPvRmT3_T4_T5_T6_T7_T9_mT8_P12ihipStream_tbDpT10_ENKUlT_T0_E_clISt17integral_constantIbLb1EES1C_IbLb0EEEEDaS18_S19_EUlS18_E_NS1_11comp_targetILNS1_3genE4ELNS1_11target_archE910ELNS1_3gpuE8ELNS1_3repE0EEENS1_30default_config_static_selectorELNS0_4arch9wavefront6targetE0EEEvT1_ ; -- Begin function _ZN7rocprim17ROCPRIM_400000_NS6detail17trampoline_kernelINS0_14default_configENS1_25partition_config_selectorILNS1_17partition_subalgoE5EdNS0_10empty_typeEbEEZZNS1_14partition_implILS5_5ELb0ES3_mN6thrust23THRUST_200600_302600_NS6detail15normal_iteratorINSA_10device_ptrIdEEEEPS6_NSA_18transform_iteratorINSB_9not_fun_tI7is_trueIdEEENSC_INSD_IbEEEENSA_11use_defaultESO_EENS0_5tupleIJSF_S6_EEENSQ_IJSG_SG_EEES6_PlJS6_EEE10hipError_tPvRmT3_T4_T5_T6_T7_T9_mT8_P12ihipStream_tbDpT10_ENKUlT_T0_E_clISt17integral_constantIbLb1EES1C_IbLb0EEEEDaS18_S19_EUlS18_E_NS1_11comp_targetILNS1_3genE4ELNS1_11target_archE910ELNS1_3gpuE8ELNS1_3repE0EEENS1_30default_config_static_selectorELNS0_4arch9wavefront6targetE0EEEvT1_
	.globl	_ZN7rocprim17ROCPRIM_400000_NS6detail17trampoline_kernelINS0_14default_configENS1_25partition_config_selectorILNS1_17partition_subalgoE5EdNS0_10empty_typeEbEEZZNS1_14partition_implILS5_5ELb0ES3_mN6thrust23THRUST_200600_302600_NS6detail15normal_iteratorINSA_10device_ptrIdEEEEPS6_NSA_18transform_iteratorINSB_9not_fun_tI7is_trueIdEEENSC_INSD_IbEEEENSA_11use_defaultESO_EENS0_5tupleIJSF_S6_EEENSQ_IJSG_SG_EEES6_PlJS6_EEE10hipError_tPvRmT3_T4_T5_T6_T7_T9_mT8_P12ihipStream_tbDpT10_ENKUlT_T0_E_clISt17integral_constantIbLb1EES1C_IbLb0EEEEDaS18_S19_EUlS18_E_NS1_11comp_targetILNS1_3genE4ELNS1_11target_archE910ELNS1_3gpuE8ELNS1_3repE0EEENS1_30default_config_static_selectorELNS0_4arch9wavefront6targetE0EEEvT1_
	.p2align	8
	.type	_ZN7rocprim17ROCPRIM_400000_NS6detail17trampoline_kernelINS0_14default_configENS1_25partition_config_selectorILNS1_17partition_subalgoE5EdNS0_10empty_typeEbEEZZNS1_14partition_implILS5_5ELb0ES3_mN6thrust23THRUST_200600_302600_NS6detail15normal_iteratorINSA_10device_ptrIdEEEEPS6_NSA_18transform_iteratorINSB_9not_fun_tI7is_trueIdEEENSC_INSD_IbEEEENSA_11use_defaultESO_EENS0_5tupleIJSF_S6_EEENSQ_IJSG_SG_EEES6_PlJS6_EEE10hipError_tPvRmT3_T4_T5_T6_T7_T9_mT8_P12ihipStream_tbDpT10_ENKUlT_T0_E_clISt17integral_constantIbLb1EES1C_IbLb0EEEEDaS18_S19_EUlS18_E_NS1_11comp_targetILNS1_3genE4ELNS1_11target_archE910ELNS1_3gpuE8ELNS1_3repE0EEENS1_30default_config_static_selectorELNS0_4arch9wavefront6targetE0EEEvT1_,@function
_ZN7rocprim17ROCPRIM_400000_NS6detail17trampoline_kernelINS0_14default_configENS1_25partition_config_selectorILNS1_17partition_subalgoE5EdNS0_10empty_typeEbEEZZNS1_14partition_implILS5_5ELb0ES3_mN6thrust23THRUST_200600_302600_NS6detail15normal_iteratorINSA_10device_ptrIdEEEEPS6_NSA_18transform_iteratorINSB_9not_fun_tI7is_trueIdEEENSC_INSD_IbEEEENSA_11use_defaultESO_EENS0_5tupleIJSF_S6_EEENSQ_IJSG_SG_EEES6_PlJS6_EEE10hipError_tPvRmT3_T4_T5_T6_T7_T9_mT8_P12ihipStream_tbDpT10_ENKUlT_T0_E_clISt17integral_constantIbLb1EES1C_IbLb0EEEEDaS18_S19_EUlS18_E_NS1_11comp_targetILNS1_3genE4ELNS1_11target_archE910ELNS1_3gpuE8ELNS1_3repE0EEENS1_30default_config_static_selectorELNS0_4arch9wavefront6targetE0EEEvT1_: ; @_ZN7rocprim17ROCPRIM_400000_NS6detail17trampoline_kernelINS0_14default_configENS1_25partition_config_selectorILNS1_17partition_subalgoE5EdNS0_10empty_typeEbEEZZNS1_14partition_implILS5_5ELb0ES3_mN6thrust23THRUST_200600_302600_NS6detail15normal_iteratorINSA_10device_ptrIdEEEEPS6_NSA_18transform_iteratorINSB_9not_fun_tI7is_trueIdEEENSC_INSD_IbEEEENSA_11use_defaultESO_EENS0_5tupleIJSF_S6_EEENSQ_IJSG_SG_EEES6_PlJS6_EEE10hipError_tPvRmT3_T4_T5_T6_T7_T9_mT8_P12ihipStream_tbDpT10_ENKUlT_T0_E_clISt17integral_constantIbLb1EES1C_IbLb0EEEEDaS18_S19_EUlS18_E_NS1_11comp_targetILNS1_3genE4ELNS1_11target_archE910ELNS1_3gpuE8ELNS1_3repE0EEENS1_30default_config_static_selectorELNS0_4arch9wavefront6targetE0EEEvT1_
; %bb.0:
	.section	.rodata,"a",@progbits
	.p2align	6, 0x0
	.amdhsa_kernel _ZN7rocprim17ROCPRIM_400000_NS6detail17trampoline_kernelINS0_14default_configENS1_25partition_config_selectorILNS1_17partition_subalgoE5EdNS0_10empty_typeEbEEZZNS1_14partition_implILS5_5ELb0ES3_mN6thrust23THRUST_200600_302600_NS6detail15normal_iteratorINSA_10device_ptrIdEEEEPS6_NSA_18transform_iteratorINSB_9not_fun_tI7is_trueIdEEENSC_INSD_IbEEEENSA_11use_defaultESO_EENS0_5tupleIJSF_S6_EEENSQ_IJSG_SG_EEES6_PlJS6_EEE10hipError_tPvRmT3_T4_T5_T6_T7_T9_mT8_P12ihipStream_tbDpT10_ENKUlT_T0_E_clISt17integral_constantIbLb1EES1C_IbLb0EEEEDaS18_S19_EUlS18_E_NS1_11comp_targetILNS1_3genE4ELNS1_11target_archE910ELNS1_3gpuE8ELNS1_3repE0EEENS1_30default_config_static_selectorELNS0_4arch9wavefront6targetE0EEEvT1_
		.amdhsa_group_segment_fixed_size 0
		.amdhsa_private_segment_fixed_size 0
		.amdhsa_kernarg_size 120
		.amdhsa_user_sgpr_count 2
		.amdhsa_user_sgpr_dispatch_ptr 0
		.amdhsa_user_sgpr_queue_ptr 0
		.amdhsa_user_sgpr_kernarg_segment_ptr 1
		.amdhsa_user_sgpr_dispatch_id 0
		.amdhsa_user_sgpr_private_segment_size 0
		.amdhsa_wavefront_size32 1
		.amdhsa_uses_dynamic_stack 0
		.amdhsa_enable_private_segment 0
		.amdhsa_system_sgpr_workgroup_id_x 1
		.amdhsa_system_sgpr_workgroup_id_y 0
		.amdhsa_system_sgpr_workgroup_id_z 0
		.amdhsa_system_sgpr_workgroup_info 0
		.amdhsa_system_vgpr_workitem_id 0
		.amdhsa_next_free_vgpr 1
		.amdhsa_next_free_sgpr 1
		.amdhsa_reserve_vcc 0
		.amdhsa_float_round_mode_32 0
		.amdhsa_float_round_mode_16_64 0
		.amdhsa_float_denorm_mode_32 3
		.amdhsa_float_denorm_mode_16_64 3
		.amdhsa_fp16_overflow 0
		.amdhsa_workgroup_processor_mode 1
		.amdhsa_memory_ordered 1
		.amdhsa_forward_progress 1
		.amdhsa_inst_pref_size 0
		.amdhsa_round_robin_scheduling 0
		.amdhsa_exception_fp_ieee_invalid_op 0
		.amdhsa_exception_fp_denorm_src 0
		.amdhsa_exception_fp_ieee_div_zero 0
		.amdhsa_exception_fp_ieee_overflow 0
		.amdhsa_exception_fp_ieee_underflow 0
		.amdhsa_exception_fp_ieee_inexact 0
		.amdhsa_exception_int_div_zero 0
	.end_amdhsa_kernel
	.section	.text._ZN7rocprim17ROCPRIM_400000_NS6detail17trampoline_kernelINS0_14default_configENS1_25partition_config_selectorILNS1_17partition_subalgoE5EdNS0_10empty_typeEbEEZZNS1_14partition_implILS5_5ELb0ES3_mN6thrust23THRUST_200600_302600_NS6detail15normal_iteratorINSA_10device_ptrIdEEEEPS6_NSA_18transform_iteratorINSB_9not_fun_tI7is_trueIdEEENSC_INSD_IbEEEENSA_11use_defaultESO_EENS0_5tupleIJSF_S6_EEENSQ_IJSG_SG_EEES6_PlJS6_EEE10hipError_tPvRmT3_T4_T5_T6_T7_T9_mT8_P12ihipStream_tbDpT10_ENKUlT_T0_E_clISt17integral_constantIbLb1EES1C_IbLb0EEEEDaS18_S19_EUlS18_E_NS1_11comp_targetILNS1_3genE4ELNS1_11target_archE910ELNS1_3gpuE8ELNS1_3repE0EEENS1_30default_config_static_selectorELNS0_4arch9wavefront6targetE0EEEvT1_,"axG",@progbits,_ZN7rocprim17ROCPRIM_400000_NS6detail17trampoline_kernelINS0_14default_configENS1_25partition_config_selectorILNS1_17partition_subalgoE5EdNS0_10empty_typeEbEEZZNS1_14partition_implILS5_5ELb0ES3_mN6thrust23THRUST_200600_302600_NS6detail15normal_iteratorINSA_10device_ptrIdEEEEPS6_NSA_18transform_iteratorINSB_9not_fun_tI7is_trueIdEEENSC_INSD_IbEEEENSA_11use_defaultESO_EENS0_5tupleIJSF_S6_EEENSQ_IJSG_SG_EEES6_PlJS6_EEE10hipError_tPvRmT3_T4_T5_T6_T7_T9_mT8_P12ihipStream_tbDpT10_ENKUlT_T0_E_clISt17integral_constantIbLb1EES1C_IbLb0EEEEDaS18_S19_EUlS18_E_NS1_11comp_targetILNS1_3genE4ELNS1_11target_archE910ELNS1_3gpuE8ELNS1_3repE0EEENS1_30default_config_static_selectorELNS0_4arch9wavefront6targetE0EEEvT1_,comdat
.Lfunc_end2351:
	.size	_ZN7rocprim17ROCPRIM_400000_NS6detail17trampoline_kernelINS0_14default_configENS1_25partition_config_selectorILNS1_17partition_subalgoE5EdNS0_10empty_typeEbEEZZNS1_14partition_implILS5_5ELb0ES3_mN6thrust23THRUST_200600_302600_NS6detail15normal_iteratorINSA_10device_ptrIdEEEEPS6_NSA_18transform_iteratorINSB_9not_fun_tI7is_trueIdEEENSC_INSD_IbEEEENSA_11use_defaultESO_EENS0_5tupleIJSF_S6_EEENSQ_IJSG_SG_EEES6_PlJS6_EEE10hipError_tPvRmT3_T4_T5_T6_T7_T9_mT8_P12ihipStream_tbDpT10_ENKUlT_T0_E_clISt17integral_constantIbLb1EES1C_IbLb0EEEEDaS18_S19_EUlS18_E_NS1_11comp_targetILNS1_3genE4ELNS1_11target_archE910ELNS1_3gpuE8ELNS1_3repE0EEENS1_30default_config_static_selectorELNS0_4arch9wavefront6targetE0EEEvT1_, .Lfunc_end2351-_ZN7rocprim17ROCPRIM_400000_NS6detail17trampoline_kernelINS0_14default_configENS1_25partition_config_selectorILNS1_17partition_subalgoE5EdNS0_10empty_typeEbEEZZNS1_14partition_implILS5_5ELb0ES3_mN6thrust23THRUST_200600_302600_NS6detail15normal_iteratorINSA_10device_ptrIdEEEEPS6_NSA_18transform_iteratorINSB_9not_fun_tI7is_trueIdEEENSC_INSD_IbEEEENSA_11use_defaultESO_EENS0_5tupleIJSF_S6_EEENSQ_IJSG_SG_EEES6_PlJS6_EEE10hipError_tPvRmT3_T4_T5_T6_T7_T9_mT8_P12ihipStream_tbDpT10_ENKUlT_T0_E_clISt17integral_constantIbLb1EES1C_IbLb0EEEEDaS18_S19_EUlS18_E_NS1_11comp_targetILNS1_3genE4ELNS1_11target_archE910ELNS1_3gpuE8ELNS1_3repE0EEENS1_30default_config_static_selectorELNS0_4arch9wavefront6targetE0EEEvT1_
                                        ; -- End function
	.set _ZN7rocprim17ROCPRIM_400000_NS6detail17trampoline_kernelINS0_14default_configENS1_25partition_config_selectorILNS1_17partition_subalgoE5EdNS0_10empty_typeEbEEZZNS1_14partition_implILS5_5ELb0ES3_mN6thrust23THRUST_200600_302600_NS6detail15normal_iteratorINSA_10device_ptrIdEEEEPS6_NSA_18transform_iteratorINSB_9not_fun_tI7is_trueIdEEENSC_INSD_IbEEEENSA_11use_defaultESO_EENS0_5tupleIJSF_S6_EEENSQ_IJSG_SG_EEES6_PlJS6_EEE10hipError_tPvRmT3_T4_T5_T6_T7_T9_mT8_P12ihipStream_tbDpT10_ENKUlT_T0_E_clISt17integral_constantIbLb1EES1C_IbLb0EEEEDaS18_S19_EUlS18_E_NS1_11comp_targetILNS1_3genE4ELNS1_11target_archE910ELNS1_3gpuE8ELNS1_3repE0EEENS1_30default_config_static_selectorELNS0_4arch9wavefront6targetE0EEEvT1_.num_vgpr, 0
	.set _ZN7rocprim17ROCPRIM_400000_NS6detail17trampoline_kernelINS0_14default_configENS1_25partition_config_selectorILNS1_17partition_subalgoE5EdNS0_10empty_typeEbEEZZNS1_14partition_implILS5_5ELb0ES3_mN6thrust23THRUST_200600_302600_NS6detail15normal_iteratorINSA_10device_ptrIdEEEEPS6_NSA_18transform_iteratorINSB_9not_fun_tI7is_trueIdEEENSC_INSD_IbEEEENSA_11use_defaultESO_EENS0_5tupleIJSF_S6_EEENSQ_IJSG_SG_EEES6_PlJS6_EEE10hipError_tPvRmT3_T4_T5_T6_T7_T9_mT8_P12ihipStream_tbDpT10_ENKUlT_T0_E_clISt17integral_constantIbLb1EES1C_IbLb0EEEEDaS18_S19_EUlS18_E_NS1_11comp_targetILNS1_3genE4ELNS1_11target_archE910ELNS1_3gpuE8ELNS1_3repE0EEENS1_30default_config_static_selectorELNS0_4arch9wavefront6targetE0EEEvT1_.num_agpr, 0
	.set _ZN7rocprim17ROCPRIM_400000_NS6detail17trampoline_kernelINS0_14default_configENS1_25partition_config_selectorILNS1_17partition_subalgoE5EdNS0_10empty_typeEbEEZZNS1_14partition_implILS5_5ELb0ES3_mN6thrust23THRUST_200600_302600_NS6detail15normal_iteratorINSA_10device_ptrIdEEEEPS6_NSA_18transform_iteratorINSB_9not_fun_tI7is_trueIdEEENSC_INSD_IbEEEENSA_11use_defaultESO_EENS0_5tupleIJSF_S6_EEENSQ_IJSG_SG_EEES6_PlJS6_EEE10hipError_tPvRmT3_T4_T5_T6_T7_T9_mT8_P12ihipStream_tbDpT10_ENKUlT_T0_E_clISt17integral_constantIbLb1EES1C_IbLb0EEEEDaS18_S19_EUlS18_E_NS1_11comp_targetILNS1_3genE4ELNS1_11target_archE910ELNS1_3gpuE8ELNS1_3repE0EEENS1_30default_config_static_selectorELNS0_4arch9wavefront6targetE0EEEvT1_.numbered_sgpr, 0
	.set _ZN7rocprim17ROCPRIM_400000_NS6detail17trampoline_kernelINS0_14default_configENS1_25partition_config_selectorILNS1_17partition_subalgoE5EdNS0_10empty_typeEbEEZZNS1_14partition_implILS5_5ELb0ES3_mN6thrust23THRUST_200600_302600_NS6detail15normal_iteratorINSA_10device_ptrIdEEEEPS6_NSA_18transform_iteratorINSB_9not_fun_tI7is_trueIdEEENSC_INSD_IbEEEENSA_11use_defaultESO_EENS0_5tupleIJSF_S6_EEENSQ_IJSG_SG_EEES6_PlJS6_EEE10hipError_tPvRmT3_T4_T5_T6_T7_T9_mT8_P12ihipStream_tbDpT10_ENKUlT_T0_E_clISt17integral_constantIbLb1EES1C_IbLb0EEEEDaS18_S19_EUlS18_E_NS1_11comp_targetILNS1_3genE4ELNS1_11target_archE910ELNS1_3gpuE8ELNS1_3repE0EEENS1_30default_config_static_selectorELNS0_4arch9wavefront6targetE0EEEvT1_.num_named_barrier, 0
	.set _ZN7rocprim17ROCPRIM_400000_NS6detail17trampoline_kernelINS0_14default_configENS1_25partition_config_selectorILNS1_17partition_subalgoE5EdNS0_10empty_typeEbEEZZNS1_14partition_implILS5_5ELb0ES3_mN6thrust23THRUST_200600_302600_NS6detail15normal_iteratorINSA_10device_ptrIdEEEEPS6_NSA_18transform_iteratorINSB_9not_fun_tI7is_trueIdEEENSC_INSD_IbEEEENSA_11use_defaultESO_EENS0_5tupleIJSF_S6_EEENSQ_IJSG_SG_EEES6_PlJS6_EEE10hipError_tPvRmT3_T4_T5_T6_T7_T9_mT8_P12ihipStream_tbDpT10_ENKUlT_T0_E_clISt17integral_constantIbLb1EES1C_IbLb0EEEEDaS18_S19_EUlS18_E_NS1_11comp_targetILNS1_3genE4ELNS1_11target_archE910ELNS1_3gpuE8ELNS1_3repE0EEENS1_30default_config_static_selectorELNS0_4arch9wavefront6targetE0EEEvT1_.private_seg_size, 0
	.set _ZN7rocprim17ROCPRIM_400000_NS6detail17trampoline_kernelINS0_14default_configENS1_25partition_config_selectorILNS1_17partition_subalgoE5EdNS0_10empty_typeEbEEZZNS1_14partition_implILS5_5ELb0ES3_mN6thrust23THRUST_200600_302600_NS6detail15normal_iteratorINSA_10device_ptrIdEEEEPS6_NSA_18transform_iteratorINSB_9not_fun_tI7is_trueIdEEENSC_INSD_IbEEEENSA_11use_defaultESO_EENS0_5tupleIJSF_S6_EEENSQ_IJSG_SG_EEES6_PlJS6_EEE10hipError_tPvRmT3_T4_T5_T6_T7_T9_mT8_P12ihipStream_tbDpT10_ENKUlT_T0_E_clISt17integral_constantIbLb1EES1C_IbLb0EEEEDaS18_S19_EUlS18_E_NS1_11comp_targetILNS1_3genE4ELNS1_11target_archE910ELNS1_3gpuE8ELNS1_3repE0EEENS1_30default_config_static_selectorELNS0_4arch9wavefront6targetE0EEEvT1_.uses_vcc, 0
	.set _ZN7rocprim17ROCPRIM_400000_NS6detail17trampoline_kernelINS0_14default_configENS1_25partition_config_selectorILNS1_17partition_subalgoE5EdNS0_10empty_typeEbEEZZNS1_14partition_implILS5_5ELb0ES3_mN6thrust23THRUST_200600_302600_NS6detail15normal_iteratorINSA_10device_ptrIdEEEEPS6_NSA_18transform_iteratorINSB_9not_fun_tI7is_trueIdEEENSC_INSD_IbEEEENSA_11use_defaultESO_EENS0_5tupleIJSF_S6_EEENSQ_IJSG_SG_EEES6_PlJS6_EEE10hipError_tPvRmT3_T4_T5_T6_T7_T9_mT8_P12ihipStream_tbDpT10_ENKUlT_T0_E_clISt17integral_constantIbLb1EES1C_IbLb0EEEEDaS18_S19_EUlS18_E_NS1_11comp_targetILNS1_3genE4ELNS1_11target_archE910ELNS1_3gpuE8ELNS1_3repE0EEENS1_30default_config_static_selectorELNS0_4arch9wavefront6targetE0EEEvT1_.uses_flat_scratch, 0
	.set _ZN7rocprim17ROCPRIM_400000_NS6detail17trampoline_kernelINS0_14default_configENS1_25partition_config_selectorILNS1_17partition_subalgoE5EdNS0_10empty_typeEbEEZZNS1_14partition_implILS5_5ELb0ES3_mN6thrust23THRUST_200600_302600_NS6detail15normal_iteratorINSA_10device_ptrIdEEEEPS6_NSA_18transform_iteratorINSB_9not_fun_tI7is_trueIdEEENSC_INSD_IbEEEENSA_11use_defaultESO_EENS0_5tupleIJSF_S6_EEENSQ_IJSG_SG_EEES6_PlJS6_EEE10hipError_tPvRmT3_T4_T5_T6_T7_T9_mT8_P12ihipStream_tbDpT10_ENKUlT_T0_E_clISt17integral_constantIbLb1EES1C_IbLb0EEEEDaS18_S19_EUlS18_E_NS1_11comp_targetILNS1_3genE4ELNS1_11target_archE910ELNS1_3gpuE8ELNS1_3repE0EEENS1_30default_config_static_selectorELNS0_4arch9wavefront6targetE0EEEvT1_.has_dyn_sized_stack, 0
	.set _ZN7rocprim17ROCPRIM_400000_NS6detail17trampoline_kernelINS0_14default_configENS1_25partition_config_selectorILNS1_17partition_subalgoE5EdNS0_10empty_typeEbEEZZNS1_14partition_implILS5_5ELb0ES3_mN6thrust23THRUST_200600_302600_NS6detail15normal_iteratorINSA_10device_ptrIdEEEEPS6_NSA_18transform_iteratorINSB_9not_fun_tI7is_trueIdEEENSC_INSD_IbEEEENSA_11use_defaultESO_EENS0_5tupleIJSF_S6_EEENSQ_IJSG_SG_EEES6_PlJS6_EEE10hipError_tPvRmT3_T4_T5_T6_T7_T9_mT8_P12ihipStream_tbDpT10_ENKUlT_T0_E_clISt17integral_constantIbLb1EES1C_IbLb0EEEEDaS18_S19_EUlS18_E_NS1_11comp_targetILNS1_3genE4ELNS1_11target_archE910ELNS1_3gpuE8ELNS1_3repE0EEENS1_30default_config_static_selectorELNS0_4arch9wavefront6targetE0EEEvT1_.has_recursion, 0
	.set _ZN7rocprim17ROCPRIM_400000_NS6detail17trampoline_kernelINS0_14default_configENS1_25partition_config_selectorILNS1_17partition_subalgoE5EdNS0_10empty_typeEbEEZZNS1_14partition_implILS5_5ELb0ES3_mN6thrust23THRUST_200600_302600_NS6detail15normal_iteratorINSA_10device_ptrIdEEEEPS6_NSA_18transform_iteratorINSB_9not_fun_tI7is_trueIdEEENSC_INSD_IbEEEENSA_11use_defaultESO_EENS0_5tupleIJSF_S6_EEENSQ_IJSG_SG_EEES6_PlJS6_EEE10hipError_tPvRmT3_T4_T5_T6_T7_T9_mT8_P12ihipStream_tbDpT10_ENKUlT_T0_E_clISt17integral_constantIbLb1EES1C_IbLb0EEEEDaS18_S19_EUlS18_E_NS1_11comp_targetILNS1_3genE4ELNS1_11target_archE910ELNS1_3gpuE8ELNS1_3repE0EEENS1_30default_config_static_selectorELNS0_4arch9wavefront6targetE0EEEvT1_.has_indirect_call, 0
	.section	.AMDGPU.csdata,"",@progbits
; Kernel info:
; codeLenInByte = 0
; TotalNumSgprs: 0
; NumVgprs: 0
; ScratchSize: 0
; MemoryBound: 0
; FloatMode: 240
; IeeeMode: 1
; LDSByteSize: 0 bytes/workgroup (compile time only)
; SGPRBlocks: 0
; VGPRBlocks: 0
; NumSGPRsForWavesPerEU: 1
; NumVGPRsForWavesPerEU: 1
; Occupancy: 16
; WaveLimiterHint : 0
; COMPUTE_PGM_RSRC2:SCRATCH_EN: 0
; COMPUTE_PGM_RSRC2:USER_SGPR: 2
; COMPUTE_PGM_RSRC2:TRAP_HANDLER: 0
; COMPUTE_PGM_RSRC2:TGID_X_EN: 1
; COMPUTE_PGM_RSRC2:TGID_Y_EN: 0
; COMPUTE_PGM_RSRC2:TGID_Z_EN: 0
; COMPUTE_PGM_RSRC2:TIDIG_COMP_CNT: 0
	.section	.text._ZN7rocprim17ROCPRIM_400000_NS6detail17trampoline_kernelINS0_14default_configENS1_25partition_config_selectorILNS1_17partition_subalgoE5EdNS0_10empty_typeEbEEZZNS1_14partition_implILS5_5ELb0ES3_mN6thrust23THRUST_200600_302600_NS6detail15normal_iteratorINSA_10device_ptrIdEEEEPS6_NSA_18transform_iteratorINSB_9not_fun_tI7is_trueIdEEENSC_INSD_IbEEEENSA_11use_defaultESO_EENS0_5tupleIJSF_S6_EEENSQ_IJSG_SG_EEES6_PlJS6_EEE10hipError_tPvRmT3_T4_T5_T6_T7_T9_mT8_P12ihipStream_tbDpT10_ENKUlT_T0_E_clISt17integral_constantIbLb1EES1C_IbLb0EEEEDaS18_S19_EUlS18_E_NS1_11comp_targetILNS1_3genE3ELNS1_11target_archE908ELNS1_3gpuE7ELNS1_3repE0EEENS1_30default_config_static_selectorELNS0_4arch9wavefront6targetE0EEEvT1_,"axG",@progbits,_ZN7rocprim17ROCPRIM_400000_NS6detail17trampoline_kernelINS0_14default_configENS1_25partition_config_selectorILNS1_17partition_subalgoE5EdNS0_10empty_typeEbEEZZNS1_14partition_implILS5_5ELb0ES3_mN6thrust23THRUST_200600_302600_NS6detail15normal_iteratorINSA_10device_ptrIdEEEEPS6_NSA_18transform_iteratorINSB_9not_fun_tI7is_trueIdEEENSC_INSD_IbEEEENSA_11use_defaultESO_EENS0_5tupleIJSF_S6_EEENSQ_IJSG_SG_EEES6_PlJS6_EEE10hipError_tPvRmT3_T4_T5_T6_T7_T9_mT8_P12ihipStream_tbDpT10_ENKUlT_T0_E_clISt17integral_constantIbLb1EES1C_IbLb0EEEEDaS18_S19_EUlS18_E_NS1_11comp_targetILNS1_3genE3ELNS1_11target_archE908ELNS1_3gpuE7ELNS1_3repE0EEENS1_30default_config_static_selectorELNS0_4arch9wavefront6targetE0EEEvT1_,comdat
	.protected	_ZN7rocprim17ROCPRIM_400000_NS6detail17trampoline_kernelINS0_14default_configENS1_25partition_config_selectorILNS1_17partition_subalgoE5EdNS0_10empty_typeEbEEZZNS1_14partition_implILS5_5ELb0ES3_mN6thrust23THRUST_200600_302600_NS6detail15normal_iteratorINSA_10device_ptrIdEEEEPS6_NSA_18transform_iteratorINSB_9not_fun_tI7is_trueIdEEENSC_INSD_IbEEEENSA_11use_defaultESO_EENS0_5tupleIJSF_S6_EEENSQ_IJSG_SG_EEES6_PlJS6_EEE10hipError_tPvRmT3_T4_T5_T6_T7_T9_mT8_P12ihipStream_tbDpT10_ENKUlT_T0_E_clISt17integral_constantIbLb1EES1C_IbLb0EEEEDaS18_S19_EUlS18_E_NS1_11comp_targetILNS1_3genE3ELNS1_11target_archE908ELNS1_3gpuE7ELNS1_3repE0EEENS1_30default_config_static_selectorELNS0_4arch9wavefront6targetE0EEEvT1_ ; -- Begin function _ZN7rocprim17ROCPRIM_400000_NS6detail17trampoline_kernelINS0_14default_configENS1_25partition_config_selectorILNS1_17partition_subalgoE5EdNS0_10empty_typeEbEEZZNS1_14partition_implILS5_5ELb0ES3_mN6thrust23THRUST_200600_302600_NS6detail15normal_iteratorINSA_10device_ptrIdEEEEPS6_NSA_18transform_iteratorINSB_9not_fun_tI7is_trueIdEEENSC_INSD_IbEEEENSA_11use_defaultESO_EENS0_5tupleIJSF_S6_EEENSQ_IJSG_SG_EEES6_PlJS6_EEE10hipError_tPvRmT3_T4_T5_T6_T7_T9_mT8_P12ihipStream_tbDpT10_ENKUlT_T0_E_clISt17integral_constantIbLb1EES1C_IbLb0EEEEDaS18_S19_EUlS18_E_NS1_11comp_targetILNS1_3genE3ELNS1_11target_archE908ELNS1_3gpuE7ELNS1_3repE0EEENS1_30default_config_static_selectorELNS0_4arch9wavefront6targetE0EEEvT1_
	.globl	_ZN7rocprim17ROCPRIM_400000_NS6detail17trampoline_kernelINS0_14default_configENS1_25partition_config_selectorILNS1_17partition_subalgoE5EdNS0_10empty_typeEbEEZZNS1_14partition_implILS5_5ELb0ES3_mN6thrust23THRUST_200600_302600_NS6detail15normal_iteratorINSA_10device_ptrIdEEEEPS6_NSA_18transform_iteratorINSB_9not_fun_tI7is_trueIdEEENSC_INSD_IbEEEENSA_11use_defaultESO_EENS0_5tupleIJSF_S6_EEENSQ_IJSG_SG_EEES6_PlJS6_EEE10hipError_tPvRmT3_T4_T5_T6_T7_T9_mT8_P12ihipStream_tbDpT10_ENKUlT_T0_E_clISt17integral_constantIbLb1EES1C_IbLb0EEEEDaS18_S19_EUlS18_E_NS1_11comp_targetILNS1_3genE3ELNS1_11target_archE908ELNS1_3gpuE7ELNS1_3repE0EEENS1_30default_config_static_selectorELNS0_4arch9wavefront6targetE0EEEvT1_
	.p2align	8
	.type	_ZN7rocprim17ROCPRIM_400000_NS6detail17trampoline_kernelINS0_14default_configENS1_25partition_config_selectorILNS1_17partition_subalgoE5EdNS0_10empty_typeEbEEZZNS1_14partition_implILS5_5ELb0ES3_mN6thrust23THRUST_200600_302600_NS6detail15normal_iteratorINSA_10device_ptrIdEEEEPS6_NSA_18transform_iteratorINSB_9not_fun_tI7is_trueIdEEENSC_INSD_IbEEEENSA_11use_defaultESO_EENS0_5tupleIJSF_S6_EEENSQ_IJSG_SG_EEES6_PlJS6_EEE10hipError_tPvRmT3_T4_T5_T6_T7_T9_mT8_P12ihipStream_tbDpT10_ENKUlT_T0_E_clISt17integral_constantIbLb1EES1C_IbLb0EEEEDaS18_S19_EUlS18_E_NS1_11comp_targetILNS1_3genE3ELNS1_11target_archE908ELNS1_3gpuE7ELNS1_3repE0EEENS1_30default_config_static_selectorELNS0_4arch9wavefront6targetE0EEEvT1_,@function
_ZN7rocprim17ROCPRIM_400000_NS6detail17trampoline_kernelINS0_14default_configENS1_25partition_config_selectorILNS1_17partition_subalgoE5EdNS0_10empty_typeEbEEZZNS1_14partition_implILS5_5ELb0ES3_mN6thrust23THRUST_200600_302600_NS6detail15normal_iteratorINSA_10device_ptrIdEEEEPS6_NSA_18transform_iteratorINSB_9not_fun_tI7is_trueIdEEENSC_INSD_IbEEEENSA_11use_defaultESO_EENS0_5tupleIJSF_S6_EEENSQ_IJSG_SG_EEES6_PlJS6_EEE10hipError_tPvRmT3_T4_T5_T6_T7_T9_mT8_P12ihipStream_tbDpT10_ENKUlT_T0_E_clISt17integral_constantIbLb1EES1C_IbLb0EEEEDaS18_S19_EUlS18_E_NS1_11comp_targetILNS1_3genE3ELNS1_11target_archE908ELNS1_3gpuE7ELNS1_3repE0EEENS1_30default_config_static_selectorELNS0_4arch9wavefront6targetE0EEEvT1_: ; @_ZN7rocprim17ROCPRIM_400000_NS6detail17trampoline_kernelINS0_14default_configENS1_25partition_config_selectorILNS1_17partition_subalgoE5EdNS0_10empty_typeEbEEZZNS1_14partition_implILS5_5ELb0ES3_mN6thrust23THRUST_200600_302600_NS6detail15normal_iteratorINSA_10device_ptrIdEEEEPS6_NSA_18transform_iteratorINSB_9not_fun_tI7is_trueIdEEENSC_INSD_IbEEEENSA_11use_defaultESO_EENS0_5tupleIJSF_S6_EEENSQ_IJSG_SG_EEES6_PlJS6_EEE10hipError_tPvRmT3_T4_T5_T6_T7_T9_mT8_P12ihipStream_tbDpT10_ENKUlT_T0_E_clISt17integral_constantIbLb1EES1C_IbLb0EEEEDaS18_S19_EUlS18_E_NS1_11comp_targetILNS1_3genE3ELNS1_11target_archE908ELNS1_3gpuE7ELNS1_3repE0EEENS1_30default_config_static_selectorELNS0_4arch9wavefront6targetE0EEEvT1_
; %bb.0:
	.section	.rodata,"a",@progbits
	.p2align	6, 0x0
	.amdhsa_kernel _ZN7rocprim17ROCPRIM_400000_NS6detail17trampoline_kernelINS0_14default_configENS1_25partition_config_selectorILNS1_17partition_subalgoE5EdNS0_10empty_typeEbEEZZNS1_14partition_implILS5_5ELb0ES3_mN6thrust23THRUST_200600_302600_NS6detail15normal_iteratorINSA_10device_ptrIdEEEEPS6_NSA_18transform_iteratorINSB_9not_fun_tI7is_trueIdEEENSC_INSD_IbEEEENSA_11use_defaultESO_EENS0_5tupleIJSF_S6_EEENSQ_IJSG_SG_EEES6_PlJS6_EEE10hipError_tPvRmT3_T4_T5_T6_T7_T9_mT8_P12ihipStream_tbDpT10_ENKUlT_T0_E_clISt17integral_constantIbLb1EES1C_IbLb0EEEEDaS18_S19_EUlS18_E_NS1_11comp_targetILNS1_3genE3ELNS1_11target_archE908ELNS1_3gpuE7ELNS1_3repE0EEENS1_30default_config_static_selectorELNS0_4arch9wavefront6targetE0EEEvT1_
		.amdhsa_group_segment_fixed_size 0
		.amdhsa_private_segment_fixed_size 0
		.amdhsa_kernarg_size 120
		.amdhsa_user_sgpr_count 2
		.amdhsa_user_sgpr_dispatch_ptr 0
		.amdhsa_user_sgpr_queue_ptr 0
		.amdhsa_user_sgpr_kernarg_segment_ptr 1
		.amdhsa_user_sgpr_dispatch_id 0
		.amdhsa_user_sgpr_private_segment_size 0
		.amdhsa_wavefront_size32 1
		.amdhsa_uses_dynamic_stack 0
		.amdhsa_enable_private_segment 0
		.amdhsa_system_sgpr_workgroup_id_x 1
		.amdhsa_system_sgpr_workgroup_id_y 0
		.amdhsa_system_sgpr_workgroup_id_z 0
		.amdhsa_system_sgpr_workgroup_info 0
		.amdhsa_system_vgpr_workitem_id 0
		.amdhsa_next_free_vgpr 1
		.amdhsa_next_free_sgpr 1
		.amdhsa_reserve_vcc 0
		.amdhsa_float_round_mode_32 0
		.amdhsa_float_round_mode_16_64 0
		.amdhsa_float_denorm_mode_32 3
		.amdhsa_float_denorm_mode_16_64 3
		.amdhsa_fp16_overflow 0
		.amdhsa_workgroup_processor_mode 1
		.amdhsa_memory_ordered 1
		.amdhsa_forward_progress 1
		.amdhsa_inst_pref_size 0
		.amdhsa_round_robin_scheduling 0
		.amdhsa_exception_fp_ieee_invalid_op 0
		.amdhsa_exception_fp_denorm_src 0
		.amdhsa_exception_fp_ieee_div_zero 0
		.amdhsa_exception_fp_ieee_overflow 0
		.amdhsa_exception_fp_ieee_underflow 0
		.amdhsa_exception_fp_ieee_inexact 0
		.amdhsa_exception_int_div_zero 0
	.end_amdhsa_kernel
	.section	.text._ZN7rocprim17ROCPRIM_400000_NS6detail17trampoline_kernelINS0_14default_configENS1_25partition_config_selectorILNS1_17partition_subalgoE5EdNS0_10empty_typeEbEEZZNS1_14partition_implILS5_5ELb0ES3_mN6thrust23THRUST_200600_302600_NS6detail15normal_iteratorINSA_10device_ptrIdEEEEPS6_NSA_18transform_iteratorINSB_9not_fun_tI7is_trueIdEEENSC_INSD_IbEEEENSA_11use_defaultESO_EENS0_5tupleIJSF_S6_EEENSQ_IJSG_SG_EEES6_PlJS6_EEE10hipError_tPvRmT3_T4_T5_T6_T7_T9_mT8_P12ihipStream_tbDpT10_ENKUlT_T0_E_clISt17integral_constantIbLb1EES1C_IbLb0EEEEDaS18_S19_EUlS18_E_NS1_11comp_targetILNS1_3genE3ELNS1_11target_archE908ELNS1_3gpuE7ELNS1_3repE0EEENS1_30default_config_static_selectorELNS0_4arch9wavefront6targetE0EEEvT1_,"axG",@progbits,_ZN7rocprim17ROCPRIM_400000_NS6detail17trampoline_kernelINS0_14default_configENS1_25partition_config_selectorILNS1_17partition_subalgoE5EdNS0_10empty_typeEbEEZZNS1_14partition_implILS5_5ELb0ES3_mN6thrust23THRUST_200600_302600_NS6detail15normal_iteratorINSA_10device_ptrIdEEEEPS6_NSA_18transform_iteratorINSB_9not_fun_tI7is_trueIdEEENSC_INSD_IbEEEENSA_11use_defaultESO_EENS0_5tupleIJSF_S6_EEENSQ_IJSG_SG_EEES6_PlJS6_EEE10hipError_tPvRmT3_T4_T5_T6_T7_T9_mT8_P12ihipStream_tbDpT10_ENKUlT_T0_E_clISt17integral_constantIbLb1EES1C_IbLb0EEEEDaS18_S19_EUlS18_E_NS1_11comp_targetILNS1_3genE3ELNS1_11target_archE908ELNS1_3gpuE7ELNS1_3repE0EEENS1_30default_config_static_selectorELNS0_4arch9wavefront6targetE0EEEvT1_,comdat
.Lfunc_end2352:
	.size	_ZN7rocprim17ROCPRIM_400000_NS6detail17trampoline_kernelINS0_14default_configENS1_25partition_config_selectorILNS1_17partition_subalgoE5EdNS0_10empty_typeEbEEZZNS1_14partition_implILS5_5ELb0ES3_mN6thrust23THRUST_200600_302600_NS6detail15normal_iteratorINSA_10device_ptrIdEEEEPS6_NSA_18transform_iteratorINSB_9not_fun_tI7is_trueIdEEENSC_INSD_IbEEEENSA_11use_defaultESO_EENS0_5tupleIJSF_S6_EEENSQ_IJSG_SG_EEES6_PlJS6_EEE10hipError_tPvRmT3_T4_T5_T6_T7_T9_mT8_P12ihipStream_tbDpT10_ENKUlT_T0_E_clISt17integral_constantIbLb1EES1C_IbLb0EEEEDaS18_S19_EUlS18_E_NS1_11comp_targetILNS1_3genE3ELNS1_11target_archE908ELNS1_3gpuE7ELNS1_3repE0EEENS1_30default_config_static_selectorELNS0_4arch9wavefront6targetE0EEEvT1_, .Lfunc_end2352-_ZN7rocprim17ROCPRIM_400000_NS6detail17trampoline_kernelINS0_14default_configENS1_25partition_config_selectorILNS1_17partition_subalgoE5EdNS0_10empty_typeEbEEZZNS1_14partition_implILS5_5ELb0ES3_mN6thrust23THRUST_200600_302600_NS6detail15normal_iteratorINSA_10device_ptrIdEEEEPS6_NSA_18transform_iteratorINSB_9not_fun_tI7is_trueIdEEENSC_INSD_IbEEEENSA_11use_defaultESO_EENS0_5tupleIJSF_S6_EEENSQ_IJSG_SG_EEES6_PlJS6_EEE10hipError_tPvRmT3_T4_T5_T6_T7_T9_mT8_P12ihipStream_tbDpT10_ENKUlT_T0_E_clISt17integral_constantIbLb1EES1C_IbLb0EEEEDaS18_S19_EUlS18_E_NS1_11comp_targetILNS1_3genE3ELNS1_11target_archE908ELNS1_3gpuE7ELNS1_3repE0EEENS1_30default_config_static_selectorELNS0_4arch9wavefront6targetE0EEEvT1_
                                        ; -- End function
	.set _ZN7rocprim17ROCPRIM_400000_NS6detail17trampoline_kernelINS0_14default_configENS1_25partition_config_selectorILNS1_17partition_subalgoE5EdNS0_10empty_typeEbEEZZNS1_14partition_implILS5_5ELb0ES3_mN6thrust23THRUST_200600_302600_NS6detail15normal_iteratorINSA_10device_ptrIdEEEEPS6_NSA_18transform_iteratorINSB_9not_fun_tI7is_trueIdEEENSC_INSD_IbEEEENSA_11use_defaultESO_EENS0_5tupleIJSF_S6_EEENSQ_IJSG_SG_EEES6_PlJS6_EEE10hipError_tPvRmT3_T4_T5_T6_T7_T9_mT8_P12ihipStream_tbDpT10_ENKUlT_T0_E_clISt17integral_constantIbLb1EES1C_IbLb0EEEEDaS18_S19_EUlS18_E_NS1_11comp_targetILNS1_3genE3ELNS1_11target_archE908ELNS1_3gpuE7ELNS1_3repE0EEENS1_30default_config_static_selectorELNS0_4arch9wavefront6targetE0EEEvT1_.num_vgpr, 0
	.set _ZN7rocprim17ROCPRIM_400000_NS6detail17trampoline_kernelINS0_14default_configENS1_25partition_config_selectorILNS1_17partition_subalgoE5EdNS0_10empty_typeEbEEZZNS1_14partition_implILS5_5ELb0ES3_mN6thrust23THRUST_200600_302600_NS6detail15normal_iteratorINSA_10device_ptrIdEEEEPS6_NSA_18transform_iteratorINSB_9not_fun_tI7is_trueIdEEENSC_INSD_IbEEEENSA_11use_defaultESO_EENS0_5tupleIJSF_S6_EEENSQ_IJSG_SG_EEES6_PlJS6_EEE10hipError_tPvRmT3_T4_T5_T6_T7_T9_mT8_P12ihipStream_tbDpT10_ENKUlT_T0_E_clISt17integral_constantIbLb1EES1C_IbLb0EEEEDaS18_S19_EUlS18_E_NS1_11comp_targetILNS1_3genE3ELNS1_11target_archE908ELNS1_3gpuE7ELNS1_3repE0EEENS1_30default_config_static_selectorELNS0_4arch9wavefront6targetE0EEEvT1_.num_agpr, 0
	.set _ZN7rocprim17ROCPRIM_400000_NS6detail17trampoline_kernelINS0_14default_configENS1_25partition_config_selectorILNS1_17partition_subalgoE5EdNS0_10empty_typeEbEEZZNS1_14partition_implILS5_5ELb0ES3_mN6thrust23THRUST_200600_302600_NS6detail15normal_iteratorINSA_10device_ptrIdEEEEPS6_NSA_18transform_iteratorINSB_9not_fun_tI7is_trueIdEEENSC_INSD_IbEEEENSA_11use_defaultESO_EENS0_5tupleIJSF_S6_EEENSQ_IJSG_SG_EEES6_PlJS6_EEE10hipError_tPvRmT3_T4_T5_T6_T7_T9_mT8_P12ihipStream_tbDpT10_ENKUlT_T0_E_clISt17integral_constantIbLb1EES1C_IbLb0EEEEDaS18_S19_EUlS18_E_NS1_11comp_targetILNS1_3genE3ELNS1_11target_archE908ELNS1_3gpuE7ELNS1_3repE0EEENS1_30default_config_static_selectorELNS0_4arch9wavefront6targetE0EEEvT1_.numbered_sgpr, 0
	.set _ZN7rocprim17ROCPRIM_400000_NS6detail17trampoline_kernelINS0_14default_configENS1_25partition_config_selectorILNS1_17partition_subalgoE5EdNS0_10empty_typeEbEEZZNS1_14partition_implILS5_5ELb0ES3_mN6thrust23THRUST_200600_302600_NS6detail15normal_iteratorINSA_10device_ptrIdEEEEPS6_NSA_18transform_iteratorINSB_9not_fun_tI7is_trueIdEEENSC_INSD_IbEEEENSA_11use_defaultESO_EENS0_5tupleIJSF_S6_EEENSQ_IJSG_SG_EEES6_PlJS6_EEE10hipError_tPvRmT3_T4_T5_T6_T7_T9_mT8_P12ihipStream_tbDpT10_ENKUlT_T0_E_clISt17integral_constantIbLb1EES1C_IbLb0EEEEDaS18_S19_EUlS18_E_NS1_11comp_targetILNS1_3genE3ELNS1_11target_archE908ELNS1_3gpuE7ELNS1_3repE0EEENS1_30default_config_static_selectorELNS0_4arch9wavefront6targetE0EEEvT1_.num_named_barrier, 0
	.set _ZN7rocprim17ROCPRIM_400000_NS6detail17trampoline_kernelINS0_14default_configENS1_25partition_config_selectorILNS1_17partition_subalgoE5EdNS0_10empty_typeEbEEZZNS1_14partition_implILS5_5ELb0ES3_mN6thrust23THRUST_200600_302600_NS6detail15normal_iteratorINSA_10device_ptrIdEEEEPS6_NSA_18transform_iteratorINSB_9not_fun_tI7is_trueIdEEENSC_INSD_IbEEEENSA_11use_defaultESO_EENS0_5tupleIJSF_S6_EEENSQ_IJSG_SG_EEES6_PlJS6_EEE10hipError_tPvRmT3_T4_T5_T6_T7_T9_mT8_P12ihipStream_tbDpT10_ENKUlT_T0_E_clISt17integral_constantIbLb1EES1C_IbLb0EEEEDaS18_S19_EUlS18_E_NS1_11comp_targetILNS1_3genE3ELNS1_11target_archE908ELNS1_3gpuE7ELNS1_3repE0EEENS1_30default_config_static_selectorELNS0_4arch9wavefront6targetE0EEEvT1_.private_seg_size, 0
	.set _ZN7rocprim17ROCPRIM_400000_NS6detail17trampoline_kernelINS0_14default_configENS1_25partition_config_selectorILNS1_17partition_subalgoE5EdNS0_10empty_typeEbEEZZNS1_14partition_implILS5_5ELb0ES3_mN6thrust23THRUST_200600_302600_NS6detail15normal_iteratorINSA_10device_ptrIdEEEEPS6_NSA_18transform_iteratorINSB_9not_fun_tI7is_trueIdEEENSC_INSD_IbEEEENSA_11use_defaultESO_EENS0_5tupleIJSF_S6_EEENSQ_IJSG_SG_EEES6_PlJS6_EEE10hipError_tPvRmT3_T4_T5_T6_T7_T9_mT8_P12ihipStream_tbDpT10_ENKUlT_T0_E_clISt17integral_constantIbLb1EES1C_IbLb0EEEEDaS18_S19_EUlS18_E_NS1_11comp_targetILNS1_3genE3ELNS1_11target_archE908ELNS1_3gpuE7ELNS1_3repE0EEENS1_30default_config_static_selectorELNS0_4arch9wavefront6targetE0EEEvT1_.uses_vcc, 0
	.set _ZN7rocprim17ROCPRIM_400000_NS6detail17trampoline_kernelINS0_14default_configENS1_25partition_config_selectorILNS1_17partition_subalgoE5EdNS0_10empty_typeEbEEZZNS1_14partition_implILS5_5ELb0ES3_mN6thrust23THRUST_200600_302600_NS6detail15normal_iteratorINSA_10device_ptrIdEEEEPS6_NSA_18transform_iteratorINSB_9not_fun_tI7is_trueIdEEENSC_INSD_IbEEEENSA_11use_defaultESO_EENS0_5tupleIJSF_S6_EEENSQ_IJSG_SG_EEES6_PlJS6_EEE10hipError_tPvRmT3_T4_T5_T6_T7_T9_mT8_P12ihipStream_tbDpT10_ENKUlT_T0_E_clISt17integral_constantIbLb1EES1C_IbLb0EEEEDaS18_S19_EUlS18_E_NS1_11comp_targetILNS1_3genE3ELNS1_11target_archE908ELNS1_3gpuE7ELNS1_3repE0EEENS1_30default_config_static_selectorELNS0_4arch9wavefront6targetE0EEEvT1_.uses_flat_scratch, 0
	.set _ZN7rocprim17ROCPRIM_400000_NS6detail17trampoline_kernelINS0_14default_configENS1_25partition_config_selectorILNS1_17partition_subalgoE5EdNS0_10empty_typeEbEEZZNS1_14partition_implILS5_5ELb0ES3_mN6thrust23THRUST_200600_302600_NS6detail15normal_iteratorINSA_10device_ptrIdEEEEPS6_NSA_18transform_iteratorINSB_9not_fun_tI7is_trueIdEEENSC_INSD_IbEEEENSA_11use_defaultESO_EENS0_5tupleIJSF_S6_EEENSQ_IJSG_SG_EEES6_PlJS6_EEE10hipError_tPvRmT3_T4_T5_T6_T7_T9_mT8_P12ihipStream_tbDpT10_ENKUlT_T0_E_clISt17integral_constantIbLb1EES1C_IbLb0EEEEDaS18_S19_EUlS18_E_NS1_11comp_targetILNS1_3genE3ELNS1_11target_archE908ELNS1_3gpuE7ELNS1_3repE0EEENS1_30default_config_static_selectorELNS0_4arch9wavefront6targetE0EEEvT1_.has_dyn_sized_stack, 0
	.set _ZN7rocprim17ROCPRIM_400000_NS6detail17trampoline_kernelINS0_14default_configENS1_25partition_config_selectorILNS1_17partition_subalgoE5EdNS0_10empty_typeEbEEZZNS1_14partition_implILS5_5ELb0ES3_mN6thrust23THRUST_200600_302600_NS6detail15normal_iteratorINSA_10device_ptrIdEEEEPS6_NSA_18transform_iteratorINSB_9not_fun_tI7is_trueIdEEENSC_INSD_IbEEEENSA_11use_defaultESO_EENS0_5tupleIJSF_S6_EEENSQ_IJSG_SG_EEES6_PlJS6_EEE10hipError_tPvRmT3_T4_T5_T6_T7_T9_mT8_P12ihipStream_tbDpT10_ENKUlT_T0_E_clISt17integral_constantIbLb1EES1C_IbLb0EEEEDaS18_S19_EUlS18_E_NS1_11comp_targetILNS1_3genE3ELNS1_11target_archE908ELNS1_3gpuE7ELNS1_3repE0EEENS1_30default_config_static_selectorELNS0_4arch9wavefront6targetE0EEEvT1_.has_recursion, 0
	.set _ZN7rocprim17ROCPRIM_400000_NS6detail17trampoline_kernelINS0_14default_configENS1_25partition_config_selectorILNS1_17partition_subalgoE5EdNS0_10empty_typeEbEEZZNS1_14partition_implILS5_5ELb0ES3_mN6thrust23THRUST_200600_302600_NS6detail15normal_iteratorINSA_10device_ptrIdEEEEPS6_NSA_18transform_iteratorINSB_9not_fun_tI7is_trueIdEEENSC_INSD_IbEEEENSA_11use_defaultESO_EENS0_5tupleIJSF_S6_EEENSQ_IJSG_SG_EEES6_PlJS6_EEE10hipError_tPvRmT3_T4_T5_T6_T7_T9_mT8_P12ihipStream_tbDpT10_ENKUlT_T0_E_clISt17integral_constantIbLb1EES1C_IbLb0EEEEDaS18_S19_EUlS18_E_NS1_11comp_targetILNS1_3genE3ELNS1_11target_archE908ELNS1_3gpuE7ELNS1_3repE0EEENS1_30default_config_static_selectorELNS0_4arch9wavefront6targetE0EEEvT1_.has_indirect_call, 0
	.section	.AMDGPU.csdata,"",@progbits
; Kernel info:
; codeLenInByte = 0
; TotalNumSgprs: 0
; NumVgprs: 0
; ScratchSize: 0
; MemoryBound: 0
; FloatMode: 240
; IeeeMode: 1
; LDSByteSize: 0 bytes/workgroup (compile time only)
; SGPRBlocks: 0
; VGPRBlocks: 0
; NumSGPRsForWavesPerEU: 1
; NumVGPRsForWavesPerEU: 1
; Occupancy: 16
; WaveLimiterHint : 0
; COMPUTE_PGM_RSRC2:SCRATCH_EN: 0
; COMPUTE_PGM_RSRC2:USER_SGPR: 2
; COMPUTE_PGM_RSRC2:TRAP_HANDLER: 0
; COMPUTE_PGM_RSRC2:TGID_X_EN: 1
; COMPUTE_PGM_RSRC2:TGID_Y_EN: 0
; COMPUTE_PGM_RSRC2:TGID_Z_EN: 0
; COMPUTE_PGM_RSRC2:TIDIG_COMP_CNT: 0
	.section	.text._ZN7rocprim17ROCPRIM_400000_NS6detail17trampoline_kernelINS0_14default_configENS1_25partition_config_selectorILNS1_17partition_subalgoE5EdNS0_10empty_typeEbEEZZNS1_14partition_implILS5_5ELb0ES3_mN6thrust23THRUST_200600_302600_NS6detail15normal_iteratorINSA_10device_ptrIdEEEEPS6_NSA_18transform_iteratorINSB_9not_fun_tI7is_trueIdEEENSC_INSD_IbEEEENSA_11use_defaultESO_EENS0_5tupleIJSF_S6_EEENSQ_IJSG_SG_EEES6_PlJS6_EEE10hipError_tPvRmT3_T4_T5_T6_T7_T9_mT8_P12ihipStream_tbDpT10_ENKUlT_T0_E_clISt17integral_constantIbLb1EES1C_IbLb0EEEEDaS18_S19_EUlS18_E_NS1_11comp_targetILNS1_3genE2ELNS1_11target_archE906ELNS1_3gpuE6ELNS1_3repE0EEENS1_30default_config_static_selectorELNS0_4arch9wavefront6targetE0EEEvT1_,"axG",@progbits,_ZN7rocprim17ROCPRIM_400000_NS6detail17trampoline_kernelINS0_14default_configENS1_25partition_config_selectorILNS1_17partition_subalgoE5EdNS0_10empty_typeEbEEZZNS1_14partition_implILS5_5ELb0ES3_mN6thrust23THRUST_200600_302600_NS6detail15normal_iteratorINSA_10device_ptrIdEEEEPS6_NSA_18transform_iteratorINSB_9not_fun_tI7is_trueIdEEENSC_INSD_IbEEEENSA_11use_defaultESO_EENS0_5tupleIJSF_S6_EEENSQ_IJSG_SG_EEES6_PlJS6_EEE10hipError_tPvRmT3_T4_T5_T6_T7_T9_mT8_P12ihipStream_tbDpT10_ENKUlT_T0_E_clISt17integral_constantIbLb1EES1C_IbLb0EEEEDaS18_S19_EUlS18_E_NS1_11comp_targetILNS1_3genE2ELNS1_11target_archE906ELNS1_3gpuE6ELNS1_3repE0EEENS1_30default_config_static_selectorELNS0_4arch9wavefront6targetE0EEEvT1_,comdat
	.protected	_ZN7rocprim17ROCPRIM_400000_NS6detail17trampoline_kernelINS0_14default_configENS1_25partition_config_selectorILNS1_17partition_subalgoE5EdNS0_10empty_typeEbEEZZNS1_14partition_implILS5_5ELb0ES3_mN6thrust23THRUST_200600_302600_NS6detail15normal_iteratorINSA_10device_ptrIdEEEEPS6_NSA_18transform_iteratorINSB_9not_fun_tI7is_trueIdEEENSC_INSD_IbEEEENSA_11use_defaultESO_EENS0_5tupleIJSF_S6_EEENSQ_IJSG_SG_EEES6_PlJS6_EEE10hipError_tPvRmT3_T4_T5_T6_T7_T9_mT8_P12ihipStream_tbDpT10_ENKUlT_T0_E_clISt17integral_constantIbLb1EES1C_IbLb0EEEEDaS18_S19_EUlS18_E_NS1_11comp_targetILNS1_3genE2ELNS1_11target_archE906ELNS1_3gpuE6ELNS1_3repE0EEENS1_30default_config_static_selectorELNS0_4arch9wavefront6targetE0EEEvT1_ ; -- Begin function _ZN7rocprim17ROCPRIM_400000_NS6detail17trampoline_kernelINS0_14default_configENS1_25partition_config_selectorILNS1_17partition_subalgoE5EdNS0_10empty_typeEbEEZZNS1_14partition_implILS5_5ELb0ES3_mN6thrust23THRUST_200600_302600_NS6detail15normal_iteratorINSA_10device_ptrIdEEEEPS6_NSA_18transform_iteratorINSB_9not_fun_tI7is_trueIdEEENSC_INSD_IbEEEENSA_11use_defaultESO_EENS0_5tupleIJSF_S6_EEENSQ_IJSG_SG_EEES6_PlJS6_EEE10hipError_tPvRmT3_T4_T5_T6_T7_T9_mT8_P12ihipStream_tbDpT10_ENKUlT_T0_E_clISt17integral_constantIbLb1EES1C_IbLb0EEEEDaS18_S19_EUlS18_E_NS1_11comp_targetILNS1_3genE2ELNS1_11target_archE906ELNS1_3gpuE6ELNS1_3repE0EEENS1_30default_config_static_selectorELNS0_4arch9wavefront6targetE0EEEvT1_
	.globl	_ZN7rocprim17ROCPRIM_400000_NS6detail17trampoline_kernelINS0_14default_configENS1_25partition_config_selectorILNS1_17partition_subalgoE5EdNS0_10empty_typeEbEEZZNS1_14partition_implILS5_5ELb0ES3_mN6thrust23THRUST_200600_302600_NS6detail15normal_iteratorINSA_10device_ptrIdEEEEPS6_NSA_18transform_iteratorINSB_9not_fun_tI7is_trueIdEEENSC_INSD_IbEEEENSA_11use_defaultESO_EENS0_5tupleIJSF_S6_EEENSQ_IJSG_SG_EEES6_PlJS6_EEE10hipError_tPvRmT3_T4_T5_T6_T7_T9_mT8_P12ihipStream_tbDpT10_ENKUlT_T0_E_clISt17integral_constantIbLb1EES1C_IbLb0EEEEDaS18_S19_EUlS18_E_NS1_11comp_targetILNS1_3genE2ELNS1_11target_archE906ELNS1_3gpuE6ELNS1_3repE0EEENS1_30default_config_static_selectorELNS0_4arch9wavefront6targetE0EEEvT1_
	.p2align	8
	.type	_ZN7rocprim17ROCPRIM_400000_NS6detail17trampoline_kernelINS0_14default_configENS1_25partition_config_selectorILNS1_17partition_subalgoE5EdNS0_10empty_typeEbEEZZNS1_14partition_implILS5_5ELb0ES3_mN6thrust23THRUST_200600_302600_NS6detail15normal_iteratorINSA_10device_ptrIdEEEEPS6_NSA_18transform_iteratorINSB_9not_fun_tI7is_trueIdEEENSC_INSD_IbEEEENSA_11use_defaultESO_EENS0_5tupleIJSF_S6_EEENSQ_IJSG_SG_EEES6_PlJS6_EEE10hipError_tPvRmT3_T4_T5_T6_T7_T9_mT8_P12ihipStream_tbDpT10_ENKUlT_T0_E_clISt17integral_constantIbLb1EES1C_IbLb0EEEEDaS18_S19_EUlS18_E_NS1_11comp_targetILNS1_3genE2ELNS1_11target_archE906ELNS1_3gpuE6ELNS1_3repE0EEENS1_30default_config_static_selectorELNS0_4arch9wavefront6targetE0EEEvT1_,@function
_ZN7rocprim17ROCPRIM_400000_NS6detail17trampoline_kernelINS0_14default_configENS1_25partition_config_selectorILNS1_17partition_subalgoE5EdNS0_10empty_typeEbEEZZNS1_14partition_implILS5_5ELb0ES3_mN6thrust23THRUST_200600_302600_NS6detail15normal_iteratorINSA_10device_ptrIdEEEEPS6_NSA_18transform_iteratorINSB_9not_fun_tI7is_trueIdEEENSC_INSD_IbEEEENSA_11use_defaultESO_EENS0_5tupleIJSF_S6_EEENSQ_IJSG_SG_EEES6_PlJS6_EEE10hipError_tPvRmT3_T4_T5_T6_T7_T9_mT8_P12ihipStream_tbDpT10_ENKUlT_T0_E_clISt17integral_constantIbLb1EES1C_IbLb0EEEEDaS18_S19_EUlS18_E_NS1_11comp_targetILNS1_3genE2ELNS1_11target_archE906ELNS1_3gpuE6ELNS1_3repE0EEENS1_30default_config_static_selectorELNS0_4arch9wavefront6targetE0EEEvT1_: ; @_ZN7rocprim17ROCPRIM_400000_NS6detail17trampoline_kernelINS0_14default_configENS1_25partition_config_selectorILNS1_17partition_subalgoE5EdNS0_10empty_typeEbEEZZNS1_14partition_implILS5_5ELb0ES3_mN6thrust23THRUST_200600_302600_NS6detail15normal_iteratorINSA_10device_ptrIdEEEEPS6_NSA_18transform_iteratorINSB_9not_fun_tI7is_trueIdEEENSC_INSD_IbEEEENSA_11use_defaultESO_EENS0_5tupleIJSF_S6_EEENSQ_IJSG_SG_EEES6_PlJS6_EEE10hipError_tPvRmT3_T4_T5_T6_T7_T9_mT8_P12ihipStream_tbDpT10_ENKUlT_T0_E_clISt17integral_constantIbLb1EES1C_IbLb0EEEEDaS18_S19_EUlS18_E_NS1_11comp_targetILNS1_3genE2ELNS1_11target_archE906ELNS1_3gpuE6ELNS1_3repE0EEENS1_30default_config_static_selectorELNS0_4arch9wavefront6targetE0EEEvT1_
; %bb.0:
	.section	.rodata,"a",@progbits
	.p2align	6, 0x0
	.amdhsa_kernel _ZN7rocprim17ROCPRIM_400000_NS6detail17trampoline_kernelINS0_14default_configENS1_25partition_config_selectorILNS1_17partition_subalgoE5EdNS0_10empty_typeEbEEZZNS1_14partition_implILS5_5ELb0ES3_mN6thrust23THRUST_200600_302600_NS6detail15normal_iteratorINSA_10device_ptrIdEEEEPS6_NSA_18transform_iteratorINSB_9not_fun_tI7is_trueIdEEENSC_INSD_IbEEEENSA_11use_defaultESO_EENS0_5tupleIJSF_S6_EEENSQ_IJSG_SG_EEES6_PlJS6_EEE10hipError_tPvRmT3_T4_T5_T6_T7_T9_mT8_P12ihipStream_tbDpT10_ENKUlT_T0_E_clISt17integral_constantIbLb1EES1C_IbLb0EEEEDaS18_S19_EUlS18_E_NS1_11comp_targetILNS1_3genE2ELNS1_11target_archE906ELNS1_3gpuE6ELNS1_3repE0EEENS1_30default_config_static_selectorELNS0_4arch9wavefront6targetE0EEEvT1_
		.amdhsa_group_segment_fixed_size 0
		.amdhsa_private_segment_fixed_size 0
		.amdhsa_kernarg_size 120
		.amdhsa_user_sgpr_count 2
		.amdhsa_user_sgpr_dispatch_ptr 0
		.amdhsa_user_sgpr_queue_ptr 0
		.amdhsa_user_sgpr_kernarg_segment_ptr 1
		.amdhsa_user_sgpr_dispatch_id 0
		.amdhsa_user_sgpr_private_segment_size 0
		.amdhsa_wavefront_size32 1
		.amdhsa_uses_dynamic_stack 0
		.amdhsa_enable_private_segment 0
		.amdhsa_system_sgpr_workgroup_id_x 1
		.amdhsa_system_sgpr_workgroup_id_y 0
		.amdhsa_system_sgpr_workgroup_id_z 0
		.amdhsa_system_sgpr_workgroup_info 0
		.amdhsa_system_vgpr_workitem_id 0
		.amdhsa_next_free_vgpr 1
		.amdhsa_next_free_sgpr 1
		.amdhsa_reserve_vcc 0
		.amdhsa_float_round_mode_32 0
		.amdhsa_float_round_mode_16_64 0
		.amdhsa_float_denorm_mode_32 3
		.amdhsa_float_denorm_mode_16_64 3
		.amdhsa_fp16_overflow 0
		.amdhsa_workgroup_processor_mode 1
		.amdhsa_memory_ordered 1
		.amdhsa_forward_progress 1
		.amdhsa_inst_pref_size 0
		.amdhsa_round_robin_scheduling 0
		.amdhsa_exception_fp_ieee_invalid_op 0
		.amdhsa_exception_fp_denorm_src 0
		.amdhsa_exception_fp_ieee_div_zero 0
		.amdhsa_exception_fp_ieee_overflow 0
		.amdhsa_exception_fp_ieee_underflow 0
		.amdhsa_exception_fp_ieee_inexact 0
		.amdhsa_exception_int_div_zero 0
	.end_amdhsa_kernel
	.section	.text._ZN7rocprim17ROCPRIM_400000_NS6detail17trampoline_kernelINS0_14default_configENS1_25partition_config_selectorILNS1_17partition_subalgoE5EdNS0_10empty_typeEbEEZZNS1_14partition_implILS5_5ELb0ES3_mN6thrust23THRUST_200600_302600_NS6detail15normal_iteratorINSA_10device_ptrIdEEEEPS6_NSA_18transform_iteratorINSB_9not_fun_tI7is_trueIdEEENSC_INSD_IbEEEENSA_11use_defaultESO_EENS0_5tupleIJSF_S6_EEENSQ_IJSG_SG_EEES6_PlJS6_EEE10hipError_tPvRmT3_T4_T5_T6_T7_T9_mT8_P12ihipStream_tbDpT10_ENKUlT_T0_E_clISt17integral_constantIbLb1EES1C_IbLb0EEEEDaS18_S19_EUlS18_E_NS1_11comp_targetILNS1_3genE2ELNS1_11target_archE906ELNS1_3gpuE6ELNS1_3repE0EEENS1_30default_config_static_selectorELNS0_4arch9wavefront6targetE0EEEvT1_,"axG",@progbits,_ZN7rocprim17ROCPRIM_400000_NS6detail17trampoline_kernelINS0_14default_configENS1_25partition_config_selectorILNS1_17partition_subalgoE5EdNS0_10empty_typeEbEEZZNS1_14partition_implILS5_5ELb0ES3_mN6thrust23THRUST_200600_302600_NS6detail15normal_iteratorINSA_10device_ptrIdEEEEPS6_NSA_18transform_iteratorINSB_9not_fun_tI7is_trueIdEEENSC_INSD_IbEEEENSA_11use_defaultESO_EENS0_5tupleIJSF_S6_EEENSQ_IJSG_SG_EEES6_PlJS6_EEE10hipError_tPvRmT3_T4_T5_T6_T7_T9_mT8_P12ihipStream_tbDpT10_ENKUlT_T0_E_clISt17integral_constantIbLb1EES1C_IbLb0EEEEDaS18_S19_EUlS18_E_NS1_11comp_targetILNS1_3genE2ELNS1_11target_archE906ELNS1_3gpuE6ELNS1_3repE0EEENS1_30default_config_static_selectorELNS0_4arch9wavefront6targetE0EEEvT1_,comdat
.Lfunc_end2353:
	.size	_ZN7rocprim17ROCPRIM_400000_NS6detail17trampoline_kernelINS0_14default_configENS1_25partition_config_selectorILNS1_17partition_subalgoE5EdNS0_10empty_typeEbEEZZNS1_14partition_implILS5_5ELb0ES3_mN6thrust23THRUST_200600_302600_NS6detail15normal_iteratorINSA_10device_ptrIdEEEEPS6_NSA_18transform_iteratorINSB_9not_fun_tI7is_trueIdEEENSC_INSD_IbEEEENSA_11use_defaultESO_EENS0_5tupleIJSF_S6_EEENSQ_IJSG_SG_EEES6_PlJS6_EEE10hipError_tPvRmT3_T4_T5_T6_T7_T9_mT8_P12ihipStream_tbDpT10_ENKUlT_T0_E_clISt17integral_constantIbLb1EES1C_IbLb0EEEEDaS18_S19_EUlS18_E_NS1_11comp_targetILNS1_3genE2ELNS1_11target_archE906ELNS1_3gpuE6ELNS1_3repE0EEENS1_30default_config_static_selectorELNS0_4arch9wavefront6targetE0EEEvT1_, .Lfunc_end2353-_ZN7rocprim17ROCPRIM_400000_NS6detail17trampoline_kernelINS0_14default_configENS1_25partition_config_selectorILNS1_17partition_subalgoE5EdNS0_10empty_typeEbEEZZNS1_14partition_implILS5_5ELb0ES3_mN6thrust23THRUST_200600_302600_NS6detail15normal_iteratorINSA_10device_ptrIdEEEEPS6_NSA_18transform_iteratorINSB_9not_fun_tI7is_trueIdEEENSC_INSD_IbEEEENSA_11use_defaultESO_EENS0_5tupleIJSF_S6_EEENSQ_IJSG_SG_EEES6_PlJS6_EEE10hipError_tPvRmT3_T4_T5_T6_T7_T9_mT8_P12ihipStream_tbDpT10_ENKUlT_T0_E_clISt17integral_constantIbLb1EES1C_IbLb0EEEEDaS18_S19_EUlS18_E_NS1_11comp_targetILNS1_3genE2ELNS1_11target_archE906ELNS1_3gpuE6ELNS1_3repE0EEENS1_30default_config_static_selectorELNS0_4arch9wavefront6targetE0EEEvT1_
                                        ; -- End function
	.set _ZN7rocprim17ROCPRIM_400000_NS6detail17trampoline_kernelINS0_14default_configENS1_25partition_config_selectorILNS1_17partition_subalgoE5EdNS0_10empty_typeEbEEZZNS1_14partition_implILS5_5ELb0ES3_mN6thrust23THRUST_200600_302600_NS6detail15normal_iteratorINSA_10device_ptrIdEEEEPS6_NSA_18transform_iteratorINSB_9not_fun_tI7is_trueIdEEENSC_INSD_IbEEEENSA_11use_defaultESO_EENS0_5tupleIJSF_S6_EEENSQ_IJSG_SG_EEES6_PlJS6_EEE10hipError_tPvRmT3_T4_T5_T6_T7_T9_mT8_P12ihipStream_tbDpT10_ENKUlT_T0_E_clISt17integral_constantIbLb1EES1C_IbLb0EEEEDaS18_S19_EUlS18_E_NS1_11comp_targetILNS1_3genE2ELNS1_11target_archE906ELNS1_3gpuE6ELNS1_3repE0EEENS1_30default_config_static_selectorELNS0_4arch9wavefront6targetE0EEEvT1_.num_vgpr, 0
	.set _ZN7rocprim17ROCPRIM_400000_NS6detail17trampoline_kernelINS0_14default_configENS1_25partition_config_selectorILNS1_17partition_subalgoE5EdNS0_10empty_typeEbEEZZNS1_14partition_implILS5_5ELb0ES3_mN6thrust23THRUST_200600_302600_NS6detail15normal_iteratorINSA_10device_ptrIdEEEEPS6_NSA_18transform_iteratorINSB_9not_fun_tI7is_trueIdEEENSC_INSD_IbEEEENSA_11use_defaultESO_EENS0_5tupleIJSF_S6_EEENSQ_IJSG_SG_EEES6_PlJS6_EEE10hipError_tPvRmT3_T4_T5_T6_T7_T9_mT8_P12ihipStream_tbDpT10_ENKUlT_T0_E_clISt17integral_constantIbLb1EES1C_IbLb0EEEEDaS18_S19_EUlS18_E_NS1_11comp_targetILNS1_3genE2ELNS1_11target_archE906ELNS1_3gpuE6ELNS1_3repE0EEENS1_30default_config_static_selectorELNS0_4arch9wavefront6targetE0EEEvT1_.num_agpr, 0
	.set _ZN7rocprim17ROCPRIM_400000_NS6detail17trampoline_kernelINS0_14default_configENS1_25partition_config_selectorILNS1_17partition_subalgoE5EdNS0_10empty_typeEbEEZZNS1_14partition_implILS5_5ELb0ES3_mN6thrust23THRUST_200600_302600_NS6detail15normal_iteratorINSA_10device_ptrIdEEEEPS6_NSA_18transform_iteratorINSB_9not_fun_tI7is_trueIdEEENSC_INSD_IbEEEENSA_11use_defaultESO_EENS0_5tupleIJSF_S6_EEENSQ_IJSG_SG_EEES6_PlJS6_EEE10hipError_tPvRmT3_T4_T5_T6_T7_T9_mT8_P12ihipStream_tbDpT10_ENKUlT_T0_E_clISt17integral_constantIbLb1EES1C_IbLb0EEEEDaS18_S19_EUlS18_E_NS1_11comp_targetILNS1_3genE2ELNS1_11target_archE906ELNS1_3gpuE6ELNS1_3repE0EEENS1_30default_config_static_selectorELNS0_4arch9wavefront6targetE0EEEvT1_.numbered_sgpr, 0
	.set _ZN7rocprim17ROCPRIM_400000_NS6detail17trampoline_kernelINS0_14default_configENS1_25partition_config_selectorILNS1_17partition_subalgoE5EdNS0_10empty_typeEbEEZZNS1_14partition_implILS5_5ELb0ES3_mN6thrust23THRUST_200600_302600_NS6detail15normal_iteratorINSA_10device_ptrIdEEEEPS6_NSA_18transform_iteratorINSB_9not_fun_tI7is_trueIdEEENSC_INSD_IbEEEENSA_11use_defaultESO_EENS0_5tupleIJSF_S6_EEENSQ_IJSG_SG_EEES6_PlJS6_EEE10hipError_tPvRmT3_T4_T5_T6_T7_T9_mT8_P12ihipStream_tbDpT10_ENKUlT_T0_E_clISt17integral_constantIbLb1EES1C_IbLb0EEEEDaS18_S19_EUlS18_E_NS1_11comp_targetILNS1_3genE2ELNS1_11target_archE906ELNS1_3gpuE6ELNS1_3repE0EEENS1_30default_config_static_selectorELNS0_4arch9wavefront6targetE0EEEvT1_.num_named_barrier, 0
	.set _ZN7rocprim17ROCPRIM_400000_NS6detail17trampoline_kernelINS0_14default_configENS1_25partition_config_selectorILNS1_17partition_subalgoE5EdNS0_10empty_typeEbEEZZNS1_14partition_implILS5_5ELb0ES3_mN6thrust23THRUST_200600_302600_NS6detail15normal_iteratorINSA_10device_ptrIdEEEEPS6_NSA_18transform_iteratorINSB_9not_fun_tI7is_trueIdEEENSC_INSD_IbEEEENSA_11use_defaultESO_EENS0_5tupleIJSF_S6_EEENSQ_IJSG_SG_EEES6_PlJS6_EEE10hipError_tPvRmT3_T4_T5_T6_T7_T9_mT8_P12ihipStream_tbDpT10_ENKUlT_T0_E_clISt17integral_constantIbLb1EES1C_IbLb0EEEEDaS18_S19_EUlS18_E_NS1_11comp_targetILNS1_3genE2ELNS1_11target_archE906ELNS1_3gpuE6ELNS1_3repE0EEENS1_30default_config_static_selectorELNS0_4arch9wavefront6targetE0EEEvT1_.private_seg_size, 0
	.set _ZN7rocprim17ROCPRIM_400000_NS6detail17trampoline_kernelINS0_14default_configENS1_25partition_config_selectorILNS1_17partition_subalgoE5EdNS0_10empty_typeEbEEZZNS1_14partition_implILS5_5ELb0ES3_mN6thrust23THRUST_200600_302600_NS6detail15normal_iteratorINSA_10device_ptrIdEEEEPS6_NSA_18transform_iteratorINSB_9not_fun_tI7is_trueIdEEENSC_INSD_IbEEEENSA_11use_defaultESO_EENS0_5tupleIJSF_S6_EEENSQ_IJSG_SG_EEES6_PlJS6_EEE10hipError_tPvRmT3_T4_T5_T6_T7_T9_mT8_P12ihipStream_tbDpT10_ENKUlT_T0_E_clISt17integral_constantIbLb1EES1C_IbLb0EEEEDaS18_S19_EUlS18_E_NS1_11comp_targetILNS1_3genE2ELNS1_11target_archE906ELNS1_3gpuE6ELNS1_3repE0EEENS1_30default_config_static_selectorELNS0_4arch9wavefront6targetE0EEEvT1_.uses_vcc, 0
	.set _ZN7rocprim17ROCPRIM_400000_NS6detail17trampoline_kernelINS0_14default_configENS1_25partition_config_selectorILNS1_17partition_subalgoE5EdNS0_10empty_typeEbEEZZNS1_14partition_implILS5_5ELb0ES3_mN6thrust23THRUST_200600_302600_NS6detail15normal_iteratorINSA_10device_ptrIdEEEEPS6_NSA_18transform_iteratorINSB_9not_fun_tI7is_trueIdEEENSC_INSD_IbEEEENSA_11use_defaultESO_EENS0_5tupleIJSF_S6_EEENSQ_IJSG_SG_EEES6_PlJS6_EEE10hipError_tPvRmT3_T4_T5_T6_T7_T9_mT8_P12ihipStream_tbDpT10_ENKUlT_T0_E_clISt17integral_constantIbLb1EES1C_IbLb0EEEEDaS18_S19_EUlS18_E_NS1_11comp_targetILNS1_3genE2ELNS1_11target_archE906ELNS1_3gpuE6ELNS1_3repE0EEENS1_30default_config_static_selectorELNS0_4arch9wavefront6targetE0EEEvT1_.uses_flat_scratch, 0
	.set _ZN7rocprim17ROCPRIM_400000_NS6detail17trampoline_kernelINS0_14default_configENS1_25partition_config_selectorILNS1_17partition_subalgoE5EdNS0_10empty_typeEbEEZZNS1_14partition_implILS5_5ELb0ES3_mN6thrust23THRUST_200600_302600_NS6detail15normal_iteratorINSA_10device_ptrIdEEEEPS6_NSA_18transform_iteratorINSB_9not_fun_tI7is_trueIdEEENSC_INSD_IbEEEENSA_11use_defaultESO_EENS0_5tupleIJSF_S6_EEENSQ_IJSG_SG_EEES6_PlJS6_EEE10hipError_tPvRmT3_T4_T5_T6_T7_T9_mT8_P12ihipStream_tbDpT10_ENKUlT_T0_E_clISt17integral_constantIbLb1EES1C_IbLb0EEEEDaS18_S19_EUlS18_E_NS1_11comp_targetILNS1_3genE2ELNS1_11target_archE906ELNS1_3gpuE6ELNS1_3repE0EEENS1_30default_config_static_selectorELNS0_4arch9wavefront6targetE0EEEvT1_.has_dyn_sized_stack, 0
	.set _ZN7rocprim17ROCPRIM_400000_NS6detail17trampoline_kernelINS0_14default_configENS1_25partition_config_selectorILNS1_17partition_subalgoE5EdNS0_10empty_typeEbEEZZNS1_14partition_implILS5_5ELb0ES3_mN6thrust23THRUST_200600_302600_NS6detail15normal_iteratorINSA_10device_ptrIdEEEEPS6_NSA_18transform_iteratorINSB_9not_fun_tI7is_trueIdEEENSC_INSD_IbEEEENSA_11use_defaultESO_EENS0_5tupleIJSF_S6_EEENSQ_IJSG_SG_EEES6_PlJS6_EEE10hipError_tPvRmT3_T4_T5_T6_T7_T9_mT8_P12ihipStream_tbDpT10_ENKUlT_T0_E_clISt17integral_constantIbLb1EES1C_IbLb0EEEEDaS18_S19_EUlS18_E_NS1_11comp_targetILNS1_3genE2ELNS1_11target_archE906ELNS1_3gpuE6ELNS1_3repE0EEENS1_30default_config_static_selectorELNS0_4arch9wavefront6targetE0EEEvT1_.has_recursion, 0
	.set _ZN7rocprim17ROCPRIM_400000_NS6detail17trampoline_kernelINS0_14default_configENS1_25partition_config_selectorILNS1_17partition_subalgoE5EdNS0_10empty_typeEbEEZZNS1_14partition_implILS5_5ELb0ES3_mN6thrust23THRUST_200600_302600_NS6detail15normal_iteratorINSA_10device_ptrIdEEEEPS6_NSA_18transform_iteratorINSB_9not_fun_tI7is_trueIdEEENSC_INSD_IbEEEENSA_11use_defaultESO_EENS0_5tupleIJSF_S6_EEENSQ_IJSG_SG_EEES6_PlJS6_EEE10hipError_tPvRmT3_T4_T5_T6_T7_T9_mT8_P12ihipStream_tbDpT10_ENKUlT_T0_E_clISt17integral_constantIbLb1EES1C_IbLb0EEEEDaS18_S19_EUlS18_E_NS1_11comp_targetILNS1_3genE2ELNS1_11target_archE906ELNS1_3gpuE6ELNS1_3repE0EEENS1_30default_config_static_selectorELNS0_4arch9wavefront6targetE0EEEvT1_.has_indirect_call, 0
	.section	.AMDGPU.csdata,"",@progbits
; Kernel info:
; codeLenInByte = 0
; TotalNumSgprs: 0
; NumVgprs: 0
; ScratchSize: 0
; MemoryBound: 0
; FloatMode: 240
; IeeeMode: 1
; LDSByteSize: 0 bytes/workgroup (compile time only)
; SGPRBlocks: 0
; VGPRBlocks: 0
; NumSGPRsForWavesPerEU: 1
; NumVGPRsForWavesPerEU: 1
; Occupancy: 16
; WaveLimiterHint : 0
; COMPUTE_PGM_RSRC2:SCRATCH_EN: 0
; COMPUTE_PGM_RSRC2:USER_SGPR: 2
; COMPUTE_PGM_RSRC2:TRAP_HANDLER: 0
; COMPUTE_PGM_RSRC2:TGID_X_EN: 1
; COMPUTE_PGM_RSRC2:TGID_Y_EN: 0
; COMPUTE_PGM_RSRC2:TGID_Z_EN: 0
; COMPUTE_PGM_RSRC2:TIDIG_COMP_CNT: 0
	.section	.text._ZN7rocprim17ROCPRIM_400000_NS6detail17trampoline_kernelINS0_14default_configENS1_25partition_config_selectorILNS1_17partition_subalgoE5EdNS0_10empty_typeEbEEZZNS1_14partition_implILS5_5ELb0ES3_mN6thrust23THRUST_200600_302600_NS6detail15normal_iteratorINSA_10device_ptrIdEEEEPS6_NSA_18transform_iteratorINSB_9not_fun_tI7is_trueIdEEENSC_INSD_IbEEEENSA_11use_defaultESO_EENS0_5tupleIJSF_S6_EEENSQ_IJSG_SG_EEES6_PlJS6_EEE10hipError_tPvRmT3_T4_T5_T6_T7_T9_mT8_P12ihipStream_tbDpT10_ENKUlT_T0_E_clISt17integral_constantIbLb1EES1C_IbLb0EEEEDaS18_S19_EUlS18_E_NS1_11comp_targetILNS1_3genE10ELNS1_11target_archE1200ELNS1_3gpuE4ELNS1_3repE0EEENS1_30default_config_static_selectorELNS0_4arch9wavefront6targetE0EEEvT1_,"axG",@progbits,_ZN7rocprim17ROCPRIM_400000_NS6detail17trampoline_kernelINS0_14default_configENS1_25partition_config_selectorILNS1_17partition_subalgoE5EdNS0_10empty_typeEbEEZZNS1_14partition_implILS5_5ELb0ES3_mN6thrust23THRUST_200600_302600_NS6detail15normal_iteratorINSA_10device_ptrIdEEEEPS6_NSA_18transform_iteratorINSB_9not_fun_tI7is_trueIdEEENSC_INSD_IbEEEENSA_11use_defaultESO_EENS0_5tupleIJSF_S6_EEENSQ_IJSG_SG_EEES6_PlJS6_EEE10hipError_tPvRmT3_T4_T5_T6_T7_T9_mT8_P12ihipStream_tbDpT10_ENKUlT_T0_E_clISt17integral_constantIbLb1EES1C_IbLb0EEEEDaS18_S19_EUlS18_E_NS1_11comp_targetILNS1_3genE10ELNS1_11target_archE1200ELNS1_3gpuE4ELNS1_3repE0EEENS1_30default_config_static_selectorELNS0_4arch9wavefront6targetE0EEEvT1_,comdat
	.protected	_ZN7rocprim17ROCPRIM_400000_NS6detail17trampoline_kernelINS0_14default_configENS1_25partition_config_selectorILNS1_17partition_subalgoE5EdNS0_10empty_typeEbEEZZNS1_14partition_implILS5_5ELb0ES3_mN6thrust23THRUST_200600_302600_NS6detail15normal_iteratorINSA_10device_ptrIdEEEEPS6_NSA_18transform_iteratorINSB_9not_fun_tI7is_trueIdEEENSC_INSD_IbEEEENSA_11use_defaultESO_EENS0_5tupleIJSF_S6_EEENSQ_IJSG_SG_EEES6_PlJS6_EEE10hipError_tPvRmT3_T4_T5_T6_T7_T9_mT8_P12ihipStream_tbDpT10_ENKUlT_T0_E_clISt17integral_constantIbLb1EES1C_IbLb0EEEEDaS18_S19_EUlS18_E_NS1_11comp_targetILNS1_3genE10ELNS1_11target_archE1200ELNS1_3gpuE4ELNS1_3repE0EEENS1_30default_config_static_selectorELNS0_4arch9wavefront6targetE0EEEvT1_ ; -- Begin function _ZN7rocprim17ROCPRIM_400000_NS6detail17trampoline_kernelINS0_14default_configENS1_25partition_config_selectorILNS1_17partition_subalgoE5EdNS0_10empty_typeEbEEZZNS1_14partition_implILS5_5ELb0ES3_mN6thrust23THRUST_200600_302600_NS6detail15normal_iteratorINSA_10device_ptrIdEEEEPS6_NSA_18transform_iteratorINSB_9not_fun_tI7is_trueIdEEENSC_INSD_IbEEEENSA_11use_defaultESO_EENS0_5tupleIJSF_S6_EEENSQ_IJSG_SG_EEES6_PlJS6_EEE10hipError_tPvRmT3_T4_T5_T6_T7_T9_mT8_P12ihipStream_tbDpT10_ENKUlT_T0_E_clISt17integral_constantIbLb1EES1C_IbLb0EEEEDaS18_S19_EUlS18_E_NS1_11comp_targetILNS1_3genE10ELNS1_11target_archE1200ELNS1_3gpuE4ELNS1_3repE0EEENS1_30default_config_static_selectorELNS0_4arch9wavefront6targetE0EEEvT1_
	.globl	_ZN7rocprim17ROCPRIM_400000_NS6detail17trampoline_kernelINS0_14default_configENS1_25partition_config_selectorILNS1_17partition_subalgoE5EdNS0_10empty_typeEbEEZZNS1_14partition_implILS5_5ELb0ES3_mN6thrust23THRUST_200600_302600_NS6detail15normal_iteratorINSA_10device_ptrIdEEEEPS6_NSA_18transform_iteratorINSB_9not_fun_tI7is_trueIdEEENSC_INSD_IbEEEENSA_11use_defaultESO_EENS0_5tupleIJSF_S6_EEENSQ_IJSG_SG_EEES6_PlJS6_EEE10hipError_tPvRmT3_T4_T5_T6_T7_T9_mT8_P12ihipStream_tbDpT10_ENKUlT_T0_E_clISt17integral_constantIbLb1EES1C_IbLb0EEEEDaS18_S19_EUlS18_E_NS1_11comp_targetILNS1_3genE10ELNS1_11target_archE1200ELNS1_3gpuE4ELNS1_3repE0EEENS1_30default_config_static_selectorELNS0_4arch9wavefront6targetE0EEEvT1_
	.p2align	8
	.type	_ZN7rocprim17ROCPRIM_400000_NS6detail17trampoline_kernelINS0_14default_configENS1_25partition_config_selectorILNS1_17partition_subalgoE5EdNS0_10empty_typeEbEEZZNS1_14partition_implILS5_5ELb0ES3_mN6thrust23THRUST_200600_302600_NS6detail15normal_iteratorINSA_10device_ptrIdEEEEPS6_NSA_18transform_iteratorINSB_9not_fun_tI7is_trueIdEEENSC_INSD_IbEEEENSA_11use_defaultESO_EENS0_5tupleIJSF_S6_EEENSQ_IJSG_SG_EEES6_PlJS6_EEE10hipError_tPvRmT3_T4_T5_T6_T7_T9_mT8_P12ihipStream_tbDpT10_ENKUlT_T0_E_clISt17integral_constantIbLb1EES1C_IbLb0EEEEDaS18_S19_EUlS18_E_NS1_11comp_targetILNS1_3genE10ELNS1_11target_archE1200ELNS1_3gpuE4ELNS1_3repE0EEENS1_30default_config_static_selectorELNS0_4arch9wavefront6targetE0EEEvT1_,@function
_ZN7rocprim17ROCPRIM_400000_NS6detail17trampoline_kernelINS0_14default_configENS1_25partition_config_selectorILNS1_17partition_subalgoE5EdNS0_10empty_typeEbEEZZNS1_14partition_implILS5_5ELb0ES3_mN6thrust23THRUST_200600_302600_NS6detail15normal_iteratorINSA_10device_ptrIdEEEEPS6_NSA_18transform_iteratorINSB_9not_fun_tI7is_trueIdEEENSC_INSD_IbEEEENSA_11use_defaultESO_EENS0_5tupleIJSF_S6_EEENSQ_IJSG_SG_EEES6_PlJS6_EEE10hipError_tPvRmT3_T4_T5_T6_T7_T9_mT8_P12ihipStream_tbDpT10_ENKUlT_T0_E_clISt17integral_constantIbLb1EES1C_IbLb0EEEEDaS18_S19_EUlS18_E_NS1_11comp_targetILNS1_3genE10ELNS1_11target_archE1200ELNS1_3gpuE4ELNS1_3repE0EEENS1_30default_config_static_selectorELNS0_4arch9wavefront6targetE0EEEvT1_: ; @_ZN7rocprim17ROCPRIM_400000_NS6detail17trampoline_kernelINS0_14default_configENS1_25partition_config_selectorILNS1_17partition_subalgoE5EdNS0_10empty_typeEbEEZZNS1_14partition_implILS5_5ELb0ES3_mN6thrust23THRUST_200600_302600_NS6detail15normal_iteratorINSA_10device_ptrIdEEEEPS6_NSA_18transform_iteratorINSB_9not_fun_tI7is_trueIdEEENSC_INSD_IbEEEENSA_11use_defaultESO_EENS0_5tupleIJSF_S6_EEENSQ_IJSG_SG_EEES6_PlJS6_EEE10hipError_tPvRmT3_T4_T5_T6_T7_T9_mT8_P12ihipStream_tbDpT10_ENKUlT_T0_E_clISt17integral_constantIbLb1EES1C_IbLb0EEEEDaS18_S19_EUlS18_E_NS1_11comp_targetILNS1_3genE10ELNS1_11target_archE1200ELNS1_3gpuE4ELNS1_3repE0EEENS1_30default_config_static_selectorELNS0_4arch9wavefront6targetE0EEEvT1_
; %bb.0:
	s_endpgm
	.section	.rodata,"a",@progbits
	.p2align	6, 0x0
	.amdhsa_kernel _ZN7rocprim17ROCPRIM_400000_NS6detail17trampoline_kernelINS0_14default_configENS1_25partition_config_selectorILNS1_17partition_subalgoE5EdNS0_10empty_typeEbEEZZNS1_14partition_implILS5_5ELb0ES3_mN6thrust23THRUST_200600_302600_NS6detail15normal_iteratorINSA_10device_ptrIdEEEEPS6_NSA_18transform_iteratorINSB_9not_fun_tI7is_trueIdEEENSC_INSD_IbEEEENSA_11use_defaultESO_EENS0_5tupleIJSF_S6_EEENSQ_IJSG_SG_EEES6_PlJS6_EEE10hipError_tPvRmT3_T4_T5_T6_T7_T9_mT8_P12ihipStream_tbDpT10_ENKUlT_T0_E_clISt17integral_constantIbLb1EES1C_IbLb0EEEEDaS18_S19_EUlS18_E_NS1_11comp_targetILNS1_3genE10ELNS1_11target_archE1200ELNS1_3gpuE4ELNS1_3repE0EEENS1_30default_config_static_selectorELNS0_4arch9wavefront6targetE0EEEvT1_
		.amdhsa_group_segment_fixed_size 0
		.amdhsa_private_segment_fixed_size 0
		.amdhsa_kernarg_size 120
		.amdhsa_user_sgpr_count 2
		.amdhsa_user_sgpr_dispatch_ptr 0
		.amdhsa_user_sgpr_queue_ptr 0
		.amdhsa_user_sgpr_kernarg_segment_ptr 1
		.amdhsa_user_sgpr_dispatch_id 0
		.amdhsa_user_sgpr_private_segment_size 0
		.amdhsa_wavefront_size32 1
		.amdhsa_uses_dynamic_stack 0
		.amdhsa_enable_private_segment 0
		.amdhsa_system_sgpr_workgroup_id_x 1
		.amdhsa_system_sgpr_workgroup_id_y 0
		.amdhsa_system_sgpr_workgroup_id_z 0
		.amdhsa_system_sgpr_workgroup_info 0
		.amdhsa_system_vgpr_workitem_id 0
		.amdhsa_next_free_vgpr 1
		.amdhsa_next_free_sgpr 1
		.amdhsa_reserve_vcc 0
		.amdhsa_float_round_mode_32 0
		.amdhsa_float_round_mode_16_64 0
		.amdhsa_float_denorm_mode_32 3
		.amdhsa_float_denorm_mode_16_64 3
		.amdhsa_fp16_overflow 0
		.amdhsa_workgroup_processor_mode 1
		.amdhsa_memory_ordered 1
		.amdhsa_forward_progress 1
		.amdhsa_inst_pref_size 1
		.amdhsa_round_robin_scheduling 0
		.amdhsa_exception_fp_ieee_invalid_op 0
		.amdhsa_exception_fp_denorm_src 0
		.amdhsa_exception_fp_ieee_div_zero 0
		.amdhsa_exception_fp_ieee_overflow 0
		.amdhsa_exception_fp_ieee_underflow 0
		.amdhsa_exception_fp_ieee_inexact 0
		.amdhsa_exception_int_div_zero 0
	.end_amdhsa_kernel
	.section	.text._ZN7rocprim17ROCPRIM_400000_NS6detail17trampoline_kernelINS0_14default_configENS1_25partition_config_selectorILNS1_17partition_subalgoE5EdNS0_10empty_typeEbEEZZNS1_14partition_implILS5_5ELb0ES3_mN6thrust23THRUST_200600_302600_NS6detail15normal_iteratorINSA_10device_ptrIdEEEEPS6_NSA_18transform_iteratorINSB_9not_fun_tI7is_trueIdEEENSC_INSD_IbEEEENSA_11use_defaultESO_EENS0_5tupleIJSF_S6_EEENSQ_IJSG_SG_EEES6_PlJS6_EEE10hipError_tPvRmT3_T4_T5_T6_T7_T9_mT8_P12ihipStream_tbDpT10_ENKUlT_T0_E_clISt17integral_constantIbLb1EES1C_IbLb0EEEEDaS18_S19_EUlS18_E_NS1_11comp_targetILNS1_3genE10ELNS1_11target_archE1200ELNS1_3gpuE4ELNS1_3repE0EEENS1_30default_config_static_selectorELNS0_4arch9wavefront6targetE0EEEvT1_,"axG",@progbits,_ZN7rocprim17ROCPRIM_400000_NS6detail17trampoline_kernelINS0_14default_configENS1_25partition_config_selectorILNS1_17partition_subalgoE5EdNS0_10empty_typeEbEEZZNS1_14partition_implILS5_5ELb0ES3_mN6thrust23THRUST_200600_302600_NS6detail15normal_iteratorINSA_10device_ptrIdEEEEPS6_NSA_18transform_iteratorINSB_9not_fun_tI7is_trueIdEEENSC_INSD_IbEEEENSA_11use_defaultESO_EENS0_5tupleIJSF_S6_EEENSQ_IJSG_SG_EEES6_PlJS6_EEE10hipError_tPvRmT3_T4_T5_T6_T7_T9_mT8_P12ihipStream_tbDpT10_ENKUlT_T0_E_clISt17integral_constantIbLb1EES1C_IbLb0EEEEDaS18_S19_EUlS18_E_NS1_11comp_targetILNS1_3genE10ELNS1_11target_archE1200ELNS1_3gpuE4ELNS1_3repE0EEENS1_30default_config_static_selectorELNS0_4arch9wavefront6targetE0EEEvT1_,comdat
.Lfunc_end2354:
	.size	_ZN7rocprim17ROCPRIM_400000_NS6detail17trampoline_kernelINS0_14default_configENS1_25partition_config_selectorILNS1_17partition_subalgoE5EdNS0_10empty_typeEbEEZZNS1_14partition_implILS5_5ELb0ES3_mN6thrust23THRUST_200600_302600_NS6detail15normal_iteratorINSA_10device_ptrIdEEEEPS6_NSA_18transform_iteratorINSB_9not_fun_tI7is_trueIdEEENSC_INSD_IbEEEENSA_11use_defaultESO_EENS0_5tupleIJSF_S6_EEENSQ_IJSG_SG_EEES6_PlJS6_EEE10hipError_tPvRmT3_T4_T5_T6_T7_T9_mT8_P12ihipStream_tbDpT10_ENKUlT_T0_E_clISt17integral_constantIbLb1EES1C_IbLb0EEEEDaS18_S19_EUlS18_E_NS1_11comp_targetILNS1_3genE10ELNS1_11target_archE1200ELNS1_3gpuE4ELNS1_3repE0EEENS1_30default_config_static_selectorELNS0_4arch9wavefront6targetE0EEEvT1_, .Lfunc_end2354-_ZN7rocprim17ROCPRIM_400000_NS6detail17trampoline_kernelINS0_14default_configENS1_25partition_config_selectorILNS1_17partition_subalgoE5EdNS0_10empty_typeEbEEZZNS1_14partition_implILS5_5ELb0ES3_mN6thrust23THRUST_200600_302600_NS6detail15normal_iteratorINSA_10device_ptrIdEEEEPS6_NSA_18transform_iteratorINSB_9not_fun_tI7is_trueIdEEENSC_INSD_IbEEEENSA_11use_defaultESO_EENS0_5tupleIJSF_S6_EEENSQ_IJSG_SG_EEES6_PlJS6_EEE10hipError_tPvRmT3_T4_T5_T6_T7_T9_mT8_P12ihipStream_tbDpT10_ENKUlT_T0_E_clISt17integral_constantIbLb1EES1C_IbLb0EEEEDaS18_S19_EUlS18_E_NS1_11comp_targetILNS1_3genE10ELNS1_11target_archE1200ELNS1_3gpuE4ELNS1_3repE0EEENS1_30default_config_static_selectorELNS0_4arch9wavefront6targetE0EEEvT1_
                                        ; -- End function
	.set _ZN7rocprim17ROCPRIM_400000_NS6detail17trampoline_kernelINS0_14default_configENS1_25partition_config_selectorILNS1_17partition_subalgoE5EdNS0_10empty_typeEbEEZZNS1_14partition_implILS5_5ELb0ES3_mN6thrust23THRUST_200600_302600_NS6detail15normal_iteratorINSA_10device_ptrIdEEEEPS6_NSA_18transform_iteratorINSB_9not_fun_tI7is_trueIdEEENSC_INSD_IbEEEENSA_11use_defaultESO_EENS0_5tupleIJSF_S6_EEENSQ_IJSG_SG_EEES6_PlJS6_EEE10hipError_tPvRmT3_T4_T5_T6_T7_T9_mT8_P12ihipStream_tbDpT10_ENKUlT_T0_E_clISt17integral_constantIbLb1EES1C_IbLb0EEEEDaS18_S19_EUlS18_E_NS1_11comp_targetILNS1_3genE10ELNS1_11target_archE1200ELNS1_3gpuE4ELNS1_3repE0EEENS1_30default_config_static_selectorELNS0_4arch9wavefront6targetE0EEEvT1_.num_vgpr, 0
	.set _ZN7rocprim17ROCPRIM_400000_NS6detail17trampoline_kernelINS0_14default_configENS1_25partition_config_selectorILNS1_17partition_subalgoE5EdNS0_10empty_typeEbEEZZNS1_14partition_implILS5_5ELb0ES3_mN6thrust23THRUST_200600_302600_NS6detail15normal_iteratorINSA_10device_ptrIdEEEEPS6_NSA_18transform_iteratorINSB_9not_fun_tI7is_trueIdEEENSC_INSD_IbEEEENSA_11use_defaultESO_EENS0_5tupleIJSF_S6_EEENSQ_IJSG_SG_EEES6_PlJS6_EEE10hipError_tPvRmT3_T4_T5_T6_T7_T9_mT8_P12ihipStream_tbDpT10_ENKUlT_T0_E_clISt17integral_constantIbLb1EES1C_IbLb0EEEEDaS18_S19_EUlS18_E_NS1_11comp_targetILNS1_3genE10ELNS1_11target_archE1200ELNS1_3gpuE4ELNS1_3repE0EEENS1_30default_config_static_selectorELNS0_4arch9wavefront6targetE0EEEvT1_.num_agpr, 0
	.set _ZN7rocprim17ROCPRIM_400000_NS6detail17trampoline_kernelINS0_14default_configENS1_25partition_config_selectorILNS1_17partition_subalgoE5EdNS0_10empty_typeEbEEZZNS1_14partition_implILS5_5ELb0ES3_mN6thrust23THRUST_200600_302600_NS6detail15normal_iteratorINSA_10device_ptrIdEEEEPS6_NSA_18transform_iteratorINSB_9not_fun_tI7is_trueIdEEENSC_INSD_IbEEEENSA_11use_defaultESO_EENS0_5tupleIJSF_S6_EEENSQ_IJSG_SG_EEES6_PlJS6_EEE10hipError_tPvRmT3_T4_T5_T6_T7_T9_mT8_P12ihipStream_tbDpT10_ENKUlT_T0_E_clISt17integral_constantIbLb1EES1C_IbLb0EEEEDaS18_S19_EUlS18_E_NS1_11comp_targetILNS1_3genE10ELNS1_11target_archE1200ELNS1_3gpuE4ELNS1_3repE0EEENS1_30default_config_static_selectorELNS0_4arch9wavefront6targetE0EEEvT1_.numbered_sgpr, 0
	.set _ZN7rocprim17ROCPRIM_400000_NS6detail17trampoline_kernelINS0_14default_configENS1_25partition_config_selectorILNS1_17partition_subalgoE5EdNS0_10empty_typeEbEEZZNS1_14partition_implILS5_5ELb0ES3_mN6thrust23THRUST_200600_302600_NS6detail15normal_iteratorINSA_10device_ptrIdEEEEPS6_NSA_18transform_iteratorINSB_9not_fun_tI7is_trueIdEEENSC_INSD_IbEEEENSA_11use_defaultESO_EENS0_5tupleIJSF_S6_EEENSQ_IJSG_SG_EEES6_PlJS6_EEE10hipError_tPvRmT3_T4_T5_T6_T7_T9_mT8_P12ihipStream_tbDpT10_ENKUlT_T0_E_clISt17integral_constantIbLb1EES1C_IbLb0EEEEDaS18_S19_EUlS18_E_NS1_11comp_targetILNS1_3genE10ELNS1_11target_archE1200ELNS1_3gpuE4ELNS1_3repE0EEENS1_30default_config_static_selectorELNS0_4arch9wavefront6targetE0EEEvT1_.num_named_barrier, 0
	.set _ZN7rocprim17ROCPRIM_400000_NS6detail17trampoline_kernelINS0_14default_configENS1_25partition_config_selectorILNS1_17partition_subalgoE5EdNS0_10empty_typeEbEEZZNS1_14partition_implILS5_5ELb0ES3_mN6thrust23THRUST_200600_302600_NS6detail15normal_iteratorINSA_10device_ptrIdEEEEPS6_NSA_18transform_iteratorINSB_9not_fun_tI7is_trueIdEEENSC_INSD_IbEEEENSA_11use_defaultESO_EENS0_5tupleIJSF_S6_EEENSQ_IJSG_SG_EEES6_PlJS6_EEE10hipError_tPvRmT3_T4_T5_T6_T7_T9_mT8_P12ihipStream_tbDpT10_ENKUlT_T0_E_clISt17integral_constantIbLb1EES1C_IbLb0EEEEDaS18_S19_EUlS18_E_NS1_11comp_targetILNS1_3genE10ELNS1_11target_archE1200ELNS1_3gpuE4ELNS1_3repE0EEENS1_30default_config_static_selectorELNS0_4arch9wavefront6targetE0EEEvT1_.private_seg_size, 0
	.set _ZN7rocprim17ROCPRIM_400000_NS6detail17trampoline_kernelINS0_14default_configENS1_25partition_config_selectorILNS1_17partition_subalgoE5EdNS0_10empty_typeEbEEZZNS1_14partition_implILS5_5ELb0ES3_mN6thrust23THRUST_200600_302600_NS6detail15normal_iteratorINSA_10device_ptrIdEEEEPS6_NSA_18transform_iteratorINSB_9not_fun_tI7is_trueIdEEENSC_INSD_IbEEEENSA_11use_defaultESO_EENS0_5tupleIJSF_S6_EEENSQ_IJSG_SG_EEES6_PlJS6_EEE10hipError_tPvRmT3_T4_T5_T6_T7_T9_mT8_P12ihipStream_tbDpT10_ENKUlT_T0_E_clISt17integral_constantIbLb1EES1C_IbLb0EEEEDaS18_S19_EUlS18_E_NS1_11comp_targetILNS1_3genE10ELNS1_11target_archE1200ELNS1_3gpuE4ELNS1_3repE0EEENS1_30default_config_static_selectorELNS0_4arch9wavefront6targetE0EEEvT1_.uses_vcc, 0
	.set _ZN7rocprim17ROCPRIM_400000_NS6detail17trampoline_kernelINS0_14default_configENS1_25partition_config_selectorILNS1_17partition_subalgoE5EdNS0_10empty_typeEbEEZZNS1_14partition_implILS5_5ELb0ES3_mN6thrust23THRUST_200600_302600_NS6detail15normal_iteratorINSA_10device_ptrIdEEEEPS6_NSA_18transform_iteratorINSB_9not_fun_tI7is_trueIdEEENSC_INSD_IbEEEENSA_11use_defaultESO_EENS0_5tupleIJSF_S6_EEENSQ_IJSG_SG_EEES6_PlJS6_EEE10hipError_tPvRmT3_T4_T5_T6_T7_T9_mT8_P12ihipStream_tbDpT10_ENKUlT_T0_E_clISt17integral_constantIbLb1EES1C_IbLb0EEEEDaS18_S19_EUlS18_E_NS1_11comp_targetILNS1_3genE10ELNS1_11target_archE1200ELNS1_3gpuE4ELNS1_3repE0EEENS1_30default_config_static_selectorELNS0_4arch9wavefront6targetE0EEEvT1_.uses_flat_scratch, 0
	.set _ZN7rocprim17ROCPRIM_400000_NS6detail17trampoline_kernelINS0_14default_configENS1_25partition_config_selectorILNS1_17partition_subalgoE5EdNS0_10empty_typeEbEEZZNS1_14partition_implILS5_5ELb0ES3_mN6thrust23THRUST_200600_302600_NS6detail15normal_iteratorINSA_10device_ptrIdEEEEPS6_NSA_18transform_iteratorINSB_9not_fun_tI7is_trueIdEEENSC_INSD_IbEEEENSA_11use_defaultESO_EENS0_5tupleIJSF_S6_EEENSQ_IJSG_SG_EEES6_PlJS6_EEE10hipError_tPvRmT3_T4_T5_T6_T7_T9_mT8_P12ihipStream_tbDpT10_ENKUlT_T0_E_clISt17integral_constantIbLb1EES1C_IbLb0EEEEDaS18_S19_EUlS18_E_NS1_11comp_targetILNS1_3genE10ELNS1_11target_archE1200ELNS1_3gpuE4ELNS1_3repE0EEENS1_30default_config_static_selectorELNS0_4arch9wavefront6targetE0EEEvT1_.has_dyn_sized_stack, 0
	.set _ZN7rocprim17ROCPRIM_400000_NS6detail17trampoline_kernelINS0_14default_configENS1_25partition_config_selectorILNS1_17partition_subalgoE5EdNS0_10empty_typeEbEEZZNS1_14partition_implILS5_5ELb0ES3_mN6thrust23THRUST_200600_302600_NS6detail15normal_iteratorINSA_10device_ptrIdEEEEPS6_NSA_18transform_iteratorINSB_9not_fun_tI7is_trueIdEEENSC_INSD_IbEEEENSA_11use_defaultESO_EENS0_5tupleIJSF_S6_EEENSQ_IJSG_SG_EEES6_PlJS6_EEE10hipError_tPvRmT3_T4_T5_T6_T7_T9_mT8_P12ihipStream_tbDpT10_ENKUlT_T0_E_clISt17integral_constantIbLb1EES1C_IbLb0EEEEDaS18_S19_EUlS18_E_NS1_11comp_targetILNS1_3genE10ELNS1_11target_archE1200ELNS1_3gpuE4ELNS1_3repE0EEENS1_30default_config_static_selectorELNS0_4arch9wavefront6targetE0EEEvT1_.has_recursion, 0
	.set _ZN7rocprim17ROCPRIM_400000_NS6detail17trampoline_kernelINS0_14default_configENS1_25partition_config_selectorILNS1_17partition_subalgoE5EdNS0_10empty_typeEbEEZZNS1_14partition_implILS5_5ELb0ES3_mN6thrust23THRUST_200600_302600_NS6detail15normal_iteratorINSA_10device_ptrIdEEEEPS6_NSA_18transform_iteratorINSB_9not_fun_tI7is_trueIdEEENSC_INSD_IbEEEENSA_11use_defaultESO_EENS0_5tupleIJSF_S6_EEENSQ_IJSG_SG_EEES6_PlJS6_EEE10hipError_tPvRmT3_T4_T5_T6_T7_T9_mT8_P12ihipStream_tbDpT10_ENKUlT_T0_E_clISt17integral_constantIbLb1EES1C_IbLb0EEEEDaS18_S19_EUlS18_E_NS1_11comp_targetILNS1_3genE10ELNS1_11target_archE1200ELNS1_3gpuE4ELNS1_3repE0EEENS1_30default_config_static_selectorELNS0_4arch9wavefront6targetE0EEEvT1_.has_indirect_call, 0
	.section	.AMDGPU.csdata,"",@progbits
; Kernel info:
; codeLenInByte = 4
; TotalNumSgprs: 0
; NumVgprs: 0
; ScratchSize: 0
; MemoryBound: 0
; FloatMode: 240
; IeeeMode: 1
; LDSByteSize: 0 bytes/workgroup (compile time only)
; SGPRBlocks: 0
; VGPRBlocks: 0
; NumSGPRsForWavesPerEU: 1
; NumVGPRsForWavesPerEU: 1
; Occupancy: 16
; WaveLimiterHint : 0
; COMPUTE_PGM_RSRC2:SCRATCH_EN: 0
; COMPUTE_PGM_RSRC2:USER_SGPR: 2
; COMPUTE_PGM_RSRC2:TRAP_HANDLER: 0
; COMPUTE_PGM_RSRC2:TGID_X_EN: 1
; COMPUTE_PGM_RSRC2:TGID_Y_EN: 0
; COMPUTE_PGM_RSRC2:TGID_Z_EN: 0
; COMPUTE_PGM_RSRC2:TIDIG_COMP_CNT: 0
	.section	.text._ZN7rocprim17ROCPRIM_400000_NS6detail17trampoline_kernelINS0_14default_configENS1_25partition_config_selectorILNS1_17partition_subalgoE5EdNS0_10empty_typeEbEEZZNS1_14partition_implILS5_5ELb0ES3_mN6thrust23THRUST_200600_302600_NS6detail15normal_iteratorINSA_10device_ptrIdEEEEPS6_NSA_18transform_iteratorINSB_9not_fun_tI7is_trueIdEEENSC_INSD_IbEEEENSA_11use_defaultESO_EENS0_5tupleIJSF_S6_EEENSQ_IJSG_SG_EEES6_PlJS6_EEE10hipError_tPvRmT3_T4_T5_T6_T7_T9_mT8_P12ihipStream_tbDpT10_ENKUlT_T0_E_clISt17integral_constantIbLb1EES1C_IbLb0EEEEDaS18_S19_EUlS18_E_NS1_11comp_targetILNS1_3genE9ELNS1_11target_archE1100ELNS1_3gpuE3ELNS1_3repE0EEENS1_30default_config_static_selectorELNS0_4arch9wavefront6targetE0EEEvT1_,"axG",@progbits,_ZN7rocprim17ROCPRIM_400000_NS6detail17trampoline_kernelINS0_14default_configENS1_25partition_config_selectorILNS1_17partition_subalgoE5EdNS0_10empty_typeEbEEZZNS1_14partition_implILS5_5ELb0ES3_mN6thrust23THRUST_200600_302600_NS6detail15normal_iteratorINSA_10device_ptrIdEEEEPS6_NSA_18transform_iteratorINSB_9not_fun_tI7is_trueIdEEENSC_INSD_IbEEEENSA_11use_defaultESO_EENS0_5tupleIJSF_S6_EEENSQ_IJSG_SG_EEES6_PlJS6_EEE10hipError_tPvRmT3_T4_T5_T6_T7_T9_mT8_P12ihipStream_tbDpT10_ENKUlT_T0_E_clISt17integral_constantIbLb1EES1C_IbLb0EEEEDaS18_S19_EUlS18_E_NS1_11comp_targetILNS1_3genE9ELNS1_11target_archE1100ELNS1_3gpuE3ELNS1_3repE0EEENS1_30default_config_static_selectorELNS0_4arch9wavefront6targetE0EEEvT1_,comdat
	.protected	_ZN7rocprim17ROCPRIM_400000_NS6detail17trampoline_kernelINS0_14default_configENS1_25partition_config_selectorILNS1_17partition_subalgoE5EdNS0_10empty_typeEbEEZZNS1_14partition_implILS5_5ELb0ES3_mN6thrust23THRUST_200600_302600_NS6detail15normal_iteratorINSA_10device_ptrIdEEEEPS6_NSA_18transform_iteratorINSB_9not_fun_tI7is_trueIdEEENSC_INSD_IbEEEENSA_11use_defaultESO_EENS0_5tupleIJSF_S6_EEENSQ_IJSG_SG_EEES6_PlJS6_EEE10hipError_tPvRmT3_T4_T5_T6_T7_T9_mT8_P12ihipStream_tbDpT10_ENKUlT_T0_E_clISt17integral_constantIbLb1EES1C_IbLb0EEEEDaS18_S19_EUlS18_E_NS1_11comp_targetILNS1_3genE9ELNS1_11target_archE1100ELNS1_3gpuE3ELNS1_3repE0EEENS1_30default_config_static_selectorELNS0_4arch9wavefront6targetE0EEEvT1_ ; -- Begin function _ZN7rocprim17ROCPRIM_400000_NS6detail17trampoline_kernelINS0_14default_configENS1_25partition_config_selectorILNS1_17partition_subalgoE5EdNS0_10empty_typeEbEEZZNS1_14partition_implILS5_5ELb0ES3_mN6thrust23THRUST_200600_302600_NS6detail15normal_iteratorINSA_10device_ptrIdEEEEPS6_NSA_18transform_iteratorINSB_9not_fun_tI7is_trueIdEEENSC_INSD_IbEEEENSA_11use_defaultESO_EENS0_5tupleIJSF_S6_EEENSQ_IJSG_SG_EEES6_PlJS6_EEE10hipError_tPvRmT3_T4_T5_T6_T7_T9_mT8_P12ihipStream_tbDpT10_ENKUlT_T0_E_clISt17integral_constantIbLb1EES1C_IbLb0EEEEDaS18_S19_EUlS18_E_NS1_11comp_targetILNS1_3genE9ELNS1_11target_archE1100ELNS1_3gpuE3ELNS1_3repE0EEENS1_30default_config_static_selectorELNS0_4arch9wavefront6targetE0EEEvT1_
	.globl	_ZN7rocprim17ROCPRIM_400000_NS6detail17trampoline_kernelINS0_14default_configENS1_25partition_config_selectorILNS1_17partition_subalgoE5EdNS0_10empty_typeEbEEZZNS1_14partition_implILS5_5ELb0ES3_mN6thrust23THRUST_200600_302600_NS6detail15normal_iteratorINSA_10device_ptrIdEEEEPS6_NSA_18transform_iteratorINSB_9not_fun_tI7is_trueIdEEENSC_INSD_IbEEEENSA_11use_defaultESO_EENS0_5tupleIJSF_S6_EEENSQ_IJSG_SG_EEES6_PlJS6_EEE10hipError_tPvRmT3_T4_T5_T6_T7_T9_mT8_P12ihipStream_tbDpT10_ENKUlT_T0_E_clISt17integral_constantIbLb1EES1C_IbLb0EEEEDaS18_S19_EUlS18_E_NS1_11comp_targetILNS1_3genE9ELNS1_11target_archE1100ELNS1_3gpuE3ELNS1_3repE0EEENS1_30default_config_static_selectorELNS0_4arch9wavefront6targetE0EEEvT1_
	.p2align	8
	.type	_ZN7rocprim17ROCPRIM_400000_NS6detail17trampoline_kernelINS0_14default_configENS1_25partition_config_selectorILNS1_17partition_subalgoE5EdNS0_10empty_typeEbEEZZNS1_14partition_implILS5_5ELb0ES3_mN6thrust23THRUST_200600_302600_NS6detail15normal_iteratorINSA_10device_ptrIdEEEEPS6_NSA_18transform_iteratorINSB_9not_fun_tI7is_trueIdEEENSC_INSD_IbEEEENSA_11use_defaultESO_EENS0_5tupleIJSF_S6_EEENSQ_IJSG_SG_EEES6_PlJS6_EEE10hipError_tPvRmT3_T4_T5_T6_T7_T9_mT8_P12ihipStream_tbDpT10_ENKUlT_T0_E_clISt17integral_constantIbLb1EES1C_IbLb0EEEEDaS18_S19_EUlS18_E_NS1_11comp_targetILNS1_3genE9ELNS1_11target_archE1100ELNS1_3gpuE3ELNS1_3repE0EEENS1_30default_config_static_selectorELNS0_4arch9wavefront6targetE0EEEvT1_,@function
_ZN7rocprim17ROCPRIM_400000_NS6detail17trampoline_kernelINS0_14default_configENS1_25partition_config_selectorILNS1_17partition_subalgoE5EdNS0_10empty_typeEbEEZZNS1_14partition_implILS5_5ELb0ES3_mN6thrust23THRUST_200600_302600_NS6detail15normal_iteratorINSA_10device_ptrIdEEEEPS6_NSA_18transform_iteratorINSB_9not_fun_tI7is_trueIdEEENSC_INSD_IbEEEENSA_11use_defaultESO_EENS0_5tupleIJSF_S6_EEENSQ_IJSG_SG_EEES6_PlJS6_EEE10hipError_tPvRmT3_T4_T5_T6_T7_T9_mT8_P12ihipStream_tbDpT10_ENKUlT_T0_E_clISt17integral_constantIbLb1EES1C_IbLb0EEEEDaS18_S19_EUlS18_E_NS1_11comp_targetILNS1_3genE9ELNS1_11target_archE1100ELNS1_3gpuE3ELNS1_3repE0EEENS1_30default_config_static_selectorELNS0_4arch9wavefront6targetE0EEEvT1_: ; @_ZN7rocprim17ROCPRIM_400000_NS6detail17trampoline_kernelINS0_14default_configENS1_25partition_config_selectorILNS1_17partition_subalgoE5EdNS0_10empty_typeEbEEZZNS1_14partition_implILS5_5ELb0ES3_mN6thrust23THRUST_200600_302600_NS6detail15normal_iteratorINSA_10device_ptrIdEEEEPS6_NSA_18transform_iteratorINSB_9not_fun_tI7is_trueIdEEENSC_INSD_IbEEEENSA_11use_defaultESO_EENS0_5tupleIJSF_S6_EEENSQ_IJSG_SG_EEES6_PlJS6_EEE10hipError_tPvRmT3_T4_T5_T6_T7_T9_mT8_P12ihipStream_tbDpT10_ENKUlT_T0_E_clISt17integral_constantIbLb1EES1C_IbLb0EEEEDaS18_S19_EUlS18_E_NS1_11comp_targetILNS1_3genE9ELNS1_11target_archE1100ELNS1_3gpuE3ELNS1_3repE0EEENS1_30default_config_static_selectorELNS0_4arch9wavefront6targetE0EEEvT1_
; %bb.0:
	.section	.rodata,"a",@progbits
	.p2align	6, 0x0
	.amdhsa_kernel _ZN7rocprim17ROCPRIM_400000_NS6detail17trampoline_kernelINS0_14default_configENS1_25partition_config_selectorILNS1_17partition_subalgoE5EdNS0_10empty_typeEbEEZZNS1_14partition_implILS5_5ELb0ES3_mN6thrust23THRUST_200600_302600_NS6detail15normal_iteratorINSA_10device_ptrIdEEEEPS6_NSA_18transform_iteratorINSB_9not_fun_tI7is_trueIdEEENSC_INSD_IbEEEENSA_11use_defaultESO_EENS0_5tupleIJSF_S6_EEENSQ_IJSG_SG_EEES6_PlJS6_EEE10hipError_tPvRmT3_T4_T5_T6_T7_T9_mT8_P12ihipStream_tbDpT10_ENKUlT_T0_E_clISt17integral_constantIbLb1EES1C_IbLb0EEEEDaS18_S19_EUlS18_E_NS1_11comp_targetILNS1_3genE9ELNS1_11target_archE1100ELNS1_3gpuE3ELNS1_3repE0EEENS1_30default_config_static_selectorELNS0_4arch9wavefront6targetE0EEEvT1_
		.amdhsa_group_segment_fixed_size 0
		.amdhsa_private_segment_fixed_size 0
		.amdhsa_kernarg_size 120
		.amdhsa_user_sgpr_count 2
		.amdhsa_user_sgpr_dispatch_ptr 0
		.amdhsa_user_sgpr_queue_ptr 0
		.amdhsa_user_sgpr_kernarg_segment_ptr 1
		.amdhsa_user_sgpr_dispatch_id 0
		.amdhsa_user_sgpr_private_segment_size 0
		.amdhsa_wavefront_size32 1
		.amdhsa_uses_dynamic_stack 0
		.amdhsa_enable_private_segment 0
		.amdhsa_system_sgpr_workgroup_id_x 1
		.amdhsa_system_sgpr_workgroup_id_y 0
		.amdhsa_system_sgpr_workgroup_id_z 0
		.amdhsa_system_sgpr_workgroup_info 0
		.amdhsa_system_vgpr_workitem_id 0
		.amdhsa_next_free_vgpr 1
		.amdhsa_next_free_sgpr 1
		.amdhsa_reserve_vcc 0
		.amdhsa_float_round_mode_32 0
		.amdhsa_float_round_mode_16_64 0
		.amdhsa_float_denorm_mode_32 3
		.amdhsa_float_denorm_mode_16_64 3
		.amdhsa_fp16_overflow 0
		.amdhsa_workgroup_processor_mode 1
		.amdhsa_memory_ordered 1
		.amdhsa_forward_progress 1
		.amdhsa_inst_pref_size 0
		.amdhsa_round_robin_scheduling 0
		.amdhsa_exception_fp_ieee_invalid_op 0
		.amdhsa_exception_fp_denorm_src 0
		.amdhsa_exception_fp_ieee_div_zero 0
		.amdhsa_exception_fp_ieee_overflow 0
		.amdhsa_exception_fp_ieee_underflow 0
		.amdhsa_exception_fp_ieee_inexact 0
		.amdhsa_exception_int_div_zero 0
	.end_amdhsa_kernel
	.section	.text._ZN7rocprim17ROCPRIM_400000_NS6detail17trampoline_kernelINS0_14default_configENS1_25partition_config_selectorILNS1_17partition_subalgoE5EdNS0_10empty_typeEbEEZZNS1_14partition_implILS5_5ELb0ES3_mN6thrust23THRUST_200600_302600_NS6detail15normal_iteratorINSA_10device_ptrIdEEEEPS6_NSA_18transform_iteratorINSB_9not_fun_tI7is_trueIdEEENSC_INSD_IbEEEENSA_11use_defaultESO_EENS0_5tupleIJSF_S6_EEENSQ_IJSG_SG_EEES6_PlJS6_EEE10hipError_tPvRmT3_T4_T5_T6_T7_T9_mT8_P12ihipStream_tbDpT10_ENKUlT_T0_E_clISt17integral_constantIbLb1EES1C_IbLb0EEEEDaS18_S19_EUlS18_E_NS1_11comp_targetILNS1_3genE9ELNS1_11target_archE1100ELNS1_3gpuE3ELNS1_3repE0EEENS1_30default_config_static_selectorELNS0_4arch9wavefront6targetE0EEEvT1_,"axG",@progbits,_ZN7rocprim17ROCPRIM_400000_NS6detail17trampoline_kernelINS0_14default_configENS1_25partition_config_selectorILNS1_17partition_subalgoE5EdNS0_10empty_typeEbEEZZNS1_14partition_implILS5_5ELb0ES3_mN6thrust23THRUST_200600_302600_NS6detail15normal_iteratorINSA_10device_ptrIdEEEEPS6_NSA_18transform_iteratorINSB_9not_fun_tI7is_trueIdEEENSC_INSD_IbEEEENSA_11use_defaultESO_EENS0_5tupleIJSF_S6_EEENSQ_IJSG_SG_EEES6_PlJS6_EEE10hipError_tPvRmT3_T4_T5_T6_T7_T9_mT8_P12ihipStream_tbDpT10_ENKUlT_T0_E_clISt17integral_constantIbLb1EES1C_IbLb0EEEEDaS18_S19_EUlS18_E_NS1_11comp_targetILNS1_3genE9ELNS1_11target_archE1100ELNS1_3gpuE3ELNS1_3repE0EEENS1_30default_config_static_selectorELNS0_4arch9wavefront6targetE0EEEvT1_,comdat
.Lfunc_end2355:
	.size	_ZN7rocprim17ROCPRIM_400000_NS6detail17trampoline_kernelINS0_14default_configENS1_25partition_config_selectorILNS1_17partition_subalgoE5EdNS0_10empty_typeEbEEZZNS1_14partition_implILS5_5ELb0ES3_mN6thrust23THRUST_200600_302600_NS6detail15normal_iteratorINSA_10device_ptrIdEEEEPS6_NSA_18transform_iteratorINSB_9not_fun_tI7is_trueIdEEENSC_INSD_IbEEEENSA_11use_defaultESO_EENS0_5tupleIJSF_S6_EEENSQ_IJSG_SG_EEES6_PlJS6_EEE10hipError_tPvRmT3_T4_T5_T6_T7_T9_mT8_P12ihipStream_tbDpT10_ENKUlT_T0_E_clISt17integral_constantIbLb1EES1C_IbLb0EEEEDaS18_S19_EUlS18_E_NS1_11comp_targetILNS1_3genE9ELNS1_11target_archE1100ELNS1_3gpuE3ELNS1_3repE0EEENS1_30default_config_static_selectorELNS0_4arch9wavefront6targetE0EEEvT1_, .Lfunc_end2355-_ZN7rocprim17ROCPRIM_400000_NS6detail17trampoline_kernelINS0_14default_configENS1_25partition_config_selectorILNS1_17partition_subalgoE5EdNS0_10empty_typeEbEEZZNS1_14partition_implILS5_5ELb0ES3_mN6thrust23THRUST_200600_302600_NS6detail15normal_iteratorINSA_10device_ptrIdEEEEPS6_NSA_18transform_iteratorINSB_9not_fun_tI7is_trueIdEEENSC_INSD_IbEEEENSA_11use_defaultESO_EENS0_5tupleIJSF_S6_EEENSQ_IJSG_SG_EEES6_PlJS6_EEE10hipError_tPvRmT3_T4_T5_T6_T7_T9_mT8_P12ihipStream_tbDpT10_ENKUlT_T0_E_clISt17integral_constantIbLb1EES1C_IbLb0EEEEDaS18_S19_EUlS18_E_NS1_11comp_targetILNS1_3genE9ELNS1_11target_archE1100ELNS1_3gpuE3ELNS1_3repE0EEENS1_30default_config_static_selectorELNS0_4arch9wavefront6targetE0EEEvT1_
                                        ; -- End function
	.set _ZN7rocprim17ROCPRIM_400000_NS6detail17trampoline_kernelINS0_14default_configENS1_25partition_config_selectorILNS1_17partition_subalgoE5EdNS0_10empty_typeEbEEZZNS1_14partition_implILS5_5ELb0ES3_mN6thrust23THRUST_200600_302600_NS6detail15normal_iteratorINSA_10device_ptrIdEEEEPS6_NSA_18transform_iteratorINSB_9not_fun_tI7is_trueIdEEENSC_INSD_IbEEEENSA_11use_defaultESO_EENS0_5tupleIJSF_S6_EEENSQ_IJSG_SG_EEES6_PlJS6_EEE10hipError_tPvRmT3_T4_T5_T6_T7_T9_mT8_P12ihipStream_tbDpT10_ENKUlT_T0_E_clISt17integral_constantIbLb1EES1C_IbLb0EEEEDaS18_S19_EUlS18_E_NS1_11comp_targetILNS1_3genE9ELNS1_11target_archE1100ELNS1_3gpuE3ELNS1_3repE0EEENS1_30default_config_static_selectorELNS0_4arch9wavefront6targetE0EEEvT1_.num_vgpr, 0
	.set _ZN7rocprim17ROCPRIM_400000_NS6detail17trampoline_kernelINS0_14default_configENS1_25partition_config_selectorILNS1_17partition_subalgoE5EdNS0_10empty_typeEbEEZZNS1_14partition_implILS5_5ELb0ES3_mN6thrust23THRUST_200600_302600_NS6detail15normal_iteratorINSA_10device_ptrIdEEEEPS6_NSA_18transform_iteratorINSB_9not_fun_tI7is_trueIdEEENSC_INSD_IbEEEENSA_11use_defaultESO_EENS0_5tupleIJSF_S6_EEENSQ_IJSG_SG_EEES6_PlJS6_EEE10hipError_tPvRmT3_T4_T5_T6_T7_T9_mT8_P12ihipStream_tbDpT10_ENKUlT_T0_E_clISt17integral_constantIbLb1EES1C_IbLb0EEEEDaS18_S19_EUlS18_E_NS1_11comp_targetILNS1_3genE9ELNS1_11target_archE1100ELNS1_3gpuE3ELNS1_3repE0EEENS1_30default_config_static_selectorELNS0_4arch9wavefront6targetE0EEEvT1_.num_agpr, 0
	.set _ZN7rocprim17ROCPRIM_400000_NS6detail17trampoline_kernelINS0_14default_configENS1_25partition_config_selectorILNS1_17partition_subalgoE5EdNS0_10empty_typeEbEEZZNS1_14partition_implILS5_5ELb0ES3_mN6thrust23THRUST_200600_302600_NS6detail15normal_iteratorINSA_10device_ptrIdEEEEPS6_NSA_18transform_iteratorINSB_9not_fun_tI7is_trueIdEEENSC_INSD_IbEEEENSA_11use_defaultESO_EENS0_5tupleIJSF_S6_EEENSQ_IJSG_SG_EEES6_PlJS6_EEE10hipError_tPvRmT3_T4_T5_T6_T7_T9_mT8_P12ihipStream_tbDpT10_ENKUlT_T0_E_clISt17integral_constantIbLb1EES1C_IbLb0EEEEDaS18_S19_EUlS18_E_NS1_11comp_targetILNS1_3genE9ELNS1_11target_archE1100ELNS1_3gpuE3ELNS1_3repE0EEENS1_30default_config_static_selectorELNS0_4arch9wavefront6targetE0EEEvT1_.numbered_sgpr, 0
	.set _ZN7rocprim17ROCPRIM_400000_NS6detail17trampoline_kernelINS0_14default_configENS1_25partition_config_selectorILNS1_17partition_subalgoE5EdNS0_10empty_typeEbEEZZNS1_14partition_implILS5_5ELb0ES3_mN6thrust23THRUST_200600_302600_NS6detail15normal_iteratorINSA_10device_ptrIdEEEEPS6_NSA_18transform_iteratorINSB_9not_fun_tI7is_trueIdEEENSC_INSD_IbEEEENSA_11use_defaultESO_EENS0_5tupleIJSF_S6_EEENSQ_IJSG_SG_EEES6_PlJS6_EEE10hipError_tPvRmT3_T4_T5_T6_T7_T9_mT8_P12ihipStream_tbDpT10_ENKUlT_T0_E_clISt17integral_constantIbLb1EES1C_IbLb0EEEEDaS18_S19_EUlS18_E_NS1_11comp_targetILNS1_3genE9ELNS1_11target_archE1100ELNS1_3gpuE3ELNS1_3repE0EEENS1_30default_config_static_selectorELNS0_4arch9wavefront6targetE0EEEvT1_.num_named_barrier, 0
	.set _ZN7rocprim17ROCPRIM_400000_NS6detail17trampoline_kernelINS0_14default_configENS1_25partition_config_selectorILNS1_17partition_subalgoE5EdNS0_10empty_typeEbEEZZNS1_14partition_implILS5_5ELb0ES3_mN6thrust23THRUST_200600_302600_NS6detail15normal_iteratorINSA_10device_ptrIdEEEEPS6_NSA_18transform_iteratorINSB_9not_fun_tI7is_trueIdEEENSC_INSD_IbEEEENSA_11use_defaultESO_EENS0_5tupleIJSF_S6_EEENSQ_IJSG_SG_EEES6_PlJS6_EEE10hipError_tPvRmT3_T4_T5_T6_T7_T9_mT8_P12ihipStream_tbDpT10_ENKUlT_T0_E_clISt17integral_constantIbLb1EES1C_IbLb0EEEEDaS18_S19_EUlS18_E_NS1_11comp_targetILNS1_3genE9ELNS1_11target_archE1100ELNS1_3gpuE3ELNS1_3repE0EEENS1_30default_config_static_selectorELNS0_4arch9wavefront6targetE0EEEvT1_.private_seg_size, 0
	.set _ZN7rocprim17ROCPRIM_400000_NS6detail17trampoline_kernelINS0_14default_configENS1_25partition_config_selectorILNS1_17partition_subalgoE5EdNS0_10empty_typeEbEEZZNS1_14partition_implILS5_5ELb0ES3_mN6thrust23THRUST_200600_302600_NS6detail15normal_iteratorINSA_10device_ptrIdEEEEPS6_NSA_18transform_iteratorINSB_9not_fun_tI7is_trueIdEEENSC_INSD_IbEEEENSA_11use_defaultESO_EENS0_5tupleIJSF_S6_EEENSQ_IJSG_SG_EEES6_PlJS6_EEE10hipError_tPvRmT3_T4_T5_T6_T7_T9_mT8_P12ihipStream_tbDpT10_ENKUlT_T0_E_clISt17integral_constantIbLb1EES1C_IbLb0EEEEDaS18_S19_EUlS18_E_NS1_11comp_targetILNS1_3genE9ELNS1_11target_archE1100ELNS1_3gpuE3ELNS1_3repE0EEENS1_30default_config_static_selectorELNS0_4arch9wavefront6targetE0EEEvT1_.uses_vcc, 0
	.set _ZN7rocprim17ROCPRIM_400000_NS6detail17trampoline_kernelINS0_14default_configENS1_25partition_config_selectorILNS1_17partition_subalgoE5EdNS0_10empty_typeEbEEZZNS1_14partition_implILS5_5ELb0ES3_mN6thrust23THRUST_200600_302600_NS6detail15normal_iteratorINSA_10device_ptrIdEEEEPS6_NSA_18transform_iteratorINSB_9not_fun_tI7is_trueIdEEENSC_INSD_IbEEEENSA_11use_defaultESO_EENS0_5tupleIJSF_S6_EEENSQ_IJSG_SG_EEES6_PlJS6_EEE10hipError_tPvRmT3_T4_T5_T6_T7_T9_mT8_P12ihipStream_tbDpT10_ENKUlT_T0_E_clISt17integral_constantIbLb1EES1C_IbLb0EEEEDaS18_S19_EUlS18_E_NS1_11comp_targetILNS1_3genE9ELNS1_11target_archE1100ELNS1_3gpuE3ELNS1_3repE0EEENS1_30default_config_static_selectorELNS0_4arch9wavefront6targetE0EEEvT1_.uses_flat_scratch, 0
	.set _ZN7rocprim17ROCPRIM_400000_NS6detail17trampoline_kernelINS0_14default_configENS1_25partition_config_selectorILNS1_17partition_subalgoE5EdNS0_10empty_typeEbEEZZNS1_14partition_implILS5_5ELb0ES3_mN6thrust23THRUST_200600_302600_NS6detail15normal_iteratorINSA_10device_ptrIdEEEEPS6_NSA_18transform_iteratorINSB_9not_fun_tI7is_trueIdEEENSC_INSD_IbEEEENSA_11use_defaultESO_EENS0_5tupleIJSF_S6_EEENSQ_IJSG_SG_EEES6_PlJS6_EEE10hipError_tPvRmT3_T4_T5_T6_T7_T9_mT8_P12ihipStream_tbDpT10_ENKUlT_T0_E_clISt17integral_constantIbLb1EES1C_IbLb0EEEEDaS18_S19_EUlS18_E_NS1_11comp_targetILNS1_3genE9ELNS1_11target_archE1100ELNS1_3gpuE3ELNS1_3repE0EEENS1_30default_config_static_selectorELNS0_4arch9wavefront6targetE0EEEvT1_.has_dyn_sized_stack, 0
	.set _ZN7rocprim17ROCPRIM_400000_NS6detail17trampoline_kernelINS0_14default_configENS1_25partition_config_selectorILNS1_17partition_subalgoE5EdNS0_10empty_typeEbEEZZNS1_14partition_implILS5_5ELb0ES3_mN6thrust23THRUST_200600_302600_NS6detail15normal_iteratorINSA_10device_ptrIdEEEEPS6_NSA_18transform_iteratorINSB_9not_fun_tI7is_trueIdEEENSC_INSD_IbEEEENSA_11use_defaultESO_EENS0_5tupleIJSF_S6_EEENSQ_IJSG_SG_EEES6_PlJS6_EEE10hipError_tPvRmT3_T4_T5_T6_T7_T9_mT8_P12ihipStream_tbDpT10_ENKUlT_T0_E_clISt17integral_constantIbLb1EES1C_IbLb0EEEEDaS18_S19_EUlS18_E_NS1_11comp_targetILNS1_3genE9ELNS1_11target_archE1100ELNS1_3gpuE3ELNS1_3repE0EEENS1_30default_config_static_selectorELNS0_4arch9wavefront6targetE0EEEvT1_.has_recursion, 0
	.set _ZN7rocprim17ROCPRIM_400000_NS6detail17trampoline_kernelINS0_14default_configENS1_25partition_config_selectorILNS1_17partition_subalgoE5EdNS0_10empty_typeEbEEZZNS1_14partition_implILS5_5ELb0ES3_mN6thrust23THRUST_200600_302600_NS6detail15normal_iteratorINSA_10device_ptrIdEEEEPS6_NSA_18transform_iteratorINSB_9not_fun_tI7is_trueIdEEENSC_INSD_IbEEEENSA_11use_defaultESO_EENS0_5tupleIJSF_S6_EEENSQ_IJSG_SG_EEES6_PlJS6_EEE10hipError_tPvRmT3_T4_T5_T6_T7_T9_mT8_P12ihipStream_tbDpT10_ENKUlT_T0_E_clISt17integral_constantIbLb1EES1C_IbLb0EEEEDaS18_S19_EUlS18_E_NS1_11comp_targetILNS1_3genE9ELNS1_11target_archE1100ELNS1_3gpuE3ELNS1_3repE0EEENS1_30default_config_static_selectorELNS0_4arch9wavefront6targetE0EEEvT1_.has_indirect_call, 0
	.section	.AMDGPU.csdata,"",@progbits
; Kernel info:
; codeLenInByte = 0
; TotalNumSgprs: 0
; NumVgprs: 0
; ScratchSize: 0
; MemoryBound: 0
; FloatMode: 240
; IeeeMode: 1
; LDSByteSize: 0 bytes/workgroup (compile time only)
; SGPRBlocks: 0
; VGPRBlocks: 0
; NumSGPRsForWavesPerEU: 1
; NumVGPRsForWavesPerEU: 1
; Occupancy: 16
; WaveLimiterHint : 0
; COMPUTE_PGM_RSRC2:SCRATCH_EN: 0
; COMPUTE_PGM_RSRC2:USER_SGPR: 2
; COMPUTE_PGM_RSRC2:TRAP_HANDLER: 0
; COMPUTE_PGM_RSRC2:TGID_X_EN: 1
; COMPUTE_PGM_RSRC2:TGID_Y_EN: 0
; COMPUTE_PGM_RSRC2:TGID_Z_EN: 0
; COMPUTE_PGM_RSRC2:TIDIG_COMP_CNT: 0
	.section	.text._ZN7rocprim17ROCPRIM_400000_NS6detail17trampoline_kernelINS0_14default_configENS1_25partition_config_selectorILNS1_17partition_subalgoE5EdNS0_10empty_typeEbEEZZNS1_14partition_implILS5_5ELb0ES3_mN6thrust23THRUST_200600_302600_NS6detail15normal_iteratorINSA_10device_ptrIdEEEEPS6_NSA_18transform_iteratorINSB_9not_fun_tI7is_trueIdEEENSC_INSD_IbEEEENSA_11use_defaultESO_EENS0_5tupleIJSF_S6_EEENSQ_IJSG_SG_EEES6_PlJS6_EEE10hipError_tPvRmT3_T4_T5_T6_T7_T9_mT8_P12ihipStream_tbDpT10_ENKUlT_T0_E_clISt17integral_constantIbLb1EES1C_IbLb0EEEEDaS18_S19_EUlS18_E_NS1_11comp_targetILNS1_3genE8ELNS1_11target_archE1030ELNS1_3gpuE2ELNS1_3repE0EEENS1_30default_config_static_selectorELNS0_4arch9wavefront6targetE0EEEvT1_,"axG",@progbits,_ZN7rocprim17ROCPRIM_400000_NS6detail17trampoline_kernelINS0_14default_configENS1_25partition_config_selectorILNS1_17partition_subalgoE5EdNS0_10empty_typeEbEEZZNS1_14partition_implILS5_5ELb0ES3_mN6thrust23THRUST_200600_302600_NS6detail15normal_iteratorINSA_10device_ptrIdEEEEPS6_NSA_18transform_iteratorINSB_9not_fun_tI7is_trueIdEEENSC_INSD_IbEEEENSA_11use_defaultESO_EENS0_5tupleIJSF_S6_EEENSQ_IJSG_SG_EEES6_PlJS6_EEE10hipError_tPvRmT3_T4_T5_T6_T7_T9_mT8_P12ihipStream_tbDpT10_ENKUlT_T0_E_clISt17integral_constantIbLb1EES1C_IbLb0EEEEDaS18_S19_EUlS18_E_NS1_11comp_targetILNS1_3genE8ELNS1_11target_archE1030ELNS1_3gpuE2ELNS1_3repE0EEENS1_30default_config_static_selectorELNS0_4arch9wavefront6targetE0EEEvT1_,comdat
	.protected	_ZN7rocprim17ROCPRIM_400000_NS6detail17trampoline_kernelINS0_14default_configENS1_25partition_config_selectorILNS1_17partition_subalgoE5EdNS0_10empty_typeEbEEZZNS1_14partition_implILS5_5ELb0ES3_mN6thrust23THRUST_200600_302600_NS6detail15normal_iteratorINSA_10device_ptrIdEEEEPS6_NSA_18transform_iteratorINSB_9not_fun_tI7is_trueIdEEENSC_INSD_IbEEEENSA_11use_defaultESO_EENS0_5tupleIJSF_S6_EEENSQ_IJSG_SG_EEES6_PlJS6_EEE10hipError_tPvRmT3_T4_T5_T6_T7_T9_mT8_P12ihipStream_tbDpT10_ENKUlT_T0_E_clISt17integral_constantIbLb1EES1C_IbLb0EEEEDaS18_S19_EUlS18_E_NS1_11comp_targetILNS1_3genE8ELNS1_11target_archE1030ELNS1_3gpuE2ELNS1_3repE0EEENS1_30default_config_static_selectorELNS0_4arch9wavefront6targetE0EEEvT1_ ; -- Begin function _ZN7rocprim17ROCPRIM_400000_NS6detail17trampoline_kernelINS0_14default_configENS1_25partition_config_selectorILNS1_17partition_subalgoE5EdNS0_10empty_typeEbEEZZNS1_14partition_implILS5_5ELb0ES3_mN6thrust23THRUST_200600_302600_NS6detail15normal_iteratorINSA_10device_ptrIdEEEEPS6_NSA_18transform_iteratorINSB_9not_fun_tI7is_trueIdEEENSC_INSD_IbEEEENSA_11use_defaultESO_EENS0_5tupleIJSF_S6_EEENSQ_IJSG_SG_EEES6_PlJS6_EEE10hipError_tPvRmT3_T4_T5_T6_T7_T9_mT8_P12ihipStream_tbDpT10_ENKUlT_T0_E_clISt17integral_constantIbLb1EES1C_IbLb0EEEEDaS18_S19_EUlS18_E_NS1_11comp_targetILNS1_3genE8ELNS1_11target_archE1030ELNS1_3gpuE2ELNS1_3repE0EEENS1_30default_config_static_selectorELNS0_4arch9wavefront6targetE0EEEvT1_
	.globl	_ZN7rocprim17ROCPRIM_400000_NS6detail17trampoline_kernelINS0_14default_configENS1_25partition_config_selectorILNS1_17partition_subalgoE5EdNS0_10empty_typeEbEEZZNS1_14partition_implILS5_5ELb0ES3_mN6thrust23THRUST_200600_302600_NS6detail15normal_iteratorINSA_10device_ptrIdEEEEPS6_NSA_18transform_iteratorINSB_9not_fun_tI7is_trueIdEEENSC_INSD_IbEEEENSA_11use_defaultESO_EENS0_5tupleIJSF_S6_EEENSQ_IJSG_SG_EEES6_PlJS6_EEE10hipError_tPvRmT3_T4_T5_T6_T7_T9_mT8_P12ihipStream_tbDpT10_ENKUlT_T0_E_clISt17integral_constantIbLb1EES1C_IbLb0EEEEDaS18_S19_EUlS18_E_NS1_11comp_targetILNS1_3genE8ELNS1_11target_archE1030ELNS1_3gpuE2ELNS1_3repE0EEENS1_30default_config_static_selectorELNS0_4arch9wavefront6targetE0EEEvT1_
	.p2align	8
	.type	_ZN7rocprim17ROCPRIM_400000_NS6detail17trampoline_kernelINS0_14default_configENS1_25partition_config_selectorILNS1_17partition_subalgoE5EdNS0_10empty_typeEbEEZZNS1_14partition_implILS5_5ELb0ES3_mN6thrust23THRUST_200600_302600_NS6detail15normal_iteratorINSA_10device_ptrIdEEEEPS6_NSA_18transform_iteratorINSB_9not_fun_tI7is_trueIdEEENSC_INSD_IbEEEENSA_11use_defaultESO_EENS0_5tupleIJSF_S6_EEENSQ_IJSG_SG_EEES6_PlJS6_EEE10hipError_tPvRmT3_T4_T5_T6_T7_T9_mT8_P12ihipStream_tbDpT10_ENKUlT_T0_E_clISt17integral_constantIbLb1EES1C_IbLb0EEEEDaS18_S19_EUlS18_E_NS1_11comp_targetILNS1_3genE8ELNS1_11target_archE1030ELNS1_3gpuE2ELNS1_3repE0EEENS1_30default_config_static_selectorELNS0_4arch9wavefront6targetE0EEEvT1_,@function
_ZN7rocprim17ROCPRIM_400000_NS6detail17trampoline_kernelINS0_14default_configENS1_25partition_config_selectorILNS1_17partition_subalgoE5EdNS0_10empty_typeEbEEZZNS1_14partition_implILS5_5ELb0ES3_mN6thrust23THRUST_200600_302600_NS6detail15normal_iteratorINSA_10device_ptrIdEEEEPS6_NSA_18transform_iteratorINSB_9not_fun_tI7is_trueIdEEENSC_INSD_IbEEEENSA_11use_defaultESO_EENS0_5tupleIJSF_S6_EEENSQ_IJSG_SG_EEES6_PlJS6_EEE10hipError_tPvRmT3_T4_T5_T6_T7_T9_mT8_P12ihipStream_tbDpT10_ENKUlT_T0_E_clISt17integral_constantIbLb1EES1C_IbLb0EEEEDaS18_S19_EUlS18_E_NS1_11comp_targetILNS1_3genE8ELNS1_11target_archE1030ELNS1_3gpuE2ELNS1_3repE0EEENS1_30default_config_static_selectorELNS0_4arch9wavefront6targetE0EEEvT1_: ; @_ZN7rocprim17ROCPRIM_400000_NS6detail17trampoline_kernelINS0_14default_configENS1_25partition_config_selectorILNS1_17partition_subalgoE5EdNS0_10empty_typeEbEEZZNS1_14partition_implILS5_5ELb0ES3_mN6thrust23THRUST_200600_302600_NS6detail15normal_iteratorINSA_10device_ptrIdEEEEPS6_NSA_18transform_iteratorINSB_9not_fun_tI7is_trueIdEEENSC_INSD_IbEEEENSA_11use_defaultESO_EENS0_5tupleIJSF_S6_EEENSQ_IJSG_SG_EEES6_PlJS6_EEE10hipError_tPvRmT3_T4_T5_T6_T7_T9_mT8_P12ihipStream_tbDpT10_ENKUlT_T0_E_clISt17integral_constantIbLb1EES1C_IbLb0EEEEDaS18_S19_EUlS18_E_NS1_11comp_targetILNS1_3genE8ELNS1_11target_archE1030ELNS1_3gpuE2ELNS1_3repE0EEENS1_30default_config_static_selectorELNS0_4arch9wavefront6targetE0EEEvT1_
; %bb.0:
	.section	.rodata,"a",@progbits
	.p2align	6, 0x0
	.amdhsa_kernel _ZN7rocprim17ROCPRIM_400000_NS6detail17trampoline_kernelINS0_14default_configENS1_25partition_config_selectorILNS1_17partition_subalgoE5EdNS0_10empty_typeEbEEZZNS1_14partition_implILS5_5ELb0ES3_mN6thrust23THRUST_200600_302600_NS6detail15normal_iteratorINSA_10device_ptrIdEEEEPS6_NSA_18transform_iteratorINSB_9not_fun_tI7is_trueIdEEENSC_INSD_IbEEEENSA_11use_defaultESO_EENS0_5tupleIJSF_S6_EEENSQ_IJSG_SG_EEES6_PlJS6_EEE10hipError_tPvRmT3_T4_T5_T6_T7_T9_mT8_P12ihipStream_tbDpT10_ENKUlT_T0_E_clISt17integral_constantIbLb1EES1C_IbLb0EEEEDaS18_S19_EUlS18_E_NS1_11comp_targetILNS1_3genE8ELNS1_11target_archE1030ELNS1_3gpuE2ELNS1_3repE0EEENS1_30default_config_static_selectorELNS0_4arch9wavefront6targetE0EEEvT1_
		.amdhsa_group_segment_fixed_size 0
		.amdhsa_private_segment_fixed_size 0
		.amdhsa_kernarg_size 120
		.amdhsa_user_sgpr_count 2
		.amdhsa_user_sgpr_dispatch_ptr 0
		.amdhsa_user_sgpr_queue_ptr 0
		.amdhsa_user_sgpr_kernarg_segment_ptr 1
		.amdhsa_user_sgpr_dispatch_id 0
		.amdhsa_user_sgpr_private_segment_size 0
		.amdhsa_wavefront_size32 1
		.amdhsa_uses_dynamic_stack 0
		.amdhsa_enable_private_segment 0
		.amdhsa_system_sgpr_workgroup_id_x 1
		.amdhsa_system_sgpr_workgroup_id_y 0
		.amdhsa_system_sgpr_workgroup_id_z 0
		.amdhsa_system_sgpr_workgroup_info 0
		.amdhsa_system_vgpr_workitem_id 0
		.amdhsa_next_free_vgpr 1
		.amdhsa_next_free_sgpr 1
		.amdhsa_reserve_vcc 0
		.amdhsa_float_round_mode_32 0
		.amdhsa_float_round_mode_16_64 0
		.amdhsa_float_denorm_mode_32 3
		.amdhsa_float_denorm_mode_16_64 3
		.amdhsa_fp16_overflow 0
		.amdhsa_workgroup_processor_mode 1
		.amdhsa_memory_ordered 1
		.amdhsa_forward_progress 1
		.amdhsa_inst_pref_size 0
		.amdhsa_round_robin_scheduling 0
		.amdhsa_exception_fp_ieee_invalid_op 0
		.amdhsa_exception_fp_denorm_src 0
		.amdhsa_exception_fp_ieee_div_zero 0
		.amdhsa_exception_fp_ieee_overflow 0
		.amdhsa_exception_fp_ieee_underflow 0
		.amdhsa_exception_fp_ieee_inexact 0
		.amdhsa_exception_int_div_zero 0
	.end_amdhsa_kernel
	.section	.text._ZN7rocprim17ROCPRIM_400000_NS6detail17trampoline_kernelINS0_14default_configENS1_25partition_config_selectorILNS1_17partition_subalgoE5EdNS0_10empty_typeEbEEZZNS1_14partition_implILS5_5ELb0ES3_mN6thrust23THRUST_200600_302600_NS6detail15normal_iteratorINSA_10device_ptrIdEEEEPS6_NSA_18transform_iteratorINSB_9not_fun_tI7is_trueIdEEENSC_INSD_IbEEEENSA_11use_defaultESO_EENS0_5tupleIJSF_S6_EEENSQ_IJSG_SG_EEES6_PlJS6_EEE10hipError_tPvRmT3_T4_T5_T6_T7_T9_mT8_P12ihipStream_tbDpT10_ENKUlT_T0_E_clISt17integral_constantIbLb1EES1C_IbLb0EEEEDaS18_S19_EUlS18_E_NS1_11comp_targetILNS1_3genE8ELNS1_11target_archE1030ELNS1_3gpuE2ELNS1_3repE0EEENS1_30default_config_static_selectorELNS0_4arch9wavefront6targetE0EEEvT1_,"axG",@progbits,_ZN7rocprim17ROCPRIM_400000_NS6detail17trampoline_kernelINS0_14default_configENS1_25partition_config_selectorILNS1_17partition_subalgoE5EdNS0_10empty_typeEbEEZZNS1_14partition_implILS5_5ELb0ES3_mN6thrust23THRUST_200600_302600_NS6detail15normal_iteratorINSA_10device_ptrIdEEEEPS6_NSA_18transform_iteratorINSB_9not_fun_tI7is_trueIdEEENSC_INSD_IbEEEENSA_11use_defaultESO_EENS0_5tupleIJSF_S6_EEENSQ_IJSG_SG_EEES6_PlJS6_EEE10hipError_tPvRmT3_T4_T5_T6_T7_T9_mT8_P12ihipStream_tbDpT10_ENKUlT_T0_E_clISt17integral_constantIbLb1EES1C_IbLb0EEEEDaS18_S19_EUlS18_E_NS1_11comp_targetILNS1_3genE8ELNS1_11target_archE1030ELNS1_3gpuE2ELNS1_3repE0EEENS1_30default_config_static_selectorELNS0_4arch9wavefront6targetE0EEEvT1_,comdat
.Lfunc_end2356:
	.size	_ZN7rocprim17ROCPRIM_400000_NS6detail17trampoline_kernelINS0_14default_configENS1_25partition_config_selectorILNS1_17partition_subalgoE5EdNS0_10empty_typeEbEEZZNS1_14partition_implILS5_5ELb0ES3_mN6thrust23THRUST_200600_302600_NS6detail15normal_iteratorINSA_10device_ptrIdEEEEPS6_NSA_18transform_iteratorINSB_9not_fun_tI7is_trueIdEEENSC_INSD_IbEEEENSA_11use_defaultESO_EENS0_5tupleIJSF_S6_EEENSQ_IJSG_SG_EEES6_PlJS6_EEE10hipError_tPvRmT3_T4_T5_T6_T7_T9_mT8_P12ihipStream_tbDpT10_ENKUlT_T0_E_clISt17integral_constantIbLb1EES1C_IbLb0EEEEDaS18_S19_EUlS18_E_NS1_11comp_targetILNS1_3genE8ELNS1_11target_archE1030ELNS1_3gpuE2ELNS1_3repE0EEENS1_30default_config_static_selectorELNS0_4arch9wavefront6targetE0EEEvT1_, .Lfunc_end2356-_ZN7rocprim17ROCPRIM_400000_NS6detail17trampoline_kernelINS0_14default_configENS1_25partition_config_selectorILNS1_17partition_subalgoE5EdNS0_10empty_typeEbEEZZNS1_14partition_implILS5_5ELb0ES3_mN6thrust23THRUST_200600_302600_NS6detail15normal_iteratorINSA_10device_ptrIdEEEEPS6_NSA_18transform_iteratorINSB_9not_fun_tI7is_trueIdEEENSC_INSD_IbEEEENSA_11use_defaultESO_EENS0_5tupleIJSF_S6_EEENSQ_IJSG_SG_EEES6_PlJS6_EEE10hipError_tPvRmT3_T4_T5_T6_T7_T9_mT8_P12ihipStream_tbDpT10_ENKUlT_T0_E_clISt17integral_constantIbLb1EES1C_IbLb0EEEEDaS18_S19_EUlS18_E_NS1_11comp_targetILNS1_3genE8ELNS1_11target_archE1030ELNS1_3gpuE2ELNS1_3repE0EEENS1_30default_config_static_selectorELNS0_4arch9wavefront6targetE0EEEvT1_
                                        ; -- End function
	.set _ZN7rocprim17ROCPRIM_400000_NS6detail17trampoline_kernelINS0_14default_configENS1_25partition_config_selectorILNS1_17partition_subalgoE5EdNS0_10empty_typeEbEEZZNS1_14partition_implILS5_5ELb0ES3_mN6thrust23THRUST_200600_302600_NS6detail15normal_iteratorINSA_10device_ptrIdEEEEPS6_NSA_18transform_iteratorINSB_9not_fun_tI7is_trueIdEEENSC_INSD_IbEEEENSA_11use_defaultESO_EENS0_5tupleIJSF_S6_EEENSQ_IJSG_SG_EEES6_PlJS6_EEE10hipError_tPvRmT3_T4_T5_T6_T7_T9_mT8_P12ihipStream_tbDpT10_ENKUlT_T0_E_clISt17integral_constantIbLb1EES1C_IbLb0EEEEDaS18_S19_EUlS18_E_NS1_11comp_targetILNS1_3genE8ELNS1_11target_archE1030ELNS1_3gpuE2ELNS1_3repE0EEENS1_30default_config_static_selectorELNS0_4arch9wavefront6targetE0EEEvT1_.num_vgpr, 0
	.set _ZN7rocprim17ROCPRIM_400000_NS6detail17trampoline_kernelINS0_14default_configENS1_25partition_config_selectorILNS1_17partition_subalgoE5EdNS0_10empty_typeEbEEZZNS1_14partition_implILS5_5ELb0ES3_mN6thrust23THRUST_200600_302600_NS6detail15normal_iteratorINSA_10device_ptrIdEEEEPS6_NSA_18transform_iteratorINSB_9not_fun_tI7is_trueIdEEENSC_INSD_IbEEEENSA_11use_defaultESO_EENS0_5tupleIJSF_S6_EEENSQ_IJSG_SG_EEES6_PlJS6_EEE10hipError_tPvRmT3_T4_T5_T6_T7_T9_mT8_P12ihipStream_tbDpT10_ENKUlT_T0_E_clISt17integral_constantIbLb1EES1C_IbLb0EEEEDaS18_S19_EUlS18_E_NS1_11comp_targetILNS1_3genE8ELNS1_11target_archE1030ELNS1_3gpuE2ELNS1_3repE0EEENS1_30default_config_static_selectorELNS0_4arch9wavefront6targetE0EEEvT1_.num_agpr, 0
	.set _ZN7rocprim17ROCPRIM_400000_NS6detail17trampoline_kernelINS0_14default_configENS1_25partition_config_selectorILNS1_17partition_subalgoE5EdNS0_10empty_typeEbEEZZNS1_14partition_implILS5_5ELb0ES3_mN6thrust23THRUST_200600_302600_NS6detail15normal_iteratorINSA_10device_ptrIdEEEEPS6_NSA_18transform_iteratorINSB_9not_fun_tI7is_trueIdEEENSC_INSD_IbEEEENSA_11use_defaultESO_EENS0_5tupleIJSF_S6_EEENSQ_IJSG_SG_EEES6_PlJS6_EEE10hipError_tPvRmT3_T4_T5_T6_T7_T9_mT8_P12ihipStream_tbDpT10_ENKUlT_T0_E_clISt17integral_constantIbLb1EES1C_IbLb0EEEEDaS18_S19_EUlS18_E_NS1_11comp_targetILNS1_3genE8ELNS1_11target_archE1030ELNS1_3gpuE2ELNS1_3repE0EEENS1_30default_config_static_selectorELNS0_4arch9wavefront6targetE0EEEvT1_.numbered_sgpr, 0
	.set _ZN7rocprim17ROCPRIM_400000_NS6detail17trampoline_kernelINS0_14default_configENS1_25partition_config_selectorILNS1_17partition_subalgoE5EdNS0_10empty_typeEbEEZZNS1_14partition_implILS5_5ELb0ES3_mN6thrust23THRUST_200600_302600_NS6detail15normal_iteratorINSA_10device_ptrIdEEEEPS6_NSA_18transform_iteratorINSB_9not_fun_tI7is_trueIdEEENSC_INSD_IbEEEENSA_11use_defaultESO_EENS0_5tupleIJSF_S6_EEENSQ_IJSG_SG_EEES6_PlJS6_EEE10hipError_tPvRmT3_T4_T5_T6_T7_T9_mT8_P12ihipStream_tbDpT10_ENKUlT_T0_E_clISt17integral_constantIbLb1EES1C_IbLb0EEEEDaS18_S19_EUlS18_E_NS1_11comp_targetILNS1_3genE8ELNS1_11target_archE1030ELNS1_3gpuE2ELNS1_3repE0EEENS1_30default_config_static_selectorELNS0_4arch9wavefront6targetE0EEEvT1_.num_named_barrier, 0
	.set _ZN7rocprim17ROCPRIM_400000_NS6detail17trampoline_kernelINS0_14default_configENS1_25partition_config_selectorILNS1_17partition_subalgoE5EdNS0_10empty_typeEbEEZZNS1_14partition_implILS5_5ELb0ES3_mN6thrust23THRUST_200600_302600_NS6detail15normal_iteratorINSA_10device_ptrIdEEEEPS6_NSA_18transform_iteratorINSB_9not_fun_tI7is_trueIdEEENSC_INSD_IbEEEENSA_11use_defaultESO_EENS0_5tupleIJSF_S6_EEENSQ_IJSG_SG_EEES6_PlJS6_EEE10hipError_tPvRmT3_T4_T5_T6_T7_T9_mT8_P12ihipStream_tbDpT10_ENKUlT_T0_E_clISt17integral_constantIbLb1EES1C_IbLb0EEEEDaS18_S19_EUlS18_E_NS1_11comp_targetILNS1_3genE8ELNS1_11target_archE1030ELNS1_3gpuE2ELNS1_3repE0EEENS1_30default_config_static_selectorELNS0_4arch9wavefront6targetE0EEEvT1_.private_seg_size, 0
	.set _ZN7rocprim17ROCPRIM_400000_NS6detail17trampoline_kernelINS0_14default_configENS1_25partition_config_selectorILNS1_17partition_subalgoE5EdNS0_10empty_typeEbEEZZNS1_14partition_implILS5_5ELb0ES3_mN6thrust23THRUST_200600_302600_NS6detail15normal_iteratorINSA_10device_ptrIdEEEEPS6_NSA_18transform_iteratorINSB_9not_fun_tI7is_trueIdEEENSC_INSD_IbEEEENSA_11use_defaultESO_EENS0_5tupleIJSF_S6_EEENSQ_IJSG_SG_EEES6_PlJS6_EEE10hipError_tPvRmT3_T4_T5_T6_T7_T9_mT8_P12ihipStream_tbDpT10_ENKUlT_T0_E_clISt17integral_constantIbLb1EES1C_IbLb0EEEEDaS18_S19_EUlS18_E_NS1_11comp_targetILNS1_3genE8ELNS1_11target_archE1030ELNS1_3gpuE2ELNS1_3repE0EEENS1_30default_config_static_selectorELNS0_4arch9wavefront6targetE0EEEvT1_.uses_vcc, 0
	.set _ZN7rocprim17ROCPRIM_400000_NS6detail17trampoline_kernelINS0_14default_configENS1_25partition_config_selectorILNS1_17partition_subalgoE5EdNS0_10empty_typeEbEEZZNS1_14partition_implILS5_5ELb0ES3_mN6thrust23THRUST_200600_302600_NS6detail15normal_iteratorINSA_10device_ptrIdEEEEPS6_NSA_18transform_iteratorINSB_9not_fun_tI7is_trueIdEEENSC_INSD_IbEEEENSA_11use_defaultESO_EENS0_5tupleIJSF_S6_EEENSQ_IJSG_SG_EEES6_PlJS6_EEE10hipError_tPvRmT3_T4_T5_T6_T7_T9_mT8_P12ihipStream_tbDpT10_ENKUlT_T0_E_clISt17integral_constantIbLb1EES1C_IbLb0EEEEDaS18_S19_EUlS18_E_NS1_11comp_targetILNS1_3genE8ELNS1_11target_archE1030ELNS1_3gpuE2ELNS1_3repE0EEENS1_30default_config_static_selectorELNS0_4arch9wavefront6targetE0EEEvT1_.uses_flat_scratch, 0
	.set _ZN7rocprim17ROCPRIM_400000_NS6detail17trampoline_kernelINS0_14default_configENS1_25partition_config_selectorILNS1_17partition_subalgoE5EdNS0_10empty_typeEbEEZZNS1_14partition_implILS5_5ELb0ES3_mN6thrust23THRUST_200600_302600_NS6detail15normal_iteratorINSA_10device_ptrIdEEEEPS6_NSA_18transform_iteratorINSB_9not_fun_tI7is_trueIdEEENSC_INSD_IbEEEENSA_11use_defaultESO_EENS0_5tupleIJSF_S6_EEENSQ_IJSG_SG_EEES6_PlJS6_EEE10hipError_tPvRmT3_T4_T5_T6_T7_T9_mT8_P12ihipStream_tbDpT10_ENKUlT_T0_E_clISt17integral_constantIbLb1EES1C_IbLb0EEEEDaS18_S19_EUlS18_E_NS1_11comp_targetILNS1_3genE8ELNS1_11target_archE1030ELNS1_3gpuE2ELNS1_3repE0EEENS1_30default_config_static_selectorELNS0_4arch9wavefront6targetE0EEEvT1_.has_dyn_sized_stack, 0
	.set _ZN7rocprim17ROCPRIM_400000_NS6detail17trampoline_kernelINS0_14default_configENS1_25partition_config_selectorILNS1_17partition_subalgoE5EdNS0_10empty_typeEbEEZZNS1_14partition_implILS5_5ELb0ES3_mN6thrust23THRUST_200600_302600_NS6detail15normal_iteratorINSA_10device_ptrIdEEEEPS6_NSA_18transform_iteratorINSB_9not_fun_tI7is_trueIdEEENSC_INSD_IbEEEENSA_11use_defaultESO_EENS0_5tupleIJSF_S6_EEENSQ_IJSG_SG_EEES6_PlJS6_EEE10hipError_tPvRmT3_T4_T5_T6_T7_T9_mT8_P12ihipStream_tbDpT10_ENKUlT_T0_E_clISt17integral_constantIbLb1EES1C_IbLb0EEEEDaS18_S19_EUlS18_E_NS1_11comp_targetILNS1_3genE8ELNS1_11target_archE1030ELNS1_3gpuE2ELNS1_3repE0EEENS1_30default_config_static_selectorELNS0_4arch9wavefront6targetE0EEEvT1_.has_recursion, 0
	.set _ZN7rocprim17ROCPRIM_400000_NS6detail17trampoline_kernelINS0_14default_configENS1_25partition_config_selectorILNS1_17partition_subalgoE5EdNS0_10empty_typeEbEEZZNS1_14partition_implILS5_5ELb0ES3_mN6thrust23THRUST_200600_302600_NS6detail15normal_iteratorINSA_10device_ptrIdEEEEPS6_NSA_18transform_iteratorINSB_9not_fun_tI7is_trueIdEEENSC_INSD_IbEEEENSA_11use_defaultESO_EENS0_5tupleIJSF_S6_EEENSQ_IJSG_SG_EEES6_PlJS6_EEE10hipError_tPvRmT3_T4_T5_T6_T7_T9_mT8_P12ihipStream_tbDpT10_ENKUlT_T0_E_clISt17integral_constantIbLb1EES1C_IbLb0EEEEDaS18_S19_EUlS18_E_NS1_11comp_targetILNS1_3genE8ELNS1_11target_archE1030ELNS1_3gpuE2ELNS1_3repE0EEENS1_30default_config_static_selectorELNS0_4arch9wavefront6targetE0EEEvT1_.has_indirect_call, 0
	.section	.AMDGPU.csdata,"",@progbits
; Kernel info:
; codeLenInByte = 0
; TotalNumSgprs: 0
; NumVgprs: 0
; ScratchSize: 0
; MemoryBound: 0
; FloatMode: 240
; IeeeMode: 1
; LDSByteSize: 0 bytes/workgroup (compile time only)
; SGPRBlocks: 0
; VGPRBlocks: 0
; NumSGPRsForWavesPerEU: 1
; NumVGPRsForWavesPerEU: 1
; Occupancy: 16
; WaveLimiterHint : 0
; COMPUTE_PGM_RSRC2:SCRATCH_EN: 0
; COMPUTE_PGM_RSRC2:USER_SGPR: 2
; COMPUTE_PGM_RSRC2:TRAP_HANDLER: 0
; COMPUTE_PGM_RSRC2:TGID_X_EN: 1
; COMPUTE_PGM_RSRC2:TGID_Y_EN: 0
; COMPUTE_PGM_RSRC2:TGID_Z_EN: 0
; COMPUTE_PGM_RSRC2:TIDIG_COMP_CNT: 0
	.section	.text._ZN7rocprim17ROCPRIM_400000_NS6detail17trampoline_kernelINS0_14default_configENS1_25partition_config_selectorILNS1_17partition_subalgoE5EdNS0_10empty_typeEbEEZZNS1_14partition_implILS5_5ELb0ES3_mN6thrust23THRUST_200600_302600_NS6detail15normal_iteratorINSA_10device_ptrIdEEEEPS6_NSA_18transform_iteratorINSB_9not_fun_tI7is_trueIdEEENSC_INSD_IbEEEENSA_11use_defaultESO_EENS0_5tupleIJSF_S6_EEENSQ_IJSG_SG_EEES6_PlJS6_EEE10hipError_tPvRmT3_T4_T5_T6_T7_T9_mT8_P12ihipStream_tbDpT10_ENKUlT_T0_E_clISt17integral_constantIbLb0EES1C_IbLb1EEEEDaS18_S19_EUlS18_E_NS1_11comp_targetILNS1_3genE0ELNS1_11target_archE4294967295ELNS1_3gpuE0ELNS1_3repE0EEENS1_30default_config_static_selectorELNS0_4arch9wavefront6targetE0EEEvT1_,"axG",@progbits,_ZN7rocprim17ROCPRIM_400000_NS6detail17trampoline_kernelINS0_14default_configENS1_25partition_config_selectorILNS1_17partition_subalgoE5EdNS0_10empty_typeEbEEZZNS1_14partition_implILS5_5ELb0ES3_mN6thrust23THRUST_200600_302600_NS6detail15normal_iteratorINSA_10device_ptrIdEEEEPS6_NSA_18transform_iteratorINSB_9not_fun_tI7is_trueIdEEENSC_INSD_IbEEEENSA_11use_defaultESO_EENS0_5tupleIJSF_S6_EEENSQ_IJSG_SG_EEES6_PlJS6_EEE10hipError_tPvRmT3_T4_T5_T6_T7_T9_mT8_P12ihipStream_tbDpT10_ENKUlT_T0_E_clISt17integral_constantIbLb0EES1C_IbLb1EEEEDaS18_S19_EUlS18_E_NS1_11comp_targetILNS1_3genE0ELNS1_11target_archE4294967295ELNS1_3gpuE0ELNS1_3repE0EEENS1_30default_config_static_selectorELNS0_4arch9wavefront6targetE0EEEvT1_,comdat
	.protected	_ZN7rocprim17ROCPRIM_400000_NS6detail17trampoline_kernelINS0_14default_configENS1_25partition_config_selectorILNS1_17partition_subalgoE5EdNS0_10empty_typeEbEEZZNS1_14partition_implILS5_5ELb0ES3_mN6thrust23THRUST_200600_302600_NS6detail15normal_iteratorINSA_10device_ptrIdEEEEPS6_NSA_18transform_iteratorINSB_9not_fun_tI7is_trueIdEEENSC_INSD_IbEEEENSA_11use_defaultESO_EENS0_5tupleIJSF_S6_EEENSQ_IJSG_SG_EEES6_PlJS6_EEE10hipError_tPvRmT3_T4_T5_T6_T7_T9_mT8_P12ihipStream_tbDpT10_ENKUlT_T0_E_clISt17integral_constantIbLb0EES1C_IbLb1EEEEDaS18_S19_EUlS18_E_NS1_11comp_targetILNS1_3genE0ELNS1_11target_archE4294967295ELNS1_3gpuE0ELNS1_3repE0EEENS1_30default_config_static_selectorELNS0_4arch9wavefront6targetE0EEEvT1_ ; -- Begin function _ZN7rocprim17ROCPRIM_400000_NS6detail17trampoline_kernelINS0_14default_configENS1_25partition_config_selectorILNS1_17partition_subalgoE5EdNS0_10empty_typeEbEEZZNS1_14partition_implILS5_5ELb0ES3_mN6thrust23THRUST_200600_302600_NS6detail15normal_iteratorINSA_10device_ptrIdEEEEPS6_NSA_18transform_iteratorINSB_9not_fun_tI7is_trueIdEEENSC_INSD_IbEEEENSA_11use_defaultESO_EENS0_5tupleIJSF_S6_EEENSQ_IJSG_SG_EEES6_PlJS6_EEE10hipError_tPvRmT3_T4_T5_T6_T7_T9_mT8_P12ihipStream_tbDpT10_ENKUlT_T0_E_clISt17integral_constantIbLb0EES1C_IbLb1EEEEDaS18_S19_EUlS18_E_NS1_11comp_targetILNS1_3genE0ELNS1_11target_archE4294967295ELNS1_3gpuE0ELNS1_3repE0EEENS1_30default_config_static_selectorELNS0_4arch9wavefront6targetE0EEEvT1_
	.globl	_ZN7rocprim17ROCPRIM_400000_NS6detail17trampoline_kernelINS0_14default_configENS1_25partition_config_selectorILNS1_17partition_subalgoE5EdNS0_10empty_typeEbEEZZNS1_14partition_implILS5_5ELb0ES3_mN6thrust23THRUST_200600_302600_NS6detail15normal_iteratorINSA_10device_ptrIdEEEEPS6_NSA_18transform_iteratorINSB_9not_fun_tI7is_trueIdEEENSC_INSD_IbEEEENSA_11use_defaultESO_EENS0_5tupleIJSF_S6_EEENSQ_IJSG_SG_EEES6_PlJS6_EEE10hipError_tPvRmT3_T4_T5_T6_T7_T9_mT8_P12ihipStream_tbDpT10_ENKUlT_T0_E_clISt17integral_constantIbLb0EES1C_IbLb1EEEEDaS18_S19_EUlS18_E_NS1_11comp_targetILNS1_3genE0ELNS1_11target_archE4294967295ELNS1_3gpuE0ELNS1_3repE0EEENS1_30default_config_static_selectorELNS0_4arch9wavefront6targetE0EEEvT1_
	.p2align	8
	.type	_ZN7rocprim17ROCPRIM_400000_NS6detail17trampoline_kernelINS0_14default_configENS1_25partition_config_selectorILNS1_17partition_subalgoE5EdNS0_10empty_typeEbEEZZNS1_14partition_implILS5_5ELb0ES3_mN6thrust23THRUST_200600_302600_NS6detail15normal_iteratorINSA_10device_ptrIdEEEEPS6_NSA_18transform_iteratorINSB_9not_fun_tI7is_trueIdEEENSC_INSD_IbEEEENSA_11use_defaultESO_EENS0_5tupleIJSF_S6_EEENSQ_IJSG_SG_EEES6_PlJS6_EEE10hipError_tPvRmT3_T4_T5_T6_T7_T9_mT8_P12ihipStream_tbDpT10_ENKUlT_T0_E_clISt17integral_constantIbLb0EES1C_IbLb1EEEEDaS18_S19_EUlS18_E_NS1_11comp_targetILNS1_3genE0ELNS1_11target_archE4294967295ELNS1_3gpuE0ELNS1_3repE0EEENS1_30default_config_static_selectorELNS0_4arch9wavefront6targetE0EEEvT1_,@function
_ZN7rocprim17ROCPRIM_400000_NS6detail17trampoline_kernelINS0_14default_configENS1_25partition_config_selectorILNS1_17partition_subalgoE5EdNS0_10empty_typeEbEEZZNS1_14partition_implILS5_5ELb0ES3_mN6thrust23THRUST_200600_302600_NS6detail15normal_iteratorINSA_10device_ptrIdEEEEPS6_NSA_18transform_iteratorINSB_9not_fun_tI7is_trueIdEEENSC_INSD_IbEEEENSA_11use_defaultESO_EENS0_5tupleIJSF_S6_EEENSQ_IJSG_SG_EEES6_PlJS6_EEE10hipError_tPvRmT3_T4_T5_T6_T7_T9_mT8_P12ihipStream_tbDpT10_ENKUlT_T0_E_clISt17integral_constantIbLb0EES1C_IbLb1EEEEDaS18_S19_EUlS18_E_NS1_11comp_targetILNS1_3genE0ELNS1_11target_archE4294967295ELNS1_3gpuE0ELNS1_3repE0EEENS1_30default_config_static_selectorELNS0_4arch9wavefront6targetE0EEEvT1_: ; @_ZN7rocprim17ROCPRIM_400000_NS6detail17trampoline_kernelINS0_14default_configENS1_25partition_config_selectorILNS1_17partition_subalgoE5EdNS0_10empty_typeEbEEZZNS1_14partition_implILS5_5ELb0ES3_mN6thrust23THRUST_200600_302600_NS6detail15normal_iteratorINSA_10device_ptrIdEEEEPS6_NSA_18transform_iteratorINSB_9not_fun_tI7is_trueIdEEENSC_INSD_IbEEEENSA_11use_defaultESO_EENS0_5tupleIJSF_S6_EEENSQ_IJSG_SG_EEES6_PlJS6_EEE10hipError_tPvRmT3_T4_T5_T6_T7_T9_mT8_P12ihipStream_tbDpT10_ENKUlT_T0_E_clISt17integral_constantIbLb0EES1C_IbLb1EEEEDaS18_S19_EUlS18_E_NS1_11comp_targetILNS1_3genE0ELNS1_11target_archE4294967295ELNS1_3gpuE0ELNS1_3repE0EEENS1_30default_config_static_selectorELNS0_4arch9wavefront6targetE0EEEvT1_
; %bb.0:
	.section	.rodata,"a",@progbits
	.p2align	6, 0x0
	.amdhsa_kernel _ZN7rocprim17ROCPRIM_400000_NS6detail17trampoline_kernelINS0_14default_configENS1_25partition_config_selectorILNS1_17partition_subalgoE5EdNS0_10empty_typeEbEEZZNS1_14partition_implILS5_5ELb0ES3_mN6thrust23THRUST_200600_302600_NS6detail15normal_iteratorINSA_10device_ptrIdEEEEPS6_NSA_18transform_iteratorINSB_9not_fun_tI7is_trueIdEEENSC_INSD_IbEEEENSA_11use_defaultESO_EENS0_5tupleIJSF_S6_EEENSQ_IJSG_SG_EEES6_PlJS6_EEE10hipError_tPvRmT3_T4_T5_T6_T7_T9_mT8_P12ihipStream_tbDpT10_ENKUlT_T0_E_clISt17integral_constantIbLb0EES1C_IbLb1EEEEDaS18_S19_EUlS18_E_NS1_11comp_targetILNS1_3genE0ELNS1_11target_archE4294967295ELNS1_3gpuE0ELNS1_3repE0EEENS1_30default_config_static_selectorELNS0_4arch9wavefront6targetE0EEEvT1_
		.amdhsa_group_segment_fixed_size 0
		.amdhsa_private_segment_fixed_size 0
		.amdhsa_kernarg_size 136
		.amdhsa_user_sgpr_count 2
		.amdhsa_user_sgpr_dispatch_ptr 0
		.amdhsa_user_sgpr_queue_ptr 0
		.amdhsa_user_sgpr_kernarg_segment_ptr 1
		.amdhsa_user_sgpr_dispatch_id 0
		.amdhsa_user_sgpr_private_segment_size 0
		.amdhsa_wavefront_size32 1
		.amdhsa_uses_dynamic_stack 0
		.amdhsa_enable_private_segment 0
		.amdhsa_system_sgpr_workgroup_id_x 1
		.amdhsa_system_sgpr_workgroup_id_y 0
		.amdhsa_system_sgpr_workgroup_id_z 0
		.amdhsa_system_sgpr_workgroup_info 0
		.amdhsa_system_vgpr_workitem_id 0
		.amdhsa_next_free_vgpr 1
		.amdhsa_next_free_sgpr 1
		.amdhsa_reserve_vcc 0
		.amdhsa_float_round_mode_32 0
		.amdhsa_float_round_mode_16_64 0
		.amdhsa_float_denorm_mode_32 3
		.amdhsa_float_denorm_mode_16_64 3
		.amdhsa_fp16_overflow 0
		.amdhsa_workgroup_processor_mode 1
		.amdhsa_memory_ordered 1
		.amdhsa_forward_progress 1
		.amdhsa_inst_pref_size 0
		.amdhsa_round_robin_scheduling 0
		.amdhsa_exception_fp_ieee_invalid_op 0
		.amdhsa_exception_fp_denorm_src 0
		.amdhsa_exception_fp_ieee_div_zero 0
		.amdhsa_exception_fp_ieee_overflow 0
		.amdhsa_exception_fp_ieee_underflow 0
		.amdhsa_exception_fp_ieee_inexact 0
		.amdhsa_exception_int_div_zero 0
	.end_amdhsa_kernel
	.section	.text._ZN7rocprim17ROCPRIM_400000_NS6detail17trampoline_kernelINS0_14default_configENS1_25partition_config_selectorILNS1_17partition_subalgoE5EdNS0_10empty_typeEbEEZZNS1_14partition_implILS5_5ELb0ES3_mN6thrust23THRUST_200600_302600_NS6detail15normal_iteratorINSA_10device_ptrIdEEEEPS6_NSA_18transform_iteratorINSB_9not_fun_tI7is_trueIdEEENSC_INSD_IbEEEENSA_11use_defaultESO_EENS0_5tupleIJSF_S6_EEENSQ_IJSG_SG_EEES6_PlJS6_EEE10hipError_tPvRmT3_T4_T5_T6_T7_T9_mT8_P12ihipStream_tbDpT10_ENKUlT_T0_E_clISt17integral_constantIbLb0EES1C_IbLb1EEEEDaS18_S19_EUlS18_E_NS1_11comp_targetILNS1_3genE0ELNS1_11target_archE4294967295ELNS1_3gpuE0ELNS1_3repE0EEENS1_30default_config_static_selectorELNS0_4arch9wavefront6targetE0EEEvT1_,"axG",@progbits,_ZN7rocprim17ROCPRIM_400000_NS6detail17trampoline_kernelINS0_14default_configENS1_25partition_config_selectorILNS1_17partition_subalgoE5EdNS0_10empty_typeEbEEZZNS1_14partition_implILS5_5ELb0ES3_mN6thrust23THRUST_200600_302600_NS6detail15normal_iteratorINSA_10device_ptrIdEEEEPS6_NSA_18transform_iteratorINSB_9not_fun_tI7is_trueIdEEENSC_INSD_IbEEEENSA_11use_defaultESO_EENS0_5tupleIJSF_S6_EEENSQ_IJSG_SG_EEES6_PlJS6_EEE10hipError_tPvRmT3_T4_T5_T6_T7_T9_mT8_P12ihipStream_tbDpT10_ENKUlT_T0_E_clISt17integral_constantIbLb0EES1C_IbLb1EEEEDaS18_S19_EUlS18_E_NS1_11comp_targetILNS1_3genE0ELNS1_11target_archE4294967295ELNS1_3gpuE0ELNS1_3repE0EEENS1_30default_config_static_selectorELNS0_4arch9wavefront6targetE0EEEvT1_,comdat
.Lfunc_end2357:
	.size	_ZN7rocprim17ROCPRIM_400000_NS6detail17trampoline_kernelINS0_14default_configENS1_25partition_config_selectorILNS1_17partition_subalgoE5EdNS0_10empty_typeEbEEZZNS1_14partition_implILS5_5ELb0ES3_mN6thrust23THRUST_200600_302600_NS6detail15normal_iteratorINSA_10device_ptrIdEEEEPS6_NSA_18transform_iteratorINSB_9not_fun_tI7is_trueIdEEENSC_INSD_IbEEEENSA_11use_defaultESO_EENS0_5tupleIJSF_S6_EEENSQ_IJSG_SG_EEES6_PlJS6_EEE10hipError_tPvRmT3_T4_T5_T6_T7_T9_mT8_P12ihipStream_tbDpT10_ENKUlT_T0_E_clISt17integral_constantIbLb0EES1C_IbLb1EEEEDaS18_S19_EUlS18_E_NS1_11comp_targetILNS1_3genE0ELNS1_11target_archE4294967295ELNS1_3gpuE0ELNS1_3repE0EEENS1_30default_config_static_selectorELNS0_4arch9wavefront6targetE0EEEvT1_, .Lfunc_end2357-_ZN7rocprim17ROCPRIM_400000_NS6detail17trampoline_kernelINS0_14default_configENS1_25partition_config_selectorILNS1_17partition_subalgoE5EdNS0_10empty_typeEbEEZZNS1_14partition_implILS5_5ELb0ES3_mN6thrust23THRUST_200600_302600_NS6detail15normal_iteratorINSA_10device_ptrIdEEEEPS6_NSA_18transform_iteratorINSB_9not_fun_tI7is_trueIdEEENSC_INSD_IbEEEENSA_11use_defaultESO_EENS0_5tupleIJSF_S6_EEENSQ_IJSG_SG_EEES6_PlJS6_EEE10hipError_tPvRmT3_T4_T5_T6_T7_T9_mT8_P12ihipStream_tbDpT10_ENKUlT_T0_E_clISt17integral_constantIbLb0EES1C_IbLb1EEEEDaS18_S19_EUlS18_E_NS1_11comp_targetILNS1_3genE0ELNS1_11target_archE4294967295ELNS1_3gpuE0ELNS1_3repE0EEENS1_30default_config_static_selectorELNS0_4arch9wavefront6targetE0EEEvT1_
                                        ; -- End function
	.set _ZN7rocprim17ROCPRIM_400000_NS6detail17trampoline_kernelINS0_14default_configENS1_25partition_config_selectorILNS1_17partition_subalgoE5EdNS0_10empty_typeEbEEZZNS1_14partition_implILS5_5ELb0ES3_mN6thrust23THRUST_200600_302600_NS6detail15normal_iteratorINSA_10device_ptrIdEEEEPS6_NSA_18transform_iteratorINSB_9not_fun_tI7is_trueIdEEENSC_INSD_IbEEEENSA_11use_defaultESO_EENS0_5tupleIJSF_S6_EEENSQ_IJSG_SG_EEES6_PlJS6_EEE10hipError_tPvRmT3_T4_T5_T6_T7_T9_mT8_P12ihipStream_tbDpT10_ENKUlT_T0_E_clISt17integral_constantIbLb0EES1C_IbLb1EEEEDaS18_S19_EUlS18_E_NS1_11comp_targetILNS1_3genE0ELNS1_11target_archE4294967295ELNS1_3gpuE0ELNS1_3repE0EEENS1_30default_config_static_selectorELNS0_4arch9wavefront6targetE0EEEvT1_.num_vgpr, 0
	.set _ZN7rocprim17ROCPRIM_400000_NS6detail17trampoline_kernelINS0_14default_configENS1_25partition_config_selectorILNS1_17partition_subalgoE5EdNS0_10empty_typeEbEEZZNS1_14partition_implILS5_5ELb0ES3_mN6thrust23THRUST_200600_302600_NS6detail15normal_iteratorINSA_10device_ptrIdEEEEPS6_NSA_18transform_iteratorINSB_9not_fun_tI7is_trueIdEEENSC_INSD_IbEEEENSA_11use_defaultESO_EENS0_5tupleIJSF_S6_EEENSQ_IJSG_SG_EEES6_PlJS6_EEE10hipError_tPvRmT3_T4_T5_T6_T7_T9_mT8_P12ihipStream_tbDpT10_ENKUlT_T0_E_clISt17integral_constantIbLb0EES1C_IbLb1EEEEDaS18_S19_EUlS18_E_NS1_11comp_targetILNS1_3genE0ELNS1_11target_archE4294967295ELNS1_3gpuE0ELNS1_3repE0EEENS1_30default_config_static_selectorELNS0_4arch9wavefront6targetE0EEEvT1_.num_agpr, 0
	.set _ZN7rocprim17ROCPRIM_400000_NS6detail17trampoline_kernelINS0_14default_configENS1_25partition_config_selectorILNS1_17partition_subalgoE5EdNS0_10empty_typeEbEEZZNS1_14partition_implILS5_5ELb0ES3_mN6thrust23THRUST_200600_302600_NS6detail15normal_iteratorINSA_10device_ptrIdEEEEPS6_NSA_18transform_iteratorINSB_9not_fun_tI7is_trueIdEEENSC_INSD_IbEEEENSA_11use_defaultESO_EENS0_5tupleIJSF_S6_EEENSQ_IJSG_SG_EEES6_PlJS6_EEE10hipError_tPvRmT3_T4_T5_T6_T7_T9_mT8_P12ihipStream_tbDpT10_ENKUlT_T0_E_clISt17integral_constantIbLb0EES1C_IbLb1EEEEDaS18_S19_EUlS18_E_NS1_11comp_targetILNS1_3genE0ELNS1_11target_archE4294967295ELNS1_3gpuE0ELNS1_3repE0EEENS1_30default_config_static_selectorELNS0_4arch9wavefront6targetE0EEEvT1_.numbered_sgpr, 0
	.set _ZN7rocprim17ROCPRIM_400000_NS6detail17trampoline_kernelINS0_14default_configENS1_25partition_config_selectorILNS1_17partition_subalgoE5EdNS0_10empty_typeEbEEZZNS1_14partition_implILS5_5ELb0ES3_mN6thrust23THRUST_200600_302600_NS6detail15normal_iteratorINSA_10device_ptrIdEEEEPS6_NSA_18transform_iteratorINSB_9not_fun_tI7is_trueIdEEENSC_INSD_IbEEEENSA_11use_defaultESO_EENS0_5tupleIJSF_S6_EEENSQ_IJSG_SG_EEES6_PlJS6_EEE10hipError_tPvRmT3_T4_T5_T6_T7_T9_mT8_P12ihipStream_tbDpT10_ENKUlT_T0_E_clISt17integral_constantIbLb0EES1C_IbLb1EEEEDaS18_S19_EUlS18_E_NS1_11comp_targetILNS1_3genE0ELNS1_11target_archE4294967295ELNS1_3gpuE0ELNS1_3repE0EEENS1_30default_config_static_selectorELNS0_4arch9wavefront6targetE0EEEvT1_.num_named_barrier, 0
	.set _ZN7rocprim17ROCPRIM_400000_NS6detail17trampoline_kernelINS0_14default_configENS1_25partition_config_selectorILNS1_17partition_subalgoE5EdNS0_10empty_typeEbEEZZNS1_14partition_implILS5_5ELb0ES3_mN6thrust23THRUST_200600_302600_NS6detail15normal_iteratorINSA_10device_ptrIdEEEEPS6_NSA_18transform_iteratorINSB_9not_fun_tI7is_trueIdEEENSC_INSD_IbEEEENSA_11use_defaultESO_EENS0_5tupleIJSF_S6_EEENSQ_IJSG_SG_EEES6_PlJS6_EEE10hipError_tPvRmT3_T4_T5_T6_T7_T9_mT8_P12ihipStream_tbDpT10_ENKUlT_T0_E_clISt17integral_constantIbLb0EES1C_IbLb1EEEEDaS18_S19_EUlS18_E_NS1_11comp_targetILNS1_3genE0ELNS1_11target_archE4294967295ELNS1_3gpuE0ELNS1_3repE0EEENS1_30default_config_static_selectorELNS0_4arch9wavefront6targetE0EEEvT1_.private_seg_size, 0
	.set _ZN7rocprim17ROCPRIM_400000_NS6detail17trampoline_kernelINS0_14default_configENS1_25partition_config_selectorILNS1_17partition_subalgoE5EdNS0_10empty_typeEbEEZZNS1_14partition_implILS5_5ELb0ES3_mN6thrust23THRUST_200600_302600_NS6detail15normal_iteratorINSA_10device_ptrIdEEEEPS6_NSA_18transform_iteratorINSB_9not_fun_tI7is_trueIdEEENSC_INSD_IbEEEENSA_11use_defaultESO_EENS0_5tupleIJSF_S6_EEENSQ_IJSG_SG_EEES6_PlJS6_EEE10hipError_tPvRmT3_T4_T5_T6_T7_T9_mT8_P12ihipStream_tbDpT10_ENKUlT_T0_E_clISt17integral_constantIbLb0EES1C_IbLb1EEEEDaS18_S19_EUlS18_E_NS1_11comp_targetILNS1_3genE0ELNS1_11target_archE4294967295ELNS1_3gpuE0ELNS1_3repE0EEENS1_30default_config_static_selectorELNS0_4arch9wavefront6targetE0EEEvT1_.uses_vcc, 0
	.set _ZN7rocprim17ROCPRIM_400000_NS6detail17trampoline_kernelINS0_14default_configENS1_25partition_config_selectorILNS1_17partition_subalgoE5EdNS0_10empty_typeEbEEZZNS1_14partition_implILS5_5ELb0ES3_mN6thrust23THRUST_200600_302600_NS6detail15normal_iteratorINSA_10device_ptrIdEEEEPS6_NSA_18transform_iteratorINSB_9not_fun_tI7is_trueIdEEENSC_INSD_IbEEEENSA_11use_defaultESO_EENS0_5tupleIJSF_S6_EEENSQ_IJSG_SG_EEES6_PlJS6_EEE10hipError_tPvRmT3_T4_T5_T6_T7_T9_mT8_P12ihipStream_tbDpT10_ENKUlT_T0_E_clISt17integral_constantIbLb0EES1C_IbLb1EEEEDaS18_S19_EUlS18_E_NS1_11comp_targetILNS1_3genE0ELNS1_11target_archE4294967295ELNS1_3gpuE0ELNS1_3repE0EEENS1_30default_config_static_selectorELNS0_4arch9wavefront6targetE0EEEvT1_.uses_flat_scratch, 0
	.set _ZN7rocprim17ROCPRIM_400000_NS6detail17trampoline_kernelINS0_14default_configENS1_25partition_config_selectorILNS1_17partition_subalgoE5EdNS0_10empty_typeEbEEZZNS1_14partition_implILS5_5ELb0ES3_mN6thrust23THRUST_200600_302600_NS6detail15normal_iteratorINSA_10device_ptrIdEEEEPS6_NSA_18transform_iteratorINSB_9not_fun_tI7is_trueIdEEENSC_INSD_IbEEEENSA_11use_defaultESO_EENS0_5tupleIJSF_S6_EEENSQ_IJSG_SG_EEES6_PlJS6_EEE10hipError_tPvRmT3_T4_T5_T6_T7_T9_mT8_P12ihipStream_tbDpT10_ENKUlT_T0_E_clISt17integral_constantIbLb0EES1C_IbLb1EEEEDaS18_S19_EUlS18_E_NS1_11comp_targetILNS1_3genE0ELNS1_11target_archE4294967295ELNS1_3gpuE0ELNS1_3repE0EEENS1_30default_config_static_selectorELNS0_4arch9wavefront6targetE0EEEvT1_.has_dyn_sized_stack, 0
	.set _ZN7rocprim17ROCPRIM_400000_NS6detail17trampoline_kernelINS0_14default_configENS1_25partition_config_selectorILNS1_17partition_subalgoE5EdNS0_10empty_typeEbEEZZNS1_14partition_implILS5_5ELb0ES3_mN6thrust23THRUST_200600_302600_NS6detail15normal_iteratorINSA_10device_ptrIdEEEEPS6_NSA_18transform_iteratorINSB_9not_fun_tI7is_trueIdEEENSC_INSD_IbEEEENSA_11use_defaultESO_EENS0_5tupleIJSF_S6_EEENSQ_IJSG_SG_EEES6_PlJS6_EEE10hipError_tPvRmT3_T4_T5_T6_T7_T9_mT8_P12ihipStream_tbDpT10_ENKUlT_T0_E_clISt17integral_constantIbLb0EES1C_IbLb1EEEEDaS18_S19_EUlS18_E_NS1_11comp_targetILNS1_3genE0ELNS1_11target_archE4294967295ELNS1_3gpuE0ELNS1_3repE0EEENS1_30default_config_static_selectorELNS0_4arch9wavefront6targetE0EEEvT1_.has_recursion, 0
	.set _ZN7rocprim17ROCPRIM_400000_NS6detail17trampoline_kernelINS0_14default_configENS1_25partition_config_selectorILNS1_17partition_subalgoE5EdNS0_10empty_typeEbEEZZNS1_14partition_implILS5_5ELb0ES3_mN6thrust23THRUST_200600_302600_NS6detail15normal_iteratorINSA_10device_ptrIdEEEEPS6_NSA_18transform_iteratorINSB_9not_fun_tI7is_trueIdEEENSC_INSD_IbEEEENSA_11use_defaultESO_EENS0_5tupleIJSF_S6_EEENSQ_IJSG_SG_EEES6_PlJS6_EEE10hipError_tPvRmT3_T4_T5_T6_T7_T9_mT8_P12ihipStream_tbDpT10_ENKUlT_T0_E_clISt17integral_constantIbLb0EES1C_IbLb1EEEEDaS18_S19_EUlS18_E_NS1_11comp_targetILNS1_3genE0ELNS1_11target_archE4294967295ELNS1_3gpuE0ELNS1_3repE0EEENS1_30default_config_static_selectorELNS0_4arch9wavefront6targetE0EEEvT1_.has_indirect_call, 0
	.section	.AMDGPU.csdata,"",@progbits
; Kernel info:
; codeLenInByte = 0
; TotalNumSgprs: 0
; NumVgprs: 0
; ScratchSize: 0
; MemoryBound: 0
; FloatMode: 240
; IeeeMode: 1
; LDSByteSize: 0 bytes/workgroup (compile time only)
; SGPRBlocks: 0
; VGPRBlocks: 0
; NumSGPRsForWavesPerEU: 1
; NumVGPRsForWavesPerEU: 1
; Occupancy: 16
; WaveLimiterHint : 0
; COMPUTE_PGM_RSRC2:SCRATCH_EN: 0
; COMPUTE_PGM_RSRC2:USER_SGPR: 2
; COMPUTE_PGM_RSRC2:TRAP_HANDLER: 0
; COMPUTE_PGM_RSRC2:TGID_X_EN: 1
; COMPUTE_PGM_RSRC2:TGID_Y_EN: 0
; COMPUTE_PGM_RSRC2:TGID_Z_EN: 0
; COMPUTE_PGM_RSRC2:TIDIG_COMP_CNT: 0
	.section	.text._ZN7rocprim17ROCPRIM_400000_NS6detail17trampoline_kernelINS0_14default_configENS1_25partition_config_selectorILNS1_17partition_subalgoE5EdNS0_10empty_typeEbEEZZNS1_14partition_implILS5_5ELb0ES3_mN6thrust23THRUST_200600_302600_NS6detail15normal_iteratorINSA_10device_ptrIdEEEEPS6_NSA_18transform_iteratorINSB_9not_fun_tI7is_trueIdEEENSC_INSD_IbEEEENSA_11use_defaultESO_EENS0_5tupleIJSF_S6_EEENSQ_IJSG_SG_EEES6_PlJS6_EEE10hipError_tPvRmT3_T4_T5_T6_T7_T9_mT8_P12ihipStream_tbDpT10_ENKUlT_T0_E_clISt17integral_constantIbLb0EES1C_IbLb1EEEEDaS18_S19_EUlS18_E_NS1_11comp_targetILNS1_3genE5ELNS1_11target_archE942ELNS1_3gpuE9ELNS1_3repE0EEENS1_30default_config_static_selectorELNS0_4arch9wavefront6targetE0EEEvT1_,"axG",@progbits,_ZN7rocprim17ROCPRIM_400000_NS6detail17trampoline_kernelINS0_14default_configENS1_25partition_config_selectorILNS1_17partition_subalgoE5EdNS0_10empty_typeEbEEZZNS1_14partition_implILS5_5ELb0ES3_mN6thrust23THRUST_200600_302600_NS6detail15normal_iteratorINSA_10device_ptrIdEEEEPS6_NSA_18transform_iteratorINSB_9not_fun_tI7is_trueIdEEENSC_INSD_IbEEEENSA_11use_defaultESO_EENS0_5tupleIJSF_S6_EEENSQ_IJSG_SG_EEES6_PlJS6_EEE10hipError_tPvRmT3_T4_T5_T6_T7_T9_mT8_P12ihipStream_tbDpT10_ENKUlT_T0_E_clISt17integral_constantIbLb0EES1C_IbLb1EEEEDaS18_S19_EUlS18_E_NS1_11comp_targetILNS1_3genE5ELNS1_11target_archE942ELNS1_3gpuE9ELNS1_3repE0EEENS1_30default_config_static_selectorELNS0_4arch9wavefront6targetE0EEEvT1_,comdat
	.protected	_ZN7rocprim17ROCPRIM_400000_NS6detail17trampoline_kernelINS0_14default_configENS1_25partition_config_selectorILNS1_17partition_subalgoE5EdNS0_10empty_typeEbEEZZNS1_14partition_implILS5_5ELb0ES3_mN6thrust23THRUST_200600_302600_NS6detail15normal_iteratorINSA_10device_ptrIdEEEEPS6_NSA_18transform_iteratorINSB_9not_fun_tI7is_trueIdEEENSC_INSD_IbEEEENSA_11use_defaultESO_EENS0_5tupleIJSF_S6_EEENSQ_IJSG_SG_EEES6_PlJS6_EEE10hipError_tPvRmT3_T4_T5_T6_T7_T9_mT8_P12ihipStream_tbDpT10_ENKUlT_T0_E_clISt17integral_constantIbLb0EES1C_IbLb1EEEEDaS18_S19_EUlS18_E_NS1_11comp_targetILNS1_3genE5ELNS1_11target_archE942ELNS1_3gpuE9ELNS1_3repE0EEENS1_30default_config_static_selectorELNS0_4arch9wavefront6targetE0EEEvT1_ ; -- Begin function _ZN7rocprim17ROCPRIM_400000_NS6detail17trampoline_kernelINS0_14default_configENS1_25partition_config_selectorILNS1_17partition_subalgoE5EdNS0_10empty_typeEbEEZZNS1_14partition_implILS5_5ELb0ES3_mN6thrust23THRUST_200600_302600_NS6detail15normal_iteratorINSA_10device_ptrIdEEEEPS6_NSA_18transform_iteratorINSB_9not_fun_tI7is_trueIdEEENSC_INSD_IbEEEENSA_11use_defaultESO_EENS0_5tupleIJSF_S6_EEENSQ_IJSG_SG_EEES6_PlJS6_EEE10hipError_tPvRmT3_T4_T5_T6_T7_T9_mT8_P12ihipStream_tbDpT10_ENKUlT_T0_E_clISt17integral_constantIbLb0EES1C_IbLb1EEEEDaS18_S19_EUlS18_E_NS1_11comp_targetILNS1_3genE5ELNS1_11target_archE942ELNS1_3gpuE9ELNS1_3repE0EEENS1_30default_config_static_selectorELNS0_4arch9wavefront6targetE0EEEvT1_
	.globl	_ZN7rocprim17ROCPRIM_400000_NS6detail17trampoline_kernelINS0_14default_configENS1_25partition_config_selectorILNS1_17partition_subalgoE5EdNS0_10empty_typeEbEEZZNS1_14partition_implILS5_5ELb0ES3_mN6thrust23THRUST_200600_302600_NS6detail15normal_iteratorINSA_10device_ptrIdEEEEPS6_NSA_18transform_iteratorINSB_9not_fun_tI7is_trueIdEEENSC_INSD_IbEEEENSA_11use_defaultESO_EENS0_5tupleIJSF_S6_EEENSQ_IJSG_SG_EEES6_PlJS6_EEE10hipError_tPvRmT3_T4_T5_T6_T7_T9_mT8_P12ihipStream_tbDpT10_ENKUlT_T0_E_clISt17integral_constantIbLb0EES1C_IbLb1EEEEDaS18_S19_EUlS18_E_NS1_11comp_targetILNS1_3genE5ELNS1_11target_archE942ELNS1_3gpuE9ELNS1_3repE0EEENS1_30default_config_static_selectorELNS0_4arch9wavefront6targetE0EEEvT1_
	.p2align	8
	.type	_ZN7rocprim17ROCPRIM_400000_NS6detail17trampoline_kernelINS0_14default_configENS1_25partition_config_selectorILNS1_17partition_subalgoE5EdNS0_10empty_typeEbEEZZNS1_14partition_implILS5_5ELb0ES3_mN6thrust23THRUST_200600_302600_NS6detail15normal_iteratorINSA_10device_ptrIdEEEEPS6_NSA_18transform_iteratorINSB_9not_fun_tI7is_trueIdEEENSC_INSD_IbEEEENSA_11use_defaultESO_EENS0_5tupleIJSF_S6_EEENSQ_IJSG_SG_EEES6_PlJS6_EEE10hipError_tPvRmT3_T4_T5_T6_T7_T9_mT8_P12ihipStream_tbDpT10_ENKUlT_T0_E_clISt17integral_constantIbLb0EES1C_IbLb1EEEEDaS18_S19_EUlS18_E_NS1_11comp_targetILNS1_3genE5ELNS1_11target_archE942ELNS1_3gpuE9ELNS1_3repE0EEENS1_30default_config_static_selectorELNS0_4arch9wavefront6targetE0EEEvT1_,@function
_ZN7rocprim17ROCPRIM_400000_NS6detail17trampoline_kernelINS0_14default_configENS1_25partition_config_selectorILNS1_17partition_subalgoE5EdNS0_10empty_typeEbEEZZNS1_14partition_implILS5_5ELb0ES3_mN6thrust23THRUST_200600_302600_NS6detail15normal_iteratorINSA_10device_ptrIdEEEEPS6_NSA_18transform_iteratorINSB_9not_fun_tI7is_trueIdEEENSC_INSD_IbEEEENSA_11use_defaultESO_EENS0_5tupleIJSF_S6_EEENSQ_IJSG_SG_EEES6_PlJS6_EEE10hipError_tPvRmT3_T4_T5_T6_T7_T9_mT8_P12ihipStream_tbDpT10_ENKUlT_T0_E_clISt17integral_constantIbLb0EES1C_IbLb1EEEEDaS18_S19_EUlS18_E_NS1_11comp_targetILNS1_3genE5ELNS1_11target_archE942ELNS1_3gpuE9ELNS1_3repE0EEENS1_30default_config_static_selectorELNS0_4arch9wavefront6targetE0EEEvT1_: ; @_ZN7rocprim17ROCPRIM_400000_NS6detail17trampoline_kernelINS0_14default_configENS1_25partition_config_selectorILNS1_17partition_subalgoE5EdNS0_10empty_typeEbEEZZNS1_14partition_implILS5_5ELb0ES3_mN6thrust23THRUST_200600_302600_NS6detail15normal_iteratorINSA_10device_ptrIdEEEEPS6_NSA_18transform_iteratorINSB_9not_fun_tI7is_trueIdEEENSC_INSD_IbEEEENSA_11use_defaultESO_EENS0_5tupleIJSF_S6_EEENSQ_IJSG_SG_EEES6_PlJS6_EEE10hipError_tPvRmT3_T4_T5_T6_T7_T9_mT8_P12ihipStream_tbDpT10_ENKUlT_T0_E_clISt17integral_constantIbLb0EES1C_IbLb1EEEEDaS18_S19_EUlS18_E_NS1_11comp_targetILNS1_3genE5ELNS1_11target_archE942ELNS1_3gpuE9ELNS1_3repE0EEENS1_30default_config_static_selectorELNS0_4arch9wavefront6targetE0EEEvT1_
; %bb.0:
	.section	.rodata,"a",@progbits
	.p2align	6, 0x0
	.amdhsa_kernel _ZN7rocprim17ROCPRIM_400000_NS6detail17trampoline_kernelINS0_14default_configENS1_25partition_config_selectorILNS1_17partition_subalgoE5EdNS0_10empty_typeEbEEZZNS1_14partition_implILS5_5ELb0ES3_mN6thrust23THRUST_200600_302600_NS6detail15normal_iteratorINSA_10device_ptrIdEEEEPS6_NSA_18transform_iteratorINSB_9not_fun_tI7is_trueIdEEENSC_INSD_IbEEEENSA_11use_defaultESO_EENS0_5tupleIJSF_S6_EEENSQ_IJSG_SG_EEES6_PlJS6_EEE10hipError_tPvRmT3_T4_T5_T6_T7_T9_mT8_P12ihipStream_tbDpT10_ENKUlT_T0_E_clISt17integral_constantIbLb0EES1C_IbLb1EEEEDaS18_S19_EUlS18_E_NS1_11comp_targetILNS1_3genE5ELNS1_11target_archE942ELNS1_3gpuE9ELNS1_3repE0EEENS1_30default_config_static_selectorELNS0_4arch9wavefront6targetE0EEEvT1_
		.amdhsa_group_segment_fixed_size 0
		.amdhsa_private_segment_fixed_size 0
		.amdhsa_kernarg_size 136
		.amdhsa_user_sgpr_count 2
		.amdhsa_user_sgpr_dispatch_ptr 0
		.amdhsa_user_sgpr_queue_ptr 0
		.amdhsa_user_sgpr_kernarg_segment_ptr 1
		.amdhsa_user_sgpr_dispatch_id 0
		.amdhsa_user_sgpr_private_segment_size 0
		.amdhsa_wavefront_size32 1
		.amdhsa_uses_dynamic_stack 0
		.amdhsa_enable_private_segment 0
		.amdhsa_system_sgpr_workgroup_id_x 1
		.amdhsa_system_sgpr_workgroup_id_y 0
		.amdhsa_system_sgpr_workgroup_id_z 0
		.amdhsa_system_sgpr_workgroup_info 0
		.amdhsa_system_vgpr_workitem_id 0
		.amdhsa_next_free_vgpr 1
		.amdhsa_next_free_sgpr 1
		.amdhsa_reserve_vcc 0
		.amdhsa_float_round_mode_32 0
		.amdhsa_float_round_mode_16_64 0
		.amdhsa_float_denorm_mode_32 3
		.amdhsa_float_denorm_mode_16_64 3
		.amdhsa_fp16_overflow 0
		.amdhsa_workgroup_processor_mode 1
		.amdhsa_memory_ordered 1
		.amdhsa_forward_progress 1
		.amdhsa_inst_pref_size 0
		.amdhsa_round_robin_scheduling 0
		.amdhsa_exception_fp_ieee_invalid_op 0
		.amdhsa_exception_fp_denorm_src 0
		.amdhsa_exception_fp_ieee_div_zero 0
		.amdhsa_exception_fp_ieee_overflow 0
		.amdhsa_exception_fp_ieee_underflow 0
		.amdhsa_exception_fp_ieee_inexact 0
		.amdhsa_exception_int_div_zero 0
	.end_amdhsa_kernel
	.section	.text._ZN7rocprim17ROCPRIM_400000_NS6detail17trampoline_kernelINS0_14default_configENS1_25partition_config_selectorILNS1_17partition_subalgoE5EdNS0_10empty_typeEbEEZZNS1_14partition_implILS5_5ELb0ES3_mN6thrust23THRUST_200600_302600_NS6detail15normal_iteratorINSA_10device_ptrIdEEEEPS6_NSA_18transform_iteratorINSB_9not_fun_tI7is_trueIdEEENSC_INSD_IbEEEENSA_11use_defaultESO_EENS0_5tupleIJSF_S6_EEENSQ_IJSG_SG_EEES6_PlJS6_EEE10hipError_tPvRmT3_T4_T5_T6_T7_T9_mT8_P12ihipStream_tbDpT10_ENKUlT_T0_E_clISt17integral_constantIbLb0EES1C_IbLb1EEEEDaS18_S19_EUlS18_E_NS1_11comp_targetILNS1_3genE5ELNS1_11target_archE942ELNS1_3gpuE9ELNS1_3repE0EEENS1_30default_config_static_selectorELNS0_4arch9wavefront6targetE0EEEvT1_,"axG",@progbits,_ZN7rocprim17ROCPRIM_400000_NS6detail17trampoline_kernelINS0_14default_configENS1_25partition_config_selectorILNS1_17partition_subalgoE5EdNS0_10empty_typeEbEEZZNS1_14partition_implILS5_5ELb0ES3_mN6thrust23THRUST_200600_302600_NS6detail15normal_iteratorINSA_10device_ptrIdEEEEPS6_NSA_18transform_iteratorINSB_9not_fun_tI7is_trueIdEEENSC_INSD_IbEEEENSA_11use_defaultESO_EENS0_5tupleIJSF_S6_EEENSQ_IJSG_SG_EEES6_PlJS6_EEE10hipError_tPvRmT3_T4_T5_T6_T7_T9_mT8_P12ihipStream_tbDpT10_ENKUlT_T0_E_clISt17integral_constantIbLb0EES1C_IbLb1EEEEDaS18_S19_EUlS18_E_NS1_11comp_targetILNS1_3genE5ELNS1_11target_archE942ELNS1_3gpuE9ELNS1_3repE0EEENS1_30default_config_static_selectorELNS0_4arch9wavefront6targetE0EEEvT1_,comdat
.Lfunc_end2358:
	.size	_ZN7rocprim17ROCPRIM_400000_NS6detail17trampoline_kernelINS0_14default_configENS1_25partition_config_selectorILNS1_17partition_subalgoE5EdNS0_10empty_typeEbEEZZNS1_14partition_implILS5_5ELb0ES3_mN6thrust23THRUST_200600_302600_NS6detail15normal_iteratorINSA_10device_ptrIdEEEEPS6_NSA_18transform_iteratorINSB_9not_fun_tI7is_trueIdEEENSC_INSD_IbEEEENSA_11use_defaultESO_EENS0_5tupleIJSF_S6_EEENSQ_IJSG_SG_EEES6_PlJS6_EEE10hipError_tPvRmT3_T4_T5_T6_T7_T9_mT8_P12ihipStream_tbDpT10_ENKUlT_T0_E_clISt17integral_constantIbLb0EES1C_IbLb1EEEEDaS18_S19_EUlS18_E_NS1_11comp_targetILNS1_3genE5ELNS1_11target_archE942ELNS1_3gpuE9ELNS1_3repE0EEENS1_30default_config_static_selectorELNS0_4arch9wavefront6targetE0EEEvT1_, .Lfunc_end2358-_ZN7rocprim17ROCPRIM_400000_NS6detail17trampoline_kernelINS0_14default_configENS1_25partition_config_selectorILNS1_17partition_subalgoE5EdNS0_10empty_typeEbEEZZNS1_14partition_implILS5_5ELb0ES3_mN6thrust23THRUST_200600_302600_NS6detail15normal_iteratorINSA_10device_ptrIdEEEEPS6_NSA_18transform_iteratorINSB_9not_fun_tI7is_trueIdEEENSC_INSD_IbEEEENSA_11use_defaultESO_EENS0_5tupleIJSF_S6_EEENSQ_IJSG_SG_EEES6_PlJS6_EEE10hipError_tPvRmT3_T4_T5_T6_T7_T9_mT8_P12ihipStream_tbDpT10_ENKUlT_T0_E_clISt17integral_constantIbLb0EES1C_IbLb1EEEEDaS18_S19_EUlS18_E_NS1_11comp_targetILNS1_3genE5ELNS1_11target_archE942ELNS1_3gpuE9ELNS1_3repE0EEENS1_30default_config_static_selectorELNS0_4arch9wavefront6targetE0EEEvT1_
                                        ; -- End function
	.set _ZN7rocprim17ROCPRIM_400000_NS6detail17trampoline_kernelINS0_14default_configENS1_25partition_config_selectorILNS1_17partition_subalgoE5EdNS0_10empty_typeEbEEZZNS1_14partition_implILS5_5ELb0ES3_mN6thrust23THRUST_200600_302600_NS6detail15normal_iteratorINSA_10device_ptrIdEEEEPS6_NSA_18transform_iteratorINSB_9not_fun_tI7is_trueIdEEENSC_INSD_IbEEEENSA_11use_defaultESO_EENS0_5tupleIJSF_S6_EEENSQ_IJSG_SG_EEES6_PlJS6_EEE10hipError_tPvRmT3_T4_T5_T6_T7_T9_mT8_P12ihipStream_tbDpT10_ENKUlT_T0_E_clISt17integral_constantIbLb0EES1C_IbLb1EEEEDaS18_S19_EUlS18_E_NS1_11comp_targetILNS1_3genE5ELNS1_11target_archE942ELNS1_3gpuE9ELNS1_3repE0EEENS1_30default_config_static_selectorELNS0_4arch9wavefront6targetE0EEEvT1_.num_vgpr, 0
	.set _ZN7rocprim17ROCPRIM_400000_NS6detail17trampoline_kernelINS0_14default_configENS1_25partition_config_selectorILNS1_17partition_subalgoE5EdNS0_10empty_typeEbEEZZNS1_14partition_implILS5_5ELb0ES3_mN6thrust23THRUST_200600_302600_NS6detail15normal_iteratorINSA_10device_ptrIdEEEEPS6_NSA_18transform_iteratorINSB_9not_fun_tI7is_trueIdEEENSC_INSD_IbEEEENSA_11use_defaultESO_EENS0_5tupleIJSF_S6_EEENSQ_IJSG_SG_EEES6_PlJS6_EEE10hipError_tPvRmT3_T4_T5_T6_T7_T9_mT8_P12ihipStream_tbDpT10_ENKUlT_T0_E_clISt17integral_constantIbLb0EES1C_IbLb1EEEEDaS18_S19_EUlS18_E_NS1_11comp_targetILNS1_3genE5ELNS1_11target_archE942ELNS1_3gpuE9ELNS1_3repE0EEENS1_30default_config_static_selectorELNS0_4arch9wavefront6targetE0EEEvT1_.num_agpr, 0
	.set _ZN7rocprim17ROCPRIM_400000_NS6detail17trampoline_kernelINS0_14default_configENS1_25partition_config_selectorILNS1_17partition_subalgoE5EdNS0_10empty_typeEbEEZZNS1_14partition_implILS5_5ELb0ES3_mN6thrust23THRUST_200600_302600_NS6detail15normal_iteratorINSA_10device_ptrIdEEEEPS6_NSA_18transform_iteratorINSB_9not_fun_tI7is_trueIdEEENSC_INSD_IbEEEENSA_11use_defaultESO_EENS0_5tupleIJSF_S6_EEENSQ_IJSG_SG_EEES6_PlJS6_EEE10hipError_tPvRmT3_T4_T5_T6_T7_T9_mT8_P12ihipStream_tbDpT10_ENKUlT_T0_E_clISt17integral_constantIbLb0EES1C_IbLb1EEEEDaS18_S19_EUlS18_E_NS1_11comp_targetILNS1_3genE5ELNS1_11target_archE942ELNS1_3gpuE9ELNS1_3repE0EEENS1_30default_config_static_selectorELNS0_4arch9wavefront6targetE0EEEvT1_.numbered_sgpr, 0
	.set _ZN7rocprim17ROCPRIM_400000_NS6detail17trampoline_kernelINS0_14default_configENS1_25partition_config_selectorILNS1_17partition_subalgoE5EdNS0_10empty_typeEbEEZZNS1_14partition_implILS5_5ELb0ES3_mN6thrust23THRUST_200600_302600_NS6detail15normal_iteratorINSA_10device_ptrIdEEEEPS6_NSA_18transform_iteratorINSB_9not_fun_tI7is_trueIdEEENSC_INSD_IbEEEENSA_11use_defaultESO_EENS0_5tupleIJSF_S6_EEENSQ_IJSG_SG_EEES6_PlJS6_EEE10hipError_tPvRmT3_T4_T5_T6_T7_T9_mT8_P12ihipStream_tbDpT10_ENKUlT_T0_E_clISt17integral_constantIbLb0EES1C_IbLb1EEEEDaS18_S19_EUlS18_E_NS1_11comp_targetILNS1_3genE5ELNS1_11target_archE942ELNS1_3gpuE9ELNS1_3repE0EEENS1_30default_config_static_selectorELNS0_4arch9wavefront6targetE0EEEvT1_.num_named_barrier, 0
	.set _ZN7rocprim17ROCPRIM_400000_NS6detail17trampoline_kernelINS0_14default_configENS1_25partition_config_selectorILNS1_17partition_subalgoE5EdNS0_10empty_typeEbEEZZNS1_14partition_implILS5_5ELb0ES3_mN6thrust23THRUST_200600_302600_NS6detail15normal_iteratorINSA_10device_ptrIdEEEEPS6_NSA_18transform_iteratorINSB_9not_fun_tI7is_trueIdEEENSC_INSD_IbEEEENSA_11use_defaultESO_EENS0_5tupleIJSF_S6_EEENSQ_IJSG_SG_EEES6_PlJS6_EEE10hipError_tPvRmT3_T4_T5_T6_T7_T9_mT8_P12ihipStream_tbDpT10_ENKUlT_T0_E_clISt17integral_constantIbLb0EES1C_IbLb1EEEEDaS18_S19_EUlS18_E_NS1_11comp_targetILNS1_3genE5ELNS1_11target_archE942ELNS1_3gpuE9ELNS1_3repE0EEENS1_30default_config_static_selectorELNS0_4arch9wavefront6targetE0EEEvT1_.private_seg_size, 0
	.set _ZN7rocprim17ROCPRIM_400000_NS6detail17trampoline_kernelINS0_14default_configENS1_25partition_config_selectorILNS1_17partition_subalgoE5EdNS0_10empty_typeEbEEZZNS1_14partition_implILS5_5ELb0ES3_mN6thrust23THRUST_200600_302600_NS6detail15normal_iteratorINSA_10device_ptrIdEEEEPS6_NSA_18transform_iteratorINSB_9not_fun_tI7is_trueIdEEENSC_INSD_IbEEEENSA_11use_defaultESO_EENS0_5tupleIJSF_S6_EEENSQ_IJSG_SG_EEES6_PlJS6_EEE10hipError_tPvRmT3_T4_T5_T6_T7_T9_mT8_P12ihipStream_tbDpT10_ENKUlT_T0_E_clISt17integral_constantIbLb0EES1C_IbLb1EEEEDaS18_S19_EUlS18_E_NS1_11comp_targetILNS1_3genE5ELNS1_11target_archE942ELNS1_3gpuE9ELNS1_3repE0EEENS1_30default_config_static_selectorELNS0_4arch9wavefront6targetE0EEEvT1_.uses_vcc, 0
	.set _ZN7rocprim17ROCPRIM_400000_NS6detail17trampoline_kernelINS0_14default_configENS1_25partition_config_selectorILNS1_17partition_subalgoE5EdNS0_10empty_typeEbEEZZNS1_14partition_implILS5_5ELb0ES3_mN6thrust23THRUST_200600_302600_NS6detail15normal_iteratorINSA_10device_ptrIdEEEEPS6_NSA_18transform_iteratorINSB_9not_fun_tI7is_trueIdEEENSC_INSD_IbEEEENSA_11use_defaultESO_EENS0_5tupleIJSF_S6_EEENSQ_IJSG_SG_EEES6_PlJS6_EEE10hipError_tPvRmT3_T4_T5_T6_T7_T9_mT8_P12ihipStream_tbDpT10_ENKUlT_T0_E_clISt17integral_constantIbLb0EES1C_IbLb1EEEEDaS18_S19_EUlS18_E_NS1_11comp_targetILNS1_3genE5ELNS1_11target_archE942ELNS1_3gpuE9ELNS1_3repE0EEENS1_30default_config_static_selectorELNS0_4arch9wavefront6targetE0EEEvT1_.uses_flat_scratch, 0
	.set _ZN7rocprim17ROCPRIM_400000_NS6detail17trampoline_kernelINS0_14default_configENS1_25partition_config_selectorILNS1_17partition_subalgoE5EdNS0_10empty_typeEbEEZZNS1_14partition_implILS5_5ELb0ES3_mN6thrust23THRUST_200600_302600_NS6detail15normal_iteratorINSA_10device_ptrIdEEEEPS6_NSA_18transform_iteratorINSB_9not_fun_tI7is_trueIdEEENSC_INSD_IbEEEENSA_11use_defaultESO_EENS0_5tupleIJSF_S6_EEENSQ_IJSG_SG_EEES6_PlJS6_EEE10hipError_tPvRmT3_T4_T5_T6_T7_T9_mT8_P12ihipStream_tbDpT10_ENKUlT_T0_E_clISt17integral_constantIbLb0EES1C_IbLb1EEEEDaS18_S19_EUlS18_E_NS1_11comp_targetILNS1_3genE5ELNS1_11target_archE942ELNS1_3gpuE9ELNS1_3repE0EEENS1_30default_config_static_selectorELNS0_4arch9wavefront6targetE0EEEvT1_.has_dyn_sized_stack, 0
	.set _ZN7rocprim17ROCPRIM_400000_NS6detail17trampoline_kernelINS0_14default_configENS1_25partition_config_selectorILNS1_17partition_subalgoE5EdNS0_10empty_typeEbEEZZNS1_14partition_implILS5_5ELb0ES3_mN6thrust23THRUST_200600_302600_NS6detail15normal_iteratorINSA_10device_ptrIdEEEEPS6_NSA_18transform_iteratorINSB_9not_fun_tI7is_trueIdEEENSC_INSD_IbEEEENSA_11use_defaultESO_EENS0_5tupleIJSF_S6_EEENSQ_IJSG_SG_EEES6_PlJS6_EEE10hipError_tPvRmT3_T4_T5_T6_T7_T9_mT8_P12ihipStream_tbDpT10_ENKUlT_T0_E_clISt17integral_constantIbLb0EES1C_IbLb1EEEEDaS18_S19_EUlS18_E_NS1_11comp_targetILNS1_3genE5ELNS1_11target_archE942ELNS1_3gpuE9ELNS1_3repE0EEENS1_30default_config_static_selectorELNS0_4arch9wavefront6targetE0EEEvT1_.has_recursion, 0
	.set _ZN7rocprim17ROCPRIM_400000_NS6detail17trampoline_kernelINS0_14default_configENS1_25partition_config_selectorILNS1_17partition_subalgoE5EdNS0_10empty_typeEbEEZZNS1_14partition_implILS5_5ELb0ES3_mN6thrust23THRUST_200600_302600_NS6detail15normal_iteratorINSA_10device_ptrIdEEEEPS6_NSA_18transform_iteratorINSB_9not_fun_tI7is_trueIdEEENSC_INSD_IbEEEENSA_11use_defaultESO_EENS0_5tupleIJSF_S6_EEENSQ_IJSG_SG_EEES6_PlJS6_EEE10hipError_tPvRmT3_T4_T5_T6_T7_T9_mT8_P12ihipStream_tbDpT10_ENKUlT_T0_E_clISt17integral_constantIbLb0EES1C_IbLb1EEEEDaS18_S19_EUlS18_E_NS1_11comp_targetILNS1_3genE5ELNS1_11target_archE942ELNS1_3gpuE9ELNS1_3repE0EEENS1_30default_config_static_selectorELNS0_4arch9wavefront6targetE0EEEvT1_.has_indirect_call, 0
	.section	.AMDGPU.csdata,"",@progbits
; Kernel info:
; codeLenInByte = 0
; TotalNumSgprs: 0
; NumVgprs: 0
; ScratchSize: 0
; MemoryBound: 0
; FloatMode: 240
; IeeeMode: 1
; LDSByteSize: 0 bytes/workgroup (compile time only)
; SGPRBlocks: 0
; VGPRBlocks: 0
; NumSGPRsForWavesPerEU: 1
; NumVGPRsForWavesPerEU: 1
; Occupancy: 16
; WaveLimiterHint : 0
; COMPUTE_PGM_RSRC2:SCRATCH_EN: 0
; COMPUTE_PGM_RSRC2:USER_SGPR: 2
; COMPUTE_PGM_RSRC2:TRAP_HANDLER: 0
; COMPUTE_PGM_RSRC2:TGID_X_EN: 1
; COMPUTE_PGM_RSRC2:TGID_Y_EN: 0
; COMPUTE_PGM_RSRC2:TGID_Z_EN: 0
; COMPUTE_PGM_RSRC2:TIDIG_COMP_CNT: 0
	.section	.text._ZN7rocprim17ROCPRIM_400000_NS6detail17trampoline_kernelINS0_14default_configENS1_25partition_config_selectorILNS1_17partition_subalgoE5EdNS0_10empty_typeEbEEZZNS1_14partition_implILS5_5ELb0ES3_mN6thrust23THRUST_200600_302600_NS6detail15normal_iteratorINSA_10device_ptrIdEEEEPS6_NSA_18transform_iteratorINSB_9not_fun_tI7is_trueIdEEENSC_INSD_IbEEEENSA_11use_defaultESO_EENS0_5tupleIJSF_S6_EEENSQ_IJSG_SG_EEES6_PlJS6_EEE10hipError_tPvRmT3_T4_T5_T6_T7_T9_mT8_P12ihipStream_tbDpT10_ENKUlT_T0_E_clISt17integral_constantIbLb0EES1C_IbLb1EEEEDaS18_S19_EUlS18_E_NS1_11comp_targetILNS1_3genE4ELNS1_11target_archE910ELNS1_3gpuE8ELNS1_3repE0EEENS1_30default_config_static_selectorELNS0_4arch9wavefront6targetE0EEEvT1_,"axG",@progbits,_ZN7rocprim17ROCPRIM_400000_NS6detail17trampoline_kernelINS0_14default_configENS1_25partition_config_selectorILNS1_17partition_subalgoE5EdNS0_10empty_typeEbEEZZNS1_14partition_implILS5_5ELb0ES3_mN6thrust23THRUST_200600_302600_NS6detail15normal_iteratorINSA_10device_ptrIdEEEEPS6_NSA_18transform_iteratorINSB_9not_fun_tI7is_trueIdEEENSC_INSD_IbEEEENSA_11use_defaultESO_EENS0_5tupleIJSF_S6_EEENSQ_IJSG_SG_EEES6_PlJS6_EEE10hipError_tPvRmT3_T4_T5_T6_T7_T9_mT8_P12ihipStream_tbDpT10_ENKUlT_T0_E_clISt17integral_constantIbLb0EES1C_IbLb1EEEEDaS18_S19_EUlS18_E_NS1_11comp_targetILNS1_3genE4ELNS1_11target_archE910ELNS1_3gpuE8ELNS1_3repE0EEENS1_30default_config_static_selectorELNS0_4arch9wavefront6targetE0EEEvT1_,comdat
	.protected	_ZN7rocprim17ROCPRIM_400000_NS6detail17trampoline_kernelINS0_14default_configENS1_25partition_config_selectorILNS1_17partition_subalgoE5EdNS0_10empty_typeEbEEZZNS1_14partition_implILS5_5ELb0ES3_mN6thrust23THRUST_200600_302600_NS6detail15normal_iteratorINSA_10device_ptrIdEEEEPS6_NSA_18transform_iteratorINSB_9not_fun_tI7is_trueIdEEENSC_INSD_IbEEEENSA_11use_defaultESO_EENS0_5tupleIJSF_S6_EEENSQ_IJSG_SG_EEES6_PlJS6_EEE10hipError_tPvRmT3_T4_T5_T6_T7_T9_mT8_P12ihipStream_tbDpT10_ENKUlT_T0_E_clISt17integral_constantIbLb0EES1C_IbLb1EEEEDaS18_S19_EUlS18_E_NS1_11comp_targetILNS1_3genE4ELNS1_11target_archE910ELNS1_3gpuE8ELNS1_3repE0EEENS1_30default_config_static_selectorELNS0_4arch9wavefront6targetE0EEEvT1_ ; -- Begin function _ZN7rocprim17ROCPRIM_400000_NS6detail17trampoline_kernelINS0_14default_configENS1_25partition_config_selectorILNS1_17partition_subalgoE5EdNS0_10empty_typeEbEEZZNS1_14partition_implILS5_5ELb0ES3_mN6thrust23THRUST_200600_302600_NS6detail15normal_iteratorINSA_10device_ptrIdEEEEPS6_NSA_18transform_iteratorINSB_9not_fun_tI7is_trueIdEEENSC_INSD_IbEEEENSA_11use_defaultESO_EENS0_5tupleIJSF_S6_EEENSQ_IJSG_SG_EEES6_PlJS6_EEE10hipError_tPvRmT3_T4_T5_T6_T7_T9_mT8_P12ihipStream_tbDpT10_ENKUlT_T0_E_clISt17integral_constantIbLb0EES1C_IbLb1EEEEDaS18_S19_EUlS18_E_NS1_11comp_targetILNS1_3genE4ELNS1_11target_archE910ELNS1_3gpuE8ELNS1_3repE0EEENS1_30default_config_static_selectorELNS0_4arch9wavefront6targetE0EEEvT1_
	.globl	_ZN7rocprim17ROCPRIM_400000_NS6detail17trampoline_kernelINS0_14default_configENS1_25partition_config_selectorILNS1_17partition_subalgoE5EdNS0_10empty_typeEbEEZZNS1_14partition_implILS5_5ELb0ES3_mN6thrust23THRUST_200600_302600_NS6detail15normal_iteratorINSA_10device_ptrIdEEEEPS6_NSA_18transform_iteratorINSB_9not_fun_tI7is_trueIdEEENSC_INSD_IbEEEENSA_11use_defaultESO_EENS0_5tupleIJSF_S6_EEENSQ_IJSG_SG_EEES6_PlJS6_EEE10hipError_tPvRmT3_T4_T5_T6_T7_T9_mT8_P12ihipStream_tbDpT10_ENKUlT_T0_E_clISt17integral_constantIbLb0EES1C_IbLb1EEEEDaS18_S19_EUlS18_E_NS1_11comp_targetILNS1_3genE4ELNS1_11target_archE910ELNS1_3gpuE8ELNS1_3repE0EEENS1_30default_config_static_selectorELNS0_4arch9wavefront6targetE0EEEvT1_
	.p2align	8
	.type	_ZN7rocprim17ROCPRIM_400000_NS6detail17trampoline_kernelINS0_14default_configENS1_25partition_config_selectorILNS1_17partition_subalgoE5EdNS0_10empty_typeEbEEZZNS1_14partition_implILS5_5ELb0ES3_mN6thrust23THRUST_200600_302600_NS6detail15normal_iteratorINSA_10device_ptrIdEEEEPS6_NSA_18transform_iteratorINSB_9not_fun_tI7is_trueIdEEENSC_INSD_IbEEEENSA_11use_defaultESO_EENS0_5tupleIJSF_S6_EEENSQ_IJSG_SG_EEES6_PlJS6_EEE10hipError_tPvRmT3_T4_T5_T6_T7_T9_mT8_P12ihipStream_tbDpT10_ENKUlT_T0_E_clISt17integral_constantIbLb0EES1C_IbLb1EEEEDaS18_S19_EUlS18_E_NS1_11comp_targetILNS1_3genE4ELNS1_11target_archE910ELNS1_3gpuE8ELNS1_3repE0EEENS1_30default_config_static_selectorELNS0_4arch9wavefront6targetE0EEEvT1_,@function
_ZN7rocprim17ROCPRIM_400000_NS6detail17trampoline_kernelINS0_14default_configENS1_25partition_config_selectorILNS1_17partition_subalgoE5EdNS0_10empty_typeEbEEZZNS1_14partition_implILS5_5ELb0ES3_mN6thrust23THRUST_200600_302600_NS6detail15normal_iteratorINSA_10device_ptrIdEEEEPS6_NSA_18transform_iteratorINSB_9not_fun_tI7is_trueIdEEENSC_INSD_IbEEEENSA_11use_defaultESO_EENS0_5tupleIJSF_S6_EEENSQ_IJSG_SG_EEES6_PlJS6_EEE10hipError_tPvRmT3_T4_T5_T6_T7_T9_mT8_P12ihipStream_tbDpT10_ENKUlT_T0_E_clISt17integral_constantIbLb0EES1C_IbLb1EEEEDaS18_S19_EUlS18_E_NS1_11comp_targetILNS1_3genE4ELNS1_11target_archE910ELNS1_3gpuE8ELNS1_3repE0EEENS1_30default_config_static_selectorELNS0_4arch9wavefront6targetE0EEEvT1_: ; @_ZN7rocprim17ROCPRIM_400000_NS6detail17trampoline_kernelINS0_14default_configENS1_25partition_config_selectorILNS1_17partition_subalgoE5EdNS0_10empty_typeEbEEZZNS1_14partition_implILS5_5ELb0ES3_mN6thrust23THRUST_200600_302600_NS6detail15normal_iteratorINSA_10device_ptrIdEEEEPS6_NSA_18transform_iteratorINSB_9not_fun_tI7is_trueIdEEENSC_INSD_IbEEEENSA_11use_defaultESO_EENS0_5tupleIJSF_S6_EEENSQ_IJSG_SG_EEES6_PlJS6_EEE10hipError_tPvRmT3_T4_T5_T6_T7_T9_mT8_P12ihipStream_tbDpT10_ENKUlT_T0_E_clISt17integral_constantIbLb0EES1C_IbLb1EEEEDaS18_S19_EUlS18_E_NS1_11comp_targetILNS1_3genE4ELNS1_11target_archE910ELNS1_3gpuE8ELNS1_3repE0EEENS1_30default_config_static_selectorELNS0_4arch9wavefront6targetE0EEEvT1_
; %bb.0:
	.section	.rodata,"a",@progbits
	.p2align	6, 0x0
	.amdhsa_kernel _ZN7rocprim17ROCPRIM_400000_NS6detail17trampoline_kernelINS0_14default_configENS1_25partition_config_selectorILNS1_17partition_subalgoE5EdNS0_10empty_typeEbEEZZNS1_14partition_implILS5_5ELb0ES3_mN6thrust23THRUST_200600_302600_NS6detail15normal_iteratorINSA_10device_ptrIdEEEEPS6_NSA_18transform_iteratorINSB_9not_fun_tI7is_trueIdEEENSC_INSD_IbEEEENSA_11use_defaultESO_EENS0_5tupleIJSF_S6_EEENSQ_IJSG_SG_EEES6_PlJS6_EEE10hipError_tPvRmT3_T4_T5_T6_T7_T9_mT8_P12ihipStream_tbDpT10_ENKUlT_T0_E_clISt17integral_constantIbLb0EES1C_IbLb1EEEEDaS18_S19_EUlS18_E_NS1_11comp_targetILNS1_3genE4ELNS1_11target_archE910ELNS1_3gpuE8ELNS1_3repE0EEENS1_30default_config_static_selectorELNS0_4arch9wavefront6targetE0EEEvT1_
		.amdhsa_group_segment_fixed_size 0
		.amdhsa_private_segment_fixed_size 0
		.amdhsa_kernarg_size 136
		.amdhsa_user_sgpr_count 2
		.amdhsa_user_sgpr_dispatch_ptr 0
		.amdhsa_user_sgpr_queue_ptr 0
		.amdhsa_user_sgpr_kernarg_segment_ptr 1
		.amdhsa_user_sgpr_dispatch_id 0
		.amdhsa_user_sgpr_private_segment_size 0
		.amdhsa_wavefront_size32 1
		.amdhsa_uses_dynamic_stack 0
		.amdhsa_enable_private_segment 0
		.amdhsa_system_sgpr_workgroup_id_x 1
		.amdhsa_system_sgpr_workgroup_id_y 0
		.amdhsa_system_sgpr_workgroup_id_z 0
		.amdhsa_system_sgpr_workgroup_info 0
		.amdhsa_system_vgpr_workitem_id 0
		.amdhsa_next_free_vgpr 1
		.amdhsa_next_free_sgpr 1
		.amdhsa_reserve_vcc 0
		.amdhsa_float_round_mode_32 0
		.amdhsa_float_round_mode_16_64 0
		.amdhsa_float_denorm_mode_32 3
		.amdhsa_float_denorm_mode_16_64 3
		.amdhsa_fp16_overflow 0
		.amdhsa_workgroup_processor_mode 1
		.amdhsa_memory_ordered 1
		.amdhsa_forward_progress 1
		.amdhsa_inst_pref_size 0
		.amdhsa_round_robin_scheduling 0
		.amdhsa_exception_fp_ieee_invalid_op 0
		.amdhsa_exception_fp_denorm_src 0
		.amdhsa_exception_fp_ieee_div_zero 0
		.amdhsa_exception_fp_ieee_overflow 0
		.amdhsa_exception_fp_ieee_underflow 0
		.amdhsa_exception_fp_ieee_inexact 0
		.amdhsa_exception_int_div_zero 0
	.end_amdhsa_kernel
	.section	.text._ZN7rocprim17ROCPRIM_400000_NS6detail17trampoline_kernelINS0_14default_configENS1_25partition_config_selectorILNS1_17partition_subalgoE5EdNS0_10empty_typeEbEEZZNS1_14partition_implILS5_5ELb0ES3_mN6thrust23THRUST_200600_302600_NS6detail15normal_iteratorINSA_10device_ptrIdEEEEPS6_NSA_18transform_iteratorINSB_9not_fun_tI7is_trueIdEEENSC_INSD_IbEEEENSA_11use_defaultESO_EENS0_5tupleIJSF_S6_EEENSQ_IJSG_SG_EEES6_PlJS6_EEE10hipError_tPvRmT3_T4_T5_T6_T7_T9_mT8_P12ihipStream_tbDpT10_ENKUlT_T0_E_clISt17integral_constantIbLb0EES1C_IbLb1EEEEDaS18_S19_EUlS18_E_NS1_11comp_targetILNS1_3genE4ELNS1_11target_archE910ELNS1_3gpuE8ELNS1_3repE0EEENS1_30default_config_static_selectorELNS0_4arch9wavefront6targetE0EEEvT1_,"axG",@progbits,_ZN7rocprim17ROCPRIM_400000_NS6detail17trampoline_kernelINS0_14default_configENS1_25partition_config_selectorILNS1_17partition_subalgoE5EdNS0_10empty_typeEbEEZZNS1_14partition_implILS5_5ELb0ES3_mN6thrust23THRUST_200600_302600_NS6detail15normal_iteratorINSA_10device_ptrIdEEEEPS6_NSA_18transform_iteratorINSB_9not_fun_tI7is_trueIdEEENSC_INSD_IbEEEENSA_11use_defaultESO_EENS0_5tupleIJSF_S6_EEENSQ_IJSG_SG_EEES6_PlJS6_EEE10hipError_tPvRmT3_T4_T5_T6_T7_T9_mT8_P12ihipStream_tbDpT10_ENKUlT_T0_E_clISt17integral_constantIbLb0EES1C_IbLb1EEEEDaS18_S19_EUlS18_E_NS1_11comp_targetILNS1_3genE4ELNS1_11target_archE910ELNS1_3gpuE8ELNS1_3repE0EEENS1_30default_config_static_selectorELNS0_4arch9wavefront6targetE0EEEvT1_,comdat
.Lfunc_end2359:
	.size	_ZN7rocprim17ROCPRIM_400000_NS6detail17trampoline_kernelINS0_14default_configENS1_25partition_config_selectorILNS1_17partition_subalgoE5EdNS0_10empty_typeEbEEZZNS1_14partition_implILS5_5ELb0ES3_mN6thrust23THRUST_200600_302600_NS6detail15normal_iteratorINSA_10device_ptrIdEEEEPS6_NSA_18transform_iteratorINSB_9not_fun_tI7is_trueIdEEENSC_INSD_IbEEEENSA_11use_defaultESO_EENS0_5tupleIJSF_S6_EEENSQ_IJSG_SG_EEES6_PlJS6_EEE10hipError_tPvRmT3_T4_T5_T6_T7_T9_mT8_P12ihipStream_tbDpT10_ENKUlT_T0_E_clISt17integral_constantIbLb0EES1C_IbLb1EEEEDaS18_S19_EUlS18_E_NS1_11comp_targetILNS1_3genE4ELNS1_11target_archE910ELNS1_3gpuE8ELNS1_3repE0EEENS1_30default_config_static_selectorELNS0_4arch9wavefront6targetE0EEEvT1_, .Lfunc_end2359-_ZN7rocprim17ROCPRIM_400000_NS6detail17trampoline_kernelINS0_14default_configENS1_25partition_config_selectorILNS1_17partition_subalgoE5EdNS0_10empty_typeEbEEZZNS1_14partition_implILS5_5ELb0ES3_mN6thrust23THRUST_200600_302600_NS6detail15normal_iteratorINSA_10device_ptrIdEEEEPS6_NSA_18transform_iteratorINSB_9not_fun_tI7is_trueIdEEENSC_INSD_IbEEEENSA_11use_defaultESO_EENS0_5tupleIJSF_S6_EEENSQ_IJSG_SG_EEES6_PlJS6_EEE10hipError_tPvRmT3_T4_T5_T6_T7_T9_mT8_P12ihipStream_tbDpT10_ENKUlT_T0_E_clISt17integral_constantIbLb0EES1C_IbLb1EEEEDaS18_S19_EUlS18_E_NS1_11comp_targetILNS1_3genE4ELNS1_11target_archE910ELNS1_3gpuE8ELNS1_3repE0EEENS1_30default_config_static_selectorELNS0_4arch9wavefront6targetE0EEEvT1_
                                        ; -- End function
	.set _ZN7rocprim17ROCPRIM_400000_NS6detail17trampoline_kernelINS0_14default_configENS1_25partition_config_selectorILNS1_17partition_subalgoE5EdNS0_10empty_typeEbEEZZNS1_14partition_implILS5_5ELb0ES3_mN6thrust23THRUST_200600_302600_NS6detail15normal_iteratorINSA_10device_ptrIdEEEEPS6_NSA_18transform_iteratorINSB_9not_fun_tI7is_trueIdEEENSC_INSD_IbEEEENSA_11use_defaultESO_EENS0_5tupleIJSF_S6_EEENSQ_IJSG_SG_EEES6_PlJS6_EEE10hipError_tPvRmT3_T4_T5_T6_T7_T9_mT8_P12ihipStream_tbDpT10_ENKUlT_T0_E_clISt17integral_constantIbLb0EES1C_IbLb1EEEEDaS18_S19_EUlS18_E_NS1_11comp_targetILNS1_3genE4ELNS1_11target_archE910ELNS1_3gpuE8ELNS1_3repE0EEENS1_30default_config_static_selectorELNS0_4arch9wavefront6targetE0EEEvT1_.num_vgpr, 0
	.set _ZN7rocprim17ROCPRIM_400000_NS6detail17trampoline_kernelINS0_14default_configENS1_25partition_config_selectorILNS1_17partition_subalgoE5EdNS0_10empty_typeEbEEZZNS1_14partition_implILS5_5ELb0ES3_mN6thrust23THRUST_200600_302600_NS6detail15normal_iteratorINSA_10device_ptrIdEEEEPS6_NSA_18transform_iteratorINSB_9not_fun_tI7is_trueIdEEENSC_INSD_IbEEEENSA_11use_defaultESO_EENS0_5tupleIJSF_S6_EEENSQ_IJSG_SG_EEES6_PlJS6_EEE10hipError_tPvRmT3_T4_T5_T6_T7_T9_mT8_P12ihipStream_tbDpT10_ENKUlT_T0_E_clISt17integral_constantIbLb0EES1C_IbLb1EEEEDaS18_S19_EUlS18_E_NS1_11comp_targetILNS1_3genE4ELNS1_11target_archE910ELNS1_3gpuE8ELNS1_3repE0EEENS1_30default_config_static_selectorELNS0_4arch9wavefront6targetE0EEEvT1_.num_agpr, 0
	.set _ZN7rocprim17ROCPRIM_400000_NS6detail17trampoline_kernelINS0_14default_configENS1_25partition_config_selectorILNS1_17partition_subalgoE5EdNS0_10empty_typeEbEEZZNS1_14partition_implILS5_5ELb0ES3_mN6thrust23THRUST_200600_302600_NS6detail15normal_iteratorINSA_10device_ptrIdEEEEPS6_NSA_18transform_iteratorINSB_9not_fun_tI7is_trueIdEEENSC_INSD_IbEEEENSA_11use_defaultESO_EENS0_5tupleIJSF_S6_EEENSQ_IJSG_SG_EEES6_PlJS6_EEE10hipError_tPvRmT3_T4_T5_T6_T7_T9_mT8_P12ihipStream_tbDpT10_ENKUlT_T0_E_clISt17integral_constantIbLb0EES1C_IbLb1EEEEDaS18_S19_EUlS18_E_NS1_11comp_targetILNS1_3genE4ELNS1_11target_archE910ELNS1_3gpuE8ELNS1_3repE0EEENS1_30default_config_static_selectorELNS0_4arch9wavefront6targetE0EEEvT1_.numbered_sgpr, 0
	.set _ZN7rocprim17ROCPRIM_400000_NS6detail17trampoline_kernelINS0_14default_configENS1_25partition_config_selectorILNS1_17partition_subalgoE5EdNS0_10empty_typeEbEEZZNS1_14partition_implILS5_5ELb0ES3_mN6thrust23THRUST_200600_302600_NS6detail15normal_iteratorINSA_10device_ptrIdEEEEPS6_NSA_18transform_iteratorINSB_9not_fun_tI7is_trueIdEEENSC_INSD_IbEEEENSA_11use_defaultESO_EENS0_5tupleIJSF_S6_EEENSQ_IJSG_SG_EEES6_PlJS6_EEE10hipError_tPvRmT3_T4_T5_T6_T7_T9_mT8_P12ihipStream_tbDpT10_ENKUlT_T0_E_clISt17integral_constantIbLb0EES1C_IbLb1EEEEDaS18_S19_EUlS18_E_NS1_11comp_targetILNS1_3genE4ELNS1_11target_archE910ELNS1_3gpuE8ELNS1_3repE0EEENS1_30default_config_static_selectorELNS0_4arch9wavefront6targetE0EEEvT1_.num_named_barrier, 0
	.set _ZN7rocprim17ROCPRIM_400000_NS6detail17trampoline_kernelINS0_14default_configENS1_25partition_config_selectorILNS1_17partition_subalgoE5EdNS0_10empty_typeEbEEZZNS1_14partition_implILS5_5ELb0ES3_mN6thrust23THRUST_200600_302600_NS6detail15normal_iteratorINSA_10device_ptrIdEEEEPS6_NSA_18transform_iteratorINSB_9not_fun_tI7is_trueIdEEENSC_INSD_IbEEEENSA_11use_defaultESO_EENS0_5tupleIJSF_S6_EEENSQ_IJSG_SG_EEES6_PlJS6_EEE10hipError_tPvRmT3_T4_T5_T6_T7_T9_mT8_P12ihipStream_tbDpT10_ENKUlT_T0_E_clISt17integral_constantIbLb0EES1C_IbLb1EEEEDaS18_S19_EUlS18_E_NS1_11comp_targetILNS1_3genE4ELNS1_11target_archE910ELNS1_3gpuE8ELNS1_3repE0EEENS1_30default_config_static_selectorELNS0_4arch9wavefront6targetE0EEEvT1_.private_seg_size, 0
	.set _ZN7rocprim17ROCPRIM_400000_NS6detail17trampoline_kernelINS0_14default_configENS1_25partition_config_selectorILNS1_17partition_subalgoE5EdNS0_10empty_typeEbEEZZNS1_14partition_implILS5_5ELb0ES3_mN6thrust23THRUST_200600_302600_NS6detail15normal_iteratorINSA_10device_ptrIdEEEEPS6_NSA_18transform_iteratorINSB_9not_fun_tI7is_trueIdEEENSC_INSD_IbEEEENSA_11use_defaultESO_EENS0_5tupleIJSF_S6_EEENSQ_IJSG_SG_EEES6_PlJS6_EEE10hipError_tPvRmT3_T4_T5_T6_T7_T9_mT8_P12ihipStream_tbDpT10_ENKUlT_T0_E_clISt17integral_constantIbLb0EES1C_IbLb1EEEEDaS18_S19_EUlS18_E_NS1_11comp_targetILNS1_3genE4ELNS1_11target_archE910ELNS1_3gpuE8ELNS1_3repE0EEENS1_30default_config_static_selectorELNS0_4arch9wavefront6targetE0EEEvT1_.uses_vcc, 0
	.set _ZN7rocprim17ROCPRIM_400000_NS6detail17trampoline_kernelINS0_14default_configENS1_25partition_config_selectorILNS1_17partition_subalgoE5EdNS0_10empty_typeEbEEZZNS1_14partition_implILS5_5ELb0ES3_mN6thrust23THRUST_200600_302600_NS6detail15normal_iteratorINSA_10device_ptrIdEEEEPS6_NSA_18transform_iteratorINSB_9not_fun_tI7is_trueIdEEENSC_INSD_IbEEEENSA_11use_defaultESO_EENS0_5tupleIJSF_S6_EEENSQ_IJSG_SG_EEES6_PlJS6_EEE10hipError_tPvRmT3_T4_T5_T6_T7_T9_mT8_P12ihipStream_tbDpT10_ENKUlT_T0_E_clISt17integral_constantIbLb0EES1C_IbLb1EEEEDaS18_S19_EUlS18_E_NS1_11comp_targetILNS1_3genE4ELNS1_11target_archE910ELNS1_3gpuE8ELNS1_3repE0EEENS1_30default_config_static_selectorELNS0_4arch9wavefront6targetE0EEEvT1_.uses_flat_scratch, 0
	.set _ZN7rocprim17ROCPRIM_400000_NS6detail17trampoline_kernelINS0_14default_configENS1_25partition_config_selectorILNS1_17partition_subalgoE5EdNS0_10empty_typeEbEEZZNS1_14partition_implILS5_5ELb0ES3_mN6thrust23THRUST_200600_302600_NS6detail15normal_iteratorINSA_10device_ptrIdEEEEPS6_NSA_18transform_iteratorINSB_9not_fun_tI7is_trueIdEEENSC_INSD_IbEEEENSA_11use_defaultESO_EENS0_5tupleIJSF_S6_EEENSQ_IJSG_SG_EEES6_PlJS6_EEE10hipError_tPvRmT3_T4_T5_T6_T7_T9_mT8_P12ihipStream_tbDpT10_ENKUlT_T0_E_clISt17integral_constantIbLb0EES1C_IbLb1EEEEDaS18_S19_EUlS18_E_NS1_11comp_targetILNS1_3genE4ELNS1_11target_archE910ELNS1_3gpuE8ELNS1_3repE0EEENS1_30default_config_static_selectorELNS0_4arch9wavefront6targetE0EEEvT1_.has_dyn_sized_stack, 0
	.set _ZN7rocprim17ROCPRIM_400000_NS6detail17trampoline_kernelINS0_14default_configENS1_25partition_config_selectorILNS1_17partition_subalgoE5EdNS0_10empty_typeEbEEZZNS1_14partition_implILS5_5ELb0ES3_mN6thrust23THRUST_200600_302600_NS6detail15normal_iteratorINSA_10device_ptrIdEEEEPS6_NSA_18transform_iteratorINSB_9not_fun_tI7is_trueIdEEENSC_INSD_IbEEEENSA_11use_defaultESO_EENS0_5tupleIJSF_S6_EEENSQ_IJSG_SG_EEES6_PlJS6_EEE10hipError_tPvRmT3_T4_T5_T6_T7_T9_mT8_P12ihipStream_tbDpT10_ENKUlT_T0_E_clISt17integral_constantIbLb0EES1C_IbLb1EEEEDaS18_S19_EUlS18_E_NS1_11comp_targetILNS1_3genE4ELNS1_11target_archE910ELNS1_3gpuE8ELNS1_3repE0EEENS1_30default_config_static_selectorELNS0_4arch9wavefront6targetE0EEEvT1_.has_recursion, 0
	.set _ZN7rocprim17ROCPRIM_400000_NS6detail17trampoline_kernelINS0_14default_configENS1_25partition_config_selectorILNS1_17partition_subalgoE5EdNS0_10empty_typeEbEEZZNS1_14partition_implILS5_5ELb0ES3_mN6thrust23THRUST_200600_302600_NS6detail15normal_iteratorINSA_10device_ptrIdEEEEPS6_NSA_18transform_iteratorINSB_9not_fun_tI7is_trueIdEEENSC_INSD_IbEEEENSA_11use_defaultESO_EENS0_5tupleIJSF_S6_EEENSQ_IJSG_SG_EEES6_PlJS6_EEE10hipError_tPvRmT3_T4_T5_T6_T7_T9_mT8_P12ihipStream_tbDpT10_ENKUlT_T0_E_clISt17integral_constantIbLb0EES1C_IbLb1EEEEDaS18_S19_EUlS18_E_NS1_11comp_targetILNS1_3genE4ELNS1_11target_archE910ELNS1_3gpuE8ELNS1_3repE0EEENS1_30default_config_static_selectorELNS0_4arch9wavefront6targetE0EEEvT1_.has_indirect_call, 0
	.section	.AMDGPU.csdata,"",@progbits
; Kernel info:
; codeLenInByte = 0
; TotalNumSgprs: 0
; NumVgprs: 0
; ScratchSize: 0
; MemoryBound: 0
; FloatMode: 240
; IeeeMode: 1
; LDSByteSize: 0 bytes/workgroup (compile time only)
; SGPRBlocks: 0
; VGPRBlocks: 0
; NumSGPRsForWavesPerEU: 1
; NumVGPRsForWavesPerEU: 1
; Occupancy: 16
; WaveLimiterHint : 0
; COMPUTE_PGM_RSRC2:SCRATCH_EN: 0
; COMPUTE_PGM_RSRC2:USER_SGPR: 2
; COMPUTE_PGM_RSRC2:TRAP_HANDLER: 0
; COMPUTE_PGM_RSRC2:TGID_X_EN: 1
; COMPUTE_PGM_RSRC2:TGID_Y_EN: 0
; COMPUTE_PGM_RSRC2:TGID_Z_EN: 0
; COMPUTE_PGM_RSRC2:TIDIG_COMP_CNT: 0
	.section	.text._ZN7rocprim17ROCPRIM_400000_NS6detail17trampoline_kernelINS0_14default_configENS1_25partition_config_selectorILNS1_17partition_subalgoE5EdNS0_10empty_typeEbEEZZNS1_14partition_implILS5_5ELb0ES3_mN6thrust23THRUST_200600_302600_NS6detail15normal_iteratorINSA_10device_ptrIdEEEEPS6_NSA_18transform_iteratorINSB_9not_fun_tI7is_trueIdEEENSC_INSD_IbEEEENSA_11use_defaultESO_EENS0_5tupleIJSF_S6_EEENSQ_IJSG_SG_EEES6_PlJS6_EEE10hipError_tPvRmT3_T4_T5_T6_T7_T9_mT8_P12ihipStream_tbDpT10_ENKUlT_T0_E_clISt17integral_constantIbLb0EES1C_IbLb1EEEEDaS18_S19_EUlS18_E_NS1_11comp_targetILNS1_3genE3ELNS1_11target_archE908ELNS1_3gpuE7ELNS1_3repE0EEENS1_30default_config_static_selectorELNS0_4arch9wavefront6targetE0EEEvT1_,"axG",@progbits,_ZN7rocprim17ROCPRIM_400000_NS6detail17trampoline_kernelINS0_14default_configENS1_25partition_config_selectorILNS1_17partition_subalgoE5EdNS0_10empty_typeEbEEZZNS1_14partition_implILS5_5ELb0ES3_mN6thrust23THRUST_200600_302600_NS6detail15normal_iteratorINSA_10device_ptrIdEEEEPS6_NSA_18transform_iteratorINSB_9not_fun_tI7is_trueIdEEENSC_INSD_IbEEEENSA_11use_defaultESO_EENS0_5tupleIJSF_S6_EEENSQ_IJSG_SG_EEES6_PlJS6_EEE10hipError_tPvRmT3_T4_T5_T6_T7_T9_mT8_P12ihipStream_tbDpT10_ENKUlT_T0_E_clISt17integral_constantIbLb0EES1C_IbLb1EEEEDaS18_S19_EUlS18_E_NS1_11comp_targetILNS1_3genE3ELNS1_11target_archE908ELNS1_3gpuE7ELNS1_3repE0EEENS1_30default_config_static_selectorELNS0_4arch9wavefront6targetE0EEEvT1_,comdat
	.protected	_ZN7rocprim17ROCPRIM_400000_NS6detail17trampoline_kernelINS0_14default_configENS1_25partition_config_selectorILNS1_17partition_subalgoE5EdNS0_10empty_typeEbEEZZNS1_14partition_implILS5_5ELb0ES3_mN6thrust23THRUST_200600_302600_NS6detail15normal_iteratorINSA_10device_ptrIdEEEEPS6_NSA_18transform_iteratorINSB_9not_fun_tI7is_trueIdEEENSC_INSD_IbEEEENSA_11use_defaultESO_EENS0_5tupleIJSF_S6_EEENSQ_IJSG_SG_EEES6_PlJS6_EEE10hipError_tPvRmT3_T4_T5_T6_T7_T9_mT8_P12ihipStream_tbDpT10_ENKUlT_T0_E_clISt17integral_constantIbLb0EES1C_IbLb1EEEEDaS18_S19_EUlS18_E_NS1_11comp_targetILNS1_3genE3ELNS1_11target_archE908ELNS1_3gpuE7ELNS1_3repE0EEENS1_30default_config_static_selectorELNS0_4arch9wavefront6targetE0EEEvT1_ ; -- Begin function _ZN7rocprim17ROCPRIM_400000_NS6detail17trampoline_kernelINS0_14default_configENS1_25partition_config_selectorILNS1_17partition_subalgoE5EdNS0_10empty_typeEbEEZZNS1_14partition_implILS5_5ELb0ES3_mN6thrust23THRUST_200600_302600_NS6detail15normal_iteratorINSA_10device_ptrIdEEEEPS6_NSA_18transform_iteratorINSB_9not_fun_tI7is_trueIdEEENSC_INSD_IbEEEENSA_11use_defaultESO_EENS0_5tupleIJSF_S6_EEENSQ_IJSG_SG_EEES6_PlJS6_EEE10hipError_tPvRmT3_T4_T5_T6_T7_T9_mT8_P12ihipStream_tbDpT10_ENKUlT_T0_E_clISt17integral_constantIbLb0EES1C_IbLb1EEEEDaS18_S19_EUlS18_E_NS1_11comp_targetILNS1_3genE3ELNS1_11target_archE908ELNS1_3gpuE7ELNS1_3repE0EEENS1_30default_config_static_selectorELNS0_4arch9wavefront6targetE0EEEvT1_
	.globl	_ZN7rocprim17ROCPRIM_400000_NS6detail17trampoline_kernelINS0_14default_configENS1_25partition_config_selectorILNS1_17partition_subalgoE5EdNS0_10empty_typeEbEEZZNS1_14partition_implILS5_5ELb0ES3_mN6thrust23THRUST_200600_302600_NS6detail15normal_iteratorINSA_10device_ptrIdEEEEPS6_NSA_18transform_iteratorINSB_9not_fun_tI7is_trueIdEEENSC_INSD_IbEEEENSA_11use_defaultESO_EENS0_5tupleIJSF_S6_EEENSQ_IJSG_SG_EEES6_PlJS6_EEE10hipError_tPvRmT3_T4_T5_T6_T7_T9_mT8_P12ihipStream_tbDpT10_ENKUlT_T0_E_clISt17integral_constantIbLb0EES1C_IbLb1EEEEDaS18_S19_EUlS18_E_NS1_11comp_targetILNS1_3genE3ELNS1_11target_archE908ELNS1_3gpuE7ELNS1_3repE0EEENS1_30default_config_static_selectorELNS0_4arch9wavefront6targetE0EEEvT1_
	.p2align	8
	.type	_ZN7rocprim17ROCPRIM_400000_NS6detail17trampoline_kernelINS0_14default_configENS1_25partition_config_selectorILNS1_17partition_subalgoE5EdNS0_10empty_typeEbEEZZNS1_14partition_implILS5_5ELb0ES3_mN6thrust23THRUST_200600_302600_NS6detail15normal_iteratorINSA_10device_ptrIdEEEEPS6_NSA_18transform_iteratorINSB_9not_fun_tI7is_trueIdEEENSC_INSD_IbEEEENSA_11use_defaultESO_EENS0_5tupleIJSF_S6_EEENSQ_IJSG_SG_EEES6_PlJS6_EEE10hipError_tPvRmT3_T4_T5_T6_T7_T9_mT8_P12ihipStream_tbDpT10_ENKUlT_T0_E_clISt17integral_constantIbLb0EES1C_IbLb1EEEEDaS18_S19_EUlS18_E_NS1_11comp_targetILNS1_3genE3ELNS1_11target_archE908ELNS1_3gpuE7ELNS1_3repE0EEENS1_30default_config_static_selectorELNS0_4arch9wavefront6targetE0EEEvT1_,@function
_ZN7rocprim17ROCPRIM_400000_NS6detail17trampoline_kernelINS0_14default_configENS1_25partition_config_selectorILNS1_17partition_subalgoE5EdNS0_10empty_typeEbEEZZNS1_14partition_implILS5_5ELb0ES3_mN6thrust23THRUST_200600_302600_NS6detail15normal_iteratorINSA_10device_ptrIdEEEEPS6_NSA_18transform_iteratorINSB_9not_fun_tI7is_trueIdEEENSC_INSD_IbEEEENSA_11use_defaultESO_EENS0_5tupleIJSF_S6_EEENSQ_IJSG_SG_EEES6_PlJS6_EEE10hipError_tPvRmT3_T4_T5_T6_T7_T9_mT8_P12ihipStream_tbDpT10_ENKUlT_T0_E_clISt17integral_constantIbLb0EES1C_IbLb1EEEEDaS18_S19_EUlS18_E_NS1_11comp_targetILNS1_3genE3ELNS1_11target_archE908ELNS1_3gpuE7ELNS1_3repE0EEENS1_30default_config_static_selectorELNS0_4arch9wavefront6targetE0EEEvT1_: ; @_ZN7rocprim17ROCPRIM_400000_NS6detail17trampoline_kernelINS0_14default_configENS1_25partition_config_selectorILNS1_17partition_subalgoE5EdNS0_10empty_typeEbEEZZNS1_14partition_implILS5_5ELb0ES3_mN6thrust23THRUST_200600_302600_NS6detail15normal_iteratorINSA_10device_ptrIdEEEEPS6_NSA_18transform_iteratorINSB_9not_fun_tI7is_trueIdEEENSC_INSD_IbEEEENSA_11use_defaultESO_EENS0_5tupleIJSF_S6_EEENSQ_IJSG_SG_EEES6_PlJS6_EEE10hipError_tPvRmT3_T4_T5_T6_T7_T9_mT8_P12ihipStream_tbDpT10_ENKUlT_T0_E_clISt17integral_constantIbLb0EES1C_IbLb1EEEEDaS18_S19_EUlS18_E_NS1_11comp_targetILNS1_3genE3ELNS1_11target_archE908ELNS1_3gpuE7ELNS1_3repE0EEENS1_30default_config_static_selectorELNS0_4arch9wavefront6targetE0EEEvT1_
; %bb.0:
	.section	.rodata,"a",@progbits
	.p2align	6, 0x0
	.amdhsa_kernel _ZN7rocprim17ROCPRIM_400000_NS6detail17trampoline_kernelINS0_14default_configENS1_25partition_config_selectorILNS1_17partition_subalgoE5EdNS0_10empty_typeEbEEZZNS1_14partition_implILS5_5ELb0ES3_mN6thrust23THRUST_200600_302600_NS6detail15normal_iteratorINSA_10device_ptrIdEEEEPS6_NSA_18transform_iteratorINSB_9not_fun_tI7is_trueIdEEENSC_INSD_IbEEEENSA_11use_defaultESO_EENS0_5tupleIJSF_S6_EEENSQ_IJSG_SG_EEES6_PlJS6_EEE10hipError_tPvRmT3_T4_T5_T6_T7_T9_mT8_P12ihipStream_tbDpT10_ENKUlT_T0_E_clISt17integral_constantIbLb0EES1C_IbLb1EEEEDaS18_S19_EUlS18_E_NS1_11comp_targetILNS1_3genE3ELNS1_11target_archE908ELNS1_3gpuE7ELNS1_3repE0EEENS1_30default_config_static_selectorELNS0_4arch9wavefront6targetE0EEEvT1_
		.amdhsa_group_segment_fixed_size 0
		.amdhsa_private_segment_fixed_size 0
		.amdhsa_kernarg_size 136
		.amdhsa_user_sgpr_count 2
		.amdhsa_user_sgpr_dispatch_ptr 0
		.amdhsa_user_sgpr_queue_ptr 0
		.amdhsa_user_sgpr_kernarg_segment_ptr 1
		.amdhsa_user_sgpr_dispatch_id 0
		.amdhsa_user_sgpr_private_segment_size 0
		.amdhsa_wavefront_size32 1
		.amdhsa_uses_dynamic_stack 0
		.amdhsa_enable_private_segment 0
		.amdhsa_system_sgpr_workgroup_id_x 1
		.amdhsa_system_sgpr_workgroup_id_y 0
		.amdhsa_system_sgpr_workgroup_id_z 0
		.amdhsa_system_sgpr_workgroup_info 0
		.amdhsa_system_vgpr_workitem_id 0
		.amdhsa_next_free_vgpr 1
		.amdhsa_next_free_sgpr 1
		.amdhsa_reserve_vcc 0
		.amdhsa_float_round_mode_32 0
		.amdhsa_float_round_mode_16_64 0
		.amdhsa_float_denorm_mode_32 3
		.amdhsa_float_denorm_mode_16_64 3
		.amdhsa_fp16_overflow 0
		.amdhsa_workgroup_processor_mode 1
		.amdhsa_memory_ordered 1
		.amdhsa_forward_progress 1
		.amdhsa_inst_pref_size 0
		.amdhsa_round_robin_scheduling 0
		.amdhsa_exception_fp_ieee_invalid_op 0
		.amdhsa_exception_fp_denorm_src 0
		.amdhsa_exception_fp_ieee_div_zero 0
		.amdhsa_exception_fp_ieee_overflow 0
		.amdhsa_exception_fp_ieee_underflow 0
		.amdhsa_exception_fp_ieee_inexact 0
		.amdhsa_exception_int_div_zero 0
	.end_amdhsa_kernel
	.section	.text._ZN7rocprim17ROCPRIM_400000_NS6detail17trampoline_kernelINS0_14default_configENS1_25partition_config_selectorILNS1_17partition_subalgoE5EdNS0_10empty_typeEbEEZZNS1_14partition_implILS5_5ELb0ES3_mN6thrust23THRUST_200600_302600_NS6detail15normal_iteratorINSA_10device_ptrIdEEEEPS6_NSA_18transform_iteratorINSB_9not_fun_tI7is_trueIdEEENSC_INSD_IbEEEENSA_11use_defaultESO_EENS0_5tupleIJSF_S6_EEENSQ_IJSG_SG_EEES6_PlJS6_EEE10hipError_tPvRmT3_T4_T5_T6_T7_T9_mT8_P12ihipStream_tbDpT10_ENKUlT_T0_E_clISt17integral_constantIbLb0EES1C_IbLb1EEEEDaS18_S19_EUlS18_E_NS1_11comp_targetILNS1_3genE3ELNS1_11target_archE908ELNS1_3gpuE7ELNS1_3repE0EEENS1_30default_config_static_selectorELNS0_4arch9wavefront6targetE0EEEvT1_,"axG",@progbits,_ZN7rocprim17ROCPRIM_400000_NS6detail17trampoline_kernelINS0_14default_configENS1_25partition_config_selectorILNS1_17partition_subalgoE5EdNS0_10empty_typeEbEEZZNS1_14partition_implILS5_5ELb0ES3_mN6thrust23THRUST_200600_302600_NS6detail15normal_iteratorINSA_10device_ptrIdEEEEPS6_NSA_18transform_iteratorINSB_9not_fun_tI7is_trueIdEEENSC_INSD_IbEEEENSA_11use_defaultESO_EENS0_5tupleIJSF_S6_EEENSQ_IJSG_SG_EEES6_PlJS6_EEE10hipError_tPvRmT3_T4_T5_T6_T7_T9_mT8_P12ihipStream_tbDpT10_ENKUlT_T0_E_clISt17integral_constantIbLb0EES1C_IbLb1EEEEDaS18_S19_EUlS18_E_NS1_11comp_targetILNS1_3genE3ELNS1_11target_archE908ELNS1_3gpuE7ELNS1_3repE0EEENS1_30default_config_static_selectorELNS0_4arch9wavefront6targetE0EEEvT1_,comdat
.Lfunc_end2360:
	.size	_ZN7rocprim17ROCPRIM_400000_NS6detail17trampoline_kernelINS0_14default_configENS1_25partition_config_selectorILNS1_17partition_subalgoE5EdNS0_10empty_typeEbEEZZNS1_14partition_implILS5_5ELb0ES3_mN6thrust23THRUST_200600_302600_NS6detail15normal_iteratorINSA_10device_ptrIdEEEEPS6_NSA_18transform_iteratorINSB_9not_fun_tI7is_trueIdEEENSC_INSD_IbEEEENSA_11use_defaultESO_EENS0_5tupleIJSF_S6_EEENSQ_IJSG_SG_EEES6_PlJS6_EEE10hipError_tPvRmT3_T4_T5_T6_T7_T9_mT8_P12ihipStream_tbDpT10_ENKUlT_T0_E_clISt17integral_constantIbLb0EES1C_IbLb1EEEEDaS18_S19_EUlS18_E_NS1_11comp_targetILNS1_3genE3ELNS1_11target_archE908ELNS1_3gpuE7ELNS1_3repE0EEENS1_30default_config_static_selectorELNS0_4arch9wavefront6targetE0EEEvT1_, .Lfunc_end2360-_ZN7rocprim17ROCPRIM_400000_NS6detail17trampoline_kernelINS0_14default_configENS1_25partition_config_selectorILNS1_17partition_subalgoE5EdNS0_10empty_typeEbEEZZNS1_14partition_implILS5_5ELb0ES3_mN6thrust23THRUST_200600_302600_NS6detail15normal_iteratorINSA_10device_ptrIdEEEEPS6_NSA_18transform_iteratorINSB_9not_fun_tI7is_trueIdEEENSC_INSD_IbEEEENSA_11use_defaultESO_EENS0_5tupleIJSF_S6_EEENSQ_IJSG_SG_EEES6_PlJS6_EEE10hipError_tPvRmT3_T4_T5_T6_T7_T9_mT8_P12ihipStream_tbDpT10_ENKUlT_T0_E_clISt17integral_constantIbLb0EES1C_IbLb1EEEEDaS18_S19_EUlS18_E_NS1_11comp_targetILNS1_3genE3ELNS1_11target_archE908ELNS1_3gpuE7ELNS1_3repE0EEENS1_30default_config_static_selectorELNS0_4arch9wavefront6targetE0EEEvT1_
                                        ; -- End function
	.set _ZN7rocprim17ROCPRIM_400000_NS6detail17trampoline_kernelINS0_14default_configENS1_25partition_config_selectorILNS1_17partition_subalgoE5EdNS0_10empty_typeEbEEZZNS1_14partition_implILS5_5ELb0ES3_mN6thrust23THRUST_200600_302600_NS6detail15normal_iteratorINSA_10device_ptrIdEEEEPS6_NSA_18transform_iteratorINSB_9not_fun_tI7is_trueIdEEENSC_INSD_IbEEEENSA_11use_defaultESO_EENS0_5tupleIJSF_S6_EEENSQ_IJSG_SG_EEES6_PlJS6_EEE10hipError_tPvRmT3_T4_T5_T6_T7_T9_mT8_P12ihipStream_tbDpT10_ENKUlT_T0_E_clISt17integral_constantIbLb0EES1C_IbLb1EEEEDaS18_S19_EUlS18_E_NS1_11comp_targetILNS1_3genE3ELNS1_11target_archE908ELNS1_3gpuE7ELNS1_3repE0EEENS1_30default_config_static_selectorELNS0_4arch9wavefront6targetE0EEEvT1_.num_vgpr, 0
	.set _ZN7rocprim17ROCPRIM_400000_NS6detail17trampoline_kernelINS0_14default_configENS1_25partition_config_selectorILNS1_17partition_subalgoE5EdNS0_10empty_typeEbEEZZNS1_14partition_implILS5_5ELb0ES3_mN6thrust23THRUST_200600_302600_NS6detail15normal_iteratorINSA_10device_ptrIdEEEEPS6_NSA_18transform_iteratorINSB_9not_fun_tI7is_trueIdEEENSC_INSD_IbEEEENSA_11use_defaultESO_EENS0_5tupleIJSF_S6_EEENSQ_IJSG_SG_EEES6_PlJS6_EEE10hipError_tPvRmT3_T4_T5_T6_T7_T9_mT8_P12ihipStream_tbDpT10_ENKUlT_T0_E_clISt17integral_constantIbLb0EES1C_IbLb1EEEEDaS18_S19_EUlS18_E_NS1_11comp_targetILNS1_3genE3ELNS1_11target_archE908ELNS1_3gpuE7ELNS1_3repE0EEENS1_30default_config_static_selectorELNS0_4arch9wavefront6targetE0EEEvT1_.num_agpr, 0
	.set _ZN7rocprim17ROCPRIM_400000_NS6detail17trampoline_kernelINS0_14default_configENS1_25partition_config_selectorILNS1_17partition_subalgoE5EdNS0_10empty_typeEbEEZZNS1_14partition_implILS5_5ELb0ES3_mN6thrust23THRUST_200600_302600_NS6detail15normal_iteratorINSA_10device_ptrIdEEEEPS6_NSA_18transform_iteratorINSB_9not_fun_tI7is_trueIdEEENSC_INSD_IbEEEENSA_11use_defaultESO_EENS0_5tupleIJSF_S6_EEENSQ_IJSG_SG_EEES6_PlJS6_EEE10hipError_tPvRmT3_T4_T5_T6_T7_T9_mT8_P12ihipStream_tbDpT10_ENKUlT_T0_E_clISt17integral_constantIbLb0EES1C_IbLb1EEEEDaS18_S19_EUlS18_E_NS1_11comp_targetILNS1_3genE3ELNS1_11target_archE908ELNS1_3gpuE7ELNS1_3repE0EEENS1_30default_config_static_selectorELNS0_4arch9wavefront6targetE0EEEvT1_.numbered_sgpr, 0
	.set _ZN7rocprim17ROCPRIM_400000_NS6detail17trampoline_kernelINS0_14default_configENS1_25partition_config_selectorILNS1_17partition_subalgoE5EdNS0_10empty_typeEbEEZZNS1_14partition_implILS5_5ELb0ES3_mN6thrust23THRUST_200600_302600_NS6detail15normal_iteratorINSA_10device_ptrIdEEEEPS6_NSA_18transform_iteratorINSB_9not_fun_tI7is_trueIdEEENSC_INSD_IbEEEENSA_11use_defaultESO_EENS0_5tupleIJSF_S6_EEENSQ_IJSG_SG_EEES6_PlJS6_EEE10hipError_tPvRmT3_T4_T5_T6_T7_T9_mT8_P12ihipStream_tbDpT10_ENKUlT_T0_E_clISt17integral_constantIbLb0EES1C_IbLb1EEEEDaS18_S19_EUlS18_E_NS1_11comp_targetILNS1_3genE3ELNS1_11target_archE908ELNS1_3gpuE7ELNS1_3repE0EEENS1_30default_config_static_selectorELNS0_4arch9wavefront6targetE0EEEvT1_.num_named_barrier, 0
	.set _ZN7rocprim17ROCPRIM_400000_NS6detail17trampoline_kernelINS0_14default_configENS1_25partition_config_selectorILNS1_17partition_subalgoE5EdNS0_10empty_typeEbEEZZNS1_14partition_implILS5_5ELb0ES3_mN6thrust23THRUST_200600_302600_NS6detail15normal_iteratorINSA_10device_ptrIdEEEEPS6_NSA_18transform_iteratorINSB_9not_fun_tI7is_trueIdEEENSC_INSD_IbEEEENSA_11use_defaultESO_EENS0_5tupleIJSF_S6_EEENSQ_IJSG_SG_EEES6_PlJS6_EEE10hipError_tPvRmT3_T4_T5_T6_T7_T9_mT8_P12ihipStream_tbDpT10_ENKUlT_T0_E_clISt17integral_constantIbLb0EES1C_IbLb1EEEEDaS18_S19_EUlS18_E_NS1_11comp_targetILNS1_3genE3ELNS1_11target_archE908ELNS1_3gpuE7ELNS1_3repE0EEENS1_30default_config_static_selectorELNS0_4arch9wavefront6targetE0EEEvT1_.private_seg_size, 0
	.set _ZN7rocprim17ROCPRIM_400000_NS6detail17trampoline_kernelINS0_14default_configENS1_25partition_config_selectorILNS1_17partition_subalgoE5EdNS0_10empty_typeEbEEZZNS1_14partition_implILS5_5ELb0ES3_mN6thrust23THRUST_200600_302600_NS6detail15normal_iteratorINSA_10device_ptrIdEEEEPS6_NSA_18transform_iteratorINSB_9not_fun_tI7is_trueIdEEENSC_INSD_IbEEEENSA_11use_defaultESO_EENS0_5tupleIJSF_S6_EEENSQ_IJSG_SG_EEES6_PlJS6_EEE10hipError_tPvRmT3_T4_T5_T6_T7_T9_mT8_P12ihipStream_tbDpT10_ENKUlT_T0_E_clISt17integral_constantIbLb0EES1C_IbLb1EEEEDaS18_S19_EUlS18_E_NS1_11comp_targetILNS1_3genE3ELNS1_11target_archE908ELNS1_3gpuE7ELNS1_3repE0EEENS1_30default_config_static_selectorELNS0_4arch9wavefront6targetE0EEEvT1_.uses_vcc, 0
	.set _ZN7rocprim17ROCPRIM_400000_NS6detail17trampoline_kernelINS0_14default_configENS1_25partition_config_selectorILNS1_17partition_subalgoE5EdNS0_10empty_typeEbEEZZNS1_14partition_implILS5_5ELb0ES3_mN6thrust23THRUST_200600_302600_NS6detail15normal_iteratorINSA_10device_ptrIdEEEEPS6_NSA_18transform_iteratorINSB_9not_fun_tI7is_trueIdEEENSC_INSD_IbEEEENSA_11use_defaultESO_EENS0_5tupleIJSF_S6_EEENSQ_IJSG_SG_EEES6_PlJS6_EEE10hipError_tPvRmT3_T4_T5_T6_T7_T9_mT8_P12ihipStream_tbDpT10_ENKUlT_T0_E_clISt17integral_constantIbLb0EES1C_IbLb1EEEEDaS18_S19_EUlS18_E_NS1_11comp_targetILNS1_3genE3ELNS1_11target_archE908ELNS1_3gpuE7ELNS1_3repE0EEENS1_30default_config_static_selectorELNS0_4arch9wavefront6targetE0EEEvT1_.uses_flat_scratch, 0
	.set _ZN7rocprim17ROCPRIM_400000_NS6detail17trampoline_kernelINS0_14default_configENS1_25partition_config_selectorILNS1_17partition_subalgoE5EdNS0_10empty_typeEbEEZZNS1_14partition_implILS5_5ELb0ES3_mN6thrust23THRUST_200600_302600_NS6detail15normal_iteratorINSA_10device_ptrIdEEEEPS6_NSA_18transform_iteratorINSB_9not_fun_tI7is_trueIdEEENSC_INSD_IbEEEENSA_11use_defaultESO_EENS0_5tupleIJSF_S6_EEENSQ_IJSG_SG_EEES6_PlJS6_EEE10hipError_tPvRmT3_T4_T5_T6_T7_T9_mT8_P12ihipStream_tbDpT10_ENKUlT_T0_E_clISt17integral_constantIbLb0EES1C_IbLb1EEEEDaS18_S19_EUlS18_E_NS1_11comp_targetILNS1_3genE3ELNS1_11target_archE908ELNS1_3gpuE7ELNS1_3repE0EEENS1_30default_config_static_selectorELNS0_4arch9wavefront6targetE0EEEvT1_.has_dyn_sized_stack, 0
	.set _ZN7rocprim17ROCPRIM_400000_NS6detail17trampoline_kernelINS0_14default_configENS1_25partition_config_selectorILNS1_17partition_subalgoE5EdNS0_10empty_typeEbEEZZNS1_14partition_implILS5_5ELb0ES3_mN6thrust23THRUST_200600_302600_NS6detail15normal_iteratorINSA_10device_ptrIdEEEEPS6_NSA_18transform_iteratorINSB_9not_fun_tI7is_trueIdEEENSC_INSD_IbEEEENSA_11use_defaultESO_EENS0_5tupleIJSF_S6_EEENSQ_IJSG_SG_EEES6_PlJS6_EEE10hipError_tPvRmT3_T4_T5_T6_T7_T9_mT8_P12ihipStream_tbDpT10_ENKUlT_T0_E_clISt17integral_constantIbLb0EES1C_IbLb1EEEEDaS18_S19_EUlS18_E_NS1_11comp_targetILNS1_3genE3ELNS1_11target_archE908ELNS1_3gpuE7ELNS1_3repE0EEENS1_30default_config_static_selectorELNS0_4arch9wavefront6targetE0EEEvT1_.has_recursion, 0
	.set _ZN7rocprim17ROCPRIM_400000_NS6detail17trampoline_kernelINS0_14default_configENS1_25partition_config_selectorILNS1_17partition_subalgoE5EdNS0_10empty_typeEbEEZZNS1_14partition_implILS5_5ELb0ES3_mN6thrust23THRUST_200600_302600_NS6detail15normal_iteratorINSA_10device_ptrIdEEEEPS6_NSA_18transform_iteratorINSB_9not_fun_tI7is_trueIdEEENSC_INSD_IbEEEENSA_11use_defaultESO_EENS0_5tupleIJSF_S6_EEENSQ_IJSG_SG_EEES6_PlJS6_EEE10hipError_tPvRmT3_T4_T5_T6_T7_T9_mT8_P12ihipStream_tbDpT10_ENKUlT_T0_E_clISt17integral_constantIbLb0EES1C_IbLb1EEEEDaS18_S19_EUlS18_E_NS1_11comp_targetILNS1_3genE3ELNS1_11target_archE908ELNS1_3gpuE7ELNS1_3repE0EEENS1_30default_config_static_selectorELNS0_4arch9wavefront6targetE0EEEvT1_.has_indirect_call, 0
	.section	.AMDGPU.csdata,"",@progbits
; Kernel info:
; codeLenInByte = 0
; TotalNumSgprs: 0
; NumVgprs: 0
; ScratchSize: 0
; MemoryBound: 0
; FloatMode: 240
; IeeeMode: 1
; LDSByteSize: 0 bytes/workgroup (compile time only)
; SGPRBlocks: 0
; VGPRBlocks: 0
; NumSGPRsForWavesPerEU: 1
; NumVGPRsForWavesPerEU: 1
; Occupancy: 16
; WaveLimiterHint : 0
; COMPUTE_PGM_RSRC2:SCRATCH_EN: 0
; COMPUTE_PGM_RSRC2:USER_SGPR: 2
; COMPUTE_PGM_RSRC2:TRAP_HANDLER: 0
; COMPUTE_PGM_RSRC2:TGID_X_EN: 1
; COMPUTE_PGM_RSRC2:TGID_Y_EN: 0
; COMPUTE_PGM_RSRC2:TGID_Z_EN: 0
; COMPUTE_PGM_RSRC2:TIDIG_COMP_CNT: 0
	.section	.text._ZN7rocprim17ROCPRIM_400000_NS6detail17trampoline_kernelINS0_14default_configENS1_25partition_config_selectorILNS1_17partition_subalgoE5EdNS0_10empty_typeEbEEZZNS1_14partition_implILS5_5ELb0ES3_mN6thrust23THRUST_200600_302600_NS6detail15normal_iteratorINSA_10device_ptrIdEEEEPS6_NSA_18transform_iteratorINSB_9not_fun_tI7is_trueIdEEENSC_INSD_IbEEEENSA_11use_defaultESO_EENS0_5tupleIJSF_S6_EEENSQ_IJSG_SG_EEES6_PlJS6_EEE10hipError_tPvRmT3_T4_T5_T6_T7_T9_mT8_P12ihipStream_tbDpT10_ENKUlT_T0_E_clISt17integral_constantIbLb0EES1C_IbLb1EEEEDaS18_S19_EUlS18_E_NS1_11comp_targetILNS1_3genE2ELNS1_11target_archE906ELNS1_3gpuE6ELNS1_3repE0EEENS1_30default_config_static_selectorELNS0_4arch9wavefront6targetE0EEEvT1_,"axG",@progbits,_ZN7rocprim17ROCPRIM_400000_NS6detail17trampoline_kernelINS0_14default_configENS1_25partition_config_selectorILNS1_17partition_subalgoE5EdNS0_10empty_typeEbEEZZNS1_14partition_implILS5_5ELb0ES3_mN6thrust23THRUST_200600_302600_NS6detail15normal_iteratorINSA_10device_ptrIdEEEEPS6_NSA_18transform_iteratorINSB_9not_fun_tI7is_trueIdEEENSC_INSD_IbEEEENSA_11use_defaultESO_EENS0_5tupleIJSF_S6_EEENSQ_IJSG_SG_EEES6_PlJS6_EEE10hipError_tPvRmT3_T4_T5_T6_T7_T9_mT8_P12ihipStream_tbDpT10_ENKUlT_T0_E_clISt17integral_constantIbLb0EES1C_IbLb1EEEEDaS18_S19_EUlS18_E_NS1_11comp_targetILNS1_3genE2ELNS1_11target_archE906ELNS1_3gpuE6ELNS1_3repE0EEENS1_30default_config_static_selectorELNS0_4arch9wavefront6targetE0EEEvT1_,comdat
	.protected	_ZN7rocprim17ROCPRIM_400000_NS6detail17trampoline_kernelINS0_14default_configENS1_25partition_config_selectorILNS1_17partition_subalgoE5EdNS0_10empty_typeEbEEZZNS1_14partition_implILS5_5ELb0ES3_mN6thrust23THRUST_200600_302600_NS6detail15normal_iteratorINSA_10device_ptrIdEEEEPS6_NSA_18transform_iteratorINSB_9not_fun_tI7is_trueIdEEENSC_INSD_IbEEEENSA_11use_defaultESO_EENS0_5tupleIJSF_S6_EEENSQ_IJSG_SG_EEES6_PlJS6_EEE10hipError_tPvRmT3_T4_T5_T6_T7_T9_mT8_P12ihipStream_tbDpT10_ENKUlT_T0_E_clISt17integral_constantIbLb0EES1C_IbLb1EEEEDaS18_S19_EUlS18_E_NS1_11comp_targetILNS1_3genE2ELNS1_11target_archE906ELNS1_3gpuE6ELNS1_3repE0EEENS1_30default_config_static_selectorELNS0_4arch9wavefront6targetE0EEEvT1_ ; -- Begin function _ZN7rocprim17ROCPRIM_400000_NS6detail17trampoline_kernelINS0_14default_configENS1_25partition_config_selectorILNS1_17partition_subalgoE5EdNS0_10empty_typeEbEEZZNS1_14partition_implILS5_5ELb0ES3_mN6thrust23THRUST_200600_302600_NS6detail15normal_iteratorINSA_10device_ptrIdEEEEPS6_NSA_18transform_iteratorINSB_9not_fun_tI7is_trueIdEEENSC_INSD_IbEEEENSA_11use_defaultESO_EENS0_5tupleIJSF_S6_EEENSQ_IJSG_SG_EEES6_PlJS6_EEE10hipError_tPvRmT3_T4_T5_T6_T7_T9_mT8_P12ihipStream_tbDpT10_ENKUlT_T0_E_clISt17integral_constantIbLb0EES1C_IbLb1EEEEDaS18_S19_EUlS18_E_NS1_11comp_targetILNS1_3genE2ELNS1_11target_archE906ELNS1_3gpuE6ELNS1_3repE0EEENS1_30default_config_static_selectorELNS0_4arch9wavefront6targetE0EEEvT1_
	.globl	_ZN7rocprim17ROCPRIM_400000_NS6detail17trampoline_kernelINS0_14default_configENS1_25partition_config_selectorILNS1_17partition_subalgoE5EdNS0_10empty_typeEbEEZZNS1_14partition_implILS5_5ELb0ES3_mN6thrust23THRUST_200600_302600_NS6detail15normal_iteratorINSA_10device_ptrIdEEEEPS6_NSA_18transform_iteratorINSB_9not_fun_tI7is_trueIdEEENSC_INSD_IbEEEENSA_11use_defaultESO_EENS0_5tupleIJSF_S6_EEENSQ_IJSG_SG_EEES6_PlJS6_EEE10hipError_tPvRmT3_T4_T5_T6_T7_T9_mT8_P12ihipStream_tbDpT10_ENKUlT_T0_E_clISt17integral_constantIbLb0EES1C_IbLb1EEEEDaS18_S19_EUlS18_E_NS1_11comp_targetILNS1_3genE2ELNS1_11target_archE906ELNS1_3gpuE6ELNS1_3repE0EEENS1_30default_config_static_selectorELNS0_4arch9wavefront6targetE0EEEvT1_
	.p2align	8
	.type	_ZN7rocprim17ROCPRIM_400000_NS6detail17trampoline_kernelINS0_14default_configENS1_25partition_config_selectorILNS1_17partition_subalgoE5EdNS0_10empty_typeEbEEZZNS1_14partition_implILS5_5ELb0ES3_mN6thrust23THRUST_200600_302600_NS6detail15normal_iteratorINSA_10device_ptrIdEEEEPS6_NSA_18transform_iteratorINSB_9not_fun_tI7is_trueIdEEENSC_INSD_IbEEEENSA_11use_defaultESO_EENS0_5tupleIJSF_S6_EEENSQ_IJSG_SG_EEES6_PlJS6_EEE10hipError_tPvRmT3_T4_T5_T6_T7_T9_mT8_P12ihipStream_tbDpT10_ENKUlT_T0_E_clISt17integral_constantIbLb0EES1C_IbLb1EEEEDaS18_S19_EUlS18_E_NS1_11comp_targetILNS1_3genE2ELNS1_11target_archE906ELNS1_3gpuE6ELNS1_3repE0EEENS1_30default_config_static_selectorELNS0_4arch9wavefront6targetE0EEEvT1_,@function
_ZN7rocprim17ROCPRIM_400000_NS6detail17trampoline_kernelINS0_14default_configENS1_25partition_config_selectorILNS1_17partition_subalgoE5EdNS0_10empty_typeEbEEZZNS1_14partition_implILS5_5ELb0ES3_mN6thrust23THRUST_200600_302600_NS6detail15normal_iteratorINSA_10device_ptrIdEEEEPS6_NSA_18transform_iteratorINSB_9not_fun_tI7is_trueIdEEENSC_INSD_IbEEEENSA_11use_defaultESO_EENS0_5tupleIJSF_S6_EEENSQ_IJSG_SG_EEES6_PlJS6_EEE10hipError_tPvRmT3_T4_T5_T6_T7_T9_mT8_P12ihipStream_tbDpT10_ENKUlT_T0_E_clISt17integral_constantIbLb0EES1C_IbLb1EEEEDaS18_S19_EUlS18_E_NS1_11comp_targetILNS1_3genE2ELNS1_11target_archE906ELNS1_3gpuE6ELNS1_3repE0EEENS1_30default_config_static_selectorELNS0_4arch9wavefront6targetE0EEEvT1_: ; @_ZN7rocprim17ROCPRIM_400000_NS6detail17trampoline_kernelINS0_14default_configENS1_25partition_config_selectorILNS1_17partition_subalgoE5EdNS0_10empty_typeEbEEZZNS1_14partition_implILS5_5ELb0ES3_mN6thrust23THRUST_200600_302600_NS6detail15normal_iteratorINSA_10device_ptrIdEEEEPS6_NSA_18transform_iteratorINSB_9not_fun_tI7is_trueIdEEENSC_INSD_IbEEEENSA_11use_defaultESO_EENS0_5tupleIJSF_S6_EEENSQ_IJSG_SG_EEES6_PlJS6_EEE10hipError_tPvRmT3_T4_T5_T6_T7_T9_mT8_P12ihipStream_tbDpT10_ENKUlT_T0_E_clISt17integral_constantIbLb0EES1C_IbLb1EEEEDaS18_S19_EUlS18_E_NS1_11comp_targetILNS1_3genE2ELNS1_11target_archE906ELNS1_3gpuE6ELNS1_3repE0EEENS1_30default_config_static_selectorELNS0_4arch9wavefront6targetE0EEEvT1_
; %bb.0:
	.section	.rodata,"a",@progbits
	.p2align	6, 0x0
	.amdhsa_kernel _ZN7rocprim17ROCPRIM_400000_NS6detail17trampoline_kernelINS0_14default_configENS1_25partition_config_selectorILNS1_17partition_subalgoE5EdNS0_10empty_typeEbEEZZNS1_14partition_implILS5_5ELb0ES3_mN6thrust23THRUST_200600_302600_NS6detail15normal_iteratorINSA_10device_ptrIdEEEEPS6_NSA_18transform_iteratorINSB_9not_fun_tI7is_trueIdEEENSC_INSD_IbEEEENSA_11use_defaultESO_EENS0_5tupleIJSF_S6_EEENSQ_IJSG_SG_EEES6_PlJS6_EEE10hipError_tPvRmT3_T4_T5_T6_T7_T9_mT8_P12ihipStream_tbDpT10_ENKUlT_T0_E_clISt17integral_constantIbLb0EES1C_IbLb1EEEEDaS18_S19_EUlS18_E_NS1_11comp_targetILNS1_3genE2ELNS1_11target_archE906ELNS1_3gpuE6ELNS1_3repE0EEENS1_30default_config_static_selectorELNS0_4arch9wavefront6targetE0EEEvT1_
		.amdhsa_group_segment_fixed_size 0
		.amdhsa_private_segment_fixed_size 0
		.amdhsa_kernarg_size 136
		.amdhsa_user_sgpr_count 2
		.amdhsa_user_sgpr_dispatch_ptr 0
		.amdhsa_user_sgpr_queue_ptr 0
		.amdhsa_user_sgpr_kernarg_segment_ptr 1
		.amdhsa_user_sgpr_dispatch_id 0
		.amdhsa_user_sgpr_private_segment_size 0
		.amdhsa_wavefront_size32 1
		.amdhsa_uses_dynamic_stack 0
		.amdhsa_enable_private_segment 0
		.amdhsa_system_sgpr_workgroup_id_x 1
		.amdhsa_system_sgpr_workgroup_id_y 0
		.amdhsa_system_sgpr_workgroup_id_z 0
		.amdhsa_system_sgpr_workgroup_info 0
		.amdhsa_system_vgpr_workitem_id 0
		.amdhsa_next_free_vgpr 1
		.amdhsa_next_free_sgpr 1
		.amdhsa_reserve_vcc 0
		.amdhsa_float_round_mode_32 0
		.amdhsa_float_round_mode_16_64 0
		.amdhsa_float_denorm_mode_32 3
		.amdhsa_float_denorm_mode_16_64 3
		.amdhsa_fp16_overflow 0
		.amdhsa_workgroup_processor_mode 1
		.amdhsa_memory_ordered 1
		.amdhsa_forward_progress 1
		.amdhsa_inst_pref_size 0
		.amdhsa_round_robin_scheduling 0
		.amdhsa_exception_fp_ieee_invalid_op 0
		.amdhsa_exception_fp_denorm_src 0
		.amdhsa_exception_fp_ieee_div_zero 0
		.amdhsa_exception_fp_ieee_overflow 0
		.amdhsa_exception_fp_ieee_underflow 0
		.amdhsa_exception_fp_ieee_inexact 0
		.amdhsa_exception_int_div_zero 0
	.end_amdhsa_kernel
	.section	.text._ZN7rocprim17ROCPRIM_400000_NS6detail17trampoline_kernelINS0_14default_configENS1_25partition_config_selectorILNS1_17partition_subalgoE5EdNS0_10empty_typeEbEEZZNS1_14partition_implILS5_5ELb0ES3_mN6thrust23THRUST_200600_302600_NS6detail15normal_iteratorINSA_10device_ptrIdEEEEPS6_NSA_18transform_iteratorINSB_9not_fun_tI7is_trueIdEEENSC_INSD_IbEEEENSA_11use_defaultESO_EENS0_5tupleIJSF_S6_EEENSQ_IJSG_SG_EEES6_PlJS6_EEE10hipError_tPvRmT3_T4_T5_T6_T7_T9_mT8_P12ihipStream_tbDpT10_ENKUlT_T0_E_clISt17integral_constantIbLb0EES1C_IbLb1EEEEDaS18_S19_EUlS18_E_NS1_11comp_targetILNS1_3genE2ELNS1_11target_archE906ELNS1_3gpuE6ELNS1_3repE0EEENS1_30default_config_static_selectorELNS0_4arch9wavefront6targetE0EEEvT1_,"axG",@progbits,_ZN7rocprim17ROCPRIM_400000_NS6detail17trampoline_kernelINS0_14default_configENS1_25partition_config_selectorILNS1_17partition_subalgoE5EdNS0_10empty_typeEbEEZZNS1_14partition_implILS5_5ELb0ES3_mN6thrust23THRUST_200600_302600_NS6detail15normal_iteratorINSA_10device_ptrIdEEEEPS6_NSA_18transform_iteratorINSB_9not_fun_tI7is_trueIdEEENSC_INSD_IbEEEENSA_11use_defaultESO_EENS0_5tupleIJSF_S6_EEENSQ_IJSG_SG_EEES6_PlJS6_EEE10hipError_tPvRmT3_T4_T5_T6_T7_T9_mT8_P12ihipStream_tbDpT10_ENKUlT_T0_E_clISt17integral_constantIbLb0EES1C_IbLb1EEEEDaS18_S19_EUlS18_E_NS1_11comp_targetILNS1_3genE2ELNS1_11target_archE906ELNS1_3gpuE6ELNS1_3repE0EEENS1_30default_config_static_selectorELNS0_4arch9wavefront6targetE0EEEvT1_,comdat
.Lfunc_end2361:
	.size	_ZN7rocprim17ROCPRIM_400000_NS6detail17trampoline_kernelINS0_14default_configENS1_25partition_config_selectorILNS1_17partition_subalgoE5EdNS0_10empty_typeEbEEZZNS1_14partition_implILS5_5ELb0ES3_mN6thrust23THRUST_200600_302600_NS6detail15normal_iteratorINSA_10device_ptrIdEEEEPS6_NSA_18transform_iteratorINSB_9not_fun_tI7is_trueIdEEENSC_INSD_IbEEEENSA_11use_defaultESO_EENS0_5tupleIJSF_S6_EEENSQ_IJSG_SG_EEES6_PlJS6_EEE10hipError_tPvRmT3_T4_T5_T6_T7_T9_mT8_P12ihipStream_tbDpT10_ENKUlT_T0_E_clISt17integral_constantIbLb0EES1C_IbLb1EEEEDaS18_S19_EUlS18_E_NS1_11comp_targetILNS1_3genE2ELNS1_11target_archE906ELNS1_3gpuE6ELNS1_3repE0EEENS1_30default_config_static_selectorELNS0_4arch9wavefront6targetE0EEEvT1_, .Lfunc_end2361-_ZN7rocprim17ROCPRIM_400000_NS6detail17trampoline_kernelINS0_14default_configENS1_25partition_config_selectorILNS1_17partition_subalgoE5EdNS0_10empty_typeEbEEZZNS1_14partition_implILS5_5ELb0ES3_mN6thrust23THRUST_200600_302600_NS6detail15normal_iteratorINSA_10device_ptrIdEEEEPS6_NSA_18transform_iteratorINSB_9not_fun_tI7is_trueIdEEENSC_INSD_IbEEEENSA_11use_defaultESO_EENS0_5tupleIJSF_S6_EEENSQ_IJSG_SG_EEES6_PlJS6_EEE10hipError_tPvRmT3_T4_T5_T6_T7_T9_mT8_P12ihipStream_tbDpT10_ENKUlT_T0_E_clISt17integral_constantIbLb0EES1C_IbLb1EEEEDaS18_S19_EUlS18_E_NS1_11comp_targetILNS1_3genE2ELNS1_11target_archE906ELNS1_3gpuE6ELNS1_3repE0EEENS1_30default_config_static_selectorELNS0_4arch9wavefront6targetE0EEEvT1_
                                        ; -- End function
	.set _ZN7rocprim17ROCPRIM_400000_NS6detail17trampoline_kernelINS0_14default_configENS1_25partition_config_selectorILNS1_17partition_subalgoE5EdNS0_10empty_typeEbEEZZNS1_14partition_implILS5_5ELb0ES3_mN6thrust23THRUST_200600_302600_NS6detail15normal_iteratorINSA_10device_ptrIdEEEEPS6_NSA_18transform_iteratorINSB_9not_fun_tI7is_trueIdEEENSC_INSD_IbEEEENSA_11use_defaultESO_EENS0_5tupleIJSF_S6_EEENSQ_IJSG_SG_EEES6_PlJS6_EEE10hipError_tPvRmT3_T4_T5_T6_T7_T9_mT8_P12ihipStream_tbDpT10_ENKUlT_T0_E_clISt17integral_constantIbLb0EES1C_IbLb1EEEEDaS18_S19_EUlS18_E_NS1_11comp_targetILNS1_3genE2ELNS1_11target_archE906ELNS1_3gpuE6ELNS1_3repE0EEENS1_30default_config_static_selectorELNS0_4arch9wavefront6targetE0EEEvT1_.num_vgpr, 0
	.set _ZN7rocprim17ROCPRIM_400000_NS6detail17trampoline_kernelINS0_14default_configENS1_25partition_config_selectorILNS1_17partition_subalgoE5EdNS0_10empty_typeEbEEZZNS1_14partition_implILS5_5ELb0ES3_mN6thrust23THRUST_200600_302600_NS6detail15normal_iteratorINSA_10device_ptrIdEEEEPS6_NSA_18transform_iteratorINSB_9not_fun_tI7is_trueIdEEENSC_INSD_IbEEEENSA_11use_defaultESO_EENS0_5tupleIJSF_S6_EEENSQ_IJSG_SG_EEES6_PlJS6_EEE10hipError_tPvRmT3_T4_T5_T6_T7_T9_mT8_P12ihipStream_tbDpT10_ENKUlT_T0_E_clISt17integral_constantIbLb0EES1C_IbLb1EEEEDaS18_S19_EUlS18_E_NS1_11comp_targetILNS1_3genE2ELNS1_11target_archE906ELNS1_3gpuE6ELNS1_3repE0EEENS1_30default_config_static_selectorELNS0_4arch9wavefront6targetE0EEEvT1_.num_agpr, 0
	.set _ZN7rocprim17ROCPRIM_400000_NS6detail17trampoline_kernelINS0_14default_configENS1_25partition_config_selectorILNS1_17partition_subalgoE5EdNS0_10empty_typeEbEEZZNS1_14partition_implILS5_5ELb0ES3_mN6thrust23THRUST_200600_302600_NS6detail15normal_iteratorINSA_10device_ptrIdEEEEPS6_NSA_18transform_iteratorINSB_9not_fun_tI7is_trueIdEEENSC_INSD_IbEEEENSA_11use_defaultESO_EENS0_5tupleIJSF_S6_EEENSQ_IJSG_SG_EEES6_PlJS6_EEE10hipError_tPvRmT3_T4_T5_T6_T7_T9_mT8_P12ihipStream_tbDpT10_ENKUlT_T0_E_clISt17integral_constantIbLb0EES1C_IbLb1EEEEDaS18_S19_EUlS18_E_NS1_11comp_targetILNS1_3genE2ELNS1_11target_archE906ELNS1_3gpuE6ELNS1_3repE0EEENS1_30default_config_static_selectorELNS0_4arch9wavefront6targetE0EEEvT1_.numbered_sgpr, 0
	.set _ZN7rocprim17ROCPRIM_400000_NS6detail17trampoline_kernelINS0_14default_configENS1_25partition_config_selectorILNS1_17partition_subalgoE5EdNS0_10empty_typeEbEEZZNS1_14partition_implILS5_5ELb0ES3_mN6thrust23THRUST_200600_302600_NS6detail15normal_iteratorINSA_10device_ptrIdEEEEPS6_NSA_18transform_iteratorINSB_9not_fun_tI7is_trueIdEEENSC_INSD_IbEEEENSA_11use_defaultESO_EENS0_5tupleIJSF_S6_EEENSQ_IJSG_SG_EEES6_PlJS6_EEE10hipError_tPvRmT3_T4_T5_T6_T7_T9_mT8_P12ihipStream_tbDpT10_ENKUlT_T0_E_clISt17integral_constantIbLb0EES1C_IbLb1EEEEDaS18_S19_EUlS18_E_NS1_11comp_targetILNS1_3genE2ELNS1_11target_archE906ELNS1_3gpuE6ELNS1_3repE0EEENS1_30default_config_static_selectorELNS0_4arch9wavefront6targetE0EEEvT1_.num_named_barrier, 0
	.set _ZN7rocprim17ROCPRIM_400000_NS6detail17trampoline_kernelINS0_14default_configENS1_25partition_config_selectorILNS1_17partition_subalgoE5EdNS0_10empty_typeEbEEZZNS1_14partition_implILS5_5ELb0ES3_mN6thrust23THRUST_200600_302600_NS6detail15normal_iteratorINSA_10device_ptrIdEEEEPS6_NSA_18transform_iteratorINSB_9not_fun_tI7is_trueIdEEENSC_INSD_IbEEEENSA_11use_defaultESO_EENS0_5tupleIJSF_S6_EEENSQ_IJSG_SG_EEES6_PlJS6_EEE10hipError_tPvRmT3_T4_T5_T6_T7_T9_mT8_P12ihipStream_tbDpT10_ENKUlT_T0_E_clISt17integral_constantIbLb0EES1C_IbLb1EEEEDaS18_S19_EUlS18_E_NS1_11comp_targetILNS1_3genE2ELNS1_11target_archE906ELNS1_3gpuE6ELNS1_3repE0EEENS1_30default_config_static_selectorELNS0_4arch9wavefront6targetE0EEEvT1_.private_seg_size, 0
	.set _ZN7rocprim17ROCPRIM_400000_NS6detail17trampoline_kernelINS0_14default_configENS1_25partition_config_selectorILNS1_17partition_subalgoE5EdNS0_10empty_typeEbEEZZNS1_14partition_implILS5_5ELb0ES3_mN6thrust23THRUST_200600_302600_NS6detail15normal_iteratorINSA_10device_ptrIdEEEEPS6_NSA_18transform_iteratorINSB_9not_fun_tI7is_trueIdEEENSC_INSD_IbEEEENSA_11use_defaultESO_EENS0_5tupleIJSF_S6_EEENSQ_IJSG_SG_EEES6_PlJS6_EEE10hipError_tPvRmT3_T4_T5_T6_T7_T9_mT8_P12ihipStream_tbDpT10_ENKUlT_T0_E_clISt17integral_constantIbLb0EES1C_IbLb1EEEEDaS18_S19_EUlS18_E_NS1_11comp_targetILNS1_3genE2ELNS1_11target_archE906ELNS1_3gpuE6ELNS1_3repE0EEENS1_30default_config_static_selectorELNS0_4arch9wavefront6targetE0EEEvT1_.uses_vcc, 0
	.set _ZN7rocprim17ROCPRIM_400000_NS6detail17trampoline_kernelINS0_14default_configENS1_25partition_config_selectorILNS1_17partition_subalgoE5EdNS0_10empty_typeEbEEZZNS1_14partition_implILS5_5ELb0ES3_mN6thrust23THRUST_200600_302600_NS6detail15normal_iteratorINSA_10device_ptrIdEEEEPS6_NSA_18transform_iteratorINSB_9not_fun_tI7is_trueIdEEENSC_INSD_IbEEEENSA_11use_defaultESO_EENS0_5tupleIJSF_S6_EEENSQ_IJSG_SG_EEES6_PlJS6_EEE10hipError_tPvRmT3_T4_T5_T6_T7_T9_mT8_P12ihipStream_tbDpT10_ENKUlT_T0_E_clISt17integral_constantIbLb0EES1C_IbLb1EEEEDaS18_S19_EUlS18_E_NS1_11comp_targetILNS1_3genE2ELNS1_11target_archE906ELNS1_3gpuE6ELNS1_3repE0EEENS1_30default_config_static_selectorELNS0_4arch9wavefront6targetE0EEEvT1_.uses_flat_scratch, 0
	.set _ZN7rocprim17ROCPRIM_400000_NS6detail17trampoline_kernelINS0_14default_configENS1_25partition_config_selectorILNS1_17partition_subalgoE5EdNS0_10empty_typeEbEEZZNS1_14partition_implILS5_5ELb0ES3_mN6thrust23THRUST_200600_302600_NS6detail15normal_iteratorINSA_10device_ptrIdEEEEPS6_NSA_18transform_iteratorINSB_9not_fun_tI7is_trueIdEEENSC_INSD_IbEEEENSA_11use_defaultESO_EENS0_5tupleIJSF_S6_EEENSQ_IJSG_SG_EEES6_PlJS6_EEE10hipError_tPvRmT3_T4_T5_T6_T7_T9_mT8_P12ihipStream_tbDpT10_ENKUlT_T0_E_clISt17integral_constantIbLb0EES1C_IbLb1EEEEDaS18_S19_EUlS18_E_NS1_11comp_targetILNS1_3genE2ELNS1_11target_archE906ELNS1_3gpuE6ELNS1_3repE0EEENS1_30default_config_static_selectorELNS0_4arch9wavefront6targetE0EEEvT1_.has_dyn_sized_stack, 0
	.set _ZN7rocprim17ROCPRIM_400000_NS6detail17trampoline_kernelINS0_14default_configENS1_25partition_config_selectorILNS1_17partition_subalgoE5EdNS0_10empty_typeEbEEZZNS1_14partition_implILS5_5ELb0ES3_mN6thrust23THRUST_200600_302600_NS6detail15normal_iteratorINSA_10device_ptrIdEEEEPS6_NSA_18transform_iteratorINSB_9not_fun_tI7is_trueIdEEENSC_INSD_IbEEEENSA_11use_defaultESO_EENS0_5tupleIJSF_S6_EEENSQ_IJSG_SG_EEES6_PlJS6_EEE10hipError_tPvRmT3_T4_T5_T6_T7_T9_mT8_P12ihipStream_tbDpT10_ENKUlT_T0_E_clISt17integral_constantIbLb0EES1C_IbLb1EEEEDaS18_S19_EUlS18_E_NS1_11comp_targetILNS1_3genE2ELNS1_11target_archE906ELNS1_3gpuE6ELNS1_3repE0EEENS1_30default_config_static_selectorELNS0_4arch9wavefront6targetE0EEEvT1_.has_recursion, 0
	.set _ZN7rocprim17ROCPRIM_400000_NS6detail17trampoline_kernelINS0_14default_configENS1_25partition_config_selectorILNS1_17partition_subalgoE5EdNS0_10empty_typeEbEEZZNS1_14partition_implILS5_5ELb0ES3_mN6thrust23THRUST_200600_302600_NS6detail15normal_iteratorINSA_10device_ptrIdEEEEPS6_NSA_18transform_iteratorINSB_9not_fun_tI7is_trueIdEEENSC_INSD_IbEEEENSA_11use_defaultESO_EENS0_5tupleIJSF_S6_EEENSQ_IJSG_SG_EEES6_PlJS6_EEE10hipError_tPvRmT3_T4_T5_T6_T7_T9_mT8_P12ihipStream_tbDpT10_ENKUlT_T0_E_clISt17integral_constantIbLb0EES1C_IbLb1EEEEDaS18_S19_EUlS18_E_NS1_11comp_targetILNS1_3genE2ELNS1_11target_archE906ELNS1_3gpuE6ELNS1_3repE0EEENS1_30default_config_static_selectorELNS0_4arch9wavefront6targetE0EEEvT1_.has_indirect_call, 0
	.section	.AMDGPU.csdata,"",@progbits
; Kernel info:
; codeLenInByte = 0
; TotalNumSgprs: 0
; NumVgprs: 0
; ScratchSize: 0
; MemoryBound: 0
; FloatMode: 240
; IeeeMode: 1
; LDSByteSize: 0 bytes/workgroup (compile time only)
; SGPRBlocks: 0
; VGPRBlocks: 0
; NumSGPRsForWavesPerEU: 1
; NumVGPRsForWavesPerEU: 1
; Occupancy: 16
; WaveLimiterHint : 0
; COMPUTE_PGM_RSRC2:SCRATCH_EN: 0
; COMPUTE_PGM_RSRC2:USER_SGPR: 2
; COMPUTE_PGM_RSRC2:TRAP_HANDLER: 0
; COMPUTE_PGM_RSRC2:TGID_X_EN: 1
; COMPUTE_PGM_RSRC2:TGID_Y_EN: 0
; COMPUTE_PGM_RSRC2:TGID_Z_EN: 0
; COMPUTE_PGM_RSRC2:TIDIG_COMP_CNT: 0
	.section	.text._ZN7rocprim17ROCPRIM_400000_NS6detail17trampoline_kernelINS0_14default_configENS1_25partition_config_selectorILNS1_17partition_subalgoE5EdNS0_10empty_typeEbEEZZNS1_14partition_implILS5_5ELb0ES3_mN6thrust23THRUST_200600_302600_NS6detail15normal_iteratorINSA_10device_ptrIdEEEEPS6_NSA_18transform_iteratorINSB_9not_fun_tI7is_trueIdEEENSC_INSD_IbEEEENSA_11use_defaultESO_EENS0_5tupleIJSF_S6_EEENSQ_IJSG_SG_EEES6_PlJS6_EEE10hipError_tPvRmT3_T4_T5_T6_T7_T9_mT8_P12ihipStream_tbDpT10_ENKUlT_T0_E_clISt17integral_constantIbLb0EES1C_IbLb1EEEEDaS18_S19_EUlS18_E_NS1_11comp_targetILNS1_3genE10ELNS1_11target_archE1200ELNS1_3gpuE4ELNS1_3repE0EEENS1_30default_config_static_selectorELNS0_4arch9wavefront6targetE0EEEvT1_,"axG",@progbits,_ZN7rocprim17ROCPRIM_400000_NS6detail17trampoline_kernelINS0_14default_configENS1_25partition_config_selectorILNS1_17partition_subalgoE5EdNS0_10empty_typeEbEEZZNS1_14partition_implILS5_5ELb0ES3_mN6thrust23THRUST_200600_302600_NS6detail15normal_iteratorINSA_10device_ptrIdEEEEPS6_NSA_18transform_iteratorINSB_9not_fun_tI7is_trueIdEEENSC_INSD_IbEEEENSA_11use_defaultESO_EENS0_5tupleIJSF_S6_EEENSQ_IJSG_SG_EEES6_PlJS6_EEE10hipError_tPvRmT3_T4_T5_T6_T7_T9_mT8_P12ihipStream_tbDpT10_ENKUlT_T0_E_clISt17integral_constantIbLb0EES1C_IbLb1EEEEDaS18_S19_EUlS18_E_NS1_11comp_targetILNS1_3genE10ELNS1_11target_archE1200ELNS1_3gpuE4ELNS1_3repE0EEENS1_30default_config_static_selectorELNS0_4arch9wavefront6targetE0EEEvT1_,comdat
	.protected	_ZN7rocprim17ROCPRIM_400000_NS6detail17trampoline_kernelINS0_14default_configENS1_25partition_config_selectorILNS1_17partition_subalgoE5EdNS0_10empty_typeEbEEZZNS1_14partition_implILS5_5ELb0ES3_mN6thrust23THRUST_200600_302600_NS6detail15normal_iteratorINSA_10device_ptrIdEEEEPS6_NSA_18transform_iteratorINSB_9not_fun_tI7is_trueIdEEENSC_INSD_IbEEEENSA_11use_defaultESO_EENS0_5tupleIJSF_S6_EEENSQ_IJSG_SG_EEES6_PlJS6_EEE10hipError_tPvRmT3_T4_T5_T6_T7_T9_mT8_P12ihipStream_tbDpT10_ENKUlT_T0_E_clISt17integral_constantIbLb0EES1C_IbLb1EEEEDaS18_S19_EUlS18_E_NS1_11comp_targetILNS1_3genE10ELNS1_11target_archE1200ELNS1_3gpuE4ELNS1_3repE0EEENS1_30default_config_static_selectorELNS0_4arch9wavefront6targetE0EEEvT1_ ; -- Begin function _ZN7rocprim17ROCPRIM_400000_NS6detail17trampoline_kernelINS0_14default_configENS1_25partition_config_selectorILNS1_17partition_subalgoE5EdNS0_10empty_typeEbEEZZNS1_14partition_implILS5_5ELb0ES3_mN6thrust23THRUST_200600_302600_NS6detail15normal_iteratorINSA_10device_ptrIdEEEEPS6_NSA_18transform_iteratorINSB_9not_fun_tI7is_trueIdEEENSC_INSD_IbEEEENSA_11use_defaultESO_EENS0_5tupleIJSF_S6_EEENSQ_IJSG_SG_EEES6_PlJS6_EEE10hipError_tPvRmT3_T4_T5_T6_T7_T9_mT8_P12ihipStream_tbDpT10_ENKUlT_T0_E_clISt17integral_constantIbLb0EES1C_IbLb1EEEEDaS18_S19_EUlS18_E_NS1_11comp_targetILNS1_3genE10ELNS1_11target_archE1200ELNS1_3gpuE4ELNS1_3repE0EEENS1_30default_config_static_selectorELNS0_4arch9wavefront6targetE0EEEvT1_
	.globl	_ZN7rocprim17ROCPRIM_400000_NS6detail17trampoline_kernelINS0_14default_configENS1_25partition_config_selectorILNS1_17partition_subalgoE5EdNS0_10empty_typeEbEEZZNS1_14partition_implILS5_5ELb0ES3_mN6thrust23THRUST_200600_302600_NS6detail15normal_iteratorINSA_10device_ptrIdEEEEPS6_NSA_18transform_iteratorINSB_9not_fun_tI7is_trueIdEEENSC_INSD_IbEEEENSA_11use_defaultESO_EENS0_5tupleIJSF_S6_EEENSQ_IJSG_SG_EEES6_PlJS6_EEE10hipError_tPvRmT3_T4_T5_T6_T7_T9_mT8_P12ihipStream_tbDpT10_ENKUlT_T0_E_clISt17integral_constantIbLb0EES1C_IbLb1EEEEDaS18_S19_EUlS18_E_NS1_11comp_targetILNS1_3genE10ELNS1_11target_archE1200ELNS1_3gpuE4ELNS1_3repE0EEENS1_30default_config_static_selectorELNS0_4arch9wavefront6targetE0EEEvT1_
	.p2align	8
	.type	_ZN7rocprim17ROCPRIM_400000_NS6detail17trampoline_kernelINS0_14default_configENS1_25partition_config_selectorILNS1_17partition_subalgoE5EdNS0_10empty_typeEbEEZZNS1_14partition_implILS5_5ELb0ES3_mN6thrust23THRUST_200600_302600_NS6detail15normal_iteratorINSA_10device_ptrIdEEEEPS6_NSA_18transform_iteratorINSB_9not_fun_tI7is_trueIdEEENSC_INSD_IbEEEENSA_11use_defaultESO_EENS0_5tupleIJSF_S6_EEENSQ_IJSG_SG_EEES6_PlJS6_EEE10hipError_tPvRmT3_T4_T5_T6_T7_T9_mT8_P12ihipStream_tbDpT10_ENKUlT_T0_E_clISt17integral_constantIbLb0EES1C_IbLb1EEEEDaS18_S19_EUlS18_E_NS1_11comp_targetILNS1_3genE10ELNS1_11target_archE1200ELNS1_3gpuE4ELNS1_3repE0EEENS1_30default_config_static_selectorELNS0_4arch9wavefront6targetE0EEEvT1_,@function
_ZN7rocprim17ROCPRIM_400000_NS6detail17trampoline_kernelINS0_14default_configENS1_25partition_config_selectorILNS1_17partition_subalgoE5EdNS0_10empty_typeEbEEZZNS1_14partition_implILS5_5ELb0ES3_mN6thrust23THRUST_200600_302600_NS6detail15normal_iteratorINSA_10device_ptrIdEEEEPS6_NSA_18transform_iteratorINSB_9not_fun_tI7is_trueIdEEENSC_INSD_IbEEEENSA_11use_defaultESO_EENS0_5tupleIJSF_S6_EEENSQ_IJSG_SG_EEES6_PlJS6_EEE10hipError_tPvRmT3_T4_T5_T6_T7_T9_mT8_P12ihipStream_tbDpT10_ENKUlT_T0_E_clISt17integral_constantIbLb0EES1C_IbLb1EEEEDaS18_S19_EUlS18_E_NS1_11comp_targetILNS1_3genE10ELNS1_11target_archE1200ELNS1_3gpuE4ELNS1_3repE0EEENS1_30default_config_static_selectorELNS0_4arch9wavefront6targetE0EEEvT1_: ; @_ZN7rocprim17ROCPRIM_400000_NS6detail17trampoline_kernelINS0_14default_configENS1_25partition_config_selectorILNS1_17partition_subalgoE5EdNS0_10empty_typeEbEEZZNS1_14partition_implILS5_5ELb0ES3_mN6thrust23THRUST_200600_302600_NS6detail15normal_iteratorINSA_10device_ptrIdEEEEPS6_NSA_18transform_iteratorINSB_9not_fun_tI7is_trueIdEEENSC_INSD_IbEEEENSA_11use_defaultESO_EENS0_5tupleIJSF_S6_EEENSQ_IJSG_SG_EEES6_PlJS6_EEE10hipError_tPvRmT3_T4_T5_T6_T7_T9_mT8_P12ihipStream_tbDpT10_ENKUlT_T0_E_clISt17integral_constantIbLb0EES1C_IbLb1EEEEDaS18_S19_EUlS18_E_NS1_11comp_targetILNS1_3genE10ELNS1_11target_archE1200ELNS1_3gpuE4ELNS1_3repE0EEENS1_30default_config_static_selectorELNS0_4arch9wavefront6targetE0EEEvT1_
; %bb.0:
	s_clause 0x3
	s_load_b64 s[12:13], s[0:1], 0x30
	s_load_b128 s[8:11], s[0:1], 0x48
	s_load_b64 s[18:19], s[0:1], 0x58
	s_load_b64 s[14:15], s[0:1], 0x68
	v_cmp_eq_u32_e64 s2, 0, v0
	s_and_saveexec_b32 s3, s2
	s_cbranch_execz .LBB2362_4
; %bb.1:
	s_mov_b32 s5, exec_lo
	s_mov_b32 s4, exec_lo
	v_mbcnt_lo_u32_b32 v1, s5, 0
                                        ; implicit-def: $vgpr2
	s_delay_alu instid0(VALU_DEP_1)
	v_cmpx_eq_u32_e32 0, v1
	s_cbranch_execz .LBB2362_3
; %bb.2:
	s_load_b64 s[6:7], s[0:1], 0x78
	s_bcnt1_i32_b32 s5, s5
	s_wait_alu 0xfffe
	v_dual_mov_b32 v2, 0 :: v_dual_mov_b32 v3, s5
	s_wait_kmcnt 0x0
	global_atomic_add_u32 v2, v2, v3, s[6:7] th:TH_ATOMIC_RETURN scope:SCOPE_DEV
.LBB2362_3:
	s_or_b32 exec_lo, exec_lo, s4
	s_wait_loadcnt 0x0
	v_readfirstlane_b32 s4, v2
	s_wait_alu 0xf1ff
	s_delay_alu instid0(VALU_DEP_1)
	v_dual_mov_b32 v2, 0 :: v_dual_add_nc_u32 v1, s4, v1
	ds_store_b32 v2, v1
.LBB2362_4:
	s_or_b32 exec_lo, exec_lo, s3
	v_mov_b32_e32 v1, 0
	s_clause 0x2
	s_load_b128 s[4:7], s[0:1], 0x8
	s_load_b64 s[16:17], s[0:1], 0x20
	s_load_b32 s0, s[0:1], 0x70
	s_wait_dscnt 0x0
	s_barrier_signal -1
	s_barrier_wait -1
	global_inv scope:SCOPE_SE
	ds_load_b32 v2, v1
	s_wait_loadcnt_dscnt 0x0
	s_barrier_signal -1
	s_barrier_wait -1
	global_inv scope:SCOPE_SE
	s_wait_kmcnt 0x0
	global_load_b64 v[17:18], v1, s[10:11]
	s_lshl_b64 s[10:11], s[6:7], 3
	s_delay_alu instid0(SALU_CYCLE_1)
	s_add_nc_u64 s[10:11], s[4:5], s[10:11]
	s_mul_i32 s4, s0, 0x500
	s_mov_b32 s5, 0
	s_wait_alu 0xfffe
	s_add_co_i32 s21, s4, s6
	s_add_co_i32 s3, s0, -1
	v_readfirstlane_b32 s20, v2
	s_add_nc_u64 s[0:1], s[6:7], s[4:5]
	s_sub_co_i32 s21, s18, s21
	v_cmp_le_u64_e64 s0, s[18:19], s[0:1]
	s_addk_co_i32 s21, 0x500
	s_cmp_eq_u32 s20, s3
	s_mul_i32 s4, s20, 0x500
	s_cselect_b32 s18, -1, 0
	s_wait_alu 0xfffe
	s_lshl_b64 s[22:23], s[4:5], 3
	s_and_b32 s0, s0, s18
	s_mov_b32 s1, -1
	s_wait_alu 0xfffe
	s_xor_b32 s19, s0, -1
	s_add_nc_u64 s[10:11], s[10:11], s[22:23]
	s_wait_alu 0xfffe
	s_and_b32 vcc_lo, exec_lo, s19
	s_cbranch_vccz .LBB2362_6
; %bb.5:
	v_lshlrev_b32_e32 v11, 3, v0
	s_mov_b32 s1, s5
	s_delay_alu instid0(VALU_DEP_1)
	v_add_co_u32 v1, s0, s10, v11
	s_wait_alu 0xf1ff
	v_add_co_ci_u32_e64 v2, null, s11, 0, s0
	s_clause 0x4
	flat_load_b64 v[3:4], v[1:2]
	flat_load_b64 v[5:6], v[1:2] offset:2048
	flat_load_b64 v[7:8], v[1:2] offset:4096
	;; [unrolled: 1-line block ×4, first 2 shown]
	s_wait_loadcnt_dscnt 0x303
	ds_store_2addr_stride64_b64 v11, v[3:4], v[5:6] offset1:4
	s_wait_loadcnt_dscnt 0x102
	ds_store_2addr_stride64_b64 v11, v[7:8], v[9:10] offset0:8 offset1:12
	s_wait_loadcnt_dscnt 0x2
	ds_store_b64 v11, v[1:2] offset:8192
	s_wait_dscnt 0x0
	s_barrier_signal -1
	s_barrier_wait -1
.LBB2362_6:
	v_cmp_gt_u32_e64 s0, s21, v0
	s_wait_alu 0xfffe
	s_and_not1_b32 vcc_lo, exec_lo, s1
	s_cbranch_vccnz .LBB2362_18
; %bb.7:
	v_mov_b32_e32 v1, 0
	s_delay_alu instid0(VALU_DEP_1)
	v_dual_mov_b32 v2, v1 :: v_dual_mov_b32 v3, v1
	v_dual_mov_b32 v4, v1 :: v_dual_mov_b32 v5, v1
	v_dual_mov_b32 v6, v1 :: v_dual_mov_b32 v7, v1
	v_dual_mov_b32 v8, v1 :: v_dual_mov_b32 v9, v1
	v_mov_b32_e32 v10, v1
	s_and_saveexec_b32 s1, s0
	s_cbranch_execz .LBB2362_9
; %bb.8:
	v_dual_mov_b32 v5, v1 :: v_dual_lshlrev_b32 v2, 3, v0
	v_dual_mov_b32 v4, v1 :: v_dual_mov_b32 v7, v1
	v_dual_mov_b32 v6, v1 :: v_dual_mov_b32 v9, v1
	s_delay_alu instid0(VALU_DEP_3)
	v_add_co_u32 v2, s0, s10, v2
	s_wait_alu 0xf1ff
	v_add_co_ci_u32_e64 v3, null, s11, 0, s0
	v_dual_mov_b32 v8, v1 :: v_dual_mov_b32 v11, v1
	v_mov_b32_e32 v10, v1
	flat_load_b64 v[2:3], v[2:3]
	s_wait_loadcnt_dscnt 0x0
	v_mov_b32_e32 v1, v2
	v_mov_b32_e32 v2, v3
	;; [unrolled: 1-line block ×16, first 2 shown]
.LBB2362_9:
	s_wait_alu 0xfffe
	s_or_b32 exec_lo, exec_lo, s1
	v_or_b32_e32 v11, 0x100, v0
	s_mov_b32 s0, exec_lo
	s_delay_alu instid0(VALU_DEP_1)
	v_cmpx_gt_u32_e64 s21, v11
	s_cbranch_execz .LBB2362_11
; %bb.10:
	v_lshlrev_b32_e32 v3, 3, v0
	s_delay_alu instid0(VALU_DEP_1)
	v_add_co_u32 v3, s1, s10, v3
	s_wait_alu 0xf1ff
	v_add_co_ci_u32_e64 v4, null, s11, 0, s1
	flat_load_b64 v[3:4], v[3:4] offset:2048
.LBB2362_11:
	s_wait_alu 0xfffe
	s_or_b32 exec_lo, exec_lo, s0
	v_or_b32_e32 v11, 0x200, v0
	s_mov_b32 s0, exec_lo
	s_delay_alu instid0(VALU_DEP_1)
	v_cmpx_gt_u32_e64 s21, v11
	s_cbranch_execz .LBB2362_13
; %bb.12:
	v_lshlrev_b32_e32 v5, 3, v0
	s_delay_alu instid0(VALU_DEP_1)
	v_add_co_u32 v5, s1, s10, v5
	s_wait_alu 0xf1ff
	v_add_co_ci_u32_e64 v6, null, s11, 0, s1
	flat_load_b64 v[5:6], v[5:6] offset:4096
.LBB2362_13:
	;; [unrolled: 15-line block ×4, first 2 shown]
	s_wait_alu 0xfffe
	s_or_b32 exec_lo, exec_lo, s0
	v_lshlrev_b32_e32 v11, 3, v0
	s_wait_loadcnt_dscnt 0x0
	ds_store_2addr_stride64_b64 v11, v[1:2], v[3:4] offset1:4
	ds_store_2addr_stride64_b64 v11, v[5:6], v[7:8] offset0:8 offset1:12
	ds_store_b64 v11, v[9:10] offset:8192
	s_wait_dscnt 0x0
	s_barrier_signal -1
	s_barrier_wait -1
.LBB2362_18:
	v_mul_u32_u24_e32 v1, 5, v0
	s_wait_loadcnt 0x0
	global_inv scope:SCOPE_SE
	s_add_nc_u64 s[0:1], s[16:17], s[6:7]
	s_and_b32 vcc_lo, exec_lo, s19
	s_wait_alu 0xfffe
	s_add_nc_u64 s[6:7], s[0:1], s[4:5]
	v_lshlrev_b32_e32 v9, 3, v1
	s_mov_b32 s5, -1
	ds_load_2addr_b64 v[5:8], v9 offset1:1
	ds_load_2addr_b64 v[1:4], v9 offset0:2 offset1:3
	ds_load_b64 v[19:20], v9 offset:32
	s_wait_loadcnt_dscnt 0x0
	s_barrier_signal -1
	s_barrier_wait -1
	global_inv scope:SCOPE_SE
	s_cbranch_vccz .LBB2362_20
; %bb.19:
	s_clause 0x4
	global_load_u8 v10, v0, s[6:7]
	global_load_u8 v11, v0, s[6:7] offset:256
	global_load_u8 v12, v0, s[6:7] offset:512
	;; [unrolled: 1-line block ×4, first 2 shown]
	s_mov_b32 s5, 0
	s_wait_loadcnt 0x4
	v_and_b32_e32 v10, 1, v10
	s_wait_loadcnt 0x3
	v_and_b32_e32 v11, 1, v11
	;; [unrolled: 2-line block ×5, first 2 shown]
	v_cmp_eq_u32_e32 vcc_lo, 1, v10
	v_cmp_eq_u32_e64 s0, 1, v11
	v_cmp_eq_u32_e64 s1, 1, v12
	v_cmp_eq_u32_e64 s3, 1, v13
	v_cmp_eq_u32_e64 s4, 1, v14
	s_xor_b32 s10, vcc_lo, -1
	s_xor_b32 s0, s0, -1
	s_wait_alu 0xfffe
	v_cndmask_b32_e64 v10, 0, 1, s10
	v_cndmask_b32_e64 v11, 0, 1, s0
	s_xor_b32 s0, s1, -1
	s_wait_alu 0xfffe
	v_cndmask_b32_e64 v12, 0, 1, s0
	s_xor_b32 s0, s3, -1
	s_wait_alu 0xfffe
	;; [unrolled: 3-line block ×3, first 2 shown]
	v_cndmask_b32_e64 v14, 0, 1, s0
	ds_store_b8 v0, v10
	ds_store_b8 v0, v11 offset:256
	ds_store_b8 v0, v12 offset:512
	;; [unrolled: 1-line block ×4, first 2 shown]
	s_wait_dscnt 0x0
	s_barrier_signal -1
	s_barrier_wait -1
.LBB2362_20:
	s_wait_alu 0xfffe
	s_and_not1_b32 vcc_lo, exec_lo, s5
	s_cbranch_vccnz .LBB2362_32
; %bb.21:
	v_mov_b32_e32 v12, 0
	s_mov_b32 s1, 0
	s_mov_b32 s0, exec_lo
	s_delay_alu instid0(VALU_DEP_1)
	v_dual_mov_b32 v10, v12 :: v_dual_mov_b32 v11, v12
	v_cmpx_gt_u32_e64 s21, v0
	s_cbranch_execz .LBB2362_23
; %bb.22:
	global_load_u8 v10, v0, s[6:7]
	s_wait_loadcnt 0x0
	v_and_b32_e32 v10, 1, v10
	s_delay_alu instid0(VALU_DEP_1) | instskip(SKIP_3) | instid1(SALU_CYCLE_1)
	v_cmp_eq_u32_e32 vcc_lo, 1, v10
	s_wait_alu 0xfffe
	v_mov_b32_e32 v10, s1
	s_xor_b32 s3, vcc_lo, -1
	v_cndmask_b32_e64 v12, 0, 1, s3
	s_delay_alu instid0(VALU_DEP_1)
	v_mov_b32_e32 v11, v12
.LBB2362_23:
	s_wait_alu 0xfffe
	s_or_b32 exec_lo, exec_lo, s0
	v_or_b32_e32 v13, 0x100, v0
	s_mov_b32 s0, exec_lo
	s_delay_alu instid0(VALU_DEP_1)
	v_cmpx_gt_u32_e64 s21, v13
	s_cbranch_execz .LBB2362_25
; %bb.24:
	global_load_u8 v13, v0, s[6:7] offset:256
	v_lshrrev_b32_e32 v14, 16, v12
	v_and_b32_e32 v10, 0xff, v10
	s_delay_alu instid0(VALU_DEP_2) | instskip(SKIP_2) | instid1(VALU_DEP_1)
	v_and_b32_e32 v14, 0xff, v14
	s_wait_loadcnt 0x0
	v_and_b32_e32 v13, 1, v13
	v_cmp_eq_u32_e32 vcc_lo, 1, v13
	v_lshrrev_b32_e32 v13, 24, v12
	v_and_b32_e32 v12, 0xff, v12
	s_xor_b32 s1, vcc_lo, -1
	s_delay_alu instid0(VALU_DEP_2) | instskip(SKIP_2) | instid1(VALU_DEP_2)
	v_lshlrev_b16 v13, 8, v13
	s_wait_alu 0xfffe
	v_cndmask_b32_e64 v15, 0, 1, s1
	v_or_b32_e32 v13, v14, v13
	s_delay_alu instid0(VALU_DEP_2) | instskip(NEXT) | instid1(VALU_DEP_2)
	v_lshlrev_b16 v15, 8, v15
	v_lshlrev_b32_e32 v13, 16, v13
	s_delay_alu instid0(VALU_DEP_2) | instskip(NEXT) | instid1(VALU_DEP_1)
	v_or_b32_e32 v12, v12, v15
	v_and_b32_e32 v12, 0xffff, v12
	s_delay_alu instid0(VALU_DEP_1)
	v_or_b32_e32 v12, v12, v13
.LBB2362_25:
	s_wait_alu 0xfffe
	s_or_b32 exec_lo, exec_lo, s0
	v_or_b32_e32 v13, 0x200, v0
	s_mov_b32 s0, exec_lo
	s_delay_alu instid0(VALU_DEP_1)
	v_cmpx_gt_u32_e64 s21, v13
	s_cbranch_execz .LBB2362_27
; %bb.26:
	global_load_u8 v13, v0, s[6:7] offset:512
	v_lshrrev_b32_e32 v14, 24, v12
	v_perm_b32 v12, v12, v12, 0xc0c0104
	v_and_b32_e32 v10, 0xff, v10
	s_wait_loadcnt 0x0
	v_and_b32_e32 v13, 1, v13
	s_delay_alu instid0(VALU_DEP_1) | instskip(SKIP_4) | instid1(VALU_DEP_1)
	v_cmp_eq_u32_e32 vcc_lo, 1, v13
	v_lshlrev_b16 v13, 8, v14
	s_xor_b32 s1, vcc_lo, -1
	s_wait_alu 0xfffe
	v_cndmask_b32_e64 v14, 0, 1, s1
	v_or_b32_e32 v13, v14, v13
	s_delay_alu instid0(VALU_DEP_1) | instskip(NEXT) | instid1(VALU_DEP_1)
	v_lshlrev_b32_e32 v13, 16, v13
	v_or_b32_e32 v12, v12, v13
.LBB2362_27:
	s_wait_alu 0xfffe
	s_or_b32 exec_lo, exec_lo, s0
	v_or_b32_e32 v13, 0x300, v0
	s_mov_b32 s0, exec_lo
	s_delay_alu instid0(VALU_DEP_1)
	v_cmpx_gt_u32_e64 s21, v13
	s_cbranch_execz .LBB2362_29
; %bb.28:
	global_load_u8 v13, v0, s[6:7] offset:768
	v_and_b32_e32 v10, 0xff, v10
	s_wait_loadcnt 0x0
	v_and_b32_e32 v13, 1, v13
	s_delay_alu instid0(VALU_DEP_1) | instskip(SKIP_3) | instid1(VALU_DEP_2)
	v_cmp_eq_u32_e32 vcc_lo, 1, v13
	v_lshrrev_b32_e32 v13, 16, v12
	v_perm_b32 v12, v12, v12, 0xc0c0104
	s_xor_b32 s1, vcc_lo, -1
	v_and_b32_e32 v13, 0xff, v13
	s_wait_alu 0xfffe
	v_cndmask_b32_e64 v14, 0, 1, s1
	s_delay_alu instid0(VALU_DEP_1) | instskip(NEXT) | instid1(VALU_DEP_1)
	v_lshlrev_b16 v14, 8, v14
	v_or_b32_e32 v13, v13, v14
	s_delay_alu instid0(VALU_DEP_1) | instskip(NEXT) | instid1(VALU_DEP_1)
	v_lshlrev_b32_e32 v13, 16, v13
	v_or_b32_e32 v12, v12, v13
.LBB2362_29:
	s_wait_alu 0xfffe
	s_or_b32 exec_lo, exec_lo, s0
	v_or_b32_e32 v13, 0x400, v0
	s_mov_b32 s0, exec_lo
	s_delay_alu instid0(VALU_DEP_1)
	v_cmpx_gt_u32_e64 s21, v13
	s_cbranch_execz .LBB2362_31
; %bb.30:
	global_load_u8 v10, v0, s[6:7] offset:1024
	v_perm_b32 v12, v12, v12, 0x3020104
	s_wait_loadcnt 0x0
	v_and_b32_e32 v10, 1, v10
	s_delay_alu instid0(VALU_DEP_1)
	v_cmp_eq_u32_e32 vcc_lo, 1, v10
	s_xor_b32 s1, vcc_lo, -1
	s_wait_alu 0xfffe
	v_cndmask_b32_e64 v10, 0, 1, s1
.LBB2362_31:
	s_wait_alu 0xfffe
	s_or_b32 exec_lo, exec_lo, s0
	v_lshrrev_b32_e32 v13, 8, v12
	v_lshrrev_b32_e32 v14, 24, v12
	ds_store_b8 v0, v11
	ds_store_b8 v0, v13 offset:256
	ds_store_b8_d16_hi v0, v12 offset:512
	ds_store_b8 v0, v14 offset:768
	ds_store_b8 v0, v10 offset:1024
	s_wait_loadcnt_dscnt 0x0
	s_barrier_signal -1
	s_barrier_wait -1
.LBB2362_32:
	v_mad_i32_i24 v30, 0xffffffdd, v0, v9
	s_wait_loadcnt 0x0
	global_inv scope:SCOPE_SE
	v_mbcnt_lo_u32_b32 v29, -1, 0
	s_cmp_lg_u32 s20, 0
	s_mov_b32 s1, -1
	ds_load_u8 v9, v30
	ds_load_u8 v10, v30 offset:1
	ds_load_u8 v11, v30 offset:2
	;; [unrolled: 1-line block ×4, first 2 shown]
	s_wait_loadcnt_dscnt 0x0
	v_and_b32_e32 v36, 15, v29
	s_barrier_signal -1
	s_barrier_wait -1
	global_inv scope:SCOPE_SE
	v_and_b32_e32 v35, 1, v9
	v_and_b32_e32 v34, 1, v10
	v_dual_mov_b32 v10, 0 :: v_dual_and_b32 v33, 1, v11
	v_and_b32_e32 v31, 1, v12
	v_and_b32_e32 v32, 1, v13
	s_delay_alu instid0(VALU_DEP_3) | instskip(NEXT) | instid1(VALU_DEP_1)
	v_add3_u32 v9, v34, v35, v33
	v_add_co_u32 v9, s0, v9, v31
	s_wait_alu 0xf1ff
	v_add_co_ci_u32_e64 v11, null, 0, 0, s0
	v_cmp_ne_u32_e64 s0, 0, v36
	s_delay_alu instid0(VALU_DEP_3) | instskip(NEXT) | instid1(VALU_DEP_1)
	v_add_co_u32 v21, vcc_lo, v9, v32
	v_add_co_ci_u32_e64 v22, null, 0, v11, vcc_lo
	s_cbranch_scc0 .LBB2362_89
; %bb.33:
	v_mov_b32_e32 v11, v21
	v_mov_b32_dpp v9, v21 row_shr:1 row_mask:0xf bank_mask:0xf
	v_mov_b32_dpp v14, v10 row_shr:1 row_mask:0xf bank_mask:0xf
	v_dual_mov_b32 v13, v21 :: v_dual_mov_b32 v12, v22
	s_and_saveexec_b32 s1, s0
; %bb.34:
	s_delay_alu instid0(VALU_DEP_3) | instskip(SKIP_2) | instid1(VALU_DEP_2)
	v_add_co_u32 v13, vcc_lo, v21, v9
	s_wait_alu 0xfffd
	v_add_co_ci_u32_e64 v10, null, 0, v22, vcc_lo
	v_add_co_u32 v9, vcc_lo, 0, v13
	s_wait_alu 0xfffd
	s_delay_alu instid0(VALU_DEP_2) | instskip(NEXT) | instid1(VALU_DEP_1)
	v_add_co_ci_u32_e64 v10, null, v14, v10, vcc_lo
	v_dual_mov_b32 v12, v10 :: v_dual_mov_b32 v11, v9
; %bb.35:
	s_wait_alu 0xfffe
	s_or_b32 exec_lo, exec_lo, s1
	v_mov_b32_dpp v9, v13 row_shr:2 row_mask:0xf bank_mask:0xf
	v_mov_b32_dpp v14, v10 row_shr:2 row_mask:0xf bank_mask:0xf
	s_mov_b32 s1, exec_lo
	v_cmpx_lt_u32_e32 1, v36
; %bb.36:
	s_delay_alu instid0(VALU_DEP_3) | instskip(SKIP_2) | instid1(VALU_DEP_2)
	v_add_co_u32 v13, vcc_lo, v11, v9
	s_wait_alu 0xfffd
	v_add_co_ci_u32_e64 v10, null, 0, v12, vcc_lo
	v_add_co_u32 v9, vcc_lo, 0, v13
	s_wait_alu 0xfffd
	s_delay_alu instid0(VALU_DEP_2) | instskip(NEXT) | instid1(VALU_DEP_1)
	v_add_co_ci_u32_e64 v10, null, v14, v10, vcc_lo
	v_dual_mov_b32 v12, v10 :: v_dual_mov_b32 v11, v9
; %bb.37:
	s_wait_alu 0xfffe
	s_or_b32 exec_lo, exec_lo, s1
	v_mov_b32_dpp v9, v13 row_shr:4 row_mask:0xf bank_mask:0xf
	v_mov_b32_dpp v14, v10 row_shr:4 row_mask:0xf bank_mask:0xf
	s_mov_b32 s1, exec_lo
	v_cmpx_lt_u32_e32 3, v36
	;; [unrolled: 17-line block ×3, first 2 shown]
; %bb.40:
	s_delay_alu instid0(VALU_DEP_3) | instskip(SKIP_2) | instid1(VALU_DEP_2)
	v_add_co_u32 v13, vcc_lo, v11, v14
	s_wait_alu 0xfffd
	v_add_co_ci_u32_e64 v10, null, 0, v12, vcc_lo
	v_add_co_u32 v11, vcc_lo, 0, v13
	s_wait_alu 0xfffd
	s_delay_alu instid0(VALU_DEP_2) | instskip(NEXT) | instid1(VALU_DEP_1)
	v_add_co_ci_u32_e64 v12, null, v9, v10, vcc_lo
	v_mov_b32_e32 v10, v12
; %bb.41:
	s_wait_alu 0xfffe
	s_or_b32 exec_lo, exec_lo, s1
	ds_swizzle_b32 v9, v13 offset:swizzle(BROADCAST,32,15)
	ds_swizzle_b32 v14, v10 offset:swizzle(BROADCAST,32,15)
	v_and_b32_e32 v15, 16, v29
	s_mov_b32 s1, exec_lo
	s_delay_alu instid0(VALU_DEP_1)
	v_cmpx_ne_u32_e32 0, v15
	s_cbranch_execz .LBB2362_43
; %bb.42:
	s_wait_dscnt 0x1
	v_add_co_u32 v13, vcc_lo, v11, v9
	s_wait_alu 0xfffd
	v_add_co_ci_u32_e64 v10, null, 0, v12, vcc_lo
	s_delay_alu instid0(VALU_DEP_2) | instskip(SKIP_2) | instid1(VALU_DEP_2)
	v_add_co_u32 v9, vcc_lo, 0, v13
	s_wait_dscnt 0x0
	s_wait_alu 0xfffd
	v_add_co_ci_u32_e64 v10, null, v14, v10, vcc_lo
	s_delay_alu instid0(VALU_DEP_1)
	v_dual_mov_b32 v12, v10 :: v_dual_mov_b32 v11, v9
.LBB2362_43:
	s_wait_alu 0xfffe
	s_or_b32 exec_lo, exec_lo, s1
	s_wait_dscnt 0x0
	v_or_b32_e32 v14, 31, v0
	v_lshrrev_b32_e32 v9, 5, v0
	s_mov_b32 s1, exec_lo
	s_delay_alu instid0(VALU_DEP_2)
	v_cmpx_eq_u32_e64 v0, v14
; %bb.44:
	s_delay_alu instid0(VALU_DEP_2)
	v_lshlrev_b32_e32 v14, 3, v9
	ds_store_b64 v14, v[11:12]
; %bb.45:
	s_wait_alu 0xfffe
	s_or_b32 exec_lo, exec_lo, s1
	s_delay_alu instid0(SALU_CYCLE_1)
	s_mov_b32 s1, exec_lo
	s_wait_loadcnt_dscnt 0x0
	s_barrier_signal -1
	s_barrier_wait -1
	global_inv scope:SCOPE_SE
	v_cmpx_gt_u32_e32 8, v0
	s_cbranch_execz .LBB2362_53
; %bb.46:
	v_lshlrev_b32_e32 v14, 3, v0
	s_mov_b32 s3, exec_lo
	ds_load_b64 v[11:12], v14
	s_wait_dscnt 0x0
	v_dual_mov_b32 v16, v11 :: v_dual_and_b32 v15, 7, v29
	v_mov_b32_dpp v24, v11 row_shr:1 row_mask:0xf bank_mask:0xf
	v_mov_b32_dpp v23, v12 row_shr:1 row_mask:0xf bank_mask:0xf
	s_delay_alu instid0(VALU_DEP_3)
	v_cmpx_ne_u32_e32 0, v15
; %bb.47:
	s_delay_alu instid0(VALU_DEP_3) | instskip(SKIP_2) | instid1(VALU_DEP_2)
	v_add_co_u32 v16, vcc_lo, v11, v24
	s_wait_alu 0xfffd
	v_add_co_ci_u32_e64 v12, null, 0, v12, vcc_lo
	v_add_co_u32 v11, vcc_lo, 0, v16
	s_wait_alu 0xfffd
	s_delay_alu instid0(VALU_DEP_2)
	v_add_co_ci_u32_e64 v12, null, v23, v12, vcc_lo
; %bb.48:
	s_wait_alu 0xfffe
	s_or_b32 exec_lo, exec_lo, s3
	v_mov_b32_dpp v24, v16 row_shr:2 row_mask:0xf bank_mask:0xf
	s_delay_alu instid0(VALU_DEP_2)
	v_mov_b32_dpp v23, v12 row_shr:2 row_mask:0xf bank_mask:0xf
	s_mov_b32 s3, exec_lo
	v_cmpx_lt_u32_e32 1, v15
; %bb.49:
	s_delay_alu instid0(VALU_DEP_3) | instskip(SKIP_2) | instid1(VALU_DEP_2)
	v_add_co_u32 v16, vcc_lo, v11, v24
	s_wait_alu 0xfffd
	v_add_co_ci_u32_e64 v12, null, 0, v12, vcc_lo
	v_add_co_u32 v11, vcc_lo, 0, v16
	s_wait_alu 0xfffd
	s_delay_alu instid0(VALU_DEP_2)
	v_add_co_ci_u32_e64 v12, null, v23, v12, vcc_lo
; %bb.50:
	s_wait_alu 0xfffe
	s_or_b32 exec_lo, exec_lo, s3
	v_mov_b32_dpp v23, v16 row_shr:4 row_mask:0xf bank_mask:0xf
	s_delay_alu instid0(VALU_DEP_2)
	v_mov_b32_dpp v16, v12 row_shr:4 row_mask:0xf bank_mask:0xf
	s_mov_b32 s3, exec_lo
	v_cmpx_lt_u32_e32 3, v15
; %bb.51:
	s_delay_alu instid0(VALU_DEP_3) | instskip(SKIP_2) | instid1(VALU_DEP_2)
	v_add_co_u32 v11, vcc_lo, v11, v23
	s_wait_alu 0xfffd
	v_add_co_ci_u32_e64 v12, null, 0, v12, vcc_lo
	v_add_co_u32 v11, vcc_lo, v11, 0
	s_wait_alu 0xfffd
	s_delay_alu instid0(VALU_DEP_2)
	v_add_co_ci_u32_e64 v12, null, v12, v16, vcc_lo
; %bb.52:
	s_wait_alu 0xfffe
	s_or_b32 exec_lo, exec_lo, s3
	ds_store_b64 v14, v[11:12]
.LBB2362_53:
	s_wait_alu 0xfffe
	s_or_b32 exec_lo, exec_lo, s1
	s_delay_alu instid0(SALU_CYCLE_1)
	s_mov_b32 s3, exec_lo
	v_cmp_gt_u32_e32 vcc_lo, 32, v0
	s_wait_loadcnt_dscnt 0x0
	s_barrier_signal -1
	s_barrier_wait -1
	global_inv scope:SCOPE_SE
                                        ; implicit-def: $vgpr23_vgpr24
	v_cmpx_lt_u32_e32 31, v0
	s_cbranch_execz .LBB2362_55
; %bb.54:
	v_lshl_add_u32 v9, v9, 3, -8
	ds_load_b64 v[23:24], v9
	s_wait_dscnt 0x0
	v_add_co_u32 v13, s1, v13, v23
	s_wait_alu 0xf1ff
	v_add_co_ci_u32_e64 v10, null, v10, v24, s1
.LBB2362_55:
	s_wait_alu 0xfffe
	s_or_b32 exec_lo, exec_lo, s3
	v_sub_co_u32 v9, s1, v29, 1
	s_delay_alu instid0(VALU_DEP_1) | instskip(SKIP_1) | instid1(VALU_DEP_1)
	v_cmp_gt_i32_e64 s3, 0, v9
	s_wait_alu 0xf1ff
	v_cndmask_b32_e64 v9, v9, v29, s3
	s_delay_alu instid0(VALU_DEP_1)
	v_lshlrev_b32_e32 v9, 2, v9
	ds_bpermute_b32 v37, v9, v13
	ds_bpermute_b32 v38, v9, v10
	s_and_saveexec_b32 s3, vcc_lo
	s_cbranch_execz .LBB2362_94
; %bb.56:
	v_mov_b32_e32 v12, 0
	ds_load_b64 v[9:10], v12 offset:56
	s_and_saveexec_b32 s4, s1
	s_cbranch_execz .LBB2362_58
; %bb.57:
	s_add_co_i32 s6, s20, 32
	s_mov_b32 s7, 0
	s_delay_alu instid0(SALU_CYCLE_1) | instskip(NEXT) | instid1(SALU_CYCLE_1)
	s_lshl_b64 s[6:7], s[6:7], 4
	s_add_nc_u64 s[6:7], s[14:15], s[6:7]
	s_delay_alu instid0(SALU_CYCLE_1)
	v_dual_mov_b32 v11, 1 :: v_dual_mov_b32 v14, s7
	v_mov_b32_e32 v13, s6
	s_wait_dscnt 0x0
	;;#ASMSTART
	global_store_b128 v[13:14], v[9:12] off scope:SCOPE_DEV	
s_wait_storecnt 0x0
	;;#ASMEND
.LBB2362_58:
	s_wait_alu 0xfffe
	s_or_b32 exec_lo, exec_lo, s4
	v_xad_u32 v25, v29, -1, s20
	s_mov_b32 s5, 0
	s_mov_b32 s4, exec_lo
	s_delay_alu instid0(VALU_DEP_1) | instskip(NEXT) | instid1(VALU_DEP_1)
	v_add_nc_u32_e32 v11, 32, v25
	v_lshlrev_b64_e32 v[11:12], 4, v[11:12]
	s_delay_alu instid0(VALU_DEP_1) | instskip(SKIP_1) | instid1(VALU_DEP_2)
	v_add_co_u32 v11, vcc_lo, s14, v11
	s_wait_alu 0xfffd
	v_add_co_ci_u32_e64 v12, null, s15, v12, vcc_lo
	;;#ASMSTART
	global_load_b128 v[13:16], v[11:12] off scope:SCOPE_DEV	
s_wait_loadcnt 0x0
	;;#ASMEND
	v_and_b32_e32 v16, 0xff, v15
	s_delay_alu instid0(VALU_DEP_1)
	v_cmpx_eq_u16_e32 0, v16
	s_cbranch_execz .LBB2362_61
.LBB2362_59:                            ; =>This Inner Loop Header: Depth=1
	;;#ASMSTART
	global_load_b128 v[13:16], v[11:12] off scope:SCOPE_DEV	
s_wait_loadcnt 0x0
	;;#ASMEND
	v_and_b32_e32 v16, 0xff, v15
	s_delay_alu instid0(VALU_DEP_1)
	v_cmp_ne_u16_e32 vcc_lo, 0, v16
	s_wait_alu 0xfffe
	s_or_b32 s5, vcc_lo, s5
	s_wait_alu 0xfffe
	s_and_not1_b32 exec_lo, exec_lo, s5
	s_cbranch_execnz .LBB2362_59
; %bb.60:
	s_or_b32 exec_lo, exec_lo, s5
.LBB2362_61:
	s_wait_alu 0xfffe
	s_or_b32 exec_lo, exec_lo, s4
	v_cmp_ne_u32_e32 vcc_lo, 31, v29
	v_and_b32_e32 v12, 0xff, v15
	v_lshlrev_b32_e64 v40, v29, -1
	s_mov_b32 s4, exec_lo
	s_wait_alu 0xfffd
	v_add_co_ci_u32_e64 v11, null, 0, v29, vcc_lo
	v_cmp_eq_u16_e32 vcc_lo, 2, v12
	s_delay_alu instid0(VALU_DEP_2)
	v_dual_mov_b32 v12, v13 :: v_dual_lshlrev_b32 v39, 2, v11
	s_wait_alu 0xfffd
	v_and_or_b32 v11, vcc_lo, v40, 0x80000000
	ds_bpermute_b32 v26, v39, v13
	ds_bpermute_b32 v16, v39, v14
	v_ctz_i32_b32_e32 v11, v11
	s_delay_alu instid0(VALU_DEP_1)
	v_cmpx_lt_u32_e64 v29, v11
	s_cbranch_execz .LBB2362_63
; %bb.62:
	s_wait_dscnt 0x1
	v_add_co_u32 v12, vcc_lo, v13, v26
	s_wait_alu 0xfffd
	v_add_co_ci_u32_e64 v14, null, 0, v14, vcc_lo
	s_delay_alu instid0(VALU_DEP_2) | instskip(SKIP_2) | instid1(VALU_DEP_2)
	v_add_co_u32 v13, vcc_lo, 0, v12
	s_wait_dscnt 0x0
	s_wait_alu 0xfffd
	v_add_co_ci_u32_e64 v14, null, v16, v14, vcc_lo
.LBB2362_63:
	s_wait_alu 0xfffe
	s_or_b32 exec_lo, exec_lo, s4
	v_cmp_gt_u32_e32 vcc_lo, 30, v29
	v_add_nc_u32_e32 v42, 2, v29
	s_mov_b32 s4, exec_lo
	s_wait_dscnt 0x0
	s_wait_alu 0xfffd
	v_cndmask_b32_e64 v16, 0, 2, vcc_lo
	s_delay_alu instid0(VALU_DEP_1)
	v_add_lshl_u32 v41, v16, v29, 2
	ds_bpermute_b32 v26, v41, v12
	ds_bpermute_b32 v16, v41, v14
	v_cmpx_le_u32_e64 v42, v11
	s_cbranch_execz .LBB2362_65
; %bb.64:
	s_wait_dscnt 0x1
	v_add_co_u32 v12, vcc_lo, v13, v26
	s_wait_alu 0xfffd
	v_add_co_ci_u32_e64 v14, null, 0, v14, vcc_lo
	s_delay_alu instid0(VALU_DEP_2) | instskip(SKIP_2) | instid1(VALU_DEP_2)
	v_add_co_u32 v13, vcc_lo, 0, v12
	s_wait_dscnt 0x0
	s_wait_alu 0xfffd
	v_add_co_ci_u32_e64 v14, null, v16, v14, vcc_lo
.LBB2362_65:
	s_wait_alu 0xfffe
	s_or_b32 exec_lo, exec_lo, s4
	v_cmp_gt_u32_e32 vcc_lo, 28, v29
	v_add_nc_u32_e32 v44, 4, v29
	s_mov_b32 s4, exec_lo
	s_wait_dscnt 0x0
	s_wait_alu 0xfffd
	v_cndmask_b32_e64 v16, 0, 4, vcc_lo
	s_delay_alu instid0(VALU_DEP_1)
	v_add_lshl_u32 v43, v16, v29, 2
	ds_bpermute_b32 v26, v43, v12
	ds_bpermute_b32 v16, v43, v14
	v_cmpx_le_u32_e64 v44, v11
	;; [unrolled: 25-line block ×3, first 2 shown]
	s_cbranch_execz .LBB2362_69
; %bb.68:
	s_wait_dscnt 0x1
	v_add_co_u32 v12, vcc_lo, v13, v26
	s_wait_alu 0xfffd
	v_add_co_ci_u32_e64 v14, null, 0, v14, vcc_lo
	s_delay_alu instid0(VALU_DEP_2) | instskip(SKIP_2) | instid1(VALU_DEP_2)
	v_add_co_u32 v13, vcc_lo, 0, v12
	s_wait_dscnt 0x0
	s_wait_alu 0xfffd
	v_add_co_ci_u32_e64 v14, null, v16, v14, vcc_lo
.LBB2362_69:
	s_wait_alu 0xfffe
	s_or_b32 exec_lo, exec_lo, s4
	v_lshl_or_b32 v47, v29, 2, 64
	v_add_nc_u32_e32 v48, 16, v29
	s_mov_b32 s4, exec_lo
	s_wait_dscnt 0x0
	ds_bpermute_b32 v16, v47, v12
	ds_bpermute_b32 v12, v47, v14
	v_cmpx_le_u32_e64 v48, v11
	s_cbranch_execz .LBB2362_71
; %bb.70:
	s_wait_dscnt 0x1
	v_add_co_u32 v11, vcc_lo, v13, v16
	s_wait_alu 0xfffd
	v_add_co_ci_u32_e64 v14, null, 0, v14, vcc_lo
	s_delay_alu instid0(VALU_DEP_2) | instskip(SKIP_2) | instid1(VALU_DEP_2)
	v_add_co_u32 v13, vcc_lo, v11, 0
	s_wait_dscnt 0x0
	s_wait_alu 0xfffd
	v_add_co_ci_u32_e64 v14, null, v14, v12, vcc_lo
.LBB2362_71:
	s_wait_alu 0xfffe
	s_or_b32 exec_lo, exec_lo, s4
	v_mov_b32_e32 v26, 0
	s_branch .LBB2362_74
.LBB2362_72:                            ;   in Loop: Header=BB2362_74 Depth=1
	s_wait_alu 0xfffe
	s_or_b32 exec_lo, exec_lo, s4
	v_add_co_u32 v13, vcc_lo, v13, v11
	v_subrev_nc_u32_e32 v25, 32, v25
	s_wait_alu 0xfffd
	v_add_co_ci_u32_e64 v14, null, v14, v12, vcc_lo
	s_mov_b32 s4, 0
.LBB2362_73:                            ;   in Loop: Header=BB2362_74 Depth=1
	s_wait_alu 0xfffe
	s_and_b32 vcc_lo, exec_lo, s4
	s_wait_alu 0xfffe
	s_cbranch_vccnz .LBB2362_90
.LBB2362_74:                            ; =>This Loop Header: Depth=1
                                        ;     Child Loop BB2362_77 Depth 2
	v_and_b32_e32 v11, 0xff, v15
	s_mov_b32 s4, -1
	s_delay_alu instid0(VALU_DEP_1)
	v_cmp_ne_u16_e32 vcc_lo, 2, v11
	s_wait_dscnt 0x0
	v_dual_mov_b32 v11, v13 :: v_dual_mov_b32 v12, v14
                                        ; implicit-def: $vgpr13_vgpr14
	s_cmp_lg_u32 vcc_lo, exec_lo
	s_cbranch_scc1 .LBB2362_73
; %bb.75:                               ;   in Loop: Header=BB2362_74 Depth=1
	v_lshlrev_b64_e32 v[13:14], 4, v[25:26]
	s_mov_b32 s4, exec_lo
	s_delay_alu instid0(VALU_DEP_1) | instskip(SKIP_1) | instid1(VALU_DEP_2)
	v_add_co_u32 v27, vcc_lo, s14, v13
	s_wait_alu 0xfffd
	v_add_co_ci_u32_e64 v28, null, s15, v14, vcc_lo
	;;#ASMSTART
	global_load_b128 v[13:16], v[27:28] off scope:SCOPE_DEV	
s_wait_loadcnt 0x0
	;;#ASMEND
	v_and_b32_e32 v16, 0xff, v15
	s_delay_alu instid0(VALU_DEP_1)
	v_cmpx_eq_u16_e32 0, v16
	s_cbranch_execz .LBB2362_79
; %bb.76:                               ;   in Loop: Header=BB2362_74 Depth=1
	s_mov_b32 s5, 0
.LBB2362_77:                            ;   Parent Loop BB2362_74 Depth=1
                                        ; =>  This Inner Loop Header: Depth=2
	;;#ASMSTART
	global_load_b128 v[13:16], v[27:28] off scope:SCOPE_DEV	
s_wait_loadcnt 0x0
	;;#ASMEND
	v_and_b32_e32 v16, 0xff, v15
	s_delay_alu instid0(VALU_DEP_1)
	v_cmp_ne_u16_e32 vcc_lo, 0, v16
	s_wait_alu 0xfffe
	s_or_b32 s5, vcc_lo, s5
	s_wait_alu 0xfffe
	s_and_not1_b32 exec_lo, exec_lo, s5
	s_cbranch_execnz .LBB2362_77
; %bb.78:                               ;   in Loop: Header=BB2362_74 Depth=1
	s_or_b32 exec_lo, exec_lo, s5
.LBB2362_79:                            ;   in Loop: Header=BB2362_74 Depth=1
	s_wait_alu 0xfffe
	s_or_b32 exec_lo, exec_lo, s4
	v_dual_mov_b32 v27, v13 :: v_dual_and_b32 v16, 0xff, v15
	ds_bpermute_b32 v49, v39, v13
	ds_bpermute_b32 v28, v39, v14
	s_mov_b32 s4, exec_lo
	v_cmp_eq_u16_e32 vcc_lo, 2, v16
	s_wait_alu 0xfffd
	v_and_or_b32 v16, vcc_lo, v40, 0x80000000
	s_delay_alu instid0(VALU_DEP_1) | instskip(NEXT) | instid1(VALU_DEP_1)
	v_ctz_i32_b32_e32 v16, v16
	v_cmpx_lt_u32_e64 v29, v16
	s_cbranch_execz .LBB2362_81
; %bb.80:                               ;   in Loop: Header=BB2362_74 Depth=1
	s_wait_dscnt 0x1
	v_add_co_u32 v27, vcc_lo, v13, v49
	s_wait_alu 0xfffd
	v_add_co_ci_u32_e64 v14, null, 0, v14, vcc_lo
	s_delay_alu instid0(VALU_DEP_2) | instskip(SKIP_2) | instid1(VALU_DEP_2)
	v_add_co_u32 v13, vcc_lo, 0, v27
	s_wait_dscnt 0x0
	s_wait_alu 0xfffd
	v_add_co_ci_u32_e64 v14, null, v28, v14, vcc_lo
.LBB2362_81:                            ;   in Loop: Header=BB2362_74 Depth=1
	s_wait_alu 0xfffe
	s_or_b32 exec_lo, exec_lo, s4
	s_wait_dscnt 0x1
	ds_bpermute_b32 v49, v41, v27
	s_wait_dscnt 0x1
	ds_bpermute_b32 v28, v41, v14
	s_mov_b32 s4, exec_lo
	v_cmpx_le_u32_e64 v42, v16
	s_cbranch_execz .LBB2362_83
; %bb.82:                               ;   in Loop: Header=BB2362_74 Depth=1
	s_wait_dscnt 0x1
	v_add_co_u32 v27, vcc_lo, v13, v49
	s_wait_alu 0xfffd
	v_add_co_ci_u32_e64 v14, null, 0, v14, vcc_lo
	s_delay_alu instid0(VALU_DEP_2) | instskip(SKIP_2) | instid1(VALU_DEP_2)
	v_add_co_u32 v13, vcc_lo, 0, v27
	s_wait_dscnt 0x0
	s_wait_alu 0xfffd
	v_add_co_ci_u32_e64 v14, null, v28, v14, vcc_lo
.LBB2362_83:                            ;   in Loop: Header=BB2362_74 Depth=1
	s_wait_alu 0xfffe
	s_or_b32 exec_lo, exec_lo, s4
	s_wait_dscnt 0x1
	ds_bpermute_b32 v49, v43, v27
	s_wait_dscnt 0x1
	ds_bpermute_b32 v28, v43, v14
	s_mov_b32 s4, exec_lo
	v_cmpx_le_u32_e64 v44, v16
	;; [unrolled: 20-line block ×3, first 2 shown]
	s_cbranch_execz .LBB2362_87
; %bb.86:                               ;   in Loop: Header=BB2362_74 Depth=1
	s_wait_dscnt 0x1
	v_add_co_u32 v27, vcc_lo, v13, v49
	s_wait_alu 0xfffd
	v_add_co_ci_u32_e64 v14, null, 0, v14, vcc_lo
	s_delay_alu instid0(VALU_DEP_2) | instskip(SKIP_2) | instid1(VALU_DEP_2)
	v_add_co_u32 v13, vcc_lo, 0, v27
	s_wait_dscnt 0x0
	s_wait_alu 0xfffd
	v_add_co_ci_u32_e64 v14, null, v28, v14, vcc_lo
.LBB2362_87:                            ;   in Loop: Header=BB2362_74 Depth=1
	s_wait_alu 0xfffe
	s_or_b32 exec_lo, exec_lo, s4
	s_wait_dscnt 0x0
	ds_bpermute_b32 v28, v47, v27
	ds_bpermute_b32 v27, v47, v14
	s_mov_b32 s4, exec_lo
	v_cmpx_le_u32_e64 v48, v16
	s_cbranch_execz .LBB2362_72
; %bb.88:                               ;   in Loop: Header=BB2362_74 Depth=1
	s_wait_dscnt 0x1
	v_add_co_u32 v13, vcc_lo, v13, v28
	s_wait_alu 0xfffd
	v_add_co_ci_u32_e64 v14, null, 0, v14, vcc_lo
	s_delay_alu instid0(VALU_DEP_2) | instskip(SKIP_2) | instid1(VALU_DEP_2)
	v_add_co_u32 v13, vcc_lo, v13, 0
	s_wait_dscnt 0x0
	s_wait_alu 0xfffd
	v_add_co_ci_u32_e64 v14, null, v14, v27, vcc_lo
	s_branch .LBB2362_72
.LBB2362_89:
                                        ; implicit-def: $vgpr15_vgpr16
                                        ; implicit-def: $vgpr13_vgpr14
                                        ; implicit-def: $vgpr23_vgpr24
                                        ; implicit-def: $vgpr25_vgpr26
                                        ; implicit-def: $vgpr27_vgpr28
                                        ; implicit-def: $vgpr11_vgpr12
	s_wait_alu 0xfffe
	s_and_b32 vcc_lo, exec_lo, s1
	s_wait_alu 0xfffe
	s_cbranch_vccnz .LBB2362_95
	s_branch .LBB2362_120
.LBB2362_90:
	s_and_saveexec_b32 s4, s1
	s_cbranch_execz .LBB2362_92
; %bb.91:
	s_add_co_i32 s6, s20, 32
	s_mov_b32 s7, 0
	v_add_co_u32 v13, vcc_lo, v11, v9
	s_wait_alu 0xfffe
	s_lshl_b64 s[6:7], s[6:7], 4
	v_dual_mov_b32 v15, 2 :: v_dual_mov_b32 v16, 0
	s_wait_alu 0xfffe
	s_add_nc_u64 s[6:7], s[14:15], s[6:7]
	s_wait_alu 0xfffd
	v_add_co_ci_u32_e64 v14, null, v12, v10, vcc_lo
	s_wait_alu 0xfffe
	v_dual_mov_b32 v26, s7 :: v_dual_mov_b32 v25, s6
	;;#ASMSTART
	global_store_b128 v[25:26], v[13:16] off scope:SCOPE_DEV	
s_wait_storecnt 0x0
	;;#ASMEND
	ds_store_b128 v16, v[9:12] offset:10240
.LBB2362_92:
	s_wait_alu 0xfffe
	s_or_b32 exec_lo, exec_lo, s4
	s_delay_alu instid0(SALU_CYCLE_1)
	s_and_b32 exec_lo, exec_lo, s2
; %bb.93:
	v_mov_b32_e32 v9, 0
	ds_store_b64 v9, v[11:12] offset:56
.LBB2362_94:
	s_wait_alu 0xfffe
	s_or_b32 exec_lo, exec_lo, s3
	v_mov_b32_e32 v11, 0
	s_wait_loadcnt_dscnt 0x0
	s_barrier_signal -1
	s_barrier_wait -1
	global_inv scope:SCOPE_SE
	ds_load_b64 v[9:10], v11 offset:56
	v_cndmask_b32_e64 v13, v37, v23, s1
	v_cndmask_b32_e64 v12, v38, v24, s1
	s_wait_loadcnt_dscnt 0x0
	s_barrier_signal -1
	s_barrier_wait -1
	v_cndmask_b32_e64 v13, v13, 0, s2
	v_cndmask_b32_e64 v12, v12, 0, s2
	global_inv scope:SCOPE_SE
	v_add_co_u32 v27, vcc_lo, v9, v13
	s_wait_alu 0xfffd
	v_add_co_ci_u32_e64 v28, null, v10, v12, vcc_lo
	ds_load_b128 v[9:12], v11 offset:10240
	v_add_co_u32 v25, vcc_lo, v27, v35
	s_wait_alu 0xfffd
	v_add_co_ci_u32_e64 v26, null, 0, v28, vcc_lo
	s_delay_alu instid0(VALU_DEP_2) | instskip(SKIP_1) | instid1(VALU_DEP_2)
	v_add_co_u32 v23, vcc_lo, v25, v34
	s_wait_alu 0xfffd
	v_add_co_ci_u32_e64 v24, null, 0, v26, vcc_lo
	s_delay_alu instid0(VALU_DEP_2) | instskip(SKIP_1) | instid1(VALU_DEP_2)
	;; [unrolled: 4-line block ×3, first 2 shown]
	v_add_co_u32 v15, vcc_lo, v13, v31
	s_wait_alu 0xfffd
	v_add_co_ci_u32_e64 v16, null, 0, v14, vcc_lo
	s_branch .LBB2362_120
.LBB2362_95:
	s_wait_dscnt 0x0
	v_dual_mov_b32 v10, 0 :: v_dual_mov_b32 v11, v21
	v_mov_b32_dpp v12, v21 row_shr:1 row_mask:0xf bank_mask:0xf
	s_delay_alu instid0(VALU_DEP_2)
	v_mov_b32_dpp v9, v10 row_shr:1 row_mask:0xf bank_mask:0xf
	s_and_saveexec_b32 s1, s0
; %bb.96:
	s_delay_alu instid0(VALU_DEP_2) | instskip(SKIP_2) | instid1(VALU_DEP_2)
	v_add_co_u32 v11, vcc_lo, v21, v12
	s_wait_alu 0xfffd
	v_add_co_ci_u32_e64 v10, null, 0, v22, vcc_lo
	v_add_co_u32 v21, vcc_lo, 0, v11
	s_wait_alu 0xfffd
	s_delay_alu instid0(VALU_DEP_2) | instskip(NEXT) | instid1(VALU_DEP_1)
	v_add_co_ci_u32_e64 v22, null, v9, v10, vcc_lo
	v_mov_b32_e32 v10, v22
; %bb.97:
	s_wait_alu 0xfffe
	s_or_b32 exec_lo, exec_lo, s1
	v_mov_b32_dpp v9, v11 row_shr:2 row_mask:0xf bank_mask:0xf
	s_delay_alu instid0(VALU_DEP_2)
	v_mov_b32_dpp v12, v10 row_shr:2 row_mask:0xf bank_mask:0xf
	s_mov_b32 s0, exec_lo
	v_cmpx_lt_u32_e32 1, v36
; %bb.98:
	s_delay_alu instid0(VALU_DEP_3) | instskip(SKIP_2) | instid1(VALU_DEP_2)
	v_add_co_u32 v11, vcc_lo, v21, v9
	s_wait_alu 0xfffd
	v_add_co_ci_u32_e64 v10, null, 0, v22, vcc_lo
	v_add_co_u32 v9, vcc_lo, 0, v11
	s_wait_alu 0xfffd
	s_delay_alu instid0(VALU_DEP_2) | instskip(NEXT) | instid1(VALU_DEP_1)
	v_add_co_ci_u32_e64 v10, null, v12, v10, vcc_lo
	v_dual_mov_b32 v22, v10 :: v_dual_mov_b32 v21, v9
; %bb.99:
	s_wait_alu 0xfffe
	s_or_b32 exec_lo, exec_lo, s0
	v_mov_b32_dpp v9, v11 row_shr:4 row_mask:0xf bank_mask:0xf
	v_mov_b32_dpp v12, v10 row_shr:4 row_mask:0xf bank_mask:0xf
	s_mov_b32 s0, exec_lo
	v_cmpx_lt_u32_e32 3, v36
; %bb.100:
	s_delay_alu instid0(VALU_DEP_3) | instskip(SKIP_2) | instid1(VALU_DEP_2)
	v_add_co_u32 v11, vcc_lo, v21, v9
	s_wait_alu 0xfffd
	v_add_co_ci_u32_e64 v10, null, 0, v22, vcc_lo
	v_add_co_u32 v9, vcc_lo, 0, v11
	s_wait_alu 0xfffd
	s_delay_alu instid0(VALU_DEP_2) | instskip(NEXT) | instid1(VALU_DEP_1)
	v_add_co_ci_u32_e64 v10, null, v12, v10, vcc_lo
	v_dual_mov_b32 v22, v10 :: v_dual_mov_b32 v21, v9
; %bb.101:
	s_wait_alu 0xfffe
	s_or_b32 exec_lo, exec_lo, s0
	v_mov_b32_dpp v12, v11 row_shr:8 row_mask:0xf bank_mask:0xf
	v_mov_b32_dpp v9, v10 row_shr:8 row_mask:0xf bank_mask:0xf
	s_mov_b32 s0, exec_lo
	v_cmpx_lt_u32_e32 7, v36
; %bb.102:
	s_delay_alu instid0(VALU_DEP_3) | instskip(SKIP_2) | instid1(VALU_DEP_2)
	v_add_co_u32 v11, vcc_lo, v21, v12
	s_wait_alu 0xfffd
	v_add_co_ci_u32_e64 v10, null, 0, v22, vcc_lo
	v_add_co_u32 v21, vcc_lo, 0, v11
	s_wait_alu 0xfffd
	s_delay_alu instid0(VALU_DEP_2) | instskip(NEXT) | instid1(VALU_DEP_1)
	v_add_co_ci_u32_e64 v22, null, v9, v10, vcc_lo
	v_mov_b32_e32 v10, v22
; %bb.103:
	s_wait_alu 0xfffe
	s_or_b32 exec_lo, exec_lo, s0
	ds_swizzle_b32 v11, v11 offset:swizzle(BROADCAST,32,15)
	ds_swizzle_b32 v9, v10 offset:swizzle(BROADCAST,32,15)
	v_and_b32_e32 v10, 16, v29
	s_mov_b32 s0, exec_lo
	s_delay_alu instid0(VALU_DEP_1)
	v_cmpx_ne_u32_e32 0, v10
	s_cbranch_execz .LBB2362_105
; %bb.104:
	s_wait_dscnt 0x1
	v_add_co_u32 v10, vcc_lo, v21, v11
	s_wait_alu 0xfffd
	v_add_co_ci_u32_e64 v11, null, 0, v22, vcc_lo
	s_delay_alu instid0(VALU_DEP_2) | instskip(SKIP_2) | instid1(VALU_DEP_2)
	v_add_co_u32 v21, vcc_lo, v10, 0
	s_wait_dscnt 0x0
	s_wait_alu 0xfffd
	v_add_co_ci_u32_e64 v22, null, v11, v9, vcc_lo
.LBB2362_105:
	s_wait_alu 0xfffe
	s_or_b32 exec_lo, exec_lo, s0
	s_wait_dscnt 0x0
	v_or_b32_e32 v9, 31, v0
	v_lshrrev_b32_e32 v11, 5, v0
	s_mov_b32 s0, exec_lo
	s_delay_alu instid0(VALU_DEP_2)
	v_cmpx_eq_u32_e64 v0, v9
; %bb.106:
	s_delay_alu instid0(VALU_DEP_2)
	v_lshlrev_b32_e32 v9, 3, v11
	ds_store_b64 v9, v[21:22]
; %bb.107:
	s_wait_alu 0xfffe
	s_or_b32 exec_lo, exec_lo, s0
	s_delay_alu instid0(SALU_CYCLE_1)
	s_mov_b32 s0, exec_lo
	s_wait_loadcnt_dscnt 0x0
	s_barrier_signal -1
	s_barrier_wait -1
	global_inv scope:SCOPE_SE
	v_cmpx_gt_u32_e32 8, v0
	s_cbranch_execz .LBB2362_115
; %bb.108:
	v_mad_u32_u24 v9, v0, 3, v30
	s_mov_b32 s1, exec_lo
	ds_load_b64 v[9:10], v9
	s_wait_dscnt 0x0
	v_dual_mov_b32 v13, v9 :: v_dual_and_b32 v12, 7, v29
	v_mov_b32_dpp v15, v9 row_shr:1 row_mask:0xf bank_mask:0xf
	v_mov_b32_dpp v14, v10 row_shr:1 row_mask:0xf bank_mask:0xf
	s_delay_alu instid0(VALU_DEP_3)
	v_cmpx_ne_u32_e32 0, v12
; %bb.109:
	s_delay_alu instid0(VALU_DEP_3) | instskip(SKIP_2) | instid1(VALU_DEP_2)
	v_add_co_u32 v13, vcc_lo, v9, v15
	s_wait_alu 0xfffd
	v_add_co_ci_u32_e64 v10, null, 0, v10, vcc_lo
	v_add_co_u32 v9, vcc_lo, 0, v13
	s_wait_alu 0xfffd
	s_delay_alu instid0(VALU_DEP_2)
	v_add_co_ci_u32_e64 v10, null, v14, v10, vcc_lo
; %bb.110:
	s_wait_alu 0xfffe
	s_or_b32 exec_lo, exec_lo, s1
	v_mov_b32_dpp v15, v13 row_shr:2 row_mask:0xf bank_mask:0xf
	s_delay_alu instid0(VALU_DEP_2)
	v_mov_b32_dpp v14, v10 row_shr:2 row_mask:0xf bank_mask:0xf
	s_mov_b32 s1, exec_lo
	v_cmpx_lt_u32_e32 1, v12
; %bb.111:
	s_delay_alu instid0(VALU_DEP_3) | instskip(SKIP_2) | instid1(VALU_DEP_2)
	v_add_co_u32 v13, vcc_lo, v9, v15
	s_wait_alu 0xfffd
	v_add_co_ci_u32_e64 v10, null, 0, v10, vcc_lo
	v_add_co_u32 v9, vcc_lo, 0, v13
	s_wait_alu 0xfffd
	s_delay_alu instid0(VALU_DEP_2)
	v_add_co_ci_u32_e64 v10, null, v14, v10, vcc_lo
; %bb.112:
	s_wait_alu 0xfffe
	s_or_b32 exec_lo, exec_lo, s1
	v_mul_u32_u24_e32 v14, 3, v0
	v_mov_b32_dpp v15, v13 row_shr:4 row_mask:0xf bank_mask:0xf
	v_mov_b32_dpp v13, v10 row_shr:4 row_mask:0xf bank_mask:0xf
	s_mov_b32 s1, exec_lo
	v_cmpx_lt_u32_e32 3, v12
; %bb.113:
	s_delay_alu instid0(VALU_DEP_3) | instskip(SKIP_2) | instid1(VALU_DEP_2)
	v_add_co_u32 v9, vcc_lo, v9, v15
	s_wait_alu 0xfffd
	v_add_co_ci_u32_e64 v10, null, 0, v10, vcc_lo
	v_add_co_u32 v9, vcc_lo, v9, 0
	s_wait_alu 0xfffd
	s_delay_alu instid0(VALU_DEP_2)
	v_add_co_ci_u32_e64 v10, null, v10, v13, vcc_lo
; %bb.114:
	s_wait_alu 0xfffe
	s_or_b32 exec_lo, exec_lo, s1
	v_add_nc_u32_e32 v12, v30, v14
	ds_store_b64 v12, v[9:10]
.LBB2362_115:
	s_wait_alu 0xfffe
	s_or_b32 exec_lo, exec_lo, s0
	v_mov_b32_e32 v13, 0
	v_mov_b32_e32 v14, 0
	s_mov_b32 s0, exec_lo
	s_wait_loadcnt_dscnt 0x0
	s_barrier_signal -1
	s_barrier_wait -1
	global_inv scope:SCOPE_SE
	v_cmpx_lt_u32_e32 31, v0
; %bb.116:
	v_lshl_add_u32 v9, v11, 3, -8
	ds_load_b64 v[13:14], v9
; %bb.117:
	s_wait_alu 0xfffe
	s_or_b32 exec_lo, exec_lo, s0
	v_sub_co_u32 v9, vcc_lo, v29, 1
	v_mov_b32_e32 v12, 0
	s_delay_alu instid0(VALU_DEP_2) | instskip(SKIP_1) | instid1(VALU_DEP_1)
	v_cmp_gt_i32_e64 s0, 0, v9
	s_wait_alu 0xf1ff
	v_cndmask_b32_e64 v9, v9, v29, s0
	s_wait_dscnt 0x0
	v_add_co_u32 v10, s0, v13, v21
	s_wait_alu 0xf1ff
	v_add_co_ci_u32_e64 v11, null, v14, v22, s0
	v_lshlrev_b32_e32 v9, 2, v9
	ds_bpermute_b32 v15, v9, v10
	ds_bpermute_b32 v16, v9, v11
	ds_load_b64 v[9:10], v12 offset:56
	s_and_saveexec_b32 s0, s2
	s_cbranch_execz .LBB2362_119
; %bb.118:
	s_add_nc_u64 s[4:5], s[14:15], 0x200
	s_wait_alu 0xfffe
	v_dual_mov_b32 v11, 2 :: v_dual_mov_b32 v22, s5
	v_mov_b32_e32 v21, s4
	s_wait_dscnt 0x0
	;;#ASMSTART
	global_store_b128 v[21:22], v[9:12] off scope:SCOPE_DEV	
s_wait_storecnt 0x0
	;;#ASMEND
.LBB2362_119:
	s_wait_alu 0xfffe
	s_or_b32 exec_lo, exec_lo, s0
	s_wait_dscnt 0x1
	s_wait_alu 0xfffd
	v_dual_cndmask_b32 v11, v15, v13 :: v_dual_cndmask_b32 v12, v16, v14
	s_wait_loadcnt_dscnt 0x0
	s_barrier_signal -1
	s_barrier_wait -1
	s_delay_alu instid0(VALU_DEP_1)
	v_cndmask_b32_e64 v27, v11, 0, s2
	v_cndmask_b32_e64 v28, v12, 0, s2
	v_mov_b32_e32 v11, 0
	v_mov_b32_e32 v12, 0
	global_inv scope:SCOPE_SE
	v_add_co_u32 v25, vcc_lo, v27, v35
	s_wait_alu 0xfffd
	v_add_co_ci_u32_e64 v26, null, 0, v28, vcc_lo
	s_delay_alu instid0(VALU_DEP_2) | instskip(SKIP_1) | instid1(VALU_DEP_2)
	v_add_co_u32 v23, vcc_lo, v25, v34
	s_wait_alu 0xfffd
	v_add_co_ci_u32_e64 v24, null, 0, v26, vcc_lo
	s_delay_alu instid0(VALU_DEP_2) | instskip(SKIP_1) | instid1(VALU_DEP_2)
	;; [unrolled: 4-line block ×3, first 2 shown]
	v_add_co_u32 v15, vcc_lo, v13, v31
	s_wait_alu 0xfffd
	v_add_co_ci_u32_e64 v16, null, 0, v14, vcc_lo
.LBB2362_120:
	s_wait_dscnt 0x0
	v_cmp_gt_u64_e32 vcc_lo, 0x101, v[9:10]
	v_lshlrev_b64_e32 v[21:22], 3, v[17:18]
	v_cmp_eq_u32_e64 s0, 1, v35
	s_mov_b32 s1, -1
	s_cbranch_vccnz .LBB2362_124
; %bb.121:
	s_wait_alu 0xfffe
	s_and_b32 vcc_lo, exec_lo, s1
	s_wait_alu 0xfffe
	s_cbranch_vccnz .LBB2362_135
.LBB2362_122:
	s_and_b32 s0, s2, s18
	s_wait_alu 0xfffe
	s_and_saveexec_b32 s1, s0
	s_cbranch_execnz .LBB2362_148
.LBB2362_123:
	s_endpgm
.LBB2362_124:
	v_add_co_u32 v29, vcc_lo, v11, v9
	s_wait_alu 0xfffd
	v_add_co_ci_u32_e64 v30, null, v12, v10, vcc_lo
	v_add_co_u32 v36, s1, s12, v21
	s_wait_alu 0xf1fe
	v_add_co_ci_u32_e64 v37, null, s13, v22, s1
	s_delay_alu instid0(VALU_DEP_3)
	v_cmp_lt_u64_e32 vcc_lo, v[27:28], v[29:30]
	s_or_b32 s1, s19, vcc_lo
	s_wait_alu 0xfffe
	s_and_b32 s1, s1, s0
	s_wait_alu 0xfffe
	s_and_saveexec_b32 s0, s1
	s_cbranch_execz .LBB2362_126
; %bb.125:
	v_lshlrev_b64_e32 v[38:39], 3, v[27:28]
	s_delay_alu instid0(VALU_DEP_1) | instskip(SKIP_1) | instid1(VALU_DEP_2)
	v_add_co_u32 v38, vcc_lo, v36, v38
	s_wait_alu 0xfffd
	v_add_co_ci_u32_e64 v39, null, v37, v39, vcc_lo
	global_store_b64 v[38:39], v[5:6], off
.LBB2362_126:
	s_wait_alu 0xfffe
	s_or_b32 exec_lo, exec_lo, s0
	v_cmp_lt_u64_e32 vcc_lo, v[25:26], v[29:30]
	v_cmp_eq_u32_e64 s0, 1, v34
	s_or_b32 s1, s19, vcc_lo
	s_wait_alu 0xfffe
	s_and_b32 s1, s1, s0
	s_wait_alu 0xfffe
	s_and_saveexec_b32 s0, s1
	s_cbranch_execz .LBB2362_128
; %bb.127:
	v_lshlrev_b64_e32 v[38:39], 3, v[25:26]
	s_delay_alu instid0(VALU_DEP_1) | instskip(SKIP_1) | instid1(VALU_DEP_2)
	v_add_co_u32 v38, vcc_lo, v36, v38
	s_wait_alu 0xfffd
	v_add_co_ci_u32_e64 v39, null, v37, v39, vcc_lo
	global_store_b64 v[38:39], v[7:8], off
.LBB2362_128:
	s_wait_alu 0xfffe
	s_or_b32 exec_lo, exec_lo, s0
	v_cmp_lt_u64_e32 vcc_lo, v[23:24], v[29:30]
	v_cmp_eq_u32_e64 s0, 1, v33
	;; [unrolled: 18-line block ×4, first 2 shown]
	s_or_b32 s1, s19, vcc_lo
	s_wait_alu 0xfffe
	s_and_b32 s1, s1, s0
	s_wait_alu 0xfffe
	s_and_saveexec_b32 s0, s1
	s_cbranch_execz .LBB2362_134
; %bb.133:
	v_lshlrev_b64_e32 v[28:29], 3, v[15:16]
	s_delay_alu instid0(VALU_DEP_1) | instskip(SKIP_1) | instid1(VALU_DEP_2)
	v_add_co_u32 v28, vcc_lo, v36, v28
	s_wait_alu 0xfffd
	v_add_co_ci_u32_e64 v29, null, v37, v29, vcc_lo
	global_store_b64 v[28:29], v[19:20], off
.LBB2362_134:
	s_wait_alu 0xfffe
	s_or_b32 exec_lo, exec_lo, s0
	s_branch .LBB2362_122
.LBB2362_135:
	s_mov_b32 s0, exec_lo
	v_cmpx_eq_u32_e32 1, v35
; %bb.136:
	v_sub_nc_u32_e32 v14, v27, v11
	s_delay_alu instid0(VALU_DEP_1)
	v_lshlrev_b32_e32 v14, 3, v14
	ds_store_b64 v14, v[5:6]
; %bb.137:
	s_wait_alu 0xfffe
	s_or_b32 exec_lo, exec_lo, s0
	s_delay_alu instid0(SALU_CYCLE_1)
	s_mov_b32 s0, exec_lo
	v_cmpx_eq_u32_e32 1, v34
; %bb.138:
	v_sub_nc_u32_e32 v5, v25, v11
	s_delay_alu instid0(VALU_DEP_1)
	v_lshlrev_b32_e32 v5, 3, v5
	ds_store_b64 v5, v[7:8]
; %bb.139:
	s_wait_alu 0xfffe
	s_or_b32 exec_lo, exec_lo, s0
	s_delay_alu instid0(SALU_CYCLE_1)
	;; [unrolled: 11-line block ×4, first 2 shown]
	s_mov_b32 s0, exec_lo
	v_cmpx_eq_u32_e32 1, v32
; %bb.144:
	v_sub_nc_u32_e32 v1, v15, v11
	s_delay_alu instid0(VALU_DEP_1)
	v_lshlrev_b32_e32 v1, 3, v1
	ds_store_b64 v1, v[19:20]
; %bb.145:
	s_wait_alu 0xfffe
	s_or_b32 exec_lo, exec_lo, s0
	v_lshlrev_b64_e32 v[2:3], 3, v[11:12]
	v_mov_b32_e32 v1, 0
	s_mov_b32 s1, 0
	s_wait_storecnt 0x0
	s_wait_loadcnt_dscnt 0x0
	s_barrier_signal -1
	s_barrier_wait -1
	v_add_co_u32 v4, vcc_lo, s12, v2
	s_wait_alu 0xfffd
	v_add_co_ci_u32_e64 v5, null, s13, v3, vcc_lo
	v_dual_mov_b32 v3, v1 :: v_dual_mov_b32 v2, v0
	s_delay_alu instid0(VALU_DEP_3) | instskip(SKIP_1) | instid1(VALU_DEP_3)
	v_add_co_u32 v4, vcc_lo, v4, v21
	s_wait_alu 0xfffd
	v_add_co_ci_u32_e64 v5, null, v5, v22, vcc_lo
	v_or_b32_e32 v0, 0x100, v0
	global_inv scope:SCOPE_SE
.LBB2362_146:                           ; =>This Inner Loop Header: Depth=1
	v_lshlrev_b32_e32 v6, 3, v2
	v_lshlrev_b64_e32 v[13:14], 3, v[2:3]
	v_mov_b32_e32 v3, v1
	v_cmp_le_u64_e32 vcc_lo, v[9:10], v[0:1]
	v_mov_b32_e32 v2, v0
	ds_load_b64 v[6:7], v6
	v_add_nc_u32_e32 v0, 0x100, v0
	v_add_co_u32 v13, s0, v4, v13
	s_wait_alu 0xf1ff
	v_add_co_ci_u32_e64 v14, null, v5, v14, s0
	s_wait_alu 0xfffe
	s_or_b32 s1, vcc_lo, s1
	s_wait_dscnt 0x0
	global_store_b64 v[13:14], v[6:7], off
	s_wait_alu 0xfffe
	s_and_not1_b32 exec_lo, exec_lo, s1
	s_cbranch_execnz .LBB2362_146
; %bb.147:
	s_or_b32 exec_lo, exec_lo, s1
	s_and_b32 s0, s2, s18
	s_wait_alu 0xfffe
	s_and_saveexec_b32 s1, s0
	s_cbranch_execz .LBB2362_123
.LBB2362_148:
	v_add_co_u32 v0, vcc_lo, v11, v9
	s_wait_alu 0xfffd
	v_add_co_ci_u32_e64 v1, null, v12, v10, vcc_lo
	v_mov_b32_e32 v2, 0
	s_delay_alu instid0(VALU_DEP_3) | instskip(SKIP_1) | instid1(VALU_DEP_3)
	v_add_co_u32 v0, vcc_lo, v0, v17
	s_wait_alu 0xfffd
	v_add_co_ci_u32_e64 v1, null, v1, v18, vcc_lo
	global_store_b64 v2, v[0:1], s[8:9]
	s_endpgm
	.section	.rodata,"a",@progbits
	.p2align	6, 0x0
	.amdhsa_kernel _ZN7rocprim17ROCPRIM_400000_NS6detail17trampoline_kernelINS0_14default_configENS1_25partition_config_selectorILNS1_17partition_subalgoE5EdNS0_10empty_typeEbEEZZNS1_14partition_implILS5_5ELb0ES3_mN6thrust23THRUST_200600_302600_NS6detail15normal_iteratorINSA_10device_ptrIdEEEEPS6_NSA_18transform_iteratorINSB_9not_fun_tI7is_trueIdEEENSC_INSD_IbEEEENSA_11use_defaultESO_EENS0_5tupleIJSF_S6_EEENSQ_IJSG_SG_EEES6_PlJS6_EEE10hipError_tPvRmT3_T4_T5_T6_T7_T9_mT8_P12ihipStream_tbDpT10_ENKUlT_T0_E_clISt17integral_constantIbLb0EES1C_IbLb1EEEEDaS18_S19_EUlS18_E_NS1_11comp_targetILNS1_3genE10ELNS1_11target_archE1200ELNS1_3gpuE4ELNS1_3repE0EEENS1_30default_config_static_selectorELNS0_4arch9wavefront6targetE0EEEvT1_
		.amdhsa_group_segment_fixed_size 10256
		.amdhsa_private_segment_fixed_size 0
		.amdhsa_kernarg_size 136
		.amdhsa_user_sgpr_count 2
		.amdhsa_user_sgpr_dispatch_ptr 0
		.amdhsa_user_sgpr_queue_ptr 0
		.amdhsa_user_sgpr_kernarg_segment_ptr 1
		.amdhsa_user_sgpr_dispatch_id 0
		.amdhsa_user_sgpr_private_segment_size 0
		.amdhsa_wavefront_size32 1
		.amdhsa_uses_dynamic_stack 0
		.amdhsa_enable_private_segment 0
		.amdhsa_system_sgpr_workgroup_id_x 1
		.amdhsa_system_sgpr_workgroup_id_y 0
		.amdhsa_system_sgpr_workgroup_id_z 0
		.amdhsa_system_sgpr_workgroup_info 0
		.amdhsa_system_vgpr_workitem_id 0
		.amdhsa_next_free_vgpr 50
		.amdhsa_next_free_sgpr 24
		.amdhsa_reserve_vcc 1
		.amdhsa_float_round_mode_32 0
		.amdhsa_float_round_mode_16_64 0
		.amdhsa_float_denorm_mode_32 3
		.amdhsa_float_denorm_mode_16_64 3
		.amdhsa_fp16_overflow 0
		.amdhsa_workgroup_processor_mode 1
		.amdhsa_memory_ordered 1
		.amdhsa_forward_progress 1
		.amdhsa_inst_pref_size 59
		.amdhsa_round_robin_scheduling 0
		.amdhsa_exception_fp_ieee_invalid_op 0
		.amdhsa_exception_fp_denorm_src 0
		.amdhsa_exception_fp_ieee_div_zero 0
		.amdhsa_exception_fp_ieee_overflow 0
		.amdhsa_exception_fp_ieee_underflow 0
		.amdhsa_exception_fp_ieee_inexact 0
		.amdhsa_exception_int_div_zero 0
	.end_amdhsa_kernel
	.section	.text._ZN7rocprim17ROCPRIM_400000_NS6detail17trampoline_kernelINS0_14default_configENS1_25partition_config_selectorILNS1_17partition_subalgoE5EdNS0_10empty_typeEbEEZZNS1_14partition_implILS5_5ELb0ES3_mN6thrust23THRUST_200600_302600_NS6detail15normal_iteratorINSA_10device_ptrIdEEEEPS6_NSA_18transform_iteratorINSB_9not_fun_tI7is_trueIdEEENSC_INSD_IbEEEENSA_11use_defaultESO_EENS0_5tupleIJSF_S6_EEENSQ_IJSG_SG_EEES6_PlJS6_EEE10hipError_tPvRmT3_T4_T5_T6_T7_T9_mT8_P12ihipStream_tbDpT10_ENKUlT_T0_E_clISt17integral_constantIbLb0EES1C_IbLb1EEEEDaS18_S19_EUlS18_E_NS1_11comp_targetILNS1_3genE10ELNS1_11target_archE1200ELNS1_3gpuE4ELNS1_3repE0EEENS1_30default_config_static_selectorELNS0_4arch9wavefront6targetE0EEEvT1_,"axG",@progbits,_ZN7rocprim17ROCPRIM_400000_NS6detail17trampoline_kernelINS0_14default_configENS1_25partition_config_selectorILNS1_17partition_subalgoE5EdNS0_10empty_typeEbEEZZNS1_14partition_implILS5_5ELb0ES3_mN6thrust23THRUST_200600_302600_NS6detail15normal_iteratorINSA_10device_ptrIdEEEEPS6_NSA_18transform_iteratorINSB_9not_fun_tI7is_trueIdEEENSC_INSD_IbEEEENSA_11use_defaultESO_EENS0_5tupleIJSF_S6_EEENSQ_IJSG_SG_EEES6_PlJS6_EEE10hipError_tPvRmT3_T4_T5_T6_T7_T9_mT8_P12ihipStream_tbDpT10_ENKUlT_T0_E_clISt17integral_constantIbLb0EES1C_IbLb1EEEEDaS18_S19_EUlS18_E_NS1_11comp_targetILNS1_3genE10ELNS1_11target_archE1200ELNS1_3gpuE4ELNS1_3repE0EEENS1_30default_config_static_selectorELNS0_4arch9wavefront6targetE0EEEvT1_,comdat
.Lfunc_end2362:
	.size	_ZN7rocprim17ROCPRIM_400000_NS6detail17trampoline_kernelINS0_14default_configENS1_25partition_config_selectorILNS1_17partition_subalgoE5EdNS0_10empty_typeEbEEZZNS1_14partition_implILS5_5ELb0ES3_mN6thrust23THRUST_200600_302600_NS6detail15normal_iteratorINSA_10device_ptrIdEEEEPS6_NSA_18transform_iteratorINSB_9not_fun_tI7is_trueIdEEENSC_INSD_IbEEEENSA_11use_defaultESO_EENS0_5tupleIJSF_S6_EEENSQ_IJSG_SG_EEES6_PlJS6_EEE10hipError_tPvRmT3_T4_T5_T6_T7_T9_mT8_P12ihipStream_tbDpT10_ENKUlT_T0_E_clISt17integral_constantIbLb0EES1C_IbLb1EEEEDaS18_S19_EUlS18_E_NS1_11comp_targetILNS1_3genE10ELNS1_11target_archE1200ELNS1_3gpuE4ELNS1_3repE0EEENS1_30default_config_static_selectorELNS0_4arch9wavefront6targetE0EEEvT1_, .Lfunc_end2362-_ZN7rocprim17ROCPRIM_400000_NS6detail17trampoline_kernelINS0_14default_configENS1_25partition_config_selectorILNS1_17partition_subalgoE5EdNS0_10empty_typeEbEEZZNS1_14partition_implILS5_5ELb0ES3_mN6thrust23THRUST_200600_302600_NS6detail15normal_iteratorINSA_10device_ptrIdEEEEPS6_NSA_18transform_iteratorINSB_9not_fun_tI7is_trueIdEEENSC_INSD_IbEEEENSA_11use_defaultESO_EENS0_5tupleIJSF_S6_EEENSQ_IJSG_SG_EEES6_PlJS6_EEE10hipError_tPvRmT3_T4_T5_T6_T7_T9_mT8_P12ihipStream_tbDpT10_ENKUlT_T0_E_clISt17integral_constantIbLb0EES1C_IbLb1EEEEDaS18_S19_EUlS18_E_NS1_11comp_targetILNS1_3genE10ELNS1_11target_archE1200ELNS1_3gpuE4ELNS1_3repE0EEENS1_30default_config_static_selectorELNS0_4arch9wavefront6targetE0EEEvT1_
                                        ; -- End function
	.set _ZN7rocprim17ROCPRIM_400000_NS6detail17trampoline_kernelINS0_14default_configENS1_25partition_config_selectorILNS1_17partition_subalgoE5EdNS0_10empty_typeEbEEZZNS1_14partition_implILS5_5ELb0ES3_mN6thrust23THRUST_200600_302600_NS6detail15normal_iteratorINSA_10device_ptrIdEEEEPS6_NSA_18transform_iteratorINSB_9not_fun_tI7is_trueIdEEENSC_INSD_IbEEEENSA_11use_defaultESO_EENS0_5tupleIJSF_S6_EEENSQ_IJSG_SG_EEES6_PlJS6_EEE10hipError_tPvRmT3_T4_T5_T6_T7_T9_mT8_P12ihipStream_tbDpT10_ENKUlT_T0_E_clISt17integral_constantIbLb0EES1C_IbLb1EEEEDaS18_S19_EUlS18_E_NS1_11comp_targetILNS1_3genE10ELNS1_11target_archE1200ELNS1_3gpuE4ELNS1_3repE0EEENS1_30default_config_static_selectorELNS0_4arch9wavefront6targetE0EEEvT1_.num_vgpr, 50
	.set _ZN7rocprim17ROCPRIM_400000_NS6detail17trampoline_kernelINS0_14default_configENS1_25partition_config_selectorILNS1_17partition_subalgoE5EdNS0_10empty_typeEbEEZZNS1_14partition_implILS5_5ELb0ES3_mN6thrust23THRUST_200600_302600_NS6detail15normal_iteratorINSA_10device_ptrIdEEEEPS6_NSA_18transform_iteratorINSB_9not_fun_tI7is_trueIdEEENSC_INSD_IbEEEENSA_11use_defaultESO_EENS0_5tupleIJSF_S6_EEENSQ_IJSG_SG_EEES6_PlJS6_EEE10hipError_tPvRmT3_T4_T5_T6_T7_T9_mT8_P12ihipStream_tbDpT10_ENKUlT_T0_E_clISt17integral_constantIbLb0EES1C_IbLb1EEEEDaS18_S19_EUlS18_E_NS1_11comp_targetILNS1_3genE10ELNS1_11target_archE1200ELNS1_3gpuE4ELNS1_3repE0EEENS1_30default_config_static_selectorELNS0_4arch9wavefront6targetE0EEEvT1_.num_agpr, 0
	.set _ZN7rocprim17ROCPRIM_400000_NS6detail17trampoline_kernelINS0_14default_configENS1_25partition_config_selectorILNS1_17partition_subalgoE5EdNS0_10empty_typeEbEEZZNS1_14partition_implILS5_5ELb0ES3_mN6thrust23THRUST_200600_302600_NS6detail15normal_iteratorINSA_10device_ptrIdEEEEPS6_NSA_18transform_iteratorINSB_9not_fun_tI7is_trueIdEEENSC_INSD_IbEEEENSA_11use_defaultESO_EENS0_5tupleIJSF_S6_EEENSQ_IJSG_SG_EEES6_PlJS6_EEE10hipError_tPvRmT3_T4_T5_T6_T7_T9_mT8_P12ihipStream_tbDpT10_ENKUlT_T0_E_clISt17integral_constantIbLb0EES1C_IbLb1EEEEDaS18_S19_EUlS18_E_NS1_11comp_targetILNS1_3genE10ELNS1_11target_archE1200ELNS1_3gpuE4ELNS1_3repE0EEENS1_30default_config_static_selectorELNS0_4arch9wavefront6targetE0EEEvT1_.numbered_sgpr, 24
	.set _ZN7rocprim17ROCPRIM_400000_NS6detail17trampoline_kernelINS0_14default_configENS1_25partition_config_selectorILNS1_17partition_subalgoE5EdNS0_10empty_typeEbEEZZNS1_14partition_implILS5_5ELb0ES3_mN6thrust23THRUST_200600_302600_NS6detail15normal_iteratorINSA_10device_ptrIdEEEEPS6_NSA_18transform_iteratorINSB_9not_fun_tI7is_trueIdEEENSC_INSD_IbEEEENSA_11use_defaultESO_EENS0_5tupleIJSF_S6_EEENSQ_IJSG_SG_EEES6_PlJS6_EEE10hipError_tPvRmT3_T4_T5_T6_T7_T9_mT8_P12ihipStream_tbDpT10_ENKUlT_T0_E_clISt17integral_constantIbLb0EES1C_IbLb1EEEEDaS18_S19_EUlS18_E_NS1_11comp_targetILNS1_3genE10ELNS1_11target_archE1200ELNS1_3gpuE4ELNS1_3repE0EEENS1_30default_config_static_selectorELNS0_4arch9wavefront6targetE0EEEvT1_.num_named_barrier, 0
	.set _ZN7rocprim17ROCPRIM_400000_NS6detail17trampoline_kernelINS0_14default_configENS1_25partition_config_selectorILNS1_17partition_subalgoE5EdNS0_10empty_typeEbEEZZNS1_14partition_implILS5_5ELb0ES3_mN6thrust23THRUST_200600_302600_NS6detail15normal_iteratorINSA_10device_ptrIdEEEEPS6_NSA_18transform_iteratorINSB_9not_fun_tI7is_trueIdEEENSC_INSD_IbEEEENSA_11use_defaultESO_EENS0_5tupleIJSF_S6_EEENSQ_IJSG_SG_EEES6_PlJS6_EEE10hipError_tPvRmT3_T4_T5_T6_T7_T9_mT8_P12ihipStream_tbDpT10_ENKUlT_T0_E_clISt17integral_constantIbLb0EES1C_IbLb1EEEEDaS18_S19_EUlS18_E_NS1_11comp_targetILNS1_3genE10ELNS1_11target_archE1200ELNS1_3gpuE4ELNS1_3repE0EEENS1_30default_config_static_selectorELNS0_4arch9wavefront6targetE0EEEvT1_.private_seg_size, 0
	.set _ZN7rocprim17ROCPRIM_400000_NS6detail17trampoline_kernelINS0_14default_configENS1_25partition_config_selectorILNS1_17partition_subalgoE5EdNS0_10empty_typeEbEEZZNS1_14partition_implILS5_5ELb0ES3_mN6thrust23THRUST_200600_302600_NS6detail15normal_iteratorINSA_10device_ptrIdEEEEPS6_NSA_18transform_iteratorINSB_9not_fun_tI7is_trueIdEEENSC_INSD_IbEEEENSA_11use_defaultESO_EENS0_5tupleIJSF_S6_EEENSQ_IJSG_SG_EEES6_PlJS6_EEE10hipError_tPvRmT3_T4_T5_T6_T7_T9_mT8_P12ihipStream_tbDpT10_ENKUlT_T0_E_clISt17integral_constantIbLb0EES1C_IbLb1EEEEDaS18_S19_EUlS18_E_NS1_11comp_targetILNS1_3genE10ELNS1_11target_archE1200ELNS1_3gpuE4ELNS1_3repE0EEENS1_30default_config_static_selectorELNS0_4arch9wavefront6targetE0EEEvT1_.uses_vcc, 1
	.set _ZN7rocprim17ROCPRIM_400000_NS6detail17trampoline_kernelINS0_14default_configENS1_25partition_config_selectorILNS1_17partition_subalgoE5EdNS0_10empty_typeEbEEZZNS1_14partition_implILS5_5ELb0ES3_mN6thrust23THRUST_200600_302600_NS6detail15normal_iteratorINSA_10device_ptrIdEEEEPS6_NSA_18transform_iteratorINSB_9not_fun_tI7is_trueIdEEENSC_INSD_IbEEEENSA_11use_defaultESO_EENS0_5tupleIJSF_S6_EEENSQ_IJSG_SG_EEES6_PlJS6_EEE10hipError_tPvRmT3_T4_T5_T6_T7_T9_mT8_P12ihipStream_tbDpT10_ENKUlT_T0_E_clISt17integral_constantIbLb0EES1C_IbLb1EEEEDaS18_S19_EUlS18_E_NS1_11comp_targetILNS1_3genE10ELNS1_11target_archE1200ELNS1_3gpuE4ELNS1_3repE0EEENS1_30default_config_static_selectorELNS0_4arch9wavefront6targetE0EEEvT1_.uses_flat_scratch, 1
	.set _ZN7rocprim17ROCPRIM_400000_NS6detail17trampoline_kernelINS0_14default_configENS1_25partition_config_selectorILNS1_17partition_subalgoE5EdNS0_10empty_typeEbEEZZNS1_14partition_implILS5_5ELb0ES3_mN6thrust23THRUST_200600_302600_NS6detail15normal_iteratorINSA_10device_ptrIdEEEEPS6_NSA_18transform_iteratorINSB_9not_fun_tI7is_trueIdEEENSC_INSD_IbEEEENSA_11use_defaultESO_EENS0_5tupleIJSF_S6_EEENSQ_IJSG_SG_EEES6_PlJS6_EEE10hipError_tPvRmT3_T4_T5_T6_T7_T9_mT8_P12ihipStream_tbDpT10_ENKUlT_T0_E_clISt17integral_constantIbLb0EES1C_IbLb1EEEEDaS18_S19_EUlS18_E_NS1_11comp_targetILNS1_3genE10ELNS1_11target_archE1200ELNS1_3gpuE4ELNS1_3repE0EEENS1_30default_config_static_selectorELNS0_4arch9wavefront6targetE0EEEvT1_.has_dyn_sized_stack, 0
	.set _ZN7rocprim17ROCPRIM_400000_NS6detail17trampoline_kernelINS0_14default_configENS1_25partition_config_selectorILNS1_17partition_subalgoE5EdNS0_10empty_typeEbEEZZNS1_14partition_implILS5_5ELb0ES3_mN6thrust23THRUST_200600_302600_NS6detail15normal_iteratorINSA_10device_ptrIdEEEEPS6_NSA_18transform_iteratorINSB_9not_fun_tI7is_trueIdEEENSC_INSD_IbEEEENSA_11use_defaultESO_EENS0_5tupleIJSF_S6_EEENSQ_IJSG_SG_EEES6_PlJS6_EEE10hipError_tPvRmT3_T4_T5_T6_T7_T9_mT8_P12ihipStream_tbDpT10_ENKUlT_T0_E_clISt17integral_constantIbLb0EES1C_IbLb1EEEEDaS18_S19_EUlS18_E_NS1_11comp_targetILNS1_3genE10ELNS1_11target_archE1200ELNS1_3gpuE4ELNS1_3repE0EEENS1_30default_config_static_selectorELNS0_4arch9wavefront6targetE0EEEvT1_.has_recursion, 0
	.set _ZN7rocprim17ROCPRIM_400000_NS6detail17trampoline_kernelINS0_14default_configENS1_25partition_config_selectorILNS1_17partition_subalgoE5EdNS0_10empty_typeEbEEZZNS1_14partition_implILS5_5ELb0ES3_mN6thrust23THRUST_200600_302600_NS6detail15normal_iteratorINSA_10device_ptrIdEEEEPS6_NSA_18transform_iteratorINSB_9not_fun_tI7is_trueIdEEENSC_INSD_IbEEEENSA_11use_defaultESO_EENS0_5tupleIJSF_S6_EEENSQ_IJSG_SG_EEES6_PlJS6_EEE10hipError_tPvRmT3_T4_T5_T6_T7_T9_mT8_P12ihipStream_tbDpT10_ENKUlT_T0_E_clISt17integral_constantIbLb0EES1C_IbLb1EEEEDaS18_S19_EUlS18_E_NS1_11comp_targetILNS1_3genE10ELNS1_11target_archE1200ELNS1_3gpuE4ELNS1_3repE0EEENS1_30default_config_static_selectorELNS0_4arch9wavefront6targetE0EEEvT1_.has_indirect_call, 0
	.section	.AMDGPU.csdata,"",@progbits
; Kernel info:
; codeLenInByte = 7492
; TotalNumSgprs: 26
; NumVgprs: 50
; ScratchSize: 0
; MemoryBound: 0
; FloatMode: 240
; IeeeMode: 1
; LDSByteSize: 10256 bytes/workgroup (compile time only)
; SGPRBlocks: 0
; VGPRBlocks: 6
; NumSGPRsForWavesPerEU: 26
; NumVGPRsForWavesPerEU: 50
; Occupancy: 16
; WaveLimiterHint : 1
; COMPUTE_PGM_RSRC2:SCRATCH_EN: 0
; COMPUTE_PGM_RSRC2:USER_SGPR: 2
; COMPUTE_PGM_RSRC2:TRAP_HANDLER: 0
; COMPUTE_PGM_RSRC2:TGID_X_EN: 1
; COMPUTE_PGM_RSRC2:TGID_Y_EN: 0
; COMPUTE_PGM_RSRC2:TGID_Z_EN: 0
; COMPUTE_PGM_RSRC2:TIDIG_COMP_CNT: 0
	.section	.text._ZN7rocprim17ROCPRIM_400000_NS6detail17trampoline_kernelINS0_14default_configENS1_25partition_config_selectorILNS1_17partition_subalgoE5EdNS0_10empty_typeEbEEZZNS1_14partition_implILS5_5ELb0ES3_mN6thrust23THRUST_200600_302600_NS6detail15normal_iteratorINSA_10device_ptrIdEEEEPS6_NSA_18transform_iteratorINSB_9not_fun_tI7is_trueIdEEENSC_INSD_IbEEEENSA_11use_defaultESO_EENS0_5tupleIJSF_S6_EEENSQ_IJSG_SG_EEES6_PlJS6_EEE10hipError_tPvRmT3_T4_T5_T6_T7_T9_mT8_P12ihipStream_tbDpT10_ENKUlT_T0_E_clISt17integral_constantIbLb0EES1C_IbLb1EEEEDaS18_S19_EUlS18_E_NS1_11comp_targetILNS1_3genE9ELNS1_11target_archE1100ELNS1_3gpuE3ELNS1_3repE0EEENS1_30default_config_static_selectorELNS0_4arch9wavefront6targetE0EEEvT1_,"axG",@progbits,_ZN7rocprim17ROCPRIM_400000_NS6detail17trampoline_kernelINS0_14default_configENS1_25partition_config_selectorILNS1_17partition_subalgoE5EdNS0_10empty_typeEbEEZZNS1_14partition_implILS5_5ELb0ES3_mN6thrust23THRUST_200600_302600_NS6detail15normal_iteratorINSA_10device_ptrIdEEEEPS6_NSA_18transform_iteratorINSB_9not_fun_tI7is_trueIdEEENSC_INSD_IbEEEENSA_11use_defaultESO_EENS0_5tupleIJSF_S6_EEENSQ_IJSG_SG_EEES6_PlJS6_EEE10hipError_tPvRmT3_T4_T5_T6_T7_T9_mT8_P12ihipStream_tbDpT10_ENKUlT_T0_E_clISt17integral_constantIbLb0EES1C_IbLb1EEEEDaS18_S19_EUlS18_E_NS1_11comp_targetILNS1_3genE9ELNS1_11target_archE1100ELNS1_3gpuE3ELNS1_3repE0EEENS1_30default_config_static_selectorELNS0_4arch9wavefront6targetE0EEEvT1_,comdat
	.protected	_ZN7rocprim17ROCPRIM_400000_NS6detail17trampoline_kernelINS0_14default_configENS1_25partition_config_selectorILNS1_17partition_subalgoE5EdNS0_10empty_typeEbEEZZNS1_14partition_implILS5_5ELb0ES3_mN6thrust23THRUST_200600_302600_NS6detail15normal_iteratorINSA_10device_ptrIdEEEEPS6_NSA_18transform_iteratorINSB_9not_fun_tI7is_trueIdEEENSC_INSD_IbEEEENSA_11use_defaultESO_EENS0_5tupleIJSF_S6_EEENSQ_IJSG_SG_EEES6_PlJS6_EEE10hipError_tPvRmT3_T4_T5_T6_T7_T9_mT8_P12ihipStream_tbDpT10_ENKUlT_T0_E_clISt17integral_constantIbLb0EES1C_IbLb1EEEEDaS18_S19_EUlS18_E_NS1_11comp_targetILNS1_3genE9ELNS1_11target_archE1100ELNS1_3gpuE3ELNS1_3repE0EEENS1_30default_config_static_selectorELNS0_4arch9wavefront6targetE0EEEvT1_ ; -- Begin function _ZN7rocprim17ROCPRIM_400000_NS6detail17trampoline_kernelINS0_14default_configENS1_25partition_config_selectorILNS1_17partition_subalgoE5EdNS0_10empty_typeEbEEZZNS1_14partition_implILS5_5ELb0ES3_mN6thrust23THRUST_200600_302600_NS6detail15normal_iteratorINSA_10device_ptrIdEEEEPS6_NSA_18transform_iteratorINSB_9not_fun_tI7is_trueIdEEENSC_INSD_IbEEEENSA_11use_defaultESO_EENS0_5tupleIJSF_S6_EEENSQ_IJSG_SG_EEES6_PlJS6_EEE10hipError_tPvRmT3_T4_T5_T6_T7_T9_mT8_P12ihipStream_tbDpT10_ENKUlT_T0_E_clISt17integral_constantIbLb0EES1C_IbLb1EEEEDaS18_S19_EUlS18_E_NS1_11comp_targetILNS1_3genE9ELNS1_11target_archE1100ELNS1_3gpuE3ELNS1_3repE0EEENS1_30default_config_static_selectorELNS0_4arch9wavefront6targetE0EEEvT1_
	.globl	_ZN7rocprim17ROCPRIM_400000_NS6detail17trampoline_kernelINS0_14default_configENS1_25partition_config_selectorILNS1_17partition_subalgoE5EdNS0_10empty_typeEbEEZZNS1_14partition_implILS5_5ELb0ES3_mN6thrust23THRUST_200600_302600_NS6detail15normal_iteratorINSA_10device_ptrIdEEEEPS6_NSA_18transform_iteratorINSB_9not_fun_tI7is_trueIdEEENSC_INSD_IbEEEENSA_11use_defaultESO_EENS0_5tupleIJSF_S6_EEENSQ_IJSG_SG_EEES6_PlJS6_EEE10hipError_tPvRmT3_T4_T5_T6_T7_T9_mT8_P12ihipStream_tbDpT10_ENKUlT_T0_E_clISt17integral_constantIbLb0EES1C_IbLb1EEEEDaS18_S19_EUlS18_E_NS1_11comp_targetILNS1_3genE9ELNS1_11target_archE1100ELNS1_3gpuE3ELNS1_3repE0EEENS1_30default_config_static_selectorELNS0_4arch9wavefront6targetE0EEEvT1_
	.p2align	8
	.type	_ZN7rocprim17ROCPRIM_400000_NS6detail17trampoline_kernelINS0_14default_configENS1_25partition_config_selectorILNS1_17partition_subalgoE5EdNS0_10empty_typeEbEEZZNS1_14partition_implILS5_5ELb0ES3_mN6thrust23THRUST_200600_302600_NS6detail15normal_iteratorINSA_10device_ptrIdEEEEPS6_NSA_18transform_iteratorINSB_9not_fun_tI7is_trueIdEEENSC_INSD_IbEEEENSA_11use_defaultESO_EENS0_5tupleIJSF_S6_EEENSQ_IJSG_SG_EEES6_PlJS6_EEE10hipError_tPvRmT3_T4_T5_T6_T7_T9_mT8_P12ihipStream_tbDpT10_ENKUlT_T0_E_clISt17integral_constantIbLb0EES1C_IbLb1EEEEDaS18_S19_EUlS18_E_NS1_11comp_targetILNS1_3genE9ELNS1_11target_archE1100ELNS1_3gpuE3ELNS1_3repE0EEENS1_30default_config_static_selectorELNS0_4arch9wavefront6targetE0EEEvT1_,@function
_ZN7rocprim17ROCPRIM_400000_NS6detail17trampoline_kernelINS0_14default_configENS1_25partition_config_selectorILNS1_17partition_subalgoE5EdNS0_10empty_typeEbEEZZNS1_14partition_implILS5_5ELb0ES3_mN6thrust23THRUST_200600_302600_NS6detail15normal_iteratorINSA_10device_ptrIdEEEEPS6_NSA_18transform_iteratorINSB_9not_fun_tI7is_trueIdEEENSC_INSD_IbEEEENSA_11use_defaultESO_EENS0_5tupleIJSF_S6_EEENSQ_IJSG_SG_EEES6_PlJS6_EEE10hipError_tPvRmT3_T4_T5_T6_T7_T9_mT8_P12ihipStream_tbDpT10_ENKUlT_T0_E_clISt17integral_constantIbLb0EES1C_IbLb1EEEEDaS18_S19_EUlS18_E_NS1_11comp_targetILNS1_3genE9ELNS1_11target_archE1100ELNS1_3gpuE3ELNS1_3repE0EEENS1_30default_config_static_selectorELNS0_4arch9wavefront6targetE0EEEvT1_: ; @_ZN7rocprim17ROCPRIM_400000_NS6detail17trampoline_kernelINS0_14default_configENS1_25partition_config_selectorILNS1_17partition_subalgoE5EdNS0_10empty_typeEbEEZZNS1_14partition_implILS5_5ELb0ES3_mN6thrust23THRUST_200600_302600_NS6detail15normal_iteratorINSA_10device_ptrIdEEEEPS6_NSA_18transform_iteratorINSB_9not_fun_tI7is_trueIdEEENSC_INSD_IbEEEENSA_11use_defaultESO_EENS0_5tupleIJSF_S6_EEENSQ_IJSG_SG_EEES6_PlJS6_EEE10hipError_tPvRmT3_T4_T5_T6_T7_T9_mT8_P12ihipStream_tbDpT10_ENKUlT_T0_E_clISt17integral_constantIbLb0EES1C_IbLb1EEEEDaS18_S19_EUlS18_E_NS1_11comp_targetILNS1_3genE9ELNS1_11target_archE1100ELNS1_3gpuE3ELNS1_3repE0EEENS1_30default_config_static_selectorELNS0_4arch9wavefront6targetE0EEEvT1_
; %bb.0:
	.section	.rodata,"a",@progbits
	.p2align	6, 0x0
	.amdhsa_kernel _ZN7rocprim17ROCPRIM_400000_NS6detail17trampoline_kernelINS0_14default_configENS1_25partition_config_selectorILNS1_17partition_subalgoE5EdNS0_10empty_typeEbEEZZNS1_14partition_implILS5_5ELb0ES3_mN6thrust23THRUST_200600_302600_NS6detail15normal_iteratorINSA_10device_ptrIdEEEEPS6_NSA_18transform_iteratorINSB_9not_fun_tI7is_trueIdEEENSC_INSD_IbEEEENSA_11use_defaultESO_EENS0_5tupleIJSF_S6_EEENSQ_IJSG_SG_EEES6_PlJS6_EEE10hipError_tPvRmT3_T4_T5_T6_T7_T9_mT8_P12ihipStream_tbDpT10_ENKUlT_T0_E_clISt17integral_constantIbLb0EES1C_IbLb1EEEEDaS18_S19_EUlS18_E_NS1_11comp_targetILNS1_3genE9ELNS1_11target_archE1100ELNS1_3gpuE3ELNS1_3repE0EEENS1_30default_config_static_selectorELNS0_4arch9wavefront6targetE0EEEvT1_
		.amdhsa_group_segment_fixed_size 0
		.amdhsa_private_segment_fixed_size 0
		.amdhsa_kernarg_size 136
		.amdhsa_user_sgpr_count 2
		.amdhsa_user_sgpr_dispatch_ptr 0
		.amdhsa_user_sgpr_queue_ptr 0
		.amdhsa_user_sgpr_kernarg_segment_ptr 1
		.amdhsa_user_sgpr_dispatch_id 0
		.amdhsa_user_sgpr_private_segment_size 0
		.amdhsa_wavefront_size32 1
		.amdhsa_uses_dynamic_stack 0
		.amdhsa_enable_private_segment 0
		.amdhsa_system_sgpr_workgroup_id_x 1
		.amdhsa_system_sgpr_workgroup_id_y 0
		.amdhsa_system_sgpr_workgroup_id_z 0
		.amdhsa_system_sgpr_workgroup_info 0
		.amdhsa_system_vgpr_workitem_id 0
		.amdhsa_next_free_vgpr 1
		.amdhsa_next_free_sgpr 1
		.amdhsa_reserve_vcc 0
		.amdhsa_float_round_mode_32 0
		.amdhsa_float_round_mode_16_64 0
		.amdhsa_float_denorm_mode_32 3
		.amdhsa_float_denorm_mode_16_64 3
		.amdhsa_fp16_overflow 0
		.amdhsa_workgroup_processor_mode 1
		.amdhsa_memory_ordered 1
		.amdhsa_forward_progress 1
		.amdhsa_inst_pref_size 0
		.amdhsa_round_robin_scheduling 0
		.amdhsa_exception_fp_ieee_invalid_op 0
		.amdhsa_exception_fp_denorm_src 0
		.amdhsa_exception_fp_ieee_div_zero 0
		.amdhsa_exception_fp_ieee_overflow 0
		.amdhsa_exception_fp_ieee_underflow 0
		.amdhsa_exception_fp_ieee_inexact 0
		.amdhsa_exception_int_div_zero 0
	.end_amdhsa_kernel
	.section	.text._ZN7rocprim17ROCPRIM_400000_NS6detail17trampoline_kernelINS0_14default_configENS1_25partition_config_selectorILNS1_17partition_subalgoE5EdNS0_10empty_typeEbEEZZNS1_14partition_implILS5_5ELb0ES3_mN6thrust23THRUST_200600_302600_NS6detail15normal_iteratorINSA_10device_ptrIdEEEEPS6_NSA_18transform_iteratorINSB_9not_fun_tI7is_trueIdEEENSC_INSD_IbEEEENSA_11use_defaultESO_EENS0_5tupleIJSF_S6_EEENSQ_IJSG_SG_EEES6_PlJS6_EEE10hipError_tPvRmT3_T4_T5_T6_T7_T9_mT8_P12ihipStream_tbDpT10_ENKUlT_T0_E_clISt17integral_constantIbLb0EES1C_IbLb1EEEEDaS18_S19_EUlS18_E_NS1_11comp_targetILNS1_3genE9ELNS1_11target_archE1100ELNS1_3gpuE3ELNS1_3repE0EEENS1_30default_config_static_selectorELNS0_4arch9wavefront6targetE0EEEvT1_,"axG",@progbits,_ZN7rocprim17ROCPRIM_400000_NS6detail17trampoline_kernelINS0_14default_configENS1_25partition_config_selectorILNS1_17partition_subalgoE5EdNS0_10empty_typeEbEEZZNS1_14partition_implILS5_5ELb0ES3_mN6thrust23THRUST_200600_302600_NS6detail15normal_iteratorINSA_10device_ptrIdEEEEPS6_NSA_18transform_iteratorINSB_9not_fun_tI7is_trueIdEEENSC_INSD_IbEEEENSA_11use_defaultESO_EENS0_5tupleIJSF_S6_EEENSQ_IJSG_SG_EEES6_PlJS6_EEE10hipError_tPvRmT3_T4_T5_T6_T7_T9_mT8_P12ihipStream_tbDpT10_ENKUlT_T0_E_clISt17integral_constantIbLb0EES1C_IbLb1EEEEDaS18_S19_EUlS18_E_NS1_11comp_targetILNS1_3genE9ELNS1_11target_archE1100ELNS1_3gpuE3ELNS1_3repE0EEENS1_30default_config_static_selectorELNS0_4arch9wavefront6targetE0EEEvT1_,comdat
.Lfunc_end2363:
	.size	_ZN7rocprim17ROCPRIM_400000_NS6detail17trampoline_kernelINS0_14default_configENS1_25partition_config_selectorILNS1_17partition_subalgoE5EdNS0_10empty_typeEbEEZZNS1_14partition_implILS5_5ELb0ES3_mN6thrust23THRUST_200600_302600_NS6detail15normal_iteratorINSA_10device_ptrIdEEEEPS6_NSA_18transform_iteratorINSB_9not_fun_tI7is_trueIdEEENSC_INSD_IbEEEENSA_11use_defaultESO_EENS0_5tupleIJSF_S6_EEENSQ_IJSG_SG_EEES6_PlJS6_EEE10hipError_tPvRmT3_T4_T5_T6_T7_T9_mT8_P12ihipStream_tbDpT10_ENKUlT_T0_E_clISt17integral_constantIbLb0EES1C_IbLb1EEEEDaS18_S19_EUlS18_E_NS1_11comp_targetILNS1_3genE9ELNS1_11target_archE1100ELNS1_3gpuE3ELNS1_3repE0EEENS1_30default_config_static_selectorELNS0_4arch9wavefront6targetE0EEEvT1_, .Lfunc_end2363-_ZN7rocprim17ROCPRIM_400000_NS6detail17trampoline_kernelINS0_14default_configENS1_25partition_config_selectorILNS1_17partition_subalgoE5EdNS0_10empty_typeEbEEZZNS1_14partition_implILS5_5ELb0ES3_mN6thrust23THRUST_200600_302600_NS6detail15normal_iteratorINSA_10device_ptrIdEEEEPS6_NSA_18transform_iteratorINSB_9not_fun_tI7is_trueIdEEENSC_INSD_IbEEEENSA_11use_defaultESO_EENS0_5tupleIJSF_S6_EEENSQ_IJSG_SG_EEES6_PlJS6_EEE10hipError_tPvRmT3_T4_T5_T6_T7_T9_mT8_P12ihipStream_tbDpT10_ENKUlT_T0_E_clISt17integral_constantIbLb0EES1C_IbLb1EEEEDaS18_S19_EUlS18_E_NS1_11comp_targetILNS1_3genE9ELNS1_11target_archE1100ELNS1_3gpuE3ELNS1_3repE0EEENS1_30default_config_static_selectorELNS0_4arch9wavefront6targetE0EEEvT1_
                                        ; -- End function
	.set _ZN7rocprim17ROCPRIM_400000_NS6detail17trampoline_kernelINS0_14default_configENS1_25partition_config_selectorILNS1_17partition_subalgoE5EdNS0_10empty_typeEbEEZZNS1_14partition_implILS5_5ELb0ES3_mN6thrust23THRUST_200600_302600_NS6detail15normal_iteratorINSA_10device_ptrIdEEEEPS6_NSA_18transform_iteratorINSB_9not_fun_tI7is_trueIdEEENSC_INSD_IbEEEENSA_11use_defaultESO_EENS0_5tupleIJSF_S6_EEENSQ_IJSG_SG_EEES6_PlJS6_EEE10hipError_tPvRmT3_T4_T5_T6_T7_T9_mT8_P12ihipStream_tbDpT10_ENKUlT_T0_E_clISt17integral_constantIbLb0EES1C_IbLb1EEEEDaS18_S19_EUlS18_E_NS1_11comp_targetILNS1_3genE9ELNS1_11target_archE1100ELNS1_3gpuE3ELNS1_3repE0EEENS1_30default_config_static_selectorELNS0_4arch9wavefront6targetE0EEEvT1_.num_vgpr, 0
	.set _ZN7rocprim17ROCPRIM_400000_NS6detail17trampoline_kernelINS0_14default_configENS1_25partition_config_selectorILNS1_17partition_subalgoE5EdNS0_10empty_typeEbEEZZNS1_14partition_implILS5_5ELb0ES3_mN6thrust23THRUST_200600_302600_NS6detail15normal_iteratorINSA_10device_ptrIdEEEEPS6_NSA_18transform_iteratorINSB_9not_fun_tI7is_trueIdEEENSC_INSD_IbEEEENSA_11use_defaultESO_EENS0_5tupleIJSF_S6_EEENSQ_IJSG_SG_EEES6_PlJS6_EEE10hipError_tPvRmT3_T4_T5_T6_T7_T9_mT8_P12ihipStream_tbDpT10_ENKUlT_T0_E_clISt17integral_constantIbLb0EES1C_IbLb1EEEEDaS18_S19_EUlS18_E_NS1_11comp_targetILNS1_3genE9ELNS1_11target_archE1100ELNS1_3gpuE3ELNS1_3repE0EEENS1_30default_config_static_selectorELNS0_4arch9wavefront6targetE0EEEvT1_.num_agpr, 0
	.set _ZN7rocprim17ROCPRIM_400000_NS6detail17trampoline_kernelINS0_14default_configENS1_25partition_config_selectorILNS1_17partition_subalgoE5EdNS0_10empty_typeEbEEZZNS1_14partition_implILS5_5ELb0ES3_mN6thrust23THRUST_200600_302600_NS6detail15normal_iteratorINSA_10device_ptrIdEEEEPS6_NSA_18transform_iteratorINSB_9not_fun_tI7is_trueIdEEENSC_INSD_IbEEEENSA_11use_defaultESO_EENS0_5tupleIJSF_S6_EEENSQ_IJSG_SG_EEES6_PlJS6_EEE10hipError_tPvRmT3_T4_T5_T6_T7_T9_mT8_P12ihipStream_tbDpT10_ENKUlT_T0_E_clISt17integral_constantIbLb0EES1C_IbLb1EEEEDaS18_S19_EUlS18_E_NS1_11comp_targetILNS1_3genE9ELNS1_11target_archE1100ELNS1_3gpuE3ELNS1_3repE0EEENS1_30default_config_static_selectorELNS0_4arch9wavefront6targetE0EEEvT1_.numbered_sgpr, 0
	.set _ZN7rocprim17ROCPRIM_400000_NS6detail17trampoline_kernelINS0_14default_configENS1_25partition_config_selectorILNS1_17partition_subalgoE5EdNS0_10empty_typeEbEEZZNS1_14partition_implILS5_5ELb0ES3_mN6thrust23THRUST_200600_302600_NS6detail15normal_iteratorINSA_10device_ptrIdEEEEPS6_NSA_18transform_iteratorINSB_9not_fun_tI7is_trueIdEEENSC_INSD_IbEEEENSA_11use_defaultESO_EENS0_5tupleIJSF_S6_EEENSQ_IJSG_SG_EEES6_PlJS6_EEE10hipError_tPvRmT3_T4_T5_T6_T7_T9_mT8_P12ihipStream_tbDpT10_ENKUlT_T0_E_clISt17integral_constantIbLb0EES1C_IbLb1EEEEDaS18_S19_EUlS18_E_NS1_11comp_targetILNS1_3genE9ELNS1_11target_archE1100ELNS1_3gpuE3ELNS1_3repE0EEENS1_30default_config_static_selectorELNS0_4arch9wavefront6targetE0EEEvT1_.num_named_barrier, 0
	.set _ZN7rocprim17ROCPRIM_400000_NS6detail17trampoline_kernelINS0_14default_configENS1_25partition_config_selectorILNS1_17partition_subalgoE5EdNS0_10empty_typeEbEEZZNS1_14partition_implILS5_5ELb0ES3_mN6thrust23THRUST_200600_302600_NS6detail15normal_iteratorINSA_10device_ptrIdEEEEPS6_NSA_18transform_iteratorINSB_9not_fun_tI7is_trueIdEEENSC_INSD_IbEEEENSA_11use_defaultESO_EENS0_5tupleIJSF_S6_EEENSQ_IJSG_SG_EEES6_PlJS6_EEE10hipError_tPvRmT3_T4_T5_T6_T7_T9_mT8_P12ihipStream_tbDpT10_ENKUlT_T0_E_clISt17integral_constantIbLb0EES1C_IbLb1EEEEDaS18_S19_EUlS18_E_NS1_11comp_targetILNS1_3genE9ELNS1_11target_archE1100ELNS1_3gpuE3ELNS1_3repE0EEENS1_30default_config_static_selectorELNS0_4arch9wavefront6targetE0EEEvT1_.private_seg_size, 0
	.set _ZN7rocprim17ROCPRIM_400000_NS6detail17trampoline_kernelINS0_14default_configENS1_25partition_config_selectorILNS1_17partition_subalgoE5EdNS0_10empty_typeEbEEZZNS1_14partition_implILS5_5ELb0ES3_mN6thrust23THRUST_200600_302600_NS6detail15normal_iteratorINSA_10device_ptrIdEEEEPS6_NSA_18transform_iteratorINSB_9not_fun_tI7is_trueIdEEENSC_INSD_IbEEEENSA_11use_defaultESO_EENS0_5tupleIJSF_S6_EEENSQ_IJSG_SG_EEES6_PlJS6_EEE10hipError_tPvRmT3_T4_T5_T6_T7_T9_mT8_P12ihipStream_tbDpT10_ENKUlT_T0_E_clISt17integral_constantIbLb0EES1C_IbLb1EEEEDaS18_S19_EUlS18_E_NS1_11comp_targetILNS1_3genE9ELNS1_11target_archE1100ELNS1_3gpuE3ELNS1_3repE0EEENS1_30default_config_static_selectorELNS0_4arch9wavefront6targetE0EEEvT1_.uses_vcc, 0
	.set _ZN7rocprim17ROCPRIM_400000_NS6detail17trampoline_kernelINS0_14default_configENS1_25partition_config_selectorILNS1_17partition_subalgoE5EdNS0_10empty_typeEbEEZZNS1_14partition_implILS5_5ELb0ES3_mN6thrust23THRUST_200600_302600_NS6detail15normal_iteratorINSA_10device_ptrIdEEEEPS6_NSA_18transform_iteratorINSB_9not_fun_tI7is_trueIdEEENSC_INSD_IbEEEENSA_11use_defaultESO_EENS0_5tupleIJSF_S6_EEENSQ_IJSG_SG_EEES6_PlJS6_EEE10hipError_tPvRmT3_T4_T5_T6_T7_T9_mT8_P12ihipStream_tbDpT10_ENKUlT_T0_E_clISt17integral_constantIbLb0EES1C_IbLb1EEEEDaS18_S19_EUlS18_E_NS1_11comp_targetILNS1_3genE9ELNS1_11target_archE1100ELNS1_3gpuE3ELNS1_3repE0EEENS1_30default_config_static_selectorELNS0_4arch9wavefront6targetE0EEEvT1_.uses_flat_scratch, 0
	.set _ZN7rocprim17ROCPRIM_400000_NS6detail17trampoline_kernelINS0_14default_configENS1_25partition_config_selectorILNS1_17partition_subalgoE5EdNS0_10empty_typeEbEEZZNS1_14partition_implILS5_5ELb0ES3_mN6thrust23THRUST_200600_302600_NS6detail15normal_iteratorINSA_10device_ptrIdEEEEPS6_NSA_18transform_iteratorINSB_9not_fun_tI7is_trueIdEEENSC_INSD_IbEEEENSA_11use_defaultESO_EENS0_5tupleIJSF_S6_EEENSQ_IJSG_SG_EEES6_PlJS6_EEE10hipError_tPvRmT3_T4_T5_T6_T7_T9_mT8_P12ihipStream_tbDpT10_ENKUlT_T0_E_clISt17integral_constantIbLb0EES1C_IbLb1EEEEDaS18_S19_EUlS18_E_NS1_11comp_targetILNS1_3genE9ELNS1_11target_archE1100ELNS1_3gpuE3ELNS1_3repE0EEENS1_30default_config_static_selectorELNS0_4arch9wavefront6targetE0EEEvT1_.has_dyn_sized_stack, 0
	.set _ZN7rocprim17ROCPRIM_400000_NS6detail17trampoline_kernelINS0_14default_configENS1_25partition_config_selectorILNS1_17partition_subalgoE5EdNS0_10empty_typeEbEEZZNS1_14partition_implILS5_5ELb0ES3_mN6thrust23THRUST_200600_302600_NS6detail15normal_iteratorINSA_10device_ptrIdEEEEPS6_NSA_18transform_iteratorINSB_9not_fun_tI7is_trueIdEEENSC_INSD_IbEEEENSA_11use_defaultESO_EENS0_5tupleIJSF_S6_EEENSQ_IJSG_SG_EEES6_PlJS6_EEE10hipError_tPvRmT3_T4_T5_T6_T7_T9_mT8_P12ihipStream_tbDpT10_ENKUlT_T0_E_clISt17integral_constantIbLb0EES1C_IbLb1EEEEDaS18_S19_EUlS18_E_NS1_11comp_targetILNS1_3genE9ELNS1_11target_archE1100ELNS1_3gpuE3ELNS1_3repE0EEENS1_30default_config_static_selectorELNS0_4arch9wavefront6targetE0EEEvT1_.has_recursion, 0
	.set _ZN7rocprim17ROCPRIM_400000_NS6detail17trampoline_kernelINS0_14default_configENS1_25partition_config_selectorILNS1_17partition_subalgoE5EdNS0_10empty_typeEbEEZZNS1_14partition_implILS5_5ELb0ES3_mN6thrust23THRUST_200600_302600_NS6detail15normal_iteratorINSA_10device_ptrIdEEEEPS6_NSA_18transform_iteratorINSB_9not_fun_tI7is_trueIdEEENSC_INSD_IbEEEENSA_11use_defaultESO_EENS0_5tupleIJSF_S6_EEENSQ_IJSG_SG_EEES6_PlJS6_EEE10hipError_tPvRmT3_T4_T5_T6_T7_T9_mT8_P12ihipStream_tbDpT10_ENKUlT_T0_E_clISt17integral_constantIbLb0EES1C_IbLb1EEEEDaS18_S19_EUlS18_E_NS1_11comp_targetILNS1_3genE9ELNS1_11target_archE1100ELNS1_3gpuE3ELNS1_3repE0EEENS1_30default_config_static_selectorELNS0_4arch9wavefront6targetE0EEEvT1_.has_indirect_call, 0
	.section	.AMDGPU.csdata,"",@progbits
; Kernel info:
; codeLenInByte = 0
; TotalNumSgprs: 0
; NumVgprs: 0
; ScratchSize: 0
; MemoryBound: 0
; FloatMode: 240
; IeeeMode: 1
; LDSByteSize: 0 bytes/workgroup (compile time only)
; SGPRBlocks: 0
; VGPRBlocks: 0
; NumSGPRsForWavesPerEU: 1
; NumVGPRsForWavesPerEU: 1
; Occupancy: 16
; WaveLimiterHint : 0
; COMPUTE_PGM_RSRC2:SCRATCH_EN: 0
; COMPUTE_PGM_RSRC2:USER_SGPR: 2
; COMPUTE_PGM_RSRC2:TRAP_HANDLER: 0
; COMPUTE_PGM_RSRC2:TGID_X_EN: 1
; COMPUTE_PGM_RSRC2:TGID_Y_EN: 0
; COMPUTE_PGM_RSRC2:TGID_Z_EN: 0
; COMPUTE_PGM_RSRC2:TIDIG_COMP_CNT: 0
	.section	.text._ZN7rocprim17ROCPRIM_400000_NS6detail17trampoline_kernelINS0_14default_configENS1_25partition_config_selectorILNS1_17partition_subalgoE5EdNS0_10empty_typeEbEEZZNS1_14partition_implILS5_5ELb0ES3_mN6thrust23THRUST_200600_302600_NS6detail15normal_iteratorINSA_10device_ptrIdEEEEPS6_NSA_18transform_iteratorINSB_9not_fun_tI7is_trueIdEEENSC_INSD_IbEEEENSA_11use_defaultESO_EENS0_5tupleIJSF_S6_EEENSQ_IJSG_SG_EEES6_PlJS6_EEE10hipError_tPvRmT3_T4_T5_T6_T7_T9_mT8_P12ihipStream_tbDpT10_ENKUlT_T0_E_clISt17integral_constantIbLb0EES1C_IbLb1EEEEDaS18_S19_EUlS18_E_NS1_11comp_targetILNS1_3genE8ELNS1_11target_archE1030ELNS1_3gpuE2ELNS1_3repE0EEENS1_30default_config_static_selectorELNS0_4arch9wavefront6targetE0EEEvT1_,"axG",@progbits,_ZN7rocprim17ROCPRIM_400000_NS6detail17trampoline_kernelINS0_14default_configENS1_25partition_config_selectorILNS1_17partition_subalgoE5EdNS0_10empty_typeEbEEZZNS1_14partition_implILS5_5ELb0ES3_mN6thrust23THRUST_200600_302600_NS6detail15normal_iteratorINSA_10device_ptrIdEEEEPS6_NSA_18transform_iteratorINSB_9not_fun_tI7is_trueIdEEENSC_INSD_IbEEEENSA_11use_defaultESO_EENS0_5tupleIJSF_S6_EEENSQ_IJSG_SG_EEES6_PlJS6_EEE10hipError_tPvRmT3_T4_T5_T6_T7_T9_mT8_P12ihipStream_tbDpT10_ENKUlT_T0_E_clISt17integral_constantIbLb0EES1C_IbLb1EEEEDaS18_S19_EUlS18_E_NS1_11comp_targetILNS1_3genE8ELNS1_11target_archE1030ELNS1_3gpuE2ELNS1_3repE0EEENS1_30default_config_static_selectorELNS0_4arch9wavefront6targetE0EEEvT1_,comdat
	.protected	_ZN7rocprim17ROCPRIM_400000_NS6detail17trampoline_kernelINS0_14default_configENS1_25partition_config_selectorILNS1_17partition_subalgoE5EdNS0_10empty_typeEbEEZZNS1_14partition_implILS5_5ELb0ES3_mN6thrust23THRUST_200600_302600_NS6detail15normal_iteratorINSA_10device_ptrIdEEEEPS6_NSA_18transform_iteratorINSB_9not_fun_tI7is_trueIdEEENSC_INSD_IbEEEENSA_11use_defaultESO_EENS0_5tupleIJSF_S6_EEENSQ_IJSG_SG_EEES6_PlJS6_EEE10hipError_tPvRmT3_T4_T5_T6_T7_T9_mT8_P12ihipStream_tbDpT10_ENKUlT_T0_E_clISt17integral_constantIbLb0EES1C_IbLb1EEEEDaS18_S19_EUlS18_E_NS1_11comp_targetILNS1_3genE8ELNS1_11target_archE1030ELNS1_3gpuE2ELNS1_3repE0EEENS1_30default_config_static_selectorELNS0_4arch9wavefront6targetE0EEEvT1_ ; -- Begin function _ZN7rocprim17ROCPRIM_400000_NS6detail17trampoline_kernelINS0_14default_configENS1_25partition_config_selectorILNS1_17partition_subalgoE5EdNS0_10empty_typeEbEEZZNS1_14partition_implILS5_5ELb0ES3_mN6thrust23THRUST_200600_302600_NS6detail15normal_iteratorINSA_10device_ptrIdEEEEPS6_NSA_18transform_iteratorINSB_9not_fun_tI7is_trueIdEEENSC_INSD_IbEEEENSA_11use_defaultESO_EENS0_5tupleIJSF_S6_EEENSQ_IJSG_SG_EEES6_PlJS6_EEE10hipError_tPvRmT3_T4_T5_T6_T7_T9_mT8_P12ihipStream_tbDpT10_ENKUlT_T0_E_clISt17integral_constantIbLb0EES1C_IbLb1EEEEDaS18_S19_EUlS18_E_NS1_11comp_targetILNS1_3genE8ELNS1_11target_archE1030ELNS1_3gpuE2ELNS1_3repE0EEENS1_30default_config_static_selectorELNS0_4arch9wavefront6targetE0EEEvT1_
	.globl	_ZN7rocprim17ROCPRIM_400000_NS6detail17trampoline_kernelINS0_14default_configENS1_25partition_config_selectorILNS1_17partition_subalgoE5EdNS0_10empty_typeEbEEZZNS1_14partition_implILS5_5ELb0ES3_mN6thrust23THRUST_200600_302600_NS6detail15normal_iteratorINSA_10device_ptrIdEEEEPS6_NSA_18transform_iteratorINSB_9not_fun_tI7is_trueIdEEENSC_INSD_IbEEEENSA_11use_defaultESO_EENS0_5tupleIJSF_S6_EEENSQ_IJSG_SG_EEES6_PlJS6_EEE10hipError_tPvRmT3_T4_T5_T6_T7_T9_mT8_P12ihipStream_tbDpT10_ENKUlT_T0_E_clISt17integral_constantIbLb0EES1C_IbLb1EEEEDaS18_S19_EUlS18_E_NS1_11comp_targetILNS1_3genE8ELNS1_11target_archE1030ELNS1_3gpuE2ELNS1_3repE0EEENS1_30default_config_static_selectorELNS0_4arch9wavefront6targetE0EEEvT1_
	.p2align	8
	.type	_ZN7rocprim17ROCPRIM_400000_NS6detail17trampoline_kernelINS0_14default_configENS1_25partition_config_selectorILNS1_17partition_subalgoE5EdNS0_10empty_typeEbEEZZNS1_14partition_implILS5_5ELb0ES3_mN6thrust23THRUST_200600_302600_NS6detail15normal_iteratorINSA_10device_ptrIdEEEEPS6_NSA_18transform_iteratorINSB_9not_fun_tI7is_trueIdEEENSC_INSD_IbEEEENSA_11use_defaultESO_EENS0_5tupleIJSF_S6_EEENSQ_IJSG_SG_EEES6_PlJS6_EEE10hipError_tPvRmT3_T4_T5_T6_T7_T9_mT8_P12ihipStream_tbDpT10_ENKUlT_T0_E_clISt17integral_constantIbLb0EES1C_IbLb1EEEEDaS18_S19_EUlS18_E_NS1_11comp_targetILNS1_3genE8ELNS1_11target_archE1030ELNS1_3gpuE2ELNS1_3repE0EEENS1_30default_config_static_selectorELNS0_4arch9wavefront6targetE0EEEvT1_,@function
_ZN7rocprim17ROCPRIM_400000_NS6detail17trampoline_kernelINS0_14default_configENS1_25partition_config_selectorILNS1_17partition_subalgoE5EdNS0_10empty_typeEbEEZZNS1_14partition_implILS5_5ELb0ES3_mN6thrust23THRUST_200600_302600_NS6detail15normal_iteratorINSA_10device_ptrIdEEEEPS6_NSA_18transform_iteratorINSB_9not_fun_tI7is_trueIdEEENSC_INSD_IbEEEENSA_11use_defaultESO_EENS0_5tupleIJSF_S6_EEENSQ_IJSG_SG_EEES6_PlJS6_EEE10hipError_tPvRmT3_T4_T5_T6_T7_T9_mT8_P12ihipStream_tbDpT10_ENKUlT_T0_E_clISt17integral_constantIbLb0EES1C_IbLb1EEEEDaS18_S19_EUlS18_E_NS1_11comp_targetILNS1_3genE8ELNS1_11target_archE1030ELNS1_3gpuE2ELNS1_3repE0EEENS1_30default_config_static_selectorELNS0_4arch9wavefront6targetE0EEEvT1_: ; @_ZN7rocprim17ROCPRIM_400000_NS6detail17trampoline_kernelINS0_14default_configENS1_25partition_config_selectorILNS1_17partition_subalgoE5EdNS0_10empty_typeEbEEZZNS1_14partition_implILS5_5ELb0ES3_mN6thrust23THRUST_200600_302600_NS6detail15normal_iteratorINSA_10device_ptrIdEEEEPS6_NSA_18transform_iteratorINSB_9not_fun_tI7is_trueIdEEENSC_INSD_IbEEEENSA_11use_defaultESO_EENS0_5tupleIJSF_S6_EEENSQ_IJSG_SG_EEES6_PlJS6_EEE10hipError_tPvRmT3_T4_T5_T6_T7_T9_mT8_P12ihipStream_tbDpT10_ENKUlT_T0_E_clISt17integral_constantIbLb0EES1C_IbLb1EEEEDaS18_S19_EUlS18_E_NS1_11comp_targetILNS1_3genE8ELNS1_11target_archE1030ELNS1_3gpuE2ELNS1_3repE0EEENS1_30default_config_static_selectorELNS0_4arch9wavefront6targetE0EEEvT1_
; %bb.0:
	.section	.rodata,"a",@progbits
	.p2align	6, 0x0
	.amdhsa_kernel _ZN7rocprim17ROCPRIM_400000_NS6detail17trampoline_kernelINS0_14default_configENS1_25partition_config_selectorILNS1_17partition_subalgoE5EdNS0_10empty_typeEbEEZZNS1_14partition_implILS5_5ELb0ES3_mN6thrust23THRUST_200600_302600_NS6detail15normal_iteratorINSA_10device_ptrIdEEEEPS6_NSA_18transform_iteratorINSB_9not_fun_tI7is_trueIdEEENSC_INSD_IbEEEENSA_11use_defaultESO_EENS0_5tupleIJSF_S6_EEENSQ_IJSG_SG_EEES6_PlJS6_EEE10hipError_tPvRmT3_T4_T5_T6_T7_T9_mT8_P12ihipStream_tbDpT10_ENKUlT_T0_E_clISt17integral_constantIbLb0EES1C_IbLb1EEEEDaS18_S19_EUlS18_E_NS1_11comp_targetILNS1_3genE8ELNS1_11target_archE1030ELNS1_3gpuE2ELNS1_3repE0EEENS1_30default_config_static_selectorELNS0_4arch9wavefront6targetE0EEEvT1_
		.amdhsa_group_segment_fixed_size 0
		.amdhsa_private_segment_fixed_size 0
		.amdhsa_kernarg_size 136
		.amdhsa_user_sgpr_count 2
		.amdhsa_user_sgpr_dispatch_ptr 0
		.amdhsa_user_sgpr_queue_ptr 0
		.amdhsa_user_sgpr_kernarg_segment_ptr 1
		.amdhsa_user_sgpr_dispatch_id 0
		.amdhsa_user_sgpr_private_segment_size 0
		.amdhsa_wavefront_size32 1
		.amdhsa_uses_dynamic_stack 0
		.amdhsa_enable_private_segment 0
		.amdhsa_system_sgpr_workgroup_id_x 1
		.amdhsa_system_sgpr_workgroup_id_y 0
		.amdhsa_system_sgpr_workgroup_id_z 0
		.amdhsa_system_sgpr_workgroup_info 0
		.amdhsa_system_vgpr_workitem_id 0
		.amdhsa_next_free_vgpr 1
		.amdhsa_next_free_sgpr 1
		.amdhsa_reserve_vcc 0
		.amdhsa_float_round_mode_32 0
		.amdhsa_float_round_mode_16_64 0
		.amdhsa_float_denorm_mode_32 3
		.amdhsa_float_denorm_mode_16_64 3
		.amdhsa_fp16_overflow 0
		.amdhsa_workgroup_processor_mode 1
		.amdhsa_memory_ordered 1
		.amdhsa_forward_progress 1
		.amdhsa_inst_pref_size 0
		.amdhsa_round_robin_scheduling 0
		.amdhsa_exception_fp_ieee_invalid_op 0
		.amdhsa_exception_fp_denorm_src 0
		.amdhsa_exception_fp_ieee_div_zero 0
		.amdhsa_exception_fp_ieee_overflow 0
		.amdhsa_exception_fp_ieee_underflow 0
		.amdhsa_exception_fp_ieee_inexact 0
		.amdhsa_exception_int_div_zero 0
	.end_amdhsa_kernel
	.section	.text._ZN7rocprim17ROCPRIM_400000_NS6detail17trampoline_kernelINS0_14default_configENS1_25partition_config_selectorILNS1_17partition_subalgoE5EdNS0_10empty_typeEbEEZZNS1_14partition_implILS5_5ELb0ES3_mN6thrust23THRUST_200600_302600_NS6detail15normal_iteratorINSA_10device_ptrIdEEEEPS6_NSA_18transform_iteratorINSB_9not_fun_tI7is_trueIdEEENSC_INSD_IbEEEENSA_11use_defaultESO_EENS0_5tupleIJSF_S6_EEENSQ_IJSG_SG_EEES6_PlJS6_EEE10hipError_tPvRmT3_T4_T5_T6_T7_T9_mT8_P12ihipStream_tbDpT10_ENKUlT_T0_E_clISt17integral_constantIbLb0EES1C_IbLb1EEEEDaS18_S19_EUlS18_E_NS1_11comp_targetILNS1_3genE8ELNS1_11target_archE1030ELNS1_3gpuE2ELNS1_3repE0EEENS1_30default_config_static_selectorELNS0_4arch9wavefront6targetE0EEEvT1_,"axG",@progbits,_ZN7rocprim17ROCPRIM_400000_NS6detail17trampoline_kernelINS0_14default_configENS1_25partition_config_selectorILNS1_17partition_subalgoE5EdNS0_10empty_typeEbEEZZNS1_14partition_implILS5_5ELb0ES3_mN6thrust23THRUST_200600_302600_NS6detail15normal_iteratorINSA_10device_ptrIdEEEEPS6_NSA_18transform_iteratorINSB_9not_fun_tI7is_trueIdEEENSC_INSD_IbEEEENSA_11use_defaultESO_EENS0_5tupleIJSF_S6_EEENSQ_IJSG_SG_EEES6_PlJS6_EEE10hipError_tPvRmT3_T4_T5_T6_T7_T9_mT8_P12ihipStream_tbDpT10_ENKUlT_T0_E_clISt17integral_constantIbLb0EES1C_IbLb1EEEEDaS18_S19_EUlS18_E_NS1_11comp_targetILNS1_3genE8ELNS1_11target_archE1030ELNS1_3gpuE2ELNS1_3repE0EEENS1_30default_config_static_selectorELNS0_4arch9wavefront6targetE0EEEvT1_,comdat
.Lfunc_end2364:
	.size	_ZN7rocprim17ROCPRIM_400000_NS6detail17trampoline_kernelINS0_14default_configENS1_25partition_config_selectorILNS1_17partition_subalgoE5EdNS0_10empty_typeEbEEZZNS1_14partition_implILS5_5ELb0ES3_mN6thrust23THRUST_200600_302600_NS6detail15normal_iteratorINSA_10device_ptrIdEEEEPS6_NSA_18transform_iteratorINSB_9not_fun_tI7is_trueIdEEENSC_INSD_IbEEEENSA_11use_defaultESO_EENS0_5tupleIJSF_S6_EEENSQ_IJSG_SG_EEES6_PlJS6_EEE10hipError_tPvRmT3_T4_T5_T6_T7_T9_mT8_P12ihipStream_tbDpT10_ENKUlT_T0_E_clISt17integral_constantIbLb0EES1C_IbLb1EEEEDaS18_S19_EUlS18_E_NS1_11comp_targetILNS1_3genE8ELNS1_11target_archE1030ELNS1_3gpuE2ELNS1_3repE0EEENS1_30default_config_static_selectorELNS0_4arch9wavefront6targetE0EEEvT1_, .Lfunc_end2364-_ZN7rocprim17ROCPRIM_400000_NS6detail17trampoline_kernelINS0_14default_configENS1_25partition_config_selectorILNS1_17partition_subalgoE5EdNS0_10empty_typeEbEEZZNS1_14partition_implILS5_5ELb0ES3_mN6thrust23THRUST_200600_302600_NS6detail15normal_iteratorINSA_10device_ptrIdEEEEPS6_NSA_18transform_iteratorINSB_9not_fun_tI7is_trueIdEEENSC_INSD_IbEEEENSA_11use_defaultESO_EENS0_5tupleIJSF_S6_EEENSQ_IJSG_SG_EEES6_PlJS6_EEE10hipError_tPvRmT3_T4_T5_T6_T7_T9_mT8_P12ihipStream_tbDpT10_ENKUlT_T0_E_clISt17integral_constantIbLb0EES1C_IbLb1EEEEDaS18_S19_EUlS18_E_NS1_11comp_targetILNS1_3genE8ELNS1_11target_archE1030ELNS1_3gpuE2ELNS1_3repE0EEENS1_30default_config_static_selectorELNS0_4arch9wavefront6targetE0EEEvT1_
                                        ; -- End function
	.set _ZN7rocprim17ROCPRIM_400000_NS6detail17trampoline_kernelINS0_14default_configENS1_25partition_config_selectorILNS1_17partition_subalgoE5EdNS0_10empty_typeEbEEZZNS1_14partition_implILS5_5ELb0ES3_mN6thrust23THRUST_200600_302600_NS6detail15normal_iteratorINSA_10device_ptrIdEEEEPS6_NSA_18transform_iteratorINSB_9not_fun_tI7is_trueIdEEENSC_INSD_IbEEEENSA_11use_defaultESO_EENS0_5tupleIJSF_S6_EEENSQ_IJSG_SG_EEES6_PlJS6_EEE10hipError_tPvRmT3_T4_T5_T6_T7_T9_mT8_P12ihipStream_tbDpT10_ENKUlT_T0_E_clISt17integral_constantIbLb0EES1C_IbLb1EEEEDaS18_S19_EUlS18_E_NS1_11comp_targetILNS1_3genE8ELNS1_11target_archE1030ELNS1_3gpuE2ELNS1_3repE0EEENS1_30default_config_static_selectorELNS0_4arch9wavefront6targetE0EEEvT1_.num_vgpr, 0
	.set _ZN7rocprim17ROCPRIM_400000_NS6detail17trampoline_kernelINS0_14default_configENS1_25partition_config_selectorILNS1_17partition_subalgoE5EdNS0_10empty_typeEbEEZZNS1_14partition_implILS5_5ELb0ES3_mN6thrust23THRUST_200600_302600_NS6detail15normal_iteratorINSA_10device_ptrIdEEEEPS6_NSA_18transform_iteratorINSB_9not_fun_tI7is_trueIdEEENSC_INSD_IbEEEENSA_11use_defaultESO_EENS0_5tupleIJSF_S6_EEENSQ_IJSG_SG_EEES6_PlJS6_EEE10hipError_tPvRmT3_T4_T5_T6_T7_T9_mT8_P12ihipStream_tbDpT10_ENKUlT_T0_E_clISt17integral_constantIbLb0EES1C_IbLb1EEEEDaS18_S19_EUlS18_E_NS1_11comp_targetILNS1_3genE8ELNS1_11target_archE1030ELNS1_3gpuE2ELNS1_3repE0EEENS1_30default_config_static_selectorELNS0_4arch9wavefront6targetE0EEEvT1_.num_agpr, 0
	.set _ZN7rocprim17ROCPRIM_400000_NS6detail17trampoline_kernelINS0_14default_configENS1_25partition_config_selectorILNS1_17partition_subalgoE5EdNS0_10empty_typeEbEEZZNS1_14partition_implILS5_5ELb0ES3_mN6thrust23THRUST_200600_302600_NS6detail15normal_iteratorINSA_10device_ptrIdEEEEPS6_NSA_18transform_iteratorINSB_9not_fun_tI7is_trueIdEEENSC_INSD_IbEEEENSA_11use_defaultESO_EENS0_5tupleIJSF_S6_EEENSQ_IJSG_SG_EEES6_PlJS6_EEE10hipError_tPvRmT3_T4_T5_T6_T7_T9_mT8_P12ihipStream_tbDpT10_ENKUlT_T0_E_clISt17integral_constantIbLb0EES1C_IbLb1EEEEDaS18_S19_EUlS18_E_NS1_11comp_targetILNS1_3genE8ELNS1_11target_archE1030ELNS1_3gpuE2ELNS1_3repE0EEENS1_30default_config_static_selectorELNS0_4arch9wavefront6targetE0EEEvT1_.numbered_sgpr, 0
	.set _ZN7rocprim17ROCPRIM_400000_NS6detail17trampoline_kernelINS0_14default_configENS1_25partition_config_selectorILNS1_17partition_subalgoE5EdNS0_10empty_typeEbEEZZNS1_14partition_implILS5_5ELb0ES3_mN6thrust23THRUST_200600_302600_NS6detail15normal_iteratorINSA_10device_ptrIdEEEEPS6_NSA_18transform_iteratorINSB_9not_fun_tI7is_trueIdEEENSC_INSD_IbEEEENSA_11use_defaultESO_EENS0_5tupleIJSF_S6_EEENSQ_IJSG_SG_EEES6_PlJS6_EEE10hipError_tPvRmT3_T4_T5_T6_T7_T9_mT8_P12ihipStream_tbDpT10_ENKUlT_T0_E_clISt17integral_constantIbLb0EES1C_IbLb1EEEEDaS18_S19_EUlS18_E_NS1_11comp_targetILNS1_3genE8ELNS1_11target_archE1030ELNS1_3gpuE2ELNS1_3repE0EEENS1_30default_config_static_selectorELNS0_4arch9wavefront6targetE0EEEvT1_.num_named_barrier, 0
	.set _ZN7rocprim17ROCPRIM_400000_NS6detail17trampoline_kernelINS0_14default_configENS1_25partition_config_selectorILNS1_17partition_subalgoE5EdNS0_10empty_typeEbEEZZNS1_14partition_implILS5_5ELb0ES3_mN6thrust23THRUST_200600_302600_NS6detail15normal_iteratorINSA_10device_ptrIdEEEEPS6_NSA_18transform_iteratorINSB_9not_fun_tI7is_trueIdEEENSC_INSD_IbEEEENSA_11use_defaultESO_EENS0_5tupleIJSF_S6_EEENSQ_IJSG_SG_EEES6_PlJS6_EEE10hipError_tPvRmT3_T4_T5_T6_T7_T9_mT8_P12ihipStream_tbDpT10_ENKUlT_T0_E_clISt17integral_constantIbLb0EES1C_IbLb1EEEEDaS18_S19_EUlS18_E_NS1_11comp_targetILNS1_3genE8ELNS1_11target_archE1030ELNS1_3gpuE2ELNS1_3repE0EEENS1_30default_config_static_selectorELNS0_4arch9wavefront6targetE0EEEvT1_.private_seg_size, 0
	.set _ZN7rocprim17ROCPRIM_400000_NS6detail17trampoline_kernelINS0_14default_configENS1_25partition_config_selectorILNS1_17partition_subalgoE5EdNS0_10empty_typeEbEEZZNS1_14partition_implILS5_5ELb0ES3_mN6thrust23THRUST_200600_302600_NS6detail15normal_iteratorINSA_10device_ptrIdEEEEPS6_NSA_18transform_iteratorINSB_9not_fun_tI7is_trueIdEEENSC_INSD_IbEEEENSA_11use_defaultESO_EENS0_5tupleIJSF_S6_EEENSQ_IJSG_SG_EEES6_PlJS6_EEE10hipError_tPvRmT3_T4_T5_T6_T7_T9_mT8_P12ihipStream_tbDpT10_ENKUlT_T0_E_clISt17integral_constantIbLb0EES1C_IbLb1EEEEDaS18_S19_EUlS18_E_NS1_11comp_targetILNS1_3genE8ELNS1_11target_archE1030ELNS1_3gpuE2ELNS1_3repE0EEENS1_30default_config_static_selectorELNS0_4arch9wavefront6targetE0EEEvT1_.uses_vcc, 0
	.set _ZN7rocprim17ROCPRIM_400000_NS6detail17trampoline_kernelINS0_14default_configENS1_25partition_config_selectorILNS1_17partition_subalgoE5EdNS0_10empty_typeEbEEZZNS1_14partition_implILS5_5ELb0ES3_mN6thrust23THRUST_200600_302600_NS6detail15normal_iteratorINSA_10device_ptrIdEEEEPS6_NSA_18transform_iteratorINSB_9not_fun_tI7is_trueIdEEENSC_INSD_IbEEEENSA_11use_defaultESO_EENS0_5tupleIJSF_S6_EEENSQ_IJSG_SG_EEES6_PlJS6_EEE10hipError_tPvRmT3_T4_T5_T6_T7_T9_mT8_P12ihipStream_tbDpT10_ENKUlT_T0_E_clISt17integral_constantIbLb0EES1C_IbLb1EEEEDaS18_S19_EUlS18_E_NS1_11comp_targetILNS1_3genE8ELNS1_11target_archE1030ELNS1_3gpuE2ELNS1_3repE0EEENS1_30default_config_static_selectorELNS0_4arch9wavefront6targetE0EEEvT1_.uses_flat_scratch, 0
	.set _ZN7rocprim17ROCPRIM_400000_NS6detail17trampoline_kernelINS0_14default_configENS1_25partition_config_selectorILNS1_17partition_subalgoE5EdNS0_10empty_typeEbEEZZNS1_14partition_implILS5_5ELb0ES3_mN6thrust23THRUST_200600_302600_NS6detail15normal_iteratorINSA_10device_ptrIdEEEEPS6_NSA_18transform_iteratorINSB_9not_fun_tI7is_trueIdEEENSC_INSD_IbEEEENSA_11use_defaultESO_EENS0_5tupleIJSF_S6_EEENSQ_IJSG_SG_EEES6_PlJS6_EEE10hipError_tPvRmT3_T4_T5_T6_T7_T9_mT8_P12ihipStream_tbDpT10_ENKUlT_T0_E_clISt17integral_constantIbLb0EES1C_IbLb1EEEEDaS18_S19_EUlS18_E_NS1_11comp_targetILNS1_3genE8ELNS1_11target_archE1030ELNS1_3gpuE2ELNS1_3repE0EEENS1_30default_config_static_selectorELNS0_4arch9wavefront6targetE0EEEvT1_.has_dyn_sized_stack, 0
	.set _ZN7rocprim17ROCPRIM_400000_NS6detail17trampoline_kernelINS0_14default_configENS1_25partition_config_selectorILNS1_17partition_subalgoE5EdNS0_10empty_typeEbEEZZNS1_14partition_implILS5_5ELb0ES3_mN6thrust23THRUST_200600_302600_NS6detail15normal_iteratorINSA_10device_ptrIdEEEEPS6_NSA_18transform_iteratorINSB_9not_fun_tI7is_trueIdEEENSC_INSD_IbEEEENSA_11use_defaultESO_EENS0_5tupleIJSF_S6_EEENSQ_IJSG_SG_EEES6_PlJS6_EEE10hipError_tPvRmT3_T4_T5_T6_T7_T9_mT8_P12ihipStream_tbDpT10_ENKUlT_T0_E_clISt17integral_constantIbLb0EES1C_IbLb1EEEEDaS18_S19_EUlS18_E_NS1_11comp_targetILNS1_3genE8ELNS1_11target_archE1030ELNS1_3gpuE2ELNS1_3repE0EEENS1_30default_config_static_selectorELNS0_4arch9wavefront6targetE0EEEvT1_.has_recursion, 0
	.set _ZN7rocprim17ROCPRIM_400000_NS6detail17trampoline_kernelINS0_14default_configENS1_25partition_config_selectorILNS1_17partition_subalgoE5EdNS0_10empty_typeEbEEZZNS1_14partition_implILS5_5ELb0ES3_mN6thrust23THRUST_200600_302600_NS6detail15normal_iteratorINSA_10device_ptrIdEEEEPS6_NSA_18transform_iteratorINSB_9not_fun_tI7is_trueIdEEENSC_INSD_IbEEEENSA_11use_defaultESO_EENS0_5tupleIJSF_S6_EEENSQ_IJSG_SG_EEES6_PlJS6_EEE10hipError_tPvRmT3_T4_T5_T6_T7_T9_mT8_P12ihipStream_tbDpT10_ENKUlT_T0_E_clISt17integral_constantIbLb0EES1C_IbLb1EEEEDaS18_S19_EUlS18_E_NS1_11comp_targetILNS1_3genE8ELNS1_11target_archE1030ELNS1_3gpuE2ELNS1_3repE0EEENS1_30default_config_static_selectorELNS0_4arch9wavefront6targetE0EEEvT1_.has_indirect_call, 0
	.section	.AMDGPU.csdata,"",@progbits
; Kernel info:
; codeLenInByte = 0
; TotalNumSgprs: 0
; NumVgprs: 0
; ScratchSize: 0
; MemoryBound: 0
; FloatMode: 240
; IeeeMode: 1
; LDSByteSize: 0 bytes/workgroup (compile time only)
; SGPRBlocks: 0
; VGPRBlocks: 0
; NumSGPRsForWavesPerEU: 1
; NumVGPRsForWavesPerEU: 1
; Occupancy: 16
; WaveLimiterHint : 0
; COMPUTE_PGM_RSRC2:SCRATCH_EN: 0
; COMPUTE_PGM_RSRC2:USER_SGPR: 2
; COMPUTE_PGM_RSRC2:TRAP_HANDLER: 0
; COMPUTE_PGM_RSRC2:TGID_X_EN: 1
; COMPUTE_PGM_RSRC2:TGID_Y_EN: 0
; COMPUTE_PGM_RSRC2:TGID_Z_EN: 0
; COMPUTE_PGM_RSRC2:TIDIG_COMP_CNT: 0
	.section	.text._ZN7rocprim17ROCPRIM_400000_NS6detail17trampoline_kernelINS0_14default_configENS1_25partition_config_selectorILNS1_17partition_subalgoE5EfNS0_10empty_typeEbEEZZNS1_14partition_implILS5_5ELb0ES3_mN6thrust23THRUST_200600_302600_NS6detail15normal_iteratorINSA_10device_ptrIfEEEEPS6_NSA_18transform_iteratorINSB_9not_fun_tI7is_trueIfEEENSC_INSD_IbEEEENSA_11use_defaultESO_EENS0_5tupleIJSF_S6_EEENSQ_IJSG_SG_EEES6_PlJS6_EEE10hipError_tPvRmT3_T4_T5_T6_T7_T9_mT8_P12ihipStream_tbDpT10_ENKUlT_T0_E_clISt17integral_constantIbLb0EES1D_EEDaS18_S19_EUlS18_E_NS1_11comp_targetILNS1_3genE0ELNS1_11target_archE4294967295ELNS1_3gpuE0ELNS1_3repE0EEENS1_30default_config_static_selectorELNS0_4arch9wavefront6targetE0EEEvT1_,"axG",@progbits,_ZN7rocprim17ROCPRIM_400000_NS6detail17trampoline_kernelINS0_14default_configENS1_25partition_config_selectorILNS1_17partition_subalgoE5EfNS0_10empty_typeEbEEZZNS1_14partition_implILS5_5ELb0ES3_mN6thrust23THRUST_200600_302600_NS6detail15normal_iteratorINSA_10device_ptrIfEEEEPS6_NSA_18transform_iteratorINSB_9not_fun_tI7is_trueIfEEENSC_INSD_IbEEEENSA_11use_defaultESO_EENS0_5tupleIJSF_S6_EEENSQ_IJSG_SG_EEES6_PlJS6_EEE10hipError_tPvRmT3_T4_T5_T6_T7_T9_mT8_P12ihipStream_tbDpT10_ENKUlT_T0_E_clISt17integral_constantIbLb0EES1D_EEDaS18_S19_EUlS18_E_NS1_11comp_targetILNS1_3genE0ELNS1_11target_archE4294967295ELNS1_3gpuE0ELNS1_3repE0EEENS1_30default_config_static_selectorELNS0_4arch9wavefront6targetE0EEEvT1_,comdat
	.protected	_ZN7rocprim17ROCPRIM_400000_NS6detail17trampoline_kernelINS0_14default_configENS1_25partition_config_selectorILNS1_17partition_subalgoE5EfNS0_10empty_typeEbEEZZNS1_14partition_implILS5_5ELb0ES3_mN6thrust23THRUST_200600_302600_NS6detail15normal_iteratorINSA_10device_ptrIfEEEEPS6_NSA_18transform_iteratorINSB_9not_fun_tI7is_trueIfEEENSC_INSD_IbEEEENSA_11use_defaultESO_EENS0_5tupleIJSF_S6_EEENSQ_IJSG_SG_EEES6_PlJS6_EEE10hipError_tPvRmT3_T4_T5_T6_T7_T9_mT8_P12ihipStream_tbDpT10_ENKUlT_T0_E_clISt17integral_constantIbLb0EES1D_EEDaS18_S19_EUlS18_E_NS1_11comp_targetILNS1_3genE0ELNS1_11target_archE4294967295ELNS1_3gpuE0ELNS1_3repE0EEENS1_30default_config_static_selectorELNS0_4arch9wavefront6targetE0EEEvT1_ ; -- Begin function _ZN7rocprim17ROCPRIM_400000_NS6detail17trampoline_kernelINS0_14default_configENS1_25partition_config_selectorILNS1_17partition_subalgoE5EfNS0_10empty_typeEbEEZZNS1_14partition_implILS5_5ELb0ES3_mN6thrust23THRUST_200600_302600_NS6detail15normal_iteratorINSA_10device_ptrIfEEEEPS6_NSA_18transform_iteratorINSB_9not_fun_tI7is_trueIfEEENSC_INSD_IbEEEENSA_11use_defaultESO_EENS0_5tupleIJSF_S6_EEENSQ_IJSG_SG_EEES6_PlJS6_EEE10hipError_tPvRmT3_T4_T5_T6_T7_T9_mT8_P12ihipStream_tbDpT10_ENKUlT_T0_E_clISt17integral_constantIbLb0EES1D_EEDaS18_S19_EUlS18_E_NS1_11comp_targetILNS1_3genE0ELNS1_11target_archE4294967295ELNS1_3gpuE0ELNS1_3repE0EEENS1_30default_config_static_selectorELNS0_4arch9wavefront6targetE0EEEvT1_
	.globl	_ZN7rocprim17ROCPRIM_400000_NS6detail17trampoline_kernelINS0_14default_configENS1_25partition_config_selectorILNS1_17partition_subalgoE5EfNS0_10empty_typeEbEEZZNS1_14partition_implILS5_5ELb0ES3_mN6thrust23THRUST_200600_302600_NS6detail15normal_iteratorINSA_10device_ptrIfEEEEPS6_NSA_18transform_iteratorINSB_9not_fun_tI7is_trueIfEEENSC_INSD_IbEEEENSA_11use_defaultESO_EENS0_5tupleIJSF_S6_EEENSQ_IJSG_SG_EEES6_PlJS6_EEE10hipError_tPvRmT3_T4_T5_T6_T7_T9_mT8_P12ihipStream_tbDpT10_ENKUlT_T0_E_clISt17integral_constantIbLb0EES1D_EEDaS18_S19_EUlS18_E_NS1_11comp_targetILNS1_3genE0ELNS1_11target_archE4294967295ELNS1_3gpuE0ELNS1_3repE0EEENS1_30default_config_static_selectorELNS0_4arch9wavefront6targetE0EEEvT1_
	.p2align	8
	.type	_ZN7rocprim17ROCPRIM_400000_NS6detail17trampoline_kernelINS0_14default_configENS1_25partition_config_selectorILNS1_17partition_subalgoE5EfNS0_10empty_typeEbEEZZNS1_14partition_implILS5_5ELb0ES3_mN6thrust23THRUST_200600_302600_NS6detail15normal_iteratorINSA_10device_ptrIfEEEEPS6_NSA_18transform_iteratorINSB_9not_fun_tI7is_trueIfEEENSC_INSD_IbEEEENSA_11use_defaultESO_EENS0_5tupleIJSF_S6_EEENSQ_IJSG_SG_EEES6_PlJS6_EEE10hipError_tPvRmT3_T4_T5_T6_T7_T9_mT8_P12ihipStream_tbDpT10_ENKUlT_T0_E_clISt17integral_constantIbLb0EES1D_EEDaS18_S19_EUlS18_E_NS1_11comp_targetILNS1_3genE0ELNS1_11target_archE4294967295ELNS1_3gpuE0ELNS1_3repE0EEENS1_30default_config_static_selectorELNS0_4arch9wavefront6targetE0EEEvT1_,@function
_ZN7rocprim17ROCPRIM_400000_NS6detail17trampoline_kernelINS0_14default_configENS1_25partition_config_selectorILNS1_17partition_subalgoE5EfNS0_10empty_typeEbEEZZNS1_14partition_implILS5_5ELb0ES3_mN6thrust23THRUST_200600_302600_NS6detail15normal_iteratorINSA_10device_ptrIfEEEEPS6_NSA_18transform_iteratorINSB_9not_fun_tI7is_trueIfEEENSC_INSD_IbEEEENSA_11use_defaultESO_EENS0_5tupleIJSF_S6_EEENSQ_IJSG_SG_EEES6_PlJS6_EEE10hipError_tPvRmT3_T4_T5_T6_T7_T9_mT8_P12ihipStream_tbDpT10_ENKUlT_T0_E_clISt17integral_constantIbLb0EES1D_EEDaS18_S19_EUlS18_E_NS1_11comp_targetILNS1_3genE0ELNS1_11target_archE4294967295ELNS1_3gpuE0ELNS1_3repE0EEENS1_30default_config_static_selectorELNS0_4arch9wavefront6targetE0EEEvT1_: ; @_ZN7rocprim17ROCPRIM_400000_NS6detail17trampoline_kernelINS0_14default_configENS1_25partition_config_selectorILNS1_17partition_subalgoE5EfNS0_10empty_typeEbEEZZNS1_14partition_implILS5_5ELb0ES3_mN6thrust23THRUST_200600_302600_NS6detail15normal_iteratorINSA_10device_ptrIfEEEEPS6_NSA_18transform_iteratorINSB_9not_fun_tI7is_trueIfEEENSC_INSD_IbEEEENSA_11use_defaultESO_EENS0_5tupleIJSF_S6_EEENSQ_IJSG_SG_EEES6_PlJS6_EEE10hipError_tPvRmT3_T4_T5_T6_T7_T9_mT8_P12ihipStream_tbDpT10_ENKUlT_T0_E_clISt17integral_constantIbLb0EES1D_EEDaS18_S19_EUlS18_E_NS1_11comp_targetILNS1_3genE0ELNS1_11target_archE4294967295ELNS1_3gpuE0ELNS1_3repE0EEENS1_30default_config_static_selectorELNS0_4arch9wavefront6targetE0EEEvT1_
; %bb.0:
	.section	.rodata,"a",@progbits
	.p2align	6, 0x0
	.amdhsa_kernel _ZN7rocprim17ROCPRIM_400000_NS6detail17trampoline_kernelINS0_14default_configENS1_25partition_config_selectorILNS1_17partition_subalgoE5EfNS0_10empty_typeEbEEZZNS1_14partition_implILS5_5ELb0ES3_mN6thrust23THRUST_200600_302600_NS6detail15normal_iteratorINSA_10device_ptrIfEEEEPS6_NSA_18transform_iteratorINSB_9not_fun_tI7is_trueIfEEENSC_INSD_IbEEEENSA_11use_defaultESO_EENS0_5tupleIJSF_S6_EEENSQ_IJSG_SG_EEES6_PlJS6_EEE10hipError_tPvRmT3_T4_T5_T6_T7_T9_mT8_P12ihipStream_tbDpT10_ENKUlT_T0_E_clISt17integral_constantIbLb0EES1D_EEDaS18_S19_EUlS18_E_NS1_11comp_targetILNS1_3genE0ELNS1_11target_archE4294967295ELNS1_3gpuE0ELNS1_3repE0EEENS1_30default_config_static_selectorELNS0_4arch9wavefront6targetE0EEEvT1_
		.amdhsa_group_segment_fixed_size 0
		.amdhsa_private_segment_fixed_size 0
		.amdhsa_kernarg_size 120
		.amdhsa_user_sgpr_count 2
		.amdhsa_user_sgpr_dispatch_ptr 0
		.amdhsa_user_sgpr_queue_ptr 0
		.amdhsa_user_sgpr_kernarg_segment_ptr 1
		.amdhsa_user_sgpr_dispatch_id 0
		.amdhsa_user_sgpr_private_segment_size 0
		.amdhsa_wavefront_size32 1
		.amdhsa_uses_dynamic_stack 0
		.amdhsa_enable_private_segment 0
		.amdhsa_system_sgpr_workgroup_id_x 1
		.amdhsa_system_sgpr_workgroup_id_y 0
		.amdhsa_system_sgpr_workgroup_id_z 0
		.amdhsa_system_sgpr_workgroup_info 0
		.amdhsa_system_vgpr_workitem_id 0
		.amdhsa_next_free_vgpr 1
		.amdhsa_next_free_sgpr 1
		.amdhsa_reserve_vcc 0
		.amdhsa_float_round_mode_32 0
		.amdhsa_float_round_mode_16_64 0
		.amdhsa_float_denorm_mode_32 3
		.amdhsa_float_denorm_mode_16_64 3
		.amdhsa_fp16_overflow 0
		.amdhsa_workgroup_processor_mode 1
		.amdhsa_memory_ordered 1
		.amdhsa_forward_progress 1
		.amdhsa_inst_pref_size 0
		.amdhsa_round_robin_scheduling 0
		.amdhsa_exception_fp_ieee_invalid_op 0
		.amdhsa_exception_fp_denorm_src 0
		.amdhsa_exception_fp_ieee_div_zero 0
		.amdhsa_exception_fp_ieee_overflow 0
		.amdhsa_exception_fp_ieee_underflow 0
		.amdhsa_exception_fp_ieee_inexact 0
		.amdhsa_exception_int_div_zero 0
	.end_amdhsa_kernel
	.section	.text._ZN7rocprim17ROCPRIM_400000_NS6detail17trampoline_kernelINS0_14default_configENS1_25partition_config_selectorILNS1_17partition_subalgoE5EfNS0_10empty_typeEbEEZZNS1_14partition_implILS5_5ELb0ES3_mN6thrust23THRUST_200600_302600_NS6detail15normal_iteratorINSA_10device_ptrIfEEEEPS6_NSA_18transform_iteratorINSB_9not_fun_tI7is_trueIfEEENSC_INSD_IbEEEENSA_11use_defaultESO_EENS0_5tupleIJSF_S6_EEENSQ_IJSG_SG_EEES6_PlJS6_EEE10hipError_tPvRmT3_T4_T5_T6_T7_T9_mT8_P12ihipStream_tbDpT10_ENKUlT_T0_E_clISt17integral_constantIbLb0EES1D_EEDaS18_S19_EUlS18_E_NS1_11comp_targetILNS1_3genE0ELNS1_11target_archE4294967295ELNS1_3gpuE0ELNS1_3repE0EEENS1_30default_config_static_selectorELNS0_4arch9wavefront6targetE0EEEvT1_,"axG",@progbits,_ZN7rocprim17ROCPRIM_400000_NS6detail17trampoline_kernelINS0_14default_configENS1_25partition_config_selectorILNS1_17partition_subalgoE5EfNS0_10empty_typeEbEEZZNS1_14partition_implILS5_5ELb0ES3_mN6thrust23THRUST_200600_302600_NS6detail15normal_iteratorINSA_10device_ptrIfEEEEPS6_NSA_18transform_iteratorINSB_9not_fun_tI7is_trueIfEEENSC_INSD_IbEEEENSA_11use_defaultESO_EENS0_5tupleIJSF_S6_EEENSQ_IJSG_SG_EEES6_PlJS6_EEE10hipError_tPvRmT3_T4_T5_T6_T7_T9_mT8_P12ihipStream_tbDpT10_ENKUlT_T0_E_clISt17integral_constantIbLb0EES1D_EEDaS18_S19_EUlS18_E_NS1_11comp_targetILNS1_3genE0ELNS1_11target_archE4294967295ELNS1_3gpuE0ELNS1_3repE0EEENS1_30default_config_static_selectorELNS0_4arch9wavefront6targetE0EEEvT1_,comdat
.Lfunc_end2365:
	.size	_ZN7rocprim17ROCPRIM_400000_NS6detail17trampoline_kernelINS0_14default_configENS1_25partition_config_selectorILNS1_17partition_subalgoE5EfNS0_10empty_typeEbEEZZNS1_14partition_implILS5_5ELb0ES3_mN6thrust23THRUST_200600_302600_NS6detail15normal_iteratorINSA_10device_ptrIfEEEEPS6_NSA_18transform_iteratorINSB_9not_fun_tI7is_trueIfEEENSC_INSD_IbEEEENSA_11use_defaultESO_EENS0_5tupleIJSF_S6_EEENSQ_IJSG_SG_EEES6_PlJS6_EEE10hipError_tPvRmT3_T4_T5_T6_T7_T9_mT8_P12ihipStream_tbDpT10_ENKUlT_T0_E_clISt17integral_constantIbLb0EES1D_EEDaS18_S19_EUlS18_E_NS1_11comp_targetILNS1_3genE0ELNS1_11target_archE4294967295ELNS1_3gpuE0ELNS1_3repE0EEENS1_30default_config_static_selectorELNS0_4arch9wavefront6targetE0EEEvT1_, .Lfunc_end2365-_ZN7rocprim17ROCPRIM_400000_NS6detail17trampoline_kernelINS0_14default_configENS1_25partition_config_selectorILNS1_17partition_subalgoE5EfNS0_10empty_typeEbEEZZNS1_14partition_implILS5_5ELb0ES3_mN6thrust23THRUST_200600_302600_NS6detail15normal_iteratorINSA_10device_ptrIfEEEEPS6_NSA_18transform_iteratorINSB_9not_fun_tI7is_trueIfEEENSC_INSD_IbEEEENSA_11use_defaultESO_EENS0_5tupleIJSF_S6_EEENSQ_IJSG_SG_EEES6_PlJS6_EEE10hipError_tPvRmT3_T4_T5_T6_T7_T9_mT8_P12ihipStream_tbDpT10_ENKUlT_T0_E_clISt17integral_constantIbLb0EES1D_EEDaS18_S19_EUlS18_E_NS1_11comp_targetILNS1_3genE0ELNS1_11target_archE4294967295ELNS1_3gpuE0ELNS1_3repE0EEENS1_30default_config_static_selectorELNS0_4arch9wavefront6targetE0EEEvT1_
                                        ; -- End function
	.set _ZN7rocprim17ROCPRIM_400000_NS6detail17trampoline_kernelINS0_14default_configENS1_25partition_config_selectorILNS1_17partition_subalgoE5EfNS0_10empty_typeEbEEZZNS1_14partition_implILS5_5ELb0ES3_mN6thrust23THRUST_200600_302600_NS6detail15normal_iteratorINSA_10device_ptrIfEEEEPS6_NSA_18transform_iteratorINSB_9not_fun_tI7is_trueIfEEENSC_INSD_IbEEEENSA_11use_defaultESO_EENS0_5tupleIJSF_S6_EEENSQ_IJSG_SG_EEES6_PlJS6_EEE10hipError_tPvRmT3_T4_T5_T6_T7_T9_mT8_P12ihipStream_tbDpT10_ENKUlT_T0_E_clISt17integral_constantIbLb0EES1D_EEDaS18_S19_EUlS18_E_NS1_11comp_targetILNS1_3genE0ELNS1_11target_archE4294967295ELNS1_3gpuE0ELNS1_3repE0EEENS1_30default_config_static_selectorELNS0_4arch9wavefront6targetE0EEEvT1_.num_vgpr, 0
	.set _ZN7rocprim17ROCPRIM_400000_NS6detail17trampoline_kernelINS0_14default_configENS1_25partition_config_selectorILNS1_17partition_subalgoE5EfNS0_10empty_typeEbEEZZNS1_14partition_implILS5_5ELb0ES3_mN6thrust23THRUST_200600_302600_NS6detail15normal_iteratorINSA_10device_ptrIfEEEEPS6_NSA_18transform_iteratorINSB_9not_fun_tI7is_trueIfEEENSC_INSD_IbEEEENSA_11use_defaultESO_EENS0_5tupleIJSF_S6_EEENSQ_IJSG_SG_EEES6_PlJS6_EEE10hipError_tPvRmT3_T4_T5_T6_T7_T9_mT8_P12ihipStream_tbDpT10_ENKUlT_T0_E_clISt17integral_constantIbLb0EES1D_EEDaS18_S19_EUlS18_E_NS1_11comp_targetILNS1_3genE0ELNS1_11target_archE4294967295ELNS1_3gpuE0ELNS1_3repE0EEENS1_30default_config_static_selectorELNS0_4arch9wavefront6targetE0EEEvT1_.num_agpr, 0
	.set _ZN7rocprim17ROCPRIM_400000_NS6detail17trampoline_kernelINS0_14default_configENS1_25partition_config_selectorILNS1_17partition_subalgoE5EfNS0_10empty_typeEbEEZZNS1_14partition_implILS5_5ELb0ES3_mN6thrust23THRUST_200600_302600_NS6detail15normal_iteratorINSA_10device_ptrIfEEEEPS6_NSA_18transform_iteratorINSB_9not_fun_tI7is_trueIfEEENSC_INSD_IbEEEENSA_11use_defaultESO_EENS0_5tupleIJSF_S6_EEENSQ_IJSG_SG_EEES6_PlJS6_EEE10hipError_tPvRmT3_T4_T5_T6_T7_T9_mT8_P12ihipStream_tbDpT10_ENKUlT_T0_E_clISt17integral_constantIbLb0EES1D_EEDaS18_S19_EUlS18_E_NS1_11comp_targetILNS1_3genE0ELNS1_11target_archE4294967295ELNS1_3gpuE0ELNS1_3repE0EEENS1_30default_config_static_selectorELNS0_4arch9wavefront6targetE0EEEvT1_.numbered_sgpr, 0
	.set _ZN7rocprim17ROCPRIM_400000_NS6detail17trampoline_kernelINS0_14default_configENS1_25partition_config_selectorILNS1_17partition_subalgoE5EfNS0_10empty_typeEbEEZZNS1_14partition_implILS5_5ELb0ES3_mN6thrust23THRUST_200600_302600_NS6detail15normal_iteratorINSA_10device_ptrIfEEEEPS6_NSA_18transform_iteratorINSB_9not_fun_tI7is_trueIfEEENSC_INSD_IbEEEENSA_11use_defaultESO_EENS0_5tupleIJSF_S6_EEENSQ_IJSG_SG_EEES6_PlJS6_EEE10hipError_tPvRmT3_T4_T5_T6_T7_T9_mT8_P12ihipStream_tbDpT10_ENKUlT_T0_E_clISt17integral_constantIbLb0EES1D_EEDaS18_S19_EUlS18_E_NS1_11comp_targetILNS1_3genE0ELNS1_11target_archE4294967295ELNS1_3gpuE0ELNS1_3repE0EEENS1_30default_config_static_selectorELNS0_4arch9wavefront6targetE0EEEvT1_.num_named_barrier, 0
	.set _ZN7rocprim17ROCPRIM_400000_NS6detail17trampoline_kernelINS0_14default_configENS1_25partition_config_selectorILNS1_17partition_subalgoE5EfNS0_10empty_typeEbEEZZNS1_14partition_implILS5_5ELb0ES3_mN6thrust23THRUST_200600_302600_NS6detail15normal_iteratorINSA_10device_ptrIfEEEEPS6_NSA_18transform_iteratorINSB_9not_fun_tI7is_trueIfEEENSC_INSD_IbEEEENSA_11use_defaultESO_EENS0_5tupleIJSF_S6_EEENSQ_IJSG_SG_EEES6_PlJS6_EEE10hipError_tPvRmT3_T4_T5_T6_T7_T9_mT8_P12ihipStream_tbDpT10_ENKUlT_T0_E_clISt17integral_constantIbLb0EES1D_EEDaS18_S19_EUlS18_E_NS1_11comp_targetILNS1_3genE0ELNS1_11target_archE4294967295ELNS1_3gpuE0ELNS1_3repE0EEENS1_30default_config_static_selectorELNS0_4arch9wavefront6targetE0EEEvT1_.private_seg_size, 0
	.set _ZN7rocprim17ROCPRIM_400000_NS6detail17trampoline_kernelINS0_14default_configENS1_25partition_config_selectorILNS1_17partition_subalgoE5EfNS0_10empty_typeEbEEZZNS1_14partition_implILS5_5ELb0ES3_mN6thrust23THRUST_200600_302600_NS6detail15normal_iteratorINSA_10device_ptrIfEEEEPS6_NSA_18transform_iteratorINSB_9not_fun_tI7is_trueIfEEENSC_INSD_IbEEEENSA_11use_defaultESO_EENS0_5tupleIJSF_S6_EEENSQ_IJSG_SG_EEES6_PlJS6_EEE10hipError_tPvRmT3_T4_T5_T6_T7_T9_mT8_P12ihipStream_tbDpT10_ENKUlT_T0_E_clISt17integral_constantIbLb0EES1D_EEDaS18_S19_EUlS18_E_NS1_11comp_targetILNS1_3genE0ELNS1_11target_archE4294967295ELNS1_3gpuE0ELNS1_3repE0EEENS1_30default_config_static_selectorELNS0_4arch9wavefront6targetE0EEEvT1_.uses_vcc, 0
	.set _ZN7rocprim17ROCPRIM_400000_NS6detail17trampoline_kernelINS0_14default_configENS1_25partition_config_selectorILNS1_17partition_subalgoE5EfNS0_10empty_typeEbEEZZNS1_14partition_implILS5_5ELb0ES3_mN6thrust23THRUST_200600_302600_NS6detail15normal_iteratorINSA_10device_ptrIfEEEEPS6_NSA_18transform_iteratorINSB_9not_fun_tI7is_trueIfEEENSC_INSD_IbEEEENSA_11use_defaultESO_EENS0_5tupleIJSF_S6_EEENSQ_IJSG_SG_EEES6_PlJS6_EEE10hipError_tPvRmT3_T4_T5_T6_T7_T9_mT8_P12ihipStream_tbDpT10_ENKUlT_T0_E_clISt17integral_constantIbLb0EES1D_EEDaS18_S19_EUlS18_E_NS1_11comp_targetILNS1_3genE0ELNS1_11target_archE4294967295ELNS1_3gpuE0ELNS1_3repE0EEENS1_30default_config_static_selectorELNS0_4arch9wavefront6targetE0EEEvT1_.uses_flat_scratch, 0
	.set _ZN7rocprim17ROCPRIM_400000_NS6detail17trampoline_kernelINS0_14default_configENS1_25partition_config_selectorILNS1_17partition_subalgoE5EfNS0_10empty_typeEbEEZZNS1_14partition_implILS5_5ELb0ES3_mN6thrust23THRUST_200600_302600_NS6detail15normal_iteratorINSA_10device_ptrIfEEEEPS6_NSA_18transform_iteratorINSB_9not_fun_tI7is_trueIfEEENSC_INSD_IbEEEENSA_11use_defaultESO_EENS0_5tupleIJSF_S6_EEENSQ_IJSG_SG_EEES6_PlJS6_EEE10hipError_tPvRmT3_T4_T5_T6_T7_T9_mT8_P12ihipStream_tbDpT10_ENKUlT_T0_E_clISt17integral_constantIbLb0EES1D_EEDaS18_S19_EUlS18_E_NS1_11comp_targetILNS1_3genE0ELNS1_11target_archE4294967295ELNS1_3gpuE0ELNS1_3repE0EEENS1_30default_config_static_selectorELNS0_4arch9wavefront6targetE0EEEvT1_.has_dyn_sized_stack, 0
	.set _ZN7rocprim17ROCPRIM_400000_NS6detail17trampoline_kernelINS0_14default_configENS1_25partition_config_selectorILNS1_17partition_subalgoE5EfNS0_10empty_typeEbEEZZNS1_14partition_implILS5_5ELb0ES3_mN6thrust23THRUST_200600_302600_NS6detail15normal_iteratorINSA_10device_ptrIfEEEEPS6_NSA_18transform_iteratorINSB_9not_fun_tI7is_trueIfEEENSC_INSD_IbEEEENSA_11use_defaultESO_EENS0_5tupleIJSF_S6_EEENSQ_IJSG_SG_EEES6_PlJS6_EEE10hipError_tPvRmT3_T4_T5_T6_T7_T9_mT8_P12ihipStream_tbDpT10_ENKUlT_T0_E_clISt17integral_constantIbLb0EES1D_EEDaS18_S19_EUlS18_E_NS1_11comp_targetILNS1_3genE0ELNS1_11target_archE4294967295ELNS1_3gpuE0ELNS1_3repE0EEENS1_30default_config_static_selectorELNS0_4arch9wavefront6targetE0EEEvT1_.has_recursion, 0
	.set _ZN7rocprim17ROCPRIM_400000_NS6detail17trampoline_kernelINS0_14default_configENS1_25partition_config_selectorILNS1_17partition_subalgoE5EfNS0_10empty_typeEbEEZZNS1_14partition_implILS5_5ELb0ES3_mN6thrust23THRUST_200600_302600_NS6detail15normal_iteratorINSA_10device_ptrIfEEEEPS6_NSA_18transform_iteratorINSB_9not_fun_tI7is_trueIfEEENSC_INSD_IbEEEENSA_11use_defaultESO_EENS0_5tupleIJSF_S6_EEENSQ_IJSG_SG_EEES6_PlJS6_EEE10hipError_tPvRmT3_T4_T5_T6_T7_T9_mT8_P12ihipStream_tbDpT10_ENKUlT_T0_E_clISt17integral_constantIbLb0EES1D_EEDaS18_S19_EUlS18_E_NS1_11comp_targetILNS1_3genE0ELNS1_11target_archE4294967295ELNS1_3gpuE0ELNS1_3repE0EEENS1_30default_config_static_selectorELNS0_4arch9wavefront6targetE0EEEvT1_.has_indirect_call, 0
	.section	.AMDGPU.csdata,"",@progbits
; Kernel info:
; codeLenInByte = 0
; TotalNumSgprs: 0
; NumVgprs: 0
; ScratchSize: 0
; MemoryBound: 0
; FloatMode: 240
; IeeeMode: 1
; LDSByteSize: 0 bytes/workgroup (compile time only)
; SGPRBlocks: 0
; VGPRBlocks: 0
; NumSGPRsForWavesPerEU: 1
; NumVGPRsForWavesPerEU: 1
; Occupancy: 16
; WaveLimiterHint : 0
; COMPUTE_PGM_RSRC2:SCRATCH_EN: 0
; COMPUTE_PGM_RSRC2:USER_SGPR: 2
; COMPUTE_PGM_RSRC2:TRAP_HANDLER: 0
; COMPUTE_PGM_RSRC2:TGID_X_EN: 1
; COMPUTE_PGM_RSRC2:TGID_Y_EN: 0
; COMPUTE_PGM_RSRC2:TGID_Z_EN: 0
; COMPUTE_PGM_RSRC2:TIDIG_COMP_CNT: 0
	.section	.text._ZN7rocprim17ROCPRIM_400000_NS6detail17trampoline_kernelINS0_14default_configENS1_25partition_config_selectorILNS1_17partition_subalgoE5EfNS0_10empty_typeEbEEZZNS1_14partition_implILS5_5ELb0ES3_mN6thrust23THRUST_200600_302600_NS6detail15normal_iteratorINSA_10device_ptrIfEEEEPS6_NSA_18transform_iteratorINSB_9not_fun_tI7is_trueIfEEENSC_INSD_IbEEEENSA_11use_defaultESO_EENS0_5tupleIJSF_S6_EEENSQ_IJSG_SG_EEES6_PlJS6_EEE10hipError_tPvRmT3_T4_T5_T6_T7_T9_mT8_P12ihipStream_tbDpT10_ENKUlT_T0_E_clISt17integral_constantIbLb0EES1D_EEDaS18_S19_EUlS18_E_NS1_11comp_targetILNS1_3genE5ELNS1_11target_archE942ELNS1_3gpuE9ELNS1_3repE0EEENS1_30default_config_static_selectorELNS0_4arch9wavefront6targetE0EEEvT1_,"axG",@progbits,_ZN7rocprim17ROCPRIM_400000_NS6detail17trampoline_kernelINS0_14default_configENS1_25partition_config_selectorILNS1_17partition_subalgoE5EfNS0_10empty_typeEbEEZZNS1_14partition_implILS5_5ELb0ES3_mN6thrust23THRUST_200600_302600_NS6detail15normal_iteratorINSA_10device_ptrIfEEEEPS6_NSA_18transform_iteratorINSB_9not_fun_tI7is_trueIfEEENSC_INSD_IbEEEENSA_11use_defaultESO_EENS0_5tupleIJSF_S6_EEENSQ_IJSG_SG_EEES6_PlJS6_EEE10hipError_tPvRmT3_T4_T5_T6_T7_T9_mT8_P12ihipStream_tbDpT10_ENKUlT_T0_E_clISt17integral_constantIbLb0EES1D_EEDaS18_S19_EUlS18_E_NS1_11comp_targetILNS1_3genE5ELNS1_11target_archE942ELNS1_3gpuE9ELNS1_3repE0EEENS1_30default_config_static_selectorELNS0_4arch9wavefront6targetE0EEEvT1_,comdat
	.protected	_ZN7rocprim17ROCPRIM_400000_NS6detail17trampoline_kernelINS0_14default_configENS1_25partition_config_selectorILNS1_17partition_subalgoE5EfNS0_10empty_typeEbEEZZNS1_14partition_implILS5_5ELb0ES3_mN6thrust23THRUST_200600_302600_NS6detail15normal_iteratorINSA_10device_ptrIfEEEEPS6_NSA_18transform_iteratorINSB_9not_fun_tI7is_trueIfEEENSC_INSD_IbEEEENSA_11use_defaultESO_EENS0_5tupleIJSF_S6_EEENSQ_IJSG_SG_EEES6_PlJS6_EEE10hipError_tPvRmT3_T4_T5_T6_T7_T9_mT8_P12ihipStream_tbDpT10_ENKUlT_T0_E_clISt17integral_constantIbLb0EES1D_EEDaS18_S19_EUlS18_E_NS1_11comp_targetILNS1_3genE5ELNS1_11target_archE942ELNS1_3gpuE9ELNS1_3repE0EEENS1_30default_config_static_selectorELNS0_4arch9wavefront6targetE0EEEvT1_ ; -- Begin function _ZN7rocprim17ROCPRIM_400000_NS6detail17trampoline_kernelINS0_14default_configENS1_25partition_config_selectorILNS1_17partition_subalgoE5EfNS0_10empty_typeEbEEZZNS1_14partition_implILS5_5ELb0ES3_mN6thrust23THRUST_200600_302600_NS6detail15normal_iteratorINSA_10device_ptrIfEEEEPS6_NSA_18transform_iteratorINSB_9not_fun_tI7is_trueIfEEENSC_INSD_IbEEEENSA_11use_defaultESO_EENS0_5tupleIJSF_S6_EEENSQ_IJSG_SG_EEES6_PlJS6_EEE10hipError_tPvRmT3_T4_T5_T6_T7_T9_mT8_P12ihipStream_tbDpT10_ENKUlT_T0_E_clISt17integral_constantIbLb0EES1D_EEDaS18_S19_EUlS18_E_NS1_11comp_targetILNS1_3genE5ELNS1_11target_archE942ELNS1_3gpuE9ELNS1_3repE0EEENS1_30default_config_static_selectorELNS0_4arch9wavefront6targetE0EEEvT1_
	.globl	_ZN7rocprim17ROCPRIM_400000_NS6detail17trampoline_kernelINS0_14default_configENS1_25partition_config_selectorILNS1_17partition_subalgoE5EfNS0_10empty_typeEbEEZZNS1_14partition_implILS5_5ELb0ES3_mN6thrust23THRUST_200600_302600_NS6detail15normal_iteratorINSA_10device_ptrIfEEEEPS6_NSA_18transform_iteratorINSB_9not_fun_tI7is_trueIfEEENSC_INSD_IbEEEENSA_11use_defaultESO_EENS0_5tupleIJSF_S6_EEENSQ_IJSG_SG_EEES6_PlJS6_EEE10hipError_tPvRmT3_T4_T5_T6_T7_T9_mT8_P12ihipStream_tbDpT10_ENKUlT_T0_E_clISt17integral_constantIbLb0EES1D_EEDaS18_S19_EUlS18_E_NS1_11comp_targetILNS1_3genE5ELNS1_11target_archE942ELNS1_3gpuE9ELNS1_3repE0EEENS1_30default_config_static_selectorELNS0_4arch9wavefront6targetE0EEEvT1_
	.p2align	8
	.type	_ZN7rocprim17ROCPRIM_400000_NS6detail17trampoline_kernelINS0_14default_configENS1_25partition_config_selectorILNS1_17partition_subalgoE5EfNS0_10empty_typeEbEEZZNS1_14partition_implILS5_5ELb0ES3_mN6thrust23THRUST_200600_302600_NS6detail15normal_iteratorINSA_10device_ptrIfEEEEPS6_NSA_18transform_iteratorINSB_9not_fun_tI7is_trueIfEEENSC_INSD_IbEEEENSA_11use_defaultESO_EENS0_5tupleIJSF_S6_EEENSQ_IJSG_SG_EEES6_PlJS6_EEE10hipError_tPvRmT3_T4_T5_T6_T7_T9_mT8_P12ihipStream_tbDpT10_ENKUlT_T0_E_clISt17integral_constantIbLb0EES1D_EEDaS18_S19_EUlS18_E_NS1_11comp_targetILNS1_3genE5ELNS1_11target_archE942ELNS1_3gpuE9ELNS1_3repE0EEENS1_30default_config_static_selectorELNS0_4arch9wavefront6targetE0EEEvT1_,@function
_ZN7rocprim17ROCPRIM_400000_NS6detail17trampoline_kernelINS0_14default_configENS1_25partition_config_selectorILNS1_17partition_subalgoE5EfNS0_10empty_typeEbEEZZNS1_14partition_implILS5_5ELb0ES3_mN6thrust23THRUST_200600_302600_NS6detail15normal_iteratorINSA_10device_ptrIfEEEEPS6_NSA_18transform_iteratorINSB_9not_fun_tI7is_trueIfEEENSC_INSD_IbEEEENSA_11use_defaultESO_EENS0_5tupleIJSF_S6_EEENSQ_IJSG_SG_EEES6_PlJS6_EEE10hipError_tPvRmT3_T4_T5_T6_T7_T9_mT8_P12ihipStream_tbDpT10_ENKUlT_T0_E_clISt17integral_constantIbLb0EES1D_EEDaS18_S19_EUlS18_E_NS1_11comp_targetILNS1_3genE5ELNS1_11target_archE942ELNS1_3gpuE9ELNS1_3repE0EEENS1_30default_config_static_selectorELNS0_4arch9wavefront6targetE0EEEvT1_: ; @_ZN7rocprim17ROCPRIM_400000_NS6detail17trampoline_kernelINS0_14default_configENS1_25partition_config_selectorILNS1_17partition_subalgoE5EfNS0_10empty_typeEbEEZZNS1_14partition_implILS5_5ELb0ES3_mN6thrust23THRUST_200600_302600_NS6detail15normal_iteratorINSA_10device_ptrIfEEEEPS6_NSA_18transform_iteratorINSB_9not_fun_tI7is_trueIfEEENSC_INSD_IbEEEENSA_11use_defaultESO_EENS0_5tupleIJSF_S6_EEENSQ_IJSG_SG_EEES6_PlJS6_EEE10hipError_tPvRmT3_T4_T5_T6_T7_T9_mT8_P12ihipStream_tbDpT10_ENKUlT_T0_E_clISt17integral_constantIbLb0EES1D_EEDaS18_S19_EUlS18_E_NS1_11comp_targetILNS1_3genE5ELNS1_11target_archE942ELNS1_3gpuE9ELNS1_3repE0EEENS1_30default_config_static_selectorELNS0_4arch9wavefront6targetE0EEEvT1_
; %bb.0:
	.section	.rodata,"a",@progbits
	.p2align	6, 0x0
	.amdhsa_kernel _ZN7rocprim17ROCPRIM_400000_NS6detail17trampoline_kernelINS0_14default_configENS1_25partition_config_selectorILNS1_17partition_subalgoE5EfNS0_10empty_typeEbEEZZNS1_14partition_implILS5_5ELb0ES3_mN6thrust23THRUST_200600_302600_NS6detail15normal_iteratorINSA_10device_ptrIfEEEEPS6_NSA_18transform_iteratorINSB_9not_fun_tI7is_trueIfEEENSC_INSD_IbEEEENSA_11use_defaultESO_EENS0_5tupleIJSF_S6_EEENSQ_IJSG_SG_EEES6_PlJS6_EEE10hipError_tPvRmT3_T4_T5_T6_T7_T9_mT8_P12ihipStream_tbDpT10_ENKUlT_T0_E_clISt17integral_constantIbLb0EES1D_EEDaS18_S19_EUlS18_E_NS1_11comp_targetILNS1_3genE5ELNS1_11target_archE942ELNS1_3gpuE9ELNS1_3repE0EEENS1_30default_config_static_selectorELNS0_4arch9wavefront6targetE0EEEvT1_
		.amdhsa_group_segment_fixed_size 0
		.amdhsa_private_segment_fixed_size 0
		.amdhsa_kernarg_size 120
		.amdhsa_user_sgpr_count 2
		.amdhsa_user_sgpr_dispatch_ptr 0
		.amdhsa_user_sgpr_queue_ptr 0
		.amdhsa_user_sgpr_kernarg_segment_ptr 1
		.amdhsa_user_sgpr_dispatch_id 0
		.amdhsa_user_sgpr_private_segment_size 0
		.amdhsa_wavefront_size32 1
		.amdhsa_uses_dynamic_stack 0
		.amdhsa_enable_private_segment 0
		.amdhsa_system_sgpr_workgroup_id_x 1
		.amdhsa_system_sgpr_workgroup_id_y 0
		.amdhsa_system_sgpr_workgroup_id_z 0
		.amdhsa_system_sgpr_workgroup_info 0
		.amdhsa_system_vgpr_workitem_id 0
		.amdhsa_next_free_vgpr 1
		.amdhsa_next_free_sgpr 1
		.amdhsa_reserve_vcc 0
		.amdhsa_float_round_mode_32 0
		.amdhsa_float_round_mode_16_64 0
		.amdhsa_float_denorm_mode_32 3
		.amdhsa_float_denorm_mode_16_64 3
		.amdhsa_fp16_overflow 0
		.amdhsa_workgroup_processor_mode 1
		.amdhsa_memory_ordered 1
		.amdhsa_forward_progress 1
		.amdhsa_inst_pref_size 0
		.amdhsa_round_robin_scheduling 0
		.amdhsa_exception_fp_ieee_invalid_op 0
		.amdhsa_exception_fp_denorm_src 0
		.amdhsa_exception_fp_ieee_div_zero 0
		.amdhsa_exception_fp_ieee_overflow 0
		.amdhsa_exception_fp_ieee_underflow 0
		.amdhsa_exception_fp_ieee_inexact 0
		.amdhsa_exception_int_div_zero 0
	.end_amdhsa_kernel
	.section	.text._ZN7rocprim17ROCPRIM_400000_NS6detail17trampoline_kernelINS0_14default_configENS1_25partition_config_selectorILNS1_17partition_subalgoE5EfNS0_10empty_typeEbEEZZNS1_14partition_implILS5_5ELb0ES3_mN6thrust23THRUST_200600_302600_NS6detail15normal_iteratorINSA_10device_ptrIfEEEEPS6_NSA_18transform_iteratorINSB_9not_fun_tI7is_trueIfEEENSC_INSD_IbEEEENSA_11use_defaultESO_EENS0_5tupleIJSF_S6_EEENSQ_IJSG_SG_EEES6_PlJS6_EEE10hipError_tPvRmT3_T4_T5_T6_T7_T9_mT8_P12ihipStream_tbDpT10_ENKUlT_T0_E_clISt17integral_constantIbLb0EES1D_EEDaS18_S19_EUlS18_E_NS1_11comp_targetILNS1_3genE5ELNS1_11target_archE942ELNS1_3gpuE9ELNS1_3repE0EEENS1_30default_config_static_selectorELNS0_4arch9wavefront6targetE0EEEvT1_,"axG",@progbits,_ZN7rocprim17ROCPRIM_400000_NS6detail17trampoline_kernelINS0_14default_configENS1_25partition_config_selectorILNS1_17partition_subalgoE5EfNS0_10empty_typeEbEEZZNS1_14partition_implILS5_5ELb0ES3_mN6thrust23THRUST_200600_302600_NS6detail15normal_iteratorINSA_10device_ptrIfEEEEPS6_NSA_18transform_iteratorINSB_9not_fun_tI7is_trueIfEEENSC_INSD_IbEEEENSA_11use_defaultESO_EENS0_5tupleIJSF_S6_EEENSQ_IJSG_SG_EEES6_PlJS6_EEE10hipError_tPvRmT3_T4_T5_T6_T7_T9_mT8_P12ihipStream_tbDpT10_ENKUlT_T0_E_clISt17integral_constantIbLb0EES1D_EEDaS18_S19_EUlS18_E_NS1_11comp_targetILNS1_3genE5ELNS1_11target_archE942ELNS1_3gpuE9ELNS1_3repE0EEENS1_30default_config_static_selectorELNS0_4arch9wavefront6targetE0EEEvT1_,comdat
.Lfunc_end2366:
	.size	_ZN7rocprim17ROCPRIM_400000_NS6detail17trampoline_kernelINS0_14default_configENS1_25partition_config_selectorILNS1_17partition_subalgoE5EfNS0_10empty_typeEbEEZZNS1_14partition_implILS5_5ELb0ES3_mN6thrust23THRUST_200600_302600_NS6detail15normal_iteratorINSA_10device_ptrIfEEEEPS6_NSA_18transform_iteratorINSB_9not_fun_tI7is_trueIfEEENSC_INSD_IbEEEENSA_11use_defaultESO_EENS0_5tupleIJSF_S6_EEENSQ_IJSG_SG_EEES6_PlJS6_EEE10hipError_tPvRmT3_T4_T5_T6_T7_T9_mT8_P12ihipStream_tbDpT10_ENKUlT_T0_E_clISt17integral_constantIbLb0EES1D_EEDaS18_S19_EUlS18_E_NS1_11comp_targetILNS1_3genE5ELNS1_11target_archE942ELNS1_3gpuE9ELNS1_3repE0EEENS1_30default_config_static_selectorELNS0_4arch9wavefront6targetE0EEEvT1_, .Lfunc_end2366-_ZN7rocprim17ROCPRIM_400000_NS6detail17trampoline_kernelINS0_14default_configENS1_25partition_config_selectorILNS1_17partition_subalgoE5EfNS0_10empty_typeEbEEZZNS1_14partition_implILS5_5ELb0ES3_mN6thrust23THRUST_200600_302600_NS6detail15normal_iteratorINSA_10device_ptrIfEEEEPS6_NSA_18transform_iteratorINSB_9not_fun_tI7is_trueIfEEENSC_INSD_IbEEEENSA_11use_defaultESO_EENS0_5tupleIJSF_S6_EEENSQ_IJSG_SG_EEES6_PlJS6_EEE10hipError_tPvRmT3_T4_T5_T6_T7_T9_mT8_P12ihipStream_tbDpT10_ENKUlT_T0_E_clISt17integral_constantIbLb0EES1D_EEDaS18_S19_EUlS18_E_NS1_11comp_targetILNS1_3genE5ELNS1_11target_archE942ELNS1_3gpuE9ELNS1_3repE0EEENS1_30default_config_static_selectorELNS0_4arch9wavefront6targetE0EEEvT1_
                                        ; -- End function
	.set _ZN7rocprim17ROCPRIM_400000_NS6detail17trampoline_kernelINS0_14default_configENS1_25partition_config_selectorILNS1_17partition_subalgoE5EfNS0_10empty_typeEbEEZZNS1_14partition_implILS5_5ELb0ES3_mN6thrust23THRUST_200600_302600_NS6detail15normal_iteratorINSA_10device_ptrIfEEEEPS6_NSA_18transform_iteratorINSB_9not_fun_tI7is_trueIfEEENSC_INSD_IbEEEENSA_11use_defaultESO_EENS0_5tupleIJSF_S6_EEENSQ_IJSG_SG_EEES6_PlJS6_EEE10hipError_tPvRmT3_T4_T5_T6_T7_T9_mT8_P12ihipStream_tbDpT10_ENKUlT_T0_E_clISt17integral_constantIbLb0EES1D_EEDaS18_S19_EUlS18_E_NS1_11comp_targetILNS1_3genE5ELNS1_11target_archE942ELNS1_3gpuE9ELNS1_3repE0EEENS1_30default_config_static_selectorELNS0_4arch9wavefront6targetE0EEEvT1_.num_vgpr, 0
	.set _ZN7rocprim17ROCPRIM_400000_NS6detail17trampoline_kernelINS0_14default_configENS1_25partition_config_selectorILNS1_17partition_subalgoE5EfNS0_10empty_typeEbEEZZNS1_14partition_implILS5_5ELb0ES3_mN6thrust23THRUST_200600_302600_NS6detail15normal_iteratorINSA_10device_ptrIfEEEEPS6_NSA_18transform_iteratorINSB_9not_fun_tI7is_trueIfEEENSC_INSD_IbEEEENSA_11use_defaultESO_EENS0_5tupleIJSF_S6_EEENSQ_IJSG_SG_EEES6_PlJS6_EEE10hipError_tPvRmT3_T4_T5_T6_T7_T9_mT8_P12ihipStream_tbDpT10_ENKUlT_T0_E_clISt17integral_constantIbLb0EES1D_EEDaS18_S19_EUlS18_E_NS1_11comp_targetILNS1_3genE5ELNS1_11target_archE942ELNS1_3gpuE9ELNS1_3repE0EEENS1_30default_config_static_selectorELNS0_4arch9wavefront6targetE0EEEvT1_.num_agpr, 0
	.set _ZN7rocprim17ROCPRIM_400000_NS6detail17trampoline_kernelINS0_14default_configENS1_25partition_config_selectorILNS1_17partition_subalgoE5EfNS0_10empty_typeEbEEZZNS1_14partition_implILS5_5ELb0ES3_mN6thrust23THRUST_200600_302600_NS6detail15normal_iteratorINSA_10device_ptrIfEEEEPS6_NSA_18transform_iteratorINSB_9not_fun_tI7is_trueIfEEENSC_INSD_IbEEEENSA_11use_defaultESO_EENS0_5tupleIJSF_S6_EEENSQ_IJSG_SG_EEES6_PlJS6_EEE10hipError_tPvRmT3_T4_T5_T6_T7_T9_mT8_P12ihipStream_tbDpT10_ENKUlT_T0_E_clISt17integral_constantIbLb0EES1D_EEDaS18_S19_EUlS18_E_NS1_11comp_targetILNS1_3genE5ELNS1_11target_archE942ELNS1_3gpuE9ELNS1_3repE0EEENS1_30default_config_static_selectorELNS0_4arch9wavefront6targetE0EEEvT1_.numbered_sgpr, 0
	.set _ZN7rocprim17ROCPRIM_400000_NS6detail17trampoline_kernelINS0_14default_configENS1_25partition_config_selectorILNS1_17partition_subalgoE5EfNS0_10empty_typeEbEEZZNS1_14partition_implILS5_5ELb0ES3_mN6thrust23THRUST_200600_302600_NS6detail15normal_iteratorINSA_10device_ptrIfEEEEPS6_NSA_18transform_iteratorINSB_9not_fun_tI7is_trueIfEEENSC_INSD_IbEEEENSA_11use_defaultESO_EENS0_5tupleIJSF_S6_EEENSQ_IJSG_SG_EEES6_PlJS6_EEE10hipError_tPvRmT3_T4_T5_T6_T7_T9_mT8_P12ihipStream_tbDpT10_ENKUlT_T0_E_clISt17integral_constantIbLb0EES1D_EEDaS18_S19_EUlS18_E_NS1_11comp_targetILNS1_3genE5ELNS1_11target_archE942ELNS1_3gpuE9ELNS1_3repE0EEENS1_30default_config_static_selectorELNS0_4arch9wavefront6targetE0EEEvT1_.num_named_barrier, 0
	.set _ZN7rocprim17ROCPRIM_400000_NS6detail17trampoline_kernelINS0_14default_configENS1_25partition_config_selectorILNS1_17partition_subalgoE5EfNS0_10empty_typeEbEEZZNS1_14partition_implILS5_5ELb0ES3_mN6thrust23THRUST_200600_302600_NS6detail15normal_iteratorINSA_10device_ptrIfEEEEPS6_NSA_18transform_iteratorINSB_9not_fun_tI7is_trueIfEEENSC_INSD_IbEEEENSA_11use_defaultESO_EENS0_5tupleIJSF_S6_EEENSQ_IJSG_SG_EEES6_PlJS6_EEE10hipError_tPvRmT3_T4_T5_T6_T7_T9_mT8_P12ihipStream_tbDpT10_ENKUlT_T0_E_clISt17integral_constantIbLb0EES1D_EEDaS18_S19_EUlS18_E_NS1_11comp_targetILNS1_3genE5ELNS1_11target_archE942ELNS1_3gpuE9ELNS1_3repE0EEENS1_30default_config_static_selectorELNS0_4arch9wavefront6targetE0EEEvT1_.private_seg_size, 0
	.set _ZN7rocprim17ROCPRIM_400000_NS6detail17trampoline_kernelINS0_14default_configENS1_25partition_config_selectorILNS1_17partition_subalgoE5EfNS0_10empty_typeEbEEZZNS1_14partition_implILS5_5ELb0ES3_mN6thrust23THRUST_200600_302600_NS6detail15normal_iteratorINSA_10device_ptrIfEEEEPS6_NSA_18transform_iteratorINSB_9not_fun_tI7is_trueIfEEENSC_INSD_IbEEEENSA_11use_defaultESO_EENS0_5tupleIJSF_S6_EEENSQ_IJSG_SG_EEES6_PlJS6_EEE10hipError_tPvRmT3_T4_T5_T6_T7_T9_mT8_P12ihipStream_tbDpT10_ENKUlT_T0_E_clISt17integral_constantIbLb0EES1D_EEDaS18_S19_EUlS18_E_NS1_11comp_targetILNS1_3genE5ELNS1_11target_archE942ELNS1_3gpuE9ELNS1_3repE0EEENS1_30default_config_static_selectorELNS0_4arch9wavefront6targetE0EEEvT1_.uses_vcc, 0
	.set _ZN7rocprim17ROCPRIM_400000_NS6detail17trampoline_kernelINS0_14default_configENS1_25partition_config_selectorILNS1_17partition_subalgoE5EfNS0_10empty_typeEbEEZZNS1_14partition_implILS5_5ELb0ES3_mN6thrust23THRUST_200600_302600_NS6detail15normal_iteratorINSA_10device_ptrIfEEEEPS6_NSA_18transform_iteratorINSB_9not_fun_tI7is_trueIfEEENSC_INSD_IbEEEENSA_11use_defaultESO_EENS0_5tupleIJSF_S6_EEENSQ_IJSG_SG_EEES6_PlJS6_EEE10hipError_tPvRmT3_T4_T5_T6_T7_T9_mT8_P12ihipStream_tbDpT10_ENKUlT_T0_E_clISt17integral_constantIbLb0EES1D_EEDaS18_S19_EUlS18_E_NS1_11comp_targetILNS1_3genE5ELNS1_11target_archE942ELNS1_3gpuE9ELNS1_3repE0EEENS1_30default_config_static_selectorELNS0_4arch9wavefront6targetE0EEEvT1_.uses_flat_scratch, 0
	.set _ZN7rocprim17ROCPRIM_400000_NS6detail17trampoline_kernelINS0_14default_configENS1_25partition_config_selectorILNS1_17partition_subalgoE5EfNS0_10empty_typeEbEEZZNS1_14partition_implILS5_5ELb0ES3_mN6thrust23THRUST_200600_302600_NS6detail15normal_iteratorINSA_10device_ptrIfEEEEPS6_NSA_18transform_iteratorINSB_9not_fun_tI7is_trueIfEEENSC_INSD_IbEEEENSA_11use_defaultESO_EENS0_5tupleIJSF_S6_EEENSQ_IJSG_SG_EEES6_PlJS6_EEE10hipError_tPvRmT3_T4_T5_T6_T7_T9_mT8_P12ihipStream_tbDpT10_ENKUlT_T0_E_clISt17integral_constantIbLb0EES1D_EEDaS18_S19_EUlS18_E_NS1_11comp_targetILNS1_3genE5ELNS1_11target_archE942ELNS1_3gpuE9ELNS1_3repE0EEENS1_30default_config_static_selectorELNS0_4arch9wavefront6targetE0EEEvT1_.has_dyn_sized_stack, 0
	.set _ZN7rocprim17ROCPRIM_400000_NS6detail17trampoline_kernelINS0_14default_configENS1_25partition_config_selectorILNS1_17partition_subalgoE5EfNS0_10empty_typeEbEEZZNS1_14partition_implILS5_5ELb0ES3_mN6thrust23THRUST_200600_302600_NS6detail15normal_iteratorINSA_10device_ptrIfEEEEPS6_NSA_18transform_iteratorINSB_9not_fun_tI7is_trueIfEEENSC_INSD_IbEEEENSA_11use_defaultESO_EENS0_5tupleIJSF_S6_EEENSQ_IJSG_SG_EEES6_PlJS6_EEE10hipError_tPvRmT3_T4_T5_T6_T7_T9_mT8_P12ihipStream_tbDpT10_ENKUlT_T0_E_clISt17integral_constantIbLb0EES1D_EEDaS18_S19_EUlS18_E_NS1_11comp_targetILNS1_3genE5ELNS1_11target_archE942ELNS1_3gpuE9ELNS1_3repE0EEENS1_30default_config_static_selectorELNS0_4arch9wavefront6targetE0EEEvT1_.has_recursion, 0
	.set _ZN7rocprim17ROCPRIM_400000_NS6detail17trampoline_kernelINS0_14default_configENS1_25partition_config_selectorILNS1_17partition_subalgoE5EfNS0_10empty_typeEbEEZZNS1_14partition_implILS5_5ELb0ES3_mN6thrust23THRUST_200600_302600_NS6detail15normal_iteratorINSA_10device_ptrIfEEEEPS6_NSA_18transform_iteratorINSB_9not_fun_tI7is_trueIfEEENSC_INSD_IbEEEENSA_11use_defaultESO_EENS0_5tupleIJSF_S6_EEENSQ_IJSG_SG_EEES6_PlJS6_EEE10hipError_tPvRmT3_T4_T5_T6_T7_T9_mT8_P12ihipStream_tbDpT10_ENKUlT_T0_E_clISt17integral_constantIbLb0EES1D_EEDaS18_S19_EUlS18_E_NS1_11comp_targetILNS1_3genE5ELNS1_11target_archE942ELNS1_3gpuE9ELNS1_3repE0EEENS1_30default_config_static_selectorELNS0_4arch9wavefront6targetE0EEEvT1_.has_indirect_call, 0
	.section	.AMDGPU.csdata,"",@progbits
; Kernel info:
; codeLenInByte = 0
; TotalNumSgprs: 0
; NumVgprs: 0
; ScratchSize: 0
; MemoryBound: 0
; FloatMode: 240
; IeeeMode: 1
; LDSByteSize: 0 bytes/workgroup (compile time only)
; SGPRBlocks: 0
; VGPRBlocks: 0
; NumSGPRsForWavesPerEU: 1
; NumVGPRsForWavesPerEU: 1
; Occupancy: 16
; WaveLimiterHint : 0
; COMPUTE_PGM_RSRC2:SCRATCH_EN: 0
; COMPUTE_PGM_RSRC2:USER_SGPR: 2
; COMPUTE_PGM_RSRC2:TRAP_HANDLER: 0
; COMPUTE_PGM_RSRC2:TGID_X_EN: 1
; COMPUTE_PGM_RSRC2:TGID_Y_EN: 0
; COMPUTE_PGM_RSRC2:TGID_Z_EN: 0
; COMPUTE_PGM_RSRC2:TIDIG_COMP_CNT: 0
	.section	.text._ZN7rocprim17ROCPRIM_400000_NS6detail17trampoline_kernelINS0_14default_configENS1_25partition_config_selectorILNS1_17partition_subalgoE5EfNS0_10empty_typeEbEEZZNS1_14partition_implILS5_5ELb0ES3_mN6thrust23THRUST_200600_302600_NS6detail15normal_iteratorINSA_10device_ptrIfEEEEPS6_NSA_18transform_iteratorINSB_9not_fun_tI7is_trueIfEEENSC_INSD_IbEEEENSA_11use_defaultESO_EENS0_5tupleIJSF_S6_EEENSQ_IJSG_SG_EEES6_PlJS6_EEE10hipError_tPvRmT3_T4_T5_T6_T7_T9_mT8_P12ihipStream_tbDpT10_ENKUlT_T0_E_clISt17integral_constantIbLb0EES1D_EEDaS18_S19_EUlS18_E_NS1_11comp_targetILNS1_3genE4ELNS1_11target_archE910ELNS1_3gpuE8ELNS1_3repE0EEENS1_30default_config_static_selectorELNS0_4arch9wavefront6targetE0EEEvT1_,"axG",@progbits,_ZN7rocprim17ROCPRIM_400000_NS6detail17trampoline_kernelINS0_14default_configENS1_25partition_config_selectorILNS1_17partition_subalgoE5EfNS0_10empty_typeEbEEZZNS1_14partition_implILS5_5ELb0ES3_mN6thrust23THRUST_200600_302600_NS6detail15normal_iteratorINSA_10device_ptrIfEEEEPS6_NSA_18transform_iteratorINSB_9not_fun_tI7is_trueIfEEENSC_INSD_IbEEEENSA_11use_defaultESO_EENS0_5tupleIJSF_S6_EEENSQ_IJSG_SG_EEES6_PlJS6_EEE10hipError_tPvRmT3_T4_T5_T6_T7_T9_mT8_P12ihipStream_tbDpT10_ENKUlT_T0_E_clISt17integral_constantIbLb0EES1D_EEDaS18_S19_EUlS18_E_NS1_11comp_targetILNS1_3genE4ELNS1_11target_archE910ELNS1_3gpuE8ELNS1_3repE0EEENS1_30default_config_static_selectorELNS0_4arch9wavefront6targetE0EEEvT1_,comdat
	.protected	_ZN7rocprim17ROCPRIM_400000_NS6detail17trampoline_kernelINS0_14default_configENS1_25partition_config_selectorILNS1_17partition_subalgoE5EfNS0_10empty_typeEbEEZZNS1_14partition_implILS5_5ELb0ES3_mN6thrust23THRUST_200600_302600_NS6detail15normal_iteratorINSA_10device_ptrIfEEEEPS6_NSA_18transform_iteratorINSB_9not_fun_tI7is_trueIfEEENSC_INSD_IbEEEENSA_11use_defaultESO_EENS0_5tupleIJSF_S6_EEENSQ_IJSG_SG_EEES6_PlJS6_EEE10hipError_tPvRmT3_T4_T5_T6_T7_T9_mT8_P12ihipStream_tbDpT10_ENKUlT_T0_E_clISt17integral_constantIbLb0EES1D_EEDaS18_S19_EUlS18_E_NS1_11comp_targetILNS1_3genE4ELNS1_11target_archE910ELNS1_3gpuE8ELNS1_3repE0EEENS1_30default_config_static_selectorELNS0_4arch9wavefront6targetE0EEEvT1_ ; -- Begin function _ZN7rocprim17ROCPRIM_400000_NS6detail17trampoline_kernelINS0_14default_configENS1_25partition_config_selectorILNS1_17partition_subalgoE5EfNS0_10empty_typeEbEEZZNS1_14partition_implILS5_5ELb0ES3_mN6thrust23THRUST_200600_302600_NS6detail15normal_iteratorINSA_10device_ptrIfEEEEPS6_NSA_18transform_iteratorINSB_9not_fun_tI7is_trueIfEEENSC_INSD_IbEEEENSA_11use_defaultESO_EENS0_5tupleIJSF_S6_EEENSQ_IJSG_SG_EEES6_PlJS6_EEE10hipError_tPvRmT3_T4_T5_T6_T7_T9_mT8_P12ihipStream_tbDpT10_ENKUlT_T0_E_clISt17integral_constantIbLb0EES1D_EEDaS18_S19_EUlS18_E_NS1_11comp_targetILNS1_3genE4ELNS1_11target_archE910ELNS1_3gpuE8ELNS1_3repE0EEENS1_30default_config_static_selectorELNS0_4arch9wavefront6targetE0EEEvT1_
	.globl	_ZN7rocprim17ROCPRIM_400000_NS6detail17trampoline_kernelINS0_14default_configENS1_25partition_config_selectorILNS1_17partition_subalgoE5EfNS0_10empty_typeEbEEZZNS1_14partition_implILS5_5ELb0ES3_mN6thrust23THRUST_200600_302600_NS6detail15normal_iteratorINSA_10device_ptrIfEEEEPS6_NSA_18transform_iteratorINSB_9not_fun_tI7is_trueIfEEENSC_INSD_IbEEEENSA_11use_defaultESO_EENS0_5tupleIJSF_S6_EEENSQ_IJSG_SG_EEES6_PlJS6_EEE10hipError_tPvRmT3_T4_T5_T6_T7_T9_mT8_P12ihipStream_tbDpT10_ENKUlT_T0_E_clISt17integral_constantIbLb0EES1D_EEDaS18_S19_EUlS18_E_NS1_11comp_targetILNS1_3genE4ELNS1_11target_archE910ELNS1_3gpuE8ELNS1_3repE0EEENS1_30default_config_static_selectorELNS0_4arch9wavefront6targetE0EEEvT1_
	.p2align	8
	.type	_ZN7rocprim17ROCPRIM_400000_NS6detail17trampoline_kernelINS0_14default_configENS1_25partition_config_selectorILNS1_17partition_subalgoE5EfNS0_10empty_typeEbEEZZNS1_14partition_implILS5_5ELb0ES3_mN6thrust23THRUST_200600_302600_NS6detail15normal_iteratorINSA_10device_ptrIfEEEEPS6_NSA_18transform_iteratorINSB_9not_fun_tI7is_trueIfEEENSC_INSD_IbEEEENSA_11use_defaultESO_EENS0_5tupleIJSF_S6_EEENSQ_IJSG_SG_EEES6_PlJS6_EEE10hipError_tPvRmT3_T4_T5_T6_T7_T9_mT8_P12ihipStream_tbDpT10_ENKUlT_T0_E_clISt17integral_constantIbLb0EES1D_EEDaS18_S19_EUlS18_E_NS1_11comp_targetILNS1_3genE4ELNS1_11target_archE910ELNS1_3gpuE8ELNS1_3repE0EEENS1_30default_config_static_selectorELNS0_4arch9wavefront6targetE0EEEvT1_,@function
_ZN7rocprim17ROCPRIM_400000_NS6detail17trampoline_kernelINS0_14default_configENS1_25partition_config_selectorILNS1_17partition_subalgoE5EfNS0_10empty_typeEbEEZZNS1_14partition_implILS5_5ELb0ES3_mN6thrust23THRUST_200600_302600_NS6detail15normal_iteratorINSA_10device_ptrIfEEEEPS6_NSA_18transform_iteratorINSB_9not_fun_tI7is_trueIfEEENSC_INSD_IbEEEENSA_11use_defaultESO_EENS0_5tupleIJSF_S6_EEENSQ_IJSG_SG_EEES6_PlJS6_EEE10hipError_tPvRmT3_T4_T5_T6_T7_T9_mT8_P12ihipStream_tbDpT10_ENKUlT_T0_E_clISt17integral_constantIbLb0EES1D_EEDaS18_S19_EUlS18_E_NS1_11comp_targetILNS1_3genE4ELNS1_11target_archE910ELNS1_3gpuE8ELNS1_3repE0EEENS1_30default_config_static_selectorELNS0_4arch9wavefront6targetE0EEEvT1_: ; @_ZN7rocprim17ROCPRIM_400000_NS6detail17trampoline_kernelINS0_14default_configENS1_25partition_config_selectorILNS1_17partition_subalgoE5EfNS0_10empty_typeEbEEZZNS1_14partition_implILS5_5ELb0ES3_mN6thrust23THRUST_200600_302600_NS6detail15normal_iteratorINSA_10device_ptrIfEEEEPS6_NSA_18transform_iteratorINSB_9not_fun_tI7is_trueIfEEENSC_INSD_IbEEEENSA_11use_defaultESO_EENS0_5tupleIJSF_S6_EEENSQ_IJSG_SG_EEES6_PlJS6_EEE10hipError_tPvRmT3_T4_T5_T6_T7_T9_mT8_P12ihipStream_tbDpT10_ENKUlT_T0_E_clISt17integral_constantIbLb0EES1D_EEDaS18_S19_EUlS18_E_NS1_11comp_targetILNS1_3genE4ELNS1_11target_archE910ELNS1_3gpuE8ELNS1_3repE0EEENS1_30default_config_static_selectorELNS0_4arch9wavefront6targetE0EEEvT1_
; %bb.0:
	.section	.rodata,"a",@progbits
	.p2align	6, 0x0
	.amdhsa_kernel _ZN7rocprim17ROCPRIM_400000_NS6detail17trampoline_kernelINS0_14default_configENS1_25partition_config_selectorILNS1_17partition_subalgoE5EfNS0_10empty_typeEbEEZZNS1_14partition_implILS5_5ELb0ES3_mN6thrust23THRUST_200600_302600_NS6detail15normal_iteratorINSA_10device_ptrIfEEEEPS6_NSA_18transform_iteratorINSB_9not_fun_tI7is_trueIfEEENSC_INSD_IbEEEENSA_11use_defaultESO_EENS0_5tupleIJSF_S6_EEENSQ_IJSG_SG_EEES6_PlJS6_EEE10hipError_tPvRmT3_T4_T5_T6_T7_T9_mT8_P12ihipStream_tbDpT10_ENKUlT_T0_E_clISt17integral_constantIbLb0EES1D_EEDaS18_S19_EUlS18_E_NS1_11comp_targetILNS1_3genE4ELNS1_11target_archE910ELNS1_3gpuE8ELNS1_3repE0EEENS1_30default_config_static_selectorELNS0_4arch9wavefront6targetE0EEEvT1_
		.amdhsa_group_segment_fixed_size 0
		.amdhsa_private_segment_fixed_size 0
		.amdhsa_kernarg_size 120
		.amdhsa_user_sgpr_count 2
		.amdhsa_user_sgpr_dispatch_ptr 0
		.amdhsa_user_sgpr_queue_ptr 0
		.amdhsa_user_sgpr_kernarg_segment_ptr 1
		.amdhsa_user_sgpr_dispatch_id 0
		.amdhsa_user_sgpr_private_segment_size 0
		.amdhsa_wavefront_size32 1
		.amdhsa_uses_dynamic_stack 0
		.amdhsa_enable_private_segment 0
		.amdhsa_system_sgpr_workgroup_id_x 1
		.amdhsa_system_sgpr_workgroup_id_y 0
		.amdhsa_system_sgpr_workgroup_id_z 0
		.amdhsa_system_sgpr_workgroup_info 0
		.amdhsa_system_vgpr_workitem_id 0
		.amdhsa_next_free_vgpr 1
		.amdhsa_next_free_sgpr 1
		.amdhsa_reserve_vcc 0
		.amdhsa_float_round_mode_32 0
		.amdhsa_float_round_mode_16_64 0
		.amdhsa_float_denorm_mode_32 3
		.amdhsa_float_denorm_mode_16_64 3
		.amdhsa_fp16_overflow 0
		.amdhsa_workgroup_processor_mode 1
		.amdhsa_memory_ordered 1
		.amdhsa_forward_progress 1
		.amdhsa_inst_pref_size 0
		.amdhsa_round_robin_scheduling 0
		.amdhsa_exception_fp_ieee_invalid_op 0
		.amdhsa_exception_fp_denorm_src 0
		.amdhsa_exception_fp_ieee_div_zero 0
		.amdhsa_exception_fp_ieee_overflow 0
		.amdhsa_exception_fp_ieee_underflow 0
		.amdhsa_exception_fp_ieee_inexact 0
		.amdhsa_exception_int_div_zero 0
	.end_amdhsa_kernel
	.section	.text._ZN7rocprim17ROCPRIM_400000_NS6detail17trampoline_kernelINS0_14default_configENS1_25partition_config_selectorILNS1_17partition_subalgoE5EfNS0_10empty_typeEbEEZZNS1_14partition_implILS5_5ELb0ES3_mN6thrust23THRUST_200600_302600_NS6detail15normal_iteratorINSA_10device_ptrIfEEEEPS6_NSA_18transform_iteratorINSB_9not_fun_tI7is_trueIfEEENSC_INSD_IbEEEENSA_11use_defaultESO_EENS0_5tupleIJSF_S6_EEENSQ_IJSG_SG_EEES6_PlJS6_EEE10hipError_tPvRmT3_T4_T5_T6_T7_T9_mT8_P12ihipStream_tbDpT10_ENKUlT_T0_E_clISt17integral_constantIbLb0EES1D_EEDaS18_S19_EUlS18_E_NS1_11comp_targetILNS1_3genE4ELNS1_11target_archE910ELNS1_3gpuE8ELNS1_3repE0EEENS1_30default_config_static_selectorELNS0_4arch9wavefront6targetE0EEEvT1_,"axG",@progbits,_ZN7rocprim17ROCPRIM_400000_NS6detail17trampoline_kernelINS0_14default_configENS1_25partition_config_selectorILNS1_17partition_subalgoE5EfNS0_10empty_typeEbEEZZNS1_14partition_implILS5_5ELb0ES3_mN6thrust23THRUST_200600_302600_NS6detail15normal_iteratorINSA_10device_ptrIfEEEEPS6_NSA_18transform_iteratorINSB_9not_fun_tI7is_trueIfEEENSC_INSD_IbEEEENSA_11use_defaultESO_EENS0_5tupleIJSF_S6_EEENSQ_IJSG_SG_EEES6_PlJS6_EEE10hipError_tPvRmT3_T4_T5_T6_T7_T9_mT8_P12ihipStream_tbDpT10_ENKUlT_T0_E_clISt17integral_constantIbLb0EES1D_EEDaS18_S19_EUlS18_E_NS1_11comp_targetILNS1_3genE4ELNS1_11target_archE910ELNS1_3gpuE8ELNS1_3repE0EEENS1_30default_config_static_selectorELNS0_4arch9wavefront6targetE0EEEvT1_,comdat
.Lfunc_end2367:
	.size	_ZN7rocprim17ROCPRIM_400000_NS6detail17trampoline_kernelINS0_14default_configENS1_25partition_config_selectorILNS1_17partition_subalgoE5EfNS0_10empty_typeEbEEZZNS1_14partition_implILS5_5ELb0ES3_mN6thrust23THRUST_200600_302600_NS6detail15normal_iteratorINSA_10device_ptrIfEEEEPS6_NSA_18transform_iteratorINSB_9not_fun_tI7is_trueIfEEENSC_INSD_IbEEEENSA_11use_defaultESO_EENS0_5tupleIJSF_S6_EEENSQ_IJSG_SG_EEES6_PlJS6_EEE10hipError_tPvRmT3_T4_T5_T6_T7_T9_mT8_P12ihipStream_tbDpT10_ENKUlT_T0_E_clISt17integral_constantIbLb0EES1D_EEDaS18_S19_EUlS18_E_NS1_11comp_targetILNS1_3genE4ELNS1_11target_archE910ELNS1_3gpuE8ELNS1_3repE0EEENS1_30default_config_static_selectorELNS0_4arch9wavefront6targetE0EEEvT1_, .Lfunc_end2367-_ZN7rocprim17ROCPRIM_400000_NS6detail17trampoline_kernelINS0_14default_configENS1_25partition_config_selectorILNS1_17partition_subalgoE5EfNS0_10empty_typeEbEEZZNS1_14partition_implILS5_5ELb0ES3_mN6thrust23THRUST_200600_302600_NS6detail15normal_iteratorINSA_10device_ptrIfEEEEPS6_NSA_18transform_iteratorINSB_9not_fun_tI7is_trueIfEEENSC_INSD_IbEEEENSA_11use_defaultESO_EENS0_5tupleIJSF_S6_EEENSQ_IJSG_SG_EEES6_PlJS6_EEE10hipError_tPvRmT3_T4_T5_T6_T7_T9_mT8_P12ihipStream_tbDpT10_ENKUlT_T0_E_clISt17integral_constantIbLb0EES1D_EEDaS18_S19_EUlS18_E_NS1_11comp_targetILNS1_3genE4ELNS1_11target_archE910ELNS1_3gpuE8ELNS1_3repE0EEENS1_30default_config_static_selectorELNS0_4arch9wavefront6targetE0EEEvT1_
                                        ; -- End function
	.set _ZN7rocprim17ROCPRIM_400000_NS6detail17trampoline_kernelINS0_14default_configENS1_25partition_config_selectorILNS1_17partition_subalgoE5EfNS0_10empty_typeEbEEZZNS1_14partition_implILS5_5ELb0ES3_mN6thrust23THRUST_200600_302600_NS6detail15normal_iteratorINSA_10device_ptrIfEEEEPS6_NSA_18transform_iteratorINSB_9not_fun_tI7is_trueIfEEENSC_INSD_IbEEEENSA_11use_defaultESO_EENS0_5tupleIJSF_S6_EEENSQ_IJSG_SG_EEES6_PlJS6_EEE10hipError_tPvRmT3_T4_T5_T6_T7_T9_mT8_P12ihipStream_tbDpT10_ENKUlT_T0_E_clISt17integral_constantIbLb0EES1D_EEDaS18_S19_EUlS18_E_NS1_11comp_targetILNS1_3genE4ELNS1_11target_archE910ELNS1_3gpuE8ELNS1_3repE0EEENS1_30default_config_static_selectorELNS0_4arch9wavefront6targetE0EEEvT1_.num_vgpr, 0
	.set _ZN7rocprim17ROCPRIM_400000_NS6detail17trampoline_kernelINS0_14default_configENS1_25partition_config_selectorILNS1_17partition_subalgoE5EfNS0_10empty_typeEbEEZZNS1_14partition_implILS5_5ELb0ES3_mN6thrust23THRUST_200600_302600_NS6detail15normal_iteratorINSA_10device_ptrIfEEEEPS6_NSA_18transform_iteratorINSB_9not_fun_tI7is_trueIfEEENSC_INSD_IbEEEENSA_11use_defaultESO_EENS0_5tupleIJSF_S6_EEENSQ_IJSG_SG_EEES6_PlJS6_EEE10hipError_tPvRmT3_T4_T5_T6_T7_T9_mT8_P12ihipStream_tbDpT10_ENKUlT_T0_E_clISt17integral_constantIbLb0EES1D_EEDaS18_S19_EUlS18_E_NS1_11comp_targetILNS1_3genE4ELNS1_11target_archE910ELNS1_3gpuE8ELNS1_3repE0EEENS1_30default_config_static_selectorELNS0_4arch9wavefront6targetE0EEEvT1_.num_agpr, 0
	.set _ZN7rocprim17ROCPRIM_400000_NS6detail17trampoline_kernelINS0_14default_configENS1_25partition_config_selectorILNS1_17partition_subalgoE5EfNS0_10empty_typeEbEEZZNS1_14partition_implILS5_5ELb0ES3_mN6thrust23THRUST_200600_302600_NS6detail15normal_iteratorINSA_10device_ptrIfEEEEPS6_NSA_18transform_iteratorINSB_9not_fun_tI7is_trueIfEEENSC_INSD_IbEEEENSA_11use_defaultESO_EENS0_5tupleIJSF_S6_EEENSQ_IJSG_SG_EEES6_PlJS6_EEE10hipError_tPvRmT3_T4_T5_T6_T7_T9_mT8_P12ihipStream_tbDpT10_ENKUlT_T0_E_clISt17integral_constantIbLb0EES1D_EEDaS18_S19_EUlS18_E_NS1_11comp_targetILNS1_3genE4ELNS1_11target_archE910ELNS1_3gpuE8ELNS1_3repE0EEENS1_30default_config_static_selectorELNS0_4arch9wavefront6targetE0EEEvT1_.numbered_sgpr, 0
	.set _ZN7rocprim17ROCPRIM_400000_NS6detail17trampoline_kernelINS0_14default_configENS1_25partition_config_selectorILNS1_17partition_subalgoE5EfNS0_10empty_typeEbEEZZNS1_14partition_implILS5_5ELb0ES3_mN6thrust23THRUST_200600_302600_NS6detail15normal_iteratorINSA_10device_ptrIfEEEEPS6_NSA_18transform_iteratorINSB_9not_fun_tI7is_trueIfEEENSC_INSD_IbEEEENSA_11use_defaultESO_EENS0_5tupleIJSF_S6_EEENSQ_IJSG_SG_EEES6_PlJS6_EEE10hipError_tPvRmT3_T4_T5_T6_T7_T9_mT8_P12ihipStream_tbDpT10_ENKUlT_T0_E_clISt17integral_constantIbLb0EES1D_EEDaS18_S19_EUlS18_E_NS1_11comp_targetILNS1_3genE4ELNS1_11target_archE910ELNS1_3gpuE8ELNS1_3repE0EEENS1_30default_config_static_selectorELNS0_4arch9wavefront6targetE0EEEvT1_.num_named_barrier, 0
	.set _ZN7rocprim17ROCPRIM_400000_NS6detail17trampoline_kernelINS0_14default_configENS1_25partition_config_selectorILNS1_17partition_subalgoE5EfNS0_10empty_typeEbEEZZNS1_14partition_implILS5_5ELb0ES3_mN6thrust23THRUST_200600_302600_NS6detail15normal_iteratorINSA_10device_ptrIfEEEEPS6_NSA_18transform_iteratorINSB_9not_fun_tI7is_trueIfEEENSC_INSD_IbEEEENSA_11use_defaultESO_EENS0_5tupleIJSF_S6_EEENSQ_IJSG_SG_EEES6_PlJS6_EEE10hipError_tPvRmT3_T4_T5_T6_T7_T9_mT8_P12ihipStream_tbDpT10_ENKUlT_T0_E_clISt17integral_constantIbLb0EES1D_EEDaS18_S19_EUlS18_E_NS1_11comp_targetILNS1_3genE4ELNS1_11target_archE910ELNS1_3gpuE8ELNS1_3repE0EEENS1_30default_config_static_selectorELNS0_4arch9wavefront6targetE0EEEvT1_.private_seg_size, 0
	.set _ZN7rocprim17ROCPRIM_400000_NS6detail17trampoline_kernelINS0_14default_configENS1_25partition_config_selectorILNS1_17partition_subalgoE5EfNS0_10empty_typeEbEEZZNS1_14partition_implILS5_5ELb0ES3_mN6thrust23THRUST_200600_302600_NS6detail15normal_iteratorINSA_10device_ptrIfEEEEPS6_NSA_18transform_iteratorINSB_9not_fun_tI7is_trueIfEEENSC_INSD_IbEEEENSA_11use_defaultESO_EENS0_5tupleIJSF_S6_EEENSQ_IJSG_SG_EEES6_PlJS6_EEE10hipError_tPvRmT3_T4_T5_T6_T7_T9_mT8_P12ihipStream_tbDpT10_ENKUlT_T0_E_clISt17integral_constantIbLb0EES1D_EEDaS18_S19_EUlS18_E_NS1_11comp_targetILNS1_3genE4ELNS1_11target_archE910ELNS1_3gpuE8ELNS1_3repE0EEENS1_30default_config_static_selectorELNS0_4arch9wavefront6targetE0EEEvT1_.uses_vcc, 0
	.set _ZN7rocprim17ROCPRIM_400000_NS6detail17trampoline_kernelINS0_14default_configENS1_25partition_config_selectorILNS1_17partition_subalgoE5EfNS0_10empty_typeEbEEZZNS1_14partition_implILS5_5ELb0ES3_mN6thrust23THRUST_200600_302600_NS6detail15normal_iteratorINSA_10device_ptrIfEEEEPS6_NSA_18transform_iteratorINSB_9not_fun_tI7is_trueIfEEENSC_INSD_IbEEEENSA_11use_defaultESO_EENS0_5tupleIJSF_S6_EEENSQ_IJSG_SG_EEES6_PlJS6_EEE10hipError_tPvRmT3_T4_T5_T6_T7_T9_mT8_P12ihipStream_tbDpT10_ENKUlT_T0_E_clISt17integral_constantIbLb0EES1D_EEDaS18_S19_EUlS18_E_NS1_11comp_targetILNS1_3genE4ELNS1_11target_archE910ELNS1_3gpuE8ELNS1_3repE0EEENS1_30default_config_static_selectorELNS0_4arch9wavefront6targetE0EEEvT1_.uses_flat_scratch, 0
	.set _ZN7rocprim17ROCPRIM_400000_NS6detail17trampoline_kernelINS0_14default_configENS1_25partition_config_selectorILNS1_17partition_subalgoE5EfNS0_10empty_typeEbEEZZNS1_14partition_implILS5_5ELb0ES3_mN6thrust23THRUST_200600_302600_NS6detail15normal_iteratorINSA_10device_ptrIfEEEEPS6_NSA_18transform_iteratorINSB_9not_fun_tI7is_trueIfEEENSC_INSD_IbEEEENSA_11use_defaultESO_EENS0_5tupleIJSF_S6_EEENSQ_IJSG_SG_EEES6_PlJS6_EEE10hipError_tPvRmT3_T4_T5_T6_T7_T9_mT8_P12ihipStream_tbDpT10_ENKUlT_T0_E_clISt17integral_constantIbLb0EES1D_EEDaS18_S19_EUlS18_E_NS1_11comp_targetILNS1_3genE4ELNS1_11target_archE910ELNS1_3gpuE8ELNS1_3repE0EEENS1_30default_config_static_selectorELNS0_4arch9wavefront6targetE0EEEvT1_.has_dyn_sized_stack, 0
	.set _ZN7rocprim17ROCPRIM_400000_NS6detail17trampoline_kernelINS0_14default_configENS1_25partition_config_selectorILNS1_17partition_subalgoE5EfNS0_10empty_typeEbEEZZNS1_14partition_implILS5_5ELb0ES3_mN6thrust23THRUST_200600_302600_NS6detail15normal_iteratorINSA_10device_ptrIfEEEEPS6_NSA_18transform_iteratorINSB_9not_fun_tI7is_trueIfEEENSC_INSD_IbEEEENSA_11use_defaultESO_EENS0_5tupleIJSF_S6_EEENSQ_IJSG_SG_EEES6_PlJS6_EEE10hipError_tPvRmT3_T4_T5_T6_T7_T9_mT8_P12ihipStream_tbDpT10_ENKUlT_T0_E_clISt17integral_constantIbLb0EES1D_EEDaS18_S19_EUlS18_E_NS1_11comp_targetILNS1_3genE4ELNS1_11target_archE910ELNS1_3gpuE8ELNS1_3repE0EEENS1_30default_config_static_selectorELNS0_4arch9wavefront6targetE0EEEvT1_.has_recursion, 0
	.set _ZN7rocprim17ROCPRIM_400000_NS6detail17trampoline_kernelINS0_14default_configENS1_25partition_config_selectorILNS1_17partition_subalgoE5EfNS0_10empty_typeEbEEZZNS1_14partition_implILS5_5ELb0ES3_mN6thrust23THRUST_200600_302600_NS6detail15normal_iteratorINSA_10device_ptrIfEEEEPS6_NSA_18transform_iteratorINSB_9not_fun_tI7is_trueIfEEENSC_INSD_IbEEEENSA_11use_defaultESO_EENS0_5tupleIJSF_S6_EEENSQ_IJSG_SG_EEES6_PlJS6_EEE10hipError_tPvRmT3_T4_T5_T6_T7_T9_mT8_P12ihipStream_tbDpT10_ENKUlT_T0_E_clISt17integral_constantIbLb0EES1D_EEDaS18_S19_EUlS18_E_NS1_11comp_targetILNS1_3genE4ELNS1_11target_archE910ELNS1_3gpuE8ELNS1_3repE0EEENS1_30default_config_static_selectorELNS0_4arch9wavefront6targetE0EEEvT1_.has_indirect_call, 0
	.section	.AMDGPU.csdata,"",@progbits
; Kernel info:
; codeLenInByte = 0
; TotalNumSgprs: 0
; NumVgprs: 0
; ScratchSize: 0
; MemoryBound: 0
; FloatMode: 240
; IeeeMode: 1
; LDSByteSize: 0 bytes/workgroup (compile time only)
; SGPRBlocks: 0
; VGPRBlocks: 0
; NumSGPRsForWavesPerEU: 1
; NumVGPRsForWavesPerEU: 1
; Occupancy: 16
; WaveLimiterHint : 0
; COMPUTE_PGM_RSRC2:SCRATCH_EN: 0
; COMPUTE_PGM_RSRC2:USER_SGPR: 2
; COMPUTE_PGM_RSRC2:TRAP_HANDLER: 0
; COMPUTE_PGM_RSRC2:TGID_X_EN: 1
; COMPUTE_PGM_RSRC2:TGID_Y_EN: 0
; COMPUTE_PGM_RSRC2:TGID_Z_EN: 0
; COMPUTE_PGM_RSRC2:TIDIG_COMP_CNT: 0
	.section	.text._ZN7rocprim17ROCPRIM_400000_NS6detail17trampoline_kernelINS0_14default_configENS1_25partition_config_selectorILNS1_17partition_subalgoE5EfNS0_10empty_typeEbEEZZNS1_14partition_implILS5_5ELb0ES3_mN6thrust23THRUST_200600_302600_NS6detail15normal_iteratorINSA_10device_ptrIfEEEEPS6_NSA_18transform_iteratorINSB_9not_fun_tI7is_trueIfEEENSC_INSD_IbEEEENSA_11use_defaultESO_EENS0_5tupleIJSF_S6_EEENSQ_IJSG_SG_EEES6_PlJS6_EEE10hipError_tPvRmT3_T4_T5_T6_T7_T9_mT8_P12ihipStream_tbDpT10_ENKUlT_T0_E_clISt17integral_constantIbLb0EES1D_EEDaS18_S19_EUlS18_E_NS1_11comp_targetILNS1_3genE3ELNS1_11target_archE908ELNS1_3gpuE7ELNS1_3repE0EEENS1_30default_config_static_selectorELNS0_4arch9wavefront6targetE0EEEvT1_,"axG",@progbits,_ZN7rocprim17ROCPRIM_400000_NS6detail17trampoline_kernelINS0_14default_configENS1_25partition_config_selectorILNS1_17partition_subalgoE5EfNS0_10empty_typeEbEEZZNS1_14partition_implILS5_5ELb0ES3_mN6thrust23THRUST_200600_302600_NS6detail15normal_iteratorINSA_10device_ptrIfEEEEPS6_NSA_18transform_iteratorINSB_9not_fun_tI7is_trueIfEEENSC_INSD_IbEEEENSA_11use_defaultESO_EENS0_5tupleIJSF_S6_EEENSQ_IJSG_SG_EEES6_PlJS6_EEE10hipError_tPvRmT3_T4_T5_T6_T7_T9_mT8_P12ihipStream_tbDpT10_ENKUlT_T0_E_clISt17integral_constantIbLb0EES1D_EEDaS18_S19_EUlS18_E_NS1_11comp_targetILNS1_3genE3ELNS1_11target_archE908ELNS1_3gpuE7ELNS1_3repE0EEENS1_30default_config_static_selectorELNS0_4arch9wavefront6targetE0EEEvT1_,comdat
	.protected	_ZN7rocprim17ROCPRIM_400000_NS6detail17trampoline_kernelINS0_14default_configENS1_25partition_config_selectorILNS1_17partition_subalgoE5EfNS0_10empty_typeEbEEZZNS1_14partition_implILS5_5ELb0ES3_mN6thrust23THRUST_200600_302600_NS6detail15normal_iteratorINSA_10device_ptrIfEEEEPS6_NSA_18transform_iteratorINSB_9not_fun_tI7is_trueIfEEENSC_INSD_IbEEEENSA_11use_defaultESO_EENS0_5tupleIJSF_S6_EEENSQ_IJSG_SG_EEES6_PlJS6_EEE10hipError_tPvRmT3_T4_T5_T6_T7_T9_mT8_P12ihipStream_tbDpT10_ENKUlT_T0_E_clISt17integral_constantIbLb0EES1D_EEDaS18_S19_EUlS18_E_NS1_11comp_targetILNS1_3genE3ELNS1_11target_archE908ELNS1_3gpuE7ELNS1_3repE0EEENS1_30default_config_static_selectorELNS0_4arch9wavefront6targetE0EEEvT1_ ; -- Begin function _ZN7rocprim17ROCPRIM_400000_NS6detail17trampoline_kernelINS0_14default_configENS1_25partition_config_selectorILNS1_17partition_subalgoE5EfNS0_10empty_typeEbEEZZNS1_14partition_implILS5_5ELb0ES3_mN6thrust23THRUST_200600_302600_NS6detail15normal_iteratorINSA_10device_ptrIfEEEEPS6_NSA_18transform_iteratorINSB_9not_fun_tI7is_trueIfEEENSC_INSD_IbEEEENSA_11use_defaultESO_EENS0_5tupleIJSF_S6_EEENSQ_IJSG_SG_EEES6_PlJS6_EEE10hipError_tPvRmT3_T4_T5_T6_T7_T9_mT8_P12ihipStream_tbDpT10_ENKUlT_T0_E_clISt17integral_constantIbLb0EES1D_EEDaS18_S19_EUlS18_E_NS1_11comp_targetILNS1_3genE3ELNS1_11target_archE908ELNS1_3gpuE7ELNS1_3repE0EEENS1_30default_config_static_selectorELNS0_4arch9wavefront6targetE0EEEvT1_
	.globl	_ZN7rocprim17ROCPRIM_400000_NS6detail17trampoline_kernelINS0_14default_configENS1_25partition_config_selectorILNS1_17partition_subalgoE5EfNS0_10empty_typeEbEEZZNS1_14partition_implILS5_5ELb0ES3_mN6thrust23THRUST_200600_302600_NS6detail15normal_iteratorINSA_10device_ptrIfEEEEPS6_NSA_18transform_iteratorINSB_9not_fun_tI7is_trueIfEEENSC_INSD_IbEEEENSA_11use_defaultESO_EENS0_5tupleIJSF_S6_EEENSQ_IJSG_SG_EEES6_PlJS6_EEE10hipError_tPvRmT3_T4_T5_T6_T7_T9_mT8_P12ihipStream_tbDpT10_ENKUlT_T0_E_clISt17integral_constantIbLb0EES1D_EEDaS18_S19_EUlS18_E_NS1_11comp_targetILNS1_3genE3ELNS1_11target_archE908ELNS1_3gpuE7ELNS1_3repE0EEENS1_30default_config_static_selectorELNS0_4arch9wavefront6targetE0EEEvT1_
	.p2align	8
	.type	_ZN7rocprim17ROCPRIM_400000_NS6detail17trampoline_kernelINS0_14default_configENS1_25partition_config_selectorILNS1_17partition_subalgoE5EfNS0_10empty_typeEbEEZZNS1_14partition_implILS5_5ELb0ES3_mN6thrust23THRUST_200600_302600_NS6detail15normal_iteratorINSA_10device_ptrIfEEEEPS6_NSA_18transform_iteratorINSB_9not_fun_tI7is_trueIfEEENSC_INSD_IbEEEENSA_11use_defaultESO_EENS0_5tupleIJSF_S6_EEENSQ_IJSG_SG_EEES6_PlJS6_EEE10hipError_tPvRmT3_T4_T5_T6_T7_T9_mT8_P12ihipStream_tbDpT10_ENKUlT_T0_E_clISt17integral_constantIbLb0EES1D_EEDaS18_S19_EUlS18_E_NS1_11comp_targetILNS1_3genE3ELNS1_11target_archE908ELNS1_3gpuE7ELNS1_3repE0EEENS1_30default_config_static_selectorELNS0_4arch9wavefront6targetE0EEEvT1_,@function
_ZN7rocprim17ROCPRIM_400000_NS6detail17trampoline_kernelINS0_14default_configENS1_25partition_config_selectorILNS1_17partition_subalgoE5EfNS0_10empty_typeEbEEZZNS1_14partition_implILS5_5ELb0ES3_mN6thrust23THRUST_200600_302600_NS6detail15normal_iteratorINSA_10device_ptrIfEEEEPS6_NSA_18transform_iteratorINSB_9not_fun_tI7is_trueIfEEENSC_INSD_IbEEEENSA_11use_defaultESO_EENS0_5tupleIJSF_S6_EEENSQ_IJSG_SG_EEES6_PlJS6_EEE10hipError_tPvRmT3_T4_T5_T6_T7_T9_mT8_P12ihipStream_tbDpT10_ENKUlT_T0_E_clISt17integral_constantIbLb0EES1D_EEDaS18_S19_EUlS18_E_NS1_11comp_targetILNS1_3genE3ELNS1_11target_archE908ELNS1_3gpuE7ELNS1_3repE0EEENS1_30default_config_static_selectorELNS0_4arch9wavefront6targetE0EEEvT1_: ; @_ZN7rocprim17ROCPRIM_400000_NS6detail17trampoline_kernelINS0_14default_configENS1_25partition_config_selectorILNS1_17partition_subalgoE5EfNS0_10empty_typeEbEEZZNS1_14partition_implILS5_5ELb0ES3_mN6thrust23THRUST_200600_302600_NS6detail15normal_iteratorINSA_10device_ptrIfEEEEPS6_NSA_18transform_iteratorINSB_9not_fun_tI7is_trueIfEEENSC_INSD_IbEEEENSA_11use_defaultESO_EENS0_5tupleIJSF_S6_EEENSQ_IJSG_SG_EEES6_PlJS6_EEE10hipError_tPvRmT3_T4_T5_T6_T7_T9_mT8_P12ihipStream_tbDpT10_ENKUlT_T0_E_clISt17integral_constantIbLb0EES1D_EEDaS18_S19_EUlS18_E_NS1_11comp_targetILNS1_3genE3ELNS1_11target_archE908ELNS1_3gpuE7ELNS1_3repE0EEENS1_30default_config_static_selectorELNS0_4arch9wavefront6targetE0EEEvT1_
; %bb.0:
	.section	.rodata,"a",@progbits
	.p2align	6, 0x0
	.amdhsa_kernel _ZN7rocprim17ROCPRIM_400000_NS6detail17trampoline_kernelINS0_14default_configENS1_25partition_config_selectorILNS1_17partition_subalgoE5EfNS0_10empty_typeEbEEZZNS1_14partition_implILS5_5ELb0ES3_mN6thrust23THRUST_200600_302600_NS6detail15normal_iteratorINSA_10device_ptrIfEEEEPS6_NSA_18transform_iteratorINSB_9not_fun_tI7is_trueIfEEENSC_INSD_IbEEEENSA_11use_defaultESO_EENS0_5tupleIJSF_S6_EEENSQ_IJSG_SG_EEES6_PlJS6_EEE10hipError_tPvRmT3_T4_T5_T6_T7_T9_mT8_P12ihipStream_tbDpT10_ENKUlT_T0_E_clISt17integral_constantIbLb0EES1D_EEDaS18_S19_EUlS18_E_NS1_11comp_targetILNS1_3genE3ELNS1_11target_archE908ELNS1_3gpuE7ELNS1_3repE0EEENS1_30default_config_static_selectorELNS0_4arch9wavefront6targetE0EEEvT1_
		.amdhsa_group_segment_fixed_size 0
		.amdhsa_private_segment_fixed_size 0
		.amdhsa_kernarg_size 120
		.amdhsa_user_sgpr_count 2
		.amdhsa_user_sgpr_dispatch_ptr 0
		.amdhsa_user_sgpr_queue_ptr 0
		.amdhsa_user_sgpr_kernarg_segment_ptr 1
		.amdhsa_user_sgpr_dispatch_id 0
		.amdhsa_user_sgpr_private_segment_size 0
		.amdhsa_wavefront_size32 1
		.amdhsa_uses_dynamic_stack 0
		.amdhsa_enable_private_segment 0
		.amdhsa_system_sgpr_workgroup_id_x 1
		.amdhsa_system_sgpr_workgroup_id_y 0
		.amdhsa_system_sgpr_workgroup_id_z 0
		.amdhsa_system_sgpr_workgroup_info 0
		.amdhsa_system_vgpr_workitem_id 0
		.amdhsa_next_free_vgpr 1
		.amdhsa_next_free_sgpr 1
		.amdhsa_reserve_vcc 0
		.amdhsa_float_round_mode_32 0
		.amdhsa_float_round_mode_16_64 0
		.amdhsa_float_denorm_mode_32 3
		.amdhsa_float_denorm_mode_16_64 3
		.amdhsa_fp16_overflow 0
		.amdhsa_workgroup_processor_mode 1
		.amdhsa_memory_ordered 1
		.amdhsa_forward_progress 1
		.amdhsa_inst_pref_size 0
		.amdhsa_round_robin_scheduling 0
		.amdhsa_exception_fp_ieee_invalid_op 0
		.amdhsa_exception_fp_denorm_src 0
		.amdhsa_exception_fp_ieee_div_zero 0
		.amdhsa_exception_fp_ieee_overflow 0
		.amdhsa_exception_fp_ieee_underflow 0
		.amdhsa_exception_fp_ieee_inexact 0
		.amdhsa_exception_int_div_zero 0
	.end_amdhsa_kernel
	.section	.text._ZN7rocprim17ROCPRIM_400000_NS6detail17trampoline_kernelINS0_14default_configENS1_25partition_config_selectorILNS1_17partition_subalgoE5EfNS0_10empty_typeEbEEZZNS1_14partition_implILS5_5ELb0ES3_mN6thrust23THRUST_200600_302600_NS6detail15normal_iteratorINSA_10device_ptrIfEEEEPS6_NSA_18transform_iteratorINSB_9not_fun_tI7is_trueIfEEENSC_INSD_IbEEEENSA_11use_defaultESO_EENS0_5tupleIJSF_S6_EEENSQ_IJSG_SG_EEES6_PlJS6_EEE10hipError_tPvRmT3_T4_T5_T6_T7_T9_mT8_P12ihipStream_tbDpT10_ENKUlT_T0_E_clISt17integral_constantIbLb0EES1D_EEDaS18_S19_EUlS18_E_NS1_11comp_targetILNS1_3genE3ELNS1_11target_archE908ELNS1_3gpuE7ELNS1_3repE0EEENS1_30default_config_static_selectorELNS0_4arch9wavefront6targetE0EEEvT1_,"axG",@progbits,_ZN7rocprim17ROCPRIM_400000_NS6detail17trampoline_kernelINS0_14default_configENS1_25partition_config_selectorILNS1_17partition_subalgoE5EfNS0_10empty_typeEbEEZZNS1_14partition_implILS5_5ELb0ES3_mN6thrust23THRUST_200600_302600_NS6detail15normal_iteratorINSA_10device_ptrIfEEEEPS6_NSA_18transform_iteratorINSB_9not_fun_tI7is_trueIfEEENSC_INSD_IbEEEENSA_11use_defaultESO_EENS0_5tupleIJSF_S6_EEENSQ_IJSG_SG_EEES6_PlJS6_EEE10hipError_tPvRmT3_T4_T5_T6_T7_T9_mT8_P12ihipStream_tbDpT10_ENKUlT_T0_E_clISt17integral_constantIbLb0EES1D_EEDaS18_S19_EUlS18_E_NS1_11comp_targetILNS1_3genE3ELNS1_11target_archE908ELNS1_3gpuE7ELNS1_3repE0EEENS1_30default_config_static_selectorELNS0_4arch9wavefront6targetE0EEEvT1_,comdat
.Lfunc_end2368:
	.size	_ZN7rocprim17ROCPRIM_400000_NS6detail17trampoline_kernelINS0_14default_configENS1_25partition_config_selectorILNS1_17partition_subalgoE5EfNS0_10empty_typeEbEEZZNS1_14partition_implILS5_5ELb0ES3_mN6thrust23THRUST_200600_302600_NS6detail15normal_iteratorINSA_10device_ptrIfEEEEPS6_NSA_18transform_iteratorINSB_9not_fun_tI7is_trueIfEEENSC_INSD_IbEEEENSA_11use_defaultESO_EENS0_5tupleIJSF_S6_EEENSQ_IJSG_SG_EEES6_PlJS6_EEE10hipError_tPvRmT3_T4_T5_T6_T7_T9_mT8_P12ihipStream_tbDpT10_ENKUlT_T0_E_clISt17integral_constantIbLb0EES1D_EEDaS18_S19_EUlS18_E_NS1_11comp_targetILNS1_3genE3ELNS1_11target_archE908ELNS1_3gpuE7ELNS1_3repE0EEENS1_30default_config_static_selectorELNS0_4arch9wavefront6targetE0EEEvT1_, .Lfunc_end2368-_ZN7rocprim17ROCPRIM_400000_NS6detail17trampoline_kernelINS0_14default_configENS1_25partition_config_selectorILNS1_17partition_subalgoE5EfNS0_10empty_typeEbEEZZNS1_14partition_implILS5_5ELb0ES3_mN6thrust23THRUST_200600_302600_NS6detail15normal_iteratorINSA_10device_ptrIfEEEEPS6_NSA_18transform_iteratorINSB_9not_fun_tI7is_trueIfEEENSC_INSD_IbEEEENSA_11use_defaultESO_EENS0_5tupleIJSF_S6_EEENSQ_IJSG_SG_EEES6_PlJS6_EEE10hipError_tPvRmT3_T4_T5_T6_T7_T9_mT8_P12ihipStream_tbDpT10_ENKUlT_T0_E_clISt17integral_constantIbLb0EES1D_EEDaS18_S19_EUlS18_E_NS1_11comp_targetILNS1_3genE3ELNS1_11target_archE908ELNS1_3gpuE7ELNS1_3repE0EEENS1_30default_config_static_selectorELNS0_4arch9wavefront6targetE0EEEvT1_
                                        ; -- End function
	.set _ZN7rocprim17ROCPRIM_400000_NS6detail17trampoline_kernelINS0_14default_configENS1_25partition_config_selectorILNS1_17partition_subalgoE5EfNS0_10empty_typeEbEEZZNS1_14partition_implILS5_5ELb0ES3_mN6thrust23THRUST_200600_302600_NS6detail15normal_iteratorINSA_10device_ptrIfEEEEPS6_NSA_18transform_iteratorINSB_9not_fun_tI7is_trueIfEEENSC_INSD_IbEEEENSA_11use_defaultESO_EENS0_5tupleIJSF_S6_EEENSQ_IJSG_SG_EEES6_PlJS6_EEE10hipError_tPvRmT3_T4_T5_T6_T7_T9_mT8_P12ihipStream_tbDpT10_ENKUlT_T0_E_clISt17integral_constantIbLb0EES1D_EEDaS18_S19_EUlS18_E_NS1_11comp_targetILNS1_3genE3ELNS1_11target_archE908ELNS1_3gpuE7ELNS1_3repE0EEENS1_30default_config_static_selectorELNS0_4arch9wavefront6targetE0EEEvT1_.num_vgpr, 0
	.set _ZN7rocprim17ROCPRIM_400000_NS6detail17trampoline_kernelINS0_14default_configENS1_25partition_config_selectorILNS1_17partition_subalgoE5EfNS0_10empty_typeEbEEZZNS1_14partition_implILS5_5ELb0ES3_mN6thrust23THRUST_200600_302600_NS6detail15normal_iteratorINSA_10device_ptrIfEEEEPS6_NSA_18transform_iteratorINSB_9not_fun_tI7is_trueIfEEENSC_INSD_IbEEEENSA_11use_defaultESO_EENS0_5tupleIJSF_S6_EEENSQ_IJSG_SG_EEES6_PlJS6_EEE10hipError_tPvRmT3_T4_T5_T6_T7_T9_mT8_P12ihipStream_tbDpT10_ENKUlT_T0_E_clISt17integral_constantIbLb0EES1D_EEDaS18_S19_EUlS18_E_NS1_11comp_targetILNS1_3genE3ELNS1_11target_archE908ELNS1_3gpuE7ELNS1_3repE0EEENS1_30default_config_static_selectorELNS0_4arch9wavefront6targetE0EEEvT1_.num_agpr, 0
	.set _ZN7rocprim17ROCPRIM_400000_NS6detail17trampoline_kernelINS0_14default_configENS1_25partition_config_selectorILNS1_17partition_subalgoE5EfNS0_10empty_typeEbEEZZNS1_14partition_implILS5_5ELb0ES3_mN6thrust23THRUST_200600_302600_NS6detail15normal_iteratorINSA_10device_ptrIfEEEEPS6_NSA_18transform_iteratorINSB_9not_fun_tI7is_trueIfEEENSC_INSD_IbEEEENSA_11use_defaultESO_EENS0_5tupleIJSF_S6_EEENSQ_IJSG_SG_EEES6_PlJS6_EEE10hipError_tPvRmT3_T4_T5_T6_T7_T9_mT8_P12ihipStream_tbDpT10_ENKUlT_T0_E_clISt17integral_constantIbLb0EES1D_EEDaS18_S19_EUlS18_E_NS1_11comp_targetILNS1_3genE3ELNS1_11target_archE908ELNS1_3gpuE7ELNS1_3repE0EEENS1_30default_config_static_selectorELNS0_4arch9wavefront6targetE0EEEvT1_.numbered_sgpr, 0
	.set _ZN7rocprim17ROCPRIM_400000_NS6detail17trampoline_kernelINS0_14default_configENS1_25partition_config_selectorILNS1_17partition_subalgoE5EfNS0_10empty_typeEbEEZZNS1_14partition_implILS5_5ELb0ES3_mN6thrust23THRUST_200600_302600_NS6detail15normal_iteratorINSA_10device_ptrIfEEEEPS6_NSA_18transform_iteratorINSB_9not_fun_tI7is_trueIfEEENSC_INSD_IbEEEENSA_11use_defaultESO_EENS0_5tupleIJSF_S6_EEENSQ_IJSG_SG_EEES6_PlJS6_EEE10hipError_tPvRmT3_T4_T5_T6_T7_T9_mT8_P12ihipStream_tbDpT10_ENKUlT_T0_E_clISt17integral_constantIbLb0EES1D_EEDaS18_S19_EUlS18_E_NS1_11comp_targetILNS1_3genE3ELNS1_11target_archE908ELNS1_3gpuE7ELNS1_3repE0EEENS1_30default_config_static_selectorELNS0_4arch9wavefront6targetE0EEEvT1_.num_named_barrier, 0
	.set _ZN7rocprim17ROCPRIM_400000_NS6detail17trampoline_kernelINS0_14default_configENS1_25partition_config_selectorILNS1_17partition_subalgoE5EfNS0_10empty_typeEbEEZZNS1_14partition_implILS5_5ELb0ES3_mN6thrust23THRUST_200600_302600_NS6detail15normal_iteratorINSA_10device_ptrIfEEEEPS6_NSA_18transform_iteratorINSB_9not_fun_tI7is_trueIfEEENSC_INSD_IbEEEENSA_11use_defaultESO_EENS0_5tupleIJSF_S6_EEENSQ_IJSG_SG_EEES6_PlJS6_EEE10hipError_tPvRmT3_T4_T5_T6_T7_T9_mT8_P12ihipStream_tbDpT10_ENKUlT_T0_E_clISt17integral_constantIbLb0EES1D_EEDaS18_S19_EUlS18_E_NS1_11comp_targetILNS1_3genE3ELNS1_11target_archE908ELNS1_3gpuE7ELNS1_3repE0EEENS1_30default_config_static_selectorELNS0_4arch9wavefront6targetE0EEEvT1_.private_seg_size, 0
	.set _ZN7rocprim17ROCPRIM_400000_NS6detail17trampoline_kernelINS0_14default_configENS1_25partition_config_selectorILNS1_17partition_subalgoE5EfNS0_10empty_typeEbEEZZNS1_14partition_implILS5_5ELb0ES3_mN6thrust23THRUST_200600_302600_NS6detail15normal_iteratorINSA_10device_ptrIfEEEEPS6_NSA_18transform_iteratorINSB_9not_fun_tI7is_trueIfEEENSC_INSD_IbEEEENSA_11use_defaultESO_EENS0_5tupleIJSF_S6_EEENSQ_IJSG_SG_EEES6_PlJS6_EEE10hipError_tPvRmT3_T4_T5_T6_T7_T9_mT8_P12ihipStream_tbDpT10_ENKUlT_T0_E_clISt17integral_constantIbLb0EES1D_EEDaS18_S19_EUlS18_E_NS1_11comp_targetILNS1_3genE3ELNS1_11target_archE908ELNS1_3gpuE7ELNS1_3repE0EEENS1_30default_config_static_selectorELNS0_4arch9wavefront6targetE0EEEvT1_.uses_vcc, 0
	.set _ZN7rocprim17ROCPRIM_400000_NS6detail17trampoline_kernelINS0_14default_configENS1_25partition_config_selectorILNS1_17partition_subalgoE5EfNS0_10empty_typeEbEEZZNS1_14partition_implILS5_5ELb0ES3_mN6thrust23THRUST_200600_302600_NS6detail15normal_iteratorINSA_10device_ptrIfEEEEPS6_NSA_18transform_iteratorINSB_9not_fun_tI7is_trueIfEEENSC_INSD_IbEEEENSA_11use_defaultESO_EENS0_5tupleIJSF_S6_EEENSQ_IJSG_SG_EEES6_PlJS6_EEE10hipError_tPvRmT3_T4_T5_T6_T7_T9_mT8_P12ihipStream_tbDpT10_ENKUlT_T0_E_clISt17integral_constantIbLb0EES1D_EEDaS18_S19_EUlS18_E_NS1_11comp_targetILNS1_3genE3ELNS1_11target_archE908ELNS1_3gpuE7ELNS1_3repE0EEENS1_30default_config_static_selectorELNS0_4arch9wavefront6targetE0EEEvT1_.uses_flat_scratch, 0
	.set _ZN7rocprim17ROCPRIM_400000_NS6detail17trampoline_kernelINS0_14default_configENS1_25partition_config_selectorILNS1_17partition_subalgoE5EfNS0_10empty_typeEbEEZZNS1_14partition_implILS5_5ELb0ES3_mN6thrust23THRUST_200600_302600_NS6detail15normal_iteratorINSA_10device_ptrIfEEEEPS6_NSA_18transform_iteratorINSB_9not_fun_tI7is_trueIfEEENSC_INSD_IbEEEENSA_11use_defaultESO_EENS0_5tupleIJSF_S6_EEENSQ_IJSG_SG_EEES6_PlJS6_EEE10hipError_tPvRmT3_T4_T5_T6_T7_T9_mT8_P12ihipStream_tbDpT10_ENKUlT_T0_E_clISt17integral_constantIbLb0EES1D_EEDaS18_S19_EUlS18_E_NS1_11comp_targetILNS1_3genE3ELNS1_11target_archE908ELNS1_3gpuE7ELNS1_3repE0EEENS1_30default_config_static_selectorELNS0_4arch9wavefront6targetE0EEEvT1_.has_dyn_sized_stack, 0
	.set _ZN7rocprim17ROCPRIM_400000_NS6detail17trampoline_kernelINS0_14default_configENS1_25partition_config_selectorILNS1_17partition_subalgoE5EfNS0_10empty_typeEbEEZZNS1_14partition_implILS5_5ELb0ES3_mN6thrust23THRUST_200600_302600_NS6detail15normal_iteratorINSA_10device_ptrIfEEEEPS6_NSA_18transform_iteratorINSB_9not_fun_tI7is_trueIfEEENSC_INSD_IbEEEENSA_11use_defaultESO_EENS0_5tupleIJSF_S6_EEENSQ_IJSG_SG_EEES6_PlJS6_EEE10hipError_tPvRmT3_T4_T5_T6_T7_T9_mT8_P12ihipStream_tbDpT10_ENKUlT_T0_E_clISt17integral_constantIbLb0EES1D_EEDaS18_S19_EUlS18_E_NS1_11comp_targetILNS1_3genE3ELNS1_11target_archE908ELNS1_3gpuE7ELNS1_3repE0EEENS1_30default_config_static_selectorELNS0_4arch9wavefront6targetE0EEEvT1_.has_recursion, 0
	.set _ZN7rocprim17ROCPRIM_400000_NS6detail17trampoline_kernelINS0_14default_configENS1_25partition_config_selectorILNS1_17partition_subalgoE5EfNS0_10empty_typeEbEEZZNS1_14partition_implILS5_5ELb0ES3_mN6thrust23THRUST_200600_302600_NS6detail15normal_iteratorINSA_10device_ptrIfEEEEPS6_NSA_18transform_iteratorINSB_9not_fun_tI7is_trueIfEEENSC_INSD_IbEEEENSA_11use_defaultESO_EENS0_5tupleIJSF_S6_EEENSQ_IJSG_SG_EEES6_PlJS6_EEE10hipError_tPvRmT3_T4_T5_T6_T7_T9_mT8_P12ihipStream_tbDpT10_ENKUlT_T0_E_clISt17integral_constantIbLb0EES1D_EEDaS18_S19_EUlS18_E_NS1_11comp_targetILNS1_3genE3ELNS1_11target_archE908ELNS1_3gpuE7ELNS1_3repE0EEENS1_30default_config_static_selectorELNS0_4arch9wavefront6targetE0EEEvT1_.has_indirect_call, 0
	.section	.AMDGPU.csdata,"",@progbits
; Kernel info:
; codeLenInByte = 0
; TotalNumSgprs: 0
; NumVgprs: 0
; ScratchSize: 0
; MemoryBound: 0
; FloatMode: 240
; IeeeMode: 1
; LDSByteSize: 0 bytes/workgroup (compile time only)
; SGPRBlocks: 0
; VGPRBlocks: 0
; NumSGPRsForWavesPerEU: 1
; NumVGPRsForWavesPerEU: 1
; Occupancy: 16
; WaveLimiterHint : 0
; COMPUTE_PGM_RSRC2:SCRATCH_EN: 0
; COMPUTE_PGM_RSRC2:USER_SGPR: 2
; COMPUTE_PGM_RSRC2:TRAP_HANDLER: 0
; COMPUTE_PGM_RSRC2:TGID_X_EN: 1
; COMPUTE_PGM_RSRC2:TGID_Y_EN: 0
; COMPUTE_PGM_RSRC2:TGID_Z_EN: 0
; COMPUTE_PGM_RSRC2:TIDIG_COMP_CNT: 0
	.section	.text._ZN7rocprim17ROCPRIM_400000_NS6detail17trampoline_kernelINS0_14default_configENS1_25partition_config_selectorILNS1_17partition_subalgoE5EfNS0_10empty_typeEbEEZZNS1_14partition_implILS5_5ELb0ES3_mN6thrust23THRUST_200600_302600_NS6detail15normal_iteratorINSA_10device_ptrIfEEEEPS6_NSA_18transform_iteratorINSB_9not_fun_tI7is_trueIfEEENSC_INSD_IbEEEENSA_11use_defaultESO_EENS0_5tupleIJSF_S6_EEENSQ_IJSG_SG_EEES6_PlJS6_EEE10hipError_tPvRmT3_T4_T5_T6_T7_T9_mT8_P12ihipStream_tbDpT10_ENKUlT_T0_E_clISt17integral_constantIbLb0EES1D_EEDaS18_S19_EUlS18_E_NS1_11comp_targetILNS1_3genE2ELNS1_11target_archE906ELNS1_3gpuE6ELNS1_3repE0EEENS1_30default_config_static_selectorELNS0_4arch9wavefront6targetE0EEEvT1_,"axG",@progbits,_ZN7rocprim17ROCPRIM_400000_NS6detail17trampoline_kernelINS0_14default_configENS1_25partition_config_selectorILNS1_17partition_subalgoE5EfNS0_10empty_typeEbEEZZNS1_14partition_implILS5_5ELb0ES3_mN6thrust23THRUST_200600_302600_NS6detail15normal_iteratorINSA_10device_ptrIfEEEEPS6_NSA_18transform_iteratorINSB_9not_fun_tI7is_trueIfEEENSC_INSD_IbEEEENSA_11use_defaultESO_EENS0_5tupleIJSF_S6_EEENSQ_IJSG_SG_EEES6_PlJS6_EEE10hipError_tPvRmT3_T4_T5_T6_T7_T9_mT8_P12ihipStream_tbDpT10_ENKUlT_T0_E_clISt17integral_constantIbLb0EES1D_EEDaS18_S19_EUlS18_E_NS1_11comp_targetILNS1_3genE2ELNS1_11target_archE906ELNS1_3gpuE6ELNS1_3repE0EEENS1_30default_config_static_selectorELNS0_4arch9wavefront6targetE0EEEvT1_,comdat
	.protected	_ZN7rocprim17ROCPRIM_400000_NS6detail17trampoline_kernelINS0_14default_configENS1_25partition_config_selectorILNS1_17partition_subalgoE5EfNS0_10empty_typeEbEEZZNS1_14partition_implILS5_5ELb0ES3_mN6thrust23THRUST_200600_302600_NS6detail15normal_iteratorINSA_10device_ptrIfEEEEPS6_NSA_18transform_iteratorINSB_9not_fun_tI7is_trueIfEEENSC_INSD_IbEEEENSA_11use_defaultESO_EENS0_5tupleIJSF_S6_EEENSQ_IJSG_SG_EEES6_PlJS6_EEE10hipError_tPvRmT3_T4_T5_T6_T7_T9_mT8_P12ihipStream_tbDpT10_ENKUlT_T0_E_clISt17integral_constantIbLb0EES1D_EEDaS18_S19_EUlS18_E_NS1_11comp_targetILNS1_3genE2ELNS1_11target_archE906ELNS1_3gpuE6ELNS1_3repE0EEENS1_30default_config_static_selectorELNS0_4arch9wavefront6targetE0EEEvT1_ ; -- Begin function _ZN7rocprim17ROCPRIM_400000_NS6detail17trampoline_kernelINS0_14default_configENS1_25partition_config_selectorILNS1_17partition_subalgoE5EfNS0_10empty_typeEbEEZZNS1_14partition_implILS5_5ELb0ES3_mN6thrust23THRUST_200600_302600_NS6detail15normal_iteratorINSA_10device_ptrIfEEEEPS6_NSA_18transform_iteratorINSB_9not_fun_tI7is_trueIfEEENSC_INSD_IbEEEENSA_11use_defaultESO_EENS0_5tupleIJSF_S6_EEENSQ_IJSG_SG_EEES6_PlJS6_EEE10hipError_tPvRmT3_T4_T5_T6_T7_T9_mT8_P12ihipStream_tbDpT10_ENKUlT_T0_E_clISt17integral_constantIbLb0EES1D_EEDaS18_S19_EUlS18_E_NS1_11comp_targetILNS1_3genE2ELNS1_11target_archE906ELNS1_3gpuE6ELNS1_3repE0EEENS1_30default_config_static_selectorELNS0_4arch9wavefront6targetE0EEEvT1_
	.globl	_ZN7rocprim17ROCPRIM_400000_NS6detail17trampoline_kernelINS0_14default_configENS1_25partition_config_selectorILNS1_17partition_subalgoE5EfNS0_10empty_typeEbEEZZNS1_14partition_implILS5_5ELb0ES3_mN6thrust23THRUST_200600_302600_NS6detail15normal_iteratorINSA_10device_ptrIfEEEEPS6_NSA_18transform_iteratorINSB_9not_fun_tI7is_trueIfEEENSC_INSD_IbEEEENSA_11use_defaultESO_EENS0_5tupleIJSF_S6_EEENSQ_IJSG_SG_EEES6_PlJS6_EEE10hipError_tPvRmT3_T4_T5_T6_T7_T9_mT8_P12ihipStream_tbDpT10_ENKUlT_T0_E_clISt17integral_constantIbLb0EES1D_EEDaS18_S19_EUlS18_E_NS1_11comp_targetILNS1_3genE2ELNS1_11target_archE906ELNS1_3gpuE6ELNS1_3repE0EEENS1_30default_config_static_selectorELNS0_4arch9wavefront6targetE0EEEvT1_
	.p2align	8
	.type	_ZN7rocprim17ROCPRIM_400000_NS6detail17trampoline_kernelINS0_14default_configENS1_25partition_config_selectorILNS1_17partition_subalgoE5EfNS0_10empty_typeEbEEZZNS1_14partition_implILS5_5ELb0ES3_mN6thrust23THRUST_200600_302600_NS6detail15normal_iteratorINSA_10device_ptrIfEEEEPS6_NSA_18transform_iteratorINSB_9not_fun_tI7is_trueIfEEENSC_INSD_IbEEEENSA_11use_defaultESO_EENS0_5tupleIJSF_S6_EEENSQ_IJSG_SG_EEES6_PlJS6_EEE10hipError_tPvRmT3_T4_T5_T6_T7_T9_mT8_P12ihipStream_tbDpT10_ENKUlT_T0_E_clISt17integral_constantIbLb0EES1D_EEDaS18_S19_EUlS18_E_NS1_11comp_targetILNS1_3genE2ELNS1_11target_archE906ELNS1_3gpuE6ELNS1_3repE0EEENS1_30default_config_static_selectorELNS0_4arch9wavefront6targetE0EEEvT1_,@function
_ZN7rocprim17ROCPRIM_400000_NS6detail17trampoline_kernelINS0_14default_configENS1_25partition_config_selectorILNS1_17partition_subalgoE5EfNS0_10empty_typeEbEEZZNS1_14partition_implILS5_5ELb0ES3_mN6thrust23THRUST_200600_302600_NS6detail15normal_iteratorINSA_10device_ptrIfEEEEPS6_NSA_18transform_iteratorINSB_9not_fun_tI7is_trueIfEEENSC_INSD_IbEEEENSA_11use_defaultESO_EENS0_5tupleIJSF_S6_EEENSQ_IJSG_SG_EEES6_PlJS6_EEE10hipError_tPvRmT3_T4_T5_T6_T7_T9_mT8_P12ihipStream_tbDpT10_ENKUlT_T0_E_clISt17integral_constantIbLb0EES1D_EEDaS18_S19_EUlS18_E_NS1_11comp_targetILNS1_3genE2ELNS1_11target_archE906ELNS1_3gpuE6ELNS1_3repE0EEENS1_30default_config_static_selectorELNS0_4arch9wavefront6targetE0EEEvT1_: ; @_ZN7rocprim17ROCPRIM_400000_NS6detail17trampoline_kernelINS0_14default_configENS1_25partition_config_selectorILNS1_17partition_subalgoE5EfNS0_10empty_typeEbEEZZNS1_14partition_implILS5_5ELb0ES3_mN6thrust23THRUST_200600_302600_NS6detail15normal_iteratorINSA_10device_ptrIfEEEEPS6_NSA_18transform_iteratorINSB_9not_fun_tI7is_trueIfEEENSC_INSD_IbEEEENSA_11use_defaultESO_EENS0_5tupleIJSF_S6_EEENSQ_IJSG_SG_EEES6_PlJS6_EEE10hipError_tPvRmT3_T4_T5_T6_T7_T9_mT8_P12ihipStream_tbDpT10_ENKUlT_T0_E_clISt17integral_constantIbLb0EES1D_EEDaS18_S19_EUlS18_E_NS1_11comp_targetILNS1_3genE2ELNS1_11target_archE906ELNS1_3gpuE6ELNS1_3repE0EEENS1_30default_config_static_selectorELNS0_4arch9wavefront6targetE0EEEvT1_
; %bb.0:
	.section	.rodata,"a",@progbits
	.p2align	6, 0x0
	.amdhsa_kernel _ZN7rocprim17ROCPRIM_400000_NS6detail17trampoline_kernelINS0_14default_configENS1_25partition_config_selectorILNS1_17partition_subalgoE5EfNS0_10empty_typeEbEEZZNS1_14partition_implILS5_5ELb0ES3_mN6thrust23THRUST_200600_302600_NS6detail15normal_iteratorINSA_10device_ptrIfEEEEPS6_NSA_18transform_iteratorINSB_9not_fun_tI7is_trueIfEEENSC_INSD_IbEEEENSA_11use_defaultESO_EENS0_5tupleIJSF_S6_EEENSQ_IJSG_SG_EEES6_PlJS6_EEE10hipError_tPvRmT3_T4_T5_T6_T7_T9_mT8_P12ihipStream_tbDpT10_ENKUlT_T0_E_clISt17integral_constantIbLb0EES1D_EEDaS18_S19_EUlS18_E_NS1_11comp_targetILNS1_3genE2ELNS1_11target_archE906ELNS1_3gpuE6ELNS1_3repE0EEENS1_30default_config_static_selectorELNS0_4arch9wavefront6targetE0EEEvT1_
		.amdhsa_group_segment_fixed_size 0
		.amdhsa_private_segment_fixed_size 0
		.amdhsa_kernarg_size 120
		.amdhsa_user_sgpr_count 2
		.amdhsa_user_sgpr_dispatch_ptr 0
		.amdhsa_user_sgpr_queue_ptr 0
		.amdhsa_user_sgpr_kernarg_segment_ptr 1
		.amdhsa_user_sgpr_dispatch_id 0
		.amdhsa_user_sgpr_private_segment_size 0
		.amdhsa_wavefront_size32 1
		.amdhsa_uses_dynamic_stack 0
		.amdhsa_enable_private_segment 0
		.amdhsa_system_sgpr_workgroup_id_x 1
		.amdhsa_system_sgpr_workgroup_id_y 0
		.amdhsa_system_sgpr_workgroup_id_z 0
		.amdhsa_system_sgpr_workgroup_info 0
		.amdhsa_system_vgpr_workitem_id 0
		.amdhsa_next_free_vgpr 1
		.amdhsa_next_free_sgpr 1
		.amdhsa_reserve_vcc 0
		.amdhsa_float_round_mode_32 0
		.amdhsa_float_round_mode_16_64 0
		.amdhsa_float_denorm_mode_32 3
		.amdhsa_float_denorm_mode_16_64 3
		.amdhsa_fp16_overflow 0
		.amdhsa_workgroup_processor_mode 1
		.amdhsa_memory_ordered 1
		.amdhsa_forward_progress 1
		.amdhsa_inst_pref_size 0
		.amdhsa_round_robin_scheduling 0
		.amdhsa_exception_fp_ieee_invalid_op 0
		.amdhsa_exception_fp_denorm_src 0
		.amdhsa_exception_fp_ieee_div_zero 0
		.amdhsa_exception_fp_ieee_overflow 0
		.amdhsa_exception_fp_ieee_underflow 0
		.amdhsa_exception_fp_ieee_inexact 0
		.amdhsa_exception_int_div_zero 0
	.end_amdhsa_kernel
	.section	.text._ZN7rocprim17ROCPRIM_400000_NS6detail17trampoline_kernelINS0_14default_configENS1_25partition_config_selectorILNS1_17partition_subalgoE5EfNS0_10empty_typeEbEEZZNS1_14partition_implILS5_5ELb0ES3_mN6thrust23THRUST_200600_302600_NS6detail15normal_iteratorINSA_10device_ptrIfEEEEPS6_NSA_18transform_iteratorINSB_9not_fun_tI7is_trueIfEEENSC_INSD_IbEEEENSA_11use_defaultESO_EENS0_5tupleIJSF_S6_EEENSQ_IJSG_SG_EEES6_PlJS6_EEE10hipError_tPvRmT3_T4_T5_T6_T7_T9_mT8_P12ihipStream_tbDpT10_ENKUlT_T0_E_clISt17integral_constantIbLb0EES1D_EEDaS18_S19_EUlS18_E_NS1_11comp_targetILNS1_3genE2ELNS1_11target_archE906ELNS1_3gpuE6ELNS1_3repE0EEENS1_30default_config_static_selectorELNS0_4arch9wavefront6targetE0EEEvT1_,"axG",@progbits,_ZN7rocprim17ROCPRIM_400000_NS6detail17trampoline_kernelINS0_14default_configENS1_25partition_config_selectorILNS1_17partition_subalgoE5EfNS0_10empty_typeEbEEZZNS1_14partition_implILS5_5ELb0ES3_mN6thrust23THRUST_200600_302600_NS6detail15normal_iteratorINSA_10device_ptrIfEEEEPS6_NSA_18transform_iteratorINSB_9not_fun_tI7is_trueIfEEENSC_INSD_IbEEEENSA_11use_defaultESO_EENS0_5tupleIJSF_S6_EEENSQ_IJSG_SG_EEES6_PlJS6_EEE10hipError_tPvRmT3_T4_T5_T6_T7_T9_mT8_P12ihipStream_tbDpT10_ENKUlT_T0_E_clISt17integral_constantIbLb0EES1D_EEDaS18_S19_EUlS18_E_NS1_11comp_targetILNS1_3genE2ELNS1_11target_archE906ELNS1_3gpuE6ELNS1_3repE0EEENS1_30default_config_static_selectorELNS0_4arch9wavefront6targetE0EEEvT1_,comdat
.Lfunc_end2369:
	.size	_ZN7rocprim17ROCPRIM_400000_NS6detail17trampoline_kernelINS0_14default_configENS1_25partition_config_selectorILNS1_17partition_subalgoE5EfNS0_10empty_typeEbEEZZNS1_14partition_implILS5_5ELb0ES3_mN6thrust23THRUST_200600_302600_NS6detail15normal_iteratorINSA_10device_ptrIfEEEEPS6_NSA_18transform_iteratorINSB_9not_fun_tI7is_trueIfEEENSC_INSD_IbEEEENSA_11use_defaultESO_EENS0_5tupleIJSF_S6_EEENSQ_IJSG_SG_EEES6_PlJS6_EEE10hipError_tPvRmT3_T4_T5_T6_T7_T9_mT8_P12ihipStream_tbDpT10_ENKUlT_T0_E_clISt17integral_constantIbLb0EES1D_EEDaS18_S19_EUlS18_E_NS1_11comp_targetILNS1_3genE2ELNS1_11target_archE906ELNS1_3gpuE6ELNS1_3repE0EEENS1_30default_config_static_selectorELNS0_4arch9wavefront6targetE0EEEvT1_, .Lfunc_end2369-_ZN7rocprim17ROCPRIM_400000_NS6detail17trampoline_kernelINS0_14default_configENS1_25partition_config_selectorILNS1_17partition_subalgoE5EfNS0_10empty_typeEbEEZZNS1_14partition_implILS5_5ELb0ES3_mN6thrust23THRUST_200600_302600_NS6detail15normal_iteratorINSA_10device_ptrIfEEEEPS6_NSA_18transform_iteratorINSB_9not_fun_tI7is_trueIfEEENSC_INSD_IbEEEENSA_11use_defaultESO_EENS0_5tupleIJSF_S6_EEENSQ_IJSG_SG_EEES6_PlJS6_EEE10hipError_tPvRmT3_T4_T5_T6_T7_T9_mT8_P12ihipStream_tbDpT10_ENKUlT_T0_E_clISt17integral_constantIbLb0EES1D_EEDaS18_S19_EUlS18_E_NS1_11comp_targetILNS1_3genE2ELNS1_11target_archE906ELNS1_3gpuE6ELNS1_3repE0EEENS1_30default_config_static_selectorELNS0_4arch9wavefront6targetE0EEEvT1_
                                        ; -- End function
	.set _ZN7rocprim17ROCPRIM_400000_NS6detail17trampoline_kernelINS0_14default_configENS1_25partition_config_selectorILNS1_17partition_subalgoE5EfNS0_10empty_typeEbEEZZNS1_14partition_implILS5_5ELb0ES3_mN6thrust23THRUST_200600_302600_NS6detail15normal_iteratorINSA_10device_ptrIfEEEEPS6_NSA_18transform_iteratorINSB_9not_fun_tI7is_trueIfEEENSC_INSD_IbEEEENSA_11use_defaultESO_EENS0_5tupleIJSF_S6_EEENSQ_IJSG_SG_EEES6_PlJS6_EEE10hipError_tPvRmT3_T4_T5_T6_T7_T9_mT8_P12ihipStream_tbDpT10_ENKUlT_T0_E_clISt17integral_constantIbLb0EES1D_EEDaS18_S19_EUlS18_E_NS1_11comp_targetILNS1_3genE2ELNS1_11target_archE906ELNS1_3gpuE6ELNS1_3repE0EEENS1_30default_config_static_selectorELNS0_4arch9wavefront6targetE0EEEvT1_.num_vgpr, 0
	.set _ZN7rocprim17ROCPRIM_400000_NS6detail17trampoline_kernelINS0_14default_configENS1_25partition_config_selectorILNS1_17partition_subalgoE5EfNS0_10empty_typeEbEEZZNS1_14partition_implILS5_5ELb0ES3_mN6thrust23THRUST_200600_302600_NS6detail15normal_iteratorINSA_10device_ptrIfEEEEPS6_NSA_18transform_iteratorINSB_9not_fun_tI7is_trueIfEEENSC_INSD_IbEEEENSA_11use_defaultESO_EENS0_5tupleIJSF_S6_EEENSQ_IJSG_SG_EEES6_PlJS6_EEE10hipError_tPvRmT3_T4_T5_T6_T7_T9_mT8_P12ihipStream_tbDpT10_ENKUlT_T0_E_clISt17integral_constantIbLb0EES1D_EEDaS18_S19_EUlS18_E_NS1_11comp_targetILNS1_3genE2ELNS1_11target_archE906ELNS1_3gpuE6ELNS1_3repE0EEENS1_30default_config_static_selectorELNS0_4arch9wavefront6targetE0EEEvT1_.num_agpr, 0
	.set _ZN7rocprim17ROCPRIM_400000_NS6detail17trampoline_kernelINS0_14default_configENS1_25partition_config_selectorILNS1_17partition_subalgoE5EfNS0_10empty_typeEbEEZZNS1_14partition_implILS5_5ELb0ES3_mN6thrust23THRUST_200600_302600_NS6detail15normal_iteratorINSA_10device_ptrIfEEEEPS6_NSA_18transform_iteratorINSB_9not_fun_tI7is_trueIfEEENSC_INSD_IbEEEENSA_11use_defaultESO_EENS0_5tupleIJSF_S6_EEENSQ_IJSG_SG_EEES6_PlJS6_EEE10hipError_tPvRmT3_T4_T5_T6_T7_T9_mT8_P12ihipStream_tbDpT10_ENKUlT_T0_E_clISt17integral_constantIbLb0EES1D_EEDaS18_S19_EUlS18_E_NS1_11comp_targetILNS1_3genE2ELNS1_11target_archE906ELNS1_3gpuE6ELNS1_3repE0EEENS1_30default_config_static_selectorELNS0_4arch9wavefront6targetE0EEEvT1_.numbered_sgpr, 0
	.set _ZN7rocprim17ROCPRIM_400000_NS6detail17trampoline_kernelINS0_14default_configENS1_25partition_config_selectorILNS1_17partition_subalgoE5EfNS0_10empty_typeEbEEZZNS1_14partition_implILS5_5ELb0ES3_mN6thrust23THRUST_200600_302600_NS6detail15normal_iteratorINSA_10device_ptrIfEEEEPS6_NSA_18transform_iteratorINSB_9not_fun_tI7is_trueIfEEENSC_INSD_IbEEEENSA_11use_defaultESO_EENS0_5tupleIJSF_S6_EEENSQ_IJSG_SG_EEES6_PlJS6_EEE10hipError_tPvRmT3_T4_T5_T6_T7_T9_mT8_P12ihipStream_tbDpT10_ENKUlT_T0_E_clISt17integral_constantIbLb0EES1D_EEDaS18_S19_EUlS18_E_NS1_11comp_targetILNS1_3genE2ELNS1_11target_archE906ELNS1_3gpuE6ELNS1_3repE0EEENS1_30default_config_static_selectorELNS0_4arch9wavefront6targetE0EEEvT1_.num_named_barrier, 0
	.set _ZN7rocprim17ROCPRIM_400000_NS6detail17trampoline_kernelINS0_14default_configENS1_25partition_config_selectorILNS1_17partition_subalgoE5EfNS0_10empty_typeEbEEZZNS1_14partition_implILS5_5ELb0ES3_mN6thrust23THRUST_200600_302600_NS6detail15normal_iteratorINSA_10device_ptrIfEEEEPS6_NSA_18transform_iteratorINSB_9not_fun_tI7is_trueIfEEENSC_INSD_IbEEEENSA_11use_defaultESO_EENS0_5tupleIJSF_S6_EEENSQ_IJSG_SG_EEES6_PlJS6_EEE10hipError_tPvRmT3_T4_T5_T6_T7_T9_mT8_P12ihipStream_tbDpT10_ENKUlT_T0_E_clISt17integral_constantIbLb0EES1D_EEDaS18_S19_EUlS18_E_NS1_11comp_targetILNS1_3genE2ELNS1_11target_archE906ELNS1_3gpuE6ELNS1_3repE0EEENS1_30default_config_static_selectorELNS0_4arch9wavefront6targetE0EEEvT1_.private_seg_size, 0
	.set _ZN7rocprim17ROCPRIM_400000_NS6detail17trampoline_kernelINS0_14default_configENS1_25partition_config_selectorILNS1_17partition_subalgoE5EfNS0_10empty_typeEbEEZZNS1_14partition_implILS5_5ELb0ES3_mN6thrust23THRUST_200600_302600_NS6detail15normal_iteratorINSA_10device_ptrIfEEEEPS6_NSA_18transform_iteratorINSB_9not_fun_tI7is_trueIfEEENSC_INSD_IbEEEENSA_11use_defaultESO_EENS0_5tupleIJSF_S6_EEENSQ_IJSG_SG_EEES6_PlJS6_EEE10hipError_tPvRmT3_T4_T5_T6_T7_T9_mT8_P12ihipStream_tbDpT10_ENKUlT_T0_E_clISt17integral_constantIbLb0EES1D_EEDaS18_S19_EUlS18_E_NS1_11comp_targetILNS1_3genE2ELNS1_11target_archE906ELNS1_3gpuE6ELNS1_3repE0EEENS1_30default_config_static_selectorELNS0_4arch9wavefront6targetE0EEEvT1_.uses_vcc, 0
	.set _ZN7rocprim17ROCPRIM_400000_NS6detail17trampoline_kernelINS0_14default_configENS1_25partition_config_selectorILNS1_17partition_subalgoE5EfNS0_10empty_typeEbEEZZNS1_14partition_implILS5_5ELb0ES3_mN6thrust23THRUST_200600_302600_NS6detail15normal_iteratorINSA_10device_ptrIfEEEEPS6_NSA_18transform_iteratorINSB_9not_fun_tI7is_trueIfEEENSC_INSD_IbEEEENSA_11use_defaultESO_EENS0_5tupleIJSF_S6_EEENSQ_IJSG_SG_EEES6_PlJS6_EEE10hipError_tPvRmT3_T4_T5_T6_T7_T9_mT8_P12ihipStream_tbDpT10_ENKUlT_T0_E_clISt17integral_constantIbLb0EES1D_EEDaS18_S19_EUlS18_E_NS1_11comp_targetILNS1_3genE2ELNS1_11target_archE906ELNS1_3gpuE6ELNS1_3repE0EEENS1_30default_config_static_selectorELNS0_4arch9wavefront6targetE0EEEvT1_.uses_flat_scratch, 0
	.set _ZN7rocprim17ROCPRIM_400000_NS6detail17trampoline_kernelINS0_14default_configENS1_25partition_config_selectorILNS1_17partition_subalgoE5EfNS0_10empty_typeEbEEZZNS1_14partition_implILS5_5ELb0ES3_mN6thrust23THRUST_200600_302600_NS6detail15normal_iteratorINSA_10device_ptrIfEEEEPS6_NSA_18transform_iteratorINSB_9not_fun_tI7is_trueIfEEENSC_INSD_IbEEEENSA_11use_defaultESO_EENS0_5tupleIJSF_S6_EEENSQ_IJSG_SG_EEES6_PlJS6_EEE10hipError_tPvRmT3_T4_T5_T6_T7_T9_mT8_P12ihipStream_tbDpT10_ENKUlT_T0_E_clISt17integral_constantIbLb0EES1D_EEDaS18_S19_EUlS18_E_NS1_11comp_targetILNS1_3genE2ELNS1_11target_archE906ELNS1_3gpuE6ELNS1_3repE0EEENS1_30default_config_static_selectorELNS0_4arch9wavefront6targetE0EEEvT1_.has_dyn_sized_stack, 0
	.set _ZN7rocprim17ROCPRIM_400000_NS6detail17trampoline_kernelINS0_14default_configENS1_25partition_config_selectorILNS1_17partition_subalgoE5EfNS0_10empty_typeEbEEZZNS1_14partition_implILS5_5ELb0ES3_mN6thrust23THRUST_200600_302600_NS6detail15normal_iteratorINSA_10device_ptrIfEEEEPS6_NSA_18transform_iteratorINSB_9not_fun_tI7is_trueIfEEENSC_INSD_IbEEEENSA_11use_defaultESO_EENS0_5tupleIJSF_S6_EEENSQ_IJSG_SG_EEES6_PlJS6_EEE10hipError_tPvRmT3_T4_T5_T6_T7_T9_mT8_P12ihipStream_tbDpT10_ENKUlT_T0_E_clISt17integral_constantIbLb0EES1D_EEDaS18_S19_EUlS18_E_NS1_11comp_targetILNS1_3genE2ELNS1_11target_archE906ELNS1_3gpuE6ELNS1_3repE0EEENS1_30default_config_static_selectorELNS0_4arch9wavefront6targetE0EEEvT1_.has_recursion, 0
	.set _ZN7rocprim17ROCPRIM_400000_NS6detail17trampoline_kernelINS0_14default_configENS1_25partition_config_selectorILNS1_17partition_subalgoE5EfNS0_10empty_typeEbEEZZNS1_14partition_implILS5_5ELb0ES3_mN6thrust23THRUST_200600_302600_NS6detail15normal_iteratorINSA_10device_ptrIfEEEEPS6_NSA_18transform_iteratorINSB_9not_fun_tI7is_trueIfEEENSC_INSD_IbEEEENSA_11use_defaultESO_EENS0_5tupleIJSF_S6_EEENSQ_IJSG_SG_EEES6_PlJS6_EEE10hipError_tPvRmT3_T4_T5_T6_T7_T9_mT8_P12ihipStream_tbDpT10_ENKUlT_T0_E_clISt17integral_constantIbLb0EES1D_EEDaS18_S19_EUlS18_E_NS1_11comp_targetILNS1_3genE2ELNS1_11target_archE906ELNS1_3gpuE6ELNS1_3repE0EEENS1_30default_config_static_selectorELNS0_4arch9wavefront6targetE0EEEvT1_.has_indirect_call, 0
	.section	.AMDGPU.csdata,"",@progbits
; Kernel info:
; codeLenInByte = 0
; TotalNumSgprs: 0
; NumVgprs: 0
; ScratchSize: 0
; MemoryBound: 0
; FloatMode: 240
; IeeeMode: 1
; LDSByteSize: 0 bytes/workgroup (compile time only)
; SGPRBlocks: 0
; VGPRBlocks: 0
; NumSGPRsForWavesPerEU: 1
; NumVGPRsForWavesPerEU: 1
; Occupancy: 16
; WaveLimiterHint : 0
; COMPUTE_PGM_RSRC2:SCRATCH_EN: 0
; COMPUTE_PGM_RSRC2:USER_SGPR: 2
; COMPUTE_PGM_RSRC2:TRAP_HANDLER: 0
; COMPUTE_PGM_RSRC2:TGID_X_EN: 1
; COMPUTE_PGM_RSRC2:TGID_Y_EN: 0
; COMPUTE_PGM_RSRC2:TGID_Z_EN: 0
; COMPUTE_PGM_RSRC2:TIDIG_COMP_CNT: 0
	.section	.text._ZN7rocprim17ROCPRIM_400000_NS6detail17trampoline_kernelINS0_14default_configENS1_25partition_config_selectorILNS1_17partition_subalgoE5EfNS0_10empty_typeEbEEZZNS1_14partition_implILS5_5ELb0ES3_mN6thrust23THRUST_200600_302600_NS6detail15normal_iteratorINSA_10device_ptrIfEEEEPS6_NSA_18transform_iteratorINSB_9not_fun_tI7is_trueIfEEENSC_INSD_IbEEEENSA_11use_defaultESO_EENS0_5tupleIJSF_S6_EEENSQ_IJSG_SG_EEES6_PlJS6_EEE10hipError_tPvRmT3_T4_T5_T6_T7_T9_mT8_P12ihipStream_tbDpT10_ENKUlT_T0_E_clISt17integral_constantIbLb0EES1D_EEDaS18_S19_EUlS18_E_NS1_11comp_targetILNS1_3genE10ELNS1_11target_archE1200ELNS1_3gpuE4ELNS1_3repE0EEENS1_30default_config_static_selectorELNS0_4arch9wavefront6targetE0EEEvT1_,"axG",@progbits,_ZN7rocprim17ROCPRIM_400000_NS6detail17trampoline_kernelINS0_14default_configENS1_25partition_config_selectorILNS1_17partition_subalgoE5EfNS0_10empty_typeEbEEZZNS1_14partition_implILS5_5ELb0ES3_mN6thrust23THRUST_200600_302600_NS6detail15normal_iteratorINSA_10device_ptrIfEEEEPS6_NSA_18transform_iteratorINSB_9not_fun_tI7is_trueIfEEENSC_INSD_IbEEEENSA_11use_defaultESO_EENS0_5tupleIJSF_S6_EEENSQ_IJSG_SG_EEES6_PlJS6_EEE10hipError_tPvRmT3_T4_T5_T6_T7_T9_mT8_P12ihipStream_tbDpT10_ENKUlT_T0_E_clISt17integral_constantIbLb0EES1D_EEDaS18_S19_EUlS18_E_NS1_11comp_targetILNS1_3genE10ELNS1_11target_archE1200ELNS1_3gpuE4ELNS1_3repE0EEENS1_30default_config_static_selectorELNS0_4arch9wavefront6targetE0EEEvT1_,comdat
	.protected	_ZN7rocprim17ROCPRIM_400000_NS6detail17trampoline_kernelINS0_14default_configENS1_25partition_config_selectorILNS1_17partition_subalgoE5EfNS0_10empty_typeEbEEZZNS1_14partition_implILS5_5ELb0ES3_mN6thrust23THRUST_200600_302600_NS6detail15normal_iteratorINSA_10device_ptrIfEEEEPS6_NSA_18transform_iteratorINSB_9not_fun_tI7is_trueIfEEENSC_INSD_IbEEEENSA_11use_defaultESO_EENS0_5tupleIJSF_S6_EEENSQ_IJSG_SG_EEES6_PlJS6_EEE10hipError_tPvRmT3_T4_T5_T6_T7_T9_mT8_P12ihipStream_tbDpT10_ENKUlT_T0_E_clISt17integral_constantIbLb0EES1D_EEDaS18_S19_EUlS18_E_NS1_11comp_targetILNS1_3genE10ELNS1_11target_archE1200ELNS1_3gpuE4ELNS1_3repE0EEENS1_30default_config_static_selectorELNS0_4arch9wavefront6targetE0EEEvT1_ ; -- Begin function _ZN7rocprim17ROCPRIM_400000_NS6detail17trampoline_kernelINS0_14default_configENS1_25partition_config_selectorILNS1_17partition_subalgoE5EfNS0_10empty_typeEbEEZZNS1_14partition_implILS5_5ELb0ES3_mN6thrust23THRUST_200600_302600_NS6detail15normal_iteratorINSA_10device_ptrIfEEEEPS6_NSA_18transform_iteratorINSB_9not_fun_tI7is_trueIfEEENSC_INSD_IbEEEENSA_11use_defaultESO_EENS0_5tupleIJSF_S6_EEENSQ_IJSG_SG_EEES6_PlJS6_EEE10hipError_tPvRmT3_T4_T5_T6_T7_T9_mT8_P12ihipStream_tbDpT10_ENKUlT_T0_E_clISt17integral_constantIbLb0EES1D_EEDaS18_S19_EUlS18_E_NS1_11comp_targetILNS1_3genE10ELNS1_11target_archE1200ELNS1_3gpuE4ELNS1_3repE0EEENS1_30default_config_static_selectorELNS0_4arch9wavefront6targetE0EEEvT1_
	.globl	_ZN7rocprim17ROCPRIM_400000_NS6detail17trampoline_kernelINS0_14default_configENS1_25partition_config_selectorILNS1_17partition_subalgoE5EfNS0_10empty_typeEbEEZZNS1_14partition_implILS5_5ELb0ES3_mN6thrust23THRUST_200600_302600_NS6detail15normal_iteratorINSA_10device_ptrIfEEEEPS6_NSA_18transform_iteratorINSB_9not_fun_tI7is_trueIfEEENSC_INSD_IbEEEENSA_11use_defaultESO_EENS0_5tupleIJSF_S6_EEENSQ_IJSG_SG_EEES6_PlJS6_EEE10hipError_tPvRmT3_T4_T5_T6_T7_T9_mT8_P12ihipStream_tbDpT10_ENKUlT_T0_E_clISt17integral_constantIbLb0EES1D_EEDaS18_S19_EUlS18_E_NS1_11comp_targetILNS1_3genE10ELNS1_11target_archE1200ELNS1_3gpuE4ELNS1_3repE0EEENS1_30default_config_static_selectorELNS0_4arch9wavefront6targetE0EEEvT1_
	.p2align	8
	.type	_ZN7rocprim17ROCPRIM_400000_NS6detail17trampoline_kernelINS0_14default_configENS1_25partition_config_selectorILNS1_17partition_subalgoE5EfNS0_10empty_typeEbEEZZNS1_14partition_implILS5_5ELb0ES3_mN6thrust23THRUST_200600_302600_NS6detail15normal_iteratorINSA_10device_ptrIfEEEEPS6_NSA_18transform_iteratorINSB_9not_fun_tI7is_trueIfEEENSC_INSD_IbEEEENSA_11use_defaultESO_EENS0_5tupleIJSF_S6_EEENSQ_IJSG_SG_EEES6_PlJS6_EEE10hipError_tPvRmT3_T4_T5_T6_T7_T9_mT8_P12ihipStream_tbDpT10_ENKUlT_T0_E_clISt17integral_constantIbLb0EES1D_EEDaS18_S19_EUlS18_E_NS1_11comp_targetILNS1_3genE10ELNS1_11target_archE1200ELNS1_3gpuE4ELNS1_3repE0EEENS1_30default_config_static_selectorELNS0_4arch9wavefront6targetE0EEEvT1_,@function
_ZN7rocprim17ROCPRIM_400000_NS6detail17trampoline_kernelINS0_14default_configENS1_25partition_config_selectorILNS1_17partition_subalgoE5EfNS0_10empty_typeEbEEZZNS1_14partition_implILS5_5ELb0ES3_mN6thrust23THRUST_200600_302600_NS6detail15normal_iteratorINSA_10device_ptrIfEEEEPS6_NSA_18transform_iteratorINSB_9not_fun_tI7is_trueIfEEENSC_INSD_IbEEEENSA_11use_defaultESO_EENS0_5tupleIJSF_S6_EEENSQ_IJSG_SG_EEES6_PlJS6_EEE10hipError_tPvRmT3_T4_T5_T6_T7_T9_mT8_P12ihipStream_tbDpT10_ENKUlT_T0_E_clISt17integral_constantIbLb0EES1D_EEDaS18_S19_EUlS18_E_NS1_11comp_targetILNS1_3genE10ELNS1_11target_archE1200ELNS1_3gpuE4ELNS1_3repE0EEENS1_30default_config_static_selectorELNS0_4arch9wavefront6targetE0EEEvT1_: ; @_ZN7rocprim17ROCPRIM_400000_NS6detail17trampoline_kernelINS0_14default_configENS1_25partition_config_selectorILNS1_17partition_subalgoE5EfNS0_10empty_typeEbEEZZNS1_14partition_implILS5_5ELb0ES3_mN6thrust23THRUST_200600_302600_NS6detail15normal_iteratorINSA_10device_ptrIfEEEEPS6_NSA_18transform_iteratorINSB_9not_fun_tI7is_trueIfEEENSC_INSD_IbEEEENSA_11use_defaultESO_EENS0_5tupleIJSF_S6_EEENSQ_IJSG_SG_EEES6_PlJS6_EEE10hipError_tPvRmT3_T4_T5_T6_T7_T9_mT8_P12ihipStream_tbDpT10_ENKUlT_T0_E_clISt17integral_constantIbLb0EES1D_EEDaS18_S19_EUlS18_E_NS1_11comp_targetILNS1_3genE10ELNS1_11target_archE1200ELNS1_3gpuE4ELNS1_3repE0EEENS1_30default_config_static_selectorELNS0_4arch9wavefront6targetE0EEEvT1_
; %bb.0:
	s_clause 0x3
	s_load_b128 s[4:7], s[0:1], 0x8
	s_load_b128 s[8:11], s[0:1], 0x48
	s_load_b32 s16, s[0:1], 0x70
	s_load_b64 s[2:3], s[0:1], 0x58
	s_mov_b32 s13, 0
	s_mul_i32 s19, ttmp9, 0xa80
	v_lshlrev_b32_e32 v8, 2, v0
	s_wait_kmcnt 0x0
	s_lshl_b64 s[14:15], s[6:7], 2
	s_load_b64 s[10:11], s[10:11], 0x0
	s_mul_i32 s12, s16, 0xa80
	s_add_co_i32 s20, s16, -1
	s_add_co_i32 s18, s12, s6
	s_add_nc_u64 s[16:17], s[6:7], s[12:13]
	s_sub_co_i32 s18, s2, s18
	v_cmp_le_u64_e64 s2, s[2:3], s[16:17]
	s_addk_co_i32 s18, 0xa80
	s_cmp_eq_u32 ttmp9, s20
	s_mov_b32 s12, s19
	s_cselect_b32 s16, -1, 0
	s_add_nc_u64 s[4:5], s[4:5], s[14:15]
	s_wait_alu 0xfffe
	s_and_b32 s2, s16, s2
	s_lshl_b64 s[14:15], s[12:13], 2
	s_wait_alu 0xfffe
	s_xor_b32 s17, s2, -1
	s_mov_b32 s3, -1
	s_wait_alu 0xfffe
	s_and_b32 vcc_lo, exec_lo, s17
	s_add_nc_u64 s[4:5], s[4:5], s[14:15]
	s_cbranch_vccz .LBB2370_2
; %bb.1:
	v_add_co_u32 v1, s2, s4, v8
	s_wait_alu 0xf1ff
	v_add_co_ci_u32_e64 v2, null, s5, 0, s2
	s_mov_b32 s3, s13
	s_clause 0x6
	flat_load_b32 v3, v[1:2]
	flat_load_b32 v4, v[1:2] offset:1536
	flat_load_b32 v5, v[1:2] offset:3072
	;; [unrolled: 1-line block ×6, first 2 shown]
	s_wait_loadcnt_dscnt 0x505
	ds_store_2addr_stride64_b32 v8, v3, v4 offset1:6
	s_wait_loadcnt_dscnt 0x304
	ds_store_2addr_stride64_b32 v8, v5, v6 offset0:12 offset1:18
	s_wait_loadcnt_dscnt 0x103
	ds_store_2addr_stride64_b32 v8, v7, v9 offset0:24 offset1:30
	s_wait_loadcnt_dscnt 0x3
	ds_store_b32 v8, v1 offset:9216
	s_wait_dscnt 0x0
	s_barrier_signal -1
	s_barrier_wait -1
.LBB2370_2:
	s_load_b64 s[14:15], s[0:1], 0x20
	v_cmp_gt_u32_e64 s2, s18, v0
	s_and_not1_b32 vcc_lo, exec_lo, s3
	s_cbranch_vccnz .LBB2370_18
; %bb.3:
	v_mov_b32_e32 v1, 0
	s_delay_alu instid0(VALU_DEP_1)
	v_dual_mov_b32 v2, v1 :: v_dual_mov_b32 v3, v1
	v_dual_mov_b32 v4, v1 :: v_dual_mov_b32 v5, v1
	;; [unrolled: 1-line block ×3, first 2 shown]
	s_and_saveexec_b32 s3, s2
	s_cbranch_execz .LBB2370_5
; %bb.4:
	v_add_co_u32 v2, s2, s4, v8
	s_wait_alu 0xf1ff
	v_add_co_ci_u32_e64 v3, null, s5, 0, s2
	v_dual_mov_b32 v10, v1 :: v_dual_mov_b32 v11, v1
	v_dual_mov_b32 v12, v1 :: v_dual_mov_b32 v13, v1
	flat_load_b32 v9, v[2:3]
	v_dual_mov_b32 v14, v1 :: v_dual_mov_b32 v15, v1
	s_wait_loadcnt_dscnt 0x0
	v_dual_mov_b32 v1, v9 :: v_dual_mov_b32 v2, v10
	v_dual_mov_b32 v3, v11 :: v_dual_mov_b32 v4, v12
	s_delay_alu instid0(VALU_DEP_3)
	v_dual_mov_b32 v5, v13 :: v_dual_mov_b32 v6, v14
	v_mov_b32_e32 v7, v15
.LBB2370_5:
	s_wait_alu 0xfffe
	s_or_b32 exec_lo, exec_lo, s3
	v_add_nc_u32_e32 v9, 0x180, v0
	s_mov_b32 s2, exec_lo
	s_delay_alu instid0(VALU_DEP_1)
	v_cmpx_gt_u32_e64 s18, v9
	s_cbranch_execz .LBB2370_7
; %bb.6:
	v_add_co_u32 v9, s3, s4, v8
	s_wait_alu 0xf1ff
	v_add_co_ci_u32_e64 v10, null, s5, 0, s3
	flat_load_b32 v2, v[9:10] offset:1536
.LBB2370_7:
	s_wait_alu 0xfffe
	s_or_b32 exec_lo, exec_lo, s2
	v_add_nc_u32_e32 v9, 0x300, v0
	s_mov_b32 s2, exec_lo
	s_delay_alu instid0(VALU_DEP_1)
	v_cmpx_gt_u32_e64 s18, v9
	s_cbranch_execz .LBB2370_9
; %bb.8:
	v_add_co_u32 v9, s3, s4, v8
	s_wait_alu 0xf1ff
	v_add_co_ci_u32_e64 v10, null, s5, 0, s3
	flat_load_b32 v3, v[9:10] offset:3072
.LBB2370_9:
	;; [unrolled: 13-line block ×3, first 2 shown]
	s_wait_alu 0xfffe
	s_or_b32 exec_lo, exec_lo, s2
	v_or_b32_e32 v9, 0x600, v0
	s_mov_b32 s2, exec_lo
	s_delay_alu instid0(VALU_DEP_1)
	v_cmpx_gt_u32_e64 s18, v9
	s_cbranch_execz .LBB2370_13
; %bb.12:
	v_add_co_u32 v9, s3, s4, v8
	s_wait_alu 0xf1ff
	v_add_co_ci_u32_e64 v10, null, s5, 0, s3
	flat_load_b32 v5, v[9:10] offset:6144
.LBB2370_13:
	s_wait_alu 0xfffe
	s_or_b32 exec_lo, exec_lo, s2
	v_add_nc_u32_e32 v9, 0x780, v0
	s_mov_b32 s2, exec_lo
	s_delay_alu instid0(VALU_DEP_1)
	v_cmpx_gt_u32_e64 s18, v9
	s_cbranch_execz .LBB2370_15
; %bb.14:
	v_add_co_u32 v9, s3, s4, v8
	s_wait_alu 0xf1ff
	v_add_co_ci_u32_e64 v10, null, s5, 0, s3
	flat_load_b32 v6, v[9:10] offset:7680
.LBB2370_15:
	s_wait_alu 0xfffe
	s_or_b32 exec_lo, exec_lo, s2
	v_add_nc_u32_e32 v9, 0x900, v0
	s_mov_b32 s2, exec_lo
	s_delay_alu instid0(VALU_DEP_1)
	v_cmpx_gt_u32_e64 s18, v9
	s_cbranch_execz .LBB2370_17
; %bb.16:
	v_add_co_u32 v9, s3, s4, v8
	s_wait_alu 0xf1ff
	v_add_co_ci_u32_e64 v10, null, s5, 0, s3
	flat_load_b32 v7, v[9:10] offset:9216
.LBB2370_17:
	s_wait_alu 0xfffe
	s_or_b32 exec_lo, exec_lo, s2
	s_wait_loadcnt_dscnt 0x0
	ds_store_2addr_stride64_b32 v8, v1, v2 offset1:6
	ds_store_2addr_stride64_b32 v8, v3, v4 offset0:12 offset1:18
	ds_store_2addr_stride64_b32 v8, v5, v6 offset0:24 offset1:30
	ds_store_b32 v8, v7 offset:9216
	s_wait_dscnt 0x0
	s_barrier_signal -1
	s_barrier_wait -1
.LBB2370_18:
	v_mul_u32_u24_e32 v1, 7, v0
	global_inv scope:SCOPE_SE
	s_wait_kmcnt 0x0
	s_add_nc_u64 s[2:3], s[14:15], s[6:7]
	s_and_b32 vcc_lo, exec_lo, s17
	s_wait_alu 0xfffe
	s_add_nc_u64 s[12:13], s[2:3], s[12:13]
	v_lshlrev_b32_e32 v1, 2, v1
	s_mov_b32 s14, -1
	ds_load_2addr_b32 v[13:14], v1 offset1:1
	ds_load_2addr_b32 v[11:12], v1 offset0:2 offset1:3
	ds_load_2addr_b32 v[9:10], v1 offset0:4 offset1:5
	ds_load_b32 v29, v1 offset:24
	s_wait_loadcnt_dscnt 0x0
	s_barrier_signal -1
	s_barrier_wait -1
	global_inv scope:SCOPE_SE
	s_cbranch_vccz .LBB2370_20
; %bb.19:
	s_clause 0x6
	global_load_u8 v2, v0, s[12:13]
	global_load_u8 v3, v0, s[12:13] offset:384
	global_load_u8 v4, v0, s[12:13] offset:768
	;; [unrolled: 1-line block ×6, first 2 shown]
	s_mov_b32 s14, 0
	s_wait_loadcnt 0x6
	v_and_b32_e32 v2, 1, v2
	s_wait_loadcnt 0x5
	v_and_b32_e32 v3, 1, v3
	;; [unrolled: 2-line block ×6, first 2 shown]
	v_cmp_eq_u32_e64 s2, 1, v3
	v_cmp_eq_u32_e64 s3, 1, v4
	v_cmp_eq_u32_e64 s4, 1, v5
	s_wait_loadcnt 0x0
	v_and_b32_e32 v8, 1, v8
	v_cmp_eq_u32_e32 vcc_lo, 1, v2
	s_xor_b32 s2, s2, -1
	v_cmp_eq_u32_e64 s5, 1, v6
	s_wait_alu 0xfffe
	v_cndmask_b32_e64 v3, 0, 1, s2
	s_xor_b32 s2, s3, -1
	v_cmp_eq_u32_e64 s6, 1, v7
	s_wait_alu 0xfffe
	v_cndmask_b32_e64 v4, 0, 1, s2
	s_xor_b32 s2, s4, -1
	v_cmp_eq_u32_e64 s7, 1, v8
	s_xor_b32 s15, vcc_lo, -1
	s_wait_alu 0xfffe
	v_cndmask_b32_e64 v5, 0, 1, s2
	s_xor_b32 s2, s5, -1
	v_cndmask_b32_e64 v2, 0, 1, s15
	s_wait_alu 0xfffe
	v_cndmask_b32_e64 v6, 0, 1, s2
	s_xor_b32 s2, s6, -1
	s_wait_alu 0xfffe
	v_cndmask_b32_e64 v7, 0, 1, s2
	s_xor_b32 s2, s7, -1
	s_wait_alu 0xfffe
	v_cndmask_b32_e64 v8, 0, 1, s2
	ds_store_b8 v0, v2
	ds_store_b8 v0, v3 offset:384
	ds_store_b8 v0, v4 offset:768
	;; [unrolled: 1-line block ×6, first 2 shown]
	s_wait_dscnt 0x0
	s_barrier_signal -1
	s_barrier_wait -1
.LBB2370_20:
	s_and_not1_b32 vcc_lo, exec_lo, s14
	s_cbranch_vccnz .LBB2370_36
; %bb.21:
	v_mov_b32_e32 v4, 0
	s_mov_b32 s3, 0
	s_mov_b32 s2, exec_lo
	s_delay_alu instid0(VALU_DEP_1)
	v_dual_mov_b32 v3, v4 :: v_dual_mov_b32 v2, v4
	v_cmpx_gt_u32_e64 s18, v0
	s_cbranch_execz .LBB2370_23
; %bb.22:
	global_load_u8 v2, v0, s[12:13]
	s_wait_loadcnt 0x0
	s_wait_alu 0xfffe
	v_dual_mov_b32 v3, s3 :: v_dual_and_b32 v2, 1, v2
	s_delay_alu instid0(VALU_DEP_1) | instskip(SKIP_3) | instid1(VALU_DEP_1)
	v_cmp_eq_u32_e32 vcc_lo, 1, v2
	s_xor_b32 s4, vcc_lo, -1
	s_wait_alu 0xfffe
	v_cndmask_b32_e64 v4, 0, 1, s4
	v_mov_b32_e32 v2, v4
.LBB2370_23:
	s_wait_alu 0xfffe
	s_or_b32 exec_lo, exec_lo, s2
	v_add_nc_u32_e32 v5, 0x180, v0
	s_mov_b32 s2, exec_lo
	s_delay_alu instid0(VALU_DEP_1)
	v_cmpx_gt_u32_e64 s18, v5
	s_cbranch_execz .LBB2370_25
; %bb.24:
	global_load_u8 v5, v0, s[12:13] offset:384
	v_lshrrev_b32_e32 v6, 24, v4
	v_lshrrev_b32_e32 v8, 8, v3
	v_and_b32_e32 v15, 0xff, v3
	v_bfe_u32 v3, v3, 16, 8
	s_delay_alu instid0(VALU_DEP_4) | instskip(NEXT) | instid1(VALU_DEP_4)
	v_lshlrev_b16 v6, 8, v6
	v_lshlrev_b16 v8, 8, v8
	s_wait_loadcnt 0x0
	v_and_b32_e32 v5, 1, v5
	s_delay_alu instid0(VALU_DEP_1) | instskip(SKIP_3) | instid1(VALU_DEP_1)
	v_cmp_eq_u32_e32 vcc_lo, 1, v5
	v_and_b32_e32 v5, 0xff, v4
	v_lshrrev_b32_e32 v4, 16, v4
	s_xor_b32 s3, vcc_lo, -1
	v_and_b32_e32 v4, 0xff, v4
	s_wait_alu 0xfffe
	v_cndmask_b32_e64 v7, 0, 1, s3
	s_delay_alu instid0(VALU_DEP_2) | instskip(NEXT) | instid1(VALU_DEP_2)
	v_or_b32_e32 v4, v4, v6
	v_lshlrev_b16 v7, 8, v7
	v_or_b32_e32 v6, v15, v8
	s_delay_alu instid0(VALU_DEP_3) | instskip(NEXT) | instid1(VALU_DEP_3)
	v_lshlrev_b32_e32 v4, 16, v4
	v_or_b32_e32 v5, v5, v7
	s_delay_alu instid0(VALU_DEP_3) | instskip(NEXT) | instid1(VALU_DEP_2)
	v_and_b32_e32 v6, 0xffff, v6
	v_and_b32_e32 v5, 0xffff, v5
	s_delay_alu instid0(VALU_DEP_2) | instskip(NEXT) | instid1(VALU_DEP_2)
	v_lshl_or_b32 v3, v3, 16, v6
	v_or_b32_e32 v4, v5, v4
.LBB2370_25:
	s_wait_alu 0xfffe
	s_or_b32 exec_lo, exec_lo, s2
	v_add_nc_u32_e32 v5, 0x300, v0
	s_mov_b32 s2, exec_lo
	s_delay_alu instid0(VALU_DEP_1)
	v_cmpx_gt_u32_e64 s18, v5
	s_cbranch_execz .LBB2370_27
; %bb.26:
	global_load_u8 v5, v0, s[12:13] offset:768
	v_lshrrev_b32_e32 v6, 8, v3
	v_lshrrev_b32_e32 v7, 24, v4
	v_perm_b32 v4, v4, v4, 0xc0c0104
	s_delay_alu instid0(VALU_DEP_3) | instskip(NEXT) | instid1(VALU_DEP_3)
	v_lshlrev_b16 v6, 8, v6
	v_lshlrev_b16 v7, 8, v7
	s_wait_loadcnt 0x0
	v_and_b32_e32 v5, 1, v5
	s_delay_alu instid0(VALU_DEP_1) | instskip(SKIP_3) | instid1(VALU_DEP_2)
	v_cmp_eq_u32_e32 vcc_lo, 1, v5
	v_and_b32_e32 v5, 0xff, v3
	v_bfe_u32 v3, v3, 16, 8
	s_xor_b32 s3, vcc_lo, -1
	v_or_b32_e32 v5, v5, v6
	s_wait_alu 0xfffe
	v_cndmask_b32_e64 v8, 0, 1, s3
	s_delay_alu instid0(VALU_DEP_2) | instskip(NEXT) | instid1(VALU_DEP_2)
	v_and_b32_e32 v5, 0xffff, v5
	v_or_b32_e32 v6, v8, v7
	s_delay_alu instid0(VALU_DEP_2) | instskip(NEXT) | instid1(VALU_DEP_2)
	v_lshl_or_b32 v3, v3, 16, v5
	v_lshlrev_b32_e32 v6, 16, v6
	s_delay_alu instid0(VALU_DEP_1)
	v_or_b32_e32 v4, v4, v6
.LBB2370_27:
	s_wait_alu 0xfffe
	s_or_b32 exec_lo, exec_lo, s2
	v_add_nc_u32_e32 v5, 0x480, v0
	s_mov_b32 s2, exec_lo
	s_delay_alu instid0(VALU_DEP_1)
	v_cmpx_gt_u32_e64 s18, v5
	s_cbranch_execz .LBB2370_29
; %bb.28:
	global_load_u8 v5, v0, s[12:13] offset:1152
	v_lshrrev_b32_e32 v6, 16, v4
	v_and_b32_e32 v8, 0xff, v3
	v_perm_b32 v4, v4, v4, 0xc0c0104
	s_delay_alu instid0(VALU_DEP_3) | instskip(SKIP_2) | instid1(VALU_DEP_1)
	v_and_b32_e32 v6, 0xff, v6
	s_wait_loadcnt 0x0
	v_and_b32_e32 v5, 1, v5
	v_cmp_eq_u32_e32 vcc_lo, 1, v5
	v_lshrrev_b32_e32 v5, 8, v3
	v_bfe_u32 v3, v3, 16, 8
	s_xor_b32 s3, vcc_lo, -1
	s_delay_alu instid0(VALU_DEP_2) | instskip(SKIP_2) | instid1(VALU_DEP_2)
	v_lshlrev_b16 v5, 8, v5
	s_wait_alu 0xfffe
	v_cndmask_b32_e64 v7, 0, 1, s3
	v_or_b32_e32 v5, v8, v5
	s_delay_alu instid0(VALU_DEP_2) | instskip(NEXT) | instid1(VALU_DEP_2)
	v_lshlrev_b16 v7, 8, v7
	v_and_b32_e32 v5, 0xffff, v5
	s_delay_alu instid0(VALU_DEP_2) | instskip(NEXT) | instid1(VALU_DEP_2)
	v_or_b32_e32 v6, v6, v7
	v_lshl_or_b32 v3, v3, 16, v5
	s_delay_alu instid0(VALU_DEP_2) | instskip(NEXT) | instid1(VALU_DEP_1)
	v_lshlrev_b32_e32 v6, 16, v6
	v_or_b32_e32 v4, v4, v6
.LBB2370_29:
	s_wait_alu 0xfffe
	s_or_b32 exec_lo, exec_lo, s2
	v_or_b32_e32 v5, 0x600, v0
	s_mov_b32 s2, exec_lo
	s_delay_alu instid0(VALU_DEP_1)
	v_cmpx_gt_u32_e64 s18, v5
	s_cbranch_execz .LBB2370_31
; %bb.30:
	global_load_u8 v5, v0, s[12:13] offset:1536
	v_lshrrev_b32_e32 v6, 8, v3
	v_bfe_u32 v3, v3, 16, 8
	v_perm_b32 v4, v4, v4, 0x3020104
	s_wait_loadcnt 0x0
	v_and_b32_e32 v5, 1, v5
	s_delay_alu instid0(VALU_DEP_1) | instskip(SKIP_4) | instid1(VALU_DEP_1)
	v_cmp_eq_u32_e32 vcc_lo, 1, v5
	v_lshlrev_b16 v5, 8, v6
	s_xor_b32 s3, vcc_lo, -1
	s_wait_alu 0xfffe
	v_cndmask_b32_e64 v6, 0, 1, s3
	v_or_b32_e32 v5, v6, v5
	s_delay_alu instid0(VALU_DEP_1) | instskip(NEXT) | instid1(VALU_DEP_1)
	v_and_b32_e32 v5, 0xffff, v5
	v_lshl_or_b32 v3, v3, 16, v5
.LBB2370_31:
	s_wait_alu 0xfffe
	s_or_b32 exec_lo, exec_lo, s2
	v_add_nc_u32_e32 v5, 0x780, v0
	s_mov_b32 s2, exec_lo
	s_delay_alu instid0(VALU_DEP_1)
	v_cmpx_gt_u32_e64 s18, v5
	s_cbranch_execz .LBB2370_33
; %bb.32:
	global_load_u8 v5, v0, s[12:13] offset:1920
	v_and_b32_e32 v6, 0xff, v3
	v_bfe_u32 v3, v3, 16, 8
	v_perm_b32 v4, v4, v4, 0x3020104
	s_wait_loadcnt 0x0
	v_and_b32_e32 v5, 1, v5
	s_delay_alu instid0(VALU_DEP_1) | instskip(SKIP_3) | instid1(VALU_DEP_1)
	v_cmp_eq_u32_e32 vcc_lo, 1, v5
	s_xor_b32 s3, vcc_lo, -1
	s_wait_alu 0xfffe
	v_cndmask_b32_e64 v5, 0, 1, s3
	v_lshlrev_b16 v5, 8, v5
	s_delay_alu instid0(VALU_DEP_1) | instskip(NEXT) | instid1(VALU_DEP_1)
	v_or_b32_e32 v5, v6, v5
	v_and_b32_e32 v5, 0xffff, v5
	s_delay_alu instid0(VALU_DEP_1)
	v_lshl_or_b32 v3, v3, 16, v5
.LBB2370_33:
	s_wait_alu 0xfffe
	s_or_b32 exec_lo, exec_lo, s2
	v_add_nc_u32_e32 v5, 0x900, v0
	s_mov_b32 s2, exec_lo
	s_delay_alu instid0(VALU_DEP_1)
	v_cmpx_gt_u32_e64 s18, v5
	s_cbranch_execz .LBB2370_35
; %bb.34:
	global_load_u8 v5, v0, s[12:13] offset:2304
	v_lshrrev_b32_e32 v6, 8, v3
	v_and_b32_e32 v3, 0xff, v3
	v_perm_b32 v4, v4, v4, 0x3020104
	s_delay_alu instid0(VALU_DEP_3) | instskip(NEXT) | instid1(VALU_DEP_1)
	v_lshlrev_b16 v6, 8, v6
	v_or_b32_e32 v3, v3, v6
	s_delay_alu instid0(VALU_DEP_1) | instskip(SKIP_2) | instid1(VALU_DEP_1)
	v_and_b32_e32 v3, 0xffff, v3
	s_wait_loadcnt 0x0
	v_and_b32_e32 v5, 1, v5
	v_cmp_eq_u32_e32 vcc_lo, 1, v5
	s_xor_b32 s3, vcc_lo, -1
	s_wait_alu 0xfffe
	v_cndmask_b32_e64 v5, 0, 1, s3
	s_delay_alu instid0(VALU_DEP_1)
	v_lshl_or_b32 v3, v5, 16, v3
.LBB2370_35:
	s_wait_alu 0xfffe
	s_or_b32 exec_lo, exec_lo, s2
	v_lshrrev_b32_e32 v5, 8, v4
	v_lshrrev_b32_e32 v6, 24, v4
	v_lshrrev_b32_e32 v7, 8, v3
	ds_store_b8 v0, v2
	ds_store_b8 v0, v5 offset:384
	ds_store_b8_d16_hi v0, v4 offset:768
	ds_store_b8 v0, v6 offset:1152
	ds_store_b8 v0, v3 offset:1536
	;; [unrolled: 1-line block ×3, first 2 shown]
	ds_store_b8_d16_hi v0, v3 offset:2304
	s_wait_loadcnt_dscnt 0x0
	s_barrier_signal -1
	s_barrier_wait -1
.LBB2370_36:
	v_mad_i32_i24 v38, 0xffffffeb, v0, v1
	s_wait_loadcnt 0x0
	global_inv scope:SCOPE_SE
	s_load_b64 s[6:7], s[0:1], 0x68
	v_mbcnt_lo_u32_b32 v37, -1, 0
	s_cmp_lg_u32 ttmp9, 0
	ds_load_u8 v1, v38
	ds_load_u8 v2, v38 offset:1
	ds_load_u8 v3, v38 offset:2
	;; [unrolled: 1-line block ×6, first 2 shown]
	s_mov_b32 s3, -1
	s_wait_loadcnt_dscnt 0x0
	v_and_b32_e32 v39, 15, v37
	s_barrier_signal -1
	s_barrier_wait -1
	global_inv scope:SCOPE_SE
	v_and_b32_e32 v36, 1, v1
	v_dual_mov_b32 v2, 0 :: v_dual_and_b32 v35, 1, v2
	v_and_b32_e32 v33, 1, v3
	v_and_b32_e32 v32, 1, v4
	;; [unrolled: 1-line block ×5, first 2 shown]
	v_add3_u32 v1, v35, v36, v33
	s_delay_alu instid0(VALU_DEP_1) | instskip(SKIP_3) | instid1(VALU_DEP_3)
	v_add_co_u32 v1, s2, v1, v32
	s_wait_alu 0xf1ff
	v_add_co_ci_u32_e64 v3, null, 0, 0, s2
	v_cmp_ne_u32_e64 s2, 0, v39
	v_add_co_u32 v1, vcc_lo, v1, v34
	s_delay_alu instid0(VALU_DEP_1) | instskip(NEXT) | instid1(VALU_DEP_2)
	v_add_co_ci_u32_e64 v3, null, 0, v3, vcc_lo
	v_add_co_u32 v1, vcc_lo, v1, v31
	s_wait_alu 0xfffd
	s_delay_alu instid0(VALU_DEP_2) | instskip(NEXT) | instid1(VALU_DEP_2)
	v_add_co_ci_u32_e64 v3, null, 0, v3, vcc_lo
	v_add_co_u32 v15, vcc_lo, v1, v30
	s_wait_alu 0xfffd
	s_delay_alu instid0(VALU_DEP_2)
	v_add_co_ci_u32_e64 v16, null, 0, v3, vcc_lo
	s_cbranch_scc0 .LBB2370_95
; %bb.37:
	v_mov_b32_e32 v3, v15
	v_mov_b32_dpp v1, v15 row_shr:1 row_mask:0xf bank_mask:0xf
	v_mov_b32_dpp v6, v2 row_shr:1 row_mask:0xf bank_mask:0xf
	v_dual_mov_b32 v5, v15 :: v_dual_mov_b32 v4, v16
	s_and_saveexec_b32 s3, s2
; %bb.38:
	s_delay_alu instid0(VALU_DEP_3) | instskip(SKIP_2) | instid1(VALU_DEP_2)
	v_add_co_u32 v5, vcc_lo, v15, v1
	s_wait_alu 0xfffd
	v_add_co_ci_u32_e64 v2, null, 0, v16, vcc_lo
	v_add_co_u32 v1, vcc_lo, 0, v5
	s_wait_alu 0xfffd
	s_delay_alu instid0(VALU_DEP_2) | instskip(NEXT) | instid1(VALU_DEP_1)
	v_add_co_ci_u32_e64 v2, null, v6, v2, vcc_lo
	v_dual_mov_b32 v4, v2 :: v_dual_mov_b32 v3, v1
; %bb.39:
	s_wait_alu 0xfffe
	s_or_b32 exec_lo, exec_lo, s3
	v_mov_b32_dpp v1, v5 row_shr:2 row_mask:0xf bank_mask:0xf
	v_mov_b32_dpp v6, v2 row_shr:2 row_mask:0xf bank_mask:0xf
	v_cmp_lt_u32_e32 vcc_lo, 1, v39
	s_and_saveexec_b32 s4, vcc_lo
; %bb.40:
	s_delay_alu instid0(VALU_DEP_3) | instskip(SKIP_2) | instid1(VALU_DEP_2)
	v_add_co_u32 v5, s3, v3, v1
	s_wait_alu 0xf1ff
	v_add_co_ci_u32_e64 v2, null, 0, v4, s3
	v_add_co_u32 v1, s3, 0, v5
	s_wait_alu 0xf1ff
	s_delay_alu instid0(VALU_DEP_2) | instskip(NEXT) | instid1(VALU_DEP_1)
	v_add_co_ci_u32_e64 v2, null, v6, v2, s3
	v_dual_mov_b32 v4, v2 :: v_dual_mov_b32 v3, v1
; %bb.41:
	s_wait_alu 0xfffe
	s_or_b32 exec_lo, exec_lo, s4
	v_mov_b32_dpp v1, v5 row_shr:4 row_mask:0xf bank_mask:0xf
	v_mov_b32_dpp v6, v2 row_shr:4 row_mask:0xf bank_mask:0xf
	v_cmp_lt_u32_e64 s3, 3, v39
	s_and_saveexec_b32 s5, s3
; %bb.42:
	v_add_co_u32 v5, s4, v3, v1
	s_wait_alu 0xf1ff
	v_add_co_ci_u32_e64 v2, null, 0, v4, s4
	s_delay_alu instid0(VALU_DEP_2) | instskip(SKIP_1) | instid1(VALU_DEP_2)
	v_add_co_u32 v1, s4, 0, v5
	s_wait_alu 0xf1ff
	v_add_co_ci_u32_e64 v2, null, v6, v2, s4
	s_delay_alu instid0(VALU_DEP_1)
	v_dual_mov_b32 v4, v2 :: v_dual_mov_b32 v3, v1
; %bb.43:
	s_wait_alu 0xfffe
	s_or_b32 exec_lo, exec_lo, s5
	v_mov_b32_dpp v6, v5 row_shr:8 row_mask:0xf bank_mask:0xf
	v_mov_b32_dpp v1, v2 row_shr:8 row_mask:0xf bank_mask:0xf
	v_cmp_lt_u32_e64 s4, 7, v39
	s_and_saveexec_b32 s12, s4
; %bb.44:
	v_add_co_u32 v5, s5, v3, v6
	s_wait_alu 0xf1ff
	v_add_co_ci_u32_e64 v2, null, 0, v4, s5
	s_delay_alu instid0(VALU_DEP_2) | instskip(SKIP_1) | instid1(VALU_DEP_2)
	v_add_co_u32 v3, s5, 0, v5
	s_wait_alu 0xf1ff
	v_add_co_ci_u32_e64 v4, null, v1, v2, s5
	s_delay_alu instid0(VALU_DEP_1)
	v_mov_b32_e32 v2, v4
; %bb.45:
	s_or_b32 exec_lo, exec_lo, s12
	ds_swizzle_b32 v1, v5 offset:swizzle(BROADCAST,32,15)
	ds_swizzle_b32 v6, v2 offset:swizzle(BROADCAST,32,15)
	v_and_b32_e32 v7, 16, v37
	s_mov_b32 s12, exec_lo
	s_delay_alu instid0(VALU_DEP_1)
	v_cmpx_ne_u32_e32 0, v7
	s_cbranch_execz .LBB2370_47
; %bb.46:
	s_wait_dscnt 0x1
	v_add_co_u32 v5, s5, v3, v1
	s_wait_alu 0xf1ff
	v_add_co_ci_u32_e64 v2, null, 0, v4, s5
	s_delay_alu instid0(VALU_DEP_2) | instskip(SKIP_2) | instid1(VALU_DEP_2)
	v_add_co_u32 v1, s5, 0, v5
	s_wait_dscnt 0x0
	s_wait_alu 0xf1ff
	v_add_co_ci_u32_e64 v2, null, v6, v2, s5
	s_delay_alu instid0(VALU_DEP_1)
	v_dual_mov_b32 v4, v2 :: v_dual_mov_b32 v3, v1
.LBB2370_47:
	s_or_b32 exec_lo, exec_lo, s12
	s_wait_dscnt 0x1
	v_and_b32_e32 v1, 0x1e0, v0
	s_mov_b32 s12, exec_lo
	s_delay_alu instid0(VALU_DEP_1) | instskip(SKIP_1) | instid1(VALU_DEP_1)
	v_min_u32_e32 v1, 0x160, v1
	s_wait_dscnt 0x0
	v_or_b32_e32 v6, 31, v1
	v_lshrrev_b32_e32 v1, 5, v0
	s_delay_alu instid0(VALU_DEP_2)
	v_cmpx_eq_u32_e64 v0, v6
; %bb.48:
	s_delay_alu instid0(VALU_DEP_2)
	v_lshlrev_b32_e32 v6, 3, v1
	ds_store_b64 v6, v[3:4]
; %bb.49:
	s_or_b32 exec_lo, exec_lo, s12
	s_delay_alu instid0(SALU_CYCLE_1)
	s_mov_b32 s12, exec_lo
	s_wait_loadcnt_dscnt 0x0
	s_barrier_signal -1
	s_barrier_wait -1
	global_inv scope:SCOPE_SE
	v_cmpx_gt_u32_e32 12, v0
	s_cbranch_execz .LBB2370_59
; %bb.50:
	v_lshlrev_b32_e32 v6, 3, v0
	ds_load_b64 v[3:4], v6
	s_wait_dscnt 0x0
	v_mov_b32_dpp v17, v3 row_shr:1 row_mask:0xf bank_mask:0xf
	v_mov_b32_dpp v8, v4 row_shr:1 row_mask:0xf bank_mask:0xf
	v_mov_b32_e32 v7, v3
	s_and_saveexec_b32 s13, s2
; %bb.51:
	s_delay_alu instid0(VALU_DEP_3) | instskip(SKIP_2) | instid1(VALU_DEP_2)
	v_add_co_u32 v7, s5, v3, v17
	s_wait_alu 0xf1ff
	v_add_co_ci_u32_e64 v4, null, 0, v4, s5
	v_add_co_u32 v3, s5, 0, v7
	s_wait_alu 0xf1ff
	s_delay_alu instid0(VALU_DEP_2)
	v_add_co_ci_u32_e64 v4, null, v8, v4, s5
; %bb.52:
	s_or_b32 exec_lo, exec_lo, s13
	v_mov_b32_dpp v17, v7 row_shr:2 row_mask:0xf bank_mask:0xf
	s_delay_alu instid0(VALU_DEP_2)
	v_mov_b32_dpp v8, v4 row_shr:2 row_mask:0xf bank_mask:0xf
	s_and_saveexec_b32 s5, vcc_lo
; %bb.53:
	s_delay_alu instid0(VALU_DEP_2) | instskip(SKIP_2) | instid1(VALU_DEP_2)
	v_add_co_u32 v7, vcc_lo, v3, v17
	s_wait_alu 0xfffd
	v_add_co_ci_u32_e64 v4, null, 0, v4, vcc_lo
	v_add_co_u32 v3, vcc_lo, 0, v7
	s_wait_alu 0xfffd
	s_delay_alu instid0(VALU_DEP_2)
	v_add_co_ci_u32_e64 v4, null, v8, v4, vcc_lo
; %bb.54:
	s_wait_alu 0xfffe
	s_or_b32 exec_lo, exec_lo, s5
	v_mov_b32_dpp v17, v7 row_shr:4 row_mask:0xf bank_mask:0xf
	s_delay_alu instid0(VALU_DEP_2)
	v_mov_b32_dpp v8, v4 row_shr:4 row_mask:0xf bank_mask:0xf
	s_and_saveexec_b32 s5, s3
; %bb.55:
	s_delay_alu instid0(VALU_DEP_2) | instskip(SKIP_2) | instid1(VALU_DEP_2)
	v_add_co_u32 v7, vcc_lo, v3, v17
	s_wait_alu 0xfffd
	v_add_co_ci_u32_e64 v4, null, 0, v4, vcc_lo
	v_add_co_u32 v3, vcc_lo, 0, v7
	s_wait_alu 0xfffd
	s_delay_alu instid0(VALU_DEP_2)
	v_add_co_ci_u32_e64 v4, null, v8, v4, vcc_lo
; %bb.56:
	s_wait_alu 0xfffe
	s_or_b32 exec_lo, exec_lo, s5
	v_mov_b32_dpp v8, v7 row_shr:8 row_mask:0xf bank_mask:0xf
	s_delay_alu instid0(VALU_DEP_2)
	v_mov_b32_dpp v7, v4 row_shr:8 row_mask:0xf bank_mask:0xf
	s_and_saveexec_b32 s3, s4
; %bb.57:
	s_delay_alu instid0(VALU_DEP_2) | instskip(SKIP_2) | instid1(VALU_DEP_2)
	v_add_co_u32 v3, vcc_lo, v3, v8
	s_wait_alu 0xfffd
	v_add_co_ci_u32_e64 v4, null, 0, v4, vcc_lo
	v_add_co_u32 v3, vcc_lo, v3, 0
	s_wait_alu 0xfffd
	s_delay_alu instid0(VALU_DEP_2)
	v_add_co_ci_u32_e64 v4, null, v4, v7, vcc_lo
; %bb.58:
	s_wait_alu 0xfffe
	s_or_b32 exec_lo, exec_lo, s3
	ds_store_b64 v6, v[3:4]
.LBB2370_59:
	s_or_b32 exec_lo, exec_lo, s12
	s_delay_alu instid0(SALU_CYCLE_1)
	s_mov_b32 s4, exec_lo
	v_cmp_gt_u32_e32 vcc_lo, 32, v0
	s_wait_loadcnt_dscnt 0x0
	s_barrier_signal -1
	s_barrier_wait -1
	global_inv scope:SCOPE_SE
                                        ; implicit-def: $vgpr17_vgpr18
	v_cmpx_lt_u32_e32 31, v0
	s_cbranch_execz .LBB2370_61
; %bb.60:
	v_lshl_add_u32 v1, v1, 3, -8
	ds_load_b64 v[17:18], v1
	s_wait_dscnt 0x0
	v_add_co_u32 v5, s3, v5, v17
	s_wait_alu 0xf1ff
	v_add_co_ci_u32_e64 v2, null, v2, v18, s3
.LBB2370_61:
	s_wait_alu 0xfffe
	s_or_b32 exec_lo, exec_lo, s4
	v_sub_co_u32 v1, s3, v37, 1
	s_delay_alu instid0(VALU_DEP_1) | instskip(SKIP_1) | instid1(VALU_DEP_1)
	v_cmp_gt_i32_e64 s4, 0, v1
	s_wait_alu 0xf1ff
	v_cndmask_b32_e64 v1, v1, v37, s4
	s_delay_alu instid0(VALU_DEP_1)
	v_lshlrev_b32_e32 v1, 2, v1
	ds_bpermute_b32 v23, v1, v5
	ds_bpermute_b32 v24, v1, v2
	s_and_saveexec_b32 s4, vcc_lo
	s_cbranch_execz .LBB2370_100
; %bb.62:
	v_mov_b32_e32 v4, 0
	ds_load_b64 v[1:2], v4 offset:88
	s_and_saveexec_b32 s5, s3
	s_cbranch_execz .LBB2370_64
; %bb.63:
	s_add_co_i32 s12, ttmp9, 32
	s_mov_b32 s13, 0
	s_delay_alu instid0(SALU_CYCLE_1)
	s_lshl_b64 s[12:13], s[12:13], 4
	s_wait_kmcnt 0x0
	s_add_nc_u64 s[12:13], s[6:7], s[12:13]
	v_mov_b32_e32 v3, 1
	v_dual_mov_b32 v5, s12 :: v_dual_mov_b32 v6, s13
	s_wait_dscnt 0x0
	;;#ASMSTART
	global_store_b128 v[5:6], v[1:4] off scope:SCOPE_DEV	
s_wait_storecnt 0x0
	;;#ASMEND
.LBB2370_64:
	s_wait_alu 0xfffe
	s_or_b32 exec_lo, exec_lo, s5
	v_xad_u32 v19, v37, -1, ttmp9
	s_mov_b32 s12, 0
	s_mov_b32 s5, exec_lo
	s_delay_alu instid0(VALU_DEP_1) | instskip(NEXT) | instid1(VALU_DEP_1)
	v_add_nc_u32_e32 v3, 32, v19
	v_lshlrev_b64_e32 v[3:4], 4, v[3:4]
	s_wait_kmcnt 0x0
	s_delay_alu instid0(VALU_DEP_1) | instskip(SKIP_1) | instid1(VALU_DEP_2)
	v_add_co_u32 v3, vcc_lo, s6, v3
	s_wait_alu 0xfffd
	v_add_co_ci_u32_e64 v4, null, s7, v4, vcc_lo
	;;#ASMSTART
	global_load_b128 v[5:8], v[3:4] off scope:SCOPE_DEV	
s_wait_loadcnt 0x0
	;;#ASMEND
	v_and_b32_e32 v8, 0xff, v7
	s_delay_alu instid0(VALU_DEP_1)
	v_cmpx_eq_u16_e32 0, v8
	s_cbranch_execz .LBB2370_67
.LBB2370_65:                            ; =>This Inner Loop Header: Depth=1
	;;#ASMSTART
	global_load_b128 v[5:8], v[3:4] off scope:SCOPE_DEV	
s_wait_loadcnt 0x0
	;;#ASMEND
	v_and_b32_e32 v8, 0xff, v7
	s_delay_alu instid0(VALU_DEP_1)
	v_cmp_ne_u16_e32 vcc_lo, 0, v8
	s_wait_alu 0xfffe
	s_or_b32 s12, vcc_lo, s12
	s_wait_alu 0xfffe
	s_and_not1_b32 exec_lo, exec_lo, s12
	s_cbranch_execnz .LBB2370_65
; %bb.66:
	s_or_b32 exec_lo, exec_lo, s12
.LBB2370_67:
	s_wait_alu 0xfffe
	s_or_b32 exec_lo, exec_lo, s5
	v_cmp_ne_u32_e32 vcc_lo, 31, v37
	v_and_b32_e32 v4, 0xff, v7
	v_lshlrev_b32_e64 v26, v37, -1
	s_mov_b32 s5, exec_lo
	s_wait_alu 0xfffd
	v_add_co_ci_u32_e64 v3, null, 0, v37, vcc_lo
	v_cmp_eq_u16_e32 vcc_lo, 2, v4
	s_delay_alu instid0(VALU_DEP_2)
	v_dual_mov_b32 v4, v5 :: v_dual_lshlrev_b32 v25, 2, v3
	s_wait_alu 0xfffd
	v_and_or_b32 v3, vcc_lo, v26, 0x80000000
	ds_bpermute_b32 v20, v25, v5
	ds_bpermute_b32 v8, v25, v6
	v_ctz_i32_b32_e32 v3, v3
	s_delay_alu instid0(VALU_DEP_1)
	v_cmpx_lt_u32_e64 v37, v3
	s_cbranch_execz .LBB2370_69
; %bb.68:
	s_wait_dscnt 0x1
	v_add_co_u32 v4, vcc_lo, v5, v20
	s_wait_alu 0xfffd
	v_add_co_ci_u32_e64 v6, null, 0, v6, vcc_lo
	s_delay_alu instid0(VALU_DEP_2) | instskip(SKIP_2) | instid1(VALU_DEP_2)
	v_add_co_u32 v5, vcc_lo, 0, v4
	s_wait_dscnt 0x0
	s_wait_alu 0xfffd
	v_add_co_ci_u32_e64 v6, null, v8, v6, vcc_lo
.LBB2370_69:
	s_wait_alu 0xfffe
	s_or_b32 exec_lo, exec_lo, s5
	v_cmp_gt_u32_e32 vcc_lo, 30, v37
	v_add_nc_u32_e32 v28, 2, v37
	s_mov_b32 s5, exec_lo
	s_wait_dscnt 0x0
	s_wait_alu 0xfffd
	v_cndmask_b32_e64 v8, 0, 2, vcc_lo
	s_delay_alu instid0(VALU_DEP_1)
	v_add_lshl_u32 v27, v8, v37, 2
	ds_bpermute_b32 v20, v27, v4
	ds_bpermute_b32 v8, v27, v6
	v_cmpx_le_u32_e64 v28, v3
	s_cbranch_execz .LBB2370_71
; %bb.70:
	s_wait_dscnt 0x1
	v_add_co_u32 v4, vcc_lo, v5, v20
	s_wait_alu 0xfffd
	v_add_co_ci_u32_e64 v6, null, 0, v6, vcc_lo
	s_delay_alu instid0(VALU_DEP_2) | instskip(SKIP_2) | instid1(VALU_DEP_2)
	v_add_co_u32 v5, vcc_lo, 0, v4
	s_wait_dscnt 0x0
	s_wait_alu 0xfffd
	v_add_co_ci_u32_e64 v6, null, v8, v6, vcc_lo
.LBB2370_71:
	s_wait_alu 0xfffe
	s_or_b32 exec_lo, exec_lo, s5
	v_cmp_gt_u32_e32 vcc_lo, 28, v37
	v_add_nc_u32_e32 v41, 4, v37
	s_mov_b32 s5, exec_lo
	s_wait_dscnt 0x0
	s_wait_alu 0xfffd
	v_cndmask_b32_e64 v8, 0, 4, vcc_lo
	s_delay_alu instid0(VALU_DEP_1)
	v_add_lshl_u32 v40, v8, v37, 2
	ds_bpermute_b32 v20, v40, v4
	ds_bpermute_b32 v8, v40, v6
	v_cmpx_le_u32_e64 v41, v3
	;; [unrolled: 25-line block ×3, first 2 shown]
	s_cbranch_execz .LBB2370_75
; %bb.74:
	s_wait_dscnt 0x1
	v_add_co_u32 v4, vcc_lo, v5, v20
	s_wait_alu 0xfffd
	v_add_co_ci_u32_e64 v6, null, 0, v6, vcc_lo
	s_delay_alu instid0(VALU_DEP_2) | instskip(SKIP_2) | instid1(VALU_DEP_2)
	v_add_co_u32 v5, vcc_lo, 0, v4
	s_wait_dscnt 0x0
	s_wait_alu 0xfffd
	v_add_co_ci_u32_e64 v6, null, v8, v6, vcc_lo
.LBB2370_75:
	s_wait_alu 0xfffe
	s_or_b32 exec_lo, exec_lo, s5
	v_lshl_or_b32 v44, v37, 2, 64
	v_add_nc_u32_e32 v45, 16, v37
	s_mov_b32 s5, exec_lo
	s_wait_dscnt 0x0
	ds_bpermute_b32 v8, v44, v4
	ds_bpermute_b32 v4, v44, v6
	v_cmpx_le_u32_e64 v45, v3
	s_cbranch_execz .LBB2370_77
; %bb.76:
	s_wait_dscnt 0x1
	v_add_co_u32 v3, vcc_lo, v5, v8
	s_wait_alu 0xfffd
	v_add_co_ci_u32_e64 v6, null, 0, v6, vcc_lo
	s_delay_alu instid0(VALU_DEP_2) | instskip(SKIP_2) | instid1(VALU_DEP_2)
	v_add_co_u32 v5, vcc_lo, v3, 0
	s_wait_dscnt 0x0
	s_wait_alu 0xfffd
	v_add_co_ci_u32_e64 v6, null, v6, v4, vcc_lo
.LBB2370_77:
	s_wait_alu 0xfffe
	s_or_b32 exec_lo, exec_lo, s5
	v_mov_b32_e32 v20, 0
	s_branch .LBB2370_80
.LBB2370_78:                            ;   in Loop: Header=BB2370_80 Depth=1
	s_wait_alu 0xfffe
	s_or_b32 exec_lo, exec_lo, s5
	v_add_co_u32 v5, vcc_lo, v5, v3
	v_subrev_nc_u32_e32 v19, 32, v19
	s_wait_alu 0xfffd
	v_add_co_ci_u32_e64 v6, null, v6, v4, vcc_lo
	s_mov_b32 s5, 0
.LBB2370_79:                            ;   in Loop: Header=BB2370_80 Depth=1
	s_wait_alu 0xfffe
	s_and_b32 vcc_lo, exec_lo, s5
	s_wait_alu 0xfffe
	s_cbranch_vccnz .LBB2370_96
.LBB2370_80:                            ; =>This Loop Header: Depth=1
                                        ;     Child Loop BB2370_83 Depth 2
	v_and_b32_e32 v3, 0xff, v7
	s_mov_b32 s5, -1
	s_delay_alu instid0(VALU_DEP_1)
	v_cmp_ne_u16_e32 vcc_lo, 2, v3
	s_wait_dscnt 0x0
	v_dual_mov_b32 v3, v5 :: v_dual_mov_b32 v4, v6
                                        ; implicit-def: $vgpr5_vgpr6
	s_cmp_lg_u32 vcc_lo, exec_lo
	s_cbranch_scc1 .LBB2370_79
; %bb.81:                               ;   in Loop: Header=BB2370_80 Depth=1
	v_lshlrev_b64_e32 v[5:6], 4, v[19:20]
	s_mov_b32 s5, exec_lo
	s_delay_alu instid0(VALU_DEP_1) | instskip(SKIP_1) | instid1(VALU_DEP_2)
	v_add_co_u32 v21, vcc_lo, s6, v5
	s_wait_alu 0xfffd
	v_add_co_ci_u32_e64 v22, null, s7, v6, vcc_lo
	;;#ASMSTART
	global_load_b128 v[5:8], v[21:22] off scope:SCOPE_DEV	
s_wait_loadcnt 0x0
	;;#ASMEND
	v_and_b32_e32 v8, 0xff, v7
	s_delay_alu instid0(VALU_DEP_1)
	v_cmpx_eq_u16_e32 0, v8
	s_cbranch_execz .LBB2370_85
; %bb.82:                               ;   in Loop: Header=BB2370_80 Depth=1
	s_mov_b32 s12, 0
.LBB2370_83:                            ;   Parent Loop BB2370_80 Depth=1
                                        ; =>  This Inner Loop Header: Depth=2
	;;#ASMSTART
	global_load_b128 v[5:8], v[21:22] off scope:SCOPE_DEV	
s_wait_loadcnt 0x0
	;;#ASMEND
	v_and_b32_e32 v8, 0xff, v7
	s_delay_alu instid0(VALU_DEP_1)
	v_cmp_ne_u16_e32 vcc_lo, 0, v8
	s_wait_alu 0xfffe
	s_or_b32 s12, vcc_lo, s12
	s_wait_alu 0xfffe
	s_and_not1_b32 exec_lo, exec_lo, s12
	s_cbranch_execnz .LBB2370_83
; %bb.84:                               ;   in Loop: Header=BB2370_80 Depth=1
	s_or_b32 exec_lo, exec_lo, s12
.LBB2370_85:                            ;   in Loop: Header=BB2370_80 Depth=1
	s_wait_alu 0xfffe
	s_or_b32 exec_lo, exec_lo, s5
	v_dual_mov_b32 v21, v5 :: v_dual_and_b32 v8, 0xff, v7
	ds_bpermute_b32 v46, v25, v5
	ds_bpermute_b32 v22, v25, v6
	s_mov_b32 s5, exec_lo
	v_cmp_eq_u16_e32 vcc_lo, 2, v8
	s_wait_alu 0xfffd
	v_and_or_b32 v8, vcc_lo, v26, 0x80000000
	s_delay_alu instid0(VALU_DEP_1) | instskip(NEXT) | instid1(VALU_DEP_1)
	v_ctz_i32_b32_e32 v8, v8
	v_cmpx_lt_u32_e64 v37, v8
	s_cbranch_execz .LBB2370_87
; %bb.86:                               ;   in Loop: Header=BB2370_80 Depth=1
	s_wait_dscnt 0x1
	v_add_co_u32 v21, vcc_lo, v5, v46
	s_wait_alu 0xfffd
	v_add_co_ci_u32_e64 v6, null, 0, v6, vcc_lo
	s_delay_alu instid0(VALU_DEP_2) | instskip(SKIP_2) | instid1(VALU_DEP_2)
	v_add_co_u32 v5, vcc_lo, 0, v21
	s_wait_dscnt 0x0
	s_wait_alu 0xfffd
	v_add_co_ci_u32_e64 v6, null, v22, v6, vcc_lo
.LBB2370_87:                            ;   in Loop: Header=BB2370_80 Depth=1
	s_wait_alu 0xfffe
	s_or_b32 exec_lo, exec_lo, s5
	s_wait_dscnt 0x1
	ds_bpermute_b32 v46, v27, v21
	s_wait_dscnt 0x1
	ds_bpermute_b32 v22, v27, v6
	s_mov_b32 s5, exec_lo
	v_cmpx_le_u32_e64 v28, v8
	s_cbranch_execz .LBB2370_89
; %bb.88:                               ;   in Loop: Header=BB2370_80 Depth=1
	s_wait_dscnt 0x1
	v_add_co_u32 v21, vcc_lo, v5, v46
	s_wait_alu 0xfffd
	v_add_co_ci_u32_e64 v6, null, 0, v6, vcc_lo
	s_delay_alu instid0(VALU_DEP_2) | instskip(SKIP_2) | instid1(VALU_DEP_2)
	v_add_co_u32 v5, vcc_lo, 0, v21
	s_wait_dscnt 0x0
	s_wait_alu 0xfffd
	v_add_co_ci_u32_e64 v6, null, v22, v6, vcc_lo
.LBB2370_89:                            ;   in Loop: Header=BB2370_80 Depth=1
	s_wait_alu 0xfffe
	s_or_b32 exec_lo, exec_lo, s5
	s_wait_dscnt 0x1
	ds_bpermute_b32 v46, v40, v21
	s_wait_dscnt 0x1
	ds_bpermute_b32 v22, v40, v6
	s_mov_b32 s5, exec_lo
	v_cmpx_le_u32_e64 v41, v8
	s_cbranch_execz .LBB2370_91
; %bb.90:                               ;   in Loop: Header=BB2370_80 Depth=1
	s_wait_dscnt 0x1
	v_add_co_u32 v21, vcc_lo, v5, v46
	s_wait_alu 0xfffd
	v_add_co_ci_u32_e64 v6, null, 0, v6, vcc_lo
	s_delay_alu instid0(VALU_DEP_2) | instskip(SKIP_2) | instid1(VALU_DEP_2)
	v_add_co_u32 v5, vcc_lo, 0, v21
	s_wait_dscnt 0x0
	s_wait_alu 0xfffd
	v_add_co_ci_u32_e64 v6, null, v22, v6, vcc_lo
.LBB2370_91:                            ;   in Loop: Header=BB2370_80 Depth=1
	s_wait_alu 0xfffe
	s_or_b32 exec_lo, exec_lo, s5
	s_wait_dscnt 0x1
	ds_bpermute_b32 v46, v42, v21
	s_wait_dscnt 0x1
	ds_bpermute_b32 v22, v42, v6
	s_mov_b32 s5, exec_lo
	v_cmpx_le_u32_e64 v43, v8
	s_cbranch_execz .LBB2370_93
; %bb.92:                               ;   in Loop: Header=BB2370_80 Depth=1
	s_wait_dscnt 0x1
	v_add_co_u32 v21, vcc_lo, v5, v46
	s_wait_alu 0xfffd
	v_add_co_ci_u32_e64 v6, null, 0, v6, vcc_lo
	s_delay_alu instid0(VALU_DEP_2) | instskip(SKIP_2) | instid1(VALU_DEP_2)
	v_add_co_u32 v5, vcc_lo, 0, v21
	s_wait_dscnt 0x0
	s_wait_alu 0xfffd
	v_add_co_ci_u32_e64 v6, null, v22, v6, vcc_lo
.LBB2370_93:                            ;   in Loop: Header=BB2370_80 Depth=1
	s_wait_alu 0xfffe
	s_or_b32 exec_lo, exec_lo, s5
	s_wait_dscnt 0x0
	ds_bpermute_b32 v22, v44, v21
	ds_bpermute_b32 v21, v44, v6
	s_mov_b32 s5, exec_lo
	v_cmpx_le_u32_e64 v45, v8
	s_cbranch_execz .LBB2370_78
; %bb.94:                               ;   in Loop: Header=BB2370_80 Depth=1
	s_wait_dscnt 0x1
	v_add_co_u32 v5, vcc_lo, v5, v22
	s_wait_alu 0xfffd
	v_add_co_ci_u32_e64 v6, null, 0, v6, vcc_lo
	s_delay_alu instid0(VALU_DEP_2) | instskip(SKIP_2) | instid1(VALU_DEP_2)
	v_add_co_u32 v5, vcc_lo, v5, 0
	s_wait_dscnt 0x0
	s_wait_alu 0xfffd
	v_add_co_ci_u32_e64 v6, null, v6, v21, vcc_lo
	s_branch .LBB2370_78
.LBB2370_95:
                                        ; implicit-def: $vgpr17_vgpr18
                                        ; implicit-def: $vgpr6_vgpr7
                                        ; implicit-def: $vgpr19_vgpr20
                                        ; implicit-def: $vgpr21_vgpr22
                                        ; implicit-def: $vgpr23_vgpr24
                                        ; implicit-def: $vgpr25_vgpr26
                                        ; implicit-def: $vgpr27_vgpr28
                                        ; implicit-def: $vgpr4_vgpr5
	s_load_b64 s[4:5], s[0:1], 0x30
	s_and_b32 vcc_lo, exec_lo, s3
	s_wait_alu 0xfffe
	s_cbranch_vccnz .LBB2370_101
	s_branch .LBB2370_128
.LBB2370_96:
	s_and_saveexec_b32 s5, s3
	s_cbranch_execz .LBB2370_98
; %bb.97:
	s_add_co_i32 s12, ttmp9, 32
	s_mov_b32 s13, 0
	v_add_co_u32 v5, vcc_lo, v3, v1
	s_wait_alu 0xfffe
	s_lshl_b64 s[12:13], s[12:13], 4
	v_dual_mov_b32 v7, 2 :: v_dual_mov_b32 v8, 0
	s_wait_alu 0xfffe
	s_add_nc_u64 s[12:13], s[6:7], s[12:13]
	s_wait_alu 0xfffd
	v_add_co_ci_u32_e64 v6, null, v4, v2, vcc_lo
	s_wait_alu 0xfffe
	v_dual_mov_b32 v20, s13 :: v_dual_mov_b32 v19, s12
	;;#ASMSTART
	global_store_b128 v[19:20], v[5:8] off scope:SCOPE_DEV	
s_wait_storecnt 0x0
	;;#ASMEND
	ds_store_b128 v8, v[1:4] offset:10752
.LBB2370_98:
	s_wait_alu 0xfffe
	s_or_b32 exec_lo, exec_lo, s5
	v_cmp_eq_u32_e32 vcc_lo, 0, v0
	s_and_b32 exec_lo, exec_lo, vcc_lo
; %bb.99:
	v_mov_b32_e32 v1, 0
	ds_store_b64 v1, v[3:4] offset:88
.LBB2370_100:
	s_wait_alu 0xfffe
	s_or_b32 exec_lo, exec_lo, s4
	s_wait_dscnt 0x1
	v_cndmask_b32_e64 v4, v23, v17, s3
	v_cmp_ne_u32_e32 vcc_lo, 0, v0
	v_mov_b32_e32 v3, 0
	s_wait_loadcnt_dscnt 0x0
	s_barrier_signal -1
	s_barrier_wait -1
	global_inv scope:SCOPE_SE
	s_wait_alu 0xfffd
	v_cndmask_b32_e32 v4, 0, v4, vcc_lo
	ds_load_b64 v[1:2], v3 offset:88
	v_cndmask_b32_e64 v5, v24, v18, s3
	s_wait_loadcnt_dscnt 0x0
	s_barrier_signal -1
	s_barrier_wait -1
	global_inv scope:SCOPE_SE
	v_cndmask_b32_e32 v5, 0, v5, vcc_lo
	v_add_co_u32 v27, vcc_lo, v1, v4
	s_wait_alu 0xfffd
	s_delay_alu instid0(VALU_DEP_2) | instskip(SKIP_4) | instid1(VALU_DEP_2)
	v_add_co_ci_u32_e64 v28, null, v2, v5, vcc_lo
	ds_load_b128 v[2:5], v3 offset:10752
	v_add_co_u32 v25, vcc_lo, v27, v36
	s_wait_alu 0xfffd
	v_add_co_ci_u32_e64 v26, null, 0, v28, vcc_lo
	v_add_co_u32 v23, vcc_lo, v25, v35
	s_wait_alu 0xfffd
	s_delay_alu instid0(VALU_DEP_2) | instskip(NEXT) | instid1(VALU_DEP_2)
	v_add_co_ci_u32_e64 v24, null, 0, v26, vcc_lo
	v_add_co_u32 v21, vcc_lo, v23, v33
	s_wait_alu 0xfffd
	s_delay_alu instid0(VALU_DEP_2) | instskip(NEXT) | instid1(VALU_DEP_2)
	;; [unrolled: 4-line block ×4, first 2 shown]
	v_add_co_ci_u32_e64 v7, null, 0, v20, vcc_lo
	v_add_co_u32 v17, vcc_lo, v6, v31
	s_wait_alu 0xfffd
	s_delay_alu instid0(VALU_DEP_2)
	v_add_co_ci_u32_e64 v18, null, 0, v7, vcc_lo
	s_load_b64 s[4:5], s[0:1], 0x30
	s_branch .LBB2370_128
.LBB2370_101:
	s_wait_dscnt 0x0
	v_dual_mov_b32 v2, 0 :: v_dual_mov_b32 v3, v15
	v_mov_b32_dpp v4, v15 row_shr:1 row_mask:0xf bank_mask:0xf
	s_delay_alu instid0(VALU_DEP_2)
	v_mov_b32_dpp v1, v2 row_shr:1 row_mask:0xf bank_mask:0xf
	s_and_saveexec_b32 s0, s2
; %bb.102:
	s_delay_alu instid0(VALU_DEP_2) | instskip(SKIP_2) | instid1(VALU_DEP_2)
	v_add_co_u32 v3, vcc_lo, v15, v4
	s_wait_alu 0xfffd
	v_add_co_ci_u32_e64 v2, null, 0, v16, vcc_lo
	v_add_co_u32 v15, vcc_lo, 0, v3
	s_wait_alu 0xfffd
	s_delay_alu instid0(VALU_DEP_2) | instskip(NEXT) | instid1(VALU_DEP_1)
	v_add_co_ci_u32_e64 v16, null, v1, v2, vcc_lo
	v_mov_b32_e32 v2, v16
; %bb.103:
	s_or_b32 exec_lo, exec_lo, s0
	v_mov_b32_dpp v1, v3 row_shr:2 row_mask:0xf bank_mask:0xf
	s_delay_alu instid0(VALU_DEP_2)
	v_mov_b32_dpp v4, v2 row_shr:2 row_mask:0xf bank_mask:0xf
	v_cmp_lt_u32_e32 vcc_lo, 1, v39
	s_and_saveexec_b32 s1, vcc_lo
; %bb.104:
	s_delay_alu instid0(VALU_DEP_3) | instskip(NEXT) | instid1(VALU_DEP_1)
	v_add_co_u32 v3, s0, v15, v1
	v_add_co_ci_u32_e64 v2, null, 0, v16, s0
	s_delay_alu instid0(VALU_DEP_2) | instskip(SKIP_1) | instid1(VALU_DEP_2)
	v_add_co_u32 v1, s0, 0, v3
	s_wait_alu 0xf1ff
	v_add_co_ci_u32_e64 v2, null, v4, v2, s0
	s_delay_alu instid0(VALU_DEP_1)
	v_dual_mov_b32 v16, v2 :: v_dual_mov_b32 v15, v1
; %bb.105:
	s_or_b32 exec_lo, exec_lo, s1
	v_mov_b32_dpp v1, v3 row_shr:4 row_mask:0xf bank_mask:0xf
	v_mov_b32_dpp v4, v2 row_shr:4 row_mask:0xf bank_mask:0xf
	v_cmp_lt_u32_e64 s0, 3, v39
	s_and_saveexec_b32 s3, s0
; %bb.106:
	v_add_co_u32 v3, s1, v15, v1
	s_wait_alu 0xf1ff
	v_add_co_ci_u32_e64 v2, null, 0, v16, s1
	s_delay_alu instid0(VALU_DEP_2) | instskip(SKIP_1) | instid1(VALU_DEP_2)
	v_add_co_u32 v1, s1, 0, v3
	s_wait_alu 0xf1ff
	v_add_co_ci_u32_e64 v2, null, v4, v2, s1
	s_delay_alu instid0(VALU_DEP_1)
	v_dual_mov_b32 v16, v2 :: v_dual_mov_b32 v15, v1
; %bb.107:
	s_wait_alu 0xfffe
	s_or_b32 exec_lo, exec_lo, s3
	v_mov_b32_dpp v4, v3 row_shr:8 row_mask:0xf bank_mask:0xf
	v_mov_b32_dpp v1, v2 row_shr:8 row_mask:0xf bank_mask:0xf
	v_cmp_lt_u32_e64 s1, 7, v39
	s_and_saveexec_b32 s12, s1
; %bb.108:
	v_add_co_u32 v3, s3, v15, v4
	s_wait_alu 0xf1ff
	v_add_co_ci_u32_e64 v2, null, 0, v16, s3
	s_delay_alu instid0(VALU_DEP_2) | instskip(SKIP_1) | instid1(VALU_DEP_2)
	v_add_co_u32 v15, s3, 0, v3
	s_wait_alu 0xf1ff
	v_add_co_ci_u32_e64 v16, null, v1, v2, s3
	s_delay_alu instid0(VALU_DEP_1)
	v_mov_b32_e32 v2, v16
; %bb.109:
	s_or_b32 exec_lo, exec_lo, s12
	ds_swizzle_b32 v3, v3 offset:swizzle(BROADCAST,32,15)
	ds_swizzle_b32 v1, v2 offset:swizzle(BROADCAST,32,15)
	v_and_b32_e32 v2, 16, v37
	s_mov_b32 s12, exec_lo
	s_delay_alu instid0(VALU_DEP_1)
	v_cmpx_ne_u32_e32 0, v2
	s_cbranch_execz .LBB2370_111
; %bb.110:
	s_wait_dscnt 0x1
	v_add_co_u32 v2, s3, v15, v3
	s_wait_alu 0xf1ff
	v_add_co_ci_u32_e64 v3, null, 0, v16, s3
	s_delay_alu instid0(VALU_DEP_2) | instskip(SKIP_2) | instid1(VALU_DEP_2)
	v_add_co_u32 v15, s3, v2, 0
	s_wait_dscnt 0x0
	s_wait_alu 0xf1ff
	v_add_co_ci_u32_e64 v16, null, v3, v1, s3
.LBB2370_111:
	s_or_b32 exec_lo, exec_lo, s12
	s_wait_dscnt 0x0
	v_and_b32_e32 v1, 0x1e0, v0
	v_lshrrev_b32_e32 v3, 5, v0
	s_mov_b32 s12, exec_lo
	s_delay_alu instid0(VALU_DEP_2) | instskip(NEXT) | instid1(VALU_DEP_1)
	v_min_u32_e32 v1, 0x160, v1
	v_or_b32_e32 v1, 31, v1
	s_delay_alu instid0(VALU_DEP_1)
	v_cmpx_eq_u32_e64 v0, v1
; %bb.112:
	v_lshlrev_b32_e32 v1, 3, v3
	ds_store_b64 v1, v[15:16]
; %bb.113:
	s_or_b32 exec_lo, exec_lo, s12
	s_delay_alu instid0(SALU_CYCLE_1)
	s_mov_b32 s12, exec_lo
	s_wait_loadcnt_dscnt 0x0
	s_barrier_signal -1
	s_barrier_wait -1
	global_inv scope:SCOPE_SE
	v_cmpx_gt_u32_e32 12, v0
	s_cbranch_execz .LBB2370_123
; %bb.114:
	v_add_nc_u32_e32 v4, v38, v0
	ds_load_b64 v[1:2], v4
	s_wait_dscnt 0x0
	v_mov_b32_dpp v7, v1 row_shr:1 row_mask:0xf bank_mask:0xf
	v_mov_b32_dpp v6, v2 row_shr:1 row_mask:0xf bank_mask:0xf
	v_mov_b32_e32 v5, v1
	s_and_saveexec_b32 s3, s2
; %bb.115:
	s_delay_alu instid0(VALU_DEP_3) | instskip(SKIP_2) | instid1(VALU_DEP_2)
	v_add_co_u32 v5, s2, v1, v7
	s_wait_alu 0xf1ff
	v_add_co_ci_u32_e64 v2, null, 0, v2, s2
	v_add_co_u32 v1, s2, 0, v5
	s_wait_alu 0xf1ff
	s_delay_alu instid0(VALU_DEP_2)
	v_add_co_ci_u32_e64 v2, null, v6, v2, s2
; %bb.116:
	s_wait_alu 0xfffe
	s_or_b32 exec_lo, exec_lo, s3
	v_mov_b32_dpp v7, v5 row_shr:2 row_mask:0xf bank_mask:0xf
	s_delay_alu instid0(VALU_DEP_2)
	v_mov_b32_dpp v6, v2 row_shr:2 row_mask:0xf bank_mask:0xf
	s_and_saveexec_b32 s2, vcc_lo
; %bb.117:
	s_delay_alu instid0(VALU_DEP_2) | instskip(SKIP_2) | instid1(VALU_DEP_2)
	v_add_co_u32 v5, vcc_lo, v1, v7
	s_wait_alu 0xfffd
	v_add_co_ci_u32_e64 v2, null, 0, v2, vcc_lo
	v_add_co_u32 v1, vcc_lo, 0, v5
	s_wait_alu 0xfffd
	s_delay_alu instid0(VALU_DEP_2)
	v_add_co_ci_u32_e64 v2, null, v6, v2, vcc_lo
; %bb.118:
	s_wait_alu 0xfffe
	s_or_b32 exec_lo, exec_lo, s2
	v_mov_b32_dpp v7, v5 row_shr:4 row_mask:0xf bank_mask:0xf
	s_delay_alu instid0(VALU_DEP_2)
	v_mov_b32_dpp v6, v2 row_shr:4 row_mask:0xf bank_mask:0xf
	s_and_saveexec_b32 s2, s0
; %bb.119:
	s_delay_alu instid0(VALU_DEP_2) | instskip(SKIP_2) | instid1(VALU_DEP_2)
	v_add_co_u32 v5, vcc_lo, v1, v7
	s_wait_alu 0xfffd
	v_add_co_ci_u32_e64 v2, null, 0, v2, vcc_lo
	v_add_co_u32 v1, vcc_lo, 0, v5
	s_wait_alu 0xfffd
	s_delay_alu instid0(VALU_DEP_2)
	v_add_co_ci_u32_e64 v2, null, v6, v2, vcc_lo
; %bb.120:
	s_wait_alu 0xfffe
	s_or_b32 exec_lo, exec_lo, s2
	v_mov_b32_dpp v6, v5 row_shr:8 row_mask:0xf bank_mask:0xf
	s_delay_alu instid0(VALU_DEP_2)
	v_mov_b32_dpp v5, v2 row_shr:8 row_mask:0xf bank_mask:0xf
	s_and_saveexec_b32 s0, s1
; %bb.121:
	s_delay_alu instid0(VALU_DEP_2) | instskip(SKIP_2) | instid1(VALU_DEP_2)
	v_add_co_u32 v1, vcc_lo, v1, v6
	s_wait_alu 0xfffd
	v_add_co_ci_u32_e64 v2, null, 0, v2, vcc_lo
	v_add_co_u32 v1, vcc_lo, v1, 0
	s_wait_alu 0xfffd
	s_delay_alu instid0(VALU_DEP_2)
	v_add_co_ci_u32_e64 v2, null, v2, v5, vcc_lo
; %bb.122:
	s_wait_alu 0xfffe
	s_or_b32 exec_lo, exec_lo, s0
	ds_store_b64 v4, v[1:2]
.LBB2370_123:
	s_or_b32 exec_lo, exec_lo, s12
	v_mov_b32_e32 v6, 0
	v_mov_b32_e32 v7, 0
	s_mov_b32 s0, exec_lo
	s_wait_loadcnt_dscnt 0x0
	s_barrier_signal -1
	s_barrier_wait -1
	global_inv scope:SCOPE_SE
	v_cmpx_lt_u32_e32 31, v0
; %bb.124:
	v_lshl_add_u32 v1, v3, 3, -8
	ds_load_b64 v[6:7], v1
; %bb.125:
	s_wait_alu 0xfffe
	s_or_b32 exec_lo, exec_lo, s0
	v_sub_co_u32 v1, vcc_lo, v37, 1
	v_mov_b32_e32 v5, 0
	s_delay_alu instid0(VALU_DEP_2) | instskip(SKIP_1) | instid1(VALU_DEP_1)
	v_cmp_gt_i32_e64 s0, 0, v1
	s_wait_alu 0xf1ff
	v_cndmask_b32_e64 v1, v1, v37, s0
	s_delay_alu instid0(VALU_DEP_1)
	v_lshlrev_b32_e32 v2, 2, v1
	s_wait_dscnt 0x0
	v_add_co_u32 v1, s0, v6, v15
	s_wait_alu 0xf1ff
	v_add_co_ci_u32_e64 v3, null, v7, v16, s0
	v_cmp_eq_u32_e64 s0, 0, v0
	ds_bpermute_b32 v1, v2, v1
	ds_bpermute_b32 v8, v2, v3
	ds_load_b64 v[2:3], v5 offset:88
	s_and_saveexec_b32 s1, s0
	s_cbranch_execz .LBB2370_127
; %bb.126:
	s_wait_kmcnt 0x0
	s_add_nc_u64 s[2:3], s[6:7], 0x200
	v_mov_b32_e32 v4, 2
	s_wait_alu 0xfffe
	v_dual_mov_b32 v16, s3 :: v_dual_mov_b32 v15, s2
	s_wait_dscnt 0x0
	;;#ASMSTART
	global_store_b128 v[15:16], v[2:5] off scope:SCOPE_DEV	
s_wait_storecnt 0x0
	;;#ASMEND
.LBB2370_127:
	s_wait_alu 0xfffe
	s_or_b32 exec_lo, exec_lo, s1
	s_wait_dscnt 0x1
	s_wait_alu 0xfffd
	v_dual_cndmask_b32 v1, v1, v6 :: v_dual_cndmask_b32 v4, v8, v7
	s_wait_loadcnt_dscnt 0x0
	s_barrier_signal -1
	s_barrier_wait -1
	s_delay_alu instid0(VALU_DEP_1)
	v_cndmask_b32_e64 v27, v1, 0, s0
	v_cndmask_b32_e64 v28, v4, 0, s0
	v_mov_b32_e32 v4, 0
	v_mov_b32_e32 v5, 0
	global_inv scope:SCOPE_SE
	v_add_co_u32 v25, vcc_lo, v27, v36
	s_wait_alu 0xfffd
	v_add_co_ci_u32_e64 v26, null, 0, v28, vcc_lo
	s_delay_alu instid0(VALU_DEP_2) | instskip(SKIP_1) | instid1(VALU_DEP_2)
	v_add_co_u32 v23, vcc_lo, v25, v35
	s_wait_alu 0xfffd
	v_add_co_ci_u32_e64 v24, null, 0, v26, vcc_lo
	s_delay_alu instid0(VALU_DEP_2) | instskip(SKIP_1) | instid1(VALU_DEP_2)
	;; [unrolled: 4-line block ×5, first 2 shown]
	v_add_co_u32 v17, vcc_lo, v6, v31
	s_wait_alu 0xfffd
	v_add_co_ci_u32_e64 v18, null, 0, v7, vcc_lo
.LBB2370_128:
	s_wait_dscnt 0x0
	v_cmp_gt_u64_e32 vcc_lo, 0x181, v[2:3]
	v_cmp_eq_u32_e64 s0, 1, v36
	s_mov_b32 s1, -1
	s_cbranch_vccnz .LBB2370_132
; %bb.129:
	s_wait_alu 0xfffe
	s_and_b32 vcc_lo, exec_lo, s1
	s_wait_alu 0xfffe
	s_cbranch_vccnz .LBB2370_147
.LBB2370_130:
	v_cmp_eq_u32_e32 vcc_lo, 0, v0
	s_and_b32 s0, vcc_lo, s16
	s_wait_alu 0xfffe
	s_and_saveexec_b32 s1, s0
	s_cbranch_execnz .LBB2370_164
.LBB2370_131:
	s_endpgm
.LBB2370_132:
	v_add_co_u32 v15, vcc_lo, v4, v2
	s_wait_alu 0xfffd
	v_add_co_ci_u32_e64 v16, null, v5, v3, vcc_lo
	s_lshl_b64 s[2:3], s[10:11], 2
	s_wait_kmcnt 0x0
	s_wait_alu 0xfffe
	s_add_nc_u64 s[2:3], s[4:5], s[2:3]
	v_cmp_lt_u64_e32 vcc_lo, v[27:28], v[15:16]
	s_or_b32 s1, s17, vcc_lo
	s_wait_alu 0xfffe
	s_and_b32 s1, s1, s0
	s_wait_alu 0xfffe
	s_and_saveexec_b32 s0, s1
	s_cbranch_execz .LBB2370_134
; %bb.133:
	v_lshlrev_b64_e32 v[37:38], 2, v[27:28]
	s_delay_alu instid0(VALU_DEP_1) | instskip(SKIP_1) | instid1(VALU_DEP_2)
	v_add_co_u32 v37, vcc_lo, s2, v37
	s_wait_alu 0xfffd
	v_add_co_ci_u32_e64 v38, null, s3, v38, vcc_lo
	global_store_b32 v[37:38], v13, off
.LBB2370_134:
	s_wait_alu 0xfffe
	s_or_b32 exec_lo, exec_lo, s0
	v_cmp_lt_u64_e32 vcc_lo, v[25:26], v[15:16]
	v_cmp_eq_u32_e64 s0, 1, v35
	s_or_b32 s1, s17, vcc_lo
	s_wait_alu 0xfffe
	s_and_b32 s1, s1, s0
	s_wait_alu 0xfffe
	s_and_saveexec_b32 s0, s1
	s_cbranch_execz .LBB2370_136
; %bb.135:
	v_lshlrev_b64_e32 v[37:38], 2, v[25:26]
	s_delay_alu instid0(VALU_DEP_1) | instskip(SKIP_1) | instid1(VALU_DEP_2)
	v_add_co_u32 v37, vcc_lo, s2, v37
	s_wait_alu 0xfffd
	v_add_co_ci_u32_e64 v38, null, s3, v38, vcc_lo
	global_store_b32 v[37:38], v14, off
.LBB2370_136:
	s_wait_alu 0xfffe
	s_or_b32 exec_lo, exec_lo, s0
	v_cmp_lt_u64_e32 vcc_lo, v[23:24], v[15:16]
	v_cmp_eq_u32_e64 s0, 1, v33
	;; [unrolled: 18-line block ×6, first 2 shown]
	s_or_b32 s1, s17, vcc_lo
	s_wait_alu 0xfffe
	s_and_b32 s1, s1, s0
	s_wait_alu 0xfffe
	s_and_saveexec_b32 s0, s1
	s_cbranch_execz .LBB2370_146
; %bb.145:
	v_lshlrev_b64_e32 v[7:8], 2, v[17:18]
	s_delay_alu instid0(VALU_DEP_1) | instskip(SKIP_1) | instid1(VALU_DEP_2)
	v_add_co_u32 v7, vcc_lo, s2, v7
	s_wait_alu 0xfffd
	v_add_co_ci_u32_e64 v8, null, s3, v8, vcc_lo
	global_store_b32 v[7:8], v29, off
.LBB2370_146:
	s_wait_alu 0xfffe
	s_or_b32 exec_lo, exec_lo, s0
	s_branch .LBB2370_130
.LBB2370_147:
	s_mov_b32 s0, exec_lo
	v_cmpx_eq_u32_e32 1, v36
; %bb.148:
	v_sub_nc_u32_e32 v1, v27, v4
	s_delay_alu instid0(VALU_DEP_1)
	v_lshlrev_b32_e32 v1, 2, v1
	ds_store_b32 v1, v13
; %bb.149:
	s_wait_alu 0xfffe
	s_or_b32 exec_lo, exec_lo, s0
	s_delay_alu instid0(SALU_CYCLE_1)
	s_mov_b32 s0, exec_lo
	v_cmpx_eq_u32_e32 1, v35
; %bb.150:
	v_sub_nc_u32_e32 v1, v25, v4
	s_delay_alu instid0(VALU_DEP_1)
	v_lshlrev_b32_e32 v1, 2, v1
	ds_store_b32 v1, v14
; %bb.151:
	s_wait_alu 0xfffe
	s_or_b32 exec_lo, exec_lo, s0
	s_delay_alu instid0(SALU_CYCLE_1)
	;; [unrolled: 11-line block ×6, first 2 shown]
	s_mov_b32 s0, exec_lo
	v_cmpx_eq_u32_e32 1, v30
; %bb.160:
	v_sub_nc_u32_e32 v1, v17, v4
	s_delay_alu instid0(VALU_DEP_1)
	v_lshlrev_b32_e32 v1, 2, v1
	ds_store_b32 v1, v29
; %bb.161:
	s_wait_alu 0xfffe
	s_or_b32 exec_lo, exec_lo, s0
	v_lshlrev_b64_e32 v[8:9], 2, v[4:5]
	v_mov_b32_e32 v7, 0
	s_lshl_b64 s[0:1], s[10:11], 2
	s_wait_storecnt 0x0
	s_wait_loadcnt_dscnt 0x0
	s_barrier_signal -1
	s_barrier_wait -1
	s_wait_kmcnt 0x0
	v_add_co_u32 v6, vcc_lo, s4, v8
	s_wait_alu 0xfffd
	v_add_co_ci_u32_e64 v8, null, s5, v9, vcc_lo
	global_inv scope:SCOPE_SE
	s_wait_alu 0xfffe
	v_add_co_u32 v10, vcc_lo, v6, s0
	v_dual_mov_b32 v1, v7 :: v_dual_add_nc_u32 v6, 0x180, v0
	s_wait_alu 0xfffd
	v_add_co_ci_u32_e64 v11, null, s1, v8, vcc_lo
	s_mov_b32 s1, 0
	v_dual_mov_b32 v9, v1 :: v_dual_mov_b32 v8, v0
.LBB2370_162:                           ; =>This Inner Loop Header: Depth=1
	s_delay_alu instid0(VALU_DEP_1) | instskip(NEXT) | instid1(VALU_DEP_2)
	v_lshlrev_b32_e32 v1, 2, v8
	v_lshlrev_b64_e32 v[12:13], 2, v[8:9]
	v_dual_mov_b32 v9, v7 :: v_dual_mov_b32 v8, v6
	v_cmp_le_u64_e32 vcc_lo, v[2:3], v[6:7]
	ds_load_b32 v1, v1
	v_add_nc_u32_e32 v6, 0x180, v6
	v_add_co_u32 v12, s0, v10, v12
	s_wait_alu 0xf1ff
	v_add_co_ci_u32_e64 v13, null, v11, v13, s0
	s_wait_alu 0xfffe
	s_or_b32 s1, vcc_lo, s1
	s_wait_dscnt 0x0
	global_store_b32 v[12:13], v1, off
	s_wait_alu 0xfffe
	s_and_not1_b32 exec_lo, exec_lo, s1
	s_cbranch_execnz .LBB2370_162
; %bb.163:
	s_or_b32 exec_lo, exec_lo, s1
	v_cmp_eq_u32_e32 vcc_lo, 0, v0
	s_and_b32 s0, vcc_lo, s16
	s_wait_alu 0xfffe
	s_and_saveexec_b32 s1, s0
	s_cbranch_execz .LBB2370_131
.LBB2370_164:
	v_add_co_u32 v0, vcc_lo, v4, v2
	s_wait_alu 0xfffd
	v_add_co_ci_u32_e64 v1, null, v5, v3, vcc_lo
	v_mov_b32_e32 v2, 0
	s_delay_alu instid0(VALU_DEP_3) | instskip(SKIP_1) | instid1(VALU_DEP_3)
	v_add_co_u32 v0, vcc_lo, v0, s10
	s_wait_alu 0xfffd
	v_add_co_ci_u32_e64 v1, null, s11, v1, vcc_lo
	global_store_b64 v2, v[0:1], s[8:9]
	s_endpgm
	.section	.rodata,"a",@progbits
	.p2align	6, 0x0
	.amdhsa_kernel _ZN7rocprim17ROCPRIM_400000_NS6detail17trampoline_kernelINS0_14default_configENS1_25partition_config_selectorILNS1_17partition_subalgoE5EfNS0_10empty_typeEbEEZZNS1_14partition_implILS5_5ELb0ES3_mN6thrust23THRUST_200600_302600_NS6detail15normal_iteratorINSA_10device_ptrIfEEEEPS6_NSA_18transform_iteratorINSB_9not_fun_tI7is_trueIfEEENSC_INSD_IbEEEENSA_11use_defaultESO_EENS0_5tupleIJSF_S6_EEENSQ_IJSG_SG_EEES6_PlJS6_EEE10hipError_tPvRmT3_T4_T5_T6_T7_T9_mT8_P12ihipStream_tbDpT10_ENKUlT_T0_E_clISt17integral_constantIbLb0EES1D_EEDaS18_S19_EUlS18_E_NS1_11comp_targetILNS1_3genE10ELNS1_11target_archE1200ELNS1_3gpuE4ELNS1_3repE0EEENS1_30default_config_static_selectorELNS0_4arch9wavefront6targetE0EEEvT1_
		.amdhsa_group_segment_fixed_size 10768
		.amdhsa_private_segment_fixed_size 0
		.amdhsa_kernarg_size 120
		.amdhsa_user_sgpr_count 2
		.amdhsa_user_sgpr_dispatch_ptr 0
		.amdhsa_user_sgpr_queue_ptr 0
		.amdhsa_user_sgpr_kernarg_segment_ptr 1
		.amdhsa_user_sgpr_dispatch_id 0
		.amdhsa_user_sgpr_private_segment_size 0
		.amdhsa_wavefront_size32 1
		.amdhsa_uses_dynamic_stack 0
		.amdhsa_enable_private_segment 0
		.amdhsa_system_sgpr_workgroup_id_x 1
		.amdhsa_system_sgpr_workgroup_id_y 0
		.amdhsa_system_sgpr_workgroup_id_z 0
		.amdhsa_system_sgpr_workgroup_info 0
		.amdhsa_system_vgpr_workitem_id 0
		.amdhsa_next_free_vgpr 47
		.amdhsa_next_free_sgpr 21
		.amdhsa_reserve_vcc 1
		.amdhsa_float_round_mode_32 0
		.amdhsa_float_round_mode_16_64 0
		.amdhsa_float_denorm_mode_32 3
		.amdhsa_float_denorm_mode_16_64 3
		.amdhsa_fp16_overflow 0
		.amdhsa_workgroup_processor_mode 1
		.amdhsa_memory_ordered 1
		.amdhsa_forward_progress 1
		.amdhsa_inst_pref_size 67
		.amdhsa_round_robin_scheduling 0
		.amdhsa_exception_fp_ieee_invalid_op 0
		.amdhsa_exception_fp_denorm_src 0
		.amdhsa_exception_fp_ieee_div_zero 0
		.amdhsa_exception_fp_ieee_overflow 0
		.amdhsa_exception_fp_ieee_underflow 0
		.amdhsa_exception_fp_ieee_inexact 0
		.amdhsa_exception_int_div_zero 0
	.end_amdhsa_kernel
	.section	.text._ZN7rocprim17ROCPRIM_400000_NS6detail17trampoline_kernelINS0_14default_configENS1_25partition_config_selectorILNS1_17partition_subalgoE5EfNS0_10empty_typeEbEEZZNS1_14partition_implILS5_5ELb0ES3_mN6thrust23THRUST_200600_302600_NS6detail15normal_iteratorINSA_10device_ptrIfEEEEPS6_NSA_18transform_iteratorINSB_9not_fun_tI7is_trueIfEEENSC_INSD_IbEEEENSA_11use_defaultESO_EENS0_5tupleIJSF_S6_EEENSQ_IJSG_SG_EEES6_PlJS6_EEE10hipError_tPvRmT3_T4_T5_T6_T7_T9_mT8_P12ihipStream_tbDpT10_ENKUlT_T0_E_clISt17integral_constantIbLb0EES1D_EEDaS18_S19_EUlS18_E_NS1_11comp_targetILNS1_3genE10ELNS1_11target_archE1200ELNS1_3gpuE4ELNS1_3repE0EEENS1_30default_config_static_selectorELNS0_4arch9wavefront6targetE0EEEvT1_,"axG",@progbits,_ZN7rocprim17ROCPRIM_400000_NS6detail17trampoline_kernelINS0_14default_configENS1_25partition_config_selectorILNS1_17partition_subalgoE5EfNS0_10empty_typeEbEEZZNS1_14partition_implILS5_5ELb0ES3_mN6thrust23THRUST_200600_302600_NS6detail15normal_iteratorINSA_10device_ptrIfEEEEPS6_NSA_18transform_iteratorINSB_9not_fun_tI7is_trueIfEEENSC_INSD_IbEEEENSA_11use_defaultESO_EENS0_5tupleIJSF_S6_EEENSQ_IJSG_SG_EEES6_PlJS6_EEE10hipError_tPvRmT3_T4_T5_T6_T7_T9_mT8_P12ihipStream_tbDpT10_ENKUlT_T0_E_clISt17integral_constantIbLb0EES1D_EEDaS18_S19_EUlS18_E_NS1_11comp_targetILNS1_3genE10ELNS1_11target_archE1200ELNS1_3gpuE4ELNS1_3repE0EEENS1_30default_config_static_selectorELNS0_4arch9wavefront6targetE0EEEvT1_,comdat
.Lfunc_end2370:
	.size	_ZN7rocprim17ROCPRIM_400000_NS6detail17trampoline_kernelINS0_14default_configENS1_25partition_config_selectorILNS1_17partition_subalgoE5EfNS0_10empty_typeEbEEZZNS1_14partition_implILS5_5ELb0ES3_mN6thrust23THRUST_200600_302600_NS6detail15normal_iteratorINSA_10device_ptrIfEEEEPS6_NSA_18transform_iteratorINSB_9not_fun_tI7is_trueIfEEENSC_INSD_IbEEEENSA_11use_defaultESO_EENS0_5tupleIJSF_S6_EEENSQ_IJSG_SG_EEES6_PlJS6_EEE10hipError_tPvRmT3_T4_T5_T6_T7_T9_mT8_P12ihipStream_tbDpT10_ENKUlT_T0_E_clISt17integral_constantIbLb0EES1D_EEDaS18_S19_EUlS18_E_NS1_11comp_targetILNS1_3genE10ELNS1_11target_archE1200ELNS1_3gpuE4ELNS1_3repE0EEENS1_30default_config_static_selectorELNS0_4arch9wavefront6targetE0EEEvT1_, .Lfunc_end2370-_ZN7rocprim17ROCPRIM_400000_NS6detail17trampoline_kernelINS0_14default_configENS1_25partition_config_selectorILNS1_17partition_subalgoE5EfNS0_10empty_typeEbEEZZNS1_14partition_implILS5_5ELb0ES3_mN6thrust23THRUST_200600_302600_NS6detail15normal_iteratorINSA_10device_ptrIfEEEEPS6_NSA_18transform_iteratorINSB_9not_fun_tI7is_trueIfEEENSC_INSD_IbEEEENSA_11use_defaultESO_EENS0_5tupleIJSF_S6_EEENSQ_IJSG_SG_EEES6_PlJS6_EEE10hipError_tPvRmT3_T4_T5_T6_T7_T9_mT8_P12ihipStream_tbDpT10_ENKUlT_T0_E_clISt17integral_constantIbLb0EES1D_EEDaS18_S19_EUlS18_E_NS1_11comp_targetILNS1_3genE10ELNS1_11target_archE1200ELNS1_3gpuE4ELNS1_3repE0EEENS1_30default_config_static_selectorELNS0_4arch9wavefront6targetE0EEEvT1_
                                        ; -- End function
	.set _ZN7rocprim17ROCPRIM_400000_NS6detail17trampoline_kernelINS0_14default_configENS1_25partition_config_selectorILNS1_17partition_subalgoE5EfNS0_10empty_typeEbEEZZNS1_14partition_implILS5_5ELb0ES3_mN6thrust23THRUST_200600_302600_NS6detail15normal_iteratorINSA_10device_ptrIfEEEEPS6_NSA_18transform_iteratorINSB_9not_fun_tI7is_trueIfEEENSC_INSD_IbEEEENSA_11use_defaultESO_EENS0_5tupleIJSF_S6_EEENSQ_IJSG_SG_EEES6_PlJS6_EEE10hipError_tPvRmT3_T4_T5_T6_T7_T9_mT8_P12ihipStream_tbDpT10_ENKUlT_T0_E_clISt17integral_constantIbLb0EES1D_EEDaS18_S19_EUlS18_E_NS1_11comp_targetILNS1_3genE10ELNS1_11target_archE1200ELNS1_3gpuE4ELNS1_3repE0EEENS1_30default_config_static_selectorELNS0_4arch9wavefront6targetE0EEEvT1_.num_vgpr, 47
	.set _ZN7rocprim17ROCPRIM_400000_NS6detail17trampoline_kernelINS0_14default_configENS1_25partition_config_selectorILNS1_17partition_subalgoE5EfNS0_10empty_typeEbEEZZNS1_14partition_implILS5_5ELb0ES3_mN6thrust23THRUST_200600_302600_NS6detail15normal_iteratorINSA_10device_ptrIfEEEEPS6_NSA_18transform_iteratorINSB_9not_fun_tI7is_trueIfEEENSC_INSD_IbEEEENSA_11use_defaultESO_EENS0_5tupleIJSF_S6_EEENSQ_IJSG_SG_EEES6_PlJS6_EEE10hipError_tPvRmT3_T4_T5_T6_T7_T9_mT8_P12ihipStream_tbDpT10_ENKUlT_T0_E_clISt17integral_constantIbLb0EES1D_EEDaS18_S19_EUlS18_E_NS1_11comp_targetILNS1_3genE10ELNS1_11target_archE1200ELNS1_3gpuE4ELNS1_3repE0EEENS1_30default_config_static_selectorELNS0_4arch9wavefront6targetE0EEEvT1_.num_agpr, 0
	.set _ZN7rocprim17ROCPRIM_400000_NS6detail17trampoline_kernelINS0_14default_configENS1_25partition_config_selectorILNS1_17partition_subalgoE5EfNS0_10empty_typeEbEEZZNS1_14partition_implILS5_5ELb0ES3_mN6thrust23THRUST_200600_302600_NS6detail15normal_iteratorINSA_10device_ptrIfEEEEPS6_NSA_18transform_iteratorINSB_9not_fun_tI7is_trueIfEEENSC_INSD_IbEEEENSA_11use_defaultESO_EENS0_5tupleIJSF_S6_EEENSQ_IJSG_SG_EEES6_PlJS6_EEE10hipError_tPvRmT3_T4_T5_T6_T7_T9_mT8_P12ihipStream_tbDpT10_ENKUlT_T0_E_clISt17integral_constantIbLb0EES1D_EEDaS18_S19_EUlS18_E_NS1_11comp_targetILNS1_3genE10ELNS1_11target_archE1200ELNS1_3gpuE4ELNS1_3repE0EEENS1_30default_config_static_selectorELNS0_4arch9wavefront6targetE0EEEvT1_.numbered_sgpr, 21
	.set _ZN7rocprim17ROCPRIM_400000_NS6detail17trampoline_kernelINS0_14default_configENS1_25partition_config_selectorILNS1_17partition_subalgoE5EfNS0_10empty_typeEbEEZZNS1_14partition_implILS5_5ELb0ES3_mN6thrust23THRUST_200600_302600_NS6detail15normal_iteratorINSA_10device_ptrIfEEEEPS6_NSA_18transform_iteratorINSB_9not_fun_tI7is_trueIfEEENSC_INSD_IbEEEENSA_11use_defaultESO_EENS0_5tupleIJSF_S6_EEENSQ_IJSG_SG_EEES6_PlJS6_EEE10hipError_tPvRmT3_T4_T5_T6_T7_T9_mT8_P12ihipStream_tbDpT10_ENKUlT_T0_E_clISt17integral_constantIbLb0EES1D_EEDaS18_S19_EUlS18_E_NS1_11comp_targetILNS1_3genE10ELNS1_11target_archE1200ELNS1_3gpuE4ELNS1_3repE0EEENS1_30default_config_static_selectorELNS0_4arch9wavefront6targetE0EEEvT1_.num_named_barrier, 0
	.set _ZN7rocprim17ROCPRIM_400000_NS6detail17trampoline_kernelINS0_14default_configENS1_25partition_config_selectorILNS1_17partition_subalgoE5EfNS0_10empty_typeEbEEZZNS1_14partition_implILS5_5ELb0ES3_mN6thrust23THRUST_200600_302600_NS6detail15normal_iteratorINSA_10device_ptrIfEEEEPS6_NSA_18transform_iteratorINSB_9not_fun_tI7is_trueIfEEENSC_INSD_IbEEEENSA_11use_defaultESO_EENS0_5tupleIJSF_S6_EEENSQ_IJSG_SG_EEES6_PlJS6_EEE10hipError_tPvRmT3_T4_T5_T6_T7_T9_mT8_P12ihipStream_tbDpT10_ENKUlT_T0_E_clISt17integral_constantIbLb0EES1D_EEDaS18_S19_EUlS18_E_NS1_11comp_targetILNS1_3genE10ELNS1_11target_archE1200ELNS1_3gpuE4ELNS1_3repE0EEENS1_30default_config_static_selectorELNS0_4arch9wavefront6targetE0EEEvT1_.private_seg_size, 0
	.set _ZN7rocprim17ROCPRIM_400000_NS6detail17trampoline_kernelINS0_14default_configENS1_25partition_config_selectorILNS1_17partition_subalgoE5EfNS0_10empty_typeEbEEZZNS1_14partition_implILS5_5ELb0ES3_mN6thrust23THRUST_200600_302600_NS6detail15normal_iteratorINSA_10device_ptrIfEEEEPS6_NSA_18transform_iteratorINSB_9not_fun_tI7is_trueIfEEENSC_INSD_IbEEEENSA_11use_defaultESO_EENS0_5tupleIJSF_S6_EEENSQ_IJSG_SG_EEES6_PlJS6_EEE10hipError_tPvRmT3_T4_T5_T6_T7_T9_mT8_P12ihipStream_tbDpT10_ENKUlT_T0_E_clISt17integral_constantIbLb0EES1D_EEDaS18_S19_EUlS18_E_NS1_11comp_targetILNS1_3genE10ELNS1_11target_archE1200ELNS1_3gpuE4ELNS1_3repE0EEENS1_30default_config_static_selectorELNS0_4arch9wavefront6targetE0EEEvT1_.uses_vcc, 1
	.set _ZN7rocprim17ROCPRIM_400000_NS6detail17trampoline_kernelINS0_14default_configENS1_25partition_config_selectorILNS1_17partition_subalgoE5EfNS0_10empty_typeEbEEZZNS1_14partition_implILS5_5ELb0ES3_mN6thrust23THRUST_200600_302600_NS6detail15normal_iteratorINSA_10device_ptrIfEEEEPS6_NSA_18transform_iteratorINSB_9not_fun_tI7is_trueIfEEENSC_INSD_IbEEEENSA_11use_defaultESO_EENS0_5tupleIJSF_S6_EEENSQ_IJSG_SG_EEES6_PlJS6_EEE10hipError_tPvRmT3_T4_T5_T6_T7_T9_mT8_P12ihipStream_tbDpT10_ENKUlT_T0_E_clISt17integral_constantIbLb0EES1D_EEDaS18_S19_EUlS18_E_NS1_11comp_targetILNS1_3genE10ELNS1_11target_archE1200ELNS1_3gpuE4ELNS1_3repE0EEENS1_30default_config_static_selectorELNS0_4arch9wavefront6targetE0EEEvT1_.uses_flat_scratch, 1
	.set _ZN7rocprim17ROCPRIM_400000_NS6detail17trampoline_kernelINS0_14default_configENS1_25partition_config_selectorILNS1_17partition_subalgoE5EfNS0_10empty_typeEbEEZZNS1_14partition_implILS5_5ELb0ES3_mN6thrust23THRUST_200600_302600_NS6detail15normal_iteratorINSA_10device_ptrIfEEEEPS6_NSA_18transform_iteratorINSB_9not_fun_tI7is_trueIfEEENSC_INSD_IbEEEENSA_11use_defaultESO_EENS0_5tupleIJSF_S6_EEENSQ_IJSG_SG_EEES6_PlJS6_EEE10hipError_tPvRmT3_T4_T5_T6_T7_T9_mT8_P12ihipStream_tbDpT10_ENKUlT_T0_E_clISt17integral_constantIbLb0EES1D_EEDaS18_S19_EUlS18_E_NS1_11comp_targetILNS1_3genE10ELNS1_11target_archE1200ELNS1_3gpuE4ELNS1_3repE0EEENS1_30default_config_static_selectorELNS0_4arch9wavefront6targetE0EEEvT1_.has_dyn_sized_stack, 0
	.set _ZN7rocprim17ROCPRIM_400000_NS6detail17trampoline_kernelINS0_14default_configENS1_25partition_config_selectorILNS1_17partition_subalgoE5EfNS0_10empty_typeEbEEZZNS1_14partition_implILS5_5ELb0ES3_mN6thrust23THRUST_200600_302600_NS6detail15normal_iteratorINSA_10device_ptrIfEEEEPS6_NSA_18transform_iteratorINSB_9not_fun_tI7is_trueIfEEENSC_INSD_IbEEEENSA_11use_defaultESO_EENS0_5tupleIJSF_S6_EEENSQ_IJSG_SG_EEES6_PlJS6_EEE10hipError_tPvRmT3_T4_T5_T6_T7_T9_mT8_P12ihipStream_tbDpT10_ENKUlT_T0_E_clISt17integral_constantIbLb0EES1D_EEDaS18_S19_EUlS18_E_NS1_11comp_targetILNS1_3genE10ELNS1_11target_archE1200ELNS1_3gpuE4ELNS1_3repE0EEENS1_30default_config_static_selectorELNS0_4arch9wavefront6targetE0EEEvT1_.has_recursion, 0
	.set _ZN7rocprim17ROCPRIM_400000_NS6detail17trampoline_kernelINS0_14default_configENS1_25partition_config_selectorILNS1_17partition_subalgoE5EfNS0_10empty_typeEbEEZZNS1_14partition_implILS5_5ELb0ES3_mN6thrust23THRUST_200600_302600_NS6detail15normal_iteratorINSA_10device_ptrIfEEEEPS6_NSA_18transform_iteratorINSB_9not_fun_tI7is_trueIfEEENSC_INSD_IbEEEENSA_11use_defaultESO_EENS0_5tupleIJSF_S6_EEENSQ_IJSG_SG_EEES6_PlJS6_EEE10hipError_tPvRmT3_T4_T5_T6_T7_T9_mT8_P12ihipStream_tbDpT10_ENKUlT_T0_E_clISt17integral_constantIbLb0EES1D_EEDaS18_S19_EUlS18_E_NS1_11comp_targetILNS1_3genE10ELNS1_11target_archE1200ELNS1_3gpuE4ELNS1_3repE0EEENS1_30default_config_static_selectorELNS0_4arch9wavefront6targetE0EEEvT1_.has_indirect_call, 0
	.section	.AMDGPU.csdata,"",@progbits
; Kernel info:
; codeLenInByte = 8552
; TotalNumSgprs: 23
; NumVgprs: 47
; ScratchSize: 0
; MemoryBound: 0
; FloatMode: 240
; IeeeMode: 1
; LDSByteSize: 10768 bytes/workgroup (compile time only)
; SGPRBlocks: 0
; VGPRBlocks: 5
; NumSGPRsForWavesPerEU: 23
; NumVGPRsForWavesPerEU: 47
; Occupancy: 15
; WaveLimiterHint : 1
; COMPUTE_PGM_RSRC2:SCRATCH_EN: 0
; COMPUTE_PGM_RSRC2:USER_SGPR: 2
; COMPUTE_PGM_RSRC2:TRAP_HANDLER: 0
; COMPUTE_PGM_RSRC2:TGID_X_EN: 1
; COMPUTE_PGM_RSRC2:TGID_Y_EN: 0
; COMPUTE_PGM_RSRC2:TGID_Z_EN: 0
; COMPUTE_PGM_RSRC2:TIDIG_COMP_CNT: 0
	.section	.text._ZN7rocprim17ROCPRIM_400000_NS6detail17trampoline_kernelINS0_14default_configENS1_25partition_config_selectorILNS1_17partition_subalgoE5EfNS0_10empty_typeEbEEZZNS1_14partition_implILS5_5ELb0ES3_mN6thrust23THRUST_200600_302600_NS6detail15normal_iteratorINSA_10device_ptrIfEEEEPS6_NSA_18transform_iteratorINSB_9not_fun_tI7is_trueIfEEENSC_INSD_IbEEEENSA_11use_defaultESO_EENS0_5tupleIJSF_S6_EEENSQ_IJSG_SG_EEES6_PlJS6_EEE10hipError_tPvRmT3_T4_T5_T6_T7_T9_mT8_P12ihipStream_tbDpT10_ENKUlT_T0_E_clISt17integral_constantIbLb0EES1D_EEDaS18_S19_EUlS18_E_NS1_11comp_targetILNS1_3genE9ELNS1_11target_archE1100ELNS1_3gpuE3ELNS1_3repE0EEENS1_30default_config_static_selectorELNS0_4arch9wavefront6targetE0EEEvT1_,"axG",@progbits,_ZN7rocprim17ROCPRIM_400000_NS6detail17trampoline_kernelINS0_14default_configENS1_25partition_config_selectorILNS1_17partition_subalgoE5EfNS0_10empty_typeEbEEZZNS1_14partition_implILS5_5ELb0ES3_mN6thrust23THRUST_200600_302600_NS6detail15normal_iteratorINSA_10device_ptrIfEEEEPS6_NSA_18transform_iteratorINSB_9not_fun_tI7is_trueIfEEENSC_INSD_IbEEEENSA_11use_defaultESO_EENS0_5tupleIJSF_S6_EEENSQ_IJSG_SG_EEES6_PlJS6_EEE10hipError_tPvRmT3_T4_T5_T6_T7_T9_mT8_P12ihipStream_tbDpT10_ENKUlT_T0_E_clISt17integral_constantIbLb0EES1D_EEDaS18_S19_EUlS18_E_NS1_11comp_targetILNS1_3genE9ELNS1_11target_archE1100ELNS1_3gpuE3ELNS1_3repE0EEENS1_30default_config_static_selectorELNS0_4arch9wavefront6targetE0EEEvT1_,comdat
	.protected	_ZN7rocprim17ROCPRIM_400000_NS6detail17trampoline_kernelINS0_14default_configENS1_25partition_config_selectorILNS1_17partition_subalgoE5EfNS0_10empty_typeEbEEZZNS1_14partition_implILS5_5ELb0ES3_mN6thrust23THRUST_200600_302600_NS6detail15normal_iteratorINSA_10device_ptrIfEEEEPS6_NSA_18transform_iteratorINSB_9not_fun_tI7is_trueIfEEENSC_INSD_IbEEEENSA_11use_defaultESO_EENS0_5tupleIJSF_S6_EEENSQ_IJSG_SG_EEES6_PlJS6_EEE10hipError_tPvRmT3_T4_T5_T6_T7_T9_mT8_P12ihipStream_tbDpT10_ENKUlT_T0_E_clISt17integral_constantIbLb0EES1D_EEDaS18_S19_EUlS18_E_NS1_11comp_targetILNS1_3genE9ELNS1_11target_archE1100ELNS1_3gpuE3ELNS1_3repE0EEENS1_30default_config_static_selectorELNS0_4arch9wavefront6targetE0EEEvT1_ ; -- Begin function _ZN7rocprim17ROCPRIM_400000_NS6detail17trampoline_kernelINS0_14default_configENS1_25partition_config_selectorILNS1_17partition_subalgoE5EfNS0_10empty_typeEbEEZZNS1_14partition_implILS5_5ELb0ES3_mN6thrust23THRUST_200600_302600_NS6detail15normal_iteratorINSA_10device_ptrIfEEEEPS6_NSA_18transform_iteratorINSB_9not_fun_tI7is_trueIfEEENSC_INSD_IbEEEENSA_11use_defaultESO_EENS0_5tupleIJSF_S6_EEENSQ_IJSG_SG_EEES6_PlJS6_EEE10hipError_tPvRmT3_T4_T5_T6_T7_T9_mT8_P12ihipStream_tbDpT10_ENKUlT_T0_E_clISt17integral_constantIbLb0EES1D_EEDaS18_S19_EUlS18_E_NS1_11comp_targetILNS1_3genE9ELNS1_11target_archE1100ELNS1_3gpuE3ELNS1_3repE0EEENS1_30default_config_static_selectorELNS0_4arch9wavefront6targetE0EEEvT1_
	.globl	_ZN7rocprim17ROCPRIM_400000_NS6detail17trampoline_kernelINS0_14default_configENS1_25partition_config_selectorILNS1_17partition_subalgoE5EfNS0_10empty_typeEbEEZZNS1_14partition_implILS5_5ELb0ES3_mN6thrust23THRUST_200600_302600_NS6detail15normal_iteratorINSA_10device_ptrIfEEEEPS6_NSA_18transform_iteratorINSB_9not_fun_tI7is_trueIfEEENSC_INSD_IbEEEENSA_11use_defaultESO_EENS0_5tupleIJSF_S6_EEENSQ_IJSG_SG_EEES6_PlJS6_EEE10hipError_tPvRmT3_T4_T5_T6_T7_T9_mT8_P12ihipStream_tbDpT10_ENKUlT_T0_E_clISt17integral_constantIbLb0EES1D_EEDaS18_S19_EUlS18_E_NS1_11comp_targetILNS1_3genE9ELNS1_11target_archE1100ELNS1_3gpuE3ELNS1_3repE0EEENS1_30default_config_static_selectorELNS0_4arch9wavefront6targetE0EEEvT1_
	.p2align	8
	.type	_ZN7rocprim17ROCPRIM_400000_NS6detail17trampoline_kernelINS0_14default_configENS1_25partition_config_selectorILNS1_17partition_subalgoE5EfNS0_10empty_typeEbEEZZNS1_14partition_implILS5_5ELb0ES3_mN6thrust23THRUST_200600_302600_NS6detail15normal_iteratorINSA_10device_ptrIfEEEEPS6_NSA_18transform_iteratorINSB_9not_fun_tI7is_trueIfEEENSC_INSD_IbEEEENSA_11use_defaultESO_EENS0_5tupleIJSF_S6_EEENSQ_IJSG_SG_EEES6_PlJS6_EEE10hipError_tPvRmT3_T4_T5_T6_T7_T9_mT8_P12ihipStream_tbDpT10_ENKUlT_T0_E_clISt17integral_constantIbLb0EES1D_EEDaS18_S19_EUlS18_E_NS1_11comp_targetILNS1_3genE9ELNS1_11target_archE1100ELNS1_3gpuE3ELNS1_3repE0EEENS1_30default_config_static_selectorELNS0_4arch9wavefront6targetE0EEEvT1_,@function
_ZN7rocprim17ROCPRIM_400000_NS6detail17trampoline_kernelINS0_14default_configENS1_25partition_config_selectorILNS1_17partition_subalgoE5EfNS0_10empty_typeEbEEZZNS1_14partition_implILS5_5ELb0ES3_mN6thrust23THRUST_200600_302600_NS6detail15normal_iteratorINSA_10device_ptrIfEEEEPS6_NSA_18transform_iteratorINSB_9not_fun_tI7is_trueIfEEENSC_INSD_IbEEEENSA_11use_defaultESO_EENS0_5tupleIJSF_S6_EEENSQ_IJSG_SG_EEES6_PlJS6_EEE10hipError_tPvRmT3_T4_T5_T6_T7_T9_mT8_P12ihipStream_tbDpT10_ENKUlT_T0_E_clISt17integral_constantIbLb0EES1D_EEDaS18_S19_EUlS18_E_NS1_11comp_targetILNS1_3genE9ELNS1_11target_archE1100ELNS1_3gpuE3ELNS1_3repE0EEENS1_30default_config_static_selectorELNS0_4arch9wavefront6targetE0EEEvT1_: ; @_ZN7rocprim17ROCPRIM_400000_NS6detail17trampoline_kernelINS0_14default_configENS1_25partition_config_selectorILNS1_17partition_subalgoE5EfNS0_10empty_typeEbEEZZNS1_14partition_implILS5_5ELb0ES3_mN6thrust23THRUST_200600_302600_NS6detail15normal_iteratorINSA_10device_ptrIfEEEEPS6_NSA_18transform_iteratorINSB_9not_fun_tI7is_trueIfEEENSC_INSD_IbEEEENSA_11use_defaultESO_EENS0_5tupleIJSF_S6_EEENSQ_IJSG_SG_EEES6_PlJS6_EEE10hipError_tPvRmT3_T4_T5_T6_T7_T9_mT8_P12ihipStream_tbDpT10_ENKUlT_T0_E_clISt17integral_constantIbLb0EES1D_EEDaS18_S19_EUlS18_E_NS1_11comp_targetILNS1_3genE9ELNS1_11target_archE1100ELNS1_3gpuE3ELNS1_3repE0EEENS1_30default_config_static_selectorELNS0_4arch9wavefront6targetE0EEEvT1_
; %bb.0:
	.section	.rodata,"a",@progbits
	.p2align	6, 0x0
	.amdhsa_kernel _ZN7rocprim17ROCPRIM_400000_NS6detail17trampoline_kernelINS0_14default_configENS1_25partition_config_selectorILNS1_17partition_subalgoE5EfNS0_10empty_typeEbEEZZNS1_14partition_implILS5_5ELb0ES3_mN6thrust23THRUST_200600_302600_NS6detail15normal_iteratorINSA_10device_ptrIfEEEEPS6_NSA_18transform_iteratorINSB_9not_fun_tI7is_trueIfEEENSC_INSD_IbEEEENSA_11use_defaultESO_EENS0_5tupleIJSF_S6_EEENSQ_IJSG_SG_EEES6_PlJS6_EEE10hipError_tPvRmT3_T4_T5_T6_T7_T9_mT8_P12ihipStream_tbDpT10_ENKUlT_T0_E_clISt17integral_constantIbLb0EES1D_EEDaS18_S19_EUlS18_E_NS1_11comp_targetILNS1_3genE9ELNS1_11target_archE1100ELNS1_3gpuE3ELNS1_3repE0EEENS1_30default_config_static_selectorELNS0_4arch9wavefront6targetE0EEEvT1_
		.amdhsa_group_segment_fixed_size 0
		.amdhsa_private_segment_fixed_size 0
		.amdhsa_kernarg_size 120
		.amdhsa_user_sgpr_count 2
		.amdhsa_user_sgpr_dispatch_ptr 0
		.amdhsa_user_sgpr_queue_ptr 0
		.amdhsa_user_sgpr_kernarg_segment_ptr 1
		.amdhsa_user_sgpr_dispatch_id 0
		.amdhsa_user_sgpr_private_segment_size 0
		.amdhsa_wavefront_size32 1
		.amdhsa_uses_dynamic_stack 0
		.amdhsa_enable_private_segment 0
		.amdhsa_system_sgpr_workgroup_id_x 1
		.amdhsa_system_sgpr_workgroup_id_y 0
		.amdhsa_system_sgpr_workgroup_id_z 0
		.amdhsa_system_sgpr_workgroup_info 0
		.amdhsa_system_vgpr_workitem_id 0
		.amdhsa_next_free_vgpr 1
		.amdhsa_next_free_sgpr 1
		.amdhsa_reserve_vcc 0
		.amdhsa_float_round_mode_32 0
		.amdhsa_float_round_mode_16_64 0
		.amdhsa_float_denorm_mode_32 3
		.amdhsa_float_denorm_mode_16_64 3
		.amdhsa_fp16_overflow 0
		.amdhsa_workgroup_processor_mode 1
		.amdhsa_memory_ordered 1
		.amdhsa_forward_progress 1
		.amdhsa_inst_pref_size 0
		.amdhsa_round_robin_scheduling 0
		.amdhsa_exception_fp_ieee_invalid_op 0
		.amdhsa_exception_fp_denorm_src 0
		.amdhsa_exception_fp_ieee_div_zero 0
		.amdhsa_exception_fp_ieee_overflow 0
		.amdhsa_exception_fp_ieee_underflow 0
		.amdhsa_exception_fp_ieee_inexact 0
		.amdhsa_exception_int_div_zero 0
	.end_amdhsa_kernel
	.section	.text._ZN7rocprim17ROCPRIM_400000_NS6detail17trampoline_kernelINS0_14default_configENS1_25partition_config_selectorILNS1_17partition_subalgoE5EfNS0_10empty_typeEbEEZZNS1_14partition_implILS5_5ELb0ES3_mN6thrust23THRUST_200600_302600_NS6detail15normal_iteratorINSA_10device_ptrIfEEEEPS6_NSA_18transform_iteratorINSB_9not_fun_tI7is_trueIfEEENSC_INSD_IbEEEENSA_11use_defaultESO_EENS0_5tupleIJSF_S6_EEENSQ_IJSG_SG_EEES6_PlJS6_EEE10hipError_tPvRmT3_T4_T5_T6_T7_T9_mT8_P12ihipStream_tbDpT10_ENKUlT_T0_E_clISt17integral_constantIbLb0EES1D_EEDaS18_S19_EUlS18_E_NS1_11comp_targetILNS1_3genE9ELNS1_11target_archE1100ELNS1_3gpuE3ELNS1_3repE0EEENS1_30default_config_static_selectorELNS0_4arch9wavefront6targetE0EEEvT1_,"axG",@progbits,_ZN7rocprim17ROCPRIM_400000_NS6detail17trampoline_kernelINS0_14default_configENS1_25partition_config_selectorILNS1_17partition_subalgoE5EfNS0_10empty_typeEbEEZZNS1_14partition_implILS5_5ELb0ES3_mN6thrust23THRUST_200600_302600_NS6detail15normal_iteratorINSA_10device_ptrIfEEEEPS6_NSA_18transform_iteratorINSB_9not_fun_tI7is_trueIfEEENSC_INSD_IbEEEENSA_11use_defaultESO_EENS0_5tupleIJSF_S6_EEENSQ_IJSG_SG_EEES6_PlJS6_EEE10hipError_tPvRmT3_T4_T5_T6_T7_T9_mT8_P12ihipStream_tbDpT10_ENKUlT_T0_E_clISt17integral_constantIbLb0EES1D_EEDaS18_S19_EUlS18_E_NS1_11comp_targetILNS1_3genE9ELNS1_11target_archE1100ELNS1_3gpuE3ELNS1_3repE0EEENS1_30default_config_static_selectorELNS0_4arch9wavefront6targetE0EEEvT1_,comdat
.Lfunc_end2371:
	.size	_ZN7rocprim17ROCPRIM_400000_NS6detail17trampoline_kernelINS0_14default_configENS1_25partition_config_selectorILNS1_17partition_subalgoE5EfNS0_10empty_typeEbEEZZNS1_14partition_implILS5_5ELb0ES3_mN6thrust23THRUST_200600_302600_NS6detail15normal_iteratorINSA_10device_ptrIfEEEEPS6_NSA_18transform_iteratorINSB_9not_fun_tI7is_trueIfEEENSC_INSD_IbEEEENSA_11use_defaultESO_EENS0_5tupleIJSF_S6_EEENSQ_IJSG_SG_EEES6_PlJS6_EEE10hipError_tPvRmT3_T4_T5_T6_T7_T9_mT8_P12ihipStream_tbDpT10_ENKUlT_T0_E_clISt17integral_constantIbLb0EES1D_EEDaS18_S19_EUlS18_E_NS1_11comp_targetILNS1_3genE9ELNS1_11target_archE1100ELNS1_3gpuE3ELNS1_3repE0EEENS1_30default_config_static_selectorELNS0_4arch9wavefront6targetE0EEEvT1_, .Lfunc_end2371-_ZN7rocprim17ROCPRIM_400000_NS6detail17trampoline_kernelINS0_14default_configENS1_25partition_config_selectorILNS1_17partition_subalgoE5EfNS0_10empty_typeEbEEZZNS1_14partition_implILS5_5ELb0ES3_mN6thrust23THRUST_200600_302600_NS6detail15normal_iteratorINSA_10device_ptrIfEEEEPS6_NSA_18transform_iteratorINSB_9not_fun_tI7is_trueIfEEENSC_INSD_IbEEEENSA_11use_defaultESO_EENS0_5tupleIJSF_S6_EEENSQ_IJSG_SG_EEES6_PlJS6_EEE10hipError_tPvRmT3_T4_T5_T6_T7_T9_mT8_P12ihipStream_tbDpT10_ENKUlT_T0_E_clISt17integral_constantIbLb0EES1D_EEDaS18_S19_EUlS18_E_NS1_11comp_targetILNS1_3genE9ELNS1_11target_archE1100ELNS1_3gpuE3ELNS1_3repE0EEENS1_30default_config_static_selectorELNS0_4arch9wavefront6targetE0EEEvT1_
                                        ; -- End function
	.set _ZN7rocprim17ROCPRIM_400000_NS6detail17trampoline_kernelINS0_14default_configENS1_25partition_config_selectorILNS1_17partition_subalgoE5EfNS0_10empty_typeEbEEZZNS1_14partition_implILS5_5ELb0ES3_mN6thrust23THRUST_200600_302600_NS6detail15normal_iteratorINSA_10device_ptrIfEEEEPS6_NSA_18transform_iteratorINSB_9not_fun_tI7is_trueIfEEENSC_INSD_IbEEEENSA_11use_defaultESO_EENS0_5tupleIJSF_S6_EEENSQ_IJSG_SG_EEES6_PlJS6_EEE10hipError_tPvRmT3_T4_T5_T6_T7_T9_mT8_P12ihipStream_tbDpT10_ENKUlT_T0_E_clISt17integral_constantIbLb0EES1D_EEDaS18_S19_EUlS18_E_NS1_11comp_targetILNS1_3genE9ELNS1_11target_archE1100ELNS1_3gpuE3ELNS1_3repE0EEENS1_30default_config_static_selectorELNS0_4arch9wavefront6targetE0EEEvT1_.num_vgpr, 0
	.set _ZN7rocprim17ROCPRIM_400000_NS6detail17trampoline_kernelINS0_14default_configENS1_25partition_config_selectorILNS1_17partition_subalgoE5EfNS0_10empty_typeEbEEZZNS1_14partition_implILS5_5ELb0ES3_mN6thrust23THRUST_200600_302600_NS6detail15normal_iteratorINSA_10device_ptrIfEEEEPS6_NSA_18transform_iteratorINSB_9not_fun_tI7is_trueIfEEENSC_INSD_IbEEEENSA_11use_defaultESO_EENS0_5tupleIJSF_S6_EEENSQ_IJSG_SG_EEES6_PlJS6_EEE10hipError_tPvRmT3_T4_T5_T6_T7_T9_mT8_P12ihipStream_tbDpT10_ENKUlT_T0_E_clISt17integral_constantIbLb0EES1D_EEDaS18_S19_EUlS18_E_NS1_11comp_targetILNS1_3genE9ELNS1_11target_archE1100ELNS1_3gpuE3ELNS1_3repE0EEENS1_30default_config_static_selectorELNS0_4arch9wavefront6targetE0EEEvT1_.num_agpr, 0
	.set _ZN7rocprim17ROCPRIM_400000_NS6detail17trampoline_kernelINS0_14default_configENS1_25partition_config_selectorILNS1_17partition_subalgoE5EfNS0_10empty_typeEbEEZZNS1_14partition_implILS5_5ELb0ES3_mN6thrust23THRUST_200600_302600_NS6detail15normal_iteratorINSA_10device_ptrIfEEEEPS6_NSA_18transform_iteratorINSB_9not_fun_tI7is_trueIfEEENSC_INSD_IbEEEENSA_11use_defaultESO_EENS0_5tupleIJSF_S6_EEENSQ_IJSG_SG_EEES6_PlJS6_EEE10hipError_tPvRmT3_T4_T5_T6_T7_T9_mT8_P12ihipStream_tbDpT10_ENKUlT_T0_E_clISt17integral_constantIbLb0EES1D_EEDaS18_S19_EUlS18_E_NS1_11comp_targetILNS1_3genE9ELNS1_11target_archE1100ELNS1_3gpuE3ELNS1_3repE0EEENS1_30default_config_static_selectorELNS0_4arch9wavefront6targetE0EEEvT1_.numbered_sgpr, 0
	.set _ZN7rocprim17ROCPRIM_400000_NS6detail17trampoline_kernelINS0_14default_configENS1_25partition_config_selectorILNS1_17partition_subalgoE5EfNS0_10empty_typeEbEEZZNS1_14partition_implILS5_5ELb0ES3_mN6thrust23THRUST_200600_302600_NS6detail15normal_iteratorINSA_10device_ptrIfEEEEPS6_NSA_18transform_iteratorINSB_9not_fun_tI7is_trueIfEEENSC_INSD_IbEEEENSA_11use_defaultESO_EENS0_5tupleIJSF_S6_EEENSQ_IJSG_SG_EEES6_PlJS6_EEE10hipError_tPvRmT3_T4_T5_T6_T7_T9_mT8_P12ihipStream_tbDpT10_ENKUlT_T0_E_clISt17integral_constantIbLb0EES1D_EEDaS18_S19_EUlS18_E_NS1_11comp_targetILNS1_3genE9ELNS1_11target_archE1100ELNS1_3gpuE3ELNS1_3repE0EEENS1_30default_config_static_selectorELNS0_4arch9wavefront6targetE0EEEvT1_.num_named_barrier, 0
	.set _ZN7rocprim17ROCPRIM_400000_NS6detail17trampoline_kernelINS0_14default_configENS1_25partition_config_selectorILNS1_17partition_subalgoE5EfNS0_10empty_typeEbEEZZNS1_14partition_implILS5_5ELb0ES3_mN6thrust23THRUST_200600_302600_NS6detail15normal_iteratorINSA_10device_ptrIfEEEEPS6_NSA_18transform_iteratorINSB_9not_fun_tI7is_trueIfEEENSC_INSD_IbEEEENSA_11use_defaultESO_EENS0_5tupleIJSF_S6_EEENSQ_IJSG_SG_EEES6_PlJS6_EEE10hipError_tPvRmT3_T4_T5_T6_T7_T9_mT8_P12ihipStream_tbDpT10_ENKUlT_T0_E_clISt17integral_constantIbLb0EES1D_EEDaS18_S19_EUlS18_E_NS1_11comp_targetILNS1_3genE9ELNS1_11target_archE1100ELNS1_3gpuE3ELNS1_3repE0EEENS1_30default_config_static_selectorELNS0_4arch9wavefront6targetE0EEEvT1_.private_seg_size, 0
	.set _ZN7rocprim17ROCPRIM_400000_NS6detail17trampoline_kernelINS0_14default_configENS1_25partition_config_selectorILNS1_17partition_subalgoE5EfNS0_10empty_typeEbEEZZNS1_14partition_implILS5_5ELb0ES3_mN6thrust23THRUST_200600_302600_NS6detail15normal_iteratorINSA_10device_ptrIfEEEEPS6_NSA_18transform_iteratorINSB_9not_fun_tI7is_trueIfEEENSC_INSD_IbEEEENSA_11use_defaultESO_EENS0_5tupleIJSF_S6_EEENSQ_IJSG_SG_EEES6_PlJS6_EEE10hipError_tPvRmT3_T4_T5_T6_T7_T9_mT8_P12ihipStream_tbDpT10_ENKUlT_T0_E_clISt17integral_constantIbLb0EES1D_EEDaS18_S19_EUlS18_E_NS1_11comp_targetILNS1_3genE9ELNS1_11target_archE1100ELNS1_3gpuE3ELNS1_3repE0EEENS1_30default_config_static_selectorELNS0_4arch9wavefront6targetE0EEEvT1_.uses_vcc, 0
	.set _ZN7rocprim17ROCPRIM_400000_NS6detail17trampoline_kernelINS0_14default_configENS1_25partition_config_selectorILNS1_17partition_subalgoE5EfNS0_10empty_typeEbEEZZNS1_14partition_implILS5_5ELb0ES3_mN6thrust23THRUST_200600_302600_NS6detail15normal_iteratorINSA_10device_ptrIfEEEEPS6_NSA_18transform_iteratorINSB_9not_fun_tI7is_trueIfEEENSC_INSD_IbEEEENSA_11use_defaultESO_EENS0_5tupleIJSF_S6_EEENSQ_IJSG_SG_EEES6_PlJS6_EEE10hipError_tPvRmT3_T4_T5_T6_T7_T9_mT8_P12ihipStream_tbDpT10_ENKUlT_T0_E_clISt17integral_constantIbLb0EES1D_EEDaS18_S19_EUlS18_E_NS1_11comp_targetILNS1_3genE9ELNS1_11target_archE1100ELNS1_3gpuE3ELNS1_3repE0EEENS1_30default_config_static_selectorELNS0_4arch9wavefront6targetE0EEEvT1_.uses_flat_scratch, 0
	.set _ZN7rocprim17ROCPRIM_400000_NS6detail17trampoline_kernelINS0_14default_configENS1_25partition_config_selectorILNS1_17partition_subalgoE5EfNS0_10empty_typeEbEEZZNS1_14partition_implILS5_5ELb0ES3_mN6thrust23THRUST_200600_302600_NS6detail15normal_iteratorINSA_10device_ptrIfEEEEPS6_NSA_18transform_iteratorINSB_9not_fun_tI7is_trueIfEEENSC_INSD_IbEEEENSA_11use_defaultESO_EENS0_5tupleIJSF_S6_EEENSQ_IJSG_SG_EEES6_PlJS6_EEE10hipError_tPvRmT3_T4_T5_T6_T7_T9_mT8_P12ihipStream_tbDpT10_ENKUlT_T0_E_clISt17integral_constantIbLb0EES1D_EEDaS18_S19_EUlS18_E_NS1_11comp_targetILNS1_3genE9ELNS1_11target_archE1100ELNS1_3gpuE3ELNS1_3repE0EEENS1_30default_config_static_selectorELNS0_4arch9wavefront6targetE0EEEvT1_.has_dyn_sized_stack, 0
	.set _ZN7rocprim17ROCPRIM_400000_NS6detail17trampoline_kernelINS0_14default_configENS1_25partition_config_selectorILNS1_17partition_subalgoE5EfNS0_10empty_typeEbEEZZNS1_14partition_implILS5_5ELb0ES3_mN6thrust23THRUST_200600_302600_NS6detail15normal_iteratorINSA_10device_ptrIfEEEEPS6_NSA_18transform_iteratorINSB_9not_fun_tI7is_trueIfEEENSC_INSD_IbEEEENSA_11use_defaultESO_EENS0_5tupleIJSF_S6_EEENSQ_IJSG_SG_EEES6_PlJS6_EEE10hipError_tPvRmT3_T4_T5_T6_T7_T9_mT8_P12ihipStream_tbDpT10_ENKUlT_T0_E_clISt17integral_constantIbLb0EES1D_EEDaS18_S19_EUlS18_E_NS1_11comp_targetILNS1_3genE9ELNS1_11target_archE1100ELNS1_3gpuE3ELNS1_3repE0EEENS1_30default_config_static_selectorELNS0_4arch9wavefront6targetE0EEEvT1_.has_recursion, 0
	.set _ZN7rocprim17ROCPRIM_400000_NS6detail17trampoline_kernelINS0_14default_configENS1_25partition_config_selectorILNS1_17partition_subalgoE5EfNS0_10empty_typeEbEEZZNS1_14partition_implILS5_5ELb0ES3_mN6thrust23THRUST_200600_302600_NS6detail15normal_iteratorINSA_10device_ptrIfEEEEPS6_NSA_18transform_iteratorINSB_9not_fun_tI7is_trueIfEEENSC_INSD_IbEEEENSA_11use_defaultESO_EENS0_5tupleIJSF_S6_EEENSQ_IJSG_SG_EEES6_PlJS6_EEE10hipError_tPvRmT3_T4_T5_T6_T7_T9_mT8_P12ihipStream_tbDpT10_ENKUlT_T0_E_clISt17integral_constantIbLb0EES1D_EEDaS18_S19_EUlS18_E_NS1_11comp_targetILNS1_3genE9ELNS1_11target_archE1100ELNS1_3gpuE3ELNS1_3repE0EEENS1_30default_config_static_selectorELNS0_4arch9wavefront6targetE0EEEvT1_.has_indirect_call, 0
	.section	.AMDGPU.csdata,"",@progbits
; Kernel info:
; codeLenInByte = 0
; TotalNumSgprs: 0
; NumVgprs: 0
; ScratchSize: 0
; MemoryBound: 0
; FloatMode: 240
; IeeeMode: 1
; LDSByteSize: 0 bytes/workgroup (compile time only)
; SGPRBlocks: 0
; VGPRBlocks: 0
; NumSGPRsForWavesPerEU: 1
; NumVGPRsForWavesPerEU: 1
; Occupancy: 16
; WaveLimiterHint : 0
; COMPUTE_PGM_RSRC2:SCRATCH_EN: 0
; COMPUTE_PGM_RSRC2:USER_SGPR: 2
; COMPUTE_PGM_RSRC2:TRAP_HANDLER: 0
; COMPUTE_PGM_RSRC2:TGID_X_EN: 1
; COMPUTE_PGM_RSRC2:TGID_Y_EN: 0
; COMPUTE_PGM_RSRC2:TGID_Z_EN: 0
; COMPUTE_PGM_RSRC2:TIDIG_COMP_CNT: 0
	.section	.text._ZN7rocprim17ROCPRIM_400000_NS6detail17trampoline_kernelINS0_14default_configENS1_25partition_config_selectorILNS1_17partition_subalgoE5EfNS0_10empty_typeEbEEZZNS1_14partition_implILS5_5ELb0ES3_mN6thrust23THRUST_200600_302600_NS6detail15normal_iteratorINSA_10device_ptrIfEEEEPS6_NSA_18transform_iteratorINSB_9not_fun_tI7is_trueIfEEENSC_INSD_IbEEEENSA_11use_defaultESO_EENS0_5tupleIJSF_S6_EEENSQ_IJSG_SG_EEES6_PlJS6_EEE10hipError_tPvRmT3_T4_T5_T6_T7_T9_mT8_P12ihipStream_tbDpT10_ENKUlT_T0_E_clISt17integral_constantIbLb0EES1D_EEDaS18_S19_EUlS18_E_NS1_11comp_targetILNS1_3genE8ELNS1_11target_archE1030ELNS1_3gpuE2ELNS1_3repE0EEENS1_30default_config_static_selectorELNS0_4arch9wavefront6targetE0EEEvT1_,"axG",@progbits,_ZN7rocprim17ROCPRIM_400000_NS6detail17trampoline_kernelINS0_14default_configENS1_25partition_config_selectorILNS1_17partition_subalgoE5EfNS0_10empty_typeEbEEZZNS1_14partition_implILS5_5ELb0ES3_mN6thrust23THRUST_200600_302600_NS6detail15normal_iteratorINSA_10device_ptrIfEEEEPS6_NSA_18transform_iteratorINSB_9not_fun_tI7is_trueIfEEENSC_INSD_IbEEEENSA_11use_defaultESO_EENS0_5tupleIJSF_S6_EEENSQ_IJSG_SG_EEES6_PlJS6_EEE10hipError_tPvRmT3_T4_T5_T6_T7_T9_mT8_P12ihipStream_tbDpT10_ENKUlT_T0_E_clISt17integral_constantIbLb0EES1D_EEDaS18_S19_EUlS18_E_NS1_11comp_targetILNS1_3genE8ELNS1_11target_archE1030ELNS1_3gpuE2ELNS1_3repE0EEENS1_30default_config_static_selectorELNS0_4arch9wavefront6targetE0EEEvT1_,comdat
	.protected	_ZN7rocprim17ROCPRIM_400000_NS6detail17trampoline_kernelINS0_14default_configENS1_25partition_config_selectorILNS1_17partition_subalgoE5EfNS0_10empty_typeEbEEZZNS1_14partition_implILS5_5ELb0ES3_mN6thrust23THRUST_200600_302600_NS6detail15normal_iteratorINSA_10device_ptrIfEEEEPS6_NSA_18transform_iteratorINSB_9not_fun_tI7is_trueIfEEENSC_INSD_IbEEEENSA_11use_defaultESO_EENS0_5tupleIJSF_S6_EEENSQ_IJSG_SG_EEES6_PlJS6_EEE10hipError_tPvRmT3_T4_T5_T6_T7_T9_mT8_P12ihipStream_tbDpT10_ENKUlT_T0_E_clISt17integral_constantIbLb0EES1D_EEDaS18_S19_EUlS18_E_NS1_11comp_targetILNS1_3genE8ELNS1_11target_archE1030ELNS1_3gpuE2ELNS1_3repE0EEENS1_30default_config_static_selectorELNS0_4arch9wavefront6targetE0EEEvT1_ ; -- Begin function _ZN7rocprim17ROCPRIM_400000_NS6detail17trampoline_kernelINS0_14default_configENS1_25partition_config_selectorILNS1_17partition_subalgoE5EfNS0_10empty_typeEbEEZZNS1_14partition_implILS5_5ELb0ES3_mN6thrust23THRUST_200600_302600_NS6detail15normal_iteratorINSA_10device_ptrIfEEEEPS6_NSA_18transform_iteratorINSB_9not_fun_tI7is_trueIfEEENSC_INSD_IbEEEENSA_11use_defaultESO_EENS0_5tupleIJSF_S6_EEENSQ_IJSG_SG_EEES6_PlJS6_EEE10hipError_tPvRmT3_T4_T5_T6_T7_T9_mT8_P12ihipStream_tbDpT10_ENKUlT_T0_E_clISt17integral_constantIbLb0EES1D_EEDaS18_S19_EUlS18_E_NS1_11comp_targetILNS1_3genE8ELNS1_11target_archE1030ELNS1_3gpuE2ELNS1_3repE0EEENS1_30default_config_static_selectorELNS0_4arch9wavefront6targetE0EEEvT1_
	.globl	_ZN7rocprim17ROCPRIM_400000_NS6detail17trampoline_kernelINS0_14default_configENS1_25partition_config_selectorILNS1_17partition_subalgoE5EfNS0_10empty_typeEbEEZZNS1_14partition_implILS5_5ELb0ES3_mN6thrust23THRUST_200600_302600_NS6detail15normal_iteratorINSA_10device_ptrIfEEEEPS6_NSA_18transform_iteratorINSB_9not_fun_tI7is_trueIfEEENSC_INSD_IbEEEENSA_11use_defaultESO_EENS0_5tupleIJSF_S6_EEENSQ_IJSG_SG_EEES6_PlJS6_EEE10hipError_tPvRmT3_T4_T5_T6_T7_T9_mT8_P12ihipStream_tbDpT10_ENKUlT_T0_E_clISt17integral_constantIbLb0EES1D_EEDaS18_S19_EUlS18_E_NS1_11comp_targetILNS1_3genE8ELNS1_11target_archE1030ELNS1_3gpuE2ELNS1_3repE0EEENS1_30default_config_static_selectorELNS0_4arch9wavefront6targetE0EEEvT1_
	.p2align	8
	.type	_ZN7rocprim17ROCPRIM_400000_NS6detail17trampoline_kernelINS0_14default_configENS1_25partition_config_selectorILNS1_17partition_subalgoE5EfNS0_10empty_typeEbEEZZNS1_14partition_implILS5_5ELb0ES3_mN6thrust23THRUST_200600_302600_NS6detail15normal_iteratorINSA_10device_ptrIfEEEEPS6_NSA_18transform_iteratorINSB_9not_fun_tI7is_trueIfEEENSC_INSD_IbEEEENSA_11use_defaultESO_EENS0_5tupleIJSF_S6_EEENSQ_IJSG_SG_EEES6_PlJS6_EEE10hipError_tPvRmT3_T4_T5_T6_T7_T9_mT8_P12ihipStream_tbDpT10_ENKUlT_T0_E_clISt17integral_constantIbLb0EES1D_EEDaS18_S19_EUlS18_E_NS1_11comp_targetILNS1_3genE8ELNS1_11target_archE1030ELNS1_3gpuE2ELNS1_3repE0EEENS1_30default_config_static_selectorELNS0_4arch9wavefront6targetE0EEEvT1_,@function
_ZN7rocprim17ROCPRIM_400000_NS6detail17trampoline_kernelINS0_14default_configENS1_25partition_config_selectorILNS1_17partition_subalgoE5EfNS0_10empty_typeEbEEZZNS1_14partition_implILS5_5ELb0ES3_mN6thrust23THRUST_200600_302600_NS6detail15normal_iteratorINSA_10device_ptrIfEEEEPS6_NSA_18transform_iteratorINSB_9not_fun_tI7is_trueIfEEENSC_INSD_IbEEEENSA_11use_defaultESO_EENS0_5tupleIJSF_S6_EEENSQ_IJSG_SG_EEES6_PlJS6_EEE10hipError_tPvRmT3_T4_T5_T6_T7_T9_mT8_P12ihipStream_tbDpT10_ENKUlT_T0_E_clISt17integral_constantIbLb0EES1D_EEDaS18_S19_EUlS18_E_NS1_11comp_targetILNS1_3genE8ELNS1_11target_archE1030ELNS1_3gpuE2ELNS1_3repE0EEENS1_30default_config_static_selectorELNS0_4arch9wavefront6targetE0EEEvT1_: ; @_ZN7rocprim17ROCPRIM_400000_NS6detail17trampoline_kernelINS0_14default_configENS1_25partition_config_selectorILNS1_17partition_subalgoE5EfNS0_10empty_typeEbEEZZNS1_14partition_implILS5_5ELb0ES3_mN6thrust23THRUST_200600_302600_NS6detail15normal_iteratorINSA_10device_ptrIfEEEEPS6_NSA_18transform_iteratorINSB_9not_fun_tI7is_trueIfEEENSC_INSD_IbEEEENSA_11use_defaultESO_EENS0_5tupleIJSF_S6_EEENSQ_IJSG_SG_EEES6_PlJS6_EEE10hipError_tPvRmT3_T4_T5_T6_T7_T9_mT8_P12ihipStream_tbDpT10_ENKUlT_T0_E_clISt17integral_constantIbLb0EES1D_EEDaS18_S19_EUlS18_E_NS1_11comp_targetILNS1_3genE8ELNS1_11target_archE1030ELNS1_3gpuE2ELNS1_3repE0EEENS1_30default_config_static_selectorELNS0_4arch9wavefront6targetE0EEEvT1_
; %bb.0:
	.section	.rodata,"a",@progbits
	.p2align	6, 0x0
	.amdhsa_kernel _ZN7rocprim17ROCPRIM_400000_NS6detail17trampoline_kernelINS0_14default_configENS1_25partition_config_selectorILNS1_17partition_subalgoE5EfNS0_10empty_typeEbEEZZNS1_14partition_implILS5_5ELb0ES3_mN6thrust23THRUST_200600_302600_NS6detail15normal_iteratorINSA_10device_ptrIfEEEEPS6_NSA_18transform_iteratorINSB_9not_fun_tI7is_trueIfEEENSC_INSD_IbEEEENSA_11use_defaultESO_EENS0_5tupleIJSF_S6_EEENSQ_IJSG_SG_EEES6_PlJS6_EEE10hipError_tPvRmT3_T4_T5_T6_T7_T9_mT8_P12ihipStream_tbDpT10_ENKUlT_T0_E_clISt17integral_constantIbLb0EES1D_EEDaS18_S19_EUlS18_E_NS1_11comp_targetILNS1_3genE8ELNS1_11target_archE1030ELNS1_3gpuE2ELNS1_3repE0EEENS1_30default_config_static_selectorELNS0_4arch9wavefront6targetE0EEEvT1_
		.amdhsa_group_segment_fixed_size 0
		.amdhsa_private_segment_fixed_size 0
		.amdhsa_kernarg_size 120
		.amdhsa_user_sgpr_count 2
		.amdhsa_user_sgpr_dispatch_ptr 0
		.amdhsa_user_sgpr_queue_ptr 0
		.amdhsa_user_sgpr_kernarg_segment_ptr 1
		.amdhsa_user_sgpr_dispatch_id 0
		.amdhsa_user_sgpr_private_segment_size 0
		.amdhsa_wavefront_size32 1
		.amdhsa_uses_dynamic_stack 0
		.amdhsa_enable_private_segment 0
		.amdhsa_system_sgpr_workgroup_id_x 1
		.amdhsa_system_sgpr_workgroup_id_y 0
		.amdhsa_system_sgpr_workgroup_id_z 0
		.amdhsa_system_sgpr_workgroup_info 0
		.amdhsa_system_vgpr_workitem_id 0
		.amdhsa_next_free_vgpr 1
		.amdhsa_next_free_sgpr 1
		.amdhsa_reserve_vcc 0
		.amdhsa_float_round_mode_32 0
		.amdhsa_float_round_mode_16_64 0
		.amdhsa_float_denorm_mode_32 3
		.amdhsa_float_denorm_mode_16_64 3
		.amdhsa_fp16_overflow 0
		.amdhsa_workgroup_processor_mode 1
		.amdhsa_memory_ordered 1
		.amdhsa_forward_progress 1
		.amdhsa_inst_pref_size 0
		.amdhsa_round_robin_scheduling 0
		.amdhsa_exception_fp_ieee_invalid_op 0
		.amdhsa_exception_fp_denorm_src 0
		.amdhsa_exception_fp_ieee_div_zero 0
		.amdhsa_exception_fp_ieee_overflow 0
		.amdhsa_exception_fp_ieee_underflow 0
		.amdhsa_exception_fp_ieee_inexact 0
		.amdhsa_exception_int_div_zero 0
	.end_amdhsa_kernel
	.section	.text._ZN7rocprim17ROCPRIM_400000_NS6detail17trampoline_kernelINS0_14default_configENS1_25partition_config_selectorILNS1_17partition_subalgoE5EfNS0_10empty_typeEbEEZZNS1_14partition_implILS5_5ELb0ES3_mN6thrust23THRUST_200600_302600_NS6detail15normal_iteratorINSA_10device_ptrIfEEEEPS6_NSA_18transform_iteratorINSB_9not_fun_tI7is_trueIfEEENSC_INSD_IbEEEENSA_11use_defaultESO_EENS0_5tupleIJSF_S6_EEENSQ_IJSG_SG_EEES6_PlJS6_EEE10hipError_tPvRmT3_T4_T5_T6_T7_T9_mT8_P12ihipStream_tbDpT10_ENKUlT_T0_E_clISt17integral_constantIbLb0EES1D_EEDaS18_S19_EUlS18_E_NS1_11comp_targetILNS1_3genE8ELNS1_11target_archE1030ELNS1_3gpuE2ELNS1_3repE0EEENS1_30default_config_static_selectorELNS0_4arch9wavefront6targetE0EEEvT1_,"axG",@progbits,_ZN7rocprim17ROCPRIM_400000_NS6detail17trampoline_kernelINS0_14default_configENS1_25partition_config_selectorILNS1_17partition_subalgoE5EfNS0_10empty_typeEbEEZZNS1_14partition_implILS5_5ELb0ES3_mN6thrust23THRUST_200600_302600_NS6detail15normal_iteratorINSA_10device_ptrIfEEEEPS6_NSA_18transform_iteratorINSB_9not_fun_tI7is_trueIfEEENSC_INSD_IbEEEENSA_11use_defaultESO_EENS0_5tupleIJSF_S6_EEENSQ_IJSG_SG_EEES6_PlJS6_EEE10hipError_tPvRmT3_T4_T5_T6_T7_T9_mT8_P12ihipStream_tbDpT10_ENKUlT_T0_E_clISt17integral_constantIbLb0EES1D_EEDaS18_S19_EUlS18_E_NS1_11comp_targetILNS1_3genE8ELNS1_11target_archE1030ELNS1_3gpuE2ELNS1_3repE0EEENS1_30default_config_static_selectorELNS0_4arch9wavefront6targetE0EEEvT1_,comdat
.Lfunc_end2372:
	.size	_ZN7rocprim17ROCPRIM_400000_NS6detail17trampoline_kernelINS0_14default_configENS1_25partition_config_selectorILNS1_17partition_subalgoE5EfNS0_10empty_typeEbEEZZNS1_14partition_implILS5_5ELb0ES3_mN6thrust23THRUST_200600_302600_NS6detail15normal_iteratorINSA_10device_ptrIfEEEEPS6_NSA_18transform_iteratorINSB_9not_fun_tI7is_trueIfEEENSC_INSD_IbEEEENSA_11use_defaultESO_EENS0_5tupleIJSF_S6_EEENSQ_IJSG_SG_EEES6_PlJS6_EEE10hipError_tPvRmT3_T4_T5_T6_T7_T9_mT8_P12ihipStream_tbDpT10_ENKUlT_T0_E_clISt17integral_constantIbLb0EES1D_EEDaS18_S19_EUlS18_E_NS1_11comp_targetILNS1_3genE8ELNS1_11target_archE1030ELNS1_3gpuE2ELNS1_3repE0EEENS1_30default_config_static_selectorELNS0_4arch9wavefront6targetE0EEEvT1_, .Lfunc_end2372-_ZN7rocprim17ROCPRIM_400000_NS6detail17trampoline_kernelINS0_14default_configENS1_25partition_config_selectorILNS1_17partition_subalgoE5EfNS0_10empty_typeEbEEZZNS1_14partition_implILS5_5ELb0ES3_mN6thrust23THRUST_200600_302600_NS6detail15normal_iteratorINSA_10device_ptrIfEEEEPS6_NSA_18transform_iteratorINSB_9not_fun_tI7is_trueIfEEENSC_INSD_IbEEEENSA_11use_defaultESO_EENS0_5tupleIJSF_S6_EEENSQ_IJSG_SG_EEES6_PlJS6_EEE10hipError_tPvRmT3_T4_T5_T6_T7_T9_mT8_P12ihipStream_tbDpT10_ENKUlT_T0_E_clISt17integral_constantIbLb0EES1D_EEDaS18_S19_EUlS18_E_NS1_11comp_targetILNS1_3genE8ELNS1_11target_archE1030ELNS1_3gpuE2ELNS1_3repE0EEENS1_30default_config_static_selectorELNS0_4arch9wavefront6targetE0EEEvT1_
                                        ; -- End function
	.set _ZN7rocprim17ROCPRIM_400000_NS6detail17trampoline_kernelINS0_14default_configENS1_25partition_config_selectorILNS1_17partition_subalgoE5EfNS0_10empty_typeEbEEZZNS1_14partition_implILS5_5ELb0ES3_mN6thrust23THRUST_200600_302600_NS6detail15normal_iteratorINSA_10device_ptrIfEEEEPS6_NSA_18transform_iteratorINSB_9not_fun_tI7is_trueIfEEENSC_INSD_IbEEEENSA_11use_defaultESO_EENS0_5tupleIJSF_S6_EEENSQ_IJSG_SG_EEES6_PlJS6_EEE10hipError_tPvRmT3_T4_T5_T6_T7_T9_mT8_P12ihipStream_tbDpT10_ENKUlT_T0_E_clISt17integral_constantIbLb0EES1D_EEDaS18_S19_EUlS18_E_NS1_11comp_targetILNS1_3genE8ELNS1_11target_archE1030ELNS1_3gpuE2ELNS1_3repE0EEENS1_30default_config_static_selectorELNS0_4arch9wavefront6targetE0EEEvT1_.num_vgpr, 0
	.set _ZN7rocprim17ROCPRIM_400000_NS6detail17trampoline_kernelINS0_14default_configENS1_25partition_config_selectorILNS1_17partition_subalgoE5EfNS0_10empty_typeEbEEZZNS1_14partition_implILS5_5ELb0ES3_mN6thrust23THRUST_200600_302600_NS6detail15normal_iteratorINSA_10device_ptrIfEEEEPS6_NSA_18transform_iteratorINSB_9not_fun_tI7is_trueIfEEENSC_INSD_IbEEEENSA_11use_defaultESO_EENS0_5tupleIJSF_S6_EEENSQ_IJSG_SG_EEES6_PlJS6_EEE10hipError_tPvRmT3_T4_T5_T6_T7_T9_mT8_P12ihipStream_tbDpT10_ENKUlT_T0_E_clISt17integral_constantIbLb0EES1D_EEDaS18_S19_EUlS18_E_NS1_11comp_targetILNS1_3genE8ELNS1_11target_archE1030ELNS1_3gpuE2ELNS1_3repE0EEENS1_30default_config_static_selectorELNS0_4arch9wavefront6targetE0EEEvT1_.num_agpr, 0
	.set _ZN7rocprim17ROCPRIM_400000_NS6detail17trampoline_kernelINS0_14default_configENS1_25partition_config_selectorILNS1_17partition_subalgoE5EfNS0_10empty_typeEbEEZZNS1_14partition_implILS5_5ELb0ES3_mN6thrust23THRUST_200600_302600_NS6detail15normal_iteratorINSA_10device_ptrIfEEEEPS6_NSA_18transform_iteratorINSB_9not_fun_tI7is_trueIfEEENSC_INSD_IbEEEENSA_11use_defaultESO_EENS0_5tupleIJSF_S6_EEENSQ_IJSG_SG_EEES6_PlJS6_EEE10hipError_tPvRmT3_T4_T5_T6_T7_T9_mT8_P12ihipStream_tbDpT10_ENKUlT_T0_E_clISt17integral_constantIbLb0EES1D_EEDaS18_S19_EUlS18_E_NS1_11comp_targetILNS1_3genE8ELNS1_11target_archE1030ELNS1_3gpuE2ELNS1_3repE0EEENS1_30default_config_static_selectorELNS0_4arch9wavefront6targetE0EEEvT1_.numbered_sgpr, 0
	.set _ZN7rocprim17ROCPRIM_400000_NS6detail17trampoline_kernelINS0_14default_configENS1_25partition_config_selectorILNS1_17partition_subalgoE5EfNS0_10empty_typeEbEEZZNS1_14partition_implILS5_5ELb0ES3_mN6thrust23THRUST_200600_302600_NS6detail15normal_iteratorINSA_10device_ptrIfEEEEPS6_NSA_18transform_iteratorINSB_9not_fun_tI7is_trueIfEEENSC_INSD_IbEEEENSA_11use_defaultESO_EENS0_5tupleIJSF_S6_EEENSQ_IJSG_SG_EEES6_PlJS6_EEE10hipError_tPvRmT3_T4_T5_T6_T7_T9_mT8_P12ihipStream_tbDpT10_ENKUlT_T0_E_clISt17integral_constantIbLb0EES1D_EEDaS18_S19_EUlS18_E_NS1_11comp_targetILNS1_3genE8ELNS1_11target_archE1030ELNS1_3gpuE2ELNS1_3repE0EEENS1_30default_config_static_selectorELNS0_4arch9wavefront6targetE0EEEvT1_.num_named_barrier, 0
	.set _ZN7rocprim17ROCPRIM_400000_NS6detail17trampoline_kernelINS0_14default_configENS1_25partition_config_selectorILNS1_17partition_subalgoE5EfNS0_10empty_typeEbEEZZNS1_14partition_implILS5_5ELb0ES3_mN6thrust23THRUST_200600_302600_NS6detail15normal_iteratorINSA_10device_ptrIfEEEEPS6_NSA_18transform_iteratorINSB_9not_fun_tI7is_trueIfEEENSC_INSD_IbEEEENSA_11use_defaultESO_EENS0_5tupleIJSF_S6_EEENSQ_IJSG_SG_EEES6_PlJS6_EEE10hipError_tPvRmT3_T4_T5_T6_T7_T9_mT8_P12ihipStream_tbDpT10_ENKUlT_T0_E_clISt17integral_constantIbLb0EES1D_EEDaS18_S19_EUlS18_E_NS1_11comp_targetILNS1_3genE8ELNS1_11target_archE1030ELNS1_3gpuE2ELNS1_3repE0EEENS1_30default_config_static_selectorELNS0_4arch9wavefront6targetE0EEEvT1_.private_seg_size, 0
	.set _ZN7rocprim17ROCPRIM_400000_NS6detail17trampoline_kernelINS0_14default_configENS1_25partition_config_selectorILNS1_17partition_subalgoE5EfNS0_10empty_typeEbEEZZNS1_14partition_implILS5_5ELb0ES3_mN6thrust23THRUST_200600_302600_NS6detail15normal_iteratorINSA_10device_ptrIfEEEEPS6_NSA_18transform_iteratorINSB_9not_fun_tI7is_trueIfEEENSC_INSD_IbEEEENSA_11use_defaultESO_EENS0_5tupleIJSF_S6_EEENSQ_IJSG_SG_EEES6_PlJS6_EEE10hipError_tPvRmT3_T4_T5_T6_T7_T9_mT8_P12ihipStream_tbDpT10_ENKUlT_T0_E_clISt17integral_constantIbLb0EES1D_EEDaS18_S19_EUlS18_E_NS1_11comp_targetILNS1_3genE8ELNS1_11target_archE1030ELNS1_3gpuE2ELNS1_3repE0EEENS1_30default_config_static_selectorELNS0_4arch9wavefront6targetE0EEEvT1_.uses_vcc, 0
	.set _ZN7rocprim17ROCPRIM_400000_NS6detail17trampoline_kernelINS0_14default_configENS1_25partition_config_selectorILNS1_17partition_subalgoE5EfNS0_10empty_typeEbEEZZNS1_14partition_implILS5_5ELb0ES3_mN6thrust23THRUST_200600_302600_NS6detail15normal_iteratorINSA_10device_ptrIfEEEEPS6_NSA_18transform_iteratorINSB_9not_fun_tI7is_trueIfEEENSC_INSD_IbEEEENSA_11use_defaultESO_EENS0_5tupleIJSF_S6_EEENSQ_IJSG_SG_EEES6_PlJS6_EEE10hipError_tPvRmT3_T4_T5_T6_T7_T9_mT8_P12ihipStream_tbDpT10_ENKUlT_T0_E_clISt17integral_constantIbLb0EES1D_EEDaS18_S19_EUlS18_E_NS1_11comp_targetILNS1_3genE8ELNS1_11target_archE1030ELNS1_3gpuE2ELNS1_3repE0EEENS1_30default_config_static_selectorELNS0_4arch9wavefront6targetE0EEEvT1_.uses_flat_scratch, 0
	.set _ZN7rocprim17ROCPRIM_400000_NS6detail17trampoline_kernelINS0_14default_configENS1_25partition_config_selectorILNS1_17partition_subalgoE5EfNS0_10empty_typeEbEEZZNS1_14partition_implILS5_5ELb0ES3_mN6thrust23THRUST_200600_302600_NS6detail15normal_iteratorINSA_10device_ptrIfEEEEPS6_NSA_18transform_iteratorINSB_9not_fun_tI7is_trueIfEEENSC_INSD_IbEEEENSA_11use_defaultESO_EENS0_5tupleIJSF_S6_EEENSQ_IJSG_SG_EEES6_PlJS6_EEE10hipError_tPvRmT3_T4_T5_T6_T7_T9_mT8_P12ihipStream_tbDpT10_ENKUlT_T0_E_clISt17integral_constantIbLb0EES1D_EEDaS18_S19_EUlS18_E_NS1_11comp_targetILNS1_3genE8ELNS1_11target_archE1030ELNS1_3gpuE2ELNS1_3repE0EEENS1_30default_config_static_selectorELNS0_4arch9wavefront6targetE0EEEvT1_.has_dyn_sized_stack, 0
	.set _ZN7rocprim17ROCPRIM_400000_NS6detail17trampoline_kernelINS0_14default_configENS1_25partition_config_selectorILNS1_17partition_subalgoE5EfNS0_10empty_typeEbEEZZNS1_14partition_implILS5_5ELb0ES3_mN6thrust23THRUST_200600_302600_NS6detail15normal_iteratorINSA_10device_ptrIfEEEEPS6_NSA_18transform_iteratorINSB_9not_fun_tI7is_trueIfEEENSC_INSD_IbEEEENSA_11use_defaultESO_EENS0_5tupleIJSF_S6_EEENSQ_IJSG_SG_EEES6_PlJS6_EEE10hipError_tPvRmT3_T4_T5_T6_T7_T9_mT8_P12ihipStream_tbDpT10_ENKUlT_T0_E_clISt17integral_constantIbLb0EES1D_EEDaS18_S19_EUlS18_E_NS1_11comp_targetILNS1_3genE8ELNS1_11target_archE1030ELNS1_3gpuE2ELNS1_3repE0EEENS1_30default_config_static_selectorELNS0_4arch9wavefront6targetE0EEEvT1_.has_recursion, 0
	.set _ZN7rocprim17ROCPRIM_400000_NS6detail17trampoline_kernelINS0_14default_configENS1_25partition_config_selectorILNS1_17partition_subalgoE5EfNS0_10empty_typeEbEEZZNS1_14partition_implILS5_5ELb0ES3_mN6thrust23THRUST_200600_302600_NS6detail15normal_iteratorINSA_10device_ptrIfEEEEPS6_NSA_18transform_iteratorINSB_9not_fun_tI7is_trueIfEEENSC_INSD_IbEEEENSA_11use_defaultESO_EENS0_5tupleIJSF_S6_EEENSQ_IJSG_SG_EEES6_PlJS6_EEE10hipError_tPvRmT3_T4_T5_T6_T7_T9_mT8_P12ihipStream_tbDpT10_ENKUlT_T0_E_clISt17integral_constantIbLb0EES1D_EEDaS18_S19_EUlS18_E_NS1_11comp_targetILNS1_3genE8ELNS1_11target_archE1030ELNS1_3gpuE2ELNS1_3repE0EEENS1_30default_config_static_selectorELNS0_4arch9wavefront6targetE0EEEvT1_.has_indirect_call, 0
	.section	.AMDGPU.csdata,"",@progbits
; Kernel info:
; codeLenInByte = 0
; TotalNumSgprs: 0
; NumVgprs: 0
; ScratchSize: 0
; MemoryBound: 0
; FloatMode: 240
; IeeeMode: 1
; LDSByteSize: 0 bytes/workgroup (compile time only)
; SGPRBlocks: 0
; VGPRBlocks: 0
; NumSGPRsForWavesPerEU: 1
; NumVGPRsForWavesPerEU: 1
; Occupancy: 16
; WaveLimiterHint : 0
; COMPUTE_PGM_RSRC2:SCRATCH_EN: 0
; COMPUTE_PGM_RSRC2:USER_SGPR: 2
; COMPUTE_PGM_RSRC2:TRAP_HANDLER: 0
; COMPUTE_PGM_RSRC2:TGID_X_EN: 1
; COMPUTE_PGM_RSRC2:TGID_Y_EN: 0
; COMPUTE_PGM_RSRC2:TGID_Z_EN: 0
; COMPUTE_PGM_RSRC2:TIDIG_COMP_CNT: 0
	.section	.text._ZN7rocprim17ROCPRIM_400000_NS6detail17trampoline_kernelINS0_14default_configENS1_25partition_config_selectorILNS1_17partition_subalgoE5EfNS0_10empty_typeEbEEZZNS1_14partition_implILS5_5ELb0ES3_mN6thrust23THRUST_200600_302600_NS6detail15normal_iteratorINSA_10device_ptrIfEEEEPS6_NSA_18transform_iteratorINSB_9not_fun_tI7is_trueIfEEENSC_INSD_IbEEEENSA_11use_defaultESO_EENS0_5tupleIJSF_S6_EEENSQ_IJSG_SG_EEES6_PlJS6_EEE10hipError_tPvRmT3_T4_T5_T6_T7_T9_mT8_P12ihipStream_tbDpT10_ENKUlT_T0_E_clISt17integral_constantIbLb1EES1D_EEDaS18_S19_EUlS18_E_NS1_11comp_targetILNS1_3genE0ELNS1_11target_archE4294967295ELNS1_3gpuE0ELNS1_3repE0EEENS1_30default_config_static_selectorELNS0_4arch9wavefront6targetE0EEEvT1_,"axG",@progbits,_ZN7rocprim17ROCPRIM_400000_NS6detail17trampoline_kernelINS0_14default_configENS1_25partition_config_selectorILNS1_17partition_subalgoE5EfNS0_10empty_typeEbEEZZNS1_14partition_implILS5_5ELb0ES3_mN6thrust23THRUST_200600_302600_NS6detail15normal_iteratorINSA_10device_ptrIfEEEEPS6_NSA_18transform_iteratorINSB_9not_fun_tI7is_trueIfEEENSC_INSD_IbEEEENSA_11use_defaultESO_EENS0_5tupleIJSF_S6_EEENSQ_IJSG_SG_EEES6_PlJS6_EEE10hipError_tPvRmT3_T4_T5_T6_T7_T9_mT8_P12ihipStream_tbDpT10_ENKUlT_T0_E_clISt17integral_constantIbLb1EES1D_EEDaS18_S19_EUlS18_E_NS1_11comp_targetILNS1_3genE0ELNS1_11target_archE4294967295ELNS1_3gpuE0ELNS1_3repE0EEENS1_30default_config_static_selectorELNS0_4arch9wavefront6targetE0EEEvT1_,comdat
	.protected	_ZN7rocprim17ROCPRIM_400000_NS6detail17trampoline_kernelINS0_14default_configENS1_25partition_config_selectorILNS1_17partition_subalgoE5EfNS0_10empty_typeEbEEZZNS1_14partition_implILS5_5ELb0ES3_mN6thrust23THRUST_200600_302600_NS6detail15normal_iteratorINSA_10device_ptrIfEEEEPS6_NSA_18transform_iteratorINSB_9not_fun_tI7is_trueIfEEENSC_INSD_IbEEEENSA_11use_defaultESO_EENS0_5tupleIJSF_S6_EEENSQ_IJSG_SG_EEES6_PlJS6_EEE10hipError_tPvRmT3_T4_T5_T6_T7_T9_mT8_P12ihipStream_tbDpT10_ENKUlT_T0_E_clISt17integral_constantIbLb1EES1D_EEDaS18_S19_EUlS18_E_NS1_11comp_targetILNS1_3genE0ELNS1_11target_archE4294967295ELNS1_3gpuE0ELNS1_3repE0EEENS1_30default_config_static_selectorELNS0_4arch9wavefront6targetE0EEEvT1_ ; -- Begin function _ZN7rocprim17ROCPRIM_400000_NS6detail17trampoline_kernelINS0_14default_configENS1_25partition_config_selectorILNS1_17partition_subalgoE5EfNS0_10empty_typeEbEEZZNS1_14partition_implILS5_5ELb0ES3_mN6thrust23THRUST_200600_302600_NS6detail15normal_iteratorINSA_10device_ptrIfEEEEPS6_NSA_18transform_iteratorINSB_9not_fun_tI7is_trueIfEEENSC_INSD_IbEEEENSA_11use_defaultESO_EENS0_5tupleIJSF_S6_EEENSQ_IJSG_SG_EEES6_PlJS6_EEE10hipError_tPvRmT3_T4_T5_T6_T7_T9_mT8_P12ihipStream_tbDpT10_ENKUlT_T0_E_clISt17integral_constantIbLb1EES1D_EEDaS18_S19_EUlS18_E_NS1_11comp_targetILNS1_3genE0ELNS1_11target_archE4294967295ELNS1_3gpuE0ELNS1_3repE0EEENS1_30default_config_static_selectorELNS0_4arch9wavefront6targetE0EEEvT1_
	.globl	_ZN7rocprim17ROCPRIM_400000_NS6detail17trampoline_kernelINS0_14default_configENS1_25partition_config_selectorILNS1_17partition_subalgoE5EfNS0_10empty_typeEbEEZZNS1_14partition_implILS5_5ELb0ES3_mN6thrust23THRUST_200600_302600_NS6detail15normal_iteratorINSA_10device_ptrIfEEEEPS6_NSA_18transform_iteratorINSB_9not_fun_tI7is_trueIfEEENSC_INSD_IbEEEENSA_11use_defaultESO_EENS0_5tupleIJSF_S6_EEENSQ_IJSG_SG_EEES6_PlJS6_EEE10hipError_tPvRmT3_T4_T5_T6_T7_T9_mT8_P12ihipStream_tbDpT10_ENKUlT_T0_E_clISt17integral_constantIbLb1EES1D_EEDaS18_S19_EUlS18_E_NS1_11comp_targetILNS1_3genE0ELNS1_11target_archE4294967295ELNS1_3gpuE0ELNS1_3repE0EEENS1_30default_config_static_selectorELNS0_4arch9wavefront6targetE0EEEvT1_
	.p2align	8
	.type	_ZN7rocprim17ROCPRIM_400000_NS6detail17trampoline_kernelINS0_14default_configENS1_25partition_config_selectorILNS1_17partition_subalgoE5EfNS0_10empty_typeEbEEZZNS1_14partition_implILS5_5ELb0ES3_mN6thrust23THRUST_200600_302600_NS6detail15normal_iteratorINSA_10device_ptrIfEEEEPS6_NSA_18transform_iteratorINSB_9not_fun_tI7is_trueIfEEENSC_INSD_IbEEEENSA_11use_defaultESO_EENS0_5tupleIJSF_S6_EEENSQ_IJSG_SG_EEES6_PlJS6_EEE10hipError_tPvRmT3_T4_T5_T6_T7_T9_mT8_P12ihipStream_tbDpT10_ENKUlT_T0_E_clISt17integral_constantIbLb1EES1D_EEDaS18_S19_EUlS18_E_NS1_11comp_targetILNS1_3genE0ELNS1_11target_archE4294967295ELNS1_3gpuE0ELNS1_3repE0EEENS1_30default_config_static_selectorELNS0_4arch9wavefront6targetE0EEEvT1_,@function
_ZN7rocprim17ROCPRIM_400000_NS6detail17trampoline_kernelINS0_14default_configENS1_25partition_config_selectorILNS1_17partition_subalgoE5EfNS0_10empty_typeEbEEZZNS1_14partition_implILS5_5ELb0ES3_mN6thrust23THRUST_200600_302600_NS6detail15normal_iteratorINSA_10device_ptrIfEEEEPS6_NSA_18transform_iteratorINSB_9not_fun_tI7is_trueIfEEENSC_INSD_IbEEEENSA_11use_defaultESO_EENS0_5tupleIJSF_S6_EEENSQ_IJSG_SG_EEES6_PlJS6_EEE10hipError_tPvRmT3_T4_T5_T6_T7_T9_mT8_P12ihipStream_tbDpT10_ENKUlT_T0_E_clISt17integral_constantIbLb1EES1D_EEDaS18_S19_EUlS18_E_NS1_11comp_targetILNS1_3genE0ELNS1_11target_archE4294967295ELNS1_3gpuE0ELNS1_3repE0EEENS1_30default_config_static_selectorELNS0_4arch9wavefront6targetE0EEEvT1_: ; @_ZN7rocprim17ROCPRIM_400000_NS6detail17trampoline_kernelINS0_14default_configENS1_25partition_config_selectorILNS1_17partition_subalgoE5EfNS0_10empty_typeEbEEZZNS1_14partition_implILS5_5ELb0ES3_mN6thrust23THRUST_200600_302600_NS6detail15normal_iteratorINSA_10device_ptrIfEEEEPS6_NSA_18transform_iteratorINSB_9not_fun_tI7is_trueIfEEENSC_INSD_IbEEEENSA_11use_defaultESO_EENS0_5tupleIJSF_S6_EEENSQ_IJSG_SG_EEES6_PlJS6_EEE10hipError_tPvRmT3_T4_T5_T6_T7_T9_mT8_P12ihipStream_tbDpT10_ENKUlT_T0_E_clISt17integral_constantIbLb1EES1D_EEDaS18_S19_EUlS18_E_NS1_11comp_targetILNS1_3genE0ELNS1_11target_archE4294967295ELNS1_3gpuE0ELNS1_3repE0EEENS1_30default_config_static_selectorELNS0_4arch9wavefront6targetE0EEEvT1_
; %bb.0:
	.section	.rodata,"a",@progbits
	.p2align	6, 0x0
	.amdhsa_kernel _ZN7rocprim17ROCPRIM_400000_NS6detail17trampoline_kernelINS0_14default_configENS1_25partition_config_selectorILNS1_17partition_subalgoE5EfNS0_10empty_typeEbEEZZNS1_14partition_implILS5_5ELb0ES3_mN6thrust23THRUST_200600_302600_NS6detail15normal_iteratorINSA_10device_ptrIfEEEEPS6_NSA_18transform_iteratorINSB_9not_fun_tI7is_trueIfEEENSC_INSD_IbEEEENSA_11use_defaultESO_EENS0_5tupleIJSF_S6_EEENSQ_IJSG_SG_EEES6_PlJS6_EEE10hipError_tPvRmT3_T4_T5_T6_T7_T9_mT8_P12ihipStream_tbDpT10_ENKUlT_T0_E_clISt17integral_constantIbLb1EES1D_EEDaS18_S19_EUlS18_E_NS1_11comp_targetILNS1_3genE0ELNS1_11target_archE4294967295ELNS1_3gpuE0ELNS1_3repE0EEENS1_30default_config_static_selectorELNS0_4arch9wavefront6targetE0EEEvT1_
		.amdhsa_group_segment_fixed_size 0
		.amdhsa_private_segment_fixed_size 0
		.amdhsa_kernarg_size 136
		.amdhsa_user_sgpr_count 2
		.amdhsa_user_sgpr_dispatch_ptr 0
		.amdhsa_user_sgpr_queue_ptr 0
		.amdhsa_user_sgpr_kernarg_segment_ptr 1
		.amdhsa_user_sgpr_dispatch_id 0
		.amdhsa_user_sgpr_private_segment_size 0
		.amdhsa_wavefront_size32 1
		.amdhsa_uses_dynamic_stack 0
		.amdhsa_enable_private_segment 0
		.amdhsa_system_sgpr_workgroup_id_x 1
		.amdhsa_system_sgpr_workgroup_id_y 0
		.amdhsa_system_sgpr_workgroup_id_z 0
		.amdhsa_system_sgpr_workgroup_info 0
		.amdhsa_system_vgpr_workitem_id 0
		.amdhsa_next_free_vgpr 1
		.amdhsa_next_free_sgpr 1
		.amdhsa_reserve_vcc 0
		.amdhsa_float_round_mode_32 0
		.amdhsa_float_round_mode_16_64 0
		.amdhsa_float_denorm_mode_32 3
		.amdhsa_float_denorm_mode_16_64 3
		.amdhsa_fp16_overflow 0
		.amdhsa_workgroup_processor_mode 1
		.amdhsa_memory_ordered 1
		.amdhsa_forward_progress 1
		.amdhsa_inst_pref_size 0
		.amdhsa_round_robin_scheduling 0
		.amdhsa_exception_fp_ieee_invalid_op 0
		.amdhsa_exception_fp_denorm_src 0
		.amdhsa_exception_fp_ieee_div_zero 0
		.amdhsa_exception_fp_ieee_overflow 0
		.amdhsa_exception_fp_ieee_underflow 0
		.amdhsa_exception_fp_ieee_inexact 0
		.amdhsa_exception_int_div_zero 0
	.end_amdhsa_kernel
	.section	.text._ZN7rocprim17ROCPRIM_400000_NS6detail17trampoline_kernelINS0_14default_configENS1_25partition_config_selectorILNS1_17partition_subalgoE5EfNS0_10empty_typeEbEEZZNS1_14partition_implILS5_5ELb0ES3_mN6thrust23THRUST_200600_302600_NS6detail15normal_iteratorINSA_10device_ptrIfEEEEPS6_NSA_18transform_iteratorINSB_9not_fun_tI7is_trueIfEEENSC_INSD_IbEEEENSA_11use_defaultESO_EENS0_5tupleIJSF_S6_EEENSQ_IJSG_SG_EEES6_PlJS6_EEE10hipError_tPvRmT3_T4_T5_T6_T7_T9_mT8_P12ihipStream_tbDpT10_ENKUlT_T0_E_clISt17integral_constantIbLb1EES1D_EEDaS18_S19_EUlS18_E_NS1_11comp_targetILNS1_3genE0ELNS1_11target_archE4294967295ELNS1_3gpuE0ELNS1_3repE0EEENS1_30default_config_static_selectorELNS0_4arch9wavefront6targetE0EEEvT1_,"axG",@progbits,_ZN7rocprim17ROCPRIM_400000_NS6detail17trampoline_kernelINS0_14default_configENS1_25partition_config_selectorILNS1_17partition_subalgoE5EfNS0_10empty_typeEbEEZZNS1_14partition_implILS5_5ELb0ES3_mN6thrust23THRUST_200600_302600_NS6detail15normal_iteratorINSA_10device_ptrIfEEEEPS6_NSA_18transform_iteratorINSB_9not_fun_tI7is_trueIfEEENSC_INSD_IbEEEENSA_11use_defaultESO_EENS0_5tupleIJSF_S6_EEENSQ_IJSG_SG_EEES6_PlJS6_EEE10hipError_tPvRmT3_T4_T5_T6_T7_T9_mT8_P12ihipStream_tbDpT10_ENKUlT_T0_E_clISt17integral_constantIbLb1EES1D_EEDaS18_S19_EUlS18_E_NS1_11comp_targetILNS1_3genE0ELNS1_11target_archE4294967295ELNS1_3gpuE0ELNS1_3repE0EEENS1_30default_config_static_selectorELNS0_4arch9wavefront6targetE0EEEvT1_,comdat
.Lfunc_end2373:
	.size	_ZN7rocprim17ROCPRIM_400000_NS6detail17trampoline_kernelINS0_14default_configENS1_25partition_config_selectorILNS1_17partition_subalgoE5EfNS0_10empty_typeEbEEZZNS1_14partition_implILS5_5ELb0ES3_mN6thrust23THRUST_200600_302600_NS6detail15normal_iteratorINSA_10device_ptrIfEEEEPS6_NSA_18transform_iteratorINSB_9not_fun_tI7is_trueIfEEENSC_INSD_IbEEEENSA_11use_defaultESO_EENS0_5tupleIJSF_S6_EEENSQ_IJSG_SG_EEES6_PlJS6_EEE10hipError_tPvRmT3_T4_T5_T6_T7_T9_mT8_P12ihipStream_tbDpT10_ENKUlT_T0_E_clISt17integral_constantIbLb1EES1D_EEDaS18_S19_EUlS18_E_NS1_11comp_targetILNS1_3genE0ELNS1_11target_archE4294967295ELNS1_3gpuE0ELNS1_3repE0EEENS1_30default_config_static_selectorELNS0_4arch9wavefront6targetE0EEEvT1_, .Lfunc_end2373-_ZN7rocprim17ROCPRIM_400000_NS6detail17trampoline_kernelINS0_14default_configENS1_25partition_config_selectorILNS1_17partition_subalgoE5EfNS0_10empty_typeEbEEZZNS1_14partition_implILS5_5ELb0ES3_mN6thrust23THRUST_200600_302600_NS6detail15normal_iteratorINSA_10device_ptrIfEEEEPS6_NSA_18transform_iteratorINSB_9not_fun_tI7is_trueIfEEENSC_INSD_IbEEEENSA_11use_defaultESO_EENS0_5tupleIJSF_S6_EEENSQ_IJSG_SG_EEES6_PlJS6_EEE10hipError_tPvRmT3_T4_T5_T6_T7_T9_mT8_P12ihipStream_tbDpT10_ENKUlT_T0_E_clISt17integral_constantIbLb1EES1D_EEDaS18_S19_EUlS18_E_NS1_11comp_targetILNS1_3genE0ELNS1_11target_archE4294967295ELNS1_3gpuE0ELNS1_3repE0EEENS1_30default_config_static_selectorELNS0_4arch9wavefront6targetE0EEEvT1_
                                        ; -- End function
	.set _ZN7rocprim17ROCPRIM_400000_NS6detail17trampoline_kernelINS0_14default_configENS1_25partition_config_selectorILNS1_17partition_subalgoE5EfNS0_10empty_typeEbEEZZNS1_14partition_implILS5_5ELb0ES3_mN6thrust23THRUST_200600_302600_NS6detail15normal_iteratorINSA_10device_ptrIfEEEEPS6_NSA_18transform_iteratorINSB_9not_fun_tI7is_trueIfEEENSC_INSD_IbEEEENSA_11use_defaultESO_EENS0_5tupleIJSF_S6_EEENSQ_IJSG_SG_EEES6_PlJS6_EEE10hipError_tPvRmT3_T4_T5_T6_T7_T9_mT8_P12ihipStream_tbDpT10_ENKUlT_T0_E_clISt17integral_constantIbLb1EES1D_EEDaS18_S19_EUlS18_E_NS1_11comp_targetILNS1_3genE0ELNS1_11target_archE4294967295ELNS1_3gpuE0ELNS1_3repE0EEENS1_30default_config_static_selectorELNS0_4arch9wavefront6targetE0EEEvT1_.num_vgpr, 0
	.set _ZN7rocprim17ROCPRIM_400000_NS6detail17trampoline_kernelINS0_14default_configENS1_25partition_config_selectorILNS1_17partition_subalgoE5EfNS0_10empty_typeEbEEZZNS1_14partition_implILS5_5ELb0ES3_mN6thrust23THRUST_200600_302600_NS6detail15normal_iteratorINSA_10device_ptrIfEEEEPS6_NSA_18transform_iteratorINSB_9not_fun_tI7is_trueIfEEENSC_INSD_IbEEEENSA_11use_defaultESO_EENS0_5tupleIJSF_S6_EEENSQ_IJSG_SG_EEES6_PlJS6_EEE10hipError_tPvRmT3_T4_T5_T6_T7_T9_mT8_P12ihipStream_tbDpT10_ENKUlT_T0_E_clISt17integral_constantIbLb1EES1D_EEDaS18_S19_EUlS18_E_NS1_11comp_targetILNS1_3genE0ELNS1_11target_archE4294967295ELNS1_3gpuE0ELNS1_3repE0EEENS1_30default_config_static_selectorELNS0_4arch9wavefront6targetE0EEEvT1_.num_agpr, 0
	.set _ZN7rocprim17ROCPRIM_400000_NS6detail17trampoline_kernelINS0_14default_configENS1_25partition_config_selectorILNS1_17partition_subalgoE5EfNS0_10empty_typeEbEEZZNS1_14partition_implILS5_5ELb0ES3_mN6thrust23THRUST_200600_302600_NS6detail15normal_iteratorINSA_10device_ptrIfEEEEPS6_NSA_18transform_iteratorINSB_9not_fun_tI7is_trueIfEEENSC_INSD_IbEEEENSA_11use_defaultESO_EENS0_5tupleIJSF_S6_EEENSQ_IJSG_SG_EEES6_PlJS6_EEE10hipError_tPvRmT3_T4_T5_T6_T7_T9_mT8_P12ihipStream_tbDpT10_ENKUlT_T0_E_clISt17integral_constantIbLb1EES1D_EEDaS18_S19_EUlS18_E_NS1_11comp_targetILNS1_3genE0ELNS1_11target_archE4294967295ELNS1_3gpuE0ELNS1_3repE0EEENS1_30default_config_static_selectorELNS0_4arch9wavefront6targetE0EEEvT1_.numbered_sgpr, 0
	.set _ZN7rocprim17ROCPRIM_400000_NS6detail17trampoline_kernelINS0_14default_configENS1_25partition_config_selectorILNS1_17partition_subalgoE5EfNS0_10empty_typeEbEEZZNS1_14partition_implILS5_5ELb0ES3_mN6thrust23THRUST_200600_302600_NS6detail15normal_iteratorINSA_10device_ptrIfEEEEPS6_NSA_18transform_iteratorINSB_9not_fun_tI7is_trueIfEEENSC_INSD_IbEEEENSA_11use_defaultESO_EENS0_5tupleIJSF_S6_EEENSQ_IJSG_SG_EEES6_PlJS6_EEE10hipError_tPvRmT3_T4_T5_T6_T7_T9_mT8_P12ihipStream_tbDpT10_ENKUlT_T0_E_clISt17integral_constantIbLb1EES1D_EEDaS18_S19_EUlS18_E_NS1_11comp_targetILNS1_3genE0ELNS1_11target_archE4294967295ELNS1_3gpuE0ELNS1_3repE0EEENS1_30default_config_static_selectorELNS0_4arch9wavefront6targetE0EEEvT1_.num_named_barrier, 0
	.set _ZN7rocprim17ROCPRIM_400000_NS6detail17trampoline_kernelINS0_14default_configENS1_25partition_config_selectorILNS1_17partition_subalgoE5EfNS0_10empty_typeEbEEZZNS1_14partition_implILS5_5ELb0ES3_mN6thrust23THRUST_200600_302600_NS6detail15normal_iteratorINSA_10device_ptrIfEEEEPS6_NSA_18transform_iteratorINSB_9not_fun_tI7is_trueIfEEENSC_INSD_IbEEEENSA_11use_defaultESO_EENS0_5tupleIJSF_S6_EEENSQ_IJSG_SG_EEES6_PlJS6_EEE10hipError_tPvRmT3_T4_T5_T6_T7_T9_mT8_P12ihipStream_tbDpT10_ENKUlT_T0_E_clISt17integral_constantIbLb1EES1D_EEDaS18_S19_EUlS18_E_NS1_11comp_targetILNS1_3genE0ELNS1_11target_archE4294967295ELNS1_3gpuE0ELNS1_3repE0EEENS1_30default_config_static_selectorELNS0_4arch9wavefront6targetE0EEEvT1_.private_seg_size, 0
	.set _ZN7rocprim17ROCPRIM_400000_NS6detail17trampoline_kernelINS0_14default_configENS1_25partition_config_selectorILNS1_17partition_subalgoE5EfNS0_10empty_typeEbEEZZNS1_14partition_implILS5_5ELb0ES3_mN6thrust23THRUST_200600_302600_NS6detail15normal_iteratorINSA_10device_ptrIfEEEEPS6_NSA_18transform_iteratorINSB_9not_fun_tI7is_trueIfEEENSC_INSD_IbEEEENSA_11use_defaultESO_EENS0_5tupleIJSF_S6_EEENSQ_IJSG_SG_EEES6_PlJS6_EEE10hipError_tPvRmT3_T4_T5_T6_T7_T9_mT8_P12ihipStream_tbDpT10_ENKUlT_T0_E_clISt17integral_constantIbLb1EES1D_EEDaS18_S19_EUlS18_E_NS1_11comp_targetILNS1_3genE0ELNS1_11target_archE4294967295ELNS1_3gpuE0ELNS1_3repE0EEENS1_30default_config_static_selectorELNS0_4arch9wavefront6targetE0EEEvT1_.uses_vcc, 0
	.set _ZN7rocprim17ROCPRIM_400000_NS6detail17trampoline_kernelINS0_14default_configENS1_25partition_config_selectorILNS1_17partition_subalgoE5EfNS0_10empty_typeEbEEZZNS1_14partition_implILS5_5ELb0ES3_mN6thrust23THRUST_200600_302600_NS6detail15normal_iteratorINSA_10device_ptrIfEEEEPS6_NSA_18transform_iteratorINSB_9not_fun_tI7is_trueIfEEENSC_INSD_IbEEEENSA_11use_defaultESO_EENS0_5tupleIJSF_S6_EEENSQ_IJSG_SG_EEES6_PlJS6_EEE10hipError_tPvRmT3_T4_T5_T6_T7_T9_mT8_P12ihipStream_tbDpT10_ENKUlT_T0_E_clISt17integral_constantIbLb1EES1D_EEDaS18_S19_EUlS18_E_NS1_11comp_targetILNS1_3genE0ELNS1_11target_archE4294967295ELNS1_3gpuE0ELNS1_3repE0EEENS1_30default_config_static_selectorELNS0_4arch9wavefront6targetE0EEEvT1_.uses_flat_scratch, 0
	.set _ZN7rocprim17ROCPRIM_400000_NS6detail17trampoline_kernelINS0_14default_configENS1_25partition_config_selectorILNS1_17partition_subalgoE5EfNS0_10empty_typeEbEEZZNS1_14partition_implILS5_5ELb0ES3_mN6thrust23THRUST_200600_302600_NS6detail15normal_iteratorINSA_10device_ptrIfEEEEPS6_NSA_18transform_iteratorINSB_9not_fun_tI7is_trueIfEEENSC_INSD_IbEEEENSA_11use_defaultESO_EENS0_5tupleIJSF_S6_EEENSQ_IJSG_SG_EEES6_PlJS6_EEE10hipError_tPvRmT3_T4_T5_T6_T7_T9_mT8_P12ihipStream_tbDpT10_ENKUlT_T0_E_clISt17integral_constantIbLb1EES1D_EEDaS18_S19_EUlS18_E_NS1_11comp_targetILNS1_3genE0ELNS1_11target_archE4294967295ELNS1_3gpuE0ELNS1_3repE0EEENS1_30default_config_static_selectorELNS0_4arch9wavefront6targetE0EEEvT1_.has_dyn_sized_stack, 0
	.set _ZN7rocprim17ROCPRIM_400000_NS6detail17trampoline_kernelINS0_14default_configENS1_25partition_config_selectorILNS1_17partition_subalgoE5EfNS0_10empty_typeEbEEZZNS1_14partition_implILS5_5ELb0ES3_mN6thrust23THRUST_200600_302600_NS6detail15normal_iteratorINSA_10device_ptrIfEEEEPS6_NSA_18transform_iteratorINSB_9not_fun_tI7is_trueIfEEENSC_INSD_IbEEEENSA_11use_defaultESO_EENS0_5tupleIJSF_S6_EEENSQ_IJSG_SG_EEES6_PlJS6_EEE10hipError_tPvRmT3_T4_T5_T6_T7_T9_mT8_P12ihipStream_tbDpT10_ENKUlT_T0_E_clISt17integral_constantIbLb1EES1D_EEDaS18_S19_EUlS18_E_NS1_11comp_targetILNS1_3genE0ELNS1_11target_archE4294967295ELNS1_3gpuE0ELNS1_3repE0EEENS1_30default_config_static_selectorELNS0_4arch9wavefront6targetE0EEEvT1_.has_recursion, 0
	.set _ZN7rocprim17ROCPRIM_400000_NS6detail17trampoline_kernelINS0_14default_configENS1_25partition_config_selectorILNS1_17partition_subalgoE5EfNS0_10empty_typeEbEEZZNS1_14partition_implILS5_5ELb0ES3_mN6thrust23THRUST_200600_302600_NS6detail15normal_iteratorINSA_10device_ptrIfEEEEPS6_NSA_18transform_iteratorINSB_9not_fun_tI7is_trueIfEEENSC_INSD_IbEEEENSA_11use_defaultESO_EENS0_5tupleIJSF_S6_EEENSQ_IJSG_SG_EEES6_PlJS6_EEE10hipError_tPvRmT3_T4_T5_T6_T7_T9_mT8_P12ihipStream_tbDpT10_ENKUlT_T0_E_clISt17integral_constantIbLb1EES1D_EEDaS18_S19_EUlS18_E_NS1_11comp_targetILNS1_3genE0ELNS1_11target_archE4294967295ELNS1_3gpuE0ELNS1_3repE0EEENS1_30default_config_static_selectorELNS0_4arch9wavefront6targetE0EEEvT1_.has_indirect_call, 0
	.section	.AMDGPU.csdata,"",@progbits
; Kernel info:
; codeLenInByte = 0
; TotalNumSgprs: 0
; NumVgprs: 0
; ScratchSize: 0
; MemoryBound: 0
; FloatMode: 240
; IeeeMode: 1
; LDSByteSize: 0 bytes/workgroup (compile time only)
; SGPRBlocks: 0
; VGPRBlocks: 0
; NumSGPRsForWavesPerEU: 1
; NumVGPRsForWavesPerEU: 1
; Occupancy: 16
; WaveLimiterHint : 0
; COMPUTE_PGM_RSRC2:SCRATCH_EN: 0
; COMPUTE_PGM_RSRC2:USER_SGPR: 2
; COMPUTE_PGM_RSRC2:TRAP_HANDLER: 0
; COMPUTE_PGM_RSRC2:TGID_X_EN: 1
; COMPUTE_PGM_RSRC2:TGID_Y_EN: 0
; COMPUTE_PGM_RSRC2:TGID_Z_EN: 0
; COMPUTE_PGM_RSRC2:TIDIG_COMP_CNT: 0
	.section	.text._ZN7rocprim17ROCPRIM_400000_NS6detail17trampoline_kernelINS0_14default_configENS1_25partition_config_selectorILNS1_17partition_subalgoE5EfNS0_10empty_typeEbEEZZNS1_14partition_implILS5_5ELb0ES3_mN6thrust23THRUST_200600_302600_NS6detail15normal_iteratorINSA_10device_ptrIfEEEEPS6_NSA_18transform_iteratorINSB_9not_fun_tI7is_trueIfEEENSC_INSD_IbEEEENSA_11use_defaultESO_EENS0_5tupleIJSF_S6_EEENSQ_IJSG_SG_EEES6_PlJS6_EEE10hipError_tPvRmT3_T4_T5_T6_T7_T9_mT8_P12ihipStream_tbDpT10_ENKUlT_T0_E_clISt17integral_constantIbLb1EES1D_EEDaS18_S19_EUlS18_E_NS1_11comp_targetILNS1_3genE5ELNS1_11target_archE942ELNS1_3gpuE9ELNS1_3repE0EEENS1_30default_config_static_selectorELNS0_4arch9wavefront6targetE0EEEvT1_,"axG",@progbits,_ZN7rocprim17ROCPRIM_400000_NS6detail17trampoline_kernelINS0_14default_configENS1_25partition_config_selectorILNS1_17partition_subalgoE5EfNS0_10empty_typeEbEEZZNS1_14partition_implILS5_5ELb0ES3_mN6thrust23THRUST_200600_302600_NS6detail15normal_iteratorINSA_10device_ptrIfEEEEPS6_NSA_18transform_iteratorINSB_9not_fun_tI7is_trueIfEEENSC_INSD_IbEEEENSA_11use_defaultESO_EENS0_5tupleIJSF_S6_EEENSQ_IJSG_SG_EEES6_PlJS6_EEE10hipError_tPvRmT3_T4_T5_T6_T7_T9_mT8_P12ihipStream_tbDpT10_ENKUlT_T0_E_clISt17integral_constantIbLb1EES1D_EEDaS18_S19_EUlS18_E_NS1_11comp_targetILNS1_3genE5ELNS1_11target_archE942ELNS1_3gpuE9ELNS1_3repE0EEENS1_30default_config_static_selectorELNS0_4arch9wavefront6targetE0EEEvT1_,comdat
	.protected	_ZN7rocprim17ROCPRIM_400000_NS6detail17trampoline_kernelINS0_14default_configENS1_25partition_config_selectorILNS1_17partition_subalgoE5EfNS0_10empty_typeEbEEZZNS1_14partition_implILS5_5ELb0ES3_mN6thrust23THRUST_200600_302600_NS6detail15normal_iteratorINSA_10device_ptrIfEEEEPS6_NSA_18transform_iteratorINSB_9not_fun_tI7is_trueIfEEENSC_INSD_IbEEEENSA_11use_defaultESO_EENS0_5tupleIJSF_S6_EEENSQ_IJSG_SG_EEES6_PlJS6_EEE10hipError_tPvRmT3_T4_T5_T6_T7_T9_mT8_P12ihipStream_tbDpT10_ENKUlT_T0_E_clISt17integral_constantIbLb1EES1D_EEDaS18_S19_EUlS18_E_NS1_11comp_targetILNS1_3genE5ELNS1_11target_archE942ELNS1_3gpuE9ELNS1_3repE0EEENS1_30default_config_static_selectorELNS0_4arch9wavefront6targetE0EEEvT1_ ; -- Begin function _ZN7rocprim17ROCPRIM_400000_NS6detail17trampoline_kernelINS0_14default_configENS1_25partition_config_selectorILNS1_17partition_subalgoE5EfNS0_10empty_typeEbEEZZNS1_14partition_implILS5_5ELb0ES3_mN6thrust23THRUST_200600_302600_NS6detail15normal_iteratorINSA_10device_ptrIfEEEEPS6_NSA_18transform_iteratorINSB_9not_fun_tI7is_trueIfEEENSC_INSD_IbEEEENSA_11use_defaultESO_EENS0_5tupleIJSF_S6_EEENSQ_IJSG_SG_EEES6_PlJS6_EEE10hipError_tPvRmT3_T4_T5_T6_T7_T9_mT8_P12ihipStream_tbDpT10_ENKUlT_T0_E_clISt17integral_constantIbLb1EES1D_EEDaS18_S19_EUlS18_E_NS1_11comp_targetILNS1_3genE5ELNS1_11target_archE942ELNS1_3gpuE9ELNS1_3repE0EEENS1_30default_config_static_selectorELNS0_4arch9wavefront6targetE0EEEvT1_
	.globl	_ZN7rocprim17ROCPRIM_400000_NS6detail17trampoline_kernelINS0_14default_configENS1_25partition_config_selectorILNS1_17partition_subalgoE5EfNS0_10empty_typeEbEEZZNS1_14partition_implILS5_5ELb0ES3_mN6thrust23THRUST_200600_302600_NS6detail15normal_iteratorINSA_10device_ptrIfEEEEPS6_NSA_18transform_iteratorINSB_9not_fun_tI7is_trueIfEEENSC_INSD_IbEEEENSA_11use_defaultESO_EENS0_5tupleIJSF_S6_EEENSQ_IJSG_SG_EEES6_PlJS6_EEE10hipError_tPvRmT3_T4_T5_T6_T7_T9_mT8_P12ihipStream_tbDpT10_ENKUlT_T0_E_clISt17integral_constantIbLb1EES1D_EEDaS18_S19_EUlS18_E_NS1_11comp_targetILNS1_3genE5ELNS1_11target_archE942ELNS1_3gpuE9ELNS1_3repE0EEENS1_30default_config_static_selectorELNS0_4arch9wavefront6targetE0EEEvT1_
	.p2align	8
	.type	_ZN7rocprim17ROCPRIM_400000_NS6detail17trampoline_kernelINS0_14default_configENS1_25partition_config_selectorILNS1_17partition_subalgoE5EfNS0_10empty_typeEbEEZZNS1_14partition_implILS5_5ELb0ES3_mN6thrust23THRUST_200600_302600_NS6detail15normal_iteratorINSA_10device_ptrIfEEEEPS6_NSA_18transform_iteratorINSB_9not_fun_tI7is_trueIfEEENSC_INSD_IbEEEENSA_11use_defaultESO_EENS0_5tupleIJSF_S6_EEENSQ_IJSG_SG_EEES6_PlJS6_EEE10hipError_tPvRmT3_T4_T5_T6_T7_T9_mT8_P12ihipStream_tbDpT10_ENKUlT_T0_E_clISt17integral_constantIbLb1EES1D_EEDaS18_S19_EUlS18_E_NS1_11comp_targetILNS1_3genE5ELNS1_11target_archE942ELNS1_3gpuE9ELNS1_3repE0EEENS1_30default_config_static_selectorELNS0_4arch9wavefront6targetE0EEEvT1_,@function
_ZN7rocprim17ROCPRIM_400000_NS6detail17trampoline_kernelINS0_14default_configENS1_25partition_config_selectorILNS1_17partition_subalgoE5EfNS0_10empty_typeEbEEZZNS1_14partition_implILS5_5ELb0ES3_mN6thrust23THRUST_200600_302600_NS6detail15normal_iteratorINSA_10device_ptrIfEEEEPS6_NSA_18transform_iteratorINSB_9not_fun_tI7is_trueIfEEENSC_INSD_IbEEEENSA_11use_defaultESO_EENS0_5tupleIJSF_S6_EEENSQ_IJSG_SG_EEES6_PlJS6_EEE10hipError_tPvRmT3_T4_T5_T6_T7_T9_mT8_P12ihipStream_tbDpT10_ENKUlT_T0_E_clISt17integral_constantIbLb1EES1D_EEDaS18_S19_EUlS18_E_NS1_11comp_targetILNS1_3genE5ELNS1_11target_archE942ELNS1_3gpuE9ELNS1_3repE0EEENS1_30default_config_static_selectorELNS0_4arch9wavefront6targetE0EEEvT1_: ; @_ZN7rocprim17ROCPRIM_400000_NS6detail17trampoline_kernelINS0_14default_configENS1_25partition_config_selectorILNS1_17partition_subalgoE5EfNS0_10empty_typeEbEEZZNS1_14partition_implILS5_5ELb0ES3_mN6thrust23THRUST_200600_302600_NS6detail15normal_iteratorINSA_10device_ptrIfEEEEPS6_NSA_18transform_iteratorINSB_9not_fun_tI7is_trueIfEEENSC_INSD_IbEEEENSA_11use_defaultESO_EENS0_5tupleIJSF_S6_EEENSQ_IJSG_SG_EEES6_PlJS6_EEE10hipError_tPvRmT3_T4_T5_T6_T7_T9_mT8_P12ihipStream_tbDpT10_ENKUlT_T0_E_clISt17integral_constantIbLb1EES1D_EEDaS18_S19_EUlS18_E_NS1_11comp_targetILNS1_3genE5ELNS1_11target_archE942ELNS1_3gpuE9ELNS1_3repE0EEENS1_30default_config_static_selectorELNS0_4arch9wavefront6targetE0EEEvT1_
; %bb.0:
	.section	.rodata,"a",@progbits
	.p2align	6, 0x0
	.amdhsa_kernel _ZN7rocprim17ROCPRIM_400000_NS6detail17trampoline_kernelINS0_14default_configENS1_25partition_config_selectorILNS1_17partition_subalgoE5EfNS0_10empty_typeEbEEZZNS1_14partition_implILS5_5ELb0ES3_mN6thrust23THRUST_200600_302600_NS6detail15normal_iteratorINSA_10device_ptrIfEEEEPS6_NSA_18transform_iteratorINSB_9not_fun_tI7is_trueIfEEENSC_INSD_IbEEEENSA_11use_defaultESO_EENS0_5tupleIJSF_S6_EEENSQ_IJSG_SG_EEES6_PlJS6_EEE10hipError_tPvRmT3_T4_T5_T6_T7_T9_mT8_P12ihipStream_tbDpT10_ENKUlT_T0_E_clISt17integral_constantIbLb1EES1D_EEDaS18_S19_EUlS18_E_NS1_11comp_targetILNS1_3genE5ELNS1_11target_archE942ELNS1_3gpuE9ELNS1_3repE0EEENS1_30default_config_static_selectorELNS0_4arch9wavefront6targetE0EEEvT1_
		.amdhsa_group_segment_fixed_size 0
		.amdhsa_private_segment_fixed_size 0
		.amdhsa_kernarg_size 136
		.amdhsa_user_sgpr_count 2
		.amdhsa_user_sgpr_dispatch_ptr 0
		.amdhsa_user_sgpr_queue_ptr 0
		.amdhsa_user_sgpr_kernarg_segment_ptr 1
		.amdhsa_user_sgpr_dispatch_id 0
		.amdhsa_user_sgpr_private_segment_size 0
		.amdhsa_wavefront_size32 1
		.amdhsa_uses_dynamic_stack 0
		.amdhsa_enable_private_segment 0
		.amdhsa_system_sgpr_workgroup_id_x 1
		.amdhsa_system_sgpr_workgroup_id_y 0
		.amdhsa_system_sgpr_workgroup_id_z 0
		.amdhsa_system_sgpr_workgroup_info 0
		.amdhsa_system_vgpr_workitem_id 0
		.amdhsa_next_free_vgpr 1
		.amdhsa_next_free_sgpr 1
		.amdhsa_reserve_vcc 0
		.amdhsa_float_round_mode_32 0
		.amdhsa_float_round_mode_16_64 0
		.amdhsa_float_denorm_mode_32 3
		.amdhsa_float_denorm_mode_16_64 3
		.amdhsa_fp16_overflow 0
		.amdhsa_workgroup_processor_mode 1
		.amdhsa_memory_ordered 1
		.amdhsa_forward_progress 1
		.amdhsa_inst_pref_size 0
		.amdhsa_round_robin_scheduling 0
		.amdhsa_exception_fp_ieee_invalid_op 0
		.amdhsa_exception_fp_denorm_src 0
		.amdhsa_exception_fp_ieee_div_zero 0
		.amdhsa_exception_fp_ieee_overflow 0
		.amdhsa_exception_fp_ieee_underflow 0
		.amdhsa_exception_fp_ieee_inexact 0
		.amdhsa_exception_int_div_zero 0
	.end_amdhsa_kernel
	.section	.text._ZN7rocprim17ROCPRIM_400000_NS6detail17trampoline_kernelINS0_14default_configENS1_25partition_config_selectorILNS1_17partition_subalgoE5EfNS0_10empty_typeEbEEZZNS1_14partition_implILS5_5ELb0ES3_mN6thrust23THRUST_200600_302600_NS6detail15normal_iteratorINSA_10device_ptrIfEEEEPS6_NSA_18transform_iteratorINSB_9not_fun_tI7is_trueIfEEENSC_INSD_IbEEEENSA_11use_defaultESO_EENS0_5tupleIJSF_S6_EEENSQ_IJSG_SG_EEES6_PlJS6_EEE10hipError_tPvRmT3_T4_T5_T6_T7_T9_mT8_P12ihipStream_tbDpT10_ENKUlT_T0_E_clISt17integral_constantIbLb1EES1D_EEDaS18_S19_EUlS18_E_NS1_11comp_targetILNS1_3genE5ELNS1_11target_archE942ELNS1_3gpuE9ELNS1_3repE0EEENS1_30default_config_static_selectorELNS0_4arch9wavefront6targetE0EEEvT1_,"axG",@progbits,_ZN7rocprim17ROCPRIM_400000_NS6detail17trampoline_kernelINS0_14default_configENS1_25partition_config_selectorILNS1_17partition_subalgoE5EfNS0_10empty_typeEbEEZZNS1_14partition_implILS5_5ELb0ES3_mN6thrust23THRUST_200600_302600_NS6detail15normal_iteratorINSA_10device_ptrIfEEEEPS6_NSA_18transform_iteratorINSB_9not_fun_tI7is_trueIfEEENSC_INSD_IbEEEENSA_11use_defaultESO_EENS0_5tupleIJSF_S6_EEENSQ_IJSG_SG_EEES6_PlJS6_EEE10hipError_tPvRmT3_T4_T5_T6_T7_T9_mT8_P12ihipStream_tbDpT10_ENKUlT_T0_E_clISt17integral_constantIbLb1EES1D_EEDaS18_S19_EUlS18_E_NS1_11comp_targetILNS1_3genE5ELNS1_11target_archE942ELNS1_3gpuE9ELNS1_3repE0EEENS1_30default_config_static_selectorELNS0_4arch9wavefront6targetE0EEEvT1_,comdat
.Lfunc_end2374:
	.size	_ZN7rocprim17ROCPRIM_400000_NS6detail17trampoline_kernelINS0_14default_configENS1_25partition_config_selectorILNS1_17partition_subalgoE5EfNS0_10empty_typeEbEEZZNS1_14partition_implILS5_5ELb0ES3_mN6thrust23THRUST_200600_302600_NS6detail15normal_iteratorINSA_10device_ptrIfEEEEPS6_NSA_18transform_iteratorINSB_9not_fun_tI7is_trueIfEEENSC_INSD_IbEEEENSA_11use_defaultESO_EENS0_5tupleIJSF_S6_EEENSQ_IJSG_SG_EEES6_PlJS6_EEE10hipError_tPvRmT3_T4_T5_T6_T7_T9_mT8_P12ihipStream_tbDpT10_ENKUlT_T0_E_clISt17integral_constantIbLb1EES1D_EEDaS18_S19_EUlS18_E_NS1_11comp_targetILNS1_3genE5ELNS1_11target_archE942ELNS1_3gpuE9ELNS1_3repE0EEENS1_30default_config_static_selectorELNS0_4arch9wavefront6targetE0EEEvT1_, .Lfunc_end2374-_ZN7rocprim17ROCPRIM_400000_NS6detail17trampoline_kernelINS0_14default_configENS1_25partition_config_selectorILNS1_17partition_subalgoE5EfNS0_10empty_typeEbEEZZNS1_14partition_implILS5_5ELb0ES3_mN6thrust23THRUST_200600_302600_NS6detail15normal_iteratorINSA_10device_ptrIfEEEEPS6_NSA_18transform_iteratorINSB_9not_fun_tI7is_trueIfEEENSC_INSD_IbEEEENSA_11use_defaultESO_EENS0_5tupleIJSF_S6_EEENSQ_IJSG_SG_EEES6_PlJS6_EEE10hipError_tPvRmT3_T4_T5_T6_T7_T9_mT8_P12ihipStream_tbDpT10_ENKUlT_T0_E_clISt17integral_constantIbLb1EES1D_EEDaS18_S19_EUlS18_E_NS1_11comp_targetILNS1_3genE5ELNS1_11target_archE942ELNS1_3gpuE9ELNS1_3repE0EEENS1_30default_config_static_selectorELNS0_4arch9wavefront6targetE0EEEvT1_
                                        ; -- End function
	.set _ZN7rocprim17ROCPRIM_400000_NS6detail17trampoline_kernelINS0_14default_configENS1_25partition_config_selectorILNS1_17partition_subalgoE5EfNS0_10empty_typeEbEEZZNS1_14partition_implILS5_5ELb0ES3_mN6thrust23THRUST_200600_302600_NS6detail15normal_iteratorINSA_10device_ptrIfEEEEPS6_NSA_18transform_iteratorINSB_9not_fun_tI7is_trueIfEEENSC_INSD_IbEEEENSA_11use_defaultESO_EENS0_5tupleIJSF_S6_EEENSQ_IJSG_SG_EEES6_PlJS6_EEE10hipError_tPvRmT3_T4_T5_T6_T7_T9_mT8_P12ihipStream_tbDpT10_ENKUlT_T0_E_clISt17integral_constantIbLb1EES1D_EEDaS18_S19_EUlS18_E_NS1_11comp_targetILNS1_3genE5ELNS1_11target_archE942ELNS1_3gpuE9ELNS1_3repE0EEENS1_30default_config_static_selectorELNS0_4arch9wavefront6targetE0EEEvT1_.num_vgpr, 0
	.set _ZN7rocprim17ROCPRIM_400000_NS6detail17trampoline_kernelINS0_14default_configENS1_25partition_config_selectorILNS1_17partition_subalgoE5EfNS0_10empty_typeEbEEZZNS1_14partition_implILS5_5ELb0ES3_mN6thrust23THRUST_200600_302600_NS6detail15normal_iteratorINSA_10device_ptrIfEEEEPS6_NSA_18transform_iteratorINSB_9not_fun_tI7is_trueIfEEENSC_INSD_IbEEEENSA_11use_defaultESO_EENS0_5tupleIJSF_S6_EEENSQ_IJSG_SG_EEES6_PlJS6_EEE10hipError_tPvRmT3_T4_T5_T6_T7_T9_mT8_P12ihipStream_tbDpT10_ENKUlT_T0_E_clISt17integral_constantIbLb1EES1D_EEDaS18_S19_EUlS18_E_NS1_11comp_targetILNS1_3genE5ELNS1_11target_archE942ELNS1_3gpuE9ELNS1_3repE0EEENS1_30default_config_static_selectorELNS0_4arch9wavefront6targetE0EEEvT1_.num_agpr, 0
	.set _ZN7rocprim17ROCPRIM_400000_NS6detail17trampoline_kernelINS0_14default_configENS1_25partition_config_selectorILNS1_17partition_subalgoE5EfNS0_10empty_typeEbEEZZNS1_14partition_implILS5_5ELb0ES3_mN6thrust23THRUST_200600_302600_NS6detail15normal_iteratorINSA_10device_ptrIfEEEEPS6_NSA_18transform_iteratorINSB_9not_fun_tI7is_trueIfEEENSC_INSD_IbEEEENSA_11use_defaultESO_EENS0_5tupleIJSF_S6_EEENSQ_IJSG_SG_EEES6_PlJS6_EEE10hipError_tPvRmT3_T4_T5_T6_T7_T9_mT8_P12ihipStream_tbDpT10_ENKUlT_T0_E_clISt17integral_constantIbLb1EES1D_EEDaS18_S19_EUlS18_E_NS1_11comp_targetILNS1_3genE5ELNS1_11target_archE942ELNS1_3gpuE9ELNS1_3repE0EEENS1_30default_config_static_selectorELNS0_4arch9wavefront6targetE0EEEvT1_.numbered_sgpr, 0
	.set _ZN7rocprim17ROCPRIM_400000_NS6detail17trampoline_kernelINS0_14default_configENS1_25partition_config_selectorILNS1_17partition_subalgoE5EfNS0_10empty_typeEbEEZZNS1_14partition_implILS5_5ELb0ES3_mN6thrust23THRUST_200600_302600_NS6detail15normal_iteratorINSA_10device_ptrIfEEEEPS6_NSA_18transform_iteratorINSB_9not_fun_tI7is_trueIfEEENSC_INSD_IbEEEENSA_11use_defaultESO_EENS0_5tupleIJSF_S6_EEENSQ_IJSG_SG_EEES6_PlJS6_EEE10hipError_tPvRmT3_T4_T5_T6_T7_T9_mT8_P12ihipStream_tbDpT10_ENKUlT_T0_E_clISt17integral_constantIbLb1EES1D_EEDaS18_S19_EUlS18_E_NS1_11comp_targetILNS1_3genE5ELNS1_11target_archE942ELNS1_3gpuE9ELNS1_3repE0EEENS1_30default_config_static_selectorELNS0_4arch9wavefront6targetE0EEEvT1_.num_named_barrier, 0
	.set _ZN7rocprim17ROCPRIM_400000_NS6detail17trampoline_kernelINS0_14default_configENS1_25partition_config_selectorILNS1_17partition_subalgoE5EfNS0_10empty_typeEbEEZZNS1_14partition_implILS5_5ELb0ES3_mN6thrust23THRUST_200600_302600_NS6detail15normal_iteratorINSA_10device_ptrIfEEEEPS6_NSA_18transform_iteratorINSB_9not_fun_tI7is_trueIfEEENSC_INSD_IbEEEENSA_11use_defaultESO_EENS0_5tupleIJSF_S6_EEENSQ_IJSG_SG_EEES6_PlJS6_EEE10hipError_tPvRmT3_T4_T5_T6_T7_T9_mT8_P12ihipStream_tbDpT10_ENKUlT_T0_E_clISt17integral_constantIbLb1EES1D_EEDaS18_S19_EUlS18_E_NS1_11comp_targetILNS1_3genE5ELNS1_11target_archE942ELNS1_3gpuE9ELNS1_3repE0EEENS1_30default_config_static_selectorELNS0_4arch9wavefront6targetE0EEEvT1_.private_seg_size, 0
	.set _ZN7rocprim17ROCPRIM_400000_NS6detail17trampoline_kernelINS0_14default_configENS1_25partition_config_selectorILNS1_17partition_subalgoE5EfNS0_10empty_typeEbEEZZNS1_14partition_implILS5_5ELb0ES3_mN6thrust23THRUST_200600_302600_NS6detail15normal_iteratorINSA_10device_ptrIfEEEEPS6_NSA_18transform_iteratorINSB_9not_fun_tI7is_trueIfEEENSC_INSD_IbEEEENSA_11use_defaultESO_EENS0_5tupleIJSF_S6_EEENSQ_IJSG_SG_EEES6_PlJS6_EEE10hipError_tPvRmT3_T4_T5_T6_T7_T9_mT8_P12ihipStream_tbDpT10_ENKUlT_T0_E_clISt17integral_constantIbLb1EES1D_EEDaS18_S19_EUlS18_E_NS1_11comp_targetILNS1_3genE5ELNS1_11target_archE942ELNS1_3gpuE9ELNS1_3repE0EEENS1_30default_config_static_selectorELNS0_4arch9wavefront6targetE0EEEvT1_.uses_vcc, 0
	.set _ZN7rocprim17ROCPRIM_400000_NS6detail17trampoline_kernelINS0_14default_configENS1_25partition_config_selectorILNS1_17partition_subalgoE5EfNS0_10empty_typeEbEEZZNS1_14partition_implILS5_5ELb0ES3_mN6thrust23THRUST_200600_302600_NS6detail15normal_iteratorINSA_10device_ptrIfEEEEPS6_NSA_18transform_iteratorINSB_9not_fun_tI7is_trueIfEEENSC_INSD_IbEEEENSA_11use_defaultESO_EENS0_5tupleIJSF_S6_EEENSQ_IJSG_SG_EEES6_PlJS6_EEE10hipError_tPvRmT3_T4_T5_T6_T7_T9_mT8_P12ihipStream_tbDpT10_ENKUlT_T0_E_clISt17integral_constantIbLb1EES1D_EEDaS18_S19_EUlS18_E_NS1_11comp_targetILNS1_3genE5ELNS1_11target_archE942ELNS1_3gpuE9ELNS1_3repE0EEENS1_30default_config_static_selectorELNS0_4arch9wavefront6targetE0EEEvT1_.uses_flat_scratch, 0
	.set _ZN7rocprim17ROCPRIM_400000_NS6detail17trampoline_kernelINS0_14default_configENS1_25partition_config_selectorILNS1_17partition_subalgoE5EfNS0_10empty_typeEbEEZZNS1_14partition_implILS5_5ELb0ES3_mN6thrust23THRUST_200600_302600_NS6detail15normal_iteratorINSA_10device_ptrIfEEEEPS6_NSA_18transform_iteratorINSB_9not_fun_tI7is_trueIfEEENSC_INSD_IbEEEENSA_11use_defaultESO_EENS0_5tupleIJSF_S6_EEENSQ_IJSG_SG_EEES6_PlJS6_EEE10hipError_tPvRmT3_T4_T5_T6_T7_T9_mT8_P12ihipStream_tbDpT10_ENKUlT_T0_E_clISt17integral_constantIbLb1EES1D_EEDaS18_S19_EUlS18_E_NS1_11comp_targetILNS1_3genE5ELNS1_11target_archE942ELNS1_3gpuE9ELNS1_3repE0EEENS1_30default_config_static_selectorELNS0_4arch9wavefront6targetE0EEEvT1_.has_dyn_sized_stack, 0
	.set _ZN7rocprim17ROCPRIM_400000_NS6detail17trampoline_kernelINS0_14default_configENS1_25partition_config_selectorILNS1_17partition_subalgoE5EfNS0_10empty_typeEbEEZZNS1_14partition_implILS5_5ELb0ES3_mN6thrust23THRUST_200600_302600_NS6detail15normal_iteratorINSA_10device_ptrIfEEEEPS6_NSA_18transform_iteratorINSB_9not_fun_tI7is_trueIfEEENSC_INSD_IbEEEENSA_11use_defaultESO_EENS0_5tupleIJSF_S6_EEENSQ_IJSG_SG_EEES6_PlJS6_EEE10hipError_tPvRmT3_T4_T5_T6_T7_T9_mT8_P12ihipStream_tbDpT10_ENKUlT_T0_E_clISt17integral_constantIbLb1EES1D_EEDaS18_S19_EUlS18_E_NS1_11comp_targetILNS1_3genE5ELNS1_11target_archE942ELNS1_3gpuE9ELNS1_3repE0EEENS1_30default_config_static_selectorELNS0_4arch9wavefront6targetE0EEEvT1_.has_recursion, 0
	.set _ZN7rocprim17ROCPRIM_400000_NS6detail17trampoline_kernelINS0_14default_configENS1_25partition_config_selectorILNS1_17partition_subalgoE5EfNS0_10empty_typeEbEEZZNS1_14partition_implILS5_5ELb0ES3_mN6thrust23THRUST_200600_302600_NS6detail15normal_iteratorINSA_10device_ptrIfEEEEPS6_NSA_18transform_iteratorINSB_9not_fun_tI7is_trueIfEEENSC_INSD_IbEEEENSA_11use_defaultESO_EENS0_5tupleIJSF_S6_EEENSQ_IJSG_SG_EEES6_PlJS6_EEE10hipError_tPvRmT3_T4_T5_T6_T7_T9_mT8_P12ihipStream_tbDpT10_ENKUlT_T0_E_clISt17integral_constantIbLb1EES1D_EEDaS18_S19_EUlS18_E_NS1_11comp_targetILNS1_3genE5ELNS1_11target_archE942ELNS1_3gpuE9ELNS1_3repE0EEENS1_30default_config_static_selectorELNS0_4arch9wavefront6targetE0EEEvT1_.has_indirect_call, 0
	.section	.AMDGPU.csdata,"",@progbits
; Kernel info:
; codeLenInByte = 0
; TotalNumSgprs: 0
; NumVgprs: 0
; ScratchSize: 0
; MemoryBound: 0
; FloatMode: 240
; IeeeMode: 1
; LDSByteSize: 0 bytes/workgroup (compile time only)
; SGPRBlocks: 0
; VGPRBlocks: 0
; NumSGPRsForWavesPerEU: 1
; NumVGPRsForWavesPerEU: 1
; Occupancy: 16
; WaveLimiterHint : 0
; COMPUTE_PGM_RSRC2:SCRATCH_EN: 0
; COMPUTE_PGM_RSRC2:USER_SGPR: 2
; COMPUTE_PGM_RSRC2:TRAP_HANDLER: 0
; COMPUTE_PGM_RSRC2:TGID_X_EN: 1
; COMPUTE_PGM_RSRC2:TGID_Y_EN: 0
; COMPUTE_PGM_RSRC2:TGID_Z_EN: 0
; COMPUTE_PGM_RSRC2:TIDIG_COMP_CNT: 0
	.section	.text._ZN7rocprim17ROCPRIM_400000_NS6detail17trampoline_kernelINS0_14default_configENS1_25partition_config_selectorILNS1_17partition_subalgoE5EfNS0_10empty_typeEbEEZZNS1_14partition_implILS5_5ELb0ES3_mN6thrust23THRUST_200600_302600_NS6detail15normal_iteratorINSA_10device_ptrIfEEEEPS6_NSA_18transform_iteratorINSB_9not_fun_tI7is_trueIfEEENSC_INSD_IbEEEENSA_11use_defaultESO_EENS0_5tupleIJSF_S6_EEENSQ_IJSG_SG_EEES6_PlJS6_EEE10hipError_tPvRmT3_T4_T5_T6_T7_T9_mT8_P12ihipStream_tbDpT10_ENKUlT_T0_E_clISt17integral_constantIbLb1EES1D_EEDaS18_S19_EUlS18_E_NS1_11comp_targetILNS1_3genE4ELNS1_11target_archE910ELNS1_3gpuE8ELNS1_3repE0EEENS1_30default_config_static_selectorELNS0_4arch9wavefront6targetE0EEEvT1_,"axG",@progbits,_ZN7rocprim17ROCPRIM_400000_NS6detail17trampoline_kernelINS0_14default_configENS1_25partition_config_selectorILNS1_17partition_subalgoE5EfNS0_10empty_typeEbEEZZNS1_14partition_implILS5_5ELb0ES3_mN6thrust23THRUST_200600_302600_NS6detail15normal_iteratorINSA_10device_ptrIfEEEEPS6_NSA_18transform_iteratorINSB_9not_fun_tI7is_trueIfEEENSC_INSD_IbEEEENSA_11use_defaultESO_EENS0_5tupleIJSF_S6_EEENSQ_IJSG_SG_EEES6_PlJS6_EEE10hipError_tPvRmT3_T4_T5_T6_T7_T9_mT8_P12ihipStream_tbDpT10_ENKUlT_T0_E_clISt17integral_constantIbLb1EES1D_EEDaS18_S19_EUlS18_E_NS1_11comp_targetILNS1_3genE4ELNS1_11target_archE910ELNS1_3gpuE8ELNS1_3repE0EEENS1_30default_config_static_selectorELNS0_4arch9wavefront6targetE0EEEvT1_,comdat
	.protected	_ZN7rocprim17ROCPRIM_400000_NS6detail17trampoline_kernelINS0_14default_configENS1_25partition_config_selectorILNS1_17partition_subalgoE5EfNS0_10empty_typeEbEEZZNS1_14partition_implILS5_5ELb0ES3_mN6thrust23THRUST_200600_302600_NS6detail15normal_iteratorINSA_10device_ptrIfEEEEPS6_NSA_18transform_iteratorINSB_9not_fun_tI7is_trueIfEEENSC_INSD_IbEEEENSA_11use_defaultESO_EENS0_5tupleIJSF_S6_EEENSQ_IJSG_SG_EEES6_PlJS6_EEE10hipError_tPvRmT3_T4_T5_T6_T7_T9_mT8_P12ihipStream_tbDpT10_ENKUlT_T0_E_clISt17integral_constantIbLb1EES1D_EEDaS18_S19_EUlS18_E_NS1_11comp_targetILNS1_3genE4ELNS1_11target_archE910ELNS1_3gpuE8ELNS1_3repE0EEENS1_30default_config_static_selectorELNS0_4arch9wavefront6targetE0EEEvT1_ ; -- Begin function _ZN7rocprim17ROCPRIM_400000_NS6detail17trampoline_kernelINS0_14default_configENS1_25partition_config_selectorILNS1_17partition_subalgoE5EfNS0_10empty_typeEbEEZZNS1_14partition_implILS5_5ELb0ES3_mN6thrust23THRUST_200600_302600_NS6detail15normal_iteratorINSA_10device_ptrIfEEEEPS6_NSA_18transform_iteratorINSB_9not_fun_tI7is_trueIfEEENSC_INSD_IbEEEENSA_11use_defaultESO_EENS0_5tupleIJSF_S6_EEENSQ_IJSG_SG_EEES6_PlJS6_EEE10hipError_tPvRmT3_T4_T5_T6_T7_T9_mT8_P12ihipStream_tbDpT10_ENKUlT_T0_E_clISt17integral_constantIbLb1EES1D_EEDaS18_S19_EUlS18_E_NS1_11comp_targetILNS1_3genE4ELNS1_11target_archE910ELNS1_3gpuE8ELNS1_3repE0EEENS1_30default_config_static_selectorELNS0_4arch9wavefront6targetE0EEEvT1_
	.globl	_ZN7rocprim17ROCPRIM_400000_NS6detail17trampoline_kernelINS0_14default_configENS1_25partition_config_selectorILNS1_17partition_subalgoE5EfNS0_10empty_typeEbEEZZNS1_14partition_implILS5_5ELb0ES3_mN6thrust23THRUST_200600_302600_NS6detail15normal_iteratorINSA_10device_ptrIfEEEEPS6_NSA_18transform_iteratorINSB_9not_fun_tI7is_trueIfEEENSC_INSD_IbEEEENSA_11use_defaultESO_EENS0_5tupleIJSF_S6_EEENSQ_IJSG_SG_EEES6_PlJS6_EEE10hipError_tPvRmT3_T4_T5_T6_T7_T9_mT8_P12ihipStream_tbDpT10_ENKUlT_T0_E_clISt17integral_constantIbLb1EES1D_EEDaS18_S19_EUlS18_E_NS1_11comp_targetILNS1_3genE4ELNS1_11target_archE910ELNS1_3gpuE8ELNS1_3repE0EEENS1_30default_config_static_selectorELNS0_4arch9wavefront6targetE0EEEvT1_
	.p2align	8
	.type	_ZN7rocprim17ROCPRIM_400000_NS6detail17trampoline_kernelINS0_14default_configENS1_25partition_config_selectorILNS1_17partition_subalgoE5EfNS0_10empty_typeEbEEZZNS1_14partition_implILS5_5ELb0ES3_mN6thrust23THRUST_200600_302600_NS6detail15normal_iteratorINSA_10device_ptrIfEEEEPS6_NSA_18transform_iteratorINSB_9not_fun_tI7is_trueIfEEENSC_INSD_IbEEEENSA_11use_defaultESO_EENS0_5tupleIJSF_S6_EEENSQ_IJSG_SG_EEES6_PlJS6_EEE10hipError_tPvRmT3_T4_T5_T6_T7_T9_mT8_P12ihipStream_tbDpT10_ENKUlT_T0_E_clISt17integral_constantIbLb1EES1D_EEDaS18_S19_EUlS18_E_NS1_11comp_targetILNS1_3genE4ELNS1_11target_archE910ELNS1_3gpuE8ELNS1_3repE0EEENS1_30default_config_static_selectorELNS0_4arch9wavefront6targetE0EEEvT1_,@function
_ZN7rocprim17ROCPRIM_400000_NS6detail17trampoline_kernelINS0_14default_configENS1_25partition_config_selectorILNS1_17partition_subalgoE5EfNS0_10empty_typeEbEEZZNS1_14partition_implILS5_5ELb0ES3_mN6thrust23THRUST_200600_302600_NS6detail15normal_iteratorINSA_10device_ptrIfEEEEPS6_NSA_18transform_iteratorINSB_9not_fun_tI7is_trueIfEEENSC_INSD_IbEEEENSA_11use_defaultESO_EENS0_5tupleIJSF_S6_EEENSQ_IJSG_SG_EEES6_PlJS6_EEE10hipError_tPvRmT3_T4_T5_T6_T7_T9_mT8_P12ihipStream_tbDpT10_ENKUlT_T0_E_clISt17integral_constantIbLb1EES1D_EEDaS18_S19_EUlS18_E_NS1_11comp_targetILNS1_3genE4ELNS1_11target_archE910ELNS1_3gpuE8ELNS1_3repE0EEENS1_30default_config_static_selectorELNS0_4arch9wavefront6targetE0EEEvT1_: ; @_ZN7rocprim17ROCPRIM_400000_NS6detail17trampoline_kernelINS0_14default_configENS1_25partition_config_selectorILNS1_17partition_subalgoE5EfNS0_10empty_typeEbEEZZNS1_14partition_implILS5_5ELb0ES3_mN6thrust23THRUST_200600_302600_NS6detail15normal_iteratorINSA_10device_ptrIfEEEEPS6_NSA_18transform_iteratorINSB_9not_fun_tI7is_trueIfEEENSC_INSD_IbEEEENSA_11use_defaultESO_EENS0_5tupleIJSF_S6_EEENSQ_IJSG_SG_EEES6_PlJS6_EEE10hipError_tPvRmT3_T4_T5_T6_T7_T9_mT8_P12ihipStream_tbDpT10_ENKUlT_T0_E_clISt17integral_constantIbLb1EES1D_EEDaS18_S19_EUlS18_E_NS1_11comp_targetILNS1_3genE4ELNS1_11target_archE910ELNS1_3gpuE8ELNS1_3repE0EEENS1_30default_config_static_selectorELNS0_4arch9wavefront6targetE0EEEvT1_
; %bb.0:
	.section	.rodata,"a",@progbits
	.p2align	6, 0x0
	.amdhsa_kernel _ZN7rocprim17ROCPRIM_400000_NS6detail17trampoline_kernelINS0_14default_configENS1_25partition_config_selectorILNS1_17partition_subalgoE5EfNS0_10empty_typeEbEEZZNS1_14partition_implILS5_5ELb0ES3_mN6thrust23THRUST_200600_302600_NS6detail15normal_iteratorINSA_10device_ptrIfEEEEPS6_NSA_18transform_iteratorINSB_9not_fun_tI7is_trueIfEEENSC_INSD_IbEEEENSA_11use_defaultESO_EENS0_5tupleIJSF_S6_EEENSQ_IJSG_SG_EEES6_PlJS6_EEE10hipError_tPvRmT3_T4_T5_T6_T7_T9_mT8_P12ihipStream_tbDpT10_ENKUlT_T0_E_clISt17integral_constantIbLb1EES1D_EEDaS18_S19_EUlS18_E_NS1_11comp_targetILNS1_3genE4ELNS1_11target_archE910ELNS1_3gpuE8ELNS1_3repE0EEENS1_30default_config_static_selectorELNS0_4arch9wavefront6targetE0EEEvT1_
		.amdhsa_group_segment_fixed_size 0
		.amdhsa_private_segment_fixed_size 0
		.amdhsa_kernarg_size 136
		.amdhsa_user_sgpr_count 2
		.amdhsa_user_sgpr_dispatch_ptr 0
		.amdhsa_user_sgpr_queue_ptr 0
		.amdhsa_user_sgpr_kernarg_segment_ptr 1
		.amdhsa_user_sgpr_dispatch_id 0
		.amdhsa_user_sgpr_private_segment_size 0
		.amdhsa_wavefront_size32 1
		.amdhsa_uses_dynamic_stack 0
		.amdhsa_enable_private_segment 0
		.amdhsa_system_sgpr_workgroup_id_x 1
		.amdhsa_system_sgpr_workgroup_id_y 0
		.amdhsa_system_sgpr_workgroup_id_z 0
		.amdhsa_system_sgpr_workgroup_info 0
		.amdhsa_system_vgpr_workitem_id 0
		.amdhsa_next_free_vgpr 1
		.amdhsa_next_free_sgpr 1
		.amdhsa_reserve_vcc 0
		.amdhsa_float_round_mode_32 0
		.amdhsa_float_round_mode_16_64 0
		.amdhsa_float_denorm_mode_32 3
		.amdhsa_float_denorm_mode_16_64 3
		.amdhsa_fp16_overflow 0
		.amdhsa_workgroup_processor_mode 1
		.amdhsa_memory_ordered 1
		.amdhsa_forward_progress 1
		.amdhsa_inst_pref_size 0
		.amdhsa_round_robin_scheduling 0
		.amdhsa_exception_fp_ieee_invalid_op 0
		.amdhsa_exception_fp_denorm_src 0
		.amdhsa_exception_fp_ieee_div_zero 0
		.amdhsa_exception_fp_ieee_overflow 0
		.amdhsa_exception_fp_ieee_underflow 0
		.amdhsa_exception_fp_ieee_inexact 0
		.amdhsa_exception_int_div_zero 0
	.end_amdhsa_kernel
	.section	.text._ZN7rocprim17ROCPRIM_400000_NS6detail17trampoline_kernelINS0_14default_configENS1_25partition_config_selectorILNS1_17partition_subalgoE5EfNS0_10empty_typeEbEEZZNS1_14partition_implILS5_5ELb0ES3_mN6thrust23THRUST_200600_302600_NS6detail15normal_iteratorINSA_10device_ptrIfEEEEPS6_NSA_18transform_iteratorINSB_9not_fun_tI7is_trueIfEEENSC_INSD_IbEEEENSA_11use_defaultESO_EENS0_5tupleIJSF_S6_EEENSQ_IJSG_SG_EEES6_PlJS6_EEE10hipError_tPvRmT3_T4_T5_T6_T7_T9_mT8_P12ihipStream_tbDpT10_ENKUlT_T0_E_clISt17integral_constantIbLb1EES1D_EEDaS18_S19_EUlS18_E_NS1_11comp_targetILNS1_3genE4ELNS1_11target_archE910ELNS1_3gpuE8ELNS1_3repE0EEENS1_30default_config_static_selectorELNS0_4arch9wavefront6targetE0EEEvT1_,"axG",@progbits,_ZN7rocprim17ROCPRIM_400000_NS6detail17trampoline_kernelINS0_14default_configENS1_25partition_config_selectorILNS1_17partition_subalgoE5EfNS0_10empty_typeEbEEZZNS1_14partition_implILS5_5ELb0ES3_mN6thrust23THRUST_200600_302600_NS6detail15normal_iteratorINSA_10device_ptrIfEEEEPS6_NSA_18transform_iteratorINSB_9not_fun_tI7is_trueIfEEENSC_INSD_IbEEEENSA_11use_defaultESO_EENS0_5tupleIJSF_S6_EEENSQ_IJSG_SG_EEES6_PlJS6_EEE10hipError_tPvRmT3_T4_T5_T6_T7_T9_mT8_P12ihipStream_tbDpT10_ENKUlT_T0_E_clISt17integral_constantIbLb1EES1D_EEDaS18_S19_EUlS18_E_NS1_11comp_targetILNS1_3genE4ELNS1_11target_archE910ELNS1_3gpuE8ELNS1_3repE0EEENS1_30default_config_static_selectorELNS0_4arch9wavefront6targetE0EEEvT1_,comdat
.Lfunc_end2375:
	.size	_ZN7rocprim17ROCPRIM_400000_NS6detail17trampoline_kernelINS0_14default_configENS1_25partition_config_selectorILNS1_17partition_subalgoE5EfNS0_10empty_typeEbEEZZNS1_14partition_implILS5_5ELb0ES3_mN6thrust23THRUST_200600_302600_NS6detail15normal_iteratorINSA_10device_ptrIfEEEEPS6_NSA_18transform_iteratorINSB_9not_fun_tI7is_trueIfEEENSC_INSD_IbEEEENSA_11use_defaultESO_EENS0_5tupleIJSF_S6_EEENSQ_IJSG_SG_EEES6_PlJS6_EEE10hipError_tPvRmT3_T4_T5_T6_T7_T9_mT8_P12ihipStream_tbDpT10_ENKUlT_T0_E_clISt17integral_constantIbLb1EES1D_EEDaS18_S19_EUlS18_E_NS1_11comp_targetILNS1_3genE4ELNS1_11target_archE910ELNS1_3gpuE8ELNS1_3repE0EEENS1_30default_config_static_selectorELNS0_4arch9wavefront6targetE0EEEvT1_, .Lfunc_end2375-_ZN7rocprim17ROCPRIM_400000_NS6detail17trampoline_kernelINS0_14default_configENS1_25partition_config_selectorILNS1_17partition_subalgoE5EfNS0_10empty_typeEbEEZZNS1_14partition_implILS5_5ELb0ES3_mN6thrust23THRUST_200600_302600_NS6detail15normal_iteratorINSA_10device_ptrIfEEEEPS6_NSA_18transform_iteratorINSB_9not_fun_tI7is_trueIfEEENSC_INSD_IbEEEENSA_11use_defaultESO_EENS0_5tupleIJSF_S6_EEENSQ_IJSG_SG_EEES6_PlJS6_EEE10hipError_tPvRmT3_T4_T5_T6_T7_T9_mT8_P12ihipStream_tbDpT10_ENKUlT_T0_E_clISt17integral_constantIbLb1EES1D_EEDaS18_S19_EUlS18_E_NS1_11comp_targetILNS1_3genE4ELNS1_11target_archE910ELNS1_3gpuE8ELNS1_3repE0EEENS1_30default_config_static_selectorELNS0_4arch9wavefront6targetE0EEEvT1_
                                        ; -- End function
	.set _ZN7rocprim17ROCPRIM_400000_NS6detail17trampoline_kernelINS0_14default_configENS1_25partition_config_selectorILNS1_17partition_subalgoE5EfNS0_10empty_typeEbEEZZNS1_14partition_implILS5_5ELb0ES3_mN6thrust23THRUST_200600_302600_NS6detail15normal_iteratorINSA_10device_ptrIfEEEEPS6_NSA_18transform_iteratorINSB_9not_fun_tI7is_trueIfEEENSC_INSD_IbEEEENSA_11use_defaultESO_EENS0_5tupleIJSF_S6_EEENSQ_IJSG_SG_EEES6_PlJS6_EEE10hipError_tPvRmT3_T4_T5_T6_T7_T9_mT8_P12ihipStream_tbDpT10_ENKUlT_T0_E_clISt17integral_constantIbLb1EES1D_EEDaS18_S19_EUlS18_E_NS1_11comp_targetILNS1_3genE4ELNS1_11target_archE910ELNS1_3gpuE8ELNS1_3repE0EEENS1_30default_config_static_selectorELNS0_4arch9wavefront6targetE0EEEvT1_.num_vgpr, 0
	.set _ZN7rocprim17ROCPRIM_400000_NS6detail17trampoline_kernelINS0_14default_configENS1_25partition_config_selectorILNS1_17partition_subalgoE5EfNS0_10empty_typeEbEEZZNS1_14partition_implILS5_5ELb0ES3_mN6thrust23THRUST_200600_302600_NS6detail15normal_iteratorINSA_10device_ptrIfEEEEPS6_NSA_18transform_iteratorINSB_9not_fun_tI7is_trueIfEEENSC_INSD_IbEEEENSA_11use_defaultESO_EENS0_5tupleIJSF_S6_EEENSQ_IJSG_SG_EEES6_PlJS6_EEE10hipError_tPvRmT3_T4_T5_T6_T7_T9_mT8_P12ihipStream_tbDpT10_ENKUlT_T0_E_clISt17integral_constantIbLb1EES1D_EEDaS18_S19_EUlS18_E_NS1_11comp_targetILNS1_3genE4ELNS1_11target_archE910ELNS1_3gpuE8ELNS1_3repE0EEENS1_30default_config_static_selectorELNS0_4arch9wavefront6targetE0EEEvT1_.num_agpr, 0
	.set _ZN7rocprim17ROCPRIM_400000_NS6detail17trampoline_kernelINS0_14default_configENS1_25partition_config_selectorILNS1_17partition_subalgoE5EfNS0_10empty_typeEbEEZZNS1_14partition_implILS5_5ELb0ES3_mN6thrust23THRUST_200600_302600_NS6detail15normal_iteratorINSA_10device_ptrIfEEEEPS6_NSA_18transform_iteratorINSB_9not_fun_tI7is_trueIfEEENSC_INSD_IbEEEENSA_11use_defaultESO_EENS0_5tupleIJSF_S6_EEENSQ_IJSG_SG_EEES6_PlJS6_EEE10hipError_tPvRmT3_T4_T5_T6_T7_T9_mT8_P12ihipStream_tbDpT10_ENKUlT_T0_E_clISt17integral_constantIbLb1EES1D_EEDaS18_S19_EUlS18_E_NS1_11comp_targetILNS1_3genE4ELNS1_11target_archE910ELNS1_3gpuE8ELNS1_3repE0EEENS1_30default_config_static_selectorELNS0_4arch9wavefront6targetE0EEEvT1_.numbered_sgpr, 0
	.set _ZN7rocprim17ROCPRIM_400000_NS6detail17trampoline_kernelINS0_14default_configENS1_25partition_config_selectorILNS1_17partition_subalgoE5EfNS0_10empty_typeEbEEZZNS1_14partition_implILS5_5ELb0ES3_mN6thrust23THRUST_200600_302600_NS6detail15normal_iteratorINSA_10device_ptrIfEEEEPS6_NSA_18transform_iteratorINSB_9not_fun_tI7is_trueIfEEENSC_INSD_IbEEEENSA_11use_defaultESO_EENS0_5tupleIJSF_S6_EEENSQ_IJSG_SG_EEES6_PlJS6_EEE10hipError_tPvRmT3_T4_T5_T6_T7_T9_mT8_P12ihipStream_tbDpT10_ENKUlT_T0_E_clISt17integral_constantIbLb1EES1D_EEDaS18_S19_EUlS18_E_NS1_11comp_targetILNS1_3genE4ELNS1_11target_archE910ELNS1_3gpuE8ELNS1_3repE0EEENS1_30default_config_static_selectorELNS0_4arch9wavefront6targetE0EEEvT1_.num_named_barrier, 0
	.set _ZN7rocprim17ROCPRIM_400000_NS6detail17trampoline_kernelINS0_14default_configENS1_25partition_config_selectorILNS1_17partition_subalgoE5EfNS0_10empty_typeEbEEZZNS1_14partition_implILS5_5ELb0ES3_mN6thrust23THRUST_200600_302600_NS6detail15normal_iteratorINSA_10device_ptrIfEEEEPS6_NSA_18transform_iteratorINSB_9not_fun_tI7is_trueIfEEENSC_INSD_IbEEEENSA_11use_defaultESO_EENS0_5tupleIJSF_S6_EEENSQ_IJSG_SG_EEES6_PlJS6_EEE10hipError_tPvRmT3_T4_T5_T6_T7_T9_mT8_P12ihipStream_tbDpT10_ENKUlT_T0_E_clISt17integral_constantIbLb1EES1D_EEDaS18_S19_EUlS18_E_NS1_11comp_targetILNS1_3genE4ELNS1_11target_archE910ELNS1_3gpuE8ELNS1_3repE0EEENS1_30default_config_static_selectorELNS0_4arch9wavefront6targetE0EEEvT1_.private_seg_size, 0
	.set _ZN7rocprim17ROCPRIM_400000_NS6detail17trampoline_kernelINS0_14default_configENS1_25partition_config_selectorILNS1_17partition_subalgoE5EfNS0_10empty_typeEbEEZZNS1_14partition_implILS5_5ELb0ES3_mN6thrust23THRUST_200600_302600_NS6detail15normal_iteratorINSA_10device_ptrIfEEEEPS6_NSA_18transform_iteratorINSB_9not_fun_tI7is_trueIfEEENSC_INSD_IbEEEENSA_11use_defaultESO_EENS0_5tupleIJSF_S6_EEENSQ_IJSG_SG_EEES6_PlJS6_EEE10hipError_tPvRmT3_T4_T5_T6_T7_T9_mT8_P12ihipStream_tbDpT10_ENKUlT_T0_E_clISt17integral_constantIbLb1EES1D_EEDaS18_S19_EUlS18_E_NS1_11comp_targetILNS1_3genE4ELNS1_11target_archE910ELNS1_3gpuE8ELNS1_3repE0EEENS1_30default_config_static_selectorELNS0_4arch9wavefront6targetE0EEEvT1_.uses_vcc, 0
	.set _ZN7rocprim17ROCPRIM_400000_NS6detail17trampoline_kernelINS0_14default_configENS1_25partition_config_selectorILNS1_17partition_subalgoE5EfNS0_10empty_typeEbEEZZNS1_14partition_implILS5_5ELb0ES3_mN6thrust23THRUST_200600_302600_NS6detail15normal_iteratorINSA_10device_ptrIfEEEEPS6_NSA_18transform_iteratorINSB_9not_fun_tI7is_trueIfEEENSC_INSD_IbEEEENSA_11use_defaultESO_EENS0_5tupleIJSF_S6_EEENSQ_IJSG_SG_EEES6_PlJS6_EEE10hipError_tPvRmT3_T4_T5_T6_T7_T9_mT8_P12ihipStream_tbDpT10_ENKUlT_T0_E_clISt17integral_constantIbLb1EES1D_EEDaS18_S19_EUlS18_E_NS1_11comp_targetILNS1_3genE4ELNS1_11target_archE910ELNS1_3gpuE8ELNS1_3repE0EEENS1_30default_config_static_selectorELNS0_4arch9wavefront6targetE0EEEvT1_.uses_flat_scratch, 0
	.set _ZN7rocprim17ROCPRIM_400000_NS6detail17trampoline_kernelINS0_14default_configENS1_25partition_config_selectorILNS1_17partition_subalgoE5EfNS0_10empty_typeEbEEZZNS1_14partition_implILS5_5ELb0ES3_mN6thrust23THRUST_200600_302600_NS6detail15normal_iteratorINSA_10device_ptrIfEEEEPS6_NSA_18transform_iteratorINSB_9not_fun_tI7is_trueIfEEENSC_INSD_IbEEEENSA_11use_defaultESO_EENS0_5tupleIJSF_S6_EEENSQ_IJSG_SG_EEES6_PlJS6_EEE10hipError_tPvRmT3_T4_T5_T6_T7_T9_mT8_P12ihipStream_tbDpT10_ENKUlT_T0_E_clISt17integral_constantIbLb1EES1D_EEDaS18_S19_EUlS18_E_NS1_11comp_targetILNS1_3genE4ELNS1_11target_archE910ELNS1_3gpuE8ELNS1_3repE0EEENS1_30default_config_static_selectorELNS0_4arch9wavefront6targetE0EEEvT1_.has_dyn_sized_stack, 0
	.set _ZN7rocprim17ROCPRIM_400000_NS6detail17trampoline_kernelINS0_14default_configENS1_25partition_config_selectorILNS1_17partition_subalgoE5EfNS0_10empty_typeEbEEZZNS1_14partition_implILS5_5ELb0ES3_mN6thrust23THRUST_200600_302600_NS6detail15normal_iteratorINSA_10device_ptrIfEEEEPS6_NSA_18transform_iteratorINSB_9not_fun_tI7is_trueIfEEENSC_INSD_IbEEEENSA_11use_defaultESO_EENS0_5tupleIJSF_S6_EEENSQ_IJSG_SG_EEES6_PlJS6_EEE10hipError_tPvRmT3_T4_T5_T6_T7_T9_mT8_P12ihipStream_tbDpT10_ENKUlT_T0_E_clISt17integral_constantIbLb1EES1D_EEDaS18_S19_EUlS18_E_NS1_11comp_targetILNS1_3genE4ELNS1_11target_archE910ELNS1_3gpuE8ELNS1_3repE0EEENS1_30default_config_static_selectorELNS0_4arch9wavefront6targetE0EEEvT1_.has_recursion, 0
	.set _ZN7rocprim17ROCPRIM_400000_NS6detail17trampoline_kernelINS0_14default_configENS1_25partition_config_selectorILNS1_17partition_subalgoE5EfNS0_10empty_typeEbEEZZNS1_14partition_implILS5_5ELb0ES3_mN6thrust23THRUST_200600_302600_NS6detail15normal_iteratorINSA_10device_ptrIfEEEEPS6_NSA_18transform_iteratorINSB_9not_fun_tI7is_trueIfEEENSC_INSD_IbEEEENSA_11use_defaultESO_EENS0_5tupleIJSF_S6_EEENSQ_IJSG_SG_EEES6_PlJS6_EEE10hipError_tPvRmT3_T4_T5_T6_T7_T9_mT8_P12ihipStream_tbDpT10_ENKUlT_T0_E_clISt17integral_constantIbLb1EES1D_EEDaS18_S19_EUlS18_E_NS1_11comp_targetILNS1_3genE4ELNS1_11target_archE910ELNS1_3gpuE8ELNS1_3repE0EEENS1_30default_config_static_selectorELNS0_4arch9wavefront6targetE0EEEvT1_.has_indirect_call, 0
	.section	.AMDGPU.csdata,"",@progbits
; Kernel info:
; codeLenInByte = 0
; TotalNumSgprs: 0
; NumVgprs: 0
; ScratchSize: 0
; MemoryBound: 0
; FloatMode: 240
; IeeeMode: 1
; LDSByteSize: 0 bytes/workgroup (compile time only)
; SGPRBlocks: 0
; VGPRBlocks: 0
; NumSGPRsForWavesPerEU: 1
; NumVGPRsForWavesPerEU: 1
; Occupancy: 16
; WaveLimiterHint : 0
; COMPUTE_PGM_RSRC2:SCRATCH_EN: 0
; COMPUTE_PGM_RSRC2:USER_SGPR: 2
; COMPUTE_PGM_RSRC2:TRAP_HANDLER: 0
; COMPUTE_PGM_RSRC2:TGID_X_EN: 1
; COMPUTE_PGM_RSRC2:TGID_Y_EN: 0
; COMPUTE_PGM_RSRC2:TGID_Z_EN: 0
; COMPUTE_PGM_RSRC2:TIDIG_COMP_CNT: 0
	.section	.text._ZN7rocprim17ROCPRIM_400000_NS6detail17trampoline_kernelINS0_14default_configENS1_25partition_config_selectorILNS1_17partition_subalgoE5EfNS0_10empty_typeEbEEZZNS1_14partition_implILS5_5ELb0ES3_mN6thrust23THRUST_200600_302600_NS6detail15normal_iteratorINSA_10device_ptrIfEEEEPS6_NSA_18transform_iteratorINSB_9not_fun_tI7is_trueIfEEENSC_INSD_IbEEEENSA_11use_defaultESO_EENS0_5tupleIJSF_S6_EEENSQ_IJSG_SG_EEES6_PlJS6_EEE10hipError_tPvRmT3_T4_T5_T6_T7_T9_mT8_P12ihipStream_tbDpT10_ENKUlT_T0_E_clISt17integral_constantIbLb1EES1D_EEDaS18_S19_EUlS18_E_NS1_11comp_targetILNS1_3genE3ELNS1_11target_archE908ELNS1_3gpuE7ELNS1_3repE0EEENS1_30default_config_static_selectorELNS0_4arch9wavefront6targetE0EEEvT1_,"axG",@progbits,_ZN7rocprim17ROCPRIM_400000_NS6detail17trampoline_kernelINS0_14default_configENS1_25partition_config_selectorILNS1_17partition_subalgoE5EfNS0_10empty_typeEbEEZZNS1_14partition_implILS5_5ELb0ES3_mN6thrust23THRUST_200600_302600_NS6detail15normal_iteratorINSA_10device_ptrIfEEEEPS6_NSA_18transform_iteratorINSB_9not_fun_tI7is_trueIfEEENSC_INSD_IbEEEENSA_11use_defaultESO_EENS0_5tupleIJSF_S6_EEENSQ_IJSG_SG_EEES6_PlJS6_EEE10hipError_tPvRmT3_T4_T5_T6_T7_T9_mT8_P12ihipStream_tbDpT10_ENKUlT_T0_E_clISt17integral_constantIbLb1EES1D_EEDaS18_S19_EUlS18_E_NS1_11comp_targetILNS1_3genE3ELNS1_11target_archE908ELNS1_3gpuE7ELNS1_3repE0EEENS1_30default_config_static_selectorELNS0_4arch9wavefront6targetE0EEEvT1_,comdat
	.protected	_ZN7rocprim17ROCPRIM_400000_NS6detail17trampoline_kernelINS0_14default_configENS1_25partition_config_selectorILNS1_17partition_subalgoE5EfNS0_10empty_typeEbEEZZNS1_14partition_implILS5_5ELb0ES3_mN6thrust23THRUST_200600_302600_NS6detail15normal_iteratorINSA_10device_ptrIfEEEEPS6_NSA_18transform_iteratorINSB_9not_fun_tI7is_trueIfEEENSC_INSD_IbEEEENSA_11use_defaultESO_EENS0_5tupleIJSF_S6_EEENSQ_IJSG_SG_EEES6_PlJS6_EEE10hipError_tPvRmT3_T4_T5_T6_T7_T9_mT8_P12ihipStream_tbDpT10_ENKUlT_T0_E_clISt17integral_constantIbLb1EES1D_EEDaS18_S19_EUlS18_E_NS1_11comp_targetILNS1_3genE3ELNS1_11target_archE908ELNS1_3gpuE7ELNS1_3repE0EEENS1_30default_config_static_selectorELNS0_4arch9wavefront6targetE0EEEvT1_ ; -- Begin function _ZN7rocprim17ROCPRIM_400000_NS6detail17trampoline_kernelINS0_14default_configENS1_25partition_config_selectorILNS1_17partition_subalgoE5EfNS0_10empty_typeEbEEZZNS1_14partition_implILS5_5ELb0ES3_mN6thrust23THRUST_200600_302600_NS6detail15normal_iteratorINSA_10device_ptrIfEEEEPS6_NSA_18transform_iteratorINSB_9not_fun_tI7is_trueIfEEENSC_INSD_IbEEEENSA_11use_defaultESO_EENS0_5tupleIJSF_S6_EEENSQ_IJSG_SG_EEES6_PlJS6_EEE10hipError_tPvRmT3_T4_T5_T6_T7_T9_mT8_P12ihipStream_tbDpT10_ENKUlT_T0_E_clISt17integral_constantIbLb1EES1D_EEDaS18_S19_EUlS18_E_NS1_11comp_targetILNS1_3genE3ELNS1_11target_archE908ELNS1_3gpuE7ELNS1_3repE0EEENS1_30default_config_static_selectorELNS0_4arch9wavefront6targetE0EEEvT1_
	.globl	_ZN7rocprim17ROCPRIM_400000_NS6detail17trampoline_kernelINS0_14default_configENS1_25partition_config_selectorILNS1_17partition_subalgoE5EfNS0_10empty_typeEbEEZZNS1_14partition_implILS5_5ELb0ES3_mN6thrust23THRUST_200600_302600_NS6detail15normal_iteratorINSA_10device_ptrIfEEEEPS6_NSA_18transform_iteratorINSB_9not_fun_tI7is_trueIfEEENSC_INSD_IbEEEENSA_11use_defaultESO_EENS0_5tupleIJSF_S6_EEENSQ_IJSG_SG_EEES6_PlJS6_EEE10hipError_tPvRmT3_T4_T5_T6_T7_T9_mT8_P12ihipStream_tbDpT10_ENKUlT_T0_E_clISt17integral_constantIbLb1EES1D_EEDaS18_S19_EUlS18_E_NS1_11comp_targetILNS1_3genE3ELNS1_11target_archE908ELNS1_3gpuE7ELNS1_3repE0EEENS1_30default_config_static_selectorELNS0_4arch9wavefront6targetE0EEEvT1_
	.p2align	8
	.type	_ZN7rocprim17ROCPRIM_400000_NS6detail17trampoline_kernelINS0_14default_configENS1_25partition_config_selectorILNS1_17partition_subalgoE5EfNS0_10empty_typeEbEEZZNS1_14partition_implILS5_5ELb0ES3_mN6thrust23THRUST_200600_302600_NS6detail15normal_iteratorINSA_10device_ptrIfEEEEPS6_NSA_18transform_iteratorINSB_9not_fun_tI7is_trueIfEEENSC_INSD_IbEEEENSA_11use_defaultESO_EENS0_5tupleIJSF_S6_EEENSQ_IJSG_SG_EEES6_PlJS6_EEE10hipError_tPvRmT3_T4_T5_T6_T7_T9_mT8_P12ihipStream_tbDpT10_ENKUlT_T0_E_clISt17integral_constantIbLb1EES1D_EEDaS18_S19_EUlS18_E_NS1_11comp_targetILNS1_3genE3ELNS1_11target_archE908ELNS1_3gpuE7ELNS1_3repE0EEENS1_30default_config_static_selectorELNS0_4arch9wavefront6targetE0EEEvT1_,@function
_ZN7rocprim17ROCPRIM_400000_NS6detail17trampoline_kernelINS0_14default_configENS1_25partition_config_selectorILNS1_17partition_subalgoE5EfNS0_10empty_typeEbEEZZNS1_14partition_implILS5_5ELb0ES3_mN6thrust23THRUST_200600_302600_NS6detail15normal_iteratorINSA_10device_ptrIfEEEEPS6_NSA_18transform_iteratorINSB_9not_fun_tI7is_trueIfEEENSC_INSD_IbEEEENSA_11use_defaultESO_EENS0_5tupleIJSF_S6_EEENSQ_IJSG_SG_EEES6_PlJS6_EEE10hipError_tPvRmT3_T4_T5_T6_T7_T9_mT8_P12ihipStream_tbDpT10_ENKUlT_T0_E_clISt17integral_constantIbLb1EES1D_EEDaS18_S19_EUlS18_E_NS1_11comp_targetILNS1_3genE3ELNS1_11target_archE908ELNS1_3gpuE7ELNS1_3repE0EEENS1_30default_config_static_selectorELNS0_4arch9wavefront6targetE0EEEvT1_: ; @_ZN7rocprim17ROCPRIM_400000_NS6detail17trampoline_kernelINS0_14default_configENS1_25partition_config_selectorILNS1_17partition_subalgoE5EfNS0_10empty_typeEbEEZZNS1_14partition_implILS5_5ELb0ES3_mN6thrust23THRUST_200600_302600_NS6detail15normal_iteratorINSA_10device_ptrIfEEEEPS6_NSA_18transform_iteratorINSB_9not_fun_tI7is_trueIfEEENSC_INSD_IbEEEENSA_11use_defaultESO_EENS0_5tupleIJSF_S6_EEENSQ_IJSG_SG_EEES6_PlJS6_EEE10hipError_tPvRmT3_T4_T5_T6_T7_T9_mT8_P12ihipStream_tbDpT10_ENKUlT_T0_E_clISt17integral_constantIbLb1EES1D_EEDaS18_S19_EUlS18_E_NS1_11comp_targetILNS1_3genE3ELNS1_11target_archE908ELNS1_3gpuE7ELNS1_3repE0EEENS1_30default_config_static_selectorELNS0_4arch9wavefront6targetE0EEEvT1_
; %bb.0:
	.section	.rodata,"a",@progbits
	.p2align	6, 0x0
	.amdhsa_kernel _ZN7rocprim17ROCPRIM_400000_NS6detail17trampoline_kernelINS0_14default_configENS1_25partition_config_selectorILNS1_17partition_subalgoE5EfNS0_10empty_typeEbEEZZNS1_14partition_implILS5_5ELb0ES3_mN6thrust23THRUST_200600_302600_NS6detail15normal_iteratorINSA_10device_ptrIfEEEEPS6_NSA_18transform_iteratorINSB_9not_fun_tI7is_trueIfEEENSC_INSD_IbEEEENSA_11use_defaultESO_EENS0_5tupleIJSF_S6_EEENSQ_IJSG_SG_EEES6_PlJS6_EEE10hipError_tPvRmT3_T4_T5_T6_T7_T9_mT8_P12ihipStream_tbDpT10_ENKUlT_T0_E_clISt17integral_constantIbLb1EES1D_EEDaS18_S19_EUlS18_E_NS1_11comp_targetILNS1_3genE3ELNS1_11target_archE908ELNS1_3gpuE7ELNS1_3repE0EEENS1_30default_config_static_selectorELNS0_4arch9wavefront6targetE0EEEvT1_
		.amdhsa_group_segment_fixed_size 0
		.amdhsa_private_segment_fixed_size 0
		.amdhsa_kernarg_size 136
		.amdhsa_user_sgpr_count 2
		.amdhsa_user_sgpr_dispatch_ptr 0
		.amdhsa_user_sgpr_queue_ptr 0
		.amdhsa_user_sgpr_kernarg_segment_ptr 1
		.amdhsa_user_sgpr_dispatch_id 0
		.amdhsa_user_sgpr_private_segment_size 0
		.amdhsa_wavefront_size32 1
		.amdhsa_uses_dynamic_stack 0
		.amdhsa_enable_private_segment 0
		.amdhsa_system_sgpr_workgroup_id_x 1
		.amdhsa_system_sgpr_workgroup_id_y 0
		.amdhsa_system_sgpr_workgroup_id_z 0
		.amdhsa_system_sgpr_workgroup_info 0
		.amdhsa_system_vgpr_workitem_id 0
		.amdhsa_next_free_vgpr 1
		.amdhsa_next_free_sgpr 1
		.amdhsa_reserve_vcc 0
		.amdhsa_float_round_mode_32 0
		.amdhsa_float_round_mode_16_64 0
		.amdhsa_float_denorm_mode_32 3
		.amdhsa_float_denorm_mode_16_64 3
		.amdhsa_fp16_overflow 0
		.amdhsa_workgroup_processor_mode 1
		.amdhsa_memory_ordered 1
		.amdhsa_forward_progress 1
		.amdhsa_inst_pref_size 0
		.amdhsa_round_robin_scheduling 0
		.amdhsa_exception_fp_ieee_invalid_op 0
		.amdhsa_exception_fp_denorm_src 0
		.amdhsa_exception_fp_ieee_div_zero 0
		.amdhsa_exception_fp_ieee_overflow 0
		.amdhsa_exception_fp_ieee_underflow 0
		.amdhsa_exception_fp_ieee_inexact 0
		.amdhsa_exception_int_div_zero 0
	.end_amdhsa_kernel
	.section	.text._ZN7rocprim17ROCPRIM_400000_NS6detail17trampoline_kernelINS0_14default_configENS1_25partition_config_selectorILNS1_17partition_subalgoE5EfNS0_10empty_typeEbEEZZNS1_14partition_implILS5_5ELb0ES3_mN6thrust23THRUST_200600_302600_NS6detail15normal_iteratorINSA_10device_ptrIfEEEEPS6_NSA_18transform_iteratorINSB_9not_fun_tI7is_trueIfEEENSC_INSD_IbEEEENSA_11use_defaultESO_EENS0_5tupleIJSF_S6_EEENSQ_IJSG_SG_EEES6_PlJS6_EEE10hipError_tPvRmT3_T4_T5_T6_T7_T9_mT8_P12ihipStream_tbDpT10_ENKUlT_T0_E_clISt17integral_constantIbLb1EES1D_EEDaS18_S19_EUlS18_E_NS1_11comp_targetILNS1_3genE3ELNS1_11target_archE908ELNS1_3gpuE7ELNS1_3repE0EEENS1_30default_config_static_selectorELNS0_4arch9wavefront6targetE0EEEvT1_,"axG",@progbits,_ZN7rocprim17ROCPRIM_400000_NS6detail17trampoline_kernelINS0_14default_configENS1_25partition_config_selectorILNS1_17partition_subalgoE5EfNS0_10empty_typeEbEEZZNS1_14partition_implILS5_5ELb0ES3_mN6thrust23THRUST_200600_302600_NS6detail15normal_iteratorINSA_10device_ptrIfEEEEPS6_NSA_18transform_iteratorINSB_9not_fun_tI7is_trueIfEEENSC_INSD_IbEEEENSA_11use_defaultESO_EENS0_5tupleIJSF_S6_EEENSQ_IJSG_SG_EEES6_PlJS6_EEE10hipError_tPvRmT3_T4_T5_T6_T7_T9_mT8_P12ihipStream_tbDpT10_ENKUlT_T0_E_clISt17integral_constantIbLb1EES1D_EEDaS18_S19_EUlS18_E_NS1_11comp_targetILNS1_3genE3ELNS1_11target_archE908ELNS1_3gpuE7ELNS1_3repE0EEENS1_30default_config_static_selectorELNS0_4arch9wavefront6targetE0EEEvT1_,comdat
.Lfunc_end2376:
	.size	_ZN7rocprim17ROCPRIM_400000_NS6detail17trampoline_kernelINS0_14default_configENS1_25partition_config_selectorILNS1_17partition_subalgoE5EfNS0_10empty_typeEbEEZZNS1_14partition_implILS5_5ELb0ES3_mN6thrust23THRUST_200600_302600_NS6detail15normal_iteratorINSA_10device_ptrIfEEEEPS6_NSA_18transform_iteratorINSB_9not_fun_tI7is_trueIfEEENSC_INSD_IbEEEENSA_11use_defaultESO_EENS0_5tupleIJSF_S6_EEENSQ_IJSG_SG_EEES6_PlJS6_EEE10hipError_tPvRmT3_T4_T5_T6_T7_T9_mT8_P12ihipStream_tbDpT10_ENKUlT_T0_E_clISt17integral_constantIbLb1EES1D_EEDaS18_S19_EUlS18_E_NS1_11comp_targetILNS1_3genE3ELNS1_11target_archE908ELNS1_3gpuE7ELNS1_3repE0EEENS1_30default_config_static_selectorELNS0_4arch9wavefront6targetE0EEEvT1_, .Lfunc_end2376-_ZN7rocprim17ROCPRIM_400000_NS6detail17trampoline_kernelINS0_14default_configENS1_25partition_config_selectorILNS1_17partition_subalgoE5EfNS0_10empty_typeEbEEZZNS1_14partition_implILS5_5ELb0ES3_mN6thrust23THRUST_200600_302600_NS6detail15normal_iteratorINSA_10device_ptrIfEEEEPS6_NSA_18transform_iteratorINSB_9not_fun_tI7is_trueIfEEENSC_INSD_IbEEEENSA_11use_defaultESO_EENS0_5tupleIJSF_S6_EEENSQ_IJSG_SG_EEES6_PlJS6_EEE10hipError_tPvRmT3_T4_T5_T6_T7_T9_mT8_P12ihipStream_tbDpT10_ENKUlT_T0_E_clISt17integral_constantIbLb1EES1D_EEDaS18_S19_EUlS18_E_NS1_11comp_targetILNS1_3genE3ELNS1_11target_archE908ELNS1_3gpuE7ELNS1_3repE0EEENS1_30default_config_static_selectorELNS0_4arch9wavefront6targetE0EEEvT1_
                                        ; -- End function
	.set _ZN7rocprim17ROCPRIM_400000_NS6detail17trampoline_kernelINS0_14default_configENS1_25partition_config_selectorILNS1_17partition_subalgoE5EfNS0_10empty_typeEbEEZZNS1_14partition_implILS5_5ELb0ES3_mN6thrust23THRUST_200600_302600_NS6detail15normal_iteratorINSA_10device_ptrIfEEEEPS6_NSA_18transform_iteratorINSB_9not_fun_tI7is_trueIfEEENSC_INSD_IbEEEENSA_11use_defaultESO_EENS0_5tupleIJSF_S6_EEENSQ_IJSG_SG_EEES6_PlJS6_EEE10hipError_tPvRmT3_T4_T5_T6_T7_T9_mT8_P12ihipStream_tbDpT10_ENKUlT_T0_E_clISt17integral_constantIbLb1EES1D_EEDaS18_S19_EUlS18_E_NS1_11comp_targetILNS1_3genE3ELNS1_11target_archE908ELNS1_3gpuE7ELNS1_3repE0EEENS1_30default_config_static_selectorELNS0_4arch9wavefront6targetE0EEEvT1_.num_vgpr, 0
	.set _ZN7rocprim17ROCPRIM_400000_NS6detail17trampoline_kernelINS0_14default_configENS1_25partition_config_selectorILNS1_17partition_subalgoE5EfNS0_10empty_typeEbEEZZNS1_14partition_implILS5_5ELb0ES3_mN6thrust23THRUST_200600_302600_NS6detail15normal_iteratorINSA_10device_ptrIfEEEEPS6_NSA_18transform_iteratorINSB_9not_fun_tI7is_trueIfEEENSC_INSD_IbEEEENSA_11use_defaultESO_EENS0_5tupleIJSF_S6_EEENSQ_IJSG_SG_EEES6_PlJS6_EEE10hipError_tPvRmT3_T4_T5_T6_T7_T9_mT8_P12ihipStream_tbDpT10_ENKUlT_T0_E_clISt17integral_constantIbLb1EES1D_EEDaS18_S19_EUlS18_E_NS1_11comp_targetILNS1_3genE3ELNS1_11target_archE908ELNS1_3gpuE7ELNS1_3repE0EEENS1_30default_config_static_selectorELNS0_4arch9wavefront6targetE0EEEvT1_.num_agpr, 0
	.set _ZN7rocprim17ROCPRIM_400000_NS6detail17trampoline_kernelINS0_14default_configENS1_25partition_config_selectorILNS1_17partition_subalgoE5EfNS0_10empty_typeEbEEZZNS1_14partition_implILS5_5ELb0ES3_mN6thrust23THRUST_200600_302600_NS6detail15normal_iteratorINSA_10device_ptrIfEEEEPS6_NSA_18transform_iteratorINSB_9not_fun_tI7is_trueIfEEENSC_INSD_IbEEEENSA_11use_defaultESO_EENS0_5tupleIJSF_S6_EEENSQ_IJSG_SG_EEES6_PlJS6_EEE10hipError_tPvRmT3_T4_T5_T6_T7_T9_mT8_P12ihipStream_tbDpT10_ENKUlT_T0_E_clISt17integral_constantIbLb1EES1D_EEDaS18_S19_EUlS18_E_NS1_11comp_targetILNS1_3genE3ELNS1_11target_archE908ELNS1_3gpuE7ELNS1_3repE0EEENS1_30default_config_static_selectorELNS0_4arch9wavefront6targetE0EEEvT1_.numbered_sgpr, 0
	.set _ZN7rocprim17ROCPRIM_400000_NS6detail17trampoline_kernelINS0_14default_configENS1_25partition_config_selectorILNS1_17partition_subalgoE5EfNS0_10empty_typeEbEEZZNS1_14partition_implILS5_5ELb0ES3_mN6thrust23THRUST_200600_302600_NS6detail15normal_iteratorINSA_10device_ptrIfEEEEPS6_NSA_18transform_iteratorINSB_9not_fun_tI7is_trueIfEEENSC_INSD_IbEEEENSA_11use_defaultESO_EENS0_5tupleIJSF_S6_EEENSQ_IJSG_SG_EEES6_PlJS6_EEE10hipError_tPvRmT3_T4_T5_T6_T7_T9_mT8_P12ihipStream_tbDpT10_ENKUlT_T0_E_clISt17integral_constantIbLb1EES1D_EEDaS18_S19_EUlS18_E_NS1_11comp_targetILNS1_3genE3ELNS1_11target_archE908ELNS1_3gpuE7ELNS1_3repE0EEENS1_30default_config_static_selectorELNS0_4arch9wavefront6targetE0EEEvT1_.num_named_barrier, 0
	.set _ZN7rocprim17ROCPRIM_400000_NS6detail17trampoline_kernelINS0_14default_configENS1_25partition_config_selectorILNS1_17partition_subalgoE5EfNS0_10empty_typeEbEEZZNS1_14partition_implILS5_5ELb0ES3_mN6thrust23THRUST_200600_302600_NS6detail15normal_iteratorINSA_10device_ptrIfEEEEPS6_NSA_18transform_iteratorINSB_9not_fun_tI7is_trueIfEEENSC_INSD_IbEEEENSA_11use_defaultESO_EENS0_5tupleIJSF_S6_EEENSQ_IJSG_SG_EEES6_PlJS6_EEE10hipError_tPvRmT3_T4_T5_T6_T7_T9_mT8_P12ihipStream_tbDpT10_ENKUlT_T0_E_clISt17integral_constantIbLb1EES1D_EEDaS18_S19_EUlS18_E_NS1_11comp_targetILNS1_3genE3ELNS1_11target_archE908ELNS1_3gpuE7ELNS1_3repE0EEENS1_30default_config_static_selectorELNS0_4arch9wavefront6targetE0EEEvT1_.private_seg_size, 0
	.set _ZN7rocprim17ROCPRIM_400000_NS6detail17trampoline_kernelINS0_14default_configENS1_25partition_config_selectorILNS1_17partition_subalgoE5EfNS0_10empty_typeEbEEZZNS1_14partition_implILS5_5ELb0ES3_mN6thrust23THRUST_200600_302600_NS6detail15normal_iteratorINSA_10device_ptrIfEEEEPS6_NSA_18transform_iteratorINSB_9not_fun_tI7is_trueIfEEENSC_INSD_IbEEEENSA_11use_defaultESO_EENS0_5tupleIJSF_S6_EEENSQ_IJSG_SG_EEES6_PlJS6_EEE10hipError_tPvRmT3_T4_T5_T6_T7_T9_mT8_P12ihipStream_tbDpT10_ENKUlT_T0_E_clISt17integral_constantIbLb1EES1D_EEDaS18_S19_EUlS18_E_NS1_11comp_targetILNS1_3genE3ELNS1_11target_archE908ELNS1_3gpuE7ELNS1_3repE0EEENS1_30default_config_static_selectorELNS0_4arch9wavefront6targetE0EEEvT1_.uses_vcc, 0
	.set _ZN7rocprim17ROCPRIM_400000_NS6detail17trampoline_kernelINS0_14default_configENS1_25partition_config_selectorILNS1_17partition_subalgoE5EfNS0_10empty_typeEbEEZZNS1_14partition_implILS5_5ELb0ES3_mN6thrust23THRUST_200600_302600_NS6detail15normal_iteratorINSA_10device_ptrIfEEEEPS6_NSA_18transform_iteratorINSB_9not_fun_tI7is_trueIfEEENSC_INSD_IbEEEENSA_11use_defaultESO_EENS0_5tupleIJSF_S6_EEENSQ_IJSG_SG_EEES6_PlJS6_EEE10hipError_tPvRmT3_T4_T5_T6_T7_T9_mT8_P12ihipStream_tbDpT10_ENKUlT_T0_E_clISt17integral_constantIbLb1EES1D_EEDaS18_S19_EUlS18_E_NS1_11comp_targetILNS1_3genE3ELNS1_11target_archE908ELNS1_3gpuE7ELNS1_3repE0EEENS1_30default_config_static_selectorELNS0_4arch9wavefront6targetE0EEEvT1_.uses_flat_scratch, 0
	.set _ZN7rocprim17ROCPRIM_400000_NS6detail17trampoline_kernelINS0_14default_configENS1_25partition_config_selectorILNS1_17partition_subalgoE5EfNS0_10empty_typeEbEEZZNS1_14partition_implILS5_5ELb0ES3_mN6thrust23THRUST_200600_302600_NS6detail15normal_iteratorINSA_10device_ptrIfEEEEPS6_NSA_18transform_iteratorINSB_9not_fun_tI7is_trueIfEEENSC_INSD_IbEEEENSA_11use_defaultESO_EENS0_5tupleIJSF_S6_EEENSQ_IJSG_SG_EEES6_PlJS6_EEE10hipError_tPvRmT3_T4_T5_T6_T7_T9_mT8_P12ihipStream_tbDpT10_ENKUlT_T0_E_clISt17integral_constantIbLb1EES1D_EEDaS18_S19_EUlS18_E_NS1_11comp_targetILNS1_3genE3ELNS1_11target_archE908ELNS1_3gpuE7ELNS1_3repE0EEENS1_30default_config_static_selectorELNS0_4arch9wavefront6targetE0EEEvT1_.has_dyn_sized_stack, 0
	.set _ZN7rocprim17ROCPRIM_400000_NS6detail17trampoline_kernelINS0_14default_configENS1_25partition_config_selectorILNS1_17partition_subalgoE5EfNS0_10empty_typeEbEEZZNS1_14partition_implILS5_5ELb0ES3_mN6thrust23THRUST_200600_302600_NS6detail15normal_iteratorINSA_10device_ptrIfEEEEPS6_NSA_18transform_iteratorINSB_9not_fun_tI7is_trueIfEEENSC_INSD_IbEEEENSA_11use_defaultESO_EENS0_5tupleIJSF_S6_EEENSQ_IJSG_SG_EEES6_PlJS6_EEE10hipError_tPvRmT3_T4_T5_T6_T7_T9_mT8_P12ihipStream_tbDpT10_ENKUlT_T0_E_clISt17integral_constantIbLb1EES1D_EEDaS18_S19_EUlS18_E_NS1_11comp_targetILNS1_3genE3ELNS1_11target_archE908ELNS1_3gpuE7ELNS1_3repE0EEENS1_30default_config_static_selectorELNS0_4arch9wavefront6targetE0EEEvT1_.has_recursion, 0
	.set _ZN7rocprim17ROCPRIM_400000_NS6detail17trampoline_kernelINS0_14default_configENS1_25partition_config_selectorILNS1_17partition_subalgoE5EfNS0_10empty_typeEbEEZZNS1_14partition_implILS5_5ELb0ES3_mN6thrust23THRUST_200600_302600_NS6detail15normal_iteratorINSA_10device_ptrIfEEEEPS6_NSA_18transform_iteratorINSB_9not_fun_tI7is_trueIfEEENSC_INSD_IbEEEENSA_11use_defaultESO_EENS0_5tupleIJSF_S6_EEENSQ_IJSG_SG_EEES6_PlJS6_EEE10hipError_tPvRmT3_T4_T5_T6_T7_T9_mT8_P12ihipStream_tbDpT10_ENKUlT_T0_E_clISt17integral_constantIbLb1EES1D_EEDaS18_S19_EUlS18_E_NS1_11comp_targetILNS1_3genE3ELNS1_11target_archE908ELNS1_3gpuE7ELNS1_3repE0EEENS1_30default_config_static_selectorELNS0_4arch9wavefront6targetE0EEEvT1_.has_indirect_call, 0
	.section	.AMDGPU.csdata,"",@progbits
; Kernel info:
; codeLenInByte = 0
; TotalNumSgprs: 0
; NumVgprs: 0
; ScratchSize: 0
; MemoryBound: 0
; FloatMode: 240
; IeeeMode: 1
; LDSByteSize: 0 bytes/workgroup (compile time only)
; SGPRBlocks: 0
; VGPRBlocks: 0
; NumSGPRsForWavesPerEU: 1
; NumVGPRsForWavesPerEU: 1
; Occupancy: 16
; WaveLimiterHint : 0
; COMPUTE_PGM_RSRC2:SCRATCH_EN: 0
; COMPUTE_PGM_RSRC2:USER_SGPR: 2
; COMPUTE_PGM_RSRC2:TRAP_HANDLER: 0
; COMPUTE_PGM_RSRC2:TGID_X_EN: 1
; COMPUTE_PGM_RSRC2:TGID_Y_EN: 0
; COMPUTE_PGM_RSRC2:TGID_Z_EN: 0
; COMPUTE_PGM_RSRC2:TIDIG_COMP_CNT: 0
	.section	.text._ZN7rocprim17ROCPRIM_400000_NS6detail17trampoline_kernelINS0_14default_configENS1_25partition_config_selectorILNS1_17partition_subalgoE5EfNS0_10empty_typeEbEEZZNS1_14partition_implILS5_5ELb0ES3_mN6thrust23THRUST_200600_302600_NS6detail15normal_iteratorINSA_10device_ptrIfEEEEPS6_NSA_18transform_iteratorINSB_9not_fun_tI7is_trueIfEEENSC_INSD_IbEEEENSA_11use_defaultESO_EENS0_5tupleIJSF_S6_EEENSQ_IJSG_SG_EEES6_PlJS6_EEE10hipError_tPvRmT3_T4_T5_T6_T7_T9_mT8_P12ihipStream_tbDpT10_ENKUlT_T0_E_clISt17integral_constantIbLb1EES1D_EEDaS18_S19_EUlS18_E_NS1_11comp_targetILNS1_3genE2ELNS1_11target_archE906ELNS1_3gpuE6ELNS1_3repE0EEENS1_30default_config_static_selectorELNS0_4arch9wavefront6targetE0EEEvT1_,"axG",@progbits,_ZN7rocprim17ROCPRIM_400000_NS6detail17trampoline_kernelINS0_14default_configENS1_25partition_config_selectorILNS1_17partition_subalgoE5EfNS0_10empty_typeEbEEZZNS1_14partition_implILS5_5ELb0ES3_mN6thrust23THRUST_200600_302600_NS6detail15normal_iteratorINSA_10device_ptrIfEEEEPS6_NSA_18transform_iteratorINSB_9not_fun_tI7is_trueIfEEENSC_INSD_IbEEEENSA_11use_defaultESO_EENS0_5tupleIJSF_S6_EEENSQ_IJSG_SG_EEES6_PlJS6_EEE10hipError_tPvRmT3_T4_T5_T6_T7_T9_mT8_P12ihipStream_tbDpT10_ENKUlT_T0_E_clISt17integral_constantIbLb1EES1D_EEDaS18_S19_EUlS18_E_NS1_11comp_targetILNS1_3genE2ELNS1_11target_archE906ELNS1_3gpuE6ELNS1_3repE0EEENS1_30default_config_static_selectorELNS0_4arch9wavefront6targetE0EEEvT1_,comdat
	.protected	_ZN7rocprim17ROCPRIM_400000_NS6detail17trampoline_kernelINS0_14default_configENS1_25partition_config_selectorILNS1_17partition_subalgoE5EfNS0_10empty_typeEbEEZZNS1_14partition_implILS5_5ELb0ES3_mN6thrust23THRUST_200600_302600_NS6detail15normal_iteratorINSA_10device_ptrIfEEEEPS6_NSA_18transform_iteratorINSB_9not_fun_tI7is_trueIfEEENSC_INSD_IbEEEENSA_11use_defaultESO_EENS0_5tupleIJSF_S6_EEENSQ_IJSG_SG_EEES6_PlJS6_EEE10hipError_tPvRmT3_T4_T5_T6_T7_T9_mT8_P12ihipStream_tbDpT10_ENKUlT_T0_E_clISt17integral_constantIbLb1EES1D_EEDaS18_S19_EUlS18_E_NS1_11comp_targetILNS1_3genE2ELNS1_11target_archE906ELNS1_3gpuE6ELNS1_3repE0EEENS1_30default_config_static_selectorELNS0_4arch9wavefront6targetE0EEEvT1_ ; -- Begin function _ZN7rocprim17ROCPRIM_400000_NS6detail17trampoline_kernelINS0_14default_configENS1_25partition_config_selectorILNS1_17partition_subalgoE5EfNS0_10empty_typeEbEEZZNS1_14partition_implILS5_5ELb0ES3_mN6thrust23THRUST_200600_302600_NS6detail15normal_iteratorINSA_10device_ptrIfEEEEPS6_NSA_18transform_iteratorINSB_9not_fun_tI7is_trueIfEEENSC_INSD_IbEEEENSA_11use_defaultESO_EENS0_5tupleIJSF_S6_EEENSQ_IJSG_SG_EEES6_PlJS6_EEE10hipError_tPvRmT3_T4_T5_T6_T7_T9_mT8_P12ihipStream_tbDpT10_ENKUlT_T0_E_clISt17integral_constantIbLb1EES1D_EEDaS18_S19_EUlS18_E_NS1_11comp_targetILNS1_3genE2ELNS1_11target_archE906ELNS1_3gpuE6ELNS1_3repE0EEENS1_30default_config_static_selectorELNS0_4arch9wavefront6targetE0EEEvT1_
	.globl	_ZN7rocprim17ROCPRIM_400000_NS6detail17trampoline_kernelINS0_14default_configENS1_25partition_config_selectorILNS1_17partition_subalgoE5EfNS0_10empty_typeEbEEZZNS1_14partition_implILS5_5ELb0ES3_mN6thrust23THRUST_200600_302600_NS6detail15normal_iteratorINSA_10device_ptrIfEEEEPS6_NSA_18transform_iteratorINSB_9not_fun_tI7is_trueIfEEENSC_INSD_IbEEEENSA_11use_defaultESO_EENS0_5tupleIJSF_S6_EEENSQ_IJSG_SG_EEES6_PlJS6_EEE10hipError_tPvRmT3_T4_T5_T6_T7_T9_mT8_P12ihipStream_tbDpT10_ENKUlT_T0_E_clISt17integral_constantIbLb1EES1D_EEDaS18_S19_EUlS18_E_NS1_11comp_targetILNS1_3genE2ELNS1_11target_archE906ELNS1_3gpuE6ELNS1_3repE0EEENS1_30default_config_static_selectorELNS0_4arch9wavefront6targetE0EEEvT1_
	.p2align	8
	.type	_ZN7rocprim17ROCPRIM_400000_NS6detail17trampoline_kernelINS0_14default_configENS1_25partition_config_selectorILNS1_17partition_subalgoE5EfNS0_10empty_typeEbEEZZNS1_14partition_implILS5_5ELb0ES3_mN6thrust23THRUST_200600_302600_NS6detail15normal_iteratorINSA_10device_ptrIfEEEEPS6_NSA_18transform_iteratorINSB_9not_fun_tI7is_trueIfEEENSC_INSD_IbEEEENSA_11use_defaultESO_EENS0_5tupleIJSF_S6_EEENSQ_IJSG_SG_EEES6_PlJS6_EEE10hipError_tPvRmT3_T4_T5_T6_T7_T9_mT8_P12ihipStream_tbDpT10_ENKUlT_T0_E_clISt17integral_constantIbLb1EES1D_EEDaS18_S19_EUlS18_E_NS1_11comp_targetILNS1_3genE2ELNS1_11target_archE906ELNS1_3gpuE6ELNS1_3repE0EEENS1_30default_config_static_selectorELNS0_4arch9wavefront6targetE0EEEvT1_,@function
_ZN7rocprim17ROCPRIM_400000_NS6detail17trampoline_kernelINS0_14default_configENS1_25partition_config_selectorILNS1_17partition_subalgoE5EfNS0_10empty_typeEbEEZZNS1_14partition_implILS5_5ELb0ES3_mN6thrust23THRUST_200600_302600_NS6detail15normal_iteratorINSA_10device_ptrIfEEEEPS6_NSA_18transform_iteratorINSB_9not_fun_tI7is_trueIfEEENSC_INSD_IbEEEENSA_11use_defaultESO_EENS0_5tupleIJSF_S6_EEENSQ_IJSG_SG_EEES6_PlJS6_EEE10hipError_tPvRmT3_T4_T5_T6_T7_T9_mT8_P12ihipStream_tbDpT10_ENKUlT_T0_E_clISt17integral_constantIbLb1EES1D_EEDaS18_S19_EUlS18_E_NS1_11comp_targetILNS1_3genE2ELNS1_11target_archE906ELNS1_3gpuE6ELNS1_3repE0EEENS1_30default_config_static_selectorELNS0_4arch9wavefront6targetE0EEEvT1_: ; @_ZN7rocprim17ROCPRIM_400000_NS6detail17trampoline_kernelINS0_14default_configENS1_25partition_config_selectorILNS1_17partition_subalgoE5EfNS0_10empty_typeEbEEZZNS1_14partition_implILS5_5ELb0ES3_mN6thrust23THRUST_200600_302600_NS6detail15normal_iteratorINSA_10device_ptrIfEEEEPS6_NSA_18transform_iteratorINSB_9not_fun_tI7is_trueIfEEENSC_INSD_IbEEEENSA_11use_defaultESO_EENS0_5tupleIJSF_S6_EEENSQ_IJSG_SG_EEES6_PlJS6_EEE10hipError_tPvRmT3_T4_T5_T6_T7_T9_mT8_P12ihipStream_tbDpT10_ENKUlT_T0_E_clISt17integral_constantIbLb1EES1D_EEDaS18_S19_EUlS18_E_NS1_11comp_targetILNS1_3genE2ELNS1_11target_archE906ELNS1_3gpuE6ELNS1_3repE0EEENS1_30default_config_static_selectorELNS0_4arch9wavefront6targetE0EEEvT1_
; %bb.0:
	.section	.rodata,"a",@progbits
	.p2align	6, 0x0
	.amdhsa_kernel _ZN7rocprim17ROCPRIM_400000_NS6detail17trampoline_kernelINS0_14default_configENS1_25partition_config_selectorILNS1_17partition_subalgoE5EfNS0_10empty_typeEbEEZZNS1_14partition_implILS5_5ELb0ES3_mN6thrust23THRUST_200600_302600_NS6detail15normal_iteratorINSA_10device_ptrIfEEEEPS6_NSA_18transform_iteratorINSB_9not_fun_tI7is_trueIfEEENSC_INSD_IbEEEENSA_11use_defaultESO_EENS0_5tupleIJSF_S6_EEENSQ_IJSG_SG_EEES6_PlJS6_EEE10hipError_tPvRmT3_T4_T5_T6_T7_T9_mT8_P12ihipStream_tbDpT10_ENKUlT_T0_E_clISt17integral_constantIbLb1EES1D_EEDaS18_S19_EUlS18_E_NS1_11comp_targetILNS1_3genE2ELNS1_11target_archE906ELNS1_3gpuE6ELNS1_3repE0EEENS1_30default_config_static_selectorELNS0_4arch9wavefront6targetE0EEEvT1_
		.amdhsa_group_segment_fixed_size 0
		.amdhsa_private_segment_fixed_size 0
		.amdhsa_kernarg_size 136
		.amdhsa_user_sgpr_count 2
		.amdhsa_user_sgpr_dispatch_ptr 0
		.amdhsa_user_sgpr_queue_ptr 0
		.amdhsa_user_sgpr_kernarg_segment_ptr 1
		.amdhsa_user_sgpr_dispatch_id 0
		.amdhsa_user_sgpr_private_segment_size 0
		.amdhsa_wavefront_size32 1
		.amdhsa_uses_dynamic_stack 0
		.amdhsa_enable_private_segment 0
		.amdhsa_system_sgpr_workgroup_id_x 1
		.amdhsa_system_sgpr_workgroup_id_y 0
		.amdhsa_system_sgpr_workgroup_id_z 0
		.amdhsa_system_sgpr_workgroup_info 0
		.amdhsa_system_vgpr_workitem_id 0
		.amdhsa_next_free_vgpr 1
		.amdhsa_next_free_sgpr 1
		.amdhsa_reserve_vcc 0
		.amdhsa_float_round_mode_32 0
		.amdhsa_float_round_mode_16_64 0
		.amdhsa_float_denorm_mode_32 3
		.amdhsa_float_denorm_mode_16_64 3
		.amdhsa_fp16_overflow 0
		.amdhsa_workgroup_processor_mode 1
		.amdhsa_memory_ordered 1
		.amdhsa_forward_progress 1
		.amdhsa_inst_pref_size 0
		.amdhsa_round_robin_scheduling 0
		.amdhsa_exception_fp_ieee_invalid_op 0
		.amdhsa_exception_fp_denorm_src 0
		.amdhsa_exception_fp_ieee_div_zero 0
		.amdhsa_exception_fp_ieee_overflow 0
		.amdhsa_exception_fp_ieee_underflow 0
		.amdhsa_exception_fp_ieee_inexact 0
		.amdhsa_exception_int_div_zero 0
	.end_amdhsa_kernel
	.section	.text._ZN7rocprim17ROCPRIM_400000_NS6detail17trampoline_kernelINS0_14default_configENS1_25partition_config_selectorILNS1_17partition_subalgoE5EfNS0_10empty_typeEbEEZZNS1_14partition_implILS5_5ELb0ES3_mN6thrust23THRUST_200600_302600_NS6detail15normal_iteratorINSA_10device_ptrIfEEEEPS6_NSA_18transform_iteratorINSB_9not_fun_tI7is_trueIfEEENSC_INSD_IbEEEENSA_11use_defaultESO_EENS0_5tupleIJSF_S6_EEENSQ_IJSG_SG_EEES6_PlJS6_EEE10hipError_tPvRmT3_T4_T5_T6_T7_T9_mT8_P12ihipStream_tbDpT10_ENKUlT_T0_E_clISt17integral_constantIbLb1EES1D_EEDaS18_S19_EUlS18_E_NS1_11comp_targetILNS1_3genE2ELNS1_11target_archE906ELNS1_3gpuE6ELNS1_3repE0EEENS1_30default_config_static_selectorELNS0_4arch9wavefront6targetE0EEEvT1_,"axG",@progbits,_ZN7rocprim17ROCPRIM_400000_NS6detail17trampoline_kernelINS0_14default_configENS1_25partition_config_selectorILNS1_17partition_subalgoE5EfNS0_10empty_typeEbEEZZNS1_14partition_implILS5_5ELb0ES3_mN6thrust23THRUST_200600_302600_NS6detail15normal_iteratorINSA_10device_ptrIfEEEEPS6_NSA_18transform_iteratorINSB_9not_fun_tI7is_trueIfEEENSC_INSD_IbEEEENSA_11use_defaultESO_EENS0_5tupleIJSF_S6_EEENSQ_IJSG_SG_EEES6_PlJS6_EEE10hipError_tPvRmT3_T4_T5_T6_T7_T9_mT8_P12ihipStream_tbDpT10_ENKUlT_T0_E_clISt17integral_constantIbLb1EES1D_EEDaS18_S19_EUlS18_E_NS1_11comp_targetILNS1_3genE2ELNS1_11target_archE906ELNS1_3gpuE6ELNS1_3repE0EEENS1_30default_config_static_selectorELNS0_4arch9wavefront6targetE0EEEvT1_,comdat
.Lfunc_end2377:
	.size	_ZN7rocprim17ROCPRIM_400000_NS6detail17trampoline_kernelINS0_14default_configENS1_25partition_config_selectorILNS1_17partition_subalgoE5EfNS0_10empty_typeEbEEZZNS1_14partition_implILS5_5ELb0ES3_mN6thrust23THRUST_200600_302600_NS6detail15normal_iteratorINSA_10device_ptrIfEEEEPS6_NSA_18transform_iteratorINSB_9not_fun_tI7is_trueIfEEENSC_INSD_IbEEEENSA_11use_defaultESO_EENS0_5tupleIJSF_S6_EEENSQ_IJSG_SG_EEES6_PlJS6_EEE10hipError_tPvRmT3_T4_T5_T6_T7_T9_mT8_P12ihipStream_tbDpT10_ENKUlT_T0_E_clISt17integral_constantIbLb1EES1D_EEDaS18_S19_EUlS18_E_NS1_11comp_targetILNS1_3genE2ELNS1_11target_archE906ELNS1_3gpuE6ELNS1_3repE0EEENS1_30default_config_static_selectorELNS0_4arch9wavefront6targetE0EEEvT1_, .Lfunc_end2377-_ZN7rocprim17ROCPRIM_400000_NS6detail17trampoline_kernelINS0_14default_configENS1_25partition_config_selectorILNS1_17partition_subalgoE5EfNS0_10empty_typeEbEEZZNS1_14partition_implILS5_5ELb0ES3_mN6thrust23THRUST_200600_302600_NS6detail15normal_iteratorINSA_10device_ptrIfEEEEPS6_NSA_18transform_iteratorINSB_9not_fun_tI7is_trueIfEEENSC_INSD_IbEEEENSA_11use_defaultESO_EENS0_5tupleIJSF_S6_EEENSQ_IJSG_SG_EEES6_PlJS6_EEE10hipError_tPvRmT3_T4_T5_T6_T7_T9_mT8_P12ihipStream_tbDpT10_ENKUlT_T0_E_clISt17integral_constantIbLb1EES1D_EEDaS18_S19_EUlS18_E_NS1_11comp_targetILNS1_3genE2ELNS1_11target_archE906ELNS1_3gpuE6ELNS1_3repE0EEENS1_30default_config_static_selectorELNS0_4arch9wavefront6targetE0EEEvT1_
                                        ; -- End function
	.set _ZN7rocprim17ROCPRIM_400000_NS6detail17trampoline_kernelINS0_14default_configENS1_25partition_config_selectorILNS1_17partition_subalgoE5EfNS0_10empty_typeEbEEZZNS1_14partition_implILS5_5ELb0ES3_mN6thrust23THRUST_200600_302600_NS6detail15normal_iteratorINSA_10device_ptrIfEEEEPS6_NSA_18transform_iteratorINSB_9not_fun_tI7is_trueIfEEENSC_INSD_IbEEEENSA_11use_defaultESO_EENS0_5tupleIJSF_S6_EEENSQ_IJSG_SG_EEES6_PlJS6_EEE10hipError_tPvRmT3_T4_T5_T6_T7_T9_mT8_P12ihipStream_tbDpT10_ENKUlT_T0_E_clISt17integral_constantIbLb1EES1D_EEDaS18_S19_EUlS18_E_NS1_11comp_targetILNS1_3genE2ELNS1_11target_archE906ELNS1_3gpuE6ELNS1_3repE0EEENS1_30default_config_static_selectorELNS0_4arch9wavefront6targetE0EEEvT1_.num_vgpr, 0
	.set _ZN7rocprim17ROCPRIM_400000_NS6detail17trampoline_kernelINS0_14default_configENS1_25partition_config_selectorILNS1_17partition_subalgoE5EfNS0_10empty_typeEbEEZZNS1_14partition_implILS5_5ELb0ES3_mN6thrust23THRUST_200600_302600_NS6detail15normal_iteratorINSA_10device_ptrIfEEEEPS6_NSA_18transform_iteratorINSB_9not_fun_tI7is_trueIfEEENSC_INSD_IbEEEENSA_11use_defaultESO_EENS0_5tupleIJSF_S6_EEENSQ_IJSG_SG_EEES6_PlJS6_EEE10hipError_tPvRmT3_T4_T5_T6_T7_T9_mT8_P12ihipStream_tbDpT10_ENKUlT_T0_E_clISt17integral_constantIbLb1EES1D_EEDaS18_S19_EUlS18_E_NS1_11comp_targetILNS1_3genE2ELNS1_11target_archE906ELNS1_3gpuE6ELNS1_3repE0EEENS1_30default_config_static_selectorELNS0_4arch9wavefront6targetE0EEEvT1_.num_agpr, 0
	.set _ZN7rocprim17ROCPRIM_400000_NS6detail17trampoline_kernelINS0_14default_configENS1_25partition_config_selectorILNS1_17partition_subalgoE5EfNS0_10empty_typeEbEEZZNS1_14partition_implILS5_5ELb0ES3_mN6thrust23THRUST_200600_302600_NS6detail15normal_iteratorINSA_10device_ptrIfEEEEPS6_NSA_18transform_iteratorINSB_9not_fun_tI7is_trueIfEEENSC_INSD_IbEEEENSA_11use_defaultESO_EENS0_5tupleIJSF_S6_EEENSQ_IJSG_SG_EEES6_PlJS6_EEE10hipError_tPvRmT3_T4_T5_T6_T7_T9_mT8_P12ihipStream_tbDpT10_ENKUlT_T0_E_clISt17integral_constantIbLb1EES1D_EEDaS18_S19_EUlS18_E_NS1_11comp_targetILNS1_3genE2ELNS1_11target_archE906ELNS1_3gpuE6ELNS1_3repE0EEENS1_30default_config_static_selectorELNS0_4arch9wavefront6targetE0EEEvT1_.numbered_sgpr, 0
	.set _ZN7rocprim17ROCPRIM_400000_NS6detail17trampoline_kernelINS0_14default_configENS1_25partition_config_selectorILNS1_17partition_subalgoE5EfNS0_10empty_typeEbEEZZNS1_14partition_implILS5_5ELb0ES3_mN6thrust23THRUST_200600_302600_NS6detail15normal_iteratorINSA_10device_ptrIfEEEEPS6_NSA_18transform_iteratorINSB_9not_fun_tI7is_trueIfEEENSC_INSD_IbEEEENSA_11use_defaultESO_EENS0_5tupleIJSF_S6_EEENSQ_IJSG_SG_EEES6_PlJS6_EEE10hipError_tPvRmT3_T4_T5_T6_T7_T9_mT8_P12ihipStream_tbDpT10_ENKUlT_T0_E_clISt17integral_constantIbLb1EES1D_EEDaS18_S19_EUlS18_E_NS1_11comp_targetILNS1_3genE2ELNS1_11target_archE906ELNS1_3gpuE6ELNS1_3repE0EEENS1_30default_config_static_selectorELNS0_4arch9wavefront6targetE0EEEvT1_.num_named_barrier, 0
	.set _ZN7rocprim17ROCPRIM_400000_NS6detail17trampoline_kernelINS0_14default_configENS1_25partition_config_selectorILNS1_17partition_subalgoE5EfNS0_10empty_typeEbEEZZNS1_14partition_implILS5_5ELb0ES3_mN6thrust23THRUST_200600_302600_NS6detail15normal_iteratorINSA_10device_ptrIfEEEEPS6_NSA_18transform_iteratorINSB_9not_fun_tI7is_trueIfEEENSC_INSD_IbEEEENSA_11use_defaultESO_EENS0_5tupleIJSF_S6_EEENSQ_IJSG_SG_EEES6_PlJS6_EEE10hipError_tPvRmT3_T4_T5_T6_T7_T9_mT8_P12ihipStream_tbDpT10_ENKUlT_T0_E_clISt17integral_constantIbLb1EES1D_EEDaS18_S19_EUlS18_E_NS1_11comp_targetILNS1_3genE2ELNS1_11target_archE906ELNS1_3gpuE6ELNS1_3repE0EEENS1_30default_config_static_selectorELNS0_4arch9wavefront6targetE0EEEvT1_.private_seg_size, 0
	.set _ZN7rocprim17ROCPRIM_400000_NS6detail17trampoline_kernelINS0_14default_configENS1_25partition_config_selectorILNS1_17partition_subalgoE5EfNS0_10empty_typeEbEEZZNS1_14partition_implILS5_5ELb0ES3_mN6thrust23THRUST_200600_302600_NS6detail15normal_iteratorINSA_10device_ptrIfEEEEPS6_NSA_18transform_iteratorINSB_9not_fun_tI7is_trueIfEEENSC_INSD_IbEEEENSA_11use_defaultESO_EENS0_5tupleIJSF_S6_EEENSQ_IJSG_SG_EEES6_PlJS6_EEE10hipError_tPvRmT3_T4_T5_T6_T7_T9_mT8_P12ihipStream_tbDpT10_ENKUlT_T0_E_clISt17integral_constantIbLb1EES1D_EEDaS18_S19_EUlS18_E_NS1_11comp_targetILNS1_3genE2ELNS1_11target_archE906ELNS1_3gpuE6ELNS1_3repE0EEENS1_30default_config_static_selectorELNS0_4arch9wavefront6targetE0EEEvT1_.uses_vcc, 0
	.set _ZN7rocprim17ROCPRIM_400000_NS6detail17trampoline_kernelINS0_14default_configENS1_25partition_config_selectorILNS1_17partition_subalgoE5EfNS0_10empty_typeEbEEZZNS1_14partition_implILS5_5ELb0ES3_mN6thrust23THRUST_200600_302600_NS6detail15normal_iteratorINSA_10device_ptrIfEEEEPS6_NSA_18transform_iteratorINSB_9not_fun_tI7is_trueIfEEENSC_INSD_IbEEEENSA_11use_defaultESO_EENS0_5tupleIJSF_S6_EEENSQ_IJSG_SG_EEES6_PlJS6_EEE10hipError_tPvRmT3_T4_T5_T6_T7_T9_mT8_P12ihipStream_tbDpT10_ENKUlT_T0_E_clISt17integral_constantIbLb1EES1D_EEDaS18_S19_EUlS18_E_NS1_11comp_targetILNS1_3genE2ELNS1_11target_archE906ELNS1_3gpuE6ELNS1_3repE0EEENS1_30default_config_static_selectorELNS0_4arch9wavefront6targetE0EEEvT1_.uses_flat_scratch, 0
	.set _ZN7rocprim17ROCPRIM_400000_NS6detail17trampoline_kernelINS0_14default_configENS1_25partition_config_selectorILNS1_17partition_subalgoE5EfNS0_10empty_typeEbEEZZNS1_14partition_implILS5_5ELb0ES3_mN6thrust23THRUST_200600_302600_NS6detail15normal_iteratorINSA_10device_ptrIfEEEEPS6_NSA_18transform_iteratorINSB_9not_fun_tI7is_trueIfEEENSC_INSD_IbEEEENSA_11use_defaultESO_EENS0_5tupleIJSF_S6_EEENSQ_IJSG_SG_EEES6_PlJS6_EEE10hipError_tPvRmT3_T4_T5_T6_T7_T9_mT8_P12ihipStream_tbDpT10_ENKUlT_T0_E_clISt17integral_constantIbLb1EES1D_EEDaS18_S19_EUlS18_E_NS1_11comp_targetILNS1_3genE2ELNS1_11target_archE906ELNS1_3gpuE6ELNS1_3repE0EEENS1_30default_config_static_selectorELNS0_4arch9wavefront6targetE0EEEvT1_.has_dyn_sized_stack, 0
	.set _ZN7rocprim17ROCPRIM_400000_NS6detail17trampoline_kernelINS0_14default_configENS1_25partition_config_selectorILNS1_17partition_subalgoE5EfNS0_10empty_typeEbEEZZNS1_14partition_implILS5_5ELb0ES3_mN6thrust23THRUST_200600_302600_NS6detail15normal_iteratorINSA_10device_ptrIfEEEEPS6_NSA_18transform_iteratorINSB_9not_fun_tI7is_trueIfEEENSC_INSD_IbEEEENSA_11use_defaultESO_EENS0_5tupleIJSF_S6_EEENSQ_IJSG_SG_EEES6_PlJS6_EEE10hipError_tPvRmT3_T4_T5_T6_T7_T9_mT8_P12ihipStream_tbDpT10_ENKUlT_T0_E_clISt17integral_constantIbLb1EES1D_EEDaS18_S19_EUlS18_E_NS1_11comp_targetILNS1_3genE2ELNS1_11target_archE906ELNS1_3gpuE6ELNS1_3repE0EEENS1_30default_config_static_selectorELNS0_4arch9wavefront6targetE0EEEvT1_.has_recursion, 0
	.set _ZN7rocprim17ROCPRIM_400000_NS6detail17trampoline_kernelINS0_14default_configENS1_25partition_config_selectorILNS1_17partition_subalgoE5EfNS0_10empty_typeEbEEZZNS1_14partition_implILS5_5ELb0ES3_mN6thrust23THRUST_200600_302600_NS6detail15normal_iteratorINSA_10device_ptrIfEEEEPS6_NSA_18transform_iteratorINSB_9not_fun_tI7is_trueIfEEENSC_INSD_IbEEEENSA_11use_defaultESO_EENS0_5tupleIJSF_S6_EEENSQ_IJSG_SG_EEES6_PlJS6_EEE10hipError_tPvRmT3_T4_T5_T6_T7_T9_mT8_P12ihipStream_tbDpT10_ENKUlT_T0_E_clISt17integral_constantIbLb1EES1D_EEDaS18_S19_EUlS18_E_NS1_11comp_targetILNS1_3genE2ELNS1_11target_archE906ELNS1_3gpuE6ELNS1_3repE0EEENS1_30default_config_static_selectorELNS0_4arch9wavefront6targetE0EEEvT1_.has_indirect_call, 0
	.section	.AMDGPU.csdata,"",@progbits
; Kernel info:
; codeLenInByte = 0
; TotalNumSgprs: 0
; NumVgprs: 0
; ScratchSize: 0
; MemoryBound: 0
; FloatMode: 240
; IeeeMode: 1
; LDSByteSize: 0 bytes/workgroup (compile time only)
; SGPRBlocks: 0
; VGPRBlocks: 0
; NumSGPRsForWavesPerEU: 1
; NumVGPRsForWavesPerEU: 1
; Occupancy: 16
; WaveLimiterHint : 0
; COMPUTE_PGM_RSRC2:SCRATCH_EN: 0
; COMPUTE_PGM_RSRC2:USER_SGPR: 2
; COMPUTE_PGM_RSRC2:TRAP_HANDLER: 0
; COMPUTE_PGM_RSRC2:TGID_X_EN: 1
; COMPUTE_PGM_RSRC2:TGID_Y_EN: 0
; COMPUTE_PGM_RSRC2:TGID_Z_EN: 0
; COMPUTE_PGM_RSRC2:TIDIG_COMP_CNT: 0
	.section	.text._ZN7rocprim17ROCPRIM_400000_NS6detail17trampoline_kernelINS0_14default_configENS1_25partition_config_selectorILNS1_17partition_subalgoE5EfNS0_10empty_typeEbEEZZNS1_14partition_implILS5_5ELb0ES3_mN6thrust23THRUST_200600_302600_NS6detail15normal_iteratorINSA_10device_ptrIfEEEEPS6_NSA_18transform_iteratorINSB_9not_fun_tI7is_trueIfEEENSC_INSD_IbEEEENSA_11use_defaultESO_EENS0_5tupleIJSF_S6_EEENSQ_IJSG_SG_EEES6_PlJS6_EEE10hipError_tPvRmT3_T4_T5_T6_T7_T9_mT8_P12ihipStream_tbDpT10_ENKUlT_T0_E_clISt17integral_constantIbLb1EES1D_EEDaS18_S19_EUlS18_E_NS1_11comp_targetILNS1_3genE10ELNS1_11target_archE1200ELNS1_3gpuE4ELNS1_3repE0EEENS1_30default_config_static_selectorELNS0_4arch9wavefront6targetE0EEEvT1_,"axG",@progbits,_ZN7rocprim17ROCPRIM_400000_NS6detail17trampoline_kernelINS0_14default_configENS1_25partition_config_selectorILNS1_17partition_subalgoE5EfNS0_10empty_typeEbEEZZNS1_14partition_implILS5_5ELb0ES3_mN6thrust23THRUST_200600_302600_NS6detail15normal_iteratorINSA_10device_ptrIfEEEEPS6_NSA_18transform_iteratorINSB_9not_fun_tI7is_trueIfEEENSC_INSD_IbEEEENSA_11use_defaultESO_EENS0_5tupleIJSF_S6_EEENSQ_IJSG_SG_EEES6_PlJS6_EEE10hipError_tPvRmT3_T4_T5_T6_T7_T9_mT8_P12ihipStream_tbDpT10_ENKUlT_T0_E_clISt17integral_constantIbLb1EES1D_EEDaS18_S19_EUlS18_E_NS1_11comp_targetILNS1_3genE10ELNS1_11target_archE1200ELNS1_3gpuE4ELNS1_3repE0EEENS1_30default_config_static_selectorELNS0_4arch9wavefront6targetE0EEEvT1_,comdat
	.protected	_ZN7rocprim17ROCPRIM_400000_NS6detail17trampoline_kernelINS0_14default_configENS1_25partition_config_selectorILNS1_17partition_subalgoE5EfNS0_10empty_typeEbEEZZNS1_14partition_implILS5_5ELb0ES3_mN6thrust23THRUST_200600_302600_NS6detail15normal_iteratorINSA_10device_ptrIfEEEEPS6_NSA_18transform_iteratorINSB_9not_fun_tI7is_trueIfEEENSC_INSD_IbEEEENSA_11use_defaultESO_EENS0_5tupleIJSF_S6_EEENSQ_IJSG_SG_EEES6_PlJS6_EEE10hipError_tPvRmT3_T4_T5_T6_T7_T9_mT8_P12ihipStream_tbDpT10_ENKUlT_T0_E_clISt17integral_constantIbLb1EES1D_EEDaS18_S19_EUlS18_E_NS1_11comp_targetILNS1_3genE10ELNS1_11target_archE1200ELNS1_3gpuE4ELNS1_3repE0EEENS1_30default_config_static_selectorELNS0_4arch9wavefront6targetE0EEEvT1_ ; -- Begin function _ZN7rocprim17ROCPRIM_400000_NS6detail17trampoline_kernelINS0_14default_configENS1_25partition_config_selectorILNS1_17partition_subalgoE5EfNS0_10empty_typeEbEEZZNS1_14partition_implILS5_5ELb0ES3_mN6thrust23THRUST_200600_302600_NS6detail15normal_iteratorINSA_10device_ptrIfEEEEPS6_NSA_18transform_iteratorINSB_9not_fun_tI7is_trueIfEEENSC_INSD_IbEEEENSA_11use_defaultESO_EENS0_5tupleIJSF_S6_EEENSQ_IJSG_SG_EEES6_PlJS6_EEE10hipError_tPvRmT3_T4_T5_T6_T7_T9_mT8_P12ihipStream_tbDpT10_ENKUlT_T0_E_clISt17integral_constantIbLb1EES1D_EEDaS18_S19_EUlS18_E_NS1_11comp_targetILNS1_3genE10ELNS1_11target_archE1200ELNS1_3gpuE4ELNS1_3repE0EEENS1_30default_config_static_selectorELNS0_4arch9wavefront6targetE0EEEvT1_
	.globl	_ZN7rocprim17ROCPRIM_400000_NS6detail17trampoline_kernelINS0_14default_configENS1_25partition_config_selectorILNS1_17partition_subalgoE5EfNS0_10empty_typeEbEEZZNS1_14partition_implILS5_5ELb0ES3_mN6thrust23THRUST_200600_302600_NS6detail15normal_iteratorINSA_10device_ptrIfEEEEPS6_NSA_18transform_iteratorINSB_9not_fun_tI7is_trueIfEEENSC_INSD_IbEEEENSA_11use_defaultESO_EENS0_5tupleIJSF_S6_EEENSQ_IJSG_SG_EEES6_PlJS6_EEE10hipError_tPvRmT3_T4_T5_T6_T7_T9_mT8_P12ihipStream_tbDpT10_ENKUlT_T0_E_clISt17integral_constantIbLb1EES1D_EEDaS18_S19_EUlS18_E_NS1_11comp_targetILNS1_3genE10ELNS1_11target_archE1200ELNS1_3gpuE4ELNS1_3repE0EEENS1_30default_config_static_selectorELNS0_4arch9wavefront6targetE0EEEvT1_
	.p2align	8
	.type	_ZN7rocprim17ROCPRIM_400000_NS6detail17trampoline_kernelINS0_14default_configENS1_25partition_config_selectorILNS1_17partition_subalgoE5EfNS0_10empty_typeEbEEZZNS1_14partition_implILS5_5ELb0ES3_mN6thrust23THRUST_200600_302600_NS6detail15normal_iteratorINSA_10device_ptrIfEEEEPS6_NSA_18transform_iteratorINSB_9not_fun_tI7is_trueIfEEENSC_INSD_IbEEEENSA_11use_defaultESO_EENS0_5tupleIJSF_S6_EEENSQ_IJSG_SG_EEES6_PlJS6_EEE10hipError_tPvRmT3_T4_T5_T6_T7_T9_mT8_P12ihipStream_tbDpT10_ENKUlT_T0_E_clISt17integral_constantIbLb1EES1D_EEDaS18_S19_EUlS18_E_NS1_11comp_targetILNS1_3genE10ELNS1_11target_archE1200ELNS1_3gpuE4ELNS1_3repE0EEENS1_30default_config_static_selectorELNS0_4arch9wavefront6targetE0EEEvT1_,@function
_ZN7rocprim17ROCPRIM_400000_NS6detail17trampoline_kernelINS0_14default_configENS1_25partition_config_selectorILNS1_17partition_subalgoE5EfNS0_10empty_typeEbEEZZNS1_14partition_implILS5_5ELb0ES3_mN6thrust23THRUST_200600_302600_NS6detail15normal_iteratorINSA_10device_ptrIfEEEEPS6_NSA_18transform_iteratorINSB_9not_fun_tI7is_trueIfEEENSC_INSD_IbEEEENSA_11use_defaultESO_EENS0_5tupleIJSF_S6_EEENSQ_IJSG_SG_EEES6_PlJS6_EEE10hipError_tPvRmT3_T4_T5_T6_T7_T9_mT8_P12ihipStream_tbDpT10_ENKUlT_T0_E_clISt17integral_constantIbLb1EES1D_EEDaS18_S19_EUlS18_E_NS1_11comp_targetILNS1_3genE10ELNS1_11target_archE1200ELNS1_3gpuE4ELNS1_3repE0EEENS1_30default_config_static_selectorELNS0_4arch9wavefront6targetE0EEEvT1_: ; @_ZN7rocprim17ROCPRIM_400000_NS6detail17trampoline_kernelINS0_14default_configENS1_25partition_config_selectorILNS1_17partition_subalgoE5EfNS0_10empty_typeEbEEZZNS1_14partition_implILS5_5ELb0ES3_mN6thrust23THRUST_200600_302600_NS6detail15normal_iteratorINSA_10device_ptrIfEEEEPS6_NSA_18transform_iteratorINSB_9not_fun_tI7is_trueIfEEENSC_INSD_IbEEEENSA_11use_defaultESO_EENS0_5tupleIJSF_S6_EEENSQ_IJSG_SG_EEES6_PlJS6_EEE10hipError_tPvRmT3_T4_T5_T6_T7_T9_mT8_P12ihipStream_tbDpT10_ENKUlT_T0_E_clISt17integral_constantIbLb1EES1D_EEDaS18_S19_EUlS18_E_NS1_11comp_targetILNS1_3genE10ELNS1_11target_archE1200ELNS1_3gpuE4ELNS1_3repE0EEENS1_30default_config_static_selectorELNS0_4arch9wavefront6targetE0EEEvT1_
; %bb.0:
	s_endpgm
	.section	.rodata,"a",@progbits
	.p2align	6, 0x0
	.amdhsa_kernel _ZN7rocprim17ROCPRIM_400000_NS6detail17trampoline_kernelINS0_14default_configENS1_25partition_config_selectorILNS1_17partition_subalgoE5EfNS0_10empty_typeEbEEZZNS1_14partition_implILS5_5ELb0ES3_mN6thrust23THRUST_200600_302600_NS6detail15normal_iteratorINSA_10device_ptrIfEEEEPS6_NSA_18transform_iteratorINSB_9not_fun_tI7is_trueIfEEENSC_INSD_IbEEEENSA_11use_defaultESO_EENS0_5tupleIJSF_S6_EEENSQ_IJSG_SG_EEES6_PlJS6_EEE10hipError_tPvRmT3_T4_T5_T6_T7_T9_mT8_P12ihipStream_tbDpT10_ENKUlT_T0_E_clISt17integral_constantIbLb1EES1D_EEDaS18_S19_EUlS18_E_NS1_11comp_targetILNS1_3genE10ELNS1_11target_archE1200ELNS1_3gpuE4ELNS1_3repE0EEENS1_30default_config_static_selectorELNS0_4arch9wavefront6targetE0EEEvT1_
		.amdhsa_group_segment_fixed_size 0
		.amdhsa_private_segment_fixed_size 0
		.amdhsa_kernarg_size 136
		.amdhsa_user_sgpr_count 2
		.amdhsa_user_sgpr_dispatch_ptr 0
		.amdhsa_user_sgpr_queue_ptr 0
		.amdhsa_user_sgpr_kernarg_segment_ptr 1
		.amdhsa_user_sgpr_dispatch_id 0
		.amdhsa_user_sgpr_private_segment_size 0
		.amdhsa_wavefront_size32 1
		.amdhsa_uses_dynamic_stack 0
		.amdhsa_enable_private_segment 0
		.amdhsa_system_sgpr_workgroup_id_x 1
		.amdhsa_system_sgpr_workgroup_id_y 0
		.amdhsa_system_sgpr_workgroup_id_z 0
		.amdhsa_system_sgpr_workgroup_info 0
		.amdhsa_system_vgpr_workitem_id 0
		.amdhsa_next_free_vgpr 1
		.amdhsa_next_free_sgpr 1
		.amdhsa_reserve_vcc 0
		.amdhsa_float_round_mode_32 0
		.amdhsa_float_round_mode_16_64 0
		.amdhsa_float_denorm_mode_32 3
		.amdhsa_float_denorm_mode_16_64 3
		.amdhsa_fp16_overflow 0
		.amdhsa_workgroup_processor_mode 1
		.amdhsa_memory_ordered 1
		.amdhsa_forward_progress 1
		.amdhsa_inst_pref_size 1
		.amdhsa_round_robin_scheduling 0
		.amdhsa_exception_fp_ieee_invalid_op 0
		.amdhsa_exception_fp_denorm_src 0
		.amdhsa_exception_fp_ieee_div_zero 0
		.amdhsa_exception_fp_ieee_overflow 0
		.amdhsa_exception_fp_ieee_underflow 0
		.amdhsa_exception_fp_ieee_inexact 0
		.amdhsa_exception_int_div_zero 0
	.end_amdhsa_kernel
	.section	.text._ZN7rocprim17ROCPRIM_400000_NS6detail17trampoline_kernelINS0_14default_configENS1_25partition_config_selectorILNS1_17partition_subalgoE5EfNS0_10empty_typeEbEEZZNS1_14partition_implILS5_5ELb0ES3_mN6thrust23THRUST_200600_302600_NS6detail15normal_iteratorINSA_10device_ptrIfEEEEPS6_NSA_18transform_iteratorINSB_9not_fun_tI7is_trueIfEEENSC_INSD_IbEEEENSA_11use_defaultESO_EENS0_5tupleIJSF_S6_EEENSQ_IJSG_SG_EEES6_PlJS6_EEE10hipError_tPvRmT3_T4_T5_T6_T7_T9_mT8_P12ihipStream_tbDpT10_ENKUlT_T0_E_clISt17integral_constantIbLb1EES1D_EEDaS18_S19_EUlS18_E_NS1_11comp_targetILNS1_3genE10ELNS1_11target_archE1200ELNS1_3gpuE4ELNS1_3repE0EEENS1_30default_config_static_selectorELNS0_4arch9wavefront6targetE0EEEvT1_,"axG",@progbits,_ZN7rocprim17ROCPRIM_400000_NS6detail17trampoline_kernelINS0_14default_configENS1_25partition_config_selectorILNS1_17partition_subalgoE5EfNS0_10empty_typeEbEEZZNS1_14partition_implILS5_5ELb0ES3_mN6thrust23THRUST_200600_302600_NS6detail15normal_iteratorINSA_10device_ptrIfEEEEPS6_NSA_18transform_iteratorINSB_9not_fun_tI7is_trueIfEEENSC_INSD_IbEEEENSA_11use_defaultESO_EENS0_5tupleIJSF_S6_EEENSQ_IJSG_SG_EEES6_PlJS6_EEE10hipError_tPvRmT3_T4_T5_T6_T7_T9_mT8_P12ihipStream_tbDpT10_ENKUlT_T0_E_clISt17integral_constantIbLb1EES1D_EEDaS18_S19_EUlS18_E_NS1_11comp_targetILNS1_3genE10ELNS1_11target_archE1200ELNS1_3gpuE4ELNS1_3repE0EEENS1_30default_config_static_selectorELNS0_4arch9wavefront6targetE0EEEvT1_,comdat
.Lfunc_end2378:
	.size	_ZN7rocprim17ROCPRIM_400000_NS6detail17trampoline_kernelINS0_14default_configENS1_25partition_config_selectorILNS1_17partition_subalgoE5EfNS0_10empty_typeEbEEZZNS1_14partition_implILS5_5ELb0ES3_mN6thrust23THRUST_200600_302600_NS6detail15normal_iteratorINSA_10device_ptrIfEEEEPS6_NSA_18transform_iteratorINSB_9not_fun_tI7is_trueIfEEENSC_INSD_IbEEEENSA_11use_defaultESO_EENS0_5tupleIJSF_S6_EEENSQ_IJSG_SG_EEES6_PlJS6_EEE10hipError_tPvRmT3_T4_T5_T6_T7_T9_mT8_P12ihipStream_tbDpT10_ENKUlT_T0_E_clISt17integral_constantIbLb1EES1D_EEDaS18_S19_EUlS18_E_NS1_11comp_targetILNS1_3genE10ELNS1_11target_archE1200ELNS1_3gpuE4ELNS1_3repE0EEENS1_30default_config_static_selectorELNS0_4arch9wavefront6targetE0EEEvT1_, .Lfunc_end2378-_ZN7rocprim17ROCPRIM_400000_NS6detail17trampoline_kernelINS0_14default_configENS1_25partition_config_selectorILNS1_17partition_subalgoE5EfNS0_10empty_typeEbEEZZNS1_14partition_implILS5_5ELb0ES3_mN6thrust23THRUST_200600_302600_NS6detail15normal_iteratorINSA_10device_ptrIfEEEEPS6_NSA_18transform_iteratorINSB_9not_fun_tI7is_trueIfEEENSC_INSD_IbEEEENSA_11use_defaultESO_EENS0_5tupleIJSF_S6_EEENSQ_IJSG_SG_EEES6_PlJS6_EEE10hipError_tPvRmT3_T4_T5_T6_T7_T9_mT8_P12ihipStream_tbDpT10_ENKUlT_T0_E_clISt17integral_constantIbLb1EES1D_EEDaS18_S19_EUlS18_E_NS1_11comp_targetILNS1_3genE10ELNS1_11target_archE1200ELNS1_3gpuE4ELNS1_3repE0EEENS1_30default_config_static_selectorELNS0_4arch9wavefront6targetE0EEEvT1_
                                        ; -- End function
	.set _ZN7rocprim17ROCPRIM_400000_NS6detail17trampoline_kernelINS0_14default_configENS1_25partition_config_selectorILNS1_17partition_subalgoE5EfNS0_10empty_typeEbEEZZNS1_14partition_implILS5_5ELb0ES3_mN6thrust23THRUST_200600_302600_NS6detail15normal_iteratorINSA_10device_ptrIfEEEEPS6_NSA_18transform_iteratorINSB_9not_fun_tI7is_trueIfEEENSC_INSD_IbEEEENSA_11use_defaultESO_EENS0_5tupleIJSF_S6_EEENSQ_IJSG_SG_EEES6_PlJS6_EEE10hipError_tPvRmT3_T4_T5_T6_T7_T9_mT8_P12ihipStream_tbDpT10_ENKUlT_T0_E_clISt17integral_constantIbLb1EES1D_EEDaS18_S19_EUlS18_E_NS1_11comp_targetILNS1_3genE10ELNS1_11target_archE1200ELNS1_3gpuE4ELNS1_3repE0EEENS1_30default_config_static_selectorELNS0_4arch9wavefront6targetE0EEEvT1_.num_vgpr, 0
	.set _ZN7rocprim17ROCPRIM_400000_NS6detail17trampoline_kernelINS0_14default_configENS1_25partition_config_selectorILNS1_17partition_subalgoE5EfNS0_10empty_typeEbEEZZNS1_14partition_implILS5_5ELb0ES3_mN6thrust23THRUST_200600_302600_NS6detail15normal_iteratorINSA_10device_ptrIfEEEEPS6_NSA_18transform_iteratorINSB_9not_fun_tI7is_trueIfEEENSC_INSD_IbEEEENSA_11use_defaultESO_EENS0_5tupleIJSF_S6_EEENSQ_IJSG_SG_EEES6_PlJS6_EEE10hipError_tPvRmT3_T4_T5_T6_T7_T9_mT8_P12ihipStream_tbDpT10_ENKUlT_T0_E_clISt17integral_constantIbLb1EES1D_EEDaS18_S19_EUlS18_E_NS1_11comp_targetILNS1_3genE10ELNS1_11target_archE1200ELNS1_3gpuE4ELNS1_3repE0EEENS1_30default_config_static_selectorELNS0_4arch9wavefront6targetE0EEEvT1_.num_agpr, 0
	.set _ZN7rocprim17ROCPRIM_400000_NS6detail17trampoline_kernelINS0_14default_configENS1_25partition_config_selectorILNS1_17partition_subalgoE5EfNS0_10empty_typeEbEEZZNS1_14partition_implILS5_5ELb0ES3_mN6thrust23THRUST_200600_302600_NS6detail15normal_iteratorINSA_10device_ptrIfEEEEPS6_NSA_18transform_iteratorINSB_9not_fun_tI7is_trueIfEEENSC_INSD_IbEEEENSA_11use_defaultESO_EENS0_5tupleIJSF_S6_EEENSQ_IJSG_SG_EEES6_PlJS6_EEE10hipError_tPvRmT3_T4_T5_T6_T7_T9_mT8_P12ihipStream_tbDpT10_ENKUlT_T0_E_clISt17integral_constantIbLb1EES1D_EEDaS18_S19_EUlS18_E_NS1_11comp_targetILNS1_3genE10ELNS1_11target_archE1200ELNS1_3gpuE4ELNS1_3repE0EEENS1_30default_config_static_selectorELNS0_4arch9wavefront6targetE0EEEvT1_.numbered_sgpr, 0
	.set _ZN7rocprim17ROCPRIM_400000_NS6detail17trampoline_kernelINS0_14default_configENS1_25partition_config_selectorILNS1_17partition_subalgoE5EfNS0_10empty_typeEbEEZZNS1_14partition_implILS5_5ELb0ES3_mN6thrust23THRUST_200600_302600_NS6detail15normal_iteratorINSA_10device_ptrIfEEEEPS6_NSA_18transform_iteratorINSB_9not_fun_tI7is_trueIfEEENSC_INSD_IbEEEENSA_11use_defaultESO_EENS0_5tupleIJSF_S6_EEENSQ_IJSG_SG_EEES6_PlJS6_EEE10hipError_tPvRmT3_T4_T5_T6_T7_T9_mT8_P12ihipStream_tbDpT10_ENKUlT_T0_E_clISt17integral_constantIbLb1EES1D_EEDaS18_S19_EUlS18_E_NS1_11comp_targetILNS1_3genE10ELNS1_11target_archE1200ELNS1_3gpuE4ELNS1_3repE0EEENS1_30default_config_static_selectorELNS0_4arch9wavefront6targetE0EEEvT1_.num_named_barrier, 0
	.set _ZN7rocprim17ROCPRIM_400000_NS6detail17trampoline_kernelINS0_14default_configENS1_25partition_config_selectorILNS1_17partition_subalgoE5EfNS0_10empty_typeEbEEZZNS1_14partition_implILS5_5ELb0ES3_mN6thrust23THRUST_200600_302600_NS6detail15normal_iteratorINSA_10device_ptrIfEEEEPS6_NSA_18transform_iteratorINSB_9not_fun_tI7is_trueIfEEENSC_INSD_IbEEEENSA_11use_defaultESO_EENS0_5tupleIJSF_S6_EEENSQ_IJSG_SG_EEES6_PlJS6_EEE10hipError_tPvRmT3_T4_T5_T6_T7_T9_mT8_P12ihipStream_tbDpT10_ENKUlT_T0_E_clISt17integral_constantIbLb1EES1D_EEDaS18_S19_EUlS18_E_NS1_11comp_targetILNS1_3genE10ELNS1_11target_archE1200ELNS1_3gpuE4ELNS1_3repE0EEENS1_30default_config_static_selectorELNS0_4arch9wavefront6targetE0EEEvT1_.private_seg_size, 0
	.set _ZN7rocprim17ROCPRIM_400000_NS6detail17trampoline_kernelINS0_14default_configENS1_25partition_config_selectorILNS1_17partition_subalgoE5EfNS0_10empty_typeEbEEZZNS1_14partition_implILS5_5ELb0ES3_mN6thrust23THRUST_200600_302600_NS6detail15normal_iteratorINSA_10device_ptrIfEEEEPS6_NSA_18transform_iteratorINSB_9not_fun_tI7is_trueIfEEENSC_INSD_IbEEEENSA_11use_defaultESO_EENS0_5tupleIJSF_S6_EEENSQ_IJSG_SG_EEES6_PlJS6_EEE10hipError_tPvRmT3_T4_T5_T6_T7_T9_mT8_P12ihipStream_tbDpT10_ENKUlT_T0_E_clISt17integral_constantIbLb1EES1D_EEDaS18_S19_EUlS18_E_NS1_11comp_targetILNS1_3genE10ELNS1_11target_archE1200ELNS1_3gpuE4ELNS1_3repE0EEENS1_30default_config_static_selectorELNS0_4arch9wavefront6targetE0EEEvT1_.uses_vcc, 0
	.set _ZN7rocprim17ROCPRIM_400000_NS6detail17trampoline_kernelINS0_14default_configENS1_25partition_config_selectorILNS1_17partition_subalgoE5EfNS0_10empty_typeEbEEZZNS1_14partition_implILS5_5ELb0ES3_mN6thrust23THRUST_200600_302600_NS6detail15normal_iteratorINSA_10device_ptrIfEEEEPS6_NSA_18transform_iteratorINSB_9not_fun_tI7is_trueIfEEENSC_INSD_IbEEEENSA_11use_defaultESO_EENS0_5tupleIJSF_S6_EEENSQ_IJSG_SG_EEES6_PlJS6_EEE10hipError_tPvRmT3_T4_T5_T6_T7_T9_mT8_P12ihipStream_tbDpT10_ENKUlT_T0_E_clISt17integral_constantIbLb1EES1D_EEDaS18_S19_EUlS18_E_NS1_11comp_targetILNS1_3genE10ELNS1_11target_archE1200ELNS1_3gpuE4ELNS1_3repE0EEENS1_30default_config_static_selectorELNS0_4arch9wavefront6targetE0EEEvT1_.uses_flat_scratch, 0
	.set _ZN7rocprim17ROCPRIM_400000_NS6detail17trampoline_kernelINS0_14default_configENS1_25partition_config_selectorILNS1_17partition_subalgoE5EfNS0_10empty_typeEbEEZZNS1_14partition_implILS5_5ELb0ES3_mN6thrust23THRUST_200600_302600_NS6detail15normal_iteratorINSA_10device_ptrIfEEEEPS6_NSA_18transform_iteratorINSB_9not_fun_tI7is_trueIfEEENSC_INSD_IbEEEENSA_11use_defaultESO_EENS0_5tupleIJSF_S6_EEENSQ_IJSG_SG_EEES6_PlJS6_EEE10hipError_tPvRmT3_T4_T5_T6_T7_T9_mT8_P12ihipStream_tbDpT10_ENKUlT_T0_E_clISt17integral_constantIbLb1EES1D_EEDaS18_S19_EUlS18_E_NS1_11comp_targetILNS1_3genE10ELNS1_11target_archE1200ELNS1_3gpuE4ELNS1_3repE0EEENS1_30default_config_static_selectorELNS0_4arch9wavefront6targetE0EEEvT1_.has_dyn_sized_stack, 0
	.set _ZN7rocprim17ROCPRIM_400000_NS6detail17trampoline_kernelINS0_14default_configENS1_25partition_config_selectorILNS1_17partition_subalgoE5EfNS0_10empty_typeEbEEZZNS1_14partition_implILS5_5ELb0ES3_mN6thrust23THRUST_200600_302600_NS6detail15normal_iteratorINSA_10device_ptrIfEEEEPS6_NSA_18transform_iteratorINSB_9not_fun_tI7is_trueIfEEENSC_INSD_IbEEEENSA_11use_defaultESO_EENS0_5tupleIJSF_S6_EEENSQ_IJSG_SG_EEES6_PlJS6_EEE10hipError_tPvRmT3_T4_T5_T6_T7_T9_mT8_P12ihipStream_tbDpT10_ENKUlT_T0_E_clISt17integral_constantIbLb1EES1D_EEDaS18_S19_EUlS18_E_NS1_11comp_targetILNS1_3genE10ELNS1_11target_archE1200ELNS1_3gpuE4ELNS1_3repE0EEENS1_30default_config_static_selectorELNS0_4arch9wavefront6targetE0EEEvT1_.has_recursion, 0
	.set _ZN7rocprim17ROCPRIM_400000_NS6detail17trampoline_kernelINS0_14default_configENS1_25partition_config_selectorILNS1_17partition_subalgoE5EfNS0_10empty_typeEbEEZZNS1_14partition_implILS5_5ELb0ES3_mN6thrust23THRUST_200600_302600_NS6detail15normal_iteratorINSA_10device_ptrIfEEEEPS6_NSA_18transform_iteratorINSB_9not_fun_tI7is_trueIfEEENSC_INSD_IbEEEENSA_11use_defaultESO_EENS0_5tupleIJSF_S6_EEENSQ_IJSG_SG_EEES6_PlJS6_EEE10hipError_tPvRmT3_T4_T5_T6_T7_T9_mT8_P12ihipStream_tbDpT10_ENKUlT_T0_E_clISt17integral_constantIbLb1EES1D_EEDaS18_S19_EUlS18_E_NS1_11comp_targetILNS1_3genE10ELNS1_11target_archE1200ELNS1_3gpuE4ELNS1_3repE0EEENS1_30default_config_static_selectorELNS0_4arch9wavefront6targetE0EEEvT1_.has_indirect_call, 0
	.section	.AMDGPU.csdata,"",@progbits
; Kernel info:
; codeLenInByte = 4
; TotalNumSgprs: 0
; NumVgprs: 0
; ScratchSize: 0
; MemoryBound: 0
; FloatMode: 240
; IeeeMode: 1
; LDSByteSize: 0 bytes/workgroup (compile time only)
; SGPRBlocks: 0
; VGPRBlocks: 0
; NumSGPRsForWavesPerEU: 1
; NumVGPRsForWavesPerEU: 1
; Occupancy: 16
; WaveLimiterHint : 0
; COMPUTE_PGM_RSRC2:SCRATCH_EN: 0
; COMPUTE_PGM_RSRC2:USER_SGPR: 2
; COMPUTE_PGM_RSRC2:TRAP_HANDLER: 0
; COMPUTE_PGM_RSRC2:TGID_X_EN: 1
; COMPUTE_PGM_RSRC2:TGID_Y_EN: 0
; COMPUTE_PGM_RSRC2:TGID_Z_EN: 0
; COMPUTE_PGM_RSRC2:TIDIG_COMP_CNT: 0
	.section	.text._ZN7rocprim17ROCPRIM_400000_NS6detail17trampoline_kernelINS0_14default_configENS1_25partition_config_selectorILNS1_17partition_subalgoE5EfNS0_10empty_typeEbEEZZNS1_14partition_implILS5_5ELb0ES3_mN6thrust23THRUST_200600_302600_NS6detail15normal_iteratorINSA_10device_ptrIfEEEEPS6_NSA_18transform_iteratorINSB_9not_fun_tI7is_trueIfEEENSC_INSD_IbEEEENSA_11use_defaultESO_EENS0_5tupleIJSF_S6_EEENSQ_IJSG_SG_EEES6_PlJS6_EEE10hipError_tPvRmT3_T4_T5_T6_T7_T9_mT8_P12ihipStream_tbDpT10_ENKUlT_T0_E_clISt17integral_constantIbLb1EES1D_EEDaS18_S19_EUlS18_E_NS1_11comp_targetILNS1_3genE9ELNS1_11target_archE1100ELNS1_3gpuE3ELNS1_3repE0EEENS1_30default_config_static_selectorELNS0_4arch9wavefront6targetE0EEEvT1_,"axG",@progbits,_ZN7rocprim17ROCPRIM_400000_NS6detail17trampoline_kernelINS0_14default_configENS1_25partition_config_selectorILNS1_17partition_subalgoE5EfNS0_10empty_typeEbEEZZNS1_14partition_implILS5_5ELb0ES3_mN6thrust23THRUST_200600_302600_NS6detail15normal_iteratorINSA_10device_ptrIfEEEEPS6_NSA_18transform_iteratorINSB_9not_fun_tI7is_trueIfEEENSC_INSD_IbEEEENSA_11use_defaultESO_EENS0_5tupleIJSF_S6_EEENSQ_IJSG_SG_EEES6_PlJS6_EEE10hipError_tPvRmT3_T4_T5_T6_T7_T9_mT8_P12ihipStream_tbDpT10_ENKUlT_T0_E_clISt17integral_constantIbLb1EES1D_EEDaS18_S19_EUlS18_E_NS1_11comp_targetILNS1_3genE9ELNS1_11target_archE1100ELNS1_3gpuE3ELNS1_3repE0EEENS1_30default_config_static_selectorELNS0_4arch9wavefront6targetE0EEEvT1_,comdat
	.protected	_ZN7rocprim17ROCPRIM_400000_NS6detail17trampoline_kernelINS0_14default_configENS1_25partition_config_selectorILNS1_17partition_subalgoE5EfNS0_10empty_typeEbEEZZNS1_14partition_implILS5_5ELb0ES3_mN6thrust23THRUST_200600_302600_NS6detail15normal_iteratorINSA_10device_ptrIfEEEEPS6_NSA_18transform_iteratorINSB_9not_fun_tI7is_trueIfEEENSC_INSD_IbEEEENSA_11use_defaultESO_EENS0_5tupleIJSF_S6_EEENSQ_IJSG_SG_EEES6_PlJS6_EEE10hipError_tPvRmT3_T4_T5_T6_T7_T9_mT8_P12ihipStream_tbDpT10_ENKUlT_T0_E_clISt17integral_constantIbLb1EES1D_EEDaS18_S19_EUlS18_E_NS1_11comp_targetILNS1_3genE9ELNS1_11target_archE1100ELNS1_3gpuE3ELNS1_3repE0EEENS1_30default_config_static_selectorELNS0_4arch9wavefront6targetE0EEEvT1_ ; -- Begin function _ZN7rocprim17ROCPRIM_400000_NS6detail17trampoline_kernelINS0_14default_configENS1_25partition_config_selectorILNS1_17partition_subalgoE5EfNS0_10empty_typeEbEEZZNS1_14partition_implILS5_5ELb0ES3_mN6thrust23THRUST_200600_302600_NS6detail15normal_iteratorINSA_10device_ptrIfEEEEPS6_NSA_18transform_iteratorINSB_9not_fun_tI7is_trueIfEEENSC_INSD_IbEEEENSA_11use_defaultESO_EENS0_5tupleIJSF_S6_EEENSQ_IJSG_SG_EEES6_PlJS6_EEE10hipError_tPvRmT3_T4_T5_T6_T7_T9_mT8_P12ihipStream_tbDpT10_ENKUlT_T0_E_clISt17integral_constantIbLb1EES1D_EEDaS18_S19_EUlS18_E_NS1_11comp_targetILNS1_3genE9ELNS1_11target_archE1100ELNS1_3gpuE3ELNS1_3repE0EEENS1_30default_config_static_selectorELNS0_4arch9wavefront6targetE0EEEvT1_
	.globl	_ZN7rocprim17ROCPRIM_400000_NS6detail17trampoline_kernelINS0_14default_configENS1_25partition_config_selectorILNS1_17partition_subalgoE5EfNS0_10empty_typeEbEEZZNS1_14partition_implILS5_5ELb0ES3_mN6thrust23THRUST_200600_302600_NS6detail15normal_iteratorINSA_10device_ptrIfEEEEPS6_NSA_18transform_iteratorINSB_9not_fun_tI7is_trueIfEEENSC_INSD_IbEEEENSA_11use_defaultESO_EENS0_5tupleIJSF_S6_EEENSQ_IJSG_SG_EEES6_PlJS6_EEE10hipError_tPvRmT3_T4_T5_T6_T7_T9_mT8_P12ihipStream_tbDpT10_ENKUlT_T0_E_clISt17integral_constantIbLb1EES1D_EEDaS18_S19_EUlS18_E_NS1_11comp_targetILNS1_3genE9ELNS1_11target_archE1100ELNS1_3gpuE3ELNS1_3repE0EEENS1_30default_config_static_selectorELNS0_4arch9wavefront6targetE0EEEvT1_
	.p2align	8
	.type	_ZN7rocprim17ROCPRIM_400000_NS6detail17trampoline_kernelINS0_14default_configENS1_25partition_config_selectorILNS1_17partition_subalgoE5EfNS0_10empty_typeEbEEZZNS1_14partition_implILS5_5ELb0ES3_mN6thrust23THRUST_200600_302600_NS6detail15normal_iteratorINSA_10device_ptrIfEEEEPS6_NSA_18transform_iteratorINSB_9not_fun_tI7is_trueIfEEENSC_INSD_IbEEEENSA_11use_defaultESO_EENS0_5tupleIJSF_S6_EEENSQ_IJSG_SG_EEES6_PlJS6_EEE10hipError_tPvRmT3_T4_T5_T6_T7_T9_mT8_P12ihipStream_tbDpT10_ENKUlT_T0_E_clISt17integral_constantIbLb1EES1D_EEDaS18_S19_EUlS18_E_NS1_11comp_targetILNS1_3genE9ELNS1_11target_archE1100ELNS1_3gpuE3ELNS1_3repE0EEENS1_30default_config_static_selectorELNS0_4arch9wavefront6targetE0EEEvT1_,@function
_ZN7rocprim17ROCPRIM_400000_NS6detail17trampoline_kernelINS0_14default_configENS1_25partition_config_selectorILNS1_17partition_subalgoE5EfNS0_10empty_typeEbEEZZNS1_14partition_implILS5_5ELb0ES3_mN6thrust23THRUST_200600_302600_NS6detail15normal_iteratorINSA_10device_ptrIfEEEEPS6_NSA_18transform_iteratorINSB_9not_fun_tI7is_trueIfEEENSC_INSD_IbEEEENSA_11use_defaultESO_EENS0_5tupleIJSF_S6_EEENSQ_IJSG_SG_EEES6_PlJS6_EEE10hipError_tPvRmT3_T4_T5_T6_T7_T9_mT8_P12ihipStream_tbDpT10_ENKUlT_T0_E_clISt17integral_constantIbLb1EES1D_EEDaS18_S19_EUlS18_E_NS1_11comp_targetILNS1_3genE9ELNS1_11target_archE1100ELNS1_3gpuE3ELNS1_3repE0EEENS1_30default_config_static_selectorELNS0_4arch9wavefront6targetE0EEEvT1_: ; @_ZN7rocprim17ROCPRIM_400000_NS6detail17trampoline_kernelINS0_14default_configENS1_25partition_config_selectorILNS1_17partition_subalgoE5EfNS0_10empty_typeEbEEZZNS1_14partition_implILS5_5ELb0ES3_mN6thrust23THRUST_200600_302600_NS6detail15normal_iteratorINSA_10device_ptrIfEEEEPS6_NSA_18transform_iteratorINSB_9not_fun_tI7is_trueIfEEENSC_INSD_IbEEEENSA_11use_defaultESO_EENS0_5tupleIJSF_S6_EEENSQ_IJSG_SG_EEES6_PlJS6_EEE10hipError_tPvRmT3_T4_T5_T6_T7_T9_mT8_P12ihipStream_tbDpT10_ENKUlT_T0_E_clISt17integral_constantIbLb1EES1D_EEDaS18_S19_EUlS18_E_NS1_11comp_targetILNS1_3genE9ELNS1_11target_archE1100ELNS1_3gpuE3ELNS1_3repE0EEENS1_30default_config_static_selectorELNS0_4arch9wavefront6targetE0EEEvT1_
; %bb.0:
	.section	.rodata,"a",@progbits
	.p2align	6, 0x0
	.amdhsa_kernel _ZN7rocprim17ROCPRIM_400000_NS6detail17trampoline_kernelINS0_14default_configENS1_25partition_config_selectorILNS1_17partition_subalgoE5EfNS0_10empty_typeEbEEZZNS1_14partition_implILS5_5ELb0ES3_mN6thrust23THRUST_200600_302600_NS6detail15normal_iteratorINSA_10device_ptrIfEEEEPS6_NSA_18transform_iteratorINSB_9not_fun_tI7is_trueIfEEENSC_INSD_IbEEEENSA_11use_defaultESO_EENS0_5tupleIJSF_S6_EEENSQ_IJSG_SG_EEES6_PlJS6_EEE10hipError_tPvRmT3_T4_T5_T6_T7_T9_mT8_P12ihipStream_tbDpT10_ENKUlT_T0_E_clISt17integral_constantIbLb1EES1D_EEDaS18_S19_EUlS18_E_NS1_11comp_targetILNS1_3genE9ELNS1_11target_archE1100ELNS1_3gpuE3ELNS1_3repE0EEENS1_30default_config_static_selectorELNS0_4arch9wavefront6targetE0EEEvT1_
		.amdhsa_group_segment_fixed_size 0
		.amdhsa_private_segment_fixed_size 0
		.amdhsa_kernarg_size 136
		.amdhsa_user_sgpr_count 2
		.amdhsa_user_sgpr_dispatch_ptr 0
		.amdhsa_user_sgpr_queue_ptr 0
		.amdhsa_user_sgpr_kernarg_segment_ptr 1
		.amdhsa_user_sgpr_dispatch_id 0
		.amdhsa_user_sgpr_private_segment_size 0
		.amdhsa_wavefront_size32 1
		.amdhsa_uses_dynamic_stack 0
		.amdhsa_enable_private_segment 0
		.amdhsa_system_sgpr_workgroup_id_x 1
		.amdhsa_system_sgpr_workgroup_id_y 0
		.amdhsa_system_sgpr_workgroup_id_z 0
		.amdhsa_system_sgpr_workgroup_info 0
		.amdhsa_system_vgpr_workitem_id 0
		.amdhsa_next_free_vgpr 1
		.amdhsa_next_free_sgpr 1
		.amdhsa_reserve_vcc 0
		.amdhsa_float_round_mode_32 0
		.amdhsa_float_round_mode_16_64 0
		.amdhsa_float_denorm_mode_32 3
		.amdhsa_float_denorm_mode_16_64 3
		.amdhsa_fp16_overflow 0
		.amdhsa_workgroup_processor_mode 1
		.amdhsa_memory_ordered 1
		.amdhsa_forward_progress 1
		.amdhsa_inst_pref_size 0
		.amdhsa_round_robin_scheduling 0
		.amdhsa_exception_fp_ieee_invalid_op 0
		.amdhsa_exception_fp_denorm_src 0
		.amdhsa_exception_fp_ieee_div_zero 0
		.amdhsa_exception_fp_ieee_overflow 0
		.amdhsa_exception_fp_ieee_underflow 0
		.amdhsa_exception_fp_ieee_inexact 0
		.amdhsa_exception_int_div_zero 0
	.end_amdhsa_kernel
	.section	.text._ZN7rocprim17ROCPRIM_400000_NS6detail17trampoline_kernelINS0_14default_configENS1_25partition_config_selectorILNS1_17partition_subalgoE5EfNS0_10empty_typeEbEEZZNS1_14partition_implILS5_5ELb0ES3_mN6thrust23THRUST_200600_302600_NS6detail15normal_iteratorINSA_10device_ptrIfEEEEPS6_NSA_18transform_iteratorINSB_9not_fun_tI7is_trueIfEEENSC_INSD_IbEEEENSA_11use_defaultESO_EENS0_5tupleIJSF_S6_EEENSQ_IJSG_SG_EEES6_PlJS6_EEE10hipError_tPvRmT3_T4_T5_T6_T7_T9_mT8_P12ihipStream_tbDpT10_ENKUlT_T0_E_clISt17integral_constantIbLb1EES1D_EEDaS18_S19_EUlS18_E_NS1_11comp_targetILNS1_3genE9ELNS1_11target_archE1100ELNS1_3gpuE3ELNS1_3repE0EEENS1_30default_config_static_selectorELNS0_4arch9wavefront6targetE0EEEvT1_,"axG",@progbits,_ZN7rocprim17ROCPRIM_400000_NS6detail17trampoline_kernelINS0_14default_configENS1_25partition_config_selectorILNS1_17partition_subalgoE5EfNS0_10empty_typeEbEEZZNS1_14partition_implILS5_5ELb0ES3_mN6thrust23THRUST_200600_302600_NS6detail15normal_iteratorINSA_10device_ptrIfEEEEPS6_NSA_18transform_iteratorINSB_9not_fun_tI7is_trueIfEEENSC_INSD_IbEEEENSA_11use_defaultESO_EENS0_5tupleIJSF_S6_EEENSQ_IJSG_SG_EEES6_PlJS6_EEE10hipError_tPvRmT3_T4_T5_T6_T7_T9_mT8_P12ihipStream_tbDpT10_ENKUlT_T0_E_clISt17integral_constantIbLb1EES1D_EEDaS18_S19_EUlS18_E_NS1_11comp_targetILNS1_3genE9ELNS1_11target_archE1100ELNS1_3gpuE3ELNS1_3repE0EEENS1_30default_config_static_selectorELNS0_4arch9wavefront6targetE0EEEvT1_,comdat
.Lfunc_end2379:
	.size	_ZN7rocprim17ROCPRIM_400000_NS6detail17trampoline_kernelINS0_14default_configENS1_25partition_config_selectorILNS1_17partition_subalgoE5EfNS0_10empty_typeEbEEZZNS1_14partition_implILS5_5ELb0ES3_mN6thrust23THRUST_200600_302600_NS6detail15normal_iteratorINSA_10device_ptrIfEEEEPS6_NSA_18transform_iteratorINSB_9not_fun_tI7is_trueIfEEENSC_INSD_IbEEEENSA_11use_defaultESO_EENS0_5tupleIJSF_S6_EEENSQ_IJSG_SG_EEES6_PlJS6_EEE10hipError_tPvRmT3_T4_T5_T6_T7_T9_mT8_P12ihipStream_tbDpT10_ENKUlT_T0_E_clISt17integral_constantIbLb1EES1D_EEDaS18_S19_EUlS18_E_NS1_11comp_targetILNS1_3genE9ELNS1_11target_archE1100ELNS1_3gpuE3ELNS1_3repE0EEENS1_30default_config_static_selectorELNS0_4arch9wavefront6targetE0EEEvT1_, .Lfunc_end2379-_ZN7rocprim17ROCPRIM_400000_NS6detail17trampoline_kernelINS0_14default_configENS1_25partition_config_selectorILNS1_17partition_subalgoE5EfNS0_10empty_typeEbEEZZNS1_14partition_implILS5_5ELb0ES3_mN6thrust23THRUST_200600_302600_NS6detail15normal_iteratorINSA_10device_ptrIfEEEEPS6_NSA_18transform_iteratorINSB_9not_fun_tI7is_trueIfEEENSC_INSD_IbEEEENSA_11use_defaultESO_EENS0_5tupleIJSF_S6_EEENSQ_IJSG_SG_EEES6_PlJS6_EEE10hipError_tPvRmT3_T4_T5_T6_T7_T9_mT8_P12ihipStream_tbDpT10_ENKUlT_T0_E_clISt17integral_constantIbLb1EES1D_EEDaS18_S19_EUlS18_E_NS1_11comp_targetILNS1_3genE9ELNS1_11target_archE1100ELNS1_3gpuE3ELNS1_3repE0EEENS1_30default_config_static_selectorELNS0_4arch9wavefront6targetE0EEEvT1_
                                        ; -- End function
	.set _ZN7rocprim17ROCPRIM_400000_NS6detail17trampoline_kernelINS0_14default_configENS1_25partition_config_selectorILNS1_17partition_subalgoE5EfNS0_10empty_typeEbEEZZNS1_14partition_implILS5_5ELb0ES3_mN6thrust23THRUST_200600_302600_NS6detail15normal_iteratorINSA_10device_ptrIfEEEEPS6_NSA_18transform_iteratorINSB_9not_fun_tI7is_trueIfEEENSC_INSD_IbEEEENSA_11use_defaultESO_EENS0_5tupleIJSF_S6_EEENSQ_IJSG_SG_EEES6_PlJS6_EEE10hipError_tPvRmT3_T4_T5_T6_T7_T9_mT8_P12ihipStream_tbDpT10_ENKUlT_T0_E_clISt17integral_constantIbLb1EES1D_EEDaS18_S19_EUlS18_E_NS1_11comp_targetILNS1_3genE9ELNS1_11target_archE1100ELNS1_3gpuE3ELNS1_3repE0EEENS1_30default_config_static_selectorELNS0_4arch9wavefront6targetE0EEEvT1_.num_vgpr, 0
	.set _ZN7rocprim17ROCPRIM_400000_NS6detail17trampoline_kernelINS0_14default_configENS1_25partition_config_selectorILNS1_17partition_subalgoE5EfNS0_10empty_typeEbEEZZNS1_14partition_implILS5_5ELb0ES3_mN6thrust23THRUST_200600_302600_NS6detail15normal_iteratorINSA_10device_ptrIfEEEEPS6_NSA_18transform_iteratorINSB_9not_fun_tI7is_trueIfEEENSC_INSD_IbEEEENSA_11use_defaultESO_EENS0_5tupleIJSF_S6_EEENSQ_IJSG_SG_EEES6_PlJS6_EEE10hipError_tPvRmT3_T4_T5_T6_T7_T9_mT8_P12ihipStream_tbDpT10_ENKUlT_T0_E_clISt17integral_constantIbLb1EES1D_EEDaS18_S19_EUlS18_E_NS1_11comp_targetILNS1_3genE9ELNS1_11target_archE1100ELNS1_3gpuE3ELNS1_3repE0EEENS1_30default_config_static_selectorELNS0_4arch9wavefront6targetE0EEEvT1_.num_agpr, 0
	.set _ZN7rocprim17ROCPRIM_400000_NS6detail17trampoline_kernelINS0_14default_configENS1_25partition_config_selectorILNS1_17partition_subalgoE5EfNS0_10empty_typeEbEEZZNS1_14partition_implILS5_5ELb0ES3_mN6thrust23THRUST_200600_302600_NS6detail15normal_iteratorINSA_10device_ptrIfEEEEPS6_NSA_18transform_iteratorINSB_9not_fun_tI7is_trueIfEEENSC_INSD_IbEEEENSA_11use_defaultESO_EENS0_5tupleIJSF_S6_EEENSQ_IJSG_SG_EEES6_PlJS6_EEE10hipError_tPvRmT3_T4_T5_T6_T7_T9_mT8_P12ihipStream_tbDpT10_ENKUlT_T0_E_clISt17integral_constantIbLb1EES1D_EEDaS18_S19_EUlS18_E_NS1_11comp_targetILNS1_3genE9ELNS1_11target_archE1100ELNS1_3gpuE3ELNS1_3repE0EEENS1_30default_config_static_selectorELNS0_4arch9wavefront6targetE0EEEvT1_.numbered_sgpr, 0
	.set _ZN7rocprim17ROCPRIM_400000_NS6detail17trampoline_kernelINS0_14default_configENS1_25partition_config_selectorILNS1_17partition_subalgoE5EfNS0_10empty_typeEbEEZZNS1_14partition_implILS5_5ELb0ES3_mN6thrust23THRUST_200600_302600_NS6detail15normal_iteratorINSA_10device_ptrIfEEEEPS6_NSA_18transform_iteratorINSB_9not_fun_tI7is_trueIfEEENSC_INSD_IbEEEENSA_11use_defaultESO_EENS0_5tupleIJSF_S6_EEENSQ_IJSG_SG_EEES6_PlJS6_EEE10hipError_tPvRmT3_T4_T5_T6_T7_T9_mT8_P12ihipStream_tbDpT10_ENKUlT_T0_E_clISt17integral_constantIbLb1EES1D_EEDaS18_S19_EUlS18_E_NS1_11comp_targetILNS1_3genE9ELNS1_11target_archE1100ELNS1_3gpuE3ELNS1_3repE0EEENS1_30default_config_static_selectorELNS0_4arch9wavefront6targetE0EEEvT1_.num_named_barrier, 0
	.set _ZN7rocprim17ROCPRIM_400000_NS6detail17trampoline_kernelINS0_14default_configENS1_25partition_config_selectorILNS1_17partition_subalgoE5EfNS0_10empty_typeEbEEZZNS1_14partition_implILS5_5ELb0ES3_mN6thrust23THRUST_200600_302600_NS6detail15normal_iteratorINSA_10device_ptrIfEEEEPS6_NSA_18transform_iteratorINSB_9not_fun_tI7is_trueIfEEENSC_INSD_IbEEEENSA_11use_defaultESO_EENS0_5tupleIJSF_S6_EEENSQ_IJSG_SG_EEES6_PlJS6_EEE10hipError_tPvRmT3_T4_T5_T6_T7_T9_mT8_P12ihipStream_tbDpT10_ENKUlT_T0_E_clISt17integral_constantIbLb1EES1D_EEDaS18_S19_EUlS18_E_NS1_11comp_targetILNS1_3genE9ELNS1_11target_archE1100ELNS1_3gpuE3ELNS1_3repE0EEENS1_30default_config_static_selectorELNS0_4arch9wavefront6targetE0EEEvT1_.private_seg_size, 0
	.set _ZN7rocprim17ROCPRIM_400000_NS6detail17trampoline_kernelINS0_14default_configENS1_25partition_config_selectorILNS1_17partition_subalgoE5EfNS0_10empty_typeEbEEZZNS1_14partition_implILS5_5ELb0ES3_mN6thrust23THRUST_200600_302600_NS6detail15normal_iteratorINSA_10device_ptrIfEEEEPS6_NSA_18transform_iteratorINSB_9not_fun_tI7is_trueIfEEENSC_INSD_IbEEEENSA_11use_defaultESO_EENS0_5tupleIJSF_S6_EEENSQ_IJSG_SG_EEES6_PlJS6_EEE10hipError_tPvRmT3_T4_T5_T6_T7_T9_mT8_P12ihipStream_tbDpT10_ENKUlT_T0_E_clISt17integral_constantIbLb1EES1D_EEDaS18_S19_EUlS18_E_NS1_11comp_targetILNS1_3genE9ELNS1_11target_archE1100ELNS1_3gpuE3ELNS1_3repE0EEENS1_30default_config_static_selectorELNS0_4arch9wavefront6targetE0EEEvT1_.uses_vcc, 0
	.set _ZN7rocprim17ROCPRIM_400000_NS6detail17trampoline_kernelINS0_14default_configENS1_25partition_config_selectorILNS1_17partition_subalgoE5EfNS0_10empty_typeEbEEZZNS1_14partition_implILS5_5ELb0ES3_mN6thrust23THRUST_200600_302600_NS6detail15normal_iteratorINSA_10device_ptrIfEEEEPS6_NSA_18transform_iteratorINSB_9not_fun_tI7is_trueIfEEENSC_INSD_IbEEEENSA_11use_defaultESO_EENS0_5tupleIJSF_S6_EEENSQ_IJSG_SG_EEES6_PlJS6_EEE10hipError_tPvRmT3_T4_T5_T6_T7_T9_mT8_P12ihipStream_tbDpT10_ENKUlT_T0_E_clISt17integral_constantIbLb1EES1D_EEDaS18_S19_EUlS18_E_NS1_11comp_targetILNS1_3genE9ELNS1_11target_archE1100ELNS1_3gpuE3ELNS1_3repE0EEENS1_30default_config_static_selectorELNS0_4arch9wavefront6targetE0EEEvT1_.uses_flat_scratch, 0
	.set _ZN7rocprim17ROCPRIM_400000_NS6detail17trampoline_kernelINS0_14default_configENS1_25partition_config_selectorILNS1_17partition_subalgoE5EfNS0_10empty_typeEbEEZZNS1_14partition_implILS5_5ELb0ES3_mN6thrust23THRUST_200600_302600_NS6detail15normal_iteratorINSA_10device_ptrIfEEEEPS6_NSA_18transform_iteratorINSB_9not_fun_tI7is_trueIfEEENSC_INSD_IbEEEENSA_11use_defaultESO_EENS0_5tupleIJSF_S6_EEENSQ_IJSG_SG_EEES6_PlJS6_EEE10hipError_tPvRmT3_T4_T5_T6_T7_T9_mT8_P12ihipStream_tbDpT10_ENKUlT_T0_E_clISt17integral_constantIbLb1EES1D_EEDaS18_S19_EUlS18_E_NS1_11comp_targetILNS1_3genE9ELNS1_11target_archE1100ELNS1_3gpuE3ELNS1_3repE0EEENS1_30default_config_static_selectorELNS0_4arch9wavefront6targetE0EEEvT1_.has_dyn_sized_stack, 0
	.set _ZN7rocprim17ROCPRIM_400000_NS6detail17trampoline_kernelINS0_14default_configENS1_25partition_config_selectorILNS1_17partition_subalgoE5EfNS0_10empty_typeEbEEZZNS1_14partition_implILS5_5ELb0ES3_mN6thrust23THRUST_200600_302600_NS6detail15normal_iteratorINSA_10device_ptrIfEEEEPS6_NSA_18transform_iteratorINSB_9not_fun_tI7is_trueIfEEENSC_INSD_IbEEEENSA_11use_defaultESO_EENS0_5tupleIJSF_S6_EEENSQ_IJSG_SG_EEES6_PlJS6_EEE10hipError_tPvRmT3_T4_T5_T6_T7_T9_mT8_P12ihipStream_tbDpT10_ENKUlT_T0_E_clISt17integral_constantIbLb1EES1D_EEDaS18_S19_EUlS18_E_NS1_11comp_targetILNS1_3genE9ELNS1_11target_archE1100ELNS1_3gpuE3ELNS1_3repE0EEENS1_30default_config_static_selectorELNS0_4arch9wavefront6targetE0EEEvT1_.has_recursion, 0
	.set _ZN7rocprim17ROCPRIM_400000_NS6detail17trampoline_kernelINS0_14default_configENS1_25partition_config_selectorILNS1_17partition_subalgoE5EfNS0_10empty_typeEbEEZZNS1_14partition_implILS5_5ELb0ES3_mN6thrust23THRUST_200600_302600_NS6detail15normal_iteratorINSA_10device_ptrIfEEEEPS6_NSA_18transform_iteratorINSB_9not_fun_tI7is_trueIfEEENSC_INSD_IbEEEENSA_11use_defaultESO_EENS0_5tupleIJSF_S6_EEENSQ_IJSG_SG_EEES6_PlJS6_EEE10hipError_tPvRmT3_T4_T5_T6_T7_T9_mT8_P12ihipStream_tbDpT10_ENKUlT_T0_E_clISt17integral_constantIbLb1EES1D_EEDaS18_S19_EUlS18_E_NS1_11comp_targetILNS1_3genE9ELNS1_11target_archE1100ELNS1_3gpuE3ELNS1_3repE0EEENS1_30default_config_static_selectorELNS0_4arch9wavefront6targetE0EEEvT1_.has_indirect_call, 0
	.section	.AMDGPU.csdata,"",@progbits
; Kernel info:
; codeLenInByte = 0
; TotalNumSgprs: 0
; NumVgprs: 0
; ScratchSize: 0
; MemoryBound: 0
; FloatMode: 240
; IeeeMode: 1
; LDSByteSize: 0 bytes/workgroup (compile time only)
; SGPRBlocks: 0
; VGPRBlocks: 0
; NumSGPRsForWavesPerEU: 1
; NumVGPRsForWavesPerEU: 1
; Occupancy: 16
; WaveLimiterHint : 0
; COMPUTE_PGM_RSRC2:SCRATCH_EN: 0
; COMPUTE_PGM_RSRC2:USER_SGPR: 2
; COMPUTE_PGM_RSRC2:TRAP_HANDLER: 0
; COMPUTE_PGM_RSRC2:TGID_X_EN: 1
; COMPUTE_PGM_RSRC2:TGID_Y_EN: 0
; COMPUTE_PGM_RSRC2:TGID_Z_EN: 0
; COMPUTE_PGM_RSRC2:TIDIG_COMP_CNT: 0
	.section	.text._ZN7rocprim17ROCPRIM_400000_NS6detail17trampoline_kernelINS0_14default_configENS1_25partition_config_selectorILNS1_17partition_subalgoE5EfNS0_10empty_typeEbEEZZNS1_14partition_implILS5_5ELb0ES3_mN6thrust23THRUST_200600_302600_NS6detail15normal_iteratorINSA_10device_ptrIfEEEEPS6_NSA_18transform_iteratorINSB_9not_fun_tI7is_trueIfEEENSC_INSD_IbEEEENSA_11use_defaultESO_EENS0_5tupleIJSF_S6_EEENSQ_IJSG_SG_EEES6_PlJS6_EEE10hipError_tPvRmT3_T4_T5_T6_T7_T9_mT8_P12ihipStream_tbDpT10_ENKUlT_T0_E_clISt17integral_constantIbLb1EES1D_EEDaS18_S19_EUlS18_E_NS1_11comp_targetILNS1_3genE8ELNS1_11target_archE1030ELNS1_3gpuE2ELNS1_3repE0EEENS1_30default_config_static_selectorELNS0_4arch9wavefront6targetE0EEEvT1_,"axG",@progbits,_ZN7rocprim17ROCPRIM_400000_NS6detail17trampoline_kernelINS0_14default_configENS1_25partition_config_selectorILNS1_17partition_subalgoE5EfNS0_10empty_typeEbEEZZNS1_14partition_implILS5_5ELb0ES3_mN6thrust23THRUST_200600_302600_NS6detail15normal_iteratorINSA_10device_ptrIfEEEEPS6_NSA_18transform_iteratorINSB_9not_fun_tI7is_trueIfEEENSC_INSD_IbEEEENSA_11use_defaultESO_EENS0_5tupleIJSF_S6_EEENSQ_IJSG_SG_EEES6_PlJS6_EEE10hipError_tPvRmT3_T4_T5_T6_T7_T9_mT8_P12ihipStream_tbDpT10_ENKUlT_T0_E_clISt17integral_constantIbLb1EES1D_EEDaS18_S19_EUlS18_E_NS1_11comp_targetILNS1_3genE8ELNS1_11target_archE1030ELNS1_3gpuE2ELNS1_3repE0EEENS1_30default_config_static_selectorELNS0_4arch9wavefront6targetE0EEEvT1_,comdat
	.protected	_ZN7rocprim17ROCPRIM_400000_NS6detail17trampoline_kernelINS0_14default_configENS1_25partition_config_selectorILNS1_17partition_subalgoE5EfNS0_10empty_typeEbEEZZNS1_14partition_implILS5_5ELb0ES3_mN6thrust23THRUST_200600_302600_NS6detail15normal_iteratorINSA_10device_ptrIfEEEEPS6_NSA_18transform_iteratorINSB_9not_fun_tI7is_trueIfEEENSC_INSD_IbEEEENSA_11use_defaultESO_EENS0_5tupleIJSF_S6_EEENSQ_IJSG_SG_EEES6_PlJS6_EEE10hipError_tPvRmT3_T4_T5_T6_T7_T9_mT8_P12ihipStream_tbDpT10_ENKUlT_T0_E_clISt17integral_constantIbLb1EES1D_EEDaS18_S19_EUlS18_E_NS1_11comp_targetILNS1_3genE8ELNS1_11target_archE1030ELNS1_3gpuE2ELNS1_3repE0EEENS1_30default_config_static_selectorELNS0_4arch9wavefront6targetE0EEEvT1_ ; -- Begin function _ZN7rocprim17ROCPRIM_400000_NS6detail17trampoline_kernelINS0_14default_configENS1_25partition_config_selectorILNS1_17partition_subalgoE5EfNS0_10empty_typeEbEEZZNS1_14partition_implILS5_5ELb0ES3_mN6thrust23THRUST_200600_302600_NS6detail15normal_iteratorINSA_10device_ptrIfEEEEPS6_NSA_18transform_iteratorINSB_9not_fun_tI7is_trueIfEEENSC_INSD_IbEEEENSA_11use_defaultESO_EENS0_5tupleIJSF_S6_EEENSQ_IJSG_SG_EEES6_PlJS6_EEE10hipError_tPvRmT3_T4_T5_T6_T7_T9_mT8_P12ihipStream_tbDpT10_ENKUlT_T0_E_clISt17integral_constantIbLb1EES1D_EEDaS18_S19_EUlS18_E_NS1_11comp_targetILNS1_3genE8ELNS1_11target_archE1030ELNS1_3gpuE2ELNS1_3repE0EEENS1_30default_config_static_selectorELNS0_4arch9wavefront6targetE0EEEvT1_
	.globl	_ZN7rocprim17ROCPRIM_400000_NS6detail17trampoline_kernelINS0_14default_configENS1_25partition_config_selectorILNS1_17partition_subalgoE5EfNS0_10empty_typeEbEEZZNS1_14partition_implILS5_5ELb0ES3_mN6thrust23THRUST_200600_302600_NS6detail15normal_iteratorINSA_10device_ptrIfEEEEPS6_NSA_18transform_iteratorINSB_9not_fun_tI7is_trueIfEEENSC_INSD_IbEEEENSA_11use_defaultESO_EENS0_5tupleIJSF_S6_EEENSQ_IJSG_SG_EEES6_PlJS6_EEE10hipError_tPvRmT3_T4_T5_T6_T7_T9_mT8_P12ihipStream_tbDpT10_ENKUlT_T0_E_clISt17integral_constantIbLb1EES1D_EEDaS18_S19_EUlS18_E_NS1_11comp_targetILNS1_3genE8ELNS1_11target_archE1030ELNS1_3gpuE2ELNS1_3repE0EEENS1_30default_config_static_selectorELNS0_4arch9wavefront6targetE0EEEvT1_
	.p2align	8
	.type	_ZN7rocprim17ROCPRIM_400000_NS6detail17trampoline_kernelINS0_14default_configENS1_25partition_config_selectorILNS1_17partition_subalgoE5EfNS0_10empty_typeEbEEZZNS1_14partition_implILS5_5ELb0ES3_mN6thrust23THRUST_200600_302600_NS6detail15normal_iteratorINSA_10device_ptrIfEEEEPS6_NSA_18transform_iteratorINSB_9not_fun_tI7is_trueIfEEENSC_INSD_IbEEEENSA_11use_defaultESO_EENS0_5tupleIJSF_S6_EEENSQ_IJSG_SG_EEES6_PlJS6_EEE10hipError_tPvRmT3_T4_T5_T6_T7_T9_mT8_P12ihipStream_tbDpT10_ENKUlT_T0_E_clISt17integral_constantIbLb1EES1D_EEDaS18_S19_EUlS18_E_NS1_11comp_targetILNS1_3genE8ELNS1_11target_archE1030ELNS1_3gpuE2ELNS1_3repE0EEENS1_30default_config_static_selectorELNS0_4arch9wavefront6targetE0EEEvT1_,@function
_ZN7rocprim17ROCPRIM_400000_NS6detail17trampoline_kernelINS0_14default_configENS1_25partition_config_selectorILNS1_17partition_subalgoE5EfNS0_10empty_typeEbEEZZNS1_14partition_implILS5_5ELb0ES3_mN6thrust23THRUST_200600_302600_NS6detail15normal_iteratorINSA_10device_ptrIfEEEEPS6_NSA_18transform_iteratorINSB_9not_fun_tI7is_trueIfEEENSC_INSD_IbEEEENSA_11use_defaultESO_EENS0_5tupleIJSF_S6_EEENSQ_IJSG_SG_EEES6_PlJS6_EEE10hipError_tPvRmT3_T4_T5_T6_T7_T9_mT8_P12ihipStream_tbDpT10_ENKUlT_T0_E_clISt17integral_constantIbLb1EES1D_EEDaS18_S19_EUlS18_E_NS1_11comp_targetILNS1_3genE8ELNS1_11target_archE1030ELNS1_3gpuE2ELNS1_3repE0EEENS1_30default_config_static_selectorELNS0_4arch9wavefront6targetE0EEEvT1_: ; @_ZN7rocprim17ROCPRIM_400000_NS6detail17trampoline_kernelINS0_14default_configENS1_25partition_config_selectorILNS1_17partition_subalgoE5EfNS0_10empty_typeEbEEZZNS1_14partition_implILS5_5ELb0ES3_mN6thrust23THRUST_200600_302600_NS6detail15normal_iteratorINSA_10device_ptrIfEEEEPS6_NSA_18transform_iteratorINSB_9not_fun_tI7is_trueIfEEENSC_INSD_IbEEEENSA_11use_defaultESO_EENS0_5tupleIJSF_S6_EEENSQ_IJSG_SG_EEES6_PlJS6_EEE10hipError_tPvRmT3_T4_T5_T6_T7_T9_mT8_P12ihipStream_tbDpT10_ENKUlT_T0_E_clISt17integral_constantIbLb1EES1D_EEDaS18_S19_EUlS18_E_NS1_11comp_targetILNS1_3genE8ELNS1_11target_archE1030ELNS1_3gpuE2ELNS1_3repE0EEENS1_30default_config_static_selectorELNS0_4arch9wavefront6targetE0EEEvT1_
; %bb.0:
	.section	.rodata,"a",@progbits
	.p2align	6, 0x0
	.amdhsa_kernel _ZN7rocprim17ROCPRIM_400000_NS6detail17trampoline_kernelINS0_14default_configENS1_25partition_config_selectorILNS1_17partition_subalgoE5EfNS0_10empty_typeEbEEZZNS1_14partition_implILS5_5ELb0ES3_mN6thrust23THRUST_200600_302600_NS6detail15normal_iteratorINSA_10device_ptrIfEEEEPS6_NSA_18transform_iteratorINSB_9not_fun_tI7is_trueIfEEENSC_INSD_IbEEEENSA_11use_defaultESO_EENS0_5tupleIJSF_S6_EEENSQ_IJSG_SG_EEES6_PlJS6_EEE10hipError_tPvRmT3_T4_T5_T6_T7_T9_mT8_P12ihipStream_tbDpT10_ENKUlT_T0_E_clISt17integral_constantIbLb1EES1D_EEDaS18_S19_EUlS18_E_NS1_11comp_targetILNS1_3genE8ELNS1_11target_archE1030ELNS1_3gpuE2ELNS1_3repE0EEENS1_30default_config_static_selectorELNS0_4arch9wavefront6targetE0EEEvT1_
		.amdhsa_group_segment_fixed_size 0
		.amdhsa_private_segment_fixed_size 0
		.amdhsa_kernarg_size 136
		.amdhsa_user_sgpr_count 2
		.amdhsa_user_sgpr_dispatch_ptr 0
		.amdhsa_user_sgpr_queue_ptr 0
		.amdhsa_user_sgpr_kernarg_segment_ptr 1
		.amdhsa_user_sgpr_dispatch_id 0
		.amdhsa_user_sgpr_private_segment_size 0
		.amdhsa_wavefront_size32 1
		.amdhsa_uses_dynamic_stack 0
		.amdhsa_enable_private_segment 0
		.amdhsa_system_sgpr_workgroup_id_x 1
		.amdhsa_system_sgpr_workgroup_id_y 0
		.amdhsa_system_sgpr_workgroup_id_z 0
		.amdhsa_system_sgpr_workgroup_info 0
		.amdhsa_system_vgpr_workitem_id 0
		.amdhsa_next_free_vgpr 1
		.amdhsa_next_free_sgpr 1
		.amdhsa_reserve_vcc 0
		.amdhsa_float_round_mode_32 0
		.amdhsa_float_round_mode_16_64 0
		.amdhsa_float_denorm_mode_32 3
		.amdhsa_float_denorm_mode_16_64 3
		.amdhsa_fp16_overflow 0
		.amdhsa_workgroup_processor_mode 1
		.amdhsa_memory_ordered 1
		.amdhsa_forward_progress 1
		.amdhsa_inst_pref_size 0
		.amdhsa_round_robin_scheduling 0
		.amdhsa_exception_fp_ieee_invalid_op 0
		.amdhsa_exception_fp_denorm_src 0
		.amdhsa_exception_fp_ieee_div_zero 0
		.amdhsa_exception_fp_ieee_overflow 0
		.amdhsa_exception_fp_ieee_underflow 0
		.amdhsa_exception_fp_ieee_inexact 0
		.amdhsa_exception_int_div_zero 0
	.end_amdhsa_kernel
	.section	.text._ZN7rocprim17ROCPRIM_400000_NS6detail17trampoline_kernelINS0_14default_configENS1_25partition_config_selectorILNS1_17partition_subalgoE5EfNS0_10empty_typeEbEEZZNS1_14partition_implILS5_5ELb0ES3_mN6thrust23THRUST_200600_302600_NS6detail15normal_iteratorINSA_10device_ptrIfEEEEPS6_NSA_18transform_iteratorINSB_9not_fun_tI7is_trueIfEEENSC_INSD_IbEEEENSA_11use_defaultESO_EENS0_5tupleIJSF_S6_EEENSQ_IJSG_SG_EEES6_PlJS6_EEE10hipError_tPvRmT3_T4_T5_T6_T7_T9_mT8_P12ihipStream_tbDpT10_ENKUlT_T0_E_clISt17integral_constantIbLb1EES1D_EEDaS18_S19_EUlS18_E_NS1_11comp_targetILNS1_3genE8ELNS1_11target_archE1030ELNS1_3gpuE2ELNS1_3repE0EEENS1_30default_config_static_selectorELNS0_4arch9wavefront6targetE0EEEvT1_,"axG",@progbits,_ZN7rocprim17ROCPRIM_400000_NS6detail17trampoline_kernelINS0_14default_configENS1_25partition_config_selectorILNS1_17partition_subalgoE5EfNS0_10empty_typeEbEEZZNS1_14partition_implILS5_5ELb0ES3_mN6thrust23THRUST_200600_302600_NS6detail15normal_iteratorINSA_10device_ptrIfEEEEPS6_NSA_18transform_iteratorINSB_9not_fun_tI7is_trueIfEEENSC_INSD_IbEEEENSA_11use_defaultESO_EENS0_5tupleIJSF_S6_EEENSQ_IJSG_SG_EEES6_PlJS6_EEE10hipError_tPvRmT3_T4_T5_T6_T7_T9_mT8_P12ihipStream_tbDpT10_ENKUlT_T0_E_clISt17integral_constantIbLb1EES1D_EEDaS18_S19_EUlS18_E_NS1_11comp_targetILNS1_3genE8ELNS1_11target_archE1030ELNS1_3gpuE2ELNS1_3repE0EEENS1_30default_config_static_selectorELNS0_4arch9wavefront6targetE0EEEvT1_,comdat
.Lfunc_end2380:
	.size	_ZN7rocprim17ROCPRIM_400000_NS6detail17trampoline_kernelINS0_14default_configENS1_25partition_config_selectorILNS1_17partition_subalgoE5EfNS0_10empty_typeEbEEZZNS1_14partition_implILS5_5ELb0ES3_mN6thrust23THRUST_200600_302600_NS6detail15normal_iteratorINSA_10device_ptrIfEEEEPS6_NSA_18transform_iteratorINSB_9not_fun_tI7is_trueIfEEENSC_INSD_IbEEEENSA_11use_defaultESO_EENS0_5tupleIJSF_S6_EEENSQ_IJSG_SG_EEES6_PlJS6_EEE10hipError_tPvRmT3_T4_T5_T6_T7_T9_mT8_P12ihipStream_tbDpT10_ENKUlT_T0_E_clISt17integral_constantIbLb1EES1D_EEDaS18_S19_EUlS18_E_NS1_11comp_targetILNS1_3genE8ELNS1_11target_archE1030ELNS1_3gpuE2ELNS1_3repE0EEENS1_30default_config_static_selectorELNS0_4arch9wavefront6targetE0EEEvT1_, .Lfunc_end2380-_ZN7rocprim17ROCPRIM_400000_NS6detail17trampoline_kernelINS0_14default_configENS1_25partition_config_selectorILNS1_17partition_subalgoE5EfNS0_10empty_typeEbEEZZNS1_14partition_implILS5_5ELb0ES3_mN6thrust23THRUST_200600_302600_NS6detail15normal_iteratorINSA_10device_ptrIfEEEEPS6_NSA_18transform_iteratorINSB_9not_fun_tI7is_trueIfEEENSC_INSD_IbEEEENSA_11use_defaultESO_EENS0_5tupleIJSF_S6_EEENSQ_IJSG_SG_EEES6_PlJS6_EEE10hipError_tPvRmT3_T4_T5_T6_T7_T9_mT8_P12ihipStream_tbDpT10_ENKUlT_T0_E_clISt17integral_constantIbLb1EES1D_EEDaS18_S19_EUlS18_E_NS1_11comp_targetILNS1_3genE8ELNS1_11target_archE1030ELNS1_3gpuE2ELNS1_3repE0EEENS1_30default_config_static_selectorELNS0_4arch9wavefront6targetE0EEEvT1_
                                        ; -- End function
	.set _ZN7rocprim17ROCPRIM_400000_NS6detail17trampoline_kernelINS0_14default_configENS1_25partition_config_selectorILNS1_17partition_subalgoE5EfNS0_10empty_typeEbEEZZNS1_14partition_implILS5_5ELb0ES3_mN6thrust23THRUST_200600_302600_NS6detail15normal_iteratorINSA_10device_ptrIfEEEEPS6_NSA_18transform_iteratorINSB_9not_fun_tI7is_trueIfEEENSC_INSD_IbEEEENSA_11use_defaultESO_EENS0_5tupleIJSF_S6_EEENSQ_IJSG_SG_EEES6_PlJS6_EEE10hipError_tPvRmT3_T4_T5_T6_T7_T9_mT8_P12ihipStream_tbDpT10_ENKUlT_T0_E_clISt17integral_constantIbLb1EES1D_EEDaS18_S19_EUlS18_E_NS1_11comp_targetILNS1_3genE8ELNS1_11target_archE1030ELNS1_3gpuE2ELNS1_3repE0EEENS1_30default_config_static_selectorELNS0_4arch9wavefront6targetE0EEEvT1_.num_vgpr, 0
	.set _ZN7rocprim17ROCPRIM_400000_NS6detail17trampoline_kernelINS0_14default_configENS1_25partition_config_selectorILNS1_17partition_subalgoE5EfNS0_10empty_typeEbEEZZNS1_14partition_implILS5_5ELb0ES3_mN6thrust23THRUST_200600_302600_NS6detail15normal_iteratorINSA_10device_ptrIfEEEEPS6_NSA_18transform_iteratorINSB_9not_fun_tI7is_trueIfEEENSC_INSD_IbEEEENSA_11use_defaultESO_EENS0_5tupleIJSF_S6_EEENSQ_IJSG_SG_EEES6_PlJS6_EEE10hipError_tPvRmT3_T4_T5_T6_T7_T9_mT8_P12ihipStream_tbDpT10_ENKUlT_T0_E_clISt17integral_constantIbLb1EES1D_EEDaS18_S19_EUlS18_E_NS1_11comp_targetILNS1_3genE8ELNS1_11target_archE1030ELNS1_3gpuE2ELNS1_3repE0EEENS1_30default_config_static_selectorELNS0_4arch9wavefront6targetE0EEEvT1_.num_agpr, 0
	.set _ZN7rocprim17ROCPRIM_400000_NS6detail17trampoline_kernelINS0_14default_configENS1_25partition_config_selectorILNS1_17partition_subalgoE5EfNS0_10empty_typeEbEEZZNS1_14partition_implILS5_5ELb0ES3_mN6thrust23THRUST_200600_302600_NS6detail15normal_iteratorINSA_10device_ptrIfEEEEPS6_NSA_18transform_iteratorINSB_9not_fun_tI7is_trueIfEEENSC_INSD_IbEEEENSA_11use_defaultESO_EENS0_5tupleIJSF_S6_EEENSQ_IJSG_SG_EEES6_PlJS6_EEE10hipError_tPvRmT3_T4_T5_T6_T7_T9_mT8_P12ihipStream_tbDpT10_ENKUlT_T0_E_clISt17integral_constantIbLb1EES1D_EEDaS18_S19_EUlS18_E_NS1_11comp_targetILNS1_3genE8ELNS1_11target_archE1030ELNS1_3gpuE2ELNS1_3repE0EEENS1_30default_config_static_selectorELNS0_4arch9wavefront6targetE0EEEvT1_.numbered_sgpr, 0
	.set _ZN7rocprim17ROCPRIM_400000_NS6detail17trampoline_kernelINS0_14default_configENS1_25partition_config_selectorILNS1_17partition_subalgoE5EfNS0_10empty_typeEbEEZZNS1_14partition_implILS5_5ELb0ES3_mN6thrust23THRUST_200600_302600_NS6detail15normal_iteratorINSA_10device_ptrIfEEEEPS6_NSA_18transform_iteratorINSB_9not_fun_tI7is_trueIfEEENSC_INSD_IbEEEENSA_11use_defaultESO_EENS0_5tupleIJSF_S6_EEENSQ_IJSG_SG_EEES6_PlJS6_EEE10hipError_tPvRmT3_T4_T5_T6_T7_T9_mT8_P12ihipStream_tbDpT10_ENKUlT_T0_E_clISt17integral_constantIbLb1EES1D_EEDaS18_S19_EUlS18_E_NS1_11comp_targetILNS1_3genE8ELNS1_11target_archE1030ELNS1_3gpuE2ELNS1_3repE0EEENS1_30default_config_static_selectorELNS0_4arch9wavefront6targetE0EEEvT1_.num_named_barrier, 0
	.set _ZN7rocprim17ROCPRIM_400000_NS6detail17trampoline_kernelINS0_14default_configENS1_25partition_config_selectorILNS1_17partition_subalgoE5EfNS0_10empty_typeEbEEZZNS1_14partition_implILS5_5ELb0ES3_mN6thrust23THRUST_200600_302600_NS6detail15normal_iteratorINSA_10device_ptrIfEEEEPS6_NSA_18transform_iteratorINSB_9not_fun_tI7is_trueIfEEENSC_INSD_IbEEEENSA_11use_defaultESO_EENS0_5tupleIJSF_S6_EEENSQ_IJSG_SG_EEES6_PlJS6_EEE10hipError_tPvRmT3_T4_T5_T6_T7_T9_mT8_P12ihipStream_tbDpT10_ENKUlT_T0_E_clISt17integral_constantIbLb1EES1D_EEDaS18_S19_EUlS18_E_NS1_11comp_targetILNS1_3genE8ELNS1_11target_archE1030ELNS1_3gpuE2ELNS1_3repE0EEENS1_30default_config_static_selectorELNS0_4arch9wavefront6targetE0EEEvT1_.private_seg_size, 0
	.set _ZN7rocprim17ROCPRIM_400000_NS6detail17trampoline_kernelINS0_14default_configENS1_25partition_config_selectorILNS1_17partition_subalgoE5EfNS0_10empty_typeEbEEZZNS1_14partition_implILS5_5ELb0ES3_mN6thrust23THRUST_200600_302600_NS6detail15normal_iteratorINSA_10device_ptrIfEEEEPS6_NSA_18transform_iteratorINSB_9not_fun_tI7is_trueIfEEENSC_INSD_IbEEEENSA_11use_defaultESO_EENS0_5tupleIJSF_S6_EEENSQ_IJSG_SG_EEES6_PlJS6_EEE10hipError_tPvRmT3_T4_T5_T6_T7_T9_mT8_P12ihipStream_tbDpT10_ENKUlT_T0_E_clISt17integral_constantIbLb1EES1D_EEDaS18_S19_EUlS18_E_NS1_11comp_targetILNS1_3genE8ELNS1_11target_archE1030ELNS1_3gpuE2ELNS1_3repE0EEENS1_30default_config_static_selectorELNS0_4arch9wavefront6targetE0EEEvT1_.uses_vcc, 0
	.set _ZN7rocprim17ROCPRIM_400000_NS6detail17trampoline_kernelINS0_14default_configENS1_25partition_config_selectorILNS1_17partition_subalgoE5EfNS0_10empty_typeEbEEZZNS1_14partition_implILS5_5ELb0ES3_mN6thrust23THRUST_200600_302600_NS6detail15normal_iteratorINSA_10device_ptrIfEEEEPS6_NSA_18transform_iteratorINSB_9not_fun_tI7is_trueIfEEENSC_INSD_IbEEEENSA_11use_defaultESO_EENS0_5tupleIJSF_S6_EEENSQ_IJSG_SG_EEES6_PlJS6_EEE10hipError_tPvRmT3_T4_T5_T6_T7_T9_mT8_P12ihipStream_tbDpT10_ENKUlT_T0_E_clISt17integral_constantIbLb1EES1D_EEDaS18_S19_EUlS18_E_NS1_11comp_targetILNS1_3genE8ELNS1_11target_archE1030ELNS1_3gpuE2ELNS1_3repE0EEENS1_30default_config_static_selectorELNS0_4arch9wavefront6targetE0EEEvT1_.uses_flat_scratch, 0
	.set _ZN7rocprim17ROCPRIM_400000_NS6detail17trampoline_kernelINS0_14default_configENS1_25partition_config_selectorILNS1_17partition_subalgoE5EfNS0_10empty_typeEbEEZZNS1_14partition_implILS5_5ELb0ES3_mN6thrust23THRUST_200600_302600_NS6detail15normal_iteratorINSA_10device_ptrIfEEEEPS6_NSA_18transform_iteratorINSB_9not_fun_tI7is_trueIfEEENSC_INSD_IbEEEENSA_11use_defaultESO_EENS0_5tupleIJSF_S6_EEENSQ_IJSG_SG_EEES6_PlJS6_EEE10hipError_tPvRmT3_T4_T5_T6_T7_T9_mT8_P12ihipStream_tbDpT10_ENKUlT_T0_E_clISt17integral_constantIbLb1EES1D_EEDaS18_S19_EUlS18_E_NS1_11comp_targetILNS1_3genE8ELNS1_11target_archE1030ELNS1_3gpuE2ELNS1_3repE0EEENS1_30default_config_static_selectorELNS0_4arch9wavefront6targetE0EEEvT1_.has_dyn_sized_stack, 0
	.set _ZN7rocprim17ROCPRIM_400000_NS6detail17trampoline_kernelINS0_14default_configENS1_25partition_config_selectorILNS1_17partition_subalgoE5EfNS0_10empty_typeEbEEZZNS1_14partition_implILS5_5ELb0ES3_mN6thrust23THRUST_200600_302600_NS6detail15normal_iteratorINSA_10device_ptrIfEEEEPS6_NSA_18transform_iteratorINSB_9not_fun_tI7is_trueIfEEENSC_INSD_IbEEEENSA_11use_defaultESO_EENS0_5tupleIJSF_S6_EEENSQ_IJSG_SG_EEES6_PlJS6_EEE10hipError_tPvRmT3_T4_T5_T6_T7_T9_mT8_P12ihipStream_tbDpT10_ENKUlT_T0_E_clISt17integral_constantIbLb1EES1D_EEDaS18_S19_EUlS18_E_NS1_11comp_targetILNS1_3genE8ELNS1_11target_archE1030ELNS1_3gpuE2ELNS1_3repE0EEENS1_30default_config_static_selectorELNS0_4arch9wavefront6targetE0EEEvT1_.has_recursion, 0
	.set _ZN7rocprim17ROCPRIM_400000_NS6detail17trampoline_kernelINS0_14default_configENS1_25partition_config_selectorILNS1_17partition_subalgoE5EfNS0_10empty_typeEbEEZZNS1_14partition_implILS5_5ELb0ES3_mN6thrust23THRUST_200600_302600_NS6detail15normal_iteratorINSA_10device_ptrIfEEEEPS6_NSA_18transform_iteratorINSB_9not_fun_tI7is_trueIfEEENSC_INSD_IbEEEENSA_11use_defaultESO_EENS0_5tupleIJSF_S6_EEENSQ_IJSG_SG_EEES6_PlJS6_EEE10hipError_tPvRmT3_T4_T5_T6_T7_T9_mT8_P12ihipStream_tbDpT10_ENKUlT_T0_E_clISt17integral_constantIbLb1EES1D_EEDaS18_S19_EUlS18_E_NS1_11comp_targetILNS1_3genE8ELNS1_11target_archE1030ELNS1_3gpuE2ELNS1_3repE0EEENS1_30default_config_static_selectorELNS0_4arch9wavefront6targetE0EEEvT1_.has_indirect_call, 0
	.section	.AMDGPU.csdata,"",@progbits
; Kernel info:
; codeLenInByte = 0
; TotalNumSgprs: 0
; NumVgprs: 0
; ScratchSize: 0
; MemoryBound: 0
; FloatMode: 240
; IeeeMode: 1
; LDSByteSize: 0 bytes/workgroup (compile time only)
; SGPRBlocks: 0
; VGPRBlocks: 0
; NumSGPRsForWavesPerEU: 1
; NumVGPRsForWavesPerEU: 1
; Occupancy: 16
; WaveLimiterHint : 0
; COMPUTE_PGM_RSRC2:SCRATCH_EN: 0
; COMPUTE_PGM_RSRC2:USER_SGPR: 2
; COMPUTE_PGM_RSRC2:TRAP_HANDLER: 0
; COMPUTE_PGM_RSRC2:TGID_X_EN: 1
; COMPUTE_PGM_RSRC2:TGID_Y_EN: 0
; COMPUTE_PGM_RSRC2:TGID_Z_EN: 0
; COMPUTE_PGM_RSRC2:TIDIG_COMP_CNT: 0
	.section	.text._ZN7rocprim17ROCPRIM_400000_NS6detail17trampoline_kernelINS0_14default_configENS1_25partition_config_selectorILNS1_17partition_subalgoE5EfNS0_10empty_typeEbEEZZNS1_14partition_implILS5_5ELb0ES3_mN6thrust23THRUST_200600_302600_NS6detail15normal_iteratorINSA_10device_ptrIfEEEEPS6_NSA_18transform_iteratorINSB_9not_fun_tI7is_trueIfEEENSC_INSD_IbEEEENSA_11use_defaultESO_EENS0_5tupleIJSF_S6_EEENSQ_IJSG_SG_EEES6_PlJS6_EEE10hipError_tPvRmT3_T4_T5_T6_T7_T9_mT8_P12ihipStream_tbDpT10_ENKUlT_T0_E_clISt17integral_constantIbLb1EES1C_IbLb0EEEEDaS18_S19_EUlS18_E_NS1_11comp_targetILNS1_3genE0ELNS1_11target_archE4294967295ELNS1_3gpuE0ELNS1_3repE0EEENS1_30default_config_static_selectorELNS0_4arch9wavefront6targetE0EEEvT1_,"axG",@progbits,_ZN7rocprim17ROCPRIM_400000_NS6detail17trampoline_kernelINS0_14default_configENS1_25partition_config_selectorILNS1_17partition_subalgoE5EfNS0_10empty_typeEbEEZZNS1_14partition_implILS5_5ELb0ES3_mN6thrust23THRUST_200600_302600_NS6detail15normal_iteratorINSA_10device_ptrIfEEEEPS6_NSA_18transform_iteratorINSB_9not_fun_tI7is_trueIfEEENSC_INSD_IbEEEENSA_11use_defaultESO_EENS0_5tupleIJSF_S6_EEENSQ_IJSG_SG_EEES6_PlJS6_EEE10hipError_tPvRmT3_T4_T5_T6_T7_T9_mT8_P12ihipStream_tbDpT10_ENKUlT_T0_E_clISt17integral_constantIbLb1EES1C_IbLb0EEEEDaS18_S19_EUlS18_E_NS1_11comp_targetILNS1_3genE0ELNS1_11target_archE4294967295ELNS1_3gpuE0ELNS1_3repE0EEENS1_30default_config_static_selectorELNS0_4arch9wavefront6targetE0EEEvT1_,comdat
	.protected	_ZN7rocprim17ROCPRIM_400000_NS6detail17trampoline_kernelINS0_14default_configENS1_25partition_config_selectorILNS1_17partition_subalgoE5EfNS0_10empty_typeEbEEZZNS1_14partition_implILS5_5ELb0ES3_mN6thrust23THRUST_200600_302600_NS6detail15normal_iteratorINSA_10device_ptrIfEEEEPS6_NSA_18transform_iteratorINSB_9not_fun_tI7is_trueIfEEENSC_INSD_IbEEEENSA_11use_defaultESO_EENS0_5tupleIJSF_S6_EEENSQ_IJSG_SG_EEES6_PlJS6_EEE10hipError_tPvRmT3_T4_T5_T6_T7_T9_mT8_P12ihipStream_tbDpT10_ENKUlT_T0_E_clISt17integral_constantIbLb1EES1C_IbLb0EEEEDaS18_S19_EUlS18_E_NS1_11comp_targetILNS1_3genE0ELNS1_11target_archE4294967295ELNS1_3gpuE0ELNS1_3repE0EEENS1_30default_config_static_selectorELNS0_4arch9wavefront6targetE0EEEvT1_ ; -- Begin function _ZN7rocprim17ROCPRIM_400000_NS6detail17trampoline_kernelINS0_14default_configENS1_25partition_config_selectorILNS1_17partition_subalgoE5EfNS0_10empty_typeEbEEZZNS1_14partition_implILS5_5ELb0ES3_mN6thrust23THRUST_200600_302600_NS6detail15normal_iteratorINSA_10device_ptrIfEEEEPS6_NSA_18transform_iteratorINSB_9not_fun_tI7is_trueIfEEENSC_INSD_IbEEEENSA_11use_defaultESO_EENS0_5tupleIJSF_S6_EEENSQ_IJSG_SG_EEES6_PlJS6_EEE10hipError_tPvRmT3_T4_T5_T6_T7_T9_mT8_P12ihipStream_tbDpT10_ENKUlT_T0_E_clISt17integral_constantIbLb1EES1C_IbLb0EEEEDaS18_S19_EUlS18_E_NS1_11comp_targetILNS1_3genE0ELNS1_11target_archE4294967295ELNS1_3gpuE0ELNS1_3repE0EEENS1_30default_config_static_selectorELNS0_4arch9wavefront6targetE0EEEvT1_
	.globl	_ZN7rocprim17ROCPRIM_400000_NS6detail17trampoline_kernelINS0_14default_configENS1_25partition_config_selectorILNS1_17partition_subalgoE5EfNS0_10empty_typeEbEEZZNS1_14partition_implILS5_5ELb0ES3_mN6thrust23THRUST_200600_302600_NS6detail15normal_iteratorINSA_10device_ptrIfEEEEPS6_NSA_18transform_iteratorINSB_9not_fun_tI7is_trueIfEEENSC_INSD_IbEEEENSA_11use_defaultESO_EENS0_5tupleIJSF_S6_EEENSQ_IJSG_SG_EEES6_PlJS6_EEE10hipError_tPvRmT3_T4_T5_T6_T7_T9_mT8_P12ihipStream_tbDpT10_ENKUlT_T0_E_clISt17integral_constantIbLb1EES1C_IbLb0EEEEDaS18_S19_EUlS18_E_NS1_11comp_targetILNS1_3genE0ELNS1_11target_archE4294967295ELNS1_3gpuE0ELNS1_3repE0EEENS1_30default_config_static_selectorELNS0_4arch9wavefront6targetE0EEEvT1_
	.p2align	8
	.type	_ZN7rocprim17ROCPRIM_400000_NS6detail17trampoline_kernelINS0_14default_configENS1_25partition_config_selectorILNS1_17partition_subalgoE5EfNS0_10empty_typeEbEEZZNS1_14partition_implILS5_5ELb0ES3_mN6thrust23THRUST_200600_302600_NS6detail15normal_iteratorINSA_10device_ptrIfEEEEPS6_NSA_18transform_iteratorINSB_9not_fun_tI7is_trueIfEEENSC_INSD_IbEEEENSA_11use_defaultESO_EENS0_5tupleIJSF_S6_EEENSQ_IJSG_SG_EEES6_PlJS6_EEE10hipError_tPvRmT3_T4_T5_T6_T7_T9_mT8_P12ihipStream_tbDpT10_ENKUlT_T0_E_clISt17integral_constantIbLb1EES1C_IbLb0EEEEDaS18_S19_EUlS18_E_NS1_11comp_targetILNS1_3genE0ELNS1_11target_archE4294967295ELNS1_3gpuE0ELNS1_3repE0EEENS1_30default_config_static_selectorELNS0_4arch9wavefront6targetE0EEEvT1_,@function
_ZN7rocprim17ROCPRIM_400000_NS6detail17trampoline_kernelINS0_14default_configENS1_25partition_config_selectorILNS1_17partition_subalgoE5EfNS0_10empty_typeEbEEZZNS1_14partition_implILS5_5ELb0ES3_mN6thrust23THRUST_200600_302600_NS6detail15normal_iteratorINSA_10device_ptrIfEEEEPS6_NSA_18transform_iteratorINSB_9not_fun_tI7is_trueIfEEENSC_INSD_IbEEEENSA_11use_defaultESO_EENS0_5tupleIJSF_S6_EEENSQ_IJSG_SG_EEES6_PlJS6_EEE10hipError_tPvRmT3_T4_T5_T6_T7_T9_mT8_P12ihipStream_tbDpT10_ENKUlT_T0_E_clISt17integral_constantIbLb1EES1C_IbLb0EEEEDaS18_S19_EUlS18_E_NS1_11comp_targetILNS1_3genE0ELNS1_11target_archE4294967295ELNS1_3gpuE0ELNS1_3repE0EEENS1_30default_config_static_selectorELNS0_4arch9wavefront6targetE0EEEvT1_: ; @_ZN7rocprim17ROCPRIM_400000_NS6detail17trampoline_kernelINS0_14default_configENS1_25partition_config_selectorILNS1_17partition_subalgoE5EfNS0_10empty_typeEbEEZZNS1_14partition_implILS5_5ELb0ES3_mN6thrust23THRUST_200600_302600_NS6detail15normal_iteratorINSA_10device_ptrIfEEEEPS6_NSA_18transform_iteratorINSB_9not_fun_tI7is_trueIfEEENSC_INSD_IbEEEENSA_11use_defaultESO_EENS0_5tupleIJSF_S6_EEENSQ_IJSG_SG_EEES6_PlJS6_EEE10hipError_tPvRmT3_T4_T5_T6_T7_T9_mT8_P12ihipStream_tbDpT10_ENKUlT_T0_E_clISt17integral_constantIbLb1EES1C_IbLb0EEEEDaS18_S19_EUlS18_E_NS1_11comp_targetILNS1_3genE0ELNS1_11target_archE4294967295ELNS1_3gpuE0ELNS1_3repE0EEENS1_30default_config_static_selectorELNS0_4arch9wavefront6targetE0EEEvT1_
; %bb.0:
	.section	.rodata,"a",@progbits
	.p2align	6, 0x0
	.amdhsa_kernel _ZN7rocprim17ROCPRIM_400000_NS6detail17trampoline_kernelINS0_14default_configENS1_25partition_config_selectorILNS1_17partition_subalgoE5EfNS0_10empty_typeEbEEZZNS1_14partition_implILS5_5ELb0ES3_mN6thrust23THRUST_200600_302600_NS6detail15normal_iteratorINSA_10device_ptrIfEEEEPS6_NSA_18transform_iteratorINSB_9not_fun_tI7is_trueIfEEENSC_INSD_IbEEEENSA_11use_defaultESO_EENS0_5tupleIJSF_S6_EEENSQ_IJSG_SG_EEES6_PlJS6_EEE10hipError_tPvRmT3_T4_T5_T6_T7_T9_mT8_P12ihipStream_tbDpT10_ENKUlT_T0_E_clISt17integral_constantIbLb1EES1C_IbLb0EEEEDaS18_S19_EUlS18_E_NS1_11comp_targetILNS1_3genE0ELNS1_11target_archE4294967295ELNS1_3gpuE0ELNS1_3repE0EEENS1_30default_config_static_selectorELNS0_4arch9wavefront6targetE0EEEvT1_
		.amdhsa_group_segment_fixed_size 0
		.amdhsa_private_segment_fixed_size 0
		.amdhsa_kernarg_size 120
		.amdhsa_user_sgpr_count 2
		.amdhsa_user_sgpr_dispatch_ptr 0
		.amdhsa_user_sgpr_queue_ptr 0
		.amdhsa_user_sgpr_kernarg_segment_ptr 1
		.amdhsa_user_sgpr_dispatch_id 0
		.amdhsa_user_sgpr_private_segment_size 0
		.amdhsa_wavefront_size32 1
		.amdhsa_uses_dynamic_stack 0
		.amdhsa_enable_private_segment 0
		.amdhsa_system_sgpr_workgroup_id_x 1
		.amdhsa_system_sgpr_workgroup_id_y 0
		.amdhsa_system_sgpr_workgroup_id_z 0
		.amdhsa_system_sgpr_workgroup_info 0
		.amdhsa_system_vgpr_workitem_id 0
		.amdhsa_next_free_vgpr 1
		.amdhsa_next_free_sgpr 1
		.amdhsa_reserve_vcc 0
		.amdhsa_float_round_mode_32 0
		.amdhsa_float_round_mode_16_64 0
		.amdhsa_float_denorm_mode_32 3
		.amdhsa_float_denorm_mode_16_64 3
		.amdhsa_fp16_overflow 0
		.amdhsa_workgroup_processor_mode 1
		.amdhsa_memory_ordered 1
		.amdhsa_forward_progress 1
		.amdhsa_inst_pref_size 0
		.amdhsa_round_robin_scheduling 0
		.amdhsa_exception_fp_ieee_invalid_op 0
		.amdhsa_exception_fp_denorm_src 0
		.amdhsa_exception_fp_ieee_div_zero 0
		.amdhsa_exception_fp_ieee_overflow 0
		.amdhsa_exception_fp_ieee_underflow 0
		.amdhsa_exception_fp_ieee_inexact 0
		.amdhsa_exception_int_div_zero 0
	.end_amdhsa_kernel
	.section	.text._ZN7rocprim17ROCPRIM_400000_NS6detail17trampoline_kernelINS0_14default_configENS1_25partition_config_selectorILNS1_17partition_subalgoE5EfNS0_10empty_typeEbEEZZNS1_14partition_implILS5_5ELb0ES3_mN6thrust23THRUST_200600_302600_NS6detail15normal_iteratorINSA_10device_ptrIfEEEEPS6_NSA_18transform_iteratorINSB_9not_fun_tI7is_trueIfEEENSC_INSD_IbEEEENSA_11use_defaultESO_EENS0_5tupleIJSF_S6_EEENSQ_IJSG_SG_EEES6_PlJS6_EEE10hipError_tPvRmT3_T4_T5_T6_T7_T9_mT8_P12ihipStream_tbDpT10_ENKUlT_T0_E_clISt17integral_constantIbLb1EES1C_IbLb0EEEEDaS18_S19_EUlS18_E_NS1_11comp_targetILNS1_3genE0ELNS1_11target_archE4294967295ELNS1_3gpuE0ELNS1_3repE0EEENS1_30default_config_static_selectorELNS0_4arch9wavefront6targetE0EEEvT1_,"axG",@progbits,_ZN7rocprim17ROCPRIM_400000_NS6detail17trampoline_kernelINS0_14default_configENS1_25partition_config_selectorILNS1_17partition_subalgoE5EfNS0_10empty_typeEbEEZZNS1_14partition_implILS5_5ELb0ES3_mN6thrust23THRUST_200600_302600_NS6detail15normal_iteratorINSA_10device_ptrIfEEEEPS6_NSA_18transform_iteratorINSB_9not_fun_tI7is_trueIfEEENSC_INSD_IbEEEENSA_11use_defaultESO_EENS0_5tupleIJSF_S6_EEENSQ_IJSG_SG_EEES6_PlJS6_EEE10hipError_tPvRmT3_T4_T5_T6_T7_T9_mT8_P12ihipStream_tbDpT10_ENKUlT_T0_E_clISt17integral_constantIbLb1EES1C_IbLb0EEEEDaS18_S19_EUlS18_E_NS1_11comp_targetILNS1_3genE0ELNS1_11target_archE4294967295ELNS1_3gpuE0ELNS1_3repE0EEENS1_30default_config_static_selectorELNS0_4arch9wavefront6targetE0EEEvT1_,comdat
.Lfunc_end2381:
	.size	_ZN7rocprim17ROCPRIM_400000_NS6detail17trampoline_kernelINS0_14default_configENS1_25partition_config_selectorILNS1_17partition_subalgoE5EfNS0_10empty_typeEbEEZZNS1_14partition_implILS5_5ELb0ES3_mN6thrust23THRUST_200600_302600_NS6detail15normal_iteratorINSA_10device_ptrIfEEEEPS6_NSA_18transform_iteratorINSB_9not_fun_tI7is_trueIfEEENSC_INSD_IbEEEENSA_11use_defaultESO_EENS0_5tupleIJSF_S6_EEENSQ_IJSG_SG_EEES6_PlJS6_EEE10hipError_tPvRmT3_T4_T5_T6_T7_T9_mT8_P12ihipStream_tbDpT10_ENKUlT_T0_E_clISt17integral_constantIbLb1EES1C_IbLb0EEEEDaS18_S19_EUlS18_E_NS1_11comp_targetILNS1_3genE0ELNS1_11target_archE4294967295ELNS1_3gpuE0ELNS1_3repE0EEENS1_30default_config_static_selectorELNS0_4arch9wavefront6targetE0EEEvT1_, .Lfunc_end2381-_ZN7rocprim17ROCPRIM_400000_NS6detail17trampoline_kernelINS0_14default_configENS1_25partition_config_selectorILNS1_17partition_subalgoE5EfNS0_10empty_typeEbEEZZNS1_14partition_implILS5_5ELb0ES3_mN6thrust23THRUST_200600_302600_NS6detail15normal_iteratorINSA_10device_ptrIfEEEEPS6_NSA_18transform_iteratorINSB_9not_fun_tI7is_trueIfEEENSC_INSD_IbEEEENSA_11use_defaultESO_EENS0_5tupleIJSF_S6_EEENSQ_IJSG_SG_EEES6_PlJS6_EEE10hipError_tPvRmT3_T4_T5_T6_T7_T9_mT8_P12ihipStream_tbDpT10_ENKUlT_T0_E_clISt17integral_constantIbLb1EES1C_IbLb0EEEEDaS18_S19_EUlS18_E_NS1_11comp_targetILNS1_3genE0ELNS1_11target_archE4294967295ELNS1_3gpuE0ELNS1_3repE0EEENS1_30default_config_static_selectorELNS0_4arch9wavefront6targetE0EEEvT1_
                                        ; -- End function
	.set _ZN7rocprim17ROCPRIM_400000_NS6detail17trampoline_kernelINS0_14default_configENS1_25partition_config_selectorILNS1_17partition_subalgoE5EfNS0_10empty_typeEbEEZZNS1_14partition_implILS5_5ELb0ES3_mN6thrust23THRUST_200600_302600_NS6detail15normal_iteratorINSA_10device_ptrIfEEEEPS6_NSA_18transform_iteratorINSB_9not_fun_tI7is_trueIfEEENSC_INSD_IbEEEENSA_11use_defaultESO_EENS0_5tupleIJSF_S6_EEENSQ_IJSG_SG_EEES6_PlJS6_EEE10hipError_tPvRmT3_T4_T5_T6_T7_T9_mT8_P12ihipStream_tbDpT10_ENKUlT_T0_E_clISt17integral_constantIbLb1EES1C_IbLb0EEEEDaS18_S19_EUlS18_E_NS1_11comp_targetILNS1_3genE0ELNS1_11target_archE4294967295ELNS1_3gpuE0ELNS1_3repE0EEENS1_30default_config_static_selectorELNS0_4arch9wavefront6targetE0EEEvT1_.num_vgpr, 0
	.set _ZN7rocprim17ROCPRIM_400000_NS6detail17trampoline_kernelINS0_14default_configENS1_25partition_config_selectorILNS1_17partition_subalgoE5EfNS0_10empty_typeEbEEZZNS1_14partition_implILS5_5ELb0ES3_mN6thrust23THRUST_200600_302600_NS6detail15normal_iteratorINSA_10device_ptrIfEEEEPS6_NSA_18transform_iteratorINSB_9not_fun_tI7is_trueIfEEENSC_INSD_IbEEEENSA_11use_defaultESO_EENS0_5tupleIJSF_S6_EEENSQ_IJSG_SG_EEES6_PlJS6_EEE10hipError_tPvRmT3_T4_T5_T6_T7_T9_mT8_P12ihipStream_tbDpT10_ENKUlT_T0_E_clISt17integral_constantIbLb1EES1C_IbLb0EEEEDaS18_S19_EUlS18_E_NS1_11comp_targetILNS1_3genE0ELNS1_11target_archE4294967295ELNS1_3gpuE0ELNS1_3repE0EEENS1_30default_config_static_selectorELNS0_4arch9wavefront6targetE0EEEvT1_.num_agpr, 0
	.set _ZN7rocprim17ROCPRIM_400000_NS6detail17trampoline_kernelINS0_14default_configENS1_25partition_config_selectorILNS1_17partition_subalgoE5EfNS0_10empty_typeEbEEZZNS1_14partition_implILS5_5ELb0ES3_mN6thrust23THRUST_200600_302600_NS6detail15normal_iteratorINSA_10device_ptrIfEEEEPS6_NSA_18transform_iteratorINSB_9not_fun_tI7is_trueIfEEENSC_INSD_IbEEEENSA_11use_defaultESO_EENS0_5tupleIJSF_S6_EEENSQ_IJSG_SG_EEES6_PlJS6_EEE10hipError_tPvRmT3_T4_T5_T6_T7_T9_mT8_P12ihipStream_tbDpT10_ENKUlT_T0_E_clISt17integral_constantIbLb1EES1C_IbLb0EEEEDaS18_S19_EUlS18_E_NS1_11comp_targetILNS1_3genE0ELNS1_11target_archE4294967295ELNS1_3gpuE0ELNS1_3repE0EEENS1_30default_config_static_selectorELNS0_4arch9wavefront6targetE0EEEvT1_.numbered_sgpr, 0
	.set _ZN7rocprim17ROCPRIM_400000_NS6detail17trampoline_kernelINS0_14default_configENS1_25partition_config_selectorILNS1_17partition_subalgoE5EfNS0_10empty_typeEbEEZZNS1_14partition_implILS5_5ELb0ES3_mN6thrust23THRUST_200600_302600_NS6detail15normal_iteratorINSA_10device_ptrIfEEEEPS6_NSA_18transform_iteratorINSB_9not_fun_tI7is_trueIfEEENSC_INSD_IbEEEENSA_11use_defaultESO_EENS0_5tupleIJSF_S6_EEENSQ_IJSG_SG_EEES6_PlJS6_EEE10hipError_tPvRmT3_T4_T5_T6_T7_T9_mT8_P12ihipStream_tbDpT10_ENKUlT_T0_E_clISt17integral_constantIbLb1EES1C_IbLb0EEEEDaS18_S19_EUlS18_E_NS1_11comp_targetILNS1_3genE0ELNS1_11target_archE4294967295ELNS1_3gpuE0ELNS1_3repE0EEENS1_30default_config_static_selectorELNS0_4arch9wavefront6targetE0EEEvT1_.num_named_barrier, 0
	.set _ZN7rocprim17ROCPRIM_400000_NS6detail17trampoline_kernelINS0_14default_configENS1_25partition_config_selectorILNS1_17partition_subalgoE5EfNS0_10empty_typeEbEEZZNS1_14partition_implILS5_5ELb0ES3_mN6thrust23THRUST_200600_302600_NS6detail15normal_iteratorINSA_10device_ptrIfEEEEPS6_NSA_18transform_iteratorINSB_9not_fun_tI7is_trueIfEEENSC_INSD_IbEEEENSA_11use_defaultESO_EENS0_5tupleIJSF_S6_EEENSQ_IJSG_SG_EEES6_PlJS6_EEE10hipError_tPvRmT3_T4_T5_T6_T7_T9_mT8_P12ihipStream_tbDpT10_ENKUlT_T0_E_clISt17integral_constantIbLb1EES1C_IbLb0EEEEDaS18_S19_EUlS18_E_NS1_11comp_targetILNS1_3genE0ELNS1_11target_archE4294967295ELNS1_3gpuE0ELNS1_3repE0EEENS1_30default_config_static_selectorELNS0_4arch9wavefront6targetE0EEEvT1_.private_seg_size, 0
	.set _ZN7rocprim17ROCPRIM_400000_NS6detail17trampoline_kernelINS0_14default_configENS1_25partition_config_selectorILNS1_17partition_subalgoE5EfNS0_10empty_typeEbEEZZNS1_14partition_implILS5_5ELb0ES3_mN6thrust23THRUST_200600_302600_NS6detail15normal_iteratorINSA_10device_ptrIfEEEEPS6_NSA_18transform_iteratorINSB_9not_fun_tI7is_trueIfEEENSC_INSD_IbEEEENSA_11use_defaultESO_EENS0_5tupleIJSF_S6_EEENSQ_IJSG_SG_EEES6_PlJS6_EEE10hipError_tPvRmT3_T4_T5_T6_T7_T9_mT8_P12ihipStream_tbDpT10_ENKUlT_T0_E_clISt17integral_constantIbLb1EES1C_IbLb0EEEEDaS18_S19_EUlS18_E_NS1_11comp_targetILNS1_3genE0ELNS1_11target_archE4294967295ELNS1_3gpuE0ELNS1_3repE0EEENS1_30default_config_static_selectorELNS0_4arch9wavefront6targetE0EEEvT1_.uses_vcc, 0
	.set _ZN7rocprim17ROCPRIM_400000_NS6detail17trampoline_kernelINS0_14default_configENS1_25partition_config_selectorILNS1_17partition_subalgoE5EfNS0_10empty_typeEbEEZZNS1_14partition_implILS5_5ELb0ES3_mN6thrust23THRUST_200600_302600_NS6detail15normal_iteratorINSA_10device_ptrIfEEEEPS6_NSA_18transform_iteratorINSB_9not_fun_tI7is_trueIfEEENSC_INSD_IbEEEENSA_11use_defaultESO_EENS0_5tupleIJSF_S6_EEENSQ_IJSG_SG_EEES6_PlJS6_EEE10hipError_tPvRmT3_T4_T5_T6_T7_T9_mT8_P12ihipStream_tbDpT10_ENKUlT_T0_E_clISt17integral_constantIbLb1EES1C_IbLb0EEEEDaS18_S19_EUlS18_E_NS1_11comp_targetILNS1_3genE0ELNS1_11target_archE4294967295ELNS1_3gpuE0ELNS1_3repE0EEENS1_30default_config_static_selectorELNS0_4arch9wavefront6targetE0EEEvT1_.uses_flat_scratch, 0
	.set _ZN7rocprim17ROCPRIM_400000_NS6detail17trampoline_kernelINS0_14default_configENS1_25partition_config_selectorILNS1_17partition_subalgoE5EfNS0_10empty_typeEbEEZZNS1_14partition_implILS5_5ELb0ES3_mN6thrust23THRUST_200600_302600_NS6detail15normal_iteratorINSA_10device_ptrIfEEEEPS6_NSA_18transform_iteratorINSB_9not_fun_tI7is_trueIfEEENSC_INSD_IbEEEENSA_11use_defaultESO_EENS0_5tupleIJSF_S6_EEENSQ_IJSG_SG_EEES6_PlJS6_EEE10hipError_tPvRmT3_T4_T5_T6_T7_T9_mT8_P12ihipStream_tbDpT10_ENKUlT_T0_E_clISt17integral_constantIbLb1EES1C_IbLb0EEEEDaS18_S19_EUlS18_E_NS1_11comp_targetILNS1_3genE0ELNS1_11target_archE4294967295ELNS1_3gpuE0ELNS1_3repE0EEENS1_30default_config_static_selectorELNS0_4arch9wavefront6targetE0EEEvT1_.has_dyn_sized_stack, 0
	.set _ZN7rocprim17ROCPRIM_400000_NS6detail17trampoline_kernelINS0_14default_configENS1_25partition_config_selectorILNS1_17partition_subalgoE5EfNS0_10empty_typeEbEEZZNS1_14partition_implILS5_5ELb0ES3_mN6thrust23THRUST_200600_302600_NS6detail15normal_iteratorINSA_10device_ptrIfEEEEPS6_NSA_18transform_iteratorINSB_9not_fun_tI7is_trueIfEEENSC_INSD_IbEEEENSA_11use_defaultESO_EENS0_5tupleIJSF_S6_EEENSQ_IJSG_SG_EEES6_PlJS6_EEE10hipError_tPvRmT3_T4_T5_T6_T7_T9_mT8_P12ihipStream_tbDpT10_ENKUlT_T0_E_clISt17integral_constantIbLb1EES1C_IbLb0EEEEDaS18_S19_EUlS18_E_NS1_11comp_targetILNS1_3genE0ELNS1_11target_archE4294967295ELNS1_3gpuE0ELNS1_3repE0EEENS1_30default_config_static_selectorELNS0_4arch9wavefront6targetE0EEEvT1_.has_recursion, 0
	.set _ZN7rocprim17ROCPRIM_400000_NS6detail17trampoline_kernelINS0_14default_configENS1_25partition_config_selectorILNS1_17partition_subalgoE5EfNS0_10empty_typeEbEEZZNS1_14partition_implILS5_5ELb0ES3_mN6thrust23THRUST_200600_302600_NS6detail15normal_iteratorINSA_10device_ptrIfEEEEPS6_NSA_18transform_iteratorINSB_9not_fun_tI7is_trueIfEEENSC_INSD_IbEEEENSA_11use_defaultESO_EENS0_5tupleIJSF_S6_EEENSQ_IJSG_SG_EEES6_PlJS6_EEE10hipError_tPvRmT3_T4_T5_T6_T7_T9_mT8_P12ihipStream_tbDpT10_ENKUlT_T0_E_clISt17integral_constantIbLb1EES1C_IbLb0EEEEDaS18_S19_EUlS18_E_NS1_11comp_targetILNS1_3genE0ELNS1_11target_archE4294967295ELNS1_3gpuE0ELNS1_3repE0EEENS1_30default_config_static_selectorELNS0_4arch9wavefront6targetE0EEEvT1_.has_indirect_call, 0
	.section	.AMDGPU.csdata,"",@progbits
; Kernel info:
; codeLenInByte = 0
; TotalNumSgprs: 0
; NumVgprs: 0
; ScratchSize: 0
; MemoryBound: 0
; FloatMode: 240
; IeeeMode: 1
; LDSByteSize: 0 bytes/workgroup (compile time only)
; SGPRBlocks: 0
; VGPRBlocks: 0
; NumSGPRsForWavesPerEU: 1
; NumVGPRsForWavesPerEU: 1
; Occupancy: 16
; WaveLimiterHint : 0
; COMPUTE_PGM_RSRC2:SCRATCH_EN: 0
; COMPUTE_PGM_RSRC2:USER_SGPR: 2
; COMPUTE_PGM_RSRC2:TRAP_HANDLER: 0
; COMPUTE_PGM_RSRC2:TGID_X_EN: 1
; COMPUTE_PGM_RSRC2:TGID_Y_EN: 0
; COMPUTE_PGM_RSRC2:TGID_Z_EN: 0
; COMPUTE_PGM_RSRC2:TIDIG_COMP_CNT: 0
	.section	.text._ZN7rocprim17ROCPRIM_400000_NS6detail17trampoline_kernelINS0_14default_configENS1_25partition_config_selectorILNS1_17partition_subalgoE5EfNS0_10empty_typeEbEEZZNS1_14partition_implILS5_5ELb0ES3_mN6thrust23THRUST_200600_302600_NS6detail15normal_iteratorINSA_10device_ptrIfEEEEPS6_NSA_18transform_iteratorINSB_9not_fun_tI7is_trueIfEEENSC_INSD_IbEEEENSA_11use_defaultESO_EENS0_5tupleIJSF_S6_EEENSQ_IJSG_SG_EEES6_PlJS6_EEE10hipError_tPvRmT3_T4_T5_T6_T7_T9_mT8_P12ihipStream_tbDpT10_ENKUlT_T0_E_clISt17integral_constantIbLb1EES1C_IbLb0EEEEDaS18_S19_EUlS18_E_NS1_11comp_targetILNS1_3genE5ELNS1_11target_archE942ELNS1_3gpuE9ELNS1_3repE0EEENS1_30default_config_static_selectorELNS0_4arch9wavefront6targetE0EEEvT1_,"axG",@progbits,_ZN7rocprim17ROCPRIM_400000_NS6detail17trampoline_kernelINS0_14default_configENS1_25partition_config_selectorILNS1_17partition_subalgoE5EfNS0_10empty_typeEbEEZZNS1_14partition_implILS5_5ELb0ES3_mN6thrust23THRUST_200600_302600_NS6detail15normal_iteratorINSA_10device_ptrIfEEEEPS6_NSA_18transform_iteratorINSB_9not_fun_tI7is_trueIfEEENSC_INSD_IbEEEENSA_11use_defaultESO_EENS0_5tupleIJSF_S6_EEENSQ_IJSG_SG_EEES6_PlJS6_EEE10hipError_tPvRmT3_T4_T5_T6_T7_T9_mT8_P12ihipStream_tbDpT10_ENKUlT_T0_E_clISt17integral_constantIbLb1EES1C_IbLb0EEEEDaS18_S19_EUlS18_E_NS1_11comp_targetILNS1_3genE5ELNS1_11target_archE942ELNS1_3gpuE9ELNS1_3repE0EEENS1_30default_config_static_selectorELNS0_4arch9wavefront6targetE0EEEvT1_,comdat
	.protected	_ZN7rocprim17ROCPRIM_400000_NS6detail17trampoline_kernelINS0_14default_configENS1_25partition_config_selectorILNS1_17partition_subalgoE5EfNS0_10empty_typeEbEEZZNS1_14partition_implILS5_5ELb0ES3_mN6thrust23THRUST_200600_302600_NS6detail15normal_iteratorINSA_10device_ptrIfEEEEPS6_NSA_18transform_iteratorINSB_9not_fun_tI7is_trueIfEEENSC_INSD_IbEEEENSA_11use_defaultESO_EENS0_5tupleIJSF_S6_EEENSQ_IJSG_SG_EEES6_PlJS6_EEE10hipError_tPvRmT3_T4_T5_T6_T7_T9_mT8_P12ihipStream_tbDpT10_ENKUlT_T0_E_clISt17integral_constantIbLb1EES1C_IbLb0EEEEDaS18_S19_EUlS18_E_NS1_11comp_targetILNS1_3genE5ELNS1_11target_archE942ELNS1_3gpuE9ELNS1_3repE0EEENS1_30default_config_static_selectorELNS0_4arch9wavefront6targetE0EEEvT1_ ; -- Begin function _ZN7rocprim17ROCPRIM_400000_NS6detail17trampoline_kernelINS0_14default_configENS1_25partition_config_selectorILNS1_17partition_subalgoE5EfNS0_10empty_typeEbEEZZNS1_14partition_implILS5_5ELb0ES3_mN6thrust23THRUST_200600_302600_NS6detail15normal_iteratorINSA_10device_ptrIfEEEEPS6_NSA_18transform_iteratorINSB_9not_fun_tI7is_trueIfEEENSC_INSD_IbEEEENSA_11use_defaultESO_EENS0_5tupleIJSF_S6_EEENSQ_IJSG_SG_EEES6_PlJS6_EEE10hipError_tPvRmT3_T4_T5_T6_T7_T9_mT8_P12ihipStream_tbDpT10_ENKUlT_T0_E_clISt17integral_constantIbLb1EES1C_IbLb0EEEEDaS18_S19_EUlS18_E_NS1_11comp_targetILNS1_3genE5ELNS1_11target_archE942ELNS1_3gpuE9ELNS1_3repE0EEENS1_30default_config_static_selectorELNS0_4arch9wavefront6targetE0EEEvT1_
	.globl	_ZN7rocprim17ROCPRIM_400000_NS6detail17trampoline_kernelINS0_14default_configENS1_25partition_config_selectorILNS1_17partition_subalgoE5EfNS0_10empty_typeEbEEZZNS1_14partition_implILS5_5ELb0ES3_mN6thrust23THRUST_200600_302600_NS6detail15normal_iteratorINSA_10device_ptrIfEEEEPS6_NSA_18transform_iteratorINSB_9not_fun_tI7is_trueIfEEENSC_INSD_IbEEEENSA_11use_defaultESO_EENS0_5tupleIJSF_S6_EEENSQ_IJSG_SG_EEES6_PlJS6_EEE10hipError_tPvRmT3_T4_T5_T6_T7_T9_mT8_P12ihipStream_tbDpT10_ENKUlT_T0_E_clISt17integral_constantIbLb1EES1C_IbLb0EEEEDaS18_S19_EUlS18_E_NS1_11comp_targetILNS1_3genE5ELNS1_11target_archE942ELNS1_3gpuE9ELNS1_3repE0EEENS1_30default_config_static_selectorELNS0_4arch9wavefront6targetE0EEEvT1_
	.p2align	8
	.type	_ZN7rocprim17ROCPRIM_400000_NS6detail17trampoline_kernelINS0_14default_configENS1_25partition_config_selectorILNS1_17partition_subalgoE5EfNS0_10empty_typeEbEEZZNS1_14partition_implILS5_5ELb0ES3_mN6thrust23THRUST_200600_302600_NS6detail15normal_iteratorINSA_10device_ptrIfEEEEPS6_NSA_18transform_iteratorINSB_9not_fun_tI7is_trueIfEEENSC_INSD_IbEEEENSA_11use_defaultESO_EENS0_5tupleIJSF_S6_EEENSQ_IJSG_SG_EEES6_PlJS6_EEE10hipError_tPvRmT3_T4_T5_T6_T7_T9_mT8_P12ihipStream_tbDpT10_ENKUlT_T0_E_clISt17integral_constantIbLb1EES1C_IbLb0EEEEDaS18_S19_EUlS18_E_NS1_11comp_targetILNS1_3genE5ELNS1_11target_archE942ELNS1_3gpuE9ELNS1_3repE0EEENS1_30default_config_static_selectorELNS0_4arch9wavefront6targetE0EEEvT1_,@function
_ZN7rocprim17ROCPRIM_400000_NS6detail17trampoline_kernelINS0_14default_configENS1_25partition_config_selectorILNS1_17partition_subalgoE5EfNS0_10empty_typeEbEEZZNS1_14partition_implILS5_5ELb0ES3_mN6thrust23THRUST_200600_302600_NS6detail15normal_iteratorINSA_10device_ptrIfEEEEPS6_NSA_18transform_iteratorINSB_9not_fun_tI7is_trueIfEEENSC_INSD_IbEEEENSA_11use_defaultESO_EENS0_5tupleIJSF_S6_EEENSQ_IJSG_SG_EEES6_PlJS6_EEE10hipError_tPvRmT3_T4_T5_T6_T7_T9_mT8_P12ihipStream_tbDpT10_ENKUlT_T0_E_clISt17integral_constantIbLb1EES1C_IbLb0EEEEDaS18_S19_EUlS18_E_NS1_11comp_targetILNS1_3genE5ELNS1_11target_archE942ELNS1_3gpuE9ELNS1_3repE0EEENS1_30default_config_static_selectorELNS0_4arch9wavefront6targetE0EEEvT1_: ; @_ZN7rocprim17ROCPRIM_400000_NS6detail17trampoline_kernelINS0_14default_configENS1_25partition_config_selectorILNS1_17partition_subalgoE5EfNS0_10empty_typeEbEEZZNS1_14partition_implILS5_5ELb0ES3_mN6thrust23THRUST_200600_302600_NS6detail15normal_iteratorINSA_10device_ptrIfEEEEPS6_NSA_18transform_iteratorINSB_9not_fun_tI7is_trueIfEEENSC_INSD_IbEEEENSA_11use_defaultESO_EENS0_5tupleIJSF_S6_EEENSQ_IJSG_SG_EEES6_PlJS6_EEE10hipError_tPvRmT3_T4_T5_T6_T7_T9_mT8_P12ihipStream_tbDpT10_ENKUlT_T0_E_clISt17integral_constantIbLb1EES1C_IbLb0EEEEDaS18_S19_EUlS18_E_NS1_11comp_targetILNS1_3genE5ELNS1_11target_archE942ELNS1_3gpuE9ELNS1_3repE0EEENS1_30default_config_static_selectorELNS0_4arch9wavefront6targetE0EEEvT1_
; %bb.0:
	.section	.rodata,"a",@progbits
	.p2align	6, 0x0
	.amdhsa_kernel _ZN7rocprim17ROCPRIM_400000_NS6detail17trampoline_kernelINS0_14default_configENS1_25partition_config_selectorILNS1_17partition_subalgoE5EfNS0_10empty_typeEbEEZZNS1_14partition_implILS5_5ELb0ES3_mN6thrust23THRUST_200600_302600_NS6detail15normal_iteratorINSA_10device_ptrIfEEEEPS6_NSA_18transform_iteratorINSB_9not_fun_tI7is_trueIfEEENSC_INSD_IbEEEENSA_11use_defaultESO_EENS0_5tupleIJSF_S6_EEENSQ_IJSG_SG_EEES6_PlJS6_EEE10hipError_tPvRmT3_T4_T5_T6_T7_T9_mT8_P12ihipStream_tbDpT10_ENKUlT_T0_E_clISt17integral_constantIbLb1EES1C_IbLb0EEEEDaS18_S19_EUlS18_E_NS1_11comp_targetILNS1_3genE5ELNS1_11target_archE942ELNS1_3gpuE9ELNS1_3repE0EEENS1_30default_config_static_selectorELNS0_4arch9wavefront6targetE0EEEvT1_
		.amdhsa_group_segment_fixed_size 0
		.amdhsa_private_segment_fixed_size 0
		.amdhsa_kernarg_size 120
		.amdhsa_user_sgpr_count 2
		.amdhsa_user_sgpr_dispatch_ptr 0
		.amdhsa_user_sgpr_queue_ptr 0
		.amdhsa_user_sgpr_kernarg_segment_ptr 1
		.amdhsa_user_sgpr_dispatch_id 0
		.amdhsa_user_sgpr_private_segment_size 0
		.amdhsa_wavefront_size32 1
		.amdhsa_uses_dynamic_stack 0
		.amdhsa_enable_private_segment 0
		.amdhsa_system_sgpr_workgroup_id_x 1
		.amdhsa_system_sgpr_workgroup_id_y 0
		.amdhsa_system_sgpr_workgroup_id_z 0
		.amdhsa_system_sgpr_workgroup_info 0
		.amdhsa_system_vgpr_workitem_id 0
		.amdhsa_next_free_vgpr 1
		.amdhsa_next_free_sgpr 1
		.amdhsa_reserve_vcc 0
		.amdhsa_float_round_mode_32 0
		.amdhsa_float_round_mode_16_64 0
		.amdhsa_float_denorm_mode_32 3
		.amdhsa_float_denorm_mode_16_64 3
		.amdhsa_fp16_overflow 0
		.amdhsa_workgroup_processor_mode 1
		.amdhsa_memory_ordered 1
		.amdhsa_forward_progress 1
		.amdhsa_inst_pref_size 0
		.amdhsa_round_robin_scheduling 0
		.amdhsa_exception_fp_ieee_invalid_op 0
		.amdhsa_exception_fp_denorm_src 0
		.amdhsa_exception_fp_ieee_div_zero 0
		.amdhsa_exception_fp_ieee_overflow 0
		.amdhsa_exception_fp_ieee_underflow 0
		.amdhsa_exception_fp_ieee_inexact 0
		.amdhsa_exception_int_div_zero 0
	.end_amdhsa_kernel
	.section	.text._ZN7rocprim17ROCPRIM_400000_NS6detail17trampoline_kernelINS0_14default_configENS1_25partition_config_selectorILNS1_17partition_subalgoE5EfNS0_10empty_typeEbEEZZNS1_14partition_implILS5_5ELb0ES3_mN6thrust23THRUST_200600_302600_NS6detail15normal_iteratorINSA_10device_ptrIfEEEEPS6_NSA_18transform_iteratorINSB_9not_fun_tI7is_trueIfEEENSC_INSD_IbEEEENSA_11use_defaultESO_EENS0_5tupleIJSF_S6_EEENSQ_IJSG_SG_EEES6_PlJS6_EEE10hipError_tPvRmT3_T4_T5_T6_T7_T9_mT8_P12ihipStream_tbDpT10_ENKUlT_T0_E_clISt17integral_constantIbLb1EES1C_IbLb0EEEEDaS18_S19_EUlS18_E_NS1_11comp_targetILNS1_3genE5ELNS1_11target_archE942ELNS1_3gpuE9ELNS1_3repE0EEENS1_30default_config_static_selectorELNS0_4arch9wavefront6targetE0EEEvT1_,"axG",@progbits,_ZN7rocprim17ROCPRIM_400000_NS6detail17trampoline_kernelINS0_14default_configENS1_25partition_config_selectorILNS1_17partition_subalgoE5EfNS0_10empty_typeEbEEZZNS1_14partition_implILS5_5ELb0ES3_mN6thrust23THRUST_200600_302600_NS6detail15normal_iteratorINSA_10device_ptrIfEEEEPS6_NSA_18transform_iteratorINSB_9not_fun_tI7is_trueIfEEENSC_INSD_IbEEEENSA_11use_defaultESO_EENS0_5tupleIJSF_S6_EEENSQ_IJSG_SG_EEES6_PlJS6_EEE10hipError_tPvRmT3_T4_T5_T6_T7_T9_mT8_P12ihipStream_tbDpT10_ENKUlT_T0_E_clISt17integral_constantIbLb1EES1C_IbLb0EEEEDaS18_S19_EUlS18_E_NS1_11comp_targetILNS1_3genE5ELNS1_11target_archE942ELNS1_3gpuE9ELNS1_3repE0EEENS1_30default_config_static_selectorELNS0_4arch9wavefront6targetE0EEEvT1_,comdat
.Lfunc_end2382:
	.size	_ZN7rocprim17ROCPRIM_400000_NS6detail17trampoline_kernelINS0_14default_configENS1_25partition_config_selectorILNS1_17partition_subalgoE5EfNS0_10empty_typeEbEEZZNS1_14partition_implILS5_5ELb0ES3_mN6thrust23THRUST_200600_302600_NS6detail15normal_iteratorINSA_10device_ptrIfEEEEPS6_NSA_18transform_iteratorINSB_9not_fun_tI7is_trueIfEEENSC_INSD_IbEEEENSA_11use_defaultESO_EENS0_5tupleIJSF_S6_EEENSQ_IJSG_SG_EEES6_PlJS6_EEE10hipError_tPvRmT3_T4_T5_T6_T7_T9_mT8_P12ihipStream_tbDpT10_ENKUlT_T0_E_clISt17integral_constantIbLb1EES1C_IbLb0EEEEDaS18_S19_EUlS18_E_NS1_11comp_targetILNS1_3genE5ELNS1_11target_archE942ELNS1_3gpuE9ELNS1_3repE0EEENS1_30default_config_static_selectorELNS0_4arch9wavefront6targetE0EEEvT1_, .Lfunc_end2382-_ZN7rocprim17ROCPRIM_400000_NS6detail17trampoline_kernelINS0_14default_configENS1_25partition_config_selectorILNS1_17partition_subalgoE5EfNS0_10empty_typeEbEEZZNS1_14partition_implILS5_5ELb0ES3_mN6thrust23THRUST_200600_302600_NS6detail15normal_iteratorINSA_10device_ptrIfEEEEPS6_NSA_18transform_iteratorINSB_9not_fun_tI7is_trueIfEEENSC_INSD_IbEEEENSA_11use_defaultESO_EENS0_5tupleIJSF_S6_EEENSQ_IJSG_SG_EEES6_PlJS6_EEE10hipError_tPvRmT3_T4_T5_T6_T7_T9_mT8_P12ihipStream_tbDpT10_ENKUlT_T0_E_clISt17integral_constantIbLb1EES1C_IbLb0EEEEDaS18_S19_EUlS18_E_NS1_11comp_targetILNS1_3genE5ELNS1_11target_archE942ELNS1_3gpuE9ELNS1_3repE0EEENS1_30default_config_static_selectorELNS0_4arch9wavefront6targetE0EEEvT1_
                                        ; -- End function
	.set _ZN7rocprim17ROCPRIM_400000_NS6detail17trampoline_kernelINS0_14default_configENS1_25partition_config_selectorILNS1_17partition_subalgoE5EfNS0_10empty_typeEbEEZZNS1_14partition_implILS5_5ELb0ES3_mN6thrust23THRUST_200600_302600_NS6detail15normal_iteratorINSA_10device_ptrIfEEEEPS6_NSA_18transform_iteratorINSB_9not_fun_tI7is_trueIfEEENSC_INSD_IbEEEENSA_11use_defaultESO_EENS0_5tupleIJSF_S6_EEENSQ_IJSG_SG_EEES6_PlJS6_EEE10hipError_tPvRmT3_T4_T5_T6_T7_T9_mT8_P12ihipStream_tbDpT10_ENKUlT_T0_E_clISt17integral_constantIbLb1EES1C_IbLb0EEEEDaS18_S19_EUlS18_E_NS1_11comp_targetILNS1_3genE5ELNS1_11target_archE942ELNS1_3gpuE9ELNS1_3repE0EEENS1_30default_config_static_selectorELNS0_4arch9wavefront6targetE0EEEvT1_.num_vgpr, 0
	.set _ZN7rocprim17ROCPRIM_400000_NS6detail17trampoline_kernelINS0_14default_configENS1_25partition_config_selectorILNS1_17partition_subalgoE5EfNS0_10empty_typeEbEEZZNS1_14partition_implILS5_5ELb0ES3_mN6thrust23THRUST_200600_302600_NS6detail15normal_iteratorINSA_10device_ptrIfEEEEPS6_NSA_18transform_iteratorINSB_9not_fun_tI7is_trueIfEEENSC_INSD_IbEEEENSA_11use_defaultESO_EENS0_5tupleIJSF_S6_EEENSQ_IJSG_SG_EEES6_PlJS6_EEE10hipError_tPvRmT3_T4_T5_T6_T7_T9_mT8_P12ihipStream_tbDpT10_ENKUlT_T0_E_clISt17integral_constantIbLb1EES1C_IbLb0EEEEDaS18_S19_EUlS18_E_NS1_11comp_targetILNS1_3genE5ELNS1_11target_archE942ELNS1_3gpuE9ELNS1_3repE0EEENS1_30default_config_static_selectorELNS0_4arch9wavefront6targetE0EEEvT1_.num_agpr, 0
	.set _ZN7rocprim17ROCPRIM_400000_NS6detail17trampoline_kernelINS0_14default_configENS1_25partition_config_selectorILNS1_17partition_subalgoE5EfNS0_10empty_typeEbEEZZNS1_14partition_implILS5_5ELb0ES3_mN6thrust23THRUST_200600_302600_NS6detail15normal_iteratorINSA_10device_ptrIfEEEEPS6_NSA_18transform_iteratorINSB_9not_fun_tI7is_trueIfEEENSC_INSD_IbEEEENSA_11use_defaultESO_EENS0_5tupleIJSF_S6_EEENSQ_IJSG_SG_EEES6_PlJS6_EEE10hipError_tPvRmT3_T4_T5_T6_T7_T9_mT8_P12ihipStream_tbDpT10_ENKUlT_T0_E_clISt17integral_constantIbLb1EES1C_IbLb0EEEEDaS18_S19_EUlS18_E_NS1_11comp_targetILNS1_3genE5ELNS1_11target_archE942ELNS1_3gpuE9ELNS1_3repE0EEENS1_30default_config_static_selectorELNS0_4arch9wavefront6targetE0EEEvT1_.numbered_sgpr, 0
	.set _ZN7rocprim17ROCPRIM_400000_NS6detail17trampoline_kernelINS0_14default_configENS1_25partition_config_selectorILNS1_17partition_subalgoE5EfNS0_10empty_typeEbEEZZNS1_14partition_implILS5_5ELb0ES3_mN6thrust23THRUST_200600_302600_NS6detail15normal_iteratorINSA_10device_ptrIfEEEEPS6_NSA_18transform_iteratorINSB_9not_fun_tI7is_trueIfEEENSC_INSD_IbEEEENSA_11use_defaultESO_EENS0_5tupleIJSF_S6_EEENSQ_IJSG_SG_EEES6_PlJS6_EEE10hipError_tPvRmT3_T4_T5_T6_T7_T9_mT8_P12ihipStream_tbDpT10_ENKUlT_T0_E_clISt17integral_constantIbLb1EES1C_IbLb0EEEEDaS18_S19_EUlS18_E_NS1_11comp_targetILNS1_3genE5ELNS1_11target_archE942ELNS1_3gpuE9ELNS1_3repE0EEENS1_30default_config_static_selectorELNS0_4arch9wavefront6targetE0EEEvT1_.num_named_barrier, 0
	.set _ZN7rocprim17ROCPRIM_400000_NS6detail17trampoline_kernelINS0_14default_configENS1_25partition_config_selectorILNS1_17partition_subalgoE5EfNS0_10empty_typeEbEEZZNS1_14partition_implILS5_5ELb0ES3_mN6thrust23THRUST_200600_302600_NS6detail15normal_iteratorINSA_10device_ptrIfEEEEPS6_NSA_18transform_iteratorINSB_9not_fun_tI7is_trueIfEEENSC_INSD_IbEEEENSA_11use_defaultESO_EENS0_5tupleIJSF_S6_EEENSQ_IJSG_SG_EEES6_PlJS6_EEE10hipError_tPvRmT3_T4_T5_T6_T7_T9_mT8_P12ihipStream_tbDpT10_ENKUlT_T0_E_clISt17integral_constantIbLb1EES1C_IbLb0EEEEDaS18_S19_EUlS18_E_NS1_11comp_targetILNS1_3genE5ELNS1_11target_archE942ELNS1_3gpuE9ELNS1_3repE0EEENS1_30default_config_static_selectorELNS0_4arch9wavefront6targetE0EEEvT1_.private_seg_size, 0
	.set _ZN7rocprim17ROCPRIM_400000_NS6detail17trampoline_kernelINS0_14default_configENS1_25partition_config_selectorILNS1_17partition_subalgoE5EfNS0_10empty_typeEbEEZZNS1_14partition_implILS5_5ELb0ES3_mN6thrust23THRUST_200600_302600_NS6detail15normal_iteratorINSA_10device_ptrIfEEEEPS6_NSA_18transform_iteratorINSB_9not_fun_tI7is_trueIfEEENSC_INSD_IbEEEENSA_11use_defaultESO_EENS0_5tupleIJSF_S6_EEENSQ_IJSG_SG_EEES6_PlJS6_EEE10hipError_tPvRmT3_T4_T5_T6_T7_T9_mT8_P12ihipStream_tbDpT10_ENKUlT_T0_E_clISt17integral_constantIbLb1EES1C_IbLb0EEEEDaS18_S19_EUlS18_E_NS1_11comp_targetILNS1_3genE5ELNS1_11target_archE942ELNS1_3gpuE9ELNS1_3repE0EEENS1_30default_config_static_selectorELNS0_4arch9wavefront6targetE0EEEvT1_.uses_vcc, 0
	.set _ZN7rocprim17ROCPRIM_400000_NS6detail17trampoline_kernelINS0_14default_configENS1_25partition_config_selectorILNS1_17partition_subalgoE5EfNS0_10empty_typeEbEEZZNS1_14partition_implILS5_5ELb0ES3_mN6thrust23THRUST_200600_302600_NS6detail15normal_iteratorINSA_10device_ptrIfEEEEPS6_NSA_18transform_iteratorINSB_9not_fun_tI7is_trueIfEEENSC_INSD_IbEEEENSA_11use_defaultESO_EENS0_5tupleIJSF_S6_EEENSQ_IJSG_SG_EEES6_PlJS6_EEE10hipError_tPvRmT3_T4_T5_T6_T7_T9_mT8_P12ihipStream_tbDpT10_ENKUlT_T0_E_clISt17integral_constantIbLb1EES1C_IbLb0EEEEDaS18_S19_EUlS18_E_NS1_11comp_targetILNS1_3genE5ELNS1_11target_archE942ELNS1_3gpuE9ELNS1_3repE0EEENS1_30default_config_static_selectorELNS0_4arch9wavefront6targetE0EEEvT1_.uses_flat_scratch, 0
	.set _ZN7rocprim17ROCPRIM_400000_NS6detail17trampoline_kernelINS0_14default_configENS1_25partition_config_selectorILNS1_17partition_subalgoE5EfNS0_10empty_typeEbEEZZNS1_14partition_implILS5_5ELb0ES3_mN6thrust23THRUST_200600_302600_NS6detail15normal_iteratorINSA_10device_ptrIfEEEEPS6_NSA_18transform_iteratorINSB_9not_fun_tI7is_trueIfEEENSC_INSD_IbEEEENSA_11use_defaultESO_EENS0_5tupleIJSF_S6_EEENSQ_IJSG_SG_EEES6_PlJS6_EEE10hipError_tPvRmT3_T4_T5_T6_T7_T9_mT8_P12ihipStream_tbDpT10_ENKUlT_T0_E_clISt17integral_constantIbLb1EES1C_IbLb0EEEEDaS18_S19_EUlS18_E_NS1_11comp_targetILNS1_3genE5ELNS1_11target_archE942ELNS1_3gpuE9ELNS1_3repE0EEENS1_30default_config_static_selectorELNS0_4arch9wavefront6targetE0EEEvT1_.has_dyn_sized_stack, 0
	.set _ZN7rocprim17ROCPRIM_400000_NS6detail17trampoline_kernelINS0_14default_configENS1_25partition_config_selectorILNS1_17partition_subalgoE5EfNS0_10empty_typeEbEEZZNS1_14partition_implILS5_5ELb0ES3_mN6thrust23THRUST_200600_302600_NS6detail15normal_iteratorINSA_10device_ptrIfEEEEPS6_NSA_18transform_iteratorINSB_9not_fun_tI7is_trueIfEEENSC_INSD_IbEEEENSA_11use_defaultESO_EENS0_5tupleIJSF_S6_EEENSQ_IJSG_SG_EEES6_PlJS6_EEE10hipError_tPvRmT3_T4_T5_T6_T7_T9_mT8_P12ihipStream_tbDpT10_ENKUlT_T0_E_clISt17integral_constantIbLb1EES1C_IbLb0EEEEDaS18_S19_EUlS18_E_NS1_11comp_targetILNS1_3genE5ELNS1_11target_archE942ELNS1_3gpuE9ELNS1_3repE0EEENS1_30default_config_static_selectorELNS0_4arch9wavefront6targetE0EEEvT1_.has_recursion, 0
	.set _ZN7rocprim17ROCPRIM_400000_NS6detail17trampoline_kernelINS0_14default_configENS1_25partition_config_selectorILNS1_17partition_subalgoE5EfNS0_10empty_typeEbEEZZNS1_14partition_implILS5_5ELb0ES3_mN6thrust23THRUST_200600_302600_NS6detail15normal_iteratorINSA_10device_ptrIfEEEEPS6_NSA_18transform_iteratorINSB_9not_fun_tI7is_trueIfEEENSC_INSD_IbEEEENSA_11use_defaultESO_EENS0_5tupleIJSF_S6_EEENSQ_IJSG_SG_EEES6_PlJS6_EEE10hipError_tPvRmT3_T4_T5_T6_T7_T9_mT8_P12ihipStream_tbDpT10_ENKUlT_T0_E_clISt17integral_constantIbLb1EES1C_IbLb0EEEEDaS18_S19_EUlS18_E_NS1_11comp_targetILNS1_3genE5ELNS1_11target_archE942ELNS1_3gpuE9ELNS1_3repE0EEENS1_30default_config_static_selectorELNS0_4arch9wavefront6targetE0EEEvT1_.has_indirect_call, 0
	.section	.AMDGPU.csdata,"",@progbits
; Kernel info:
; codeLenInByte = 0
; TotalNumSgprs: 0
; NumVgprs: 0
; ScratchSize: 0
; MemoryBound: 0
; FloatMode: 240
; IeeeMode: 1
; LDSByteSize: 0 bytes/workgroup (compile time only)
; SGPRBlocks: 0
; VGPRBlocks: 0
; NumSGPRsForWavesPerEU: 1
; NumVGPRsForWavesPerEU: 1
; Occupancy: 16
; WaveLimiterHint : 0
; COMPUTE_PGM_RSRC2:SCRATCH_EN: 0
; COMPUTE_PGM_RSRC2:USER_SGPR: 2
; COMPUTE_PGM_RSRC2:TRAP_HANDLER: 0
; COMPUTE_PGM_RSRC2:TGID_X_EN: 1
; COMPUTE_PGM_RSRC2:TGID_Y_EN: 0
; COMPUTE_PGM_RSRC2:TGID_Z_EN: 0
; COMPUTE_PGM_RSRC2:TIDIG_COMP_CNT: 0
	.section	.text._ZN7rocprim17ROCPRIM_400000_NS6detail17trampoline_kernelINS0_14default_configENS1_25partition_config_selectorILNS1_17partition_subalgoE5EfNS0_10empty_typeEbEEZZNS1_14partition_implILS5_5ELb0ES3_mN6thrust23THRUST_200600_302600_NS6detail15normal_iteratorINSA_10device_ptrIfEEEEPS6_NSA_18transform_iteratorINSB_9not_fun_tI7is_trueIfEEENSC_INSD_IbEEEENSA_11use_defaultESO_EENS0_5tupleIJSF_S6_EEENSQ_IJSG_SG_EEES6_PlJS6_EEE10hipError_tPvRmT3_T4_T5_T6_T7_T9_mT8_P12ihipStream_tbDpT10_ENKUlT_T0_E_clISt17integral_constantIbLb1EES1C_IbLb0EEEEDaS18_S19_EUlS18_E_NS1_11comp_targetILNS1_3genE4ELNS1_11target_archE910ELNS1_3gpuE8ELNS1_3repE0EEENS1_30default_config_static_selectorELNS0_4arch9wavefront6targetE0EEEvT1_,"axG",@progbits,_ZN7rocprim17ROCPRIM_400000_NS6detail17trampoline_kernelINS0_14default_configENS1_25partition_config_selectorILNS1_17partition_subalgoE5EfNS0_10empty_typeEbEEZZNS1_14partition_implILS5_5ELb0ES3_mN6thrust23THRUST_200600_302600_NS6detail15normal_iteratorINSA_10device_ptrIfEEEEPS6_NSA_18transform_iteratorINSB_9not_fun_tI7is_trueIfEEENSC_INSD_IbEEEENSA_11use_defaultESO_EENS0_5tupleIJSF_S6_EEENSQ_IJSG_SG_EEES6_PlJS6_EEE10hipError_tPvRmT3_T4_T5_T6_T7_T9_mT8_P12ihipStream_tbDpT10_ENKUlT_T0_E_clISt17integral_constantIbLb1EES1C_IbLb0EEEEDaS18_S19_EUlS18_E_NS1_11comp_targetILNS1_3genE4ELNS1_11target_archE910ELNS1_3gpuE8ELNS1_3repE0EEENS1_30default_config_static_selectorELNS0_4arch9wavefront6targetE0EEEvT1_,comdat
	.protected	_ZN7rocprim17ROCPRIM_400000_NS6detail17trampoline_kernelINS0_14default_configENS1_25partition_config_selectorILNS1_17partition_subalgoE5EfNS0_10empty_typeEbEEZZNS1_14partition_implILS5_5ELb0ES3_mN6thrust23THRUST_200600_302600_NS6detail15normal_iteratorINSA_10device_ptrIfEEEEPS6_NSA_18transform_iteratorINSB_9not_fun_tI7is_trueIfEEENSC_INSD_IbEEEENSA_11use_defaultESO_EENS0_5tupleIJSF_S6_EEENSQ_IJSG_SG_EEES6_PlJS6_EEE10hipError_tPvRmT3_T4_T5_T6_T7_T9_mT8_P12ihipStream_tbDpT10_ENKUlT_T0_E_clISt17integral_constantIbLb1EES1C_IbLb0EEEEDaS18_S19_EUlS18_E_NS1_11comp_targetILNS1_3genE4ELNS1_11target_archE910ELNS1_3gpuE8ELNS1_3repE0EEENS1_30default_config_static_selectorELNS0_4arch9wavefront6targetE0EEEvT1_ ; -- Begin function _ZN7rocprim17ROCPRIM_400000_NS6detail17trampoline_kernelINS0_14default_configENS1_25partition_config_selectorILNS1_17partition_subalgoE5EfNS0_10empty_typeEbEEZZNS1_14partition_implILS5_5ELb0ES3_mN6thrust23THRUST_200600_302600_NS6detail15normal_iteratorINSA_10device_ptrIfEEEEPS6_NSA_18transform_iteratorINSB_9not_fun_tI7is_trueIfEEENSC_INSD_IbEEEENSA_11use_defaultESO_EENS0_5tupleIJSF_S6_EEENSQ_IJSG_SG_EEES6_PlJS6_EEE10hipError_tPvRmT3_T4_T5_T6_T7_T9_mT8_P12ihipStream_tbDpT10_ENKUlT_T0_E_clISt17integral_constantIbLb1EES1C_IbLb0EEEEDaS18_S19_EUlS18_E_NS1_11comp_targetILNS1_3genE4ELNS1_11target_archE910ELNS1_3gpuE8ELNS1_3repE0EEENS1_30default_config_static_selectorELNS0_4arch9wavefront6targetE0EEEvT1_
	.globl	_ZN7rocprim17ROCPRIM_400000_NS6detail17trampoline_kernelINS0_14default_configENS1_25partition_config_selectorILNS1_17partition_subalgoE5EfNS0_10empty_typeEbEEZZNS1_14partition_implILS5_5ELb0ES3_mN6thrust23THRUST_200600_302600_NS6detail15normal_iteratorINSA_10device_ptrIfEEEEPS6_NSA_18transform_iteratorINSB_9not_fun_tI7is_trueIfEEENSC_INSD_IbEEEENSA_11use_defaultESO_EENS0_5tupleIJSF_S6_EEENSQ_IJSG_SG_EEES6_PlJS6_EEE10hipError_tPvRmT3_T4_T5_T6_T7_T9_mT8_P12ihipStream_tbDpT10_ENKUlT_T0_E_clISt17integral_constantIbLb1EES1C_IbLb0EEEEDaS18_S19_EUlS18_E_NS1_11comp_targetILNS1_3genE4ELNS1_11target_archE910ELNS1_3gpuE8ELNS1_3repE0EEENS1_30default_config_static_selectorELNS0_4arch9wavefront6targetE0EEEvT1_
	.p2align	8
	.type	_ZN7rocprim17ROCPRIM_400000_NS6detail17trampoline_kernelINS0_14default_configENS1_25partition_config_selectorILNS1_17partition_subalgoE5EfNS0_10empty_typeEbEEZZNS1_14partition_implILS5_5ELb0ES3_mN6thrust23THRUST_200600_302600_NS6detail15normal_iteratorINSA_10device_ptrIfEEEEPS6_NSA_18transform_iteratorINSB_9not_fun_tI7is_trueIfEEENSC_INSD_IbEEEENSA_11use_defaultESO_EENS0_5tupleIJSF_S6_EEENSQ_IJSG_SG_EEES6_PlJS6_EEE10hipError_tPvRmT3_T4_T5_T6_T7_T9_mT8_P12ihipStream_tbDpT10_ENKUlT_T0_E_clISt17integral_constantIbLb1EES1C_IbLb0EEEEDaS18_S19_EUlS18_E_NS1_11comp_targetILNS1_3genE4ELNS1_11target_archE910ELNS1_3gpuE8ELNS1_3repE0EEENS1_30default_config_static_selectorELNS0_4arch9wavefront6targetE0EEEvT1_,@function
_ZN7rocprim17ROCPRIM_400000_NS6detail17trampoline_kernelINS0_14default_configENS1_25partition_config_selectorILNS1_17partition_subalgoE5EfNS0_10empty_typeEbEEZZNS1_14partition_implILS5_5ELb0ES3_mN6thrust23THRUST_200600_302600_NS6detail15normal_iteratorINSA_10device_ptrIfEEEEPS6_NSA_18transform_iteratorINSB_9not_fun_tI7is_trueIfEEENSC_INSD_IbEEEENSA_11use_defaultESO_EENS0_5tupleIJSF_S6_EEENSQ_IJSG_SG_EEES6_PlJS6_EEE10hipError_tPvRmT3_T4_T5_T6_T7_T9_mT8_P12ihipStream_tbDpT10_ENKUlT_T0_E_clISt17integral_constantIbLb1EES1C_IbLb0EEEEDaS18_S19_EUlS18_E_NS1_11comp_targetILNS1_3genE4ELNS1_11target_archE910ELNS1_3gpuE8ELNS1_3repE0EEENS1_30default_config_static_selectorELNS0_4arch9wavefront6targetE0EEEvT1_: ; @_ZN7rocprim17ROCPRIM_400000_NS6detail17trampoline_kernelINS0_14default_configENS1_25partition_config_selectorILNS1_17partition_subalgoE5EfNS0_10empty_typeEbEEZZNS1_14partition_implILS5_5ELb0ES3_mN6thrust23THRUST_200600_302600_NS6detail15normal_iteratorINSA_10device_ptrIfEEEEPS6_NSA_18transform_iteratorINSB_9not_fun_tI7is_trueIfEEENSC_INSD_IbEEEENSA_11use_defaultESO_EENS0_5tupleIJSF_S6_EEENSQ_IJSG_SG_EEES6_PlJS6_EEE10hipError_tPvRmT3_T4_T5_T6_T7_T9_mT8_P12ihipStream_tbDpT10_ENKUlT_T0_E_clISt17integral_constantIbLb1EES1C_IbLb0EEEEDaS18_S19_EUlS18_E_NS1_11comp_targetILNS1_3genE4ELNS1_11target_archE910ELNS1_3gpuE8ELNS1_3repE0EEENS1_30default_config_static_selectorELNS0_4arch9wavefront6targetE0EEEvT1_
; %bb.0:
	.section	.rodata,"a",@progbits
	.p2align	6, 0x0
	.amdhsa_kernel _ZN7rocprim17ROCPRIM_400000_NS6detail17trampoline_kernelINS0_14default_configENS1_25partition_config_selectorILNS1_17partition_subalgoE5EfNS0_10empty_typeEbEEZZNS1_14partition_implILS5_5ELb0ES3_mN6thrust23THRUST_200600_302600_NS6detail15normal_iteratorINSA_10device_ptrIfEEEEPS6_NSA_18transform_iteratorINSB_9not_fun_tI7is_trueIfEEENSC_INSD_IbEEEENSA_11use_defaultESO_EENS0_5tupleIJSF_S6_EEENSQ_IJSG_SG_EEES6_PlJS6_EEE10hipError_tPvRmT3_T4_T5_T6_T7_T9_mT8_P12ihipStream_tbDpT10_ENKUlT_T0_E_clISt17integral_constantIbLb1EES1C_IbLb0EEEEDaS18_S19_EUlS18_E_NS1_11comp_targetILNS1_3genE4ELNS1_11target_archE910ELNS1_3gpuE8ELNS1_3repE0EEENS1_30default_config_static_selectorELNS0_4arch9wavefront6targetE0EEEvT1_
		.amdhsa_group_segment_fixed_size 0
		.amdhsa_private_segment_fixed_size 0
		.amdhsa_kernarg_size 120
		.amdhsa_user_sgpr_count 2
		.amdhsa_user_sgpr_dispatch_ptr 0
		.amdhsa_user_sgpr_queue_ptr 0
		.amdhsa_user_sgpr_kernarg_segment_ptr 1
		.amdhsa_user_sgpr_dispatch_id 0
		.amdhsa_user_sgpr_private_segment_size 0
		.amdhsa_wavefront_size32 1
		.amdhsa_uses_dynamic_stack 0
		.amdhsa_enable_private_segment 0
		.amdhsa_system_sgpr_workgroup_id_x 1
		.amdhsa_system_sgpr_workgroup_id_y 0
		.amdhsa_system_sgpr_workgroup_id_z 0
		.amdhsa_system_sgpr_workgroup_info 0
		.amdhsa_system_vgpr_workitem_id 0
		.amdhsa_next_free_vgpr 1
		.amdhsa_next_free_sgpr 1
		.amdhsa_reserve_vcc 0
		.amdhsa_float_round_mode_32 0
		.amdhsa_float_round_mode_16_64 0
		.amdhsa_float_denorm_mode_32 3
		.amdhsa_float_denorm_mode_16_64 3
		.amdhsa_fp16_overflow 0
		.amdhsa_workgroup_processor_mode 1
		.amdhsa_memory_ordered 1
		.amdhsa_forward_progress 1
		.amdhsa_inst_pref_size 0
		.amdhsa_round_robin_scheduling 0
		.amdhsa_exception_fp_ieee_invalid_op 0
		.amdhsa_exception_fp_denorm_src 0
		.amdhsa_exception_fp_ieee_div_zero 0
		.amdhsa_exception_fp_ieee_overflow 0
		.amdhsa_exception_fp_ieee_underflow 0
		.amdhsa_exception_fp_ieee_inexact 0
		.amdhsa_exception_int_div_zero 0
	.end_amdhsa_kernel
	.section	.text._ZN7rocprim17ROCPRIM_400000_NS6detail17trampoline_kernelINS0_14default_configENS1_25partition_config_selectorILNS1_17partition_subalgoE5EfNS0_10empty_typeEbEEZZNS1_14partition_implILS5_5ELb0ES3_mN6thrust23THRUST_200600_302600_NS6detail15normal_iteratorINSA_10device_ptrIfEEEEPS6_NSA_18transform_iteratorINSB_9not_fun_tI7is_trueIfEEENSC_INSD_IbEEEENSA_11use_defaultESO_EENS0_5tupleIJSF_S6_EEENSQ_IJSG_SG_EEES6_PlJS6_EEE10hipError_tPvRmT3_T4_T5_T6_T7_T9_mT8_P12ihipStream_tbDpT10_ENKUlT_T0_E_clISt17integral_constantIbLb1EES1C_IbLb0EEEEDaS18_S19_EUlS18_E_NS1_11comp_targetILNS1_3genE4ELNS1_11target_archE910ELNS1_3gpuE8ELNS1_3repE0EEENS1_30default_config_static_selectorELNS0_4arch9wavefront6targetE0EEEvT1_,"axG",@progbits,_ZN7rocprim17ROCPRIM_400000_NS6detail17trampoline_kernelINS0_14default_configENS1_25partition_config_selectorILNS1_17partition_subalgoE5EfNS0_10empty_typeEbEEZZNS1_14partition_implILS5_5ELb0ES3_mN6thrust23THRUST_200600_302600_NS6detail15normal_iteratorINSA_10device_ptrIfEEEEPS6_NSA_18transform_iteratorINSB_9not_fun_tI7is_trueIfEEENSC_INSD_IbEEEENSA_11use_defaultESO_EENS0_5tupleIJSF_S6_EEENSQ_IJSG_SG_EEES6_PlJS6_EEE10hipError_tPvRmT3_T4_T5_T6_T7_T9_mT8_P12ihipStream_tbDpT10_ENKUlT_T0_E_clISt17integral_constantIbLb1EES1C_IbLb0EEEEDaS18_S19_EUlS18_E_NS1_11comp_targetILNS1_3genE4ELNS1_11target_archE910ELNS1_3gpuE8ELNS1_3repE0EEENS1_30default_config_static_selectorELNS0_4arch9wavefront6targetE0EEEvT1_,comdat
.Lfunc_end2383:
	.size	_ZN7rocprim17ROCPRIM_400000_NS6detail17trampoline_kernelINS0_14default_configENS1_25partition_config_selectorILNS1_17partition_subalgoE5EfNS0_10empty_typeEbEEZZNS1_14partition_implILS5_5ELb0ES3_mN6thrust23THRUST_200600_302600_NS6detail15normal_iteratorINSA_10device_ptrIfEEEEPS6_NSA_18transform_iteratorINSB_9not_fun_tI7is_trueIfEEENSC_INSD_IbEEEENSA_11use_defaultESO_EENS0_5tupleIJSF_S6_EEENSQ_IJSG_SG_EEES6_PlJS6_EEE10hipError_tPvRmT3_T4_T5_T6_T7_T9_mT8_P12ihipStream_tbDpT10_ENKUlT_T0_E_clISt17integral_constantIbLb1EES1C_IbLb0EEEEDaS18_S19_EUlS18_E_NS1_11comp_targetILNS1_3genE4ELNS1_11target_archE910ELNS1_3gpuE8ELNS1_3repE0EEENS1_30default_config_static_selectorELNS0_4arch9wavefront6targetE0EEEvT1_, .Lfunc_end2383-_ZN7rocprim17ROCPRIM_400000_NS6detail17trampoline_kernelINS0_14default_configENS1_25partition_config_selectorILNS1_17partition_subalgoE5EfNS0_10empty_typeEbEEZZNS1_14partition_implILS5_5ELb0ES3_mN6thrust23THRUST_200600_302600_NS6detail15normal_iteratorINSA_10device_ptrIfEEEEPS6_NSA_18transform_iteratorINSB_9not_fun_tI7is_trueIfEEENSC_INSD_IbEEEENSA_11use_defaultESO_EENS0_5tupleIJSF_S6_EEENSQ_IJSG_SG_EEES6_PlJS6_EEE10hipError_tPvRmT3_T4_T5_T6_T7_T9_mT8_P12ihipStream_tbDpT10_ENKUlT_T0_E_clISt17integral_constantIbLb1EES1C_IbLb0EEEEDaS18_S19_EUlS18_E_NS1_11comp_targetILNS1_3genE4ELNS1_11target_archE910ELNS1_3gpuE8ELNS1_3repE0EEENS1_30default_config_static_selectorELNS0_4arch9wavefront6targetE0EEEvT1_
                                        ; -- End function
	.set _ZN7rocprim17ROCPRIM_400000_NS6detail17trampoline_kernelINS0_14default_configENS1_25partition_config_selectorILNS1_17partition_subalgoE5EfNS0_10empty_typeEbEEZZNS1_14partition_implILS5_5ELb0ES3_mN6thrust23THRUST_200600_302600_NS6detail15normal_iteratorINSA_10device_ptrIfEEEEPS6_NSA_18transform_iteratorINSB_9not_fun_tI7is_trueIfEEENSC_INSD_IbEEEENSA_11use_defaultESO_EENS0_5tupleIJSF_S6_EEENSQ_IJSG_SG_EEES6_PlJS6_EEE10hipError_tPvRmT3_T4_T5_T6_T7_T9_mT8_P12ihipStream_tbDpT10_ENKUlT_T0_E_clISt17integral_constantIbLb1EES1C_IbLb0EEEEDaS18_S19_EUlS18_E_NS1_11comp_targetILNS1_3genE4ELNS1_11target_archE910ELNS1_3gpuE8ELNS1_3repE0EEENS1_30default_config_static_selectorELNS0_4arch9wavefront6targetE0EEEvT1_.num_vgpr, 0
	.set _ZN7rocprim17ROCPRIM_400000_NS6detail17trampoline_kernelINS0_14default_configENS1_25partition_config_selectorILNS1_17partition_subalgoE5EfNS0_10empty_typeEbEEZZNS1_14partition_implILS5_5ELb0ES3_mN6thrust23THRUST_200600_302600_NS6detail15normal_iteratorINSA_10device_ptrIfEEEEPS6_NSA_18transform_iteratorINSB_9not_fun_tI7is_trueIfEEENSC_INSD_IbEEEENSA_11use_defaultESO_EENS0_5tupleIJSF_S6_EEENSQ_IJSG_SG_EEES6_PlJS6_EEE10hipError_tPvRmT3_T4_T5_T6_T7_T9_mT8_P12ihipStream_tbDpT10_ENKUlT_T0_E_clISt17integral_constantIbLb1EES1C_IbLb0EEEEDaS18_S19_EUlS18_E_NS1_11comp_targetILNS1_3genE4ELNS1_11target_archE910ELNS1_3gpuE8ELNS1_3repE0EEENS1_30default_config_static_selectorELNS0_4arch9wavefront6targetE0EEEvT1_.num_agpr, 0
	.set _ZN7rocprim17ROCPRIM_400000_NS6detail17trampoline_kernelINS0_14default_configENS1_25partition_config_selectorILNS1_17partition_subalgoE5EfNS0_10empty_typeEbEEZZNS1_14partition_implILS5_5ELb0ES3_mN6thrust23THRUST_200600_302600_NS6detail15normal_iteratorINSA_10device_ptrIfEEEEPS6_NSA_18transform_iteratorINSB_9not_fun_tI7is_trueIfEEENSC_INSD_IbEEEENSA_11use_defaultESO_EENS0_5tupleIJSF_S6_EEENSQ_IJSG_SG_EEES6_PlJS6_EEE10hipError_tPvRmT3_T4_T5_T6_T7_T9_mT8_P12ihipStream_tbDpT10_ENKUlT_T0_E_clISt17integral_constantIbLb1EES1C_IbLb0EEEEDaS18_S19_EUlS18_E_NS1_11comp_targetILNS1_3genE4ELNS1_11target_archE910ELNS1_3gpuE8ELNS1_3repE0EEENS1_30default_config_static_selectorELNS0_4arch9wavefront6targetE0EEEvT1_.numbered_sgpr, 0
	.set _ZN7rocprim17ROCPRIM_400000_NS6detail17trampoline_kernelINS0_14default_configENS1_25partition_config_selectorILNS1_17partition_subalgoE5EfNS0_10empty_typeEbEEZZNS1_14partition_implILS5_5ELb0ES3_mN6thrust23THRUST_200600_302600_NS6detail15normal_iteratorINSA_10device_ptrIfEEEEPS6_NSA_18transform_iteratorINSB_9not_fun_tI7is_trueIfEEENSC_INSD_IbEEEENSA_11use_defaultESO_EENS0_5tupleIJSF_S6_EEENSQ_IJSG_SG_EEES6_PlJS6_EEE10hipError_tPvRmT3_T4_T5_T6_T7_T9_mT8_P12ihipStream_tbDpT10_ENKUlT_T0_E_clISt17integral_constantIbLb1EES1C_IbLb0EEEEDaS18_S19_EUlS18_E_NS1_11comp_targetILNS1_3genE4ELNS1_11target_archE910ELNS1_3gpuE8ELNS1_3repE0EEENS1_30default_config_static_selectorELNS0_4arch9wavefront6targetE0EEEvT1_.num_named_barrier, 0
	.set _ZN7rocprim17ROCPRIM_400000_NS6detail17trampoline_kernelINS0_14default_configENS1_25partition_config_selectorILNS1_17partition_subalgoE5EfNS0_10empty_typeEbEEZZNS1_14partition_implILS5_5ELb0ES3_mN6thrust23THRUST_200600_302600_NS6detail15normal_iteratorINSA_10device_ptrIfEEEEPS6_NSA_18transform_iteratorINSB_9not_fun_tI7is_trueIfEEENSC_INSD_IbEEEENSA_11use_defaultESO_EENS0_5tupleIJSF_S6_EEENSQ_IJSG_SG_EEES6_PlJS6_EEE10hipError_tPvRmT3_T4_T5_T6_T7_T9_mT8_P12ihipStream_tbDpT10_ENKUlT_T0_E_clISt17integral_constantIbLb1EES1C_IbLb0EEEEDaS18_S19_EUlS18_E_NS1_11comp_targetILNS1_3genE4ELNS1_11target_archE910ELNS1_3gpuE8ELNS1_3repE0EEENS1_30default_config_static_selectorELNS0_4arch9wavefront6targetE0EEEvT1_.private_seg_size, 0
	.set _ZN7rocprim17ROCPRIM_400000_NS6detail17trampoline_kernelINS0_14default_configENS1_25partition_config_selectorILNS1_17partition_subalgoE5EfNS0_10empty_typeEbEEZZNS1_14partition_implILS5_5ELb0ES3_mN6thrust23THRUST_200600_302600_NS6detail15normal_iteratorINSA_10device_ptrIfEEEEPS6_NSA_18transform_iteratorINSB_9not_fun_tI7is_trueIfEEENSC_INSD_IbEEEENSA_11use_defaultESO_EENS0_5tupleIJSF_S6_EEENSQ_IJSG_SG_EEES6_PlJS6_EEE10hipError_tPvRmT3_T4_T5_T6_T7_T9_mT8_P12ihipStream_tbDpT10_ENKUlT_T0_E_clISt17integral_constantIbLb1EES1C_IbLb0EEEEDaS18_S19_EUlS18_E_NS1_11comp_targetILNS1_3genE4ELNS1_11target_archE910ELNS1_3gpuE8ELNS1_3repE0EEENS1_30default_config_static_selectorELNS0_4arch9wavefront6targetE0EEEvT1_.uses_vcc, 0
	.set _ZN7rocprim17ROCPRIM_400000_NS6detail17trampoline_kernelINS0_14default_configENS1_25partition_config_selectorILNS1_17partition_subalgoE5EfNS0_10empty_typeEbEEZZNS1_14partition_implILS5_5ELb0ES3_mN6thrust23THRUST_200600_302600_NS6detail15normal_iteratorINSA_10device_ptrIfEEEEPS6_NSA_18transform_iteratorINSB_9not_fun_tI7is_trueIfEEENSC_INSD_IbEEEENSA_11use_defaultESO_EENS0_5tupleIJSF_S6_EEENSQ_IJSG_SG_EEES6_PlJS6_EEE10hipError_tPvRmT3_T4_T5_T6_T7_T9_mT8_P12ihipStream_tbDpT10_ENKUlT_T0_E_clISt17integral_constantIbLb1EES1C_IbLb0EEEEDaS18_S19_EUlS18_E_NS1_11comp_targetILNS1_3genE4ELNS1_11target_archE910ELNS1_3gpuE8ELNS1_3repE0EEENS1_30default_config_static_selectorELNS0_4arch9wavefront6targetE0EEEvT1_.uses_flat_scratch, 0
	.set _ZN7rocprim17ROCPRIM_400000_NS6detail17trampoline_kernelINS0_14default_configENS1_25partition_config_selectorILNS1_17partition_subalgoE5EfNS0_10empty_typeEbEEZZNS1_14partition_implILS5_5ELb0ES3_mN6thrust23THRUST_200600_302600_NS6detail15normal_iteratorINSA_10device_ptrIfEEEEPS6_NSA_18transform_iteratorINSB_9not_fun_tI7is_trueIfEEENSC_INSD_IbEEEENSA_11use_defaultESO_EENS0_5tupleIJSF_S6_EEENSQ_IJSG_SG_EEES6_PlJS6_EEE10hipError_tPvRmT3_T4_T5_T6_T7_T9_mT8_P12ihipStream_tbDpT10_ENKUlT_T0_E_clISt17integral_constantIbLb1EES1C_IbLb0EEEEDaS18_S19_EUlS18_E_NS1_11comp_targetILNS1_3genE4ELNS1_11target_archE910ELNS1_3gpuE8ELNS1_3repE0EEENS1_30default_config_static_selectorELNS0_4arch9wavefront6targetE0EEEvT1_.has_dyn_sized_stack, 0
	.set _ZN7rocprim17ROCPRIM_400000_NS6detail17trampoline_kernelINS0_14default_configENS1_25partition_config_selectorILNS1_17partition_subalgoE5EfNS0_10empty_typeEbEEZZNS1_14partition_implILS5_5ELb0ES3_mN6thrust23THRUST_200600_302600_NS6detail15normal_iteratorINSA_10device_ptrIfEEEEPS6_NSA_18transform_iteratorINSB_9not_fun_tI7is_trueIfEEENSC_INSD_IbEEEENSA_11use_defaultESO_EENS0_5tupleIJSF_S6_EEENSQ_IJSG_SG_EEES6_PlJS6_EEE10hipError_tPvRmT3_T4_T5_T6_T7_T9_mT8_P12ihipStream_tbDpT10_ENKUlT_T0_E_clISt17integral_constantIbLb1EES1C_IbLb0EEEEDaS18_S19_EUlS18_E_NS1_11comp_targetILNS1_3genE4ELNS1_11target_archE910ELNS1_3gpuE8ELNS1_3repE0EEENS1_30default_config_static_selectorELNS0_4arch9wavefront6targetE0EEEvT1_.has_recursion, 0
	.set _ZN7rocprim17ROCPRIM_400000_NS6detail17trampoline_kernelINS0_14default_configENS1_25partition_config_selectorILNS1_17partition_subalgoE5EfNS0_10empty_typeEbEEZZNS1_14partition_implILS5_5ELb0ES3_mN6thrust23THRUST_200600_302600_NS6detail15normal_iteratorINSA_10device_ptrIfEEEEPS6_NSA_18transform_iteratorINSB_9not_fun_tI7is_trueIfEEENSC_INSD_IbEEEENSA_11use_defaultESO_EENS0_5tupleIJSF_S6_EEENSQ_IJSG_SG_EEES6_PlJS6_EEE10hipError_tPvRmT3_T4_T5_T6_T7_T9_mT8_P12ihipStream_tbDpT10_ENKUlT_T0_E_clISt17integral_constantIbLb1EES1C_IbLb0EEEEDaS18_S19_EUlS18_E_NS1_11comp_targetILNS1_3genE4ELNS1_11target_archE910ELNS1_3gpuE8ELNS1_3repE0EEENS1_30default_config_static_selectorELNS0_4arch9wavefront6targetE0EEEvT1_.has_indirect_call, 0
	.section	.AMDGPU.csdata,"",@progbits
; Kernel info:
; codeLenInByte = 0
; TotalNumSgprs: 0
; NumVgprs: 0
; ScratchSize: 0
; MemoryBound: 0
; FloatMode: 240
; IeeeMode: 1
; LDSByteSize: 0 bytes/workgroup (compile time only)
; SGPRBlocks: 0
; VGPRBlocks: 0
; NumSGPRsForWavesPerEU: 1
; NumVGPRsForWavesPerEU: 1
; Occupancy: 16
; WaveLimiterHint : 0
; COMPUTE_PGM_RSRC2:SCRATCH_EN: 0
; COMPUTE_PGM_RSRC2:USER_SGPR: 2
; COMPUTE_PGM_RSRC2:TRAP_HANDLER: 0
; COMPUTE_PGM_RSRC2:TGID_X_EN: 1
; COMPUTE_PGM_RSRC2:TGID_Y_EN: 0
; COMPUTE_PGM_RSRC2:TGID_Z_EN: 0
; COMPUTE_PGM_RSRC2:TIDIG_COMP_CNT: 0
	.section	.text._ZN7rocprim17ROCPRIM_400000_NS6detail17trampoline_kernelINS0_14default_configENS1_25partition_config_selectorILNS1_17partition_subalgoE5EfNS0_10empty_typeEbEEZZNS1_14partition_implILS5_5ELb0ES3_mN6thrust23THRUST_200600_302600_NS6detail15normal_iteratorINSA_10device_ptrIfEEEEPS6_NSA_18transform_iteratorINSB_9not_fun_tI7is_trueIfEEENSC_INSD_IbEEEENSA_11use_defaultESO_EENS0_5tupleIJSF_S6_EEENSQ_IJSG_SG_EEES6_PlJS6_EEE10hipError_tPvRmT3_T4_T5_T6_T7_T9_mT8_P12ihipStream_tbDpT10_ENKUlT_T0_E_clISt17integral_constantIbLb1EES1C_IbLb0EEEEDaS18_S19_EUlS18_E_NS1_11comp_targetILNS1_3genE3ELNS1_11target_archE908ELNS1_3gpuE7ELNS1_3repE0EEENS1_30default_config_static_selectorELNS0_4arch9wavefront6targetE0EEEvT1_,"axG",@progbits,_ZN7rocprim17ROCPRIM_400000_NS6detail17trampoline_kernelINS0_14default_configENS1_25partition_config_selectorILNS1_17partition_subalgoE5EfNS0_10empty_typeEbEEZZNS1_14partition_implILS5_5ELb0ES3_mN6thrust23THRUST_200600_302600_NS6detail15normal_iteratorINSA_10device_ptrIfEEEEPS6_NSA_18transform_iteratorINSB_9not_fun_tI7is_trueIfEEENSC_INSD_IbEEEENSA_11use_defaultESO_EENS0_5tupleIJSF_S6_EEENSQ_IJSG_SG_EEES6_PlJS6_EEE10hipError_tPvRmT3_T4_T5_T6_T7_T9_mT8_P12ihipStream_tbDpT10_ENKUlT_T0_E_clISt17integral_constantIbLb1EES1C_IbLb0EEEEDaS18_S19_EUlS18_E_NS1_11comp_targetILNS1_3genE3ELNS1_11target_archE908ELNS1_3gpuE7ELNS1_3repE0EEENS1_30default_config_static_selectorELNS0_4arch9wavefront6targetE0EEEvT1_,comdat
	.protected	_ZN7rocprim17ROCPRIM_400000_NS6detail17trampoline_kernelINS0_14default_configENS1_25partition_config_selectorILNS1_17partition_subalgoE5EfNS0_10empty_typeEbEEZZNS1_14partition_implILS5_5ELb0ES3_mN6thrust23THRUST_200600_302600_NS6detail15normal_iteratorINSA_10device_ptrIfEEEEPS6_NSA_18transform_iteratorINSB_9not_fun_tI7is_trueIfEEENSC_INSD_IbEEEENSA_11use_defaultESO_EENS0_5tupleIJSF_S6_EEENSQ_IJSG_SG_EEES6_PlJS6_EEE10hipError_tPvRmT3_T4_T5_T6_T7_T9_mT8_P12ihipStream_tbDpT10_ENKUlT_T0_E_clISt17integral_constantIbLb1EES1C_IbLb0EEEEDaS18_S19_EUlS18_E_NS1_11comp_targetILNS1_3genE3ELNS1_11target_archE908ELNS1_3gpuE7ELNS1_3repE0EEENS1_30default_config_static_selectorELNS0_4arch9wavefront6targetE0EEEvT1_ ; -- Begin function _ZN7rocprim17ROCPRIM_400000_NS6detail17trampoline_kernelINS0_14default_configENS1_25partition_config_selectorILNS1_17partition_subalgoE5EfNS0_10empty_typeEbEEZZNS1_14partition_implILS5_5ELb0ES3_mN6thrust23THRUST_200600_302600_NS6detail15normal_iteratorINSA_10device_ptrIfEEEEPS6_NSA_18transform_iteratorINSB_9not_fun_tI7is_trueIfEEENSC_INSD_IbEEEENSA_11use_defaultESO_EENS0_5tupleIJSF_S6_EEENSQ_IJSG_SG_EEES6_PlJS6_EEE10hipError_tPvRmT3_T4_T5_T6_T7_T9_mT8_P12ihipStream_tbDpT10_ENKUlT_T0_E_clISt17integral_constantIbLb1EES1C_IbLb0EEEEDaS18_S19_EUlS18_E_NS1_11comp_targetILNS1_3genE3ELNS1_11target_archE908ELNS1_3gpuE7ELNS1_3repE0EEENS1_30default_config_static_selectorELNS0_4arch9wavefront6targetE0EEEvT1_
	.globl	_ZN7rocprim17ROCPRIM_400000_NS6detail17trampoline_kernelINS0_14default_configENS1_25partition_config_selectorILNS1_17partition_subalgoE5EfNS0_10empty_typeEbEEZZNS1_14partition_implILS5_5ELb0ES3_mN6thrust23THRUST_200600_302600_NS6detail15normal_iteratorINSA_10device_ptrIfEEEEPS6_NSA_18transform_iteratorINSB_9not_fun_tI7is_trueIfEEENSC_INSD_IbEEEENSA_11use_defaultESO_EENS0_5tupleIJSF_S6_EEENSQ_IJSG_SG_EEES6_PlJS6_EEE10hipError_tPvRmT3_T4_T5_T6_T7_T9_mT8_P12ihipStream_tbDpT10_ENKUlT_T0_E_clISt17integral_constantIbLb1EES1C_IbLb0EEEEDaS18_S19_EUlS18_E_NS1_11comp_targetILNS1_3genE3ELNS1_11target_archE908ELNS1_3gpuE7ELNS1_3repE0EEENS1_30default_config_static_selectorELNS0_4arch9wavefront6targetE0EEEvT1_
	.p2align	8
	.type	_ZN7rocprim17ROCPRIM_400000_NS6detail17trampoline_kernelINS0_14default_configENS1_25partition_config_selectorILNS1_17partition_subalgoE5EfNS0_10empty_typeEbEEZZNS1_14partition_implILS5_5ELb0ES3_mN6thrust23THRUST_200600_302600_NS6detail15normal_iteratorINSA_10device_ptrIfEEEEPS6_NSA_18transform_iteratorINSB_9not_fun_tI7is_trueIfEEENSC_INSD_IbEEEENSA_11use_defaultESO_EENS0_5tupleIJSF_S6_EEENSQ_IJSG_SG_EEES6_PlJS6_EEE10hipError_tPvRmT3_T4_T5_T6_T7_T9_mT8_P12ihipStream_tbDpT10_ENKUlT_T0_E_clISt17integral_constantIbLb1EES1C_IbLb0EEEEDaS18_S19_EUlS18_E_NS1_11comp_targetILNS1_3genE3ELNS1_11target_archE908ELNS1_3gpuE7ELNS1_3repE0EEENS1_30default_config_static_selectorELNS0_4arch9wavefront6targetE0EEEvT1_,@function
_ZN7rocprim17ROCPRIM_400000_NS6detail17trampoline_kernelINS0_14default_configENS1_25partition_config_selectorILNS1_17partition_subalgoE5EfNS0_10empty_typeEbEEZZNS1_14partition_implILS5_5ELb0ES3_mN6thrust23THRUST_200600_302600_NS6detail15normal_iteratorINSA_10device_ptrIfEEEEPS6_NSA_18transform_iteratorINSB_9not_fun_tI7is_trueIfEEENSC_INSD_IbEEEENSA_11use_defaultESO_EENS0_5tupleIJSF_S6_EEENSQ_IJSG_SG_EEES6_PlJS6_EEE10hipError_tPvRmT3_T4_T5_T6_T7_T9_mT8_P12ihipStream_tbDpT10_ENKUlT_T0_E_clISt17integral_constantIbLb1EES1C_IbLb0EEEEDaS18_S19_EUlS18_E_NS1_11comp_targetILNS1_3genE3ELNS1_11target_archE908ELNS1_3gpuE7ELNS1_3repE0EEENS1_30default_config_static_selectorELNS0_4arch9wavefront6targetE0EEEvT1_: ; @_ZN7rocprim17ROCPRIM_400000_NS6detail17trampoline_kernelINS0_14default_configENS1_25partition_config_selectorILNS1_17partition_subalgoE5EfNS0_10empty_typeEbEEZZNS1_14partition_implILS5_5ELb0ES3_mN6thrust23THRUST_200600_302600_NS6detail15normal_iteratorINSA_10device_ptrIfEEEEPS6_NSA_18transform_iteratorINSB_9not_fun_tI7is_trueIfEEENSC_INSD_IbEEEENSA_11use_defaultESO_EENS0_5tupleIJSF_S6_EEENSQ_IJSG_SG_EEES6_PlJS6_EEE10hipError_tPvRmT3_T4_T5_T6_T7_T9_mT8_P12ihipStream_tbDpT10_ENKUlT_T0_E_clISt17integral_constantIbLb1EES1C_IbLb0EEEEDaS18_S19_EUlS18_E_NS1_11comp_targetILNS1_3genE3ELNS1_11target_archE908ELNS1_3gpuE7ELNS1_3repE0EEENS1_30default_config_static_selectorELNS0_4arch9wavefront6targetE0EEEvT1_
; %bb.0:
	.section	.rodata,"a",@progbits
	.p2align	6, 0x0
	.amdhsa_kernel _ZN7rocprim17ROCPRIM_400000_NS6detail17trampoline_kernelINS0_14default_configENS1_25partition_config_selectorILNS1_17partition_subalgoE5EfNS0_10empty_typeEbEEZZNS1_14partition_implILS5_5ELb0ES3_mN6thrust23THRUST_200600_302600_NS6detail15normal_iteratorINSA_10device_ptrIfEEEEPS6_NSA_18transform_iteratorINSB_9not_fun_tI7is_trueIfEEENSC_INSD_IbEEEENSA_11use_defaultESO_EENS0_5tupleIJSF_S6_EEENSQ_IJSG_SG_EEES6_PlJS6_EEE10hipError_tPvRmT3_T4_T5_T6_T7_T9_mT8_P12ihipStream_tbDpT10_ENKUlT_T0_E_clISt17integral_constantIbLb1EES1C_IbLb0EEEEDaS18_S19_EUlS18_E_NS1_11comp_targetILNS1_3genE3ELNS1_11target_archE908ELNS1_3gpuE7ELNS1_3repE0EEENS1_30default_config_static_selectorELNS0_4arch9wavefront6targetE0EEEvT1_
		.amdhsa_group_segment_fixed_size 0
		.amdhsa_private_segment_fixed_size 0
		.amdhsa_kernarg_size 120
		.amdhsa_user_sgpr_count 2
		.amdhsa_user_sgpr_dispatch_ptr 0
		.amdhsa_user_sgpr_queue_ptr 0
		.amdhsa_user_sgpr_kernarg_segment_ptr 1
		.amdhsa_user_sgpr_dispatch_id 0
		.amdhsa_user_sgpr_private_segment_size 0
		.amdhsa_wavefront_size32 1
		.amdhsa_uses_dynamic_stack 0
		.amdhsa_enable_private_segment 0
		.amdhsa_system_sgpr_workgroup_id_x 1
		.amdhsa_system_sgpr_workgroup_id_y 0
		.amdhsa_system_sgpr_workgroup_id_z 0
		.amdhsa_system_sgpr_workgroup_info 0
		.amdhsa_system_vgpr_workitem_id 0
		.amdhsa_next_free_vgpr 1
		.amdhsa_next_free_sgpr 1
		.amdhsa_reserve_vcc 0
		.amdhsa_float_round_mode_32 0
		.amdhsa_float_round_mode_16_64 0
		.amdhsa_float_denorm_mode_32 3
		.amdhsa_float_denorm_mode_16_64 3
		.amdhsa_fp16_overflow 0
		.amdhsa_workgroup_processor_mode 1
		.amdhsa_memory_ordered 1
		.amdhsa_forward_progress 1
		.amdhsa_inst_pref_size 0
		.amdhsa_round_robin_scheduling 0
		.amdhsa_exception_fp_ieee_invalid_op 0
		.amdhsa_exception_fp_denorm_src 0
		.amdhsa_exception_fp_ieee_div_zero 0
		.amdhsa_exception_fp_ieee_overflow 0
		.amdhsa_exception_fp_ieee_underflow 0
		.amdhsa_exception_fp_ieee_inexact 0
		.amdhsa_exception_int_div_zero 0
	.end_amdhsa_kernel
	.section	.text._ZN7rocprim17ROCPRIM_400000_NS6detail17trampoline_kernelINS0_14default_configENS1_25partition_config_selectorILNS1_17partition_subalgoE5EfNS0_10empty_typeEbEEZZNS1_14partition_implILS5_5ELb0ES3_mN6thrust23THRUST_200600_302600_NS6detail15normal_iteratorINSA_10device_ptrIfEEEEPS6_NSA_18transform_iteratorINSB_9not_fun_tI7is_trueIfEEENSC_INSD_IbEEEENSA_11use_defaultESO_EENS0_5tupleIJSF_S6_EEENSQ_IJSG_SG_EEES6_PlJS6_EEE10hipError_tPvRmT3_T4_T5_T6_T7_T9_mT8_P12ihipStream_tbDpT10_ENKUlT_T0_E_clISt17integral_constantIbLb1EES1C_IbLb0EEEEDaS18_S19_EUlS18_E_NS1_11comp_targetILNS1_3genE3ELNS1_11target_archE908ELNS1_3gpuE7ELNS1_3repE0EEENS1_30default_config_static_selectorELNS0_4arch9wavefront6targetE0EEEvT1_,"axG",@progbits,_ZN7rocprim17ROCPRIM_400000_NS6detail17trampoline_kernelINS0_14default_configENS1_25partition_config_selectorILNS1_17partition_subalgoE5EfNS0_10empty_typeEbEEZZNS1_14partition_implILS5_5ELb0ES3_mN6thrust23THRUST_200600_302600_NS6detail15normal_iteratorINSA_10device_ptrIfEEEEPS6_NSA_18transform_iteratorINSB_9not_fun_tI7is_trueIfEEENSC_INSD_IbEEEENSA_11use_defaultESO_EENS0_5tupleIJSF_S6_EEENSQ_IJSG_SG_EEES6_PlJS6_EEE10hipError_tPvRmT3_T4_T5_T6_T7_T9_mT8_P12ihipStream_tbDpT10_ENKUlT_T0_E_clISt17integral_constantIbLb1EES1C_IbLb0EEEEDaS18_S19_EUlS18_E_NS1_11comp_targetILNS1_3genE3ELNS1_11target_archE908ELNS1_3gpuE7ELNS1_3repE0EEENS1_30default_config_static_selectorELNS0_4arch9wavefront6targetE0EEEvT1_,comdat
.Lfunc_end2384:
	.size	_ZN7rocprim17ROCPRIM_400000_NS6detail17trampoline_kernelINS0_14default_configENS1_25partition_config_selectorILNS1_17partition_subalgoE5EfNS0_10empty_typeEbEEZZNS1_14partition_implILS5_5ELb0ES3_mN6thrust23THRUST_200600_302600_NS6detail15normal_iteratorINSA_10device_ptrIfEEEEPS6_NSA_18transform_iteratorINSB_9not_fun_tI7is_trueIfEEENSC_INSD_IbEEEENSA_11use_defaultESO_EENS0_5tupleIJSF_S6_EEENSQ_IJSG_SG_EEES6_PlJS6_EEE10hipError_tPvRmT3_T4_T5_T6_T7_T9_mT8_P12ihipStream_tbDpT10_ENKUlT_T0_E_clISt17integral_constantIbLb1EES1C_IbLb0EEEEDaS18_S19_EUlS18_E_NS1_11comp_targetILNS1_3genE3ELNS1_11target_archE908ELNS1_3gpuE7ELNS1_3repE0EEENS1_30default_config_static_selectorELNS0_4arch9wavefront6targetE0EEEvT1_, .Lfunc_end2384-_ZN7rocprim17ROCPRIM_400000_NS6detail17trampoline_kernelINS0_14default_configENS1_25partition_config_selectorILNS1_17partition_subalgoE5EfNS0_10empty_typeEbEEZZNS1_14partition_implILS5_5ELb0ES3_mN6thrust23THRUST_200600_302600_NS6detail15normal_iteratorINSA_10device_ptrIfEEEEPS6_NSA_18transform_iteratorINSB_9not_fun_tI7is_trueIfEEENSC_INSD_IbEEEENSA_11use_defaultESO_EENS0_5tupleIJSF_S6_EEENSQ_IJSG_SG_EEES6_PlJS6_EEE10hipError_tPvRmT3_T4_T5_T6_T7_T9_mT8_P12ihipStream_tbDpT10_ENKUlT_T0_E_clISt17integral_constantIbLb1EES1C_IbLb0EEEEDaS18_S19_EUlS18_E_NS1_11comp_targetILNS1_3genE3ELNS1_11target_archE908ELNS1_3gpuE7ELNS1_3repE0EEENS1_30default_config_static_selectorELNS0_4arch9wavefront6targetE0EEEvT1_
                                        ; -- End function
	.set _ZN7rocprim17ROCPRIM_400000_NS6detail17trampoline_kernelINS0_14default_configENS1_25partition_config_selectorILNS1_17partition_subalgoE5EfNS0_10empty_typeEbEEZZNS1_14partition_implILS5_5ELb0ES3_mN6thrust23THRUST_200600_302600_NS6detail15normal_iteratorINSA_10device_ptrIfEEEEPS6_NSA_18transform_iteratorINSB_9not_fun_tI7is_trueIfEEENSC_INSD_IbEEEENSA_11use_defaultESO_EENS0_5tupleIJSF_S6_EEENSQ_IJSG_SG_EEES6_PlJS6_EEE10hipError_tPvRmT3_T4_T5_T6_T7_T9_mT8_P12ihipStream_tbDpT10_ENKUlT_T0_E_clISt17integral_constantIbLb1EES1C_IbLb0EEEEDaS18_S19_EUlS18_E_NS1_11comp_targetILNS1_3genE3ELNS1_11target_archE908ELNS1_3gpuE7ELNS1_3repE0EEENS1_30default_config_static_selectorELNS0_4arch9wavefront6targetE0EEEvT1_.num_vgpr, 0
	.set _ZN7rocprim17ROCPRIM_400000_NS6detail17trampoline_kernelINS0_14default_configENS1_25partition_config_selectorILNS1_17partition_subalgoE5EfNS0_10empty_typeEbEEZZNS1_14partition_implILS5_5ELb0ES3_mN6thrust23THRUST_200600_302600_NS6detail15normal_iteratorINSA_10device_ptrIfEEEEPS6_NSA_18transform_iteratorINSB_9not_fun_tI7is_trueIfEEENSC_INSD_IbEEEENSA_11use_defaultESO_EENS0_5tupleIJSF_S6_EEENSQ_IJSG_SG_EEES6_PlJS6_EEE10hipError_tPvRmT3_T4_T5_T6_T7_T9_mT8_P12ihipStream_tbDpT10_ENKUlT_T0_E_clISt17integral_constantIbLb1EES1C_IbLb0EEEEDaS18_S19_EUlS18_E_NS1_11comp_targetILNS1_3genE3ELNS1_11target_archE908ELNS1_3gpuE7ELNS1_3repE0EEENS1_30default_config_static_selectorELNS0_4arch9wavefront6targetE0EEEvT1_.num_agpr, 0
	.set _ZN7rocprim17ROCPRIM_400000_NS6detail17trampoline_kernelINS0_14default_configENS1_25partition_config_selectorILNS1_17partition_subalgoE5EfNS0_10empty_typeEbEEZZNS1_14partition_implILS5_5ELb0ES3_mN6thrust23THRUST_200600_302600_NS6detail15normal_iteratorINSA_10device_ptrIfEEEEPS6_NSA_18transform_iteratorINSB_9not_fun_tI7is_trueIfEEENSC_INSD_IbEEEENSA_11use_defaultESO_EENS0_5tupleIJSF_S6_EEENSQ_IJSG_SG_EEES6_PlJS6_EEE10hipError_tPvRmT3_T4_T5_T6_T7_T9_mT8_P12ihipStream_tbDpT10_ENKUlT_T0_E_clISt17integral_constantIbLb1EES1C_IbLb0EEEEDaS18_S19_EUlS18_E_NS1_11comp_targetILNS1_3genE3ELNS1_11target_archE908ELNS1_3gpuE7ELNS1_3repE0EEENS1_30default_config_static_selectorELNS0_4arch9wavefront6targetE0EEEvT1_.numbered_sgpr, 0
	.set _ZN7rocprim17ROCPRIM_400000_NS6detail17trampoline_kernelINS0_14default_configENS1_25partition_config_selectorILNS1_17partition_subalgoE5EfNS0_10empty_typeEbEEZZNS1_14partition_implILS5_5ELb0ES3_mN6thrust23THRUST_200600_302600_NS6detail15normal_iteratorINSA_10device_ptrIfEEEEPS6_NSA_18transform_iteratorINSB_9not_fun_tI7is_trueIfEEENSC_INSD_IbEEEENSA_11use_defaultESO_EENS0_5tupleIJSF_S6_EEENSQ_IJSG_SG_EEES6_PlJS6_EEE10hipError_tPvRmT3_T4_T5_T6_T7_T9_mT8_P12ihipStream_tbDpT10_ENKUlT_T0_E_clISt17integral_constantIbLb1EES1C_IbLb0EEEEDaS18_S19_EUlS18_E_NS1_11comp_targetILNS1_3genE3ELNS1_11target_archE908ELNS1_3gpuE7ELNS1_3repE0EEENS1_30default_config_static_selectorELNS0_4arch9wavefront6targetE0EEEvT1_.num_named_barrier, 0
	.set _ZN7rocprim17ROCPRIM_400000_NS6detail17trampoline_kernelINS0_14default_configENS1_25partition_config_selectorILNS1_17partition_subalgoE5EfNS0_10empty_typeEbEEZZNS1_14partition_implILS5_5ELb0ES3_mN6thrust23THRUST_200600_302600_NS6detail15normal_iteratorINSA_10device_ptrIfEEEEPS6_NSA_18transform_iteratorINSB_9not_fun_tI7is_trueIfEEENSC_INSD_IbEEEENSA_11use_defaultESO_EENS0_5tupleIJSF_S6_EEENSQ_IJSG_SG_EEES6_PlJS6_EEE10hipError_tPvRmT3_T4_T5_T6_T7_T9_mT8_P12ihipStream_tbDpT10_ENKUlT_T0_E_clISt17integral_constantIbLb1EES1C_IbLb0EEEEDaS18_S19_EUlS18_E_NS1_11comp_targetILNS1_3genE3ELNS1_11target_archE908ELNS1_3gpuE7ELNS1_3repE0EEENS1_30default_config_static_selectorELNS0_4arch9wavefront6targetE0EEEvT1_.private_seg_size, 0
	.set _ZN7rocprim17ROCPRIM_400000_NS6detail17trampoline_kernelINS0_14default_configENS1_25partition_config_selectorILNS1_17partition_subalgoE5EfNS0_10empty_typeEbEEZZNS1_14partition_implILS5_5ELb0ES3_mN6thrust23THRUST_200600_302600_NS6detail15normal_iteratorINSA_10device_ptrIfEEEEPS6_NSA_18transform_iteratorINSB_9not_fun_tI7is_trueIfEEENSC_INSD_IbEEEENSA_11use_defaultESO_EENS0_5tupleIJSF_S6_EEENSQ_IJSG_SG_EEES6_PlJS6_EEE10hipError_tPvRmT3_T4_T5_T6_T7_T9_mT8_P12ihipStream_tbDpT10_ENKUlT_T0_E_clISt17integral_constantIbLb1EES1C_IbLb0EEEEDaS18_S19_EUlS18_E_NS1_11comp_targetILNS1_3genE3ELNS1_11target_archE908ELNS1_3gpuE7ELNS1_3repE0EEENS1_30default_config_static_selectorELNS0_4arch9wavefront6targetE0EEEvT1_.uses_vcc, 0
	.set _ZN7rocprim17ROCPRIM_400000_NS6detail17trampoline_kernelINS0_14default_configENS1_25partition_config_selectorILNS1_17partition_subalgoE5EfNS0_10empty_typeEbEEZZNS1_14partition_implILS5_5ELb0ES3_mN6thrust23THRUST_200600_302600_NS6detail15normal_iteratorINSA_10device_ptrIfEEEEPS6_NSA_18transform_iteratorINSB_9not_fun_tI7is_trueIfEEENSC_INSD_IbEEEENSA_11use_defaultESO_EENS0_5tupleIJSF_S6_EEENSQ_IJSG_SG_EEES6_PlJS6_EEE10hipError_tPvRmT3_T4_T5_T6_T7_T9_mT8_P12ihipStream_tbDpT10_ENKUlT_T0_E_clISt17integral_constantIbLb1EES1C_IbLb0EEEEDaS18_S19_EUlS18_E_NS1_11comp_targetILNS1_3genE3ELNS1_11target_archE908ELNS1_3gpuE7ELNS1_3repE0EEENS1_30default_config_static_selectorELNS0_4arch9wavefront6targetE0EEEvT1_.uses_flat_scratch, 0
	.set _ZN7rocprim17ROCPRIM_400000_NS6detail17trampoline_kernelINS0_14default_configENS1_25partition_config_selectorILNS1_17partition_subalgoE5EfNS0_10empty_typeEbEEZZNS1_14partition_implILS5_5ELb0ES3_mN6thrust23THRUST_200600_302600_NS6detail15normal_iteratorINSA_10device_ptrIfEEEEPS6_NSA_18transform_iteratorINSB_9not_fun_tI7is_trueIfEEENSC_INSD_IbEEEENSA_11use_defaultESO_EENS0_5tupleIJSF_S6_EEENSQ_IJSG_SG_EEES6_PlJS6_EEE10hipError_tPvRmT3_T4_T5_T6_T7_T9_mT8_P12ihipStream_tbDpT10_ENKUlT_T0_E_clISt17integral_constantIbLb1EES1C_IbLb0EEEEDaS18_S19_EUlS18_E_NS1_11comp_targetILNS1_3genE3ELNS1_11target_archE908ELNS1_3gpuE7ELNS1_3repE0EEENS1_30default_config_static_selectorELNS0_4arch9wavefront6targetE0EEEvT1_.has_dyn_sized_stack, 0
	.set _ZN7rocprim17ROCPRIM_400000_NS6detail17trampoline_kernelINS0_14default_configENS1_25partition_config_selectorILNS1_17partition_subalgoE5EfNS0_10empty_typeEbEEZZNS1_14partition_implILS5_5ELb0ES3_mN6thrust23THRUST_200600_302600_NS6detail15normal_iteratorINSA_10device_ptrIfEEEEPS6_NSA_18transform_iteratorINSB_9not_fun_tI7is_trueIfEEENSC_INSD_IbEEEENSA_11use_defaultESO_EENS0_5tupleIJSF_S6_EEENSQ_IJSG_SG_EEES6_PlJS6_EEE10hipError_tPvRmT3_T4_T5_T6_T7_T9_mT8_P12ihipStream_tbDpT10_ENKUlT_T0_E_clISt17integral_constantIbLb1EES1C_IbLb0EEEEDaS18_S19_EUlS18_E_NS1_11comp_targetILNS1_3genE3ELNS1_11target_archE908ELNS1_3gpuE7ELNS1_3repE0EEENS1_30default_config_static_selectorELNS0_4arch9wavefront6targetE0EEEvT1_.has_recursion, 0
	.set _ZN7rocprim17ROCPRIM_400000_NS6detail17trampoline_kernelINS0_14default_configENS1_25partition_config_selectorILNS1_17partition_subalgoE5EfNS0_10empty_typeEbEEZZNS1_14partition_implILS5_5ELb0ES3_mN6thrust23THRUST_200600_302600_NS6detail15normal_iteratorINSA_10device_ptrIfEEEEPS6_NSA_18transform_iteratorINSB_9not_fun_tI7is_trueIfEEENSC_INSD_IbEEEENSA_11use_defaultESO_EENS0_5tupleIJSF_S6_EEENSQ_IJSG_SG_EEES6_PlJS6_EEE10hipError_tPvRmT3_T4_T5_T6_T7_T9_mT8_P12ihipStream_tbDpT10_ENKUlT_T0_E_clISt17integral_constantIbLb1EES1C_IbLb0EEEEDaS18_S19_EUlS18_E_NS1_11comp_targetILNS1_3genE3ELNS1_11target_archE908ELNS1_3gpuE7ELNS1_3repE0EEENS1_30default_config_static_selectorELNS0_4arch9wavefront6targetE0EEEvT1_.has_indirect_call, 0
	.section	.AMDGPU.csdata,"",@progbits
; Kernel info:
; codeLenInByte = 0
; TotalNumSgprs: 0
; NumVgprs: 0
; ScratchSize: 0
; MemoryBound: 0
; FloatMode: 240
; IeeeMode: 1
; LDSByteSize: 0 bytes/workgroup (compile time only)
; SGPRBlocks: 0
; VGPRBlocks: 0
; NumSGPRsForWavesPerEU: 1
; NumVGPRsForWavesPerEU: 1
; Occupancy: 16
; WaveLimiterHint : 0
; COMPUTE_PGM_RSRC2:SCRATCH_EN: 0
; COMPUTE_PGM_RSRC2:USER_SGPR: 2
; COMPUTE_PGM_RSRC2:TRAP_HANDLER: 0
; COMPUTE_PGM_RSRC2:TGID_X_EN: 1
; COMPUTE_PGM_RSRC2:TGID_Y_EN: 0
; COMPUTE_PGM_RSRC2:TGID_Z_EN: 0
; COMPUTE_PGM_RSRC2:TIDIG_COMP_CNT: 0
	.section	.text._ZN7rocprim17ROCPRIM_400000_NS6detail17trampoline_kernelINS0_14default_configENS1_25partition_config_selectorILNS1_17partition_subalgoE5EfNS0_10empty_typeEbEEZZNS1_14partition_implILS5_5ELb0ES3_mN6thrust23THRUST_200600_302600_NS6detail15normal_iteratorINSA_10device_ptrIfEEEEPS6_NSA_18transform_iteratorINSB_9not_fun_tI7is_trueIfEEENSC_INSD_IbEEEENSA_11use_defaultESO_EENS0_5tupleIJSF_S6_EEENSQ_IJSG_SG_EEES6_PlJS6_EEE10hipError_tPvRmT3_T4_T5_T6_T7_T9_mT8_P12ihipStream_tbDpT10_ENKUlT_T0_E_clISt17integral_constantIbLb1EES1C_IbLb0EEEEDaS18_S19_EUlS18_E_NS1_11comp_targetILNS1_3genE2ELNS1_11target_archE906ELNS1_3gpuE6ELNS1_3repE0EEENS1_30default_config_static_selectorELNS0_4arch9wavefront6targetE0EEEvT1_,"axG",@progbits,_ZN7rocprim17ROCPRIM_400000_NS6detail17trampoline_kernelINS0_14default_configENS1_25partition_config_selectorILNS1_17partition_subalgoE5EfNS0_10empty_typeEbEEZZNS1_14partition_implILS5_5ELb0ES3_mN6thrust23THRUST_200600_302600_NS6detail15normal_iteratorINSA_10device_ptrIfEEEEPS6_NSA_18transform_iteratorINSB_9not_fun_tI7is_trueIfEEENSC_INSD_IbEEEENSA_11use_defaultESO_EENS0_5tupleIJSF_S6_EEENSQ_IJSG_SG_EEES6_PlJS6_EEE10hipError_tPvRmT3_T4_T5_T6_T7_T9_mT8_P12ihipStream_tbDpT10_ENKUlT_T0_E_clISt17integral_constantIbLb1EES1C_IbLb0EEEEDaS18_S19_EUlS18_E_NS1_11comp_targetILNS1_3genE2ELNS1_11target_archE906ELNS1_3gpuE6ELNS1_3repE0EEENS1_30default_config_static_selectorELNS0_4arch9wavefront6targetE0EEEvT1_,comdat
	.protected	_ZN7rocprim17ROCPRIM_400000_NS6detail17trampoline_kernelINS0_14default_configENS1_25partition_config_selectorILNS1_17partition_subalgoE5EfNS0_10empty_typeEbEEZZNS1_14partition_implILS5_5ELb0ES3_mN6thrust23THRUST_200600_302600_NS6detail15normal_iteratorINSA_10device_ptrIfEEEEPS6_NSA_18transform_iteratorINSB_9not_fun_tI7is_trueIfEEENSC_INSD_IbEEEENSA_11use_defaultESO_EENS0_5tupleIJSF_S6_EEENSQ_IJSG_SG_EEES6_PlJS6_EEE10hipError_tPvRmT3_T4_T5_T6_T7_T9_mT8_P12ihipStream_tbDpT10_ENKUlT_T0_E_clISt17integral_constantIbLb1EES1C_IbLb0EEEEDaS18_S19_EUlS18_E_NS1_11comp_targetILNS1_3genE2ELNS1_11target_archE906ELNS1_3gpuE6ELNS1_3repE0EEENS1_30default_config_static_selectorELNS0_4arch9wavefront6targetE0EEEvT1_ ; -- Begin function _ZN7rocprim17ROCPRIM_400000_NS6detail17trampoline_kernelINS0_14default_configENS1_25partition_config_selectorILNS1_17partition_subalgoE5EfNS0_10empty_typeEbEEZZNS1_14partition_implILS5_5ELb0ES3_mN6thrust23THRUST_200600_302600_NS6detail15normal_iteratorINSA_10device_ptrIfEEEEPS6_NSA_18transform_iteratorINSB_9not_fun_tI7is_trueIfEEENSC_INSD_IbEEEENSA_11use_defaultESO_EENS0_5tupleIJSF_S6_EEENSQ_IJSG_SG_EEES6_PlJS6_EEE10hipError_tPvRmT3_T4_T5_T6_T7_T9_mT8_P12ihipStream_tbDpT10_ENKUlT_T0_E_clISt17integral_constantIbLb1EES1C_IbLb0EEEEDaS18_S19_EUlS18_E_NS1_11comp_targetILNS1_3genE2ELNS1_11target_archE906ELNS1_3gpuE6ELNS1_3repE0EEENS1_30default_config_static_selectorELNS0_4arch9wavefront6targetE0EEEvT1_
	.globl	_ZN7rocprim17ROCPRIM_400000_NS6detail17trampoline_kernelINS0_14default_configENS1_25partition_config_selectorILNS1_17partition_subalgoE5EfNS0_10empty_typeEbEEZZNS1_14partition_implILS5_5ELb0ES3_mN6thrust23THRUST_200600_302600_NS6detail15normal_iteratorINSA_10device_ptrIfEEEEPS6_NSA_18transform_iteratorINSB_9not_fun_tI7is_trueIfEEENSC_INSD_IbEEEENSA_11use_defaultESO_EENS0_5tupleIJSF_S6_EEENSQ_IJSG_SG_EEES6_PlJS6_EEE10hipError_tPvRmT3_T4_T5_T6_T7_T9_mT8_P12ihipStream_tbDpT10_ENKUlT_T0_E_clISt17integral_constantIbLb1EES1C_IbLb0EEEEDaS18_S19_EUlS18_E_NS1_11comp_targetILNS1_3genE2ELNS1_11target_archE906ELNS1_3gpuE6ELNS1_3repE0EEENS1_30default_config_static_selectorELNS0_4arch9wavefront6targetE0EEEvT1_
	.p2align	8
	.type	_ZN7rocprim17ROCPRIM_400000_NS6detail17trampoline_kernelINS0_14default_configENS1_25partition_config_selectorILNS1_17partition_subalgoE5EfNS0_10empty_typeEbEEZZNS1_14partition_implILS5_5ELb0ES3_mN6thrust23THRUST_200600_302600_NS6detail15normal_iteratorINSA_10device_ptrIfEEEEPS6_NSA_18transform_iteratorINSB_9not_fun_tI7is_trueIfEEENSC_INSD_IbEEEENSA_11use_defaultESO_EENS0_5tupleIJSF_S6_EEENSQ_IJSG_SG_EEES6_PlJS6_EEE10hipError_tPvRmT3_T4_T5_T6_T7_T9_mT8_P12ihipStream_tbDpT10_ENKUlT_T0_E_clISt17integral_constantIbLb1EES1C_IbLb0EEEEDaS18_S19_EUlS18_E_NS1_11comp_targetILNS1_3genE2ELNS1_11target_archE906ELNS1_3gpuE6ELNS1_3repE0EEENS1_30default_config_static_selectorELNS0_4arch9wavefront6targetE0EEEvT1_,@function
_ZN7rocprim17ROCPRIM_400000_NS6detail17trampoline_kernelINS0_14default_configENS1_25partition_config_selectorILNS1_17partition_subalgoE5EfNS0_10empty_typeEbEEZZNS1_14partition_implILS5_5ELb0ES3_mN6thrust23THRUST_200600_302600_NS6detail15normal_iteratorINSA_10device_ptrIfEEEEPS6_NSA_18transform_iteratorINSB_9not_fun_tI7is_trueIfEEENSC_INSD_IbEEEENSA_11use_defaultESO_EENS0_5tupleIJSF_S6_EEENSQ_IJSG_SG_EEES6_PlJS6_EEE10hipError_tPvRmT3_T4_T5_T6_T7_T9_mT8_P12ihipStream_tbDpT10_ENKUlT_T0_E_clISt17integral_constantIbLb1EES1C_IbLb0EEEEDaS18_S19_EUlS18_E_NS1_11comp_targetILNS1_3genE2ELNS1_11target_archE906ELNS1_3gpuE6ELNS1_3repE0EEENS1_30default_config_static_selectorELNS0_4arch9wavefront6targetE0EEEvT1_: ; @_ZN7rocprim17ROCPRIM_400000_NS6detail17trampoline_kernelINS0_14default_configENS1_25partition_config_selectorILNS1_17partition_subalgoE5EfNS0_10empty_typeEbEEZZNS1_14partition_implILS5_5ELb0ES3_mN6thrust23THRUST_200600_302600_NS6detail15normal_iteratorINSA_10device_ptrIfEEEEPS6_NSA_18transform_iteratorINSB_9not_fun_tI7is_trueIfEEENSC_INSD_IbEEEENSA_11use_defaultESO_EENS0_5tupleIJSF_S6_EEENSQ_IJSG_SG_EEES6_PlJS6_EEE10hipError_tPvRmT3_T4_T5_T6_T7_T9_mT8_P12ihipStream_tbDpT10_ENKUlT_T0_E_clISt17integral_constantIbLb1EES1C_IbLb0EEEEDaS18_S19_EUlS18_E_NS1_11comp_targetILNS1_3genE2ELNS1_11target_archE906ELNS1_3gpuE6ELNS1_3repE0EEENS1_30default_config_static_selectorELNS0_4arch9wavefront6targetE0EEEvT1_
; %bb.0:
	.section	.rodata,"a",@progbits
	.p2align	6, 0x0
	.amdhsa_kernel _ZN7rocprim17ROCPRIM_400000_NS6detail17trampoline_kernelINS0_14default_configENS1_25partition_config_selectorILNS1_17partition_subalgoE5EfNS0_10empty_typeEbEEZZNS1_14partition_implILS5_5ELb0ES3_mN6thrust23THRUST_200600_302600_NS6detail15normal_iteratorINSA_10device_ptrIfEEEEPS6_NSA_18transform_iteratorINSB_9not_fun_tI7is_trueIfEEENSC_INSD_IbEEEENSA_11use_defaultESO_EENS0_5tupleIJSF_S6_EEENSQ_IJSG_SG_EEES6_PlJS6_EEE10hipError_tPvRmT3_T4_T5_T6_T7_T9_mT8_P12ihipStream_tbDpT10_ENKUlT_T0_E_clISt17integral_constantIbLb1EES1C_IbLb0EEEEDaS18_S19_EUlS18_E_NS1_11comp_targetILNS1_3genE2ELNS1_11target_archE906ELNS1_3gpuE6ELNS1_3repE0EEENS1_30default_config_static_selectorELNS0_4arch9wavefront6targetE0EEEvT1_
		.amdhsa_group_segment_fixed_size 0
		.amdhsa_private_segment_fixed_size 0
		.amdhsa_kernarg_size 120
		.amdhsa_user_sgpr_count 2
		.amdhsa_user_sgpr_dispatch_ptr 0
		.amdhsa_user_sgpr_queue_ptr 0
		.amdhsa_user_sgpr_kernarg_segment_ptr 1
		.amdhsa_user_sgpr_dispatch_id 0
		.amdhsa_user_sgpr_private_segment_size 0
		.amdhsa_wavefront_size32 1
		.amdhsa_uses_dynamic_stack 0
		.amdhsa_enable_private_segment 0
		.amdhsa_system_sgpr_workgroup_id_x 1
		.amdhsa_system_sgpr_workgroup_id_y 0
		.amdhsa_system_sgpr_workgroup_id_z 0
		.amdhsa_system_sgpr_workgroup_info 0
		.amdhsa_system_vgpr_workitem_id 0
		.amdhsa_next_free_vgpr 1
		.amdhsa_next_free_sgpr 1
		.amdhsa_reserve_vcc 0
		.amdhsa_float_round_mode_32 0
		.amdhsa_float_round_mode_16_64 0
		.amdhsa_float_denorm_mode_32 3
		.amdhsa_float_denorm_mode_16_64 3
		.amdhsa_fp16_overflow 0
		.amdhsa_workgroup_processor_mode 1
		.amdhsa_memory_ordered 1
		.amdhsa_forward_progress 1
		.amdhsa_inst_pref_size 0
		.amdhsa_round_robin_scheduling 0
		.amdhsa_exception_fp_ieee_invalid_op 0
		.amdhsa_exception_fp_denorm_src 0
		.amdhsa_exception_fp_ieee_div_zero 0
		.amdhsa_exception_fp_ieee_overflow 0
		.amdhsa_exception_fp_ieee_underflow 0
		.amdhsa_exception_fp_ieee_inexact 0
		.amdhsa_exception_int_div_zero 0
	.end_amdhsa_kernel
	.section	.text._ZN7rocprim17ROCPRIM_400000_NS6detail17trampoline_kernelINS0_14default_configENS1_25partition_config_selectorILNS1_17partition_subalgoE5EfNS0_10empty_typeEbEEZZNS1_14partition_implILS5_5ELb0ES3_mN6thrust23THRUST_200600_302600_NS6detail15normal_iteratorINSA_10device_ptrIfEEEEPS6_NSA_18transform_iteratorINSB_9not_fun_tI7is_trueIfEEENSC_INSD_IbEEEENSA_11use_defaultESO_EENS0_5tupleIJSF_S6_EEENSQ_IJSG_SG_EEES6_PlJS6_EEE10hipError_tPvRmT3_T4_T5_T6_T7_T9_mT8_P12ihipStream_tbDpT10_ENKUlT_T0_E_clISt17integral_constantIbLb1EES1C_IbLb0EEEEDaS18_S19_EUlS18_E_NS1_11comp_targetILNS1_3genE2ELNS1_11target_archE906ELNS1_3gpuE6ELNS1_3repE0EEENS1_30default_config_static_selectorELNS0_4arch9wavefront6targetE0EEEvT1_,"axG",@progbits,_ZN7rocprim17ROCPRIM_400000_NS6detail17trampoline_kernelINS0_14default_configENS1_25partition_config_selectorILNS1_17partition_subalgoE5EfNS0_10empty_typeEbEEZZNS1_14partition_implILS5_5ELb0ES3_mN6thrust23THRUST_200600_302600_NS6detail15normal_iteratorINSA_10device_ptrIfEEEEPS6_NSA_18transform_iteratorINSB_9not_fun_tI7is_trueIfEEENSC_INSD_IbEEEENSA_11use_defaultESO_EENS0_5tupleIJSF_S6_EEENSQ_IJSG_SG_EEES6_PlJS6_EEE10hipError_tPvRmT3_T4_T5_T6_T7_T9_mT8_P12ihipStream_tbDpT10_ENKUlT_T0_E_clISt17integral_constantIbLb1EES1C_IbLb0EEEEDaS18_S19_EUlS18_E_NS1_11comp_targetILNS1_3genE2ELNS1_11target_archE906ELNS1_3gpuE6ELNS1_3repE0EEENS1_30default_config_static_selectorELNS0_4arch9wavefront6targetE0EEEvT1_,comdat
.Lfunc_end2385:
	.size	_ZN7rocprim17ROCPRIM_400000_NS6detail17trampoline_kernelINS0_14default_configENS1_25partition_config_selectorILNS1_17partition_subalgoE5EfNS0_10empty_typeEbEEZZNS1_14partition_implILS5_5ELb0ES3_mN6thrust23THRUST_200600_302600_NS6detail15normal_iteratorINSA_10device_ptrIfEEEEPS6_NSA_18transform_iteratorINSB_9not_fun_tI7is_trueIfEEENSC_INSD_IbEEEENSA_11use_defaultESO_EENS0_5tupleIJSF_S6_EEENSQ_IJSG_SG_EEES6_PlJS6_EEE10hipError_tPvRmT3_T4_T5_T6_T7_T9_mT8_P12ihipStream_tbDpT10_ENKUlT_T0_E_clISt17integral_constantIbLb1EES1C_IbLb0EEEEDaS18_S19_EUlS18_E_NS1_11comp_targetILNS1_3genE2ELNS1_11target_archE906ELNS1_3gpuE6ELNS1_3repE0EEENS1_30default_config_static_selectorELNS0_4arch9wavefront6targetE0EEEvT1_, .Lfunc_end2385-_ZN7rocprim17ROCPRIM_400000_NS6detail17trampoline_kernelINS0_14default_configENS1_25partition_config_selectorILNS1_17partition_subalgoE5EfNS0_10empty_typeEbEEZZNS1_14partition_implILS5_5ELb0ES3_mN6thrust23THRUST_200600_302600_NS6detail15normal_iteratorINSA_10device_ptrIfEEEEPS6_NSA_18transform_iteratorINSB_9not_fun_tI7is_trueIfEEENSC_INSD_IbEEEENSA_11use_defaultESO_EENS0_5tupleIJSF_S6_EEENSQ_IJSG_SG_EEES6_PlJS6_EEE10hipError_tPvRmT3_T4_T5_T6_T7_T9_mT8_P12ihipStream_tbDpT10_ENKUlT_T0_E_clISt17integral_constantIbLb1EES1C_IbLb0EEEEDaS18_S19_EUlS18_E_NS1_11comp_targetILNS1_3genE2ELNS1_11target_archE906ELNS1_3gpuE6ELNS1_3repE0EEENS1_30default_config_static_selectorELNS0_4arch9wavefront6targetE0EEEvT1_
                                        ; -- End function
	.set _ZN7rocprim17ROCPRIM_400000_NS6detail17trampoline_kernelINS0_14default_configENS1_25partition_config_selectorILNS1_17partition_subalgoE5EfNS0_10empty_typeEbEEZZNS1_14partition_implILS5_5ELb0ES3_mN6thrust23THRUST_200600_302600_NS6detail15normal_iteratorINSA_10device_ptrIfEEEEPS6_NSA_18transform_iteratorINSB_9not_fun_tI7is_trueIfEEENSC_INSD_IbEEEENSA_11use_defaultESO_EENS0_5tupleIJSF_S6_EEENSQ_IJSG_SG_EEES6_PlJS6_EEE10hipError_tPvRmT3_T4_T5_T6_T7_T9_mT8_P12ihipStream_tbDpT10_ENKUlT_T0_E_clISt17integral_constantIbLb1EES1C_IbLb0EEEEDaS18_S19_EUlS18_E_NS1_11comp_targetILNS1_3genE2ELNS1_11target_archE906ELNS1_3gpuE6ELNS1_3repE0EEENS1_30default_config_static_selectorELNS0_4arch9wavefront6targetE0EEEvT1_.num_vgpr, 0
	.set _ZN7rocprim17ROCPRIM_400000_NS6detail17trampoline_kernelINS0_14default_configENS1_25partition_config_selectorILNS1_17partition_subalgoE5EfNS0_10empty_typeEbEEZZNS1_14partition_implILS5_5ELb0ES3_mN6thrust23THRUST_200600_302600_NS6detail15normal_iteratorINSA_10device_ptrIfEEEEPS6_NSA_18transform_iteratorINSB_9not_fun_tI7is_trueIfEEENSC_INSD_IbEEEENSA_11use_defaultESO_EENS0_5tupleIJSF_S6_EEENSQ_IJSG_SG_EEES6_PlJS6_EEE10hipError_tPvRmT3_T4_T5_T6_T7_T9_mT8_P12ihipStream_tbDpT10_ENKUlT_T0_E_clISt17integral_constantIbLb1EES1C_IbLb0EEEEDaS18_S19_EUlS18_E_NS1_11comp_targetILNS1_3genE2ELNS1_11target_archE906ELNS1_3gpuE6ELNS1_3repE0EEENS1_30default_config_static_selectorELNS0_4arch9wavefront6targetE0EEEvT1_.num_agpr, 0
	.set _ZN7rocprim17ROCPRIM_400000_NS6detail17trampoline_kernelINS0_14default_configENS1_25partition_config_selectorILNS1_17partition_subalgoE5EfNS0_10empty_typeEbEEZZNS1_14partition_implILS5_5ELb0ES3_mN6thrust23THRUST_200600_302600_NS6detail15normal_iteratorINSA_10device_ptrIfEEEEPS6_NSA_18transform_iteratorINSB_9not_fun_tI7is_trueIfEEENSC_INSD_IbEEEENSA_11use_defaultESO_EENS0_5tupleIJSF_S6_EEENSQ_IJSG_SG_EEES6_PlJS6_EEE10hipError_tPvRmT3_T4_T5_T6_T7_T9_mT8_P12ihipStream_tbDpT10_ENKUlT_T0_E_clISt17integral_constantIbLb1EES1C_IbLb0EEEEDaS18_S19_EUlS18_E_NS1_11comp_targetILNS1_3genE2ELNS1_11target_archE906ELNS1_3gpuE6ELNS1_3repE0EEENS1_30default_config_static_selectorELNS0_4arch9wavefront6targetE0EEEvT1_.numbered_sgpr, 0
	.set _ZN7rocprim17ROCPRIM_400000_NS6detail17trampoline_kernelINS0_14default_configENS1_25partition_config_selectorILNS1_17partition_subalgoE5EfNS0_10empty_typeEbEEZZNS1_14partition_implILS5_5ELb0ES3_mN6thrust23THRUST_200600_302600_NS6detail15normal_iteratorINSA_10device_ptrIfEEEEPS6_NSA_18transform_iteratorINSB_9not_fun_tI7is_trueIfEEENSC_INSD_IbEEEENSA_11use_defaultESO_EENS0_5tupleIJSF_S6_EEENSQ_IJSG_SG_EEES6_PlJS6_EEE10hipError_tPvRmT3_T4_T5_T6_T7_T9_mT8_P12ihipStream_tbDpT10_ENKUlT_T0_E_clISt17integral_constantIbLb1EES1C_IbLb0EEEEDaS18_S19_EUlS18_E_NS1_11comp_targetILNS1_3genE2ELNS1_11target_archE906ELNS1_3gpuE6ELNS1_3repE0EEENS1_30default_config_static_selectorELNS0_4arch9wavefront6targetE0EEEvT1_.num_named_barrier, 0
	.set _ZN7rocprim17ROCPRIM_400000_NS6detail17trampoline_kernelINS0_14default_configENS1_25partition_config_selectorILNS1_17partition_subalgoE5EfNS0_10empty_typeEbEEZZNS1_14partition_implILS5_5ELb0ES3_mN6thrust23THRUST_200600_302600_NS6detail15normal_iteratorINSA_10device_ptrIfEEEEPS6_NSA_18transform_iteratorINSB_9not_fun_tI7is_trueIfEEENSC_INSD_IbEEEENSA_11use_defaultESO_EENS0_5tupleIJSF_S6_EEENSQ_IJSG_SG_EEES6_PlJS6_EEE10hipError_tPvRmT3_T4_T5_T6_T7_T9_mT8_P12ihipStream_tbDpT10_ENKUlT_T0_E_clISt17integral_constantIbLb1EES1C_IbLb0EEEEDaS18_S19_EUlS18_E_NS1_11comp_targetILNS1_3genE2ELNS1_11target_archE906ELNS1_3gpuE6ELNS1_3repE0EEENS1_30default_config_static_selectorELNS0_4arch9wavefront6targetE0EEEvT1_.private_seg_size, 0
	.set _ZN7rocprim17ROCPRIM_400000_NS6detail17trampoline_kernelINS0_14default_configENS1_25partition_config_selectorILNS1_17partition_subalgoE5EfNS0_10empty_typeEbEEZZNS1_14partition_implILS5_5ELb0ES3_mN6thrust23THRUST_200600_302600_NS6detail15normal_iteratorINSA_10device_ptrIfEEEEPS6_NSA_18transform_iteratorINSB_9not_fun_tI7is_trueIfEEENSC_INSD_IbEEEENSA_11use_defaultESO_EENS0_5tupleIJSF_S6_EEENSQ_IJSG_SG_EEES6_PlJS6_EEE10hipError_tPvRmT3_T4_T5_T6_T7_T9_mT8_P12ihipStream_tbDpT10_ENKUlT_T0_E_clISt17integral_constantIbLb1EES1C_IbLb0EEEEDaS18_S19_EUlS18_E_NS1_11comp_targetILNS1_3genE2ELNS1_11target_archE906ELNS1_3gpuE6ELNS1_3repE0EEENS1_30default_config_static_selectorELNS0_4arch9wavefront6targetE0EEEvT1_.uses_vcc, 0
	.set _ZN7rocprim17ROCPRIM_400000_NS6detail17trampoline_kernelINS0_14default_configENS1_25partition_config_selectorILNS1_17partition_subalgoE5EfNS0_10empty_typeEbEEZZNS1_14partition_implILS5_5ELb0ES3_mN6thrust23THRUST_200600_302600_NS6detail15normal_iteratorINSA_10device_ptrIfEEEEPS6_NSA_18transform_iteratorINSB_9not_fun_tI7is_trueIfEEENSC_INSD_IbEEEENSA_11use_defaultESO_EENS0_5tupleIJSF_S6_EEENSQ_IJSG_SG_EEES6_PlJS6_EEE10hipError_tPvRmT3_T4_T5_T6_T7_T9_mT8_P12ihipStream_tbDpT10_ENKUlT_T0_E_clISt17integral_constantIbLb1EES1C_IbLb0EEEEDaS18_S19_EUlS18_E_NS1_11comp_targetILNS1_3genE2ELNS1_11target_archE906ELNS1_3gpuE6ELNS1_3repE0EEENS1_30default_config_static_selectorELNS0_4arch9wavefront6targetE0EEEvT1_.uses_flat_scratch, 0
	.set _ZN7rocprim17ROCPRIM_400000_NS6detail17trampoline_kernelINS0_14default_configENS1_25partition_config_selectorILNS1_17partition_subalgoE5EfNS0_10empty_typeEbEEZZNS1_14partition_implILS5_5ELb0ES3_mN6thrust23THRUST_200600_302600_NS6detail15normal_iteratorINSA_10device_ptrIfEEEEPS6_NSA_18transform_iteratorINSB_9not_fun_tI7is_trueIfEEENSC_INSD_IbEEEENSA_11use_defaultESO_EENS0_5tupleIJSF_S6_EEENSQ_IJSG_SG_EEES6_PlJS6_EEE10hipError_tPvRmT3_T4_T5_T6_T7_T9_mT8_P12ihipStream_tbDpT10_ENKUlT_T0_E_clISt17integral_constantIbLb1EES1C_IbLb0EEEEDaS18_S19_EUlS18_E_NS1_11comp_targetILNS1_3genE2ELNS1_11target_archE906ELNS1_3gpuE6ELNS1_3repE0EEENS1_30default_config_static_selectorELNS0_4arch9wavefront6targetE0EEEvT1_.has_dyn_sized_stack, 0
	.set _ZN7rocprim17ROCPRIM_400000_NS6detail17trampoline_kernelINS0_14default_configENS1_25partition_config_selectorILNS1_17partition_subalgoE5EfNS0_10empty_typeEbEEZZNS1_14partition_implILS5_5ELb0ES3_mN6thrust23THRUST_200600_302600_NS6detail15normal_iteratorINSA_10device_ptrIfEEEEPS6_NSA_18transform_iteratorINSB_9not_fun_tI7is_trueIfEEENSC_INSD_IbEEEENSA_11use_defaultESO_EENS0_5tupleIJSF_S6_EEENSQ_IJSG_SG_EEES6_PlJS6_EEE10hipError_tPvRmT3_T4_T5_T6_T7_T9_mT8_P12ihipStream_tbDpT10_ENKUlT_T0_E_clISt17integral_constantIbLb1EES1C_IbLb0EEEEDaS18_S19_EUlS18_E_NS1_11comp_targetILNS1_3genE2ELNS1_11target_archE906ELNS1_3gpuE6ELNS1_3repE0EEENS1_30default_config_static_selectorELNS0_4arch9wavefront6targetE0EEEvT1_.has_recursion, 0
	.set _ZN7rocprim17ROCPRIM_400000_NS6detail17trampoline_kernelINS0_14default_configENS1_25partition_config_selectorILNS1_17partition_subalgoE5EfNS0_10empty_typeEbEEZZNS1_14partition_implILS5_5ELb0ES3_mN6thrust23THRUST_200600_302600_NS6detail15normal_iteratorINSA_10device_ptrIfEEEEPS6_NSA_18transform_iteratorINSB_9not_fun_tI7is_trueIfEEENSC_INSD_IbEEEENSA_11use_defaultESO_EENS0_5tupleIJSF_S6_EEENSQ_IJSG_SG_EEES6_PlJS6_EEE10hipError_tPvRmT3_T4_T5_T6_T7_T9_mT8_P12ihipStream_tbDpT10_ENKUlT_T0_E_clISt17integral_constantIbLb1EES1C_IbLb0EEEEDaS18_S19_EUlS18_E_NS1_11comp_targetILNS1_3genE2ELNS1_11target_archE906ELNS1_3gpuE6ELNS1_3repE0EEENS1_30default_config_static_selectorELNS0_4arch9wavefront6targetE0EEEvT1_.has_indirect_call, 0
	.section	.AMDGPU.csdata,"",@progbits
; Kernel info:
; codeLenInByte = 0
; TotalNumSgprs: 0
; NumVgprs: 0
; ScratchSize: 0
; MemoryBound: 0
; FloatMode: 240
; IeeeMode: 1
; LDSByteSize: 0 bytes/workgroup (compile time only)
; SGPRBlocks: 0
; VGPRBlocks: 0
; NumSGPRsForWavesPerEU: 1
; NumVGPRsForWavesPerEU: 1
; Occupancy: 16
; WaveLimiterHint : 0
; COMPUTE_PGM_RSRC2:SCRATCH_EN: 0
; COMPUTE_PGM_RSRC2:USER_SGPR: 2
; COMPUTE_PGM_RSRC2:TRAP_HANDLER: 0
; COMPUTE_PGM_RSRC2:TGID_X_EN: 1
; COMPUTE_PGM_RSRC2:TGID_Y_EN: 0
; COMPUTE_PGM_RSRC2:TGID_Z_EN: 0
; COMPUTE_PGM_RSRC2:TIDIG_COMP_CNT: 0
	.section	.text._ZN7rocprim17ROCPRIM_400000_NS6detail17trampoline_kernelINS0_14default_configENS1_25partition_config_selectorILNS1_17partition_subalgoE5EfNS0_10empty_typeEbEEZZNS1_14partition_implILS5_5ELb0ES3_mN6thrust23THRUST_200600_302600_NS6detail15normal_iteratorINSA_10device_ptrIfEEEEPS6_NSA_18transform_iteratorINSB_9not_fun_tI7is_trueIfEEENSC_INSD_IbEEEENSA_11use_defaultESO_EENS0_5tupleIJSF_S6_EEENSQ_IJSG_SG_EEES6_PlJS6_EEE10hipError_tPvRmT3_T4_T5_T6_T7_T9_mT8_P12ihipStream_tbDpT10_ENKUlT_T0_E_clISt17integral_constantIbLb1EES1C_IbLb0EEEEDaS18_S19_EUlS18_E_NS1_11comp_targetILNS1_3genE10ELNS1_11target_archE1200ELNS1_3gpuE4ELNS1_3repE0EEENS1_30default_config_static_selectorELNS0_4arch9wavefront6targetE0EEEvT1_,"axG",@progbits,_ZN7rocprim17ROCPRIM_400000_NS6detail17trampoline_kernelINS0_14default_configENS1_25partition_config_selectorILNS1_17partition_subalgoE5EfNS0_10empty_typeEbEEZZNS1_14partition_implILS5_5ELb0ES3_mN6thrust23THRUST_200600_302600_NS6detail15normal_iteratorINSA_10device_ptrIfEEEEPS6_NSA_18transform_iteratorINSB_9not_fun_tI7is_trueIfEEENSC_INSD_IbEEEENSA_11use_defaultESO_EENS0_5tupleIJSF_S6_EEENSQ_IJSG_SG_EEES6_PlJS6_EEE10hipError_tPvRmT3_T4_T5_T6_T7_T9_mT8_P12ihipStream_tbDpT10_ENKUlT_T0_E_clISt17integral_constantIbLb1EES1C_IbLb0EEEEDaS18_S19_EUlS18_E_NS1_11comp_targetILNS1_3genE10ELNS1_11target_archE1200ELNS1_3gpuE4ELNS1_3repE0EEENS1_30default_config_static_selectorELNS0_4arch9wavefront6targetE0EEEvT1_,comdat
	.protected	_ZN7rocprim17ROCPRIM_400000_NS6detail17trampoline_kernelINS0_14default_configENS1_25partition_config_selectorILNS1_17partition_subalgoE5EfNS0_10empty_typeEbEEZZNS1_14partition_implILS5_5ELb0ES3_mN6thrust23THRUST_200600_302600_NS6detail15normal_iteratorINSA_10device_ptrIfEEEEPS6_NSA_18transform_iteratorINSB_9not_fun_tI7is_trueIfEEENSC_INSD_IbEEEENSA_11use_defaultESO_EENS0_5tupleIJSF_S6_EEENSQ_IJSG_SG_EEES6_PlJS6_EEE10hipError_tPvRmT3_T4_T5_T6_T7_T9_mT8_P12ihipStream_tbDpT10_ENKUlT_T0_E_clISt17integral_constantIbLb1EES1C_IbLb0EEEEDaS18_S19_EUlS18_E_NS1_11comp_targetILNS1_3genE10ELNS1_11target_archE1200ELNS1_3gpuE4ELNS1_3repE0EEENS1_30default_config_static_selectorELNS0_4arch9wavefront6targetE0EEEvT1_ ; -- Begin function _ZN7rocprim17ROCPRIM_400000_NS6detail17trampoline_kernelINS0_14default_configENS1_25partition_config_selectorILNS1_17partition_subalgoE5EfNS0_10empty_typeEbEEZZNS1_14partition_implILS5_5ELb0ES3_mN6thrust23THRUST_200600_302600_NS6detail15normal_iteratorINSA_10device_ptrIfEEEEPS6_NSA_18transform_iteratorINSB_9not_fun_tI7is_trueIfEEENSC_INSD_IbEEEENSA_11use_defaultESO_EENS0_5tupleIJSF_S6_EEENSQ_IJSG_SG_EEES6_PlJS6_EEE10hipError_tPvRmT3_T4_T5_T6_T7_T9_mT8_P12ihipStream_tbDpT10_ENKUlT_T0_E_clISt17integral_constantIbLb1EES1C_IbLb0EEEEDaS18_S19_EUlS18_E_NS1_11comp_targetILNS1_3genE10ELNS1_11target_archE1200ELNS1_3gpuE4ELNS1_3repE0EEENS1_30default_config_static_selectorELNS0_4arch9wavefront6targetE0EEEvT1_
	.globl	_ZN7rocprim17ROCPRIM_400000_NS6detail17trampoline_kernelINS0_14default_configENS1_25partition_config_selectorILNS1_17partition_subalgoE5EfNS0_10empty_typeEbEEZZNS1_14partition_implILS5_5ELb0ES3_mN6thrust23THRUST_200600_302600_NS6detail15normal_iteratorINSA_10device_ptrIfEEEEPS6_NSA_18transform_iteratorINSB_9not_fun_tI7is_trueIfEEENSC_INSD_IbEEEENSA_11use_defaultESO_EENS0_5tupleIJSF_S6_EEENSQ_IJSG_SG_EEES6_PlJS6_EEE10hipError_tPvRmT3_T4_T5_T6_T7_T9_mT8_P12ihipStream_tbDpT10_ENKUlT_T0_E_clISt17integral_constantIbLb1EES1C_IbLb0EEEEDaS18_S19_EUlS18_E_NS1_11comp_targetILNS1_3genE10ELNS1_11target_archE1200ELNS1_3gpuE4ELNS1_3repE0EEENS1_30default_config_static_selectorELNS0_4arch9wavefront6targetE0EEEvT1_
	.p2align	8
	.type	_ZN7rocprim17ROCPRIM_400000_NS6detail17trampoline_kernelINS0_14default_configENS1_25partition_config_selectorILNS1_17partition_subalgoE5EfNS0_10empty_typeEbEEZZNS1_14partition_implILS5_5ELb0ES3_mN6thrust23THRUST_200600_302600_NS6detail15normal_iteratorINSA_10device_ptrIfEEEEPS6_NSA_18transform_iteratorINSB_9not_fun_tI7is_trueIfEEENSC_INSD_IbEEEENSA_11use_defaultESO_EENS0_5tupleIJSF_S6_EEENSQ_IJSG_SG_EEES6_PlJS6_EEE10hipError_tPvRmT3_T4_T5_T6_T7_T9_mT8_P12ihipStream_tbDpT10_ENKUlT_T0_E_clISt17integral_constantIbLb1EES1C_IbLb0EEEEDaS18_S19_EUlS18_E_NS1_11comp_targetILNS1_3genE10ELNS1_11target_archE1200ELNS1_3gpuE4ELNS1_3repE0EEENS1_30default_config_static_selectorELNS0_4arch9wavefront6targetE0EEEvT1_,@function
_ZN7rocprim17ROCPRIM_400000_NS6detail17trampoline_kernelINS0_14default_configENS1_25partition_config_selectorILNS1_17partition_subalgoE5EfNS0_10empty_typeEbEEZZNS1_14partition_implILS5_5ELb0ES3_mN6thrust23THRUST_200600_302600_NS6detail15normal_iteratorINSA_10device_ptrIfEEEEPS6_NSA_18transform_iteratorINSB_9not_fun_tI7is_trueIfEEENSC_INSD_IbEEEENSA_11use_defaultESO_EENS0_5tupleIJSF_S6_EEENSQ_IJSG_SG_EEES6_PlJS6_EEE10hipError_tPvRmT3_T4_T5_T6_T7_T9_mT8_P12ihipStream_tbDpT10_ENKUlT_T0_E_clISt17integral_constantIbLb1EES1C_IbLb0EEEEDaS18_S19_EUlS18_E_NS1_11comp_targetILNS1_3genE10ELNS1_11target_archE1200ELNS1_3gpuE4ELNS1_3repE0EEENS1_30default_config_static_selectorELNS0_4arch9wavefront6targetE0EEEvT1_: ; @_ZN7rocprim17ROCPRIM_400000_NS6detail17trampoline_kernelINS0_14default_configENS1_25partition_config_selectorILNS1_17partition_subalgoE5EfNS0_10empty_typeEbEEZZNS1_14partition_implILS5_5ELb0ES3_mN6thrust23THRUST_200600_302600_NS6detail15normal_iteratorINSA_10device_ptrIfEEEEPS6_NSA_18transform_iteratorINSB_9not_fun_tI7is_trueIfEEENSC_INSD_IbEEEENSA_11use_defaultESO_EENS0_5tupleIJSF_S6_EEENSQ_IJSG_SG_EEES6_PlJS6_EEE10hipError_tPvRmT3_T4_T5_T6_T7_T9_mT8_P12ihipStream_tbDpT10_ENKUlT_T0_E_clISt17integral_constantIbLb1EES1C_IbLb0EEEEDaS18_S19_EUlS18_E_NS1_11comp_targetILNS1_3genE10ELNS1_11target_archE1200ELNS1_3gpuE4ELNS1_3repE0EEENS1_30default_config_static_selectorELNS0_4arch9wavefront6targetE0EEEvT1_
; %bb.0:
	s_endpgm
	.section	.rodata,"a",@progbits
	.p2align	6, 0x0
	.amdhsa_kernel _ZN7rocprim17ROCPRIM_400000_NS6detail17trampoline_kernelINS0_14default_configENS1_25partition_config_selectorILNS1_17partition_subalgoE5EfNS0_10empty_typeEbEEZZNS1_14partition_implILS5_5ELb0ES3_mN6thrust23THRUST_200600_302600_NS6detail15normal_iteratorINSA_10device_ptrIfEEEEPS6_NSA_18transform_iteratorINSB_9not_fun_tI7is_trueIfEEENSC_INSD_IbEEEENSA_11use_defaultESO_EENS0_5tupleIJSF_S6_EEENSQ_IJSG_SG_EEES6_PlJS6_EEE10hipError_tPvRmT3_T4_T5_T6_T7_T9_mT8_P12ihipStream_tbDpT10_ENKUlT_T0_E_clISt17integral_constantIbLb1EES1C_IbLb0EEEEDaS18_S19_EUlS18_E_NS1_11comp_targetILNS1_3genE10ELNS1_11target_archE1200ELNS1_3gpuE4ELNS1_3repE0EEENS1_30default_config_static_selectorELNS0_4arch9wavefront6targetE0EEEvT1_
		.amdhsa_group_segment_fixed_size 0
		.amdhsa_private_segment_fixed_size 0
		.amdhsa_kernarg_size 120
		.amdhsa_user_sgpr_count 2
		.amdhsa_user_sgpr_dispatch_ptr 0
		.amdhsa_user_sgpr_queue_ptr 0
		.amdhsa_user_sgpr_kernarg_segment_ptr 1
		.amdhsa_user_sgpr_dispatch_id 0
		.amdhsa_user_sgpr_private_segment_size 0
		.amdhsa_wavefront_size32 1
		.amdhsa_uses_dynamic_stack 0
		.amdhsa_enable_private_segment 0
		.amdhsa_system_sgpr_workgroup_id_x 1
		.amdhsa_system_sgpr_workgroup_id_y 0
		.amdhsa_system_sgpr_workgroup_id_z 0
		.amdhsa_system_sgpr_workgroup_info 0
		.amdhsa_system_vgpr_workitem_id 0
		.amdhsa_next_free_vgpr 1
		.amdhsa_next_free_sgpr 1
		.amdhsa_reserve_vcc 0
		.amdhsa_float_round_mode_32 0
		.amdhsa_float_round_mode_16_64 0
		.amdhsa_float_denorm_mode_32 3
		.amdhsa_float_denorm_mode_16_64 3
		.amdhsa_fp16_overflow 0
		.amdhsa_workgroup_processor_mode 1
		.amdhsa_memory_ordered 1
		.amdhsa_forward_progress 1
		.amdhsa_inst_pref_size 1
		.amdhsa_round_robin_scheduling 0
		.amdhsa_exception_fp_ieee_invalid_op 0
		.amdhsa_exception_fp_denorm_src 0
		.amdhsa_exception_fp_ieee_div_zero 0
		.amdhsa_exception_fp_ieee_overflow 0
		.amdhsa_exception_fp_ieee_underflow 0
		.amdhsa_exception_fp_ieee_inexact 0
		.amdhsa_exception_int_div_zero 0
	.end_amdhsa_kernel
	.section	.text._ZN7rocprim17ROCPRIM_400000_NS6detail17trampoline_kernelINS0_14default_configENS1_25partition_config_selectorILNS1_17partition_subalgoE5EfNS0_10empty_typeEbEEZZNS1_14partition_implILS5_5ELb0ES3_mN6thrust23THRUST_200600_302600_NS6detail15normal_iteratorINSA_10device_ptrIfEEEEPS6_NSA_18transform_iteratorINSB_9not_fun_tI7is_trueIfEEENSC_INSD_IbEEEENSA_11use_defaultESO_EENS0_5tupleIJSF_S6_EEENSQ_IJSG_SG_EEES6_PlJS6_EEE10hipError_tPvRmT3_T4_T5_T6_T7_T9_mT8_P12ihipStream_tbDpT10_ENKUlT_T0_E_clISt17integral_constantIbLb1EES1C_IbLb0EEEEDaS18_S19_EUlS18_E_NS1_11comp_targetILNS1_3genE10ELNS1_11target_archE1200ELNS1_3gpuE4ELNS1_3repE0EEENS1_30default_config_static_selectorELNS0_4arch9wavefront6targetE0EEEvT1_,"axG",@progbits,_ZN7rocprim17ROCPRIM_400000_NS6detail17trampoline_kernelINS0_14default_configENS1_25partition_config_selectorILNS1_17partition_subalgoE5EfNS0_10empty_typeEbEEZZNS1_14partition_implILS5_5ELb0ES3_mN6thrust23THRUST_200600_302600_NS6detail15normal_iteratorINSA_10device_ptrIfEEEEPS6_NSA_18transform_iteratorINSB_9not_fun_tI7is_trueIfEEENSC_INSD_IbEEEENSA_11use_defaultESO_EENS0_5tupleIJSF_S6_EEENSQ_IJSG_SG_EEES6_PlJS6_EEE10hipError_tPvRmT3_T4_T5_T6_T7_T9_mT8_P12ihipStream_tbDpT10_ENKUlT_T0_E_clISt17integral_constantIbLb1EES1C_IbLb0EEEEDaS18_S19_EUlS18_E_NS1_11comp_targetILNS1_3genE10ELNS1_11target_archE1200ELNS1_3gpuE4ELNS1_3repE0EEENS1_30default_config_static_selectorELNS0_4arch9wavefront6targetE0EEEvT1_,comdat
.Lfunc_end2386:
	.size	_ZN7rocprim17ROCPRIM_400000_NS6detail17trampoline_kernelINS0_14default_configENS1_25partition_config_selectorILNS1_17partition_subalgoE5EfNS0_10empty_typeEbEEZZNS1_14partition_implILS5_5ELb0ES3_mN6thrust23THRUST_200600_302600_NS6detail15normal_iteratorINSA_10device_ptrIfEEEEPS6_NSA_18transform_iteratorINSB_9not_fun_tI7is_trueIfEEENSC_INSD_IbEEEENSA_11use_defaultESO_EENS0_5tupleIJSF_S6_EEENSQ_IJSG_SG_EEES6_PlJS6_EEE10hipError_tPvRmT3_T4_T5_T6_T7_T9_mT8_P12ihipStream_tbDpT10_ENKUlT_T0_E_clISt17integral_constantIbLb1EES1C_IbLb0EEEEDaS18_S19_EUlS18_E_NS1_11comp_targetILNS1_3genE10ELNS1_11target_archE1200ELNS1_3gpuE4ELNS1_3repE0EEENS1_30default_config_static_selectorELNS0_4arch9wavefront6targetE0EEEvT1_, .Lfunc_end2386-_ZN7rocprim17ROCPRIM_400000_NS6detail17trampoline_kernelINS0_14default_configENS1_25partition_config_selectorILNS1_17partition_subalgoE5EfNS0_10empty_typeEbEEZZNS1_14partition_implILS5_5ELb0ES3_mN6thrust23THRUST_200600_302600_NS6detail15normal_iteratorINSA_10device_ptrIfEEEEPS6_NSA_18transform_iteratorINSB_9not_fun_tI7is_trueIfEEENSC_INSD_IbEEEENSA_11use_defaultESO_EENS0_5tupleIJSF_S6_EEENSQ_IJSG_SG_EEES6_PlJS6_EEE10hipError_tPvRmT3_T4_T5_T6_T7_T9_mT8_P12ihipStream_tbDpT10_ENKUlT_T0_E_clISt17integral_constantIbLb1EES1C_IbLb0EEEEDaS18_S19_EUlS18_E_NS1_11comp_targetILNS1_3genE10ELNS1_11target_archE1200ELNS1_3gpuE4ELNS1_3repE0EEENS1_30default_config_static_selectorELNS0_4arch9wavefront6targetE0EEEvT1_
                                        ; -- End function
	.set _ZN7rocprim17ROCPRIM_400000_NS6detail17trampoline_kernelINS0_14default_configENS1_25partition_config_selectorILNS1_17partition_subalgoE5EfNS0_10empty_typeEbEEZZNS1_14partition_implILS5_5ELb0ES3_mN6thrust23THRUST_200600_302600_NS6detail15normal_iteratorINSA_10device_ptrIfEEEEPS6_NSA_18transform_iteratorINSB_9not_fun_tI7is_trueIfEEENSC_INSD_IbEEEENSA_11use_defaultESO_EENS0_5tupleIJSF_S6_EEENSQ_IJSG_SG_EEES6_PlJS6_EEE10hipError_tPvRmT3_T4_T5_T6_T7_T9_mT8_P12ihipStream_tbDpT10_ENKUlT_T0_E_clISt17integral_constantIbLb1EES1C_IbLb0EEEEDaS18_S19_EUlS18_E_NS1_11comp_targetILNS1_3genE10ELNS1_11target_archE1200ELNS1_3gpuE4ELNS1_3repE0EEENS1_30default_config_static_selectorELNS0_4arch9wavefront6targetE0EEEvT1_.num_vgpr, 0
	.set _ZN7rocprim17ROCPRIM_400000_NS6detail17trampoline_kernelINS0_14default_configENS1_25partition_config_selectorILNS1_17partition_subalgoE5EfNS0_10empty_typeEbEEZZNS1_14partition_implILS5_5ELb0ES3_mN6thrust23THRUST_200600_302600_NS6detail15normal_iteratorINSA_10device_ptrIfEEEEPS6_NSA_18transform_iteratorINSB_9not_fun_tI7is_trueIfEEENSC_INSD_IbEEEENSA_11use_defaultESO_EENS0_5tupleIJSF_S6_EEENSQ_IJSG_SG_EEES6_PlJS6_EEE10hipError_tPvRmT3_T4_T5_T6_T7_T9_mT8_P12ihipStream_tbDpT10_ENKUlT_T0_E_clISt17integral_constantIbLb1EES1C_IbLb0EEEEDaS18_S19_EUlS18_E_NS1_11comp_targetILNS1_3genE10ELNS1_11target_archE1200ELNS1_3gpuE4ELNS1_3repE0EEENS1_30default_config_static_selectorELNS0_4arch9wavefront6targetE0EEEvT1_.num_agpr, 0
	.set _ZN7rocprim17ROCPRIM_400000_NS6detail17trampoline_kernelINS0_14default_configENS1_25partition_config_selectorILNS1_17partition_subalgoE5EfNS0_10empty_typeEbEEZZNS1_14partition_implILS5_5ELb0ES3_mN6thrust23THRUST_200600_302600_NS6detail15normal_iteratorINSA_10device_ptrIfEEEEPS6_NSA_18transform_iteratorINSB_9not_fun_tI7is_trueIfEEENSC_INSD_IbEEEENSA_11use_defaultESO_EENS0_5tupleIJSF_S6_EEENSQ_IJSG_SG_EEES6_PlJS6_EEE10hipError_tPvRmT3_T4_T5_T6_T7_T9_mT8_P12ihipStream_tbDpT10_ENKUlT_T0_E_clISt17integral_constantIbLb1EES1C_IbLb0EEEEDaS18_S19_EUlS18_E_NS1_11comp_targetILNS1_3genE10ELNS1_11target_archE1200ELNS1_3gpuE4ELNS1_3repE0EEENS1_30default_config_static_selectorELNS0_4arch9wavefront6targetE0EEEvT1_.numbered_sgpr, 0
	.set _ZN7rocprim17ROCPRIM_400000_NS6detail17trampoline_kernelINS0_14default_configENS1_25partition_config_selectorILNS1_17partition_subalgoE5EfNS0_10empty_typeEbEEZZNS1_14partition_implILS5_5ELb0ES3_mN6thrust23THRUST_200600_302600_NS6detail15normal_iteratorINSA_10device_ptrIfEEEEPS6_NSA_18transform_iteratorINSB_9not_fun_tI7is_trueIfEEENSC_INSD_IbEEEENSA_11use_defaultESO_EENS0_5tupleIJSF_S6_EEENSQ_IJSG_SG_EEES6_PlJS6_EEE10hipError_tPvRmT3_T4_T5_T6_T7_T9_mT8_P12ihipStream_tbDpT10_ENKUlT_T0_E_clISt17integral_constantIbLb1EES1C_IbLb0EEEEDaS18_S19_EUlS18_E_NS1_11comp_targetILNS1_3genE10ELNS1_11target_archE1200ELNS1_3gpuE4ELNS1_3repE0EEENS1_30default_config_static_selectorELNS0_4arch9wavefront6targetE0EEEvT1_.num_named_barrier, 0
	.set _ZN7rocprim17ROCPRIM_400000_NS6detail17trampoline_kernelINS0_14default_configENS1_25partition_config_selectorILNS1_17partition_subalgoE5EfNS0_10empty_typeEbEEZZNS1_14partition_implILS5_5ELb0ES3_mN6thrust23THRUST_200600_302600_NS6detail15normal_iteratorINSA_10device_ptrIfEEEEPS6_NSA_18transform_iteratorINSB_9not_fun_tI7is_trueIfEEENSC_INSD_IbEEEENSA_11use_defaultESO_EENS0_5tupleIJSF_S6_EEENSQ_IJSG_SG_EEES6_PlJS6_EEE10hipError_tPvRmT3_T4_T5_T6_T7_T9_mT8_P12ihipStream_tbDpT10_ENKUlT_T0_E_clISt17integral_constantIbLb1EES1C_IbLb0EEEEDaS18_S19_EUlS18_E_NS1_11comp_targetILNS1_3genE10ELNS1_11target_archE1200ELNS1_3gpuE4ELNS1_3repE0EEENS1_30default_config_static_selectorELNS0_4arch9wavefront6targetE0EEEvT1_.private_seg_size, 0
	.set _ZN7rocprim17ROCPRIM_400000_NS6detail17trampoline_kernelINS0_14default_configENS1_25partition_config_selectorILNS1_17partition_subalgoE5EfNS0_10empty_typeEbEEZZNS1_14partition_implILS5_5ELb0ES3_mN6thrust23THRUST_200600_302600_NS6detail15normal_iteratorINSA_10device_ptrIfEEEEPS6_NSA_18transform_iteratorINSB_9not_fun_tI7is_trueIfEEENSC_INSD_IbEEEENSA_11use_defaultESO_EENS0_5tupleIJSF_S6_EEENSQ_IJSG_SG_EEES6_PlJS6_EEE10hipError_tPvRmT3_T4_T5_T6_T7_T9_mT8_P12ihipStream_tbDpT10_ENKUlT_T0_E_clISt17integral_constantIbLb1EES1C_IbLb0EEEEDaS18_S19_EUlS18_E_NS1_11comp_targetILNS1_3genE10ELNS1_11target_archE1200ELNS1_3gpuE4ELNS1_3repE0EEENS1_30default_config_static_selectorELNS0_4arch9wavefront6targetE0EEEvT1_.uses_vcc, 0
	.set _ZN7rocprim17ROCPRIM_400000_NS6detail17trampoline_kernelINS0_14default_configENS1_25partition_config_selectorILNS1_17partition_subalgoE5EfNS0_10empty_typeEbEEZZNS1_14partition_implILS5_5ELb0ES3_mN6thrust23THRUST_200600_302600_NS6detail15normal_iteratorINSA_10device_ptrIfEEEEPS6_NSA_18transform_iteratorINSB_9not_fun_tI7is_trueIfEEENSC_INSD_IbEEEENSA_11use_defaultESO_EENS0_5tupleIJSF_S6_EEENSQ_IJSG_SG_EEES6_PlJS6_EEE10hipError_tPvRmT3_T4_T5_T6_T7_T9_mT8_P12ihipStream_tbDpT10_ENKUlT_T0_E_clISt17integral_constantIbLb1EES1C_IbLb0EEEEDaS18_S19_EUlS18_E_NS1_11comp_targetILNS1_3genE10ELNS1_11target_archE1200ELNS1_3gpuE4ELNS1_3repE0EEENS1_30default_config_static_selectorELNS0_4arch9wavefront6targetE0EEEvT1_.uses_flat_scratch, 0
	.set _ZN7rocprim17ROCPRIM_400000_NS6detail17trampoline_kernelINS0_14default_configENS1_25partition_config_selectorILNS1_17partition_subalgoE5EfNS0_10empty_typeEbEEZZNS1_14partition_implILS5_5ELb0ES3_mN6thrust23THRUST_200600_302600_NS6detail15normal_iteratorINSA_10device_ptrIfEEEEPS6_NSA_18transform_iteratorINSB_9not_fun_tI7is_trueIfEEENSC_INSD_IbEEEENSA_11use_defaultESO_EENS0_5tupleIJSF_S6_EEENSQ_IJSG_SG_EEES6_PlJS6_EEE10hipError_tPvRmT3_T4_T5_T6_T7_T9_mT8_P12ihipStream_tbDpT10_ENKUlT_T0_E_clISt17integral_constantIbLb1EES1C_IbLb0EEEEDaS18_S19_EUlS18_E_NS1_11comp_targetILNS1_3genE10ELNS1_11target_archE1200ELNS1_3gpuE4ELNS1_3repE0EEENS1_30default_config_static_selectorELNS0_4arch9wavefront6targetE0EEEvT1_.has_dyn_sized_stack, 0
	.set _ZN7rocprim17ROCPRIM_400000_NS6detail17trampoline_kernelINS0_14default_configENS1_25partition_config_selectorILNS1_17partition_subalgoE5EfNS0_10empty_typeEbEEZZNS1_14partition_implILS5_5ELb0ES3_mN6thrust23THRUST_200600_302600_NS6detail15normal_iteratorINSA_10device_ptrIfEEEEPS6_NSA_18transform_iteratorINSB_9not_fun_tI7is_trueIfEEENSC_INSD_IbEEEENSA_11use_defaultESO_EENS0_5tupleIJSF_S6_EEENSQ_IJSG_SG_EEES6_PlJS6_EEE10hipError_tPvRmT3_T4_T5_T6_T7_T9_mT8_P12ihipStream_tbDpT10_ENKUlT_T0_E_clISt17integral_constantIbLb1EES1C_IbLb0EEEEDaS18_S19_EUlS18_E_NS1_11comp_targetILNS1_3genE10ELNS1_11target_archE1200ELNS1_3gpuE4ELNS1_3repE0EEENS1_30default_config_static_selectorELNS0_4arch9wavefront6targetE0EEEvT1_.has_recursion, 0
	.set _ZN7rocprim17ROCPRIM_400000_NS6detail17trampoline_kernelINS0_14default_configENS1_25partition_config_selectorILNS1_17partition_subalgoE5EfNS0_10empty_typeEbEEZZNS1_14partition_implILS5_5ELb0ES3_mN6thrust23THRUST_200600_302600_NS6detail15normal_iteratorINSA_10device_ptrIfEEEEPS6_NSA_18transform_iteratorINSB_9not_fun_tI7is_trueIfEEENSC_INSD_IbEEEENSA_11use_defaultESO_EENS0_5tupleIJSF_S6_EEENSQ_IJSG_SG_EEES6_PlJS6_EEE10hipError_tPvRmT3_T4_T5_T6_T7_T9_mT8_P12ihipStream_tbDpT10_ENKUlT_T0_E_clISt17integral_constantIbLb1EES1C_IbLb0EEEEDaS18_S19_EUlS18_E_NS1_11comp_targetILNS1_3genE10ELNS1_11target_archE1200ELNS1_3gpuE4ELNS1_3repE0EEENS1_30default_config_static_selectorELNS0_4arch9wavefront6targetE0EEEvT1_.has_indirect_call, 0
	.section	.AMDGPU.csdata,"",@progbits
; Kernel info:
; codeLenInByte = 4
; TotalNumSgprs: 0
; NumVgprs: 0
; ScratchSize: 0
; MemoryBound: 0
; FloatMode: 240
; IeeeMode: 1
; LDSByteSize: 0 bytes/workgroup (compile time only)
; SGPRBlocks: 0
; VGPRBlocks: 0
; NumSGPRsForWavesPerEU: 1
; NumVGPRsForWavesPerEU: 1
; Occupancy: 16
; WaveLimiterHint : 0
; COMPUTE_PGM_RSRC2:SCRATCH_EN: 0
; COMPUTE_PGM_RSRC2:USER_SGPR: 2
; COMPUTE_PGM_RSRC2:TRAP_HANDLER: 0
; COMPUTE_PGM_RSRC2:TGID_X_EN: 1
; COMPUTE_PGM_RSRC2:TGID_Y_EN: 0
; COMPUTE_PGM_RSRC2:TGID_Z_EN: 0
; COMPUTE_PGM_RSRC2:TIDIG_COMP_CNT: 0
	.section	.text._ZN7rocprim17ROCPRIM_400000_NS6detail17trampoline_kernelINS0_14default_configENS1_25partition_config_selectorILNS1_17partition_subalgoE5EfNS0_10empty_typeEbEEZZNS1_14partition_implILS5_5ELb0ES3_mN6thrust23THRUST_200600_302600_NS6detail15normal_iteratorINSA_10device_ptrIfEEEEPS6_NSA_18transform_iteratorINSB_9not_fun_tI7is_trueIfEEENSC_INSD_IbEEEENSA_11use_defaultESO_EENS0_5tupleIJSF_S6_EEENSQ_IJSG_SG_EEES6_PlJS6_EEE10hipError_tPvRmT3_T4_T5_T6_T7_T9_mT8_P12ihipStream_tbDpT10_ENKUlT_T0_E_clISt17integral_constantIbLb1EES1C_IbLb0EEEEDaS18_S19_EUlS18_E_NS1_11comp_targetILNS1_3genE9ELNS1_11target_archE1100ELNS1_3gpuE3ELNS1_3repE0EEENS1_30default_config_static_selectorELNS0_4arch9wavefront6targetE0EEEvT1_,"axG",@progbits,_ZN7rocprim17ROCPRIM_400000_NS6detail17trampoline_kernelINS0_14default_configENS1_25partition_config_selectorILNS1_17partition_subalgoE5EfNS0_10empty_typeEbEEZZNS1_14partition_implILS5_5ELb0ES3_mN6thrust23THRUST_200600_302600_NS6detail15normal_iteratorINSA_10device_ptrIfEEEEPS6_NSA_18transform_iteratorINSB_9not_fun_tI7is_trueIfEEENSC_INSD_IbEEEENSA_11use_defaultESO_EENS0_5tupleIJSF_S6_EEENSQ_IJSG_SG_EEES6_PlJS6_EEE10hipError_tPvRmT3_T4_T5_T6_T7_T9_mT8_P12ihipStream_tbDpT10_ENKUlT_T0_E_clISt17integral_constantIbLb1EES1C_IbLb0EEEEDaS18_S19_EUlS18_E_NS1_11comp_targetILNS1_3genE9ELNS1_11target_archE1100ELNS1_3gpuE3ELNS1_3repE0EEENS1_30default_config_static_selectorELNS0_4arch9wavefront6targetE0EEEvT1_,comdat
	.protected	_ZN7rocprim17ROCPRIM_400000_NS6detail17trampoline_kernelINS0_14default_configENS1_25partition_config_selectorILNS1_17partition_subalgoE5EfNS0_10empty_typeEbEEZZNS1_14partition_implILS5_5ELb0ES3_mN6thrust23THRUST_200600_302600_NS6detail15normal_iteratorINSA_10device_ptrIfEEEEPS6_NSA_18transform_iteratorINSB_9not_fun_tI7is_trueIfEEENSC_INSD_IbEEEENSA_11use_defaultESO_EENS0_5tupleIJSF_S6_EEENSQ_IJSG_SG_EEES6_PlJS6_EEE10hipError_tPvRmT3_T4_T5_T6_T7_T9_mT8_P12ihipStream_tbDpT10_ENKUlT_T0_E_clISt17integral_constantIbLb1EES1C_IbLb0EEEEDaS18_S19_EUlS18_E_NS1_11comp_targetILNS1_3genE9ELNS1_11target_archE1100ELNS1_3gpuE3ELNS1_3repE0EEENS1_30default_config_static_selectorELNS0_4arch9wavefront6targetE0EEEvT1_ ; -- Begin function _ZN7rocprim17ROCPRIM_400000_NS6detail17trampoline_kernelINS0_14default_configENS1_25partition_config_selectorILNS1_17partition_subalgoE5EfNS0_10empty_typeEbEEZZNS1_14partition_implILS5_5ELb0ES3_mN6thrust23THRUST_200600_302600_NS6detail15normal_iteratorINSA_10device_ptrIfEEEEPS6_NSA_18transform_iteratorINSB_9not_fun_tI7is_trueIfEEENSC_INSD_IbEEEENSA_11use_defaultESO_EENS0_5tupleIJSF_S6_EEENSQ_IJSG_SG_EEES6_PlJS6_EEE10hipError_tPvRmT3_T4_T5_T6_T7_T9_mT8_P12ihipStream_tbDpT10_ENKUlT_T0_E_clISt17integral_constantIbLb1EES1C_IbLb0EEEEDaS18_S19_EUlS18_E_NS1_11comp_targetILNS1_3genE9ELNS1_11target_archE1100ELNS1_3gpuE3ELNS1_3repE0EEENS1_30default_config_static_selectorELNS0_4arch9wavefront6targetE0EEEvT1_
	.globl	_ZN7rocprim17ROCPRIM_400000_NS6detail17trampoline_kernelINS0_14default_configENS1_25partition_config_selectorILNS1_17partition_subalgoE5EfNS0_10empty_typeEbEEZZNS1_14partition_implILS5_5ELb0ES3_mN6thrust23THRUST_200600_302600_NS6detail15normal_iteratorINSA_10device_ptrIfEEEEPS6_NSA_18transform_iteratorINSB_9not_fun_tI7is_trueIfEEENSC_INSD_IbEEEENSA_11use_defaultESO_EENS0_5tupleIJSF_S6_EEENSQ_IJSG_SG_EEES6_PlJS6_EEE10hipError_tPvRmT3_T4_T5_T6_T7_T9_mT8_P12ihipStream_tbDpT10_ENKUlT_T0_E_clISt17integral_constantIbLb1EES1C_IbLb0EEEEDaS18_S19_EUlS18_E_NS1_11comp_targetILNS1_3genE9ELNS1_11target_archE1100ELNS1_3gpuE3ELNS1_3repE0EEENS1_30default_config_static_selectorELNS0_4arch9wavefront6targetE0EEEvT1_
	.p2align	8
	.type	_ZN7rocprim17ROCPRIM_400000_NS6detail17trampoline_kernelINS0_14default_configENS1_25partition_config_selectorILNS1_17partition_subalgoE5EfNS0_10empty_typeEbEEZZNS1_14partition_implILS5_5ELb0ES3_mN6thrust23THRUST_200600_302600_NS6detail15normal_iteratorINSA_10device_ptrIfEEEEPS6_NSA_18transform_iteratorINSB_9not_fun_tI7is_trueIfEEENSC_INSD_IbEEEENSA_11use_defaultESO_EENS0_5tupleIJSF_S6_EEENSQ_IJSG_SG_EEES6_PlJS6_EEE10hipError_tPvRmT3_T4_T5_T6_T7_T9_mT8_P12ihipStream_tbDpT10_ENKUlT_T0_E_clISt17integral_constantIbLb1EES1C_IbLb0EEEEDaS18_S19_EUlS18_E_NS1_11comp_targetILNS1_3genE9ELNS1_11target_archE1100ELNS1_3gpuE3ELNS1_3repE0EEENS1_30default_config_static_selectorELNS0_4arch9wavefront6targetE0EEEvT1_,@function
_ZN7rocprim17ROCPRIM_400000_NS6detail17trampoline_kernelINS0_14default_configENS1_25partition_config_selectorILNS1_17partition_subalgoE5EfNS0_10empty_typeEbEEZZNS1_14partition_implILS5_5ELb0ES3_mN6thrust23THRUST_200600_302600_NS6detail15normal_iteratorINSA_10device_ptrIfEEEEPS6_NSA_18transform_iteratorINSB_9not_fun_tI7is_trueIfEEENSC_INSD_IbEEEENSA_11use_defaultESO_EENS0_5tupleIJSF_S6_EEENSQ_IJSG_SG_EEES6_PlJS6_EEE10hipError_tPvRmT3_T4_T5_T6_T7_T9_mT8_P12ihipStream_tbDpT10_ENKUlT_T0_E_clISt17integral_constantIbLb1EES1C_IbLb0EEEEDaS18_S19_EUlS18_E_NS1_11comp_targetILNS1_3genE9ELNS1_11target_archE1100ELNS1_3gpuE3ELNS1_3repE0EEENS1_30default_config_static_selectorELNS0_4arch9wavefront6targetE0EEEvT1_: ; @_ZN7rocprim17ROCPRIM_400000_NS6detail17trampoline_kernelINS0_14default_configENS1_25partition_config_selectorILNS1_17partition_subalgoE5EfNS0_10empty_typeEbEEZZNS1_14partition_implILS5_5ELb0ES3_mN6thrust23THRUST_200600_302600_NS6detail15normal_iteratorINSA_10device_ptrIfEEEEPS6_NSA_18transform_iteratorINSB_9not_fun_tI7is_trueIfEEENSC_INSD_IbEEEENSA_11use_defaultESO_EENS0_5tupleIJSF_S6_EEENSQ_IJSG_SG_EEES6_PlJS6_EEE10hipError_tPvRmT3_T4_T5_T6_T7_T9_mT8_P12ihipStream_tbDpT10_ENKUlT_T0_E_clISt17integral_constantIbLb1EES1C_IbLb0EEEEDaS18_S19_EUlS18_E_NS1_11comp_targetILNS1_3genE9ELNS1_11target_archE1100ELNS1_3gpuE3ELNS1_3repE0EEENS1_30default_config_static_selectorELNS0_4arch9wavefront6targetE0EEEvT1_
; %bb.0:
	.section	.rodata,"a",@progbits
	.p2align	6, 0x0
	.amdhsa_kernel _ZN7rocprim17ROCPRIM_400000_NS6detail17trampoline_kernelINS0_14default_configENS1_25partition_config_selectorILNS1_17partition_subalgoE5EfNS0_10empty_typeEbEEZZNS1_14partition_implILS5_5ELb0ES3_mN6thrust23THRUST_200600_302600_NS6detail15normal_iteratorINSA_10device_ptrIfEEEEPS6_NSA_18transform_iteratorINSB_9not_fun_tI7is_trueIfEEENSC_INSD_IbEEEENSA_11use_defaultESO_EENS0_5tupleIJSF_S6_EEENSQ_IJSG_SG_EEES6_PlJS6_EEE10hipError_tPvRmT3_T4_T5_T6_T7_T9_mT8_P12ihipStream_tbDpT10_ENKUlT_T0_E_clISt17integral_constantIbLb1EES1C_IbLb0EEEEDaS18_S19_EUlS18_E_NS1_11comp_targetILNS1_3genE9ELNS1_11target_archE1100ELNS1_3gpuE3ELNS1_3repE0EEENS1_30default_config_static_selectorELNS0_4arch9wavefront6targetE0EEEvT1_
		.amdhsa_group_segment_fixed_size 0
		.amdhsa_private_segment_fixed_size 0
		.amdhsa_kernarg_size 120
		.amdhsa_user_sgpr_count 2
		.amdhsa_user_sgpr_dispatch_ptr 0
		.amdhsa_user_sgpr_queue_ptr 0
		.amdhsa_user_sgpr_kernarg_segment_ptr 1
		.amdhsa_user_sgpr_dispatch_id 0
		.amdhsa_user_sgpr_private_segment_size 0
		.amdhsa_wavefront_size32 1
		.amdhsa_uses_dynamic_stack 0
		.amdhsa_enable_private_segment 0
		.amdhsa_system_sgpr_workgroup_id_x 1
		.amdhsa_system_sgpr_workgroup_id_y 0
		.amdhsa_system_sgpr_workgroup_id_z 0
		.amdhsa_system_sgpr_workgroup_info 0
		.amdhsa_system_vgpr_workitem_id 0
		.amdhsa_next_free_vgpr 1
		.amdhsa_next_free_sgpr 1
		.amdhsa_reserve_vcc 0
		.amdhsa_float_round_mode_32 0
		.amdhsa_float_round_mode_16_64 0
		.amdhsa_float_denorm_mode_32 3
		.amdhsa_float_denorm_mode_16_64 3
		.amdhsa_fp16_overflow 0
		.amdhsa_workgroup_processor_mode 1
		.amdhsa_memory_ordered 1
		.amdhsa_forward_progress 1
		.amdhsa_inst_pref_size 0
		.amdhsa_round_robin_scheduling 0
		.amdhsa_exception_fp_ieee_invalid_op 0
		.amdhsa_exception_fp_denorm_src 0
		.amdhsa_exception_fp_ieee_div_zero 0
		.amdhsa_exception_fp_ieee_overflow 0
		.amdhsa_exception_fp_ieee_underflow 0
		.amdhsa_exception_fp_ieee_inexact 0
		.amdhsa_exception_int_div_zero 0
	.end_amdhsa_kernel
	.section	.text._ZN7rocprim17ROCPRIM_400000_NS6detail17trampoline_kernelINS0_14default_configENS1_25partition_config_selectorILNS1_17partition_subalgoE5EfNS0_10empty_typeEbEEZZNS1_14partition_implILS5_5ELb0ES3_mN6thrust23THRUST_200600_302600_NS6detail15normal_iteratorINSA_10device_ptrIfEEEEPS6_NSA_18transform_iteratorINSB_9not_fun_tI7is_trueIfEEENSC_INSD_IbEEEENSA_11use_defaultESO_EENS0_5tupleIJSF_S6_EEENSQ_IJSG_SG_EEES6_PlJS6_EEE10hipError_tPvRmT3_T4_T5_T6_T7_T9_mT8_P12ihipStream_tbDpT10_ENKUlT_T0_E_clISt17integral_constantIbLb1EES1C_IbLb0EEEEDaS18_S19_EUlS18_E_NS1_11comp_targetILNS1_3genE9ELNS1_11target_archE1100ELNS1_3gpuE3ELNS1_3repE0EEENS1_30default_config_static_selectorELNS0_4arch9wavefront6targetE0EEEvT1_,"axG",@progbits,_ZN7rocprim17ROCPRIM_400000_NS6detail17trampoline_kernelINS0_14default_configENS1_25partition_config_selectorILNS1_17partition_subalgoE5EfNS0_10empty_typeEbEEZZNS1_14partition_implILS5_5ELb0ES3_mN6thrust23THRUST_200600_302600_NS6detail15normal_iteratorINSA_10device_ptrIfEEEEPS6_NSA_18transform_iteratorINSB_9not_fun_tI7is_trueIfEEENSC_INSD_IbEEEENSA_11use_defaultESO_EENS0_5tupleIJSF_S6_EEENSQ_IJSG_SG_EEES6_PlJS6_EEE10hipError_tPvRmT3_T4_T5_T6_T7_T9_mT8_P12ihipStream_tbDpT10_ENKUlT_T0_E_clISt17integral_constantIbLb1EES1C_IbLb0EEEEDaS18_S19_EUlS18_E_NS1_11comp_targetILNS1_3genE9ELNS1_11target_archE1100ELNS1_3gpuE3ELNS1_3repE0EEENS1_30default_config_static_selectorELNS0_4arch9wavefront6targetE0EEEvT1_,comdat
.Lfunc_end2387:
	.size	_ZN7rocprim17ROCPRIM_400000_NS6detail17trampoline_kernelINS0_14default_configENS1_25partition_config_selectorILNS1_17partition_subalgoE5EfNS0_10empty_typeEbEEZZNS1_14partition_implILS5_5ELb0ES3_mN6thrust23THRUST_200600_302600_NS6detail15normal_iteratorINSA_10device_ptrIfEEEEPS6_NSA_18transform_iteratorINSB_9not_fun_tI7is_trueIfEEENSC_INSD_IbEEEENSA_11use_defaultESO_EENS0_5tupleIJSF_S6_EEENSQ_IJSG_SG_EEES6_PlJS6_EEE10hipError_tPvRmT3_T4_T5_T6_T7_T9_mT8_P12ihipStream_tbDpT10_ENKUlT_T0_E_clISt17integral_constantIbLb1EES1C_IbLb0EEEEDaS18_S19_EUlS18_E_NS1_11comp_targetILNS1_3genE9ELNS1_11target_archE1100ELNS1_3gpuE3ELNS1_3repE0EEENS1_30default_config_static_selectorELNS0_4arch9wavefront6targetE0EEEvT1_, .Lfunc_end2387-_ZN7rocprim17ROCPRIM_400000_NS6detail17trampoline_kernelINS0_14default_configENS1_25partition_config_selectorILNS1_17partition_subalgoE5EfNS0_10empty_typeEbEEZZNS1_14partition_implILS5_5ELb0ES3_mN6thrust23THRUST_200600_302600_NS6detail15normal_iteratorINSA_10device_ptrIfEEEEPS6_NSA_18transform_iteratorINSB_9not_fun_tI7is_trueIfEEENSC_INSD_IbEEEENSA_11use_defaultESO_EENS0_5tupleIJSF_S6_EEENSQ_IJSG_SG_EEES6_PlJS6_EEE10hipError_tPvRmT3_T4_T5_T6_T7_T9_mT8_P12ihipStream_tbDpT10_ENKUlT_T0_E_clISt17integral_constantIbLb1EES1C_IbLb0EEEEDaS18_S19_EUlS18_E_NS1_11comp_targetILNS1_3genE9ELNS1_11target_archE1100ELNS1_3gpuE3ELNS1_3repE0EEENS1_30default_config_static_selectorELNS0_4arch9wavefront6targetE0EEEvT1_
                                        ; -- End function
	.set _ZN7rocprim17ROCPRIM_400000_NS6detail17trampoline_kernelINS0_14default_configENS1_25partition_config_selectorILNS1_17partition_subalgoE5EfNS0_10empty_typeEbEEZZNS1_14partition_implILS5_5ELb0ES3_mN6thrust23THRUST_200600_302600_NS6detail15normal_iteratorINSA_10device_ptrIfEEEEPS6_NSA_18transform_iteratorINSB_9not_fun_tI7is_trueIfEEENSC_INSD_IbEEEENSA_11use_defaultESO_EENS0_5tupleIJSF_S6_EEENSQ_IJSG_SG_EEES6_PlJS6_EEE10hipError_tPvRmT3_T4_T5_T6_T7_T9_mT8_P12ihipStream_tbDpT10_ENKUlT_T0_E_clISt17integral_constantIbLb1EES1C_IbLb0EEEEDaS18_S19_EUlS18_E_NS1_11comp_targetILNS1_3genE9ELNS1_11target_archE1100ELNS1_3gpuE3ELNS1_3repE0EEENS1_30default_config_static_selectorELNS0_4arch9wavefront6targetE0EEEvT1_.num_vgpr, 0
	.set _ZN7rocprim17ROCPRIM_400000_NS6detail17trampoline_kernelINS0_14default_configENS1_25partition_config_selectorILNS1_17partition_subalgoE5EfNS0_10empty_typeEbEEZZNS1_14partition_implILS5_5ELb0ES3_mN6thrust23THRUST_200600_302600_NS6detail15normal_iteratorINSA_10device_ptrIfEEEEPS6_NSA_18transform_iteratorINSB_9not_fun_tI7is_trueIfEEENSC_INSD_IbEEEENSA_11use_defaultESO_EENS0_5tupleIJSF_S6_EEENSQ_IJSG_SG_EEES6_PlJS6_EEE10hipError_tPvRmT3_T4_T5_T6_T7_T9_mT8_P12ihipStream_tbDpT10_ENKUlT_T0_E_clISt17integral_constantIbLb1EES1C_IbLb0EEEEDaS18_S19_EUlS18_E_NS1_11comp_targetILNS1_3genE9ELNS1_11target_archE1100ELNS1_3gpuE3ELNS1_3repE0EEENS1_30default_config_static_selectorELNS0_4arch9wavefront6targetE0EEEvT1_.num_agpr, 0
	.set _ZN7rocprim17ROCPRIM_400000_NS6detail17trampoline_kernelINS0_14default_configENS1_25partition_config_selectorILNS1_17partition_subalgoE5EfNS0_10empty_typeEbEEZZNS1_14partition_implILS5_5ELb0ES3_mN6thrust23THRUST_200600_302600_NS6detail15normal_iteratorINSA_10device_ptrIfEEEEPS6_NSA_18transform_iteratorINSB_9not_fun_tI7is_trueIfEEENSC_INSD_IbEEEENSA_11use_defaultESO_EENS0_5tupleIJSF_S6_EEENSQ_IJSG_SG_EEES6_PlJS6_EEE10hipError_tPvRmT3_T4_T5_T6_T7_T9_mT8_P12ihipStream_tbDpT10_ENKUlT_T0_E_clISt17integral_constantIbLb1EES1C_IbLb0EEEEDaS18_S19_EUlS18_E_NS1_11comp_targetILNS1_3genE9ELNS1_11target_archE1100ELNS1_3gpuE3ELNS1_3repE0EEENS1_30default_config_static_selectorELNS0_4arch9wavefront6targetE0EEEvT1_.numbered_sgpr, 0
	.set _ZN7rocprim17ROCPRIM_400000_NS6detail17trampoline_kernelINS0_14default_configENS1_25partition_config_selectorILNS1_17partition_subalgoE5EfNS0_10empty_typeEbEEZZNS1_14partition_implILS5_5ELb0ES3_mN6thrust23THRUST_200600_302600_NS6detail15normal_iteratorINSA_10device_ptrIfEEEEPS6_NSA_18transform_iteratorINSB_9not_fun_tI7is_trueIfEEENSC_INSD_IbEEEENSA_11use_defaultESO_EENS0_5tupleIJSF_S6_EEENSQ_IJSG_SG_EEES6_PlJS6_EEE10hipError_tPvRmT3_T4_T5_T6_T7_T9_mT8_P12ihipStream_tbDpT10_ENKUlT_T0_E_clISt17integral_constantIbLb1EES1C_IbLb0EEEEDaS18_S19_EUlS18_E_NS1_11comp_targetILNS1_3genE9ELNS1_11target_archE1100ELNS1_3gpuE3ELNS1_3repE0EEENS1_30default_config_static_selectorELNS0_4arch9wavefront6targetE0EEEvT1_.num_named_barrier, 0
	.set _ZN7rocprim17ROCPRIM_400000_NS6detail17trampoline_kernelINS0_14default_configENS1_25partition_config_selectorILNS1_17partition_subalgoE5EfNS0_10empty_typeEbEEZZNS1_14partition_implILS5_5ELb0ES3_mN6thrust23THRUST_200600_302600_NS6detail15normal_iteratorINSA_10device_ptrIfEEEEPS6_NSA_18transform_iteratorINSB_9not_fun_tI7is_trueIfEEENSC_INSD_IbEEEENSA_11use_defaultESO_EENS0_5tupleIJSF_S6_EEENSQ_IJSG_SG_EEES6_PlJS6_EEE10hipError_tPvRmT3_T4_T5_T6_T7_T9_mT8_P12ihipStream_tbDpT10_ENKUlT_T0_E_clISt17integral_constantIbLb1EES1C_IbLb0EEEEDaS18_S19_EUlS18_E_NS1_11comp_targetILNS1_3genE9ELNS1_11target_archE1100ELNS1_3gpuE3ELNS1_3repE0EEENS1_30default_config_static_selectorELNS0_4arch9wavefront6targetE0EEEvT1_.private_seg_size, 0
	.set _ZN7rocprim17ROCPRIM_400000_NS6detail17trampoline_kernelINS0_14default_configENS1_25partition_config_selectorILNS1_17partition_subalgoE5EfNS0_10empty_typeEbEEZZNS1_14partition_implILS5_5ELb0ES3_mN6thrust23THRUST_200600_302600_NS6detail15normal_iteratorINSA_10device_ptrIfEEEEPS6_NSA_18transform_iteratorINSB_9not_fun_tI7is_trueIfEEENSC_INSD_IbEEEENSA_11use_defaultESO_EENS0_5tupleIJSF_S6_EEENSQ_IJSG_SG_EEES6_PlJS6_EEE10hipError_tPvRmT3_T4_T5_T6_T7_T9_mT8_P12ihipStream_tbDpT10_ENKUlT_T0_E_clISt17integral_constantIbLb1EES1C_IbLb0EEEEDaS18_S19_EUlS18_E_NS1_11comp_targetILNS1_3genE9ELNS1_11target_archE1100ELNS1_3gpuE3ELNS1_3repE0EEENS1_30default_config_static_selectorELNS0_4arch9wavefront6targetE0EEEvT1_.uses_vcc, 0
	.set _ZN7rocprim17ROCPRIM_400000_NS6detail17trampoline_kernelINS0_14default_configENS1_25partition_config_selectorILNS1_17partition_subalgoE5EfNS0_10empty_typeEbEEZZNS1_14partition_implILS5_5ELb0ES3_mN6thrust23THRUST_200600_302600_NS6detail15normal_iteratorINSA_10device_ptrIfEEEEPS6_NSA_18transform_iteratorINSB_9not_fun_tI7is_trueIfEEENSC_INSD_IbEEEENSA_11use_defaultESO_EENS0_5tupleIJSF_S6_EEENSQ_IJSG_SG_EEES6_PlJS6_EEE10hipError_tPvRmT3_T4_T5_T6_T7_T9_mT8_P12ihipStream_tbDpT10_ENKUlT_T0_E_clISt17integral_constantIbLb1EES1C_IbLb0EEEEDaS18_S19_EUlS18_E_NS1_11comp_targetILNS1_3genE9ELNS1_11target_archE1100ELNS1_3gpuE3ELNS1_3repE0EEENS1_30default_config_static_selectorELNS0_4arch9wavefront6targetE0EEEvT1_.uses_flat_scratch, 0
	.set _ZN7rocprim17ROCPRIM_400000_NS6detail17trampoline_kernelINS0_14default_configENS1_25partition_config_selectorILNS1_17partition_subalgoE5EfNS0_10empty_typeEbEEZZNS1_14partition_implILS5_5ELb0ES3_mN6thrust23THRUST_200600_302600_NS6detail15normal_iteratorINSA_10device_ptrIfEEEEPS6_NSA_18transform_iteratorINSB_9not_fun_tI7is_trueIfEEENSC_INSD_IbEEEENSA_11use_defaultESO_EENS0_5tupleIJSF_S6_EEENSQ_IJSG_SG_EEES6_PlJS6_EEE10hipError_tPvRmT3_T4_T5_T6_T7_T9_mT8_P12ihipStream_tbDpT10_ENKUlT_T0_E_clISt17integral_constantIbLb1EES1C_IbLb0EEEEDaS18_S19_EUlS18_E_NS1_11comp_targetILNS1_3genE9ELNS1_11target_archE1100ELNS1_3gpuE3ELNS1_3repE0EEENS1_30default_config_static_selectorELNS0_4arch9wavefront6targetE0EEEvT1_.has_dyn_sized_stack, 0
	.set _ZN7rocprim17ROCPRIM_400000_NS6detail17trampoline_kernelINS0_14default_configENS1_25partition_config_selectorILNS1_17partition_subalgoE5EfNS0_10empty_typeEbEEZZNS1_14partition_implILS5_5ELb0ES3_mN6thrust23THRUST_200600_302600_NS6detail15normal_iteratorINSA_10device_ptrIfEEEEPS6_NSA_18transform_iteratorINSB_9not_fun_tI7is_trueIfEEENSC_INSD_IbEEEENSA_11use_defaultESO_EENS0_5tupleIJSF_S6_EEENSQ_IJSG_SG_EEES6_PlJS6_EEE10hipError_tPvRmT3_T4_T5_T6_T7_T9_mT8_P12ihipStream_tbDpT10_ENKUlT_T0_E_clISt17integral_constantIbLb1EES1C_IbLb0EEEEDaS18_S19_EUlS18_E_NS1_11comp_targetILNS1_3genE9ELNS1_11target_archE1100ELNS1_3gpuE3ELNS1_3repE0EEENS1_30default_config_static_selectorELNS0_4arch9wavefront6targetE0EEEvT1_.has_recursion, 0
	.set _ZN7rocprim17ROCPRIM_400000_NS6detail17trampoline_kernelINS0_14default_configENS1_25partition_config_selectorILNS1_17partition_subalgoE5EfNS0_10empty_typeEbEEZZNS1_14partition_implILS5_5ELb0ES3_mN6thrust23THRUST_200600_302600_NS6detail15normal_iteratorINSA_10device_ptrIfEEEEPS6_NSA_18transform_iteratorINSB_9not_fun_tI7is_trueIfEEENSC_INSD_IbEEEENSA_11use_defaultESO_EENS0_5tupleIJSF_S6_EEENSQ_IJSG_SG_EEES6_PlJS6_EEE10hipError_tPvRmT3_T4_T5_T6_T7_T9_mT8_P12ihipStream_tbDpT10_ENKUlT_T0_E_clISt17integral_constantIbLb1EES1C_IbLb0EEEEDaS18_S19_EUlS18_E_NS1_11comp_targetILNS1_3genE9ELNS1_11target_archE1100ELNS1_3gpuE3ELNS1_3repE0EEENS1_30default_config_static_selectorELNS0_4arch9wavefront6targetE0EEEvT1_.has_indirect_call, 0
	.section	.AMDGPU.csdata,"",@progbits
; Kernel info:
; codeLenInByte = 0
; TotalNumSgprs: 0
; NumVgprs: 0
; ScratchSize: 0
; MemoryBound: 0
; FloatMode: 240
; IeeeMode: 1
; LDSByteSize: 0 bytes/workgroup (compile time only)
; SGPRBlocks: 0
; VGPRBlocks: 0
; NumSGPRsForWavesPerEU: 1
; NumVGPRsForWavesPerEU: 1
; Occupancy: 16
; WaveLimiterHint : 0
; COMPUTE_PGM_RSRC2:SCRATCH_EN: 0
; COMPUTE_PGM_RSRC2:USER_SGPR: 2
; COMPUTE_PGM_RSRC2:TRAP_HANDLER: 0
; COMPUTE_PGM_RSRC2:TGID_X_EN: 1
; COMPUTE_PGM_RSRC2:TGID_Y_EN: 0
; COMPUTE_PGM_RSRC2:TGID_Z_EN: 0
; COMPUTE_PGM_RSRC2:TIDIG_COMP_CNT: 0
	.section	.text._ZN7rocprim17ROCPRIM_400000_NS6detail17trampoline_kernelINS0_14default_configENS1_25partition_config_selectorILNS1_17partition_subalgoE5EfNS0_10empty_typeEbEEZZNS1_14partition_implILS5_5ELb0ES3_mN6thrust23THRUST_200600_302600_NS6detail15normal_iteratorINSA_10device_ptrIfEEEEPS6_NSA_18transform_iteratorINSB_9not_fun_tI7is_trueIfEEENSC_INSD_IbEEEENSA_11use_defaultESO_EENS0_5tupleIJSF_S6_EEENSQ_IJSG_SG_EEES6_PlJS6_EEE10hipError_tPvRmT3_T4_T5_T6_T7_T9_mT8_P12ihipStream_tbDpT10_ENKUlT_T0_E_clISt17integral_constantIbLb1EES1C_IbLb0EEEEDaS18_S19_EUlS18_E_NS1_11comp_targetILNS1_3genE8ELNS1_11target_archE1030ELNS1_3gpuE2ELNS1_3repE0EEENS1_30default_config_static_selectorELNS0_4arch9wavefront6targetE0EEEvT1_,"axG",@progbits,_ZN7rocprim17ROCPRIM_400000_NS6detail17trampoline_kernelINS0_14default_configENS1_25partition_config_selectorILNS1_17partition_subalgoE5EfNS0_10empty_typeEbEEZZNS1_14partition_implILS5_5ELb0ES3_mN6thrust23THRUST_200600_302600_NS6detail15normal_iteratorINSA_10device_ptrIfEEEEPS6_NSA_18transform_iteratorINSB_9not_fun_tI7is_trueIfEEENSC_INSD_IbEEEENSA_11use_defaultESO_EENS0_5tupleIJSF_S6_EEENSQ_IJSG_SG_EEES6_PlJS6_EEE10hipError_tPvRmT3_T4_T5_T6_T7_T9_mT8_P12ihipStream_tbDpT10_ENKUlT_T0_E_clISt17integral_constantIbLb1EES1C_IbLb0EEEEDaS18_S19_EUlS18_E_NS1_11comp_targetILNS1_3genE8ELNS1_11target_archE1030ELNS1_3gpuE2ELNS1_3repE0EEENS1_30default_config_static_selectorELNS0_4arch9wavefront6targetE0EEEvT1_,comdat
	.protected	_ZN7rocprim17ROCPRIM_400000_NS6detail17trampoline_kernelINS0_14default_configENS1_25partition_config_selectorILNS1_17partition_subalgoE5EfNS0_10empty_typeEbEEZZNS1_14partition_implILS5_5ELb0ES3_mN6thrust23THRUST_200600_302600_NS6detail15normal_iteratorINSA_10device_ptrIfEEEEPS6_NSA_18transform_iteratorINSB_9not_fun_tI7is_trueIfEEENSC_INSD_IbEEEENSA_11use_defaultESO_EENS0_5tupleIJSF_S6_EEENSQ_IJSG_SG_EEES6_PlJS6_EEE10hipError_tPvRmT3_T4_T5_T6_T7_T9_mT8_P12ihipStream_tbDpT10_ENKUlT_T0_E_clISt17integral_constantIbLb1EES1C_IbLb0EEEEDaS18_S19_EUlS18_E_NS1_11comp_targetILNS1_3genE8ELNS1_11target_archE1030ELNS1_3gpuE2ELNS1_3repE0EEENS1_30default_config_static_selectorELNS0_4arch9wavefront6targetE0EEEvT1_ ; -- Begin function _ZN7rocprim17ROCPRIM_400000_NS6detail17trampoline_kernelINS0_14default_configENS1_25partition_config_selectorILNS1_17partition_subalgoE5EfNS0_10empty_typeEbEEZZNS1_14partition_implILS5_5ELb0ES3_mN6thrust23THRUST_200600_302600_NS6detail15normal_iteratorINSA_10device_ptrIfEEEEPS6_NSA_18transform_iteratorINSB_9not_fun_tI7is_trueIfEEENSC_INSD_IbEEEENSA_11use_defaultESO_EENS0_5tupleIJSF_S6_EEENSQ_IJSG_SG_EEES6_PlJS6_EEE10hipError_tPvRmT3_T4_T5_T6_T7_T9_mT8_P12ihipStream_tbDpT10_ENKUlT_T0_E_clISt17integral_constantIbLb1EES1C_IbLb0EEEEDaS18_S19_EUlS18_E_NS1_11comp_targetILNS1_3genE8ELNS1_11target_archE1030ELNS1_3gpuE2ELNS1_3repE0EEENS1_30default_config_static_selectorELNS0_4arch9wavefront6targetE0EEEvT1_
	.globl	_ZN7rocprim17ROCPRIM_400000_NS6detail17trampoline_kernelINS0_14default_configENS1_25partition_config_selectorILNS1_17partition_subalgoE5EfNS0_10empty_typeEbEEZZNS1_14partition_implILS5_5ELb0ES3_mN6thrust23THRUST_200600_302600_NS6detail15normal_iteratorINSA_10device_ptrIfEEEEPS6_NSA_18transform_iteratorINSB_9not_fun_tI7is_trueIfEEENSC_INSD_IbEEEENSA_11use_defaultESO_EENS0_5tupleIJSF_S6_EEENSQ_IJSG_SG_EEES6_PlJS6_EEE10hipError_tPvRmT3_T4_T5_T6_T7_T9_mT8_P12ihipStream_tbDpT10_ENKUlT_T0_E_clISt17integral_constantIbLb1EES1C_IbLb0EEEEDaS18_S19_EUlS18_E_NS1_11comp_targetILNS1_3genE8ELNS1_11target_archE1030ELNS1_3gpuE2ELNS1_3repE0EEENS1_30default_config_static_selectorELNS0_4arch9wavefront6targetE0EEEvT1_
	.p2align	8
	.type	_ZN7rocprim17ROCPRIM_400000_NS6detail17trampoline_kernelINS0_14default_configENS1_25partition_config_selectorILNS1_17partition_subalgoE5EfNS0_10empty_typeEbEEZZNS1_14partition_implILS5_5ELb0ES3_mN6thrust23THRUST_200600_302600_NS6detail15normal_iteratorINSA_10device_ptrIfEEEEPS6_NSA_18transform_iteratorINSB_9not_fun_tI7is_trueIfEEENSC_INSD_IbEEEENSA_11use_defaultESO_EENS0_5tupleIJSF_S6_EEENSQ_IJSG_SG_EEES6_PlJS6_EEE10hipError_tPvRmT3_T4_T5_T6_T7_T9_mT8_P12ihipStream_tbDpT10_ENKUlT_T0_E_clISt17integral_constantIbLb1EES1C_IbLb0EEEEDaS18_S19_EUlS18_E_NS1_11comp_targetILNS1_3genE8ELNS1_11target_archE1030ELNS1_3gpuE2ELNS1_3repE0EEENS1_30default_config_static_selectorELNS0_4arch9wavefront6targetE0EEEvT1_,@function
_ZN7rocprim17ROCPRIM_400000_NS6detail17trampoline_kernelINS0_14default_configENS1_25partition_config_selectorILNS1_17partition_subalgoE5EfNS0_10empty_typeEbEEZZNS1_14partition_implILS5_5ELb0ES3_mN6thrust23THRUST_200600_302600_NS6detail15normal_iteratorINSA_10device_ptrIfEEEEPS6_NSA_18transform_iteratorINSB_9not_fun_tI7is_trueIfEEENSC_INSD_IbEEEENSA_11use_defaultESO_EENS0_5tupleIJSF_S6_EEENSQ_IJSG_SG_EEES6_PlJS6_EEE10hipError_tPvRmT3_T4_T5_T6_T7_T9_mT8_P12ihipStream_tbDpT10_ENKUlT_T0_E_clISt17integral_constantIbLb1EES1C_IbLb0EEEEDaS18_S19_EUlS18_E_NS1_11comp_targetILNS1_3genE8ELNS1_11target_archE1030ELNS1_3gpuE2ELNS1_3repE0EEENS1_30default_config_static_selectorELNS0_4arch9wavefront6targetE0EEEvT1_: ; @_ZN7rocprim17ROCPRIM_400000_NS6detail17trampoline_kernelINS0_14default_configENS1_25partition_config_selectorILNS1_17partition_subalgoE5EfNS0_10empty_typeEbEEZZNS1_14partition_implILS5_5ELb0ES3_mN6thrust23THRUST_200600_302600_NS6detail15normal_iteratorINSA_10device_ptrIfEEEEPS6_NSA_18transform_iteratorINSB_9not_fun_tI7is_trueIfEEENSC_INSD_IbEEEENSA_11use_defaultESO_EENS0_5tupleIJSF_S6_EEENSQ_IJSG_SG_EEES6_PlJS6_EEE10hipError_tPvRmT3_T4_T5_T6_T7_T9_mT8_P12ihipStream_tbDpT10_ENKUlT_T0_E_clISt17integral_constantIbLb1EES1C_IbLb0EEEEDaS18_S19_EUlS18_E_NS1_11comp_targetILNS1_3genE8ELNS1_11target_archE1030ELNS1_3gpuE2ELNS1_3repE0EEENS1_30default_config_static_selectorELNS0_4arch9wavefront6targetE0EEEvT1_
; %bb.0:
	.section	.rodata,"a",@progbits
	.p2align	6, 0x0
	.amdhsa_kernel _ZN7rocprim17ROCPRIM_400000_NS6detail17trampoline_kernelINS0_14default_configENS1_25partition_config_selectorILNS1_17partition_subalgoE5EfNS0_10empty_typeEbEEZZNS1_14partition_implILS5_5ELb0ES3_mN6thrust23THRUST_200600_302600_NS6detail15normal_iteratorINSA_10device_ptrIfEEEEPS6_NSA_18transform_iteratorINSB_9not_fun_tI7is_trueIfEEENSC_INSD_IbEEEENSA_11use_defaultESO_EENS0_5tupleIJSF_S6_EEENSQ_IJSG_SG_EEES6_PlJS6_EEE10hipError_tPvRmT3_T4_T5_T6_T7_T9_mT8_P12ihipStream_tbDpT10_ENKUlT_T0_E_clISt17integral_constantIbLb1EES1C_IbLb0EEEEDaS18_S19_EUlS18_E_NS1_11comp_targetILNS1_3genE8ELNS1_11target_archE1030ELNS1_3gpuE2ELNS1_3repE0EEENS1_30default_config_static_selectorELNS0_4arch9wavefront6targetE0EEEvT1_
		.amdhsa_group_segment_fixed_size 0
		.amdhsa_private_segment_fixed_size 0
		.amdhsa_kernarg_size 120
		.amdhsa_user_sgpr_count 2
		.amdhsa_user_sgpr_dispatch_ptr 0
		.amdhsa_user_sgpr_queue_ptr 0
		.amdhsa_user_sgpr_kernarg_segment_ptr 1
		.amdhsa_user_sgpr_dispatch_id 0
		.amdhsa_user_sgpr_private_segment_size 0
		.amdhsa_wavefront_size32 1
		.amdhsa_uses_dynamic_stack 0
		.amdhsa_enable_private_segment 0
		.amdhsa_system_sgpr_workgroup_id_x 1
		.amdhsa_system_sgpr_workgroup_id_y 0
		.amdhsa_system_sgpr_workgroup_id_z 0
		.amdhsa_system_sgpr_workgroup_info 0
		.amdhsa_system_vgpr_workitem_id 0
		.amdhsa_next_free_vgpr 1
		.amdhsa_next_free_sgpr 1
		.amdhsa_reserve_vcc 0
		.amdhsa_float_round_mode_32 0
		.amdhsa_float_round_mode_16_64 0
		.amdhsa_float_denorm_mode_32 3
		.amdhsa_float_denorm_mode_16_64 3
		.amdhsa_fp16_overflow 0
		.amdhsa_workgroup_processor_mode 1
		.amdhsa_memory_ordered 1
		.amdhsa_forward_progress 1
		.amdhsa_inst_pref_size 0
		.amdhsa_round_robin_scheduling 0
		.amdhsa_exception_fp_ieee_invalid_op 0
		.amdhsa_exception_fp_denorm_src 0
		.amdhsa_exception_fp_ieee_div_zero 0
		.amdhsa_exception_fp_ieee_overflow 0
		.amdhsa_exception_fp_ieee_underflow 0
		.amdhsa_exception_fp_ieee_inexact 0
		.amdhsa_exception_int_div_zero 0
	.end_amdhsa_kernel
	.section	.text._ZN7rocprim17ROCPRIM_400000_NS6detail17trampoline_kernelINS0_14default_configENS1_25partition_config_selectorILNS1_17partition_subalgoE5EfNS0_10empty_typeEbEEZZNS1_14partition_implILS5_5ELb0ES3_mN6thrust23THRUST_200600_302600_NS6detail15normal_iteratorINSA_10device_ptrIfEEEEPS6_NSA_18transform_iteratorINSB_9not_fun_tI7is_trueIfEEENSC_INSD_IbEEEENSA_11use_defaultESO_EENS0_5tupleIJSF_S6_EEENSQ_IJSG_SG_EEES6_PlJS6_EEE10hipError_tPvRmT3_T4_T5_T6_T7_T9_mT8_P12ihipStream_tbDpT10_ENKUlT_T0_E_clISt17integral_constantIbLb1EES1C_IbLb0EEEEDaS18_S19_EUlS18_E_NS1_11comp_targetILNS1_3genE8ELNS1_11target_archE1030ELNS1_3gpuE2ELNS1_3repE0EEENS1_30default_config_static_selectorELNS0_4arch9wavefront6targetE0EEEvT1_,"axG",@progbits,_ZN7rocprim17ROCPRIM_400000_NS6detail17trampoline_kernelINS0_14default_configENS1_25partition_config_selectorILNS1_17partition_subalgoE5EfNS0_10empty_typeEbEEZZNS1_14partition_implILS5_5ELb0ES3_mN6thrust23THRUST_200600_302600_NS6detail15normal_iteratorINSA_10device_ptrIfEEEEPS6_NSA_18transform_iteratorINSB_9not_fun_tI7is_trueIfEEENSC_INSD_IbEEEENSA_11use_defaultESO_EENS0_5tupleIJSF_S6_EEENSQ_IJSG_SG_EEES6_PlJS6_EEE10hipError_tPvRmT3_T4_T5_T6_T7_T9_mT8_P12ihipStream_tbDpT10_ENKUlT_T0_E_clISt17integral_constantIbLb1EES1C_IbLb0EEEEDaS18_S19_EUlS18_E_NS1_11comp_targetILNS1_3genE8ELNS1_11target_archE1030ELNS1_3gpuE2ELNS1_3repE0EEENS1_30default_config_static_selectorELNS0_4arch9wavefront6targetE0EEEvT1_,comdat
.Lfunc_end2388:
	.size	_ZN7rocprim17ROCPRIM_400000_NS6detail17trampoline_kernelINS0_14default_configENS1_25partition_config_selectorILNS1_17partition_subalgoE5EfNS0_10empty_typeEbEEZZNS1_14partition_implILS5_5ELb0ES3_mN6thrust23THRUST_200600_302600_NS6detail15normal_iteratorINSA_10device_ptrIfEEEEPS6_NSA_18transform_iteratorINSB_9not_fun_tI7is_trueIfEEENSC_INSD_IbEEEENSA_11use_defaultESO_EENS0_5tupleIJSF_S6_EEENSQ_IJSG_SG_EEES6_PlJS6_EEE10hipError_tPvRmT3_T4_T5_T6_T7_T9_mT8_P12ihipStream_tbDpT10_ENKUlT_T0_E_clISt17integral_constantIbLb1EES1C_IbLb0EEEEDaS18_S19_EUlS18_E_NS1_11comp_targetILNS1_3genE8ELNS1_11target_archE1030ELNS1_3gpuE2ELNS1_3repE0EEENS1_30default_config_static_selectorELNS0_4arch9wavefront6targetE0EEEvT1_, .Lfunc_end2388-_ZN7rocprim17ROCPRIM_400000_NS6detail17trampoline_kernelINS0_14default_configENS1_25partition_config_selectorILNS1_17partition_subalgoE5EfNS0_10empty_typeEbEEZZNS1_14partition_implILS5_5ELb0ES3_mN6thrust23THRUST_200600_302600_NS6detail15normal_iteratorINSA_10device_ptrIfEEEEPS6_NSA_18transform_iteratorINSB_9not_fun_tI7is_trueIfEEENSC_INSD_IbEEEENSA_11use_defaultESO_EENS0_5tupleIJSF_S6_EEENSQ_IJSG_SG_EEES6_PlJS6_EEE10hipError_tPvRmT3_T4_T5_T6_T7_T9_mT8_P12ihipStream_tbDpT10_ENKUlT_T0_E_clISt17integral_constantIbLb1EES1C_IbLb0EEEEDaS18_S19_EUlS18_E_NS1_11comp_targetILNS1_3genE8ELNS1_11target_archE1030ELNS1_3gpuE2ELNS1_3repE0EEENS1_30default_config_static_selectorELNS0_4arch9wavefront6targetE0EEEvT1_
                                        ; -- End function
	.set _ZN7rocprim17ROCPRIM_400000_NS6detail17trampoline_kernelINS0_14default_configENS1_25partition_config_selectorILNS1_17partition_subalgoE5EfNS0_10empty_typeEbEEZZNS1_14partition_implILS5_5ELb0ES3_mN6thrust23THRUST_200600_302600_NS6detail15normal_iteratorINSA_10device_ptrIfEEEEPS6_NSA_18transform_iteratorINSB_9not_fun_tI7is_trueIfEEENSC_INSD_IbEEEENSA_11use_defaultESO_EENS0_5tupleIJSF_S6_EEENSQ_IJSG_SG_EEES6_PlJS6_EEE10hipError_tPvRmT3_T4_T5_T6_T7_T9_mT8_P12ihipStream_tbDpT10_ENKUlT_T0_E_clISt17integral_constantIbLb1EES1C_IbLb0EEEEDaS18_S19_EUlS18_E_NS1_11comp_targetILNS1_3genE8ELNS1_11target_archE1030ELNS1_3gpuE2ELNS1_3repE0EEENS1_30default_config_static_selectorELNS0_4arch9wavefront6targetE0EEEvT1_.num_vgpr, 0
	.set _ZN7rocprim17ROCPRIM_400000_NS6detail17trampoline_kernelINS0_14default_configENS1_25partition_config_selectorILNS1_17partition_subalgoE5EfNS0_10empty_typeEbEEZZNS1_14partition_implILS5_5ELb0ES3_mN6thrust23THRUST_200600_302600_NS6detail15normal_iteratorINSA_10device_ptrIfEEEEPS6_NSA_18transform_iteratorINSB_9not_fun_tI7is_trueIfEEENSC_INSD_IbEEEENSA_11use_defaultESO_EENS0_5tupleIJSF_S6_EEENSQ_IJSG_SG_EEES6_PlJS6_EEE10hipError_tPvRmT3_T4_T5_T6_T7_T9_mT8_P12ihipStream_tbDpT10_ENKUlT_T0_E_clISt17integral_constantIbLb1EES1C_IbLb0EEEEDaS18_S19_EUlS18_E_NS1_11comp_targetILNS1_3genE8ELNS1_11target_archE1030ELNS1_3gpuE2ELNS1_3repE0EEENS1_30default_config_static_selectorELNS0_4arch9wavefront6targetE0EEEvT1_.num_agpr, 0
	.set _ZN7rocprim17ROCPRIM_400000_NS6detail17trampoline_kernelINS0_14default_configENS1_25partition_config_selectorILNS1_17partition_subalgoE5EfNS0_10empty_typeEbEEZZNS1_14partition_implILS5_5ELb0ES3_mN6thrust23THRUST_200600_302600_NS6detail15normal_iteratorINSA_10device_ptrIfEEEEPS6_NSA_18transform_iteratorINSB_9not_fun_tI7is_trueIfEEENSC_INSD_IbEEEENSA_11use_defaultESO_EENS0_5tupleIJSF_S6_EEENSQ_IJSG_SG_EEES6_PlJS6_EEE10hipError_tPvRmT3_T4_T5_T6_T7_T9_mT8_P12ihipStream_tbDpT10_ENKUlT_T0_E_clISt17integral_constantIbLb1EES1C_IbLb0EEEEDaS18_S19_EUlS18_E_NS1_11comp_targetILNS1_3genE8ELNS1_11target_archE1030ELNS1_3gpuE2ELNS1_3repE0EEENS1_30default_config_static_selectorELNS0_4arch9wavefront6targetE0EEEvT1_.numbered_sgpr, 0
	.set _ZN7rocprim17ROCPRIM_400000_NS6detail17trampoline_kernelINS0_14default_configENS1_25partition_config_selectorILNS1_17partition_subalgoE5EfNS0_10empty_typeEbEEZZNS1_14partition_implILS5_5ELb0ES3_mN6thrust23THRUST_200600_302600_NS6detail15normal_iteratorINSA_10device_ptrIfEEEEPS6_NSA_18transform_iteratorINSB_9not_fun_tI7is_trueIfEEENSC_INSD_IbEEEENSA_11use_defaultESO_EENS0_5tupleIJSF_S6_EEENSQ_IJSG_SG_EEES6_PlJS6_EEE10hipError_tPvRmT3_T4_T5_T6_T7_T9_mT8_P12ihipStream_tbDpT10_ENKUlT_T0_E_clISt17integral_constantIbLb1EES1C_IbLb0EEEEDaS18_S19_EUlS18_E_NS1_11comp_targetILNS1_3genE8ELNS1_11target_archE1030ELNS1_3gpuE2ELNS1_3repE0EEENS1_30default_config_static_selectorELNS0_4arch9wavefront6targetE0EEEvT1_.num_named_barrier, 0
	.set _ZN7rocprim17ROCPRIM_400000_NS6detail17trampoline_kernelINS0_14default_configENS1_25partition_config_selectorILNS1_17partition_subalgoE5EfNS0_10empty_typeEbEEZZNS1_14partition_implILS5_5ELb0ES3_mN6thrust23THRUST_200600_302600_NS6detail15normal_iteratorINSA_10device_ptrIfEEEEPS6_NSA_18transform_iteratorINSB_9not_fun_tI7is_trueIfEEENSC_INSD_IbEEEENSA_11use_defaultESO_EENS0_5tupleIJSF_S6_EEENSQ_IJSG_SG_EEES6_PlJS6_EEE10hipError_tPvRmT3_T4_T5_T6_T7_T9_mT8_P12ihipStream_tbDpT10_ENKUlT_T0_E_clISt17integral_constantIbLb1EES1C_IbLb0EEEEDaS18_S19_EUlS18_E_NS1_11comp_targetILNS1_3genE8ELNS1_11target_archE1030ELNS1_3gpuE2ELNS1_3repE0EEENS1_30default_config_static_selectorELNS0_4arch9wavefront6targetE0EEEvT1_.private_seg_size, 0
	.set _ZN7rocprim17ROCPRIM_400000_NS6detail17trampoline_kernelINS0_14default_configENS1_25partition_config_selectorILNS1_17partition_subalgoE5EfNS0_10empty_typeEbEEZZNS1_14partition_implILS5_5ELb0ES3_mN6thrust23THRUST_200600_302600_NS6detail15normal_iteratorINSA_10device_ptrIfEEEEPS6_NSA_18transform_iteratorINSB_9not_fun_tI7is_trueIfEEENSC_INSD_IbEEEENSA_11use_defaultESO_EENS0_5tupleIJSF_S6_EEENSQ_IJSG_SG_EEES6_PlJS6_EEE10hipError_tPvRmT3_T4_T5_T6_T7_T9_mT8_P12ihipStream_tbDpT10_ENKUlT_T0_E_clISt17integral_constantIbLb1EES1C_IbLb0EEEEDaS18_S19_EUlS18_E_NS1_11comp_targetILNS1_3genE8ELNS1_11target_archE1030ELNS1_3gpuE2ELNS1_3repE0EEENS1_30default_config_static_selectorELNS0_4arch9wavefront6targetE0EEEvT1_.uses_vcc, 0
	.set _ZN7rocprim17ROCPRIM_400000_NS6detail17trampoline_kernelINS0_14default_configENS1_25partition_config_selectorILNS1_17partition_subalgoE5EfNS0_10empty_typeEbEEZZNS1_14partition_implILS5_5ELb0ES3_mN6thrust23THRUST_200600_302600_NS6detail15normal_iteratorINSA_10device_ptrIfEEEEPS6_NSA_18transform_iteratorINSB_9not_fun_tI7is_trueIfEEENSC_INSD_IbEEEENSA_11use_defaultESO_EENS0_5tupleIJSF_S6_EEENSQ_IJSG_SG_EEES6_PlJS6_EEE10hipError_tPvRmT3_T4_T5_T6_T7_T9_mT8_P12ihipStream_tbDpT10_ENKUlT_T0_E_clISt17integral_constantIbLb1EES1C_IbLb0EEEEDaS18_S19_EUlS18_E_NS1_11comp_targetILNS1_3genE8ELNS1_11target_archE1030ELNS1_3gpuE2ELNS1_3repE0EEENS1_30default_config_static_selectorELNS0_4arch9wavefront6targetE0EEEvT1_.uses_flat_scratch, 0
	.set _ZN7rocprim17ROCPRIM_400000_NS6detail17trampoline_kernelINS0_14default_configENS1_25partition_config_selectorILNS1_17partition_subalgoE5EfNS0_10empty_typeEbEEZZNS1_14partition_implILS5_5ELb0ES3_mN6thrust23THRUST_200600_302600_NS6detail15normal_iteratorINSA_10device_ptrIfEEEEPS6_NSA_18transform_iteratorINSB_9not_fun_tI7is_trueIfEEENSC_INSD_IbEEEENSA_11use_defaultESO_EENS0_5tupleIJSF_S6_EEENSQ_IJSG_SG_EEES6_PlJS6_EEE10hipError_tPvRmT3_T4_T5_T6_T7_T9_mT8_P12ihipStream_tbDpT10_ENKUlT_T0_E_clISt17integral_constantIbLb1EES1C_IbLb0EEEEDaS18_S19_EUlS18_E_NS1_11comp_targetILNS1_3genE8ELNS1_11target_archE1030ELNS1_3gpuE2ELNS1_3repE0EEENS1_30default_config_static_selectorELNS0_4arch9wavefront6targetE0EEEvT1_.has_dyn_sized_stack, 0
	.set _ZN7rocprim17ROCPRIM_400000_NS6detail17trampoline_kernelINS0_14default_configENS1_25partition_config_selectorILNS1_17partition_subalgoE5EfNS0_10empty_typeEbEEZZNS1_14partition_implILS5_5ELb0ES3_mN6thrust23THRUST_200600_302600_NS6detail15normal_iteratorINSA_10device_ptrIfEEEEPS6_NSA_18transform_iteratorINSB_9not_fun_tI7is_trueIfEEENSC_INSD_IbEEEENSA_11use_defaultESO_EENS0_5tupleIJSF_S6_EEENSQ_IJSG_SG_EEES6_PlJS6_EEE10hipError_tPvRmT3_T4_T5_T6_T7_T9_mT8_P12ihipStream_tbDpT10_ENKUlT_T0_E_clISt17integral_constantIbLb1EES1C_IbLb0EEEEDaS18_S19_EUlS18_E_NS1_11comp_targetILNS1_3genE8ELNS1_11target_archE1030ELNS1_3gpuE2ELNS1_3repE0EEENS1_30default_config_static_selectorELNS0_4arch9wavefront6targetE0EEEvT1_.has_recursion, 0
	.set _ZN7rocprim17ROCPRIM_400000_NS6detail17trampoline_kernelINS0_14default_configENS1_25partition_config_selectorILNS1_17partition_subalgoE5EfNS0_10empty_typeEbEEZZNS1_14partition_implILS5_5ELb0ES3_mN6thrust23THRUST_200600_302600_NS6detail15normal_iteratorINSA_10device_ptrIfEEEEPS6_NSA_18transform_iteratorINSB_9not_fun_tI7is_trueIfEEENSC_INSD_IbEEEENSA_11use_defaultESO_EENS0_5tupleIJSF_S6_EEENSQ_IJSG_SG_EEES6_PlJS6_EEE10hipError_tPvRmT3_T4_T5_T6_T7_T9_mT8_P12ihipStream_tbDpT10_ENKUlT_T0_E_clISt17integral_constantIbLb1EES1C_IbLb0EEEEDaS18_S19_EUlS18_E_NS1_11comp_targetILNS1_3genE8ELNS1_11target_archE1030ELNS1_3gpuE2ELNS1_3repE0EEENS1_30default_config_static_selectorELNS0_4arch9wavefront6targetE0EEEvT1_.has_indirect_call, 0
	.section	.AMDGPU.csdata,"",@progbits
; Kernel info:
; codeLenInByte = 0
; TotalNumSgprs: 0
; NumVgprs: 0
; ScratchSize: 0
; MemoryBound: 0
; FloatMode: 240
; IeeeMode: 1
; LDSByteSize: 0 bytes/workgroup (compile time only)
; SGPRBlocks: 0
; VGPRBlocks: 0
; NumSGPRsForWavesPerEU: 1
; NumVGPRsForWavesPerEU: 1
; Occupancy: 16
; WaveLimiterHint : 0
; COMPUTE_PGM_RSRC2:SCRATCH_EN: 0
; COMPUTE_PGM_RSRC2:USER_SGPR: 2
; COMPUTE_PGM_RSRC2:TRAP_HANDLER: 0
; COMPUTE_PGM_RSRC2:TGID_X_EN: 1
; COMPUTE_PGM_RSRC2:TGID_Y_EN: 0
; COMPUTE_PGM_RSRC2:TGID_Z_EN: 0
; COMPUTE_PGM_RSRC2:TIDIG_COMP_CNT: 0
	.section	.text._ZN7rocprim17ROCPRIM_400000_NS6detail17trampoline_kernelINS0_14default_configENS1_25partition_config_selectorILNS1_17partition_subalgoE5EfNS0_10empty_typeEbEEZZNS1_14partition_implILS5_5ELb0ES3_mN6thrust23THRUST_200600_302600_NS6detail15normal_iteratorINSA_10device_ptrIfEEEEPS6_NSA_18transform_iteratorINSB_9not_fun_tI7is_trueIfEEENSC_INSD_IbEEEENSA_11use_defaultESO_EENS0_5tupleIJSF_S6_EEENSQ_IJSG_SG_EEES6_PlJS6_EEE10hipError_tPvRmT3_T4_T5_T6_T7_T9_mT8_P12ihipStream_tbDpT10_ENKUlT_T0_E_clISt17integral_constantIbLb0EES1C_IbLb1EEEEDaS18_S19_EUlS18_E_NS1_11comp_targetILNS1_3genE0ELNS1_11target_archE4294967295ELNS1_3gpuE0ELNS1_3repE0EEENS1_30default_config_static_selectorELNS0_4arch9wavefront6targetE0EEEvT1_,"axG",@progbits,_ZN7rocprim17ROCPRIM_400000_NS6detail17trampoline_kernelINS0_14default_configENS1_25partition_config_selectorILNS1_17partition_subalgoE5EfNS0_10empty_typeEbEEZZNS1_14partition_implILS5_5ELb0ES3_mN6thrust23THRUST_200600_302600_NS6detail15normal_iteratorINSA_10device_ptrIfEEEEPS6_NSA_18transform_iteratorINSB_9not_fun_tI7is_trueIfEEENSC_INSD_IbEEEENSA_11use_defaultESO_EENS0_5tupleIJSF_S6_EEENSQ_IJSG_SG_EEES6_PlJS6_EEE10hipError_tPvRmT3_T4_T5_T6_T7_T9_mT8_P12ihipStream_tbDpT10_ENKUlT_T0_E_clISt17integral_constantIbLb0EES1C_IbLb1EEEEDaS18_S19_EUlS18_E_NS1_11comp_targetILNS1_3genE0ELNS1_11target_archE4294967295ELNS1_3gpuE0ELNS1_3repE0EEENS1_30default_config_static_selectorELNS0_4arch9wavefront6targetE0EEEvT1_,comdat
	.protected	_ZN7rocprim17ROCPRIM_400000_NS6detail17trampoline_kernelINS0_14default_configENS1_25partition_config_selectorILNS1_17partition_subalgoE5EfNS0_10empty_typeEbEEZZNS1_14partition_implILS5_5ELb0ES3_mN6thrust23THRUST_200600_302600_NS6detail15normal_iteratorINSA_10device_ptrIfEEEEPS6_NSA_18transform_iteratorINSB_9not_fun_tI7is_trueIfEEENSC_INSD_IbEEEENSA_11use_defaultESO_EENS0_5tupleIJSF_S6_EEENSQ_IJSG_SG_EEES6_PlJS6_EEE10hipError_tPvRmT3_T4_T5_T6_T7_T9_mT8_P12ihipStream_tbDpT10_ENKUlT_T0_E_clISt17integral_constantIbLb0EES1C_IbLb1EEEEDaS18_S19_EUlS18_E_NS1_11comp_targetILNS1_3genE0ELNS1_11target_archE4294967295ELNS1_3gpuE0ELNS1_3repE0EEENS1_30default_config_static_selectorELNS0_4arch9wavefront6targetE0EEEvT1_ ; -- Begin function _ZN7rocprim17ROCPRIM_400000_NS6detail17trampoline_kernelINS0_14default_configENS1_25partition_config_selectorILNS1_17partition_subalgoE5EfNS0_10empty_typeEbEEZZNS1_14partition_implILS5_5ELb0ES3_mN6thrust23THRUST_200600_302600_NS6detail15normal_iteratorINSA_10device_ptrIfEEEEPS6_NSA_18transform_iteratorINSB_9not_fun_tI7is_trueIfEEENSC_INSD_IbEEEENSA_11use_defaultESO_EENS0_5tupleIJSF_S6_EEENSQ_IJSG_SG_EEES6_PlJS6_EEE10hipError_tPvRmT3_T4_T5_T6_T7_T9_mT8_P12ihipStream_tbDpT10_ENKUlT_T0_E_clISt17integral_constantIbLb0EES1C_IbLb1EEEEDaS18_S19_EUlS18_E_NS1_11comp_targetILNS1_3genE0ELNS1_11target_archE4294967295ELNS1_3gpuE0ELNS1_3repE0EEENS1_30default_config_static_selectorELNS0_4arch9wavefront6targetE0EEEvT1_
	.globl	_ZN7rocprim17ROCPRIM_400000_NS6detail17trampoline_kernelINS0_14default_configENS1_25partition_config_selectorILNS1_17partition_subalgoE5EfNS0_10empty_typeEbEEZZNS1_14partition_implILS5_5ELb0ES3_mN6thrust23THRUST_200600_302600_NS6detail15normal_iteratorINSA_10device_ptrIfEEEEPS6_NSA_18transform_iteratorINSB_9not_fun_tI7is_trueIfEEENSC_INSD_IbEEEENSA_11use_defaultESO_EENS0_5tupleIJSF_S6_EEENSQ_IJSG_SG_EEES6_PlJS6_EEE10hipError_tPvRmT3_T4_T5_T6_T7_T9_mT8_P12ihipStream_tbDpT10_ENKUlT_T0_E_clISt17integral_constantIbLb0EES1C_IbLb1EEEEDaS18_S19_EUlS18_E_NS1_11comp_targetILNS1_3genE0ELNS1_11target_archE4294967295ELNS1_3gpuE0ELNS1_3repE0EEENS1_30default_config_static_selectorELNS0_4arch9wavefront6targetE0EEEvT1_
	.p2align	8
	.type	_ZN7rocprim17ROCPRIM_400000_NS6detail17trampoline_kernelINS0_14default_configENS1_25partition_config_selectorILNS1_17partition_subalgoE5EfNS0_10empty_typeEbEEZZNS1_14partition_implILS5_5ELb0ES3_mN6thrust23THRUST_200600_302600_NS6detail15normal_iteratorINSA_10device_ptrIfEEEEPS6_NSA_18transform_iteratorINSB_9not_fun_tI7is_trueIfEEENSC_INSD_IbEEEENSA_11use_defaultESO_EENS0_5tupleIJSF_S6_EEENSQ_IJSG_SG_EEES6_PlJS6_EEE10hipError_tPvRmT3_T4_T5_T6_T7_T9_mT8_P12ihipStream_tbDpT10_ENKUlT_T0_E_clISt17integral_constantIbLb0EES1C_IbLb1EEEEDaS18_S19_EUlS18_E_NS1_11comp_targetILNS1_3genE0ELNS1_11target_archE4294967295ELNS1_3gpuE0ELNS1_3repE0EEENS1_30default_config_static_selectorELNS0_4arch9wavefront6targetE0EEEvT1_,@function
_ZN7rocprim17ROCPRIM_400000_NS6detail17trampoline_kernelINS0_14default_configENS1_25partition_config_selectorILNS1_17partition_subalgoE5EfNS0_10empty_typeEbEEZZNS1_14partition_implILS5_5ELb0ES3_mN6thrust23THRUST_200600_302600_NS6detail15normal_iteratorINSA_10device_ptrIfEEEEPS6_NSA_18transform_iteratorINSB_9not_fun_tI7is_trueIfEEENSC_INSD_IbEEEENSA_11use_defaultESO_EENS0_5tupleIJSF_S6_EEENSQ_IJSG_SG_EEES6_PlJS6_EEE10hipError_tPvRmT3_T4_T5_T6_T7_T9_mT8_P12ihipStream_tbDpT10_ENKUlT_T0_E_clISt17integral_constantIbLb0EES1C_IbLb1EEEEDaS18_S19_EUlS18_E_NS1_11comp_targetILNS1_3genE0ELNS1_11target_archE4294967295ELNS1_3gpuE0ELNS1_3repE0EEENS1_30default_config_static_selectorELNS0_4arch9wavefront6targetE0EEEvT1_: ; @_ZN7rocprim17ROCPRIM_400000_NS6detail17trampoline_kernelINS0_14default_configENS1_25partition_config_selectorILNS1_17partition_subalgoE5EfNS0_10empty_typeEbEEZZNS1_14partition_implILS5_5ELb0ES3_mN6thrust23THRUST_200600_302600_NS6detail15normal_iteratorINSA_10device_ptrIfEEEEPS6_NSA_18transform_iteratorINSB_9not_fun_tI7is_trueIfEEENSC_INSD_IbEEEENSA_11use_defaultESO_EENS0_5tupleIJSF_S6_EEENSQ_IJSG_SG_EEES6_PlJS6_EEE10hipError_tPvRmT3_T4_T5_T6_T7_T9_mT8_P12ihipStream_tbDpT10_ENKUlT_T0_E_clISt17integral_constantIbLb0EES1C_IbLb1EEEEDaS18_S19_EUlS18_E_NS1_11comp_targetILNS1_3genE0ELNS1_11target_archE4294967295ELNS1_3gpuE0ELNS1_3repE0EEENS1_30default_config_static_selectorELNS0_4arch9wavefront6targetE0EEEvT1_
; %bb.0:
	.section	.rodata,"a",@progbits
	.p2align	6, 0x0
	.amdhsa_kernel _ZN7rocprim17ROCPRIM_400000_NS6detail17trampoline_kernelINS0_14default_configENS1_25partition_config_selectorILNS1_17partition_subalgoE5EfNS0_10empty_typeEbEEZZNS1_14partition_implILS5_5ELb0ES3_mN6thrust23THRUST_200600_302600_NS6detail15normal_iteratorINSA_10device_ptrIfEEEEPS6_NSA_18transform_iteratorINSB_9not_fun_tI7is_trueIfEEENSC_INSD_IbEEEENSA_11use_defaultESO_EENS0_5tupleIJSF_S6_EEENSQ_IJSG_SG_EEES6_PlJS6_EEE10hipError_tPvRmT3_T4_T5_T6_T7_T9_mT8_P12ihipStream_tbDpT10_ENKUlT_T0_E_clISt17integral_constantIbLb0EES1C_IbLb1EEEEDaS18_S19_EUlS18_E_NS1_11comp_targetILNS1_3genE0ELNS1_11target_archE4294967295ELNS1_3gpuE0ELNS1_3repE0EEENS1_30default_config_static_selectorELNS0_4arch9wavefront6targetE0EEEvT1_
		.amdhsa_group_segment_fixed_size 0
		.amdhsa_private_segment_fixed_size 0
		.amdhsa_kernarg_size 136
		.amdhsa_user_sgpr_count 2
		.amdhsa_user_sgpr_dispatch_ptr 0
		.amdhsa_user_sgpr_queue_ptr 0
		.amdhsa_user_sgpr_kernarg_segment_ptr 1
		.amdhsa_user_sgpr_dispatch_id 0
		.amdhsa_user_sgpr_private_segment_size 0
		.amdhsa_wavefront_size32 1
		.amdhsa_uses_dynamic_stack 0
		.amdhsa_enable_private_segment 0
		.amdhsa_system_sgpr_workgroup_id_x 1
		.amdhsa_system_sgpr_workgroup_id_y 0
		.amdhsa_system_sgpr_workgroup_id_z 0
		.amdhsa_system_sgpr_workgroup_info 0
		.amdhsa_system_vgpr_workitem_id 0
		.amdhsa_next_free_vgpr 1
		.amdhsa_next_free_sgpr 1
		.amdhsa_reserve_vcc 0
		.amdhsa_float_round_mode_32 0
		.amdhsa_float_round_mode_16_64 0
		.amdhsa_float_denorm_mode_32 3
		.amdhsa_float_denorm_mode_16_64 3
		.amdhsa_fp16_overflow 0
		.amdhsa_workgroup_processor_mode 1
		.amdhsa_memory_ordered 1
		.amdhsa_forward_progress 1
		.amdhsa_inst_pref_size 0
		.amdhsa_round_robin_scheduling 0
		.amdhsa_exception_fp_ieee_invalid_op 0
		.amdhsa_exception_fp_denorm_src 0
		.amdhsa_exception_fp_ieee_div_zero 0
		.amdhsa_exception_fp_ieee_overflow 0
		.amdhsa_exception_fp_ieee_underflow 0
		.amdhsa_exception_fp_ieee_inexact 0
		.amdhsa_exception_int_div_zero 0
	.end_amdhsa_kernel
	.section	.text._ZN7rocprim17ROCPRIM_400000_NS6detail17trampoline_kernelINS0_14default_configENS1_25partition_config_selectorILNS1_17partition_subalgoE5EfNS0_10empty_typeEbEEZZNS1_14partition_implILS5_5ELb0ES3_mN6thrust23THRUST_200600_302600_NS6detail15normal_iteratorINSA_10device_ptrIfEEEEPS6_NSA_18transform_iteratorINSB_9not_fun_tI7is_trueIfEEENSC_INSD_IbEEEENSA_11use_defaultESO_EENS0_5tupleIJSF_S6_EEENSQ_IJSG_SG_EEES6_PlJS6_EEE10hipError_tPvRmT3_T4_T5_T6_T7_T9_mT8_P12ihipStream_tbDpT10_ENKUlT_T0_E_clISt17integral_constantIbLb0EES1C_IbLb1EEEEDaS18_S19_EUlS18_E_NS1_11comp_targetILNS1_3genE0ELNS1_11target_archE4294967295ELNS1_3gpuE0ELNS1_3repE0EEENS1_30default_config_static_selectorELNS0_4arch9wavefront6targetE0EEEvT1_,"axG",@progbits,_ZN7rocprim17ROCPRIM_400000_NS6detail17trampoline_kernelINS0_14default_configENS1_25partition_config_selectorILNS1_17partition_subalgoE5EfNS0_10empty_typeEbEEZZNS1_14partition_implILS5_5ELb0ES3_mN6thrust23THRUST_200600_302600_NS6detail15normal_iteratorINSA_10device_ptrIfEEEEPS6_NSA_18transform_iteratorINSB_9not_fun_tI7is_trueIfEEENSC_INSD_IbEEEENSA_11use_defaultESO_EENS0_5tupleIJSF_S6_EEENSQ_IJSG_SG_EEES6_PlJS6_EEE10hipError_tPvRmT3_T4_T5_T6_T7_T9_mT8_P12ihipStream_tbDpT10_ENKUlT_T0_E_clISt17integral_constantIbLb0EES1C_IbLb1EEEEDaS18_S19_EUlS18_E_NS1_11comp_targetILNS1_3genE0ELNS1_11target_archE4294967295ELNS1_3gpuE0ELNS1_3repE0EEENS1_30default_config_static_selectorELNS0_4arch9wavefront6targetE0EEEvT1_,comdat
.Lfunc_end2389:
	.size	_ZN7rocprim17ROCPRIM_400000_NS6detail17trampoline_kernelINS0_14default_configENS1_25partition_config_selectorILNS1_17partition_subalgoE5EfNS0_10empty_typeEbEEZZNS1_14partition_implILS5_5ELb0ES3_mN6thrust23THRUST_200600_302600_NS6detail15normal_iteratorINSA_10device_ptrIfEEEEPS6_NSA_18transform_iteratorINSB_9not_fun_tI7is_trueIfEEENSC_INSD_IbEEEENSA_11use_defaultESO_EENS0_5tupleIJSF_S6_EEENSQ_IJSG_SG_EEES6_PlJS6_EEE10hipError_tPvRmT3_T4_T5_T6_T7_T9_mT8_P12ihipStream_tbDpT10_ENKUlT_T0_E_clISt17integral_constantIbLb0EES1C_IbLb1EEEEDaS18_S19_EUlS18_E_NS1_11comp_targetILNS1_3genE0ELNS1_11target_archE4294967295ELNS1_3gpuE0ELNS1_3repE0EEENS1_30default_config_static_selectorELNS0_4arch9wavefront6targetE0EEEvT1_, .Lfunc_end2389-_ZN7rocprim17ROCPRIM_400000_NS6detail17trampoline_kernelINS0_14default_configENS1_25partition_config_selectorILNS1_17partition_subalgoE5EfNS0_10empty_typeEbEEZZNS1_14partition_implILS5_5ELb0ES3_mN6thrust23THRUST_200600_302600_NS6detail15normal_iteratorINSA_10device_ptrIfEEEEPS6_NSA_18transform_iteratorINSB_9not_fun_tI7is_trueIfEEENSC_INSD_IbEEEENSA_11use_defaultESO_EENS0_5tupleIJSF_S6_EEENSQ_IJSG_SG_EEES6_PlJS6_EEE10hipError_tPvRmT3_T4_T5_T6_T7_T9_mT8_P12ihipStream_tbDpT10_ENKUlT_T0_E_clISt17integral_constantIbLb0EES1C_IbLb1EEEEDaS18_S19_EUlS18_E_NS1_11comp_targetILNS1_3genE0ELNS1_11target_archE4294967295ELNS1_3gpuE0ELNS1_3repE0EEENS1_30default_config_static_selectorELNS0_4arch9wavefront6targetE0EEEvT1_
                                        ; -- End function
	.set _ZN7rocprim17ROCPRIM_400000_NS6detail17trampoline_kernelINS0_14default_configENS1_25partition_config_selectorILNS1_17partition_subalgoE5EfNS0_10empty_typeEbEEZZNS1_14partition_implILS5_5ELb0ES3_mN6thrust23THRUST_200600_302600_NS6detail15normal_iteratorINSA_10device_ptrIfEEEEPS6_NSA_18transform_iteratorINSB_9not_fun_tI7is_trueIfEEENSC_INSD_IbEEEENSA_11use_defaultESO_EENS0_5tupleIJSF_S6_EEENSQ_IJSG_SG_EEES6_PlJS6_EEE10hipError_tPvRmT3_T4_T5_T6_T7_T9_mT8_P12ihipStream_tbDpT10_ENKUlT_T0_E_clISt17integral_constantIbLb0EES1C_IbLb1EEEEDaS18_S19_EUlS18_E_NS1_11comp_targetILNS1_3genE0ELNS1_11target_archE4294967295ELNS1_3gpuE0ELNS1_3repE0EEENS1_30default_config_static_selectorELNS0_4arch9wavefront6targetE0EEEvT1_.num_vgpr, 0
	.set _ZN7rocprim17ROCPRIM_400000_NS6detail17trampoline_kernelINS0_14default_configENS1_25partition_config_selectorILNS1_17partition_subalgoE5EfNS0_10empty_typeEbEEZZNS1_14partition_implILS5_5ELb0ES3_mN6thrust23THRUST_200600_302600_NS6detail15normal_iteratorINSA_10device_ptrIfEEEEPS6_NSA_18transform_iteratorINSB_9not_fun_tI7is_trueIfEEENSC_INSD_IbEEEENSA_11use_defaultESO_EENS0_5tupleIJSF_S6_EEENSQ_IJSG_SG_EEES6_PlJS6_EEE10hipError_tPvRmT3_T4_T5_T6_T7_T9_mT8_P12ihipStream_tbDpT10_ENKUlT_T0_E_clISt17integral_constantIbLb0EES1C_IbLb1EEEEDaS18_S19_EUlS18_E_NS1_11comp_targetILNS1_3genE0ELNS1_11target_archE4294967295ELNS1_3gpuE0ELNS1_3repE0EEENS1_30default_config_static_selectorELNS0_4arch9wavefront6targetE0EEEvT1_.num_agpr, 0
	.set _ZN7rocprim17ROCPRIM_400000_NS6detail17trampoline_kernelINS0_14default_configENS1_25partition_config_selectorILNS1_17partition_subalgoE5EfNS0_10empty_typeEbEEZZNS1_14partition_implILS5_5ELb0ES3_mN6thrust23THRUST_200600_302600_NS6detail15normal_iteratorINSA_10device_ptrIfEEEEPS6_NSA_18transform_iteratorINSB_9not_fun_tI7is_trueIfEEENSC_INSD_IbEEEENSA_11use_defaultESO_EENS0_5tupleIJSF_S6_EEENSQ_IJSG_SG_EEES6_PlJS6_EEE10hipError_tPvRmT3_T4_T5_T6_T7_T9_mT8_P12ihipStream_tbDpT10_ENKUlT_T0_E_clISt17integral_constantIbLb0EES1C_IbLb1EEEEDaS18_S19_EUlS18_E_NS1_11comp_targetILNS1_3genE0ELNS1_11target_archE4294967295ELNS1_3gpuE0ELNS1_3repE0EEENS1_30default_config_static_selectorELNS0_4arch9wavefront6targetE0EEEvT1_.numbered_sgpr, 0
	.set _ZN7rocprim17ROCPRIM_400000_NS6detail17trampoline_kernelINS0_14default_configENS1_25partition_config_selectorILNS1_17partition_subalgoE5EfNS0_10empty_typeEbEEZZNS1_14partition_implILS5_5ELb0ES3_mN6thrust23THRUST_200600_302600_NS6detail15normal_iteratorINSA_10device_ptrIfEEEEPS6_NSA_18transform_iteratorINSB_9not_fun_tI7is_trueIfEEENSC_INSD_IbEEEENSA_11use_defaultESO_EENS0_5tupleIJSF_S6_EEENSQ_IJSG_SG_EEES6_PlJS6_EEE10hipError_tPvRmT3_T4_T5_T6_T7_T9_mT8_P12ihipStream_tbDpT10_ENKUlT_T0_E_clISt17integral_constantIbLb0EES1C_IbLb1EEEEDaS18_S19_EUlS18_E_NS1_11comp_targetILNS1_3genE0ELNS1_11target_archE4294967295ELNS1_3gpuE0ELNS1_3repE0EEENS1_30default_config_static_selectorELNS0_4arch9wavefront6targetE0EEEvT1_.num_named_barrier, 0
	.set _ZN7rocprim17ROCPRIM_400000_NS6detail17trampoline_kernelINS0_14default_configENS1_25partition_config_selectorILNS1_17partition_subalgoE5EfNS0_10empty_typeEbEEZZNS1_14partition_implILS5_5ELb0ES3_mN6thrust23THRUST_200600_302600_NS6detail15normal_iteratorINSA_10device_ptrIfEEEEPS6_NSA_18transform_iteratorINSB_9not_fun_tI7is_trueIfEEENSC_INSD_IbEEEENSA_11use_defaultESO_EENS0_5tupleIJSF_S6_EEENSQ_IJSG_SG_EEES6_PlJS6_EEE10hipError_tPvRmT3_T4_T5_T6_T7_T9_mT8_P12ihipStream_tbDpT10_ENKUlT_T0_E_clISt17integral_constantIbLb0EES1C_IbLb1EEEEDaS18_S19_EUlS18_E_NS1_11comp_targetILNS1_3genE0ELNS1_11target_archE4294967295ELNS1_3gpuE0ELNS1_3repE0EEENS1_30default_config_static_selectorELNS0_4arch9wavefront6targetE0EEEvT1_.private_seg_size, 0
	.set _ZN7rocprim17ROCPRIM_400000_NS6detail17trampoline_kernelINS0_14default_configENS1_25partition_config_selectorILNS1_17partition_subalgoE5EfNS0_10empty_typeEbEEZZNS1_14partition_implILS5_5ELb0ES3_mN6thrust23THRUST_200600_302600_NS6detail15normal_iteratorINSA_10device_ptrIfEEEEPS6_NSA_18transform_iteratorINSB_9not_fun_tI7is_trueIfEEENSC_INSD_IbEEEENSA_11use_defaultESO_EENS0_5tupleIJSF_S6_EEENSQ_IJSG_SG_EEES6_PlJS6_EEE10hipError_tPvRmT3_T4_T5_T6_T7_T9_mT8_P12ihipStream_tbDpT10_ENKUlT_T0_E_clISt17integral_constantIbLb0EES1C_IbLb1EEEEDaS18_S19_EUlS18_E_NS1_11comp_targetILNS1_3genE0ELNS1_11target_archE4294967295ELNS1_3gpuE0ELNS1_3repE0EEENS1_30default_config_static_selectorELNS0_4arch9wavefront6targetE0EEEvT1_.uses_vcc, 0
	.set _ZN7rocprim17ROCPRIM_400000_NS6detail17trampoline_kernelINS0_14default_configENS1_25partition_config_selectorILNS1_17partition_subalgoE5EfNS0_10empty_typeEbEEZZNS1_14partition_implILS5_5ELb0ES3_mN6thrust23THRUST_200600_302600_NS6detail15normal_iteratorINSA_10device_ptrIfEEEEPS6_NSA_18transform_iteratorINSB_9not_fun_tI7is_trueIfEEENSC_INSD_IbEEEENSA_11use_defaultESO_EENS0_5tupleIJSF_S6_EEENSQ_IJSG_SG_EEES6_PlJS6_EEE10hipError_tPvRmT3_T4_T5_T6_T7_T9_mT8_P12ihipStream_tbDpT10_ENKUlT_T0_E_clISt17integral_constantIbLb0EES1C_IbLb1EEEEDaS18_S19_EUlS18_E_NS1_11comp_targetILNS1_3genE0ELNS1_11target_archE4294967295ELNS1_3gpuE0ELNS1_3repE0EEENS1_30default_config_static_selectorELNS0_4arch9wavefront6targetE0EEEvT1_.uses_flat_scratch, 0
	.set _ZN7rocprim17ROCPRIM_400000_NS6detail17trampoline_kernelINS0_14default_configENS1_25partition_config_selectorILNS1_17partition_subalgoE5EfNS0_10empty_typeEbEEZZNS1_14partition_implILS5_5ELb0ES3_mN6thrust23THRUST_200600_302600_NS6detail15normal_iteratorINSA_10device_ptrIfEEEEPS6_NSA_18transform_iteratorINSB_9not_fun_tI7is_trueIfEEENSC_INSD_IbEEEENSA_11use_defaultESO_EENS0_5tupleIJSF_S6_EEENSQ_IJSG_SG_EEES6_PlJS6_EEE10hipError_tPvRmT3_T4_T5_T6_T7_T9_mT8_P12ihipStream_tbDpT10_ENKUlT_T0_E_clISt17integral_constantIbLb0EES1C_IbLb1EEEEDaS18_S19_EUlS18_E_NS1_11comp_targetILNS1_3genE0ELNS1_11target_archE4294967295ELNS1_3gpuE0ELNS1_3repE0EEENS1_30default_config_static_selectorELNS0_4arch9wavefront6targetE0EEEvT1_.has_dyn_sized_stack, 0
	.set _ZN7rocprim17ROCPRIM_400000_NS6detail17trampoline_kernelINS0_14default_configENS1_25partition_config_selectorILNS1_17partition_subalgoE5EfNS0_10empty_typeEbEEZZNS1_14partition_implILS5_5ELb0ES3_mN6thrust23THRUST_200600_302600_NS6detail15normal_iteratorINSA_10device_ptrIfEEEEPS6_NSA_18transform_iteratorINSB_9not_fun_tI7is_trueIfEEENSC_INSD_IbEEEENSA_11use_defaultESO_EENS0_5tupleIJSF_S6_EEENSQ_IJSG_SG_EEES6_PlJS6_EEE10hipError_tPvRmT3_T4_T5_T6_T7_T9_mT8_P12ihipStream_tbDpT10_ENKUlT_T0_E_clISt17integral_constantIbLb0EES1C_IbLb1EEEEDaS18_S19_EUlS18_E_NS1_11comp_targetILNS1_3genE0ELNS1_11target_archE4294967295ELNS1_3gpuE0ELNS1_3repE0EEENS1_30default_config_static_selectorELNS0_4arch9wavefront6targetE0EEEvT1_.has_recursion, 0
	.set _ZN7rocprim17ROCPRIM_400000_NS6detail17trampoline_kernelINS0_14default_configENS1_25partition_config_selectorILNS1_17partition_subalgoE5EfNS0_10empty_typeEbEEZZNS1_14partition_implILS5_5ELb0ES3_mN6thrust23THRUST_200600_302600_NS6detail15normal_iteratorINSA_10device_ptrIfEEEEPS6_NSA_18transform_iteratorINSB_9not_fun_tI7is_trueIfEEENSC_INSD_IbEEEENSA_11use_defaultESO_EENS0_5tupleIJSF_S6_EEENSQ_IJSG_SG_EEES6_PlJS6_EEE10hipError_tPvRmT3_T4_T5_T6_T7_T9_mT8_P12ihipStream_tbDpT10_ENKUlT_T0_E_clISt17integral_constantIbLb0EES1C_IbLb1EEEEDaS18_S19_EUlS18_E_NS1_11comp_targetILNS1_3genE0ELNS1_11target_archE4294967295ELNS1_3gpuE0ELNS1_3repE0EEENS1_30default_config_static_selectorELNS0_4arch9wavefront6targetE0EEEvT1_.has_indirect_call, 0
	.section	.AMDGPU.csdata,"",@progbits
; Kernel info:
; codeLenInByte = 0
; TotalNumSgprs: 0
; NumVgprs: 0
; ScratchSize: 0
; MemoryBound: 0
; FloatMode: 240
; IeeeMode: 1
; LDSByteSize: 0 bytes/workgroup (compile time only)
; SGPRBlocks: 0
; VGPRBlocks: 0
; NumSGPRsForWavesPerEU: 1
; NumVGPRsForWavesPerEU: 1
; Occupancy: 16
; WaveLimiterHint : 0
; COMPUTE_PGM_RSRC2:SCRATCH_EN: 0
; COMPUTE_PGM_RSRC2:USER_SGPR: 2
; COMPUTE_PGM_RSRC2:TRAP_HANDLER: 0
; COMPUTE_PGM_RSRC2:TGID_X_EN: 1
; COMPUTE_PGM_RSRC2:TGID_Y_EN: 0
; COMPUTE_PGM_RSRC2:TGID_Z_EN: 0
; COMPUTE_PGM_RSRC2:TIDIG_COMP_CNT: 0
	.section	.text._ZN7rocprim17ROCPRIM_400000_NS6detail17trampoline_kernelINS0_14default_configENS1_25partition_config_selectorILNS1_17partition_subalgoE5EfNS0_10empty_typeEbEEZZNS1_14partition_implILS5_5ELb0ES3_mN6thrust23THRUST_200600_302600_NS6detail15normal_iteratorINSA_10device_ptrIfEEEEPS6_NSA_18transform_iteratorINSB_9not_fun_tI7is_trueIfEEENSC_INSD_IbEEEENSA_11use_defaultESO_EENS0_5tupleIJSF_S6_EEENSQ_IJSG_SG_EEES6_PlJS6_EEE10hipError_tPvRmT3_T4_T5_T6_T7_T9_mT8_P12ihipStream_tbDpT10_ENKUlT_T0_E_clISt17integral_constantIbLb0EES1C_IbLb1EEEEDaS18_S19_EUlS18_E_NS1_11comp_targetILNS1_3genE5ELNS1_11target_archE942ELNS1_3gpuE9ELNS1_3repE0EEENS1_30default_config_static_selectorELNS0_4arch9wavefront6targetE0EEEvT1_,"axG",@progbits,_ZN7rocprim17ROCPRIM_400000_NS6detail17trampoline_kernelINS0_14default_configENS1_25partition_config_selectorILNS1_17partition_subalgoE5EfNS0_10empty_typeEbEEZZNS1_14partition_implILS5_5ELb0ES3_mN6thrust23THRUST_200600_302600_NS6detail15normal_iteratorINSA_10device_ptrIfEEEEPS6_NSA_18transform_iteratorINSB_9not_fun_tI7is_trueIfEEENSC_INSD_IbEEEENSA_11use_defaultESO_EENS0_5tupleIJSF_S6_EEENSQ_IJSG_SG_EEES6_PlJS6_EEE10hipError_tPvRmT3_T4_T5_T6_T7_T9_mT8_P12ihipStream_tbDpT10_ENKUlT_T0_E_clISt17integral_constantIbLb0EES1C_IbLb1EEEEDaS18_S19_EUlS18_E_NS1_11comp_targetILNS1_3genE5ELNS1_11target_archE942ELNS1_3gpuE9ELNS1_3repE0EEENS1_30default_config_static_selectorELNS0_4arch9wavefront6targetE0EEEvT1_,comdat
	.protected	_ZN7rocprim17ROCPRIM_400000_NS6detail17trampoline_kernelINS0_14default_configENS1_25partition_config_selectorILNS1_17partition_subalgoE5EfNS0_10empty_typeEbEEZZNS1_14partition_implILS5_5ELb0ES3_mN6thrust23THRUST_200600_302600_NS6detail15normal_iteratorINSA_10device_ptrIfEEEEPS6_NSA_18transform_iteratorINSB_9not_fun_tI7is_trueIfEEENSC_INSD_IbEEEENSA_11use_defaultESO_EENS0_5tupleIJSF_S6_EEENSQ_IJSG_SG_EEES6_PlJS6_EEE10hipError_tPvRmT3_T4_T5_T6_T7_T9_mT8_P12ihipStream_tbDpT10_ENKUlT_T0_E_clISt17integral_constantIbLb0EES1C_IbLb1EEEEDaS18_S19_EUlS18_E_NS1_11comp_targetILNS1_3genE5ELNS1_11target_archE942ELNS1_3gpuE9ELNS1_3repE0EEENS1_30default_config_static_selectorELNS0_4arch9wavefront6targetE0EEEvT1_ ; -- Begin function _ZN7rocprim17ROCPRIM_400000_NS6detail17trampoline_kernelINS0_14default_configENS1_25partition_config_selectorILNS1_17partition_subalgoE5EfNS0_10empty_typeEbEEZZNS1_14partition_implILS5_5ELb0ES3_mN6thrust23THRUST_200600_302600_NS6detail15normal_iteratorINSA_10device_ptrIfEEEEPS6_NSA_18transform_iteratorINSB_9not_fun_tI7is_trueIfEEENSC_INSD_IbEEEENSA_11use_defaultESO_EENS0_5tupleIJSF_S6_EEENSQ_IJSG_SG_EEES6_PlJS6_EEE10hipError_tPvRmT3_T4_T5_T6_T7_T9_mT8_P12ihipStream_tbDpT10_ENKUlT_T0_E_clISt17integral_constantIbLb0EES1C_IbLb1EEEEDaS18_S19_EUlS18_E_NS1_11comp_targetILNS1_3genE5ELNS1_11target_archE942ELNS1_3gpuE9ELNS1_3repE0EEENS1_30default_config_static_selectorELNS0_4arch9wavefront6targetE0EEEvT1_
	.globl	_ZN7rocprim17ROCPRIM_400000_NS6detail17trampoline_kernelINS0_14default_configENS1_25partition_config_selectorILNS1_17partition_subalgoE5EfNS0_10empty_typeEbEEZZNS1_14partition_implILS5_5ELb0ES3_mN6thrust23THRUST_200600_302600_NS6detail15normal_iteratorINSA_10device_ptrIfEEEEPS6_NSA_18transform_iteratorINSB_9not_fun_tI7is_trueIfEEENSC_INSD_IbEEEENSA_11use_defaultESO_EENS0_5tupleIJSF_S6_EEENSQ_IJSG_SG_EEES6_PlJS6_EEE10hipError_tPvRmT3_T4_T5_T6_T7_T9_mT8_P12ihipStream_tbDpT10_ENKUlT_T0_E_clISt17integral_constantIbLb0EES1C_IbLb1EEEEDaS18_S19_EUlS18_E_NS1_11comp_targetILNS1_3genE5ELNS1_11target_archE942ELNS1_3gpuE9ELNS1_3repE0EEENS1_30default_config_static_selectorELNS0_4arch9wavefront6targetE0EEEvT1_
	.p2align	8
	.type	_ZN7rocprim17ROCPRIM_400000_NS6detail17trampoline_kernelINS0_14default_configENS1_25partition_config_selectorILNS1_17partition_subalgoE5EfNS0_10empty_typeEbEEZZNS1_14partition_implILS5_5ELb0ES3_mN6thrust23THRUST_200600_302600_NS6detail15normal_iteratorINSA_10device_ptrIfEEEEPS6_NSA_18transform_iteratorINSB_9not_fun_tI7is_trueIfEEENSC_INSD_IbEEEENSA_11use_defaultESO_EENS0_5tupleIJSF_S6_EEENSQ_IJSG_SG_EEES6_PlJS6_EEE10hipError_tPvRmT3_T4_T5_T6_T7_T9_mT8_P12ihipStream_tbDpT10_ENKUlT_T0_E_clISt17integral_constantIbLb0EES1C_IbLb1EEEEDaS18_S19_EUlS18_E_NS1_11comp_targetILNS1_3genE5ELNS1_11target_archE942ELNS1_3gpuE9ELNS1_3repE0EEENS1_30default_config_static_selectorELNS0_4arch9wavefront6targetE0EEEvT1_,@function
_ZN7rocprim17ROCPRIM_400000_NS6detail17trampoline_kernelINS0_14default_configENS1_25partition_config_selectorILNS1_17partition_subalgoE5EfNS0_10empty_typeEbEEZZNS1_14partition_implILS5_5ELb0ES3_mN6thrust23THRUST_200600_302600_NS6detail15normal_iteratorINSA_10device_ptrIfEEEEPS6_NSA_18transform_iteratorINSB_9not_fun_tI7is_trueIfEEENSC_INSD_IbEEEENSA_11use_defaultESO_EENS0_5tupleIJSF_S6_EEENSQ_IJSG_SG_EEES6_PlJS6_EEE10hipError_tPvRmT3_T4_T5_T6_T7_T9_mT8_P12ihipStream_tbDpT10_ENKUlT_T0_E_clISt17integral_constantIbLb0EES1C_IbLb1EEEEDaS18_S19_EUlS18_E_NS1_11comp_targetILNS1_3genE5ELNS1_11target_archE942ELNS1_3gpuE9ELNS1_3repE0EEENS1_30default_config_static_selectorELNS0_4arch9wavefront6targetE0EEEvT1_: ; @_ZN7rocprim17ROCPRIM_400000_NS6detail17trampoline_kernelINS0_14default_configENS1_25partition_config_selectorILNS1_17partition_subalgoE5EfNS0_10empty_typeEbEEZZNS1_14partition_implILS5_5ELb0ES3_mN6thrust23THRUST_200600_302600_NS6detail15normal_iteratorINSA_10device_ptrIfEEEEPS6_NSA_18transform_iteratorINSB_9not_fun_tI7is_trueIfEEENSC_INSD_IbEEEENSA_11use_defaultESO_EENS0_5tupleIJSF_S6_EEENSQ_IJSG_SG_EEES6_PlJS6_EEE10hipError_tPvRmT3_T4_T5_T6_T7_T9_mT8_P12ihipStream_tbDpT10_ENKUlT_T0_E_clISt17integral_constantIbLb0EES1C_IbLb1EEEEDaS18_S19_EUlS18_E_NS1_11comp_targetILNS1_3genE5ELNS1_11target_archE942ELNS1_3gpuE9ELNS1_3repE0EEENS1_30default_config_static_selectorELNS0_4arch9wavefront6targetE0EEEvT1_
; %bb.0:
	.section	.rodata,"a",@progbits
	.p2align	6, 0x0
	.amdhsa_kernel _ZN7rocprim17ROCPRIM_400000_NS6detail17trampoline_kernelINS0_14default_configENS1_25partition_config_selectorILNS1_17partition_subalgoE5EfNS0_10empty_typeEbEEZZNS1_14partition_implILS5_5ELb0ES3_mN6thrust23THRUST_200600_302600_NS6detail15normal_iteratorINSA_10device_ptrIfEEEEPS6_NSA_18transform_iteratorINSB_9not_fun_tI7is_trueIfEEENSC_INSD_IbEEEENSA_11use_defaultESO_EENS0_5tupleIJSF_S6_EEENSQ_IJSG_SG_EEES6_PlJS6_EEE10hipError_tPvRmT3_T4_T5_T6_T7_T9_mT8_P12ihipStream_tbDpT10_ENKUlT_T0_E_clISt17integral_constantIbLb0EES1C_IbLb1EEEEDaS18_S19_EUlS18_E_NS1_11comp_targetILNS1_3genE5ELNS1_11target_archE942ELNS1_3gpuE9ELNS1_3repE0EEENS1_30default_config_static_selectorELNS0_4arch9wavefront6targetE0EEEvT1_
		.amdhsa_group_segment_fixed_size 0
		.amdhsa_private_segment_fixed_size 0
		.amdhsa_kernarg_size 136
		.amdhsa_user_sgpr_count 2
		.amdhsa_user_sgpr_dispatch_ptr 0
		.amdhsa_user_sgpr_queue_ptr 0
		.amdhsa_user_sgpr_kernarg_segment_ptr 1
		.amdhsa_user_sgpr_dispatch_id 0
		.amdhsa_user_sgpr_private_segment_size 0
		.amdhsa_wavefront_size32 1
		.amdhsa_uses_dynamic_stack 0
		.amdhsa_enable_private_segment 0
		.amdhsa_system_sgpr_workgroup_id_x 1
		.amdhsa_system_sgpr_workgroup_id_y 0
		.amdhsa_system_sgpr_workgroup_id_z 0
		.amdhsa_system_sgpr_workgroup_info 0
		.amdhsa_system_vgpr_workitem_id 0
		.amdhsa_next_free_vgpr 1
		.amdhsa_next_free_sgpr 1
		.amdhsa_reserve_vcc 0
		.amdhsa_float_round_mode_32 0
		.amdhsa_float_round_mode_16_64 0
		.amdhsa_float_denorm_mode_32 3
		.amdhsa_float_denorm_mode_16_64 3
		.amdhsa_fp16_overflow 0
		.amdhsa_workgroup_processor_mode 1
		.amdhsa_memory_ordered 1
		.amdhsa_forward_progress 1
		.amdhsa_inst_pref_size 0
		.amdhsa_round_robin_scheduling 0
		.amdhsa_exception_fp_ieee_invalid_op 0
		.amdhsa_exception_fp_denorm_src 0
		.amdhsa_exception_fp_ieee_div_zero 0
		.amdhsa_exception_fp_ieee_overflow 0
		.amdhsa_exception_fp_ieee_underflow 0
		.amdhsa_exception_fp_ieee_inexact 0
		.amdhsa_exception_int_div_zero 0
	.end_amdhsa_kernel
	.section	.text._ZN7rocprim17ROCPRIM_400000_NS6detail17trampoline_kernelINS0_14default_configENS1_25partition_config_selectorILNS1_17partition_subalgoE5EfNS0_10empty_typeEbEEZZNS1_14partition_implILS5_5ELb0ES3_mN6thrust23THRUST_200600_302600_NS6detail15normal_iteratorINSA_10device_ptrIfEEEEPS6_NSA_18transform_iteratorINSB_9not_fun_tI7is_trueIfEEENSC_INSD_IbEEEENSA_11use_defaultESO_EENS0_5tupleIJSF_S6_EEENSQ_IJSG_SG_EEES6_PlJS6_EEE10hipError_tPvRmT3_T4_T5_T6_T7_T9_mT8_P12ihipStream_tbDpT10_ENKUlT_T0_E_clISt17integral_constantIbLb0EES1C_IbLb1EEEEDaS18_S19_EUlS18_E_NS1_11comp_targetILNS1_3genE5ELNS1_11target_archE942ELNS1_3gpuE9ELNS1_3repE0EEENS1_30default_config_static_selectorELNS0_4arch9wavefront6targetE0EEEvT1_,"axG",@progbits,_ZN7rocprim17ROCPRIM_400000_NS6detail17trampoline_kernelINS0_14default_configENS1_25partition_config_selectorILNS1_17partition_subalgoE5EfNS0_10empty_typeEbEEZZNS1_14partition_implILS5_5ELb0ES3_mN6thrust23THRUST_200600_302600_NS6detail15normal_iteratorINSA_10device_ptrIfEEEEPS6_NSA_18transform_iteratorINSB_9not_fun_tI7is_trueIfEEENSC_INSD_IbEEEENSA_11use_defaultESO_EENS0_5tupleIJSF_S6_EEENSQ_IJSG_SG_EEES6_PlJS6_EEE10hipError_tPvRmT3_T4_T5_T6_T7_T9_mT8_P12ihipStream_tbDpT10_ENKUlT_T0_E_clISt17integral_constantIbLb0EES1C_IbLb1EEEEDaS18_S19_EUlS18_E_NS1_11comp_targetILNS1_3genE5ELNS1_11target_archE942ELNS1_3gpuE9ELNS1_3repE0EEENS1_30default_config_static_selectorELNS0_4arch9wavefront6targetE0EEEvT1_,comdat
.Lfunc_end2390:
	.size	_ZN7rocprim17ROCPRIM_400000_NS6detail17trampoline_kernelINS0_14default_configENS1_25partition_config_selectorILNS1_17partition_subalgoE5EfNS0_10empty_typeEbEEZZNS1_14partition_implILS5_5ELb0ES3_mN6thrust23THRUST_200600_302600_NS6detail15normal_iteratorINSA_10device_ptrIfEEEEPS6_NSA_18transform_iteratorINSB_9not_fun_tI7is_trueIfEEENSC_INSD_IbEEEENSA_11use_defaultESO_EENS0_5tupleIJSF_S6_EEENSQ_IJSG_SG_EEES6_PlJS6_EEE10hipError_tPvRmT3_T4_T5_T6_T7_T9_mT8_P12ihipStream_tbDpT10_ENKUlT_T0_E_clISt17integral_constantIbLb0EES1C_IbLb1EEEEDaS18_S19_EUlS18_E_NS1_11comp_targetILNS1_3genE5ELNS1_11target_archE942ELNS1_3gpuE9ELNS1_3repE0EEENS1_30default_config_static_selectorELNS0_4arch9wavefront6targetE0EEEvT1_, .Lfunc_end2390-_ZN7rocprim17ROCPRIM_400000_NS6detail17trampoline_kernelINS0_14default_configENS1_25partition_config_selectorILNS1_17partition_subalgoE5EfNS0_10empty_typeEbEEZZNS1_14partition_implILS5_5ELb0ES3_mN6thrust23THRUST_200600_302600_NS6detail15normal_iteratorINSA_10device_ptrIfEEEEPS6_NSA_18transform_iteratorINSB_9not_fun_tI7is_trueIfEEENSC_INSD_IbEEEENSA_11use_defaultESO_EENS0_5tupleIJSF_S6_EEENSQ_IJSG_SG_EEES6_PlJS6_EEE10hipError_tPvRmT3_T4_T5_T6_T7_T9_mT8_P12ihipStream_tbDpT10_ENKUlT_T0_E_clISt17integral_constantIbLb0EES1C_IbLb1EEEEDaS18_S19_EUlS18_E_NS1_11comp_targetILNS1_3genE5ELNS1_11target_archE942ELNS1_3gpuE9ELNS1_3repE0EEENS1_30default_config_static_selectorELNS0_4arch9wavefront6targetE0EEEvT1_
                                        ; -- End function
	.set _ZN7rocprim17ROCPRIM_400000_NS6detail17trampoline_kernelINS0_14default_configENS1_25partition_config_selectorILNS1_17partition_subalgoE5EfNS0_10empty_typeEbEEZZNS1_14partition_implILS5_5ELb0ES3_mN6thrust23THRUST_200600_302600_NS6detail15normal_iteratorINSA_10device_ptrIfEEEEPS6_NSA_18transform_iteratorINSB_9not_fun_tI7is_trueIfEEENSC_INSD_IbEEEENSA_11use_defaultESO_EENS0_5tupleIJSF_S6_EEENSQ_IJSG_SG_EEES6_PlJS6_EEE10hipError_tPvRmT3_T4_T5_T6_T7_T9_mT8_P12ihipStream_tbDpT10_ENKUlT_T0_E_clISt17integral_constantIbLb0EES1C_IbLb1EEEEDaS18_S19_EUlS18_E_NS1_11comp_targetILNS1_3genE5ELNS1_11target_archE942ELNS1_3gpuE9ELNS1_3repE0EEENS1_30default_config_static_selectorELNS0_4arch9wavefront6targetE0EEEvT1_.num_vgpr, 0
	.set _ZN7rocprim17ROCPRIM_400000_NS6detail17trampoline_kernelINS0_14default_configENS1_25partition_config_selectorILNS1_17partition_subalgoE5EfNS0_10empty_typeEbEEZZNS1_14partition_implILS5_5ELb0ES3_mN6thrust23THRUST_200600_302600_NS6detail15normal_iteratorINSA_10device_ptrIfEEEEPS6_NSA_18transform_iteratorINSB_9not_fun_tI7is_trueIfEEENSC_INSD_IbEEEENSA_11use_defaultESO_EENS0_5tupleIJSF_S6_EEENSQ_IJSG_SG_EEES6_PlJS6_EEE10hipError_tPvRmT3_T4_T5_T6_T7_T9_mT8_P12ihipStream_tbDpT10_ENKUlT_T0_E_clISt17integral_constantIbLb0EES1C_IbLb1EEEEDaS18_S19_EUlS18_E_NS1_11comp_targetILNS1_3genE5ELNS1_11target_archE942ELNS1_3gpuE9ELNS1_3repE0EEENS1_30default_config_static_selectorELNS0_4arch9wavefront6targetE0EEEvT1_.num_agpr, 0
	.set _ZN7rocprim17ROCPRIM_400000_NS6detail17trampoline_kernelINS0_14default_configENS1_25partition_config_selectorILNS1_17partition_subalgoE5EfNS0_10empty_typeEbEEZZNS1_14partition_implILS5_5ELb0ES3_mN6thrust23THRUST_200600_302600_NS6detail15normal_iteratorINSA_10device_ptrIfEEEEPS6_NSA_18transform_iteratorINSB_9not_fun_tI7is_trueIfEEENSC_INSD_IbEEEENSA_11use_defaultESO_EENS0_5tupleIJSF_S6_EEENSQ_IJSG_SG_EEES6_PlJS6_EEE10hipError_tPvRmT3_T4_T5_T6_T7_T9_mT8_P12ihipStream_tbDpT10_ENKUlT_T0_E_clISt17integral_constantIbLb0EES1C_IbLb1EEEEDaS18_S19_EUlS18_E_NS1_11comp_targetILNS1_3genE5ELNS1_11target_archE942ELNS1_3gpuE9ELNS1_3repE0EEENS1_30default_config_static_selectorELNS0_4arch9wavefront6targetE0EEEvT1_.numbered_sgpr, 0
	.set _ZN7rocprim17ROCPRIM_400000_NS6detail17trampoline_kernelINS0_14default_configENS1_25partition_config_selectorILNS1_17partition_subalgoE5EfNS0_10empty_typeEbEEZZNS1_14partition_implILS5_5ELb0ES3_mN6thrust23THRUST_200600_302600_NS6detail15normal_iteratorINSA_10device_ptrIfEEEEPS6_NSA_18transform_iteratorINSB_9not_fun_tI7is_trueIfEEENSC_INSD_IbEEEENSA_11use_defaultESO_EENS0_5tupleIJSF_S6_EEENSQ_IJSG_SG_EEES6_PlJS6_EEE10hipError_tPvRmT3_T4_T5_T6_T7_T9_mT8_P12ihipStream_tbDpT10_ENKUlT_T0_E_clISt17integral_constantIbLb0EES1C_IbLb1EEEEDaS18_S19_EUlS18_E_NS1_11comp_targetILNS1_3genE5ELNS1_11target_archE942ELNS1_3gpuE9ELNS1_3repE0EEENS1_30default_config_static_selectorELNS0_4arch9wavefront6targetE0EEEvT1_.num_named_barrier, 0
	.set _ZN7rocprim17ROCPRIM_400000_NS6detail17trampoline_kernelINS0_14default_configENS1_25partition_config_selectorILNS1_17partition_subalgoE5EfNS0_10empty_typeEbEEZZNS1_14partition_implILS5_5ELb0ES3_mN6thrust23THRUST_200600_302600_NS6detail15normal_iteratorINSA_10device_ptrIfEEEEPS6_NSA_18transform_iteratorINSB_9not_fun_tI7is_trueIfEEENSC_INSD_IbEEEENSA_11use_defaultESO_EENS0_5tupleIJSF_S6_EEENSQ_IJSG_SG_EEES6_PlJS6_EEE10hipError_tPvRmT3_T4_T5_T6_T7_T9_mT8_P12ihipStream_tbDpT10_ENKUlT_T0_E_clISt17integral_constantIbLb0EES1C_IbLb1EEEEDaS18_S19_EUlS18_E_NS1_11comp_targetILNS1_3genE5ELNS1_11target_archE942ELNS1_3gpuE9ELNS1_3repE0EEENS1_30default_config_static_selectorELNS0_4arch9wavefront6targetE0EEEvT1_.private_seg_size, 0
	.set _ZN7rocprim17ROCPRIM_400000_NS6detail17trampoline_kernelINS0_14default_configENS1_25partition_config_selectorILNS1_17partition_subalgoE5EfNS0_10empty_typeEbEEZZNS1_14partition_implILS5_5ELb0ES3_mN6thrust23THRUST_200600_302600_NS6detail15normal_iteratorINSA_10device_ptrIfEEEEPS6_NSA_18transform_iteratorINSB_9not_fun_tI7is_trueIfEEENSC_INSD_IbEEEENSA_11use_defaultESO_EENS0_5tupleIJSF_S6_EEENSQ_IJSG_SG_EEES6_PlJS6_EEE10hipError_tPvRmT3_T4_T5_T6_T7_T9_mT8_P12ihipStream_tbDpT10_ENKUlT_T0_E_clISt17integral_constantIbLb0EES1C_IbLb1EEEEDaS18_S19_EUlS18_E_NS1_11comp_targetILNS1_3genE5ELNS1_11target_archE942ELNS1_3gpuE9ELNS1_3repE0EEENS1_30default_config_static_selectorELNS0_4arch9wavefront6targetE0EEEvT1_.uses_vcc, 0
	.set _ZN7rocprim17ROCPRIM_400000_NS6detail17trampoline_kernelINS0_14default_configENS1_25partition_config_selectorILNS1_17partition_subalgoE5EfNS0_10empty_typeEbEEZZNS1_14partition_implILS5_5ELb0ES3_mN6thrust23THRUST_200600_302600_NS6detail15normal_iteratorINSA_10device_ptrIfEEEEPS6_NSA_18transform_iteratorINSB_9not_fun_tI7is_trueIfEEENSC_INSD_IbEEEENSA_11use_defaultESO_EENS0_5tupleIJSF_S6_EEENSQ_IJSG_SG_EEES6_PlJS6_EEE10hipError_tPvRmT3_T4_T5_T6_T7_T9_mT8_P12ihipStream_tbDpT10_ENKUlT_T0_E_clISt17integral_constantIbLb0EES1C_IbLb1EEEEDaS18_S19_EUlS18_E_NS1_11comp_targetILNS1_3genE5ELNS1_11target_archE942ELNS1_3gpuE9ELNS1_3repE0EEENS1_30default_config_static_selectorELNS0_4arch9wavefront6targetE0EEEvT1_.uses_flat_scratch, 0
	.set _ZN7rocprim17ROCPRIM_400000_NS6detail17trampoline_kernelINS0_14default_configENS1_25partition_config_selectorILNS1_17partition_subalgoE5EfNS0_10empty_typeEbEEZZNS1_14partition_implILS5_5ELb0ES3_mN6thrust23THRUST_200600_302600_NS6detail15normal_iteratorINSA_10device_ptrIfEEEEPS6_NSA_18transform_iteratorINSB_9not_fun_tI7is_trueIfEEENSC_INSD_IbEEEENSA_11use_defaultESO_EENS0_5tupleIJSF_S6_EEENSQ_IJSG_SG_EEES6_PlJS6_EEE10hipError_tPvRmT3_T4_T5_T6_T7_T9_mT8_P12ihipStream_tbDpT10_ENKUlT_T0_E_clISt17integral_constantIbLb0EES1C_IbLb1EEEEDaS18_S19_EUlS18_E_NS1_11comp_targetILNS1_3genE5ELNS1_11target_archE942ELNS1_3gpuE9ELNS1_3repE0EEENS1_30default_config_static_selectorELNS0_4arch9wavefront6targetE0EEEvT1_.has_dyn_sized_stack, 0
	.set _ZN7rocprim17ROCPRIM_400000_NS6detail17trampoline_kernelINS0_14default_configENS1_25partition_config_selectorILNS1_17partition_subalgoE5EfNS0_10empty_typeEbEEZZNS1_14partition_implILS5_5ELb0ES3_mN6thrust23THRUST_200600_302600_NS6detail15normal_iteratorINSA_10device_ptrIfEEEEPS6_NSA_18transform_iteratorINSB_9not_fun_tI7is_trueIfEEENSC_INSD_IbEEEENSA_11use_defaultESO_EENS0_5tupleIJSF_S6_EEENSQ_IJSG_SG_EEES6_PlJS6_EEE10hipError_tPvRmT3_T4_T5_T6_T7_T9_mT8_P12ihipStream_tbDpT10_ENKUlT_T0_E_clISt17integral_constantIbLb0EES1C_IbLb1EEEEDaS18_S19_EUlS18_E_NS1_11comp_targetILNS1_3genE5ELNS1_11target_archE942ELNS1_3gpuE9ELNS1_3repE0EEENS1_30default_config_static_selectorELNS0_4arch9wavefront6targetE0EEEvT1_.has_recursion, 0
	.set _ZN7rocprim17ROCPRIM_400000_NS6detail17trampoline_kernelINS0_14default_configENS1_25partition_config_selectorILNS1_17partition_subalgoE5EfNS0_10empty_typeEbEEZZNS1_14partition_implILS5_5ELb0ES3_mN6thrust23THRUST_200600_302600_NS6detail15normal_iteratorINSA_10device_ptrIfEEEEPS6_NSA_18transform_iteratorINSB_9not_fun_tI7is_trueIfEEENSC_INSD_IbEEEENSA_11use_defaultESO_EENS0_5tupleIJSF_S6_EEENSQ_IJSG_SG_EEES6_PlJS6_EEE10hipError_tPvRmT3_T4_T5_T6_T7_T9_mT8_P12ihipStream_tbDpT10_ENKUlT_T0_E_clISt17integral_constantIbLb0EES1C_IbLb1EEEEDaS18_S19_EUlS18_E_NS1_11comp_targetILNS1_3genE5ELNS1_11target_archE942ELNS1_3gpuE9ELNS1_3repE0EEENS1_30default_config_static_selectorELNS0_4arch9wavefront6targetE0EEEvT1_.has_indirect_call, 0
	.section	.AMDGPU.csdata,"",@progbits
; Kernel info:
; codeLenInByte = 0
; TotalNumSgprs: 0
; NumVgprs: 0
; ScratchSize: 0
; MemoryBound: 0
; FloatMode: 240
; IeeeMode: 1
; LDSByteSize: 0 bytes/workgroup (compile time only)
; SGPRBlocks: 0
; VGPRBlocks: 0
; NumSGPRsForWavesPerEU: 1
; NumVGPRsForWavesPerEU: 1
; Occupancy: 16
; WaveLimiterHint : 0
; COMPUTE_PGM_RSRC2:SCRATCH_EN: 0
; COMPUTE_PGM_RSRC2:USER_SGPR: 2
; COMPUTE_PGM_RSRC2:TRAP_HANDLER: 0
; COMPUTE_PGM_RSRC2:TGID_X_EN: 1
; COMPUTE_PGM_RSRC2:TGID_Y_EN: 0
; COMPUTE_PGM_RSRC2:TGID_Z_EN: 0
; COMPUTE_PGM_RSRC2:TIDIG_COMP_CNT: 0
	.section	.text._ZN7rocprim17ROCPRIM_400000_NS6detail17trampoline_kernelINS0_14default_configENS1_25partition_config_selectorILNS1_17partition_subalgoE5EfNS0_10empty_typeEbEEZZNS1_14partition_implILS5_5ELb0ES3_mN6thrust23THRUST_200600_302600_NS6detail15normal_iteratorINSA_10device_ptrIfEEEEPS6_NSA_18transform_iteratorINSB_9not_fun_tI7is_trueIfEEENSC_INSD_IbEEEENSA_11use_defaultESO_EENS0_5tupleIJSF_S6_EEENSQ_IJSG_SG_EEES6_PlJS6_EEE10hipError_tPvRmT3_T4_T5_T6_T7_T9_mT8_P12ihipStream_tbDpT10_ENKUlT_T0_E_clISt17integral_constantIbLb0EES1C_IbLb1EEEEDaS18_S19_EUlS18_E_NS1_11comp_targetILNS1_3genE4ELNS1_11target_archE910ELNS1_3gpuE8ELNS1_3repE0EEENS1_30default_config_static_selectorELNS0_4arch9wavefront6targetE0EEEvT1_,"axG",@progbits,_ZN7rocprim17ROCPRIM_400000_NS6detail17trampoline_kernelINS0_14default_configENS1_25partition_config_selectorILNS1_17partition_subalgoE5EfNS0_10empty_typeEbEEZZNS1_14partition_implILS5_5ELb0ES3_mN6thrust23THRUST_200600_302600_NS6detail15normal_iteratorINSA_10device_ptrIfEEEEPS6_NSA_18transform_iteratorINSB_9not_fun_tI7is_trueIfEEENSC_INSD_IbEEEENSA_11use_defaultESO_EENS0_5tupleIJSF_S6_EEENSQ_IJSG_SG_EEES6_PlJS6_EEE10hipError_tPvRmT3_T4_T5_T6_T7_T9_mT8_P12ihipStream_tbDpT10_ENKUlT_T0_E_clISt17integral_constantIbLb0EES1C_IbLb1EEEEDaS18_S19_EUlS18_E_NS1_11comp_targetILNS1_3genE4ELNS1_11target_archE910ELNS1_3gpuE8ELNS1_3repE0EEENS1_30default_config_static_selectorELNS0_4arch9wavefront6targetE0EEEvT1_,comdat
	.protected	_ZN7rocprim17ROCPRIM_400000_NS6detail17trampoline_kernelINS0_14default_configENS1_25partition_config_selectorILNS1_17partition_subalgoE5EfNS0_10empty_typeEbEEZZNS1_14partition_implILS5_5ELb0ES3_mN6thrust23THRUST_200600_302600_NS6detail15normal_iteratorINSA_10device_ptrIfEEEEPS6_NSA_18transform_iteratorINSB_9not_fun_tI7is_trueIfEEENSC_INSD_IbEEEENSA_11use_defaultESO_EENS0_5tupleIJSF_S6_EEENSQ_IJSG_SG_EEES6_PlJS6_EEE10hipError_tPvRmT3_T4_T5_T6_T7_T9_mT8_P12ihipStream_tbDpT10_ENKUlT_T0_E_clISt17integral_constantIbLb0EES1C_IbLb1EEEEDaS18_S19_EUlS18_E_NS1_11comp_targetILNS1_3genE4ELNS1_11target_archE910ELNS1_3gpuE8ELNS1_3repE0EEENS1_30default_config_static_selectorELNS0_4arch9wavefront6targetE0EEEvT1_ ; -- Begin function _ZN7rocprim17ROCPRIM_400000_NS6detail17trampoline_kernelINS0_14default_configENS1_25partition_config_selectorILNS1_17partition_subalgoE5EfNS0_10empty_typeEbEEZZNS1_14partition_implILS5_5ELb0ES3_mN6thrust23THRUST_200600_302600_NS6detail15normal_iteratorINSA_10device_ptrIfEEEEPS6_NSA_18transform_iteratorINSB_9not_fun_tI7is_trueIfEEENSC_INSD_IbEEEENSA_11use_defaultESO_EENS0_5tupleIJSF_S6_EEENSQ_IJSG_SG_EEES6_PlJS6_EEE10hipError_tPvRmT3_T4_T5_T6_T7_T9_mT8_P12ihipStream_tbDpT10_ENKUlT_T0_E_clISt17integral_constantIbLb0EES1C_IbLb1EEEEDaS18_S19_EUlS18_E_NS1_11comp_targetILNS1_3genE4ELNS1_11target_archE910ELNS1_3gpuE8ELNS1_3repE0EEENS1_30default_config_static_selectorELNS0_4arch9wavefront6targetE0EEEvT1_
	.globl	_ZN7rocprim17ROCPRIM_400000_NS6detail17trampoline_kernelINS0_14default_configENS1_25partition_config_selectorILNS1_17partition_subalgoE5EfNS0_10empty_typeEbEEZZNS1_14partition_implILS5_5ELb0ES3_mN6thrust23THRUST_200600_302600_NS6detail15normal_iteratorINSA_10device_ptrIfEEEEPS6_NSA_18transform_iteratorINSB_9not_fun_tI7is_trueIfEEENSC_INSD_IbEEEENSA_11use_defaultESO_EENS0_5tupleIJSF_S6_EEENSQ_IJSG_SG_EEES6_PlJS6_EEE10hipError_tPvRmT3_T4_T5_T6_T7_T9_mT8_P12ihipStream_tbDpT10_ENKUlT_T0_E_clISt17integral_constantIbLb0EES1C_IbLb1EEEEDaS18_S19_EUlS18_E_NS1_11comp_targetILNS1_3genE4ELNS1_11target_archE910ELNS1_3gpuE8ELNS1_3repE0EEENS1_30default_config_static_selectorELNS0_4arch9wavefront6targetE0EEEvT1_
	.p2align	8
	.type	_ZN7rocprim17ROCPRIM_400000_NS6detail17trampoline_kernelINS0_14default_configENS1_25partition_config_selectorILNS1_17partition_subalgoE5EfNS0_10empty_typeEbEEZZNS1_14partition_implILS5_5ELb0ES3_mN6thrust23THRUST_200600_302600_NS6detail15normal_iteratorINSA_10device_ptrIfEEEEPS6_NSA_18transform_iteratorINSB_9not_fun_tI7is_trueIfEEENSC_INSD_IbEEEENSA_11use_defaultESO_EENS0_5tupleIJSF_S6_EEENSQ_IJSG_SG_EEES6_PlJS6_EEE10hipError_tPvRmT3_T4_T5_T6_T7_T9_mT8_P12ihipStream_tbDpT10_ENKUlT_T0_E_clISt17integral_constantIbLb0EES1C_IbLb1EEEEDaS18_S19_EUlS18_E_NS1_11comp_targetILNS1_3genE4ELNS1_11target_archE910ELNS1_3gpuE8ELNS1_3repE0EEENS1_30default_config_static_selectorELNS0_4arch9wavefront6targetE0EEEvT1_,@function
_ZN7rocprim17ROCPRIM_400000_NS6detail17trampoline_kernelINS0_14default_configENS1_25partition_config_selectorILNS1_17partition_subalgoE5EfNS0_10empty_typeEbEEZZNS1_14partition_implILS5_5ELb0ES3_mN6thrust23THRUST_200600_302600_NS6detail15normal_iteratorINSA_10device_ptrIfEEEEPS6_NSA_18transform_iteratorINSB_9not_fun_tI7is_trueIfEEENSC_INSD_IbEEEENSA_11use_defaultESO_EENS0_5tupleIJSF_S6_EEENSQ_IJSG_SG_EEES6_PlJS6_EEE10hipError_tPvRmT3_T4_T5_T6_T7_T9_mT8_P12ihipStream_tbDpT10_ENKUlT_T0_E_clISt17integral_constantIbLb0EES1C_IbLb1EEEEDaS18_S19_EUlS18_E_NS1_11comp_targetILNS1_3genE4ELNS1_11target_archE910ELNS1_3gpuE8ELNS1_3repE0EEENS1_30default_config_static_selectorELNS0_4arch9wavefront6targetE0EEEvT1_: ; @_ZN7rocprim17ROCPRIM_400000_NS6detail17trampoline_kernelINS0_14default_configENS1_25partition_config_selectorILNS1_17partition_subalgoE5EfNS0_10empty_typeEbEEZZNS1_14partition_implILS5_5ELb0ES3_mN6thrust23THRUST_200600_302600_NS6detail15normal_iteratorINSA_10device_ptrIfEEEEPS6_NSA_18transform_iteratorINSB_9not_fun_tI7is_trueIfEEENSC_INSD_IbEEEENSA_11use_defaultESO_EENS0_5tupleIJSF_S6_EEENSQ_IJSG_SG_EEES6_PlJS6_EEE10hipError_tPvRmT3_T4_T5_T6_T7_T9_mT8_P12ihipStream_tbDpT10_ENKUlT_T0_E_clISt17integral_constantIbLb0EES1C_IbLb1EEEEDaS18_S19_EUlS18_E_NS1_11comp_targetILNS1_3genE4ELNS1_11target_archE910ELNS1_3gpuE8ELNS1_3repE0EEENS1_30default_config_static_selectorELNS0_4arch9wavefront6targetE0EEEvT1_
; %bb.0:
	.section	.rodata,"a",@progbits
	.p2align	6, 0x0
	.amdhsa_kernel _ZN7rocprim17ROCPRIM_400000_NS6detail17trampoline_kernelINS0_14default_configENS1_25partition_config_selectorILNS1_17partition_subalgoE5EfNS0_10empty_typeEbEEZZNS1_14partition_implILS5_5ELb0ES3_mN6thrust23THRUST_200600_302600_NS6detail15normal_iteratorINSA_10device_ptrIfEEEEPS6_NSA_18transform_iteratorINSB_9not_fun_tI7is_trueIfEEENSC_INSD_IbEEEENSA_11use_defaultESO_EENS0_5tupleIJSF_S6_EEENSQ_IJSG_SG_EEES6_PlJS6_EEE10hipError_tPvRmT3_T4_T5_T6_T7_T9_mT8_P12ihipStream_tbDpT10_ENKUlT_T0_E_clISt17integral_constantIbLb0EES1C_IbLb1EEEEDaS18_S19_EUlS18_E_NS1_11comp_targetILNS1_3genE4ELNS1_11target_archE910ELNS1_3gpuE8ELNS1_3repE0EEENS1_30default_config_static_selectorELNS0_4arch9wavefront6targetE0EEEvT1_
		.amdhsa_group_segment_fixed_size 0
		.amdhsa_private_segment_fixed_size 0
		.amdhsa_kernarg_size 136
		.amdhsa_user_sgpr_count 2
		.amdhsa_user_sgpr_dispatch_ptr 0
		.amdhsa_user_sgpr_queue_ptr 0
		.amdhsa_user_sgpr_kernarg_segment_ptr 1
		.amdhsa_user_sgpr_dispatch_id 0
		.amdhsa_user_sgpr_private_segment_size 0
		.amdhsa_wavefront_size32 1
		.amdhsa_uses_dynamic_stack 0
		.amdhsa_enable_private_segment 0
		.amdhsa_system_sgpr_workgroup_id_x 1
		.amdhsa_system_sgpr_workgroup_id_y 0
		.amdhsa_system_sgpr_workgroup_id_z 0
		.amdhsa_system_sgpr_workgroup_info 0
		.amdhsa_system_vgpr_workitem_id 0
		.amdhsa_next_free_vgpr 1
		.amdhsa_next_free_sgpr 1
		.amdhsa_reserve_vcc 0
		.amdhsa_float_round_mode_32 0
		.amdhsa_float_round_mode_16_64 0
		.amdhsa_float_denorm_mode_32 3
		.amdhsa_float_denorm_mode_16_64 3
		.amdhsa_fp16_overflow 0
		.amdhsa_workgroup_processor_mode 1
		.amdhsa_memory_ordered 1
		.amdhsa_forward_progress 1
		.amdhsa_inst_pref_size 0
		.amdhsa_round_robin_scheduling 0
		.amdhsa_exception_fp_ieee_invalid_op 0
		.amdhsa_exception_fp_denorm_src 0
		.amdhsa_exception_fp_ieee_div_zero 0
		.amdhsa_exception_fp_ieee_overflow 0
		.amdhsa_exception_fp_ieee_underflow 0
		.amdhsa_exception_fp_ieee_inexact 0
		.amdhsa_exception_int_div_zero 0
	.end_amdhsa_kernel
	.section	.text._ZN7rocprim17ROCPRIM_400000_NS6detail17trampoline_kernelINS0_14default_configENS1_25partition_config_selectorILNS1_17partition_subalgoE5EfNS0_10empty_typeEbEEZZNS1_14partition_implILS5_5ELb0ES3_mN6thrust23THRUST_200600_302600_NS6detail15normal_iteratorINSA_10device_ptrIfEEEEPS6_NSA_18transform_iteratorINSB_9not_fun_tI7is_trueIfEEENSC_INSD_IbEEEENSA_11use_defaultESO_EENS0_5tupleIJSF_S6_EEENSQ_IJSG_SG_EEES6_PlJS6_EEE10hipError_tPvRmT3_T4_T5_T6_T7_T9_mT8_P12ihipStream_tbDpT10_ENKUlT_T0_E_clISt17integral_constantIbLb0EES1C_IbLb1EEEEDaS18_S19_EUlS18_E_NS1_11comp_targetILNS1_3genE4ELNS1_11target_archE910ELNS1_3gpuE8ELNS1_3repE0EEENS1_30default_config_static_selectorELNS0_4arch9wavefront6targetE0EEEvT1_,"axG",@progbits,_ZN7rocprim17ROCPRIM_400000_NS6detail17trampoline_kernelINS0_14default_configENS1_25partition_config_selectorILNS1_17partition_subalgoE5EfNS0_10empty_typeEbEEZZNS1_14partition_implILS5_5ELb0ES3_mN6thrust23THRUST_200600_302600_NS6detail15normal_iteratorINSA_10device_ptrIfEEEEPS6_NSA_18transform_iteratorINSB_9not_fun_tI7is_trueIfEEENSC_INSD_IbEEEENSA_11use_defaultESO_EENS0_5tupleIJSF_S6_EEENSQ_IJSG_SG_EEES6_PlJS6_EEE10hipError_tPvRmT3_T4_T5_T6_T7_T9_mT8_P12ihipStream_tbDpT10_ENKUlT_T0_E_clISt17integral_constantIbLb0EES1C_IbLb1EEEEDaS18_S19_EUlS18_E_NS1_11comp_targetILNS1_3genE4ELNS1_11target_archE910ELNS1_3gpuE8ELNS1_3repE0EEENS1_30default_config_static_selectorELNS0_4arch9wavefront6targetE0EEEvT1_,comdat
.Lfunc_end2391:
	.size	_ZN7rocprim17ROCPRIM_400000_NS6detail17trampoline_kernelINS0_14default_configENS1_25partition_config_selectorILNS1_17partition_subalgoE5EfNS0_10empty_typeEbEEZZNS1_14partition_implILS5_5ELb0ES3_mN6thrust23THRUST_200600_302600_NS6detail15normal_iteratorINSA_10device_ptrIfEEEEPS6_NSA_18transform_iteratorINSB_9not_fun_tI7is_trueIfEEENSC_INSD_IbEEEENSA_11use_defaultESO_EENS0_5tupleIJSF_S6_EEENSQ_IJSG_SG_EEES6_PlJS6_EEE10hipError_tPvRmT3_T4_T5_T6_T7_T9_mT8_P12ihipStream_tbDpT10_ENKUlT_T0_E_clISt17integral_constantIbLb0EES1C_IbLb1EEEEDaS18_S19_EUlS18_E_NS1_11comp_targetILNS1_3genE4ELNS1_11target_archE910ELNS1_3gpuE8ELNS1_3repE0EEENS1_30default_config_static_selectorELNS0_4arch9wavefront6targetE0EEEvT1_, .Lfunc_end2391-_ZN7rocprim17ROCPRIM_400000_NS6detail17trampoline_kernelINS0_14default_configENS1_25partition_config_selectorILNS1_17partition_subalgoE5EfNS0_10empty_typeEbEEZZNS1_14partition_implILS5_5ELb0ES3_mN6thrust23THRUST_200600_302600_NS6detail15normal_iteratorINSA_10device_ptrIfEEEEPS6_NSA_18transform_iteratorINSB_9not_fun_tI7is_trueIfEEENSC_INSD_IbEEEENSA_11use_defaultESO_EENS0_5tupleIJSF_S6_EEENSQ_IJSG_SG_EEES6_PlJS6_EEE10hipError_tPvRmT3_T4_T5_T6_T7_T9_mT8_P12ihipStream_tbDpT10_ENKUlT_T0_E_clISt17integral_constantIbLb0EES1C_IbLb1EEEEDaS18_S19_EUlS18_E_NS1_11comp_targetILNS1_3genE4ELNS1_11target_archE910ELNS1_3gpuE8ELNS1_3repE0EEENS1_30default_config_static_selectorELNS0_4arch9wavefront6targetE0EEEvT1_
                                        ; -- End function
	.set _ZN7rocprim17ROCPRIM_400000_NS6detail17trampoline_kernelINS0_14default_configENS1_25partition_config_selectorILNS1_17partition_subalgoE5EfNS0_10empty_typeEbEEZZNS1_14partition_implILS5_5ELb0ES3_mN6thrust23THRUST_200600_302600_NS6detail15normal_iteratorINSA_10device_ptrIfEEEEPS6_NSA_18transform_iteratorINSB_9not_fun_tI7is_trueIfEEENSC_INSD_IbEEEENSA_11use_defaultESO_EENS0_5tupleIJSF_S6_EEENSQ_IJSG_SG_EEES6_PlJS6_EEE10hipError_tPvRmT3_T4_T5_T6_T7_T9_mT8_P12ihipStream_tbDpT10_ENKUlT_T0_E_clISt17integral_constantIbLb0EES1C_IbLb1EEEEDaS18_S19_EUlS18_E_NS1_11comp_targetILNS1_3genE4ELNS1_11target_archE910ELNS1_3gpuE8ELNS1_3repE0EEENS1_30default_config_static_selectorELNS0_4arch9wavefront6targetE0EEEvT1_.num_vgpr, 0
	.set _ZN7rocprim17ROCPRIM_400000_NS6detail17trampoline_kernelINS0_14default_configENS1_25partition_config_selectorILNS1_17partition_subalgoE5EfNS0_10empty_typeEbEEZZNS1_14partition_implILS5_5ELb0ES3_mN6thrust23THRUST_200600_302600_NS6detail15normal_iteratorINSA_10device_ptrIfEEEEPS6_NSA_18transform_iteratorINSB_9not_fun_tI7is_trueIfEEENSC_INSD_IbEEEENSA_11use_defaultESO_EENS0_5tupleIJSF_S6_EEENSQ_IJSG_SG_EEES6_PlJS6_EEE10hipError_tPvRmT3_T4_T5_T6_T7_T9_mT8_P12ihipStream_tbDpT10_ENKUlT_T0_E_clISt17integral_constantIbLb0EES1C_IbLb1EEEEDaS18_S19_EUlS18_E_NS1_11comp_targetILNS1_3genE4ELNS1_11target_archE910ELNS1_3gpuE8ELNS1_3repE0EEENS1_30default_config_static_selectorELNS0_4arch9wavefront6targetE0EEEvT1_.num_agpr, 0
	.set _ZN7rocprim17ROCPRIM_400000_NS6detail17trampoline_kernelINS0_14default_configENS1_25partition_config_selectorILNS1_17partition_subalgoE5EfNS0_10empty_typeEbEEZZNS1_14partition_implILS5_5ELb0ES3_mN6thrust23THRUST_200600_302600_NS6detail15normal_iteratorINSA_10device_ptrIfEEEEPS6_NSA_18transform_iteratorINSB_9not_fun_tI7is_trueIfEEENSC_INSD_IbEEEENSA_11use_defaultESO_EENS0_5tupleIJSF_S6_EEENSQ_IJSG_SG_EEES6_PlJS6_EEE10hipError_tPvRmT3_T4_T5_T6_T7_T9_mT8_P12ihipStream_tbDpT10_ENKUlT_T0_E_clISt17integral_constantIbLb0EES1C_IbLb1EEEEDaS18_S19_EUlS18_E_NS1_11comp_targetILNS1_3genE4ELNS1_11target_archE910ELNS1_3gpuE8ELNS1_3repE0EEENS1_30default_config_static_selectorELNS0_4arch9wavefront6targetE0EEEvT1_.numbered_sgpr, 0
	.set _ZN7rocprim17ROCPRIM_400000_NS6detail17trampoline_kernelINS0_14default_configENS1_25partition_config_selectorILNS1_17partition_subalgoE5EfNS0_10empty_typeEbEEZZNS1_14partition_implILS5_5ELb0ES3_mN6thrust23THRUST_200600_302600_NS6detail15normal_iteratorINSA_10device_ptrIfEEEEPS6_NSA_18transform_iteratorINSB_9not_fun_tI7is_trueIfEEENSC_INSD_IbEEEENSA_11use_defaultESO_EENS0_5tupleIJSF_S6_EEENSQ_IJSG_SG_EEES6_PlJS6_EEE10hipError_tPvRmT3_T4_T5_T6_T7_T9_mT8_P12ihipStream_tbDpT10_ENKUlT_T0_E_clISt17integral_constantIbLb0EES1C_IbLb1EEEEDaS18_S19_EUlS18_E_NS1_11comp_targetILNS1_3genE4ELNS1_11target_archE910ELNS1_3gpuE8ELNS1_3repE0EEENS1_30default_config_static_selectorELNS0_4arch9wavefront6targetE0EEEvT1_.num_named_barrier, 0
	.set _ZN7rocprim17ROCPRIM_400000_NS6detail17trampoline_kernelINS0_14default_configENS1_25partition_config_selectorILNS1_17partition_subalgoE5EfNS0_10empty_typeEbEEZZNS1_14partition_implILS5_5ELb0ES3_mN6thrust23THRUST_200600_302600_NS6detail15normal_iteratorINSA_10device_ptrIfEEEEPS6_NSA_18transform_iteratorINSB_9not_fun_tI7is_trueIfEEENSC_INSD_IbEEEENSA_11use_defaultESO_EENS0_5tupleIJSF_S6_EEENSQ_IJSG_SG_EEES6_PlJS6_EEE10hipError_tPvRmT3_T4_T5_T6_T7_T9_mT8_P12ihipStream_tbDpT10_ENKUlT_T0_E_clISt17integral_constantIbLb0EES1C_IbLb1EEEEDaS18_S19_EUlS18_E_NS1_11comp_targetILNS1_3genE4ELNS1_11target_archE910ELNS1_3gpuE8ELNS1_3repE0EEENS1_30default_config_static_selectorELNS0_4arch9wavefront6targetE0EEEvT1_.private_seg_size, 0
	.set _ZN7rocprim17ROCPRIM_400000_NS6detail17trampoline_kernelINS0_14default_configENS1_25partition_config_selectorILNS1_17partition_subalgoE5EfNS0_10empty_typeEbEEZZNS1_14partition_implILS5_5ELb0ES3_mN6thrust23THRUST_200600_302600_NS6detail15normal_iteratorINSA_10device_ptrIfEEEEPS6_NSA_18transform_iteratorINSB_9not_fun_tI7is_trueIfEEENSC_INSD_IbEEEENSA_11use_defaultESO_EENS0_5tupleIJSF_S6_EEENSQ_IJSG_SG_EEES6_PlJS6_EEE10hipError_tPvRmT3_T4_T5_T6_T7_T9_mT8_P12ihipStream_tbDpT10_ENKUlT_T0_E_clISt17integral_constantIbLb0EES1C_IbLb1EEEEDaS18_S19_EUlS18_E_NS1_11comp_targetILNS1_3genE4ELNS1_11target_archE910ELNS1_3gpuE8ELNS1_3repE0EEENS1_30default_config_static_selectorELNS0_4arch9wavefront6targetE0EEEvT1_.uses_vcc, 0
	.set _ZN7rocprim17ROCPRIM_400000_NS6detail17trampoline_kernelINS0_14default_configENS1_25partition_config_selectorILNS1_17partition_subalgoE5EfNS0_10empty_typeEbEEZZNS1_14partition_implILS5_5ELb0ES3_mN6thrust23THRUST_200600_302600_NS6detail15normal_iteratorINSA_10device_ptrIfEEEEPS6_NSA_18transform_iteratorINSB_9not_fun_tI7is_trueIfEEENSC_INSD_IbEEEENSA_11use_defaultESO_EENS0_5tupleIJSF_S6_EEENSQ_IJSG_SG_EEES6_PlJS6_EEE10hipError_tPvRmT3_T4_T5_T6_T7_T9_mT8_P12ihipStream_tbDpT10_ENKUlT_T0_E_clISt17integral_constantIbLb0EES1C_IbLb1EEEEDaS18_S19_EUlS18_E_NS1_11comp_targetILNS1_3genE4ELNS1_11target_archE910ELNS1_3gpuE8ELNS1_3repE0EEENS1_30default_config_static_selectorELNS0_4arch9wavefront6targetE0EEEvT1_.uses_flat_scratch, 0
	.set _ZN7rocprim17ROCPRIM_400000_NS6detail17trampoline_kernelINS0_14default_configENS1_25partition_config_selectorILNS1_17partition_subalgoE5EfNS0_10empty_typeEbEEZZNS1_14partition_implILS5_5ELb0ES3_mN6thrust23THRUST_200600_302600_NS6detail15normal_iteratorINSA_10device_ptrIfEEEEPS6_NSA_18transform_iteratorINSB_9not_fun_tI7is_trueIfEEENSC_INSD_IbEEEENSA_11use_defaultESO_EENS0_5tupleIJSF_S6_EEENSQ_IJSG_SG_EEES6_PlJS6_EEE10hipError_tPvRmT3_T4_T5_T6_T7_T9_mT8_P12ihipStream_tbDpT10_ENKUlT_T0_E_clISt17integral_constantIbLb0EES1C_IbLb1EEEEDaS18_S19_EUlS18_E_NS1_11comp_targetILNS1_3genE4ELNS1_11target_archE910ELNS1_3gpuE8ELNS1_3repE0EEENS1_30default_config_static_selectorELNS0_4arch9wavefront6targetE0EEEvT1_.has_dyn_sized_stack, 0
	.set _ZN7rocprim17ROCPRIM_400000_NS6detail17trampoline_kernelINS0_14default_configENS1_25partition_config_selectorILNS1_17partition_subalgoE5EfNS0_10empty_typeEbEEZZNS1_14partition_implILS5_5ELb0ES3_mN6thrust23THRUST_200600_302600_NS6detail15normal_iteratorINSA_10device_ptrIfEEEEPS6_NSA_18transform_iteratorINSB_9not_fun_tI7is_trueIfEEENSC_INSD_IbEEEENSA_11use_defaultESO_EENS0_5tupleIJSF_S6_EEENSQ_IJSG_SG_EEES6_PlJS6_EEE10hipError_tPvRmT3_T4_T5_T6_T7_T9_mT8_P12ihipStream_tbDpT10_ENKUlT_T0_E_clISt17integral_constantIbLb0EES1C_IbLb1EEEEDaS18_S19_EUlS18_E_NS1_11comp_targetILNS1_3genE4ELNS1_11target_archE910ELNS1_3gpuE8ELNS1_3repE0EEENS1_30default_config_static_selectorELNS0_4arch9wavefront6targetE0EEEvT1_.has_recursion, 0
	.set _ZN7rocprim17ROCPRIM_400000_NS6detail17trampoline_kernelINS0_14default_configENS1_25partition_config_selectorILNS1_17partition_subalgoE5EfNS0_10empty_typeEbEEZZNS1_14partition_implILS5_5ELb0ES3_mN6thrust23THRUST_200600_302600_NS6detail15normal_iteratorINSA_10device_ptrIfEEEEPS6_NSA_18transform_iteratorINSB_9not_fun_tI7is_trueIfEEENSC_INSD_IbEEEENSA_11use_defaultESO_EENS0_5tupleIJSF_S6_EEENSQ_IJSG_SG_EEES6_PlJS6_EEE10hipError_tPvRmT3_T4_T5_T6_T7_T9_mT8_P12ihipStream_tbDpT10_ENKUlT_T0_E_clISt17integral_constantIbLb0EES1C_IbLb1EEEEDaS18_S19_EUlS18_E_NS1_11comp_targetILNS1_3genE4ELNS1_11target_archE910ELNS1_3gpuE8ELNS1_3repE0EEENS1_30default_config_static_selectorELNS0_4arch9wavefront6targetE0EEEvT1_.has_indirect_call, 0
	.section	.AMDGPU.csdata,"",@progbits
; Kernel info:
; codeLenInByte = 0
; TotalNumSgprs: 0
; NumVgprs: 0
; ScratchSize: 0
; MemoryBound: 0
; FloatMode: 240
; IeeeMode: 1
; LDSByteSize: 0 bytes/workgroup (compile time only)
; SGPRBlocks: 0
; VGPRBlocks: 0
; NumSGPRsForWavesPerEU: 1
; NumVGPRsForWavesPerEU: 1
; Occupancy: 16
; WaveLimiterHint : 0
; COMPUTE_PGM_RSRC2:SCRATCH_EN: 0
; COMPUTE_PGM_RSRC2:USER_SGPR: 2
; COMPUTE_PGM_RSRC2:TRAP_HANDLER: 0
; COMPUTE_PGM_RSRC2:TGID_X_EN: 1
; COMPUTE_PGM_RSRC2:TGID_Y_EN: 0
; COMPUTE_PGM_RSRC2:TGID_Z_EN: 0
; COMPUTE_PGM_RSRC2:TIDIG_COMP_CNT: 0
	.section	.text._ZN7rocprim17ROCPRIM_400000_NS6detail17trampoline_kernelINS0_14default_configENS1_25partition_config_selectorILNS1_17partition_subalgoE5EfNS0_10empty_typeEbEEZZNS1_14partition_implILS5_5ELb0ES3_mN6thrust23THRUST_200600_302600_NS6detail15normal_iteratorINSA_10device_ptrIfEEEEPS6_NSA_18transform_iteratorINSB_9not_fun_tI7is_trueIfEEENSC_INSD_IbEEEENSA_11use_defaultESO_EENS0_5tupleIJSF_S6_EEENSQ_IJSG_SG_EEES6_PlJS6_EEE10hipError_tPvRmT3_T4_T5_T6_T7_T9_mT8_P12ihipStream_tbDpT10_ENKUlT_T0_E_clISt17integral_constantIbLb0EES1C_IbLb1EEEEDaS18_S19_EUlS18_E_NS1_11comp_targetILNS1_3genE3ELNS1_11target_archE908ELNS1_3gpuE7ELNS1_3repE0EEENS1_30default_config_static_selectorELNS0_4arch9wavefront6targetE0EEEvT1_,"axG",@progbits,_ZN7rocprim17ROCPRIM_400000_NS6detail17trampoline_kernelINS0_14default_configENS1_25partition_config_selectorILNS1_17partition_subalgoE5EfNS0_10empty_typeEbEEZZNS1_14partition_implILS5_5ELb0ES3_mN6thrust23THRUST_200600_302600_NS6detail15normal_iteratorINSA_10device_ptrIfEEEEPS6_NSA_18transform_iteratorINSB_9not_fun_tI7is_trueIfEEENSC_INSD_IbEEEENSA_11use_defaultESO_EENS0_5tupleIJSF_S6_EEENSQ_IJSG_SG_EEES6_PlJS6_EEE10hipError_tPvRmT3_T4_T5_T6_T7_T9_mT8_P12ihipStream_tbDpT10_ENKUlT_T0_E_clISt17integral_constantIbLb0EES1C_IbLb1EEEEDaS18_S19_EUlS18_E_NS1_11comp_targetILNS1_3genE3ELNS1_11target_archE908ELNS1_3gpuE7ELNS1_3repE0EEENS1_30default_config_static_selectorELNS0_4arch9wavefront6targetE0EEEvT1_,comdat
	.protected	_ZN7rocprim17ROCPRIM_400000_NS6detail17trampoline_kernelINS0_14default_configENS1_25partition_config_selectorILNS1_17partition_subalgoE5EfNS0_10empty_typeEbEEZZNS1_14partition_implILS5_5ELb0ES3_mN6thrust23THRUST_200600_302600_NS6detail15normal_iteratorINSA_10device_ptrIfEEEEPS6_NSA_18transform_iteratorINSB_9not_fun_tI7is_trueIfEEENSC_INSD_IbEEEENSA_11use_defaultESO_EENS0_5tupleIJSF_S6_EEENSQ_IJSG_SG_EEES6_PlJS6_EEE10hipError_tPvRmT3_T4_T5_T6_T7_T9_mT8_P12ihipStream_tbDpT10_ENKUlT_T0_E_clISt17integral_constantIbLb0EES1C_IbLb1EEEEDaS18_S19_EUlS18_E_NS1_11comp_targetILNS1_3genE3ELNS1_11target_archE908ELNS1_3gpuE7ELNS1_3repE0EEENS1_30default_config_static_selectorELNS0_4arch9wavefront6targetE0EEEvT1_ ; -- Begin function _ZN7rocprim17ROCPRIM_400000_NS6detail17trampoline_kernelINS0_14default_configENS1_25partition_config_selectorILNS1_17partition_subalgoE5EfNS0_10empty_typeEbEEZZNS1_14partition_implILS5_5ELb0ES3_mN6thrust23THRUST_200600_302600_NS6detail15normal_iteratorINSA_10device_ptrIfEEEEPS6_NSA_18transform_iteratorINSB_9not_fun_tI7is_trueIfEEENSC_INSD_IbEEEENSA_11use_defaultESO_EENS0_5tupleIJSF_S6_EEENSQ_IJSG_SG_EEES6_PlJS6_EEE10hipError_tPvRmT3_T4_T5_T6_T7_T9_mT8_P12ihipStream_tbDpT10_ENKUlT_T0_E_clISt17integral_constantIbLb0EES1C_IbLb1EEEEDaS18_S19_EUlS18_E_NS1_11comp_targetILNS1_3genE3ELNS1_11target_archE908ELNS1_3gpuE7ELNS1_3repE0EEENS1_30default_config_static_selectorELNS0_4arch9wavefront6targetE0EEEvT1_
	.globl	_ZN7rocprim17ROCPRIM_400000_NS6detail17trampoline_kernelINS0_14default_configENS1_25partition_config_selectorILNS1_17partition_subalgoE5EfNS0_10empty_typeEbEEZZNS1_14partition_implILS5_5ELb0ES3_mN6thrust23THRUST_200600_302600_NS6detail15normal_iteratorINSA_10device_ptrIfEEEEPS6_NSA_18transform_iteratorINSB_9not_fun_tI7is_trueIfEEENSC_INSD_IbEEEENSA_11use_defaultESO_EENS0_5tupleIJSF_S6_EEENSQ_IJSG_SG_EEES6_PlJS6_EEE10hipError_tPvRmT3_T4_T5_T6_T7_T9_mT8_P12ihipStream_tbDpT10_ENKUlT_T0_E_clISt17integral_constantIbLb0EES1C_IbLb1EEEEDaS18_S19_EUlS18_E_NS1_11comp_targetILNS1_3genE3ELNS1_11target_archE908ELNS1_3gpuE7ELNS1_3repE0EEENS1_30default_config_static_selectorELNS0_4arch9wavefront6targetE0EEEvT1_
	.p2align	8
	.type	_ZN7rocprim17ROCPRIM_400000_NS6detail17trampoline_kernelINS0_14default_configENS1_25partition_config_selectorILNS1_17partition_subalgoE5EfNS0_10empty_typeEbEEZZNS1_14partition_implILS5_5ELb0ES3_mN6thrust23THRUST_200600_302600_NS6detail15normal_iteratorINSA_10device_ptrIfEEEEPS6_NSA_18transform_iteratorINSB_9not_fun_tI7is_trueIfEEENSC_INSD_IbEEEENSA_11use_defaultESO_EENS0_5tupleIJSF_S6_EEENSQ_IJSG_SG_EEES6_PlJS6_EEE10hipError_tPvRmT3_T4_T5_T6_T7_T9_mT8_P12ihipStream_tbDpT10_ENKUlT_T0_E_clISt17integral_constantIbLb0EES1C_IbLb1EEEEDaS18_S19_EUlS18_E_NS1_11comp_targetILNS1_3genE3ELNS1_11target_archE908ELNS1_3gpuE7ELNS1_3repE0EEENS1_30default_config_static_selectorELNS0_4arch9wavefront6targetE0EEEvT1_,@function
_ZN7rocprim17ROCPRIM_400000_NS6detail17trampoline_kernelINS0_14default_configENS1_25partition_config_selectorILNS1_17partition_subalgoE5EfNS0_10empty_typeEbEEZZNS1_14partition_implILS5_5ELb0ES3_mN6thrust23THRUST_200600_302600_NS6detail15normal_iteratorINSA_10device_ptrIfEEEEPS6_NSA_18transform_iteratorINSB_9not_fun_tI7is_trueIfEEENSC_INSD_IbEEEENSA_11use_defaultESO_EENS0_5tupleIJSF_S6_EEENSQ_IJSG_SG_EEES6_PlJS6_EEE10hipError_tPvRmT3_T4_T5_T6_T7_T9_mT8_P12ihipStream_tbDpT10_ENKUlT_T0_E_clISt17integral_constantIbLb0EES1C_IbLb1EEEEDaS18_S19_EUlS18_E_NS1_11comp_targetILNS1_3genE3ELNS1_11target_archE908ELNS1_3gpuE7ELNS1_3repE0EEENS1_30default_config_static_selectorELNS0_4arch9wavefront6targetE0EEEvT1_: ; @_ZN7rocprim17ROCPRIM_400000_NS6detail17trampoline_kernelINS0_14default_configENS1_25partition_config_selectorILNS1_17partition_subalgoE5EfNS0_10empty_typeEbEEZZNS1_14partition_implILS5_5ELb0ES3_mN6thrust23THRUST_200600_302600_NS6detail15normal_iteratorINSA_10device_ptrIfEEEEPS6_NSA_18transform_iteratorINSB_9not_fun_tI7is_trueIfEEENSC_INSD_IbEEEENSA_11use_defaultESO_EENS0_5tupleIJSF_S6_EEENSQ_IJSG_SG_EEES6_PlJS6_EEE10hipError_tPvRmT3_T4_T5_T6_T7_T9_mT8_P12ihipStream_tbDpT10_ENKUlT_T0_E_clISt17integral_constantIbLb0EES1C_IbLb1EEEEDaS18_S19_EUlS18_E_NS1_11comp_targetILNS1_3genE3ELNS1_11target_archE908ELNS1_3gpuE7ELNS1_3repE0EEENS1_30default_config_static_selectorELNS0_4arch9wavefront6targetE0EEEvT1_
; %bb.0:
	.section	.rodata,"a",@progbits
	.p2align	6, 0x0
	.amdhsa_kernel _ZN7rocprim17ROCPRIM_400000_NS6detail17trampoline_kernelINS0_14default_configENS1_25partition_config_selectorILNS1_17partition_subalgoE5EfNS0_10empty_typeEbEEZZNS1_14partition_implILS5_5ELb0ES3_mN6thrust23THRUST_200600_302600_NS6detail15normal_iteratorINSA_10device_ptrIfEEEEPS6_NSA_18transform_iteratorINSB_9not_fun_tI7is_trueIfEEENSC_INSD_IbEEEENSA_11use_defaultESO_EENS0_5tupleIJSF_S6_EEENSQ_IJSG_SG_EEES6_PlJS6_EEE10hipError_tPvRmT3_T4_T5_T6_T7_T9_mT8_P12ihipStream_tbDpT10_ENKUlT_T0_E_clISt17integral_constantIbLb0EES1C_IbLb1EEEEDaS18_S19_EUlS18_E_NS1_11comp_targetILNS1_3genE3ELNS1_11target_archE908ELNS1_3gpuE7ELNS1_3repE0EEENS1_30default_config_static_selectorELNS0_4arch9wavefront6targetE0EEEvT1_
		.amdhsa_group_segment_fixed_size 0
		.amdhsa_private_segment_fixed_size 0
		.amdhsa_kernarg_size 136
		.amdhsa_user_sgpr_count 2
		.amdhsa_user_sgpr_dispatch_ptr 0
		.amdhsa_user_sgpr_queue_ptr 0
		.amdhsa_user_sgpr_kernarg_segment_ptr 1
		.amdhsa_user_sgpr_dispatch_id 0
		.amdhsa_user_sgpr_private_segment_size 0
		.amdhsa_wavefront_size32 1
		.amdhsa_uses_dynamic_stack 0
		.amdhsa_enable_private_segment 0
		.amdhsa_system_sgpr_workgroup_id_x 1
		.amdhsa_system_sgpr_workgroup_id_y 0
		.amdhsa_system_sgpr_workgroup_id_z 0
		.amdhsa_system_sgpr_workgroup_info 0
		.amdhsa_system_vgpr_workitem_id 0
		.amdhsa_next_free_vgpr 1
		.amdhsa_next_free_sgpr 1
		.amdhsa_reserve_vcc 0
		.amdhsa_float_round_mode_32 0
		.amdhsa_float_round_mode_16_64 0
		.amdhsa_float_denorm_mode_32 3
		.amdhsa_float_denorm_mode_16_64 3
		.amdhsa_fp16_overflow 0
		.amdhsa_workgroup_processor_mode 1
		.amdhsa_memory_ordered 1
		.amdhsa_forward_progress 1
		.amdhsa_inst_pref_size 0
		.amdhsa_round_robin_scheduling 0
		.amdhsa_exception_fp_ieee_invalid_op 0
		.amdhsa_exception_fp_denorm_src 0
		.amdhsa_exception_fp_ieee_div_zero 0
		.amdhsa_exception_fp_ieee_overflow 0
		.amdhsa_exception_fp_ieee_underflow 0
		.amdhsa_exception_fp_ieee_inexact 0
		.amdhsa_exception_int_div_zero 0
	.end_amdhsa_kernel
	.section	.text._ZN7rocprim17ROCPRIM_400000_NS6detail17trampoline_kernelINS0_14default_configENS1_25partition_config_selectorILNS1_17partition_subalgoE5EfNS0_10empty_typeEbEEZZNS1_14partition_implILS5_5ELb0ES3_mN6thrust23THRUST_200600_302600_NS6detail15normal_iteratorINSA_10device_ptrIfEEEEPS6_NSA_18transform_iteratorINSB_9not_fun_tI7is_trueIfEEENSC_INSD_IbEEEENSA_11use_defaultESO_EENS0_5tupleIJSF_S6_EEENSQ_IJSG_SG_EEES6_PlJS6_EEE10hipError_tPvRmT3_T4_T5_T6_T7_T9_mT8_P12ihipStream_tbDpT10_ENKUlT_T0_E_clISt17integral_constantIbLb0EES1C_IbLb1EEEEDaS18_S19_EUlS18_E_NS1_11comp_targetILNS1_3genE3ELNS1_11target_archE908ELNS1_3gpuE7ELNS1_3repE0EEENS1_30default_config_static_selectorELNS0_4arch9wavefront6targetE0EEEvT1_,"axG",@progbits,_ZN7rocprim17ROCPRIM_400000_NS6detail17trampoline_kernelINS0_14default_configENS1_25partition_config_selectorILNS1_17partition_subalgoE5EfNS0_10empty_typeEbEEZZNS1_14partition_implILS5_5ELb0ES3_mN6thrust23THRUST_200600_302600_NS6detail15normal_iteratorINSA_10device_ptrIfEEEEPS6_NSA_18transform_iteratorINSB_9not_fun_tI7is_trueIfEEENSC_INSD_IbEEEENSA_11use_defaultESO_EENS0_5tupleIJSF_S6_EEENSQ_IJSG_SG_EEES6_PlJS6_EEE10hipError_tPvRmT3_T4_T5_T6_T7_T9_mT8_P12ihipStream_tbDpT10_ENKUlT_T0_E_clISt17integral_constantIbLb0EES1C_IbLb1EEEEDaS18_S19_EUlS18_E_NS1_11comp_targetILNS1_3genE3ELNS1_11target_archE908ELNS1_3gpuE7ELNS1_3repE0EEENS1_30default_config_static_selectorELNS0_4arch9wavefront6targetE0EEEvT1_,comdat
.Lfunc_end2392:
	.size	_ZN7rocprim17ROCPRIM_400000_NS6detail17trampoline_kernelINS0_14default_configENS1_25partition_config_selectorILNS1_17partition_subalgoE5EfNS0_10empty_typeEbEEZZNS1_14partition_implILS5_5ELb0ES3_mN6thrust23THRUST_200600_302600_NS6detail15normal_iteratorINSA_10device_ptrIfEEEEPS6_NSA_18transform_iteratorINSB_9not_fun_tI7is_trueIfEEENSC_INSD_IbEEEENSA_11use_defaultESO_EENS0_5tupleIJSF_S6_EEENSQ_IJSG_SG_EEES6_PlJS6_EEE10hipError_tPvRmT3_T4_T5_T6_T7_T9_mT8_P12ihipStream_tbDpT10_ENKUlT_T0_E_clISt17integral_constantIbLb0EES1C_IbLb1EEEEDaS18_S19_EUlS18_E_NS1_11comp_targetILNS1_3genE3ELNS1_11target_archE908ELNS1_3gpuE7ELNS1_3repE0EEENS1_30default_config_static_selectorELNS0_4arch9wavefront6targetE0EEEvT1_, .Lfunc_end2392-_ZN7rocprim17ROCPRIM_400000_NS6detail17trampoline_kernelINS0_14default_configENS1_25partition_config_selectorILNS1_17partition_subalgoE5EfNS0_10empty_typeEbEEZZNS1_14partition_implILS5_5ELb0ES3_mN6thrust23THRUST_200600_302600_NS6detail15normal_iteratorINSA_10device_ptrIfEEEEPS6_NSA_18transform_iteratorINSB_9not_fun_tI7is_trueIfEEENSC_INSD_IbEEEENSA_11use_defaultESO_EENS0_5tupleIJSF_S6_EEENSQ_IJSG_SG_EEES6_PlJS6_EEE10hipError_tPvRmT3_T4_T5_T6_T7_T9_mT8_P12ihipStream_tbDpT10_ENKUlT_T0_E_clISt17integral_constantIbLb0EES1C_IbLb1EEEEDaS18_S19_EUlS18_E_NS1_11comp_targetILNS1_3genE3ELNS1_11target_archE908ELNS1_3gpuE7ELNS1_3repE0EEENS1_30default_config_static_selectorELNS0_4arch9wavefront6targetE0EEEvT1_
                                        ; -- End function
	.set _ZN7rocprim17ROCPRIM_400000_NS6detail17trampoline_kernelINS0_14default_configENS1_25partition_config_selectorILNS1_17partition_subalgoE5EfNS0_10empty_typeEbEEZZNS1_14partition_implILS5_5ELb0ES3_mN6thrust23THRUST_200600_302600_NS6detail15normal_iteratorINSA_10device_ptrIfEEEEPS6_NSA_18transform_iteratorINSB_9not_fun_tI7is_trueIfEEENSC_INSD_IbEEEENSA_11use_defaultESO_EENS0_5tupleIJSF_S6_EEENSQ_IJSG_SG_EEES6_PlJS6_EEE10hipError_tPvRmT3_T4_T5_T6_T7_T9_mT8_P12ihipStream_tbDpT10_ENKUlT_T0_E_clISt17integral_constantIbLb0EES1C_IbLb1EEEEDaS18_S19_EUlS18_E_NS1_11comp_targetILNS1_3genE3ELNS1_11target_archE908ELNS1_3gpuE7ELNS1_3repE0EEENS1_30default_config_static_selectorELNS0_4arch9wavefront6targetE0EEEvT1_.num_vgpr, 0
	.set _ZN7rocprim17ROCPRIM_400000_NS6detail17trampoline_kernelINS0_14default_configENS1_25partition_config_selectorILNS1_17partition_subalgoE5EfNS0_10empty_typeEbEEZZNS1_14partition_implILS5_5ELb0ES3_mN6thrust23THRUST_200600_302600_NS6detail15normal_iteratorINSA_10device_ptrIfEEEEPS6_NSA_18transform_iteratorINSB_9not_fun_tI7is_trueIfEEENSC_INSD_IbEEEENSA_11use_defaultESO_EENS0_5tupleIJSF_S6_EEENSQ_IJSG_SG_EEES6_PlJS6_EEE10hipError_tPvRmT3_T4_T5_T6_T7_T9_mT8_P12ihipStream_tbDpT10_ENKUlT_T0_E_clISt17integral_constantIbLb0EES1C_IbLb1EEEEDaS18_S19_EUlS18_E_NS1_11comp_targetILNS1_3genE3ELNS1_11target_archE908ELNS1_3gpuE7ELNS1_3repE0EEENS1_30default_config_static_selectorELNS0_4arch9wavefront6targetE0EEEvT1_.num_agpr, 0
	.set _ZN7rocprim17ROCPRIM_400000_NS6detail17trampoline_kernelINS0_14default_configENS1_25partition_config_selectorILNS1_17partition_subalgoE5EfNS0_10empty_typeEbEEZZNS1_14partition_implILS5_5ELb0ES3_mN6thrust23THRUST_200600_302600_NS6detail15normal_iteratorINSA_10device_ptrIfEEEEPS6_NSA_18transform_iteratorINSB_9not_fun_tI7is_trueIfEEENSC_INSD_IbEEEENSA_11use_defaultESO_EENS0_5tupleIJSF_S6_EEENSQ_IJSG_SG_EEES6_PlJS6_EEE10hipError_tPvRmT3_T4_T5_T6_T7_T9_mT8_P12ihipStream_tbDpT10_ENKUlT_T0_E_clISt17integral_constantIbLb0EES1C_IbLb1EEEEDaS18_S19_EUlS18_E_NS1_11comp_targetILNS1_3genE3ELNS1_11target_archE908ELNS1_3gpuE7ELNS1_3repE0EEENS1_30default_config_static_selectorELNS0_4arch9wavefront6targetE0EEEvT1_.numbered_sgpr, 0
	.set _ZN7rocprim17ROCPRIM_400000_NS6detail17trampoline_kernelINS0_14default_configENS1_25partition_config_selectorILNS1_17partition_subalgoE5EfNS0_10empty_typeEbEEZZNS1_14partition_implILS5_5ELb0ES3_mN6thrust23THRUST_200600_302600_NS6detail15normal_iteratorINSA_10device_ptrIfEEEEPS6_NSA_18transform_iteratorINSB_9not_fun_tI7is_trueIfEEENSC_INSD_IbEEEENSA_11use_defaultESO_EENS0_5tupleIJSF_S6_EEENSQ_IJSG_SG_EEES6_PlJS6_EEE10hipError_tPvRmT3_T4_T5_T6_T7_T9_mT8_P12ihipStream_tbDpT10_ENKUlT_T0_E_clISt17integral_constantIbLb0EES1C_IbLb1EEEEDaS18_S19_EUlS18_E_NS1_11comp_targetILNS1_3genE3ELNS1_11target_archE908ELNS1_3gpuE7ELNS1_3repE0EEENS1_30default_config_static_selectorELNS0_4arch9wavefront6targetE0EEEvT1_.num_named_barrier, 0
	.set _ZN7rocprim17ROCPRIM_400000_NS6detail17trampoline_kernelINS0_14default_configENS1_25partition_config_selectorILNS1_17partition_subalgoE5EfNS0_10empty_typeEbEEZZNS1_14partition_implILS5_5ELb0ES3_mN6thrust23THRUST_200600_302600_NS6detail15normal_iteratorINSA_10device_ptrIfEEEEPS6_NSA_18transform_iteratorINSB_9not_fun_tI7is_trueIfEEENSC_INSD_IbEEEENSA_11use_defaultESO_EENS0_5tupleIJSF_S6_EEENSQ_IJSG_SG_EEES6_PlJS6_EEE10hipError_tPvRmT3_T4_T5_T6_T7_T9_mT8_P12ihipStream_tbDpT10_ENKUlT_T0_E_clISt17integral_constantIbLb0EES1C_IbLb1EEEEDaS18_S19_EUlS18_E_NS1_11comp_targetILNS1_3genE3ELNS1_11target_archE908ELNS1_3gpuE7ELNS1_3repE0EEENS1_30default_config_static_selectorELNS0_4arch9wavefront6targetE0EEEvT1_.private_seg_size, 0
	.set _ZN7rocprim17ROCPRIM_400000_NS6detail17trampoline_kernelINS0_14default_configENS1_25partition_config_selectorILNS1_17partition_subalgoE5EfNS0_10empty_typeEbEEZZNS1_14partition_implILS5_5ELb0ES3_mN6thrust23THRUST_200600_302600_NS6detail15normal_iteratorINSA_10device_ptrIfEEEEPS6_NSA_18transform_iteratorINSB_9not_fun_tI7is_trueIfEEENSC_INSD_IbEEEENSA_11use_defaultESO_EENS0_5tupleIJSF_S6_EEENSQ_IJSG_SG_EEES6_PlJS6_EEE10hipError_tPvRmT3_T4_T5_T6_T7_T9_mT8_P12ihipStream_tbDpT10_ENKUlT_T0_E_clISt17integral_constantIbLb0EES1C_IbLb1EEEEDaS18_S19_EUlS18_E_NS1_11comp_targetILNS1_3genE3ELNS1_11target_archE908ELNS1_3gpuE7ELNS1_3repE0EEENS1_30default_config_static_selectorELNS0_4arch9wavefront6targetE0EEEvT1_.uses_vcc, 0
	.set _ZN7rocprim17ROCPRIM_400000_NS6detail17trampoline_kernelINS0_14default_configENS1_25partition_config_selectorILNS1_17partition_subalgoE5EfNS0_10empty_typeEbEEZZNS1_14partition_implILS5_5ELb0ES3_mN6thrust23THRUST_200600_302600_NS6detail15normal_iteratorINSA_10device_ptrIfEEEEPS6_NSA_18transform_iteratorINSB_9not_fun_tI7is_trueIfEEENSC_INSD_IbEEEENSA_11use_defaultESO_EENS0_5tupleIJSF_S6_EEENSQ_IJSG_SG_EEES6_PlJS6_EEE10hipError_tPvRmT3_T4_T5_T6_T7_T9_mT8_P12ihipStream_tbDpT10_ENKUlT_T0_E_clISt17integral_constantIbLb0EES1C_IbLb1EEEEDaS18_S19_EUlS18_E_NS1_11comp_targetILNS1_3genE3ELNS1_11target_archE908ELNS1_3gpuE7ELNS1_3repE0EEENS1_30default_config_static_selectorELNS0_4arch9wavefront6targetE0EEEvT1_.uses_flat_scratch, 0
	.set _ZN7rocprim17ROCPRIM_400000_NS6detail17trampoline_kernelINS0_14default_configENS1_25partition_config_selectorILNS1_17partition_subalgoE5EfNS0_10empty_typeEbEEZZNS1_14partition_implILS5_5ELb0ES3_mN6thrust23THRUST_200600_302600_NS6detail15normal_iteratorINSA_10device_ptrIfEEEEPS6_NSA_18transform_iteratorINSB_9not_fun_tI7is_trueIfEEENSC_INSD_IbEEEENSA_11use_defaultESO_EENS0_5tupleIJSF_S6_EEENSQ_IJSG_SG_EEES6_PlJS6_EEE10hipError_tPvRmT3_T4_T5_T6_T7_T9_mT8_P12ihipStream_tbDpT10_ENKUlT_T0_E_clISt17integral_constantIbLb0EES1C_IbLb1EEEEDaS18_S19_EUlS18_E_NS1_11comp_targetILNS1_3genE3ELNS1_11target_archE908ELNS1_3gpuE7ELNS1_3repE0EEENS1_30default_config_static_selectorELNS0_4arch9wavefront6targetE0EEEvT1_.has_dyn_sized_stack, 0
	.set _ZN7rocprim17ROCPRIM_400000_NS6detail17trampoline_kernelINS0_14default_configENS1_25partition_config_selectorILNS1_17partition_subalgoE5EfNS0_10empty_typeEbEEZZNS1_14partition_implILS5_5ELb0ES3_mN6thrust23THRUST_200600_302600_NS6detail15normal_iteratorINSA_10device_ptrIfEEEEPS6_NSA_18transform_iteratorINSB_9not_fun_tI7is_trueIfEEENSC_INSD_IbEEEENSA_11use_defaultESO_EENS0_5tupleIJSF_S6_EEENSQ_IJSG_SG_EEES6_PlJS6_EEE10hipError_tPvRmT3_T4_T5_T6_T7_T9_mT8_P12ihipStream_tbDpT10_ENKUlT_T0_E_clISt17integral_constantIbLb0EES1C_IbLb1EEEEDaS18_S19_EUlS18_E_NS1_11comp_targetILNS1_3genE3ELNS1_11target_archE908ELNS1_3gpuE7ELNS1_3repE0EEENS1_30default_config_static_selectorELNS0_4arch9wavefront6targetE0EEEvT1_.has_recursion, 0
	.set _ZN7rocprim17ROCPRIM_400000_NS6detail17trampoline_kernelINS0_14default_configENS1_25partition_config_selectorILNS1_17partition_subalgoE5EfNS0_10empty_typeEbEEZZNS1_14partition_implILS5_5ELb0ES3_mN6thrust23THRUST_200600_302600_NS6detail15normal_iteratorINSA_10device_ptrIfEEEEPS6_NSA_18transform_iteratorINSB_9not_fun_tI7is_trueIfEEENSC_INSD_IbEEEENSA_11use_defaultESO_EENS0_5tupleIJSF_S6_EEENSQ_IJSG_SG_EEES6_PlJS6_EEE10hipError_tPvRmT3_T4_T5_T6_T7_T9_mT8_P12ihipStream_tbDpT10_ENKUlT_T0_E_clISt17integral_constantIbLb0EES1C_IbLb1EEEEDaS18_S19_EUlS18_E_NS1_11comp_targetILNS1_3genE3ELNS1_11target_archE908ELNS1_3gpuE7ELNS1_3repE0EEENS1_30default_config_static_selectorELNS0_4arch9wavefront6targetE0EEEvT1_.has_indirect_call, 0
	.section	.AMDGPU.csdata,"",@progbits
; Kernel info:
; codeLenInByte = 0
; TotalNumSgprs: 0
; NumVgprs: 0
; ScratchSize: 0
; MemoryBound: 0
; FloatMode: 240
; IeeeMode: 1
; LDSByteSize: 0 bytes/workgroup (compile time only)
; SGPRBlocks: 0
; VGPRBlocks: 0
; NumSGPRsForWavesPerEU: 1
; NumVGPRsForWavesPerEU: 1
; Occupancy: 16
; WaveLimiterHint : 0
; COMPUTE_PGM_RSRC2:SCRATCH_EN: 0
; COMPUTE_PGM_RSRC2:USER_SGPR: 2
; COMPUTE_PGM_RSRC2:TRAP_HANDLER: 0
; COMPUTE_PGM_RSRC2:TGID_X_EN: 1
; COMPUTE_PGM_RSRC2:TGID_Y_EN: 0
; COMPUTE_PGM_RSRC2:TGID_Z_EN: 0
; COMPUTE_PGM_RSRC2:TIDIG_COMP_CNT: 0
	.section	.text._ZN7rocprim17ROCPRIM_400000_NS6detail17trampoline_kernelINS0_14default_configENS1_25partition_config_selectorILNS1_17partition_subalgoE5EfNS0_10empty_typeEbEEZZNS1_14partition_implILS5_5ELb0ES3_mN6thrust23THRUST_200600_302600_NS6detail15normal_iteratorINSA_10device_ptrIfEEEEPS6_NSA_18transform_iteratorINSB_9not_fun_tI7is_trueIfEEENSC_INSD_IbEEEENSA_11use_defaultESO_EENS0_5tupleIJSF_S6_EEENSQ_IJSG_SG_EEES6_PlJS6_EEE10hipError_tPvRmT3_T4_T5_T6_T7_T9_mT8_P12ihipStream_tbDpT10_ENKUlT_T0_E_clISt17integral_constantIbLb0EES1C_IbLb1EEEEDaS18_S19_EUlS18_E_NS1_11comp_targetILNS1_3genE2ELNS1_11target_archE906ELNS1_3gpuE6ELNS1_3repE0EEENS1_30default_config_static_selectorELNS0_4arch9wavefront6targetE0EEEvT1_,"axG",@progbits,_ZN7rocprim17ROCPRIM_400000_NS6detail17trampoline_kernelINS0_14default_configENS1_25partition_config_selectorILNS1_17partition_subalgoE5EfNS0_10empty_typeEbEEZZNS1_14partition_implILS5_5ELb0ES3_mN6thrust23THRUST_200600_302600_NS6detail15normal_iteratorINSA_10device_ptrIfEEEEPS6_NSA_18transform_iteratorINSB_9not_fun_tI7is_trueIfEEENSC_INSD_IbEEEENSA_11use_defaultESO_EENS0_5tupleIJSF_S6_EEENSQ_IJSG_SG_EEES6_PlJS6_EEE10hipError_tPvRmT3_T4_T5_T6_T7_T9_mT8_P12ihipStream_tbDpT10_ENKUlT_T0_E_clISt17integral_constantIbLb0EES1C_IbLb1EEEEDaS18_S19_EUlS18_E_NS1_11comp_targetILNS1_3genE2ELNS1_11target_archE906ELNS1_3gpuE6ELNS1_3repE0EEENS1_30default_config_static_selectorELNS0_4arch9wavefront6targetE0EEEvT1_,comdat
	.protected	_ZN7rocprim17ROCPRIM_400000_NS6detail17trampoline_kernelINS0_14default_configENS1_25partition_config_selectorILNS1_17partition_subalgoE5EfNS0_10empty_typeEbEEZZNS1_14partition_implILS5_5ELb0ES3_mN6thrust23THRUST_200600_302600_NS6detail15normal_iteratorINSA_10device_ptrIfEEEEPS6_NSA_18transform_iteratorINSB_9not_fun_tI7is_trueIfEEENSC_INSD_IbEEEENSA_11use_defaultESO_EENS0_5tupleIJSF_S6_EEENSQ_IJSG_SG_EEES6_PlJS6_EEE10hipError_tPvRmT3_T4_T5_T6_T7_T9_mT8_P12ihipStream_tbDpT10_ENKUlT_T0_E_clISt17integral_constantIbLb0EES1C_IbLb1EEEEDaS18_S19_EUlS18_E_NS1_11comp_targetILNS1_3genE2ELNS1_11target_archE906ELNS1_3gpuE6ELNS1_3repE0EEENS1_30default_config_static_selectorELNS0_4arch9wavefront6targetE0EEEvT1_ ; -- Begin function _ZN7rocprim17ROCPRIM_400000_NS6detail17trampoline_kernelINS0_14default_configENS1_25partition_config_selectorILNS1_17partition_subalgoE5EfNS0_10empty_typeEbEEZZNS1_14partition_implILS5_5ELb0ES3_mN6thrust23THRUST_200600_302600_NS6detail15normal_iteratorINSA_10device_ptrIfEEEEPS6_NSA_18transform_iteratorINSB_9not_fun_tI7is_trueIfEEENSC_INSD_IbEEEENSA_11use_defaultESO_EENS0_5tupleIJSF_S6_EEENSQ_IJSG_SG_EEES6_PlJS6_EEE10hipError_tPvRmT3_T4_T5_T6_T7_T9_mT8_P12ihipStream_tbDpT10_ENKUlT_T0_E_clISt17integral_constantIbLb0EES1C_IbLb1EEEEDaS18_S19_EUlS18_E_NS1_11comp_targetILNS1_3genE2ELNS1_11target_archE906ELNS1_3gpuE6ELNS1_3repE0EEENS1_30default_config_static_selectorELNS0_4arch9wavefront6targetE0EEEvT1_
	.globl	_ZN7rocprim17ROCPRIM_400000_NS6detail17trampoline_kernelINS0_14default_configENS1_25partition_config_selectorILNS1_17partition_subalgoE5EfNS0_10empty_typeEbEEZZNS1_14partition_implILS5_5ELb0ES3_mN6thrust23THRUST_200600_302600_NS6detail15normal_iteratorINSA_10device_ptrIfEEEEPS6_NSA_18transform_iteratorINSB_9not_fun_tI7is_trueIfEEENSC_INSD_IbEEEENSA_11use_defaultESO_EENS0_5tupleIJSF_S6_EEENSQ_IJSG_SG_EEES6_PlJS6_EEE10hipError_tPvRmT3_T4_T5_T6_T7_T9_mT8_P12ihipStream_tbDpT10_ENKUlT_T0_E_clISt17integral_constantIbLb0EES1C_IbLb1EEEEDaS18_S19_EUlS18_E_NS1_11comp_targetILNS1_3genE2ELNS1_11target_archE906ELNS1_3gpuE6ELNS1_3repE0EEENS1_30default_config_static_selectorELNS0_4arch9wavefront6targetE0EEEvT1_
	.p2align	8
	.type	_ZN7rocprim17ROCPRIM_400000_NS6detail17trampoline_kernelINS0_14default_configENS1_25partition_config_selectorILNS1_17partition_subalgoE5EfNS0_10empty_typeEbEEZZNS1_14partition_implILS5_5ELb0ES3_mN6thrust23THRUST_200600_302600_NS6detail15normal_iteratorINSA_10device_ptrIfEEEEPS6_NSA_18transform_iteratorINSB_9not_fun_tI7is_trueIfEEENSC_INSD_IbEEEENSA_11use_defaultESO_EENS0_5tupleIJSF_S6_EEENSQ_IJSG_SG_EEES6_PlJS6_EEE10hipError_tPvRmT3_T4_T5_T6_T7_T9_mT8_P12ihipStream_tbDpT10_ENKUlT_T0_E_clISt17integral_constantIbLb0EES1C_IbLb1EEEEDaS18_S19_EUlS18_E_NS1_11comp_targetILNS1_3genE2ELNS1_11target_archE906ELNS1_3gpuE6ELNS1_3repE0EEENS1_30default_config_static_selectorELNS0_4arch9wavefront6targetE0EEEvT1_,@function
_ZN7rocprim17ROCPRIM_400000_NS6detail17trampoline_kernelINS0_14default_configENS1_25partition_config_selectorILNS1_17partition_subalgoE5EfNS0_10empty_typeEbEEZZNS1_14partition_implILS5_5ELb0ES3_mN6thrust23THRUST_200600_302600_NS6detail15normal_iteratorINSA_10device_ptrIfEEEEPS6_NSA_18transform_iteratorINSB_9not_fun_tI7is_trueIfEEENSC_INSD_IbEEEENSA_11use_defaultESO_EENS0_5tupleIJSF_S6_EEENSQ_IJSG_SG_EEES6_PlJS6_EEE10hipError_tPvRmT3_T4_T5_T6_T7_T9_mT8_P12ihipStream_tbDpT10_ENKUlT_T0_E_clISt17integral_constantIbLb0EES1C_IbLb1EEEEDaS18_S19_EUlS18_E_NS1_11comp_targetILNS1_3genE2ELNS1_11target_archE906ELNS1_3gpuE6ELNS1_3repE0EEENS1_30default_config_static_selectorELNS0_4arch9wavefront6targetE0EEEvT1_: ; @_ZN7rocprim17ROCPRIM_400000_NS6detail17trampoline_kernelINS0_14default_configENS1_25partition_config_selectorILNS1_17partition_subalgoE5EfNS0_10empty_typeEbEEZZNS1_14partition_implILS5_5ELb0ES3_mN6thrust23THRUST_200600_302600_NS6detail15normal_iteratorINSA_10device_ptrIfEEEEPS6_NSA_18transform_iteratorINSB_9not_fun_tI7is_trueIfEEENSC_INSD_IbEEEENSA_11use_defaultESO_EENS0_5tupleIJSF_S6_EEENSQ_IJSG_SG_EEES6_PlJS6_EEE10hipError_tPvRmT3_T4_T5_T6_T7_T9_mT8_P12ihipStream_tbDpT10_ENKUlT_T0_E_clISt17integral_constantIbLb0EES1C_IbLb1EEEEDaS18_S19_EUlS18_E_NS1_11comp_targetILNS1_3genE2ELNS1_11target_archE906ELNS1_3gpuE6ELNS1_3repE0EEENS1_30default_config_static_selectorELNS0_4arch9wavefront6targetE0EEEvT1_
; %bb.0:
	.section	.rodata,"a",@progbits
	.p2align	6, 0x0
	.amdhsa_kernel _ZN7rocprim17ROCPRIM_400000_NS6detail17trampoline_kernelINS0_14default_configENS1_25partition_config_selectorILNS1_17partition_subalgoE5EfNS0_10empty_typeEbEEZZNS1_14partition_implILS5_5ELb0ES3_mN6thrust23THRUST_200600_302600_NS6detail15normal_iteratorINSA_10device_ptrIfEEEEPS6_NSA_18transform_iteratorINSB_9not_fun_tI7is_trueIfEEENSC_INSD_IbEEEENSA_11use_defaultESO_EENS0_5tupleIJSF_S6_EEENSQ_IJSG_SG_EEES6_PlJS6_EEE10hipError_tPvRmT3_T4_T5_T6_T7_T9_mT8_P12ihipStream_tbDpT10_ENKUlT_T0_E_clISt17integral_constantIbLb0EES1C_IbLb1EEEEDaS18_S19_EUlS18_E_NS1_11comp_targetILNS1_3genE2ELNS1_11target_archE906ELNS1_3gpuE6ELNS1_3repE0EEENS1_30default_config_static_selectorELNS0_4arch9wavefront6targetE0EEEvT1_
		.amdhsa_group_segment_fixed_size 0
		.amdhsa_private_segment_fixed_size 0
		.amdhsa_kernarg_size 136
		.amdhsa_user_sgpr_count 2
		.amdhsa_user_sgpr_dispatch_ptr 0
		.amdhsa_user_sgpr_queue_ptr 0
		.amdhsa_user_sgpr_kernarg_segment_ptr 1
		.amdhsa_user_sgpr_dispatch_id 0
		.amdhsa_user_sgpr_private_segment_size 0
		.amdhsa_wavefront_size32 1
		.amdhsa_uses_dynamic_stack 0
		.amdhsa_enable_private_segment 0
		.amdhsa_system_sgpr_workgroup_id_x 1
		.amdhsa_system_sgpr_workgroup_id_y 0
		.amdhsa_system_sgpr_workgroup_id_z 0
		.amdhsa_system_sgpr_workgroup_info 0
		.amdhsa_system_vgpr_workitem_id 0
		.amdhsa_next_free_vgpr 1
		.amdhsa_next_free_sgpr 1
		.amdhsa_reserve_vcc 0
		.amdhsa_float_round_mode_32 0
		.amdhsa_float_round_mode_16_64 0
		.amdhsa_float_denorm_mode_32 3
		.amdhsa_float_denorm_mode_16_64 3
		.amdhsa_fp16_overflow 0
		.amdhsa_workgroup_processor_mode 1
		.amdhsa_memory_ordered 1
		.amdhsa_forward_progress 1
		.amdhsa_inst_pref_size 0
		.amdhsa_round_robin_scheduling 0
		.amdhsa_exception_fp_ieee_invalid_op 0
		.amdhsa_exception_fp_denorm_src 0
		.amdhsa_exception_fp_ieee_div_zero 0
		.amdhsa_exception_fp_ieee_overflow 0
		.amdhsa_exception_fp_ieee_underflow 0
		.amdhsa_exception_fp_ieee_inexact 0
		.amdhsa_exception_int_div_zero 0
	.end_amdhsa_kernel
	.section	.text._ZN7rocprim17ROCPRIM_400000_NS6detail17trampoline_kernelINS0_14default_configENS1_25partition_config_selectorILNS1_17partition_subalgoE5EfNS0_10empty_typeEbEEZZNS1_14partition_implILS5_5ELb0ES3_mN6thrust23THRUST_200600_302600_NS6detail15normal_iteratorINSA_10device_ptrIfEEEEPS6_NSA_18transform_iteratorINSB_9not_fun_tI7is_trueIfEEENSC_INSD_IbEEEENSA_11use_defaultESO_EENS0_5tupleIJSF_S6_EEENSQ_IJSG_SG_EEES6_PlJS6_EEE10hipError_tPvRmT3_T4_T5_T6_T7_T9_mT8_P12ihipStream_tbDpT10_ENKUlT_T0_E_clISt17integral_constantIbLb0EES1C_IbLb1EEEEDaS18_S19_EUlS18_E_NS1_11comp_targetILNS1_3genE2ELNS1_11target_archE906ELNS1_3gpuE6ELNS1_3repE0EEENS1_30default_config_static_selectorELNS0_4arch9wavefront6targetE0EEEvT1_,"axG",@progbits,_ZN7rocprim17ROCPRIM_400000_NS6detail17trampoline_kernelINS0_14default_configENS1_25partition_config_selectorILNS1_17partition_subalgoE5EfNS0_10empty_typeEbEEZZNS1_14partition_implILS5_5ELb0ES3_mN6thrust23THRUST_200600_302600_NS6detail15normal_iteratorINSA_10device_ptrIfEEEEPS6_NSA_18transform_iteratorINSB_9not_fun_tI7is_trueIfEEENSC_INSD_IbEEEENSA_11use_defaultESO_EENS0_5tupleIJSF_S6_EEENSQ_IJSG_SG_EEES6_PlJS6_EEE10hipError_tPvRmT3_T4_T5_T6_T7_T9_mT8_P12ihipStream_tbDpT10_ENKUlT_T0_E_clISt17integral_constantIbLb0EES1C_IbLb1EEEEDaS18_S19_EUlS18_E_NS1_11comp_targetILNS1_3genE2ELNS1_11target_archE906ELNS1_3gpuE6ELNS1_3repE0EEENS1_30default_config_static_selectorELNS0_4arch9wavefront6targetE0EEEvT1_,comdat
.Lfunc_end2393:
	.size	_ZN7rocprim17ROCPRIM_400000_NS6detail17trampoline_kernelINS0_14default_configENS1_25partition_config_selectorILNS1_17partition_subalgoE5EfNS0_10empty_typeEbEEZZNS1_14partition_implILS5_5ELb0ES3_mN6thrust23THRUST_200600_302600_NS6detail15normal_iteratorINSA_10device_ptrIfEEEEPS6_NSA_18transform_iteratorINSB_9not_fun_tI7is_trueIfEEENSC_INSD_IbEEEENSA_11use_defaultESO_EENS0_5tupleIJSF_S6_EEENSQ_IJSG_SG_EEES6_PlJS6_EEE10hipError_tPvRmT3_T4_T5_T6_T7_T9_mT8_P12ihipStream_tbDpT10_ENKUlT_T0_E_clISt17integral_constantIbLb0EES1C_IbLb1EEEEDaS18_S19_EUlS18_E_NS1_11comp_targetILNS1_3genE2ELNS1_11target_archE906ELNS1_3gpuE6ELNS1_3repE0EEENS1_30default_config_static_selectorELNS0_4arch9wavefront6targetE0EEEvT1_, .Lfunc_end2393-_ZN7rocprim17ROCPRIM_400000_NS6detail17trampoline_kernelINS0_14default_configENS1_25partition_config_selectorILNS1_17partition_subalgoE5EfNS0_10empty_typeEbEEZZNS1_14partition_implILS5_5ELb0ES3_mN6thrust23THRUST_200600_302600_NS6detail15normal_iteratorINSA_10device_ptrIfEEEEPS6_NSA_18transform_iteratorINSB_9not_fun_tI7is_trueIfEEENSC_INSD_IbEEEENSA_11use_defaultESO_EENS0_5tupleIJSF_S6_EEENSQ_IJSG_SG_EEES6_PlJS6_EEE10hipError_tPvRmT3_T4_T5_T6_T7_T9_mT8_P12ihipStream_tbDpT10_ENKUlT_T0_E_clISt17integral_constantIbLb0EES1C_IbLb1EEEEDaS18_S19_EUlS18_E_NS1_11comp_targetILNS1_3genE2ELNS1_11target_archE906ELNS1_3gpuE6ELNS1_3repE0EEENS1_30default_config_static_selectorELNS0_4arch9wavefront6targetE0EEEvT1_
                                        ; -- End function
	.set _ZN7rocprim17ROCPRIM_400000_NS6detail17trampoline_kernelINS0_14default_configENS1_25partition_config_selectorILNS1_17partition_subalgoE5EfNS0_10empty_typeEbEEZZNS1_14partition_implILS5_5ELb0ES3_mN6thrust23THRUST_200600_302600_NS6detail15normal_iteratorINSA_10device_ptrIfEEEEPS6_NSA_18transform_iteratorINSB_9not_fun_tI7is_trueIfEEENSC_INSD_IbEEEENSA_11use_defaultESO_EENS0_5tupleIJSF_S6_EEENSQ_IJSG_SG_EEES6_PlJS6_EEE10hipError_tPvRmT3_T4_T5_T6_T7_T9_mT8_P12ihipStream_tbDpT10_ENKUlT_T0_E_clISt17integral_constantIbLb0EES1C_IbLb1EEEEDaS18_S19_EUlS18_E_NS1_11comp_targetILNS1_3genE2ELNS1_11target_archE906ELNS1_3gpuE6ELNS1_3repE0EEENS1_30default_config_static_selectorELNS0_4arch9wavefront6targetE0EEEvT1_.num_vgpr, 0
	.set _ZN7rocprim17ROCPRIM_400000_NS6detail17trampoline_kernelINS0_14default_configENS1_25partition_config_selectorILNS1_17partition_subalgoE5EfNS0_10empty_typeEbEEZZNS1_14partition_implILS5_5ELb0ES3_mN6thrust23THRUST_200600_302600_NS6detail15normal_iteratorINSA_10device_ptrIfEEEEPS6_NSA_18transform_iteratorINSB_9not_fun_tI7is_trueIfEEENSC_INSD_IbEEEENSA_11use_defaultESO_EENS0_5tupleIJSF_S6_EEENSQ_IJSG_SG_EEES6_PlJS6_EEE10hipError_tPvRmT3_T4_T5_T6_T7_T9_mT8_P12ihipStream_tbDpT10_ENKUlT_T0_E_clISt17integral_constantIbLb0EES1C_IbLb1EEEEDaS18_S19_EUlS18_E_NS1_11comp_targetILNS1_3genE2ELNS1_11target_archE906ELNS1_3gpuE6ELNS1_3repE0EEENS1_30default_config_static_selectorELNS0_4arch9wavefront6targetE0EEEvT1_.num_agpr, 0
	.set _ZN7rocprim17ROCPRIM_400000_NS6detail17trampoline_kernelINS0_14default_configENS1_25partition_config_selectorILNS1_17partition_subalgoE5EfNS0_10empty_typeEbEEZZNS1_14partition_implILS5_5ELb0ES3_mN6thrust23THRUST_200600_302600_NS6detail15normal_iteratorINSA_10device_ptrIfEEEEPS6_NSA_18transform_iteratorINSB_9not_fun_tI7is_trueIfEEENSC_INSD_IbEEEENSA_11use_defaultESO_EENS0_5tupleIJSF_S6_EEENSQ_IJSG_SG_EEES6_PlJS6_EEE10hipError_tPvRmT3_T4_T5_T6_T7_T9_mT8_P12ihipStream_tbDpT10_ENKUlT_T0_E_clISt17integral_constantIbLb0EES1C_IbLb1EEEEDaS18_S19_EUlS18_E_NS1_11comp_targetILNS1_3genE2ELNS1_11target_archE906ELNS1_3gpuE6ELNS1_3repE0EEENS1_30default_config_static_selectorELNS0_4arch9wavefront6targetE0EEEvT1_.numbered_sgpr, 0
	.set _ZN7rocprim17ROCPRIM_400000_NS6detail17trampoline_kernelINS0_14default_configENS1_25partition_config_selectorILNS1_17partition_subalgoE5EfNS0_10empty_typeEbEEZZNS1_14partition_implILS5_5ELb0ES3_mN6thrust23THRUST_200600_302600_NS6detail15normal_iteratorINSA_10device_ptrIfEEEEPS6_NSA_18transform_iteratorINSB_9not_fun_tI7is_trueIfEEENSC_INSD_IbEEEENSA_11use_defaultESO_EENS0_5tupleIJSF_S6_EEENSQ_IJSG_SG_EEES6_PlJS6_EEE10hipError_tPvRmT3_T4_T5_T6_T7_T9_mT8_P12ihipStream_tbDpT10_ENKUlT_T0_E_clISt17integral_constantIbLb0EES1C_IbLb1EEEEDaS18_S19_EUlS18_E_NS1_11comp_targetILNS1_3genE2ELNS1_11target_archE906ELNS1_3gpuE6ELNS1_3repE0EEENS1_30default_config_static_selectorELNS0_4arch9wavefront6targetE0EEEvT1_.num_named_barrier, 0
	.set _ZN7rocprim17ROCPRIM_400000_NS6detail17trampoline_kernelINS0_14default_configENS1_25partition_config_selectorILNS1_17partition_subalgoE5EfNS0_10empty_typeEbEEZZNS1_14partition_implILS5_5ELb0ES3_mN6thrust23THRUST_200600_302600_NS6detail15normal_iteratorINSA_10device_ptrIfEEEEPS6_NSA_18transform_iteratorINSB_9not_fun_tI7is_trueIfEEENSC_INSD_IbEEEENSA_11use_defaultESO_EENS0_5tupleIJSF_S6_EEENSQ_IJSG_SG_EEES6_PlJS6_EEE10hipError_tPvRmT3_T4_T5_T6_T7_T9_mT8_P12ihipStream_tbDpT10_ENKUlT_T0_E_clISt17integral_constantIbLb0EES1C_IbLb1EEEEDaS18_S19_EUlS18_E_NS1_11comp_targetILNS1_3genE2ELNS1_11target_archE906ELNS1_3gpuE6ELNS1_3repE0EEENS1_30default_config_static_selectorELNS0_4arch9wavefront6targetE0EEEvT1_.private_seg_size, 0
	.set _ZN7rocprim17ROCPRIM_400000_NS6detail17trampoline_kernelINS0_14default_configENS1_25partition_config_selectorILNS1_17partition_subalgoE5EfNS0_10empty_typeEbEEZZNS1_14partition_implILS5_5ELb0ES3_mN6thrust23THRUST_200600_302600_NS6detail15normal_iteratorINSA_10device_ptrIfEEEEPS6_NSA_18transform_iteratorINSB_9not_fun_tI7is_trueIfEEENSC_INSD_IbEEEENSA_11use_defaultESO_EENS0_5tupleIJSF_S6_EEENSQ_IJSG_SG_EEES6_PlJS6_EEE10hipError_tPvRmT3_T4_T5_T6_T7_T9_mT8_P12ihipStream_tbDpT10_ENKUlT_T0_E_clISt17integral_constantIbLb0EES1C_IbLb1EEEEDaS18_S19_EUlS18_E_NS1_11comp_targetILNS1_3genE2ELNS1_11target_archE906ELNS1_3gpuE6ELNS1_3repE0EEENS1_30default_config_static_selectorELNS0_4arch9wavefront6targetE0EEEvT1_.uses_vcc, 0
	.set _ZN7rocprim17ROCPRIM_400000_NS6detail17trampoline_kernelINS0_14default_configENS1_25partition_config_selectorILNS1_17partition_subalgoE5EfNS0_10empty_typeEbEEZZNS1_14partition_implILS5_5ELb0ES3_mN6thrust23THRUST_200600_302600_NS6detail15normal_iteratorINSA_10device_ptrIfEEEEPS6_NSA_18transform_iteratorINSB_9not_fun_tI7is_trueIfEEENSC_INSD_IbEEEENSA_11use_defaultESO_EENS0_5tupleIJSF_S6_EEENSQ_IJSG_SG_EEES6_PlJS6_EEE10hipError_tPvRmT3_T4_T5_T6_T7_T9_mT8_P12ihipStream_tbDpT10_ENKUlT_T0_E_clISt17integral_constantIbLb0EES1C_IbLb1EEEEDaS18_S19_EUlS18_E_NS1_11comp_targetILNS1_3genE2ELNS1_11target_archE906ELNS1_3gpuE6ELNS1_3repE0EEENS1_30default_config_static_selectorELNS0_4arch9wavefront6targetE0EEEvT1_.uses_flat_scratch, 0
	.set _ZN7rocprim17ROCPRIM_400000_NS6detail17trampoline_kernelINS0_14default_configENS1_25partition_config_selectorILNS1_17partition_subalgoE5EfNS0_10empty_typeEbEEZZNS1_14partition_implILS5_5ELb0ES3_mN6thrust23THRUST_200600_302600_NS6detail15normal_iteratorINSA_10device_ptrIfEEEEPS6_NSA_18transform_iteratorINSB_9not_fun_tI7is_trueIfEEENSC_INSD_IbEEEENSA_11use_defaultESO_EENS0_5tupleIJSF_S6_EEENSQ_IJSG_SG_EEES6_PlJS6_EEE10hipError_tPvRmT3_T4_T5_T6_T7_T9_mT8_P12ihipStream_tbDpT10_ENKUlT_T0_E_clISt17integral_constantIbLb0EES1C_IbLb1EEEEDaS18_S19_EUlS18_E_NS1_11comp_targetILNS1_3genE2ELNS1_11target_archE906ELNS1_3gpuE6ELNS1_3repE0EEENS1_30default_config_static_selectorELNS0_4arch9wavefront6targetE0EEEvT1_.has_dyn_sized_stack, 0
	.set _ZN7rocprim17ROCPRIM_400000_NS6detail17trampoline_kernelINS0_14default_configENS1_25partition_config_selectorILNS1_17partition_subalgoE5EfNS0_10empty_typeEbEEZZNS1_14partition_implILS5_5ELb0ES3_mN6thrust23THRUST_200600_302600_NS6detail15normal_iteratorINSA_10device_ptrIfEEEEPS6_NSA_18transform_iteratorINSB_9not_fun_tI7is_trueIfEEENSC_INSD_IbEEEENSA_11use_defaultESO_EENS0_5tupleIJSF_S6_EEENSQ_IJSG_SG_EEES6_PlJS6_EEE10hipError_tPvRmT3_T4_T5_T6_T7_T9_mT8_P12ihipStream_tbDpT10_ENKUlT_T0_E_clISt17integral_constantIbLb0EES1C_IbLb1EEEEDaS18_S19_EUlS18_E_NS1_11comp_targetILNS1_3genE2ELNS1_11target_archE906ELNS1_3gpuE6ELNS1_3repE0EEENS1_30default_config_static_selectorELNS0_4arch9wavefront6targetE0EEEvT1_.has_recursion, 0
	.set _ZN7rocprim17ROCPRIM_400000_NS6detail17trampoline_kernelINS0_14default_configENS1_25partition_config_selectorILNS1_17partition_subalgoE5EfNS0_10empty_typeEbEEZZNS1_14partition_implILS5_5ELb0ES3_mN6thrust23THRUST_200600_302600_NS6detail15normal_iteratorINSA_10device_ptrIfEEEEPS6_NSA_18transform_iteratorINSB_9not_fun_tI7is_trueIfEEENSC_INSD_IbEEEENSA_11use_defaultESO_EENS0_5tupleIJSF_S6_EEENSQ_IJSG_SG_EEES6_PlJS6_EEE10hipError_tPvRmT3_T4_T5_T6_T7_T9_mT8_P12ihipStream_tbDpT10_ENKUlT_T0_E_clISt17integral_constantIbLb0EES1C_IbLb1EEEEDaS18_S19_EUlS18_E_NS1_11comp_targetILNS1_3genE2ELNS1_11target_archE906ELNS1_3gpuE6ELNS1_3repE0EEENS1_30default_config_static_selectorELNS0_4arch9wavefront6targetE0EEEvT1_.has_indirect_call, 0
	.section	.AMDGPU.csdata,"",@progbits
; Kernel info:
; codeLenInByte = 0
; TotalNumSgprs: 0
; NumVgprs: 0
; ScratchSize: 0
; MemoryBound: 0
; FloatMode: 240
; IeeeMode: 1
; LDSByteSize: 0 bytes/workgroup (compile time only)
; SGPRBlocks: 0
; VGPRBlocks: 0
; NumSGPRsForWavesPerEU: 1
; NumVGPRsForWavesPerEU: 1
; Occupancy: 16
; WaveLimiterHint : 0
; COMPUTE_PGM_RSRC2:SCRATCH_EN: 0
; COMPUTE_PGM_RSRC2:USER_SGPR: 2
; COMPUTE_PGM_RSRC2:TRAP_HANDLER: 0
; COMPUTE_PGM_RSRC2:TGID_X_EN: 1
; COMPUTE_PGM_RSRC2:TGID_Y_EN: 0
; COMPUTE_PGM_RSRC2:TGID_Z_EN: 0
; COMPUTE_PGM_RSRC2:TIDIG_COMP_CNT: 0
	.section	.text._ZN7rocprim17ROCPRIM_400000_NS6detail17trampoline_kernelINS0_14default_configENS1_25partition_config_selectorILNS1_17partition_subalgoE5EfNS0_10empty_typeEbEEZZNS1_14partition_implILS5_5ELb0ES3_mN6thrust23THRUST_200600_302600_NS6detail15normal_iteratorINSA_10device_ptrIfEEEEPS6_NSA_18transform_iteratorINSB_9not_fun_tI7is_trueIfEEENSC_INSD_IbEEEENSA_11use_defaultESO_EENS0_5tupleIJSF_S6_EEENSQ_IJSG_SG_EEES6_PlJS6_EEE10hipError_tPvRmT3_T4_T5_T6_T7_T9_mT8_P12ihipStream_tbDpT10_ENKUlT_T0_E_clISt17integral_constantIbLb0EES1C_IbLb1EEEEDaS18_S19_EUlS18_E_NS1_11comp_targetILNS1_3genE10ELNS1_11target_archE1200ELNS1_3gpuE4ELNS1_3repE0EEENS1_30default_config_static_selectorELNS0_4arch9wavefront6targetE0EEEvT1_,"axG",@progbits,_ZN7rocprim17ROCPRIM_400000_NS6detail17trampoline_kernelINS0_14default_configENS1_25partition_config_selectorILNS1_17partition_subalgoE5EfNS0_10empty_typeEbEEZZNS1_14partition_implILS5_5ELb0ES3_mN6thrust23THRUST_200600_302600_NS6detail15normal_iteratorINSA_10device_ptrIfEEEEPS6_NSA_18transform_iteratorINSB_9not_fun_tI7is_trueIfEEENSC_INSD_IbEEEENSA_11use_defaultESO_EENS0_5tupleIJSF_S6_EEENSQ_IJSG_SG_EEES6_PlJS6_EEE10hipError_tPvRmT3_T4_T5_T6_T7_T9_mT8_P12ihipStream_tbDpT10_ENKUlT_T0_E_clISt17integral_constantIbLb0EES1C_IbLb1EEEEDaS18_S19_EUlS18_E_NS1_11comp_targetILNS1_3genE10ELNS1_11target_archE1200ELNS1_3gpuE4ELNS1_3repE0EEENS1_30default_config_static_selectorELNS0_4arch9wavefront6targetE0EEEvT1_,comdat
	.protected	_ZN7rocprim17ROCPRIM_400000_NS6detail17trampoline_kernelINS0_14default_configENS1_25partition_config_selectorILNS1_17partition_subalgoE5EfNS0_10empty_typeEbEEZZNS1_14partition_implILS5_5ELb0ES3_mN6thrust23THRUST_200600_302600_NS6detail15normal_iteratorINSA_10device_ptrIfEEEEPS6_NSA_18transform_iteratorINSB_9not_fun_tI7is_trueIfEEENSC_INSD_IbEEEENSA_11use_defaultESO_EENS0_5tupleIJSF_S6_EEENSQ_IJSG_SG_EEES6_PlJS6_EEE10hipError_tPvRmT3_T4_T5_T6_T7_T9_mT8_P12ihipStream_tbDpT10_ENKUlT_T0_E_clISt17integral_constantIbLb0EES1C_IbLb1EEEEDaS18_S19_EUlS18_E_NS1_11comp_targetILNS1_3genE10ELNS1_11target_archE1200ELNS1_3gpuE4ELNS1_3repE0EEENS1_30default_config_static_selectorELNS0_4arch9wavefront6targetE0EEEvT1_ ; -- Begin function _ZN7rocprim17ROCPRIM_400000_NS6detail17trampoline_kernelINS0_14default_configENS1_25partition_config_selectorILNS1_17partition_subalgoE5EfNS0_10empty_typeEbEEZZNS1_14partition_implILS5_5ELb0ES3_mN6thrust23THRUST_200600_302600_NS6detail15normal_iteratorINSA_10device_ptrIfEEEEPS6_NSA_18transform_iteratorINSB_9not_fun_tI7is_trueIfEEENSC_INSD_IbEEEENSA_11use_defaultESO_EENS0_5tupleIJSF_S6_EEENSQ_IJSG_SG_EEES6_PlJS6_EEE10hipError_tPvRmT3_T4_T5_T6_T7_T9_mT8_P12ihipStream_tbDpT10_ENKUlT_T0_E_clISt17integral_constantIbLb0EES1C_IbLb1EEEEDaS18_S19_EUlS18_E_NS1_11comp_targetILNS1_3genE10ELNS1_11target_archE1200ELNS1_3gpuE4ELNS1_3repE0EEENS1_30default_config_static_selectorELNS0_4arch9wavefront6targetE0EEEvT1_
	.globl	_ZN7rocprim17ROCPRIM_400000_NS6detail17trampoline_kernelINS0_14default_configENS1_25partition_config_selectorILNS1_17partition_subalgoE5EfNS0_10empty_typeEbEEZZNS1_14partition_implILS5_5ELb0ES3_mN6thrust23THRUST_200600_302600_NS6detail15normal_iteratorINSA_10device_ptrIfEEEEPS6_NSA_18transform_iteratorINSB_9not_fun_tI7is_trueIfEEENSC_INSD_IbEEEENSA_11use_defaultESO_EENS0_5tupleIJSF_S6_EEENSQ_IJSG_SG_EEES6_PlJS6_EEE10hipError_tPvRmT3_T4_T5_T6_T7_T9_mT8_P12ihipStream_tbDpT10_ENKUlT_T0_E_clISt17integral_constantIbLb0EES1C_IbLb1EEEEDaS18_S19_EUlS18_E_NS1_11comp_targetILNS1_3genE10ELNS1_11target_archE1200ELNS1_3gpuE4ELNS1_3repE0EEENS1_30default_config_static_selectorELNS0_4arch9wavefront6targetE0EEEvT1_
	.p2align	8
	.type	_ZN7rocprim17ROCPRIM_400000_NS6detail17trampoline_kernelINS0_14default_configENS1_25partition_config_selectorILNS1_17partition_subalgoE5EfNS0_10empty_typeEbEEZZNS1_14partition_implILS5_5ELb0ES3_mN6thrust23THRUST_200600_302600_NS6detail15normal_iteratorINSA_10device_ptrIfEEEEPS6_NSA_18transform_iteratorINSB_9not_fun_tI7is_trueIfEEENSC_INSD_IbEEEENSA_11use_defaultESO_EENS0_5tupleIJSF_S6_EEENSQ_IJSG_SG_EEES6_PlJS6_EEE10hipError_tPvRmT3_T4_T5_T6_T7_T9_mT8_P12ihipStream_tbDpT10_ENKUlT_T0_E_clISt17integral_constantIbLb0EES1C_IbLb1EEEEDaS18_S19_EUlS18_E_NS1_11comp_targetILNS1_3genE10ELNS1_11target_archE1200ELNS1_3gpuE4ELNS1_3repE0EEENS1_30default_config_static_selectorELNS0_4arch9wavefront6targetE0EEEvT1_,@function
_ZN7rocprim17ROCPRIM_400000_NS6detail17trampoline_kernelINS0_14default_configENS1_25partition_config_selectorILNS1_17partition_subalgoE5EfNS0_10empty_typeEbEEZZNS1_14partition_implILS5_5ELb0ES3_mN6thrust23THRUST_200600_302600_NS6detail15normal_iteratorINSA_10device_ptrIfEEEEPS6_NSA_18transform_iteratorINSB_9not_fun_tI7is_trueIfEEENSC_INSD_IbEEEENSA_11use_defaultESO_EENS0_5tupleIJSF_S6_EEENSQ_IJSG_SG_EEES6_PlJS6_EEE10hipError_tPvRmT3_T4_T5_T6_T7_T9_mT8_P12ihipStream_tbDpT10_ENKUlT_T0_E_clISt17integral_constantIbLb0EES1C_IbLb1EEEEDaS18_S19_EUlS18_E_NS1_11comp_targetILNS1_3genE10ELNS1_11target_archE1200ELNS1_3gpuE4ELNS1_3repE0EEENS1_30default_config_static_selectorELNS0_4arch9wavefront6targetE0EEEvT1_: ; @_ZN7rocprim17ROCPRIM_400000_NS6detail17trampoline_kernelINS0_14default_configENS1_25partition_config_selectorILNS1_17partition_subalgoE5EfNS0_10empty_typeEbEEZZNS1_14partition_implILS5_5ELb0ES3_mN6thrust23THRUST_200600_302600_NS6detail15normal_iteratorINSA_10device_ptrIfEEEEPS6_NSA_18transform_iteratorINSB_9not_fun_tI7is_trueIfEEENSC_INSD_IbEEEENSA_11use_defaultESO_EENS0_5tupleIJSF_S6_EEENSQ_IJSG_SG_EEES6_PlJS6_EEE10hipError_tPvRmT3_T4_T5_T6_T7_T9_mT8_P12ihipStream_tbDpT10_ENKUlT_T0_E_clISt17integral_constantIbLb0EES1C_IbLb1EEEEDaS18_S19_EUlS18_E_NS1_11comp_targetILNS1_3genE10ELNS1_11target_archE1200ELNS1_3gpuE4ELNS1_3repE0EEENS1_30default_config_static_selectorELNS0_4arch9wavefront6targetE0EEEvT1_
; %bb.0:
	s_clause 0x3
	s_load_b64 s[12:13], s[0:1], 0x30
	s_load_b128 s[8:11], s[0:1], 0x48
	s_load_b64 s[18:19], s[0:1], 0x58
	s_load_b64 s[14:15], s[0:1], 0x68
	v_cmp_eq_u32_e64 s2, 0, v0
	s_and_saveexec_b32 s3, s2
	s_cbranch_execz .LBB2394_4
; %bb.1:
	s_mov_b32 s5, exec_lo
	s_mov_b32 s4, exec_lo
	v_mbcnt_lo_u32_b32 v1, s5, 0
                                        ; implicit-def: $vgpr2
	s_delay_alu instid0(VALU_DEP_1)
	v_cmpx_eq_u32_e32 0, v1
	s_cbranch_execz .LBB2394_3
; %bb.2:
	s_load_b64 s[6:7], s[0:1], 0x78
	s_bcnt1_i32_b32 s5, s5
	s_wait_alu 0xfffe
	v_dual_mov_b32 v2, 0 :: v_dual_mov_b32 v3, s5
	s_wait_kmcnt 0x0
	global_atomic_add_u32 v2, v2, v3, s[6:7] th:TH_ATOMIC_RETURN scope:SCOPE_DEV
.LBB2394_3:
	s_or_b32 exec_lo, exec_lo, s4
	s_wait_loadcnt 0x0
	v_readfirstlane_b32 s4, v2
	s_wait_alu 0xf1ff
	s_delay_alu instid0(VALU_DEP_1)
	v_dual_mov_b32 v2, 0 :: v_dual_add_nc_u32 v1, s4, v1
	ds_store_b32 v2, v1
.LBB2394_4:
	s_or_b32 exec_lo, exec_lo, s3
	v_dual_mov_b32 v1, 0 :: v_dual_lshlrev_b32 v8, 2, v0
	s_clause 0x2
	s_load_b128 s[4:7], s[0:1], 0x8
	s_load_b64 s[16:17], s[0:1], 0x20
	s_load_b32 s0, s[0:1], 0x70
	s_wait_dscnt 0x0
	s_barrier_signal -1
	s_barrier_wait -1
	global_inv scope:SCOPE_SE
	ds_load_b32 v2, v1
	s_wait_loadcnt_dscnt 0x0
	s_barrier_signal -1
	s_barrier_wait -1
	global_inv scope:SCOPE_SE
	s_wait_kmcnt 0x0
	global_load_b64 v[9:10], v1, s[10:11]
	s_lshl_b64 s[10:11], s[6:7], 2
	s_delay_alu instid0(SALU_CYCLE_1)
	s_add_nc_u64 s[10:11], s[4:5], s[10:11]
	s_mul_i32 s4, s0, 0xa80
	s_mov_b32 s5, 0
	s_wait_alu 0xfffe
	s_add_co_i32 s21, s4, s6
	s_add_co_i32 s3, s0, -1
	v_readfirstlane_b32 s20, v2
	s_add_nc_u64 s[0:1], s[6:7], s[4:5]
	s_sub_co_i32 s21, s18, s21
	v_cmp_le_u64_e64 s0, s[18:19], s[0:1]
	s_addk_co_i32 s21, 0xa80
	s_cmp_eq_u32 s20, s3
	s_mul_i32 s4, s20, 0xa80
	s_cselect_b32 s18, -1, 0
	s_wait_alu 0xfffe
	s_lshl_b64 s[22:23], s[4:5], 2
	s_and_b32 s0, s0, s18
	s_mov_b32 s1, -1
	s_wait_alu 0xfffe
	s_xor_b32 s19, s0, -1
	s_add_nc_u64 s[10:11], s[10:11], s[22:23]
	s_wait_alu 0xfffe
	s_and_b32 vcc_lo, exec_lo, s19
	s_cbranch_vccz .LBB2394_6
; %bb.5:
	v_add_co_u32 v1, s0, s10, v8
	s_wait_alu 0xf1ff
	v_add_co_ci_u32_e64 v2, null, s11, 0, s0
	s_mov_b32 s1, s5
	s_clause 0x6
	flat_load_b32 v3, v[1:2]
	flat_load_b32 v4, v[1:2] offset:1536
	flat_load_b32 v5, v[1:2] offset:3072
	;; [unrolled: 1-line block ×6, first 2 shown]
	s_wait_loadcnt_dscnt 0x505
	ds_store_2addr_stride64_b32 v8, v3, v4 offset1:6
	s_wait_loadcnt_dscnt 0x304
	ds_store_2addr_stride64_b32 v8, v5, v6 offset0:12 offset1:18
	s_wait_loadcnt_dscnt 0x103
	ds_store_2addr_stride64_b32 v8, v7, v11 offset0:24 offset1:30
	s_wait_loadcnt_dscnt 0x3
	ds_store_b32 v8, v1 offset:9216
	s_wait_dscnt 0x0
	s_barrier_signal -1
	s_barrier_wait -1
.LBB2394_6:
	v_cmp_gt_u32_e64 s0, s21, v0
	s_wait_alu 0xfffe
	s_and_not1_b32 vcc_lo, exec_lo, s1
	s_cbranch_vccnz .LBB2394_22
; %bb.7:
	v_mov_b32_e32 v1, 0
	s_delay_alu instid0(VALU_DEP_1)
	v_dual_mov_b32 v2, v1 :: v_dual_mov_b32 v3, v1
	v_dual_mov_b32 v4, v1 :: v_dual_mov_b32 v5, v1
	;; [unrolled: 1-line block ×3, first 2 shown]
	s_and_saveexec_b32 s1, s0
	s_cbranch_execz .LBB2394_9
; %bb.8:
	v_add_co_u32 v2, s0, s10, v8
	s_wait_alu 0xf1ff
	v_add_co_ci_u32_e64 v3, null, s11, 0, s0
	v_dual_mov_b32 v12, v1 :: v_dual_mov_b32 v13, v1
	v_dual_mov_b32 v14, v1 :: v_dual_mov_b32 v15, v1
	flat_load_b32 v11, v[2:3]
	v_dual_mov_b32 v16, v1 :: v_dual_mov_b32 v17, v1
	s_wait_loadcnt_dscnt 0x0
	v_dual_mov_b32 v1, v11 :: v_dual_mov_b32 v2, v12
	v_dual_mov_b32 v3, v13 :: v_dual_mov_b32 v4, v14
	s_delay_alu instid0(VALU_DEP_3)
	v_dual_mov_b32 v5, v15 :: v_dual_mov_b32 v6, v16
	v_mov_b32_e32 v7, v17
.LBB2394_9:
	s_wait_alu 0xfffe
	s_or_b32 exec_lo, exec_lo, s1
	v_add_nc_u32_e32 v11, 0x180, v0
	s_mov_b32 s0, exec_lo
	s_delay_alu instid0(VALU_DEP_1)
	v_cmpx_gt_u32_e64 s21, v11
	s_cbranch_execz .LBB2394_11
; %bb.10:
	v_add_co_u32 v11, s1, s10, v8
	s_wait_alu 0xf1ff
	v_add_co_ci_u32_e64 v12, null, s11, 0, s1
	flat_load_b32 v2, v[11:12] offset:1536
.LBB2394_11:
	s_wait_alu 0xfffe
	s_or_b32 exec_lo, exec_lo, s0
	v_add_nc_u32_e32 v11, 0x300, v0
	s_mov_b32 s0, exec_lo
	s_delay_alu instid0(VALU_DEP_1)
	v_cmpx_gt_u32_e64 s21, v11
	s_cbranch_execz .LBB2394_13
; %bb.12:
	v_add_co_u32 v11, s1, s10, v8
	s_wait_alu 0xf1ff
	v_add_co_ci_u32_e64 v12, null, s11, 0, s1
	flat_load_b32 v3, v[11:12] offset:3072
.LBB2394_13:
	;; [unrolled: 13-line block ×3, first 2 shown]
	s_wait_alu 0xfffe
	s_or_b32 exec_lo, exec_lo, s0
	v_or_b32_e32 v11, 0x600, v0
	s_mov_b32 s0, exec_lo
	s_delay_alu instid0(VALU_DEP_1)
	v_cmpx_gt_u32_e64 s21, v11
	s_cbranch_execz .LBB2394_17
; %bb.16:
	v_add_co_u32 v11, s1, s10, v8
	s_wait_alu 0xf1ff
	v_add_co_ci_u32_e64 v12, null, s11, 0, s1
	flat_load_b32 v5, v[11:12] offset:6144
.LBB2394_17:
	s_wait_alu 0xfffe
	s_or_b32 exec_lo, exec_lo, s0
	v_add_nc_u32_e32 v11, 0x780, v0
	s_mov_b32 s0, exec_lo
	s_delay_alu instid0(VALU_DEP_1)
	v_cmpx_gt_u32_e64 s21, v11
	s_cbranch_execz .LBB2394_19
; %bb.18:
	v_add_co_u32 v11, s1, s10, v8
	s_wait_alu 0xf1ff
	v_add_co_ci_u32_e64 v12, null, s11, 0, s1
	flat_load_b32 v6, v[11:12] offset:7680
.LBB2394_19:
	s_wait_alu 0xfffe
	s_or_b32 exec_lo, exec_lo, s0
	v_add_nc_u32_e32 v11, 0x900, v0
	s_mov_b32 s0, exec_lo
	s_delay_alu instid0(VALU_DEP_1)
	v_cmpx_gt_u32_e64 s21, v11
	s_cbranch_execz .LBB2394_21
; %bb.20:
	v_add_co_u32 v11, s1, s10, v8
	s_wait_alu 0xf1ff
	v_add_co_ci_u32_e64 v12, null, s11, 0, s1
	flat_load_b32 v7, v[11:12] offset:9216
.LBB2394_21:
	s_wait_alu 0xfffe
	s_or_b32 exec_lo, exec_lo, s0
	s_wait_loadcnt_dscnt 0x0
	ds_store_2addr_stride64_b32 v8, v1, v2 offset1:6
	ds_store_2addr_stride64_b32 v8, v3, v4 offset0:12 offset1:18
	ds_store_2addr_stride64_b32 v8, v5, v6 offset0:24 offset1:30
	ds_store_b32 v8, v7 offset:9216
	s_wait_dscnt 0x0
	s_barrier_signal -1
	s_barrier_wait -1
.LBB2394_22:
	v_mul_u32_u24_e32 v1, 7, v0
	s_wait_loadcnt 0x0
	global_inv scope:SCOPE_SE
	s_add_nc_u64 s[0:1], s[16:17], s[6:7]
	s_and_b32 vcc_lo, exec_lo, s19
	s_wait_alu 0xfffe
	s_add_nc_u64 s[10:11], s[0:1], s[4:5]
	v_lshlrev_b32_e32 v1, 2, v1
	s_mov_b32 s7, -1
	ds_load_2addr_b32 v[15:16], v1 offset1:1
	ds_load_2addr_b32 v[13:14], v1 offset0:2 offset1:3
	ds_load_2addr_b32 v[11:12], v1 offset0:4 offset1:5
	ds_load_b32 v33, v1 offset:24
	s_wait_loadcnt_dscnt 0x0
	s_barrier_signal -1
	s_barrier_wait -1
	global_inv scope:SCOPE_SE
	s_cbranch_vccz .LBB2394_24
; %bb.23:
	s_clause 0x6
	global_load_u8 v2, v0, s[10:11]
	global_load_u8 v3, v0, s[10:11] offset:384
	global_load_u8 v4, v0, s[10:11] offset:768
	;; [unrolled: 1-line block ×6, first 2 shown]
	s_mov_b32 s7, 0
	s_wait_loadcnt 0x6
	v_and_b32_e32 v2, 1, v2
	s_wait_loadcnt 0x5
	v_and_b32_e32 v3, 1, v3
	;; [unrolled: 2-line block ×6, first 2 shown]
	v_cmp_eq_u32_e64 s0, 1, v3
	v_cmp_eq_u32_e64 s1, 1, v4
	;; [unrolled: 1-line block ×3, first 2 shown]
	s_wait_loadcnt 0x0
	v_and_b32_e32 v8, 1, v8
	v_cmp_eq_u32_e32 vcc_lo, 1, v2
	s_xor_b32 s0, s0, -1
	v_cmp_eq_u32_e64 s4, 1, v6
	s_wait_alu 0xfffe
	v_cndmask_b32_e64 v3, 0, 1, s0
	s_xor_b32 s0, s1, -1
	v_cmp_eq_u32_e64 s5, 1, v7
	s_wait_alu 0xfffe
	v_cndmask_b32_e64 v4, 0, 1, s0
	s_xor_b32 s0, s3, -1
	v_cmp_eq_u32_e64 s6, 1, v8
	s_xor_b32 s16, vcc_lo, -1
	s_wait_alu 0xfffe
	v_cndmask_b32_e64 v5, 0, 1, s0
	s_xor_b32 s0, s4, -1
	v_cndmask_b32_e64 v2, 0, 1, s16
	s_wait_alu 0xfffe
	v_cndmask_b32_e64 v6, 0, 1, s0
	s_xor_b32 s0, s5, -1
	s_wait_alu 0xfffe
	v_cndmask_b32_e64 v7, 0, 1, s0
	s_xor_b32 s0, s6, -1
	s_wait_alu 0xfffe
	v_cndmask_b32_e64 v8, 0, 1, s0
	ds_store_b8 v0, v2
	ds_store_b8 v0, v3 offset:384
	ds_store_b8 v0, v4 offset:768
	;; [unrolled: 1-line block ×6, first 2 shown]
	s_wait_dscnt 0x0
	s_barrier_signal -1
	s_barrier_wait -1
.LBB2394_24:
	s_and_not1_b32 vcc_lo, exec_lo, s7
	s_cbranch_vccnz .LBB2394_40
; %bb.25:
	v_mov_b32_e32 v4, 0
	s_mov_b32 s1, 0
	s_mov_b32 s0, exec_lo
	s_delay_alu instid0(VALU_DEP_1)
	v_dual_mov_b32 v3, v4 :: v_dual_mov_b32 v2, v4
	v_cmpx_gt_u32_e64 s21, v0
	s_cbranch_execz .LBB2394_27
; %bb.26:
	global_load_u8 v2, v0, s[10:11]
	s_wait_loadcnt 0x0
	s_wait_alu 0xfffe
	v_dual_mov_b32 v3, s1 :: v_dual_and_b32 v2, 1, v2
	s_delay_alu instid0(VALU_DEP_1) | instskip(SKIP_1) | instid1(SALU_CYCLE_1)
	v_cmp_eq_u32_e32 vcc_lo, 1, v2
	s_xor_b32 s3, vcc_lo, -1
	v_cndmask_b32_e64 v4, 0, 1, s3
	s_delay_alu instid0(VALU_DEP_1)
	v_mov_b32_e32 v2, v4
.LBB2394_27:
	s_wait_alu 0xfffe
	s_or_b32 exec_lo, exec_lo, s0
	v_add_nc_u32_e32 v5, 0x180, v0
	s_mov_b32 s0, exec_lo
	s_delay_alu instid0(VALU_DEP_1)
	v_cmpx_gt_u32_e64 s21, v5
	s_cbranch_execz .LBB2394_29
; %bb.28:
	global_load_u8 v5, v0, s[10:11] offset:384
	v_lshrrev_b32_e32 v6, 24, v4
	v_lshrrev_b32_e32 v8, 8, v3
	v_and_b32_e32 v17, 0xff, v3
	v_bfe_u32 v3, v3, 16, 8
	s_delay_alu instid0(VALU_DEP_4) | instskip(NEXT) | instid1(VALU_DEP_4)
	v_lshlrev_b16 v6, 8, v6
	v_lshlrev_b16 v8, 8, v8
	s_wait_loadcnt 0x0
	v_and_b32_e32 v5, 1, v5
	s_delay_alu instid0(VALU_DEP_1) | instskip(SKIP_3) | instid1(VALU_DEP_1)
	v_cmp_eq_u32_e32 vcc_lo, 1, v5
	v_and_b32_e32 v5, 0xff, v4
	v_lshrrev_b32_e32 v4, 16, v4
	s_xor_b32 s1, vcc_lo, -1
	v_and_b32_e32 v4, 0xff, v4
	s_wait_alu 0xfffe
	v_cndmask_b32_e64 v7, 0, 1, s1
	s_delay_alu instid0(VALU_DEP_2) | instskip(NEXT) | instid1(VALU_DEP_2)
	v_or_b32_e32 v4, v4, v6
	v_lshlrev_b16 v7, 8, v7
	v_or_b32_e32 v6, v17, v8
	s_delay_alu instid0(VALU_DEP_3) | instskip(NEXT) | instid1(VALU_DEP_3)
	v_lshlrev_b32_e32 v4, 16, v4
	v_or_b32_e32 v5, v5, v7
	s_delay_alu instid0(VALU_DEP_3) | instskip(NEXT) | instid1(VALU_DEP_2)
	v_and_b32_e32 v6, 0xffff, v6
	v_and_b32_e32 v5, 0xffff, v5
	s_delay_alu instid0(VALU_DEP_2) | instskip(NEXT) | instid1(VALU_DEP_2)
	v_lshl_or_b32 v3, v3, 16, v6
	v_or_b32_e32 v4, v5, v4
.LBB2394_29:
	s_wait_alu 0xfffe
	s_or_b32 exec_lo, exec_lo, s0
	v_add_nc_u32_e32 v5, 0x300, v0
	s_mov_b32 s0, exec_lo
	s_delay_alu instid0(VALU_DEP_1)
	v_cmpx_gt_u32_e64 s21, v5
	s_cbranch_execz .LBB2394_31
; %bb.30:
	global_load_u8 v5, v0, s[10:11] offset:768
	v_lshrrev_b32_e32 v6, 8, v3
	v_lshrrev_b32_e32 v7, 24, v4
	v_perm_b32 v4, v4, v4, 0xc0c0104
	s_delay_alu instid0(VALU_DEP_3) | instskip(NEXT) | instid1(VALU_DEP_3)
	v_lshlrev_b16 v6, 8, v6
	v_lshlrev_b16 v7, 8, v7
	s_wait_loadcnt 0x0
	v_and_b32_e32 v5, 1, v5
	s_delay_alu instid0(VALU_DEP_1) | instskip(SKIP_3) | instid1(VALU_DEP_2)
	v_cmp_eq_u32_e32 vcc_lo, 1, v5
	v_and_b32_e32 v5, 0xff, v3
	v_bfe_u32 v3, v3, 16, 8
	s_xor_b32 s1, vcc_lo, -1
	v_or_b32_e32 v5, v5, v6
	s_wait_alu 0xfffe
	v_cndmask_b32_e64 v8, 0, 1, s1
	s_delay_alu instid0(VALU_DEP_2) | instskip(NEXT) | instid1(VALU_DEP_2)
	v_and_b32_e32 v5, 0xffff, v5
	v_or_b32_e32 v6, v8, v7
	s_delay_alu instid0(VALU_DEP_2) | instskip(NEXT) | instid1(VALU_DEP_2)
	v_lshl_or_b32 v3, v3, 16, v5
	v_lshlrev_b32_e32 v6, 16, v6
	s_delay_alu instid0(VALU_DEP_1)
	v_or_b32_e32 v4, v4, v6
.LBB2394_31:
	s_wait_alu 0xfffe
	s_or_b32 exec_lo, exec_lo, s0
	v_add_nc_u32_e32 v5, 0x480, v0
	s_mov_b32 s0, exec_lo
	s_delay_alu instid0(VALU_DEP_1)
	v_cmpx_gt_u32_e64 s21, v5
	s_cbranch_execz .LBB2394_33
; %bb.32:
	global_load_u8 v5, v0, s[10:11] offset:1152
	v_lshrrev_b32_e32 v6, 16, v4
	v_and_b32_e32 v8, 0xff, v3
	v_perm_b32 v4, v4, v4, 0xc0c0104
	s_delay_alu instid0(VALU_DEP_3) | instskip(SKIP_2) | instid1(VALU_DEP_1)
	v_and_b32_e32 v6, 0xff, v6
	s_wait_loadcnt 0x0
	v_and_b32_e32 v5, 1, v5
	v_cmp_eq_u32_e32 vcc_lo, 1, v5
	v_lshrrev_b32_e32 v5, 8, v3
	v_bfe_u32 v3, v3, 16, 8
	s_xor_b32 s1, vcc_lo, -1
	s_delay_alu instid0(VALU_DEP_2) | instskip(SKIP_2) | instid1(VALU_DEP_2)
	v_lshlrev_b16 v5, 8, v5
	s_wait_alu 0xfffe
	v_cndmask_b32_e64 v7, 0, 1, s1
	v_or_b32_e32 v5, v8, v5
	s_delay_alu instid0(VALU_DEP_2) | instskip(NEXT) | instid1(VALU_DEP_2)
	v_lshlrev_b16 v7, 8, v7
	v_and_b32_e32 v5, 0xffff, v5
	s_delay_alu instid0(VALU_DEP_2) | instskip(NEXT) | instid1(VALU_DEP_2)
	v_or_b32_e32 v6, v6, v7
	v_lshl_or_b32 v3, v3, 16, v5
	s_delay_alu instid0(VALU_DEP_2) | instskip(NEXT) | instid1(VALU_DEP_1)
	v_lshlrev_b32_e32 v6, 16, v6
	v_or_b32_e32 v4, v4, v6
.LBB2394_33:
	s_wait_alu 0xfffe
	s_or_b32 exec_lo, exec_lo, s0
	v_or_b32_e32 v5, 0x600, v0
	s_mov_b32 s0, exec_lo
	s_delay_alu instid0(VALU_DEP_1)
	v_cmpx_gt_u32_e64 s21, v5
	s_cbranch_execz .LBB2394_35
; %bb.34:
	global_load_u8 v5, v0, s[10:11] offset:1536
	v_lshrrev_b32_e32 v6, 8, v3
	v_bfe_u32 v3, v3, 16, 8
	v_perm_b32 v4, v4, v4, 0x3020104
	s_wait_loadcnt 0x0
	v_and_b32_e32 v5, 1, v5
	s_delay_alu instid0(VALU_DEP_1) | instskip(SKIP_4) | instid1(VALU_DEP_1)
	v_cmp_eq_u32_e32 vcc_lo, 1, v5
	v_lshlrev_b16 v5, 8, v6
	s_xor_b32 s1, vcc_lo, -1
	s_wait_alu 0xfffe
	v_cndmask_b32_e64 v6, 0, 1, s1
	v_or_b32_e32 v5, v6, v5
	s_delay_alu instid0(VALU_DEP_1) | instskip(NEXT) | instid1(VALU_DEP_1)
	v_and_b32_e32 v5, 0xffff, v5
	v_lshl_or_b32 v3, v3, 16, v5
.LBB2394_35:
	s_wait_alu 0xfffe
	s_or_b32 exec_lo, exec_lo, s0
	v_add_nc_u32_e32 v5, 0x780, v0
	s_mov_b32 s0, exec_lo
	s_delay_alu instid0(VALU_DEP_1)
	v_cmpx_gt_u32_e64 s21, v5
	s_cbranch_execz .LBB2394_37
; %bb.36:
	global_load_u8 v5, v0, s[10:11] offset:1920
	v_and_b32_e32 v6, 0xff, v3
	v_bfe_u32 v3, v3, 16, 8
	v_perm_b32 v4, v4, v4, 0x3020104
	s_wait_loadcnt 0x0
	v_and_b32_e32 v5, 1, v5
	s_delay_alu instid0(VALU_DEP_1) | instskip(SKIP_3) | instid1(VALU_DEP_1)
	v_cmp_eq_u32_e32 vcc_lo, 1, v5
	s_xor_b32 s1, vcc_lo, -1
	s_wait_alu 0xfffe
	v_cndmask_b32_e64 v5, 0, 1, s1
	v_lshlrev_b16 v5, 8, v5
	s_delay_alu instid0(VALU_DEP_1) | instskip(NEXT) | instid1(VALU_DEP_1)
	v_or_b32_e32 v5, v6, v5
	v_and_b32_e32 v5, 0xffff, v5
	s_delay_alu instid0(VALU_DEP_1)
	v_lshl_or_b32 v3, v3, 16, v5
.LBB2394_37:
	s_wait_alu 0xfffe
	s_or_b32 exec_lo, exec_lo, s0
	v_add_nc_u32_e32 v5, 0x900, v0
	s_mov_b32 s0, exec_lo
	s_delay_alu instid0(VALU_DEP_1)
	v_cmpx_gt_u32_e64 s21, v5
	s_cbranch_execz .LBB2394_39
; %bb.38:
	global_load_u8 v5, v0, s[10:11] offset:2304
	v_lshrrev_b32_e32 v6, 8, v3
	v_and_b32_e32 v3, 0xff, v3
	v_perm_b32 v4, v4, v4, 0x3020104
	s_delay_alu instid0(VALU_DEP_3) | instskip(NEXT) | instid1(VALU_DEP_1)
	v_lshlrev_b16 v6, 8, v6
	v_or_b32_e32 v3, v3, v6
	s_delay_alu instid0(VALU_DEP_1) | instskip(SKIP_2) | instid1(VALU_DEP_1)
	v_and_b32_e32 v3, 0xffff, v3
	s_wait_loadcnt 0x0
	v_and_b32_e32 v5, 1, v5
	v_cmp_eq_u32_e32 vcc_lo, 1, v5
	s_xor_b32 s1, vcc_lo, -1
	s_wait_alu 0xfffe
	v_cndmask_b32_e64 v5, 0, 1, s1
	s_delay_alu instid0(VALU_DEP_1)
	v_lshl_or_b32 v3, v5, 16, v3
.LBB2394_39:
	s_wait_alu 0xfffe
	s_or_b32 exec_lo, exec_lo, s0
	v_lshrrev_b32_e32 v5, 8, v4
	v_lshrrev_b32_e32 v6, 24, v4
	;; [unrolled: 1-line block ×3, first 2 shown]
	ds_store_b8 v0, v2
	ds_store_b8 v0, v5 offset:384
	ds_store_b8_d16_hi v0, v4 offset:768
	ds_store_b8 v0, v6 offset:1152
	ds_store_b8 v0, v3 offset:1536
	;; [unrolled: 1-line block ×3, first 2 shown]
	ds_store_b8_d16_hi v0, v3 offset:2304
	s_wait_loadcnt_dscnt 0x0
	s_barrier_signal -1
	s_barrier_wait -1
.LBB2394_40:
	v_mad_i32_i24 v32, 0xffffffeb, v0, v1
	s_wait_loadcnt 0x0
	global_inv scope:SCOPE_SE
	v_mbcnt_lo_u32_b32 v31, -1, 0
	s_cmp_lg_u32 s20, 0
	s_mov_b32 s1, -1
	ds_load_u8 v1, v32
	ds_load_u8 v2, v32 offset:1
	ds_load_u8 v3, v32 offset:2
	;; [unrolled: 1-line block ×6, first 2 shown]
	s_wait_loadcnt_dscnt 0x0
	v_and_b32_e32 v41, 15, v31
	s_barrier_signal -1
	s_barrier_wait -1
	global_inv scope:SCOPE_SE
	v_and_b32_e32 v40, 1, v1
	v_dual_mov_b32 v2, 0 :: v_dual_and_b32 v39, 1, v2
	v_and_b32_e32 v37, 1, v3
	v_and_b32_e32 v36, 1, v4
	v_and_b32_e32 v38, 1, v5
	v_and_b32_e32 v35, 1, v6
	v_and_b32_e32 v34, 1, v7
	v_add3_u32 v1, v39, v40, v37
	s_delay_alu instid0(VALU_DEP_1) | instskip(SKIP_3) | instid1(VALU_DEP_3)
	v_add_co_u32 v1, s0, v1, v36
	s_wait_alu 0xf1ff
	v_add_co_ci_u32_e64 v3, null, 0, 0, s0
	v_cmp_ne_u32_e64 s0, 0, v41
	v_add_co_u32 v1, vcc_lo, v1, v38
	s_delay_alu instid0(VALU_DEP_1) | instskip(NEXT) | instid1(VALU_DEP_2)
	v_add_co_ci_u32_e64 v3, null, 0, v3, vcc_lo
	v_add_co_u32 v1, vcc_lo, v1, v35
	s_wait_alu 0xfffd
	s_delay_alu instid0(VALU_DEP_2) | instskip(NEXT) | instid1(VALU_DEP_2)
	v_add_co_ci_u32_e64 v3, null, 0, v3, vcc_lo
	v_add_co_u32 v17, vcc_lo, v1, v34
	s_wait_alu 0xfffd
	s_delay_alu instid0(VALU_DEP_2)
	v_add_co_ci_u32_e64 v18, null, 0, v3, vcc_lo
	s_cbranch_scc0 .LBB2394_99
; %bb.41:
	v_mov_b32_e32 v3, v17
	v_mov_b32_dpp v1, v17 row_shr:1 row_mask:0xf bank_mask:0xf
	v_mov_b32_dpp v6, v2 row_shr:1 row_mask:0xf bank_mask:0xf
	v_dual_mov_b32 v5, v17 :: v_dual_mov_b32 v4, v18
	s_and_saveexec_b32 s1, s0
; %bb.42:
	s_delay_alu instid0(VALU_DEP_3) | instskip(SKIP_2) | instid1(VALU_DEP_2)
	v_add_co_u32 v5, vcc_lo, v17, v1
	s_wait_alu 0xfffd
	v_add_co_ci_u32_e64 v2, null, 0, v18, vcc_lo
	v_add_co_u32 v1, vcc_lo, 0, v5
	s_wait_alu 0xfffd
	s_delay_alu instid0(VALU_DEP_2) | instskip(NEXT) | instid1(VALU_DEP_1)
	v_add_co_ci_u32_e64 v2, null, v6, v2, vcc_lo
	v_dual_mov_b32 v4, v2 :: v_dual_mov_b32 v3, v1
; %bb.43:
	s_wait_alu 0xfffe
	s_or_b32 exec_lo, exec_lo, s1
	v_mov_b32_dpp v1, v5 row_shr:2 row_mask:0xf bank_mask:0xf
	v_mov_b32_dpp v6, v2 row_shr:2 row_mask:0xf bank_mask:0xf
	v_cmp_lt_u32_e32 vcc_lo, 1, v41
	s_and_saveexec_b32 s3, vcc_lo
; %bb.44:
	s_delay_alu instid0(VALU_DEP_3) | instskip(SKIP_2) | instid1(VALU_DEP_2)
	v_add_co_u32 v5, s1, v3, v1
	s_wait_alu 0xf1ff
	v_add_co_ci_u32_e64 v2, null, 0, v4, s1
	v_add_co_u32 v1, s1, 0, v5
	s_wait_alu 0xf1ff
	s_delay_alu instid0(VALU_DEP_2) | instskip(NEXT) | instid1(VALU_DEP_1)
	v_add_co_ci_u32_e64 v2, null, v6, v2, s1
	v_dual_mov_b32 v4, v2 :: v_dual_mov_b32 v3, v1
; %bb.45:
	s_wait_alu 0xfffe
	s_or_b32 exec_lo, exec_lo, s3
	v_mov_b32_dpp v1, v5 row_shr:4 row_mask:0xf bank_mask:0xf
	v_mov_b32_dpp v6, v2 row_shr:4 row_mask:0xf bank_mask:0xf
	v_cmp_lt_u32_e64 s1, 3, v41
	s_and_saveexec_b32 s4, s1
; %bb.46:
	v_add_co_u32 v5, s3, v3, v1
	s_wait_alu 0xf1ff
	v_add_co_ci_u32_e64 v2, null, 0, v4, s3
	s_delay_alu instid0(VALU_DEP_2) | instskip(SKIP_1) | instid1(VALU_DEP_2)
	v_add_co_u32 v1, s3, 0, v5
	s_wait_alu 0xf1ff
	v_add_co_ci_u32_e64 v2, null, v6, v2, s3
	s_delay_alu instid0(VALU_DEP_1)
	v_dual_mov_b32 v4, v2 :: v_dual_mov_b32 v3, v1
; %bb.47:
	s_wait_alu 0xfffe
	s_or_b32 exec_lo, exec_lo, s4
	v_mov_b32_dpp v6, v5 row_shr:8 row_mask:0xf bank_mask:0xf
	v_mov_b32_dpp v1, v2 row_shr:8 row_mask:0xf bank_mask:0xf
	v_cmp_lt_u32_e64 s3, 7, v41
	s_and_saveexec_b32 s5, s3
; %bb.48:
	v_add_co_u32 v5, s4, v3, v6
	s_wait_alu 0xf1ff
	v_add_co_ci_u32_e64 v2, null, 0, v4, s4
	s_delay_alu instid0(VALU_DEP_2) | instskip(SKIP_1) | instid1(VALU_DEP_2)
	v_add_co_u32 v3, s4, 0, v5
	s_wait_alu 0xf1ff
	v_add_co_ci_u32_e64 v4, null, v1, v2, s4
	s_delay_alu instid0(VALU_DEP_1)
	v_mov_b32_e32 v2, v4
; %bb.49:
	s_wait_alu 0xfffe
	s_or_b32 exec_lo, exec_lo, s5
	ds_swizzle_b32 v1, v5 offset:swizzle(BROADCAST,32,15)
	ds_swizzle_b32 v6, v2 offset:swizzle(BROADCAST,32,15)
	v_and_b32_e32 v7, 16, v31
	s_mov_b32 s5, exec_lo
	s_delay_alu instid0(VALU_DEP_1)
	v_cmpx_ne_u32_e32 0, v7
	s_cbranch_execz .LBB2394_51
; %bb.50:
	s_wait_dscnt 0x1
	v_add_co_u32 v5, s4, v3, v1
	s_wait_alu 0xf1ff
	v_add_co_ci_u32_e64 v2, null, 0, v4, s4
	s_delay_alu instid0(VALU_DEP_2) | instskip(SKIP_2) | instid1(VALU_DEP_2)
	v_add_co_u32 v1, s4, 0, v5
	s_wait_dscnt 0x0
	s_wait_alu 0xf1ff
	v_add_co_ci_u32_e64 v2, null, v6, v2, s4
	s_delay_alu instid0(VALU_DEP_1)
	v_dual_mov_b32 v4, v2 :: v_dual_mov_b32 v3, v1
.LBB2394_51:
	s_wait_alu 0xfffe
	s_or_b32 exec_lo, exec_lo, s5
	s_wait_dscnt 0x1
	v_and_b32_e32 v1, 0x1e0, v0
	s_mov_b32 s5, exec_lo
	s_delay_alu instid0(VALU_DEP_1) | instskip(SKIP_1) | instid1(VALU_DEP_1)
	v_min_u32_e32 v1, 0x160, v1
	s_wait_dscnt 0x0
	v_or_b32_e32 v6, 31, v1
	v_lshrrev_b32_e32 v1, 5, v0
	s_delay_alu instid0(VALU_DEP_2)
	v_cmpx_eq_u32_e64 v0, v6
; %bb.52:
	s_delay_alu instid0(VALU_DEP_2)
	v_lshlrev_b32_e32 v6, 3, v1
	ds_store_b64 v6, v[3:4]
; %bb.53:
	s_wait_alu 0xfffe
	s_or_b32 exec_lo, exec_lo, s5
	s_delay_alu instid0(SALU_CYCLE_1)
	s_mov_b32 s5, exec_lo
	s_wait_loadcnt_dscnt 0x0
	s_barrier_signal -1
	s_barrier_wait -1
	global_inv scope:SCOPE_SE
	v_cmpx_gt_u32_e32 12, v0
	s_cbranch_execz .LBB2394_63
; %bb.54:
	v_lshlrev_b32_e32 v6, 3, v0
	ds_load_b64 v[3:4], v6
	s_wait_dscnt 0x0
	v_mov_b32_dpp v19, v3 row_shr:1 row_mask:0xf bank_mask:0xf
	v_mov_b32_dpp v8, v4 row_shr:1 row_mask:0xf bank_mask:0xf
	v_mov_b32_e32 v7, v3
	s_and_saveexec_b32 s6, s0
; %bb.55:
	s_delay_alu instid0(VALU_DEP_3) | instskip(SKIP_2) | instid1(VALU_DEP_2)
	v_add_co_u32 v7, s4, v3, v19
	s_wait_alu 0xf1ff
	v_add_co_ci_u32_e64 v4, null, 0, v4, s4
	v_add_co_u32 v3, s4, 0, v7
	s_wait_alu 0xf1ff
	s_delay_alu instid0(VALU_DEP_2)
	v_add_co_ci_u32_e64 v4, null, v8, v4, s4
; %bb.56:
	s_or_b32 exec_lo, exec_lo, s6
	v_mov_b32_dpp v19, v7 row_shr:2 row_mask:0xf bank_mask:0xf
	s_delay_alu instid0(VALU_DEP_2)
	v_mov_b32_dpp v8, v4 row_shr:2 row_mask:0xf bank_mask:0xf
	s_and_saveexec_b32 s4, vcc_lo
; %bb.57:
	s_delay_alu instid0(VALU_DEP_2) | instskip(SKIP_2) | instid1(VALU_DEP_2)
	v_add_co_u32 v7, vcc_lo, v3, v19
	s_wait_alu 0xfffd
	v_add_co_ci_u32_e64 v4, null, 0, v4, vcc_lo
	v_add_co_u32 v3, vcc_lo, 0, v7
	s_wait_alu 0xfffd
	s_delay_alu instid0(VALU_DEP_2)
	v_add_co_ci_u32_e64 v4, null, v8, v4, vcc_lo
; %bb.58:
	s_wait_alu 0xfffe
	s_or_b32 exec_lo, exec_lo, s4
	v_mov_b32_dpp v19, v7 row_shr:4 row_mask:0xf bank_mask:0xf
	s_delay_alu instid0(VALU_DEP_2)
	v_mov_b32_dpp v8, v4 row_shr:4 row_mask:0xf bank_mask:0xf
	s_and_saveexec_b32 s4, s1
; %bb.59:
	s_delay_alu instid0(VALU_DEP_2) | instskip(SKIP_2) | instid1(VALU_DEP_2)
	v_add_co_u32 v7, vcc_lo, v3, v19
	s_wait_alu 0xfffd
	v_add_co_ci_u32_e64 v4, null, 0, v4, vcc_lo
	v_add_co_u32 v3, vcc_lo, 0, v7
	s_wait_alu 0xfffd
	s_delay_alu instid0(VALU_DEP_2)
	v_add_co_ci_u32_e64 v4, null, v8, v4, vcc_lo
; %bb.60:
	s_wait_alu 0xfffe
	s_or_b32 exec_lo, exec_lo, s4
	v_mov_b32_dpp v8, v7 row_shr:8 row_mask:0xf bank_mask:0xf
	s_delay_alu instid0(VALU_DEP_2)
	v_mov_b32_dpp v7, v4 row_shr:8 row_mask:0xf bank_mask:0xf
	s_and_saveexec_b32 s1, s3
; %bb.61:
	s_delay_alu instid0(VALU_DEP_2) | instskip(SKIP_2) | instid1(VALU_DEP_2)
	v_add_co_u32 v3, vcc_lo, v3, v8
	s_wait_alu 0xfffd
	v_add_co_ci_u32_e64 v4, null, 0, v4, vcc_lo
	v_add_co_u32 v3, vcc_lo, v3, 0
	s_wait_alu 0xfffd
	s_delay_alu instid0(VALU_DEP_2)
	v_add_co_ci_u32_e64 v4, null, v4, v7, vcc_lo
; %bb.62:
	s_wait_alu 0xfffe
	s_or_b32 exec_lo, exec_lo, s1
	ds_store_b64 v6, v[3:4]
.LBB2394_63:
	s_wait_alu 0xfffe
	s_or_b32 exec_lo, exec_lo, s5
	s_delay_alu instid0(SALU_CYCLE_1)
	s_mov_b32 s3, exec_lo
	v_cmp_gt_u32_e32 vcc_lo, 32, v0
	s_wait_loadcnt_dscnt 0x0
	s_barrier_signal -1
	s_barrier_wait -1
	global_inv scope:SCOPE_SE
                                        ; implicit-def: $vgpr19_vgpr20
	v_cmpx_lt_u32_e32 31, v0
	s_cbranch_execz .LBB2394_65
; %bb.64:
	v_lshl_add_u32 v1, v1, 3, -8
	ds_load_b64 v[19:20], v1
	s_wait_dscnt 0x0
	v_add_co_u32 v5, s1, v5, v19
	s_wait_alu 0xf1ff
	v_add_co_ci_u32_e64 v2, null, v2, v20, s1
.LBB2394_65:
	s_wait_alu 0xfffe
	s_or_b32 exec_lo, exec_lo, s3
	v_sub_co_u32 v1, s1, v31, 1
	s_delay_alu instid0(VALU_DEP_1) | instskip(SKIP_1) | instid1(VALU_DEP_1)
	v_cmp_gt_i32_e64 s3, 0, v1
	s_wait_alu 0xf1ff
	v_cndmask_b32_e64 v1, v1, v31, s3
	s_delay_alu instid0(VALU_DEP_1)
	v_lshlrev_b32_e32 v1, 2, v1
	ds_bpermute_b32 v25, v1, v5
	ds_bpermute_b32 v26, v1, v2
	s_and_saveexec_b32 s3, vcc_lo
	s_cbranch_execz .LBB2394_104
; %bb.66:
	v_mov_b32_e32 v4, 0
	ds_load_b64 v[1:2], v4 offset:88
	s_and_saveexec_b32 s4, s1
	s_cbranch_execz .LBB2394_68
; %bb.67:
	s_add_co_i32 s6, s20, 32
	s_mov_b32 s7, 0
	s_delay_alu instid0(SALU_CYCLE_1) | instskip(NEXT) | instid1(SALU_CYCLE_1)
	s_lshl_b64 s[6:7], s[6:7], 4
	s_add_nc_u64 s[6:7], s[14:15], s[6:7]
	v_mov_b32_e32 v3, 1
	v_dual_mov_b32 v5, s6 :: v_dual_mov_b32 v6, s7
	s_wait_dscnt 0x0
	;;#ASMSTART
	global_store_b128 v[5:6], v[1:4] off scope:SCOPE_DEV	
s_wait_storecnt 0x0
	;;#ASMEND
.LBB2394_68:
	s_wait_alu 0xfffe
	s_or_b32 exec_lo, exec_lo, s4
	v_xad_u32 v21, v31, -1, s20
	s_mov_b32 s5, 0
	s_mov_b32 s4, exec_lo
	s_delay_alu instid0(VALU_DEP_1) | instskip(NEXT) | instid1(VALU_DEP_1)
	v_add_nc_u32_e32 v3, 32, v21
	v_lshlrev_b64_e32 v[3:4], 4, v[3:4]
	s_delay_alu instid0(VALU_DEP_1) | instskip(SKIP_1) | instid1(VALU_DEP_2)
	v_add_co_u32 v3, vcc_lo, s14, v3
	s_wait_alu 0xfffd
	v_add_co_ci_u32_e64 v4, null, s15, v4, vcc_lo
	;;#ASMSTART
	global_load_b128 v[5:8], v[3:4] off scope:SCOPE_DEV	
s_wait_loadcnt 0x0
	;;#ASMEND
	v_and_b32_e32 v8, 0xff, v7
	s_delay_alu instid0(VALU_DEP_1)
	v_cmpx_eq_u16_e32 0, v8
	s_cbranch_execz .LBB2394_71
.LBB2394_69:                            ; =>This Inner Loop Header: Depth=1
	;;#ASMSTART
	global_load_b128 v[5:8], v[3:4] off scope:SCOPE_DEV	
s_wait_loadcnt 0x0
	;;#ASMEND
	v_and_b32_e32 v8, 0xff, v7
	s_delay_alu instid0(VALU_DEP_1)
	v_cmp_ne_u16_e32 vcc_lo, 0, v8
	s_wait_alu 0xfffe
	s_or_b32 s5, vcc_lo, s5
	s_wait_alu 0xfffe
	s_and_not1_b32 exec_lo, exec_lo, s5
	s_cbranch_execnz .LBB2394_69
; %bb.70:
	s_or_b32 exec_lo, exec_lo, s5
.LBB2394_71:
	s_wait_alu 0xfffe
	s_or_b32 exec_lo, exec_lo, s4
	v_cmp_ne_u32_e32 vcc_lo, 31, v31
	v_and_b32_e32 v4, 0xff, v7
	v_lshlrev_b32_e64 v28, v31, -1
	s_mov_b32 s4, exec_lo
	s_wait_alu 0xfffd
	v_add_co_ci_u32_e64 v3, null, 0, v31, vcc_lo
	v_cmp_eq_u16_e32 vcc_lo, 2, v4
	s_delay_alu instid0(VALU_DEP_2)
	v_dual_mov_b32 v4, v5 :: v_dual_lshlrev_b32 v27, 2, v3
	s_wait_alu 0xfffd
	v_and_or_b32 v3, vcc_lo, v28, 0x80000000
	ds_bpermute_b32 v22, v27, v5
	ds_bpermute_b32 v8, v27, v6
	v_ctz_i32_b32_e32 v3, v3
	s_delay_alu instid0(VALU_DEP_1)
	v_cmpx_lt_u32_e64 v31, v3
	s_cbranch_execz .LBB2394_73
; %bb.72:
	s_wait_dscnt 0x1
	v_add_co_u32 v4, vcc_lo, v5, v22
	s_wait_alu 0xfffd
	v_add_co_ci_u32_e64 v6, null, 0, v6, vcc_lo
	s_delay_alu instid0(VALU_DEP_2) | instskip(SKIP_2) | instid1(VALU_DEP_2)
	v_add_co_u32 v5, vcc_lo, 0, v4
	s_wait_dscnt 0x0
	s_wait_alu 0xfffd
	v_add_co_ci_u32_e64 v6, null, v8, v6, vcc_lo
.LBB2394_73:
	s_wait_alu 0xfffe
	s_or_b32 exec_lo, exec_lo, s4
	v_cmp_gt_u32_e32 vcc_lo, 30, v31
	v_add_nc_u32_e32 v30, 2, v31
	s_mov_b32 s4, exec_lo
	s_wait_dscnt 0x0
	s_wait_alu 0xfffd
	v_cndmask_b32_e64 v8, 0, 2, vcc_lo
	s_delay_alu instid0(VALU_DEP_1)
	v_add_lshl_u32 v29, v8, v31, 2
	ds_bpermute_b32 v22, v29, v4
	ds_bpermute_b32 v8, v29, v6
	v_cmpx_le_u32_e64 v30, v3
	s_cbranch_execz .LBB2394_75
; %bb.74:
	s_wait_dscnt 0x1
	v_add_co_u32 v4, vcc_lo, v5, v22
	s_wait_alu 0xfffd
	v_add_co_ci_u32_e64 v6, null, 0, v6, vcc_lo
	s_delay_alu instid0(VALU_DEP_2) | instskip(SKIP_2) | instid1(VALU_DEP_2)
	v_add_co_u32 v5, vcc_lo, 0, v4
	s_wait_dscnt 0x0
	s_wait_alu 0xfffd
	v_add_co_ci_u32_e64 v6, null, v8, v6, vcc_lo
.LBB2394_75:
	s_wait_alu 0xfffe
	s_or_b32 exec_lo, exec_lo, s4
	v_cmp_gt_u32_e32 vcc_lo, 28, v31
	v_add_nc_u32_e32 v43, 4, v31
	s_mov_b32 s4, exec_lo
	s_wait_dscnt 0x0
	s_wait_alu 0xfffd
	v_cndmask_b32_e64 v8, 0, 4, vcc_lo
	s_delay_alu instid0(VALU_DEP_1)
	v_add_lshl_u32 v42, v8, v31, 2
	ds_bpermute_b32 v22, v42, v4
	ds_bpermute_b32 v8, v42, v6
	v_cmpx_le_u32_e64 v43, v3
	;; [unrolled: 25-line block ×3, first 2 shown]
	s_cbranch_execz .LBB2394_79
; %bb.78:
	s_wait_dscnt 0x1
	v_add_co_u32 v4, vcc_lo, v5, v22
	s_wait_alu 0xfffd
	v_add_co_ci_u32_e64 v6, null, 0, v6, vcc_lo
	s_delay_alu instid0(VALU_DEP_2) | instskip(SKIP_2) | instid1(VALU_DEP_2)
	v_add_co_u32 v5, vcc_lo, 0, v4
	s_wait_dscnt 0x0
	s_wait_alu 0xfffd
	v_add_co_ci_u32_e64 v6, null, v8, v6, vcc_lo
.LBB2394_79:
	s_wait_alu 0xfffe
	s_or_b32 exec_lo, exec_lo, s4
	v_lshl_or_b32 v46, v31, 2, 64
	v_add_nc_u32_e32 v47, 16, v31
	s_mov_b32 s4, exec_lo
	s_wait_dscnt 0x0
	ds_bpermute_b32 v8, v46, v4
	ds_bpermute_b32 v4, v46, v6
	v_cmpx_le_u32_e64 v47, v3
	s_cbranch_execz .LBB2394_81
; %bb.80:
	s_wait_dscnt 0x1
	v_add_co_u32 v3, vcc_lo, v5, v8
	s_wait_alu 0xfffd
	v_add_co_ci_u32_e64 v6, null, 0, v6, vcc_lo
	s_delay_alu instid0(VALU_DEP_2) | instskip(SKIP_2) | instid1(VALU_DEP_2)
	v_add_co_u32 v5, vcc_lo, v3, 0
	s_wait_dscnt 0x0
	s_wait_alu 0xfffd
	v_add_co_ci_u32_e64 v6, null, v6, v4, vcc_lo
.LBB2394_81:
	s_wait_alu 0xfffe
	s_or_b32 exec_lo, exec_lo, s4
	v_mov_b32_e32 v22, 0
	s_branch .LBB2394_84
.LBB2394_82:                            ;   in Loop: Header=BB2394_84 Depth=1
	s_wait_alu 0xfffe
	s_or_b32 exec_lo, exec_lo, s4
	v_add_co_u32 v5, vcc_lo, v5, v3
	v_subrev_nc_u32_e32 v21, 32, v21
	s_wait_alu 0xfffd
	v_add_co_ci_u32_e64 v6, null, v6, v4, vcc_lo
	s_mov_b32 s4, 0
.LBB2394_83:                            ;   in Loop: Header=BB2394_84 Depth=1
	s_wait_alu 0xfffe
	s_and_b32 vcc_lo, exec_lo, s4
	s_wait_alu 0xfffe
	s_cbranch_vccnz .LBB2394_100
.LBB2394_84:                            ; =>This Loop Header: Depth=1
                                        ;     Child Loop BB2394_87 Depth 2
	v_and_b32_e32 v3, 0xff, v7
	s_mov_b32 s4, -1
	s_delay_alu instid0(VALU_DEP_1)
	v_cmp_ne_u16_e32 vcc_lo, 2, v3
	s_wait_dscnt 0x0
	v_dual_mov_b32 v3, v5 :: v_dual_mov_b32 v4, v6
                                        ; implicit-def: $vgpr5_vgpr6
	s_cmp_lg_u32 vcc_lo, exec_lo
	s_cbranch_scc1 .LBB2394_83
; %bb.85:                               ;   in Loop: Header=BB2394_84 Depth=1
	v_lshlrev_b64_e32 v[5:6], 4, v[21:22]
	s_mov_b32 s4, exec_lo
	s_delay_alu instid0(VALU_DEP_1) | instskip(SKIP_1) | instid1(VALU_DEP_2)
	v_add_co_u32 v23, vcc_lo, s14, v5
	s_wait_alu 0xfffd
	v_add_co_ci_u32_e64 v24, null, s15, v6, vcc_lo
	;;#ASMSTART
	global_load_b128 v[5:8], v[23:24] off scope:SCOPE_DEV	
s_wait_loadcnt 0x0
	;;#ASMEND
	v_and_b32_e32 v8, 0xff, v7
	s_delay_alu instid0(VALU_DEP_1)
	v_cmpx_eq_u16_e32 0, v8
	s_cbranch_execz .LBB2394_89
; %bb.86:                               ;   in Loop: Header=BB2394_84 Depth=1
	s_mov_b32 s5, 0
.LBB2394_87:                            ;   Parent Loop BB2394_84 Depth=1
                                        ; =>  This Inner Loop Header: Depth=2
	;;#ASMSTART
	global_load_b128 v[5:8], v[23:24] off scope:SCOPE_DEV	
s_wait_loadcnt 0x0
	;;#ASMEND
	v_and_b32_e32 v8, 0xff, v7
	s_delay_alu instid0(VALU_DEP_1)
	v_cmp_ne_u16_e32 vcc_lo, 0, v8
	s_wait_alu 0xfffe
	s_or_b32 s5, vcc_lo, s5
	s_wait_alu 0xfffe
	s_and_not1_b32 exec_lo, exec_lo, s5
	s_cbranch_execnz .LBB2394_87
; %bb.88:                               ;   in Loop: Header=BB2394_84 Depth=1
	s_or_b32 exec_lo, exec_lo, s5
.LBB2394_89:                            ;   in Loop: Header=BB2394_84 Depth=1
	s_wait_alu 0xfffe
	s_or_b32 exec_lo, exec_lo, s4
	v_dual_mov_b32 v23, v5 :: v_dual_and_b32 v8, 0xff, v7
	ds_bpermute_b32 v48, v27, v5
	ds_bpermute_b32 v24, v27, v6
	s_mov_b32 s4, exec_lo
	v_cmp_eq_u16_e32 vcc_lo, 2, v8
	s_wait_alu 0xfffd
	v_and_or_b32 v8, vcc_lo, v28, 0x80000000
	s_delay_alu instid0(VALU_DEP_1) | instskip(NEXT) | instid1(VALU_DEP_1)
	v_ctz_i32_b32_e32 v8, v8
	v_cmpx_lt_u32_e64 v31, v8
	s_cbranch_execz .LBB2394_91
; %bb.90:                               ;   in Loop: Header=BB2394_84 Depth=1
	s_wait_dscnt 0x1
	v_add_co_u32 v23, vcc_lo, v5, v48
	s_wait_alu 0xfffd
	v_add_co_ci_u32_e64 v6, null, 0, v6, vcc_lo
	s_delay_alu instid0(VALU_DEP_2) | instskip(SKIP_2) | instid1(VALU_DEP_2)
	v_add_co_u32 v5, vcc_lo, 0, v23
	s_wait_dscnt 0x0
	s_wait_alu 0xfffd
	v_add_co_ci_u32_e64 v6, null, v24, v6, vcc_lo
.LBB2394_91:                            ;   in Loop: Header=BB2394_84 Depth=1
	s_wait_alu 0xfffe
	s_or_b32 exec_lo, exec_lo, s4
	s_wait_dscnt 0x1
	ds_bpermute_b32 v48, v29, v23
	s_wait_dscnt 0x1
	ds_bpermute_b32 v24, v29, v6
	s_mov_b32 s4, exec_lo
	v_cmpx_le_u32_e64 v30, v8
	s_cbranch_execz .LBB2394_93
; %bb.92:                               ;   in Loop: Header=BB2394_84 Depth=1
	s_wait_dscnt 0x1
	v_add_co_u32 v23, vcc_lo, v5, v48
	s_wait_alu 0xfffd
	v_add_co_ci_u32_e64 v6, null, 0, v6, vcc_lo
	s_delay_alu instid0(VALU_DEP_2) | instskip(SKIP_2) | instid1(VALU_DEP_2)
	v_add_co_u32 v5, vcc_lo, 0, v23
	s_wait_dscnt 0x0
	s_wait_alu 0xfffd
	v_add_co_ci_u32_e64 v6, null, v24, v6, vcc_lo
.LBB2394_93:                            ;   in Loop: Header=BB2394_84 Depth=1
	s_wait_alu 0xfffe
	s_or_b32 exec_lo, exec_lo, s4
	s_wait_dscnt 0x1
	ds_bpermute_b32 v48, v42, v23
	s_wait_dscnt 0x1
	ds_bpermute_b32 v24, v42, v6
	s_mov_b32 s4, exec_lo
	v_cmpx_le_u32_e64 v43, v8
	;; [unrolled: 20-line block ×3, first 2 shown]
	s_cbranch_execz .LBB2394_97
; %bb.96:                               ;   in Loop: Header=BB2394_84 Depth=1
	s_wait_dscnt 0x1
	v_add_co_u32 v23, vcc_lo, v5, v48
	s_wait_alu 0xfffd
	v_add_co_ci_u32_e64 v6, null, 0, v6, vcc_lo
	s_delay_alu instid0(VALU_DEP_2) | instskip(SKIP_2) | instid1(VALU_DEP_2)
	v_add_co_u32 v5, vcc_lo, 0, v23
	s_wait_dscnt 0x0
	s_wait_alu 0xfffd
	v_add_co_ci_u32_e64 v6, null, v24, v6, vcc_lo
.LBB2394_97:                            ;   in Loop: Header=BB2394_84 Depth=1
	s_wait_alu 0xfffe
	s_or_b32 exec_lo, exec_lo, s4
	s_wait_dscnt 0x0
	ds_bpermute_b32 v24, v46, v23
	ds_bpermute_b32 v23, v46, v6
	s_mov_b32 s4, exec_lo
	v_cmpx_le_u32_e64 v47, v8
	s_cbranch_execz .LBB2394_82
; %bb.98:                               ;   in Loop: Header=BB2394_84 Depth=1
	s_wait_dscnt 0x1
	v_add_co_u32 v5, vcc_lo, v5, v24
	s_wait_alu 0xfffd
	v_add_co_ci_u32_e64 v6, null, 0, v6, vcc_lo
	s_delay_alu instid0(VALU_DEP_2) | instskip(SKIP_2) | instid1(VALU_DEP_2)
	v_add_co_u32 v5, vcc_lo, v5, 0
	s_wait_dscnt 0x0
	s_wait_alu 0xfffd
	v_add_co_ci_u32_e64 v6, null, v6, v23, vcc_lo
	s_branch .LBB2394_82
.LBB2394_99:
                                        ; implicit-def: $vgpr19_vgpr20
                                        ; implicit-def: $vgpr6_vgpr7
                                        ; implicit-def: $vgpr21_vgpr22
                                        ; implicit-def: $vgpr23_vgpr24
                                        ; implicit-def: $vgpr25_vgpr26
                                        ; implicit-def: $vgpr27_vgpr28
                                        ; implicit-def: $vgpr29_vgpr30
                                        ; implicit-def: $vgpr4_vgpr5
	s_wait_alu 0xfffe
	s_and_b32 vcc_lo, exec_lo, s1
	s_wait_alu 0xfffe
	s_cbranch_vccnz .LBB2394_105
	s_branch .LBB2394_132
.LBB2394_100:
	s_and_saveexec_b32 s4, s1
	s_cbranch_execz .LBB2394_102
; %bb.101:
	s_add_co_i32 s6, s20, 32
	s_mov_b32 s7, 0
	v_add_co_u32 v5, vcc_lo, v3, v1
	s_wait_alu 0xfffe
	s_lshl_b64 s[6:7], s[6:7], 4
	v_dual_mov_b32 v7, 2 :: v_dual_mov_b32 v8, 0
	s_wait_alu 0xfffe
	s_add_nc_u64 s[6:7], s[14:15], s[6:7]
	s_wait_alu 0xfffd
	v_add_co_ci_u32_e64 v6, null, v4, v2, vcc_lo
	s_wait_alu 0xfffe
	v_dual_mov_b32 v22, s7 :: v_dual_mov_b32 v21, s6
	;;#ASMSTART
	global_store_b128 v[21:22], v[5:8] off scope:SCOPE_DEV	
s_wait_storecnt 0x0
	;;#ASMEND
	ds_store_b128 v8, v[1:4] offset:10752
.LBB2394_102:
	s_wait_alu 0xfffe
	s_or_b32 exec_lo, exec_lo, s4
	s_delay_alu instid0(SALU_CYCLE_1)
	s_and_b32 exec_lo, exec_lo, s2
; %bb.103:
	v_mov_b32_e32 v1, 0
	ds_store_b64 v1, v[3:4] offset:88
.LBB2394_104:
	s_wait_alu 0xfffe
	s_or_b32 exec_lo, exec_lo, s3
	v_mov_b32_e32 v3, 0
	s_wait_loadcnt_dscnt 0x0
	s_barrier_signal -1
	s_barrier_wait -1
	global_inv scope:SCOPE_SE
	ds_load_b64 v[1:2], v3 offset:88
	v_cndmask_b32_e64 v4, v25, v19, s1
	v_cndmask_b32_e64 v5, v26, v20, s1
	s_wait_loadcnt_dscnt 0x0
	s_barrier_signal -1
	s_barrier_wait -1
	v_cndmask_b32_e64 v4, v4, 0, s2
	v_cndmask_b32_e64 v5, v5, 0, s2
	global_inv scope:SCOPE_SE
	v_add_co_u32 v29, vcc_lo, v1, v4
	s_wait_alu 0xfffd
	v_add_co_ci_u32_e64 v30, null, v2, v5, vcc_lo
	ds_load_b128 v[2:5], v3 offset:10752
	v_add_co_u32 v27, vcc_lo, v29, v40
	s_wait_alu 0xfffd
	v_add_co_ci_u32_e64 v28, null, 0, v30, vcc_lo
	s_delay_alu instid0(VALU_DEP_2) | instskip(SKIP_1) | instid1(VALU_DEP_2)
	v_add_co_u32 v25, vcc_lo, v27, v39
	s_wait_alu 0xfffd
	v_add_co_ci_u32_e64 v26, null, 0, v28, vcc_lo
	s_delay_alu instid0(VALU_DEP_2) | instskip(SKIP_1) | instid1(VALU_DEP_2)
	;; [unrolled: 4-line block ×5, first 2 shown]
	v_add_co_u32 v19, vcc_lo, v6, v35
	s_wait_alu 0xfffd
	v_add_co_ci_u32_e64 v20, null, 0, v7, vcc_lo
	s_branch .LBB2394_132
.LBB2394_105:
	s_wait_dscnt 0x0
	v_dual_mov_b32 v2, 0 :: v_dual_mov_b32 v3, v17
	v_mov_b32_dpp v4, v17 row_shr:1 row_mask:0xf bank_mask:0xf
	s_delay_alu instid0(VALU_DEP_2)
	v_mov_b32_dpp v1, v2 row_shr:1 row_mask:0xf bank_mask:0xf
	s_and_saveexec_b32 s1, s0
; %bb.106:
	s_delay_alu instid0(VALU_DEP_2) | instskip(SKIP_2) | instid1(VALU_DEP_2)
	v_add_co_u32 v3, vcc_lo, v17, v4
	s_wait_alu 0xfffd
	v_add_co_ci_u32_e64 v2, null, 0, v18, vcc_lo
	v_add_co_u32 v17, vcc_lo, 0, v3
	s_wait_alu 0xfffd
	s_delay_alu instid0(VALU_DEP_2) | instskip(NEXT) | instid1(VALU_DEP_1)
	v_add_co_ci_u32_e64 v18, null, v1, v2, vcc_lo
	v_mov_b32_e32 v2, v18
; %bb.107:
	s_wait_alu 0xfffe
	s_or_b32 exec_lo, exec_lo, s1
	v_mov_b32_dpp v1, v3 row_shr:2 row_mask:0xf bank_mask:0xf
	s_delay_alu instid0(VALU_DEP_2)
	v_mov_b32_dpp v4, v2 row_shr:2 row_mask:0xf bank_mask:0xf
	v_cmp_lt_u32_e32 vcc_lo, 1, v41
	s_and_saveexec_b32 s3, vcc_lo
; %bb.108:
	s_delay_alu instid0(VALU_DEP_3) | instskip(SKIP_2) | instid1(VALU_DEP_2)
	v_add_co_u32 v3, s1, v17, v1
	s_wait_alu 0xf1ff
	v_add_co_ci_u32_e64 v2, null, 0, v18, s1
	v_add_co_u32 v1, s1, 0, v3
	s_wait_alu 0xf1ff
	s_delay_alu instid0(VALU_DEP_2) | instskip(NEXT) | instid1(VALU_DEP_1)
	v_add_co_ci_u32_e64 v2, null, v4, v2, s1
	v_dual_mov_b32 v18, v2 :: v_dual_mov_b32 v17, v1
; %bb.109:
	s_wait_alu 0xfffe
	s_or_b32 exec_lo, exec_lo, s3
	v_mov_b32_dpp v1, v3 row_shr:4 row_mask:0xf bank_mask:0xf
	v_mov_b32_dpp v4, v2 row_shr:4 row_mask:0xf bank_mask:0xf
	v_cmp_lt_u32_e64 s1, 3, v41
	s_and_saveexec_b32 s4, s1
; %bb.110:
	v_add_co_u32 v3, s3, v17, v1
	s_wait_alu 0xf1ff
	v_add_co_ci_u32_e64 v2, null, 0, v18, s3
	s_delay_alu instid0(VALU_DEP_2) | instskip(SKIP_1) | instid1(VALU_DEP_2)
	v_add_co_u32 v1, s3, 0, v3
	s_wait_alu 0xf1ff
	v_add_co_ci_u32_e64 v2, null, v4, v2, s3
	s_delay_alu instid0(VALU_DEP_1)
	v_dual_mov_b32 v18, v2 :: v_dual_mov_b32 v17, v1
; %bb.111:
	s_wait_alu 0xfffe
	s_or_b32 exec_lo, exec_lo, s4
	v_mov_b32_dpp v4, v3 row_shr:8 row_mask:0xf bank_mask:0xf
	v_mov_b32_dpp v1, v2 row_shr:8 row_mask:0xf bank_mask:0xf
	v_cmp_lt_u32_e64 s3, 7, v41
	s_and_saveexec_b32 s5, s3
; %bb.112:
	v_add_co_u32 v3, s4, v17, v4
	s_wait_alu 0xf1ff
	v_add_co_ci_u32_e64 v2, null, 0, v18, s4
	s_delay_alu instid0(VALU_DEP_2) | instskip(SKIP_1) | instid1(VALU_DEP_2)
	v_add_co_u32 v17, s4, 0, v3
	s_wait_alu 0xf1ff
	v_add_co_ci_u32_e64 v18, null, v1, v2, s4
	s_delay_alu instid0(VALU_DEP_1)
	v_mov_b32_e32 v2, v18
; %bb.113:
	s_wait_alu 0xfffe
	s_or_b32 exec_lo, exec_lo, s5
	ds_swizzle_b32 v3, v3 offset:swizzle(BROADCAST,32,15)
	ds_swizzle_b32 v1, v2 offset:swizzle(BROADCAST,32,15)
	v_and_b32_e32 v2, 16, v31
	s_mov_b32 s5, exec_lo
	s_delay_alu instid0(VALU_DEP_1)
	v_cmpx_ne_u32_e32 0, v2
	s_cbranch_execz .LBB2394_115
; %bb.114:
	s_wait_dscnt 0x1
	v_add_co_u32 v2, s4, v17, v3
	s_wait_alu 0xf1ff
	v_add_co_ci_u32_e64 v3, null, 0, v18, s4
	s_delay_alu instid0(VALU_DEP_2) | instskip(SKIP_2) | instid1(VALU_DEP_2)
	v_add_co_u32 v17, s4, v2, 0
	s_wait_dscnt 0x0
	s_wait_alu 0xf1ff
	v_add_co_ci_u32_e64 v18, null, v3, v1, s4
.LBB2394_115:
	s_wait_alu 0xfffe
	s_or_b32 exec_lo, exec_lo, s5
	s_wait_dscnt 0x0
	v_and_b32_e32 v1, 0x1e0, v0
	v_lshrrev_b32_e32 v3, 5, v0
	s_mov_b32 s5, exec_lo
	s_delay_alu instid0(VALU_DEP_2) | instskip(NEXT) | instid1(VALU_DEP_1)
	v_min_u32_e32 v1, 0x160, v1
	v_or_b32_e32 v1, 31, v1
	s_delay_alu instid0(VALU_DEP_1)
	v_cmpx_eq_u32_e64 v0, v1
; %bb.116:
	v_lshlrev_b32_e32 v1, 3, v3
	ds_store_b64 v1, v[17:18]
; %bb.117:
	s_wait_alu 0xfffe
	s_or_b32 exec_lo, exec_lo, s5
	s_delay_alu instid0(SALU_CYCLE_1)
	s_mov_b32 s5, exec_lo
	s_wait_loadcnt_dscnt 0x0
	s_barrier_signal -1
	s_barrier_wait -1
	global_inv scope:SCOPE_SE
	v_cmpx_gt_u32_e32 12, v0
	s_cbranch_execz .LBB2394_127
; %bb.118:
	v_add_nc_u32_e32 v4, v32, v0
	ds_load_b64 v[1:2], v4
	s_wait_dscnt 0x0
	v_mov_b32_dpp v7, v1 row_shr:1 row_mask:0xf bank_mask:0xf
	v_mov_b32_dpp v6, v2 row_shr:1 row_mask:0xf bank_mask:0xf
	v_mov_b32_e32 v5, v1
	s_and_saveexec_b32 s4, s0
; %bb.119:
	s_delay_alu instid0(VALU_DEP_3) | instskip(SKIP_2) | instid1(VALU_DEP_2)
	v_add_co_u32 v5, s0, v1, v7
	s_wait_alu 0xf1ff
	v_add_co_ci_u32_e64 v2, null, 0, v2, s0
	v_add_co_u32 v1, s0, 0, v5
	s_wait_alu 0xf1ff
	s_delay_alu instid0(VALU_DEP_2)
	v_add_co_ci_u32_e64 v2, null, v6, v2, s0
; %bb.120:
	s_wait_alu 0xfffe
	s_or_b32 exec_lo, exec_lo, s4
	v_mov_b32_dpp v7, v5 row_shr:2 row_mask:0xf bank_mask:0xf
	s_delay_alu instid0(VALU_DEP_2)
	v_mov_b32_dpp v6, v2 row_shr:2 row_mask:0xf bank_mask:0xf
	s_and_saveexec_b32 s0, vcc_lo
; %bb.121:
	s_delay_alu instid0(VALU_DEP_2) | instskip(SKIP_2) | instid1(VALU_DEP_2)
	v_add_co_u32 v5, vcc_lo, v1, v7
	s_wait_alu 0xfffd
	v_add_co_ci_u32_e64 v2, null, 0, v2, vcc_lo
	v_add_co_u32 v1, vcc_lo, 0, v5
	s_wait_alu 0xfffd
	s_delay_alu instid0(VALU_DEP_2)
	v_add_co_ci_u32_e64 v2, null, v6, v2, vcc_lo
; %bb.122:
	s_wait_alu 0xfffe
	s_or_b32 exec_lo, exec_lo, s0
	v_mov_b32_dpp v7, v5 row_shr:4 row_mask:0xf bank_mask:0xf
	s_delay_alu instid0(VALU_DEP_2)
	v_mov_b32_dpp v6, v2 row_shr:4 row_mask:0xf bank_mask:0xf
	s_and_saveexec_b32 s0, s1
; %bb.123:
	s_delay_alu instid0(VALU_DEP_2) | instskip(SKIP_2) | instid1(VALU_DEP_2)
	v_add_co_u32 v5, vcc_lo, v1, v7
	s_wait_alu 0xfffd
	v_add_co_ci_u32_e64 v2, null, 0, v2, vcc_lo
	v_add_co_u32 v1, vcc_lo, 0, v5
	s_wait_alu 0xfffd
	s_delay_alu instid0(VALU_DEP_2)
	v_add_co_ci_u32_e64 v2, null, v6, v2, vcc_lo
; %bb.124:
	s_wait_alu 0xfffe
	s_or_b32 exec_lo, exec_lo, s0
	v_mov_b32_dpp v6, v5 row_shr:8 row_mask:0xf bank_mask:0xf
	s_delay_alu instid0(VALU_DEP_2)
	v_mov_b32_dpp v5, v2 row_shr:8 row_mask:0xf bank_mask:0xf
	s_and_saveexec_b32 s0, s3
; %bb.125:
	s_delay_alu instid0(VALU_DEP_2) | instskip(SKIP_2) | instid1(VALU_DEP_2)
	v_add_co_u32 v1, vcc_lo, v1, v6
	s_wait_alu 0xfffd
	v_add_co_ci_u32_e64 v2, null, 0, v2, vcc_lo
	v_add_co_u32 v1, vcc_lo, v1, 0
	s_wait_alu 0xfffd
	s_delay_alu instid0(VALU_DEP_2)
	v_add_co_ci_u32_e64 v2, null, v2, v5, vcc_lo
; %bb.126:
	s_wait_alu 0xfffe
	s_or_b32 exec_lo, exec_lo, s0
	ds_store_b64 v4, v[1:2]
.LBB2394_127:
	s_wait_alu 0xfffe
	s_or_b32 exec_lo, exec_lo, s5
	v_mov_b32_e32 v6, 0
	v_mov_b32_e32 v7, 0
	s_mov_b32 s0, exec_lo
	s_wait_loadcnt_dscnt 0x0
	s_barrier_signal -1
	s_barrier_wait -1
	global_inv scope:SCOPE_SE
	v_cmpx_lt_u32_e32 31, v0
; %bb.128:
	v_lshl_add_u32 v1, v3, 3, -8
	ds_load_b64 v[6:7], v1
; %bb.129:
	s_wait_alu 0xfffe
	s_or_b32 exec_lo, exec_lo, s0
	v_sub_co_u32 v1, vcc_lo, v31, 1
	v_mov_b32_e32 v5, 0
	s_delay_alu instid0(VALU_DEP_2) | instskip(SKIP_1) | instid1(VALU_DEP_1)
	v_cmp_gt_i32_e64 s0, 0, v1
	s_wait_alu 0xf1ff
	v_cndmask_b32_e64 v1, v1, v31, s0
	s_delay_alu instid0(VALU_DEP_1)
	v_lshlrev_b32_e32 v2, 2, v1
	s_wait_dscnt 0x0
	v_add_co_u32 v1, s0, v6, v17
	s_wait_alu 0xf1ff
	v_add_co_ci_u32_e64 v3, null, v7, v18, s0
	ds_bpermute_b32 v1, v2, v1
	ds_bpermute_b32 v8, v2, v3
	ds_load_b64 v[2:3], v5 offset:88
	s_and_saveexec_b32 s0, s2
	s_cbranch_execz .LBB2394_131
; %bb.130:
	s_add_nc_u64 s[4:5], s[14:15], 0x200
	v_mov_b32_e32 v4, 2
	s_wait_alu 0xfffe
	v_dual_mov_b32 v18, s5 :: v_dual_mov_b32 v17, s4
	s_wait_dscnt 0x0
	;;#ASMSTART
	global_store_b128 v[17:18], v[2:5] off scope:SCOPE_DEV	
s_wait_storecnt 0x0
	;;#ASMEND
.LBB2394_131:
	s_wait_alu 0xfffe
	s_or_b32 exec_lo, exec_lo, s0
	s_wait_dscnt 0x1
	s_wait_alu 0xfffd
	v_dual_cndmask_b32 v1, v1, v6 :: v_dual_cndmask_b32 v4, v8, v7
	s_wait_loadcnt_dscnt 0x0
	s_barrier_signal -1
	s_barrier_wait -1
	s_delay_alu instid0(VALU_DEP_1)
	v_cndmask_b32_e64 v29, v1, 0, s2
	v_cndmask_b32_e64 v30, v4, 0, s2
	v_mov_b32_e32 v4, 0
	v_mov_b32_e32 v5, 0
	global_inv scope:SCOPE_SE
	v_add_co_u32 v27, vcc_lo, v29, v40
	s_wait_alu 0xfffd
	v_add_co_ci_u32_e64 v28, null, 0, v30, vcc_lo
	s_delay_alu instid0(VALU_DEP_2) | instskip(SKIP_1) | instid1(VALU_DEP_2)
	v_add_co_u32 v25, vcc_lo, v27, v39
	s_wait_alu 0xfffd
	v_add_co_ci_u32_e64 v26, null, 0, v28, vcc_lo
	s_delay_alu instid0(VALU_DEP_2) | instskip(SKIP_1) | instid1(VALU_DEP_2)
	;; [unrolled: 4-line block ×5, first 2 shown]
	v_add_co_u32 v19, vcc_lo, v6, v35
	s_wait_alu 0xfffd
	v_add_co_ci_u32_e64 v20, null, 0, v7, vcc_lo
.LBB2394_132:
	s_wait_dscnt 0x0
	v_cmp_gt_u64_e32 vcc_lo, 0x181, v[2:3]
	v_lshlrev_b64_e32 v[17:18], 2, v[9:10]
	v_cmp_eq_u32_e64 s0, 1, v40
	s_mov_b32 s1, -1
	s_cbranch_vccnz .LBB2394_136
; %bb.133:
	s_wait_alu 0xfffe
	s_and_b32 vcc_lo, exec_lo, s1
	s_wait_alu 0xfffe
	s_cbranch_vccnz .LBB2394_151
.LBB2394_134:
	s_and_b32 s0, s2, s18
	s_wait_alu 0xfffe
	s_and_saveexec_b32 s1, s0
	s_cbranch_execnz .LBB2394_168
.LBB2394_135:
	s_endpgm
.LBB2394_136:
	v_add_co_u32 v31, vcc_lo, v4, v2
	s_wait_alu 0xfffd
	v_add_co_ci_u32_e64 v32, null, v5, v3, vcc_lo
	v_add_co_u32 v1, s1, s12, v17
	s_wait_alu 0xf1fe
	v_add_co_ci_u32_e64 v8, null, s13, v18, s1
	s_delay_alu instid0(VALU_DEP_3)
	v_cmp_lt_u64_e32 vcc_lo, v[29:30], v[31:32]
	s_or_b32 s1, s19, vcc_lo
	s_wait_alu 0xfffe
	s_and_b32 s1, s1, s0
	s_wait_alu 0xfffe
	s_and_saveexec_b32 s0, s1
	s_cbranch_execz .LBB2394_138
; %bb.137:
	v_lshlrev_b64_e32 v[41:42], 2, v[29:30]
	s_delay_alu instid0(VALU_DEP_1) | instskip(SKIP_1) | instid1(VALU_DEP_2)
	v_add_co_u32 v41, vcc_lo, v1, v41
	s_wait_alu 0xfffd
	v_add_co_ci_u32_e64 v42, null, v8, v42, vcc_lo
	global_store_b32 v[41:42], v15, off
.LBB2394_138:
	s_wait_alu 0xfffe
	s_or_b32 exec_lo, exec_lo, s0
	v_cmp_lt_u64_e32 vcc_lo, v[27:28], v[31:32]
	v_cmp_eq_u32_e64 s0, 1, v39
	s_or_b32 s1, s19, vcc_lo
	s_wait_alu 0xfffe
	s_and_b32 s1, s1, s0
	s_wait_alu 0xfffe
	s_and_saveexec_b32 s0, s1
	s_cbranch_execz .LBB2394_140
; %bb.139:
	v_lshlrev_b64_e32 v[41:42], 2, v[27:28]
	s_delay_alu instid0(VALU_DEP_1) | instskip(SKIP_1) | instid1(VALU_DEP_2)
	v_add_co_u32 v41, vcc_lo, v1, v41
	s_wait_alu 0xfffd
	v_add_co_ci_u32_e64 v42, null, v8, v42, vcc_lo
	global_store_b32 v[41:42], v16, off
.LBB2394_140:
	s_wait_alu 0xfffe
	s_or_b32 exec_lo, exec_lo, s0
	v_cmp_lt_u64_e32 vcc_lo, v[25:26], v[31:32]
	v_cmp_eq_u32_e64 s0, 1, v37
	;; [unrolled: 18-line block ×6, first 2 shown]
	s_or_b32 s1, s19, vcc_lo
	s_wait_alu 0xfffe
	s_and_b32 s1, s1, s0
	s_wait_alu 0xfffe
	s_and_saveexec_b32 s0, s1
	s_cbranch_execz .LBB2394_150
; %bb.149:
	v_lshlrev_b64_e32 v[30:31], 2, v[19:20]
	s_delay_alu instid0(VALU_DEP_1) | instskip(SKIP_1) | instid1(VALU_DEP_2)
	v_add_co_u32 v7, vcc_lo, v1, v30
	s_wait_alu 0xfffd
	v_add_co_ci_u32_e64 v8, null, v8, v31, vcc_lo
	global_store_b32 v[7:8], v33, off
.LBB2394_150:
	s_wait_alu 0xfffe
	s_or_b32 exec_lo, exec_lo, s0
	s_branch .LBB2394_134
.LBB2394_151:
	s_mov_b32 s0, exec_lo
	v_cmpx_eq_u32_e32 1, v40
; %bb.152:
	v_sub_nc_u32_e32 v1, v29, v4
	s_delay_alu instid0(VALU_DEP_1)
	v_lshlrev_b32_e32 v1, 2, v1
	ds_store_b32 v1, v15
; %bb.153:
	s_wait_alu 0xfffe
	s_or_b32 exec_lo, exec_lo, s0
	s_delay_alu instid0(SALU_CYCLE_1)
	s_mov_b32 s0, exec_lo
	v_cmpx_eq_u32_e32 1, v39
; %bb.154:
	v_sub_nc_u32_e32 v1, v27, v4
	s_delay_alu instid0(VALU_DEP_1)
	v_lshlrev_b32_e32 v1, 2, v1
	ds_store_b32 v1, v16
; %bb.155:
	s_wait_alu 0xfffe
	s_or_b32 exec_lo, exec_lo, s0
	s_delay_alu instid0(SALU_CYCLE_1)
	s_mov_b32 s0, exec_lo
	v_cmpx_eq_u32_e32 1, v37
; %bb.156:
	v_sub_nc_u32_e32 v1, v25, v4
	s_delay_alu instid0(VALU_DEP_1)
	v_lshlrev_b32_e32 v1, 2, v1
	ds_store_b32 v1, v13
; %bb.157:
	s_wait_alu 0xfffe
	s_or_b32 exec_lo, exec_lo, s0
	s_delay_alu instid0(SALU_CYCLE_1)
	s_mov_b32 s0, exec_lo
	v_cmpx_eq_u32_e32 1, v36
; %bb.158:
	v_sub_nc_u32_e32 v1, v23, v4
	s_delay_alu instid0(VALU_DEP_1)
	v_lshlrev_b32_e32 v1, 2, v1
	ds_store_b32 v1, v14
; %bb.159:
	s_wait_alu 0xfffe
	s_or_b32 exec_lo, exec_lo, s0
	s_delay_alu instid0(SALU_CYCLE_1)
	s_mov_b32 s0, exec_lo
	v_cmpx_eq_u32_e32 1, v38
; %bb.160:
	v_sub_nc_u32_e32 v1, v21, v4
	s_delay_alu instid0(VALU_DEP_1)
	v_lshlrev_b32_e32 v1, 2, v1
	ds_store_b32 v1, v11
; %bb.161:
	s_wait_alu 0xfffe
	s_or_b32 exec_lo, exec_lo, s0
	s_delay_alu instid0(SALU_CYCLE_1)
	s_mov_b32 s0, exec_lo
	v_cmpx_eq_u32_e32 1, v35
; %bb.162:
	v_sub_nc_u32_e32 v1, v6, v4
	s_delay_alu instid0(VALU_DEP_1)
	v_lshlrev_b32_e32 v1, 2, v1
	ds_store_b32 v1, v12
; %bb.163:
	s_wait_alu 0xfffe
	s_or_b32 exec_lo, exec_lo, s0
	s_delay_alu instid0(SALU_CYCLE_1)
	s_mov_b32 s0, exec_lo
	v_cmpx_eq_u32_e32 1, v34
; %bb.164:
	v_sub_nc_u32_e32 v1, v19, v4
	s_delay_alu instid0(VALU_DEP_1)
	v_lshlrev_b32_e32 v1, 2, v1
	ds_store_b32 v1, v33
; %bb.165:
	s_wait_alu 0xfffe
	s_or_b32 exec_lo, exec_lo, s0
	v_lshlrev_b64_e32 v[6:7], 2, v[4:5]
	v_mov_b32_e32 v1, 0
	s_mov_b32 s1, 0
	s_wait_storecnt 0x0
	s_wait_loadcnt_dscnt 0x0
	s_barrier_signal -1
	s_barrier_wait -1
	v_add_co_u32 v8, vcc_lo, s12, v6
	s_wait_alu 0xfffd
	v_add_co_ci_u32_e64 v11, null, s13, v7, vcc_lo
	v_dual_mov_b32 v7, v1 :: v_dual_mov_b32 v6, v0
	s_delay_alu instid0(VALU_DEP_3) | instskip(SKIP_1) | instid1(VALU_DEP_3)
	v_add_co_u32 v8, vcc_lo, v8, v17
	s_wait_alu 0xfffd
	v_add_co_ci_u32_e64 v11, null, v11, v18, vcc_lo
	v_add_nc_u32_e32 v0, 0x180, v0
	global_inv scope:SCOPE_SE
.LBB2394_166:                           ; =>This Inner Loop Header: Depth=1
	v_lshlrev_b32_e32 v12, 2, v6
	v_cmp_le_u64_e32 vcc_lo, v[2:3], v[0:1]
	ds_load_b32 v14, v12
	v_lshlrev_b64_e32 v[12:13], 2, v[6:7]
	v_dual_mov_b32 v7, v1 :: v_dual_mov_b32 v6, v0
	v_add_nc_u32_e32 v0, 0x180, v0
	s_wait_alu 0xfffe
	s_or_b32 s1, vcc_lo, s1
	s_delay_alu instid0(VALU_DEP_3)
	v_add_co_u32 v12, s0, v8, v12
	s_wait_alu 0xf1ff
	v_add_co_ci_u32_e64 v13, null, v11, v13, s0
	s_wait_dscnt 0x0
	global_store_b32 v[12:13], v14, off
	s_wait_alu 0xfffe
	s_and_not1_b32 exec_lo, exec_lo, s1
	s_cbranch_execnz .LBB2394_166
; %bb.167:
	s_or_b32 exec_lo, exec_lo, s1
	s_and_b32 s0, s2, s18
	s_wait_alu 0xfffe
	s_and_saveexec_b32 s1, s0
	s_cbranch_execz .LBB2394_135
.LBB2394_168:
	v_add_co_u32 v0, vcc_lo, v4, v2
	s_wait_alu 0xfffd
	v_add_co_ci_u32_e64 v1, null, v5, v3, vcc_lo
	v_mov_b32_e32 v2, 0
	s_delay_alu instid0(VALU_DEP_3) | instskip(SKIP_1) | instid1(VALU_DEP_3)
	v_add_co_u32 v0, vcc_lo, v0, v9
	s_wait_alu 0xfffd
	v_add_co_ci_u32_e64 v1, null, v1, v10, vcc_lo
	global_store_b64 v2, v[0:1], s[8:9]
	s_endpgm
	.section	.rodata,"a",@progbits
	.p2align	6, 0x0
	.amdhsa_kernel _ZN7rocprim17ROCPRIM_400000_NS6detail17trampoline_kernelINS0_14default_configENS1_25partition_config_selectorILNS1_17partition_subalgoE5EfNS0_10empty_typeEbEEZZNS1_14partition_implILS5_5ELb0ES3_mN6thrust23THRUST_200600_302600_NS6detail15normal_iteratorINSA_10device_ptrIfEEEEPS6_NSA_18transform_iteratorINSB_9not_fun_tI7is_trueIfEEENSC_INSD_IbEEEENSA_11use_defaultESO_EENS0_5tupleIJSF_S6_EEENSQ_IJSG_SG_EEES6_PlJS6_EEE10hipError_tPvRmT3_T4_T5_T6_T7_T9_mT8_P12ihipStream_tbDpT10_ENKUlT_T0_E_clISt17integral_constantIbLb0EES1C_IbLb1EEEEDaS18_S19_EUlS18_E_NS1_11comp_targetILNS1_3genE10ELNS1_11target_archE1200ELNS1_3gpuE4ELNS1_3repE0EEENS1_30default_config_static_selectorELNS0_4arch9wavefront6targetE0EEEvT1_
		.amdhsa_group_segment_fixed_size 10768
		.amdhsa_private_segment_fixed_size 0
		.amdhsa_kernarg_size 136
		.amdhsa_user_sgpr_count 2
		.amdhsa_user_sgpr_dispatch_ptr 0
		.amdhsa_user_sgpr_queue_ptr 0
		.amdhsa_user_sgpr_kernarg_segment_ptr 1
		.amdhsa_user_sgpr_dispatch_id 0
		.amdhsa_user_sgpr_private_segment_size 0
		.amdhsa_wavefront_size32 1
		.amdhsa_uses_dynamic_stack 0
		.amdhsa_enable_private_segment 0
		.amdhsa_system_sgpr_workgroup_id_x 1
		.amdhsa_system_sgpr_workgroup_id_y 0
		.amdhsa_system_sgpr_workgroup_id_z 0
		.amdhsa_system_sgpr_workgroup_info 0
		.amdhsa_system_vgpr_workitem_id 0
		.amdhsa_next_free_vgpr 49
		.amdhsa_next_free_sgpr 24
		.amdhsa_reserve_vcc 1
		.amdhsa_float_round_mode_32 0
		.amdhsa_float_round_mode_16_64 0
		.amdhsa_float_denorm_mode_32 3
		.amdhsa_float_denorm_mode_16_64 3
		.amdhsa_fp16_overflow 0
		.amdhsa_workgroup_processor_mode 1
		.amdhsa_memory_ordered 1
		.amdhsa_forward_progress 1
		.amdhsa_inst_pref_size 69
		.amdhsa_round_robin_scheduling 0
		.amdhsa_exception_fp_ieee_invalid_op 0
		.amdhsa_exception_fp_denorm_src 0
		.amdhsa_exception_fp_ieee_div_zero 0
		.amdhsa_exception_fp_ieee_overflow 0
		.amdhsa_exception_fp_ieee_underflow 0
		.amdhsa_exception_fp_ieee_inexact 0
		.amdhsa_exception_int_div_zero 0
	.end_amdhsa_kernel
	.section	.text._ZN7rocprim17ROCPRIM_400000_NS6detail17trampoline_kernelINS0_14default_configENS1_25partition_config_selectorILNS1_17partition_subalgoE5EfNS0_10empty_typeEbEEZZNS1_14partition_implILS5_5ELb0ES3_mN6thrust23THRUST_200600_302600_NS6detail15normal_iteratorINSA_10device_ptrIfEEEEPS6_NSA_18transform_iteratorINSB_9not_fun_tI7is_trueIfEEENSC_INSD_IbEEEENSA_11use_defaultESO_EENS0_5tupleIJSF_S6_EEENSQ_IJSG_SG_EEES6_PlJS6_EEE10hipError_tPvRmT3_T4_T5_T6_T7_T9_mT8_P12ihipStream_tbDpT10_ENKUlT_T0_E_clISt17integral_constantIbLb0EES1C_IbLb1EEEEDaS18_S19_EUlS18_E_NS1_11comp_targetILNS1_3genE10ELNS1_11target_archE1200ELNS1_3gpuE4ELNS1_3repE0EEENS1_30default_config_static_selectorELNS0_4arch9wavefront6targetE0EEEvT1_,"axG",@progbits,_ZN7rocprim17ROCPRIM_400000_NS6detail17trampoline_kernelINS0_14default_configENS1_25partition_config_selectorILNS1_17partition_subalgoE5EfNS0_10empty_typeEbEEZZNS1_14partition_implILS5_5ELb0ES3_mN6thrust23THRUST_200600_302600_NS6detail15normal_iteratorINSA_10device_ptrIfEEEEPS6_NSA_18transform_iteratorINSB_9not_fun_tI7is_trueIfEEENSC_INSD_IbEEEENSA_11use_defaultESO_EENS0_5tupleIJSF_S6_EEENSQ_IJSG_SG_EEES6_PlJS6_EEE10hipError_tPvRmT3_T4_T5_T6_T7_T9_mT8_P12ihipStream_tbDpT10_ENKUlT_T0_E_clISt17integral_constantIbLb0EES1C_IbLb1EEEEDaS18_S19_EUlS18_E_NS1_11comp_targetILNS1_3genE10ELNS1_11target_archE1200ELNS1_3gpuE4ELNS1_3repE0EEENS1_30default_config_static_selectorELNS0_4arch9wavefront6targetE0EEEvT1_,comdat
.Lfunc_end2394:
	.size	_ZN7rocprim17ROCPRIM_400000_NS6detail17trampoline_kernelINS0_14default_configENS1_25partition_config_selectorILNS1_17partition_subalgoE5EfNS0_10empty_typeEbEEZZNS1_14partition_implILS5_5ELb0ES3_mN6thrust23THRUST_200600_302600_NS6detail15normal_iteratorINSA_10device_ptrIfEEEEPS6_NSA_18transform_iteratorINSB_9not_fun_tI7is_trueIfEEENSC_INSD_IbEEEENSA_11use_defaultESO_EENS0_5tupleIJSF_S6_EEENSQ_IJSG_SG_EEES6_PlJS6_EEE10hipError_tPvRmT3_T4_T5_T6_T7_T9_mT8_P12ihipStream_tbDpT10_ENKUlT_T0_E_clISt17integral_constantIbLb0EES1C_IbLb1EEEEDaS18_S19_EUlS18_E_NS1_11comp_targetILNS1_3genE10ELNS1_11target_archE1200ELNS1_3gpuE4ELNS1_3repE0EEENS1_30default_config_static_selectorELNS0_4arch9wavefront6targetE0EEEvT1_, .Lfunc_end2394-_ZN7rocprim17ROCPRIM_400000_NS6detail17trampoline_kernelINS0_14default_configENS1_25partition_config_selectorILNS1_17partition_subalgoE5EfNS0_10empty_typeEbEEZZNS1_14partition_implILS5_5ELb0ES3_mN6thrust23THRUST_200600_302600_NS6detail15normal_iteratorINSA_10device_ptrIfEEEEPS6_NSA_18transform_iteratorINSB_9not_fun_tI7is_trueIfEEENSC_INSD_IbEEEENSA_11use_defaultESO_EENS0_5tupleIJSF_S6_EEENSQ_IJSG_SG_EEES6_PlJS6_EEE10hipError_tPvRmT3_T4_T5_T6_T7_T9_mT8_P12ihipStream_tbDpT10_ENKUlT_T0_E_clISt17integral_constantIbLb0EES1C_IbLb1EEEEDaS18_S19_EUlS18_E_NS1_11comp_targetILNS1_3genE10ELNS1_11target_archE1200ELNS1_3gpuE4ELNS1_3repE0EEENS1_30default_config_static_selectorELNS0_4arch9wavefront6targetE0EEEvT1_
                                        ; -- End function
	.set _ZN7rocprim17ROCPRIM_400000_NS6detail17trampoline_kernelINS0_14default_configENS1_25partition_config_selectorILNS1_17partition_subalgoE5EfNS0_10empty_typeEbEEZZNS1_14partition_implILS5_5ELb0ES3_mN6thrust23THRUST_200600_302600_NS6detail15normal_iteratorINSA_10device_ptrIfEEEEPS6_NSA_18transform_iteratorINSB_9not_fun_tI7is_trueIfEEENSC_INSD_IbEEEENSA_11use_defaultESO_EENS0_5tupleIJSF_S6_EEENSQ_IJSG_SG_EEES6_PlJS6_EEE10hipError_tPvRmT3_T4_T5_T6_T7_T9_mT8_P12ihipStream_tbDpT10_ENKUlT_T0_E_clISt17integral_constantIbLb0EES1C_IbLb1EEEEDaS18_S19_EUlS18_E_NS1_11comp_targetILNS1_3genE10ELNS1_11target_archE1200ELNS1_3gpuE4ELNS1_3repE0EEENS1_30default_config_static_selectorELNS0_4arch9wavefront6targetE0EEEvT1_.num_vgpr, 49
	.set _ZN7rocprim17ROCPRIM_400000_NS6detail17trampoline_kernelINS0_14default_configENS1_25partition_config_selectorILNS1_17partition_subalgoE5EfNS0_10empty_typeEbEEZZNS1_14partition_implILS5_5ELb0ES3_mN6thrust23THRUST_200600_302600_NS6detail15normal_iteratorINSA_10device_ptrIfEEEEPS6_NSA_18transform_iteratorINSB_9not_fun_tI7is_trueIfEEENSC_INSD_IbEEEENSA_11use_defaultESO_EENS0_5tupleIJSF_S6_EEENSQ_IJSG_SG_EEES6_PlJS6_EEE10hipError_tPvRmT3_T4_T5_T6_T7_T9_mT8_P12ihipStream_tbDpT10_ENKUlT_T0_E_clISt17integral_constantIbLb0EES1C_IbLb1EEEEDaS18_S19_EUlS18_E_NS1_11comp_targetILNS1_3genE10ELNS1_11target_archE1200ELNS1_3gpuE4ELNS1_3repE0EEENS1_30default_config_static_selectorELNS0_4arch9wavefront6targetE0EEEvT1_.num_agpr, 0
	.set _ZN7rocprim17ROCPRIM_400000_NS6detail17trampoline_kernelINS0_14default_configENS1_25partition_config_selectorILNS1_17partition_subalgoE5EfNS0_10empty_typeEbEEZZNS1_14partition_implILS5_5ELb0ES3_mN6thrust23THRUST_200600_302600_NS6detail15normal_iteratorINSA_10device_ptrIfEEEEPS6_NSA_18transform_iteratorINSB_9not_fun_tI7is_trueIfEEENSC_INSD_IbEEEENSA_11use_defaultESO_EENS0_5tupleIJSF_S6_EEENSQ_IJSG_SG_EEES6_PlJS6_EEE10hipError_tPvRmT3_T4_T5_T6_T7_T9_mT8_P12ihipStream_tbDpT10_ENKUlT_T0_E_clISt17integral_constantIbLb0EES1C_IbLb1EEEEDaS18_S19_EUlS18_E_NS1_11comp_targetILNS1_3genE10ELNS1_11target_archE1200ELNS1_3gpuE4ELNS1_3repE0EEENS1_30default_config_static_selectorELNS0_4arch9wavefront6targetE0EEEvT1_.numbered_sgpr, 24
	.set _ZN7rocprim17ROCPRIM_400000_NS6detail17trampoline_kernelINS0_14default_configENS1_25partition_config_selectorILNS1_17partition_subalgoE5EfNS0_10empty_typeEbEEZZNS1_14partition_implILS5_5ELb0ES3_mN6thrust23THRUST_200600_302600_NS6detail15normal_iteratorINSA_10device_ptrIfEEEEPS6_NSA_18transform_iteratorINSB_9not_fun_tI7is_trueIfEEENSC_INSD_IbEEEENSA_11use_defaultESO_EENS0_5tupleIJSF_S6_EEENSQ_IJSG_SG_EEES6_PlJS6_EEE10hipError_tPvRmT3_T4_T5_T6_T7_T9_mT8_P12ihipStream_tbDpT10_ENKUlT_T0_E_clISt17integral_constantIbLb0EES1C_IbLb1EEEEDaS18_S19_EUlS18_E_NS1_11comp_targetILNS1_3genE10ELNS1_11target_archE1200ELNS1_3gpuE4ELNS1_3repE0EEENS1_30default_config_static_selectorELNS0_4arch9wavefront6targetE0EEEvT1_.num_named_barrier, 0
	.set _ZN7rocprim17ROCPRIM_400000_NS6detail17trampoline_kernelINS0_14default_configENS1_25partition_config_selectorILNS1_17partition_subalgoE5EfNS0_10empty_typeEbEEZZNS1_14partition_implILS5_5ELb0ES3_mN6thrust23THRUST_200600_302600_NS6detail15normal_iteratorINSA_10device_ptrIfEEEEPS6_NSA_18transform_iteratorINSB_9not_fun_tI7is_trueIfEEENSC_INSD_IbEEEENSA_11use_defaultESO_EENS0_5tupleIJSF_S6_EEENSQ_IJSG_SG_EEES6_PlJS6_EEE10hipError_tPvRmT3_T4_T5_T6_T7_T9_mT8_P12ihipStream_tbDpT10_ENKUlT_T0_E_clISt17integral_constantIbLb0EES1C_IbLb1EEEEDaS18_S19_EUlS18_E_NS1_11comp_targetILNS1_3genE10ELNS1_11target_archE1200ELNS1_3gpuE4ELNS1_3repE0EEENS1_30default_config_static_selectorELNS0_4arch9wavefront6targetE0EEEvT1_.private_seg_size, 0
	.set _ZN7rocprim17ROCPRIM_400000_NS6detail17trampoline_kernelINS0_14default_configENS1_25partition_config_selectorILNS1_17partition_subalgoE5EfNS0_10empty_typeEbEEZZNS1_14partition_implILS5_5ELb0ES3_mN6thrust23THRUST_200600_302600_NS6detail15normal_iteratorINSA_10device_ptrIfEEEEPS6_NSA_18transform_iteratorINSB_9not_fun_tI7is_trueIfEEENSC_INSD_IbEEEENSA_11use_defaultESO_EENS0_5tupleIJSF_S6_EEENSQ_IJSG_SG_EEES6_PlJS6_EEE10hipError_tPvRmT3_T4_T5_T6_T7_T9_mT8_P12ihipStream_tbDpT10_ENKUlT_T0_E_clISt17integral_constantIbLb0EES1C_IbLb1EEEEDaS18_S19_EUlS18_E_NS1_11comp_targetILNS1_3genE10ELNS1_11target_archE1200ELNS1_3gpuE4ELNS1_3repE0EEENS1_30default_config_static_selectorELNS0_4arch9wavefront6targetE0EEEvT1_.uses_vcc, 1
	.set _ZN7rocprim17ROCPRIM_400000_NS6detail17trampoline_kernelINS0_14default_configENS1_25partition_config_selectorILNS1_17partition_subalgoE5EfNS0_10empty_typeEbEEZZNS1_14partition_implILS5_5ELb0ES3_mN6thrust23THRUST_200600_302600_NS6detail15normal_iteratorINSA_10device_ptrIfEEEEPS6_NSA_18transform_iteratorINSB_9not_fun_tI7is_trueIfEEENSC_INSD_IbEEEENSA_11use_defaultESO_EENS0_5tupleIJSF_S6_EEENSQ_IJSG_SG_EEES6_PlJS6_EEE10hipError_tPvRmT3_T4_T5_T6_T7_T9_mT8_P12ihipStream_tbDpT10_ENKUlT_T0_E_clISt17integral_constantIbLb0EES1C_IbLb1EEEEDaS18_S19_EUlS18_E_NS1_11comp_targetILNS1_3genE10ELNS1_11target_archE1200ELNS1_3gpuE4ELNS1_3repE0EEENS1_30default_config_static_selectorELNS0_4arch9wavefront6targetE0EEEvT1_.uses_flat_scratch, 1
	.set _ZN7rocprim17ROCPRIM_400000_NS6detail17trampoline_kernelINS0_14default_configENS1_25partition_config_selectorILNS1_17partition_subalgoE5EfNS0_10empty_typeEbEEZZNS1_14partition_implILS5_5ELb0ES3_mN6thrust23THRUST_200600_302600_NS6detail15normal_iteratorINSA_10device_ptrIfEEEEPS6_NSA_18transform_iteratorINSB_9not_fun_tI7is_trueIfEEENSC_INSD_IbEEEENSA_11use_defaultESO_EENS0_5tupleIJSF_S6_EEENSQ_IJSG_SG_EEES6_PlJS6_EEE10hipError_tPvRmT3_T4_T5_T6_T7_T9_mT8_P12ihipStream_tbDpT10_ENKUlT_T0_E_clISt17integral_constantIbLb0EES1C_IbLb1EEEEDaS18_S19_EUlS18_E_NS1_11comp_targetILNS1_3genE10ELNS1_11target_archE1200ELNS1_3gpuE4ELNS1_3repE0EEENS1_30default_config_static_selectorELNS0_4arch9wavefront6targetE0EEEvT1_.has_dyn_sized_stack, 0
	.set _ZN7rocprim17ROCPRIM_400000_NS6detail17trampoline_kernelINS0_14default_configENS1_25partition_config_selectorILNS1_17partition_subalgoE5EfNS0_10empty_typeEbEEZZNS1_14partition_implILS5_5ELb0ES3_mN6thrust23THRUST_200600_302600_NS6detail15normal_iteratorINSA_10device_ptrIfEEEEPS6_NSA_18transform_iteratorINSB_9not_fun_tI7is_trueIfEEENSC_INSD_IbEEEENSA_11use_defaultESO_EENS0_5tupleIJSF_S6_EEENSQ_IJSG_SG_EEES6_PlJS6_EEE10hipError_tPvRmT3_T4_T5_T6_T7_T9_mT8_P12ihipStream_tbDpT10_ENKUlT_T0_E_clISt17integral_constantIbLb0EES1C_IbLb1EEEEDaS18_S19_EUlS18_E_NS1_11comp_targetILNS1_3genE10ELNS1_11target_archE1200ELNS1_3gpuE4ELNS1_3repE0EEENS1_30default_config_static_selectorELNS0_4arch9wavefront6targetE0EEEvT1_.has_recursion, 0
	.set _ZN7rocprim17ROCPRIM_400000_NS6detail17trampoline_kernelINS0_14default_configENS1_25partition_config_selectorILNS1_17partition_subalgoE5EfNS0_10empty_typeEbEEZZNS1_14partition_implILS5_5ELb0ES3_mN6thrust23THRUST_200600_302600_NS6detail15normal_iteratorINSA_10device_ptrIfEEEEPS6_NSA_18transform_iteratorINSB_9not_fun_tI7is_trueIfEEENSC_INSD_IbEEEENSA_11use_defaultESO_EENS0_5tupleIJSF_S6_EEENSQ_IJSG_SG_EEES6_PlJS6_EEE10hipError_tPvRmT3_T4_T5_T6_T7_T9_mT8_P12ihipStream_tbDpT10_ENKUlT_T0_E_clISt17integral_constantIbLb0EES1C_IbLb1EEEEDaS18_S19_EUlS18_E_NS1_11comp_targetILNS1_3genE10ELNS1_11target_archE1200ELNS1_3gpuE4ELNS1_3repE0EEENS1_30default_config_static_selectorELNS0_4arch9wavefront6targetE0EEEvT1_.has_indirect_call, 0
	.section	.AMDGPU.csdata,"",@progbits
; Kernel info:
; codeLenInByte = 8756
; TotalNumSgprs: 26
; NumVgprs: 49
; ScratchSize: 0
; MemoryBound: 0
; FloatMode: 240
; IeeeMode: 1
; LDSByteSize: 10768 bytes/workgroup (compile time only)
; SGPRBlocks: 0
; VGPRBlocks: 6
; NumSGPRsForWavesPerEU: 26
; NumVGPRsForWavesPerEU: 49
; Occupancy: 15
; WaveLimiterHint : 1
; COMPUTE_PGM_RSRC2:SCRATCH_EN: 0
; COMPUTE_PGM_RSRC2:USER_SGPR: 2
; COMPUTE_PGM_RSRC2:TRAP_HANDLER: 0
; COMPUTE_PGM_RSRC2:TGID_X_EN: 1
; COMPUTE_PGM_RSRC2:TGID_Y_EN: 0
; COMPUTE_PGM_RSRC2:TGID_Z_EN: 0
; COMPUTE_PGM_RSRC2:TIDIG_COMP_CNT: 0
	.section	.text._ZN7rocprim17ROCPRIM_400000_NS6detail17trampoline_kernelINS0_14default_configENS1_25partition_config_selectorILNS1_17partition_subalgoE5EfNS0_10empty_typeEbEEZZNS1_14partition_implILS5_5ELb0ES3_mN6thrust23THRUST_200600_302600_NS6detail15normal_iteratorINSA_10device_ptrIfEEEEPS6_NSA_18transform_iteratorINSB_9not_fun_tI7is_trueIfEEENSC_INSD_IbEEEENSA_11use_defaultESO_EENS0_5tupleIJSF_S6_EEENSQ_IJSG_SG_EEES6_PlJS6_EEE10hipError_tPvRmT3_T4_T5_T6_T7_T9_mT8_P12ihipStream_tbDpT10_ENKUlT_T0_E_clISt17integral_constantIbLb0EES1C_IbLb1EEEEDaS18_S19_EUlS18_E_NS1_11comp_targetILNS1_3genE9ELNS1_11target_archE1100ELNS1_3gpuE3ELNS1_3repE0EEENS1_30default_config_static_selectorELNS0_4arch9wavefront6targetE0EEEvT1_,"axG",@progbits,_ZN7rocprim17ROCPRIM_400000_NS6detail17trampoline_kernelINS0_14default_configENS1_25partition_config_selectorILNS1_17partition_subalgoE5EfNS0_10empty_typeEbEEZZNS1_14partition_implILS5_5ELb0ES3_mN6thrust23THRUST_200600_302600_NS6detail15normal_iteratorINSA_10device_ptrIfEEEEPS6_NSA_18transform_iteratorINSB_9not_fun_tI7is_trueIfEEENSC_INSD_IbEEEENSA_11use_defaultESO_EENS0_5tupleIJSF_S6_EEENSQ_IJSG_SG_EEES6_PlJS6_EEE10hipError_tPvRmT3_T4_T5_T6_T7_T9_mT8_P12ihipStream_tbDpT10_ENKUlT_T0_E_clISt17integral_constantIbLb0EES1C_IbLb1EEEEDaS18_S19_EUlS18_E_NS1_11comp_targetILNS1_3genE9ELNS1_11target_archE1100ELNS1_3gpuE3ELNS1_3repE0EEENS1_30default_config_static_selectorELNS0_4arch9wavefront6targetE0EEEvT1_,comdat
	.protected	_ZN7rocprim17ROCPRIM_400000_NS6detail17trampoline_kernelINS0_14default_configENS1_25partition_config_selectorILNS1_17partition_subalgoE5EfNS0_10empty_typeEbEEZZNS1_14partition_implILS5_5ELb0ES3_mN6thrust23THRUST_200600_302600_NS6detail15normal_iteratorINSA_10device_ptrIfEEEEPS6_NSA_18transform_iteratorINSB_9not_fun_tI7is_trueIfEEENSC_INSD_IbEEEENSA_11use_defaultESO_EENS0_5tupleIJSF_S6_EEENSQ_IJSG_SG_EEES6_PlJS6_EEE10hipError_tPvRmT3_T4_T5_T6_T7_T9_mT8_P12ihipStream_tbDpT10_ENKUlT_T0_E_clISt17integral_constantIbLb0EES1C_IbLb1EEEEDaS18_S19_EUlS18_E_NS1_11comp_targetILNS1_3genE9ELNS1_11target_archE1100ELNS1_3gpuE3ELNS1_3repE0EEENS1_30default_config_static_selectorELNS0_4arch9wavefront6targetE0EEEvT1_ ; -- Begin function _ZN7rocprim17ROCPRIM_400000_NS6detail17trampoline_kernelINS0_14default_configENS1_25partition_config_selectorILNS1_17partition_subalgoE5EfNS0_10empty_typeEbEEZZNS1_14partition_implILS5_5ELb0ES3_mN6thrust23THRUST_200600_302600_NS6detail15normal_iteratorINSA_10device_ptrIfEEEEPS6_NSA_18transform_iteratorINSB_9not_fun_tI7is_trueIfEEENSC_INSD_IbEEEENSA_11use_defaultESO_EENS0_5tupleIJSF_S6_EEENSQ_IJSG_SG_EEES6_PlJS6_EEE10hipError_tPvRmT3_T4_T5_T6_T7_T9_mT8_P12ihipStream_tbDpT10_ENKUlT_T0_E_clISt17integral_constantIbLb0EES1C_IbLb1EEEEDaS18_S19_EUlS18_E_NS1_11comp_targetILNS1_3genE9ELNS1_11target_archE1100ELNS1_3gpuE3ELNS1_3repE0EEENS1_30default_config_static_selectorELNS0_4arch9wavefront6targetE0EEEvT1_
	.globl	_ZN7rocprim17ROCPRIM_400000_NS6detail17trampoline_kernelINS0_14default_configENS1_25partition_config_selectorILNS1_17partition_subalgoE5EfNS0_10empty_typeEbEEZZNS1_14partition_implILS5_5ELb0ES3_mN6thrust23THRUST_200600_302600_NS6detail15normal_iteratorINSA_10device_ptrIfEEEEPS6_NSA_18transform_iteratorINSB_9not_fun_tI7is_trueIfEEENSC_INSD_IbEEEENSA_11use_defaultESO_EENS0_5tupleIJSF_S6_EEENSQ_IJSG_SG_EEES6_PlJS6_EEE10hipError_tPvRmT3_T4_T5_T6_T7_T9_mT8_P12ihipStream_tbDpT10_ENKUlT_T0_E_clISt17integral_constantIbLb0EES1C_IbLb1EEEEDaS18_S19_EUlS18_E_NS1_11comp_targetILNS1_3genE9ELNS1_11target_archE1100ELNS1_3gpuE3ELNS1_3repE0EEENS1_30default_config_static_selectorELNS0_4arch9wavefront6targetE0EEEvT1_
	.p2align	8
	.type	_ZN7rocprim17ROCPRIM_400000_NS6detail17trampoline_kernelINS0_14default_configENS1_25partition_config_selectorILNS1_17partition_subalgoE5EfNS0_10empty_typeEbEEZZNS1_14partition_implILS5_5ELb0ES3_mN6thrust23THRUST_200600_302600_NS6detail15normal_iteratorINSA_10device_ptrIfEEEEPS6_NSA_18transform_iteratorINSB_9not_fun_tI7is_trueIfEEENSC_INSD_IbEEEENSA_11use_defaultESO_EENS0_5tupleIJSF_S6_EEENSQ_IJSG_SG_EEES6_PlJS6_EEE10hipError_tPvRmT3_T4_T5_T6_T7_T9_mT8_P12ihipStream_tbDpT10_ENKUlT_T0_E_clISt17integral_constantIbLb0EES1C_IbLb1EEEEDaS18_S19_EUlS18_E_NS1_11comp_targetILNS1_3genE9ELNS1_11target_archE1100ELNS1_3gpuE3ELNS1_3repE0EEENS1_30default_config_static_selectorELNS0_4arch9wavefront6targetE0EEEvT1_,@function
_ZN7rocprim17ROCPRIM_400000_NS6detail17trampoline_kernelINS0_14default_configENS1_25partition_config_selectorILNS1_17partition_subalgoE5EfNS0_10empty_typeEbEEZZNS1_14partition_implILS5_5ELb0ES3_mN6thrust23THRUST_200600_302600_NS6detail15normal_iteratorINSA_10device_ptrIfEEEEPS6_NSA_18transform_iteratorINSB_9not_fun_tI7is_trueIfEEENSC_INSD_IbEEEENSA_11use_defaultESO_EENS0_5tupleIJSF_S6_EEENSQ_IJSG_SG_EEES6_PlJS6_EEE10hipError_tPvRmT3_T4_T5_T6_T7_T9_mT8_P12ihipStream_tbDpT10_ENKUlT_T0_E_clISt17integral_constantIbLb0EES1C_IbLb1EEEEDaS18_S19_EUlS18_E_NS1_11comp_targetILNS1_3genE9ELNS1_11target_archE1100ELNS1_3gpuE3ELNS1_3repE0EEENS1_30default_config_static_selectorELNS0_4arch9wavefront6targetE0EEEvT1_: ; @_ZN7rocprim17ROCPRIM_400000_NS6detail17trampoline_kernelINS0_14default_configENS1_25partition_config_selectorILNS1_17partition_subalgoE5EfNS0_10empty_typeEbEEZZNS1_14partition_implILS5_5ELb0ES3_mN6thrust23THRUST_200600_302600_NS6detail15normal_iteratorINSA_10device_ptrIfEEEEPS6_NSA_18transform_iteratorINSB_9not_fun_tI7is_trueIfEEENSC_INSD_IbEEEENSA_11use_defaultESO_EENS0_5tupleIJSF_S6_EEENSQ_IJSG_SG_EEES6_PlJS6_EEE10hipError_tPvRmT3_T4_T5_T6_T7_T9_mT8_P12ihipStream_tbDpT10_ENKUlT_T0_E_clISt17integral_constantIbLb0EES1C_IbLb1EEEEDaS18_S19_EUlS18_E_NS1_11comp_targetILNS1_3genE9ELNS1_11target_archE1100ELNS1_3gpuE3ELNS1_3repE0EEENS1_30default_config_static_selectorELNS0_4arch9wavefront6targetE0EEEvT1_
; %bb.0:
	.section	.rodata,"a",@progbits
	.p2align	6, 0x0
	.amdhsa_kernel _ZN7rocprim17ROCPRIM_400000_NS6detail17trampoline_kernelINS0_14default_configENS1_25partition_config_selectorILNS1_17partition_subalgoE5EfNS0_10empty_typeEbEEZZNS1_14partition_implILS5_5ELb0ES3_mN6thrust23THRUST_200600_302600_NS6detail15normal_iteratorINSA_10device_ptrIfEEEEPS6_NSA_18transform_iteratorINSB_9not_fun_tI7is_trueIfEEENSC_INSD_IbEEEENSA_11use_defaultESO_EENS0_5tupleIJSF_S6_EEENSQ_IJSG_SG_EEES6_PlJS6_EEE10hipError_tPvRmT3_T4_T5_T6_T7_T9_mT8_P12ihipStream_tbDpT10_ENKUlT_T0_E_clISt17integral_constantIbLb0EES1C_IbLb1EEEEDaS18_S19_EUlS18_E_NS1_11comp_targetILNS1_3genE9ELNS1_11target_archE1100ELNS1_3gpuE3ELNS1_3repE0EEENS1_30default_config_static_selectorELNS0_4arch9wavefront6targetE0EEEvT1_
		.amdhsa_group_segment_fixed_size 0
		.amdhsa_private_segment_fixed_size 0
		.amdhsa_kernarg_size 136
		.amdhsa_user_sgpr_count 2
		.amdhsa_user_sgpr_dispatch_ptr 0
		.amdhsa_user_sgpr_queue_ptr 0
		.amdhsa_user_sgpr_kernarg_segment_ptr 1
		.amdhsa_user_sgpr_dispatch_id 0
		.amdhsa_user_sgpr_private_segment_size 0
		.amdhsa_wavefront_size32 1
		.amdhsa_uses_dynamic_stack 0
		.amdhsa_enable_private_segment 0
		.amdhsa_system_sgpr_workgroup_id_x 1
		.amdhsa_system_sgpr_workgroup_id_y 0
		.amdhsa_system_sgpr_workgroup_id_z 0
		.amdhsa_system_sgpr_workgroup_info 0
		.amdhsa_system_vgpr_workitem_id 0
		.amdhsa_next_free_vgpr 1
		.amdhsa_next_free_sgpr 1
		.amdhsa_reserve_vcc 0
		.amdhsa_float_round_mode_32 0
		.amdhsa_float_round_mode_16_64 0
		.amdhsa_float_denorm_mode_32 3
		.amdhsa_float_denorm_mode_16_64 3
		.amdhsa_fp16_overflow 0
		.amdhsa_workgroup_processor_mode 1
		.amdhsa_memory_ordered 1
		.amdhsa_forward_progress 1
		.amdhsa_inst_pref_size 0
		.amdhsa_round_robin_scheduling 0
		.amdhsa_exception_fp_ieee_invalid_op 0
		.amdhsa_exception_fp_denorm_src 0
		.amdhsa_exception_fp_ieee_div_zero 0
		.amdhsa_exception_fp_ieee_overflow 0
		.amdhsa_exception_fp_ieee_underflow 0
		.amdhsa_exception_fp_ieee_inexact 0
		.amdhsa_exception_int_div_zero 0
	.end_amdhsa_kernel
	.section	.text._ZN7rocprim17ROCPRIM_400000_NS6detail17trampoline_kernelINS0_14default_configENS1_25partition_config_selectorILNS1_17partition_subalgoE5EfNS0_10empty_typeEbEEZZNS1_14partition_implILS5_5ELb0ES3_mN6thrust23THRUST_200600_302600_NS6detail15normal_iteratorINSA_10device_ptrIfEEEEPS6_NSA_18transform_iteratorINSB_9not_fun_tI7is_trueIfEEENSC_INSD_IbEEEENSA_11use_defaultESO_EENS0_5tupleIJSF_S6_EEENSQ_IJSG_SG_EEES6_PlJS6_EEE10hipError_tPvRmT3_T4_T5_T6_T7_T9_mT8_P12ihipStream_tbDpT10_ENKUlT_T0_E_clISt17integral_constantIbLb0EES1C_IbLb1EEEEDaS18_S19_EUlS18_E_NS1_11comp_targetILNS1_3genE9ELNS1_11target_archE1100ELNS1_3gpuE3ELNS1_3repE0EEENS1_30default_config_static_selectorELNS0_4arch9wavefront6targetE0EEEvT1_,"axG",@progbits,_ZN7rocprim17ROCPRIM_400000_NS6detail17trampoline_kernelINS0_14default_configENS1_25partition_config_selectorILNS1_17partition_subalgoE5EfNS0_10empty_typeEbEEZZNS1_14partition_implILS5_5ELb0ES3_mN6thrust23THRUST_200600_302600_NS6detail15normal_iteratorINSA_10device_ptrIfEEEEPS6_NSA_18transform_iteratorINSB_9not_fun_tI7is_trueIfEEENSC_INSD_IbEEEENSA_11use_defaultESO_EENS0_5tupleIJSF_S6_EEENSQ_IJSG_SG_EEES6_PlJS6_EEE10hipError_tPvRmT3_T4_T5_T6_T7_T9_mT8_P12ihipStream_tbDpT10_ENKUlT_T0_E_clISt17integral_constantIbLb0EES1C_IbLb1EEEEDaS18_S19_EUlS18_E_NS1_11comp_targetILNS1_3genE9ELNS1_11target_archE1100ELNS1_3gpuE3ELNS1_3repE0EEENS1_30default_config_static_selectorELNS0_4arch9wavefront6targetE0EEEvT1_,comdat
.Lfunc_end2395:
	.size	_ZN7rocprim17ROCPRIM_400000_NS6detail17trampoline_kernelINS0_14default_configENS1_25partition_config_selectorILNS1_17partition_subalgoE5EfNS0_10empty_typeEbEEZZNS1_14partition_implILS5_5ELb0ES3_mN6thrust23THRUST_200600_302600_NS6detail15normal_iteratorINSA_10device_ptrIfEEEEPS6_NSA_18transform_iteratorINSB_9not_fun_tI7is_trueIfEEENSC_INSD_IbEEEENSA_11use_defaultESO_EENS0_5tupleIJSF_S6_EEENSQ_IJSG_SG_EEES6_PlJS6_EEE10hipError_tPvRmT3_T4_T5_T6_T7_T9_mT8_P12ihipStream_tbDpT10_ENKUlT_T0_E_clISt17integral_constantIbLb0EES1C_IbLb1EEEEDaS18_S19_EUlS18_E_NS1_11comp_targetILNS1_3genE9ELNS1_11target_archE1100ELNS1_3gpuE3ELNS1_3repE0EEENS1_30default_config_static_selectorELNS0_4arch9wavefront6targetE0EEEvT1_, .Lfunc_end2395-_ZN7rocprim17ROCPRIM_400000_NS6detail17trampoline_kernelINS0_14default_configENS1_25partition_config_selectorILNS1_17partition_subalgoE5EfNS0_10empty_typeEbEEZZNS1_14partition_implILS5_5ELb0ES3_mN6thrust23THRUST_200600_302600_NS6detail15normal_iteratorINSA_10device_ptrIfEEEEPS6_NSA_18transform_iteratorINSB_9not_fun_tI7is_trueIfEEENSC_INSD_IbEEEENSA_11use_defaultESO_EENS0_5tupleIJSF_S6_EEENSQ_IJSG_SG_EEES6_PlJS6_EEE10hipError_tPvRmT3_T4_T5_T6_T7_T9_mT8_P12ihipStream_tbDpT10_ENKUlT_T0_E_clISt17integral_constantIbLb0EES1C_IbLb1EEEEDaS18_S19_EUlS18_E_NS1_11comp_targetILNS1_3genE9ELNS1_11target_archE1100ELNS1_3gpuE3ELNS1_3repE0EEENS1_30default_config_static_selectorELNS0_4arch9wavefront6targetE0EEEvT1_
                                        ; -- End function
	.set _ZN7rocprim17ROCPRIM_400000_NS6detail17trampoline_kernelINS0_14default_configENS1_25partition_config_selectorILNS1_17partition_subalgoE5EfNS0_10empty_typeEbEEZZNS1_14partition_implILS5_5ELb0ES3_mN6thrust23THRUST_200600_302600_NS6detail15normal_iteratorINSA_10device_ptrIfEEEEPS6_NSA_18transform_iteratorINSB_9not_fun_tI7is_trueIfEEENSC_INSD_IbEEEENSA_11use_defaultESO_EENS0_5tupleIJSF_S6_EEENSQ_IJSG_SG_EEES6_PlJS6_EEE10hipError_tPvRmT3_T4_T5_T6_T7_T9_mT8_P12ihipStream_tbDpT10_ENKUlT_T0_E_clISt17integral_constantIbLb0EES1C_IbLb1EEEEDaS18_S19_EUlS18_E_NS1_11comp_targetILNS1_3genE9ELNS1_11target_archE1100ELNS1_3gpuE3ELNS1_3repE0EEENS1_30default_config_static_selectorELNS0_4arch9wavefront6targetE0EEEvT1_.num_vgpr, 0
	.set _ZN7rocprim17ROCPRIM_400000_NS6detail17trampoline_kernelINS0_14default_configENS1_25partition_config_selectorILNS1_17partition_subalgoE5EfNS0_10empty_typeEbEEZZNS1_14partition_implILS5_5ELb0ES3_mN6thrust23THRUST_200600_302600_NS6detail15normal_iteratorINSA_10device_ptrIfEEEEPS6_NSA_18transform_iteratorINSB_9not_fun_tI7is_trueIfEEENSC_INSD_IbEEEENSA_11use_defaultESO_EENS0_5tupleIJSF_S6_EEENSQ_IJSG_SG_EEES6_PlJS6_EEE10hipError_tPvRmT3_T4_T5_T6_T7_T9_mT8_P12ihipStream_tbDpT10_ENKUlT_T0_E_clISt17integral_constantIbLb0EES1C_IbLb1EEEEDaS18_S19_EUlS18_E_NS1_11comp_targetILNS1_3genE9ELNS1_11target_archE1100ELNS1_3gpuE3ELNS1_3repE0EEENS1_30default_config_static_selectorELNS0_4arch9wavefront6targetE0EEEvT1_.num_agpr, 0
	.set _ZN7rocprim17ROCPRIM_400000_NS6detail17trampoline_kernelINS0_14default_configENS1_25partition_config_selectorILNS1_17partition_subalgoE5EfNS0_10empty_typeEbEEZZNS1_14partition_implILS5_5ELb0ES3_mN6thrust23THRUST_200600_302600_NS6detail15normal_iteratorINSA_10device_ptrIfEEEEPS6_NSA_18transform_iteratorINSB_9not_fun_tI7is_trueIfEEENSC_INSD_IbEEEENSA_11use_defaultESO_EENS0_5tupleIJSF_S6_EEENSQ_IJSG_SG_EEES6_PlJS6_EEE10hipError_tPvRmT3_T4_T5_T6_T7_T9_mT8_P12ihipStream_tbDpT10_ENKUlT_T0_E_clISt17integral_constantIbLb0EES1C_IbLb1EEEEDaS18_S19_EUlS18_E_NS1_11comp_targetILNS1_3genE9ELNS1_11target_archE1100ELNS1_3gpuE3ELNS1_3repE0EEENS1_30default_config_static_selectorELNS0_4arch9wavefront6targetE0EEEvT1_.numbered_sgpr, 0
	.set _ZN7rocprim17ROCPRIM_400000_NS6detail17trampoline_kernelINS0_14default_configENS1_25partition_config_selectorILNS1_17partition_subalgoE5EfNS0_10empty_typeEbEEZZNS1_14partition_implILS5_5ELb0ES3_mN6thrust23THRUST_200600_302600_NS6detail15normal_iteratorINSA_10device_ptrIfEEEEPS6_NSA_18transform_iteratorINSB_9not_fun_tI7is_trueIfEEENSC_INSD_IbEEEENSA_11use_defaultESO_EENS0_5tupleIJSF_S6_EEENSQ_IJSG_SG_EEES6_PlJS6_EEE10hipError_tPvRmT3_T4_T5_T6_T7_T9_mT8_P12ihipStream_tbDpT10_ENKUlT_T0_E_clISt17integral_constantIbLb0EES1C_IbLb1EEEEDaS18_S19_EUlS18_E_NS1_11comp_targetILNS1_3genE9ELNS1_11target_archE1100ELNS1_3gpuE3ELNS1_3repE0EEENS1_30default_config_static_selectorELNS0_4arch9wavefront6targetE0EEEvT1_.num_named_barrier, 0
	.set _ZN7rocprim17ROCPRIM_400000_NS6detail17trampoline_kernelINS0_14default_configENS1_25partition_config_selectorILNS1_17partition_subalgoE5EfNS0_10empty_typeEbEEZZNS1_14partition_implILS5_5ELb0ES3_mN6thrust23THRUST_200600_302600_NS6detail15normal_iteratorINSA_10device_ptrIfEEEEPS6_NSA_18transform_iteratorINSB_9not_fun_tI7is_trueIfEEENSC_INSD_IbEEEENSA_11use_defaultESO_EENS0_5tupleIJSF_S6_EEENSQ_IJSG_SG_EEES6_PlJS6_EEE10hipError_tPvRmT3_T4_T5_T6_T7_T9_mT8_P12ihipStream_tbDpT10_ENKUlT_T0_E_clISt17integral_constantIbLb0EES1C_IbLb1EEEEDaS18_S19_EUlS18_E_NS1_11comp_targetILNS1_3genE9ELNS1_11target_archE1100ELNS1_3gpuE3ELNS1_3repE0EEENS1_30default_config_static_selectorELNS0_4arch9wavefront6targetE0EEEvT1_.private_seg_size, 0
	.set _ZN7rocprim17ROCPRIM_400000_NS6detail17trampoline_kernelINS0_14default_configENS1_25partition_config_selectorILNS1_17partition_subalgoE5EfNS0_10empty_typeEbEEZZNS1_14partition_implILS5_5ELb0ES3_mN6thrust23THRUST_200600_302600_NS6detail15normal_iteratorINSA_10device_ptrIfEEEEPS6_NSA_18transform_iteratorINSB_9not_fun_tI7is_trueIfEEENSC_INSD_IbEEEENSA_11use_defaultESO_EENS0_5tupleIJSF_S6_EEENSQ_IJSG_SG_EEES6_PlJS6_EEE10hipError_tPvRmT3_T4_T5_T6_T7_T9_mT8_P12ihipStream_tbDpT10_ENKUlT_T0_E_clISt17integral_constantIbLb0EES1C_IbLb1EEEEDaS18_S19_EUlS18_E_NS1_11comp_targetILNS1_3genE9ELNS1_11target_archE1100ELNS1_3gpuE3ELNS1_3repE0EEENS1_30default_config_static_selectorELNS0_4arch9wavefront6targetE0EEEvT1_.uses_vcc, 0
	.set _ZN7rocprim17ROCPRIM_400000_NS6detail17trampoline_kernelINS0_14default_configENS1_25partition_config_selectorILNS1_17partition_subalgoE5EfNS0_10empty_typeEbEEZZNS1_14partition_implILS5_5ELb0ES3_mN6thrust23THRUST_200600_302600_NS6detail15normal_iteratorINSA_10device_ptrIfEEEEPS6_NSA_18transform_iteratorINSB_9not_fun_tI7is_trueIfEEENSC_INSD_IbEEEENSA_11use_defaultESO_EENS0_5tupleIJSF_S6_EEENSQ_IJSG_SG_EEES6_PlJS6_EEE10hipError_tPvRmT3_T4_T5_T6_T7_T9_mT8_P12ihipStream_tbDpT10_ENKUlT_T0_E_clISt17integral_constantIbLb0EES1C_IbLb1EEEEDaS18_S19_EUlS18_E_NS1_11comp_targetILNS1_3genE9ELNS1_11target_archE1100ELNS1_3gpuE3ELNS1_3repE0EEENS1_30default_config_static_selectorELNS0_4arch9wavefront6targetE0EEEvT1_.uses_flat_scratch, 0
	.set _ZN7rocprim17ROCPRIM_400000_NS6detail17trampoline_kernelINS0_14default_configENS1_25partition_config_selectorILNS1_17partition_subalgoE5EfNS0_10empty_typeEbEEZZNS1_14partition_implILS5_5ELb0ES3_mN6thrust23THRUST_200600_302600_NS6detail15normal_iteratorINSA_10device_ptrIfEEEEPS6_NSA_18transform_iteratorINSB_9not_fun_tI7is_trueIfEEENSC_INSD_IbEEEENSA_11use_defaultESO_EENS0_5tupleIJSF_S6_EEENSQ_IJSG_SG_EEES6_PlJS6_EEE10hipError_tPvRmT3_T4_T5_T6_T7_T9_mT8_P12ihipStream_tbDpT10_ENKUlT_T0_E_clISt17integral_constantIbLb0EES1C_IbLb1EEEEDaS18_S19_EUlS18_E_NS1_11comp_targetILNS1_3genE9ELNS1_11target_archE1100ELNS1_3gpuE3ELNS1_3repE0EEENS1_30default_config_static_selectorELNS0_4arch9wavefront6targetE0EEEvT1_.has_dyn_sized_stack, 0
	.set _ZN7rocprim17ROCPRIM_400000_NS6detail17trampoline_kernelINS0_14default_configENS1_25partition_config_selectorILNS1_17partition_subalgoE5EfNS0_10empty_typeEbEEZZNS1_14partition_implILS5_5ELb0ES3_mN6thrust23THRUST_200600_302600_NS6detail15normal_iteratorINSA_10device_ptrIfEEEEPS6_NSA_18transform_iteratorINSB_9not_fun_tI7is_trueIfEEENSC_INSD_IbEEEENSA_11use_defaultESO_EENS0_5tupleIJSF_S6_EEENSQ_IJSG_SG_EEES6_PlJS6_EEE10hipError_tPvRmT3_T4_T5_T6_T7_T9_mT8_P12ihipStream_tbDpT10_ENKUlT_T0_E_clISt17integral_constantIbLb0EES1C_IbLb1EEEEDaS18_S19_EUlS18_E_NS1_11comp_targetILNS1_3genE9ELNS1_11target_archE1100ELNS1_3gpuE3ELNS1_3repE0EEENS1_30default_config_static_selectorELNS0_4arch9wavefront6targetE0EEEvT1_.has_recursion, 0
	.set _ZN7rocprim17ROCPRIM_400000_NS6detail17trampoline_kernelINS0_14default_configENS1_25partition_config_selectorILNS1_17partition_subalgoE5EfNS0_10empty_typeEbEEZZNS1_14partition_implILS5_5ELb0ES3_mN6thrust23THRUST_200600_302600_NS6detail15normal_iteratorINSA_10device_ptrIfEEEEPS6_NSA_18transform_iteratorINSB_9not_fun_tI7is_trueIfEEENSC_INSD_IbEEEENSA_11use_defaultESO_EENS0_5tupleIJSF_S6_EEENSQ_IJSG_SG_EEES6_PlJS6_EEE10hipError_tPvRmT3_T4_T5_T6_T7_T9_mT8_P12ihipStream_tbDpT10_ENKUlT_T0_E_clISt17integral_constantIbLb0EES1C_IbLb1EEEEDaS18_S19_EUlS18_E_NS1_11comp_targetILNS1_3genE9ELNS1_11target_archE1100ELNS1_3gpuE3ELNS1_3repE0EEENS1_30default_config_static_selectorELNS0_4arch9wavefront6targetE0EEEvT1_.has_indirect_call, 0
	.section	.AMDGPU.csdata,"",@progbits
; Kernel info:
; codeLenInByte = 0
; TotalNumSgprs: 0
; NumVgprs: 0
; ScratchSize: 0
; MemoryBound: 0
; FloatMode: 240
; IeeeMode: 1
; LDSByteSize: 0 bytes/workgroup (compile time only)
; SGPRBlocks: 0
; VGPRBlocks: 0
; NumSGPRsForWavesPerEU: 1
; NumVGPRsForWavesPerEU: 1
; Occupancy: 16
; WaveLimiterHint : 0
; COMPUTE_PGM_RSRC2:SCRATCH_EN: 0
; COMPUTE_PGM_RSRC2:USER_SGPR: 2
; COMPUTE_PGM_RSRC2:TRAP_HANDLER: 0
; COMPUTE_PGM_RSRC2:TGID_X_EN: 1
; COMPUTE_PGM_RSRC2:TGID_Y_EN: 0
; COMPUTE_PGM_RSRC2:TGID_Z_EN: 0
; COMPUTE_PGM_RSRC2:TIDIG_COMP_CNT: 0
	.section	.text._ZN7rocprim17ROCPRIM_400000_NS6detail17trampoline_kernelINS0_14default_configENS1_25partition_config_selectorILNS1_17partition_subalgoE5EfNS0_10empty_typeEbEEZZNS1_14partition_implILS5_5ELb0ES3_mN6thrust23THRUST_200600_302600_NS6detail15normal_iteratorINSA_10device_ptrIfEEEEPS6_NSA_18transform_iteratorINSB_9not_fun_tI7is_trueIfEEENSC_INSD_IbEEEENSA_11use_defaultESO_EENS0_5tupleIJSF_S6_EEENSQ_IJSG_SG_EEES6_PlJS6_EEE10hipError_tPvRmT3_T4_T5_T6_T7_T9_mT8_P12ihipStream_tbDpT10_ENKUlT_T0_E_clISt17integral_constantIbLb0EES1C_IbLb1EEEEDaS18_S19_EUlS18_E_NS1_11comp_targetILNS1_3genE8ELNS1_11target_archE1030ELNS1_3gpuE2ELNS1_3repE0EEENS1_30default_config_static_selectorELNS0_4arch9wavefront6targetE0EEEvT1_,"axG",@progbits,_ZN7rocprim17ROCPRIM_400000_NS6detail17trampoline_kernelINS0_14default_configENS1_25partition_config_selectorILNS1_17partition_subalgoE5EfNS0_10empty_typeEbEEZZNS1_14partition_implILS5_5ELb0ES3_mN6thrust23THRUST_200600_302600_NS6detail15normal_iteratorINSA_10device_ptrIfEEEEPS6_NSA_18transform_iteratorINSB_9not_fun_tI7is_trueIfEEENSC_INSD_IbEEEENSA_11use_defaultESO_EENS0_5tupleIJSF_S6_EEENSQ_IJSG_SG_EEES6_PlJS6_EEE10hipError_tPvRmT3_T4_T5_T6_T7_T9_mT8_P12ihipStream_tbDpT10_ENKUlT_T0_E_clISt17integral_constantIbLb0EES1C_IbLb1EEEEDaS18_S19_EUlS18_E_NS1_11comp_targetILNS1_3genE8ELNS1_11target_archE1030ELNS1_3gpuE2ELNS1_3repE0EEENS1_30default_config_static_selectorELNS0_4arch9wavefront6targetE0EEEvT1_,comdat
	.protected	_ZN7rocprim17ROCPRIM_400000_NS6detail17trampoline_kernelINS0_14default_configENS1_25partition_config_selectorILNS1_17partition_subalgoE5EfNS0_10empty_typeEbEEZZNS1_14partition_implILS5_5ELb0ES3_mN6thrust23THRUST_200600_302600_NS6detail15normal_iteratorINSA_10device_ptrIfEEEEPS6_NSA_18transform_iteratorINSB_9not_fun_tI7is_trueIfEEENSC_INSD_IbEEEENSA_11use_defaultESO_EENS0_5tupleIJSF_S6_EEENSQ_IJSG_SG_EEES6_PlJS6_EEE10hipError_tPvRmT3_T4_T5_T6_T7_T9_mT8_P12ihipStream_tbDpT10_ENKUlT_T0_E_clISt17integral_constantIbLb0EES1C_IbLb1EEEEDaS18_S19_EUlS18_E_NS1_11comp_targetILNS1_3genE8ELNS1_11target_archE1030ELNS1_3gpuE2ELNS1_3repE0EEENS1_30default_config_static_selectorELNS0_4arch9wavefront6targetE0EEEvT1_ ; -- Begin function _ZN7rocprim17ROCPRIM_400000_NS6detail17trampoline_kernelINS0_14default_configENS1_25partition_config_selectorILNS1_17partition_subalgoE5EfNS0_10empty_typeEbEEZZNS1_14partition_implILS5_5ELb0ES3_mN6thrust23THRUST_200600_302600_NS6detail15normal_iteratorINSA_10device_ptrIfEEEEPS6_NSA_18transform_iteratorINSB_9not_fun_tI7is_trueIfEEENSC_INSD_IbEEEENSA_11use_defaultESO_EENS0_5tupleIJSF_S6_EEENSQ_IJSG_SG_EEES6_PlJS6_EEE10hipError_tPvRmT3_T4_T5_T6_T7_T9_mT8_P12ihipStream_tbDpT10_ENKUlT_T0_E_clISt17integral_constantIbLb0EES1C_IbLb1EEEEDaS18_S19_EUlS18_E_NS1_11comp_targetILNS1_3genE8ELNS1_11target_archE1030ELNS1_3gpuE2ELNS1_3repE0EEENS1_30default_config_static_selectorELNS0_4arch9wavefront6targetE0EEEvT1_
	.globl	_ZN7rocprim17ROCPRIM_400000_NS6detail17trampoline_kernelINS0_14default_configENS1_25partition_config_selectorILNS1_17partition_subalgoE5EfNS0_10empty_typeEbEEZZNS1_14partition_implILS5_5ELb0ES3_mN6thrust23THRUST_200600_302600_NS6detail15normal_iteratorINSA_10device_ptrIfEEEEPS6_NSA_18transform_iteratorINSB_9not_fun_tI7is_trueIfEEENSC_INSD_IbEEEENSA_11use_defaultESO_EENS0_5tupleIJSF_S6_EEENSQ_IJSG_SG_EEES6_PlJS6_EEE10hipError_tPvRmT3_T4_T5_T6_T7_T9_mT8_P12ihipStream_tbDpT10_ENKUlT_T0_E_clISt17integral_constantIbLb0EES1C_IbLb1EEEEDaS18_S19_EUlS18_E_NS1_11comp_targetILNS1_3genE8ELNS1_11target_archE1030ELNS1_3gpuE2ELNS1_3repE0EEENS1_30default_config_static_selectorELNS0_4arch9wavefront6targetE0EEEvT1_
	.p2align	8
	.type	_ZN7rocprim17ROCPRIM_400000_NS6detail17trampoline_kernelINS0_14default_configENS1_25partition_config_selectorILNS1_17partition_subalgoE5EfNS0_10empty_typeEbEEZZNS1_14partition_implILS5_5ELb0ES3_mN6thrust23THRUST_200600_302600_NS6detail15normal_iteratorINSA_10device_ptrIfEEEEPS6_NSA_18transform_iteratorINSB_9not_fun_tI7is_trueIfEEENSC_INSD_IbEEEENSA_11use_defaultESO_EENS0_5tupleIJSF_S6_EEENSQ_IJSG_SG_EEES6_PlJS6_EEE10hipError_tPvRmT3_T4_T5_T6_T7_T9_mT8_P12ihipStream_tbDpT10_ENKUlT_T0_E_clISt17integral_constantIbLb0EES1C_IbLb1EEEEDaS18_S19_EUlS18_E_NS1_11comp_targetILNS1_3genE8ELNS1_11target_archE1030ELNS1_3gpuE2ELNS1_3repE0EEENS1_30default_config_static_selectorELNS0_4arch9wavefront6targetE0EEEvT1_,@function
_ZN7rocprim17ROCPRIM_400000_NS6detail17trampoline_kernelINS0_14default_configENS1_25partition_config_selectorILNS1_17partition_subalgoE5EfNS0_10empty_typeEbEEZZNS1_14partition_implILS5_5ELb0ES3_mN6thrust23THRUST_200600_302600_NS6detail15normal_iteratorINSA_10device_ptrIfEEEEPS6_NSA_18transform_iteratorINSB_9not_fun_tI7is_trueIfEEENSC_INSD_IbEEEENSA_11use_defaultESO_EENS0_5tupleIJSF_S6_EEENSQ_IJSG_SG_EEES6_PlJS6_EEE10hipError_tPvRmT3_T4_T5_T6_T7_T9_mT8_P12ihipStream_tbDpT10_ENKUlT_T0_E_clISt17integral_constantIbLb0EES1C_IbLb1EEEEDaS18_S19_EUlS18_E_NS1_11comp_targetILNS1_3genE8ELNS1_11target_archE1030ELNS1_3gpuE2ELNS1_3repE0EEENS1_30default_config_static_selectorELNS0_4arch9wavefront6targetE0EEEvT1_: ; @_ZN7rocprim17ROCPRIM_400000_NS6detail17trampoline_kernelINS0_14default_configENS1_25partition_config_selectorILNS1_17partition_subalgoE5EfNS0_10empty_typeEbEEZZNS1_14partition_implILS5_5ELb0ES3_mN6thrust23THRUST_200600_302600_NS6detail15normal_iteratorINSA_10device_ptrIfEEEEPS6_NSA_18transform_iteratorINSB_9not_fun_tI7is_trueIfEEENSC_INSD_IbEEEENSA_11use_defaultESO_EENS0_5tupleIJSF_S6_EEENSQ_IJSG_SG_EEES6_PlJS6_EEE10hipError_tPvRmT3_T4_T5_T6_T7_T9_mT8_P12ihipStream_tbDpT10_ENKUlT_T0_E_clISt17integral_constantIbLb0EES1C_IbLb1EEEEDaS18_S19_EUlS18_E_NS1_11comp_targetILNS1_3genE8ELNS1_11target_archE1030ELNS1_3gpuE2ELNS1_3repE0EEENS1_30default_config_static_selectorELNS0_4arch9wavefront6targetE0EEEvT1_
; %bb.0:
	.section	.rodata,"a",@progbits
	.p2align	6, 0x0
	.amdhsa_kernel _ZN7rocprim17ROCPRIM_400000_NS6detail17trampoline_kernelINS0_14default_configENS1_25partition_config_selectorILNS1_17partition_subalgoE5EfNS0_10empty_typeEbEEZZNS1_14partition_implILS5_5ELb0ES3_mN6thrust23THRUST_200600_302600_NS6detail15normal_iteratorINSA_10device_ptrIfEEEEPS6_NSA_18transform_iteratorINSB_9not_fun_tI7is_trueIfEEENSC_INSD_IbEEEENSA_11use_defaultESO_EENS0_5tupleIJSF_S6_EEENSQ_IJSG_SG_EEES6_PlJS6_EEE10hipError_tPvRmT3_T4_T5_T6_T7_T9_mT8_P12ihipStream_tbDpT10_ENKUlT_T0_E_clISt17integral_constantIbLb0EES1C_IbLb1EEEEDaS18_S19_EUlS18_E_NS1_11comp_targetILNS1_3genE8ELNS1_11target_archE1030ELNS1_3gpuE2ELNS1_3repE0EEENS1_30default_config_static_selectorELNS0_4arch9wavefront6targetE0EEEvT1_
		.amdhsa_group_segment_fixed_size 0
		.amdhsa_private_segment_fixed_size 0
		.amdhsa_kernarg_size 136
		.amdhsa_user_sgpr_count 2
		.amdhsa_user_sgpr_dispatch_ptr 0
		.amdhsa_user_sgpr_queue_ptr 0
		.amdhsa_user_sgpr_kernarg_segment_ptr 1
		.amdhsa_user_sgpr_dispatch_id 0
		.amdhsa_user_sgpr_private_segment_size 0
		.amdhsa_wavefront_size32 1
		.amdhsa_uses_dynamic_stack 0
		.amdhsa_enable_private_segment 0
		.amdhsa_system_sgpr_workgroup_id_x 1
		.amdhsa_system_sgpr_workgroup_id_y 0
		.amdhsa_system_sgpr_workgroup_id_z 0
		.amdhsa_system_sgpr_workgroup_info 0
		.amdhsa_system_vgpr_workitem_id 0
		.amdhsa_next_free_vgpr 1
		.amdhsa_next_free_sgpr 1
		.amdhsa_reserve_vcc 0
		.amdhsa_float_round_mode_32 0
		.amdhsa_float_round_mode_16_64 0
		.amdhsa_float_denorm_mode_32 3
		.amdhsa_float_denorm_mode_16_64 3
		.amdhsa_fp16_overflow 0
		.amdhsa_workgroup_processor_mode 1
		.amdhsa_memory_ordered 1
		.amdhsa_forward_progress 1
		.amdhsa_inst_pref_size 0
		.amdhsa_round_robin_scheduling 0
		.amdhsa_exception_fp_ieee_invalid_op 0
		.amdhsa_exception_fp_denorm_src 0
		.amdhsa_exception_fp_ieee_div_zero 0
		.amdhsa_exception_fp_ieee_overflow 0
		.amdhsa_exception_fp_ieee_underflow 0
		.amdhsa_exception_fp_ieee_inexact 0
		.amdhsa_exception_int_div_zero 0
	.end_amdhsa_kernel
	.section	.text._ZN7rocprim17ROCPRIM_400000_NS6detail17trampoline_kernelINS0_14default_configENS1_25partition_config_selectorILNS1_17partition_subalgoE5EfNS0_10empty_typeEbEEZZNS1_14partition_implILS5_5ELb0ES3_mN6thrust23THRUST_200600_302600_NS6detail15normal_iteratorINSA_10device_ptrIfEEEEPS6_NSA_18transform_iteratorINSB_9not_fun_tI7is_trueIfEEENSC_INSD_IbEEEENSA_11use_defaultESO_EENS0_5tupleIJSF_S6_EEENSQ_IJSG_SG_EEES6_PlJS6_EEE10hipError_tPvRmT3_T4_T5_T6_T7_T9_mT8_P12ihipStream_tbDpT10_ENKUlT_T0_E_clISt17integral_constantIbLb0EES1C_IbLb1EEEEDaS18_S19_EUlS18_E_NS1_11comp_targetILNS1_3genE8ELNS1_11target_archE1030ELNS1_3gpuE2ELNS1_3repE0EEENS1_30default_config_static_selectorELNS0_4arch9wavefront6targetE0EEEvT1_,"axG",@progbits,_ZN7rocprim17ROCPRIM_400000_NS6detail17trampoline_kernelINS0_14default_configENS1_25partition_config_selectorILNS1_17partition_subalgoE5EfNS0_10empty_typeEbEEZZNS1_14partition_implILS5_5ELb0ES3_mN6thrust23THRUST_200600_302600_NS6detail15normal_iteratorINSA_10device_ptrIfEEEEPS6_NSA_18transform_iteratorINSB_9not_fun_tI7is_trueIfEEENSC_INSD_IbEEEENSA_11use_defaultESO_EENS0_5tupleIJSF_S6_EEENSQ_IJSG_SG_EEES6_PlJS6_EEE10hipError_tPvRmT3_T4_T5_T6_T7_T9_mT8_P12ihipStream_tbDpT10_ENKUlT_T0_E_clISt17integral_constantIbLb0EES1C_IbLb1EEEEDaS18_S19_EUlS18_E_NS1_11comp_targetILNS1_3genE8ELNS1_11target_archE1030ELNS1_3gpuE2ELNS1_3repE0EEENS1_30default_config_static_selectorELNS0_4arch9wavefront6targetE0EEEvT1_,comdat
.Lfunc_end2396:
	.size	_ZN7rocprim17ROCPRIM_400000_NS6detail17trampoline_kernelINS0_14default_configENS1_25partition_config_selectorILNS1_17partition_subalgoE5EfNS0_10empty_typeEbEEZZNS1_14partition_implILS5_5ELb0ES3_mN6thrust23THRUST_200600_302600_NS6detail15normal_iteratorINSA_10device_ptrIfEEEEPS6_NSA_18transform_iteratorINSB_9not_fun_tI7is_trueIfEEENSC_INSD_IbEEEENSA_11use_defaultESO_EENS0_5tupleIJSF_S6_EEENSQ_IJSG_SG_EEES6_PlJS6_EEE10hipError_tPvRmT3_T4_T5_T6_T7_T9_mT8_P12ihipStream_tbDpT10_ENKUlT_T0_E_clISt17integral_constantIbLb0EES1C_IbLb1EEEEDaS18_S19_EUlS18_E_NS1_11comp_targetILNS1_3genE8ELNS1_11target_archE1030ELNS1_3gpuE2ELNS1_3repE0EEENS1_30default_config_static_selectorELNS0_4arch9wavefront6targetE0EEEvT1_, .Lfunc_end2396-_ZN7rocprim17ROCPRIM_400000_NS6detail17trampoline_kernelINS0_14default_configENS1_25partition_config_selectorILNS1_17partition_subalgoE5EfNS0_10empty_typeEbEEZZNS1_14partition_implILS5_5ELb0ES3_mN6thrust23THRUST_200600_302600_NS6detail15normal_iteratorINSA_10device_ptrIfEEEEPS6_NSA_18transform_iteratorINSB_9not_fun_tI7is_trueIfEEENSC_INSD_IbEEEENSA_11use_defaultESO_EENS0_5tupleIJSF_S6_EEENSQ_IJSG_SG_EEES6_PlJS6_EEE10hipError_tPvRmT3_T4_T5_T6_T7_T9_mT8_P12ihipStream_tbDpT10_ENKUlT_T0_E_clISt17integral_constantIbLb0EES1C_IbLb1EEEEDaS18_S19_EUlS18_E_NS1_11comp_targetILNS1_3genE8ELNS1_11target_archE1030ELNS1_3gpuE2ELNS1_3repE0EEENS1_30default_config_static_selectorELNS0_4arch9wavefront6targetE0EEEvT1_
                                        ; -- End function
	.set _ZN7rocprim17ROCPRIM_400000_NS6detail17trampoline_kernelINS0_14default_configENS1_25partition_config_selectorILNS1_17partition_subalgoE5EfNS0_10empty_typeEbEEZZNS1_14partition_implILS5_5ELb0ES3_mN6thrust23THRUST_200600_302600_NS6detail15normal_iteratorINSA_10device_ptrIfEEEEPS6_NSA_18transform_iteratorINSB_9not_fun_tI7is_trueIfEEENSC_INSD_IbEEEENSA_11use_defaultESO_EENS0_5tupleIJSF_S6_EEENSQ_IJSG_SG_EEES6_PlJS6_EEE10hipError_tPvRmT3_T4_T5_T6_T7_T9_mT8_P12ihipStream_tbDpT10_ENKUlT_T0_E_clISt17integral_constantIbLb0EES1C_IbLb1EEEEDaS18_S19_EUlS18_E_NS1_11comp_targetILNS1_3genE8ELNS1_11target_archE1030ELNS1_3gpuE2ELNS1_3repE0EEENS1_30default_config_static_selectorELNS0_4arch9wavefront6targetE0EEEvT1_.num_vgpr, 0
	.set _ZN7rocprim17ROCPRIM_400000_NS6detail17trampoline_kernelINS0_14default_configENS1_25partition_config_selectorILNS1_17partition_subalgoE5EfNS0_10empty_typeEbEEZZNS1_14partition_implILS5_5ELb0ES3_mN6thrust23THRUST_200600_302600_NS6detail15normal_iteratorINSA_10device_ptrIfEEEEPS6_NSA_18transform_iteratorINSB_9not_fun_tI7is_trueIfEEENSC_INSD_IbEEEENSA_11use_defaultESO_EENS0_5tupleIJSF_S6_EEENSQ_IJSG_SG_EEES6_PlJS6_EEE10hipError_tPvRmT3_T4_T5_T6_T7_T9_mT8_P12ihipStream_tbDpT10_ENKUlT_T0_E_clISt17integral_constantIbLb0EES1C_IbLb1EEEEDaS18_S19_EUlS18_E_NS1_11comp_targetILNS1_3genE8ELNS1_11target_archE1030ELNS1_3gpuE2ELNS1_3repE0EEENS1_30default_config_static_selectorELNS0_4arch9wavefront6targetE0EEEvT1_.num_agpr, 0
	.set _ZN7rocprim17ROCPRIM_400000_NS6detail17trampoline_kernelINS0_14default_configENS1_25partition_config_selectorILNS1_17partition_subalgoE5EfNS0_10empty_typeEbEEZZNS1_14partition_implILS5_5ELb0ES3_mN6thrust23THRUST_200600_302600_NS6detail15normal_iteratorINSA_10device_ptrIfEEEEPS6_NSA_18transform_iteratorINSB_9not_fun_tI7is_trueIfEEENSC_INSD_IbEEEENSA_11use_defaultESO_EENS0_5tupleIJSF_S6_EEENSQ_IJSG_SG_EEES6_PlJS6_EEE10hipError_tPvRmT3_T4_T5_T6_T7_T9_mT8_P12ihipStream_tbDpT10_ENKUlT_T0_E_clISt17integral_constantIbLb0EES1C_IbLb1EEEEDaS18_S19_EUlS18_E_NS1_11comp_targetILNS1_3genE8ELNS1_11target_archE1030ELNS1_3gpuE2ELNS1_3repE0EEENS1_30default_config_static_selectorELNS0_4arch9wavefront6targetE0EEEvT1_.numbered_sgpr, 0
	.set _ZN7rocprim17ROCPRIM_400000_NS6detail17trampoline_kernelINS0_14default_configENS1_25partition_config_selectorILNS1_17partition_subalgoE5EfNS0_10empty_typeEbEEZZNS1_14partition_implILS5_5ELb0ES3_mN6thrust23THRUST_200600_302600_NS6detail15normal_iteratorINSA_10device_ptrIfEEEEPS6_NSA_18transform_iteratorINSB_9not_fun_tI7is_trueIfEEENSC_INSD_IbEEEENSA_11use_defaultESO_EENS0_5tupleIJSF_S6_EEENSQ_IJSG_SG_EEES6_PlJS6_EEE10hipError_tPvRmT3_T4_T5_T6_T7_T9_mT8_P12ihipStream_tbDpT10_ENKUlT_T0_E_clISt17integral_constantIbLb0EES1C_IbLb1EEEEDaS18_S19_EUlS18_E_NS1_11comp_targetILNS1_3genE8ELNS1_11target_archE1030ELNS1_3gpuE2ELNS1_3repE0EEENS1_30default_config_static_selectorELNS0_4arch9wavefront6targetE0EEEvT1_.num_named_barrier, 0
	.set _ZN7rocprim17ROCPRIM_400000_NS6detail17trampoline_kernelINS0_14default_configENS1_25partition_config_selectorILNS1_17partition_subalgoE5EfNS0_10empty_typeEbEEZZNS1_14partition_implILS5_5ELb0ES3_mN6thrust23THRUST_200600_302600_NS6detail15normal_iteratorINSA_10device_ptrIfEEEEPS6_NSA_18transform_iteratorINSB_9not_fun_tI7is_trueIfEEENSC_INSD_IbEEEENSA_11use_defaultESO_EENS0_5tupleIJSF_S6_EEENSQ_IJSG_SG_EEES6_PlJS6_EEE10hipError_tPvRmT3_T4_T5_T6_T7_T9_mT8_P12ihipStream_tbDpT10_ENKUlT_T0_E_clISt17integral_constantIbLb0EES1C_IbLb1EEEEDaS18_S19_EUlS18_E_NS1_11comp_targetILNS1_3genE8ELNS1_11target_archE1030ELNS1_3gpuE2ELNS1_3repE0EEENS1_30default_config_static_selectorELNS0_4arch9wavefront6targetE0EEEvT1_.private_seg_size, 0
	.set _ZN7rocprim17ROCPRIM_400000_NS6detail17trampoline_kernelINS0_14default_configENS1_25partition_config_selectorILNS1_17partition_subalgoE5EfNS0_10empty_typeEbEEZZNS1_14partition_implILS5_5ELb0ES3_mN6thrust23THRUST_200600_302600_NS6detail15normal_iteratorINSA_10device_ptrIfEEEEPS6_NSA_18transform_iteratorINSB_9not_fun_tI7is_trueIfEEENSC_INSD_IbEEEENSA_11use_defaultESO_EENS0_5tupleIJSF_S6_EEENSQ_IJSG_SG_EEES6_PlJS6_EEE10hipError_tPvRmT3_T4_T5_T6_T7_T9_mT8_P12ihipStream_tbDpT10_ENKUlT_T0_E_clISt17integral_constantIbLb0EES1C_IbLb1EEEEDaS18_S19_EUlS18_E_NS1_11comp_targetILNS1_3genE8ELNS1_11target_archE1030ELNS1_3gpuE2ELNS1_3repE0EEENS1_30default_config_static_selectorELNS0_4arch9wavefront6targetE0EEEvT1_.uses_vcc, 0
	.set _ZN7rocprim17ROCPRIM_400000_NS6detail17trampoline_kernelINS0_14default_configENS1_25partition_config_selectorILNS1_17partition_subalgoE5EfNS0_10empty_typeEbEEZZNS1_14partition_implILS5_5ELb0ES3_mN6thrust23THRUST_200600_302600_NS6detail15normal_iteratorINSA_10device_ptrIfEEEEPS6_NSA_18transform_iteratorINSB_9not_fun_tI7is_trueIfEEENSC_INSD_IbEEEENSA_11use_defaultESO_EENS0_5tupleIJSF_S6_EEENSQ_IJSG_SG_EEES6_PlJS6_EEE10hipError_tPvRmT3_T4_T5_T6_T7_T9_mT8_P12ihipStream_tbDpT10_ENKUlT_T0_E_clISt17integral_constantIbLb0EES1C_IbLb1EEEEDaS18_S19_EUlS18_E_NS1_11comp_targetILNS1_3genE8ELNS1_11target_archE1030ELNS1_3gpuE2ELNS1_3repE0EEENS1_30default_config_static_selectorELNS0_4arch9wavefront6targetE0EEEvT1_.uses_flat_scratch, 0
	.set _ZN7rocprim17ROCPRIM_400000_NS6detail17trampoline_kernelINS0_14default_configENS1_25partition_config_selectorILNS1_17partition_subalgoE5EfNS0_10empty_typeEbEEZZNS1_14partition_implILS5_5ELb0ES3_mN6thrust23THRUST_200600_302600_NS6detail15normal_iteratorINSA_10device_ptrIfEEEEPS6_NSA_18transform_iteratorINSB_9not_fun_tI7is_trueIfEEENSC_INSD_IbEEEENSA_11use_defaultESO_EENS0_5tupleIJSF_S6_EEENSQ_IJSG_SG_EEES6_PlJS6_EEE10hipError_tPvRmT3_T4_T5_T6_T7_T9_mT8_P12ihipStream_tbDpT10_ENKUlT_T0_E_clISt17integral_constantIbLb0EES1C_IbLb1EEEEDaS18_S19_EUlS18_E_NS1_11comp_targetILNS1_3genE8ELNS1_11target_archE1030ELNS1_3gpuE2ELNS1_3repE0EEENS1_30default_config_static_selectorELNS0_4arch9wavefront6targetE0EEEvT1_.has_dyn_sized_stack, 0
	.set _ZN7rocprim17ROCPRIM_400000_NS6detail17trampoline_kernelINS0_14default_configENS1_25partition_config_selectorILNS1_17partition_subalgoE5EfNS0_10empty_typeEbEEZZNS1_14partition_implILS5_5ELb0ES3_mN6thrust23THRUST_200600_302600_NS6detail15normal_iteratorINSA_10device_ptrIfEEEEPS6_NSA_18transform_iteratorINSB_9not_fun_tI7is_trueIfEEENSC_INSD_IbEEEENSA_11use_defaultESO_EENS0_5tupleIJSF_S6_EEENSQ_IJSG_SG_EEES6_PlJS6_EEE10hipError_tPvRmT3_T4_T5_T6_T7_T9_mT8_P12ihipStream_tbDpT10_ENKUlT_T0_E_clISt17integral_constantIbLb0EES1C_IbLb1EEEEDaS18_S19_EUlS18_E_NS1_11comp_targetILNS1_3genE8ELNS1_11target_archE1030ELNS1_3gpuE2ELNS1_3repE0EEENS1_30default_config_static_selectorELNS0_4arch9wavefront6targetE0EEEvT1_.has_recursion, 0
	.set _ZN7rocprim17ROCPRIM_400000_NS6detail17trampoline_kernelINS0_14default_configENS1_25partition_config_selectorILNS1_17partition_subalgoE5EfNS0_10empty_typeEbEEZZNS1_14partition_implILS5_5ELb0ES3_mN6thrust23THRUST_200600_302600_NS6detail15normal_iteratorINSA_10device_ptrIfEEEEPS6_NSA_18transform_iteratorINSB_9not_fun_tI7is_trueIfEEENSC_INSD_IbEEEENSA_11use_defaultESO_EENS0_5tupleIJSF_S6_EEENSQ_IJSG_SG_EEES6_PlJS6_EEE10hipError_tPvRmT3_T4_T5_T6_T7_T9_mT8_P12ihipStream_tbDpT10_ENKUlT_T0_E_clISt17integral_constantIbLb0EES1C_IbLb1EEEEDaS18_S19_EUlS18_E_NS1_11comp_targetILNS1_3genE8ELNS1_11target_archE1030ELNS1_3gpuE2ELNS1_3repE0EEENS1_30default_config_static_selectorELNS0_4arch9wavefront6targetE0EEEvT1_.has_indirect_call, 0
	.section	.AMDGPU.csdata,"",@progbits
; Kernel info:
; codeLenInByte = 0
; TotalNumSgprs: 0
; NumVgprs: 0
; ScratchSize: 0
; MemoryBound: 0
; FloatMode: 240
; IeeeMode: 1
; LDSByteSize: 0 bytes/workgroup (compile time only)
; SGPRBlocks: 0
; VGPRBlocks: 0
; NumSGPRsForWavesPerEU: 1
; NumVGPRsForWavesPerEU: 1
; Occupancy: 16
; WaveLimiterHint : 0
; COMPUTE_PGM_RSRC2:SCRATCH_EN: 0
; COMPUTE_PGM_RSRC2:USER_SGPR: 2
; COMPUTE_PGM_RSRC2:TRAP_HANDLER: 0
; COMPUTE_PGM_RSRC2:TGID_X_EN: 1
; COMPUTE_PGM_RSRC2:TGID_Y_EN: 0
; COMPUTE_PGM_RSRC2:TGID_Z_EN: 0
; COMPUTE_PGM_RSRC2:TIDIG_COMP_CNT: 0
	.section	.text._ZN7rocprim17ROCPRIM_400000_NS6detail17trampoline_kernelINS0_14default_configENS1_25partition_config_selectorILNS1_17partition_subalgoE5EyNS0_10empty_typeEbEEZZNS1_14partition_implILS5_5ELb0ES3_mN6thrust23THRUST_200600_302600_NS6detail15normal_iteratorINSA_10device_ptrIyEEEEPS6_NSA_18transform_iteratorINSB_9not_fun_tI7is_trueIyEEENSC_INSD_IbEEEENSA_11use_defaultESO_EENS0_5tupleIJSF_S6_EEENSQ_IJSG_SG_EEES6_PlJS6_EEE10hipError_tPvRmT3_T4_T5_T6_T7_T9_mT8_P12ihipStream_tbDpT10_ENKUlT_T0_E_clISt17integral_constantIbLb0EES1D_EEDaS18_S19_EUlS18_E_NS1_11comp_targetILNS1_3genE0ELNS1_11target_archE4294967295ELNS1_3gpuE0ELNS1_3repE0EEENS1_30default_config_static_selectorELNS0_4arch9wavefront6targetE0EEEvT1_,"axG",@progbits,_ZN7rocprim17ROCPRIM_400000_NS6detail17trampoline_kernelINS0_14default_configENS1_25partition_config_selectorILNS1_17partition_subalgoE5EyNS0_10empty_typeEbEEZZNS1_14partition_implILS5_5ELb0ES3_mN6thrust23THRUST_200600_302600_NS6detail15normal_iteratorINSA_10device_ptrIyEEEEPS6_NSA_18transform_iteratorINSB_9not_fun_tI7is_trueIyEEENSC_INSD_IbEEEENSA_11use_defaultESO_EENS0_5tupleIJSF_S6_EEENSQ_IJSG_SG_EEES6_PlJS6_EEE10hipError_tPvRmT3_T4_T5_T6_T7_T9_mT8_P12ihipStream_tbDpT10_ENKUlT_T0_E_clISt17integral_constantIbLb0EES1D_EEDaS18_S19_EUlS18_E_NS1_11comp_targetILNS1_3genE0ELNS1_11target_archE4294967295ELNS1_3gpuE0ELNS1_3repE0EEENS1_30default_config_static_selectorELNS0_4arch9wavefront6targetE0EEEvT1_,comdat
	.protected	_ZN7rocprim17ROCPRIM_400000_NS6detail17trampoline_kernelINS0_14default_configENS1_25partition_config_selectorILNS1_17partition_subalgoE5EyNS0_10empty_typeEbEEZZNS1_14partition_implILS5_5ELb0ES3_mN6thrust23THRUST_200600_302600_NS6detail15normal_iteratorINSA_10device_ptrIyEEEEPS6_NSA_18transform_iteratorINSB_9not_fun_tI7is_trueIyEEENSC_INSD_IbEEEENSA_11use_defaultESO_EENS0_5tupleIJSF_S6_EEENSQ_IJSG_SG_EEES6_PlJS6_EEE10hipError_tPvRmT3_T4_T5_T6_T7_T9_mT8_P12ihipStream_tbDpT10_ENKUlT_T0_E_clISt17integral_constantIbLb0EES1D_EEDaS18_S19_EUlS18_E_NS1_11comp_targetILNS1_3genE0ELNS1_11target_archE4294967295ELNS1_3gpuE0ELNS1_3repE0EEENS1_30default_config_static_selectorELNS0_4arch9wavefront6targetE0EEEvT1_ ; -- Begin function _ZN7rocprim17ROCPRIM_400000_NS6detail17trampoline_kernelINS0_14default_configENS1_25partition_config_selectorILNS1_17partition_subalgoE5EyNS0_10empty_typeEbEEZZNS1_14partition_implILS5_5ELb0ES3_mN6thrust23THRUST_200600_302600_NS6detail15normal_iteratorINSA_10device_ptrIyEEEEPS6_NSA_18transform_iteratorINSB_9not_fun_tI7is_trueIyEEENSC_INSD_IbEEEENSA_11use_defaultESO_EENS0_5tupleIJSF_S6_EEENSQ_IJSG_SG_EEES6_PlJS6_EEE10hipError_tPvRmT3_T4_T5_T6_T7_T9_mT8_P12ihipStream_tbDpT10_ENKUlT_T0_E_clISt17integral_constantIbLb0EES1D_EEDaS18_S19_EUlS18_E_NS1_11comp_targetILNS1_3genE0ELNS1_11target_archE4294967295ELNS1_3gpuE0ELNS1_3repE0EEENS1_30default_config_static_selectorELNS0_4arch9wavefront6targetE0EEEvT1_
	.globl	_ZN7rocprim17ROCPRIM_400000_NS6detail17trampoline_kernelINS0_14default_configENS1_25partition_config_selectorILNS1_17partition_subalgoE5EyNS0_10empty_typeEbEEZZNS1_14partition_implILS5_5ELb0ES3_mN6thrust23THRUST_200600_302600_NS6detail15normal_iteratorINSA_10device_ptrIyEEEEPS6_NSA_18transform_iteratorINSB_9not_fun_tI7is_trueIyEEENSC_INSD_IbEEEENSA_11use_defaultESO_EENS0_5tupleIJSF_S6_EEENSQ_IJSG_SG_EEES6_PlJS6_EEE10hipError_tPvRmT3_T4_T5_T6_T7_T9_mT8_P12ihipStream_tbDpT10_ENKUlT_T0_E_clISt17integral_constantIbLb0EES1D_EEDaS18_S19_EUlS18_E_NS1_11comp_targetILNS1_3genE0ELNS1_11target_archE4294967295ELNS1_3gpuE0ELNS1_3repE0EEENS1_30default_config_static_selectorELNS0_4arch9wavefront6targetE0EEEvT1_
	.p2align	8
	.type	_ZN7rocprim17ROCPRIM_400000_NS6detail17trampoline_kernelINS0_14default_configENS1_25partition_config_selectorILNS1_17partition_subalgoE5EyNS0_10empty_typeEbEEZZNS1_14partition_implILS5_5ELb0ES3_mN6thrust23THRUST_200600_302600_NS6detail15normal_iteratorINSA_10device_ptrIyEEEEPS6_NSA_18transform_iteratorINSB_9not_fun_tI7is_trueIyEEENSC_INSD_IbEEEENSA_11use_defaultESO_EENS0_5tupleIJSF_S6_EEENSQ_IJSG_SG_EEES6_PlJS6_EEE10hipError_tPvRmT3_T4_T5_T6_T7_T9_mT8_P12ihipStream_tbDpT10_ENKUlT_T0_E_clISt17integral_constantIbLb0EES1D_EEDaS18_S19_EUlS18_E_NS1_11comp_targetILNS1_3genE0ELNS1_11target_archE4294967295ELNS1_3gpuE0ELNS1_3repE0EEENS1_30default_config_static_selectorELNS0_4arch9wavefront6targetE0EEEvT1_,@function
_ZN7rocprim17ROCPRIM_400000_NS6detail17trampoline_kernelINS0_14default_configENS1_25partition_config_selectorILNS1_17partition_subalgoE5EyNS0_10empty_typeEbEEZZNS1_14partition_implILS5_5ELb0ES3_mN6thrust23THRUST_200600_302600_NS6detail15normal_iteratorINSA_10device_ptrIyEEEEPS6_NSA_18transform_iteratorINSB_9not_fun_tI7is_trueIyEEENSC_INSD_IbEEEENSA_11use_defaultESO_EENS0_5tupleIJSF_S6_EEENSQ_IJSG_SG_EEES6_PlJS6_EEE10hipError_tPvRmT3_T4_T5_T6_T7_T9_mT8_P12ihipStream_tbDpT10_ENKUlT_T0_E_clISt17integral_constantIbLb0EES1D_EEDaS18_S19_EUlS18_E_NS1_11comp_targetILNS1_3genE0ELNS1_11target_archE4294967295ELNS1_3gpuE0ELNS1_3repE0EEENS1_30default_config_static_selectorELNS0_4arch9wavefront6targetE0EEEvT1_: ; @_ZN7rocprim17ROCPRIM_400000_NS6detail17trampoline_kernelINS0_14default_configENS1_25partition_config_selectorILNS1_17partition_subalgoE5EyNS0_10empty_typeEbEEZZNS1_14partition_implILS5_5ELb0ES3_mN6thrust23THRUST_200600_302600_NS6detail15normal_iteratorINSA_10device_ptrIyEEEEPS6_NSA_18transform_iteratorINSB_9not_fun_tI7is_trueIyEEENSC_INSD_IbEEEENSA_11use_defaultESO_EENS0_5tupleIJSF_S6_EEENSQ_IJSG_SG_EEES6_PlJS6_EEE10hipError_tPvRmT3_T4_T5_T6_T7_T9_mT8_P12ihipStream_tbDpT10_ENKUlT_T0_E_clISt17integral_constantIbLb0EES1D_EEDaS18_S19_EUlS18_E_NS1_11comp_targetILNS1_3genE0ELNS1_11target_archE4294967295ELNS1_3gpuE0ELNS1_3repE0EEENS1_30default_config_static_selectorELNS0_4arch9wavefront6targetE0EEEvT1_
; %bb.0:
	.section	.rodata,"a",@progbits
	.p2align	6, 0x0
	.amdhsa_kernel _ZN7rocprim17ROCPRIM_400000_NS6detail17trampoline_kernelINS0_14default_configENS1_25partition_config_selectorILNS1_17partition_subalgoE5EyNS0_10empty_typeEbEEZZNS1_14partition_implILS5_5ELb0ES3_mN6thrust23THRUST_200600_302600_NS6detail15normal_iteratorINSA_10device_ptrIyEEEEPS6_NSA_18transform_iteratorINSB_9not_fun_tI7is_trueIyEEENSC_INSD_IbEEEENSA_11use_defaultESO_EENS0_5tupleIJSF_S6_EEENSQ_IJSG_SG_EEES6_PlJS6_EEE10hipError_tPvRmT3_T4_T5_T6_T7_T9_mT8_P12ihipStream_tbDpT10_ENKUlT_T0_E_clISt17integral_constantIbLb0EES1D_EEDaS18_S19_EUlS18_E_NS1_11comp_targetILNS1_3genE0ELNS1_11target_archE4294967295ELNS1_3gpuE0ELNS1_3repE0EEENS1_30default_config_static_selectorELNS0_4arch9wavefront6targetE0EEEvT1_
		.amdhsa_group_segment_fixed_size 0
		.amdhsa_private_segment_fixed_size 0
		.amdhsa_kernarg_size 120
		.amdhsa_user_sgpr_count 2
		.amdhsa_user_sgpr_dispatch_ptr 0
		.amdhsa_user_sgpr_queue_ptr 0
		.amdhsa_user_sgpr_kernarg_segment_ptr 1
		.amdhsa_user_sgpr_dispatch_id 0
		.amdhsa_user_sgpr_private_segment_size 0
		.amdhsa_wavefront_size32 1
		.amdhsa_uses_dynamic_stack 0
		.amdhsa_enable_private_segment 0
		.amdhsa_system_sgpr_workgroup_id_x 1
		.amdhsa_system_sgpr_workgroup_id_y 0
		.amdhsa_system_sgpr_workgroup_id_z 0
		.amdhsa_system_sgpr_workgroup_info 0
		.amdhsa_system_vgpr_workitem_id 0
		.amdhsa_next_free_vgpr 1
		.amdhsa_next_free_sgpr 1
		.amdhsa_reserve_vcc 0
		.amdhsa_float_round_mode_32 0
		.amdhsa_float_round_mode_16_64 0
		.amdhsa_float_denorm_mode_32 3
		.amdhsa_float_denorm_mode_16_64 3
		.amdhsa_fp16_overflow 0
		.amdhsa_workgroup_processor_mode 1
		.amdhsa_memory_ordered 1
		.amdhsa_forward_progress 1
		.amdhsa_inst_pref_size 0
		.amdhsa_round_robin_scheduling 0
		.amdhsa_exception_fp_ieee_invalid_op 0
		.amdhsa_exception_fp_denorm_src 0
		.amdhsa_exception_fp_ieee_div_zero 0
		.amdhsa_exception_fp_ieee_overflow 0
		.amdhsa_exception_fp_ieee_underflow 0
		.amdhsa_exception_fp_ieee_inexact 0
		.amdhsa_exception_int_div_zero 0
	.end_amdhsa_kernel
	.section	.text._ZN7rocprim17ROCPRIM_400000_NS6detail17trampoline_kernelINS0_14default_configENS1_25partition_config_selectorILNS1_17partition_subalgoE5EyNS0_10empty_typeEbEEZZNS1_14partition_implILS5_5ELb0ES3_mN6thrust23THRUST_200600_302600_NS6detail15normal_iteratorINSA_10device_ptrIyEEEEPS6_NSA_18transform_iteratorINSB_9not_fun_tI7is_trueIyEEENSC_INSD_IbEEEENSA_11use_defaultESO_EENS0_5tupleIJSF_S6_EEENSQ_IJSG_SG_EEES6_PlJS6_EEE10hipError_tPvRmT3_T4_T5_T6_T7_T9_mT8_P12ihipStream_tbDpT10_ENKUlT_T0_E_clISt17integral_constantIbLb0EES1D_EEDaS18_S19_EUlS18_E_NS1_11comp_targetILNS1_3genE0ELNS1_11target_archE4294967295ELNS1_3gpuE0ELNS1_3repE0EEENS1_30default_config_static_selectorELNS0_4arch9wavefront6targetE0EEEvT1_,"axG",@progbits,_ZN7rocprim17ROCPRIM_400000_NS6detail17trampoline_kernelINS0_14default_configENS1_25partition_config_selectorILNS1_17partition_subalgoE5EyNS0_10empty_typeEbEEZZNS1_14partition_implILS5_5ELb0ES3_mN6thrust23THRUST_200600_302600_NS6detail15normal_iteratorINSA_10device_ptrIyEEEEPS6_NSA_18transform_iteratorINSB_9not_fun_tI7is_trueIyEEENSC_INSD_IbEEEENSA_11use_defaultESO_EENS0_5tupleIJSF_S6_EEENSQ_IJSG_SG_EEES6_PlJS6_EEE10hipError_tPvRmT3_T4_T5_T6_T7_T9_mT8_P12ihipStream_tbDpT10_ENKUlT_T0_E_clISt17integral_constantIbLb0EES1D_EEDaS18_S19_EUlS18_E_NS1_11comp_targetILNS1_3genE0ELNS1_11target_archE4294967295ELNS1_3gpuE0ELNS1_3repE0EEENS1_30default_config_static_selectorELNS0_4arch9wavefront6targetE0EEEvT1_,comdat
.Lfunc_end2397:
	.size	_ZN7rocprim17ROCPRIM_400000_NS6detail17trampoline_kernelINS0_14default_configENS1_25partition_config_selectorILNS1_17partition_subalgoE5EyNS0_10empty_typeEbEEZZNS1_14partition_implILS5_5ELb0ES3_mN6thrust23THRUST_200600_302600_NS6detail15normal_iteratorINSA_10device_ptrIyEEEEPS6_NSA_18transform_iteratorINSB_9not_fun_tI7is_trueIyEEENSC_INSD_IbEEEENSA_11use_defaultESO_EENS0_5tupleIJSF_S6_EEENSQ_IJSG_SG_EEES6_PlJS6_EEE10hipError_tPvRmT3_T4_T5_T6_T7_T9_mT8_P12ihipStream_tbDpT10_ENKUlT_T0_E_clISt17integral_constantIbLb0EES1D_EEDaS18_S19_EUlS18_E_NS1_11comp_targetILNS1_3genE0ELNS1_11target_archE4294967295ELNS1_3gpuE0ELNS1_3repE0EEENS1_30default_config_static_selectorELNS0_4arch9wavefront6targetE0EEEvT1_, .Lfunc_end2397-_ZN7rocprim17ROCPRIM_400000_NS6detail17trampoline_kernelINS0_14default_configENS1_25partition_config_selectorILNS1_17partition_subalgoE5EyNS0_10empty_typeEbEEZZNS1_14partition_implILS5_5ELb0ES3_mN6thrust23THRUST_200600_302600_NS6detail15normal_iteratorINSA_10device_ptrIyEEEEPS6_NSA_18transform_iteratorINSB_9not_fun_tI7is_trueIyEEENSC_INSD_IbEEEENSA_11use_defaultESO_EENS0_5tupleIJSF_S6_EEENSQ_IJSG_SG_EEES6_PlJS6_EEE10hipError_tPvRmT3_T4_T5_T6_T7_T9_mT8_P12ihipStream_tbDpT10_ENKUlT_T0_E_clISt17integral_constantIbLb0EES1D_EEDaS18_S19_EUlS18_E_NS1_11comp_targetILNS1_3genE0ELNS1_11target_archE4294967295ELNS1_3gpuE0ELNS1_3repE0EEENS1_30default_config_static_selectorELNS0_4arch9wavefront6targetE0EEEvT1_
                                        ; -- End function
	.set _ZN7rocprim17ROCPRIM_400000_NS6detail17trampoline_kernelINS0_14default_configENS1_25partition_config_selectorILNS1_17partition_subalgoE5EyNS0_10empty_typeEbEEZZNS1_14partition_implILS5_5ELb0ES3_mN6thrust23THRUST_200600_302600_NS6detail15normal_iteratorINSA_10device_ptrIyEEEEPS6_NSA_18transform_iteratorINSB_9not_fun_tI7is_trueIyEEENSC_INSD_IbEEEENSA_11use_defaultESO_EENS0_5tupleIJSF_S6_EEENSQ_IJSG_SG_EEES6_PlJS6_EEE10hipError_tPvRmT3_T4_T5_T6_T7_T9_mT8_P12ihipStream_tbDpT10_ENKUlT_T0_E_clISt17integral_constantIbLb0EES1D_EEDaS18_S19_EUlS18_E_NS1_11comp_targetILNS1_3genE0ELNS1_11target_archE4294967295ELNS1_3gpuE0ELNS1_3repE0EEENS1_30default_config_static_selectorELNS0_4arch9wavefront6targetE0EEEvT1_.num_vgpr, 0
	.set _ZN7rocprim17ROCPRIM_400000_NS6detail17trampoline_kernelINS0_14default_configENS1_25partition_config_selectorILNS1_17partition_subalgoE5EyNS0_10empty_typeEbEEZZNS1_14partition_implILS5_5ELb0ES3_mN6thrust23THRUST_200600_302600_NS6detail15normal_iteratorINSA_10device_ptrIyEEEEPS6_NSA_18transform_iteratorINSB_9not_fun_tI7is_trueIyEEENSC_INSD_IbEEEENSA_11use_defaultESO_EENS0_5tupleIJSF_S6_EEENSQ_IJSG_SG_EEES6_PlJS6_EEE10hipError_tPvRmT3_T4_T5_T6_T7_T9_mT8_P12ihipStream_tbDpT10_ENKUlT_T0_E_clISt17integral_constantIbLb0EES1D_EEDaS18_S19_EUlS18_E_NS1_11comp_targetILNS1_3genE0ELNS1_11target_archE4294967295ELNS1_3gpuE0ELNS1_3repE0EEENS1_30default_config_static_selectorELNS0_4arch9wavefront6targetE0EEEvT1_.num_agpr, 0
	.set _ZN7rocprim17ROCPRIM_400000_NS6detail17trampoline_kernelINS0_14default_configENS1_25partition_config_selectorILNS1_17partition_subalgoE5EyNS0_10empty_typeEbEEZZNS1_14partition_implILS5_5ELb0ES3_mN6thrust23THRUST_200600_302600_NS6detail15normal_iteratorINSA_10device_ptrIyEEEEPS6_NSA_18transform_iteratorINSB_9not_fun_tI7is_trueIyEEENSC_INSD_IbEEEENSA_11use_defaultESO_EENS0_5tupleIJSF_S6_EEENSQ_IJSG_SG_EEES6_PlJS6_EEE10hipError_tPvRmT3_T4_T5_T6_T7_T9_mT8_P12ihipStream_tbDpT10_ENKUlT_T0_E_clISt17integral_constantIbLb0EES1D_EEDaS18_S19_EUlS18_E_NS1_11comp_targetILNS1_3genE0ELNS1_11target_archE4294967295ELNS1_3gpuE0ELNS1_3repE0EEENS1_30default_config_static_selectorELNS0_4arch9wavefront6targetE0EEEvT1_.numbered_sgpr, 0
	.set _ZN7rocprim17ROCPRIM_400000_NS6detail17trampoline_kernelINS0_14default_configENS1_25partition_config_selectorILNS1_17partition_subalgoE5EyNS0_10empty_typeEbEEZZNS1_14partition_implILS5_5ELb0ES3_mN6thrust23THRUST_200600_302600_NS6detail15normal_iteratorINSA_10device_ptrIyEEEEPS6_NSA_18transform_iteratorINSB_9not_fun_tI7is_trueIyEEENSC_INSD_IbEEEENSA_11use_defaultESO_EENS0_5tupleIJSF_S6_EEENSQ_IJSG_SG_EEES6_PlJS6_EEE10hipError_tPvRmT3_T4_T5_T6_T7_T9_mT8_P12ihipStream_tbDpT10_ENKUlT_T0_E_clISt17integral_constantIbLb0EES1D_EEDaS18_S19_EUlS18_E_NS1_11comp_targetILNS1_3genE0ELNS1_11target_archE4294967295ELNS1_3gpuE0ELNS1_3repE0EEENS1_30default_config_static_selectorELNS0_4arch9wavefront6targetE0EEEvT1_.num_named_barrier, 0
	.set _ZN7rocprim17ROCPRIM_400000_NS6detail17trampoline_kernelINS0_14default_configENS1_25partition_config_selectorILNS1_17partition_subalgoE5EyNS0_10empty_typeEbEEZZNS1_14partition_implILS5_5ELb0ES3_mN6thrust23THRUST_200600_302600_NS6detail15normal_iteratorINSA_10device_ptrIyEEEEPS6_NSA_18transform_iteratorINSB_9not_fun_tI7is_trueIyEEENSC_INSD_IbEEEENSA_11use_defaultESO_EENS0_5tupleIJSF_S6_EEENSQ_IJSG_SG_EEES6_PlJS6_EEE10hipError_tPvRmT3_T4_T5_T6_T7_T9_mT8_P12ihipStream_tbDpT10_ENKUlT_T0_E_clISt17integral_constantIbLb0EES1D_EEDaS18_S19_EUlS18_E_NS1_11comp_targetILNS1_3genE0ELNS1_11target_archE4294967295ELNS1_3gpuE0ELNS1_3repE0EEENS1_30default_config_static_selectorELNS0_4arch9wavefront6targetE0EEEvT1_.private_seg_size, 0
	.set _ZN7rocprim17ROCPRIM_400000_NS6detail17trampoline_kernelINS0_14default_configENS1_25partition_config_selectorILNS1_17partition_subalgoE5EyNS0_10empty_typeEbEEZZNS1_14partition_implILS5_5ELb0ES3_mN6thrust23THRUST_200600_302600_NS6detail15normal_iteratorINSA_10device_ptrIyEEEEPS6_NSA_18transform_iteratorINSB_9not_fun_tI7is_trueIyEEENSC_INSD_IbEEEENSA_11use_defaultESO_EENS0_5tupleIJSF_S6_EEENSQ_IJSG_SG_EEES6_PlJS6_EEE10hipError_tPvRmT3_T4_T5_T6_T7_T9_mT8_P12ihipStream_tbDpT10_ENKUlT_T0_E_clISt17integral_constantIbLb0EES1D_EEDaS18_S19_EUlS18_E_NS1_11comp_targetILNS1_3genE0ELNS1_11target_archE4294967295ELNS1_3gpuE0ELNS1_3repE0EEENS1_30default_config_static_selectorELNS0_4arch9wavefront6targetE0EEEvT1_.uses_vcc, 0
	.set _ZN7rocprim17ROCPRIM_400000_NS6detail17trampoline_kernelINS0_14default_configENS1_25partition_config_selectorILNS1_17partition_subalgoE5EyNS0_10empty_typeEbEEZZNS1_14partition_implILS5_5ELb0ES3_mN6thrust23THRUST_200600_302600_NS6detail15normal_iteratorINSA_10device_ptrIyEEEEPS6_NSA_18transform_iteratorINSB_9not_fun_tI7is_trueIyEEENSC_INSD_IbEEEENSA_11use_defaultESO_EENS0_5tupleIJSF_S6_EEENSQ_IJSG_SG_EEES6_PlJS6_EEE10hipError_tPvRmT3_T4_T5_T6_T7_T9_mT8_P12ihipStream_tbDpT10_ENKUlT_T0_E_clISt17integral_constantIbLb0EES1D_EEDaS18_S19_EUlS18_E_NS1_11comp_targetILNS1_3genE0ELNS1_11target_archE4294967295ELNS1_3gpuE0ELNS1_3repE0EEENS1_30default_config_static_selectorELNS0_4arch9wavefront6targetE0EEEvT1_.uses_flat_scratch, 0
	.set _ZN7rocprim17ROCPRIM_400000_NS6detail17trampoline_kernelINS0_14default_configENS1_25partition_config_selectorILNS1_17partition_subalgoE5EyNS0_10empty_typeEbEEZZNS1_14partition_implILS5_5ELb0ES3_mN6thrust23THRUST_200600_302600_NS6detail15normal_iteratorINSA_10device_ptrIyEEEEPS6_NSA_18transform_iteratorINSB_9not_fun_tI7is_trueIyEEENSC_INSD_IbEEEENSA_11use_defaultESO_EENS0_5tupleIJSF_S6_EEENSQ_IJSG_SG_EEES6_PlJS6_EEE10hipError_tPvRmT3_T4_T5_T6_T7_T9_mT8_P12ihipStream_tbDpT10_ENKUlT_T0_E_clISt17integral_constantIbLb0EES1D_EEDaS18_S19_EUlS18_E_NS1_11comp_targetILNS1_3genE0ELNS1_11target_archE4294967295ELNS1_3gpuE0ELNS1_3repE0EEENS1_30default_config_static_selectorELNS0_4arch9wavefront6targetE0EEEvT1_.has_dyn_sized_stack, 0
	.set _ZN7rocprim17ROCPRIM_400000_NS6detail17trampoline_kernelINS0_14default_configENS1_25partition_config_selectorILNS1_17partition_subalgoE5EyNS0_10empty_typeEbEEZZNS1_14partition_implILS5_5ELb0ES3_mN6thrust23THRUST_200600_302600_NS6detail15normal_iteratorINSA_10device_ptrIyEEEEPS6_NSA_18transform_iteratorINSB_9not_fun_tI7is_trueIyEEENSC_INSD_IbEEEENSA_11use_defaultESO_EENS0_5tupleIJSF_S6_EEENSQ_IJSG_SG_EEES6_PlJS6_EEE10hipError_tPvRmT3_T4_T5_T6_T7_T9_mT8_P12ihipStream_tbDpT10_ENKUlT_T0_E_clISt17integral_constantIbLb0EES1D_EEDaS18_S19_EUlS18_E_NS1_11comp_targetILNS1_3genE0ELNS1_11target_archE4294967295ELNS1_3gpuE0ELNS1_3repE0EEENS1_30default_config_static_selectorELNS0_4arch9wavefront6targetE0EEEvT1_.has_recursion, 0
	.set _ZN7rocprim17ROCPRIM_400000_NS6detail17trampoline_kernelINS0_14default_configENS1_25partition_config_selectorILNS1_17partition_subalgoE5EyNS0_10empty_typeEbEEZZNS1_14partition_implILS5_5ELb0ES3_mN6thrust23THRUST_200600_302600_NS6detail15normal_iteratorINSA_10device_ptrIyEEEEPS6_NSA_18transform_iteratorINSB_9not_fun_tI7is_trueIyEEENSC_INSD_IbEEEENSA_11use_defaultESO_EENS0_5tupleIJSF_S6_EEENSQ_IJSG_SG_EEES6_PlJS6_EEE10hipError_tPvRmT3_T4_T5_T6_T7_T9_mT8_P12ihipStream_tbDpT10_ENKUlT_T0_E_clISt17integral_constantIbLb0EES1D_EEDaS18_S19_EUlS18_E_NS1_11comp_targetILNS1_3genE0ELNS1_11target_archE4294967295ELNS1_3gpuE0ELNS1_3repE0EEENS1_30default_config_static_selectorELNS0_4arch9wavefront6targetE0EEEvT1_.has_indirect_call, 0
	.section	.AMDGPU.csdata,"",@progbits
; Kernel info:
; codeLenInByte = 0
; TotalNumSgprs: 0
; NumVgprs: 0
; ScratchSize: 0
; MemoryBound: 0
; FloatMode: 240
; IeeeMode: 1
; LDSByteSize: 0 bytes/workgroup (compile time only)
; SGPRBlocks: 0
; VGPRBlocks: 0
; NumSGPRsForWavesPerEU: 1
; NumVGPRsForWavesPerEU: 1
; Occupancy: 16
; WaveLimiterHint : 0
; COMPUTE_PGM_RSRC2:SCRATCH_EN: 0
; COMPUTE_PGM_RSRC2:USER_SGPR: 2
; COMPUTE_PGM_RSRC2:TRAP_HANDLER: 0
; COMPUTE_PGM_RSRC2:TGID_X_EN: 1
; COMPUTE_PGM_RSRC2:TGID_Y_EN: 0
; COMPUTE_PGM_RSRC2:TGID_Z_EN: 0
; COMPUTE_PGM_RSRC2:TIDIG_COMP_CNT: 0
	.section	.text._ZN7rocprim17ROCPRIM_400000_NS6detail17trampoline_kernelINS0_14default_configENS1_25partition_config_selectorILNS1_17partition_subalgoE5EyNS0_10empty_typeEbEEZZNS1_14partition_implILS5_5ELb0ES3_mN6thrust23THRUST_200600_302600_NS6detail15normal_iteratorINSA_10device_ptrIyEEEEPS6_NSA_18transform_iteratorINSB_9not_fun_tI7is_trueIyEEENSC_INSD_IbEEEENSA_11use_defaultESO_EENS0_5tupleIJSF_S6_EEENSQ_IJSG_SG_EEES6_PlJS6_EEE10hipError_tPvRmT3_T4_T5_T6_T7_T9_mT8_P12ihipStream_tbDpT10_ENKUlT_T0_E_clISt17integral_constantIbLb0EES1D_EEDaS18_S19_EUlS18_E_NS1_11comp_targetILNS1_3genE5ELNS1_11target_archE942ELNS1_3gpuE9ELNS1_3repE0EEENS1_30default_config_static_selectorELNS0_4arch9wavefront6targetE0EEEvT1_,"axG",@progbits,_ZN7rocprim17ROCPRIM_400000_NS6detail17trampoline_kernelINS0_14default_configENS1_25partition_config_selectorILNS1_17partition_subalgoE5EyNS0_10empty_typeEbEEZZNS1_14partition_implILS5_5ELb0ES3_mN6thrust23THRUST_200600_302600_NS6detail15normal_iteratorINSA_10device_ptrIyEEEEPS6_NSA_18transform_iteratorINSB_9not_fun_tI7is_trueIyEEENSC_INSD_IbEEEENSA_11use_defaultESO_EENS0_5tupleIJSF_S6_EEENSQ_IJSG_SG_EEES6_PlJS6_EEE10hipError_tPvRmT3_T4_T5_T6_T7_T9_mT8_P12ihipStream_tbDpT10_ENKUlT_T0_E_clISt17integral_constantIbLb0EES1D_EEDaS18_S19_EUlS18_E_NS1_11comp_targetILNS1_3genE5ELNS1_11target_archE942ELNS1_3gpuE9ELNS1_3repE0EEENS1_30default_config_static_selectorELNS0_4arch9wavefront6targetE0EEEvT1_,comdat
	.protected	_ZN7rocprim17ROCPRIM_400000_NS6detail17trampoline_kernelINS0_14default_configENS1_25partition_config_selectorILNS1_17partition_subalgoE5EyNS0_10empty_typeEbEEZZNS1_14partition_implILS5_5ELb0ES3_mN6thrust23THRUST_200600_302600_NS6detail15normal_iteratorINSA_10device_ptrIyEEEEPS6_NSA_18transform_iteratorINSB_9not_fun_tI7is_trueIyEEENSC_INSD_IbEEEENSA_11use_defaultESO_EENS0_5tupleIJSF_S6_EEENSQ_IJSG_SG_EEES6_PlJS6_EEE10hipError_tPvRmT3_T4_T5_T6_T7_T9_mT8_P12ihipStream_tbDpT10_ENKUlT_T0_E_clISt17integral_constantIbLb0EES1D_EEDaS18_S19_EUlS18_E_NS1_11comp_targetILNS1_3genE5ELNS1_11target_archE942ELNS1_3gpuE9ELNS1_3repE0EEENS1_30default_config_static_selectorELNS0_4arch9wavefront6targetE0EEEvT1_ ; -- Begin function _ZN7rocprim17ROCPRIM_400000_NS6detail17trampoline_kernelINS0_14default_configENS1_25partition_config_selectorILNS1_17partition_subalgoE5EyNS0_10empty_typeEbEEZZNS1_14partition_implILS5_5ELb0ES3_mN6thrust23THRUST_200600_302600_NS6detail15normal_iteratorINSA_10device_ptrIyEEEEPS6_NSA_18transform_iteratorINSB_9not_fun_tI7is_trueIyEEENSC_INSD_IbEEEENSA_11use_defaultESO_EENS0_5tupleIJSF_S6_EEENSQ_IJSG_SG_EEES6_PlJS6_EEE10hipError_tPvRmT3_T4_T5_T6_T7_T9_mT8_P12ihipStream_tbDpT10_ENKUlT_T0_E_clISt17integral_constantIbLb0EES1D_EEDaS18_S19_EUlS18_E_NS1_11comp_targetILNS1_3genE5ELNS1_11target_archE942ELNS1_3gpuE9ELNS1_3repE0EEENS1_30default_config_static_selectorELNS0_4arch9wavefront6targetE0EEEvT1_
	.globl	_ZN7rocprim17ROCPRIM_400000_NS6detail17trampoline_kernelINS0_14default_configENS1_25partition_config_selectorILNS1_17partition_subalgoE5EyNS0_10empty_typeEbEEZZNS1_14partition_implILS5_5ELb0ES3_mN6thrust23THRUST_200600_302600_NS6detail15normal_iteratorINSA_10device_ptrIyEEEEPS6_NSA_18transform_iteratorINSB_9not_fun_tI7is_trueIyEEENSC_INSD_IbEEEENSA_11use_defaultESO_EENS0_5tupleIJSF_S6_EEENSQ_IJSG_SG_EEES6_PlJS6_EEE10hipError_tPvRmT3_T4_T5_T6_T7_T9_mT8_P12ihipStream_tbDpT10_ENKUlT_T0_E_clISt17integral_constantIbLb0EES1D_EEDaS18_S19_EUlS18_E_NS1_11comp_targetILNS1_3genE5ELNS1_11target_archE942ELNS1_3gpuE9ELNS1_3repE0EEENS1_30default_config_static_selectorELNS0_4arch9wavefront6targetE0EEEvT1_
	.p2align	8
	.type	_ZN7rocprim17ROCPRIM_400000_NS6detail17trampoline_kernelINS0_14default_configENS1_25partition_config_selectorILNS1_17partition_subalgoE5EyNS0_10empty_typeEbEEZZNS1_14partition_implILS5_5ELb0ES3_mN6thrust23THRUST_200600_302600_NS6detail15normal_iteratorINSA_10device_ptrIyEEEEPS6_NSA_18transform_iteratorINSB_9not_fun_tI7is_trueIyEEENSC_INSD_IbEEEENSA_11use_defaultESO_EENS0_5tupleIJSF_S6_EEENSQ_IJSG_SG_EEES6_PlJS6_EEE10hipError_tPvRmT3_T4_T5_T6_T7_T9_mT8_P12ihipStream_tbDpT10_ENKUlT_T0_E_clISt17integral_constantIbLb0EES1D_EEDaS18_S19_EUlS18_E_NS1_11comp_targetILNS1_3genE5ELNS1_11target_archE942ELNS1_3gpuE9ELNS1_3repE0EEENS1_30default_config_static_selectorELNS0_4arch9wavefront6targetE0EEEvT1_,@function
_ZN7rocprim17ROCPRIM_400000_NS6detail17trampoline_kernelINS0_14default_configENS1_25partition_config_selectorILNS1_17partition_subalgoE5EyNS0_10empty_typeEbEEZZNS1_14partition_implILS5_5ELb0ES3_mN6thrust23THRUST_200600_302600_NS6detail15normal_iteratorINSA_10device_ptrIyEEEEPS6_NSA_18transform_iteratorINSB_9not_fun_tI7is_trueIyEEENSC_INSD_IbEEEENSA_11use_defaultESO_EENS0_5tupleIJSF_S6_EEENSQ_IJSG_SG_EEES6_PlJS6_EEE10hipError_tPvRmT3_T4_T5_T6_T7_T9_mT8_P12ihipStream_tbDpT10_ENKUlT_T0_E_clISt17integral_constantIbLb0EES1D_EEDaS18_S19_EUlS18_E_NS1_11comp_targetILNS1_3genE5ELNS1_11target_archE942ELNS1_3gpuE9ELNS1_3repE0EEENS1_30default_config_static_selectorELNS0_4arch9wavefront6targetE0EEEvT1_: ; @_ZN7rocprim17ROCPRIM_400000_NS6detail17trampoline_kernelINS0_14default_configENS1_25partition_config_selectorILNS1_17partition_subalgoE5EyNS0_10empty_typeEbEEZZNS1_14partition_implILS5_5ELb0ES3_mN6thrust23THRUST_200600_302600_NS6detail15normal_iteratorINSA_10device_ptrIyEEEEPS6_NSA_18transform_iteratorINSB_9not_fun_tI7is_trueIyEEENSC_INSD_IbEEEENSA_11use_defaultESO_EENS0_5tupleIJSF_S6_EEENSQ_IJSG_SG_EEES6_PlJS6_EEE10hipError_tPvRmT3_T4_T5_T6_T7_T9_mT8_P12ihipStream_tbDpT10_ENKUlT_T0_E_clISt17integral_constantIbLb0EES1D_EEDaS18_S19_EUlS18_E_NS1_11comp_targetILNS1_3genE5ELNS1_11target_archE942ELNS1_3gpuE9ELNS1_3repE0EEENS1_30default_config_static_selectorELNS0_4arch9wavefront6targetE0EEEvT1_
; %bb.0:
	.section	.rodata,"a",@progbits
	.p2align	6, 0x0
	.amdhsa_kernel _ZN7rocprim17ROCPRIM_400000_NS6detail17trampoline_kernelINS0_14default_configENS1_25partition_config_selectorILNS1_17partition_subalgoE5EyNS0_10empty_typeEbEEZZNS1_14partition_implILS5_5ELb0ES3_mN6thrust23THRUST_200600_302600_NS6detail15normal_iteratorINSA_10device_ptrIyEEEEPS6_NSA_18transform_iteratorINSB_9not_fun_tI7is_trueIyEEENSC_INSD_IbEEEENSA_11use_defaultESO_EENS0_5tupleIJSF_S6_EEENSQ_IJSG_SG_EEES6_PlJS6_EEE10hipError_tPvRmT3_T4_T5_T6_T7_T9_mT8_P12ihipStream_tbDpT10_ENKUlT_T0_E_clISt17integral_constantIbLb0EES1D_EEDaS18_S19_EUlS18_E_NS1_11comp_targetILNS1_3genE5ELNS1_11target_archE942ELNS1_3gpuE9ELNS1_3repE0EEENS1_30default_config_static_selectorELNS0_4arch9wavefront6targetE0EEEvT1_
		.amdhsa_group_segment_fixed_size 0
		.amdhsa_private_segment_fixed_size 0
		.amdhsa_kernarg_size 120
		.amdhsa_user_sgpr_count 2
		.amdhsa_user_sgpr_dispatch_ptr 0
		.amdhsa_user_sgpr_queue_ptr 0
		.amdhsa_user_sgpr_kernarg_segment_ptr 1
		.amdhsa_user_sgpr_dispatch_id 0
		.amdhsa_user_sgpr_private_segment_size 0
		.amdhsa_wavefront_size32 1
		.amdhsa_uses_dynamic_stack 0
		.amdhsa_enable_private_segment 0
		.amdhsa_system_sgpr_workgroup_id_x 1
		.amdhsa_system_sgpr_workgroup_id_y 0
		.amdhsa_system_sgpr_workgroup_id_z 0
		.amdhsa_system_sgpr_workgroup_info 0
		.amdhsa_system_vgpr_workitem_id 0
		.amdhsa_next_free_vgpr 1
		.amdhsa_next_free_sgpr 1
		.amdhsa_reserve_vcc 0
		.amdhsa_float_round_mode_32 0
		.amdhsa_float_round_mode_16_64 0
		.amdhsa_float_denorm_mode_32 3
		.amdhsa_float_denorm_mode_16_64 3
		.amdhsa_fp16_overflow 0
		.amdhsa_workgroup_processor_mode 1
		.amdhsa_memory_ordered 1
		.amdhsa_forward_progress 1
		.amdhsa_inst_pref_size 0
		.amdhsa_round_robin_scheduling 0
		.amdhsa_exception_fp_ieee_invalid_op 0
		.amdhsa_exception_fp_denorm_src 0
		.amdhsa_exception_fp_ieee_div_zero 0
		.amdhsa_exception_fp_ieee_overflow 0
		.amdhsa_exception_fp_ieee_underflow 0
		.amdhsa_exception_fp_ieee_inexact 0
		.amdhsa_exception_int_div_zero 0
	.end_amdhsa_kernel
	.section	.text._ZN7rocprim17ROCPRIM_400000_NS6detail17trampoline_kernelINS0_14default_configENS1_25partition_config_selectorILNS1_17partition_subalgoE5EyNS0_10empty_typeEbEEZZNS1_14partition_implILS5_5ELb0ES3_mN6thrust23THRUST_200600_302600_NS6detail15normal_iteratorINSA_10device_ptrIyEEEEPS6_NSA_18transform_iteratorINSB_9not_fun_tI7is_trueIyEEENSC_INSD_IbEEEENSA_11use_defaultESO_EENS0_5tupleIJSF_S6_EEENSQ_IJSG_SG_EEES6_PlJS6_EEE10hipError_tPvRmT3_T4_T5_T6_T7_T9_mT8_P12ihipStream_tbDpT10_ENKUlT_T0_E_clISt17integral_constantIbLb0EES1D_EEDaS18_S19_EUlS18_E_NS1_11comp_targetILNS1_3genE5ELNS1_11target_archE942ELNS1_3gpuE9ELNS1_3repE0EEENS1_30default_config_static_selectorELNS0_4arch9wavefront6targetE0EEEvT1_,"axG",@progbits,_ZN7rocprim17ROCPRIM_400000_NS6detail17trampoline_kernelINS0_14default_configENS1_25partition_config_selectorILNS1_17partition_subalgoE5EyNS0_10empty_typeEbEEZZNS1_14partition_implILS5_5ELb0ES3_mN6thrust23THRUST_200600_302600_NS6detail15normal_iteratorINSA_10device_ptrIyEEEEPS6_NSA_18transform_iteratorINSB_9not_fun_tI7is_trueIyEEENSC_INSD_IbEEEENSA_11use_defaultESO_EENS0_5tupleIJSF_S6_EEENSQ_IJSG_SG_EEES6_PlJS6_EEE10hipError_tPvRmT3_T4_T5_T6_T7_T9_mT8_P12ihipStream_tbDpT10_ENKUlT_T0_E_clISt17integral_constantIbLb0EES1D_EEDaS18_S19_EUlS18_E_NS1_11comp_targetILNS1_3genE5ELNS1_11target_archE942ELNS1_3gpuE9ELNS1_3repE0EEENS1_30default_config_static_selectorELNS0_4arch9wavefront6targetE0EEEvT1_,comdat
.Lfunc_end2398:
	.size	_ZN7rocprim17ROCPRIM_400000_NS6detail17trampoline_kernelINS0_14default_configENS1_25partition_config_selectorILNS1_17partition_subalgoE5EyNS0_10empty_typeEbEEZZNS1_14partition_implILS5_5ELb0ES3_mN6thrust23THRUST_200600_302600_NS6detail15normal_iteratorINSA_10device_ptrIyEEEEPS6_NSA_18transform_iteratorINSB_9not_fun_tI7is_trueIyEEENSC_INSD_IbEEEENSA_11use_defaultESO_EENS0_5tupleIJSF_S6_EEENSQ_IJSG_SG_EEES6_PlJS6_EEE10hipError_tPvRmT3_T4_T5_T6_T7_T9_mT8_P12ihipStream_tbDpT10_ENKUlT_T0_E_clISt17integral_constantIbLb0EES1D_EEDaS18_S19_EUlS18_E_NS1_11comp_targetILNS1_3genE5ELNS1_11target_archE942ELNS1_3gpuE9ELNS1_3repE0EEENS1_30default_config_static_selectorELNS0_4arch9wavefront6targetE0EEEvT1_, .Lfunc_end2398-_ZN7rocprim17ROCPRIM_400000_NS6detail17trampoline_kernelINS0_14default_configENS1_25partition_config_selectorILNS1_17partition_subalgoE5EyNS0_10empty_typeEbEEZZNS1_14partition_implILS5_5ELb0ES3_mN6thrust23THRUST_200600_302600_NS6detail15normal_iteratorINSA_10device_ptrIyEEEEPS6_NSA_18transform_iteratorINSB_9not_fun_tI7is_trueIyEEENSC_INSD_IbEEEENSA_11use_defaultESO_EENS0_5tupleIJSF_S6_EEENSQ_IJSG_SG_EEES6_PlJS6_EEE10hipError_tPvRmT3_T4_T5_T6_T7_T9_mT8_P12ihipStream_tbDpT10_ENKUlT_T0_E_clISt17integral_constantIbLb0EES1D_EEDaS18_S19_EUlS18_E_NS1_11comp_targetILNS1_3genE5ELNS1_11target_archE942ELNS1_3gpuE9ELNS1_3repE0EEENS1_30default_config_static_selectorELNS0_4arch9wavefront6targetE0EEEvT1_
                                        ; -- End function
	.set _ZN7rocprim17ROCPRIM_400000_NS6detail17trampoline_kernelINS0_14default_configENS1_25partition_config_selectorILNS1_17partition_subalgoE5EyNS0_10empty_typeEbEEZZNS1_14partition_implILS5_5ELb0ES3_mN6thrust23THRUST_200600_302600_NS6detail15normal_iteratorINSA_10device_ptrIyEEEEPS6_NSA_18transform_iteratorINSB_9not_fun_tI7is_trueIyEEENSC_INSD_IbEEEENSA_11use_defaultESO_EENS0_5tupleIJSF_S6_EEENSQ_IJSG_SG_EEES6_PlJS6_EEE10hipError_tPvRmT3_T4_T5_T6_T7_T9_mT8_P12ihipStream_tbDpT10_ENKUlT_T0_E_clISt17integral_constantIbLb0EES1D_EEDaS18_S19_EUlS18_E_NS1_11comp_targetILNS1_3genE5ELNS1_11target_archE942ELNS1_3gpuE9ELNS1_3repE0EEENS1_30default_config_static_selectorELNS0_4arch9wavefront6targetE0EEEvT1_.num_vgpr, 0
	.set _ZN7rocprim17ROCPRIM_400000_NS6detail17trampoline_kernelINS0_14default_configENS1_25partition_config_selectorILNS1_17partition_subalgoE5EyNS0_10empty_typeEbEEZZNS1_14partition_implILS5_5ELb0ES3_mN6thrust23THRUST_200600_302600_NS6detail15normal_iteratorINSA_10device_ptrIyEEEEPS6_NSA_18transform_iteratorINSB_9not_fun_tI7is_trueIyEEENSC_INSD_IbEEEENSA_11use_defaultESO_EENS0_5tupleIJSF_S6_EEENSQ_IJSG_SG_EEES6_PlJS6_EEE10hipError_tPvRmT3_T4_T5_T6_T7_T9_mT8_P12ihipStream_tbDpT10_ENKUlT_T0_E_clISt17integral_constantIbLb0EES1D_EEDaS18_S19_EUlS18_E_NS1_11comp_targetILNS1_3genE5ELNS1_11target_archE942ELNS1_3gpuE9ELNS1_3repE0EEENS1_30default_config_static_selectorELNS0_4arch9wavefront6targetE0EEEvT1_.num_agpr, 0
	.set _ZN7rocprim17ROCPRIM_400000_NS6detail17trampoline_kernelINS0_14default_configENS1_25partition_config_selectorILNS1_17partition_subalgoE5EyNS0_10empty_typeEbEEZZNS1_14partition_implILS5_5ELb0ES3_mN6thrust23THRUST_200600_302600_NS6detail15normal_iteratorINSA_10device_ptrIyEEEEPS6_NSA_18transform_iteratorINSB_9not_fun_tI7is_trueIyEEENSC_INSD_IbEEEENSA_11use_defaultESO_EENS0_5tupleIJSF_S6_EEENSQ_IJSG_SG_EEES6_PlJS6_EEE10hipError_tPvRmT3_T4_T5_T6_T7_T9_mT8_P12ihipStream_tbDpT10_ENKUlT_T0_E_clISt17integral_constantIbLb0EES1D_EEDaS18_S19_EUlS18_E_NS1_11comp_targetILNS1_3genE5ELNS1_11target_archE942ELNS1_3gpuE9ELNS1_3repE0EEENS1_30default_config_static_selectorELNS0_4arch9wavefront6targetE0EEEvT1_.numbered_sgpr, 0
	.set _ZN7rocprim17ROCPRIM_400000_NS6detail17trampoline_kernelINS0_14default_configENS1_25partition_config_selectorILNS1_17partition_subalgoE5EyNS0_10empty_typeEbEEZZNS1_14partition_implILS5_5ELb0ES3_mN6thrust23THRUST_200600_302600_NS6detail15normal_iteratorINSA_10device_ptrIyEEEEPS6_NSA_18transform_iteratorINSB_9not_fun_tI7is_trueIyEEENSC_INSD_IbEEEENSA_11use_defaultESO_EENS0_5tupleIJSF_S6_EEENSQ_IJSG_SG_EEES6_PlJS6_EEE10hipError_tPvRmT3_T4_T5_T6_T7_T9_mT8_P12ihipStream_tbDpT10_ENKUlT_T0_E_clISt17integral_constantIbLb0EES1D_EEDaS18_S19_EUlS18_E_NS1_11comp_targetILNS1_3genE5ELNS1_11target_archE942ELNS1_3gpuE9ELNS1_3repE0EEENS1_30default_config_static_selectorELNS0_4arch9wavefront6targetE0EEEvT1_.num_named_barrier, 0
	.set _ZN7rocprim17ROCPRIM_400000_NS6detail17trampoline_kernelINS0_14default_configENS1_25partition_config_selectorILNS1_17partition_subalgoE5EyNS0_10empty_typeEbEEZZNS1_14partition_implILS5_5ELb0ES3_mN6thrust23THRUST_200600_302600_NS6detail15normal_iteratorINSA_10device_ptrIyEEEEPS6_NSA_18transform_iteratorINSB_9not_fun_tI7is_trueIyEEENSC_INSD_IbEEEENSA_11use_defaultESO_EENS0_5tupleIJSF_S6_EEENSQ_IJSG_SG_EEES6_PlJS6_EEE10hipError_tPvRmT3_T4_T5_T6_T7_T9_mT8_P12ihipStream_tbDpT10_ENKUlT_T0_E_clISt17integral_constantIbLb0EES1D_EEDaS18_S19_EUlS18_E_NS1_11comp_targetILNS1_3genE5ELNS1_11target_archE942ELNS1_3gpuE9ELNS1_3repE0EEENS1_30default_config_static_selectorELNS0_4arch9wavefront6targetE0EEEvT1_.private_seg_size, 0
	.set _ZN7rocprim17ROCPRIM_400000_NS6detail17trampoline_kernelINS0_14default_configENS1_25partition_config_selectorILNS1_17partition_subalgoE5EyNS0_10empty_typeEbEEZZNS1_14partition_implILS5_5ELb0ES3_mN6thrust23THRUST_200600_302600_NS6detail15normal_iteratorINSA_10device_ptrIyEEEEPS6_NSA_18transform_iteratorINSB_9not_fun_tI7is_trueIyEEENSC_INSD_IbEEEENSA_11use_defaultESO_EENS0_5tupleIJSF_S6_EEENSQ_IJSG_SG_EEES6_PlJS6_EEE10hipError_tPvRmT3_T4_T5_T6_T7_T9_mT8_P12ihipStream_tbDpT10_ENKUlT_T0_E_clISt17integral_constantIbLb0EES1D_EEDaS18_S19_EUlS18_E_NS1_11comp_targetILNS1_3genE5ELNS1_11target_archE942ELNS1_3gpuE9ELNS1_3repE0EEENS1_30default_config_static_selectorELNS0_4arch9wavefront6targetE0EEEvT1_.uses_vcc, 0
	.set _ZN7rocprim17ROCPRIM_400000_NS6detail17trampoline_kernelINS0_14default_configENS1_25partition_config_selectorILNS1_17partition_subalgoE5EyNS0_10empty_typeEbEEZZNS1_14partition_implILS5_5ELb0ES3_mN6thrust23THRUST_200600_302600_NS6detail15normal_iteratorINSA_10device_ptrIyEEEEPS6_NSA_18transform_iteratorINSB_9not_fun_tI7is_trueIyEEENSC_INSD_IbEEEENSA_11use_defaultESO_EENS0_5tupleIJSF_S6_EEENSQ_IJSG_SG_EEES6_PlJS6_EEE10hipError_tPvRmT3_T4_T5_T6_T7_T9_mT8_P12ihipStream_tbDpT10_ENKUlT_T0_E_clISt17integral_constantIbLb0EES1D_EEDaS18_S19_EUlS18_E_NS1_11comp_targetILNS1_3genE5ELNS1_11target_archE942ELNS1_3gpuE9ELNS1_3repE0EEENS1_30default_config_static_selectorELNS0_4arch9wavefront6targetE0EEEvT1_.uses_flat_scratch, 0
	.set _ZN7rocprim17ROCPRIM_400000_NS6detail17trampoline_kernelINS0_14default_configENS1_25partition_config_selectorILNS1_17partition_subalgoE5EyNS0_10empty_typeEbEEZZNS1_14partition_implILS5_5ELb0ES3_mN6thrust23THRUST_200600_302600_NS6detail15normal_iteratorINSA_10device_ptrIyEEEEPS6_NSA_18transform_iteratorINSB_9not_fun_tI7is_trueIyEEENSC_INSD_IbEEEENSA_11use_defaultESO_EENS0_5tupleIJSF_S6_EEENSQ_IJSG_SG_EEES6_PlJS6_EEE10hipError_tPvRmT3_T4_T5_T6_T7_T9_mT8_P12ihipStream_tbDpT10_ENKUlT_T0_E_clISt17integral_constantIbLb0EES1D_EEDaS18_S19_EUlS18_E_NS1_11comp_targetILNS1_3genE5ELNS1_11target_archE942ELNS1_3gpuE9ELNS1_3repE0EEENS1_30default_config_static_selectorELNS0_4arch9wavefront6targetE0EEEvT1_.has_dyn_sized_stack, 0
	.set _ZN7rocprim17ROCPRIM_400000_NS6detail17trampoline_kernelINS0_14default_configENS1_25partition_config_selectorILNS1_17partition_subalgoE5EyNS0_10empty_typeEbEEZZNS1_14partition_implILS5_5ELb0ES3_mN6thrust23THRUST_200600_302600_NS6detail15normal_iteratorINSA_10device_ptrIyEEEEPS6_NSA_18transform_iteratorINSB_9not_fun_tI7is_trueIyEEENSC_INSD_IbEEEENSA_11use_defaultESO_EENS0_5tupleIJSF_S6_EEENSQ_IJSG_SG_EEES6_PlJS6_EEE10hipError_tPvRmT3_T4_T5_T6_T7_T9_mT8_P12ihipStream_tbDpT10_ENKUlT_T0_E_clISt17integral_constantIbLb0EES1D_EEDaS18_S19_EUlS18_E_NS1_11comp_targetILNS1_3genE5ELNS1_11target_archE942ELNS1_3gpuE9ELNS1_3repE0EEENS1_30default_config_static_selectorELNS0_4arch9wavefront6targetE0EEEvT1_.has_recursion, 0
	.set _ZN7rocprim17ROCPRIM_400000_NS6detail17trampoline_kernelINS0_14default_configENS1_25partition_config_selectorILNS1_17partition_subalgoE5EyNS0_10empty_typeEbEEZZNS1_14partition_implILS5_5ELb0ES3_mN6thrust23THRUST_200600_302600_NS6detail15normal_iteratorINSA_10device_ptrIyEEEEPS6_NSA_18transform_iteratorINSB_9not_fun_tI7is_trueIyEEENSC_INSD_IbEEEENSA_11use_defaultESO_EENS0_5tupleIJSF_S6_EEENSQ_IJSG_SG_EEES6_PlJS6_EEE10hipError_tPvRmT3_T4_T5_T6_T7_T9_mT8_P12ihipStream_tbDpT10_ENKUlT_T0_E_clISt17integral_constantIbLb0EES1D_EEDaS18_S19_EUlS18_E_NS1_11comp_targetILNS1_3genE5ELNS1_11target_archE942ELNS1_3gpuE9ELNS1_3repE0EEENS1_30default_config_static_selectorELNS0_4arch9wavefront6targetE0EEEvT1_.has_indirect_call, 0
	.section	.AMDGPU.csdata,"",@progbits
; Kernel info:
; codeLenInByte = 0
; TotalNumSgprs: 0
; NumVgprs: 0
; ScratchSize: 0
; MemoryBound: 0
; FloatMode: 240
; IeeeMode: 1
; LDSByteSize: 0 bytes/workgroup (compile time only)
; SGPRBlocks: 0
; VGPRBlocks: 0
; NumSGPRsForWavesPerEU: 1
; NumVGPRsForWavesPerEU: 1
; Occupancy: 16
; WaveLimiterHint : 0
; COMPUTE_PGM_RSRC2:SCRATCH_EN: 0
; COMPUTE_PGM_RSRC2:USER_SGPR: 2
; COMPUTE_PGM_RSRC2:TRAP_HANDLER: 0
; COMPUTE_PGM_RSRC2:TGID_X_EN: 1
; COMPUTE_PGM_RSRC2:TGID_Y_EN: 0
; COMPUTE_PGM_RSRC2:TGID_Z_EN: 0
; COMPUTE_PGM_RSRC2:TIDIG_COMP_CNT: 0
	.section	.text._ZN7rocprim17ROCPRIM_400000_NS6detail17trampoline_kernelINS0_14default_configENS1_25partition_config_selectorILNS1_17partition_subalgoE5EyNS0_10empty_typeEbEEZZNS1_14partition_implILS5_5ELb0ES3_mN6thrust23THRUST_200600_302600_NS6detail15normal_iteratorINSA_10device_ptrIyEEEEPS6_NSA_18transform_iteratorINSB_9not_fun_tI7is_trueIyEEENSC_INSD_IbEEEENSA_11use_defaultESO_EENS0_5tupleIJSF_S6_EEENSQ_IJSG_SG_EEES6_PlJS6_EEE10hipError_tPvRmT3_T4_T5_T6_T7_T9_mT8_P12ihipStream_tbDpT10_ENKUlT_T0_E_clISt17integral_constantIbLb0EES1D_EEDaS18_S19_EUlS18_E_NS1_11comp_targetILNS1_3genE4ELNS1_11target_archE910ELNS1_3gpuE8ELNS1_3repE0EEENS1_30default_config_static_selectorELNS0_4arch9wavefront6targetE0EEEvT1_,"axG",@progbits,_ZN7rocprim17ROCPRIM_400000_NS6detail17trampoline_kernelINS0_14default_configENS1_25partition_config_selectorILNS1_17partition_subalgoE5EyNS0_10empty_typeEbEEZZNS1_14partition_implILS5_5ELb0ES3_mN6thrust23THRUST_200600_302600_NS6detail15normal_iteratorINSA_10device_ptrIyEEEEPS6_NSA_18transform_iteratorINSB_9not_fun_tI7is_trueIyEEENSC_INSD_IbEEEENSA_11use_defaultESO_EENS0_5tupleIJSF_S6_EEENSQ_IJSG_SG_EEES6_PlJS6_EEE10hipError_tPvRmT3_T4_T5_T6_T7_T9_mT8_P12ihipStream_tbDpT10_ENKUlT_T0_E_clISt17integral_constantIbLb0EES1D_EEDaS18_S19_EUlS18_E_NS1_11comp_targetILNS1_3genE4ELNS1_11target_archE910ELNS1_3gpuE8ELNS1_3repE0EEENS1_30default_config_static_selectorELNS0_4arch9wavefront6targetE0EEEvT1_,comdat
	.protected	_ZN7rocprim17ROCPRIM_400000_NS6detail17trampoline_kernelINS0_14default_configENS1_25partition_config_selectorILNS1_17partition_subalgoE5EyNS0_10empty_typeEbEEZZNS1_14partition_implILS5_5ELb0ES3_mN6thrust23THRUST_200600_302600_NS6detail15normal_iteratorINSA_10device_ptrIyEEEEPS6_NSA_18transform_iteratorINSB_9not_fun_tI7is_trueIyEEENSC_INSD_IbEEEENSA_11use_defaultESO_EENS0_5tupleIJSF_S6_EEENSQ_IJSG_SG_EEES6_PlJS6_EEE10hipError_tPvRmT3_T4_T5_T6_T7_T9_mT8_P12ihipStream_tbDpT10_ENKUlT_T0_E_clISt17integral_constantIbLb0EES1D_EEDaS18_S19_EUlS18_E_NS1_11comp_targetILNS1_3genE4ELNS1_11target_archE910ELNS1_3gpuE8ELNS1_3repE0EEENS1_30default_config_static_selectorELNS0_4arch9wavefront6targetE0EEEvT1_ ; -- Begin function _ZN7rocprim17ROCPRIM_400000_NS6detail17trampoline_kernelINS0_14default_configENS1_25partition_config_selectorILNS1_17partition_subalgoE5EyNS0_10empty_typeEbEEZZNS1_14partition_implILS5_5ELb0ES3_mN6thrust23THRUST_200600_302600_NS6detail15normal_iteratorINSA_10device_ptrIyEEEEPS6_NSA_18transform_iteratorINSB_9not_fun_tI7is_trueIyEEENSC_INSD_IbEEEENSA_11use_defaultESO_EENS0_5tupleIJSF_S6_EEENSQ_IJSG_SG_EEES6_PlJS6_EEE10hipError_tPvRmT3_T4_T5_T6_T7_T9_mT8_P12ihipStream_tbDpT10_ENKUlT_T0_E_clISt17integral_constantIbLb0EES1D_EEDaS18_S19_EUlS18_E_NS1_11comp_targetILNS1_3genE4ELNS1_11target_archE910ELNS1_3gpuE8ELNS1_3repE0EEENS1_30default_config_static_selectorELNS0_4arch9wavefront6targetE0EEEvT1_
	.globl	_ZN7rocprim17ROCPRIM_400000_NS6detail17trampoline_kernelINS0_14default_configENS1_25partition_config_selectorILNS1_17partition_subalgoE5EyNS0_10empty_typeEbEEZZNS1_14partition_implILS5_5ELb0ES3_mN6thrust23THRUST_200600_302600_NS6detail15normal_iteratorINSA_10device_ptrIyEEEEPS6_NSA_18transform_iteratorINSB_9not_fun_tI7is_trueIyEEENSC_INSD_IbEEEENSA_11use_defaultESO_EENS0_5tupleIJSF_S6_EEENSQ_IJSG_SG_EEES6_PlJS6_EEE10hipError_tPvRmT3_T4_T5_T6_T7_T9_mT8_P12ihipStream_tbDpT10_ENKUlT_T0_E_clISt17integral_constantIbLb0EES1D_EEDaS18_S19_EUlS18_E_NS1_11comp_targetILNS1_3genE4ELNS1_11target_archE910ELNS1_3gpuE8ELNS1_3repE0EEENS1_30default_config_static_selectorELNS0_4arch9wavefront6targetE0EEEvT1_
	.p2align	8
	.type	_ZN7rocprim17ROCPRIM_400000_NS6detail17trampoline_kernelINS0_14default_configENS1_25partition_config_selectorILNS1_17partition_subalgoE5EyNS0_10empty_typeEbEEZZNS1_14partition_implILS5_5ELb0ES3_mN6thrust23THRUST_200600_302600_NS6detail15normal_iteratorINSA_10device_ptrIyEEEEPS6_NSA_18transform_iteratorINSB_9not_fun_tI7is_trueIyEEENSC_INSD_IbEEEENSA_11use_defaultESO_EENS0_5tupleIJSF_S6_EEENSQ_IJSG_SG_EEES6_PlJS6_EEE10hipError_tPvRmT3_T4_T5_T6_T7_T9_mT8_P12ihipStream_tbDpT10_ENKUlT_T0_E_clISt17integral_constantIbLb0EES1D_EEDaS18_S19_EUlS18_E_NS1_11comp_targetILNS1_3genE4ELNS1_11target_archE910ELNS1_3gpuE8ELNS1_3repE0EEENS1_30default_config_static_selectorELNS0_4arch9wavefront6targetE0EEEvT1_,@function
_ZN7rocprim17ROCPRIM_400000_NS6detail17trampoline_kernelINS0_14default_configENS1_25partition_config_selectorILNS1_17partition_subalgoE5EyNS0_10empty_typeEbEEZZNS1_14partition_implILS5_5ELb0ES3_mN6thrust23THRUST_200600_302600_NS6detail15normal_iteratorINSA_10device_ptrIyEEEEPS6_NSA_18transform_iteratorINSB_9not_fun_tI7is_trueIyEEENSC_INSD_IbEEEENSA_11use_defaultESO_EENS0_5tupleIJSF_S6_EEENSQ_IJSG_SG_EEES6_PlJS6_EEE10hipError_tPvRmT3_T4_T5_T6_T7_T9_mT8_P12ihipStream_tbDpT10_ENKUlT_T0_E_clISt17integral_constantIbLb0EES1D_EEDaS18_S19_EUlS18_E_NS1_11comp_targetILNS1_3genE4ELNS1_11target_archE910ELNS1_3gpuE8ELNS1_3repE0EEENS1_30default_config_static_selectorELNS0_4arch9wavefront6targetE0EEEvT1_: ; @_ZN7rocprim17ROCPRIM_400000_NS6detail17trampoline_kernelINS0_14default_configENS1_25partition_config_selectorILNS1_17partition_subalgoE5EyNS0_10empty_typeEbEEZZNS1_14partition_implILS5_5ELb0ES3_mN6thrust23THRUST_200600_302600_NS6detail15normal_iteratorINSA_10device_ptrIyEEEEPS6_NSA_18transform_iteratorINSB_9not_fun_tI7is_trueIyEEENSC_INSD_IbEEEENSA_11use_defaultESO_EENS0_5tupleIJSF_S6_EEENSQ_IJSG_SG_EEES6_PlJS6_EEE10hipError_tPvRmT3_T4_T5_T6_T7_T9_mT8_P12ihipStream_tbDpT10_ENKUlT_T0_E_clISt17integral_constantIbLb0EES1D_EEDaS18_S19_EUlS18_E_NS1_11comp_targetILNS1_3genE4ELNS1_11target_archE910ELNS1_3gpuE8ELNS1_3repE0EEENS1_30default_config_static_selectorELNS0_4arch9wavefront6targetE0EEEvT1_
; %bb.0:
	.section	.rodata,"a",@progbits
	.p2align	6, 0x0
	.amdhsa_kernel _ZN7rocprim17ROCPRIM_400000_NS6detail17trampoline_kernelINS0_14default_configENS1_25partition_config_selectorILNS1_17partition_subalgoE5EyNS0_10empty_typeEbEEZZNS1_14partition_implILS5_5ELb0ES3_mN6thrust23THRUST_200600_302600_NS6detail15normal_iteratorINSA_10device_ptrIyEEEEPS6_NSA_18transform_iteratorINSB_9not_fun_tI7is_trueIyEEENSC_INSD_IbEEEENSA_11use_defaultESO_EENS0_5tupleIJSF_S6_EEENSQ_IJSG_SG_EEES6_PlJS6_EEE10hipError_tPvRmT3_T4_T5_T6_T7_T9_mT8_P12ihipStream_tbDpT10_ENKUlT_T0_E_clISt17integral_constantIbLb0EES1D_EEDaS18_S19_EUlS18_E_NS1_11comp_targetILNS1_3genE4ELNS1_11target_archE910ELNS1_3gpuE8ELNS1_3repE0EEENS1_30default_config_static_selectorELNS0_4arch9wavefront6targetE0EEEvT1_
		.amdhsa_group_segment_fixed_size 0
		.amdhsa_private_segment_fixed_size 0
		.amdhsa_kernarg_size 120
		.amdhsa_user_sgpr_count 2
		.amdhsa_user_sgpr_dispatch_ptr 0
		.amdhsa_user_sgpr_queue_ptr 0
		.amdhsa_user_sgpr_kernarg_segment_ptr 1
		.amdhsa_user_sgpr_dispatch_id 0
		.amdhsa_user_sgpr_private_segment_size 0
		.amdhsa_wavefront_size32 1
		.amdhsa_uses_dynamic_stack 0
		.amdhsa_enable_private_segment 0
		.amdhsa_system_sgpr_workgroup_id_x 1
		.amdhsa_system_sgpr_workgroup_id_y 0
		.amdhsa_system_sgpr_workgroup_id_z 0
		.amdhsa_system_sgpr_workgroup_info 0
		.amdhsa_system_vgpr_workitem_id 0
		.amdhsa_next_free_vgpr 1
		.amdhsa_next_free_sgpr 1
		.amdhsa_reserve_vcc 0
		.amdhsa_float_round_mode_32 0
		.amdhsa_float_round_mode_16_64 0
		.amdhsa_float_denorm_mode_32 3
		.amdhsa_float_denorm_mode_16_64 3
		.amdhsa_fp16_overflow 0
		.amdhsa_workgroup_processor_mode 1
		.amdhsa_memory_ordered 1
		.amdhsa_forward_progress 1
		.amdhsa_inst_pref_size 0
		.amdhsa_round_robin_scheduling 0
		.amdhsa_exception_fp_ieee_invalid_op 0
		.amdhsa_exception_fp_denorm_src 0
		.amdhsa_exception_fp_ieee_div_zero 0
		.amdhsa_exception_fp_ieee_overflow 0
		.amdhsa_exception_fp_ieee_underflow 0
		.amdhsa_exception_fp_ieee_inexact 0
		.amdhsa_exception_int_div_zero 0
	.end_amdhsa_kernel
	.section	.text._ZN7rocprim17ROCPRIM_400000_NS6detail17trampoline_kernelINS0_14default_configENS1_25partition_config_selectorILNS1_17partition_subalgoE5EyNS0_10empty_typeEbEEZZNS1_14partition_implILS5_5ELb0ES3_mN6thrust23THRUST_200600_302600_NS6detail15normal_iteratorINSA_10device_ptrIyEEEEPS6_NSA_18transform_iteratorINSB_9not_fun_tI7is_trueIyEEENSC_INSD_IbEEEENSA_11use_defaultESO_EENS0_5tupleIJSF_S6_EEENSQ_IJSG_SG_EEES6_PlJS6_EEE10hipError_tPvRmT3_T4_T5_T6_T7_T9_mT8_P12ihipStream_tbDpT10_ENKUlT_T0_E_clISt17integral_constantIbLb0EES1D_EEDaS18_S19_EUlS18_E_NS1_11comp_targetILNS1_3genE4ELNS1_11target_archE910ELNS1_3gpuE8ELNS1_3repE0EEENS1_30default_config_static_selectorELNS0_4arch9wavefront6targetE0EEEvT1_,"axG",@progbits,_ZN7rocprim17ROCPRIM_400000_NS6detail17trampoline_kernelINS0_14default_configENS1_25partition_config_selectorILNS1_17partition_subalgoE5EyNS0_10empty_typeEbEEZZNS1_14partition_implILS5_5ELb0ES3_mN6thrust23THRUST_200600_302600_NS6detail15normal_iteratorINSA_10device_ptrIyEEEEPS6_NSA_18transform_iteratorINSB_9not_fun_tI7is_trueIyEEENSC_INSD_IbEEEENSA_11use_defaultESO_EENS0_5tupleIJSF_S6_EEENSQ_IJSG_SG_EEES6_PlJS6_EEE10hipError_tPvRmT3_T4_T5_T6_T7_T9_mT8_P12ihipStream_tbDpT10_ENKUlT_T0_E_clISt17integral_constantIbLb0EES1D_EEDaS18_S19_EUlS18_E_NS1_11comp_targetILNS1_3genE4ELNS1_11target_archE910ELNS1_3gpuE8ELNS1_3repE0EEENS1_30default_config_static_selectorELNS0_4arch9wavefront6targetE0EEEvT1_,comdat
.Lfunc_end2399:
	.size	_ZN7rocprim17ROCPRIM_400000_NS6detail17trampoline_kernelINS0_14default_configENS1_25partition_config_selectorILNS1_17partition_subalgoE5EyNS0_10empty_typeEbEEZZNS1_14partition_implILS5_5ELb0ES3_mN6thrust23THRUST_200600_302600_NS6detail15normal_iteratorINSA_10device_ptrIyEEEEPS6_NSA_18transform_iteratorINSB_9not_fun_tI7is_trueIyEEENSC_INSD_IbEEEENSA_11use_defaultESO_EENS0_5tupleIJSF_S6_EEENSQ_IJSG_SG_EEES6_PlJS6_EEE10hipError_tPvRmT3_T4_T5_T6_T7_T9_mT8_P12ihipStream_tbDpT10_ENKUlT_T0_E_clISt17integral_constantIbLb0EES1D_EEDaS18_S19_EUlS18_E_NS1_11comp_targetILNS1_3genE4ELNS1_11target_archE910ELNS1_3gpuE8ELNS1_3repE0EEENS1_30default_config_static_selectorELNS0_4arch9wavefront6targetE0EEEvT1_, .Lfunc_end2399-_ZN7rocprim17ROCPRIM_400000_NS6detail17trampoline_kernelINS0_14default_configENS1_25partition_config_selectorILNS1_17partition_subalgoE5EyNS0_10empty_typeEbEEZZNS1_14partition_implILS5_5ELb0ES3_mN6thrust23THRUST_200600_302600_NS6detail15normal_iteratorINSA_10device_ptrIyEEEEPS6_NSA_18transform_iteratorINSB_9not_fun_tI7is_trueIyEEENSC_INSD_IbEEEENSA_11use_defaultESO_EENS0_5tupleIJSF_S6_EEENSQ_IJSG_SG_EEES6_PlJS6_EEE10hipError_tPvRmT3_T4_T5_T6_T7_T9_mT8_P12ihipStream_tbDpT10_ENKUlT_T0_E_clISt17integral_constantIbLb0EES1D_EEDaS18_S19_EUlS18_E_NS1_11comp_targetILNS1_3genE4ELNS1_11target_archE910ELNS1_3gpuE8ELNS1_3repE0EEENS1_30default_config_static_selectorELNS0_4arch9wavefront6targetE0EEEvT1_
                                        ; -- End function
	.set _ZN7rocprim17ROCPRIM_400000_NS6detail17trampoline_kernelINS0_14default_configENS1_25partition_config_selectorILNS1_17partition_subalgoE5EyNS0_10empty_typeEbEEZZNS1_14partition_implILS5_5ELb0ES3_mN6thrust23THRUST_200600_302600_NS6detail15normal_iteratorINSA_10device_ptrIyEEEEPS6_NSA_18transform_iteratorINSB_9not_fun_tI7is_trueIyEEENSC_INSD_IbEEEENSA_11use_defaultESO_EENS0_5tupleIJSF_S6_EEENSQ_IJSG_SG_EEES6_PlJS6_EEE10hipError_tPvRmT3_T4_T5_T6_T7_T9_mT8_P12ihipStream_tbDpT10_ENKUlT_T0_E_clISt17integral_constantIbLb0EES1D_EEDaS18_S19_EUlS18_E_NS1_11comp_targetILNS1_3genE4ELNS1_11target_archE910ELNS1_3gpuE8ELNS1_3repE0EEENS1_30default_config_static_selectorELNS0_4arch9wavefront6targetE0EEEvT1_.num_vgpr, 0
	.set _ZN7rocprim17ROCPRIM_400000_NS6detail17trampoline_kernelINS0_14default_configENS1_25partition_config_selectorILNS1_17partition_subalgoE5EyNS0_10empty_typeEbEEZZNS1_14partition_implILS5_5ELb0ES3_mN6thrust23THRUST_200600_302600_NS6detail15normal_iteratorINSA_10device_ptrIyEEEEPS6_NSA_18transform_iteratorINSB_9not_fun_tI7is_trueIyEEENSC_INSD_IbEEEENSA_11use_defaultESO_EENS0_5tupleIJSF_S6_EEENSQ_IJSG_SG_EEES6_PlJS6_EEE10hipError_tPvRmT3_T4_T5_T6_T7_T9_mT8_P12ihipStream_tbDpT10_ENKUlT_T0_E_clISt17integral_constantIbLb0EES1D_EEDaS18_S19_EUlS18_E_NS1_11comp_targetILNS1_3genE4ELNS1_11target_archE910ELNS1_3gpuE8ELNS1_3repE0EEENS1_30default_config_static_selectorELNS0_4arch9wavefront6targetE0EEEvT1_.num_agpr, 0
	.set _ZN7rocprim17ROCPRIM_400000_NS6detail17trampoline_kernelINS0_14default_configENS1_25partition_config_selectorILNS1_17partition_subalgoE5EyNS0_10empty_typeEbEEZZNS1_14partition_implILS5_5ELb0ES3_mN6thrust23THRUST_200600_302600_NS6detail15normal_iteratorINSA_10device_ptrIyEEEEPS6_NSA_18transform_iteratorINSB_9not_fun_tI7is_trueIyEEENSC_INSD_IbEEEENSA_11use_defaultESO_EENS0_5tupleIJSF_S6_EEENSQ_IJSG_SG_EEES6_PlJS6_EEE10hipError_tPvRmT3_T4_T5_T6_T7_T9_mT8_P12ihipStream_tbDpT10_ENKUlT_T0_E_clISt17integral_constantIbLb0EES1D_EEDaS18_S19_EUlS18_E_NS1_11comp_targetILNS1_3genE4ELNS1_11target_archE910ELNS1_3gpuE8ELNS1_3repE0EEENS1_30default_config_static_selectorELNS0_4arch9wavefront6targetE0EEEvT1_.numbered_sgpr, 0
	.set _ZN7rocprim17ROCPRIM_400000_NS6detail17trampoline_kernelINS0_14default_configENS1_25partition_config_selectorILNS1_17partition_subalgoE5EyNS0_10empty_typeEbEEZZNS1_14partition_implILS5_5ELb0ES3_mN6thrust23THRUST_200600_302600_NS6detail15normal_iteratorINSA_10device_ptrIyEEEEPS6_NSA_18transform_iteratorINSB_9not_fun_tI7is_trueIyEEENSC_INSD_IbEEEENSA_11use_defaultESO_EENS0_5tupleIJSF_S6_EEENSQ_IJSG_SG_EEES6_PlJS6_EEE10hipError_tPvRmT3_T4_T5_T6_T7_T9_mT8_P12ihipStream_tbDpT10_ENKUlT_T0_E_clISt17integral_constantIbLb0EES1D_EEDaS18_S19_EUlS18_E_NS1_11comp_targetILNS1_3genE4ELNS1_11target_archE910ELNS1_3gpuE8ELNS1_3repE0EEENS1_30default_config_static_selectorELNS0_4arch9wavefront6targetE0EEEvT1_.num_named_barrier, 0
	.set _ZN7rocprim17ROCPRIM_400000_NS6detail17trampoline_kernelINS0_14default_configENS1_25partition_config_selectorILNS1_17partition_subalgoE5EyNS0_10empty_typeEbEEZZNS1_14partition_implILS5_5ELb0ES3_mN6thrust23THRUST_200600_302600_NS6detail15normal_iteratorINSA_10device_ptrIyEEEEPS6_NSA_18transform_iteratorINSB_9not_fun_tI7is_trueIyEEENSC_INSD_IbEEEENSA_11use_defaultESO_EENS0_5tupleIJSF_S6_EEENSQ_IJSG_SG_EEES6_PlJS6_EEE10hipError_tPvRmT3_T4_T5_T6_T7_T9_mT8_P12ihipStream_tbDpT10_ENKUlT_T0_E_clISt17integral_constantIbLb0EES1D_EEDaS18_S19_EUlS18_E_NS1_11comp_targetILNS1_3genE4ELNS1_11target_archE910ELNS1_3gpuE8ELNS1_3repE0EEENS1_30default_config_static_selectorELNS0_4arch9wavefront6targetE0EEEvT1_.private_seg_size, 0
	.set _ZN7rocprim17ROCPRIM_400000_NS6detail17trampoline_kernelINS0_14default_configENS1_25partition_config_selectorILNS1_17partition_subalgoE5EyNS0_10empty_typeEbEEZZNS1_14partition_implILS5_5ELb0ES3_mN6thrust23THRUST_200600_302600_NS6detail15normal_iteratorINSA_10device_ptrIyEEEEPS6_NSA_18transform_iteratorINSB_9not_fun_tI7is_trueIyEEENSC_INSD_IbEEEENSA_11use_defaultESO_EENS0_5tupleIJSF_S6_EEENSQ_IJSG_SG_EEES6_PlJS6_EEE10hipError_tPvRmT3_T4_T5_T6_T7_T9_mT8_P12ihipStream_tbDpT10_ENKUlT_T0_E_clISt17integral_constantIbLb0EES1D_EEDaS18_S19_EUlS18_E_NS1_11comp_targetILNS1_3genE4ELNS1_11target_archE910ELNS1_3gpuE8ELNS1_3repE0EEENS1_30default_config_static_selectorELNS0_4arch9wavefront6targetE0EEEvT1_.uses_vcc, 0
	.set _ZN7rocprim17ROCPRIM_400000_NS6detail17trampoline_kernelINS0_14default_configENS1_25partition_config_selectorILNS1_17partition_subalgoE5EyNS0_10empty_typeEbEEZZNS1_14partition_implILS5_5ELb0ES3_mN6thrust23THRUST_200600_302600_NS6detail15normal_iteratorINSA_10device_ptrIyEEEEPS6_NSA_18transform_iteratorINSB_9not_fun_tI7is_trueIyEEENSC_INSD_IbEEEENSA_11use_defaultESO_EENS0_5tupleIJSF_S6_EEENSQ_IJSG_SG_EEES6_PlJS6_EEE10hipError_tPvRmT3_T4_T5_T6_T7_T9_mT8_P12ihipStream_tbDpT10_ENKUlT_T0_E_clISt17integral_constantIbLb0EES1D_EEDaS18_S19_EUlS18_E_NS1_11comp_targetILNS1_3genE4ELNS1_11target_archE910ELNS1_3gpuE8ELNS1_3repE0EEENS1_30default_config_static_selectorELNS0_4arch9wavefront6targetE0EEEvT1_.uses_flat_scratch, 0
	.set _ZN7rocprim17ROCPRIM_400000_NS6detail17trampoline_kernelINS0_14default_configENS1_25partition_config_selectorILNS1_17partition_subalgoE5EyNS0_10empty_typeEbEEZZNS1_14partition_implILS5_5ELb0ES3_mN6thrust23THRUST_200600_302600_NS6detail15normal_iteratorINSA_10device_ptrIyEEEEPS6_NSA_18transform_iteratorINSB_9not_fun_tI7is_trueIyEEENSC_INSD_IbEEEENSA_11use_defaultESO_EENS0_5tupleIJSF_S6_EEENSQ_IJSG_SG_EEES6_PlJS6_EEE10hipError_tPvRmT3_T4_T5_T6_T7_T9_mT8_P12ihipStream_tbDpT10_ENKUlT_T0_E_clISt17integral_constantIbLb0EES1D_EEDaS18_S19_EUlS18_E_NS1_11comp_targetILNS1_3genE4ELNS1_11target_archE910ELNS1_3gpuE8ELNS1_3repE0EEENS1_30default_config_static_selectorELNS0_4arch9wavefront6targetE0EEEvT1_.has_dyn_sized_stack, 0
	.set _ZN7rocprim17ROCPRIM_400000_NS6detail17trampoline_kernelINS0_14default_configENS1_25partition_config_selectorILNS1_17partition_subalgoE5EyNS0_10empty_typeEbEEZZNS1_14partition_implILS5_5ELb0ES3_mN6thrust23THRUST_200600_302600_NS6detail15normal_iteratorINSA_10device_ptrIyEEEEPS6_NSA_18transform_iteratorINSB_9not_fun_tI7is_trueIyEEENSC_INSD_IbEEEENSA_11use_defaultESO_EENS0_5tupleIJSF_S6_EEENSQ_IJSG_SG_EEES6_PlJS6_EEE10hipError_tPvRmT3_T4_T5_T6_T7_T9_mT8_P12ihipStream_tbDpT10_ENKUlT_T0_E_clISt17integral_constantIbLb0EES1D_EEDaS18_S19_EUlS18_E_NS1_11comp_targetILNS1_3genE4ELNS1_11target_archE910ELNS1_3gpuE8ELNS1_3repE0EEENS1_30default_config_static_selectorELNS0_4arch9wavefront6targetE0EEEvT1_.has_recursion, 0
	.set _ZN7rocprim17ROCPRIM_400000_NS6detail17trampoline_kernelINS0_14default_configENS1_25partition_config_selectorILNS1_17partition_subalgoE5EyNS0_10empty_typeEbEEZZNS1_14partition_implILS5_5ELb0ES3_mN6thrust23THRUST_200600_302600_NS6detail15normal_iteratorINSA_10device_ptrIyEEEEPS6_NSA_18transform_iteratorINSB_9not_fun_tI7is_trueIyEEENSC_INSD_IbEEEENSA_11use_defaultESO_EENS0_5tupleIJSF_S6_EEENSQ_IJSG_SG_EEES6_PlJS6_EEE10hipError_tPvRmT3_T4_T5_T6_T7_T9_mT8_P12ihipStream_tbDpT10_ENKUlT_T0_E_clISt17integral_constantIbLb0EES1D_EEDaS18_S19_EUlS18_E_NS1_11comp_targetILNS1_3genE4ELNS1_11target_archE910ELNS1_3gpuE8ELNS1_3repE0EEENS1_30default_config_static_selectorELNS0_4arch9wavefront6targetE0EEEvT1_.has_indirect_call, 0
	.section	.AMDGPU.csdata,"",@progbits
; Kernel info:
; codeLenInByte = 0
; TotalNumSgprs: 0
; NumVgprs: 0
; ScratchSize: 0
; MemoryBound: 0
; FloatMode: 240
; IeeeMode: 1
; LDSByteSize: 0 bytes/workgroup (compile time only)
; SGPRBlocks: 0
; VGPRBlocks: 0
; NumSGPRsForWavesPerEU: 1
; NumVGPRsForWavesPerEU: 1
; Occupancy: 16
; WaveLimiterHint : 0
; COMPUTE_PGM_RSRC2:SCRATCH_EN: 0
; COMPUTE_PGM_RSRC2:USER_SGPR: 2
; COMPUTE_PGM_RSRC2:TRAP_HANDLER: 0
; COMPUTE_PGM_RSRC2:TGID_X_EN: 1
; COMPUTE_PGM_RSRC2:TGID_Y_EN: 0
; COMPUTE_PGM_RSRC2:TGID_Z_EN: 0
; COMPUTE_PGM_RSRC2:TIDIG_COMP_CNT: 0
	.section	.text._ZN7rocprim17ROCPRIM_400000_NS6detail17trampoline_kernelINS0_14default_configENS1_25partition_config_selectorILNS1_17partition_subalgoE5EyNS0_10empty_typeEbEEZZNS1_14partition_implILS5_5ELb0ES3_mN6thrust23THRUST_200600_302600_NS6detail15normal_iteratorINSA_10device_ptrIyEEEEPS6_NSA_18transform_iteratorINSB_9not_fun_tI7is_trueIyEEENSC_INSD_IbEEEENSA_11use_defaultESO_EENS0_5tupleIJSF_S6_EEENSQ_IJSG_SG_EEES6_PlJS6_EEE10hipError_tPvRmT3_T4_T5_T6_T7_T9_mT8_P12ihipStream_tbDpT10_ENKUlT_T0_E_clISt17integral_constantIbLb0EES1D_EEDaS18_S19_EUlS18_E_NS1_11comp_targetILNS1_3genE3ELNS1_11target_archE908ELNS1_3gpuE7ELNS1_3repE0EEENS1_30default_config_static_selectorELNS0_4arch9wavefront6targetE0EEEvT1_,"axG",@progbits,_ZN7rocprim17ROCPRIM_400000_NS6detail17trampoline_kernelINS0_14default_configENS1_25partition_config_selectorILNS1_17partition_subalgoE5EyNS0_10empty_typeEbEEZZNS1_14partition_implILS5_5ELb0ES3_mN6thrust23THRUST_200600_302600_NS6detail15normal_iteratorINSA_10device_ptrIyEEEEPS6_NSA_18transform_iteratorINSB_9not_fun_tI7is_trueIyEEENSC_INSD_IbEEEENSA_11use_defaultESO_EENS0_5tupleIJSF_S6_EEENSQ_IJSG_SG_EEES6_PlJS6_EEE10hipError_tPvRmT3_T4_T5_T6_T7_T9_mT8_P12ihipStream_tbDpT10_ENKUlT_T0_E_clISt17integral_constantIbLb0EES1D_EEDaS18_S19_EUlS18_E_NS1_11comp_targetILNS1_3genE3ELNS1_11target_archE908ELNS1_3gpuE7ELNS1_3repE0EEENS1_30default_config_static_selectorELNS0_4arch9wavefront6targetE0EEEvT1_,comdat
	.protected	_ZN7rocprim17ROCPRIM_400000_NS6detail17trampoline_kernelINS0_14default_configENS1_25partition_config_selectorILNS1_17partition_subalgoE5EyNS0_10empty_typeEbEEZZNS1_14partition_implILS5_5ELb0ES3_mN6thrust23THRUST_200600_302600_NS6detail15normal_iteratorINSA_10device_ptrIyEEEEPS6_NSA_18transform_iteratorINSB_9not_fun_tI7is_trueIyEEENSC_INSD_IbEEEENSA_11use_defaultESO_EENS0_5tupleIJSF_S6_EEENSQ_IJSG_SG_EEES6_PlJS6_EEE10hipError_tPvRmT3_T4_T5_T6_T7_T9_mT8_P12ihipStream_tbDpT10_ENKUlT_T0_E_clISt17integral_constantIbLb0EES1D_EEDaS18_S19_EUlS18_E_NS1_11comp_targetILNS1_3genE3ELNS1_11target_archE908ELNS1_3gpuE7ELNS1_3repE0EEENS1_30default_config_static_selectorELNS0_4arch9wavefront6targetE0EEEvT1_ ; -- Begin function _ZN7rocprim17ROCPRIM_400000_NS6detail17trampoline_kernelINS0_14default_configENS1_25partition_config_selectorILNS1_17partition_subalgoE5EyNS0_10empty_typeEbEEZZNS1_14partition_implILS5_5ELb0ES3_mN6thrust23THRUST_200600_302600_NS6detail15normal_iteratorINSA_10device_ptrIyEEEEPS6_NSA_18transform_iteratorINSB_9not_fun_tI7is_trueIyEEENSC_INSD_IbEEEENSA_11use_defaultESO_EENS0_5tupleIJSF_S6_EEENSQ_IJSG_SG_EEES6_PlJS6_EEE10hipError_tPvRmT3_T4_T5_T6_T7_T9_mT8_P12ihipStream_tbDpT10_ENKUlT_T0_E_clISt17integral_constantIbLb0EES1D_EEDaS18_S19_EUlS18_E_NS1_11comp_targetILNS1_3genE3ELNS1_11target_archE908ELNS1_3gpuE7ELNS1_3repE0EEENS1_30default_config_static_selectorELNS0_4arch9wavefront6targetE0EEEvT1_
	.globl	_ZN7rocprim17ROCPRIM_400000_NS6detail17trampoline_kernelINS0_14default_configENS1_25partition_config_selectorILNS1_17partition_subalgoE5EyNS0_10empty_typeEbEEZZNS1_14partition_implILS5_5ELb0ES3_mN6thrust23THRUST_200600_302600_NS6detail15normal_iteratorINSA_10device_ptrIyEEEEPS6_NSA_18transform_iteratorINSB_9not_fun_tI7is_trueIyEEENSC_INSD_IbEEEENSA_11use_defaultESO_EENS0_5tupleIJSF_S6_EEENSQ_IJSG_SG_EEES6_PlJS6_EEE10hipError_tPvRmT3_T4_T5_T6_T7_T9_mT8_P12ihipStream_tbDpT10_ENKUlT_T0_E_clISt17integral_constantIbLb0EES1D_EEDaS18_S19_EUlS18_E_NS1_11comp_targetILNS1_3genE3ELNS1_11target_archE908ELNS1_3gpuE7ELNS1_3repE0EEENS1_30default_config_static_selectorELNS0_4arch9wavefront6targetE0EEEvT1_
	.p2align	8
	.type	_ZN7rocprim17ROCPRIM_400000_NS6detail17trampoline_kernelINS0_14default_configENS1_25partition_config_selectorILNS1_17partition_subalgoE5EyNS0_10empty_typeEbEEZZNS1_14partition_implILS5_5ELb0ES3_mN6thrust23THRUST_200600_302600_NS6detail15normal_iteratorINSA_10device_ptrIyEEEEPS6_NSA_18transform_iteratorINSB_9not_fun_tI7is_trueIyEEENSC_INSD_IbEEEENSA_11use_defaultESO_EENS0_5tupleIJSF_S6_EEENSQ_IJSG_SG_EEES6_PlJS6_EEE10hipError_tPvRmT3_T4_T5_T6_T7_T9_mT8_P12ihipStream_tbDpT10_ENKUlT_T0_E_clISt17integral_constantIbLb0EES1D_EEDaS18_S19_EUlS18_E_NS1_11comp_targetILNS1_3genE3ELNS1_11target_archE908ELNS1_3gpuE7ELNS1_3repE0EEENS1_30default_config_static_selectorELNS0_4arch9wavefront6targetE0EEEvT1_,@function
_ZN7rocprim17ROCPRIM_400000_NS6detail17trampoline_kernelINS0_14default_configENS1_25partition_config_selectorILNS1_17partition_subalgoE5EyNS0_10empty_typeEbEEZZNS1_14partition_implILS5_5ELb0ES3_mN6thrust23THRUST_200600_302600_NS6detail15normal_iteratorINSA_10device_ptrIyEEEEPS6_NSA_18transform_iteratorINSB_9not_fun_tI7is_trueIyEEENSC_INSD_IbEEEENSA_11use_defaultESO_EENS0_5tupleIJSF_S6_EEENSQ_IJSG_SG_EEES6_PlJS6_EEE10hipError_tPvRmT3_T4_T5_T6_T7_T9_mT8_P12ihipStream_tbDpT10_ENKUlT_T0_E_clISt17integral_constantIbLb0EES1D_EEDaS18_S19_EUlS18_E_NS1_11comp_targetILNS1_3genE3ELNS1_11target_archE908ELNS1_3gpuE7ELNS1_3repE0EEENS1_30default_config_static_selectorELNS0_4arch9wavefront6targetE0EEEvT1_: ; @_ZN7rocprim17ROCPRIM_400000_NS6detail17trampoline_kernelINS0_14default_configENS1_25partition_config_selectorILNS1_17partition_subalgoE5EyNS0_10empty_typeEbEEZZNS1_14partition_implILS5_5ELb0ES3_mN6thrust23THRUST_200600_302600_NS6detail15normal_iteratorINSA_10device_ptrIyEEEEPS6_NSA_18transform_iteratorINSB_9not_fun_tI7is_trueIyEEENSC_INSD_IbEEEENSA_11use_defaultESO_EENS0_5tupleIJSF_S6_EEENSQ_IJSG_SG_EEES6_PlJS6_EEE10hipError_tPvRmT3_T4_T5_T6_T7_T9_mT8_P12ihipStream_tbDpT10_ENKUlT_T0_E_clISt17integral_constantIbLb0EES1D_EEDaS18_S19_EUlS18_E_NS1_11comp_targetILNS1_3genE3ELNS1_11target_archE908ELNS1_3gpuE7ELNS1_3repE0EEENS1_30default_config_static_selectorELNS0_4arch9wavefront6targetE0EEEvT1_
; %bb.0:
	.section	.rodata,"a",@progbits
	.p2align	6, 0x0
	.amdhsa_kernel _ZN7rocprim17ROCPRIM_400000_NS6detail17trampoline_kernelINS0_14default_configENS1_25partition_config_selectorILNS1_17partition_subalgoE5EyNS0_10empty_typeEbEEZZNS1_14partition_implILS5_5ELb0ES3_mN6thrust23THRUST_200600_302600_NS6detail15normal_iteratorINSA_10device_ptrIyEEEEPS6_NSA_18transform_iteratorINSB_9not_fun_tI7is_trueIyEEENSC_INSD_IbEEEENSA_11use_defaultESO_EENS0_5tupleIJSF_S6_EEENSQ_IJSG_SG_EEES6_PlJS6_EEE10hipError_tPvRmT3_T4_T5_T6_T7_T9_mT8_P12ihipStream_tbDpT10_ENKUlT_T0_E_clISt17integral_constantIbLb0EES1D_EEDaS18_S19_EUlS18_E_NS1_11comp_targetILNS1_3genE3ELNS1_11target_archE908ELNS1_3gpuE7ELNS1_3repE0EEENS1_30default_config_static_selectorELNS0_4arch9wavefront6targetE0EEEvT1_
		.amdhsa_group_segment_fixed_size 0
		.amdhsa_private_segment_fixed_size 0
		.amdhsa_kernarg_size 120
		.amdhsa_user_sgpr_count 2
		.amdhsa_user_sgpr_dispatch_ptr 0
		.amdhsa_user_sgpr_queue_ptr 0
		.amdhsa_user_sgpr_kernarg_segment_ptr 1
		.amdhsa_user_sgpr_dispatch_id 0
		.amdhsa_user_sgpr_private_segment_size 0
		.amdhsa_wavefront_size32 1
		.amdhsa_uses_dynamic_stack 0
		.amdhsa_enable_private_segment 0
		.amdhsa_system_sgpr_workgroup_id_x 1
		.amdhsa_system_sgpr_workgroup_id_y 0
		.amdhsa_system_sgpr_workgroup_id_z 0
		.amdhsa_system_sgpr_workgroup_info 0
		.amdhsa_system_vgpr_workitem_id 0
		.amdhsa_next_free_vgpr 1
		.amdhsa_next_free_sgpr 1
		.amdhsa_reserve_vcc 0
		.amdhsa_float_round_mode_32 0
		.amdhsa_float_round_mode_16_64 0
		.amdhsa_float_denorm_mode_32 3
		.amdhsa_float_denorm_mode_16_64 3
		.amdhsa_fp16_overflow 0
		.amdhsa_workgroup_processor_mode 1
		.amdhsa_memory_ordered 1
		.amdhsa_forward_progress 1
		.amdhsa_inst_pref_size 0
		.amdhsa_round_robin_scheduling 0
		.amdhsa_exception_fp_ieee_invalid_op 0
		.amdhsa_exception_fp_denorm_src 0
		.amdhsa_exception_fp_ieee_div_zero 0
		.amdhsa_exception_fp_ieee_overflow 0
		.amdhsa_exception_fp_ieee_underflow 0
		.amdhsa_exception_fp_ieee_inexact 0
		.amdhsa_exception_int_div_zero 0
	.end_amdhsa_kernel
	.section	.text._ZN7rocprim17ROCPRIM_400000_NS6detail17trampoline_kernelINS0_14default_configENS1_25partition_config_selectorILNS1_17partition_subalgoE5EyNS0_10empty_typeEbEEZZNS1_14partition_implILS5_5ELb0ES3_mN6thrust23THRUST_200600_302600_NS6detail15normal_iteratorINSA_10device_ptrIyEEEEPS6_NSA_18transform_iteratorINSB_9not_fun_tI7is_trueIyEEENSC_INSD_IbEEEENSA_11use_defaultESO_EENS0_5tupleIJSF_S6_EEENSQ_IJSG_SG_EEES6_PlJS6_EEE10hipError_tPvRmT3_T4_T5_T6_T7_T9_mT8_P12ihipStream_tbDpT10_ENKUlT_T0_E_clISt17integral_constantIbLb0EES1D_EEDaS18_S19_EUlS18_E_NS1_11comp_targetILNS1_3genE3ELNS1_11target_archE908ELNS1_3gpuE7ELNS1_3repE0EEENS1_30default_config_static_selectorELNS0_4arch9wavefront6targetE0EEEvT1_,"axG",@progbits,_ZN7rocprim17ROCPRIM_400000_NS6detail17trampoline_kernelINS0_14default_configENS1_25partition_config_selectorILNS1_17partition_subalgoE5EyNS0_10empty_typeEbEEZZNS1_14partition_implILS5_5ELb0ES3_mN6thrust23THRUST_200600_302600_NS6detail15normal_iteratorINSA_10device_ptrIyEEEEPS6_NSA_18transform_iteratorINSB_9not_fun_tI7is_trueIyEEENSC_INSD_IbEEEENSA_11use_defaultESO_EENS0_5tupleIJSF_S6_EEENSQ_IJSG_SG_EEES6_PlJS6_EEE10hipError_tPvRmT3_T4_T5_T6_T7_T9_mT8_P12ihipStream_tbDpT10_ENKUlT_T0_E_clISt17integral_constantIbLb0EES1D_EEDaS18_S19_EUlS18_E_NS1_11comp_targetILNS1_3genE3ELNS1_11target_archE908ELNS1_3gpuE7ELNS1_3repE0EEENS1_30default_config_static_selectorELNS0_4arch9wavefront6targetE0EEEvT1_,comdat
.Lfunc_end2400:
	.size	_ZN7rocprim17ROCPRIM_400000_NS6detail17trampoline_kernelINS0_14default_configENS1_25partition_config_selectorILNS1_17partition_subalgoE5EyNS0_10empty_typeEbEEZZNS1_14partition_implILS5_5ELb0ES3_mN6thrust23THRUST_200600_302600_NS6detail15normal_iteratorINSA_10device_ptrIyEEEEPS6_NSA_18transform_iteratorINSB_9not_fun_tI7is_trueIyEEENSC_INSD_IbEEEENSA_11use_defaultESO_EENS0_5tupleIJSF_S6_EEENSQ_IJSG_SG_EEES6_PlJS6_EEE10hipError_tPvRmT3_T4_T5_T6_T7_T9_mT8_P12ihipStream_tbDpT10_ENKUlT_T0_E_clISt17integral_constantIbLb0EES1D_EEDaS18_S19_EUlS18_E_NS1_11comp_targetILNS1_3genE3ELNS1_11target_archE908ELNS1_3gpuE7ELNS1_3repE0EEENS1_30default_config_static_selectorELNS0_4arch9wavefront6targetE0EEEvT1_, .Lfunc_end2400-_ZN7rocprim17ROCPRIM_400000_NS6detail17trampoline_kernelINS0_14default_configENS1_25partition_config_selectorILNS1_17partition_subalgoE5EyNS0_10empty_typeEbEEZZNS1_14partition_implILS5_5ELb0ES3_mN6thrust23THRUST_200600_302600_NS6detail15normal_iteratorINSA_10device_ptrIyEEEEPS6_NSA_18transform_iteratorINSB_9not_fun_tI7is_trueIyEEENSC_INSD_IbEEEENSA_11use_defaultESO_EENS0_5tupleIJSF_S6_EEENSQ_IJSG_SG_EEES6_PlJS6_EEE10hipError_tPvRmT3_T4_T5_T6_T7_T9_mT8_P12ihipStream_tbDpT10_ENKUlT_T0_E_clISt17integral_constantIbLb0EES1D_EEDaS18_S19_EUlS18_E_NS1_11comp_targetILNS1_3genE3ELNS1_11target_archE908ELNS1_3gpuE7ELNS1_3repE0EEENS1_30default_config_static_selectorELNS0_4arch9wavefront6targetE0EEEvT1_
                                        ; -- End function
	.set _ZN7rocprim17ROCPRIM_400000_NS6detail17trampoline_kernelINS0_14default_configENS1_25partition_config_selectorILNS1_17partition_subalgoE5EyNS0_10empty_typeEbEEZZNS1_14partition_implILS5_5ELb0ES3_mN6thrust23THRUST_200600_302600_NS6detail15normal_iteratorINSA_10device_ptrIyEEEEPS6_NSA_18transform_iteratorINSB_9not_fun_tI7is_trueIyEEENSC_INSD_IbEEEENSA_11use_defaultESO_EENS0_5tupleIJSF_S6_EEENSQ_IJSG_SG_EEES6_PlJS6_EEE10hipError_tPvRmT3_T4_T5_T6_T7_T9_mT8_P12ihipStream_tbDpT10_ENKUlT_T0_E_clISt17integral_constantIbLb0EES1D_EEDaS18_S19_EUlS18_E_NS1_11comp_targetILNS1_3genE3ELNS1_11target_archE908ELNS1_3gpuE7ELNS1_3repE0EEENS1_30default_config_static_selectorELNS0_4arch9wavefront6targetE0EEEvT1_.num_vgpr, 0
	.set _ZN7rocprim17ROCPRIM_400000_NS6detail17trampoline_kernelINS0_14default_configENS1_25partition_config_selectorILNS1_17partition_subalgoE5EyNS0_10empty_typeEbEEZZNS1_14partition_implILS5_5ELb0ES3_mN6thrust23THRUST_200600_302600_NS6detail15normal_iteratorINSA_10device_ptrIyEEEEPS6_NSA_18transform_iteratorINSB_9not_fun_tI7is_trueIyEEENSC_INSD_IbEEEENSA_11use_defaultESO_EENS0_5tupleIJSF_S6_EEENSQ_IJSG_SG_EEES6_PlJS6_EEE10hipError_tPvRmT3_T4_T5_T6_T7_T9_mT8_P12ihipStream_tbDpT10_ENKUlT_T0_E_clISt17integral_constantIbLb0EES1D_EEDaS18_S19_EUlS18_E_NS1_11comp_targetILNS1_3genE3ELNS1_11target_archE908ELNS1_3gpuE7ELNS1_3repE0EEENS1_30default_config_static_selectorELNS0_4arch9wavefront6targetE0EEEvT1_.num_agpr, 0
	.set _ZN7rocprim17ROCPRIM_400000_NS6detail17trampoline_kernelINS0_14default_configENS1_25partition_config_selectorILNS1_17partition_subalgoE5EyNS0_10empty_typeEbEEZZNS1_14partition_implILS5_5ELb0ES3_mN6thrust23THRUST_200600_302600_NS6detail15normal_iteratorINSA_10device_ptrIyEEEEPS6_NSA_18transform_iteratorINSB_9not_fun_tI7is_trueIyEEENSC_INSD_IbEEEENSA_11use_defaultESO_EENS0_5tupleIJSF_S6_EEENSQ_IJSG_SG_EEES6_PlJS6_EEE10hipError_tPvRmT3_T4_T5_T6_T7_T9_mT8_P12ihipStream_tbDpT10_ENKUlT_T0_E_clISt17integral_constantIbLb0EES1D_EEDaS18_S19_EUlS18_E_NS1_11comp_targetILNS1_3genE3ELNS1_11target_archE908ELNS1_3gpuE7ELNS1_3repE0EEENS1_30default_config_static_selectorELNS0_4arch9wavefront6targetE0EEEvT1_.numbered_sgpr, 0
	.set _ZN7rocprim17ROCPRIM_400000_NS6detail17trampoline_kernelINS0_14default_configENS1_25partition_config_selectorILNS1_17partition_subalgoE5EyNS0_10empty_typeEbEEZZNS1_14partition_implILS5_5ELb0ES3_mN6thrust23THRUST_200600_302600_NS6detail15normal_iteratorINSA_10device_ptrIyEEEEPS6_NSA_18transform_iteratorINSB_9not_fun_tI7is_trueIyEEENSC_INSD_IbEEEENSA_11use_defaultESO_EENS0_5tupleIJSF_S6_EEENSQ_IJSG_SG_EEES6_PlJS6_EEE10hipError_tPvRmT3_T4_T5_T6_T7_T9_mT8_P12ihipStream_tbDpT10_ENKUlT_T0_E_clISt17integral_constantIbLb0EES1D_EEDaS18_S19_EUlS18_E_NS1_11comp_targetILNS1_3genE3ELNS1_11target_archE908ELNS1_3gpuE7ELNS1_3repE0EEENS1_30default_config_static_selectorELNS0_4arch9wavefront6targetE0EEEvT1_.num_named_barrier, 0
	.set _ZN7rocprim17ROCPRIM_400000_NS6detail17trampoline_kernelINS0_14default_configENS1_25partition_config_selectorILNS1_17partition_subalgoE5EyNS0_10empty_typeEbEEZZNS1_14partition_implILS5_5ELb0ES3_mN6thrust23THRUST_200600_302600_NS6detail15normal_iteratorINSA_10device_ptrIyEEEEPS6_NSA_18transform_iteratorINSB_9not_fun_tI7is_trueIyEEENSC_INSD_IbEEEENSA_11use_defaultESO_EENS0_5tupleIJSF_S6_EEENSQ_IJSG_SG_EEES6_PlJS6_EEE10hipError_tPvRmT3_T4_T5_T6_T7_T9_mT8_P12ihipStream_tbDpT10_ENKUlT_T0_E_clISt17integral_constantIbLb0EES1D_EEDaS18_S19_EUlS18_E_NS1_11comp_targetILNS1_3genE3ELNS1_11target_archE908ELNS1_3gpuE7ELNS1_3repE0EEENS1_30default_config_static_selectorELNS0_4arch9wavefront6targetE0EEEvT1_.private_seg_size, 0
	.set _ZN7rocprim17ROCPRIM_400000_NS6detail17trampoline_kernelINS0_14default_configENS1_25partition_config_selectorILNS1_17partition_subalgoE5EyNS0_10empty_typeEbEEZZNS1_14partition_implILS5_5ELb0ES3_mN6thrust23THRUST_200600_302600_NS6detail15normal_iteratorINSA_10device_ptrIyEEEEPS6_NSA_18transform_iteratorINSB_9not_fun_tI7is_trueIyEEENSC_INSD_IbEEEENSA_11use_defaultESO_EENS0_5tupleIJSF_S6_EEENSQ_IJSG_SG_EEES6_PlJS6_EEE10hipError_tPvRmT3_T4_T5_T6_T7_T9_mT8_P12ihipStream_tbDpT10_ENKUlT_T0_E_clISt17integral_constantIbLb0EES1D_EEDaS18_S19_EUlS18_E_NS1_11comp_targetILNS1_3genE3ELNS1_11target_archE908ELNS1_3gpuE7ELNS1_3repE0EEENS1_30default_config_static_selectorELNS0_4arch9wavefront6targetE0EEEvT1_.uses_vcc, 0
	.set _ZN7rocprim17ROCPRIM_400000_NS6detail17trampoline_kernelINS0_14default_configENS1_25partition_config_selectorILNS1_17partition_subalgoE5EyNS0_10empty_typeEbEEZZNS1_14partition_implILS5_5ELb0ES3_mN6thrust23THRUST_200600_302600_NS6detail15normal_iteratorINSA_10device_ptrIyEEEEPS6_NSA_18transform_iteratorINSB_9not_fun_tI7is_trueIyEEENSC_INSD_IbEEEENSA_11use_defaultESO_EENS0_5tupleIJSF_S6_EEENSQ_IJSG_SG_EEES6_PlJS6_EEE10hipError_tPvRmT3_T4_T5_T6_T7_T9_mT8_P12ihipStream_tbDpT10_ENKUlT_T0_E_clISt17integral_constantIbLb0EES1D_EEDaS18_S19_EUlS18_E_NS1_11comp_targetILNS1_3genE3ELNS1_11target_archE908ELNS1_3gpuE7ELNS1_3repE0EEENS1_30default_config_static_selectorELNS0_4arch9wavefront6targetE0EEEvT1_.uses_flat_scratch, 0
	.set _ZN7rocprim17ROCPRIM_400000_NS6detail17trampoline_kernelINS0_14default_configENS1_25partition_config_selectorILNS1_17partition_subalgoE5EyNS0_10empty_typeEbEEZZNS1_14partition_implILS5_5ELb0ES3_mN6thrust23THRUST_200600_302600_NS6detail15normal_iteratorINSA_10device_ptrIyEEEEPS6_NSA_18transform_iteratorINSB_9not_fun_tI7is_trueIyEEENSC_INSD_IbEEEENSA_11use_defaultESO_EENS0_5tupleIJSF_S6_EEENSQ_IJSG_SG_EEES6_PlJS6_EEE10hipError_tPvRmT3_T4_T5_T6_T7_T9_mT8_P12ihipStream_tbDpT10_ENKUlT_T0_E_clISt17integral_constantIbLb0EES1D_EEDaS18_S19_EUlS18_E_NS1_11comp_targetILNS1_3genE3ELNS1_11target_archE908ELNS1_3gpuE7ELNS1_3repE0EEENS1_30default_config_static_selectorELNS0_4arch9wavefront6targetE0EEEvT1_.has_dyn_sized_stack, 0
	.set _ZN7rocprim17ROCPRIM_400000_NS6detail17trampoline_kernelINS0_14default_configENS1_25partition_config_selectorILNS1_17partition_subalgoE5EyNS0_10empty_typeEbEEZZNS1_14partition_implILS5_5ELb0ES3_mN6thrust23THRUST_200600_302600_NS6detail15normal_iteratorINSA_10device_ptrIyEEEEPS6_NSA_18transform_iteratorINSB_9not_fun_tI7is_trueIyEEENSC_INSD_IbEEEENSA_11use_defaultESO_EENS0_5tupleIJSF_S6_EEENSQ_IJSG_SG_EEES6_PlJS6_EEE10hipError_tPvRmT3_T4_T5_T6_T7_T9_mT8_P12ihipStream_tbDpT10_ENKUlT_T0_E_clISt17integral_constantIbLb0EES1D_EEDaS18_S19_EUlS18_E_NS1_11comp_targetILNS1_3genE3ELNS1_11target_archE908ELNS1_3gpuE7ELNS1_3repE0EEENS1_30default_config_static_selectorELNS0_4arch9wavefront6targetE0EEEvT1_.has_recursion, 0
	.set _ZN7rocprim17ROCPRIM_400000_NS6detail17trampoline_kernelINS0_14default_configENS1_25partition_config_selectorILNS1_17partition_subalgoE5EyNS0_10empty_typeEbEEZZNS1_14partition_implILS5_5ELb0ES3_mN6thrust23THRUST_200600_302600_NS6detail15normal_iteratorINSA_10device_ptrIyEEEEPS6_NSA_18transform_iteratorINSB_9not_fun_tI7is_trueIyEEENSC_INSD_IbEEEENSA_11use_defaultESO_EENS0_5tupleIJSF_S6_EEENSQ_IJSG_SG_EEES6_PlJS6_EEE10hipError_tPvRmT3_T4_T5_T6_T7_T9_mT8_P12ihipStream_tbDpT10_ENKUlT_T0_E_clISt17integral_constantIbLb0EES1D_EEDaS18_S19_EUlS18_E_NS1_11comp_targetILNS1_3genE3ELNS1_11target_archE908ELNS1_3gpuE7ELNS1_3repE0EEENS1_30default_config_static_selectorELNS0_4arch9wavefront6targetE0EEEvT1_.has_indirect_call, 0
	.section	.AMDGPU.csdata,"",@progbits
; Kernel info:
; codeLenInByte = 0
; TotalNumSgprs: 0
; NumVgprs: 0
; ScratchSize: 0
; MemoryBound: 0
; FloatMode: 240
; IeeeMode: 1
; LDSByteSize: 0 bytes/workgroup (compile time only)
; SGPRBlocks: 0
; VGPRBlocks: 0
; NumSGPRsForWavesPerEU: 1
; NumVGPRsForWavesPerEU: 1
; Occupancy: 16
; WaveLimiterHint : 0
; COMPUTE_PGM_RSRC2:SCRATCH_EN: 0
; COMPUTE_PGM_RSRC2:USER_SGPR: 2
; COMPUTE_PGM_RSRC2:TRAP_HANDLER: 0
; COMPUTE_PGM_RSRC2:TGID_X_EN: 1
; COMPUTE_PGM_RSRC2:TGID_Y_EN: 0
; COMPUTE_PGM_RSRC2:TGID_Z_EN: 0
; COMPUTE_PGM_RSRC2:TIDIG_COMP_CNT: 0
	.section	.text._ZN7rocprim17ROCPRIM_400000_NS6detail17trampoline_kernelINS0_14default_configENS1_25partition_config_selectorILNS1_17partition_subalgoE5EyNS0_10empty_typeEbEEZZNS1_14partition_implILS5_5ELb0ES3_mN6thrust23THRUST_200600_302600_NS6detail15normal_iteratorINSA_10device_ptrIyEEEEPS6_NSA_18transform_iteratorINSB_9not_fun_tI7is_trueIyEEENSC_INSD_IbEEEENSA_11use_defaultESO_EENS0_5tupleIJSF_S6_EEENSQ_IJSG_SG_EEES6_PlJS6_EEE10hipError_tPvRmT3_T4_T5_T6_T7_T9_mT8_P12ihipStream_tbDpT10_ENKUlT_T0_E_clISt17integral_constantIbLb0EES1D_EEDaS18_S19_EUlS18_E_NS1_11comp_targetILNS1_3genE2ELNS1_11target_archE906ELNS1_3gpuE6ELNS1_3repE0EEENS1_30default_config_static_selectorELNS0_4arch9wavefront6targetE0EEEvT1_,"axG",@progbits,_ZN7rocprim17ROCPRIM_400000_NS6detail17trampoline_kernelINS0_14default_configENS1_25partition_config_selectorILNS1_17partition_subalgoE5EyNS0_10empty_typeEbEEZZNS1_14partition_implILS5_5ELb0ES3_mN6thrust23THRUST_200600_302600_NS6detail15normal_iteratorINSA_10device_ptrIyEEEEPS6_NSA_18transform_iteratorINSB_9not_fun_tI7is_trueIyEEENSC_INSD_IbEEEENSA_11use_defaultESO_EENS0_5tupleIJSF_S6_EEENSQ_IJSG_SG_EEES6_PlJS6_EEE10hipError_tPvRmT3_T4_T5_T6_T7_T9_mT8_P12ihipStream_tbDpT10_ENKUlT_T0_E_clISt17integral_constantIbLb0EES1D_EEDaS18_S19_EUlS18_E_NS1_11comp_targetILNS1_3genE2ELNS1_11target_archE906ELNS1_3gpuE6ELNS1_3repE0EEENS1_30default_config_static_selectorELNS0_4arch9wavefront6targetE0EEEvT1_,comdat
	.protected	_ZN7rocprim17ROCPRIM_400000_NS6detail17trampoline_kernelINS0_14default_configENS1_25partition_config_selectorILNS1_17partition_subalgoE5EyNS0_10empty_typeEbEEZZNS1_14partition_implILS5_5ELb0ES3_mN6thrust23THRUST_200600_302600_NS6detail15normal_iteratorINSA_10device_ptrIyEEEEPS6_NSA_18transform_iteratorINSB_9not_fun_tI7is_trueIyEEENSC_INSD_IbEEEENSA_11use_defaultESO_EENS0_5tupleIJSF_S6_EEENSQ_IJSG_SG_EEES6_PlJS6_EEE10hipError_tPvRmT3_T4_T5_T6_T7_T9_mT8_P12ihipStream_tbDpT10_ENKUlT_T0_E_clISt17integral_constantIbLb0EES1D_EEDaS18_S19_EUlS18_E_NS1_11comp_targetILNS1_3genE2ELNS1_11target_archE906ELNS1_3gpuE6ELNS1_3repE0EEENS1_30default_config_static_selectorELNS0_4arch9wavefront6targetE0EEEvT1_ ; -- Begin function _ZN7rocprim17ROCPRIM_400000_NS6detail17trampoline_kernelINS0_14default_configENS1_25partition_config_selectorILNS1_17partition_subalgoE5EyNS0_10empty_typeEbEEZZNS1_14partition_implILS5_5ELb0ES3_mN6thrust23THRUST_200600_302600_NS6detail15normal_iteratorINSA_10device_ptrIyEEEEPS6_NSA_18transform_iteratorINSB_9not_fun_tI7is_trueIyEEENSC_INSD_IbEEEENSA_11use_defaultESO_EENS0_5tupleIJSF_S6_EEENSQ_IJSG_SG_EEES6_PlJS6_EEE10hipError_tPvRmT3_T4_T5_T6_T7_T9_mT8_P12ihipStream_tbDpT10_ENKUlT_T0_E_clISt17integral_constantIbLb0EES1D_EEDaS18_S19_EUlS18_E_NS1_11comp_targetILNS1_3genE2ELNS1_11target_archE906ELNS1_3gpuE6ELNS1_3repE0EEENS1_30default_config_static_selectorELNS0_4arch9wavefront6targetE0EEEvT1_
	.globl	_ZN7rocprim17ROCPRIM_400000_NS6detail17trampoline_kernelINS0_14default_configENS1_25partition_config_selectorILNS1_17partition_subalgoE5EyNS0_10empty_typeEbEEZZNS1_14partition_implILS5_5ELb0ES3_mN6thrust23THRUST_200600_302600_NS6detail15normal_iteratorINSA_10device_ptrIyEEEEPS6_NSA_18transform_iteratorINSB_9not_fun_tI7is_trueIyEEENSC_INSD_IbEEEENSA_11use_defaultESO_EENS0_5tupleIJSF_S6_EEENSQ_IJSG_SG_EEES6_PlJS6_EEE10hipError_tPvRmT3_T4_T5_T6_T7_T9_mT8_P12ihipStream_tbDpT10_ENKUlT_T0_E_clISt17integral_constantIbLb0EES1D_EEDaS18_S19_EUlS18_E_NS1_11comp_targetILNS1_3genE2ELNS1_11target_archE906ELNS1_3gpuE6ELNS1_3repE0EEENS1_30default_config_static_selectorELNS0_4arch9wavefront6targetE0EEEvT1_
	.p2align	8
	.type	_ZN7rocprim17ROCPRIM_400000_NS6detail17trampoline_kernelINS0_14default_configENS1_25partition_config_selectorILNS1_17partition_subalgoE5EyNS0_10empty_typeEbEEZZNS1_14partition_implILS5_5ELb0ES3_mN6thrust23THRUST_200600_302600_NS6detail15normal_iteratorINSA_10device_ptrIyEEEEPS6_NSA_18transform_iteratorINSB_9not_fun_tI7is_trueIyEEENSC_INSD_IbEEEENSA_11use_defaultESO_EENS0_5tupleIJSF_S6_EEENSQ_IJSG_SG_EEES6_PlJS6_EEE10hipError_tPvRmT3_T4_T5_T6_T7_T9_mT8_P12ihipStream_tbDpT10_ENKUlT_T0_E_clISt17integral_constantIbLb0EES1D_EEDaS18_S19_EUlS18_E_NS1_11comp_targetILNS1_3genE2ELNS1_11target_archE906ELNS1_3gpuE6ELNS1_3repE0EEENS1_30default_config_static_selectorELNS0_4arch9wavefront6targetE0EEEvT1_,@function
_ZN7rocprim17ROCPRIM_400000_NS6detail17trampoline_kernelINS0_14default_configENS1_25partition_config_selectorILNS1_17partition_subalgoE5EyNS0_10empty_typeEbEEZZNS1_14partition_implILS5_5ELb0ES3_mN6thrust23THRUST_200600_302600_NS6detail15normal_iteratorINSA_10device_ptrIyEEEEPS6_NSA_18transform_iteratorINSB_9not_fun_tI7is_trueIyEEENSC_INSD_IbEEEENSA_11use_defaultESO_EENS0_5tupleIJSF_S6_EEENSQ_IJSG_SG_EEES6_PlJS6_EEE10hipError_tPvRmT3_T4_T5_T6_T7_T9_mT8_P12ihipStream_tbDpT10_ENKUlT_T0_E_clISt17integral_constantIbLb0EES1D_EEDaS18_S19_EUlS18_E_NS1_11comp_targetILNS1_3genE2ELNS1_11target_archE906ELNS1_3gpuE6ELNS1_3repE0EEENS1_30default_config_static_selectorELNS0_4arch9wavefront6targetE0EEEvT1_: ; @_ZN7rocprim17ROCPRIM_400000_NS6detail17trampoline_kernelINS0_14default_configENS1_25partition_config_selectorILNS1_17partition_subalgoE5EyNS0_10empty_typeEbEEZZNS1_14partition_implILS5_5ELb0ES3_mN6thrust23THRUST_200600_302600_NS6detail15normal_iteratorINSA_10device_ptrIyEEEEPS6_NSA_18transform_iteratorINSB_9not_fun_tI7is_trueIyEEENSC_INSD_IbEEEENSA_11use_defaultESO_EENS0_5tupleIJSF_S6_EEENSQ_IJSG_SG_EEES6_PlJS6_EEE10hipError_tPvRmT3_T4_T5_T6_T7_T9_mT8_P12ihipStream_tbDpT10_ENKUlT_T0_E_clISt17integral_constantIbLb0EES1D_EEDaS18_S19_EUlS18_E_NS1_11comp_targetILNS1_3genE2ELNS1_11target_archE906ELNS1_3gpuE6ELNS1_3repE0EEENS1_30default_config_static_selectorELNS0_4arch9wavefront6targetE0EEEvT1_
; %bb.0:
	.section	.rodata,"a",@progbits
	.p2align	6, 0x0
	.amdhsa_kernel _ZN7rocprim17ROCPRIM_400000_NS6detail17trampoline_kernelINS0_14default_configENS1_25partition_config_selectorILNS1_17partition_subalgoE5EyNS0_10empty_typeEbEEZZNS1_14partition_implILS5_5ELb0ES3_mN6thrust23THRUST_200600_302600_NS6detail15normal_iteratorINSA_10device_ptrIyEEEEPS6_NSA_18transform_iteratorINSB_9not_fun_tI7is_trueIyEEENSC_INSD_IbEEEENSA_11use_defaultESO_EENS0_5tupleIJSF_S6_EEENSQ_IJSG_SG_EEES6_PlJS6_EEE10hipError_tPvRmT3_T4_T5_T6_T7_T9_mT8_P12ihipStream_tbDpT10_ENKUlT_T0_E_clISt17integral_constantIbLb0EES1D_EEDaS18_S19_EUlS18_E_NS1_11comp_targetILNS1_3genE2ELNS1_11target_archE906ELNS1_3gpuE6ELNS1_3repE0EEENS1_30default_config_static_selectorELNS0_4arch9wavefront6targetE0EEEvT1_
		.amdhsa_group_segment_fixed_size 0
		.amdhsa_private_segment_fixed_size 0
		.amdhsa_kernarg_size 120
		.amdhsa_user_sgpr_count 2
		.amdhsa_user_sgpr_dispatch_ptr 0
		.amdhsa_user_sgpr_queue_ptr 0
		.amdhsa_user_sgpr_kernarg_segment_ptr 1
		.amdhsa_user_sgpr_dispatch_id 0
		.amdhsa_user_sgpr_private_segment_size 0
		.amdhsa_wavefront_size32 1
		.amdhsa_uses_dynamic_stack 0
		.amdhsa_enable_private_segment 0
		.amdhsa_system_sgpr_workgroup_id_x 1
		.amdhsa_system_sgpr_workgroup_id_y 0
		.amdhsa_system_sgpr_workgroup_id_z 0
		.amdhsa_system_sgpr_workgroup_info 0
		.amdhsa_system_vgpr_workitem_id 0
		.amdhsa_next_free_vgpr 1
		.amdhsa_next_free_sgpr 1
		.amdhsa_reserve_vcc 0
		.amdhsa_float_round_mode_32 0
		.amdhsa_float_round_mode_16_64 0
		.amdhsa_float_denorm_mode_32 3
		.amdhsa_float_denorm_mode_16_64 3
		.amdhsa_fp16_overflow 0
		.amdhsa_workgroup_processor_mode 1
		.amdhsa_memory_ordered 1
		.amdhsa_forward_progress 1
		.amdhsa_inst_pref_size 0
		.amdhsa_round_robin_scheduling 0
		.amdhsa_exception_fp_ieee_invalid_op 0
		.amdhsa_exception_fp_denorm_src 0
		.amdhsa_exception_fp_ieee_div_zero 0
		.amdhsa_exception_fp_ieee_overflow 0
		.amdhsa_exception_fp_ieee_underflow 0
		.amdhsa_exception_fp_ieee_inexact 0
		.amdhsa_exception_int_div_zero 0
	.end_amdhsa_kernel
	.section	.text._ZN7rocprim17ROCPRIM_400000_NS6detail17trampoline_kernelINS0_14default_configENS1_25partition_config_selectorILNS1_17partition_subalgoE5EyNS0_10empty_typeEbEEZZNS1_14partition_implILS5_5ELb0ES3_mN6thrust23THRUST_200600_302600_NS6detail15normal_iteratorINSA_10device_ptrIyEEEEPS6_NSA_18transform_iteratorINSB_9not_fun_tI7is_trueIyEEENSC_INSD_IbEEEENSA_11use_defaultESO_EENS0_5tupleIJSF_S6_EEENSQ_IJSG_SG_EEES6_PlJS6_EEE10hipError_tPvRmT3_T4_T5_T6_T7_T9_mT8_P12ihipStream_tbDpT10_ENKUlT_T0_E_clISt17integral_constantIbLb0EES1D_EEDaS18_S19_EUlS18_E_NS1_11comp_targetILNS1_3genE2ELNS1_11target_archE906ELNS1_3gpuE6ELNS1_3repE0EEENS1_30default_config_static_selectorELNS0_4arch9wavefront6targetE0EEEvT1_,"axG",@progbits,_ZN7rocprim17ROCPRIM_400000_NS6detail17trampoline_kernelINS0_14default_configENS1_25partition_config_selectorILNS1_17partition_subalgoE5EyNS0_10empty_typeEbEEZZNS1_14partition_implILS5_5ELb0ES3_mN6thrust23THRUST_200600_302600_NS6detail15normal_iteratorINSA_10device_ptrIyEEEEPS6_NSA_18transform_iteratorINSB_9not_fun_tI7is_trueIyEEENSC_INSD_IbEEEENSA_11use_defaultESO_EENS0_5tupleIJSF_S6_EEENSQ_IJSG_SG_EEES6_PlJS6_EEE10hipError_tPvRmT3_T4_T5_T6_T7_T9_mT8_P12ihipStream_tbDpT10_ENKUlT_T0_E_clISt17integral_constantIbLb0EES1D_EEDaS18_S19_EUlS18_E_NS1_11comp_targetILNS1_3genE2ELNS1_11target_archE906ELNS1_3gpuE6ELNS1_3repE0EEENS1_30default_config_static_selectorELNS0_4arch9wavefront6targetE0EEEvT1_,comdat
.Lfunc_end2401:
	.size	_ZN7rocprim17ROCPRIM_400000_NS6detail17trampoline_kernelINS0_14default_configENS1_25partition_config_selectorILNS1_17partition_subalgoE5EyNS0_10empty_typeEbEEZZNS1_14partition_implILS5_5ELb0ES3_mN6thrust23THRUST_200600_302600_NS6detail15normal_iteratorINSA_10device_ptrIyEEEEPS6_NSA_18transform_iteratorINSB_9not_fun_tI7is_trueIyEEENSC_INSD_IbEEEENSA_11use_defaultESO_EENS0_5tupleIJSF_S6_EEENSQ_IJSG_SG_EEES6_PlJS6_EEE10hipError_tPvRmT3_T4_T5_T6_T7_T9_mT8_P12ihipStream_tbDpT10_ENKUlT_T0_E_clISt17integral_constantIbLb0EES1D_EEDaS18_S19_EUlS18_E_NS1_11comp_targetILNS1_3genE2ELNS1_11target_archE906ELNS1_3gpuE6ELNS1_3repE0EEENS1_30default_config_static_selectorELNS0_4arch9wavefront6targetE0EEEvT1_, .Lfunc_end2401-_ZN7rocprim17ROCPRIM_400000_NS6detail17trampoline_kernelINS0_14default_configENS1_25partition_config_selectorILNS1_17partition_subalgoE5EyNS0_10empty_typeEbEEZZNS1_14partition_implILS5_5ELb0ES3_mN6thrust23THRUST_200600_302600_NS6detail15normal_iteratorINSA_10device_ptrIyEEEEPS6_NSA_18transform_iteratorINSB_9not_fun_tI7is_trueIyEEENSC_INSD_IbEEEENSA_11use_defaultESO_EENS0_5tupleIJSF_S6_EEENSQ_IJSG_SG_EEES6_PlJS6_EEE10hipError_tPvRmT3_T4_T5_T6_T7_T9_mT8_P12ihipStream_tbDpT10_ENKUlT_T0_E_clISt17integral_constantIbLb0EES1D_EEDaS18_S19_EUlS18_E_NS1_11comp_targetILNS1_3genE2ELNS1_11target_archE906ELNS1_3gpuE6ELNS1_3repE0EEENS1_30default_config_static_selectorELNS0_4arch9wavefront6targetE0EEEvT1_
                                        ; -- End function
	.set _ZN7rocprim17ROCPRIM_400000_NS6detail17trampoline_kernelINS0_14default_configENS1_25partition_config_selectorILNS1_17partition_subalgoE5EyNS0_10empty_typeEbEEZZNS1_14partition_implILS5_5ELb0ES3_mN6thrust23THRUST_200600_302600_NS6detail15normal_iteratorINSA_10device_ptrIyEEEEPS6_NSA_18transform_iteratorINSB_9not_fun_tI7is_trueIyEEENSC_INSD_IbEEEENSA_11use_defaultESO_EENS0_5tupleIJSF_S6_EEENSQ_IJSG_SG_EEES6_PlJS6_EEE10hipError_tPvRmT3_T4_T5_T6_T7_T9_mT8_P12ihipStream_tbDpT10_ENKUlT_T0_E_clISt17integral_constantIbLb0EES1D_EEDaS18_S19_EUlS18_E_NS1_11comp_targetILNS1_3genE2ELNS1_11target_archE906ELNS1_3gpuE6ELNS1_3repE0EEENS1_30default_config_static_selectorELNS0_4arch9wavefront6targetE0EEEvT1_.num_vgpr, 0
	.set _ZN7rocprim17ROCPRIM_400000_NS6detail17trampoline_kernelINS0_14default_configENS1_25partition_config_selectorILNS1_17partition_subalgoE5EyNS0_10empty_typeEbEEZZNS1_14partition_implILS5_5ELb0ES3_mN6thrust23THRUST_200600_302600_NS6detail15normal_iteratorINSA_10device_ptrIyEEEEPS6_NSA_18transform_iteratorINSB_9not_fun_tI7is_trueIyEEENSC_INSD_IbEEEENSA_11use_defaultESO_EENS0_5tupleIJSF_S6_EEENSQ_IJSG_SG_EEES6_PlJS6_EEE10hipError_tPvRmT3_T4_T5_T6_T7_T9_mT8_P12ihipStream_tbDpT10_ENKUlT_T0_E_clISt17integral_constantIbLb0EES1D_EEDaS18_S19_EUlS18_E_NS1_11comp_targetILNS1_3genE2ELNS1_11target_archE906ELNS1_3gpuE6ELNS1_3repE0EEENS1_30default_config_static_selectorELNS0_4arch9wavefront6targetE0EEEvT1_.num_agpr, 0
	.set _ZN7rocprim17ROCPRIM_400000_NS6detail17trampoline_kernelINS0_14default_configENS1_25partition_config_selectorILNS1_17partition_subalgoE5EyNS0_10empty_typeEbEEZZNS1_14partition_implILS5_5ELb0ES3_mN6thrust23THRUST_200600_302600_NS6detail15normal_iteratorINSA_10device_ptrIyEEEEPS6_NSA_18transform_iteratorINSB_9not_fun_tI7is_trueIyEEENSC_INSD_IbEEEENSA_11use_defaultESO_EENS0_5tupleIJSF_S6_EEENSQ_IJSG_SG_EEES6_PlJS6_EEE10hipError_tPvRmT3_T4_T5_T6_T7_T9_mT8_P12ihipStream_tbDpT10_ENKUlT_T0_E_clISt17integral_constantIbLb0EES1D_EEDaS18_S19_EUlS18_E_NS1_11comp_targetILNS1_3genE2ELNS1_11target_archE906ELNS1_3gpuE6ELNS1_3repE0EEENS1_30default_config_static_selectorELNS0_4arch9wavefront6targetE0EEEvT1_.numbered_sgpr, 0
	.set _ZN7rocprim17ROCPRIM_400000_NS6detail17trampoline_kernelINS0_14default_configENS1_25partition_config_selectorILNS1_17partition_subalgoE5EyNS0_10empty_typeEbEEZZNS1_14partition_implILS5_5ELb0ES3_mN6thrust23THRUST_200600_302600_NS6detail15normal_iteratorINSA_10device_ptrIyEEEEPS6_NSA_18transform_iteratorINSB_9not_fun_tI7is_trueIyEEENSC_INSD_IbEEEENSA_11use_defaultESO_EENS0_5tupleIJSF_S6_EEENSQ_IJSG_SG_EEES6_PlJS6_EEE10hipError_tPvRmT3_T4_T5_T6_T7_T9_mT8_P12ihipStream_tbDpT10_ENKUlT_T0_E_clISt17integral_constantIbLb0EES1D_EEDaS18_S19_EUlS18_E_NS1_11comp_targetILNS1_3genE2ELNS1_11target_archE906ELNS1_3gpuE6ELNS1_3repE0EEENS1_30default_config_static_selectorELNS0_4arch9wavefront6targetE0EEEvT1_.num_named_barrier, 0
	.set _ZN7rocprim17ROCPRIM_400000_NS6detail17trampoline_kernelINS0_14default_configENS1_25partition_config_selectorILNS1_17partition_subalgoE5EyNS0_10empty_typeEbEEZZNS1_14partition_implILS5_5ELb0ES3_mN6thrust23THRUST_200600_302600_NS6detail15normal_iteratorINSA_10device_ptrIyEEEEPS6_NSA_18transform_iteratorINSB_9not_fun_tI7is_trueIyEEENSC_INSD_IbEEEENSA_11use_defaultESO_EENS0_5tupleIJSF_S6_EEENSQ_IJSG_SG_EEES6_PlJS6_EEE10hipError_tPvRmT3_T4_T5_T6_T7_T9_mT8_P12ihipStream_tbDpT10_ENKUlT_T0_E_clISt17integral_constantIbLb0EES1D_EEDaS18_S19_EUlS18_E_NS1_11comp_targetILNS1_3genE2ELNS1_11target_archE906ELNS1_3gpuE6ELNS1_3repE0EEENS1_30default_config_static_selectorELNS0_4arch9wavefront6targetE0EEEvT1_.private_seg_size, 0
	.set _ZN7rocprim17ROCPRIM_400000_NS6detail17trampoline_kernelINS0_14default_configENS1_25partition_config_selectorILNS1_17partition_subalgoE5EyNS0_10empty_typeEbEEZZNS1_14partition_implILS5_5ELb0ES3_mN6thrust23THRUST_200600_302600_NS6detail15normal_iteratorINSA_10device_ptrIyEEEEPS6_NSA_18transform_iteratorINSB_9not_fun_tI7is_trueIyEEENSC_INSD_IbEEEENSA_11use_defaultESO_EENS0_5tupleIJSF_S6_EEENSQ_IJSG_SG_EEES6_PlJS6_EEE10hipError_tPvRmT3_T4_T5_T6_T7_T9_mT8_P12ihipStream_tbDpT10_ENKUlT_T0_E_clISt17integral_constantIbLb0EES1D_EEDaS18_S19_EUlS18_E_NS1_11comp_targetILNS1_3genE2ELNS1_11target_archE906ELNS1_3gpuE6ELNS1_3repE0EEENS1_30default_config_static_selectorELNS0_4arch9wavefront6targetE0EEEvT1_.uses_vcc, 0
	.set _ZN7rocprim17ROCPRIM_400000_NS6detail17trampoline_kernelINS0_14default_configENS1_25partition_config_selectorILNS1_17partition_subalgoE5EyNS0_10empty_typeEbEEZZNS1_14partition_implILS5_5ELb0ES3_mN6thrust23THRUST_200600_302600_NS6detail15normal_iteratorINSA_10device_ptrIyEEEEPS6_NSA_18transform_iteratorINSB_9not_fun_tI7is_trueIyEEENSC_INSD_IbEEEENSA_11use_defaultESO_EENS0_5tupleIJSF_S6_EEENSQ_IJSG_SG_EEES6_PlJS6_EEE10hipError_tPvRmT3_T4_T5_T6_T7_T9_mT8_P12ihipStream_tbDpT10_ENKUlT_T0_E_clISt17integral_constantIbLb0EES1D_EEDaS18_S19_EUlS18_E_NS1_11comp_targetILNS1_3genE2ELNS1_11target_archE906ELNS1_3gpuE6ELNS1_3repE0EEENS1_30default_config_static_selectorELNS0_4arch9wavefront6targetE0EEEvT1_.uses_flat_scratch, 0
	.set _ZN7rocprim17ROCPRIM_400000_NS6detail17trampoline_kernelINS0_14default_configENS1_25partition_config_selectorILNS1_17partition_subalgoE5EyNS0_10empty_typeEbEEZZNS1_14partition_implILS5_5ELb0ES3_mN6thrust23THRUST_200600_302600_NS6detail15normal_iteratorINSA_10device_ptrIyEEEEPS6_NSA_18transform_iteratorINSB_9not_fun_tI7is_trueIyEEENSC_INSD_IbEEEENSA_11use_defaultESO_EENS0_5tupleIJSF_S6_EEENSQ_IJSG_SG_EEES6_PlJS6_EEE10hipError_tPvRmT3_T4_T5_T6_T7_T9_mT8_P12ihipStream_tbDpT10_ENKUlT_T0_E_clISt17integral_constantIbLb0EES1D_EEDaS18_S19_EUlS18_E_NS1_11comp_targetILNS1_3genE2ELNS1_11target_archE906ELNS1_3gpuE6ELNS1_3repE0EEENS1_30default_config_static_selectorELNS0_4arch9wavefront6targetE0EEEvT1_.has_dyn_sized_stack, 0
	.set _ZN7rocprim17ROCPRIM_400000_NS6detail17trampoline_kernelINS0_14default_configENS1_25partition_config_selectorILNS1_17partition_subalgoE5EyNS0_10empty_typeEbEEZZNS1_14partition_implILS5_5ELb0ES3_mN6thrust23THRUST_200600_302600_NS6detail15normal_iteratorINSA_10device_ptrIyEEEEPS6_NSA_18transform_iteratorINSB_9not_fun_tI7is_trueIyEEENSC_INSD_IbEEEENSA_11use_defaultESO_EENS0_5tupleIJSF_S6_EEENSQ_IJSG_SG_EEES6_PlJS6_EEE10hipError_tPvRmT3_T4_T5_T6_T7_T9_mT8_P12ihipStream_tbDpT10_ENKUlT_T0_E_clISt17integral_constantIbLb0EES1D_EEDaS18_S19_EUlS18_E_NS1_11comp_targetILNS1_3genE2ELNS1_11target_archE906ELNS1_3gpuE6ELNS1_3repE0EEENS1_30default_config_static_selectorELNS0_4arch9wavefront6targetE0EEEvT1_.has_recursion, 0
	.set _ZN7rocprim17ROCPRIM_400000_NS6detail17trampoline_kernelINS0_14default_configENS1_25partition_config_selectorILNS1_17partition_subalgoE5EyNS0_10empty_typeEbEEZZNS1_14partition_implILS5_5ELb0ES3_mN6thrust23THRUST_200600_302600_NS6detail15normal_iteratorINSA_10device_ptrIyEEEEPS6_NSA_18transform_iteratorINSB_9not_fun_tI7is_trueIyEEENSC_INSD_IbEEEENSA_11use_defaultESO_EENS0_5tupleIJSF_S6_EEENSQ_IJSG_SG_EEES6_PlJS6_EEE10hipError_tPvRmT3_T4_T5_T6_T7_T9_mT8_P12ihipStream_tbDpT10_ENKUlT_T0_E_clISt17integral_constantIbLb0EES1D_EEDaS18_S19_EUlS18_E_NS1_11comp_targetILNS1_3genE2ELNS1_11target_archE906ELNS1_3gpuE6ELNS1_3repE0EEENS1_30default_config_static_selectorELNS0_4arch9wavefront6targetE0EEEvT1_.has_indirect_call, 0
	.section	.AMDGPU.csdata,"",@progbits
; Kernel info:
; codeLenInByte = 0
; TotalNumSgprs: 0
; NumVgprs: 0
; ScratchSize: 0
; MemoryBound: 0
; FloatMode: 240
; IeeeMode: 1
; LDSByteSize: 0 bytes/workgroup (compile time only)
; SGPRBlocks: 0
; VGPRBlocks: 0
; NumSGPRsForWavesPerEU: 1
; NumVGPRsForWavesPerEU: 1
; Occupancy: 16
; WaveLimiterHint : 0
; COMPUTE_PGM_RSRC2:SCRATCH_EN: 0
; COMPUTE_PGM_RSRC2:USER_SGPR: 2
; COMPUTE_PGM_RSRC2:TRAP_HANDLER: 0
; COMPUTE_PGM_RSRC2:TGID_X_EN: 1
; COMPUTE_PGM_RSRC2:TGID_Y_EN: 0
; COMPUTE_PGM_RSRC2:TGID_Z_EN: 0
; COMPUTE_PGM_RSRC2:TIDIG_COMP_CNT: 0
	.section	.text._ZN7rocprim17ROCPRIM_400000_NS6detail17trampoline_kernelINS0_14default_configENS1_25partition_config_selectorILNS1_17partition_subalgoE5EyNS0_10empty_typeEbEEZZNS1_14partition_implILS5_5ELb0ES3_mN6thrust23THRUST_200600_302600_NS6detail15normal_iteratorINSA_10device_ptrIyEEEEPS6_NSA_18transform_iteratorINSB_9not_fun_tI7is_trueIyEEENSC_INSD_IbEEEENSA_11use_defaultESO_EENS0_5tupleIJSF_S6_EEENSQ_IJSG_SG_EEES6_PlJS6_EEE10hipError_tPvRmT3_T4_T5_T6_T7_T9_mT8_P12ihipStream_tbDpT10_ENKUlT_T0_E_clISt17integral_constantIbLb0EES1D_EEDaS18_S19_EUlS18_E_NS1_11comp_targetILNS1_3genE10ELNS1_11target_archE1200ELNS1_3gpuE4ELNS1_3repE0EEENS1_30default_config_static_selectorELNS0_4arch9wavefront6targetE0EEEvT1_,"axG",@progbits,_ZN7rocprim17ROCPRIM_400000_NS6detail17trampoline_kernelINS0_14default_configENS1_25partition_config_selectorILNS1_17partition_subalgoE5EyNS0_10empty_typeEbEEZZNS1_14partition_implILS5_5ELb0ES3_mN6thrust23THRUST_200600_302600_NS6detail15normal_iteratorINSA_10device_ptrIyEEEEPS6_NSA_18transform_iteratorINSB_9not_fun_tI7is_trueIyEEENSC_INSD_IbEEEENSA_11use_defaultESO_EENS0_5tupleIJSF_S6_EEENSQ_IJSG_SG_EEES6_PlJS6_EEE10hipError_tPvRmT3_T4_T5_T6_T7_T9_mT8_P12ihipStream_tbDpT10_ENKUlT_T0_E_clISt17integral_constantIbLb0EES1D_EEDaS18_S19_EUlS18_E_NS1_11comp_targetILNS1_3genE10ELNS1_11target_archE1200ELNS1_3gpuE4ELNS1_3repE0EEENS1_30default_config_static_selectorELNS0_4arch9wavefront6targetE0EEEvT1_,comdat
	.protected	_ZN7rocprim17ROCPRIM_400000_NS6detail17trampoline_kernelINS0_14default_configENS1_25partition_config_selectorILNS1_17partition_subalgoE5EyNS0_10empty_typeEbEEZZNS1_14partition_implILS5_5ELb0ES3_mN6thrust23THRUST_200600_302600_NS6detail15normal_iteratorINSA_10device_ptrIyEEEEPS6_NSA_18transform_iteratorINSB_9not_fun_tI7is_trueIyEEENSC_INSD_IbEEEENSA_11use_defaultESO_EENS0_5tupleIJSF_S6_EEENSQ_IJSG_SG_EEES6_PlJS6_EEE10hipError_tPvRmT3_T4_T5_T6_T7_T9_mT8_P12ihipStream_tbDpT10_ENKUlT_T0_E_clISt17integral_constantIbLb0EES1D_EEDaS18_S19_EUlS18_E_NS1_11comp_targetILNS1_3genE10ELNS1_11target_archE1200ELNS1_3gpuE4ELNS1_3repE0EEENS1_30default_config_static_selectorELNS0_4arch9wavefront6targetE0EEEvT1_ ; -- Begin function _ZN7rocprim17ROCPRIM_400000_NS6detail17trampoline_kernelINS0_14default_configENS1_25partition_config_selectorILNS1_17partition_subalgoE5EyNS0_10empty_typeEbEEZZNS1_14partition_implILS5_5ELb0ES3_mN6thrust23THRUST_200600_302600_NS6detail15normal_iteratorINSA_10device_ptrIyEEEEPS6_NSA_18transform_iteratorINSB_9not_fun_tI7is_trueIyEEENSC_INSD_IbEEEENSA_11use_defaultESO_EENS0_5tupleIJSF_S6_EEENSQ_IJSG_SG_EEES6_PlJS6_EEE10hipError_tPvRmT3_T4_T5_T6_T7_T9_mT8_P12ihipStream_tbDpT10_ENKUlT_T0_E_clISt17integral_constantIbLb0EES1D_EEDaS18_S19_EUlS18_E_NS1_11comp_targetILNS1_3genE10ELNS1_11target_archE1200ELNS1_3gpuE4ELNS1_3repE0EEENS1_30default_config_static_selectorELNS0_4arch9wavefront6targetE0EEEvT1_
	.globl	_ZN7rocprim17ROCPRIM_400000_NS6detail17trampoline_kernelINS0_14default_configENS1_25partition_config_selectorILNS1_17partition_subalgoE5EyNS0_10empty_typeEbEEZZNS1_14partition_implILS5_5ELb0ES3_mN6thrust23THRUST_200600_302600_NS6detail15normal_iteratorINSA_10device_ptrIyEEEEPS6_NSA_18transform_iteratorINSB_9not_fun_tI7is_trueIyEEENSC_INSD_IbEEEENSA_11use_defaultESO_EENS0_5tupleIJSF_S6_EEENSQ_IJSG_SG_EEES6_PlJS6_EEE10hipError_tPvRmT3_T4_T5_T6_T7_T9_mT8_P12ihipStream_tbDpT10_ENKUlT_T0_E_clISt17integral_constantIbLb0EES1D_EEDaS18_S19_EUlS18_E_NS1_11comp_targetILNS1_3genE10ELNS1_11target_archE1200ELNS1_3gpuE4ELNS1_3repE0EEENS1_30default_config_static_selectorELNS0_4arch9wavefront6targetE0EEEvT1_
	.p2align	8
	.type	_ZN7rocprim17ROCPRIM_400000_NS6detail17trampoline_kernelINS0_14default_configENS1_25partition_config_selectorILNS1_17partition_subalgoE5EyNS0_10empty_typeEbEEZZNS1_14partition_implILS5_5ELb0ES3_mN6thrust23THRUST_200600_302600_NS6detail15normal_iteratorINSA_10device_ptrIyEEEEPS6_NSA_18transform_iteratorINSB_9not_fun_tI7is_trueIyEEENSC_INSD_IbEEEENSA_11use_defaultESO_EENS0_5tupleIJSF_S6_EEENSQ_IJSG_SG_EEES6_PlJS6_EEE10hipError_tPvRmT3_T4_T5_T6_T7_T9_mT8_P12ihipStream_tbDpT10_ENKUlT_T0_E_clISt17integral_constantIbLb0EES1D_EEDaS18_S19_EUlS18_E_NS1_11comp_targetILNS1_3genE10ELNS1_11target_archE1200ELNS1_3gpuE4ELNS1_3repE0EEENS1_30default_config_static_selectorELNS0_4arch9wavefront6targetE0EEEvT1_,@function
_ZN7rocprim17ROCPRIM_400000_NS6detail17trampoline_kernelINS0_14default_configENS1_25partition_config_selectorILNS1_17partition_subalgoE5EyNS0_10empty_typeEbEEZZNS1_14partition_implILS5_5ELb0ES3_mN6thrust23THRUST_200600_302600_NS6detail15normal_iteratorINSA_10device_ptrIyEEEEPS6_NSA_18transform_iteratorINSB_9not_fun_tI7is_trueIyEEENSC_INSD_IbEEEENSA_11use_defaultESO_EENS0_5tupleIJSF_S6_EEENSQ_IJSG_SG_EEES6_PlJS6_EEE10hipError_tPvRmT3_T4_T5_T6_T7_T9_mT8_P12ihipStream_tbDpT10_ENKUlT_T0_E_clISt17integral_constantIbLb0EES1D_EEDaS18_S19_EUlS18_E_NS1_11comp_targetILNS1_3genE10ELNS1_11target_archE1200ELNS1_3gpuE4ELNS1_3repE0EEENS1_30default_config_static_selectorELNS0_4arch9wavefront6targetE0EEEvT1_: ; @_ZN7rocprim17ROCPRIM_400000_NS6detail17trampoline_kernelINS0_14default_configENS1_25partition_config_selectorILNS1_17partition_subalgoE5EyNS0_10empty_typeEbEEZZNS1_14partition_implILS5_5ELb0ES3_mN6thrust23THRUST_200600_302600_NS6detail15normal_iteratorINSA_10device_ptrIyEEEEPS6_NSA_18transform_iteratorINSB_9not_fun_tI7is_trueIyEEENSC_INSD_IbEEEENSA_11use_defaultESO_EENS0_5tupleIJSF_S6_EEENSQ_IJSG_SG_EEES6_PlJS6_EEE10hipError_tPvRmT3_T4_T5_T6_T7_T9_mT8_P12ihipStream_tbDpT10_ENKUlT_T0_E_clISt17integral_constantIbLb0EES1D_EEDaS18_S19_EUlS18_E_NS1_11comp_targetILNS1_3genE10ELNS1_11target_archE1200ELNS1_3gpuE4ELNS1_3repE0EEENS1_30default_config_static_selectorELNS0_4arch9wavefront6targetE0EEEvT1_
; %bb.0:
	s_clause 0x3
	s_load_b128 s[4:7], s[0:1], 0x8
	s_load_b128 s[8:11], s[0:1], 0x48
	s_load_b32 s2, s[0:1], 0x70
	s_load_b64 s[14:15], s[0:1], 0x58
	s_mov_b32 s13, 0
	s_lshl_b32 s19, ttmp9, 10
	v_lshrrev_b32_e32 v11, 2, v0
	v_or_b32_e32 v9, 0x200, v0
	v_or_b32_e32 v10, 0x300, v0
	s_mov_b32 s3, -1
	s_wait_kmcnt 0x0
	s_lshl_b64 s[20:21], s[6:7], 3
	s_load_b64 s[10:11], s[10:11], 0x0
	s_add_co_i32 s22, s2, -1
	s_lshl_b32 s12, s2, 10
	s_lshl_b32 s2, s22, 10
	s_add_nc_u64 s[16:17], s[6:7], s[12:13]
	s_add_co_i32 s2, s6, s2
	v_cmp_le_u64_e64 s12, s[14:15], s[16:17]
	s_sub_co_i32 s18, s14, s2
	s_cmp_eq_u32 ttmp9, s22
	s_add_nc_u64 s[4:5], s[4:5], s[20:21]
	s_cselect_b32 s16, -1, 0
	s_wait_alu 0xfffe
	s_and_b32 s2, s16, s12
	s_mov_b32 s12, s19
	s_xor_b32 s17, s2, -1
	s_lshl_b64 s[14:15], s[12:13], 3
	s_wait_alu 0xfffe
	s_and_b32 vcc_lo, exec_lo, s17
	s_add_nc_u64 s[14:15], s[4:5], s[14:15]
	s_cbranch_vccz .LBB2402_2
; %bb.1:
	v_lshlrev_b32_e32 v12, 3, v0
	v_or_b32_e32 v13, 0x100, v0
	v_lshrrev_b32_e32 v14, 2, v9
	v_lshrrev_b32_e32 v15, 2, v10
	v_and_b32_e32 v16, 56, v11
	s_wait_alu 0xfffe
	v_add_co_u32 v1, s2, s14, v12
	s_delay_alu instid0(VALU_DEP_1)
	v_add_co_ci_u32_e64 v2, null, s15, 0, s2
	v_lshrrev_b32_e32 v13, 2, v13
	v_and_b32_e32 v14, 0xb8, v14
	v_and_b32_e32 v15, 0xf8, v15
	s_clause 0x3
	flat_load_b64 v[3:4], v[1:2]
	flat_load_b64 v[5:6], v[1:2] offset:2048
	flat_load_b64 v[7:8], v[1:2] offset:4096
	;; [unrolled: 1-line block ×3, first 2 shown]
	v_add_nc_u32_e32 v16, v16, v12
	v_and_b32_e32 v13, 0x78, v13
	v_add_nc_u32_e32 v14, v14, v12
	s_mov_b32 s3, s13
	s_delay_alu instid0(VALU_DEP_2)
	v_add_nc_u32_e32 v13, v13, v12
	v_add_nc_u32_e32 v12, v15, v12
	s_wait_loadcnt_dscnt 0x303
	ds_store_b64 v16, v[3:4]
	s_wait_loadcnt_dscnt 0x203
	ds_store_b64 v13, v[5:6] offset:2048
	s_wait_loadcnt_dscnt 0x103
	ds_store_b64 v14, v[7:8] offset:4096
	;; [unrolled: 2-line block ×3, first 2 shown]
	s_wait_dscnt 0x0
	s_barrier_signal -1
	s_barrier_wait -1
.LBB2402_2:
	s_load_b64 s[4:5], s[0:1], 0x20
	v_cmp_gt_u32_e64 s2, s18, v0
	s_and_not1_b32 vcc_lo, exec_lo, s3
	s_cbranch_vccnz .LBB2402_10
; %bb.3:
	v_mov_b32_e32 v1, 0
	s_delay_alu instid0(VALU_DEP_1)
	v_dual_mov_b32 v2, v1 :: v_dual_mov_b32 v3, v1
	v_dual_mov_b32 v4, v1 :: v_dual_mov_b32 v5, v1
	;; [unrolled: 1-line block ×3, first 2 shown]
	v_mov_b32_e32 v8, v1
	s_and_saveexec_b32 s3, s2
	s_cbranch_execz .LBB2402_5
; %bb.4:
	v_dual_mov_b32 v15, v1 :: v_dual_lshlrev_b32 v2, 3, v0
	v_dual_mov_b32 v14, v1 :: v_dual_mov_b32 v17, v1
	v_dual_mov_b32 v16, v1 :: v_dual_mov_b32 v19, v1
	s_delay_alu instid0(VALU_DEP_3)
	v_add_co_u32 v2, s2, s14, v2
	s_wait_alu 0xf1ff
	v_add_co_ci_u32_e64 v3, null, s15, 0, s2
	v_mov_b32_e32 v18, v1
	flat_load_b64 v[12:13], v[2:3]
	s_wait_loadcnt_dscnt 0x0
	v_dual_mov_b32 v1, v12 :: v_dual_mov_b32 v2, v13
	v_dual_mov_b32 v3, v14 :: v_dual_mov_b32 v4, v15
	;; [unrolled: 1-line block ×4, first 2 shown]
.LBB2402_5:
	s_wait_alu 0xfffe
	s_or_b32 exec_lo, exec_lo, s3
	v_or_b32_e32 v12, 0x100, v0
	s_mov_b32 s2, exec_lo
	s_delay_alu instid0(VALU_DEP_1)
	v_cmpx_gt_u32_e64 s18, v12
	s_cbranch_execnz .LBB2402_134
; %bb.6:
	s_wait_alu 0xfffe
	s_or_b32 exec_lo, exec_lo, s2
	s_delay_alu instid0(SALU_CYCLE_1)
	s_mov_b32 s2, exec_lo
	v_cmpx_gt_u32_e64 s18, v9
	s_cbranch_execnz .LBB2402_135
.LBB2402_7:
	s_wait_alu 0xfffe
	s_or_b32 exec_lo, exec_lo, s2
	s_delay_alu instid0(SALU_CYCLE_1)
	s_mov_b32 s2, exec_lo
	v_cmpx_gt_u32_e64 s18, v10
	s_cbranch_execz .LBB2402_9
.LBB2402_8:
	v_lshlrev_b32_e32 v7, 3, v0
	s_delay_alu instid0(VALU_DEP_1)
	v_add_co_u32 v7, s3, s14, v7
	s_wait_alu 0xf1ff
	v_add_co_ci_u32_e64 v8, null, s15, 0, s3
	flat_load_b64 v[7:8], v[7:8] offset:6144
.LBB2402_9:
	s_wait_alu 0xfffe
	s_or_b32 exec_lo, exec_lo, s2
	v_lshrrev_b32_e32 v12, 2, v12
	v_lshrrev_b32_e32 v13, 2, v9
	;; [unrolled: 1-line block ×3, first 2 shown]
	v_and_b32_e32 v11, 56, v11
	v_lshlrev_b32_e32 v15, 3, v0
	v_and_b32_e32 v12, 0x78, v12
	v_and_b32_e32 v13, 0xf8, v13
	;; [unrolled: 1-line block ×3, first 2 shown]
	s_delay_alu instid0(VALU_DEP_4) | instskip(NEXT) | instid1(VALU_DEP_4)
	v_add_nc_u32_e32 v11, v11, v15
	v_add_nc_u32_e32 v12, v12, v15
	s_delay_alu instid0(VALU_DEP_4) | instskip(NEXT) | instid1(VALU_DEP_4)
	v_add_nc_u32_e32 v13, v13, v15
	v_add_nc_u32_e32 v14, v14, v15
	ds_store_b64 v11, v[1:2]
	s_wait_loadcnt_dscnt 0x1
	ds_store_b64 v12, v[3:4] offset:2048
	ds_store_b64 v13, v[5:6] offset:4096
	;; [unrolled: 1-line block ×3, first 2 shown]
	s_wait_dscnt 0x0
	s_barrier_signal -1
	s_barrier_wait -1
.LBB2402_10:
	v_and_b32_e32 v1, 0xf8, v0
	global_inv scope:SCOPE_SE
	v_lshrrev_b32_e32 v26, 5, v0
	s_wait_kmcnt 0x0
	s_add_nc_u64 s[2:3], s[4:5], s[6:7]
	s_and_b32 vcc_lo, exec_lo, s17
	v_lshl_add_u32 v1, v0, 5, v1
	s_wait_alu 0xfffe
	s_add_nc_u64 s[2:3], s[2:3], s[12:13]
	s_mov_b32 s4, -1
	ds_load_2addr_b64 v[5:8], v1 offset1:1
	ds_load_2addr_b64 v[1:4], v1 offset0:2 offset1:3
	s_wait_loadcnt_dscnt 0x0
	s_barrier_signal -1
	s_barrier_wait -1
	global_inv scope:SCOPE_SE
	s_cbranch_vccz .LBB2402_12
; %bb.11:
	s_clause 0x3
	global_load_u8 v11, v0, s[2:3]
	global_load_u8 v12, v0, s[2:3] offset:256
	global_load_u8 v13, v0, s[2:3] offset:512
	;; [unrolled: 1-line block ×3, first 2 shown]
	v_or_b32_e32 v15, 0x100, v0
	v_lshrrev_b32_e32 v16, 5, v9
	v_lshrrev_b32_e32 v17, 5, v10
	v_and_b32_e32 v18, 4, v26
	s_mov_b32 s4, 0
	v_lshrrev_b32_e32 v15, 5, v15
	v_and_b32_e32 v16, 20, v16
	v_and_b32_e32 v17, 28, v17
	v_add_nc_u32_e32 v18, v18, v0
	s_delay_alu instid0(VALU_DEP_4) | instskip(NEXT) | instid1(VALU_DEP_4)
	v_and_b32_e32 v15, 12, v15
	v_add_nc_u32_e32 v16, v16, v0
	s_delay_alu instid0(VALU_DEP_4) | instskip(NEXT) | instid1(VALU_DEP_3)
	v_add_nc_u32_e32 v17, v17, v0
	v_add_nc_u32_e32 v15, v15, v0
	s_wait_loadcnt 0x3
	v_xor_b32_e32 v11, 1, v11
	s_wait_loadcnt 0x2
	v_xor_b32_e32 v12, 1, v12
	s_wait_loadcnt 0x1
	v_xor_b32_e32 v13, 1, v13
	s_wait_loadcnt 0x0
	v_xor_b32_e32 v14, 1, v14
	ds_store_b8 v18, v11
	ds_store_b8 v15, v12 offset:256
	ds_store_b8 v16, v13 offset:512
	;; [unrolled: 1-line block ×3, first 2 shown]
	s_wait_dscnt 0x0
	s_barrier_signal -1
	s_barrier_wait -1
.LBB2402_12:
	v_lshlrev_b32_e32 v11, 2, v0
	v_lshrrev_b32_e32 v12, 3, v0
	s_and_not1_b32 vcc_lo, exec_lo, s4
	s_cbranch_vccnz .LBB2402_20
; %bb.13:
	v_dual_mov_b32 v13, 0 :: v_dual_mov_b32 v14, 0
	s_mov_b32 s4, exec_lo
	v_cmpx_gt_u32_e64 s18, v0
	s_cbranch_execz .LBB2402_15
; %bb.14:
	global_load_u8 v13, v0, s[2:3]
	s_wait_loadcnt 0x0
	v_xor_b32_e32 v13, 1, v13
	s_delay_alu instid0(VALU_DEP_1) | instskip(NEXT) | instid1(VALU_DEP_1)
	v_and_b32_e32 v14, 1, v13
	v_and_b32_e32 v14, 0xffff, v14
.LBB2402_15:
	s_or_b32 exec_lo, exec_lo, s4
	v_or_b32_e32 v15, 0x100, v0
	s_mov_b32 s4, exec_lo
	s_delay_alu instid0(VALU_DEP_1)
	v_cmpx_gt_u32_e64 s18, v15
	s_cbranch_execnz .LBB2402_136
; %bb.16:
	s_or_b32 exec_lo, exec_lo, s4
	s_delay_alu instid0(SALU_CYCLE_1)
	s_mov_b32 s4, exec_lo
	v_cmpx_gt_u32_e64 s18, v9
	s_cbranch_execnz .LBB2402_137
.LBB2402_17:
	s_or_b32 exec_lo, exec_lo, s4
	s_delay_alu instid0(SALU_CYCLE_1)
	s_mov_b32 s4, exec_lo
	v_cmpx_gt_u32_e64 s18, v10
	s_cbranch_execz .LBB2402_19
.LBB2402_18:
	global_load_u8 v16, v0, s[2:3] offset:768
	v_lshrrev_b32_e32 v17, 16, v14
	s_wait_loadcnt 0x0
	v_xor_b32_e32 v16, 1, v16
	s_delay_alu instid0(VALU_DEP_1) | instskip(NEXT) | instid1(VALU_DEP_1)
	v_lshlrev_b16 v16, 8, v16
	v_or_b32_e32 v16, v17, v16
	s_delay_alu instid0(VALU_DEP_1) | instskip(NEXT) | instid1(VALU_DEP_1)
	v_lshlrev_b32_e32 v16, 16, v16
	v_and_or_b32 v14, 0xffff, v14, v16
.LBB2402_19:
	s_or_b32 exec_lo, exec_lo, s4
	v_lshrrev_b32_e32 v15, 5, v15
	v_lshrrev_b32_e32 v9, 5, v9
	;; [unrolled: 1-line block ×3, first 2 shown]
	v_and_b32_e32 v16, 4, v26
	v_lshrrev_b32_e32 v17, 8, v14
	v_and_b32_e32 v15, 12, v15
	v_and_b32_e32 v9, 28, v9
	;; [unrolled: 1-line block ×3, first 2 shown]
	v_add_nc_u32_e32 v16, v16, v0
	v_lshrrev_b32_e32 v18, 24, v14
	v_add_nc_u32_e32 v15, v15, v0
	v_add_nc_u32_e32 v9, v9, v0
	;; [unrolled: 1-line block ×3, first 2 shown]
	ds_store_b8 v16, v13
	ds_store_b8 v15, v17 offset:256
	ds_store_b8_d16_hi v9, v14 offset:512
	ds_store_b8 v10, v18 offset:768
	s_wait_loadcnt_dscnt 0x0
	s_barrier_signal -1
	s_barrier_wait -1
.LBB2402_20:
	s_delay_alu instid0(VALU_DEP_1)
	v_dual_mov_b32 v10, 0 :: v_dual_and_b32 v9, 28, v12
	s_wait_loadcnt 0x0
	global_inv scope:SCOPE_SE
	s_load_b64 s[6:7], s[0:1], 0x68
	v_mbcnt_lo_u32_b32 v31, -1, 0
	v_add_nc_u32_e32 v9, v9, v11
	s_cmp_lg_u32 ttmp9, 0
	s_mov_b32 s3, -1
	s_delay_alu instid0(VALU_DEP_2)
	v_and_b32_e32 v32, 15, v31
	ds_load_b32 v27, v9
	s_wait_loadcnt_dscnt 0x0
	s_barrier_signal -1
	s_barrier_wait -1
	global_inv scope:SCOPE_SE
	v_and_b32_e32 v30, 0xff, v27
	v_bfe_u32 v29, v27, 8, 8
	v_bfe_u32 v28, v27, 16, 8
	v_lshrrev_b32_e32 v25, 24, v27
	s_delay_alu instid0(VALU_DEP_2) | instskip(NEXT) | instid1(VALU_DEP_1)
	v_add3_u32 v9, v29, v30, v28
	v_add_co_u32 v17, s2, v9, v25
	s_wait_alu 0xf1ff
	v_add_co_ci_u32_e64 v18, null, 0, 0, s2
	v_cmp_ne_u32_e64 s2, 0, v32
	s_cbranch_scc0 .LBB2402_77
; %bb.21:
	v_mov_b32_e32 v11, v17
	v_mov_b32_dpp v9, v17 row_shr:1 row_mask:0xf bank_mask:0xf
	v_mov_b32_dpp v14, v10 row_shr:1 row_mask:0xf bank_mask:0xf
	v_dual_mov_b32 v13, v17 :: v_dual_mov_b32 v12, v18
	s_and_saveexec_b32 s3, s2
; %bb.22:
	s_delay_alu instid0(VALU_DEP_3) | instskip(NEXT) | instid1(VALU_DEP_1)
	v_add_co_u32 v13, vcc_lo, v17, v9
	v_add_co_ci_u32_e64 v10, null, 0, v18, vcc_lo
	s_delay_alu instid0(VALU_DEP_2) | instskip(SKIP_1) | instid1(VALU_DEP_2)
	v_add_co_u32 v9, vcc_lo, 0, v13
	s_wait_alu 0xfffd
	v_add_co_ci_u32_e64 v10, null, v14, v10, vcc_lo
	s_delay_alu instid0(VALU_DEP_1)
	v_dual_mov_b32 v12, v10 :: v_dual_mov_b32 v11, v9
; %bb.23:
	s_wait_alu 0xfffe
	s_or_b32 exec_lo, exec_lo, s3
	v_mov_b32_dpp v9, v13 row_shr:2 row_mask:0xf bank_mask:0xf
	v_mov_b32_dpp v14, v10 row_shr:2 row_mask:0xf bank_mask:0xf
	s_mov_b32 s3, exec_lo
	v_cmpx_lt_u32_e32 1, v32
; %bb.24:
	s_delay_alu instid0(VALU_DEP_3) | instskip(SKIP_2) | instid1(VALU_DEP_2)
	v_add_co_u32 v13, vcc_lo, v11, v9
	s_wait_alu 0xfffd
	v_add_co_ci_u32_e64 v10, null, 0, v12, vcc_lo
	v_add_co_u32 v9, vcc_lo, 0, v13
	s_wait_alu 0xfffd
	s_delay_alu instid0(VALU_DEP_2) | instskip(NEXT) | instid1(VALU_DEP_1)
	v_add_co_ci_u32_e64 v10, null, v14, v10, vcc_lo
	v_dual_mov_b32 v12, v10 :: v_dual_mov_b32 v11, v9
; %bb.25:
	s_wait_alu 0xfffe
	s_or_b32 exec_lo, exec_lo, s3
	v_mov_b32_dpp v9, v13 row_shr:4 row_mask:0xf bank_mask:0xf
	v_mov_b32_dpp v14, v10 row_shr:4 row_mask:0xf bank_mask:0xf
	s_mov_b32 s3, exec_lo
	v_cmpx_lt_u32_e32 3, v32
; %bb.26:
	s_delay_alu instid0(VALU_DEP_3) | instskip(SKIP_2) | instid1(VALU_DEP_2)
	v_add_co_u32 v13, vcc_lo, v11, v9
	s_wait_alu 0xfffd
	v_add_co_ci_u32_e64 v10, null, 0, v12, vcc_lo
	v_add_co_u32 v9, vcc_lo, 0, v13
	s_wait_alu 0xfffd
	s_delay_alu instid0(VALU_DEP_2) | instskip(NEXT) | instid1(VALU_DEP_1)
	v_add_co_ci_u32_e64 v10, null, v14, v10, vcc_lo
	;; [unrolled: 17-line block ×3, first 2 shown]
	v_mov_b32_e32 v10, v12
; %bb.29:
	s_wait_alu 0xfffe
	s_or_b32 exec_lo, exec_lo, s3
	ds_swizzle_b32 v9, v13 offset:swizzle(BROADCAST,32,15)
	ds_swizzle_b32 v14, v10 offset:swizzle(BROADCAST,32,15)
	v_and_b32_e32 v15, 16, v31
	s_mov_b32 s3, exec_lo
	s_delay_alu instid0(VALU_DEP_1)
	v_cmpx_ne_u32_e32 0, v15
	s_cbranch_execz .LBB2402_31
; %bb.30:
	s_wait_dscnt 0x1
	v_add_co_u32 v13, vcc_lo, v11, v9
	s_wait_alu 0xfffd
	v_add_co_ci_u32_e64 v10, null, 0, v12, vcc_lo
	s_delay_alu instid0(VALU_DEP_2) | instskip(SKIP_2) | instid1(VALU_DEP_2)
	v_add_co_u32 v9, vcc_lo, 0, v13
	s_wait_dscnt 0x0
	s_wait_alu 0xfffd
	v_add_co_ci_u32_e64 v10, null, v14, v10, vcc_lo
	s_delay_alu instid0(VALU_DEP_1)
	v_dual_mov_b32 v12, v10 :: v_dual_mov_b32 v11, v9
.LBB2402_31:
	s_wait_alu 0xfffe
	s_or_b32 exec_lo, exec_lo, s3
	s_wait_dscnt 0x1
	v_or_b32_e32 v9, 31, v0
	s_mov_b32 s3, exec_lo
	s_delay_alu instid0(VALU_DEP_1)
	v_cmpx_eq_u32_e64 v0, v9
; %bb.32:
	v_lshlrev_b32_e32 v9, 3, v26
	ds_store_b64 v9, v[11:12]
; %bb.33:
	s_wait_alu 0xfffe
	s_or_b32 exec_lo, exec_lo, s3
	s_delay_alu instid0(SALU_CYCLE_1)
	s_mov_b32 s3, exec_lo
	s_wait_loadcnt_dscnt 0x0
	s_barrier_signal -1
	s_barrier_wait -1
	global_inv scope:SCOPE_SE
	v_cmpx_gt_u32_e32 8, v0
	s_cbranch_execz .LBB2402_41
; %bb.34:
	v_lshlrev_b32_e32 v9, 3, v0
	s_mov_b32 s4, exec_lo
	ds_load_b64 v[11:12], v9
	s_wait_dscnt 0x0
	v_dual_mov_b32 v15, v11 :: v_dual_and_b32 v14, 7, v31
	v_mov_b32_dpp v19, v11 row_shr:1 row_mask:0xf bank_mask:0xf
	v_mov_b32_dpp v16, v12 row_shr:1 row_mask:0xf bank_mask:0xf
	s_delay_alu instid0(VALU_DEP_3)
	v_cmpx_ne_u32_e32 0, v14
; %bb.35:
	s_delay_alu instid0(VALU_DEP_3) | instskip(SKIP_2) | instid1(VALU_DEP_2)
	v_add_co_u32 v15, vcc_lo, v11, v19
	s_wait_alu 0xfffd
	v_add_co_ci_u32_e64 v12, null, 0, v12, vcc_lo
	v_add_co_u32 v11, vcc_lo, 0, v15
	s_wait_alu 0xfffd
	s_delay_alu instid0(VALU_DEP_2)
	v_add_co_ci_u32_e64 v12, null, v16, v12, vcc_lo
; %bb.36:
	s_or_b32 exec_lo, exec_lo, s4
	v_mov_b32_dpp v19, v15 row_shr:2 row_mask:0xf bank_mask:0xf
	s_delay_alu instid0(VALU_DEP_2)
	v_mov_b32_dpp v16, v12 row_shr:2 row_mask:0xf bank_mask:0xf
	s_mov_b32 s4, exec_lo
	v_cmpx_lt_u32_e32 1, v14
; %bb.37:
	s_delay_alu instid0(VALU_DEP_3) | instskip(SKIP_2) | instid1(VALU_DEP_2)
	v_add_co_u32 v15, vcc_lo, v11, v19
	s_wait_alu 0xfffd
	v_add_co_ci_u32_e64 v12, null, 0, v12, vcc_lo
	v_add_co_u32 v11, vcc_lo, 0, v15
	s_wait_alu 0xfffd
	s_delay_alu instid0(VALU_DEP_2)
	v_add_co_ci_u32_e64 v12, null, v16, v12, vcc_lo
; %bb.38:
	s_or_b32 exec_lo, exec_lo, s4
	v_mov_b32_dpp v16, v15 row_shr:4 row_mask:0xf bank_mask:0xf
	s_delay_alu instid0(VALU_DEP_2)
	v_mov_b32_dpp v15, v12 row_shr:4 row_mask:0xf bank_mask:0xf
	s_mov_b32 s4, exec_lo
	v_cmpx_lt_u32_e32 3, v14
; %bb.39:
	s_delay_alu instid0(VALU_DEP_3) | instskip(SKIP_2) | instid1(VALU_DEP_2)
	v_add_co_u32 v11, vcc_lo, v11, v16
	s_wait_alu 0xfffd
	v_add_co_ci_u32_e64 v12, null, 0, v12, vcc_lo
	v_add_co_u32 v11, vcc_lo, v11, 0
	s_wait_alu 0xfffd
	s_delay_alu instid0(VALU_DEP_2)
	v_add_co_ci_u32_e64 v12, null, v12, v15, vcc_lo
; %bb.40:
	s_or_b32 exec_lo, exec_lo, s4
	ds_store_b64 v9, v[11:12]
.LBB2402_41:
	s_wait_alu 0xfffe
	s_or_b32 exec_lo, exec_lo, s3
	s_delay_alu instid0(SALU_CYCLE_1)
	s_mov_b32 s4, exec_lo
	v_cmp_gt_u32_e32 vcc_lo, 32, v0
	s_wait_loadcnt_dscnt 0x0
	s_barrier_signal -1
	s_barrier_wait -1
	global_inv scope:SCOPE_SE
                                        ; implicit-def: $vgpr19_vgpr20
	v_cmpx_lt_u32_e32 31, v0
	s_cbranch_execz .LBB2402_43
; %bb.42:
	v_lshl_add_u32 v9, v26, 3, -8
	ds_load_b64 v[19:20], v9
	s_wait_dscnt 0x0
	v_add_co_u32 v13, s3, v13, v19
	s_wait_alu 0xf1ff
	v_add_co_ci_u32_e64 v10, null, v10, v20, s3
.LBB2402_43:
	s_or_b32 exec_lo, exec_lo, s4
	v_sub_co_u32 v9, s3, v31, 1
	s_delay_alu instid0(VALU_DEP_1) | instskip(NEXT) | instid1(VALU_DEP_1)
	v_cmp_gt_i32_e64 s4, 0, v9
	v_cndmask_b32_e64 v9, v9, v31, s4
	s_delay_alu instid0(VALU_DEP_1)
	v_lshlrev_b32_e32 v9, 2, v9
	ds_bpermute_b32 v33, v9, v13
	ds_bpermute_b32 v34, v9, v10
	s_and_saveexec_b32 s4, vcc_lo
	s_cbranch_execz .LBB2402_82
; %bb.44:
	v_mov_b32_e32 v12, 0
	ds_load_b64 v[9:10], v12 offset:56
	s_and_saveexec_b32 s5, s3
	s_cbranch_execz .LBB2402_46
; %bb.45:
	s_add_co_i32 s12, ttmp9, 32
	s_delay_alu instid0(SALU_CYCLE_1) | instskip(SKIP_2) | instid1(SALU_CYCLE_1)
	s_lshl_b64 s[12:13], s[12:13], 4
	s_wait_kmcnt 0x0
	s_add_nc_u64 s[12:13], s[6:7], s[12:13]
	v_dual_mov_b32 v11, 1 :: v_dual_mov_b32 v14, s13
	v_mov_b32_e32 v13, s12
	s_wait_dscnt 0x0
	;;#ASMSTART
	global_store_b128 v[13:14], v[9:12] off scope:SCOPE_DEV	
s_wait_storecnt 0x0
	;;#ASMEND
.LBB2402_46:
	s_wait_alu 0xfffe
	s_or_b32 exec_lo, exec_lo, s5
	v_xad_u32 v21, v31, -1, ttmp9
	s_mov_b32 s12, 0
	s_mov_b32 s5, exec_lo
	s_delay_alu instid0(VALU_DEP_1) | instskip(NEXT) | instid1(VALU_DEP_1)
	v_add_nc_u32_e32 v11, 32, v21
	v_lshlrev_b64_e32 v[11:12], 4, v[11:12]
	s_wait_kmcnt 0x0
	s_delay_alu instid0(VALU_DEP_1) | instskip(SKIP_1) | instid1(VALU_DEP_2)
	v_add_co_u32 v11, vcc_lo, s6, v11
	s_wait_alu 0xfffd
	v_add_co_ci_u32_e64 v12, null, s7, v12, vcc_lo
	;;#ASMSTART
	global_load_b128 v[13:16], v[11:12] off scope:SCOPE_DEV	
s_wait_loadcnt 0x0
	;;#ASMEND
	v_and_b32_e32 v16, 0xff, v15
	s_delay_alu instid0(VALU_DEP_1)
	v_cmpx_eq_u16_e32 0, v16
	s_cbranch_execz .LBB2402_49
.LBB2402_47:                            ; =>This Inner Loop Header: Depth=1
	;;#ASMSTART
	global_load_b128 v[13:16], v[11:12] off scope:SCOPE_DEV	
s_wait_loadcnt 0x0
	;;#ASMEND
	v_and_b32_e32 v16, 0xff, v15
	s_delay_alu instid0(VALU_DEP_1)
	v_cmp_ne_u16_e32 vcc_lo, 0, v16
	s_wait_alu 0xfffe
	s_or_b32 s12, vcc_lo, s12
	s_wait_alu 0xfffe
	s_and_not1_b32 exec_lo, exec_lo, s12
	s_cbranch_execnz .LBB2402_47
; %bb.48:
	s_or_b32 exec_lo, exec_lo, s12
.LBB2402_49:
	s_wait_alu 0xfffe
	s_or_b32 exec_lo, exec_lo, s5
	v_cmp_ne_u32_e32 vcc_lo, 31, v31
	v_and_b32_e32 v12, 0xff, v15
	v_lshlrev_b32_e64 v36, v31, -1
	s_mov_b32 s5, exec_lo
	s_wait_alu 0xfffd
	v_add_co_ci_u32_e64 v11, null, 0, v31, vcc_lo
	v_cmp_eq_u16_e32 vcc_lo, 2, v12
	s_delay_alu instid0(VALU_DEP_2)
	v_dual_mov_b32 v12, v13 :: v_dual_lshlrev_b32 v35, 2, v11
	s_wait_alu 0xfffd
	v_and_or_b32 v11, vcc_lo, v36, 0x80000000
	ds_bpermute_b32 v22, v35, v13
	ds_bpermute_b32 v16, v35, v14
	v_ctz_i32_b32_e32 v11, v11
	s_delay_alu instid0(VALU_DEP_1)
	v_cmpx_lt_u32_e64 v31, v11
	s_cbranch_execz .LBB2402_51
; %bb.50:
	s_wait_dscnt 0x1
	v_add_co_u32 v12, vcc_lo, v13, v22
	s_wait_alu 0xfffd
	v_add_co_ci_u32_e64 v14, null, 0, v14, vcc_lo
	s_delay_alu instid0(VALU_DEP_2) | instskip(SKIP_2) | instid1(VALU_DEP_2)
	v_add_co_u32 v13, vcc_lo, 0, v12
	s_wait_dscnt 0x0
	s_wait_alu 0xfffd
	v_add_co_ci_u32_e64 v14, null, v16, v14, vcc_lo
.LBB2402_51:
	s_wait_alu 0xfffe
	s_or_b32 exec_lo, exec_lo, s5
	v_cmp_gt_u32_e32 vcc_lo, 30, v31
	v_add_nc_u32_e32 v38, 2, v31
	s_mov_b32 s5, exec_lo
	s_wait_dscnt 0x0
	s_wait_alu 0xfffd
	v_cndmask_b32_e64 v16, 0, 2, vcc_lo
	s_delay_alu instid0(VALU_DEP_1)
	v_add_lshl_u32 v37, v16, v31, 2
	ds_bpermute_b32 v22, v37, v12
	ds_bpermute_b32 v16, v37, v14
	v_cmpx_le_u32_e64 v38, v11
	s_cbranch_execz .LBB2402_53
; %bb.52:
	s_wait_dscnt 0x1
	v_add_co_u32 v12, vcc_lo, v13, v22
	s_wait_alu 0xfffd
	v_add_co_ci_u32_e64 v14, null, 0, v14, vcc_lo
	s_delay_alu instid0(VALU_DEP_2) | instskip(SKIP_2) | instid1(VALU_DEP_2)
	v_add_co_u32 v13, vcc_lo, 0, v12
	s_wait_dscnt 0x0
	s_wait_alu 0xfffd
	v_add_co_ci_u32_e64 v14, null, v16, v14, vcc_lo
.LBB2402_53:
	s_wait_alu 0xfffe
	s_or_b32 exec_lo, exec_lo, s5
	v_cmp_gt_u32_e32 vcc_lo, 28, v31
	v_add_nc_u32_e32 v40, 4, v31
	s_mov_b32 s5, exec_lo
	s_wait_dscnt 0x0
	s_wait_alu 0xfffd
	v_cndmask_b32_e64 v16, 0, 4, vcc_lo
	s_delay_alu instid0(VALU_DEP_1)
	v_add_lshl_u32 v39, v16, v31, 2
	ds_bpermute_b32 v22, v39, v12
	ds_bpermute_b32 v16, v39, v14
	v_cmpx_le_u32_e64 v40, v11
	;; [unrolled: 25-line block ×3, first 2 shown]
	s_cbranch_execz .LBB2402_57
; %bb.56:
	s_wait_dscnt 0x1
	v_add_co_u32 v12, vcc_lo, v13, v22
	s_wait_alu 0xfffd
	v_add_co_ci_u32_e64 v14, null, 0, v14, vcc_lo
	s_delay_alu instid0(VALU_DEP_2) | instskip(SKIP_2) | instid1(VALU_DEP_2)
	v_add_co_u32 v13, vcc_lo, 0, v12
	s_wait_dscnt 0x0
	s_wait_alu 0xfffd
	v_add_co_ci_u32_e64 v14, null, v16, v14, vcc_lo
.LBB2402_57:
	s_wait_alu 0xfffe
	s_or_b32 exec_lo, exec_lo, s5
	v_lshl_or_b32 v43, v31, 2, 64
	v_add_nc_u32_e32 v44, 16, v31
	s_mov_b32 s5, exec_lo
	s_wait_dscnt 0x0
	ds_bpermute_b32 v16, v43, v12
	ds_bpermute_b32 v12, v43, v14
	v_cmpx_le_u32_e64 v44, v11
	s_cbranch_execz .LBB2402_59
; %bb.58:
	s_wait_dscnt 0x1
	v_add_co_u32 v11, vcc_lo, v13, v16
	s_wait_alu 0xfffd
	v_add_co_ci_u32_e64 v14, null, 0, v14, vcc_lo
	s_delay_alu instid0(VALU_DEP_2) | instskip(SKIP_2) | instid1(VALU_DEP_2)
	v_add_co_u32 v13, vcc_lo, v11, 0
	s_wait_dscnt 0x0
	s_wait_alu 0xfffd
	v_add_co_ci_u32_e64 v14, null, v14, v12, vcc_lo
.LBB2402_59:
	s_wait_alu 0xfffe
	s_or_b32 exec_lo, exec_lo, s5
	v_mov_b32_e32 v22, 0
	s_branch .LBB2402_62
.LBB2402_60:                            ;   in Loop: Header=BB2402_62 Depth=1
	s_wait_alu 0xfffe
	s_or_b32 exec_lo, exec_lo, s5
	v_add_co_u32 v13, vcc_lo, v13, v11
	v_subrev_nc_u32_e32 v21, 32, v21
	s_wait_alu 0xfffd
	v_add_co_ci_u32_e64 v14, null, v14, v12, vcc_lo
	s_mov_b32 s5, 0
.LBB2402_61:                            ;   in Loop: Header=BB2402_62 Depth=1
	s_wait_alu 0xfffe
	s_and_b32 vcc_lo, exec_lo, s5
	s_wait_alu 0xfffe
	s_cbranch_vccnz .LBB2402_78
.LBB2402_62:                            ; =>This Loop Header: Depth=1
                                        ;     Child Loop BB2402_65 Depth 2
	v_and_b32_e32 v11, 0xff, v15
	s_mov_b32 s5, -1
	s_delay_alu instid0(VALU_DEP_1)
	v_cmp_ne_u16_e32 vcc_lo, 2, v11
	s_wait_dscnt 0x0
	v_dual_mov_b32 v11, v13 :: v_dual_mov_b32 v12, v14
                                        ; implicit-def: $vgpr13_vgpr14
	s_cmp_lg_u32 vcc_lo, exec_lo
	s_cbranch_scc1 .LBB2402_61
; %bb.63:                               ;   in Loop: Header=BB2402_62 Depth=1
	v_lshlrev_b64_e32 v[13:14], 4, v[21:22]
	s_mov_b32 s5, exec_lo
	s_delay_alu instid0(VALU_DEP_1) | instskip(SKIP_1) | instid1(VALU_DEP_2)
	v_add_co_u32 v23, vcc_lo, s6, v13
	s_wait_alu 0xfffd
	v_add_co_ci_u32_e64 v24, null, s7, v14, vcc_lo
	;;#ASMSTART
	global_load_b128 v[13:16], v[23:24] off scope:SCOPE_DEV	
s_wait_loadcnt 0x0
	;;#ASMEND
	v_and_b32_e32 v16, 0xff, v15
	s_delay_alu instid0(VALU_DEP_1)
	v_cmpx_eq_u16_e32 0, v16
	s_cbranch_execz .LBB2402_67
; %bb.64:                               ;   in Loop: Header=BB2402_62 Depth=1
	s_mov_b32 s12, 0
.LBB2402_65:                            ;   Parent Loop BB2402_62 Depth=1
                                        ; =>  This Inner Loop Header: Depth=2
	;;#ASMSTART
	global_load_b128 v[13:16], v[23:24] off scope:SCOPE_DEV	
s_wait_loadcnt 0x0
	;;#ASMEND
	v_and_b32_e32 v16, 0xff, v15
	s_delay_alu instid0(VALU_DEP_1)
	v_cmp_ne_u16_e32 vcc_lo, 0, v16
	s_wait_alu 0xfffe
	s_or_b32 s12, vcc_lo, s12
	s_wait_alu 0xfffe
	s_and_not1_b32 exec_lo, exec_lo, s12
	s_cbranch_execnz .LBB2402_65
; %bb.66:                               ;   in Loop: Header=BB2402_62 Depth=1
	s_or_b32 exec_lo, exec_lo, s12
.LBB2402_67:                            ;   in Loop: Header=BB2402_62 Depth=1
	s_wait_alu 0xfffe
	s_or_b32 exec_lo, exec_lo, s5
	v_dual_mov_b32 v23, v13 :: v_dual_and_b32 v16, 0xff, v15
	ds_bpermute_b32 v45, v35, v13
	ds_bpermute_b32 v24, v35, v14
	s_mov_b32 s5, exec_lo
	v_cmp_eq_u16_e32 vcc_lo, 2, v16
	s_wait_alu 0xfffd
	v_and_or_b32 v16, vcc_lo, v36, 0x80000000
	s_delay_alu instid0(VALU_DEP_1) | instskip(NEXT) | instid1(VALU_DEP_1)
	v_ctz_i32_b32_e32 v16, v16
	v_cmpx_lt_u32_e64 v31, v16
	s_cbranch_execz .LBB2402_69
; %bb.68:                               ;   in Loop: Header=BB2402_62 Depth=1
	s_wait_dscnt 0x1
	v_add_co_u32 v23, vcc_lo, v13, v45
	s_wait_alu 0xfffd
	v_add_co_ci_u32_e64 v14, null, 0, v14, vcc_lo
	s_delay_alu instid0(VALU_DEP_2) | instskip(SKIP_2) | instid1(VALU_DEP_2)
	v_add_co_u32 v13, vcc_lo, 0, v23
	s_wait_dscnt 0x0
	s_wait_alu 0xfffd
	v_add_co_ci_u32_e64 v14, null, v24, v14, vcc_lo
.LBB2402_69:                            ;   in Loop: Header=BB2402_62 Depth=1
	s_wait_alu 0xfffe
	s_or_b32 exec_lo, exec_lo, s5
	s_wait_dscnt 0x1
	ds_bpermute_b32 v45, v37, v23
	s_wait_dscnt 0x1
	ds_bpermute_b32 v24, v37, v14
	s_mov_b32 s5, exec_lo
	v_cmpx_le_u32_e64 v38, v16
	s_cbranch_execz .LBB2402_71
; %bb.70:                               ;   in Loop: Header=BB2402_62 Depth=1
	s_wait_dscnt 0x1
	v_add_co_u32 v23, vcc_lo, v13, v45
	s_wait_alu 0xfffd
	v_add_co_ci_u32_e64 v14, null, 0, v14, vcc_lo
	s_delay_alu instid0(VALU_DEP_2) | instskip(SKIP_2) | instid1(VALU_DEP_2)
	v_add_co_u32 v13, vcc_lo, 0, v23
	s_wait_dscnt 0x0
	s_wait_alu 0xfffd
	v_add_co_ci_u32_e64 v14, null, v24, v14, vcc_lo
.LBB2402_71:                            ;   in Loop: Header=BB2402_62 Depth=1
	s_wait_alu 0xfffe
	s_or_b32 exec_lo, exec_lo, s5
	s_wait_dscnt 0x1
	ds_bpermute_b32 v45, v39, v23
	s_wait_dscnt 0x1
	ds_bpermute_b32 v24, v39, v14
	s_mov_b32 s5, exec_lo
	v_cmpx_le_u32_e64 v40, v16
	;; [unrolled: 20-line block ×3, first 2 shown]
	s_cbranch_execz .LBB2402_75
; %bb.74:                               ;   in Loop: Header=BB2402_62 Depth=1
	s_wait_dscnt 0x1
	v_add_co_u32 v23, vcc_lo, v13, v45
	s_wait_alu 0xfffd
	v_add_co_ci_u32_e64 v14, null, 0, v14, vcc_lo
	s_delay_alu instid0(VALU_DEP_2) | instskip(SKIP_2) | instid1(VALU_DEP_2)
	v_add_co_u32 v13, vcc_lo, 0, v23
	s_wait_dscnt 0x0
	s_wait_alu 0xfffd
	v_add_co_ci_u32_e64 v14, null, v24, v14, vcc_lo
.LBB2402_75:                            ;   in Loop: Header=BB2402_62 Depth=1
	s_wait_alu 0xfffe
	s_or_b32 exec_lo, exec_lo, s5
	s_wait_dscnt 0x0
	ds_bpermute_b32 v24, v43, v23
	ds_bpermute_b32 v23, v43, v14
	s_mov_b32 s5, exec_lo
	v_cmpx_le_u32_e64 v44, v16
	s_cbranch_execz .LBB2402_60
; %bb.76:                               ;   in Loop: Header=BB2402_62 Depth=1
	s_wait_dscnt 0x1
	v_add_co_u32 v13, vcc_lo, v13, v24
	s_wait_alu 0xfffd
	v_add_co_ci_u32_e64 v14, null, 0, v14, vcc_lo
	s_delay_alu instid0(VALU_DEP_2) | instskip(SKIP_2) | instid1(VALU_DEP_2)
	v_add_co_u32 v13, vcc_lo, v13, 0
	s_wait_dscnt 0x0
	s_wait_alu 0xfffd
	v_add_co_ci_u32_e64 v14, null, v14, v23, vcc_lo
	s_branch .LBB2402_60
.LBB2402_77:
                                        ; implicit-def: $vgpr15_vgpr16
                                        ; implicit-def: $vgpr13_vgpr14
                                        ; implicit-def: $vgpr19_vgpr20
                                        ; implicit-def: $vgpr21_vgpr22
                                        ; implicit-def: $vgpr11_vgpr12
	s_wait_alu 0xfffe
	s_and_b32 vcc_lo, exec_lo, s3
	s_cbranch_vccnz .LBB2402_83
	s_branch .LBB2402_108
.LBB2402_78:
	s_and_saveexec_b32 s5, s3
	s_cbranch_execz .LBB2402_80
; %bb.79:
	s_add_co_i32 s12, ttmp9, 32
	s_mov_b32 s13, 0
	v_add_co_u32 v13, vcc_lo, v11, v9
	s_wait_alu 0xfffe
	s_lshl_b64 s[12:13], s[12:13], 4
	v_dual_mov_b32 v15, 2 :: v_dual_mov_b32 v16, 0
	s_wait_alu 0xfffe
	s_add_nc_u64 s[12:13], s[6:7], s[12:13]
	s_wait_alu 0xfffd
	v_add_co_ci_u32_e64 v14, null, v12, v10, vcc_lo
	s_wait_alu 0xfffe
	v_dual_mov_b32 v22, s13 :: v_dual_mov_b32 v21, s12
	;;#ASMSTART
	global_store_b128 v[21:22], v[13:16] off scope:SCOPE_DEV	
s_wait_storecnt 0x0
	;;#ASMEND
	ds_store_b128 v16, v[9:12] offset:8448
.LBB2402_80:
	s_wait_alu 0xfffe
	s_or_b32 exec_lo, exec_lo, s5
	v_cmp_eq_u32_e32 vcc_lo, 0, v0
	s_and_b32 exec_lo, exec_lo, vcc_lo
; %bb.81:
	v_mov_b32_e32 v9, 0
	ds_store_b64 v9, v[11:12] offset:56
.LBB2402_82:
	s_wait_alu 0xfffe
	s_or_b32 exec_lo, exec_lo, s4
	s_wait_dscnt 0x1
	v_cndmask_b32_e64 v10, v33, v19, s3
	v_cmp_ne_u32_e32 vcc_lo, 0, v0
	v_mov_b32_e32 v9, 0
	s_wait_loadcnt_dscnt 0x0
	s_barrier_signal -1
	s_barrier_wait -1
	global_inv scope:SCOPE_SE
	s_wait_alu 0xfffd
	v_cndmask_b32_e32 v16, 0, v10, vcc_lo
	ds_load_b64 v[13:14], v9 offset:56
	v_cndmask_b32_e64 v11, v34, v20, s3
	s_wait_loadcnt_dscnt 0x0
	s_barrier_signal -1
	s_barrier_wait -1
	global_inv scope:SCOPE_SE
	v_cndmask_b32_e32 v15, 0, v11, vcc_lo
	ds_load_b128 v[9:12], v9 offset:8448
	v_add_co_u32 v21, vcc_lo, v13, v16
	s_wait_alu 0xfffd
	v_add_co_ci_u32_e64 v22, null, v14, v15, vcc_lo
	s_delay_alu instid0(VALU_DEP_2) | instskip(SKIP_1) | instid1(VALU_DEP_2)
	v_add_co_u32 v19, vcc_lo, v21, v30
	s_wait_alu 0xfffd
	v_add_co_ci_u32_e64 v20, null, 0, v22, vcc_lo
	s_delay_alu instid0(VALU_DEP_2) | instskip(SKIP_1) | instid1(VALU_DEP_2)
	;; [unrolled: 4-line block ×3, first 2 shown]
	v_add_co_u32 v15, vcc_lo, v13, v28
	s_wait_alu 0xfffd
	v_add_co_ci_u32_e64 v16, null, 0, v14, vcc_lo
	s_branch .LBB2402_108
.LBB2402_83:
	s_wait_dscnt 0x0
	v_dual_mov_b32 v10, 0 :: v_dual_mov_b32 v11, v17
	v_mov_b32_dpp v12, v17 row_shr:1 row_mask:0xf bank_mask:0xf
	s_delay_alu instid0(VALU_DEP_2)
	v_mov_b32_dpp v9, v10 row_shr:1 row_mask:0xf bank_mask:0xf
	s_and_saveexec_b32 s3, s2
; %bb.84:
	s_delay_alu instid0(VALU_DEP_2) | instskip(NEXT) | instid1(VALU_DEP_1)
	v_add_co_u32 v11, vcc_lo, v17, v12
	v_add_co_ci_u32_e64 v10, null, 0, v18, vcc_lo
	s_delay_alu instid0(VALU_DEP_2) | instskip(SKIP_1) | instid1(VALU_DEP_2)
	v_add_co_u32 v17, vcc_lo, 0, v11
	s_wait_alu 0xfffd
	v_add_co_ci_u32_e64 v18, null, v9, v10, vcc_lo
	s_delay_alu instid0(VALU_DEP_1)
	v_mov_b32_e32 v10, v18
; %bb.85:
	s_wait_alu 0xfffe
	s_or_b32 exec_lo, exec_lo, s3
	v_mov_b32_dpp v9, v11 row_shr:2 row_mask:0xf bank_mask:0xf
	s_delay_alu instid0(VALU_DEP_2)
	v_mov_b32_dpp v12, v10 row_shr:2 row_mask:0xf bank_mask:0xf
	s_mov_b32 s2, exec_lo
	v_cmpx_lt_u32_e32 1, v32
; %bb.86:
	s_delay_alu instid0(VALU_DEP_3) | instskip(SKIP_2) | instid1(VALU_DEP_2)
	v_add_co_u32 v11, vcc_lo, v17, v9
	s_wait_alu 0xfffd
	v_add_co_ci_u32_e64 v10, null, 0, v18, vcc_lo
	v_add_co_u32 v9, vcc_lo, 0, v11
	s_wait_alu 0xfffd
	s_delay_alu instid0(VALU_DEP_2) | instskip(NEXT) | instid1(VALU_DEP_1)
	v_add_co_ci_u32_e64 v10, null, v12, v10, vcc_lo
	v_dual_mov_b32 v18, v10 :: v_dual_mov_b32 v17, v9
; %bb.87:
	s_wait_alu 0xfffe
	s_or_b32 exec_lo, exec_lo, s2
	v_mov_b32_dpp v9, v11 row_shr:4 row_mask:0xf bank_mask:0xf
	v_mov_b32_dpp v12, v10 row_shr:4 row_mask:0xf bank_mask:0xf
	s_mov_b32 s2, exec_lo
	v_cmpx_lt_u32_e32 3, v32
; %bb.88:
	s_delay_alu instid0(VALU_DEP_3) | instskip(SKIP_2) | instid1(VALU_DEP_2)
	v_add_co_u32 v11, vcc_lo, v17, v9
	s_wait_alu 0xfffd
	v_add_co_ci_u32_e64 v10, null, 0, v18, vcc_lo
	v_add_co_u32 v9, vcc_lo, 0, v11
	s_wait_alu 0xfffd
	s_delay_alu instid0(VALU_DEP_2) | instskip(NEXT) | instid1(VALU_DEP_1)
	v_add_co_ci_u32_e64 v10, null, v12, v10, vcc_lo
	v_dual_mov_b32 v18, v10 :: v_dual_mov_b32 v17, v9
; %bb.89:
	s_wait_alu 0xfffe
	s_or_b32 exec_lo, exec_lo, s2
	v_mov_b32_dpp v12, v11 row_shr:8 row_mask:0xf bank_mask:0xf
	v_mov_b32_dpp v9, v10 row_shr:8 row_mask:0xf bank_mask:0xf
	s_mov_b32 s2, exec_lo
	v_cmpx_lt_u32_e32 7, v32
; %bb.90:
	s_delay_alu instid0(VALU_DEP_3) | instskip(SKIP_2) | instid1(VALU_DEP_2)
	v_add_co_u32 v11, vcc_lo, v17, v12
	s_wait_alu 0xfffd
	v_add_co_ci_u32_e64 v10, null, 0, v18, vcc_lo
	v_add_co_u32 v17, vcc_lo, 0, v11
	s_wait_alu 0xfffd
	s_delay_alu instid0(VALU_DEP_2) | instskip(NEXT) | instid1(VALU_DEP_1)
	v_add_co_ci_u32_e64 v18, null, v9, v10, vcc_lo
	v_mov_b32_e32 v10, v18
; %bb.91:
	s_wait_alu 0xfffe
	s_or_b32 exec_lo, exec_lo, s2
	ds_swizzle_b32 v11, v11 offset:swizzle(BROADCAST,32,15)
	ds_swizzle_b32 v9, v10 offset:swizzle(BROADCAST,32,15)
	v_and_b32_e32 v10, 16, v31
	s_mov_b32 s2, exec_lo
	s_delay_alu instid0(VALU_DEP_1)
	v_cmpx_ne_u32_e32 0, v10
	s_cbranch_execz .LBB2402_93
; %bb.92:
	s_wait_dscnt 0x1
	v_add_co_u32 v10, vcc_lo, v17, v11
	s_wait_alu 0xfffd
	v_add_co_ci_u32_e64 v11, null, 0, v18, vcc_lo
	s_delay_alu instid0(VALU_DEP_2) | instskip(SKIP_2) | instid1(VALU_DEP_2)
	v_add_co_u32 v17, vcc_lo, v10, 0
	s_wait_dscnt 0x0
	s_wait_alu 0xfffd
	v_add_co_ci_u32_e64 v18, null, v11, v9, vcc_lo
.LBB2402_93:
	s_wait_alu 0xfffe
	s_or_b32 exec_lo, exec_lo, s2
	s_wait_dscnt 0x0
	v_or_b32_e32 v9, 31, v0
	s_mov_b32 s2, exec_lo
	s_delay_alu instid0(VALU_DEP_1)
	v_cmpx_eq_u32_e64 v0, v9
; %bb.94:
	v_lshlrev_b32_e32 v9, 3, v26
	ds_store_b64 v9, v[17:18]
; %bb.95:
	s_wait_alu 0xfffe
	s_or_b32 exec_lo, exec_lo, s2
	s_delay_alu instid0(SALU_CYCLE_1)
	s_mov_b32 s2, exec_lo
	s_wait_loadcnt_dscnt 0x0
	s_barrier_signal -1
	s_barrier_wait -1
	global_inv scope:SCOPE_SE
	v_cmpx_gt_u32_e32 8, v0
	s_cbranch_execz .LBB2402_103
; %bb.96:
	v_lshlrev_b32_e32 v11, 3, v0
	s_mov_b32 s3, exec_lo
	ds_load_b64 v[9:10], v11
	s_wait_dscnt 0x0
	v_dual_mov_b32 v13, v9 :: v_dual_and_b32 v12, 7, v31
	v_mov_b32_dpp v15, v9 row_shr:1 row_mask:0xf bank_mask:0xf
	v_mov_b32_dpp v14, v10 row_shr:1 row_mask:0xf bank_mask:0xf
	s_delay_alu instid0(VALU_DEP_3)
	v_cmpx_ne_u32_e32 0, v12
; %bb.97:
	s_delay_alu instid0(VALU_DEP_3) | instskip(SKIP_2) | instid1(VALU_DEP_2)
	v_add_co_u32 v13, vcc_lo, v9, v15
	s_wait_alu 0xfffd
	v_add_co_ci_u32_e64 v10, null, 0, v10, vcc_lo
	v_add_co_u32 v9, vcc_lo, 0, v13
	s_wait_alu 0xfffd
	s_delay_alu instid0(VALU_DEP_2)
	v_add_co_ci_u32_e64 v10, null, v14, v10, vcc_lo
; %bb.98:
	s_wait_alu 0xfffe
	s_or_b32 exec_lo, exec_lo, s3
	v_mov_b32_dpp v15, v13 row_shr:2 row_mask:0xf bank_mask:0xf
	s_delay_alu instid0(VALU_DEP_2)
	v_mov_b32_dpp v14, v10 row_shr:2 row_mask:0xf bank_mask:0xf
	s_mov_b32 s3, exec_lo
	v_cmpx_lt_u32_e32 1, v12
; %bb.99:
	s_delay_alu instid0(VALU_DEP_3) | instskip(SKIP_2) | instid1(VALU_DEP_2)
	v_add_co_u32 v13, vcc_lo, v9, v15
	s_wait_alu 0xfffd
	v_add_co_ci_u32_e64 v10, null, 0, v10, vcc_lo
	v_add_co_u32 v9, vcc_lo, 0, v13
	s_wait_alu 0xfffd
	s_delay_alu instid0(VALU_DEP_2)
	v_add_co_ci_u32_e64 v10, null, v14, v10, vcc_lo
; %bb.100:
	s_wait_alu 0xfffe
	s_or_b32 exec_lo, exec_lo, s3
	v_mov_b32_dpp v14, v13 row_shr:4 row_mask:0xf bank_mask:0xf
	s_delay_alu instid0(VALU_DEP_2)
	v_mov_b32_dpp v13, v10 row_shr:4 row_mask:0xf bank_mask:0xf
	s_mov_b32 s3, exec_lo
	v_cmpx_lt_u32_e32 3, v12
; %bb.101:
	s_delay_alu instid0(VALU_DEP_3) | instskip(SKIP_2) | instid1(VALU_DEP_2)
	v_add_co_u32 v9, vcc_lo, v9, v14
	s_wait_alu 0xfffd
	v_add_co_ci_u32_e64 v10, null, 0, v10, vcc_lo
	v_add_co_u32 v9, vcc_lo, v9, 0
	s_wait_alu 0xfffd
	s_delay_alu instid0(VALU_DEP_2)
	v_add_co_ci_u32_e64 v10, null, v10, v13, vcc_lo
; %bb.102:
	s_wait_alu 0xfffe
	s_or_b32 exec_lo, exec_lo, s3
	ds_store_b64 v11, v[9:10]
.LBB2402_103:
	s_wait_alu 0xfffe
	s_or_b32 exec_lo, exec_lo, s2
	v_mov_b32_e32 v13, 0
	v_mov_b32_e32 v14, 0
	s_mov_b32 s2, exec_lo
	s_wait_loadcnt_dscnt 0x0
	s_barrier_signal -1
	s_barrier_wait -1
	global_inv scope:SCOPE_SE
	v_cmpx_lt_u32_e32 31, v0
; %bb.104:
	v_lshl_add_u32 v9, v26, 3, -8
	ds_load_b64 v[13:14], v9
; %bb.105:
	s_wait_alu 0xfffe
	s_or_b32 exec_lo, exec_lo, s2
	v_sub_co_u32 v9, vcc_lo, v31, 1
	v_mov_b32_e32 v12, 0
	s_delay_alu instid0(VALU_DEP_2) | instskip(SKIP_1) | instid1(VALU_DEP_1)
	v_cmp_gt_i32_e64 s2, 0, v9
	s_wait_alu 0xf1ff
	v_cndmask_b32_e64 v9, v9, v31, s2
	s_wait_dscnt 0x0
	v_add_co_u32 v10, s2, v13, v17
	s_wait_alu 0xf1ff
	v_add_co_ci_u32_e64 v11, null, v14, v18, s2
	v_lshlrev_b32_e32 v9, 2, v9
	v_cmp_eq_u32_e64 s2, 0, v0
	ds_bpermute_b32 v15, v9, v10
	ds_bpermute_b32 v16, v9, v11
	ds_load_b64 v[9:10], v12 offset:56
	s_and_saveexec_b32 s3, s2
	s_cbranch_execz .LBB2402_107
; %bb.106:
	s_wait_kmcnt 0x0
	s_add_nc_u64 s[4:5], s[6:7], 0x200
	s_delay_alu instid0(SALU_CYCLE_1)
	v_dual_mov_b32 v11, 2 :: v_dual_mov_b32 v18, s5
	v_mov_b32_e32 v17, s4
	s_wait_dscnt 0x0
	;;#ASMSTART
	global_store_b128 v[17:18], v[9:12] off scope:SCOPE_DEV	
s_wait_storecnt 0x0
	;;#ASMEND
.LBB2402_107:
	s_wait_alu 0xfffe
	s_or_b32 exec_lo, exec_lo, s3
	s_wait_dscnt 0x1
	s_wait_alu 0xfffd
	v_dual_cndmask_b32 v11, v15, v13 :: v_dual_cndmask_b32 v12, v16, v14
	s_wait_loadcnt_dscnt 0x0
	s_barrier_signal -1
	s_barrier_wait -1
	s_delay_alu instid0(VALU_DEP_1)
	v_cndmask_b32_e64 v21, v11, 0, s2
	v_cndmask_b32_e64 v22, v12, 0, s2
	v_mov_b32_e32 v11, 0
	v_mov_b32_e32 v12, 0
	global_inv scope:SCOPE_SE
	v_add_co_u32 v19, vcc_lo, v21, v30
	s_wait_alu 0xfffd
	v_add_co_ci_u32_e64 v20, null, 0, v22, vcc_lo
	s_delay_alu instid0(VALU_DEP_2) | instskip(SKIP_1) | instid1(VALU_DEP_2)
	v_add_co_u32 v13, vcc_lo, v19, v29
	s_wait_alu 0xfffd
	v_add_co_ci_u32_e64 v14, null, 0, v20, vcc_lo
	s_delay_alu instid0(VALU_DEP_2) | instskip(SKIP_1) | instid1(VALU_DEP_2)
	v_add_co_u32 v15, vcc_lo, v13, v28
	s_wait_alu 0xfffd
	v_add_co_ci_u32_e64 v16, null, 0, v14, vcc_lo
.LBB2402_108:
	s_load_b64 s[2:3], s[0:1], 0x30
	v_and_b32_e32 v26, 1, v27
	s_wait_dscnt 0x0
	v_cmp_gt_u64_e32 vcc_lo, 0x101, v[9:10]
	v_lshrrev_b32_e32 v23, 16, v27
	v_lshrrev_b32_e32 v24, 8, v27
	s_mov_b32 s1, -1
	v_cmp_eq_u32_e64 s0, 1, v26
	s_cbranch_vccnz .LBB2402_112
; %bb.109:
	s_wait_alu 0xfffe
	s_and_b32 vcc_lo, exec_lo, s1
	s_wait_alu 0xfffe
	s_cbranch_vccnz .LBB2402_121
.LBB2402_110:
	v_cmp_eq_u32_e32 vcc_lo, 0, v0
	s_and_b32 s0, vcc_lo, s16
	s_wait_alu 0xfffe
	s_and_saveexec_b32 s1, s0
	s_cbranch_execnz .LBB2402_133
.LBB2402_111:
	s_endpgm
.LBB2402_112:
	v_add_co_u32 v17, vcc_lo, v11, v9
	s_wait_alu 0xfffd
	v_add_co_ci_u32_e64 v18, null, v12, v10, vcc_lo
	s_lshl_b64 s[4:5], s[10:11], 3
	s_wait_kmcnt 0x0
	s_wait_alu 0xfffe
	s_add_nc_u64 s[4:5], s[2:3], s[4:5]
	v_cmp_lt_u64_e32 vcc_lo, v[21:22], v[17:18]
	s_or_b32 s1, s17, vcc_lo
	s_wait_alu 0xfffe
	s_and_b32 s1, s1, s0
	s_wait_alu 0xfffe
	s_and_saveexec_b32 s0, s1
	s_cbranch_execz .LBB2402_114
; %bb.113:
	v_lshlrev_b64_e32 v[27:28], 3, v[21:22]
	s_delay_alu instid0(VALU_DEP_1) | instskip(SKIP_1) | instid1(VALU_DEP_2)
	v_add_co_u32 v27, vcc_lo, s4, v27
	s_wait_alu 0xfffd
	v_add_co_ci_u32_e64 v28, null, s5, v28, vcc_lo
	global_store_b64 v[27:28], v[5:6], off
.LBB2402_114:
	s_wait_alu 0xfffe
	s_or_b32 exec_lo, exec_lo, s0
	v_and_b32_e32 v22, 1, v24
	v_cmp_lt_u64_e32 vcc_lo, v[19:20], v[17:18]
	s_delay_alu instid0(VALU_DEP_2)
	v_cmp_eq_u32_e64 s0, 1, v22
	s_or_b32 s1, s17, vcc_lo
	s_wait_alu 0xfffe
	s_and_b32 s1, s1, s0
	s_wait_alu 0xfffe
	s_and_saveexec_b32 s0, s1
	s_cbranch_execz .LBB2402_116
; %bb.115:
	v_lshlrev_b64_e32 v[27:28], 3, v[19:20]
	s_delay_alu instid0(VALU_DEP_1) | instskip(SKIP_1) | instid1(VALU_DEP_2)
	v_add_co_u32 v27, vcc_lo, s4, v27
	s_wait_alu 0xfffd
	v_add_co_ci_u32_e64 v28, null, s5, v28, vcc_lo
	global_store_b64 v[27:28], v[7:8], off
.LBB2402_116:
	s_wait_alu 0xfffe
	s_or_b32 exec_lo, exec_lo, s0
	v_and_b32_e32 v20, 1, v23
	v_cmp_lt_u64_e32 vcc_lo, v[13:14], v[17:18]
	s_delay_alu instid0(VALU_DEP_2)
	v_cmp_eq_u32_e64 s0, 1, v20
	;; [unrolled: 20-line block ×3, first 2 shown]
	s_or_b32 s1, s17, vcc_lo
	s_wait_alu 0xfffe
	s_and_b32 s1, s1, s0
	s_wait_alu 0xfffe
	s_and_saveexec_b32 s0, s1
	s_cbranch_execz .LBB2402_120
; %bb.119:
	v_lshlrev_b64_e32 v[16:17], 3, v[15:16]
	s_delay_alu instid0(VALU_DEP_1) | instskip(SKIP_1) | instid1(VALU_DEP_2)
	v_add_co_u32 v16, vcc_lo, s4, v16
	s_wait_alu 0xfffd
	v_add_co_ci_u32_e64 v17, null, s5, v17, vcc_lo
	global_store_b64 v[16:17], v[3:4], off
.LBB2402_120:
	s_wait_alu 0xfffe
	s_or_b32 exec_lo, exec_lo, s0
	s_branch .LBB2402_110
.LBB2402_121:
	s_mov_b32 s0, exec_lo
	v_cmpx_eq_u32_e32 1, v26
; %bb.122:
	v_sub_nc_u32_e32 v14, v21, v11
	s_delay_alu instid0(VALU_DEP_1)
	v_lshlrev_b32_e32 v14, 3, v14
	ds_store_b64 v14, v[5:6]
; %bb.123:
	s_wait_alu 0xfffe
	s_or_b32 exec_lo, exec_lo, s0
	v_and_b32_e32 v5, 1, v24
	s_mov_b32 s0, exec_lo
	s_delay_alu instid0(VALU_DEP_1)
	v_cmpx_eq_u32_e32 1, v5
; %bb.124:
	v_sub_nc_u32_e32 v5, v19, v11
	s_delay_alu instid0(VALU_DEP_1)
	v_lshlrev_b32_e32 v5, 3, v5
	ds_store_b64 v5, v[7:8]
; %bb.125:
	s_wait_alu 0xfffe
	s_or_b32 exec_lo, exec_lo, s0
	v_and_b32_e32 v5, 1, v23
	s_mov_b32 s0, exec_lo
	s_delay_alu instid0(VALU_DEP_1)
	;; [unrolled: 12-line block ×3, first 2 shown]
	v_cmpx_eq_u32_e32 1, v1
; %bb.128:
	v_sub_nc_u32_e32 v1, v15, v11
	s_delay_alu instid0(VALU_DEP_1)
	v_lshlrev_b32_e32 v1, 3, v1
	ds_store_b64 v1, v[3:4]
; %bb.129:
	s_wait_alu 0xfffe
	s_or_b32 exec_lo, exec_lo, s0
	v_mov_b32_e32 v3, 0
	s_mov_b32 s1, exec_lo
	s_wait_storecnt 0x0
	s_wait_loadcnt_dscnt 0x0
	s_barrier_signal -1
	s_barrier_wait -1
	v_mov_b32_e32 v1, v3
	global_inv scope:SCOPE_SE
	v_cmpx_gt_u64_e64 v[9:10], v[0:1]
	s_cbranch_execz .LBB2402_132
; %bb.130:
	v_lshlrev_b64_e32 v[4:5], 3, v[11:12]
	s_lshl_b64 s[4:5], s[10:11], 3
	v_or_b32_e32 v2, 0x100, v0
	s_wait_kmcnt 0x0
	s_wait_alu 0xfffe
	s_add_nc_u64 s[2:3], s[2:3], s[4:5]
	s_wait_alu 0xfffe
	v_add_co_u32 v6, vcc_lo, s2, v4
	s_wait_alu 0xfffd
	v_add_co_ci_u32_e64 v7, null, s3, v5, vcc_lo
	v_dual_mov_b32 v5, v1 :: v_dual_mov_b32 v4, v0
	s_mov_b32 s2, 0
.LBB2402_131:                           ; =>This Inner Loop Header: Depth=1
	s_delay_alu instid0(VALU_DEP_1) | instskip(NEXT) | instid1(VALU_DEP_2)
	v_lshlrev_b32_e32 v1, 3, v4
	v_lshlrev_b64_e32 v[15:16], 3, v[4:5]
	v_dual_mov_b32 v5, v3 :: v_dual_mov_b32 v4, v2
	v_cmp_le_u64_e32 vcc_lo, v[9:10], v[2:3]
	ds_load_b64 v[13:14], v1
	v_add_nc_u32_e32 v2, 0x100, v2
	v_add_co_u32 v15, s0, v6, v15
	s_wait_alu 0xf1ff
	v_add_co_ci_u32_e64 v16, null, v7, v16, s0
	s_wait_alu 0xfffe
	s_or_b32 s2, vcc_lo, s2
	s_wait_dscnt 0x0
	global_store_b64 v[15:16], v[13:14], off
	s_wait_alu 0xfffe
	s_and_not1_b32 exec_lo, exec_lo, s2
	s_cbranch_execnz .LBB2402_131
.LBB2402_132:
	s_wait_alu 0xfffe
	s_or_b32 exec_lo, exec_lo, s1
	v_cmp_eq_u32_e32 vcc_lo, 0, v0
	s_and_b32 s0, vcc_lo, s16
	s_wait_alu 0xfffe
	s_and_saveexec_b32 s1, s0
	s_cbranch_execz .LBB2402_111
.LBB2402_133:
	v_add_co_u32 v0, vcc_lo, v11, v9
	s_wait_alu 0xfffd
	v_add_co_ci_u32_e64 v1, null, v12, v10, vcc_lo
	v_mov_b32_e32 v2, 0
	s_delay_alu instid0(VALU_DEP_3) | instskip(SKIP_1) | instid1(VALU_DEP_3)
	v_add_co_u32 v0, vcc_lo, v0, s10
	s_wait_alu 0xfffd
	v_add_co_ci_u32_e64 v1, null, s11, v1, vcc_lo
	global_store_b64 v2, v[0:1], s[8:9]
	s_endpgm
.LBB2402_134:
	v_lshlrev_b32_e32 v3, 3, v0
	s_delay_alu instid0(VALU_DEP_1)
	v_add_co_u32 v3, s3, s14, v3
	s_wait_alu 0xf1ff
	v_add_co_ci_u32_e64 v4, null, s15, 0, s3
	flat_load_b64 v[3:4], v[3:4] offset:2048
	s_wait_alu 0xfffe
	s_or_b32 exec_lo, exec_lo, s2
	s_delay_alu instid0(SALU_CYCLE_1)
	s_mov_b32 s2, exec_lo
	v_cmpx_gt_u32_e64 s18, v9
	s_cbranch_execz .LBB2402_7
.LBB2402_135:
	v_lshlrev_b32_e32 v5, 3, v0
	s_delay_alu instid0(VALU_DEP_1)
	v_add_co_u32 v5, s3, s14, v5
	s_wait_alu 0xf1ff
	v_add_co_ci_u32_e64 v6, null, s15, 0, s3
	flat_load_b64 v[5:6], v[5:6] offset:4096
	s_wait_alu 0xfffe
	s_or_b32 exec_lo, exec_lo, s2
	s_delay_alu instid0(SALU_CYCLE_1)
	s_mov_b32 s2, exec_lo
	v_cmpx_gt_u32_e64 s18, v10
	s_cbranch_execnz .LBB2402_8
	s_branch .LBB2402_9
.LBB2402_136:
	global_load_u8 v16, v0, s[2:3] offset:256
	s_wait_loadcnt 0x0
	v_xor_b32_e32 v16, 1, v16
	s_delay_alu instid0(VALU_DEP_1) | instskip(NEXT) | instid1(VALU_DEP_1)
	v_lshlrev_b16 v16, 8, v16
	v_or_b32_e32 v14, v14, v16
	s_delay_alu instid0(VALU_DEP_1) | instskip(SKIP_1) | instid1(SALU_CYCLE_1)
	v_and_b32_e32 v14, 0xffff, v14
	s_or_b32 exec_lo, exec_lo, s4
	s_mov_b32 s4, exec_lo
	v_cmpx_gt_u32_e64 s18, v9
	s_cbranch_execz .LBB2402_17
.LBB2402_137:
	global_load_u8 v16, v0, s[2:3] offset:512
	s_wait_loadcnt 0x0
	v_xor_b32_e32 v16, 1, v16
	s_delay_alu instid0(VALU_DEP_1) | instskip(NEXT) | instid1(VALU_DEP_1)
	v_lshlrev_b32_e32 v16, 16, v16
	v_or_b32_e32 v14, v14, v16
	s_or_b32 exec_lo, exec_lo, s4
	s_delay_alu instid0(SALU_CYCLE_1)
	s_mov_b32 s4, exec_lo
	v_cmpx_gt_u32_e64 s18, v10
	s_cbranch_execnz .LBB2402_18
	s_branch .LBB2402_19
	.section	.rodata,"a",@progbits
	.p2align	6, 0x0
	.amdhsa_kernel _ZN7rocprim17ROCPRIM_400000_NS6detail17trampoline_kernelINS0_14default_configENS1_25partition_config_selectorILNS1_17partition_subalgoE5EyNS0_10empty_typeEbEEZZNS1_14partition_implILS5_5ELb0ES3_mN6thrust23THRUST_200600_302600_NS6detail15normal_iteratorINSA_10device_ptrIyEEEEPS6_NSA_18transform_iteratorINSB_9not_fun_tI7is_trueIyEEENSC_INSD_IbEEEENSA_11use_defaultESO_EENS0_5tupleIJSF_S6_EEENSQ_IJSG_SG_EEES6_PlJS6_EEE10hipError_tPvRmT3_T4_T5_T6_T7_T9_mT8_P12ihipStream_tbDpT10_ENKUlT_T0_E_clISt17integral_constantIbLb0EES1D_EEDaS18_S19_EUlS18_E_NS1_11comp_targetILNS1_3genE10ELNS1_11target_archE1200ELNS1_3gpuE4ELNS1_3repE0EEENS1_30default_config_static_selectorELNS0_4arch9wavefront6targetE0EEEvT1_
		.amdhsa_group_segment_fixed_size 8464
		.amdhsa_private_segment_fixed_size 0
		.amdhsa_kernarg_size 120
		.amdhsa_user_sgpr_count 2
		.amdhsa_user_sgpr_dispatch_ptr 0
		.amdhsa_user_sgpr_queue_ptr 0
		.amdhsa_user_sgpr_kernarg_segment_ptr 1
		.amdhsa_user_sgpr_dispatch_id 0
		.amdhsa_user_sgpr_private_segment_size 0
		.amdhsa_wavefront_size32 1
		.amdhsa_uses_dynamic_stack 0
		.amdhsa_enable_private_segment 0
		.amdhsa_system_sgpr_workgroup_id_x 1
		.amdhsa_system_sgpr_workgroup_id_y 0
		.amdhsa_system_sgpr_workgroup_id_z 0
		.amdhsa_system_sgpr_workgroup_info 0
		.amdhsa_system_vgpr_workitem_id 0
		.amdhsa_next_free_vgpr 46
		.amdhsa_next_free_sgpr 23
		.amdhsa_reserve_vcc 1
		.amdhsa_float_round_mode_32 0
		.amdhsa_float_round_mode_16_64 0
		.amdhsa_float_denorm_mode_32 3
		.amdhsa_float_denorm_mode_16_64 3
		.amdhsa_fp16_overflow 0
		.amdhsa_workgroup_processor_mode 1
		.amdhsa_memory_ordered 1
		.amdhsa_forward_progress 1
		.amdhsa_inst_pref_size 54
		.amdhsa_round_robin_scheduling 0
		.amdhsa_exception_fp_ieee_invalid_op 0
		.amdhsa_exception_fp_denorm_src 0
		.amdhsa_exception_fp_ieee_div_zero 0
		.amdhsa_exception_fp_ieee_overflow 0
		.amdhsa_exception_fp_ieee_underflow 0
		.amdhsa_exception_fp_ieee_inexact 0
		.amdhsa_exception_int_div_zero 0
	.end_amdhsa_kernel
	.section	.text._ZN7rocprim17ROCPRIM_400000_NS6detail17trampoline_kernelINS0_14default_configENS1_25partition_config_selectorILNS1_17partition_subalgoE5EyNS0_10empty_typeEbEEZZNS1_14partition_implILS5_5ELb0ES3_mN6thrust23THRUST_200600_302600_NS6detail15normal_iteratorINSA_10device_ptrIyEEEEPS6_NSA_18transform_iteratorINSB_9not_fun_tI7is_trueIyEEENSC_INSD_IbEEEENSA_11use_defaultESO_EENS0_5tupleIJSF_S6_EEENSQ_IJSG_SG_EEES6_PlJS6_EEE10hipError_tPvRmT3_T4_T5_T6_T7_T9_mT8_P12ihipStream_tbDpT10_ENKUlT_T0_E_clISt17integral_constantIbLb0EES1D_EEDaS18_S19_EUlS18_E_NS1_11comp_targetILNS1_3genE10ELNS1_11target_archE1200ELNS1_3gpuE4ELNS1_3repE0EEENS1_30default_config_static_selectorELNS0_4arch9wavefront6targetE0EEEvT1_,"axG",@progbits,_ZN7rocprim17ROCPRIM_400000_NS6detail17trampoline_kernelINS0_14default_configENS1_25partition_config_selectorILNS1_17partition_subalgoE5EyNS0_10empty_typeEbEEZZNS1_14partition_implILS5_5ELb0ES3_mN6thrust23THRUST_200600_302600_NS6detail15normal_iteratorINSA_10device_ptrIyEEEEPS6_NSA_18transform_iteratorINSB_9not_fun_tI7is_trueIyEEENSC_INSD_IbEEEENSA_11use_defaultESO_EENS0_5tupleIJSF_S6_EEENSQ_IJSG_SG_EEES6_PlJS6_EEE10hipError_tPvRmT3_T4_T5_T6_T7_T9_mT8_P12ihipStream_tbDpT10_ENKUlT_T0_E_clISt17integral_constantIbLb0EES1D_EEDaS18_S19_EUlS18_E_NS1_11comp_targetILNS1_3genE10ELNS1_11target_archE1200ELNS1_3gpuE4ELNS1_3repE0EEENS1_30default_config_static_selectorELNS0_4arch9wavefront6targetE0EEEvT1_,comdat
.Lfunc_end2402:
	.size	_ZN7rocprim17ROCPRIM_400000_NS6detail17trampoline_kernelINS0_14default_configENS1_25partition_config_selectorILNS1_17partition_subalgoE5EyNS0_10empty_typeEbEEZZNS1_14partition_implILS5_5ELb0ES3_mN6thrust23THRUST_200600_302600_NS6detail15normal_iteratorINSA_10device_ptrIyEEEEPS6_NSA_18transform_iteratorINSB_9not_fun_tI7is_trueIyEEENSC_INSD_IbEEEENSA_11use_defaultESO_EENS0_5tupleIJSF_S6_EEENSQ_IJSG_SG_EEES6_PlJS6_EEE10hipError_tPvRmT3_T4_T5_T6_T7_T9_mT8_P12ihipStream_tbDpT10_ENKUlT_T0_E_clISt17integral_constantIbLb0EES1D_EEDaS18_S19_EUlS18_E_NS1_11comp_targetILNS1_3genE10ELNS1_11target_archE1200ELNS1_3gpuE4ELNS1_3repE0EEENS1_30default_config_static_selectorELNS0_4arch9wavefront6targetE0EEEvT1_, .Lfunc_end2402-_ZN7rocprim17ROCPRIM_400000_NS6detail17trampoline_kernelINS0_14default_configENS1_25partition_config_selectorILNS1_17partition_subalgoE5EyNS0_10empty_typeEbEEZZNS1_14partition_implILS5_5ELb0ES3_mN6thrust23THRUST_200600_302600_NS6detail15normal_iteratorINSA_10device_ptrIyEEEEPS6_NSA_18transform_iteratorINSB_9not_fun_tI7is_trueIyEEENSC_INSD_IbEEEENSA_11use_defaultESO_EENS0_5tupleIJSF_S6_EEENSQ_IJSG_SG_EEES6_PlJS6_EEE10hipError_tPvRmT3_T4_T5_T6_T7_T9_mT8_P12ihipStream_tbDpT10_ENKUlT_T0_E_clISt17integral_constantIbLb0EES1D_EEDaS18_S19_EUlS18_E_NS1_11comp_targetILNS1_3genE10ELNS1_11target_archE1200ELNS1_3gpuE4ELNS1_3repE0EEENS1_30default_config_static_selectorELNS0_4arch9wavefront6targetE0EEEvT1_
                                        ; -- End function
	.set _ZN7rocprim17ROCPRIM_400000_NS6detail17trampoline_kernelINS0_14default_configENS1_25partition_config_selectorILNS1_17partition_subalgoE5EyNS0_10empty_typeEbEEZZNS1_14partition_implILS5_5ELb0ES3_mN6thrust23THRUST_200600_302600_NS6detail15normal_iteratorINSA_10device_ptrIyEEEEPS6_NSA_18transform_iteratorINSB_9not_fun_tI7is_trueIyEEENSC_INSD_IbEEEENSA_11use_defaultESO_EENS0_5tupleIJSF_S6_EEENSQ_IJSG_SG_EEES6_PlJS6_EEE10hipError_tPvRmT3_T4_T5_T6_T7_T9_mT8_P12ihipStream_tbDpT10_ENKUlT_T0_E_clISt17integral_constantIbLb0EES1D_EEDaS18_S19_EUlS18_E_NS1_11comp_targetILNS1_3genE10ELNS1_11target_archE1200ELNS1_3gpuE4ELNS1_3repE0EEENS1_30default_config_static_selectorELNS0_4arch9wavefront6targetE0EEEvT1_.num_vgpr, 46
	.set _ZN7rocprim17ROCPRIM_400000_NS6detail17trampoline_kernelINS0_14default_configENS1_25partition_config_selectorILNS1_17partition_subalgoE5EyNS0_10empty_typeEbEEZZNS1_14partition_implILS5_5ELb0ES3_mN6thrust23THRUST_200600_302600_NS6detail15normal_iteratorINSA_10device_ptrIyEEEEPS6_NSA_18transform_iteratorINSB_9not_fun_tI7is_trueIyEEENSC_INSD_IbEEEENSA_11use_defaultESO_EENS0_5tupleIJSF_S6_EEENSQ_IJSG_SG_EEES6_PlJS6_EEE10hipError_tPvRmT3_T4_T5_T6_T7_T9_mT8_P12ihipStream_tbDpT10_ENKUlT_T0_E_clISt17integral_constantIbLb0EES1D_EEDaS18_S19_EUlS18_E_NS1_11comp_targetILNS1_3genE10ELNS1_11target_archE1200ELNS1_3gpuE4ELNS1_3repE0EEENS1_30default_config_static_selectorELNS0_4arch9wavefront6targetE0EEEvT1_.num_agpr, 0
	.set _ZN7rocprim17ROCPRIM_400000_NS6detail17trampoline_kernelINS0_14default_configENS1_25partition_config_selectorILNS1_17partition_subalgoE5EyNS0_10empty_typeEbEEZZNS1_14partition_implILS5_5ELb0ES3_mN6thrust23THRUST_200600_302600_NS6detail15normal_iteratorINSA_10device_ptrIyEEEEPS6_NSA_18transform_iteratorINSB_9not_fun_tI7is_trueIyEEENSC_INSD_IbEEEENSA_11use_defaultESO_EENS0_5tupleIJSF_S6_EEENSQ_IJSG_SG_EEES6_PlJS6_EEE10hipError_tPvRmT3_T4_T5_T6_T7_T9_mT8_P12ihipStream_tbDpT10_ENKUlT_T0_E_clISt17integral_constantIbLb0EES1D_EEDaS18_S19_EUlS18_E_NS1_11comp_targetILNS1_3genE10ELNS1_11target_archE1200ELNS1_3gpuE4ELNS1_3repE0EEENS1_30default_config_static_selectorELNS0_4arch9wavefront6targetE0EEEvT1_.numbered_sgpr, 23
	.set _ZN7rocprim17ROCPRIM_400000_NS6detail17trampoline_kernelINS0_14default_configENS1_25partition_config_selectorILNS1_17partition_subalgoE5EyNS0_10empty_typeEbEEZZNS1_14partition_implILS5_5ELb0ES3_mN6thrust23THRUST_200600_302600_NS6detail15normal_iteratorINSA_10device_ptrIyEEEEPS6_NSA_18transform_iteratorINSB_9not_fun_tI7is_trueIyEEENSC_INSD_IbEEEENSA_11use_defaultESO_EENS0_5tupleIJSF_S6_EEENSQ_IJSG_SG_EEES6_PlJS6_EEE10hipError_tPvRmT3_T4_T5_T6_T7_T9_mT8_P12ihipStream_tbDpT10_ENKUlT_T0_E_clISt17integral_constantIbLb0EES1D_EEDaS18_S19_EUlS18_E_NS1_11comp_targetILNS1_3genE10ELNS1_11target_archE1200ELNS1_3gpuE4ELNS1_3repE0EEENS1_30default_config_static_selectorELNS0_4arch9wavefront6targetE0EEEvT1_.num_named_barrier, 0
	.set _ZN7rocprim17ROCPRIM_400000_NS6detail17trampoline_kernelINS0_14default_configENS1_25partition_config_selectorILNS1_17partition_subalgoE5EyNS0_10empty_typeEbEEZZNS1_14partition_implILS5_5ELb0ES3_mN6thrust23THRUST_200600_302600_NS6detail15normal_iteratorINSA_10device_ptrIyEEEEPS6_NSA_18transform_iteratorINSB_9not_fun_tI7is_trueIyEEENSC_INSD_IbEEEENSA_11use_defaultESO_EENS0_5tupleIJSF_S6_EEENSQ_IJSG_SG_EEES6_PlJS6_EEE10hipError_tPvRmT3_T4_T5_T6_T7_T9_mT8_P12ihipStream_tbDpT10_ENKUlT_T0_E_clISt17integral_constantIbLb0EES1D_EEDaS18_S19_EUlS18_E_NS1_11comp_targetILNS1_3genE10ELNS1_11target_archE1200ELNS1_3gpuE4ELNS1_3repE0EEENS1_30default_config_static_selectorELNS0_4arch9wavefront6targetE0EEEvT1_.private_seg_size, 0
	.set _ZN7rocprim17ROCPRIM_400000_NS6detail17trampoline_kernelINS0_14default_configENS1_25partition_config_selectorILNS1_17partition_subalgoE5EyNS0_10empty_typeEbEEZZNS1_14partition_implILS5_5ELb0ES3_mN6thrust23THRUST_200600_302600_NS6detail15normal_iteratorINSA_10device_ptrIyEEEEPS6_NSA_18transform_iteratorINSB_9not_fun_tI7is_trueIyEEENSC_INSD_IbEEEENSA_11use_defaultESO_EENS0_5tupleIJSF_S6_EEENSQ_IJSG_SG_EEES6_PlJS6_EEE10hipError_tPvRmT3_T4_T5_T6_T7_T9_mT8_P12ihipStream_tbDpT10_ENKUlT_T0_E_clISt17integral_constantIbLb0EES1D_EEDaS18_S19_EUlS18_E_NS1_11comp_targetILNS1_3genE10ELNS1_11target_archE1200ELNS1_3gpuE4ELNS1_3repE0EEENS1_30default_config_static_selectorELNS0_4arch9wavefront6targetE0EEEvT1_.uses_vcc, 1
	.set _ZN7rocprim17ROCPRIM_400000_NS6detail17trampoline_kernelINS0_14default_configENS1_25partition_config_selectorILNS1_17partition_subalgoE5EyNS0_10empty_typeEbEEZZNS1_14partition_implILS5_5ELb0ES3_mN6thrust23THRUST_200600_302600_NS6detail15normal_iteratorINSA_10device_ptrIyEEEEPS6_NSA_18transform_iteratorINSB_9not_fun_tI7is_trueIyEEENSC_INSD_IbEEEENSA_11use_defaultESO_EENS0_5tupleIJSF_S6_EEENSQ_IJSG_SG_EEES6_PlJS6_EEE10hipError_tPvRmT3_T4_T5_T6_T7_T9_mT8_P12ihipStream_tbDpT10_ENKUlT_T0_E_clISt17integral_constantIbLb0EES1D_EEDaS18_S19_EUlS18_E_NS1_11comp_targetILNS1_3genE10ELNS1_11target_archE1200ELNS1_3gpuE4ELNS1_3repE0EEENS1_30default_config_static_selectorELNS0_4arch9wavefront6targetE0EEEvT1_.uses_flat_scratch, 1
	.set _ZN7rocprim17ROCPRIM_400000_NS6detail17trampoline_kernelINS0_14default_configENS1_25partition_config_selectorILNS1_17partition_subalgoE5EyNS0_10empty_typeEbEEZZNS1_14partition_implILS5_5ELb0ES3_mN6thrust23THRUST_200600_302600_NS6detail15normal_iteratorINSA_10device_ptrIyEEEEPS6_NSA_18transform_iteratorINSB_9not_fun_tI7is_trueIyEEENSC_INSD_IbEEEENSA_11use_defaultESO_EENS0_5tupleIJSF_S6_EEENSQ_IJSG_SG_EEES6_PlJS6_EEE10hipError_tPvRmT3_T4_T5_T6_T7_T9_mT8_P12ihipStream_tbDpT10_ENKUlT_T0_E_clISt17integral_constantIbLb0EES1D_EEDaS18_S19_EUlS18_E_NS1_11comp_targetILNS1_3genE10ELNS1_11target_archE1200ELNS1_3gpuE4ELNS1_3repE0EEENS1_30default_config_static_selectorELNS0_4arch9wavefront6targetE0EEEvT1_.has_dyn_sized_stack, 0
	.set _ZN7rocprim17ROCPRIM_400000_NS6detail17trampoline_kernelINS0_14default_configENS1_25partition_config_selectorILNS1_17partition_subalgoE5EyNS0_10empty_typeEbEEZZNS1_14partition_implILS5_5ELb0ES3_mN6thrust23THRUST_200600_302600_NS6detail15normal_iteratorINSA_10device_ptrIyEEEEPS6_NSA_18transform_iteratorINSB_9not_fun_tI7is_trueIyEEENSC_INSD_IbEEEENSA_11use_defaultESO_EENS0_5tupleIJSF_S6_EEENSQ_IJSG_SG_EEES6_PlJS6_EEE10hipError_tPvRmT3_T4_T5_T6_T7_T9_mT8_P12ihipStream_tbDpT10_ENKUlT_T0_E_clISt17integral_constantIbLb0EES1D_EEDaS18_S19_EUlS18_E_NS1_11comp_targetILNS1_3genE10ELNS1_11target_archE1200ELNS1_3gpuE4ELNS1_3repE0EEENS1_30default_config_static_selectorELNS0_4arch9wavefront6targetE0EEEvT1_.has_recursion, 0
	.set _ZN7rocprim17ROCPRIM_400000_NS6detail17trampoline_kernelINS0_14default_configENS1_25partition_config_selectorILNS1_17partition_subalgoE5EyNS0_10empty_typeEbEEZZNS1_14partition_implILS5_5ELb0ES3_mN6thrust23THRUST_200600_302600_NS6detail15normal_iteratorINSA_10device_ptrIyEEEEPS6_NSA_18transform_iteratorINSB_9not_fun_tI7is_trueIyEEENSC_INSD_IbEEEENSA_11use_defaultESO_EENS0_5tupleIJSF_S6_EEENSQ_IJSG_SG_EEES6_PlJS6_EEE10hipError_tPvRmT3_T4_T5_T6_T7_T9_mT8_P12ihipStream_tbDpT10_ENKUlT_T0_E_clISt17integral_constantIbLb0EES1D_EEDaS18_S19_EUlS18_E_NS1_11comp_targetILNS1_3genE10ELNS1_11target_archE1200ELNS1_3gpuE4ELNS1_3repE0EEENS1_30default_config_static_selectorELNS0_4arch9wavefront6targetE0EEEvT1_.has_indirect_call, 0
	.section	.AMDGPU.csdata,"",@progbits
; Kernel info:
; codeLenInByte = 6852
; TotalNumSgprs: 25
; NumVgprs: 46
; ScratchSize: 0
; MemoryBound: 0
; FloatMode: 240
; IeeeMode: 1
; LDSByteSize: 8464 bytes/workgroup (compile time only)
; SGPRBlocks: 0
; VGPRBlocks: 5
; NumSGPRsForWavesPerEU: 25
; NumVGPRsForWavesPerEU: 46
; Occupancy: 16
; WaveLimiterHint : 1
; COMPUTE_PGM_RSRC2:SCRATCH_EN: 0
; COMPUTE_PGM_RSRC2:USER_SGPR: 2
; COMPUTE_PGM_RSRC2:TRAP_HANDLER: 0
; COMPUTE_PGM_RSRC2:TGID_X_EN: 1
; COMPUTE_PGM_RSRC2:TGID_Y_EN: 0
; COMPUTE_PGM_RSRC2:TGID_Z_EN: 0
; COMPUTE_PGM_RSRC2:TIDIG_COMP_CNT: 0
	.section	.text._ZN7rocprim17ROCPRIM_400000_NS6detail17trampoline_kernelINS0_14default_configENS1_25partition_config_selectorILNS1_17partition_subalgoE5EyNS0_10empty_typeEbEEZZNS1_14partition_implILS5_5ELb0ES3_mN6thrust23THRUST_200600_302600_NS6detail15normal_iteratorINSA_10device_ptrIyEEEEPS6_NSA_18transform_iteratorINSB_9not_fun_tI7is_trueIyEEENSC_INSD_IbEEEENSA_11use_defaultESO_EENS0_5tupleIJSF_S6_EEENSQ_IJSG_SG_EEES6_PlJS6_EEE10hipError_tPvRmT3_T4_T5_T6_T7_T9_mT8_P12ihipStream_tbDpT10_ENKUlT_T0_E_clISt17integral_constantIbLb0EES1D_EEDaS18_S19_EUlS18_E_NS1_11comp_targetILNS1_3genE9ELNS1_11target_archE1100ELNS1_3gpuE3ELNS1_3repE0EEENS1_30default_config_static_selectorELNS0_4arch9wavefront6targetE0EEEvT1_,"axG",@progbits,_ZN7rocprim17ROCPRIM_400000_NS6detail17trampoline_kernelINS0_14default_configENS1_25partition_config_selectorILNS1_17partition_subalgoE5EyNS0_10empty_typeEbEEZZNS1_14partition_implILS5_5ELb0ES3_mN6thrust23THRUST_200600_302600_NS6detail15normal_iteratorINSA_10device_ptrIyEEEEPS6_NSA_18transform_iteratorINSB_9not_fun_tI7is_trueIyEEENSC_INSD_IbEEEENSA_11use_defaultESO_EENS0_5tupleIJSF_S6_EEENSQ_IJSG_SG_EEES6_PlJS6_EEE10hipError_tPvRmT3_T4_T5_T6_T7_T9_mT8_P12ihipStream_tbDpT10_ENKUlT_T0_E_clISt17integral_constantIbLb0EES1D_EEDaS18_S19_EUlS18_E_NS1_11comp_targetILNS1_3genE9ELNS1_11target_archE1100ELNS1_3gpuE3ELNS1_3repE0EEENS1_30default_config_static_selectorELNS0_4arch9wavefront6targetE0EEEvT1_,comdat
	.protected	_ZN7rocprim17ROCPRIM_400000_NS6detail17trampoline_kernelINS0_14default_configENS1_25partition_config_selectorILNS1_17partition_subalgoE5EyNS0_10empty_typeEbEEZZNS1_14partition_implILS5_5ELb0ES3_mN6thrust23THRUST_200600_302600_NS6detail15normal_iteratorINSA_10device_ptrIyEEEEPS6_NSA_18transform_iteratorINSB_9not_fun_tI7is_trueIyEEENSC_INSD_IbEEEENSA_11use_defaultESO_EENS0_5tupleIJSF_S6_EEENSQ_IJSG_SG_EEES6_PlJS6_EEE10hipError_tPvRmT3_T4_T5_T6_T7_T9_mT8_P12ihipStream_tbDpT10_ENKUlT_T0_E_clISt17integral_constantIbLb0EES1D_EEDaS18_S19_EUlS18_E_NS1_11comp_targetILNS1_3genE9ELNS1_11target_archE1100ELNS1_3gpuE3ELNS1_3repE0EEENS1_30default_config_static_selectorELNS0_4arch9wavefront6targetE0EEEvT1_ ; -- Begin function _ZN7rocprim17ROCPRIM_400000_NS6detail17trampoline_kernelINS0_14default_configENS1_25partition_config_selectorILNS1_17partition_subalgoE5EyNS0_10empty_typeEbEEZZNS1_14partition_implILS5_5ELb0ES3_mN6thrust23THRUST_200600_302600_NS6detail15normal_iteratorINSA_10device_ptrIyEEEEPS6_NSA_18transform_iteratorINSB_9not_fun_tI7is_trueIyEEENSC_INSD_IbEEEENSA_11use_defaultESO_EENS0_5tupleIJSF_S6_EEENSQ_IJSG_SG_EEES6_PlJS6_EEE10hipError_tPvRmT3_T4_T5_T6_T7_T9_mT8_P12ihipStream_tbDpT10_ENKUlT_T0_E_clISt17integral_constantIbLb0EES1D_EEDaS18_S19_EUlS18_E_NS1_11comp_targetILNS1_3genE9ELNS1_11target_archE1100ELNS1_3gpuE3ELNS1_3repE0EEENS1_30default_config_static_selectorELNS0_4arch9wavefront6targetE0EEEvT1_
	.globl	_ZN7rocprim17ROCPRIM_400000_NS6detail17trampoline_kernelINS0_14default_configENS1_25partition_config_selectorILNS1_17partition_subalgoE5EyNS0_10empty_typeEbEEZZNS1_14partition_implILS5_5ELb0ES3_mN6thrust23THRUST_200600_302600_NS6detail15normal_iteratorINSA_10device_ptrIyEEEEPS6_NSA_18transform_iteratorINSB_9not_fun_tI7is_trueIyEEENSC_INSD_IbEEEENSA_11use_defaultESO_EENS0_5tupleIJSF_S6_EEENSQ_IJSG_SG_EEES6_PlJS6_EEE10hipError_tPvRmT3_T4_T5_T6_T7_T9_mT8_P12ihipStream_tbDpT10_ENKUlT_T0_E_clISt17integral_constantIbLb0EES1D_EEDaS18_S19_EUlS18_E_NS1_11comp_targetILNS1_3genE9ELNS1_11target_archE1100ELNS1_3gpuE3ELNS1_3repE0EEENS1_30default_config_static_selectorELNS0_4arch9wavefront6targetE0EEEvT1_
	.p2align	8
	.type	_ZN7rocprim17ROCPRIM_400000_NS6detail17trampoline_kernelINS0_14default_configENS1_25partition_config_selectorILNS1_17partition_subalgoE5EyNS0_10empty_typeEbEEZZNS1_14partition_implILS5_5ELb0ES3_mN6thrust23THRUST_200600_302600_NS6detail15normal_iteratorINSA_10device_ptrIyEEEEPS6_NSA_18transform_iteratorINSB_9not_fun_tI7is_trueIyEEENSC_INSD_IbEEEENSA_11use_defaultESO_EENS0_5tupleIJSF_S6_EEENSQ_IJSG_SG_EEES6_PlJS6_EEE10hipError_tPvRmT3_T4_T5_T6_T7_T9_mT8_P12ihipStream_tbDpT10_ENKUlT_T0_E_clISt17integral_constantIbLb0EES1D_EEDaS18_S19_EUlS18_E_NS1_11comp_targetILNS1_3genE9ELNS1_11target_archE1100ELNS1_3gpuE3ELNS1_3repE0EEENS1_30default_config_static_selectorELNS0_4arch9wavefront6targetE0EEEvT1_,@function
_ZN7rocprim17ROCPRIM_400000_NS6detail17trampoline_kernelINS0_14default_configENS1_25partition_config_selectorILNS1_17partition_subalgoE5EyNS0_10empty_typeEbEEZZNS1_14partition_implILS5_5ELb0ES3_mN6thrust23THRUST_200600_302600_NS6detail15normal_iteratorINSA_10device_ptrIyEEEEPS6_NSA_18transform_iteratorINSB_9not_fun_tI7is_trueIyEEENSC_INSD_IbEEEENSA_11use_defaultESO_EENS0_5tupleIJSF_S6_EEENSQ_IJSG_SG_EEES6_PlJS6_EEE10hipError_tPvRmT3_T4_T5_T6_T7_T9_mT8_P12ihipStream_tbDpT10_ENKUlT_T0_E_clISt17integral_constantIbLb0EES1D_EEDaS18_S19_EUlS18_E_NS1_11comp_targetILNS1_3genE9ELNS1_11target_archE1100ELNS1_3gpuE3ELNS1_3repE0EEENS1_30default_config_static_selectorELNS0_4arch9wavefront6targetE0EEEvT1_: ; @_ZN7rocprim17ROCPRIM_400000_NS6detail17trampoline_kernelINS0_14default_configENS1_25partition_config_selectorILNS1_17partition_subalgoE5EyNS0_10empty_typeEbEEZZNS1_14partition_implILS5_5ELb0ES3_mN6thrust23THRUST_200600_302600_NS6detail15normal_iteratorINSA_10device_ptrIyEEEEPS6_NSA_18transform_iteratorINSB_9not_fun_tI7is_trueIyEEENSC_INSD_IbEEEENSA_11use_defaultESO_EENS0_5tupleIJSF_S6_EEENSQ_IJSG_SG_EEES6_PlJS6_EEE10hipError_tPvRmT3_T4_T5_T6_T7_T9_mT8_P12ihipStream_tbDpT10_ENKUlT_T0_E_clISt17integral_constantIbLb0EES1D_EEDaS18_S19_EUlS18_E_NS1_11comp_targetILNS1_3genE9ELNS1_11target_archE1100ELNS1_3gpuE3ELNS1_3repE0EEENS1_30default_config_static_selectorELNS0_4arch9wavefront6targetE0EEEvT1_
; %bb.0:
	.section	.rodata,"a",@progbits
	.p2align	6, 0x0
	.amdhsa_kernel _ZN7rocprim17ROCPRIM_400000_NS6detail17trampoline_kernelINS0_14default_configENS1_25partition_config_selectorILNS1_17partition_subalgoE5EyNS0_10empty_typeEbEEZZNS1_14partition_implILS5_5ELb0ES3_mN6thrust23THRUST_200600_302600_NS6detail15normal_iteratorINSA_10device_ptrIyEEEEPS6_NSA_18transform_iteratorINSB_9not_fun_tI7is_trueIyEEENSC_INSD_IbEEEENSA_11use_defaultESO_EENS0_5tupleIJSF_S6_EEENSQ_IJSG_SG_EEES6_PlJS6_EEE10hipError_tPvRmT3_T4_T5_T6_T7_T9_mT8_P12ihipStream_tbDpT10_ENKUlT_T0_E_clISt17integral_constantIbLb0EES1D_EEDaS18_S19_EUlS18_E_NS1_11comp_targetILNS1_3genE9ELNS1_11target_archE1100ELNS1_3gpuE3ELNS1_3repE0EEENS1_30default_config_static_selectorELNS0_4arch9wavefront6targetE0EEEvT1_
		.amdhsa_group_segment_fixed_size 0
		.amdhsa_private_segment_fixed_size 0
		.amdhsa_kernarg_size 120
		.amdhsa_user_sgpr_count 2
		.amdhsa_user_sgpr_dispatch_ptr 0
		.amdhsa_user_sgpr_queue_ptr 0
		.amdhsa_user_sgpr_kernarg_segment_ptr 1
		.amdhsa_user_sgpr_dispatch_id 0
		.amdhsa_user_sgpr_private_segment_size 0
		.amdhsa_wavefront_size32 1
		.amdhsa_uses_dynamic_stack 0
		.amdhsa_enable_private_segment 0
		.amdhsa_system_sgpr_workgroup_id_x 1
		.amdhsa_system_sgpr_workgroup_id_y 0
		.amdhsa_system_sgpr_workgroup_id_z 0
		.amdhsa_system_sgpr_workgroup_info 0
		.amdhsa_system_vgpr_workitem_id 0
		.amdhsa_next_free_vgpr 1
		.amdhsa_next_free_sgpr 1
		.amdhsa_reserve_vcc 0
		.amdhsa_float_round_mode_32 0
		.amdhsa_float_round_mode_16_64 0
		.amdhsa_float_denorm_mode_32 3
		.amdhsa_float_denorm_mode_16_64 3
		.amdhsa_fp16_overflow 0
		.amdhsa_workgroup_processor_mode 1
		.amdhsa_memory_ordered 1
		.amdhsa_forward_progress 1
		.amdhsa_inst_pref_size 0
		.amdhsa_round_robin_scheduling 0
		.amdhsa_exception_fp_ieee_invalid_op 0
		.amdhsa_exception_fp_denorm_src 0
		.amdhsa_exception_fp_ieee_div_zero 0
		.amdhsa_exception_fp_ieee_overflow 0
		.amdhsa_exception_fp_ieee_underflow 0
		.amdhsa_exception_fp_ieee_inexact 0
		.amdhsa_exception_int_div_zero 0
	.end_amdhsa_kernel
	.section	.text._ZN7rocprim17ROCPRIM_400000_NS6detail17trampoline_kernelINS0_14default_configENS1_25partition_config_selectorILNS1_17partition_subalgoE5EyNS0_10empty_typeEbEEZZNS1_14partition_implILS5_5ELb0ES3_mN6thrust23THRUST_200600_302600_NS6detail15normal_iteratorINSA_10device_ptrIyEEEEPS6_NSA_18transform_iteratorINSB_9not_fun_tI7is_trueIyEEENSC_INSD_IbEEEENSA_11use_defaultESO_EENS0_5tupleIJSF_S6_EEENSQ_IJSG_SG_EEES6_PlJS6_EEE10hipError_tPvRmT3_T4_T5_T6_T7_T9_mT8_P12ihipStream_tbDpT10_ENKUlT_T0_E_clISt17integral_constantIbLb0EES1D_EEDaS18_S19_EUlS18_E_NS1_11comp_targetILNS1_3genE9ELNS1_11target_archE1100ELNS1_3gpuE3ELNS1_3repE0EEENS1_30default_config_static_selectorELNS0_4arch9wavefront6targetE0EEEvT1_,"axG",@progbits,_ZN7rocprim17ROCPRIM_400000_NS6detail17trampoline_kernelINS0_14default_configENS1_25partition_config_selectorILNS1_17partition_subalgoE5EyNS0_10empty_typeEbEEZZNS1_14partition_implILS5_5ELb0ES3_mN6thrust23THRUST_200600_302600_NS6detail15normal_iteratorINSA_10device_ptrIyEEEEPS6_NSA_18transform_iteratorINSB_9not_fun_tI7is_trueIyEEENSC_INSD_IbEEEENSA_11use_defaultESO_EENS0_5tupleIJSF_S6_EEENSQ_IJSG_SG_EEES6_PlJS6_EEE10hipError_tPvRmT3_T4_T5_T6_T7_T9_mT8_P12ihipStream_tbDpT10_ENKUlT_T0_E_clISt17integral_constantIbLb0EES1D_EEDaS18_S19_EUlS18_E_NS1_11comp_targetILNS1_3genE9ELNS1_11target_archE1100ELNS1_3gpuE3ELNS1_3repE0EEENS1_30default_config_static_selectorELNS0_4arch9wavefront6targetE0EEEvT1_,comdat
.Lfunc_end2403:
	.size	_ZN7rocprim17ROCPRIM_400000_NS6detail17trampoline_kernelINS0_14default_configENS1_25partition_config_selectorILNS1_17partition_subalgoE5EyNS0_10empty_typeEbEEZZNS1_14partition_implILS5_5ELb0ES3_mN6thrust23THRUST_200600_302600_NS6detail15normal_iteratorINSA_10device_ptrIyEEEEPS6_NSA_18transform_iteratorINSB_9not_fun_tI7is_trueIyEEENSC_INSD_IbEEEENSA_11use_defaultESO_EENS0_5tupleIJSF_S6_EEENSQ_IJSG_SG_EEES6_PlJS6_EEE10hipError_tPvRmT3_T4_T5_T6_T7_T9_mT8_P12ihipStream_tbDpT10_ENKUlT_T0_E_clISt17integral_constantIbLb0EES1D_EEDaS18_S19_EUlS18_E_NS1_11comp_targetILNS1_3genE9ELNS1_11target_archE1100ELNS1_3gpuE3ELNS1_3repE0EEENS1_30default_config_static_selectorELNS0_4arch9wavefront6targetE0EEEvT1_, .Lfunc_end2403-_ZN7rocprim17ROCPRIM_400000_NS6detail17trampoline_kernelINS0_14default_configENS1_25partition_config_selectorILNS1_17partition_subalgoE5EyNS0_10empty_typeEbEEZZNS1_14partition_implILS5_5ELb0ES3_mN6thrust23THRUST_200600_302600_NS6detail15normal_iteratorINSA_10device_ptrIyEEEEPS6_NSA_18transform_iteratorINSB_9not_fun_tI7is_trueIyEEENSC_INSD_IbEEEENSA_11use_defaultESO_EENS0_5tupleIJSF_S6_EEENSQ_IJSG_SG_EEES6_PlJS6_EEE10hipError_tPvRmT3_T4_T5_T6_T7_T9_mT8_P12ihipStream_tbDpT10_ENKUlT_T0_E_clISt17integral_constantIbLb0EES1D_EEDaS18_S19_EUlS18_E_NS1_11comp_targetILNS1_3genE9ELNS1_11target_archE1100ELNS1_3gpuE3ELNS1_3repE0EEENS1_30default_config_static_selectorELNS0_4arch9wavefront6targetE0EEEvT1_
                                        ; -- End function
	.set _ZN7rocprim17ROCPRIM_400000_NS6detail17trampoline_kernelINS0_14default_configENS1_25partition_config_selectorILNS1_17partition_subalgoE5EyNS0_10empty_typeEbEEZZNS1_14partition_implILS5_5ELb0ES3_mN6thrust23THRUST_200600_302600_NS6detail15normal_iteratorINSA_10device_ptrIyEEEEPS6_NSA_18transform_iteratorINSB_9not_fun_tI7is_trueIyEEENSC_INSD_IbEEEENSA_11use_defaultESO_EENS0_5tupleIJSF_S6_EEENSQ_IJSG_SG_EEES6_PlJS6_EEE10hipError_tPvRmT3_T4_T5_T6_T7_T9_mT8_P12ihipStream_tbDpT10_ENKUlT_T0_E_clISt17integral_constantIbLb0EES1D_EEDaS18_S19_EUlS18_E_NS1_11comp_targetILNS1_3genE9ELNS1_11target_archE1100ELNS1_3gpuE3ELNS1_3repE0EEENS1_30default_config_static_selectorELNS0_4arch9wavefront6targetE0EEEvT1_.num_vgpr, 0
	.set _ZN7rocprim17ROCPRIM_400000_NS6detail17trampoline_kernelINS0_14default_configENS1_25partition_config_selectorILNS1_17partition_subalgoE5EyNS0_10empty_typeEbEEZZNS1_14partition_implILS5_5ELb0ES3_mN6thrust23THRUST_200600_302600_NS6detail15normal_iteratorINSA_10device_ptrIyEEEEPS6_NSA_18transform_iteratorINSB_9not_fun_tI7is_trueIyEEENSC_INSD_IbEEEENSA_11use_defaultESO_EENS0_5tupleIJSF_S6_EEENSQ_IJSG_SG_EEES6_PlJS6_EEE10hipError_tPvRmT3_T4_T5_T6_T7_T9_mT8_P12ihipStream_tbDpT10_ENKUlT_T0_E_clISt17integral_constantIbLb0EES1D_EEDaS18_S19_EUlS18_E_NS1_11comp_targetILNS1_3genE9ELNS1_11target_archE1100ELNS1_3gpuE3ELNS1_3repE0EEENS1_30default_config_static_selectorELNS0_4arch9wavefront6targetE0EEEvT1_.num_agpr, 0
	.set _ZN7rocprim17ROCPRIM_400000_NS6detail17trampoline_kernelINS0_14default_configENS1_25partition_config_selectorILNS1_17partition_subalgoE5EyNS0_10empty_typeEbEEZZNS1_14partition_implILS5_5ELb0ES3_mN6thrust23THRUST_200600_302600_NS6detail15normal_iteratorINSA_10device_ptrIyEEEEPS6_NSA_18transform_iteratorINSB_9not_fun_tI7is_trueIyEEENSC_INSD_IbEEEENSA_11use_defaultESO_EENS0_5tupleIJSF_S6_EEENSQ_IJSG_SG_EEES6_PlJS6_EEE10hipError_tPvRmT3_T4_T5_T6_T7_T9_mT8_P12ihipStream_tbDpT10_ENKUlT_T0_E_clISt17integral_constantIbLb0EES1D_EEDaS18_S19_EUlS18_E_NS1_11comp_targetILNS1_3genE9ELNS1_11target_archE1100ELNS1_3gpuE3ELNS1_3repE0EEENS1_30default_config_static_selectorELNS0_4arch9wavefront6targetE0EEEvT1_.numbered_sgpr, 0
	.set _ZN7rocprim17ROCPRIM_400000_NS6detail17trampoline_kernelINS0_14default_configENS1_25partition_config_selectorILNS1_17partition_subalgoE5EyNS0_10empty_typeEbEEZZNS1_14partition_implILS5_5ELb0ES3_mN6thrust23THRUST_200600_302600_NS6detail15normal_iteratorINSA_10device_ptrIyEEEEPS6_NSA_18transform_iteratorINSB_9not_fun_tI7is_trueIyEEENSC_INSD_IbEEEENSA_11use_defaultESO_EENS0_5tupleIJSF_S6_EEENSQ_IJSG_SG_EEES6_PlJS6_EEE10hipError_tPvRmT3_T4_T5_T6_T7_T9_mT8_P12ihipStream_tbDpT10_ENKUlT_T0_E_clISt17integral_constantIbLb0EES1D_EEDaS18_S19_EUlS18_E_NS1_11comp_targetILNS1_3genE9ELNS1_11target_archE1100ELNS1_3gpuE3ELNS1_3repE0EEENS1_30default_config_static_selectorELNS0_4arch9wavefront6targetE0EEEvT1_.num_named_barrier, 0
	.set _ZN7rocprim17ROCPRIM_400000_NS6detail17trampoline_kernelINS0_14default_configENS1_25partition_config_selectorILNS1_17partition_subalgoE5EyNS0_10empty_typeEbEEZZNS1_14partition_implILS5_5ELb0ES3_mN6thrust23THRUST_200600_302600_NS6detail15normal_iteratorINSA_10device_ptrIyEEEEPS6_NSA_18transform_iteratorINSB_9not_fun_tI7is_trueIyEEENSC_INSD_IbEEEENSA_11use_defaultESO_EENS0_5tupleIJSF_S6_EEENSQ_IJSG_SG_EEES6_PlJS6_EEE10hipError_tPvRmT3_T4_T5_T6_T7_T9_mT8_P12ihipStream_tbDpT10_ENKUlT_T0_E_clISt17integral_constantIbLb0EES1D_EEDaS18_S19_EUlS18_E_NS1_11comp_targetILNS1_3genE9ELNS1_11target_archE1100ELNS1_3gpuE3ELNS1_3repE0EEENS1_30default_config_static_selectorELNS0_4arch9wavefront6targetE0EEEvT1_.private_seg_size, 0
	.set _ZN7rocprim17ROCPRIM_400000_NS6detail17trampoline_kernelINS0_14default_configENS1_25partition_config_selectorILNS1_17partition_subalgoE5EyNS0_10empty_typeEbEEZZNS1_14partition_implILS5_5ELb0ES3_mN6thrust23THRUST_200600_302600_NS6detail15normal_iteratorINSA_10device_ptrIyEEEEPS6_NSA_18transform_iteratorINSB_9not_fun_tI7is_trueIyEEENSC_INSD_IbEEEENSA_11use_defaultESO_EENS0_5tupleIJSF_S6_EEENSQ_IJSG_SG_EEES6_PlJS6_EEE10hipError_tPvRmT3_T4_T5_T6_T7_T9_mT8_P12ihipStream_tbDpT10_ENKUlT_T0_E_clISt17integral_constantIbLb0EES1D_EEDaS18_S19_EUlS18_E_NS1_11comp_targetILNS1_3genE9ELNS1_11target_archE1100ELNS1_3gpuE3ELNS1_3repE0EEENS1_30default_config_static_selectorELNS0_4arch9wavefront6targetE0EEEvT1_.uses_vcc, 0
	.set _ZN7rocprim17ROCPRIM_400000_NS6detail17trampoline_kernelINS0_14default_configENS1_25partition_config_selectorILNS1_17partition_subalgoE5EyNS0_10empty_typeEbEEZZNS1_14partition_implILS5_5ELb0ES3_mN6thrust23THRUST_200600_302600_NS6detail15normal_iteratorINSA_10device_ptrIyEEEEPS6_NSA_18transform_iteratorINSB_9not_fun_tI7is_trueIyEEENSC_INSD_IbEEEENSA_11use_defaultESO_EENS0_5tupleIJSF_S6_EEENSQ_IJSG_SG_EEES6_PlJS6_EEE10hipError_tPvRmT3_T4_T5_T6_T7_T9_mT8_P12ihipStream_tbDpT10_ENKUlT_T0_E_clISt17integral_constantIbLb0EES1D_EEDaS18_S19_EUlS18_E_NS1_11comp_targetILNS1_3genE9ELNS1_11target_archE1100ELNS1_3gpuE3ELNS1_3repE0EEENS1_30default_config_static_selectorELNS0_4arch9wavefront6targetE0EEEvT1_.uses_flat_scratch, 0
	.set _ZN7rocprim17ROCPRIM_400000_NS6detail17trampoline_kernelINS0_14default_configENS1_25partition_config_selectorILNS1_17partition_subalgoE5EyNS0_10empty_typeEbEEZZNS1_14partition_implILS5_5ELb0ES3_mN6thrust23THRUST_200600_302600_NS6detail15normal_iteratorINSA_10device_ptrIyEEEEPS6_NSA_18transform_iteratorINSB_9not_fun_tI7is_trueIyEEENSC_INSD_IbEEEENSA_11use_defaultESO_EENS0_5tupleIJSF_S6_EEENSQ_IJSG_SG_EEES6_PlJS6_EEE10hipError_tPvRmT3_T4_T5_T6_T7_T9_mT8_P12ihipStream_tbDpT10_ENKUlT_T0_E_clISt17integral_constantIbLb0EES1D_EEDaS18_S19_EUlS18_E_NS1_11comp_targetILNS1_3genE9ELNS1_11target_archE1100ELNS1_3gpuE3ELNS1_3repE0EEENS1_30default_config_static_selectorELNS0_4arch9wavefront6targetE0EEEvT1_.has_dyn_sized_stack, 0
	.set _ZN7rocprim17ROCPRIM_400000_NS6detail17trampoline_kernelINS0_14default_configENS1_25partition_config_selectorILNS1_17partition_subalgoE5EyNS0_10empty_typeEbEEZZNS1_14partition_implILS5_5ELb0ES3_mN6thrust23THRUST_200600_302600_NS6detail15normal_iteratorINSA_10device_ptrIyEEEEPS6_NSA_18transform_iteratorINSB_9not_fun_tI7is_trueIyEEENSC_INSD_IbEEEENSA_11use_defaultESO_EENS0_5tupleIJSF_S6_EEENSQ_IJSG_SG_EEES6_PlJS6_EEE10hipError_tPvRmT3_T4_T5_T6_T7_T9_mT8_P12ihipStream_tbDpT10_ENKUlT_T0_E_clISt17integral_constantIbLb0EES1D_EEDaS18_S19_EUlS18_E_NS1_11comp_targetILNS1_3genE9ELNS1_11target_archE1100ELNS1_3gpuE3ELNS1_3repE0EEENS1_30default_config_static_selectorELNS0_4arch9wavefront6targetE0EEEvT1_.has_recursion, 0
	.set _ZN7rocprim17ROCPRIM_400000_NS6detail17trampoline_kernelINS0_14default_configENS1_25partition_config_selectorILNS1_17partition_subalgoE5EyNS0_10empty_typeEbEEZZNS1_14partition_implILS5_5ELb0ES3_mN6thrust23THRUST_200600_302600_NS6detail15normal_iteratorINSA_10device_ptrIyEEEEPS6_NSA_18transform_iteratorINSB_9not_fun_tI7is_trueIyEEENSC_INSD_IbEEEENSA_11use_defaultESO_EENS0_5tupleIJSF_S6_EEENSQ_IJSG_SG_EEES6_PlJS6_EEE10hipError_tPvRmT3_T4_T5_T6_T7_T9_mT8_P12ihipStream_tbDpT10_ENKUlT_T0_E_clISt17integral_constantIbLb0EES1D_EEDaS18_S19_EUlS18_E_NS1_11comp_targetILNS1_3genE9ELNS1_11target_archE1100ELNS1_3gpuE3ELNS1_3repE0EEENS1_30default_config_static_selectorELNS0_4arch9wavefront6targetE0EEEvT1_.has_indirect_call, 0
	.section	.AMDGPU.csdata,"",@progbits
; Kernel info:
; codeLenInByte = 0
; TotalNumSgprs: 0
; NumVgprs: 0
; ScratchSize: 0
; MemoryBound: 0
; FloatMode: 240
; IeeeMode: 1
; LDSByteSize: 0 bytes/workgroup (compile time only)
; SGPRBlocks: 0
; VGPRBlocks: 0
; NumSGPRsForWavesPerEU: 1
; NumVGPRsForWavesPerEU: 1
; Occupancy: 16
; WaveLimiterHint : 0
; COMPUTE_PGM_RSRC2:SCRATCH_EN: 0
; COMPUTE_PGM_RSRC2:USER_SGPR: 2
; COMPUTE_PGM_RSRC2:TRAP_HANDLER: 0
; COMPUTE_PGM_RSRC2:TGID_X_EN: 1
; COMPUTE_PGM_RSRC2:TGID_Y_EN: 0
; COMPUTE_PGM_RSRC2:TGID_Z_EN: 0
; COMPUTE_PGM_RSRC2:TIDIG_COMP_CNT: 0
	.section	.text._ZN7rocprim17ROCPRIM_400000_NS6detail17trampoline_kernelINS0_14default_configENS1_25partition_config_selectorILNS1_17partition_subalgoE5EyNS0_10empty_typeEbEEZZNS1_14partition_implILS5_5ELb0ES3_mN6thrust23THRUST_200600_302600_NS6detail15normal_iteratorINSA_10device_ptrIyEEEEPS6_NSA_18transform_iteratorINSB_9not_fun_tI7is_trueIyEEENSC_INSD_IbEEEENSA_11use_defaultESO_EENS0_5tupleIJSF_S6_EEENSQ_IJSG_SG_EEES6_PlJS6_EEE10hipError_tPvRmT3_T4_T5_T6_T7_T9_mT8_P12ihipStream_tbDpT10_ENKUlT_T0_E_clISt17integral_constantIbLb0EES1D_EEDaS18_S19_EUlS18_E_NS1_11comp_targetILNS1_3genE8ELNS1_11target_archE1030ELNS1_3gpuE2ELNS1_3repE0EEENS1_30default_config_static_selectorELNS0_4arch9wavefront6targetE0EEEvT1_,"axG",@progbits,_ZN7rocprim17ROCPRIM_400000_NS6detail17trampoline_kernelINS0_14default_configENS1_25partition_config_selectorILNS1_17partition_subalgoE5EyNS0_10empty_typeEbEEZZNS1_14partition_implILS5_5ELb0ES3_mN6thrust23THRUST_200600_302600_NS6detail15normal_iteratorINSA_10device_ptrIyEEEEPS6_NSA_18transform_iteratorINSB_9not_fun_tI7is_trueIyEEENSC_INSD_IbEEEENSA_11use_defaultESO_EENS0_5tupleIJSF_S6_EEENSQ_IJSG_SG_EEES6_PlJS6_EEE10hipError_tPvRmT3_T4_T5_T6_T7_T9_mT8_P12ihipStream_tbDpT10_ENKUlT_T0_E_clISt17integral_constantIbLb0EES1D_EEDaS18_S19_EUlS18_E_NS1_11comp_targetILNS1_3genE8ELNS1_11target_archE1030ELNS1_3gpuE2ELNS1_3repE0EEENS1_30default_config_static_selectorELNS0_4arch9wavefront6targetE0EEEvT1_,comdat
	.protected	_ZN7rocprim17ROCPRIM_400000_NS6detail17trampoline_kernelINS0_14default_configENS1_25partition_config_selectorILNS1_17partition_subalgoE5EyNS0_10empty_typeEbEEZZNS1_14partition_implILS5_5ELb0ES3_mN6thrust23THRUST_200600_302600_NS6detail15normal_iteratorINSA_10device_ptrIyEEEEPS6_NSA_18transform_iteratorINSB_9not_fun_tI7is_trueIyEEENSC_INSD_IbEEEENSA_11use_defaultESO_EENS0_5tupleIJSF_S6_EEENSQ_IJSG_SG_EEES6_PlJS6_EEE10hipError_tPvRmT3_T4_T5_T6_T7_T9_mT8_P12ihipStream_tbDpT10_ENKUlT_T0_E_clISt17integral_constantIbLb0EES1D_EEDaS18_S19_EUlS18_E_NS1_11comp_targetILNS1_3genE8ELNS1_11target_archE1030ELNS1_3gpuE2ELNS1_3repE0EEENS1_30default_config_static_selectorELNS0_4arch9wavefront6targetE0EEEvT1_ ; -- Begin function _ZN7rocprim17ROCPRIM_400000_NS6detail17trampoline_kernelINS0_14default_configENS1_25partition_config_selectorILNS1_17partition_subalgoE5EyNS0_10empty_typeEbEEZZNS1_14partition_implILS5_5ELb0ES3_mN6thrust23THRUST_200600_302600_NS6detail15normal_iteratorINSA_10device_ptrIyEEEEPS6_NSA_18transform_iteratorINSB_9not_fun_tI7is_trueIyEEENSC_INSD_IbEEEENSA_11use_defaultESO_EENS0_5tupleIJSF_S6_EEENSQ_IJSG_SG_EEES6_PlJS6_EEE10hipError_tPvRmT3_T4_T5_T6_T7_T9_mT8_P12ihipStream_tbDpT10_ENKUlT_T0_E_clISt17integral_constantIbLb0EES1D_EEDaS18_S19_EUlS18_E_NS1_11comp_targetILNS1_3genE8ELNS1_11target_archE1030ELNS1_3gpuE2ELNS1_3repE0EEENS1_30default_config_static_selectorELNS0_4arch9wavefront6targetE0EEEvT1_
	.globl	_ZN7rocprim17ROCPRIM_400000_NS6detail17trampoline_kernelINS0_14default_configENS1_25partition_config_selectorILNS1_17partition_subalgoE5EyNS0_10empty_typeEbEEZZNS1_14partition_implILS5_5ELb0ES3_mN6thrust23THRUST_200600_302600_NS6detail15normal_iteratorINSA_10device_ptrIyEEEEPS6_NSA_18transform_iteratorINSB_9not_fun_tI7is_trueIyEEENSC_INSD_IbEEEENSA_11use_defaultESO_EENS0_5tupleIJSF_S6_EEENSQ_IJSG_SG_EEES6_PlJS6_EEE10hipError_tPvRmT3_T4_T5_T6_T7_T9_mT8_P12ihipStream_tbDpT10_ENKUlT_T0_E_clISt17integral_constantIbLb0EES1D_EEDaS18_S19_EUlS18_E_NS1_11comp_targetILNS1_3genE8ELNS1_11target_archE1030ELNS1_3gpuE2ELNS1_3repE0EEENS1_30default_config_static_selectorELNS0_4arch9wavefront6targetE0EEEvT1_
	.p2align	8
	.type	_ZN7rocprim17ROCPRIM_400000_NS6detail17trampoline_kernelINS0_14default_configENS1_25partition_config_selectorILNS1_17partition_subalgoE5EyNS0_10empty_typeEbEEZZNS1_14partition_implILS5_5ELb0ES3_mN6thrust23THRUST_200600_302600_NS6detail15normal_iteratorINSA_10device_ptrIyEEEEPS6_NSA_18transform_iteratorINSB_9not_fun_tI7is_trueIyEEENSC_INSD_IbEEEENSA_11use_defaultESO_EENS0_5tupleIJSF_S6_EEENSQ_IJSG_SG_EEES6_PlJS6_EEE10hipError_tPvRmT3_T4_T5_T6_T7_T9_mT8_P12ihipStream_tbDpT10_ENKUlT_T0_E_clISt17integral_constantIbLb0EES1D_EEDaS18_S19_EUlS18_E_NS1_11comp_targetILNS1_3genE8ELNS1_11target_archE1030ELNS1_3gpuE2ELNS1_3repE0EEENS1_30default_config_static_selectorELNS0_4arch9wavefront6targetE0EEEvT1_,@function
_ZN7rocprim17ROCPRIM_400000_NS6detail17trampoline_kernelINS0_14default_configENS1_25partition_config_selectorILNS1_17partition_subalgoE5EyNS0_10empty_typeEbEEZZNS1_14partition_implILS5_5ELb0ES3_mN6thrust23THRUST_200600_302600_NS6detail15normal_iteratorINSA_10device_ptrIyEEEEPS6_NSA_18transform_iteratorINSB_9not_fun_tI7is_trueIyEEENSC_INSD_IbEEEENSA_11use_defaultESO_EENS0_5tupleIJSF_S6_EEENSQ_IJSG_SG_EEES6_PlJS6_EEE10hipError_tPvRmT3_T4_T5_T6_T7_T9_mT8_P12ihipStream_tbDpT10_ENKUlT_T0_E_clISt17integral_constantIbLb0EES1D_EEDaS18_S19_EUlS18_E_NS1_11comp_targetILNS1_3genE8ELNS1_11target_archE1030ELNS1_3gpuE2ELNS1_3repE0EEENS1_30default_config_static_selectorELNS0_4arch9wavefront6targetE0EEEvT1_: ; @_ZN7rocprim17ROCPRIM_400000_NS6detail17trampoline_kernelINS0_14default_configENS1_25partition_config_selectorILNS1_17partition_subalgoE5EyNS0_10empty_typeEbEEZZNS1_14partition_implILS5_5ELb0ES3_mN6thrust23THRUST_200600_302600_NS6detail15normal_iteratorINSA_10device_ptrIyEEEEPS6_NSA_18transform_iteratorINSB_9not_fun_tI7is_trueIyEEENSC_INSD_IbEEEENSA_11use_defaultESO_EENS0_5tupleIJSF_S6_EEENSQ_IJSG_SG_EEES6_PlJS6_EEE10hipError_tPvRmT3_T4_T5_T6_T7_T9_mT8_P12ihipStream_tbDpT10_ENKUlT_T0_E_clISt17integral_constantIbLb0EES1D_EEDaS18_S19_EUlS18_E_NS1_11comp_targetILNS1_3genE8ELNS1_11target_archE1030ELNS1_3gpuE2ELNS1_3repE0EEENS1_30default_config_static_selectorELNS0_4arch9wavefront6targetE0EEEvT1_
; %bb.0:
	.section	.rodata,"a",@progbits
	.p2align	6, 0x0
	.amdhsa_kernel _ZN7rocprim17ROCPRIM_400000_NS6detail17trampoline_kernelINS0_14default_configENS1_25partition_config_selectorILNS1_17partition_subalgoE5EyNS0_10empty_typeEbEEZZNS1_14partition_implILS5_5ELb0ES3_mN6thrust23THRUST_200600_302600_NS6detail15normal_iteratorINSA_10device_ptrIyEEEEPS6_NSA_18transform_iteratorINSB_9not_fun_tI7is_trueIyEEENSC_INSD_IbEEEENSA_11use_defaultESO_EENS0_5tupleIJSF_S6_EEENSQ_IJSG_SG_EEES6_PlJS6_EEE10hipError_tPvRmT3_T4_T5_T6_T7_T9_mT8_P12ihipStream_tbDpT10_ENKUlT_T0_E_clISt17integral_constantIbLb0EES1D_EEDaS18_S19_EUlS18_E_NS1_11comp_targetILNS1_3genE8ELNS1_11target_archE1030ELNS1_3gpuE2ELNS1_3repE0EEENS1_30default_config_static_selectorELNS0_4arch9wavefront6targetE0EEEvT1_
		.amdhsa_group_segment_fixed_size 0
		.amdhsa_private_segment_fixed_size 0
		.amdhsa_kernarg_size 120
		.amdhsa_user_sgpr_count 2
		.amdhsa_user_sgpr_dispatch_ptr 0
		.amdhsa_user_sgpr_queue_ptr 0
		.amdhsa_user_sgpr_kernarg_segment_ptr 1
		.amdhsa_user_sgpr_dispatch_id 0
		.amdhsa_user_sgpr_private_segment_size 0
		.amdhsa_wavefront_size32 1
		.amdhsa_uses_dynamic_stack 0
		.amdhsa_enable_private_segment 0
		.amdhsa_system_sgpr_workgroup_id_x 1
		.amdhsa_system_sgpr_workgroup_id_y 0
		.amdhsa_system_sgpr_workgroup_id_z 0
		.amdhsa_system_sgpr_workgroup_info 0
		.amdhsa_system_vgpr_workitem_id 0
		.amdhsa_next_free_vgpr 1
		.amdhsa_next_free_sgpr 1
		.amdhsa_reserve_vcc 0
		.amdhsa_float_round_mode_32 0
		.amdhsa_float_round_mode_16_64 0
		.amdhsa_float_denorm_mode_32 3
		.amdhsa_float_denorm_mode_16_64 3
		.amdhsa_fp16_overflow 0
		.amdhsa_workgroup_processor_mode 1
		.amdhsa_memory_ordered 1
		.amdhsa_forward_progress 1
		.amdhsa_inst_pref_size 0
		.amdhsa_round_robin_scheduling 0
		.amdhsa_exception_fp_ieee_invalid_op 0
		.amdhsa_exception_fp_denorm_src 0
		.amdhsa_exception_fp_ieee_div_zero 0
		.amdhsa_exception_fp_ieee_overflow 0
		.amdhsa_exception_fp_ieee_underflow 0
		.amdhsa_exception_fp_ieee_inexact 0
		.amdhsa_exception_int_div_zero 0
	.end_amdhsa_kernel
	.section	.text._ZN7rocprim17ROCPRIM_400000_NS6detail17trampoline_kernelINS0_14default_configENS1_25partition_config_selectorILNS1_17partition_subalgoE5EyNS0_10empty_typeEbEEZZNS1_14partition_implILS5_5ELb0ES3_mN6thrust23THRUST_200600_302600_NS6detail15normal_iteratorINSA_10device_ptrIyEEEEPS6_NSA_18transform_iteratorINSB_9not_fun_tI7is_trueIyEEENSC_INSD_IbEEEENSA_11use_defaultESO_EENS0_5tupleIJSF_S6_EEENSQ_IJSG_SG_EEES6_PlJS6_EEE10hipError_tPvRmT3_T4_T5_T6_T7_T9_mT8_P12ihipStream_tbDpT10_ENKUlT_T0_E_clISt17integral_constantIbLb0EES1D_EEDaS18_S19_EUlS18_E_NS1_11comp_targetILNS1_3genE8ELNS1_11target_archE1030ELNS1_3gpuE2ELNS1_3repE0EEENS1_30default_config_static_selectorELNS0_4arch9wavefront6targetE0EEEvT1_,"axG",@progbits,_ZN7rocprim17ROCPRIM_400000_NS6detail17trampoline_kernelINS0_14default_configENS1_25partition_config_selectorILNS1_17partition_subalgoE5EyNS0_10empty_typeEbEEZZNS1_14partition_implILS5_5ELb0ES3_mN6thrust23THRUST_200600_302600_NS6detail15normal_iteratorINSA_10device_ptrIyEEEEPS6_NSA_18transform_iteratorINSB_9not_fun_tI7is_trueIyEEENSC_INSD_IbEEEENSA_11use_defaultESO_EENS0_5tupleIJSF_S6_EEENSQ_IJSG_SG_EEES6_PlJS6_EEE10hipError_tPvRmT3_T4_T5_T6_T7_T9_mT8_P12ihipStream_tbDpT10_ENKUlT_T0_E_clISt17integral_constantIbLb0EES1D_EEDaS18_S19_EUlS18_E_NS1_11comp_targetILNS1_3genE8ELNS1_11target_archE1030ELNS1_3gpuE2ELNS1_3repE0EEENS1_30default_config_static_selectorELNS0_4arch9wavefront6targetE0EEEvT1_,comdat
.Lfunc_end2404:
	.size	_ZN7rocprim17ROCPRIM_400000_NS6detail17trampoline_kernelINS0_14default_configENS1_25partition_config_selectorILNS1_17partition_subalgoE5EyNS0_10empty_typeEbEEZZNS1_14partition_implILS5_5ELb0ES3_mN6thrust23THRUST_200600_302600_NS6detail15normal_iteratorINSA_10device_ptrIyEEEEPS6_NSA_18transform_iteratorINSB_9not_fun_tI7is_trueIyEEENSC_INSD_IbEEEENSA_11use_defaultESO_EENS0_5tupleIJSF_S6_EEENSQ_IJSG_SG_EEES6_PlJS6_EEE10hipError_tPvRmT3_T4_T5_T6_T7_T9_mT8_P12ihipStream_tbDpT10_ENKUlT_T0_E_clISt17integral_constantIbLb0EES1D_EEDaS18_S19_EUlS18_E_NS1_11comp_targetILNS1_3genE8ELNS1_11target_archE1030ELNS1_3gpuE2ELNS1_3repE0EEENS1_30default_config_static_selectorELNS0_4arch9wavefront6targetE0EEEvT1_, .Lfunc_end2404-_ZN7rocprim17ROCPRIM_400000_NS6detail17trampoline_kernelINS0_14default_configENS1_25partition_config_selectorILNS1_17partition_subalgoE5EyNS0_10empty_typeEbEEZZNS1_14partition_implILS5_5ELb0ES3_mN6thrust23THRUST_200600_302600_NS6detail15normal_iteratorINSA_10device_ptrIyEEEEPS6_NSA_18transform_iteratorINSB_9not_fun_tI7is_trueIyEEENSC_INSD_IbEEEENSA_11use_defaultESO_EENS0_5tupleIJSF_S6_EEENSQ_IJSG_SG_EEES6_PlJS6_EEE10hipError_tPvRmT3_T4_T5_T6_T7_T9_mT8_P12ihipStream_tbDpT10_ENKUlT_T0_E_clISt17integral_constantIbLb0EES1D_EEDaS18_S19_EUlS18_E_NS1_11comp_targetILNS1_3genE8ELNS1_11target_archE1030ELNS1_3gpuE2ELNS1_3repE0EEENS1_30default_config_static_selectorELNS0_4arch9wavefront6targetE0EEEvT1_
                                        ; -- End function
	.set _ZN7rocprim17ROCPRIM_400000_NS6detail17trampoline_kernelINS0_14default_configENS1_25partition_config_selectorILNS1_17partition_subalgoE5EyNS0_10empty_typeEbEEZZNS1_14partition_implILS5_5ELb0ES3_mN6thrust23THRUST_200600_302600_NS6detail15normal_iteratorINSA_10device_ptrIyEEEEPS6_NSA_18transform_iteratorINSB_9not_fun_tI7is_trueIyEEENSC_INSD_IbEEEENSA_11use_defaultESO_EENS0_5tupleIJSF_S6_EEENSQ_IJSG_SG_EEES6_PlJS6_EEE10hipError_tPvRmT3_T4_T5_T6_T7_T9_mT8_P12ihipStream_tbDpT10_ENKUlT_T0_E_clISt17integral_constantIbLb0EES1D_EEDaS18_S19_EUlS18_E_NS1_11comp_targetILNS1_3genE8ELNS1_11target_archE1030ELNS1_3gpuE2ELNS1_3repE0EEENS1_30default_config_static_selectorELNS0_4arch9wavefront6targetE0EEEvT1_.num_vgpr, 0
	.set _ZN7rocprim17ROCPRIM_400000_NS6detail17trampoline_kernelINS0_14default_configENS1_25partition_config_selectorILNS1_17partition_subalgoE5EyNS0_10empty_typeEbEEZZNS1_14partition_implILS5_5ELb0ES3_mN6thrust23THRUST_200600_302600_NS6detail15normal_iteratorINSA_10device_ptrIyEEEEPS6_NSA_18transform_iteratorINSB_9not_fun_tI7is_trueIyEEENSC_INSD_IbEEEENSA_11use_defaultESO_EENS0_5tupleIJSF_S6_EEENSQ_IJSG_SG_EEES6_PlJS6_EEE10hipError_tPvRmT3_T4_T5_T6_T7_T9_mT8_P12ihipStream_tbDpT10_ENKUlT_T0_E_clISt17integral_constantIbLb0EES1D_EEDaS18_S19_EUlS18_E_NS1_11comp_targetILNS1_3genE8ELNS1_11target_archE1030ELNS1_3gpuE2ELNS1_3repE0EEENS1_30default_config_static_selectorELNS0_4arch9wavefront6targetE0EEEvT1_.num_agpr, 0
	.set _ZN7rocprim17ROCPRIM_400000_NS6detail17trampoline_kernelINS0_14default_configENS1_25partition_config_selectorILNS1_17partition_subalgoE5EyNS0_10empty_typeEbEEZZNS1_14partition_implILS5_5ELb0ES3_mN6thrust23THRUST_200600_302600_NS6detail15normal_iteratorINSA_10device_ptrIyEEEEPS6_NSA_18transform_iteratorINSB_9not_fun_tI7is_trueIyEEENSC_INSD_IbEEEENSA_11use_defaultESO_EENS0_5tupleIJSF_S6_EEENSQ_IJSG_SG_EEES6_PlJS6_EEE10hipError_tPvRmT3_T4_T5_T6_T7_T9_mT8_P12ihipStream_tbDpT10_ENKUlT_T0_E_clISt17integral_constantIbLb0EES1D_EEDaS18_S19_EUlS18_E_NS1_11comp_targetILNS1_3genE8ELNS1_11target_archE1030ELNS1_3gpuE2ELNS1_3repE0EEENS1_30default_config_static_selectorELNS0_4arch9wavefront6targetE0EEEvT1_.numbered_sgpr, 0
	.set _ZN7rocprim17ROCPRIM_400000_NS6detail17trampoline_kernelINS0_14default_configENS1_25partition_config_selectorILNS1_17partition_subalgoE5EyNS0_10empty_typeEbEEZZNS1_14partition_implILS5_5ELb0ES3_mN6thrust23THRUST_200600_302600_NS6detail15normal_iteratorINSA_10device_ptrIyEEEEPS6_NSA_18transform_iteratorINSB_9not_fun_tI7is_trueIyEEENSC_INSD_IbEEEENSA_11use_defaultESO_EENS0_5tupleIJSF_S6_EEENSQ_IJSG_SG_EEES6_PlJS6_EEE10hipError_tPvRmT3_T4_T5_T6_T7_T9_mT8_P12ihipStream_tbDpT10_ENKUlT_T0_E_clISt17integral_constantIbLb0EES1D_EEDaS18_S19_EUlS18_E_NS1_11comp_targetILNS1_3genE8ELNS1_11target_archE1030ELNS1_3gpuE2ELNS1_3repE0EEENS1_30default_config_static_selectorELNS0_4arch9wavefront6targetE0EEEvT1_.num_named_barrier, 0
	.set _ZN7rocprim17ROCPRIM_400000_NS6detail17trampoline_kernelINS0_14default_configENS1_25partition_config_selectorILNS1_17partition_subalgoE5EyNS0_10empty_typeEbEEZZNS1_14partition_implILS5_5ELb0ES3_mN6thrust23THRUST_200600_302600_NS6detail15normal_iteratorINSA_10device_ptrIyEEEEPS6_NSA_18transform_iteratorINSB_9not_fun_tI7is_trueIyEEENSC_INSD_IbEEEENSA_11use_defaultESO_EENS0_5tupleIJSF_S6_EEENSQ_IJSG_SG_EEES6_PlJS6_EEE10hipError_tPvRmT3_T4_T5_T6_T7_T9_mT8_P12ihipStream_tbDpT10_ENKUlT_T0_E_clISt17integral_constantIbLb0EES1D_EEDaS18_S19_EUlS18_E_NS1_11comp_targetILNS1_3genE8ELNS1_11target_archE1030ELNS1_3gpuE2ELNS1_3repE0EEENS1_30default_config_static_selectorELNS0_4arch9wavefront6targetE0EEEvT1_.private_seg_size, 0
	.set _ZN7rocprim17ROCPRIM_400000_NS6detail17trampoline_kernelINS0_14default_configENS1_25partition_config_selectorILNS1_17partition_subalgoE5EyNS0_10empty_typeEbEEZZNS1_14partition_implILS5_5ELb0ES3_mN6thrust23THRUST_200600_302600_NS6detail15normal_iteratorINSA_10device_ptrIyEEEEPS6_NSA_18transform_iteratorINSB_9not_fun_tI7is_trueIyEEENSC_INSD_IbEEEENSA_11use_defaultESO_EENS0_5tupleIJSF_S6_EEENSQ_IJSG_SG_EEES6_PlJS6_EEE10hipError_tPvRmT3_T4_T5_T6_T7_T9_mT8_P12ihipStream_tbDpT10_ENKUlT_T0_E_clISt17integral_constantIbLb0EES1D_EEDaS18_S19_EUlS18_E_NS1_11comp_targetILNS1_3genE8ELNS1_11target_archE1030ELNS1_3gpuE2ELNS1_3repE0EEENS1_30default_config_static_selectorELNS0_4arch9wavefront6targetE0EEEvT1_.uses_vcc, 0
	.set _ZN7rocprim17ROCPRIM_400000_NS6detail17trampoline_kernelINS0_14default_configENS1_25partition_config_selectorILNS1_17partition_subalgoE5EyNS0_10empty_typeEbEEZZNS1_14partition_implILS5_5ELb0ES3_mN6thrust23THRUST_200600_302600_NS6detail15normal_iteratorINSA_10device_ptrIyEEEEPS6_NSA_18transform_iteratorINSB_9not_fun_tI7is_trueIyEEENSC_INSD_IbEEEENSA_11use_defaultESO_EENS0_5tupleIJSF_S6_EEENSQ_IJSG_SG_EEES6_PlJS6_EEE10hipError_tPvRmT3_T4_T5_T6_T7_T9_mT8_P12ihipStream_tbDpT10_ENKUlT_T0_E_clISt17integral_constantIbLb0EES1D_EEDaS18_S19_EUlS18_E_NS1_11comp_targetILNS1_3genE8ELNS1_11target_archE1030ELNS1_3gpuE2ELNS1_3repE0EEENS1_30default_config_static_selectorELNS0_4arch9wavefront6targetE0EEEvT1_.uses_flat_scratch, 0
	.set _ZN7rocprim17ROCPRIM_400000_NS6detail17trampoline_kernelINS0_14default_configENS1_25partition_config_selectorILNS1_17partition_subalgoE5EyNS0_10empty_typeEbEEZZNS1_14partition_implILS5_5ELb0ES3_mN6thrust23THRUST_200600_302600_NS6detail15normal_iteratorINSA_10device_ptrIyEEEEPS6_NSA_18transform_iteratorINSB_9not_fun_tI7is_trueIyEEENSC_INSD_IbEEEENSA_11use_defaultESO_EENS0_5tupleIJSF_S6_EEENSQ_IJSG_SG_EEES6_PlJS6_EEE10hipError_tPvRmT3_T4_T5_T6_T7_T9_mT8_P12ihipStream_tbDpT10_ENKUlT_T0_E_clISt17integral_constantIbLb0EES1D_EEDaS18_S19_EUlS18_E_NS1_11comp_targetILNS1_3genE8ELNS1_11target_archE1030ELNS1_3gpuE2ELNS1_3repE0EEENS1_30default_config_static_selectorELNS0_4arch9wavefront6targetE0EEEvT1_.has_dyn_sized_stack, 0
	.set _ZN7rocprim17ROCPRIM_400000_NS6detail17trampoline_kernelINS0_14default_configENS1_25partition_config_selectorILNS1_17partition_subalgoE5EyNS0_10empty_typeEbEEZZNS1_14partition_implILS5_5ELb0ES3_mN6thrust23THRUST_200600_302600_NS6detail15normal_iteratorINSA_10device_ptrIyEEEEPS6_NSA_18transform_iteratorINSB_9not_fun_tI7is_trueIyEEENSC_INSD_IbEEEENSA_11use_defaultESO_EENS0_5tupleIJSF_S6_EEENSQ_IJSG_SG_EEES6_PlJS6_EEE10hipError_tPvRmT3_T4_T5_T6_T7_T9_mT8_P12ihipStream_tbDpT10_ENKUlT_T0_E_clISt17integral_constantIbLb0EES1D_EEDaS18_S19_EUlS18_E_NS1_11comp_targetILNS1_3genE8ELNS1_11target_archE1030ELNS1_3gpuE2ELNS1_3repE0EEENS1_30default_config_static_selectorELNS0_4arch9wavefront6targetE0EEEvT1_.has_recursion, 0
	.set _ZN7rocprim17ROCPRIM_400000_NS6detail17trampoline_kernelINS0_14default_configENS1_25partition_config_selectorILNS1_17partition_subalgoE5EyNS0_10empty_typeEbEEZZNS1_14partition_implILS5_5ELb0ES3_mN6thrust23THRUST_200600_302600_NS6detail15normal_iteratorINSA_10device_ptrIyEEEEPS6_NSA_18transform_iteratorINSB_9not_fun_tI7is_trueIyEEENSC_INSD_IbEEEENSA_11use_defaultESO_EENS0_5tupleIJSF_S6_EEENSQ_IJSG_SG_EEES6_PlJS6_EEE10hipError_tPvRmT3_T4_T5_T6_T7_T9_mT8_P12ihipStream_tbDpT10_ENKUlT_T0_E_clISt17integral_constantIbLb0EES1D_EEDaS18_S19_EUlS18_E_NS1_11comp_targetILNS1_3genE8ELNS1_11target_archE1030ELNS1_3gpuE2ELNS1_3repE0EEENS1_30default_config_static_selectorELNS0_4arch9wavefront6targetE0EEEvT1_.has_indirect_call, 0
	.section	.AMDGPU.csdata,"",@progbits
; Kernel info:
; codeLenInByte = 0
; TotalNumSgprs: 0
; NumVgprs: 0
; ScratchSize: 0
; MemoryBound: 0
; FloatMode: 240
; IeeeMode: 1
; LDSByteSize: 0 bytes/workgroup (compile time only)
; SGPRBlocks: 0
; VGPRBlocks: 0
; NumSGPRsForWavesPerEU: 1
; NumVGPRsForWavesPerEU: 1
; Occupancy: 16
; WaveLimiterHint : 0
; COMPUTE_PGM_RSRC2:SCRATCH_EN: 0
; COMPUTE_PGM_RSRC2:USER_SGPR: 2
; COMPUTE_PGM_RSRC2:TRAP_HANDLER: 0
; COMPUTE_PGM_RSRC2:TGID_X_EN: 1
; COMPUTE_PGM_RSRC2:TGID_Y_EN: 0
; COMPUTE_PGM_RSRC2:TGID_Z_EN: 0
; COMPUTE_PGM_RSRC2:TIDIG_COMP_CNT: 0
	.section	.text._ZN7rocprim17ROCPRIM_400000_NS6detail17trampoline_kernelINS0_14default_configENS1_25partition_config_selectorILNS1_17partition_subalgoE5EyNS0_10empty_typeEbEEZZNS1_14partition_implILS5_5ELb0ES3_mN6thrust23THRUST_200600_302600_NS6detail15normal_iteratorINSA_10device_ptrIyEEEEPS6_NSA_18transform_iteratorINSB_9not_fun_tI7is_trueIyEEENSC_INSD_IbEEEENSA_11use_defaultESO_EENS0_5tupleIJSF_S6_EEENSQ_IJSG_SG_EEES6_PlJS6_EEE10hipError_tPvRmT3_T4_T5_T6_T7_T9_mT8_P12ihipStream_tbDpT10_ENKUlT_T0_E_clISt17integral_constantIbLb1EES1D_EEDaS18_S19_EUlS18_E_NS1_11comp_targetILNS1_3genE0ELNS1_11target_archE4294967295ELNS1_3gpuE0ELNS1_3repE0EEENS1_30default_config_static_selectorELNS0_4arch9wavefront6targetE0EEEvT1_,"axG",@progbits,_ZN7rocprim17ROCPRIM_400000_NS6detail17trampoline_kernelINS0_14default_configENS1_25partition_config_selectorILNS1_17partition_subalgoE5EyNS0_10empty_typeEbEEZZNS1_14partition_implILS5_5ELb0ES3_mN6thrust23THRUST_200600_302600_NS6detail15normal_iteratorINSA_10device_ptrIyEEEEPS6_NSA_18transform_iteratorINSB_9not_fun_tI7is_trueIyEEENSC_INSD_IbEEEENSA_11use_defaultESO_EENS0_5tupleIJSF_S6_EEENSQ_IJSG_SG_EEES6_PlJS6_EEE10hipError_tPvRmT3_T4_T5_T6_T7_T9_mT8_P12ihipStream_tbDpT10_ENKUlT_T0_E_clISt17integral_constantIbLb1EES1D_EEDaS18_S19_EUlS18_E_NS1_11comp_targetILNS1_3genE0ELNS1_11target_archE4294967295ELNS1_3gpuE0ELNS1_3repE0EEENS1_30default_config_static_selectorELNS0_4arch9wavefront6targetE0EEEvT1_,comdat
	.protected	_ZN7rocprim17ROCPRIM_400000_NS6detail17trampoline_kernelINS0_14default_configENS1_25partition_config_selectorILNS1_17partition_subalgoE5EyNS0_10empty_typeEbEEZZNS1_14partition_implILS5_5ELb0ES3_mN6thrust23THRUST_200600_302600_NS6detail15normal_iteratorINSA_10device_ptrIyEEEEPS6_NSA_18transform_iteratorINSB_9not_fun_tI7is_trueIyEEENSC_INSD_IbEEEENSA_11use_defaultESO_EENS0_5tupleIJSF_S6_EEENSQ_IJSG_SG_EEES6_PlJS6_EEE10hipError_tPvRmT3_T4_T5_T6_T7_T9_mT8_P12ihipStream_tbDpT10_ENKUlT_T0_E_clISt17integral_constantIbLb1EES1D_EEDaS18_S19_EUlS18_E_NS1_11comp_targetILNS1_3genE0ELNS1_11target_archE4294967295ELNS1_3gpuE0ELNS1_3repE0EEENS1_30default_config_static_selectorELNS0_4arch9wavefront6targetE0EEEvT1_ ; -- Begin function _ZN7rocprim17ROCPRIM_400000_NS6detail17trampoline_kernelINS0_14default_configENS1_25partition_config_selectorILNS1_17partition_subalgoE5EyNS0_10empty_typeEbEEZZNS1_14partition_implILS5_5ELb0ES3_mN6thrust23THRUST_200600_302600_NS6detail15normal_iteratorINSA_10device_ptrIyEEEEPS6_NSA_18transform_iteratorINSB_9not_fun_tI7is_trueIyEEENSC_INSD_IbEEEENSA_11use_defaultESO_EENS0_5tupleIJSF_S6_EEENSQ_IJSG_SG_EEES6_PlJS6_EEE10hipError_tPvRmT3_T4_T5_T6_T7_T9_mT8_P12ihipStream_tbDpT10_ENKUlT_T0_E_clISt17integral_constantIbLb1EES1D_EEDaS18_S19_EUlS18_E_NS1_11comp_targetILNS1_3genE0ELNS1_11target_archE4294967295ELNS1_3gpuE0ELNS1_3repE0EEENS1_30default_config_static_selectorELNS0_4arch9wavefront6targetE0EEEvT1_
	.globl	_ZN7rocprim17ROCPRIM_400000_NS6detail17trampoline_kernelINS0_14default_configENS1_25partition_config_selectorILNS1_17partition_subalgoE5EyNS0_10empty_typeEbEEZZNS1_14partition_implILS5_5ELb0ES3_mN6thrust23THRUST_200600_302600_NS6detail15normal_iteratorINSA_10device_ptrIyEEEEPS6_NSA_18transform_iteratorINSB_9not_fun_tI7is_trueIyEEENSC_INSD_IbEEEENSA_11use_defaultESO_EENS0_5tupleIJSF_S6_EEENSQ_IJSG_SG_EEES6_PlJS6_EEE10hipError_tPvRmT3_T4_T5_T6_T7_T9_mT8_P12ihipStream_tbDpT10_ENKUlT_T0_E_clISt17integral_constantIbLb1EES1D_EEDaS18_S19_EUlS18_E_NS1_11comp_targetILNS1_3genE0ELNS1_11target_archE4294967295ELNS1_3gpuE0ELNS1_3repE0EEENS1_30default_config_static_selectorELNS0_4arch9wavefront6targetE0EEEvT1_
	.p2align	8
	.type	_ZN7rocprim17ROCPRIM_400000_NS6detail17trampoline_kernelINS0_14default_configENS1_25partition_config_selectorILNS1_17partition_subalgoE5EyNS0_10empty_typeEbEEZZNS1_14partition_implILS5_5ELb0ES3_mN6thrust23THRUST_200600_302600_NS6detail15normal_iteratorINSA_10device_ptrIyEEEEPS6_NSA_18transform_iteratorINSB_9not_fun_tI7is_trueIyEEENSC_INSD_IbEEEENSA_11use_defaultESO_EENS0_5tupleIJSF_S6_EEENSQ_IJSG_SG_EEES6_PlJS6_EEE10hipError_tPvRmT3_T4_T5_T6_T7_T9_mT8_P12ihipStream_tbDpT10_ENKUlT_T0_E_clISt17integral_constantIbLb1EES1D_EEDaS18_S19_EUlS18_E_NS1_11comp_targetILNS1_3genE0ELNS1_11target_archE4294967295ELNS1_3gpuE0ELNS1_3repE0EEENS1_30default_config_static_selectorELNS0_4arch9wavefront6targetE0EEEvT1_,@function
_ZN7rocprim17ROCPRIM_400000_NS6detail17trampoline_kernelINS0_14default_configENS1_25partition_config_selectorILNS1_17partition_subalgoE5EyNS0_10empty_typeEbEEZZNS1_14partition_implILS5_5ELb0ES3_mN6thrust23THRUST_200600_302600_NS6detail15normal_iteratorINSA_10device_ptrIyEEEEPS6_NSA_18transform_iteratorINSB_9not_fun_tI7is_trueIyEEENSC_INSD_IbEEEENSA_11use_defaultESO_EENS0_5tupleIJSF_S6_EEENSQ_IJSG_SG_EEES6_PlJS6_EEE10hipError_tPvRmT3_T4_T5_T6_T7_T9_mT8_P12ihipStream_tbDpT10_ENKUlT_T0_E_clISt17integral_constantIbLb1EES1D_EEDaS18_S19_EUlS18_E_NS1_11comp_targetILNS1_3genE0ELNS1_11target_archE4294967295ELNS1_3gpuE0ELNS1_3repE0EEENS1_30default_config_static_selectorELNS0_4arch9wavefront6targetE0EEEvT1_: ; @_ZN7rocprim17ROCPRIM_400000_NS6detail17trampoline_kernelINS0_14default_configENS1_25partition_config_selectorILNS1_17partition_subalgoE5EyNS0_10empty_typeEbEEZZNS1_14partition_implILS5_5ELb0ES3_mN6thrust23THRUST_200600_302600_NS6detail15normal_iteratorINSA_10device_ptrIyEEEEPS6_NSA_18transform_iteratorINSB_9not_fun_tI7is_trueIyEEENSC_INSD_IbEEEENSA_11use_defaultESO_EENS0_5tupleIJSF_S6_EEENSQ_IJSG_SG_EEES6_PlJS6_EEE10hipError_tPvRmT3_T4_T5_T6_T7_T9_mT8_P12ihipStream_tbDpT10_ENKUlT_T0_E_clISt17integral_constantIbLb1EES1D_EEDaS18_S19_EUlS18_E_NS1_11comp_targetILNS1_3genE0ELNS1_11target_archE4294967295ELNS1_3gpuE0ELNS1_3repE0EEENS1_30default_config_static_selectorELNS0_4arch9wavefront6targetE0EEEvT1_
; %bb.0:
	.section	.rodata,"a",@progbits
	.p2align	6, 0x0
	.amdhsa_kernel _ZN7rocprim17ROCPRIM_400000_NS6detail17trampoline_kernelINS0_14default_configENS1_25partition_config_selectorILNS1_17partition_subalgoE5EyNS0_10empty_typeEbEEZZNS1_14partition_implILS5_5ELb0ES3_mN6thrust23THRUST_200600_302600_NS6detail15normal_iteratorINSA_10device_ptrIyEEEEPS6_NSA_18transform_iteratorINSB_9not_fun_tI7is_trueIyEEENSC_INSD_IbEEEENSA_11use_defaultESO_EENS0_5tupleIJSF_S6_EEENSQ_IJSG_SG_EEES6_PlJS6_EEE10hipError_tPvRmT3_T4_T5_T6_T7_T9_mT8_P12ihipStream_tbDpT10_ENKUlT_T0_E_clISt17integral_constantIbLb1EES1D_EEDaS18_S19_EUlS18_E_NS1_11comp_targetILNS1_3genE0ELNS1_11target_archE4294967295ELNS1_3gpuE0ELNS1_3repE0EEENS1_30default_config_static_selectorELNS0_4arch9wavefront6targetE0EEEvT1_
		.amdhsa_group_segment_fixed_size 0
		.amdhsa_private_segment_fixed_size 0
		.amdhsa_kernarg_size 136
		.amdhsa_user_sgpr_count 2
		.amdhsa_user_sgpr_dispatch_ptr 0
		.amdhsa_user_sgpr_queue_ptr 0
		.amdhsa_user_sgpr_kernarg_segment_ptr 1
		.amdhsa_user_sgpr_dispatch_id 0
		.amdhsa_user_sgpr_private_segment_size 0
		.amdhsa_wavefront_size32 1
		.amdhsa_uses_dynamic_stack 0
		.amdhsa_enable_private_segment 0
		.amdhsa_system_sgpr_workgroup_id_x 1
		.amdhsa_system_sgpr_workgroup_id_y 0
		.amdhsa_system_sgpr_workgroup_id_z 0
		.amdhsa_system_sgpr_workgroup_info 0
		.amdhsa_system_vgpr_workitem_id 0
		.amdhsa_next_free_vgpr 1
		.amdhsa_next_free_sgpr 1
		.amdhsa_reserve_vcc 0
		.amdhsa_float_round_mode_32 0
		.amdhsa_float_round_mode_16_64 0
		.amdhsa_float_denorm_mode_32 3
		.amdhsa_float_denorm_mode_16_64 3
		.amdhsa_fp16_overflow 0
		.amdhsa_workgroup_processor_mode 1
		.amdhsa_memory_ordered 1
		.amdhsa_forward_progress 1
		.amdhsa_inst_pref_size 0
		.amdhsa_round_robin_scheduling 0
		.amdhsa_exception_fp_ieee_invalid_op 0
		.amdhsa_exception_fp_denorm_src 0
		.amdhsa_exception_fp_ieee_div_zero 0
		.amdhsa_exception_fp_ieee_overflow 0
		.amdhsa_exception_fp_ieee_underflow 0
		.amdhsa_exception_fp_ieee_inexact 0
		.amdhsa_exception_int_div_zero 0
	.end_amdhsa_kernel
	.section	.text._ZN7rocprim17ROCPRIM_400000_NS6detail17trampoline_kernelINS0_14default_configENS1_25partition_config_selectorILNS1_17partition_subalgoE5EyNS0_10empty_typeEbEEZZNS1_14partition_implILS5_5ELb0ES3_mN6thrust23THRUST_200600_302600_NS6detail15normal_iteratorINSA_10device_ptrIyEEEEPS6_NSA_18transform_iteratorINSB_9not_fun_tI7is_trueIyEEENSC_INSD_IbEEEENSA_11use_defaultESO_EENS0_5tupleIJSF_S6_EEENSQ_IJSG_SG_EEES6_PlJS6_EEE10hipError_tPvRmT3_T4_T5_T6_T7_T9_mT8_P12ihipStream_tbDpT10_ENKUlT_T0_E_clISt17integral_constantIbLb1EES1D_EEDaS18_S19_EUlS18_E_NS1_11comp_targetILNS1_3genE0ELNS1_11target_archE4294967295ELNS1_3gpuE0ELNS1_3repE0EEENS1_30default_config_static_selectorELNS0_4arch9wavefront6targetE0EEEvT1_,"axG",@progbits,_ZN7rocprim17ROCPRIM_400000_NS6detail17trampoline_kernelINS0_14default_configENS1_25partition_config_selectorILNS1_17partition_subalgoE5EyNS0_10empty_typeEbEEZZNS1_14partition_implILS5_5ELb0ES3_mN6thrust23THRUST_200600_302600_NS6detail15normal_iteratorINSA_10device_ptrIyEEEEPS6_NSA_18transform_iteratorINSB_9not_fun_tI7is_trueIyEEENSC_INSD_IbEEEENSA_11use_defaultESO_EENS0_5tupleIJSF_S6_EEENSQ_IJSG_SG_EEES6_PlJS6_EEE10hipError_tPvRmT3_T4_T5_T6_T7_T9_mT8_P12ihipStream_tbDpT10_ENKUlT_T0_E_clISt17integral_constantIbLb1EES1D_EEDaS18_S19_EUlS18_E_NS1_11comp_targetILNS1_3genE0ELNS1_11target_archE4294967295ELNS1_3gpuE0ELNS1_3repE0EEENS1_30default_config_static_selectorELNS0_4arch9wavefront6targetE0EEEvT1_,comdat
.Lfunc_end2405:
	.size	_ZN7rocprim17ROCPRIM_400000_NS6detail17trampoline_kernelINS0_14default_configENS1_25partition_config_selectorILNS1_17partition_subalgoE5EyNS0_10empty_typeEbEEZZNS1_14partition_implILS5_5ELb0ES3_mN6thrust23THRUST_200600_302600_NS6detail15normal_iteratorINSA_10device_ptrIyEEEEPS6_NSA_18transform_iteratorINSB_9not_fun_tI7is_trueIyEEENSC_INSD_IbEEEENSA_11use_defaultESO_EENS0_5tupleIJSF_S6_EEENSQ_IJSG_SG_EEES6_PlJS6_EEE10hipError_tPvRmT3_T4_T5_T6_T7_T9_mT8_P12ihipStream_tbDpT10_ENKUlT_T0_E_clISt17integral_constantIbLb1EES1D_EEDaS18_S19_EUlS18_E_NS1_11comp_targetILNS1_3genE0ELNS1_11target_archE4294967295ELNS1_3gpuE0ELNS1_3repE0EEENS1_30default_config_static_selectorELNS0_4arch9wavefront6targetE0EEEvT1_, .Lfunc_end2405-_ZN7rocprim17ROCPRIM_400000_NS6detail17trampoline_kernelINS0_14default_configENS1_25partition_config_selectorILNS1_17partition_subalgoE5EyNS0_10empty_typeEbEEZZNS1_14partition_implILS5_5ELb0ES3_mN6thrust23THRUST_200600_302600_NS6detail15normal_iteratorINSA_10device_ptrIyEEEEPS6_NSA_18transform_iteratorINSB_9not_fun_tI7is_trueIyEEENSC_INSD_IbEEEENSA_11use_defaultESO_EENS0_5tupleIJSF_S6_EEENSQ_IJSG_SG_EEES6_PlJS6_EEE10hipError_tPvRmT3_T4_T5_T6_T7_T9_mT8_P12ihipStream_tbDpT10_ENKUlT_T0_E_clISt17integral_constantIbLb1EES1D_EEDaS18_S19_EUlS18_E_NS1_11comp_targetILNS1_3genE0ELNS1_11target_archE4294967295ELNS1_3gpuE0ELNS1_3repE0EEENS1_30default_config_static_selectorELNS0_4arch9wavefront6targetE0EEEvT1_
                                        ; -- End function
	.set _ZN7rocprim17ROCPRIM_400000_NS6detail17trampoline_kernelINS0_14default_configENS1_25partition_config_selectorILNS1_17partition_subalgoE5EyNS0_10empty_typeEbEEZZNS1_14partition_implILS5_5ELb0ES3_mN6thrust23THRUST_200600_302600_NS6detail15normal_iteratorINSA_10device_ptrIyEEEEPS6_NSA_18transform_iteratorINSB_9not_fun_tI7is_trueIyEEENSC_INSD_IbEEEENSA_11use_defaultESO_EENS0_5tupleIJSF_S6_EEENSQ_IJSG_SG_EEES6_PlJS6_EEE10hipError_tPvRmT3_T4_T5_T6_T7_T9_mT8_P12ihipStream_tbDpT10_ENKUlT_T0_E_clISt17integral_constantIbLb1EES1D_EEDaS18_S19_EUlS18_E_NS1_11comp_targetILNS1_3genE0ELNS1_11target_archE4294967295ELNS1_3gpuE0ELNS1_3repE0EEENS1_30default_config_static_selectorELNS0_4arch9wavefront6targetE0EEEvT1_.num_vgpr, 0
	.set _ZN7rocprim17ROCPRIM_400000_NS6detail17trampoline_kernelINS0_14default_configENS1_25partition_config_selectorILNS1_17partition_subalgoE5EyNS0_10empty_typeEbEEZZNS1_14partition_implILS5_5ELb0ES3_mN6thrust23THRUST_200600_302600_NS6detail15normal_iteratorINSA_10device_ptrIyEEEEPS6_NSA_18transform_iteratorINSB_9not_fun_tI7is_trueIyEEENSC_INSD_IbEEEENSA_11use_defaultESO_EENS0_5tupleIJSF_S6_EEENSQ_IJSG_SG_EEES6_PlJS6_EEE10hipError_tPvRmT3_T4_T5_T6_T7_T9_mT8_P12ihipStream_tbDpT10_ENKUlT_T0_E_clISt17integral_constantIbLb1EES1D_EEDaS18_S19_EUlS18_E_NS1_11comp_targetILNS1_3genE0ELNS1_11target_archE4294967295ELNS1_3gpuE0ELNS1_3repE0EEENS1_30default_config_static_selectorELNS0_4arch9wavefront6targetE0EEEvT1_.num_agpr, 0
	.set _ZN7rocprim17ROCPRIM_400000_NS6detail17trampoline_kernelINS0_14default_configENS1_25partition_config_selectorILNS1_17partition_subalgoE5EyNS0_10empty_typeEbEEZZNS1_14partition_implILS5_5ELb0ES3_mN6thrust23THRUST_200600_302600_NS6detail15normal_iteratorINSA_10device_ptrIyEEEEPS6_NSA_18transform_iteratorINSB_9not_fun_tI7is_trueIyEEENSC_INSD_IbEEEENSA_11use_defaultESO_EENS0_5tupleIJSF_S6_EEENSQ_IJSG_SG_EEES6_PlJS6_EEE10hipError_tPvRmT3_T4_T5_T6_T7_T9_mT8_P12ihipStream_tbDpT10_ENKUlT_T0_E_clISt17integral_constantIbLb1EES1D_EEDaS18_S19_EUlS18_E_NS1_11comp_targetILNS1_3genE0ELNS1_11target_archE4294967295ELNS1_3gpuE0ELNS1_3repE0EEENS1_30default_config_static_selectorELNS0_4arch9wavefront6targetE0EEEvT1_.numbered_sgpr, 0
	.set _ZN7rocprim17ROCPRIM_400000_NS6detail17trampoline_kernelINS0_14default_configENS1_25partition_config_selectorILNS1_17partition_subalgoE5EyNS0_10empty_typeEbEEZZNS1_14partition_implILS5_5ELb0ES3_mN6thrust23THRUST_200600_302600_NS6detail15normal_iteratorINSA_10device_ptrIyEEEEPS6_NSA_18transform_iteratorINSB_9not_fun_tI7is_trueIyEEENSC_INSD_IbEEEENSA_11use_defaultESO_EENS0_5tupleIJSF_S6_EEENSQ_IJSG_SG_EEES6_PlJS6_EEE10hipError_tPvRmT3_T4_T5_T6_T7_T9_mT8_P12ihipStream_tbDpT10_ENKUlT_T0_E_clISt17integral_constantIbLb1EES1D_EEDaS18_S19_EUlS18_E_NS1_11comp_targetILNS1_3genE0ELNS1_11target_archE4294967295ELNS1_3gpuE0ELNS1_3repE0EEENS1_30default_config_static_selectorELNS0_4arch9wavefront6targetE0EEEvT1_.num_named_barrier, 0
	.set _ZN7rocprim17ROCPRIM_400000_NS6detail17trampoline_kernelINS0_14default_configENS1_25partition_config_selectorILNS1_17partition_subalgoE5EyNS0_10empty_typeEbEEZZNS1_14partition_implILS5_5ELb0ES3_mN6thrust23THRUST_200600_302600_NS6detail15normal_iteratorINSA_10device_ptrIyEEEEPS6_NSA_18transform_iteratorINSB_9not_fun_tI7is_trueIyEEENSC_INSD_IbEEEENSA_11use_defaultESO_EENS0_5tupleIJSF_S6_EEENSQ_IJSG_SG_EEES6_PlJS6_EEE10hipError_tPvRmT3_T4_T5_T6_T7_T9_mT8_P12ihipStream_tbDpT10_ENKUlT_T0_E_clISt17integral_constantIbLb1EES1D_EEDaS18_S19_EUlS18_E_NS1_11comp_targetILNS1_3genE0ELNS1_11target_archE4294967295ELNS1_3gpuE0ELNS1_3repE0EEENS1_30default_config_static_selectorELNS0_4arch9wavefront6targetE0EEEvT1_.private_seg_size, 0
	.set _ZN7rocprim17ROCPRIM_400000_NS6detail17trampoline_kernelINS0_14default_configENS1_25partition_config_selectorILNS1_17partition_subalgoE5EyNS0_10empty_typeEbEEZZNS1_14partition_implILS5_5ELb0ES3_mN6thrust23THRUST_200600_302600_NS6detail15normal_iteratorINSA_10device_ptrIyEEEEPS6_NSA_18transform_iteratorINSB_9not_fun_tI7is_trueIyEEENSC_INSD_IbEEEENSA_11use_defaultESO_EENS0_5tupleIJSF_S6_EEENSQ_IJSG_SG_EEES6_PlJS6_EEE10hipError_tPvRmT3_T4_T5_T6_T7_T9_mT8_P12ihipStream_tbDpT10_ENKUlT_T0_E_clISt17integral_constantIbLb1EES1D_EEDaS18_S19_EUlS18_E_NS1_11comp_targetILNS1_3genE0ELNS1_11target_archE4294967295ELNS1_3gpuE0ELNS1_3repE0EEENS1_30default_config_static_selectorELNS0_4arch9wavefront6targetE0EEEvT1_.uses_vcc, 0
	.set _ZN7rocprim17ROCPRIM_400000_NS6detail17trampoline_kernelINS0_14default_configENS1_25partition_config_selectorILNS1_17partition_subalgoE5EyNS0_10empty_typeEbEEZZNS1_14partition_implILS5_5ELb0ES3_mN6thrust23THRUST_200600_302600_NS6detail15normal_iteratorINSA_10device_ptrIyEEEEPS6_NSA_18transform_iteratorINSB_9not_fun_tI7is_trueIyEEENSC_INSD_IbEEEENSA_11use_defaultESO_EENS0_5tupleIJSF_S6_EEENSQ_IJSG_SG_EEES6_PlJS6_EEE10hipError_tPvRmT3_T4_T5_T6_T7_T9_mT8_P12ihipStream_tbDpT10_ENKUlT_T0_E_clISt17integral_constantIbLb1EES1D_EEDaS18_S19_EUlS18_E_NS1_11comp_targetILNS1_3genE0ELNS1_11target_archE4294967295ELNS1_3gpuE0ELNS1_3repE0EEENS1_30default_config_static_selectorELNS0_4arch9wavefront6targetE0EEEvT1_.uses_flat_scratch, 0
	.set _ZN7rocprim17ROCPRIM_400000_NS6detail17trampoline_kernelINS0_14default_configENS1_25partition_config_selectorILNS1_17partition_subalgoE5EyNS0_10empty_typeEbEEZZNS1_14partition_implILS5_5ELb0ES3_mN6thrust23THRUST_200600_302600_NS6detail15normal_iteratorINSA_10device_ptrIyEEEEPS6_NSA_18transform_iteratorINSB_9not_fun_tI7is_trueIyEEENSC_INSD_IbEEEENSA_11use_defaultESO_EENS0_5tupleIJSF_S6_EEENSQ_IJSG_SG_EEES6_PlJS6_EEE10hipError_tPvRmT3_T4_T5_T6_T7_T9_mT8_P12ihipStream_tbDpT10_ENKUlT_T0_E_clISt17integral_constantIbLb1EES1D_EEDaS18_S19_EUlS18_E_NS1_11comp_targetILNS1_3genE0ELNS1_11target_archE4294967295ELNS1_3gpuE0ELNS1_3repE0EEENS1_30default_config_static_selectorELNS0_4arch9wavefront6targetE0EEEvT1_.has_dyn_sized_stack, 0
	.set _ZN7rocprim17ROCPRIM_400000_NS6detail17trampoline_kernelINS0_14default_configENS1_25partition_config_selectorILNS1_17partition_subalgoE5EyNS0_10empty_typeEbEEZZNS1_14partition_implILS5_5ELb0ES3_mN6thrust23THRUST_200600_302600_NS6detail15normal_iteratorINSA_10device_ptrIyEEEEPS6_NSA_18transform_iteratorINSB_9not_fun_tI7is_trueIyEEENSC_INSD_IbEEEENSA_11use_defaultESO_EENS0_5tupleIJSF_S6_EEENSQ_IJSG_SG_EEES6_PlJS6_EEE10hipError_tPvRmT3_T4_T5_T6_T7_T9_mT8_P12ihipStream_tbDpT10_ENKUlT_T0_E_clISt17integral_constantIbLb1EES1D_EEDaS18_S19_EUlS18_E_NS1_11comp_targetILNS1_3genE0ELNS1_11target_archE4294967295ELNS1_3gpuE0ELNS1_3repE0EEENS1_30default_config_static_selectorELNS0_4arch9wavefront6targetE0EEEvT1_.has_recursion, 0
	.set _ZN7rocprim17ROCPRIM_400000_NS6detail17trampoline_kernelINS0_14default_configENS1_25partition_config_selectorILNS1_17partition_subalgoE5EyNS0_10empty_typeEbEEZZNS1_14partition_implILS5_5ELb0ES3_mN6thrust23THRUST_200600_302600_NS6detail15normal_iteratorINSA_10device_ptrIyEEEEPS6_NSA_18transform_iteratorINSB_9not_fun_tI7is_trueIyEEENSC_INSD_IbEEEENSA_11use_defaultESO_EENS0_5tupleIJSF_S6_EEENSQ_IJSG_SG_EEES6_PlJS6_EEE10hipError_tPvRmT3_T4_T5_T6_T7_T9_mT8_P12ihipStream_tbDpT10_ENKUlT_T0_E_clISt17integral_constantIbLb1EES1D_EEDaS18_S19_EUlS18_E_NS1_11comp_targetILNS1_3genE0ELNS1_11target_archE4294967295ELNS1_3gpuE0ELNS1_3repE0EEENS1_30default_config_static_selectorELNS0_4arch9wavefront6targetE0EEEvT1_.has_indirect_call, 0
	.section	.AMDGPU.csdata,"",@progbits
; Kernel info:
; codeLenInByte = 0
; TotalNumSgprs: 0
; NumVgprs: 0
; ScratchSize: 0
; MemoryBound: 0
; FloatMode: 240
; IeeeMode: 1
; LDSByteSize: 0 bytes/workgroup (compile time only)
; SGPRBlocks: 0
; VGPRBlocks: 0
; NumSGPRsForWavesPerEU: 1
; NumVGPRsForWavesPerEU: 1
; Occupancy: 16
; WaveLimiterHint : 0
; COMPUTE_PGM_RSRC2:SCRATCH_EN: 0
; COMPUTE_PGM_RSRC2:USER_SGPR: 2
; COMPUTE_PGM_RSRC2:TRAP_HANDLER: 0
; COMPUTE_PGM_RSRC2:TGID_X_EN: 1
; COMPUTE_PGM_RSRC2:TGID_Y_EN: 0
; COMPUTE_PGM_RSRC2:TGID_Z_EN: 0
; COMPUTE_PGM_RSRC2:TIDIG_COMP_CNT: 0
	.section	.text._ZN7rocprim17ROCPRIM_400000_NS6detail17trampoline_kernelINS0_14default_configENS1_25partition_config_selectorILNS1_17partition_subalgoE5EyNS0_10empty_typeEbEEZZNS1_14partition_implILS5_5ELb0ES3_mN6thrust23THRUST_200600_302600_NS6detail15normal_iteratorINSA_10device_ptrIyEEEEPS6_NSA_18transform_iteratorINSB_9not_fun_tI7is_trueIyEEENSC_INSD_IbEEEENSA_11use_defaultESO_EENS0_5tupleIJSF_S6_EEENSQ_IJSG_SG_EEES6_PlJS6_EEE10hipError_tPvRmT3_T4_T5_T6_T7_T9_mT8_P12ihipStream_tbDpT10_ENKUlT_T0_E_clISt17integral_constantIbLb1EES1D_EEDaS18_S19_EUlS18_E_NS1_11comp_targetILNS1_3genE5ELNS1_11target_archE942ELNS1_3gpuE9ELNS1_3repE0EEENS1_30default_config_static_selectorELNS0_4arch9wavefront6targetE0EEEvT1_,"axG",@progbits,_ZN7rocprim17ROCPRIM_400000_NS6detail17trampoline_kernelINS0_14default_configENS1_25partition_config_selectorILNS1_17partition_subalgoE5EyNS0_10empty_typeEbEEZZNS1_14partition_implILS5_5ELb0ES3_mN6thrust23THRUST_200600_302600_NS6detail15normal_iteratorINSA_10device_ptrIyEEEEPS6_NSA_18transform_iteratorINSB_9not_fun_tI7is_trueIyEEENSC_INSD_IbEEEENSA_11use_defaultESO_EENS0_5tupleIJSF_S6_EEENSQ_IJSG_SG_EEES6_PlJS6_EEE10hipError_tPvRmT3_T4_T5_T6_T7_T9_mT8_P12ihipStream_tbDpT10_ENKUlT_T0_E_clISt17integral_constantIbLb1EES1D_EEDaS18_S19_EUlS18_E_NS1_11comp_targetILNS1_3genE5ELNS1_11target_archE942ELNS1_3gpuE9ELNS1_3repE0EEENS1_30default_config_static_selectorELNS0_4arch9wavefront6targetE0EEEvT1_,comdat
	.protected	_ZN7rocprim17ROCPRIM_400000_NS6detail17trampoline_kernelINS0_14default_configENS1_25partition_config_selectorILNS1_17partition_subalgoE5EyNS0_10empty_typeEbEEZZNS1_14partition_implILS5_5ELb0ES3_mN6thrust23THRUST_200600_302600_NS6detail15normal_iteratorINSA_10device_ptrIyEEEEPS6_NSA_18transform_iteratorINSB_9not_fun_tI7is_trueIyEEENSC_INSD_IbEEEENSA_11use_defaultESO_EENS0_5tupleIJSF_S6_EEENSQ_IJSG_SG_EEES6_PlJS6_EEE10hipError_tPvRmT3_T4_T5_T6_T7_T9_mT8_P12ihipStream_tbDpT10_ENKUlT_T0_E_clISt17integral_constantIbLb1EES1D_EEDaS18_S19_EUlS18_E_NS1_11comp_targetILNS1_3genE5ELNS1_11target_archE942ELNS1_3gpuE9ELNS1_3repE0EEENS1_30default_config_static_selectorELNS0_4arch9wavefront6targetE0EEEvT1_ ; -- Begin function _ZN7rocprim17ROCPRIM_400000_NS6detail17trampoline_kernelINS0_14default_configENS1_25partition_config_selectorILNS1_17partition_subalgoE5EyNS0_10empty_typeEbEEZZNS1_14partition_implILS5_5ELb0ES3_mN6thrust23THRUST_200600_302600_NS6detail15normal_iteratorINSA_10device_ptrIyEEEEPS6_NSA_18transform_iteratorINSB_9not_fun_tI7is_trueIyEEENSC_INSD_IbEEEENSA_11use_defaultESO_EENS0_5tupleIJSF_S6_EEENSQ_IJSG_SG_EEES6_PlJS6_EEE10hipError_tPvRmT3_T4_T5_T6_T7_T9_mT8_P12ihipStream_tbDpT10_ENKUlT_T0_E_clISt17integral_constantIbLb1EES1D_EEDaS18_S19_EUlS18_E_NS1_11comp_targetILNS1_3genE5ELNS1_11target_archE942ELNS1_3gpuE9ELNS1_3repE0EEENS1_30default_config_static_selectorELNS0_4arch9wavefront6targetE0EEEvT1_
	.globl	_ZN7rocprim17ROCPRIM_400000_NS6detail17trampoline_kernelINS0_14default_configENS1_25partition_config_selectorILNS1_17partition_subalgoE5EyNS0_10empty_typeEbEEZZNS1_14partition_implILS5_5ELb0ES3_mN6thrust23THRUST_200600_302600_NS6detail15normal_iteratorINSA_10device_ptrIyEEEEPS6_NSA_18transform_iteratorINSB_9not_fun_tI7is_trueIyEEENSC_INSD_IbEEEENSA_11use_defaultESO_EENS0_5tupleIJSF_S6_EEENSQ_IJSG_SG_EEES6_PlJS6_EEE10hipError_tPvRmT3_T4_T5_T6_T7_T9_mT8_P12ihipStream_tbDpT10_ENKUlT_T0_E_clISt17integral_constantIbLb1EES1D_EEDaS18_S19_EUlS18_E_NS1_11comp_targetILNS1_3genE5ELNS1_11target_archE942ELNS1_3gpuE9ELNS1_3repE0EEENS1_30default_config_static_selectorELNS0_4arch9wavefront6targetE0EEEvT1_
	.p2align	8
	.type	_ZN7rocprim17ROCPRIM_400000_NS6detail17trampoline_kernelINS0_14default_configENS1_25partition_config_selectorILNS1_17partition_subalgoE5EyNS0_10empty_typeEbEEZZNS1_14partition_implILS5_5ELb0ES3_mN6thrust23THRUST_200600_302600_NS6detail15normal_iteratorINSA_10device_ptrIyEEEEPS6_NSA_18transform_iteratorINSB_9not_fun_tI7is_trueIyEEENSC_INSD_IbEEEENSA_11use_defaultESO_EENS0_5tupleIJSF_S6_EEENSQ_IJSG_SG_EEES6_PlJS6_EEE10hipError_tPvRmT3_T4_T5_T6_T7_T9_mT8_P12ihipStream_tbDpT10_ENKUlT_T0_E_clISt17integral_constantIbLb1EES1D_EEDaS18_S19_EUlS18_E_NS1_11comp_targetILNS1_3genE5ELNS1_11target_archE942ELNS1_3gpuE9ELNS1_3repE0EEENS1_30default_config_static_selectorELNS0_4arch9wavefront6targetE0EEEvT1_,@function
_ZN7rocprim17ROCPRIM_400000_NS6detail17trampoline_kernelINS0_14default_configENS1_25partition_config_selectorILNS1_17partition_subalgoE5EyNS0_10empty_typeEbEEZZNS1_14partition_implILS5_5ELb0ES3_mN6thrust23THRUST_200600_302600_NS6detail15normal_iteratorINSA_10device_ptrIyEEEEPS6_NSA_18transform_iteratorINSB_9not_fun_tI7is_trueIyEEENSC_INSD_IbEEEENSA_11use_defaultESO_EENS0_5tupleIJSF_S6_EEENSQ_IJSG_SG_EEES6_PlJS6_EEE10hipError_tPvRmT3_T4_T5_T6_T7_T9_mT8_P12ihipStream_tbDpT10_ENKUlT_T0_E_clISt17integral_constantIbLb1EES1D_EEDaS18_S19_EUlS18_E_NS1_11comp_targetILNS1_3genE5ELNS1_11target_archE942ELNS1_3gpuE9ELNS1_3repE0EEENS1_30default_config_static_selectorELNS0_4arch9wavefront6targetE0EEEvT1_: ; @_ZN7rocprim17ROCPRIM_400000_NS6detail17trampoline_kernelINS0_14default_configENS1_25partition_config_selectorILNS1_17partition_subalgoE5EyNS0_10empty_typeEbEEZZNS1_14partition_implILS5_5ELb0ES3_mN6thrust23THRUST_200600_302600_NS6detail15normal_iteratorINSA_10device_ptrIyEEEEPS6_NSA_18transform_iteratorINSB_9not_fun_tI7is_trueIyEEENSC_INSD_IbEEEENSA_11use_defaultESO_EENS0_5tupleIJSF_S6_EEENSQ_IJSG_SG_EEES6_PlJS6_EEE10hipError_tPvRmT3_T4_T5_T6_T7_T9_mT8_P12ihipStream_tbDpT10_ENKUlT_T0_E_clISt17integral_constantIbLb1EES1D_EEDaS18_S19_EUlS18_E_NS1_11comp_targetILNS1_3genE5ELNS1_11target_archE942ELNS1_3gpuE9ELNS1_3repE0EEENS1_30default_config_static_selectorELNS0_4arch9wavefront6targetE0EEEvT1_
; %bb.0:
	.section	.rodata,"a",@progbits
	.p2align	6, 0x0
	.amdhsa_kernel _ZN7rocprim17ROCPRIM_400000_NS6detail17trampoline_kernelINS0_14default_configENS1_25partition_config_selectorILNS1_17partition_subalgoE5EyNS0_10empty_typeEbEEZZNS1_14partition_implILS5_5ELb0ES3_mN6thrust23THRUST_200600_302600_NS6detail15normal_iteratorINSA_10device_ptrIyEEEEPS6_NSA_18transform_iteratorINSB_9not_fun_tI7is_trueIyEEENSC_INSD_IbEEEENSA_11use_defaultESO_EENS0_5tupleIJSF_S6_EEENSQ_IJSG_SG_EEES6_PlJS6_EEE10hipError_tPvRmT3_T4_T5_T6_T7_T9_mT8_P12ihipStream_tbDpT10_ENKUlT_T0_E_clISt17integral_constantIbLb1EES1D_EEDaS18_S19_EUlS18_E_NS1_11comp_targetILNS1_3genE5ELNS1_11target_archE942ELNS1_3gpuE9ELNS1_3repE0EEENS1_30default_config_static_selectorELNS0_4arch9wavefront6targetE0EEEvT1_
		.amdhsa_group_segment_fixed_size 0
		.amdhsa_private_segment_fixed_size 0
		.amdhsa_kernarg_size 136
		.amdhsa_user_sgpr_count 2
		.amdhsa_user_sgpr_dispatch_ptr 0
		.amdhsa_user_sgpr_queue_ptr 0
		.amdhsa_user_sgpr_kernarg_segment_ptr 1
		.amdhsa_user_sgpr_dispatch_id 0
		.amdhsa_user_sgpr_private_segment_size 0
		.amdhsa_wavefront_size32 1
		.amdhsa_uses_dynamic_stack 0
		.amdhsa_enable_private_segment 0
		.amdhsa_system_sgpr_workgroup_id_x 1
		.amdhsa_system_sgpr_workgroup_id_y 0
		.amdhsa_system_sgpr_workgroup_id_z 0
		.amdhsa_system_sgpr_workgroup_info 0
		.amdhsa_system_vgpr_workitem_id 0
		.amdhsa_next_free_vgpr 1
		.amdhsa_next_free_sgpr 1
		.amdhsa_reserve_vcc 0
		.amdhsa_float_round_mode_32 0
		.amdhsa_float_round_mode_16_64 0
		.amdhsa_float_denorm_mode_32 3
		.amdhsa_float_denorm_mode_16_64 3
		.amdhsa_fp16_overflow 0
		.amdhsa_workgroup_processor_mode 1
		.amdhsa_memory_ordered 1
		.amdhsa_forward_progress 1
		.amdhsa_inst_pref_size 0
		.amdhsa_round_robin_scheduling 0
		.amdhsa_exception_fp_ieee_invalid_op 0
		.amdhsa_exception_fp_denorm_src 0
		.amdhsa_exception_fp_ieee_div_zero 0
		.amdhsa_exception_fp_ieee_overflow 0
		.amdhsa_exception_fp_ieee_underflow 0
		.amdhsa_exception_fp_ieee_inexact 0
		.amdhsa_exception_int_div_zero 0
	.end_amdhsa_kernel
	.section	.text._ZN7rocprim17ROCPRIM_400000_NS6detail17trampoline_kernelINS0_14default_configENS1_25partition_config_selectorILNS1_17partition_subalgoE5EyNS0_10empty_typeEbEEZZNS1_14partition_implILS5_5ELb0ES3_mN6thrust23THRUST_200600_302600_NS6detail15normal_iteratorINSA_10device_ptrIyEEEEPS6_NSA_18transform_iteratorINSB_9not_fun_tI7is_trueIyEEENSC_INSD_IbEEEENSA_11use_defaultESO_EENS0_5tupleIJSF_S6_EEENSQ_IJSG_SG_EEES6_PlJS6_EEE10hipError_tPvRmT3_T4_T5_T6_T7_T9_mT8_P12ihipStream_tbDpT10_ENKUlT_T0_E_clISt17integral_constantIbLb1EES1D_EEDaS18_S19_EUlS18_E_NS1_11comp_targetILNS1_3genE5ELNS1_11target_archE942ELNS1_3gpuE9ELNS1_3repE0EEENS1_30default_config_static_selectorELNS0_4arch9wavefront6targetE0EEEvT1_,"axG",@progbits,_ZN7rocprim17ROCPRIM_400000_NS6detail17trampoline_kernelINS0_14default_configENS1_25partition_config_selectorILNS1_17partition_subalgoE5EyNS0_10empty_typeEbEEZZNS1_14partition_implILS5_5ELb0ES3_mN6thrust23THRUST_200600_302600_NS6detail15normal_iteratorINSA_10device_ptrIyEEEEPS6_NSA_18transform_iteratorINSB_9not_fun_tI7is_trueIyEEENSC_INSD_IbEEEENSA_11use_defaultESO_EENS0_5tupleIJSF_S6_EEENSQ_IJSG_SG_EEES6_PlJS6_EEE10hipError_tPvRmT3_T4_T5_T6_T7_T9_mT8_P12ihipStream_tbDpT10_ENKUlT_T0_E_clISt17integral_constantIbLb1EES1D_EEDaS18_S19_EUlS18_E_NS1_11comp_targetILNS1_3genE5ELNS1_11target_archE942ELNS1_3gpuE9ELNS1_3repE0EEENS1_30default_config_static_selectorELNS0_4arch9wavefront6targetE0EEEvT1_,comdat
.Lfunc_end2406:
	.size	_ZN7rocprim17ROCPRIM_400000_NS6detail17trampoline_kernelINS0_14default_configENS1_25partition_config_selectorILNS1_17partition_subalgoE5EyNS0_10empty_typeEbEEZZNS1_14partition_implILS5_5ELb0ES3_mN6thrust23THRUST_200600_302600_NS6detail15normal_iteratorINSA_10device_ptrIyEEEEPS6_NSA_18transform_iteratorINSB_9not_fun_tI7is_trueIyEEENSC_INSD_IbEEEENSA_11use_defaultESO_EENS0_5tupleIJSF_S6_EEENSQ_IJSG_SG_EEES6_PlJS6_EEE10hipError_tPvRmT3_T4_T5_T6_T7_T9_mT8_P12ihipStream_tbDpT10_ENKUlT_T0_E_clISt17integral_constantIbLb1EES1D_EEDaS18_S19_EUlS18_E_NS1_11comp_targetILNS1_3genE5ELNS1_11target_archE942ELNS1_3gpuE9ELNS1_3repE0EEENS1_30default_config_static_selectorELNS0_4arch9wavefront6targetE0EEEvT1_, .Lfunc_end2406-_ZN7rocprim17ROCPRIM_400000_NS6detail17trampoline_kernelINS0_14default_configENS1_25partition_config_selectorILNS1_17partition_subalgoE5EyNS0_10empty_typeEbEEZZNS1_14partition_implILS5_5ELb0ES3_mN6thrust23THRUST_200600_302600_NS6detail15normal_iteratorINSA_10device_ptrIyEEEEPS6_NSA_18transform_iteratorINSB_9not_fun_tI7is_trueIyEEENSC_INSD_IbEEEENSA_11use_defaultESO_EENS0_5tupleIJSF_S6_EEENSQ_IJSG_SG_EEES6_PlJS6_EEE10hipError_tPvRmT3_T4_T5_T6_T7_T9_mT8_P12ihipStream_tbDpT10_ENKUlT_T0_E_clISt17integral_constantIbLb1EES1D_EEDaS18_S19_EUlS18_E_NS1_11comp_targetILNS1_3genE5ELNS1_11target_archE942ELNS1_3gpuE9ELNS1_3repE0EEENS1_30default_config_static_selectorELNS0_4arch9wavefront6targetE0EEEvT1_
                                        ; -- End function
	.set _ZN7rocprim17ROCPRIM_400000_NS6detail17trampoline_kernelINS0_14default_configENS1_25partition_config_selectorILNS1_17partition_subalgoE5EyNS0_10empty_typeEbEEZZNS1_14partition_implILS5_5ELb0ES3_mN6thrust23THRUST_200600_302600_NS6detail15normal_iteratorINSA_10device_ptrIyEEEEPS6_NSA_18transform_iteratorINSB_9not_fun_tI7is_trueIyEEENSC_INSD_IbEEEENSA_11use_defaultESO_EENS0_5tupleIJSF_S6_EEENSQ_IJSG_SG_EEES6_PlJS6_EEE10hipError_tPvRmT3_T4_T5_T6_T7_T9_mT8_P12ihipStream_tbDpT10_ENKUlT_T0_E_clISt17integral_constantIbLb1EES1D_EEDaS18_S19_EUlS18_E_NS1_11comp_targetILNS1_3genE5ELNS1_11target_archE942ELNS1_3gpuE9ELNS1_3repE0EEENS1_30default_config_static_selectorELNS0_4arch9wavefront6targetE0EEEvT1_.num_vgpr, 0
	.set _ZN7rocprim17ROCPRIM_400000_NS6detail17trampoline_kernelINS0_14default_configENS1_25partition_config_selectorILNS1_17partition_subalgoE5EyNS0_10empty_typeEbEEZZNS1_14partition_implILS5_5ELb0ES3_mN6thrust23THRUST_200600_302600_NS6detail15normal_iteratorINSA_10device_ptrIyEEEEPS6_NSA_18transform_iteratorINSB_9not_fun_tI7is_trueIyEEENSC_INSD_IbEEEENSA_11use_defaultESO_EENS0_5tupleIJSF_S6_EEENSQ_IJSG_SG_EEES6_PlJS6_EEE10hipError_tPvRmT3_T4_T5_T6_T7_T9_mT8_P12ihipStream_tbDpT10_ENKUlT_T0_E_clISt17integral_constantIbLb1EES1D_EEDaS18_S19_EUlS18_E_NS1_11comp_targetILNS1_3genE5ELNS1_11target_archE942ELNS1_3gpuE9ELNS1_3repE0EEENS1_30default_config_static_selectorELNS0_4arch9wavefront6targetE0EEEvT1_.num_agpr, 0
	.set _ZN7rocprim17ROCPRIM_400000_NS6detail17trampoline_kernelINS0_14default_configENS1_25partition_config_selectorILNS1_17partition_subalgoE5EyNS0_10empty_typeEbEEZZNS1_14partition_implILS5_5ELb0ES3_mN6thrust23THRUST_200600_302600_NS6detail15normal_iteratorINSA_10device_ptrIyEEEEPS6_NSA_18transform_iteratorINSB_9not_fun_tI7is_trueIyEEENSC_INSD_IbEEEENSA_11use_defaultESO_EENS0_5tupleIJSF_S6_EEENSQ_IJSG_SG_EEES6_PlJS6_EEE10hipError_tPvRmT3_T4_T5_T6_T7_T9_mT8_P12ihipStream_tbDpT10_ENKUlT_T0_E_clISt17integral_constantIbLb1EES1D_EEDaS18_S19_EUlS18_E_NS1_11comp_targetILNS1_3genE5ELNS1_11target_archE942ELNS1_3gpuE9ELNS1_3repE0EEENS1_30default_config_static_selectorELNS0_4arch9wavefront6targetE0EEEvT1_.numbered_sgpr, 0
	.set _ZN7rocprim17ROCPRIM_400000_NS6detail17trampoline_kernelINS0_14default_configENS1_25partition_config_selectorILNS1_17partition_subalgoE5EyNS0_10empty_typeEbEEZZNS1_14partition_implILS5_5ELb0ES3_mN6thrust23THRUST_200600_302600_NS6detail15normal_iteratorINSA_10device_ptrIyEEEEPS6_NSA_18transform_iteratorINSB_9not_fun_tI7is_trueIyEEENSC_INSD_IbEEEENSA_11use_defaultESO_EENS0_5tupleIJSF_S6_EEENSQ_IJSG_SG_EEES6_PlJS6_EEE10hipError_tPvRmT3_T4_T5_T6_T7_T9_mT8_P12ihipStream_tbDpT10_ENKUlT_T0_E_clISt17integral_constantIbLb1EES1D_EEDaS18_S19_EUlS18_E_NS1_11comp_targetILNS1_3genE5ELNS1_11target_archE942ELNS1_3gpuE9ELNS1_3repE0EEENS1_30default_config_static_selectorELNS0_4arch9wavefront6targetE0EEEvT1_.num_named_barrier, 0
	.set _ZN7rocprim17ROCPRIM_400000_NS6detail17trampoline_kernelINS0_14default_configENS1_25partition_config_selectorILNS1_17partition_subalgoE5EyNS0_10empty_typeEbEEZZNS1_14partition_implILS5_5ELb0ES3_mN6thrust23THRUST_200600_302600_NS6detail15normal_iteratorINSA_10device_ptrIyEEEEPS6_NSA_18transform_iteratorINSB_9not_fun_tI7is_trueIyEEENSC_INSD_IbEEEENSA_11use_defaultESO_EENS0_5tupleIJSF_S6_EEENSQ_IJSG_SG_EEES6_PlJS6_EEE10hipError_tPvRmT3_T4_T5_T6_T7_T9_mT8_P12ihipStream_tbDpT10_ENKUlT_T0_E_clISt17integral_constantIbLb1EES1D_EEDaS18_S19_EUlS18_E_NS1_11comp_targetILNS1_3genE5ELNS1_11target_archE942ELNS1_3gpuE9ELNS1_3repE0EEENS1_30default_config_static_selectorELNS0_4arch9wavefront6targetE0EEEvT1_.private_seg_size, 0
	.set _ZN7rocprim17ROCPRIM_400000_NS6detail17trampoline_kernelINS0_14default_configENS1_25partition_config_selectorILNS1_17partition_subalgoE5EyNS0_10empty_typeEbEEZZNS1_14partition_implILS5_5ELb0ES3_mN6thrust23THRUST_200600_302600_NS6detail15normal_iteratorINSA_10device_ptrIyEEEEPS6_NSA_18transform_iteratorINSB_9not_fun_tI7is_trueIyEEENSC_INSD_IbEEEENSA_11use_defaultESO_EENS0_5tupleIJSF_S6_EEENSQ_IJSG_SG_EEES6_PlJS6_EEE10hipError_tPvRmT3_T4_T5_T6_T7_T9_mT8_P12ihipStream_tbDpT10_ENKUlT_T0_E_clISt17integral_constantIbLb1EES1D_EEDaS18_S19_EUlS18_E_NS1_11comp_targetILNS1_3genE5ELNS1_11target_archE942ELNS1_3gpuE9ELNS1_3repE0EEENS1_30default_config_static_selectorELNS0_4arch9wavefront6targetE0EEEvT1_.uses_vcc, 0
	.set _ZN7rocprim17ROCPRIM_400000_NS6detail17trampoline_kernelINS0_14default_configENS1_25partition_config_selectorILNS1_17partition_subalgoE5EyNS0_10empty_typeEbEEZZNS1_14partition_implILS5_5ELb0ES3_mN6thrust23THRUST_200600_302600_NS6detail15normal_iteratorINSA_10device_ptrIyEEEEPS6_NSA_18transform_iteratorINSB_9not_fun_tI7is_trueIyEEENSC_INSD_IbEEEENSA_11use_defaultESO_EENS0_5tupleIJSF_S6_EEENSQ_IJSG_SG_EEES6_PlJS6_EEE10hipError_tPvRmT3_T4_T5_T6_T7_T9_mT8_P12ihipStream_tbDpT10_ENKUlT_T0_E_clISt17integral_constantIbLb1EES1D_EEDaS18_S19_EUlS18_E_NS1_11comp_targetILNS1_3genE5ELNS1_11target_archE942ELNS1_3gpuE9ELNS1_3repE0EEENS1_30default_config_static_selectorELNS0_4arch9wavefront6targetE0EEEvT1_.uses_flat_scratch, 0
	.set _ZN7rocprim17ROCPRIM_400000_NS6detail17trampoline_kernelINS0_14default_configENS1_25partition_config_selectorILNS1_17partition_subalgoE5EyNS0_10empty_typeEbEEZZNS1_14partition_implILS5_5ELb0ES3_mN6thrust23THRUST_200600_302600_NS6detail15normal_iteratorINSA_10device_ptrIyEEEEPS6_NSA_18transform_iteratorINSB_9not_fun_tI7is_trueIyEEENSC_INSD_IbEEEENSA_11use_defaultESO_EENS0_5tupleIJSF_S6_EEENSQ_IJSG_SG_EEES6_PlJS6_EEE10hipError_tPvRmT3_T4_T5_T6_T7_T9_mT8_P12ihipStream_tbDpT10_ENKUlT_T0_E_clISt17integral_constantIbLb1EES1D_EEDaS18_S19_EUlS18_E_NS1_11comp_targetILNS1_3genE5ELNS1_11target_archE942ELNS1_3gpuE9ELNS1_3repE0EEENS1_30default_config_static_selectorELNS0_4arch9wavefront6targetE0EEEvT1_.has_dyn_sized_stack, 0
	.set _ZN7rocprim17ROCPRIM_400000_NS6detail17trampoline_kernelINS0_14default_configENS1_25partition_config_selectorILNS1_17partition_subalgoE5EyNS0_10empty_typeEbEEZZNS1_14partition_implILS5_5ELb0ES3_mN6thrust23THRUST_200600_302600_NS6detail15normal_iteratorINSA_10device_ptrIyEEEEPS6_NSA_18transform_iteratorINSB_9not_fun_tI7is_trueIyEEENSC_INSD_IbEEEENSA_11use_defaultESO_EENS0_5tupleIJSF_S6_EEENSQ_IJSG_SG_EEES6_PlJS6_EEE10hipError_tPvRmT3_T4_T5_T6_T7_T9_mT8_P12ihipStream_tbDpT10_ENKUlT_T0_E_clISt17integral_constantIbLb1EES1D_EEDaS18_S19_EUlS18_E_NS1_11comp_targetILNS1_3genE5ELNS1_11target_archE942ELNS1_3gpuE9ELNS1_3repE0EEENS1_30default_config_static_selectorELNS0_4arch9wavefront6targetE0EEEvT1_.has_recursion, 0
	.set _ZN7rocprim17ROCPRIM_400000_NS6detail17trampoline_kernelINS0_14default_configENS1_25partition_config_selectorILNS1_17partition_subalgoE5EyNS0_10empty_typeEbEEZZNS1_14partition_implILS5_5ELb0ES3_mN6thrust23THRUST_200600_302600_NS6detail15normal_iteratorINSA_10device_ptrIyEEEEPS6_NSA_18transform_iteratorINSB_9not_fun_tI7is_trueIyEEENSC_INSD_IbEEEENSA_11use_defaultESO_EENS0_5tupleIJSF_S6_EEENSQ_IJSG_SG_EEES6_PlJS6_EEE10hipError_tPvRmT3_T4_T5_T6_T7_T9_mT8_P12ihipStream_tbDpT10_ENKUlT_T0_E_clISt17integral_constantIbLb1EES1D_EEDaS18_S19_EUlS18_E_NS1_11comp_targetILNS1_3genE5ELNS1_11target_archE942ELNS1_3gpuE9ELNS1_3repE0EEENS1_30default_config_static_selectorELNS0_4arch9wavefront6targetE0EEEvT1_.has_indirect_call, 0
	.section	.AMDGPU.csdata,"",@progbits
; Kernel info:
; codeLenInByte = 0
; TotalNumSgprs: 0
; NumVgprs: 0
; ScratchSize: 0
; MemoryBound: 0
; FloatMode: 240
; IeeeMode: 1
; LDSByteSize: 0 bytes/workgroup (compile time only)
; SGPRBlocks: 0
; VGPRBlocks: 0
; NumSGPRsForWavesPerEU: 1
; NumVGPRsForWavesPerEU: 1
; Occupancy: 16
; WaveLimiterHint : 0
; COMPUTE_PGM_RSRC2:SCRATCH_EN: 0
; COMPUTE_PGM_RSRC2:USER_SGPR: 2
; COMPUTE_PGM_RSRC2:TRAP_HANDLER: 0
; COMPUTE_PGM_RSRC2:TGID_X_EN: 1
; COMPUTE_PGM_RSRC2:TGID_Y_EN: 0
; COMPUTE_PGM_RSRC2:TGID_Z_EN: 0
; COMPUTE_PGM_RSRC2:TIDIG_COMP_CNT: 0
	.section	.text._ZN7rocprim17ROCPRIM_400000_NS6detail17trampoline_kernelINS0_14default_configENS1_25partition_config_selectorILNS1_17partition_subalgoE5EyNS0_10empty_typeEbEEZZNS1_14partition_implILS5_5ELb0ES3_mN6thrust23THRUST_200600_302600_NS6detail15normal_iteratorINSA_10device_ptrIyEEEEPS6_NSA_18transform_iteratorINSB_9not_fun_tI7is_trueIyEEENSC_INSD_IbEEEENSA_11use_defaultESO_EENS0_5tupleIJSF_S6_EEENSQ_IJSG_SG_EEES6_PlJS6_EEE10hipError_tPvRmT3_T4_T5_T6_T7_T9_mT8_P12ihipStream_tbDpT10_ENKUlT_T0_E_clISt17integral_constantIbLb1EES1D_EEDaS18_S19_EUlS18_E_NS1_11comp_targetILNS1_3genE4ELNS1_11target_archE910ELNS1_3gpuE8ELNS1_3repE0EEENS1_30default_config_static_selectorELNS0_4arch9wavefront6targetE0EEEvT1_,"axG",@progbits,_ZN7rocprim17ROCPRIM_400000_NS6detail17trampoline_kernelINS0_14default_configENS1_25partition_config_selectorILNS1_17partition_subalgoE5EyNS0_10empty_typeEbEEZZNS1_14partition_implILS5_5ELb0ES3_mN6thrust23THRUST_200600_302600_NS6detail15normal_iteratorINSA_10device_ptrIyEEEEPS6_NSA_18transform_iteratorINSB_9not_fun_tI7is_trueIyEEENSC_INSD_IbEEEENSA_11use_defaultESO_EENS0_5tupleIJSF_S6_EEENSQ_IJSG_SG_EEES6_PlJS6_EEE10hipError_tPvRmT3_T4_T5_T6_T7_T9_mT8_P12ihipStream_tbDpT10_ENKUlT_T0_E_clISt17integral_constantIbLb1EES1D_EEDaS18_S19_EUlS18_E_NS1_11comp_targetILNS1_3genE4ELNS1_11target_archE910ELNS1_3gpuE8ELNS1_3repE0EEENS1_30default_config_static_selectorELNS0_4arch9wavefront6targetE0EEEvT1_,comdat
	.protected	_ZN7rocprim17ROCPRIM_400000_NS6detail17trampoline_kernelINS0_14default_configENS1_25partition_config_selectorILNS1_17partition_subalgoE5EyNS0_10empty_typeEbEEZZNS1_14partition_implILS5_5ELb0ES3_mN6thrust23THRUST_200600_302600_NS6detail15normal_iteratorINSA_10device_ptrIyEEEEPS6_NSA_18transform_iteratorINSB_9not_fun_tI7is_trueIyEEENSC_INSD_IbEEEENSA_11use_defaultESO_EENS0_5tupleIJSF_S6_EEENSQ_IJSG_SG_EEES6_PlJS6_EEE10hipError_tPvRmT3_T4_T5_T6_T7_T9_mT8_P12ihipStream_tbDpT10_ENKUlT_T0_E_clISt17integral_constantIbLb1EES1D_EEDaS18_S19_EUlS18_E_NS1_11comp_targetILNS1_3genE4ELNS1_11target_archE910ELNS1_3gpuE8ELNS1_3repE0EEENS1_30default_config_static_selectorELNS0_4arch9wavefront6targetE0EEEvT1_ ; -- Begin function _ZN7rocprim17ROCPRIM_400000_NS6detail17trampoline_kernelINS0_14default_configENS1_25partition_config_selectorILNS1_17partition_subalgoE5EyNS0_10empty_typeEbEEZZNS1_14partition_implILS5_5ELb0ES3_mN6thrust23THRUST_200600_302600_NS6detail15normal_iteratorINSA_10device_ptrIyEEEEPS6_NSA_18transform_iteratorINSB_9not_fun_tI7is_trueIyEEENSC_INSD_IbEEEENSA_11use_defaultESO_EENS0_5tupleIJSF_S6_EEENSQ_IJSG_SG_EEES6_PlJS6_EEE10hipError_tPvRmT3_T4_T5_T6_T7_T9_mT8_P12ihipStream_tbDpT10_ENKUlT_T0_E_clISt17integral_constantIbLb1EES1D_EEDaS18_S19_EUlS18_E_NS1_11comp_targetILNS1_3genE4ELNS1_11target_archE910ELNS1_3gpuE8ELNS1_3repE0EEENS1_30default_config_static_selectorELNS0_4arch9wavefront6targetE0EEEvT1_
	.globl	_ZN7rocprim17ROCPRIM_400000_NS6detail17trampoline_kernelINS0_14default_configENS1_25partition_config_selectorILNS1_17partition_subalgoE5EyNS0_10empty_typeEbEEZZNS1_14partition_implILS5_5ELb0ES3_mN6thrust23THRUST_200600_302600_NS6detail15normal_iteratorINSA_10device_ptrIyEEEEPS6_NSA_18transform_iteratorINSB_9not_fun_tI7is_trueIyEEENSC_INSD_IbEEEENSA_11use_defaultESO_EENS0_5tupleIJSF_S6_EEENSQ_IJSG_SG_EEES6_PlJS6_EEE10hipError_tPvRmT3_T4_T5_T6_T7_T9_mT8_P12ihipStream_tbDpT10_ENKUlT_T0_E_clISt17integral_constantIbLb1EES1D_EEDaS18_S19_EUlS18_E_NS1_11comp_targetILNS1_3genE4ELNS1_11target_archE910ELNS1_3gpuE8ELNS1_3repE0EEENS1_30default_config_static_selectorELNS0_4arch9wavefront6targetE0EEEvT1_
	.p2align	8
	.type	_ZN7rocprim17ROCPRIM_400000_NS6detail17trampoline_kernelINS0_14default_configENS1_25partition_config_selectorILNS1_17partition_subalgoE5EyNS0_10empty_typeEbEEZZNS1_14partition_implILS5_5ELb0ES3_mN6thrust23THRUST_200600_302600_NS6detail15normal_iteratorINSA_10device_ptrIyEEEEPS6_NSA_18transform_iteratorINSB_9not_fun_tI7is_trueIyEEENSC_INSD_IbEEEENSA_11use_defaultESO_EENS0_5tupleIJSF_S6_EEENSQ_IJSG_SG_EEES6_PlJS6_EEE10hipError_tPvRmT3_T4_T5_T6_T7_T9_mT8_P12ihipStream_tbDpT10_ENKUlT_T0_E_clISt17integral_constantIbLb1EES1D_EEDaS18_S19_EUlS18_E_NS1_11comp_targetILNS1_3genE4ELNS1_11target_archE910ELNS1_3gpuE8ELNS1_3repE0EEENS1_30default_config_static_selectorELNS0_4arch9wavefront6targetE0EEEvT1_,@function
_ZN7rocprim17ROCPRIM_400000_NS6detail17trampoline_kernelINS0_14default_configENS1_25partition_config_selectorILNS1_17partition_subalgoE5EyNS0_10empty_typeEbEEZZNS1_14partition_implILS5_5ELb0ES3_mN6thrust23THRUST_200600_302600_NS6detail15normal_iteratorINSA_10device_ptrIyEEEEPS6_NSA_18transform_iteratorINSB_9not_fun_tI7is_trueIyEEENSC_INSD_IbEEEENSA_11use_defaultESO_EENS0_5tupleIJSF_S6_EEENSQ_IJSG_SG_EEES6_PlJS6_EEE10hipError_tPvRmT3_T4_T5_T6_T7_T9_mT8_P12ihipStream_tbDpT10_ENKUlT_T0_E_clISt17integral_constantIbLb1EES1D_EEDaS18_S19_EUlS18_E_NS1_11comp_targetILNS1_3genE4ELNS1_11target_archE910ELNS1_3gpuE8ELNS1_3repE0EEENS1_30default_config_static_selectorELNS0_4arch9wavefront6targetE0EEEvT1_: ; @_ZN7rocprim17ROCPRIM_400000_NS6detail17trampoline_kernelINS0_14default_configENS1_25partition_config_selectorILNS1_17partition_subalgoE5EyNS0_10empty_typeEbEEZZNS1_14partition_implILS5_5ELb0ES3_mN6thrust23THRUST_200600_302600_NS6detail15normal_iteratorINSA_10device_ptrIyEEEEPS6_NSA_18transform_iteratorINSB_9not_fun_tI7is_trueIyEEENSC_INSD_IbEEEENSA_11use_defaultESO_EENS0_5tupleIJSF_S6_EEENSQ_IJSG_SG_EEES6_PlJS6_EEE10hipError_tPvRmT3_T4_T5_T6_T7_T9_mT8_P12ihipStream_tbDpT10_ENKUlT_T0_E_clISt17integral_constantIbLb1EES1D_EEDaS18_S19_EUlS18_E_NS1_11comp_targetILNS1_3genE4ELNS1_11target_archE910ELNS1_3gpuE8ELNS1_3repE0EEENS1_30default_config_static_selectorELNS0_4arch9wavefront6targetE0EEEvT1_
; %bb.0:
	.section	.rodata,"a",@progbits
	.p2align	6, 0x0
	.amdhsa_kernel _ZN7rocprim17ROCPRIM_400000_NS6detail17trampoline_kernelINS0_14default_configENS1_25partition_config_selectorILNS1_17partition_subalgoE5EyNS0_10empty_typeEbEEZZNS1_14partition_implILS5_5ELb0ES3_mN6thrust23THRUST_200600_302600_NS6detail15normal_iteratorINSA_10device_ptrIyEEEEPS6_NSA_18transform_iteratorINSB_9not_fun_tI7is_trueIyEEENSC_INSD_IbEEEENSA_11use_defaultESO_EENS0_5tupleIJSF_S6_EEENSQ_IJSG_SG_EEES6_PlJS6_EEE10hipError_tPvRmT3_T4_T5_T6_T7_T9_mT8_P12ihipStream_tbDpT10_ENKUlT_T0_E_clISt17integral_constantIbLb1EES1D_EEDaS18_S19_EUlS18_E_NS1_11comp_targetILNS1_3genE4ELNS1_11target_archE910ELNS1_3gpuE8ELNS1_3repE0EEENS1_30default_config_static_selectorELNS0_4arch9wavefront6targetE0EEEvT1_
		.amdhsa_group_segment_fixed_size 0
		.amdhsa_private_segment_fixed_size 0
		.amdhsa_kernarg_size 136
		.amdhsa_user_sgpr_count 2
		.amdhsa_user_sgpr_dispatch_ptr 0
		.amdhsa_user_sgpr_queue_ptr 0
		.amdhsa_user_sgpr_kernarg_segment_ptr 1
		.amdhsa_user_sgpr_dispatch_id 0
		.amdhsa_user_sgpr_private_segment_size 0
		.amdhsa_wavefront_size32 1
		.amdhsa_uses_dynamic_stack 0
		.amdhsa_enable_private_segment 0
		.amdhsa_system_sgpr_workgroup_id_x 1
		.amdhsa_system_sgpr_workgroup_id_y 0
		.amdhsa_system_sgpr_workgroup_id_z 0
		.amdhsa_system_sgpr_workgroup_info 0
		.amdhsa_system_vgpr_workitem_id 0
		.amdhsa_next_free_vgpr 1
		.amdhsa_next_free_sgpr 1
		.amdhsa_reserve_vcc 0
		.amdhsa_float_round_mode_32 0
		.amdhsa_float_round_mode_16_64 0
		.amdhsa_float_denorm_mode_32 3
		.amdhsa_float_denorm_mode_16_64 3
		.amdhsa_fp16_overflow 0
		.amdhsa_workgroup_processor_mode 1
		.amdhsa_memory_ordered 1
		.amdhsa_forward_progress 1
		.amdhsa_inst_pref_size 0
		.amdhsa_round_robin_scheduling 0
		.amdhsa_exception_fp_ieee_invalid_op 0
		.amdhsa_exception_fp_denorm_src 0
		.amdhsa_exception_fp_ieee_div_zero 0
		.amdhsa_exception_fp_ieee_overflow 0
		.amdhsa_exception_fp_ieee_underflow 0
		.amdhsa_exception_fp_ieee_inexact 0
		.amdhsa_exception_int_div_zero 0
	.end_amdhsa_kernel
	.section	.text._ZN7rocprim17ROCPRIM_400000_NS6detail17trampoline_kernelINS0_14default_configENS1_25partition_config_selectorILNS1_17partition_subalgoE5EyNS0_10empty_typeEbEEZZNS1_14partition_implILS5_5ELb0ES3_mN6thrust23THRUST_200600_302600_NS6detail15normal_iteratorINSA_10device_ptrIyEEEEPS6_NSA_18transform_iteratorINSB_9not_fun_tI7is_trueIyEEENSC_INSD_IbEEEENSA_11use_defaultESO_EENS0_5tupleIJSF_S6_EEENSQ_IJSG_SG_EEES6_PlJS6_EEE10hipError_tPvRmT3_T4_T5_T6_T7_T9_mT8_P12ihipStream_tbDpT10_ENKUlT_T0_E_clISt17integral_constantIbLb1EES1D_EEDaS18_S19_EUlS18_E_NS1_11comp_targetILNS1_3genE4ELNS1_11target_archE910ELNS1_3gpuE8ELNS1_3repE0EEENS1_30default_config_static_selectorELNS0_4arch9wavefront6targetE0EEEvT1_,"axG",@progbits,_ZN7rocprim17ROCPRIM_400000_NS6detail17trampoline_kernelINS0_14default_configENS1_25partition_config_selectorILNS1_17partition_subalgoE5EyNS0_10empty_typeEbEEZZNS1_14partition_implILS5_5ELb0ES3_mN6thrust23THRUST_200600_302600_NS6detail15normal_iteratorINSA_10device_ptrIyEEEEPS6_NSA_18transform_iteratorINSB_9not_fun_tI7is_trueIyEEENSC_INSD_IbEEEENSA_11use_defaultESO_EENS0_5tupleIJSF_S6_EEENSQ_IJSG_SG_EEES6_PlJS6_EEE10hipError_tPvRmT3_T4_T5_T6_T7_T9_mT8_P12ihipStream_tbDpT10_ENKUlT_T0_E_clISt17integral_constantIbLb1EES1D_EEDaS18_S19_EUlS18_E_NS1_11comp_targetILNS1_3genE4ELNS1_11target_archE910ELNS1_3gpuE8ELNS1_3repE0EEENS1_30default_config_static_selectorELNS0_4arch9wavefront6targetE0EEEvT1_,comdat
.Lfunc_end2407:
	.size	_ZN7rocprim17ROCPRIM_400000_NS6detail17trampoline_kernelINS0_14default_configENS1_25partition_config_selectorILNS1_17partition_subalgoE5EyNS0_10empty_typeEbEEZZNS1_14partition_implILS5_5ELb0ES3_mN6thrust23THRUST_200600_302600_NS6detail15normal_iteratorINSA_10device_ptrIyEEEEPS6_NSA_18transform_iteratorINSB_9not_fun_tI7is_trueIyEEENSC_INSD_IbEEEENSA_11use_defaultESO_EENS0_5tupleIJSF_S6_EEENSQ_IJSG_SG_EEES6_PlJS6_EEE10hipError_tPvRmT3_T4_T5_T6_T7_T9_mT8_P12ihipStream_tbDpT10_ENKUlT_T0_E_clISt17integral_constantIbLb1EES1D_EEDaS18_S19_EUlS18_E_NS1_11comp_targetILNS1_3genE4ELNS1_11target_archE910ELNS1_3gpuE8ELNS1_3repE0EEENS1_30default_config_static_selectorELNS0_4arch9wavefront6targetE0EEEvT1_, .Lfunc_end2407-_ZN7rocprim17ROCPRIM_400000_NS6detail17trampoline_kernelINS0_14default_configENS1_25partition_config_selectorILNS1_17partition_subalgoE5EyNS0_10empty_typeEbEEZZNS1_14partition_implILS5_5ELb0ES3_mN6thrust23THRUST_200600_302600_NS6detail15normal_iteratorINSA_10device_ptrIyEEEEPS6_NSA_18transform_iteratorINSB_9not_fun_tI7is_trueIyEEENSC_INSD_IbEEEENSA_11use_defaultESO_EENS0_5tupleIJSF_S6_EEENSQ_IJSG_SG_EEES6_PlJS6_EEE10hipError_tPvRmT3_T4_T5_T6_T7_T9_mT8_P12ihipStream_tbDpT10_ENKUlT_T0_E_clISt17integral_constantIbLb1EES1D_EEDaS18_S19_EUlS18_E_NS1_11comp_targetILNS1_3genE4ELNS1_11target_archE910ELNS1_3gpuE8ELNS1_3repE0EEENS1_30default_config_static_selectorELNS0_4arch9wavefront6targetE0EEEvT1_
                                        ; -- End function
	.set _ZN7rocprim17ROCPRIM_400000_NS6detail17trampoline_kernelINS0_14default_configENS1_25partition_config_selectorILNS1_17partition_subalgoE5EyNS0_10empty_typeEbEEZZNS1_14partition_implILS5_5ELb0ES3_mN6thrust23THRUST_200600_302600_NS6detail15normal_iteratorINSA_10device_ptrIyEEEEPS6_NSA_18transform_iteratorINSB_9not_fun_tI7is_trueIyEEENSC_INSD_IbEEEENSA_11use_defaultESO_EENS0_5tupleIJSF_S6_EEENSQ_IJSG_SG_EEES6_PlJS6_EEE10hipError_tPvRmT3_T4_T5_T6_T7_T9_mT8_P12ihipStream_tbDpT10_ENKUlT_T0_E_clISt17integral_constantIbLb1EES1D_EEDaS18_S19_EUlS18_E_NS1_11comp_targetILNS1_3genE4ELNS1_11target_archE910ELNS1_3gpuE8ELNS1_3repE0EEENS1_30default_config_static_selectorELNS0_4arch9wavefront6targetE0EEEvT1_.num_vgpr, 0
	.set _ZN7rocprim17ROCPRIM_400000_NS6detail17trampoline_kernelINS0_14default_configENS1_25partition_config_selectorILNS1_17partition_subalgoE5EyNS0_10empty_typeEbEEZZNS1_14partition_implILS5_5ELb0ES3_mN6thrust23THRUST_200600_302600_NS6detail15normal_iteratorINSA_10device_ptrIyEEEEPS6_NSA_18transform_iteratorINSB_9not_fun_tI7is_trueIyEEENSC_INSD_IbEEEENSA_11use_defaultESO_EENS0_5tupleIJSF_S6_EEENSQ_IJSG_SG_EEES6_PlJS6_EEE10hipError_tPvRmT3_T4_T5_T6_T7_T9_mT8_P12ihipStream_tbDpT10_ENKUlT_T0_E_clISt17integral_constantIbLb1EES1D_EEDaS18_S19_EUlS18_E_NS1_11comp_targetILNS1_3genE4ELNS1_11target_archE910ELNS1_3gpuE8ELNS1_3repE0EEENS1_30default_config_static_selectorELNS0_4arch9wavefront6targetE0EEEvT1_.num_agpr, 0
	.set _ZN7rocprim17ROCPRIM_400000_NS6detail17trampoline_kernelINS0_14default_configENS1_25partition_config_selectorILNS1_17partition_subalgoE5EyNS0_10empty_typeEbEEZZNS1_14partition_implILS5_5ELb0ES3_mN6thrust23THRUST_200600_302600_NS6detail15normal_iteratorINSA_10device_ptrIyEEEEPS6_NSA_18transform_iteratorINSB_9not_fun_tI7is_trueIyEEENSC_INSD_IbEEEENSA_11use_defaultESO_EENS0_5tupleIJSF_S6_EEENSQ_IJSG_SG_EEES6_PlJS6_EEE10hipError_tPvRmT3_T4_T5_T6_T7_T9_mT8_P12ihipStream_tbDpT10_ENKUlT_T0_E_clISt17integral_constantIbLb1EES1D_EEDaS18_S19_EUlS18_E_NS1_11comp_targetILNS1_3genE4ELNS1_11target_archE910ELNS1_3gpuE8ELNS1_3repE0EEENS1_30default_config_static_selectorELNS0_4arch9wavefront6targetE0EEEvT1_.numbered_sgpr, 0
	.set _ZN7rocprim17ROCPRIM_400000_NS6detail17trampoline_kernelINS0_14default_configENS1_25partition_config_selectorILNS1_17partition_subalgoE5EyNS0_10empty_typeEbEEZZNS1_14partition_implILS5_5ELb0ES3_mN6thrust23THRUST_200600_302600_NS6detail15normal_iteratorINSA_10device_ptrIyEEEEPS6_NSA_18transform_iteratorINSB_9not_fun_tI7is_trueIyEEENSC_INSD_IbEEEENSA_11use_defaultESO_EENS0_5tupleIJSF_S6_EEENSQ_IJSG_SG_EEES6_PlJS6_EEE10hipError_tPvRmT3_T4_T5_T6_T7_T9_mT8_P12ihipStream_tbDpT10_ENKUlT_T0_E_clISt17integral_constantIbLb1EES1D_EEDaS18_S19_EUlS18_E_NS1_11comp_targetILNS1_3genE4ELNS1_11target_archE910ELNS1_3gpuE8ELNS1_3repE0EEENS1_30default_config_static_selectorELNS0_4arch9wavefront6targetE0EEEvT1_.num_named_barrier, 0
	.set _ZN7rocprim17ROCPRIM_400000_NS6detail17trampoline_kernelINS0_14default_configENS1_25partition_config_selectorILNS1_17partition_subalgoE5EyNS0_10empty_typeEbEEZZNS1_14partition_implILS5_5ELb0ES3_mN6thrust23THRUST_200600_302600_NS6detail15normal_iteratorINSA_10device_ptrIyEEEEPS6_NSA_18transform_iteratorINSB_9not_fun_tI7is_trueIyEEENSC_INSD_IbEEEENSA_11use_defaultESO_EENS0_5tupleIJSF_S6_EEENSQ_IJSG_SG_EEES6_PlJS6_EEE10hipError_tPvRmT3_T4_T5_T6_T7_T9_mT8_P12ihipStream_tbDpT10_ENKUlT_T0_E_clISt17integral_constantIbLb1EES1D_EEDaS18_S19_EUlS18_E_NS1_11comp_targetILNS1_3genE4ELNS1_11target_archE910ELNS1_3gpuE8ELNS1_3repE0EEENS1_30default_config_static_selectorELNS0_4arch9wavefront6targetE0EEEvT1_.private_seg_size, 0
	.set _ZN7rocprim17ROCPRIM_400000_NS6detail17trampoline_kernelINS0_14default_configENS1_25partition_config_selectorILNS1_17partition_subalgoE5EyNS0_10empty_typeEbEEZZNS1_14partition_implILS5_5ELb0ES3_mN6thrust23THRUST_200600_302600_NS6detail15normal_iteratorINSA_10device_ptrIyEEEEPS6_NSA_18transform_iteratorINSB_9not_fun_tI7is_trueIyEEENSC_INSD_IbEEEENSA_11use_defaultESO_EENS0_5tupleIJSF_S6_EEENSQ_IJSG_SG_EEES6_PlJS6_EEE10hipError_tPvRmT3_T4_T5_T6_T7_T9_mT8_P12ihipStream_tbDpT10_ENKUlT_T0_E_clISt17integral_constantIbLb1EES1D_EEDaS18_S19_EUlS18_E_NS1_11comp_targetILNS1_3genE4ELNS1_11target_archE910ELNS1_3gpuE8ELNS1_3repE0EEENS1_30default_config_static_selectorELNS0_4arch9wavefront6targetE0EEEvT1_.uses_vcc, 0
	.set _ZN7rocprim17ROCPRIM_400000_NS6detail17trampoline_kernelINS0_14default_configENS1_25partition_config_selectorILNS1_17partition_subalgoE5EyNS0_10empty_typeEbEEZZNS1_14partition_implILS5_5ELb0ES3_mN6thrust23THRUST_200600_302600_NS6detail15normal_iteratorINSA_10device_ptrIyEEEEPS6_NSA_18transform_iteratorINSB_9not_fun_tI7is_trueIyEEENSC_INSD_IbEEEENSA_11use_defaultESO_EENS0_5tupleIJSF_S6_EEENSQ_IJSG_SG_EEES6_PlJS6_EEE10hipError_tPvRmT3_T4_T5_T6_T7_T9_mT8_P12ihipStream_tbDpT10_ENKUlT_T0_E_clISt17integral_constantIbLb1EES1D_EEDaS18_S19_EUlS18_E_NS1_11comp_targetILNS1_3genE4ELNS1_11target_archE910ELNS1_3gpuE8ELNS1_3repE0EEENS1_30default_config_static_selectorELNS0_4arch9wavefront6targetE0EEEvT1_.uses_flat_scratch, 0
	.set _ZN7rocprim17ROCPRIM_400000_NS6detail17trampoline_kernelINS0_14default_configENS1_25partition_config_selectorILNS1_17partition_subalgoE5EyNS0_10empty_typeEbEEZZNS1_14partition_implILS5_5ELb0ES3_mN6thrust23THRUST_200600_302600_NS6detail15normal_iteratorINSA_10device_ptrIyEEEEPS6_NSA_18transform_iteratorINSB_9not_fun_tI7is_trueIyEEENSC_INSD_IbEEEENSA_11use_defaultESO_EENS0_5tupleIJSF_S6_EEENSQ_IJSG_SG_EEES6_PlJS6_EEE10hipError_tPvRmT3_T4_T5_T6_T7_T9_mT8_P12ihipStream_tbDpT10_ENKUlT_T0_E_clISt17integral_constantIbLb1EES1D_EEDaS18_S19_EUlS18_E_NS1_11comp_targetILNS1_3genE4ELNS1_11target_archE910ELNS1_3gpuE8ELNS1_3repE0EEENS1_30default_config_static_selectorELNS0_4arch9wavefront6targetE0EEEvT1_.has_dyn_sized_stack, 0
	.set _ZN7rocprim17ROCPRIM_400000_NS6detail17trampoline_kernelINS0_14default_configENS1_25partition_config_selectorILNS1_17partition_subalgoE5EyNS0_10empty_typeEbEEZZNS1_14partition_implILS5_5ELb0ES3_mN6thrust23THRUST_200600_302600_NS6detail15normal_iteratorINSA_10device_ptrIyEEEEPS6_NSA_18transform_iteratorINSB_9not_fun_tI7is_trueIyEEENSC_INSD_IbEEEENSA_11use_defaultESO_EENS0_5tupleIJSF_S6_EEENSQ_IJSG_SG_EEES6_PlJS6_EEE10hipError_tPvRmT3_T4_T5_T6_T7_T9_mT8_P12ihipStream_tbDpT10_ENKUlT_T0_E_clISt17integral_constantIbLb1EES1D_EEDaS18_S19_EUlS18_E_NS1_11comp_targetILNS1_3genE4ELNS1_11target_archE910ELNS1_3gpuE8ELNS1_3repE0EEENS1_30default_config_static_selectorELNS0_4arch9wavefront6targetE0EEEvT1_.has_recursion, 0
	.set _ZN7rocprim17ROCPRIM_400000_NS6detail17trampoline_kernelINS0_14default_configENS1_25partition_config_selectorILNS1_17partition_subalgoE5EyNS0_10empty_typeEbEEZZNS1_14partition_implILS5_5ELb0ES3_mN6thrust23THRUST_200600_302600_NS6detail15normal_iteratorINSA_10device_ptrIyEEEEPS6_NSA_18transform_iteratorINSB_9not_fun_tI7is_trueIyEEENSC_INSD_IbEEEENSA_11use_defaultESO_EENS0_5tupleIJSF_S6_EEENSQ_IJSG_SG_EEES6_PlJS6_EEE10hipError_tPvRmT3_T4_T5_T6_T7_T9_mT8_P12ihipStream_tbDpT10_ENKUlT_T0_E_clISt17integral_constantIbLb1EES1D_EEDaS18_S19_EUlS18_E_NS1_11comp_targetILNS1_3genE4ELNS1_11target_archE910ELNS1_3gpuE8ELNS1_3repE0EEENS1_30default_config_static_selectorELNS0_4arch9wavefront6targetE0EEEvT1_.has_indirect_call, 0
	.section	.AMDGPU.csdata,"",@progbits
; Kernel info:
; codeLenInByte = 0
; TotalNumSgprs: 0
; NumVgprs: 0
; ScratchSize: 0
; MemoryBound: 0
; FloatMode: 240
; IeeeMode: 1
; LDSByteSize: 0 bytes/workgroup (compile time only)
; SGPRBlocks: 0
; VGPRBlocks: 0
; NumSGPRsForWavesPerEU: 1
; NumVGPRsForWavesPerEU: 1
; Occupancy: 16
; WaveLimiterHint : 0
; COMPUTE_PGM_RSRC2:SCRATCH_EN: 0
; COMPUTE_PGM_RSRC2:USER_SGPR: 2
; COMPUTE_PGM_RSRC2:TRAP_HANDLER: 0
; COMPUTE_PGM_RSRC2:TGID_X_EN: 1
; COMPUTE_PGM_RSRC2:TGID_Y_EN: 0
; COMPUTE_PGM_RSRC2:TGID_Z_EN: 0
; COMPUTE_PGM_RSRC2:TIDIG_COMP_CNT: 0
	.section	.text._ZN7rocprim17ROCPRIM_400000_NS6detail17trampoline_kernelINS0_14default_configENS1_25partition_config_selectorILNS1_17partition_subalgoE5EyNS0_10empty_typeEbEEZZNS1_14partition_implILS5_5ELb0ES3_mN6thrust23THRUST_200600_302600_NS6detail15normal_iteratorINSA_10device_ptrIyEEEEPS6_NSA_18transform_iteratorINSB_9not_fun_tI7is_trueIyEEENSC_INSD_IbEEEENSA_11use_defaultESO_EENS0_5tupleIJSF_S6_EEENSQ_IJSG_SG_EEES6_PlJS6_EEE10hipError_tPvRmT3_T4_T5_T6_T7_T9_mT8_P12ihipStream_tbDpT10_ENKUlT_T0_E_clISt17integral_constantIbLb1EES1D_EEDaS18_S19_EUlS18_E_NS1_11comp_targetILNS1_3genE3ELNS1_11target_archE908ELNS1_3gpuE7ELNS1_3repE0EEENS1_30default_config_static_selectorELNS0_4arch9wavefront6targetE0EEEvT1_,"axG",@progbits,_ZN7rocprim17ROCPRIM_400000_NS6detail17trampoline_kernelINS0_14default_configENS1_25partition_config_selectorILNS1_17partition_subalgoE5EyNS0_10empty_typeEbEEZZNS1_14partition_implILS5_5ELb0ES3_mN6thrust23THRUST_200600_302600_NS6detail15normal_iteratorINSA_10device_ptrIyEEEEPS6_NSA_18transform_iteratorINSB_9not_fun_tI7is_trueIyEEENSC_INSD_IbEEEENSA_11use_defaultESO_EENS0_5tupleIJSF_S6_EEENSQ_IJSG_SG_EEES6_PlJS6_EEE10hipError_tPvRmT3_T4_T5_T6_T7_T9_mT8_P12ihipStream_tbDpT10_ENKUlT_T0_E_clISt17integral_constantIbLb1EES1D_EEDaS18_S19_EUlS18_E_NS1_11comp_targetILNS1_3genE3ELNS1_11target_archE908ELNS1_3gpuE7ELNS1_3repE0EEENS1_30default_config_static_selectorELNS0_4arch9wavefront6targetE0EEEvT1_,comdat
	.protected	_ZN7rocprim17ROCPRIM_400000_NS6detail17trampoline_kernelINS0_14default_configENS1_25partition_config_selectorILNS1_17partition_subalgoE5EyNS0_10empty_typeEbEEZZNS1_14partition_implILS5_5ELb0ES3_mN6thrust23THRUST_200600_302600_NS6detail15normal_iteratorINSA_10device_ptrIyEEEEPS6_NSA_18transform_iteratorINSB_9not_fun_tI7is_trueIyEEENSC_INSD_IbEEEENSA_11use_defaultESO_EENS0_5tupleIJSF_S6_EEENSQ_IJSG_SG_EEES6_PlJS6_EEE10hipError_tPvRmT3_T4_T5_T6_T7_T9_mT8_P12ihipStream_tbDpT10_ENKUlT_T0_E_clISt17integral_constantIbLb1EES1D_EEDaS18_S19_EUlS18_E_NS1_11comp_targetILNS1_3genE3ELNS1_11target_archE908ELNS1_3gpuE7ELNS1_3repE0EEENS1_30default_config_static_selectorELNS0_4arch9wavefront6targetE0EEEvT1_ ; -- Begin function _ZN7rocprim17ROCPRIM_400000_NS6detail17trampoline_kernelINS0_14default_configENS1_25partition_config_selectorILNS1_17partition_subalgoE5EyNS0_10empty_typeEbEEZZNS1_14partition_implILS5_5ELb0ES3_mN6thrust23THRUST_200600_302600_NS6detail15normal_iteratorINSA_10device_ptrIyEEEEPS6_NSA_18transform_iteratorINSB_9not_fun_tI7is_trueIyEEENSC_INSD_IbEEEENSA_11use_defaultESO_EENS0_5tupleIJSF_S6_EEENSQ_IJSG_SG_EEES6_PlJS6_EEE10hipError_tPvRmT3_T4_T5_T6_T7_T9_mT8_P12ihipStream_tbDpT10_ENKUlT_T0_E_clISt17integral_constantIbLb1EES1D_EEDaS18_S19_EUlS18_E_NS1_11comp_targetILNS1_3genE3ELNS1_11target_archE908ELNS1_3gpuE7ELNS1_3repE0EEENS1_30default_config_static_selectorELNS0_4arch9wavefront6targetE0EEEvT1_
	.globl	_ZN7rocprim17ROCPRIM_400000_NS6detail17trampoline_kernelINS0_14default_configENS1_25partition_config_selectorILNS1_17partition_subalgoE5EyNS0_10empty_typeEbEEZZNS1_14partition_implILS5_5ELb0ES3_mN6thrust23THRUST_200600_302600_NS6detail15normal_iteratorINSA_10device_ptrIyEEEEPS6_NSA_18transform_iteratorINSB_9not_fun_tI7is_trueIyEEENSC_INSD_IbEEEENSA_11use_defaultESO_EENS0_5tupleIJSF_S6_EEENSQ_IJSG_SG_EEES6_PlJS6_EEE10hipError_tPvRmT3_T4_T5_T6_T7_T9_mT8_P12ihipStream_tbDpT10_ENKUlT_T0_E_clISt17integral_constantIbLb1EES1D_EEDaS18_S19_EUlS18_E_NS1_11comp_targetILNS1_3genE3ELNS1_11target_archE908ELNS1_3gpuE7ELNS1_3repE0EEENS1_30default_config_static_selectorELNS0_4arch9wavefront6targetE0EEEvT1_
	.p2align	8
	.type	_ZN7rocprim17ROCPRIM_400000_NS6detail17trampoline_kernelINS0_14default_configENS1_25partition_config_selectorILNS1_17partition_subalgoE5EyNS0_10empty_typeEbEEZZNS1_14partition_implILS5_5ELb0ES3_mN6thrust23THRUST_200600_302600_NS6detail15normal_iteratorINSA_10device_ptrIyEEEEPS6_NSA_18transform_iteratorINSB_9not_fun_tI7is_trueIyEEENSC_INSD_IbEEEENSA_11use_defaultESO_EENS0_5tupleIJSF_S6_EEENSQ_IJSG_SG_EEES6_PlJS6_EEE10hipError_tPvRmT3_T4_T5_T6_T7_T9_mT8_P12ihipStream_tbDpT10_ENKUlT_T0_E_clISt17integral_constantIbLb1EES1D_EEDaS18_S19_EUlS18_E_NS1_11comp_targetILNS1_3genE3ELNS1_11target_archE908ELNS1_3gpuE7ELNS1_3repE0EEENS1_30default_config_static_selectorELNS0_4arch9wavefront6targetE0EEEvT1_,@function
_ZN7rocprim17ROCPRIM_400000_NS6detail17trampoline_kernelINS0_14default_configENS1_25partition_config_selectorILNS1_17partition_subalgoE5EyNS0_10empty_typeEbEEZZNS1_14partition_implILS5_5ELb0ES3_mN6thrust23THRUST_200600_302600_NS6detail15normal_iteratorINSA_10device_ptrIyEEEEPS6_NSA_18transform_iteratorINSB_9not_fun_tI7is_trueIyEEENSC_INSD_IbEEEENSA_11use_defaultESO_EENS0_5tupleIJSF_S6_EEENSQ_IJSG_SG_EEES6_PlJS6_EEE10hipError_tPvRmT3_T4_T5_T6_T7_T9_mT8_P12ihipStream_tbDpT10_ENKUlT_T0_E_clISt17integral_constantIbLb1EES1D_EEDaS18_S19_EUlS18_E_NS1_11comp_targetILNS1_3genE3ELNS1_11target_archE908ELNS1_3gpuE7ELNS1_3repE0EEENS1_30default_config_static_selectorELNS0_4arch9wavefront6targetE0EEEvT1_: ; @_ZN7rocprim17ROCPRIM_400000_NS6detail17trampoline_kernelINS0_14default_configENS1_25partition_config_selectorILNS1_17partition_subalgoE5EyNS0_10empty_typeEbEEZZNS1_14partition_implILS5_5ELb0ES3_mN6thrust23THRUST_200600_302600_NS6detail15normal_iteratorINSA_10device_ptrIyEEEEPS6_NSA_18transform_iteratorINSB_9not_fun_tI7is_trueIyEEENSC_INSD_IbEEEENSA_11use_defaultESO_EENS0_5tupleIJSF_S6_EEENSQ_IJSG_SG_EEES6_PlJS6_EEE10hipError_tPvRmT3_T4_T5_T6_T7_T9_mT8_P12ihipStream_tbDpT10_ENKUlT_T0_E_clISt17integral_constantIbLb1EES1D_EEDaS18_S19_EUlS18_E_NS1_11comp_targetILNS1_3genE3ELNS1_11target_archE908ELNS1_3gpuE7ELNS1_3repE0EEENS1_30default_config_static_selectorELNS0_4arch9wavefront6targetE0EEEvT1_
; %bb.0:
	.section	.rodata,"a",@progbits
	.p2align	6, 0x0
	.amdhsa_kernel _ZN7rocprim17ROCPRIM_400000_NS6detail17trampoline_kernelINS0_14default_configENS1_25partition_config_selectorILNS1_17partition_subalgoE5EyNS0_10empty_typeEbEEZZNS1_14partition_implILS5_5ELb0ES3_mN6thrust23THRUST_200600_302600_NS6detail15normal_iteratorINSA_10device_ptrIyEEEEPS6_NSA_18transform_iteratorINSB_9not_fun_tI7is_trueIyEEENSC_INSD_IbEEEENSA_11use_defaultESO_EENS0_5tupleIJSF_S6_EEENSQ_IJSG_SG_EEES6_PlJS6_EEE10hipError_tPvRmT3_T4_T5_T6_T7_T9_mT8_P12ihipStream_tbDpT10_ENKUlT_T0_E_clISt17integral_constantIbLb1EES1D_EEDaS18_S19_EUlS18_E_NS1_11comp_targetILNS1_3genE3ELNS1_11target_archE908ELNS1_3gpuE7ELNS1_3repE0EEENS1_30default_config_static_selectorELNS0_4arch9wavefront6targetE0EEEvT1_
		.amdhsa_group_segment_fixed_size 0
		.amdhsa_private_segment_fixed_size 0
		.amdhsa_kernarg_size 136
		.amdhsa_user_sgpr_count 2
		.amdhsa_user_sgpr_dispatch_ptr 0
		.amdhsa_user_sgpr_queue_ptr 0
		.amdhsa_user_sgpr_kernarg_segment_ptr 1
		.amdhsa_user_sgpr_dispatch_id 0
		.amdhsa_user_sgpr_private_segment_size 0
		.amdhsa_wavefront_size32 1
		.amdhsa_uses_dynamic_stack 0
		.amdhsa_enable_private_segment 0
		.amdhsa_system_sgpr_workgroup_id_x 1
		.amdhsa_system_sgpr_workgroup_id_y 0
		.amdhsa_system_sgpr_workgroup_id_z 0
		.amdhsa_system_sgpr_workgroup_info 0
		.amdhsa_system_vgpr_workitem_id 0
		.amdhsa_next_free_vgpr 1
		.amdhsa_next_free_sgpr 1
		.amdhsa_reserve_vcc 0
		.amdhsa_float_round_mode_32 0
		.amdhsa_float_round_mode_16_64 0
		.amdhsa_float_denorm_mode_32 3
		.amdhsa_float_denorm_mode_16_64 3
		.amdhsa_fp16_overflow 0
		.amdhsa_workgroup_processor_mode 1
		.amdhsa_memory_ordered 1
		.amdhsa_forward_progress 1
		.amdhsa_inst_pref_size 0
		.amdhsa_round_robin_scheduling 0
		.amdhsa_exception_fp_ieee_invalid_op 0
		.amdhsa_exception_fp_denorm_src 0
		.amdhsa_exception_fp_ieee_div_zero 0
		.amdhsa_exception_fp_ieee_overflow 0
		.amdhsa_exception_fp_ieee_underflow 0
		.amdhsa_exception_fp_ieee_inexact 0
		.amdhsa_exception_int_div_zero 0
	.end_amdhsa_kernel
	.section	.text._ZN7rocprim17ROCPRIM_400000_NS6detail17trampoline_kernelINS0_14default_configENS1_25partition_config_selectorILNS1_17partition_subalgoE5EyNS0_10empty_typeEbEEZZNS1_14partition_implILS5_5ELb0ES3_mN6thrust23THRUST_200600_302600_NS6detail15normal_iteratorINSA_10device_ptrIyEEEEPS6_NSA_18transform_iteratorINSB_9not_fun_tI7is_trueIyEEENSC_INSD_IbEEEENSA_11use_defaultESO_EENS0_5tupleIJSF_S6_EEENSQ_IJSG_SG_EEES6_PlJS6_EEE10hipError_tPvRmT3_T4_T5_T6_T7_T9_mT8_P12ihipStream_tbDpT10_ENKUlT_T0_E_clISt17integral_constantIbLb1EES1D_EEDaS18_S19_EUlS18_E_NS1_11comp_targetILNS1_3genE3ELNS1_11target_archE908ELNS1_3gpuE7ELNS1_3repE0EEENS1_30default_config_static_selectorELNS0_4arch9wavefront6targetE0EEEvT1_,"axG",@progbits,_ZN7rocprim17ROCPRIM_400000_NS6detail17trampoline_kernelINS0_14default_configENS1_25partition_config_selectorILNS1_17partition_subalgoE5EyNS0_10empty_typeEbEEZZNS1_14partition_implILS5_5ELb0ES3_mN6thrust23THRUST_200600_302600_NS6detail15normal_iteratorINSA_10device_ptrIyEEEEPS6_NSA_18transform_iteratorINSB_9not_fun_tI7is_trueIyEEENSC_INSD_IbEEEENSA_11use_defaultESO_EENS0_5tupleIJSF_S6_EEENSQ_IJSG_SG_EEES6_PlJS6_EEE10hipError_tPvRmT3_T4_T5_T6_T7_T9_mT8_P12ihipStream_tbDpT10_ENKUlT_T0_E_clISt17integral_constantIbLb1EES1D_EEDaS18_S19_EUlS18_E_NS1_11comp_targetILNS1_3genE3ELNS1_11target_archE908ELNS1_3gpuE7ELNS1_3repE0EEENS1_30default_config_static_selectorELNS0_4arch9wavefront6targetE0EEEvT1_,comdat
.Lfunc_end2408:
	.size	_ZN7rocprim17ROCPRIM_400000_NS6detail17trampoline_kernelINS0_14default_configENS1_25partition_config_selectorILNS1_17partition_subalgoE5EyNS0_10empty_typeEbEEZZNS1_14partition_implILS5_5ELb0ES3_mN6thrust23THRUST_200600_302600_NS6detail15normal_iteratorINSA_10device_ptrIyEEEEPS6_NSA_18transform_iteratorINSB_9not_fun_tI7is_trueIyEEENSC_INSD_IbEEEENSA_11use_defaultESO_EENS0_5tupleIJSF_S6_EEENSQ_IJSG_SG_EEES6_PlJS6_EEE10hipError_tPvRmT3_T4_T5_T6_T7_T9_mT8_P12ihipStream_tbDpT10_ENKUlT_T0_E_clISt17integral_constantIbLb1EES1D_EEDaS18_S19_EUlS18_E_NS1_11comp_targetILNS1_3genE3ELNS1_11target_archE908ELNS1_3gpuE7ELNS1_3repE0EEENS1_30default_config_static_selectorELNS0_4arch9wavefront6targetE0EEEvT1_, .Lfunc_end2408-_ZN7rocprim17ROCPRIM_400000_NS6detail17trampoline_kernelINS0_14default_configENS1_25partition_config_selectorILNS1_17partition_subalgoE5EyNS0_10empty_typeEbEEZZNS1_14partition_implILS5_5ELb0ES3_mN6thrust23THRUST_200600_302600_NS6detail15normal_iteratorINSA_10device_ptrIyEEEEPS6_NSA_18transform_iteratorINSB_9not_fun_tI7is_trueIyEEENSC_INSD_IbEEEENSA_11use_defaultESO_EENS0_5tupleIJSF_S6_EEENSQ_IJSG_SG_EEES6_PlJS6_EEE10hipError_tPvRmT3_T4_T5_T6_T7_T9_mT8_P12ihipStream_tbDpT10_ENKUlT_T0_E_clISt17integral_constantIbLb1EES1D_EEDaS18_S19_EUlS18_E_NS1_11comp_targetILNS1_3genE3ELNS1_11target_archE908ELNS1_3gpuE7ELNS1_3repE0EEENS1_30default_config_static_selectorELNS0_4arch9wavefront6targetE0EEEvT1_
                                        ; -- End function
	.set _ZN7rocprim17ROCPRIM_400000_NS6detail17trampoline_kernelINS0_14default_configENS1_25partition_config_selectorILNS1_17partition_subalgoE5EyNS0_10empty_typeEbEEZZNS1_14partition_implILS5_5ELb0ES3_mN6thrust23THRUST_200600_302600_NS6detail15normal_iteratorINSA_10device_ptrIyEEEEPS6_NSA_18transform_iteratorINSB_9not_fun_tI7is_trueIyEEENSC_INSD_IbEEEENSA_11use_defaultESO_EENS0_5tupleIJSF_S6_EEENSQ_IJSG_SG_EEES6_PlJS6_EEE10hipError_tPvRmT3_T4_T5_T6_T7_T9_mT8_P12ihipStream_tbDpT10_ENKUlT_T0_E_clISt17integral_constantIbLb1EES1D_EEDaS18_S19_EUlS18_E_NS1_11comp_targetILNS1_3genE3ELNS1_11target_archE908ELNS1_3gpuE7ELNS1_3repE0EEENS1_30default_config_static_selectorELNS0_4arch9wavefront6targetE0EEEvT1_.num_vgpr, 0
	.set _ZN7rocprim17ROCPRIM_400000_NS6detail17trampoline_kernelINS0_14default_configENS1_25partition_config_selectorILNS1_17partition_subalgoE5EyNS0_10empty_typeEbEEZZNS1_14partition_implILS5_5ELb0ES3_mN6thrust23THRUST_200600_302600_NS6detail15normal_iteratorINSA_10device_ptrIyEEEEPS6_NSA_18transform_iteratorINSB_9not_fun_tI7is_trueIyEEENSC_INSD_IbEEEENSA_11use_defaultESO_EENS0_5tupleIJSF_S6_EEENSQ_IJSG_SG_EEES6_PlJS6_EEE10hipError_tPvRmT3_T4_T5_T6_T7_T9_mT8_P12ihipStream_tbDpT10_ENKUlT_T0_E_clISt17integral_constantIbLb1EES1D_EEDaS18_S19_EUlS18_E_NS1_11comp_targetILNS1_3genE3ELNS1_11target_archE908ELNS1_3gpuE7ELNS1_3repE0EEENS1_30default_config_static_selectorELNS0_4arch9wavefront6targetE0EEEvT1_.num_agpr, 0
	.set _ZN7rocprim17ROCPRIM_400000_NS6detail17trampoline_kernelINS0_14default_configENS1_25partition_config_selectorILNS1_17partition_subalgoE5EyNS0_10empty_typeEbEEZZNS1_14partition_implILS5_5ELb0ES3_mN6thrust23THRUST_200600_302600_NS6detail15normal_iteratorINSA_10device_ptrIyEEEEPS6_NSA_18transform_iteratorINSB_9not_fun_tI7is_trueIyEEENSC_INSD_IbEEEENSA_11use_defaultESO_EENS0_5tupleIJSF_S6_EEENSQ_IJSG_SG_EEES6_PlJS6_EEE10hipError_tPvRmT3_T4_T5_T6_T7_T9_mT8_P12ihipStream_tbDpT10_ENKUlT_T0_E_clISt17integral_constantIbLb1EES1D_EEDaS18_S19_EUlS18_E_NS1_11comp_targetILNS1_3genE3ELNS1_11target_archE908ELNS1_3gpuE7ELNS1_3repE0EEENS1_30default_config_static_selectorELNS0_4arch9wavefront6targetE0EEEvT1_.numbered_sgpr, 0
	.set _ZN7rocprim17ROCPRIM_400000_NS6detail17trampoline_kernelINS0_14default_configENS1_25partition_config_selectorILNS1_17partition_subalgoE5EyNS0_10empty_typeEbEEZZNS1_14partition_implILS5_5ELb0ES3_mN6thrust23THRUST_200600_302600_NS6detail15normal_iteratorINSA_10device_ptrIyEEEEPS6_NSA_18transform_iteratorINSB_9not_fun_tI7is_trueIyEEENSC_INSD_IbEEEENSA_11use_defaultESO_EENS0_5tupleIJSF_S6_EEENSQ_IJSG_SG_EEES6_PlJS6_EEE10hipError_tPvRmT3_T4_T5_T6_T7_T9_mT8_P12ihipStream_tbDpT10_ENKUlT_T0_E_clISt17integral_constantIbLb1EES1D_EEDaS18_S19_EUlS18_E_NS1_11comp_targetILNS1_3genE3ELNS1_11target_archE908ELNS1_3gpuE7ELNS1_3repE0EEENS1_30default_config_static_selectorELNS0_4arch9wavefront6targetE0EEEvT1_.num_named_barrier, 0
	.set _ZN7rocprim17ROCPRIM_400000_NS6detail17trampoline_kernelINS0_14default_configENS1_25partition_config_selectorILNS1_17partition_subalgoE5EyNS0_10empty_typeEbEEZZNS1_14partition_implILS5_5ELb0ES3_mN6thrust23THRUST_200600_302600_NS6detail15normal_iteratorINSA_10device_ptrIyEEEEPS6_NSA_18transform_iteratorINSB_9not_fun_tI7is_trueIyEEENSC_INSD_IbEEEENSA_11use_defaultESO_EENS0_5tupleIJSF_S6_EEENSQ_IJSG_SG_EEES6_PlJS6_EEE10hipError_tPvRmT3_T4_T5_T6_T7_T9_mT8_P12ihipStream_tbDpT10_ENKUlT_T0_E_clISt17integral_constantIbLb1EES1D_EEDaS18_S19_EUlS18_E_NS1_11comp_targetILNS1_3genE3ELNS1_11target_archE908ELNS1_3gpuE7ELNS1_3repE0EEENS1_30default_config_static_selectorELNS0_4arch9wavefront6targetE0EEEvT1_.private_seg_size, 0
	.set _ZN7rocprim17ROCPRIM_400000_NS6detail17trampoline_kernelINS0_14default_configENS1_25partition_config_selectorILNS1_17partition_subalgoE5EyNS0_10empty_typeEbEEZZNS1_14partition_implILS5_5ELb0ES3_mN6thrust23THRUST_200600_302600_NS6detail15normal_iteratorINSA_10device_ptrIyEEEEPS6_NSA_18transform_iteratorINSB_9not_fun_tI7is_trueIyEEENSC_INSD_IbEEEENSA_11use_defaultESO_EENS0_5tupleIJSF_S6_EEENSQ_IJSG_SG_EEES6_PlJS6_EEE10hipError_tPvRmT3_T4_T5_T6_T7_T9_mT8_P12ihipStream_tbDpT10_ENKUlT_T0_E_clISt17integral_constantIbLb1EES1D_EEDaS18_S19_EUlS18_E_NS1_11comp_targetILNS1_3genE3ELNS1_11target_archE908ELNS1_3gpuE7ELNS1_3repE0EEENS1_30default_config_static_selectorELNS0_4arch9wavefront6targetE0EEEvT1_.uses_vcc, 0
	.set _ZN7rocprim17ROCPRIM_400000_NS6detail17trampoline_kernelINS0_14default_configENS1_25partition_config_selectorILNS1_17partition_subalgoE5EyNS0_10empty_typeEbEEZZNS1_14partition_implILS5_5ELb0ES3_mN6thrust23THRUST_200600_302600_NS6detail15normal_iteratorINSA_10device_ptrIyEEEEPS6_NSA_18transform_iteratorINSB_9not_fun_tI7is_trueIyEEENSC_INSD_IbEEEENSA_11use_defaultESO_EENS0_5tupleIJSF_S6_EEENSQ_IJSG_SG_EEES6_PlJS6_EEE10hipError_tPvRmT3_T4_T5_T6_T7_T9_mT8_P12ihipStream_tbDpT10_ENKUlT_T0_E_clISt17integral_constantIbLb1EES1D_EEDaS18_S19_EUlS18_E_NS1_11comp_targetILNS1_3genE3ELNS1_11target_archE908ELNS1_3gpuE7ELNS1_3repE0EEENS1_30default_config_static_selectorELNS0_4arch9wavefront6targetE0EEEvT1_.uses_flat_scratch, 0
	.set _ZN7rocprim17ROCPRIM_400000_NS6detail17trampoline_kernelINS0_14default_configENS1_25partition_config_selectorILNS1_17partition_subalgoE5EyNS0_10empty_typeEbEEZZNS1_14partition_implILS5_5ELb0ES3_mN6thrust23THRUST_200600_302600_NS6detail15normal_iteratorINSA_10device_ptrIyEEEEPS6_NSA_18transform_iteratorINSB_9not_fun_tI7is_trueIyEEENSC_INSD_IbEEEENSA_11use_defaultESO_EENS0_5tupleIJSF_S6_EEENSQ_IJSG_SG_EEES6_PlJS6_EEE10hipError_tPvRmT3_T4_T5_T6_T7_T9_mT8_P12ihipStream_tbDpT10_ENKUlT_T0_E_clISt17integral_constantIbLb1EES1D_EEDaS18_S19_EUlS18_E_NS1_11comp_targetILNS1_3genE3ELNS1_11target_archE908ELNS1_3gpuE7ELNS1_3repE0EEENS1_30default_config_static_selectorELNS0_4arch9wavefront6targetE0EEEvT1_.has_dyn_sized_stack, 0
	.set _ZN7rocprim17ROCPRIM_400000_NS6detail17trampoline_kernelINS0_14default_configENS1_25partition_config_selectorILNS1_17partition_subalgoE5EyNS0_10empty_typeEbEEZZNS1_14partition_implILS5_5ELb0ES3_mN6thrust23THRUST_200600_302600_NS6detail15normal_iteratorINSA_10device_ptrIyEEEEPS6_NSA_18transform_iteratorINSB_9not_fun_tI7is_trueIyEEENSC_INSD_IbEEEENSA_11use_defaultESO_EENS0_5tupleIJSF_S6_EEENSQ_IJSG_SG_EEES6_PlJS6_EEE10hipError_tPvRmT3_T4_T5_T6_T7_T9_mT8_P12ihipStream_tbDpT10_ENKUlT_T0_E_clISt17integral_constantIbLb1EES1D_EEDaS18_S19_EUlS18_E_NS1_11comp_targetILNS1_3genE3ELNS1_11target_archE908ELNS1_3gpuE7ELNS1_3repE0EEENS1_30default_config_static_selectorELNS0_4arch9wavefront6targetE0EEEvT1_.has_recursion, 0
	.set _ZN7rocprim17ROCPRIM_400000_NS6detail17trampoline_kernelINS0_14default_configENS1_25partition_config_selectorILNS1_17partition_subalgoE5EyNS0_10empty_typeEbEEZZNS1_14partition_implILS5_5ELb0ES3_mN6thrust23THRUST_200600_302600_NS6detail15normal_iteratorINSA_10device_ptrIyEEEEPS6_NSA_18transform_iteratorINSB_9not_fun_tI7is_trueIyEEENSC_INSD_IbEEEENSA_11use_defaultESO_EENS0_5tupleIJSF_S6_EEENSQ_IJSG_SG_EEES6_PlJS6_EEE10hipError_tPvRmT3_T4_T5_T6_T7_T9_mT8_P12ihipStream_tbDpT10_ENKUlT_T0_E_clISt17integral_constantIbLb1EES1D_EEDaS18_S19_EUlS18_E_NS1_11comp_targetILNS1_3genE3ELNS1_11target_archE908ELNS1_3gpuE7ELNS1_3repE0EEENS1_30default_config_static_selectorELNS0_4arch9wavefront6targetE0EEEvT1_.has_indirect_call, 0
	.section	.AMDGPU.csdata,"",@progbits
; Kernel info:
; codeLenInByte = 0
; TotalNumSgprs: 0
; NumVgprs: 0
; ScratchSize: 0
; MemoryBound: 0
; FloatMode: 240
; IeeeMode: 1
; LDSByteSize: 0 bytes/workgroup (compile time only)
; SGPRBlocks: 0
; VGPRBlocks: 0
; NumSGPRsForWavesPerEU: 1
; NumVGPRsForWavesPerEU: 1
; Occupancy: 16
; WaveLimiterHint : 0
; COMPUTE_PGM_RSRC2:SCRATCH_EN: 0
; COMPUTE_PGM_RSRC2:USER_SGPR: 2
; COMPUTE_PGM_RSRC2:TRAP_HANDLER: 0
; COMPUTE_PGM_RSRC2:TGID_X_EN: 1
; COMPUTE_PGM_RSRC2:TGID_Y_EN: 0
; COMPUTE_PGM_RSRC2:TGID_Z_EN: 0
; COMPUTE_PGM_RSRC2:TIDIG_COMP_CNT: 0
	.section	.text._ZN7rocprim17ROCPRIM_400000_NS6detail17trampoline_kernelINS0_14default_configENS1_25partition_config_selectorILNS1_17partition_subalgoE5EyNS0_10empty_typeEbEEZZNS1_14partition_implILS5_5ELb0ES3_mN6thrust23THRUST_200600_302600_NS6detail15normal_iteratorINSA_10device_ptrIyEEEEPS6_NSA_18transform_iteratorINSB_9not_fun_tI7is_trueIyEEENSC_INSD_IbEEEENSA_11use_defaultESO_EENS0_5tupleIJSF_S6_EEENSQ_IJSG_SG_EEES6_PlJS6_EEE10hipError_tPvRmT3_T4_T5_T6_T7_T9_mT8_P12ihipStream_tbDpT10_ENKUlT_T0_E_clISt17integral_constantIbLb1EES1D_EEDaS18_S19_EUlS18_E_NS1_11comp_targetILNS1_3genE2ELNS1_11target_archE906ELNS1_3gpuE6ELNS1_3repE0EEENS1_30default_config_static_selectorELNS0_4arch9wavefront6targetE0EEEvT1_,"axG",@progbits,_ZN7rocprim17ROCPRIM_400000_NS6detail17trampoline_kernelINS0_14default_configENS1_25partition_config_selectorILNS1_17partition_subalgoE5EyNS0_10empty_typeEbEEZZNS1_14partition_implILS5_5ELb0ES3_mN6thrust23THRUST_200600_302600_NS6detail15normal_iteratorINSA_10device_ptrIyEEEEPS6_NSA_18transform_iteratorINSB_9not_fun_tI7is_trueIyEEENSC_INSD_IbEEEENSA_11use_defaultESO_EENS0_5tupleIJSF_S6_EEENSQ_IJSG_SG_EEES6_PlJS6_EEE10hipError_tPvRmT3_T4_T5_T6_T7_T9_mT8_P12ihipStream_tbDpT10_ENKUlT_T0_E_clISt17integral_constantIbLb1EES1D_EEDaS18_S19_EUlS18_E_NS1_11comp_targetILNS1_3genE2ELNS1_11target_archE906ELNS1_3gpuE6ELNS1_3repE0EEENS1_30default_config_static_selectorELNS0_4arch9wavefront6targetE0EEEvT1_,comdat
	.protected	_ZN7rocprim17ROCPRIM_400000_NS6detail17trampoline_kernelINS0_14default_configENS1_25partition_config_selectorILNS1_17partition_subalgoE5EyNS0_10empty_typeEbEEZZNS1_14partition_implILS5_5ELb0ES3_mN6thrust23THRUST_200600_302600_NS6detail15normal_iteratorINSA_10device_ptrIyEEEEPS6_NSA_18transform_iteratorINSB_9not_fun_tI7is_trueIyEEENSC_INSD_IbEEEENSA_11use_defaultESO_EENS0_5tupleIJSF_S6_EEENSQ_IJSG_SG_EEES6_PlJS6_EEE10hipError_tPvRmT3_T4_T5_T6_T7_T9_mT8_P12ihipStream_tbDpT10_ENKUlT_T0_E_clISt17integral_constantIbLb1EES1D_EEDaS18_S19_EUlS18_E_NS1_11comp_targetILNS1_3genE2ELNS1_11target_archE906ELNS1_3gpuE6ELNS1_3repE0EEENS1_30default_config_static_selectorELNS0_4arch9wavefront6targetE0EEEvT1_ ; -- Begin function _ZN7rocprim17ROCPRIM_400000_NS6detail17trampoline_kernelINS0_14default_configENS1_25partition_config_selectorILNS1_17partition_subalgoE5EyNS0_10empty_typeEbEEZZNS1_14partition_implILS5_5ELb0ES3_mN6thrust23THRUST_200600_302600_NS6detail15normal_iteratorINSA_10device_ptrIyEEEEPS6_NSA_18transform_iteratorINSB_9not_fun_tI7is_trueIyEEENSC_INSD_IbEEEENSA_11use_defaultESO_EENS0_5tupleIJSF_S6_EEENSQ_IJSG_SG_EEES6_PlJS6_EEE10hipError_tPvRmT3_T4_T5_T6_T7_T9_mT8_P12ihipStream_tbDpT10_ENKUlT_T0_E_clISt17integral_constantIbLb1EES1D_EEDaS18_S19_EUlS18_E_NS1_11comp_targetILNS1_3genE2ELNS1_11target_archE906ELNS1_3gpuE6ELNS1_3repE0EEENS1_30default_config_static_selectorELNS0_4arch9wavefront6targetE0EEEvT1_
	.globl	_ZN7rocprim17ROCPRIM_400000_NS6detail17trampoline_kernelINS0_14default_configENS1_25partition_config_selectorILNS1_17partition_subalgoE5EyNS0_10empty_typeEbEEZZNS1_14partition_implILS5_5ELb0ES3_mN6thrust23THRUST_200600_302600_NS6detail15normal_iteratorINSA_10device_ptrIyEEEEPS6_NSA_18transform_iteratorINSB_9not_fun_tI7is_trueIyEEENSC_INSD_IbEEEENSA_11use_defaultESO_EENS0_5tupleIJSF_S6_EEENSQ_IJSG_SG_EEES6_PlJS6_EEE10hipError_tPvRmT3_T4_T5_T6_T7_T9_mT8_P12ihipStream_tbDpT10_ENKUlT_T0_E_clISt17integral_constantIbLb1EES1D_EEDaS18_S19_EUlS18_E_NS1_11comp_targetILNS1_3genE2ELNS1_11target_archE906ELNS1_3gpuE6ELNS1_3repE0EEENS1_30default_config_static_selectorELNS0_4arch9wavefront6targetE0EEEvT1_
	.p2align	8
	.type	_ZN7rocprim17ROCPRIM_400000_NS6detail17trampoline_kernelINS0_14default_configENS1_25partition_config_selectorILNS1_17partition_subalgoE5EyNS0_10empty_typeEbEEZZNS1_14partition_implILS5_5ELb0ES3_mN6thrust23THRUST_200600_302600_NS6detail15normal_iteratorINSA_10device_ptrIyEEEEPS6_NSA_18transform_iteratorINSB_9not_fun_tI7is_trueIyEEENSC_INSD_IbEEEENSA_11use_defaultESO_EENS0_5tupleIJSF_S6_EEENSQ_IJSG_SG_EEES6_PlJS6_EEE10hipError_tPvRmT3_T4_T5_T6_T7_T9_mT8_P12ihipStream_tbDpT10_ENKUlT_T0_E_clISt17integral_constantIbLb1EES1D_EEDaS18_S19_EUlS18_E_NS1_11comp_targetILNS1_3genE2ELNS1_11target_archE906ELNS1_3gpuE6ELNS1_3repE0EEENS1_30default_config_static_selectorELNS0_4arch9wavefront6targetE0EEEvT1_,@function
_ZN7rocprim17ROCPRIM_400000_NS6detail17trampoline_kernelINS0_14default_configENS1_25partition_config_selectorILNS1_17partition_subalgoE5EyNS0_10empty_typeEbEEZZNS1_14partition_implILS5_5ELb0ES3_mN6thrust23THRUST_200600_302600_NS6detail15normal_iteratorINSA_10device_ptrIyEEEEPS6_NSA_18transform_iteratorINSB_9not_fun_tI7is_trueIyEEENSC_INSD_IbEEEENSA_11use_defaultESO_EENS0_5tupleIJSF_S6_EEENSQ_IJSG_SG_EEES6_PlJS6_EEE10hipError_tPvRmT3_T4_T5_T6_T7_T9_mT8_P12ihipStream_tbDpT10_ENKUlT_T0_E_clISt17integral_constantIbLb1EES1D_EEDaS18_S19_EUlS18_E_NS1_11comp_targetILNS1_3genE2ELNS1_11target_archE906ELNS1_3gpuE6ELNS1_3repE0EEENS1_30default_config_static_selectorELNS0_4arch9wavefront6targetE0EEEvT1_: ; @_ZN7rocprim17ROCPRIM_400000_NS6detail17trampoline_kernelINS0_14default_configENS1_25partition_config_selectorILNS1_17partition_subalgoE5EyNS0_10empty_typeEbEEZZNS1_14partition_implILS5_5ELb0ES3_mN6thrust23THRUST_200600_302600_NS6detail15normal_iteratorINSA_10device_ptrIyEEEEPS6_NSA_18transform_iteratorINSB_9not_fun_tI7is_trueIyEEENSC_INSD_IbEEEENSA_11use_defaultESO_EENS0_5tupleIJSF_S6_EEENSQ_IJSG_SG_EEES6_PlJS6_EEE10hipError_tPvRmT3_T4_T5_T6_T7_T9_mT8_P12ihipStream_tbDpT10_ENKUlT_T0_E_clISt17integral_constantIbLb1EES1D_EEDaS18_S19_EUlS18_E_NS1_11comp_targetILNS1_3genE2ELNS1_11target_archE906ELNS1_3gpuE6ELNS1_3repE0EEENS1_30default_config_static_selectorELNS0_4arch9wavefront6targetE0EEEvT1_
; %bb.0:
	.section	.rodata,"a",@progbits
	.p2align	6, 0x0
	.amdhsa_kernel _ZN7rocprim17ROCPRIM_400000_NS6detail17trampoline_kernelINS0_14default_configENS1_25partition_config_selectorILNS1_17partition_subalgoE5EyNS0_10empty_typeEbEEZZNS1_14partition_implILS5_5ELb0ES3_mN6thrust23THRUST_200600_302600_NS6detail15normal_iteratorINSA_10device_ptrIyEEEEPS6_NSA_18transform_iteratorINSB_9not_fun_tI7is_trueIyEEENSC_INSD_IbEEEENSA_11use_defaultESO_EENS0_5tupleIJSF_S6_EEENSQ_IJSG_SG_EEES6_PlJS6_EEE10hipError_tPvRmT3_T4_T5_T6_T7_T9_mT8_P12ihipStream_tbDpT10_ENKUlT_T0_E_clISt17integral_constantIbLb1EES1D_EEDaS18_S19_EUlS18_E_NS1_11comp_targetILNS1_3genE2ELNS1_11target_archE906ELNS1_3gpuE6ELNS1_3repE0EEENS1_30default_config_static_selectorELNS0_4arch9wavefront6targetE0EEEvT1_
		.amdhsa_group_segment_fixed_size 0
		.amdhsa_private_segment_fixed_size 0
		.amdhsa_kernarg_size 136
		.amdhsa_user_sgpr_count 2
		.amdhsa_user_sgpr_dispatch_ptr 0
		.amdhsa_user_sgpr_queue_ptr 0
		.amdhsa_user_sgpr_kernarg_segment_ptr 1
		.amdhsa_user_sgpr_dispatch_id 0
		.amdhsa_user_sgpr_private_segment_size 0
		.amdhsa_wavefront_size32 1
		.amdhsa_uses_dynamic_stack 0
		.amdhsa_enable_private_segment 0
		.amdhsa_system_sgpr_workgroup_id_x 1
		.amdhsa_system_sgpr_workgroup_id_y 0
		.amdhsa_system_sgpr_workgroup_id_z 0
		.amdhsa_system_sgpr_workgroup_info 0
		.amdhsa_system_vgpr_workitem_id 0
		.amdhsa_next_free_vgpr 1
		.amdhsa_next_free_sgpr 1
		.amdhsa_reserve_vcc 0
		.amdhsa_float_round_mode_32 0
		.amdhsa_float_round_mode_16_64 0
		.amdhsa_float_denorm_mode_32 3
		.amdhsa_float_denorm_mode_16_64 3
		.amdhsa_fp16_overflow 0
		.amdhsa_workgroup_processor_mode 1
		.amdhsa_memory_ordered 1
		.amdhsa_forward_progress 1
		.amdhsa_inst_pref_size 0
		.amdhsa_round_robin_scheduling 0
		.amdhsa_exception_fp_ieee_invalid_op 0
		.amdhsa_exception_fp_denorm_src 0
		.amdhsa_exception_fp_ieee_div_zero 0
		.amdhsa_exception_fp_ieee_overflow 0
		.amdhsa_exception_fp_ieee_underflow 0
		.amdhsa_exception_fp_ieee_inexact 0
		.amdhsa_exception_int_div_zero 0
	.end_amdhsa_kernel
	.section	.text._ZN7rocprim17ROCPRIM_400000_NS6detail17trampoline_kernelINS0_14default_configENS1_25partition_config_selectorILNS1_17partition_subalgoE5EyNS0_10empty_typeEbEEZZNS1_14partition_implILS5_5ELb0ES3_mN6thrust23THRUST_200600_302600_NS6detail15normal_iteratorINSA_10device_ptrIyEEEEPS6_NSA_18transform_iteratorINSB_9not_fun_tI7is_trueIyEEENSC_INSD_IbEEEENSA_11use_defaultESO_EENS0_5tupleIJSF_S6_EEENSQ_IJSG_SG_EEES6_PlJS6_EEE10hipError_tPvRmT3_T4_T5_T6_T7_T9_mT8_P12ihipStream_tbDpT10_ENKUlT_T0_E_clISt17integral_constantIbLb1EES1D_EEDaS18_S19_EUlS18_E_NS1_11comp_targetILNS1_3genE2ELNS1_11target_archE906ELNS1_3gpuE6ELNS1_3repE0EEENS1_30default_config_static_selectorELNS0_4arch9wavefront6targetE0EEEvT1_,"axG",@progbits,_ZN7rocprim17ROCPRIM_400000_NS6detail17trampoline_kernelINS0_14default_configENS1_25partition_config_selectorILNS1_17partition_subalgoE5EyNS0_10empty_typeEbEEZZNS1_14partition_implILS5_5ELb0ES3_mN6thrust23THRUST_200600_302600_NS6detail15normal_iteratorINSA_10device_ptrIyEEEEPS6_NSA_18transform_iteratorINSB_9not_fun_tI7is_trueIyEEENSC_INSD_IbEEEENSA_11use_defaultESO_EENS0_5tupleIJSF_S6_EEENSQ_IJSG_SG_EEES6_PlJS6_EEE10hipError_tPvRmT3_T4_T5_T6_T7_T9_mT8_P12ihipStream_tbDpT10_ENKUlT_T0_E_clISt17integral_constantIbLb1EES1D_EEDaS18_S19_EUlS18_E_NS1_11comp_targetILNS1_3genE2ELNS1_11target_archE906ELNS1_3gpuE6ELNS1_3repE0EEENS1_30default_config_static_selectorELNS0_4arch9wavefront6targetE0EEEvT1_,comdat
.Lfunc_end2409:
	.size	_ZN7rocprim17ROCPRIM_400000_NS6detail17trampoline_kernelINS0_14default_configENS1_25partition_config_selectorILNS1_17partition_subalgoE5EyNS0_10empty_typeEbEEZZNS1_14partition_implILS5_5ELb0ES3_mN6thrust23THRUST_200600_302600_NS6detail15normal_iteratorINSA_10device_ptrIyEEEEPS6_NSA_18transform_iteratorINSB_9not_fun_tI7is_trueIyEEENSC_INSD_IbEEEENSA_11use_defaultESO_EENS0_5tupleIJSF_S6_EEENSQ_IJSG_SG_EEES6_PlJS6_EEE10hipError_tPvRmT3_T4_T5_T6_T7_T9_mT8_P12ihipStream_tbDpT10_ENKUlT_T0_E_clISt17integral_constantIbLb1EES1D_EEDaS18_S19_EUlS18_E_NS1_11comp_targetILNS1_3genE2ELNS1_11target_archE906ELNS1_3gpuE6ELNS1_3repE0EEENS1_30default_config_static_selectorELNS0_4arch9wavefront6targetE0EEEvT1_, .Lfunc_end2409-_ZN7rocprim17ROCPRIM_400000_NS6detail17trampoline_kernelINS0_14default_configENS1_25partition_config_selectorILNS1_17partition_subalgoE5EyNS0_10empty_typeEbEEZZNS1_14partition_implILS5_5ELb0ES3_mN6thrust23THRUST_200600_302600_NS6detail15normal_iteratorINSA_10device_ptrIyEEEEPS6_NSA_18transform_iteratorINSB_9not_fun_tI7is_trueIyEEENSC_INSD_IbEEEENSA_11use_defaultESO_EENS0_5tupleIJSF_S6_EEENSQ_IJSG_SG_EEES6_PlJS6_EEE10hipError_tPvRmT3_T4_T5_T6_T7_T9_mT8_P12ihipStream_tbDpT10_ENKUlT_T0_E_clISt17integral_constantIbLb1EES1D_EEDaS18_S19_EUlS18_E_NS1_11comp_targetILNS1_3genE2ELNS1_11target_archE906ELNS1_3gpuE6ELNS1_3repE0EEENS1_30default_config_static_selectorELNS0_4arch9wavefront6targetE0EEEvT1_
                                        ; -- End function
	.set _ZN7rocprim17ROCPRIM_400000_NS6detail17trampoline_kernelINS0_14default_configENS1_25partition_config_selectorILNS1_17partition_subalgoE5EyNS0_10empty_typeEbEEZZNS1_14partition_implILS5_5ELb0ES3_mN6thrust23THRUST_200600_302600_NS6detail15normal_iteratorINSA_10device_ptrIyEEEEPS6_NSA_18transform_iteratorINSB_9not_fun_tI7is_trueIyEEENSC_INSD_IbEEEENSA_11use_defaultESO_EENS0_5tupleIJSF_S6_EEENSQ_IJSG_SG_EEES6_PlJS6_EEE10hipError_tPvRmT3_T4_T5_T6_T7_T9_mT8_P12ihipStream_tbDpT10_ENKUlT_T0_E_clISt17integral_constantIbLb1EES1D_EEDaS18_S19_EUlS18_E_NS1_11comp_targetILNS1_3genE2ELNS1_11target_archE906ELNS1_3gpuE6ELNS1_3repE0EEENS1_30default_config_static_selectorELNS0_4arch9wavefront6targetE0EEEvT1_.num_vgpr, 0
	.set _ZN7rocprim17ROCPRIM_400000_NS6detail17trampoline_kernelINS0_14default_configENS1_25partition_config_selectorILNS1_17partition_subalgoE5EyNS0_10empty_typeEbEEZZNS1_14partition_implILS5_5ELb0ES3_mN6thrust23THRUST_200600_302600_NS6detail15normal_iteratorINSA_10device_ptrIyEEEEPS6_NSA_18transform_iteratorINSB_9not_fun_tI7is_trueIyEEENSC_INSD_IbEEEENSA_11use_defaultESO_EENS0_5tupleIJSF_S6_EEENSQ_IJSG_SG_EEES6_PlJS6_EEE10hipError_tPvRmT3_T4_T5_T6_T7_T9_mT8_P12ihipStream_tbDpT10_ENKUlT_T0_E_clISt17integral_constantIbLb1EES1D_EEDaS18_S19_EUlS18_E_NS1_11comp_targetILNS1_3genE2ELNS1_11target_archE906ELNS1_3gpuE6ELNS1_3repE0EEENS1_30default_config_static_selectorELNS0_4arch9wavefront6targetE0EEEvT1_.num_agpr, 0
	.set _ZN7rocprim17ROCPRIM_400000_NS6detail17trampoline_kernelINS0_14default_configENS1_25partition_config_selectorILNS1_17partition_subalgoE5EyNS0_10empty_typeEbEEZZNS1_14partition_implILS5_5ELb0ES3_mN6thrust23THRUST_200600_302600_NS6detail15normal_iteratorINSA_10device_ptrIyEEEEPS6_NSA_18transform_iteratorINSB_9not_fun_tI7is_trueIyEEENSC_INSD_IbEEEENSA_11use_defaultESO_EENS0_5tupleIJSF_S6_EEENSQ_IJSG_SG_EEES6_PlJS6_EEE10hipError_tPvRmT3_T4_T5_T6_T7_T9_mT8_P12ihipStream_tbDpT10_ENKUlT_T0_E_clISt17integral_constantIbLb1EES1D_EEDaS18_S19_EUlS18_E_NS1_11comp_targetILNS1_3genE2ELNS1_11target_archE906ELNS1_3gpuE6ELNS1_3repE0EEENS1_30default_config_static_selectorELNS0_4arch9wavefront6targetE0EEEvT1_.numbered_sgpr, 0
	.set _ZN7rocprim17ROCPRIM_400000_NS6detail17trampoline_kernelINS0_14default_configENS1_25partition_config_selectorILNS1_17partition_subalgoE5EyNS0_10empty_typeEbEEZZNS1_14partition_implILS5_5ELb0ES3_mN6thrust23THRUST_200600_302600_NS6detail15normal_iteratorINSA_10device_ptrIyEEEEPS6_NSA_18transform_iteratorINSB_9not_fun_tI7is_trueIyEEENSC_INSD_IbEEEENSA_11use_defaultESO_EENS0_5tupleIJSF_S6_EEENSQ_IJSG_SG_EEES6_PlJS6_EEE10hipError_tPvRmT3_T4_T5_T6_T7_T9_mT8_P12ihipStream_tbDpT10_ENKUlT_T0_E_clISt17integral_constantIbLb1EES1D_EEDaS18_S19_EUlS18_E_NS1_11comp_targetILNS1_3genE2ELNS1_11target_archE906ELNS1_3gpuE6ELNS1_3repE0EEENS1_30default_config_static_selectorELNS0_4arch9wavefront6targetE0EEEvT1_.num_named_barrier, 0
	.set _ZN7rocprim17ROCPRIM_400000_NS6detail17trampoline_kernelINS0_14default_configENS1_25partition_config_selectorILNS1_17partition_subalgoE5EyNS0_10empty_typeEbEEZZNS1_14partition_implILS5_5ELb0ES3_mN6thrust23THRUST_200600_302600_NS6detail15normal_iteratorINSA_10device_ptrIyEEEEPS6_NSA_18transform_iteratorINSB_9not_fun_tI7is_trueIyEEENSC_INSD_IbEEEENSA_11use_defaultESO_EENS0_5tupleIJSF_S6_EEENSQ_IJSG_SG_EEES6_PlJS6_EEE10hipError_tPvRmT3_T4_T5_T6_T7_T9_mT8_P12ihipStream_tbDpT10_ENKUlT_T0_E_clISt17integral_constantIbLb1EES1D_EEDaS18_S19_EUlS18_E_NS1_11comp_targetILNS1_3genE2ELNS1_11target_archE906ELNS1_3gpuE6ELNS1_3repE0EEENS1_30default_config_static_selectorELNS0_4arch9wavefront6targetE0EEEvT1_.private_seg_size, 0
	.set _ZN7rocprim17ROCPRIM_400000_NS6detail17trampoline_kernelINS0_14default_configENS1_25partition_config_selectorILNS1_17partition_subalgoE5EyNS0_10empty_typeEbEEZZNS1_14partition_implILS5_5ELb0ES3_mN6thrust23THRUST_200600_302600_NS6detail15normal_iteratorINSA_10device_ptrIyEEEEPS6_NSA_18transform_iteratorINSB_9not_fun_tI7is_trueIyEEENSC_INSD_IbEEEENSA_11use_defaultESO_EENS0_5tupleIJSF_S6_EEENSQ_IJSG_SG_EEES6_PlJS6_EEE10hipError_tPvRmT3_T4_T5_T6_T7_T9_mT8_P12ihipStream_tbDpT10_ENKUlT_T0_E_clISt17integral_constantIbLb1EES1D_EEDaS18_S19_EUlS18_E_NS1_11comp_targetILNS1_3genE2ELNS1_11target_archE906ELNS1_3gpuE6ELNS1_3repE0EEENS1_30default_config_static_selectorELNS0_4arch9wavefront6targetE0EEEvT1_.uses_vcc, 0
	.set _ZN7rocprim17ROCPRIM_400000_NS6detail17trampoline_kernelINS0_14default_configENS1_25partition_config_selectorILNS1_17partition_subalgoE5EyNS0_10empty_typeEbEEZZNS1_14partition_implILS5_5ELb0ES3_mN6thrust23THRUST_200600_302600_NS6detail15normal_iteratorINSA_10device_ptrIyEEEEPS6_NSA_18transform_iteratorINSB_9not_fun_tI7is_trueIyEEENSC_INSD_IbEEEENSA_11use_defaultESO_EENS0_5tupleIJSF_S6_EEENSQ_IJSG_SG_EEES6_PlJS6_EEE10hipError_tPvRmT3_T4_T5_T6_T7_T9_mT8_P12ihipStream_tbDpT10_ENKUlT_T0_E_clISt17integral_constantIbLb1EES1D_EEDaS18_S19_EUlS18_E_NS1_11comp_targetILNS1_3genE2ELNS1_11target_archE906ELNS1_3gpuE6ELNS1_3repE0EEENS1_30default_config_static_selectorELNS0_4arch9wavefront6targetE0EEEvT1_.uses_flat_scratch, 0
	.set _ZN7rocprim17ROCPRIM_400000_NS6detail17trampoline_kernelINS0_14default_configENS1_25partition_config_selectorILNS1_17partition_subalgoE5EyNS0_10empty_typeEbEEZZNS1_14partition_implILS5_5ELb0ES3_mN6thrust23THRUST_200600_302600_NS6detail15normal_iteratorINSA_10device_ptrIyEEEEPS6_NSA_18transform_iteratorINSB_9not_fun_tI7is_trueIyEEENSC_INSD_IbEEEENSA_11use_defaultESO_EENS0_5tupleIJSF_S6_EEENSQ_IJSG_SG_EEES6_PlJS6_EEE10hipError_tPvRmT3_T4_T5_T6_T7_T9_mT8_P12ihipStream_tbDpT10_ENKUlT_T0_E_clISt17integral_constantIbLb1EES1D_EEDaS18_S19_EUlS18_E_NS1_11comp_targetILNS1_3genE2ELNS1_11target_archE906ELNS1_3gpuE6ELNS1_3repE0EEENS1_30default_config_static_selectorELNS0_4arch9wavefront6targetE0EEEvT1_.has_dyn_sized_stack, 0
	.set _ZN7rocprim17ROCPRIM_400000_NS6detail17trampoline_kernelINS0_14default_configENS1_25partition_config_selectorILNS1_17partition_subalgoE5EyNS0_10empty_typeEbEEZZNS1_14partition_implILS5_5ELb0ES3_mN6thrust23THRUST_200600_302600_NS6detail15normal_iteratorINSA_10device_ptrIyEEEEPS6_NSA_18transform_iteratorINSB_9not_fun_tI7is_trueIyEEENSC_INSD_IbEEEENSA_11use_defaultESO_EENS0_5tupleIJSF_S6_EEENSQ_IJSG_SG_EEES6_PlJS6_EEE10hipError_tPvRmT3_T4_T5_T6_T7_T9_mT8_P12ihipStream_tbDpT10_ENKUlT_T0_E_clISt17integral_constantIbLb1EES1D_EEDaS18_S19_EUlS18_E_NS1_11comp_targetILNS1_3genE2ELNS1_11target_archE906ELNS1_3gpuE6ELNS1_3repE0EEENS1_30default_config_static_selectorELNS0_4arch9wavefront6targetE0EEEvT1_.has_recursion, 0
	.set _ZN7rocprim17ROCPRIM_400000_NS6detail17trampoline_kernelINS0_14default_configENS1_25partition_config_selectorILNS1_17partition_subalgoE5EyNS0_10empty_typeEbEEZZNS1_14partition_implILS5_5ELb0ES3_mN6thrust23THRUST_200600_302600_NS6detail15normal_iteratorINSA_10device_ptrIyEEEEPS6_NSA_18transform_iteratorINSB_9not_fun_tI7is_trueIyEEENSC_INSD_IbEEEENSA_11use_defaultESO_EENS0_5tupleIJSF_S6_EEENSQ_IJSG_SG_EEES6_PlJS6_EEE10hipError_tPvRmT3_T4_T5_T6_T7_T9_mT8_P12ihipStream_tbDpT10_ENKUlT_T0_E_clISt17integral_constantIbLb1EES1D_EEDaS18_S19_EUlS18_E_NS1_11comp_targetILNS1_3genE2ELNS1_11target_archE906ELNS1_3gpuE6ELNS1_3repE0EEENS1_30default_config_static_selectorELNS0_4arch9wavefront6targetE0EEEvT1_.has_indirect_call, 0
	.section	.AMDGPU.csdata,"",@progbits
; Kernel info:
; codeLenInByte = 0
; TotalNumSgprs: 0
; NumVgprs: 0
; ScratchSize: 0
; MemoryBound: 0
; FloatMode: 240
; IeeeMode: 1
; LDSByteSize: 0 bytes/workgroup (compile time only)
; SGPRBlocks: 0
; VGPRBlocks: 0
; NumSGPRsForWavesPerEU: 1
; NumVGPRsForWavesPerEU: 1
; Occupancy: 16
; WaveLimiterHint : 0
; COMPUTE_PGM_RSRC2:SCRATCH_EN: 0
; COMPUTE_PGM_RSRC2:USER_SGPR: 2
; COMPUTE_PGM_RSRC2:TRAP_HANDLER: 0
; COMPUTE_PGM_RSRC2:TGID_X_EN: 1
; COMPUTE_PGM_RSRC2:TGID_Y_EN: 0
; COMPUTE_PGM_RSRC2:TGID_Z_EN: 0
; COMPUTE_PGM_RSRC2:TIDIG_COMP_CNT: 0
	.section	.text._ZN7rocprim17ROCPRIM_400000_NS6detail17trampoline_kernelINS0_14default_configENS1_25partition_config_selectorILNS1_17partition_subalgoE5EyNS0_10empty_typeEbEEZZNS1_14partition_implILS5_5ELb0ES3_mN6thrust23THRUST_200600_302600_NS6detail15normal_iteratorINSA_10device_ptrIyEEEEPS6_NSA_18transform_iteratorINSB_9not_fun_tI7is_trueIyEEENSC_INSD_IbEEEENSA_11use_defaultESO_EENS0_5tupleIJSF_S6_EEENSQ_IJSG_SG_EEES6_PlJS6_EEE10hipError_tPvRmT3_T4_T5_T6_T7_T9_mT8_P12ihipStream_tbDpT10_ENKUlT_T0_E_clISt17integral_constantIbLb1EES1D_EEDaS18_S19_EUlS18_E_NS1_11comp_targetILNS1_3genE10ELNS1_11target_archE1200ELNS1_3gpuE4ELNS1_3repE0EEENS1_30default_config_static_selectorELNS0_4arch9wavefront6targetE0EEEvT1_,"axG",@progbits,_ZN7rocprim17ROCPRIM_400000_NS6detail17trampoline_kernelINS0_14default_configENS1_25partition_config_selectorILNS1_17partition_subalgoE5EyNS0_10empty_typeEbEEZZNS1_14partition_implILS5_5ELb0ES3_mN6thrust23THRUST_200600_302600_NS6detail15normal_iteratorINSA_10device_ptrIyEEEEPS6_NSA_18transform_iteratorINSB_9not_fun_tI7is_trueIyEEENSC_INSD_IbEEEENSA_11use_defaultESO_EENS0_5tupleIJSF_S6_EEENSQ_IJSG_SG_EEES6_PlJS6_EEE10hipError_tPvRmT3_T4_T5_T6_T7_T9_mT8_P12ihipStream_tbDpT10_ENKUlT_T0_E_clISt17integral_constantIbLb1EES1D_EEDaS18_S19_EUlS18_E_NS1_11comp_targetILNS1_3genE10ELNS1_11target_archE1200ELNS1_3gpuE4ELNS1_3repE0EEENS1_30default_config_static_selectorELNS0_4arch9wavefront6targetE0EEEvT1_,comdat
	.protected	_ZN7rocprim17ROCPRIM_400000_NS6detail17trampoline_kernelINS0_14default_configENS1_25partition_config_selectorILNS1_17partition_subalgoE5EyNS0_10empty_typeEbEEZZNS1_14partition_implILS5_5ELb0ES3_mN6thrust23THRUST_200600_302600_NS6detail15normal_iteratorINSA_10device_ptrIyEEEEPS6_NSA_18transform_iteratorINSB_9not_fun_tI7is_trueIyEEENSC_INSD_IbEEEENSA_11use_defaultESO_EENS0_5tupleIJSF_S6_EEENSQ_IJSG_SG_EEES6_PlJS6_EEE10hipError_tPvRmT3_T4_T5_T6_T7_T9_mT8_P12ihipStream_tbDpT10_ENKUlT_T0_E_clISt17integral_constantIbLb1EES1D_EEDaS18_S19_EUlS18_E_NS1_11comp_targetILNS1_3genE10ELNS1_11target_archE1200ELNS1_3gpuE4ELNS1_3repE0EEENS1_30default_config_static_selectorELNS0_4arch9wavefront6targetE0EEEvT1_ ; -- Begin function _ZN7rocprim17ROCPRIM_400000_NS6detail17trampoline_kernelINS0_14default_configENS1_25partition_config_selectorILNS1_17partition_subalgoE5EyNS0_10empty_typeEbEEZZNS1_14partition_implILS5_5ELb0ES3_mN6thrust23THRUST_200600_302600_NS6detail15normal_iteratorINSA_10device_ptrIyEEEEPS6_NSA_18transform_iteratorINSB_9not_fun_tI7is_trueIyEEENSC_INSD_IbEEEENSA_11use_defaultESO_EENS0_5tupleIJSF_S6_EEENSQ_IJSG_SG_EEES6_PlJS6_EEE10hipError_tPvRmT3_T4_T5_T6_T7_T9_mT8_P12ihipStream_tbDpT10_ENKUlT_T0_E_clISt17integral_constantIbLb1EES1D_EEDaS18_S19_EUlS18_E_NS1_11comp_targetILNS1_3genE10ELNS1_11target_archE1200ELNS1_3gpuE4ELNS1_3repE0EEENS1_30default_config_static_selectorELNS0_4arch9wavefront6targetE0EEEvT1_
	.globl	_ZN7rocprim17ROCPRIM_400000_NS6detail17trampoline_kernelINS0_14default_configENS1_25partition_config_selectorILNS1_17partition_subalgoE5EyNS0_10empty_typeEbEEZZNS1_14partition_implILS5_5ELb0ES3_mN6thrust23THRUST_200600_302600_NS6detail15normal_iteratorINSA_10device_ptrIyEEEEPS6_NSA_18transform_iteratorINSB_9not_fun_tI7is_trueIyEEENSC_INSD_IbEEEENSA_11use_defaultESO_EENS0_5tupleIJSF_S6_EEENSQ_IJSG_SG_EEES6_PlJS6_EEE10hipError_tPvRmT3_T4_T5_T6_T7_T9_mT8_P12ihipStream_tbDpT10_ENKUlT_T0_E_clISt17integral_constantIbLb1EES1D_EEDaS18_S19_EUlS18_E_NS1_11comp_targetILNS1_3genE10ELNS1_11target_archE1200ELNS1_3gpuE4ELNS1_3repE0EEENS1_30default_config_static_selectorELNS0_4arch9wavefront6targetE0EEEvT1_
	.p2align	8
	.type	_ZN7rocprim17ROCPRIM_400000_NS6detail17trampoline_kernelINS0_14default_configENS1_25partition_config_selectorILNS1_17partition_subalgoE5EyNS0_10empty_typeEbEEZZNS1_14partition_implILS5_5ELb0ES3_mN6thrust23THRUST_200600_302600_NS6detail15normal_iteratorINSA_10device_ptrIyEEEEPS6_NSA_18transform_iteratorINSB_9not_fun_tI7is_trueIyEEENSC_INSD_IbEEEENSA_11use_defaultESO_EENS0_5tupleIJSF_S6_EEENSQ_IJSG_SG_EEES6_PlJS6_EEE10hipError_tPvRmT3_T4_T5_T6_T7_T9_mT8_P12ihipStream_tbDpT10_ENKUlT_T0_E_clISt17integral_constantIbLb1EES1D_EEDaS18_S19_EUlS18_E_NS1_11comp_targetILNS1_3genE10ELNS1_11target_archE1200ELNS1_3gpuE4ELNS1_3repE0EEENS1_30default_config_static_selectorELNS0_4arch9wavefront6targetE0EEEvT1_,@function
_ZN7rocprim17ROCPRIM_400000_NS6detail17trampoline_kernelINS0_14default_configENS1_25partition_config_selectorILNS1_17partition_subalgoE5EyNS0_10empty_typeEbEEZZNS1_14partition_implILS5_5ELb0ES3_mN6thrust23THRUST_200600_302600_NS6detail15normal_iteratorINSA_10device_ptrIyEEEEPS6_NSA_18transform_iteratorINSB_9not_fun_tI7is_trueIyEEENSC_INSD_IbEEEENSA_11use_defaultESO_EENS0_5tupleIJSF_S6_EEENSQ_IJSG_SG_EEES6_PlJS6_EEE10hipError_tPvRmT3_T4_T5_T6_T7_T9_mT8_P12ihipStream_tbDpT10_ENKUlT_T0_E_clISt17integral_constantIbLb1EES1D_EEDaS18_S19_EUlS18_E_NS1_11comp_targetILNS1_3genE10ELNS1_11target_archE1200ELNS1_3gpuE4ELNS1_3repE0EEENS1_30default_config_static_selectorELNS0_4arch9wavefront6targetE0EEEvT1_: ; @_ZN7rocprim17ROCPRIM_400000_NS6detail17trampoline_kernelINS0_14default_configENS1_25partition_config_selectorILNS1_17partition_subalgoE5EyNS0_10empty_typeEbEEZZNS1_14partition_implILS5_5ELb0ES3_mN6thrust23THRUST_200600_302600_NS6detail15normal_iteratorINSA_10device_ptrIyEEEEPS6_NSA_18transform_iteratorINSB_9not_fun_tI7is_trueIyEEENSC_INSD_IbEEEENSA_11use_defaultESO_EENS0_5tupleIJSF_S6_EEENSQ_IJSG_SG_EEES6_PlJS6_EEE10hipError_tPvRmT3_T4_T5_T6_T7_T9_mT8_P12ihipStream_tbDpT10_ENKUlT_T0_E_clISt17integral_constantIbLb1EES1D_EEDaS18_S19_EUlS18_E_NS1_11comp_targetILNS1_3genE10ELNS1_11target_archE1200ELNS1_3gpuE4ELNS1_3repE0EEENS1_30default_config_static_selectorELNS0_4arch9wavefront6targetE0EEEvT1_
; %bb.0:
	s_endpgm
	.section	.rodata,"a",@progbits
	.p2align	6, 0x0
	.amdhsa_kernel _ZN7rocprim17ROCPRIM_400000_NS6detail17trampoline_kernelINS0_14default_configENS1_25partition_config_selectorILNS1_17partition_subalgoE5EyNS0_10empty_typeEbEEZZNS1_14partition_implILS5_5ELb0ES3_mN6thrust23THRUST_200600_302600_NS6detail15normal_iteratorINSA_10device_ptrIyEEEEPS6_NSA_18transform_iteratorINSB_9not_fun_tI7is_trueIyEEENSC_INSD_IbEEEENSA_11use_defaultESO_EENS0_5tupleIJSF_S6_EEENSQ_IJSG_SG_EEES6_PlJS6_EEE10hipError_tPvRmT3_T4_T5_T6_T7_T9_mT8_P12ihipStream_tbDpT10_ENKUlT_T0_E_clISt17integral_constantIbLb1EES1D_EEDaS18_S19_EUlS18_E_NS1_11comp_targetILNS1_3genE10ELNS1_11target_archE1200ELNS1_3gpuE4ELNS1_3repE0EEENS1_30default_config_static_selectorELNS0_4arch9wavefront6targetE0EEEvT1_
		.amdhsa_group_segment_fixed_size 0
		.amdhsa_private_segment_fixed_size 0
		.amdhsa_kernarg_size 136
		.amdhsa_user_sgpr_count 2
		.amdhsa_user_sgpr_dispatch_ptr 0
		.amdhsa_user_sgpr_queue_ptr 0
		.amdhsa_user_sgpr_kernarg_segment_ptr 1
		.amdhsa_user_sgpr_dispatch_id 0
		.amdhsa_user_sgpr_private_segment_size 0
		.amdhsa_wavefront_size32 1
		.amdhsa_uses_dynamic_stack 0
		.amdhsa_enable_private_segment 0
		.amdhsa_system_sgpr_workgroup_id_x 1
		.amdhsa_system_sgpr_workgroup_id_y 0
		.amdhsa_system_sgpr_workgroup_id_z 0
		.amdhsa_system_sgpr_workgroup_info 0
		.amdhsa_system_vgpr_workitem_id 0
		.amdhsa_next_free_vgpr 1
		.amdhsa_next_free_sgpr 1
		.amdhsa_reserve_vcc 0
		.amdhsa_float_round_mode_32 0
		.amdhsa_float_round_mode_16_64 0
		.amdhsa_float_denorm_mode_32 3
		.amdhsa_float_denorm_mode_16_64 3
		.amdhsa_fp16_overflow 0
		.amdhsa_workgroup_processor_mode 1
		.amdhsa_memory_ordered 1
		.amdhsa_forward_progress 1
		.amdhsa_inst_pref_size 1
		.amdhsa_round_robin_scheduling 0
		.amdhsa_exception_fp_ieee_invalid_op 0
		.amdhsa_exception_fp_denorm_src 0
		.amdhsa_exception_fp_ieee_div_zero 0
		.amdhsa_exception_fp_ieee_overflow 0
		.amdhsa_exception_fp_ieee_underflow 0
		.amdhsa_exception_fp_ieee_inexact 0
		.amdhsa_exception_int_div_zero 0
	.end_amdhsa_kernel
	.section	.text._ZN7rocprim17ROCPRIM_400000_NS6detail17trampoline_kernelINS0_14default_configENS1_25partition_config_selectorILNS1_17partition_subalgoE5EyNS0_10empty_typeEbEEZZNS1_14partition_implILS5_5ELb0ES3_mN6thrust23THRUST_200600_302600_NS6detail15normal_iteratorINSA_10device_ptrIyEEEEPS6_NSA_18transform_iteratorINSB_9not_fun_tI7is_trueIyEEENSC_INSD_IbEEEENSA_11use_defaultESO_EENS0_5tupleIJSF_S6_EEENSQ_IJSG_SG_EEES6_PlJS6_EEE10hipError_tPvRmT3_T4_T5_T6_T7_T9_mT8_P12ihipStream_tbDpT10_ENKUlT_T0_E_clISt17integral_constantIbLb1EES1D_EEDaS18_S19_EUlS18_E_NS1_11comp_targetILNS1_3genE10ELNS1_11target_archE1200ELNS1_3gpuE4ELNS1_3repE0EEENS1_30default_config_static_selectorELNS0_4arch9wavefront6targetE0EEEvT1_,"axG",@progbits,_ZN7rocprim17ROCPRIM_400000_NS6detail17trampoline_kernelINS0_14default_configENS1_25partition_config_selectorILNS1_17partition_subalgoE5EyNS0_10empty_typeEbEEZZNS1_14partition_implILS5_5ELb0ES3_mN6thrust23THRUST_200600_302600_NS6detail15normal_iteratorINSA_10device_ptrIyEEEEPS6_NSA_18transform_iteratorINSB_9not_fun_tI7is_trueIyEEENSC_INSD_IbEEEENSA_11use_defaultESO_EENS0_5tupleIJSF_S6_EEENSQ_IJSG_SG_EEES6_PlJS6_EEE10hipError_tPvRmT3_T4_T5_T6_T7_T9_mT8_P12ihipStream_tbDpT10_ENKUlT_T0_E_clISt17integral_constantIbLb1EES1D_EEDaS18_S19_EUlS18_E_NS1_11comp_targetILNS1_3genE10ELNS1_11target_archE1200ELNS1_3gpuE4ELNS1_3repE0EEENS1_30default_config_static_selectorELNS0_4arch9wavefront6targetE0EEEvT1_,comdat
.Lfunc_end2410:
	.size	_ZN7rocprim17ROCPRIM_400000_NS6detail17trampoline_kernelINS0_14default_configENS1_25partition_config_selectorILNS1_17partition_subalgoE5EyNS0_10empty_typeEbEEZZNS1_14partition_implILS5_5ELb0ES3_mN6thrust23THRUST_200600_302600_NS6detail15normal_iteratorINSA_10device_ptrIyEEEEPS6_NSA_18transform_iteratorINSB_9not_fun_tI7is_trueIyEEENSC_INSD_IbEEEENSA_11use_defaultESO_EENS0_5tupleIJSF_S6_EEENSQ_IJSG_SG_EEES6_PlJS6_EEE10hipError_tPvRmT3_T4_T5_T6_T7_T9_mT8_P12ihipStream_tbDpT10_ENKUlT_T0_E_clISt17integral_constantIbLb1EES1D_EEDaS18_S19_EUlS18_E_NS1_11comp_targetILNS1_3genE10ELNS1_11target_archE1200ELNS1_3gpuE4ELNS1_3repE0EEENS1_30default_config_static_selectorELNS0_4arch9wavefront6targetE0EEEvT1_, .Lfunc_end2410-_ZN7rocprim17ROCPRIM_400000_NS6detail17trampoline_kernelINS0_14default_configENS1_25partition_config_selectorILNS1_17partition_subalgoE5EyNS0_10empty_typeEbEEZZNS1_14partition_implILS5_5ELb0ES3_mN6thrust23THRUST_200600_302600_NS6detail15normal_iteratorINSA_10device_ptrIyEEEEPS6_NSA_18transform_iteratorINSB_9not_fun_tI7is_trueIyEEENSC_INSD_IbEEEENSA_11use_defaultESO_EENS0_5tupleIJSF_S6_EEENSQ_IJSG_SG_EEES6_PlJS6_EEE10hipError_tPvRmT3_T4_T5_T6_T7_T9_mT8_P12ihipStream_tbDpT10_ENKUlT_T0_E_clISt17integral_constantIbLb1EES1D_EEDaS18_S19_EUlS18_E_NS1_11comp_targetILNS1_3genE10ELNS1_11target_archE1200ELNS1_3gpuE4ELNS1_3repE0EEENS1_30default_config_static_selectorELNS0_4arch9wavefront6targetE0EEEvT1_
                                        ; -- End function
	.set _ZN7rocprim17ROCPRIM_400000_NS6detail17trampoline_kernelINS0_14default_configENS1_25partition_config_selectorILNS1_17partition_subalgoE5EyNS0_10empty_typeEbEEZZNS1_14partition_implILS5_5ELb0ES3_mN6thrust23THRUST_200600_302600_NS6detail15normal_iteratorINSA_10device_ptrIyEEEEPS6_NSA_18transform_iteratorINSB_9not_fun_tI7is_trueIyEEENSC_INSD_IbEEEENSA_11use_defaultESO_EENS0_5tupleIJSF_S6_EEENSQ_IJSG_SG_EEES6_PlJS6_EEE10hipError_tPvRmT3_T4_T5_T6_T7_T9_mT8_P12ihipStream_tbDpT10_ENKUlT_T0_E_clISt17integral_constantIbLb1EES1D_EEDaS18_S19_EUlS18_E_NS1_11comp_targetILNS1_3genE10ELNS1_11target_archE1200ELNS1_3gpuE4ELNS1_3repE0EEENS1_30default_config_static_selectorELNS0_4arch9wavefront6targetE0EEEvT1_.num_vgpr, 0
	.set _ZN7rocprim17ROCPRIM_400000_NS6detail17trampoline_kernelINS0_14default_configENS1_25partition_config_selectorILNS1_17partition_subalgoE5EyNS0_10empty_typeEbEEZZNS1_14partition_implILS5_5ELb0ES3_mN6thrust23THRUST_200600_302600_NS6detail15normal_iteratorINSA_10device_ptrIyEEEEPS6_NSA_18transform_iteratorINSB_9not_fun_tI7is_trueIyEEENSC_INSD_IbEEEENSA_11use_defaultESO_EENS0_5tupleIJSF_S6_EEENSQ_IJSG_SG_EEES6_PlJS6_EEE10hipError_tPvRmT3_T4_T5_T6_T7_T9_mT8_P12ihipStream_tbDpT10_ENKUlT_T0_E_clISt17integral_constantIbLb1EES1D_EEDaS18_S19_EUlS18_E_NS1_11comp_targetILNS1_3genE10ELNS1_11target_archE1200ELNS1_3gpuE4ELNS1_3repE0EEENS1_30default_config_static_selectorELNS0_4arch9wavefront6targetE0EEEvT1_.num_agpr, 0
	.set _ZN7rocprim17ROCPRIM_400000_NS6detail17trampoline_kernelINS0_14default_configENS1_25partition_config_selectorILNS1_17partition_subalgoE5EyNS0_10empty_typeEbEEZZNS1_14partition_implILS5_5ELb0ES3_mN6thrust23THRUST_200600_302600_NS6detail15normal_iteratorINSA_10device_ptrIyEEEEPS6_NSA_18transform_iteratorINSB_9not_fun_tI7is_trueIyEEENSC_INSD_IbEEEENSA_11use_defaultESO_EENS0_5tupleIJSF_S6_EEENSQ_IJSG_SG_EEES6_PlJS6_EEE10hipError_tPvRmT3_T4_T5_T6_T7_T9_mT8_P12ihipStream_tbDpT10_ENKUlT_T0_E_clISt17integral_constantIbLb1EES1D_EEDaS18_S19_EUlS18_E_NS1_11comp_targetILNS1_3genE10ELNS1_11target_archE1200ELNS1_3gpuE4ELNS1_3repE0EEENS1_30default_config_static_selectorELNS0_4arch9wavefront6targetE0EEEvT1_.numbered_sgpr, 0
	.set _ZN7rocprim17ROCPRIM_400000_NS6detail17trampoline_kernelINS0_14default_configENS1_25partition_config_selectorILNS1_17partition_subalgoE5EyNS0_10empty_typeEbEEZZNS1_14partition_implILS5_5ELb0ES3_mN6thrust23THRUST_200600_302600_NS6detail15normal_iteratorINSA_10device_ptrIyEEEEPS6_NSA_18transform_iteratorINSB_9not_fun_tI7is_trueIyEEENSC_INSD_IbEEEENSA_11use_defaultESO_EENS0_5tupleIJSF_S6_EEENSQ_IJSG_SG_EEES6_PlJS6_EEE10hipError_tPvRmT3_T4_T5_T6_T7_T9_mT8_P12ihipStream_tbDpT10_ENKUlT_T0_E_clISt17integral_constantIbLb1EES1D_EEDaS18_S19_EUlS18_E_NS1_11comp_targetILNS1_3genE10ELNS1_11target_archE1200ELNS1_3gpuE4ELNS1_3repE0EEENS1_30default_config_static_selectorELNS0_4arch9wavefront6targetE0EEEvT1_.num_named_barrier, 0
	.set _ZN7rocprim17ROCPRIM_400000_NS6detail17trampoline_kernelINS0_14default_configENS1_25partition_config_selectorILNS1_17partition_subalgoE5EyNS0_10empty_typeEbEEZZNS1_14partition_implILS5_5ELb0ES3_mN6thrust23THRUST_200600_302600_NS6detail15normal_iteratorINSA_10device_ptrIyEEEEPS6_NSA_18transform_iteratorINSB_9not_fun_tI7is_trueIyEEENSC_INSD_IbEEEENSA_11use_defaultESO_EENS0_5tupleIJSF_S6_EEENSQ_IJSG_SG_EEES6_PlJS6_EEE10hipError_tPvRmT3_T4_T5_T6_T7_T9_mT8_P12ihipStream_tbDpT10_ENKUlT_T0_E_clISt17integral_constantIbLb1EES1D_EEDaS18_S19_EUlS18_E_NS1_11comp_targetILNS1_3genE10ELNS1_11target_archE1200ELNS1_3gpuE4ELNS1_3repE0EEENS1_30default_config_static_selectorELNS0_4arch9wavefront6targetE0EEEvT1_.private_seg_size, 0
	.set _ZN7rocprim17ROCPRIM_400000_NS6detail17trampoline_kernelINS0_14default_configENS1_25partition_config_selectorILNS1_17partition_subalgoE5EyNS0_10empty_typeEbEEZZNS1_14partition_implILS5_5ELb0ES3_mN6thrust23THRUST_200600_302600_NS6detail15normal_iteratorINSA_10device_ptrIyEEEEPS6_NSA_18transform_iteratorINSB_9not_fun_tI7is_trueIyEEENSC_INSD_IbEEEENSA_11use_defaultESO_EENS0_5tupleIJSF_S6_EEENSQ_IJSG_SG_EEES6_PlJS6_EEE10hipError_tPvRmT3_T4_T5_T6_T7_T9_mT8_P12ihipStream_tbDpT10_ENKUlT_T0_E_clISt17integral_constantIbLb1EES1D_EEDaS18_S19_EUlS18_E_NS1_11comp_targetILNS1_3genE10ELNS1_11target_archE1200ELNS1_3gpuE4ELNS1_3repE0EEENS1_30default_config_static_selectorELNS0_4arch9wavefront6targetE0EEEvT1_.uses_vcc, 0
	.set _ZN7rocprim17ROCPRIM_400000_NS6detail17trampoline_kernelINS0_14default_configENS1_25partition_config_selectorILNS1_17partition_subalgoE5EyNS0_10empty_typeEbEEZZNS1_14partition_implILS5_5ELb0ES3_mN6thrust23THRUST_200600_302600_NS6detail15normal_iteratorINSA_10device_ptrIyEEEEPS6_NSA_18transform_iteratorINSB_9not_fun_tI7is_trueIyEEENSC_INSD_IbEEEENSA_11use_defaultESO_EENS0_5tupleIJSF_S6_EEENSQ_IJSG_SG_EEES6_PlJS6_EEE10hipError_tPvRmT3_T4_T5_T6_T7_T9_mT8_P12ihipStream_tbDpT10_ENKUlT_T0_E_clISt17integral_constantIbLb1EES1D_EEDaS18_S19_EUlS18_E_NS1_11comp_targetILNS1_3genE10ELNS1_11target_archE1200ELNS1_3gpuE4ELNS1_3repE0EEENS1_30default_config_static_selectorELNS0_4arch9wavefront6targetE0EEEvT1_.uses_flat_scratch, 0
	.set _ZN7rocprim17ROCPRIM_400000_NS6detail17trampoline_kernelINS0_14default_configENS1_25partition_config_selectorILNS1_17partition_subalgoE5EyNS0_10empty_typeEbEEZZNS1_14partition_implILS5_5ELb0ES3_mN6thrust23THRUST_200600_302600_NS6detail15normal_iteratorINSA_10device_ptrIyEEEEPS6_NSA_18transform_iteratorINSB_9not_fun_tI7is_trueIyEEENSC_INSD_IbEEEENSA_11use_defaultESO_EENS0_5tupleIJSF_S6_EEENSQ_IJSG_SG_EEES6_PlJS6_EEE10hipError_tPvRmT3_T4_T5_T6_T7_T9_mT8_P12ihipStream_tbDpT10_ENKUlT_T0_E_clISt17integral_constantIbLb1EES1D_EEDaS18_S19_EUlS18_E_NS1_11comp_targetILNS1_3genE10ELNS1_11target_archE1200ELNS1_3gpuE4ELNS1_3repE0EEENS1_30default_config_static_selectorELNS0_4arch9wavefront6targetE0EEEvT1_.has_dyn_sized_stack, 0
	.set _ZN7rocprim17ROCPRIM_400000_NS6detail17trampoline_kernelINS0_14default_configENS1_25partition_config_selectorILNS1_17partition_subalgoE5EyNS0_10empty_typeEbEEZZNS1_14partition_implILS5_5ELb0ES3_mN6thrust23THRUST_200600_302600_NS6detail15normal_iteratorINSA_10device_ptrIyEEEEPS6_NSA_18transform_iteratorINSB_9not_fun_tI7is_trueIyEEENSC_INSD_IbEEEENSA_11use_defaultESO_EENS0_5tupleIJSF_S6_EEENSQ_IJSG_SG_EEES6_PlJS6_EEE10hipError_tPvRmT3_T4_T5_T6_T7_T9_mT8_P12ihipStream_tbDpT10_ENKUlT_T0_E_clISt17integral_constantIbLb1EES1D_EEDaS18_S19_EUlS18_E_NS1_11comp_targetILNS1_3genE10ELNS1_11target_archE1200ELNS1_3gpuE4ELNS1_3repE0EEENS1_30default_config_static_selectorELNS0_4arch9wavefront6targetE0EEEvT1_.has_recursion, 0
	.set _ZN7rocprim17ROCPRIM_400000_NS6detail17trampoline_kernelINS0_14default_configENS1_25partition_config_selectorILNS1_17partition_subalgoE5EyNS0_10empty_typeEbEEZZNS1_14partition_implILS5_5ELb0ES3_mN6thrust23THRUST_200600_302600_NS6detail15normal_iteratorINSA_10device_ptrIyEEEEPS6_NSA_18transform_iteratorINSB_9not_fun_tI7is_trueIyEEENSC_INSD_IbEEEENSA_11use_defaultESO_EENS0_5tupleIJSF_S6_EEENSQ_IJSG_SG_EEES6_PlJS6_EEE10hipError_tPvRmT3_T4_T5_T6_T7_T9_mT8_P12ihipStream_tbDpT10_ENKUlT_T0_E_clISt17integral_constantIbLb1EES1D_EEDaS18_S19_EUlS18_E_NS1_11comp_targetILNS1_3genE10ELNS1_11target_archE1200ELNS1_3gpuE4ELNS1_3repE0EEENS1_30default_config_static_selectorELNS0_4arch9wavefront6targetE0EEEvT1_.has_indirect_call, 0
	.section	.AMDGPU.csdata,"",@progbits
; Kernel info:
; codeLenInByte = 4
; TotalNumSgprs: 0
; NumVgprs: 0
; ScratchSize: 0
; MemoryBound: 0
; FloatMode: 240
; IeeeMode: 1
; LDSByteSize: 0 bytes/workgroup (compile time only)
; SGPRBlocks: 0
; VGPRBlocks: 0
; NumSGPRsForWavesPerEU: 1
; NumVGPRsForWavesPerEU: 1
; Occupancy: 16
; WaveLimiterHint : 0
; COMPUTE_PGM_RSRC2:SCRATCH_EN: 0
; COMPUTE_PGM_RSRC2:USER_SGPR: 2
; COMPUTE_PGM_RSRC2:TRAP_HANDLER: 0
; COMPUTE_PGM_RSRC2:TGID_X_EN: 1
; COMPUTE_PGM_RSRC2:TGID_Y_EN: 0
; COMPUTE_PGM_RSRC2:TGID_Z_EN: 0
; COMPUTE_PGM_RSRC2:TIDIG_COMP_CNT: 0
	.section	.text._ZN7rocprim17ROCPRIM_400000_NS6detail17trampoline_kernelINS0_14default_configENS1_25partition_config_selectorILNS1_17partition_subalgoE5EyNS0_10empty_typeEbEEZZNS1_14partition_implILS5_5ELb0ES3_mN6thrust23THRUST_200600_302600_NS6detail15normal_iteratorINSA_10device_ptrIyEEEEPS6_NSA_18transform_iteratorINSB_9not_fun_tI7is_trueIyEEENSC_INSD_IbEEEENSA_11use_defaultESO_EENS0_5tupleIJSF_S6_EEENSQ_IJSG_SG_EEES6_PlJS6_EEE10hipError_tPvRmT3_T4_T5_T6_T7_T9_mT8_P12ihipStream_tbDpT10_ENKUlT_T0_E_clISt17integral_constantIbLb1EES1D_EEDaS18_S19_EUlS18_E_NS1_11comp_targetILNS1_3genE9ELNS1_11target_archE1100ELNS1_3gpuE3ELNS1_3repE0EEENS1_30default_config_static_selectorELNS0_4arch9wavefront6targetE0EEEvT1_,"axG",@progbits,_ZN7rocprim17ROCPRIM_400000_NS6detail17trampoline_kernelINS0_14default_configENS1_25partition_config_selectorILNS1_17partition_subalgoE5EyNS0_10empty_typeEbEEZZNS1_14partition_implILS5_5ELb0ES3_mN6thrust23THRUST_200600_302600_NS6detail15normal_iteratorINSA_10device_ptrIyEEEEPS6_NSA_18transform_iteratorINSB_9not_fun_tI7is_trueIyEEENSC_INSD_IbEEEENSA_11use_defaultESO_EENS0_5tupleIJSF_S6_EEENSQ_IJSG_SG_EEES6_PlJS6_EEE10hipError_tPvRmT3_T4_T5_T6_T7_T9_mT8_P12ihipStream_tbDpT10_ENKUlT_T0_E_clISt17integral_constantIbLb1EES1D_EEDaS18_S19_EUlS18_E_NS1_11comp_targetILNS1_3genE9ELNS1_11target_archE1100ELNS1_3gpuE3ELNS1_3repE0EEENS1_30default_config_static_selectorELNS0_4arch9wavefront6targetE0EEEvT1_,comdat
	.protected	_ZN7rocprim17ROCPRIM_400000_NS6detail17trampoline_kernelINS0_14default_configENS1_25partition_config_selectorILNS1_17partition_subalgoE5EyNS0_10empty_typeEbEEZZNS1_14partition_implILS5_5ELb0ES3_mN6thrust23THRUST_200600_302600_NS6detail15normal_iteratorINSA_10device_ptrIyEEEEPS6_NSA_18transform_iteratorINSB_9not_fun_tI7is_trueIyEEENSC_INSD_IbEEEENSA_11use_defaultESO_EENS0_5tupleIJSF_S6_EEENSQ_IJSG_SG_EEES6_PlJS6_EEE10hipError_tPvRmT3_T4_T5_T6_T7_T9_mT8_P12ihipStream_tbDpT10_ENKUlT_T0_E_clISt17integral_constantIbLb1EES1D_EEDaS18_S19_EUlS18_E_NS1_11comp_targetILNS1_3genE9ELNS1_11target_archE1100ELNS1_3gpuE3ELNS1_3repE0EEENS1_30default_config_static_selectorELNS0_4arch9wavefront6targetE0EEEvT1_ ; -- Begin function _ZN7rocprim17ROCPRIM_400000_NS6detail17trampoline_kernelINS0_14default_configENS1_25partition_config_selectorILNS1_17partition_subalgoE5EyNS0_10empty_typeEbEEZZNS1_14partition_implILS5_5ELb0ES3_mN6thrust23THRUST_200600_302600_NS6detail15normal_iteratorINSA_10device_ptrIyEEEEPS6_NSA_18transform_iteratorINSB_9not_fun_tI7is_trueIyEEENSC_INSD_IbEEEENSA_11use_defaultESO_EENS0_5tupleIJSF_S6_EEENSQ_IJSG_SG_EEES6_PlJS6_EEE10hipError_tPvRmT3_T4_T5_T6_T7_T9_mT8_P12ihipStream_tbDpT10_ENKUlT_T0_E_clISt17integral_constantIbLb1EES1D_EEDaS18_S19_EUlS18_E_NS1_11comp_targetILNS1_3genE9ELNS1_11target_archE1100ELNS1_3gpuE3ELNS1_3repE0EEENS1_30default_config_static_selectorELNS0_4arch9wavefront6targetE0EEEvT1_
	.globl	_ZN7rocprim17ROCPRIM_400000_NS6detail17trampoline_kernelINS0_14default_configENS1_25partition_config_selectorILNS1_17partition_subalgoE5EyNS0_10empty_typeEbEEZZNS1_14partition_implILS5_5ELb0ES3_mN6thrust23THRUST_200600_302600_NS6detail15normal_iteratorINSA_10device_ptrIyEEEEPS6_NSA_18transform_iteratorINSB_9not_fun_tI7is_trueIyEEENSC_INSD_IbEEEENSA_11use_defaultESO_EENS0_5tupleIJSF_S6_EEENSQ_IJSG_SG_EEES6_PlJS6_EEE10hipError_tPvRmT3_T4_T5_T6_T7_T9_mT8_P12ihipStream_tbDpT10_ENKUlT_T0_E_clISt17integral_constantIbLb1EES1D_EEDaS18_S19_EUlS18_E_NS1_11comp_targetILNS1_3genE9ELNS1_11target_archE1100ELNS1_3gpuE3ELNS1_3repE0EEENS1_30default_config_static_selectorELNS0_4arch9wavefront6targetE0EEEvT1_
	.p2align	8
	.type	_ZN7rocprim17ROCPRIM_400000_NS6detail17trampoline_kernelINS0_14default_configENS1_25partition_config_selectorILNS1_17partition_subalgoE5EyNS0_10empty_typeEbEEZZNS1_14partition_implILS5_5ELb0ES3_mN6thrust23THRUST_200600_302600_NS6detail15normal_iteratorINSA_10device_ptrIyEEEEPS6_NSA_18transform_iteratorINSB_9not_fun_tI7is_trueIyEEENSC_INSD_IbEEEENSA_11use_defaultESO_EENS0_5tupleIJSF_S6_EEENSQ_IJSG_SG_EEES6_PlJS6_EEE10hipError_tPvRmT3_T4_T5_T6_T7_T9_mT8_P12ihipStream_tbDpT10_ENKUlT_T0_E_clISt17integral_constantIbLb1EES1D_EEDaS18_S19_EUlS18_E_NS1_11comp_targetILNS1_3genE9ELNS1_11target_archE1100ELNS1_3gpuE3ELNS1_3repE0EEENS1_30default_config_static_selectorELNS0_4arch9wavefront6targetE0EEEvT1_,@function
_ZN7rocprim17ROCPRIM_400000_NS6detail17trampoline_kernelINS0_14default_configENS1_25partition_config_selectorILNS1_17partition_subalgoE5EyNS0_10empty_typeEbEEZZNS1_14partition_implILS5_5ELb0ES3_mN6thrust23THRUST_200600_302600_NS6detail15normal_iteratorINSA_10device_ptrIyEEEEPS6_NSA_18transform_iteratorINSB_9not_fun_tI7is_trueIyEEENSC_INSD_IbEEEENSA_11use_defaultESO_EENS0_5tupleIJSF_S6_EEENSQ_IJSG_SG_EEES6_PlJS6_EEE10hipError_tPvRmT3_T4_T5_T6_T7_T9_mT8_P12ihipStream_tbDpT10_ENKUlT_T0_E_clISt17integral_constantIbLb1EES1D_EEDaS18_S19_EUlS18_E_NS1_11comp_targetILNS1_3genE9ELNS1_11target_archE1100ELNS1_3gpuE3ELNS1_3repE0EEENS1_30default_config_static_selectorELNS0_4arch9wavefront6targetE0EEEvT1_: ; @_ZN7rocprim17ROCPRIM_400000_NS6detail17trampoline_kernelINS0_14default_configENS1_25partition_config_selectorILNS1_17partition_subalgoE5EyNS0_10empty_typeEbEEZZNS1_14partition_implILS5_5ELb0ES3_mN6thrust23THRUST_200600_302600_NS6detail15normal_iteratorINSA_10device_ptrIyEEEEPS6_NSA_18transform_iteratorINSB_9not_fun_tI7is_trueIyEEENSC_INSD_IbEEEENSA_11use_defaultESO_EENS0_5tupleIJSF_S6_EEENSQ_IJSG_SG_EEES6_PlJS6_EEE10hipError_tPvRmT3_T4_T5_T6_T7_T9_mT8_P12ihipStream_tbDpT10_ENKUlT_T0_E_clISt17integral_constantIbLb1EES1D_EEDaS18_S19_EUlS18_E_NS1_11comp_targetILNS1_3genE9ELNS1_11target_archE1100ELNS1_3gpuE3ELNS1_3repE0EEENS1_30default_config_static_selectorELNS0_4arch9wavefront6targetE0EEEvT1_
; %bb.0:
	.section	.rodata,"a",@progbits
	.p2align	6, 0x0
	.amdhsa_kernel _ZN7rocprim17ROCPRIM_400000_NS6detail17trampoline_kernelINS0_14default_configENS1_25partition_config_selectorILNS1_17partition_subalgoE5EyNS0_10empty_typeEbEEZZNS1_14partition_implILS5_5ELb0ES3_mN6thrust23THRUST_200600_302600_NS6detail15normal_iteratorINSA_10device_ptrIyEEEEPS6_NSA_18transform_iteratorINSB_9not_fun_tI7is_trueIyEEENSC_INSD_IbEEEENSA_11use_defaultESO_EENS0_5tupleIJSF_S6_EEENSQ_IJSG_SG_EEES6_PlJS6_EEE10hipError_tPvRmT3_T4_T5_T6_T7_T9_mT8_P12ihipStream_tbDpT10_ENKUlT_T0_E_clISt17integral_constantIbLb1EES1D_EEDaS18_S19_EUlS18_E_NS1_11comp_targetILNS1_3genE9ELNS1_11target_archE1100ELNS1_3gpuE3ELNS1_3repE0EEENS1_30default_config_static_selectorELNS0_4arch9wavefront6targetE0EEEvT1_
		.amdhsa_group_segment_fixed_size 0
		.amdhsa_private_segment_fixed_size 0
		.amdhsa_kernarg_size 136
		.amdhsa_user_sgpr_count 2
		.amdhsa_user_sgpr_dispatch_ptr 0
		.amdhsa_user_sgpr_queue_ptr 0
		.amdhsa_user_sgpr_kernarg_segment_ptr 1
		.amdhsa_user_sgpr_dispatch_id 0
		.amdhsa_user_sgpr_private_segment_size 0
		.amdhsa_wavefront_size32 1
		.amdhsa_uses_dynamic_stack 0
		.amdhsa_enable_private_segment 0
		.amdhsa_system_sgpr_workgroup_id_x 1
		.amdhsa_system_sgpr_workgroup_id_y 0
		.amdhsa_system_sgpr_workgroup_id_z 0
		.amdhsa_system_sgpr_workgroup_info 0
		.amdhsa_system_vgpr_workitem_id 0
		.amdhsa_next_free_vgpr 1
		.amdhsa_next_free_sgpr 1
		.amdhsa_reserve_vcc 0
		.amdhsa_float_round_mode_32 0
		.amdhsa_float_round_mode_16_64 0
		.amdhsa_float_denorm_mode_32 3
		.amdhsa_float_denorm_mode_16_64 3
		.amdhsa_fp16_overflow 0
		.amdhsa_workgroup_processor_mode 1
		.amdhsa_memory_ordered 1
		.amdhsa_forward_progress 1
		.amdhsa_inst_pref_size 0
		.amdhsa_round_robin_scheduling 0
		.amdhsa_exception_fp_ieee_invalid_op 0
		.amdhsa_exception_fp_denorm_src 0
		.amdhsa_exception_fp_ieee_div_zero 0
		.amdhsa_exception_fp_ieee_overflow 0
		.amdhsa_exception_fp_ieee_underflow 0
		.amdhsa_exception_fp_ieee_inexact 0
		.amdhsa_exception_int_div_zero 0
	.end_amdhsa_kernel
	.section	.text._ZN7rocprim17ROCPRIM_400000_NS6detail17trampoline_kernelINS0_14default_configENS1_25partition_config_selectorILNS1_17partition_subalgoE5EyNS0_10empty_typeEbEEZZNS1_14partition_implILS5_5ELb0ES3_mN6thrust23THRUST_200600_302600_NS6detail15normal_iteratorINSA_10device_ptrIyEEEEPS6_NSA_18transform_iteratorINSB_9not_fun_tI7is_trueIyEEENSC_INSD_IbEEEENSA_11use_defaultESO_EENS0_5tupleIJSF_S6_EEENSQ_IJSG_SG_EEES6_PlJS6_EEE10hipError_tPvRmT3_T4_T5_T6_T7_T9_mT8_P12ihipStream_tbDpT10_ENKUlT_T0_E_clISt17integral_constantIbLb1EES1D_EEDaS18_S19_EUlS18_E_NS1_11comp_targetILNS1_3genE9ELNS1_11target_archE1100ELNS1_3gpuE3ELNS1_3repE0EEENS1_30default_config_static_selectorELNS0_4arch9wavefront6targetE0EEEvT1_,"axG",@progbits,_ZN7rocprim17ROCPRIM_400000_NS6detail17trampoline_kernelINS0_14default_configENS1_25partition_config_selectorILNS1_17partition_subalgoE5EyNS0_10empty_typeEbEEZZNS1_14partition_implILS5_5ELb0ES3_mN6thrust23THRUST_200600_302600_NS6detail15normal_iteratorINSA_10device_ptrIyEEEEPS6_NSA_18transform_iteratorINSB_9not_fun_tI7is_trueIyEEENSC_INSD_IbEEEENSA_11use_defaultESO_EENS0_5tupleIJSF_S6_EEENSQ_IJSG_SG_EEES6_PlJS6_EEE10hipError_tPvRmT3_T4_T5_T6_T7_T9_mT8_P12ihipStream_tbDpT10_ENKUlT_T0_E_clISt17integral_constantIbLb1EES1D_EEDaS18_S19_EUlS18_E_NS1_11comp_targetILNS1_3genE9ELNS1_11target_archE1100ELNS1_3gpuE3ELNS1_3repE0EEENS1_30default_config_static_selectorELNS0_4arch9wavefront6targetE0EEEvT1_,comdat
.Lfunc_end2411:
	.size	_ZN7rocprim17ROCPRIM_400000_NS6detail17trampoline_kernelINS0_14default_configENS1_25partition_config_selectorILNS1_17partition_subalgoE5EyNS0_10empty_typeEbEEZZNS1_14partition_implILS5_5ELb0ES3_mN6thrust23THRUST_200600_302600_NS6detail15normal_iteratorINSA_10device_ptrIyEEEEPS6_NSA_18transform_iteratorINSB_9not_fun_tI7is_trueIyEEENSC_INSD_IbEEEENSA_11use_defaultESO_EENS0_5tupleIJSF_S6_EEENSQ_IJSG_SG_EEES6_PlJS6_EEE10hipError_tPvRmT3_T4_T5_T6_T7_T9_mT8_P12ihipStream_tbDpT10_ENKUlT_T0_E_clISt17integral_constantIbLb1EES1D_EEDaS18_S19_EUlS18_E_NS1_11comp_targetILNS1_3genE9ELNS1_11target_archE1100ELNS1_3gpuE3ELNS1_3repE0EEENS1_30default_config_static_selectorELNS0_4arch9wavefront6targetE0EEEvT1_, .Lfunc_end2411-_ZN7rocprim17ROCPRIM_400000_NS6detail17trampoline_kernelINS0_14default_configENS1_25partition_config_selectorILNS1_17partition_subalgoE5EyNS0_10empty_typeEbEEZZNS1_14partition_implILS5_5ELb0ES3_mN6thrust23THRUST_200600_302600_NS6detail15normal_iteratorINSA_10device_ptrIyEEEEPS6_NSA_18transform_iteratorINSB_9not_fun_tI7is_trueIyEEENSC_INSD_IbEEEENSA_11use_defaultESO_EENS0_5tupleIJSF_S6_EEENSQ_IJSG_SG_EEES6_PlJS6_EEE10hipError_tPvRmT3_T4_T5_T6_T7_T9_mT8_P12ihipStream_tbDpT10_ENKUlT_T0_E_clISt17integral_constantIbLb1EES1D_EEDaS18_S19_EUlS18_E_NS1_11comp_targetILNS1_3genE9ELNS1_11target_archE1100ELNS1_3gpuE3ELNS1_3repE0EEENS1_30default_config_static_selectorELNS0_4arch9wavefront6targetE0EEEvT1_
                                        ; -- End function
	.set _ZN7rocprim17ROCPRIM_400000_NS6detail17trampoline_kernelINS0_14default_configENS1_25partition_config_selectorILNS1_17partition_subalgoE5EyNS0_10empty_typeEbEEZZNS1_14partition_implILS5_5ELb0ES3_mN6thrust23THRUST_200600_302600_NS6detail15normal_iteratorINSA_10device_ptrIyEEEEPS6_NSA_18transform_iteratorINSB_9not_fun_tI7is_trueIyEEENSC_INSD_IbEEEENSA_11use_defaultESO_EENS0_5tupleIJSF_S6_EEENSQ_IJSG_SG_EEES6_PlJS6_EEE10hipError_tPvRmT3_T4_T5_T6_T7_T9_mT8_P12ihipStream_tbDpT10_ENKUlT_T0_E_clISt17integral_constantIbLb1EES1D_EEDaS18_S19_EUlS18_E_NS1_11comp_targetILNS1_3genE9ELNS1_11target_archE1100ELNS1_3gpuE3ELNS1_3repE0EEENS1_30default_config_static_selectorELNS0_4arch9wavefront6targetE0EEEvT1_.num_vgpr, 0
	.set _ZN7rocprim17ROCPRIM_400000_NS6detail17trampoline_kernelINS0_14default_configENS1_25partition_config_selectorILNS1_17partition_subalgoE5EyNS0_10empty_typeEbEEZZNS1_14partition_implILS5_5ELb0ES3_mN6thrust23THRUST_200600_302600_NS6detail15normal_iteratorINSA_10device_ptrIyEEEEPS6_NSA_18transform_iteratorINSB_9not_fun_tI7is_trueIyEEENSC_INSD_IbEEEENSA_11use_defaultESO_EENS0_5tupleIJSF_S6_EEENSQ_IJSG_SG_EEES6_PlJS6_EEE10hipError_tPvRmT3_T4_T5_T6_T7_T9_mT8_P12ihipStream_tbDpT10_ENKUlT_T0_E_clISt17integral_constantIbLb1EES1D_EEDaS18_S19_EUlS18_E_NS1_11comp_targetILNS1_3genE9ELNS1_11target_archE1100ELNS1_3gpuE3ELNS1_3repE0EEENS1_30default_config_static_selectorELNS0_4arch9wavefront6targetE0EEEvT1_.num_agpr, 0
	.set _ZN7rocprim17ROCPRIM_400000_NS6detail17trampoline_kernelINS0_14default_configENS1_25partition_config_selectorILNS1_17partition_subalgoE5EyNS0_10empty_typeEbEEZZNS1_14partition_implILS5_5ELb0ES3_mN6thrust23THRUST_200600_302600_NS6detail15normal_iteratorINSA_10device_ptrIyEEEEPS6_NSA_18transform_iteratorINSB_9not_fun_tI7is_trueIyEEENSC_INSD_IbEEEENSA_11use_defaultESO_EENS0_5tupleIJSF_S6_EEENSQ_IJSG_SG_EEES6_PlJS6_EEE10hipError_tPvRmT3_T4_T5_T6_T7_T9_mT8_P12ihipStream_tbDpT10_ENKUlT_T0_E_clISt17integral_constantIbLb1EES1D_EEDaS18_S19_EUlS18_E_NS1_11comp_targetILNS1_3genE9ELNS1_11target_archE1100ELNS1_3gpuE3ELNS1_3repE0EEENS1_30default_config_static_selectorELNS0_4arch9wavefront6targetE0EEEvT1_.numbered_sgpr, 0
	.set _ZN7rocprim17ROCPRIM_400000_NS6detail17trampoline_kernelINS0_14default_configENS1_25partition_config_selectorILNS1_17partition_subalgoE5EyNS0_10empty_typeEbEEZZNS1_14partition_implILS5_5ELb0ES3_mN6thrust23THRUST_200600_302600_NS6detail15normal_iteratorINSA_10device_ptrIyEEEEPS6_NSA_18transform_iteratorINSB_9not_fun_tI7is_trueIyEEENSC_INSD_IbEEEENSA_11use_defaultESO_EENS0_5tupleIJSF_S6_EEENSQ_IJSG_SG_EEES6_PlJS6_EEE10hipError_tPvRmT3_T4_T5_T6_T7_T9_mT8_P12ihipStream_tbDpT10_ENKUlT_T0_E_clISt17integral_constantIbLb1EES1D_EEDaS18_S19_EUlS18_E_NS1_11comp_targetILNS1_3genE9ELNS1_11target_archE1100ELNS1_3gpuE3ELNS1_3repE0EEENS1_30default_config_static_selectorELNS0_4arch9wavefront6targetE0EEEvT1_.num_named_barrier, 0
	.set _ZN7rocprim17ROCPRIM_400000_NS6detail17trampoline_kernelINS0_14default_configENS1_25partition_config_selectorILNS1_17partition_subalgoE5EyNS0_10empty_typeEbEEZZNS1_14partition_implILS5_5ELb0ES3_mN6thrust23THRUST_200600_302600_NS6detail15normal_iteratorINSA_10device_ptrIyEEEEPS6_NSA_18transform_iteratorINSB_9not_fun_tI7is_trueIyEEENSC_INSD_IbEEEENSA_11use_defaultESO_EENS0_5tupleIJSF_S6_EEENSQ_IJSG_SG_EEES6_PlJS6_EEE10hipError_tPvRmT3_T4_T5_T6_T7_T9_mT8_P12ihipStream_tbDpT10_ENKUlT_T0_E_clISt17integral_constantIbLb1EES1D_EEDaS18_S19_EUlS18_E_NS1_11comp_targetILNS1_3genE9ELNS1_11target_archE1100ELNS1_3gpuE3ELNS1_3repE0EEENS1_30default_config_static_selectorELNS0_4arch9wavefront6targetE0EEEvT1_.private_seg_size, 0
	.set _ZN7rocprim17ROCPRIM_400000_NS6detail17trampoline_kernelINS0_14default_configENS1_25partition_config_selectorILNS1_17partition_subalgoE5EyNS0_10empty_typeEbEEZZNS1_14partition_implILS5_5ELb0ES3_mN6thrust23THRUST_200600_302600_NS6detail15normal_iteratorINSA_10device_ptrIyEEEEPS6_NSA_18transform_iteratorINSB_9not_fun_tI7is_trueIyEEENSC_INSD_IbEEEENSA_11use_defaultESO_EENS0_5tupleIJSF_S6_EEENSQ_IJSG_SG_EEES6_PlJS6_EEE10hipError_tPvRmT3_T4_T5_T6_T7_T9_mT8_P12ihipStream_tbDpT10_ENKUlT_T0_E_clISt17integral_constantIbLb1EES1D_EEDaS18_S19_EUlS18_E_NS1_11comp_targetILNS1_3genE9ELNS1_11target_archE1100ELNS1_3gpuE3ELNS1_3repE0EEENS1_30default_config_static_selectorELNS0_4arch9wavefront6targetE0EEEvT1_.uses_vcc, 0
	.set _ZN7rocprim17ROCPRIM_400000_NS6detail17trampoline_kernelINS0_14default_configENS1_25partition_config_selectorILNS1_17partition_subalgoE5EyNS0_10empty_typeEbEEZZNS1_14partition_implILS5_5ELb0ES3_mN6thrust23THRUST_200600_302600_NS6detail15normal_iteratorINSA_10device_ptrIyEEEEPS6_NSA_18transform_iteratorINSB_9not_fun_tI7is_trueIyEEENSC_INSD_IbEEEENSA_11use_defaultESO_EENS0_5tupleIJSF_S6_EEENSQ_IJSG_SG_EEES6_PlJS6_EEE10hipError_tPvRmT3_T4_T5_T6_T7_T9_mT8_P12ihipStream_tbDpT10_ENKUlT_T0_E_clISt17integral_constantIbLb1EES1D_EEDaS18_S19_EUlS18_E_NS1_11comp_targetILNS1_3genE9ELNS1_11target_archE1100ELNS1_3gpuE3ELNS1_3repE0EEENS1_30default_config_static_selectorELNS0_4arch9wavefront6targetE0EEEvT1_.uses_flat_scratch, 0
	.set _ZN7rocprim17ROCPRIM_400000_NS6detail17trampoline_kernelINS0_14default_configENS1_25partition_config_selectorILNS1_17partition_subalgoE5EyNS0_10empty_typeEbEEZZNS1_14partition_implILS5_5ELb0ES3_mN6thrust23THRUST_200600_302600_NS6detail15normal_iteratorINSA_10device_ptrIyEEEEPS6_NSA_18transform_iteratorINSB_9not_fun_tI7is_trueIyEEENSC_INSD_IbEEEENSA_11use_defaultESO_EENS0_5tupleIJSF_S6_EEENSQ_IJSG_SG_EEES6_PlJS6_EEE10hipError_tPvRmT3_T4_T5_T6_T7_T9_mT8_P12ihipStream_tbDpT10_ENKUlT_T0_E_clISt17integral_constantIbLb1EES1D_EEDaS18_S19_EUlS18_E_NS1_11comp_targetILNS1_3genE9ELNS1_11target_archE1100ELNS1_3gpuE3ELNS1_3repE0EEENS1_30default_config_static_selectorELNS0_4arch9wavefront6targetE0EEEvT1_.has_dyn_sized_stack, 0
	.set _ZN7rocprim17ROCPRIM_400000_NS6detail17trampoline_kernelINS0_14default_configENS1_25partition_config_selectorILNS1_17partition_subalgoE5EyNS0_10empty_typeEbEEZZNS1_14partition_implILS5_5ELb0ES3_mN6thrust23THRUST_200600_302600_NS6detail15normal_iteratorINSA_10device_ptrIyEEEEPS6_NSA_18transform_iteratorINSB_9not_fun_tI7is_trueIyEEENSC_INSD_IbEEEENSA_11use_defaultESO_EENS0_5tupleIJSF_S6_EEENSQ_IJSG_SG_EEES6_PlJS6_EEE10hipError_tPvRmT3_T4_T5_T6_T7_T9_mT8_P12ihipStream_tbDpT10_ENKUlT_T0_E_clISt17integral_constantIbLb1EES1D_EEDaS18_S19_EUlS18_E_NS1_11comp_targetILNS1_3genE9ELNS1_11target_archE1100ELNS1_3gpuE3ELNS1_3repE0EEENS1_30default_config_static_selectorELNS0_4arch9wavefront6targetE0EEEvT1_.has_recursion, 0
	.set _ZN7rocprim17ROCPRIM_400000_NS6detail17trampoline_kernelINS0_14default_configENS1_25partition_config_selectorILNS1_17partition_subalgoE5EyNS0_10empty_typeEbEEZZNS1_14partition_implILS5_5ELb0ES3_mN6thrust23THRUST_200600_302600_NS6detail15normal_iteratorINSA_10device_ptrIyEEEEPS6_NSA_18transform_iteratorINSB_9not_fun_tI7is_trueIyEEENSC_INSD_IbEEEENSA_11use_defaultESO_EENS0_5tupleIJSF_S6_EEENSQ_IJSG_SG_EEES6_PlJS6_EEE10hipError_tPvRmT3_T4_T5_T6_T7_T9_mT8_P12ihipStream_tbDpT10_ENKUlT_T0_E_clISt17integral_constantIbLb1EES1D_EEDaS18_S19_EUlS18_E_NS1_11comp_targetILNS1_3genE9ELNS1_11target_archE1100ELNS1_3gpuE3ELNS1_3repE0EEENS1_30default_config_static_selectorELNS0_4arch9wavefront6targetE0EEEvT1_.has_indirect_call, 0
	.section	.AMDGPU.csdata,"",@progbits
; Kernel info:
; codeLenInByte = 0
; TotalNumSgprs: 0
; NumVgprs: 0
; ScratchSize: 0
; MemoryBound: 0
; FloatMode: 240
; IeeeMode: 1
; LDSByteSize: 0 bytes/workgroup (compile time only)
; SGPRBlocks: 0
; VGPRBlocks: 0
; NumSGPRsForWavesPerEU: 1
; NumVGPRsForWavesPerEU: 1
; Occupancy: 16
; WaveLimiterHint : 0
; COMPUTE_PGM_RSRC2:SCRATCH_EN: 0
; COMPUTE_PGM_RSRC2:USER_SGPR: 2
; COMPUTE_PGM_RSRC2:TRAP_HANDLER: 0
; COMPUTE_PGM_RSRC2:TGID_X_EN: 1
; COMPUTE_PGM_RSRC2:TGID_Y_EN: 0
; COMPUTE_PGM_RSRC2:TGID_Z_EN: 0
; COMPUTE_PGM_RSRC2:TIDIG_COMP_CNT: 0
	.section	.text._ZN7rocprim17ROCPRIM_400000_NS6detail17trampoline_kernelINS0_14default_configENS1_25partition_config_selectorILNS1_17partition_subalgoE5EyNS0_10empty_typeEbEEZZNS1_14partition_implILS5_5ELb0ES3_mN6thrust23THRUST_200600_302600_NS6detail15normal_iteratorINSA_10device_ptrIyEEEEPS6_NSA_18transform_iteratorINSB_9not_fun_tI7is_trueIyEEENSC_INSD_IbEEEENSA_11use_defaultESO_EENS0_5tupleIJSF_S6_EEENSQ_IJSG_SG_EEES6_PlJS6_EEE10hipError_tPvRmT3_T4_T5_T6_T7_T9_mT8_P12ihipStream_tbDpT10_ENKUlT_T0_E_clISt17integral_constantIbLb1EES1D_EEDaS18_S19_EUlS18_E_NS1_11comp_targetILNS1_3genE8ELNS1_11target_archE1030ELNS1_3gpuE2ELNS1_3repE0EEENS1_30default_config_static_selectorELNS0_4arch9wavefront6targetE0EEEvT1_,"axG",@progbits,_ZN7rocprim17ROCPRIM_400000_NS6detail17trampoline_kernelINS0_14default_configENS1_25partition_config_selectorILNS1_17partition_subalgoE5EyNS0_10empty_typeEbEEZZNS1_14partition_implILS5_5ELb0ES3_mN6thrust23THRUST_200600_302600_NS6detail15normal_iteratorINSA_10device_ptrIyEEEEPS6_NSA_18transform_iteratorINSB_9not_fun_tI7is_trueIyEEENSC_INSD_IbEEEENSA_11use_defaultESO_EENS0_5tupleIJSF_S6_EEENSQ_IJSG_SG_EEES6_PlJS6_EEE10hipError_tPvRmT3_T4_T5_T6_T7_T9_mT8_P12ihipStream_tbDpT10_ENKUlT_T0_E_clISt17integral_constantIbLb1EES1D_EEDaS18_S19_EUlS18_E_NS1_11comp_targetILNS1_3genE8ELNS1_11target_archE1030ELNS1_3gpuE2ELNS1_3repE0EEENS1_30default_config_static_selectorELNS0_4arch9wavefront6targetE0EEEvT1_,comdat
	.protected	_ZN7rocprim17ROCPRIM_400000_NS6detail17trampoline_kernelINS0_14default_configENS1_25partition_config_selectorILNS1_17partition_subalgoE5EyNS0_10empty_typeEbEEZZNS1_14partition_implILS5_5ELb0ES3_mN6thrust23THRUST_200600_302600_NS6detail15normal_iteratorINSA_10device_ptrIyEEEEPS6_NSA_18transform_iteratorINSB_9not_fun_tI7is_trueIyEEENSC_INSD_IbEEEENSA_11use_defaultESO_EENS0_5tupleIJSF_S6_EEENSQ_IJSG_SG_EEES6_PlJS6_EEE10hipError_tPvRmT3_T4_T5_T6_T7_T9_mT8_P12ihipStream_tbDpT10_ENKUlT_T0_E_clISt17integral_constantIbLb1EES1D_EEDaS18_S19_EUlS18_E_NS1_11comp_targetILNS1_3genE8ELNS1_11target_archE1030ELNS1_3gpuE2ELNS1_3repE0EEENS1_30default_config_static_selectorELNS0_4arch9wavefront6targetE0EEEvT1_ ; -- Begin function _ZN7rocprim17ROCPRIM_400000_NS6detail17trampoline_kernelINS0_14default_configENS1_25partition_config_selectorILNS1_17partition_subalgoE5EyNS0_10empty_typeEbEEZZNS1_14partition_implILS5_5ELb0ES3_mN6thrust23THRUST_200600_302600_NS6detail15normal_iteratorINSA_10device_ptrIyEEEEPS6_NSA_18transform_iteratorINSB_9not_fun_tI7is_trueIyEEENSC_INSD_IbEEEENSA_11use_defaultESO_EENS0_5tupleIJSF_S6_EEENSQ_IJSG_SG_EEES6_PlJS6_EEE10hipError_tPvRmT3_T4_T5_T6_T7_T9_mT8_P12ihipStream_tbDpT10_ENKUlT_T0_E_clISt17integral_constantIbLb1EES1D_EEDaS18_S19_EUlS18_E_NS1_11comp_targetILNS1_3genE8ELNS1_11target_archE1030ELNS1_3gpuE2ELNS1_3repE0EEENS1_30default_config_static_selectorELNS0_4arch9wavefront6targetE0EEEvT1_
	.globl	_ZN7rocprim17ROCPRIM_400000_NS6detail17trampoline_kernelINS0_14default_configENS1_25partition_config_selectorILNS1_17partition_subalgoE5EyNS0_10empty_typeEbEEZZNS1_14partition_implILS5_5ELb0ES3_mN6thrust23THRUST_200600_302600_NS6detail15normal_iteratorINSA_10device_ptrIyEEEEPS6_NSA_18transform_iteratorINSB_9not_fun_tI7is_trueIyEEENSC_INSD_IbEEEENSA_11use_defaultESO_EENS0_5tupleIJSF_S6_EEENSQ_IJSG_SG_EEES6_PlJS6_EEE10hipError_tPvRmT3_T4_T5_T6_T7_T9_mT8_P12ihipStream_tbDpT10_ENKUlT_T0_E_clISt17integral_constantIbLb1EES1D_EEDaS18_S19_EUlS18_E_NS1_11comp_targetILNS1_3genE8ELNS1_11target_archE1030ELNS1_3gpuE2ELNS1_3repE0EEENS1_30default_config_static_selectorELNS0_4arch9wavefront6targetE0EEEvT1_
	.p2align	8
	.type	_ZN7rocprim17ROCPRIM_400000_NS6detail17trampoline_kernelINS0_14default_configENS1_25partition_config_selectorILNS1_17partition_subalgoE5EyNS0_10empty_typeEbEEZZNS1_14partition_implILS5_5ELb0ES3_mN6thrust23THRUST_200600_302600_NS6detail15normal_iteratorINSA_10device_ptrIyEEEEPS6_NSA_18transform_iteratorINSB_9not_fun_tI7is_trueIyEEENSC_INSD_IbEEEENSA_11use_defaultESO_EENS0_5tupleIJSF_S6_EEENSQ_IJSG_SG_EEES6_PlJS6_EEE10hipError_tPvRmT3_T4_T5_T6_T7_T9_mT8_P12ihipStream_tbDpT10_ENKUlT_T0_E_clISt17integral_constantIbLb1EES1D_EEDaS18_S19_EUlS18_E_NS1_11comp_targetILNS1_3genE8ELNS1_11target_archE1030ELNS1_3gpuE2ELNS1_3repE0EEENS1_30default_config_static_selectorELNS0_4arch9wavefront6targetE0EEEvT1_,@function
_ZN7rocprim17ROCPRIM_400000_NS6detail17trampoline_kernelINS0_14default_configENS1_25partition_config_selectorILNS1_17partition_subalgoE5EyNS0_10empty_typeEbEEZZNS1_14partition_implILS5_5ELb0ES3_mN6thrust23THRUST_200600_302600_NS6detail15normal_iteratorINSA_10device_ptrIyEEEEPS6_NSA_18transform_iteratorINSB_9not_fun_tI7is_trueIyEEENSC_INSD_IbEEEENSA_11use_defaultESO_EENS0_5tupleIJSF_S6_EEENSQ_IJSG_SG_EEES6_PlJS6_EEE10hipError_tPvRmT3_T4_T5_T6_T7_T9_mT8_P12ihipStream_tbDpT10_ENKUlT_T0_E_clISt17integral_constantIbLb1EES1D_EEDaS18_S19_EUlS18_E_NS1_11comp_targetILNS1_3genE8ELNS1_11target_archE1030ELNS1_3gpuE2ELNS1_3repE0EEENS1_30default_config_static_selectorELNS0_4arch9wavefront6targetE0EEEvT1_: ; @_ZN7rocprim17ROCPRIM_400000_NS6detail17trampoline_kernelINS0_14default_configENS1_25partition_config_selectorILNS1_17partition_subalgoE5EyNS0_10empty_typeEbEEZZNS1_14partition_implILS5_5ELb0ES3_mN6thrust23THRUST_200600_302600_NS6detail15normal_iteratorINSA_10device_ptrIyEEEEPS6_NSA_18transform_iteratorINSB_9not_fun_tI7is_trueIyEEENSC_INSD_IbEEEENSA_11use_defaultESO_EENS0_5tupleIJSF_S6_EEENSQ_IJSG_SG_EEES6_PlJS6_EEE10hipError_tPvRmT3_T4_T5_T6_T7_T9_mT8_P12ihipStream_tbDpT10_ENKUlT_T0_E_clISt17integral_constantIbLb1EES1D_EEDaS18_S19_EUlS18_E_NS1_11comp_targetILNS1_3genE8ELNS1_11target_archE1030ELNS1_3gpuE2ELNS1_3repE0EEENS1_30default_config_static_selectorELNS0_4arch9wavefront6targetE0EEEvT1_
; %bb.0:
	.section	.rodata,"a",@progbits
	.p2align	6, 0x0
	.amdhsa_kernel _ZN7rocprim17ROCPRIM_400000_NS6detail17trampoline_kernelINS0_14default_configENS1_25partition_config_selectorILNS1_17partition_subalgoE5EyNS0_10empty_typeEbEEZZNS1_14partition_implILS5_5ELb0ES3_mN6thrust23THRUST_200600_302600_NS6detail15normal_iteratorINSA_10device_ptrIyEEEEPS6_NSA_18transform_iteratorINSB_9not_fun_tI7is_trueIyEEENSC_INSD_IbEEEENSA_11use_defaultESO_EENS0_5tupleIJSF_S6_EEENSQ_IJSG_SG_EEES6_PlJS6_EEE10hipError_tPvRmT3_T4_T5_T6_T7_T9_mT8_P12ihipStream_tbDpT10_ENKUlT_T0_E_clISt17integral_constantIbLb1EES1D_EEDaS18_S19_EUlS18_E_NS1_11comp_targetILNS1_3genE8ELNS1_11target_archE1030ELNS1_3gpuE2ELNS1_3repE0EEENS1_30default_config_static_selectorELNS0_4arch9wavefront6targetE0EEEvT1_
		.amdhsa_group_segment_fixed_size 0
		.amdhsa_private_segment_fixed_size 0
		.amdhsa_kernarg_size 136
		.amdhsa_user_sgpr_count 2
		.amdhsa_user_sgpr_dispatch_ptr 0
		.amdhsa_user_sgpr_queue_ptr 0
		.amdhsa_user_sgpr_kernarg_segment_ptr 1
		.amdhsa_user_sgpr_dispatch_id 0
		.amdhsa_user_sgpr_private_segment_size 0
		.amdhsa_wavefront_size32 1
		.amdhsa_uses_dynamic_stack 0
		.amdhsa_enable_private_segment 0
		.amdhsa_system_sgpr_workgroup_id_x 1
		.amdhsa_system_sgpr_workgroup_id_y 0
		.amdhsa_system_sgpr_workgroup_id_z 0
		.amdhsa_system_sgpr_workgroup_info 0
		.amdhsa_system_vgpr_workitem_id 0
		.amdhsa_next_free_vgpr 1
		.amdhsa_next_free_sgpr 1
		.amdhsa_reserve_vcc 0
		.amdhsa_float_round_mode_32 0
		.amdhsa_float_round_mode_16_64 0
		.amdhsa_float_denorm_mode_32 3
		.amdhsa_float_denorm_mode_16_64 3
		.amdhsa_fp16_overflow 0
		.amdhsa_workgroup_processor_mode 1
		.amdhsa_memory_ordered 1
		.amdhsa_forward_progress 1
		.amdhsa_inst_pref_size 0
		.amdhsa_round_robin_scheduling 0
		.amdhsa_exception_fp_ieee_invalid_op 0
		.amdhsa_exception_fp_denorm_src 0
		.amdhsa_exception_fp_ieee_div_zero 0
		.amdhsa_exception_fp_ieee_overflow 0
		.amdhsa_exception_fp_ieee_underflow 0
		.amdhsa_exception_fp_ieee_inexact 0
		.amdhsa_exception_int_div_zero 0
	.end_amdhsa_kernel
	.section	.text._ZN7rocprim17ROCPRIM_400000_NS6detail17trampoline_kernelINS0_14default_configENS1_25partition_config_selectorILNS1_17partition_subalgoE5EyNS0_10empty_typeEbEEZZNS1_14partition_implILS5_5ELb0ES3_mN6thrust23THRUST_200600_302600_NS6detail15normal_iteratorINSA_10device_ptrIyEEEEPS6_NSA_18transform_iteratorINSB_9not_fun_tI7is_trueIyEEENSC_INSD_IbEEEENSA_11use_defaultESO_EENS0_5tupleIJSF_S6_EEENSQ_IJSG_SG_EEES6_PlJS6_EEE10hipError_tPvRmT3_T4_T5_T6_T7_T9_mT8_P12ihipStream_tbDpT10_ENKUlT_T0_E_clISt17integral_constantIbLb1EES1D_EEDaS18_S19_EUlS18_E_NS1_11comp_targetILNS1_3genE8ELNS1_11target_archE1030ELNS1_3gpuE2ELNS1_3repE0EEENS1_30default_config_static_selectorELNS0_4arch9wavefront6targetE0EEEvT1_,"axG",@progbits,_ZN7rocprim17ROCPRIM_400000_NS6detail17trampoline_kernelINS0_14default_configENS1_25partition_config_selectorILNS1_17partition_subalgoE5EyNS0_10empty_typeEbEEZZNS1_14partition_implILS5_5ELb0ES3_mN6thrust23THRUST_200600_302600_NS6detail15normal_iteratorINSA_10device_ptrIyEEEEPS6_NSA_18transform_iteratorINSB_9not_fun_tI7is_trueIyEEENSC_INSD_IbEEEENSA_11use_defaultESO_EENS0_5tupleIJSF_S6_EEENSQ_IJSG_SG_EEES6_PlJS6_EEE10hipError_tPvRmT3_T4_T5_T6_T7_T9_mT8_P12ihipStream_tbDpT10_ENKUlT_T0_E_clISt17integral_constantIbLb1EES1D_EEDaS18_S19_EUlS18_E_NS1_11comp_targetILNS1_3genE8ELNS1_11target_archE1030ELNS1_3gpuE2ELNS1_3repE0EEENS1_30default_config_static_selectorELNS0_4arch9wavefront6targetE0EEEvT1_,comdat
.Lfunc_end2412:
	.size	_ZN7rocprim17ROCPRIM_400000_NS6detail17trampoline_kernelINS0_14default_configENS1_25partition_config_selectorILNS1_17partition_subalgoE5EyNS0_10empty_typeEbEEZZNS1_14partition_implILS5_5ELb0ES3_mN6thrust23THRUST_200600_302600_NS6detail15normal_iteratorINSA_10device_ptrIyEEEEPS6_NSA_18transform_iteratorINSB_9not_fun_tI7is_trueIyEEENSC_INSD_IbEEEENSA_11use_defaultESO_EENS0_5tupleIJSF_S6_EEENSQ_IJSG_SG_EEES6_PlJS6_EEE10hipError_tPvRmT3_T4_T5_T6_T7_T9_mT8_P12ihipStream_tbDpT10_ENKUlT_T0_E_clISt17integral_constantIbLb1EES1D_EEDaS18_S19_EUlS18_E_NS1_11comp_targetILNS1_3genE8ELNS1_11target_archE1030ELNS1_3gpuE2ELNS1_3repE0EEENS1_30default_config_static_selectorELNS0_4arch9wavefront6targetE0EEEvT1_, .Lfunc_end2412-_ZN7rocprim17ROCPRIM_400000_NS6detail17trampoline_kernelINS0_14default_configENS1_25partition_config_selectorILNS1_17partition_subalgoE5EyNS0_10empty_typeEbEEZZNS1_14partition_implILS5_5ELb0ES3_mN6thrust23THRUST_200600_302600_NS6detail15normal_iteratorINSA_10device_ptrIyEEEEPS6_NSA_18transform_iteratorINSB_9not_fun_tI7is_trueIyEEENSC_INSD_IbEEEENSA_11use_defaultESO_EENS0_5tupleIJSF_S6_EEENSQ_IJSG_SG_EEES6_PlJS6_EEE10hipError_tPvRmT3_T4_T5_T6_T7_T9_mT8_P12ihipStream_tbDpT10_ENKUlT_T0_E_clISt17integral_constantIbLb1EES1D_EEDaS18_S19_EUlS18_E_NS1_11comp_targetILNS1_3genE8ELNS1_11target_archE1030ELNS1_3gpuE2ELNS1_3repE0EEENS1_30default_config_static_selectorELNS0_4arch9wavefront6targetE0EEEvT1_
                                        ; -- End function
	.set _ZN7rocprim17ROCPRIM_400000_NS6detail17trampoline_kernelINS0_14default_configENS1_25partition_config_selectorILNS1_17partition_subalgoE5EyNS0_10empty_typeEbEEZZNS1_14partition_implILS5_5ELb0ES3_mN6thrust23THRUST_200600_302600_NS6detail15normal_iteratorINSA_10device_ptrIyEEEEPS6_NSA_18transform_iteratorINSB_9not_fun_tI7is_trueIyEEENSC_INSD_IbEEEENSA_11use_defaultESO_EENS0_5tupleIJSF_S6_EEENSQ_IJSG_SG_EEES6_PlJS6_EEE10hipError_tPvRmT3_T4_T5_T6_T7_T9_mT8_P12ihipStream_tbDpT10_ENKUlT_T0_E_clISt17integral_constantIbLb1EES1D_EEDaS18_S19_EUlS18_E_NS1_11comp_targetILNS1_3genE8ELNS1_11target_archE1030ELNS1_3gpuE2ELNS1_3repE0EEENS1_30default_config_static_selectorELNS0_4arch9wavefront6targetE0EEEvT1_.num_vgpr, 0
	.set _ZN7rocprim17ROCPRIM_400000_NS6detail17trampoline_kernelINS0_14default_configENS1_25partition_config_selectorILNS1_17partition_subalgoE5EyNS0_10empty_typeEbEEZZNS1_14partition_implILS5_5ELb0ES3_mN6thrust23THRUST_200600_302600_NS6detail15normal_iteratorINSA_10device_ptrIyEEEEPS6_NSA_18transform_iteratorINSB_9not_fun_tI7is_trueIyEEENSC_INSD_IbEEEENSA_11use_defaultESO_EENS0_5tupleIJSF_S6_EEENSQ_IJSG_SG_EEES6_PlJS6_EEE10hipError_tPvRmT3_T4_T5_T6_T7_T9_mT8_P12ihipStream_tbDpT10_ENKUlT_T0_E_clISt17integral_constantIbLb1EES1D_EEDaS18_S19_EUlS18_E_NS1_11comp_targetILNS1_3genE8ELNS1_11target_archE1030ELNS1_3gpuE2ELNS1_3repE0EEENS1_30default_config_static_selectorELNS0_4arch9wavefront6targetE0EEEvT1_.num_agpr, 0
	.set _ZN7rocprim17ROCPRIM_400000_NS6detail17trampoline_kernelINS0_14default_configENS1_25partition_config_selectorILNS1_17partition_subalgoE5EyNS0_10empty_typeEbEEZZNS1_14partition_implILS5_5ELb0ES3_mN6thrust23THRUST_200600_302600_NS6detail15normal_iteratorINSA_10device_ptrIyEEEEPS6_NSA_18transform_iteratorINSB_9not_fun_tI7is_trueIyEEENSC_INSD_IbEEEENSA_11use_defaultESO_EENS0_5tupleIJSF_S6_EEENSQ_IJSG_SG_EEES6_PlJS6_EEE10hipError_tPvRmT3_T4_T5_T6_T7_T9_mT8_P12ihipStream_tbDpT10_ENKUlT_T0_E_clISt17integral_constantIbLb1EES1D_EEDaS18_S19_EUlS18_E_NS1_11comp_targetILNS1_3genE8ELNS1_11target_archE1030ELNS1_3gpuE2ELNS1_3repE0EEENS1_30default_config_static_selectorELNS0_4arch9wavefront6targetE0EEEvT1_.numbered_sgpr, 0
	.set _ZN7rocprim17ROCPRIM_400000_NS6detail17trampoline_kernelINS0_14default_configENS1_25partition_config_selectorILNS1_17partition_subalgoE5EyNS0_10empty_typeEbEEZZNS1_14partition_implILS5_5ELb0ES3_mN6thrust23THRUST_200600_302600_NS6detail15normal_iteratorINSA_10device_ptrIyEEEEPS6_NSA_18transform_iteratorINSB_9not_fun_tI7is_trueIyEEENSC_INSD_IbEEEENSA_11use_defaultESO_EENS0_5tupleIJSF_S6_EEENSQ_IJSG_SG_EEES6_PlJS6_EEE10hipError_tPvRmT3_T4_T5_T6_T7_T9_mT8_P12ihipStream_tbDpT10_ENKUlT_T0_E_clISt17integral_constantIbLb1EES1D_EEDaS18_S19_EUlS18_E_NS1_11comp_targetILNS1_3genE8ELNS1_11target_archE1030ELNS1_3gpuE2ELNS1_3repE0EEENS1_30default_config_static_selectorELNS0_4arch9wavefront6targetE0EEEvT1_.num_named_barrier, 0
	.set _ZN7rocprim17ROCPRIM_400000_NS6detail17trampoline_kernelINS0_14default_configENS1_25partition_config_selectorILNS1_17partition_subalgoE5EyNS0_10empty_typeEbEEZZNS1_14partition_implILS5_5ELb0ES3_mN6thrust23THRUST_200600_302600_NS6detail15normal_iteratorINSA_10device_ptrIyEEEEPS6_NSA_18transform_iteratorINSB_9not_fun_tI7is_trueIyEEENSC_INSD_IbEEEENSA_11use_defaultESO_EENS0_5tupleIJSF_S6_EEENSQ_IJSG_SG_EEES6_PlJS6_EEE10hipError_tPvRmT3_T4_T5_T6_T7_T9_mT8_P12ihipStream_tbDpT10_ENKUlT_T0_E_clISt17integral_constantIbLb1EES1D_EEDaS18_S19_EUlS18_E_NS1_11comp_targetILNS1_3genE8ELNS1_11target_archE1030ELNS1_3gpuE2ELNS1_3repE0EEENS1_30default_config_static_selectorELNS0_4arch9wavefront6targetE0EEEvT1_.private_seg_size, 0
	.set _ZN7rocprim17ROCPRIM_400000_NS6detail17trampoline_kernelINS0_14default_configENS1_25partition_config_selectorILNS1_17partition_subalgoE5EyNS0_10empty_typeEbEEZZNS1_14partition_implILS5_5ELb0ES3_mN6thrust23THRUST_200600_302600_NS6detail15normal_iteratorINSA_10device_ptrIyEEEEPS6_NSA_18transform_iteratorINSB_9not_fun_tI7is_trueIyEEENSC_INSD_IbEEEENSA_11use_defaultESO_EENS0_5tupleIJSF_S6_EEENSQ_IJSG_SG_EEES6_PlJS6_EEE10hipError_tPvRmT3_T4_T5_T6_T7_T9_mT8_P12ihipStream_tbDpT10_ENKUlT_T0_E_clISt17integral_constantIbLb1EES1D_EEDaS18_S19_EUlS18_E_NS1_11comp_targetILNS1_3genE8ELNS1_11target_archE1030ELNS1_3gpuE2ELNS1_3repE0EEENS1_30default_config_static_selectorELNS0_4arch9wavefront6targetE0EEEvT1_.uses_vcc, 0
	.set _ZN7rocprim17ROCPRIM_400000_NS6detail17trampoline_kernelINS0_14default_configENS1_25partition_config_selectorILNS1_17partition_subalgoE5EyNS0_10empty_typeEbEEZZNS1_14partition_implILS5_5ELb0ES3_mN6thrust23THRUST_200600_302600_NS6detail15normal_iteratorINSA_10device_ptrIyEEEEPS6_NSA_18transform_iteratorINSB_9not_fun_tI7is_trueIyEEENSC_INSD_IbEEEENSA_11use_defaultESO_EENS0_5tupleIJSF_S6_EEENSQ_IJSG_SG_EEES6_PlJS6_EEE10hipError_tPvRmT3_T4_T5_T6_T7_T9_mT8_P12ihipStream_tbDpT10_ENKUlT_T0_E_clISt17integral_constantIbLb1EES1D_EEDaS18_S19_EUlS18_E_NS1_11comp_targetILNS1_3genE8ELNS1_11target_archE1030ELNS1_3gpuE2ELNS1_3repE0EEENS1_30default_config_static_selectorELNS0_4arch9wavefront6targetE0EEEvT1_.uses_flat_scratch, 0
	.set _ZN7rocprim17ROCPRIM_400000_NS6detail17trampoline_kernelINS0_14default_configENS1_25partition_config_selectorILNS1_17partition_subalgoE5EyNS0_10empty_typeEbEEZZNS1_14partition_implILS5_5ELb0ES3_mN6thrust23THRUST_200600_302600_NS6detail15normal_iteratorINSA_10device_ptrIyEEEEPS6_NSA_18transform_iteratorINSB_9not_fun_tI7is_trueIyEEENSC_INSD_IbEEEENSA_11use_defaultESO_EENS0_5tupleIJSF_S6_EEENSQ_IJSG_SG_EEES6_PlJS6_EEE10hipError_tPvRmT3_T4_T5_T6_T7_T9_mT8_P12ihipStream_tbDpT10_ENKUlT_T0_E_clISt17integral_constantIbLb1EES1D_EEDaS18_S19_EUlS18_E_NS1_11comp_targetILNS1_3genE8ELNS1_11target_archE1030ELNS1_3gpuE2ELNS1_3repE0EEENS1_30default_config_static_selectorELNS0_4arch9wavefront6targetE0EEEvT1_.has_dyn_sized_stack, 0
	.set _ZN7rocprim17ROCPRIM_400000_NS6detail17trampoline_kernelINS0_14default_configENS1_25partition_config_selectorILNS1_17partition_subalgoE5EyNS0_10empty_typeEbEEZZNS1_14partition_implILS5_5ELb0ES3_mN6thrust23THRUST_200600_302600_NS6detail15normal_iteratorINSA_10device_ptrIyEEEEPS6_NSA_18transform_iteratorINSB_9not_fun_tI7is_trueIyEEENSC_INSD_IbEEEENSA_11use_defaultESO_EENS0_5tupleIJSF_S6_EEENSQ_IJSG_SG_EEES6_PlJS6_EEE10hipError_tPvRmT3_T4_T5_T6_T7_T9_mT8_P12ihipStream_tbDpT10_ENKUlT_T0_E_clISt17integral_constantIbLb1EES1D_EEDaS18_S19_EUlS18_E_NS1_11comp_targetILNS1_3genE8ELNS1_11target_archE1030ELNS1_3gpuE2ELNS1_3repE0EEENS1_30default_config_static_selectorELNS0_4arch9wavefront6targetE0EEEvT1_.has_recursion, 0
	.set _ZN7rocprim17ROCPRIM_400000_NS6detail17trampoline_kernelINS0_14default_configENS1_25partition_config_selectorILNS1_17partition_subalgoE5EyNS0_10empty_typeEbEEZZNS1_14partition_implILS5_5ELb0ES3_mN6thrust23THRUST_200600_302600_NS6detail15normal_iteratorINSA_10device_ptrIyEEEEPS6_NSA_18transform_iteratorINSB_9not_fun_tI7is_trueIyEEENSC_INSD_IbEEEENSA_11use_defaultESO_EENS0_5tupleIJSF_S6_EEENSQ_IJSG_SG_EEES6_PlJS6_EEE10hipError_tPvRmT3_T4_T5_T6_T7_T9_mT8_P12ihipStream_tbDpT10_ENKUlT_T0_E_clISt17integral_constantIbLb1EES1D_EEDaS18_S19_EUlS18_E_NS1_11comp_targetILNS1_3genE8ELNS1_11target_archE1030ELNS1_3gpuE2ELNS1_3repE0EEENS1_30default_config_static_selectorELNS0_4arch9wavefront6targetE0EEEvT1_.has_indirect_call, 0
	.section	.AMDGPU.csdata,"",@progbits
; Kernel info:
; codeLenInByte = 0
; TotalNumSgprs: 0
; NumVgprs: 0
; ScratchSize: 0
; MemoryBound: 0
; FloatMode: 240
; IeeeMode: 1
; LDSByteSize: 0 bytes/workgroup (compile time only)
; SGPRBlocks: 0
; VGPRBlocks: 0
; NumSGPRsForWavesPerEU: 1
; NumVGPRsForWavesPerEU: 1
; Occupancy: 16
; WaveLimiterHint : 0
; COMPUTE_PGM_RSRC2:SCRATCH_EN: 0
; COMPUTE_PGM_RSRC2:USER_SGPR: 2
; COMPUTE_PGM_RSRC2:TRAP_HANDLER: 0
; COMPUTE_PGM_RSRC2:TGID_X_EN: 1
; COMPUTE_PGM_RSRC2:TGID_Y_EN: 0
; COMPUTE_PGM_RSRC2:TGID_Z_EN: 0
; COMPUTE_PGM_RSRC2:TIDIG_COMP_CNT: 0
	.section	.text._ZN7rocprim17ROCPRIM_400000_NS6detail17trampoline_kernelINS0_14default_configENS1_25partition_config_selectorILNS1_17partition_subalgoE5EyNS0_10empty_typeEbEEZZNS1_14partition_implILS5_5ELb0ES3_mN6thrust23THRUST_200600_302600_NS6detail15normal_iteratorINSA_10device_ptrIyEEEEPS6_NSA_18transform_iteratorINSB_9not_fun_tI7is_trueIyEEENSC_INSD_IbEEEENSA_11use_defaultESO_EENS0_5tupleIJSF_S6_EEENSQ_IJSG_SG_EEES6_PlJS6_EEE10hipError_tPvRmT3_T4_T5_T6_T7_T9_mT8_P12ihipStream_tbDpT10_ENKUlT_T0_E_clISt17integral_constantIbLb1EES1C_IbLb0EEEEDaS18_S19_EUlS18_E_NS1_11comp_targetILNS1_3genE0ELNS1_11target_archE4294967295ELNS1_3gpuE0ELNS1_3repE0EEENS1_30default_config_static_selectorELNS0_4arch9wavefront6targetE0EEEvT1_,"axG",@progbits,_ZN7rocprim17ROCPRIM_400000_NS6detail17trampoline_kernelINS0_14default_configENS1_25partition_config_selectorILNS1_17partition_subalgoE5EyNS0_10empty_typeEbEEZZNS1_14partition_implILS5_5ELb0ES3_mN6thrust23THRUST_200600_302600_NS6detail15normal_iteratorINSA_10device_ptrIyEEEEPS6_NSA_18transform_iteratorINSB_9not_fun_tI7is_trueIyEEENSC_INSD_IbEEEENSA_11use_defaultESO_EENS0_5tupleIJSF_S6_EEENSQ_IJSG_SG_EEES6_PlJS6_EEE10hipError_tPvRmT3_T4_T5_T6_T7_T9_mT8_P12ihipStream_tbDpT10_ENKUlT_T0_E_clISt17integral_constantIbLb1EES1C_IbLb0EEEEDaS18_S19_EUlS18_E_NS1_11comp_targetILNS1_3genE0ELNS1_11target_archE4294967295ELNS1_3gpuE0ELNS1_3repE0EEENS1_30default_config_static_selectorELNS0_4arch9wavefront6targetE0EEEvT1_,comdat
	.protected	_ZN7rocprim17ROCPRIM_400000_NS6detail17trampoline_kernelINS0_14default_configENS1_25partition_config_selectorILNS1_17partition_subalgoE5EyNS0_10empty_typeEbEEZZNS1_14partition_implILS5_5ELb0ES3_mN6thrust23THRUST_200600_302600_NS6detail15normal_iteratorINSA_10device_ptrIyEEEEPS6_NSA_18transform_iteratorINSB_9not_fun_tI7is_trueIyEEENSC_INSD_IbEEEENSA_11use_defaultESO_EENS0_5tupleIJSF_S6_EEENSQ_IJSG_SG_EEES6_PlJS6_EEE10hipError_tPvRmT3_T4_T5_T6_T7_T9_mT8_P12ihipStream_tbDpT10_ENKUlT_T0_E_clISt17integral_constantIbLb1EES1C_IbLb0EEEEDaS18_S19_EUlS18_E_NS1_11comp_targetILNS1_3genE0ELNS1_11target_archE4294967295ELNS1_3gpuE0ELNS1_3repE0EEENS1_30default_config_static_selectorELNS0_4arch9wavefront6targetE0EEEvT1_ ; -- Begin function _ZN7rocprim17ROCPRIM_400000_NS6detail17trampoline_kernelINS0_14default_configENS1_25partition_config_selectorILNS1_17partition_subalgoE5EyNS0_10empty_typeEbEEZZNS1_14partition_implILS5_5ELb0ES3_mN6thrust23THRUST_200600_302600_NS6detail15normal_iteratorINSA_10device_ptrIyEEEEPS6_NSA_18transform_iteratorINSB_9not_fun_tI7is_trueIyEEENSC_INSD_IbEEEENSA_11use_defaultESO_EENS0_5tupleIJSF_S6_EEENSQ_IJSG_SG_EEES6_PlJS6_EEE10hipError_tPvRmT3_T4_T5_T6_T7_T9_mT8_P12ihipStream_tbDpT10_ENKUlT_T0_E_clISt17integral_constantIbLb1EES1C_IbLb0EEEEDaS18_S19_EUlS18_E_NS1_11comp_targetILNS1_3genE0ELNS1_11target_archE4294967295ELNS1_3gpuE0ELNS1_3repE0EEENS1_30default_config_static_selectorELNS0_4arch9wavefront6targetE0EEEvT1_
	.globl	_ZN7rocprim17ROCPRIM_400000_NS6detail17trampoline_kernelINS0_14default_configENS1_25partition_config_selectorILNS1_17partition_subalgoE5EyNS0_10empty_typeEbEEZZNS1_14partition_implILS5_5ELb0ES3_mN6thrust23THRUST_200600_302600_NS6detail15normal_iteratorINSA_10device_ptrIyEEEEPS6_NSA_18transform_iteratorINSB_9not_fun_tI7is_trueIyEEENSC_INSD_IbEEEENSA_11use_defaultESO_EENS0_5tupleIJSF_S6_EEENSQ_IJSG_SG_EEES6_PlJS6_EEE10hipError_tPvRmT3_T4_T5_T6_T7_T9_mT8_P12ihipStream_tbDpT10_ENKUlT_T0_E_clISt17integral_constantIbLb1EES1C_IbLb0EEEEDaS18_S19_EUlS18_E_NS1_11comp_targetILNS1_3genE0ELNS1_11target_archE4294967295ELNS1_3gpuE0ELNS1_3repE0EEENS1_30default_config_static_selectorELNS0_4arch9wavefront6targetE0EEEvT1_
	.p2align	8
	.type	_ZN7rocprim17ROCPRIM_400000_NS6detail17trampoline_kernelINS0_14default_configENS1_25partition_config_selectorILNS1_17partition_subalgoE5EyNS0_10empty_typeEbEEZZNS1_14partition_implILS5_5ELb0ES3_mN6thrust23THRUST_200600_302600_NS6detail15normal_iteratorINSA_10device_ptrIyEEEEPS6_NSA_18transform_iteratorINSB_9not_fun_tI7is_trueIyEEENSC_INSD_IbEEEENSA_11use_defaultESO_EENS0_5tupleIJSF_S6_EEENSQ_IJSG_SG_EEES6_PlJS6_EEE10hipError_tPvRmT3_T4_T5_T6_T7_T9_mT8_P12ihipStream_tbDpT10_ENKUlT_T0_E_clISt17integral_constantIbLb1EES1C_IbLb0EEEEDaS18_S19_EUlS18_E_NS1_11comp_targetILNS1_3genE0ELNS1_11target_archE4294967295ELNS1_3gpuE0ELNS1_3repE0EEENS1_30default_config_static_selectorELNS0_4arch9wavefront6targetE0EEEvT1_,@function
_ZN7rocprim17ROCPRIM_400000_NS6detail17trampoline_kernelINS0_14default_configENS1_25partition_config_selectorILNS1_17partition_subalgoE5EyNS0_10empty_typeEbEEZZNS1_14partition_implILS5_5ELb0ES3_mN6thrust23THRUST_200600_302600_NS6detail15normal_iteratorINSA_10device_ptrIyEEEEPS6_NSA_18transform_iteratorINSB_9not_fun_tI7is_trueIyEEENSC_INSD_IbEEEENSA_11use_defaultESO_EENS0_5tupleIJSF_S6_EEENSQ_IJSG_SG_EEES6_PlJS6_EEE10hipError_tPvRmT3_T4_T5_T6_T7_T9_mT8_P12ihipStream_tbDpT10_ENKUlT_T0_E_clISt17integral_constantIbLb1EES1C_IbLb0EEEEDaS18_S19_EUlS18_E_NS1_11comp_targetILNS1_3genE0ELNS1_11target_archE4294967295ELNS1_3gpuE0ELNS1_3repE0EEENS1_30default_config_static_selectorELNS0_4arch9wavefront6targetE0EEEvT1_: ; @_ZN7rocprim17ROCPRIM_400000_NS6detail17trampoline_kernelINS0_14default_configENS1_25partition_config_selectorILNS1_17partition_subalgoE5EyNS0_10empty_typeEbEEZZNS1_14partition_implILS5_5ELb0ES3_mN6thrust23THRUST_200600_302600_NS6detail15normal_iteratorINSA_10device_ptrIyEEEEPS6_NSA_18transform_iteratorINSB_9not_fun_tI7is_trueIyEEENSC_INSD_IbEEEENSA_11use_defaultESO_EENS0_5tupleIJSF_S6_EEENSQ_IJSG_SG_EEES6_PlJS6_EEE10hipError_tPvRmT3_T4_T5_T6_T7_T9_mT8_P12ihipStream_tbDpT10_ENKUlT_T0_E_clISt17integral_constantIbLb1EES1C_IbLb0EEEEDaS18_S19_EUlS18_E_NS1_11comp_targetILNS1_3genE0ELNS1_11target_archE4294967295ELNS1_3gpuE0ELNS1_3repE0EEENS1_30default_config_static_selectorELNS0_4arch9wavefront6targetE0EEEvT1_
; %bb.0:
	.section	.rodata,"a",@progbits
	.p2align	6, 0x0
	.amdhsa_kernel _ZN7rocprim17ROCPRIM_400000_NS6detail17trampoline_kernelINS0_14default_configENS1_25partition_config_selectorILNS1_17partition_subalgoE5EyNS0_10empty_typeEbEEZZNS1_14partition_implILS5_5ELb0ES3_mN6thrust23THRUST_200600_302600_NS6detail15normal_iteratorINSA_10device_ptrIyEEEEPS6_NSA_18transform_iteratorINSB_9not_fun_tI7is_trueIyEEENSC_INSD_IbEEEENSA_11use_defaultESO_EENS0_5tupleIJSF_S6_EEENSQ_IJSG_SG_EEES6_PlJS6_EEE10hipError_tPvRmT3_T4_T5_T6_T7_T9_mT8_P12ihipStream_tbDpT10_ENKUlT_T0_E_clISt17integral_constantIbLb1EES1C_IbLb0EEEEDaS18_S19_EUlS18_E_NS1_11comp_targetILNS1_3genE0ELNS1_11target_archE4294967295ELNS1_3gpuE0ELNS1_3repE0EEENS1_30default_config_static_selectorELNS0_4arch9wavefront6targetE0EEEvT1_
		.amdhsa_group_segment_fixed_size 0
		.amdhsa_private_segment_fixed_size 0
		.amdhsa_kernarg_size 120
		.amdhsa_user_sgpr_count 2
		.amdhsa_user_sgpr_dispatch_ptr 0
		.amdhsa_user_sgpr_queue_ptr 0
		.amdhsa_user_sgpr_kernarg_segment_ptr 1
		.amdhsa_user_sgpr_dispatch_id 0
		.amdhsa_user_sgpr_private_segment_size 0
		.amdhsa_wavefront_size32 1
		.amdhsa_uses_dynamic_stack 0
		.amdhsa_enable_private_segment 0
		.amdhsa_system_sgpr_workgroup_id_x 1
		.amdhsa_system_sgpr_workgroup_id_y 0
		.amdhsa_system_sgpr_workgroup_id_z 0
		.amdhsa_system_sgpr_workgroup_info 0
		.amdhsa_system_vgpr_workitem_id 0
		.amdhsa_next_free_vgpr 1
		.amdhsa_next_free_sgpr 1
		.amdhsa_reserve_vcc 0
		.amdhsa_float_round_mode_32 0
		.amdhsa_float_round_mode_16_64 0
		.amdhsa_float_denorm_mode_32 3
		.amdhsa_float_denorm_mode_16_64 3
		.amdhsa_fp16_overflow 0
		.amdhsa_workgroup_processor_mode 1
		.amdhsa_memory_ordered 1
		.amdhsa_forward_progress 1
		.amdhsa_inst_pref_size 0
		.amdhsa_round_robin_scheduling 0
		.amdhsa_exception_fp_ieee_invalid_op 0
		.amdhsa_exception_fp_denorm_src 0
		.amdhsa_exception_fp_ieee_div_zero 0
		.amdhsa_exception_fp_ieee_overflow 0
		.amdhsa_exception_fp_ieee_underflow 0
		.amdhsa_exception_fp_ieee_inexact 0
		.amdhsa_exception_int_div_zero 0
	.end_amdhsa_kernel
	.section	.text._ZN7rocprim17ROCPRIM_400000_NS6detail17trampoline_kernelINS0_14default_configENS1_25partition_config_selectorILNS1_17partition_subalgoE5EyNS0_10empty_typeEbEEZZNS1_14partition_implILS5_5ELb0ES3_mN6thrust23THRUST_200600_302600_NS6detail15normal_iteratorINSA_10device_ptrIyEEEEPS6_NSA_18transform_iteratorINSB_9not_fun_tI7is_trueIyEEENSC_INSD_IbEEEENSA_11use_defaultESO_EENS0_5tupleIJSF_S6_EEENSQ_IJSG_SG_EEES6_PlJS6_EEE10hipError_tPvRmT3_T4_T5_T6_T7_T9_mT8_P12ihipStream_tbDpT10_ENKUlT_T0_E_clISt17integral_constantIbLb1EES1C_IbLb0EEEEDaS18_S19_EUlS18_E_NS1_11comp_targetILNS1_3genE0ELNS1_11target_archE4294967295ELNS1_3gpuE0ELNS1_3repE0EEENS1_30default_config_static_selectorELNS0_4arch9wavefront6targetE0EEEvT1_,"axG",@progbits,_ZN7rocprim17ROCPRIM_400000_NS6detail17trampoline_kernelINS0_14default_configENS1_25partition_config_selectorILNS1_17partition_subalgoE5EyNS0_10empty_typeEbEEZZNS1_14partition_implILS5_5ELb0ES3_mN6thrust23THRUST_200600_302600_NS6detail15normal_iteratorINSA_10device_ptrIyEEEEPS6_NSA_18transform_iteratorINSB_9not_fun_tI7is_trueIyEEENSC_INSD_IbEEEENSA_11use_defaultESO_EENS0_5tupleIJSF_S6_EEENSQ_IJSG_SG_EEES6_PlJS6_EEE10hipError_tPvRmT3_T4_T5_T6_T7_T9_mT8_P12ihipStream_tbDpT10_ENKUlT_T0_E_clISt17integral_constantIbLb1EES1C_IbLb0EEEEDaS18_S19_EUlS18_E_NS1_11comp_targetILNS1_3genE0ELNS1_11target_archE4294967295ELNS1_3gpuE0ELNS1_3repE0EEENS1_30default_config_static_selectorELNS0_4arch9wavefront6targetE0EEEvT1_,comdat
.Lfunc_end2413:
	.size	_ZN7rocprim17ROCPRIM_400000_NS6detail17trampoline_kernelINS0_14default_configENS1_25partition_config_selectorILNS1_17partition_subalgoE5EyNS0_10empty_typeEbEEZZNS1_14partition_implILS5_5ELb0ES3_mN6thrust23THRUST_200600_302600_NS6detail15normal_iteratorINSA_10device_ptrIyEEEEPS6_NSA_18transform_iteratorINSB_9not_fun_tI7is_trueIyEEENSC_INSD_IbEEEENSA_11use_defaultESO_EENS0_5tupleIJSF_S6_EEENSQ_IJSG_SG_EEES6_PlJS6_EEE10hipError_tPvRmT3_T4_T5_T6_T7_T9_mT8_P12ihipStream_tbDpT10_ENKUlT_T0_E_clISt17integral_constantIbLb1EES1C_IbLb0EEEEDaS18_S19_EUlS18_E_NS1_11comp_targetILNS1_3genE0ELNS1_11target_archE4294967295ELNS1_3gpuE0ELNS1_3repE0EEENS1_30default_config_static_selectorELNS0_4arch9wavefront6targetE0EEEvT1_, .Lfunc_end2413-_ZN7rocprim17ROCPRIM_400000_NS6detail17trampoline_kernelINS0_14default_configENS1_25partition_config_selectorILNS1_17partition_subalgoE5EyNS0_10empty_typeEbEEZZNS1_14partition_implILS5_5ELb0ES3_mN6thrust23THRUST_200600_302600_NS6detail15normal_iteratorINSA_10device_ptrIyEEEEPS6_NSA_18transform_iteratorINSB_9not_fun_tI7is_trueIyEEENSC_INSD_IbEEEENSA_11use_defaultESO_EENS0_5tupleIJSF_S6_EEENSQ_IJSG_SG_EEES6_PlJS6_EEE10hipError_tPvRmT3_T4_T5_T6_T7_T9_mT8_P12ihipStream_tbDpT10_ENKUlT_T0_E_clISt17integral_constantIbLb1EES1C_IbLb0EEEEDaS18_S19_EUlS18_E_NS1_11comp_targetILNS1_3genE0ELNS1_11target_archE4294967295ELNS1_3gpuE0ELNS1_3repE0EEENS1_30default_config_static_selectorELNS0_4arch9wavefront6targetE0EEEvT1_
                                        ; -- End function
	.set _ZN7rocprim17ROCPRIM_400000_NS6detail17trampoline_kernelINS0_14default_configENS1_25partition_config_selectorILNS1_17partition_subalgoE5EyNS0_10empty_typeEbEEZZNS1_14partition_implILS5_5ELb0ES3_mN6thrust23THRUST_200600_302600_NS6detail15normal_iteratorINSA_10device_ptrIyEEEEPS6_NSA_18transform_iteratorINSB_9not_fun_tI7is_trueIyEEENSC_INSD_IbEEEENSA_11use_defaultESO_EENS0_5tupleIJSF_S6_EEENSQ_IJSG_SG_EEES6_PlJS6_EEE10hipError_tPvRmT3_T4_T5_T6_T7_T9_mT8_P12ihipStream_tbDpT10_ENKUlT_T0_E_clISt17integral_constantIbLb1EES1C_IbLb0EEEEDaS18_S19_EUlS18_E_NS1_11comp_targetILNS1_3genE0ELNS1_11target_archE4294967295ELNS1_3gpuE0ELNS1_3repE0EEENS1_30default_config_static_selectorELNS0_4arch9wavefront6targetE0EEEvT1_.num_vgpr, 0
	.set _ZN7rocprim17ROCPRIM_400000_NS6detail17trampoline_kernelINS0_14default_configENS1_25partition_config_selectorILNS1_17partition_subalgoE5EyNS0_10empty_typeEbEEZZNS1_14partition_implILS5_5ELb0ES3_mN6thrust23THRUST_200600_302600_NS6detail15normal_iteratorINSA_10device_ptrIyEEEEPS6_NSA_18transform_iteratorINSB_9not_fun_tI7is_trueIyEEENSC_INSD_IbEEEENSA_11use_defaultESO_EENS0_5tupleIJSF_S6_EEENSQ_IJSG_SG_EEES6_PlJS6_EEE10hipError_tPvRmT3_T4_T5_T6_T7_T9_mT8_P12ihipStream_tbDpT10_ENKUlT_T0_E_clISt17integral_constantIbLb1EES1C_IbLb0EEEEDaS18_S19_EUlS18_E_NS1_11comp_targetILNS1_3genE0ELNS1_11target_archE4294967295ELNS1_3gpuE0ELNS1_3repE0EEENS1_30default_config_static_selectorELNS0_4arch9wavefront6targetE0EEEvT1_.num_agpr, 0
	.set _ZN7rocprim17ROCPRIM_400000_NS6detail17trampoline_kernelINS0_14default_configENS1_25partition_config_selectorILNS1_17partition_subalgoE5EyNS0_10empty_typeEbEEZZNS1_14partition_implILS5_5ELb0ES3_mN6thrust23THRUST_200600_302600_NS6detail15normal_iteratorINSA_10device_ptrIyEEEEPS6_NSA_18transform_iteratorINSB_9not_fun_tI7is_trueIyEEENSC_INSD_IbEEEENSA_11use_defaultESO_EENS0_5tupleIJSF_S6_EEENSQ_IJSG_SG_EEES6_PlJS6_EEE10hipError_tPvRmT3_T4_T5_T6_T7_T9_mT8_P12ihipStream_tbDpT10_ENKUlT_T0_E_clISt17integral_constantIbLb1EES1C_IbLb0EEEEDaS18_S19_EUlS18_E_NS1_11comp_targetILNS1_3genE0ELNS1_11target_archE4294967295ELNS1_3gpuE0ELNS1_3repE0EEENS1_30default_config_static_selectorELNS0_4arch9wavefront6targetE0EEEvT1_.numbered_sgpr, 0
	.set _ZN7rocprim17ROCPRIM_400000_NS6detail17trampoline_kernelINS0_14default_configENS1_25partition_config_selectorILNS1_17partition_subalgoE5EyNS0_10empty_typeEbEEZZNS1_14partition_implILS5_5ELb0ES3_mN6thrust23THRUST_200600_302600_NS6detail15normal_iteratorINSA_10device_ptrIyEEEEPS6_NSA_18transform_iteratorINSB_9not_fun_tI7is_trueIyEEENSC_INSD_IbEEEENSA_11use_defaultESO_EENS0_5tupleIJSF_S6_EEENSQ_IJSG_SG_EEES6_PlJS6_EEE10hipError_tPvRmT3_T4_T5_T6_T7_T9_mT8_P12ihipStream_tbDpT10_ENKUlT_T0_E_clISt17integral_constantIbLb1EES1C_IbLb0EEEEDaS18_S19_EUlS18_E_NS1_11comp_targetILNS1_3genE0ELNS1_11target_archE4294967295ELNS1_3gpuE0ELNS1_3repE0EEENS1_30default_config_static_selectorELNS0_4arch9wavefront6targetE0EEEvT1_.num_named_barrier, 0
	.set _ZN7rocprim17ROCPRIM_400000_NS6detail17trampoline_kernelINS0_14default_configENS1_25partition_config_selectorILNS1_17partition_subalgoE5EyNS0_10empty_typeEbEEZZNS1_14partition_implILS5_5ELb0ES3_mN6thrust23THRUST_200600_302600_NS6detail15normal_iteratorINSA_10device_ptrIyEEEEPS6_NSA_18transform_iteratorINSB_9not_fun_tI7is_trueIyEEENSC_INSD_IbEEEENSA_11use_defaultESO_EENS0_5tupleIJSF_S6_EEENSQ_IJSG_SG_EEES6_PlJS6_EEE10hipError_tPvRmT3_T4_T5_T6_T7_T9_mT8_P12ihipStream_tbDpT10_ENKUlT_T0_E_clISt17integral_constantIbLb1EES1C_IbLb0EEEEDaS18_S19_EUlS18_E_NS1_11comp_targetILNS1_3genE0ELNS1_11target_archE4294967295ELNS1_3gpuE0ELNS1_3repE0EEENS1_30default_config_static_selectorELNS0_4arch9wavefront6targetE0EEEvT1_.private_seg_size, 0
	.set _ZN7rocprim17ROCPRIM_400000_NS6detail17trampoline_kernelINS0_14default_configENS1_25partition_config_selectorILNS1_17partition_subalgoE5EyNS0_10empty_typeEbEEZZNS1_14partition_implILS5_5ELb0ES3_mN6thrust23THRUST_200600_302600_NS6detail15normal_iteratorINSA_10device_ptrIyEEEEPS6_NSA_18transform_iteratorINSB_9not_fun_tI7is_trueIyEEENSC_INSD_IbEEEENSA_11use_defaultESO_EENS0_5tupleIJSF_S6_EEENSQ_IJSG_SG_EEES6_PlJS6_EEE10hipError_tPvRmT3_T4_T5_T6_T7_T9_mT8_P12ihipStream_tbDpT10_ENKUlT_T0_E_clISt17integral_constantIbLb1EES1C_IbLb0EEEEDaS18_S19_EUlS18_E_NS1_11comp_targetILNS1_3genE0ELNS1_11target_archE4294967295ELNS1_3gpuE0ELNS1_3repE0EEENS1_30default_config_static_selectorELNS0_4arch9wavefront6targetE0EEEvT1_.uses_vcc, 0
	.set _ZN7rocprim17ROCPRIM_400000_NS6detail17trampoline_kernelINS0_14default_configENS1_25partition_config_selectorILNS1_17partition_subalgoE5EyNS0_10empty_typeEbEEZZNS1_14partition_implILS5_5ELb0ES3_mN6thrust23THRUST_200600_302600_NS6detail15normal_iteratorINSA_10device_ptrIyEEEEPS6_NSA_18transform_iteratorINSB_9not_fun_tI7is_trueIyEEENSC_INSD_IbEEEENSA_11use_defaultESO_EENS0_5tupleIJSF_S6_EEENSQ_IJSG_SG_EEES6_PlJS6_EEE10hipError_tPvRmT3_T4_T5_T6_T7_T9_mT8_P12ihipStream_tbDpT10_ENKUlT_T0_E_clISt17integral_constantIbLb1EES1C_IbLb0EEEEDaS18_S19_EUlS18_E_NS1_11comp_targetILNS1_3genE0ELNS1_11target_archE4294967295ELNS1_3gpuE0ELNS1_3repE0EEENS1_30default_config_static_selectorELNS0_4arch9wavefront6targetE0EEEvT1_.uses_flat_scratch, 0
	.set _ZN7rocprim17ROCPRIM_400000_NS6detail17trampoline_kernelINS0_14default_configENS1_25partition_config_selectorILNS1_17partition_subalgoE5EyNS0_10empty_typeEbEEZZNS1_14partition_implILS5_5ELb0ES3_mN6thrust23THRUST_200600_302600_NS6detail15normal_iteratorINSA_10device_ptrIyEEEEPS6_NSA_18transform_iteratorINSB_9not_fun_tI7is_trueIyEEENSC_INSD_IbEEEENSA_11use_defaultESO_EENS0_5tupleIJSF_S6_EEENSQ_IJSG_SG_EEES6_PlJS6_EEE10hipError_tPvRmT3_T4_T5_T6_T7_T9_mT8_P12ihipStream_tbDpT10_ENKUlT_T0_E_clISt17integral_constantIbLb1EES1C_IbLb0EEEEDaS18_S19_EUlS18_E_NS1_11comp_targetILNS1_3genE0ELNS1_11target_archE4294967295ELNS1_3gpuE0ELNS1_3repE0EEENS1_30default_config_static_selectorELNS0_4arch9wavefront6targetE0EEEvT1_.has_dyn_sized_stack, 0
	.set _ZN7rocprim17ROCPRIM_400000_NS6detail17trampoline_kernelINS0_14default_configENS1_25partition_config_selectorILNS1_17partition_subalgoE5EyNS0_10empty_typeEbEEZZNS1_14partition_implILS5_5ELb0ES3_mN6thrust23THRUST_200600_302600_NS6detail15normal_iteratorINSA_10device_ptrIyEEEEPS6_NSA_18transform_iteratorINSB_9not_fun_tI7is_trueIyEEENSC_INSD_IbEEEENSA_11use_defaultESO_EENS0_5tupleIJSF_S6_EEENSQ_IJSG_SG_EEES6_PlJS6_EEE10hipError_tPvRmT3_T4_T5_T6_T7_T9_mT8_P12ihipStream_tbDpT10_ENKUlT_T0_E_clISt17integral_constantIbLb1EES1C_IbLb0EEEEDaS18_S19_EUlS18_E_NS1_11comp_targetILNS1_3genE0ELNS1_11target_archE4294967295ELNS1_3gpuE0ELNS1_3repE0EEENS1_30default_config_static_selectorELNS0_4arch9wavefront6targetE0EEEvT1_.has_recursion, 0
	.set _ZN7rocprim17ROCPRIM_400000_NS6detail17trampoline_kernelINS0_14default_configENS1_25partition_config_selectorILNS1_17partition_subalgoE5EyNS0_10empty_typeEbEEZZNS1_14partition_implILS5_5ELb0ES3_mN6thrust23THRUST_200600_302600_NS6detail15normal_iteratorINSA_10device_ptrIyEEEEPS6_NSA_18transform_iteratorINSB_9not_fun_tI7is_trueIyEEENSC_INSD_IbEEEENSA_11use_defaultESO_EENS0_5tupleIJSF_S6_EEENSQ_IJSG_SG_EEES6_PlJS6_EEE10hipError_tPvRmT3_T4_T5_T6_T7_T9_mT8_P12ihipStream_tbDpT10_ENKUlT_T0_E_clISt17integral_constantIbLb1EES1C_IbLb0EEEEDaS18_S19_EUlS18_E_NS1_11comp_targetILNS1_3genE0ELNS1_11target_archE4294967295ELNS1_3gpuE0ELNS1_3repE0EEENS1_30default_config_static_selectorELNS0_4arch9wavefront6targetE0EEEvT1_.has_indirect_call, 0
	.section	.AMDGPU.csdata,"",@progbits
; Kernel info:
; codeLenInByte = 0
; TotalNumSgprs: 0
; NumVgprs: 0
; ScratchSize: 0
; MemoryBound: 0
; FloatMode: 240
; IeeeMode: 1
; LDSByteSize: 0 bytes/workgroup (compile time only)
; SGPRBlocks: 0
; VGPRBlocks: 0
; NumSGPRsForWavesPerEU: 1
; NumVGPRsForWavesPerEU: 1
; Occupancy: 16
; WaveLimiterHint : 0
; COMPUTE_PGM_RSRC2:SCRATCH_EN: 0
; COMPUTE_PGM_RSRC2:USER_SGPR: 2
; COMPUTE_PGM_RSRC2:TRAP_HANDLER: 0
; COMPUTE_PGM_RSRC2:TGID_X_EN: 1
; COMPUTE_PGM_RSRC2:TGID_Y_EN: 0
; COMPUTE_PGM_RSRC2:TGID_Z_EN: 0
; COMPUTE_PGM_RSRC2:TIDIG_COMP_CNT: 0
	.section	.text._ZN7rocprim17ROCPRIM_400000_NS6detail17trampoline_kernelINS0_14default_configENS1_25partition_config_selectorILNS1_17partition_subalgoE5EyNS0_10empty_typeEbEEZZNS1_14partition_implILS5_5ELb0ES3_mN6thrust23THRUST_200600_302600_NS6detail15normal_iteratorINSA_10device_ptrIyEEEEPS6_NSA_18transform_iteratorINSB_9not_fun_tI7is_trueIyEEENSC_INSD_IbEEEENSA_11use_defaultESO_EENS0_5tupleIJSF_S6_EEENSQ_IJSG_SG_EEES6_PlJS6_EEE10hipError_tPvRmT3_T4_T5_T6_T7_T9_mT8_P12ihipStream_tbDpT10_ENKUlT_T0_E_clISt17integral_constantIbLb1EES1C_IbLb0EEEEDaS18_S19_EUlS18_E_NS1_11comp_targetILNS1_3genE5ELNS1_11target_archE942ELNS1_3gpuE9ELNS1_3repE0EEENS1_30default_config_static_selectorELNS0_4arch9wavefront6targetE0EEEvT1_,"axG",@progbits,_ZN7rocprim17ROCPRIM_400000_NS6detail17trampoline_kernelINS0_14default_configENS1_25partition_config_selectorILNS1_17partition_subalgoE5EyNS0_10empty_typeEbEEZZNS1_14partition_implILS5_5ELb0ES3_mN6thrust23THRUST_200600_302600_NS6detail15normal_iteratorINSA_10device_ptrIyEEEEPS6_NSA_18transform_iteratorINSB_9not_fun_tI7is_trueIyEEENSC_INSD_IbEEEENSA_11use_defaultESO_EENS0_5tupleIJSF_S6_EEENSQ_IJSG_SG_EEES6_PlJS6_EEE10hipError_tPvRmT3_T4_T5_T6_T7_T9_mT8_P12ihipStream_tbDpT10_ENKUlT_T0_E_clISt17integral_constantIbLb1EES1C_IbLb0EEEEDaS18_S19_EUlS18_E_NS1_11comp_targetILNS1_3genE5ELNS1_11target_archE942ELNS1_3gpuE9ELNS1_3repE0EEENS1_30default_config_static_selectorELNS0_4arch9wavefront6targetE0EEEvT1_,comdat
	.protected	_ZN7rocprim17ROCPRIM_400000_NS6detail17trampoline_kernelINS0_14default_configENS1_25partition_config_selectorILNS1_17partition_subalgoE5EyNS0_10empty_typeEbEEZZNS1_14partition_implILS5_5ELb0ES3_mN6thrust23THRUST_200600_302600_NS6detail15normal_iteratorINSA_10device_ptrIyEEEEPS6_NSA_18transform_iteratorINSB_9not_fun_tI7is_trueIyEEENSC_INSD_IbEEEENSA_11use_defaultESO_EENS0_5tupleIJSF_S6_EEENSQ_IJSG_SG_EEES6_PlJS6_EEE10hipError_tPvRmT3_T4_T5_T6_T7_T9_mT8_P12ihipStream_tbDpT10_ENKUlT_T0_E_clISt17integral_constantIbLb1EES1C_IbLb0EEEEDaS18_S19_EUlS18_E_NS1_11comp_targetILNS1_3genE5ELNS1_11target_archE942ELNS1_3gpuE9ELNS1_3repE0EEENS1_30default_config_static_selectorELNS0_4arch9wavefront6targetE0EEEvT1_ ; -- Begin function _ZN7rocprim17ROCPRIM_400000_NS6detail17trampoline_kernelINS0_14default_configENS1_25partition_config_selectorILNS1_17partition_subalgoE5EyNS0_10empty_typeEbEEZZNS1_14partition_implILS5_5ELb0ES3_mN6thrust23THRUST_200600_302600_NS6detail15normal_iteratorINSA_10device_ptrIyEEEEPS6_NSA_18transform_iteratorINSB_9not_fun_tI7is_trueIyEEENSC_INSD_IbEEEENSA_11use_defaultESO_EENS0_5tupleIJSF_S6_EEENSQ_IJSG_SG_EEES6_PlJS6_EEE10hipError_tPvRmT3_T4_T5_T6_T7_T9_mT8_P12ihipStream_tbDpT10_ENKUlT_T0_E_clISt17integral_constantIbLb1EES1C_IbLb0EEEEDaS18_S19_EUlS18_E_NS1_11comp_targetILNS1_3genE5ELNS1_11target_archE942ELNS1_3gpuE9ELNS1_3repE0EEENS1_30default_config_static_selectorELNS0_4arch9wavefront6targetE0EEEvT1_
	.globl	_ZN7rocprim17ROCPRIM_400000_NS6detail17trampoline_kernelINS0_14default_configENS1_25partition_config_selectorILNS1_17partition_subalgoE5EyNS0_10empty_typeEbEEZZNS1_14partition_implILS5_5ELb0ES3_mN6thrust23THRUST_200600_302600_NS6detail15normal_iteratorINSA_10device_ptrIyEEEEPS6_NSA_18transform_iteratorINSB_9not_fun_tI7is_trueIyEEENSC_INSD_IbEEEENSA_11use_defaultESO_EENS0_5tupleIJSF_S6_EEENSQ_IJSG_SG_EEES6_PlJS6_EEE10hipError_tPvRmT3_T4_T5_T6_T7_T9_mT8_P12ihipStream_tbDpT10_ENKUlT_T0_E_clISt17integral_constantIbLb1EES1C_IbLb0EEEEDaS18_S19_EUlS18_E_NS1_11comp_targetILNS1_3genE5ELNS1_11target_archE942ELNS1_3gpuE9ELNS1_3repE0EEENS1_30default_config_static_selectorELNS0_4arch9wavefront6targetE0EEEvT1_
	.p2align	8
	.type	_ZN7rocprim17ROCPRIM_400000_NS6detail17trampoline_kernelINS0_14default_configENS1_25partition_config_selectorILNS1_17partition_subalgoE5EyNS0_10empty_typeEbEEZZNS1_14partition_implILS5_5ELb0ES3_mN6thrust23THRUST_200600_302600_NS6detail15normal_iteratorINSA_10device_ptrIyEEEEPS6_NSA_18transform_iteratorINSB_9not_fun_tI7is_trueIyEEENSC_INSD_IbEEEENSA_11use_defaultESO_EENS0_5tupleIJSF_S6_EEENSQ_IJSG_SG_EEES6_PlJS6_EEE10hipError_tPvRmT3_T4_T5_T6_T7_T9_mT8_P12ihipStream_tbDpT10_ENKUlT_T0_E_clISt17integral_constantIbLb1EES1C_IbLb0EEEEDaS18_S19_EUlS18_E_NS1_11comp_targetILNS1_3genE5ELNS1_11target_archE942ELNS1_3gpuE9ELNS1_3repE0EEENS1_30default_config_static_selectorELNS0_4arch9wavefront6targetE0EEEvT1_,@function
_ZN7rocprim17ROCPRIM_400000_NS6detail17trampoline_kernelINS0_14default_configENS1_25partition_config_selectorILNS1_17partition_subalgoE5EyNS0_10empty_typeEbEEZZNS1_14partition_implILS5_5ELb0ES3_mN6thrust23THRUST_200600_302600_NS6detail15normal_iteratorINSA_10device_ptrIyEEEEPS6_NSA_18transform_iteratorINSB_9not_fun_tI7is_trueIyEEENSC_INSD_IbEEEENSA_11use_defaultESO_EENS0_5tupleIJSF_S6_EEENSQ_IJSG_SG_EEES6_PlJS6_EEE10hipError_tPvRmT3_T4_T5_T6_T7_T9_mT8_P12ihipStream_tbDpT10_ENKUlT_T0_E_clISt17integral_constantIbLb1EES1C_IbLb0EEEEDaS18_S19_EUlS18_E_NS1_11comp_targetILNS1_3genE5ELNS1_11target_archE942ELNS1_3gpuE9ELNS1_3repE0EEENS1_30default_config_static_selectorELNS0_4arch9wavefront6targetE0EEEvT1_: ; @_ZN7rocprim17ROCPRIM_400000_NS6detail17trampoline_kernelINS0_14default_configENS1_25partition_config_selectorILNS1_17partition_subalgoE5EyNS0_10empty_typeEbEEZZNS1_14partition_implILS5_5ELb0ES3_mN6thrust23THRUST_200600_302600_NS6detail15normal_iteratorINSA_10device_ptrIyEEEEPS6_NSA_18transform_iteratorINSB_9not_fun_tI7is_trueIyEEENSC_INSD_IbEEEENSA_11use_defaultESO_EENS0_5tupleIJSF_S6_EEENSQ_IJSG_SG_EEES6_PlJS6_EEE10hipError_tPvRmT3_T4_T5_T6_T7_T9_mT8_P12ihipStream_tbDpT10_ENKUlT_T0_E_clISt17integral_constantIbLb1EES1C_IbLb0EEEEDaS18_S19_EUlS18_E_NS1_11comp_targetILNS1_3genE5ELNS1_11target_archE942ELNS1_3gpuE9ELNS1_3repE0EEENS1_30default_config_static_selectorELNS0_4arch9wavefront6targetE0EEEvT1_
; %bb.0:
	.section	.rodata,"a",@progbits
	.p2align	6, 0x0
	.amdhsa_kernel _ZN7rocprim17ROCPRIM_400000_NS6detail17trampoline_kernelINS0_14default_configENS1_25partition_config_selectorILNS1_17partition_subalgoE5EyNS0_10empty_typeEbEEZZNS1_14partition_implILS5_5ELb0ES3_mN6thrust23THRUST_200600_302600_NS6detail15normal_iteratorINSA_10device_ptrIyEEEEPS6_NSA_18transform_iteratorINSB_9not_fun_tI7is_trueIyEEENSC_INSD_IbEEEENSA_11use_defaultESO_EENS0_5tupleIJSF_S6_EEENSQ_IJSG_SG_EEES6_PlJS6_EEE10hipError_tPvRmT3_T4_T5_T6_T7_T9_mT8_P12ihipStream_tbDpT10_ENKUlT_T0_E_clISt17integral_constantIbLb1EES1C_IbLb0EEEEDaS18_S19_EUlS18_E_NS1_11comp_targetILNS1_3genE5ELNS1_11target_archE942ELNS1_3gpuE9ELNS1_3repE0EEENS1_30default_config_static_selectorELNS0_4arch9wavefront6targetE0EEEvT1_
		.amdhsa_group_segment_fixed_size 0
		.amdhsa_private_segment_fixed_size 0
		.amdhsa_kernarg_size 120
		.amdhsa_user_sgpr_count 2
		.amdhsa_user_sgpr_dispatch_ptr 0
		.amdhsa_user_sgpr_queue_ptr 0
		.amdhsa_user_sgpr_kernarg_segment_ptr 1
		.amdhsa_user_sgpr_dispatch_id 0
		.amdhsa_user_sgpr_private_segment_size 0
		.amdhsa_wavefront_size32 1
		.amdhsa_uses_dynamic_stack 0
		.amdhsa_enable_private_segment 0
		.amdhsa_system_sgpr_workgroup_id_x 1
		.amdhsa_system_sgpr_workgroup_id_y 0
		.amdhsa_system_sgpr_workgroup_id_z 0
		.amdhsa_system_sgpr_workgroup_info 0
		.amdhsa_system_vgpr_workitem_id 0
		.amdhsa_next_free_vgpr 1
		.amdhsa_next_free_sgpr 1
		.amdhsa_reserve_vcc 0
		.amdhsa_float_round_mode_32 0
		.amdhsa_float_round_mode_16_64 0
		.amdhsa_float_denorm_mode_32 3
		.amdhsa_float_denorm_mode_16_64 3
		.amdhsa_fp16_overflow 0
		.amdhsa_workgroup_processor_mode 1
		.amdhsa_memory_ordered 1
		.amdhsa_forward_progress 1
		.amdhsa_inst_pref_size 0
		.amdhsa_round_robin_scheduling 0
		.amdhsa_exception_fp_ieee_invalid_op 0
		.amdhsa_exception_fp_denorm_src 0
		.amdhsa_exception_fp_ieee_div_zero 0
		.amdhsa_exception_fp_ieee_overflow 0
		.amdhsa_exception_fp_ieee_underflow 0
		.amdhsa_exception_fp_ieee_inexact 0
		.amdhsa_exception_int_div_zero 0
	.end_amdhsa_kernel
	.section	.text._ZN7rocprim17ROCPRIM_400000_NS6detail17trampoline_kernelINS0_14default_configENS1_25partition_config_selectorILNS1_17partition_subalgoE5EyNS0_10empty_typeEbEEZZNS1_14partition_implILS5_5ELb0ES3_mN6thrust23THRUST_200600_302600_NS6detail15normal_iteratorINSA_10device_ptrIyEEEEPS6_NSA_18transform_iteratorINSB_9not_fun_tI7is_trueIyEEENSC_INSD_IbEEEENSA_11use_defaultESO_EENS0_5tupleIJSF_S6_EEENSQ_IJSG_SG_EEES6_PlJS6_EEE10hipError_tPvRmT3_T4_T5_T6_T7_T9_mT8_P12ihipStream_tbDpT10_ENKUlT_T0_E_clISt17integral_constantIbLb1EES1C_IbLb0EEEEDaS18_S19_EUlS18_E_NS1_11comp_targetILNS1_3genE5ELNS1_11target_archE942ELNS1_3gpuE9ELNS1_3repE0EEENS1_30default_config_static_selectorELNS0_4arch9wavefront6targetE0EEEvT1_,"axG",@progbits,_ZN7rocprim17ROCPRIM_400000_NS6detail17trampoline_kernelINS0_14default_configENS1_25partition_config_selectorILNS1_17partition_subalgoE5EyNS0_10empty_typeEbEEZZNS1_14partition_implILS5_5ELb0ES3_mN6thrust23THRUST_200600_302600_NS6detail15normal_iteratorINSA_10device_ptrIyEEEEPS6_NSA_18transform_iteratorINSB_9not_fun_tI7is_trueIyEEENSC_INSD_IbEEEENSA_11use_defaultESO_EENS0_5tupleIJSF_S6_EEENSQ_IJSG_SG_EEES6_PlJS6_EEE10hipError_tPvRmT3_T4_T5_T6_T7_T9_mT8_P12ihipStream_tbDpT10_ENKUlT_T0_E_clISt17integral_constantIbLb1EES1C_IbLb0EEEEDaS18_S19_EUlS18_E_NS1_11comp_targetILNS1_3genE5ELNS1_11target_archE942ELNS1_3gpuE9ELNS1_3repE0EEENS1_30default_config_static_selectorELNS0_4arch9wavefront6targetE0EEEvT1_,comdat
.Lfunc_end2414:
	.size	_ZN7rocprim17ROCPRIM_400000_NS6detail17trampoline_kernelINS0_14default_configENS1_25partition_config_selectorILNS1_17partition_subalgoE5EyNS0_10empty_typeEbEEZZNS1_14partition_implILS5_5ELb0ES3_mN6thrust23THRUST_200600_302600_NS6detail15normal_iteratorINSA_10device_ptrIyEEEEPS6_NSA_18transform_iteratorINSB_9not_fun_tI7is_trueIyEEENSC_INSD_IbEEEENSA_11use_defaultESO_EENS0_5tupleIJSF_S6_EEENSQ_IJSG_SG_EEES6_PlJS6_EEE10hipError_tPvRmT3_T4_T5_T6_T7_T9_mT8_P12ihipStream_tbDpT10_ENKUlT_T0_E_clISt17integral_constantIbLb1EES1C_IbLb0EEEEDaS18_S19_EUlS18_E_NS1_11comp_targetILNS1_3genE5ELNS1_11target_archE942ELNS1_3gpuE9ELNS1_3repE0EEENS1_30default_config_static_selectorELNS0_4arch9wavefront6targetE0EEEvT1_, .Lfunc_end2414-_ZN7rocprim17ROCPRIM_400000_NS6detail17trampoline_kernelINS0_14default_configENS1_25partition_config_selectorILNS1_17partition_subalgoE5EyNS0_10empty_typeEbEEZZNS1_14partition_implILS5_5ELb0ES3_mN6thrust23THRUST_200600_302600_NS6detail15normal_iteratorINSA_10device_ptrIyEEEEPS6_NSA_18transform_iteratorINSB_9not_fun_tI7is_trueIyEEENSC_INSD_IbEEEENSA_11use_defaultESO_EENS0_5tupleIJSF_S6_EEENSQ_IJSG_SG_EEES6_PlJS6_EEE10hipError_tPvRmT3_T4_T5_T6_T7_T9_mT8_P12ihipStream_tbDpT10_ENKUlT_T0_E_clISt17integral_constantIbLb1EES1C_IbLb0EEEEDaS18_S19_EUlS18_E_NS1_11comp_targetILNS1_3genE5ELNS1_11target_archE942ELNS1_3gpuE9ELNS1_3repE0EEENS1_30default_config_static_selectorELNS0_4arch9wavefront6targetE0EEEvT1_
                                        ; -- End function
	.set _ZN7rocprim17ROCPRIM_400000_NS6detail17trampoline_kernelINS0_14default_configENS1_25partition_config_selectorILNS1_17partition_subalgoE5EyNS0_10empty_typeEbEEZZNS1_14partition_implILS5_5ELb0ES3_mN6thrust23THRUST_200600_302600_NS6detail15normal_iteratorINSA_10device_ptrIyEEEEPS6_NSA_18transform_iteratorINSB_9not_fun_tI7is_trueIyEEENSC_INSD_IbEEEENSA_11use_defaultESO_EENS0_5tupleIJSF_S6_EEENSQ_IJSG_SG_EEES6_PlJS6_EEE10hipError_tPvRmT3_T4_T5_T6_T7_T9_mT8_P12ihipStream_tbDpT10_ENKUlT_T0_E_clISt17integral_constantIbLb1EES1C_IbLb0EEEEDaS18_S19_EUlS18_E_NS1_11comp_targetILNS1_3genE5ELNS1_11target_archE942ELNS1_3gpuE9ELNS1_3repE0EEENS1_30default_config_static_selectorELNS0_4arch9wavefront6targetE0EEEvT1_.num_vgpr, 0
	.set _ZN7rocprim17ROCPRIM_400000_NS6detail17trampoline_kernelINS0_14default_configENS1_25partition_config_selectorILNS1_17partition_subalgoE5EyNS0_10empty_typeEbEEZZNS1_14partition_implILS5_5ELb0ES3_mN6thrust23THRUST_200600_302600_NS6detail15normal_iteratorINSA_10device_ptrIyEEEEPS6_NSA_18transform_iteratorINSB_9not_fun_tI7is_trueIyEEENSC_INSD_IbEEEENSA_11use_defaultESO_EENS0_5tupleIJSF_S6_EEENSQ_IJSG_SG_EEES6_PlJS6_EEE10hipError_tPvRmT3_T4_T5_T6_T7_T9_mT8_P12ihipStream_tbDpT10_ENKUlT_T0_E_clISt17integral_constantIbLb1EES1C_IbLb0EEEEDaS18_S19_EUlS18_E_NS1_11comp_targetILNS1_3genE5ELNS1_11target_archE942ELNS1_3gpuE9ELNS1_3repE0EEENS1_30default_config_static_selectorELNS0_4arch9wavefront6targetE0EEEvT1_.num_agpr, 0
	.set _ZN7rocprim17ROCPRIM_400000_NS6detail17trampoline_kernelINS0_14default_configENS1_25partition_config_selectorILNS1_17partition_subalgoE5EyNS0_10empty_typeEbEEZZNS1_14partition_implILS5_5ELb0ES3_mN6thrust23THRUST_200600_302600_NS6detail15normal_iteratorINSA_10device_ptrIyEEEEPS6_NSA_18transform_iteratorINSB_9not_fun_tI7is_trueIyEEENSC_INSD_IbEEEENSA_11use_defaultESO_EENS0_5tupleIJSF_S6_EEENSQ_IJSG_SG_EEES6_PlJS6_EEE10hipError_tPvRmT3_T4_T5_T6_T7_T9_mT8_P12ihipStream_tbDpT10_ENKUlT_T0_E_clISt17integral_constantIbLb1EES1C_IbLb0EEEEDaS18_S19_EUlS18_E_NS1_11comp_targetILNS1_3genE5ELNS1_11target_archE942ELNS1_3gpuE9ELNS1_3repE0EEENS1_30default_config_static_selectorELNS0_4arch9wavefront6targetE0EEEvT1_.numbered_sgpr, 0
	.set _ZN7rocprim17ROCPRIM_400000_NS6detail17trampoline_kernelINS0_14default_configENS1_25partition_config_selectorILNS1_17partition_subalgoE5EyNS0_10empty_typeEbEEZZNS1_14partition_implILS5_5ELb0ES3_mN6thrust23THRUST_200600_302600_NS6detail15normal_iteratorINSA_10device_ptrIyEEEEPS6_NSA_18transform_iteratorINSB_9not_fun_tI7is_trueIyEEENSC_INSD_IbEEEENSA_11use_defaultESO_EENS0_5tupleIJSF_S6_EEENSQ_IJSG_SG_EEES6_PlJS6_EEE10hipError_tPvRmT3_T4_T5_T6_T7_T9_mT8_P12ihipStream_tbDpT10_ENKUlT_T0_E_clISt17integral_constantIbLb1EES1C_IbLb0EEEEDaS18_S19_EUlS18_E_NS1_11comp_targetILNS1_3genE5ELNS1_11target_archE942ELNS1_3gpuE9ELNS1_3repE0EEENS1_30default_config_static_selectorELNS0_4arch9wavefront6targetE0EEEvT1_.num_named_barrier, 0
	.set _ZN7rocprim17ROCPRIM_400000_NS6detail17trampoline_kernelINS0_14default_configENS1_25partition_config_selectorILNS1_17partition_subalgoE5EyNS0_10empty_typeEbEEZZNS1_14partition_implILS5_5ELb0ES3_mN6thrust23THRUST_200600_302600_NS6detail15normal_iteratorINSA_10device_ptrIyEEEEPS6_NSA_18transform_iteratorINSB_9not_fun_tI7is_trueIyEEENSC_INSD_IbEEEENSA_11use_defaultESO_EENS0_5tupleIJSF_S6_EEENSQ_IJSG_SG_EEES6_PlJS6_EEE10hipError_tPvRmT3_T4_T5_T6_T7_T9_mT8_P12ihipStream_tbDpT10_ENKUlT_T0_E_clISt17integral_constantIbLb1EES1C_IbLb0EEEEDaS18_S19_EUlS18_E_NS1_11comp_targetILNS1_3genE5ELNS1_11target_archE942ELNS1_3gpuE9ELNS1_3repE0EEENS1_30default_config_static_selectorELNS0_4arch9wavefront6targetE0EEEvT1_.private_seg_size, 0
	.set _ZN7rocprim17ROCPRIM_400000_NS6detail17trampoline_kernelINS0_14default_configENS1_25partition_config_selectorILNS1_17partition_subalgoE5EyNS0_10empty_typeEbEEZZNS1_14partition_implILS5_5ELb0ES3_mN6thrust23THRUST_200600_302600_NS6detail15normal_iteratorINSA_10device_ptrIyEEEEPS6_NSA_18transform_iteratorINSB_9not_fun_tI7is_trueIyEEENSC_INSD_IbEEEENSA_11use_defaultESO_EENS0_5tupleIJSF_S6_EEENSQ_IJSG_SG_EEES6_PlJS6_EEE10hipError_tPvRmT3_T4_T5_T6_T7_T9_mT8_P12ihipStream_tbDpT10_ENKUlT_T0_E_clISt17integral_constantIbLb1EES1C_IbLb0EEEEDaS18_S19_EUlS18_E_NS1_11comp_targetILNS1_3genE5ELNS1_11target_archE942ELNS1_3gpuE9ELNS1_3repE0EEENS1_30default_config_static_selectorELNS0_4arch9wavefront6targetE0EEEvT1_.uses_vcc, 0
	.set _ZN7rocprim17ROCPRIM_400000_NS6detail17trampoline_kernelINS0_14default_configENS1_25partition_config_selectorILNS1_17partition_subalgoE5EyNS0_10empty_typeEbEEZZNS1_14partition_implILS5_5ELb0ES3_mN6thrust23THRUST_200600_302600_NS6detail15normal_iteratorINSA_10device_ptrIyEEEEPS6_NSA_18transform_iteratorINSB_9not_fun_tI7is_trueIyEEENSC_INSD_IbEEEENSA_11use_defaultESO_EENS0_5tupleIJSF_S6_EEENSQ_IJSG_SG_EEES6_PlJS6_EEE10hipError_tPvRmT3_T4_T5_T6_T7_T9_mT8_P12ihipStream_tbDpT10_ENKUlT_T0_E_clISt17integral_constantIbLb1EES1C_IbLb0EEEEDaS18_S19_EUlS18_E_NS1_11comp_targetILNS1_3genE5ELNS1_11target_archE942ELNS1_3gpuE9ELNS1_3repE0EEENS1_30default_config_static_selectorELNS0_4arch9wavefront6targetE0EEEvT1_.uses_flat_scratch, 0
	.set _ZN7rocprim17ROCPRIM_400000_NS6detail17trampoline_kernelINS0_14default_configENS1_25partition_config_selectorILNS1_17partition_subalgoE5EyNS0_10empty_typeEbEEZZNS1_14partition_implILS5_5ELb0ES3_mN6thrust23THRUST_200600_302600_NS6detail15normal_iteratorINSA_10device_ptrIyEEEEPS6_NSA_18transform_iteratorINSB_9not_fun_tI7is_trueIyEEENSC_INSD_IbEEEENSA_11use_defaultESO_EENS0_5tupleIJSF_S6_EEENSQ_IJSG_SG_EEES6_PlJS6_EEE10hipError_tPvRmT3_T4_T5_T6_T7_T9_mT8_P12ihipStream_tbDpT10_ENKUlT_T0_E_clISt17integral_constantIbLb1EES1C_IbLb0EEEEDaS18_S19_EUlS18_E_NS1_11comp_targetILNS1_3genE5ELNS1_11target_archE942ELNS1_3gpuE9ELNS1_3repE0EEENS1_30default_config_static_selectorELNS0_4arch9wavefront6targetE0EEEvT1_.has_dyn_sized_stack, 0
	.set _ZN7rocprim17ROCPRIM_400000_NS6detail17trampoline_kernelINS0_14default_configENS1_25partition_config_selectorILNS1_17partition_subalgoE5EyNS0_10empty_typeEbEEZZNS1_14partition_implILS5_5ELb0ES3_mN6thrust23THRUST_200600_302600_NS6detail15normal_iteratorINSA_10device_ptrIyEEEEPS6_NSA_18transform_iteratorINSB_9not_fun_tI7is_trueIyEEENSC_INSD_IbEEEENSA_11use_defaultESO_EENS0_5tupleIJSF_S6_EEENSQ_IJSG_SG_EEES6_PlJS6_EEE10hipError_tPvRmT3_T4_T5_T6_T7_T9_mT8_P12ihipStream_tbDpT10_ENKUlT_T0_E_clISt17integral_constantIbLb1EES1C_IbLb0EEEEDaS18_S19_EUlS18_E_NS1_11comp_targetILNS1_3genE5ELNS1_11target_archE942ELNS1_3gpuE9ELNS1_3repE0EEENS1_30default_config_static_selectorELNS0_4arch9wavefront6targetE0EEEvT1_.has_recursion, 0
	.set _ZN7rocprim17ROCPRIM_400000_NS6detail17trampoline_kernelINS0_14default_configENS1_25partition_config_selectorILNS1_17partition_subalgoE5EyNS0_10empty_typeEbEEZZNS1_14partition_implILS5_5ELb0ES3_mN6thrust23THRUST_200600_302600_NS6detail15normal_iteratorINSA_10device_ptrIyEEEEPS6_NSA_18transform_iteratorINSB_9not_fun_tI7is_trueIyEEENSC_INSD_IbEEEENSA_11use_defaultESO_EENS0_5tupleIJSF_S6_EEENSQ_IJSG_SG_EEES6_PlJS6_EEE10hipError_tPvRmT3_T4_T5_T6_T7_T9_mT8_P12ihipStream_tbDpT10_ENKUlT_T0_E_clISt17integral_constantIbLb1EES1C_IbLb0EEEEDaS18_S19_EUlS18_E_NS1_11comp_targetILNS1_3genE5ELNS1_11target_archE942ELNS1_3gpuE9ELNS1_3repE0EEENS1_30default_config_static_selectorELNS0_4arch9wavefront6targetE0EEEvT1_.has_indirect_call, 0
	.section	.AMDGPU.csdata,"",@progbits
; Kernel info:
; codeLenInByte = 0
; TotalNumSgprs: 0
; NumVgprs: 0
; ScratchSize: 0
; MemoryBound: 0
; FloatMode: 240
; IeeeMode: 1
; LDSByteSize: 0 bytes/workgroup (compile time only)
; SGPRBlocks: 0
; VGPRBlocks: 0
; NumSGPRsForWavesPerEU: 1
; NumVGPRsForWavesPerEU: 1
; Occupancy: 16
; WaveLimiterHint : 0
; COMPUTE_PGM_RSRC2:SCRATCH_EN: 0
; COMPUTE_PGM_RSRC2:USER_SGPR: 2
; COMPUTE_PGM_RSRC2:TRAP_HANDLER: 0
; COMPUTE_PGM_RSRC2:TGID_X_EN: 1
; COMPUTE_PGM_RSRC2:TGID_Y_EN: 0
; COMPUTE_PGM_RSRC2:TGID_Z_EN: 0
; COMPUTE_PGM_RSRC2:TIDIG_COMP_CNT: 0
	.section	.text._ZN7rocprim17ROCPRIM_400000_NS6detail17trampoline_kernelINS0_14default_configENS1_25partition_config_selectorILNS1_17partition_subalgoE5EyNS0_10empty_typeEbEEZZNS1_14partition_implILS5_5ELb0ES3_mN6thrust23THRUST_200600_302600_NS6detail15normal_iteratorINSA_10device_ptrIyEEEEPS6_NSA_18transform_iteratorINSB_9not_fun_tI7is_trueIyEEENSC_INSD_IbEEEENSA_11use_defaultESO_EENS0_5tupleIJSF_S6_EEENSQ_IJSG_SG_EEES6_PlJS6_EEE10hipError_tPvRmT3_T4_T5_T6_T7_T9_mT8_P12ihipStream_tbDpT10_ENKUlT_T0_E_clISt17integral_constantIbLb1EES1C_IbLb0EEEEDaS18_S19_EUlS18_E_NS1_11comp_targetILNS1_3genE4ELNS1_11target_archE910ELNS1_3gpuE8ELNS1_3repE0EEENS1_30default_config_static_selectorELNS0_4arch9wavefront6targetE0EEEvT1_,"axG",@progbits,_ZN7rocprim17ROCPRIM_400000_NS6detail17trampoline_kernelINS0_14default_configENS1_25partition_config_selectorILNS1_17partition_subalgoE5EyNS0_10empty_typeEbEEZZNS1_14partition_implILS5_5ELb0ES3_mN6thrust23THRUST_200600_302600_NS6detail15normal_iteratorINSA_10device_ptrIyEEEEPS6_NSA_18transform_iteratorINSB_9not_fun_tI7is_trueIyEEENSC_INSD_IbEEEENSA_11use_defaultESO_EENS0_5tupleIJSF_S6_EEENSQ_IJSG_SG_EEES6_PlJS6_EEE10hipError_tPvRmT3_T4_T5_T6_T7_T9_mT8_P12ihipStream_tbDpT10_ENKUlT_T0_E_clISt17integral_constantIbLb1EES1C_IbLb0EEEEDaS18_S19_EUlS18_E_NS1_11comp_targetILNS1_3genE4ELNS1_11target_archE910ELNS1_3gpuE8ELNS1_3repE0EEENS1_30default_config_static_selectorELNS0_4arch9wavefront6targetE0EEEvT1_,comdat
	.protected	_ZN7rocprim17ROCPRIM_400000_NS6detail17trampoline_kernelINS0_14default_configENS1_25partition_config_selectorILNS1_17partition_subalgoE5EyNS0_10empty_typeEbEEZZNS1_14partition_implILS5_5ELb0ES3_mN6thrust23THRUST_200600_302600_NS6detail15normal_iteratorINSA_10device_ptrIyEEEEPS6_NSA_18transform_iteratorINSB_9not_fun_tI7is_trueIyEEENSC_INSD_IbEEEENSA_11use_defaultESO_EENS0_5tupleIJSF_S6_EEENSQ_IJSG_SG_EEES6_PlJS6_EEE10hipError_tPvRmT3_T4_T5_T6_T7_T9_mT8_P12ihipStream_tbDpT10_ENKUlT_T0_E_clISt17integral_constantIbLb1EES1C_IbLb0EEEEDaS18_S19_EUlS18_E_NS1_11comp_targetILNS1_3genE4ELNS1_11target_archE910ELNS1_3gpuE8ELNS1_3repE0EEENS1_30default_config_static_selectorELNS0_4arch9wavefront6targetE0EEEvT1_ ; -- Begin function _ZN7rocprim17ROCPRIM_400000_NS6detail17trampoline_kernelINS0_14default_configENS1_25partition_config_selectorILNS1_17partition_subalgoE5EyNS0_10empty_typeEbEEZZNS1_14partition_implILS5_5ELb0ES3_mN6thrust23THRUST_200600_302600_NS6detail15normal_iteratorINSA_10device_ptrIyEEEEPS6_NSA_18transform_iteratorINSB_9not_fun_tI7is_trueIyEEENSC_INSD_IbEEEENSA_11use_defaultESO_EENS0_5tupleIJSF_S6_EEENSQ_IJSG_SG_EEES6_PlJS6_EEE10hipError_tPvRmT3_T4_T5_T6_T7_T9_mT8_P12ihipStream_tbDpT10_ENKUlT_T0_E_clISt17integral_constantIbLb1EES1C_IbLb0EEEEDaS18_S19_EUlS18_E_NS1_11comp_targetILNS1_3genE4ELNS1_11target_archE910ELNS1_3gpuE8ELNS1_3repE0EEENS1_30default_config_static_selectorELNS0_4arch9wavefront6targetE0EEEvT1_
	.globl	_ZN7rocprim17ROCPRIM_400000_NS6detail17trampoline_kernelINS0_14default_configENS1_25partition_config_selectorILNS1_17partition_subalgoE5EyNS0_10empty_typeEbEEZZNS1_14partition_implILS5_5ELb0ES3_mN6thrust23THRUST_200600_302600_NS6detail15normal_iteratorINSA_10device_ptrIyEEEEPS6_NSA_18transform_iteratorINSB_9not_fun_tI7is_trueIyEEENSC_INSD_IbEEEENSA_11use_defaultESO_EENS0_5tupleIJSF_S6_EEENSQ_IJSG_SG_EEES6_PlJS6_EEE10hipError_tPvRmT3_T4_T5_T6_T7_T9_mT8_P12ihipStream_tbDpT10_ENKUlT_T0_E_clISt17integral_constantIbLb1EES1C_IbLb0EEEEDaS18_S19_EUlS18_E_NS1_11comp_targetILNS1_3genE4ELNS1_11target_archE910ELNS1_3gpuE8ELNS1_3repE0EEENS1_30default_config_static_selectorELNS0_4arch9wavefront6targetE0EEEvT1_
	.p2align	8
	.type	_ZN7rocprim17ROCPRIM_400000_NS6detail17trampoline_kernelINS0_14default_configENS1_25partition_config_selectorILNS1_17partition_subalgoE5EyNS0_10empty_typeEbEEZZNS1_14partition_implILS5_5ELb0ES3_mN6thrust23THRUST_200600_302600_NS6detail15normal_iteratorINSA_10device_ptrIyEEEEPS6_NSA_18transform_iteratorINSB_9not_fun_tI7is_trueIyEEENSC_INSD_IbEEEENSA_11use_defaultESO_EENS0_5tupleIJSF_S6_EEENSQ_IJSG_SG_EEES6_PlJS6_EEE10hipError_tPvRmT3_T4_T5_T6_T7_T9_mT8_P12ihipStream_tbDpT10_ENKUlT_T0_E_clISt17integral_constantIbLb1EES1C_IbLb0EEEEDaS18_S19_EUlS18_E_NS1_11comp_targetILNS1_3genE4ELNS1_11target_archE910ELNS1_3gpuE8ELNS1_3repE0EEENS1_30default_config_static_selectorELNS0_4arch9wavefront6targetE0EEEvT1_,@function
_ZN7rocprim17ROCPRIM_400000_NS6detail17trampoline_kernelINS0_14default_configENS1_25partition_config_selectorILNS1_17partition_subalgoE5EyNS0_10empty_typeEbEEZZNS1_14partition_implILS5_5ELb0ES3_mN6thrust23THRUST_200600_302600_NS6detail15normal_iteratorINSA_10device_ptrIyEEEEPS6_NSA_18transform_iteratorINSB_9not_fun_tI7is_trueIyEEENSC_INSD_IbEEEENSA_11use_defaultESO_EENS0_5tupleIJSF_S6_EEENSQ_IJSG_SG_EEES6_PlJS6_EEE10hipError_tPvRmT3_T4_T5_T6_T7_T9_mT8_P12ihipStream_tbDpT10_ENKUlT_T0_E_clISt17integral_constantIbLb1EES1C_IbLb0EEEEDaS18_S19_EUlS18_E_NS1_11comp_targetILNS1_3genE4ELNS1_11target_archE910ELNS1_3gpuE8ELNS1_3repE0EEENS1_30default_config_static_selectorELNS0_4arch9wavefront6targetE0EEEvT1_: ; @_ZN7rocprim17ROCPRIM_400000_NS6detail17trampoline_kernelINS0_14default_configENS1_25partition_config_selectorILNS1_17partition_subalgoE5EyNS0_10empty_typeEbEEZZNS1_14partition_implILS5_5ELb0ES3_mN6thrust23THRUST_200600_302600_NS6detail15normal_iteratorINSA_10device_ptrIyEEEEPS6_NSA_18transform_iteratorINSB_9not_fun_tI7is_trueIyEEENSC_INSD_IbEEEENSA_11use_defaultESO_EENS0_5tupleIJSF_S6_EEENSQ_IJSG_SG_EEES6_PlJS6_EEE10hipError_tPvRmT3_T4_T5_T6_T7_T9_mT8_P12ihipStream_tbDpT10_ENKUlT_T0_E_clISt17integral_constantIbLb1EES1C_IbLb0EEEEDaS18_S19_EUlS18_E_NS1_11comp_targetILNS1_3genE4ELNS1_11target_archE910ELNS1_3gpuE8ELNS1_3repE0EEENS1_30default_config_static_selectorELNS0_4arch9wavefront6targetE0EEEvT1_
; %bb.0:
	.section	.rodata,"a",@progbits
	.p2align	6, 0x0
	.amdhsa_kernel _ZN7rocprim17ROCPRIM_400000_NS6detail17trampoline_kernelINS0_14default_configENS1_25partition_config_selectorILNS1_17partition_subalgoE5EyNS0_10empty_typeEbEEZZNS1_14partition_implILS5_5ELb0ES3_mN6thrust23THRUST_200600_302600_NS6detail15normal_iteratorINSA_10device_ptrIyEEEEPS6_NSA_18transform_iteratorINSB_9not_fun_tI7is_trueIyEEENSC_INSD_IbEEEENSA_11use_defaultESO_EENS0_5tupleIJSF_S6_EEENSQ_IJSG_SG_EEES6_PlJS6_EEE10hipError_tPvRmT3_T4_T5_T6_T7_T9_mT8_P12ihipStream_tbDpT10_ENKUlT_T0_E_clISt17integral_constantIbLb1EES1C_IbLb0EEEEDaS18_S19_EUlS18_E_NS1_11comp_targetILNS1_3genE4ELNS1_11target_archE910ELNS1_3gpuE8ELNS1_3repE0EEENS1_30default_config_static_selectorELNS0_4arch9wavefront6targetE0EEEvT1_
		.amdhsa_group_segment_fixed_size 0
		.amdhsa_private_segment_fixed_size 0
		.amdhsa_kernarg_size 120
		.amdhsa_user_sgpr_count 2
		.amdhsa_user_sgpr_dispatch_ptr 0
		.amdhsa_user_sgpr_queue_ptr 0
		.amdhsa_user_sgpr_kernarg_segment_ptr 1
		.amdhsa_user_sgpr_dispatch_id 0
		.amdhsa_user_sgpr_private_segment_size 0
		.amdhsa_wavefront_size32 1
		.amdhsa_uses_dynamic_stack 0
		.amdhsa_enable_private_segment 0
		.amdhsa_system_sgpr_workgroup_id_x 1
		.amdhsa_system_sgpr_workgroup_id_y 0
		.amdhsa_system_sgpr_workgroup_id_z 0
		.amdhsa_system_sgpr_workgroup_info 0
		.amdhsa_system_vgpr_workitem_id 0
		.amdhsa_next_free_vgpr 1
		.amdhsa_next_free_sgpr 1
		.amdhsa_reserve_vcc 0
		.amdhsa_float_round_mode_32 0
		.amdhsa_float_round_mode_16_64 0
		.amdhsa_float_denorm_mode_32 3
		.amdhsa_float_denorm_mode_16_64 3
		.amdhsa_fp16_overflow 0
		.amdhsa_workgroup_processor_mode 1
		.amdhsa_memory_ordered 1
		.amdhsa_forward_progress 1
		.amdhsa_inst_pref_size 0
		.amdhsa_round_robin_scheduling 0
		.amdhsa_exception_fp_ieee_invalid_op 0
		.amdhsa_exception_fp_denorm_src 0
		.amdhsa_exception_fp_ieee_div_zero 0
		.amdhsa_exception_fp_ieee_overflow 0
		.amdhsa_exception_fp_ieee_underflow 0
		.amdhsa_exception_fp_ieee_inexact 0
		.amdhsa_exception_int_div_zero 0
	.end_amdhsa_kernel
	.section	.text._ZN7rocprim17ROCPRIM_400000_NS6detail17trampoline_kernelINS0_14default_configENS1_25partition_config_selectorILNS1_17partition_subalgoE5EyNS0_10empty_typeEbEEZZNS1_14partition_implILS5_5ELb0ES3_mN6thrust23THRUST_200600_302600_NS6detail15normal_iteratorINSA_10device_ptrIyEEEEPS6_NSA_18transform_iteratorINSB_9not_fun_tI7is_trueIyEEENSC_INSD_IbEEEENSA_11use_defaultESO_EENS0_5tupleIJSF_S6_EEENSQ_IJSG_SG_EEES6_PlJS6_EEE10hipError_tPvRmT3_T4_T5_T6_T7_T9_mT8_P12ihipStream_tbDpT10_ENKUlT_T0_E_clISt17integral_constantIbLb1EES1C_IbLb0EEEEDaS18_S19_EUlS18_E_NS1_11comp_targetILNS1_3genE4ELNS1_11target_archE910ELNS1_3gpuE8ELNS1_3repE0EEENS1_30default_config_static_selectorELNS0_4arch9wavefront6targetE0EEEvT1_,"axG",@progbits,_ZN7rocprim17ROCPRIM_400000_NS6detail17trampoline_kernelINS0_14default_configENS1_25partition_config_selectorILNS1_17partition_subalgoE5EyNS0_10empty_typeEbEEZZNS1_14partition_implILS5_5ELb0ES3_mN6thrust23THRUST_200600_302600_NS6detail15normal_iteratorINSA_10device_ptrIyEEEEPS6_NSA_18transform_iteratorINSB_9not_fun_tI7is_trueIyEEENSC_INSD_IbEEEENSA_11use_defaultESO_EENS0_5tupleIJSF_S6_EEENSQ_IJSG_SG_EEES6_PlJS6_EEE10hipError_tPvRmT3_T4_T5_T6_T7_T9_mT8_P12ihipStream_tbDpT10_ENKUlT_T0_E_clISt17integral_constantIbLb1EES1C_IbLb0EEEEDaS18_S19_EUlS18_E_NS1_11comp_targetILNS1_3genE4ELNS1_11target_archE910ELNS1_3gpuE8ELNS1_3repE0EEENS1_30default_config_static_selectorELNS0_4arch9wavefront6targetE0EEEvT1_,comdat
.Lfunc_end2415:
	.size	_ZN7rocprim17ROCPRIM_400000_NS6detail17trampoline_kernelINS0_14default_configENS1_25partition_config_selectorILNS1_17partition_subalgoE5EyNS0_10empty_typeEbEEZZNS1_14partition_implILS5_5ELb0ES3_mN6thrust23THRUST_200600_302600_NS6detail15normal_iteratorINSA_10device_ptrIyEEEEPS6_NSA_18transform_iteratorINSB_9not_fun_tI7is_trueIyEEENSC_INSD_IbEEEENSA_11use_defaultESO_EENS0_5tupleIJSF_S6_EEENSQ_IJSG_SG_EEES6_PlJS6_EEE10hipError_tPvRmT3_T4_T5_T6_T7_T9_mT8_P12ihipStream_tbDpT10_ENKUlT_T0_E_clISt17integral_constantIbLb1EES1C_IbLb0EEEEDaS18_S19_EUlS18_E_NS1_11comp_targetILNS1_3genE4ELNS1_11target_archE910ELNS1_3gpuE8ELNS1_3repE0EEENS1_30default_config_static_selectorELNS0_4arch9wavefront6targetE0EEEvT1_, .Lfunc_end2415-_ZN7rocprim17ROCPRIM_400000_NS6detail17trampoline_kernelINS0_14default_configENS1_25partition_config_selectorILNS1_17partition_subalgoE5EyNS0_10empty_typeEbEEZZNS1_14partition_implILS5_5ELb0ES3_mN6thrust23THRUST_200600_302600_NS6detail15normal_iteratorINSA_10device_ptrIyEEEEPS6_NSA_18transform_iteratorINSB_9not_fun_tI7is_trueIyEEENSC_INSD_IbEEEENSA_11use_defaultESO_EENS0_5tupleIJSF_S6_EEENSQ_IJSG_SG_EEES6_PlJS6_EEE10hipError_tPvRmT3_T4_T5_T6_T7_T9_mT8_P12ihipStream_tbDpT10_ENKUlT_T0_E_clISt17integral_constantIbLb1EES1C_IbLb0EEEEDaS18_S19_EUlS18_E_NS1_11comp_targetILNS1_3genE4ELNS1_11target_archE910ELNS1_3gpuE8ELNS1_3repE0EEENS1_30default_config_static_selectorELNS0_4arch9wavefront6targetE0EEEvT1_
                                        ; -- End function
	.set _ZN7rocprim17ROCPRIM_400000_NS6detail17trampoline_kernelINS0_14default_configENS1_25partition_config_selectorILNS1_17partition_subalgoE5EyNS0_10empty_typeEbEEZZNS1_14partition_implILS5_5ELb0ES3_mN6thrust23THRUST_200600_302600_NS6detail15normal_iteratorINSA_10device_ptrIyEEEEPS6_NSA_18transform_iteratorINSB_9not_fun_tI7is_trueIyEEENSC_INSD_IbEEEENSA_11use_defaultESO_EENS0_5tupleIJSF_S6_EEENSQ_IJSG_SG_EEES6_PlJS6_EEE10hipError_tPvRmT3_T4_T5_T6_T7_T9_mT8_P12ihipStream_tbDpT10_ENKUlT_T0_E_clISt17integral_constantIbLb1EES1C_IbLb0EEEEDaS18_S19_EUlS18_E_NS1_11comp_targetILNS1_3genE4ELNS1_11target_archE910ELNS1_3gpuE8ELNS1_3repE0EEENS1_30default_config_static_selectorELNS0_4arch9wavefront6targetE0EEEvT1_.num_vgpr, 0
	.set _ZN7rocprim17ROCPRIM_400000_NS6detail17trampoline_kernelINS0_14default_configENS1_25partition_config_selectorILNS1_17partition_subalgoE5EyNS0_10empty_typeEbEEZZNS1_14partition_implILS5_5ELb0ES3_mN6thrust23THRUST_200600_302600_NS6detail15normal_iteratorINSA_10device_ptrIyEEEEPS6_NSA_18transform_iteratorINSB_9not_fun_tI7is_trueIyEEENSC_INSD_IbEEEENSA_11use_defaultESO_EENS0_5tupleIJSF_S6_EEENSQ_IJSG_SG_EEES6_PlJS6_EEE10hipError_tPvRmT3_T4_T5_T6_T7_T9_mT8_P12ihipStream_tbDpT10_ENKUlT_T0_E_clISt17integral_constantIbLb1EES1C_IbLb0EEEEDaS18_S19_EUlS18_E_NS1_11comp_targetILNS1_3genE4ELNS1_11target_archE910ELNS1_3gpuE8ELNS1_3repE0EEENS1_30default_config_static_selectorELNS0_4arch9wavefront6targetE0EEEvT1_.num_agpr, 0
	.set _ZN7rocprim17ROCPRIM_400000_NS6detail17trampoline_kernelINS0_14default_configENS1_25partition_config_selectorILNS1_17partition_subalgoE5EyNS0_10empty_typeEbEEZZNS1_14partition_implILS5_5ELb0ES3_mN6thrust23THRUST_200600_302600_NS6detail15normal_iteratorINSA_10device_ptrIyEEEEPS6_NSA_18transform_iteratorINSB_9not_fun_tI7is_trueIyEEENSC_INSD_IbEEEENSA_11use_defaultESO_EENS0_5tupleIJSF_S6_EEENSQ_IJSG_SG_EEES6_PlJS6_EEE10hipError_tPvRmT3_T4_T5_T6_T7_T9_mT8_P12ihipStream_tbDpT10_ENKUlT_T0_E_clISt17integral_constantIbLb1EES1C_IbLb0EEEEDaS18_S19_EUlS18_E_NS1_11comp_targetILNS1_3genE4ELNS1_11target_archE910ELNS1_3gpuE8ELNS1_3repE0EEENS1_30default_config_static_selectorELNS0_4arch9wavefront6targetE0EEEvT1_.numbered_sgpr, 0
	.set _ZN7rocprim17ROCPRIM_400000_NS6detail17trampoline_kernelINS0_14default_configENS1_25partition_config_selectorILNS1_17partition_subalgoE5EyNS0_10empty_typeEbEEZZNS1_14partition_implILS5_5ELb0ES3_mN6thrust23THRUST_200600_302600_NS6detail15normal_iteratorINSA_10device_ptrIyEEEEPS6_NSA_18transform_iteratorINSB_9not_fun_tI7is_trueIyEEENSC_INSD_IbEEEENSA_11use_defaultESO_EENS0_5tupleIJSF_S6_EEENSQ_IJSG_SG_EEES6_PlJS6_EEE10hipError_tPvRmT3_T4_T5_T6_T7_T9_mT8_P12ihipStream_tbDpT10_ENKUlT_T0_E_clISt17integral_constantIbLb1EES1C_IbLb0EEEEDaS18_S19_EUlS18_E_NS1_11comp_targetILNS1_3genE4ELNS1_11target_archE910ELNS1_3gpuE8ELNS1_3repE0EEENS1_30default_config_static_selectorELNS0_4arch9wavefront6targetE0EEEvT1_.num_named_barrier, 0
	.set _ZN7rocprim17ROCPRIM_400000_NS6detail17trampoline_kernelINS0_14default_configENS1_25partition_config_selectorILNS1_17partition_subalgoE5EyNS0_10empty_typeEbEEZZNS1_14partition_implILS5_5ELb0ES3_mN6thrust23THRUST_200600_302600_NS6detail15normal_iteratorINSA_10device_ptrIyEEEEPS6_NSA_18transform_iteratorINSB_9not_fun_tI7is_trueIyEEENSC_INSD_IbEEEENSA_11use_defaultESO_EENS0_5tupleIJSF_S6_EEENSQ_IJSG_SG_EEES6_PlJS6_EEE10hipError_tPvRmT3_T4_T5_T6_T7_T9_mT8_P12ihipStream_tbDpT10_ENKUlT_T0_E_clISt17integral_constantIbLb1EES1C_IbLb0EEEEDaS18_S19_EUlS18_E_NS1_11comp_targetILNS1_3genE4ELNS1_11target_archE910ELNS1_3gpuE8ELNS1_3repE0EEENS1_30default_config_static_selectorELNS0_4arch9wavefront6targetE0EEEvT1_.private_seg_size, 0
	.set _ZN7rocprim17ROCPRIM_400000_NS6detail17trampoline_kernelINS0_14default_configENS1_25partition_config_selectorILNS1_17partition_subalgoE5EyNS0_10empty_typeEbEEZZNS1_14partition_implILS5_5ELb0ES3_mN6thrust23THRUST_200600_302600_NS6detail15normal_iteratorINSA_10device_ptrIyEEEEPS6_NSA_18transform_iteratorINSB_9not_fun_tI7is_trueIyEEENSC_INSD_IbEEEENSA_11use_defaultESO_EENS0_5tupleIJSF_S6_EEENSQ_IJSG_SG_EEES6_PlJS6_EEE10hipError_tPvRmT3_T4_T5_T6_T7_T9_mT8_P12ihipStream_tbDpT10_ENKUlT_T0_E_clISt17integral_constantIbLb1EES1C_IbLb0EEEEDaS18_S19_EUlS18_E_NS1_11comp_targetILNS1_3genE4ELNS1_11target_archE910ELNS1_3gpuE8ELNS1_3repE0EEENS1_30default_config_static_selectorELNS0_4arch9wavefront6targetE0EEEvT1_.uses_vcc, 0
	.set _ZN7rocprim17ROCPRIM_400000_NS6detail17trampoline_kernelINS0_14default_configENS1_25partition_config_selectorILNS1_17partition_subalgoE5EyNS0_10empty_typeEbEEZZNS1_14partition_implILS5_5ELb0ES3_mN6thrust23THRUST_200600_302600_NS6detail15normal_iteratorINSA_10device_ptrIyEEEEPS6_NSA_18transform_iteratorINSB_9not_fun_tI7is_trueIyEEENSC_INSD_IbEEEENSA_11use_defaultESO_EENS0_5tupleIJSF_S6_EEENSQ_IJSG_SG_EEES6_PlJS6_EEE10hipError_tPvRmT3_T4_T5_T6_T7_T9_mT8_P12ihipStream_tbDpT10_ENKUlT_T0_E_clISt17integral_constantIbLb1EES1C_IbLb0EEEEDaS18_S19_EUlS18_E_NS1_11comp_targetILNS1_3genE4ELNS1_11target_archE910ELNS1_3gpuE8ELNS1_3repE0EEENS1_30default_config_static_selectorELNS0_4arch9wavefront6targetE0EEEvT1_.uses_flat_scratch, 0
	.set _ZN7rocprim17ROCPRIM_400000_NS6detail17trampoline_kernelINS0_14default_configENS1_25partition_config_selectorILNS1_17partition_subalgoE5EyNS0_10empty_typeEbEEZZNS1_14partition_implILS5_5ELb0ES3_mN6thrust23THRUST_200600_302600_NS6detail15normal_iteratorINSA_10device_ptrIyEEEEPS6_NSA_18transform_iteratorINSB_9not_fun_tI7is_trueIyEEENSC_INSD_IbEEEENSA_11use_defaultESO_EENS0_5tupleIJSF_S6_EEENSQ_IJSG_SG_EEES6_PlJS6_EEE10hipError_tPvRmT3_T4_T5_T6_T7_T9_mT8_P12ihipStream_tbDpT10_ENKUlT_T0_E_clISt17integral_constantIbLb1EES1C_IbLb0EEEEDaS18_S19_EUlS18_E_NS1_11comp_targetILNS1_3genE4ELNS1_11target_archE910ELNS1_3gpuE8ELNS1_3repE0EEENS1_30default_config_static_selectorELNS0_4arch9wavefront6targetE0EEEvT1_.has_dyn_sized_stack, 0
	.set _ZN7rocprim17ROCPRIM_400000_NS6detail17trampoline_kernelINS0_14default_configENS1_25partition_config_selectorILNS1_17partition_subalgoE5EyNS0_10empty_typeEbEEZZNS1_14partition_implILS5_5ELb0ES3_mN6thrust23THRUST_200600_302600_NS6detail15normal_iteratorINSA_10device_ptrIyEEEEPS6_NSA_18transform_iteratorINSB_9not_fun_tI7is_trueIyEEENSC_INSD_IbEEEENSA_11use_defaultESO_EENS0_5tupleIJSF_S6_EEENSQ_IJSG_SG_EEES6_PlJS6_EEE10hipError_tPvRmT3_T4_T5_T6_T7_T9_mT8_P12ihipStream_tbDpT10_ENKUlT_T0_E_clISt17integral_constantIbLb1EES1C_IbLb0EEEEDaS18_S19_EUlS18_E_NS1_11comp_targetILNS1_3genE4ELNS1_11target_archE910ELNS1_3gpuE8ELNS1_3repE0EEENS1_30default_config_static_selectorELNS0_4arch9wavefront6targetE0EEEvT1_.has_recursion, 0
	.set _ZN7rocprim17ROCPRIM_400000_NS6detail17trampoline_kernelINS0_14default_configENS1_25partition_config_selectorILNS1_17partition_subalgoE5EyNS0_10empty_typeEbEEZZNS1_14partition_implILS5_5ELb0ES3_mN6thrust23THRUST_200600_302600_NS6detail15normal_iteratorINSA_10device_ptrIyEEEEPS6_NSA_18transform_iteratorINSB_9not_fun_tI7is_trueIyEEENSC_INSD_IbEEEENSA_11use_defaultESO_EENS0_5tupleIJSF_S6_EEENSQ_IJSG_SG_EEES6_PlJS6_EEE10hipError_tPvRmT3_T4_T5_T6_T7_T9_mT8_P12ihipStream_tbDpT10_ENKUlT_T0_E_clISt17integral_constantIbLb1EES1C_IbLb0EEEEDaS18_S19_EUlS18_E_NS1_11comp_targetILNS1_3genE4ELNS1_11target_archE910ELNS1_3gpuE8ELNS1_3repE0EEENS1_30default_config_static_selectorELNS0_4arch9wavefront6targetE0EEEvT1_.has_indirect_call, 0
	.section	.AMDGPU.csdata,"",@progbits
; Kernel info:
; codeLenInByte = 0
; TotalNumSgprs: 0
; NumVgprs: 0
; ScratchSize: 0
; MemoryBound: 0
; FloatMode: 240
; IeeeMode: 1
; LDSByteSize: 0 bytes/workgroup (compile time only)
; SGPRBlocks: 0
; VGPRBlocks: 0
; NumSGPRsForWavesPerEU: 1
; NumVGPRsForWavesPerEU: 1
; Occupancy: 16
; WaveLimiterHint : 0
; COMPUTE_PGM_RSRC2:SCRATCH_EN: 0
; COMPUTE_PGM_RSRC2:USER_SGPR: 2
; COMPUTE_PGM_RSRC2:TRAP_HANDLER: 0
; COMPUTE_PGM_RSRC2:TGID_X_EN: 1
; COMPUTE_PGM_RSRC2:TGID_Y_EN: 0
; COMPUTE_PGM_RSRC2:TGID_Z_EN: 0
; COMPUTE_PGM_RSRC2:TIDIG_COMP_CNT: 0
	.section	.text._ZN7rocprim17ROCPRIM_400000_NS6detail17trampoline_kernelINS0_14default_configENS1_25partition_config_selectorILNS1_17partition_subalgoE5EyNS0_10empty_typeEbEEZZNS1_14partition_implILS5_5ELb0ES3_mN6thrust23THRUST_200600_302600_NS6detail15normal_iteratorINSA_10device_ptrIyEEEEPS6_NSA_18transform_iteratorINSB_9not_fun_tI7is_trueIyEEENSC_INSD_IbEEEENSA_11use_defaultESO_EENS0_5tupleIJSF_S6_EEENSQ_IJSG_SG_EEES6_PlJS6_EEE10hipError_tPvRmT3_T4_T5_T6_T7_T9_mT8_P12ihipStream_tbDpT10_ENKUlT_T0_E_clISt17integral_constantIbLb1EES1C_IbLb0EEEEDaS18_S19_EUlS18_E_NS1_11comp_targetILNS1_3genE3ELNS1_11target_archE908ELNS1_3gpuE7ELNS1_3repE0EEENS1_30default_config_static_selectorELNS0_4arch9wavefront6targetE0EEEvT1_,"axG",@progbits,_ZN7rocprim17ROCPRIM_400000_NS6detail17trampoline_kernelINS0_14default_configENS1_25partition_config_selectorILNS1_17partition_subalgoE5EyNS0_10empty_typeEbEEZZNS1_14partition_implILS5_5ELb0ES3_mN6thrust23THRUST_200600_302600_NS6detail15normal_iteratorINSA_10device_ptrIyEEEEPS6_NSA_18transform_iteratorINSB_9not_fun_tI7is_trueIyEEENSC_INSD_IbEEEENSA_11use_defaultESO_EENS0_5tupleIJSF_S6_EEENSQ_IJSG_SG_EEES6_PlJS6_EEE10hipError_tPvRmT3_T4_T5_T6_T7_T9_mT8_P12ihipStream_tbDpT10_ENKUlT_T0_E_clISt17integral_constantIbLb1EES1C_IbLb0EEEEDaS18_S19_EUlS18_E_NS1_11comp_targetILNS1_3genE3ELNS1_11target_archE908ELNS1_3gpuE7ELNS1_3repE0EEENS1_30default_config_static_selectorELNS0_4arch9wavefront6targetE0EEEvT1_,comdat
	.protected	_ZN7rocprim17ROCPRIM_400000_NS6detail17trampoline_kernelINS0_14default_configENS1_25partition_config_selectorILNS1_17partition_subalgoE5EyNS0_10empty_typeEbEEZZNS1_14partition_implILS5_5ELb0ES3_mN6thrust23THRUST_200600_302600_NS6detail15normal_iteratorINSA_10device_ptrIyEEEEPS6_NSA_18transform_iteratorINSB_9not_fun_tI7is_trueIyEEENSC_INSD_IbEEEENSA_11use_defaultESO_EENS0_5tupleIJSF_S6_EEENSQ_IJSG_SG_EEES6_PlJS6_EEE10hipError_tPvRmT3_T4_T5_T6_T7_T9_mT8_P12ihipStream_tbDpT10_ENKUlT_T0_E_clISt17integral_constantIbLb1EES1C_IbLb0EEEEDaS18_S19_EUlS18_E_NS1_11comp_targetILNS1_3genE3ELNS1_11target_archE908ELNS1_3gpuE7ELNS1_3repE0EEENS1_30default_config_static_selectorELNS0_4arch9wavefront6targetE0EEEvT1_ ; -- Begin function _ZN7rocprim17ROCPRIM_400000_NS6detail17trampoline_kernelINS0_14default_configENS1_25partition_config_selectorILNS1_17partition_subalgoE5EyNS0_10empty_typeEbEEZZNS1_14partition_implILS5_5ELb0ES3_mN6thrust23THRUST_200600_302600_NS6detail15normal_iteratorINSA_10device_ptrIyEEEEPS6_NSA_18transform_iteratorINSB_9not_fun_tI7is_trueIyEEENSC_INSD_IbEEEENSA_11use_defaultESO_EENS0_5tupleIJSF_S6_EEENSQ_IJSG_SG_EEES6_PlJS6_EEE10hipError_tPvRmT3_T4_T5_T6_T7_T9_mT8_P12ihipStream_tbDpT10_ENKUlT_T0_E_clISt17integral_constantIbLb1EES1C_IbLb0EEEEDaS18_S19_EUlS18_E_NS1_11comp_targetILNS1_3genE3ELNS1_11target_archE908ELNS1_3gpuE7ELNS1_3repE0EEENS1_30default_config_static_selectorELNS0_4arch9wavefront6targetE0EEEvT1_
	.globl	_ZN7rocprim17ROCPRIM_400000_NS6detail17trampoline_kernelINS0_14default_configENS1_25partition_config_selectorILNS1_17partition_subalgoE5EyNS0_10empty_typeEbEEZZNS1_14partition_implILS5_5ELb0ES3_mN6thrust23THRUST_200600_302600_NS6detail15normal_iteratorINSA_10device_ptrIyEEEEPS6_NSA_18transform_iteratorINSB_9not_fun_tI7is_trueIyEEENSC_INSD_IbEEEENSA_11use_defaultESO_EENS0_5tupleIJSF_S6_EEENSQ_IJSG_SG_EEES6_PlJS6_EEE10hipError_tPvRmT3_T4_T5_T6_T7_T9_mT8_P12ihipStream_tbDpT10_ENKUlT_T0_E_clISt17integral_constantIbLb1EES1C_IbLb0EEEEDaS18_S19_EUlS18_E_NS1_11comp_targetILNS1_3genE3ELNS1_11target_archE908ELNS1_3gpuE7ELNS1_3repE0EEENS1_30default_config_static_selectorELNS0_4arch9wavefront6targetE0EEEvT1_
	.p2align	8
	.type	_ZN7rocprim17ROCPRIM_400000_NS6detail17trampoline_kernelINS0_14default_configENS1_25partition_config_selectorILNS1_17partition_subalgoE5EyNS0_10empty_typeEbEEZZNS1_14partition_implILS5_5ELb0ES3_mN6thrust23THRUST_200600_302600_NS6detail15normal_iteratorINSA_10device_ptrIyEEEEPS6_NSA_18transform_iteratorINSB_9not_fun_tI7is_trueIyEEENSC_INSD_IbEEEENSA_11use_defaultESO_EENS0_5tupleIJSF_S6_EEENSQ_IJSG_SG_EEES6_PlJS6_EEE10hipError_tPvRmT3_T4_T5_T6_T7_T9_mT8_P12ihipStream_tbDpT10_ENKUlT_T0_E_clISt17integral_constantIbLb1EES1C_IbLb0EEEEDaS18_S19_EUlS18_E_NS1_11comp_targetILNS1_3genE3ELNS1_11target_archE908ELNS1_3gpuE7ELNS1_3repE0EEENS1_30default_config_static_selectorELNS0_4arch9wavefront6targetE0EEEvT1_,@function
_ZN7rocprim17ROCPRIM_400000_NS6detail17trampoline_kernelINS0_14default_configENS1_25partition_config_selectorILNS1_17partition_subalgoE5EyNS0_10empty_typeEbEEZZNS1_14partition_implILS5_5ELb0ES3_mN6thrust23THRUST_200600_302600_NS6detail15normal_iteratorINSA_10device_ptrIyEEEEPS6_NSA_18transform_iteratorINSB_9not_fun_tI7is_trueIyEEENSC_INSD_IbEEEENSA_11use_defaultESO_EENS0_5tupleIJSF_S6_EEENSQ_IJSG_SG_EEES6_PlJS6_EEE10hipError_tPvRmT3_T4_T5_T6_T7_T9_mT8_P12ihipStream_tbDpT10_ENKUlT_T0_E_clISt17integral_constantIbLb1EES1C_IbLb0EEEEDaS18_S19_EUlS18_E_NS1_11comp_targetILNS1_3genE3ELNS1_11target_archE908ELNS1_3gpuE7ELNS1_3repE0EEENS1_30default_config_static_selectorELNS0_4arch9wavefront6targetE0EEEvT1_: ; @_ZN7rocprim17ROCPRIM_400000_NS6detail17trampoline_kernelINS0_14default_configENS1_25partition_config_selectorILNS1_17partition_subalgoE5EyNS0_10empty_typeEbEEZZNS1_14partition_implILS5_5ELb0ES3_mN6thrust23THRUST_200600_302600_NS6detail15normal_iteratorINSA_10device_ptrIyEEEEPS6_NSA_18transform_iteratorINSB_9not_fun_tI7is_trueIyEEENSC_INSD_IbEEEENSA_11use_defaultESO_EENS0_5tupleIJSF_S6_EEENSQ_IJSG_SG_EEES6_PlJS6_EEE10hipError_tPvRmT3_T4_T5_T6_T7_T9_mT8_P12ihipStream_tbDpT10_ENKUlT_T0_E_clISt17integral_constantIbLb1EES1C_IbLb0EEEEDaS18_S19_EUlS18_E_NS1_11comp_targetILNS1_3genE3ELNS1_11target_archE908ELNS1_3gpuE7ELNS1_3repE0EEENS1_30default_config_static_selectorELNS0_4arch9wavefront6targetE0EEEvT1_
; %bb.0:
	.section	.rodata,"a",@progbits
	.p2align	6, 0x0
	.amdhsa_kernel _ZN7rocprim17ROCPRIM_400000_NS6detail17trampoline_kernelINS0_14default_configENS1_25partition_config_selectorILNS1_17partition_subalgoE5EyNS0_10empty_typeEbEEZZNS1_14partition_implILS5_5ELb0ES3_mN6thrust23THRUST_200600_302600_NS6detail15normal_iteratorINSA_10device_ptrIyEEEEPS6_NSA_18transform_iteratorINSB_9not_fun_tI7is_trueIyEEENSC_INSD_IbEEEENSA_11use_defaultESO_EENS0_5tupleIJSF_S6_EEENSQ_IJSG_SG_EEES6_PlJS6_EEE10hipError_tPvRmT3_T4_T5_T6_T7_T9_mT8_P12ihipStream_tbDpT10_ENKUlT_T0_E_clISt17integral_constantIbLb1EES1C_IbLb0EEEEDaS18_S19_EUlS18_E_NS1_11comp_targetILNS1_3genE3ELNS1_11target_archE908ELNS1_3gpuE7ELNS1_3repE0EEENS1_30default_config_static_selectorELNS0_4arch9wavefront6targetE0EEEvT1_
		.amdhsa_group_segment_fixed_size 0
		.amdhsa_private_segment_fixed_size 0
		.amdhsa_kernarg_size 120
		.amdhsa_user_sgpr_count 2
		.amdhsa_user_sgpr_dispatch_ptr 0
		.amdhsa_user_sgpr_queue_ptr 0
		.amdhsa_user_sgpr_kernarg_segment_ptr 1
		.amdhsa_user_sgpr_dispatch_id 0
		.amdhsa_user_sgpr_private_segment_size 0
		.amdhsa_wavefront_size32 1
		.amdhsa_uses_dynamic_stack 0
		.amdhsa_enable_private_segment 0
		.amdhsa_system_sgpr_workgroup_id_x 1
		.amdhsa_system_sgpr_workgroup_id_y 0
		.amdhsa_system_sgpr_workgroup_id_z 0
		.amdhsa_system_sgpr_workgroup_info 0
		.amdhsa_system_vgpr_workitem_id 0
		.amdhsa_next_free_vgpr 1
		.amdhsa_next_free_sgpr 1
		.amdhsa_reserve_vcc 0
		.amdhsa_float_round_mode_32 0
		.amdhsa_float_round_mode_16_64 0
		.amdhsa_float_denorm_mode_32 3
		.amdhsa_float_denorm_mode_16_64 3
		.amdhsa_fp16_overflow 0
		.amdhsa_workgroup_processor_mode 1
		.amdhsa_memory_ordered 1
		.amdhsa_forward_progress 1
		.amdhsa_inst_pref_size 0
		.amdhsa_round_robin_scheduling 0
		.amdhsa_exception_fp_ieee_invalid_op 0
		.amdhsa_exception_fp_denorm_src 0
		.amdhsa_exception_fp_ieee_div_zero 0
		.amdhsa_exception_fp_ieee_overflow 0
		.amdhsa_exception_fp_ieee_underflow 0
		.amdhsa_exception_fp_ieee_inexact 0
		.amdhsa_exception_int_div_zero 0
	.end_amdhsa_kernel
	.section	.text._ZN7rocprim17ROCPRIM_400000_NS6detail17trampoline_kernelINS0_14default_configENS1_25partition_config_selectorILNS1_17partition_subalgoE5EyNS0_10empty_typeEbEEZZNS1_14partition_implILS5_5ELb0ES3_mN6thrust23THRUST_200600_302600_NS6detail15normal_iteratorINSA_10device_ptrIyEEEEPS6_NSA_18transform_iteratorINSB_9not_fun_tI7is_trueIyEEENSC_INSD_IbEEEENSA_11use_defaultESO_EENS0_5tupleIJSF_S6_EEENSQ_IJSG_SG_EEES6_PlJS6_EEE10hipError_tPvRmT3_T4_T5_T6_T7_T9_mT8_P12ihipStream_tbDpT10_ENKUlT_T0_E_clISt17integral_constantIbLb1EES1C_IbLb0EEEEDaS18_S19_EUlS18_E_NS1_11comp_targetILNS1_3genE3ELNS1_11target_archE908ELNS1_3gpuE7ELNS1_3repE0EEENS1_30default_config_static_selectorELNS0_4arch9wavefront6targetE0EEEvT1_,"axG",@progbits,_ZN7rocprim17ROCPRIM_400000_NS6detail17trampoline_kernelINS0_14default_configENS1_25partition_config_selectorILNS1_17partition_subalgoE5EyNS0_10empty_typeEbEEZZNS1_14partition_implILS5_5ELb0ES3_mN6thrust23THRUST_200600_302600_NS6detail15normal_iteratorINSA_10device_ptrIyEEEEPS6_NSA_18transform_iteratorINSB_9not_fun_tI7is_trueIyEEENSC_INSD_IbEEEENSA_11use_defaultESO_EENS0_5tupleIJSF_S6_EEENSQ_IJSG_SG_EEES6_PlJS6_EEE10hipError_tPvRmT3_T4_T5_T6_T7_T9_mT8_P12ihipStream_tbDpT10_ENKUlT_T0_E_clISt17integral_constantIbLb1EES1C_IbLb0EEEEDaS18_S19_EUlS18_E_NS1_11comp_targetILNS1_3genE3ELNS1_11target_archE908ELNS1_3gpuE7ELNS1_3repE0EEENS1_30default_config_static_selectorELNS0_4arch9wavefront6targetE0EEEvT1_,comdat
.Lfunc_end2416:
	.size	_ZN7rocprim17ROCPRIM_400000_NS6detail17trampoline_kernelINS0_14default_configENS1_25partition_config_selectorILNS1_17partition_subalgoE5EyNS0_10empty_typeEbEEZZNS1_14partition_implILS5_5ELb0ES3_mN6thrust23THRUST_200600_302600_NS6detail15normal_iteratorINSA_10device_ptrIyEEEEPS6_NSA_18transform_iteratorINSB_9not_fun_tI7is_trueIyEEENSC_INSD_IbEEEENSA_11use_defaultESO_EENS0_5tupleIJSF_S6_EEENSQ_IJSG_SG_EEES6_PlJS6_EEE10hipError_tPvRmT3_T4_T5_T6_T7_T9_mT8_P12ihipStream_tbDpT10_ENKUlT_T0_E_clISt17integral_constantIbLb1EES1C_IbLb0EEEEDaS18_S19_EUlS18_E_NS1_11comp_targetILNS1_3genE3ELNS1_11target_archE908ELNS1_3gpuE7ELNS1_3repE0EEENS1_30default_config_static_selectorELNS0_4arch9wavefront6targetE0EEEvT1_, .Lfunc_end2416-_ZN7rocprim17ROCPRIM_400000_NS6detail17trampoline_kernelINS0_14default_configENS1_25partition_config_selectorILNS1_17partition_subalgoE5EyNS0_10empty_typeEbEEZZNS1_14partition_implILS5_5ELb0ES3_mN6thrust23THRUST_200600_302600_NS6detail15normal_iteratorINSA_10device_ptrIyEEEEPS6_NSA_18transform_iteratorINSB_9not_fun_tI7is_trueIyEEENSC_INSD_IbEEEENSA_11use_defaultESO_EENS0_5tupleIJSF_S6_EEENSQ_IJSG_SG_EEES6_PlJS6_EEE10hipError_tPvRmT3_T4_T5_T6_T7_T9_mT8_P12ihipStream_tbDpT10_ENKUlT_T0_E_clISt17integral_constantIbLb1EES1C_IbLb0EEEEDaS18_S19_EUlS18_E_NS1_11comp_targetILNS1_3genE3ELNS1_11target_archE908ELNS1_3gpuE7ELNS1_3repE0EEENS1_30default_config_static_selectorELNS0_4arch9wavefront6targetE0EEEvT1_
                                        ; -- End function
	.set _ZN7rocprim17ROCPRIM_400000_NS6detail17trampoline_kernelINS0_14default_configENS1_25partition_config_selectorILNS1_17partition_subalgoE5EyNS0_10empty_typeEbEEZZNS1_14partition_implILS5_5ELb0ES3_mN6thrust23THRUST_200600_302600_NS6detail15normal_iteratorINSA_10device_ptrIyEEEEPS6_NSA_18transform_iteratorINSB_9not_fun_tI7is_trueIyEEENSC_INSD_IbEEEENSA_11use_defaultESO_EENS0_5tupleIJSF_S6_EEENSQ_IJSG_SG_EEES6_PlJS6_EEE10hipError_tPvRmT3_T4_T5_T6_T7_T9_mT8_P12ihipStream_tbDpT10_ENKUlT_T0_E_clISt17integral_constantIbLb1EES1C_IbLb0EEEEDaS18_S19_EUlS18_E_NS1_11comp_targetILNS1_3genE3ELNS1_11target_archE908ELNS1_3gpuE7ELNS1_3repE0EEENS1_30default_config_static_selectorELNS0_4arch9wavefront6targetE0EEEvT1_.num_vgpr, 0
	.set _ZN7rocprim17ROCPRIM_400000_NS6detail17trampoline_kernelINS0_14default_configENS1_25partition_config_selectorILNS1_17partition_subalgoE5EyNS0_10empty_typeEbEEZZNS1_14partition_implILS5_5ELb0ES3_mN6thrust23THRUST_200600_302600_NS6detail15normal_iteratorINSA_10device_ptrIyEEEEPS6_NSA_18transform_iteratorINSB_9not_fun_tI7is_trueIyEEENSC_INSD_IbEEEENSA_11use_defaultESO_EENS0_5tupleIJSF_S6_EEENSQ_IJSG_SG_EEES6_PlJS6_EEE10hipError_tPvRmT3_T4_T5_T6_T7_T9_mT8_P12ihipStream_tbDpT10_ENKUlT_T0_E_clISt17integral_constantIbLb1EES1C_IbLb0EEEEDaS18_S19_EUlS18_E_NS1_11comp_targetILNS1_3genE3ELNS1_11target_archE908ELNS1_3gpuE7ELNS1_3repE0EEENS1_30default_config_static_selectorELNS0_4arch9wavefront6targetE0EEEvT1_.num_agpr, 0
	.set _ZN7rocprim17ROCPRIM_400000_NS6detail17trampoline_kernelINS0_14default_configENS1_25partition_config_selectorILNS1_17partition_subalgoE5EyNS0_10empty_typeEbEEZZNS1_14partition_implILS5_5ELb0ES3_mN6thrust23THRUST_200600_302600_NS6detail15normal_iteratorINSA_10device_ptrIyEEEEPS6_NSA_18transform_iteratorINSB_9not_fun_tI7is_trueIyEEENSC_INSD_IbEEEENSA_11use_defaultESO_EENS0_5tupleIJSF_S6_EEENSQ_IJSG_SG_EEES6_PlJS6_EEE10hipError_tPvRmT3_T4_T5_T6_T7_T9_mT8_P12ihipStream_tbDpT10_ENKUlT_T0_E_clISt17integral_constantIbLb1EES1C_IbLb0EEEEDaS18_S19_EUlS18_E_NS1_11comp_targetILNS1_3genE3ELNS1_11target_archE908ELNS1_3gpuE7ELNS1_3repE0EEENS1_30default_config_static_selectorELNS0_4arch9wavefront6targetE0EEEvT1_.numbered_sgpr, 0
	.set _ZN7rocprim17ROCPRIM_400000_NS6detail17trampoline_kernelINS0_14default_configENS1_25partition_config_selectorILNS1_17partition_subalgoE5EyNS0_10empty_typeEbEEZZNS1_14partition_implILS5_5ELb0ES3_mN6thrust23THRUST_200600_302600_NS6detail15normal_iteratorINSA_10device_ptrIyEEEEPS6_NSA_18transform_iteratorINSB_9not_fun_tI7is_trueIyEEENSC_INSD_IbEEEENSA_11use_defaultESO_EENS0_5tupleIJSF_S6_EEENSQ_IJSG_SG_EEES6_PlJS6_EEE10hipError_tPvRmT3_T4_T5_T6_T7_T9_mT8_P12ihipStream_tbDpT10_ENKUlT_T0_E_clISt17integral_constantIbLb1EES1C_IbLb0EEEEDaS18_S19_EUlS18_E_NS1_11comp_targetILNS1_3genE3ELNS1_11target_archE908ELNS1_3gpuE7ELNS1_3repE0EEENS1_30default_config_static_selectorELNS0_4arch9wavefront6targetE0EEEvT1_.num_named_barrier, 0
	.set _ZN7rocprim17ROCPRIM_400000_NS6detail17trampoline_kernelINS0_14default_configENS1_25partition_config_selectorILNS1_17partition_subalgoE5EyNS0_10empty_typeEbEEZZNS1_14partition_implILS5_5ELb0ES3_mN6thrust23THRUST_200600_302600_NS6detail15normal_iteratorINSA_10device_ptrIyEEEEPS6_NSA_18transform_iteratorINSB_9not_fun_tI7is_trueIyEEENSC_INSD_IbEEEENSA_11use_defaultESO_EENS0_5tupleIJSF_S6_EEENSQ_IJSG_SG_EEES6_PlJS6_EEE10hipError_tPvRmT3_T4_T5_T6_T7_T9_mT8_P12ihipStream_tbDpT10_ENKUlT_T0_E_clISt17integral_constantIbLb1EES1C_IbLb0EEEEDaS18_S19_EUlS18_E_NS1_11comp_targetILNS1_3genE3ELNS1_11target_archE908ELNS1_3gpuE7ELNS1_3repE0EEENS1_30default_config_static_selectorELNS0_4arch9wavefront6targetE0EEEvT1_.private_seg_size, 0
	.set _ZN7rocprim17ROCPRIM_400000_NS6detail17trampoline_kernelINS0_14default_configENS1_25partition_config_selectorILNS1_17partition_subalgoE5EyNS0_10empty_typeEbEEZZNS1_14partition_implILS5_5ELb0ES3_mN6thrust23THRUST_200600_302600_NS6detail15normal_iteratorINSA_10device_ptrIyEEEEPS6_NSA_18transform_iteratorINSB_9not_fun_tI7is_trueIyEEENSC_INSD_IbEEEENSA_11use_defaultESO_EENS0_5tupleIJSF_S6_EEENSQ_IJSG_SG_EEES6_PlJS6_EEE10hipError_tPvRmT3_T4_T5_T6_T7_T9_mT8_P12ihipStream_tbDpT10_ENKUlT_T0_E_clISt17integral_constantIbLb1EES1C_IbLb0EEEEDaS18_S19_EUlS18_E_NS1_11comp_targetILNS1_3genE3ELNS1_11target_archE908ELNS1_3gpuE7ELNS1_3repE0EEENS1_30default_config_static_selectorELNS0_4arch9wavefront6targetE0EEEvT1_.uses_vcc, 0
	.set _ZN7rocprim17ROCPRIM_400000_NS6detail17trampoline_kernelINS0_14default_configENS1_25partition_config_selectorILNS1_17partition_subalgoE5EyNS0_10empty_typeEbEEZZNS1_14partition_implILS5_5ELb0ES3_mN6thrust23THRUST_200600_302600_NS6detail15normal_iteratorINSA_10device_ptrIyEEEEPS6_NSA_18transform_iteratorINSB_9not_fun_tI7is_trueIyEEENSC_INSD_IbEEEENSA_11use_defaultESO_EENS0_5tupleIJSF_S6_EEENSQ_IJSG_SG_EEES6_PlJS6_EEE10hipError_tPvRmT3_T4_T5_T6_T7_T9_mT8_P12ihipStream_tbDpT10_ENKUlT_T0_E_clISt17integral_constantIbLb1EES1C_IbLb0EEEEDaS18_S19_EUlS18_E_NS1_11comp_targetILNS1_3genE3ELNS1_11target_archE908ELNS1_3gpuE7ELNS1_3repE0EEENS1_30default_config_static_selectorELNS0_4arch9wavefront6targetE0EEEvT1_.uses_flat_scratch, 0
	.set _ZN7rocprim17ROCPRIM_400000_NS6detail17trampoline_kernelINS0_14default_configENS1_25partition_config_selectorILNS1_17partition_subalgoE5EyNS0_10empty_typeEbEEZZNS1_14partition_implILS5_5ELb0ES3_mN6thrust23THRUST_200600_302600_NS6detail15normal_iteratorINSA_10device_ptrIyEEEEPS6_NSA_18transform_iteratorINSB_9not_fun_tI7is_trueIyEEENSC_INSD_IbEEEENSA_11use_defaultESO_EENS0_5tupleIJSF_S6_EEENSQ_IJSG_SG_EEES6_PlJS6_EEE10hipError_tPvRmT3_T4_T5_T6_T7_T9_mT8_P12ihipStream_tbDpT10_ENKUlT_T0_E_clISt17integral_constantIbLb1EES1C_IbLb0EEEEDaS18_S19_EUlS18_E_NS1_11comp_targetILNS1_3genE3ELNS1_11target_archE908ELNS1_3gpuE7ELNS1_3repE0EEENS1_30default_config_static_selectorELNS0_4arch9wavefront6targetE0EEEvT1_.has_dyn_sized_stack, 0
	.set _ZN7rocprim17ROCPRIM_400000_NS6detail17trampoline_kernelINS0_14default_configENS1_25partition_config_selectorILNS1_17partition_subalgoE5EyNS0_10empty_typeEbEEZZNS1_14partition_implILS5_5ELb0ES3_mN6thrust23THRUST_200600_302600_NS6detail15normal_iteratorINSA_10device_ptrIyEEEEPS6_NSA_18transform_iteratorINSB_9not_fun_tI7is_trueIyEEENSC_INSD_IbEEEENSA_11use_defaultESO_EENS0_5tupleIJSF_S6_EEENSQ_IJSG_SG_EEES6_PlJS6_EEE10hipError_tPvRmT3_T4_T5_T6_T7_T9_mT8_P12ihipStream_tbDpT10_ENKUlT_T0_E_clISt17integral_constantIbLb1EES1C_IbLb0EEEEDaS18_S19_EUlS18_E_NS1_11comp_targetILNS1_3genE3ELNS1_11target_archE908ELNS1_3gpuE7ELNS1_3repE0EEENS1_30default_config_static_selectorELNS0_4arch9wavefront6targetE0EEEvT1_.has_recursion, 0
	.set _ZN7rocprim17ROCPRIM_400000_NS6detail17trampoline_kernelINS0_14default_configENS1_25partition_config_selectorILNS1_17partition_subalgoE5EyNS0_10empty_typeEbEEZZNS1_14partition_implILS5_5ELb0ES3_mN6thrust23THRUST_200600_302600_NS6detail15normal_iteratorINSA_10device_ptrIyEEEEPS6_NSA_18transform_iteratorINSB_9not_fun_tI7is_trueIyEEENSC_INSD_IbEEEENSA_11use_defaultESO_EENS0_5tupleIJSF_S6_EEENSQ_IJSG_SG_EEES6_PlJS6_EEE10hipError_tPvRmT3_T4_T5_T6_T7_T9_mT8_P12ihipStream_tbDpT10_ENKUlT_T0_E_clISt17integral_constantIbLb1EES1C_IbLb0EEEEDaS18_S19_EUlS18_E_NS1_11comp_targetILNS1_3genE3ELNS1_11target_archE908ELNS1_3gpuE7ELNS1_3repE0EEENS1_30default_config_static_selectorELNS0_4arch9wavefront6targetE0EEEvT1_.has_indirect_call, 0
	.section	.AMDGPU.csdata,"",@progbits
; Kernel info:
; codeLenInByte = 0
; TotalNumSgprs: 0
; NumVgprs: 0
; ScratchSize: 0
; MemoryBound: 0
; FloatMode: 240
; IeeeMode: 1
; LDSByteSize: 0 bytes/workgroup (compile time only)
; SGPRBlocks: 0
; VGPRBlocks: 0
; NumSGPRsForWavesPerEU: 1
; NumVGPRsForWavesPerEU: 1
; Occupancy: 16
; WaveLimiterHint : 0
; COMPUTE_PGM_RSRC2:SCRATCH_EN: 0
; COMPUTE_PGM_RSRC2:USER_SGPR: 2
; COMPUTE_PGM_RSRC2:TRAP_HANDLER: 0
; COMPUTE_PGM_RSRC2:TGID_X_EN: 1
; COMPUTE_PGM_RSRC2:TGID_Y_EN: 0
; COMPUTE_PGM_RSRC2:TGID_Z_EN: 0
; COMPUTE_PGM_RSRC2:TIDIG_COMP_CNT: 0
	.section	.text._ZN7rocprim17ROCPRIM_400000_NS6detail17trampoline_kernelINS0_14default_configENS1_25partition_config_selectorILNS1_17partition_subalgoE5EyNS0_10empty_typeEbEEZZNS1_14partition_implILS5_5ELb0ES3_mN6thrust23THRUST_200600_302600_NS6detail15normal_iteratorINSA_10device_ptrIyEEEEPS6_NSA_18transform_iteratorINSB_9not_fun_tI7is_trueIyEEENSC_INSD_IbEEEENSA_11use_defaultESO_EENS0_5tupleIJSF_S6_EEENSQ_IJSG_SG_EEES6_PlJS6_EEE10hipError_tPvRmT3_T4_T5_T6_T7_T9_mT8_P12ihipStream_tbDpT10_ENKUlT_T0_E_clISt17integral_constantIbLb1EES1C_IbLb0EEEEDaS18_S19_EUlS18_E_NS1_11comp_targetILNS1_3genE2ELNS1_11target_archE906ELNS1_3gpuE6ELNS1_3repE0EEENS1_30default_config_static_selectorELNS0_4arch9wavefront6targetE0EEEvT1_,"axG",@progbits,_ZN7rocprim17ROCPRIM_400000_NS6detail17trampoline_kernelINS0_14default_configENS1_25partition_config_selectorILNS1_17partition_subalgoE5EyNS0_10empty_typeEbEEZZNS1_14partition_implILS5_5ELb0ES3_mN6thrust23THRUST_200600_302600_NS6detail15normal_iteratorINSA_10device_ptrIyEEEEPS6_NSA_18transform_iteratorINSB_9not_fun_tI7is_trueIyEEENSC_INSD_IbEEEENSA_11use_defaultESO_EENS0_5tupleIJSF_S6_EEENSQ_IJSG_SG_EEES6_PlJS6_EEE10hipError_tPvRmT3_T4_T5_T6_T7_T9_mT8_P12ihipStream_tbDpT10_ENKUlT_T0_E_clISt17integral_constantIbLb1EES1C_IbLb0EEEEDaS18_S19_EUlS18_E_NS1_11comp_targetILNS1_3genE2ELNS1_11target_archE906ELNS1_3gpuE6ELNS1_3repE0EEENS1_30default_config_static_selectorELNS0_4arch9wavefront6targetE0EEEvT1_,comdat
	.protected	_ZN7rocprim17ROCPRIM_400000_NS6detail17trampoline_kernelINS0_14default_configENS1_25partition_config_selectorILNS1_17partition_subalgoE5EyNS0_10empty_typeEbEEZZNS1_14partition_implILS5_5ELb0ES3_mN6thrust23THRUST_200600_302600_NS6detail15normal_iteratorINSA_10device_ptrIyEEEEPS6_NSA_18transform_iteratorINSB_9not_fun_tI7is_trueIyEEENSC_INSD_IbEEEENSA_11use_defaultESO_EENS0_5tupleIJSF_S6_EEENSQ_IJSG_SG_EEES6_PlJS6_EEE10hipError_tPvRmT3_T4_T5_T6_T7_T9_mT8_P12ihipStream_tbDpT10_ENKUlT_T0_E_clISt17integral_constantIbLb1EES1C_IbLb0EEEEDaS18_S19_EUlS18_E_NS1_11comp_targetILNS1_3genE2ELNS1_11target_archE906ELNS1_3gpuE6ELNS1_3repE0EEENS1_30default_config_static_selectorELNS0_4arch9wavefront6targetE0EEEvT1_ ; -- Begin function _ZN7rocprim17ROCPRIM_400000_NS6detail17trampoline_kernelINS0_14default_configENS1_25partition_config_selectorILNS1_17partition_subalgoE5EyNS0_10empty_typeEbEEZZNS1_14partition_implILS5_5ELb0ES3_mN6thrust23THRUST_200600_302600_NS6detail15normal_iteratorINSA_10device_ptrIyEEEEPS6_NSA_18transform_iteratorINSB_9not_fun_tI7is_trueIyEEENSC_INSD_IbEEEENSA_11use_defaultESO_EENS0_5tupleIJSF_S6_EEENSQ_IJSG_SG_EEES6_PlJS6_EEE10hipError_tPvRmT3_T4_T5_T6_T7_T9_mT8_P12ihipStream_tbDpT10_ENKUlT_T0_E_clISt17integral_constantIbLb1EES1C_IbLb0EEEEDaS18_S19_EUlS18_E_NS1_11comp_targetILNS1_3genE2ELNS1_11target_archE906ELNS1_3gpuE6ELNS1_3repE0EEENS1_30default_config_static_selectorELNS0_4arch9wavefront6targetE0EEEvT1_
	.globl	_ZN7rocprim17ROCPRIM_400000_NS6detail17trampoline_kernelINS0_14default_configENS1_25partition_config_selectorILNS1_17partition_subalgoE5EyNS0_10empty_typeEbEEZZNS1_14partition_implILS5_5ELb0ES3_mN6thrust23THRUST_200600_302600_NS6detail15normal_iteratorINSA_10device_ptrIyEEEEPS6_NSA_18transform_iteratorINSB_9not_fun_tI7is_trueIyEEENSC_INSD_IbEEEENSA_11use_defaultESO_EENS0_5tupleIJSF_S6_EEENSQ_IJSG_SG_EEES6_PlJS6_EEE10hipError_tPvRmT3_T4_T5_T6_T7_T9_mT8_P12ihipStream_tbDpT10_ENKUlT_T0_E_clISt17integral_constantIbLb1EES1C_IbLb0EEEEDaS18_S19_EUlS18_E_NS1_11comp_targetILNS1_3genE2ELNS1_11target_archE906ELNS1_3gpuE6ELNS1_3repE0EEENS1_30default_config_static_selectorELNS0_4arch9wavefront6targetE0EEEvT1_
	.p2align	8
	.type	_ZN7rocprim17ROCPRIM_400000_NS6detail17trampoline_kernelINS0_14default_configENS1_25partition_config_selectorILNS1_17partition_subalgoE5EyNS0_10empty_typeEbEEZZNS1_14partition_implILS5_5ELb0ES3_mN6thrust23THRUST_200600_302600_NS6detail15normal_iteratorINSA_10device_ptrIyEEEEPS6_NSA_18transform_iteratorINSB_9not_fun_tI7is_trueIyEEENSC_INSD_IbEEEENSA_11use_defaultESO_EENS0_5tupleIJSF_S6_EEENSQ_IJSG_SG_EEES6_PlJS6_EEE10hipError_tPvRmT3_T4_T5_T6_T7_T9_mT8_P12ihipStream_tbDpT10_ENKUlT_T0_E_clISt17integral_constantIbLb1EES1C_IbLb0EEEEDaS18_S19_EUlS18_E_NS1_11comp_targetILNS1_3genE2ELNS1_11target_archE906ELNS1_3gpuE6ELNS1_3repE0EEENS1_30default_config_static_selectorELNS0_4arch9wavefront6targetE0EEEvT1_,@function
_ZN7rocprim17ROCPRIM_400000_NS6detail17trampoline_kernelINS0_14default_configENS1_25partition_config_selectorILNS1_17partition_subalgoE5EyNS0_10empty_typeEbEEZZNS1_14partition_implILS5_5ELb0ES3_mN6thrust23THRUST_200600_302600_NS6detail15normal_iteratorINSA_10device_ptrIyEEEEPS6_NSA_18transform_iteratorINSB_9not_fun_tI7is_trueIyEEENSC_INSD_IbEEEENSA_11use_defaultESO_EENS0_5tupleIJSF_S6_EEENSQ_IJSG_SG_EEES6_PlJS6_EEE10hipError_tPvRmT3_T4_T5_T6_T7_T9_mT8_P12ihipStream_tbDpT10_ENKUlT_T0_E_clISt17integral_constantIbLb1EES1C_IbLb0EEEEDaS18_S19_EUlS18_E_NS1_11comp_targetILNS1_3genE2ELNS1_11target_archE906ELNS1_3gpuE6ELNS1_3repE0EEENS1_30default_config_static_selectorELNS0_4arch9wavefront6targetE0EEEvT1_: ; @_ZN7rocprim17ROCPRIM_400000_NS6detail17trampoline_kernelINS0_14default_configENS1_25partition_config_selectorILNS1_17partition_subalgoE5EyNS0_10empty_typeEbEEZZNS1_14partition_implILS5_5ELb0ES3_mN6thrust23THRUST_200600_302600_NS6detail15normal_iteratorINSA_10device_ptrIyEEEEPS6_NSA_18transform_iteratorINSB_9not_fun_tI7is_trueIyEEENSC_INSD_IbEEEENSA_11use_defaultESO_EENS0_5tupleIJSF_S6_EEENSQ_IJSG_SG_EEES6_PlJS6_EEE10hipError_tPvRmT3_T4_T5_T6_T7_T9_mT8_P12ihipStream_tbDpT10_ENKUlT_T0_E_clISt17integral_constantIbLb1EES1C_IbLb0EEEEDaS18_S19_EUlS18_E_NS1_11comp_targetILNS1_3genE2ELNS1_11target_archE906ELNS1_3gpuE6ELNS1_3repE0EEENS1_30default_config_static_selectorELNS0_4arch9wavefront6targetE0EEEvT1_
; %bb.0:
	.section	.rodata,"a",@progbits
	.p2align	6, 0x0
	.amdhsa_kernel _ZN7rocprim17ROCPRIM_400000_NS6detail17trampoline_kernelINS0_14default_configENS1_25partition_config_selectorILNS1_17partition_subalgoE5EyNS0_10empty_typeEbEEZZNS1_14partition_implILS5_5ELb0ES3_mN6thrust23THRUST_200600_302600_NS6detail15normal_iteratorINSA_10device_ptrIyEEEEPS6_NSA_18transform_iteratorINSB_9not_fun_tI7is_trueIyEEENSC_INSD_IbEEEENSA_11use_defaultESO_EENS0_5tupleIJSF_S6_EEENSQ_IJSG_SG_EEES6_PlJS6_EEE10hipError_tPvRmT3_T4_T5_T6_T7_T9_mT8_P12ihipStream_tbDpT10_ENKUlT_T0_E_clISt17integral_constantIbLb1EES1C_IbLb0EEEEDaS18_S19_EUlS18_E_NS1_11comp_targetILNS1_3genE2ELNS1_11target_archE906ELNS1_3gpuE6ELNS1_3repE0EEENS1_30default_config_static_selectorELNS0_4arch9wavefront6targetE0EEEvT1_
		.amdhsa_group_segment_fixed_size 0
		.amdhsa_private_segment_fixed_size 0
		.amdhsa_kernarg_size 120
		.amdhsa_user_sgpr_count 2
		.amdhsa_user_sgpr_dispatch_ptr 0
		.amdhsa_user_sgpr_queue_ptr 0
		.amdhsa_user_sgpr_kernarg_segment_ptr 1
		.amdhsa_user_sgpr_dispatch_id 0
		.amdhsa_user_sgpr_private_segment_size 0
		.amdhsa_wavefront_size32 1
		.amdhsa_uses_dynamic_stack 0
		.amdhsa_enable_private_segment 0
		.amdhsa_system_sgpr_workgroup_id_x 1
		.amdhsa_system_sgpr_workgroup_id_y 0
		.amdhsa_system_sgpr_workgroup_id_z 0
		.amdhsa_system_sgpr_workgroup_info 0
		.amdhsa_system_vgpr_workitem_id 0
		.amdhsa_next_free_vgpr 1
		.amdhsa_next_free_sgpr 1
		.amdhsa_reserve_vcc 0
		.amdhsa_float_round_mode_32 0
		.amdhsa_float_round_mode_16_64 0
		.amdhsa_float_denorm_mode_32 3
		.amdhsa_float_denorm_mode_16_64 3
		.amdhsa_fp16_overflow 0
		.amdhsa_workgroup_processor_mode 1
		.amdhsa_memory_ordered 1
		.amdhsa_forward_progress 1
		.amdhsa_inst_pref_size 0
		.amdhsa_round_robin_scheduling 0
		.amdhsa_exception_fp_ieee_invalid_op 0
		.amdhsa_exception_fp_denorm_src 0
		.amdhsa_exception_fp_ieee_div_zero 0
		.amdhsa_exception_fp_ieee_overflow 0
		.amdhsa_exception_fp_ieee_underflow 0
		.amdhsa_exception_fp_ieee_inexact 0
		.amdhsa_exception_int_div_zero 0
	.end_amdhsa_kernel
	.section	.text._ZN7rocprim17ROCPRIM_400000_NS6detail17trampoline_kernelINS0_14default_configENS1_25partition_config_selectorILNS1_17partition_subalgoE5EyNS0_10empty_typeEbEEZZNS1_14partition_implILS5_5ELb0ES3_mN6thrust23THRUST_200600_302600_NS6detail15normal_iteratorINSA_10device_ptrIyEEEEPS6_NSA_18transform_iteratorINSB_9not_fun_tI7is_trueIyEEENSC_INSD_IbEEEENSA_11use_defaultESO_EENS0_5tupleIJSF_S6_EEENSQ_IJSG_SG_EEES6_PlJS6_EEE10hipError_tPvRmT3_T4_T5_T6_T7_T9_mT8_P12ihipStream_tbDpT10_ENKUlT_T0_E_clISt17integral_constantIbLb1EES1C_IbLb0EEEEDaS18_S19_EUlS18_E_NS1_11comp_targetILNS1_3genE2ELNS1_11target_archE906ELNS1_3gpuE6ELNS1_3repE0EEENS1_30default_config_static_selectorELNS0_4arch9wavefront6targetE0EEEvT1_,"axG",@progbits,_ZN7rocprim17ROCPRIM_400000_NS6detail17trampoline_kernelINS0_14default_configENS1_25partition_config_selectorILNS1_17partition_subalgoE5EyNS0_10empty_typeEbEEZZNS1_14partition_implILS5_5ELb0ES3_mN6thrust23THRUST_200600_302600_NS6detail15normal_iteratorINSA_10device_ptrIyEEEEPS6_NSA_18transform_iteratorINSB_9not_fun_tI7is_trueIyEEENSC_INSD_IbEEEENSA_11use_defaultESO_EENS0_5tupleIJSF_S6_EEENSQ_IJSG_SG_EEES6_PlJS6_EEE10hipError_tPvRmT3_T4_T5_T6_T7_T9_mT8_P12ihipStream_tbDpT10_ENKUlT_T0_E_clISt17integral_constantIbLb1EES1C_IbLb0EEEEDaS18_S19_EUlS18_E_NS1_11comp_targetILNS1_3genE2ELNS1_11target_archE906ELNS1_3gpuE6ELNS1_3repE0EEENS1_30default_config_static_selectorELNS0_4arch9wavefront6targetE0EEEvT1_,comdat
.Lfunc_end2417:
	.size	_ZN7rocprim17ROCPRIM_400000_NS6detail17trampoline_kernelINS0_14default_configENS1_25partition_config_selectorILNS1_17partition_subalgoE5EyNS0_10empty_typeEbEEZZNS1_14partition_implILS5_5ELb0ES3_mN6thrust23THRUST_200600_302600_NS6detail15normal_iteratorINSA_10device_ptrIyEEEEPS6_NSA_18transform_iteratorINSB_9not_fun_tI7is_trueIyEEENSC_INSD_IbEEEENSA_11use_defaultESO_EENS0_5tupleIJSF_S6_EEENSQ_IJSG_SG_EEES6_PlJS6_EEE10hipError_tPvRmT3_T4_T5_T6_T7_T9_mT8_P12ihipStream_tbDpT10_ENKUlT_T0_E_clISt17integral_constantIbLb1EES1C_IbLb0EEEEDaS18_S19_EUlS18_E_NS1_11comp_targetILNS1_3genE2ELNS1_11target_archE906ELNS1_3gpuE6ELNS1_3repE0EEENS1_30default_config_static_selectorELNS0_4arch9wavefront6targetE0EEEvT1_, .Lfunc_end2417-_ZN7rocprim17ROCPRIM_400000_NS6detail17trampoline_kernelINS0_14default_configENS1_25partition_config_selectorILNS1_17partition_subalgoE5EyNS0_10empty_typeEbEEZZNS1_14partition_implILS5_5ELb0ES3_mN6thrust23THRUST_200600_302600_NS6detail15normal_iteratorINSA_10device_ptrIyEEEEPS6_NSA_18transform_iteratorINSB_9not_fun_tI7is_trueIyEEENSC_INSD_IbEEEENSA_11use_defaultESO_EENS0_5tupleIJSF_S6_EEENSQ_IJSG_SG_EEES6_PlJS6_EEE10hipError_tPvRmT3_T4_T5_T6_T7_T9_mT8_P12ihipStream_tbDpT10_ENKUlT_T0_E_clISt17integral_constantIbLb1EES1C_IbLb0EEEEDaS18_S19_EUlS18_E_NS1_11comp_targetILNS1_3genE2ELNS1_11target_archE906ELNS1_3gpuE6ELNS1_3repE0EEENS1_30default_config_static_selectorELNS0_4arch9wavefront6targetE0EEEvT1_
                                        ; -- End function
	.set _ZN7rocprim17ROCPRIM_400000_NS6detail17trampoline_kernelINS0_14default_configENS1_25partition_config_selectorILNS1_17partition_subalgoE5EyNS0_10empty_typeEbEEZZNS1_14partition_implILS5_5ELb0ES3_mN6thrust23THRUST_200600_302600_NS6detail15normal_iteratorINSA_10device_ptrIyEEEEPS6_NSA_18transform_iteratorINSB_9not_fun_tI7is_trueIyEEENSC_INSD_IbEEEENSA_11use_defaultESO_EENS0_5tupleIJSF_S6_EEENSQ_IJSG_SG_EEES6_PlJS6_EEE10hipError_tPvRmT3_T4_T5_T6_T7_T9_mT8_P12ihipStream_tbDpT10_ENKUlT_T0_E_clISt17integral_constantIbLb1EES1C_IbLb0EEEEDaS18_S19_EUlS18_E_NS1_11comp_targetILNS1_3genE2ELNS1_11target_archE906ELNS1_3gpuE6ELNS1_3repE0EEENS1_30default_config_static_selectorELNS0_4arch9wavefront6targetE0EEEvT1_.num_vgpr, 0
	.set _ZN7rocprim17ROCPRIM_400000_NS6detail17trampoline_kernelINS0_14default_configENS1_25partition_config_selectorILNS1_17partition_subalgoE5EyNS0_10empty_typeEbEEZZNS1_14partition_implILS5_5ELb0ES3_mN6thrust23THRUST_200600_302600_NS6detail15normal_iteratorINSA_10device_ptrIyEEEEPS6_NSA_18transform_iteratorINSB_9not_fun_tI7is_trueIyEEENSC_INSD_IbEEEENSA_11use_defaultESO_EENS0_5tupleIJSF_S6_EEENSQ_IJSG_SG_EEES6_PlJS6_EEE10hipError_tPvRmT3_T4_T5_T6_T7_T9_mT8_P12ihipStream_tbDpT10_ENKUlT_T0_E_clISt17integral_constantIbLb1EES1C_IbLb0EEEEDaS18_S19_EUlS18_E_NS1_11comp_targetILNS1_3genE2ELNS1_11target_archE906ELNS1_3gpuE6ELNS1_3repE0EEENS1_30default_config_static_selectorELNS0_4arch9wavefront6targetE0EEEvT1_.num_agpr, 0
	.set _ZN7rocprim17ROCPRIM_400000_NS6detail17trampoline_kernelINS0_14default_configENS1_25partition_config_selectorILNS1_17partition_subalgoE5EyNS0_10empty_typeEbEEZZNS1_14partition_implILS5_5ELb0ES3_mN6thrust23THRUST_200600_302600_NS6detail15normal_iteratorINSA_10device_ptrIyEEEEPS6_NSA_18transform_iteratorINSB_9not_fun_tI7is_trueIyEEENSC_INSD_IbEEEENSA_11use_defaultESO_EENS0_5tupleIJSF_S6_EEENSQ_IJSG_SG_EEES6_PlJS6_EEE10hipError_tPvRmT3_T4_T5_T6_T7_T9_mT8_P12ihipStream_tbDpT10_ENKUlT_T0_E_clISt17integral_constantIbLb1EES1C_IbLb0EEEEDaS18_S19_EUlS18_E_NS1_11comp_targetILNS1_3genE2ELNS1_11target_archE906ELNS1_3gpuE6ELNS1_3repE0EEENS1_30default_config_static_selectorELNS0_4arch9wavefront6targetE0EEEvT1_.numbered_sgpr, 0
	.set _ZN7rocprim17ROCPRIM_400000_NS6detail17trampoline_kernelINS0_14default_configENS1_25partition_config_selectorILNS1_17partition_subalgoE5EyNS0_10empty_typeEbEEZZNS1_14partition_implILS5_5ELb0ES3_mN6thrust23THRUST_200600_302600_NS6detail15normal_iteratorINSA_10device_ptrIyEEEEPS6_NSA_18transform_iteratorINSB_9not_fun_tI7is_trueIyEEENSC_INSD_IbEEEENSA_11use_defaultESO_EENS0_5tupleIJSF_S6_EEENSQ_IJSG_SG_EEES6_PlJS6_EEE10hipError_tPvRmT3_T4_T5_T6_T7_T9_mT8_P12ihipStream_tbDpT10_ENKUlT_T0_E_clISt17integral_constantIbLb1EES1C_IbLb0EEEEDaS18_S19_EUlS18_E_NS1_11comp_targetILNS1_3genE2ELNS1_11target_archE906ELNS1_3gpuE6ELNS1_3repE0EEENS1_30default_config_static_selectorELNS0_4arch9wavefront6targetE0EEEvT1_.num_named_barrier, 0
	.set _ZN7rocprim17ROCPRIM_400000_NS6detail17trampoline_kernelINS0_14default_configENS1_25partition_config_selectorILNS1_17partition_subalgoE5EyNS0_10empty_typeEbEEZZNS1_14partition_implILS5_5ELb0ES3_mN6thrust23THRUST_200600_302600_NS6detail15normal_iteratorINSA_10device_ptrIyEEEEPS6_NSA_18transform_iteratorINSB_9not_fun_tI7is_trueIyEEENSC_INSD_IbEEEENSA_11use_defaultESO_EENS0_5tupleIJSF_S6_EEENSQ_IJSG_SG_EEES6_PlJS6_EEE10hipError_tPvRmT3_T4_T5_T6_T7_T9_mT8_P12ihipStream_tbDpT10_ENKUlT_T0_E_clISt17integral_constantIbLb1EES1C_IbLb0EEEEDaS18_S19_EUlS18_E_NS1_11comp_targetILNS1_3genE2ELNS1_11target_archE906ELNS1_3gpuE6ELNS1_3repE0EEENS1_30default_config_static_selectorELNS0_4arch9wavefront6targetE0EEEvT1_.private_seg_size, 0
	.set _ZN7rocprim17ROCPRIM_400000_NS6detail17trampoline_kernelINS0_14default_configENS1_25partition_config_selectorILNS1_17partition_subalgoE5EyNS0_10empty_typeEbEEZZNS1_14partition_implILS5_5ELb0ES3_mN6thrust23THRUST_200600_302600_NS6detail15normal_iteratorINSA_10device_ptrIyEEEEPS6_NSA_18transform_iteratorINSB_9not_fun_tI7is_trueIyEEENSC_INSD_IbEEEENSA_11use_defaultESO_EENS0_5tupleIJSF_S6_EEENSQ_IJSG_SG_EEES6_PlJS6_EEE10hipError_tPvRmT3_T4_T5_T6_T7_T9_mT8_P12ihipStream_tbDpT10_ENKUlT_T0_E_clISt17integral_constantIbLb1EES1C_IbLb0EEEEDaS18_S19_EUlS18_E_NS1_11comp_targetILNS1_3genE2ELNS1_11target_archE906ELNS1_3gpuE6ELNS1_3repE0EEENS1_30default_config_static_selectorELNS0_4arch9wavefront6targetE0EEEvT1_.uses_vcc, 0
	.set _ZN7rocprim17ROCPRIM_400000_NS6detail17trampoline_kernelINS0_14default_configENS1_25partition_config_selectorILNS1_17partition_subalgoE5EyNS0_10empty_typeEbEEZZNS1_14partition_implILS5_5ELb0ES3_mN6thrust23THRUST_200600_302600_NS6detail15normal_iteratorINSA_10device_ptrIyEEEEPS6_NSA_18transform_iteratorINSB_9not_fun_tI7is_trueIyEEENSC_INSD_IbEEEENSA_11use_defaultESO_EENS0_5tupleIJSF_S6_EEENSQ_IJSG_SG_EEES6_PlJS6_EEE10hipError_tPvRmT3_T4_T5_T6_T7_T9_mT8_P12ihipStream_tbDpT10_ENKUlT_T0_E_clISt17integral_constantIbLb1EES1C_IbLb0EEEEDaS18_S19_EUlS18_E_NS1_11comp_targetILNS1_3genE2ELNS1_11target_archE906ELNS1_3gpuE6ELNS1_3repE0EEENS1_30default_config_static_selectorELNS0_4arch9wavefront6targetE0EEEvT1_.uses_flat_scratch, 0
	.set _ZN7rocprim17ROCPRIM_400000_NS6detail17trampoline_kernelINS0_14default_configENS1_25partition_config_selectorILNS1_17partition_subalgoE5EyNS0_10empty_typeEbEEZZNS1_14partition_implILS5_5ELb0ES3_mN6thrust23THRUST_200600_302600_NS6detail15normal_iteratorINSA_10device_ptrIyEEEEPS6_NSA_18transform_iteratorINSB_9not_fun_tI7is_trueIyEEENSC_INSD_IbEEEENSA_11use_defaultESO_EENS0_5tupleIJSF_S6_EEENSQ_IJSG_SG_EEES6_PlJS6_EEE10hipError_tPvRmT3_T4_T5_T6_T7_T9_mT8_P12ihipStream_tbDpT10_ENKUlT_T0_E_clISt17integral_constantIbLb1EES1C_IbLb0EEEEDaS18_S19_EUlS18_E_NS1_11comp_targetILNS1_3genE2ELNS1_11target_archE906ELNS1_3gpuE6ELNS1_3repE0EEENS1_30default_config_static_selectorELNS0_4arch9wavefront6targetE0EEEvT1_.has_dyn_sized_stack, 0
	.set _ZN7rocprim17ROCPRIM_400000_NS6detail17trampoline_kernelINS0_14default_configENS1_25partition_config_selectorILNS1_17partition_subalgoE5EyNS0_10empty_typeEbEEZZNS1_14partition_implILS5_5ELb0ES3_mN6thrust23THRUST_200600_302600_NS6detail15normal_iteratorINSA_10device_ptrIyEEEEPS6_NSA_18transform_iteratorINSB_9not_fun_tI7is_trueIyEEENSC_INSD_IbEEEENSA_11use_defaultESO_EENS0_5tupleIJSF_S6_EEENSQ_IJSG_SG_EEES6_PlJS6_EEE10hipError_tPvRmT3_T4_T5_T6_T7_T9_mT8_P12ihipStream_tbDpT10_ENKUlT_T0_E_clISt17integral_constantIbLb1EES1C_IbLb0EEEEDaS18_S19_EUlS18_E_NS1_11comp_targetILNS1_3genE2ELNS1_11target_archE906ELNS1_3gpuE6ELNS1_3repE0EEENS1_30default_config_static_selectorELNS0_4arch9wavefront6targetE0EEEvT1_.has_recursion, 0
	.set _ZN7rocprim17ROCPRIM_400000_NS6detail17trampoline_kernelINS0_14default_configENS1_25partition_config_selectorILNS1_17partition_subalgoE5EyNS0_10empty_typeEbEEZZNS1_14partition_implILS5_5ELb0ES3_mN6thrust23THRUST_200600_302600_NS6detail15normal_iteratorINSA_10device_ptrIyEEEEPS6_NSA_18transform_iteratorINSB_9not_fun_tI7is_trueIyEEENSC_INSD_IbEEEENSA_11use_defaultESO_EENS0_5tupleIJSF_S6_EEENSQ_IJSG_SG_EEES6_PlJS6_EEE10hipError_tPvRmT3_T4_T5_T6_T7_T9_mT8_P12ihipStream_tbDpT10_ENKUlT_T0_E_clISt17integral_constantIbLb1EES1C_IbLb0EEEEDaS18_S19_EUlS18_E_NS1_11comp_targetILNS1_3genE2ELNS1_11target_archE906ELNS1_3gpuE6ELNS1_3repE0EEENS1_30default_config_static_selectorELNS0_4arch9wavefront6targetE0EEEvT1_.has_indirect_call, 0
	.section	.AMDGPU.csdata,"",@progbits
; Kernel info:
; codeLenInByte = 0
; TotalNumSgprs: 0
; NumVgprs: 0
; ScratchSize: 0
; MemoryBound: 0
; FloatMode: 240
; IeeeMode: 1
; LDSByteSize: 0 bytes/workgroup (compile time only)
; SGPRBlocks: 0
; VGPRBlocks: 0
; NumSGPRsForWavesPerEU: 1
; NumVGPRsForWavesPerEU: 1
; Occupancy: 16
; WaveLimiterHint : 0
; COMPUTE_PGM_RSRC2:SCRATCH_EN: 0
; COMPUTE_PGM_RSRC2:USER_SGPR: 2
; COMPUTE_PGM_RSRC2:TRAP_HANDLER: 0
; COMPUTE_PGM_RSRC2:TGID_X_EN: 1
; COMPUTE_PGM_RSRC2:TGID_Y_EN: 0
; COMPUTE_PGM_RSRC2:TGID_Z_EN: 0
; COMPUTE_PGM_RSRC2:TIDIG_COMP_CNT: 0
	.section	.text._ZN7rocprim17ROCPRIM_400000_NS6detail17trampoline_kernelINS0_14default_configENS1_25partition_config_selectorILNS1_17partition_subalgoE5EyNS0_10empty_typeEbEEZZNS1_14partition_implILS5_5ELb0ES3_mN6thrust23THRUST_200600_302600_NS6detail15normal_iteratorINSA_10device_ptrIyEEEEPS6_NSA_18transform_iteratorINSB_9not_fun_tI7is_trueIyEEENSC_INSD_IbEEEENSA_11use_defaultESO_EENS0_5tupleIJSF_S6_EEENSQ_IJSG_SG_EEES6_PlJS6_EEE10hipError_tPvRmT3_T4_T5_T6_T7_T9_mT8_P12ihipStream_tbDpT10_ENKUlT_T0_E_clISt17integral_constantIbLb1EES1C_IbLb0EEEEDaS18_S19_EUlS18_E_NS1_11comp_targetILNS1_3genE10ELNS1_11target_archE1200ELNS1_3gpuE4ELNS1_3repE0EEENS1_30default_config_static_selectorELNS0_4arch9wavefront6targetE0EEEvT1_,"axG",@progbits,_ZN7rocprim17ROCPRIM_400000_NS6detail17trampoline_kernelINS0_14default_configENS1_25partition_config_selectorILNS1_17partition_subalgoE5EyNS0_10empty_typeEbEEZZNS1_14partition_implILS5_5ELb0ES3_mN6thrust23THRUST_200600_302600_NS6detail15normal_iteratorINSA_10device_ptrIyEEEEPS6_NSA_18transform_iteratorINSB_9not_fun_tI7is_trueIyEEENSC_INSD_IbEEEENSA_11use_defaultESO_EENS0_5tupleIJSF_S6_EEENSQ_IJSG_SG_EEES6_PlJS6_EEE10hipError_tPvRmT3_T4_T5_T6_T7_T9_mT8_P12ihipStream_tbDpT10_ENKUlT_T0_E_clISt17integral_constantIbLb1EES1C_IbLb0EEEEDaS18_S19_EUlS18_E_NS1_11comp_targetILNS1_3genE10ELNS1_11target_archE1200ELNS1_3gpuE4ELNS1_3repE0EEENS1_30default_config_static_selectorELNS0_4arch9wavefront6targetE0EEEvT1_,comdat
	.protected	_ZN7rocprim17ROCPRIM_400000_NS6detail17trampoline_kernelINS0_14default_configENS1_25partition_config_selectorILNS1_17partition_subalgoE5EyNS0_10empty_typeEbEEZZNS1_14partition_implILS5_5ELb0ES3_mN6thrust23THRUST_200600_302600_NS6detail15normal_iteratorINSA_10device_ptrIyEEEEPS6_NSA_18transform_iteratorINSB_9not_fun_tI7is_trueIyEEENSC_INSD_IbEEEENSA_11use_defaultESO_EENS0_5tupleIJSF_S6_EEENSQ_IJSG_SG_EEES6_PlJS6_EEE10hipError_tPvRmT3_T4_T5_T6_T7_T9_mT8_P12ihipStream_tbDpT10_ENKUlT_T0_E_clISt17integral_constantIbLb1EES1C_IbLb0EEEEDaS18_S19_EUlS18_E_NS1_11comp_targetILNS1_3genE10ELNS1_11target_archE1200ELNS1_3gpuE4ELNS1_3repE0EEENS1_30default_config_static_selectorELNS0_4arch9wavefront6targetE0EEEvT1_ ; -- Begin function _ZN7rocprim17ROCPRIM_400000_NS6detail17trampoline_kernelINS0_14default_configENS1_25partition_config_selectorILNS1_17partition_subalgoE5EyNS0_10empty_typeEbEEZZNS1_14partition_implILS5_5ELb0ES3_mN6thrust23THRUST_200600_302600_NS6detail15normal_iteratorINSA_10device_ptrIyEEEEPS6_NSA_18transform_iteratorINSB_9not_fun_tI7is_trueIyEEENSC_INSD_IbEEEENSA_11use_defaultESO_EENS0_5tupleIJSF_S6_EEENSQ_IJSG_SG_EEES6_PlJS6_EEE10hipError_tPvRmT3_T4_T5_T6_T7_T9_mT8_P12ihipStream_tbDpT10_ENKUlT_T0_E_clISt17integral_constantIbLb1EES1C_IbLb0EEEEDaS18_S19_EUlS18_E_NS1_11comp_targetILNS1_3genE10ELNS1_11target_archE1200ELNS1_3gpuE4ELNS1_3repE0EEENS1_30default_config_static_selectorELNS0_4arch9wavefront6targetE0EEEvT1_
	.globl	_ZN7rocprim17ROCPRIM_400000_NS6detail17trampoline_kernelINS0_14default_configENS1_25partition_config_selectorILNS1_17partition_subalgoE5EyNS0_10empty_typeEbEEZZNS1_14partition_implILS5_5ELb0ES3_mN6thrust23THRUST_200600_302600_NS6detail15normal_iteratorINSA_10device_ptrIyEEEEPS6_NSA_18transform_iteratorINSB_9not_fun_tI7is_trueIyEEENSC_INSD_IbEEEENSA_11use_defaultESO_EENS0_5tupleIJSF_S6_EEENSQ_IJSG_SG_EEES6_PlJS6_EEE10hipError_tPvRmT3_T4_T5_T6_T7_T9_mT8_P12ihipStream_tbDpT10_ENKUlT_T0_E_clISt17integral_constantIbLb1EES1C_IbLb0EEEEDaS18_S19_EUlS18_E_NS1_11comp_targetILNS1_3genE10ELNS1_11target_archE1200ELNS1_3gpuE4ELNS1_3repE0EEENS1_30default_config_static_selectorELNS0_4arch9wavefront6targetE0EEEvT1_
	.p2align	8
	.type	_ZN7rocprim17ROCPRIM_400000_NS6detail17trampoline_kernelINS0_14default_configENS1_25partition_config_selectorILNS1_17partition_subalgoE5EyNS0_10empty_typeEbEEZZNS1_14partition_implILS5_5ELb0ES3_mN6thrust23THRUST_200600_302600_NS6detail15normal_iteratorINSA_10device_ptrIyEEEEPS6_NSA_18transform_iteratorINSB_9not_fun_tI7is_trueIyEEENSC_INSD_IbEEEENSA_11use_defaultESO_EENS0_5tupleIJSF_S6_EEENSQ_IJSG_SG_EEES6_PlJS6_EEE10hipError_tPvRmT3_T4_T5_T6_T7_T9_mT8_P12ihipStream_tbDpT10_ENKUlT_T0_E_clISt17integral_constantIbLb1EES1C_IbLb0EEEEDaS18_S19_EUlS18_E_NS1_11comp_targetILNS1_3genE10ELNS1_11target_archE1200ELNS1_3gpuE4ELNS1_3repE0EEENS1_30default_config_static_selectorELNS0_4arch9wavefront6targetE0EEEvT1_,@function
_ZN7rocprim17ROCPRIM_400000_NS6detail17trampoline_kernelINS0_14default_configENS1_25partition_config_selectorILNS1_17partition_subalgoE5EyNS0_10empty_typeEbEEZZNS1_14partition_implILS5_5ELb0ES3_mN6thrust23THRUST_200600_302600_NS6detail15normal_iteratorINSA_10device_ptrIyEEEEPS6_NSA_18transform_iteratorINSB_9not_fun_tI7is_trueIyEEENSC_INSD_IbEEEENSA_11use_defaultESO_EENS0_5tupleIJSF_S6_EEENSQ_IJSG_SG_EEES6_PlJS6_EEE10hipError_tPvRmT3_T4_T5_T6_T7_T9_mT8_P12ihipStream_tbDpT10_ENKUlT_T0_E_clISt17integral_constantIbLb1EES1C_IbLb0EEEEDaS18_S19_EUlS18_E_NS1_11comp_targetILNS1_3genE10ELNS1_11target_archE1200ELNS1_3gpuE4ELNS1_3repE0EEENS1_30default_config_static_selectorELNS0_4arch9wavefront6targetE0EEEvT1_: ; @_ZN7rocprim17ROCPRIM_400000_NS6detail17trampoline_kernelINS0_14default_configENS1_25partition_config_selectorILNS1_17partition_subalgoE5EyNS0_10empty_typeEbEEZZNS1_14partition_implILS5_5ELb0ES3_mN6thrust23THRUST_200600_302600_NS6detail15normal_iteratorINSA_10device_ptrIyEEEEPS6_NSA_18transform_iteratorINSB_9not_fun_tI7is_trueIyEEENSC_INSD_IbEEEENSA_11use_defaultESO_EENS0_5tupleIJSF_S6_EEENSQ_IJSG_SG_EEES6_PlJS6_EEE10hipError_tPvRmT3_T4_T5_T6_T7_T9_mT8_P12ihipStream_tbDpT10_ENKUlT_T0_E_clISt17integral_constantIbLb1EES1C_IbLb0EEEEDaS18_S19_EUlS18_E_NS1_11comp_targetILNS1_3genE10ELNS1_11target_archE1200ELNS1_3gpuE4ELNS1_3repE0EEENS1_30default_config_static_selectorELNS0_4arch9wavefront6targetE0EEEvT1_
; %bb.0:
	s_endpgm
	.section	.rodata,"a",@progbits
	.p2align	6, 0x0
	.amdhsa_kernel _ZN7rocprim17ROCPRIM_400000_NS6detail17trampoline_kernelINS0_14default_configENS1_25partition_config_selectorILNS1_17partition_subalgoE5EyNS0_10empty_typeEbEEZZNS1_14partition_implILS5_5ELb0ES3_mN6thrust23THRUST_200600_302600_NS6detail15normal_iteratorINSA_10device_ptrIyEEEEPS6_NSA_18transform_iteratorINSB_9not_fun_tI7is_trueIyEEENSC_INSD_IbEEEENSA_11use_defaultESO_EENS0_5tupleIJSF_S6_EEENSQ_IJSG_SG_EEES6_PlJS6_EEE10hipError_tPvRmT3_T4_T5_T6_T7_T9_mT8_P12ihipStream_tbDpT10_ENKUlT_T0_E_clISt17integral_constantIbLb1EES1C_IbLb0EEEEDaS18_S19_EUlS18_E_NS1_11comp_targetILNS1_3genE10ELNS1_11target_archE1200ELNS1_3gpuE4ELNS1_3repE0EEENS1_30default_config_static_selectorELNS0_4arch9wavefront6targetE0EEEvT1_
		.amdhsa_group_segment_fixed_size 0
		.amdhsa_private_segment_fixed_size 0
		.amdhsa_kernarg_size 120
		.amdhsa_user_sgpr_count 2
		.amdhsa_user_sgpr_dispatch_ptr 0
		.amdhsa_user_sgpr_queue_ptr 0
		.amdhsa_user_sgpr_kernarg_segment_ptr 1
		.amdhsa_user_sgpr_dispatch_id 0
		.amdhsa_user_sgpr_private_segment_size 0
		.amdhsa_wavefront_size32 1
		.amdhsa_uses_dynamic_stack 0
		.amdhsa_enable_private_segment 0
		.amdhsa_system_sgpr_workgroup_id_x 1
		.amdhsa_system_sgpr_workgroup_id_y 0
		.amdhsa_system_sgpr_workgroup_id_z 0
		.amdhsa_system_sgpr_workgroup_info 0
		.amdhsa_system_vgpr_workitem_id 0
		.amdhsa_next_free_vgpr 1
		.amdhsa_next_free_sgpr 1
		.amdhsa_reserve_vcc 0
		.amdhsa_float_round_mode_32 0
		.amdhsa_float_round_mode_16_64 0
		.amdhsa_float_denorm_mode_32 3
		.amdhsa_float_denorm_mode_16_64 3
		.amdhsa_fp16_overflow 0
		.amdhsa_workgroup_processor_mode 1
		.amdhsa_memory_ordered 1
		.amdhsa_forward_progress 1
		.amdhsa_inst_pref_size 1
		.amdhsa_round_robin_scheduling 0
		.amdhsa_exception_fp_ieee_invalid_op 0
		.amdhsa_exception_fp_denorm_src 0
		.amdhsa_exception_fp_ieee_div_zero 0
		.amdhsa_exception_fp_ieee_overflow 0
		.amdhsa_exception_fp_ieee_underflow 0
		.amdhsa_exception_fp_ieee_inexact 0
		.amdhsa_exception_int_div_zero 0
	.end_amdhsa_kernel
	.section	.text._ZN7rocprim17ROCPRIM_400000_NS6detail17trampoline_kernelINS0_14default_configENS1_25partition_config_selectorILNS1_17partition_subalgoE5EyNS0_10empty_typeEbEEZZNS1_14partition_implILS5_5ELb0ES3_mN6thrust23THRUST_200600_302600_NS6detail15normal_iteratorINSA_10device_ptrIyEEEEPS6_NSA_18transform_iteratorINSB_9not_fun_tI7is_trueIyEEENSC_INSD_IbEEEENSA_11use_defaultESO_EENS0_5tupleIJSF_S6_EEENSQ_IJSG_SG_EEES6_PlJS6_EEE10hipError_tPvRmT3_T4_T5_T6_T7_T9_mT8_P12ihipStream_tbDpT10_ENKUlT_T0_E_clISt17integral_constantIbLb1EES1C_IbLb0EEEEDaS18_S19_EUlS18_E_NS1_11comp_targetILNS1_3genE10ELNS1_11target_archE1200ELNS1_3gpuE4ELNS1_3repE0EEENS1_30default_config_static_selectorELNS0_4arch9wavefront6targetE0EEEvT1_,"axG",@progbits,_ZN7rocprim17ROCPRIM_400000_NS6detail17trampoline_kernelINS0_14default_configENS1_25partition_config_selectorILNS1_17partition_subalgoE5EyNS0_10empty_typeEbEEZZNS1_14partition_implILS5_5ELb0ES3_mN6thrust23THRUST_200600_302600_NS6detail15normal_iteratorINSA_10device_ptrIyEEEEPS6_NSA_18transform_iteratorINSB_9not_fun_tI7is_trueIyEEENSC_INSD_IbEEEENSA_11use_defaultESO_EENS0_5tupleIJSF_S6_EEENSQ_IJSG_SG_EEES6_PlJS6_EEE10hipError_tPvRmT3_T4_T5_T6_T7_T9_mT8_P12ihipStream_tbDpT10_ENKUlT_T0_E_clISt17integral_constantIbLb1EES1C_IbLb0EEEEDaS18_S19_EUlS18_E_NS1_11comp_targetILNS1_3genE10ELNS1_11target_archE1200ELNS1_3gpuE4ELNS1_3repE0EEENS1_30default_config_static_selectorELNS0_4arch9wavefront6targetE0EEEvT1_,comdat
.Lfunc_end2418:
	.size	_ZN7rocprim17ROCPRIM_400000_NS6detail17trampoline_kernelINS0_14default_configENS1_25partition_config_selectorILNS1_17partition_subalgoE5EyNS0_10empty_typeEbEEZZNS1_14partition_implILS5_5ELb0ES3_mN6thrust23THRUST_200600_302600_NS6detail15normal_iteratorINSA_10device_ptrIyEEEEPS6_NSA_18transform_iteratorINSB_9not_fun_tI7is_trueIyEEENSC_INSD_IbEEEENSA_11use_defaultESO_EENS0_5tupleIJSF_S6_EEENSQ_IJSG_SG_EEES6_PlJS6_EEE10hipError_tPvRmT3_T4_T5_T6_T7_T9_mT8_P12ihipStream_tbDpT10_ENKUlT_T0_E_clISt17integral_constantIbLb1EES1C_IbLb0EEEEDaS18_S19_EUlS18_E_NS1_11comp_targetILNS1_3genE10ELNS1_11target_archE1200ELNS1_3gpuE4ELNS1_3repE0EEENS1_30default_config_static_selectorELNS0_4arch9wavefront6targetE0EEEvT1_, .Lfunc_end2418-_ZN7rocprim17ROCPRIM_400000_NS6detail17trampoline_kernelINS0_14default_configENS1_25partition_config_selectorILNS1_17partition_subalgoE5EyNS0_10empty_typeEbEEZZNS1_14partition_implILS5_5ELb0ES3_mN6thrust23THRUST_200600_302600_NS6detail15normal_iteratorINSA_10device_ptrIyEEEEPS6_NSA_18transform_iteratorINSB_9not_fun_tI7is_trueIyEEENSC_INSD_IbEEEENSA_11use_defaultESO_EENS0_5tupleIJSF_S6_EEENSQ_IJSG_SG_EEES6_PlJS6_EEE10hipError_tPvRmT3_T4_T5_T6_T7_T9_mT8_P12ihipStream_tbDpT10_ENKUlT_T0_E_clISt17integral_constantIbLb1EES1C_IbLb0EEEEDaS18_S19_EUlS18_E_NS1_11comp_targetILNS1_3genE10ELNS1_11target_archE1200ELNS1_3gpuE4ELNS1_3repE0EEENS1_30default_config_static_selectorELNS0_4arch9wavefront6targetE0EEEvT1_
                                        ; -- End function
	.set _ZN7rocprim17ROCPRIM_400000_NS6detail17trampoline_kernelINS0_14default_configENS1_25partition_config_selectorILNS1_17partition_subalgoE5EyNS0_10empty_typeEbEEZZNS1_14partition_implILS5_5ELb0ES3_mN6thrust23THRUST_200600_302600_NS6detail15normal_iteratorINSA_10device_ptrIyEEEEPS6_NSA_18transform_iteratorINSB_9not_fun_tI7is_trueIyEEENSC_INSD_IbEEEENSA_11use_defaultESO_EENS0_5tupleIJSF_S6_EEENSQ_IJSG_SG_EEES6_PlJS6_EEE10hipError_tPvRmT3_T4_T5_T6_T7_T9_mT8_P12ihipStream_tbDpT10_ENKUlT_T0_E_clISt17integral_constantIbLb1EES1C_IbLb0EEEEDaS18_S19_EUlS18_E_NS1_11comp_targetILNS1_3genE10ELNS1_11target_archE1200ELNS1_3gpuE4ELNS1_3repE0EEENS1_30default_config_static_selectorELNS0_4arch9wavefront6targetE0EEEvT1_.num_vgpr, 0
	.set _ZN7rocprim17ROCPRIM_400000_NS6detail17trampoline_kernelINS0_14default_configENS1_25partition_config_selectorILNS1_17partition_subalgoE5EyNS0_10empty_typeEbEEZZNS1_14partition_implILS5_5ELb0ES3_mN6thrust23THRUST_200600_302600_NS6detail15normal_iteratorINSA_10device_ptrIyEEEEPS6_NSA_18transform_iteratorINSB_9not_fun_tI7is_trueIyEEENSC_INSD_IbEEEENSA_11use_defaultESO_EENS0_5tupleIJSF_S6_EEENSQ_IJSG_SG_EEES6_PlJS6_EEE10hipError_tPvRmT3_T4_T5_T6_T7_T9_mT8_P12ihipStream_tbDpT10_ENKUlT_T0_E_clISt17integral_constantIbLb1EES1C_IbLb0EEEEDaS18_S19_EUlS18_E_NS1_11comp_targetILNS1_3genE10ELNS1_11target_archE1200ELNS1_3gpuE4ELNS1_3repE0EEENS1_30default_config_static_selectorELNS0_4arch9wavefront6targetE0EEEvT1_.num_agpr, 0
	.set _ZN7rocprim17ROCPRIM_400000_NS6detail17trampoline_kernelINS0_14default_configENS1_25partition_config_selectorILNS1_17partition_subalgoE5EyNS0_10empty_typeEbEEZZNS1_14partition_implILS5_5ELb0ES3_mN6thrust23THRUST_200600_302600_NS6detail15normal_iteratorINSA_10device_ptrIyEEEEPS6_NSA_18transform_iteratorINSB_9not_fun_tI7is_trueIyEEENSC_INSD_IbEEEENSA_11use_defaultESO_EENS0_5tupleIJSF_S6_EEENSQ_IJSG_SG_EEES6_PlJS6_EEE10hipError_tPvRmT3_T4_T5_T6_T7_T9_mT8_P12ihipStream_tbDpT10_ENKUlT_T0_E_clISt17integral_constantIbLb1EES1C_IbLb0EEEEDaS18_S19_EUlS18_E_NS1_11comp_targetILNS1_3genE10ELNS1_11target_archE1200ELNS1_3gpuE4ELNS1_3repE0EEENS1_30default_config_static_selectorELNS0_4arch9wavefront6targetE0EEEvT1_.numbered_sgpr, 0
	.set _ZN7rocprim17ROCPRIM_400000_NS6detail17trampoline_kernelINS0_14default_configENS1_25partition_config_selectorILNS1_17partition_subalgoE5EyNS0_10empty_typeEbEEZZNS1_14partition_implILS5_5ELb0ES3_mN6thrust23THRUST_200600_302600_NS6detail15normal_iteratorINSA_10device_ptrIyEEEEPS6_NSA_18transform_iteratorINSB_9not_fun_tI7is_trueIyEEENSC_INSD_IbEEEENSA_11use_defaultESO_EENS0_5tupleIJSF_S6_EEENSQ_IJSG_SG_EEES6_PlJS6_EEE10hipError_tPvRmT3_T4_T5_T6_T7_T9_mT8_P12ihipStream_tbDpT10_ENKUlT_T0_E_clISt17integral_constantIbLb1EES1C_IbLb0EEEEDaS18_S19_EUlS18_E_NS1_11comp_targetILNS1_3genE10ELNS1_11target_archE1200ELNS1_3gpuE4ELNS1_3repE0EEENS1_30default_config_static_selectorELNS0_4arch9wavefront6targetE0EEEvT1_.num_named_barrier, 0
	.set _ZN7rocprim17ROCPRIM_400000_NS6detail17trampoline_kernelINS0_14default_configENS1_25partition_config_selectorILNS1_17partition_subalgoE5EyNS0_10empty_typeEbEEZZNS1_14partition_implILS5_5ELb0ES3_mN6thrust23THRUST_200600_302600_NS6detail15normal_iteratorINSA_10device_ptrIyEEEEPS6_NSA_18transform_iteratorINSB_9not_fun_tI7is_trueIyEEENSC_INSD_IbEEEENSA_11use_defaultESO_EENS0_5tupleIJSF_S6_EEENSQ_IJSG_SG_EEES6_PlJS6_EEE10hipError_tPvRmT3_T4_T5_T6_T7_T9_mT8_P12ihipStream_tbDpT10_ENKUlT_T0_E_clISt17integral_constantIbLb1EES1C_IbLb0EEEEDaS18_S19_EUlS18_E_NS1_11comp_targetILNS1_3genE10ELNS1_11target_archE1200ELNS1_3gpuE4ELNS1_3repE0EEENS1_30default_config_static_selectorELNS0_4arch9wavefront6targetE0EEEvT1_.private_seg_size, 0
	.set _ZN7rocprim17ROCPRIM_400000_NS6detail17trampoline_kernelINS0_14default_configENS1_25partition_config_selectorILNS1_17partition_subalgoE5EyNS0_10empty_typeEbEEZZNS1_14partition_implILS5_5ELb0ES3_mN6thrust23THRUST_200600_302600_NS6detail15normal_iteratorINSA_10device_ptrIyEEEEPS6_NSA_18transform_iteratorINSB_9not_fun_tI7is_trueIyEEENSC_INSD_IbEEEENSA_11use_defaultESO_EENS0_5tupleIJSF_S6_EEENSQ_IJSG_SG_EEES6_PlJS6_EEE10hipError_tPvRmT3_T4_T5_T6_T7_T9_mT8_P12ihipStream_tbDpT10_ENKUlT_T0_E_clISt17integral_constantIbLb1EES1C_IbLb0EEEEDaS18_S19_EUlS18_E_NS1_11comp_targetILNS1_3genE10ELNS1_11target_archE1200ELNS1_3gpuE4ELNS1_3repE0EEENS1_30default_config_static_selectorELNS0_4arch9wavefront6targetE0EEEvT1_.uses_vcc, 0
	.set _ZN7rocprim17ROCPRIM_400000_NS6detail17trampoline_kernelINS0_14default_configENS1_25partition_config_selectorILNS1_17partition_subalgoE5EyNS0_10empty_typeEbEEZZNS1_14partition_implILS5_5ELb0ES3_mN6thrust23THRUST_200600_302600_NS6detail15normal_iteratorINSA_10device_ptrIyEEEEPS6_NSA_18transform_iteratorINSB_9not_fun_tI7is_trueIyEEENSC_INSD_IbEEEENSA_11use_defaultESO_EENS0_5tupleIJSF_S6_EEENSQ_IJSG_SG_EEES6_PlJS6_EEE10hipError_tPvRmT3_T4_T5_T6_T7_T9_mT8_P12ihipStream_tbDpT10_ENKUlT_T0_E_clISt17integral_constantIbLb1EES1C_IbLb0EEEEDaS18_S19_EUlS18_E_NS1_11comp_targetILNS1_3genE10ELNS1_11target_archE1200ELNS1_3gpuE4ELNS1_3repE0EEENS1_30default_config_static_selectorELNS0_4arch9wavefront6targetE0EEEvT1_.uses_flat_scratch, 0
	.set _ZN7rocprim17ROCPRIM_400000_NS6detail17trampoline_kernelINS0_14default_configENS1_25partition_config_selectorILNS1_17partition_subalgoE5EyNS0_10empty_typeEbEEZZNS1_14partition_implILS5_5ELb0ES3_mN6thrust23THRUST_200600_302600_NS6detail15normal_iteratorINSA_10device_ptrIyEEEEPS6_NSA_18transform_iteratorINSB_9not_fun_tI7is_trueIyEEENSC_INSD_IbEEEENSA_11use_defaultESO_EENS0_5tupleIJSF_S6_EEENSQ_IJSG_SG_EEES6_PlJS6_EEE10hipError_tPvRmT3_T4_T5_T6_T7_T9_mT8_P12ihipStream_tbDpT10_ENKUlT_T0_E_clISt17integral_constantIbLb1EES1C_IbLb0EEEEDaS18_S19_EUlS18_E_NS1_11comp_targetILNS1_3genE10ELNS1_11target_archE1200ELNS1_3gpuE4ELNS1_3repE0EEENS1_30default_config_static_selectorELNS0_4arch9wavefront6targetE0EEEvT1_.has_dyn_sized_stack, 0
	.set _ZN7rocprim17ROCPRIM_400000_NS6detail17trampoline_kernelINS0_14default_configENS1_25partition_config_selectorILNS1_17partition_subalgoE5EyNS0_10empty_typeEbEEZZNS1_14partition_implILS5_5ELb0ES3_mN6thrust23THRUST_200600_302600_NS6detail15normal_iteratorINSA_10device_ptrIyEEEEPS6_NSA_18transform_iteratorINSB_9not_fun_tI7is_trueIyEEENSC_INSD_IbEEEENSA_11use_defaultESO_EENS0_5tupleIJSF_S6_EEENSQ_IJSG_SG_EEES6_PlJS6_EEE10hipError_tPvRmT3_T4_T5_T6_T7_T9_mT8_P12ihipStream_tbDpT10_ENKUlT_T0_E_clISt17integral_constantIbLb1EES1C_IbLb0EEEEDaS18_S19_EUlS18_E_NS1_11comp_targetILNS1_3genE10ELNS1_11target_archE1200ELNS1_3gpuE4ELNS1_3repE0EEENS1_30default_config_static_selectorELNS0_4arch9wavefront6targetE0EEEvT1_.has_recursion, 0
	.set _ZN7rocprim17ROCPRIM_400000_NS6detail17trampoline_kernelINS0_14default_configENS1_25partition_config_selectorILNS1_17partition_subalgoE5EyNS0_10empty_typeEbEEZZNS1_14partition_implILS5_5ELb0ES3_mN6thrust23THRUST_200600_302600_NS6detail15normal_iteratorINSA_10device_ptrIyEEEEPS6_NSA_18transform_iteratorINSB_9not_fun_tI7is_trueIyEEENSC_INSD_IbEEEENSA_11use_defaultESO_EENS0_5tupleIJSF_S6_EEENSQ_IJSG_SG_EEES6_PlJS6_EEE10hipError_tPvRmT3_T4_T5_T6_T7_T9_mT8_P12ihipStream_tbDpT10_ENKUlT_T0_E_clISt17integral_constantIbLb1EES1C_IbLb0EEEEDaS18_S19_EUlS18_E_NS1_11comp_targetILNS1_3genE10ELNS1_11target_archE1200ELNS1_3gpuE4ELNS1_3repE0EEENS1_30default_config_static_selectorELNS0_4arch9wavefront6targetE0EEEvT1_.has_indirect_call, 0
	.section	.AMDGPU.csdata,"",@progbits
; Kernel info:
; codeLenInByte = 4
; TotalNumSgprs: 0
; NumVgprs: 0
; ScratchSize: 0
; MemoryBound: 0
; FloatMode: 240
; IeeeMode: 1
; LDSByteSize: 0 bytes/workgroup (compile time only)
; SGPRBlocks: 0
; VGPRBlocks: 0
; NumSGPRsForWavesPerEU: 1
; NumVGPRsForWavesPerEU: 1
; Occupancy: 16
; WaveLimiterHint : 0
; COMPUTE_PGM_RSRC2:SCRATCH_EN: 0
; COMPUTE_PGM_RSRC2:USER_SGPR: 2
; COMPUTE_PGM_RSRC2:TRAP_HANDLER: 0
; COMPUTE_PGM_RSRC2:TGID_X_EN: 1
; COMPUTE_PGM_RSRC2:TGID_Y_EN: 0
; COMPUTE_PGM_RSRC2:TGID_Z_EN: 0
; COMPUTE_PGM_RSRC2:TIDIG_COMP_CNT: 0
	.section	.text._ZN7rocprim17ROCPRIM_400000_NS6detail17trampoline_kernelINS0_14default_configENS1_25partition_config_selectorILNS1_17partition_subalgoE5EyNS0_10empty_typeEbEEZZNS1_14partition_implILS5_5ELb0ES3_mN6thrust23THRUST_200600_302600_NS6detail15normal_iteratorINSA_10device_ptrIyEEEEPS6_NSA_18transform_iteratorINSB_9not_fun_tI7is_trueIyEEENSC_INSD_IbEEEENSA_11use_defaultESO_EENS0_5tupleIJSF_S6_EEENSQ_IJSG_SG_EEES6_PlJS6_EEE10hipError_tPvRmT3_T4_T5_T6_T7_T9_mT8_P12ihipStream_tbDpT10_ENKUlT_T0_E_clISt17integral_constantIbLb1EES1C_IbLb0EEEEDaS18_S19_EUlS18_E_NS1_11comp_targetILNS1_3genE9ELNS1_11target_archE1100ELNS1_3gpuE3ELNS1_3repE0EEENS1_30default_config_static_selectorELNS0_4arch9wavefront6targetE0EEEvT1_,"axG",@progbits,_ZN7rocprim17ROCPRIM_400000_NS6detail17trampoline_kernelINS0_14default_configENS1_25partition_config_selectorILNS1_17partition_subalgoE5EyNS0_10empty_typeEbEEZZNS1_14partition_implILS5_5ELb0ES3_mN6thrust23THRUST_200600_302600_NS6detail15normal_iteratorINSA_10device_ptrIyEEEEPS6_NSA_18transform_iteratorINSB_9not_fun_tI7is_trueIyEEENSC_INSD_IbEEEENSA_11use_defaultESO_EENS0_5tupleIJSF_S6_EEENSQ_IJSG_SG_EEES6_PlJS6_EEE10hipError_tPvRmT3_T4_T5_T6_T7_T9_mT8_P12ihipStream_tbDpT10_ENKUlT_T0_E_clISt17integral_constantIbLb1EES1C_IbLb0EEEEDaS18_S19_EUlS18_E_NS1_11comp_targetILNS1_3genE9ELNS1_11target_archE1100ELNS1_3gpuE3ELNS1_3repE0EEENS1_30default_config_static_selectorELNS0_4arch9wavefront6targetE0EEEvT1_,comdat
	.protected	_ZN7rocprim17ROCPRIM_400000_NS6detail17trampoline_kernelINS0_14default_configENS1_25partition_config_selectorILNS1_17partition_subalgoE5EyNS0_10empty_typeEbEEZZNS1_14partition_implILS5_5ELb0ES3_mN6thrust23THRUST_200600_302600_NS6detail15normal_iteratorINSA_10device_ptrIyEEEEPS6_NSA_18transform_iteratorINSB_9not_fun_tI7is_trueIyEEENSC_INSD_IbEEEENSA_11use_defaultESO_EENS0_5tupleIJSF_S6_EEENSQ_IJSG_SG_EEES6_PlJS6_EEE10hipError_tPvRmT3_T4_T5_T6_T7_T9_mT8_P12ihipStream_tbDpT10_ENKUlT_T0_E_clISt17integral_constantIbLb1EES1C_IbLb0EEEEDaS18_S19_EUlS18_E_NS1_11comp_targetILNS1_3genE9ELNS1_11target_archE1100ELNS1_3gpuE3ELNS1_3repE0EEENS1_30default_config_static_selectorELNS0_4arch9wavefront6targetE0EEEvT1_ ; -- Begin function _ZN7rocprim17ROCPRIM_400000_NS6detail17trampoline_kernelINS0_14default_configENS1_25partition_config_selectorILNS1_17partition_subalgoE5EyNS0_10empty_typeEbEEZZNS1_14partition_implILS5_5ELb0ES3_mN6thrust23THRUST_200600_302600_NS6detail15normal_iteratorINSA_10device_ptrIyEEEEPS6_NSA_18transform_iteratorINSB_9not_fun_tI7is_trueIyEEENSC_INSD_IbEEEENSA_11use_defaultESO_EENS0_5tupleIJSF_S6_EEENSQ_IJSG_SG_EEES6_PlJS6_EEE10hipError_tPvRmT3_T4_T5_T6_T7_T9_mT8_P12ihipStream_tbDpT10_ENKUlT_T0_E_clISt17integral_constantIbLb1EES1C_IbLb0EEEEDaS18_S19_EUlS18_E_NS1_11comp_targetILNS1_3genE9ELNS1_11target_archE1100ELNS1_3gpuE3ELNS1_3repE0EEENS1_30default_config_static_selectorELNS0_4arch9wavefront6targetE0EEEvT1_
	.globl	_ZN7rocprim17ROCPRIM_400000_NS6detail17trampoline_kernelINS0_14default_configENS1_25partition_config_selectorILNS1_17partition_subalgoE5EyNS0_10empty_typeEbEEZZNS1_14partition_implILS5_5ELb0ES3_mN6thrust23THRUST_200600_302600_NS6detail15normal_iteratorINSA_10device_ptrIyEEEEPS6_NSA_18transform_iteratorINSB_9not_fun_tI7is_trueIyEEENSC_INSD_IbEEEENSA_11use_defaultESO_EENS0_5tupleIJSF_S6_EEENSQ_IJSG_SG_EEES6_PlJS6_EEE10hipError_tPvRmT3_T4_T5_T6_T7_T9_mT8_P12ihipStream_tbDpT10_ENKUlT_T0_E_clISt17integral_constantIbLb1EES1C_IbLb0EEEEDaS18_S19_EUlS18_E_NS1_11comp_targetILNS1_3genE9ELNS1_11target_archE1100ELNS1_3gpuE3ELNS1_3repE0EEENS1_30default_config_static_selectorELNS0_4arch9wavefront6targetE0EEEvT1_
	.p2align	8
	.type	_ZN7rocprim17ROCPRIM_400000_NS6detail17trampoline_kernelINS0_14default_configENS1_25partition_config_selectorILNS1_17partition_subalgoE5EyNS0_10empty_typeEbEEZZNS1_14partition_implILS5_5ELb0ES3_mN6thrust23THRUST_200600_302600_NS6detail15normal_iteratorINSA_10device_ptrIyEEEEPS6_NSA_18transform_iteratorINSB_9not_fun_tI7is_trueIyEEENSC_INSD_IbEEEENSA_11use_defaultESO_EENS0_5tupleIJSF_S6_EEENSQ_IJSG_SG_EEES6_PlJS6_EEE10hipError_tPvRmT3_T4_T5_T6_T7_T9_mT8_P12ihipStream_tbDpT10_ENKUlT_T0_E_clISt17integral_constantIbLb1EES1C_IbLb0EEEEDaS18_S19_EUlS18_E_NS1_11comp_targetILNS1_3genE9ELNS1_11target_archE1100ELNS1_3gpuE3ELNS1_3repE0EEENS1_30default_config_static_selectorELNS0_4arch9wavefront6targetE0EEEvT1_,@function
_ZN7rocprim17ROCPRIM_400000_NS6detail17trampoline_kernelINS0_14default_configENS1_25partition_config_selectorILNS1_17partition_subalgoE5EyNS0_10empty_typeEbEEZZNS1_14partition_implILS5_5ELb0ES3_mN6thrust23THRUST_200600_302600_NS6detail15normal_iteratorINSA_10device_ptrIyEEEEPS6_NSA_18transform_iteratorINSB_9not_fun_tI7is_trueIyEEENSC_INSD_IbEEEENSA_11use_defaultESO_EENS0_5tupleIJSF_S6_EEENSQ_IJSG_SG_EEES6_PlJS6_EEE10hipError_tPvRmT3_T4_T5_T6_T7_T9_mT8_P12ihipStream_tbDpT10_ENKUlT_T0_E_clISt17integral_constantIbLb1EES1C_IbLb0EEEEDaS18_S19_EUlS18_E_NS1_11comp_targetILNS1_3genE9ELNS1_11target_archE1100ELNS1_3gpuE3ELNS1_3repE0EEENS1_30default_config_static_selectorELNS0_4arch9wavefront6targetE0EEEvT1_: ; @_ZN7rocprim17ROCPRIM_400000_NS6detail17trampoline_kernelINS0_14default_configENS1_25partition_config_selectorILNS1_17partition_subalgoE5EyNS0_10empty_typeEbEEZZNS1_14partition_implILS5_5ELb0ES3_mN6thrust23THRUST_200600_302600_NS6detail15normal_iteratorINSA_10device_ptrIyEEEEPS6_NSA_18transform_iteratorINSB_9not_fun_tI7is_trueIyEEENSC_INSD_IbEEEENSA_11use_defaultESO_EENS0_5tupleIJSF_S6_EEENSQ_IJSG_SG_EEES6_PlJS6_EEE10hipError_tPvRmT3_T4_T5_T6_T7_T9_mT8_P12ihipStream_tbDpT10_ENKUlT_T0_E_clISt17integral_constantIbLb1EES1C_IbLb0EEEEDaS18_S19_EUlS18_E_NS1_11comp_targetILNS1_3genE9ELNS1_11target_archE1100ELNS1_3gpuE3ELNS1_3repE0EEENS1_30default_config_static_selectorELNS0_4arch9wavefront6targetE0EEEvT1_
; %bb.0:
	.section	.rodata,"a",@progbits
	.p2align	6, 0x0
	.amdhsa_kernel _ZN7rocprim17ROCPRIM_400000_NS6detail17trampoline_kernelINS0_14default_configENS1_25partition_config_selectorILNS1_17partition_subalgoE5EyNS0_10empty_typeEbEEZZNS1_14partition_implILS5_5ELb0ES3_mN6thrust23THRUST_200600_302600_NS6detail15normal_iteratorINSA_10device_ptrIyEEEEPS6_NSA_18transform_iteratorINSB_9not_fun_tI7is_trueIyEEENSC_INSD_IbEEEENSA_11use_defaultESO_EENS0_5tupleIJSF_S6_EEENSQ_IJSG_SG_EEES6_PlJS6_EEE10hipError_tPvRmT3_T4_T5_T6_T7_T9_mT8_P12ihipStream_tbDpT10_ENKUlT_T0_E_clISt17integral_constantIbLb1EES1C_IbLb0EEEEDaS18_S19_EUlS18_E_NS1_11comp_targetILNS1_3genE9ELNS1_11target_archE1100ELNS1_3gpuE3ELNS1_3repE0EEENS1_30default_config_static_selectorELNS0_4arch9wavefront6targetE0EEEvT1_
		.amdhsa_group_segment_fixed_size 0
		.amdhsa_private_segment_fixed_size 0
		.amdhsa_kernarg_size 120
		.amdhsa_user_sgpr_count 2
		.amdhsa_user_sgpr_dispatch_ptr 0
		.amdhsa_user_sgpr_queue_ptr 0
		.amdhsa_user_sgpr_kernarg_segment_ptr 1
		.amdhsa_user_sgpr_dispatch_id 0
		.amdhsa_user_sgpr_private_segment_size 0
		.amdhsa_wavefront_size32 1
		.amdhsa_uses_dynamic_stack 0
		.amdhsa_enable_private_segment 0
		.amdhsa_system_sgpr_workgroup_id_x 1
		.amdhsa_system_sgpr_workgroup_id_y 0
		.amdhsa_system_sgpr_workgroup_id_z 0
		.amdhsa_system_sgpr_workgroup_info 0
		.amdhsa_system_vgpr_workitem_id 0
		.amdhsa_next_free_vgpr 1
		.amdhsa_next_free_sgpr 1
		.amdhsa_reserve_vcc 0
		.amdhsa_float_round_mode_32 0
		.amdhsa_float_round_mode_16_64 0
		.amdhsa_float_denorm_mode_32 3
		.amdhsa_float_denorm_mode_16_64 3
		.amdhsa_fp16_overflow 0
		.amdhsa_workgroup_processor_mode 1
		.amdhsa_memory_ordered 1
		.amdhsa_forward_progress 1
		.amdhsa_inst_pref_size 0
		.amdhsa_round_robin_scheduling 0
		.amdhsa_exception_fp_ieee_invalid_op 0
		.amdhsa_exception_fp_denorm_src 0
		.amdhsa_exception_fp_ieee_div_zero 0
		.amdhsa_exception_fp_ieee_overflow 0
		.amdhsa_exception_fp_ieee_underflow 0
		.amdhsa_exception_fp_ieee_inexact 0
		.amdhsa_exception_int_div_zero 0
	.end_amdhsa_kernel
	.section	.text._ZN7rocprim17ROCPRIM_400000_NS6detail17trampoline_kernelINS0_14default_configENS1_25partition_config_selectorILNS1_17partition_subalgoE5EyNS0_10empty_typeEbEEZZNS1_14partition_implILS5_5ELb0ES3_mN6thrust23THRUST_200600_302600_NS6detail15normal_iteratorINSA_10device_ptrIyEEEEPS6_NSA_18transform_iteratorINSB_9not_fun_tI7is_trueIyEEENSC_INSD_IbEEEENSA_11use_defaultESO_EENS0_5tupleIJSF_S6_EEENSQ_IJSG_SG_EEES6_PlJS6_EEE10hipError_tPvRmT3_T4_T5_T6_T7_T9_mT8_P12ihipStream_tbDpT10_ENKUlT_T0_E_clISt17integral_constantIbLb1EES1C_IbLb0EEEEDaS18_S19_EUlS18_E_NS1_11comp_targetILNS1_3genE9ELNS1_11target_archE1100ELNS1_3gpuE3ELNS1_3repE0EEENS1_30default_config_static_selectorELNS0_4arch9wavefront6targetE0EEEvT1_,"axG",@progbits,_ZN7rocprim17ROCPRIM_400000_NS6detail17trampoline_kernelINS0_14default_configENS1_25partition_config_selectorILNS1_17partition_subalgoE5EyNS0_10empty_typeEbEEZZNS1_14partition_implILS5_5ELb0ES3_mN6thrust23THRUST_200600_302600_NS6detail15normal_iteratorINSA_10device_ptrIyEEEEPS6_NSA_18transform_iteratorINSB_9not_fun_tI7is_trueIyEEENSC_INSD_IbEEEENSA_11use_defaultESO_EENS0_5tupleIJSF_S6_EEENSQ_IJSG_SG_EEES6_PlJS6_EEE10hipError_tPvRmT3_T4_T5_T6_T7_T9_mT8_P12ihipStream_tbDpT10_ENKUlT_T0_E_clISt17integral_constantIbLb1EES1C_IbLb0EEEEDaS18_S19_EUlS18_E_NS1_11comp_targetILNS1_3genE9ELNS1_11target_archE1100ELNS1_3gpuE3ELNS1_3repE0EEENS1_30default_config_static_selectorELNS0_4arch9wavefront6targetE0EEEvT1_,comdat
.Lfunc_end2419:
	.size	_ZN7rocprim17ROCPRIM_400000_NS6detail17trampoline_kernelINS0_14default_configENS1_25partition_config_selectorILNS1_17partition_subalgoE5EyNS0_10empty_typeEbEEZZNS1_14partition_implILS5_5ELb0ES3_mN6thrust23THRUST_200600_302600_NS6detail15normal_iteratorINSA_10device_ptrIyEEEEPS6_NSA_18transform_iteratorINSB_9not_fun_tI7is_trueIyEEENSC_INSD_IbEEEENSA_11use_defaultESO_EENS0_5tupleIJSF_S6_EEENSQ_IJSG_SG_EEES6_PlJS6_EEE10hipError_tPvRmT3_T4_T5_T6_T7_T9_mT8_P12ihipStream_tbDpT10_ENKUlT_T0_E_clISt17integral_constantIbLb1EES1C_IbLb0EEEEDaS18_S19_EUlS18_E_NS1_11comp_targetILNS1_3genE9ELNS1_11target_archE1100ELNS1_3gpuE3ELNS1_3repE0EEENS1_30default_config_static_selectorELNS0_4arch9wavefront6targetE0EEEvT1_, .Lfunc_end2419-_ZN7rocprim17ROCPRIM_400000_NS6detail17trampoline_kernelINS0_14default_configENS1_25partition_config_selectorILNS1_17partition_subalgoE5EyNS0_10empty_typeEbEEZZNS1_14partition_implILS5_5ELb0ES3_mN6thrust23THRUST_200600_302600_NS6detail15normal_iteratorINSA_10device_ptrIyEEEEPS6_NSA_18transform_iteratorINSB_9not_fun_tI7is_trueIyEEENSC_INSD_IbEEEENSA_11use_defaultESO_EENS0_5tupleIJSF_S6_EEENSQ_IJSG_SG_EEES6_PlJS6_EEE10hipError_tPvRmT3_T4_T5_T6_T7_T9_mT8_P12ihipStream_tbDpT10_ENKUlT_T0_E_clISt17integral_constantIbLb1EES1C_IbLb0EEEEDaS18_S19_EUlS18_E_NS1_11comp_targetILNS1_3genE9ELNS1_11target_archE1100ELNS1_3gpuE3ELNS1_3repE0EEENS1_30default_config_static_selectorELNS0_4arch9wavefront6targetE0EEEvT1_
                                        ; -- End function
	.set _ZN7rocprim17ROCPRIM_400000_NS6detail17trampoline_kernelINS0_14default_configENS1_25partition_config_selectorILNS1_17partition_subalgoE5EyNS0_10empty_typeEbEEZZNS1_14partition_implILS5_5ELb0ES3_mN6thrust23THRUST_200600_302600_NS6detail15normal_iteratorINSA_10device_ptrIyEEEEPS6_NSA_18transform_iteratorINSB_9not_fun_tI7is_trueIyEEENSC_INSD_IbEEEENSA_11use_defaultESO_EENS0_5tupleIJSF_S6_EEENSQ_IJSG_SG_EEES6_PlJS6_EEE10hipError_tPvRmT3_T4_T5_T6_T7_T9_mT8_P12ihipStream_tbDpT10_ENKUlT_T0_E_clISt17integral_constantIbLb1EES1C_IbLb0EEEEDaS18_S19_EUlS18_E_NS1_11comp_targetILNS1_3genE9ELNS1_11target_archE1100ELNS1_3gpuE3ELNS1_3repE0EEENS1_30default_config_static_selectorELNS0_4arch9wavefront6targetE0EEEvT1_.num_vgpr, 0
	.set _ZN7rocprim17ROCPRIM_400000_NS6detail17trampoline_kernelINS0_14default_configENS1_25partition_config_selectorILNS1_17partition_subalgoE5EyNS0_10empty_typeEbEEZZNS1_14partition_implILS5_5ELb0ES3_mN6thrust23THRUST_200600_302600_NS6detail15normal_iteratorINSA_10device_ptrIyEEEEPS6_NSA_18transform_iteratorINSB_9not_fun_tI7is_trueIyEEENSC_INSD_IbEEEENSA_11use_defaultESO_EENS0_5tupleIJSF_S6_EEENSQ_IJSG_SG_EEES6_PlJS6_EEE10hipError_tPvRmT3_T4_T5_T6_T7_T9_mT8_P12ihipStream_tbDpT10_ENKUlT_T0_E_clISt17integral_constantIbLb1EES1C_IbLb0EEEEDaS18_S19_EUlS18_E_NS1_11comp_targetILNS1_3genE9ELNS1_11target_archE1100ELNS1_3gpuE3ELNS1_3repE0EEENS1_30default_config_static_selectorELNS0_4arch9wavefront6targetE0EEEvT1_.num_agpr, 0
	.set _ZN7rocprim17ROCPRIM_400000_NS6detail17trampoline_kernelINS0_14default_configENS1_25partition_config_selectorILNS1_17partition_subalgoE5EyNS0_10empty_typeEbEEZZNS1_14partition_implILS5_5ELb0ES3_mN6thrust23THRUST_200600_302600_NS6detail15normal_iteratorINSA_10device_ptrIyEEEEPS6_NSA_18transform_iteratorINSB_9not_fun_tI7is_trueIyEEENSC_INSD_IbEEEENSA_11use_defaultESO_EENS0_5tupleIJSF_S6_EEENSQ_IJSG_SG_EEES6_PlJS6_EEE10hipError_tPvRmT3_T4_T5_T6_T7_T9_mT8_P12ihipStream_tbDpT10_ENKUlT_T0_E_clISt17integral_constantIbLb1EES1C_IbLb0EEEEDaS18_S19_EUlS18_E_NS1_11comp_targetILNS1_3genE9ELNS1_11target_archE1100ELNS1_3gpuE3ELNS1_3repE0EEENS1_30default_config_static_selectorELNS0_4arch9wavefront6targetE0EEEvT1_.numbered_sgpr, 0
	.set _ZN7rocprim17ROCPRIM_400000_NS6detail17trampoline_kernelINS0_14default_configENS1_25partition_config_selectorILNS1_17partition_subalgoE5EyNS0_10empty_typeEbEEZZNS1_14partition_implILS5_5ELb0ES3_mN6thrust23THRUST_200600_302600_NS6detail15normal_iteratorINSA_10device_ptrIyEEEEPS6_NSA_18transform_iteratorINSB_9not_fun_tI7is_trueIyEEENSC_INSD_IbEEEENSA_11use_defaultESO_EENS0_5tupleIJSF_S6_EEENSQ_IJSG_SG_EEES6_PlJS6_EEE10hipError_tPvRmT3_T4_T5_T6_T7_T9_mT8_P12ihipStream_tbDpT10_ENKUlT_T0_E_clISt17integral_constantIbLb1EES1C_IbLb0EEEEDaS18_S19_EUlS18_E_NS1_11comp_targetILNS1_3genE9ELNS1_11target_archE1100ELNS1_3gpuE3ELNS1_3repE0EEENS1_30default_config_static_selectorELNS0_4arch9wavefront6targetE0EEEvT1_.num_named_barrier, 0
	.set _ZN7rocprim17ROCPRIM_400000_NS6detail17trampoline_kernelINS0_14default_configENS1_25partition_config_selectorILNS1_17partition_subalgoE5EyNS0_10empty_typeEbEEZZNS1_14partition_implILS5_5ELb0ES3_mN6thrust23THRUST_200600_302600_NS6detail15normal_iteratorINSA_10device_ptrIyEEEEPS6_NSA_18transform_iteratorINSB_9not_fun_tI7is_trueIyEEENSC_INSD_IbEEEENSA_11use_defaultESO_EENS0_5tupleIJSF_S6_EEENSQ_IJSG_SG_EEES6_PlJS6_EEE10hipError_tPvRmT3_T4_T5_T6_T7_T9_mT8_P12ihipStream_tbDpT10_ENKUlT_T0_E_clISt17integral_constantIbLb1EES1C_IbLb0EEEEDaS18_S19_EUlS18_E_NS1_11comp_targetILNS1_3genE9ELNS1_11target_archE1100ELNS1_3gpuE3ELNS1_3repE0EEENS1_30default_config_static_selectorELNS0_4arch9wavefront6targetE0EEEvT1_.private_seg_size, 0
	.set _ZN7rocprim17ROCPRIM_400000_NS6detail17trampoline_kernelINS0_14default_configENS1_25partition_config_selectorILNS1_17partition_subalgoE5EyNS0_10empty_typeEbEEZZNS1_14partition_implILS5_5ELb0ES3_mN6thrust23THRUST_200600_302600_NS6detail15normal_iteratorINSA_10device_ptrIyEEEEPS6_NSA_18transform_iteratorINSB_9not_fun_tI7is_trueIyEEENSC_INSD_IbEEEENSA_11use_defaultESO_EENS0_5tupleIJSF_S6_EEENSQ_IJSG_SG_EEES6_PlJS6_EEE10hipError_tPvRmT3_T4_T5_T6_T7_T9_mT8_P12ihipStream_tbDpT10_ENKUlT_T0_E_clISt17integral_constantIbLb1EES1C_IbLb0EEEEDaS18_S19_EUlS18_E_NS1_11comp_targetILNS1_3genE9ELNS1_11target_archE1100ELNS1_3gpuE3ELNS1_3repE0EEENS1_30default_config_static_selectorELNS0_4arch9wavefront6targetE0EEEvT1_.uses_vcc, 0
	.set _ZN7rocprim17ROCPRIM_400000_NS6detail17trampoline_kernelINS0_14default_configENS1_25partition_config_selectorILNS1_17partition_subalgoE5EyNS0_10empty_typeEbEEZZNS1_14partition_implILS5_5ELb0ES3_mN6thrust23THRUST_200600_302600_NS6detail15normal_iteratorINSA_10device_ptrIyEEEEPS6_NSA_18transform_iteratorINSB_9not_fun_tI7is_trueIyEEENSC_INSD_IbEEEENSA_11use_defaultESO_EENS0_5tupleIJSF_S6_EEENSQ_IJSG_SG_EEES6_PlJS6_EEE10hipError_tPvRmT3_T4_T5_T6_T7_T9_mT8_P12ihipStream_tbDpT10_ENKUlT_T0_E_clISt17integral_constantIbLb1EES1C_IbLb0EEEEDaS18_S19_EUlS18_E_NS1_11comp_targetILNS1_3genE9ELNS1_11target_archE1100ELNS1_3gpuE3ELNS1_3repE0EEENS1_30default_config_static_selectorELNS0_4arch9wavefront6targetE0EEEvT1_.uses_flat_scratch, 0
	.set _ZN7rocprim17ROCPRIM_400000_NS6detail17trampoline_kernelINS0_14default_configENS1_25partition_config_selectorILNS1_17partition_subalgoE5EyNS0_10empty_typeEbEEZZNS1_14partition_implILS5_5ELb0ES3_mN6thrust23THRUST_200600_302600_NS6detail15normal_iteratorINSA_10device_ptrIyEEEEPS6_NSA_18transform_iteratorINSB_9not_fun_tI7is_trueIyEEENSC_INSD_IbEEEENSA_11use_defaultESO_EENS0_5tupleIJSF_S6_EEENSQ_IJSG_SG_EEES6_PlJS6_EEE10hipError_tPvRmT3_T4_T5_T6_T7_T9_mT8_P12ihipStream_tbDpT10_ENKUlT_T0_E_clISt17integral_constantIbLb1EES1C_IbLb0EEEEDaS18_S19_EUlS18_E_NS1_11comp_targetILNS1_3genE9ELNS1_11target_archE1100ELNS1_3gpuE3ELNS1_3repE0EEENS1_30default_config_static_selectorELNS0_4arch9wavefront6targetE0EEEvT1_.has_dyn_sized_stack, 0
	.set _ZN7rocprim17ROCPRIM_400000_NS6detail17trampoline_kernelINS0_14default_configENS1_25partition_config_selectorILNS1_17partition_subalgoE5EyNS0_10empty_typeEbEEZZNS1_14partition_implILS5_5ELb0ES3_mN6thrust23THRUST_200600_302600_NS6detail15normal_iteratorINSA_10device_ptrIyEEEEPS6_NSA_18transform_iteratorINSB_9not_fun_tI7is_trueIyEEENSC_INSD_IbEEEENSA_11use_defaultESO_EENS0_5tupleIJSF_S6_EEENSQ_IJSG_SG_EEES6_PlJS6_EEE10hipError_tPvRmT3_T4_T5_T6_T7_T9_mT8_P12ihipStream_tbDpT10_ENKUlT_T0_E_clISt17integral_constantIbLb1EES1C_IbLb0EEEEDaS18_S19_EUlS18_E_NS1_11comp_targetILNS1_3genE9ELNS1_11target_archE1100ELNS1_3gpuE3ELNS1_3repE0EEENS1_30default_config_static_selectorELNS0_4arch9wavefront6targetE0EEEvT1_.has_recursion, 0
	.set _ZN7rocprim17ROCPRIM_400000_NS6detail17trampoline_kernelINS0_14default_configENS1_25partition_config_selectorILNS1_17partition_subalgoE5EyNS0_10empty_typeEbEEZZNS1_14partition_implILS5_5ELb0ES3_mN6thrust23THRUST_200600_302600_NS6detail15normal_iteratorINSA_10device_ptrIyEEEEPS6_NSA_18transform_iteratorINSB_9not_fun_tI7is_trueIyEEENSC_INSD_IbEEEENSA_11use_defaultESO_EENS0_5tupleIJSF_S6_EEENSQ_IJSG_SG_EEES6_PlJS6_EEE10hipError_tPvRmT3_T4_T5_T6_T7_T9_mT8_P12ihipStream_tbDpT10_ENKUlT_T0_E_clISt17integral_constantIbLb1EES1C_IbLb0EEEEDaS18_S19_EUlS18_E_NS1_11comp_targetILNS1_3genE9ELNS1_11target_archE1100ELNS1_3gpuE3ELNS1_3repE0EEENS1_30default_config_static_selectorELNS0_4arch9wavefront6targetE0EEEvT1_.has_indirect_call, 0
	.section	.AMDGPU.csdata,"",@progbits
; Kernel info:
; codeLenInByte = 0
; TotalNumSgprs: 0
; NumVgprs: 0
; ScratchSize: 0
; MemoryBound: 0
; FloatMode: 240
; IeeeMode: 1
; LDSByteSize: 0 bytes/workgroup (compile time only)
; SGPRBlocks: 0
; VGPRBlocks: 0
; NumSGPRsForWavesPerEU: 1
; NumVGPRsForWavesPerEU: 1
; Occupancy: 16
; WaveLimiterHint : 0
; COMPUTE_PGM_RSRC2:SCRATCH_EN: 0
; COMPUTE_PGM_RSRC2:USER_SGPR: 2
; COMPUTE_PGM_RSRC2:TRAP_HANDLER: 0
; COMPUTE_PGM_RSRC2:TGID_X_EN: 1
; COMPUTE_PGM_RSRC2:TGID_Y_EN: 0
; COMPUTE_PGM_RSRC2:TGID_Z_EN: 0
; COMPUTE_PGM_RSRC2:TIDIG_COMP_CNT: 0
	.section	.text._ZN7rocprim17ROCPRIM_400000_NS6detail17trampoline_kernelINS0_14default_configENS1_25partition_config_selectorILNS1_17partition_subalgoE5EyNS0_10empty_typeEbEEZZNS1_14partition_implILS5_5ELb0ES3_mN6thrust23THRUST_200600_302600_NS6detail15normal_iteratorINSA_10device_ptrIyEEEEPS6_NSA_18transform_iteratorINSB_9not_fun_tI7is_trueIyEEENSC_INSD_IbEEEENSA_11use_defaultESO_EENS0_5tupleIJSF_S6_EEENSQ_IJSG_SG_EEES6_PlJS6_EEE10hipError_tPvRmT3_T4_T5_T6_T7_T9_mT8_P12ihipStream_tbDpT10_ENKUlT_T0_E_clISt17integral_constantIbLb1EES1C_IbLb0EEEEDaS18_S19_EUlS18_E_NS1_11comp_targetILNS1_3genE8ELNS1_11target_archE1030ELNS1_3gpuE2ELNS1_3repE0EEENS1_30default_config_static_selectorELNS0_4arch9wavefront6targetE0EEEvT1_,"axG",@progbits,_ZN7rocprim17ROCPRIM_400000_NS6detail17trampoline_kernelINS0_14default_configENS1_25partition_config_selectorILNS1_17partition_subalgoE5EyNS0_10empty_typeEbEEZZNS1_14partition_implILS5_5ELb0ES3_mN6thrust23THRUST_200600_302600_NS6detail15normal_iteratorINSA_10device_ptrIyEEEEPS6_NSA_18transform_iteratorINSB_9not_fun_tI7is_trueIyEEENSC_INSD_IbEEEENSA_11use_defaultESO_EENS0_5tupleIJSF_S6_EEENSQ_IJSG_SG_EEES6_PlJS6_EEE10hipError_tPvRmT3_T4_T5_T6_T7_T9_mT8_P12ihipStream_tbDpT10_ENKUlT_T0_E_clISt17integral_constantIbLb1EES1C_IbLb0EEEEDaS18_S19_EUlS18_E_NS1_11comp_targetILNS1_3genE8ELNS1_11target_archE1030ELNS1_3gpuE2ELNS1_3repE0EEENS1_30default_config_static_selectorELNS0_4arch9wavefront6targetE0EEEvT1_,comdat
	.protected	_ZN7rocprim17ROCPRIM_400000_NS6detail17trampoline_kernelINS0_14default_configENS1_25partition_config_selectorILNS1_17partition_subalgoE5EyNS0_10empty_typeEbEEZZNS1_14partition_implILS5_5ELb0ES3_mN6thrust23THRUST_200600_302600_NS6detail15normal_iteratorINSA_10device_ptrIyEEEEPS6_NSA_18transform_iteratorINSB_9not_fun_tI7is_trueIyEEENSC_INSD_IbEEEENSA_11use_defaultESO_EENS0_5tupleIJSF_S6_EEENSQ_IJSG_SG_EEES6_PlJS6_EEE10hipError_tPvRmT3_T4_T5_T6_T7_T9_mT8_P12ihipStream_tbDpT10_ENKUlT_T0_E_clISt17integral_constantIbLb1EES1C_IbLb0EEEEDaS18_S19_EUlS18_E_NS1_11comp_targetILNS1_3genE8ELNS1_11target_archE1030ELNS1_3gpuE2ELNS1_3repE0EEENS1_30default_config_static_selectorELNS0_4arch9wavefront6targetE0EEEvT1_ ; -- Begin function _ZN7rocprim17ROCPRIM_400000_NS6detail17trampoline_kernelINS0_14default_configENS1_25partition_config_selectorILNS1_17partition_subalgoE5EyNS0_10empty_typeEbEEZZNS1_14partition_implILS5_5ELb0ES3_mN6thrust23THRUST_200600_302600_NS6detail15normal_iteratorINSA_10device_ptrIyEEEEPS6_NSA_18transform_iteratorINSB_9not_fun_tI7is_trueIyEEENSC_INSD_IbEEEENSA_11use_defaultESO_EENS0_5tupleIJSF_S6_EEENSQ_IJSG_SG_EEES6_PlJS6_EEE10hipError_tPvRmT3_T4_T5_T6_T7_T9_mT8_P12ihipStream_tbDpT10_ENKUlT_T0_E_clISt17integral_constantIbLb1EES1C_IbLb0EEEEDaS18_S19_EUlS18_E_NS1_11comp_targetILNS1_3genE8ELNS1_11target_archE1030ELNS1_3gpuE2ELNS1_3repE0EEENS1_30default_config_static_selectorELNS0_4arch9wavefront6targetE0EEEvT1_
	.globl	_ZN7rocprim17ROCPRIM_400000_NS6detail17trampoline_kernelINS0_14default_configENS1_25partition_config_selectorILNS1_17partition_subalgoE5EyNS0_10empty_typeEbEEZZNS1_14partition_implILS5_5ELb0ES3_mN6thrust23THRUST_200600_302600_NS6detail15normal_iteratorINSA_10device_ptrIyEEEEPS6_NSA_18transform_iteratorINSB_9not_fun_tI7is_trueIyEEENSC_INSD_IbEEEENSA_11use_defaultESO_EENS0_5tupleIJSF_S6_EEENSQ_IJSG_SG_EEES6_PlJS6_EEE10hipError_tPvRmT3_T4_T5_T6_T7_T9_mT8_P12ihipStream_tbDpT10_ENKUlT_T0_E_clISt17integral_constantIbLb1EES1C_IbLb0EEEEDaS18_S19_EUlS18_E_NS1_11comp_targetILNS1_3genE8ELNS1_11target_archE1030ELNS1_3gpuE2ELNS1_3repE0EEENS1_30default_config_static_selectorELNS0_4arch9wavefront6targetE0EEEvT1_
	.p2align	8
	.type	_ZN7rocprim17ROCPRIM_400000_NS6detail17trampoline_kernelINS0_14default_configENS1_25partition_config_selectorILNS1_17partition_subalgoE5EyNS0_10empty_typeEbEEZZNS1_14partition_implILS5_5ELb0ES3_mN6thrust23THRUST_200600_302600_NS6detail15normal_iteratorINSA_10device_ptrIyEEEEPS6_NSA_18transform_iteratorINSB_9not_fun_tI7is_trueIyEEENSC_INSD_IbEEEENSA_11use_defaultESO_EENS0_5tupleIJSF_S6_EEENSQ_IJSG_SG_EEES6_PlJS6_EEE10hipError_tPvRmT3_T4_T5_T6_T7_T9_mT8_P12ihipStream_tbDpT10_ENKUlT_T0_E_clISt17integral_constantIbLb1EES1C_IbLb0EEEEDaS18_S19_EUlS18_E_NS1_11comp_targetILNS1_3genE8ELNS1_11target_archE1030ELNS1_3gpuE2ELNS1_3repE0EEENS1_30default_config_static_selectorELNS0_4arch9wavefront6targetE0EEEvT1_,@function
_ZN7rocprim17ROCPRIM_400000_NS6detail17trampoline_kernelINS0_14default_configENS1_25partition_config_selectorILNS1_17partition_subalgoE5EyNS0_10empty_typeEbEEZZNS1_14partition_implILS5_5ELb0ES3_mN6thrust23THRUST_200600_302600_NS6detail15normal_iteratorINSA_10device_ptrIyEEEEPS6_NSA_18transform_iteratorINSB_9not_fun_tI7is_trueIyEEENSC_INSD_IbEEEENSA_11use_defaultESO_EENS0_5tupleIJSF_S6_EEENSQ_IJSG_SG_EEES6_PlJS6_EEE10hipError_tPvRmT3_T4_T5_T6_T7_T9_mT8_P12ihipStream_tbDpT10_ENKUlT_T0_E_clISt17integral_constantIbLb1EES1C_IbLb0EEEEDaS18_S19_EUlS18_E_NS1_11comp_targetILNS1_3genE8ELNS1_11target_archE1030ELNS1_3gpuE2ELNS1_3repE0EEENS1_30default_config_static_selectorELNS0_4arch9wavefront6targetE0EEEvT1_: ; @_ZN7rocprim17ROCPRIM_400000_NS6detail17trampoline_kernelINS0_14default_configENS1_25partition_config_selectorILNS1_17partition_subalgoE5EyNS0_10empty_typeEbEEZZNS1_14partition_implILS5_5ELb0ES3_mN6thrust23THRUST_200600_302600_NS6detail15normal_iteratorINSA_10device_ptrIyEEEEPS6_NSA_18transform_iteratorINSB_9not_fun_tI7is_trueIyEEENSC_INSD_IbEEEENSA_11use_defaultESO_EENS0_5tupleIJSF_S6_EEENSQ_IJSG_SG_EEES6_PlJS6_EEE10hipError_tPvRmT3_T4_T5_T6_T7_T9_mT8_P12ihipStream_tbDpT10_ENKUlT_T0_E_clISt17integral_constantIbLb1EES1C_IbLb0EEEEDaS18_S19_EUlS18_E_NS1_11comp_targetILNS1_3genE8ELNS1_11target_archE1030ELNS1_3gpuE2ELNS1_3repE0EEENS1_30default_config_static_selectorELNS0_4arch9wavefront6targetE0EEEvT1_
; %bb.0:
	.section	.rodata,"a",@progbits
	.p2align	6, 0x0
	.amdhsa_kernel _ZN7rocprim17ROCPRIM_400000_NS6detail17trampoline_kernelINS0_14default_configENS1_25partition_config_selectorILNS1_17partition_subalgoE5EyNS0_10empty_typeEbEEZZNS1_14partition_implILS5_5ELb0ES3_mN6thrust23THRUST_200600_302600_NS6detail15normal_iteratorINSA_10device_ptrIyEEEEPS6_NSA_18transform_iteratorINSB_9not_fun_tI7is_trueIyEEENSC_INSD_IbEEEENSA_11use_defaultESO_EENS0_5tupleIJSF_S6_EEENSQ_IJSG_SG_EEES6_PlJS6_EEE10hipError_tPvRmT3_T4_T5_T6_T7_T9_mT8_P12ihipStream_tbDpT10_ENKUlT_T0_E_clISt17integral_constantIbLb1EES1C_IbLb0EEEEDaS18_S19_EUlS18_E_NS1_11comp_targetILNS1_3genE8ELNS1_11target_archE1030ELNS1_3gpuE2ELNS1_3repE0EEENS1_30default_config_static_selectorELNS0_4arch9wavefront6targetE0EEEvT1_
		.amdhsa_group_segment_fixed_size 0
		.amdhsa_private_segment_fixed_size 0
		.amdhsa_kernarg_size 120
		.amdhsa_user_sgpr_count 2
		.amdhsa_user_sgpr_dispatch_ptr 0
		.amdhsa_user_sgpr_queue_ptr 0
		.amdhsa_user_sgpr_kernarg_segment_ptr 1
		.amdhsa_user_sgpr_dispatch_id 0
		.amdhsa_user_sgpr_private_segment_size 0
		.amdhsa_wavefront_size32 1
		.amdhsa_uses_dynamic_stack 0
		.amdhsa_enable_private_segment 0
		.amdhsa_system_sgpr_workgroup_id_x 1
		.amdhsa_system_sgpr_workgroup_id_y 0
		.amdhsa_system_sgpr_workgroup_id_z 0
		.amdhsa_system_sgpr_workgroup_info 0
		.amdhsa_system_vgpr_workitem_id 0
		.amdhsa_next_free_vgpr 1
		.amdhsa_next_free_sgpr 1
		.amdhsa_reserve_vcc 0
		.amdhsa_float_round_mode_32 0
		.amdhsa_float_round_mode_16_64 0
		.amdhsa_float_denorm_mode_32 3
		.amdhsa_float_denorm_mode_16_64 3
		.amdhsa_fp16_overflow 0
		.amdhsa_workgroup_processor_mode 1
		.amdhsa_memory_ordered 1
		.amdhsa_forward_progress 1
		.amdhsa_inst_pref_size 0
		.amdhsa_round_robin_scheduling 0
		.amdhsa_exception_fp_ieee_invalid_op 0
		.amdhsa_exception_fp_denorm_src 0
		.amdhsa_exception_fp_ieee_div_zero 0
		.amdhsa_exception_fp_ieee_overflow 0
		.amdhsa_exception_fp_ieee_underflow 0
		.amdhsa_exception_fp_ieee_inexact 0
		.amdhsa_exception_int_div_zero 0
	.end_amdhsa_kernel
	.section	.text._ZN7rocprim17ROCPRIM_400000_NS6detail17trampoline_kernelINS0_14default_configENS1_25partition_config_selectorILNS1_17partition_subalgoE5EyNS0_10empty_typeEbEEZZNS1_14partition_implILS5_5ELb0ES3_mN6thrust23THRUST_200600_302600_NS6detail15normal_iteratorINSA_10device_ptrIyEEEEPS6_NSA_18transform_iteratorINSB_9not_fun_tI7is_trueIyEEENSC_INSD_IbEEEENSA_11use_defaultESO_EENS0_5tupleIJSF_S6_EEENSQ_IJSG_SG_EEES6_PlJS6_EEE10hipError_tPvRmT3_T4_T5_T6_T7_T9_mT8_P12ihipStream_tbDpT10_ENKUlT_T0_E_clISt17integral_constantIbLb1EES1C_IbLb0EEEEDaS18_S19_EUlS18_E_NS1_11comp_targetILNS1_3genE8ELNS1_11target_archE1030ELNS1_3gpuE2ELNS1_3repE0EEENS1_30default_config_static_selectorELNS0_4arch9wavefront6targetE0EEEvT1_,"axG",@progbits,_ZN7rocprim17ROCPRIM_400000_NS6detail17trampoline_kernelINS0_14default_configENS1_25partition_config_selectorILNS1_17partition_subalgoE5EyNS0_10empty_typeEbEEZZNS1_14partition_implILS5_5ELb0ES3_mN6thrust23THRUST_200600_302600_NS6detail15normal_iteratorINSA_10device_ptrIyEEEEPS6_NSA_18transform_iteratorINSB_9not_fun_tI7is_trueIyEEENSC_INSD_IbEEEENSA_11use_defaultESO_EENS0_5tupleIJSF_S6_EEENSQ_IJSG_SG_EEES6_PlJS6_EEE10hipError_tPvRmT3_T4_T5_T6_T7_T9_mT8_P12ihipStream_tbDpT10_ENKUlT_T0_E_clISt17integral_constantIbLb1EES1C_IbLb0EEEEDaS18_S19_EUlS18_E_NS1_11comp_targetILNS1_3genE8ELNS1_11target_archE1030ELNS1_3gpuE2ELNS1_3repE0EEENS1_30default_config_static_selectorELNS0_4arch9wavefront6targetE0EEEvT1_,comdat
.Lfunc_end2420:
	.size	_ZN7rocprim17ROCPRIM_400000_NS6detail17trampoline_kernelINS0_14default_configENS1_25partition_config_selectorILNS1_17partition_subalgoE5EyNS0_10empty_typeEbEEZZNS1_14partition_implILS5_5ELb0ES3_mN6thrust23THRUST_200600_302600_NS6detail15normal_iteratorINSA_10device_ptrIyEEEEPS6_NSA_18transform_iteratorINSB_9not_fun_tI7is_trueIyEEENSC_INSD_IbEEEENSA_11use_defaultESO_EENS0_5tupleIJSF_S6_EEENSQ_IJSG_SG_EEES6_PlJS6_EEE10hipError_tPvRmT3_T4_T5_T6_T7_T9_mT8_P12ihipStream_tbDpT10_ENKUlT_T0_E_clISt17integral_constantIbLb1EES1C_IbLb0EEEEDaS18_S19_EUlS18_E_NS1_11comp_targetILNS1_3genE8ELNS1_11target_archE1030ELNS1_3gpuE2ELNS1_3repE0EEENS1_30default_config_static_selectorELNS0_4arch9wavefront6targetE0EEEvT1_, .Lfunc_end2420-_ZN7rocprim17ROCPRIM_400000_NS6detail17trampoline_kernelINS0_14default_configENS1_25partition_config_selectorILNS1_17partition_subalgoE5EyNS0_10empty_typeEbEEZZNS1_14partition_implILS5_5ELb0ES3_mN6thrust23THRUST_200600_302600_NS6detail15normal_iteratorINSA_10device_ptrIyEEEEPS6_NSA_18transform_iteratorINSB_9not_fun_tI7is_trueIyEEENSC_INSD_IbEEEENSA_11use_defaultESO_EENS0_5tupleIJSF_S6_EEENSQ_IJSG_SG_EEES6_PlJS6_EEE10hipError_tPvRmT3_T4_T5_T6_T7_T9_mT8_P12ihipStream_tbDpT10_ENKUlT_T0_E_clISt17integral_constantIbLb1EES1C_IbLb0EEEEDaS18_S19_EUlS18_E_NS1_11comp_targetILNS1_3genE8ELNS1_11target_archE1030ELNS1_3gpuE2ELNS1_3repE0EEENS1_30default_config_static_selectorELNS0_4arch9wavefront6targetE0EEEvT1_
                                        ; -- End function
	.set _ZN7rocprim17ROCPRIM_400000_NS6detail17trampoline_kernelINS0_14default_configENS1_25partition_config_selectorILNS1_17partition_subalgoE5EyNS0_10empty_typeEbEEZZNS1_14partition_implILS5_5ELb0ES3_mN6thrust23THRUST_200600_302600_NS6detail15normal_iteratorINSA_10device_ptrIyEEEEPS6_NSA_18transform_iteratorINSB_9not_fun_tI7is_trueIyEEENSC_INSD_IbEEEENSA_11use_defaultESO_EENS0_5tupleIJSF_S6_EEENSQ_IJSG_SG_EEES6_PlJS6_EEE10hipError_tPvRmT3_T4_T5_T6_T7_T9_mT8_P12ihipStream_tbDpT10_ENKUlT_T0_E_clISt17integral_constantIbLb1EES1C_IbLb0EEEEDaS18_S19_EUlS18_E_NS1_11comp_targetILNS1_3genE8ELNS1_11target_archE1030ELNS1_3gpuE2ELNS1_3repE0EEENS1_30default_config_static_selectorELNS0_4arch9wavefront6targetE0EEEvT1_.num_vgpr, 0
	.set _ZN7rocprim17ROCPRIM_400000_NS6detail17trampoline_kernelINS0_14default_configENS1_25partition_config_selectorILNS1_17partition_subalgoE5EyNS0_10empty_typeEbEEZZNS1_14partition_implILS5_5ELb0ES3_mN6thrust23THRUST_200600_302600_NS6detail15normal_iteratorINSA_10device_ptrIyEEEEPS6_NSA_18transform_iteratorINSB_9not_fun_tI7is_trueIyEEENSC_INSD_IbEEEENSA_11use_defaultESO_EENS0_5tupleIJSF_S6_EEENSQ_IJSG_SG_EEES6_PlJS6_EEE10hipError_tPvRmT3_T4_T5_T6_T7_T9_mT8_P12ihipStream_tbDpT10_ENKUlT_T0_E_clISt17integral_constantIbLb1EES1C_IbLb0EEEEDaS18_S19_EUlS18_E_NS1_11comp_targetILNS1_3genE8ELNS1_11target_archE1030ELNS1_3gpuE2ELNS1_3repE0EEENS1_30default_config_static_selectorELNS0_4arch9wavefront6targetE0EEEvT1_.num_agpr, 0
	.set _ZN7rocprim17ROCPRIM_400000_NS6detail17trampoline_kernelINS0_14default_configENS1_25partition_config_selectorILNS1_17partition_subalgoE5EyNS0_10empty_typeEbEEZZNS1_14partition_implILS5_5ELb0ES3_mN6thrust23THRUST_200600_302600_NS6detail15normal_iteratorINSA_10device_ptrIyEEEEPS6_NSA_18transform_iteratorINSB_9not_fun_tI7is_trueIyEEENSC_INSD_IbEEEENSA_11use_defaultESO_EENS0_5tupleIJSF_S6_EEENSQ_IJSG_SG_EEES6_PlJS6_EEE10hipError_tPvRmT3_T4_T5_T6_T7_T9_mT8_P12ihipStream_tbDpT10_ENKUlT_T0_E_clISt17integral_constantIbLb1EES1C_IbLb0EEEEDaS18_S19_EUlS18_E_NS1_11comp_targetILNS1_3genE8ELNS1_11target_archE1030ELNS1_3gpuE2ELNS1_3repE0EEENS1_30default_config_static_selectorELNS0_4arch9wavefront6targetE0EEEvT1_.numbered_sgpr, 0
	.set _ZN7rocprim17ROCPRIM_400000_NS6detail17trampoline_kernelINS0_14default_configENS1_25partition_config_selectorILNS1_17partition_subalgoE5EyNS0_10empty_typeEbEEZZNS1_14partition_implILS5_5ELb0ES3_mN6thrust23THRUST_200600_302600_NS6detail15normal_iteratorINSA_10device_ptrIyEEEEPS6_NSA_18transform_iteratorINSB_9not_fun_tI7is_trueIyEEENSC_INSD_IbEEEENSA_11use_defaultESO_EENS0_5tupleIJSF_S6_EEENSQ_IJSG_SG_EEES6_PlJS6_EEE10hipError_tPvRmT3_T4_T5_T6_T7_T9_mT8_P12ihipStream_tbDpT10_ENKUlT_T0_E_clISt17integral_constantIbLb1EES1C_IbLb0EEEEDaS18_S19_EUlS18_E_NS1_11comp_targetILNS1_3genE8ELNS1_11target_archE1030ELNS1_3gpuE2ELNS1_3repE0EEENS1_30default_config_static_selectorELNS0_4arch9wavefront6targetE0EEEvT1_.num_named_barrier, 0
	.set _ZN7rocprim17ROCPRIM_400000_NS6detail17trampoline_kernelINS0_14default_configENS1_25partition_config_selectorILNS1_17partition_subalgoE5EyNS0_10empty_typeEbEEZZNS1_14partition_implILS5_5ELb0ES3_mN6thrust23THRUST_200600_302600_NS6detail15normal_iteratorINSA_10device_ptrIyEEEEPS6_NSA_18transform_iteratorINSB_9not_fun_tI7is_trueIyEEENSC_INSD_IbEEEENSA_11use_defaultESO_EENS0_5tupleIJSF_S6_EEENSQ_IJSG_SG_EEES6_PlJS6_EEE10hipError_tPvRmT3_T4_T5_T6_T7_T9_mT8_P12ihipStream_tbDpT10_ENKUlT_T0_E_clISt17integral_constantIbLb1EES1C_IbLb0EEEEDaS18_S19_EUlS18_E_NS1_11comp_targetILNS1_3genE8ELNS1_11target_archE1030ELNS1_3gpuE2ELNS1_3repE0EEENS1_30default_config_static_selectorELNS0_4arch9wavefront6targetE0EEEvT1_.private_seg_size, 0
	.set _ZN7rocprim17ROCPRIM_400000_NS6detail17trampoline_kernelINS0_14default_configENS1_25partition_config_selectorILNS1_17partition_subalgoE5EyNS0_10empty_typeEbEEZZNS1_14partition_implILS5_5ELb0ES3_mN6thrust23THRUST_200600_302600_NS6detail15normal_iteratorINSA_10device_ptrIyEEEEPS6_NSA_18transform_iteratorINSB_9not_fun_tI7is_trueIyEEENSC_INSD_IbEEEENSA_11use_defaultESO_EENS0_5tupleIJSF_S6_EEENSQ_IJSG_SG_EEES6_PlJS6_EEE10hipError_tPvRmT3_T4_T5_T6_T7_T9_mT8_P12ihipStream_tbDpT10_ENKUlT_T0_E_clISt17integral_constantIbLb1EES1C_IbLb0EEEEDaS18_S19_EUlS18_E_NS1_11comp_targetILNS1_3genE8ELNS1_11target_archE1030ELNS1_3gpuE2ELNS1_3repE0EEENS1_30default_config_static_selectorELNS0_4arch9wavefront6targetE0EEEvT1_.uses_vcc, 0
	.set _ZN7rocprim17ROCPRIM_400000_NS6detail17trampoline_kernelINS0_14default_configENS1_25partition_config_selectorILNS1_17partition_subalgoE5EyNS0_10empty_typeEbEEZZNS1_14partition_implILS5_5ELb0ES3_mN6thrust23THRUST_200600_302600_NS6detail15normal_iteratorINSA_10device_ptrIyEEEEPS6_NSA_18transform_iteratorINSB_9not_fun_tI7is_trueIyEEENSC_INSD_IbEEEENSA_11use_defaultESO_EENS0_5tupleIJSF_S6_EEENSQ_IJSG_SG_EEES6_PlJS6_EEE10hipError_tPvRmT3_T4_T5_T6_T7_T9_mT8_P12ihipStream_tbDpT10_ENKUlT_T0_E_clISt17integral_constantIbLb1EES1C_IbLb0EEEEDaS18_S19_EUlS18_E_NS1_11comp_targetILNS1_3genE8ELNS1_11target_archE1030ELNS1_3gpuE2ELNS1_3repE0EEENS1_30default_config_static_selectorELNS0_4arch9wavefront6targetE0EEEvT1_.uses_flat_scratch, 0
	.set _ZN7rocprim17ROCPRIM_400000_NS6detail17trampoline_kernelINS0_14default_configENS1_25partition_config_selectorILNS1_17partition_subalgoE5EyNS0_10empty_typeEbEEZZNS1_14partition_implILS5_5ELb0ES3_mN6thrust23THRUST_200600_302600_NS6detail15normal_iteratorINSA_10device_ptrIyEEEEPS6_NSA_18transform_iteratorINSB_9not_fun_tI7is_trueIyEEENSC_INSD_IbEEEENSA_11use_defaultESO_EENS0_5tupleIJSF_S6_EEENSQ_IJSG_SG_EEES6_PlJS6_EEE10hipError_tPvRmT3_T4_T5_T6_T7_T9_mT8_P12ihipStream_tbDpT10_ENKUlT_T0_E_clISt17integral_constantIbLb1EES1C_IbLb0EEEEDaS18_S19_EUlS18_E_NS1_11comp_targetILNS1_3genE8ELNS1_11target_archE1030ELNS1_3gpuE2ELNS1_3repE0EEENS1_30default_config_static_selectorELNS0_4arch9wavefront6targetE0EEEvT1_.has_dyn_sized_stack, 0
	.set _ZN7rocprim17ROCPRIM_400000_NS6detail17trampoline_kernelINS0_14default_configENS1_25partition_config_selectorILNS1_17partition_subalgoE5EyNS0_10empty_typeEbEEZZNS1_14partition_implILS5_5ELb0ES3_mN6thrust23THRUST_200600_302600_NS6detail15normal_iteratorINSA_10device_ptrIyEEEEPS6_NSA_18transform_iteratorINSB_9not_fun_tI7is_trueIyEEENSC_INSD_IbEEEENSA_11use_defaultESO_EENS0_5tupleIJSF_S6_EEENSQ_IJSG_SG_EEES6_PlJS6_EEE10hipError_tPvRmT3_T4_T5_T6_T7_T9_mT8_P12ihipStream_tbDpT10_ENKUlT_T0_E_clISt17integral_constantIbLb1EES1C_IbLb0EEEEDaS18_S19_EUlS18_E_NS1_11comp_targetILNS1_3genE8ELNS1_11target_archE1030ELNS1_3gpuE2ELNS1_3repE0EEENS1_30default_config_static_selectorELNS0_4arch9wavefront6targetE0EEEvT1_.has_recursion, 0
	.set _ZN7rocprim17ROCPRIM_400000_NS6detail17trampoline_kernelINS0_14default_configENS1_25partition_config_selectorILNS1_17partition_subalgoE5EyNS0_10empty_typeEbEEZZNS1_14partition_implILS5_5ELb0ES3_mN6thrust23THRUST_200600_302600_NS6detail15normal_iteratorINSA_10device_ptrIyEEEEPS6_NSA_18transform_iteratorINSB_9not_fun_tI7is_trueIyEEENSC_INSD_IbEEEENSA_11use_defaultESO_EENS0_5tupleIJSF_S6_EEENSQ_IJSG_SG_EEES6_PlJS6_EEE10hipError_tPvRmT3_T4_T5_T6_T7_T9_mT8_P12ihipStream_tbDpT10_ENKUlT_T0_E_clISt17integral_constantIbLb1EES1C_IbLb0EEEEDaS18_S19_EUlS18_E_NS1_11comp_targetILNS1_3genE8ELNS1_11target_archE1030ELNS1_3gpuE2ELNS1_3repE0EEENS1_30default_config_static_selectorELNS0_4arch9wavefront6targetE0EEEvT1_.has_indirect_call, 0
	.section	.AMDGPU.csdata,"",@progbits
; Kernel info:
; codeLenInByte = 0
; TotalNumSgprs: 0
; NumVgprs: 0
; ScratchSize: 0
; MemoryBound: 0
; FloatMode: 240
; IeeeMode: 1
; LDSByteSize: 0 bytes/workgroup (compile time only)
; SGPRBlocks: 0
; VGPRBlocks: 0
; NumSGPRsForWavesPerEU: 1
; NumVGPRsForWavesPerEU: 1
; Occupancy: 16
; WaveLimiterHint : 0
; COMPUTE_PGM_RSRC2:SCRATCH_EN: 0
; COMPUTE_PGM_RSRC2:USER_SGPR: 2
; COMPUTE_PGM_RSRC2:TRAP_HANDLER: 0
; COMPUTE_PGM_RSRC2:TGID_X_EN: 1
; COMPUTE_PGM_RSRC2:TGID_Y_EN: 0
; COMPUTE_PGM_RSRC2:TGID_Z_EN: 0
; COMPUTE_PGM_RSRC2:TIDIG_COMP_CNT: 0
	.section	.text._ZN7rocprim17ROCPRIM_400000_NS6detail17trampoline_kernelINS0_14default_configENS1_25partition_config_selectorILNS1_17partition_subalgoE5EyNS0_10empty_typeEbEEZZNS1_14partition_implILS5_5ELb0ES3_mN6thrust23THRUST_200600_302600_NS6detail15normal_iteratorINSA_10device_ptrIyEEEEPS6_NSA_18transform_iteratorINSB_9not_fun_tI7is_trueIyEEENSC_INSD_IbEEEENSA_11use_defaultESO_EENS0_5tupleIJSF_S6_EEENSQ_IJSG_SG_EEES6_PlJS6_EEE10hipError_tPvRmT3_T4_T5_T6_T7_T9_mT8_P12ihipStream_tbDpT10_ENKUlT_T0_E_clISt17integral_constantIbLb0EES1C_IbLb1EEEEDaS18_S19_EUlS18_E_NS1_11comp_targetILNS1_3genE0ELNS1_11target_archE4294967295ELNS1_3gpuE0ELNS1_3repE0EEENS1_30default_config_static_selectorELNS0_4arch9wavefront6targetE0EEEvT1_,"axG",@progbits,_ZN7rocprim17ROCPRIM_400000_NS6detail17trampoline_kernelINS0_14default_configENS1_25partition_config_selectorILNS1_17partition_subalgoE5EyNS0_10empty_typeEbEEZZNS1_14partition_implILS5_5ELb0ES3_mN6thrust23THRUST_200600_302600_NS6detail15normal_iteratorINSA_10device_ptrIyEEEEPS6_NSA_18transform_iteratorINSB_9not_fun_tI7is_trueIyEEENSC_INSD_IbEEEENSA_11use_defaultESO_EENS0_5tupleIJSF_S6_EEENSQ_IJSG_SG_EEES6_PlJS6_EEE10hipError_tPvRmT3_T4_T5_T6_T7_T9_mT8_P12ihipStream_tbDpT10_ENKUlT_T0_E_clISt17integral_constantIbLb0EES1C_IbLb1EEEEDaS18_S19_EUlS18_E_NS1_11comp_targetILNS1_3genE0ELNS1_11target_archE4294967295ELNS1_3gpuE0ELNS1_3repE0EEENS1_30default_config_static_selectorELNS0_4arch9wavefront6targetE0EEEvT1_,comdat
	.protected	_ZN7rocprim17ROCPRIM_400000_NS6detail17trampoline_kernelINS0_14default_configENS1_25partition_config_selectorILNS1_17partition_subalgoE5EyNS0_10empty_typeEbEEZZNS1_14partition_implILS5_5ELb0ES3_mN6thrust23THRUST_200600_302600_NS6detail15normal_iteratorINSA_10device_ptrIyEEEEPS6_NSA_18transform_iteratorINSB_9not_fun_tI7is_trueIyEEENSC_INSD_IbEEEENSA_11use_defaultESO_EENS0_5tupleIJSF_S6_EEENSQ_IJSG_SG_EEES6_PlJS6_EEE10hipError_tPvRmT3_T4_T5_T6_T7_T9_mT8_P12ihipStream_tbDpT10_ENKUlT_T0_E_clISt17integral_constantIbLb0EES1C_IbLb1EEEEDaS18_S19_EUlS18_E_NS1_11comp_targetILNS1_3genE0ELNS1_11target_archE4294967295ELNS1_3gpuE0ELNS1_3repE0EEENS1_30default_config_static_selectorELNS0_4arch9wavefront6targetE0EEEvT1_ ; -- Begin function _ZN7rocprim17ROCPRIM_400000_NS6detail17trampoline_kernelINS0_14default_configENS1_25partition_config_selectorILNS1_17partition_subalgoE5EyNS0_10empty_typeEbEEZZNS1_14partition_implILS5_5ELb0ES3_mN6thrust23THRUST_200600_302600_NS6detail15normal_iteratorINSA_10device_ptrIyEEEEPS6_NSA_18transform_iteratorINSB_9not_fun_tI7is_trueIyEEENSC_INSD_IbEEEENSA_11use_defaultESO_EENS0_5tupleIJSF_S6_EEENSQ_IJSG_SG_EEES6_PlJS6_EEE10hipError_tPvRmT3_T4_T5_T6_T7_T9_mT8_P12ihipStream_tbDpT10_ENKUlT_T0_E_clISt17integral_constantIbLb0EES1C_IbLb1EEEEDaS18_S19_EUlS18_E_NS1_11comp_targetILNS1_3genE0ELNS1_11target_archE4294967295ELNS1_3gpuE0ELNS1_3repE0EEENS1_30default_config_static_selectorELNS0_4arch9wavefront6targetE0EEEvT1_
	.globl	_ZN7rocprim17ROCPRIM_400000_NS6detail17trampoline_kernelINS0_14default_configENS1_25partition_config_selectorILNS1_17partition_subalgoE5EyNS0_10empty_typeEbEEZZNS1_14partition_implILS5_5ELb0ES3_mN6thrust23THRUST_200600_302600_NS6detail15normal_iteratorINSA_10device_ptrIyEEEEPS6_NSA_18transform_iteratorINSB_9not_fun_tI7is_trueIyEEENSC_INSD_IbEEEENSA_11use_defaultESO_EENS0_5tupleIJSF_S6_EEENSQ_IJSG_SG_EEES6_PlJS6_EEE10hipError_tPvRmT3_T4_T5_T6_T7_T9_mT8_P12ihipStream_tbDpT10_ENKUlT_T0_E_clISt17integral_constantIbLb0EES1C_IbLb1EEEEDaS18_S19_EUlS18_E_NS1_11comp_targetILNS1_3genE0ELNS1_11target_archE4294967295ELNS1_3gpuE0ELNS1_3repE0EEENS1_30default_config_static_selectorELNS0_4arch9wavefront6targetE0EEEvT1_
	.p2align	8
	.type	_ZN7rocprim17ROCPRIM_400000_NS6detail17trampoline_kernelINS0_14default_configENS1_25partition_config_selectorILNS1_17partition_subalgoE5EyNS0_10empty_typeEbEEZZNS1_14partition_implILS5_5ELb0ES3_mN6thrust23THRUST_200600_302600_NS6detail15normal_iteratorINSA_10device_ptrIyEEEEPS6_NSA_18transform_iteratorINSB_9not_fun_tI7is_trueIyEEENSC_INSD_IbEEEENSA_11use_defaultESO_EENS0_5tupleIJSF_S6_EEENSQ_IJSG_SG_EEES6_PlJS6_EEE10hipError_tPvRmT3_T4_T5_T6_T7_T9_mT8_P12ihipStream_tbDpT10_ENKUlT_T0_E_clISt17integral_constantIbLb0EES1C_IbLb1EEEEDaS18_S19_EUlS18_E_NS1_11comp_targetILNS1_3genE0ELNS1_11target_archE4294967295ELNS1_3gpuE0ELNS1_3repE0EEENS1_30default_config_static_selectorELNS0_4arch9wavefront6targetE0EEEvT1_,@function
_ZN7rocprim17ROCPRIM_400000_NS6detail17trampoline_kernelINS0_14default_configENS1_25partition_config_selectorILNS1_17partition_subalgoE5EyNS0_10empty_typeEbEEZZNS1_14partition_implILS5_5ELb0ES3_mN6thrust23THRUST_200600_302600_NS6detail15normal_iteratorINSA_10device_ptrIyEEEEPS6_NSA_18transform_iteratorINSB_9not_fun_tI7is_trueIyEEENSC_INSD_IbEEEENSA_11use_defaultESO_EENS0_5tupleIJSF_S6_EEENSQ_IJSG_SG_EEES6_PlJS6_EEE10hipError_tPvRmT3_T4_T5_T6_T7_T9_mT8_P12ihipStream_tbDpT10_ENKUlT_T0_E_clISt17integral_constantIbLb0EES1C_IbLb1EEEEDaS18_S19_EUlS18_E_NS1_11comp_targetILNS1_3genE0ELNS1_11target_archE4294967295ELNS1_3gpuE0ELNS1_3repE0EEENS1_30default_config_static_selectorELNS0_4arch9wavefront6targetE0EEEvT1_: ; @_ZN7rocprim17ROCPRIM_400000_NS6detail17trampoline_kernelINS0_14default_configENS1_25partition_config_selectorILNS1_17partition_subalgoE5EyNS0_10empty_typeEbEEZZNS1_14partition_implILS5_5ELb0ES3_mN6thrust23THRUST_200600_302600_NS6detail15normal_iteratorINSA_10device_ptrIyEEEEPS6_NSA_18transform_iteratorINSB_9not_fun_tI7is_trueIyEEENSC_INSD_IbEEEENSA_11use_defaultESO_EENS0_5tupleIJSF_S6_EEENSQ_IJSG_SG_EEES6_PlJS6_EEE10hipError_tPvRmT3_T4_T5_T6_T7_T9_mT8_P12ihipStream_tbDpT10_ENKUlT_T0_E_clISt17integral_constantIbLb0EES1C_IbLb1EEEEDaS18_S19_EUlS18_E_NS1_11comp_targetILNS1_3genE0ELNS1_11target_archE4294967295ELNS1_3gpuE0ELNS1_3repE0EEENS1_30default_config_static_selectorELNS0_4arch9wavefront6targetE0EEEvT1_
; %bb.0:
	.section	.rodata,"a",@progbits
	.p2align	6, 0x0
	.amdhsa_kernel _ZN7rocprim17ROCPRIM_400000_NS6detail17trampoline_kernelINS0_14default_configENS1_25partition_config_selectorILNS1_17partition_subalgoE5EyNS0_10empty_typeEbEEZZNS1_14partition_implILS5_5ELb0ES3_mN6thrust23THRUST_200600_302600_NS6detail15normal_iteratorINSA_10device_ptrIyEEEEPS6_NSA_18transform_iteratorINSB_9not_fun_tI7is_trueIyEEENSC_INSD_IbEEEENSA_11use_defaultESO_EENS0_5tupleIJSF_S6_EEENSQ_IJSG_SG_EEES6_PlJS6_EEE10hipError_tPvRmT3_T4_T5_T6_T7_T9_mT8_P12ihipStream_tbDpT10_ENKUlT_T0_E_clISt17integral_constantIbLb0EES1C_IbLb1EEEEDaS18_S19_EUlS18_E_NS1_11comp_targetILNS1_3genE0ELNS1_11target_archE4294967295ELNS1_3gpuE0ELNS1_3repE0EEENS1_30default_config_static_selectorELNS0_4arch9wavefront6targetE0EEEvT1_
		.amdhsa_group_segment_fixed_size 0
		.amdhsa_private_segment_fixed_size 0
		.amdhsa_kernarg_size 136
		.amdhsa_user_sgpr_count 2
		.amdhsa_user_sgpr_dispatch_ptr 0
		.amdhsa_user_sgpr_queue_ptr 0
		.amdhsa_user_sgpr_kernarg_segment_ptr 1
		.amdhsa_user_sgpr_dispatch_id 0
		.amdhsa_user_sgpr_private_segment_size 0
		.amdhsa_wavefront_size32 1
		.amdhsa_uses_dynamic_stack 0
		.amdhsa_enable_private_segment 0
		.amdhsa_system_sgpr_workgroup_id_x 1
		.amdhsa_system_sgpr_workgroup_id_y 0
		.amdhsa_system_sgpr_workgroup_id_z 0
		.amdhsa_system_sgpr_workgroup_info 0
		.amdhsa_system_vgpr_workitem_id 0
		.amdhsa_next_free_vgpr 1
		.amdhsa_next_free_sgpr 1
		.amdhsa_reserve_vcc 0
		.amdhsa_float_round_mode_32 0
		.amdhsa_float_round_mode_16_64 0
		.amdhsa_float_denorm_mode_32 3
		.amdhsa_float_denorm_mode_16_64 3
		.amdhsa_fp16_overflow 0
		.amdhsa_workgroup_processor_mode 1
		.amdhsa_memory_ordered 1
		.amdhsa_forward_progress 1
		.amdhsa_inst_pref_size 0
		.amdhsa_round_robin_scheduling 0
		.amdhsa_exception_fp_ieee_invalid_op 0
		.amdhsa_exception_fp_denorm_src 0
		.amdhsa_exception_fp_ieee_div_zero 0
		.amdhsa_exception_fp_ieee_overflow 0
		.amdhsa_exception_fp_ieee_underflow 0
		.amdhsa_exception_fp_ieee_inexact 0
		.amdhsa_exception_int_div_zero 0
	.end_amdhsa_kernel
	.section	.text._ZN7rocprim17ROCPRIM_400000_NS6detail17trampoline_kernelINS0_14default_configENS1_25partition_config_selectorILNS1_17partition_subalgoE5EyNS0_10empty_typeEbEEZZNS1_14partition_implILS5_5ELb0ES3_mN6thrust23THRUST_200600_302600_NS6detail15normal_iteratorINSA_10device_ptrIyEEEEPS6_NSA_18transform_iteratorINSB_9not_fun_tI7is_trueIyEEENSC_INSD_IbEEEENSA_11use_defaultESO_EENS0_5tupleIJSF_S6_EEENSQ_IJSG_SG_EEES6_PlJS6_EEE10hipError_tPvRmT3_T4_T5_T6_T7_T9_mT8_P12ihipStream_tbDpT10_ENKUlT_T0_E_clISt17integral_constantIbLb0EES1C_IbLb1EEEEDaS18_S19_EUlS18_E_NS1_11comp_targetILNS1_3genE0ELNS1_11target_archE4294967295ELNS1_3gpuE0ELNS1_3repE0EEENS1_30default_config_static_selectorELNS0_4arch9wavefront6targetE0EEEvT1_,"axG",@progbits,_ZN7rocprim17ROCPRIM_400000_NS6detail17trampoline_kernelINS0_14default_configENS1_25partition_config_selectorILNS1_17partition_subalgoE5EyNS0_10empty_typeEbEEZZNS1_14partition_implILS5_5ELb0ES3_mN6thrust23THRUST_200600_302600_NS6detail15normal_iteratorINSA_10device_ptrIyEEEEPS6_NSA_18transform_iteratorINSB_9not_fun_tI7is_trueIyEEENSC_INSD_IbEEEENSA_11use_defaultESO_EENS0_5tupleIJSF_S6_EEENSQ_IJSG_SG_EEES6_PlJS6_EEE10hipError_tPvRmT3_T4_T5_T6_T7_T9_mT8_P12ihipStream_tbDpT10_ENKUlT_T0_E_clISt17integral_constantIbLb0EES1C_IbLb1EEEEDaS18_S19_EUlS18_E_NS1_11comp_targetILNS1_3genE0ELNS1_11target_archE4294967295ELNS1_3gpuE0ELNS1_3repE0EEENS1_30default_config_static_selectorELNS0_4arch9wavefront6targetE0EEEvT1_,comdat
.Lfunc_end2421:
	.size	_ZN7rocprim17ROCPRIM_400000_NS6detail17trampoline_kernelINS0_14default_configENS1_25partition_config_selectorILNS1_17partition_subalgoE5EyNS0_10empty_typeEbEEZZNS1_14partition_implILS5_5ELb0ES3_mN6thrust23THRUST_200600_302600_NS6detail15normal_iteratorINSA_10device_ptrIyEEEEPS6_NSA_18transform_iteratorINSB_9not_fun_tI7is_trueIyEEENSC_INSD_IbEEEENSA_11use_defaultESO_EENS0_5tupleIJSF_S6_EEENSQ_IJSG_SG_EEES6_PlJS6_EEE10hipError_tPvRmT3_T4_T5_T6_T7_T9_mT8_P12ihipStream_tbDpT10_ENKUlT_T0_E_clISt17integral_constantIbLb0EES1C_IbLb1EEEEDaS18_S19_EUlS18_E_NS1_11comp_targetILNS1_3genE0ELNS1_11target_archE4294967295ELNS1_3gpuE0ELNS1_3repE0EEENS1_30default_config_static_selectorELNS0_4arch9wavefront6targetE0EEEvT1_, .Lfunc_end2421-_ZN7rocprim17ROCPRIM_400000_NS6detail17trampoline_kernelINS0_14default_configENS1_25partition_config_selectorILNS1_17partition_subalgoE5EyNS0_10empty_typeEbEEZZNS1_14partition_implILS5_5ELb0ES3_mN6thrust23THRUST_200600_302600_NS6detail15normal_iteratorINSA_10device_ptrIyEEEEPS6_NSA_18transform_iteratorINSB_9not_fun_tI7is_trueIyEEENSC_INSD_IbEEEENSA_11use_defaultESO_EENS0_5tupleIJSF_S6_EEENSQ_IJSG_SG_EEES6_PlJS6_EEE10hipError_tPvRmT3_T4_T5_T6_T7_T9_mT8_P12ihipStream_tbDpT10_ENKUlT_T0_E_clISt17integral_constantIbLb0EES1C_IbLb1EEEEDaS18_S19_EUlS18_E_NS1_11comp_targetILNS1_3genE0ELNS1_11target_archE4294967295ELNS1_3gpuE0ELNS1_3repE0EEENS1_30default_config_static_selectorELNS0_4arch9wavefront6targetE0EEEvT1_
                                        ; -- End function
	.set _ZN7rocprim17ROCPRIM_400000_NS6detail17trampoline_kernelINS0_14default_configENS1_25partition_config_selectorILNS1_17partition_subalgoE5EyNS0_10empty_typeEbEEZZNS1_14partition_implILS5_5ELb0ES3_mN6thrust23THRUST_200600_302600_NS6detail15normal_iteratorINSA_10device_ptrIyEEEEPS6_NSA_18transform_iteratorINSB_9not_fun_tI7is_trueIyEEENSC_INSD_IbEEEENSA_11use_defaultESO_EENS0_5tupleIJSF_S6_EEENSQ_IJSG_SG_EEES6_PlJS6_EEE10hipError_tPvRmT3_T4_T5_T6_T7_T9_mT8_P12ihipStream_tbDpT10_ENKUlT_T0_E_clISt17integral_constantIbLb0EES1C_IbLb1EEEEDaS18_S19_EUlS18_E_NS1_11comp_targetILNS1_3genE0ELNS1_11target_archE4294967295ELNS1_3gpuE0ELNS1_3repE0EEENS1_30default_config_static_selectorELNS0_4arch9wavefront6targetE0EEEvT1_.num_vgpr, 0
	.set _ZN7rocprim17ROCPRIM_400000_NS6detail17trampoline_kernelINS0_14default_configENS1_25partition_config_selectorILNS1_17partition_subalgoE5EyNS0_10empty_typeEbEEZZNS1_14partition_implILS5_5ELb0ES3_mN6thrust23THRUST_200600_302600_NS6detail15normal_iteratorINSA_10device_ptrIyEEEEPS6_NSA_18transform_iteratorINSB_9not_fun_tI7is_trueIyEEENSC_INSD_IbEEEENSA_11use_defaultESO_EENS0_5tupleIJSF_S6_EEENSQ_IJSG_SG_EEES6_PlJS6_EEE10hipError_tPvRmT3_T4_T5_T6_T7_T9_mT8_P12ihipStream_tbDpT10_ENKUlT_T0_E_clISt17integral_constantIbLb0EES1C_IbLb1EEEEDaS18_S19_EUlS18_E_NS1_11comp_targetILNS1_3genE0ELNS1_11target_archE4294967295ELNS1_3gpuE0ELNS1_3repE0EEENS1_30default_config_static_selectorELNS0_4arch9wavefront6targetE0EEEvT1_.num_agpr, 0
	.set _ZN7rocprim17ROCPRIM_400000_NS6detail17trampoline_kernelINS0_14default_configENS1_25partition_config_selectorILNS1_17partition_subalgoE5EyNS0_10empty_typeEbEEZZNS1_14partition_implILS5_5ELb0ES3_mN6thrust23THRUST_200600_302600_NS6detail15normal_iteratorINSA_10device_ptrIyEEEEPS6_NSA_18transform_iteratorINSB_9not_fun_tI7is_trueIyEEENSC_INSD_IbEEEENSA_11use_defaultESO_EENS0_5tupleIJSF_S6_EEENSQ_IJSG_SG_EEES6_PlJS6_EEE10hipError_tPvRmT3_T4_T5_T6_T7_T9_mT8_P12ihipStream_tbDpT10_ENKUlT_T0_E_clISt17integral_constantIbLb0EES1C_IbLb1EEEEDaS18_S19_EUlS18_E_NS1_11comp_targetILNS1_3genE0ELNS1_11target_archE4294967295ELNS1_3gpuE0ELNS1_3repE0EEENS1_30default_config_static_selectorELNS0_4arch9wavefront6targetE0EEEvT1_.numbered_sgpr, 0
	.set _ZN7rocprim17ROCPRIM_400000_NS6detail17trampoline_kernelINS0_14default_configENS1_25partition_config_selectorILNS1_17partition_subalgoE5EyNS0_10empty_typeEbEEZZNS1_14partition_implILS5_5ELb0ES3_mN6thrust23THRUST_200600_302600_NS6detail15normal_iteratorINSA_10device_ptrIyEEEEPS6_NSA_18transform_iteratorINSB_9not_fun_tI7is_trueIyEEENSC_INSD_IbEEEENSA_11use_defaultESO_EENS0_5tupleIJSF_S6_EEENSQ_IJSG_SG_EEES6_PlJS6_EEE10hipError_tPvRmT3_T4_T5_T6_T7_T9_mT8_P12ihipStream_tbDpT10_ENKUlT_T0_E_clISt17integral_constantIbLb0EES1C_IbLb1EEEEDaS18_S19_EUlS18_E_NS1_11comp_targetILNS1_3genE0ELNS1_11target_archE4294967295ELNS1_3gpuE0ELNS1_3repE0EEENS1_30default_config_static_selectorELNS0_4arch9wavefront6targetE0EEEvT1_.num_named_barrier, 0
	.set _ZN7rocprim17ROCPRIM_400000_NS6detail17trampoline_kernelINS0_14default_configENS1_25partition_config_selectorILNS1_17partition_subalgoE5EyNS0_10empty_typeEbEEZZNS1_14partition_implILS5_5ELb0ES3_mN6thrust23THRUST_200600_302600_NS6detail15normal_iteratorINSA_10device_ptrIyEEEEPS6_NSA_18transform_iteratorINSB_9not_fun_tI7is_trueIyEEENSC_INSD_IbEEEENSA_11use_defaultESO_EENS0_5tupleIJSF_S6_EEENSQ_IJSG_SG_EEES6_PlJS6_EEE10hipError_tPvRmT3_T4_T5_T6_T7_T9_mT8_P12ihipStream_tbDpT10_ENKUlT_T0_E_clISt17integral_constantIbLb0EES1C_IbLb1EEEEDaS18_S19_EUlS18_E_NS1_11comp_targetILNS1_3genE0ELNS1_11target_archE4294967295ELNS1_3gpuE0ELNS1_3repE0EEENS1_30default_config_static_selectorELNS0_4arch9wavefront6targetE0EEEvT1_.private_seg_size, 0
	.set _ZN7rocprim17ROCPRIM_400000_NS6detail17trampoline_kernelINS0_14default_configENS1_25partition_config_selectorILNS1_17partition_subalgoE5EyNS0_10empty_typeEbEEZZNS1_14partition_implILS5_5ELb0ES3_mN6thrust23THRUST_200600_302600_NS6detail15normal_iteratorINSA_10device_ptrIyEEEEPS6_NSA_18transform_iteratorINSB_9not_fun_tI7is_trueIyEEENSC_INSD_IbEEEENSA_11use_defaultESO_EENS0_5tupleIJSF_S6_EEENSQ_IJSG_SG_EEES6_PlJS6_EEE10hipError_tPvRmT3_T4_T5_T6_T7_T9_mT8_P12ihipStream_tbDpT10_ENKUlT_T0_E_clISt17integral_constantIbLb0EES1C_IbLb1EEEEDaS18_S19_EUlS18_E_NS1_11comp_targetILNS1_3genE0ELNS1_11target_archE4294967295ELNS1_3gpuE0ELNS1_3repE0EEENS1_30default_config_static_selectorELNS0_4arch9wavefront6targetE0EEEvT1_.uses_vcc, 0
	.set _ZN7rocprim17ROCPRIM_400000_NS6detail17trampoline_kernelINS0_14default_configENS1_25partition_config_selectorILNS1_17partition_subalgoE5EyNS0_10empty_typeEbEEZZNS1_14partition_implILS5_5ELb0ES3_mN6thrust23THRUST_200600_302600_NS6detail15normal_iteratorINSA_10device_ptrIyEEEEPS6_NSA_18transform_iteratorINSB_9not_fun_tI7is_trueIyEEENSC_INSD_IbEEEENSA_11use_defaultESO_EENS0_5tupleIJSF_S6_EEENSQ_IJSG_SG_EEES6_PlJS6_EEE10hipError_tPvRmT3_T4_T5_T6_T7_T9_mT8_P12ihipStream_tbDpT10_ENKUlT_T0_E_clISt17integral_constantIbLb0EES1C_IbLb1EEEEDaS18_S19_EUlS18_E_NS1_11comp_targetILNS1_3genE0ELNS1_11target_archE4294967295ELNS1_3gpuE0ELNS1_3repE0EEENS1_30default_config_static_selectorELNS0_4arch9wavefront6targetE0EEEvT1_.uses_flat_scratch, 0
	.set _ZN7rocprim17ROCPRIM_400000_NS6detail17trampoline_kernelINS0_14default_configENS1_25partition_config_selectorILNS1_17partition_subalgoE5EyNS0_10empty_typeEbEEZZNS1_14partition_implILS5_5ELb0ES3_mN6thrust23THRUST_200600_302600_NS6detail15normal_iteratorINSA_10device_ptrIyEEEEPS6_NSA_18transform_iteratorINSB_9not_fun_tI7is_trueIyEEENSC_INSD_IbEEEENSA_11use_defaultESO_EENS0_5tupleIJSF_S6_EEENSQ_IJSG_SG_EEES6_PlJS6_EEE10hipError_tPvRmT3_T4_T5_T6_T7_T9_mT8_P12ihipStream_tbDpT10_ENKUlT_T0_E_clISt17integral_constantIbLb0EES1C_IbLb1EEEEDaS18_S19_EUlS18_E_NS1_11comp_targetILNS1_3genE0ELNS1_11target_archE4294967295ELNS1_3gpuE0ELNS1_3repE0EEENS1_30default_config_static_selectorELNS0_4arch9wavefront6targetE0EEEvT1_.has_dyn_sized_stack, 0
	.set _ZN7rocprim17ROCPRIM_400000_NS6detail17trampoline_kernelINS0_14default_configENS1_25partition_config_selectorILNS1_17partition_subalgoE5EyNS0_10empty_typeEbEEZZNS1_14partition_implILS5_5ELb0ES3_mN6thrust23THRUST_200600_302600_NS6detail15normal_iteratorINSA_10device_ptrIyEEEEPS6_NSA_18transform_iteratorINSB_9not_fun_tI7is_trueIyEEENSC_INSD_IbEEEENSA_11use_defaultESO_EENS0_5tupleIJSF_S6_EEENSQ_IJSG_SG_EEES6_PlJS6_EEE10hipError_tPvRmT3_T4_T5_T6_T7_T9_mT8_P12ihipStream_tbDpT10_ENKUlT_T0_E_clISt17integral_constantIbLb0EES1C_IbLb1EEEEDaS18_S19_EUlS18_E_NS1_11comp_targetILNS1_3genE0ELNS1_11target_archE4294967295ELNS1_3gpuE0ELNS1_3repE0EEENS1_30default_config_static_selectorELNS0_4arch9wavefront6targetE0EEEvT1_.has_recursion, 0
	.set _ZN7rocprim17ROCPRIM_400000_NS6detail17trampoline_kernelINS0_14default_configENS1_25partition_config_selectorILNS1_17partition_subalgoE5EyNS0_10empty_typeEbEEZZNS1_14partition_implILS5_5ELb0ES3_mN6thrust23THRUST_200600_302600_NS6detail15normal_iteratorINSA_10device_ptrIyEEEEPS6_NSA_18transform_iteratorINSB_9not_fun_tI7is_trueIyEEENSC_INSD_IbEEEENSA_11use_defaultESO_EENS0_5tupleIJSF_S6_EEENSQ_IJSG_SG_EEES6_PlJS6_EEE10hipError_tPvRmT3_T4_T5_T6_T7_T9_mT8_P12ihipStream_tbDpT10_ENKUlT_T0_E_clISt17integral_constantIbLb0EES1C_IbLb1EEEEDaS18_S19_EUlS18_E_NS1_11comp_targetILNS1_3genE0ELNS1_11target_archE4294967295ELNS1_3gpuE0ELNS1_3repE0EEENS1_30default_config_static_selectorELNS0_4arch9wavefront6targetE0EEEvT1_.has_indirect_call, 0
	.section	.AMDGPU.csdata,"",@progbits
; Kernel info:
; codeLenInByte = 0
; TotalNumSgprs: 0
; NumVgprs: 0
; ScratchSize: 0
; MemoryBound: 0
; FloatMode: 240
; IeeeMode: 1
; LDSByteSize: 0 bytes/workgroup (compile time only)
; SGPRBlocks: 0
; VGPRBlocks: 0
; NumSGPRsForWavesPerEU: 1
; NumVGPRsForWavesPerEU: 1
; Occupancy: 16
; WaveLimiterHint : 0
; COMPUTE_PGM_RSRC2:SCRATCH_EN: 0
; COMPUTE_PGM_RSRC2:USER_SGPR: 2
; COMPUTE_PGM_RSRC2:TRAP_HANDLER: 0
; COMPUTE_PGM_RSRC2:TGID_X_EN: 1
; COMPUTE_PGM_RSRC2:TGID_Y_EN: 0
; COMPUTE_PGM_RSRC2:TGID_Z_EN: 0
; COMPUTE_PGM_RSRC2:TIDIG_COMP_CNT: 0
	.section	.text._ZN7rocprim17ROCPRIM_400000_NS6detail17trampoline_kernelINS0_14default_configENS1_25partition_config_selectorILNS1_17partition_subalgoE5EyNS0_10empty_typeEbEEZZNS1_14partition_implILS5_5ELb0ES3_mN6thrust23THRUST_200600_302600_NS6detail15normal_iteratorINSA_10device_ptrIyEEEEPS6_NSA_18transform_iteratorINSB_9not_fun_tI7is_trueIyEEENSC_INSD_IbEEEENSA_11use_defaultESO_EENS0_5tupleIJSF_S6_EEENSQ_IJSG_SG_EEES6_PlJS6_EEE10hipError_tPvRmT3_T4_T5_T6_T7_T9_mT8_P12ihipStream_tbDpT10_ENKUlT_T0_E_clISt17integral_constantIbLb0EES1C_IbLb1EEEEDaS18_S19_EUlS18_E_NS1_11comp_targetILNS1_3genE5ELNS1_11target_archE942ELNS1_3gpuE9ELNS1_3repE0EEENS1_30default_config_static_selectorELNS0_4arch9wavefront6targetE0EEEvT1_,"axG",@progbits,_ZN7rocprim17ROCPRIM_400000_NS6detail17trampoline_kernelINS0_14default_configENS1_25partition_config_selectorILNS1_17partition_subalgoE5EyNS0_10empty_typeEbEEZZNS1_14partition_implILS5_5ELb0ES3_mN6thrust23THRUST_200600_302600_NS6detail15normal_iteratorINSA_10device_ptrIyEEEEPS6_NSA_18transform_iteratorINSB_9not_fun_tI7is_trueIyEEENSC_INSD_IbEEEENSA_11use_defaultESO_EENS0_5tupleIJSF_S6_EEENSQ_IJSG_SG_EEES6_PlJS6_EEE10hipError_tPvRmT3_T4_T5_T6_T7_T9_mT8_P12ihipStream_tbDpT10_ENKUlT_T0_E_clISt17integral_constantIbLb0EES1C_IbLb1EEEEDaS18_S19_EUlS18_E_NS1_11comp_targetILNS1_3genE5ELNS1_11target_archE942ELNS1_3gpuE9ELNS1_3repE0EEENS1_30default_config_static_selectorELNS0_4arch9wavefront6targetE0EEEvT1_,comdat
	.protected	_ZN7rocprim17ROCPRIM_400000_NS6detail17trampoline_kernelINS0_14default_configENS1_25partition_config_selectorILNS1_17partition_subalgoE5EyNS0_10empty_typeEbEEZZNS1_14partition_implILS5_5ELb0ES3_mN6thrust23THRUST_200600_302600_NS6detail15normal_iteratorINSA_10device_ptrIyEEEEPS6_NSA_18transform_iteratorINSB_9not_fun_tI7is_trueIyEEENSC_INSD_IbEEEENSA_11use_defaultESO_EENS0_5tupleIJSF_S6_EEENSQ_IJSG_SG_EEES6_PlJS6_EEE10hipError_tPvRmT3_T4_T5_T6_T7_T9_mT8_P12ihipStream_tbDpT10_ENKUlT_T0_E_clISt17integral_constantIbLb0EES1C_IbLb1EEEEDaS18_S19_EUlS18_E_NS1_11comp_targetILNS1_3genE5ELNS1_11target_archE942ELNS1_3gpuE9ELNS1_3repE0EEENS1_30default_config_static_selectorELNS0_4arch9wavefront6targetE0EEEvT1_ ; -- Begin function _ZN7rocprim17ROCPRIM_400000_NS6detail17trampoline_kernelINS0_14default_configENS1_25partition_config_selectorILNS1_17partition_subalgoE5EyNS0_10empty_typeEbEEZZNS1_14partition_implILS5_5ELb0ES3_mN6thrust23THRUST_200600_302600_NS6detail15normal_iteratorINSA_10device_ptrIyEEEEPS6_NSA_18transform_iteratorINSB_9not_fun_tI7is_trueIyEEENSC_INSD_IbEEEENSA_11use_defaultESO_EENS0_5tupleIJSF_S6_EEENSQ_IJSG_SG_EEES6_PlJS6_EEE10hipError_tPvRmT3_T4_T5_T6_T7_T9_mT8_P12ihipStream_tbDpT10_ENKUlT_T0_E_clISt17integral_constantIbLb0EES1C_IbLb1EEEEDaS18_S19_EUlS18_E_NS1_11comp_targetILNS1_3genE5ELNS1_11target_archE942ELNS1_3gpuE9ELNS1_3repE0EEENS1_30default_config_static_selectorELNS0_4arch9wavefront6targetE0EEEvT1_
	.globl	_ZN7rocprim17ROCPRIM_400000_NS6detail17trampoline_kernelINS0_14default_configENS1_25partition_config_selectorILNS1_17partition_subalgoE5EyNS0_10empty_typeEbEEZZNS1_14partition_implILS5_5ELb0ES3_mN6thrust23THRUST_200600_302600_NS6detail15normal_iteratorINSA_10device_ptrIyEEEEPS6_NSA_18transform_iteratorINSB_9not_fun_tI7is_trueIyEEENSC_INSD_IbEEEENSA_11use_defaultESO_EENS0_5tupleIJSF_S6_EEENSQ_IJSG_SG_EEES6_PlJS6_EEE10hipError_tPvRmT3_T4_T5_T6_T7_T9_mT8_P12ihipStream_tbDpT10_ENKUlT_T0_E_clISt17integral_constantIbLb0EES1C_IbLb1EEEEDaS18_S19_EUlS18_E_NS1_11comp_targetILNS1_3genE5ELNS1_11target_archE942ELNS1_3gpuE9ELNS1_3repE0EEENS1_30default_config_static_selectorELNS0_4arch9wavefront6targetE0EEEvT1_
	.p2align	8
	.type	_ZN7rocprim17ROCPRIM_400000_NS6detail17trampoline_kernelINS0_14default_configENS1_25partition_config_selectorILNS1_17partition_subalgoE5EyNS0_10empty_typeEbEEZZNS1_14partition_implILS5_5ELb0ES3_mN6thrust23THRUST_200600_302600_NS6detail15normal_iteratorINSA_10device_ptrIyEEEEPS6_NSA_18transform_iteratorINSB_9not_fun_tI7is_trueIyEEENSC_INSD_IbEEEENSA_11use_defaultESO_EENS0_5tupleIJSF_S6_EEENSQ_IJSG_SG_EEES6_PlJS6_EEE10hipError_tPvRmT3_T4_T5_T6_T7_T9_mT8_P12ihipStream_tbDpT10_ENKUlT_T0_E_clISt17integral_constantIbLb0EES1C_IbLb1EEEEDaS18_S19_EUlS18_E_NS1_11comp_targetILNS1_3genE5ELNS1_11target_archE942ELNS1_3gpuE9ELNS1_3repE0EEENS1_30default_config_static_selectorELNS0_4arch9wavefront6targetE0EEEvT1_,@function
_ZN7rocprim17ROCPRIM_400000_NS6detail17trampoline_kernelINS0_14default_configENS1_25partition_config_selectorILNS1_17partition_subalgoE5EyNS0_10empty_typeEbEEZZNS1_14partition_implILS5_5ELb0ES3_mN6thrust23THRUST_200600_302600_NS6detail15normal_iteratorINSA_10device_ptrIyEEEEPS6_NSA_18transform_iteratorINSB_9not_fun_tI7is_trueIyEEENSC_INSD_IbEEEENSA_11use_defaultESO_EENS0_5tupleIJSF_S6_EEENSQ_IJSG_SG_EEES6_PlJS6_EEE10hipError_tPvRmT3_T4_T5_T6_T7_T9_mT8_P12ihipStream_tbDpT10_ENKUlT_T0_E_clISt17integral_constantIbLb0EES1C_IbLb1EEEEDaS18_S19_EUlS18_E_NS1_11comp_targetILNS1_3genE5ELNS1_11target_archE942ELNS1_3gpuE9ELNS1_3repE0EEENS1_30default_config_static_selectorELNS0_4arch9wavefront6targetE0EEEvT1_: ; @_ZN7rocprim17ROCPRIM_400000_NS6detail17trampoline_kernelINS0_14default_configENS1_25partition_config_selectorILNS1_17partition_subalgoE5EyNS0_10empty_typeEbEEZZNS1_14partition_implILS5_5ELb0ES3_mN6thrust23THRUST_200600_302600_NS6detail15normal_iteratorINSA_10device_ptrIyEEEEPS6_NSA_18transform_iteratorINSB_9not_fun_tI7is_trueIyEEENSC_INSD_IbEEEENSA_11use_defaultESO_EENS0_5tupleIJSF_S6_EEENSQ_IJSG_SG_EEES6_PlJS6_EEE10hipError_tPvRmT3_T4_T5_T6_T7_T9_mT8_P12ihipStream_tbDpT10_ENKUlT_T0_E_clISt17integral_constantIbLb0EES1C_IbLb1EEEEDaS18_S19_EUlS18_E_NS1_11comp_targetILNS1_3genE5ELNS1_11target_archE942ELNS1_3gpuE9ELNS1_3repE0EEENS1_30default_config_static_selectorELNS0_4arch9wavefront6targetE0EEEvT1_
; %bb.0:
	.section	.rodata,"a",@progbits
	.p2align	6, 0x0
	.amdhsa_kernel _ZN7rocprim17ROCPRIM_400000_NS6detail17trampoline_kernelINS0_14default_configENS1_25partition_config_selectorILNS1_17partition_subalgoE5EyNS0_10empty_typeEbEEZZNS1_14partition_implILS5_5ELb0ES3_mN6thrust23THRUST_200600_302600_NS6detail15normal_iteratorINSA_10device_ptrIyEEEEPS6_NSA_18transform_iteratorINSB_9not_fun_tI7is_trueIyEEENSC_INSD_IbEEEENSA_11use_defaultESO_EENS0_5tupleIJSF_S6_EEENSQ_IJSG_SG_EEES6_PlJS6_EEE10hipError_tPvRmT3_T4_T5_T6_T7_T9_mT8_P12ihipStream_tbDpT10_ENKUlT_T0_E_clISt17integral_constantIbLb0EES1C_IbLb1EEEEDaS18_S19_EUlS18_E_NS1_11comp_targetILNS1_3genE5ELNS1_11target_archE942ELNS1_3gpuE9ELNS1_3repE0EEENS1_30default_config_static_selectorELNS0_4arch9wavefront6targetE0EEEvT1_
		.amdhsa_group_segment_fixed_size 0
		.amdhsa_private_segment_fixed_size 0
		.amdhsa_kernarg_size 136
		.amdhsa_user_sgpr_count 2
		.amdhsa_user_sgpr_dispatch_ptr 0
		.amdhsa_user_sgpr_queue_ptr 0
		.amdhsa_user_sgpr_kernarg_segment_ptr 1
		.amdhsa_user_sgpr_dispatch_id 0
		.amdhsa_user_sgpr_private_segment_size 0
		.amdhsa_wavefront_size32 1
		.amdhsa_uses_dynamic_stack 0
		.amdhsa_enable_private_segment 0
		.amdhsa_system_sgpr_workgroup_id_x 1
		.amdhsa_system_sgpr_workgroup_id_y 0
		.amdhsa_system_sgpr_workgroup_id_z 0
		.amdhsa_system_sgpr_workgroup_info 0
		.amdhsa_system_vgpr_workitem_id 0
		.amdhsa_next_free_vgpr 1
		.amdhsa_next_free_sgpr 1
		.amdhsa_reserve_vcc 0
		.amdhsa_float_round_mode_32 0
		.amdhsa_float_round_mode_16_64 0
		.amdhsa_float_denorm_mode_32 3
		.amdhsa_float_denorm_mode_16_64 3
		.amdhsa_fp16_overflow 0
		.amdhsa_workgroup_processor_mode 1
		.amdhsa_memory_ordered 1
		.amdhsa_forward_progress 1
		.amdhsa_inst_pref_size 0
		.amdhsa_round_robin_scheduling 0
		.amdhsa_exception_fp_ieee_invalid_op 0
		.amdhsa_exception_fp_denorm_src 0
		.amdhsa_exception_fp_ieee_div_zero 0
		.amdhsa_exception_fp_ieee_overflow 0
		.amdhsa_exception_fp_ieee_underflow 0
		.amdhsa_exception_fp_ieee_inexact 0
		.amdhsa_exception_int_div_zero 0
	.end_amdhsa_kernel
	.section	.text._ZN7rocprim17ROCPRIM_400000_NS6detail17trampoline_kernelINS0_14default_configENS1_25partition_config_selectorILNS1_17partition_subalgoE5EyNS0_10empty_typeEbEEZZNS1_14partition_implILS5_5ELb0ES3_mN6thrust23THRUST_200600_302600_NS6detail15normal_iteratorINSA_10device_ptrIyEEEEPS6_NSA_18transform_iteratorINSB_9not_fun_tI7is_trueIyEEENSC_INSD_IbEEEENSA_11use_defaultESO_EENS0_5tupleIJSF_S6_EEENSQ_IJSG_SG_EEES6_PlJS6_EEE10hipError_tPvRmT3_T4_T5_T6_T7_T9_mT8_P12ihipStream_tbDpT10_ENKUlT_T0_E_clISt17integral_constantIbLb0EES1C_IbLb1EEEEDaS18_S19_EUlS18_E_NS1_11comp_targetILNS1_3genE5ELNS1_11target_archE942ELNS1_3gpuE9ELNS1_3repE0EEENS1_30default_config_static_selectorELNS0_4arch9wavefront6targetE0EEEvT1_,"axG",@progbits,_ZN7rocprim17ROCPRIM_400000_NS6detail17trampoline_kernelINS0_14default_configENS1_25partition_config_selectorILNS1_17partition_subalgoE5EyNS0_10empty_typeEbEEZZNS1_14partition_implILS5_5ELb0ES3_mN6thrust23THRUST_200600_302600_NS6detail15normal_iteratorINSA_10device_ptrIyEEEEPS6_NSA_18transform_iteratorINSB_9not_fun_tI7is_trueIyEEENSC_INSD_IbEEEENSA_11use_defaultESO_EENS0_5tupleIJSF_S6_EEENSQ_IJSG_SG_EEES6_PlJS6_EEE10hipError_tPvRmT3_T4_T5_T6_T7_T9_mT8_P12ihipStream_tbDpT10_ENKUlT_T0_E_clISt17integral_constantIbLb0EES1C_IbLb1EEEEDaS18_S19_EUlS18_E_NS1_11comp_targetILNS1_3genE5ELNS1_11target_archE942ELNS1_3gpuE9ELNS1_3repE0EEENS1_30default_config_static_selectorELNS0_4arch9wavefront6targetE0EEEvT1_,comdat
.Lfunc_end2422:
	.size	_ZN7rocprim17ROCPRIM_400000_NS6detail17trampoline_kernelINS0_14default_configENS1_25partition_config_selectorILNS1_17partition_subalgoE5EyNS0_10empty_typeEbEEZZNS1_14partition_implILS5_5ELb0ES3_mN6thrust23THRUST_200600_302600_NS6detail15normal_iteratorINSA_10device_ptrIyEEEEPS6_NSA_18transform_iteratorINSB_9not_fun_tI7is_trueIyEEENSC_INSD_IbEEEENSA_11use_defaultESO_EENS0_5tupleIJSF_S6_EEENSQ_IJSG_SG_EEES6_PlJS6_EEE10hipError_tPvRmT3_T4_T5_T6_T7_T9_mT8_P12ihipStream_tbDpT10_ENKUlT_T0_E_clISt17integral_constantIbLb0EES1C_IbLb1EEEEDaS18_S19_EUlS18_E_NS1_11comp_targetILNS1_3genE5ELNS1_11target_archE942ELNS1_3gpuE9ELNS1_3repE0EEENS1_30default_config_static_selectorELNS0_4arch9wavefront6targetE0EEEvT1_, .Lfunc_end2422-_ZN7rocprim17ROCPRIM_400000_NS6detail17trampoline_kernelINS0_14default_configENS1_25partition_config_selectorILNS1_17partition_subalgoE5EyNS0_10empty_typeEbEEZZNS1_14partition_implILS5_5ELb0ES3_mN6thrust23THRUST_200600_302600_NS6detail15normal_iteratorINSA_10device_ptrIyEEEEPS6_NSA_18transform_iteratorINSB_9not_fun_tI7is_trueIyEEENSC_INSD_IbEEEENSA_11use_defaultESO_EENS0_5tupleIJSF_S6_EEENSQ_IJSG_SG_EEES6_PlJS6_EEE10hipError_tPvRmT3_T4_T5_T6_T7_T9_mT8_P12ihipStream_tbDpT10_ENKUlT_T0_E_clISt17integral_constantIbLb0EES1C_IbLb1EEEEDaS18_S19_EUlS18_E_NS1_11comp_targetILNS1_3genE5ELNS1_11target_archE942ELNS1_3gpuE9ELNS1_3repE0EEENS1_30default_config_static_selectorELNS0_4arch9wavefront6targetE0EEEvT1_
                                        ; -- End function
	.set _ZN7rocprim17ROCPRIM_400000_NS6detail17trampoline_kernelINS0_14default_configENS1_25partition_config_selectorILNS1_17partition_subalgoE5EyNS0_10empty_typeEbEEZZNS1_14partition_implILS5_5ELb0ES3_mN6thrust23THRUST_200600_302600_NS6detail15normal_iteratorINSA_10device_ptrIyEEEEPS6_NSA_18transform_iteratorINSB_9not_fun_tI7is_trueIyEEENSC_INSD_IbEEEENSA_11use_defaultESO_EENS0_5tupleIJSF_S6_EEENSQ_IJSG_SG_EEES6_PlJS6_EEE10hipError_tPvRmT3_T4_T5_T6_T7_T9_mT8_P12ihipStream_tbDpT10_ENKUlT_T0_E_clISt17integral_constantIbLb0EES1C_IbLb1EEEEDaS18_S19_EUlS18_E_NS1_11comp_targetILNS1_3genE5ELNS1_11target_archE942ELNS1_3gpuE9ELNS1_3repE0EEENS1_30default_config_static_selectorELNS0_4arch9wavefront6targetE0EEEvT1_.num_vgpr, 0
	.set _ZN7rocprim17ROCPRIM_400000_NS6detail17trampoline_kernelINS0_14default_configENS1_25partition_config_selectorILNS1_17partition_subalgoE5EyNS0_10empty_typeEbEEZZNS1_14partition_implILS5_5ELb0ES3_mN6thrust23THRUST_200600_302600_NS6detail15normal_iteratorINSA_10device_ptrIyEEEEPS6_NSA_18transform_iteratorINSB_9not_fun_tI7is_trueIyEEENSC_INSD_IbEEEENSA_11use_defaultESO_EENS0_5tupleIJSF_S6_EEENSQ_IJSG_SG_EEES6_PlJS6_EEE10hipError_tPvRmT3_T4_T5_T6_T7_T9_mT8_P12ihipStream_tbDpT10_ENKUlT_T0_E_clISt17integral_constantIbLb0EES1C_IbLb1EEEEDaS18_S19_EUlS18_E_NS1_11comp_targetILNS1_3genE5ELNS1_11target_archE942ELNS1_3gpuE9ELNS1_3repE0EEENS1_30default_config_static_selectorELNS0_4arch9wavefront6targetE0EEEvT1_.num_agpr, 0
	.set _ZN7rocprim17ROCPRIM_400000_NS6detail17trampoline_kernelINS0_14default_configENS1_25partition_config_selectorILNS1_17partition_subalgoE5EyNS0_10empty_typeEbEEZZNS1_14partition_implILS5_5ELb0ES3_mN6thrust23THRUST_200600_302600_NS6detail15normal_iteratorINSA_10device_ptrIyEEEEPS6_NSA_18transform_iteratorINSB_9not_fun_tI7is_trueIyEEENSC_INSD_IbEEEENSA_11use_defaultESO_EENS0_5tupleIJSF_S6_EEENSQ_IJSG_SG_EEES6_PlJS6_EEE10hipError_tPvRmT3_T4_T5_T6_T7_T9_mT8_P12ihipStream_tbDpT10_ENKUlT_T0_E_clISt17integral_constantIbLb0EES1C_IbLb1EEEEDaS18_S19_EUlS18_E_NS1_11comp_targetILNS1_3genE5ELNS1_11target_archE942ELNS1_3gpuE9ELNS1_3repE0EEENS1_30default_config_static_selectorELNS0_4arch9wavefront6targetE0EEEvT1_.numbered_sgpr, 0
	.set _ZN7rocprim17ROCPRIM_400000_NS6detail17trampoline_kernelINS0_14default_configENS1_25partition_config_selectorILNS1_17partition_subalgoE5EyNS0_10empty_typeEbEEZZNS1_14partition_implILS5_5ELb0ES3_mN6thrust23THRUST_200600_302600_NS6detail15normal_iteratorINSA_10device_ptrIyEEEEPS6_NSA_18transform_iteratorINSB_9not_fun_tI7is_trueIyEEENSC_INSD_IbEEEENSA_11use_defaultESO_EENS0_5tupleIJSF_S6_EEENSQ_IJSG_SG_EEES6_PlJS6_EEE10hipError_tPvRmT3_T4_T5_T6_T7_T9_mT8_P12ihipStream_tbDpT10_ENKUlT_T0_E_clISt17integral_constantIbLb0EES1C_IbLb1EEEEDaS18_S19_EUlS18_E_NS1_11comp_targetILNS1_3genE5ELNS1_11target_archE942ELNS1_3gpuE9ELNS1_3repE0EEENS1_30default_config_static_selectorELNS0_4arch9wavefront6targetE0EEEvT1_.num_named_barrier, 0
	.set _ZN7rocprim17ROCPRIM_400000_NS6detail17trampoline_kernelINS0_14default_configENS1_25partition_config_selectorILNS1_17partition_subalgoE5EyNS0_10empty_typeEbEEZZNS1_14partition_implILS5_5ELb0ES3_mN6thrust23THRUST_200600_302600_NS6detail15normal_iteratorINSA_10device_ptrIyEEEEPS6_NSA_18transform_iteratorINSB_9not_fun_tI7is_trueIyEEENSC_INSD_IbEEEENSA_11use_defaultESO_EENS0_5tupleIJSF_S6_EEENSQ_IJSG_SG_EEES6_PlJS6_EEE10hipError_tPvRmT3_T4_T5_T6_T7_T9_mT8_P12ihipStream_tbDpT10_ENKUlT_T0_E_clISt17integral_constantIbLb0EES1C_IbLb1EEEEDaS18_S19_EUlS18_E_NS1_11comp_targetILNS1_3genE5ELNS1_11target_archE942ELNS1_3gpuE9ELNS1_3repE0EEENS1_30default_config_static_selectorELNS0_4arch9wavefront6targetE0EEEvT1_.private_seg_size, 0
	.set _ZN7rocprim17ROCPRIM_400000_NS6detail17trampoline_kernelINS0_14default_configENS1_25partition_config_selectorILNS1_17partition_subalgoE5EyNS0_10empty_typeEbEEZZNS1_14partition_implILS5_5ELb0ES3_mN6thrust23THRUST_200600_302600_NS6detail15normal_iteratorINSA_10device_ptrIyEEEEPS6_NSA_18transform_iteratorINSB_9not_fun_tI7is_trueIyEEENSC_INSD_IbEEEENSA_11use_defaultESO_EENS0_5tupleIJSF_S6_EEENSQ_IJSG_SG_EEES6_PlJS6_EEE10hipError_tPvRmT3_T4_T5_T6_T7_T9_mT8_P12ihipStream_tbDpT10_ENKUlT_T0_E_clISt17integral_constantIbLb0EES1C_IbLb1EEEEDaS18_S19_EUlS18_E_NS1_11comp_targetILNS1_3genE5ELNS1_11target_archE942ELNS1_3gpuE9ELNS1_3repE0EEENS1_30default_config_static_selectorELNS0_4arch9wavefront6targetE0EEEvT1_.uses_vcc, 0
	.set _ZN7rocprim17ROCPRIM_400000_NS6detail17trampoline_kernelINS0_14default_configENS1_25partition_config_selectorILNS1_17partition_subalgoE5EyNS0_10empty_typeEbEEZZNS1_14partition_implILS5_5ELb0ES3_mN6thrust23THRUST_200600_302600_NS6detail15normal_iteratorINSA_10device_ptrIyEEEEPS6_NSA_18transform_iteratorINSB_9not_fun_tI7is_trueIyEEENSC_INSD_IbEEEENSA_11use_defaultESO_EENS0_5tupleIJSF_S6_EEENSQ_IJSG_SG_EEES6_PlJS6_EEE10hipError_tPvRmT3_T4_T5_T6_T7_T9_mT8_P12ihipStream_tbDpT10_ENKUlT_T0_E_clISt17integral_constantIbLb0EES1C_IbLb1EEEEDaS18_S19_EUlS18_E_NS1_11comp_targetILNS1_3genE5ELNS1_11target_archE942ELNS1_3gpuE9ELNS1_3repE0EEENS1_30default_config_static_selectorELNS0_4arch9wavefront6targetE0EEEvT1_.uses_flat_scratch, 0
	.set _ZN7rocprim17ROCPRIM_400000_NS6detail17trampoline_kernelINS0_14default_configENS1_25partition_config_selectorILNS1_17partition_subalgoE5EyNS0_10empty_typeEbEEZZNS1_14partition_implILS5_5ELb0ES3_mN6thrust23THRUST_200600_302600_NS6detail15normal_iteratorINSA_10device_ptrIyEEEEPS6_NSA_18transform_iteratorINSB_9not_fun_tI7is_trueIyEEENSC_INSD_IbEEEENSA_11use_defaultESO_EENS0_5tupleIJSF_S6_EEENSQ_IJSG_SG_EEES6_PlJS6_EEE10hipError_tPvRmT3_T4_T5_T6_T7_T9_mT8_P12ihipStream_tbDpT10_ENKUlT_T0_E_clISt17integral_constantIbLb0EES1C_IbLb1EEEEDaS18_S19_EUlS18_E_NS1_11comp_targetILNS1_3genE5ELNS1_11target_archE942ELNS1_3gpuE9ELNS1_3repE0EEENS1_30default_config_static_selectorELNS0_4arch9wavefront6targetE0EEEvT1_.has_dyn_sized_stack, 0
	.set _ZN7rocprim17ROCPRIM_400000_NS6detail17trampoline_kernelINS0_14default_configENS1_25partition_config_selectorILNS1_17partition_subalgoE5EyNS0_10empty_typeEbEEZZNS1_14partition_implILS5_5ELb0ES3_mN6thrust23THRUST_200600_302600_NS6detail15normal_iteratorINSA_10device_ptrIyEEEEPS6_NSA_18transform_iteratorINSB_9not_fun_tI7is_trueIyEEENSC_INSD_IbEEEENSA_11use_defaultESO_EENS0_5tupleIJSF_S6_EEENSQ_IJSG_SG_EEES6_PlJS6_EEE10hipError_tPvRmT3_T4_T5_T6_T7_T9_mT8_P12ihipStream_tbDpT10_ENKUlT_T0_E_clISt17integral_constantIbLb0EES1C_IbLb1EEEEDaS18_S19_EUlS18_E_NS1_11comp_targetILNS1_3genE5ELNS1_11target_archE942ELNS1_3gpuE9ELNS1_3repE0EEENS1_30default_config_static_selectorELNS0_4arch9wavefront6targetE0EEEvT1_.has_recursion, 0
	.set _ZN7rocprim17ROCPRIM_400000_NS6detail17trampoline_kernelINS0_14default_configENS1_25partition_config_selectorILNS1_17partition_subalgoE5EyNS0_10empty_typeEbEEZZNS1_14partition_implILS5_5ELb0ES3_mN6thrust23THRUST_200600_302600_NS6detail15normal_iteratorINSA_10device_ptrIyEEEEPS6_NSA_18transform_iteratorINSB_9not_fun_tI7is_trueIyEEENSC_INSD_IbEEEENSA_11use_defaultESO_EENS0_5tupleIJSF_S6_EEENSQ_IJSG_SG_EEES6_PlJS6_EEE10hipError_tPvRmT3_T4_T5_T6_T7_T9_mT8_P12ihipStream_tbDpT10_ENKUlT_T0_E_clISt17integral_constantIbLb0EES1C_IbLb1EEEEDaS18_S19_EUlS18_E_NS1_11comp_targetILNS1_3genE5ELNS1_11target_archE942ELNS1_3gpuE9ELNS1_3repE0EEENS1_30default_config_static_selectorELNS0_4arch9wavefront6targetE0EEEvT1_.has_indirect_call, 0
	.section	.AMDGPU.csdata,"",@progbits
; Kernel info:
; codeLenInByte = 0
; TotalNumSgprs: 0
; NumVgprs: 0
; ScratchSize: 0
; MemoryBound: 0
; FloatMode: 240
; IeeeMode: 1
; LDSByteSize: 0 bytes/workgroup (compile time only)
; SGPRBlocks: 0
; VGPRBlocks: 0
; NumSGPRsForWavesPerEU: 1
; NumVGPRsForWavesPerEU: 1
; Occupancy: 16
; WaveLimiterHint : 0
; COMPUTE_PGM_RSRC2:SCRATCH_EN: 0
; COMPUTE_PGM_RSRC2:USER_SGPR: 2
; COMPUTE_PGM_RSRC2:TRAP_HANDLER: 0
; COMPUTE_PGM_RSRC2:TGID_X_EN: 1
; COMPUTE_PGM_RSRC2:TGID_Y_EN: 0
; COMPUTE_PGM_RSRC2:TGID_Z_EN: 0
; COMPUTE_PGM_RSRC2:TIDIG_COMP_CNT: 0
	.section	.text._ZN7rocprim17ROCPRIM_400000_NS6detail17trampoline_kernelINS0_14default_configENS1_25partition_config_selectorILNS1_17partition_subalgoE5EyNS0_10empty_typeEbEEZZNS1_14partition_implILS5_5ELb0ES3_mN6thrust23THRUST_200600_302600_NS6detail15normal_iteratorINSA_10device_ptrIyEEEEPS6_NSA_18transform_iteratorINSB_9not_fun_tI7is_trueIyEEENSC_INSD_IbEEEENSA_11use_defaultESO_EENS0_5tupleIJSF_S6_EEENSQ_IJSG_SG_EEES6_PlJS6_EEE10hipError_tPvRmT3_T4_T5_T6_T7_T9_mT8_P12ihipStream_tbDpT10_ENKUlT_T0_E_clISt17integral_constantIbLb0EES1C_IbLb1EEEEDaS18_S19_EUlS18_E_NS1_11comp_targetILNS1_3genE4ELNS1_11target_archE910ELNS1_3gpuE8ELNS1_3repE0EEENS1_30default_config_static_selectorELNS0_4arch9wavefront6targetE0EEEvT1_,"axG",@progbits,_ZN7rocprim17ROCPRIM_400000_NS6detail17trampoline_kernelINS0_14default_configENS1_25partition_config_selectorILNS1_17partition_subalgoE5EyNS0_10empty_typeEbEEZZNS1_14partition_implILS5_5ELb0ES3_mN6thrust23THRUST_200600_302600_NS6detail15normal_iteratorINSA_10device_ptrIyEEEEPS6_NSA_18transform_iteratorINSB_9not_fun_tI7is_trueIyEEENSC_INSD_IbEEEENSA_11use_defaultESO_EENS0_5tupleIJSF_S6_EEENSQ_IJSG_SG_EEES6_PlJS6_EEE10hipError_tPvRmT3_T4_T5_T6_T7_T9_mT8_P12ihipStream_tbDpT10_ENKUlT_T0_E_clISt17integral_constantIbLb0EES1C_IbLb1EEEEDaS18_S19_EUlS18_E_NS1_11comp_targetILNS1_3genE4ELNS1_11target_archE910ELNS1_3gpuE8ELNS1_3repE0EEENS1_30default_config_static_selectorELNS0_4arch9wavefront6targetE0EEEvT1_,comdat
	.protected	_ZN7rocprim17ROCPRIM_400000_NS6detail17trampoline_kernelINS0_14default_configENS1_25partition_config_selectorILNS1_17partition_subalgoE5EyNS0_10empty_typeEbEEZZNS1_14partition_implILS5_5ELb0ES3_mN6thrust23THRUST_200600_302600_NS6detail15normal_iteratorINSA_10device_ptrIyEEEEPS6_NSA_18transform_iteratorINSB_9not_fun_tI7is_trueIyEEENSC_INSD_IbEEEENSA_11use_defaultESO_EENS0_5tupleIJSF_S6_EEENSQ_IJSG_SG_EEES6_PlJS6_EEE10hipError_tPvRmT3_T4_T5_T6_T7_T9_mT8_P12ihipStream_tbDpT10_ENKUlT_T0_E_clISt17integral_constantIbLb0EES1C_IbLb1EEEEDaS18_S19_EUlS18_E_NS1_11comp_targetILNS1_3genE4ELNS1_11target_archE910ELNS1_3gpuE8ELNS1_3repE0EEENS1_30default_config_static_selectorELNS0_4arch9wavefront6targetE0EEEvT1_ ; -- Begin function _ZN7rocprim17ROCPRIM_400000_NS6detail17trampoline_kernelINS0_14default_configENS1_25partition_config_selectorILNS1_17partition_subalgoE5EyNS0_10empty_typeEbEEZZNS1_14partition_implILS5_5ELb0ES3_mN6thrust23THRUST_200600_302600_NS6detail15normal_iteratorINSA_10device_ptrIyEEEEPS6_NSA_18transform_iteratorINSB_9not_fun_tI7is_trueIyEEENSC_INSD_IbEEEENSA_11use_defaultESO_EENS0_5tupleIJSF_S6_EEENSQ_IJSG_SG_EEES6_PlJS6_EEE10hipError_tPvRmT3_T4_T5_T6_T7_T9_mT8_P12ihipStream_tbDpT10_ENKUlT_T0_E_clISt17integral_constantIbLb0EES1C_IbLb1EEEEDaS18_S19_EUlS18_E_NS1_11comp_targetILNS1_3genE4ELNS1_11target_archE910ELNS1_3gpuE8ELNS1_3repE0EEENS1_30default_config_static_selectorELNS0_4arch9wavefront6targetE0EEEvT1_
	.globl	_ZN7rocprim17ROCPRIM_400000_NS6detail17trampoline_kernelINS0_14default_configENS1_25partition_config_selectorILNS1_17partition_subalgoE5EyNS0_10empty_typeEbEEZZNS1_14partition_implILS5_5ELb0ES3_mN6thrust23THRUST_200600_302600_NS6detail15normal_iteratorINSA_10device_ptrIyEEEEPS6_NSA_18transform_iteratorINSB_9not_fun_tI7is_trueIyEEENSC_INSD_IbEEEENSA_11use_defaultESO_EENS0_5tupleIJSF_S6_EEENSQ_IJSG_SG_EEES6_PlJS6_EEE10hipError_tPvRmT3_T4_T5_T6_T7_T9_mT8_P12ihipStream_tbDpT10_ENKUlT_T0_E_clISt17integral_constantIbLb0EES1C_IbLb1EEEEDaS18_S19_EUlS18_E_NS1_11comp_targetILNS1_3genE4ELNS1_11target_archE910ELNS1_3gpuE8ELNS1_3repE0EEENS1_30default_config_static_selectorELNS0_4arch9wavefront6targetE0EEEvT1_
	.p2align	8
	.type	_ZN7rocprim17ROCPRIM_400000_NS6detail17trampoline_kernelINS0_14default_configENS1_25partition_config_selectorILNS1_17partition_subalgoE5EyNS0_10empty_typeEbEEZZNS1_14partition_implILS5_5ELb0ES3_mN6thrust23THRUST_200600_302600_NS6detail15normal_iteratorINSA_10device_ptrIyEEEEPS6_NSA_18transform_iteratorINSB_9not_fun_tI7is_trueIyEEENSC_INSD_IbEEEENSA_11use_defaultESO_EENS0_5tupleIJSF_S6_EEENSQ_IJSG_SG_EEES6_PlJS6_EEE10hipError_tPvRmT3_T4_T5_T6_T7_T9_mT8_P12ihipStream_tbDpT10_ENKUlT_T0_E_clISt17integral_constantIbLb0EES1C_IbLb1EEEEDaS18_S19_EUlS18_E_NS1_11comp_targetILNS1_3genE4ELNS1_11target_archE910ELNS1_3gpuE8ELNS1_3repE0EEENS1_30default_config_static_selectorELNS0_4arch9wavefront6targetE0EEEvT1_,@function
_ZN7rocprim17ROCPRIM_400000_NS6detail17trampoline_kernelINS0_14default_configENS1_25partition_config_selectorILNS1_17partition_subalgoE5EyNS0_10empty_typeEbEEZZNS1_14partition_implILS5_5ELb0ES3_mN6thrust23THRUST_200600_302600_NS6detail15normal_iteratorINSA_10device_ptrIyEEEEPS6_NSA_18transform_iteratorINSB_9not_fun_tI7is_trueIyEEENSC_INSD_IbEEEENSA_11use_defaultESO_EENS0_5tupleIJSF_S6_EEENSQ_IJSG_SG_EEES6_PlJS6_EEE10hipError_tPvRmT3_T4_T5_T6_T7_T9_mT8_P12ihipStream_tbDpT10_ENKUlT_T0_E_clISt17integral_constantIbLb0EES1C_IbLb1EEEEDaS18_S19_EUlS18_E_NS1_11comp_targetILNS1_3genE4ELNS1_11target_archE910ELNS1_3gpuE8ELNS1_3repE0EEENS1_30default_config_static_selectorELNS0_4arch9wavefront6targetE0EEEvT1_: ; @_ZN7rocprim17ROCPRIM_400000_NS6detail17trampoline_kernelINS0_14default_configENS1_25partition_config_selectorILNS1_17partition_subalgoE5EyNS0_10empty_typeEbEEZZNS1_14partition_implILS5_5ELb0ES3_mN6thrust23THRUST_200600_302600_NS6detail15normal_iteratorINSA_10device_ptrIyEEEEPS6_NSA_18transform_iteratorINSB_9not_fun_tI7is_trueIyEEENSC_INSD_IbEEEENSA_11use_defaultESO_EENS0_5tupleIJSF_S6_EEENSQ_IJSG_SG_EEES6_PlJS6_EEE10hipError_tPvRmT3_T4_T5_T6_T7_T9_mT8_P12ihipStream_tbDpT10_ENKUlT_T0_E_clISt17integral_constantIbLb0EES1C_IbLb1EEEEDaS18_S19_EUlS18_E_NS1_11comp_targetILNS1_3genE4ELNS1_11target_archE910ELNS1_3gpuE8ELNS1_3repE0EEENS1_30default_config_static_selectorELNS0_4arch9wavefront6targetE0EEEvT1_
; %bb.0:
	.section	.rodata,"a",@progbits
	.p2align	6, 0x0
	.amdhsa_kernel _ZN7rocprim17ROCPRIM_400000_NS6detail17trampoline_kernelINS0_14default_configENS1_25partition_config_selectorILNS1_17partition_subalgoE5EyNS0_10empty_typeEbEEZZNS1_14partition_implILS5_5ELb0ES3_mN6thrust23THRUST_200600_302600_NS6detail15normal_iteratorINSA_10device_ptrIyEEEEPS6_NSA_18transform_iteratorINSB_9not_fun_tI7is_trueIyEEENSC_INSD_IbEEEENSA_11use_defaultESO_EENS0_5tupleIJSF_S6_EEENSQ_IJSG_SG_EEES6_PlJS6_EEE10hipError_tPvRmT3_T4_T5_T6_T7_T9_mT8_P12ihipStream_tbDpT10_ENKUlT_T0_E_clISt17integral_constantIbLb0EES1C_IbLb1EEEEDaS18_S19_EUlS18_E_NS1_11comp_targetILNS1_3genE4ELNS1_11target_archE910ELNS1_3gpuE8ELNS1_3repE0EEENS1_30default_config_static_selectorELNS0_4arch9wavefront6targetE0EEEvT1_
		.amdhsa_group_segment_fixed_size 0
		.amdhsa_private_segment_fixed_size 0
		.amdhsa_kernarg_size 136
		.amdhsa_user_sgpr_count 2
		.amdhsa_user_sgpr_dispatch_ptr 0
		.amdhsa_user_sgpr_queue_ptr 0
		.amdhsa_user_sgpr_kernarg_segment_ptr 1
		.amdhsa_user_sgpr_dispatch_id 0
		.amdhsa_user_sgpr_private_segment_size 0
		.amdhsa_wavefront_size32 1
		.amdhsa_uses_dynamic_stack 0
		.amdhsa_enable_private_segment 0
		.amdhsa_system_sgpr_workgroup_id_x 1
		.amdhsa_system_sgpr_workgroup_id_y 0
		.amdhsa_system_sgpr_workgroup_id_z 0
		.amdhsa_system_sgpr_workgroup_info 0
		.amdhsa_system_vgpr_workitem_id 0
		.amdhsa_next_free_vgpr 1
		.amdhsa_next_free_sgpr 1
		.amdhsa_reserve_vcc 0
		.amdhsa_float_round_mode_32 0
		.amdhsa_float_round_mode_16_64 0
		.amdhsa_float_denorm_mode_32 3
		.amdhsa_float_denorm_mode_16_64 3
		.amdhsa_fp16_overflow 0
		.amdhsa_workgroup_processor_mode 1
		.amdhsa_memory_ordered 1
		.amdhsa_forward_progress 1
		.amdhsa_inst_pref_size 0
		.amdhsa_round_robin_scheduling 0
		.amdhsa_exception_fp_ieee_invalid_op 0
		.amdhsa_exception_fp_denorm_src 0
		.amdhsa_exception_fp_ieee_div_zero 0
		.amdhsa_exception_fp_ieee_overflow 0
		.amdhsa_exception_fp_ieee_underflow 0
		.amdhsa_exception_fp_ieee_inexact 0
		.amdhsa_exception_int_div_zero 0
	.end_amdhsa_kernel
	.section	.text._ZN7rocprim17ROCPRIM_400000_NS6detail17trampoline_kernelINS0_14default_configENS1_25partition_config_selectorILNS1_17partition_subalgoE5EyNS0_10empty_typeEbEEZZNS1_14partition_implILS5_5ELb0ES3_mN6thrust23THRUST_200600_302600_NS6detail15normal_iteratorINSA_10device_ptrIyEEEEPS6_NSA_18transform_iteratorINSB_9not_fun_tI7is_trueIyEEENSC_INSD_IbEEEENSA_11use_defaultESO_EENS0_5tupleIJSF_S6_EEENSQ_IJSG_SG_EEES6_PlJS6_EEE10hipError_tPvRmT3_T4_T5_T6_T7_T9_mT8_P12ihipStream_tbDpT10_ENKUlT_T0_E_clISt17integral_constantIbLb0EES1C_IbLb1EEEEDaS18_S19_EUlS18_E_NS1_11comp_targetILNS1_3genE4ELNS1_11target_archE910ELNS1_3gpuE8ELNS1_3repE0EEENS1_30default_config_static_selectorELNS0_4arch9wavefront6targetE0EEEvT1_,"axG",@progbits,_ZN7rocprim17ROCPRIM_400000_NS6detail17trampoline_kernelINS0_14default_configENS1_25partition_config_selectorILNS1_17partition_subalgoE5EyNS0_10empty_typeEbEEZZNS1_14partition_implILS5_5ELb0ES3_mN6thrust23THRUST_200600_302600_NS6detail15normal_iteratorINSA_10device_ptrIyEEEEPS6_NSA_18transform_iteratorINSB_9not_fun_tI7is_trueIyEEENSC_INSD_IbEEEENSA_11use_defaultESO_EENS0_5tupleIJSF_S6_EEENSQ_IJSG_SG_EEES6_PlJS6_EEE10hipError_tPvRmT3_T4_T5_T6_T7_T9_mT8_P12ihipStream_tbDpT10_ENKUlT_T0_E_clISt17integral_constantIbLb0EES1C_IbLb1EEEEDaS18_S19_EUlS18_E_NS1_11comp_targetILNS1_3genE4ELNS1_11target_archE910ELNS1_3gpuE8ELNS1_3repE0EEENS1_30default_config_static_selectorELNS0_4arch9wavefront6targetE0EEEvT1_,comdat
.Lfunc_end2423:
	.size	_ZN7rocprim17ROCPRIM_400000_NS6detail17trampoline_kernelINS0_14default_configENS1_25partition_config_selectorILNS1_17partition_subalgoE5EyNS0_10empty_typeEbEEZZNS1_14partition_implILS5_5ELb0ES3_mN6thrust23THRUST_200600_302600_NS6detail15normal_iteratorINSA_10device_ptrIyEEEEPS6_NSA_18transform_iteratorINSB_9not_fun_tI7is_trueIyEEENSC_INSD_IbEEEENSA_11use_defaultESO_EENS0_5tupleIJSF_S6_EEENSQ_IJSG_SG_EEES6_PlJS6_EEE10hipError_tPvRmT3_T4_T5_T6_T7_T9_mT8_P12ihipStream_tbDpT10_ENKUlT_T0_E_clISt17integral_constantIbLb0EES1C_IbLb1EEEEDaS18_S19_EUlS18_E_NS1_11comp_targetILNS1_3genE4ELNS1_11target_archE910ELNS1_3gpuE8ELNS1_3repE0EEENS1_30default_config_static_selectorELNS0_4arch9wavefront6targetE0EEEvT1_, .Lfunc_end2423-_ZN7rocprim17ROCPRIM_400000_NS6detail17trampoline_kernelINS0_14default_configENS1_25partition_config_selectorILNS1_17partition_subalgoE5EyNS0_10empty_typeEbEEZZNS1_14partition_implILS5_5ELb0ES3_mN6thrust23THRUST_200600_302600_NS6detail15normal_iteratorINSA_10device_ptrIyEEEEPS6_NSA_18transform_iteratorINSB_9not_fun_tI7is_trueIyEEENSC_INSD_IbEEEENSA_11use_defaultESO_EENS0_5tupleIJSF_S6_EEENSQ_IJSG_SG_EEES6_PlJS6_EEE10hipError_tPvRmT3_T4_T5_T6_T7_T9_mT8_P12ihipStream_tbDpT10_ENKUlT_T0_E_clISt17integral_constantIbLb0EES1C_IbLb1EEEEDaS18_S19_EUlS18_E_NS1_11comp_targetILNS1_3genE4ELNS1_11target_archE910ELNS1_3gpuE8ELNS1_3repE0EEENS1_30default_config_static_selectorELNS0_4arch9wavefront6targetE0EEEvT1_
                                        ; -- End function
	.set _ZN7rocprim17ROCPRIM_400000_NS6detail17trampoline_kernelINS0_14default_configENS1_25partition_config_selectorILNS1_17partition_subalgoE5EyNS0_10empty_typeEbEEZZNS1_14partition_implILS5_5ELb0ES3_mN6thrust23THRUST_200600_302600_NS6detail15normal_iteratorINSA_10device_ptrIyEEEEPS6_NSA_18transform_iteratorINSB_9not_fun_tI7is_trueIyEEENSC_INSD_IbEEEENSA_11use_defaultESO_EENS0_5tupleIJSF_S6_EEENSQ_IJSG_SG_EEES6_PlJS6_EEE10hipError_tPvRmT3_T4_T5_T6_T7_T9_mT8_P12ihipStream_tbDpT10_ENKUlT_T0_E_clISt17integral_constantIbLb0EES1C_IbLb1EEEEDaS18_S19_EUlS18_E_NS1_11comp_targetILNS1_3genE4ELNS1_11target_archE910ELNS1_3gpuE8ELNS1_3repE0EEENS1_30default_config_static_selectorELNS0_4arch9wavefront6targetE0EEEvT1_.num_vgpr, 0
	.set _ZN7rocprim17ROCPRIM_400000_NS6detail17trampoline_kernelINS0_14default_configENS1_25partition_config_selectorILNS1_17partition_subalgoE5EyNS0_10empty_typeEbEEZZNS1_14partition_implILS5_5ELb0ES3_mN6thrust23THRUST_200600_302600_NS6detail15normal_iteratorINSA_10device_ptrIyEEEEPS6_NSA_18transform_iteratorINSB_9not_fun_tI7is_trueIyEEENSC_INSD_IbEEEENSA_11use_defaultESO_EENS0_5tupleIJSF_S6_EEENSQ_IJSG_SG_EEES6_PlJS6_EEE10hipError_tPvRmT3_T4_T5_T6_T7_T9_mT8_P12ihipStream_tbDpT10_ENKUlT_T0_E_clISt17integral_constantIbLb0EES1C_IbLb1EEEEDaS18_S19_EUlS18_E_NS1_11comp_targetILNS1_3genE4ELNS1_11target_archE910ELNS1_3gpuE8ELNS1_3repE0EEENS1_30default_config_static_selectorELNS0_4arch9wavefront6targetE0EEEvT1_.num_agpr, 0
	.set _ZN7rocprim17ROCPRIM_400000_NS6detail17trampoline_kernelINS0_14default_configENS1_25partition_config_selectorILNS1_17partition_subalgoE5EyNS0_10empty_typeEbEEZZNS1_14partition_implILS5_5ELb0ES3_mN6thrust23THRUST_200600_302600_NS6detail15normal_iteratorINSA_10device_ptrIyEEEEPS6_NSA_18transform_iteratorINSB_9not_fun_tI7is_trueIyEEENSC_INSD_IbEEEENSA_11use_defaultESO_EENS0_5tupleIJSF_S6_EEENSQ_IJSG_SG_EEES6_PlJS6_EEE10hipError_tPvRmT3_T4_T5_T6_T7_T9_mT8_P12ihipStream_tbDpT10_ENKUlT_T0_E_clISt17integral_constantIbLb0EES1C_IbLb1EEEEDaS18_S19_EUlS18_E_NS1_11comp_targetILNS1_3genE4ELNS1_11target_archE910ELNS1_3gpuE8ELNS1_3repE0EEENS1_30default_config_static_selectorELNS0_4arch9wavefront6targetE0EEEvT1_.numbered_sgpr, 0
	.set _ZN7rocprim17ROCPRIM_400000_NS6detail17trampoline_kernelINS0_14default_configENS1_25partition_config_selectorILNS1_17partition_subalgoE5EyNS0_10empty_typeEbEEZZNS1_14partition_implILS5_5ELb0ES3_mN6thrust23THRUST_200600_302600_NS6detail15normal_iteratorINSA_10device_ptrIyEEEEPS6_NSA_18transform_iteratorINSB_9not_fun_tI7is_trueIyEEENSC_INSD_IbEEEENSA_11use_defaultESO_EENS0_5tupleIJSF_S6_EEENSQ_IJSG_SG_EEES6_PlJS6_EEE10hipError_tPvRmT3_T4_T5_T6_T7_T9_mT8_P12ihipStream_tbDpT10_ENKUlT_T0_E_clISt17integral_constantIbLb0EES1C_IbLb1EEEEDaS18_S19_EUlS18_E_NS1_11comp_targetILNS1_3genE4ELNS1_11target_archE910ELNS1_3gpuE8ELNS1_3repE0EEENS1_30default_config_static_selectorELNS0_4arch9wavefront6targetE0EEEvT1_.num_named_barrier, 0
	.set _ZN7rocprim17ROCPRIM_400000_NS6detail17trampoline_kernelINS0_14default_configENS1_25partition_config_selectorILNS1_17partition_subalgoE5EyNS0_10empty_typeEbEEZZNS1_14partition_implILS5_5ELb0ES3_mN6thrust23THRUST_200600_302600_NS6detail15normal_iteratorINSA_10device_ptrIyEEEEPS6_NSA_18transform_iteratorINSB_9not_fun_tI7is_trueIyEEENSC_INSD_IbEEEENSA_11use_defaultESO_EENS0_5tupleIJSF_S6_EEENSQ_IJSG_SG_EEES6_PlJS6_EEE10hipError_tPvRmT3_T4_T5_T6_T7_T9_mT8_P12ihipStream_tbDpT10_ENKUlT_T0_E_clISt17integral_constantIbLb0EES1C_IbLb1EEEEDaS18_S19_EUlS18_E_NS1_11comp_targetILNS1_3genE4ELNS1_11target_archE910ELNS1_3gpuE8ELNS1_3repE0EEENS1_30default_config_static_selectorELNS0_4arch9wavefront6targetE0EEEvT1_.private_seg_size, 0
	.set _ZN7rocprim17ROCPRIM_400000_NS6detail17trampoline_kernelINS0_14default_configENS1_25partition_config_selectorILNS1_17partition_subalgoE5EyNS0_10empty_typeEbEEZZNS1_14partition_implILS5_5ELb0ES3_mN6thrust23THRUST_200600_302600_NS6detail15normal_iteratorINSA_10device_ptrIyEEEEPS6_NSA_18transform_iteratorINSB_9not_fun_tI7is_trueIyEEENSC_INSD_IbEEEENSA_11use_defaultESO_EENS0_5tupleIJSF_S6_EEENSQ_IJSG_SG_EEES6_PlJS6_EEE10hipError_tPvRmT3_T4_T5_T6_T7_T9_mT8_P12ihipStream_tbDpT10_ENKUlT_T0_E_clISt17integral_constantIbLb0EES1C_IbLb1EEEEDaS18_S19_EUlS18_E_NS1_11comp_targetILNS1_3genE4ELNS1_11target_archE910ELNS1_3gpuE8ELNS1_3repE0EEENS1_30default_config_static_selectorELNS0_4arch9wavefront6targetE0EEEvT1_.uses_vcc, 0
	.set _ZN7rocprim17ROCPRIM_400000_NS6detail17trampoline_kernelINS0_14default_configENS1_25partition_config_selectorILNS1_17partition_subalgoE5EyNS0_10empty_typeEbEEZZNS1_14partition_implILS5_5ELb0ES3_mN6thrust23THRUST_200600_302600_NS6detail15normal_iteratorINSA_10device_ptrIyEEEEPS6_NSA_18transform_iteratorINSB_9not_fun_tI7is_trueIyEEENSC_INSD_IbEEEENSA_11use_defaultESO_EENS0_5tupleIJSF_S6_EEENSQ_IJSG_SG_EEES6_PlJS6_EEE10hipError_tPvRmT3_T4_T5_T6_T7_T9_mT8_P12ihipStream_tbDpT10_ENKUlT_T0_E_clISt17integral_constantIbLb0EES1C_IbLb1EEEEDaS18_S19_EUlS18_E_NS1_11comp_targetILNS1_3genE4ELNS1_11target_archE910ELNS1_3gpuE8ELNS1_3repE0EEENS1_30default_config_static_selectorELNS0_4arch9wavefront6targetE0EEEvT1_.uses_flat_scratch, 0
	.set _ZN7rocprim17ROCPRIM_400000_NS6detail17trampoline_kernelINS0_14default_configENS1_25partition_config_selectorILNS1_17partition_subalgoE5EyNS0_10empty_typeEbEEZZNS1_14partition_implILS5_5ELb0ES3_mN6thrust23THRUST_200600_302600_NS6detail15normal_iteratorINSA_10device_ptrIyEEEEPS6_NSA_18transform_iteratorINSB_9not_fun_tI7is_trueIyEEENSC_INSD_IbEEEENSA_11use_defaultESO_EENS0_5tupleIJSF_S6_EEENSQ_IJSG_SG_EEES6_PlJS6_EEE10hipError_tPvRmT3_T4_T5_T6_T7_T9_mT8_P12ihipStream_tbDpT10_ENKUlT_T0_E_clISt17integral_constantIbLb0EES1C_IbLb1EEEEDaS18_S19_EUlS18_E_NS1_11comp_targetILNS1_3genE4ELNS1_11target_archE910ELNS1_3gpuE8ELNS1_3repE0EEENS1_30default_config_static_selectorELNS0_4arch9wavefront6targetE0EEEvT1_.has_dyn_sized_stack, 0
	.set _ZN7rocprim17ROCPRIM_400000_NS6detail17trampoline_kernelINS0_14default_configENS1_25partition_config_selectorILNS1_17partition_subalgoE5EyNS0_10empty_typeEbEEZZNS1_14partition_implILS5_5ELb0ES3_mN6thrust23THRUST_200600_302600_NS6detail15normal_iteratorINSA_10device_ptrIyEEEEPS6_NSA_18transform_iteratorINSB_9not_fun_tI7is_trueIyEEENSC_INSD_IbEEEENSA_11use_defaultESO_EENS0_5tupleIJSF_S6_EEENSQ_IJSG_SG_EEES6_PlJS6_EEE10hipError_tPvRmT3_T4_T5_T6_T7_T9_mT8_P12ihipStream_tbDpT10_ENKUlT_T0_E_clISt17integral_constantIbLb0EES1C_IbLb1EEEEDaS18_S19_EUlS18_E_NS1_11comp_targetILNS1_3genE4ELNS1_11target_archE910ELNS1_3gpuE8ELNS1_3repE0EEENS1_30default_config_static_selectorELNS0_4arch9wavefront6targetE0EEEvT1_.has_recursion, 0
	.set _ZN7rocprim17ROCPRIM_400000_NS6detail17trampoline_kernelINS0_14default_configENS1_25partition_config_selectorILNS1_17partition_subalgoE5EyNS0_10empty_typeEbEEZZNS1_14partition_implILS5_5ELb0ES3_mN6thrust23THRUST_200600_302600_NS6detail15normal_iteratorINSA_10device_ptrIyEEEEPS6_NSA_18transform_iteratorINSB_9not_fun_tI7is_trueIyEEENSC_INSD_IbEEEENSA_11use_defaultESO_EENS0_5tupleIJSF_S6_EEENSQ_IJSG_SG_EEES6_PlJS6_EEE10hipError_tPvRmT3_T4_T5_T6_T7_T9_mT8_P12ihipStream_tbDpT10_ENKUlT_T0_E_clISt17integral_constantIbLb0EES1C_IbLb1EEEEDaS18_S19_EUlS18_E_NS1_11comp_targetILNS1_3genE4ELNS1_11target_archE910ELNS1_3gpuE8ELNS1_3repE0EEENS1_30default_config_static_selectorELNS0_4arch9wavefront6targetE0EEEvT1_.has_indirect_call, 0
	.section	.AMDGPU.csdata,"",@progbits
; Kernel info:
; codeLenInByte = 0
; TotalNumSgprs: 0
; NumVgprs: 0
; ScratchSize: 0
; MemoryBound: 0
; FloatMode: 240
; IeeeMode: 1
; LDSByteSize: 0 bytes/workgroup (compile time only)
; SGPRBlocks: 0
; VGPRBlocks: 0
; NumSGPRsForWavesPerEU: 1
; NumVGPRsForWavesPerEU: 1
; Occupancy: 16
; WaveLimiterHint : 0
; COMPUTE_PGM_RSRC2:SCRATCH_EN: 0
; COMPUTE_PGM_RSRC2:USER_SGPR: 2
; COMPUTE_PGM_RSRC2:TRAP_HANDLER: 0
; COMPUTE_PGM_RSRC2:TGID_X_EN: 1
; COMPUTE_PGM_RSRC2:TGID_Y_EN: 0
; COMPUTE_PGM_RSRC2:TGID_Z_EN: 0
; COMPUTE_PGM_RSRC2:TIDIG_COMP_CNT: 0
	.section	.text._ZN7rocprim17ROCPRIM_400000_NS6detail17trampoline_kernelINS0_14default_configENS1_25partition_config_selectorILNS1_17partition_subalgoE5EyNS0_10empty_typeEbEEZZNS1_14partition_implILS5_5ELb0ES3_mN6thrust23THRUST_200600_302600_NS6detail15normal_iteratorINSA_10device_ptrIyEEEEPS6_NSA_18transform_iteratorINSB_9not_fun_tI7is_trueIyEEENSC_INSD_IbEEEENSA_11use_defaultESO_EENS0_5tupleIJSF_S6_EEENSQ_IJSG_SG_EEES6_PlJS6_EEE10hipError_tPvRmT3_T4_T5_T6_T7_T9_mT8_P12ihipStream_tbDpT10_ENKUlT_T0_E_clISt17integral_constantIbLb0EES1C_IbLb1EEEEDaS18_S19_EUlS18_E_NS1_11comp_targetILNS1_3genE3ELNS1_11target_archE908ELNS1_3gpuE7ELNS1_3repE0EEENS1_30default_config_static_selectorELNS0_4arch9wavefront6targetE0EEEvT1_,"axG",@progbits,_ZN7rocprim17ROCPRIM_400000_NS6detail17trampoline_kernelINS0_14default_configENS1_25partition_config_selectorILNS1_17partition_subalgoE5EyNS0_10empty_typeEbEEZZNS1_14partition_implILS5_5ELb0ES3_mN6thrust23THRUST_200600_302600_NS6detail15normal_iteratorINSA_10device_ptrIyEEEEPS6_NSA_18transform_iteratorINSB_9not_fun_tI7is_trueIyEEENSC_INSD_IbEEEENSA_11use_defaultESO_EENS0_5tupleIJSF_S6_EEENSQ_IJSG_SG_EEES6_PlJS6_EEE10hipError_tPvRmT3_T4_T5_T6_T7_T9_mT8_P12ihipStream_tbDpT10_ENKUlT_T0_E_clISt17integral_constantIbLb0EES1C_IbLb1EEEEDaS18_S19_EUlS18_E_NS1_11comp_targetILNS1_3genE3ELNS1_11target_archE908ELNS1_3gpuE7ELNS1_3repE0EEENS1_30default_config_static_selectorELNS0_4arch9wavefront6targetE0EEEvT1_,comdat
	.protected	_ZN7rocprim17ROCPRIM_400000_NS6detail17trampoline_kernelINS0_14default_configENS1_25partition_config_selectorILNS1_17partition_subalgoE5EyNS0_10empty_typeEbEEZZNS1_14partition_implILS5_5ELb0ES3_mN6thrust23THRUST_200600_302600_NS6detail15normal_iteratorINSA_10device_ptrIyEEEEPS6_NSA_18transform_iteratorINSB_9not_fun_tI7is_trueIyEEENSC_INSD_IbEEEENSA_11use_defaultESO_EENS0_5tupleIJSF_S6_EEENSQ_IJSG_SG_EEES6_PlJS6_EEE10hipError_tPvRmT3_T4_T5_T6_T7_T9_mT8_P12ihipStream_tbDpT10_ENKUlT_T0_E_clISt17integral_constantIbLb0EES1C_IbLb1EEEEDaS18_S19_EUlS18_E_NS1_11comp_targetILNS1_3genE3ELNS1_11target_archE908ELNS1_3gpuE7ELNS1_3repE0EEENS1_30default_config_static_selectorELNS0_4arch9wavefront6targetE0EEEvT1_ ; -- Begin function _ZN7rocprim17ROCPRIM_400000_NS6detail17trampoline_kernelINS0_14default_configENS1_25partition_config_selectorILNS1_17partition_subalgoE5EyNS0_10empty_typeEbEEZZNS1_14partition_implILS5_5ELb0ES3_mN6thrust23THRUST_200600_302600_NS6detail15normal_iteratorINSA_10device_ptrIyEEEEPS6_NSA_18transform_iteratorINSB_9not_fun_tI7is_trueIyEEENSC_INSD_IbEEEENSA_11use_defaultESO_EENS0_5tupleIJSF_S6_EEENSQ_IJSG_SG_EEES6_PlJS6_EEE10hipError_tPvRmT3_T4_T5_T6_T7_T9_mT8_P12ihipStream_tbDpT10_ENKUlT_T0_E_clISt17integral_constantIbLb0EES1C_IbLb1EEEEDaS18_S19_EUlS18_E_NS1_11comp_targetILNS1_3genE3ELNS1_11target_archE908ELNS1_3gpuE7ELNS1_3repE0EEENS1_30default_config_static_selectorELNS0_4arch9wavefront6targetE0EEEvT1_
	.globl	_ZN7rocprim17ROCPRIM_400000_NS6detail17trampoline_kernelINS0_14default_configENS1_25partition_config_selectorILNS1_17partition_subalgoE5EyNS0_10empty_typeEbEEZZNS1_14partition_implILS5_5ELb0ES3_mN6thrust23THRUST_200600_302600_NS6detail15normal_iteratorINSA_10device_ptrIyEEEEPS6_NSA_18transform_iteratorINSB_9not_fun_tI7is_trueIyEEENSC_INSD_IbEEEENSA_11use_defaultESO_EENS0_5tupleIJSF_S6_EEENSQ_IJSG_SG_EEES6_PlJS6_EEE10hipError_tPvRmT3_T4_T5_T6_T7_T9_mT8_P12ihipStream_tbDpT10_ENKUlT_T0_E_clISt17integral_constantIbLb0EES1C_IbLb1EEEEDaS18_S19_EUlS18_E_NS1_11comp_targetILNS1_3genE3ELNS1_11target_archE908ELNS1_3gpuE7ELNS1_3repE0EEENS1_30default_config_static_selectorELNS0_4arch9wavefront6targetE0EEEvT1_
	.p2align	8
	.type	_ZN7rocprim17ROCPRIM_400000_NS6detail17trampoline_kernelINS0_14default_configENS1_25partition_config_selectorILNS1_17partition_subalgoE5EyNS0_10empty_typeEbEEZZNS1_14partition_implILS5_5ELb0ES3_mN6thrust23THRUST_200600_302600_NS6detail15normal_iteratorINSA_10device_ptrIyEEEEPS6_NSA_18transform_iteratorINSB_9not_fun_tI7is_trueIyEEENSC_INSD_IbEEEENSA_11use_defaultESO_EENS0_5tupleIJSF_S6_EEENSQ_IJSG_SG_EEES6_PlJS6_EEE10hipError_tPvRmT3_T4_T5_T6_T7_T9_mT8_P12ihipStream_tbDpT10_ENKUlT_T0_E_clISt17integral_constantIbLb0EES1C_IbLb1EEEEDaS18_S19_EUlS18_E_NS1_11comp_targetILNS1_3genE3ELNS1_11target_archE908ELNS1_3gpuE7ELNS1_3repE0EEENS1_30default_config_static_selectorELNS0_4arch9wavefront6targetE0EEEvT1_,@function
_ZN7rocprim17ROCPRIM_400000_NS6detail17trampoline_kernelINS0_14default_configENS1_25partition_config_selectorILNS1_17partition_subalgoE5EyNS0_10empty_typeEbEEZZNS1_14partition_implILS5_5ELb0ES3_mN6thrust23THRUST_200600_302600_NS6detail15normal_iteratorINSA_10device_ptrIyEEEEPS6_NSA_18transform_iteratorINSB_9not_fun_tI7is_trueIyEEENSC_INSD_IbEEEENSA_11use_defaultESO_EENS0_5tupleIJSF_S6_EEENSQ_IJSG_SG_EEES6_PlJS6_EEE10hipError_tPvRmT3_T4_T5_T6_T7_T9_mT8_P12ihipStream_tbDpT10_ENKUlT_T0_E_clISt17integral_constantIbLb0EES1C_IbLb1EEEEDaS18_S19_EUlS18_E_NS1_11comp_targetILNS1_3genE3ELNS1_11target_archE908ELNS1_3gpuE7ELNS1_3repE0EEENS1_30default_config_static_selectorELNS0_4arch9wavefront6targetE0EEEvT1_: ; @_ZN7rocprim17ROCPRIM_400000_NS6detail17trampoline_kernelINS0_14default_configENS1_25partition_config_selectorILNS1_17partition_subalgoE5EyNS0_10empty_typeEbEEZZNS1_14partition_implILS5_5ELb0ES3_mN6thrust23THRUST_200600_302600_NS6detail15normal_iteratorINSA_10device_ptrIyEEEEPS6_NSA_18transform_iteratorINSB_9not_fun_tI7is_trueIyEEENSC_INSD_IbEEEENSA_11use_defaultESO_EENS0_5tupleIJSF_S6_EEENSQ_IJSG_SG_EEES6_PlJS6_EEE10hipError_tPvRmT3_T4_T5_T6_T7_T9_mT8_P12ihipStream_tbDpT10_ENKUlT_T0_E_clISt17integral_constantIbLb0EES1C_IbLb1EEEEDaS18_S19_EUlS18_E_NS1_11comp_targetILNS1_3genE3ELNS1_11target_archE908ELNS1_3gpuE7ELNS1_3repE0EEENS1_30default_config_static_selectorELNS0_4arch9wavefront6targetE0EEEvT1_
; %bb.0:
	.section	.rodata,"a",@progbits
	.p2align	6, 0x0
	.amdhsa_kernel _ZN7rocprim17ROCPRIM_400000_NS6detail17trampoline_kernelINS0_14default_configENS1_25partition_config_selectorILNS1_17partition_subalgoE5EyNS0_10empty_typeEbEEZZNS1_14partition_implILS5_5ELb0ES3_mN6thrust23THRUST_200600_302600_NS6detail15normal_iteratorINSA_10device_ptrIyEEEEPS6_NSA_18transform_iteratorINSB_9not_fun_tI7is_trueIyEEENSC_INSD_IbEEEENSA_11use_defaultESO_EENS0_5tupleIJSF_S6_EEENSQ_IJSG_SG_EEES6_PlJS6_EEE10hipError_tPvRmT3_T4_T5_T6_T7_T9_mT8_P12ihipStream_tbDpT10_ENKUlT_T0_E_clISt17integral_constantIbLb0EES1C_IbLb1EEEEDaS18_S19_EUlS18_E_NS1_11comp_targetILNS1_3genE3ELNS1_11target_archE908ELNS1_3gpuE7ELNS1_3repE0EEENS1_30default_config_static_selectorELNS0_4arch9wavefront6targetE0EEEvT1_
		.amdhsa_group_segment_fixed_size 0
		.amdhsa_private_segment_fixed_size 0
		.amdhsa_kernarg_size 136
		.amdhsa_user_sgpr_count 2
		.amdhsa_user_sgpr_dispatch_ptr 0
		.amdhsa_user_sgpr_queue_ptr 0
		.amdhsa_user_sgpr_kernarg_segment_ptr 1
		.amdhsa_user_sgpr_dispatch_id 0
		.amdhsa_user_sgpr_private_segment_size 0
		.amdhsa_wavefront_size32 1
		.amdhsa_uses_dynamic_stack 0
		.amdhsa_enable_private_segment 0
		.amdhsa_system_sgpr_workgroup_id_x 1
		.amdhsa_system_sgpr_workgroup_id_y 0
		.amdhsa_system_sgpr_workgroup_id_z 0
		.amdhsa_system_sgpr_workgroup_info 0
		.amdhsa_system_vgpr_workitem_id 0
		.amdhsa_next_free_vgpr 1
		.amdhsa_next_free_sgpr 1
		.amdhsa_reserve_vcc 0
		.amdhsa_float_round_mode_32 0
		.amdhsa_float_round_mode_16_64 0
		.amdhsa_float_denorm_mode_32 3
		.amdhsa_float_denorm_mode_16_64 3
		.amdhsa_fp16_overflow 0
		.amdhsa_workgroup_processor_mode 1
		.amdhsa_memory_ordered 1
		.amdhsa_forward_progress 1
		.amdhsa_inst_pref_size 0
		.amdhsa_round_robin_scheduling 0
		.amdhsa_exception_fp_ieee_invalid_op 0
		.amdhsa_exception_fp_denorm_src 0
		.amdhsa_exception_fp_ieee_div_zero 0
		.amdhsa_exception_fp_ieee_overflow 0
		.amdhsa_exception_fp_ieee_underflow 0
		.amdhsa_exception_fp_ieee_inexact 0
		.amdhsa_exception_int_div_zero 0
	.end_amdhsa_kernel
	.section	.text._ZN7rocprim17ROCPRIM_400000_NS6detail17trampoline_kernelINS0_14default_configENS1_25partition_config_selectorILNS1_17partition_subalgoE5EyNS0_10empty_typeEbEEZZNS1_14partition_implILS5_5ELb0ES3_mN6thrust23THRUST_200600_302600_NS6detail15normal_iteratorINSA_10device_ptrIyEEEEPS6_NSA_18transform_iteratorINSB_9not_fun_tI7is_trueIyEEENSC_INSD_IbEEEENSA_11use_defaultESO_EENS0_5tupleIJSF_S6_EEENSQ_IJSG_SG_EEES6_PlJS6_EEE10hipError_tPvRmT3_T4_T5_T6_T7_T9_mT8_P12ihipStream_tbDpT10_ENKUlT_T0_E_clISt17integral_constantIbLb0EES1C_IbLb1EEEEDaS18_S19_EUlS18_E_NS1_11comp_targetILNS1_3genE3ELNS1_11target_archE908ELNS1_3gpuE7ELNS1_3repE0EEENS1_30default_config_static_selectorELNS0_4arch9wavefront6targetE0EEEvT1_,"axG",@progbits,_ZN7rocprim17ROCPRIM_400000_NS6detail17trampoline_kernelINS0_14default_configENS1_25partition_config_selectorILNS1_17partition_subalgoE5EyNS0_10empty_typeEbEEZZNS1_14partition_implILS5_5ELb0ES3_mN6thrust23THRUST_200600_302600_NS6detail15normal_iteratorINSA_10device_ptrIyEEEEPS6_NSA_18transform_iteratorINSB_9not_fun_tI7is_trueIyEEENSC_INSD_IbEEEENSA_11use_defaultESO_EENS0_5tupleIJSF_S6_EEENSQ_IJSG_SG_EEES6_PlJS6_EEE10hipError_tPvRmT3_T4_T5_T6_T7_T9_mT8_P12ihipStream_tbDpT10_ENKUlT_T0_E_clISt17integral_constantIbLb0EES1C_IbLb1EEEEDaS18_S19_EUlS18_E_NS1_11comp_targetILNS1_3genE3ELNS1_11target_archE908ELNS1_3gpuE7ELNS1_3repE0EEENS1_30default_config_static_selectorELNS0_4arch9wavefront6targetE0EEEvT1_,comdat
.Lfunc_end2424:
	.size	_ZN7rocprim17ROCPRIM_400000_NS6detail17trampoline_kernelINS0_14default_configENS1_25partition_config_selectorILNS1_17partition_subalgoE5EyNS0_10empty_typeEbEEZZNS1_14partition_implILS5_5ELb0ES3_mN6thrust23THRUST_200600_302600_NS6detail15normal_iteratorINSA_10device_ptrIyEEEEPS6_NSA_18transform_iteratorINSB_9not_fun_tI7is_trueIyEEENSC_INSD_IbEEEENSA_11use_defaultESO_EENS0_5tupleIJSF_S6_EEENSQ_IJSG_SG_EEES6_PlJS6_EEE10hipError_tPvRmT3_T4_T5_T6_T7_T9_mT8_P12ihipStream_tbDpT10_ENKUlT_T0_E_clISt17integral_constantIbLb0EES1C_IbLb1EEEEDaS18_S19_EUlS18_E_NS1_11comp_targetILNS1_3genE3ELNS1_11target_archE908ELNS1_3gpuE7ELNS1_3repE0EEENS1_30default_config_static_selectorELNS0_4arch9wavefront6targetE0EEEvT1_, .Lfunc_end2424-_ZN7rocprim17ROCPRIM_400000_NS6detail17trampoline_kernelINS0_14default_configENS1_25partition_config_selectorILNS1_17partition_subalgoE5EyNS0_10empty_typeEbEEZZNS1_14partition_implILS5_5ELb0ES3_mN6thrust23THRUST_200600_302600_NS6detail15normal_iteratorINSA_10device_ptrIyEEEEPS6_NSA_18transform_iteratorINSB_9not_fun_tI7is_trueIyEEENSC_INSD_IbEEEENSA_11use_defaultESO_EENS0_5tupleIJSF_S6_EEENSQ_IJSG_SG_EEES6_PlJS6_EEE10hipError_tPvRmT3_T4_T5_T6_T7_T9_mT8_P12ihipStream_tbDpT10_ENKUlT_T0_E_clISt17integral_constantIbLb0EES1C_IbLb1EEEEDaS18_S19_EUlS18_E_NS1_11comp_targetILNS1_3genE3ELNS1_11target_archE908ELNS1_3gpuE7ELNS1_3repE0EEENS1_30default_config_static_selectorELNS0_4arch9wavefront6targetE0EEEvT1_
                                        ; -- End function
	.set _ZN7rocprim17ROCPRIM_400000_NS6detail17trampoline_kernelINS0_14default_configENS1_25partition_config_selectorILNS1_17partition_subalgoE5EyNS0_10empty_typeEbEEZZNS1_14partition_implILS5_5ELb0ES3_mN6thrust23THRUST_200600_302600_NS6detail15normal_iteratorINSA_10device_ptrIyEEEEPS6_NSA_18transform_iteratorINSB_9not_fun_tI7is_trueIyEEENSC_INSD_IbEEEENSA_11use_defaultESO_EENS0_5tupleIJSF_S6_EEENSQ_IJSG_SG_EEES6_PlJS6_EEE10hipError_tPvRmT3_T4_T5_T6_T7_T9_mT8_P12ihipStream_tbDpT10_ENKUlT_T0_E_clISt17integral_constantIbLb0EES1C_IbLb1EEEEDaS18_S19_EUlS18_E_NS1_11comp_targetILNS1_3genE3ELNS1_11target_archE908ELNS1_3gpuE7ELNS1_3repE0EEENS1_30default_config_static_selectorELNS0_4arch9wavefront6targetE0EEEvT1_.num_vgpr, 0
	.set _ZN7rocprim17ROCPRIM_400000_NS6detail17trampoline_kernelINS0_14default_configENS1_25partition_config_selectorILNS1_17partition_subalgoE5EyNS0_10empty_typeEbEEZZNS1_14partition_implILS5_5ELb0ES3_mN6thrust23THRUST_200600_302600_NS6detail15normal_iteratorINSA_10device_ptrIyEEEEPS6_NSA_18transform_iteratorINSB_9not_fun_tI7is_trueIyEEENSC_INSD_IbEEEENSA_11use_defaultESO_EENS0_5tupleIJSF_S6_EEENSQ_IJSG_SG_EEES6_PlJS6_EEE10hipError_tPvRmT3_T4_T5_T6_T7_T9_mT8_P12ihipStream_tbDpT10_ENKUlT_T0_E_clISt17integral_constantIbLb0EES1C_IbLb1EEEEDaS18_S19_EUlS18_E_NS1_11comp_targetILNS1_3genE3ELNS1_11target_archE908ELNS1_3gpuE7ELNS1_3repE0EEENS1_30default_config_static_selectorELNS0_4arch9wavefront6targetE0EEEvT1_.num_agpr, 0
	.set _ZN7rocprim17ROCPRIM_400000_NS6detail17trampoline_kernelINS0_14default_configENS1_25partition_config_selectorILNS1_17partition_subalgoE5EyNS0_10empty_typeEbEEZZNS1_14partition_implILS5_5ELb0ES3_mN6thrust23THRUST_200600_302600_NS6detail15normal_iteratorINSA_10device_ptrIyEEEEPS6_NSA_18transform_iteratorINSB_9not_fun_tI7is_trueIyEEENSC_INSD_IbEEEENSA_11use_defaultESO_EENS0_5tupleIJSF_S6_EEENSQ_IJSG_SG_EEES6_PlJS6_EEE10hipError_tPvRmT3_T4_T5_T6_T7_T9_mT8_P12ihipStream_tbDpT10_ENKUlT_T0_E_clISt17integral_constantIbLb0EES1C_IbLb1EEEEDaS18_S19_EUlS18_E_NS1_11comp_targetILNS1_3genE3ELNS1_11target_archE908ELNS1_3gpuE7ELNS1_3repE0EEENS1_30default_config_static_selectorELNS0_4arch9wavefront6targetE0EEEvT1_.numbered_sgpr, 0
	.set _ZN7rocprim17ROCPRIM_400000_NS6detail17trampoline_kernelINS0_14default_configENS1_25partition_config_selectorILNS1_17partition_subalgoE5EyNS0_10empty_typeEbEEZZNS1_14partition_implILS5_5ELb0ES3_mN6thrust23THRUST_200600_302600_NS6detail15normal_iteratorINSA_10device_ptrIyEEEEPS6_NSA_18transform_iteratorINSB_9not_fun_tI7is_trueIyEEENSC_INSD_IbEEEENSA_11use_defaultESO_EENS0_5tupleIJSF_S6_EEENSQ_IJSG_SG_EEES6_PlJS6_EEE10hipError_tPvRmT3_T4_T5_T6_T7_T9_mT8_P12ihipStream_tbDpT10_ENKUlT_T0_E_clISt17integral_constantIbLb0EES1C_IbLb1EEEEDaS18_S19_EUlS18_E_NS1_11comp_targetILNS1_3genE3ELNS1_11target_archE908ELNS1_3gpuE7ELNS1_3repE0EEENS1_30default_config_static_selectorELNS0_4arch9wavefront6targetE0EEEvT1_.num_named_barrier, 0
	.set _ZN7rocprim17ROCPRIM_400000_NS6detail17trampoline_kernelINS0_14default_configENS1_25partition_config_selectorILNS1_17partition_subalgoE5EyNS0_10empty_typeEbEEZZNS1_14partition_implILS5_5ELb0ES3_mN6thrust23THRUST_200600_302600_NS6detail15normal_iteratorINSA_10device_ptrIyEEEEPS6_NSA_18transform_iteratorINSB_9not_fun_tI7is_trueIyEEENSC_INSD_IbEEEENSA_11use_defaultESO_EENS0_5tupleIJSF_S6_EEENSQ_IJSG_SG_EEES6_PlJS6_EEE10hipError_tPvRmT3_T4_T5_T6_T7_T9_mT8_P12ihipStream_tbDpT10_ENKUlT_T0_E_clISt17integral_constantIbLb0EES1C_IbLb1EEEEDaS18_S19_EUlS18_E_NS1_11comp_targetILNS1_3genE3ELNS1_11target_archE908ELNS1_3gpuE7ELNS1_3repE0EEENS1_30default_config_static_selectorELNS0_4arch9wavefront6targetE0EEEvT1_.private_seg_size, 0
	.set _ZN7rocprim17ROCPRIM_400000_NS6detail17trampoline_kernelINS0_14default_configENS1_25partition_config_selectorILNS1_17partition_subalgoE5EyNS0_10empty_typeEbEEZZNS1_14partition_implILS5_5ELb0ES3_mN6thrust23THRUST_200600_302600_NS6detail15normal_iteratorINSA_10device_ptrIyEEEEPS6_NSA_18transform_iteratorINSB_9not_fun_tI7is_trueIyEEENSC_INSD_IbEEEENSA_11use_defaultESO_EENS0_5tupleIJSF_S6_EEENSQ_IJSG_SG_EEES6_PlJS6_EEE10hipError_tPvRmT3_T4_T5_T6_T7_T9_mT8_P12ihipStream_tbDpT10_ENKUlT_T0_E_clISt17integral_constantIbLb0EES1C_IbLb1EEEEDaS18_S19_EUlS18_E_NS1_11comp_targetILNS1_3genE3ELNS1_11target_archE908ELNS1_3gpuE7ELNS1_3repE0EEENS1_30default_config_static_selectorELNS0_4arch9wavefront6targetE0EEEvT1_.uses_vcc, 0
	.set _ZN7rocprim17ROCPRIM_400000_NS6detail17trampoline_kernelINS0_14default_configENS1_25partition_config_selectorILNS1_17partition_subalgoE5EyNS0_10empty_typeEbEEZZNS1_14partition_implILS5_5ELb0ES3_mN6thrust23THRUST_200600_302600_NS6detail15normal_iteratorINSA_10device_ptrIyEEEEPS6_NSA_18transform_iteratorINSB_9not_fun_tI7is_trueIyEEENSC_INSD_IbEEEENSA_11use_defaultESO_EENS0_5tupleIJSF_S6_EEENSQ_IJSG_SG_EEES6_PlJS6_EEE10hipError_tPvRmT3_T4_T5_T6_T7_T9_mT8_P12ihipStream_tbDpT10_ENKUlT_T0_E_clISt17integral_constantIbLb0EES1C_IbLb1EEEEDaS18_S19_EUlS18_E_NS1_11comp_targetILNS1_3genE3ELNS1_11target_archE908ELNS1_3gpuE7ELNS1_3repE0EEENS1_30default_config_static_selectorELNS0_4arch9wavefront6targetE0EEEvT1_.uses_flat_scratch, 0
	.set _ZN7rocprim17ROCPRIM_400000_NS6detail17trampoline_kernelINS0_14default_configENS1_25partition_config_selectorILNS1_17partition_subalgoE5EyNS0_10empty_typeEbEEZZNS1_14partition_implILS5_5ELb0ES3_mN6thrust23THRUST_200600_302600_NS6detail15normal_iteratorINSA_10device_ptrIyEEEEPS6_NSA_18transform_iteratorINSB_9not_fun_tI7is_trueIyEEENSC_INSD_IbEEEENSA_11use_defaultESO_EENS0_5tupleIJSF_S6_EEENSQ_IJSG_SG_EEES6_PlJS6_EEE10hipError_tPvRmT3_T4_T5_T6_T7_T9_mT8_P12ihipStream_tbDpT10_ENKUlT_T0_E_clISt17integral_constantIbLb0EES1C_IbLb1EEEEDaS18_S19_EUlS18_E_NS1_11comp_targetILNS1_3genE3ELNS1_11target_archE908ELNS1_3gpuE7ELNS1_3repE0EEENS1_30default_config_static_selectorELNS0_4arch9wavefront6targetE0EEEvT1_.has_dyn_sized_stack, 0
	.set _ZN7rocprim17ROCPRIM_400000_NS6detail17trampoline_kernelINS0_14default_configENS1_25partition_config_selectorILNS1_17partition_subalgoE5EyNS0_10empty_typeEbEEZZNS1_14partition_implILS5_5ELb0ES3_mN6thrust23THRUST_200600_302600_NS6detail15normal_iteratorINSA_10device_ptrIyEEEEPS6_NSA_18transform_iteratorINSB_9not_fun_tI7is_trueIyEEENSC_INSD_IbEEEENSA_11use_defaultESO_EENS0_5tupleIJSF_S6_EEENSQ_IJSG_SG_EEES6_PlJS6_EEE10hipError_tPvRmT3_T4_T5_T6_T7_T9_mT8_P12ihipStream_tbDpT10_ENKUlT_T0_E_clISt17integral_constantIbLb0EES1C_IbLb1EEEEDaS18_S19_EUlS18_E_NS1_11comp_targetILNS1_3genE3ELNS1_11target_archE908ELNS1_3gpuE7ELNS1_3repE0EEENS1_30default_config_static_selectorELNS0_4arch9wavefront6targetE0EEEvT1_.has_recursion, 0
	.set _ZN7rocprim17ROCPRIM_400000_NS6detail17trampoline_kernelINS0_14default_configENS1_25partition_config_selectorILNS1_17partition_subalgoE5EyNS0_10empty_typeEbEEZZNS1_14partition_implILS5_5ELb0ES3_mN6thrust23THRUST_200600_302600_NS6detail15normal_iteratorINSA_10device_ptrIyEEEEPS6_NSA_18transform_iteratorINSB_9not_fun_tI7is_trueIyEEENSC_INSD_IbEEEENSA_11use_defaultESO_EENS0_5tupleIJSF_S6_EEENSQ_IJSG_SG_EEES6_PlJS6_EEE10hipError_tPvRmT3_T4_T5_T6_T7_T9_mT8_P12ihipStream_tbDpT10_ENKUlT_T0_E_clISt17integral_constantIbLb0EES1C_IbLb1EEEEDaS18_S19_EUlS18_E_NS1_11comp_targetILNS1_3genE3ELNS1_11target_archE908ELNS1_3gpuE7ELNS1_3repE0EEENS1_30default_config_static_selectorELNS0_4arch9wavefront6targetE0EEEvT1_.has_indirect_call, 0
	.section	.AMDGPU.csdata,"",@progbits
; Kernel info:
; codeLenInByte = 0
; TotalNumSgprs: 0
; NumVgprs: 0
; ScratchSize: 0
; MemoryBound: 0
; FloatMode: 240
; IeeeMode: 1
; LDSByteSize: 0 bytes/workgroup (compile time only)
; SGPRBlocks: 0
; VGPRBlocks: 0
; NumSGPRsForWavesPerEU: 1
; NumVGPRsForWavesPerEU: 1
; Occupancy: 16
; WaveLimiterHint : 0
; COMPUTE_PGM_RSRC2:SCRATCH_EN: 0
; COMPUTE_PGM_RSRC2:USER_SGPR: 2
; COMPUTE_PGM_RSRC2:TRAP_HANDLER: 0
; COMPUTE_PGM_RSRC2:TGID_X_EN: 1
; COMPUTE_PGM_RSRC2:TGID_Y_EN: 0
; COMPUTE_PGM_RSRC2:TGID_Z_EN: 0
; COMPUTE_PGM_RSRC2:TIDIG_COMP_CNT: 0
	.section	.text._ZN7rocprim17ROCPRIM_400000_NS6detail17trampoline_kernelINS0_14default_configENS1_25partition_config_selectorILNS1_17partition_subalgoE5EyNS0_10empty_typeEbEEZZNS1_14partition_implILS5_5ELb0ES3_mN6thrust23THRUST_200600_302600_NS6detail15normal_iteratorINSA_10device_ptrIyEEEEPS6_NSA_18transform_iteratorINSB_9not_fun_tI7is_trueIyEEENSC_INSD_IbEEEENSA_11use_defaultESO_EENS0_5tupleIJSF_S6_EEENSQ_IJSG_SG_EEES6_PlJS6_EEE10hipError_tPvRmT3_T4_T5_T6_T7_T9_mT8_P12ihipStream_tbDpT10_ENKUlT_T0_E_clISt17integral_constantIbLb0EES1C_IbLb1EEEEDaS18_S19_EUlS18_E_NS1_11comp_targetILNS1_3genE2ELNS1_11target_archE906ELNS1_3gpuE6ELNS1_3repE0EEENS1_30default_config_static_selectorELNS0_4arch9wavefront6targetE0EEEvT1_,"axG",@progbits,_ZN7rocprim17ROCPRIM_400000_NS6detail17trampoline_kernelINS0_14default_configENS1_25partition_config_selectorILNS1_17partition_subalgoE5EyNS0_10empty_typeEbEEZZNS1_14partition_implILS5_5ELb0ES3_mN6thrust23THRUST_200600_302600_NS6detail15normal_iteratorINSA_10device_ptrIyEEEEPS6_NSA_18transform_iteratorINSB_9not_fun_tI7is_trueIyEEENSC_INSD_IbEEEENSA_11use_defaultESO_EENS0_5tupleIJSF_S6_EEENSQ_IJSG_SG_EEES6_PlJS6_EEE10hipError_tPvRmT3_T4_T5_T6_T7_T9_mT8_P12ihipStream_tbDpT10_ENKUlT_T0_E_clISt17integral_constantIbLb0EES1C_IbLb1EEEEDaS18_S19_EUlS18_E_NS1_11comp_targetILNS1_3genE2ELNS1_11target_archE906ELNS1_3gpuE6ELNS1_3repE0EEENS1_30default_config_static_selectorELNS0_4arch9wavefront6targetE0EEEvT1_,comdat
	.protected	_ZN7rocprim17ROCPRIM_400000_NS6detail17trampoline_kernelINS0_14default_configENS1_25partition_config_selectorILNS1_17partition_subalgoE5EyNS0_10empty_typeEbEEZZNS1_14partition_implILS5_5ELb0ES3_mN6thrust23THRUST_200600_302600_NS6detail15normal_iteratorINSA_10device_ptrIyEEEEPS6_NSA_18transform_iteratorINSB_9not_fun_tI7is_trueIyEEENSC_INSD_IbEEEENSA_11use_defaultESO_EENS0_5tupleIJSF_S6_EEENSQ_IJSG_SG_EEES6_PlJS6_EEE10hipError_tPvRmT3_T4_T5_T6_T7_T9_mT8_P12ihipStream_tbDpT10_ENKUlT_T0_E_clISt17integral_constantIbLb0EES1C_IbLb1EEEEDaS18_S19_EUlS18_E_NS1_11comp_targetILNS1_3genE2ELNS1_11target_archE906ELNS1_3gpuE6ELNS1_3repE0EEENS1_30default_config_static_selectorELNS0_4arch9wavefront6targetE0EEEvT1_ ; -- Begin function _ZN7rocprim17ROCPRIM_400000_NS6detail17trampoline_kernelINS0_14default_configENS1_25partition_config_selectorILNS1_17partition_subalgoE5EyNS0_10empty_typeEbEEZZNS1_14partition_implILS5_5ELb0ES3_mN6thrust23THRUST_200600_302600_NS6detail15normal_iteratorINSA_10device_ptrIyEEEEPS6_NSA_18transform_iteratorINSB_9not_fun_tI7is_trueIyEEENSC_INSD_IbEEEENSA_11use_defaultESO_EENS0_5tupleIJSF_S6_EEENSQ_IJSG_SG_EEES6_PlJS6_EEE10hipError_tPvRmT3_T4_T5_T6_T7_T9_mT8_P12ihipStream_tbDpT10_ENKUlT_T0_E_clISt17integral_constantIbLb0EES1C_IbLb1EEEEDaS18_S19_EUlS18_E_NS1_11comp_targetILNS1_3genE2ELNS1_11target_archE906ELNS1_3gpuE6ELNS1_3repE0EEENS1_30default_config_static_selectorELNS0_4arch9wavefront6targetE0EEEvT1_
	.globl	_ZN7rocprim17ROCPRIM_400000_NS6detail17trampoline_kernelINS0_14default_configENS1_25partition_config_selectorILNS1_17partition_subalgoE5EyNS0_10empty_typeEbEEZZNS1_14partition_implILS5_5ELb0ES3_mN6thrust23THRUST_200600_302600_NS6detail15normal_iteratorINSA_10device_ptrIyEEEEPS6_NSA_18transform_iteratorINSB_9not_fun_tI7is_trueIyEEENSC_INSD_IbEEEENSA_11use_defaultESO_EENS0_5tupleIJSF_S6_EEENSQ_IJSG_SG_EEES6_PlJS6_EEE10hipError_tPvRmT3_T4_T5_T6_T7_T9_mT8_P12ihipStream_tbDpT10_ENKUlT_T0_E_clISt17integral_constantIbLb0EES1C_IbLb1EEEEDaS18_S19_EUlS18_E_NS1_11comp_targetILNS1_3genE2ELNS1_11target_archE906ELNS1_3gpuE6ELNS1_3repE0EEENS1_30default_config_static_selectorELNS0_4arch9wavefront6targetE0EEEvT1_
	.p2align	8
	.type	_ZN7rocprim17ROCPRIM_400000_NS6detail17trampoline_kernelINS0_14default_configENS1_25partition_config_selectorILNS1_17partition_subalgoE5EyNS0_10empty_typeEbEEZZNS1_14partition_implILS5_5ELb0ES3_mN6thrust23THRUST_200600_302600_NS6detail15normal_iteratorINSA_10device_ptrIyEEEEPS6_NSA_18transform_iteratorINSB_9not_fun_tI7is_trueIyEEENSC_INSD_IbEEEENSA_11use_defaultESO_EENS0_5tupleIJSF_S6_EEENSQ_IJSG_SG_EEES6_PlJS6_EEE10hipError_tPvRmT3_T4_T5_T6_T7_T9_mT8_P12ihipStream_tbDpT10_ENKUlT_T0_E_clISt17integral_constantIbLb0EES1C_IbLb1EEEEDaS18_S19_EUlS18_E_NS1_11comp_targetILNS1_3genE2ELNS1_11target_archE906ELNS1_3gpuE6ELNS1_3repE0EEENS1_30default_config_static_selectorELNS0_4arch9wavefront6targetE0EEEvT1_,@function
_ZN7rocprim17ROCPRIM_400000_NS6detail17trampoline_kernelINS0_14default_configENS1_25partition_config_selectorILNS1_17partition_subalgoE5EyNS0_10empty_typeEbEEZZNS1_14partition_implILS5_5ELb0ES3_mN6thrust23THRUST_200600_302600_NS6detail15normal_iteratorINSA_10device_ptrIyEEEEPS6_NSA_18transform_iteratorINSB_9not_fun_tI7is_trueIyEEENSC_INSD_IbEEEENSA_11use_defaultESO_EENS0_5tupleIJSF_S6_EEENSQ_IJSG_SG_EEES6_PlJS6_EEE10hipError_tPvRmT3_T4_T5_T6_T7_T9_mT8_P12ihipStream_tbDpT10_ENKUlT_T0_E_clISt17integral_constantIbLb0EES1C_IbLb1EEEEDaS18_S19_EUlS18_E_NS1_11comp_targetILNS1_3genE2ELNS1_11target_archE906ELNS1_3gpuE6ELNS1_3repE0EEENS1_30default_config_static_selectorELNS0_4arch9wavefront6targetE0EEEvT1_: ; @_ZN7rocprim17ROCPRIM_400000_NS6detail17trampoline_kernelINS0_14default_configENS1_25partition_config_selectorILNS1_17partition_subalgoE5EyNS0_10empty_typeEbEEZZNS1_14partition_implILS5_5ELb0ES3_mN6thrust23THRUST_200600_302600_NS6detail15normal_iteratorINSA_10device_ptrIyEEEEPS6_NSA_18transform_iteratorINSB_9not_fun_tI7is_trueIyEEENSC_INSD_IbEEEENSA_11use_defaultESO_EENS0_5tupleIJSF_S6_EEENSQ_IJSG_SG_EEES6_PlJS6_EEE10hipError_tPvRmT3_T4_T5_T6_T7_T9_mT8_P12ihipStream_tbDpT10_ENKUlT_T0_E_clISt17integral_constantIbLb0EES1C_IbLb1EEEEDaS18_S19_EUlS18_E_NS1_11comp_targetILNS1_3genE2ELNS1_11target_archE906ELNS1_3gpuE6ELNS1_3repE0EEENS1_30default_config_static_selectorELNS0_4arch9wavefront6targetE0EEEvT1_
; %bb.0:
	.section	.rodata,"a",@progbits
	.p2align	6, 0x0
	.amdhsa_kernel _ZN7rocprim17ROCPRIM_400000_NS6detail17trampoline_kernelINS0_14default_configENS1_25partition_config_selectorILNS1_17partition_subalgoE5EyNS0_10empty_typeEbEEZZNS1_14partition_implILS5_5ELb0ES3_mN6thrust23THRUST_200600_302600_NS6detail15normal_iteratorINSA_10device_ptrIyEEEEPS6_NSA_18transform_iteratorINSB_9not_fun_tI7is_trueIyEEENSC_INSD_IbEEEENSA_11use_defaultESO_EENS0_5tupleIJSF_S6_EEENSQ_IJSG_SG_EEES6_PlJS6_EEE10hipError_tPvRmT3_T4_T5_T6_T7_T9_mT8_P12ihipStream_tbDpT10_ENKUlT_T0_E_clISt17integral_constantIbLb0EES1C_IbLb1EEEEDaS18_S19_EUlS18_E_NS1_11comp_targetILNS1_3genE2ELNS1_11target_archE906ELNS1_3gpuE6ELNS1_3repE0EEENS1_30default_config_static_selectorELNS0_4arch9wavefront6targetE0EEEvT1_
		.amdhsa_group_segment_fixed_size 0
		.amdhsa_private_segment_fixed_size 0
		.amdhsa_kernarg_size 136
		.amdhsa_user_sgpr_count 2
		.amdhsa_user_sgpr_dispatch_ptr 0
		.amdhsa_user_sgpr_queue_ptr 0
		.amdhsa_user_sgpr_kernarg_segment_ptr 1
		.amdhsa_user_sgpr_dispatch_id 0
		.amdhsa_user_sgpr_private_segment_size 0
		.amdhsa_wavefront_size32 1
		.amdhsa_uses_dynamic_stack 0
		.amdhsa_enable_private_segment 0
		.amdhsa_system_sgpr_workgroup_id_x 1
		.amdhsa_system_sgpr_workgroup_id_y 0
		.amdhsa_system_sgpr_workgroup_id_z 0
		.amdhsa_system_sgpr_workgroup_info 0
		.amdhsa_system_vgpr_workitem_id 0
		.amdhsa_next_free_vgpr 1
		.amdhsa_next_free_sgpr 1
		.amdhsa_reserve_vcc 0
		.amdhsa_float_round_mode_32 0
		.amdhsa_float_round_mode_16_64 0
		.amdhsa_float_denorm_mode_32 3
		.amdhsa_float_denorm_mode_16_64 3
		.amdhsa_fp16_overflow 0
		.amdhsa_workgroup_processor_mode 1
		.amdhsa_memory_ordered 1
		.amdhsa_forward_progress 1
		.amdhsa_inst_pref_size 0
		.amdhsa_round_robin_scheduling 0
		.amdhsa_exception_fp_ieee_invalid_op 0
		.amdhsa_exception_fp_denorm_src 0
		.amdhsa_exception_fp_ieee_div_zero 0
		.amdhsa_exception_fp_ieee_overflow 0
		.amdhsa_exception_fp_ieee_underflow 0
		.amdhsa_exception_fp_ieee_inexact 0
		.amdhsa_exception_int_div_zero 0
	.end_amdhsa_kernel
	.section	.text._ZN7rocprim17ROCPRIM_400000_NS6detail17trampoline_kernelINS0_14default_configENS1_25partition_config_selectorILNS1_17partition_subalgoE5EyNS0_10empty_typeEbEEZZNS1_14partition_implILS5_5ELb0ES3_mN6thrust23THRUST_200600_302600_NS6detail15normal_iteratorINSA_10device_ptrIyEEEEPS6_NSA_18transform_iteratorINSB_9not_fun_tI7is_trueIyEEENSC_INSD_IbEEEENSA_11use_defaultESO_EENS0_5tupleIJSF_S6_EEENSQ_IJSG_SG_EEES6_PlJS6_EEE10hipError_tPvRmT3_T4_T5_T6_T7_T9_mT8_P12ihipStream_tbDpT10_ENKUlT_T0_E_clISt17integral_constantIbLb0EES1C_IbLb1EEEEDaS18_S19_EUlS18_E_NS1_11comp_targetILNS1_3genE2ELNS1_11target_archE906ELNS1_3gpuE6ELNS1_3repE0EEENS1_30default_config_static_selectorELNS0_4arch9wavefront6targetE0EEEvT1_,"axG",@progbits,_ZN7rocprim17ROCPRIM_400000_NS6detail17trampoline_kernelINS0_14default_configENS1_25partition_config_selectorILNS1_17partition_subalgoE5EyNS0_10empty_typeEbEEZZNS1_14partition_implILS5_5ELb0ES3_mN6thrust23THRUST_200600_302600_NS6detail15normal_iteratorINSA_10device_ptrIyEEEEPS6_NSA_18transform_iteratorINSB_9not_fun_tI7is_trueIyEEENSC_INSD_IbEEEENSA_11use_defaultESO_EENS0_5tupleIJSF_S6_EEENSQ_IJSG_SG_EEES6_PlJS6_EEE10hipError_tPvRmT3_T4_T5_T6_T7_T9_mT8_P12ihipStream_tbDpT10_ENKUlT_T0_E_clISt17integral_constantIbLb0EES1C_IbLb1EEEEDaS18_S19_EUlS18_E_NS1_11comp_targetILNS1_3genE2ELNS1_11target_archE906ELNS1_3gpuE6ELNS1_3repE0EEENS1_30default_config_static_selectorELNS0_4arch9wavefront6targetE0EEEvT1_,comdat
.Lfunc_end2425:
	.size	_ZN7rocprim17ROCPRIM_400000_NS6detail17trampoline_kernelINS0_14default_configENS1_25partition_config_selectorILNS1_17partition_subalgoE5EyNS0_10empty_typeEbEEZZNS1_14partition_implILS5_5ELb0ES3_mN6thrust23THRUST_200600_302600_NS6detail15normal_iteratorINSA_10device_ptrIyEEEEPS6_NSA_18transform_iteratorINSB_9not_fun_tI7is_trueIyEEENSC_INSD_IbEEEENSA_11use_defaultESO_EENS0_5tupleIJSF_S6_EEENSQ_IJSG_SG_EEES6_PlJS6_EEE10hipError_tPvRmT3_T4_T5_T6_T7_T9_mT8_P12ihipStream_tbDpT10_ENKUlT_T0_E_clISt17integral_constantIbLb0EES1C_IbLb1EEEEDaS18_S19_EUlS18_E_NS1_11comp_targetILNS1_3genE2ELNS1_11target_archE906ELNS1_3gpuE6ELNS1_3repE0EEENS1_30default_config_static_selectorELNS0_4arch9wavefront6targetE0EEEvT1_, .Lfunc_end2425-_ZN7rocprim17ROCPRIM_400000_NS6detail17trampoline_kernelINS0_14default_configENS1_25partition_config_selectorILNS1_17partition_subalgoE5EyNS0_10empty_typeEbEEZZNS1_14partition_implILS5_5ELb0ES3_mN6thrust23THRUST_200600_302600_NS6detail15normal_iteratorINSA_10device_ptrIyEEEEPS6_NSA_18transform_iteratorINSB_9not_fun_tI7is_trueIyEEENSC_INSD_IbEEEENSA_11use_defaultESO_EENS0_5tupleIJSF_S6_EEENSQ_IJSG_SG_EEES6_PlJS6_EEE10hipError_tPvRmT3_T4_T5_T6_T7_T9_mT8_P12ihipStream_tbDpT10_ENKUlT_T0_E_clISt17integral_constantIbLb0EES1C_IbLb1EEEEDaS18_S19_EUlS18_E_NS1_11comp_targetILNS1_3genE2ELNS1_11target_archE906ELNS1_3gpuE6ELNS1_3repE0EEENS1_30default_config_static_selectorELNS0_4arch9wavefront6targetE0EEEvT1_
                                        ; -- End function
	.set _ZN7rocprim17ROCPRIM_400000_NS6detail17trampoline_kernelINS0_14default_configENS1_25partition_config_selectorILNS1_17partition_subalgoE5EyNS0_10empty_typeEbEEZZNS1_14partition_implILS5_5ELb0ES3_mN6thrust23THRUST_200600_302600_NS6detail15normal_iteratorINSA_10device_ptrIyEEEEPS6_NSA_18transform_iteratorINSB_9not_fun_tI7is_trueIyEEENSC_INSD_IbEEEENSA_11use_defaultESO_EENS0_5tupleIJSF_S6_EEENSQ_IJSG_SG_EEES6_PlJS6_EEE10hipError_tPvRmT3_T4_T5_T6_T7_T9_mT8_P12ihipStream_tbDpT10_ENKUlT_T0_E_clISt17integral_constantIbLb0EES1C_IbLb1EEEEDaS18_S19_EUlS18_E_NS1_11comp_targetILNS1_3genE2ELNS1_11target_archE906ELNS1_3gpuE6ELNS1_3repE0EEENS1_30default_config_static_selectorELNS0_4arch9wavefront6targetE0EEEvT1_.num_vgpr, 0
	.set _ZN7rocprim17ROCPRIM_400000_NS6detail17trampoline_kernelINS0_14default_configENS1_25partition_config_selectorILNS1_17partition_subalgoE5EyNS0_10empty_typeEbEEZZNS1_14partition_implILS5_5ELb0ES3_mN6thrust23THRUST_200600_302600_NS6detail15normal_iteratorINSA_10device_ptrIyEEEEPS6_NSA_18transform_iteratorINSB_9not_fun_tI7is_trueIyEEENSC_INSD_IbEEEENSA_11use_defaultESO_EENS0_5tupleIJSF_S6_EEENSQ_IJSG_SG_EEES6_PlJS6_EEE10hipError_tPvRmT3_T4_T5_T6_T7_T9_mT8_P12ihipStream_tbDpT10_ENKUlT_T0_E_clISt17integral_constantIbLb0EES1C_IbLb1EEEEDaS18_S19_EUlS18_E_NS1_11comp_targetILNS1_3genE2ELNS1_11target_archE906ELNS1_3gpuE6ELNS1_3repE0EEENS1_30default_config_static_selectorELNS0_4arch9wavefront6targetE0EEEvT1_.num_agpr, 0
	.set _ZN7rocprim17ROCPRIM_400000_NS6detail17trampoline_kernelINS0_14default_configENS1_25partition_config_selectorILNS1_17partition_subalgoE5EyNS0_10empty_typeEbEEZZNS1_14partition_implILS5_5ELb0ES3_mN6thrust23THRUST_200600_302600_NS6detail15normal_iteratorINSA_10device_ptrIyEEEEPS6_NSA_18transform_iteratorINSB_9not_fun_tI7is_trueIyEEENSC_INSD_IbEEEENSA_11use_defaultESO_EENS0_5tupleIJSF_S6_EEENSQ_IJSG_SG_EEES6_PlJS6_EEE10hipError_tPvRmT3_T4_T5_T6_T7_T9_mT8_P12ihipStream_tbDpT10_ENKUlT_T0_E_clISt17integral_constantIbLb0EES1C_IbLb1EEEEDaS18_S19_EUlS18_E_NS1_11comp_targetILNS1_3genE2ELNS1_11target_archE906ELNS1_3gpuE6ELNS1_3repE0EEENS1_30default_config_static_selectorELNS0_4arch9wavefront6targetE0EEEvT1_.numbered_sgpr, 0
	.set _ZN7rocprim17ROCPRIM_400000_NS6detail17trampoline_kernelINS0_14default_configENS1_25partition_config_selectorILNS1_17partition_subalgoE5EyNS0_10empty_typeEbEEZZNS1_14partition_implILS5_5ELb0ES3_mN6thrust23THRUST_200600_302600_NS6detail15normal_iteratorINSA_10device_ptrIyEEEEPS6_NSA_18transform_iteratorINSB_9not_fun_tI7is_trueIyEEENSC_INSD_IbEEEENSA_11use_defaultESO_EENS0_5tupleIJSF_S6_EEENSQ_IJSG_SG_EEES6_PlJS6_EEE10hipError_tPvRmT3_T4_T5_T6_T7_T9_mT8_P12ihipStream_tbDpT10_ENKUlT_T0_E_clISt17integral_constantIbLb0EES1C_IbLb1EEEEDaS18_S19_EUlS18_E_NS1_11comp_targetILNS1_3genE2ELNS1_11target_archE906ELNS1_3gpuE6ELNS1_3repE0EEENS1_30default_config_static_selectorELNS0_4arch9wavefront6targetE0EEEvT1_.num_named_barrier, 0
	.set _ZN7rocprim17ROCPRIM_400000_NS6detail17trampoline_kernelINS0_14default_configENS1_25partition_config_selectorILNS1_17partition_subalgoE5EyNS0_10empty_typeEbEEZZNS1_14partition_implILS5_5ELb0ES3_mN6thrust23THRUST_200600_302600_NS6detail15normal_iteratorINSA_10device_ptrIyEEEEPS6_NSA_18transform_iteratorINSB_9not_fun_tI7is_trueIyEEENSC_INSD_IbEEEENSA_11use_defaultESO_EENS0_5tupleIJSF_S6_EEENSQ_IJSG_SG_EEES6_PlJS6_EEE10hipError_tPvRmT3_T4_T5_T6_T7_T9_mT8_P12ihipStream_tbDpT10_ENKUlT_T0_E_clISt17integral_constantIbLb0EES1C_IbLb1EEEEDaS18_S19_EUlS18_E_NS1_11comp_targetILNS1_3genE2ELNS1_11target_archE906ELNS1_3gpuE6ELNS1_3repE0EEENS1_30default_config_static_selectorELNS0_4arch9wavefront6targetE0EEEvT1_.private_seg_size, 0
	.set _ZN7rocprim17ROCPRIM_400000_NS6detail17trampoline_kernelINS0_14default_configENS1_25partition_config_selectorILNS1_17partition_subalgoE5EyNS0_10empty_typeEbEEZZNS1_14partition_implILS5_5ELb0ES3_mN6thrust23THRUST_200600_302600_NS6detail15normal_iteratorINSA_10device_ptrIyEEEEPS6_NSA_18transform_iteratorINSB_9not_fun_tI7is_trueIyEEENSC_INSD_IbEEEENSA_11use_defaultESO_EENS0_5tupleIJSF_S6_EEENSQ_IJSG_SG_EEES6_PlJS6_EEE10hipError_tPvRmT3_T4_T5_T6_T7_T9_mT8_P12ihipStream_tbDpT10_ENKUlT_T0_E_clISt17integral_constantIbLb0EES1C_IbLb1EEEEDaS18_S19_EUlS18_E_NS1_11comp_targetILNS1_3genE2ELNS1_11target_archE906ELNS1_3gpuE6ELNS1_3repE0EEENS1_30default_config_static_selectorELNS0_4arch9wavefront6targetE0EEEvT1_.uses_vcc, 0
	.set _ZN7rocprim17ROCPRIM_400000_NS6detail17trampoline_kernelINS0_14default_configENS1_25partition_config_selectorILNS1_17partition_subalgoE5EyNS0_10empty_typeEbEEZZNS1_14partition_implILS5_5ELb0ES3_mN6thrust23THRUST_200600_302600_NS6detail15normal_iteratorINSA_10device_ptrIyEEEEPS6_NSA_18transform_iteratorINSB_9not_fun_tI7is_trueIyEEENSC_INSD_IbEEEENSA_11use_defaultESO_EENS0_5tupleIJSF_S6_EEENSQ_IJSG_SG_EEES6_PlJS6_EEE10hipError_tPvRmT3_T4_T5_T6_T7_T9_mT8_P12ihipStream_tbDpT10_ENKUlT_T0_E_clISt17integral_constantIbLb0EES1C_IbLb1EEEEDaS18_S19_EUlS18_E_NS1_11comp_targetILNS1_3genE2ELNS1_11target_archE906ELNS1_3gpuE6ELNS1_3repE0EEENS1_30default_config_static_selectorELNS0_4arch9wavefront6targetE0EEEvT1_.uses_flat_scratch, 0
	.set _ZN7rocprim17ROCPRIM_400000_NS6detail17trampoline_kernelINS0_14default_configENS1_25partition_config_selectorILNS1_17partition_subalgoE5EyNS0_10empty_typeEbEEZZNS1_14partition_implILS5_5ELb0ES3_mN6thrust23THRUST_200600_302600_NS6detail15normal_iteratorINSA_10device_ptrIyEEEEPS6_NSA_18transform_iteratorINSB_9not_fun_tI7is_trueIyEEENSC_INSD_IbEEEENSA_11use_defaultESO_EENS0_5tupleIJSF_S6_EEENSQ_IJSG_SG_EEES6_PlJS6_EEE10hipError_tPvRmT3_T4_T5_T6_T7_T9_mT8_P12ihipStream_tbDpT10_ENKUlT_T0_E_clISt17integral_constantIbLb0EES1C_IbLb1EEEEDaS18_S19_EUlS18_E_NS1_11comp_targetILNS1_3genE2ELNS1_11target_archE906ELNS1_3gpuE6ELNS1_3repE0EEENS1_30default_config_static_selectorELNS0_4arch9wavefront6targetE0EEEvT1_.has_dyn_sized_stack, 0
	.set _ZN7rocprim17ROCPRIM_400000_NS6detail17trampoline_kernelINS0_14default_configENS1_25partition_config_selectorILNS1_17partition_subalgoE5EyNS0_10empty_typeEbEEZZNS1_14partition_implILS5_5ELb0ES3_mN6thrust23THRUST_200600_302600_NS6detail15normal_iteratorINSA_10device_ptrIyEEEEPS6_NSA_18transform_iteratorINSB_9not_fun_tI7is_trueIyEEENSC_INSD_IbEEEENSA_11use_defaultESO_EENS0_5tupleIJSF_S6_EEENSQ_IJSG_SG_EEES6_PlJS6_EEE10hipError_tPvRmT3_T4_T5_T6_T7_T9_mT8_P12ihipStream_tbDpT10_ENKUlT_T0_E_clISt17integral_constantIbLb0EES1C_IbLb1EEEEDaS18_S19_EUlS18_E_NS1_11comp_targetILNS1_3genE2ELNS1_11target_archE906ELNS1_3gpuE6ELNS1_3repE0EEENS1_30default_config_static_selectorELNS0_4arch9wavefront6targetE0EEEvT1_.has_recursion, 0
	.set _ZN7rocprim17ROCPRIM_400000_NS6detail17trampoline_kernelINS0_14default_configENS1_25partition_config_selectorILNS1_17partition_subalgoE5EyNS0_10empty_typeEbEEZZNS1_14partition_implILS5_5ELb0ES3_mN6thrust23THRUST_200600_302600_NS6detail15normal_iteratorINSA_10device_ptrIyEEEEPS6_NSA_18transform_iteratorINSB_9not_fun_tI7is_trueIyEEENSC_INSD_IbEEEENSA_11use_defaultESO_EENS0_5tupleIJSF_S6_EEENSQ_IJSG_SG_EEES6_PlJS6_EEE10hipError_tPvRmT3_T4_T5_T6_T7_T9_mT8_P12ihipStream_tbDpT10_ENKUlT_T0_E_clISt17integral_constantIbLb0EES1C_IbLb1EEEEDaS18_S19_EUlS18_E_NS1_11comp_targetILNS1_3genE2ELNS1_11target_archE906ELNS1_3gpuE6ELNS1_3repE0EEENS1_30default_config_static_selectorELNS0_4arch9wavefront6targetE0EEEvT1_.has_indirect_call, 0
	.section	.AMDGPU.csdata,"",@progbits
; Kernel info:
; codeLenInByte = 0
; TotalNumSgprs: 0
; NumVgprs: 0
; ScratchSize: 0
; MemoryBound: 0
; FloatMode: 240
; IeeeMode: 1
; LDSByteSize: 0 bytes/workgroup (compile time only)
; SGPRBlocks: 0
; VGPRBlocks: 0
; NumSGPRsForWavesPerEU: 1
; NumVGPRsForWavesPerEU: 1
; Occupancy: 16
; WaveLimiterHint : 0
; COMPUTE_PGM_RSRC2:SCRATCH_EN: 0
; COMPUTE_PGM_RSRC2:USER_SGPR: 2
; COMPUTE_PGM_RSRC2:TRAP_HANDLER: 0
; COMPUTE_PGM_RSRC2:TGID_X_EN: 1
; COMPUTE_PGM_RSRC2:TGID_Y_EN: 0
; COMPUTE_PGM_RSRC2:TGID_Z_EN: 0
; COMPUTE_PGM_RSRC2:TIDIG_COMP_CNT: 0
	.section	.text._ZN7rocprim17ROCPRIM_400000_NS6detail17trampoline_kernelINS0_14default_configENS1_25partition_config_selectorILNS1_17partition_subalgoE5EyNS0_10empty_typeEbEEZZNS1_14partition_implILS5_5ELb0ES3_mN6thrust23THRUST_200600_302600_NS6detail15normal_iteratorINSA_10device_ptrIyEEEEPS6_NSA_18transform_iteratorINSB_9not_fun_tI7is_trueIyEEENSC_INSD_IbEEEENSA_11use_defaultESO_EENS0_5tupleIJSF_S6_EEENSQ_IJSG_SG_EEES6_PlJS6_EEE10hipError_tPvRmT3_T4_T5_T6_T7_T9_mT8_P12ihipStream_tbDpT10_ENKUlT_T0_E_clISt17integral_constantIbLb0EES1C_IbLb1EEEEDaS18_S19_EUlS18_E_NS1_11comp_targetILNS1_3genE10ELNS1_11target_archE1200ELNS1_3gpuE4ELNS1_3repE0EEENS1_30default_config_static_selectorELNS0_4arch9wavefront6targetE0EEEvT1_,"axG",@progbits,_ZN7rocprim17ROCPRIM_400000_NS6detail17trampoline_kernelINS0_14default_configENS1_25partition_config_selectorILNS1_17partition_subalgoE5EyNS0_10empty_typeEbEEZZNS1_14partition_implILS5_5ELb0ES3_mN6thrust23THRUST_200600_302600_NS6detail15normal_iteratorINSA_10device_ptrIyEEEEPS6_NSA_18transform_iteratorINSB_9not_fun_tI7is_trueIyEEENSC_INSD_IbEEEENSA_11use_defaultESO_EENS0_5tupleIJSF_S6_EEENSQ_IJSG_SG_EEES6_PlJS6_EEE10hipError_tPvRmT3_T4_T5_T6_T7_T9_mT8_P12ihipStream_tbDpT10_ENKUlT_T0_E_clISt17integral_constantIbLb0EES1C_IbLb1EEEEDaS18_S19_EUlS18_E_NS1_11comp_targetILNS1_3genE10ELNS1_11target_archE1200ELNS1_3gpuE4ELNS1_3repE0EEENS1_30default_config_static_selectorELNS0_4arch9wavefront6targetE0EEEvT1_,comdat
	.protected	_ZN7rocprim17ROCPRIM_400000_NS6detail17trampoline_kernelINS0_14default_configENS1_25partition_config_selectorILNS1_17partition_subalgoE5EyNS0_10empty_typeEbEEZZNS1_14partition_implILS5_5ELb0ES3_mN6thrust23THRUST_200600_302600_NS6detail15normal_iteratorINSA_10device_ptrIyEEEEPS6_NSA_18transform_iteratorINSB_9not_fun_tI7is_trueIyEEENSC_INSD_IbEEEENSA_11use_defaultESO_EENS0_5tupleIJSF_S6_EEENSQ_IJSG_SG_EEES6_PlJS6_EEE10hipError_tPvRmT3_T4_T5_T6_T7_T9_mT8_P12ihipStream_tbDpT10_ENKUlT_T0_E_clISt17integral_constantIbLb0EES1C_IbLb1EEEEDaS18_S19_EUlS18_E_NS1_11comp_targetILNS1_3genE10ELNS1_11target_archE1200ELNS1_3gpuE4ELNS1_3repE0EEENS1_30default_config_static_selectorELNS0_4arch9wavefront6targetE0EEEvT1_ ; -- Begin function _ZN7rocprim17ROCPRIM_400000_NS6detail17trampoline_kernelINS0_14default_configENS1_25partition_config_selectorILNS1_17partition_subalgoE5EyNS0_10empty_typeEbEEZZNS1_14partition_implILS5_5ELb0ES3_mN6thrust23THRUST_200600_302600_NS6detail15normal_iteratorINSA_10device_ptrIyEEEEPS6_NSA_18transform_iteratorINSB_9not_fun_tI7is_trueIyEEENSC_INSD_IbEEEENSA_11use_defaultESO_EENS0_5tupleIJSF_S6_EEENSQ_IJSG_SG_EEES6_PlJS6_EEE10hipError_tPvRmT3_T4_T5_T6_T7_T9_mT8_P12ihipStream_tbDpT10_ENKUlT_T0_E_clISt17integral_constantIbLb0EES1C_IbLb1EEEEDaS18_S19_EUlS18_E_NS1_11comp_targetILNS1_3genE10ELNS1_11target_archE1200ELNS1_3gpuE4ELNS1_3repE0EEENS1_30default_config_static_selectorELNS0_4arch9wavefront6targetE0EEEvT1_
	.globl	_ZN7rocprim17ROCPRIM_400000_NS6detail17trampoline_kernelINS0_14default_configENS1_25partition_config_selectorILNS1_17partition_subalgoE5EyNS0_10empty_typeEbEEZZNS1_14partition_implILS5_5ELb0ES3_mN6thrust23THRUST_200600_302600_NS6detail15normal_iteratorINSA_10device_ptrIyEEEEPS6_NSA_18transform_iteratorINSB_9not_fun_tI7is_trueIyEEENSC_INSD_IbEEEENSA_11use_defaultESO_EENS0_5tupleIJSF_S6_EEENSQ_IJSG_SG_EEES6_PlJS6_EEE10hipError_tPvRmT3_T4_T5_T6_T7_T9_mT8_P12ihipStream_tbDpT10_ENKUlT_T0_E_clISt17integral_constantIbLb0EES1C_IbLb1EEEEDaS18_S19_EUlS18_E_NS1_11comp_targetILNS1_3genE10ELNS1_11target_archE1200ELNS1_3gpuE4ELNS1_3repE0EEENS1_30default_config_static_selectorELNS0_4arch9wavefront6targetE0EEEvT1_
	.p2align	8
	.type	_ZN7rocprim17ROCPRIM_400000_NS6detail17trampoline_kernelINS0_14default_configENS1_25partition_config_selectorILNS1_17partition_subalgoE5EyNS0_10empty_typeEbEEZZNS1_14partition_implILS5_5ELb0ES3_mN6thrust23THRUST_200600_302600_NS6detail15normal_iteratorINSA_10device_ptrIyEEEEPS6_NSA_18transform_iteratorINSB_9not_fun_tI7is_trueIyEEENSC_INSD_IbEEEENSA_11use_defaultESO_EENS0_5tupleIJSF_S6_EEENSQ_IJSG_SG_EEES6_PlJS6_EEE10hipError_tPvRmT3_T4_T5_T6_T7_T9_mT8_P12ihipStream_tbDpT10_ENKUlT_T0_E_clISt17integral_constantIbLb0EES1C_IbLb1EEEEDaS18_S19_EUlS18_E_NS1_11comp_targetILNS1_3genE10ELNS1_11target_archE1200ELNS1_3gpuE4ELNS1_3repE0EEENS1_30default_config_static_selectorELNS0_4arch9wavefront6targetE0EEEvT1_,@function
_ZN7rocprim17ROCPRIM_400000_NS6detail17trampoline_kernelINS0_14default_configENS1_25partition_config_selectorILNS1_17partition_subalgoE5EyNS0_10empty_typeEbEEZZNS1_14partition_implILS5_5ELb0ES3_mN6thrust23THRUST_200600_302600_NS6detail15normal_iteratorINSA_10device_ptrIyEEEEPS6_NSA_18transform_iteratorINSB_9not_fun_tI7is_trueIyEEENSC_INSD_IbEEEENSA_11use_defaultESO_EENS0_5tupleIJSF_S6_EEENSQ_IJSG_SG_EEES6_PlJS6_EEE10hipError_tPvRmT3_T4_T5_T6_T7_T9_mT8_P12ihipStream_tbDpT10_ENKUlT_T0_E_clISt17integral_constantIbLb0EES1C_IbLb1EEEEDaS18_S19_EUlS18_E_NS1_11comp_targetILNS1_3genE10ELNS1_11target_archE1200ELNS1_3gpuE4ELNS1_3repE0EEENS1_30default_config_static_selectorELNS0_4arch9wavefront6targetE0EEEvT1_: ; @_ZN7rocprim17ROCPRIM_400000_NS6detail17trampoline_kernelINS0_14default_configENS1_25partition_config_selectorILNS1_17partition_subalgoE5EyNS0_10empty_typeEbEEZZNS1_14partition_implILS5_5ELb0ES3_mN6thrust23THRUST_200600_302600_NS6detail15normal_iteratorINSA_10device_ptrIyEEEEPS6_NSA_18transform_iteratorINSB_9not_fun_tI7is_trueIyEEENSC_INSD_IbEEEENSA_11use_defaultESO_EENS0_5tupleIJSF_S6_EEENSQ_IJSG_SG_EEES6_PlJS6_EEE10hipError_tPvRmT3_T4_T5_T6_T7_T9_mT8_P12ihipStream_tbDpT10_ENKUlT_T0_E_clISt17integral_constantIbLb0EES1C_IbLb1EEEEDaS18_S19_EUlS18_E_NS1_11comp_targetILNS1_3genE10ELNS1_11target_archE1200ELNS1_3gpuE4ELNS1_3repE0EEENS1_30default_config_static_selectorELNS0_4arch9wavefront6targetE0EEEvT1_
; %bb.0:
	s_clause 0x3
	s_load_b64 s[12:13], s[0:1], 0x30
	s_load_b128 s[4:7], s[0:1], 0x48
	s_load_b64 s[18:19], s[0:1], 0x58
	s_load_b64 s[14:15], s[0:1], 0x68
	v_cmp_eq_u32_e64 s2, 0, v0
	s_and_saveexec_b32 s3, s2
	s_cbranch_execz .LBB2426_4
; %bb.1:
	s_mov_b32 s9, exec_lo
	s_mov_b32 s8, exec_lo
	v_mbcnt_lo_u32_b32 v1, s9, 0
                                        ; implicit-def: $vgpr2
	s_delay_alu instid0(VALU_DEP_1)
	v_cmpx_eq_u32_e32 0, v1
	s_cbranch_execz .LBB2426_3
; %bb.2:
	s_load_b64 s[10:11], s[0:1], 0x78
	s_bcnt1_i32_b32 s9, s9
	s_wait_alu 0xfffe
	v_dual_mov_b32 v2, 0 :: v_dual_mov_b32 v3, s9
	s_wait_kmcnt 0x0
	global_atomic_add_u32 v2, v2, v3, s[10:11] th:TH_ATOMIC_RETURN scope:SCOPE_DEV
.LBB2426_3:
	s_or_b32 exec_lo, exec_lo, s8
	s_wait_loadcnt 0x0
	v_readfirstlane_b32 s8, v2
	s_wait_alu 0xf1ff
	s_delay_alu instid0(VALU_DEP_1)
	v_dual_mov_b32 v2, 0 :: v_dual_add_nc_u32 v1, s8, v1
	ds_store_b32 v2, v1
.LBB2426_4:
	s_or_b32 exec_lo, exec_lo, s3
	v_mov_b32_e32 v1, 0
	s_clause 0x2
	s_load_b128 s[8:11], s[0:1], 0x8
	s_load_b64 s[16:17], s[0:1], 0x20
	s_load_b32 s0, s[0:1], 0x70
	s_wait_dscnt 0x0
	s_barrier_signal -1
	s_barrier_wait -1
	global_inv scope:SCOPE_SE
	ds_load_b32 v2, v1
	s_wait_loadcnt_dscnt 0x0
	s_barrier_signal -1
	s_barrier_wait -1
	global_inv scope:SCOPE_SE
	s_wait_kmcnt 0x0
	global_load_b64 v[17:18], v1, s[6:7]
	s_mov_b32 s7, 0
	v_lshrrev_b32_e32 v11, 2, v0
	v_or_b32_e32 v10, 0x200, v0
	v_or_b32_e32 v9, 0x300, v0
	s_lshl_b64 s[22:23], s[10:11], 3
	s_add_co_i32 s24, s0, -1
	s_lshl_b32 s6, s0, 10
	s_lshl_b32 s3, s24, 10
	s_add_nc_u64 s[0:1], s[10:11], s[6:7]
	s_add_co_i32 s3, s10, s3
	v_readfirstlane_b32 s20, v2
	v_cmp_le_u64_e64 s0, s[18:19], s[0:1]
	s_sub_co_i32 s3, s18, s3
	s_add_nc_u64 s[8:9], s[8:9], s[22:23]
	s_mov_b32 s1, -1
	s_lshl_b32 s21, s20, 10
	s_cmp_eq_u32 s20, s24
	s_mov_b32 s6, s21
	s_cselect_b32 s18, -1, 0
	s_lshl_b64 s[22:23], s[6:7], 3
	s_wait_alu 0xfffe
	s_and_b32 s0, s0, s18
	s_add_nc_u64 s[8:9], s[8:9], s[22:23]
	s_wait_alu 0xfffe
	s_xor_b32 s19, s0, -1
	s_wait_alu 0xfffe
	s_and_b32 vcc_lo, exec_lo, s19
	s_cbranch_vccz .LBB2426_6
; %bb.5:
	v_lshlrev_b32_e32 v12, 3, v0
	v_or_b32_e32 v13, 0x100, v0
	v_lshrrev_b32_e32 v14, 2, v10
	v_lshrrev_b32_e32 v15, 2, v9
	v_and_b32_e32 v16, 56, v11
	v_add_co_u32 v1, s0, s8, v12
	s_wait_alu 0xf1ff
	v_add_co_ci_u32_e64 v2, null, s9, 0, s0
	v_lshrrev_b32_e32 v13, 2, v13
	v_and_b32_e32 v14, 0xb8, v14
	v_and_b32_e32 v15, 0xf8, v15
	s_clause 0x3
	flat_load_b64 v[3:4], v[1:2]
	flat_load_b64 v[5:6], v[1:2] offset:2048
	flat_load_b64 v[7:8], v[1:2] offset:4096
	;; [unrolled: 1-line block ×3, first 2 shown]
	v_add_nc_u32_e32 v16, v16, v12
	v_and_b32_e32 v13, 0x78, v13
	v_add_nc_u32_e32 v14, v14, v12
	s_mov_b32 s1, s7
	s_delay_alu instid0(VALU_DEP_2)
	v_add_nc_u32_e32 v13, v13, v12
	v_add_nc_u32_e32 v12, v15, v12
	s_wait_loadcnt_dscnt 0x303
	ds_store_b64 v16, v[3:4]
	s_wait_loadcnt_dscnt 0x203
	ds_store_b64 v13, v[5:6] offset:2048
	s_wait_loadcnt_dscnt 0x103
	ds_store_b64 v14, v[7:8] offset:4096
	;; [unrolled: 2-line block ×3, first 2 shown]
	s_wait_dscnt 0x0
	s_barrier_signal -1
	s_barrier_wait -1
.LBB2426_6:
	v_cmp_gt_u32_e64 s0, s3, v0
	s_wait_alu 0xfffe
	s_and_not1_b32 vcc_lo, exec_lo, s1
	s_cbranch_vccnz .LBB2426_14
; %bb.7:
	v_mov_b32_e32 v1, 0
	s_delay_alu instid0(VALU_DEP_1)
	v_dual_mov_b32 v2, v1 :: v_dual_mov_b32 v3, v1
	v_dual_mov_b32 v4, v1 :: v_dual_mov_b32 v5, v1
	;; [unrolled: 1-line block ×3, first 2 shown]
	v_mov_b32_e32 v8, v1
	s_and_saveexec_b32 s1, s0
	s_cbranch_execz .LBB2426_9
; %bb.8:
	v_dual_mov_b32 v21, v1 :: v_dual_lshlrev_b32 v2, 3, v0
	v_dual_mov_b32 v22, v1 :: v_dual_mov_b32 v23, v1
	v_dual_mov_b32 v24, v1 :: v_dual_mov_b32 v25, v1
	s_delay_alu instid0(VALU_DEP_3)
	v_add_co_u32 v2, s0, s8, v2
	s_wait_alu 0xf1ff
	v_add_co_ci_u32_e64 v3, null, s9, 0, s0
	v_mov_b32_e32 v26, v1
	flat_load_b64 v[19:20], v[2:3]
	s_wait_loadcnt_dscnt 0x0
	v_dual_mov_b32 v1, v19 :: v_dual_mov_b32 v2, v20
	v_dual_mov_b32 v3, v21 :: v_dual_mov_b32 v4, v22
	;; [unrolled: 1-line block ×4, first 2 shown]
.LBB2426_9:
	s_wait_alu 0xfffe
	s_or_b32 exec_lo, exec_lo, s1
	v_or_b32_e32 v12, 0x100, v0
	s_mov_b32 s0, exec_lo
	s_delay_alu instid0(VALU_DEP_1)
	v_cmpx_gt_u32_e64 s3, v12
	s_cbranch_execnz .LBB2426_138
; %bb.10:
	s_wait_alu 0xfffe
	s_or_b32 exec_lo, exec_lo, s0
	s_delay_alu instid0(SALU_CYCLE_1)
	s_mov_b32 s0, exec_lo
	v_cmpx_gt_u32_e64 s3, v10
	s_cbranch_execnz .LBB2426_139
.LBB2426_11:
	s_wait_alu 0xfffe
	s_or_b32 exec_lo, exec_lo, s0
	s_delay_alu instid0(SALU_CYCLE_1)
	s_mov_b32 s0, exec_lo
	v_cmpx_gt_u32_e64 s3, v9
	s_cbranch_execz .LBB2426_13
.LBB2426_12:
	v_lshlrev_b32_e32 v7, 3, v0
	s_delay_alu instid0(VALU_DEP_1)
	v_add_co_u32 v7, s1, s8, v7
	s_wait_alu 0xf1ff
	v_add_co_ci_u32_e64 v8, null, s9, 0, s1
	flat_load_b64 v[7:8], v[7:8] offset:6144
.LBB2426_13:
	s_wait_alu 0xfffe
	s_or_b32 exec_lo, exec_lo, s0
	v_lshrrev_b32_e32 v12, 2, v12
	v_lshrrev_b32_e32 v13, 2, v10
	;; [unrolled: 1-line block ×3, first 2 shown]
	v_and_b32_e32 v11, 56, v11
	v_lshlrev_b32_e32 v15, 3, v0
	v_and_b32_e32 v12, 0x78, v12
	v_and_b32_e32 v13, 0xf8, v13
	;; [unrolled: 1-line block ×3, first 2 shown]
	s_delay_alu instid0(VALU_DEP_4) | instskip(NEXT) | instid1(VALU_DEP_4)
	v_add_nc_u32_e32 v11, v11, v15
	v_add_nc_u32_e32 v12, v12, v15
	s_delay_alu instid0(VALU_DEP_4) | instskip(NEXT) | instid1(VALU_DEP_4)
	v_add_nc_u32_e32 v13, v13, v15
	v_add_nc_u32_e32 v14, v14, v15
	ds_store_b64 v11, v[1:2]
	s_wait_loadcnt_dscnt 0x1
	ds_store_b64 v12, v[3:4] offset:2048
	ds_store_b64 v13, v[5:6] offset:4096
	;; [unrolled: 1-line block ×3, first 2 shown]
	s_wait_dscnt 0x0
	s_barrier_signal -1
	s_barrier_wait -1
.LBB2426_14:
	v_and_b32_e32 v1, 0xf8, v0
	s_wait_loadcnt 0x0
	global_inv scope:SCOPE_SE
	v_lshrrev_b32_e32 v28, 5, v0
	s_add_nc_u64 s[0:1], s[16:17], s[10:11]
	s_and_b32 vcc_lo, exec_lo, s19
	v_lshl_add_u32 v1, v0, 5, v1
	s_wait_alu 0xfffe
	s_add_nc_u64 s[0:1], s[0:1], s[6:7]
	s_mov_b32 s6, -1
	ds_load_2addr_b64 v[5:8], v1 offset1:1
	ds_load_2addr_b64 v[1:4], v1 offset0:2 offset1:3
	s_wait_loadcnt_dscnt 0x0
	s_barrier_signal -1
	s_barrier_wait -1
	global_inv scope:SCOPE_SE
	s_cbranch_vccz .LBB2426_16
; %bb.15:
	s_clause 0x3
	global_load_u8 v11, v0, s[0:1]
	global_load_u8 v12, v0, s[0:1] offset:256
	global_load_u8 v13, v0, s[0:1] offset:512
	;; [unrolled: 1-line block ×3, first 2 shown]
	v_or_b32_e32 v15, 0x100, v0
	v_lshrrev_b32_e32 v16, 5, v10
	v_lshrrev_b32_e32 v19, 5, v9
	v_and_b32_e32 v20, 4, v28
	s_mov_b32 s6, 0
	v_lshrrev_b32_e32 v15, 5, v15
	v_and_b32_e32 v16, 20, v16
	v_and_b32_e32 v19, 28, v19
	v_add_nc_u32_e32 v20, v20, v0
	s_delay_alu instid0(VALU_DEP_4) | instskip(NEXT) | instid1(VALU_DEP_4)
	v_and_b32_e32 v15, 12, v15
	v_add_nc_u32_e32 v16, v16, v0
	s_delay_alu instid0(VALU_DEP_4) | instskip(NEXT) | instid1(VALU_DEP_3)
	v_add_nc_u32_e32 v19, v19, v0
	v_add_nc_u32_e32 v15, v15, v0
	s_wait_loadcnt 0x3
	v_xor_b32_e32 v11, 1, v11
	s_wait_loadcnt 0x2
	v_xor_b32_e32 v12, 1, v12
	;; [unrolled: 2-line block ×4, first 2 shown]
	ds_store_b8 v20, v11
	ds_store_b8 v15, v12 offset:256
	ds_store_b8 v16, v13 offset:512
	;; [unrolled: 1-line block ×3, first 2 shown]
	s_wait_dscnt 0x0
	s_barrier_signal -1
	s_barrier_wait -1
.LBB2426_16:
	v_lshlrev_b32_e32 v11, 2, v0
	v_lshrrev_b32_e32 v12, 3, v0
	s_and_not1_b32 vcc_lo, exec_lo, s6
	s_cbranch_vccnz .LBB2426_24
; %bb.17:
	v_dual_mov_b32 v13, 0 :: v_dual_mov_b32 v14, 0
	s_mov_b32 s6, exec_lo
	v_cmpx_gt_u32_e64 s3, v0
	s_cbranch_execz .LBB2426_19
; %bb.18:
	global_load_u8 v13, v0, s[0:1]
	s_wait_loadcnt 0x0
	v_xor_b32_e32 v13, 1, v13
	s_delay_alu instid0(VALU_DEP_1) | instskip(NEXT) | instid1(VALU_DEP_1)
	v_and_b32_e32 v14, 1, v13
	v_and_b32_e32 v14, 0xffff, v14
.LBB2426_19:
	s_or_b32 exec_lo, exec_lo, s6
	v_or_b32_e32 v15, 0x100, v0
	s_mov_b32 s6, exec_lo
	s_delay_alu instid0(VALU_DEP_1)
	v_cmpx_gt_u32_e64 s3, v15
	s_cbranch_execnz .LBB2426_140
; %bb.20:
	s_or_b32 exec_lo, exec_lo, s6
	s_delay_alu instid0(SALU_CYCLE_1)
	s_mov_b32 s6, exec_lo
	v_cmpx_gt_u32_e64 s3, v10
	s_cbranch_execnz .LBB2426_141
.LBB2426_21:
	s_or_b32 exec_lo, exec_lo, s6
	v_cmp_gt_u32_e32 vcc_lo, s3, v9
	s_and_saveexec_b32 s3, vcc_lo
	s_cbranch_execz .LBB2426_23
.LBB2426_22:
	global_load_u8 v16, v0, s[0:1] offset:768
	v_lshrrev_b32_e32 v19, 16, v14
	s_wait_loadcnt 0x0
	v_xor_b32_e32 v16, 1, v16
	s_delay_alu instid0(VALU_DEP_1) | instskip(NEXT) | instid1(VALU_DEP_1)
	v_lshlrev_b16 v16, 8, v16
	v_or_b32_e32 v16, v19, v16
	s_delay_alu instid0(VALU_DEP_1) | instskip(NEXT) | instid1(VALU_DEP_1)
	v_lshlrev_b32_e32 v16, 16, v16
	v_and_or_b32 v14, 0xffff, v14, v16
.LBB2426_23:
	s_wait_alu 0xfffe
	s_or_b32 exec_lo, exec_lo, s3
	v_lshrrev_b32_e32 v15, 5, v15
	v_lshrrev_b32_e32 v10, 5, v10
	;; [unrolled: 1-line block ×3, first 2 shown]
	v_and_b32_e32 v16, 4, v28
	v_lshrrev_b32_e32 v19, 8, v14
	v_and_b32_e32 v15, 12, v15
	v_and_b32_e32 v10, 28, v10
	;; [unrolled: 1-line block ×3, first 2 shown]
	v_add_nc_u32_e32 v16, v16, v0
	v_lshrrev_b32_e32 v20, 24, v14
	v_add_nc_u32_e32 v15, v15, v0
	v_add_nc_u32_e32 v10, v10, v0
	;; [unrolled: 1-line block ×3, first 2 shown]
	ds_store_b8 v16, v13
	ds_store_b8 v15, v19 offset:256
	ds_store_b8_d16_hi v10, v14 offset:512
	ds_store_b8 v9, v20 offset:768
	s_wait_loadcnt_dscnt 0x0
	s_barrier_signal -1
	s_barrier_wait -1
.LBB2426_24:
	s_delay_alu instid0(VALU_DEP_1)
	v_dual_mov_b32 v10, 0 :: v_dual_and_b32 v9, 28, v12
	s_wait_loadcnt 0x0
	global_inv scope:SCOPE_SE
	v_mbcnt_lo_u32_b32 v33, -1, 0
	s_cmp_lg_u32 s20, 0
	v_add_nc_u32_e32 v9, v9, v11
	s_mov_b32 s1, -1
	s_delay_alu instid0(VALU_DEP_2)
	v_and_b32_e32 v34, 15, v33
	ds_load_b32 v29, v9
	s_wait_loadcnt_dscnt 0x0
	s_barrier_signal -1
	s_barrier_wait -1
	global_inv scope:SCOPE_SE
	v_and_b32_e32 v32, 0xff, v29
	v_bfe_u32 v31, v29, 8, 8
	v_bfe_u32 v30, v29, 16, 8
	v_lshrrev_b32_e32 v27, 24, v29
	s_delay_alu instid0(VALU_DEP_2) | instskip(NEXT) | instid1(VALU_DEP_1)
	v_add3_u32 v9, v31, v32, v30
	v_add_co_u32 v19, s0, v9, v27
	s_wait_alu 0xf1fe
	v_add_co_ci_u32_e64 v20, null, 0, 0, s0
	v_cmp_ne_u32_e64 s0, 0, v34
	s_cbranch_scc0 .LBB2426_81
; %bb.25:
	v_mov_b32_e32 v11, v19
	v_mov_b32_dpp v9, v19 row_shr:1 row_mask:0xf bank_mask:0xf
	v_mov_b32_dpp v14, v10 row_shr:1 row_mask:0xf bank_mask:0xf
	v_dual_mov_b32 v13, v19 :: v_dual_mov_b32 v12, v20
	s_and_saveexec_b32 s1, s0
; %bb.26:
	s_delay_alu instid0(VALU_DEP_3) | instskip(NEXT) | instid1(VALU_DEP_1)
	v_add_co_u32 v13, vcc_lo, v19, v9
	v_add_co_ci_u32_e64 v10, null, 0, v20, vcc_lo
	s_delay_alu instid0(VALU_DEP_2) | instskip(SKIP_1) | instid1(VALU_DEP_2)
	v_add_co_u32 v9, vcc_lo, 0, v13
	s_wait_alu 0xfffd
	v_add_co_ci_u32_e64 v10, null, v14, v10, vcc_lo
	s_delay_alu instid0(VALU_DEP_1)
	v_dual_mov_b32 v12, v10 :: v_dual_mov_b32 v11, v9
; %bb.27:
	s_wait_alu 0xfffe
	s_or_b32 exec_lo, exec_lo, s1
	v_mov_b32_dpp v9, v13 row_shr:2 row_mask:0xf bank_mask:0xf
	v_mov_b32_dpp v14, v10 row_shr:2 row_mask:0xf bank_mask:0xf
	s_mov_b32 s1, exec_lo
	v_cmpx_lt_u32_e32 1, v34
; %bb.28:
	s_delay_alu instid0(VALU_DEP_3) | instskip(SKIP_2) | instid1(VALU_DEP_2)
	v_add_co_u32 v13, vcc_lo, v11, v9
	s_wait_alu 0xfffd
	v_add_co_ci_u32_e64 v10, null, 0, v12, vcc_lo
	v_add_co_u32 v9, vcc_lo, 0, v13
	s_wait_alu 0xfffd
	s_delay_alu instid0(VALU_DEP_2) | instskip(NEXT) | instid1(VALU_DEP_1)
	v_add_co_ci_u32_e64 v10, null, v14, v10, vcc_lo
	v_dual_mov_b32 v12, v10 :: v_dual_mov_b32 v11, v9
; %bb.29:
	s_wait_alu 0xfffe
	s_or_b32 exec_lo, exec_lo, s1
	v_mov_b32_dpp v9, v13 row_shr:4 row_mask:0xf bank_mask:0xf
	v_mov_b32_dpp v14, v10 row_shr:4 row_mask:0xf bank_mask:0xf
	s_mov_b32 s1, exec_lo
	v_cmpx_lt_u32_e32 3, v34
; %bb.30:
	s_delay_alu instid0(VALU_DEP_3) | instskip(SKIP_2) | instid1(VALU_DEP_2)
	v_add_co_u32 v13, vcc_lo, v11, v9
	s_wait_alu 0xfffd
	v_add_co_ci_u32_e64 v10, null, 0, v12, vcc_lo
	v_add_co_u32 v9, vcc_lo, 0, v13
	s_wait_alu 0xfffd
	s_delay_alu instid0(VALU_DEP_2) | instskip(NEXT) | instid1(VALU_DEP_1)
	v_add_co_ci_u32_e64 v10, null, v14, v10, vcc_lo
	;; [unrolled: 17-line block ×3, first 2 shown]
	v_mov_b32_e32 v10, v12
; %bb.33:
	s_wait_alu 0xfffe
	s_or_b32 exec_lo, exec_lo, s1
	ds_swizzle_b32 v9, v13 offset:swizzle(BROADCAST,32,15)
	ds_swizzle_b32 v14, v10 offset:swizzle(BROADCAST,32,15)
	v_and_b32_e32 v15, 16, v33
	s_mov_b32 s1, exec_lo
	s_delay_alu instid0(VALU_DEP_1)
	v_cmpx_ne_u32_e32 0, v15
	s_cbranch_execz .LBB2426_35
; %bb.34:
	s_wait_dscnt 0x1
	v_add_co_u32 v13, vcc_lo, v11, v9
	s_wait_alu 0xfffd
	v_add_co_ci_u32_e64 v10, null, 0, v12, vcc_lo
	s_delay_alu instid0(VALU_DEP_2) | instskip(SKIP_2) | instid1(VALU_DEP_2)
	v_add_co_u32 v9, vcc_lo, 0, v13
	s_wait_dscnt 0x0
	s_wait_alu 0xfffd
	v_add_co_ci_u32_e64 v10, null, v14, v10, vcc_lo
	s_delay_alu instid0(VALU_DEP_1)
	v_dual_mov_b32 v12, v10 :: v_dual_mov_b32 v11, v9
.LBB2426_35:
	s_wait_alu 0xfffe
	s_or_b32 exec_lo, exec_lo, s1
	s_wait_dscnt 0x1
	v_or_b32_e32 v9, 31, v0
	s_mov_b32 s1, exec_lo
	s_delay_alu instid0(VALU_DEP_1)
	v_cmpx_eq_u32_e64 v0, v9
; %bb.36:
	v_lshlrev_b32_e32 v9, 3, v28
	ds_store_b64 v9, v[11:12]
; %bb.37:
	s_wait_alu 0xfffe
	s_or_b32 exec_lo, exec_lo, s1
	s_delay_alu instid0(SALU_CYCLE_1)
	s_mov_b32 s1, exec_lo
	s_wait_loadcnt_dscnt 0x0
	s_barrier_signal -1
	s_barrier_wait -1
	global_inv scope:SCOPE_SE
	v_cmpx_gt_u32_e32 8, v0
	s_cbranch_execz .LBB2426_45
; %bb.38:
	v_lshlrev_b32_e32 v9, 3, v0
	s_mov_b32 s3, exec_lo
	ds_load_b64 v[11:12], v9
	s_wait_dscnt 0x0
	v_dual_mov_b32 v15, v11 :: v_dual_and_b32 v14, 7, v33
	v_mov_b32_dpp v21, v11 row_shr:1 row_mask:0xf bank_mask:0xf
	v_mov_b32_dpp v16, v12 row_shr:1 row_mask:0xf bank_mask:0xf
	s_delay_alu instid0(VALU_DEP_3)
	v_cmpx_ne_u32_e32 0, v14
; %bb.39:
	s_delay_alu instid0(VALU_DEP_3) | instskip(SKIP_2) | instid1(VALU_DEP_2)
	v_add_co_u32 v15, vcc_lo, v11, v21
	s_wait_alu 0xfffd
	v_add_co_ci_u32_e64 v12, null, 0, v12, vcc_lo
	v_add_co_u32 v11, vcc_lo, 0, v15
	s_wait_alu 0xfffd
	s_delay_alu instid0(VALU_DEP_2)
	v_add_co_ci_u32_e64 v12, null, v16, v12, vcc_lo
; %bb.40:
	s_wait_alu 0xfffe
	s_or_b32 exec_lo, exec_lo, s3
	v_mov_b32_dpp v21, v15 row_shr:2 row_mask:0xf bank_mask:0xf
	s_delay_alu instid0(VALU_DEP_2)
	v_mov_b32_dpp v16, v12 row_shr:2 row_mask:0xf bank_mask:0xf
	s_mov_b32 s3, exec_lo
	v_cmpx_lt_u32_e32 1, v14
; %bb.41:
	s_delay_alu instid0(VALU_DEP_3) | instskip(SKIP_2) | instid1(VALU_DEP_2)
	v_add_co_u32 v15, vcc_lo, v11, v21
	s_wait_alu 0xfffd
	v_add_co_ci_u32_e64 v12, null, 0, v12, vcc_lo
	v_add_co_u32 v11, vcc_lo, 0, v15
	s_wait_alu 0xfffd
	s_delay_alu instid0(VALU_DEP_2)
	v_add_co_ci_u32_e64 v12, null, v16, v12, vcc_lo
; %bb.42:
	s_wait_alu 0xfffe
	s_or_b32 exec_lo, exec_lo, s3
	v_mov_b32_dpp v16, v15 row_shr:4 row_mask:0xf bank_mask:0xf
	s_delay_alu instid0(VALU_DEP_2)
	v_mov_b32_dpp v15, v12 row_shr:4 row_mask:0xf bank_mask:0xf
	s_mov_b32 s3, exec_lo
	v_cmpx_lt_u32_e32 3, v14
; %bb.43:
	s_delay_alu instid0(VALU_DEP_3) | instskip(SKIP_2) | instid1(VALU_DEP_2)
	v_add_co_u32 v11, vcc_lo, v11, v16
	s_wait_alu 0xfffd
	v_add_co_ci_u32_e64 v12, null, 0, v12, vcc_lo
	v_add_co_u32 v11, vcc_lo, v11, 0
	s_wait_alu 0xfffd
	s_delay_alu instid0(VALU_DEP_2)
	v_add_co_ci_u32_e64 v12, null, v12, v15, vcc_lo
; %bb.44:
	s_wait_alu 0xfffe
	s_or_b32 exec_lo, exec_lo, s3
	ds_store_b64 v9, v[11:12]
.LBB2426_45:
	s_wait_alu 0xfffe
	s_or_b32 exec_lo, exec_lo, s1
	s_delay_alu instid0(SALU_CYCLE_1)
	s_mov_b32 s3, exec_lo
	v_cmp_gt_u32_e32 vcc_lo, 32, v0
	s_wait_loadcnt_dscnt 0x0
	s_barrier_signal -1
	s_barrier_wait -1
	global_inv scope:SCOPE_SE
                                        ; implicit-def: $vgpr21_vgpr22
	v_cmpx_lt_u32_e32 31, v0
	s_cbranch_execz .LBB2426_47
; %bb.46:
	v_lshl_add_u32 v9, v28, 3, -8
	ds_load_b64 v[21:22], v9
	s_wait_dscnt 0x0
	v_add_co_u32 v13, s1, v13, v21
	s_wait_alu 0xf1ff
	v_add_co_ci_u32_e64 v10, null, v10, v22, s1
.LBB2426_47:
	s_wait_alu 0xfffe
	s_or_b32 exec_lo, exec_lo, s3
	v_sub_co_u32 v9, s1, v33, 1
	s_delay_alu instid0(VALU_DEP_1) | instskip(SKIP_1) | instid1(VALU_DEP_1)
	v_cmp_gt_i32_e64 s3, 0, v9
	s_wait_alu 0xf1ff
	v_cndmask_b32_e64 v9, v9, v33, s3
	s_delay_alu instid0(VALU_DEP_1)
	v_lshlrev_b32_e32 v9, 2, v9
	ds_bpermute_b32 v35, v9, v13
	ds_bpermute_b32 v36, v9, v10
	s_and_saveexec_b32 s3, vcc_lo
	s_cbranch_execz .LBB2426_86
; %bb.48:
	v_mov_b32_e32 v12, 0
	ds_load_b64 v[9:10], v12 offset:56
	s_and_saveexec_b32 s6, s1
	s_cbranch_execz .LBB2426_50
; %bb.49:
	s_add_co_i32 s8, s20, 32
	s_mov_b32 s9, 0
	s_wait_alu 0xfffe
	s_lshl_b64 s[8:9], s[8:9], 4
	s_wait_alu 0xfffe
	s_add_nc_u64 s[8:9], s[14:15], s[8:9]
	s_wait_alu 0xfffe
	v_dual_mov_b32 v11, 1 :: v_dual_mov_b32 v14, s9
	v_mov_b32_e32 v13, s8
	s_wait_dscnt 0x0
	;;#ASMSTART
	global_store_b128 v[13:14], v[9:12] off scope:SCOPE_DEV	
s_wait_storecnt 0x0
	;;#ASMEND
.LBB2426_50:
	s_or_b32 exec_lo, exec_lo, s6
	v_xad_u32 v23, v33, -1, s20
	s_mov_b32 s6, exec_lo
	s_delay_alu instid0(VALU_DEP_1) | instskip(NEXT) | instid1(VALU_DEP_1)
	v_add_nc_u32_e32 v11, 32, v23
	v_lshlrev_b64_e32 v[11:12], 4, v[11:12]
	s_delay_alu instid0(VALU_DEP_1) | instskip(SKIP_1) | instid1(VALU_DEP_2)
	v_add_co_u32 v11, vcc_lo, s14, v11
	s_wait_alu 0xfffd
	v_add_co_ci_u32_e64 v12, null, s15, v12, vcc_lo
	;;#ASMSTART
	global_load_b128 v[13:16], v[11:12] off scope:SCOPE_DEV	
s_wait_loadcnt 0x0
	;;#ASMEND
	v_and_b32_e32 v16, 0xff, v15
	s_delay_alu instid0(VALU_DEP_1)
	v_cmpx_eq_u16_e32 0, v16
	s_cbranch_execz .LBB2426_53
.LBB2426_51:                            ; =>This Inner Loop Header: Depth=1
	;;#ASMSTART
	global_load_b128 v[13:16], v[11:12] off scope:SCOPE_DEV	
s_wait_loadcnt 0x0
	;;#ASMEND
	v_and_b32_e32 v16, 0xff, v15
	s_delay_alu instid0(VALU_DEP_1) | instskip(SKIP_1) | instid1(SALU_CYCLE_1)
	v_cmp_ne_u16_e32 vcc_lo, 0, v16
	s_or_b32 s7, vcc_lo, s7
	s_and_not1_b32 exec_lo, exec_lo, s7
	s_cbranch_execnz .LBB2426_51
; %bb.52:
	s_or_b32 exec_lo, exec_lo, s7
.LBB2426_53:
	s_delay_alu instid0(SALU_CYCLE_1)
	s_or_b32 exec_lo, exec_lo, s6
	v_cmp_ne_u32_e32 vcc_lo, 31, v33
	v_and_b32_e32 v12, 0xff, v15
	v_lshlrev_b32_e64 v38, v33, -1
	s_mov_b32 s6, exec_lo
	s_wait_alu 0xfffd
	v_add_co_ci_u32_e64 v11, null, 0, v33, vcc_lo
	v_cmp_eq_u16_e32 vcc_lo, 2, v12
	s_delay_alu instid0(VALU_DEP_2)
	v_dual_mov_b32 v12, v13 :: v_dual_lshlrev_b32 v37, 2, v11
	s_wait_alu 0xfffd
	v_and_or_b32 v11, vcc_lo, v38, 0x80000000
	ds_bpermute_b32 v24, v37, v13
	ds_bpermute_b32 v16, v37, v14
	v_ctz_i32_b32_e32 v11, v11
	s_delay_alu instid0(VALU_DEP_1)
	v_cmpx_lt_u32_e64 v33, v11
	s_cbranch_execz .LBB2426_55
; %bb.54:
	s_wait_dscnt 0x1
	v_add_co_u32 v12, vcc_lo, v13, v24
	s_wait_alu 0xfffd
	v_add_co_ci_u32_e64 v14, null, 0, v14, vcc_lo
	s_delay_alu instid0(VALU_DEP_2) | instskip(SKIP_2) | instid1(VALU_DEP_2)
	v_add_co_u32 v13, vcc_lo, 0, v12
	s_wait_dscnt 0x0
	s_wait_alu 0xfffd
	v_add_co_ci_u32_e64 v14, null, v16, v14, vcc_lo
.LBB2426_55:
	s_or_b32 exec_lo, exec_lo, s6
	v_cmp_gt_u32_e32 vcc_lo, 30, v33
	v_add_nc_u32_e32 v40, 2, v33
	s_mov_b32 s6, exec_lo
	s_wait_dscnt 0x0
	s_wait_alu 0xfffd
	v_cndmask_b32_e64 v16, 0, 2, vcc_lo
	s_delay_alu instid0(VALU_DEP_1)
	v_add_lshl_u32 v39, v16, v33, 2
	ds_bpermute_b32 v24, v39, v12
	ds_bpermute_b32 v16, v39, v14
	v_cmpx_le_u32_e64 v40, v11
	s_cbranch_execz .LBB2426_57
; %bb.56:
	s_wait_dscnt 0x1
	v_add_co_u32 v12, vcc_lo, v13, v24
	s_wait_alu 0xfffd
	v_add_co_ci_u32_e64 v14, null, 0, v14, vcc_lo
	s_delay_alu instid0(VALU_DEP_2) | instskip(SKIP_2) | instid1(VALU_DEP_2)
	v_add_co_u32 v13, vcc_lo, 0, v12
	s_wait_dscnt 0x0
	s_wait_alu 0xfffd
	v_add_co_ci_u32_e64 v14, null, v16, v14, vcc_lo
.LBB2426_57:
	s_or_b32 exec_lo, exec_lo, s6
	v_cmp_gt_u32_e32 vcc_lo, 28, v33
	v_add_nc_u32_e32 v42, 4, v33
	s_mov_b32 s6, exec_lo
	s_wait_dscnt 0x0
	s_wait_alu 0xfffd
	v_cndmask_b32_e64 v16, 0, 4, vcc_lo
	s_delay_alu instid0(VALU_DEP_1)
	v_add_lshl_u32 v41, v16, v33, 2
	ds_bpermute_b32 v24, v41, v12
	ds_bpermute_b32 v16, v41, v14
	v_cmpx_le_u32_e64 v42, v11
	;; [unrolled: 24-line block ×3, first 2 shown]
	s_cbranch_execz .LBB2426_61
; %bb.60:
	s_wait_dscnt 0x1
	v_add_co_u32 v12, vcc_lo, v13, v24
	s_wait_alu 0xfffd
	v_add_co_ci_u32_e64 v14, null, 0, v14, vcc_lo
	s_delay_alu instid0(VALU_DEP_2) | instskip(SKIP_2) | instid1(VALU_DEP_2)
	v_add_co_u32 v13, vcc_lo, 0, v12
	s_wait_dscnt 0x0
	s_wait_alu 0xfffd
	v_add_co_ci_u32_e64 v14, null, v16, v14, vcc_lo
.LBB2426_61:
	s_or_b32 exec_lo, exec_lo, s6
	v_lshl_or_b32 v45, v33, 2, 64
	v_add_nc_u32_e32 v46, 16, v33
	s_mov_b32 s6, exec_lo
	s_wait_dscnt 0x0
	ds_bpermute_b32 v16, v45, v12
	ds_bpermute_b32 v12, v45, v14
	v_cmpx_le_u32_e64 v46, v11
	s_cbranch_execz .LBB2426_63
; %bb.62:
	s_wait_dscnt 0x1
	v_add_co_u32 v11, vcc_lo, v13, v16
	s_wait_alu 0xfffd
	v_add_co_ci_u32_e64 v14, null, 0, v14, vcc_lo
	s_delay_alu instid0(VALU_DEP_2) | instskip(SKIP_2) | instid1(VALU_DEP_2)
	v_add_co_u32 v13, vcc_lo, v11, 0
	s_wait_dscnt 0x0
	s_wait_alu 0xfffd
	v_add_co_ci_u32_e64 v14, null, v14, v12, vcc_lo
.LBB2426_63:
	s_or_b32 exec_lo, exec_lo, s6
	v_mov_b32_e32 v24, 0
	s_branch .LBB2426_66
.LBB2426_64:                            ;   in Loop: Header=BB2426_66 Depth=1
	s_or_b32 exec_lo, exec_lo, s6
	v_add_co_u32 v13, vcc_lo, v13, v11
	v_subrev_nc_u32_e32 v23, 32, v23
	s_wait_alu 0xfffd
	v_add_co_ci_u32_e64 v14, null, v14, v12, vcc_lo
	s_mov_b32 s6, 0
.LBB2426_65:                            ;   in Loop: Header=BB2426_66 Depth=1
	s_delay_alu instid0(SALU_CYCLE_1)
	s_and_b32 vcc_lo, exec_lo, s6
	s_wait_alu 0xfffe
	s_cbranch_vccnz .LBB2426_82
.LBB2426_66:                            ; =>This Loop Header: Depth=1
                                        ;     Child Loop BB2426_69 Depth 2
	v_and_b32_e32 v11, 0xff, v15
	s_mov_b32 s6, -1
	s_delay_alu instid0(VALU_DEP_1)
	v_cmp_ne_u16_e32 vcc_lo, 2, v11
	s_wait_dscnt 0x0
	v_dual_mov_b32 v11, v13 :: v_dual_mov_b32 v12, v14
                                        ; implicit-def: $vgpr13_vgpr14
	s_cmp_lg_u32 vcc_lo, exec_lo
	s_cbranch_scc1 .LBB2426_65
; %bb.67:                               ;   in Loop: Header=BB2426_66 Depth=1
	v_lshlrev_b64_e32 v[13:14], 4, v[23:24]
	s_mov_b32 s6, exec_lo
	s_delay_alu instid0(VALU_DEP_1) | instskip(SKIP_1) | instid1(VALU_DEP_2)
	v_add_co_u32 v25, vcc_lo, s14, v13
	s_wait_alu 0xfffd
	v_add_co_ci_u32_e64 v26, null, s15, v14, vcc_lo
	;;#ASMSTART
	global_load_b128 v[13:16], v[25:26] off scope:SCOPE_DEV	
s_wait_loadcnt 0x0
	;;#ASMEND
	v_and_b32_e32 v16, 0xff, v15
	s_delay_alu instid0(VALU_DEP_1)
	v_cmpx_eq_u16_e32 0, v16
	s_cbranch_execz .LBB2426_71
; %bb.68:                               ;   in Loop: Header=BB2426_66 Depth=1
	s_mov_b32 s7, 0
.LBB2426_69:                            ;   Parent Loop BB2426_66 Depth=1
                                        ; =>  This Inner Loop Header: Depth=2
	;;#ASMSTART
	global_load_b128 v[13:16], v[25:26] off scope:SCOPE_DEV	
s_wait_loadcnt 0x0
	;;#ASMEND
	v_and_b32_e32 v16, 0xff, v15
	s_delay_alu instid0(VALU_DEP_1) | instskip(SKIP_1) | instid1(SALU_CYCLE_1)
	v_cmp_ne_u16_e32 vcc_lo, 0, v16
	s_or_b32 s7, vcc_lo, s7
	s_and_not1_b32 exec_lo, exec_lo, s7
	s_cbranch_execnz .LBB2426_69
; %bb.70:                               ;   in Loop: Header=BB2426_66 Depth=1
	s_or_b32 exec_lo, exec_lo, s7
.LBB2426_71:                            ;   in Loop: Header=BB2426_66 Depth=1
	s_delay_alu instid0(SALU_CYCLE_1)
	s_or_b32 exec_lo, exec_lo, s6
	v_dual_mov_b32 v25, v13 :: v_dual_and_b32 v16, 0xff, v15
	ds_bpermute_b32 v47, v37, v13
	ds_bpermute_b32 v26, v37, v14
	s_mov_b32 s6, exec_lo
	v_cmp_eq_u16_e32 vcc_lo, 2, v16
	s_wait_alu 0xfffd
	v_and_or_b32 v16, vcc_lo, v38, 0x80000000
	s_delay_alu instid0(VALU_DEP_1) | instskip(NEXT) | instid1(VALU_DEP_1)
	v_ctz_i32_b32_e32 v16, v16
	v_cmpx_lt_u32_e64 v33, v16
	s_cbranch_execz .LBB2426_73
; %bb.72:                               ;   in Loop: Header=BB2426_66 Depth=1
	s_wait_dscnt 0x1
	v_add_co_u32 v25, vcc_lo, v13, v47
	s_wait_alu 0xfffd
	v_add_co_ci_u32_e64 v14, null, 0, v14, vcc_lo
	s_delay_alu instid0(VALU_DEP_2) | instskip(SKIP_2) | instid1(VALU_DEP_2)
	v_add_co_u32 v13, vcc_lo, 0, v25
	s_wait_dscnt 0x0
	s_wait_alu 0xfffd
	v_add_co_ci_u32_e64 v14, null, v26, v14, vcc_lo
.LBB2426_73:                            ;   in Loop: Header=BB2426_66 Depth=1
	s_or_b32 exec_lo, exec_lo, s6
	s_wait_dscnt 0x1
	ds_bpermute_b32 v47, v39, v25
	s_wait_dscnt 0x1
	ds_bpermute_b32 v26, v39, v14
	s_mov_b32 s6, exec_lo
	v_cmpx_le_u32_e64 v40, v16
	s_cbranch_execz .LBB2426_75
; %bb.74:                               ;   in Loop: Header=BB2426_66 Depth=1
	s_wait_dscnt 0x1
	v_add_co_u32 v25, vcc_lo, v13, v47
	s_wait_alu 0xfffd
	v_add_co_ci_u32_e64 v14, null, 0, v14, vcc_lo
	s_delay_alu instid0(VALU_DEP_2) | instskip(SKIP_2) | instid1(VALU_DEP_2)
	v_add_co_u32 v13, vcc_lo, 0, v25
	s_wait_dscnt 0x0
	s_wait_alu 0xfffd
	v_add_co_ci_u32_e64 v14, null, v26, v14, vcc_lo
.LBB2426_75:                            ;   in Loop: Header=BB2426_66 Depth=1
	s_or_b32 exec_lo, exec_lo, s6
	s_wait_dscnt 0x1
	ds_bpermute_b32 v47, v41, v25
	s_wait_dscnt 0x1
	ds_bpermute_b32 v26, v41, v14
	s_mov_b32 s6, exec_lo
	v_cmpx_le_u32_e64 v42, v16
	;; [unrolled: 19-line block ×3, first 2 shown]
	s_cbranch_execz .LBB2426_79
; %bb.78:                               ;   in Loop: Header=BB2426_66 Depth=1
	s_wait_dscnt 0x1
	v_add_co_u32 v25, vcc_lo, v13, v47
	s_wait_alu 0xfffd
	v_add_co_ci_u32_e64 v14, null, 0, v14, vcc_lo
	s_delay_alu instid0(VALU_DEP_2) | instskip(SKIP_2) | instid1(VALU_DEP_2)
	v_add_co_u32 v13, vcc_lo, 0, v25
	s_wait_dscnt 0x0
	s_wait_alu 0xfffd
	v_add_co_ci_u32_e64 v14, null, v26, v14, vcc_lo
.LBB2426_79:                            ;   in Loop: Header=BB2426_66 Depth=1
	s_or_b32 exec_lo, exec_lo, s6
	s_wait_dscnt 0x0
	ds_bpermute_b32 v26, v45, v25
	ds_bpermute_b32 v25, v45, v14
	s_mov_b32 s6, exec_lo
	v_cmpx_le_u32_e64 v46, v16
	s_cbranch_execz .LBB2426_64
; %bb.80:                               ;   in Loop: Header=BB2426_66 Depth=1
	s_wait_dscnt 0x1
	v_add_co_u32 v13, vcc_lo, v13, v26
	s_wait_alu 0xfffd
	v_add_co_ci_u32_e64 v14, null, 0, v14, vcc_lo
	s_delay_alu instid0(VALU_DEP_2) | instskip(SKIP_2) | instid1(VALU_DEP_2)
	v_add_co_u32 v13, vcc_lo, v13, 0
	s_wait_dscnt 0x0
	s_wait_alu 0xfffd
	v_add_co_ci_u32_e64 v14, null, v14, v25, vcc_lo
	s_branch .LBB2426_64
.LBB2426_81:
                                        ; implicit-def: $vgpr15_vgpr16
                                        ; implicit-def: $vgpr13_vgpr14
                                        ; implicit-def: $vgpr21_vgpr22
                                        ; implicit-def: $vgpr23_vgpr24
                                        ; implicit-def: $vgpr11_vgpr12
	s_and_b32 vcc_lo, exec_lo, s1
	s_cbranch_vccnz .LBB2426_87
	s_branch .LBB2426_112
.LBB2426_82:
	s_and_saveexec_b32 s6, s1
	s_cbranch_execz .LBB2426_84
; %bb.83:
	s_add_co_i32 s8, s20, 32
	s_mov_b32 s9, 0
	v_add_co_u32 v13, vcc_lo, v11, v9
	s_wait_alu 0xfffe
	s_lshl_b64 s[8:9], s[8:9], 4
	v_dual_mov_b32 v15, 2 :: v_dual_mov_b32 v16, 0
	s_wait_alu 0xfffe
	s_add_nc_u64 s[8:9], s[14:15], s[8:9]
	s_wait_alu 0xfffd
	v_add_co_ci_u32_e64 v14, null, v12, v10, vcc_lo
	s_wait_alu 0xfffe
	v_dual_mov_b32 v24, s9 :: v_dual_mov_b32 v23, s8
	;;#ASMSTART
	global_store_b128 v[23:24], v[13:16] off scope:SCOPE_DEV	
s_wait_storecnt 0x0
	;;#ASMEND
	ds_store_b128 v16, v[9:12] offset:8448
.LBB2426_84:
	s_or_b32 exec_lo, exec_lo, s6
	s_delay_alu instid0(SALU_CYCLE_1)
	s_and_b32 exec_lo, exec_lo, s2
; %bb.85:
	v_mov_b32_e32 v9, 0
	ds_store_b64 v9, v[11:12] offset:56
.LBB2426_86:
	s_wait_alu 0xfffe
	s_or_b32 exec_lo, exec_lo, s3
	v_mov_b32_e32 v9, 0
	s_wait_loadcnt_dscnt 0x0
	s_barrier_signal -1
	s_barrier_wait -1
	global_inv scope:SCOPE_SE
	ds_load_b64 v[13:14], v9 offset:56
	v_cndmask_b32_e64 v11, v35, v21, s1
	v_cndmask_b32_e64 v10, v36, v22, s1
	s_wait_loadcnt_dscnt 0x0
	s_barrier_signal -1
	s_barrier_wait -1
	v_cndmask_b32_e64 v16, v11, 0, s2
	v_cndmask_b32_e64 v15, v10, 0, s2
	global_inv scope:SCOPE_SE
	ds_load_b128 v[9:12], v9 offset:8448
	v_add_co_u32 v23, vcc_lo, v13, v16
	s_wait_alu 0xfffd
	v_add_co_ci_u32_e64 v24, null, v14, v15, vcc_lo
	s_delay_alu instid0(VALU_DEP_2) | instskip(SKIP_1) | instid1(VALU_DEP_2)
	v_add_co_u32 v21, vcc_lo, v23, v32
	s_wait_alu 0xfffd
	v_add_co_ci_u32_e64 v22, null, 0, v24, vcc_lo
	s_delay_alu instid0(VALU_DEP_2) | instskip(SKIP_1) | instid1(VALU_DEP_2)
	;; [unrolled: 4-line block ×3, first 2 shown]
	v_add_co_u32 v15, vcc_lo, v13, v30
	s_wait_alu 0xfffd
	v_add_co_ci_u32_e64 v16, null, 0, v14, vcc_lo
	s_branch .LBB2426_112
.LBB2426_87:
	s_wait_dscnt 0x0
	v_dual_mov_b32 v10, 0 :: v_dual_mov_b32 v11, v19
	v_mov_b32_dpp v12, v19 row_shr:1 row_mask:0xf bank_mask:0xf
	s_delay_alu instid0(VALU_DEP_2)
	v_mov_b32_dpp v9, v10 row_shr:1 row_mask:0xf bank_mask:0xf
	s_and_saveexec_b32 s1, s0
; %bb.88:
	s_delay_alu instid0(VALU_DEP_2) | instskip(NEXT) | instid1(VALU_DEP_1)
	v_add_co_u32 v11, vcc_lo, v19, v12
	v_add_co_ci_u32_e64 v10, null, 0, v20, vcc_lo
	s_delay_alu instid0(VALU_DEP_2) | instskip(SKIP_1) | instid1(VALU_DEP_2)
	v_add_co_u32 v19, vcc_lo, 0, v11
	s_wait_alu 0xfffd
	v_add_co_ci_u32_e64 v20, null, v9, v10, vcc_lo
	s_delay_alu instid0(VALU_DEP_1)
	v_mov_b32_e32 v10, v20
; %bb.89:
	s_wait_alu 0xfffe
	s_or_b32 exec_lo, exec_lo, s1
	v_mov_b32_dpp v9, v11 row_shr:2 row_mask:0xf bank_mask:0xf
	s_delay_alu instid0(VALU_DEP_2)
	v_mov_b32_dpp v12, v10 row_shr:2 row_mask:0xf bank_mask:0xf
	s_mov_b32 s0, exec_lo
	v_cmpx_lt_u32_e32 1, v34
; %bb.90:
	s_delay_alu instid0(VALU_DEP_3) | instskip(SKIP_2) | instid1(VALU_DEP_2)
	v_add_co_u32 v11, vcc_lo, v19, v9
	s_wait_alu 0xfffd
	v_add_co_ci_u32_e64 v10, null, 0, v20, vcc_lo
	v_add_co_u32 v9, vcc_lo, 0, v11
	s_wait_alu 0xfffd
	s_delay_alu instid0(VALU_DEP_2) | instskip(NEXT) | instid1(VALU_DEP_1)
	v_add_co_ci_u32_e64 v10, null, v12, v10, vcc_lo
	v_dual_mov_b32 v20, v10 :: v_dual_mov_b32 v19, v9
; %bb.91:
	s_wait_alu 0xfffe
	s_or_b32 exec_lo, exec_lo, s0
	v_mov_b32_dpp v9, v11 row_shr:4 row_mask:0xf bank_mask:0xf
	v_mov_b32_dpp v12, v10 row_shr:4 row_mask:0xf bank_mask:0xf
	s_mov_b32 s0, exec_lo
	v_cmpx_lt_u32_e32 3, v34
; %bb.92:
	s_delay_alu instid0(VALU_DEP_3) | instskip(SKIP_2) | instid1(VALU_DEP_2)
	v_add_co_u32 v11, vcc_lo, v19, v9
	s_wait_alu 0xfffd
	v_add_co_ci_u32_e64 v10, null, 0, v20, vcc_lo
	v_add_co_u32 v9, vcc_lo, 0, v11
	s_wait_alu 0xfffd
	s_delay_alu instid0(VALU_DEP_2) | instskip(NEXT) | instid1(VALU_DEP_1)
	v_add_co_ci_u32_e64 v10, null, v12, v10, vcc_lo
	v_dual_mov_b32 v20, v10 :: v_dual_mov_b32 v19, v9
; %bb.93:
	s_wait_alu 0xfffe
	s_or_b32 exec_lo, exec_lo, s0
	v_mov_b32_dpp v12, v11 row_shr:8 row_mask:0xf bank_mask:0xf
	v_mov_b32_dpp v9, v10 row_shr:8 row_mask:0xf bank_mask:0xf
	s_mov_b32 s0, exec_lo
	v_cmpx_lt_u32_e32 7, v34
; %bb.94:
	s_delay_alu instid0(VALU_DEP_3) | instskip(SKIP_2) | instid1(VALU_DEP_2)
	v_add_co_u32 v11, vcc_lo, v19, v12
	s_wait_alu 0xfffd
	v_add_co_ci_u32_e64 v10, null, 0, v20, vcc_lo
	v_add_co_u32 v19, vcc_lo, 0, v11
	s_wait_alu 0xfffd
	s_delay_alu instid0(VALU_DEP_2) | instskip(NEXT) | instid1(VALU_DEP_1)
	v_add_co_ci_u32_e64 v20, null, v9, v10, vcc_lo
	v_mov_b32_e32 v10, v20
; %bb.95:
	s_wait_alu 0xfffe
	s_or_b32 exec_lo, exec_lo, s0
	ds_swizzle_b32 v11, v11 offset:swizzle(BROADCAST,32,15)
	ds_swizzle_b32 v9, v10 offset:swizzle(BROADCAST,32,15)
	v_and_b32_e32 v10, 16, v33
	s_mov_b32 s0, exec_lo
	s_delay_alu instid0(VALU_DEP_1)
	v_cmpx_ne_u32_e32 0, v10
	s_cbranch_execz .LBB2426_97
; %bb.96:
	s_wait_dscnt 0x1
	v_add_co_u32 v10, vcc_lo, v19, v11
	s_wait_alu 0xfffd
	v_add_co_ci_u32_e64 v11, null, 0, v20, vcc_lo
	s_delay_alu instid0(VALU_DEP_2) | instskip(SKIP_2) | instid1(VALU_DEP_2)
	v_add_co_u32 v19, vcc_lo, v10, 0
	s_wait_dscnt 0x0
	s_wait_alu 0xfffd
	v_add_co_ci_u32_e64 v20, null, v11, v9, vcc_lo
.LBB2426_97:
	s_wait_alu 0xfffe
	s_or_b32 exec_lo, exec_lo, s0
	s_wait_dscnt 0x0
	v_or_b32_e32 v9, 31, v0
	s_mov_b32 s0, exec_lo
	s_delay_alu instid0(VALU_DEP_1)
	v_cmpx_eq_u32_e64 v0, v9
; %bb.98:
	v_lshlrev_b32_e32 v9, 3, v28
	ds_store_b64 v9, v[19:20]
; %bb.99:
	s_wait_alu 0xfffe
	s_or_b32 exec_lo, exec_lo, s0
	s_delay_alu instid0(SALU_CYCLE_1)
	s_mov_b32 s0, exec_lo
	s_wait_loadcnt_dscnt 0x0
	s_barrier_signal -1
	s_barrier_wait -1
	global_inv scope:SCOPE_SE
	v_cmpx_gt_u32_e32 8, v0
	s_cbranch_execz .LBB2426_107
; %bb.100:
	v_lshlrev_b32_e32 v11, 3, v0
	s_mov_b32 s1, exec_lo
	ds_load_b64 v[9:10], v11
	s_wait_dscnt 0x0
	v_dual_mov_b32 v13, v9 :: v_dual_and_b32 v12, 7, v33
	v_mov_b32_dpp v15, v9 row_shr:1 row_mask:0xf bank_mask:0xf
	v_mov_b32_dpp v14, v10 row_shr:1 row_mask:0xf bank_mask:0xf
	s_delay_alu instid0(VALU_DEP_3)
	v_cmpx_ne_u32_e32 0, v12
; %bb.101:
	s_delay_alu instid0(VALU_DEP_3) | instskip(SKIP_2) | instid1(VALU_DEP_2)
	v_add_co_u32 v13, vcc_lo, v9, v15
	s_wait_alu 0xfffd
	v_add_co_ci_u32_e64 v10, null, 0, v10, vcc_lo
	v_add_co_u32 v9, vcc_lo, 0, v13
	s_wait_alu 0xfffd
	s_delay_alu instid0(VALU_DEP_2)
	v_add_co_ci_u32_e64 v10, null, v14, v10, vcc_lo
; %bb.102:
	s_wait_alu 0xfffe
	s_or_b32 exec_lo, exec_lo, s1
	v_mov_b32_dpp v15, v13 row_shr:2 row_mask:0xf bank_mask:0xf
	s_delay_alu instid0(VALU_DEP_2)
	v_mov_b32_dpp v14, v10 row_shr:2 row_mask:0xf bank_mask:0xf
	s_mov_b32 s1, exec_lo
	v_cmpx_lt_u32_e32 1, v12
; %bb.103:
	s_delay_alu instid0(VALU_DEP_3) | instskip(SKIP_2) | instid1(VALU_DEP_2)
	v_add_co_u32 v13, vcc_lo, v9, v15
	s_wait_alu 0xfffd
	v_add_co_ci_u32_e64 v10, null, 0, v10, vcc_lo
	v_add_co_u32 v9, vcc_lo, 0, v13
	s_wait_alu 0xfffd
	s_delay_alu instid0(VALU_DEP_2)
	v_add_co_ci_u32_e64 v10, null, v14, v10, vcc_lo
; %bb.104:
	s_wait_alu 0xfffe
	s_or_b32 exec_lo, exec_lo, s1
	v_mov_b32_dpp v14, v13 row_shr:4 row_mask:0xf bank_mask:0xf
	s_delay_alu instid0(VALU_DEP_2)
	v_mov_b32_dpp v13, v10 row_shr:4 row_mask:0xf bank_mask:0xf
	s_mov_b32 s1, exec_lo
	v_cmpx_lt_u32_e32 3, v12
; %bb.105:
	s_delay_alu instid0(VALU_DEP_3) | instskip(SKIP_2) | instid1(VALU_DEP_2)
	v_add_co_u32 v9, vcc_lo, v9, v14
	s_wait_alu 0xfffd
	v_add_co_ci_u32_e64 v10, null, 0, v10, vcc_lo
	v_add_co_u32 v9, vcc_lo, v9, 0
	s_wait_alu 0xfffd
	s_delay_alu instid0(VALU_DEP_2)
	v_add_co_ci_u32_e64 v10, null, v10, v13, vcc_lo
; %bb.106:
	s_wait_alu 0xfffe
	s_or_b32 exec_lo, exec_lo, s1
	ds_store_b64 v11, v[9:10]
.LBB2426_107:
	s_wait_alu 0xfffe
	s_or_b32 exec_lo, exec_lo, s0
	v_mov_b32_e32 v13, 0
	v_mov_b32_e32 v14, 0
	s_mov_b32 s0, exec_lo
	s_wait_loadcnt_dscnt 0x0
	s_barrier_signal -1
	s_barrier_wait -1
	global_inv scope:SCOPE_SE
	v_cmpx_lt_u32_e32 31, v0
; %bb.108:
	v_lshl_add_u32 v9, v28, 3, -8
	ds_load_b64 v[13:14], v9
; %bb.109:
	s_wait_alu 0xfffe
	s_or_b32 exec_lo, exec_lo, s0
	v_sub_co_u32 v9, vcc_lo, v33, 1
	v_mov_b32_e32 v12, 0
	s_delay_alu instid0(VALU_DEP_2) | instskip(SKIP_1) | instid1(VALU_DEP_1)
	v_cmp_gt_i32_e64 s0, 0, v9
	s_wait_alu 0xf1ff
	v_cndmask_b32_e64 v9, v9, v33, s0
	s_wait_dscnt 0x0
	v_add_co_u32 v10, s0, v13, v19
	s_wait_alu 0xf1ff
	v_add_co_ci_u32_e64 v11, null, v14, v20, s0
	v_lshlrev_b32_e32 v9, 2, v9
	ds_bpermute_b32 v15, v9, v10
	ds_bpermute_b32 v16, v9, v11
	ds_load_b64 v[9:10], v12 offset:56
	s_and_saveexec_b32 s0, s2
	s_cbranch_execz .LBB2426_111
; %bb.110:
	s_add_nc_u64 s[6:7], s[14:15], 0x200
	s_delay_alu instid0(SALU_CYCLE_1)
	v_dual_mov_b32 v11, 2 :: v_dual_mov_b32 v20, s7
	v_mov_b32_e32 v19, s6
	s_wait_dscnt 0x0
	;;#ASMSTART
	global_store_b128 v[19:20], v[9:12] off scope:SCOPE_DEV	
s_wait_storecnt 0x0
	;;#ASMEND
.LBB2426_111:
	s_wait_alu 0xfffe
	s_or_b32 exec_lo, exec_lo, s0
	s_wait_dscnt 0x1
	s_wait_alu 0xfffd
	v_dual_cndmask_b32 v11, v15, v13 :: v_dual_cndmask_b32 v12, v16, v14
	s_wait_loadcnt_dscnt 0x0
	s_barrier_signal -1
	s_barrier_wait -1
	s_delay_alu instid0(VALU_DEP_1)
	v_cndmask_b32_e64 v23, v11, 0, s2
	v_cndmask_b32_e64 v24, v12, 0, s2
	v_mov_b32_e32 v11, 0
	v_mov_b32_e32 v12, 0
	global_inv scope:SCOPE_SE
	v_add_co_u32 v21, vcc_lo, v23, v32
	s_wait_alu 0xfffd
	v_add_co_ci_u32_e64 v22, null, 0, v24, vcc_lo
	s_delay_alu instid0(VALU_DEP_2) | instskip(SKIP_1) | instid1(VALU_DEP_2)
	v_add_co_u32 v13, vcc_lo, v21, v31
	s_wait_alu 0xfffd
	v_add_co_ci_u32_e64 v14, null, 0, v22, vcc_lo
	s_delay_alu instid0(VALU_DEP_2) | instskip(SKIP_1) | instid1(VALU_DEP_2)
	v_add_co_u32 v15, vcc_lo, v13, v30
	s_wait_alu 0xfffd
	v_add_co_ci_u32_e64 v16, null, 0, v14, vcc_lo
.LBB2426_112:
	v_and_b32_e32 v28, 1, v29
	s_wait_dscnt 0x0
	v_cmp_gt_u64_e32 vcc_lo, 0x101, v[9:10]
	v_lshrrev_b32_e32 v25, 16, v29
	v_lshrrev_b32_e32 v26, 8, v29
	s_mov_b32 s1, -1
	v_cmp_eq_u32_e64 s0, 1, v28
	s_cbranch_vccnz .LBB2426_116
; %bb.113:
	s_wait_alu 0xfffe
	s_and_b32 vcc_lo, exec_lo, s1
	s_wait_alu 0xfffe
	s_cbranch_vccnz .LBB2426_125
.LBB2426_114:
	s_and_b32 s0, s2, s18
	s_wait_alu 0xfffe
	s_and_saveexec_b32 s1, s0
	s_cbranch_execnz .LBB2426_137
.LBB2426_115:
	s_endpgm
.LBB2426_116:
	v_add_co_u32 v19, vcc_lo, v11, v9
	s_wait_alu 0xfffd
	v_add_co_ci_u32_e64 v20, null, v12, v10, vcc_lo
	v_lshlrev_b64_e32 v[29:30], 3, v[17:18]
	s_delay_alu instid0(VALU_DEP_2) | instskip(NEXT) | instid1(VALU_DEP_2)
	v_cmp_lt_u64_e32 vcc_lo, v[23:24], v[19:20]
	v_add_co_u32 v29, s1, s12, v29
	s_wait_alu 0xf1fe
	s_delay_alu instid0(VALU_DEP_3)
	v_add_co_ci_u32_e64 v30, null, s13, v30, s1
	s_or_b32 s1, s19, vcc_lo
	s_wait_alu 0xfffe
	s_and_b32 s1, s1, s0
	s_wait_alu 0xfffe
	s_and_saveexec_b32 s0, s1
	s_cbranch_execz .LBB2426_118
; %bb.117:
	v_lshlrev_b64_e32 v[31:32], 3, v[23:24]
	s_delay_alu instid0(VALU_DEP_1) | instskip(SKIP_1) | instid1(VALU_DEP_2)
	v_add_co_u32 v31, vcc_lo, v29, v31
	s_wait_alu 0xfffd
	v_add_co_ci_u32_e64 v32, null, v30, v32, vcc_lo
	global_store_b64 v[31:32], v[5:6], off
.LBB2426_118:
	s_wait_alu 0xfffe
	s_or_b32 exec_lo, exec_lo, s0
	v_and_b32_e32 v24, 1, v26
	v_cmp_lt_u64_e32 vcc_lo, v[21:22], v[19:20]
	s_delay_alu instid0(VALU_DEP_2)
	v_cmp_eq_u32_e64 s0, 1, v24
	s_or_b32 s1, s19, vcc_lo
	s_wait_alu 0xfffe
	s_and_b32 s1, s1, s0
	s_wait_alu 0xfffe
	s_and_saveexec_b32 s0, s1
	s_cbranch_execz .LBB2426_120
; %bb.119:
	v_lshlrev_b64_e32 v[31:32], 3, v[21:22]
	s_delay_alu instid0(VALU_DEP_1) | instskip(SKIP_1) | instid1(VALU_DEP_2)
	v_add_co_u32 v31, vcc_lo, v29, v31
	s_wait_alu 0xfffd
	v_add_co_ci_u32_e64 v32, null, v30, v32, vcc_lo
	global_store_b64 v[31:32], v[7:8], off
.LBB2426_120:
	s_wait_alu 0xfffe
	s_or_b32 exec_lo, exec_lo, s0
	v_and_b32_e32 v22, 1, v25
	v_cmp_lt_u64_e32 vcc_lo, v[13:14], v[19:20]
	s_delay_alu instid0(VALU_DEP_2)
	v_cmp_eq_u32_e64 s0, 1, v22
	;; [unrolled: 20-line block ×3, first 2 shown]
	s_or_b32 s1, s19, vcc_lo
	s_wait_alu 0xfffe
	s_and_b32 s1, s1, s0
	s_wait_alu 0xfffe
	s_and_saveexec_b32 s0, s1
	s_cbranch_execz .LBB2426_124
; %bb.123:
	v_lshlrev_b64_e32 v[19:20], 3, v[15:16]
	s_delay_alu instid0(VALU_DEP_1) | instskip(SKIP_1) | instid1(VALU_DEP_2)
	v_add_co_u32 v19, vcc_lo, v29, v19
	s_wait_alu 0xfffd
	v_add_co_ci_u32_e64 v20, null, v30, v20, vcc_lo
	global_store_b64 v[19:20], v[3:4], off
.LBB2426_124:
	s_wait_alu 0xfffe
	s_or_b32 exec_lo, exec_lo, s0
	s_branch .LBB2426_114
.LBB2426_125:
	s_mov_b32 s0, exec_lo
	v_cmpx_eq_u32_e32 1, v28
; %bb.126:
	v_sub_nc_u32_e32 v14, v23, v11
	s_delay_alu instid0(VALU_DEP_1)
	v_lshlrev_b32_e32 v14, 3, v14
	ds_store_b64 v14, v[5:6]
; %bb.127:
	s_wait_alu 0xfffe
	s_or_b32 exec_lo, exec_lo, s0
	v_and_b32_e32 v5, 1, v26
	s_mov_b32 s0, exec_lo
	s_delay_alu instid0(VALU_DEP_1)
	v_cmpx_eq_u32_e32 1, v5
; %bb.128:
	v_sub_nc_u32_e32 v5, v21, v11
	s_delay_alu instid0(VALU_DEP_1)
	v_lshlrev_b32_e32 v5, 3, v5
	ds_store_b64 v5, v[7:8]
; %bb.129:
	s_wait_alu 0xfffe
	s_or_b32 exec_lo, exec_lo, s0
	v_and_b32_e32 v5, 1, v25
	s_mov_b32 s0, exec_lo
	s_delay_alu instid0(VALU_DEP_1)
	;; [unrolled: 12-line block ×3, first 2 shown]
	v_cmpx_eq_u32_e32 1, v1
; %bb.132:
	v_sub_nc_u32_e32 v1, v15, v11
	s_delay_alu instid0(VALU_DEP_1)
	v_lshlrev_b32_e32 v1, 3, v1
	ds_store_b64 v1, v[3:4]
; %bb.133:
	s_wait_alu 0xfffe
	s_or_b32 exec_lo, exec_lo, s0
	v_mov_b32_e32 v1, 0
	s_mov_b32 s1, exec_lo
	s_wait_storecnt 0x0
	s_wait_loadcnt_dscnt 0x0
	s_barrier_signal -1
	s_barrier_wait -1
	global_inv scope:SCOPE_SE
	v_cmpx_gt_u64_e64 v[9:10], v[0:1]
	s_cbranch_execz .LBB2426_136
; %bb.134:
	v_lshlrev_b64_e32 v[2:3], 3, v[17:18]
	v_lshlrev_b64_e32 v[4:5], 3, v[11:12]
	s_mov_b32 s3, 0
	s_delay_alu instid0(VALU_DEP_2) | instskip(SKIP_1) | instid1(VALU_DEP_3)
	v_add_co_u32 v6, vcc_lo, s12, v2
	s_wait_alu 0xfffd
	v_add_co_ci_u32_e64 v7, null, s13, v3, vcc_lo
	v_dual_mov_b32 v3, v1 :: v_dual_mov_b32 v2, v0
	s_delay_alu instid0(VALU_DEP_3) | instskip(SKIP_1) | instid1(VALU_DEP_3)
	v_add_co_u32 v4, vcc_lo, v6, v4
	s_wait_alu 0xfffd
	v_add_co_ci_u32_e64 v5, null, v7, v5, vcc_lo
	v_or_b32_e32 v0, 0x100, v0
.LBB2426_135:                           ; =>This Inner Loop Header: Depth=1
	v_lshlrev_b32_e32 v6, 3, v2
	v_lshlrev_b64_e32 v[13:14], 3, v[2:3]
	v_mov_b32_e32 v3, v1
	s_delay_alu instid0(VALU_DEP_4)
	v_cmp_le_u64_e32 vcc_lo, v[9:10], v[0:1]
	v_mov_b32_e32 v2, v0
	ds_load_b64 v[6:7], v6
	v_add_nc_u32_e32 v0, 0x100, v0
	v_add_co_u32 v13, s0, v4, v13
	s_wait_alu 0xf1ff
	v_add_co_ci_u32_e64 v14, null, v5, v14, s0
	s_wait_alu 0xfffe
	s_or_b32 s3, vcc_lo, s3
	s_wait_dscnt 0x0
	global_store_b64 v[13:14], v[6:7], off
	s_wait_alu 0xfffe
	s_and_not1_b32 exec_lo, exec_lo, s3
	s_cbranch_execnz .LBB2426_135
.LBB2426_136:
	s_wait_alu 0xfffe
	s_or_b32 exec_lo, exec_lo, s1
	s_and_b32 s0, s2, s18
	s_wait_alu 0xfffe
	s_and_saveexec_b32 s1, s0
	s_cbranch_execz .LBB2426_115
.LBB2426_137:
	v_add_co_u32 v0, vcc_lo, v11, v9
	s_wait_alu 0xfffd
	v_add_co_ci_u32_e64 v1, null, v12, v10, vcc_lo
	v_mov_b32_e32 v2, 0
	s_delay_alu instid0(VALU_DEP_3) | instskip(SKIP_1) | instid1(VALU_DEP_3)
	v_add_co_u32 v0, vcc_lo, v0, v17
	s_wait_alu 0xfffd
	v_add_co_ci_u32_e64 v1, null, v1, v18, vcc_lo
	global_store_b64 v2, v[0:1], s[4:5]
	s_endpgm
.LBB2426_138:
	v_lshlrev_b32_e32 v3, 3, v0
	s_delay_alu instid0(VALU_DEP_1)
	v_add_co_u32 v3, s1, s8, v3
	s_wait_alu 0xf1ff
	v_add_co_ci_u32_e64 v4, null, s9, 0, s1
	flat_load_b64 v[3:4], v[3:4] offset:2048
	s_wait_alu 0xfffe
	s_or_b32 exec_lo, exec_lo, s0
	s_delay_alu instid0(SALU_CYCLE_1)
	s_mov_b32 s0, exec_lo
	v_cmpx_gt_u32_e64 s3, v10
	s_cbranch_execz .LBB2426_11
.LBB2426_139:
	v_lshlrev_b32_e32 v5, 3, v0
	s_delay_alu instid0(VALU_DEP_1)
	v_add_co_u32 v5, s1, s8, v5
	s_wait_alu 0xf1ff
	v_add_co_ci_u32_e64 v6, null, s9, 0, s1
	flat_load_b64 v[5:6], v[5:6] offset:4096
	s_wait_alu 0xfffe
	s_or_b32 exec_lo, exec_lo, s0
	s_delay_alu instid0(SALU_CYCLE_1)
	s_mov_b32 s0, exec_lo
	v_cmpx_gt_u32_e64 s3, v9
	s_cbranch_execnz .LBB2426_12
	s_branch .LBB2426_13
.LBB2426_140:
	global_load_u8 v16, v0, s[0:1] offset:256
	s_wait_loadcnt 0x0
	v_xor_b32_e32 v16, 1, v16
	s_delay_alu instid0(VALU_DEP_1) | instskip(NEXT) | instid1(VALU_DEP_1)
	v_lshlrev_b16 v16, 8, v16
	v_or_b32_e32 v14, v14, v16
	s_delay_alu instid0(VALU_DEP_1) | instskip(SKIP_1) | instid1(SALU_CYCLE_1)
	v_and_b32_e32 v14, 0xffff, v14
	s_or_b32 exec_lo, exec_lo, s6
	s_mov_b32 s6, exec_lo
	v_cmpx_gt_u32_e64 s3, v10
	s_cbranch_execz .LBB2426_21
.LBB2426_141:
	global_load_u8 v16, v0, s[0:1] offset:512
	s_wait_loadcnt 0x0
	v_xor_b32_e32 v16, 1, v16
	s_delay_alu instid0(VALU_DEP_1) | instskip(NEXT) | instid1(VALU_DEP_1)
	v_lshlrev_b32_e32 v16, 16, v16
	v_or_b32_e32 v14, v14, v16
	s_or_b32 exec_lo, exec_lo, s6
	v_cmp_gt_u32_e32 vcc_lo, s3, v9
	s_and_saveexec_b32 s3, vcc_lo
	s_cbranch_execnz .LBB2426_22
	s_branch .LBB2426_23
	.section	.rodata,"a",@progbits
	.p2align	6, 0x0
	.amdhsa_kernel _ZN7rocprim17ROCPRIM_400000_NS6detail17trampoline_kernelINS0_14default_configENS1_25partition_config_selectorILNS1_17partition_subalgoE5EyNS0_10empty_typeEbEEZZNS1_14partition_implILS5_5ELb0ES3_mN6thrust23THRUST_200600_302600_NS6detail15normal_iteratorINSA_10device_ptrIyEEEEPS6_NSA_18transform_iteratorINSB_9not_fun_tI7is_trueIyEEENSC_INSD_IbEEEENSA_11use_defaultESO_EENS0_5tupleIJSF_S6_EEENSQ_IJSG_SG_EEES6_PlJS6_EEE10hipError_tPvRmT3_T4_T5_T6_T7_T9_mT8_P12ihipStream_tbDpT10_ENKUlT_T0_E_clISt17integral_constantIbLb0EES1C_IbLb1EEEEDaS18_S19_EUlS18_E_NS1_11comp_targetILNS1_3genE10ELNS1_11target_archE1200ELNS1_3gpuE4ELNS1_3repE0EEENS1_30default_config_static_selectorELNS0_4arch9wavefront6targetE0EEEvT1_
		.amdhsa_group_segment_fixed_size 8464
		.amdhsa_private_segment_fixed_size 0
		.amdhsa_kernarg_size 136
		.amdhsa_user_sgpr_count 2
		.amdhsa_user_sgpr_dispatch_ptr 0
		.amdhsa_user_sgpr_queue_ptr 0
		.amdhsa_user_sgpr_kernarg_segment_ptr 1
		.amdhsa_user_sgpr_dispatch_id 0
		.amdhsa_user_sgpr_private_segment_size 0
		.amdhsa_wavefront_size32 1
		.amdhsa_uses_dynamic_stack 0
		.amdhsa_enable_private_segment 0
		.amdhsa_system_sgpr_workgroup_id_x 1
		.amdhsa_system_sgpr_workgroup_id_y 0
		.amdhsa_system_sgpr_workgroup_id_z 0
		.amdhsa_system_sgpr_workgroup_info 0
		.amdhsa_system_vgpr_workitem_id 0
		.amdhsa_next_free_vgpr 48
		.amdhsa_next_free_sgpr 25
		.amdhsa_reserve_vcc 1
		.amdhsa_float_round_mode_32 0
		.amdhsa_float_round_mode_16_64 0
		.amdhsa_float_denorm_mode_32 3
		.amdhsa_float_denorm_mode_16_64 3
		.amdhsa_fp16_overflow 0
		.amdhsa_workgroup_processor_mode 1
		.amdhsa_memory_ordered 1
		.amdhsa_forward_progress 1
		.amdhsa_inst_pref_size 55
		.amdhsa_round_robin_scheduling 0
		.amdhsa_exception_fp_ieee_invalid_op 0
		.amdhsa_exception_fp_denorm_src 0
		.amdhsa_exception_fp_ieee_div_zero 0
		.amdhsa_exception_fp_ieee_overflow 0
		.amdhsa_exception_fp_ieee_underflow 0
		.amdhsa_exception_fp_ieee_inexact 0
		.amdhsa_exception_int_div_zero 0
	.end_amdhsa_kernel
	.section	.text._ZN7rocprim17ROCPRIM_400000_NS6detail17trampoline_kernelINS0_14default_configENS1_25partition_config_selectorILNS1_17partition_subalgoE5EyNS0_10empty_typeEbEEZZNS1_14partition_implILS5_5ELb0ES3_mN6thrust23THRUST_200600_302600_NS6detail15normal_iteratorINSA_10device_ptrIyEEEEPS6_NSA_18transform_iteratorINSB_9not_fun_tI7is_trueIyEEENSC_INSD_IbEEEENSA_11use_defaultESO_EENS0_5tupleIJSF_S6_EEENSQ_IJSG_SG_EEES6_PlJS6_EEE10hipError_tPvRmT3_T4_T5_T6_T7_T9_mT8_P12ihipStream_tbDpT10_ENKUlT_T0_E_clISt17integral_constantIbLb0EES1C_IbLb1EEEEDaS18_S19_EUlS18_E_NS1_11comp_targetILNS1_3genE10ELNS1_11target_archE1200ELNS1_3gpuE4ELNS1_3repE0EEENS1_30default_config_static_selectorELNS0_4arch9wavefront6targetE0EEEvT1_,"axG",@progbits,_ZN7rocprim17ROCPRIM_400000_NS6detail17trampoline_kernelINS0_14default_configENS1_25partition_config_selectorILNS1_17partition_subalgoE5EyNS0_10empty_typeEbEEZZNS1_14partition_implILS5_5ELb0ES3_mN6thrust23THRUST_200600_302600_NS6detail15normal_iteratorINSA_10device_ptrIyEEEEPS6_NSA_18transform_iteratorINSB_9not_fun_tI7is_trueIyEEENSC_INSD_IbEEEENSA_11use_defaultESO_EENS0_5tupleIJSF_S6_EEENSQ_IJSG_SG_EEES6_PlJS6_EEE10hipError_tPvRmT3_T4_T5_T6_T7_T9_mT8_P12ihipStream_tbDpT10_ENKUlT_T0_E_clISt17integral_constantIbLb0EES1C_IbLb1EEEEDaS18_S19_EUlS18_E_NS1_11comp_targetILNS1_3genE10ELNS1_11target_archE1200ELNS1_3gpuE4ELNS1_3repE0EEENS1_30default_config_static_selectorELNS0_4arch9wavefront6targetE0EEEvT1_,comdat
.Lfunc_end2426:
	.size	_ZN7rocprim17ROCPRIM_400000_NS6detail17trampoline_kernelINS0_14default_configENS1_25partition_config_selectorILNS1_17partition_subalgoE5EyNS0_10empty_typeEbEEZZNS1_14partition_implILS5_5ELb0ES3_mN6thrust23THRUST_200600_302600_NS6detail15normal_iteratorINSA_10device_ptrIyEEEEPS6_NSA_18transform_iteratorINSB_9not_fun_tI7is_trueIyEEENSC_INSD_IbEEEENSA_11use_defaultESO_EENS0_5tupleIJSF_S6_EEENSQ_IJSG_SG_EEES6_PlJS6_EEE10hipError_tPvRmT3_T4_T5_T6_T7_T9_mT8_P12ihipStream_tbDpT10_ENKUlT_T0_E_clISt17integral_constantIbLb0EES1C_IbLb1EEEEDaS18_S19_EUlS18_E_NS1_11comp_targetILNS1_3genE10ELNS1_11target_archE1200ELNS1_3gpuE4ELNS1_3repE0EEENS1_30default_config_static_selectorELNS0_4arch9wavefront6targetE0EEEvT1_, .Lfunc_end2426-_ZN7rocprim17ROCPRIM_400000_NS6detail17trampoline_kernelINS0_14default_configENS1_25partition_config_selectorILNS1_17partition_subalgoE5EyNS0_10empty_typeEbEEZZNS1_14partition_implILS5_5ELb0ES3_mN6thrust23THRUST_200600_302600_NS6detail15normal_iteratorINSA_10device_ptrIyEEEEPS6_NSA_18transform_iteratorINSB_9not_fun_tI7is_trueIyEEENSC_INSD_IbEEEENSA_11use_defaultESO_EENS0_5tupleIJSF_S6_EEENSQ_IJSG_SG_EEES6_PlJS6_EEE10hipError_tPvRmT3_T4_T5_T6_T7_T9_mT8_P12ihipStream_tbDpT10_ENKUlT_T0_E_clISt17integral_constantIbLb0EES1C_IbLb1EEEEDaS18_S19_EUlS18_E_NS1_11comp_targetILNS1_3genE10ELNS1_11target_archE1200ELNS1_3gpuE4ELNS1_3repE0EEENS1_30default_config_static_selectorELNS0_4arch9wavefront6targetE0EEEvT1_
                                        ; -- End function
	.set _ZN7rocprim17ROCPRIM_400000_NS6detail17trampoline_kernelINS0_14default_configENS1_25partition_config_selectorILNS1_17partition_subalgoE5EyNS0_10empty_typeEbEEZZNS1_14partition_implILS5_5ELb0ES3_mN6thrust23THRUST_200600_302600_NS6detail15normal_iteratorINSA_10device_ptrIyEEEEPS6_NSA_18transform_iteratorINSB_9not_fun_tI7is_trueIyEEENSC_INSD_IbEEEENSA_11use_defaultESO_EENS0_5tupleIJSF_S6_EEENSQ_IJSG_SG_EEES6_PlJS6_EEE10hipError_tPvRmT3_T4_T5_T6_T7_T9_mT8_P12ihipStream_tbDpT10_ENKUlT_T0_E_clISt17integral_constantIbLb0EES1C_IbLb1EEEEDaS18_S19_EUlS18_E_NS1_11comp_targetILNS1_3genE10ELNS1_11target_archE1200ELNS1_3gpuE4ELNS1_3repE0EEENS1_30default_config_static_selectorELNS0_4arch9wavefront6targetE0EEEvT1_.num_vgpr, 48
	.set _ZN7rocprim17ROCPRIM_400000_NS6detail17trampoline_kernelINS0_14default_configENS1_25partition_config_selectorILNS1_17partition_subalgoE5EyNS0_10empty_typeEbEEZZNS1_14partition_implILS5_5ELb0ES3_mN6thrust23THRUST_200600_302600_NS6detail15normal_iteratorINSA_10device_ptrIyEEEEPS6_NSA_18transform_iteratorINSB_9not_fun_tI7is_trueIyEEENSC_INSD_IbEEEENSA_11use_defaultESO_EENS0_5tupleIJSF_S6_EEENSQ_IJSG_SG_EEES6_PlJS6_EEE10hipError_tPvRmT3_T4_T5_T6_T7_T9_mT8_P12ihipStream_tbDpT10_ENKUlT_T0_E_clISt17integral_constantIbLb0EES1C_IbLb1EEEEDaS18_S19_EUlS18_E_NS1_11comp_targetILNS1_3genE10ELNS1_11target_archE1200ELNS1_3gpuE4ELNS1_3repE0EEENS1_30default_config_static_selectorELNS0_4arch9wavefront6targetE0EEEvT1_.num_agpr, 0
	.set _ZN7rocprim17ROCPRIM_400000_NS6detail17trampoline_kernelINS0_14default_configENS1_25partition_config_selectorILNS1_17partition_subalgoE5EyNS0_10empty_typeEbEEZZNS1_14partition_implILS5_5ELb0ES3_mN6thrust23THRUST_200600_302600_NS6detail15normal_iteratorINSA_10device_ptrIyEEEEPS6_NSA_18transform_iteratorINSB_9not_fun_tI7is_trueIyEEENSC_INSD_IbEEEENSA_11use_defaultESO_EENS0_5tupleIJSF_S6_EEENSQ_IJSG_SG_EEES6_PlJS6_EEE10hipError_tPvRmT3_T4_T5_T6_T7_T9_mT8_P12ihipStream_tbDpT10_ENKUlT_T0_E_clISt17integral_constantIbLb0EES1C_IbLb1EEEEDaS18_S19_EUlS18_E_NS1_11comp_targetILNS1_3genE10ELNS1_11target_archE1200ELNS1_3gpuE4ELNS1_3repE0EEENS1_30default_config_static_selectorELNS0_4arch9wavefront6targetE0EEEvT1_.numbered_sgpr, 25
	.set _ZN7rocprim17ROCPRIM_400000_NS6detail17trampoline_kernelINS0_14default_configENS1_25partition_config_selectorILNS1_17partition_subalgoE5EyNS0_10empty_typeEbEEZZNS1_14partition_implILS5_5ELb0ES3_mN6thrust23THRUST_200600_302600_NS6detail15normal_iteratorINSA_10device_ptrIyEEEEPS6_NSA_18transform_iteratorINSB_9not_fun_tI7is_trueIyEEENSC_INSD_IbEEEENSA_11use_defaultESO_EENS0_5tupleIJSF_S6_EEENSQ_IJSG_SG_EEES6_PlJS6_EEE10hipError_tPvRmT3_T4_T5_T6_T7_T9_mT8_P12ihipStream_tbDpT10_ENKUlT_T0_E_clISt17integral_constantIbLb0EES1C_IbLb1EEEEDaS18_S19_EUlS18_E_NS1_11comp_targetILNS1_3genE10ELNS1_11target_archE1200ELNS1_3gpuE4ELNS1_3repE0EEENS1_30default_config_static_selectorELNS0_4arch9wavefront6targetE0EEEvT1_.num_named_barrier, 0
	.set _ZN7rocprim17ROCPRIM_400000_NS6detail17trampoline_kernelINS0_14default_configENS1_25partition_config_selectorILNS1_17partition_subalgoE5EyNS0_10empty_typeEbEEZZNS1_14partition_implILS5_5ELb0ES3_mN6thrust23THRUST_200600_302600_NS6detail15normal_iteratorINSA_10device_ptrIyEEEEPS6_NSA_18transform_iteratorINSB_9not_fun_tI7is_trueIyEEENSC_INSD_IbEEEENSA_11use_defaultESO_EENS0_5tupleIJSF_S6_EEENSQ_IJSG_SG_EEES6_PlJS6_EEE10hipError_tPvRmT3_T4_T5_T6_T7_T9_mT8_P12ihipStream_tbDpT10_ENKUlT_T0_E_clISt17integral_constantIbLb0EES1C_IbLb1EEEEDaS18_S19_EUlS18_E_NS1_11comp_targetILNS1_3genE10ELNS1_11target_archE1200ELNS1_3gpuE4ELNS1_3repE0EEENS1_30default_config_static_selectorELNS0_4arch9wavefront6targetE0EEEvT1_.private_seg_size, 0
	.set _ZN7rocprim17ROCPRIM_400000_NS6detail17trampoline_kernelINS0_14default_configENS1_25partition_config_selectorILNS1_17partition_subalgoE5EyNS0_10empty_typeEbEEZZNS1_14partition_implILS5_5ELb0ES3_mN6thrust23THRUST_200600_302600_NS6detail15normal_iteratorINSA_10device_ptrIyEEEEPS6_NSA_18transform_iteratorINSB_9not_fun_tI7is_trueIyEEENSC_INSD_IbEEEENSA_11use_defaultESO_EENS0_5tupleIJSF_S6_EEENSQ_IJSG_SG_EEES6_PlJS6_EEE10hipError_tPvRmT3_T4_T5_T6_T7_T9_mT8_P12ihipStream_tbDpT10_ENKUlT_T0_E_clISt17integral_constantIbLb0EES1C_IbLb1EEEEDaS18_S19_EUlS18_E_NS1_11comp_targetILNS1_3genE10ELNS1_11target_archE1200ELNS1_3gpuE4ELNS1_3repE0EEENS1_30default_config_static_selectorELNS0_4arch9wavefront6targetE0EEEvT1_.uses_vcc, 1
	.set _ZN7rocprim17ROCPRIM_400000_NS6detail17trampoline_kernelINS0_14default_configENS1_25partition_config_selectorILNS1_17partition_subalgoE5EyNS0_10empty_typeEbEEZZNS1_14partition_implILS5_5ELb0ES3_mN6thrust23THRUST_200600_302600_NS6detail15normal_iteratorINSA_10device_ptrIyEEEEPS6_NSA_18transform_iteratorINSB_9not_fun_tI7is_trueIyEEENSC_INSD_IbEEEENSA_11use_defaultESO_EENS0_5tupleIJSF_S6_EEENSQ_IJSG_SG_EEES6_PlJS6_EEE10hipError_tPvRmT3_T4_T5_T6_T7_T9_mT8_P12ihipStream_tbDpT10_ENKUlT_T0_E_clISt17integral_constantIbLb0EES1C_IbLb1EEEEDaS18_S19_EUlS18_E_NS1_11comp_targetILNS1_3genE10ELNS1_11target_archE1200ELNS1_3gpuE4ELNS1_3repE0EEENS1_30default_config_static_selectorELNS0_4arch9wavefront6targetE0EEEvT1_.uses_flat_scratch, 1
	.set _ZN7rocprim17ROCPRIM_400000_NS6detail17trampoline_kernelINS0_14default_configENS1_25partition_config_selectorILNS1_17partition_subalgoE5EyNS0_10empty_typeEbEEZZNS1_14partition_implILS5_5ELb0ES3_mN6thrust23THRUST_200600_302600_NS6detail15normal_iteratorINSA_10device_ptrIyEEEEPS6_NSA_18transform_iteratorINSB_9not_fun_tI7is_trueIyEEENSC_INSD_IbEEEENSA_11use_defaultESO_EENS0_5tupleIJSF_S6_EEENSQ_IJSG_SG_EEES6_PlJS6_EEE10hipError_tPvRmT3_T4_T5_T6_T7_T9_mT8_P12ihipStream_tbDpT10_ENKUlT_T0_E_clISt17integral_constantIbLb0EES1C_IbLb1EEEEDaS18_S19_EUlS18_E_NS1_11comp_targetILNS1_3genE10ELNS1_11target_archE1200ELNS1_3gpuE4ELNS1_3repE0EEENS1_30default_config_static_selectorELNS0_4arch9wavefront6targetE0EEEvT1_.has_dyn_sized_stack, 0
	.set _ZN7rocprim17ROCPRIM_400000_NS6detail17trampoline_kernelINS0_14default_configENS1_25partition_config_selectorILNS1_17partition_subalgoE5EyNS0_10empty_typeEbEEZZNS1_14partition_implILS5_5ELb0ES3_mN6thrust23THRUST_200600_302600_NS6detail15normal_iteratorINSA_10device_ptrIyEEEEPS6_NSA_18transform_iteratorINSB_9not_fun_tI7is_trueIyEEENSC_INSD_IbEEEENSA_11use_defaultESO_EENS0_5tupleIJSF_S6_EEENSQ_IJSG_SG_EEES6_PlJS6_EEE10hipError_tPvRmT3_T4_T5_T6_T7_T9_mT8_P12ihipStream_tbDpT10_ENKUlT_T0_E_clISt17integral_constantIbLb0EES1C_IbLb1EEEEDaS18_S19_EUlS18_E_NS1_11comp_targetILNS1_3genE10ELNS1_11target_archE1200ELNS1_3gpuE4ELNS1_3repE0EEENS1_30default_config_static_selectorELNS0_4arch9wavefront6targetE0EEEvT1_.has_recursion, 0
	.set _ZN7rocprim17ROCPRIM_400000_NS6detail17trampoline_kernelINS0_14default_configENS1_25partition_config_selectorILNS1_17partition_subalgoE5EyNS0_10empty_typeEbEEZZNS1_14partition_implILS5_5ELb0ES3_mN6thrust23THRUST_200600_302600_NS6detail15normal_iteratorINSA_10device_ptrIyEEEEPS6_NSA_18transform_iteratorINSB_9not_fun_tI7is_trueIyEEENSC_INSD_IbEEEENSA_11use_defaultESO_EENS0_5tupleIJSF_S6_EEENSQ_IJSG_SG_EEES6_PlJS6_EEE10hipError_tPvRmT3_T4_T5_T6_T7_T9_mT8_P12ihipStream_tbDpT10_ENKUlT_T0_E_clISt17integral_constantIbLb0EES1C_IbLb1EEEEDaS18_S19_EUlS18_E_NS1_11comp_targetILNS1_3genE10ELNS1_11target_archE1200ELNS1_3gpuE4ELNS1_3repE0EEENS1_30default_config_static_selectorELNS0_4arch9wavefront6targetE0EEEvT1_.has_indirect_call, 0
	.section	.AMDGPU.csdata,"",@progbits
; Kernel info:
; codeLenInByte = 6992
; TotalNumSgprs: 27
; NumVgprs: 48
; ScratchSize: 0
; MemoryBound: 0
; FloatMode: 240
; IeeeMode: 1
; LDSByteSize: 8464 bytes/workgroup (compile time only)
; SGPRBlocks: 0
; VGPRBlocks: 5
; NumSGPRsForWavesPerEU: 27
; NumVGPRsForWavesPerEU: 48
; Occupancy: 16
; WaveLimiterHint : 1
; COMPUTE_PGM_RSRC2:SCRATCH_EN: 0
; COMPUTE_PGM_RSRC2:USER_SGPR: 2
; COMPUTE_PGM_RSRC2:TRAP_HANDLER: 0
; COMPUTE_PGM_RSRC2:TGID_X_EN: 1
; COMPUTE_PGM_RSRC2:TGID_Y_EN: 0
; COMPUTE_PGM_RSRC2:TGID_Z_EN: 0
; COMPUTE_PGM_RSRC2:TIDIG_COMP_CNT: 0
	.section	.text._ZN7rocprim17ROCPRIM_400000_NS6detail17trampoline_kernelINS0_14default_configENS1_25partition_config_selectorILNS1_17partition_subalgoE5EyNS0_10empty_typeEbEEZZNS1_14partition_implILS5_5ELb0ES3_mN6thrust23THRUST_200600_302600_NS6detail15normal_iteratorINSA_10device_ptrIyEEEEPS6_NSA_18transform_iteratorINSB_9not_fun_tI7is_trueIyEEENSC_INSD_IbEEEENSA_11use_defaultESO_EENS0_5tupleIJSF_S6_EEENSQ_IJSG_SG_EEES6_PlJS6_EEE10hipError_tPvRmT3_T4_T5_T6_T7_T9_mT8_P12ihipStream_tbDpT10_ENKUlT_T0_E_clISt17integral_constantIbLb0EES1C_IbLb1EEEEDaS18_S19_EUlS18_E_NS1_11comp_targetILNS1_3genE9ELNS1_11target_archE1100ELNS1_3gpuE3ELNS1_3repE0EEENS1_30default_config_static_selectorELNS0_4arch9wavefront6targetE0EEEvT1_,"axG",@progbits,_ZN7rocprim17ROCPRIM_400000_NS6detail17trampoline_kernelINS0_14default_configENS1_25partition_config_selectorILNS1_17partition_subalgoE5EyNS0_10empty_typeEbEEZZNS1_14partition_implILS5_5ELb0ES3_mN6thrust23THRUST_200600_302600_NS6detail15normal_iteratorINSA_10device_ptrIyEEEEPS6_NSA_18transform_iteratorINSB_9not_fun_tI7is_trueIyEEENSC_INSD_IbEEEENSA_11use_defaultESO_EENS0_5tupleIJSF_S6_EEENSQ_IJSG_SG_EEES6_PlJS6_EEE10hipError_tPvRmT3_T4_T5_T6_T7_T9_mT8_P12ihipStream_tbDpT10_ENKUlT_T0_E_clISt17integral_constantIbLb0EES1C_IbLb1EEEEDaS18_S19_EUlS18_E_NS1_11comp_targetILNS1_3genE9ELNS1_11target_archE1100ELNS1_3gpuE3ELNS1_3repE0EEENS1_30default_config_static_selectorELNS0_4arch9wavefront6targetE0EEEvT1_,comdat
	.protected	_ZN7rocprim17ROCPRIM_400000_NS6detail17trampoline_kernelINS0_14default_configENS1_25partition_config_selectorILNS1_17partition_subalgoE5EyNS0_10empty_typeEbEEZZNS1_14partition_implILS5_5ELb0ES3_mN6thrust23THRUST_200600_302600_NS6detail15normal_iteratorINSA_10device_ptrIyEEEEPS6_NSA_18transform_iteratorINSB_9not_fun_tI7is_trueIyEEENSC_INSD_IbEEEENSA_11use_defaultESO_EENS0_5tupleIJSF_S6_EEENSQ_IJSG_SG_EEES6_PlJS6_EEE10hipError_tPvRmT3_T4_T5_T6_T7_T9_mT8_P12ihipStream_tbDpT10_ENKUlT_T0_E_clISt17integral_constantIbLb0EES1C_IbLb1EEEEDaS18_S19_EUlS18_E_NS1_11comp_targetILNS1_3genE9ELNS1_11target_archE1100ELNS1_3gpuE3ELNS1_3repE0EEENS1_30default_config_static_selectorELNS0_4arch9wavefront6targetE0EEEvT1_ ; -- Begin function _ZN7rocprim17ROCPRIM_400000_NS6detail17trampoline_kernelINS0_14default_configENS1_25partition_config_selectorILNS1_17partition_subalgoE5EyNS0_10empty_typeEbEEZZNS1_14partition_implILS5_5ELb0ES3_mN6thrust23THRUST_200600_302600_NS6detail15normal_iteratorINSA_10device_ptrIyEEEEPS6_NSA_18transform_iteratorINSB_9not_fun_tI7is_trueIyEEENSC_INSD_IbEEEENSA_11use_defaultESO_EENS0_5tupleIJSF_S6_EEENSQ_IJSG_SG_EEES6_PlJS6_EEE10hipError_tPvRmT3_T4_T5_T6_T7_T9_mT8_P12ihipStream_tbDpT10_ENKUlT_T0_E_clISt17integral_constantIbLb0EES1C_IbLb1EEEEDaS18_S19_EUlS18_E_NS1_11comp_targetILNS1_3genE9ELNS1_11target_archE1100ELNS1_3gpuE3ELNS1_3repE0EEENS1_30default_config_static_selectorELNS0_4arch9wavefront6targetE0EEEvT1_
	.globl	_ZN7rocprim17ROCPRIM_400000_NS6detail17trampoline_kernelINS0_14default_configENS1_25partition_config_selectorILNS1_17partition_subalgoE5EyNS0_10empty_typeEbEEZZNS1_14partition_implILS5_5ELb0ES3_mN6thrust23THRUST_200600_302600_NS6detail15normal_iteratorINSA_10device_ptrIyEEEEPS6_NSA_18transform_iteratorINSB_9not_fun_tI7is_trueIyEEENSC_INSD_IbEEEENSA_11use_defaultESO_EENS0_5tupleIJSF_S6_EEENSQ_IJSG_SG_EEES6_PlJS6_EEE10hipError_tPvRmT3_T4_T5_T6_T7_T9_mT8_P12ihipStream_tbDpT10_ENKUlT_T0_E_clISt17integral_constantIbLb0EES1C_IbLb1EEEEDaS18_S19_EUlS18_E_NS1_11comp_targetILNS1_3genE9ELNS1_11target_archE1100ELNS1_3gpuE3ELNS1_3repE0EEENS1_30default_config_static_selectorELNS0_4arch9wavefront6targetE0EEEvT1_
	.p2align	8
	.type	_ZN7rocprim17ROCPRIM_400000_NS6detail17trampoline_kernelINS0_14default_configENS1_25partition_config_selectorILNS1_17partition_subalgoE5EyNS0_10empty_typeEbEEZZNS1_14partition_implILS5_5ELb0ES3_mN6thrust23THRUST_200600_302600_NS6detail15normal_iteratorINSA_10device_ptrIyEEEEPS6_NSA_18transform_iteratorINSB_9not_fun_tI7is_trueIyEEENSC_INSD_IbEEEENSA_11use_defaultESO_EENS0_5tupleIJSF_S6_EEENSQ_IJSG_SG_EEES6_PlJS6_EEE10hipError_tPvRmT3_T4_T5_T6_T7_T9_mT8_P12ihipStream_tbDpT10_ENKUlT_T0_E_clISt17integral_constantIbLb0EES1C_IbLb1EEEEDaS18_S19_EUlS18_E_NS1_11comp_targetILNS1_3genE9ELNS1_11target_archE1100ELNS1_3gpuE3ELNS1_3repE0EEENS1_30default_config_static_selectorELNS0_4arch9wavefront6targetE0EEEvT1_,@function
_ZN7rocprim17ROCPRIM_400000_NS6detail17trampoline_kernelINS0_14default_configENS1_25partition_config_selectorILNS1_17partition_subalgoE5EyNS0_10empty_typeEbEEZZNS1_14partition_implILS5_5ELb0ES3_mN6thrust23THRUST_200600_302600_NS6detail15normal_iteratorINSA_10device_ptrIyEEEEPS6_NSA_18transform_iteratorINSB_9not_fun_tI7is_trueIyEEENSC_INSD_IbEEEENSA_11use_defaultESO_EENS0_5tupleIJSF_S6_EEENSQ_IJSG_SG_EEES6_PlJS6_EEE10hipError_tPvRmT3_T4_T5_T6_T7_T9_mT8_P12ihipStream_tbDpT10_ENKUlT_T0_E_clISt17integral_constantIbLb0EES1C_IbLb1EEEEDaS18_S19_EUlS18_E_NS1_11comp_targetILNS1_3genE9ELNS1_11target_archE1100ELNS1_3gpuE3ELNS1_3repE0EEENS1_30default_config_static_selectorELNS0_4arch9wavefront6targetE0EEEvT1_: ; @_ZN7rocprim17ROCPRIM_400000_NS6detail17trampoline_kernelINS0_14default_configENS1_25partition_config_selectorILNS1_17partition_subalgoE5EyNS0_10empty_typeEbEEZZNS1_14partition_implILS5_5ELb0ES3_mN6thrust23THRUST_200600_302600_NS6detail15normal_iteratorINSA_10device_ptrIyEEEEPS6_NSA_18transform_iteratorINSB_9not_fun_tI7is_trueIyEEENSC_INSD_IbEEEENSA_11use_defaultESO_EENS0_5tupleIJSF_S6_EEENSQ_IJSG_SG_EEES6_PlJS6_EEE10hipError_tPvRmT3_T4_T5_T6_T7_T9_mT8_P12ihipStream_tbDpT10_ENKUlT_T0_E_clISt17integral_constantIbLb0EES1C_IbLb1EEEEDaS18_S19_EUlS18_E_NS1_11comp_targetILNS1_3genE9ELNS1_11target_archE1100ELNS1_3gpuE3ELNS1_3repE0EEENS1_30default_config_static_selectorELNS0_4arch9wavefront6targetE0EEEvT1_
; %bb.0:
	.section	.rodata,"a",@progbits
	.p2align	6, 0x0
	.amdhsa_kernel _ZN7rocprim17ROCPRIM_400000_NS6detail17trampoline_kernelINS0_14default_configENS1_25partition_config_selectorILNS1_17partition_subalgoE5EyNS0_10empty_typeEbEEZZNS1_14partition_implILS5_5ELb0ES3_mN6thrust23THRUST_200600_302600_NS6detail15normal_iteratorINSA_10device_ptrIyEEEEPS6_NSA_18transform_iteratorINSB_9not_fun_tI7is_trueIyEEENSC_INSD_IbEEEENSA_11use_defaultESO_EENS0_5tupleIJSF_S6_EEENSQ_IJSG_SG_EEES6_PlJS6_EEE10hipError_tPvRmT3_T4_T5_T6_T7_T9_mT8_P12ihipStream_tbDpT10_ENKUlT_T0_E_clISt17integral_constantIbLb0EES1C_IbLb1EEEEDaS18_S19_EUlS18_E_NS1_11comp_targetILNS1_3genE9ELNS1_11target_archE1100ELNS1_3gpuE3ELNS1_3repE0EEENS1_30default_config_static_selectorELNS0_4arch9wavefront6targetE0EEEvT1_
		.amdhsa_group_segment_fixed_size 0
		.amdhsa_private_segment_fixed_size 0
		.amdhsa_kernarg_size 136
		.amdhsa_user_sgpr_count 2
		.amdhsa_user_sgpr_dispatch_ptr 0
		.amdhsa_user_sgpr_queue_ptr 0
		.amdhsa_user_sgpr_kernarg_segment_ptr 1
		.amdhsa_user_sgpr_dispatch_id 0
		.amdhsa_user_sgpr_private_segment_size 0
		.amdhsa_wavefront_size32 1
		.amdhsa_uses_dynamic_stack 0
		.amdhsa_enable_private_segment 0
		.amdhsa_system_sgpr_workgroup_id_x 1
		.amdhsa_system_sgpr_workgroup_id_y 0
		.amdhsa_system_sgpr_workgroup_id_z 0
		.amdhsa_system_sgpr_workgroup_info 0
		.amdhsa_system_vgpr_workitem_id 0
		.amdhsa_next_free_vgpr 1
		.amdhsa_next_free_sgpr 1
		.amdhsa_reserve_vcc 0
		.amdhsa_float_round_mode_32 0
		.amdhsa_float_round_mode_16_64 0
		.amdhsa_float_denorm_mode_32 3
		.amdhsa_float_denorm_mode_16_64 3
		.amdhsa_fp16_overflow 0
		.amdhsa_workgroup_processor_mode 1
		.amdhsa_memory_ordered 1
		.amdhsa_forward_progress 1
		.amdhsa_inst_pref_size 0
		.amdhsa_round_robin_scheduling 0
		.amdhsa_exception_fp_ieee_invalid_op 0
		.amdhsa_exception_fp_denorm_src 0
		.amdhsa_exception_fp_ieee_div_zero 0
		.amdhsa_exception_fp_ieee_overflow 0
		.amdhsa_exception_fp_ieee_underflow 0
		.amdhsa_exception_fp_ieee_inexact 0
		.amdhsa_exception_int_div_zero 0
	.end_amdhsa_kernel
	.section	.text._ZN7rocprim17ROCPRIM_400000_NS6detail17trampoline_kernelINS0_14default_configENS1_25partition_config_selectorILNS1_17partition_subalgoE5EyNS0_10empty_typeEbEEZZNS1_14partition_implILS5_5ELb0ES3_mN6thrust23THRUST_200600_302600_NS6detail15normal_iteratorINSA_10device_ptrIyEEEEPS6_NSA_18transform_iteratorINSB_9not_fun_tI7is_trueIyEEENSC_INSD_IbEEEENSA_11use_defaultESO_EENS0_5tupleIJSF_S6_EEENSQ_IJSG_SG_EEES6_PlJS6_EEE10hipError_tPvRmT3_T4_T5_T6_T7_T9_mT8_P12ihipStream_tbDpT10_ENKUlT_T0_E_clISt17integral_constantIbLb0EES1C_IbLb1EEEEDaS18_S19_EUlS18_E_NS1_11comp_targetILNS1_3genE9ELNS1_11target_archE1100ELNS1_3gpuE3ELNS1_3repE0EEENS1_30default_config_static_selectorELNS0_4arch9wavefront6targetE0EEEvT1_,"axG",@progbits,_ZN7rocprim17ROCPRIM_400000_NS6detail17trampoline_kernelINS0_14default_configENS1_25partition_config_selectorILNS1_17partition_subalgoE5EyNS0_10empty_typeEbEEZZNS1_14partition_implILS5_5ELb0ES3_mN6thrust23THRUST_200600_302600_NS6detail15normal_iteratorINSA_10device_ptrIyEEEEPS6_NSA_18transform_iteratorINSB_9not_fun_tI7is_trueIyEEENSC_INSD_IbEEEENSA_11use_defaultESO_EENS0_5tupleIJSF_S6_EEENSQ_IJSG_SG_EEES6_PlJS6_EEE10hipError_tPvRmT3_T4_T5_T6_T7_T9_mT8_P12ihipStream_tbDpT10_ENKUlT_T0_E_clISt17integral_constantIbLb0EES1C_IbLb1EEEEDaS18_S19_EUlS18_E_NS1_11comp_targetILNS1_3genE9ELNS1_11target_archE1100ELNS1_3gpuE3ELNS1_3repE0EEENS1_30default_config_static_selectorELNS0_4arch9wavefront6targetE0EEEvT1_,comdat
.Lfunc_end2427:
	.size	_ZN7rocprim17ROCPRIM_400000_NS6detail17trampoline_kernelINS0_14default_configENS1_25partition_config_selectorILNS1_17partition_subalgoE5EyNS0_10empty_typeEbEEZZNS1_14partition_implILS5_5ELb0ES3_mN6thrust23THRUST_200600_302600_NS6detail15normal_iteratorINSA_10device_ptrIyEEEEPS6_NSA_18transform_iteratorINSB_9not_fun_tI7is_trueIyEEENSC_INSD_IbEEEENSA_11use_defaultESO_EENS0_5tupleIJSF_S6_EEENSQ_IJSG_SG_EEES6_PlJS6_EEE10hipError_tPvRmT3_T4_T5_T6_T7_T9_mT8_P12ihipStream_tbDpT10_ENKUlT_T0_E_clISt17integral_constantIbLb0EES1C_IbLb1EEEEDaS18_S19_EUlS18_E_NS1_11comp_targetILNS1_3genE9ELNS1_11target_archE1100ELNS1_3gpuE3ELNS1_3repE0EEENS1_30default_config_static_selectorELNS0_4arch9wavefront6targetE0EEEvT1_, .Lfunc_end2427-_ZN7rocprim17ROCPRIM_400000_NS6detail17trampoline_kernelINS0_14default_configENS1_25partition_config_selectorILNS1_17partition_subalgoE5EyNS0_10empty_typeEbEEZZNS1_14partition_implILS5_5ELb0ES3_mN6thrust23THRUST_200600_302600_NS6detail15normal_iteratorINSA_10device_ptrIyEEEEPS6_NSA_18transform_iteratorINSB_9not_fun_tI7is_trueIyEEENSC_INSD_IbEEEENSA_11use_defaultESO_EENS0_5tupleIJSF_S6_EEENSQ_IJSG_SG_EEES6_PlJS6_EEE10hipError_tPvRmT3_T4_T5_T6_T7_T9_mT8_P12ihipStream_tbDpT10_ENKUlT_T0_E_clISt17integral_constantIbLb0EES1C_IbLb1EEEEDaS18_S19_EUlS18_E_NS1_11comp_targetILNS1_3genE9ELNS1_11target_archE1100ELNS1_3gpuE3ELNS1_3repE0EEENS1_30default_config_static_selectorELNS0_4arch9wavefront6targetE0EEEvT1_
                                        ; -- End function
	.set _ZN7rocprim17ROCPRIM_400000_NS6detail17trampoline_kernelINS0_14default_configENS1_25partition_config_selectorILNS1_17partition_subalgoE5EyNS0_10empty_typeEbEEZZNS1_14partition_implILS5_5ELb0ES3_mN6thrust23THRUST_200600_302600_NS6detail15normal_iteratorINSA_10device_ptrIyEEEEPS6_NSA_18transform_iteratorINSB_9not_fun_tI7is_trueIyEEENSC_INSD_IbEEEENSA_11use_defaultESO_EENS0_5tupleIJSF_S6_EEENSQ_IJSG_SG_EEES6_PlJS6_EEE10hipError_tPvRmT3_T4_T5_T6_T7_T9_mT8_P12ihipStream_tbDpT10_ENKUlT_T0_E_clISt17integral_constantIbLb0EES1C_IbLb1EEEEDaS18_S19_EUlS18_E_NS1_11comp_targetILNS1_3genE9ELNS1_11target_archE1100ELNS1_3gpuE3ELNS1_3repE0EEENS1_30default_config_static_selectorELNS0_4arch9wavefront6targetE0EEEvT1_.num_vgpr, 0
	.set _ZN7rocprim17ROCPRIM_400000_NS6detail17trampoline_kernelINS0_14default_configENS1_25partition_config_selectorILNS1_17partition_subalgoE5EyNS0_10empty_typeEbEEZZNS1_14partition_implILS5_5ELb0ES3_mN6thrust23THRUST_200600_302600_NS6detail15normal_iteratorINSA_10device_ptrIyEEEEPS6_NSA_18transform_iteratorINSB_9not_fun_tI7is_trueIyEEENSC_INSD_IbEEEENSA_11use_defaultESO_EENS0_5tupleIJSF_S6_EEENSQ_IJSG_SG_EEES6_PlJS6_EEE10hipError_tPvRmT3_T4_T5_T6_T7_T9_mT8_P12ihipStream_tbDpT10_ENKUlT_T0_E_clISt17integral_constantIbLb0EES1C_IbLb1EEEEDaS18_S19_EUlS18_E_NS1_11comp_targetILNS1_3genE9ELNS1_11target_archE1100ELNS1_3gpuE3ELNS1_3repE0EEENS1_30default_config_static_selectorELNS0_4arch9wavefront6targetE0EEEvT1_.num_agpr, 0
	.set _ZN7rocprim17ROCPRIM_400000_NS6detail17trampoline_kernelINS0_14default_configENS1_25partition_config_selectorILNS1_17partition_subalgoE5EyNS0_10empty_typeEbEEZZNS1_14partition_implILS5_5ELb0ES3_mN6thrust23THRUST_200600_302600_NS6detail15normal_iteratorINSA_10device_ptrIyEEEEPS6_NSA_18transform_iteratorINSB_9not_fun_tI7is_trueIyEEENSC_INSD_IbEEEENSA_11use_defaultESO_EENS0_5tupleIJSF_S6_EEENSQ_IJSG_SG_EEES6_PlJS6_EEE10hipError_tPvRmT3_T4_T5_T6_T7_T9_mT8_P12ihipStream_tbDpT10_ENKUlT_T0_E_clISt17integral_constantIbLb0EES1C_IbLb1EEEEDaS18_S19_EUlS18_E_NS1_11comp_targetILNS1_3genE9ELNS1_11target_archE1100ELNS1_3gpuE3ELNS1_3repE0EEENS1_30default_config_static_selectorELNS0_4arch9wavefront6targetE0EEEvT1_.numbered_sgpr, 0
	.set _ZN7rocprim17ROCPRIM_400000_NS6detail17trampoline_kernelINS0_14default_configENS1_25partition_config_selectorILNS1_17partition_subalgoE5EyNS0_10empty_typeEbEEZZNS1_14partition_implILS5_5ELb0ES3_mN6thrust23THRUST_200600_302600_NS6detail15normal_iteratorINSA_10device_ptrIyEEEEPS6_NSA_18transform_iteratorINSB_9not_fun_tI7is_trueIyEEENSC_INSD_IbEEEENSA_11use_defaultESO_EENS0_5tupleIJSF_S6_EEENSQ_IJSG_SG_EEES6_PlJS6_EEE10hipError_tPvRmT3_T4_T5_T6_T7_T9_mT8_P12ihipStream_tbDpT10_ENKUlT_T0_E_clISt17integral_constantIbLb0EES1C_IbLb1EEEEDaS18_S19_EUlS18_E_NS1_11comp_targetILNS1_3genE9ELNS1_11target_archE1100ELNS1_3gpuE3ELNS1_3repE0EEENS1_30default_config_static_selectorELNS0_4arch9wavefront6targetE0EEEvT1_.num_named_barrier, 0
	.set _ZN7rocprim17ROCPRIM_400000_NS6detail17trampoline_kernelINS0_14default_configENS1_25partition_config_selectorILNS1_17partition_subalgoE5EyNS0_10empty_typeEbEEZZNS1_14partition_implILS5_5ELb0ES3_mN6thrust23THRUST_200600_302600_NS6detail15normal_iteratorINSA_10device_ptrIyEEEEPS6_NSA_18transform_iteratorINSB_9not_fun_tI7is_trueIyEEENSC_INSD_IbEEEENSA_11use_defaultESO_EENS0_5tupleIJSF_S6_EEENSQ_IJSG_SG_EEES6_PlJS6_EEE10hipError_tPvRmT3_T4_T5_T6_T7_T9_mT8_P12ihipStream_tbDpT10_ENKUlT_T0_E_clISt17integral_constantIbLb0EES1C_IbLb1EEEEDaS18_S19_EUlS18_E_NS1_11comp_targetILNS1_3genE9ELNS1_11target_archE1100ELNS1_3gpuE3ELNS1_3repE0EEENS1_30default_config_static_selectorELNS0_4arch9wavefront6targetE0EEEvT1_.private_seg_size, 0
	.set _ZN7rocprim17ROCPRIM_400000_NS6detail17trampoline_kernelINS0_14default_configENS1_25partition_config_selectorILNS1_17partition_subalgoE5EyNS0_10empty_typeEbEEZZNS1_14partition_implILS5_5ELb0ES3_mN6thrust23THRUST_200600_302600_NS6detail15normal_iteratorINSA_10device_ptrIyEEEEPS6_NSA_18transform_iteratorINSB_9not_fun_tI7is_trueIyEEENSC_INSD_IbEEEENSA_11use_defaultESO_EENS0_5tupleIJSF_S6_EEENSQ_IJSG_SG_EEES6_PlJS6_EEE10hipError_tPvRmT3_T4_T5_T6_T7_T9_mT8_P12ihipStream_tbDpT10_ENKUlT_T0_E_clISt17integral_constantIbLb0EES1C_IbLb1EEEEDaS18_S19_EUlS18_E_NS1_11comp_targetILNS1_3genE9ELNS1_11target_archE1100ELNS1_3gpuE3ELNS1_3repE0EEENS1_30default_config_static_selectorELNS0_4arch9wavefront6targetE0EEEvT1_.uses_vcc, 0
	.set _ZN7rocprim17ROCPRIM_400000_NS6detail17trampoline_kernelINS0_14default_configENS1_25partition_config_selectorILNS1_17partition_subalgoE5EyNS0_10empty_typeEbEEZZNS1_14partition_implILS5_5ELb0ES3_mN6thrust23THRUST_200600_302600_NS6detail15normal_iteratorINSA_10device_ptrIyEEEEPS6_NSA_18transform_iteratorINSB_9not_fun_tI7is_trueIyEEENSC_INSD_IbEEEENSA_11use_defaultESO_EENS0_5tupleIJSF_S6_EEENSQ_IJSG_SG_EEES6_PlJS6_EEE10hipError_tPvRmT3_T4_T5_T6_T7_T9_mT8_P12ihipStream_tbDpT10_ENKUlT_T0_E_clISt17integral_constantIbLb0EES1C_IbLb1EEEEDaS18_S19_EUlS18_E_NS1_11comp_targetILNS1_3genE9ELNS1_11target_archE1100ELNS1_3gpuE3ELNS1_3repE0EEENS1_30default_config_static_selectorELNS0_4arch9wavefront6targetE0EEEvT1_.uses_flat_scratch, 0
	.set _ZN7rocprim17ROCPRIM_400000_NS6detail17trampoline_kernelINS0_14default_configENS1_25partition_config_selectorILNS1_17partition_subalgoE5EyNS0_10empty_typeEbEEZZNS1_14partition_implILS5_5ELb0ES3_mN6thrust23THRUST_200600_302600_NS6detail15normal_iteratorINSA_10device_ptrIyEEEEPS6_NSA_18transform_iteratorINSB_9not_fun_tI7is_trueIyEEENSC_INSD_IbEEEENSA_11use_defaultESO_EENS0_5tupleIJSF_S6_EEENSQ_IJSG_SG_EEES6_PlJS6_EEE10hipError_tPvRmT3_T4_T5_T6_T7_T9_mT8_P12ihipStream_tbDpT10_ENKUlT_T0_E_clISt17integral_constantIbLb0EES1C_IbLb1EEEEDaS18_S19_EUlS18_E_NS1_11comp_targetILNS1_3genE9ELNS1_11target_archE1100ELNS1_3gpuE3ELNS1_3repE0EEENS1_30default_config_static_selectorELNS0_4arch9wavefront6targetE0EEEvT1_.has_dyn_sized_stack, 0
	.set _ZN7rocprim17ROCPRIM_400000_NS6detail17trampoline_kernelINS0_14default_configENS1_25partition_config_selectorILNS1_17partition_subalgoE5EyNS0_10empty_typeEbEEZZNS1_14partition_implILS5_5ELb0ES3_mN6thrust23THRUST_200600_302600_NS6detail15normal_iteratorINSA_10device_ptrIyEEEEPS6_NSA_18transform_iteratorINSB_9not_fun_tI7is_trueIyEEENSC_INSD_IbEEEENSA_11use_defaultESO_EENS0_5tupleIJSF_S6_EEENSQ_IJSG_SG_EEES6_PlJS6_EEE10hipError_tPvRmT3_T4_T5_T6_T7_T9_mT8_P12ihipStream_tbDpT10_ENKUlT_T0_E_clISt17integral_constantIbLb0EES1C_IbLb1EEEEDaS18_S19_EUlS18_E_NS1_11comp_targetILNS1_3genE9ELNS1_11target_archE1100ELNS1_3gpuE3ELNS1_3repE0EEENS1_30default_config_static_selectorELNS0_4arch9wavefront6targetE0EEEvT1_.has_recursion, 0
	.set _ZN7rocprim17ROCPRIM_400000_NS6detail17trampoline_kernelINS0_14default_configENS1_25partition_config_selectorILNS1_17partition_subalgoE5EyNS0_10empty_typeEbEEZZNS1_14partition_implILS5_5ELb0ES3_mN6thrust23THRUST_200600_302600_NS6detail15normal_iteratorINSA_10device_ptrIyEEEEPS6_NSA_18transform_iteratorINSB_9not_fun_tI7is_trueIyEEENSC_INSD_IbEEEENSA_11use_defaultESO_EENS0_5tupleIJSF_S6_EEENSQ_IJSG_SG_EEES6_PlJS6_EEE10hipError_tPvRmT3_T4_T5_T6_T7_T9_mT8_P12ihipStream_tbDpT10_ENKUlT_T0_E_clISt17integral_constantIbLb0EES1C_IbLb1EEEEDaS18_S19_EUlS18_E_NS1_11comp_targetILNS1_3genE9ELNS1_11target_archE1100ELNS1_3gpuE3ELNS1_3repE0EEENS1_30default_config_static_selectorELNS0_4arch9wavefront6targetE0EEEvT1_.has_indirect_call, 0
	.section	.AMDGPU.csdata,"",@progbits
; Kernel info:
; codeLenInByte = 0
; TotalNumSgprs: 0
; NumVgprs: 0
; ScratchSize: 0
; MemoryBound: 0
; FloatMode: 240
; IeeeMode: 1
; LDSByteSize: 0 bytes/workgroup (compile time only)
; SGPRBlocks: 0
; VGPRBlocks: 0
; NumSGPRsForWavesPerEU: 1
; NumVGPRsForWavesPerEU: 1
; Occupancy: 16
; WaveLimiterHint : 0
; COMPUTE_PGM_RSRC2:SCRATCH_EN: 0
; COMPUTE_PGM_RSRC2:USER_SGPR: 2
; COMPUTE_PGM_RSRC2:TRAP_HANDLER: 0
; COMPUTE_PGM_RSRC2:TGID_X_EN: 1
; COMPUTE_PGM_RSRC2:TGID_Y_EN: 0
; COMPUTE_PGM_RSRC2:TGID_Z_EN: 0
; COMPUTE_PGM_RSRC2:TIDIG_COMP_CNT: 0
	.section	.text._ZN7rocprim17ROCPRIM_400000_NS6detail17trampoline_kernelINS0_14default_configENS1_25partition_config_selectorILNS1_17partition_subalgoE5EyNS0_10empty_typeEbEEZZNS1_14partition_implILS5_5ELb0ES3_mN6thrust23THRUST_200600_302600_NS6detail15normal_iteratorINSA_10device_ptrIyEEEEPS6_NSA_18transform_iteratorINSB_9not_fun_tI7is_trueIyEEENSC_INSD_IbEEEENSA_11use_defaultESO_EENS0_5tupleIJSF_S6_EEENSQ_IJSG_SG_EEES6_PlJS6_EEE10hipError_tPvRmT3_T4_T5_T6_T7_T9_mT8_P12ihipStream_tbDpT10_ENKUlT_T0_E_clISt17integral_constantIbLb0EES1C_IbLb1EEEEDaS18_S19_EUlS18_E_NS1_11comp_targetILNS1_3genE8ELNS1_11target_archE1030ELNS1_3gpuE2ELNS1_3repE0EEENS1_30default_config_static_selectorELNS0_4arch9wavefront6targetE0EEEvT1_,"axG",@progbits,_ZN7rocprim17ROCPRIM_400000_NS6detail17trampoline_kernelINS0_14default_configENS1_25partition_config_selectorILNS1_17partition_subalgoE5EyNS0_10empty_typeEbEEZZNS1_14partition_implILS5_5ELb0ES3_mN6thrust23THRUST_200600_302600_NS6detail15normal_iteratorINSA_10device_ptrIyEEEEPS6_NSA_18transform_iteratorINSB_9not_fun_tI7is_trueIyEEENSC_INSD_IbEEEENSA_11use_defaultESO_EENS0_5tupleIJSF_S6_EEENSQ_IJSG_SG_EEES6_PlJS6_EEE10hipError_tPvRmT3_T4_T5_T6_T7_T9_mT8_P12ihipStream_tbDpT10_ENKUlT_T0_E_clISt17integral_constantIbLb0EES1C_IbLb1EEEEDaS18_S19_EUlS18_E_NS1_11comp_targetILNS1_3genE8ELNS1_11target_archE1030ELNS1_3gpuE2ELNS1_3repE0EEENS1_30default_config_static_selectorELNS0_4arch9wavefront6targetE0EEEvT1_,comdat
	.protected	_ZN7rocprim17ROCPRIM_400000_NS6detail17trampoline_kernelINS0_14default_configENS1_25partition_config_selectorILNS1_17partition_subalgoE5EyNS0_10empty_typeEbEEZZNS1_14partition_implILS5_5ELb0ES3_mN6thrust23THRUST_200600_302600_NS6detail15normal_iteratorINSA_10device_ptrIyEEEEPS6_NSA_18transform_iteratorINSB_9not_fun_tI7is_trueIyEEENSC_INSD_IbEEEENSA_11use_defaultESO_EENS0_5tupleIJSF_S6_EEENSQ_IJSG_SG_EEES6_PlJS6_EEE10hipError_tPvRmT3_T4_T5_T6_T7_T9_mT8_P12ihipStream_tbDpT10_ENKUlT_T0_E_clISt17integral_constantIbLb0EES1C_IbLb1EEEEDaS18_S19_EUlS18_E_NS1_11comp_targetILNS1_3genE8ELNS1_11target_archE1030ELNS1_3gpuE2ELNS1_3repE0EEENS1_30default_config_static_selectorELNS0_4arch9wavefront6targetE0EEEvT1_ ; -- Begin function _ZN7rocprim17ROCPRIM_400000_NS6detail17trampoline_kernelINS0_14default_configENS1_25partition_config_selectorILNS1_17partition_subalgoE5EyNS0_10empty_typeEbEEZZNS1_14partition_implILS5_5ELb0ES3_mN6thrust23THRUST_200600_302600_NS6detail15normal_iteratorINSA_10device_ptrIyEEEEPS6_NSA_18transform_iteratorINSB_9not_fun_tI7is_trueIyEEENSC_INSD_IbEEEENSA_11use_defaultESO_EENS0_5tupleIJSF_S6_EEENSQ_IJSG_SG_EEES6_PlJS6_EEE10hipError_tPvRmT3_T4_T5_T6_T7_T9_mT8_P12ihipStream_tbDpT10_ENKUlT_T0_E_clISt17integral_constantIbLb0EES1C_IbLb1EEEEDaS18_S19_EUlS18_E_NS1_11comp_targetILNS1_3genE8ELNS1_11target_archE1030ELNS1_3gpuE2ELNS1_3repE0EEENS1_30default_config_static_selectorELNS0_4arch9wavefront6targetE0EEEvT1_
	.globl	_ZN7rocprim17ROCPRIM_400000_NS6detail17trampoline_kernelINS0_14default_configENS1_25partition_config_selectorILNS1_17partition_subalgoE5EyNS0_10empty_typeEbEEZZNS1_14partition_implILS5_5ELb0ES3_mN6thrust23THRUST_200600_302600_NS6detail15normal_iteratorINSA_10device_ptrIyEEEEPS6_NSA_18transform_iteratorINSB_9not_fun_tI7is_trueIyEEENSC_INSD_IbEEEENSA_11use_defaultESO_EENS0_5tupleIJSF_S6_EEENSQ_IJSG_SG_EEES6_PlJS6_EEE10hipError_tPvRmT3_T4_T5_T6_T7_T9_mT8_P12ihipStream_tbDpT10_ENKUlT_T0_E_clISt17integral_constantIbLb0EES1C_IbLb1EEEEDaS18_S19_EUlS18_E_NS1_11comp_targetILNS1_3genE8ELNS1_11target_archE1030ELNS1_3gpuE2ELNS1_3repE0EEENS1_30default_config_static_selectorELNS0_4arch9wavefront6targetE0EEEvT1_
	.p2align	8
	.type	_ZN7rocprim17ROCPRIM_400000_NS6detail17trampoline_kernelINS0_14default_configENS1_25partition_config_selectorILNS1_17partition_subalgoE5EyNS0_10empty_typeEbEEZZNS1_14partition_implILS5_5ELb0ES3_mN6thrust23THRUST_200600_302600_NS6detail15normal_iteratorINSA_10device_ptrIyEEEEPS6_NSA_18transform_iteratorINSB_9not_fun_tI7is_trueIyEEENSC_INSD_IbEEEENSA_11use_defaultESO_EENS0_5tupleIJSF_S6_EEENSQ_IJSG_SG_EEES6_PlJS6_EEE10hipError_tPvRmT3_T4_T5_T6_T7_T9_mT8_P12ihipStream_tbDpT10_ENKUlT_T0_E_clISt17integral_constantIbLb0EES1C_IbLb1EEEEDaS18_S19_EUlS18_E_NS1_11comp_targetILNS1_3genE8ELNS1_11target_archE1030ELNS1_3gpuE2ELNS1_3repE0EEENS1_30default_config_static_selectorELNS0_4arch9wavefront6targetE0EEEvT1_,@function
_ZN7rocprim17ROCPRIM_400000_NS6detail17trampoline_kernelINS0_14default_configENS1_25partition_config_selectorILNS1_17partition_subalgoE5EyNS0_10empty_typeEbEEZZNS1_14partition_implILS5_5ELb0ES3_mN6thrust23THRUST_200600_302600_NS6detail15normal_iteratorINSA_10device_ptrIyEEEEPS6_NSA_18transform_iteratorINSB_9not_fun_tI7is_trueIyEEENSC_INSD_IbEEEENSA_11use_defaultESO_EENS0_5tupleIJSF_S6_EEENSQ_IJSG_SG_EEES6_PlJS6_EEE10hipError_tPvRmT3_T4_T5_T6_T7_T9_mT8_P12ihipStream_tbDpT10_ENKUlT_T0_E_clISt17integral_constantIbLb0EES1C_IbLb1EEEEDaS18_S19_EUlS18_E_NS1_11comp_targetILNS1_3genE8ELNS1_11target_archE1030ELNS1_3gpuE2ELNS1_3repE0EEENS1_30default_config_static_selectorELNS0_4arch9wavefront6targetE0EEEvT1_: ; @_ZN7rocprim17ROCPRIM_400000_NS6detail17trampoline_kernelINS0_14default_configENS1_25partition_config_selectorILNS1_17partition_subalgoE5EyNS0_10empty_typeEbEEZZNS1_14partition_implILS5_5ELb0ES3_mN6thrust23THRUST_200600_302600_NS6detail15normal_iteratorINSA_10device_ptrIyEEEEPS6_NSA_18transform_iteratorINSB_9not_fun_tI7is_trueIyEEENSC_INSD_IbEEEENSA_11use_defaultESO_EENS0_5tupleIJSF_S6_EEENSQ_IJSG_SG_EEES6_PlJS6_EEE10hipError_tPvRmT3_T4_T5_T6_T7_T9_mT8_P12ihipStream_tbDpT10_ENKUlT_T0_E_clISt17integral_constantIbLb0EES1C_IbLb1EEEEDaS18_S19_EUlS18_E_NS1_11comp_targetILNS1_3genE8ELNS1_11target_archE1030ELNS1_3gpuE2ELNS1_3repE0EEENS1_30default_config_static_selectorELNS0_4arch9wavefront6targetE0EEEvT1_
; %bb.0:
	.section	.rodata,"a",@progbits
	.p2align	6, 0x0
	.amdhsa_kernel _ZN7rocprim17ROCPRIM_400000_NS6detail17trampoline_kernelINS0_14default_configENS1_25partition_config_selectorILNS1_17partition_subalgoE5EyNS0_10empty_typeEbEEZZNS1_14partition_implILS5_5ELb0ES3_mN6thrust23THRUST_200600_302600_NS6detail15normal_iteratorINSA_10device_ptrIyEEEEPS6_NSA_18transform_iteratorINSB_9not_fun_tI7is_trueIyEEENSC_INSD_IbEEEENSA_11use_defaultESO_EENS0_5tupleIJSF_S6_EEENSQ_IJSG_SG_EEES6_PlJS6_EEE10hipError_tPvRmT3_T4_T5_T6_T7_T9_mT8_P12ihipStream_tbDpT10_ENKUlT_T0_E_clISt17integral_constantIbLb0EES1C_IbLb1EEEEDaS18_S19_EUlS18_E_NS1_11comp_targetILNS1_3genE8ELNS1_11target_archE1030ELNS1_3gpuE2ELNS1_3repE0EEENS1_30default_config_static_selectorELNS0_4arch9wavefront6targetE0EEEvT1_
		.amdhsa_group_segment_fixed_size 0
		.amdhsa_private_segment_fixed_size 0
		.amdhsa_kernarg_size 136
		.amdhsa_user_sgpr_count 2
		.amdhsa_user_sgpr_dispatch_ptr 0
		.amdhsa_user_sgpr_queue_ptr 0
		.amdhsa_user_sgpr_kernarg_segment_ptr 1
		.amdhsa_user_sgpr_dispatch_id 0
		.amdhsa_user_sgpr_private_segment_size 0
		.amdhsa_wavefront_size32 1
		.amdhsa_uses_dynamic_stack 0
		.amdhsa_enable_private_segment 0
		.amdhsa_system_sgpr_workgroup_id_x 1
		.amdhsa_system_sgpr_workgroup_id_y 0
		.amdhsa_system_sgpr_workgroup_id_z 0
		.amdhsa_system_sgpr_workgroup_info 0
		.amdhsa_system_vgpr_workitem_id 0
		.amdhsa_next_free_vgpr 1
		.amdhsa_next_free_sgpr 1
		.amdhsa_reserve_vcc 0
		.amdhsa_float_round_mode_32 0
		.amdhsa_float_round_mode_16_64 0
		.amdhsa_float_denorm_mode_32 3
		.amdhsa_float_denorm_mode_16_64 3
		.amdhsa_fp16_overflow 0
		.amdhsa_workgroup_processor_mode 1
		.amdhsa_memory_ordered 1
		.amdhsa_forward_progress 1
		.amdhsa_inst_pref_size 0
		.amdhsa_round_robin_scheduling 0
		.amdhsa_exception_fp_ieee_invalid_op 0
		.amdhsa_exception_fp_denorm_src 0
		.amdhsa_exception_fp_ieee_div_zero 0
		.amdhsa_exception_fp_ieee_overflow 0
		.amdhsa_exception_fp_ieee_underflow 0
		.amdhsa_exception_fp_ieee_inexact 0
		.amdhsa_exception_int_div_zero 0
	.end_amdhsa_kernel
	.section	.text._ZN7rocprim17ROCPRIM_400000_NS6detail17trampoline_kernelINS0_14default_configENS1_25partition_config_selectorILNS1_17partition_subalgoE5EyNS0_10empty_typeEbEEZZNS1_14partition_implILS5_5ELb0ES3_mN6thrust23THRUST_200600_302600_NS6detail15normal_iteratorINSA_10device_ptrIyEEEEPS6_NSA_18transform_iteratorINSB_9not_fun_tI7is_trueIyEEENSC_INSD_IbEEEENSA_11use_defaultESO_EENS0_5tupleIJSF_S6_EEENSQ_IJSG_SG_EEES6_PlJS6_EEE10hipError_tPvRmT3_T4_T5_T6_T7_T9_mT8_P12ihipStream_tbDpT10_ENKUlT_T0_E_clISt17integral_constantIbLb0EES1C_IbLb1EEEEDaS18_S19_EUlS18_E_NS1_11comp_targetILNS1_3genE8ELNS1_11target_archE1030ELNS1_3gpuE2ELNS1_3repE0EEENS1_30default_config_static_selectorELNS0_4arch9wavefront6targetE0EEEvT1_,"axG",@progbits,_ZN7rocprim17ROCPRIM_400000_NS6detail17trampoline_kernelINS0_14default_configENS1_25partition_config_selectorILNS1_17partition_subalgoE5EyNS0_10empty_typeEbEEZZNS1_14partition_implILS5_5ELb0ES3_mN6thrust23THRUST_200600_302600_NS6detail15normal_iteratorINSA_10device_ptrIyEEEEPS6_NSA_18transform_iteratorINSB_9not_fun_tI7is_trueIyEEENSC_INSD_IbEEEENSA_11use_defaultESO_EENS0_5tupleIJSF_S6_EEENSQ_IJSG_SG_EEES6_PlJS6_EEE10hipError_tPvRmT3_T4_T5_T6_T7_T9_mT8_P12ihipStream_tbDpT10_ENKUlT_T0_E_clISt17integral_constantIbLb0EES1C_IbLb1EEEEDaS18_S19_EUlS18_E_NS1_11comp_targetILNS1_3genE8ELNS1_11target_archE1030ELNS1_3gpuE2ELNS1_3repE0EEENS1_30default_config_static_selectorELNS0_4arch9wavefront6targetE0EEEvT1_,comdat
.Lfunc_end2428:
	.size	_ZN7rocprim17ROCPRIM_400000_NS6detail17trampoline_kernelINS0_14default_configENS1_25partition_config_selectorILNS1_17partition_subalgoE5EyNS0_10empty_typeEbEEZZNS1_14partition_implILS5_5ELb0ES3_mN6thrust23THRUST_200600_302600_NS6detail15normal_iteratorINSA_10device_ptrIyEEEEPS6_NSA_18transform_iteratorINSB_9not_fun_tI7is_trueIyEEENSC_INSD_IbEEEENSA_11use_defaultESO_EENS0_5tupleIJSF_S6_EEENSQ_IJSG_SG_EEES6_PlJS6_EEE10hipError_tPvRmT3_T4_T5_T6_T7_T9_mT8_P12ihipStream_tbDpT10_ENKUlT_T0_E_clISt17integral_constantIbLb0EES1C_IbLb1EEEEDaS18_S19_EUlS18_E_NS1_11comp_targetILNS1_3genE8ELNS1_11target_archE1030ELNS1_3gpuE2ELNS1_3repE0EEENS1_30default_config_static_selectorELNS0_4arch9wavefront6targetE0EEEvT1_, .Lfunc_end2428-_ZN7rocprim17ROCPRIM_400000_NS6detail17trampoline_kernelINS0_14default_configENS1_25partition_config_selectorILNS1_17partition_subalgoE5EyNS0_10empty_typeEbEEZZNS1_14partition_implILS5_5ELb0ES3_mN6thrust23THRUST_200600_302600_NS6detail15normal_iteratorINSA_10device_ptrIyEEEEPS6_NSA_18transform_iteratorINSB_9not_fun_tI7is_trueIyEEENSC_INSD_IbEEEENSA_11use_defaultESO_EENS0_5tupleIJSF_S6_EEENSQ_IJSG_SG_EEES6_PlJS6_EEE10hipError_tPvRmT3_T4_T5_T6_T7_T9_mT8_P12ihipStream_tbDpT10_ENKUlT_T0_E_clISt17integral_constantIbLb0EES1C_IbLb1EEEEDaS18_S19_EUlS18_E_NS1_11comp_targetILNS1_3genE8ELNS1_11target_archE1030ELNS1_3gpuE2ELNS1_3repE0EEENS1_30default_config_static_selectorELNS0_4arch9wavefront6targetE0EEEvT1_
                                        ; -- End function
	.set _ZN7rocprim17ROCPRIM_400000_NS6detail17trampoline_kernelINS0_14default_configENS1_25partition_config_selectorILNS1_17partition_subalgoE5EyNS0_10empty_typeEbEEZZNS1_14partition_implILS5_5ELb0ES3_mN6thrust23THRUST_200600_302600_NS6detail15normal_iteratorINSA_10device_ptrIyEEEEPS6_NSA_18transform_iteratorINSB_9not_fun_tI7is_trueIyEEENSC_INSD_IbEEEENSA_11use_defaultESO_EENS0_5tupleIJSF_S6_EEENSQ_IJSG_SG_EEES6_PlJS6_EEE10hipError_tPvRmT3_T4_T5_T6_T7_T9_mT8_P12ihipStream_tbDpT10_ENKUlT_T0_E_clISt17integral_constantIbLb0EES1C_IbLb1EEEEDaS18_S19_EUlS18_E_NS1_11comp_targetILNS1_3genE8ELNS1_11target_archE1030ELNS1_3gpuE2ELNS1_3repE0EEENS1_30default_config_static_selectorELNS0_4arch9wavefront6targetE0EEEvT1_.num_vgpr, 0
	.set _ZN7rocprim17ROCPRIM_400000_NS6detail17trampoline_kernelINS0_14default_configENS1_25partition_config_selectorILNS1_17partition_subalgoE5EyNS0_10empty_typeEbEEZZNS1_14partition_implILS5_5ELb0ES3_mN6thrust23THRUST_200600_302600_NS6detail15normal_iteratorINSA_10device_ptrIyEEEEPS6_NSA_18transform_iteratorINSB_9not_fun_tI7is_trueIyEEENSC_INSD_IbEEEENSA_11use_defaultESO_EENS0_5tupleIJSF_S6_EEENSQ_IJSG_SG_EEES6_PlJS6_EEE10hipError_tPvRmT3_T4_T5_T6_T7_T9_mT8_P12ihipStream_tbDpT10_ENKUlT_T0_E_clISt17integral_constantIbLb0EES1C_IbLb1EEEEDaS18_S19_EUlS18_E_NS1_11comp_targetILNS1_3genE8ELNS1_11target_archE1030ELNS1_3gpuE2ELNS1_3repE0EEENS1_30default_config_static_selectorELNS0_4arch9wavefront6targetE0EEEvT1_.num_agpr, 0
	.set _ZN7rocprim17ROCPRIM_400000_NS6detail17trampoline_kernelINS0_14default_configENS1_25partition_config_selectorILNS1_17partition_subalgoE5EyNS0_10empty_typeEbEEZZNS1_14partition_implILS5_5ELb0ES3_mN6thrust23THRUST_200600_302600_NS6detail15normal_iteratorINSA_10device_ptrIyEEEEPS6_NSA_18transform_iteratorINSB_9not_fun_tI7is_trueIyEEENSC_INSD_IbEEEENSA_11use_defaultESO_EENS0_5tupleIJSF_S6_EEENSQ_IJSG_SG_EEES6_PlJS6_EEE10hipError_tPvRmT3_T4_T5_T6_T7_T9_mT8_P12ihipStream_tbDpT10_ENKUlT_T0_E_clISt17integral_constantIbLb0EES1C_IbLb1EEEEDaS18_S19_EUlS18_E_NS1_11comp_targetILNS1_3genE8ELNS1_11target_archE1030ELNS1_3gpuE2ELNS1_3repE0EEENS1_30default_config_static_selectorELNS0_4arch9wavefront6targetE0EEEvT1_.numbered_sgpr, 0
	.set _ZN7rocprim17ROCPRIM_400000_NS6detail17trampoline_kernelINS0_14default_configENS1_25partition_config_selectorILNS1_17partition_subalgoE5EyNS0_10empty_typeEbEEZZNS1_14partition_implILS5_5ELb0ES3_mN6thrust23THRUST_200600_302600_NS6detail15normal_iteratorINSA_10device_ptrIyEEEEPS6_NSA_18transform_iteratorINSB_9not_fun_tI7is_trueIyEEENSC_INSD_IbEEEENSA_11use_defaultESO_EENS0_5tupleIJSF_S6_EEENSQ_IJSG_SG_EEES6_PlJS6_EEE10hipError_tPvRmT3_T4_T5_T6_T7_T9_mT8_P12ihipStream_tbDpT10_ENKUlT_T0_E_clISt17integral_constantIbLb0EES1C_IbLb1EEEEDaS18_S19_EUlS18_E_NS1_11comp_targetILNS1_3genE8ELNS1_11target_archE1030ELNS1_3gpuE2ELNS1_3repE0EEENS1_30default_config_static_selectorELNS0_4arch9wavefront6targetE0EEEvT1_.num_named_barrier, 0
	.set _ZN7rocprim17ROCPRIM_400000_NS6detail17trampoline_kernelINS0_14default_configENS1_25partition_config_selectorILNS1_17partition_subalgoE5EyNS0_10empty_typeEbEEZZNS1_14partition_implILS5_5ELb0ES3_mN6thrust23THRUST_200600_302600_NS6detail15normal_iteratorINSA_10device_ptrIyEEEEPS6_NSA_18transform_iteratorINSB_9not_fun_tI7is_trueIyEEENSC_INSD_IbEEEENSA_11use_defaultESO_EENS0_5tupleIJSF_S6_EEENSQ_IJSG_SG_EEES6_PlJS6_EEE10hipError_tPvRmT3_T4_T5_T6_T7_T9_mT8_P12ihipStream_tbDpT10_ENKUlT_T0_E_clISt17integral_constantIbLb0EES1C_IbLb1EEEEDaS18_S19_EUlS18_E_NS1_11comp_targetILNS1_3genE8ELNS1_11target_archE1030ELNS1_3gpuE2ELNS1_3repE0EEENS1_30default_config_static_selectorELNS0_4arch9wavefront6targetE0EEEvT1_.private_seg_size, 0
	.set _ZN7rocprim17ROCPRIM_400000_NS6detail17trampoline_kernelINS0_14default_configENS1_25partition_config_selectorILNS1_17partition_subalgoE5EyNS0_10empty_typeEbEEZZNS1_14partition_implILS5_5ELb0ES3_mN6thrust23THRUST_200600_302600_NS6detail15normal_iteratorINSA_10device_ptrIyEEEEPS6_NSA_18transform_iteratorINSB_9not_fun_tI7is_trueIyEEENSC_INSD_IbEEEENSA_11use_defaultESO_EENS0_5tupleIJSF_S6_EEENSQ_IJSG_SG_EEES6_PlJS6_EEE10hipError_tPvRmT3_T4_T5_T6_T7_T9_mT8_P12ihipStream_tbDpT10_ENKUlT_T0_E_clISt17integral_constantIbLb0EES1C_IbLb1EEEEDaS18_S19_EUlS18_E_NS1_11comp_targetILNS1_3genE8ELNS1_11target_archE1030ELNS1_3gpuE2ELNS1_3repE0EEENS1_30default_config_static_selectorELNS0_4arch9wavefront6targetE0EEEvT1_.uses_vcc, 0
	.set _ZN7rocprim17ROCPRIM_400000_NS6detail17trampoline_kernelINS0_14default_configENS1_25partition_config_selectorILNS1_17partition_subalgoE5EyNS0_10empty_typeEbEEZZNS1_14partition_implILS5_5ELb0ES3_mN6thrust23THRUST_200600_302600_NS6detail15normal_iteratorINSA_10device_ptrIyEEEEPS6_NSA_18transform_iteratorINSB_9not_fun_tI7is_trueIyEEENSC_INSD_IbEEEENSA_11use_defaultESO_EENS0_5tupleIJSF_S6_EEENSQ_IJSG_SG_EEES6_PlJS6_EEE10hipError_tPvRmT3_T4_T5_T6_T7_T9_mT8_P12ihipStream_tbDpT10_ENKUlT_T0_E_clISt17integral_constantIbLb0EES1C_IbLb1EEEEDaS18_S19_EUlS18_E_NS1_11comp_targetILNS1_3genE8ELNS1_11target_archE1030ELNS1_3gpuE2ELNS1_3repE0EEENS1_30default_config_static_selectorELNS0_4arch9wavefront6targetE0EEEvT1_.uses_flat_scratch, 0
	.set _ZN7rocprim17ROCPRIM_400000_NS6detail17trampoline_kernelINS0_14default_configENS1_25partition_config_selectorILNS1_17partition_subalgoE5EyNS0_10empty_typeEbEEZZNS1_14partition_implILS5_5ELb0ES3_mN6thrust23THRUST_200600_302600_NS6detail15normal_iteratorINSA_10device_ptrIyEEEEPS6_NSA_18transform_iteratorINSB_9not_fun_tI7is_trueIyEEENSC_INSD_IbEEEENSA_11use_defaultESO_EENS0_5tupleIJSF_S6_EEENSQ_IJSG_SG_EEES6_PlJS6_EEE10hipError_tPvRmT3_T4_T5_T6_T7_T9_mT8_P12ihipStream_tbDpT10_ENKUlT_T0_E_clISt17integral_constantIbLb0EES1C_IbLb1EEEEDaS18_S19_EUlS18_E_NS1_11comp_targetILNS1_3genE8ELNS1_11target_archE1030ELNS1_3gpuE2ELNS1_3repE0EEENS1_30default_config_static_selectorELNS0_4arch9wavefront6targetE0EEEvT1_.has_dyn_sized_stack, 0
	.set _ZN7rocprim17ROCPRIM_400000_NS6detail17trampoline_kernelINS0_14default_configENS1_25partition_config_selectorILNS1_17partition_subalgoE5EyNS0_10empty_typeEbEEZZNS1_14partition_implILS5_5ELb0ES3_mN6thrust23THRUST_200600_302600_NS6detail15normal_iteratorINSA_10device_ptrIyEEEEPS6_NSA_18transform_iteratorINSB_9not_fun_tI7is_trueIyEEENSC_INSD_IbEEEENSA_11use_defaultESO_EENS0_5tupleIJSF_S6_EEENSQ_IJSG_SG_EEES6_PlJS6_EEE10hipError_tPvRmT3_T4_T5_T6_T7_T9_mT8_P12ihipStream_tbDpT10_ENKUlT_T0_E_clISt17integral_constantIbLb0EES1C_IbLb1EEEEDaS18_S19_EUlS18_E_NS1_11comp_targetILNS1_3genE8ELNS1_11target_archE1030ELNS1_3gpuE2ELNS1_3repE0EEENS1_30default_config_static_selectorELNS0_4arch9wavefront6targetE0EEEvT1_.has_recursion, 0
	.set _ZN7rocprim17ROCPRIM_400000_NS6detail17trampoline_kernelINS0_14default_configENS1_25partition_config_selectorILNS1_17partition_subalgoE5EyNS0_10empty_typeEbEEZZNS1_14partition_implILS5_5ELb0ES3_mN6thrust23THRUST_200600_302600_NS6detail15normal_iteratorINSA_10device_ptrIyEEEEPS6_NSA_18transform_iteratorINSB_9not_fun_tI7is_trueIyEEENSC_INSD_IbEEEENSA_11use_defaultESO_EENS0_5tupleIJSF_S6_EEENSQ_IJSG_SG_EEES6_PlJS6_EEE10hipError_tPvRmT3_T4_T5_T6_T7_T9_mT8_P12ihipStream_tbDpT10_ENKUlT_T0_E_clISt17integral_constantIbLb0EES1C_IbLb1EEEEDaS18_S19_EUlS18_E_NS1_11comp_targetILNS1_3genE8ELNS1_11target_archE1030ELNS1_3gpuE2ELNS1_3repE0EEENS1_30default_config_static_selectorELNS0_4arch9wavefront6targetE0EEEvT1_.has_indirect_call, 0
	.section	.AMDGPU.csdata,"",@progbits
; Kernel info:
; codeLenInByte = 0
; TotalNumSgprs: 0
; NumVgprs: 0
; ScratchSize: 0
; MemoryBound: 0
; FloatMode: 240
; IeeeMode: 1
; LDSByteSize: 0 bytes/workgroup (compile time only)
; SGPRBlocks: 0
; VGPRBlocks: 0
; NumSGPRsForWavesPerEU: 1
; NumVGPRsForWavesPerEU: 1
; Occupancy: 16
; WaveLimiterHint : 0
; COMPUTE_PGM_RSRC2:SCRATCH_EN: 0
; COMPUTE_PGM_RSRC2:USER_SGPR: 2
; COMPUTE_PGM_RSRC2:TRAP_HANDLER: 0
; COMPUTE_PGM_RSRC2:TGID_X_EN: 1
; COMPUTE_PGM_RSRC2:TGID_Y_EN: 0
; COMPUTE_PGM_RSRC2:TGID_Z_EN: 0
; COMPUTE_PGM_RSRC2:TIDIG_COMP_CNT: 0
	.section	.text._ZN7rocprim17ROCPRIM_400000_NS6detail17trampoline_kernelINS0_14default_configENS1_25partition_config_selectorILNS1_17partition_subalgoE5EjNS0_10empty_typeEbEEZZNS1_14partition_implILS5_5ELb0ES3_mN6thrust23THRUST_200600_302600_NS6detail15normal_iteratorINSA_10device_ptrIjEEEEPS6_NSA_18transform_iteratorINSB_9not_fun_tI7is_trueIjEEENSC_INSD_IbEEEENSA_11use_defaultESO_EENS0_5tupleIJSF_S6_EEENSQ_IJSG_SG_EEES6_PlJS6_EEE10hipError_tPvRmT3_T4_T5_T6_T7_T9_mT8_P12ihipStream_tbDpT10_ENKUlT_T0_E_clISt17integral_constantIbLb0EES1D_EEDaS18_S19_EUlS18_E_NS1_11comp_targetILNS1_3genE0ELNS1_11target_archE4294967295ELNS1_3gpuE0ELNS1_3repE0EEENS1_30default_config_static_selectorELNS0_4arch9wavefront6targetE0EEEvT1_,"axG",@progbits,_ZN7rocprim17ROCPRIM_400000_NS6detail17trampoline_kernelINS0_14default_configENS1_25partition_config_selectorILNS1_17partition_subalgoE5EjNS0_10empty_typeEbEEZZNS1_14partition_implILS5_5ELb0ES3_mN6thrust23THRUST_200600_302600_NS6detail15normal_iteratorINSA_10device_ptrIjEEEEPS6_NSA_18transform_iteratorINSB_9not_fun_tI7is_trueIjEEENSC_INSD_IbEEEENSA_11use_defaultESO_EENS0_5tupleIJSF_S6_EEENSQ_IJSG_SG_EEES6_PlJS6_EEE10hipError_tPvRmT3_T4_T5_T6_T7_T9_mT8_P12ihipStream_tbDpT10_ENKUlT_T0_E_clISt17integral_constantIbLb0EES1D_EEDaS18_S19_EUlS18_E_NS1_11comp_targetILNS1_3genE0ELNS1_11target_archE4294967295ELNS1_3gpuE0ELNS1_3repE0EEENS1_30default_config_static_selectorELNS0_4arch9wavefront6targetE0EEEvT1_,comdat
	.protected	_ZN7rocprim17ROCPRIM_400000_NS6detail17trampoline_kernelINS0_14default_configENS1_25partition_config_selectorILNS1_17partition_subalgoE5EjNS0_10empty_typeEbEEZZNS1_14partition_implILS5_5ELb0ES3_mN6thrust23THRUST_200600_302600_NS6detail15normal_iteratorINSA_10device_ptrIjEEEEPS6_NSA_18transform_iteratorINSB_9not_fun_tI7is_trueIjEEENSC_INSD_IbEEEENSA_11use_defaultESO_EENS0_5tupleIJSF_S6_EEENSQ_IJSG_SG_EEES6_PlJS6_EEE10hipError_tPvRmT3_T4_T5_T6_T7_T9_mT8_P12ihipStream_tbDpT10_ENKUlT_T0_E_clISt17integral_constantIbLb0EES1D_EEDaS18_S19_EUlS18_E_NS1_11comp_targetILNS1_3genE0ELNS1_11target_archE4294967295ELNS1_3gpuE0ELNS1_3repE0EEENS1_30default_config_static_selectorELNS0_4arch9wavefront6targetE0EEEvT1_ ; -- Begin function _ZN7rocprim17ROCPRIM_400000_NS6detail17trampoline_kernelINS0_14default_configENS1_25partition_config_selectorILNS1_17partition_subalgoE5EjNS0_10empty_typeEbEEZZNS1_14partition_implILS5_5ELb0ES3_mN6thrust23THRUST_200600_302600_NS6detail15normal_iteratorINSA_10device_ptrIjEEEEPS6_NSA_18transform_iteratorINSB_9not_fun_tI7is_trueIjEEENSC_INSD_IbEEEENSA_11use_defaultESO_EENS0_5tupleIJSF_S6_EEENSQ_IJSG_SG_EEES6_PlJS6_EEE10hipError_tPvRmT3_T4_T5_T6_T7_T9_mT8_P12ihipStream_tbDpT10_ENKUlT_T0_E_clISt17integral_constantIbLb0EES1D_EEDaS18_S19_EUlS18_E_NS1_11comp_targetILNS1_3genE0ELNS1_11target_archE4294967295ELNS1_3gpuE0ELNS1_3repE0EEENS1_30default_config_static_selectorELNS0_4arch9wavefront6targetE0EEEvT1_
	.globl	_ZN7rocprim17ROCPRIM_400000_NS6detail17trampoline_kernelINS0_14default_configENS1_25partition_config_selectorILNS1_17partition_subalgoE5EjNS0_10empty_typeEbEEZZNS1_14partition_implILS5_5ELb0ES3_mN6thrust23THRUST_200600_302600_NS6detail15normal_iteratorINSA_10device_ptrIjEEEEPS6_NSA_18transform_iteratorINSB_9not_fun_tI7is_trueIjEEENSC_INSD_IbEEEENSA_11use_defaultESO_EENS0_5tupleIJSF_S6_EEENSQ_IJSG_SG_EEES6_PlJS6_EEE10hipError_tPvRmT3_T4_T5_T6_T7_T9_mT8_P12ihipStream_tbDpT10_ENKUlT_T0_E_clISt17integral_constantIbLb0EES1D_EEDaS18_S19_EUlS18_E_NS1_11comp_targetILNS1_3genE0ELNS1_11target_archE4294967295ELNS1_3gpuE0ELNS1_3repE0EEENS1_30default_config_static_selectorELNS0_4arch9wavefront6targetE0EEEvT1_
	.p2align	8
	.type	_ZN7rocprim17ROCPRIM_400000_NS6detail17trampoline_kernelINS0_14default_configENS1_25partition_config_selectorILNS1_17partition_subalgoE5EjNS0_10empty_typeEbEEZZNS1_14partition_implILS5_5ELb0ES3_mN6thrust23THRUST_200600_302600_NS6detail15normal_iteratorINSA_10device_ptrIjEEEEPS6_NSA_18transform_iteratorINSB_9not_fun_tI7is_trueIjEEENSC_INSD_IbEEEENSA_11use_defaultESO_EENS0_5tupleIJSF_S6_EEENSQ_IJSG_SG_EEES6_PlJS6_EEE10hipError_tPvRmT3_T4_T5_T6_T7_T9_mT8_P12ihipStream_tbDpT10_ENKUlT_T0_E_clISt17integral_constantIbLb0EES1D_EEDaS18_S19_EUlS18_E_NS1_11comp_targetILNS1_3genE0ELNS1_11target_archE4294967295ELNS1_3gpuE0ELNS1_3repE0EEENS1_30default_config_static_selectorELNS0_4arch9wavefront6targetE0EEEvT1_,@function
_ZN7rocprim17ROCPRIM_400000_NS6detail17trampoline_kernelINS0_14default_configENS1_25partition_config_selectorILNS1_17partition_subalgoE5EjNS0_10empty_typeEbEEZZNS1_14partition_implILS5_5ELb0ES3_mN6thrust23THRUST_200600_302600_NS6detail15normal_iteratorINSA_10device_ptrIjEEEEPS6_NSA_18transform_iteratorINSB_9not_fun_tI7is_trueIjEEENSC_INSD_IbEEEENSA_11use_defaultESO_EENS0_5tupleIJSF_S6_EEENSQ_IJSG_SG_EEES6_PlJS6_EEE10hipError_tPvRmT3_T4_T5_T6_T7_T9_mT8_P12ihipStream_tbDpT10_ENKUlT_T0_E_clISt17integral_constantIbLb0EES1D_EEDaS18_S19_EUlS18_E_NS1_11comp_targetILNS1_3genE0ELNS1_11target_archE4294967295ELNS1_3gpuE0ELNS1_3repE0EEENS1_30default_config_static_selectorELNS0_4arch9wavefront6targetE0EEEvT1_: ; @_ZN7rocprim17ROCPRIM_400000_NS6detail17trampoline_kernelINS0_14default_configENS1_25partition_config_selectorILNS1_17partition_subalgoE5EjNS0_10empty_typeEbEEZZNS1_14partition_implILS5_5ELb0ES3_mN6thrust23THRUST_200600_302600_NS6detail15normal_iteratorINSA_10device_ptrIjEEEEPS6_NSA_18transform_iteratorINSB_9not_fun_tI7is_trueIjEEENSC_INSD_IbEEEENSA_11use_defaultESO_EENS0_5tupleIJSF_S6_EEENSQ_IJSG_SG_EEES6_PlJS6_EEE10hipError_tPvRmT3_T4_T5_T6_T7_T9_mT8_P12ihipStream_tbDpT10_ENKUlT_T0_E_clISt17integral_constantIbLb0EES1D_EEDaS18_S19_EUlS18_E_NS1_11comp_targetILNS1_3genE0ELNS1_11target_archE4294967295ELNS1_3gpuE0ELNS1_3repE0EEENS1_30default_config_static_selectorELNS0_4arch9wavefront6targetE0EEEvT1_
; %bb.0:
	.section	.rodata,"a",@progbits
	.p2align	6, 0x0
	.amdhsa_kernel _ZN7rocprim17ROCPRIM_400000_NS6detail17trampoline_kernelINS0_14default_configENS1_25partition_config_selectorILNS1_17partition_subalgoE5EjNS0_10empty_typeEbEEZZNS1_14partition_implILS5_5ELb0ES3_mN6thrust23THRUST_200600_302600_NS6detail15normal_iteratorINSA_10device_ptrIjEEEEPS6_NSA_18transform_iteratorINSB_9not_fun_tI7is_trueIjEEENSC_INSD_IbEEEENSA_11use_defaultESO_EENS0_5tupleIJSF_S6_EEENSQ_IJSG_SG_EEES6_PlJS6_EEE10hipError_tPvRmT3_T4_T5_T6_T7_T9_mT8_P12ihipStream_tbDpT10_ENKUlT_T0_E_clISt17integral_constantIbLb0EES1D_EEDaS18_S19_EUlS18_E_NS1_11comp_targetILNS1_3genE0ELNS1_11target_archE4294967295ELNS1_3gpuE0ELNS1_3repE0EEENS1_30default_config_static_selectorELNS0_4arch9wavefront6targetE0EEEvT1_
		.amdhsa_group_segment_fixed_size 0
		.amdhsa_private_segment_fixed_size 0
		.amdhsa_kernarg_size 120
		.amdhsa_user_sgpr_count 2
		.amdhsa_user_sgpr_dispatch_ptr 0
		.amdhsa_user_sgpr_queue_ptr 0
		.amdhsa_user_sgpr_kernarg_segment_ptr 1
		.amdhsa_user_sgpr_dispatch_id 0
		.amdhsa_user_sgpr_private_segment_size 0
		.amdhsa_wavefront_size32 1
		.amdhsa_uses_dynamic_stack 0
		.amdhsa_enable_private_segment 0
		.amdhsa_system_sgpr_workgroup_id_x 1
		.amdhsa_system_sgpr_workgroup_id_y 0
		.amdhsa_system_sgpr_workgroup_id_z 0
		.amdhsa_system_sgpr_workgroup_info 0
		.amdhsa_system_vgpr_workitem_id 0
		.amdhsa_next_free_vgpr 1
		.amdhsa_next_free_sgpr 1
		.amdhsa_reserve_vcc 0
		.amdhsa_float_round_mode_32 0
		.amdhsa_float_round_mode_16_64 0
		.amdhsa_float_denorm_mode_32 3
		.amdhsa_float_denorm_mode_16_64 3
		.amdhsa_fp16_overflow 0
		.amdhsa_workgroup_processor_mode 1
		.amdhsa_memory_ordered 1
		.amdhsa_forward_progress 1
		.amdhsa_inst_pref_size 0
		.amdhsa_round_robin_scheduling 0
		.amdhsa_exception_fp_ieee_invalid_op 0
		.amdhsa_exception_fp_denorm_src 0
		.amdhsa_exception_fp_ieee_div_zero 0
		.amdhsa_exception_fp_ieee_overflow 0
		.amdhsa_exception_fp_ieee_underflow 0
		.amdhsa_exception_fp_ieee_inexact 0
		.amdhsa_exception_int_div_zero 0
	.end_amdhsa_kernel
	.section	.text._ZN7rocprim17ROCPRIM_400000_NS6detail17trampoline_kernelINS0_14default_configENS1_25partition_config_selectorILNS1_17partition_subalgoE5EjNS0_10empty_typeEbEEZZNS1_14partition_implILS5_5ELb0ES3_mN6thrust23THRUST_200600_302600_NS6detail15normal_iteratorINSA_10device_ptrIjEEEEPS6_NSA_18transform_iteratorINSB_9not_fun_tI7is_trueIjEEENSC_INSD_IbEEEENSA_11use_defaultESO_EENS0_5tupleIJSF_S6_EEENSQ_IJSG_SG_EEES6_PlJS6_EEE10hipError_tPvRmT3_T4_T5_T6_T7_T9_mT8_P12ihipStream_tbDpT10_ENKUlT_T0_E_clISt17integral_constantIbLb0EES1D_EEDaS18_S19_EUlS18_E_NS1_11comp_targetILNS1_3genE0ELNS1_11target_archE4294967295ELNS1_3gpuE0ELNS1_3repE0EEENS1_30default_config_static_selectorELNS0_4arch9wavefront6targetE0EEEvT1_,"axG",@progbits,_ZN7rocprim17ROCPRIM_400000_NS6detail17trampoline_kernelINS0_14default_configENS1_25partition_config_selectorILNS1_17partition_subalgoE5EjNS0_10empty_typeEbEEZZNS1_14partition_implILS5_5ELb0ES3_mN6thrust23THRUST_200600_302600_NS6detail15normal_iteratorINSA_10device_ptrIjEEEEPS6_NSA_18transform_iteratorINSB_9not_fun_tI7is_trueIjEEENSC_INSD_IbEEEENSA_11use_defaultESO_EENS0_5tupleIJSF_S6_EEENSQ_IJSG_SG_EEES6_PlJS6_EEE10hipError_tPvRmT3_T4_T5_T6_T7_T9_mT8_P12ihipStream_tbDpT10_ENKUlT_T0_E_clISt17integral_constantIbLb0EES1D_EEDaS18_S19_EUlS18_E_NS1_11comp_targetILNS1_3genE0ELNS1_11target_archE4294967295ELNS1_3gpuE0ELNS1_3repE0EEENS1_30default_config_static_selectorELNS0_4arch9wavefront6targetE0EEEvT1_,comdat
.Lfunc_end2429:
	.size	_ZN7rocprim17ROCPRIM_400000_NS6detail17trampoline_kernelINS0_14default_configENS1_25partition_config_selectorILNS1_17partition_subalgoE5EjNS0_10empty_typeEbEEZZNS1_14partition_implILS5_5ELb0ES3_mN6thrust23THRUST_200600_302600_NS6detail15normal_iteratorINSA_10device_ptrIjEEEEPS6_NSA_18transform_iteratorINSB_9not_fun_tI7is_trueIjEEENSC_INSD_IbEEEENSA_11use_defaultESO_EENS0_5tupleIJSF_S6_EEENSQ_IJSG_SG_EEES6_PlJS6_EEE10hipError_tPvRmT3_T4_T5_T6_T7_T9_mT8_P12ihipStream_tbDpT10_ENKUlT_T0_E_clISt17integral_constantIbLb0EES1D_EEDaS18_S19_EUlS18_E_NS1_11comp_targetILNS1_3genE0ELNS1_11target_archE4294967295ELNS1_3gpuE0ELNS1_3repE0EEENS1_30default_config_static_selectorELNS0_4arch9wavefront6targetE0EEEvT1_, .Lfunc_end2429-_ZN7rocprim17ROCPRIM_400000_NS6detail17trampoline_kernelINS0_14default_configENS1_25partition_config_selectorILNS1_17partition_subalgoE5EjNS0_10empty_typeEbEEZZNS1_14partition_implILS5_5ELb0ES3_mN6thrust23THRUST_200600_302600_NS6detail15normal_iteratorINSA_10device_ptrIjEEEEPS6_NSA_18transform_iteratorINSB_9not_fun_tI7is_trueIjEEENSC_INSD_IbEEEENSA_11use_defaultESO_EENS0_5tupleIJSF_S6_EEENSQ_IJSG_SG_EEES6_PlJS6_EEE10hipError_tPvRmT3_T4_T5_T6_T7_T9_mT8_P12ihipStream_tbDpT10_ENKUlT_T0_E_clISt17integral_constantIbLb0EES1D_EEDaS18_S19_EUlS18_E_NS1_11comp_targetILNS1_3genE0ELNS1_11target_archE4294967295ELNS1_3gpuE0ELNS1_3repE0EEENS1_30default_config_static_selectorELNS0_4arch9wavefront6targetE0EEEvT1_
                                        ; -- End function
	.set _ZN7rocprim17ROCPRIM_400000_NS6detail17trampoline_kernelINS0_14default_configENS1_25partition_config_selectorILNS1_17partition_subalgoE5EjNS0_10empty_typeEbEEZZNS1_14partition_implILS5_5ELb0ES3_mN6thrust23THRUST_200600_302600_NS6detail15normal_iteratorINSA_10device_ptrIjEEEEPS6_NSA_18transform_iteratorINSB_9not_fun_tI7is_trueIjEEENSC_INSD_IbEEEENSA_11use_defaultESO_EENS0_5tupleIJSF_S6_EEENSQ_IJSG_SG_EEES6_PlJS6_EEE10hipError_tPvRmT3_T4_T5_T6_T7_T9_mT8_P12ihipStream_tbDpT10_ENKUlT_T0_E_clISt17integral_constantIbLb0EES1D_EEDaS18_S19_EUlS18_E_NS1_11comp_targetILNS1_3genE0ELNS1_11target_archE4294967295ELNS1_3gpuE0ELNS1_3repE0EEENS1_30default_config_static_selectorELNS0_4arch9wavefront6targetE0EEEvT1_.num_vgpr, 0
	.set _ZN7rocprim17ROCPRIM_400000_NS6detail17trampoline_kernelINS0_14default_configENS1_25partition_config_selectorILNS1_17partition_subalgoE5EjNS0_10empty_typeEbEEZZNS1_14partition_implILS5_5ELb0ES3_mN6thrust23THRUST_200600_302600_NS6detail15normal_iteratorINSA_10device_ptrIjEEEEPS6_NSA_18transform_iteratorINSB_9not_fun_tI7is_trueIjEEENSC_INSD_IbEEEENSA_11use_defaultESO_EENS0_5tupleIJSF_S6_EEENSQ_IJSG_SG_EEES6_PlJS6_EEE10hipError_tPvRmT3_T4_T5_T6_T7_T9_mT8_P12ihipStream_tbDpT10_ENKUlT_T0_E_clISt17integral_constantIbLb0EES1D_EEDaS18_S19_EUlS18_E_NS1_11comp_targetILNS1_3genE0ELNS1_11target_archE4294967295ELNS1_3gpuE0ELNS1_3repE0EEENS1_30default_config_static_selectorELNS0_4arch9wavefront6targetE0EEEvT1_.num_agpr, 0
	.set _ZN7rocprim17ROCPRIM_400000_NS6detail17trampoline_kernelINS0_14default_configENS1_25partition_config_selectorILNS1_17partition_subalgoE5EjNS0_10empty_typeEbEEZZNS1_14partition_implILS5_5ELb0ES3_mN6thrust23THRUST_200600_302600_NS6detail15normal_iteratorINSA_10device_ptrIjEEEEPS6_NSA_18transform_iteratorINSB_9not_fun_tI7is_trueIjEEENSC_INSD_IbEEEENSA_11use_defaultESO_EENS0_5tupleIJSF_S6_EEENSQ_IJSG_SG_EEES6_PlJS6_EEE10hipError_tPvRmT3_T4_T5_T6_T7_T9_mT8_P12ihipStream_tbDpT10_ENKUlT_T0_E_clISt17integral_constantIbLb0EES1D_EEDaS18_S19_EUlS18_E_NS1_11comp_targetILNS1_3genE0ELNS1_11target_archE4294967295ELNS1_3gpuE0ELNS1_3repE0EEENS1_30default_config_static_selectorELNS0_4arch9wavefront6targetE0EEEvT1_.numbered_sgpr, 0
	.set _ZN7rocprim17ROCPRIM_400000_NS6detail17trampoline_kernelINS0_14default_configENS1_25partition_config_selectorILNS1_17partition_subalgoE5EjNS0_10empty_typeEbEEZZNS1_14partition_implILS5_5ELb0ES3_mN6thrust23THRUST_200600_302600_NS6detail15normal_iteratorINSA_10device_ptrIjEEEEPS6_NSA_18transform_iteratorINSB_9not_fun_tI7is_trueIjEEENSC_INSD_IbEEEENSA_11use_defaultESO_EENS0_5tupleIJSF_S6_EEENSQ_IJSG_SG_EEES6_PlJS6_EEE10hipError_tPvRmT3_T4_T5_T6_T7_T9_mT8_P12ihipStream_tbDpT10_ENKUlT_T0_E_clISt17integral_constantIbLb0EES1D_EEDaS18_S19_EUlS18_E_NS1_11comp_targetILNS1_3genE0ELNS1_11target_archE4294967295ELNS1_3gpuE0ELNS1_3repE0EEENS1_30default_config_static_selectorELNS0_4arch9wavefront6targetE0EEEvT1_.num_named_barrier, 0
	.set _ZN7rocprim17ROCPRIM_400000_NS6detail17trampoline_kernelINS0_14default_configENS1_25partition_config_selectorILNS1_17partition_subalgoE5EjNS0_10empty_typeEbEEZZNS1_14partition_implILS5_5ELb0ES3_mN6thrust23THRUST_200600_302600_NS6detail15normal_iteratorINSA_10device_ptrIjEEEEPS6_NSA_18transform_iteratorINSB_9not_fun_tI7is_trueIjEEENSC_INSD_IbEEEENSA_11use_defaultESO_EENS0_5tupleIJSF_S6_EEENSQ_IJSG_SG_EEES6_PlJS6_EEE10hipError_tPvRmT3_T4_T5_T6_T7_T9_mT8_P12ihipStream_tbDpT10_ENKUlT_T0_E_clISt17integral_constantIbLb0EES1D_EEDaS18_S19_EUlS18_E_NS1_11comp_targetILNS1_3genE0ELNS1_11target_archE4294967295ELNS1_3gpuE0ELNS1_3repE0EEENS1_30default_config_static_selectorELNS0_4arch9wavefront6targetE0EEEvT1_.private_seg_size, 0
	.set _ZN7rocprim17ROCPRIM_400000_NS6detail17trampoline_kernelINS0_14default_configENS1_25partition_config_selectorILNS1_17partition_subalgoE5EjNS0_10empty_typeEbEEZZNS1_14partition_implILS5_5ELb0ES3_mN6thrust23THRUST_200600_302600_NS6detail15normal_iteratorINSA_10device_ptrIjEEEEPS6_NSA_18transform_iteratorINSB_9not_fun_tI7is_trueIjEEENSC_INSD_IbEEEENSA_11use_defaultESO_EENS0_5tupleIJSF_S6_EEENSQ_IJSG_SG_EEES6_PlJS6_EEE10hipError_tPvRmT3_T4_T5_T6_T7_T9_mT8_P12ihipStream_tbDpT10_ENKUlT_T0_E_clISt17integral_constantIbLb0EES1D_EEDaS18_S19_EUlS18_E_NS1_11comp_targetILNS1_3genE0ELNS1_11target_archE4294967295ELNS1_3gpuE0ELNS1_3repE0EEENS1_30default_config_static_selectorELNS0_4arch9wavefront6targetE0EEEvT1_.uses_vcc, 0
	.set _ZN7rocprim17ROCPRIM_400000_NS6detail17trampoline_kernelINS0_14default_configENS1_25partition_config_selectorILNS1_17partition_subalgoE5EjNS0_10empty_typeEbEEZZNS1_14partition_implILS5_5ELb0ES3_mN6thrust23THRUST_200600_302600_NS6detail15normal_iteratorINSA_10device_ptrIjEEEEPS6_NSA_18transform_iteratorINSB_9not_fun_tI7is_trueIjEEENSC_INSD_IbEEEENSA_11use_defaultESO_EENS0_5tupleIJSF_S6_EEENSQ_IJSG_SG_EEES6_PlJS6_EEE10hipError_tPvRmT3_T4_T5_T6_T7_T9_mT8_P12ihipStream_tbDpT10_ENKUlT_T0_E_clISt17integral_constantIbLb0EES1D_EEDaS18_S19_EUlS18_E_NS1_11comp_targetILNS1_3genE0ELNS1_11target_archE4294967295ELNS1_3gpuE0ELNS1_3repE0EEENS1_30default_config_static_selectorELNS0_4arch9wavefront6targetE0EEEvT1_.uses_flat_scratch, 0
	.set _ZN7rocprim17ROCPRIM_400000_NS6detail17trampoline_kernelINS0_14default_configENS1_25partition_config_selectorILNS1_17partition_subalgoE5EjNS0_10empty_typeEbEEZZNS1_14partition_implILS5_5ELb0ES3_mN6thrust23THRUST_200600_302600_NS6detail15normal_iteratorINSA_10device_ptrIjEEEEPS6_NSA_18transform_iteratorINSB_9not_fun_tI7is_trueIjEEENSC_INSD_IbEEEENSA_11use_defaultESO_EENS0_5tupleIJSF_S6_EEENSQ_IJSG_SG_EEES6_PlJS6_EEE10hipError_tPvRmT3_T4_T5_T6_T7_T9_mT8_P12ihipStream_tbDpT10_ENKUlT_T0_E_clISt17integral_constantIbLb0EES1D_EEDaS18_S19_EUlS18_E_NS1_11comp_targetILNS1_3genE0ELNS1_11target_archE4294967295ELNS1_3gpuE0ELNS1_3repE0EEENS1_30default_config_static_selectorELNS0_4arch9wavefront6targetE0EEEvT1_.has_dyn_sized_stack, 0
	.set _ZN7rocprim17ROCPRIM_400000_NS6detail17trampoline_kernelINS0_14default_configENS1_25partition_config_selectorILNS1_17partition_subalgoE5EjNS0_10empty_typeEbEEZZNS1_14partition_implILS5_5ELb0ES3_mN6thrust23THRUST_200600_302600_NS6detail15normal_iteratorINSA_10device_ptrIjEEEEPS6_NSA_18transform_iteratorINSB_9not_fun_tI7is_trueIjEEENSC_INSD_IbEEEENSA_11use_defaultESO_EENS0_5tupleIJSF_S6_EEENSQ_IJSG_SG_EEES6_PlJS6_EEE10hipError_tPvRmT3_T4_T5_T6_T7_T9_mT8_P12ihipStream_tbDpT10_ENKUlT_T0_E_clISt17integral_constantIbLb0EES1D_EEDaS18_S19_EUlS18_E_NS1_11comp_targetILNS1_3genE0ELNS1_11target_archE4294967295ELNS1_3gpuE0ELNS1_3repE0EEENS1_30default_config_static_selectorELNS0_4arch9wavefront6targetE0EEEvT1_.has_recursion, 0
	.set _ZN7rocprim17ROCPRIM_400000_NS6detail17trampoline_kernelINS0_14default_configENS1_25partition_config_selectorILNS1_17partition_subalgoE5EjNS0_10empty_typeEbEEZZNS1_14partition_implILS5_5ELb0ES3_mN6thrust23THRUST_200600_302600_NS6detail15normal_iteratorINSA_10device_ptrIjEEEEPS6_NSA_18transform_iteratorINSB_9not_fun_tI7is_trueIjEEENSC_INSD_IbEEEENSA_11use_defaultESO_EENS0_5tupleIJSF_S6_EEENSQ_IJSG_SG_EEES6_PlJS6_EEE10hipError_tPvRmT3_T4_T5_T6_T7_T9_mT8_P12ihipStream_tbDpT10_ENKUlT_T0_E_clISt17integral_constantIbLb0EES1D_EEDaS18_S19_EUlS18_E_NS1_11comp_targetILNS1_3genE0ELNS1_11target_archE4294967295ELNS1_3gpuE0ELNS1_3repE0EEENS1_30default_config_static_selectorELNS0_4arch9wavefront6targetE0EEEvT1_.has_indirect_call, 0
	.section	.AMDGPU.csdata,"",@progbits
; Kernel info:
; codeLenInByte = 0
; TotalNumSgprs: 0
; NumVgprs: 0
; ScratchSize: 0
; MemoryBound: 0
; FloatMode: 240
; IeeeMode: 1
; LDSByteSize: 0 bytes/workgroup (compile time only)
; SGPRBlocks: 0
; VGPRBlocks: 0
; NumSGPRsForWavesPerEU: 1
; NumVGPRsForWavesPerEU: 1
; Occupancy: 16
; WaveLimiterHint : 0
; COMPUTE_PGM_RSRC2:SCRATCH_EN: 0
; COMPUTE_PGM_RSRC2:USER_SGPR: 2
; COMPUTE_PGM_RSRC2:TRAP_HANDLER: 0
; COMPUTE_PGM_RSRC2:TGID_X_EN: 1
; COMPUTE_PGM_RSRC2:TGID_Y_EN: 0
; COMPUTE_PGM_RSRC2:TGID_Z_EN: 0
; COMPUTE_PGM_RSRC2:TIDIG_COMP_CNT: 0
	.section	.text._ZN7rocprim17ROCPRIM_400000_NS6detail17trampoline_kernelINS0_14default_configENS1_25partition_config_selectorILNS1_17partition_subalgoE5EjNS0_10empty_typeEbEEZZNS1_14partition_implILS5_5ELb0ES3_mN6thrust23THRUST_200600_302600_NS6detail15normal_iteratorINSA_10device_ptrIjEEEEPS6_NSA_18transform_iteratorINSB_9not_fun_tI7is_trueIjEEENSC_INSD_IbEEEENSA_11use_defaultESO_EENS0_5tupleIJSF_S6_EEENSQ_IJSG_SG_EEES6_PlJS6_EEE10hipError_tPvRmT3_T4_T5_T6_T7_T9_mT8_P12ihipStream_tbDpT10_ENKUlT_T0_E_clISt17integral_constantIbLb0EES1D_EEDaS18_S19_EUlS18_E_NS1_11comp_targetILNS1_3genE5ELNS1_11target_archE942ELNS1_3gpuE9ELNS1_3repE0EEENS1_30default_config_static_selectorELNS0_4arch9wavefront6targetE0EEEvT1_,"axG",@progbits,_ZN7rocprim17ROCPRIM_400000_NS6detail17trampoline_kernelINS0_14default_configENS1_25partition_config_selectorILNS1_17partition_subalgoE5EjNS0_10empty_typeEbEEZZNS1_14partition_implILS5_5ELb0ES3_mN6thrust23THRUST_200600_302600_NS6detail15normal_iteratorINSA_10device_ptrIjEEEEPS6_NSA_18transform_iteratorINSB_9not_fun_tI7is_trueIjEEENSC_INSD_IbEEEENSA_11use_defaultESO_EENS0_5tupleIJSF_S6_EEENSQ_IJSG_SG_EEES6_PlJS6_EEE10hipError_tPvRmT3_T4_T5_T6_T7_T9_mT8_P12ihipStream_tbDpT10_ENKUlT_T0_E_clISt17integral_constantIbLb0EES1D_EEDaS18_S19_EUlS18_E_NS1_11comp_targetILNS1_3genE5ELNS1_11target_archE942ELNS1_3gpuE9ELNS1_3repE0EEENS1_30default_config_static_selectorELNS0_4arch9wavefront6targetE0EEEvT1_,comdat
	.protected	_ZN7rocprim17ROCPRIM_400000_NS6detail17trampoline_kernelINS0_14default_configENS1_25partition_config_selectorILNS1_17partition_subalgoE5EjNS0_10empty_typeEbEEZZNS1_14partition_implILS5_5ELb0ES3_mN6thrust23THRUST_200600_302600_NS6detail15normal_iteratorINSA_10device_ptrIjEEEEPS6_NSA_18transform_iteratorINSB_9not_fun_tI7is_trueIjEEENSC_INSD_IbEEEENSA_11use_defaultESO_EENS0_5tupleIJSF_S6_EEENSQ_IJSG_SG_EEES6_PlJS6_EEE10hipError_tPvRmT3_T4_T5_T6_T7_T9_mT8_P12ihipStream_tbDpT10_ENKUlT_T0_E_clISt17integral_constantIbLb0EES1D_EEDaS18_S19_EUlS18_E_NS1_11comp_targetILNS1_3genE5ELNS1_11target_archE942ELNS1_3gpuE9ELNS1_3repE0EEENS1_30default_config_static_selectorELNS0_4arch9wavefront6targetE0EEEvT1_ ; -- Begin function _ZN7rocprim17ROCPRIM_400000_NS6detail17trampoline_kernelINS0_14default_configENS1_25partition_config_selectorILNS1_17partition_subalgoE5EjNS0_10empty_typeEbEEZZNS1_14partition_implILS5_5ELb0ES3_mN6thrust23THRUST_200600_302600_NS6detail15normal_iteratorINSA_10device_ptrIjEEEEPS6_NSA_18transform_iteratorINSB_9not_fun_tI7is_trueIjEEENSC_INSD_IbEEEENSA_11use_defaultESO_EENS0_5tupleIJSF_S6_EEENSQ_IJSG_SG_EEES6_PlJS6_EEE10hipError_tPvRmT3_T4_T5_T6_T7_T9_mT8_P12ihipStream_tbDpT10_ENKUlT_T0_E_clISt17integral_constantIbLb0EES1D_EEDaS18_S19_EUlS18_E_NS1_11comp_targetILNS1_3genE5ELNS1_11target_archE942ELNS1_3gpuE9ELNS1_3repE0EEENS1_30default_config_static_selectorELNS0_4arch9wavefront6targetE0EEEvT1_
	.globl	_ZN7rocprim17ROCPRIM_400000_NS6detail17trampoline_kernelINS0_14default_configENS1_25partition_config_selectorILNS1_17partition_subalgoE5EjNS0_10empty_typeEbEEZZNS1_14partition_implILS5_5ELb0ES3_mN6thrust23THRUST_200600_302600_NS6detail15normal_iteratorINSA_10device_ptrIjEEEEPS6_NSA_18transform_iteratorINSB_9not_fun_tI7is_trueIjEEENSC_INSD_IbEEEENSA_11use_defaultESO_EENS0_5tupleIJSF_S6_EEENSQ_IJSG_SG_EEES6_PlJS6_EEE10hipError_tPvRmT3_T4_T5_T6_T7_T9_mT8_P12ihipStream_tbDpT10_ENKUlT_T0_E_clISt17integral_constantIbLb0EES1D_EEDaS18_S19_EUlS18_E_NS1_11comp_targetILNS1_3genE5ELNS1_11target_archE942ELNS1_3gpuE9ELNS1_3repE0EEENS1_30default_config_static_selectorELNS0_4arch9wavefront6targetE0EEEvT1_
	.p2align	8
	.type	_ZN7rocprim17ROCPRIM_400000_NS6detail17trampoline_kernelINS0_14default_configENS1_25partition_config_selectorILNS1_17partition_subalgoE5EjNS0_10empty_typeEbEEZZNS1_14partition_implILS5_5ELb0ES3_mN6thrust23THRUST_200600_302600_NS6detail15normal_iteratorINSA_10device_ptrIjEEEEPS6_NSA_18transform_iteratorINSB_9not_fun_tI7is_trueIjEEENSC_INSD_IbEEEENSA_11use_defaultESO_EENS0_5tupleIJSF_S6_EEENSQ_IJSG_SG_EEES6_PlJS6_EEE10hipError_tPvRmT3_T4_T5_T6_T7_T9_mT8_P12ihipStream_tbDpT10_ENKUlT_T0_E_clISt17integral_constantIbLb0EES1D_EEDaS18_S19_EUlS18_E_NS1_11comp_targetILNS1_3genE5ELNS1_11target_archE942ELNS1_3gpuE9ELNS1_3repE0EEENS1_30default_config_static_selectorELNS0_4arch9wavefront6targetE0EEEvT1_,@function
_ZN7rocprim17ROCPRIM_400000_NS6detail17trampoline_kernelINS0_14default_configENS1_25partition_config_selectorILNS1_17partition_subalgoE5EjNS0_10empty_typeEbEEZZNS1_14partition_implILS5_5ELb0ES3_mN6thrust23THRUST_200600_302600_NS6detail15normal_iteratorINSA_10device_ptrIjEEEEPS6_NSA_18transform_iteratorINSB_9not_fun_tI7is_trueIjEEENSC_INSD_IbEEEENSA_11use_defaultESO_EENS0_5tupleIJSF_S6_EEENSQ_IJSG_SG_EEES6_PlJS6_EEE10hipError_tPvRmT3_T4_T5_T6_T7_T9_mT8_P12ihipStream_tbDpT10_ENKUlT_T0_E_clISt17integral_constantIbLb0EES1D_EEDaS18_S19_EUlS18_E_NS1_11comp_targetILNS1_3genE5ELNS1_11target_archE942ELNS1_3gpuE9ELNS1_3repE0EEENS1_30default_config_static_selectorELNS0_4arch9wavefront6targetE0EEEvT1_: ; @_ZN7rocprim17ROCPRIM_400000_NS6detail17trampoline_kernelINS0_14default_configENS1_25partition_config_selectorILNS1_17partition_subalgoE5EjNS0_10empty_typeEbEEZZNS1_14partition_implILS5_5ELb0ES3_mN6thrust23THRUST_200600_302600_NS6detail15normal_iteratorINSA_10device_ptrIjEEEEPS6_NSA_18transform_iteratorINSB_9not_fun_tI7is_trueIjEEENSC_INSD_IbEEEENSA_11use_defaultESO_EENS0_5tupleIJSF_S6_EEENSQ_IJSG_SG_EEES6_PlJS6_EEE10hipError_tPvRmT3_T4_T5_T6_T7_T9_mT8_P12ihipStream_tbDpT10_ENKUlT_T0_E_clISt17integral_constantIbLb0EES1D_EEDaS18_S19_EUlS18_E_NS1_11comp_targetILNS1_3genE5ELNS1_11target_archE942ELNS1_3gpuE9ELNS1_3repE0EEENS1_30default_config_static_selectorELNS0_4arch9wavefront6targetE0EEEvT1_
; %bb.0:
	.section	.rodata,"a",@progbits
	.p2align	6, 0x0
	.amdhsa_kernel _ZN7rocprim17ROCPRIM_400000_NS6detail17trampoline_kernelINS0_14default_configENS1_25partition_config_selectorILNS1_17partition_subalgoE5EjNS0_10empty_typeEbEEZZNS1_14partition_implILS5_5ELb0ES3_mN6thrust23THRUST_200600_302600_NS6detail15normal_iteratorINSA_10device_ptrIjEEEEPS6_NSA_18transform_iteratorINSB_9not_fun_tI7is_trueIjEEENSC_INSD_IbEEEENSA_11use_defaultESO_EENS0_5tupleIJSF_S6_EEENSQ_IJSG_SG_EEES6_PlJS6_EEE10hipError_tPvRmT3_T4_T5_T6_T7_T9_mT8_P12ihipStream_tbDpT10_ENKUlT_T0_E_clISt17integral_constantIbLb0EES1D_EEDaS18_S19_EUlS18_E_NS1_11comp_targetILNS1_3genE5ELNS1_11target_archE942ELNS1_3gpuE9ELNS1_3repE0EEENS1_30default_config_static_selectorELNS0_4arch9wavefront6targetE0EEEvT1_
		.amdhsa_group_segment_fixed_size 0
		.amdhsa_private_segment_fixed_size 0
		.amdhsa_kernarg_size 120
		.amdhsa_user_sgpr_count 2
		.amdhsa_user_sgpr_dispatch_ptr 0
		.amdhsa_user_sgpr_queue_ptr 0
		.amdhsa_user_sgpr_kernarg_segment_ptr 1
		.amdhsa_user_sgpr_dispatch_id 0
		.amdhsa_user_sgpr_private_segment_size 0
		.amdhsa_wavefront_size32 1
		.amdhsa_uses_dynamic_stack 0
		.amdhsa_enable_private_segment 0
		.amdhsa_system_sgpr_workgroup_id_x 1
		.amdhsa_system_sgpr_workgroup_id_y 0
		.amdhsa_system_sgpr_workgroup_id_z 0
		.amdhsa_system_sgpr_workgroup_info 0
		.amdhsa_system_vgpr_workitem_id 0
		.amdhsa_next_free_vgpr 1
		.amdhsa_next_free_sgpr 1
		.amdhsa_reserve_vcc 0
		.amdhsa_float_round_mode_32 0
		.amdhsa_float_round_mode_16_64 0
		.amdhsa_float_denorm_mode_32 3
		.amdhsa_float_denorm_mode_16_64 3
		.amdhsa_fp16_overflow 0
		.amdhsa_workgroup_processor_mode 1
		.amdhsa_memory_ordered 1
		.amdhsa_forward_progress 1
		.amdhsa_inst_pref_size 0
		.amdhsa_round_robin_scheduling 0
		.amdhsa_exception_fp_ieee_invalid_op 0
		.amdhsa_exception_fp_denorm_src 0
		.amdhsa_exception_fp_ieee_div_zero 0
		.amdhsa_exception_fp_ieee_overflow 0
		.amdhsa_exception_fp_ieee_underflow 0
		.amdhsa_exception_fp_ieee_inexact 0
		.amdhsa_exception_int_div_zero 0
	.end_amdhsa_kernel
	.section	.text._ZN7rocprim17ROCPRIM_400000_NS6detail17trampoline_kernelINS0_14default_configENS1_25partition_config_selectorILNS1_17partition_subalgoE5EjNS0_10empty_typeEbEEZZNS1_14partition_implILS5_5ELb0ES3_mN6thrust23THRUST_200600_302600_NS6detail15normal_iteratorINSA_10device_ptrIjEEEEPS6_NSA_18transform_iteratorINSB_9not_fun_tI7is_trueIjEEENSC_INSD_IbEEEENSA_11use_defaultESO_EENS0_5tupleIJSF_S6_EEENSQ_IJSG_SG_EEES6_PlJS6_EEE10hipError_tPvRmT3_T4_T5_T6_T7_T9_mT8_P12ihipStream_tbDpT10_ENKUlT_T0_E_clISt17integral_constantIbLb0EES1D_EEDaS18_S19_EUlS18_E_NS1_11comp_targetILNS1_3genE5ELNS1_11target_archE942ELNS1_3gpuE9ELNS1_3repE0EEENS1_30default_config_static_selectorELNS0_4arch9wavefront6targetE0EEEvT1_,"axG",@progbits,_ZN7rocprim17ROCPRIM_400000_NS6detail17trampoline_kernelINS0_14default_configENS1_25partition_config_selectorILNS1_17partition_subalgoE5EjNS0_10empty_typeEbEEZZNS1_14partition_implILS5_5ELb0ES3_mN6thrust23THRUST_200600_302600_NS6detail15normal_iteratorINSA_10device_ptrIjEEEEPS6_NSA_18transform_iteratorINSB_9not_fun_tI7is_trueIjEEENSC_INSD_IbEEEENSA_11use_defaultESO_EENS0_5tupleIJSF_S6_EEENSQ_IJSG_SG_EEES6_PlJS6_EEE10hipError_tPvRmT3_T4_T5_T6_T7_T9_mT8_P12ihipStream_tbDpT10_ENKUlT_T0_E_clISt17integral_constantIbLb0EES1D_EEDaS18_S19_EUlS18_E_NS1_11comp_targetILNS1_3genE5ELNS1_11target_archE942ELNS1_3gpuE9ELNS1_3repE0EEENS1_30default_config_static_selectorELNS0_4arch9wavefront6targetE0EEEvT1_,comdat
.Lfunc_end2430:
	.size	_ZN7rocprim17ROCPRIM_400000_NS6detail17trampoline_kernelINS0_14default_configENS1_25partition_config_selectorILNS1_17partition_subalgoE5EjNS0_10empty_typeEbEEZZNS1_14partition_implILS5_5ELb0ES3_mN6thrust23THRUST_200600_302600_NS6detail15normal_iteratorINSA_10device_ptrIjEEEEPS6_NSA_18transform_iteratorINSB_9not_fun_tI7is_trueIjEEENSC_INSD_IbEEEENSA_11use_defaultESO_EENS0_5tupleIJSF_S6_EEENSQ_IJSG_SG_EEES6_PlJS6_EEE10hipError_tPvRmT3_T4_T5_T6_T7_T9_mT8_P12ihipStream_tbDpT10_ENKUlT_T0_E_clISt17integral_constantIbLb0EES1D_EEDaS18_S19_EUlS18_E_NS1_11comp_targetILNS1_3genE5ELNS1_11target_archE942ELNS1_3gpuE9ELNS1_3repE0EEENS1_30default_config_static_selectorELNS0_4arch9wavefront6targetE0EEEvT1_, .Lfunc_end2430-_ZN7rocprim17ROCPRIM_400000_NS6detail17trampoline_kernelINS0_14default_configENS1_25partition_config_selectorILNS1_17partition_subalgoE5EjNS0_10empty_typeEbEEZZNS1_14partition_implILS5_5ELb0ES3_mN6thrust23THRUST_200600_302600_NS6detail15normal_iteratorINSA_10device_ptrIjEEEEPS6_NSA_18transform_iteratorINSB_9not_fun_tI7is_trueIjEEENSC_INSD_IbEEEENSA_11use_defaultESO_EENS0_5tupleIJSF_S6_EEENSQ_IJSG_SG_EEES6_PlJS6_EEE10hipError_tPvRmT3_T4_T5_T6_T7_T9_mT8_P12ihipStream_tbDpT10_ENKUlT_T0_E_clISt17integral_constantIbLb0EES1D_EEDaS18_S19_EUlS18_E_NS1_11comp_targetILNS1_3genE5ELNS1_11target_archE942ELNS1_3gpuE9ELNS1_3repE0EEENS1_30default_config_static_selectorELNS0_4arch9wavefront6targetE0EEEvT1_
                                        ; -- End function
	.set _ZN7rocprim17ROCPRIM_400000_NS6detail17trampoline_kernelINS0_14default_configENS1_25partition_config_selectorILNS1_17partition_subalgoE5EjNS0_10empty_typeEbEEZZNS1_14partition_implILS5_5ELb0ES3_mN6thrust23THRUST_200600_302600_NS6detail15normal_iteratorINSA_10device_ptrIjEEEEPS6_NSA_18transform_iteratorINSB_9not_fun_tI7is_trueIjEEENSC_INSD_IbEEEENSA_11use_defaultESO_EENS0_5tupleIJSF_S6_EEENSQ_IJSG_SG_EEES6_PlJS6_EEE10hipError_tPvRmT3_T4_T5_T6_T7_T9_mT8_P12ihipStream_tbDpT10_ENKUlT_T0_E_clISt17integral_constantIbLb0EES1D_EEDaS18_S19_EUlS18_E_NS1_11comp_targetILNS1_3genE5ELNS1_11target_archE942ELNS1_3gpuE9ELNS1_3repE0EEENS1_30default_config_static_selectorELNS0_4arch9wavefront6targetE0EEEvT1_.num_vgpr, 0
	.set _ZN7rocprim17ROCPRIM_400000_NS6detail17trampoline_kernelINS0_14default_configENS1_25partition_config_selectorILNS1_17partition_subalgoE5EjNS0_10empty_typeEbEEZZNS1_14partition_implILS5_5ELb0ES3_mN6thrust23THRUST_200600_302600_NS6detail15normal_iteratorINSA_10device_ptrIjEEEEPS6_NSA_18transform_iteratorINSB_9not_fun_tI7is_trueIjEEENSC_INSD_IbEEEENSA_11use_defaultESO_EENS0_5tupleIJSF_S6_EEENSQ_IJSG_SG_EEES6_PlJS6_EEE10hipError_tPvRmT3_T4_T5_T6_T7_T9_mT8_P12ihipStream_tbDpT10_ENKUlT_T0_E_clISt17integral_constantIbLb0EES1D_EEDaS18_S19_EUlS18_E_NS1_11comp_targetILNS1_3genE5ELNS1_11target_archE942ELNS1_3gpuE9ELNS1_3repE0EEENS1_30default_config_static_selectorELNS0_4arch9wavefront6targetE0EEEvT1_.num_agpr, 0
	.set _ZN7rocprim17ROCPRIM_400000_NS6detail17trampoline_kernelINS0_14default_configENS1_25partition_config_selectorILNS1_17partition_subalgoE5EjNS0_10empty_typeEbEEZZNS1_14partition_implILS5_5ELb0ES3_mN6thrust23THRUST_200600_302600_NS6detail15normal_iteratorINSA_10device_ptrIjEEEEPS6_NSA_18transform_iteratorINSB_9not_fun_tI7is_trueIjEEENSC_INSD_IbEEEENSA_11use_defaultESO_EENS0_5tupleIJSF_S6_EEENSQ_IJSG_SG_EEES6_PlJS6_EEE10hipError_tPvRmT3_T4_T5_T6_T7_T9_mT8_P12ihipStream_tbDpT10_ENKUlT_T0_E_clISt17integral_constantIbLb0EES1D_EEDaS18_S19_EUlS18_E_NS1_11comp_targetILNS1_3genE5ELNS1_11target_archE942ELNS1_3gpuE9ELNS1_3repE0EEENS1_30default_config_static_selectorELNS0_4arch9wavefront6targetE0EEEvT1_.numbered_sgpr, 0
	.set _ZN7rocprim17ROCPRIM_400000_NS6detail17trampoline_kernelINS0_14default_configENS1_25partition_config_selectorILNS1_17partition_subalgoE5EjNS0_10empty_typeEbEEZZNS1_14partition_implILS5_5ELb0ES3_mN6thrust23THRUST_200600_302600_NS6detail15normal_iteratorINSA_10device_ptrIjEEEEPS6_NSA_18transform_iteratorINSB_9not_fun_tI7is_trueIjEEENSC_INSD_IbEEEENSA_11use_defaultESO_EENS0_5tupleIJSF_S6_EEENSQ_IJSG_SG_EEES6_PlJS6_EEE10hipError_tPvRmT3_T4_T5_T6_T7_T9_mT8_P12ihipStream_tbDpT10_ENKUlT_T0_E_clISt17integral_constantIbLb0EES1D_EEDaS18_S19_EUlS18_E_NS1_11comp_targetILNS1_3genE5ELNS1_11target_archE942ELNS1_3gpuE9ELNS1_3repE0EEENS1_30default_config_static_selectorELNS0_4arch9wavefront6targetE0EEEvT1_.num_named_barrier, 0
	.set _ZN7rocprim17ROCPRIM_400000_NS6detail17trampoline_kernelINS0_14default_configENS1_25partition_config_selectorILNS1_17partition_subalgoE5EjNS0_10empty_typeEbEEZZNS1_14partition_implILS5_5ELb0ES3_mN6thrust23THRUST_200600_302600_NS6detail15normal_iteratorINSA_10device_ptrIjEEEEPS6_NSA_18transform_iteratorINSB_9not_fun_tI7is_trueIjEEENSC_INSD_IbEEEENSA_11use_defaultESO_EENS0_5tupleIJSF_S6_EEENSQ_IJSG_SG_EEES6_PlJS6_EEE10hipError_tPvRmT3_T4_T5_T6_T7_T9_mT8_P12ihipStream_tbDpT10_ENKUlT_T0_E_clISt17integral_constantIbLb0EES1D_EEDaS18_S19_EUlS18_E_NS1_11comp_targetILNS1_3genE5ELNS1_11target_archE942ELNS1_3gpuE9ELNS1_3repE0EEENS1_30default_config_static_selectorELNS0_4arch9wavefront6targetE0EEEvT1_.private_seg_size, 0
	.set _ZN7rocprim17ROCPRIM_400000_NS6detail17trampoline_kernelINS0_14default_configENS1_25partition_config_selectorILNS1_17partition_subalgoE5EjNS0_10empty_typeEbEEZZNS1_14partition_implILS5_5ELb0ES3_mN6thrust23THRUST_200600_302600_NS6detail15normal_iteratorINSA_10device_ptrIjEEEEPS6_NSA_18transform_iteratorINSB_9not_fun_tI7is_trueIjEEENSC_INSD_IbEEEENSA_11use_defaultESO_EENS0_5tupleIJSF_S6_EEENSQ_IJSG_SG_EEES6_PlJS6_EEE10hipError_tPvRmT3_T4_T5_T6_T7_T9_mT8_P12ihipStream_tbDpT10_ENKUlT_T0_E_clISt17integral_constantIbLb0EES1D_EEDaS18_S19_EUlS18_E_NS1_11comp_targetILNS1_3genE5ELNS1_11target_archE942ELNS1_3gpuE9ELNS1_3repE0EEENS1_30default_config_static_selectorELNS0_4arch9wavefront6targetE0EEEvT1_.uses_vcc, 0
	.set _ZN7rocprim17ROCPRIM_400000_NS6detail17trampoline_kernelINS0_14default_configENS1_25partition_config_selectorILNS1_17partition_subalgoE5EjNS0_10empty_typeEbEEZZNS1_14partition_implILS5_5ELb0ES3_mN6thrust23THRUST_200600_302600_NS6detail15normal_iteratorINSA_10device_ptrIjEEEEPS6_NSA_18transform_iteratorINSB_9not_fun_tI7is_trueIjEEENSC_INSD_IbEEEENSA_11use_defaultESO_EENS0_5tupleIJSF_S6_EEENSQ_IJSG_SG_EEES6_PlJS6_EEE10hipError_tPvRmT3_T4_T5_T6_T7_T9_mT8_P12ihipStream_tbDpT10_ENKUlT_T0_E_clISt17integral_constantIbLb0EES1D_EEDaS18_S19_EUlS18_E_NS1_11comp_targetILNS1_3genE5ELNS1_11target_archE942ELNS1_3gpuE9ELNS1_3repE0EEENS1_30default_config_static_selectorELNS0_4arch9wavefront6targetE0EEEvT1_.uses_flat_scratch, 0
	.set _ZN7rocprim17ROCPRIM_400000_NS6detail17trampoline_kernelINS0_14default_configENS1_25partition_config_selectorILNS1_17partition_subalgoE5EjNS0_10empty_typeEbEEZZNS1_14partition_implILS5_5ELb0ES3_mN6thrust23THRUST_200600_302600_NS6detail15normal_iteratorINSA_10device_ptrIjEEEEPS6_NSA_18transform_iteratorINSB_9not_fun_tI7is_trueIjEEENSC_INSD_IbEEEENSA_11use_defaultESO_EENS0_5tupleIJSF_S6_EEENSQ_IJSG_SG_EEES6_PlJS6_EEE10hipError_tPvRmT3_T4_T5_T6_T7_T9_mT8_P12ihipStream_tbDpT10_ENKUlT_T0_E_clISt17integral_constantIbLb0EES1D_EEDaS18_S19_EUlS18_E_NS1_11comp_targetILNS1_3genE5ELNS1_11target_archE942ELNS1_3gpuE9ELNS1_3repE0EEENS1_30default_config_static_selectorELNS0_4arch9wavefront6targetE0EEEvT1_.has_dyn_sized_stack, 0
	.set _ZN7rocprim17ROCPRIM_400000_NS6detail17trampoline_kernelINS0_14default_configENS1_25partition_config_selectorILNS1_17partition_subalgoE5EjNS0_10empty_typeEbEEZZNS1_14partition_implILS5_5ELb0ES3_mN6thrust23THRUST_200600_302600_NS6detail15normal_iteratorINSA_10device_ptrIjEEEEPS6_NSA_18transform_iteratorINSB_9not_fun_tI7is_trueIjEEENSC_INSD_IbEEEENSA_11use_defaultESO_EENS0_5tupleIJSF_S6_EEENSQ_IJSG_SG_EEES6_PlJS6_EEE10hipError_tPvRmT3_T4_T5_T6_T7_T9_mT8_P12ihipStream_tbDpT10_ENKUlT_T0_E_clISt17integral_constantIbLb0EES1D_EEDaS18_S19_EUlS18_E_NS1_11comp_targetILNS1_3genE5ELNS1_11target_archE942ELNS1_3gpuE9ELNS1_3repE0EEENS1_30default_config_static_selectorELNS0_4arch9wavefront6targetE0EEEvT1_.has_recursion, 0
	.set _ZN7rocprim17ROCPRIM_400000_NS6detail17trampoline_kernelINS0_14default_configENS1_25partition_config_selectorILNS1_17partition_subalgoE5EjNS0_10empty_typeEbEEZZNS1_14partition_implILS5_5ELb0ES3_mN6thrust23THRUST_200600_302600_NS6detail15normal_iteratorINSA_10device_ptrIjEEEEPS6_NSA_18transform_iteratorINSB_9not_fun_tI7is_trueIjEEENSC_INSD_IbEEEENSA_11use_defaultESO_EENS0_5tupleIJSF_S6_EEENSQ_IJSG_SG_EEES6_PlJS6_EEE10hipError_tPvRmT3_T4_T5_T6_T7_T9_mT8_P12ihipStream_tbDpT10_ENKUlT_T0_E_clISt17integral_constantIbLb0EES1D_EEDaS18_S19_EUlS18_E_NS1_11comp_targetILNS1_3genE5ELNS1_11target_archE942ELNS1_3gpuE9ELNS1_3repE0EEENS1_30default_config_static_selectorELNS0_4arch9wavefront6targetE0EEEvT1_.has_indirect_call, 0
	.section	.AMDGPU.csdata,"",@progbits
; Kernel info:
; codeLenInByte = 0
; TotalNumSgprs: 0
; NumVgprs: 0
; ScratchSize: 0
; MemoryBound: 0
; FloatMode: 240
; IeeeMode: 1
; LDSByteSize: 0 bytes/workgroup (compile time only)
; SGPRBlocks: 0
; VGPRBlocks: 0
; NumSGPRsForWavesPerEU: 1
; NumVGPRsForWavesPerEU: 1
; Occupancy: 16
; WaveLimiterHint : 0
; COMPUTE_PGM_RSRC2:SCRATCH_EN: 0
; COMPUTE_PGM_RSRC2:USER_SGPR: 2
; COMPUTE_PGM_RSRC2:TRAP_HANDLER: 0
; COMPUTE_PGM_RSRC2:TGID_X_EN: 1
; COMPUTE_PGM_RSRC2:TGID_Y_EN: 0
; COMPUTE_PGM_RSRC2:TGID_Z_EN: 0
; COMPUTE_PGM_RSRC2:TIDIG_COMP_CNT: 0
	.section	.text._ZN7rocprim17ROCPRIM_400000_NS6detail17trampoline_kernelINS0_14default_configENS1_25partition_config_selectorILNS1_17partition_subalgoE5EjNS0_10empty_typeEbEEZZNS1_14partition_implILS5_5ELb0ES3_mN6thrust23THRUST_200600_302600_NS6detail15normal_iteratorINSA_10device_ptrIjEEEEPS6_NSA_18transform_iteratorINSB_9not_fun_tI7is_trueIjEEENSC_INSD_IbEEEENSA_11use_defaultESO_EENS0_5tupleIJSF_S6_EEENSQ_IJSG_SG_EEES6_PlJS6_EEE10hipError_tPvRmT3_T4_T5_T6_T7_T9_mT8_P12ihipStream_tbDpT10_ENKUlT_T0_E_clISt17integral_constantIbLb0EES1D_EEDaS18_S19_EUlS18_E_NS1_11comp_targetILNS1_3genE4ELNS1_11target_archE910ELNS1_3gpuE8ELNS1_3repE0EEENS1_30default_config_static_selectorELNS0_4arch9wavefront6targetE0EEEvT1_,"axG",@progbits,_ZN7rocprim17ROCPRIM_400000_NS6detail17trampoline_kernelINS0_14default_configENS1_25partition_config_selectorILNS1_17partition_subalgoE5EjNS0_10empty_typeEbEEZZNS1_14partition_implILS5_5ELb0ES3_mN6thrust23THRUST_200600_302600_NS6detail15normal_iteratorINSA_10device_ptrIjEEEEPS6_NSA_18transform_iteratorINSB_9not_fun_tI7is_trueIjEEENSC_INSD_IbEEEENSA_11use_defaultESO_EENS0_5tupleIJSF_S6_EEENSQ_IJSG_SG_EEES6_PlJS6_EEE10hipError_tPvRmT3_T4_T5_T6_T7_T9_mT8_P12ihipStream_tbDpT10_ENKUlT_T0_E_clISt17integral_constantIbLb0EES1D_EEDaS18_S19_EUlS18_E_NS1_11comp_targetILNS1_3genE4ELNS1_11target_archE910ELNS1_3gpuE8ELNS1_3repE0EEENS1_30default_config_static_selectorELNS0_4arch9wavefront6targetE0EEEvT1_,comdat
	.protected	_ZN7rocprim17ROCPRIM_400000_NS6detail17trampoline_kernelINS0_14default_configENS1_25partition_config_selectorILNS1_17partition_subalgoE5EjNS0_10empty_typeEbEEZZNS1_14partition_implILS5_5ELb0ES3_mN6thrust23THRUST_200600_302600_NS6detail15normal_iteratorINSA_10device_ptrIjEEEEPS6_NSA_18transform_iteratorINSB_9not_fun_tI7is_trueIjEEENSC_INSD_IbEEEENSA_11use_defaultESO_EENS0_5tupleIJSF_S6_EEENSQ_IJSG_SG_EEES6_PlJS6_EEE10hipError_tPvRmT3_T4_T5_T6_T7_T9_mT8_P12ihipStream_tbDpT10_ENKUlT_T0_E_clISt17integral_constantIbLb0EES1D_EEDaS18_S19_EUlS18_E_NS1_11comp_targetILNS1_3genE4ELNS1_11target_archE910ELNS1_3gpuE8ELNS1_3repE0EEENS1_30default_config_static_selectorELNS0_4arch9wavefront6targetE0EEEvT1_ ; -- Begin function _ZN7rocprim17ROCPRIM_400000_NS6detail17trampoline_kernelINS0_14default_configENS1_25partition_config_selectorILNS1_17partition_subalgoE5EjNS0_10empty_typeEbEEZZNS1_14partition_implILS5_5ELb0ES3_mN6thrust23THRUST_200600_302600_NS6detail15normal_iteratorINSA_10device_ptrIjEEEEPS6_NSA_18transform_iteratorINSB_9not_fun_tI7is_trueIjEEENSC_INSD_IbEEEENSA_11use_defaultESO_EENS0_5tupleIJSF_S6_EEENSQ_IJSG_SG_EEES6_PlJS6_EEE10hipError_tPvRmT3_T4_T5_T6_T7_T9_mT8_P12ihipStream_tbDpT10_ENKUlT_T0_E_clISt17integral_constantIbLb0EES1D_EEDaS18_S19_EUlS18_E_NS1_11comp_targetILNS1_3genE4ELNS1_11target_archE910ELNS1_3gpuE8ELNS1_3repE0EEENS1_30default_config_static_selectorELNS0_4arch9wavefront6targetE0EEEvT1_
	.globl	_ZN7rocprim17ROCPRIM_400000_NS6detail17trampoline_kernelINS0_14default_configENS1_25partition_config_selectorILNS1_17partition_subalgoE5EjNS0_10empty_typeEbEEZZNS1_14partition_implILS5_5ELb0ES3_mN6thrust23THRUST_200600_302600_NS6detail15normal_iteratorINSA_10device_ptrIjEEEEPS6_NSA_18transform_iteratorINSB_9not_fun_tI7is_trueIjEEENSC_INSD_IbEEEENSA_11use_defaultESO_EENS0_5tupleIJSF_S6_EEENSQ_IJSG_SG_EEES6_PlJS6_EEE10hipError_tPvRmT3_T4_T5_T6_T7_T9_mT8_P12ihipStream_tbDpT10_ENKUlT_T0_E_clISt17integral_constantIbLb0EES1D_EEDaS18_S19_EUlS18_E_NS1_11comp_targetILNS1_3genE4ELNS1_11target_archE910ELNS1_3gpuE8ELNS1_3repE0EEENS1_30default_config_static_selectorELNS0_4arch9wavefront6targetE0EEEvT1_
	.p2align	8
	.type	_ZN7rocprim17ROCPRIM_400000_NS6detail17trampoline_kernelINS0_14default_configENS1_25partition_config_selectorILNS1_17partition_subalgoE5EjNS0_10empty_typeEbEEZZNS1_14partition_implILS5_5ELb0ES3_mN6thrust23THRUST_200600_302600_NS6detail15normal_iteratorINSA_10device_ptrIjEEEEPS6_NSA_18transform_iteratorINSB_9not_fun_tI7is_trueIjEEENSC_INSD_IbEEEENSA_11use_defaultESO_EENS0_5tupleIJSF_S6_EEENSQ_IJSG_SG_EEES6_PlJS6_EEE10hipError_tPvRmT3_T4_T5_T6_T7_T9_mT8_P12ihipStream_tbDpT10_ENKUlT_T0_E_clISt17integral_constantIbLb0EES1D_EEDaS18_S19_EUlS18_E_NS1_11comp_targetILNS1_3genE4ELNS1_11target_archE910ELNS1_3gpuE8ELNS1_3repE0EEENS1_30default_config_static_selectorELNS0_4arch9wavefront6targetE0EEEvT1_,@function
_ZN7rocprim17ROCPRIM_400000_NS6detail17trampoline_kernelINS0_14default_configENS1_25partition_config_selectorILNS1_17partition_subalgoE5EjNS0_10empty_typeEbEEZZNS1_14partition_implILS5_5ELb0ES3_mN6thrust23THRUST_200600_302600_NS6detail15normal_iteratorINSA_10device_ptrIjEEEEPS6_NSA_18transform_iteratorINSB_9not_fun_tI7is_trueIjEEENSC_INSD_IbEEEENSA_11use_defaultESO_EENS0_5tupleIJSF_S6_EEENSQ_IJSG_SG_EEES6_PlJS6_EEE10hipError_tPvRmT3_T4_T5_T6_T7_T9_mT8_P12ihipStream_tbDpT10_ENKUlT_T0_E_clISt17integral_constantIbLb0EES1D_EEDaS18_S19_EUlS18_E_NS1_11comp_targetILNS1_3genE4ELNS1_11target_archE910ELNS1_3gpuE8ELNS1_3repE0EEENS1_30default_config_static_selectorELNS0_4arch9wavefront6targetE0EEEvT1_: ; @_ZN7rocprim17ROCPRIM_400000_NS6detail17trampoline_kernelINS0_14default_configENS1_25partition_config_selectorILNS1_17partition_subalgoE5EjNS0_10empty_typeEbEEZZNS1_14partition_implILS5_5ELb0ES3_mN6thrust23THRUST_200600_302600_NS6detail15normal_iteratorINSA_10device_ptrIjEEEEPS6_NSA_18transform_iteratorINSB_9not_fun_tI7is_trueIjEEENSC_INSD_IbEEEENSA_11use_defaultESO_EENS0_5tupleIJSF_S6_EEENSQ_IJSG_SG_EEES6_PlJS6_EEE10hipError_tPvRmT3_T4_T5_T6_T7_T9_mT8_P12ihipStream_tbDpT10_ENKUlT_T0_E_clISt17integral_constantIbLb0EES1D_EEDaS18_S19_EUlS18_E_NS1_11comp_targetILNS1_3genE4ELNS1_11target_archE910ELNS1_3gpuE8ELNS1_3repE0EEENS1_30default_config_static_selectorELNS0_4arch9wavefront6targetE0EEEvT1_
; %bb.0:
	.section	.rodata,"a",@progbits
	.p2align	6, 0x0
	.amdhsa_kernel _ZN7rocprim17ROCPRIM_400000_NS6detail17trampoline_kernelINS0_14default_configENS1_25partition_config_selectorILNS1_17partition_subalgoE5EjNS0_10empty_typeEbEEZZNS1_14partition_implILS5_5ELb0ES3_mN6thrust23THRUST_200600_302600_NS6detail15normal_iteratorINSA_10device_ptrIjEEEEPS6_NSA_18transform_iteratorINSB_9not_fun_tI7is_trueIjEEENSC_INSD_IbEEEENSA_11use_defaultESO_EENS0_5tupleIJSF_S6_EEENSQ_IJSG_SG_EEES6_PlJS6_EEE10hipError_tPvRmT3_T4_T5_T6_T7_T9_mT8_P12ihipStream_tbDpT10_ENKUlT_T0_E_clISt17integral_constantIbLb0EES1D_EEDaS18_S19_EUlS18_E_NS1_11comp_targetILNS1_3genE4ELNS1_11target_archE910ELNS1_3gpuE8ELNS1_3repE0EEENS1_30default_config_static_selectorELNS0_4arch9wavefront6targetE0EEEvT1_
		.amdhsa_group_segment_fixed_size 0
		.amdhsa_private_segment_fixed_size 0
		.amdhsa_kernarg_size 120
		.amdhsa_user_sgpr_count 2
		.amdhsa_user_sgpr_dispatch_ptr 0
		.amdhsa_user_sgpr_queue_ptr 0
		.amdhsa_user_sgpr_kernarg_segment_ptr 1
		.amdhsa_user_sgpr_dispatch_id 0
		.amdhsa_user_sgpr_private_segment_size 0
		.amdhsa_wavefront_size32 1
		.amdhsa_uses_dynamic_stack 0
		.amdhsa_enable_private_segment 0
		.amdhsa_system_sgpr_workgroup_id_x 1
		.amdhsa_system_sgpr_workgroup_id_y 0
		.amdhsa_system_sgpr_workgroup_id_z 0
		.amdhsa_system_sgpr_workgroup_info 0
		.amdhsa_system_vgpr_workitem_id 0
		.amdhsa_next_free_vgpr 1
		.amdhsa_next_free_sgpr 1
		.amdhsa_reserve_vcc 0
		.amdhsa_float_round_mode_32 0
		.amdhsa_float_round_mode_16_64 0
		.amdhsa_float_denorm_mode_32 3
		.amdhsa_float_denorm_mode_16_64 3
		.amdhsa_fp16_overflow 0
		.amdhsa_workgroup_processor_mode 1
		.amdhsa_memory_ordered 1
		.amdhsa_forward_progress 1
		.amdhsa_inst_pref_size 0
		.amdhsa_round_robin_scheduling 0
		.amdhsa_exception_fp_ieee_invalid_op 0
		.amdhsa_exception_fp_denorm_src 0
		.amdhsa_exception_fp_ieee_div_zero 0
		.amdhsa_exception_fp_ieee_overflow 0
		.amdhsa_exception_fp_ieee_underflow 0
		.amdhsa_exception_fp_ieee_inexact 0
		.amdhsa_exception_int_div_zero 0
	.end_amdhsa_kernel
	.section	.text._ZN7rocprim17ROCPRIM_400000_NS6detail17trampoline_kernelINS0_14default_configENS1_25partition_config_selectorILNS1_17partition_subalgoE5EjNS0_10empty_typeEbEEZZNS1_14partition_implILS5_5ELb0ES3_mN6thrust23THRUST_200600_302600_NS6detail15normal_iteratorINSA_10device_ptrIjEEEEPS6_NSA_18transform_iteratorINSB_9not_fun_tI7is_trueIjEEENSC_INSD_IbEEEENSA_11use_defaultESO_EENS0_5tupleIJSF_S6_EEENSQ_IJSG_SG_EEES6_PlJS6_EEE10hipError_tPvRmT3_T4_T5_T6_T7_T9_mT8_P12ihipStream_tbDpT10_ENKUlT_T0_E_clISt17integral_constantIbLb0EES1D_EEDaS18_S19_EUlS18_E_NS1_11comp_targetILNS1_3genE4ELNS1_11target_archE910ELNS1_3gpuE8ELNS1_3repE0EEENS1_30default_config_static_selectorELNS0_4arch9wavefront6targetE0EEEvT1_,"axG",@progbits,_ZN7rocprim17ROCPRIM_400000_NS6detail17trampoline_kernelINS0_14default_configENS1_25partition_config_selectorILNS1_17partition_subalgoE5EjNS0_10empty_typeEbEEZZNS1_14partition_implILS5_5ELb0ES3_mN6thrust23THRUST_200600_302600_NS6detail15normal_iteratorINSA_10device_ptrIjEEEEPS6_NSA_18transform_iteratorINSB_9not_fun_tI7is_trueIjEEENSC_INSD_IbEEEENSA_11use_defaultESO_EENS0_5tupleIJSF_S6_EEENSQ_IJSG_SG_EEES6_PlJS6_EEE10hipError_tPvRmT3_T4_T5_T6_T7_T9_mT8_P12ihipStream_tbDpT10_ENKUlT_T0_E_clISt17integral_constantIbLb0EES1D_EEDaS18_S19_EUlS18_E_NS1_11comp_targetILNS1_3genE4ELNS1_11target_archE910ELNS1_3gpuE8ELNS1_3repE0EEENS1_30default_config_static_selectorELNS0_4arch9wavefront6targetE0EEEvT1_,comdat
.Lfunc_end2431:
	.size	_ZN7rocprim17ROCPRIM_400000_NS6detail17trampoline_kernelINS0_14default_configENS1_25partition_config_selectorILNS1_17partition_subalgoE5EjNS0_10empty_typeEbEEZZNS1_14partition_implILS5_5ELb0ES3_mN6thrust23THRUST_200600_302600_NS6detail15normal_iteratorINSA_10device_ptrIjEEEEPS6_NSA_18transform_iteratorINSB_9not_fun_tI7is_trueIjEEENSC_INSD_IbEEEENSA_11use_defaultESO_EENS0_5tupleIJSF_S6_EEENSQ_IJSG_SG_EEES6_PlJS6_EEE10hipError_tPvRmT3_T4_T5_T6_T7_T9_mT8_P12ihipStream_tbDpT10_ENKUlT_T0_E_clISt17integral_constantIbLb0EES1D_EEDaS18_S19_EUlS18_E_NS1_11comp_targetILNS1_3genE4ELNS1_11target_archE910ELNS1_3gpuE8ELNS1_3repE0EEENS1_30default_config_static_selectorELNS0_4arch9wavefront6targetE0EEEvT1_, .Lfunc_end2431-_ZN7rocprim17ROCPRIM_400000_NS6detail17trampoline_kernelINS0_14default_configENS1_25partition_config_selectorILNS1_17partition_subalgoE5EjNS0_10empty_typeEbEEZZNS1_14partition_implILS5_5ELb0ES3_mN6thrust23THRUST_200600_302600_NS6detail15normal_iteratorINSA_10device_ptrIjEEEEPS6_NSA_18transform_iteratorINSB_9not_fun_tI7is_trueIjEEENSC_INSD_IbEEEENSA_11use_defaultESO_EENS0_5tupleIJSF_S6_EEENSQ_IJSG_SG_EEES6_PlJS6_EEE10hipError_tPvRmT3_T4_T5_T6_T7_T9_mT8_P12ihipStream_tbDpT10_ENKUlT_T0_E_clISt17integral_constantIbLb0EES1D_EEDaS18_S19_EUlS18_E_NS1_11comp_targetILNS1_3genE4ELNS1_11target_archE910ELNS1_3gpuE8ELNS1_3repE0EEENS1_30default_config_static_selectorELNS0_4arch9wavefront6targetE0EEEvT1_
                                        ; -- End function
	.set _ZN7rocprim17ROCPRIM_400000_NS6detail17trampoline_kernelINS0_14default_configENS1_25partition_config_selectorILNS1_17partition_subalgoE5EjNS0_10empty_typeEbEEZZNS1_14partition_implILS5_5ELb0ES3_mN6thrust23THRUST_200600_302600_NS6detail15normal_iteratorINSA_10device_ptrIjEEEEPS6_NSA_18transform_iteratorINSB_9not_fun_tI7is_trueIjEEENSC_INSD_IbEEEENSA_11use_defaultESO_EENS0_5tupleIJSF_S6_EEENSQ_IJSG_SG_EEES6_PlJS6_EEE10hipError_tPvRmT3_T4_T5_T6_T7_T9_mT8_P12ihipStream_tbDpT10_ENKUlT_T0_E_clISt17integral_constantIbLb0EES1D_EEDaS18_S19_EUlS18_E_NS1_11comp_targetILNS1_3genE4ELNS1_11target_archE910ELNS1_3gpuE8ELNS1_3repE0EEENS1_30default_config_static_selectorELNS0_4arch9wavefront6targetE0EEEvT1_.num_vgpr, 0
	.set _ZN7rocprim17ROCPRIM_400000_NS6detail17trampoline_kernelINS0_14default_configENS1_25partition_config_selectorILNS1_17partition_subalgoE5EjNS0_10empty_typeEbEEZZNS1_14partition_implILS5_5ELb0ES3_mN6thrust23THRUST_200600_302600_NS6detail15normal_iteratorINSA_10device_ptrIjEEEEPS6_NSA_18transform_iteratorINSB_9not_fun_tI7is_trueIjEEENSC_INSD_IbEEEENSA_11use_defaultESO_EENS0_5tupleIJSF_S6_EEENSQ_IJSG_SG_EEES6_PlJS6_EEE10hipError_tPvRmT3_T4_T5_T6_T7_T9_mT8_P12ihipStream_tbDpT10_ENKUlT_T0_E_clISt17integral_constantIbLb0EES1D_EEDaS18_S19_EUlS18_E_NS1_11comp_targetILNS1_3genE4ELNS1_11target_archE910ELNS1_3gpuE8ELNS1_3repE0EEENS1_30default_config_static_selectorELNS0_4arch9wavefront6targetE0EEEvT1_.num_agpr, 0
	.set _ZN7rocprim17ROCPRIM_400000_NS6detail17trampoline_kernelINS0_14default_configENS1_25partition_config_selectorILNS1_17partition_subalgoE5EjNS0_10empty_typeEbEEZZNS1_14partition_implILS5_5ELb0ES3_mN6thrust23THRUST_200600_302600_NS6detail15normal_iteratorINSA_10device_ptrIjEEEEPS6_NSA_18transform_iteratorINSB_9not_fun_tI7is_trueIjEEENSC_INSD_IbEEEENSA_11use_defaultESO_EENS0_5tupleIJSF_S6_EEENSQ_IJSG_SG_EEES6_PlJS6_EEE10hipError_tPvRmT3_T4_T5_T6_T7_T9_mT8_P12ihipStream_tbDpT10_ENKUlT_T0_E_clISt17integral_constantIbLb0EES1D_EEDaS18_S19_EUlS18_E_NS1_11comp_targetILNS1_3genE4ELNS1_11target_archE910ELNS1_3gpuE8ELNS1_3repE0EEENS1_30default_config_static_selectorELNS0_4arch9wavefront6targetE0EEEvT1_.numbered_sgpr, 0
	.set _ZN7rocprim17ROCPRIM_400000_NS6detail17trampoline_kernelINS0_14default_configENS1_25partition_config_selectorILNS1_17partition_subalgoE5EjNS0_10empty_typeEbEEZZNS1_14partition_implILS5_5ELb0ES3_mN6thrust23THRUST_200600_302600_NS6detail15normal_iteratorINSA_10device_ptrIjEEEEPS6_NSA_18transform_iteratorINSB_9not_fun_tI7is_trueIjEEENSC_INSD_IbEEEENSA_11use_defaultESO_EENS0_5tupleIJSF_S6_EEENSQ_IJSG_SG_EEES6_PlJS6_EEE10hipError_tPvRmT3_T4_T5_T6_T7_T9_mT8_P12ihipStream_tbDpT10_ENKUlT_T0_E_clISt17integral_constantIbLb0EES1D_EEDaS18_S19_EUlS18_E_NS1_11comp_targetILNS1_3genE4ELNS1_11target_archE910ELNS1_3gpuE8ELNS1_3repE0EEENS1_30default_config_static_selectorELNS0_4arch9wavefront6targetE0EEEvT1_.num_named_barrier, 0
	.set _ZN7rocprim17ROCPRIM_400000_NS6detail17trampoline_kernelINS0_14default_configENS1_25partition_config_selectorILNS1_17partition_subalgoE5EjNS0_10empty_typeEbEEZZNS1_14partition_implILS5_5ELb0ES3_mN6thrust23THRUST_200600_302600_NS6detail15normal_iteratorINSA_10device_ptrIjEEEEPS6_NSA_18transform_iteratorINSB_9not_fun_tI7is_trueIjEEENSC_INSD_IbEEEENSA_11use_defaultESO_EENS0_5tupleIJSF_S6_EEENSQ_IJSG_SG_EEES6_PlJS6_EEE10hipError_tPvRmT3_T4_T5_T6_T7_T9_mT8_P12ihipStream_tbDpT10_ENKUlT_T0_E_clISt17integral_constantIbLb0EES1D_EEDaS18_S19_EUlS18_E_NS1_11comp_targetILNS1_3genE4ELNS1_11target_archE910ELNS1_3gpuE8ELNS1_3repE0EEENS1_30default_config_static_selectorELNS0_4arch9wavefront6targetE0EEEvT1_.private_seg_size, 0
	.set _ZN7rocprim17ROCPRIM_400000_NS6detail17trampoline_kernelINS0_14default_configENS1_25partition_config_selectorILNS1_17partition_subalgoE5EjNS0_10empty_typeEbEEZZNS1_14partition_implILS5_5ELb0ES3_mN6thrust23THRUST_200600_302600_NS6detail15normal_iteratorINSA_10device_ptrIjEEEEPS6_NSA_18transform_iteratorINSB_9not_fun_tI7is_trueIjEEENSC_INSD_IbEEEENSA_11use_defaultESO_EENS0_5tupleIJSF_S6_EEENSQ_IJSG_SG_EEES6_PlJS6_EEE10hipError_tPvRmT3_T4_T5_T6_T7_T9_mT8_P12ihipStream_tbDpT10_ENKUlT_T0_E_clISt17integral_constantIbLb0EES1D_EEDaS18_S19_EUlS18_E_NS1_11comp_targetILNS1_3genE4ELNS1_11target_archE910ELNS1_3gpuE8ELNS1_3repE0EEENS1_30default_config_static_selectorELNS0_4arch9wavefront6targetE0EEEvT1_.uses_vcc, 0
	.set _ZN7rocprim17ROCPRIM_400000_NS6detail17trampoline_kernelINS0_14default_configENS1_25partition_config_selectorILNS1_17partition_subalgoE5EjNS0_10empty_typeEbEEZZNS1_14partition_implILS5_5ELb0ES3_mN6thrust23THRUST_200600_302600_NS6detail15normal_iteratorINSA_10device_ptrIjEEEEPS6_NSA_18transform_iteratorINSB_9not_fun_tI7is_trueIjEEENSC_INSD_IbEEEENSA_11use_defaultESO_EENS0_5tupleIJSF_S6_EEENSQ_IJSG_SG_EEES6_PlJS6_EEE10hipError_tPvRmT3_T4_T5_T6_T7_T9_mT8_P12ihipStream_tbDpT10_ENKUlT_T0_E_clISt17integral_constantIbLb0EES1D_EEDaS18_S19_EUlS18_E_NS1_11comp_targetILNS1_3genE4ELNS1_11target_archE910ELNS1_3gpuE8ELNS1_3repE0EEENS1_30default_config_static_selectorELNS0_4arch9wavefront6targetE0EEEvT1_.uses_flat_scratch, 0
	.set _ZN7rocprim17ROCPRIM_400000_NS6detail17trampoline_kernelINS0_14default_configENS1_25partition_config_selectorILNS1_17partition_subalgoE5EjNS0_10empty_typeEbEEZZNS1_14partition_implILS5_5ELb0ES3_mN6thrust23THRUST_200600_302600_NS6detail15normal_iteratorINSA_10device_ptrIjEEEEPS6_NSA_18transform_iteratorINSB_9not_fun_tI7is_trueIjEEENSC_INSD_IbEEEENSA_11use_defaultESO_EENS0_5tupleIJSF_S6_EEENSQ_IJSG_SG_EEES6_PlJS6_EEE10hipError_tPvRmT3_T4_T5_T6_T7_T9_mT8_P12ihipStream_tbDpT10_ENKUlT_T0_E_clISt17integral_constantIbLb0EES1D_EEDaS18_S19_EUlS18_E_NS1_11comp_targetILNS1_3genE4ELNS1_11target_archE910ELNS1_3gpuE8ELNS1_3repE0EEENS1_30default_config_static_selectorELNS0_4arch9wavefront6targetE0EEEvT1_.has_dyn_sized_stack, 0
	.set _ZN7rocprim17ROCPRIM_400000_NS6detail17trampoline_kernelINS0_14default_configENS1_25partition_config_selectorILNS1_17partition_subalgoE5EjNS0_10empty_typeEbEEZZNS1_14partition_implILS5_5ELb0ES3_mN6thrust23THRUST_200600_302600_NS6detail15normal_iteratorINSA_10device_ptrIjEEEEPS6_NSA_18transform_iteratorINSB_9not_fun_tI7is_trueIjEEENSC_INSD_IbEEEENSA_11use_defaultESO_EENS0_5tupleIJSF_S6_EEENSQ_IJSG_SG_EEES6_PlJS6_EEE10hipError_tPvRmT3_T4_T5_T6_T7_T9_mT8_P12ihipStream_tbDpT10_ENKUlT_T0_E_clISt17integral_constantIbLb0EES1D_EEDaS18_S19_EUlS18_E_NS1_11comp_targetILNS1_3genE4ELNS1_11target_archE910ELNS1_3gpuE8ELNS1_3repE0EEENS1_30default_config_static_selectorELNS0_4arch9wavefront6targetE0EEEvT1_.has_recursion, 0
	.set _ZN7rocprim17ROCPRIM_400000_NS6detail17trampoline_kernelINS0_14default_configENS1_25partition_config_selectorILNS1_17partition_subalgoE5EjNS0_10empty_typeEbEEZZNS1_14partition_implILS5_5ELb0ES3_mN6thrust23THRUST_200600_302600_NS6detail15normal_iteratorINSA_10device_ptrIjEEEEPS6_NSA_18transform_iteratorINSB_9not_fun_tI7is_trueIjEEENSC_INSD_IbEEEENSA_11use_defaultESO_EENS0_5tupleIJSF_S6_EEENSQ_IJSG_SG_EEES6_PlJS6_EEE10hipError_tPvRmT3_T4_T5_T6_T7_T9_mT8_P12ihipStream_tbDpT10_ENKUlT_T0_E_clISt17integral_constantIbLb0EES1D_EEDaS18_S19_EUlS18_E_NS1_11comp_targetILNS1_3genE4ELNS1_11target_archE910ELNS1_3gpuE8ELNS1_3repE0EEENS1_30default_config_static_selectorELNS0_4arch9wavefront6targetE0EEEvT1_.has_indirect_call, 0
	.section	.AMDGPU.csdata,"",@progbits
; Kernel info:
; codeLenInByte = 0
; TotalNumSgprs: 0
; NumVgprs: 0
; ScratchSize: 0
; MemoryBound: 0
; FloatMode: 240
; IeeeMode: 1
; LDSByteSize: 0 bytes/workgroup (compile time only)
; SGPRBlocks: 0
; VGPRBlocks: 0
; NumSGPRsForWavesPerEU: 1
; NumVGPRsForWavesPerEU: 1
; Occupancy: 16
; WaveLimiterHint : 0
; COMPUTE_PGM_RSRC2:SCRATCH_EN: 0
; COMPUTE_PGM_RSRC2:USER_SGPR: 2
; COMPUTE_PGM_RSRC2:TRAP_HANDLER: 0
; COMPUTE_PGM_RSRC2:TGID_X_EN: 1
; COMPUTE_PGM_RSRC2:TGID_Y_EN: 0
; COMPUTE_PGM_RSRC2:TGID_Z_EN: 0
; COMPUTE_PGM_RSRC2:TIDIG_COMP_CNT: 0
	.section	.text._ZN7rocprim17ROCPRIM_400000_NS6detail17trampoline_kernelINS0_14default_configENS1_25partition_config_selectorILNS1_17partition_subalgoE5EjNS0_10empty_typeEbEEZZNS1_14partition_implILS5_5ELb0ES3_mN6thrust23THRUST_200600_302600_NS6detail15normal_iteratorINSA_10device_ptrIjEEEEPS6_NSA_18transform_iteratorINSB_9not_fun_tI7is_trueIjEEENSC_INSD_IbEEEENSA_11use_defaultESO_EENS0_5tupleIJSF_S6_EEENSQ_IJSG_SG_EEES6_PlJS6_EEE10hipError_tPvRmT3_T4_T5_T6_T7_T9_mT8_P12ihipStream_tbDpT10_ENKUlT_T0_E_clISt17integral_constantIbLb0EES1D_EEDaS18_S19_EUlS18_E_NS1_11comp_targetILNS1_3genE3ELNS1_11target_archE908ELNS1_3gpuE7ELNS1_3repE0EEENS1_30default_config_static_selectorELNS0_4arch9wavefront6targetE0EEEvT1_,"axG",@progbits,_ZN7rocprim17ROCPRIM_400000_NS6detail17trampoline_kernelINS0_14default_configENS1_25partition_config_selectorILNS1_17partition_subalgoE5EjNS0_10empty_typeEbEEZZNS1_14partition_implILS5_5ELb0ES3_mN6thrust23THRUST_200600_302600_NS6detail15normal_iteratorINSA_10device_ptrIjEEEEPS6_NSA_18transform_iteratorINSB_9not_fun_tI7is_trueIjEEENSC_INSD_IbEEEENSA_11use_defaultESO_EENS0_5tupleIJSF_S6_EEENSQ_IJSG_SG_EEES6_PlJS6_EEE10hipError_tPvRmT3_T4_T5_T6_T7_T9_mT8_P12ihipStream_tbDpT10_ENKUlT_T0_E_clISt17integral_constantIbLb0EES1D_EEDaS18_S19_EUlS18_E_NS1_11comp_targetILNS1_3genE3ELNS1_11target_archE908ELNS1_3gpuE7ELNS1_3repE0EEENS1_30default_config_static_selectorELNS0_4arch9wavefront6targetE0EEEvT1_,comdat
	.protected	_ZN7rocprim17ROCPRIM_400000_NS6detail17trampoline_kernelINS0_14default_configENS1_25partition_config_selectorILNS1_17partition_subalgoE5EjNS0_10empty_typeEbEEZZNS1_14partition_implILS5_5ELb0ES3_mN6thrust23THRUST_200600_302600_NS6detail15normal_iteratorINSA_10device_ptrIjEEEEPS6_NSA_18transform_iteratorINSB_9not_fun_tI7is_trueIjEEENSC_INSD_IbEEEENSA_11use_defaultESO_EENS0_5tupleIJSF_S6_EEENSQ_IJSG_SG_EEES6_PlJS6_EEE10hipError_tPvRmT3_T4_T5_T6_T7_T9_mT8_P12ihipStream_tbDpT10_ENKUlT_T0_E_clISt17integral_constantIbLb0EES1D_EEDaS18_S19_EUlS18_E_NS1_11comp_targetILNS1_3genE3ELNS1_11target_archE908ELNS1_3gpuE7ELNS1_3repE0EEENS1_30default_config_static_selectorELNS0_4arch9wavefront6targetE0EEEvT1_ ; -- Begin function _ZN7rocprim17ROCPRIM_400000_NS6detail17trampoline_kernelINS0_14default_configENS1_25partition_config_selectorILNS1_17partition_subalgoE5EjNS0_10empty_typeEbEEZZNS1_14partition_implILS5_5ELb0ES3_mN6thrust23THRUST_200600_302600_NS6detail15normal_iteratorINSA_10device_ptrIjEEEEPS6_NSA_18transform_iteratorINSB_9not_fun_tI7is_trueIjEEENSC_INSD_IbEEEENSA_11use_defaultESO_EENS0_5tupleIJSF_S6_EEENSQ_IJSG_SG_EEES6_PlJS6_EEE10hipError_tPvRmT3_T4_T5_T6_T7_T9_mT8_P12ihipStream_tbDpT10_ENKUlT_T0_E_clISt17integral_constantIbLb0EES1D_EEDaS18_S19_EUlS18_E_NS1_11comp_targetILNS1_3genE3ELNS1_11target_archE908ELNS1_3gpuE7ELNS1_3repE0EEENS1_30default_config_static_selectorELNS0_4arch9wavefront6targetE0EEEvT1_
	.globl	_ZN7rocprim17ROCPRIM_400000_NS6detail17trampoline_kernelINS0_14default_configENS1_25partition_config_selectorILNS1_17partition_subalgoE5EjNS0_10empty_typeEbEEZZNS1_14partition_implILS5_5ELb0ES3_mN6thrust23THRUST_200600_302600_NS6detail15normal_iteratorINSA_10device_ptrIjEEEEPS6_NSA_18transform_iteratorINSB_9not_fun_tI7is_trueIjEEENSC_INSD_IbEEEENSA_11use_defaultESO_EENS0_5tupleIJSF_S6_EEENSQ_IJSG_SG_EEES6_PlJS6_EEE10hipError_tPvRmT3_T4_T5_T6_T7_T9_mT8_P12ihipStream_tbDpT10_ENKUlT_T0_E_clISt17integral_constantIbLb0EES1D_EEDaS18_S19_EUlS18_E_NS1_11comp_targetILNS1_3genE3ELNS1_11target_archE908ELNS1_3gpuE7ELNS1_3repE0EEENS1_30default_config_static_selectorELNS0_4arch9wavefront6targetE0EEEvT1_
	.p2align	8
	.type	_ZN7rocprim17ROCPRIM_400000_NS6detail17trampoline_kernelINS0_14default_configENS1_25partition_config_selectorILNS1_17partition_subalgoE5EjNS0_10empty_typeEbEEZZNS1_14partition_implILS5_5ELb0ES3_mN6thrust23THRUST_200600_302600_NS6detail15normal_iteratorINSA_10device_ptrIjEEEEPS6_NSA_18transform_iteratorINSB_9not_fun_tI7is_trueIjEEENSC_INSD_IbEEEENSA_11use_defaultESO_EENS0_5tupleIJSF_S6_EEENSQ_IJSG_SG_EEES6_PlJS6_EEE10hipError_tPvRmT3_T4_T5_T6_T7_T9_mT8_P12ihipStream_tbDpT10_ENKUlT_T0_E_clISt17integral_constantIbLb0EES1D_EEDaS18_S19_EUlS18_E_NS1_11comp_targetILNS1_3genE3ELNS1_11target_archE908ELNS1_3gpuE7ELNS1_3repE0EEENS1_30default_config_static_selectorELNS0_4arch9wavefront6targetE0EEEvT1_,@function
_ZN7rocprim17ROCPRIM_400000_NS6detail17trampoline_kernelINS0_14default_configENS1_25partition_config_selectorILNS1_17partition_subalgoE5EjNS0_10empty_typeEbEEZZNS1_14partition_implILS5_5ELb0ES3_mN6thrust23THRUST_200600_302600_NS6detail15normal_iteratorINSA_10device_ptrIjEEEEPS6_NSA_18transform_iteratorINSB_9not_fun_tI7is_trueIjEEENSC_INSD_IbEEEENSA_11use_defaultESO_EENS0_5tupleIJSF_S6_EEENSQ_IJSG_SG_EEES6_PlJS6_EEE10hipError_tPvRmT3_T4_T5_T6_T7_T9_mT8_P12ihipStream_tbDpT10_ENKUlT_T0_E_clISt17integral_constantIbLb0EES1D_EEDaS18_S19_EUlS18_E_NS1_11comp_targetILNS1_3genE3ELNS1_11target_archE908ELNS1_3gpuE7ELNS1_3repE0EEENS1_30default_config_static_selectorELNS0_4arch9wavefront6targetE0EEEvT1_: ; @_ZN7rocprim17ROCPRIM_400000_NS6detail17trampoline_kernelINS0_14default_configENS1_25partition_config_selectorILNS1_17partition_subalgoE5EjNS0_10empty_typeEbEEZZNS1_14partition_implILS5_5ELb0ES3_mN6thrust23THRUST_200600_302600_NS6detail15normal_iteratorINSA_10device_ptrIjEEEEPS6_NSA_18transform_iteratorINSB_9not_fun_tI7is_trueIjEEENSC_INSD_IbEEEENSA_11use_defaultESO_EENS0_5tupleIJSF_S6_EEENSQ_IJSG_SG_EEES6_PlJS6_EEE10hipError_tPvRmT3_T4_T5_T6_T7_T9_mT8_P12ihipStream_tbDpT10_ENKUlT_T0_E_clISt17integral_constantIbLb0EES1D_EEDaS18_S19_EUlS18_E_NS1_11comp_targetILNS1_3genE3ELNS1_11target_archE908ELNS1_3gpuE7ELNS1_3repE0EEENS1_30default_config_static_selectorELNS0_4arch9wavefront6targetE0EEEvT1_
; %bb.0:
	.section	.rodata,"a",@progbits
	.p2align	6, 0x0
	.amdhsa_kernel _ZN7rocprim17ROCPRIM_400000_NS6detail17trampoline_kernelINS0_14default_configENS1_25partition_config_selectorILNS1_17partition_subalgoE5EjNS0_10empty_typeEbEEZZNS1_14partition_implILS5_5ELb0ES3_mN6thrust23THRUST_200600_302600_NS6detail15normal_iteratorINSA_10device_ptrIjEEEEPS6_NSA_18transform_iteratorINSB_9not_fun_tI7is_trueIjEEENSC_INSD_IbEEEENSA_11use_defaultESO_EENS0_5tupleIJSF_S6_EEENSQ_IJSG_SG_EEES6_PlJS6_EEE10hipError_tPvRmT3_T4_T5_T6_T7_T9_mT8_P12ihipStream_tbDpT10_ENKUlT_T0_E_clISt17integral_constantIbLb0EES1D_EEDaS18_S19_EUlS18_E_NS1_11comp_targetILNS1_3genE3ELNS1_11target_archE908ELNS1_3gpuE7ELNS1_3repE0EEENS1_30default_config_static_selectorELNS0_4arch9wavefront6targetE0EEEvT1_
		.amdhsa_group_segment_fixed_size 0
		.amdhsa_private_segment_fixed_size 0
		.amdhsa_kernarg_size 120
		.amdhsa_user_sgpr_count 2
		.amdhsa_user_sgpr_dispatch_ptr 0
		.amdhsa_user_sgpr_queue_ptr 0
		.amdhsa_user_sgpr_kernarg_segment_ptr 1
		.amdhsa_user_sgpr_dispatch_id 0
		.amdhsa_user_sgpr_private_segment_size 0
		.amdhsa_wavefront_size32 1
		.amdhsa_uses_dynamic_stack 0
		.amdhsa_enable_private_segment 0
		.amdhsa_system_sgpr_workgroup_id_x 1
		.amdhsa_system_sgpr_workgroup_id_y 0
		.amdhsa_system_sgpr_workgroup_id_z 0
		.amdhsa_system_sgpr_workgroup_info 0
		.amdhsa_system_vgpr_workitem_id 0
		.amdhsa_next_free_vgpr 1
		.amdhsa_next_free_sgpr 1
		.amdhsa_reserve_vcc 0
		.amdhsa_float_round_mode_32 0
		.amdhsa_float_round_mode_16_64 0
		.amdhsa_float_denorm_mode_32 3
		.amdhsa_float_denorm_mode_16_64 3
		.amdhsa_fp16_overflow 0
		.amdhsa_workgroup_processor_mode 1
		.amdhsa_memory_ordered 1
		.amdhsa_forward_progress 1
		.amdhsa_inst_pref_size 0
		.amdhsa_round_robin_scheduling 0
		.amdhsa_exception_fp_ieee_invalid_op 0
		.amdhsa_exception_fp_denorm_src 0
		.amdhsa_exception_fp_ieee_div_zero 0
		.amdhsa_exception_fp_ieee_overflow 0
		.amdhsa_exception_fp_ieee_underflow 0
		.amdhsa_exception_fp_ieee_inexact 0
		.amdhsa_exception_int_div_zero 0
	.end_amdhsa_kernel
	.section	.text._ZN7rocprim17ROCPRIM_400000_NS6detail17trampoline_kernelINS0_14default_configENS1_25partition_config_selectorILNS1_17partition_subalgoE5EjNS0_10empty_typeEbEEZZNS1_14partition_implILS5_5ELb0ES3_mN6thrust23THRUST_200600_302600_NS6detail15normal_iteratorINSA_10device_ptrIjEEEEPS6_NSA_18transform_iteratorINSB_9not_fun_tI7is_trueIjEEENSC_INSD_IbEEEENSA_11use_defaultESO_EENS0_5tupleIJSF_S6_EEENSQ_IJSG_SG_EEES6_PlJS6_EEE10hipError_tPvRmT3_T4_T5_T6_T7_T9_mT8_P12ihipStream_tbDpT10_ENKUlT_T0_E_clISt17integral_constantIbLb0EES1D_EEDaS18_S19_EUlS18_E_NS1_11comp_targetILNS1_3genE3ELNS1_11target_archE908ELNS1_3gpuE7ELNS1_3repE0EEENS1_30default_config_static_selectorELNS0_4arch9wavefront6targetE0EEEvT1_,"axG",@progbits,_ZN7rocprim17ROCPRIM_400000_NS6detail17trampoline_kernelINS0_14default_configENS1_25partition_config_selectorILNS1_17partition_subalgoE5EjNS0_10empty_typeEbEEZZNS1_14partition_implILS5_5ELb0ES3_mN6thrust23THRUST_200600_302600_NS6detail15normal_iteratorINSA_10device_ptrIjEEEEPS6_NSA_18transform_iteratorINSB_9not_fun_tI7is_trueIjEEENSC_INSD_IbEEEENSA_11use_defaultESO_EENS0_5tupleIJSF_S6_EEENSQ_IJSG_SG_EEES6_PlJS6_EEE10hipError_tPvRmT3_T4_T5_T6_T7_T9_mT8_P12ihipStream_tbDpT10_ENKUlT_T0_E_clISt17integral_constantIbLb0EES1D_EEDaS18_S19_EUlS18_E_NS1_11comp_targetILNS1_3genE3ELNS1_11target_archE908ELNS1_3gpuE7ELNS1_3repE0EEENS1_30default_config_static_selectorELNS0_4arch9wavefront6targetE0EEEvT1_,comdat
.Lfunc_end2432:
	.size	_ZN7rocprim17ROCPRIM_400000_NS6detail17trampoline_kernelINS0_14default_configENS1_25partition_config_selectorILNS1_17partition_subalgoE5EjNS0_10empty_typeEbEEZZNS1_14partition_implILS5_5ELb0ES3_mN6thrust23THRUST_200600_302600_NS6detail15normal_iteratorINSA_10device_ptrIjEEEEPS6_NSA_18transform_iteratorINSB_9not_fun_tI7is_trueIjEEENSC_INSD_IbEEEENSA_11use_defaultESO_EENS0_5tupleIJSF_S6_EEENSQ_IJSG_SG_EEES6_PlJS6_EEE10hipError_tPvRmT3_T4_T5_T6_T7_T9_mT8_P12ihipStream_tbDpT10_ENKUlT_T0_E_clISt17integral_constantIbLb0EES1D_EEDaS18_S19_EUlS18_E_NS1_11comp_targetILNS1_3genE3ELNS1_11target_archE908ELNS1_3gpuE7ELNS1_3repE0EEENS1_30default_config_static_selectorELNS0_4arch9wavefront6targetE0EEEvT1_, .Lfunc_end2432-_ZN7rocprim17ROCPRIM_400000_NS6detail17trampoline_kernelINS0_14default_configENS1_25partition_config_selectorILNS1_17partition_subalgoE5EjNS0_10empty_typeEbEEZZNS1_14partition_implILS5_5ELb0ES3_mN6thrust23THRUST_200600_302600_NS6detail15normal_iteratorINSA_10device_ptrIjEEEEPS6_NSA_18transform_iteratorINSB_9not_fun_tI7is_trueIjEEENSC_INSD_IbEEEENSA_11use_defaultESO_EENS0_5tupleIJSF_S6_EEENSQ_IJSG_SG_EEES6_PlJS6_EEE10hipError_tPvRmT3_T4_T5_T6_T7_T9_mT8_P12ihipStream_tbDpT10_ENKUlT_T0_E_clISt17integral_constantIbLb0EES1D_EEDaS18_S19_EUlS18_E_NS1_11comp_targetILNS1_3genE3ELNS1_11target_archE908ELNS1_3gpuE7ELNS1_3repE0EEENS1_30default_config_static_selectorELNS0_4arch9wavefront6targetE0EEEvT1_
                                        ; -- End function
	.set _ZN7rocprim17ROCPRIM_400000_NS6detail17trampoline_kernelINS0_14default_configENS1_25partition_config_selectorILNS1_17partition_subalgoE5EjNS0_10empty_typeEbEEZZNS1_14partition_implILS5_5ELb0ES3_mN6thrust23THRUST_200600_302600_NS6detail15normal_iteratorINSA_10device_ptrIjEEEEPS6_NSA_18transform_iteratorINSB_9not_fun_tI7is_trueIjEEENSC_INSD_IbEEEENSA_11use_defaultESO_EENS0_5tupleIJSF_S6_EEENSQ_IJSG_SG_EEES6_PlJS6_EEE10hipError_tPvRmT3_T4_T5_T6_T7_T9_mT8_P12ihipStream_tbDpT10_ENKUlT_T0_E_clISt17integral_constantIbLb0EES1D_EEDaS18_S19_EUlS18_E_NS1_11comp_targetILNS1_3genE3ELNS1_11target_archE908ELNS1_3gpuE7ELNS1_3repE0EEENS1_30default_config_static_selectorELNS0_4arch9wavefront6targetE0EEEvT1_.num_vgpr, 0
	.set _ZN7rocprim17ROCPRIM_400000_NS6detail17trampoline_kernelINS0_14default_configENS1_25partition_config_selectorILNS1_17partition_subalgoE5EjNS0_10empty_typeEbEEZZNS1_14partition_implILS5_5ELb0ES3_mN6thrust23THRUST_200600_302600_NS6detail15normal_iteratorINSA_10device_ptrIjEEEEPS6_NSA_18transform_iteratorINSB_9not_fun_tI7is_trueIjEEENSC_INSD_IbEEEENSA_11use_defaultESO_EENS0_5tupleIJSF_S6_EEENSQ_IJSG_SG_EEES6_PlJS6_EEE10hipError_tPvRmT3_T4_T5_T6_T7_T9_mT8_P12ihipStream_tbDpT10_ENKUlT_T0_E_clISt17integral_constantIbLb0EES1D_EEDaS18_S19_EUlS18_E_NS1_11comp_targetILNS1_3genE3ELNS1_11target_archE908ELNS1_3gpuE7ELNS1_3repE0EEENS1_30default_config_static_selectorELNS0_4arch9wavefront6targetE0EEEvT1_.num_agpr, 0
	.set _ZN7rocprim17ROCPRIM_400000_NS6detail17trampoline_kernelINS0_14default_configENS1_25partition_config_selectorILNS1_17partition_subalgoE5EjNS0_10empty_typeEbEEZZNS1_14partition_implILS5_5ELb0ES3_mN6thrust23THRUST_200600_302600_NS6detail15normal_iteratorINSA_10device_ptrIjEEEEPS6_NSA_18transform_iteratorINSB_9not_fun_tI7is_trueIjEEENSC_INSD_IbEEEENSA_11use_defaultESO_EENS0_5tupleIJSF_S6_EEENSQ_IJSG_SG_EEES6_PlJS6_EEE10hipError_tPvRmT3_T4_T5_T6_T7_T9_mT8_P12ihipStream_tbDpT10_ENKUlT_T0_E_clISt17integral_constantIbLb0EES1D_EEDaS18_S19_EUlS18_E_NS1_11comp_targetILNS1_3genE3ELNS1_11target_archE908ELNS1_3gpuE7ELNS1_3repE0EEENS1_30default_config_static_selectorELNS0_4arch9wavefront6targetE0EEEvT1_.numbered_sgpr, 0
	.set _ZN7rocprim17ROCPRIM_400000_NS6detail17trampoline_kernelINS0_14default_configENS1_25partition_config_selectorILNS1_17partition_subalgoE5EjNS0_10empty_typeEbEEZZNS1_14partition_implILS5_5ELb0ES3_mN6thrust23THRUST_200600_302600_NS6detail15normal_iteratorINSA_10device_ptrIjEEEEPS6_NSA_18transform_iteratorINSB_9not_fun_tI7is_trueIjEEENSC_INSD_IbEEEENSA_11use_defaultESO_EENS0_5tupleIJSF_S6_EEENSQ_IJSG_SG_EEES6_PlJS6_EEE10hipError_tPvRmT3_T4_T5_T6_T7_T9_mT8_P12ihipStream_tbDpT10_ENKUlT_T0_E_clISt17integral_constantIbLb0EES1D_EEDaS18_S19_EUlS18_E_NS1_11comp_targetILNS1_3genE3ELNS1_11target_archE908ELNS1_3gpuE7ELNS1_3repE0EEENS1_30default_config_static_selectorELNS0_4arch9wavefront6targetE0EEEvT1_.num_named_barrier, 0
	.set _ZN7rocprim17ROCPRIM_400000_NS6detail17trampoline_kernelINS0_14default_configENS1_25partition_config_selectorILNS1_17partition_subalgoE5EjNS0_10empty_typeEbEEZZNS1_14partition_implILS5_5ELb0ES3_mN6thrust23THRUST_200600_302600_NS6detail15normal_iteratorINSA_10device_ptrIjEEEEPS6_NSA_18transform_iteratorINSB_9not_fun_tI7is_trueIjEEENSC_INSD_IbEEEENSA_11use_defaultESO_EENS0_5tupleIJSF_S6_EEENSQ_IJSG_SG_EEES6_PlJS6_EEE10hipError_tPvRmT3_T4_T5_T6_T7_T9_mT8_P12ihipStream_tbDpT10_ENKUlT_T0_E_clISt17integral_constantIbLb0EES1D_EEDaS18_S19_EUlS18_E_NS1_11comp_targetILNS1_3genE3ELNS1_11target_archE908ELNS1_3gpuE7ELNS1_3repE0EEENS1_30default_config_static_selectorELNS0_4arch9wavefront6targetE0EEEvT1_.private_seg_size, 0
	.set _ZN7rocprim17ROCPRIM_400000_NS6detail17trampoline_kernelINS0_14default_configENS1_25partition_config_selectorILNS1_17partition_subalgoE5EjNS0_10empty_typeEbEEZZNS1_14partition_implILS5_5ELb0ES3_mN6thrust23THRUST_200600_302600_NS6detail15normal_iteratorINSA_10device_ptrIjEEEEPS6_NSA_18transform_iteratorINSB_9not_fun_tI7is_trueIjEEENSC_INSD_IbEEEENSA_11use_defaultESO_EENS0_5tupleIJSF_S6_EEENSQ_IJSG_SG_EEES6_PlJS6_EEE10hipError_tPvRmT3_T4_T5_T6_T7_T9_mT8_P12ihipStream_tbDpT10_ENKUlT_T0_E_clISt17integral_constantIbLb0EES1D_EEDaS18_S19_EUlS18_E_NS1_11comp_targetILNS1_3genE3ELNS1_11target_archE908ELNS1_3gpuE7ELNS1_3repE0EEENS1_30default_config_static_selectorELNS0_4arch9wavefront6targetE0EEEvT1_.uses_vcc, 0
	.set _ZN7rocprim17ROCPRIM_400000_NS6detail17trampoline_kernelINS0_14default_configENS1_25partition_config_selectorILNS1_17partition_subalgoE5EjNS0_10empty_typeEbEEZZNS1_14partition_implILS5_5ELb0ES3_mN6thrust23THRUST_200600_302600_NS6detail15normal_iteratorINSA_10device_ptrIjEEEEPS6_NSA_18transform_iteratorINSB_9not_fun_tI7is_trueIjEEENSC_INSD_IbEEEENSA_11use_defaultESO_EENS0_5tupleIJSF_S6_EEENSQ_IJSG_SG_EEES6_PlJS6_EEE10hipError_tPvRmT3_T4_T5_T6_T7_T9_mT8_P12ihipStream_tbDpT10_ENKUlT_T0_E_clISt17integral_constantIbLb0EES1D_EEDaS18_S19_EUlS18_E_NS1_11comp_targetILNS1_3genE3ELNS1_11target_archE908ELNS1_3gpuE7ELNS1_3repE0EEENS1_30default_config_static_selectorELNS0_4arch9wavefront6targetE0EEEvT1_.uses_flat_scratch, 0
	.set _ZN7rocprim17ROCPRIM_400000_NS6detail17trampoline_kernelINS0_14default_configENS1_25partition_config_selectorILNS1_17partition_subalgoE5EjNS0_10empty_typeEbEEZZNS1_14partition_implILS5_5ELb0ES3_mN6thrust23THRUST_200600_302600_NS6detail15normal_iteratorINSA_10device_ptrIjEEEEPS6_NSA_18transform_iteratorINSB_9not_fun_tI7is_trueIjEEENSC_INSD_IbEEEENSA_11use_defaultESO_EENS0_5tupleIJSF_S6_EEENSQ_IJSG_SG_EEES6_PlJS6_EEE10hipError_tPvRmT3_T4_T5_T6_T7_T9_mT8_P12ihipStream_tbDpT10_ENKUlT_T0_E_clISt17integral_constantIbLb0EES1D_EEDaS18_S19_EUlS18_E_NS1_11comp_targetILNS1_3genE3ELNS1_11target_archE908ELNS1_3gpuE7ELNS1_3repE0EEENS1_30default_config_static_selectorELNS0_4arch9wavefront6targetE0EEEvT1_.has_dyn_sized_stack, 0
	.set _ZN7rocprim17ROCPRIM_400000_NS6detail17trampoline_kernelINS0_14default_configENS1_25partition_config_selectorILNS1_17partition_subalgoE5EjNS0_10empty_typeEbEEZZNS1_14partition_implILS5_5ELb0ES3_mN6thrust23THRUST_200600_302600_NS6detail15normal_iteratorINSA_10device_ptrIjEEEEPS6_NSA_18transform_iteratorINSB_9not_fun_tI7is_trueIjEEENSC_INSD_IbEEEENSA_11use_defaultESO_EENS0_5tupleIJSF_S6_EEENSQ_IJSG_SG_EEES6_PlJS6_EEE10hipError_tPvRmT3_T4_T5_T6_T7_T9_mT8_P12ihipStream_tbDpT10_ENKUlT_T0_E_clISt17integral_constantIbLb0EES1D_EEDaS18_S19_EUlS18_E_NS1_11comp_targetILNS1_3genE3ELNS1_11target_archE908ELNS1_3gpuE7ELNS1_3repE0EEENS1_30default_config_static_selectorELNS0_4arch9wavefront6targetE0EEEvT1_.has_recursion, 0
	.set _ZN7rocprim17ROCPRIM_400000_NS6detail17trampoline_kernelINS0_14default_configENS1_25partition_config_selectorILNS1_17partition_subalgoE5EjNS0_10empty_typeEbEEZZNS1_14partition_implILS5_5ELb0ES3_mN6thrust23THRUST_200600_302600_NS6detail15normal_iteratorINSA_10device_ptrIjEEEEPS6_NSA_18transform_iteratorINSB_9not_fun_tI7is_trueIjEEENSC_INSD_IbEEEENSA_11use_defaultESO_EENS0_5tupleIJSF_S6_EEENSQ_IJSG_SG_EEES6_PlJS6_EEE10hipError_tPvRmT3_T4_T5_T6_T7_T9_mT8_P12ihipStream_tbDpT10_ENKUlT_T0_E_clISt17integral_constantIbLb0EES1D_EEDaS18_S19_EUlS18_E_NS1_11comp_targetILNS1_3genE3ELNS1_11target_archE908ELNS1_3gpuE7ELNS1_3repE0EEENS1_30default_config_static_selectorELNS0_4arch9wavefront6targetE0EEEvT1_.has_indirect_call, 0
	.section	.AMDGPU.csdata,"",@progbits
; Kernel info:
; codeLenInByte = 0
; TotalNumSgprs: 0
; NumVgprs: 0
; ScratchSize: 0
; MemoryBound: 0
; FloatMode: 240
; IeeeMode: 1
; LDSByteSize: 0 bytes/workgroup (compile time only)
; SGPRBlocks: 0
; VGPRBlocks: 0
; NumSGPRsForWavesPerEU: 1
; NumVGPRsForWavesPerEU: 1
; Occupancy: 16
; WaveLimiterHint : 0
; COMPUTE_PGM_RSRC2:SCRATCH_EN: 0
; COMPUTE_PGM_RSRC2:USER_SGPR: 2
; COMPUTE_PGM_RSRC2:TRAP_HANDLER: 0
; COMPUTE_PGM_RSRC2:TGID_X_EN: 1
; COMPUTE_PGM_RSRC2:TGID_Y_EN: 0
; COMPUTE_PGM_RSRC2:TGID_Z_EN: 0
; COMPUTE_PGM_RSRC2:TIDIG_COMP_CNT: 0
	.section	.text._ZN7rocprim17ROCPRIM_400000_NS6detail17trampoline_kernelINS0_14default_configENS1_25partition_config_selectorILNS1_17partition_subalgoE5EjNS0_10empty_typeEbEEZZNS1_14partition_implILS5_5ELb0ES3_mN6thrust23THRUST_200600_302600_NS6detail15normal_iteratorINSA_10device_ptrIjEEEEPS6_NSA_18transform_iteratorINSB_9not_fun_tI7is_trueIjEEENSC_INSD_IbEEEENSA_11use_defaultESO_EENS0_5tupleIJSF_S6_EEENSQ_IJSG_SG_EEES6_PlJS6_EEE10hipError_tPvRmT3_T4_T5_T6_T7_T9_mT8_P12ihipStream_tbDpT10_ENKUlT_T0_E_clISt17integral_constantIbLb0EES1D_EEDaS18_S19_EUlS18_E_NS1_11comp_targetILNS1_3genE2ELNS1_11target_archE906ELNS1_3gpuE6ELNS1_3repE0EEENS1_30default_config_static_selectorELNS0_4arch9wavefront6targetE0EEEvT1_,"axG",@progbits,_ZN7rocprim17ROCPRIM_400000_NS6detail17trampoline_kernelINS0_14default_configENS1_25partition_config_selectorILNS1_17partition_subalgoE5EjNS0_10empty_typeEbEEZZNS1_14partition_implILS5_5ELb0ES3_mN6thrust23THRUST_200600_302600_NS6detail15normal_iteratorINSA_10device_ptrIjEEEEPS6_NSA_18transform_iteratorINSB_9not_fun_tI7is_trueIjEEENSC_INSD_IbEEEENSA_11use_defaultESO_EENS0_5tupleIJSF_S6_EEENSQ_IJSG_SG_EEES6_PlJS6_EEE10hipError_tPvRmT3_T4_T5_T6_T7_T9_mT8_P12ihipStream_tbDpT10_ENKUlT_T0_E_clISt17integral_constantIbLb0EES1D_EEDaS18_S19_EUlS18_E_NS1_11comp_targetILNS1_3genE2ELNS1_11target_archE906ELNS1_3gpuE6ELNS1_3repE0EEENS1_30default_config_static_selectorELNS0_4arch9wavefront6targetE0EEEvT1_,comdat
	.protected	_ZN7rocprim17ROCPRIM_400000_NS6detail17trampoline_kernelINS0_14default_configENS1_25partition_config_selectorILNS1_17partition_subalgoE5EjNS0_10empty_typeEbEEZZNS1_14partition_implILS5_5ELb0ES3_mN6thrust23THRUST_200600_302600_NS6detail15normal_iteratorINSA_10device_ptrIjEEEEPS6_NSA_18transform_iteratorINSB_9not_fun_tI7is_trueIjEEENSC_INSD_IbEEEENSA_11use_defaultESO_EENS0_5tupleIJSF_S6_EEENSQ_IJSG_SG_EEES6_PlJS6_EEE10hipError_tPvRmT3_T4_T5_T6_T7_T9_mT8_P12ihipStream_tbDpT10_ENKUlT_T0_E_clISt17integral_constantIbLb0EES1D_EEDaS18_S19_EUlS18_E_NS1_11comp_targetILNS1_3genE2ELNS1_11target_archE906ELNS1_3gpuE6ELNS1_3repE0EEENS1_30default_config_static_selectorELNS0_4arch9wavefront6targetE0EEEvT1_ ; -- Begin function _ZN7rocprim17ROCPRIM_400000_NS6detail17trampoline_kernelINS0_14default_configENS1_25partition_config_selectorILNS1_17partition_subalgoE5EjNS0_10empty_typeEbEEZZNS1_14partition_implILS5_5ELb0ES3_mN6thrust23THRUST_200600_302600_NS6detail15normal_iteratorINSA_10device_ptrIjEEEEPS6_NSA_18transform_iteratorINSB_9not_fun_tI7is_trueIjEEENSC_INSD_IbEEEENSA_11use_defaultESO_EENS0_5tupleIJSF_S6_EEENSQ_IJSG_SG_EEES6_PlJS6_EEE10hipError_tPvRmT3_T4_T5_T6_T7_T9_mT8_P12ihipStream_tbDpT10_ENKUlT_T0_E_clISt17integral_constantIbLb0EES1D_EEDaS18_S19_EUlS18_E_NS1_11comp_targetILNS1_3genE2ELNS1_11target_archE906ELNS1_3gpuE6ELNS1_3repE0EEENS1_30default_config_static_selectorELNS0_4arch9wavefront6targetE0EEEvT1_
	.globl	_ZN7rocprim17ROCPRIM_400000_NS6detail17trampoline_kernelINS0_14default_configENS1_25partition_config_selectorILNS1_17partition_subalgoE5EjNS0_10empty_typeEbEEZZNS1_14partition_implILS5_5ELb0ES3_mN6thrust23THRUST_200600_302600_NS6detail15normal_iteratorINSA_10device_ptrIjEEEEPS6_NSA_18transform_iteratorINSB_9not_fun_tI7is_trueIjEEENSC_INSD_IbEEEENSA_11use_defaultESO_EENS0_5tupleIJSF_S6_EEENSQ_IJSG_SG_EEES6_PlJS6_EEE10hipError_tPvRmT3_T4_T5_T6_T7_T9_mT8_P12ihipStream_tbDpT10_ENKUlT_T0_E_clISt17integral_constantIbLb0EES1D_EEDaS18_S19_EUlS18_E_NS1_11comp_targetILNS1_3genE2ELNS1_11target_archE906ELNS1_3gpuE6ELNS1_3repE0EEENS1_30default_config_static_selectorELNS0_4arch9wavefront6targetE0EEEvT1_
	.p2align	8
	.type	_ZN7rocprim17ROCPRIM_400000_NS6detail17trampoline_kernelINS0_14default_configENS1_25partition_config_selectorILNS1_17partition_subalgoE5EjNS0_10empty_typeEbEEZZNS1_14partition_implILS5_5ELb0ES3_mN6thrust23THRUST_200600_302600_NS6detail15normal_iteratorINSA_10device_ptrIjEEEEPS6_NSA_18transform_iteratorINSB_9not_fun_tI7is_trueIjEEENSC_INSD_IbEEEENSA_11use_defaultESO_EENS0_5tupleIJSF_S6_EEENSQ_IJSG_SG_EEES6_PlJS6_EEE10hipError_tPvRmT3_T4_T5_T6_T7_T9_mT8_P12ihipStream_tbDpT10_ENKUlT_T0_E_clISt17integral_constantIbLb0EES1D_EEDaS18_S19_EUlS18_E_NS1_11comp_targetILNS1_3genE2ELNS1_11target_archE906ELNS1_3gpuE6ELNS1_3repE0EEENS1_30default_config_static_selectorELNS0_4arch9wavefront6targetE0EEEvT1_,@function
_ZN7rocprim17ROCPRIM_400000_NS6detail17trampoline_kernelINS0_14default_configENS1_25partition_config_selectorILNS1_17partition_subalgoE5EjNS0_10empty_typeEbEEZZNS1_14partition_implILS5_5ELb0ES3_mN6thrust23THRUST_200600_302600_NS6detail15normal_iteratorINSA_10device_ptrIjEEEEPS6_NSA_18transform_iteratorINSB_9not_fun_tI7is_trueIjEEENSC_INSD_IbEEEENSA_11use_defaultESO_EENS0_5tupleIJSF_S6_EEENSQ_IJSG_SG_EEES6_PlJS6_EEE10hipError_tPvRmT3_T4_T5_T6_T7_T9_mT8_P12ihipStream_tbDpT10_ENKUlT_T0_E_clISt17integral_constantIbLb0EES1D_EEDaS18_S19_EUlS18_E_NS1_11comp_targetILNS1_3genE2ELNS1_11target_archE906ELNS1_3gpuE6ELNS1_3repE0EEENS1_30default_config_static_selectorELNS0_4arch9wavefront6targetE0EEEvT1_: ; @_ZN7rocprim17ROCPRIM_400000_NS6detail17trampoline_kernelINS0_14default_configENS1_25partition_config_selectorILNS1_17partition_subalgoE5EjNS0_10empty_typeEbEEZZNS1_14partition_implILS5_5ELb0ES3_mN6thrust23THRUST_200600_302600_NS6detail15normal_iteratorINSA_10device_ptrIjEEEEPS6_NSA_18transform_iteratorINSB_9not_fun_tI7is_trueIjEEENSC_INSD_IbEEEENSA_11use_defaultESO_EENS0_5tupleIJSF_S6_EEENSQ_IJSG_SG_EEES6_PlJS6_EEE10hipError_tPvRmT3_T4_T5_T6_T7_T9_mT8_P12ihipStream_tbDpT10_ENKUlT_T0_E_clISt17integral_constantIbLb0EES1D_EEDaS18_S19_EUlS18_E_NS1_11comp_targetILNS1_3genE2ELNS1_11target_archE906ELNS1_3gpuE6ELNS1_3repE0EEENS1_30default_config_static_selectorELNS0_4arch9wavefront6targetE0EEEvT1_
; %bb.0:
	.section	.rodata,"a",@progbits
	.p2align	6, 0x0
	.amdhsa_kernel _ZN7rocprim17ROCPRIM_400000_NS6detail17trampoline_kernelINS0_14default_configENS1_25partition_config_selectorILNS1_17partition_subalgoE5EjNS0_10empty_typeEbEEZZNS1_14partition_implILS5_5ELb0ES3_mN6thrust23THRUST_200600_302600_NS6detail15normal_iteratorINSA_10device_ptrIjEEEEPS6_NSA_18transform_iteratorINSB_9not_fun_tI7is_trueIjEEENSC_INSD_IbEEEENSA_11use_defaultESO_EENS0_5tupleIJSF_S6_EEENSQ_IJSG_SG_EEES6_PlJS6_EEE10hipError_tPvRmT3_T4_T5_T6_T7_T9_mT8_P12ihipStream_tbDpT10_ENKUlT_T0_E_clISt17integral_constantIbLb0EES1D_EEDaS18_S19_EUlS18_E_NS1_11comp_targetILNS1_3genE2ELNS1_11target_archE906ELNS1_3gpuE6ELNS1_3repE0EEENS1_30default_config_static_selectorELNS0_4arch9wavefront6targetE0EEEvT1_
		.amdhsa_group_segment_fixed_size 0
		.amdhsa_private_segment_fixed_size 0
		.amdhsa_kernarg_size 120
		.amdhsa_user_sgpr_count 2
		.amdhsa_user_sgpr_dispatch_ptr 0
		.amdhsa_user_sgpr_queue_ptr 0
		.amdhsa_user_sgpr_kernarg_segment_ptr 1
		.amdhsa_user_sgpr_dispatch_id 0
		.amdhsa_user_sgpr_private_segment_size 0
		.amdhsa_wavefront_size32 1
		.amdhsa_uses_dynamic_stack 0
		.amdhsa_enable_private_segment 0
		.amdhsa_system_sgpr_workgroup_id_x 1
		.amdhsa_system_sgpr_workgroup_id_y 0
		.amdhsa_system_sgpr_workgroup_id_z 0
		.amdhsa_system_sgpr_workgroup_info 0
		.amdhsa_system_vgpr_workitem_id 0
		.amdhsa_next_free_vgpr 1
		.amdhsa_next_free_sgpr 1
		.amdhsa_reserve_vcc 0
		.amdhsa_float_round_mode_32 0
		.amdhsa_float_round_mode_16_64 0
		.amdhsa_float_denorm_mode_32 3
		.amdhsa_float_denorm_mode_16_64 3
		.amdhsa_fp16_overflow 0
		.amdhsa_workgroup_processor_mode 1
		.amdhsa_memory_ordered 1
		.amdhsa_forward_progress 1
		.amdhsa_inst_pref_size 0
		.amdhsa_round_robin_scheduling 0
		.amdhsa_exception_fp_ieee_invalid_op 0
		.amdhsa_exception_fp_denorm_src 0
		.amdhsa_exception_fp_ieee_div_zero 0
		.amdhsa_exception_fp_ieee_overflow 0
		.amdhsa_exception_fp_ieee_underflow 0
		.amdhsa_exception_fp_ieee_inexact 0
		.amdhsa_exception_int_div_zero 0
	.end_amdhsa_kernel
	.section	.text._ZN7rocprim17ROCPRIM_400000_NS6detail17trampoline_kernelINS0_14default_configENS1_25partition_config_selectorILNS1_17partition_subalgoE5EjNS0_10empty_typeEbEEZZNS1_14partition_implILS5_5ELb0ES3_mN6thrust23THRUST_200600_302600_NS6detail15normal_iteratorINSA_10device_ptrIjEEEEPS6_NSA_18transform_iteratorINSB_9not_fun_tI7is_trueIjEEENSC_INSD_IbEEEENSA_11use_defaultESO_EENS0_5tupleIJSF_S6_EEENSQ_IJSG_SG_EEES6_PlJS6_EEE10hipError_tPvRmT3_T4_T5_T6_T7_T9_mT8_P12ihipStream_tbDpT10_ENKUlT_T0_E_clISt17integral_constantIbLb0EES1D_EEDaS18_S19_EUlS18_E_NS1_11comp_targetILNS1_3genE2ELNS1_11target_archE906ELNS1_3gpuE6ELNS1_3repE0EEENS1_30default_config_static_selectorELNS0_4arch9wavefront6targetE0EEEvT1_,"axG",@progbits,_ZN7rocprim17ROCPRIM_400000_NS6detail17trampoline_kernelINS0_14default_configENS1_25partition_config_selectorILNS1_17partition_subalgoE5EjNS0_10empty_typeEbEEZZNS1_14partition_implILS5_5ELb0ES3_mN6thrust23THRUST_200600_302600_NS6detail15normal_iteratorINSA_10device_ptrIjEEEEPS6_NSA_18transform_iteratorINSB_9not_fun_tI7is_trueIjEEENSC_INSD_IbEEEENSA_11use_defaultESO_EENS0_5tupleIJSF_S6_EEENSQ_IJSG_SG_EEES6_PlJS6_EEE10hipError_tPvRmT3_T4_T5_T6_T7_T9_mT8_P12ihipStream_tbDpT10_ENKUlT_T0_E_clISt17integral_constantIbLb0EES1D_EEDaS18_S19_EUlS18_E_NS1_11comp_targetILNS1_3genE2ELNS1_11target_archE906ELNS1_3gpuE6ELNS1_3repE0EEENS1_30default_config_static_selectorELNS0_4arch9wavefront6targetE0EEEvT1_,comdat
.Lfunc_end2433:
	.size	_ZN7rocprim17ROCPRIM_400000_NS6detail17trampoline_kernelINS0_14default_configENS1_25partition_config_selectorILNS1_17partition_subalgoE5EjNS0_10empty_typeEbEEZZNS1_14partition_implILS5_5ELb0ES3_mN6thrust23THRUST_200600_302600_NS6detail15normal_iteratorINSA_10device_ptrIjEEEEPS6_NSA_18transform_iteratorINSB_9not_fun_tI7is_trueIjEEENSC_INSD_IbEEEENSA_11use_defaultESO_EENS0_5tupleIJSF_S6_EEENSQ_IJSG_SG_EEES6_PlJS6_EEE10hipError_tPvRmT3_T4_T5_T6_T7_T9_mT8_P12ihipStream_tbDpT10_ENKUlT_T0_E_clISt17integral_constantIbLb0EES1D_EEDaS18_S19_EUlS18_E_NS1_11comp_targetILNS1_3genE2ELNS1_11target_archE906ELNS1_3gpuE6ELNS1_3repE0EEENS1_30default_config_static_selectorELNS0_4arch9wavefront6targetE0EEEvT1_, .Lfunc_end2433-_ZN7rocprim17ROCPRIM_400000_NS6detail17trampoline_kernelINS0_14default_configENS1_25partition_config_selectorILNS1_17partition_subalgoE5EjNS0_10empty_typeEbEEZZNS1_14partition_implILS5_5ELb0ES3_mN6thrust23THRUST_200600_302600_NS6detail15normal_iteratorINSA_10device_ptrIjEEEEPS6_NSA_18transform_iteratorINSB_9not_fun_tI7is_trueIjEEENSC_INSD_IbEEEENSA_11use_defaultESO_EENS0_5tupleIJSF_S6_EEENSQ_IJSG_SG_EEES6_PlJS6_EEE10hipError_tPvRmT3_T4_T5_T6_T7_T9_mT8_P12ihipStream_tbDpT10_ENKUlT_T0_E_clISt17integral_constantIbLb0EES1D_EEDaS18_S19_EUlS18_E_NS1_11comp_targetILNS1_3genE2ELNS1_11target_archE906ELNS1_3gpuE6ELNS1_3repE0EEENS1_30default_config_static_selectorELNS0_4arch9wavefront6targetE0EEEvT1_
                                        ; -- End function
	.set _ZN7rocprim17ROCPRIM_400000_NS6detail17trampoline_kernelINS0_14default_configENS1_25partition_config_selectorILNS1_17partition_subalgoE5EjNS0_10empty_typeEbEEZZNS1_14partition_implILS5_5ELb0ES3_mN6thrust23THRUST_200600_302600_NS6detail15normal_iteratorINSA_10device_ptrIjEEEEPS6_NSA_18transform_iteratorINSB_9not_fun_tI7is_trueIjEEENSC_INSD_IbEEEENSA_11use_defaultESO_EENS0_5tupleIJSF_S6_EEENSQ_IJSG_SG_EEES6_PlJS6_EEE10hipError_tPvRmT3_T4_T5_T6_T7_T9_mT8_P12ihipStream_tbDpT10_ENKUlT_T0_E_clISt17integral_constantIbLb0EES1D_EEDaS18_S19_EUlS18_E_NS1_11comp_targetILNS1_3genE2ELNS1_11target_archE906ELNS1_3gpuE6ELNS1_3repE0EEENS1_30default_config_static_selectorELNS0_4arch9wavefront6targetE0EEEvT1_.num_vgpr, 0
	.set _ZN7rocprim17ROCPRIM_400000_NS6detail17trampoline_kernelINS0_14default_configENS1_25partition_config_selectorILNS1_17partition_subalgoE5EjNS0_10empty_typeEbEEZZNS1_14partition_implILS5_5ELb0ES3_mN6thrust23THRUST_200600_302600_NS6detail15normal_iteratorINSA_10device_ptrIjEEEEPS6_NSA_18transform_iteratorINSB_9not_fun_tI7is_trueIjEEENSC_INSD_IbEEEENSA_11use_defaultESO_EENS0_5tupleIJSF_S6_EEENSQ_IJSG_SG_EEES6_PlJS6_EEE10hipError_tPvRmT3_T4_T5_T6_T7_T9_mT8_P12ihipStream_tbDpT10_ENKUlT_T0_E_clISt17integral_constantIbLb0EES1D_EEDaS18_S19_EUlS18_E_NS1_11comp_targetILNS1_3genE2ELNS1_11target_archE906ELNS1_3gpuE6ELNS1_3repE0EEENS1_30default_config_static_selectorELNS0_4arch9wavefront6targetE0EEEvT1_.num_agpr, 0
	.set _ZN7rocprim17ROCPRIM_400000_NS6detail17trampoline_kernelINS0_14default_configENS1_25partition_config_selectorILNS1_17partition_subalgoE5EjNS0_10empty_typeEbEEZZNS1_14partition_implILS5_5ELb0ES3_mN6thrust23THRUST_200600_302600_NS6detail15normal_iteratorINSA_10device_ptrIjEEEEPS6_NSA_18transform_iteratorINSB_9not_fun_tI7is_trueIjEEENSC_INSD_IbEEEENSA_11use_defaultESO_EENS0_5tupleIJSF_S6_EEENSQ_IJSG_SG_EEES6_PlJS6_EEE10hipError_tPvRmT3_T4_T5_T6_T7_T9_mT8_P12ihipStream_tbDpT10_ENKUlT_T0_E_clISt17integral_constantIbLb0EES1D_EEDaS18_S19_EUlS18_E_NS1_11comp_targetILNS1_3genE2ELNS1_11target_archE906ELNS1_3gpuE6ELNS1_3repE0EEENS1_30default_config_static_selectorELNS0_4arch9wavefront6targetE0EEEvT1_.numbered_sgpr, 0
	.set _ZN7rocprim17ROCPRIM_400000_NS6detail17trampoline_kernelINS0_14default_configENS1_25partition_config_selectorILNS1_17partition_subalgoE5EjNS0_10empty_typeEbEEZZNS1_14partition_implILS5_5ELb0ES3_mN6thrust23THRUST_200600_302600_NS6detail15normal_iteratorINSA_10device_ptrIjEEEEPS6_NSA_18transform_iteratorINSB_9not_fun_tI7is_trueIjEEENSC_INSD_IbEEEENSA_11use_defaultESO_EENS0_5tupleIJSF_S6_EEENSQ_IJSG_SG_EEES6_PlJS6_EEE10hipError_tPvRmT3_T4_T5_T6_T7_T9_mT8_P12ihipStream_tbDpT10_ENKUlT_T0_E_clISt17integral_constantIbLb0EES1D_EEDaS18_S19_EUlS18_E_NS1_11comp_targetILNS1_3genE2ELNS1_11target_archE906ELNS1_3gpuE6ELNS1_3repE0EEENS1_30default_config_static_selectorELNS0_4arch9wavefront6targetE0EEEvT1_.num_named_barrier, 0
	.set _ZN7rocprim17ROCPRIM_400000_NS6detail17trampoline_kernelINS0_14default_configENS1_25partition_config_selectorILNS1_17partition_subalgoE5EjNS0_10empty_typeEbEEZZNS1_14partition_implILS5_5ELb0ES3_mN6thrust23THRUST_200600_302600_NS6detail15normal_iteratorINSA_10device_ptrIjEEEEPS6_NSA_18transform_iteratorINSB_9not_fun_tI7is_trueIjEEENSC_INSD_IbEEEENSA_11use_defaultESO_EENS0_5tupleIJSF_S6_EEENSQ_IJSG_SG_EEES6_PlJS6_EEE10hipError_tPvRmT3_T4_T5_T6_T7_T9_mT8_P12ihipStream_tbDpT10_ENKUlT_T0_E_clISt17integral_constantIbLb0EES1D_EEDaS18_S19_EUlS18_E_NS1_11comp_targetILNS1_3genE2ELNS1_11target_archE906ELNS1_3gpuE6ELNS1_3repE0EEENS1_30default_config_static_selectorELNS0_4arch9wavefront6targetE0EEEvT1_.private_seg_size, 0
	.set _ZN7rocprim17ROCPRIM_400000_NS6detail17trampoline_kernelINS0_14default_configENS1_25partition_config_selectorILNS1_17partition_subalgoE5EjNS0_10empty_typeEbEEZZNS1_14partition_implILS5_5ELb0ES3_mN6thrust23THRUST_200600_302600_NS6detail15normal_iteratorINSA_10device_ptrIjEEEEPS6_NSA_18transform_iteratorINSB_9not_fun_tI7is_trueIjEEENSC_INSD_IbEEEENSA_11use_defaultESO_EENS0_5tupleIJSF_S6_EEENSQ_IJSG_SG_EEES6_PlJS6_EEE10hipError_tPvRmT3_T4_T5_T6_T7_T9_mT8_P12ihipStream_tbDpT10_ENKUlT_T0_E_clISt17integral_constantIbLb0EES1D_EEDaS18_S19_EUlS18_E_NS1_11comp_targetILNS1_3genE2ELNS1_11target_archE906ELNS1_3gpuE6ELNS1_3repE0EEENS1_30default_config_static_selectorELNS0_4arch9wavefront6targetE0EEEvT1_.uses_vcc, 0
	.set _ZN7rocprim17ROCPRIM_400000_NS6detail17trampoline_kernelINS0_14default_configENS1_25partition_config_selectorILNS1_17partition_subalgoE5EjNS0_10empty_typeEbEEZZNS1_14partition_implILS5_5ELb0ES3_mN6thrust23THRUST_200600_302600_NS6detail15normal_iteratorINSA_10device_ptrIjEEEEPS6_NSA_18transform_iteratorINSB_9not_fun_tI7is_trueIjEEENSC_INSD_IbEEEENSA_11use_defaultESO_EENS0_5tupleIJSF_S6_EEENSQ_IJSG_SG_EEES6_PlJS6_EEE10hipError_tPvRmT3_T4_T5_T6_T7_T9_mT8_P12ihipStream_tbDpT10_ENKUlT_T0_E_clISt17integral_constantIbLb0EES1D_EEDaS18_S19_EUlS18_E_NS1_11comp_targetILNS1_3genE2ELNS1_11target_archE906ELNS1_3gpuE6ELNS1_3repE0EEENS1_30default_config_static_selectorELNS0_4arch9wavefront6targetE0EEEvT1_.uses_flat_scratch, 0
	.set _ZN7rocprim17ROCPRIM_400000_NS6detail17trampoline_kernelINS0_14default_configENS1_25partition_config_selectorILNS1_17partition_subalgoE5EjNS0_10empty_typeEbEEZZNS1_14partition_implILS5_5ELb0ES3_mN6thrust23THRUST_200600_302600_NS6detail15normal_iteratorINSA_10device_ptrIjEEEEPS6_NSA_18transform_iteratorINSB_9not_fun_tI7is_trueIjEEENSC_INSD_IbEEEENSA_11use_defaultESO_EENS0_5tupleIJSF_S6_EEENSQ_IJSG_SG_EEES6_PlJS6_EEE10hipError_tPvRmT3_T4_T5_T6_T7_T9_mT8_P12ihipStream_tbDpT10_ENKUlT_T0_E_clISt17integral_constantIbLb0EES1D_EEDaS18_S19_EUlS18_E_NS1_11comp_targetILNS1_3genE2ELNS1_11target_archE906ELNS1_3gpuE6ELNS1_3repE0EEENS1_30default_config_static_selectorELNS0_4arch9wavefront6targetE0EEEvT1_.has_dyn_sized_stack, 0
	.set _ZN7rocprim17ROCPRIM_400000_NS6detail17trampoline_kernelINS0_14default_configENS1_25partition_config_selectorILNS1_17partition_subalgoE5EjNS0_10empty_typeEbEEZZNS1_14partition_implILS5_5ELb0ES3_mN6thrust23THRUST_200600_302600_NS6detail15normal_iteratorINSA_10device_ptrIjEEEEPS6_NSA_18transform_iteratorINSB_9not_fun_tI7is_trueIjEEENSC_INSD_IbEEEENSA_11use_defaultESO_EENS0_5tupleIJSF_S6_EEENSQ_IJSG_SG_EEES6_PlJS6_EEE10hipError_tPvRmT3_T4_T5_T6_T7_T9_mT8_P12ihipStream_tbDpT10_ENKUlT_T0_E_clISt17integral_constantIbLb0EES1D_EEDaS18_S19_EUlS18_E_NS1_11comp_targetILNS1_3genE2ELNS1_11target_archE906ELNS1_3gpuE6ELNS1_3repE0EEENS1_30default_config_static_selectorELNS0_4arch9wavefront6targetE0EEEvT1_.has_recursion, 0
	.set _ZN7rocprim17ROCPRIM_400000_NS6detail17trampoline_kernelINS0_14default_configENS1_25partition_config_selectorILNS1_17partition_subalgoE5EjNS0_10empty_typeEbEEZZNS1_14partition_implILS5_5ELb0ES3_mN6thrust23THRUST_200600_302600_NS6detail15normal_iteratorINSA_10device_ptrIjEEEEPS6_NSA_18transform_iteratorINSB_9not_fun_tI7is_trueIjEEENSC_INSD_IbEEEENSA_11use_defaultESO_EENS0_5tupleIJSF_S6_EEENSQ_IJSG_SG_EEES6_PlJS6_EEE10hipError_tPvRmT3_T4_T5_T6_T7_T9_mT8_P12ihipStream_tbDpT10_ENKUlT_T0_E_clISt17integral_constantIbLb0EES1D_EEDaS18_S19_EUlS18_E_NS1_11comp_targetILNS1_3genE2ELNS1_11target_archE906ELNS1_3gpuE6ELNS1_3repE0EEENS1_30default_config_static_selectorELNS0_4arch9wavefront6targetE0EEEvT1_.has_indirect_call, 0
	.section	.AMDGPU.csdata,"",@progbits
; Kernel info:
; codeLenInByte = 0
; TotalNumSgprs: 0
; NumVgprs: 0
; ScratchSize: 0
; MemoryBound: 0
; FloatMode: 240
; IeeeMode: 1
; LDSByteSize: 0 bytes/workgroup (compile time only)
; SGPRBlocks: 0
; VGPRBlocks: 0
; NumSGPRsForWavesPerEU: 1
; NumVGPRsForWavesPerEU: 1
; Occupancy: 16
; WaveLimiterHint : 0
; COMPUTE_PGM_RSRC2:SCRATCH_EN: 0
; COMPUTE_PGM_RSRC2:USER_SGPR: 2
; COMPUTE_PGM_RSRC2:TRAP_HANDLER: 0
; COMPUTE_PGM_RSRC2:TGID_X_EN: 1
; COMPUTE_PGM_RSRC2:TGID_Y_EN: 0
; COMPUTE_PGM_RSRC2:TGID_Z_EN: 0
; COMPUTE_PGM_RSRC2:TIDIG_COMP_CNT: 0
	.section	.text._ZN7rocprim17ROCPRIM_400000_NS6detail17trampoline_kernelINS0_14default_configENS1_25partition_config_selectorILNS1_17partition_subalgoE5EjNS0_10empty_typeEbEEZZNS1_14partition_implILS5_5ELb0ES3_mN6thrust23THRUST_200600_302600_NS6detail15normal_iteratorINSA_10device_ptrIjEEEEPS6_NSA_18transform_iteratorINSB_9not_fun_tI7is_trueIjEEENSC_INSD_IbEEEENSA_11use_defaultESO_EENS0_5tupleIJSF_S6_EEENSQ_IJSG_SG_EEES6_PlJS6_EEE10hipError_tPvRmT3_T4_T5_T6_T7_T9_mT8_P12ihipStream_tbDpT10_ENKUlT_T0_E_clISt17integral_constantIbLb0EES1D_EEDaS18_S19_EUlS18_E_NS1_11comp_targetILNS1_3genE10ELNS1_11target_archE1200ELNS1_3gpuE4ELNS1_3repE0EEENS1_30default_config_static_selectorELNS0_4arch9wavefront6targetE0EEEvT1_,"axG",@progbits,_ZN7rocprim17ROCPRIM_400000_NS6detail17trampoline_kernelINS0_14default_configENS1_25partition_config_selectorILNS1_17partition_subalgoE5EjNS0_10empty_typeEbEEZZNS1_14partition_implILS5_5ELb0ES3_mN6thrust23THRUST_200600_302600_NS6detail15normal_iteratorINSA_10device_ptrIjEEEEPS6_NSA_18transform_iteratorINSB_9not_fun_tI7is_trueIjEEENSC_INSD_IbEEEENSA_11use_defaultESO_EENS0_5tupleIJSF_S6_EEENSQ_IJSG_SG_EEES6_PlJS6_EEE10hipError_tPvRmT3_T4_T5_T6_T7_T9_mT8_P12ihipStream_tbDpT10_ENKUlT_T0_E_clISt17integral_constantIbLb0EES1D_EEDaS18_S19_EUlS18_E_NS1_11comp_targetILNS1_3genE10ELNS1_11target_archE1200ELNS1_3gpuE4ELNS1_3repE0EEENS1_30default_config_static_selectorELNS0_4arch9wavefront6targetE0EEEvT1_,comdat
	.protected	_ZN7rocprim17ROCPRIM_400000_NS6detail17trampoline_kernelINS0_14default_configENS1_25partition_config_selectorILNS1_17partition_subalgoE5EjNS0_10empty_typeEbEEZZNS1_14partition_implILS5_5ELb0ES3_mN6thrust23THRUST_200600_302600_NS6detail15normal_iteratorINSA_10device_ptrIjEEEEPS6_NSA_18transform_iteratorINSB_9not_fun_tI7is_trueIjEEENSC_INSD_IbEEEENSA_11use_defaultESO_EENS0_5tupleIJSF_S6_EEENSQ_IJSG_SG_EEES6_PlJS6_EEE10hipError_tPvRmT3_T4_T5_T6_T7_T9_mT8_P12ihipStream_tbDpT10_ENKUlT_T0_E_clISt17integral_constantIbLb0EES1D_EEDaS18_S19_EUlS18_E_NS1_11comp_targetILNS1_3genE10ELNS1_11target_archE1200ELNS1_3gpuE4ELNS1_3repE0EEENS1_30default_config_static_selectorELNS0_4arch9wavefront6targetE0EEEvT1_ ; -- Begin function _ZN7rocprim17ROCPRIM_400000_NS6detail17trampoline_kernelINS0_14default_configENS1_25partition_config_selectorILNS1_17partition_subalgoE5EjNS0_10empty_typeEbEEZZNS1_14partition_implILS5_5ELb0ES3_mN6thrust23THRUST_200600_302600_NS6detail15normal_iteratorINSA_10device_ptrIjEEEEPS6_NSA_18transform_iteratorINSB_9not_fun_tI7is_trueIjEEENSC_INSD_IbEEEENSA_11use_defaultESO_EENS0_5tupleIJSF_S6_EEENSQ_IJSG_SG_EEES6_PlJS6_EEE10hipError_tPvRmT3_T4_T5_T6_T7_T9_mT8_P12ihipStream_tbDpT10_ENKUlT_T0_E_clISt17integral_constantIbLb0EES1D_EEDaS18_S19_EUlS18_E_NS1_11comp_targetILNS1_3genE10ELNS1_11target_archE1200ELNS1_3gpuE4ELNS1_3repE0EEENS1_30default_config_static_selectorELNS0_4arch9wavefront6targetE0EEEvT1_
	.globl	_ZN7rocprim17ROCPRIM_400000_NS6detail17trampoline_kernelINS0_14default_configENS1_25partition_config_selectorILNS1_17partition_subalgoE5EjNS0_10empty_typeEbEEZZNS1_14partition_implILS5_5ELb0ES3_mN6thrust23THRUST_200600_302600_NS6detail15normal_iteratorINSA_10device_ptrIjEEEEPS6_NSA_18transform_iteratorINSB_9not_fun_tI7is_trueIjEEENSC_INSD_IbEEEENSA_11use_defaultESO_EENS0_5tupleIJSF_S6_EEENSQ_IJSG_SG_EEES6_PlJS6_EEE10hipError_tPvRmT3_T4_T5_T6_T7_T9_mT8_P12ihipStream_tbDpT10_ENKUlT_T0_E_clISt17integral_constantIbLb0EES1D_EEDaS18_S19_EUlS18_E_NS1_11comp_targetILNS1_3genE10ELNS1_11target_archE1200ELNS1_3gpuE4ELNS1_3repE0EEENS1_30default_config_static_selectorELNS0_4arch9wavefront6targetE0EEEvT1_
	.p2align	8
	.type	_ZN7rocprim17ROCPRIM_400000_NS6detail17trampoline_kernelINS0_14default_configENS1_25partition_config_selectorILNS1_17partition_subalgoE5EjNS0_10empty_typeEbEEZZNS1_14partition_implILS5_5ELb0ES3_mN6thrust23THRUST_200600_302600_NS6detail15normal_iteratorINSA_10device_ptrIjEEEEPS6_NSA_18transform_iteratorINSB_9not_fun_tI7is_trueIjEEENSC_INSD_IbEEEENSA_11use_defaultESO_EENS0_5tupleIJSF_S6_EEENSQ_IJSG_SG_EEES6_PlJS6_EEE10hipError_tPvRmT3_T4_T5_T6_T7_T9_mT8_P12ihipStream_tbDpT10_ENKUlT_T0_E_clISt17integral_constantIbLb0EES1D_EEDaS18_S19_EUlS18_E_NS1_11comp_targetILNS1_3genE10ELNS1_11target_archE1200ELNS1_3gpuE4ELNS1_3repE0EEENS1_30default_config_static_selectorELNS0_4arch9wavefront6targetE0EEEvT1_,@function
_ZN7rocprim17ROCPRIM_400000_NS6detail17trampoline_kernelINS0_14default_configENS1_25partition_config_selectorILNS1_17partition_subalgoE5EjNS0_10empty_typeEbEEZZNS1_14partition_implILS5_5ELb0ES3_mN6thrust23THRUST_200600_302600_NS6detail15normal_iteratorINSA_10device_ptrIjEEEEPS6_NSA_18transform_iteratorINSB_9not_fun_tI7is_trueIjEEENSC_INSD_IbEEEENSA_11use_defaultESO_EENS0_5tupleIJSF_S6_EEENSQ_IJSG_SG_EEES6_PlJS6_EEE10hipError_tPvRmT3_T4_T5_T6_T7_T9_mT8_P12ihipStream_tbDpT10_ENKUlT_T0_E_clISt17integral_constantIbLb0EES1D_EEDaS18_S19_EUlS18_E_NS1_11comp_targetILNS1_3genE10ELNS1_11target_archE1200ELNS1_3gpuE4ELNS1_3repE0EEENS1_30default_config_static_selectorELNS0_4arch9wavefront6targetE0EEEvT1_: ; @_ZN7rocprim17ROCPRIM_400000_NS6detail17trampoline_kernelINS0_14default_configENS1_25partition_config_selectorILNS1_17partition_subalgoE5EjNS0_10empty_typeEbEEZZNS1_14partition_implILS5_5ELb0ES3_mN6thrust23THRUST_200600_302600_NS6detail15normal_iteratorINSA_10device_ptrIjEEEEPS6_NSA_18transform_iteratorINSB_9not_fun_tI7is_trueIjEEENSC_INSD_IbEEEENSA_11use_defaultESO_EENS0_5tupleIJSF_S6_EEENSQ_IJSG_SG_EEES6_PlJS6_EEE10hipError_tPvRmT3_T4_T5_T6_T7_T9_mT8_P12ihipStream_tbDpT10_ENKUlT_T0_E_clISt17integral_constantIbLb0EES1D_EEDaS18_S19_EUlS18_E_NS1_11comp_targetILNS1_3genE10ELNS1_11target_archE1200ELNS1_3gpuE4ELNS1_3repE0EEENS1_30default_config_static_selectorELNS0_4arch9wavefront6targetE0EEEvT1_
; %bb.0:
	s_clause 0x3
	s_load_b128 s[4:7], s[0:1], 0x8
	s_load_b128 s[8:11], s[0:1], 0x48
	s_load_b32 s2, s[0:1], 0x70
	s_load_b64 s[14:15], s[0:1], 0x58
	s_mov_b32 s13, 0
	s_mul_i32 s19, ttmp9, 0x600
	v_lshlrev_b32_e32 v9, 2, v0
	v_lshrrev_b32_e32 v10, 3, v0
	v_add_nc_u32_e32 v22, 0x180, v0
	v_add_nc_u32_e32 v21, 0x240, v0
	v_or_b32_e32 v19, 0x300, v0
	v_add_nc_u32_e32 v17, 0x3c0, v0
	v_add_nc_u32_e32 v18, 0x480, v0
	;; [unrolled: 1-line block ×3, first 2 shown]
	s_mov_b32 s3, -1
	s_wait_kmcnt 0x0
	s_lshl_b64 s[20:21], s[6:7], 2
	s_load_b64 s[10:11], s[10:11], 0x0
	s_mul_i32 s12, s2, 0x600
	s_add_co_i32 s2, s2, -1
	s_add_co_i32 s18, s12, s6
	s_add_nc_u64 s[16:17], s[6:7], s[12:13]
	s_sub_co_i32 s18, s14, s18
	v_cmp_le_u64_e64 s12, s[14:15], s[16:17]
	s_addk_co_i32 s18, 0x600
	s_cmp_eq_u32 ttmp9, s2
	s_add_nc_u64 s[4:5], s[4:5], s[20:21]
	s_cselect_b32 s16, -1, 0
	s_wait_alu 0xfffe
	s_and_b32 s2, s16, s12
	s_mov_b32 s12, s19
	s_xor_b32 s17, s2, -1
	s_lshl_b64 s[14:15], s[12:13], 2
	s_wait_alu 0xfffe
	s_and_b32 vcc_lo, exec_lo, s17
	s_add_nc_u64 s[4:5], s[4:5], s[14:15]
	s_cbranch_vccz .LBB2434_2
; %bb.1:
	v_add_co_u32 v1, s2, s4, v9
	s_delay_alu instid0(VALU_DEP_1)
	v_add_co_ci_u32_e64 v2, null, s5, 0, s2
	v_add_nc_u32_e32 v12, 0xc0, v0
	v_lshrrev_b32_e32 v13, 3, v22
	v_lshrrev_b32_e32 v14, 3, v21
	s_clause 0x7
	flat_load_b32 v3, v[1:2]
	flat_load_b32 v4, v[1:2] offset:768
	flat_load_b32 v5, v[1:2] offset:1536
	;; [unrolled: 1-line block ×7, first 2 shown]
	v_lshrrev_b32_e32 v15, 3, v19
	v_lshrrev_b32_e32 v12, 3, v12
	v_and_b32_e32 v2, 28, v10
	v_lshrrev_b32_e32 v16, 3, v17
	v_lshrrev_b32_e32 v23, 3, v18
	;; [unrolled: 1-line block ×3, first 2 shown]
	v_and_b32_e32 v12, 60, v12
	v_and_b32_e32 v13, 0x7c, v13
	;; [unrolled: 1-line block ×4, first 2 shown]
	v_add_nc_u32_e32 v2, v2, v9
	v_and_b32_e32 v16, 0xfc, v16
	v_and_b32_e32 v23, 0xbc, v23
	;; [unrolled: 1-line block ×3, first 2 shown]
	v_add_nc_u32_e32 v12, v12, v9
	v_add_nc_u32_e32 v13, v13, v9
	;; [unrolled: 1-line block ×4, first 2 shown]
	s_mov_b32 s3, s13
	v_add_nc_u32_e32 v16, v16, v9
	v_add_nc_u32_e32 v23, v23, v9
	;; [unrolled: 1-line block ×3, first 2 shown]
	s_wait_loadcnt_dscnt 0x707
	ds_store_b32 v2, v3
	s_wait_loadcnt_dscnt 0x607
	ds_store_b32 v12, v4 offset:768
	s_wait_loadcnt_dscnt 0x507
	ds_store_b32 v13, v5 offset:1536
	;; [unrolled: 2-line block ×7, first 2 shown]
	s_wait_dscnt 0x0
	s_barrier_signal -1
	s_barrier_wait -1
.LBB2434_2:
	s_load_b64 s[14:15], s[0:1], 0x20
	v_cmp_gt_u32_e64 s2, s18, v0
	s_and_not1_b32 vcc_lo, exec_lo, s3
	s_cbranch_vccnz .LBB2434_14
; %bb.3:
	v_mov_b32_e32 v1, 0
	s_delay_alu instid0(VALU_DEP_1)
	v_dual_mov_b32 v2, v1 :: v_dual_mov_b32 v3, v1
	v_dual_mov_b32 v4, v1 :: v_dual_mov_b32 v5, v1
	;; [unrolled: 1-line block ×3, first 2 shown]
	v_mov_b32_e32 v8, v1
	s_and_saveexec_b32 s3, s2
	s_cbranch_execz .LBB2434_5
; %bb.4:
	v_add_co_u32 v2, s2, s4, v9
	s_wait_alu 0xf1ff
	v_add_co_ci_u32_e64 v3, null, s5, 0, s2
	v_dual_mov_b32 v24, v1 :: v_dual_mov_b32 v25, v1
	v_dual_mov_b32 v26, v1 :: v_dual_mov_b32 v27, v1
	flat_load_b32 v23, v[2:3]
	v_dual_mov_b32 v28, v1 :: v_dual_mov_b32 v29, v1
	v_mov_b32_e32 v30, v1
	s_wait_loadcnt_dscnt 0x0
	v_dual_mov_b32 v1, v23 :: v_dual_mov_b32 v2, v24
	v_dual_mov_b32 v3, v25 :: v_dual_mov_b32 v4, v26
	;; [unrolled: 1-line block ×4, first 2 shown]
.LBB2434_5:
	s_wait_alu 0xfffe
	s_or_b32 exec_lo, exec_lo, s3
	v_add_nc_u32_e32 v11, 0xc0, v0
	s_mov_b32 s2, exec_lo
	s_delay_alu instid0(VALU_DEP_1)
	v_cmpx_gt_u32_e64 s18, v11
	s_cbranch_execnz .LBB2434_158
; %bb.6:
	s_wait_alu 0xfffe
	s_or_b32 exec_lo, exec_lo, s2
	s_delay_alu instid0(SALU_CYCLE_1)
	s_mov_b32 s2, exec_lo
	v_cmpx_gt_u32_e64 s18, v22
	s_cbranch_execnz .LBB2434_159
.LBB2434_7:
	s_wait_alu 0xfffe
	s_or_b32 exec_lo, exec_lo, s2
	s_delay_alu instid0(SALU_CYCLE_1)
	s_mov_b32 s2, exec_lo
	v_cmpx_gt_u32_e64 s18, v21
	s_cbranch_execnz .LBB2434_160
.LBB2434_8:
	s_wait_alu 0xfffe
	s_or_b32 exec_lo, exec_lo, s2
	s_delay_alu instid0(SALU_CYCLE_1)
	s_mov_b32 s2, exec_lo
	v_cmpx_gt_u32_e64 s18, v19
	s_cbranch_execnz .LBB2434_161
.LBB2434_9:
	s_wait_alu 0xfffe
	s_or_b32 exec_lo, exec_lo, s2
	s_delay_alu instid0(SALU_CYCLE_1)
	s_mov_b32 s2, exec_lo
	v_cmpx_gt_u32_e64 s18, v17
	s_cbranch_execnz .LBB2434_162
.LBB2434_10:
	s_wait_alu 0xfffe
	s_or_b32 exec_lo, exec_lo, s2
	s_delay_alu instid0(SALU_CYCLE_1)
	s_mov_b32 s2, exec_lo
	v_cmpx_gt_u32_e64 s18, v18
	s_cbranch_execnz .LBB2434_163
.LBB2434_11:
	s_wait_alu 0xfffe
	s_or_b32 exec_lo, exec_lo, s2
	s_delay_alu instid0(SALU_CYCLE_1)
	s_mov_b32 s2, exec_lo
	v_cmpx_gt_u32_e64 s18, v20
	s_cbranch_execz .LBB2434_13
.LBB2434_12:
	v_add_co_u32 v12, s3, s4, v9
	s_wait_alu 0xf1ff
	v_add_co_ci_u32_e64 v13, null, s5, 0, s3
	flat_load_b32 v8, v[12:13] offset:5376
.LBB2434_13:
	s_wait_alu 0xfffe
	s_or_b32 exec_lo, exec_lo, s2
	v_lshrrev_b32_e32 v11, 3, v11
	v_lshrrev_b32_e32 v12, 3, v22
	v_lshrrev_b32_e32 v13, 3, v21
	v_lshrrev_b32_e32 v14, 3, v19
	v_and_b32_e32 v10, 28, v10
	v_lshrrev_b32_e32 v15, 3, v17
	v_lshrrev_b32_e32 v16, 3, v18
	;; [unrolled: 1-line block ×3, first 2 shown]
	v_and_b32_e32 v11, 60, v11
	v_and_b32_e32 v12, 0x7c, v12
	;; [unrolled: 1-line block ×4, first 2 shown]
	v_add_nc_u32_e32 v10, v10, v9
	v_and_b32_e32 v15, 0xfc, v15
	v_and_b32_e32 v16, 0xfc, v16
	;; [unrolled: 1-line block ×3, first 2 shown]
	v_add_nc_u32_e32 v11, v11, v9
	v_add_nc_u32_e32 v12, v12, v9
	;; [unrolled: 1-line block ×7, first 2 shown]
	ds_store_b32 v10, v1
	s_wait_loadcnt_dscnt 0x1
	ds_store_b32 v11, v2 offset:768
	ds_store_b32 v12, v3 offset:1536
	;; [unrolled: 1-line block ×7, first 2 shown]
	s_wait_dscnt 0x0
	s_barrier_signal -1
	s_barrier_wait -1
.LBB2434_14:
	v_and_b32_e32 v1, 0xfc, v0
	global_inv scope:SCOPE_SE
	v_lshrrev_b32_e32 v35, 5, v0
	s_wait_kmcnt 0x0
	s_add_nc_u64 s[2:3], s[14:15], s[6:7]
	s_and_b32 vcc_lo, exec_lo, s17
	v_lshl_add_u32 v1, v0, 5, v1
	s_wait_alu 0xfffe
	s_add_nc_u64 s[2:3], s[2:3], s[12:13]
	s_mov_b32 s4, -1
	ds_load_2addr_b32 v[15:16], v1 offset1:1
	ds_load_2addr_b32 v[13:14], v1 offset0:2 offset1:3
	ds_load_2addr_b32 v[11:12], v1 offset0:4 offset1:5
	;; [unrolled: 1-line block ×3, first 2 shown]
	s_wait_loadcnt_dscnt 0x0
	s_barrier_signal -1
	s_barrier_wait -1
	global_inv scope:SCOPE_SE
	s_cbranch_vccz .LBB2434_16
; %bb.15:
	s_clause 0x7
	global_load_u8 v1, v0, s[2:3]
	global_load_u8 v2, v0, s[2:3] offset:192
	global_load_u8 v3, v0, s[2:3] offset:384
	;; [unrolled: 1-line block ×7, first 2 shown]
	v_add_nc_u32_e32 v24, 0xc0, v0
	v_lshrrev_b32_e32 v25, 5, v22
	v_lshrrev_b32_e32 v26, 5, v21
	;; [unrolled: 1-line block ×3, first 2 shown]
	v_and_b32_e32 v23, 4, v35
	v_lshrrev_b32_e32 v24, 5, v24
	v_lshrrev_b32_e32 v28, 5, v17
	;; [unrolled: 1-line block ×4, first 2 shown]
	v_and_b32_e32 v25, 28, v25
	v_and_b32_e32 v24, 12, v24
	;; [unrolled: 1-line block ×4, first 2 shown]
	v_add_nc_u32_e32 v23, v23, v0
	v_and_b32_e32 v28, 60, v28
	v_and_b32_e32 v29, 44, v29
	;; [unrolled: 1-line block ×3, first 2 shown]
	v_add_nc_u32_e32 v24, v24, v0
	v_add_nc_u32_e32 v25, v25, v0
	;; [unrolled: 1-line block ×4, first 2 shown]
	s_mov_b32 s4, 0
	v_add_nc_u32_e32 v28, v28, v0
	v_add_nc_u32_e32 v29, v29, v0
	;; [unrolled: 1-line block ×3, first 2 shown]
	s_wait_loadcnt 0x7
	v_xor_b32_e32 v1, 1, v1
	s_wait_loadcnt 0x6
	v_xor_b32_e32 v2, 1, v2
	;; [unrolled: 2-line block ×8, first 2 shown]
	ds_store_b8 v23, v1
	ds_store_b8 v24, v2 offset:192
	ds_store_b8 v25, v3 offset:384
	;; [unrolled: 1-line block ×7, first 2 shown]
	s_wait_dscnt 0x0
	s_barrier_signal -1
	s_barrier_wait -1
.LBB2434_16:
	v_lshlrev_b32_e32 v38, 3, v0
	v_lshrrev_b32_e32 v1, 2, v0
	s_wait_alu 0xfffe
	s_and_not1_b32 vcc_lo, exec_lo, s4
	s_cbranch_vccnz .LBB2434_28
; %bb.17:
	v_mov_b32_e32 v2, 0
	s_mov_b32 s5, 0
	s_mov_b32 s4, exec_lo
	s_delay_alu instid0(VALU_DEP_1)
	v_dual_mov_b32 v3, v2 :: v_dual_mov_b32 v4, v2
	v_cmpx_gt_u32_e64 s18, v0
	s_cbranch_execz .LBB2434_19
; %bb.18:
	global_load_u8 v2, v0, s[2:3]
	s_wait_alu 0xfffe
	v_mov_b32_e32 v3, s5
	s_wait_loadcnt 0x0
	v_xor_b32_e32 v4, 1, v2
	s_delay_alu instid0(VALU_DEP_1) | instskip(NEXT) | instid1(VALU_DEP_1)
	v_and_b32_e32 v2, 1, v4
	v_and_b32_e32 v2, 0xffff, v2
.LBB2434_19:
	s_wait_alu 0xfffe
	s_or_b32 exec_lo, exec_lo, s4
	v_add_nc_u32_e32 v5, 0xc0, v0
	s_mov_b32 s4, exec_lo
	s_delay_alu instid0(VALU_DEP_1)
	v_cmpx_gt_u32_e64 s18, v5
	s_cbranch_execnz .LBB2434_164
; %bb.20:
	s_wait_alu 0xfffe
	s_or_b32 exec_lo, exec_lo, s4
	s_delay_alu instid0(SALU_CYCLE_1)
	s_mov_b32 s4, exec_lo
	v_cmpx_gt_u32_e64 s18, v22
	s_cbranch_execnz .LBB2434_165
.LBB2434_21:
	s_wait_alu 0xfffe
	s_or_b32 exec_lo, exec_lo, s4
	s_delay_alu instid0(SALU_CYCLE_1)
	s_mov_b32 s4, exec_lo
	v_cmpx_gt_u32_e64 s18, v21
	s_cbranch_execnz .LBB2434_166
.LBB2434_22:
	s_wait_alu 0xfffe
	s_or_b32 exec_lo, exec_lo, s4
	s_delay_alu instid0(SALU_CYCLE_1)
	s_mov_b32 s4, exec_lo
	v_cmpx_gt_u32_e64 s18, v19
	s_cbranch_execnz .LBB2434_167
.LBB2434_23:
	s_wait_alu 0xfffe
	s_or_b32 exec_lo, exec_lo, s4
	s_delay_alu instid0(SALU_CYCLE_1)
	s_mov_b32 s4, exec_lo
	v_cmpx_gt_u32_e64 s18, v17
	s_cbranch_execnz .LBB2434_168
.LBB2434_24:
	s_wait_alu 0xfffe
	s_or_b32 exec_lo, exec_lo, s4
	s_delay_alu instid0(SALU_CYCLE_1)
	s_mov_b32 s4, exec_lo
	v_cmpx_gt_u32_e64 s18, v18
	s_cbranch_execnz .LBB2434_169
.LBB2434_25:
	s_wait_alu 0xfffe
	s_or_b32 exec_lo, exec_lo, s4
	s_delay_alu instid0(SALU_CYCLE_1)
	s_mov_b32 s4, exec_lo
	v_cmpx_gt_u32_e64 s18, v20
	s_cbranch_execz .LBB2434_27
.LBB2434_26:
	global_load_u8 v6, v0, s[2:3] offset:1344
	v_lshrrev_b32_e32 v7, 16, v3
	s_delay_alu instid0(VALU_DEP_1) | instskip(SKIP_2) | instid1(VALU_DEP_1)
	v_and_b32_e32 v7, 0xff, v7
	s_wait_loadcnt 0x0
	v_xor_b32_e32 v6, 1, v6
	v_lshlrev_b16 v6, 8, v6
	s_delay_alu instid0(VALU_DEP_1) | instskip(NEXT) | instid1(VALU_DEP_1)
	v_or_b32_e32 v6, v7, v6
	v_lshlrev_b32_e32 v6, 16, v6
	s_delay_alu instid0(VALU_DEP_1)
	v_and_or_b32 v3, 0xffff, v3, v6
.LBB2434_27:
	s_wait_alu 0xfffe
	s_or_b32 exec_lo, exec_lo, s4
	v_lshrrev_b32_e32 v5, 5, v5
	v_lshrrev_b32_e32 v6, 5, v22
	;; [unrolled: 1-line block ×4, first 2 shown]
	v_and_b32_e32 v7, 4, v35
	v_lshrrev_b32_e32 v17, 5, v17
	v_lshrrev_b32_e32 v18, 5, v18
	;; [unrolled: 1-line block ×3, first 2 shown]
	v_and_b32_e32 v5, 12, v5
	v_and_b32_e32 v6, 28, v6
	v_and_b32_e32 v21, 28, v21
	v_and_b32_e32 v19, 28, v19
	v_add_nc_u32_e32 v7, v7, v0
	v_and_b32_e32 v17, 60, v17
	v_and_b32_e32 v18, 60, v18
	;; [unrolled: 1-line block ×3, first 2 shown]
	v_lshrrev_b32_e32 v8, 8, v2
	v_add_nc_u32_e32 v5, v5, v0
	v_add_nc_u32_e32 v6, v6, v0
	v_lshrrev_b32_e32 v22, 24, v2
	v_add_nc_u32_e32 v21, v21, v0
	v_add_nc_u32_e32 v19, v19, v0
	;; [unrolled: 3-line block ×3, first 2 shown]
	v_lshrrev_b32_e32 v24, 24, v3
	v_add_nc_u32_e32 v20, v20, v0
	ds_store_b8 v7, v4
	ds_store_b8 v5, v8 offset:192
	ds_store_b8_d16_hi v6, v2 offset:384
	ds_store_b8 v21, v22 offset:576
	ds_store_b8 v19, v3 offset:768
	;; [unrolled: 1-line block ×3, first 2 shown]
	ds_store_b8_d16_hi v18, v3 offset:1152
	ds_store_b8 v20, v24 offset:1344
	s_wait_loadcnt_dscnt 0x0
	s_barrier_signal -1
	s_barrier_wait -1
.LBB2434_28:
	s_delay_alu instid0(VALU_DEP_1)
	v_dual_mov_b32 v2, 0 :: v_dual_and_b32 v1, 60, v1
	s_wait_loadcnt 0x0
	global_inv scope:SCOPE_SE
	s_load_b64 s[6:7], s[0:1], 0x68
	v_mbcnt_lo_u32_b32 v45, -1, 0
	v_add_nc_u32_e32 v1, v1, v38
	s_cmp_lg_u32 ttmp9, 0
	s_mov_b32 s3, -1
	s_delay_alu instid0(VALU_DEP_2)
	v_and_b32_e32 v46, 15, v45
	ds_load_2addr_b32 v[17:18], v1 offset1:1
	s_wait_loadcnt_dscnt 0x0
	s_barrier_signal -1
	s_barrier_wait -1
	global_inv scope:SCOPE_SE
	v_and_b32_e32 v41, 0xff, v17
	v_bfe_u32 v40, v17, 8, 8
	v_bfe_u32 v39, v17, 16, 8
	v_lshrrev_b32_e32 v37, 24, v17
	v_and_b32_e32 v44, 0xff, v18
	v_bfe_u32 v43, v18, 8, 8
	v_bfe_u32 v42, v18, 16, 8
	v_add3_u32 v1, v40, v41, v39
	v_lshrrev_b32_e32 v36, 24, v18
	s_delay_alu instid0(VALU_DEP_2) | instskip(SKIP_3) | instid1(VALU_DEP_3)
	v_add_co_u32 v1, s2, v1, v37
	s_wait_alu 0xf1ff
	v_add_co_ci_u32_e64 v3, null, 0, 0, s2
	v_cmp_ne_u32_e64 s2, 0, v46
	v_add_co_u32 v1, vcc_lo, v1, v44
	s_delay_alu instid0(VALU_DEP_1) | instskip(NEXT) | instid1(VALU_DEP_2)
	v_add_co_ci_u32_e64 v3, null, 0, v3, vcc_lo
	v_add_co_u32 v1, vcc_lo, v1, v43
	s_wait_alu 0xfffd
	s_delay_alu instid0(VALU_DEP_2) | instskip(NEXT) | instid1(VALU_DEP_2)
	v_add_co_ci_u32_e64 v3, null, 0, v3, vcc_lo
	v_add_co_u32 v1, vcc_lo, v1, v42
	s_wait_alu 0xfffd
	s_delay_alu instid0(VALU_DEP_2) | instskip(NEXT) | instid1(VALU_DEP_2)
	v_add_co_ci_u32_e64 v3, null, 0, v3, vcc_lo
	v_add_co_u32 v19, vcc_lo, v1, v36
	s_wait_alu 0xfffd
	s_delay_alu instid0(VALU_DEP_2)
	v_add_co_ci_u32_e64 v20, null, 0, v3, vcc_lo
	s_cbranch_scc0 .LBB2434_85
; %bb.29:
	v_mov_b32_e32 v3, v19
	v_mov_b32_dpp v1, v19 row_shr:1 row_mask:0xf bank_mask:0xf
	v_mov_b32_dpp v6, v2 row_shr:1 row_mask:0xf bank_mask:0xf
	v_dual_mov_b32 v5, v19 :: v_dual_mov_b32 v4, v20
	s_and_saveexec_b32 s3, s2
; %bb.30:
	s_delay_alu instid0(VALU_DEP_3) | instskip(SKIP_2) | instid1(VALU_DEP_2)
	v_add_co_u32 v5, vcc_lo, v19, v1
	s_wait_alu 0xfffd
	v_add_co_ci_u32_e64 v2, null, 0, v20, vcc_lo
	v_add_co_u32 v1, vcc_lo, 0, v5
	s_wait_alu 0xfffd
	s_delay_alu instid0(VALU_DEP_2) | instskip(NEXT) | instid1(VALU_DEP_1)
	v_add_co_ci_u32_e64 v2, null, v6, v2, vcc_lo
	v_dual_mov_b32 v4, v2 :: v_dual_mov_b32 v3, v1
; %bb.31:
	s_wait_alu 0xfffe
	s_or_b32 exec_lo, exec_lo, s3
	v_mov_b32_dpp v1, v5 row_shr:2 row_mask:0xf bank_mask:0xf
	v_mov_b32_dpp v6, v2 row_shr:2 row_mask:0xf bank_mask:0xf
	s_mov_b32 s3, exec_lo
	v_cmpx_lt_u32_e32 1, v46
; %bb.32:
	s_delay_alu instid0(VALU_DEP_3) | instskip(SKIP_2) | instid1(VALU_DEP_2)
	v_add_co_u32 v5, vcc_lo, v3, v1
	s_wait_alu 0xfffd
	v_add_co_ci_u32_e64 v2, null, 0, v4, vcc_lo
	v_add_co_u32 v1, vcc_lo, 0, v5
	s_wait_alu 0xfffd
	s_delay_alu instid0(VALU_DEP_2) | instskip(NEXT) | instid1(VALU_DEP_1)
	v_add_co_ci_u32_e64 v2, null, v6, v2, vcc_lo
	v_dual_mov_b32 v4, v2 :: v_dual_mov_b32 v3, v1
; %bb.33:
	s_wait_alu 0xfffe
	s_or_b32 exec_lo, exec_lo, s3
	v_mov_b32_dpp v1, v5 row_shr:4 row_mask:0xf bank_mask:0xf
	v_mov_b32_dpp v6, v2 row_shr:4 row_mask:0xf bank_mask:0xf
	s_mov_b32 s3, exec_lo
	v_cmpx_lt_u32_e32 3, v46
	;; [unrolled: 17-line block ×3, first 2 shown]
; %bb.36:
	s_delay_alu instid0(VALU_DEP_3) | instskip(SKIP_2) | instid1(VALU_DEP_2)
	v_add_co_u32 v5, vcc_lo, v3, v6
	s_wait_alu 0xfffd
	v_add_co_ci_u32_e64 v2, null, 0, v4, vcc_lo
	v_add_co_u32 v3, vcc_lo, 0, v5
	s_wait_alu 0xfffd
	s_delay_alu instid0(VALU_DEP_2) | instskip(NEXT) | instid1(VALU_DEP_1)
	v_add_co_ci_u32_e64 v4, null, v1, v2, vcc_lo
	v_mov_b32_e32 v2, v4
; %bb.37:
	s_wait_alu 0xfffe
	s_or_b32 exec_lo, exec_lo, s3
	ds_swizzle_b32 v1, v5 offset:swizzle(BROADCAST,32,15)
	ds_swizzle_b32 v6, v2 offset:swizzle(BROADCAST,32,15)
	v_and_b32_e32 v7, 16, v45
	s_mov_b32 s3, exec_lo
	s_delay_alu instid0(VALU_DEP_1)
	v_cmpx_ne_u32_e32 0, v7
	s_cbranch_execz .LBB2434_39
; %bb.38:
	s_wait_dscnt 0x1
	v_add_co_u32 v5, vcc_lo, v3, v1
	s_wait_alu 0xfffd
	v_add_co_ci_u32_e64 v2, null, 0, v4, vcc_lo
	s_delay_alu instid0(VALU_DEP_2) | instskip(SKIP_2) | instid1(VALU_DEP_2)
	v_add_co_u32 v1, vcc_lo, 0, v5
	s_wait_dscnt 0x0
	s_wait_alu 0xfffd
	v_add_co_ci_u32_e64 v2, null, v6, v2, vcc_lo
	s_delay_alu instid0(VALU_DEP_1)
	v_dual_mov_b32 v4, v2 :: v_dual_mov_b32 v3, v1
.LBB2434_39:
	s_wait_alu 0xfffe
	s_or_b32 exec_lo, exec_lo, s3
	s_wait_dscnt 0x1
	v_and_b32_e32 v1, 0xe0, v0
	s_mov_b32 s3, exec_lo
	s_delay_alu instid0(VALU_DEP_1) | instskip(NEXT) | instid1(VALU_DEP_1)
	v_min_u32_e32 v1, 0xa0, v1
	v_or_b32_e32 v1, 31, v1
	s_delay_alu instid0(VALU_DEP_1)
	v_cmpx_eq_u32_e64 v0, v1
; %bb.40:
	v_lshlrev_b32_e32 v1, 3, v35
	ds_store_b64 v1, v[3:4]
; %bb.41:
	s_wait_alu 0xfffe
	s_or_b32 exec_lo, exec_lo, s3
	s_delay_alu instid0(SALU_CYCLE_1)
	s_mov_b32 s3, exec_lo
	s_wait_loadcnt_dscnt 0x0
	s_barrier_signal -1
	s_barrier_wait -1
	global_inv scope:SCOPE_SE
	v_cmpx_gt_u32_e32 6, v0
	s_cbranch_execz .LBB2434_49
; %bb.42:
	ds_load_b64 v[3:4], v38
	v_and_b32_e32 v1, 7, v45
	s_mov_b32 s4, exec_lo
	s_wait_dscnt 0x0
	v_mov_b32_dpp v8, v3 row_shr:1 row_mask:0xf bank_mask:0xf
	v_mov_b32_dpp v7, v4 row_shr:1 row_mask:0xf bank_mask:0xf
	v_mov_b32_e32 v6, v3
	v_cmpx_ne_u32_e32 0, v1
; %bb.43:
	s_delay_alu instid0(VALU_DEP_4) | instskip(SKIP_2) | instid1(VALU_DEP_2)
	v_add_co_u32 v6, vcc_lo, v3, v8
	s_wait_alu 0xfffd
	v_add_co_ci_u32_e64 v4, null, 0, v4, vcc_lo
	v_add_co_u32 v3, vcc_lo, 0, v6
	s_wait_alu 0xfffd
	s_delay_alu instid0(VALU_DEP_2)
	v_add_co_ci_u32_e64 v4, null, v7, v4, vcc_lo
; %bb.44:
	s_wait_alu 0xfffe
	s_or_b32 exec_lo, exec_lo, s4
	v_mov_b32_dpp v8, v6 row_shr:2 row_mask:0xf bank_mask:0xf
	s_delay_alu instid0(VALU_DEP_2)
	v_mov_b32_dpp v7, v4 row_shr:2 row_mask:0xf bank_mask:0xf
	s_mov_b32 s4, exec_lo
	v_cmpx_lt_u32_e32 1, v1
; %bb.45:
	s_delay_alu instid0(VALU_DEP_3) | instskip(SKIP_2) | instid1(VALU_DEP_2)
	v_add_co_u32 v6, vcc_lo, v3, v8
	s_wait_alu 0xfffd
	v_add_co_ci_u32_e64 v4, null, 0, v4, vcc_lo
	v_add_co_u32 v3, vcc_lo, 0, v6
	s_wait_alu 0xfffd
	s_delay_alu instid0(VALU_DEP_2)
	v_add_co_ci_u32_e64 v4, null, v7, v4, vcc_lo
; %bb.46:
	s_wait_alu 0xfffe
	s_or_b32 exec_lo, exec_lo, s4
	v_mov_b32_dpp v7, v6 row_shr:4 row_mask:0xf bank_mask:0xf
	s_delay_alu instid0(VALU_DEP_2)
	v_mov_b32_dpp v6, v4 row_shr:4 row_mask:0xf bank_mask:0xf
	s_mov_b32 s4, exec_lo
	v_cmpx_lt_u32_e32 3, v1
; %bb.47:
	s_delay_alu instid0(VALU_DEP_3) | instskip(SKIP_2) | instid1(VALU_DEP_2)
	v_add_co_u32 v1, vcc_lo, v3, v7
	s_wait_alu 0xfffd
	v_add_co_ci_u32_e64 v4, null, 0, v4, vcc_lo
	v_add_co_u32 v3, vcc_lo, v1, 0
	s_wait_alu 0xfffd
	s_delay_alu instid0(VALU_DEP_2)
	v_add_co_ci_u32_e64 v4, null, v4, v6, vcc_lo
; %bb.48:
	s_wait_alu 0xfffe
	s_or_b32 exec_lo, exec_lo, s4
	ds_store_b64 v38, v[3:4]
.LBB2434_49:
	s_wait_alu 0xfffe
	s_or_b32 exec_lo, exec_lo, s3
	s_delay_alu instid0(SALU_CYCLE_1)
	s_mov_b32 s4, exec_lo
	v_cmp_gt_u32_e32 vcc_lo, 32, v0
	s_wait_loadcnt_dscnt 0x0
	s_barrier_signal -1
	s_barrier_wait -1
	global_inv scope:SCOPE_SE
                                        ; implicit-def: $vgpr21_vgpr22
	v_cmpx_lt_u32_e32 31, v0
	s_cbranch_execz .LBB2434_51
; %bb.50:
	v_lshl_add_u32 v1, v35, 3, -8
	ds_load_b64 v[21:22], v1
	s_wait_dscnt 0x0
	v_add_co_u32 v5, s3, v5, v21
	s_wait_alu 0xf1ff
	v_add_co_ci_u32_e64 v2, null, v2, v22, s3
.LBB2434_51:
	s_wait_alu 0xfffe
	s_or_b32 exec_lo, exec_lo, s4
	v_sub_co_u32 v1, s3, v45, 1
	s_delay_alu instid0(VALU_DEP_1) | instskip(SKIP_1) | instid1(VALU_DEP_1)
	v_cmp_gt_i32_e64 s4, 0, v1
	s_wait_alu 0xf1ff
	v_cndmask_b32_e64 v1, v1, v45, s4
	s_delay_alu instid0(VALU_DEP_1)
	v_lshlrev_b32_e32 v1, 2, v1
	ds_bpermute_b32 v27, v1, v5
	ds_bpermute_b32 v28, v1, v2
	s_and_saveexec_b32 s4, vcc_lo
	s_cbranch_execz .LBB2434_90
; %bb.52:
	v_mov_b32_e32 v4, 0
	ds_load_b64 v[1:2], v4 offset:40
	s_and_saveexec_b32 s5, s3
	s_cbranch_execz .LBB2434_54
; %bb.53:
	s_add_co_i32 s12, ttmp9, 32
	s_delay_alu instid0(SALU_CYCLE_1)
	s_lshl_b64 s[12:13], s[12:13], 4
	s_wait_kmcnt 0x0
	s_add_nc_u64 s[12:13], s[6:7], s[12:13]
	v_mov_b32_e32 v3, 1
	v_dual_mov_b32 v5, s12 :: v_dual_mov_b32 v6, s13
	s_wait_dscnt 0x0
	;;#ASMSTART
	global_store_b128 v[5:6], v[1:4] off scope:SCOPE_DEV	
s_wait_storecnt 0x0
	;;#ASMEND
.LBB2434_54:
	s_wait_alu 0xfffe
	s_or_b32 exec_lo, exec_lo, s5
	v_xad_u32 v23, v45, -1, ttmp9
	s_mov_b32 s12, 0
	s_mov_b32 s5, exec_lo
	s_delay_alu instid0(VALU_DEP_1) | instskip(NEXT) | instid1(VALU_DEP_1)
	v_add_nc_u32_e32 v3, 32, v23
	v_lshlrev_b64_e32 v[3:4], 4, v[3:4]
	s_wait_kmcnt 0x0
	s_delay_alu instid0(VALU_DEP_1) | instskip(SKIP_1) | instid1(VALU_DEP_2)
	v_add_co_u32 v3, vcc_lo, s6, v3
	s_wait_alu 0xfffd
	v_add_co_ci_u32_e64 v4, null, s7, v4, vcc_lo
	;;#ASMSTART
	global_load_b128 v[5:8], v[3:4] off scope:SCOPE_DEV	
s_wait_loadcnt 0x0
	;;#ASMEND
	v_and_b32_e32 v8, 0xff, v7
	s_delay_alu instid0(VALU_DEP_1)
	v_cmpx_eq_u16_e32 0, v8
	s_cbranch_execz .LBB2434_57
.LBB2434_55:                            ; =>This Inner Loop Header: Depth=1
	;;#ASMSTART
	global_load_b128 v[5:8], v[3:4] off scope:SCOPE_DEV	
s_wait_loadcnt 0x0
	;;#ASMEND
	v_and_b32_e32 v8, 0xff, v7
	s_delay_alu instid0(VALU_DEP_1)
	v_cmp_ne_u16_e32 vcc_lo, 0, v8
	s_wait_alu 0xfffe
	s_or_b32 s12, vcc_lo, s12
	s_wait_alu 0xfffe
	s_and_not1_b32 exec_lo, exec_lo, s12
	s_cbranch_execnz .LBB2434_55
; %bb.56:
	s_or_b32 exec_lo, exec_lo, s12
.LBB2434_57:
	s_wait_alu 0xfffe
	s_or_b32 exec_lo, exec_lo, s5
	v_cmp_ne_u32_e32 vcc_lo, 31, v45
	v_and_b32_e32 v4, 0xff, v7
	v_lshlrev_b32_e64 v30, v45, -1
	s_mov_b32 s5, exec_lo
	s_wait_alu 0xfffd
	v_add_co_ci_u32_e64 v3, null, 0, v45, vcc_lo
	v_cmp_eq_u16_e32 vcc_lo, 2, v4
	s_delay_alu instid0(VALU_DEP_2)
	v_dual_mov_b32 v4, v5 :: v_dual_lshlrev_b32 v29, 2, v3
	s_wait_alu 0xfffd
	v_and_or_b32 v3, vcc_lo, v30, 0x80000000
	ds_bpermute_b32 v24, v29, v5
	ds_bpermute_b32 v8, v29, v6
	v_ctz_i32_b32_e32 v3, v3
	s_delay_alu instid0(VALU_DEP_1)
	v_cmpx_lt_u32_e64 v45, v3
	s_cbranch_execz .LBB2434_59
; %bb.58:
	s_wait_dscnt 0x1
	v_add_co_u32 v4, vcc_lo, v5, v24
	s_wait_alu 0xfffd
	v_add_co_ci_u32_e64 v6, null, 0, v6, vcc_lo
	s_delay_alu instid0(VALU_DEP_2) | instskip(SKIP_2) | instid1(VALU_DEP_2)
	v_add_co_u32 v5, vcc_lo, 0, v4
	s_wait_dscnt 0x0
	s_wait_alu 0xfffd
	v_add_co_ci_u32_e64 v6, null, v8, v6, vcc_lo
.LBB2434_59:
	s_wait_alu 0xfffe
	s_or_b32 exec_lo, exec_lo, s5
	v_cmp_gt_u32_e32 vcc_lo, 30, v45
	v_add_nc_u32_e32 v32, 2, v45
	s_mov_b32 s5, exec_lo
	s_wait_dscnt 0x0
	s_wait_alu 0xfffd
	v_cndmask_b32_e64 v8, 0, 2, vcc_lo
	s_delay_alu instid0(VALU_DEP_1)
	v_add_lshl_u32 v31, v8, v45, 2
	ds_bpermute_b32 v24, v31, v4
	ds_bpermute_b32 v8, v31, v6
	v_cmpx_le_u32_e64 v32, v3
	s_cbranch_execz .LBB2434_61
; %bb.60:
	s_wait_dscnt 0x1
	v_add_co_u32 v4, vcc_lo, v5, v24
	s_wait_alu 0xfffd
	v_add_co_ci_u32_e64 v6, null, 0, v6, vcc_lo
	s_delay_alu instid0(VALU_DEP_2) | instskip(SKIP_2) | instid1(VALU_DEP_2)
	v_add_co_u32 v5, vcc_lo, 0, v4
	s_wait_dscnt 0x0
	s_wait_alu 0xfffd
	v_add_co_ci_u32_e64 v6, null, v8, v6, vcc_lo
.LBB2434_61:
	s_wait_alu 0xfffe
	s_or_b32 exec_lo, exec_lo, s5
	v_cmp_gt_u32_e32 vcc_lo, 28, v45
	v_add_nc_u32_e32 v34, 4, v45
	s_mov_b32 s5, exec_lo
	s_wait_dscnt 0x0
	s_wait_alu 0xfffd
	v_cndmask_b32_e64 v8, 0, 4, vcc_lo
	s_delay_alu instid0(VALU_DEP_1)
	v_add_lshl_u32 v33, v8, v45, 2
	ds_bpermute_b32 v24, v33, v4
	ds_bpermute_b32 v8, v33, v6
	v_cmpx_le_u32_e64 v34, v3
	;; [unrolled: 25-line block ×3, first 2 shown]
	s_cbranch_execz .LBB2434_65
; %bb.64:
	s_wait_dscnt 0x1
	v_add_co_u32 v4, vcc_lo, v5, v24
	s_wait_alu 0xfffd
	v_add_co_ci_u32_e64 v6, null, 0, v6, vcc_lo
	s_delay_alu instid0(VALU_DEP_2) | instskip(SKIP_2) | instid1(VALU_DEP_2)
	v_add_co_u32 v5, vcc_lo, 0, v4
	s_wait_dscnt 0x0
	s_wait_alu 0xfffd
	v_add_co_ci_u32_e64 v6, null, v8, v6, vcc_lo
.LBB2434_65:
	s_wait_alu 0xfffe
	s_or_b32 exec_lo, exec_lo, s5
	v_lshl_or_b32 v49, v45, 2, 64
	v_add_nc_u32_e32 v50, 16, v45
	s_mov_b32 s5, exec_lo
	s_wait_dscnt 0x0
	ds_bpermute_b32 v8, v49, v4
	ds_bpermute_b32 v4, v49, v6
	v_cmpx_le_u32_e64 v50, v3
	s_cbranch_execz .LBB2434_67
; %bb.66:
	s_wait_dscnt 0x1
	v_add_co_u32 v3, vcc_lo, v5, v8
	s_wait_alu 0xfffd
	v_add_co_ci_u32_e64 v6, null, 0, v6, vcc_lo
	s_delay_alu instid0(VALU_DEP_2) | instskip(SKIP_2) | instid1(VALU_DEP_2)
	v_add_co_u32 v5, vcc_lo, v3, 0
	s_wait_dscnt 0x0
	s_wait_alu 0xfffd
	v_add_co_ci_u32_e64 v6, null, v6, v4, vcc_lo
.LBB2434_67:
	s_wait_alu 0xfffe
	s_or_b32 exec_lo, exec_lo, s5
	v_mov_b32_e32 v24, 0
	s_branch .LBB2434_70
.LBB2434_68:                            ;   in Loop: Header=BB2434_70 Depth=1
	s_wait_alu 0xfffe
	s_or_b32 exec_lo, exec_lo, s5
	v_add_co_u32 v5, vcc_lo, v5, v3
	v_subrev_nc_u32_e32 v23, 32, v23
	s_wait_alu 0xfffd
	v_add_co_ci_u32_e64 v6, null, v6, v4, vcc_lo
	s_mov_b32 s5, 0
.LBB2434_69:                            ;   in Loop: Header=BB2434_70 Depth=1
	s_wait_alu 0xfffe
	s_and_b32 vcc_lo, exec_lo, s5
	s_wait_alu 0xfffe
	s_cbranch_vccnz .LBB2434_86
.LBB2434_70:                            ; =>This Loop Header: Depth=1
                                        ;     Child Loop BB2434_73 Depth 2
	v_and_b32_e32 v3, 0xff, v7
	s_mov_b32 s5, -1
	s_delay_alu instid0(VALU_DEP_1)
	v_cmp_ne_u16_e32 vcc_lo, 2, v3
	s_wait_dscnt 0x0
	v_dual_mov_b32 v3, v5 :: v_dual_mov_b32 v4, v6
                                        ; implicit-def: $vgpr5_vgpr6
	s_cmp_lg_u32 vcc_lo, exec_lo
	s_cbranch_scc1 .LBB2434_69
; %bb.71:                               ;   in Loop: Header=BB2434_70 Depth=1
	v_lshlrev_b64_e32 v[5:6], 4, v[23:24]
	s_mov_b32 s5, exec_lo
	s_delay_alu instid0(VALU_DEP_1) | instskip(SKIP_1) | instid1(VALU_DEP_2)
	v_add_co_u32 v25, vcc_lo, s6, v5
	s_wait_alu 0xfffd
	v_add_co_ci_u32_e64 v26, null, s7, v6, vcc_lo
	;;#ASMSTART
	global_load_b128 v[5:8], v[25:26] off scope:SCOPE_DEV	
s_wait_loadcnt 0x0
	;;#ASMEND
	v_and_b32_e32 v8, 0xff, v7
	s_delay_alu instid0(VALU_DEP_1)
	v_cmpx_eq_u16_e32 0, v8
	s_cbranch_execz .LBB2434_75
; %bb.72:                               ;   in Loop: Header=BB2434_70 Depth=1
	s_mov_b32 s12, 0
.LBB2434_73:                            ;   Parent Loop BB2434_70 Depth=1
                                        ; =>  This Inner Loop Header: Depth=2
	;;#ASMSTART
	global_load_b128 v[5:8], v[25:26] off scope:SCOPE_DEV	
s_wait_loadcnt 0x0
	;;#ASMEND
	v_and_b32_e32 v8, 0xff, v7
	s_delay_alu instid0(VALU_DEP_1)
	v_cmp_ne_u16_e32 vcc_lo, 0, v8
	s_wait_alu 0xfffe
	s_or_b32 s12, vcc_lo, s12
	s_wait_alu 0xfffe
	s_and_not1_b32 exec_lo, exec_lo, s12
	s_cbranch_execnz .LBB2434_73
; %bb.74:                               ;   in Loop: Header=BB2434_70 Depth=1
	s_or_b32 exec_lo, exec_lo, s12
.LBB2434_75:                            ;   in Loop: Header=BB2434_70 Depth=1
	s_wait_alu 0xfffe
	s_or_b32 exec_lo, exec_lo, s5
	v_dual_mov_b32 v25, v5 :: v_dual_and_b32 v8, 0xff, v7
	ds_bpermute_b32 v51, v29, v5
	ds_bpermute_b32 v26, v29, v6
	s_mov_b32 s5, exec_lo
	v_cmp_eq_u16_e32 vcc_lo, 2, v8
	s_wait_alu 0xfffd
	v_and_or_b32 v8, vcc_lo, v30, 0x80000000
	s_delay_alu instid0(VALU_DEP_1) | instskip(NEXT) | instid1(VALU_DEP_1)
	v_ctz_i32_b32_e32 v8, v8
	v_cmpx_lt_u32_e64 v45, v8
	s_cbranch_execz .LBB2434_77
; %bb.76:                               ;   in Loop: Header=BB2434_70 Depth=1
	s_wait_dscnt 0x1
	v_add_co_u32 v25, vcc_lo, v5, v51
	s_wait_alu 0xfffd
	v_add_co_ci_u32_e64 v6, null, 0, v6, vcc_lo
	s_delay_alu instid0(VALU_DEP_2) | instskip(SKIP_2) | instid1(VALU_DEP_2)
	v_add_co_u32 v5, vcc_lo, 0, v25
	s_wait_dscnt 0x0
	s_wait_alu 0xfffd
	v_add_co_ci_u32_e64 v6, null, v26, v6, vcc_lo
.LBB2434_77:                            ;   in Loop: Header=BB2434_70 Depth=1
	s_wait_alu 0xfffe
	s_or_b32 exec_lo, exec_lo, s5
	s_wait_dscnt 0x1
	ds_bpermute_b32 v51, v31, v25
	s_wait_dscnt 0x1
	ds_bpermute_b32 v26, v31, v6
	s_mov_b32 s5, exec_lo
	v_cmpx_le_u32_e64 v32, v8
	s_cbranch_execz .LBB2434_79
; %bb.78:                               ;   in Loop: Header=BB2434_70 Depth=1
	s_wait_dscnt 0x1
	v_add_co_u32 v25, vcc_lo, v5, v51
	s_wait_alu 0xfffd
	v_add_co_ci_u32_e64 v6, null, 0, v6, vcc_lo
	s_delay_alu instid0(VALU_DEP_2) | instskip(SKIP_2) | instid1(VALU_DEP_2)
	v_add_co_u32 v5, vcc_lo, 0, v25
	s_wait_dscnt 0x0
	s_wait_alu 0xfffd
	v_add_co_ci_u32_e64 v6, null, v26, v6, vcc_lo
.LBB2434_79:                            ;   in Loop: Header=BB2434_70 Depth=1
	s_wait_alu 0xfffe
	s_or_b32 exec_lo, exec_lo, s5
	s_wait_dscnt 0x1
	ds_bpermute_b32 v51, v33, v25
	s_wait_dscnt 0x1
	ds_bpermute_b32 v26, v33, v6
	s_mov_b32 s5, exec_lo
	v_cmpx_le_u32_e64 v34, v8
	;; [unrolled: 20-line block ×3, first 2 shown]
	s_cbranch_execz .LBB2434_83
; %bb.82:                               ;   in Loop: Header=BB2434_70 Depth=1
	s_wait_dscnt 0x1
	v_add_co_u32 v25, vcc_lo, v5, v51
	s_wait_alu 0xfffd
	v_add_co_ci_u32_e64 v6, null, 0, v6, vcc_lo
	s_delay_alu instid0(VALU_DEP_2) | instskip(SKIP_2) | instid1(VALU_DEP_2)
	v_add_co_u32 v5, vcc_lo, 0, v25
	s_wait_dscnt 0x0
	s_wait_alu 0xfffd
	v_add_co_ci_u32_e64 v6, null, v26, v6, vcc_lo
.LBB2434_83:                            ;   in Loop: Header=BB2434_70 Depth=1
	s_wait_alu 0xfffe
	s_or_b32 exec_lo, exec_lo, s5
	s_wait_dscnt 0x0
	ds_bpermute_b32 v26, v49, v25
	ds_bpermute_b32 v25, v49, v6
	s_mov_b32 s5, exec_lo
	v_cmpx_le_u32_e64 v50, v8
	s_cbranch_execz .LBB2434_68
; %bb.84:                               ;   in Loop: Header=BB2434_70 Depth=1
	s_wait_dscnt 0x1
	v_add_co_u32 v5, vcc_lo, v5, v26
	s_wait_alu 0xfffd
	v_add_co_ci_u32_e64 v6, null, 0, v6, vcc_lo
	s_delay_alu instid0(VALU_DEP_2) | instskip(SKIP_2) | instid1(VALU_DEP_2)
	v_add_co_u32 v5, vcc_lo, v5, 0
	s_wait_dscnt 0x0
	s_wait_alu 0xfffd
	v_add_co_ci_u32_e64 v6, null, v6, v25, vcc_lo
	s_branch .LBB2434_68
.LBB2434_85:
                                        ; implicit-def: $vgpr21_vgpr22
                                        ; implicit-def: $vgpr6_vgpr7
                                        ; implicit-def: $vgpr23_vgpr24
                                        ; implicit-def: $vgpr25_vgpr26
                                        ; implicit-def: $vgpr27_vgpr28
                                        ; implicit-def: $vgpr29_vgpr30
                                        ; implicit-def: $vgpr31_vgpr32
                                        ; implicit-def: $vgpr33_vgpr34
                                        ; implicit-def: $vgpr4_vgpr5
	s_load_b64 s[4:5], s[0:1], 0x30
	s_and_b32 vcc_lo, exec_lo, s3
	s_wait_alu 0xfffe
	s_cbranch_vccnz .LBB2434_91
	s_branch .LBB2434_116
.LBB2434_86:
	s_and_saveexec_b32 s5, s3
	s_cbranch_execz .LBB2434_88
; %bb.87:
	s_add_co_i32 s12, ttmp9, 32
	s_mov_b32 s13, 0
	v_add_co_u32 v5, vcc_lo, v3, v1
	s_wait_alu 0xfffe
	s_lshl_b64 s[12:13], s[12:13], 4
	v_dual_mov_b32 v7, 2 :: v_dual_mov_b32 v8, 0
	s_wait_alu 0xfffe
	s_add_nc_u64 s[12:13], s[6:7], s[12:13]
	s_wait_alu 0xfffd
	v_add_co_ci_u32_e64 v6, null, v4, v2, vcc_lo
	s_wait_alu 0xfffe
	v_dual_mov_b32 v24, s13 :: v_dual_mov_b32 v23, s12
	;;#ASMSTART
	global_store_b128 v[23:24], v[5:8] off scope:SCOPE_DEV	
s_wait_storecnt 0x0
	;;#ASMEND
	ds_store_b128 v8, v[1:4] offset:6336
.LBB2434_88:
	s_wait_alu 0xfffe
	s_or_b32 exec_lo, exec_lo, s5
	v_cmp_eq_u32_e32 vcc_lo, 0, v0
	s_and_b32 exec_lo, exec_lo, vcc_lo
; %bb.89:
	v_mov_b32_e32 v1, 0
	ds_store_b64 v1, v[3:4] offset:40
.LBB2434_90:
	s_wait_alu 0xfffe
	s_or_b32 exec_lo, exec_lo, s4
	s_wait_dscnt 0x1
	v_cndmask_b32_e64 v4, v27, v21, s3
	v_cmp_ne_u32_e32 vcc_lo, 0, v0
	v_mov_b32_e32 v3, 0
	s_wait_loadcnt_dscnt 0x0
	s_barrier_signal -1
	s_barrier_wait -1
	global_inv scope:SCOPE_SE
	s_wait_alu 0xfffd
	v_cndmask_b32_e32 v4, 0, v4, vcc_lo
	ds_load_b64 v[1:2], v3 offset:40
	v_cndmask_b32_e64 v5, v28, v22, s3
	s_wait_loadcnt_dscnt 0x0
	s_barrier_signal -1
	s_barrier_wait -1
	global_inv scope:SCOPE_SE
	v_cndmask_b32_e32 v5, 0, v5, vcc_lo
	v_add_co_u32 v33, vcc_lo, v1, v4
	s_wait_alu 0xfffd
	s_delay_alu instid0(VALU_DEP_2) | instskip(SKIP_4) | instid1(VALU_DEP_2)
	v_add_co_ci_u32_e64 v34, null, v2, v5, vcc_lo
	ds_load_b128 v[2:5], v3 offset:6336
	v_add_co_u32 v31, vcc_lo, v33, v41
	s_wait_alu 0xfffd
	v_add_co_ci_u32_e64 v32, null, 0, v34, vcc_lo
	v_add_co_u32 v29, vcc_lo, v31, v40
	s_wait_alu 0xfffd
	s_delay_alu instid0(VALU_DEP_2) | instskip(NEXT) | instid1(VALU_DEP_2)
	v_add_co_ci_u32_e64 v30, null, 0, v32, vcc_lo
	v_add_co_u32 v27, vcc_lo, v29, v39
	s_wait_alu 0xfffd
	s_delay_alu instid0(VALU_DEP_2) | instskip(NEXT) | instid1(VALU_DEP_2)
	v_add_co_ci_u32_e64 v28, null, 0, v30, vcc_lo
	v_add_co_u32 v25, vcc_lo, v27, v37
	s_wait_alu 0xfffd
	s_delay_alu instid0(VALU_DEP_2) | instskip(NEXT) | instid1(VALU_DEP_2)
	v_add_co_ci_u32_e64 v26, null, 0, v28, vcc_lo
	v_add_co_u32 v23, vcc_lo, v25, v44
	s_wait_alu 0xfffd
	s_delay_alu instid0(VALU_DEP_2) | instskip(NEXT) | instid1(VALU_DEP_2)
	v_add_co_ci_u32_e64 v24, null, 0, v26, vcc_lo
	v_add_co_u32 v6, vcc_lo, v23, v43
	s_wait_alu 0xfffd
	s_delay_alu instid0(VALU_DEP_2) | instskip(NEXT) | instid1(VALU_DEP_2)
	v_add_co_ci_u32_e64 v7, null, 0, v24, vcc_lo
	v_add_co_u32 v21, vcc_lo, v6, v42
	s_wait_alu 0xfffd
	s_delay_alu instid0(VALU_DEP_2)
	v_add_co_ci_u32_e64 v22, null, 0, v7, vcc_lo
	s_load_b64 s[4:5], s[0:1], 0x30
	s_branch .LBB2434_116
.LBB2434_91:
	s_wait_dscnt 0x0
	v_dual_mov_b32 v2, 0 :: v_dual_mov_b32 v3, v19
	v_mov_b32_dpp v4, v19 row_shr:1 row_mask:0xf bank_mask:0xf
	s_delay_alu instid0(VALU_DEP_2)
	v_mov_b32_dpp v1, v2 row_shr:1 row_mask:0xf bank_mask:0xf
	s_and_saveexec_b32 s0, s2
; %bb.92:
	s_delay_alu instid0(VALU_DEP_2) | instskip(SKIP_2) | instid1(VALU_DEP_2)
	v_add_co_u32 v3, vcc_lo, v19, v4
	s_wait_alu 0xfffd
	v_add_co_ci_u32_e64 v2, null, 0, v20, vcc_lo
	v_add_co_u32 v19, vcc_lo, 0, v3
	s_wait_alu 0xfffd
	s_delay_alu instid0(VALU_DEP_2) | instskip(NEXT) | instid1(VALU_DEP_1)
	v_add_co_ci_u32_e64 v20, null, v1, v2, vcc_lo
	v_mov_b32_e32 v2, v20
; %bb.93:
	s_or_b32 exec_lo, exec_lo, s0
	v_mov_b32_dpp v1, v3 row_shr:2 row_mask:0xf bank_mask:0xf
	s_delay_alu instid0(VALU_DEP_2)
	v_mov_b32_dpp v4, v2 row_shr:2 row_mask:0xf bank_mask:0xf
	s_mov_b32 s0, exec_lo
	v_cmpx_lt_u32_e32 1, v46
; %bb.94:
	s_delay_alu instid0(VALU_DEP_3) | instskip(SKIP_2) | instid1(VALU_DEP_2)
	v_add_co_u32 v3, vcc_lo, v19, v1
	s_wait_alu 0xfffd
	v_add_co_ci_u32_e64 v2, null, 0, v20, vcc_lo
	v_add_co_u32 v1, vcc_lo, 0, v3
	s_wait_alu 0xfffd
	s_delay_alu instid0(VALU_DEP_2) | instskip(NEXT) | instid1(VALU_DEP_1)
	v_add_co_ci_u32_e64 v2, null, v4, v2, vcc_lo
	v_dual_mov_b32 v20, v2 :: v_dual_mov_b32 v19, v1
; %bb.95:
	s_or_b32 exec_lo, exec_lo, s0
	v_mov_b32_dpp v1, v3 row_shr:4 row_mask:0xf bank_mask:0xf
	v_mov_b32_dpp v4, v2 row_shr:4 row_mask:0xf bank_mask:0xf
	s_mov_b32 s0, exec_lo
	v_cmpx_lt_u32_e32 3, v46
; %bb.96:
	s_delay_alu instid0(VALU_DEP_3) | instskip(SKIP_2) | instid1(VALU_DEP_2)
	v_add_co_u32 v3, vcc_lo, v19, v1
	s_wait_alu 0xfffd
	v_add_co_ci_u32_e64 v2, null, 0, v20, vcc_lo
	v_add_co_u32 v1, vcc_lo, 0, v3
	s_wait_alu 0xfffd
	s_delay_alu instid0(VALU_DEP_2) | instskip(NEXT) | instid1(VALU_DEP_1)
	v_add_co_ci_u32_e64 v2, null, v4, v2, vcc_lo
	v_dual_mov_b32 v20, v2 :: v_dual_mov_b32 v19, v1
; %bb.97:
	s_or_b32 exec_lo, exec_lo, s0
	v_mov_b32_dpp v4, v3 row_shr:8 row_mask:0xf bank_mask:0xf
	v_mov_b32_dpp v1, v2 row_shr:8 row_mask:0xf bank_mask:0xf
	s_mov_b32 s0, exec_lo
	v_cmpx_lt_u32_e32 7, v46
; %bb.98:
	s_delay_alu instid0(VALU_DEP_3) | instskip(SKIP_2) | instid1(VALU_DEP_2)
	v_add_co_u32 v3, vcc_lo, v19, v4
	s_wait_alu 0xfffd
	v_add_co_ci_u32_e64 v2, null, 0, v20, vcc_lo
	v_add_co_u32 v19, vcc_lo, 0, v3
	s_wait_alu 0xfffd
	s_delay_alu instid0(VALU_DEP_2) | instskip(NEXT) | instid1(VALU_DEP_1)
	v_add_co_ci_u32_e64 v20, null, v1, v2, vcc_lo
	v_mov_b32_e32 v2, v20
; %bb.99:
	s_or_b32 exec_lo, exec_lo, s0
	ds_swizzle_b32 v3, v3 offset:swizzle(BROADCAST,32,15)
	ds_swizzle_b32 v1, v2 offset:swizzle(BROADCAST,32,15)
	v_and_b32_e32 v2, 16, v45
	s_mov_b32 s0, exec_lo
	s_delay_alu instid0(VALU_DEP_1)
	v_cmpx_ne_u32_e32 0, v2
	s_cbranch_execz .LBB2434_101
; %bb.100:
	s_wait_dscnt 0x1
	v_add_co_u32 v2, vcc_lo, v19, v3
	s_wait_alu 0xfffd
	v_add_co_ci_u32_e64 v3, null, 0, v20, vcc_lo
	s_delay_alu instid0(VALU_DEP_2) | instskip(SKIP_2) | instid1(VALU_DEP_2)
	v_add_co_u32 v19, vcc_lo, v2, 0
	s_wait_dscnt 0x0
	s_wait_alu 0xfffd
	v_add_co_ci_u32_e64 v20, null, v3, v1, vcc_lo
.LBB2434_101:
	s_or_b32 exec_lo, exec_lo, s0
	s_wait_dscnt 0x0
	v_and_b32_e32 v1, 0xe0, v0
	s_mov_b32 s0, exec_lo
	s_delay_alu instid0(VALU_DEP_1) | instskip(NEXT) | instid1(VALU_DEP_1)
	v_min_u32_e32 v1, 0xa0, v1
	v_or_b32_e32 v1, 31, v1
	s_delay_alu instid0(VALU_DEP_1)
	v_cmpx_eq_u32_e64 v0, v1
; %bb.102:
	v_lshlrev_b32_e32 v1, 3, v35
	ds_store_b64 v1, v[19:20]
; %bb.103:
	s_or_b32 exec_lo, exec_lo, s0
	s_delay_alu instid0(SALU_CYCLE_1)
	s_mov_b32 s0, exec_lo
	s_wait_loadcnt_dscnt 0x0
	s_barrier_signal -1
	s_barrier_wait -1
	global_inv scope:SCOPE_SE
	v_cmpx_gt_u32_e32 6, v0
	s_cbranch_execz .LBB2434_111
; %bb.104:
	ds_load_b64 v[1:2], v38
	v_and_b32_e32 v3, 7, v45
	s_mov_b32 s1, exec_lo
	s_wait_dscnt 0x0
	v_mov_b32_dpp v6, v1 row_shr:1 row_mask:0xf bank_mask:0xf
	v_mov_b32_dpp v5, v2 row_shr:1 row_mask:0xf bank_mask:0xf
	v_mov_b32_e32 v4, v1
	v_cmpx_ne_u32_e32 0, v3
; %bb.105:
	s_delay_alu instid0(VALU_DEP_4) | instskip(SKIP_2) | instid1(VALU_DEP_2)
	v_add_co_u32 v4, vcc_lo, v1, v6
	s_wait_alu 0xfffd
	v_add_co_ci_u32_e64 v2, null, 0, v2, vcc_lo
	v_add_co_u32 v1, vcc_lo, 0, v4
	s_wait_alu 0xfffd
	s_delay_alu instid0(VALU_DEP_2)
	v_add_co_ci_u32_e64 v2, null, v5, v2, vcc_lo
; %bb.106:
	s_or_b32 exec_lo, exec_lo, s1
	v_mov_b32_dpp v6, v4 row_shr:2 row_mask:0xf bank_mask:0xf
	s_delay_alu instid0(VALU_DEP_2)
	v_mov_b32_dpp v5, v2 row_shr:2 row_mask:0xf bank_mask:0xf
	s_mov_b32 s1, exec_lo
	v_cmpx_lt_u32_e32 1, v3
; %bb.107:
	s_delay_alu instid0(VALU_DEP_3) | instskip(SKIP_2) | instid1(VALU_DEP_2)
	v_add_co_u32 v4, vcc_lo, v1, v6
	s_wait_alu 0xfffd
	v_add_co_ci_u32_e64 v2, null, 0, v2, vcc_lo
	v_add_co_u32 v1, vcc_lo, 0, v4
	s_wait_alu 0xfffd
	s_delay_alu instid0(VALU_DEP_2)
	v_add_co_ci_u32_e64 v2, null, v5, v2, vcc_lo
; %bb.108:
	s_or_b32 exec_lo, exec_lo, s1
	v_mov_b32_dpp v5, v4 row_shr:4 row_mask:0xf bank_mask:0xf
	s_delay_alu instid0(VALU_DEP_2)
	v_mov_b32_dpp v4, v2 row_shr:4 row_mask:0xf bank_mask:0xf
	s_mov_b32 s1, exec_lo
	v_cmpx_lt_u32_e32 3, v3
; %bb.109:
	s_delay_alu instid0(VALU_DEP_3) | instskip(SKIP_2) | instid1(VALU_DEP_2)
	v_add_co_u32 v1, vcc_lo, v1, v5
	s_wait_alu 0xfffd
	v_add_co_ci_u32_e64 v2, null, 0, v2, vcc_lo
	v_add_co_u32 v1, vcc_lo, v1, 0
	s_wait_alu 0xfffd
	s_delay_alu instid0(VALU_DEP_2)
	v_add_co_ci_u32_e64 v2, null, v2, v4, vcc_lo
; %bb.110:
	s_or_b32 exec_lo, exec_lo, s1
	ds_store_b64 v38, v[1:2]
.LBB2434_111:
	s_or_b32 exec_lo, exec_lo, s0
	v_mov_b32_e32 v6, 0
	v_mov_b32_e32 v7, 0
	s_mov_b32 s0, exec_lo
	s_wait_loadcnt_dscnt 0x0
	s_barrier_signal -1
	s_barrier_wait -1
	global_inv scope:SCOPE_SE
	v_cmpx_lt_u32_e32 31, v0
; %bb.112:
	v_lshl_add_u32 v1, v35, 3, -8
	ds_load_b64 v[6:7], v1
; %bb.113:
	s_or_b32 exec_lo, exec_lo, s0
	v_sub_co_u32 v1, vcc_lo, v45, 1
	v_mov_b32_e32 v5, 0
	s_delay_alu instid0(VALU_DEP_2) | instskip(NEXT) | instid1(VALU_DEP_1)
	v_cmp_gt_i32_e64 s0, 0, v1
	v_cndmask_b32_e64 v1, v1, v45, s0
	s_delay_alu instid0(VALU_DEP_1)
	v_lshlrev_b32_e32 v2, 2, v1
	s_wait_dscnt 0x0
	v_add_co_u32 v1, s0, v6, v19
	s_wait_alu 0xf1ff
	v_add_co_ci_u32_e64 v3, null, v7, v20, s0
	v_cmp_eq_u32_e64 s0, 0, v0
	ds_bpermute_b32 v1, v2, v1
	ds_bpermute_b32 v8, v2, v3
	ds_load_b64 v[2:3], v5 offset:40
	s_and_saveexec_b32 s1, s0
	s_cbranch_execz .LBB2434_115
; %bb.114:
	s_wait_kmcnt 0x0
	s_add_nc_u64 s[2:3], s[6:7], 0x200
	v_mov_b32_e32 v4, 2
	s_wait_alu 0xfffe
	v_dual_mov_b32 v20, s3 :: v_dual_mov_b32 v19, s2
	s_wait_dscnt 0x0
	;;#ASMSTART
	global_store_b128 v[19:20], v[2:5] off scope:SCOPE_DEV	
s_wait_storecnt 0x0
	;;#ASMEND
.LBB2434_115:
	s_wait_alu 0xfffe
	s_or_b32 exec_lo, exec_lo, s1
	s_wait_dscnt 0x1
	s_wait_alu 0xfffd
	v_dual_cndmask_b32 v1, v1, v6 :: v_dual_cndmask_b32 v4, v8, v7
	s_wait_loadcnt_dscnt 0x0
	s_barrier_signal -1
	s_barrier_wait -1
	s_delay_alu instid0(VALU_DEP_1)
	v_cndmask_b32_e64 v33, v1, 0, s0
	v_cndmask_b32_e64 v34, v4, 0, s0
	v_mov_b32_e32 v4, 0
	v_mov_b32_e32 v5, 0
	global_inv scope:SCOPE_SE
	v_add_co_u32 v31, vcc_lo, v33, v41
	s_wait_alu 0xfffd
	v_add_co_ci_u32_e64 v32, null, 0, v34, vcc_lo
	s_delay_alu instid0(VALU_DEP_2) | instskip(SKIP_1) | instid1(VALU_DEP_2)
	v_add_co_u32 v29, vcc_lo, v31, v40
	s_wait_alu 0xfffd
	v_add_co_ci_u32_e64 v30, null, 0, v32, vcc_lo
	s_delay_alu instid0(VALU_DEP_2) | instskip(SKIP_1) | instid1(VALU_DEP_2)
	v_add_co_u32 v27, vcc_lo, v29, v39
	s_wait_alu 0xfffd
	v_add_co_ci_u32_e64 v28, null, 0, v30, vcc_lo
	s_delay_alu instid0(VALU_DEP_2) | instskip(SKIP_1) | instid1(VALU_DEP_2)
	v_add_co_u32 v25, vcc_lo, v27, v37
	s_wait_alu 0xfffd
	v_add_co_ci_u32_e64 v26, null, 0, v28, vcc_lo
	s_delay_alu instid0(VALU_DEP_2) | instskip(SKIP_1) | instid1(VALU_DEP_2)
	v_add_co_u32 v23, vcc_lo, v25, v44
	s_wait_alu 0xfffd
	v_add_co_ci_u32_e64 v24, null, 0, v26, vcc_lo
	s_delay_alu instid0(VALU_DEP_2) | instskip(SKIP_1) | instid1(VALU_DEP_2)
	v_add_co_u32 v6, vcc_lo, v23, v43
	s_wait_alu 0xfffd
	v_add_co_ci_u32_e64 v7, null, 0, v24, vcc_lo
	s_delay_alu instid0(VALU_DEP_2) | instskip(SKIP_1) | instid1(VALU_DEP_2)
	v_add_co_u32 v21, vcc_lo, v6, v42
	s_wait_alu 0xfffd
	v_add_co_ci_u32_e64 v22, null, 0, v7, vcc_lo
.LBB2434_116:
	v_lshrrev_b32_e32 v38, 8, v17
	v_lshrrev_b32_e32 v35, 16, v17
	v_and_b32_e32 v17, 1, v17
	s_wait_dscnt 0x0
	v_cmp_gt_u64_e32 vcc_lo, 0xc1, v[2:3]
	v_lshrrev_b32_e32 v8, 8, v18
	v_lshrrev_b32_e32 v1, 16, v18
	s_mov_b32 s1, -1
	v_cmp_eq_u32_e64 s0, 1, v17
	s_cbranch_vccnz .LBB2434_120
; %bb.117:
	s_wait_alu 0xfffe
	s_and_b32 vcc_lo, exec_lo, s1
	s_wait_alu 0xfffe
	s_cbranch_vccnz .LBB2434_137
.LBB2434_118:
	v_cmp_eq_u32_e32 vcc_lo, 0, v0
	s_and_b32 s0, vcc_lo, s16
	s_wait_alu 0xfffe
	s_and_saveexec_b32 s1, s0
	s_cbranch_execnz .LBB2434_157
.LBB2434_119:
	s_endpgm
.LBB2434_120:
	v_add_co_u32 v19, vcc_lo, v4, v2
	s_wait_alu 0xfffd
	v_add_co_ci_u32_e64 v20, null, v5, v3, vcc_lo
	s_lshl_b64 s[2:3], s[10:11], 2
	s_wait_kmcnt 0x0
	s_wait_alu 0xfffe
	s_add_nc_u64 s[2:3], s[4:5], s[2:3]
	v_cmp_lt_u64_e32 vcc_lo, v[33:34], v[19:20]
	s_or_b32 s1, s17, vcc_lo
	s_wait_alu 0xfffe
	s_and_b32 s1, s1, s0
	s_wait_alu 0xfffe
	s_and_saveexec_b32 s0, s1
	s_cbranch_execz .LBB2434_122
; %bb.121:
	v_lshlrev_b64_e32 v[39:40], 2, v[33:34]
	s_delay_alu instid0(VALU_DEP_1) | instskip(SKIP_1) | instid1(VALU_DEP_2)
	v_add_co_u32 v39, vcc_lo, s2, v39
	s_wait_alu 0xfffd
	v_add_co_ci_u32_e64 v40, null, s3, v40, vcc_lo
	global_store_b32 v[39:40], v15, off
.LBB2434_122:
	s_wait_alu 0xfffe
	s_or_b32 exec_lo, exec_lo, s0
	v_and_b32_e32 v34, 1, v38
	v_cmp_lt_u64_e32 vcc_lo, v[31:32], v[19:20]
	s_delay_alu instid0(VALU_DEP_2)
	v_cmp_eq_u32_e64 s0, 1, v34
	s_or_b32 s1, s17, vcc_lo
	s_wait_alu 0xfffe
	s_and_b32 s1, s1, s0
	s_wait_alu 0xfffe
	s_and_saveexec_b32 s0, s1
	s_cbranch_execz .LBB2434_124
; %bb.123:
	v_lshlrev_b64_e32 v[39:40], 2, v[31:32]
	s_delay_alu instid0(VALU_DEP_1) | instskip(SKIP_1) | instid1(VALU_DEP_2)
	v_add_co_u32 v39, vcc_lo, s2, v39
	s_wait_alu 0xfffd
	v_add_co_ci_u32_e64 v40, null, s3, v40, vcc_lo
	global_store_b32 v[39:40], v16, off
.LBB2434_124:
	s_wait_alu 0xfffe
	s_or_b32 exec_lo, exec_lo, s0
	v_and_b32_e32 v32, 1, v35
	v_cmp_lt_u64_e32 vcc_lo, v[29:30], v[19:20]
	s_delay_alu instid0(VALU_DEP_2)
	v_cmp_eq_u32_e64 s0, 1, v32
	;; [unrolled: 20-line block ×7, first 2 shown]
	s_or_b32 s1, s17, vcc_lo
	s_wait_alu 0xfffe
	s_and_b32 s1, s1, s0
	s_wait_alu 0xfffe
	s_and_saveexec_b32 s0, s1
	s_cbranch_execz .LBB2434_136
; %bb.135:
	v_lshlrev_b64_e32 v[19:20], 2, v[21:22]
	s_delay_alu instid0(VALU_DEP_1) | instskip(SKIP_1) | instid1(VALU_DEP_2)
	v_add_co_u32 v19, vcc_lo, s2, v19
	s_wait_alu 0xfffd
	v_add_co_ci_u32_e64 v20, null, s3, v20, vcc_lo
	global_store_b32 v[19:20], v10, off
.LBB2434_136:
	s_wait_alu 0xfffe
	s_or_b32 exec_lo, exec_lo, s0
	s_branch .LBB2434_118
.LBB2434_137:
	s_mov_b32 s0, exec_lo
	v_cmpx_eq_u32_e32 1, v17
; %bb.138:
	v_sub_nc_u32_e32 v7, v33, v4
	s_delay_alu instid0(VALU_DEP_1)
	v_lshlrev_b32_e32 v7, 2, v7
	ds_store_b32 v7, v15
; %bb.139:
	s_wait_alu 0xfffe
	s_or_b32 exec_lo, exec_lo, s0
	v_and_b32_e32 v7, 1, v38
	s_mov_b32 s0, exec_lo
	s_delay_alu instid0(VALU_DEP_1)
	v_cmpx_eq_u32_e32 1, v7
; %bb.140:
	v_sub_nc_u32_e32 v7, v31, v4
	s_delay_alu instid0(VALU_DEP_1)
	v_lshlrev_b32_e32 v7, 2, v7
	ds_store_b32 v7, v16
; %bb.141:
	s_wait_alu 0xfffe
	s_or_b32 exec_lo, exec_lo, s0
	v_and_b32_e32 v7, 1, v35
	s_mov_b32 s0, exec_lo
	s_delay_alu instid0(VALU_DEP_1)
	;; [unrolled: 12-line block ×7, first 2 shown]
	v_cmpx_eq_u32_e32 1, v1
; %bb.152:
	v_sub_nc_u32_e32 v1, v21, v4
	s_delay_alu instid0(VALU_DEP_1)
	v_lshlrev_b32_e32 v1, 2, v1
	ds_store_b32 v1, v10
; %bb.153:
	s_wait_alu 0xfffe
	s_or_b32 exec_lo, exec_lo, s0
	v_mov_b32_e32 v7, 0
	s_mov_b32 s1, exec_lo
	s_wait_storecnt 0x0
	s_wait_loadcnt_dscnt 0x0
	s_barrier_signal -1
	s_barrier_wait -1
	v_mov_b32_e32 v1, v7
	global_inv scope:SCOPE_SE
	v_cmpx_gt_u64_e64 v[2:3], v[0:1]
	s_cbranch_execz .LBB2434_156
; %bb.154:
	v_lshlrev_b64_e32 v[8:9], 2, v[4:5]
	s_lshl_b64 s[2:3], s[10:11], 2
	v_add_nc_u32_e32 v6, 0xc0, v0
	s_wait_kmcnt 0x0
	s_delay_alu instid0(VALU_DEP_2) | instskip(SKIP_3) | instid1(VALU_DEP_2)
	v_add_co_u32 v8, vcc_lo, s4, v8
	s_wait_alu 0xfffd
	v_add_co_ci_u32_e64 v9, null, s5, v9, vcc_lo
	s_wait_alu 0xfffe
	v_add_co_u32 v10, vcc_lo, v8, s2
	s_wait_alu 0xfffd
	s_delay_alu instid0(VALU_DEP_2)
	v_add_co_ci_u32_e64 v11, null, s3, v9, vcc_lo
	v_dual_mov_b32 v9, v1 :: v_dual_mov_b32 v8, v0
	s_mov_b32 s2, 0
.LBB2434_155:                           ; =>This Inner Loop Header: Depth=1
	s_delay_alu instid0(VALU_DEP_1) | instskip(NEXT) | instid1(VALU_DEP_2)
	v_lshlrev_b32_e32 v1, 2, v8
	v_lshlrev_b64_e32 v[12:13], 2, v[8:9]
	v_dual_mov_b32 v9, v7 :: v_dual_mov_b32 v8, v6
	v_cmp_le_u64_e32 vcc_lo, v[2:3], v[6:7]
	ds_load_b32 v1, v1
	v_add_nc_u32_e32 v6, 0xc0, v6
	v_add_co_u32 v12, s0, v10, v12
	s_wait_alu 0xf1ff
	v_add_co_ci_u32_e64 v13, null, v11, v13, s0
	s_wait_alu 0xfffe
	s_or_b32 s2, vcc_lo, s2
	s_wait_dscnt 0x0
	global_store_b32 v[12:13], v1, off
	s_wait_alu 0xfffe
	s_and_not1_b32 exec_lo, exec_lo, s2
	s_cbranch_execnz .LBB2434_155
.LBB2434_156:
	s_wait_alu 0xfffe
	s_or_b32 exec_lo, exec_lo, s1
	v_cmp_eq_u32_e32 vcc_lo, 0, v0
	s_and_b32 s0, vcc_lo, s16
	s_wait_alu 0xfffe
	s_and_saveexec_b32 s1, s0
	s_cbranch_execz .LBB2434_119
.LBB2434_157:
	v_add_co_u32 v0, vcc_lo, v4, v2
	s_wait_alu 0xfffd
	v_add_co_ci_u32_e64 v1, null, v5, v3, vcc_lo
	v_mov_b32_e32 v2, 0
	s_delay_alu instid0(VALU_DEP_3) | instskip(SKIP_1) | instid1(VALU_DEP_3)
	v_add_co_u32 v0, vcc_lo, v0, s10
	s_wait_alu 0xfffd
	v_add_co_ci_u32_e64 v1, null, s11, v1, vcc_lo
	global_store_b64 v2, v[0:1], s[8:9]
	s_endpgm
.LBB2434_158:
	v_add_co_u32 v12, s3, s4, v9
	s_wait_alu 0xf1ff
	v_add_co_ci_u32_e64 v13, null, s5, 0, s3
	flat_load_b32 v2, v[12:13] offset:768
	s_wait_alu 0xfffe
	s_or_b32 exec_lo, exec_lo, s2
	s_delay_alu instid0(SALU_CYCLE_1)
	s_mov_b32 s2, exec_lo
	v_cmpx_gt_u32_e64 s18, v22
	s_cbranch_execz .LBB2434_7
.LBB2434_159:
	v_add_co_u32 v12, s3, s4, v9
	s_wait_alu 0xf1ff
	v_add_co_ci_u32_e64 v13, null, s5, 0, s3
	flat_load_b32 v3, v[12:13] offset:1536
	s_wait_alu 0xfffe
	s_or_b32 exec_lo, exec_lo, s2
	s_delay_alu instid0(SALU_CYCLE_1)
	s_mov_b32 s2, exec_lo
	v_cmpx_gt_u32_e64 s18, v21
	s_cbranch_execz .LBB2434_8
.LBB2434_160:
	v_add_co_u32 v12, s3, s4, v9
	s_wait_alu 0xf1ff
	v_add_co_ci_u32_e64 v13, null, s5, 0, s3
	flat_load_b32 v4, v[12:13] offset:2304
	s_wait_alu 0xfffe
	s_or_b32 exec_lo, exec_lo, s2
	s_delay_alu instid0(SALU_CYCLE_1)
	s_mov_b32 s2, exec_lo
	v_cmpx_gt_u32_e64 s18, v19
	s_cbranch_execz .LBB2434_9
.LBB2434_161:
	v_add_co_u32 v12, s3, s4, v9
	s_wait_alu 0xf1ff
	v_add_co_ci_u32_e64 v13, null, s5, 0, s3
	flat_load_b32 v5, v[12:13] offset:3072
	s_wait_alu 0xfffe
	s_or_b32 exec_lo, exec_lo, s2
	s_delay_alu instid0(SALU_CYCLE_1)
	s_mov_b32 s2, exec_lo
	v_cmpx_gt_u32_e64 s18, v17
	s_cbranch_execz .LBB2434_10
.LBB2434_162:
	v_add_co_u32 v12, s3, s4, v9
	s_wait_alu 0xf1ff
	v_add_co_ci_u32_e64 v13, null, s5, 0, s3
	flat_load_b32 v6, v[12:13] offset:3840
	s_wait_alu 0xfffe
	s_or_b32 exec_lo, exec_lo, s2
	s_delay_alu instid0(SALU_CYCLE_1)
	s_mov_b32 s2, exec_lo
	v_cmpx_gt_u32_e64 s18, v18
	s_cbranch_execz .LBB2434_11
.LBB2434_163:
	v_add_co_u32 v12, s3, s4, v9
	s_wait_alu 0xf1ff
	v_add_co_ci_u32_e64 v13, null, s5, 0, s3
	flat_load_b32 v7, v[12:13] offset:4608
	s_wait_alu 0xfffe
	s_or_b32 exec_lo, exec_lo, s2
	s_delay_alu instid0(SALU_CYCLE_1)
	s_mov_b32 s2, exec_lo
	v_cmpx_gt_u32_e64 s18, v20
	s_cbranch_execnz .LBB2434_12
	s_branch .LBB2434_13
.LBB2434_164:
	global_load_u8 v6, v0, s[2:3] offset:192
	v_and_b32_e32 v7, 0xff, v2
	s_wait_loadcnt 0x0
	v_xor_b32_e32 v6, 1, v6
	s_delay_alu instid0(VALU_DEP_1) | instskip(NEXT) | instid1(VALU_DEP_1)
	v_lshlrev_b16 v6, 8, v6
	v_or_b32_e32 v6, v7, v6
	s_delay_alu instid0(VALU_DEP_1) | instskip(NEXT) | instid1(VALU_DEP_1)
	v_and_b32_e32 v6, 0xffff, v6
	v_and_or_b32 v2, 0xffff0000, v2, v6
	s_wait_alu 0xfffe
	s_or_b32 exec_lo, exec_lo, s4
	s_delay_alu instid0(SALU_CYCLE_1)
	s_mov_b32 s4, exec_lo
	v_cmpx_gt_u32_e64 s18, v22
	s_cbranch_execz .LBB2434_21
.LBB2434_165:
	global_load_u8 v6, v0, s[2:3] offset:384
	v_lshrrev_b32_e32 v7, 16, v2
	s_delay_alu instid0(VALU_DEP_1) | instskip(SKIP_2) | instid1(VALU_DEP_1)
	v_and_b32_e32 v7, 0xffffff00, v7
	s_wait_loadcnt 0x0
	v_xor_b32_e32 v6, 1, v6
	v_or_b32_e32 v6, v6, v7
	s_delay_alu instid0(VALU_DEP_1) | instskip(NEXT) | instid1(VALU_DEP_1)
	v_lshlrev_b32_e32 v6, 16, v6
	v_and_or_b32 v2, 0xffff, v2, v6
	s_wait_alu 0xfffe
	s_or_b32 exec_lo, exec_lo, s4
	s_delay_alu instid0(SALU_CYCLE_1)
	s_mov_b32 s4, exec_lo
	v_cmpx_gt_u32_e64 s18, v21
	s_cbranch_execz .LBB2434_22
.LBB2434_166:
	global_load_u8 v6, v0, s[2:3] offset:576
	v_lshrrev_b32_e32 v7, 16, v2
	s_delay_alu instid0(VALU_DEP_1) | instskip(SKIP_2) | instid1(VALU_DEP_1)
	v_and_b32_e32 v7, 0xff, v7
	s_wait_loadcnt 0x0
	v_xor_b32_e32 v6, 1, v6
	v_lshlrev_b16 v6, 8, v6
	s_delay_alu instid0(VALU_DEP_1) | instskip(NEXT) | instid1(VALU_DEP_1)
	v_or_b32_e32 v6, v7, v6
	v_lshlrev_b32_e32 v6, 16, v6
	s_delay_alu instid0(VALU_DEP_1) | instskip(SKIP_2) | instid1(SALU_CYCLE_1)
	v_and_or_b32 v2, 0xffff, v2, v6
	s_wait_alu 0xfffe
	s_or_b32 exec_lo, exec_lo, s4
	s_mov_b32 s4, exec_lo
	v_cmpx_gt_u32_e64 s18, v19
	s_cbranch_execz .LBB2434_23
.LBB2434_167:
	global_load_u8 v6, v0, s[2:3] offset:768
	v_and_b32_e32 v7, 0xffffff00, v3
	s_wait_loadcnt 0x0
	v_xor_b32_e32 v6, 1, v6
	s_delay_alu instid0(VALU_DEP_1) | instskip(NEXT) | instid1(VALU_DEP_1)
	v_or_b32_e32 v6, v6, v7
	v_and_b32_e32 v6, 0xffff, v6
	s_delay_alu instid0(VALU_DEP_1) | instskip(SKIP_2) | instid1(SALU_CYCLE_1)
	v_and_or_b32 v3, 0xffff0000, v3, v6
	s_wait_alu 0xfffe
	s_or_b32 exec_lo, exec_lo, s4
	s_mov_b32 s4, exec_lo
	v_cmpx_gt_u32_e64 s18, v17
	s_cbranch_execz .LBB2434_24
.LBB2434_168:
	global_load_u8 v6, v0, s[2:3] offset:960
	v_and_b32_e32 v7, 0xff, v3
	s_wait_loadcnt 0x0
	v_xor_b32_e32 v6, 1, v6
	s_delay_alu instid0(VALU_DEP_1) | instskip(NEXT) | instid1(VALU_DEP_1)
	v_lshlrev_b16 v6, 8, v6
	v_or_b32_e32 v6, v7, v6
	s_delay_alu instid0(VALU_DEP_1) | instskip(NEXT) | instid1(VALU_DEP_1)
	v_and_b32_e32 v6, 0xffff, v6
	v_and_or_b32 v3, 0xffff0000, v3, v6
	s_wait_alu 0xfffe
	s_or_b32 exec_lo, exec_lo, s4
	s_delay_alu instid0(SALU_CYCLE_1)
	s_mov_b32 s4, exec_lo
	v_cmpx_gt_u32_e64 s18, v18
	s_cbranch_execz .LBB2434_25
.LBB2434_169:
	global_load_u8 v6, v0, s[2:3] offset:1152
	v_lshrrev_b32_e32 v7, 16, v3
	s_delay_alu instid0(VALU_DEP_1) | instskip(SKIP_2) | instid1(VALU_DEP_1)
	v_and_b32_e32 v7, 0xffffff00, v7
	s_wait_loadcnt 0x0
	v_xor_b32_e32 v6, 1, v6
	v_or_b32_e32 v6, v6, v7
	s_delay_alu instid0(VALU_DEP_1) | instskip(NEXT) | instid1(VALU_DEP_1)
	v_lshlrev_b32_e32 v6, 16, v6
	v_and_or_b32 v3, 0xffff, v3, v6
	s_wait_alu 0xfffe
	s_or_b32 exec_lo, exec_lo, s4
	s_delay_alu instid0(SALU_CYCLE_1)
	s_mov_b32 s4, exec_lo
	v_cmpx_gt_u32_e64 s18, v20
	s_cbranch_execnz .LBB2434_26
	s_branch .LBB2434_27
	.section	.rodata,"a",@progbits
	.p2align	6, 0x0
	.amdhsa_kernel _ZN7rocprim17ROCPRIM_400000_NS6detail17trampoline_kernelINS0_14default_configENS1_25partition_config_selectorILNS1_17partition_subalgoE5EjNS0_10empty_typeEbEEZZNS1_14partition_implILS5_5ELb0ES3_mN6thrust23THRUST_200600_302600_NS6detail15normal_iteratorINSA_10device_ptrIjEEEEPS6_NSA_18transform_iteratorINSB_9not_fun_tI7is_trueIjEEENSC_INSD_IbEEEENSA_11use_defaultESO_EENS0_5tupleIJSF_S6_EEENSQ_IJSG_SG_EEES6_PlJS6_EEE10hipError_tPvRmT3_T4_T5_T6_T7_T9_mT8_P12ihipStream_tbDpT10_ENKUlT_T0_E_clISt17integral_constantIbLb0EES1D_EEDaS18_S19_EUlS18_E_NS1_11comp_targetILNS1_3genE10ELNS1_11target_archE1200ELNS1_3gpuE4ELNS1_3repE0EEENS1_30default_config_static_selectorELNS0_4arch9wavefront6targetE0EEEvT1_
		.amdhsa_group_segment_fixed_size 6352
		.amdhsa_private_segment_fixed_size 0
		.amdhsa_kernarg_size 120
		.amdhsa_user_sgpr_count 2
		.amdhsa_user_sgpr_dispatch_ptr 0
		.amdhsa_user_sgpr_queue_ptr 0
		.amdhsa_user_sgpr_kernarg_segment_ptr 1
		.amdhsa_user_sgpr_dispatch_id 0
		.amdhsa_user_sgpr_private_segment_size 0
		.amdhsa_wavefront_size32 1
		.amdhsa_uses_dynamic_stack 0
		.amdhsa_enable_private_segment 0
		.amdhsa_system_sgpr_workgroup_id_x 1
		.amdhsa_system_sgpr_workgroup_id_y 0
		.amdhsa_system_sgpr_workgroup_id_z 0
		.amdhsa_system_sgpr_workgroup_info 0
		.amdhsa_system_vgpr_workitem_id 0
		.amdhsa_next_free_vgpr 52
		.amdhsa_next_free_sgpr 22
		.amdhsa_reserve_vcc 1
		.amdhsa_float_round_mode_32 0
		.amdhsa_float_round_mode_16_64 0
		.amdhsa_float_denorm_mode_32 3
		.amdhsa_float_denorm_mode_16_64 3
		.amdhsa_fp16_overflow 0
		.amdhsa_workgroup_processor_mode 1
		.amdhsa_memory_ordered 1
		.amdhsa_forward_progress 1
		.amdhsa_inst_pref_size 72
		.amdhsa_round_robin_scheduling 0
		.amdhsa_exception_fp_ieee_invalid_op 0
		.amdhsa_exception_fp_denorm_src 0
		.amdhsa_exception_fp_ieee_div_zero 0
		.amdhsa_exception_fp_ieee_overflow 0
		.amdhsa_exception_fp_ieee_underflow 0
		.amdhsa_exception_fp_ieee_inexact 0
		.amdhsa_exception_int_div_zero 0
	.end_amdhsa_kernel
	.section	.text._ZN7rocprim17ROCPRIM_400000_NS6detail17trampoline_kernelINS0_14default_configENS1_25partition_config_selectorILNS1_17partition_subalgoE5EjNS0_10empty_typeEbEEZZNS1_14partition_implILS5_5ELb0ES3_mN6thrust23THRUST_200600_302600_NS6detail15normal_iteratorINSA_10device_ptrIjEEEEPS6_NSA_18transform_iteratorINSB_9not_fun_tI7is_trueIjEEENSC_INSD_IbEEEENSA_11use_defaultESO_EENS0_5tupleIJSF_S6_EEENSQ_IJSG_SG_EEES6_PlJS6_EEE10hipError_tPvRmT3_T4_T5_T6_T7_T9_mT8_P12ihipStream_tbDpT10_ENKUlT_T0_E_clISt17integral_constantIbLb0EES1D_EEDaS18_S19_EUlS18_E_NS1_11comp_targetILNS1_3genE10ELNS1_11target_archE1200ELNS1_3gpuE4ELNS1_3repE0EEENS1_30default_config_static_selectorELNS0_4arch9wavefront6targetE0EEEvT1_,"axG",@progbits,_ZN7rocprim17ROCPRIM_400000_NS6detail17trampoline_kernelINS0_14default_configENS1_25partition_config_selectorILNS1_17partition_subalgoE5EjNS0_10empty_typeEbEEZZNS1_14partition_implILS5_5ELb0ES3_mN6thrust23THRUST_200600_302600_NS6detail15normal_iteratorINSA_10device_ptrIjEEEEPS6_NSA_18transform_iteratorINSB_9not_fun_tI7is_trueIjEEENSC_INSD_IbEEEENSA_11use_defaultESO_EENS0_5tupleIJSF_S6_EEENSQ_IJSG_SG_EEES6_PlJS6_EEE10hipError_tPvRmT3_T4_T5_T6_T7_T9_mT8_P12ihipStream_tbDpT10_ENKUlT_T0_E_clISt17integral_constantIbLb0EES1D_EEDaS18_S19_EUlS18_E_NS1_11comp_targetILNS1_3genE10ELNS1_11target_archE1200ELNS1_3gpuE4ELNS1_3repE0EEENS1_30default_config_static_selectorELNS0_4arch9wavefront6targetE0EEEvT1_,comdat
.Lfunc_end2434:
	.size	_ZN7rocprim17ROCPRIM_400000_NS6detail17trampoline_kernelINS0_14default_configENS1_25partition_config_selectorILNS1_17partition_subalgoE5EjNS0_10empty_typeEbEEZZNS1_14partition_implILS5_5ELb0ES3_mN6thrust23THRUST_200600_302600_NS6detail15normal_iteratorINSA_10device_ptrIjEEEEPS6_NSA_18transform_iteratorINSB_9not_fun_tI7is_trueIjEEENSC_INSD_IbEEEENSA_11use_defaultESO_EENS0_5tupleIJSF_S6_EEENSQ_IJSG_SG_EEES6_PlJS6_EEE10hipError_tPvRmT3_T4_T5_T6_T7_T9_mT8_P12ihipStream_tbDpT10_ENKUlT_T0_E_clISt17integral_constantIbLb0EES1D_EEDaS18_S19_EUlS18_E_NS1_11comp_targetILNS1_3genE10ELNS1_11target_archE1200ELNS1_3gpuE4ELNS1_3repE0EEENS1_30default_config_static_selectorELNS0_4arch9wavefront6targetE0EEEvT1_, .Lfunc_end2434-_ZN7rocprim17ROCPRIM_400000_NS6detail17trampoline_kernelINS0_14default_configENS1_25partition_config_selectorILNS1_17partition_subalgoE5EjNS0_10empty_typeEbEEZZNS1_14partition_implILS5_5ELb0ES3_mN6thrust23THRUST_200600_302600_NS6detail15normal_iteratorINSA_10device_ptrIjEEEEPS6_NSA_18transform_iteratorINSB_9not_fun_tI7is_trueIjEEENSC_INSD_IbEEEENSA_11use_defaultESO_EENS0_5tupleIJSF_S6_EEENSQ_IJSG_SG_EEES6_PlJS6_EEE10hipError_tPvRmT3_T4_T5_T6_T7_T9_mT8_P12ihipStream_tbDpT10_ENKUlT_T0_E_clISt17integral_constantIbLb0EES1D_EEDaS18_S19_EUlS18_E_NS1_11comp_targetILNS1_3genE10ELNS1_11target_archE1200ELNS1_3gpuE4ELNS1_3repE0EEENS1_30default_config_static_selectorELNS0_4arch9wavefront6targetE0EEEvT1_
                                        ; -- End function
	.set _ZN7rocprim17ROCPRIM_400000_NS6detail17trampoline_kernelINS0_14default_configENS1_25partition_config_selectorILNS1_17partition_subalgoE5EjNS0_10empty_typeEbEEZZNS1_14partition_implILS5_5ELb0ES3_mN6thrust23THRUST_200600_302600_NS6detail15normal_iteratorINSA_10device_ptrIjEEEEPS6_NSA_18transform_iteratorINSB_9not_fun_tI7is_trueIjEEENSC_INSD_IbEEEENSA_11use_defaultESO_EENS0_5tupleIJSF_S6_EEENSQ_IJSG_SG_EEES6_PlJS6_EEE10hipError_tPvRmT3_T4_T5_T6_T7_T9_mT8_P12ihipStream_tbDpT10_ENKUlT_T0_E_clISt17integral_constantIbLb0EES1D_EEDaS18_S19_EUlS18_E_NS1_11comp_targetILNS1_3genE10ELNS1_11target_archE1200ELNS1_3gpuE4ELNS1_3repE0EEENS1_30default_config_static_selectorELNS0_4arch9wavefront6targetE0EEEvT1_.num_vgpr, 52
	.set _ZN7rocprim17ROCPRIM_400000_NS6detail17trampoline_kernelINS0_14default_configENS1_25partition_config_selectorILNS1_17partition_subalgoE5EjNS0_10empty_typeEbEEZZNS1_14partition_implILS5_5ELb0ES3_mN6thrust23THRUST_200600_302600_NS6detail15normal_iteratorINSA_10device_ptrIjEEEEPS6_NSA_18transform_iteratorINSB_9not_fun_tI7is_trueIjEEENSC_INSD_IbEEEENSA_11use_defaultESO_EENS0_5tupleIJSF_S6_EEENSQ_IJSG_SG_EEES6_PlJS6_EEE10hipError_tPvRmT3_T4_T5_T6_T7_T9_mT8_P12ihipStream_tbDpT10_ENKUlT_T0_E_clISt17integral_constantIbLb0EES1D_EEDaS18_S19_EUlS18_E_NS1_11comp_targetILNS1_3genE10ELNS1_11target_archE1200ELNS1_3gpuE4ELNS1_3repE0EEENS1_30default_config_static_selectorELNS0_4arch9wavefront6targetE0EEEvT1_.num_agpr, 0
	.set _ZN7rocprim17ROCPRIM_400000_NS6detail17trampoline_kernelINS0_14default_configENS1_25partition_config_selectorILNS1_17partition_subalgoE5EjNS0_10empty_typeEbEEZZNS1_14partition_implILS5_5ELb0ES3_mN6thrust23THRUST_200600_302600_NS6detail15normal_iteratorINSA_10device_ptrIjEEEEPS6_NSA_18transform_iteratorINSB_9not_fun_tI7is_trueIjEEENSC_INSD_IbEEEENSA_11use_defaultESO_EENS0_5tupleIJSF_S6_EEENSQ_IJSG_SG_EEES6_PlJS6_EEE10hipError_tPvRmT3_T4_T5_T6_T7_T9_mT8_P12ihipStream_tbDpT10_ENKUlT_T0_E_clISt17integral_constantIbLb0EES1D_EEDaS18_S19_EUlS18_E_NS1_11comp_targetILNS1_3genE10ELNS1_11target_archE1200ELNS1_3gpuE4ELNS1_3repE0EEENS1_30default_config_static_selectorELNS0_4arch9wavefront6targetE0EEEvT1_.numbered_sgpr, 22
	.set _ZN7rocprim17ROCPRIM_400000_NS6detail17trampoline_kernelINS0_14default_configENS1_25partition_config_selectorILNS1_17partition_subalgoE5EjNS0_10empty_typeEbEEZZNS1_14partition_implILS5_5ELb0ES3_mN6thrust23THRUST_200600_302600_NS6detail15normal_iteratorINSA_10device_ptrIjEEEEPS6_NSA_18transform_iteratorINSB_9not_fun_tI7is_trueIjEEENSC_INSD_IbEEEENSA_11use_defaultESO_EENS0_5tupleIJSF_S6_EEENSQ_IJSG_SG_EEES6_PlJS6_EEE10hipError_tPvRmT3_T4_T5_T6_T7_T9_mT8_P12ihipStream_tbDpT10_ENKUlT_T0_E_clISt17integral_constantIbLb0EES1D_EEDaS18_S19_EUlS18_E_NS1_11comp_targetILNS1_3genE10ELNS1_11target_archE1200ELNS1_3gpuE4ELNS1_3repE0EEENS1_30default_config_static_selectorELNS0_4arch9wavefront6targetE0EEEvT1_.num_named_barrier, 0
	.set _ZN7rocprim17ROCPRIM_400000_NS6detail17trampoline_kernelINS0_14default_configENS1_25partition_config_selectorILNS1_17partition_subalgoE5EjNS0_10empty_typeEbEEZZNS1_14partition_implILS5_5ELb0ES3_mN6thrust23THRUST_200600_302600_NS6detail15normal_iteratorINSA_10device_ptrIjEEEEPS6_NSA_18transform_iteratorINSB_9not_fun_tI7is_trueIjEEENSC_INSD_IbEEEENSA_11use_defaultESO_EENS0_5tupleIJSF_S6_EEENSQ_IJSG_SG_EEES6_PlJS6_EEE10hipError_tPvRmT3_T4_T5_T6_T7_T9_mT8_P12ihipStream_tbDpT10_ENKUlT_T0_E_clISt17integral_constantIbLb0EES1D_EEDaS18_S19_EUlS18_E_NS1_11comp_targetILNS1_3genE10ELNS1_11target_archE1200ELNS1_3gpuE4ELNS1_3repE0EEENS1_30default_config_static_selectorELNS0_4arch9wavefront6targetE0EEEvT1_.private_seg_size, 0
	.set _ZN7rocprim17ROCPRIM_400000_NS6detail17trampoline_kernelINS0_14default_configENS1_25partition_config_selectorILNS1_17partition_subalgoE5EjNS0_10empty_typeEbEEZZNS1_14partition_implILS5_5ELb0ES3_mN6thrust23THRUST_200600_302600_NS6detail15normal_iteratorINSA_10device_ptrIjEEEEPS6_NSA_18transform_iteratorINSB_9not_fun_tI7is_trueIjEEENSC_INSD_IbEEEENSA_11use_defaultESO_EENS0_5tupleIJSF_S6_EEENSQ_IJSG_SG_EEES6_PlJS6_EEE10hipError_tPvRmT3_T4_T5_T6_T7_T9_mT8_P12ihipStream_tbDpT10_ENKUlT_T0_E_clISt17integral_constantIbLb0EES1D_EEDaS18_S19_EUlS18_E_NS1_11comp_targetILNS1_3genE10ELNS1_11target_archE1200ELNS1_3gpuE4ELNS1_3repE0EEENS1_30default_config_static_selectorELNS0_4arch9wavefront6targetE0EEEvT1_.uses_vcc, 1
	.set _ZN7rocprim17ROCPRIM_400000_NS6detail17trampoline_kernelINS0_14default_configENS1_25partition_config_selectorILNS1_17partition_subalgoE5EjNS0_10empty_typeEbEEZZNS1_14partition_implILS5_5ELb0ES3_mN6thrust23THRUST_200600_302600_NS6detail15normal_iteratorINSA_10device_ptrIjEEEEPS6_NSA_18transform_iteratorINSB_9not_fun_tI7is_trueIjEEENSC_INSD_IbEEEENSA_11use_defaultESO_EENS0_5tupleIJSF_S6_EEENSQ_IJSG_SG_EEES6_PlJS6_EEE10hipError_tPvRmT3_T4_T5_T6_T7_T9_mT8_P12ihipStream_tbDpT10_ENKUlT_T0_E_clISt17integral_constantIbLb0EES1D_EEDaS18_S19_EUlS18_E_NS1_11comp_targetILNS1_3genE10ELNS1_11target_archE1200ELNS1_3gpuE4ELNS1_3repE0EEENS1_30default_config_static_selectorELNS0_4arch9wavefront6targetE0EEEvT1_.uses_flat_scratch, 1
	.set _ZN7rocprim17ROCPRIM_400000_NS6detail17trampoline_kernelINS0_14default_configENS1_25partition_config_selectorILNS1_17partition_subalgoE5EjNS0_10empty_typeEbEEZZNS1_14partition_implILS5_5ELb0ES3_mN6thrust23THRUST_200600_302600_NS6detail15normal_iteratorINSA_10device_ptrIjEEEEPS6_NSA_18transform_iteratorINSB_9not_fun_tI7is_trueIjEEENSC_INSD_IbEEEENSA_11use_defaultESO_EENS0_5tupleIJSF_S6_EEENSQ_IJSG_SG_EEES6_PlJS6_EEE10hipError_tPvRmT3_T4_T5_T6_T7_T9_mT8_P12ihipStream_tbDpT10_ENKUlT_T0_E_clISt17integral_constantIbLb0EES1D_EEDaS18_S19_EUlS18_E_NS1_11comp_targetILNS1_3genE10ELNS1_11target_archE1200ELNS1_3gpuE4ELNS1_3repE0EEENS1_30default_config_static_selectorELNS0_4arch9wavefront6targetE0EEEvT1_.has_dyn_sized_stack, 0
	.set _ZN7rocprim17ROCPRIM_400000_NS6detail17trampoline_kernelINS0_14default_configENS1_25partition_config_selectorILNS1_17partition_subalgoE5EjNS0_10empty_typeEbEEZZNS1_14partition_implILS5_5ELb0ES3_mN6thrust23THRUST_200600_302600_NS6detail15normal_iteratorINSA_10device_ptrIjEEEEPS6_NSA_18transform_iteratorINSB_9not_fun_tI7is_trueIjEEENSC_INSD_IbEEEENSA_11use_defaultESO_EENS0_5tupleIJSF_S6_EEENSQ_IJSG_SG_EEES6_PlJS6_EEE10hipError_tPvRmT3_T4_T5_T6_T7_T9_mT8_P12ihipStream_tbDpT10_ENKUlT_T0_E_clISt17integral_constantIbLb0EES1D_EEDaS18_S19_EUlS18_E_NS1_11comp_targetILNS1_3genE10ELNS1_11target_archE1200ELNS1_3gpuE4ELNS1_3repE0EEENS1_30default_config_static_selectorELNS0_4arch9wavefront6targetE0EEEvT1_.has_recursion, 0
	.set _ZN7rocprim17ROCPRIM_400000_NS6detail17trampoline_kernelINS0_14default_configENS1_25partition_config_selectorILNS1_17partition_subalgoE5EjNS0_10empty_typeEbEEZZNS1_14partition_implILS5_5ELb0ES3_mN6thrust23THRUST_200600_302600_NS6detail15normal_iteratorINSA_10device_ptrIjEEEEPS6_NSA_18transform_iteratorINSB_9not_fun_tI7is_trueIjEEENSC_INSD_IbEEEENSA_11use_defaultESO_EENS0_5tupleIJSF_S6_EEENSQ_IJSG_SG_EEES6_PlJS6_EEE10hipError_tPvRmT3_T4_T5_T6_T7_T9_mT8_P12ihipStream_tbDpT10_ENKUlT_T0_E_clISt17integral_constantIbLb0EES1D_EEDaS18_S19_EUlS18_E_NS1_11comp_targetILNS1_3genE10ELNS1_11target_archE1200ELNS1_3gpuE4ELNS1_3repE0EEENS1_30default_config_static_selectorELNS0_4arch9wavefront6targetE0EEEvT1_.has_indirect_call, 0
	.section	.AMDGPU.csdata,"",@progbits
; Kernel info:
; codeLenInByte = 9180
; TotalNumSgprs: 24
; NumVgprs: 52
; ScratchSize: 0
; MemoryBound: 0
; FloatMode: 240
; IeeeMode: 1
; LDSByteSize: 6352 bytes/workgroup (compile time only)
; SGPRBlocks: 0
; VGPRBlocks: 6
; NumSGPRsForWavesPerEU: 24
; NumVGPRsForWavesPerEU: 52
; Occupancy: 15
; WaveLimiterHint : 1
; COMPUTE_PGM_RSRC2:SCRATCH_EN: 0
; COMPUTE_PGM_RSRC2:USER_SGPR: 2
; COMPUTE_PGM_RSRC2:TRAP_HANDLER: 0
; COMPUTE_PGM_RSRC2:TGID_X_EN: 1
; COMPUTE_PGM_RSRC2:TGID_Y_EN: 0
; COMPUTE_PGM_RSRC2:TGID_Z_EN: 0
; COMPUTE_PGM_RSRC2:TIDIG_COMP_CNT: 0
	.section	.text._ZN7rocprim17ROCPRIM_400000_NS6detail17trampoline_kernelINS0_14default_configENS1_25partition_config_selectorILNS1_17partition_subalgoE5EjNS0_10empty_typeEbEEZZNS1_14partition_implILS5_5ELb0ES3_mN6thrust23THRUST_200600_302600_NS6detail15normal_iteratorINSA_10device_ptrIjEEEEPS6_NSA_18transform_iteratorINSB_9not_fun_tI7is_trueIjEEENSC_INSD_IbEEEENSA_11use_defaultESO_EENS0_5tupleIJSF_S6_EEENSQ_IJSG_SG_EEES6_PlJS6_EEE10hipError_tPvRmT3_T4_T5_T6_T7_T9_mT8_P12ihipStream_tbDpT10_ENKUlT_T0_E_clISt17integral_constantIbLb0EES1D_EEDaS18_S19_EUlS18_E_NS1_11comp_targetILNS1_3genE9ELNS1_11target_archE1100ELNS1_3gpuE3ELNS1_3repE0EEENS1_30default_config_static_selectorELNS0_4arch9wavefront6targetE0EEEvT1_,"axG",@progbits,_ZN7rocprim17ROCPRIM_400000_NS6detail17trampoline_kernelINS0_14default_configENS1_25partition_config_selectorILNS1_17partition_subalgoE5EjNS0_10empty_typeEbEEZZNS1_14partition_implILS5_5ELb0ES3_mN6thrust23THRUST_200600_302600_NS6detail15normal_iteratorINSA_10device_ptrIjEEEEPS6_NSA_18transform_iteratorINSB_9not_fun_tI7is_trueIjEEENSC_INSD_IbEEEENSA_11use_defaultESO_EENS0_5tupleIJSF_S6_EEENSQ_IJSG_SG_EEES6_PlJS6_EEE10hipError_tPvRmT3_T4_T5_T6_T7_T9_mT8_P12ihipStream_tbDpT10_ENKUlT_T0_E_clISt17integral_constantIbLb0EES1D_EEDaS18_S19_EUlS18_E_NS1_11comp_targetILNS1_3genE9ELNS1_11target_archE1100ELNS1_3gpuE3ELNS1_3repE0EEENS1_30default_config_static_selectorELNS0_4arch9wavefront6targetE0EEEvT1_,comdat
	.protected	_ZN7rocprim17ROCPRIM_400000_NS6detail17trampoline_kernelINS0_14default_configENS1_25partition_config_selectorILNS1_17partition_subalgoE5EjNS0_10empty_typeEbEEZZNS1_14partition_implILS5_5ELb0ES3_mN6thrust23THRUST_200600_302600_NS6detail15normal_iteratorINSA_10device_ptrIjEEEEPS6_NSA_18transform_iteratorINSB_9not_fun_tI7is_trueIjEEENSC_INSD_IbEEEENSA_11use_defaultESO_EENS0_5tupleIJSF_S6_EEENSQ_IJSG_SG_EEES6_PlJS6_EEE10hipError_tPvRmT3_T4_T5_T6_T7_T9_mT8_P12ihipStream_tbDpT10_ENKUlT_T0_E_clISt17integral_constantIbLb0EES1D_EEDaS18_S19_EUlS18_E_NS1_11comp_targetILNS1_3genE9ELNS1_11target_archE1100ELNS1_3gpuE3ELNS1_3repE0EEENS1_30default_config_static_selectorELNS0_4arch9wavefront6targetE0EEEvT1_ ; -- Begin function _ZN7rocprim17ROCPRIM_400000_NS6detail17trampoline_kernelINS0_14default_configENS1_25partition_config_selectorILNS1_17partition_subalgoE5EjNS0_10empty_typeEbEEZZNS1_14partition_implILS5_5ELb0ES3_mN6thrust23THRUST_200600_302600_NS6detail15normal_iteratorINSA_10device_ptrIjEEEEPS6_NSA_18transform_iteratorINSB_9not_fun_tI7is_trueIjEEENSC_INSD_IbEEEENSA_11use_defaultESO_EENS0_5tupleIJSF_S6_EEENSQ_IJSG_SG_EEES6_PlJS6_EEE10hipError_tPvRmT3_T4_T5_T6_T7_T9_mT8_P12ihipStream_tbDpT10_ENKUlT_T0_E_clISt17integral_constantIbLb0EES1D_EEDaS18_S19_EUlS18_E_NS1_11comp_targetILNS1_3genE9ELNS1_11target_archE1100ELNS1_3gpuE3ELNS1_3repE0EEENS1_30default_config_static_selectorELNS0_4arch9wavefront6targetE0EEEvT1_
	.globl	_ZN7rocprim17ROCPRIM_400000_NS6detail17trampoline_kernelINS0_14default_configENS1_25partition_config_selectorILNS1_17partition_subalgoE5EjNS0_10empty_typeEbEEZZNS1_14partition_implILS5_5ELb0ES3_mN6thrust23THRUST_200600_302600_NS6detail15normal_iteratorINSA_10device_ptrIjEEEEPS6_NSA_18transform_iteratorINSB_9not_fun_tI7is_trueIjEEENSC_INSD_IbEEEENSA_11use_defaultESO_EENS0_5tupleIJSF_S6_EEENSQ_IJSG_SG_EEES6_PlJS6_EEE10hipError_tPvRmT3_T4_T5_T6_T7_T9_mT8_P12ihipStream_tbDpT10_ENKUlT_T0_E_clISt17integral_constantIbLb0EES1D_EEDaS18_S19_EUlS18_E_NS1_11comp_targetILNS1_3genE9ELNS1_11target_archE1100ELNS1_3gpuE3ELNS1_3repE0EEENS1_30default_config_static_selectorELNS0_4arch9wavefront6targetE0EEEvT1_
	.p2align	8
	.type	_ZN7rocprim17ROCPRIM_400000_NS6detail17trampoline_kernelINS0_14default_configENS1_25partition_config_selectorILNS1_17partition_subalgoE5EjNS0_10empty_typeEbEEZZNS1_14partition_implILS5_5ELb0ES3_mN6thrust23THRUST_200600_302600_NS6detail15normal_iteratorINSA_10device_ptrIjEEEEPS6_NSA_18transform_iteratorINSB_9not_fun_tI7is_trueIjEEENSC_INSD_IbEEEENSA_11use_defaultESO_EENS0_5tupleIJSF_S6_EEENSQ_IJSG_SG_EEES6_PlJS6_EEE10hipError_tPvRmT3_T4_T5_T6_T7_T9_mT8_P12ihipStream_tbDpT10_ENKUlT_T0_E_clISt17integral_constantIbLb0EES1D_EEDaS18_S19_EUlS18_E_NS1_11comp_targetILNS1_3genE9ELNS1_11target_archE1100ELNS1_3gpuE3ELNS1_3repE0EEENS1_30default_config_static_selectorELNS0_4arch9wavefront6targetE0EEEvT1_,@function
_ZN7rocprim17ROCPRIM_400000_NS6detail17trampoline_kernelINS0_14default_configENS1_25partition_config_selectorILNS1_17partition_subalgoE5EjNS0_10empty_typeEbEEZZNS1_14partition_implILS5_5ELb0ES3_mN6thrust23THRUST_200600_302600_NS6detail15normal_iteratorINSA_10device_ptrIjEEEEPS6_NSA_18transform_iteratorINSB_9not_fun_tI7is_trueIjEEENSC_INSD_IbEEEENSA_11use_defaultESO_EENS0_5tupleIJSF_S6_EEENSQ_IJSG_SG_EEES6_PlJS6_EEE10hipError_tPvRmT3_T4_T5_T6_T7_T9_mT8_P12ihipStream_tbDpT10_ENKUlT_T0_E_clISt17integral_constantIbLb0EES1D_EEDaS18_S19_EUlS18_E_NS1_11comp_targetILNS1_3genE9ELNS1_11target_archE1100ELNS1_3gpuE3ELNS1_3repE0EEENS1_30default_config_static_selectorELNS0_4arch9wavefront6targetE0EEEvT1_: ; @_ZN7rocprim17ROCPRIM_400000_NS6detail17trampoline_kernelINS0_14default_configENS1_25partition_config_selectorILNS1_17partition_subalgoE5EjNS0_10empty_typeEbEEZZNS1_14partition_implILS5_5ELb0ES3_mN6thrust23THRUST_200600_302600_NS6detail15normal_iteratorINSA_10device_ptrIjEEEEPS6_NSA_18transform_iteratorINSB_9not_fun_tI7is_trueIjEEENSC_INSD_IbEEEENSA_11use_defaultESO_EENS0_5tupleIJSF_S6_EEENSQ_IJSG_SG_EEES6_PlJS6_EEE10hipError_tPvRmT3_T4_T5_T6_T7_T9_mT8_P12ihipStream_tbDpT10_ENKUlT_T0_E_clISt17integral_constantIbLb0EES1D_EEDaS18_S19_EUlS18_E_NS1_11comp_targetILNS1_3genE9ELNS1_11target_archE1100ELNS1_3gpuE3ELNS1_3repE0EEENS1_30default_config_static_selectorELNS0_4arch9wavefront6targetE0EEEvT1_
; %bb.0:
	.section	.rodata,"a",@progbits
	.p2align	6, 0x0
	.amdhsa_kernel _ZN7rocprim17ROCPRIM_400000_NS6detail17trampoline_kernelINS0_14default_configENS1_25partition_config_selectorILNS1_17partition_subalgoE5EjNS0_10empty_typeEbEEZZNS1_14partition_implILS5_5ELb0ES3_mN6thrust23THRUST_200600_302600_NS6detail15normal_iteratorINSA_10device_ptrIjEEEEPS6_NSA_18transform_iteratorINSB_9not_fun_tI7is_trueIjEEENSC_INSD_IbEEEENSA_11use_defaultESO_EENS0_5tupleIJSF_S6_EEENSQ_IJSG_SG_EEES6_PlJS6_EEE10hipError_tPvRmT3_T4_T5_T6_T7_T9_mT8_P12ihipStream_tbDpT10_ENKUlT_T0_E_clISt17integral_constantIbLb0EES1D_EEDaS18_S19_EUlS18_E_NS1_11comp_targetILNS1_3genE9ELNS1_11target_archE1100ELNS1_3gpuE3ELNS1_3repE0EEENS1_30default_config_static_selectorELNS0_4arch9wavefront6targetE0EEEvT1_
		.amdhsa_group_segment_fixed_size 0
		.amdhsa_private_segment_fixed_size 0
		.amdhsa_kernarg_size 120
		.amdhsa_user_sgpr_count 2
		.amdhsa_user_sgpr_dispatch_ptr 0
		.amdhsa_user_sgpr_queue_ptr 0
		.amdhsa_user_sgpr_kernarg_segment_ptr 1
		.amdhsa_user_sgpr_dispatch_id 0
		.amdhsa_user_sgpr_private_segment_size 0
		.amdhsa_wavefront_size32 1
		.amdhsa_uses_dynamic_stack 0
		.amdhsa_enable_private_segment 0
		.amdhsa_system_sgpr_workgroup_id_x 1
		.amdhsa_system_sgpr_workgroup_id_y 0
		.amdhsa_system_sgpr_workgroup_id_z 0
		.amdhsa_system_sgpr_workgroup_info 0
		.amdhsa_system_vgpr_workitem_id 0
		.amdhsa_next_free_vgpr 1
		.amdhsa_next_free_sgpr 1
		.amdhsa_reserve_vcc 0
		.amdhsa_float_round_mode_32 0
		.amdhsa_float_round_mode_16_64 0
		.amdhsa_float_denorm_mode_32 3
		.amdhsa_float_denorm_mode_16_64 3
		.amdhsa_fp16_overflow 0
		.amdhsa_workgroup_processor_mode 1
		.amdhsa_memory_ordered 1
		.amdhsa_forward_progress 1
		.amdhsa_inst_pref_size 0
		.amdhsa_round_robin_scheduling 0
		.amdhsa_exception_fp_ieee_invalid_op 0
		.amdhsa_exception_fp_denorm_src 0
		.amdhsa_exception_fp_ieee_div_zero 0
		.amdhsa_exception_fp_ieee_overflow 0
		.amdhsa_exception_fp_ieee_underflow 0
		.amdhsa_exception_fp_ieee_inexact 0
		.amdhsa_exception_int_div_zero 0
	.end_amdhsa_kernel
	.section	.text._ZN7rocprim17ROCPRIM_400000_NS6detail17trampoline_kernelINS0_14default_configENS1_25partition_config_selectorILNS1_17partition_subalgoE5EjNS0_10empty_typeEbEEZZNS1_14partition_implILS5_5ELb0ES3_mN6thrust23THRUST_200600_302600_NS6detail15normal_iteratorINSA_10device_ptrIjEEEEPS6_NSA_18transform_iteratorINSB_9not_fun_tI7is_trueIjEEENSC_INSD_IbEEEENSA_11use_defaultESO_EENS0_5tupleIJSF_S6_EEENSQ_IJSG_SG_EEES6_PlJS6_EEE10hipError_tPvRmT3_T4_T5_T6_T7_T9_mT8_P12ihipStream_tbDpT10_ENKUlT_T0_E_clISt17integral_constantIbLb0EES1D_EEDaS18_S19_EUlS18_E_NS1_11comp_targetILNS1_3genE9ELNS1_11target_archE1100ELNS1_3gpuE3ELNS1_3repE0EEENS1_30default_config_static_selectorELNS0_4arch9wavefront6targetE0EEEvT1_,"axG",@progbits,_ZN7rocprim17ROCPRIM_400000_NS6detail17trampoline_kernelINS0_14default_configENS1_25partition_config_selectorILNS1_17partition_subalgoE5EjNS0_10empty_typeEbEEZZNS1_14partition_implILS5_5ELb0ES3_mN6thrust23THRUST_200600_302600_NS6detail15normal_iteratorINSA_10device_ptrIjEEEEPS6_NSA_18transform_iteratorINSB_9not_fun_tI7is_trueIjEEENSC_INSD_IbEEEENSA_11use_defaultESO_EENS0_5tupleIJSF_S6_EEENSQ_IJSG_SG_EEES6_PlJS6_EEE10hipError_tPvRmT3_T4_T5_T6_T7_T9_mT8_P12ihipStream_tbDpT10_ENKUlT_T0_E_clISt17integral_constantIbLb0EES1D_EEDaS18_S19_EUlS18_E_NS1_11comp_targetILNS1_3genE9ELNS1_11target_archE1100ELNS1_3gpuE3ELNS1_3repE0EEENS1_30default_config_static_selectorELNS0_4arch9wavefront6targetE0EEEvT1_,comdat
.Lfunc_end2435:
	.size	_ZN7rocprim17ROCPRIM_400000_NS6detail17trampoline_kernelINS0_14default_configENS1_25partition_config_selectorILNS1_17partition_subalgoE5EjNS0_10empty_typeEbEEZZNS1_14partition_implILS5_5ELb0ES3_mN6thrust23THRUST_200600_302600_NS6detail15normal_iteratorINSA_10device_ptrIjEEEEPS6_NSA_18transform_iteratorINSB_9not_fun_tI7is_trueIjEEENSC_INSD_IbEEEENSA_11use_defaultESO_EENS0_5tupleIJSF_S6_EEENSQ_IJSG_SG_EEES6_PlJS6_EEE10hipError_tPvRmT3_T4_T5_T6_T7_T9_mT8_P12ihipStream_tbDpT10_ENKUlT_T0_E_clISt17integral_constantIbLb0EES1D_EEDaS18_S19_EUlS18_E_NS1_11comp_targetILNS1_3genE9ELNS1_11target_archE1100ELNS1_3gpuE3ELNS1_3repE0EEENS1_30default_config_static_selectorELNS0_4arch9wavefront6targetE0EEEvT1_, .Lfunc_end2435-_ZN7rocprim17ROCPRIM_400000_NS6detail17trampoline_kernelINS0_14default_configENS1_25partition_config_selectorILNS1_17partition_subalgoE5EjNS0_10empty_typeEbEEZZNS1_14partition_implILS5_5ELb0ES3_mN6thrust23THRUST_200600_302600_NS6detail15normal_iteratorINSA_10device_ptrIjEEEEPS6_NSA_18transform_iteratorINSB_9not_fun_tI7is_trueIjEEENSC_INSD_IbEEEENSA_11use_defaultESO_EENS0_5tupleIJSF_S6_EEENSQ_IJSG_SG_EEES6_PlJS6_EEE10hipError_tPvRmT3_T4_T5_T6_T7_T9_mT8_P12ihipStream_tbDpT10_ENKUlT_T0_E_clISt17integral_constantIbLb0EES1D_EEDaS18_S19_EUlS18_E_NS1_11comp_targetILNS1_3genE9ELNS1_11target_archE1100ELNS1_3gpuE3ELNS1_3repE0EEENS1_30default_config_static_selectorELNS0_4arch9wavefront6targetE0EEEvT1_
                                        ; -- End function
	.set _ZN7rocprim17ROCPRIM_400000_NS6detail17trampoline_kernelINS0_14default_configENS1_25partition_config_selectorILNS1_17partition_subalgoE5EjNS0_10empty_typeEbEEZZNS1_14partition_implILS5_5ELb0ES3_mN6thrust23THRUST_200600_302600_NS6detail15normal_iteratorINSA_10device_ptrIjEEEEPS6_NSA_18transform_iteratorINSB_9not_fun_tI7is_trueIjEEENSC_INSD_IbEEEENSA_11use_defaultESO_EENS0_5tupleIJSF_S6_EEENSQ_IJSG_SG_EEES6_PlJS6_EEE10hipError_tPvRmT3_T4_T5_T6_T7_T9_mT8_P12ihipStream_tbDpT10_ENKUlT_T0_E_clISt17integral_constantIbLb0EES1D_EEDaS18_S19_EUlS18_E_NS1_11comp_targetILNS1_3genE9ELNS1_11target_archE1100ELNS1_3gpuE3ELNS1_3repE0EEENS1_30default_config_static_selectorELNS0_4arch9wavefront6targetE0EEEvT1_.num_vgpr, 0
	.set _ZN7rocprim17ROCPRIM_400000_NS6detail17trampoline_kernelINS0_14default_configENS1_25partition_config_selectorILNS1_17partition_subalgoE5EjNS0_10empty_typeEbEEZZNS1_14partition_implILS5_5ELb0ES3_mN6thrust23THRUST_200600_302600_NS6detail15normal_iteratorINSA_10device_ptrIjEEEEPS6_NSA_18transform_iteratorINSB_9not_fun_tI7is_trueIjEEENSC_INSD_IbEEEENSA_11use_defaultESO_EENS0_5tupleIJSF_S6_EEENSQ_IJSG_SG_EEES6_PlJS6_EEE10hipError_tPvRmT3_T4_T5_T6_T7_T9_mT8_P12ihipStream_tbDpT10_ENKUlT_T0_E_clISt17integral_constantIbLb0EES1D_EEDaS18_S19_EUlS18_E_NS1_11comp_targetILNS1_3genE9ELNS1_11target_archE1100ELNS1_3gpuE3ELNS1_3repE0EEENS1_30default_config_static_selectorELNS0_4arch9wavefront6targetE0EEEvT1_.num_agpr, 0
	.set _ZN7rocprim17ROCPRIM_400000_NS6detail17trampoline_kernelINS0_14default_configENS1_25partition_config_selectorILNS1_17partition_subalgoE5EjNS0_10empty_typeEbEEZZNS1_14partition_implILS5_5ELb0ES3_mN6thrust23THRUST_200600_302600_NS6detail15normal_iteratorINSA_10device_ptrIjEEEEPS6_NSA_18transform_iteratorINSB_9not_fun_tI7is_trueIjEEENSC_INSD_IbEEEENSA_11use_defaultESO_EENS0_5tupleIJSF_S6_EEENSQ_IJSG_SG_EEES6_PlJS6_EEE10hipError_tPvRmT3_T4_T5_T6_T7_T9_mT8_P12ihipStream_tbDpT10_ENKUlT_T0_E_clISt17integral_constantIbLb0EES1D_EEDaS18_S19_EUlS18_E_NS1_11comp_targetILNS1_3genE9ELNS1_11target_archE1100ELNS1_3gpuE3ELNS1_3repE0EEENS1_30default_config_static_selectorELNS0_4arch9wavefront6targetE0EEEvT1_.numbered_sgpr, 0
	.set _ZN7rocprim17ROCPRIM_400000_NS6detail17trampoline_kernelINS0_14default_configENS1_25partition_config_selectorILNS1_17partition_subalgoE5EjNS0_10empty_typeEbEEZZNS1_14partition_implILS5_5ELb0ES3_mN6thrust23THRUST_200600_302600_NS6detail15normal_iteratorINSA_10device_ptrIjEEEEPS6_NSA_18transform_iteratorINSB_9not_fun_tI7is_trueIjEEENSC_INSD_IbEEEENSA_11use_defaultESO_EENS0_5tupleIJSF_S6_EEENSQ_IJSG_SG_EEES6_PlJS6_EEE10hipError_tPvRmT3_T4_T5_T6_T7_T9_mT8_P12ihipStream_tbDpT10_ENKUlT_T0_E_clISt17integral_constantIbLb0EES1D_EEDaS18_S19_EUlS18_E_NS1_11comp_targetILNS1_3genE9ELNS1_11target_archE1100ELNS1_3gpuE3ELNS1_3repE0EEENS1_30default_config_static_selectorELNS0_4arch9wavefront6targetE0EEEvT1_.num_named_barrier, 0
	.set _ZN7rocprim17ROCPRIM_400000_NS6detail17trampoline_kernelINS0_14default_configENS1_25partition_config_selectorILNS1_17partition_subalgoE5EjNS0_10empty_typeEbEEZZNS1_14partition_implILS5_5ELb0ES3_mN6thrust23THRUST_200600_302600_NS6detail15normal_iteratorINSA_10device_ptrIjEEEEPS6_NSA_18transform_iteratorINSB_9not_fun_tI7is_trueIjEEENSC_INSD_IbEEEENSA_11use_defaultESO_EENS0_5tupleIJSF_S6_EEENSQ_IJSG_SG_EEES6_PlJS6_EEE10hipError_tPvRmT3_T4_T5_T6_T7_T9_mT8_P12ihipStream_tbDpT10_ENKUlT_T0_E_clISt17integral_constantIbLb0EES1D_EEDaS18_S19_EUlS18_E_NS1_11comp_targetILNS1_3genE9ELNS1_11target_archE1100ELNS1_3gpuE3ELNS1_3repE0EEENS1_30default_config_static_selectorELNS0_4arch9wavefront6targetE0EEEvT1_.private_seg_size, 0
	.set _ZN7rocprim17ROCPRIM_400000_NS6detail17trampoline_kernelINS0_14default_configENS1_25partition_config_selectorILNS1_17partition_subalgoE5EjNS0_10empty_typeEbEEZZNS1_14partition_implILS5_5ELb0ES3_mN6thrust23THRUST_200600_302600_NS6detail15normal_iteratorINSA_10device_ptrIjEEEEPS6_NSA_18transform_iteratorINSB_9not_fun_tI7is_trueIjEEENSC_INSD_IbEEEENSA_11use_defaultESO_EENS0_5tupleIJSF_S6_EEENSQ_IJSG_SG_EEES6_PlJS6_EEE10hipError_tPvRmT3_T4_T5_T6_T7_T9_mT8_P12ihipStream_tbDpT10_ENKUlT_T0_E_clISt17integral_constantIbLb0EES1D_EEDaS18_S19_EUlS18_E_NS1_11comp_targetILNS1_3genE9ELNS1_11target_archE1100ELNS1_3gpuE3ELNS1_3repE0EEENS1_30default_config_static_selectorELNS0_4arch9wavefront6targetE0EEEvT1_.uses_vcc, 0
	.set _ZN7rocprim17ROCPRIM_400000_NS6detail17trampoline_kernelINS0_14default_configENS1_25partition_config_selectorILNS1_17partition_subalgoE5EjNS0_10empty_typeEbEEZZNS1_14partition_implILS5_5ELb0ES3_mN6thrust23THRUST_200600_302600_NS6detail15normal_iteratorINSA_10device_ptrIjEEEEPS6_NSA_18transform_iteratorINSB_9not_fun_tI7is_trueIjEEENSC_INSD_IbEEEENSA_11use_defaultESO_EENS0_5tupleIJSF_S6_EEENSQ_IJSG_SG_EEES6_PlJS6_EEE10hipError_tPvRmT3_T4_T5_T6_T7_T9_mT8_P12ihipStream_tbDpT10_ENKUlT_T0_E_clISt17integral_constantIbLb0EES1D_EEDaS18_S19_EUlS18_E_NS1_11comp_targetILNS1_3genE9ELNS1_11target_archE1100ELNS1_3gpuE3ELNS1_3repE0EEENS1_30default_config_static_selectorELNS0_4arch9wavefront6targetE0EEEvT1_.uses_flat_scratch, 0
	.set _ZN7rocprim17ROCPRIM_400000_NS6detail17trampoline_kernelINS0_14default_configENS1_25partition_config_selectorILNS1_17partition_subalgoE5EjNS0_10empty_typeEbEEZZNS1_14partition_implILS5_5ELb0ES3_mN6thrust23THRUST_200600_302600_NS6detail15normal_iteratorINSA_10device_ptrIjEEEEPS6_NSA_18transform_iteratorINSB_9not_fun_tI7is_trueIjEEENSC_INSD_IbEEEENSA_11use_defaultESO_EENS0_5tupleIJSF_S6_EEENSQ_IJSG_SG_EEES6_PlJS6_EEE10hipError_tPvRmT3_T4_T5_T6_T7_T9_mT8_P12ihipStream_tbDpT10_ENKUlT_T0_E_clISt17integral_constantIbLb0EES1D_EEDaS18_S19_EUlS18_E_NS1_11comp_targetILNS1_3genE9ELNS1_11target_archE1100ELNS1_3gpuE3ELNS1_3repE0EEENS1_30default_config_static_selectorELNS0_4arch9wavefront6targetE0EEEvT1_.has_dyn_sized_stack, 0
	.set _ZN7rocprim17ROCPRIM_400000_NS6detail17trampoline_kernelINS0_14default_configENS1_25partition_config_selectorILNS1_17partition_subalgoE5EjNS0_10empty_typeEbEEZZNS1_14partition_implILS5_5ELb0ES3_mN6thrust23THRUST_200600_302600_NS6detail15normal_iteratorINSA_10device_ptrIjEEEEPS6_NSA_18transform_iteratorINSB_9not_fun_tI7is_trueIjEEENSC_INSD_IbEEEENSA_11use_defaultESO_EENS0_5tupleIJSF_S6_EEENSQ_IJSG_SG_EEES6_PlJS6_EEE10hipError_tPvRmT3_T4_T5_T6_T7_T9_mT8_P12ihipStream_tbDpT10_ENKUlT_T0_E_clISt17integral_constantIbLb0EES1D_EEDaS18_S19_EUlS18_E_NS1_11comp_targetILNS1_3genE9ELNS1_11target_archE1100ELNS1_3gpuE3ELNS1_3repE0EEENS1_30default_config_static_selectorELNS0_4arch9wavefront6targetE0EEEvT1_.has_recursion, 0
	.set _ZN7rocprim17ROCPRIM_400000_NS6detail17trampoline_kernelINS0_14default_configENS1_25partition_config_selectorILNS1_17partition_subalgoE5EjNS0_10empty_typeEbEEZZNS1_14partition_implILS5_5ELb0ES3_mN6thrust23THRUST_200600_302600_NS6detail15normal_iteratorINSA_10device_ptrIjEEEEPS6_NSA_18transform_iteratorINSB_9not_fun_tI7is_trueIjEEENSC_INSD_IbEEEENSA_11use_defaultESO_EENS0_5tupleIJSF_S6_EEENSQ_IJSG_SG_EEES6_PlJS6_EEE10hipError_tPvRmT3_T4_T5_T6_T7_T9_mT8_P12ihipStream_tbDpT10_ENKUlT_T0_E_clISt17integral_constantIbLb0EES1D_EEDaS18_S19_EUlS18_E_NS1_11comp_targetILNS1_3genE9ELNS1_11target_archE1100ELNS1_3gpuE3ELNS1_3repE0EEENS1_30default_config_static_selectorELNS0_4arch9wavefront6targetE0EEEvT1_.has_indirect_call, 0
	.section	.AMDGPU.csdata,"",@progbits
; Kernel info:
; codeLenInByte = 0
; TotalNumSgprs: 0
; NumVgprs: 0
; ScratchSize: 0
; MemoryBound: 0
; FloatMode: 240
; IeeeMode: 1
; LDSByteSize: 0 bytes/workgroup (compile time only)
; SGPRBlocks: 0
; VGPRBlocks: 0
; NumSGPRsForWavesPerEU: 1
; NumVGPRsForWavesPerEU: 1
; Occupancy: 16
; WaveLimiterHint : 0
; COMPUTE_PGM_RSRC2:SCRATCH_EN: 0
; COMPUTE_PGM_RSRC2:USER_SGPR: 2
; COMPUTE_PGM_RSRC2:TRAP_HANDLER: 0
; COMPUTE_PGM_RSRC2:TGID_X_EN: 1
; COMPUTE_PGM_RSRC2:TGID_Y_EN: 0
; COMPUTE_PGM_RSRC2:TGID_Z_EN: 0
; COMPUTE_PGM_RSRC2:TIDIG_COMP_CNT: 0
	.section	.text._ZN7rocprim17ROCPRIM_400000_NS6detail17trampoline_kernelINS0_14default_configENS1_25partition_config_selectorILNS1_17partition_subalgoE5EjNS0_10empty_typeEbEEZZNS1_14partition_implILS5_5ELb0ES3_mN6thrust23THRUST_200600_302600_NS6detail15normal_iteratorINSA_10device_ptrIjEEEEPS6_NSA_18transform_iteratorINSB_9not_fun_tI7is_trueIjEEENSC_INSD_IbEEEENSA_11use_defaultESO_EENS0_5tupleIJSF_S6_EEENSQ_IJSG_SG_EEES6_PlJS6_EEE10hipError_tPvRmT3_T4_T5_T6_T7_T9_mT8_P12ihipStream_tbDpT10_ENKUlT_T0_E_clISt17integral_constantIbLb0EES1D_EEDaS18_S19_EUlS18_E_NS1_11comp_targetILNS1_3genE8ELNS1_11target_archE1030ELNS1_3gpuE2ELNS1_3repE0EEENS1_30default_config_static_selectorELNS0_4arch9wavefront6targetE0EEEvT1_,"axG",@progbits,_ZN7rocprim17ROCPRIM_400000_NS6detail17trampoline_kernelINS0_14default_configENS1_25partition_config_selectorILNS1_17partition_subalgoE5EjNS0_10empty_typeEbEEZZNS1_14partition_implILS5_5ELb0ES3_mN6thrust23THRUST_200600_302600_NS6detail15normal_iteratorINSA_10device_ptrIjEEEEPS6_NSA_18transform_iteratorINSB_9not_fun_tI7is_trueIjEEENSC_INSD_IbEEEENSA_11use_defaultESO_EENS0_5tupleIJSF_S6_EEENSQ_IJSG_SG_EEES6_PlJS6_EEE10hipError_tPvRmT3_T4_T5_T6_T7_T9_mT8_P12ihipStream_tbDpT10_ENKUlT_T0_E_clISt17integral_constantIbLb0EES1D_EEDaS18_S19_EUlS18_E_NS1_11comp_targetILNS1_3genE8ELNS1_11target_archE1030ELNS1_3gpuE2ELNS1_3repE0EEENS1_30default_config_static_selectorELNS0_4arch9wavefront6targetE0EEEvT1_,comdat
	.protected	_ZN7rocprim17ROCPRIM_400000_NS6detail17trampoline_kernelINS0_14default_configENS1_25partition_config_selectorILNS1_17partition_subalgoE5EjNS0_10empty_typeEbEEZZNS1_14partition_implILS5_5ELb0ES3_mN6thrust23THRUST_200600_302600_NS6detail15normal_iteratorINSA_10device_ptrIjEEEEPS6_NSA_18transform_iteratorINSB_9not_fun_tI7is_trueIjEEENSC_INSD_IbEEEENSA_11use_defaultESO_EENS0_5tupleIJSF_S6_EEENSQ_IJSG_SG_EEES6_PlJS6_EEE10hipError_tPvRmT3_T4_T5_T6_T7_T9_mT8_P12ihipStream_tbDpT10_ENKUlT_T0_E_clISt17integral_constantIbLb0EES1D_EEDaS18_S19_EUlS18_E_NS1_11comp_targetILNS1_3genE8ELNS1_11target_archE1030ELNS1_3gpuE2ELNS1_3repE0EEENS1_30default_config_static_selectorELNS0_4arch9wavefront6targetE0EEEvT1_ ; -- Begin function _ZN7rocprim17ROCPRIM_400000_NS6detail17trampoline_kernelINS0_14default_configENS1_25partition_config_selectorILNS1_17partition_subalgoE5EjNS0_10empty_typeEbEEZZNS1_14partition_implILS5_5ELb0ES3_mN6thrust23THRUST_200600_302600_NS6detail15normal_iteratorINSA_10device_ptrIjEEEEPS6_NSA_18transform_iteratorINSB_9not_fun_tI7is_trueIjEEENSC_INSD_IbEEEENSA_11use_defaultESO_EENS0_5tupleIJSF_S6_EEENSQ_IJSG_SG_EEES6_PlJS6_EEE10hipError_tPvRmT3_T4_T5_T6_T7_T9_mT8_P12ihipStream_tbDpT10_ENKUlT_T0_E_clISt17integral_constantIbLb0EES1D_EEDaS18_S19_EUlS18_E_NS1_11comp_targetILNS1_3genE8ELNS1_11target_archE1030ELNS1_3gpuE2ELNS1_3repE0EEENS1_30default_config_static_selectorELNS0_4arch9wavefront6targetE0EEEvT1_
	.globl	_ZN7rocprim17ROCPRIM_400000_NS6detail17trampoline_kernelINS0_14default_configENS1_25partition_config_selectorILNS1_17partition_subalgoE5EjNS0_10empty_typeEbEEZZNS1_14partition_implILS5_5ELb0ES3_mN6thrust23THRUST_200600_302600_NS6detail15normal_iteratorINSA_10device_ptrIjEEEEPS6_NSA_18transform_iteratorINSB_9not_fun_tI7is_trueIjEEENSC_INSD_IbEEEENSA_11use_defaultESO_EENS0_5tupleIJSF_S6_EEENSQ_IJSG_SG_EEES6_PlJS6_EEE10hipError_tPvRmT3_T4_T5_T6_T7_T9_mT8_P12ihipStream_tbDpT10_ENKUlT_T0_E_clISt17integral_constantIbLb0EES1D_EEDaS18_S19_EUlS18_E_NS1_11comp_targetILNS1_3genE8ELNS1_11target_archE1030ELNS1_3gpuE2ELNS1_3repE0EEENS1_30default_config_static_selectorELNS0_4arch9wavefront6targetE0EEEvT1_
	.p2align	8
	.type	_ZN7rocprim17ROCPRIM_400000_NS6detail17trampoline_kernelINS0_14default_configENS1_25partition_config_selectorILNS1_17partition_subalgoE5EjNS0_10empty_typeEbEEZZNS1_14partition_implILS5_5ELb0ES3_mN6thrust23THRUST_200600_302600_NS6detail15normal_iteratorINSA_10device_ptrIjEEEEPS6_NSA_18transform_iteratorINSB_9not_fun_tI7is_trueIjEEENSC_INSD_IbEEEENSA_11use_defaultESO_EENS0_5tupleIJSF_S6_EEENSQ_IJSG_SG_EEES6_PlJS6_EEE10hipError_tPvRmT3_T4_T5_T6_T7_T9_mT8_P12ihipStream_tbDpT10_ENKUlT_T0_E_clISt17integral_constantIbLb0EES1D_EEDaS18_S19_EUlS18_E_NS1_11comp_targetILNS1_3genE8ELNS1_11target_archE1030ELNS1_3gpuE2ELNS1_3repE0EEENS1_30default_config_static_selectorELNS0_4arch9wavefront6targetE0EEEvT1_,@function
_ZN7rocprim17ROCPRIM_400000_NS6detail17trampoline_kernelINS0_14default_configENS1_25partition_config_selectorILNS1_17partition_subalgoE5EjNS0_10empty_typeEbEEZZNS1_14partition_implILS5_5ELb0ES3_mN6thrust23THRUST_200600_302600_NS6detail15normal_iteratorINSA_10device_ptrIjEEEEPS6_NSA_18transform_iteratorINSB_9not_fun_tI7is_trueIjEEENSC_INSD_IbEEEENSA_11use_defaultESO_EENS0_5tupleIJSF_S6_EEENSQ_IJSG_SG_EEES6_PlJS6_EEE10hipError_tPvRmT3_T4_T5_T6_T7_T9_mT8_P12ihipStream_tbDpT10_ENKUlT_T0_E_clISt17integral_constantIbLb0EES1D_EEDaS18_S19_EUlS18_E_NS1_11comp_targetILNS1_3genE8ELNS1_11target_archE1030ELNS1_3gpuE2ELNS1_3repE0EEENS1_30default_config_static_selectorELNS0_4arch9wavefront6targetE0EEEvT1_: ; @_ZN7rocprim17ROCPRIM_400000_NS6detail17trampoline_kernelINS0_14default_configENS1_25partition_config_selectorILNS1_17partition_subalgoE5EjNS0_10empty_typeEbEEZZNS1_14partition_implILS5_5ELb0ES3_mN6thrust23THRUST_200600_302600_NS6detail15normal_iteratorINSA_10device_ptrIjEEEEPS6_NSA_18transform_iteratorINSB_9not_fun_tI7is_trueIjEEENSC_INSD_IbEEEENSA_11use_defaultESO_EENS0_5tupleIJSF_S6_EEENSQ_IJSG_SG_EEES6_PlJS6_EEE10hipError_tPvRmT3_T4_T5_T6_T7_T9_mT8_P12ihipStream_tbDpT10_ENKUlT_T0_E_clISt17integral_constantIbLb0EES1D_EEDaS18_S19_EUlS18_E_NS1_11comp_targetILNS1_3genE8ELNS1_11target_archE1030ELNS1_3gpuE2ELNS1_3repE0EEENS1_30default_config_static_selectorELNS0_4arch9wavefront6targetE0EEEvT1_
; %bb.0:
	.section	.rodata,"a",@progbits
	.p2align	6, 0x0
	.amdhsa_kernel _ZN7rocprim17ROCPRIM_400000_NS6detail17trampoline_kernelINS0_14default_configENS1_25partition_config_selectorILNS1_17partition_subalgoE5EjNS0_10empty_typeEbEEZZNS1_14partition_implILS5_5ELb0ES3_mN6thrust23THRUST_200600_302600_NS6detail15normal_iteratorINSA_10device_ptrIjEEEEPS6_NSA_18transform_iteratorINSB_9not_fun_tI7is_trueIjEEENSC_INSD_IbEEEENSA_11use_defaultESO_EENS0_5tupleIJSF_S6_EEENSQ_IJSG_SG_EEES6_PlJS6_EEE10hipError_tPvRmT3_T4_T5_T6_T7_T9_mT8_P12ihipStream_tbDpT10_ENKUlT_T0_E_clISt17integral_constantIbLb0EES1D_EEDaS18_S19_EUlS18_E_NS1_11comp_targetILNS1_3genE8ELNS1_11target_archE1030ELNS1_3gpuE2ELNS1_3repE0EEENS1_30default_config_static_selectorELNS0_4arch9wavefront6targetE0EEEvT1_
		.amdhsa_group_segment_fixed_size 0
		.amdhsa_private_segment_fixed_size 0
		.amdhsa_kernarg_size 120
		.amdhsa_user_sgpr_count 2
		.amdhsa_user_sgpr_dispatch_ptr 0
		.amdhsa_user_sgpr_queue_ptr 0
		.amdhsa_user_sgpr_kernarg_segment_ptr 1
		.amdhsa_user_sgpr_dispatch_id 0
		.amdhsa_user_sgpr_private_segment_size 0
		.amdhsa_wavefront_size32 1
		.amdhsa_uses_dynamic_stack 0
		.amdhsa_enable_private_segment 0
		.amdhsa_system_sgpr_workgroup_id_x 1
		.amdhsa_system_sgpr_workgroup_id_y 0
		.amdhsa_system_sgpr_workgroup_id_z 0
		.amdhsa_system_sgpr_workgroup_info 0
		.amdhsa_system_vgpr_workitem_id 0
		.amdhsa_next_free_vgpr 1
		.amdhsa_next_free_sgpr 1
		.amdhsa_reserve_vcc 0
		.amdhsa_float_round_mode_32 0
		.amdhsa_float_round_mode_16_64 0
		.amdhsa_float_denorm_mode_32 3
		.amdhsa_float_denorm_mode_16_64 3
		.amdhsa_fp16_overflow 0
		.amdhsa_workgroup_processor_mode 1
		.amdhsa_memory_ordered 1
		.amdhsa_forward_progress 1
		.amdhsa_inst_pref_size 0
		.amdhsa_round_robin_scheduling 0
		.amdhsa_exception_fp_ieee_invalid_op 0
		.amdhsa_exception_fp_denorm_src 0
		.amdhsa_exception_fp_ieee_div_zero 0
		.amdhsa_exception_fp_ieee_overflow 0
		.amdhsa_exception_fp_ieee_underflow 0
		.amdhsa_exception_fp_ieee_inexact 0
		.amdhsa_exception_int_div_zero 0
	.end_amdhsa_kernel
	.section	.text._ZN7rocprim17ROCPRIM_400000_NS6detail17trampoline_kernelINS0_14default_configENS1_25partition_config_selectorILNS1_17partition_subalgoE5EjNS0_10empty_typeEbEEZZNS1_14partition_implILS5_5ELb0ES3_mN6thrust23THRUST_200600_302600_NS6detail15normal_iteratorINSA_10device_ptrIjEEEEPS6_NSA_18transform_iteratorINSB_9not_fun_tI7is_trueIjEEENSC_INSD_IbEEEENSA_11use_defaultESO_EENS0_5tupleIJSF_S6_EEENSQ_IJSG_SG_EEES6_PlJS6_EEE10hipError_tPvRmT3_T4_T5_T6_T7_T9_mT8_P12ihipStream_tbDpT10_ENKUlT_T0_E_clISt17integral_constantIbLb0EES1D_EEDaS18_S19_EUlS18_E_NS1_11comp_targetILNS1_3genE8ELNS1_11target_archE1030ELNS1_3gpuE2ELNS1_3repE0EEENS1_30default_config_static_selectorELNS0_4arch9wavefront6targetE0EEEvT1_,"axG",@progbits,_ZN7rocprim17ROCPRIM_400000_NS6detail17trampoline_kernelINS0_14default_configENS1_25partition_config_selectorILNS1_17partition_subalgoE5EjNS0_10empty_typeEbEEZZNS1_14partition_implILS5_5ELb0ES3_mN6thrust23THRUST_200600_302600_NS6detail15normal_iteratorINSA_10device_ptrIjEEEEPS6_NSA_18transform_iteratorINSB_9not_fun_tI7is_trueIjEEENSC_INSD_IbEEEENSA_11use_defaultESO_EENS0_5tupleIJSF_S6_EEENSQ_IJSG_SG_EEES6_PlJS6_EEE10hipError_tPvRmT3_T4_T5_T6_T7_T9_mT8_P12ihipStream_tbDpT10_ENKUlT_T0_E_clISt17integral_constantIbLb0EES1D_EEDaS18_S19_EUlS18_E_NS1_11comp_targetILNS1_3genE8ELNS1_11target_archE1030ELNS1_3gpuE2ELNS1_3repE0EEENS1_30default_config_static_selectorELNS0_4arch9wavefront6targetE0EEEvT1_,comdat
.Lfunc_end2436:
	.size	_ZN7rocprim17ROCPRIM_400000_NS6detail17trampoline_kernelINS0_14default_configENS1_25partition_config_selectorILNS1_17partition_subalgoE5EjNS0_10empty_typeEbEEZZNS1_14partition_implILS5_5ELb0ES3_mN6thrust23THRUST_200600_302600_NS6detail15normal_iteratorINSA_10device_ptrIjEEEEPS6_NSA_18transform_iteratorINSB_9not_fun_tI7is_trueIjEEENSC_INSD_IbEEEENSA_11use_defaultESO_EENS0_5tupleIJSF_S6_EEENSQ_IJSG_SG_EEES6_PlJS6_EEE10hipError_tPvRmT3_T4_T5_T6_T7_T9_mT8_P12ihipStream_tbDpT10_ENKUlT_T0_E_clISt17integral_constantIbLb0EES1D_EEDaS18_S19_EUlS18_E_NS1_11comp_targetILNS1_3genE8ELNS1_11target_archE1030ELNS1_3gpuE2ELNS1_3repE0EEENS1_30default_config_static_selectorELNS0_4arch9wavefront6targetE0EEEvT1_, .Lfunc_end2436-_ZN7rocprim17ROCPRIM_400000_NS6detail17trampoline_kernelINS0_14default_configENS1_25partition_config_selectorILNS1_17partition_subalgoE5EjNS0_10empty_typeEbEEZZNS1_14partition_implILS5_5ELb0ES3_mN6thrust23THRUST_200600_302600_NS6detail15normal_iteratorINSA_10device_ptrIjEEEEPS6_NSA_18transform_iteratorINSB_9not_fun_tI7is_trueIjEEENSC_INSD_IbEEEENSA_11use_defaultESO_EENS0_5tupleIJSF_S6_EEENSQ_IJSG_SG_EEES6_PlJS6_EEE10hipError_tPvRmT3_T4_T5_T6_T7_T9_mT8_P12ihipStream_tbDpT10_ENKUlT_T0_E_clISt17integral_constantIbLb0EES1D_EEDaS18_S19_EUlS18_E_NS1_11comp_targetILNS1_3genE8ELNS1_11target_archE1030ELNS1_3gpuE2ELNS1_3repE0EEENS1_30default_config_static_selectorELNS0_4arch9wavefront6targetE0EEEvT1_
                                        ; -- End function
	.set _ZN7rocprim17ROCPRIM_400000_NS6detail17trampoline_kernelINS0_14default_configENS1_25partition_config_selectorILNS1_17partition_subalgoE5EjNS0_10empty_typeEbEEZZNS1_14partition_implILS5_5ELb0ES3_mN6thrust23THRUST_200600_302600_NS6detail15normal_iteratorINSA_10device_ptrIjEEEEPS6_NSA_18transform_iteratorINSB_9not_fun_tI7is_trueIjEEENSC_INSD_IbEEEENSA_11use_defaultESO_EENS0_5tupleIJSF_S6_EEENSQ_IJSG_SG_EEES6_PlJS6_EEE10hipError_tPvRmT3_T4_T5_T6_T7_T9_mT8_P12ihipStream_tbDpT10_ENKUlT_T0_E_clISt17integral_constantIbLb0EES1D_EEDaS18_S19_EUlS18_E_NS1_11comp_targetILNS1_3genE8ELNS1_11target_archE1030ELNS1_3gpuE2ELNS1_3repE0EEENS1_30default_config_static_selectorELNS0_4arch9wavefront6targetE0EEEvT1_.num_vgpr, 0
	.set _ZN7rocprim17ROCPRIM_400000_NS6detail17trampoline_kernelINS0_14default_configENS1_25partition_config_selectorILNS1_17partition_subalgoE5EjNS0_10empty_typeEbEEZZNS1_14partition_implILS5_5ELb0ES3_mN6thrust23THRUST_200600_302600_NS6detail15normal_iteratorINSA_10device_ptrIjEEEEPS6_NSA_18transform_iteratorINSB_9not_fun_tI7is_trueIjEEENSC_INSD_IbEEEENSA_11use_defaultESO_EENS0_5tupleIJSF_S6_EEENSQ_IJSG_SG_EEES6_PlJS6_EEE10hipError_tPvRmT3_T4_T5_T6_T7_T9_mT8_P12ihipStream_tbDpT10_ENKUlT_T0_E_clISt17integral_constantIbLb0EES1D_EEDaS18_S19_EUlS18_E_NS1_11comp_targetILNS1_3genE8ELNS1_11target_archE1030ELNS1_3gpuE2ELNS1_3repE0EEENS1_30default_config_static_selectorELNS0_4arch9wavefront6targetE0EEEvT1_.num_agpr, 0
	.set _ZN7rocprim17ROCPRIM_400000_NS6detail17trampoline_kernelINS0_14default_configENS1_25partition_config_selectorILNS1_17partition_subalgoE5EjNS0_10empty_typeEbEEZZNS1_14partition_implILS5_5ELb0ES3_mN6thrust23THRUST_200600_302600_NS6detail15normal_iteratorINSA_10device_ptrIjEEEEPS6_NSA_18transform_iteratorINSB_9not_fun_tI7is_trueIjEEENSC_INSD_IbEEEENSA_11use_defaultESO_EENS0_5tupleIJSF_S6_EEENSQ_IJSG_SG_EEES6_PlJS6_EEE10hipError_tPvRmT3_T4_T5_T6_T7_T9_mT8_P12ihipStream_tbDpT10_ENKUlT_T0_E_clISt17integral_constantIbLb0EES1D_EEDaS18_S19_EUlS18_E_NS1_11comp_targetILNS1_3genE8ELNS1_11target_archE1030ELNS1_3gpuE2ELNS1_3repE0EEENS1_30default_config_static_selectorELNS0_4arch9wavefront6targetE0EEEvT1_.numbered_sgpr, 0
	.set _ZN7rocprim17ROCPRIM_400000_NS6detail17trampoline_kernelINS0_14default_configENS1_25partition_config_selectorILNS1_17partition_subalgoE5EjNS0_10empty_typeEbEEZZNS1_14partition_implILS5_5ELb0ES3_mN6thrust23THRUST_200600_302600_NS6detail15normal_iteratorINSA_10device_ptrIjEEEEPS6_NSA_18transform_iteratorINSB_9not_fun_tI7is_trueIjEEENSC_INSD_IbEEEENSA_11use_defaultESO_EENS0_5tupleIJSF_S6_EEENSQ_IJSG_SG_EEES6_PlJS6_EEE10hipError_tPvRmT3_T4_T5_T6_T7_T9_mT8_P12ihipStream_tbDpT10_ENKUlT_T0_E_clISt17integral_constantIbLb0EES1D_EEDaS18_S19_EUlS18_E_NS1_11comp_targetILNS1_3genE8ELNS1_11target_archE1030ELNS1_3gpuE2ELNS1_3repE0EEENS1_30default_config_static_selectorELNS0_4arch9wavefront6targetE0EEEvT1_.num_named_barrier, 0
	.set _ZN7rocprim17ROCPRIM_400000_NS6detail17trampoline_kernelINS0_14default_configENS1_25partition_config_selectorILNS1_17partition_subalgoE5EjNS0_10empty_typeEbEEZZNS1_14partition_implILS5_5ELb0ES3_mN6thrust23THRUST_200600_302600_NS6detail15normal_iteratorINSA_10device_ptrIjEEEEPS6_NSA_18transform_iteratorINSB_9not_fun_tI7is_trueIjEEENSC_INSD_IbEEEENSA_11use_defaultESO_EENS0_5tupleIJSF_S6_EEENSQ_IJSG_SG_EEES6_PlJS6_EEE10hipError_tPvRmT3_T4_T5_T6_T7_T9_mT8_P12ihipStream_tbDpT10_ENKUlT_T0_E_clISt17integral_constantIbLb0EES1D_EEDaS18_S19_EUlS18_E_NS1_11comp_targetILNS1_3genE8ELNS1_11target_archE1030ELNS1_3gpuE2ELNS1_3repE0EEENS1_30default_config_static_selectorELNS0_4arch9wavefront6targetE0EEEvT1_.private_seg_size, 0
	.set _ZN7rocprim17ROCPRIM_400000_NS6detail17trampoline_kernelINS0_14default_configENS1_25partition_config_selectorILNS1_17partition_subalgoE5EjNS0_10empty_typeEbEEZZNS1_14partition_implILS5_5ELb0ES3_mN6thrust23THRUST_200600_302600_NS6detail15normal_iteratorINSA_10device_ptrIjEEEEPS6_NSA_18transform_iteratorINSB_9not_fun_tI7is_trueIjEEENSC_INSD_IbEEEENSA_11use_defaultESO_EENS0_5tupleIJSF_S6_EEENSQ_IJSG_SG_EEES6_PlJS6_EEE10hipError_tPvRmT3_T4_T5_T6_T7_T9_mT8_P12ihipStream_tbDpT10_ENKUlT_T0_E_clISt17integral_constantIbLb0EES1D_EEDaS18_S19_EUlS18_E_NS1_11comp_targetILNS1_3genE8ELNS1_11target_archE1030ELNS1_3gpuE2ELNS1_3repE0EEENS1_30default_config_static_selectorELNS0_4arch9wavefront6targetE0EEEvT1_.uses_vcc, 0
	.set _ZN7rocprim17ROCPRIM_400000_NS6detail17trampoline_kernelINS0_14default_configENS1_25partition_config_selectorILNS1_17partition_subalgoE5EjNS0_10empty_typeEbEEZZNS1_14partition_implILS5_5ELb0ES3_mN6thrust23THRUST_200600_302600_NS6detail15normal_iteratorINSA_10device_ptrIjEEEEPS6_NSA_18transform_iteratorINSB_9not_fun_tI7is_trueIjEEENSC_INSD_IbEEEENSA_11use_defaultESO_EENS0_5tupleIJSF_S6_EEENSQ_IJSG_SG_EEES6_PlJS6_EEE10hipError_tPvRmT3_T4_T5_T6_T7_T9_mT8_P12ihipStream_tbDpT10_ENKUlT_T0_E_clISt17integral_constantIbLb0EES1D_EEDaS18_S19_EUlS18_E_NS1_11comp_targetILNS1_3genE8ELNS1_11target_archE1030ELNS1_3gpuE2ELNS1_3repE0EEENS1_30default_config_static_selectorELNS0_4arch9wavefront6targetE0EEEvT1_.uses_flat_scratch, 0
	.set _ZN7rocprim17ROCPRIM_400000_NS6detail17trampoline_kernelINS0_14default_configENS1_25partition_config_selectorILNS1_17partition_subalgoE5EjNS0_10empty_typeEbEEZZNS1_14partition_implILS5_5ELb0ES3_mN6thrust23THRUST_200600_302600_NS6detail15normal_iteratorINSA_10device_ptrIjEEEEPS6_NSA_18transform_iteratorINSB_9not_fun_tI7is_trueIjEEENSC_INSD_IbEEEENSA_11use_defaultESO_EENS0_5tupleIJSF_S6_EEENSQ_IJSG_SG_EEES6_PlJS6_EEE10hipError_tPvRmT3_T4_T5_T6_T7_T9_mT8_P12ihipStream_tbDpT10_ENKUlT_T0_E_clISt17integral_constantIbLb0EES1D_EEDaS18_S19_EUlS18_E_NS1_11comp_targetILNS1_3genE8ELNS1_11target_archE1030ELNS1_3gpuE2ELNS1_3repE0EEENS1_30default_config_static_selectorELNS0_4arch9wavefront6targetE0EEEvT1_.has_dyn_sized_stack, 0
	.set _ZN7rocprim17ROCPRIM_400000_NS6detail17trampoline_kernelINS0_14default_configENS1_25partition_config_selectorILNS1_17partition_subalgoE5EjNS0_10empty_typeEbEEZZNS1_14partition_implILS5_5ELb0ES3_mN6thrust23THRUST_200600_302600_NS6detail15normal_iteratorINSA_10device_ptrIjEEEEPS6_NSA_18transform_iteratorINSB_9not_fun_tI7is_trueIjEEENSC_INSD_IbEEEENSA_11use_defaultESO_EENS0_5tupleIJSF_S6_EEENSQ_IJSG_SG_EEES6_PlJS6_EEE10hipError_tPvRmT3_T4_T5_T6_T7_T9_mT8_P12ihipStream_tbDpT10_ENKUlT_T0_E_clISt17integral_constantIbLb0EES1D_EEDaS18_S19_EUlS18_E_NS1_11comp_targetILNS1_3genE8ELNS1_11target_archE1030ELNS1_3gpuE2ELNS1_3repE0EEENS1_30default_config_static_selectorELNS0_4arch9wavefront6targetE0EEEvT1_.has_recursion, 0
	.set _ZN7rocprim17ROCPRIM_400000_NS6detail17trampoline_kernelINS0_14default_configENS1_25partition_config_selectorILNS1_17partition_subalgoE5EjNS0_10empty_typeEbEEZZNS1_14partition_implILS5_5ELb0ES3_mN6thrust23THRUST_200600_302600_NS6detail15normal_iteratorINSA_10device_ptrIjEEEEPS6_NSA_18transform_iteratorINSB_9not_fun_tI7is_trueIjEEENSC_INSD_IbEEEENSA_11use_defaultESO_EENS0_5tupleIJSF_S6_EEENSQ_IJSG_SG_EEES6_PlJS6_EEE10hipError_tPvRmT3_T4_T5_T6_T7_T9_mT8_P12ihipStream_tbDpT10_ENKUlT_T0_E_clISt17integral_constantIbLb0EES1D_EEDaS18_S19_EUlS18_E_NS1_11comp_targetILNS1_3genE8ELNS1_11target_archE1030ELNS1_3gpuE2ELNS1_3repE0EEENS1_30default_config_static_selectorELNS0_4arch9wavefront6targetE0EEEvT1_.has_indirect_call, 0
	.section	.AMDGPU.csdata,"",@progbits
; Kernel info:
; codeLenInByte = 0
; TotalNumSgprs: 0
; NumVgprs: 0
; ScratchSize: 0
; MemoryBound: 0
; FloatMode: 240
; IeeeMode: 1
; LDSByteSize: 0 bytes/workgroup (compile time only)
; SGPRBlocks: 0
; VGPRBlocks: 0
; NumSGPRsForWavesPerEU: 1
; NumVGPRsForWavesPerEU: 1
; Occupancy: 16
; WaveLimiterHint : 0
; COMPUTE_PGM_RSRC2:SCRATCH_EN: 0
; COMPUTE_PGM_RSRC2:USER_SGPR: 2
; COMPUTE_PGM_RSRC2:TRAP_HANDLER: 0
; COMPUTE_PGM_RSRC2:TGID_X_EN: 1
; COMPUTE_PGM_RSRC2:TGID_Y_EN: 0
; COMPUTE_PGM_RSRC2:TGID_Z_EN: 0
; COMPUTE_PGM_RSRC2:TIDIG_COMP_CNT: 0
	.section	.text._ZN7rocprim17ROCPRIM_400000_NS6detail17trampoline_kernelINS0_14default_configENS1_25partition_config_selectorILNS1_17partition_subalgoE5EjNS0_10empty_typeEbEEZZNS1_14partition_implILS5_5ELb0ES3_mN6thrust23THRUST_200600_302600_NS6detail15normal_iteratorINSA_10device_ptrIjEEEEPS6_NSA_18transform_iteratorINSB_9not_fun_tI7is_trueIjEEENSC_INSD_IbEEEENSA_11use_defaultESO_EENS0_5tupleIJSF_S6_EEENSQ_IJSG_SG_EEES6_PlJS6_EEE10hipError_tPvRmT3_T4_T5_T6_T7_T9_mT8_P12ihipStream_tbDpT10_ENKUlT_T0_E_clISt17integral_constantIbLb1EES1D_EEDaS18_S19_EUlS18_E_NS1_11comp_targetILNS1_3genE0ELNS1_11target_archE4294967295ELNS1_3gpuE0ELNS1_3repE0EEENS1_30default_config_static_selectorELNS0_4arch9wavefront6targetE0EEEvT1_,"axG",@progbits,_ZN7rocprim17ROCPRIM_400000_NS6detail17trampoline_kernelINS0_14default_configENS1_25partition_config_selectorILNS1_17partition_subalgoE5EjNS0_10empty_typeEbEEZZNS1_14partition_implILS5_5ELb0ES3_mN6thrust23THRUST_200600_302600_NS6detail15normal_iteratorINSA_10device_ptrIjEEEEPS6_NSA_18transform_iteratorINSB_9not_fun_tI7is_trueIjEEENSC_INSD_IbEEEENSA_11use_defaultESO_EENS0_5tupleIJSF_S6_EEENSQ_IJSG_SG_EEES6_PlJS6_EEE10hipError_tPvRmT3_T4_T5_T6_T7_T9_mT8_P12ihipStream_tbDpT10_ENKUlT_T0_E_clISt17integral_constantIbLb1EES1D_EEDaS18_S19_EUlS18_E_NS1_11comp_targetILNS1_3genE0ELNS1_11target_archE4294967295ELNS1_3gpuE0ELNS1_3repE0EEENS1_30default_config_static_selectorELNS0_4arch9wavefront6targetE0EEEvT1_,comdat
	.protected	_ZN7rocprim17ROCPRIM_400000_NS6detail17trampoline_kernelINS0_14default_configENS1_25partition_config_selectorILNS1_17partition_subalgoE5EjNS0_10empty_typeEbEEZZNS1_14partition_implILS5_5ELb0ES3_mN6thrust23THRUST_200600_302600_NS6detail15normal_iteratorINSA_10device_ptrIjEEEEPS6_NSA_18transform_iteratorINSB_9not_fun_tI7is_trueIjEEENSC_INSD_IbEEEENSA_11use_defaultESO_EENS0_5tupleIJSF_S6_EEENSQ_IJSG_SG_EEES6_PlJS6_EEE10hipError_tPvRmT3_T4_T5_T6_T7_T9_mT8_P12ihipStream_tbDpT10_ENKUlT_T0_E_clISt17integral_constantIbLb1EES1D_EEDaS18_S19_EUlS18_E_NS1_11comp_targetILNS1_3genE0ELNS1_11target_archE4294967295ELNS1_3gpuE0ELNS1_3repE0EEENS1_30default_config_static_selectorELNS0_4arch9wavefront6targetE0EEEvT1_ ; -- Begin function _ZN7rocprim17ROCPRIM_400000_NS6detail17trampoline_kernelINS0_14default_configENS1_25partition_config_selectorILNS1_17partition_subalgoE5EjNS0_10empty_typeEbEEZZNS1_14partition_implILS5_5ELb0ES3_mN6thrust23THRUST_200600_302600_NS6detail15normal_iteratorINSA_10device_ptrIjEEEEPS6_NSA_18transform_iteratorINSB_9not_fun_tI7is_trueIjEEENSC_INSD_IbEEEENSA_11use_defaultESO_EENS0_5tupleIJSF_S6_EEENSQ_IJSG_SG_EEES6_PlJS6_EEE10hipError_tPvRmT3_T4_T5_T6_T7_T9_mT8_P12ihipStream_tbDpT10_ENKUlT_T0_E_clISt17integral_constantIbLb1EES1D_EEDaS18_S19_EUlS18_E_NS1_11comp_targetILNS1_3genE0ELNS1_11target_archE4294967295ELNS1_3gpuE0ELNS1_3repE0EEENS1_30default_config_static_selectorELNS0_4arch9wavefront6targetE0EEEvT1_
	.globl	_ZN7rocprim17ROCPRIM_400000_NS6detail17trampoline_kernelINS0_14default_configENS1_25partition_config_selectorILNS1_17partition_subalgoE5EjNS0_10empty_typeEbEEZZNS1_14partition_implILS5_5ELb0ES3_mN6thrust23THRUST_200600_302600_NS6detail15normal_iteratorINSA_10device_ptrIjEEEEPS6_NSA_18transform_iteratorINSB_9not_fun_tI7is_trueIjEEENSC_INSD_IbEEEENSA_11use_defaultESO_EENS0_5tupleIJSF_S6_EEENSQ_IJSG_SG_EEES6_PlJS6_EEE10hipError_tPvRmT3_T4_T5_T6_T7_T9_mT8_P12ihipStream_tbDpT10_ENKUlT_T0_E_clISt17integral_constantIbLb1EES1D_EEDaS18_S19_EUlS18_E_NS1_11comp_targetILNS1_3genE0ELNS1_11target_archE4294967295ELNS1_3gpuE0ELNS1_3repE0EEENS1_30default_config_static_selectorELNS0_4arch9wavefront6targetE0EEEvT1_
	.p2align	8
	.type	_ZN7rocprim17ROCPRIM_400000_NS6detail17trampoline_kernelINS0_14default_configENS1_25partition_config_selectorILNS1_17partition_subalgoE5EjNS0_10empty_typeEbEEZZNS1_14partition_implILS5_5ELb0ES3_mN6thrust23THRUST_200600_302600_NS6detail15normal_iteratorINSA_10device_ptrIjEEEEPS6_NSA_18transform_iteratorINSB_9not_fun_tI7is_trueIjEEENSC_INSD_IbEEEENSA_11use_defaultESO_EENS0_5tupleIJSF_S6_EEENSQ_IJSG_SG_EEES6_PlJS6_EEE10hipError_tPvRmT3_T4_T5_T6_T7_T9_mT8_P12ihipStream_tbDpT10_ENKUlT_T0_E_clISt17integral_constantIbLb1EES1D_EEDaS18_S19_EUlS18_E_NS1_11comp_targetILNS1_3genE0ELNS1_11target_archE4294967295ELNS1_3gpuE0ELNS1_3repE0EEENS1_30default_config_static_selectorELNS0_4arch9wavefront6targetE0EEEvT1_,@function
_ZN7rocprim17ROCPRIM_400000_NS6detail17trampoline_kernelINS0_14default_configENS1_25partition_config_selectorILNS1_17partition_subalgoE5EjNS0_10empty_typeEbEEZZNS1_14partition_implILS5_5ELb0ES3_mN6thrust23THRUST_200600_302600_NS6detail15normal_iteratorINSA_10device_ptrIjEEEEPS6_NSA_18transform_iteratorINSB_9not_fun_tI7is_trueIjEEENSC_INSD_IbEEEENSA_11use_defaultESO_EENS0_5tupleIJSF_S6_EEENSQ_IJSG_SG_EEES6_PlJS6_EEE10hipError_tPvRmT3_T4_T5_T6_T7_T9_mT8_P12ihipStream_tbDpT10_ENKUlT_T0_E_clISt17integral_constantIbLb1EES1D_EEDaS18_S19_EUlS18_E_NS1_11comp_targetILNS1_3genE0ELNS1_11target_archE4294967295ELNS1_3gpuE0ELNS1_3repE0EEENS1_30default_config_static_selectorELNS0_4arch9wavefront6targetE0EEEvT1_: ; @_ZN7rocprim17ROCPRIM_400000_NS6detail17trampoline_kernelINS0_14default_configENS1_25partition_config_selectorILNS1_17partition_subalgoE5EjNS0_10empty_typeEbEEZZNS1_14partition_implILS5_5ELb0ES3_mN6thrust23THRUST_200600_302600_NS6detail15normal_iteratorINSA_10device_ptrIjEEEEPS6_NSA_18transform_iteratorINSB_9not_fun_tI7is_trueIjEEENSC_INSD_IbEEEENSA_11use_defaultESO_EENS0_5tupleIJSF_S6_EEENSQ_IJSG_SG_EEES6_PlJS6_EEE10hipError_tPvRmT3_T4_T5_T6_T7_T9_mT8_P12ihipStream_tbDpT10_ENKUlT_T0_E_clISt17integral_constantIbLb1EES1D_EEDaS18_S19_EUlS18_E_NS1_11comp_targetILNS1_3genE0ELNS1_11target_archE4294967295ELNS1_3gpuE0ELNS1_3repE0EEENS1_30default_config_static_selectorELNS0_4arch9wavefront6targetE0EEEvT1_
; %bb.0:
	.section	.rodata,"a",@progbits
	.p2align	6, 0x0
	.amdhsa_kernel _ZN7rocprim17ROCPRIM_400000_NS6detail17trampoline_kernelINS0_14default_configENS1_25partition_config_selectorILNS1_17partition_subalgoE5EjNS0_10empty_typeEbEEZZNS1_14partition_implILS5_5ELb0ES3_mN6thrust23THRUST_200600_302600_NS6detail15normal_iteratorINSA_10device_ptrIjEEEEPS6_NSA_18transform_iteratorINSB_9not_fun_tI7is_trueIjEEENSC_INSD_IbEEEENSA_11use_defaultESO_EENS0_5tupleIJSF_S6_EEENSQ_IJSG_SG_EEES6_PlJS6_EEE10hipError_tPvRmT3_T4_T5_T6_T7_T9_mT8_P12ihipStream_tbDpT10_ENKUlT_T0_E_clISt17integral_constantIbLb1EES1D_EEDaS18_S19_EUlS18_E_NS1_11comp_targetILNS1_3genE0ELNS1_11target_archE4294967295ELNS1_3gpuE0ELNS1_3repE0EEENS1_30default_config_static_selectorELNS0_4arch9wavefront6targetE0EEEvT1_
		.amdhsa_group_segment_fixed_size 0
		.amdhsa_private_segment_fixed_size 0
		.amdhsa_kernarg_size 136
		.amdhsa_user_sgpr_count 2
		.amdhsa_user_sgpr_dispatch_ptr 0
		.amdhsa_user_sgpr_queue_ptr 0
		.amdhsa_user_sgpr_kernarg_segment_ptr 1
		.amdhsa_user_sgpr_dispatch_id 0
		.amdhsa_user_sgpr_private_segment_size 0
		.amdhsa_wavefront_size32 1
		.amdhsa_uses_dynamic_stack 0
		.amdhsa_enable_private_segment 0
		.amdhsa_system_sgpr_workgroup_id_x 1
		.amdhsa_system_sgpr_workgroup_id_y 0
		.amdhsa_system_sgpr_workgroup_id_z 0
		.amdhsa_system_sgpr_workgroup_info 0
		.amdhsa_system_vgpr_workitem_id 0
		.amdhsa_next_free_vgpr 1
		.amdhsa_next_free_sgpr 1
		.amdhsa_reserve_vcc 0
		.amdhsa_float_round_mode_32 0
		.amdhsa_float_round_mode_16_64 0
		.amdhsa_float_denorm_mode_32 3
		.amdhsa_float_denorm_mode_16_64 3
		.amdhsa_fp16_overflow 0
		.amdhsa_workgroup_processor_mode 1
		.amdhsa_memory_ordered 1
		.amdhsa_forward_progress 1
		.amdhsa_inst_pref_size 0
		.amdhsa_round_robin_scheduling 0
		.amdhsa_exception_fp_ieee_invalid_op 0
		.amdhsa_exception_fp_denorm_src 0
		.amdhsa_exception_fp_ieee_div_zero 0
		.amdhsa_exception_fp_ieee_overflow 0
		.amdhsa_exception_fp_ieee_underflow 0
		.amdhsa_exception_fp_ieee_inexact 0
		.amdhsa_exception_int_div_zero 0
	.end_amdhsa_kernel
	.section	.text._ZN7rocprim17ROCPRIM_400000_NS6detail17trampoline_kernelINS0_14default_configENS1_25partition_config_selectorILNS1_17partition_subalgoE5EjNS0_10empty_typeEbEEZZNS1_14partition_implILS5_5ELb0ES3_mN6thrust23THRUST_200600_302600_NS6detail15normal_iteratorINSA_10device_ptrIjEEEEPS6_NSA_18transform_iteratorINSB_9not_fun_tI7is_trueIjEEENSC_INSD_IbEEEENSA_11use_defaultESO_EENS0_5tupleIJSF_S6_EEENSQ_IJSG_SG_EEES6_PlJS6_EEE10hipError_tPvRmT3_T4_T5_T6_T7_T9_mT8_P12ihipStream_tbDpT10_ENKUlT_T0_E_clISt17integral_constantIbLb1EES1D_EEDaS18_S19_EUlS18_E_NS1_11comp_targetILNS1_3genE0ELNS1_11target_archE4294967295ELNS1_3gpuE0ELNS1_3repE0EEENS1_30default_config_static_selectorELNS0_4arch9wavefront6targetE0EEEvT1_,"axG",@progbits,_ZN7rocprim17ROCPRIM_400000_NS6detail17trampoline_kernelINS0_14default_configENS1_25partition_config_selectorILNS1_17partition_subalgoE5EjNS0_10empty_typeEbEEZZNS1_14partition_implILS5_5ELb0ES3_mN6thrust23THRUST_200600_302600_NS6detail15normal_iteratorINSA_10device_ptrIjEEEEPS6_NSA_18transform_iteratorINSB_9not_fun_tI7is_trueIjEEENSC_INSD_IbEEEENSA_11use_defaultESO_EENS0_5tupleIJSF_S6_EEENSQ_IJSG_SG_EEES6_PlJS6_EEE10hipError_tPvRmT3_T4_T5_T6_T7_T9_mT8_P12ihipStream_tbDpT10_ENKUlT_T0_E_clISt17integral_constantIbLb1EES1D_EEDaS18_S19_EUlS18_E_NS1_11comp_targetILNS1_3genE0ELNS1_11target_archE4294967295ELNS1_3gpuE0ELNS1_3repE0EEENS1_30default_config_static_selectorELNS0_4arch9wavefront6targetE0EEEvT1_,comdat
.Lfunc_end2437:
	.size	_ZN7rocprim17ROCPRIM_400000_NS6detail17trampoline_kernelINS0_14default_configENS1_25partition_config_selectorILNS1_17partition_subalgoE5EjNS0_10empty_typeEbEEZZNS1_14partition_implILS5_5ELb0ES3_mN6thrust23THRUST_200600_302600_NS6detail15normal_iteratorINSA_10device_ptrIjEEEEPS6_NSA_18transform_iteratorINSB_9not_fun_tI7is_trueIjEEENSC_INSD_IbEEEENSA_11use_defaultESO_EENS0_5tupleIJSF_S6_EEENSQ_IJSG_SG_EEES6_PlJS6_EEE10hipError_tPvRmT3_T4_T5_T6_T7_T9_mT8_P12ihipStream_tbDpT10_ENKUlT_T0_E_clISt17integral_constantIbLb1EES1D_EEDaS18_S19_EUlS18_E_NS1_11comp_targetILNS1_3genE0ELNS1_11target_archE4294967295ELNS1_3gpuE0ELNS1_3repE0EEENS1_30default_config_static_selectorELNS0_4arch9wavefront6targetE0EEEvT1_, .Lfunc_end2437-_ZN7rocprim17ROCPRIM_400000_NS6detail17trampoline_kernelINS0_14default_configENS1_25partition_config_selectorILNS1_17partition_subalgoE5EjNS0_10empty_typeEbEEZZNS1_14partition_implILS5_5ELb0ES3_mN6thrust23THRUST_200600_302600_NS6detail15normal_iteratorINSA_10device_ptrIjEEEEPS6_NSA_18transform_iteratorINSB_9not_fun_tI7is_trueIjEEENSC_INSD_IbEEEENSA_11use_defaultESO_EENS0_5tupleIJSF_S6_EEENSQ_IJSG_SG_EEES6_PlJS6_EEE10hipError_tPvRmT3_T4_T5_T6_T7_T9_mT8_P12ihipStream_tbDpT10_ENKUlT_T0_E_clISt17integral_constantIbLb1EES1D_EEDaS18_S19_EUlS18_E_NS1_11comp_targetILNS1_3genE0ELNS1_11target_archE4294967295ELNS1_3gpuE0ELNS1_3repE0EEENS1_30default_config_static_selectorELNS0_4arch9wavefront6targetE0EEEvT1_
                                        ; -- End function
	.set _ZN7rocprim17ROCPRIM_400000_NS6detail17trampoline_kernelINS0_14default_configENS1_25partition_config_selectorILNS1_17partition_subalgoE5EjNS0_10empty_typeEbEEZZNS1_14partition_implILS5_5ELb0ES3_mN6thrust23THRUST_200600_302600_NS6detail15normal_iteratorINSA_10device_ptrIjEEEEPS6_NSA_18transform_iteratorINSB_9not_fun_tI7is_trueIjEEENSC_INSD_IbEEEENSA_11use_defaultESO_EENS0_5tupleIJSF_S6_EEENSQ_IJSG_SG_EEES6_PlJS6_EEE10hipError_tPvRmT3_T4_T5_T6_T7_T9_mT8_P12ihipStream_tbDpT10_ENKUlT_T0_E_clISt17integral_constantIbLb1EES1D_EEDaS18_S19_EUlS18_E_NS1_11comp_targetILNS1_3genE0ELNS1_11target_archE4294967295ELNS1_3gpuE0ELNS1_3repE0EEENS1_30default_config_static_selectorELNS0_4arch9wavefront6targetE0EEEvT1_.num_vgpr, 0
	.set _ZN7rocprim17ROCPRIM_400000_NS6detail17trampoline_kernelINS0_14default_configENS1_25partition_config_selectorILNS1_17partition_subalgoE5EjNS0_10empty_typeEbEEZZNS1_14partition_implILS5_5ELb0ES3_mN6thrust23THRUST_200600_302600_NS6detail15normal_iteratorINSA_10device_ptrIjEEEEPS6_NSA_18transform_iteratorINSB_9not_fun_tI7is_trueIjEEENSC_INSD_IbEEEENSA_11use_defaultESO_EENS0_5tupleIJSF_S6_EEENSQ_IJSG_SG_EEES6_PlJS6_EEE10hipError_tPvRmT3_T4_T5_T6_T7_T9_mT8_P12ihipStream_tbDpT10_ENKUlT_T0_E_clISt17integral_constantIbLb1EES1D_EEDaS18_S19_EUlS18_E_NS1_11comp_targetILNS1_3genE0ELNS1_11target_archE4294967295ELNS1_3gpuE0ELNS1_3repE0EEENS1_30default_config_static_selectorELNS0_4arch9wavefront6targetE0EEEvT1_.num_agpr, 0
	.set _ZN7rocprim17ROCPRIM_400000_NS6detail17trampoline_kernelINS0_14default_configENS1_25partition_config_selectorILNS1_17partition_subalgoE5EjNS0_10empty_typeEbEEZZNS1_14partition_implILS5_5ELb0ES3_mN6thrust23THRUST_200600_302600_NS6detail15normal_iteratorINSA_10device_ptrIjEEEEPS6_NSA_18transform_iteratorINSB_9not_fun_tI7is_trueIjEEENSC_INSD_IbEEEENSA_11use_defaultESO_EENS0_5tupleIJSF_S6_EEENSQ_IJSG_SG_EEES6_PlJS6_EEE10hipError_tPvRmT3_T4_T5_T6_T7_T9_mT8_P12ihipStream_tbDpT10_ENKUlT_T0_E_clISt17integral_constantIbLb1EES1D_EEDaS18_S19_EUlS18_E_NS1_11comp_targetILNS1_3genE0ELNS1_11target_archE4294967295ELNS1_3gpuE0ELNS1_3repE0EEENS1_30default_config_static_selectorELNS0_4arch9wavefront6targetE0EEEvT1_.numbered_sgpr, 0
	.set _ZN7rocprim17ROCPRIM_400000_NS6detail17trampoline_kernelINS0_14default_configENS1_25partition_config_selectorILNS1_17partition_subalgoE5EjNS0_10empty_typeEbEEZZNS1_14partition_implILS5_5ELb0ES3_mN6thrust23THRUST_200600_302600_NS6detail15normal_iteratorINSA_10device_ptrIjEEEEPS6_NSA_18transform_iteratorINSB_9not_fun_tI7is_trueIjEEENSC_INSD_IbEEEENSA_11use_defaultESO_EENS0_5tupleIJSF_S6_EEENSQ_IJSG_SG_EEES6_PlJS6_EEE10hipError_tPvRmT3_T4_T5_T6_T7_T9_mT8_P12ihipStream_tbDpT10_ENKUlT_T0_E_clISt17integral_constantIbLb1EES1D_EEDaS18_S19_EUlS18_E_NS1_11comp_targetILNS1_3genE0ELNS1_11target_archE4294967295ELNS1_3gpuE0ELNS1_3repE0EEENS1_30default_config_static_selectorELNS0_4arch9wavefront6targetE0EEEvT1_.num_named_barrier, 0
	.set _ZN7rocprim17ROCPRIM_400000_NS6detail17trampoline_kernelINS0_14default_configENS1_25partition_config_selectorILNS1_17partition_subalgoE5EjNS0_10empty_typeEbEEZZNS1_14partition_implILS5_5ELb0ES3_mN6thrust23THRUST_200600_302600_NS6detail15normal_iteratorINSA_10device_ptrIjEEEEPS6_NSA_18transform_iteratorINSB_9not_fun_tI7is_trueIjEEENSC_INSD_IbEEEENSA_11use_defaultESO_EENS0_5tupleIJSF_S6_EEENSQ_IJSG_SG_EEES6_PlJS6_EEE10hipError_tPvRmT3_T4_T5_T6_T7_T9_mT8_P12ihipStream_tbDpT10_ENKUlT_T0_E_clISt17integral_constantIbLb1EES1D_EEDaS18_S19_EUlS18_E_NS1_11comp_targetILNS1_3genE0ELNS1_11target_archE4294967295ELNS1_3gpuE0ELNS1_3repE0EEENS1_30default_config_static_selectorELNS0_4arch9wavefront6targetE0EEEvT1_.private_seg_size, 0
	.set _ZN7rocprim17ROCPRIM_400000_NS6detail17trampoline_kernelINS0_14default_configENS1_25partition_config_selectorILNS1_17partition_subalgoE5EjNS0_10empty_typeEbEEZZNS1_14partition_implILS5_5ELb0ES3_mN6thrust23THRUST_200600_302600_NS6detail15normal_iteratorINSA_10device_ptrIjEEEEPS6_NSA_18transform_iteratorINSB_9not_fun_tI7is_trueIjEEENSC_INSD_IbEEEENSA_11use_defaultESO_EENS0_5tupleIJSF_S6_EEENSQ_IJSG_SG_EEES6_PlJS6_EEE10hipError_tPvRmT3_T4_T5_T6_T7_T9_mT8_P12ihipStream_tbDpT10_ENKUlT_T0_E_clISt17integral_constantIbLb1EES1D_EEDaS18_S19_EUlS18_E_NS1_11comp_targetILNS1_3genE0ELNS1_11target_archE4294967295ELNS1_3gpuE0ELNS1_3repE0EEENS1_30default_config_static_selectorELNS0_4arch9wavefront6targetE0EEEvT1_.uses_vcc, 0
	.set _ZN7rocprim17ROCPRIM_400000_NS6detail17trampoline_kernelINS0_14default_configENS1_25partition_config_selectorILNS1_17partition_subalgoE5EjNS0_10empty_typeEbEEZZNS1_14partition_implILS5_5ELb0ES3_mN6thrust23THRUST_200600_302600_NS6detail15normal_iteratorINSA_10device_ptrIjEEEEPS6_NSA_18transform_iteratorINSB_9not_fun_tI7is_trueIjEEENSC_INSD_IbEEEENSA_11use_defaultESO_EENS0_5tupleIJSF_S6_EEENSQ_IJSG_SG_EEES6_PlJS6_EEE10hipError_tPvRmT3_T4_T5_T6_T7_T9_mT8_P12ihipStream_tbDpT10_ENKUlT_T0_E_clISt17integral_constantIbLb1EES1D_EEDaS18_S19_EUlS18_E_NS1_11comp_targetILNS1_3genE0ELNS1_11target_archE4294967295ELNS1_3gpuE0ELNS1_3repE0EEENS1_30default_config_static_selectorELNS0_4arch9wavefront6targetE0EEEvT1_.uses_flat_scratch, 0
	.set _ZN7rocprim17ROCPRIM_400000_NS6detail17trampoline_kernelINS0_14default_configENS1_25partition_config_selectorILNS1_17partition_subalgoE5EjNS0_10empty_typeEbEEZZNS1_14partition_implILS5_5ELb0ES3_mN6thrust23THRUST_200600_302600_NS6detail15normal_iteratorINSA_10device_ptrIjEEEEPS6_NSA_18transform_iteratorINSB_9not_fun_tI7is_trueIjEEENSC_INSD_IbEEEENSA_11use_defaultESO_EENS0_5tupleIJSF_S6_EEENSQ_IJSG_SG_EEES6_PlJS6_EEE10hipError_tPvRmT3_T4_T5_T6_T7_T9_mT8_P12ihipStream_tbDpT10_ENKUlT_T0_E_clISt17integral_constantIbLb1EES1D_EEDaS18_S19_EUlS18_E_NS1_11comp_targetILNS1_3genE0ELNS1_11target_archE4294967295ELNS1_3gpuE0ELNS1_3repE0EEENS1_30default_config_static_selectorELNS0_4arch9wavefront6targetE0EEEvT1_.has_dyn_sized_stack, 0
	.set _ZN7rocprim17ROCPRIM_400000_NS6detail17trampoline_kernelINS0_14default_configENS1_25partition_config_selectorILNS1_17partition_subalgoE5EjNS0_10empty_typeEbEEZZNS1_14partition_implILS5_5ELb0ES3_mN6thrust23THRUST_200600_302600_NS6detail15normal_iteratorINSA_10device_ptrIjEEEEPS6_NSA_18transform_iteratorINSB_9not_fun_tI7is_trueIjEEENSC_INSD_IbEEEENSA_11use_defaultESO_EENS0_5tupleIJSF_S6_EEENSQ_IJSG_SG_EEES6_PlJS6_EEE10hipError_tPvRmT3_T4_T5_T6_T7_T9_mT8_P12ihipStream_tbDpT10_ENKUlT_T0_E_clISt17integral_constantIbLb1EES1D_EEDaS18_S19_EUlS18_E_NS1_11comp_targetILNS1_3genE0ELNS1_11target_archE4294967295ELNS1_3gpuE0ELNS1_3repE0EEENS1_30default_config_static_selectorELNS0_4arch9wavefront6targetE0EEEvT1_.has_recursion, 0
	.set _ZN7rocprim17ROCPRIM_400000_NS6detail17trampoline_kernelINS0_14default_configENS1_25partition_config_selectorILNS1_17partition_subalgoE5EjNS0_10empty_typeEbEEZZNS1_14partition_implILS5_5ELb0ES3_mN6thrust23THRUST_200600_302600_NS6detail15normal_iteratorINSA_10device_ptrIjEEEEPS6_NSA_18transform_iteratorINSB_9not_fun_tI7is_trueIjEEENSC_INSD_IbEEEENSA_11use_defaultESO_EENS0_5tupleIJSF_S6_EEENSQ_IJSG_SG_EEES6_PlJS6_EEE10hipError_tPvRmT3_T4_T5_T6_T7_T9_mT8_P12ihipStream_tbDpT10_ENKUlT_T0_E_clISt17integral_constantIbLb1EES1D_EEDaS18_S19_EUlS18_E_NS1_11comp_targetILNS1_3genE0ELNS1_11target_archE4294967295ELNS1_3gpuE0ELNS1_3repE0EEENS1_30default_config_static_selectorELNS0_4arch9wavefront6targetE0EEEvT1_.has_indirect_call, 0
	.section	.AMDGPU.csdata,"",@progbits
; Kernel info:
; codeLenInByte = 0
; TotalNumSgprs: 0
; NumVgprs: 0
; ScratchSize: 0
; MemoryBound: 0
; FloatMode: 240
; IeeeMode: 1
; LDSByteSize: 0 bytes/workgroup (compile time only)
; SGPRBlocks: 0
; VGPRBlocks: 0
; NumSGPRsForWavesPerEU: 1
; NumVGPRsForWavesPerEU: 1
; Occupancy: 16
; WaveLimiterHint : 0
; COMPUTE_PGM_RSRC2:SCRATCH_EN: 0
; COMPUTE_PGM_RSRC2:USER_SGPR: 2
; COMPUTE_PGM_RSRC2:TRAP_HANDLER: 0
; COMPUTE_PGM_RSRC2:TGID_X_EN: 1
; COMPUTE_PGM_RSRC2:TGID_Y_EN: 0
; COMPUTE_PGM_RSRC2:TGID_Z_EN: 0
; COMPUTE_PGM_RSRC2:TIDIG_COMP_CNT: 0
	.section	.text._ZN7rocprim17ROCPRIM_400000_NS6detail17trampoline_kernelINS0_14default_configENS1_25partition_config_selectorILNS1_17partition_subalgoE5EjNS0_10empty_typeEbEEZZNS1_14partition_implILS5_5ELb0ES3_mN6thrust23THRUST_200600_302600_NS6detail15normal_iteratorINSA_10device_ptrIjEEEEPS6_NSA_18transform_iteratorINSB_9not_fun_tI7is_trueIjEEENSC_INSD_IbEEEENSA_11use_defaultESO_EENS0_5tupleIJSF_S6_EEENSQ_IJSG_SG_EEES6_PlJS6_EEE10hipError_tPvRmT3_T4_T5_T6_T7_T9_mT8_P12ihipStream_tbDpT10_ENKUlT_T0_E_clISt17integral_constantIbLb1EES1D_EEDaS18_S19_EUlS18_E_NS1_11comp_targetILNS1_3genE5ELNS1_11target_archE942ELNS1_3gpuE9ELNS1_3repE0EEENS1_30default_config_static_selectorELNS0_4arch9wavefront6targetE0EEEvT1_,"axG",@progbits,_ZN7rocprim17ROCPRIM_400000_NS6detail17trampoline_kernelINS0_14default_configENS1_25partition_config_selectorILNS1_17partition_subalgoE5EjNS0_10empty_typeEbEEZZNS1_14partition_implILS5_5ELb0ES3_mN6thrust23THRUST_200600_302600_NS6detail15normal_iteratorINSA_10device_ptrIjEEEEPS6_NSA_18transform_iteratorINSB_9not_fun_tI7is_trueIjEEENSC_INSD_IbEEEENSA_11use_defaultESO_EENS0_5tupleIJSF_S6_EEENSQ_IJSG_SG_EEES6_PlJS6_EEE10hipError_tPvRmT3_T4_T5_T6_T7_T9_mT8_P12ihipStream_tbDpT10_ENKUlT_T0_E_clISt17integral_constantIbLb1EES1D_EEDaS18_S19_EUlS18_E_NS1_11comp_targetILNS1_3genE5ELNS1_11target_archE942ELNS1_3gpuE9ELNS1_3repE0EEENS1_30default_config_static_selectorELNS0_4arch9wavefront6targetE0EEEvT1_,comdat
	.protected	_ZN7rocprim17ROCPRIM_400000_NS6detail17trampoline_kernelINS0_14default_configENS1_25partition_config_selectorILNS1_17partition_subalgoE5EjNS0_10empty_typeEbEEZZNS1_14partition_implILS5_5ELb0ES3_mN6thrust23THRUST_200600_302600_NS6detail15normal_iteratorINSA_10device_ptrIjEEEEPS6_NSA_18transform_iteratorINSB_9not_fun_tI7is_trueIjEEENSC_INSD_IbEEEENSA_11use_defaultESO_EENS0_5tupleIJSF_S6_EEENSQ_IJSG_SG_EEES6_PlJS6_EEE10hipError_tPvRmT3_T4_T5_T6_T7_T9_mT8_P12ihipStream_tbDpT10_ENKUlT_T0_E_clISt17integral_constantIbLb1EES1D_EEDaS18_S19_EUlS18_E_NS1_11comp_targetILNS1_3genE5ELNS1_11target_archE942ELNS1_3gpuE9ELNS1_3repE0EEENS1_30default_config_static_selectorELNS0_4arch9wavefront6targetE0EEEvT1_ ; -- Begin function _ZN7rocprim17ROCPRIM_400000_NS6detail17trampoline_kernelINS0_14default_configENS1_25partition_config_selectorILNS1_17partition_subalgoE5EjNS0_10empty_typeEbEEZZNS1_14partition_implILS5_5ELb0ES3_mN6thrust23THRUST_200600_302600_NS6detail15normal_iteratorINSA_10device_ptrIjEEEEPS6_NSA_18transform_iteratorINSB_9not_fun_tI7is_trueIjEEENSC_INSD_IbEEEENSA_11use_defaultESO_EENS0_5tupleIJSF_S6_EEENSQ_IJSG_SG_EEES6_PlJS6_EEE10hipError_tPvRmT3_T4_T5_T6_T7_T9_mT8_P12ihipStream_tbDpT10_ENKUlT_T0_E_clISt17integral_constantIbLb1EES1D_EEDaS18_S19_EUlS18_E_NS1_11comp_targetILNS1_3genE5ELNS1_11target_archE942ELNS1_3gpuE9ELNS1_3repE0EEENS1_30default_config_static_selectorELNS0_4arch9wavefront6targetE0EEEvT1_
	.globl	_ZN7rocprim17ROCPRIM_400000_NS6detail17trampoline_kernelINS0_14default_configENS1_25partition_config_selectorILNS1_17partition_subalgoE5EjNS0_10empty_typeEbEEZZNS1_14partition_implILS5_5ELb0ES3_mN6thrust23THRUST_200600_302600_NS6detail15normal_iteratorINSA_10device_ptrIjEEEEPS6_NSA_18transform_iteratorINSB_9not_fun_tI7is_trueIjEEENSC_INSD_IbEEEENSA_11use_defaultESO_EENS0_5tupleIJSF_S6_EEENSQ_IJSG_SG_EEES6_PlJS6_EEE10hipError_tPvRmT3_T4_T5_T6_T7_T9_mT8_P12ihipStream_tbDpT10_ENKUlT_T0_E_clISt17integral_constantIbLb1EES1D_EEDaS18_S19_EUlS18_E_NS1_11comp_targetILNS1_3genE5ELNS1_11target_archE942ELNS1_3gpuE9ELNS1_3repE0EEENS1_30default_config_static_selectorELNS0_4arch9wavefront6targetE0EEEvT1_
	.p2align	8
	.type	_ZN7rocprim17ROCPRIM_400000_NS6detail17trampoline_kernelINS0_14default_configENS1_25partition_config_selectorILNS1_17partition_subalgoE5EjNS0_10empty_typeEbEEZZNS1_14partition_implILS5_5ELb0ES3_mN6thrust23THRUST_200600_302600_NS6detail15normal_iteratorINSA_10device_ptrIjEEEEPS6_NSA_18transform_iteratorINSB_9not_fun_tI7is_trueIjEEENSC_INSD_IbEEEENSA_11use_defaultESO_EENS0_5tupleIJSF_S6_EEENSQ_IJSG_SG_EEES6_PlJS6_EEE10hipError_tPvRmT3_T4_T5_T6_T7_T9_mT8_P12ihipStream_tbDpT10_ENKUlT_T0_E_clISt17integral_constantIbLb1EES1D_EEDaS18_S19_EUlS18_E_NS1_11comp_targetILNS1_3genE5ELNS1_11target_archE942ELNS1_3gpuE9ELNS1_3repE0EEENS1_30default_config_static_selectorELNS0_4arch9wavefront6targetE0EEEvT1_,@function
_ZN7rocprim17ROCPRIM_400000_NS6detail17trampoline_kernelINS0_14default_configENS1_25partition_config_selectorILNS1_17partition_subalgoE5EjNS0_10empty_typeEbEEZZNS1_14partition_implILS5_5ELb0ES3_mN6thrust23THRUST_200600_302600_NS6detail15normal_iteratorINSA_10device_ptrIjEEEEPS6_NSA_18transform_iteratorINSB_9not_fun_tI7is_trueIjEEENSC_INSD_IbEEEENSA_11use_defaultESO_EENS0_5tupleIJSF_S6_EEENSQ_IJSG_SG_EEES6_PlJS6_EEE10hipError_tPvRmT3_T4_T5_T6_T7_T9_mT8_P12ihipStream_tbDpT10_ENKUlT_T0_E_clISt17integral_constantIbLb1EES1D_EEDaS18_S19_EUlS18_E_NS1_11comp_targetILNS1_3genE5ELNS1_11target_archE942ELNS1_3gpuE9ELNS1_3repE0EEENS1_30default_config_static_selectorELNS0_4arch9wavefront6targetE0EEEvT1_: ; @_ZN7rocprim17ROCPRIM_400000_NS6detail17trampoline_kernelINS0_14default_configENS1_25partition_config_selectorILNS1_17partition_subalgoE5EjNS0_10empty_typeEbEEZZNS1_14partition_implILS5_5ELb0ES3_mN6thrust23THRUST_200600_302600_NS6detail15normal_iteratorINSA_10device_ptrIjEEEEPS6_NSA_18transform_iteratorINSB_9not_fun_tI7is_trueIjEEENSC_INSD_IbEEEENSA_11use_defaultESO_EENS0_5tupleIJSF_S6_EEENSQ_IJSG_SG_EEES6_PlJS6_EEE10hipError_tPvRmT3_T4_T5_T6_T7_T9_mT8_P12ihipStream_tbDpT10_ENKUlT_T0_E_clISt17integral_constantIbLb1EES1D_EEDaS18_S19_EUlS18_E_NS1_11comp_targetILNS1_3genE5ELNS1_11target_archE942ELNS1_3gpuE9ELNS1_3repE0EEENS1_30default_config_static_selectorELNS0_4arch9wavefront6targetE0EEEvT1_
; %bb.0:
	.section	.rodata,"a",@progbits
	.p2align	6, 0x0
	.amdhsa_kernel _ZN7rocprim17ROCPRIM_400000_NS6detail17trampoline_kernelINS0_14default_configENS1_25partition_config_selectorILNS1_17partition_subalgoE5EjNS0_10empty_typeEbEEZZNS1_14partition_implILS5_5ELb0ES3_mN6thrust23THRUST_200600_302600_NS6detail15normal_iteratorINSA_10device_ptrIjEEEEPS6_NSA_18transform_iteratorINSB_9not_fun_tI7is_trueIjEEENSC_INSD_IbEEEENSA_11use_defaultESO_EENS0_5tupleIJSF_S6_EEENSQ_IJSG_SG_EEES6_PlJS6_EEE10hipError_tPvRmT3_T4_T5_T6_T7_T9_mT8_P12ihipStream_tbDpT10_ENKUlT_T0_E_clISt17integral_constantIbLb1EES1D_EEDaS18_S19_EUlS18_E_NS1_11comp_targetILNS1_3genE5ELNS1_11target_archE942ELNS1_3gpuE9ELNS1_3repE0EEENS1_30default_config_static_selectorELNS0_4arch9wavefront6targetE0EEEvT1_
		.amdhsa_group_segment_fixed_size 0
		.amdhsa_private_segment_fixed_size 0
		.amdhsa_kernarg_size 136
		.amdhsa_user_sgpr_count 2
		.amdhsa_user_sgpr_dispatch_ptr 0
		.amdhsa_user_sgpr_queue_ptr 0
		.amdhsa_user_sgpr_kernarg_segment_ptr 1
		.amdhsa_user_sgpr_dispatch_id 0
		.amdhsa_user_sgpr_private_segment_size 0
		.amdhsa_wavefront_size32 1
		.amdhsa_uses_dynamic_stack 0
		.amdhsa_enable_private_segment 0
		.amdhsa_system_sgpr_workgroup_id_x 1
		.amdhsa_system_sgpr_workgroup_id_y 0
		.amdhsa_system_sgpr_workgroup_id_z 0
		.amdhsa_system_sgpr_workgroup_info 0
		.amdhsa_system_vgpr_workitem_id 0
		.amdhsa_next_free_vgpr 1
		.amdhsa_next_free_sgpr 1
		.amdhsa_reserve_vcc 0
		.amdhsa_float_round_mode_32 0
		.amdhsa_float_round_mode_16_64 0
		.amdhsa_float_denorm_mode_32 3
		.amdhsa_float_denorm_mode_16_64 3
		.amdhsa_fp16_overflow 0
		.amdhsa_workgroup_processor_mode 1
		.amdhsa_memory_ordered 1
		.amdhsa_forward_progress 1
		.amdhsa_inst_pref_size 0
		.amdhsa_round_robin_scheduling 0
		.amdhsa_exception_fp_ieee_invalid_op 0
		.amdhsa_exception_fp_denorm_src 0
		.amdhsa_exception_fp_ieee_div_zero 0
		.amdhsa_exception_fp_ieee_overflow 0
		.amdhsa_exception_fp_ieee_underflow 0
		.amdhsa_exception_fp_ieee_inexact 0
		.amdhsa_exception_int_div_zero 0
	.end_amdhsa_kernel
	.section	.text._ZN7rocprim17ROCPRIM_400000_NS6detail17trampoline_kernelINS0_14default_configENS1_25partition_config_selectorILNS1_17partition_subalgoE5EjNS0_10empty_typeEbEEZZNS1_14partition_implILS5_5ELb0ES3_mN6thrust23THRUST_200600_302600_NS6detail15normal_iteratorINSA_10device_ptrIjEEEEPS6_NSA_18transform_iteratorINSB_9not_fun_tI7is_trueIjEEENSC_INSD_IbEEEENSA_11use_defaultESO_EENS0_5tupleIJSF_S6_EEENSQ_IJSG_SG_EEES6_PlJS6_EEE10hipError_tPvRmT3_T4_T5_T6_T7_T9_mT8_P12ihipStream_tbDpT10_ENKUlT_T0_E_clISt17integral_constantIbLb1EES1D_EEDaS18_S19_EUlS18_E_NS1_11comp_targetILNS1_3genE5ELNS1_11target_archE942ELNS1_3gpuE9ELNS1_3repE0EEENS1_30default_config_static_selectorELNS0_4arch9wavefront6targetE0EEEvT1_,"axG",@progbits,_ZN7rocprim17ROCPRIM_400000_NS6detail17trampoline_kernelINS0_14default_configENS1_25partition_config_selectorILNS1_17partition_subalgoE5EjNS0_10empty_typeEbEEZZNS1_14partition_implILS5_5ELb0ES3_mN6thrust23THRUST_200600_302600_NS6detail15normal_iteratorINSA_10device_ptrIjEEEEPS6_NSA_18transform_iteratorINSB_9not_fun_tI7is_trueIjEEENSC_INSD_IbEEEENSA_11use_defaultESO_EENS0_5tupleIJSF_S6_EEENSQ_IJSG_SG_EEES6_PlJS6_EEE10hipError_tPvRmT3_T4_T5_T6_T7_T9_mT8_P12ihipStream_tbDpT10_ENKUlT_T0_E_clISt17integral_constantIbLb1EES1D_EEDaS18_S19_EUlS18_E_NS1_11comp_targetILNS1_3genE5ELNS1_11target_archE942ELNS1_3gpuE9ELNS1_3repE0EEENS1_30default_config_static_selectorELNS0_4arch9wavefront6targetE0EEEvT1_,comdat
.Lfunc_end2438:
	.size	_ZN7rocprim17ROCPRIM_400000_NS6detail17trampoline_kernelINS0_14default_configENS1_25partition_config_selectorILNS1_17partition_subalgoE5EjNS0_10empty_typeEbEEZZNS1_14partition_implILS5_5ELb0ES3_mN6thrust23THRUST_200600_302600_NS6detail15normal_iteratorINSA_10device_ptrIjEEEEPS6_NSA_18transform_iteratorINSB_9not_fun_tI7is_trueIjEEENSC_INSD_IbEEEENSA_11use_defaultESO_EENS0_5tupleIJSF_S6_EEENSQ_IJSG_SG_EEES6_PlJS6_EEE10hipError_tPvRmT3_T4_T5_T6_T7_T9_mT8_P12ihipStream_tbDpT10_ENKUlT_T0_E_clISt17integral_constantIbLb1EES1D_EEDaS18_S19_EUlS18_E_NS1_11comp_targetILNS1_3genE5ELNS1_11target_archE942ELNS1_3gpuE9ELNS1_3repE0EEENS1_30default_config_static_selectorELNS0_4arch9wavefront6targetE0EEEvT1_, .Lfunc_end2438-_ZN7rocprim17ROCPRIM_400000_NS6detail17trampoline_kernelINS0_14default_configENS1_25partition_config_selectorILNS1_17partition_subalgoE5EjNS0_10empty_typeEbEEZZNS1_14partition_implILS5_5ELb0ES3_mN6thrust23THRUST_200600_302600_NS6detail15normal_iteratorINSA_10device_ptrIjEEEEPS6_NSA_18transform_iteratorINSB_9not_fun_tI7is_trueIjEEENSC_INSD_IbEEEENSA_11use_defaultESO_EENS0_5tupleIJSF_S6_EEENSQ_IJSG_SG_EEES6_PlJS6_EEE10hipError_tPvRmT3_T4_T5_T6_T7_T9_mT8_P12ihipStream_tbDpT10_ENKUlT_T0_E_clISt17integral_constantIbLb1EES1D_EEDaS18_S19_EUlS18_E_NS1_11comp_targetILNS1_3genE5ELNS1_11target_archE942ELNS1_3gpuE9ELNS1_3repE0EEENS1_30default_config_static_selectorELNS0_4arch9wavefront6targetE0EEEvT1_
                                        ; -- End function
	.set _ZN7rocprim17ROCPRIM_400000_NS6detail17trampoline_kernelINS0_14default_configENS1_25partition_config_selectorILNS1_17partition_subalgoE5EjNS0_10empty_typeEbEEZZNS1_14partition_implILS5_5ELb0ES3_mN6thrust23THRUST_200600_302600_NS6detail15normal_iteratorINSA_10device_ptrIjEEEEPS6_NSA_18transform_iteratorINSB_9not_fun_tI7is_trueIjEEENSC_INSD_IbEEEENSA_11use_defaultESO_EENS0_5tupleIJSF_S6_EEENSQ_IJSG_SG_EEES6_PlJS6_EEE10hipError_tPvRmT3_T4_T5_T6_T7_T9_mT8_P12ihipStream_tbDpT10_ENKUlT_T0_E_clISt17integral_constantIbLb1EES1D_EEDaS18_S19_EUlS18_E_NS1_11comp_targetILNS1_3genE5ELNS1_11target_archE942ELNS1_3gpuE9ELNS1_3repE0EEENS1_30default_config_static_selectorELNS0_4arch9wavefront6targetE0EEEvT1_.num_vgpr, 0
	.set _ZN7rocprim17ROCPRIM_400000_NS6detail17trampoline_kernelINS0_14default_configENS1_25partition_config_selectorILNS1_17partition_subalgoE5EjNS0_10empty_typeEbEEZZNS1_14partition_implILS5_5ELb0ES3_mN6thrust23THRUST_200600_302600_NS6detail15normal_iteratorINSA_10device_ptrIjEEEEPS6_NSA_18transform_iteratorINSB_9not_fun_tI7is_trueIjEEENSC_INSD_IbEEEENSA_11use_defaultESO_EENS0_5tupleIJSF_S6_EEENSQ_IJSG_SG_EEES6_PlJS6_EEE10hipError_tPvRmT3_T4_T5_T6_T7_T9_mT8_P12ihipStream_tbDpT10_ENKUlT_T0_E_clISt17integral_constantIbLb1EES1D_EEDaS18_S19_EUlS18_E_NS1_11comp_targetILNS1_3genE5ELNS1_11target_archE942ELNS1_3gpuE9ELNS1_3repE0EEENS1_30default_config_static_selectorELNS0_4arch9wavefront6targetE0EEEvT1_.num_agpr, 0
	.set _ZN7rocprim17ROCPRIM_400000_NS6detail17trampoline_kernelINS0_14default_configENS1_25partition_config_selectorILNS1_17partition_subalgoE5EjNS0_10empty_typeEbEEZZNS1_14partition_implILS5_5ELb0ES3_mN6thrust23THRUST_200600_302600_NS6detail15normal_iteratorINSA_10device_ptrIjEEEEPS6_NSA_18transform_iteratorINSB_9not_fun_tI7is_trueIjEEENSC_INSD_IbEEEENSA_11use_defaultESO_EENS0_5tupleIJSF_S6_EEENSQ_IJSG_SG_EEES6_PlJS6_EEE10hipError_tPvRmT3_T4_T5_T6_T7_T9_mT8_P12ihipStream_tbDpT10_ENKUlT_T0_E_clISt17integral_constantIbLb1EES1D_EEDaS18_S19_EUlS18_E_NS1_11comp_targetILNS1_3genE5ELNS1_11target_archE942ELNS1_3gpuE9ELNS1_3repE0EEENS1_30default_config_static_selectorELNS0_4arch9wavefront6targetE0EEEvT1_.numbered_sgpr, 0
	.set _ZN7rocprim17ROCPRIM_400000_NS6detail17trampoline_kernelINS0_14default_configENS1_25partition_config_selectorILNS1_17partition_subalgoE5EjNS0_10empty_typeEbEEZZNS1_14partition_implILS5_5ELb0ES3_mN6thrust23THRUST_200600_302600_NS6detail15normal_iteratorINSA_10device_ptrIjEEEEPS6_NSA_18transform_iteratorINSB_9not_fun_tI7is_trueIjEEENSC_INSD_IbEEEENSA_11use_defaultESO_EENS0_5tupleIJSF_S6_EEENSQ_IJSG_SG_EEES6_PlJS6_EEE10hipError_tPvRmT3_T4_T5_T6_T7_T9_mT8_P12ihipStream_tbDpT10_ENKUlT_T0_E_clISt17integral_constantIbLb1EES1D_EEDaS18_S19_EUlS18_E_NS1_11comp_targetILNS1_3genE5ELNS1_11target_archE942ELNS1_3gpuE9ELNS1_3repE0EEENS1_30default_config_static_selectorELNS0_4arch9wavefront6targetE0EEEvT1_.num_named_barrier, 0
	.set _ZN7rocprim17ROCPRIM_400000_NS6detail17trampoline_kernelINS0_14default_configENS1_25partition_config_selectorILNS1_17partition_subalgoE5EjNS0_10empty_typeEbEEZZNS1_14partition_implILS5_5ELb0ES3_mN6thrust23THRUST_200600_302600_NS6detail15normal_iteratorINSA_10device_ptrIjEEEEPS6_NSA_18transform_iteratorINSB_9not_fun_tI7is_trueIjEEENSC_INSD_IbEEEENSA_11use_defaultESO_EENS0_5tupleIJSF_S6_EEENSQ_IJSG_SG_EEES6_PlJS6_EEE10hipError_tPvRmT3_T4_T5_T6_T7_T9_mT8_P12ihipStream_tbDpT10_ENKUlT_T0_E_clISt17integral_constantIbLb1EES1D_EEDaS18_S19_EUlS18_E_NS1_11comp_targetILNS1_3genE5ELNS1_11target_archE942ELNS1_3gpuE9ELNS1_3repE0EEENS1_30default_config_static_selectorELNS0_4arch9wavefront6targetE0EEEvT1_.private_seg_size, 0
	.set _ZN7rocprim17ROCPRIM_400000_NS6detail17trampoline_kernelINS0_14default_configENS1_25partition_config_selectorILNS1_17partition_subalgoE5EjNS0_10empty_typeEbEEZZNS1_14partition_implILS5_5ELb0ES3_mN6thrust23THRUST_200600_302600_NS6detail15normal_iteratorINSA_10device_ptrIjEEEEPS6_NSA_18transform_iteratorINSB_9not_fun_tI7is_trueIjEEENSC_INSD_IbEEEENSA_11use_defaultESO_EENS0_5tupleIJSF_S6_EEENSQ_IJSG_SG_EEES6_PlJS6_EEE10hipError_tPvRmT3_T4_T5_T6_T7_T9_mT8_P12ihipStream_tbDpT10_ENKUlT_T0_E_clISt17integral_constantIbLb1EES1D_EEDaS18_S19_EUlS18_E_NS1_11comp_targetILNS1_3genE5ELNS1_11target_archE942ELNS1_3gpuE9ELNS1_3repE0EEENS1_30default_config_static_selectorELNS0_4arch9wavefront6targetE0EEEvT1_.uses_vcc, 0
	.set _ZN7rocprim17ROCPRIM_400000_NS6detail17trampoline_kernelINS0_14default_configENS1_25partition_config_selectorILNS1_17partition_subalgoE5EjNS0_10empty_typeEbEEZZNS1_14partition_implILS5_5ELb0ES3_mN6thrust23THRUST_200600_302600_NS6detail15normal_iteratorINSA_10device_ptrIjEEEEPS6_NSA_18transform_iteratorINSB_9not_fun_tI7is_trueIjEEENSC_INSD_IbEEEENSA_11use_defaultESO_EENS0_5tupleIJSF_S6_EEENSQ_IJSG_SG_EEES6_PlJS6_EEE10hipError_tPvRmT3_T4_T5_T6_T7_T9_mT8_P12ihipStream_tbDpT10_ENKUlT_T0_E_clISt17integral_constantIbLb1EES1D_EEDaS18_S19_EUlS18_E_NS1_11comp_targetILNS1_3genE5ELNS1_11target_archE942ELNS1_3gpuE9ELNS1_3repE0EEENS1_30default_config_static_selectorELNS0_4arch9wavefront6targetE0EEEvT1_.uses_flat_scratch, 0
	.set _ZN7rocprim17ROCPRIM_400000_NS6detail17trampoline_kernelINS0_14default_configENS1_25partition_config_selectorILNS1_17partition_subalgoE5EjNS0_10empty_typeEbEEZZNS1_14partition_implILS5_5ELb0ES3_mN6thrust23THRUST_200600_302600_NS6detail15normal_iteratorINSA_10device_ptrIjEEEEPS6_NSA_18transform_iteratorINSB_9not_fun_tI7is_trueIjEEENSC_INSD_IbEEEENSA_11use_defaultESO_EENS0_5tupleIJSF_S6_EEENSQ_IJSG_SG_EEES6_PlJS6_EEE10hipError_tPvRmT3_T4_T5_T6_T7_T9_mT8_P12ihipStream_tbDpT10_ENKUlT_T0_E_clISt17integral_constantIbLb1EES1D_EEDaS18_S19_EUlS18_E_NS1_11comp_targetILNS1_3genE5ELNS1_11target_archE942ELNS1_3gpuE9ELNS1_3repE0EEENS1_30default_config_static_selectorELNS0_4arch9wavefront6targetE0EEEvT1_.has_dyn_sized_stack, 0
	.set _ZN7rocprim17ROCPRIM_400000_NS6detail17trampoline_kernelINS0_14default_configENS1_25partition_config_selectorILNS1_17partition_subalgoE5EjNS0_10empty_typeEbEEZZNS1_14partition_implILS5_5ELb0ES3_mN6thrust23THRUST_200600_302600_NS6detail15normal_iteratorINSA_10device_ptrIjEEEEPS6_NSA_18transform_iteratorINSB_9not_fun_tI7is_trueIjEEENSC_INSD_IbEEEENSA_11use_defaultESO_EENS0_5tupleIJSF_S6_EEENSQ_IJSG_SG_EEES6_PlJS6_EEE10hipError_tPvRmT3_T4_T5_T6_T7_T9_mT8_P12ihipStream_tbDpT10_ENKUlT_T0_E_clISt17integral_constantIbLb1EES1D_EEDaS18_S19_EUlS18_E_NS1_11comp_targetILNS1_3genE5ELNS1_11target_archE942ELNS1_3gpuE9ELNS1_3repE0EEENS1_30default_config_static_selectorELNS0_4arch9wavefront6targetE0EEEvT1_.has_recursion, 0
	.set _ZN7rocprim17ROCPRIM_400000_NS6detail17trampoline_kernelINS0_14default_configENS1_25partition_config_selectorILNS1_17partition_subalgoE5EjNS0_10empty_typeEbEEZZNS1_14partition_implILS5_5ELb0ES3_mN6thrust23THRUST_200600_302600_NS6detail15normal_iteratorINSA_10device_ptrIjEEEEPS6_NSA_18transform_iteratorINSB_9not_fun_tI7is_trueIjEEENSC_INSD_IbEEEENSA_11use_defaultESO_EENS0_5tupleIJSF_S6_EEENSQ_IJSG_SG_EEES6_PlJS6_EEE10hipError_tPvRmT3_T4_T5_T6_T7_T9_mT8_P12ihipStream_tbDpT10_ENKUlT_T0_E_clISt17integral_constantIbLb1EES1D_EEDaS18_S19_EUlS18_E_NS1_11comp_targetILNS1_3genE5ELNS1_11target_archE942ELNS1_3gpuE9ELNS1_3repE0EEENS1_30default_config_static_selectorELNS0_4arch9wavefront6targetE0EEEvT1_.has_indirect_call, 0
	.section	.AMDGPU.csdata,"",@progbits
; Kernel info:
; codeLenInByte = 0
; TotalNumSgprs: 0
; NumVgprs: 0
; ScratchSize: 0
; MemoryBound: 0
; FloatMode: 240
; IeeeMode: 1
; LDSByteSize: 0 bytes/workgroup (compile time only)
; SGPRBlocks: 0
; VGPRBlocks: 0
; NumSGPRsForWavesPerEU: 1
; NumVGPRsForWavesPerEU: 1
; Occupancy: 16
; WaveLimiterHint : 0
; COMPUTE_PGM_RSRC2:SCRATCH_EN: 0
; COMPUTE_PGM_RSRC2:USER_SGPR: 2
; COMPUTE_PGM_RSRC2:TRAP_HANDLER: 0
; COMPUTE_PGM_RSRC2:TGID_X_EN: 1
; COMPUTE_PGM_RSRC2:TGID_Y_EN: 0
; COMPUTE_PGM_RSRC2:TGID_Z_EN: 0
; COMPUTE_PGM_RSRC2:TIDIG_COMP_CNT: 0
	.section	.text._ZN7rocprim17ROCPRIM_400000_NS6detail17trampoline_kernelINS0_14default_configENS1_25partition_config_selectorILNS1_17partition_subalgoE5EjNS0_10empty_typeEbEEZZNS1_14partition_implILS5_5ELb0ES3_mN6thrust23THRUST_200600_302600_NS6detail15normal_iteratorINSA_10device_ptrIjEEEEPS6_NSA_18transform_iteratorINSB_9not_fun_tI7is_trueIjEEENSC_INSD_IbEEEENSA_11use_defaultESO_EENS0_5tupleIJSF_S6_EEENSQ_IJSG_SG_EEES6_PlJS6_EEE10hipError_tPvRmT3_T4_T5_T6_T7_T9_mT8_P12ihipStream_tbDpT10_ENKUlT_T0_E_clISt17integral_constantIbLb1EES1D_EEDaS18_S19_EUlS18_E_NS1_11comp_targetILNS1_3genE4ELNS1_11target_archE910ELNS1_3gpuE8ELNS1_3repE0EEENS1_30default_config_static_selectorELNS0_4arch9wavefront6targetE0EEEvT1_,"axG",@progbits,_ZN7rocprim17ROCPRIM_400000_NS6detail17trampoline_kernelINS0_14default_configENS1_25partition_config_selectorILNS1_17partition_subalgoE5EjNS0_10empty_typeEbEEZZNS1_14partition_implILS5_5ELb0ES3_mN6thrust23THRUST_200600_302600_NS6detail15normal_iteratorINSA_10device_ptrIjEEEEPS6_NSA_18transform_iteratorINSB_9not_fun_tI7is_trueIjEEENSC_INSD_IbEEEENSA_11use_defaultESO_EENS0_5tupleIJSF_S6_EEENSQ_IJSG_SG_EEES6_PlJS6_EEE10hipError_tPvRmT3_T4_T5_T6_T7_T9_mT8_P12ihipStream_tbDpT10_ENKUlT_T0_E_clISt17integral_constantIbLb1EES1D_EEDaS18_S19_EUlS18_E_NS1_11comp_targetILNS1_3genE4ELNS1_11target_archE910ELNS1_3gpuE8ELNS1_3repE0EEENS1_30default_config_static_selectorELNS0_4arch9wavefront6targetE0EEEvT1_,comdat
	.protected	_ZN7rocprim17ROCPRIM_400000_NS6detail17trampoline_kernelINS0_14default_configENS1_25partition_config_selectorILNS1_17partition_subalgoE5EjNS0_10empty_typeEbEEZZNS1_14partition_implILS5_5ELb0ES3_mN6thrust23THRUST_200600_302600_NS6detail15normal_iteratorINSA_10device_ptrIjEEEEPS6_NSA_18transform_iteratorINSB_9not_fun_tI7is_trueIjEEENSC_INSD_IbEEEENSA_11use_defaultESO_EENS0_5tupleIJSF_S6_EEENSQ_IJSG_SG_EEES6_PlJS6_EEE10hipError_tPvRmT3_T4_T5_T6_T7_T9_mT8_P12ihipStream_tbDpT10_ENKUlT_T0_E_clISt17integral_constantIbLb1EES1D_EEDaS18_S19_EUlS18_E_NS1_11comp_targetILNS1_3genE4ELNS1_11target_archE910ELNS1_3gpuE8ELNS1_3repE0EEENS1_30default_config_static_selectorELNS0_4arch9wavefront6targetE0EEEvT1_ ; -- Begin function _ZN7rocprim17ROCPRIM_400000_NS6detail17trampoline_kernelINS0_14default_configENS1_25partition_config_selectorILNS1_17partition_subalgoE5EjNS0_10empty_typeEbEEZZNS1_14partition_implILS5_5ELb0ES3_mN6thrust23THRUST_200600_302600_NS6detail15normal_iteratorINSA_10device_ptrIjEEEEPS6_NSA_18transform_iteratorINSB_9not_fun_tI7is_trueIjEEENSC_INSD_IbEEEENSA_11use_defaultESO_EENS0_5tupleIJSF_S6_EEENSQ_IJSG_SG_EEES6_PlJS6_EEE10hipError_tPvRmT3_T4_T5_T6_T7_T9_mT8_P12ihipStream_tbDpT10_ENKUlT_T0_E_clISt17integral_constantIbLb1EES1D_EEDaS18_S19_EUlS18_E_NS1_11comp_targetILNS1_3genE4ELNS1_11target_archE910ELNS1_3gpuE8ELNS1_3repE0EEENS1_30default_config_static_selectorELNS0_4arch9wavefront6targetE0EEEvT1_
	.globl	_ZN7rocprim17ROCPRIM_400000_NS6detail17trampoline_kernelINS0_14default_configENS1_25partition_config_selectorILNS1_17partition_subalgoE5EjNS0_10empty_typeEbEEZZNS1_14partition_implILS5_5ELb0ES3_mN6thrust23THRUST_200600_302600_NS6detail15normal_iteratorINSA_10device_ptrIjEEEEPS6_NSA_18transform_iteratorINSB_9not_fun_tI7is_trueIjEEENSC_INSD_IbEEEENSA_11use_defaultESO_EENS0_5tupleIJSF_S6_EEENSQ_IJSG_SG_EEES6_PlJS6_EEE10hipError_tPvRmT3_T4_T5_T6_T7_T9_mT8_P12ihipStream_tbDpT10_ENKUlT_T0_E_clISt17integral_constantIbLb1EES1D_EEDaS18_S19_EUlS18_E_NS1_11comp_targetILNS1_3genE4ELNS1_11target_archE910ELNS1_3gpuE8ELNS1_3repE0EEENS1_30default_config_static_selectorELNS0_4arch9wavefront6targetE0EEEvT1_
	.p2align	8
	.type	_ZN7rocprim17ROCPRIM_400000_NS6detail17trampoline_kernelINS0_14default_configENS1_25partition_config_selectorILNS1_17partition_subalgoE5EjNS0_10empty_typeEbEEZZNS1_14partition_implILS5_5ELb0ES3_mN6thrust23THRUST_200600_302600_NS6detail15normal_iteratorINSA_10device_ptrIjEEEEPS6_NSA_18transform_iteratorINSB_9not_fun_tI7is_trueIjEEENSC_INSD_IbEEEENSA_11use_defaultESO_EENS0_5tupleIJSF_S6_EEENSQ_IJSG_SG_EEES6_PlJS6_EEE10hipError_tPvRmT3_T4_T5_T6_T7_T9_mT8_P12ihipStream_tbDpT10_ENKUlT_T0_E_clISt17integral_constantIbLb1EES1D_EEDaS18_S19_EUlS18_E_NS1_11comp_targetILNS1_3genE4ELNS1_11target_archE910ELNS1_3gpuE8ELNS1_3repE0EEENS1_30default_config_static_selectorELNS0_4arch9wavefront6targetE0EEEvT1_,@function
_ZN7rocprim17ROCPRIM_400000_NS6detail17trampoline_kernelINS0_14default_configENS1_25partition_config_selectorILNS1_17partition_subalgoE5EjNS0_10empty_typeEbEEZZNS1_14partition_implILS5_5ELb0ES3_mN6thrust23THRUST_200600_302600_NS6detail15normal_iteratorINSA_10device_ptrIjEEEEPS6_NSA_18transform_iteratorINSB_9not_fun_tI7is_trueIjEEENSC_INSD_IbEEEENSA_11use_defaultESO_EENS0_5tupleIJSF_S6_EEENSQ_IJSG_SG_EEES6_PlJS6_EEE10hipError_tPvRmT3_T4_T5_T6_T7_T9_mT8_P12ihipStream_tbDpT10_ENKUlT_T0_E_clISt17integral_constantIbLb1EES1D_EEDaS18_S19_EUlS18_E_NS1_11comp_targetILNS1_3genE4ELNS1_11target_archE910ELNS1_3gpuE8ELNS1_3repE0EEENS1_30default_config_static_selectorELNS0_4arch9wavefront6targetE0EEEvT1_: ; @_ZN7rocprim17ROCPRIM_400000_NS6detail17trampoline_kernelINS0_14default_configENS1_25partition_config_selectorILNS1_17partition_subalgoE5EjNS0_10empty_typeEbEEZZNS1_14partition_implILS5_5ELb0ES3_mN6thrust23THRUST_200600_302600_NS6detail15normal_iteratorINSA_10device_ptrIjEEEEPS6_NSA_18transform_iteratorINSB_9not_fun_tI7is_trueIjEEENSC_INSD_IbEEEENSA_11use_defaultESO_EENS0_5tupleIJSF_S6_EEENSQ_IJSG_SG_EEES6_PlJS6_EEE10hipError_tPvRmT3_T4_T5_T6_T7_T9_mT8_P12ihipStream_tbDpT10_ENKUlT_T0_E_clISt17integral_constantIbLb1EES1D_EEDaS18_S19_EUlS18_E_NS1_11comp_targetILNS1_3genE4ELNS1_11target_archE910ELNS1_3gpuE8ELNS1_3repE0EEENS1_30default_config_static_selectorELNS0_4arch9wavefront6targetE0EEEvT1_
; %bb.0:
	.section	.rodata,"a",@progbits
	.p2align	6, 0x0
	.amdhsa_kernel _ZN7rocprim17ROCPRIM_400000_NS6detail17trampoline_kernelINS0_14default_configENS1_25partition_config_selectorILNS1_17partition_subalgoE5EjNS0_10empty_typeEbEEZZNS1_14partition_implILS5_5ELb0ES3_mN6thrust23THRUST_200600_302600_NS6detail15normal_iteratorINSA_10device_ptrIjEEEEPS6_NSA_18transform_iteratorINSB_9not_fun_tI7is_trueIjEEENSC_INSD_IbEEEENSA_11use_defaultESO_EENS0_5tupleIJSF_S6_EEENSQ_IJSG_SG_EEES6_PlJS6_EEE10hipError_tPvRmT3_T4_T5_T6_T7_T9_mT8_P12ihipStream_tbDpT10_ENKUlT_T0_E_clISt17integral_constantIbLb1EES1D_EEDaS18_S19_EUlS18_E_NS1_11comp_targetILNS1_3genE4ELNS1_11target_archE910ELNS1_3gpuE8ELNS1_3repE0EEENS1_30default_config_static_selectorELNS0_4arch9wavefront6targetE0EEEvT1_
		.amdhsa_group_segment_fixed_size 0
		.amdhsa_private_segment_fixed_size 0
		.amdhsa_kernarg_size 136
		.amdhsa_user_sgpr_count 2
		.amdhsa_user_sgpr_dispatch_ptr 0
		.amdhsa_user_sgpr_queue_ptr 0
		.amdhsa_user_sgpr_kernarg_segment_ptr 1
		.amdhsa_user_sgpr_dispatch_id 0
		.amdhsa_user_sgpr_private_segment_size 0
		.amdhsa_wavefront_size32 1
		.amdhsa_uses_dynamic_stack 0
		.amdhsa_enable_private_segment 0
		.amdhsa_system_sgpr_workgroup_id_x 1
		.amdhsa_system_sgpr_workgroup_id_y 0
		.amdhsa_system_sgpr_workgroup_id_z 0
		.amdhsa_system_sgpr_workgroup_info 0
		.amdhsa_system_vgpr_workitem_id 0
		.amdhsa_next_free_vgpr 1
		.amdhsa_next_free_sgpr 1
		.amdhsa_reserve_vcc 0
		.amdhsa_float_round_mode_32 0
		.amdhsa_float_round_mode_16_64 0
		.amdhsa_float_denorm_mode_32 3
		.amdhsa_float_denorm_mode_16_64 3
		.amdhsa_fp16_overflow 0
		.amdhsa_workgroup_processor_mode 1
		.amdhsa_memory_ordered 1
		.amdhsa_forward_progress 1
		.amdhsa_inst_pref_size 0
		.amdhsa_round_robin_scheduling 0
		.amdhsa_exception_fp_ieee_invalid_op 0
		.amdhsa_exception_fp_denorm_src 0
		.amdhsa_exception_fp_ieee_div_zero 0
		.amdhsa_exception_fp_ieee_overflow 0
		.amdhsa_exception_fp_ieee_underflow 0
		.amdhsa_exception_fp_ieee_inexact 0
		.amdhsa_exception_int_div_zero 0
	.end_amdhsa_kernel
	.section	.text._ZN7rocprim17ROCPRIM_400000_NS6detail17trampoline_kernelINS0_14default_configENS1_25partition_config_selectorILNS1_17partition_subalgoE5EjNS0_10empty_typeEbEEZZNS1_14partition_implILS5_5ELb0ES3_mN6thrust23THRUST_200600_302600_NS6detail15normal_iteratorINSA_10device_ptrIjEEEEPS6_NSA_18transform_iteratorINSB_9not_fun_tI7is_trueIjEEENSC_INSD_IbEEEENSA_11use_defaultESO_EENS0_5tupleIJSF_S6_EEENSQ_IJSG_SG_EEES6_PlJS6_EEE10hipError_tPvRmT3_T4_T5_T6_T7_T9_mT8_P12ihipStream_tbDpT10_ENKUlT_T0_E_clISt17integral_constantIbLb1EES1D_EEDaS18_S19_EUlS18_E_NS1_11comp_targetILNS1_3genE4ELNS1_11target_archE910ELNS1_3gpuE8ELNS1_3repE0EEENS1_30default_config_static_selectorELNS0_4arch9wavefront6targetE0EEEvT1_,"axG",@progbits,_ZN7rocprim17ROCPRIM_400000_NS6detail17trampoline_kernelINS0_14default_configENS1_25partition_config_selectorILNS1_17partition_subalgoE5EjNS0_10empty_typeEbEEZZNS1_14partition_implILS5_5ELb0ES3_mN6thrust23THRUST_200600_302600_NS6detail15normal_iteratorINSA_10device_ptrIjEEEEPS6_NSA_18transform_iteratorINSB_9not_fun_tI7is_trueIjEEENSC_INSD_IbEEEENSA_11use_defaultESO_EENS0_5tupleIJSF_S6_EEENSQ_IJSG_SG_EEES6_PlJS6_EEE10hipError_tPvRmT3_T4_T5_T6_T7_T9_mT8_P12ihipStream_tbDpT10_ENKUlT_T0_E_clISt17integral_constantIbLb1EES1D_EEDaS18_S19_EUlS18_E_NS1_11comp_targetILNS1_3genE4ELNS1_11target_archE910ELNS1_3gpuE8ELNS1_3repE0EEENS1_30default_config_static_selectorELNS0_4arch9wavefront6targetE0EEEvT1_,comdat
.Lfunc_end2439:
	.size	_ZN7rocprim17ROCPRIM_400000_NS6detail17trampoline_kernelINS0_14default_configENS1_25partition_config_selectorILNS1_17partition_subalgoE5EjNS0_10empty_typeEbEEZZNS1_14partition_implILS5_5ELb0ES3_mN6thrust23THRUST_200600_302600_NS6detail15normal_iteratorINSA_10device_ptrIjEEEEPS6_NSA_18transform_iteratorINSB_9not_fun_tI7is_trueIjEEENSC_INSD_IbEEEENSA_11use_defaultESO_EENS0_5tupleIJSF_S6_EEENSQ_IJSG_SG_EEES6_PlJS6_EEE10hipError_tPvRmT3_T4_T5_T6_T7_T9_mT8_P12ihipStream_tbDpT10_ENKUlT_T0_E_clISt17integral_constantIbLb1EES1D_EEDaS18_S19_EUlS18_E_NS1_11comp_targetILNS1_3genE4ELNS1_11target_archE910ELNS1_3gpuE8ELNS1_3repE0EEENS1_30default_config_static_selectorELNS0_4arch9wavefront6targetE0EEEvT1_, .Lfunc_end2439-_ZN7rocprim17ROCPRIM_400000_NS6detail17trampoline_kernelINS0_14default_configENS1_25partition_config_selectorILNS1_17partition_subalgoE5EjNS0_10empty_typeEbEEZZNS1_14partition_implILS5_5ELb0ES3_mN6thrust23THRUST_200600_302600_NS6detail15normal_iteratorINSA_10device_ptrIjEEEEPS6_NSA_18transform_iteratorINSB_9not_fun_tI7is_trueIjEEENSC_INSD_IbEEEENSA_11use_defaultESO_EENS0_5tupleIJSF_S6_EEENSQ_IJSG_SG_EEES6_PlJS6_EEE10hipError_tPvRmT3_T4_T5_T6_T7_T9_mT8_P12ihipStream_tbDpT10_ENKUlT_T0_E_clISt17integral_constantIbLb1EES1D_EEDaS18_S19_EUlS18_E_NS1_11comp_targetILNS1_3genE4ELNS1_11target_archE910ELNS1_3gpuE8ELNS1_3repE0EEENS1_30default_config_static_selectorELNS0_4arch9wavefront6targetE0EEEvT1_
                                        ; -- End function
	.set _ZN7rocprim17ROCPRIM_400000_NS6detail17trampoline_kernelINS0_14default_configENS1_25partition_config_selectorILNS1_17partition_subalgoE5EjNS0_10empty_typeEbEEZZNS1_14partition_implILS5_5ELb0ES3_mN6thrust23THRUST_200600_302600_NS6detail15normal_iteratorINSA_10device_ptrIjEEEEPS6_NSA_18transform_iteratorINSB_9not_fun_tI7is_trueIjEEENSC_INSD_IbEEEENSA_11use_defaultESO_EENS0_5tupleIJSF_S6_EEENSQ_IJSG_SG_EEES6_PlJS6_EEE10hipError_tPvRmT3_T4_T5_T6_T7_T9_mT8_P12ihipStream_tbDpT10_ENKUlT_T0_E_clISt17integral_constantIbLb1EES1D_EEDaS18_S19_EUlS18_E_NS1_11comp_targetILNS1_3genE4ELNS1_11target_archE910ELNS1_3gpuE8ELNS1_3repE0EEENS1_30default_config_static_selectorELNS0_4arch9wavefront6targetE0EEEvT1_.num_vgpr, 0
	.set _ZN7rocprim17ROCPRIM_400000_NS6detail17trampoline_kernelINS0_14default_configENS1_25partition_config_selectorILNS1_17partition_subalgoE5EjNS0_10empty_typeEbEEZZNS1_14partition_implILS5_5ELb0ES3_mN6thrust23THRUST_200600_302600_NS6detail15normal_iteratorINSA_10device_ptrIjEEEEPS6_NSA_18transform_iteratorINSB_9not_fun_tI7is_trueIjEEENSC_INSD_IbEEEENSA_11use_defaultESO_EENS0_5tupleIJSF_S6_EEENSQ_IJSG_SG_EEES6_PlJS6_EEE10hipError_tPvRmT3_T4_T5_T6_T7_T9_mT8_P12ihipStream_tbDpT10_ENKUlT_T0_E_clISt17integral_constantIbLb1EES1D_EEDaS18_S19_EUlS18_E_NS1_11comp_targetILNS1_3genE4ELNS1_11target_archE910ELNS1_3gpuE8ELNS1_3repE0EEENS1_30default_config_static_selectorELNS0_4arch9wavefront6targetE0EEEvT1_.num_agpr, 0
	.set _ZN7rocprim17ROCPRIM_400000_NS6detail17trampoline_kernelINS0_14default_configENS1_25partition_config_selectorILNS1_17partition_subalgoE5EjNS0_10empty_typeEbEEZZNS1_14partition_implILS5_5ELb0ES3_mN6thrust23THRUST_200600_302600_NS6detail15normal_iteratorINSA_10device_ptrIjEEEEPS6_NSA_18transform_iteratorINSB_9not_fun_tI7is_trueIjEEENSC_INSD_IbEEEENSA_11use_defaultESO_EENS0_5tupleIJSF_S6_EEENSQ_IJSG_SG_EEES6_PlJS6_EEE10hipError_tPvRmT3_T4_T5_T6_T7_T9_mT8_P12ihipStream_tbDpT10_ENKUlT_T0_E_clISt17integral_constantIbLb1EES1D_EEDaS18_S19_EUlS18_E_NS1_11comp_targetILNS1_3genE4ELNS1_11target_archE910ELNS1_3gpuE8ELNS1_3repE0EEENS1_30default_config_static_selectorELNS0_4arch9wavefront6targetE0EEEvT1_.numbered_sgpr, 0
	.set _ZN7rocprim17ROCPRIM_400000_NS6detail17trampoline_kernelINS0_14default_configENS1_25partition_config_selectorILNS1_17partition_subalgoE5EjNS0_10empty_typeEbEEZZNS1_14partition_implILS5_5ELb0ES3_mN6thrust23THRUST_200600_302600_NS6detail15normal_iteratorINSA_10device_ptrIjEEEEPS6_NSA_18transform_iteratorINSB_9not_fun_tI7is_trueIjEEENSC_INSD_IbEEEENSA_11use_defaultESO_EENS0_5tupleIJSF_S6_EEENSQ_IJSG_SG_EEES6_PlJS6_EEE10hipError_tPvRmT3_T4_T5_T6_T7_T9_mT8_P12ihipStream_tbDpT10_ENKUlT_T0_E_clISt17integral_constantIbLb1EES1D_EEDaS18_S19_EUlS18_E_NS1_11comp_targetILNS1_3genE4ELNS1_11target_archE910ELNS1_3gpuE8ELNS1_3repE0EEENS1_30default_config_static_selectorELNS0_4arch9wavefront6targetE0EEEvT1_.num_named_barrier, 0
	.set _ZN7rocprim17ROCPRIM_400000_NS6detail17trampoline_kernelINS0_14default_configENS1_25partition_config_selectorILNS1_17partition_subalgoE5EjNS0_10empty_typeEbEEZZNS1_14partition_implILS5_5ELb0ES3_mN6thrust23THRUST_200600_302600_NS6detail15normal_iteratorINSA_10device_ptrIjEEEEPS6_NSA_18transform_iteratorINSB_9not_fun_tI7is_trueIjEEENSC_INSD_IbEEEENSA_11use_defaultESO_EENS0_5tupleIJSF_S6_EEENSQ_IJSG_SG_EEES6_PlJS6_EEE10hipError_tPvRmT3_T4_T5_T6_T7_T9_mT8_P12ihipStream_tbDpT10_ENKUlT_T0_E_clISt17integral_constantIbLb1EES1D_EEDaS18_S19_EUlS18_E_NS1_11comp_targetILNS1_3genE4ELNS1_11target_archE910ELNS1_3gpuE8ELNS1_3repE0EEENS1_30default_config_static_selectorELNS0_4arch9wavefront6targetE0EEEvT1_.private_seg_size, 0
	.set _ZN7rocprim17ROCPRIM_400000_NS6detail17trampoline_kernelINS0_14default_configENS1_25partition_config_selectorILNS1_17partition_subalgoE5EjNS0_10empty_typeEbEEZZNS1_14partition_implILS5_5ELb0ES3_mN6thrust23THRUST_200600_302600_NS6detail15normal_iteratorINSA_10device_ptrIjEEEEPS6_NSA_18transform_iteratorINSB_9not_fun_tI7is_trueIjEEENSC_INSD_IbEEEENSA_11use_defaultESO_EENS0_5tupleIJSF_S6_EEENSQ_IJSG_SG_EEES6_PlJS6_EEE10hipError_tPvRmT3_T4_T5_T6_T7_T9_mT8_P12ihipStream_tbDpT10_ENKUlT_T0_E_clISt17integral_constantIbLb1EES1D_EEDaS18_S19_EUlS18_E_NS1_11comp_targetILNS1_3genE4ELNS1_11target_archE910ELNS1_3gpuE8ELNS1_3repE0EEENS1_30default_config_static_selectorELNS0_4arch9wavefront6targetE0EEEvT1_.uses_vcc, 0
	.set _ZN7rocprim17ROCPRIM_400000_NS6detail17trampoline_kernelINS0_14default_configENS1_25partition_config_selectorILNS1_17partition_subalgoE5EjNS0_10empty_typeEbEEZZNS1_14partition_implILS5_5ELb0ES3_mN6thrust23THRUST_200600_302600_NS6detail15normal_iteratorINSA_10device_ptrIjEEEEPS6_NSA_18transform_iteratorINSB_9not_fun_tI7is_trueIjEEENSC_INSD_IbEEEENSA_11use_defaultESO_EENS0_5tupleIJSF_S6_EEENSQ_IJSG_SG_EEES6_PlJS6_EEE10hipError_tPvRmT3_T4_T5_T6_T7_T9_mT8_P12ihipStream_tbDpT10_ENKUlT_T0_E_clISt17integral_constantIbLb1EES1D_EEDaS18_S19_EUlS18_E_NS1_11comp_targetILNS1_3genE4ELNS1_11target_archE910ELNS1_3gpuE8ELNS1_3repE0EEENS1_30default_config_static_selectorELNS0_4arch9wavefront6targetE0EEEvT1_.uses_flat_scratch, 0
	.set _ZN7rocprim17ROCPRIM_400000_NS6detail17trampoline_kernelINS0_14default_configENS1_25partition_config_selectorILNS1_17partition_subalgoE5EjNS0_10empty_typeEbEEZZNS1_14partition_implILS5_5ELb0ES3_mN6thrust23THRUST_200600_302600_NS6detail15normal_iteratorINSA_10device_ptrIjEEEEPS6_NSA_18transform_iteratorINSB_9not_fun_tI7is_trueIjEEENSC_INSD_IbEEEENSA_11use_defaultESO_EENS0_5tupleIJSF_S6_EEENSQ_IJSG_SG_EEES6_PlJS6_EEE10hipError_tPvRmT3_T4_T5_T6_T7_T9_mT8_P12ihipStream_tbDpT10_ENKUlT_T0_E_clISt17integral_constantIbLb1EES1D_EEDaS18_S19_EUlS18_E_NS1_11comp_targetILNS1_3genE4ELNS1_11target_archE910ELNS1_3gpuE8ELNS1_3repE0EEENS1_30default_config_static_selectorELNS0_4arch9wavefront6targetE0EEEvT1_.has_dyn_sized_stack, 0
	.set _ZN7rocprim17ROCPRIM_400000_NS6detail17trampoline_kernelINS0_14default_configENS1_25partition_config_selectorILNS1_17partition_subalgoE5EjNS0_10empty_typeEbEEZZNS1_14partition_implILS5_5ELb0ES3_mN6thrust23THRUST_200600_302600_NS6detail15normal_iteratorINSA_10device_ptrIjEEEEPS6_NSA_18transform_iteratorINSB_9not_fun_tI7is_trueIjEEENSC_INSD_IbEEEENSA_11use_defaultESO_EENS0_5tupleIJSF_S6_EEENSQ_IJSG_SG_EEES6_PlJS6_EEE10hipError_tPvRmT3_T4_T5_T6_T7_T9_mT8_P12ihipStream_tbDpT10_ENKUlT_T0_E_clISt17integral_constantIbLb1EES1D_EEDaS18_S19_EUlS18_E_NS1_11comp_targetILNS1_3genE4ELNS1_11target_archE910ELNS1_3gpuE8ELNS1_3repE0EEENS1_30default_config_static_selectorELNS0_4arch9wavefront6targetE0EEEvT1_.has_recursion, 0
	.set _ZN7rocprim17ROCPRIM_400000_NS6detail17trampoline_kernelINS0_14default_configENS1_25partition_config_selectorILNS1_17partition_subalgoE5EjNS0_10empty_typeEbEEZZNS1_14partition_implILS5_5ELb0ES3_mN6thrust23THRUST_200600_302600_NS6detail15normal_iteratorINSA_10device_ptrIjEEEEPS6_NSA_18transform_iteratorINSB_9not_fun_tI7is_trueIjEEENSC_INSD_IbEEEENSA_11use_defaultESO_EENS0_5tupleIJSF_S6_EEENSQ_IJSG_SG_EEES6_PlJS6_EEE10hipError_tPvRmT3_T4_T5_T6_T7_T9_mT8_P12ihipStream_tbDpT10_ENKUlT_T0_E_clISt17integral_constantIbLb1EES1D_EEDaS18_S19_EUlS18_E_NS1_11comp_targetILNS1_3genE4ELNS1_11target_archE910ELNS1_3gpuE8ELNS1_3repE0EEENS1_30default_config_static_selectorELNS0_4arch9wavefront6targetE0EEEvT1_.has_indirect_call, 0
	.section	.AMDGPU.csdata,"",@progbits
; Kernel info:
; codeLenInByte = 0
; TotalNumSgprs: 0
; NumVgprs: 0
; ScratchSize: 0
; MemoryBound: 0
; FloatMode: 240
; IeeeMode: 1
; LDSByteSize: 0 bytes/workgroup (compile time only)
; SGPRBlocks: 0
; VGPRBlocks: 0
; NumSGPRsForWavesPerEU: 1
; NumVGPRsForWavesPerEU: 1
; Occupancy: 16
; WaveLimiterHint : 0
; COMPUTE_PGM_RSRC2:SCRATCH_EN: 0
; COMPUTE_PGM_RSRC2:USER_SGPR: 2
; COMPUTE_PGM_RSRC2:TRAP_HANDLER: 0
; COMPUTE_PGM_RSRC2:TGID_X_EN: 1
; COMPUTE_PGM_RSRC2:TGID_Y_EN: 0
; COMPUTE_PGM_RSRC2:TGID_Z_EN: 0
; COMPUTE_PGM_RSRC2:TIDIG_COMP_CNT: 0
	.section	.text._ZN7rocprim17ROCPRIM_400000_NS6detail17trampoline_kernelINS0_14default_configENS1_25partition_config_selectorILNS1_17partition_subalgoE5EjNS0_10empty_typeEbEEZZNS1_14partition_implILS5_5ELb0ES3_mN6thrust23THRUST_200600_302600_NS6detail15normal_iteratorINSA_10device_ptrIjEEEEPS6_NSA_18transform_iteratorINSB_9not_fun_tI7is_trueIjEEENSC_INSD_IbEEEENSA_11use_defaultESO_EENS0_5tupleIJSF_S6_EEENSQ_IJSG_SG_EEES6_PlJS6_EEE10hipError_tPvRmT3_T4_T5_T6_T7_T9_mT8_P12ihipStream_tbDpT10_ENKUlT_T0_E_clISt17integral_constantIbLb1EES1D_EEDaS18_S19_EUlS18_E_NS1_11comp_targetILNS1_3genE3ELNS1_11target_archE908ELNS1_3gpuE7ELNS1_3repE0EEENS1_30default_config_static_selectorELNS0_4arch9wavefront6targetE0EEEvT1_,"axG",@progbits,_ZN7rocprim17ROCPRIM_400000_NS6detail17trampoline_kernelINS0_14default_configENS1_25partition_config_selectorILNS1_17partition_subalgoE5EjNS0_10empty_typeEbEEZZNS1_14partition_implILS5_5ELb0ES3_mN6thrust23THRUST_200600_302600_NS6detail15normal_iteratorINSA_10device_ptrIjEEEEPS6_NSA_18transform_iteratorINSB_9not_fun_tI7is_trueIjEEENSC_INSD_IbEEEENSA_11use_defaultESO_EENS0_5tupleIJSF_S6_EEENSQ_IJSG_SG_EEES6_PlJS6_EEE10hipError_tPvRmT3_T4_T5_T6_T7_T9_mT8_P12ihipStream_tbDpT10_ENKUlT_T0_E_clISt17integral_constantIbLb1EES1D_EEDaS18_S19_EUlS18_E_NS1_11comp_targetILNS1_3genE3ELNS1_11target_archE908ELNS1_3gpuE7ELNS1_3repE0EEENS1_30default_config_static_selectorELNS0_4arch9wavefront6targetE0EEEvT1_,comdat
	.protected	_ZN7rocprim17ROCPRIM_400000_NS6detail17trampoline_kernelINS0_14default_configENS1_25partition_config_selectorILNS1_17partition_subalgoE5EjNS0_10empty_typeEbEEZZNS1_14partition_implILS5_5ELb0ES3_mN6thrust23THRUST_200600_302600_NS6detail15normal_iteratorINSA_10device_ptrIjEEEEPS6_NSA_18transform_iteratorINSB_9not_fun_tI7is_trueIjEEENSC_INSD_IbEEEENSA_11use_defaultESO_EENS0_5tupleIJSF_S6_EEENSQ_IJSG_SG_EEES6_PlJS6_EEE10hipError_tPvRmT3_T4_T5_T6_T7_T9_mT8_P12ihipStream_tbDpT10_ENKUlT_T0_E_clISt17integral_constantIbLb1EES1D_EEDaS18_S19_EUlS18_E_NS1_11comp_targetILNS1_3genE3ELNS1_11target_archE908ELNS1_3gpuE7ELNS1_3repE0EEENS1_30default_config_static_selectorELNS0_4arch9wavefront6targetE0EEEvT1_ ; -- Begin function _ZN7rocprim17ROCPRIM_400000_NS6detail17trampoline_kernelINS0_14default_configENS1_25partition_config_selectorILNS1_17partition_subalgoE5EjNS0_10empty_typeEbEEZZNS1_14partition_implILS5_5ELb0ES3_mN6thrust23THRUST_200600_302600_NS6detail15normal_iteratorINSA_10device_ptrIjEEEEPS6_NSA_18transform_iteratorINSB_9not_fun_tI7is_trueIjEEENSC_INSD_IbEEEENSA_11use_defaultESO_EENS0_5tupleIJSF_S6_EEENSQ_IJSG_SG_EEES6_PlJS6_EEE10hipError_tPvRmT3_T4_T5_T6_T7_T9_mT8_P12ihipStream_tbDpT10_ENKUlT_T0_E_clISt17integral_constantIbLb1EES1D_EEDaS18_S19_EUlS18_E_NS1_11comp_targetILNS1_3genE3ELNS1_11target_archE908ELNS1_3gpuE7ELNS1_3repE0EEENS1_30default_config_static_selectorELNS0_4arch9wavefront6targetE0EEEvT1_
	.globl	_ZN7rocprim17ROCPRIM_400000_NS6detail17trampoline_kernelINS0_14default_configENS1_25partition_config_selectorILNS1_17partition_subalgoE5EjNS0_10empty_typeEbEEZZNS1_14partition_implILS5_5ELb0ES3_mN6thrust23THRUST_200600_302600_NS6detail15normal_iteratorINSA_10device_ptrIjEEEEPS6_NSA_18transform_iteratorINSB_9not_fun_tI7is_trueIjEEENSC_INSD_IbEEEENSA_11use_defaultESO_EENS0_5tupleIJSF_S6_EEENSQ_IJSG_SG_EEES6_PlJS6_EEE10hipError_tPvRmT3_T4_T5_T6_T7_T9_mT8_P12ihipStream_tbDpT10_ENKUlT_T0_E_clISt17integral_constantIbLb1EES1D_EEDaS18_S19_EUlS18_E_NS1_11comp_targetILNS1_3genE3ELNS1_11target_archE908ELNS1_3gpuE7ELNS1_3repE0EEENS1_30default_config_static_selectorELNS0_4arch9wavefront6targetE0EEEvT1_
	.p2align	8
	.type	_ZN7rocprim17ROCPRIM_400000_NS6detail17trampoline_kernelINS0_14default_configENS1_25partition_config_selectorILNS1_17partition_subalgoE5EjNS0_10empty_typeEbEEZZNS1_14partition_implILS5_5ELb0ES3_mN6thrust23THRUST_200600_302600_NS6detail15normal_iteratorINSA_10device_ptrIjEEEEPS6_NSA_18transform_iteratorINSB_9not_fun_tI7is_trueIjEEENSC_INSD_IbEEEENSA_11use_defaultESO_EENS0_5tupleIJSF_S6_EEENSQ_IJSG_SG_EEES6_PlJS6_EEE10hipError_tPvRmT3_T4_T5_T6_T7_T9_mT8_P12ihipStream_tbDpT10_ENKUlT_T0_E_clISt17integral_constantIbLb1EES1D_EEDaS18_S19_EUlS18_E_NS1_11comp_targetILNS1_3genE3ELNS1_11target_archE908ELNS1_3gpuE7ELNS1_3repE0EEENS1_30default_config_static_selectorELNS0_4arch9wavefront6targetE0EEEvT1_,@function
_ZN7rocprim17ROCPRIM_400000_NS6detail17trampoline_kernelINS0_14default_configENS1_25partition_config_selectorILNS1_17partition_subalgoE5EjNS0_10empty_typeEbEEZZNS1_14partition_implILS5_5ELb0ES3_mN6thrust23THRUST_200600_302600_NS6detail15normal_iteratorINSA_10device_ptrIjEEEEPS6_NSA_18transform_iteratorINSB_9not_fun_tI7is_trueIjEEENSC_INSD_IbEEEENSA_11use_defaultESO_EENS0_5tupleIJSF_S6_EEENSQ_IJSG_SG_EEES6_PlJS6_EEE10hipError_tPvRmT3_T4_T5_T6_T7_T9_mT8_P12ihipStream_tbDpT10_ENKUlT_T0_E_clISt17integral_constantIbLb1EES1D_EEDaS18_S19_EUlS18_E_NS1_11comp_targetILNS1_3genE3ELNS1_11target_archE908ELNS1_3gpuE7ELNS1_3repE0EEENS1_30default_config_static_selectorELNS0_4arch9wavefront6targetE0EEEvT1_: ; @_ZN7rocprim17ROCPRIM_400000_NS6detail17trampoline_kernelINS0_14default_configENS1_25partition_config_selectorILNS1_17partition_subalgoE5EjNS0_10empty_typeEbEEZZNS1_14partition_implILS5_5ELb0ES3_mN6thrust23THRUST_200600_302600_NS6detail15normal_iteratorINSA_10device_ptrIjEEEEPS6_NSA_18transform_iteratorINSB_9not_fun_tI7is_trueIjEEENSC_INSD_IbEEEENSA_11use_defaultESO_EENS0_5tupleIJSF_S6_EEENSQ_IJSG_SG_EEES6_PlJS6_EEE10hipError_tPvRmT3_T4_T5_T6_T7_T9_mT8_P12ihipStream_tbDpT10_ENKUlT_T0_E_clISt17integral_constantIbLb1EES1D_EEDaS18_S19_EUlS18_E_NS1_11comp_targetILNS1_3genE3ELNS1_11target_archE908ELNS1_3gpuE7ELNS1_3repE0EEENS1_30default_config_static_selectorELNS0_4arch9wavefront6targetE0EEEvT1_
; %bb.0:
	.section	.rodata,"a",@progbits
	.p2align	6, 0x0
	.amdhsa_kernel _ZN7rocprim17ROCPRIM_400000_NS6detail17trampoline_kernelINS0_14default_configENS1_25partition_config_selectorILNS1_17partition_subalgoE5EjNS0_10empty_typeEbEEZZNS1_14partition_implILS5_5ELb0ES3_mN6thrust23THRUST_200600_302600_NS6detail15normal_iteratorINSA_10device_ptrIjEEEEPS6_NSA_18transform_iteratorINSB_9not_fun_tI7is_trueIjEEENSC_INSD_IbEEEENSA_11use_defaultESO_EENS0_5tupleIJSF_S6_EEENSQ_IJSG_SG_EEES6_PlJS6_EEE10hipError_tPvRmT3_T4_T5_T6_T7_T9_mT8_P12ihipStream_tbDpT10_ENKUlT_T0_E_clISt17integral_constantIbLb1EES1D_EEDaS18_S19_EUlS18_E_NS1_11comp_targetILNS1_3genE3ELNS1_11target_archE908ELNS1_3gpuE7ELNS1_3repE0EEENS1_30default_config_static_selectorELNS0_4arch9wavefront6targetE0EEEvT1_
		.amdhsa_group_segment_fixed_size 0
		.amdhsa_private_segment_fixed_size 0
		.amdhsa_kernarg_size 136
		.amdhsa_user_sgpr_count 2
		.amdhsa_user_sgpr_dispatch_ptr 0
		.amdhsa_user_sgpr_queue_ptr 0
		.amdhsa_user_sgpr_kernarg_segment_ptr 1
		.amdhsa_user_sgpr_dispatch_id 0
		.amdhsa_user_sgpr_private_segment_size 0
		.amdhsa_wavefront_size32 1
		.amdhsa_uses_dynamic_stack 0
		.amdhsa_enable_private_segment 0
		.amdhsa_system_sgpr_workgroup_id_x 1
		.amdhsa_system_sgpr_workgroup_id_y 0
		.amdhsa_system_sgpr_workgroup_id_z 0
		.amdhsa_system_sgpr_workgroup_info 0
		.amdhsa_system_vgpr_workitem_id 0
		.amdhsa_next_free_vgpr 1
		.amdhsa_next_free_sgpr 1
		.amdhsa_reserve_vcc 0
		.amdhsa_float_round_mode_32 0
		.amdhsa_float_round_mode_16_64 0
		.amdhsa_float_denorm_mode_32 3
		.amdhsa_float_denorm_mode_16_64 3
		.amdhsa_fp16_overflow 0
		.amdhsa_workgroup_processor_mode 1
		.amdhsa_memory_ordered 1
		.amdhsa_forward_progress 1
		.amdhsa_inst_pref_size 0
		.amdhsa_round_robin_scheduling 0
		.amdhsa_exception_fp_ieee_invalid_op 0
		.amdhsa_exception_fp_denorm_src 0
		.amdhsa_exception_fp_ieee_div_zero 0
		.amdhsa_exception_fp_ieee_overflow 0
		.amdhsa_exception_fp_ieee_underflow 0
		.amdhsa_exception_fp_ieee_inexact 0
		.amdhsa_exception_int_div_zero 0
	.end_amdhsa_kernel
	.section	.text._ZN7rocprim17ROCPRIM_400000_NS6detail17trampoline_kernelINS0_14default_configENS1_25partition_config_selectorILNS1_17partition_subalgoE5EjNS0_10empty_typeEbEEZZNS1_14partition_implILS5_5ELb0ES3_mN6thrust23THRUST_200600_302600_NS6detail15normal_iteratorINSA_10device_ptrIjEEEEPS6_NSA_18transform_iteratorINSB_9not_fun_tI7is_trueIjEEENSC_INSD_IbEEEENSA_11use_defaultESO_EENS0_5tupleIJSF_S6_EEENSQ_IJSG_SG_EEES6_PlJS6_EEE10hipError_tPvRmT3_T4_T5_T6_T7_T9_mT8_P12ihipStream_tbDpT10_ENKUlT_T0_E_clISt17integral_constantIbLb1EES1D_EEDaS18_S19_EUlS18_E_NS1_11comp_targetILNS1_3genE3ELNS1_11target_archE908ELNS1_3gpuE7ELNS1_3repE0EEENS1_30default_config_static_selectorELNS0_4arch9wavefront6targetE0EEEvT1_,"axG",@progbits,_ZN7rocprim17ROCPRIM_400000_NS6detail17trampoline_kernelINS0_14default_configENS1_25partition_config_selectorILNS1_17partition_subalgoE5EjNS0_10empty_typeEbEEZZNS1_14partition_implILS5_5ELb0ES3_mN6thrust23THRUST_200600_302600_NS6detail15normal_iteratorINSA_10device_ptrIjEEEEPS6_NSA_18transform_iteratorINSB_9not_fun_tI7is_trueIjEEENSC_INSD_IbEEEENSA_11use_defaultESO_EENS0_5tupleIJSF_S6_EEENSQ_IJSG_SG_EEES6_PlJS6_EEE10hipError_tPvRmT3_T4_T5_T6_T7_T9_mT8_P12ihipStream_tbDpT10_ENKUlT_T0_E_clISt17integral_constantIbLb1EES1D_EEDaS18_S19_EUlS18_E_NS1_11comp_targetILNS1_3genE3ELNS1_11target_archE908ELNS1_3gpuE7ELNS1_3repE0EEENS1_30default_config_static_selectorELNS0_4arch9wavefront6targetE0EEEvT1_,comdat
.Lfunc_end2440:
	.size	_ZN7rocprim17ROCPRIM_400000_NS6detail17trampoline_kernelINS0_14default_configENS1_25partition_config_selectorILNS1_17partition_subalgoE5EjNS0_10empty_typeEbEEZZNS1_14partition_implILS5_5ELb0ES3_mN6thrust23THRUST_200600_302600_NS6detail15normal_iteratorINSA_10device_ptrIjEEEEPS6_NSA_18transform_iteratorINSB_9not_fun_tI7is_trueIjEEENSC_INSD_IbEEEENSA_11use_defaultESO_EENS0_5tupleIJSF_S6_EEENSQ_IJSG_SG_EEES6_PlJS6_EEE10hipError_tPvRmT3_T4_T5_T6_T7_T9_mT8_P12ihipStream_tbDpT10_ENKUlT_T0_E_clISt17integral_constantIbLb1EES1D_EEDaS18_S19_EUlS18_E_NS1_11comp_targetILNS1_3genE3ELNS1_11target_archE908ELNS1_3gpuE7ELNS1_3repE0EEENS1_30default_config_static_selectorELNS0_4arch9wavefront6targetE0EEEvT1_, .Lfunc_end2440-_ZN7rocprim17ROCPRIM_400000_NS6detail17trampoline_kernelINS0_14default_configENS1_25partition_config_selectorILNS1_17partition_subalgoE5EjNS0_10empty_typeEbEEZZNS1_14partition_implILS5_5ELb0ES3_mN6thrust23THRUST_200600_302600_NS6detail15normal_iteratorINSA_10device_ptrIjEEEEPS6_NSA_18transform_iteratorINSB_9not_fun_tI7is_trueIjEEENSC_INSD_IbEEEENSA_11use_defaultESO_EENS0_5tupleIJSF_S6_EEENSQ_IJSG_SG_EEES6_PlJS6_EEE10hipError_tPvRmT3_T4_T5_T6_T7_T9_mT8_P12ihipStream_tbDpT10_ENKUlT_T0_E_clISt17integral_constantIbLb1EES1D_EEDaS18_S19_EUlS18_E_NS1_11comp_targetILNS1_3genE3ELNS1_11target_archE908ELNS1_3gpuE7ELNS1_3repE0EEENS1_30default_config_static_selectorELNS0_4arch9wavefront6targetE0EEEvT1_
                                        ; -- End function
	.set _ZN7rocprim17ROCPRIM_400000_NS6detail17trampoline_kernelINS0_14default_configENS1_25partition_config_selectorILNS1_17partition_subalgoE5EjNS0_10empty_typeEbEEZZNS1_14partition_implILS5_5ELb0ES3_mN6thrust23THRUST_200600_302600_NS6detail15normal_iteratorINSA_10device_ptrIjEEEEPS6_NSA_18transform_iteratorINSB_9not_fun_tI7is_trueIjEEENSC_INSD_IbEEEENSA_11use_defaultESO_EENS0_5tupleIJSF_S6_EEENSQ_IJSG_SG_EEES6_PlJS6_EEE10hipError_tPvRmT3_T4_T5_T6_T7_T9_mT8_P12ihipStream_tbDpT10_ENKUlT_T0_E_clISt17integral_constantIbLb1EES1D_EEDaS18_S19_EUlS18_E_NS1_11comp_targetILNS1_3genE3ELNS1_11target_archE908ELNS1_3gpuE7ELNS1_3repE0EEENS1_30default_config_static_selectorELNS0_4arch9wavefront6targetE0EEEvT1_.num_vgpr, 0
	.set _ZN7rocprim17ROCPRIM_400000_NS6detail17trampoline_kernelINS0_14default_configENS1_25partition_config_selectorILNS1_17partition_subalgoE5EjNS0_10empty_typeEbEEZZNS1_14partition_implILS5_5ELb0ES3_mN6thrust23THRUST_200600_302600_NS6detail15normal_iteratorINSA_10device_ptrIjEEEEPS6_NSA_18transform_iteratorINSB_9not_fun_tI7is_trueIjEEENSC_INSD_IbEEEENSA_11use_defaultESO_EENS0_5tupleIJSF_S6_EEENSQ_IJSG_SG_EEES6_PlJS6_EEE10hipError_tPvRmT3_T4_T5_T6_T7_T9_mT8_P12ihipStream_tbDpT10_ENKUlT_T0_E_clISt17integral_constantIbLb1EES1D_EEDaS18_S19_EUlS18_E_NS1_11comp_targetILNS1_3genE3ELNS1_11target_archE908ELNS1_3gpuE7ELNS1_3repE0EEENS1_30default_config_static_selectorELNS0_4arch9wavefront6targetE0EEEvT1_.num_agpr, 0
	.set _ZN7rocprim17ROCPRIM_400000_NS6detail17trampoline_kernelINS0_14default_configENS1_25partition_config_selectorILNS1_17partition_subalgoE5EjNS0_10empty_typeEbEEZZNS1_14partition_implILS5_5ELb0ES3_mN6thrust23THRUST_200600_302600_NS6detail15normal_iteratorINSA_10device_ptrIjEEEEPS6_NSA_18transform_iteratorINSB_9not_fun_tI7is_trueIjEEENSC_INSD_IbEEEENSA_11use_defaultESO_EENS0_5tupleIJSF_S6_EEENSQ_IJSG_SG_EEES6_PlJS6_EEE10hipError_tPvRmT3_T4_T5_T6_T7_T9_mT8_P12ihipStream_tbDpT10_ENKUlT_T0_E_clISt17integral_constantIbLb1EES1D_EEDaS18_S19_EUlS18_E_NS1_11comp_targetILNS1_3genE3ELNS1_11target_archE908ELNS1_3gpuE7ELNS1_3repE0EEENS1_30default_config_static_selectorELNS0_4arch9wavefront6targetE0EEEvT1_.numbered_sgpr, 0
	.set _ZN7rocprim17ROCPRIM_400000_NS6detail17trampoline_kernelINS0_14default_configENS1_25partition_config_selectorILNS1_17partition_subalgoE5EjNS0_10empty_typeEbEEZZNS1_14partition_implILS5_5ELb0ES3_mN6thrust23THRUST_200600_302600_NS6detail15normal_iteratorINSA_10device_ptrIjEEEEPS6_NSA_18transform_iteratorINSB_9not_fun_tI7is_trueIjEEENSC_INSD_IbEEEENSA_11use_defaultESO_EENS0_5tupleIJSF_S6_EEENSQ_IJSG_SG_EEES6_PlJS6_EEE10hipError_tPvRmT3_T4_T5_T6_T7_T9_mT8_P12ihipStream_tbDpT10_ENKUlT_T0_E_clISt17integral_constantIbLb1EES1D_EEDaS18_S19_EUlS18_E_NS1_11comp_targetILNS1_3genE3ELNS1_11target_archE908ELNS1_3gpuE7ELNS1_3repE0EEENS1_30default_config_static_selectorELNS0_4arch9wavefront6targetE0EEEvT1_.num_named_barrier, 0
	.set _ZN7rocprim17ROCPRIM_400000_NS6detail17trampoline_kernelINS0_14default_configENS1_25partition_config_selectorILNS1_17partition_subalgoE5EjNS0_10empty_typeEbEEZZNS1_14partition_implILS5_5ELb0ES3_mN6thrust23THRUST_200600_302600_NS6detail15normal_iteratorINSA_10device_ptrIjEEEEPS6_NSA_18transform_iteratorINSB_9not_fun_tI7is_trueIjEEENSC_INSD_IbEEEENSA_11use_defaultESO_EENS0_5tupleIJSF_S6_EEENSQ_IJSG_SG_EEES6_PlJS6_EEE10hipError_tPvRmT3_T4_T5_T6_T7_T9_mT8_P12ihipStream_tbDpT10_ENKUlT_T0_E_clISt17integral_constantIbLb1EES1D_EEDaS18_S19_EUlS18_E_NS1_11comp_targetILNS1_3genE3ELNS1_11target_archE908ELNS1_3gpuE7ELNS1_3repE0EEENS1_30default_config_static_selectorELNS0_4arch9wavefront6targetE0EEEvT1_.private_seg_size, 0
	.set _ZN7rocprim17ROCPRIM_400000_NS6detail17trampoline_kernelINS0_14default_configENS1_25partition_config_selectorILNS1_17partition_subalgoE5EjNS0_10empty_typeEbEEZZNS1_14partition_implILS5_5ELb0ES3_mN6thrust23THRUST_200600_302600_NS6detail15normal_iteratorINSA_10device_ptrIjEEEEPS6_NSA_18transform_iteratorINSB_9not_fun_tI7is_trueIjEEENSC_INSD_IbEEEENSA_11use_defaultESO_EENS0_5tupleIJSF_S6_EEENSQ_IJSG_SG_EEES6_PlJS6_EEE10hipError_tPvRmT3_T4_T5_T6_T7_T9_mT8_P12ihipStream_tbDpT10_ENKUlT_T0_E_clISt17integral_constantIbLb1EES1D_EEDaS18_S19_EUlS18_E_NS1_11comp_targetILNS1_3genE3ELNS1_11target_archE908ELNS1_3gpuE7ELNS1_3repE0EEENS1_30default_config_static_selectorELNS0_4arch9wavefront6targetE0EEEvT1_.uses_vcc, 0
	.set _ZN7rocprim17ROCPRIM_400000_NS6detail17trampoline_kernelINS0_14default_configENS1_25partition_config_selectorILNS1_17partition_subalgoE5EjNS0_10empty_typeEbEEZZNS1_14partition_implILS5_5ELb0ES3_mN6thrust23THRUST_200600_302600_NS6detail15normal_iteratorINSA_10device_ptrIjEEEEPS6_NSA_18transform_iteratorINSB_9not_fun_tI7is_trueIjEEENSC_INSD_IbEEEENSA_11use_defaultESO_EENS0_5tupleIJSF_S6_EEENSQ_IJSG_SG_EEES6_PlJS6_EEE10hipError_tPvRmT3_T4_T5_T6_T7_T9_mT8_P12ihipStream_tbDpT10_ENKUlT_T0_E_clISt17integral_constantIbLb1EES1D_EEDaS18_S19_EUlS18_E_NS1_11comp_targetILNS1_3genE3ELNS1_11target_archE908ELNS1_3gpuE7ELNS1_3repE0EEENS1_30default_config_static_selectorELNS0_4arch9wavefront6targetE0EEEvT1_.uses_flat_scratch, 0
	.set _ZN7rocprim17ROCPRIM_400000_NS6detail17trampoline_kernelINS0_14default_configENS1_25partition_config_selectorILNS1_17partition_subalgoE5EjNS0_10empty_typeEbEEZZNS1_14partition_implILS5_5ELb0ES3_mN6thrust23THRUST_200600_302600_NS6detail15normal_iteratorINSA_10device_ptrIjEEEEPS6_NSA_18transform_iteratorINSB_9not_fun_tI7is_trueIjEEENSC_INSD_IbEEEENSA_11use_defaultESO_EENS0_5tupleIJSF_S6_EEENSQ_IJSG_SG_EEES6_PlJS6_EEE10hipError_tPvRmT3_T4_T5_T6_T7_T9_mT8_P12ihipStream_tbDpT10_ENKUlT_T0_E_clISt17integral_constantIbLb1EES1D_EEDaS18_S19_EUlS18_E_NS1_11comp_targetILNS1_3genE3ELNS1_11target_archE908ELNS1_3gpuE7ELNS1_3repE0EEENS1_30default_config_static_selectorELNS0_4arch9wavefront6targetE0EEEvT1_.has_dyn_sized_stack, 0
	.set _ZN7rocprim17ROCPRIM_400000_NS6detail17trampoline_kernelINS0_14default_configENS1_25partition_config_selectorILNS1_17partition_subalgoE5EjNS0_10empty_typeEbEEZZNS1_14partition_implILS5_5ELb0ES3_mN6thrust23THRUST_200600_302600_NS6detail15normal_iteratorINSA_10device_ptrIjEEEEPS6_NSA_18transform_iteratorINSB_9not_fun_tI7is_trueIjEEENSC_INSD_IbEEEENSA_11use_defaultESO_EENS0_5tupleIJSF_S6_EEENSQ_IJSG_SG_EEES6_PlJS6_EEE10hipError_tPvRmT3_T4_T5_T6_T7_T9_mT8_P12ihipStream_tbDpT10_ENKUlT_T0_E_clISt17integral_constantIbLb1EES1D_EEDaS18_S19_EUlS18_E_NS1_11comp_targetILNS1_3genE3ELNS1_11target_archE908ELNS1_3gpuE7ELNS1_3repE0EEENS1_30default_config_static_selectorELNS0_4arch9wavefront6targetE0EEEvT1_.has_recursion, 0
	.set _ZN7rocprim17ROCPRIM_400000_NS6detail17trampoline_kernelINS0_14default_configENS1_25partition_config_selectorILNS1_17partition_subalgoE5EjNS0_10empty_typeEbEEZZNS1_14partition_implILS5_5ELb0ES3_mN6thrust23THRUST_200600_302600_NS6detail15normal_iteratorINSA_10device_ptrIjEEEEPS6_NSA_18transform_iteratorINSB_9not_fun_tI7is_trueIjEEENSC_INSD_IbEEEENSA_11use_defaultESO_EENS0_5tupleIJSF_S6_EEENSQ_IJSG_SG_EEES6_PlJS6_EEE10hipError_tPvRmT3_T4_T5_T6_T7_T9_mT8_P12ihipStream_tbDpT10_ENKUlT_T0_E_clISt17integral_constantIbLb1EES1D_EEDaS18_S19_EUlS18_E_NS1_11comp_targetILNS1_3genE3ELNS1_11target_archE908ELNS1_3gpuE7ELNS1_3repE0EEENS1_30default_config_static_selectorELNS0_4arch9wavefront6targetE0EEEvT1_.has_indirect_call, 0
	.section	.AMDGPU.csdata,"",@progbits
; Kernel info:
; codeLenInByte = 0
; TotalNumSgprs: 0
; NumVgprs: 0
; ScratchSize: 0
; MemoryBound: 0
; FloatMode: 240
; IeeeMode: 1
; LDSByteSize: 0 bytes/workgroup (compile time only)
; SGPRBlocks: 0
; VGPRBlocks: 0
; NumSGPRsForWavesPerEU: 1
; NumVGPRsForWavesPerEU: 1
; Occupancy: 16
; WaveLimiterHint : 0
; COMPUTE_PGM_RSRC2:SCRATCH_EN: 0
; COMPUTE_PGM_RSRC2:USER_SGPR: 2
; COMPUTE_PGM_RSRC2:TRAP_HANDLER: 0
; COMPUTE_PGM_RSRC2:TGID_X_EN: 1
; COMPUTE_PGM_RSRC2:TGID_Y_EN: 0
; COMPUTE_PGM_RSRC2:TGID_Z_EN: 0
; COMPUTE_PGM_RSRC2:TIDIG_COMP_CNT: 0
	.section	.text._ZN7rocprim17ROCPRIM_400000_NS6detail17trampoline_kernelINS0_14default_configENS1_25partition_config_selectorILNS1_17partition_subalgoE5EjNS0_10empty_typeEbEEZZNS1_14partition_implILS5_5ELb0ES3_mN6thrust23THRUST_200600_302600_NS6detail15normal_iteratorINSA_10device_ptrIjEEEEPS6_NSA_18transform_iteratorINSB_9not_fun_tI7is_trueIjEEENSC_INSD_IbEEEENSA_11use_defaultESO_EENS0_5tupleIJSF_S6_EEENSQ_IJSG_SG_EEES6_PlJS6_EEE10hipError_tPvRmT3_T4_T5_T6_T7_T9_mT8_P12ihipStream_tbDpT10_ENKUlT_T0_E_clISt17integral_constantIbLb1EES1D_EEDaS18_S19_EUlS18_E_NS1_11comp_targetILNS1_3genE2ELNS1_11target_archE906ELNS1_3gpuE6ELNS1_3repE0EEENS1_30default_config_static_selectorELNS0_4arch9wavefront6targetE0EEEvT1_,"axG",@progbits,_ZN7rocprim17ROCPRIM_400000_NS6detail17trampoline_kernelINS0_14default_configENS1_25partition_config_selectorILNS1_17partition_subalgoE5EjNS0_10empty_typeEbEEZZNS1_14partition_implILS5_5ELb0ES3_mN6thrust23THRUST_200600_302600_NS6detail15normal_iteratorINSA_10device_ptrIjEEEEPS6_NSA_18transform_iteratorINSB_9not_fun_tI7is_trueIjEEENSC_INSD_IbEEEENSA_11use_defaultESO_EENS0_5tupleIJSF_S6_EEENSQ_IJSG_SG_EEES6_PlJS6_EEE10hipError_tPvRmT3_T4_T5_T6_T7_T9_mT8_P12ihipStream_tbDpT10_ENKUlT_T0_E_clISt17integral_constantIbLb1EES1D_EEDaS18_S19_EUlS18_E_NS1_11comp_targetILNS1_3genE2ELNS1_11target_archE906ELNS1_3gpuE6ELNS1_3repE0EEENS1_30default_config_static_selectorELNS0_4arch9wavefront6targetE0EEEvT1_,comdat
	.protected	_ZN7rocprim17ROCPRIM_400000_NS6detail17trampoline_kernelINS0_14default_configENS1_25partition_config_selectorILNS1_17partition_subalgoE5EjNS0_10empty_typeEbEEZZNS1_14partition_implILS5_5ELb0ES3_mN6thrust23THRUST_200600_302600_NS6detail15normal_iteratorINSA_10device_ptrIjEEEEPS6_NSA_18transform_iteratorINSB_9not_fun_tI7is_trueIjEEENSC_INSD_IbEEEENSA_11use_defaultESO_EENS0_5tupleIJSF_S6_EEENSQ_IJSG_SG_EEES6_PlJS6_EEE10hipError_tPvRmT3_T4_T5_T6_T7_T9_mT8_P12ihipStream_tbDpT10_ENKUlT_T0_E_clISt17integral_constantIbLb1EES1D_EEDaS18_S19_EUlS18_E_NS1_11comp_targetILNS1_3genE2ELNS1_11target_archE906ELNS1_3gpuE6ELNS1_3repE0EEENS1_30default_config_static_selectorELNS0_4arch9wavefront6targetE0EEEvT1_ ; -- Begin function _ZN7rocprim17ROCPRIM_400000_NS6detail17trampoline_kernelINS0_14default_configENS1_25partition_config_selectorILNS1_17partition_subalgoE5EjNS0_10empty_typeEbEEZZNS1_14partition_implILS5_5ELb0ES3_mN6thrust23THRUST_200600_302600_NS6detail15normal_iteratorINSA_10device_ptrIjEEEEPS6_NSA_18transform_iteratorINSB_9not_fun_tI7is_trueIjEEENSC_INSD_IbEEEENSA_11use_defaultESO_EENS0_5tupleIJSF_S6_EEENSQ_IJSG_SG_EEES6_PlJS6_EEE10hipError_tPvRmT3_T4_T5_T6_T7_T9_mT8_P12ihipStream_tbDpT10_ENKUlT_T0_E_clISt17integral_constantIbLb1EES1D_EEDaS18_S19_EUlS18_E_NS1_11comp_targetILNS1_3genE2ELNS1_11target_archE906ELNS1_3gpuE6ELNS1_3repE0EEENS1_30default_config_static_selectorELNS0_4arch9wavefront6targetE0EEEvT1_
	.globl	_ZN7rocprim17ROCPRIM_400000_NS6detail17trampoline_kernelINS0_14default_configENS1_25partition_config_selectorILNS1_17partition_subalgoE5EjNS0_10empty_typeEbEEZZNS1_14partition_implILS5_5ELb0ES3_mN6thrust23THRUST_200600_302600_NS6detail15normal_iteratorINSA_10device_ptrIjEEEEPS6_NSA_18transform_iteratorINSB_9not_fun_tI7is_trueIjEEENSC_INSD_IbEEEENSA_11use_defaultESO_EENS0_5tupleIJSF_S6_EEENSQ_IJSG_SG_EEES6_PlJS6_EEE10hipError_tPvRmT3_T4_T5_T6_T7_T9_mT8_P12ihipStream_tbDpT10_ENKUlT_T0_E_clISt17integral_constantIbLb1EES1D_EEDaS18_S19_EUlS18_E_NS1_11comp_targetILNS1_3genE2ELNS1_11target_archE906ELNS1_3gpuE6ELNS1_3repE0EEENS1_30default_config_static_selectorELNS0_4arch9wavefront6targetE0EEEvT1_
	.p2align	8
	.type	_ZN7rocprim17ROCPRIM_400000_NS6detail17trampoline_kernelINS0_14default_configENS1_25partition_config_selectorILNS1_17partition_subalgoE5EjNS0_10empty_typeEbEEZZNS1_14partition_implILS5_5ELb0ES3_mN6thrust23THRUST_200600_302600_NS6detail15normal_iteratorINSA_10device_ptrIjEEEEPS6_NSA_18transform_iteratorINSB_9not_fun_tI7is_trueIjEEENSC_INSD_IbEEEENSA_11use_defaultESO_EENS0_5tupleIJSF_S6_EEENSQ_IJSG_SG_EEES6_PlJS6_EEE10hipError_tPvRmT3_T4_T5_T6_T7_T9_mT8_P12ihipStream_tbDpT10_ENKUlT_T0_E_clISt17integral_constantIbLb1EES1D_EEDaS18_S19_EUlS18_E_NS1_11comp_targetILNS1_3genE2ELNS1_11target_archE906ELNS1_3gpuE6ELNS1_3repE0EEENS1_30default_config_static_selectorELNS0_4arch9wavefront6targetE0EEEvT1_,@function
_ZN7rocprim17ROCPRIM_400000_NS6detail17trampoline_kernelINS0_14default_configENS1_25partition_config_selectorILNS1_17partition_subalgoE5EjNS0_10empty_typeEbEEZZNS1_14partition_implILS5_5ELb0ES3_mN6thrust23THRUST_200600_302600_NS6detail15normal_iteratorINSA_10device_ptrIjEEEEPS6_NSA_18transform_iteratorINSB_9not_fun_tI7is_trueIjEEENSC_INSD_IbEEEENSA_11use_defaultESO_EENS0_5tupleIJSF_S6_EEENSQ_IJSG_SG_EEES6_PlJS6_EEE10hipError_tPvRmT3_T4_T5_T6_T7_T9_mT8_P12ihipStream_tbDpT10_ENKUlT_T0_E_clISt17integral_constantIbLb1EES1D_EEDaS18_S19_EUlS18_E_NS1_11comp_targetILNS1_3genE2ELNS1_11target_archE906ELNS1_3gpuE6ELNS1_3repE0EEENS1_30default_config_static_selectorELNS0_4arch9wavefront6targetE0EEEvT1_: ; @_ZN7rocprim17ROCPRIM_400000_NS6detail17trampoline_kernelINS0_14default_configENS1_25partition_config_selectorILNS1_17partition_subalgoE5EjNS0_10empty_typeEbEEZZNS1_14partition_implILS5_5ELb0ES3_mN6thrust23THRUST_200600_302600_NS6detail15normal_iteratorINSA_10device_ptrIjEEEEPS6_NSA_18transform_iteratorINSB_9not_fun_tI7is_trueIjEEENSC_INSD_IbEEEENSA_11use_defaultESO_EENS0_5tupleIJSF_S6_EEENSQ_IJSG_SG_EEES6_PlJS6_EEE10hipError_tPvRmT3_T4_T5_T6_T7_T9_mT8_P12ihipStream_tbDpT10_ENKUlT_T0_E_clISt17integral_constantIbLb1EES1D_EEDaS18_S19_EUlS18_E_NS1_11comp_targetILNS1_3genE2ELNS1_11target_archE906ELNS1_3gpuE6ELNS1_3repE0EEENS1_30default_config_static_selectorELNS0_4arch9wavefront6targetE0EEEvT1_
; %bb.0:
	.section	.rodata,"a",@progbits
	.p2align	6, 0x0
	.amdhsa_kernel _ZN7rocprim17ROCPRIM_400000_NS6detail17trampoline_kernelINS0_14default_configENS1_25partition_config_selectorILNS1_17partition_subalgoE5EjNS0_10empty_typeEbEEZZNS1_14partition_implILS5_5ELb0ES3_mN6thrust23THRUST_200600_302600_NS6detail15normal_iteratorINSA_10device_ptrIjEEEEPS6_NSA_18transform_iteratorINSB_9not_fun_tI7is_trueIjEEENSC_INSD_IbEEEENSA_11use_defaultESO_EENS0_5tupleIJSF_S6_EEENSQ_IJSG_SG_EEES6_PlJS6_EEE10hipError_tPvRmT3_T4_T5_T6_T7_T9_mT8_P12ihipStream_tbDpT10_ENKUlT_T0_E_clISt17integral_constantIbLb1EES1D_EEDaS18_S19_EUlS18_E_NS1_11comp_targetILNS1_3genE2ELNS1_11target_archE906ELNS1_3gpuE6ELNS1_3repE0EEENS1_30default_config_static_selectorELNS0_4arch9wavefront6targetE0EEEvT1_
		.amdhsa_group_segment_fixed_size 0
		.amdhsa_private_segment_fixed_size 0
		.amdhsa_kernarg_size 136
		.amdhsa_user_sgpr_count 2
		.amdhsa_user_sgpr_dispatch_ptr 0
		.amdhsa_user_sgpr_queue_ptr 0
		.amdhsa_user_sgpr_kernarg_segment_ptr 1
		.amdhsa_user_sgpr_dispatch_id 0
		.amdhsa_user_sgpr_private_segment_size 0
		.amdhsa_wavefront_size32 1
		.amdhsa_uses_dynamic_stack 0
		.amdhsa_enable_private_segment 0
		.amdhsa_system_sgpr_workgroup_id_x 1
		.amdhsa_system_sgpr_workgroup_id_y 0
		.amdhsa_system_sgpr_workgroup_id_z 0
		.amdhsa_system_sgpr_workgroup_info 0
		.amdhsa_system_vgpr_workitem_id 0
		.amdhsa_next_free_vgpr 1
		.amdhsa_next_free_sgpr 1
		.amdhsa_reserve_vcc 0
		.amdhsa_float_round_mode_32 0
		.amdhsa_float_round_mode_16_64 0
		.amdhsa_float_denorm_mode_32 3
		.amdhsa_float_denorm_mode_16_64 3
		.amdhsa_fp16_overflow 0
		.amdhsa_workgroup_processor_mode 1
		.amdhsa_memory_ordered 1
		.amdhsa_forward_progress 1
		.amdhsa_inst_pref_size 0
		.amdhsa_round_robin_scheduling 0
		.amdhsa_exception_fp_ieee_invalid_op 0
		.amdhsa_exception_fp_denorm_src 0
		.amdhsa_exception_fp_ieee_div_zero 0
		.amdhsa_exception_fp_ieee_overflow 0
		.amdhsa_exception_fp_ieee_underflow 0
		.amdhsa_exception_fp_ieee_inexact 0
		.amdhsa_exception_int_div_zero 0
	.end_amdhsa_kernel
	.section	.text._ZN7rocprim17ROCPRIM_400000_NS6detail17trampoline_kernelINS0_14default_configENS1_25partition_config_selectorILNS1_17partition_subalgoE5EjNS0_10empty_typeEbEEZZNS1_14partition_implILS5_5ELb0ES3_mN6thrust23THRUST_200600_302600_NS6detail15normal_iteratorINSA_10device_ptrIjEEEEPS6_NSA_18transform_iteratorINSB_9not_fun_tI7is_trueIjEEENSC_INSD_IbEEEENSA_11use_defaultESO_EENS0_5tupleIJSF_S6_EEENSQ_IJSG_SG_EEES6_PlJS6_EEE10hipError_tPvRmT3_T4_T5_T6_T7_T9_mT8_P12ihipStream_tbDpT10_ENKUlT_T0_E_clISt17integral_constantIbLb1EES1D_EEDaS18_S19_EUlS18_E_NS1_11comp_targetILNS1_3genE2ELNS1_11target_archE906ELNS1_3gpuE6ELNS1_3repE0EEENS1_30default_config_static_selectorELNS0_4arch9wavefront6targetE0EEEvT1_,"axG",@progbits,_ZN7rocprim17ROCPRIM_400000_NS6detail17trampoline_kernelINS0_14default_configENS1_25partition_config_selectorILNS1_17partition_subalgoE5EjNS0_10empty_typeEbEEZZNS1_14partition_implILS5_5ELb0ES3_mN6thrust23THRUST_200600_302600_NS6detail15normal_iteratorINSA_10device_ptrIjEEEEPS6_NSA_18transform_iteratorINSB_9not_fun_tI7is_trueIjEEENSC_INSD_IbEEEENSA_11use_defaultESO_EENS0_5tupleIJSF_S6_EEENSQ_IJSG_SG_EEES6_PlJS6_EEE10hipError_tPvRmT3_T4_T5_T6_T7_T9_mT8_P12ihipStream_tbDpT10_ENKUlT_T0_E_clISt17integral_constantIbLb1EES1D_EEDaS18_S19_EUlS18_E_NS1_11comp_targetILNS1_3genE2ELNS1_11target_archE906ELNS1_3gpuE6ELNS1_3repE0EEENS1_30default_config_static_selectorELNS0_4arch9wavefront6targetE0EEEvT1_,comdat
.Lfunc_end2441:
	.size	_ZN7rocprim17ROCPRIM_400000_NS6detail17trampoline_kernelINS0_14default_configENS1_25partition_config_selectorILNS1_17partition_subalgoE5EjNS0_10empty_typeEbEEZZNS1_14partition_implILS5_5ELb0ES3_mN6thrust23THRUST_200600_302600_NS6detail15normal_iteratorINSA_10device_ptrIjEEEEPS6_NSA_18transform_iteratorINSB_9not_fun_tI7is_trueIjEEENSC_INSD_IbEEEENSA_11use_defaultESO_EENS0_5tupleIJSF_S6_EEENSQ_IJSG_SG_EEES6_PlJS6_EEE10hipError_tPvRmT3_T4_T5_T6_T7_T9_mT8_P12ihipStream_tbDpT10_ENKUlT_T0_E_clISt17integral_constantIbLb1EES1D_EEDaS18_S19_EUlS18_E_NS1_11comp_targetILNS1_3genE2ELNS1_11target_archE906ELNS1_3gpuE6ELNS1_3repE0EEENS1_30default_config_static_selectorELNS0_4arch9wavefront6targetE0EEEvT1_, .Lfunc_end2441-_ZN7rocprim17ROCPRIM_400000_NS6detail17trampoline_kernelINS0_14default_configENS1_25partition_config_selectorILNS1_17partition_subalgoE5EjNS0_10empty_typeEbEEZZNS1_14partition_implILS5_5ELb0ES3_mN6thrust23THRUST_200600_302600_NS6detail15normal_iteratorINSA_10device_ptrIjEEEEPS6_NSA_18transform_iteratorINSB_9not_fun_tI7is_trueIjEEENSC_INSD_IbEEEENSA_11use_defaultESO_EENS0_5tupleIJSF_S6_EEENSQ_IJSG_SG_EEES6_PlJS6_EEE10hipError_tPvRmT3_T4_T5_T6_T7_T9_mT8_P12ihipStream_tbDpT10_ENKUlT_T0_E_clISt17integral_constantIbLb1EES1D_EEDaS18_S19_EUlS18_E_NS1_11comp_targetILNS1_3genE2ELNS1_11target_archE906ELNS1_3gpuE6ELNS1_3repE0EEENS1_30default_config_static_selectorELNS0_4arch9wavefront6targetE0EEEvT1_
                                        ; -- End function
	.set _ZN7rocprim17ROCPRIM_400000_NS6detail17trampoline_kernelINS0_14default_configENS1_25partition_config_selectorILNS1_17partition_subalgoE5EjNS0_10empty_typeEbEEZZNS1_14partition_implILS5_5ELb0ES3_mN6thrust23THRUST_200600_302600_NS6detail15normal_iteratorINSA_10device_ptrIjEEEEPS6_NSA_18transform_iteratorINSB_9not_fun_tI7is_trueIjEEENSC_INSD_IbEEEENSA_11use_defaultESO_EENS0_5tupleIJSF_S6_EEENSQ_IJSG_SG_EEES6_PlJS6_EEE10hipError_tPvRmT3_T4_T5_T6_T7_T9_mT8_P12ihipStream_tbDpT10_ENKUlT_T0_E_clISt17integral_constantIbLb1EES1D_EEDaS18_S19_EUlS18_E_NS1_11comp_targetILNS1_3genE2ELNS1_11target_archE906ELNS1_3gpuE6ELNS1_3repE0EEENS1_30default_config_static_selectorELNS0_4arch9wavefront6targetE0EEEvT1_.num_vgpr, 0
	.set _ZN7rocprim17ROCPRIM_400000_NS6detail17trampoline_kernelINS0_14default_configENS1_25partition_config_selectorILNS1_17partition_subalgoE5EjNS0_10empty_typeEbEEZZNS1_14partition_implILS5_5ELb0ES3_mN6thrust23THRUST_200600_302600_NS6detail15normal_iteratorINSA_10device_ptrIjEEEEPS6_NSA_18transform_iteratorINSB_9not_fun_tI7is_trueIjEEENSC_INSD_IbEEEENSA_11use_defaultESO_EENS0_5tupleIJSF_S6_EEENSQ_IJSG_SG_EEES6_PlJS6_EEE10hipError_tPvRmT3_T4_T5_T6_T7_T9_mT8_P12ihipStream_tbDpT10_ENKUlT_T0_E_clISt17integral_constantIbLb1EES1D_EEDaS18_S19_EUlS18_E_NS1_11comp_targetILNS1_3genE2ELNS1_11target_archE906ELNS1_3gpuE6ELNS1_3repE0EEENS1_30default_config_static_selectorELNS0_4arch9wavefront6targetE0EEEvT1_.num_agpr, 0
	.set _ZN7rocprim17ROCPRIM_400000_NS6detail17trampoline_kernelINS0_14default_configENS1_25partition_config_selectorILNS1_17partition_subalgoE5EjNS0_10empty_typeEbEEZZNS1_14partition_implILS5_5ELb0ES3_mN6thrust23THRUST_200600_302600_NS6detail15normal_iteratorINSA_10device_ptrIjEEEEPS6_NSA_18transform_iteratorINSB_9not_fun_tI7is_trueIjEEENSC_INSD_IbEEEENSA_11use_defaultESO_EENS0_5tupleIJSF_S6_EEENSQ_IJSG_SG_EEES6_PlJS6_EEE10hipError_tPvRmT3_T4_T5_T6_T7_T9_mT8_P12ihipStream_tbDpT10_ENKUlT_T0_E_clISt17integral_constantIbLb1EES1D_EEDaS18_S19_EUlS18_E_NS1_11comp_targetILNS1_3genE2ELNS1_11target_archE906ELNS1_3gpuE6ELNS1_3repE0EEENS1_30default_config_static_selectorELNS0_4arch9wavefront6targetE0EEEvT1_.numbered_sgpr, 0
	.set _ZN7rocprim17ROCPRIM_400000_NS6detail17trampoline_kernelINS0_14default_configENS1_25partition_config_selectorILNS1_17partition_subalgoE5EjNS0_10empty_typeEbEEZZNS1_14partition_implILS5_5ELb0ES3_mN6thrust23THRUST_200600_302600_NS6detail15normal_iteratorINSA_10device_ptrIjEEEEPS6_NSA_18transform_iteratorINSB_9not_fun_tI7is_trueIjEEENSC_INSD_IbEEEENSA_11use_defaultESO_EENS0_5tupleIJSF_S6_EEENSQ_IJSG_SG_EEES6_PlJS6_EEE10hipError_tPvRmT3_T4_T5_T6_T7_T9_mT8_P12ihipStream_tbDpT10_ENKUlT_T0_E_clISt17integral_constantIbLb1EES1D_EEDaS18_S19_EUlS18_E_NS1_11comp_targetILNS1_3genE2ELNS1_11target_archE906ELNS1_3gpuE6ELNS1_3repE0EEENS1_30default_config_static_selectorELNS0_4arch9wavefront6targetE0EEEvT1_.num_named_barrier, 0
	.set _ZN7rocprim17ROCPRIM_400000_NS6detail17trampoline_kernelINS0_14default_configENS1_25partition_config_selectorILNS1_17partition_subalgoE5EjNS0_10empty_typeEbEEZZNS1_14partition_implILS5_5ELb0ES3_mN6thrust23THRUST_200600_302600_NS6detail15normal_iteratorINSA_10device_ptrIjEEEEPS6_NSA_18transform_iteratorINSB_9not_fun_tI7is_trueIjEEENSC_INSD_IbEEEENSA_11use_defaultESO_EENS0_5tupleIJSF_S6_EEENSQ_IJSG_SG_EEES6_PlJS6_EEE10hipError_tPvRmT3_T4_T5_T6_T7_T9_mT8_P12ihipStream_tbDpT10_ENKUlT_T0_E_clISt17integral_constantIbLb1EES1D_EEDaS18_S19_EUlS18_E_NS1_11comp_targetILNS1_3genE2ELNS1_11target_archE906ELNS1_3gpuE6ELNS1_3repE0EEENS1_30default_config_static_selectorELNS0_4arch9wavefront6targetE0EEEvT1_.private_seg_size, 0
	.set _ZN7rocprim17ROCPRIM_400000_NS6detail17trampoline_kernelINS0_14default_configENS1_25partition_config_selectorILNS1_17partition_subalgoE5EjNS0_10empty_typeEbEEZZNS1_14partition_implILS5_5ELb0ES3_mN6thrust23THRUST_200600_302600_NS6detail15normal_iteratorINSA_10device_ptrIjEEEEPS6_NSA_18transform_iteratorINSB_9not_fun_tI7is_trueIjEEENSC_INSD_IbEEEENSA_11use_defaultESO_EENS0_5tupleIJSF_S6_EEENSQ_IJSG_SG_EEES6_PlJS6_EEE10hipError_tPvRmT3_T4_T5_T6_T7_T9_mT8_P12ihipStream_tbDpT10_ENKUlT_T0_E_clISt17integral_constantIbLb1EES1D_EEDaS18_S19_EUlS18_E_NS1_11comp_targetILNS1_3genE2ELNS1_11target_archE906ELNS1_3gpuE6ELNS1_3repE0EEENS1_30default_config_static_selectorELNS0_4arch9wavefront6targetE0EEEvT1_.uses_vcc, 0
	.set _ZN7rocprim17ROCPRIM_400000_NS6detail17trampoline_kernelINS0_14default_configENS1_25partition_config_selectorILNS1_17partition_subalgoE5EjNS0_10empty_typeEbEEZZNS1_14partition_implILS5_5ELb0ES3_mN6thrust23THRUST_200600_302600_NS6detail15normal_iteratorINSA_10device_ptrIjEEEEPS6_NSA_18transform_iteratorINSB_9not_fun_tI7is_trueIjEEENSC_INSD_IbEEEENSA_11use_defaultESO_EENS0_5tupleIJSF_S6_EEENSQ_IJSG_SG_EEES6_PlJS6_EEE10hipError_tPvRmT3_T4_T5_T6_T7_T9_mT8_P12ihipStream_tbDpT10_ENKUlT_T0_E_clISt17integral_constantIbLb1EES1D_EEDaS18_S19_EUlS18_E_NS1_11comp_targetILNS1_3genE2ELNS1_11target_archE906ELNS1_3gpuE6ELNS1_3repE0EEENS1_30default_config_static_selectorELNS0_4arch9wavefront6targetE0EEEvT1_.uses_flat_scratch, 0
	.set _ZN7rocprim17ROCPRIM_400000_NS6detail17trampoline_kernelINS0_14default_configENS1_25partition_config_selectorILNS1_17partition_subalgoE5EjNS0_10empty_typeEbEEZZNS1_14partition_implILS5_5ELb0ES3_mN6thrust23THRUST_200600_302600_NS6detail15normal_iteratorINSA_10device_ptrIjEEEEPS6_NSA_18transform_iteratorINSB_9not_fun_tI7is_trueIjEEENSC_INSD_IbEEEENSA_11use_defaultESO_EENS0_5tupleIJSF_S6_EEENSQ_IJSG_SG_EEES6_PlJS6_EEE10hipError_tPvRmT3_T4_T5_T6_T7_T9_mT8_P12ihipStream_tbDpT10_ENKUlT_T0_E_clISt17integral_constantIbLb1EES1D_EEDaS18_S19_EUlS18_E_NS1_11comp_targetILNS1_3genE2ELNS1_11target_archE906ELNS1_3gpuE6ELNS1_3repE0EEENS1_30default_config_static_selectorELNS0_4arch9wavefront6targetE0EEEvT1_.has_dyn_sized_stack, 0
	.set _ZN7rocprim17ROCPRIM_400000_NS6detail17trampoline_kernelINS0_14default_configENS1_25partition_config_selectorILNS1_17partition_subalgoE5EjNS0_10empty_typeEbEEZZNS1_14partition_implILS5_5ELb0ES3_mN6thrust23THRUST_200600_302600_NS6detail15normal_iteratorINSA_10device_ptrIjEEEEPS6_NSA_18transform_iteratorINSB_9not_fun_tI7is_trueIjEEENSC_INSD_IbEEEENSA_11use_defaultESO_EENS0_5tupleIJSF_S6_EEENSQ_IJSG_SG_EEES6_PlJS6_EEE10hipError_tPvRmT3_T4_T5_T6_T7_T9_mT8_P12ihipStream_tbDpT10_ENKUlT_T0_E_clISt17integral_constantIbLb1EES1D_EEDaS18_S19_EUlS18_E_NS1_11comp_targetILNS1_3genE2ELNS1_11target_archE906ELNS1_3gpuE6ELNS1_3repE0EEENS1_30default_config_static_selectorELNS0_4arch9wavefront6targetE0EEEvT1_.has_recursion, 0
	.set _ZN7rocprim17ROCPRIM_400000_NS6detail17trampoline_kernelINS0_14default_configENS1_25partition_config_selectorILNS1_17partition_subalgoE5EjNS0_10empty_typeEbEEZZNS1_14partition_implILS5_5ELb0ES3_mN6thrust23THRUST_200600_302600_NS6detail15normal_iteratorINSA_10device_ptrIjEEEEPS6_NSA_18transform_iteratorINSB_9not_fun_tI7is_trueIjEEENSC_INSD_IbEEEENSA_11use_defaultESO_EENS0_5tupleIJSF_S6_EEENSQ_IJSG_SG_EEES6_PlJS6_EEE10hipError_tPvRmT3_T4_T5_T6_T7_T9_mT8_P12ihipStream_tbDpT10_ENKUlT_T0_E_clISt17integral_constantIbLb1EES1D_EEDaS18_S19_EUlS18_E_NS1_11comp_targetILNS1_3genE2ELNS1_11target_archE906ELNS1_3gpuE6ELNS1_3repE0EEENS1_30default_config_static_selectorELNS0_4arch9wavefront6targetE0EEEvT1_.has_indirect_call, 0
	.section	.AMDGPU.csdata,"",@progbits
; Kernel info:
; codeLenInByte = 0
; TotalNumSgprs: 0
; NumVgprs: 0
; ScratchSize: 0
; MemoryBound: 0
; FloatMode: 240
; IeeeMode: 1
; LDSByteSize: 0 bytes/workgroup (compile time only)
; SGPRBlocks: 0
; VGPRBlocks: 0
; NumSGPRsForWavesPerEU: 1
; NumVGPRsForWavesPerEU: 1
; Occupancy: 16
; WaveLimiterHint : 0
; COMPUTE_PGM_RSRC2:SCRATCH_EN: 0
; COMPUTE_PGM_RSRC2:USER_SGPR: 2
; COMPUTE_PGM_RSRC2:TRAP_HANDLER: 0
; COMPUTE_PGM_RSRC2:TGID_X_EN: 1
; COMPUTE_PGM_RSRC2:TGID_Y_EN: 0
; COMPUTE_PGM_RSRC2:TGID_Z_EN: 0
; COMPUTE_PGM_RSRC2:TIDIG_COMP_CNT: 0
	.section	.text._ZN7rocprim17ROCPRIM_400000_NS6detail17trampoline_kernelINS0_14default_configENS1_25partition_config_selectorILNS1_17partition_subalgoE5EjNS0_10empty_typeEbEEZZNS1_14partition_implILS5_5ELb0ES3_mN6thrust23THRUST_200600_302600_NS6detail15normal_iteratorINSA_10device_ptrIjEEEEPS6_NSA_18transform_iteratorINSB_9not_fun_tI7is_trueIjEEENSC_INSD_IbEEEENSA_11use_defaultESO_EENS0_5tupleIJSF_S6_EEENSQ_IJSG_SG_EEES6_PlJS6_EEE10hipError_tPvRmT3_T4_T5_T6_T7_T9_mT8_P12ihipStream_tbDpT10_ENKUlT_T0_E_clISt17integral_constantIbLb1EES1D_EEDaS18_S19_EUlS18_E_NS1_11comp_targetILNS1_3genE10ELNS1_11target_archE1200ELNS1_3gpuE4ELNS1_3repE0EEENS1_30default_config_static_selectorELNS0_4arch9wavefront6targetE0EEEvT1_,"axG",@progbits,_ZN7rocprim17ROCPRIM_400000_NS6detail17trampoline_kernelINS0_14default_configENS1_25partition_config_selectorILNS1_17partition_subalgoE5EjNS0_10empty_typeEbEEZZNS1_14partition_implILS5_5ELb0ES3_mN6thrust23THRUST_200600_302600_NS6detail15normal_iteratorINSA_10device_ptrIjEEEEPS6_NSA_18transform_iteratorINSB_9not_fun_tI7is_trueIjEEENSC_INSD_IbEEEENSA_11use_defaultESO_EENS0_5tupleIJSF_S6_EEENSQ_IJSG_SG_EEES6_PlJS6_EEE10hipError_tPvRmT3_T4_T5_T6_T7_T9_mT8_P12ihipStream_tbDpT10_ENKUlT_T0_E_clISt17integral_constantIbLb1EES1D_EEDaS18_S19_EUlS18_E_NS1_11comp_targetILNS1_3genE10ELNS1_11target_archE1200ELNS1_3gpuE4ELNS1_3repE0EEENS1_30default_config_static_selectorELNS0_4arch9wavefront6targetE0EEEvT1_,comdat
	.protected	_ZN7rocprim17ROCPRIM_400000_NS6detail17trampoline_kernelINS0_14default_configENS1_25partition_config_selectorILNS1_17partition_subalgoE5EjNS0_10empty_typeEbEEZZNS1_14partition_implILS5_5ELb0ES3_mN6thrust23THRUST_200600_302600_NS6detail15normal_iteratorINSA_10device_ptrIjEEEEPS6_NSA_18transform_iteratorINSB_9not_fun_tI7is_trueIjEEENSC_INSD_IbEEEENSA_11use_defaultESO_EENS0_5tupleIJSF_S6_EEENSQ_IJSG_SG_EEES6_PlJS6_EEE10hipError_tPvRmT3_T4_T5_T6_T7_T9_mT8_P12ihipStream_tbDpT10_ENKUlT_T0_E_clISt17integral_constantIbLb1EES1D_EEDaS18_S19_EUlS18_E_NS1_11comp_targetILNS1_3genE10ELNS1_11target_archE1200ELNS1_3gpuE4ELNS1_3repE0EEENS1_30default_config_static_selectorELNS0_4arch9wavefront6targetE0EEEvT1_ ; -- Begin function _ZN7rocprim17ROCPRIM_400000_NS6detail17trampoline_kernelINS0_14default_configENS1_25partition_config_selectorILNS1_17partition_subalgoE5EjNS0_10empty_typeEbEEZZNS1_14partition_implILS5_5ELb0ES3_mN6thrust23THRUST_200600_302600_NS6detail15normal_iteratorINSA_10device_ptrIjEEEEPS6_NSA_18transform_iteratorINSB_9not_fun_tI7is_trueIjEEENSC_INSD_IbEEEENSA_11use_defaultESO_EENS0_5tupleIJSF_S6_EEENSQ_IJSG_SG_EEES6_PlJS6_EEE10hipError_tPvRmT3_T4_T5_T6_T7_T9_mT8_P12ihipStream_tbDpT10_ENKUlT_T0_E_clISt17integral_constantIbLb1EES1D_EEDaS18_S19_EUlS18_E_NS1_11comp_targetILNS1_3genE10ELNS1_11target_archE1200ELNS1_3gpuE4ELNS1_3repE0EEENS1_30default_config_static_selectorELNS0_4arch9wavefront6targetE0EEEvT1_
	.globl	_ZN7rocprim17ROCPRIM_400000_NS6detail17trampoline_kernelINS0_14default_configENS1_25partition_config_selectorILNS1_17partition_subalgoE5EjNS0_10empty_typeEbEEZZNS1_14partition_implILS5_5ELb0ES3_mN6thrust23THRUST_200600_302600_NS6detail15normal_iteratorINSA_10device_ptrIjEEEEPS6_NSA_18transform_iteratorINSB_9not_fun_tI7is_trueIjEEENSC_INSD_IbEEEENSA_11use_defaultESO_EENS0_5tupleIJSF_S6_EEENSQ_IJSG_SG_EEES6_PlJS6_EEE10hipError_tPvRmT3_T4_T5_T6_T7_T9_mT8_P12ihipStream_tbDpT10_ENKUlT_T0_E_clISt17integral_constantIbLb1EES1D_EEDaS18_S19_EUlS18_E_NS1_11comp_targetILNS1_3genE10ELNS1_11target_archE1200ELNS1_3gpuE4ELNS1_3repE0EEENS1_30default_config_static_selectorELNS0_4arch9wavefront6targetE0EEEvT1_
	.p2align	8
	.type	_ZN7rocprim17ROCPRIM_400000_NS6detail17trampoline_kernelINS0_14default_configENS1_25partition_config_selectorILNS1_17partition_subalgoE5EjNS0_10empty_typeEbEEZZNS1_14partition_implILS5_5ELb0ES3_mN6thrust23THRUST_200600_302600_NS6detail15normal_iteratorINSA_10device_ptrIjEEEEPS6_NSA_18transform_iteratorINSB_9not_fun_tI7is_trueIjEEENSC_INSD_IbEEEENSA_11use_defaultESO_EENS0_5tupleIJSF_S6_EEENSQ_IJSG_SG_EEES6_PlJS6_EEE10hipError_tPvRmT3_T4_T5_T6_T7_T9_mT8_P12ihipStream_tbDpT10_ENKUlT_T0_E_clISt17integral_constantIbLb1EES1D_EEDaS18_S19_EUlS18_E_NS1_11comp_targetILNS1_3genE10ELNS1_11target_archE1200ELNS1_3gpuE4ELNS1_3repE0EEENS1_30default_config_static_selectorELNS0_4arch9wavefront6targetE0EEEvT1_,@function
_ZN7rocprim17ROCPRIM_400000_NS6detail17trampoline_kernelINS0_14default_configENS1_25partition_config_selectorILNS1_17partition_subalgoE5EjNS0_10empty_typeEbEEZZNS1_14partition_implILS5_5ELb0ES3_mN6thrust23THRUST_200600_302600_NS6detail15normal_iteratorINSA_10device_ptrIjEEEEPS6_NSA_18transform_iteratorINSB_9not_fun_tI7is_trueIjEEENSC_INSD_IbEEEENSA_11use_defaultESO_EENS0_5tupleIJSF_S6_EEENSQ_IJSG_SG_EEES6_PlJS6_EEE10hipError_tPvRmT3_T4_T5_T6_T7_T9_mT8_P12ihipStream_tbDpT10_ENKUlT_T0_E_clISt17integral_constantIbLb1EES1D_EEDaS18_S19_EUlS18_E_NS1_11comp_targetILNS1_3genE10ELNS1_11target_archE1200ELNS1_3gpuE4ELNS1_3repE0EEENS1_30default_config_static_selectorELNS0_4arch9wavefront6targetE0EEEvT1_: ; @_ZN7rocprim17ROCPRIM_400000_NS6detail17trampoline_kernelINS0_14default_configENS1_25partition_config_selectorILNS1_17partition_subalgoE5EjNS0_10empty_typeEbEEZZNS1_14partition_implILS5_5ELb0ES3_mN6thrust23THRUST_200600_302600_NS6detail15normal_iteratorINSA_10device_ptrIjEEEEPS6_NSA_18transform_iteratorINSB_9not_fun_tI7is_trueIjEEENSC_INSD_IbEEEENSA_11use_defaultESO_EENS0_5tupleIJSF_S6_EEENSQ_IJSG_SG_EEES6_PlJS6_EEE10hipError_tPvRmT3_T4_T5_T6_T7_T9_mT8_P12ihipStream_tbDpT10_ENKUlT_T0_E_clISt17integral_constantIbLb1EES1D_EEDaS18_S19_EUlS18_E_NS1_11comp_targetILNS1_3genE10ELNS1_11target_archE1200ELNS1_3gpuE4ELNS1_3repE0EEENS1_30default_config_static_selectorELNS0_4arch9wavefront6targetE0EEEvT1_
; %bb.0:
	s_endpgm
	.section	.rodata,"a",@progbits
	.p2align	6, 0x0
	.amdhsa_kernel _ZN7rocprim17ROCPRIM_400000_NS6detail17trampoline_kernelINS0_14default_configENS1_25partition_config_selectorILNS1_17partition_subalgoE5EjNS0_10empty_typeEbEEZZNS1_14partition_implILS5_5ELb0ES3_mN6thrust23THRUST_200600_302600_NS6detail15normal_iteratorINSA_10device_ptrIjEEEEPS6_NSA_18transform_iteratorINSB_9not_fun_tI7is_trueIjEEENSC_INSD_IbEEEENSA_11use_defaultESO_EENS0_5tupleIJSF_S6_EEENSQ_IJSG_SG_EEES6_PlJS6_EEE10hipError_tPvRmT3_T4_T5_T6_T7_T9_mT8_P12ihipStream_tbDpT10_ENKUlT_T0_E_clISt17integral_constantIbLb1EES1D_EEDaS18_S19_EUlS18_E_NS1_11comp_targetILNS1_3genE10ELNS1_11target_archE1200ELNS1_3gpuE4ELNS1_3repE0EEENS1_30default_config_static_selectorELNS0_4arch9wavefront6targetE0EEEvT1_
		.amdhsa_group_segment_fixed_size 0
		.amdhsa_private_segment_fixed_size 0
		.amdhsa_kernarg_size 136
		.amdhsa_user_sgpr_count 2
		.amdhsa_user_sgpr_dispatch_ptr 0
		.amdhsa_user_sgpr_queue_ptr 0
		.amdhsa_user_sgpr_kernarg_segment_ptr 1
		.amdhsa_user_sgpr_dispatch_id 0
		.amdhsa_user_sgpr_private_segment_size 0
		.amdhsa_wavefront_size32 1
		.amdhsa_uses_dynamic_stack 0
		.amdhsa_enable_private_segment 0
		.amdhsa_system_sgpr_workgroup_id_x 1
		.amdhsa_system_sgpr_workgroup_id_y 0
		.amdhsa_system_sgpr_workgroup_id_z 0
		.amdhsa_system_sgpr_workgroup_info 0
		.amdhsa_system_vgpr_workitem_id 0
		.amdhsa_next_free_vgpr 1
		.amdhsa_next_free_sgpr 1
		.amdhsa_reserve_vcc 0
		.amdhsa_float_round_mode_32 0
		.amdhsa_float_round_mode_16_64 0
		.amdhsa_float_denorm_mode_32 3
		.amdhsa_float_denorm_mode_16_64 3
		.amdhsa_fp16_overflow 0
		.amdhsa_workgroup_processor_mode 1
		.amdhsa_memory_ordered 1
		.amdhsa_forward_progress 1
		.amdhsa_inst_pref_size 1
		.amdhsa_round_robin_scheduling 0
		.amdhsa_exception_fp_ieee_invalid_op 0
		.amdhsa_exception_fp_denorm_src 0
		.amdhsa_exception_fp_ieee_div_zero 0
		.amdhsa_exception_fp_ieee_overflow 0
		.amdhsa_exception_fp_ieee_underflow 0
		.amdhsa_exception_fp_ieee_inexact 0
		.amdhsa_exception_int_div_zero 0
	.end_amdhsa_kernel
	.section	.text._ZN7rocprim17ROCPRIM_400000_NS6detail17trampoline_kernelINS0_14default_configENS1_25partition_config_selectorILNS1_17partition_subalgoE5EjNS0_10empty_typeEbEEZZNS1_14partition_implILS5_5ELb0ES3_mN6thrust23THRUST_200600_302600_NS6detail15normal_iteratorINSA_10device_ptrIjEEEEPS6_NSA_18transform_iteratorINSB_9not_fun_tI7is_trueIjEEENSC_INSD_IbEEEENSA_11use_defaultESO_EENS0_5tupleIJSF_S6_EEENSQ_IJSG_SG_EEES6_PlJS6_EEE10hipError_tPvRmT3_T4_T5_T6_T7_T9_mT8_P12ihipStream_tbDpT10_ENKUlT_T0_E_clISt17integral_constantIbLb1EES1D_EEDaS18_S19_EUlS18_E_NS1_11comp_targetILNS1_3genE10ELNS1_11target_archE1200ELNS1_3gpuE4ELNS1_3repE0EEENS1_30default_config_static_selectorELNS0_4arch9wavefront6targetE0EEEvT1_,"axG",@progbits,_ZN7rocprim17ROCPRIM_400000_NS6detail17trampoline_kernelINS0_14default_configENS1_25partition_config_selectorILNS1_17partition_subalgoE5EjNS0_10empty_typeEbEEZZNS1_14partition_implILS5_5ELb0ES3_mN6thrust23THRUST_200600_302600_NS6detail15normal_iteratorINSA_10device_ptrIjEEEEPS6_NSA_18transform_iteratorINSB_9not_fun_tI7is_trueIjEEENSC_INSD_IbEEEENSA_11use_defaultESO_EENS0_5tupleIJSF_S6_EEENSQ_IJSG_SG_EEES6_PlJS6_EEE10hipError_tPvRmT3_T4_T5_T6_T7_T9_mT8_P12ihipStream_tbDpT10_ENKUlT_T0_E_clISt17integral_constantIbLb1EES1D_EEDaS18_S19_EUlS18_E_NS1_11comp_targetILNS1_3genE10ELNS1_11target_archE1200ELNS1_3gpuE4ELNS1_3repE0EEENS1_30default_config_static_selectorELNS0_4arch9wavefront6targetE0EEEvT1_,comdat
.Lfunc_end2442:
	.size	_ZN7rocprim17ROCPRIM_400000_NS6detail17trampoline_kernelINS0_14default_configENS1_25partition_config_selectorILNS1_17partition_subalgoE5EjNS0_10empty_typeEbEEZZNS1_14partition_implILS5_5ELb0ES3_mN6thrust23THRUST_200600_302600_NS6detail15normal_iteratorINSA_10device_ptrIjEEEEPS6_NSA_18transform_iteratorINSB_9not_fun_tI7is_trueIjEEENSC_INSD_IbEEEENSA_11use_defaultESO_EENS0_5tupleIJSF_S6_EEENSQ_IJSG_SG_EEES6_PlJS6_EEE10hipError_tPvRmT3_T4_T5_T6_T7_T9_mT8_P12ihipStream_tbDpT10_ENKUlT_T0_E_clISt17integral_constantIbLb1EES1D_EEDaS18_S19_EUlS18_E_NS1_11comp_targetILNS1_3genE10ELNS1_11target_archE1200ELNS1_3gpuE4ELNS1_3repE0EEENS1_30default_config_static_selectorELNS0_4arch9wavefront6targetE0EEEvT1_, .Lfunc_end2442-_ZN7rocprim17ROCPRIM_400000_NS6detail17trampoline_kernelINS0_14default_configENS1_25partition_config_selectorILNS1_17partition_subalgoE5EjNS0_10empty_typeEbEEZZNS1_14partition_implILS5_5ELb0ES3_mN6thrust23THRUST_200600_302600_NS6detail15normal_iteratorINSA_10device_ptrIjEEEEPS6_NSA_18transform_iteratorINSB_9not_fun_tI7is_trueIjEEENSC_INSD_IbEEEENSA_11use_defaultESO_EENS0_5tupleIJSF_S6_EEENSQ_IJSG_SG_EEES6_PlJS6_EEE10hipError_tPvRmT3_T4_T5_T6_T7_T9_mT8_P12ihipStream_tbDpT10_ENKUlT_T0_E_clISt17integral_constantIbLb1EES1D_EEDaS18_S19_EUlS18_E_NS1_11comp_targetILNS1_3genE10ELNS1_11target_archE1200ELNS1_3gpuE4ELNS1_3repE0EEENS1_30default_config_static_selectorELNS0_4arch9wavefront6targetE0EEEvT1_
                                        ; -- End function
	.set _ZN7rocprim17ROCPRIM_400000_NS6detail17trampoline_kernelINS0_14default_configENS1_25partition_config_selectorILNS1_17partition_subalgoE5EjNS0_10empty_typeEbEEZZNS1_14partition_implILS5_5ELb0ES3_mN6thrust23THRUST_200600_302600_NS6detail15normal_iteratorINSA_10device_ptrIjEEEEPS6_NSA_18transform_iteratorINSB_9not_fun_tI7is_trueIjEEENSC_INSD_IbEEEENSA_11use_defaultESO_EENS0_5tupleIJSF_S6_EEENSQ_IJSG_SG_EEES6_PlJS6_EEE10hipError_tPvRmT3_T4_T5_T6_T7_T9_mT8_P12ihipStream_tbDpT10_ENKUlT_T0_E_clISt17integral_constantIbLb1EES1D_EEDaS18_S19_EUlS18_E_NS1_11comp_targetILNS1_3genE10ELNS1_11target_archE1200ELNS1_3gpuE4ELNS1_3repE0EEENS1_30default_config_static_selectorELNS0_4arch9wavefront6targetE0EEEvT1_.num_vgpr, 0
	.set _ZN7rocprim17ROCPRIM_400000_NS6detail17trampoline_kernelINS0_14default_configENS1_25partition_config_selectorILNS1_17partition_subalgoE5EjNS0_10empty_typeEbEEZZNS1_14partition_implILS5_5ELb0ES3_mN6thrust23THRUST_200600_302600_NS6detail15normal_iteratorINSA_10device_ptrIjEEEEPS6_NSA_18transform_iteratorINSB_9not_fun_tI7is_trueIjEEENSC_INSD_IbEEEENSA_11use_defaultESO_EENS0_5tupleIJSF_S6_EEENSQ_IJSG_SG_EEES6_PlJS6_EEE10hipError_tPvRmT3_T4_T5_T6_T7_T9_mT8_P12ihipStream_tbDpT10_ENKUlT_T0_E_clISt17integral_constantIbLb1EES1D_EEDaS18_S19_EUlS18_E_NS1_11comp_targetILNS1_3genE10ELNS1_11target_archE1200ELNS1_3gpuE4ELNS1_3repE0EEENS1_30default_config_static_selectorELNS0_4arch9wavefront6targetE0EEEvT1_.num_agpr, 0
	.set _ZN7rocprim17ROCPRIM_400000_NS6detail17trampoline_kernelINS0_14default_configENS1_25partition_config_selectorILNS1_17partition_subalgoE5EjNS0_10empty_typeEbEEZZNS1_14partition_implILS5_5ELb0ES3_mN6thrust23THRUST_200600_302600_NS6detail15normal_iteratorINSA_10device_ptrIjEEEEPS6_NSA_18transform_iteratorINSB_9not_fun_tI7is_trueIjEEENSC_INSD_IbEEEENSA_11use_defaultESO_EENS0_5tupleIJSF_S6_EEENSQ_IJSG_SG_EEES6_PlJS6_EEE10hipError_tPvRmT3_T4_T5_T6_T7_T9_mT8_P12ihipStream_tbDpT10_ENKUlT_T0_E_clISt17integral_constantIbLb1EES1D_EEDaS18_S19_EUlS18_E_NS1_11comp_targetILNS1_3genE10ELNS1_11target_archE1200ELNS1_3gpuE4ELNS1_3repE0EEENS1_30default_config_static_selectorELNS0_4arch9wavefront6targetE0EEEvT1_.numbered_sgpr, 0
	.set _ZN7rocprim17ROCPRIM_400000_NS6detail17trampoline_kernelINS0_14default_configENS1_25partition_config_selectorILNS1_17partition_subalgoE5EjNS0_10empty_typeEbEEZZNS1_14partition_implILS5_5ELb0ES3_mN6thrust23THRUST_200600_302600_NS6detail15normal_iteratorINSA_10device_ptrIjEEEEPS6_NSA_18transform_iteratorINSB_9not_fun_tI7is_trueIjEEENSC_INSD_IbEEEENSA_11use_defaultESO_EENS0_5tupleIJSF_S6_EEENSQ_IJSG_SG_EEES6_PlJS6_EEE10hipError_tPvRmT3_T4_T5_T6_T7_T9_mT8_P12ihipStream_tbDpT10_ENKUlT_T0_E_clISt17integral_constantIbLb1EES1D_EEDaS18_S19_EUlS18_E_NS1_11comp_targetILNS1_3genE10ELNS1_11target_archE1200ELNS1_3gpuE4ELNS1_3repE0EEENS1_30default_config_static_selectorELNS0_4arch9wavefront6targetE0EEEvT1_.num_named_barrier, 0
	.set _ZN7rocprim17ROCPRIM_400000_NS6detail17trampoline_kernelINS0_14default_configENS1_25partition_config_selectorILNS1_17partition_subalgoE5EjNS0_10empty_typeEbEEZZNS1_14partition_implILS5_5ELb0ES3_mN6thrust23THRUST_200600_302600_NS6detail15normal_iteratorINSA_10device_ptrIjEEEEPS6_NSA_18transform_iteratorINSB_9not_fun_tI7is_trueIjEEENSC_INSD_IbEEEENSA_11use_defaultESO_EENS0_5tupleIJSF_S6_EEENSQ_IJSG_SG_EEES6_PlJS6_EEE10hipError_tPvRmT3_T4_T5_T6_T7_T9_mT8_P12ihipStream_tbDpT10_ENKUlT_T0_E_clISt17integral_constantIbLb1EES1D_EEDaS18_S19_EUlS18_E_NS1_11comp_targetILNS1_3genE10ELNS1_11target_archE1200ELNS1_3gpuE4ELNS1_3repE0EEENS1_30default_config_static_selectorELNS0_4arch9wavefront6targetE0EEEvT1_.private_seg_size, 0
	.set _ZN7rocprim17ROCPRIM_400000_NS6detail17trampoline_kernelINS0_14default_configENS1_25partition_config_selectorILNS1_17partition_subalgoE5EjNS0_10empty_typeEbEEZZNS1_14partition_implILS5_5ELb0ES3_mN6thrust23THRUST_200600_302600_NS6detail15normal_iteratorINSA_10device_ptrIjEEEEPS6_NSA_18transform_iteratorINSB_9not_fun_tI7is_trueIjEEENSC_INSD_IbEEEENSA_11use_defaultESO_EENS0_5tupleIJSF_S6_EEENSQ_IJSG_SG_EEES6_PlJS6_EEE10hipError_tPvRmT3_T4_T5_T6_T7_T9_mT8_P12ihipStream_tbDpT10_ENKUlT_T0_E_clISt17integral_constantIbLb1EES1D_EEDaS18_S19_EUlS18_E_NS1_11comp_targetILNS1_3genE10ELNS1_11target_archE1200ELNS1_3gpuE4ELNS1_3repE0EEENS1_30default_config_static_selectorELNS0_4arch9wavefront6targetE0EEEvT1_.uses_vcc, 0
	.set _ZN7rocprim17ROCPRIM_400000_NS6detail17trampoline_kernelINS0_14default_configENS1_25partition_config_selectorILNS1_17partition_subalgoE5EjNS0_10empty_typeEbEEZZNS1_14partition_implILS5_5ELb0ES3_mN6thrust23THRUST_200600_302600_NS6detail15normal_iteratorINSA_10device_ptrIjEEEEPS6_NSA_18transform_iteratorINSB_9not_fun_tI7is_trueIjEEENSC_INSD_IbEEEENSA_11use_defaultESO_EENS0_5tupleIJSF_S6_EEENSQ_IJSG_SG_EEES6_PlJS6_EEE10hipError_tPvRmT3_T4_T5_T6_T7_T9_mT8_P12ihipStream_tbDpT10_ENKUlT_T0_E_clISt17integral_constantIbLb1EES1D_EEDaS18_S19_EUlS18_E_NS1_11comp_targetILNS1_3genE10ELNS1_11target_archE1200ELNS1_3gpuE4ELNS1_3repE0EEENS1_30default_config_static_selectorELNS0_4arch9wavefront6targetE0EEEvT1_.uses_flat_scratch, 0
	.set _ZN7rocprim17ROCPRIM_400000_NS6detail17trampoline_kernelINS0_14default_configENS1_25partition_config_selectorILNS1_17partition_subalgoE5EjNS0_10empty_typeEbEEZZNS1_14partition_implILS5_5ELb0ES3_mN6thrust23THRUST_200600_302600_NS6detail15normal_iteratorINSA_10device_ptrIjEEEEPS6_NSA_18transform_iteratorINSB_9not_fun_tI7is_trueIjEEENSC_INSD_IbEEEENSA_11use_defaultESO_EENS0_5tupleIJSF_S6_EEENSQ_IJSG_SG_EEES6_PlJS6_EEE10hipError_tPvRmT3_T4_T5_T6_T7_T9_mT8_P12ihipStream_tbDpT10_ENKUlT_T0_E_clISt17integral_constantIbLb1EES1D_EEDaS18_S19_EUlS18_E_NS1_11comp_targetILNS1_3genE10ELNS1_11target_archE1200ELNS1_3gpuE4ELNS1_3repE0EEENS1_30default_config_static_selectorELNS0_4arch9wavefront6targetE0EEEvT1_.has_dyn_sized_stack, 0
	.set _ZN7rocprim17ROCPRIM_400000_NS6detail17trampoline_kernelINS0_14default_configENS1_25partition_config_selectorILNS1_17partition_subalgoE5EjNS0_10empty_typeEbEEZZNS1_14partition_implILS5_5ELb0ES3_mN6thrust23THRUST_200600_302600_NS6detail15normal_iteratorINSA_10device_ptrIjEEEEPS6_NSA_18transform_iteratorINSB_9not_fun_tI7is_trueIjEEENSC_INSD_IbEEEENSA_11use_defaultESO_EENS0_5tupleIJSF_S6_EEENSQ_IJSG_SG_EEES6_PlJS6_EEE10hipError_tPvRmT3_T4_T5_T6_T7_T9_mT8_P12ihipStream_tbDpT10_ENKUlT_T0_E_clISt17integral_constantIbLb1EES1D_EEDaS18_S19_EUlS18_E_NS1_11comp_targetILNS1_3genE10ELNS1_11target_archE1200ELNS1_3gpuE4ELNS1_3repE0EEENS1_30default_config_static_selectorELNS0_4arch9wavefront6targetE0EEEvT1_.has_recursion, 0
	.set _ZN7rocprim17ROCPRIM_400000_NS6detail17trampoline_kernelINS0_14default_configENS1_25partition_config_selectorILNS1_17partition_subalgoE5EjNS0_10empty_typeEbEEZZNS1_14partition_implILS5_5ELb0ES3_mN6thrust23THRUST_200600_302600_NS6detail15normal_iteratorINSA_10device_ptrIjEEEEPS6_NSA_18transform_iteratorINSB_9not_fun_tI7is_trueIjEEENSC_INSD_IbEEEENSA_11use_defaultESO_EENS0_5tupleIJSF_S6_EEENSQ_IJSG_SG_EEES6_PlJS6_EEE10hipError_tPvRmT3_T4_T5_T6_T7_T9_mT8_P12ihipStream_tbDpT10_ENKUlT_T0_E_clISt17integral_constantIbLb1EES1D_EEDaS18_S19_EUlS18_E_NS1_11comp_targetILNS1_3genE10ELNS1_11target_archE1200ELNS1_3gpuE4ELNS1_3repE0EEENS1_30default_config_static_selectorELNS0_4arch9wavefront6targetE0EEEvT1_.has_indirect_call, 0
	.section	.AMDGPU.csdata,"",@progbits
; Kernel info:
; codeLenInByte = 4
; TotalNumSgprs: 0
; NumVgprs: 0
; ScratchSize: 0
; MemoryBound: 0
; FloatMode: 240
; IeeeMode: 1
; LDSByteSize: 0 bytes/workgroup (compile time only)
; SGPRBlocks: 0
; VGPRBlocks: 0
; NumSGPRsForWavesPerEU: 1
; NumVGPRsForWavesPerEU: 1
; Occupancy: 16
; WaveLimiterHint : 0
; COMPUTE_PGM_RSRC2:SCRATCH_EN: 0
; COMPUTE_PGM_RSRC2:USER_SGPR: 2
; COMPUTE_PGM_RSRC2:TRAP_HANDLER: 0
; COMPUTE_PGM_RSRC2:TGID_X_EN: 1
; COMPUTE_PGM_RSRC2:TGID_Y_EN: 0
; COMPUTE_PGM_RSRC2:TGID_Z_EN: 0
; COMPUTE_PGM_RSRC2:TIDIG_COMP_CNT: 0
	.section	.text._ZN7rocprim17ROCPRIM_400000_NS6detail17trampoline_kernelINS0_14default_configENS1_25partition_config_selectorILNS1_17partition_subalgoE5EjNS0_10empty_typeEbEEZZNS1_14partition_implILS5_5ELb0ES3_mN6thrust23THRUST_200600_302600_NS6detail15normal_iteratorINSA_10device_ptrIjEEEEPS6_NSA_18transform_iteratorINSB_9not_fun_tI7is_trueIjEEENSC_INSD_IbEEEENSA_11use_defaultESO_EENS0_5tupleIJSF_S6_EEENSQ_IJSG_SG_EEES6_PlJS6_EEE10hipError_tPvRmT3_T4_T5_T6_T7_T9_mT8_P12ihipStream_tbDpT10_ENKUlT_T0_E_clISt17integral_constantIbLb1EES1D_EEDaS18_S19_EUlS18_E_NS1_11comp_targetILNS1_3genE9ELNS1_11target_archE1100ELNS1_3gpuE3ELNS1_3repE0EEENS1_30default_config_static_selectorELNS0_4arch9wavefront6targetE0EEEvT1_,"axG",@progbits,_ZN7rocprim17ROCPRIM_400000_NS6detail17trampoline_kernelINS0_14default_configENS1_25partition_config_selectorILNS1_17partition_subalgoE5EjNS0_10empty_typeEbEEZZNS1_14partition_implILS5_5ELb0ES3_mN6thrust23THRUST_200600_302600_NS6detail15normal_iteratorINSA_10device_ptrIjEEEEPS6_NSA_18transform_iteratorINSB_9not_fun_tI7is_trueIjEEENSC_INSD_IbEEEENSA_11use_defaultESO_EENS0_5tupleIJSF_S6_EEENSQ_IJSG_SG_EEES6_PlJS6_EEE10hipError_tPvRmT3_T4_T5_T6_T7_T9_mT8_P12ihipStream_tbDpT10_ENKUlT_T0_E_clISt17integral_constantIbLb1EES1D_EEDaS18_S19_EUlS18_E_NS1_11comp_targetILNS1_3genE9ELNS1_11target_archE1100ELNS1_3gpuE3ELNS1_3repE0EEENS1_30default_config_static_selectorELNS0_4arch9wavefront6targetE0EEEvT1_,comdat
	.protected	_ZN7rocprim17ROCPRIM_400000_NS6detail17trampoline_kernelINS0_14default_configENS1_25partition_config_selectorILNS1_17partition_subalgoE5EjNS0_10empty_typeEbEEZZNS1_14partition_implILS5_5ELb0ES3_mN6thrust23THRUST_200600_302600_NS6detail15normal_iteratorINSA_10device_ptrIjEEEEPS6_NSA_18transform_iteratorINSB_9not_fun_tI7is_trueIjEEENSC_INSD_IbEEEENSA_11use_defaultESO_EENS0_5tupleIJSF_S6_EEENSQ_IJSG_SG_EEES6_PlJS6_EEE10hipError_tPvRmT3_T4_T5_T6_T7_T9_mT8_P12ihipStream_tbDpT10_ENKUlT_T0_E_clISt17integral_constantIbLb1EES1D_EEDaS18_S19_EUlS18_E_NS1_11comp_targetILNS1_3genE9ELNS1_11target_archE1100ELNS1_3gpuE3ELNS1_3repE0EEENS1_30default_config_static_selectorELNS0_4arch9wavefront6targetE0EEEvT1_ ; -- Begin function _ZN7rocprim17ROCPRIM_400000_NS6detail17trampoline_kernelINS0_14default_configENS1_25partition_config_selectorILNS1_17partition_subalgoE5EjNS0_10empty_typeEbEEZZNS1_14partition_implILS5_5ELb0ES3_mN6thrust23THRUST_200600_302600_NS6detail15normal_iteratorINSA_10device_ptrIjEEEEPS6_NSA_18transform_iteratorINSB_9not_fun_tI7is_trueIjEEENSC_INSD_IbEEEENSA_11use_defaultESO_EENS0_5tupleIJSF_S6_EEENSQ_IJSG_SG_EEES6_PlJS6_EEE10hipError_tPvRmT3_T4_T5_T6_T7_T9_mT8_P12ihipStream_tbDpT10_ENKUlT_T0_E_clISt17integral_constantIbLb1EES1D_EEDaS18_S19_EUlS18_E_NS1_11comp_targetILNS1_3genE9ELNS1_11target_archE1100ELNS1_3gpuE3ELNS1_3repE0EEENS1_30default_config_static_selectorELNS0_4arch9wavefront6targetE0EEEvT1_
	.globl	_ZN7rocprim17ROCPRIM_400000_NS6detail17trampoline_kernelINS0_14default_configENS1_25partition_config_selectorILNS1_17partition_subalgoE5EjNS0_10empty_typeEbEEZZNS1_14partition_implILS5_5ELb0ES3_mN6thrust23THRUST_200600_302600_NS6detail15normal_iteratorINSA_10device_ptrIjEEEEPS6_NSA_18transform_iteratorINSB_9not_fun_tI7is_trueIjEEENSC_INSD_IbEEEENSA_11use_defaultESO_EENS0_5tupleIJSF_S6_EEENSQ_IJSG_SG_EEES6_PlJS6_EEE10hipError_tPvRmT3_T4_T5_T6_T7_T9_mT8_P12ihipStream_tbDpT10_ENKUlT_T0_E_clISt17integral_constantIbLb1EES1D_EEDaS18_S19_EUlS18_E_NS1_11comp_targetILNS1_3genE9ELNS1_11target_archE1100ELNS1_3gpuE3ELNS1_3repE0EEENS1_30default_config_static_selectorELNS0_4arch9wavefront6targetE0EEEvT1_
	.p2align	8
	.type	_ZN7rocprim17ROCPRIM_400000_NS6detail17trampoline_kernelINS0_14default_configENS1_25partition_config_selectorILNS1_17partition_subalgoE5EjNS0_10empty_typeEbEEZZNS1_14partition_implILS5_5ELb0ES3_mN6thrust23THRUST_200600_302600_NS6detail15normal_iteratorINSA_10device_ptrIjEEEEPS6_NSA_18transform_iteratorINSB_9not_fun_tI7is_trueIjEEENSC_INSD_IbEEEENSA_11use_defaultESO_EENS0_5tupleIJSF_S6_EEENSQ_IJSG_SG_EEES6_PlJS6_EEE10hipError_tPvRmT3_T4_T5_T6_T7_T9_mT8_P12ihipStream_tbDpT10_ENKUlT_T0_E_clISt17integral_constantIbLb1EES1D_EEDaS18_S19_EUlS18_E_NS1_11comp_targetILNS1_3genE9ELNS1_11target_archE1100ELNS1_3gpuE3ELNS1_3repE0EEENS1_30default_config_static_selectorELNS0_4arch9wavefront6targetE0EEEvT1_,@function
_ZN7rocprim17ROCPRIM_400000_NS6detail17trampoline_kernelINS0_14default_configENS1_25partition_config_selectorILNS1_17partition_subalgoE5EjNS0_10empty_typeEbEEZZNS1_14partition_implILS5_5ELb0ES3_mN6thrust23THRUST_200600_302600_NS6detail15normal_iteratorINSA_10device_ptrIjEEEEPS6_NSA_18transform_iteratorINSB_9not_fun_tI7is_trueIjEEENSC_INSD_IbEEEENSA_11use_defaultESO_EENS0_5tupleIJSF_S6_EEENSQ_IJSG_SG_EEES6_PlJS6_EEE10hipError_tPvRmT3_T4_T5_T6_T7_T9_mT8_P12ihipStream_tbDpT10_ENKUlT_T0_E_clISt17integral_constantIbLb1EES1D_EEDaS18_S19_EUlS18_E_NS1_11comp_targetILNS1_3genE9ELNS1_11target_archE1100ELNS1_3gpuE3ELNS1_3repE0EEENS1_30default_config_static_selectorELNS0_4arch9wavefront6targetE0EEEvT1_: ; @_ZN7rocprim17ROCPRIM_400000_NS6detail17trampoline_kernelINS0_14default_configENS1_25partition_config_selectorILNS1_17partition_subalgoE5EjNS0_10empty_typeEbEEZZNS1_14partition_implILS5_5ELb0ES3_mN6thrust23THRUST_200600_302600_NS6detail15normal_iteratorINSA_10device_ptrIjEEEEPS6_NSA_18transform_iteratorINSB_9not_fun_tI7is_trueIjEEENSC_INSD_IbEEEENSA_11use_defaultESO_EENS0_5tupleIJSF_S6_EEENSQ_IJSG_SG_EEES6_PlJS6_EEE10hipError_tPvRmT3_T4_T5_T6_T7_T9_mT8_P12ihipStream_tbDpT10_ENKUlT_T0_E_clISt17integral_constantIbLb1EES1D_EEDaS18_S19_EUlS18_E_NS1_11comp_targetILNS1_3genE9ELNS1_11target_archE1100ELNS1_3gpuE3ELNS1_3repE0EEENS1_30default_config_static_selectorELNS0_4arch9wavefront6targetE0EEEvT1_
; %bb.0:
	.section	.rodata,"a",@progbits
	.p2align	6, 0x0
	.amdhsa_kernel _ZN7rocprim17ROCPRIM_400000_NS6detail17trampoline_kernelINS0_14default_configENS1_25partition_config_selectorILNS1_17partition_subalgoE5EjNS0_10empty_typeEbEEZZNS1_14partition_implILS5_5ELb0ES3_mN6thrust23THRUST_200600_302600_NS6detail15normal_iteratorINSA_10device_ptrIjEEEEPS6_NSA_18transform_iteratorINSB_9not_fun_tI7is_trueIjEEENSC_INSD_IbEEEENSA_11use_defaultESO_EENS0_5tupleIJSF_S6_EEENSQ_IJSG_SG_EEES6_PlJS6_EEE10hipError_tPvRmT3_T4_T5_T6_T7_T9_mT8_P12ihipStream_tbDpT10_ENKUlT_T0_E_clISt17integral_constantIbLb1EES1D_EEDaS18_S19_EUlS18_E_NS1_11comp_targetILNS1_3genE9ELNS1_11target_archE1100ELNS1_3gpuE3ELNS1_3repE0EEENS1_30default_config_static_selectorELNS0_4arch9wavefront6targetE0EEEvT1_
		.amdhsa_group_segment_fixed_size 0
		.amdhsa_private_segment_fixed_size 0
		.amdhsa_kernarg_size 136
		.amdhsa_user_sgpr_count 2
		.amdhsa_user_sgpr_dispatch_ptr 0
		.amdhsa_user_sgpr_queue_ptr 0
		.amdhsa_user_sgpr_kernarg_segment_ptr 1
		.amdhsa_user_sgpr_dispatch_id 0
		.amdhsa_user_sgpr_private_segment_size 0
		.amdhsa_wavefront_size32 1
		.amdhsa_uses_dynamic_stack 0
		.amdhsa_enable_private_segment 0
		.amdhsa_system_sgpr_workgroup_id_x 1
		.amdhsa_system_sgpr_workgroup_id_y 0
		.amdhsa_system_sgpr_workgroup_id_z 0
		.amdhsa_system_sgpr_workgroup_info 0
		.amdhsa_system_vgpr_workitem_id 0
		.amdhsa_next_free_vgpr 1
		.amdhsa_next_free_sgpr 1
		.amdhsa_reserve_vcc 0
		.amdhsa_float_round_mode_32 0
		.amdhsa_float_round_mode_16_64 0
		.amdhsa_float_denorm_mode_32 3
		.amdhsa_float_denorm_mode_16_64 3
		.amdhsa_fp16_overflow 0
		.amdhsa_workgroup_processor_mode 1
		.amdhsa_memory_ordered 1
		.amdhsa_forward_progress 1
		.amdhsa_inst_pref_size 0
		.amdhsa_round_robin_scheduling 0
		.amdhsa_exception_fp_ieee_invalid_op 0
		.amdhsa_exception_fp_denorm_src 0
		.amdhsa_exception_fp_ieee_div_zero 0
		.amdhsa_exception_fp_ieee_overflow 0
		.amdhsa_exception_fp_ieee_underflow 0
		.amdhsa_exception_fp_ieee_inexact 0
		.amdhsa_exception_int_div_zero 0
	.end_amdhsa_kernel
	.section	.text._ZN7rocprim17ROCPRIM_400000_NS6detail17trampoline_kernelINS0_14default_configENS1_25partition_config_selectorILNS1_17partition_subalgoE5EjNS0_10empty_typeEbEEZZNS1_14partition_implILS5_5ELb0ES3_mN6thrust23THRUST_200600_302600_NS6detail15normal_iteratorINSA_10device_ptrIjEEEEPS6_NSA_18transform_iteratorINSB_9not_fun_tI7is_trueIjEEENSC_INSD_IbEEEENSA_11use_defaultESO_EENS0_5tupleIJSF_S6_EEENSQ_IJSG_SG_EEES6_PlJS6_EEE10hipError_tPvRmT3_T4_T5_T6_T7_T9_mT8_P12ihipStream_tbDpT10_ENKUlT_T0_E_clISt17integral_constantIbLb1EES1D_EEDaS18_S19_EUlS18_E_NS1_11comp_targetILNS1_3genE9ELNS1_11target_archE1100ELNS1_3gpuE3ELNS1_3repE0EEENS1_30default_config_static_selectorELNS0_4arch9wavefront6targetE0EEEvT1_,"axG",@progbits,_ZN7rocprim17ROCPRIM_400000_NS6detail17trampoline_kernelINS0_14default_configENS1_25partition_config_selectorILNS1_17partition_subalgoE5EjNS0_10empty_typeEbEEZZNS1_14partition_implILS5_5ELb0ES3_mN6thrust23THRUST_200600_302600_NS6detail15normal_iteratorINSA_10device_ptrIjEEEEPS6_NSA_18transform_iteratorINSB_9not_fun_tI7is_trueIjEEENSC_INSD_IbEEEENSA_11use_defaultESO_EENS0_5tupleIJSF_S6_EEENSQ_IJSG_SG_EEES6_PlJS6_EEE10hipError_tPvRmT3_T4_T5_T6_T7_T9_mT8_P12ihipStream_tbDpT10_ENKUlT_T0_E_clISt17integral_constantIbLb1EES1D_EEDaS18_S19_EUlS18_E_NS1_11comp_targetILNS1_3genE9ELNS1_11target_archE1100ELNS1_3gpuE3ELNS1_3repE0EEENS1_30default_config_static_selectorELNS0_4arch9wavefront6targetE0EEEvT1_,comdat
.Lfunc_end2443:
	.size	_ZN7rocprim17ROCPRIM_400000_NS6detail17trampoline_kernelINS0_14default_configENS1_25partition_config_selectorILNS1_17partition_subalgoE5EjNS0_10empty_typeEbEEZZNS1_14partition_implILS5_5ELb0ES3_mN6thrust23THRUST_200600_302600_NS6detail15normal_iteratorINSA_10device_ptrIjEEEEPS6_NSA_18transform_iteratorINSB_9not_fun_tI7is_trueIjEEENSC_INSD_IbEEEENSA_11use_defaultESO_EENS0_5tupleIJSF_S6_EEENSQ_IJSG_SG_EEES6_PlJS6_EEE10hipError_tPvRmT3_T4_T5_T6_T7_T9_mT8_P12ihipStream_tbDpT10_ENKUlT_T0_E_clISt17integral_constantIbLb1EES1D_EEDaS18_S19_EUlS18_E_NS1_11comp_targetILNS1_3genE9ELNS1_11target_archE1100ELNS1_3gpuE3ELNS1_3repE0EEENS1_30default_config_static_selectorELNS0_4arch9wavefront6targetE0EEEvT1_, .Lfunc_end2443-_ZN7rocprim17ROCPRIM_400000_NS6detail17trampoline_kernelINS0_14default_configENS1_25partition_config_selectorILNS1_17partition_subalgoE5EjNS0_10empty_typeEbEEZZNS1_14partition_implILS5_5ELb0ES3_mN6thrust23THRUST_200600_302600_NS6detail15normal_iteratorINSA_10device_ptrIjEEEEPS6_NSA_18transform_iteratorINSB_9not_fun_tI7is_trueIjEEENSC_INSD_IbEEEENSA_11use_defaultESO_EENS0_5tupleIJSF_S6_EEENSQ_IJSG_SG_EEES6_PlJS6_EEE10hipError_tPvRmT3_T4_T5_T6_T7_T9_mT8_P12ihipStream_tbDpT10_ENKUlT_T0_E_clISt17integral_constantIbLb1EES1D_EEDaS18_S19_EUlS18_E_NS1_11comp_targetILNS1_3genE9ELNS1_11target_archE1100ELNS1_3gpuE3ELNS1_3repE0EEENS1_30default_config_static_selectorELNS0_4arch9wavefront6targetE0EEEvT1_
                                        ; -- End function
	.set _ZN7rocprim17ROCPRIM_400000_NS6detail17trampoline_kernelINS0_14default_configENS1_25partition_config_selectorILNS1_17partition_subalgoE5EjNS0_10empty_typeEbEEZZNS1_14partition_implILS5_5ELb0ES3_mN6thrust23THRUST_200600_302600_NS6detail15normal_iteratorINSA_10device_ptrIjEEEEPS6_NSA_18transform_iteratorINSB_9not_fun_tI7is_trueIjEEENSC_INSD_IbEEEENSA_11use_defaultESO_EENS0_5tupleIJSF_S6_EEENSQ_IJSG_SG_EEES6_PlJS6_EEE10hipError_tPvRmT3_T4_T5_T6_T7_T9_mT8_P12ihipStream_tbDpT10_ENKUlT_T0_E_clISt17integral_constantIbLb1EES1D_EEDaS18_S19_EUlS18_E_NS1_11comp_targetILNS1_3genE9ELNS1_11target_archE1100ELNS1_3gpuE3ELNS1_3repE0EEENS1_30default_config_static_selectorELNS0_4arch9wavefront6targetE0EEEvT1_.num_vgpr, 0
	.set _ZN7rocprim17ROCPRIM_400000_NS6detail17trampoline_kernelINS0_14default_configENS1_25partition_config_selectorILNS1_17partition_subalgoE5EjNS0_10empty_typeEbEEZZNS1_14partition_implILS5_5ELb0ES3_mN6thrust23THRUST_200600_302600_NS6detail15normal_iteratorINSA_10device_ptrIjEEEEPS6_NSA_18transform_iteratorINSB_9not_fun_tI7is_trueIjEEENSC_INSD_IbEEEENSA_11use_defaultESO_EENS0_5tupleIJSF_S6_EEENSQ_IJSG_SG_EEES6_PlJS6_EEE10hipError_tPvRmT3_T4_T5_T6_T7_T9_mT8_P12ihipStream_tbDpT10_ENKUlT_T0_E_clISt17integral_constantIbLb1EES1D_EEDaS18_S19_EUlS18_E_NS1_11comp_targetILNS1_3genE9ELNS1_11target_archE1100ELNS1_3gpuE3ELNS1_3repE0EEENS1_30default_config_static_selectorELNS0_4arch9wavefront6targetE0EEEvT1_.num_agpr, 0
	.set _ZN7rocprim17ROCPRIM_400000_NS6detail17trampoline_kernelINS0_14default_configENS1_25partition_config_selectorILNS1_17partition_subalgoE5EjNS0_10empty_typeEbEEZZNS1_14partition_implILS5_5ELb0ES3_mN6thrust23THRUST_200600_302600_NS6detail15normal_iteratorINSA_10device_ptrIjEEEEPS6_NSA_18transform_iteratorINSB_9not_fun_tI7is_trueIjEEENSC_INSD_IbEEEENSA_11use_defaultESO_EENS0_5tupleIJSF_S6_EEENSQ_IJSG_SG_EEES6_PlJS6_EEE10hipError_tPvRmT3_T4_T5_T6_T7_T9_mT8_P12ihipStream_tbDpT10_ENKUlT_T0_E_clISt17integral_constantIbLb1EES1D_EEDaS18_S19_EUlS18_E_NS1_11comp_targetILNS1_3genE9ELNS1_11target_archE1100ELNS1_3gpuE3ELNS1_3repE0EEENS1_30default_config_static_selectorELNS0_4arch9wavefront6targetE0EEEvT1_.numbered_sgpr, 0
	.set _ZN7rocprim17ROCPRIM_400000_NS6detail17trampoline_kernelINS0_14default_configENS1_25partition_config_selectorILNS1_17partition_subalgoE5EjNS0_10empty_typeEbEEZZNS1_14partition_implILS5_5ELb0ES3_mN6thrust23THRUST_200600_302600_NS6detail15normal_iteratorINSA_10device_ptrIjEEEEPS6_NSA_18transform_iteratorINSB_9not_fun_tI7is_trueIjEEENSC_INSD_IbEEEENSA_11use_defaultESO_EENS0_5tupleIJSF_S6_EEENSQ_IJSG_SG_EEES6_PlJS6_EEE10hipError_tPvRmT3_T4_T5_T6_T7_T9_mT8_P12ihipStream_tbDpT10_ENKUlT_T0_E_clISt17integral_constantIbLb1EES1D_EEDaS18_S19_EUlS18_E_NS1_11comp_targetILNS1_3genE9ELNS1_11target_archE1100ELNS1_3gpuE3ELNS1_3repE0EEENS1_30default_config_static_selectorELNS0_4arch9wavefront6targetE0EEEvT1_.num_named_barrier, 0
	.set _ZN7rocprim17ROCPRIM_400000_NS6detail17trampoline_kernelINS0_14default_configENS1_25partition_config_selectorILNS1_17partition_subalgoE5EjNS0_10empty_typeEbEEZZNS1_14partition_implILS5_5ELb0ES3_mN6thrust23THRUST_200600_302600_NS6detail15normal_iteratorINSA_10device_ptrIjEEEEPS6_NSA_18transform_iteratorINSB_9not_fun_tI7is_trueIjEEENSC_INSD_IbEEEENSA_11use_defaultESO_EENS0_5tupleIJSF_S6_EEENSQ_IJSG_SG_EEES6_PlJS6_EEE10hipError_tPvRmT3_T4_T5_T6_T7_T9_mT8_P12ihipStream_tbDpT10_ENKUlT_T0_E_clISt17integral_constantIbLb1EES1D_EEDaS18_S19_EUlS18_E_NS1_11comp_targetILNS1_3genE9ELNS1_11target_archE1100ELNS1_3gpuE3ELNS1_3repE0EEENS1_30default_config_static_selectorELNS0_4arch9wavefront6targetE0EEEvT1_.private_seg_size, 0
	.set _ZN7rocprim17ROCPRIM_400000_NS6detail17trampoline_kernelINS0_14default_configENS1_25partition_config_selectorILNS1_17partition_subalgoE5EjNS0_10empty_typeEbEEZZNS1_14partition_implILS5_5ELb0ES3_mN6thrust23THRUST_200600_302600_NS6detail15normal_iteratorINSA_10device_ptrIjEEEEPS6_NSA_18transform_iteratorINSB_9not_fun_tI7is_trueIjEEENSC_INSD_IbEEEENSA_11use_defaultESO_EENS0_5tupleIJSF_S6_EEENSQ_IJSG_SG_EEES6_PlJS6_EEE10hipError_tPvRmT3_T4_T5_T6_T7_T9_mT8_P12ihipStream_tbDpT10_ENKUlT_T0_E_clISt17integral_constantIbLb1EES1D_EEDaS18_S19_EUlS18_E_NS1_11comp_targetILNS1_3genE9ELNS1_11target_archE1100ELNS1_3gpuE3ELNS1_3repE0EEENS1_30default_config_static_selectorELNS0_4arch9wavefront6targetE0EEEvT1_.uses_vcc, 0
	.set _ZN7rocprim17ROCPRIM_400000_NS6detail17trampoline_kernelINS0_14default_configENS1_25partition_config_selectorILNS1_17partition_subalgoE5EjNS0_10empty_typeEbEEZZNS1_14partition_implILS5_5ELb0ES3_mN6thrust23THRUST_200600_302600_NS6detail15normal_iteratorINSA_10device_ptrIjEEEEPS6_NSA_18transform_iteratorINSB_9not_fun_tI7is_trueIjEEENSC_INSD_IbEEEENSA_11use_defaultESO_EENS0_5tupleIJSF_S6_EEENSQ_IJSG_SG_EEES6_PlJS6_EEE10hipError_tPvRmT3_T4_T5_T6_T7_T9_mT8_P12ihipStream_tbDpT10_ENKUlT_T0_E_clISt17integral_constantIbLb1EES1D_EEDaS18_S19_EUlS18_E_NS1_11comp_targetILNS1_3genE9ELNS1_11target_archE1100ELNS1_3gpuE3ELNS1_3repE0EEENS1_30default_config_static_selectorELNS0_4arch9wavefront6targetE0EEEvT1_.uses_flat_scratch, 0
	.set _ZN7rocprim17ROCPRIM_400000_NS6detail17trampoline_kernelINS0_14default_configENS1_25partition_config_selectorILNS1_17partition_subalgoE5EjNS0_10empty_typeEbEEZZNS1_14partition_implILS5_5ELb0ES3_mN6thrust23THRUST_200600_302600_NS6detail15normal_iteratorINSA_10device_ptrIjEEEEPS6_NSA_18transform_iteratorINSB_9not_fun_tI7is_trueIjEEENSC_INSD_IbEEEENSA_11use_defaultESO_EENS0_5tupleIJSF_S6_EEENSQ_IJSG_SG_EEES6_PlJS6_EEE10hipError_tPvRmT3_T4_T5_T6_T7_T9_mT8_P12ihipStream_tbDpT10_ENKUlT_T0_E_clISt17integral_constantIbLb1EES1D_EEDaS18_S19_EUlS18_E_NS1_11comp_targetILNS1_3genE9ELNS1_11target_archE1100ELNS1_3gpuE3ELNS1_3repE0EEENS1_30default_config_static_selectorELNS0_4arch9wavefront6targetE0EEEvT1_.has_dyn_sized_stack, 0
	.set _ZN7rocprim17ROCPRIM_400000_NS6detail17trampoline_kernelINS0_14default_configENS1_25partition_config_selectorILNS1_17partition_subalgoE5EjNS0_10empty_typeEbEEZZNS1_14partition_implILS5_5ELb0ES3_mN6thrust23THRUST_200600_302600_NS6detail15normal_iteratorINSA_10device_ptrIjEEEEPS6_NSA_18transform_iteratorINSB_9not_fun_tI7is_trueIjEEENSC_INSD_IbEEEENSA_11use_defaultESO_EENS0_5tupleIJSF_S6_EEENSQ_IJSG_SG_EEES6_PlJS6_EEE10hipError_tPvRmT3_T4_T5_T6_T7_T9_mT8_P12ihipStream_tbDpT10_ENKUlT_T0_E_clISt17integral_constantIbLb1EES1D_EEDaS18_S19_EUlS18_E_NS1_11comp_targetILNS1_3genE9ELNS1_11target_archE1100ELNS1_3gpuE3ELNS1_3repE0EEENS1_30default_config_static_selectorELNS0_4arch9wavefront6targetE0EEEvT1_.has_recursion, 0
	.set _ZN7rocprim17ROCPRIM_400000_NS6detail17trampoline_kernelINS0_14default_configENS1_25partition_config_selectorILNS1_17partition_subalgoE5EjNS0_10empty_typeEbEEZZNS1_14partition_implILS5_5ELb0ES3_mN6thrust23THRUST_200600_302600_NS6detail15normal_iteratorINSA_10device_ptrIjEEEEPS6_NSA_18transform_iteratorINSB_9not_fun_tI7is_trueIjEEENSC_INSD_IbEEEENSA_11use_defaultESO_EENS0_5tupleIJSF_S6_EEENSQ_IJSG_SG_EEES6_PlJS6_EEE10hipError_tPvRmT3_T4_T5_T6_T7_T9_mT8_P12ihipStream_tbDpT10_ENKUlT_T0_E_clISt17integral_constantIbLb1EES1D_EEDaS18_S19_EUlS18_E_NS1_11comp_targetILNS1_3genE9ELNS1_11target_archE1100ELNS1_3gpuE3ELNS1_3repE0EEENS1_30default_config_static_selectorELNS0_4arch9wavefront6targetE0EEEvT1_.has_indirect_call, 0
	.section	.AMDGPU.csdata,"",@progbits
; Kernel info:
; codeLenInByte = 0
; TotalNumSgprs: 0
; NumVgprs: 0
; ScratchSize: 0
; MemoryBound: 0
; FloatMode: 240
; IeeeMode: 1
; LDSByteSize: 0 bytes/workgroup (compile time only)
; SGPRBlocks: 0
; VGPRBlocks: 0
; NumSGPRsForWavesPerEU: 1
; NumVGPRsForWavesPerEU: 1
; Occupancy: 16
; WaveLimiterHint : 0
; COMPUTE_PGM_RSRC2:SCRATCH_EN: 0
; COMPUTE_PGM_RSRC2:USER_SGPR: 2
; COMPUTE_PGM_RSRC2:TRAP_HANDLER: 0
; COMPUTE_PGM_RSRC2:TGID_X_EN: 1
; COMPUTE_PGM_RSRC2:TGID_Y_EN: 0
; COMPUTE_PGM_RSRC2:TGID_Z_EN: 0
; COMPUTE_PGM_RSRC2:TIDIG_COMP_CNT: 0
	.section	.text._ZN7rocprim17ROCPRIM_400000_NS6detail17trampoline_kernelINS0_14default_configENS1_25partition_config_selectorILNS1_17partition_subalgoE5EjNS0_10empty_typeEbEEZZNS1_14partition_implILS5_5ELb0ES3_mN6thrust23THRUST_200600_302600_NS6detail15normal_iteratorINSA_10device_ptrIjEEEEPS6_NSA_18transform_iteratorINSB_9not_fun_tI7is_trueIjEEENSC_INSD_IbEEEENSA_11use_defaultESO_EENS0_5tupleIJSF_S6_EEENSQ_IJSG_SG_EEES6_PlJS6_EEE10hipError_tPvRmT3_T4_T5_T6_T7_T9_mT8_P12ihipStream_tbDpT10_ENKUlT_T0_E_clISt17integral_constantIbLb1EES1D_EEDaS18_S19_EUlS18_E_NS1_11comp_targetILNS1_3genE8ELNS1_11target_archE1030ELNS1_3gpuE2ELNS1_3repE0EEENS1_30default_config_static_selectorELNS0_4arch9wavefront6targetE0EEEvT1_,"axG",@progbits,_ZN7rocprim17ROCPRIM_400000_NS6detail17trampoline_kernelINS0_14default_configENS1_25partition_config_selectorILNS1_17partition_subalgoE5EjNS0_10empty_typeEbEEZZNS1_14partition_implILS5_5ELb0ES3_mN6thrust23THRUST_200600_302600_NS6detail15normal_iteratorINSA_10device_ptrIjEEEEPS6_NSA_18transform_iteratorINSB_9not_fun_tI7is_trueIjEEENSC_INSD_IbEEEENSA_11use_defaultESO_EENS0_5tupleIJSF_S6_EEENSQ_IJSG_SG_EEES6_PlJS6_EEE10hipError_tPvRmT3_T4_T5_T6_T7_T9_mT8_P12ihipStream_tbDpT10_ENKUlT_T0_E_clISt17integral_constantIbLb1EES1D_EEDaS18_S19_EUlS18_E_NS1_11comp_targetILNS1_3genE8ELNS1_11target_archE1030ELNS1_3gpuE2ELNS1_3repE0EEENS1_30default_config_static_selectorELNS0_4arch9wavefront6targetE0EEEvT1_,comdat
	.protected	_ZN7rocprim17ROCPRIM_400000_NS6detail17trampoline_kernelINS0_14default_configENS1_25partition_config_selectorILNS1_17partition_subalgoE5EjNS0_10empty_typeEbEEZZNS1_14partition_implILS5_5ELb0ES3_mN6thrust23THRUST_200600_302600_NS6detail15normal_iteratorINSA_10device_ptrIjEEEEPS6_NSA_18transform_iteratorINSB_9not_fun_tI7is_trueIjEEENSC_INSD_IbEEEENSA_11use_defaultESO_EENS0_5tupleIJSF_S6_EEENSQ_IJSG_SG_EEES6_PlJS6_EEE10hipError_tPvRmT3_T4_T5_T6_T7_T9_mT8_P12ihipStream_tbDpT10_ENKUlT_T0_E_clISt17integral_constantIbLb1EES1D_EEDaS18_S19_EUlS18_E_NS1_11comp_targetILNS1_3genE8ELNS1_11target_archE1030ELNS1_3gpuE2ELNS1_3repE0EEENS1_30default_config_static_selectorELNS0_4arch9wavefront6targetE0EEEvT1_ ; -- Begin function _ZN7rocprim17ROCPRIM_400000_NS6detail17trampoline_kernelINS0_14default_configENS1_25partition_config_selectorILNS1_17partition_subalgoE5EjNS0_10empty_typeEbEEZZNS1_14partition_implILS5_5ELb0ES3_mN6thrust23THRUST_200600_302600_NS6detail15normal_iteratorINSA_10device_ptrIjEEEEPS6_NSA_18transform_iteratorINSB_9not_fun_tI7is_trueIjEEENSC_INSD_IbEEEENSA_11use_defaultESO_EENS0_5tupleIJSF_S6_EEENSQ_IJSG_SG_EEES6_PlJS6_EEE10hipError_tPvRmT3_T4_T5_T6_T7_T9_mT8_P12ihipStream_tbDpT10_ENKUlT_T0_E_clISt17integral_constantIbLb1EES1D_EEDaS18_S19_EUlS18_E_NS1_11comp_targetILNS1_3genE8ELNS1_11target_archE1030ELNS1_3gpuE2ELNS1_3repE0EEENS1_30default_config_static_selectorELNS0_4arch9wavefront6targetE0EEEvT1_
	.globl	_ZN7rocprim17ROCPRIM_400000_NS6detail17trampoline_kernelINS0_14default_configENS1_25partition_config_selectorILNS1_17partition_subalgoE5EjNS0_10empty_typeEbEEZZNS1_14partition_implILS5_5ELb0ES3_mN6thrust23THRUST_200600_302600_NS6detail15normal_iteratorINSA_10device_ptrIjEEEEPS6_NSA_18transform_iteratorINSB_9not_fun_tI7is_trueIjEEENSC_INSD_IbEEEENSA_11use_defaultESO_EENS0_5tupleIJSF_S6_EEENSQ_IJSG_SG_EEES6_PlJS6_EEE10hipError_tPvRmT3_T4_T5_T6_T7_T9_mT8_P12ihipStream_tbDpT10_ENKUlT_T0_E_clISt17integral_constantIbLb1EES1D_EEDaS18_S19_EUlS18_E_NS1_11comp_targetILNS1_3genE8ELNS1_11target_archE1030ELNS1_3gpuE2ELNS1_3repE0EEENS1_30default_config_static_selectorELNS0_4arch9wavefront6targetE0EEEvT1_
	.p2align	8
	.type	_ZN7rocprim17ROCPRIM_400000_NS6detail17trampoline_kernelINS0_14default_configENS1_25partition_config_selectorILNS1_17partition_subalgoE5EjNS0_10empty_typeEbEEZZNS1_14partition_implILS5_5ELb0ES3_mN6thrust23THRUST_200600_302600_NS6detail15normal_iteratorINSA_10device_ptrIjEEEEPS6_NSA_18transform_iteratorINSB_9not_fun_tI7is_trueIjEEENSC_INSD_IbEEEENSA_11use_defaultESO_EENS0_5tupleIJSF_S6_EEENSQ_IJSG_SG_EEES6_PlJS6_EEE10hipError_tPvRmT3_T4_T5_T6_T7_T9_mT8_P12ihipStream_tbDpT10_ENKUlT_T0_E_clISt17integral_constantIbLb1EES1D_EEDaS18_S19_EUlS18_E_NS1_11comp_targetILNS1_3genE8ELNS1_11target_archE1030ELNS1_3gpuE2ELNS1_3repE0EEENS1_30default_config_static_selectorELNS0_4arch9wavefront6targetE0EEEvT1_,@function
_ZN7rocprim17ROCPRIM_400000_NS6detail17trampoline_kernelINS0_14default_configENS1_25partition_config_selectorILNS1_17partition_subalgoE5EjNS0_10empty_typeEbEEZZNS1_14partition_implILS5_5ELb0ES3_mN6thrust23THRUST_200600_302600_NS6detail15normal_iteratorINSA_10device_ptrIjEEEEPS6_NSA_18transform_iteratorINSB_9not_fun_tI7is_trueIjEEENSC_INSD_IbEEEENSA_11use_defaultESO_EENS0_5tupleIJSF_S6_EEENSQ_IJSG_SG_EEES6_PlJS6_EEE10hipError_tPvRmT3_T4_T5_T6_T7_T9_mT8_P12ihipStream_tbDpT10_ENKUlT_T0_E_clISt17integral_constantIbLb1EES1D_EEDaS18_S19_EUlS18_E_NS1_11comp_targetILNS1_3genE8ELNS1_11target_archE1030ELNS1_3gpuE2ELNS1_3repE0EEENS1_30default_config_static_selectorELNS0_4arch9wavefront6targetE0EEEvT1_: ; @_ZN7rocprim17ROCPRIM_400000_NS6detail17trampoline_kernelINS0_14default_configENS1_25partition_config_selectorILNS1_17partition_subalgoE5EjNS0_10empty_typeEbEEZZNS1_14partition_implILS5_5ELb0ES3_mN6thrust23THRUST_200600_302600_NS6detail15normal_iteratorINSA_10device_ptrIjEEEEPS6_NSA_18transform_iteratorINSB_9not_fun_tI7is_trueIjEEENSC_INSD_IbEEEENSA_11use_defaultESO_EENS0_5tupleIJSF_S6_EEENSQ_IJSG_SG_EEES6_PlJS6_EEE10hipError_tPvRmT3_T4_T5_T6_T7_T9_mT8_P12ihipStream_tbDpT10_ENKUlT_T0_E_clISt17integral_constantIbLb1EES1D_EEDaS18_S19_EUlS18_E_NS1_11comp_targetILNS1_3genE8ELNS1_11target_archE1030ELNS1_3gpuE2ELNS1_3repE0EEENS1_30default_config_static_selectorELNS0_4arch9wavefront6targetE0EEEvT1_
; %bb.0:
	.section	.rodata,"a",@progbits
	.p2align	6, 0x0
	.amdhsa_kernel _ZN7rocprim17ROCPRIM_400000_NS6detail17trampoline_kernelINS0_14default_configENS1_25partition_config_selectorILNS1_17partition_subalgoE5EjNS0_10empty_typeEbEEZZNS1_14partition_implILS5_5ELb0ES3_mN6thrust23THRUST_200600_302600_NS6detail15normal_iteratorINSA_10device_ptrIjEEEEPS6_NSA_18transform_iteratorINSB_9not_fun_tI7is_trueIjEEENSC_INSD_IbEEEENSA_11use_defaultESO_EENS0_5tupleIJSF_S6_EEENSQ_IJSG_SG_EEES6_PlJS6_EEE10hipError_tPvRmT3_T4_T5_T6_T7_T9_mT8_P12ihipStream_tbDpT10_ENKUlT_T0_E_clISt17integral_constantIbLb1EES1D_EEDaS18_S19_EUlS18_E_NS1_11comp_targetILNS1_3genE8ELNS1_11target_archE1030ELNS1_3gpuE2ELNS1_3repE0EEENS1_30default_config_static_selectorELNS0_4arch9wavefront6targetE0EEEvT1_
		.amdhsa_group_segment_fixed_size 0
		.amdhsa_private_segment_fixed_size 0
		.amdhsa_kernarg_size 136
		.amdhsa_user_sgpr_count 2
		.amdhsa_user_sgpr_dispatch_ptr 0
		.amdhsa_user_sgpr_queue_ptr 0
		.amdhsa_user_sgpr_kernarg_segment_ptr 1
		.amdhsa_user_sgpr_dispatch_id 0
		.amdhsa_user_sgpr_private_segment_size 0
		.amdhsa_wavefront_size32 1
		.amdhsa_uses_dynamic_stack 0
		.amdhsa_enable_private_segment 0
		.amdhsa_system_sgpr_workgroup_id_x 1
		.amdhsa_system_sgpr_workgroup_id_y 0
		.amdhsa_system_sgpr_workgroup_id_z 0
		.amdhsa_system_sgpr_workgroup_info 0
		.amdhsa_system_vgpr_workitem_id 0
		.amdhsa_next_free_vgpr 1
		.amdhsa_next_free_sgpr 1
		.amdhsa_reserve_vcc 0
		.amdhsa_float_round_mode_32 0
		.amdhsa_float_round_mode_16_64 0
		.amdhsa_float_denorm_mode_32 3
		.amdhsa_float_denorm_mode_16_64 3
		.amdhsa_fp16_overflow 0
		.amdhsa_workgroup_processor_mode 1
		.amdhsa_memory_ordered 1
		.amdhsa_forward_progress 1
		.amdhsa_inst_pref_size 0
		.amdhsa_round_robin_scheduling 0
		.amdhsa_exception_fp_ieee_invalid_op 0
		.amdhsa_exception_fp_denorm_src 0
		.amdhsa_exception_fp_ieee_div_zero 0
		.amdhsa_exception_fp_ieee_overflow 0
		.amdhsa_exception_fp_ieee_underflow 0
		.amdhsa_exception_fp_ieee_inexact 0
		.amdhsa_exception_int_div_zero 0
	.end_amdhsa_kernel
	.section	.text._ZN7rocprim17ROCPRIM_400000_NS6detail17trampoline_kernelINS0_14default_configENS1_25partition_config_selectorILNS1_17partition_subalgoE5EjNS0_10empty_typeEbEEZZNS1_14partition_implILS5_5ELb0ES3_mN6thrust23THRUST_200600_302600_NS6detail15normal_iteratorINSA_10device_ptrIjEEEEPS6_NSA_18transform_iteratorINSB_9not_fun_tI7is_trueIjEEENSC_INSD_IbEEEENSA_11use_defaultESO_EENS0_5tupleIJSF_S6_EEENSQ_IJSG_SG_EEES6_PlJS6_EEE10hipError_tPvRmT3_T4_T5_T6_T7_T9_mT8_P12ihipStream_tbDpT10_ENKUlT_T0_E_clISt17integral_constantIbLb1EES1D_EEDaS18_S19_EUlS18_E_NS1_11comp_targetILNS1_3genE8ELNS1_11target_archE1030ELNS1_3gpuE2ELNS1_3repE0EEENS1_30default_config_static_selectorELNS0_4arch9wavefront6targetE0EEEvT1_,"axG",@progbits,_ZN7rocprim17ROCPRIM_400000_NS6detail17trampoline_kernelINS0_14default_configENS1_25partition_config_selectorILNS1_17partition_subalgoE5EjNS0_10empty_typeEbEEZZNS1_14partition_implILS5_5ELb0ES3_mN6thrust23THRUST_200600_302600_NS6detail15normal_iteratorINSA_10device_ptrIjEEEEPS6_NSA_18transform_iteratorINSB_9not_fun_tI7is_trueIjEEENSC_INSD_IbEEEENSA_11use_defaultESO_EENS0_5tupleIJSF_S6_EEENSQ_IJSG_SG_EEES6_PlJS6_EEE10hipError_tPvRmT3_T4_T5_T6_T7_T9_mT8_P12ihipStream_tbDpT10_ENKUlT_T0_E_clISt17integral_constantIbLb1EES1D_EEDaS18_S19_EUlS18_E_NS1_11comp_targetILNS1_3genE8ELNS1_11target_archE1030ELNS1_3gpuE2ELNS1_3repE0EEENS1_30default_config_static_selectorELNS0_4arch9wavefront6targetE0EEEvT1_,comdat
.Lfunc_end2444:
	.size	_ZN7rocprim17ROCPRIM_400000_NS6detail17trampoline_kernelINS0_14default_configENS1_25partition_config_selectorILNS1_17partition_subalgoE5EjNS0_10empty_typeEbEEZZNS1_14partition_implILS5_5ELb0ES3_mN6thrust23THRUST_200600_302600_NS6detail15normal_iteratorINSA_10device_ptrIjEEEEPS6_NSA_18transform_iteratorINSB_9not_fun_tI7is_trueIjEEENSC_INSD_IbEEEENSA_11use_defaultESO_EENS0_5tupleIJSF_S6_EEENSQ_IJSG_SG_EEES6_PlJS6_EEE10hipError_tPvRmT3_T4_T5_T6_T7_T9_mT8_P12ihipStream_tbDpT10_ENKUlT_T0_E_clISt17integral_constantIbLb1EES1D_EEDaS18_S19_EUlS18_E_NS1_11comp_targetILNS1_3genE8ELNS1_11target_archE1030ELNS1_3gpuE2ELNS1_3repE0EEENS1_30default_config_static_selectorELNS0_4arch9wavefront6targetE0EEEvT1_, .Lfunc_end2444-_ZN7rocprim17ROCPRIM_400000_NS6detail17trampoline_kernelINS0_14default_configENS1_25partition_config_selectorILNS1_17partition_subalgoE5EjNS0_10empty_typeEbEEZZNS1_14partition_implILS5_5ELb0ES3_mN6thrust23THRUST_200600_302600_NS6detail15normal_iteratorINSA_10device_ptrIjEEEEPS6_NSA_18transform_iteratorINSB_9not_fun_tI7is_trueIjEEENSC_INSD_IbEEEENSA_11use_defaultESO_EENS0_5tupleIJSF_S6_EEENSQ_IJSG_SG_EEES6_PlJS6_EEE10hipError_tPvRmT3_T4_T5_T6_T7_T9_mT8_P12ihipStream_tbDpT10_ENKUlT_T0_E_clISt17integral_constantIbLb1EES1D_EEDaS18_S19_EUlS18_E_NS1_11comp_targetILNS1_3genE8ELNS1_11target_archE1030ELNS1_3gpuE2ELNS1_3repE0EEENS1_30default_config_static_selectorELNS0_4arch9wavefront6targetE0EEEvT1_
                                        ; -- End function
	.set _ZN7rocprim17ROCPRIM_400000_NS6detail17trampoline_kernelINS0_14default_configENS1_25partition_config_selectorILNS1_17partition_subalgoE5EjNS0_10empty_typeEbEEZZNS1_14partition_implILS5_5ELb0ES3_mN6thrust23THRUST_200600_302600_NS6detail15normal_iteratorINSA_10device_ptrIjEEEEPS6_NSA_18transform_iteratorINSB_9not_fun_tI7is_trueIjEEENSC_INSD_IbEEEENSA_11use_defaultESO_EENS0_5tupleIJSF_S6_EEENSQ_IJSG_SG_EEES6_PlJS6_EEE10hipError_tPvRmT3_T4_T5_T6_T7_T9_mT8_P12ihipStream_tbDpT10_ENKUlT_T0_E_clISt17integral_constantIbLb1EES1D_EEDaS18_S19_EUlS18_E_NS1_11comp_targetILNS1_3genE8ELNS1_11target_archE1030ELNS1_3gpuE2ELNS1_3repE0EEENS1_30default_config_static_selectorELNS0_4arch9wavefront6targetE0EEEvT1_.num_vgpr, 0
	.set _ZN7rocprim17ROCPRIM_400000_NS6detail17trampoline_kernelINS0_14default_configENS1_25partition_config_selectorILNS1_17partition_subalgoE5EjNS0_10empty_typeEbEEZZNS1_14partition_implILS5_5ELb0ES3_mN6thrust23THRUST_200600_302600_NS6detail15normal_iteratorINSA_10device_ptrIjEEEEPS6_NSA_18transform_iteratorINSB_9not_fun_tI7is_trueIjEEENSC_INSD_IbEEEENSA_11use_defaultESO_EENS0_5tupleIJSF_S6_EEENSQ_IJSG_SG_EEES6_PlJS6_EEE10hipError_tPvRmT3_T4_T5_T6_T7_T9_mT8_P12ihipStream_tbDpT10_ENKUlT_T0_E_clISt17integral_constantIbLb1EES1D_EEDaS18_S19_EUlS18_E_NS1_11comp_targetILNS1_3genE8ELNS1_11target_archE1030ELNS1_3gpuE2ELNS1_3repE0EEENS1_30default_config_static_selectorELNS0_4arch9wavefront6targetE0EEEvT1_.num_agpr, 0
	.set _ZN7rocprim17ROCPRIM_400000_NS6detail17trampoline_kernelINS0_14default_configENS1_25partition_config_selectorILNS1_17partition_subalgoE5EjNS0_10empty_typeEbEEZZNS1_14partition_implILS5_5ELb0ES3_mN6thrust23THRUST_200600_302600_NS6detail15normal_iteratorINSA_10device_ptrIjEEEEPS6_NSA_18transform_iteratorINSB_9not_fun_tI7is_trueIjEEENSC_INSD_IbEEEENSA_11use_defaultESO_EENS0_5tupleIJSF_S6_EEENSQ_IJSG_SG_EEES6_PlJS6_EEE10hipError_tPvRmT3_T4_T5_T6_T7_T9_mT8_P12ihipStream_tbDpT10_ENKUlT_T0_E_clISt17integral_constantIbLb1EES1D_EEDaS18_S19_EUlS18_E_NS1_11comp_targetILNS1_3genE8ELNS1_11target_archE1030ELNS1_3gpuE2ELNS1_3repE0EEENS1_30default_config_static_selectorELNS0_4arch9wavefront6targetE0EEEvT1_.numbered_sgpr, 0
	.set _ZN7rocprim17ROCPRIM_400000_NS6detail17trampoline_kernelINS0_14default_configENS1_25partition_config_selectorILNS1_17partition_subalgoE5EjNS0_10empty_typeEbEEZZNS1_14partition_implILS5_5ELb0ES3_mN6thrust23THRUST_200600_302600_NS6detail15normal_iteratorINSA_10device_ptrIjEEEEPS6_NSA_18transform_iteratorINSB_9not_fun_tI7is_trueIjEEENSC_INSD_IbEEEENSA_11use_defaultESO_EENS0_5tupleIJSF_S6_EEENSQ_IJSG_SG_EEES6_PlJS6_EEE10hipError_tPvRmT3_T4_T5_T6_T7_T9_mT8_P12ihipStream_tbDpT10_ENKUlT_T0_E_clISt17integral_constantIbLb1EES1D_EEDaS18_S19_EUlS18_E_NS1_11comp_targetILNS1_3genE8ELNS1_11target_archE1030ELNS1_3gpuE2ELNS1_3repE0EEENS1_30default_config_static_selectorELNS0_4arch9wavefront6targetE0EEEvT1_.num_named_barrier, 0
	.set _ZN7rocprim17ROCPRIM_400000_NS6detail17trampoline_kernelINS0_14default_configENS1_25partition_config_selectorILNS1_17partition_subalgoE5EjNS0_10empty_typeEbEEZZNS1_14partition_implILS5_5ELb0ES3_mN6thrust23THRUST_200600_302600_NS6detail15normal_iteratorINSA_10device_ptrIjEEEEPS6_NSA_18transform_iteratorINSB_9not_fun_tI7is_trueIjEEENSC_INSD_IbEEEENSA_11use_defaultESO_EENS0_5tupleIJSF_S6_EEENSQ_IJSG_SG_EEES6_PlJS6_EEE10hipError_tPvRmT3_T4_T5_T6_T7_T9_mT8_P12ihipStream_tbDpT10_ENKUlT_T0_E_clISt17integral_constantIbLb1EES1D_EEDaS18_S19_EUlS18_E_NS1_11comp_targetILNS1_3genE8ELNS1_11target_archE1030ELNS1_3gpuE2ELNS1_3repE0EEENS1_30default_config_static_selectorELNS0_4arch9wavefront6targetE0EEEvT1_.private_seg_size, 0
	.set _ZN7rocprim17ROCPRIM_400000_NS6detail17trampoline_kernelINS0_14default_configENS1_25partition_config_selectorILNS1_17partition_subalgoE5EjNS0_10empty_typeEbEEZZNS1_14partition_implILS5_5ELb0ES3_mN6thrust23THRUST_200600_302600_NS6detail15normal_iteratorINSA_10device_ptrIjEEEEPS6_NSA_18transform_iteratorINSB_9not_fun_tI7is_trueIjEEENSC_INSD_IbEEEENSA_11use_defaultESO_EENS0_5tupleIJSF_S6_EEENSQ_IJSG_SG_EEES6_PlJS6_EEE10hipError_tPvRmT3_T4_T5_T6_T7_T9_mT8_P12ihipStream_tbDpT10_ENKUlT_T0_E_clISt17integral_constantIbLb1EES1D_EEDaS18_S19_EUlS18_E_NS1_11comp_targetILNS1_3genE8ELNS1_11target_archE1030ELNS1_3gpuE2ELNS1_3repE0EEENS1_30default_config_static_selectorELNS0_4arch9wavefront6targetE0EEEvT1_.uses_vcc, 0
	.set _ZN7rocprim17ROCPRIM_400000_NS6detail17trampoline_kernelINS0_14default_configENS1_25partition_config_selectorILNS1_17partition_subalgoE5EjNS0_10empty_typeEbEEZZNS1_14partition_implILS5_5ELb0ES3_mN6thrust23THRUST_200600_302600_NS6detail15normal_iteratorINSA_10device_ptrIjEEEEPS6_NSA_18transform_iteratorINSB_9not_fun_tI7is_trueIjEEENSC_INSD_IbEEEENSA_11use_defaultESO_EENS0_5tupleIJSF_S6_EEENSQ_IJSG_SG_EEES6_PlJS6_EEE10hipError_tPvRmT3_T4_T5_T6_T7_T9_mT8_P12ihipStream_tbDpT10_ENKUlT_T0_E_clISt17integral_constantIbLb1EES1D_EEDaS18_S19_EUlS18_E_NS1_11comp_targetILNS1_3genE8ELNS1_11target_archE1030ELNS1_3gpuE2ELNS1_3repE0EEENS1_30default_config_static_selectorELNS0_4arch9wavefront6targetE0EEEvT1_.uses_flat_scratch, 0
	.set _ZN7rocprim17ROCPRIM_400000_NS6detail17trampoline_kernelINS0_14default_configENS1_25partition_config_selectorILNS1_17partition_subalgoE5EjNS0_10empty_typeEbEEZZNS1_14partition_implILS5_5ELb0ES3_mN6thrust23THRUST_200600_302600_NS6detail15normal_iteratorINSA_10device_ptrIjEEEEPS6_NSA_18transform_iteratorINSB_9not_fun_tI7is_trueIjEEENSC_INSD_IbEEEENSA_11use_defaultESO_EENS0_5tupleIJSF_S6_EEENSQ_IJSG_SG_EEES6_PlJS6_EEE10hipError_tPvRmT3_T4_T5_T6_T7_T9_mT8_P12ihipStream_tbDpT10_ENKUlT_T0_E_clISt17integral_constantIbLb1EES1D_EEDaS18_S19_EUlS18_E_NS1_11comp_targetILNS1_3genE8ELNS1_11target_archE1030ELNS1_3gpuE2ELNS1_3repE0EEENS1_30default_config_static_selectorELNS0_4arch9wavefront6targetE0EEEvT1_.has_dyn_sized_stack, 0
	.set _ZN7rocprim17ROCPRIM_400000_NS6detail17trampoline_kernelINS0_14default_configENS1_25partition_config_selectorILNS1_17partition_subalgoE5EjNS0_10empty_typeEbEEZZNS1_14partition_implILS5_5ELb0ES3_mN6thrust23THRUST_200600_302600_NS6detail15normal_iteratorINSA_10device_ptrIjEEEEPS6_NSA_18transform_iteratorINSB_9not_fun_tI7is_trueIjEEENSC_INSD_IbEEEENSA_11use_defaultESO_EENS0_5tupleIJSF_S6_EEENSQ_IJSG_SG_EEES6_PlJS6_EEE10hipError_tPvRmT3_T4_T5_T6_T7_T9_mT8_P12ihipStream_tbDpT10_ENKUlT_T0_E_clISt17integral_constantIbLb1EES1D_EEDaS18_S19_EUlS18_E_NS1_11comp_targetILNS1_3genE8ELNS1_11target_archE1030ELNS1_3gpuE2ELNS1_3repE0EEENS1_30default_config_static_selectorELNS0_4arch9wavefront6targetE0EEEvT1_.has_recursion, 0
	.set _ZN7rocprim17ROCPRIM_400000_NS6detail17trampoline_kernelINS0_14default_configENS1_25partition_config_selectorILNS1_17partition_subalgoE5EjNS0_10empty_typeEbEEZZNS1_14partition_implILS5_5ELb0ES3_mN6thrust23THRUST_200600_302600_NS6detail15normal_iteratorINSA_10device_ptrIjEEEEPS6_NSA_18transform_iteratorINSB_9not_fun_tI7is_trueIjEEENSC_INSD_IbEEEENSA_11use_defaultESO_EENS0_5tupleIJSF_S6_EEENSQ_IJSG_SG_EEES6_PlJS6_EEE10hipError_tPvRmT3_T4_T5_T6_T7_T9_mT8_P12ihipStream_tbDpT10_ENKUlT_T0_E_clISt17integral_constantIbLb1EES1D_EEDaS18_S19_EUlS18_E_NS1_11comp_targetILNS1_3genE8ELNS1_11target_archE1030ELNS1_3gpuE2ELNS1_3repE0EEENS1_30default_config_static_selectorELNS0_4arch9wavefront6targetE0EEEvT1_.has_indirect_call, 0
	.section	.AMDGPU.csdata,"",@progbits
; Kernel info:
; codeLenInByte = 0
; TotalNumSgprs: 0
; NumVgprs: 0
; ScratchSize: 0
; MemoryBound: 0
; FloatMode: 240
; IeeeMode: 1
; LDSByteSize: 0 bytes/workgroup (compile time only)
; SGPRBlocks: 0
; VGPRBlocks: 0
; NumSGPRsForWavesPerEU: 1
; NumVGPRsForWavesPerEU: 1
; Occupancy: 16
; WaveLimiterHint : 0
; COMPUTE_PGM_RSRC2:SCRATCH_EN: 0
; COMPUTE_PGM_RSRC2:USER_SGPR: 2
; COMPUTE_PGM_RSRC2:TRAP_HANDLER: 0
; COMPUTE_PGM_RSRC2:TGID_X_EN: 1
; COMPUTE_PGM_RSRC2:TGID_Y_EN: 0
; COMPUTE_PGM_RSRC2:TGID_Z_EN: 0
; COMPUTE_PGM_RSRC2:TIDIG_COMP_CNT: 0
	.section	.text._ZN7rocprim17ROCPRIM_400000_NS6detail17trampoline_kernelINS0_14default_configENS1_25partition_config_selectorILNS1_17partition_subalgoE5EjNS0_10empty_typeEbEEZZNS1_14partition_implILS5_5ELb0ES3_mN6thrust23THRUST_200600_302600_NS6detail15normal_iteratorINSA_10device_ptrIjEEEEPS6_NSA_18transform_iteratorINSB_9not_fun_tI7is_trueIjEEENSC_INSD_IbEEEENSA_11use_defaultESO_EENS0_5tupleIJSF_S6_EEENSQ_IJSG_SG_EEES6_PlJS6_EEE10hipError_tPvRmT3_T4_T5_T6_T7_T9_mT8_P12ihipStream_tbDpT10_ENKUlT_T0_E_clISt17integral_constantIbLb1EES1C_IbLb0EEEEDaS18_S19_EUlS18_E_NS1_11comp_targetILNS1_3genE0ELNS1_11target_archE4294967295ELNS1_3gpuE0ELNS1_3repE0EEENS1_30default_config_static_selectorELNS0_4arch9wavefront6targetE0EEEvT1_,"axG",@progbits,_ZN7rocprim17ROCPRIM_400000_NS6detail17trampoline_kernelINS0_14default_configENS1_25partition_config_selectorILNS1_17partition_subalgoE5EjNS0_10empty_typeEbEEZZNS1_14partition_implILS5_5ELb0ES3_mN6thrust23THRUST_200600_302600_NS6detail15normal_iteratorINSA_10device_ptrIjEEEEPS6_NSA_18transform_iteratorINSB_9not_fun_tI7is_trueIjEEENSC_INSD_IbEEEENSA_11use_defaultESO_EENS0_5tupleIJSF_S6_EEENSQ_IJSG_SG_EEES6_PlJS6_EEE10hipError_tPvRmT3_T4_T5_T6_T7_T9_mT8_P12ihipStream_tbDpT10_ENKUlT_T0_E_clISt17integral_constantIbLb1EES1C_IbLb0EEEEDaS18_S19_EUlS18_E_NS1_11comp_targetILNS1_3genE0ELNS1_11target_archE4294967295ELNS1_3gpuE0ELNS1_3repE0EEENS1_30default_config_static_selectorELNS0_4arch9wavefront6targetE0EEEvT1_,comdat
	.protected	_ZN7rocprim17ROCPRIM_400000_NS6detail17trampoline_kernelINS0_14default_configENS1_25partition_config_selectorILNS1_17partition_subalgoE5EjNS0_10empty_typeEbEEZZNS1_14partition_implILS5_5ELb0ES3_mN6thrust23THRUST_200600_302600_NS6detail15normal_iteratorINSA_10device_ptrIjEEEEPS6_NSA_18transform_iteratorINSB_9not_fun_tI7is_trueIjEEENSC_INSD_IbEEEENSA_11use_defaultESO_EENS0_5tupleIJSF_S6_EEENSQ_IJSG_SG_EEES6_PlJS6_EEE10hipError_tPvRmT3_T4_T5_T6_T7_T9_mT8_P12ihipStream_tbDpT10_ENKUlT_T0_E_clISt17integral_constantIbLb1EES1C_IbLb0EEEEDaS18_S19_EUlS18_E_NS1_11comp_targetILNS1_3genE0ELNS1_11target_archE4294967295ELNS1_3gpuE0ELNS1_3repE0EEENS1_30default_config_static_selectorELNS0_4arch9wavefront6targetE0EEEvT1_ ; -- Begin function _ZN7rocprim17ROCPRIM_400000_NS6detail17trampoline_kernelINS0_14default_configENS1_25partition_config_selectorILNS1_17partition_subalgoE5EjNS0_10empty_typeEbEEZZNS1_14partition_implILS5_5ELb0ES3_mN6thrust23THRUST_200600_302600_NS6detail15normal_iteratorINSA_10device_ptrIjEEEEPS6_NSA_18transform_iteratorINSB_9not_fun_tI7is_trueIjEEENSC_INSD_IbEEEENSA_11use_defaultESO_EENS0_5tupleIJSF_S6_EEENSQ_IJSG_SG_EEES6_PlJS6_EEE10hipError_tPvRmT3_T4_T5_T6_T7_T9_mT8_P12ihipStream_tbDpT10_ENKUlT_T0_E_clISt17integral_constantIbLb1EES1C_IbLb0EEEEDaS18_S19_EUlS18_E_NS1_11comp_targetILNS1_3genE0ELNS1_11target_archE4294967295ELNS1_3gpuE0ELNS1_3repE0EEENS1_30default_config_static_selectorELNS0_4arch9wavefront6targetE0EEEvT1_
	.globl	_ZN7rocprim17ROCPRIM_400000_NS6detail17trampoline_kernelINS0_14default_configENS1_25partition_config_selectorILNS1_17partition_subalgoE5EjNS0_10empty_typeEbEEZZNS1_14partition_implILS5_5ELb0ES3_mN6thrust23THRUST_200600_302600_NS6detail15normal_iteratorINSA_10device_ptrIjEEEEPS6_NSA_18transform_iteratorINSB_9not_fun_tI7is_trueIjEEENSC_INSD_IbEEEENSA_11use_defaultESO_EENS0_5tupleIJSF_S6_EEENSQ_IJSG_SG_EEES6_PlJS6_EEE10hipError_tPvRmT3_T4_T5_T6_T7_T9_mT8_P12ihipStream_tbDpT10_ENKUlT_T0_E_clISt17integral_constantIbLb1EES1C_IbLb0EEEEDaS18_S19_EUlS18_E_NS1_11comp_targetILNS1_3genE0ELNS1_11target_archE4294967295ELNS1_3gpuE0ELNS1_3repE0EEENS1_30default_config_static_selectorELNS0_4arch9wavefront6targetE0EEEvT1_
	.p2align	8
	.type	_ZN7rocprim17ROCPRIM_400000_NS6detail17trampoline_kernelINS0_14default_configENS1_25partition_config_selectorILNS1_17partition_subalgoE5EjNS0_10empty_typeEbEEZZNS1_14partition_implILS5_5ELb0ES3_mN6thrust23THRUST_200600_302600_NS6detail15normal_iteratorINSA_10device_ptrIjEEEEPS6_NSA_18transform_iteratorINSB_9not_fun_tI7is_trueIjEEENSC_INSD_IbEEEENSA_11use_defaultESO_EENS0_5tupleIJSF_S6_EEENSQ_IJSG_SG_EEES6_PlJS6_EEE10hipError_tPvRmT3_T4_T5_T6_T7_T9_mT8_P12ihipStream_tbDpT10_ENKUlT_T0_E_clISt17integral_constantIbLb1EES1C_IbLb0EEEEDaS18_S19_EUlS18_E_NS1_11comp_targetILNS1_3genE0ELNS1_11target_archE4294967295ELNS1_3gpuE0ELNS1_3repE0EEENS1_30default_config_static_selectorELNS0_4arch9wavefront6targetE0EEEvT1_,@function
_ZN7rocprim17ROCPRIM_400000_NS6detail17trampoline_kernelINS0_14default_configENS1_25partition_config_selectorILNS1_17partition_subalgoE5EjNS0_10empty_typeEbEEZZNS1_14partition_implILS5_5ELb0ES3_mN6thrust23THRUST_200600_302600_NS6detail15normal_iteratorINSA_10device_ptrIjEEEEPS6_NSA_18transform_iteratorINSB_9not_fun_tI7is_trueIjEEENSC_INSD_IbEEEENSA_11use_defaultESO_EENS0_5tupleIJSF_S6_EEENSQ_IJSG_SG_EEES6_PlJS6_EEE10hipError_tPvRmT3_T4_T5_T6_T7_T9_mT8_P12ihipStream_tbDpT10_ENKUlT_T0_E_clISt17integral_constantIbLb1EES1C_IbLb0EEEEDaS18_S19_EUlS18_E_NS1_11comp_targetILNS1_3genE0ELNS1_11target_archE4294967295ELNS1_3gpuE0ELNS1_3repE0EEENS1_30default_config_static_selectorELNS0_4arch9wavefront6targetE0EEEvT1_: ; @_ZN7rocprim17ROCPRIM_400000_NS6detail17trampoline_kernelINS0_14default_configENS1_25partition_config_selectorILNS1_17partition_subalgoE5EjNS0_10empty_typeEbEEZZNS1_14partition_implILS5_5ELb0ES3_mN6thrust23THRUST_200600_302600_NS6detail15normal_iteratorINSA_10device_ptrIjEEEEPS6_NSA_18transform_iteratorINSB_9not_fun_tI7is_trueIjEEENSC_INSD_IbEEEENSA_11use_defaultESO_EENS0_5tupleIJSF_S6_EEENSQ_IJSG_SG_EEES6_PlJS6_EEE10hipError_tPvRmT3_T4_T5_T6_T7_T9_mT8_P12ihipStream_tbDpT10_ENKUlT_T0_E_clISt17integral_constantIbLb1EES1C_IbLb0EEEEDaS18_S19_EUlS18_E_NS1_11comp_targetILNS1_3genE0ELNS1_11target_archE4294967295ELNS1_3gpuE0ELNS1_3repE0EEENS1_30default_config_static_selectorELNS0_4arch9wavefront6targetE0EEEvT1_
; %bb.0:
	.section	.rodata,"a",@progbits
	.p2align	6, 0x0
	.amdhsa_kernel _ZN7rocprim17ROCPRIM_400000_NS6detail17trampoline_kernelINS0_14default_configENS1_25partition_config_selectorILNS1_17partition_subalgoE5EjNS0_10empty_typeEbEEZZNS1_14partition_implILS5_5ELb0ES3_mN6thrust23THRUST_200600_302600_NS6detail15normal_iteratorINSA_10device_ptrIjEEEEPS6_NSA_18transform_iteratorINSB_9not_fun_tI7is_trueIjEEENSC_INSD_IbEEEENSA_11use_defaultESO_EENS0_5tupleIJSF_S6_EEENSQ_IJSG_SG_EEES6_PlJS6_EEE10hipError_tPvRmT3_T4_T5_T6_T7_T9_mT8_P12ihipStream_tbDpT10_ENKUlT_T0_E_clISt17integral_constantIbLb1EES1C_IbLb0EEEEDaS18_S19_EUlS18_E_NS1_11comp_targetILNS1_3genE0ELNS1_11target_archE4294967295ELNS1_3gpuE0ELNS1_3repE0EEENS1_30default_config_static_selectorELNS0_4arch9wavefront6targetE0EEEvT1_
		.amdhsa_group_segment_fixed_size 0
		.amdhsa_private_segment_fixed_size 0
		.amdhsa_kernarg_size 120
		.amdhsa_user_sgpr_count 2
		.amdhsa_user_sgpr_dispatch_ptr 0
		.amdhsa_user_sgpr_queue_ptr 0
		.amdhsa_user_sgpr_kernarg_segment_ptr 1
		.amdhsa_user_sgpr_dispatch_id 0
		.amdhsa_user_sgpr_private_segment_size 0
		.amdhsa_wavefront_size32 1
		.amdhsa_uses_dynamic_stack 0
		.amdhsa_enable_private_segment 0
		.amdhsa_system_sgpr_workgroup_id_x 1
		.amdhsa_system_sgpr_workgroup_id_y 0
		.amdhsa_system_sgpr_workgroup_id_z 0
		.amdhsa_system_sgpr_workgroup_info 0
		.amdhsa_system_vgpr_workitem_id 0
		.amdhsa_next_free_vgpr 1
		.amdhsa_next_free_sgpr 1
		.amdhsa_reserve_vcc 0
		.amdhsa_float_round_mode_32 0
		.amdhsa_float_round_mode_16_64 0
		.amdhsa_float_denorm_mode_32 3
		.amdhsa_float_denorm_mode_16_64 3
		.amdhsa_fp16_overflow 0
		.amdhsa_workgroup_processor_mode 1
		.amdhsa_memory_ordered 1
		.amdhsa_forward_progress 1
		.amdhsa_inst_pref_size 0
		.amdhsa_round_robin_scheduling 0
		.amdhsa_exception_fp_ieee_invalid_op 0
		.amdhsa_exception_fp_denorm_src 0
		.amdhsa_exception_fp_ieee_div_zero 0
		.amdhsa_exception_fp_ieee_overflow 0
		.amdhsa_exception_fp_ieee_underflow 0
		.amdhsa_exception_fp_ieee_inexact 0
		.amdhsa_exception_int_div_zero 0
	.end_amdhsa_kernel
	.section	.text._ZN7rocprim17ROCPRIM_400000_NS6detail17trampoline_kernelINS0_14default_configENS1_25partition_config_selectorILNS1_17partition_subalgoE5EjNS0_10empty_typeEbEEZZNS1_14partition_implILS5_5ELb0ES3_mN6thrust23THRUST_200600_302600_NS6detail15normal_iteratorINSA_10device_ptrIjEEEEPS6_NSA_18transform_iteratorINSB_9not_fun_tI7is_trueIjEEENSC_INSD_IbEEEENSA_11use_defaultESO_EENS0_5tupleIJSF_S6_EEENSQ_IJSG_SG_EEES6_PlJS6_EEE10hipError_tPvRmT3_T4_T5_T6_T7_T9_mT8_P12ihipStream_tbDpT10_ENKUlT_T0_E_clISt17integral_constantIbLb1EES1C_IbLb0EEEEDaS18_S19_EUlS18_E_NS1_11comp_targetILNS1_3genE0ELNS1_11target_archE4294967295ELNS1_3gpuE0ELNS1_3repE0EEENS1_30default_config_static_selectorELNS0_4arch9wavefront6targetE0EEEvT1_,"axG",@progbits,_ZN7rocprim17ROCPRIM_400000_NS6detail17trampoline_kernelINS0_14default_configENS1_25partition_config_selectorILNS1_17partition_subalgoE5EjNS0_10empty_typeEbEEZZNS1_14partition_implILS5_5ELb0ES3_mN6thrust23THRUST_200600_302600_NS6detail15normal_iteratorINSA_10device_ptrIjEEEEPS6_NSA_18transform_iteratorINSB_9not_fun_tI7is_trueIjEEENSC_INSD_IbEEEENSA_11use_defaultESO_EENS0_5tupleIJSF_S6_EEENSQ_IJSG_SG_EEES6_PlJS6_EEE10hipError_tPvRmT3_T4_T5_T6_T7_T9_mT8_P12ihipStream_tbDpT10_ENKUlT_T0_E_clISt17integral_constantIbLb1EES1C_IbLb0EEEEDaS18_S19_EUlS18_E_NS1_11comp_targetILNS1_3genE0ELNS1_11target_archE4294967295ELNS1_3gpuE0ELNS1_3repE0EEENS1_30default_config_static_selectorELNS0_4arch9wavefront6targetE0EEEvT1_,comdat
.Lfunc_end2445:
	.size	_ZN7rocprim17ROCPRIM_400000_NS6detail17trampoline_kernelINS0_14default_configENS1_25partition_config_selectorILNS1_17partition_subalgoE5EjNS0_10empty_typeEbEEZZNS1_14partition_implILS5_5ELb0ES3_mN6thrust23THRUST_200600_302600_NS6detail15normal_iteratorINSA_10device_ptrIjEEEEPS6_NSA_18transform_iteratorINSB_9not_fun_tI7is_trueIjEEENSC_INSD_IbEEEENSA_11use_defaultESO_EENS0_5tupleIJSF_S6_EEENSQ_IJSG_SG_EEES6_PlJS6_EEE10hipError_tPvRmT3_T4_T5_T6_T7_T9_mT8_P12ihipStream_tbDpT10_ENKUlT_T0_E_clISt17integral_constantIbLb1EES1C_IbLb0EEEEDaS18_S19_EUlS18_E_NS1_11comp_targetILNS1_3genE0ELNS1_11target_archE4294967295ELNS1_3gpuE0ELNS1_3repE0EEENS1_30default_config_static_selectorELNS0_4arch9wavefront6targetE0EEEvT1_, .Lfunc_end2445-_ZN7rocprim17ROCPRIM_400000_NS6detail17trampoline_kernelINS0_14default_configENS1_25partition_config_selectorILNS1_17partition_subalgoE5EjNS0_10empty_typeEbEEZZNS1_14partition_implILS5_5ELb0ES3_mN6thrust23THRUST_200600_302600_NS6detail15normal_iteratorINSA_10device_ptrIjEEEEPS6_NSA_18transform_iteratorINSB_9not_fun_tI7is_trueIjEEENSC_INSD_IbEEEENSA_11use_defaultESO_EENS0_5tupleIJSF_S6_EEENSQ_IJSG_SG_EEES6_PlJS6_EEE10hipError_tPvRmT3_T4_T5_T6_T7_T9_mT8_P12ihipStream_tbDpT10_ENKUlT_T0_E_clISt17integral_constantIbLb1EES1C_IbLb0EEEEDaS18_S19_EUlS18_E_NS1_11comp_targetILNS1_3genE0ELNS1_11target_archE4294967295ELNS1_3gpuE0ELNS1_3repE0EEENS1_30default_config_static_selectorELNS0_4arch9wavefront6targetE0EEEvT1_
                                        ; -- End function
	.set _ZN7rocprim17ROCPRIM_400000_NS6detail17trampoline_kernelINS0_14default_configENS1_25partition_config_selectorILNS1_17partition_subalgoE5EjNS0_10empty_typeEbEEZZNS1_14partition_implILS5_5ELb0ES3_mN6thrust23THRUST_200600_302600_NS6detail15normal_iteratorINSA_10device_ptrIjEEEEPS6_NSA_18transform_iteratorINSB_9not_fun_tI7is_trueIjEEENSC_INSD_IbEEEENSA_11use_defaultESO_EENS0_5tupleIJSF_S6_EEENSQ_IJSG_SG_EEES6_PlJS6_EEE10hipError_tPvRmT3_T4_T5_T6_T7_T9_mT8_P12ihipStream_tbDpT10_ENKUlT_T0_E_clISt17integral_constantIbLb1EES1C_IbLb0EEEEDaS18_S19_EUlS18_E_NS1_11comp_targetILNS1_3genE0ELNS1_11target_archE4294967295ELNS1_3gpuE0ELNS1_3repE0EEENS1_30default_config_static_selectorELNS0_4arch9wavefront6targetE0EEEvT1_.num_vgpr, 0
	.set _ZN7rocprim17ROCPRIM_400000_NS6detail17trampoline_kernelINS0_14default_configENS1_25partition_config_selectorILNS1_17partition_subalgoE5EjNS0_10empty_typeEbEEZZNS1_14partition_implILS5_5ELb0ES3_mN6thrust23THRUST_200600_302600_NS6detail15normal_iteratorINSA_10device_ptrIjEEEEPS6_NSA_18transform_iteratorINSB_9not_fun_tI7is_trueIjEEENSC_INSD_IbEEEENSA_11use_defaultESO_EENS0_5tupleIJSF_S6_EEENSQ_IJSG_SG_EEES6_PlJS6_EEE10hipError_tPvRmT3_T4_T5_T6_T7_T9_mT8_P12ihipStream_tbDpT10_ENKUlT_T0_E_clISt17integral_constantIbLb1EES1C_IbLb0EEEEDaS18_S19_EUlS18_E_NS1_11comp_targetILNS1_3genE0ELNS1_11target_archE4294967295ELNS1_3gpuE0ELNS1_3repE0EEENS1_30default_config_static_selectorELNS0_4arch9wavefront6targetE0EEEvT1_.num_agpr, 0
	.set _ZN7rocprim17ROCPRIM_400000_NS6detail17trampoline_kernelINS0_14default_configENS1_25partition_config_selectorILNS1_17partition_subalgoE5EjNS0_10empty_typeEbEEZZNS1_14partition_implILS5_5ELb0ES3_mN6thrust23THRUST_200600_302600_NS6detail15normal_iteratorINSA_10device_ptrIjEEEEPS6_NSA_18transform_iteratorINSB_9not_fun_tI7is_trueIjEEENSC_INSD_IbEEEENSA_11use_defaultESO_EENS0_5tupleIJSF_S6_EEENSQ_IJSG_SG_EEES6_PlJS6_EEE10hipError_tPvRmT3_T4_T5_T6_T7_T9_mT8_P12ihipStream_tbDpT10_ENKUlT_T0_E_clISt17integral_constantIbLb1EES1C_IbLb0EEEEDaS18_S19_EUlS18_E_NS1_11comp_targetILNS1_3genE0ELNS1_11target_archE4294967295ELNS1_3gpuE0ELNS1_3repE0EEENS1_30default_config_static_selectorELNS0_4arch9wavefront6targetE0EEEvT1_.numbered_sgpr, 0
	.set _ZN7rocprim17ROCPRIM_400000_NS6detail17trampoline_kernelINS0_14default_configENS1_25partition_config_selectorILNS1_17partition_subalgoE5EjNS0_10empty_typeEbEEZZNS1_14partition_implILS5_5ELb0ES3_mN6thrust23THRUST_200600_302600_NS6detail15normal_iteratorINSA_10device_ptrIjEEEEPS6_NSA_18transform_iteratorINSB_9not_fun_tI7is_trueIjEEENSC_INSD_IbEEEENSA_11use_defaultESO_EENS0_5tupleIJSF_S6_EEENSQ_IJSG_SG_EEES6_PlJS6_EEE10hipError_tPvRmT3_T4_T5_T6_T7_T9_mT8_P12ihipStream_tbDpT10_ENKUlT_T0_E_clISt17integral_constantIbLb1EES1C_IbLb0EEEEDaS18_S19_EUlS18_E_NS1_11comp_targetILNS1_3genE0ELNS1_11target_archE4294967295ELNS1_3gpuE0ELNS1_3repE0EEENS1_30default_config_static_selectorELNS0_4arch9wavefront6targetE0EEEvT1_.num_named_barrier, 0
	.set _ZN7rocprim17ROCPRIM_400000_NS6detail17trampoline_kernelINS0_14default_configENS1_25partition_config_selectorILNS1_17partition_subalgoE5EjNS0_10empty_typeEbEEZZNS1_14partition_implILS5_5ELb0ES3_mN6thrust23THRUST_200600_302600_NS6detail15normal_iteratorINSA_10device_ptrIjEEEEPS6_NSA_18transform_iteratorINSB_9not_fun_tI7is_trueIjEEENSC_INSD_IbEEEENSA_11use_defaultESO_EENS0_5tupleIJSF_S6_EEENSQ_IJSG_SG_EEES6_PlJS6_EEE10hipError_tPvRmT3_T4_T5_T6_T7_T9_mT8_P12ihipStream_tbDpT10_ENKUlT_T0_E_clISt17integral_constantIbLb1EES1C_IbLb0EEEEDaS18_S19_EUlS18_E_NS1_11comp_targetILNS1_3genE0ELNS1_11target_archE4294967295ELNS1_3gpuE0ELNS1_3repE0EEENS1_30default_config_static_selectorELNS0_4arch9wavefront6targetE0EEEvT1_.private_seg_size, 0
	.set _ZN7rocprim17ROCPRIM_400000_NS6detail17trampoline_kernelINS0_14default_configENS1_25partition_config_selectorILNS1_17partition_subalgoE5EjNS0_10empty_typeEbEEZZNS1_14partition_implILS5_5ELb0ES3_mN6thrust23THRUST_200600_302600_NS6detail15normal_iteratorINSA_10device_ptrIjEEEEPS6_NSA_18transform_iteratorINSB_9not_fun_tI7is_trueIjEEENSC_INSD_IbEEEENSA_11use_defaultESO_EENS0_5tupleIJSF_S6_EEENSQ_IJSG_SG_EEES6_PlJS6_EEE10hipError_tPvRmT3_T4_T5_T6_T7_T9_mT8_P12ihipStream_tbDpT10_ENKUlT_T0_E_clISt17integral_constantIbLb1EES1C_IbLb0EEEEDaS18_S19_EUlS18_E_NS1_11comp_targetILNS1_3genE0ELNS1_11target_archE4294967295ELNS1_3gpuE0ELNS1_3repE0EEENS1_30default_config_static_selectorELNS0_4arch9wavefront6targetE0EEEvT1_.uses_vcc, 0
	.set _ZN7rocprim17ROCPRIM_400000_NS6detail17trampoline_kernelINS0_14default_configENS1_25partition_config_selectorILNS1_17partition_subalgoE5EjNS0_10empty_typeEbEEZZNS1_14partition_implILS5_5ELb0ES3_mN6thrust23THRUST_200600_302600_NS6detail15normal_iteratorINSA_10device_ptrIjEEEEPS6_NSA_18transform_iteratorINSB_9not_fun_tI7is_trueIjEEENSC_INSD_IbEEEENSA_11use_defaultESO_EENS0_5tupleIJSF_S6_EEENSQ_IJSG_SG_EEES6_PlJS6_EEE10hipError_tPvRmT3_T4_T5_T6_T7_T9_mT8_P12ihipStream_tbDpT10_ENKUlT_T0_E_clISt17integral_constantIbLb1EES1C_IbLb0EEEEDaS18_S19_EUlS18_E_NS1_11comp_targetILNS1_3genE0ELNS1_11target_archE4294967295ELNS1_3gpuE0ELNS1_3repE0EEENS1_30default_config_static_selectorELNS0_4arch9wavefront6targetE0EEEvT1_.uses_flat_scratch, 0
	.set _ZN7rocprim17ROCPRIM_400000_NS6detail17trampoline_kernelINS0_14default_configENS1_25partition_config_selectorILNS1_17partition_subalgoE5EjNS0_10empty_typeEbEEZZNS1_14partition_implILS5_5ELb0ES3_mN6thrust23THRUST_200600_302600_NS6detail15normal_iteratorINSA_10device_ptrIjEEEEPS6_NSA_18transform_iteratorINSB_9not_fun_tI7is_trueIjEEENSC_INSD_IbEEEENSA_11use_defaultESO_EENS0_5tupleIJSF_S6_EEENSQ_IJSG_SG_EEES6_PlJS6_EEE10hipError_tPvRmT3_T4_T5_T6_T7_T9_mT8_P12ihipStream_tbDpT10_ENKUlT_T0_E_clISt17integral_constantIbLb1EES1C_IbLb0EEEEDaS18_S19_EUlS18_E_NS1_11comp_targetILNS1_3genE0ELNS1_11target_archE4294967295ELNS1_3gpuE0ELNS1_3repE0EEENS1_30default_config_static_selectorELNS0_4arch9wavefront6targetE0EEEvT1_.has_dyn_sized_stack, 0
	.set _ZN7rocprim17ROCPRIM_400000_NS6detail17trampoline_kernelINS0_14default_configENS1_25partition_config_selectorILNS1_17partition_subalgoE5EjNS0_10empty_typeEbEEZZNS1_14partition_implILS5_5ELb0ES3_mN6thrust23THRUST_200600_302600_NS6detail15normal_iteratorINSA_10device_ptrIjEEEEPS6_NSA_18transform_iteratorINSB_9not_fun_tI7is_trueIjEEENSC_INSD_IbEEEENSA_11use_defaultESO_EENS0_5tupleIJSF_S6_EEENSQ_IJSG_SG_EEES6_PlJS6_EEE10hipError_tPvRmT3_T4_T5_T6_T7_T9_mT8_P12ihipStream_tbDpT10_ENKUlT_T0_E_clISt17integral_constantIbLb1EES1C_IbLb0EEEEDaS18_S19_EUlS18_E_NS1_11comp_targetILNS1_3genE0ELNS1_11target_archE4294967295ELNS1_3gpuE0ELNS1_3repE0EEENS1_30default_config_static_selectorELNS0_4arch9wavefront6targetE0EEEvT1_.has_recursion, 0
	.set _ZN7rocprim17ROCPRIM_400000_NS6detail17trampoline_kernelINS0_14default_configENS1_25partition_config_selectorILNS1_17partition_subalgoE5EjNS0_10empty_typeEbEEZZNS1_14partition_implILS5_5ELb0ES3_mN6thrust23THRUST_200600_302600_NS6detail15normal_iteratorINSA_10device_ptrIjEEEEPS6_NSA_18transform_iteratorINSB_9not_fun_tI7is_trueIjEEENSC_INSD_IbEEEENSA_11use_defaultESO_EENS0_5tupleIJSF_S6_EEENSQ_IJSG_SG_EEES6_PlJS6_EEE10hipError_tPvRmT3_T4_T5_T6_T7_T9_mT8_P12ihipStream_tbDpT10_ENKUlT_T0_E_clISt17integral_constantIbLb1EES1C_IbLb0EEEEDaS18_S19_EUlS18_E_NS1_11comp_targetILNS1_3genE0ELNS1_11target_archE4294967295ELNS1_3gpuE0ELNS1_3repE0EEENS1_30default_config_static_selectorELNS0_4arch9wavefront6targetE0EEEvT1_.has_indirect_call, 0
	.section	.AMDGPU.csdata,"",@progbits
; Kernel info:
; codeLenInByte = 0
; TotalNumSgprs: 0
; NumVgprs: 0
; ScratchSize: 0
; MemoryBound: 0
; FloatMode: 240
; IeeeMode: 1
; LDSByteSize: 0 bytes/workgroup (compile time only)
; SGPRBlocks: 0
; VGPRBlocks: 0
; NumSGPRsForWavesPerEU: 1
; NumVGPRsForWavesPerEU: 1
; Occupancy: 16
; WaveLimiterHint : 0
; COMPUTE_PGM_RSRC2:SCRATCH_EN: 0
; COMPUTE_PGM_RSRC2:USER_SGPR: 2
; COMPUTE_PGM_RSRC2:TRAP_HANDLER: 0
; COMPUTE_PGM_RSRC2:TGID_X_EN: 1
; COMPUTE_PGM_RSRC2:TGID_Y_EN: 0
; COMPUTE_PGM_RSRC2:TGID_Z_EN: 0
; COMPUTE_PGM_RSRC2:TIDIG_COMP_CNT: 0
	.section	.text._ZN7rocprim17ROCPRIM_400000_NS6detail17trampoline_kernelINS0_14default_configENS1_25partition_config_selectorILNS1_17partition_subalgoE5EjNS0_10empty_typeEbEEZZNS1_14partition_implILS5_5ELb0ES3_mN6thrust23THRUST_200600_302600_NS6detail15normal_iteratorINSA_10device_ptrIjEEEEPS6_NSA_18transform_iteratorINSB_9not_fun_tI7is_trueIjEEENSC_INSD_IbEEEENSA_11use_defaultESO_EENS0_5tupleIJSF_S6_EEENSQ_IJSG_SG_EEES6_PlJS6_EEE10hipError_tPvRmT3_T4_T5_T6_T7_T9_mT8_P12ihipStream_tbDpT10_ENKUlT_T0_E_clISt17integral_constantIbLb1EES1C_IbLb0EEEEDaS18_S19_EUlS18_E_NS1_11comp_targetILNS1_3genE5ELNS1_11target_archE942ELNS1_3gpuE9ELNS1_3repE0EEENS1_30default_config_static_selectorELNS0_4arch9wavefront6targetE0EEEvT1_,"axG",@progbits,_ZN7rocprim17ROCPRIM_400000_NS6detail17trampoline_kernelINS0_14default_configENS1_25partition_config_selectorILNS1_17partition_subalgoE5EjNS0_10empty_typeEbEEZZNS1_14partition_implILS5_5ELb0ES3_mN6thrust23THRUST_200600_302600_NS6detail15normal_iteratorINSA_10device_ptrIjEEEEPS6_NSA_18transform_iteratorINSB_9not_fun_tI7is_trueIjEEENSC_INSD_IbEEEENSA_11use_defaultESO_EENS0_5tupleIJSF_S6_EEENSQ_IJSG_SG_EEES6_PlJS6_EEE10hipError_tPvRmT3_T4_T5_T6_T7_T9_mT8_P12ihipStream_tbDpT10_ENKUlT_T0_E_clISt17integral_constantIbLb1EES1C_IbLb0EEEEDaS18_S19_EUlS18_E_NS1_11comp_targetILNS1_3genE5ELNS1_11target_archE942ELNS1_3gpuE9ELNS1_3repE0EEENS1_30default_config_static_selectorELNS0_4arch9wavefront6targetE0EEEvT1_,comdat
	.protected	_ZN7rocprim17ROCPRIM_400000_NS6detail17trampoline_kernelINS0_14default_configENS1_25partition_config_selectorILNS1_17partition_subalgoE5EjNS0_10empty_typeEbEEZZNS1_14partition_implILS5_5ELb0ES3_mN6thrust23THRUST_200600_302600_NS6detail15normal_iteratorINSA_10device_ptrIjEEEEPS6_NSA_18transform_iteratorINSB_9not_fun_tI7is_trueIjEEENSC_INSD_IbEEEENSA_11use_defaultESO_EENS0_5tupleIJSF_S6_EEENSQ_IJSG_SG_EEES6_PlJS6_EEE10hipError_tPvRmT3_T4_T5_T6_T7_T9_mT8_P12ihipStream_tbDpT10_ENKUlT_T0_E_clISt17integral_constantIbLb1EES1C_IbLb0EEEEDaS18_S19_EUlS18_E_NS1_11comp_targetILNS1_3genE5ELNS1_11target_archE942ELNS1_3gpuE9ELNS1_3repE0EEENS1_30default_config_static_selectorELNS0_4arch9wavefront6targetE0EEEvT1_ ; -- Begin function _ZN7rocprim17ROCPRIM_400000_NS6detail17trampoline_kernelINS0_14default_configENS1_25partition_config_selectorILNS1_17partition_subalgoE5EjNS0_10empty_typeEbEEZZNS1_14partition_implILS5_5ELb0ES3_mN6thrust23THRUST_200600_302600_NS6detail15normal_iteratorINSA_10device_ptrIjEEEEPS6_NSA_18transform_iteratorINSB_9not_fun_tI7is_trueIjEEENSC_INSD_IbEEEENSA_11use_defaultESO_EENS0_5tupleIJSF_S6_EEENSQ_IJSG_SG_EEES6_PlJS6_EEE10hipError_tPvRmT3_T4_T5_T6_T7_T9_mT8_P12ihipStream_tbDpT10_ENKUlT_T0_E_clISt17integral_constantIbLb1EES1C_IbLb0EEEEDaS18_S19_EUlS18_E_NS1_11comp_targetILNS1_3genE5ELNS1_11target_archE942ELNS1_3gpuE9ELNS1_3repE0EEENS1_30default_config_static_selectorELNS0_4arch9wavefront6targetE0EEEvT1_
	.globl	_ZN7rocprim17ROCPRIM_400000_NS6detail17trampoline_kernelINS0_14default_configENS1_25partition_config_selectorILNS1_17partition_subalgoE5EjNS0_10empty_typeEbEEZZNS1_14partition_implILS5_5ELb0ES3_mN6thrust23THRUST_200600_302600_NS6detail15normal_iteratorINSA_10device_ptrIjEEEEPS6_NSA_18transform_iteratorINSB_9not_fun_tI7is_trueIjEEENSC_INSD_IbEEEENSA_11use_defaultESO_EENS0_5tupleIJSF_S6_EEENSQ_IJSG_SG_EEES6_PlJS6_EEE10hipError_tPvRmT3_T4_T5_T6_T7_T9_mT8_P12ihipStream_tbDpT10_ENKUlT_T0_E_clISt17integral_constantIbLb1EES1C_IbLb0EEEEDaS18_S19_EUlS18_E_NS1_11comp_targetILNS1_3genE5ELNS1_11target_archE942ELNS1_3gpuE9ELNS1_3repE0EEENS1_30default_config_static_selectorELNS0_4arch9wavefront6targetE0EEEvT1_
	.p2align	8
	.type	_ZN7rocprim17ROCPRIM_400000_NS6detail17trampoline_kernelINS0_14default_configENS1_25partition_config_selectorILNS1_17partition_subalgoE5EjNS0_10empty_typeEbEEZZNS1_14partition_implILS5_5ELb0ES3_mN6thrust23THRUST_200600_302600_NS6detail15normal_iteratorINSA_10device_ptrIjEEEEPS6_NSA_18transform_iteratorINSB_9not_fun_tI7is_trueIjEEENSC_INSD_IbEEEENSA_11use_defaultESO_EENS0_5tupleIJSF_S6_EEENSQ_IJSG_SG_EEES6_PlJS6_EEE10hipError_tPvRmT3_T4_T5_T6_T7_T9_mT8_P12ihipStream_tbDpT10_ENKUlT_T0_E_clISt17integral_constantIbLb1EES1C_IbLb0EEEEDaS18_S19_EUlS18_E_NS1_11comp_targetILNS1_3genE5ELNS1_11target_archE942ELNS1_3gpuE9ELNS1_3repE0EEENS1_30default_config_static_selectorELNS0_4arch9wavefront6targetE0EEEvT1_,@function
_ZN7rocprim17ROCPRIM_400000_NS6detail17trampoline_kernelINS0_14default_configENS1_25partition_config_selectorILNS1_17partition_subalgoE5EjNS0_10empty_typeEbEEZZNS1_14partition_implILS5_5ELb0ES3_mN6thrust23THRUST_200600_302600_NS6detail15normal_iteratorINSA_10device_ptrIjEEEEPS6_NSA_18transform_iteratorINSB_9not_fun_tI7is_trueIjEEENSC_INSD_IbEEEENSA_11use_defaultESO_EENS0_5tupleIJSF_S6_EEENSQ_IJSG_SG_EEES6_PlJS6_EEE10hipError_tPvRmT3_T4_T5_T6_T7_T9_mT8_P12ihipStream_tbDpT10_ENKUlT_T0_E_clISt17integral_constantIbLb1EES1C_IbLb0EEEEDaS18_S19_EUlS18_E_NS1_11comp_targetILNS1_3genE5ELNS1_11target_archE942ELNS1_3gpuE9ELNS1_3repE0EEENS1_30default_config_static_selectorELNS0_4arch9wavefront6targetE0EEEvT1_: ; @_ZN7rocprim17ROCPRIM_400000_NS6detail17trampoline_kernelINS0_14default_configENS1_25partition_config_selectorILNS1_17partition_subalgoE5EjNS0_10empty_typeEbEEZZNS1_14partition_implILS5_5ELb0ES3_mN6thrust23THRUST_200600_302600_NS6detail15normal_iteratorINSA_10device_ptrIjEEEEPS6_NSA_18transform_iteratorINSB_9not_fun_tI7is_trueIjEEENSC_INSD_IbEEEENSA_11use_defaultESO_EENS0_5tupleIJSF_S6_EEENSQ_IJSG_SG_EEES6_PlJS6_EEE10hipError_tPvRmT3_T4_T5_T6_T7_T9_mT8_P12ihipStream_tbDpT10_ENKUlT_T0_E_clISt17integral_constantIbLb1EES1C_IbLb0EEEEDaS18_S19_EUlS18_E_NS1_11comp_targetILNS1_3genE5ELNS1_11target_archE942ELNS1_3gpuE9ELNS1_3repE0EEENS1_30default_config_static_selectorELNS0_4arch9wavefront6targetE0EEEvT1_
; %bb.0:
	.section	.rodata,"a",@progbits
	.p2align	6, 0x0
	.amdhsa_kernel _ZN7rocprim17ROCPRIM_400000_NS6detail17trampoline_kernelINS0_14default_configENS1_25partition_config_selectorILNS1_17partition_subalgoE5EjNS0_10empty_typeEbEEZZNS1_14partition_implILS5_5ELb0ES3_mN6thrust23THRUST_200600_302600_NS6detail15normal_iteratorINSA_10device_ptrIjEEEEPS6_NSA_18transform_iteratorINSB_9not_fun_tI7is_trueIjEEENSC_INSD_IbEEEENSA_11use_defaultESO_EENS0_5tupleIJSF_S6_EEENSQ_IJSG_SG_EEES6_PlJS6_EEE10hipError_tPvRmT3_T4_T5_T6_T7_T9_mT8_P12ihipStream_tbDpT10_ENKUlT_T0_E_clISt17integral_constantIbLb1EES1C_IbLb0EEEEDaS18_S19_EUlS18_E_NS1_11comp_targetILNS1_3genE5ELNS1_11target_archE942ELNS1_3gpuE9ELNS1_3repE0EEENS1_30default_config_static_selectorELNS0_4arch9wavefront6targetE0EEEvT1_
		.amdhsa_group_segment_fixed_size 0
		.amdhsa_private_segment_fixed_size 0
		.amdhsa_kernarg_size 120
		.amdhsa_user_sgpr_count 2
		.amdhsa_user_sgpr_dispatch_ptr 0
		.amdhsa_user_sgpr_queue_ptr 0
		.amdhsa_user_sgpr_kernarg_segment_ptr 1
		.amdhsa_user_sgpr_dispatch_id 0
		.amdhsa_user_sgpr_private_segment_size 0
		.amdhsa_wavefront_size32 1
		.amdhsa_uses_dynamic_stack 0
		.amdhsa_enable_private_segment 0
		.amdhsa_system_sgpr_workgroup_id_x 1
		.amdhsa_system_sgpr_workgroup_id_y 0
		.amdhsa_system_sgpr_workgroup_id_z 0
		.amdhsa_system_sgpr_workgroup_info 0
		.amdhsa_system_vgpr_workitem_id 0
		.amdhsa_next_free_vgpr 1
		.amdhsa_next_free_sgpr 1
		.amdhsa_reserve_vcc 0
		.amdhsa_float_round_mode_32 0
		.amdhsa_float_round_mode_16_64 0
		.amdhsa_float_denorm_mode_32 3
		.amdhsa_float_denorm_mode_16_64 3
		.amdhsa_fp16_overflow 0
		.amdhsa_workgroup_processor_mode 1
		.amdhsa_memory_ordered 1
		.amdhsa_forward_progress 1
		.amdhsa_inst_pref_size 0
		.amdhsa_round_robin_scheduling 0
		.amdhsa_exception_fp_ieee_invalid_op 0
		.amdhsa_exception_fp_denorm_src 0
		.amdhsa_exception_fp_ieee_div_zero 0
		.amdhsa_exception_fp_ieee_overflow 0
		.amdhsa_exception_fp_ieee_underflow 0
		.amdhsa_exception_fp_ieee_inexact 0
		.amdhsa_exception_int_div_zero 0
	.end_amdhsa_kernel
	.section	.text._ZN7rocprim17ROCPRIM_400000_NS6detail17trampoline_kernelINS0_14default_configENS1_25partition_config_selectorILNS1_17partition_subalgoE5EjNS0_10empty_typeEbEEZZNS1_14partition_implILS5_5ELb0ES3_mN6thrust23THRUST_200600_302600_NS6detail15normal_iteratorINSA_10device_ptrIjEEEEPS6_NSA_18transform_iteratorINSB_9not_fun_tI7is_trueIjEEENSC_INSD_IbEEEENSA_11use_defaultESO_EENS0_5tupleIJSF_S6_EEENSQ_IJSG_SG_EEES6_PlJS6_EEE10hipError_tPvRmT3_T4_T5_T6_T7_T9_mT8_P12ihipStream_tbDpT10_ENKUlT_T0_E_clISt17integral_constantIbLb1EES1C_IbLb0EEEEDaS18_S19_EUlS18_E_NS1_11comp_targetILNS1_3genE5ELNS1_11target_archE942ELNS1_3gpuE9ELNS1_3repE0EEENS1_30default_config_static_selectorELNS0_4arch9wavefront6targetE0EEEvT1_,"axG",@progbits,_ZN7rocprim17ROCPRIM_400000_NS6detail17trampoline_kernelINS0_14default_configENS1_25partition_config_selectorILNS1_17partition_subalgoE5EjNS0_10empty_typeEbEEZZNS1_14partition_implILS5_5ELb0ES3_mN6thrust23THRUST_200600_302600_NS6detail15normal_iteratorINSA_10device_ptrIjEEEEPS6_NSA_18transform_iteratorINSB_9not_fun_tI7is_trueIjEEENSC_INSD_IbEEEENSA_11use_defaultESO_EENS0_5tupleIJSF_S6_EEENSQ_IJSG_SG_EEES6_PlJS6_EEE10hipError_tPvRmT3_T4_T5_T6_T7_T9_mT8_P12ihipStream_tbDpT10_ENKUlT_T0_E_clISt17integral_constantIbLb1EES1C_IbLb0EEEEDaS18_S19_EUlS18_E_NS1_11comp_targetILNS1_3genE5ELNS1_11target_archE942ELNS1_3gpuE9ELNS1_3repE0EEENS1_30default_config_static_selectorELNS0_4arch9wavefront6targetE0EEEvT1_,comdat
.Lfunc_end2446:
	.size	_ZN7rocprim17ROCPRIM_400000_NS6detail17trampoline_kernelINS0_14default_configENS1_25partition_config_selectorILNS1_17partition_subalgoE5EjNS0_10empty_typeEbEEZZNS1_14partition_implILS5_5ELb0ES3_mN6thrust23THRUST_200600_302600_NS6detail15normal_iteratorINSA_10device_ptrIjEEEEPS6_NSA_18transform_iteratorINSB_9not_fun_tI7is_trueIjEEENSC_INSD_IbEEEENSA_11use_defaultESO_EENS0_5tupleIJSF_S6_EEENSQ_IJSG_SG_EEES6_PlJS6_EEE10hipError_tPvRmT3_T4_T5_T6_T7_T9_mT8_P12ihipStream_tbDpT10_ENKUlT_T0_E_clISt17integral_constantIbLb1EES1C_IbLb0EEEEDaS18_S19_EUlS18_E_NS1_11comp_targetILNS1_3genE5ELNS1_11target_archE942ELNS1_3gpuE9ELNS1_3repE0EEENS1_30default_config_static_selectorELNS0_4arch9wavefront6targetE0EEEvT1_, .Lfunc_end2446-_ZN7rocprim17ROCPRIM_400000_NS6detail17trampoline_kernelINS0_14default_configENS1_25partition_config_selectorILNS1_17partition_subalgoE5EjNS0_10empty_typeEbEEZZNS1_14partition_implILS5_5ELb0ES3_mN6thrust23THRUST_200600_302600_NS6detail15normal_iteratorINSA_10device_ptrIjEEEEPS6_NSA_18transform_iteratorINSB_9not_fun_tI7is_trueIjEEENSC_INSD_IbEEEENSA_11use_defaultESO_EENS0_5tupleIJSF_S6_EEENSQ_IJSG_SG_EEES6_PlJS6_EEE10hipError_tPvRmT3_T4_T5_T6_T7_T9_mT8_P12ihipStream_tbDpT10_ENKUlT_T0_E_clISt17integral_constantIbLb1EES1C_IbLb0EEEEDaS18_S19_EUlS18_E_NS1_11comp_targetILNS1_3genE5ELNS1_11target_archE942ELNS1_3gpuE9ELNS1_3repE0EEENS1_30default_config_static_selectorELNS0_4arch9wavefront6targetE0EEEvT1_
                                        ; -- End function
	.set _ZN7rocprim17ROCPRIM_400000_NS6detail17trampoline_kernelINS0_14default_configENS1_25partition_config_selectorILNS1_17partition_subalgoE5EjNS0_10empty_typeEbEEZZNS1_14partition_implILS5_5ELb0ES3_mN6thrust23THRUST_200600_302600_NS6detail15normal_iteratorINSA_10device_ptrIjEEEEPS6_NSA_18transform_iteratorINSB_9not_fun_tI7is_trueIjEEENSC_INSD_IbEEEENSA_11use_defaultESO_EENS0_5tupleIJSF_S6_EEENSQ_IJSG_SG_EEES6_PlJS6_EEE10hipError_tPvRmT3_T4_T5_T6_T7_T9_mT8_P12ihipStream_tbDpT10_ENKUlT_T0_E_clISt17integral_constantIbLb1EES1C_IbLb0EEEEDaS18_S19_EUlS18_E_NS1_11comp_targetILNS1_3genE5ELNS1_11target_archE942ELNS1_3gpuE9ELNS1_3repE0EEENS1_30default_config_static_selectorELNS0_4arch9wavefront6targetE0EEEvT1_.num_vgpr, 0
	.set _ZN7rocprim17ROCPRIM_400000_NS6detail17trampoline_kernelINS0_14default_configENS1_25partition_config_selectorILNS1_17partition_subalgoE5EjNS0_10empty_typeEbEEZZNS1_14partition_implILS5_5ELb0ES3_mN6thrust23THRUST_200600_302600_NS6detail15normal_iteratorINSA_10device_ptrIjEEEEPS6_NSA_18transform_iteratorINSB_9not_fun_tI7is_trueIjEEENSC_INSD_IbEEEENSA_11use_defaultESO_EENS0_5tupleIJSF_S6_EEENSQ_IJSG_SG_EEES6_PlJS6_EEE10hipError_tPvRmT3_T4_T5_T6_T7_T9_mT8_P12ihipStream_tbDpT10_ENKUlT_T0_E_clISt17integral_constantIbLb1EES1C_IbLb0EEEEDaS18_S19_EUlS18_E_NS1_11comp_targetILNS1_3genE5ELNS1_11target_archE942ELNS1_3gpuE9ELNS1_3repE0EEENS1_30default_config_static_selectorELNS0_4arch9wavefront6targetE0EEEvT1_.num_agpr, 0
	.set _ZN7rocprim17ROCPRIM_400000_NS6detail17trampoline_kernelINS0_14default_configENS1_25partition_config_selectorILNS1_17partition_subalgoE5EjNS0_10empty_typeEbEEZZNS1_14partition_implILS5_5ELb0ES3_mN6thrust23THRUST_200600_302600_NS6detail15normal_iteratorINSA_10device_ptrIjEEEEPS6_NSA_18transform_iteratorINSB_9not_fun_tI7is_trueIjEEENSC_INSD_IbEEEENSA_11use_defaultESO_EENS0_5tupleIJSF_S6_EEENSQ_IJSG_SG_EEES6_PlJS6_EEE10hipError_tPvRmT3_T4_T5_T6_T7_T9_mT8_P12ihipStream_tbDpT10_ENKUlT_T0_E_clISt17integral_constantIbLb1EES1C_IbLb0EEEEDaS18_S19_EUlS18_E_NS1_11comp_targetILNS1_3genE5ELNS1_11target_archE942ELNS1_3gpuE9ELNS1_3repE0EEENS1_30default_config_static_selectorELNS0_4arch9wavefront6targetE0EEEvT1_.numbered_sgpr, 0
	.set _ZN7rocprim17ROCPRIM_400000_NS6detail17trampoline_kernelINS0_14default_configENS1_25partition_config_selectorILNS1_17partition_subalgoE5EjNS0_10empty_typeEbEEZZNS1_14partition_implILS5_5ELb0ES3_mN6thrust23THRUST_200600_302600_NS6detail15normal_iteratorINSA_10device_ptrIjEEEEPS6_NSA_18transform_iteratorINSB_9not_fun_tI7is_trueIjEEENSC_INSD_IbEEEENSA_11use_defaultESO_EENS0_5tupleIJSF_S6_EEENSQ_IJSG_SG_EEES6_PlJS6_EEE10hipError_tPvRmT3_T4_T5_T6_T7_T9_mT8_P12ihipStream_tbDpT10_ENKUlT_T0_E_clISt17integral_constantIbLb1EES1C_IbLb0EEEEDaS18_S19_EUlS18_E_NS1_11comp_targetILNS1_3genE5ELNS1_11target_archE942ELNS1_3gpuE9ELNS1_3repE0EEENS1_30default_config_static_selectorELNS0_4arch9wavefront6targetE0EEEvT1_.num_named_barrier, 0
	.set _ZN7rocprim17ROCPRIM_400000_NS6detail17trampoline_kernelINS0_14default_configENS1_25partition_config_selectorILNS1_17partition_subalgoE5EjNS0_10empty_typeEbEEZZNS1_14partition_implILS5_5ELb0ES3_mN6thrust23THRUST_200600_302600_NS6detail15normal_iteratorINSA_10device_ptrIjEEEEPS6_NSA_18transform_iteratorINSB_9not_fun_tI7is_trueIjEEENSC_INSD_IbEEEENSA_11use_defaultESO_EENS0_5tupleIJSF_S6_EEENSQ_IJSG_SG_EEES6_PlJS6_EEE10hipError_tPvRmT3_T4_T5_T6_T7_T9_mT8_P12ihipStream_tbDpT10_ENKUlT_T0_E_clISt17integral_constantIbLb1EES1C_IbLb0EEEEDaS18_S19_EUlS18_E_NS1_11comp_targetILNS1_3genE5ELNS1_11target_archE942ELNS1_3gpuE9ELNS1_3repE0EEENS1_30default_config_static_selectorELNS0_4arch9wavefront6targetE0EEEvT1_.private_seg_size, 0
	.set _ZN7rocprim17ROCPRIM_400000_NS6detail17trampoline_kernelINS0_14default_configENS1_25partition_config_selectorILNS1_17partition_subalgoE5EjNS0_10empty_typeEbEEZZNS1_14partition_implILS5_5ELb0ES3_mN6thrust23THRUST_200600_302600_NS6detail15normal_iteratorINSA_10device_ptrIjEEEEPS6_NSA_18transform_iteratorINSB_9not_fun_tI7is_trueIjEEENSC_INSD_IbEEEENSA_11use_defaultESO_EENS0_5tupleIJSF_S6_EEENSQ_IJSG_SG_EEES6_PlJS6_EEE10hipError_tPvRmT3_T4_T5_T6_T7_T9_mT8_P12ihipStream_tbDpT10_ENKUlT_T0_E_clISt17integral_constantIbLb1EES1C_IbLb0EEEEDaS18_S19_EUlS18_E_NS1_11comp_targetILNS1_3genE5ELNS1_11target_archE942ELNS1_3gpuE9ELNS1_3repE0EEENS1_30default_config_static_selectorELNS0_4arch9wavefront6targetE0EEEvT1_.uses_vcc, 0
	.set _ZN7rocprim17ROCPRIM_400000_NS6detail17trampoline_kernelINS0_14default_configENS1_25partition_config_selectorILNS1_17partition_subalgoE5EjNS0_10empty_typeEbEEZZNS1_14partition_implILS5_5ELb0ES3_mN6thrust23THRUST_200600_302600_NS6detail15normal_iteratorINSA_10device_ptrIjEEEEPS6_NSA_18transform_iteratorINSB_9not_fun_tI7is_trueIjEEENSC_INSD_IbEEEENSA_11use_defaultESO_EENS0_5tupleIJSF_S6_EEENSQ_IJSG_SG_EEES6_PlJS6_EEE10hipError_tPvRmT3_T4_T5_T6_T7_T9_mT8_P12ihipStream_tbDpT10_ENKUlT_T0_E_clISt17integral_constantIbLb1EES1C_IbLb0EEEEDaS18_S19_EUlS18_E_NS1_11comp_targetILNS1_3genE5ELNS1_11target_archE942ELNS1_3gpuE9ELNS1_3repE0EEENS1_30default_config_static_selectorELNS0_4arch9wavefront6targetE0EEEvT1_.uses_flat_scratch, 0
	.set _ZN7rocprim17ROCPRIM_400000_NS6detail17trampoline_kernelINS0_14default_configENS1_25partition_config_selectorILNS1_17partition_subalgoE5EjNS0_10empty_typeEbEEZZNS1_14partition_implILS5_5ELb0ES3_mN6thrust23THRUST_200600_302600_NS6detail15normal_iteratorINSA_10device_ptrIjEEEEPS6_NSA_18transform_iteratorINSB_9not_fun_tI7is_trueIjEEENSC_INSD_IbEEEENSA_11use_defaultESO_EENS0_5tupleIJSF_S6_EEENSQ_IJSG_SG_EEES6_PlJS6_EEE10hipError_tPvRmT3_T4_T5_T6_T7_T9_mT8_P12ihipStream_tbDpT10_ENKUlT_T0_E_clISt17integral_constantIbLb1EES1C_IbLb0EEEEDaS18_S19_EUlS18_E_NS1_11comp_targetILNS1_3genE5ELNS1_11target_archE942ELNS1_3gpuE9ELNS1_3repE0EEENS1_30default_config_static_selectorELNS0_4arch9wavefront6targetE0EEEvT1_.has_dyn_sized_stack, 0
	.set _ZN7rocprim17ROCPRIM_400000_NS6detail17trampoline_kernelINS0_14default_configENS1_25partition_config_selectorILNS1_17partition_subalgoE5EjNS0_10empty_typeEbEEZZNS1_14partition_implILS5_5ELb0ES3_mN6thrust23THRUST_200600_302600_NS6detail15normal_iteratorINSA_10device_ptrIjEEEEPS6_NSA_18transform_iteratorINSB_9not_fun_tI7is_trueIjEEENSC_INSD_IbEEEENSA_11use_defaultESO_EENS0_5tupleIJSF_S6_EEENSQ_IJSG_SG_EEES6_PlJS6_EEE10hipError_tPvRmT3_T4_T5_T6_T7_T9_mT8_P12ihipStream_tbDpT10_ENKUlT_T0_E_clISt17integral_constantIbLb1EES1C_IbLb0EEEEDaS18_S19_EUlS18_E_NS1_11comp_targetILNS1_3genE5ELNS1_11target_archE942ELNS1_3gpuE9ELNS1_3repE0EEENS1_30default_config_static_selectorELNS0_4arch9wavefront6targetE0EEEvT1_.has_recursion, 0
	.set _ZN7rocprim17ROCPRIM_400000_NS6detail17trampoline_kernelINS0_14default_configENS1_25partition_config_selectorILNS1_17partition_subalgoE5EjNS0_10empty_typeEbEEZZNS1_14partition_implILS5_5ELb0ES3_mN6thrust23THRUST_200600_302600_NS6detail15normal_iteratorINSA_10device_ptrIjEEEEPS6_NSA_18transform_iteratorINSB_9not_fun_tI7is_trueIjEEENSC_INSD_IbEEEENSA_11use_defaultESO_EENS0_5tupleIJSF_S6_EEENSQ_IJSG_SG_EEES6_PlJS6_EEE10hipError_tPvRmT3_T4_T5_T6_T7_T9_mT8_P12ihipStream_tbDpT10_ENKUlT_T0_E_clISt17integral_constantIbLb1EES1C_IbLb0EEEEDaS18_S19_EUlS18_E_NS1_11comp_targetILNS1_3genE5ELNS1_11target_archE942ELNS1_3gpuE9ELNS1_3repE0EEENS1_30default_config_static_selectorELNS0_4arch9wavefront6targetE0EEEvT1_.has_indirect_call, 0
	.section	.AMDGPU.csdata,"",@progbits
; Kernel info:
; codeLenInByte = 0
; TotalNumSgprs: 0
; NumVgprs: 0
; ScratchSize: 0
; MemoryBound: 0
; FloatMode: 240
; IeeeMode: 1
; LDSByteSize: 0 bytes/workgroup (compile time only)
; SGPRBlocks: 0
; VGPRBlocks: 0
; NumSGPRsForWavesPerEU: 1
; NumVGPRsForWavesPerEU: 1
; Occupancy: 16
; WaveLimiterHint : 0
; COMPUTE_PGM_RSRC2:SCRATCH_EN: 0
; COMPUTE_PGM_RSRC2:USER_SGPR: 2
; COMPUTE_PGM_RSRC2:TRAP_HANDLER: 0
; COMPUTE_PGM_RSRC2:TGID_X_EN: 1
; COMPUTE_PGM_RSRC2:TGID_Y_EN: 0
; COMPUTE_PGM_RSRC2:TGID_Z_EN: 0
; COMPUTE_PGM_RSRC2:TIDIG_COMP_CNT: 0
	.section	.text._ZN7rocprim17ROCPRIM_400000_NS6detail17trampoline_kernelINS0_14default_configENS1_25partition_config_selectorILNS1_17partition_subalgoE5EjNS0_10empty_typeEbEEZZNS1_14partition_implILS5_5ELb0ES3_mN6thrust23THRUST_200600_302600_NS6detail15normal_iteratorINSA_10device_ptrIjEEEEPS6_NSA_18transform_iteratorINSB_9not_fun_tI7is_trueIjEEENSC_INSD_IbEEEENSA_11use_defaultESO_EENS0_5tupleIJSF_S6_EEENSQ_IJSG_SG_EEES6_PlJS6_EEE10hipError_tPvRmT3_T4_T5_T6_T7_T9_mT8_P12ihipStream_tbDpT10_ENKUlT_T0_E_clISt17integral_constantIbLb1EES1C_IbLb0EEEEDaS18_S19_EUlS18_E_NS1_11comp_targetILNS1_3genE4ELNS1_11target_archE910ELNS1_3gpuE8ELNS1_3repE0EEENS1_30default_config_static_selectorELNS0_4arch9wavefront6targetE0EEEvT1_,"axG",@progbits,_ZN7rocprim17ROCPRIM_400000_NS6detail17trampoline_kernelINS0_14default_configENS1_25partition_config_selectorILNS1_17partition_subalgoE5EjNS0_10empty_typeEbEEZZNS1_14partition_implILS5_5ELb0ES3_mN6thrust23THRUST_200600_302600_NS6detail15normal_iteratorINSA_10device_ptrIjEEEEPS6_NSA_18transform_iteratorINSB_9not_fun_tI7is_trueIjEEENSC_INSD_IbEEEENSA_11use_defaultESO_EENS0_5tupleIJSF_S6_EEENSQ_IJSG_SG_EEES6_PlJS6_EEE10hipError_tPvRmT3_T4_T5_T6_T7_T9_mT8_P12ihipStream_tbDpT10_ENKUlT_T0_E_clISt17integral_constantIbLb1EES1C_IbLb0EEEEDaS18_S19_EUlS18_E_NS1_11comp_targetILNS1_3genE4ELNS1_11target_archE910ELNS1_3gpuE8ELNS1_3repE0EEENS1_30default_config_static_selectorELNS0_4arch9wavefront6targetE0EEEvT1_,comdat
	.protected	_ZN7rocprim17ROCPRIM_400000_NS6detail17trampoline_kernelINS0_14default_configENS1_25partition_config_selectorILNS1_17partition_subalgoE5EjNS0_10empty_typeEbEEZZNS1_14partition_implILS5_5ELb0ES3_mN6thrust23THRUST_200600_302600_NS6detail15normal_iteratorINSA_10device_ptrIjEEEEPS6_NSA_18transform_iteratorINSB_9not_fun_tI7is_trueIjEEENSC_INSD_IbEEEENSA_11use_defaultESO_EENS0_5tupleIJSF_S6_EEENSQ_IJSG_SG_EEES6_PlJS6_EEE10hipError_tPvRmT3_T4_T5_T6_T7_T9_mT8_P12ihipStream_tbDpT10_ENKUlT_T0_E_clISt17integral_constantIbLb1EES1C_IbLb0EEEEDaS18_S19_EUlS18_E_NS1_11comp_targetILNS1_3genE4ELNS1_11target_archE910ELNS1_3gpuE8ELNS1_3repE0EEENS1_30default_config_static_selectorELNS0_4arch9wavefront6targetE0EEEvT1_ ; -- Begin function _ZN7rocprim17ROCPRIM_400000_NS6detail17trampoline_kernelINS0_14default_configENS1_25partition_config_selectorILNS1_17partition_subalgoE5EjNS0_10empty_typeEbEEZZNS1_14partition_implILS5_5ELb0ES3_mN6thrust23THRUST_200600_302600_NS6detail15normal_iteratorINSA_10device_ptrIjEEEEPS6_NSA_18transform_iteratorINSB_9not_fun_tI7is_trueIjEEENSC_INSD_IbEEEENSA_11use_defaultESO_EENS0_5tupleIJSF_S6_EEENSQ_IJSG_SG_EEES6_PlJS6_EEE10hipError_tPvRmT3_T4_T5_T6_T7_T9_mT8_P12ihipStream_tbDpT10_ENKUlT_T0_E_clISt17integral_constantIbLb1EES1C_IbLb0EEEEDaS18_S19_EUlS18_E_NS1_11comp_targetILNS1_3genE4ELNS1_11target_archE910ELNS1_3gpuE8ELNS1_3repE0EEENS1_30default_config_static_selectorELNS0_4arch9wavefront6targetE0EEEvT1_
	.globl	_ZN7rocprim17ROCPRIM_400000_NS6detail17trampoline_kernelINS0_14default_configENS1_25partition_config_selectorILNS1_17partition_subalgoE5EjNS0_10empty_typeEbEEZZNS1_14partition_implILS5_5ELb0ES3_mN6thrust23THRUST_200600_302600_NS6detail15normal_iteratorINSA_10device_ptrIjEEEEPS6_NSA_18transform_iteratorINSB_9not_fun_tI7is_trueIjEEENSC_INSD_IbEEEENSA_11use_defaultESO_EENS0_5tupleIJSF_S6_EEENSQ_IJSG_SG_EEES6_PlJS6_EEE10hipError_tPvRmT3_T4_T5_T6_T7_T9_mT8_P12ihipStream_tbDpT10_ENKUlT_T0_E_clISt17integral_constantIbLb1EES1C_IbLb0EEEEDaS18_S19_EUlS18_E_NS1_11comp_targetILNS1_3genE4ELNS1_11target_archE910ELNS1_3gpuE8ELNS1_3repE0EEENS1_30default_config_static_selectorELNS0_4arch9wavefront6targetE0EEEvT1_
	.p2align	8
	.type	_ZN7rocprim17ROCPRIM_400000_NS6detail17trampoline_kernelINS0_14default_configENS1_25partition_config_selectorILNS1_17partition_subalgoE5EjNS0_10empty_typeEbEEZZNS1_14partition_implILS5_5ELb0ES3_mN6thrust23THRUST_200600_302600_NS6detail15normal_iteratorINSA_10device_ptrIjEEEEPS6_NSA_18transform_iteratorINSB_9not_fun_tI7is_trueIjEEENSC_INSD_IbEEEENSA_11use_defaultESO_EENS0_5tupleIJSF_S6_EEENSQ_IJSG_SG_EEES6_PlJS6_EEE10hipError_tPvRmT3_T4_T5_T6_T7_T9_mT8_P12ihipStream_tbDpT10_ENKUlT_T0_E_clISt17integral_constantIbLb1EES1C_IbLb0EEEEDaS18_S19_EUlS18_E_NS1_11comp_targetILNS1_3genE4ELNS1_11target_archE910ELNS1_3gpuE8ELNS1_3repE0EEENS1_30default_config_static_selectorELNS0_4arch9wavefront6targetE0EEEvT1_,@function
_ZN7rocprim17ROCPRIM_400000_NS6detail17trampoline_kernelINS0_14default_configENS1_25partition_config_selectorILNS1_17partition_subalgoE5EjNS0_10empty_typeEbEEZZNS1_14partition_implILS5_5ELb0ES3_mN6thrust23THRUST_200600_302600_NS6detail15normal_iteratorINSA_10device_ptrIjEEEEPS6_NSA_18transform_iteratorINSB_9not_fun_tI7is_trueIjEEENSC_INSD_IbEEEENSA_11use_defaultESO_EENS0_5tupleIJSF_S6_EEENSQ_IJSG_SG_EEES6_PlJS6_EEE10hipError_tPvRmT3_T4_T5_T6_T7_T9_mT8_P12ihipStream_tbDpT10_ENKUlT_T0_E_clISt17integral_constantIbLb1EES1C_IbLb0EEEEDaS18_S19_EUlS18_E_NS1_11comp_targetILNS1_3genE4ELNS1_11target_archE910ELNS1_3gpuE8ELNS1_3repE0EEENS1_30default_config_static_selectorELNS0_4arch9wavefront6targetE0EEEvT1_: ; @_ZN7rocprim17ROCPRIM_400000_NS6detail17trampoline_kernelINS0_14default_configENS1_25partition_config_selectorILNS1_17partition_subalgoE5EjNS0_10empty_typeEbEEZZNS1_14partition_implILS5_5ELb0ES3_mN6thrust23THRUST_200600_302600_NS6detail15normal_iteratorINSA_10device_ptrIjEEEEPS6_NSA_18transform_iteratorINSB_9not_fun_tI7is_trueIjEEENSC_INSD_IbEEEENSA_11use_defaultESO_EENS0_5tupleIJSF_S6_EEENSQ_IJSG_SG_EEES6_PlJS6_EEE10hipError_tPvRmT3_T4_T5_T6_T7_T9_mT8_P12ihipStream_tbDpT10_ENKUlT_T0_E_clISt17integral_constantIbLb1EES1C_IbLb0EEEEDaS18_S19_EUlS18_E_NS1_11comp_targetILNS1_3genE4ELNS1_11target_archE910ELNS1_3gpuE8ELNS1_3repE0EEENS1_30default_config_static_selectorELNS0_4arch9wavefront6targetE0EEEvT1_
; %bb.0:
	.section	.rodata,"a",@progbits
	.p2align	6, 0x0
	.amdhsa_kernel _ZN7rocprim17ROCPRIM_400000_NS6detail17trampoline_kernelINS0_14default_configENS1_25partition_config_selectorILNS1_17partition_subalgoE5EjNS0_10empty_typeEbEEZZNS1_14partition_implILS5_5ELb0ES3_mN6thrust23THRUST_200600_302600_NS6detail15normal_iteratorINSA_10device_ptrIjEEEEPS6_NSA_18transform_iteratorINSB_9not_fun_tI7is_trueIjEEENSC_INSD_IbEEEENSA_11use_defaultESO_EENS0_5tupleIJSF_S6_EEENSQ_IJSG_SG_EEES6_PlJS6_EEE10hipError_tPvRmT3_T4_T5_T6_T7_T9_mT8_P12ihipStream_tbDpT10_ENKUlT_T0_E_clISt17integral_constantIbLb1EES1C_IbLb0EEEEDaS18_S19_EUlS18_E_NS1_11comp_targetILNS1_3genE4ELNS1_11target_archE910ELNS1_3gpuE8ELNS1_3repE0EEENS1_30default_config_static_selectorELNS0_4arch9wavefront6targetE0EEEvT1_
		.amdhsa_group_segment_fixed_size 0
		.amdhsa_private_segment_fixed_size 0
		.amdhsa_kernarg_size 120
		.amdhsa_user_sgpr_count 2
		.amdhsa_user_sgpr_dispatch_ptr 0
		.amdhsa_user_sgpr_queue_ptr 0
		.amdhsa_user_sgpr_kernarg_segment_ptr 1
		.amdhsa_user_sgpr_dispatch_id 0
		.amdhsa_user_sgpr_private_segment_size 0
		.amdhsa_wavefront_size32 1
		.amdhsa_uses_dynamic_stack 0
		.amdhsa_enable_private_segment 0
		.amdhsa_system_sgpr_workgroup_id_x 1
		.amdhsa_system_sgpr_workgroup_id_y 0
		.amdhsa_system_sgpr_workgroup_id_z 0
		.amdhsa_system_sgpr_workgroup_info 0
		.amdhsa_system_vgpr_workitem_id 0
		.amdhsa_next_free_vgpr 1
		.amdhsa_next_free_sgpr 1
		.amdhsa_reserve_vcc 0
		.amdhsa_float_round_mode_32 0
		.amdhsa_float_round_mode_16_64 0
		.amdhsa_float_denorm_mode_32 3
		.amdhsa_float_denorm_mode_16_64 3
		.amdhsa_fp16_overflow 0
		.amdhsa_workgroup_processor_mode 1
		.amdhsa_memory_ordered 1
		.amdhsa_forward_progress 1
		.amdhsa_inst_pref_size 0
		.amdhsa_round_robin_scheduling 0
		.amdhsa_exception_fp_ieee_invalid_op 0
		.amdhsa_exception_fp_denorm_src 0
		.amdhsa_exception_fp_ieee_div_zero 0
		.amdhsa_exception_fp_ieee_overflow 0
		.amdhsa_exception_fp_ieee_underflow 0
		.amdhsa_exception_fp_ieee_inexact 0
		.amdhsa_exception_int_div_zero 0
	.end_amdhsa_kernel
	.section	.text._ZN7rocprim17ROCPRIM_400000_NS6detail17trampoline_kernelINS0_14default_configENS1_25partition_config_selectorILNS1_17partition_subalgoE5EjNS0_10empty_typeEbEEZZNS1_14partition_implILS5_5ELb0ES3_mN6thrust23THRUST_200600_302600_NS6detail15normal_iteratorINSA_10device_ptrIjEEEEPS6_NSA_18transform_iteratorINSB_9not_fun_tI7is_trueIjEEENSC_INSD_IbEEEENSA_11use_defaultESO_EENS0_5tupleIJSF_S6_EEENSQ_IJSG_SG_EEES6_PlJS6_EEE10hipError_tPvRmT3_T4_T5_T6_T7_T9_mT8_P12ihipStream_tbDpT10_ENKUlT_T0_E_clISt17integral_constantIbLb1EES1C_IbLb0EEEEDaS18_S19_EUlS18_E_NS1_11comp_targetILNS1_3genE4ELNS1_11target_archE910ELNS1_3gpuE8ELNS1_3repE0EEENS1_30default_config_static_selectorELNS0_4arch9wavefront6targetE0EEEvT1_,"axG",@progbits,_ZN7rocprim17ROCPRIM_400000_NS6detail17trampoline_kernelINS0_14default_configENS1_25partition_config_selectorILNS1_17partition_subalgoE5EjNS0_10empty_typeEbEEZZNS1_14partition_implILS5_5ELb0ES3_mN6thrust23THRUST_200600_302600_NS6detail15normal_iteratorINSA_10device_ptrIjEEEEPS6_NSA_18transform_iteratorINSB_9not_fun_tI7is_trueIjEEENSC_INSD_IbEEEENSA_11use_defaultESO_EENS0_5tupleIJSF_S6_EEENSQ_IJSG_SG_EEES6_PlJS6_EEE10hipError_tPvRmT3_T4_T5_T6_T7_T9_mT8_P12ihipStream_tbDpT10_ENKUlT_T0_E_clISt17integral_constantIbLb1EES1C_IbLb0EEEEDaS18_S19_EUlS18_E_NS1_11comp_targetILNS1_3genE4ELNS1_11target_archE910ELNS1_3gpuE8ELNS1_3repE0EEENS1_30default_config_static_selectorELNS0_4arch9wavefront6targetE0EEEvT1_,comdat
.Lfunc_end2447:
	.size	_ZN7rocprim17ROCPRIM_400000_NS6detail17trampoline_kernelINS0_14default_configENS1_25partition_config_selectorILNS1_17partition_subalgoE5EjNS0_10empty_typeEbEEZZNS1_14partition_implILS5_5ELb0ES3_mN6thrust23THRUST_200600_302600_NS6detail15normal_iteratorINSA_10device_ptrIjEEEEPS6_NSA_18transform_iteratorINSB_9not_fun_tI7is_trueIjEEENSC_INSD_IbEEEENSA_11use_defaultESO_EENS0_5tupleIJSF_S6_EEENSQ_IJSG_SG_EEES6_PlJS6_EEE10hipError_tPvRmT3_T4_T5_T6_T7_T9_mT8_P12ihipStream_tbDpT10_ENKUlT_T0_E_clISt17integral_constantIbLb1EES1C_IbLb0EEEEDaS18_S19_EUlS18_E_NS1_11comp_targetILNS1_3genE4ELNS1_11target_archE910ELNS1_3gpuE8ELNS1_3repE0EEENS1_30default_config_static_selectorELNS0_4arch9wavefront6targetE0EEEvT1_, .Lfunc_end2447-_ZN7rocprim17ROCPRIM_400000_NS6detail17trampoline_kernelINS0_14default_configENS1_25partition_config_selectorILNS1_17partition_subalgoE5EjNS0_10empty_typeEbEEZZNS1_14partition_implILS5_5ELb0ES3_mN6thrust23THRUST_200600_302600_NS6detail15normal_iteratorINSA_10device_ptrIjEEEEPS6_NSA_18transform_iteratorINSB_9not_fun_tI7is_trueIjEEENSC_INSD_IbEEEENSA_11use_defaultESO_EENS0_5tupleIJSF_S6_EEENSQ_IJSG_SG_EEES6_PlJS6_EEE10hipError_tPvRmT3_T4_T5_T6_T7_T9_mT8_P12ihipStream_tbDpT10_ENKUlT_T0_E_clISt17integral_constantIbLb1EES1C_IbLb0EEEEDaS18_S19_EUlS18_E_NS1_11comp_targetILNS1_3genE4ELNS1_11target_archE910ELNS1_3gpuE8ELNS1_3repE0EEENS1_30default_config_static_selectorELNS0_4arch9wavefront6targetE0EEEvT1_
                                        ; -- End function
	.set _ZN7rocprim17ROCPRIM_400000_NS6detail17trampoline_kernelINS0_14default_configENS1_25partition_config_selectorILNS1_17partition_subalgoE5EjNS0_10empty_typeEbEEZZNS1_14partition_implILS5_5ELb0ES3_mN6thrust23THRUST_200600_302600_NS6detail15normal_iteratorINSA_10device_ptrIjEEEEPS6_NSA_18transform_iteratorINSB_9not_fun_tI7is_trueIjEEENSC_INSD_IbEEEENSA_11use_defaultESO_EENS0_5tupleIJSF_S6_EEENSQ_IJSG_SG_EEES6_PlJS6_EEE10hipError_tPvRmT3_T4_T5_T6_T7_T9_mT8_P12ihipStream_tbDpT10_ENKUlT_T0_E_clISt17integral_constantIbLb1EES1C_IbLb0EEEEDaS18_S19_EUlS18_E_NS1_11comp_targetILNS1_3genE4ELNS1_11target_archE910ELNS1_3gpuE8ELNS1_3repE0EEENS1_30default_config_static_selectorELNS0_4arch9wavefront6targetE0EEEvT1_.num_vgpr, 0
	.set _ZN7rocprim17ROCPRIM_400000_NS6detail17trampoline_kernelINS0_14default_configENS1_25partition_config_selectorILNS1_17partition_subalgoE5EjNS0_10empty_typeEbEEZZNS1_14partition_implILS5_5ELb0ES3_mN6thrust23THRUST_200600_302600_NS6detail15normal_iteratorINSA_10device_ptrIjEEEEPS6_NSA_18transform_iteratorINSB_9not_fun_tI7is_trueIjEEENSC_INSD_IbEEEENSA_11use_defaultESO_EENS0_5tupleIJSF_S6_EEENSQ_IJSG_SG_EEES6_PlJS6_EEE10hipError_tPvRmT3_T4_T5_T6_T7_T9_mT8_P12ihipStream_tbDpT10_ENKUlT_T0_E_clISt17integral_constantIbLb1EES1C_IbLb0EEEEDaS18_S19_EUlS18_E_NS1_11comp_targetILNS1_3genE4ELNS1_11target_archE910ELNS1_3gpuE8ELNS1_3repE0EEENS1_30default_config_static_selectorELNS0_4arch9wavefront6targetE0EEEvT1_.num_agpr, 0
	.set _ZN7rocprim17ROCPRIM_400000_NS6detail17trampoline_kernelINS0_14default_configENS1_25partition_config_selectorILNS1_17partition_subalgoE5EjNS0_10empty_typeEbEEZZNS1_14partition_implILS5_5ELb0ES3_mN6thrust23THRUST_200600_302600_NS6detail15normal_iteratorINSA_10device_ptrIjEEEEPS6_NSA_18transform_iteratorINSB_9not_fun_tI7is_trueIjEEENSC_INSD_IbEEEENSA_11use_defaultESO_EENS0_5tupleIJSF_S6_EEENSQ_IJSG_SG_EEES6_PlJS6_EEE10hipError_tPvRmT3_T4_T5_T6_T7_T9_mT8_P12ihipStream_tbDpT10_ENKUlT_T0_E_clISt17integral_constantIbLb1EES1C_IbLb0EEEEDaS18_S19_EUlS18_E_NS1_11comp_targetILNS1_3genE4ELNS1_11target_archE910ELNS1_3gpuE8ELNS1_3repE0EEENS1_30default_config_static_selectorELNS0_4arch9wavefront6targetE0EEEvT1_.numbered_sgpr, 0
	.set _ZN7rocprim17ROCPRIM_400000_NS6detail17trampoline_kernelINS0_14default_configENS1_25partition_config_selectorILNS1_17partition_subalgoE5EjNS0_10empty_typeEbEEZZNS1_14partition_implILS5_5ELb0ES3_mN6thrust23THRUST_200600_302600_NS6detail15normal_iteratorINSA_10device_ptrIjEEEEPS6_NSA_18transform_iteratorINSB_9not_fun_tI7is_trueIjEEENSC_INSD_IbEEEENSA_11use_defaultESO_EENS0_5tupleIJSF_S6_EEENSQ_IJSG_SG_EEES6_PlJS6_EEE10hipError_tPvRmT3_T4_T5_T6_T7_T9_mT8_P12ihipStream_tbDpT10_ENKUlT_T0_E_clISt17integral_constantIbLb1EES1C_IbLb0EEEEDaS18_S19_EUlS18_E_NS1_11comp_targetILNS1_3genE4ELNS1_11target_archE910ELNS1_3gpuE8ELNS1_3repE0EEENS1_30default_config_static_selectorELNS0_4arch9wavefront6targetE0EEEvT1_.num_named_barrier, 0
	.set _ZN7rocprim17ROCPRIM_400000_NS6detail17trampoline_kernelINS0_14default_configENS1_25partition_config_selectorILNS1_17partition_subalgoE5EjNS0_10empty_typeEbEEZZNS1_14partition_implILS5_5ELb0ES3_mN6thrust23THRUST_200600_302600_NS6detail15normal_iteratorINSA_10device_ptrIjEEEEPS6_NSA_18transform_iteratorINSB_9not_fun_tI7is_trueIjEEENSC_INSD_IbEEEENSA_11use_defaultESO_EENS0_5tupleIJSF_S6_EEENSQ_IJSG_SG_EEES6_PlJS6_EEE10hipError_tPvRmT3_T4_T5_T6_T7_T9_mT8_P12ihipStream_tbDpT10_ENKUlT_T0_E_clISt17integral_constantIbLb1EES1C_IbLb0EEEEDaS18_S19_EUlS18_E_NS1_11comp_targetILNS1_3genE4ELNS1_11target_archE910ELNS1_3gpuE8ELNS1_3repE0EEENS1_30default_config_static_selectorELNS0_4arch9wavefront6targetE0EEEvT1_.private_seg_size, 0
	.set _ZN7rocprim17ROCPRIM_400000_NS6detail17trampoline_kernelINS0_14default_configENS1_25partition_config_selectorILNS1_17partition_subalgoE5EjNS0_10empty_typeEbEEZZNS1_14partition_implILS5_5ELb0ES3_mN6thrust23THRUST_200600_302600_NS6detail15normal_iteratorINSA_10device_ptrIjEEEEPS6_NSA_18transform_iteratorINSB_9not_fun_tI7is_trueIjEEENSC_INSD_IbEEEENSA_11use_defaultESO_EENS0_5tupleIJSF_S6_EEENSQ_IJSG_SG_EEES6_PlJS6_EEE10hipError_tPvRmT3_T4_T5_T6_T7_T9_mT8_P12ihipStream_tbDpT10_ENKUlT_T0_E_clISt17integral_constantIbLb1EES1C_IbLb0EEEEDaS18_S19_EUlS18_E_NS1_11comp_targetILNS1_3genE4ELNS1_11target_archE910ELNS1_3gpuE8ELNS1_3repE0EEENS1_30default_config_static_selectorELNS0_4arch9wavefront6targetE0EEEvT1_.uses_vcc, 0
	.set _ZN7rocprim17ROCPRIM_400000_NS6detail17trampoline_kernelINS0_14default_configENS1_25partition_config_selectorILNS1_17partition_subalgoE5EjNS0_10empty_typeEbEEZZNS1_14partition_implILS5_5ELb0ES3_mN6thrust23THRUST_200600_302600_NS6detail15normal_iteratorINSA_10device_ptrIjEEEEPS6_NSA_18transform_iteratorINSB_9not_fun_tI7is_trueIjEEENSC_INSD_IbEEEENSA_11use_defaultESO_EENS0_5tupleIJSF_S6_EEENSQ_IJSG_SG_EEES6_PlJS6_EEE10hipError_tPvRmT3_T4_T5_T6_T7_T9_mT8_P12ihipStream_tbDpT10_ENKUlT_T0_E_clISt17integral_constantIbLb1EES1C_IbLb0EEEEDaS18_S19_EUlS18_E_NS1_11comp_targetILNS1_3genE4ELNS1_11target_archE910ELNS1_3gpuE8ELNS1_3repE0EEENS1_30default_config_static_selectorELNS0_4arch9wavefront6targetE0EEEvT1_.uses_flat_scratch, 0
	.set _ZN7rocprim17ROCPRIM_400000_NS6detail17trampoline_kernelINS0_14default_configENS1_25partition_config_selectorILNS1_17partition_subalgoE5EjNS0_10empty_typeEbEEZZNS1_14partition_implILS5_5ELb0ES3_mN6thrust23THRUST_200600_302600_NS6detail15normal_iteratorINSA_10device_ptrIjEEEEPS6_NSA_18transform_iteratorINSB_9not_fun_tI7is_trueIjEEENSC_INSD_IbEEEENSA_11use_defaultESO_EENS0_5tupleIJSF_S6_EEENSQ_IJSG_SG_EEES6_PlJS6_EEE10hipError_tPvRmT3_T4_T5_T6_T7_T9_mT8_P12ihipStream_tbDpT10_ENKUlT_T0_E_clISt17integral_constantIbLb1EES1C_IbLb0EEEEDaS18_S19_EUlS18_E_NS1_11comp_targetILNS1_3genE4ELNS1_11target_archE910ELNS1_3gpuE8ELNS1_3repE0EEENS1_30default_config_static_selectorELNS0_4arch9wavefront6targetE0EEEvT1_.has_dyn_sized_stack, 0
	.set _ZN7rocprim17ROCPRIM_400000_NS6detail17trampoline_kernelINS0_14default_configENS1_25partition_config_selectorILNS1_17partition_subalgoE5EjNS0_10empty_typeEbEEZZNS1_14partition_implILS5_5ELb0ES3_mN6thrust23THRUST_200600_302600_NS6detail15normal_iteratorINSA_10device_ptrIjEEEEPS6_NSA_18transform_iteratorINSB_9not_fun_tI7is_trueIjEEENSC_INSD_IbEEEENSA_11use_defaultESO_EENS0_5tupleIJSF_S6_EEENSQ_IJSG_SG_EEES6_PlJS6_EEE10hipError_tPvRmT3_T4_T5_T6_T7_T9_mT8_P12ihipStream_tbDpT10_ENKUlT_T0_E_clISt17integral_constantIbLb1EES1C_IbLb0EEEEDaS18_S19_EUlS18_E_NS1_11comp_targetILNS1_3genE4ELNS1_11target_archE910ELNS1_3gpuE8ELNS1_3repE0EEENS1_30default_config_static_selectorELNS0_4arch9wavefront6targetE0EEEvT1_.has_recursion, 0
	.set _ZN7rocprim17ROCPRIM_400000_NS6detail17trampoline_kernelINS0_14default_configENS1_25partition_config_selectorILNS1_17partition_subalgoE5EjNS0_10empty_typeEbEEZZNS1_14partition_implILS5_5ELb0ES3_mN6thrust23THRUST_200600_302600_NS6detail15normal_iteratorINSA_10device_ptrIjEEEEPS6_NSA_18transform_iteratorINSB_9not_fun_tI7is_trueIjEEENSC_INSD_IbEEEENSA_11use_defaultESO_EENS0_5tupleIJSF_S6_EEENSQ_IJSG_SG_EEES6_PlJS6_EEE10hipError_tPvRmT3_T4_T5_T6_T7_T9_mT8_P12ihipStream_tbDpT10_ENKUlT_T0_E_clISt17integral_constantIbLb1EES1C_IbLb0EEEEDaS18_S19_EUlS18_E_NS1_11comp_targetILNS1_3genE4ELNS1_11target_archE910ELNS1_3gpuE8ELNS1_3repE0EEENS1_30default_config_static_selectorELNS0_4arch9wavefront6targetE0EEEvT1_.has_indirect_call, 0
	.section	.AMDGPU.csdata,"",@progbits
; Kernel info:
; codeLenInByte = 0
; TotalNumSgprs: 0
; NumVgprs: 0
; ScratchSize: 0
; MemoryBound: 0
; FloatMode: 240
; IeeeMode: 1
; LDSByteSize: 0 bytes/workgroup (compile time only)
; SGPRBlocks: 0
; VGPRBlocks: 0
; NumSGPRsForWavesPerEU: 1
; NumVGPRsForWavesPerEU: 1
; Occupancy: 16
; WaveLimiterHint : 0
; COMPUTE_PGM_RSRC2:SCRATCH_EN: 0
; COMPUTE_PGM_RSRC2:USER_SGPR: 2
; COMPUTE_PGM_RSRC2:TRAP_HANDLER: 0
; COMPUTE_PGM_RSRC2:TGID_X_EN: 1
; COMPUTE_PGM_RSRC2:TGID_Y_EN: 0
; COMPUTE_PGM_RSRC2:TGID_Z_EN: 0
; COMPUTE_PGM_RSRC2:TIDIG_COMP_CNT: 0
	.section	.text._ZN7rocprim17ROCPRIM_400000_NS6detail17trampoline_kernelINS0_14default_configENS1_25partition_config_selectorILNS1_17partition_subalgoE5EjNS0_10empty_typeEbEEZZNS1_14partition_implILS5_5ELb0ES3_mN6thrust23THRUST_200600_302600_NS6detail15normal_iteratorINSA_10device_ptrIjEEEEPS6_NSA_18transform_iteratorINSB_9not_fun_tI7is_trueIjEEENSC_INSD_IbEEEENSA_11use_defaultESO_EENS0_5tupleIJSF_S6_EEENSQ_IJSG_SG_EEES6_PlJS6_EEE10hipError_tPvRmT3_T4_T5_T6_T7_T9_mT8_P12ihipStream_tbDpT10_ENKUlT_T0_E_clISt17integral_constantIbLb1EES1C_IbLb0EEEEDaS18_S19_EUlS18_E_NS1_11comp_targetILNS1_3genE3ELNS1_11target_archE908ELNS1_3gpuE7ELNS1_3repE0EEENS1_30default_config_static_selectorELNS0_4arch9wavefront6targetE0EEEvT1_,"axG",@progbits,_ZN7rocprim17ROCPRIM_400000_NS6detail17trampoline_kernelINS0_14default_configENS1_25partition_config_selectorILNS1_17partition_subalgoE5EjNS0_10empty_typeEbEEZZNS1_14partition_implILS5_5ELb0ES3_mN6thrust23THRUST_200600_302600_NS6detail15normal_iteratorINSA_10device_ptrIjEEEEPS6_NSA_18transform_iteratorINSB_9not_fun_tI7is_trueIjEEENSC_INSD_IbEEEENSA_11use_defaultESO_EENS0_5tupleIJSF_S6_EEENSQ_IJSG_SG_EEES6_PlJS6_EEE10hipError_tPvRmT3_T4_T5_T6_T7_T9_mT8_P12ihipStream_tbDpT10_ENKUlT_T0_E_clISt17integral_constantIbLb1EES1C_IbLb0EEEEDaS18_S19_EUlS18_E_NS1_11comp_targetILNS1_3genE3ELNS1_11target_archE908ELNS1_3gpuE7ELNS1_3repE0EEENS1_30default_config_static_selectorELNS0_4arch9wavefront6targetE0EEEvT1_,comdat
	.protected	_ZN7rocprim17ROCPRIM_400000_NS6detail17trampoline_kernelINS0_14default_configENS1_25partition_config_selectorILNS1_17partition_subalgoE5EjNS0_10empty_typeEbEEZZNS1_14partition_implILS5_5ELb0ES3_mN6thrust23THRUST_200600_302600_NS6detail15normal_iteratorINSA_10device_ptrIjEEEEPS6_NSA_18transform_iteratorINSB_9not_fun_tI7is_trueIjEEENSC_INSD_IbEEEENSA_11use_defaultESO_EENS0_5tupleIJSF_S6_EEENSQ_IJSG_SG_EEES6_PlJS6_EEE10hipError_tPvRmT3_T4_T5_T6_T7_T9_mT8_P12ihipStream_tbDpT10_ENKUlT_T0_E_clISt17integral_constantIbLb1EES1C_IbLb0EEEEDaS18_S19_EUlS18_E_NS1_11comp_targetILNS1_3genE3ELNS1_11target_archE908ELNS1_3gpuE7ELNS1_3repE0EEENS1_30default_config_static_selectorELNS0_4arch9wavefront6targetE0EEEvT1_ ; -- Begin function _ZN7rocprim17ROCPRIM_400000_NS6detail17trampoline_kernelINS0_14default_configENS1_25partition_config_selectorILNS1_17partition_subalgoE5EjNS0_10empty_typeEbEEZZNS1_14partition_implILS5_5ELb0ES3_mN6thrust23THRUST_200600_302600_NS6detail15normal_iteratorINSA_10device_ptrIjEEEEPS6_NSA_18transform_iteratorINSB_9not_fun_tI7is_trueIjEEENSC_INSD_IbEEEENSA_11use_defaultESO_EENS0_5tupleIJSF_S6_EEENSQ_IJSG_SG_EEES6_PlJS6_EEE10hipError_tPvRmT3_T4_T5_T6_T7_T9_mT8_P12ihipStream_tbDpT10_ENKUlT_T0_E_clISt17integral_constantIbLb1EES1C_IbLb0EEEEDaS18_S19_EUlS18_E_NS1_11comp_targetILNS1_3genE3ELNS1_11target_archE908ELNS1_3gpuE7ELNS1_3repE0EEENS1_30default_config_static_selectorELNS0_4arch9wavefront6targetE0EEEvT1_
	.globl	_ZN7rocprim17ROCPRIM_400000_NS6detail17trampoline_kernelINS0_14default_configENS1_25partition_config_selectorILNS1_17partition_subalgoE5EjNS0_10empty_typeEbEEZZNS1_14partition_implILS5_5ELb0ES3_mN6thrust23THRUST_200600_302600_NS6detail15normal_iteratorINSA_10device_ptrIjEEEEPS6_NSA_18transform_iteratorINSB_9not_fun_tI7is_trueIjEEENSC_INSD_IbEEEENSA_11use_defaultESO_EENS0_5tupleIJSF_S6_EEENSQ_IJSG_SG_EEES6_PlJS6_EEE10hipError_tPvRmT3_T4_T5_T6_T7_T9_mT8_P12ihipStream_tbDpT10_ENKUlT_T0_E_clISt17integral_constantIbLb1EES1C_IbLb0EEEEDaS18_S19_EUlS18_E_NS1_11comp_targetILNS1_3genE3ELNS1_11target_archE908ELNS1_3gpuE7ELNS1_3repE0EEENS1_30default_config_static_selectorELNS0_4arch9wavefront6targetE0EEEvT1_
	.p2align	8
	.type	_ZN7rocprim17ROCPRIM_400000_NS6detail17trampoline_kernelINS0_14default_configENS1_25partition_config_selectorILNS1_17partition_subalgoE5EjNS0_10empty_typeEbEEZZNS1_14partition_implILS5_5ELb0ES3_mN6thrust23THRUST_200600_302600_NS6detail15normal_iteratorINSA_10device_ptrIjEEEEPS6_NSA_18transform_iteratorINSB_9not_fun_tI7is_trueIjEEENSC_INSD_IbEEEENSA_11use_defaultESO_EENS0_5tupleIJSF_S6_EEENSQ_IJSG_SG_EEES6_PlJS6_EEE10hipError_tPvRmT3_T4_T5_T6_T7_T9_mT8_P12ihipStream_tbDpT10_ENKUlT_T0_E_clISt17integral_constantIbLb1EES1C_IbLb0EEEEDaS18_S19_EUlS18_E_NS1_11comp_targetILNS1_3genE3ELNS1_11target_archE908ELNS1_3gpuE7ELNS1_3repE0EEENS1_30default_config_static_selectorELNS0_4arch9wavefront6targetE0EEEvT1_,@function
_ZN7rocprim17ROCPRIM_400000_NS6detail17trampoline_kernelINS0_14default_configENS1_25partition_config_selectorILNS1_17partition_subalgoE5EjNS0_10empty_typeEbEEZZNS1_14partition_implILS5_5ELb0ES3_mN6thrust23THRUST_200600_302600_NS6detail15normal_iteratorINSA_10device_ptrIjEEEEPS6_NSA_18transform_iteratorINSB_9not_fun_tI7is_trueIjEEENSC_INSD_IbEEEENSA_11use_defaultESO_EENS0_5tupleIJSF_S6_EEENSQ_IJSG_SG_EEES6_PlJS6_EEE10hipError_tPvRmT3_T4_T5_T6_T7_T9_mT8_P12ihipStream_tbDpT10_ENKUlT_T0_E_clISt17integral_constantIbLb1EES1C_IbLb0EEEEDaS18_S19_EUlS18_E_NS1_11comp_targetILNS1_3genE3ELNS1_11target_archE908ELNS1_3gpuE7ELNS1_3repE0EEENS1_30default_config_static_selectorELNS0_4arch9wavefront6targetE0EEEvT1_: ; @_ZN7rocprim17ROCPRIM_400000_NS6detail17trampoline_kernelINS0_14default_configENS1_25partition_config_selectorILNS1_17partition_subalgoE5EjNS0_10empty_typeEbEEZZNS1_14partition_implILS5_5ELb0ES3_mN6thrust23THRUST_200600_302600_NS6detail15normal_iteratorINSA_10device_ptrIjEEEEPS6_NSA_18transform_iteratorINSB_9not_fun_tI7is_trueIjEEENSC_INSD_IbEEEENSA_11use_defaultESO_EENS0_5tupleIJSF_S6_EEENSQ_IJSG_SG_EEES6_PlJS6_EEE10hipError_tPvRmT3_T4_T5_T6_T7_T9_mT8_P12ihipStream_tbDpT10_ENKUlT_T0_E_clISt17integral_constantIbLb1EES1C_IbLb0EEEEDaS18_S19_EUlS18_E_NS1_11comp_targetILNS1_3genE3ELNS1_11target_archE908ELNS1_3gpuE7ELNS1_3repE0EEENS1_30default_config_static_selectorELNS0_4arch9wavefront6targetE0EEEvT1_
; %bb.0:
	.section	.rodata,"a",@progbits
	.p2align	6, 0x0
	.amdhsa_kernel _ZN7rocprim17ROCPRIM_400000_NS6detail17trampoline_kernelINS0_14default_configENS1_25partition_config_selectorILNS1_17partition_subalgoE5EjNS0_10empty_typeEbEEZZNS1_14partition_implILS5_5ELb0ES3_mN6thrust23THRUST_200600_302600_NS6detail15normal_iteratorINSA_10device_ptrIjEEEEPS6_NSA_18transform_iteratorINSB_9not_fun_tI7is_trueIjEEENSC_INSD_IbEEEENSA_11use_defaultESO_EENS0_5tupleIJSF_S6_EEENSQ_IJSG_SG_EEES6_PlJS6_EEE10hipError_tPvRmT3_T4_T5_T6_T7_T9_mT8_P12ihipStream_tbDpT10_ENKUlT_T0_E_clISt17integral_constantIbLb1EES1C_IbLb0EEEEDaS18_S19_EUlS18_E_NS1_11comp_targetILNS1_3genE3ELNS1_11target_archE908ELNS1_3gpuE7ELNS1_3repE0EEENS1_30default_config_static_selectorELNS0_4arch9wavefront6targetE0EEEvT1_
		.amdhsa_group_segment_fixed_size 0
		.amdhsa_private_segment_fixed_size 0
		.amdhsa_kernarg_size 120
		.amdhsa_user_sgpr_count 2
		.amdhsa_user_sgpr_dispatch_ptr 0
		.amdhsa_user_sgpr_queue_ptr 0
		.amdhsa_user_sgpr_kernarg_segment_ptr 1
		.amdhsa_user_sgpr_dispatch_id 0
		.amdhsa_user_sgpr_private_segment_size 0
		.amdhsa_wavefront_size32 1
		.amdhsa_uses_dynamic_stack 0
		.amdhsa_enable_private_segment 0
		.amdhsa_system_sgpr_workgroup_id_x 1
		.amdhsa_system_sgpr_workgroup_id_y 0
		.amdhsa_system_sgpr_workgroup_id_z 0
		.amdhsa_system_sgpr_workgroup_info 0
		.amdhsa_system_vgpr_workitem_id 0
		.amdhsa_next_free_vgpr 1
		.amdhsa_next_free_sgpr 1
		.amdhsa_reserve_vcc 0
		.amdhsa_float_round_mode_32 0
		.amdhsa_float_round_mode_16_64 0
		.amdhsa_float_denorm_mode_32 3
		.amdhsa_float_denorm_mode_16_64 3
		.amdhsa_fp16_overflow 0
		.amdhsa_workgroup_processor_mode 1
		.amdhsa_memory_ordered 1
		.amdhsa_forward_progress 1
		.amdhsa_inst_pref_size 0
		.amdhsa_round_robin_scheduling 0
		.amdhsa_exception_fp_ieee_invalid_op 0
		.amdhsa_exception_fp_denorm_src 0
		.amdhsa_exception_fp_ieee_div_zero 0
		.amdhsa_exception_fp_ieee_overflow 0
		.amdhsa_exception_fp_ieee_underflow 0
		.amdhsa_exception_fp_ieee_inexact 0
		.amdhsa_exception_int_div_zero 0
	.end_amdhsa_kernel
	.section	.text._ZN7rocprim17ROCPRIM_400000_NS6detail17trampoline_kernelINS0_14default_configENS1_25partition_config_selectorILNS1_17partition_subalgoE5EjNS0_10empty_typeEbEEZZNS1_14partition_implILS5_5ELb0ES3_mN6thrust23THRUST_200600_302600_NS6detail15normal_iteratorINSA_10device_ptrIjEEEEPS6_NSA_18transform_iteratorINSB_9not_fun_tI7is_trueIjEEENSC_INSD_IbEEEENSA_11use_defaultESO_EENS0_5tupleIJSF_S6_EEENSQ_IJSG_SG_EEES6_PlJS6_EEE10hipError_tPvRmT3_T4_T5_T6_T7_T9_mT8_P12ihipStream_tbDpT10_ENKUlT_T0_E_clISt17integral_constantIbLb1EES1C_IbLb0EEEEDaS18_S19_EUlS18_E_NS1_11comp_targetILNS1_3genE3ELNS1_11target_archE908ELNS1_3gpuE7ELNS1_3repE0EEENS1_30default_config_static_selectorELNS0_4arch9wavefront6targetE0EEEvT1_,"axG",@progbits,_ZN7rocprim17ROCPRIM_400000_NS6detail17trampoline_kernelINS0_14default_configENS1_25partition_config_selectorILNS1_17partition_subalgoE5EjNS0_10empty_typeEbEEZZNS1_14partition_implILS5_5ELb0ES3_mN6thrust23THRUST_200600_302600_NS6detail15normal_iteratorINSA_10device_ptrIjEEEEPS6_NSA_18transform_iteratorINSB_9not_fun_tI7is_trueIjEEENSC_INSD_IbEEEENSA_11use_defaultESO_EENS0_5tupleIJSF_S6_EEENSQ_IJSG_SG_EEES6_PlJS6_EEE10hipError_tPvRmT3_T4_T5_T6_T7_T9_mT8_P12ihipStream_tbDpT10_ENKUlT_T0_E_clISt17integral_constantIbLb1EES1C_IbLb0EEEEDaS18_S19_EUlS18_E_NS1_11comp_targetILNS1_3genE3ELNS1_11target_archE908ELNS1_3gpuE7ELNS1_3repE0EEENS1_30default_config_static_selectorELNS0_4arch9wavefront6targetE0EEEvT1_,comdat
.Lfunc_end2448:
	.size	_ZN7rocprim17ROCPRIM_400000_NS6detail17trampoline_kernelINS0_14default_configENS1_25partition_config_selectorILNS1_17partition_subalgoE5EjNS0_10empty_typeEbEEZZNS1_14partition_implILS5_5ELb0ES3_mN6thrust23THRUST_200600_302600_NS6detail15normal_iteratorINSA_10device_ptrIjEEEEPS6_NSA_18transform_iteratorINSB_9not_fun_tI7is_trueIjEEENSC_INSD_IbEEEENSA_11use_defaultESO_EENS0_5tupleIJSF_S6_EEENSQ_IJSG_SG_EEES6_PlJS6_EEE10hipError_tPvRmT3_T4_T5_T6_T7_T9_mT8_P12ihipStream_tbDpT10_ENKUlT_T0_E_clISt17integral_constantIbLb1EES1C_IbLb0EEEEDaS18_S19_EUlS18_E_NS1_11comp_targetILNS1_3genE3ELNS1_11target_archE908ELNS1_3gpuE7ELNS1_3repE0EEENS1_30default_config_static_selectorELNS0_4arch9wavefront6targetE0EEEvT1_, .Lfunc_end2448-_ZN7rocprim17ROCPRIM_400000_NS6detail17trampoline_kernelINS0_14default_configENS1_25partition_config_selectorILNS1_17partition_subalgoE5EjNS0_10empty_typeEbEEZZNS1_14partition_implILS5_5ELb0ES3_mN6thrust23THRUST_200600_302600_NS6detail15normal_iteratorINSA_10device_ptrIjEEEEPS6_NSA_18transform_iteratorINSB_9not_fun_tI7is_trueIjEEENSC_INSD_IbEEEENSA_11use_defaultESO_EENS0_5tupleIJSF_S6_EEENSQ_IJSG_SG_EEES6_PlJS6_EEE10hipError_tPvRmT3_T4_T5_T6_T7_T9_mT8_P12ihipStream_tbDpT10_ENKUlT_T0_E_clISt17integral_constantIbLb1EES1C_IbLb0EEEEDaS18_S19_EUlS18_E_NS1_11comp_targetILNS1_3genE3ELNS1_11target_archE908ELNS1_3gpuE7ELNS1_3repE0EEENS1_30default_config_static_selectorELNS0_4arch9wavefront6targetE0EEEvT1_
                                        ; -- End function
	.set _ZN7rocprim17ROCPRIM_400000_NS6detail17trampoline_kernelINS0_14default_configENS1_25partition_config_selectorILNS1_17partition_subalgoE5EjNS0_10empty_typeEbEEZZNS1_14partition_implILS5_5ELb0ES3_mN6thrust23THRUST_200600_302600_NS6detail15normal_iteratorINSA_10device_ptrIjEEEEPS6_NSA_18transform_iteratorINSB_9not_fun_tI7is_trueIjEEENSC_INSD_IbEEEENSA_11use_defaultESO_EENS0_5tupleIJSF_S6_EEENSQ_IJSG_SG_EEES6_PlJS6_EEE10hipError_tPvRmT3_T4_T5_T6_T7_T9_mT8_P12ihipStream_tbDpT10_ENKUlT_T0_E_clISt17integral_constantIbLb1EES1C_IbLb0EEEEDaS18_S19_EUlS18_E_NS1_11comp_targetILNS1_3genE3ELNS1_11target_archE908ELNS1_3gpuE7ELNS1_3repE0EEENS1_30default_config_static_selectorELNS0_4arch9wavefront6targetE0EEEvT1_.num_vgpr, 0
	.set _ZN7rocprim17ROCPRIM_400000_NS6detail17trampoline_kernelINS0_14default_configENS1_25partition_config_selectorILNS1_17partition_subalgoE5EjNS0_10empty_typeEbEEZZNS1_14partition_implILS5_5ELb0ES3_mN6thrust23THRUST_200600_302600_NS6detail15normal_iteratorINSA_10device_ptrIjEEEEPS6_NSA_18transform_iteratorINSB_9not_fun_tI7is_trueIjEEENSC_INSD_IbEEEENSA_11use_defaultESO_EENS0_5tupleIJSF_S6_EEENSQ_IJSG_SG_EEES6_PlJS6_EEE10hipError_tPvRmT3_T4_T5_T6_T7_T9_mT8_P12ihipStream_tbDpT10_ENKUlT_T0_E_clISt17integral_constantIbLb1EES1C_IbLb0EEEEDaS18_S19_EUlS18_E_NS1_11comp_targetILNS1_3genE3ELNS1_11target_archE908ELNS1_3gpuE7ELNS1_3repE0EEENS1_30default_config_static_selectorELNS0_4arch9wavefront6targetE0EEEvT1_.num_agpr, 0
	.set _ZN7rocprim17ROCPRIM_400000_NS6detail17trampoline_kernelINS0_14default_configENS1_25partition_config_selectorILNS1_17partition_subalgoE5EjNS0_10empty_typeEbEEZZNS1_14partition_implILS5_5ELb0ES3_mN6thrust23THRUST_200600_302600_NS6detail15normal_iteratorINSA_10device_ptrIjEEEEPS6_NSA_18transform_iteratorINSB_9not_fun_tI7is_trueIjEEENSC_INSD_IbEEEENSA_11use_defaultESO_EENS0_5tupleIJSF_S6_EEENSQ_IJSG_SG_EEES6_PlJS6_EEE10hipError_tPvRmT3_T4_T5_T6_T7_T9_mT8_P12ihipStream_tbDpT10_ENKUlT_T0_E_clISt17integral_constantIbLb1EES1C_IbLb0EEEEDaS18_S19_EUlS18_E_NS1_11comp_targetILNS1_3genE3ELNS1_11target_archE908ELNS1_3gpuE7ELNS1_3repE0EEENS1_30default_config_static_selectorELNS0_4arch9wavefront6targetE0EEEvT1_.numbered_sgpr, 0
	.set _ZN7rocprim17ROCPRIM_400000_NS6detail17trampoline_kernelINS0_14default_configENS1_25partition_config_selectorILNS1_17partition_subalgoE5EjNS0_10empty_typeEbEEZZNS1_14partition_implILS5_5ELb0ES3_mN6thrust23THRUST_200600_302600_NS6detail15normal_iteratorINSA_10device_ptrIjEEEEPS6_NSA_18transform_iteratorINSB_9not_fun_tI7is_trueIjEEENSC_INSD_IbEEEENSA_11use_defaultESO_EENS0_5tupleIJSF_S6_EEENSQ_IJSG_SG_EEES6_PlJS6_EEE10hipError_tPvRmT3_T4_T5_T6_T7_T9_mT8_P12ihipStream_tbDpT10_ENKUlT_T0_E_clISt17integral_constantIbLb1EES1C_IbLb0EEEEDaS18_S19_EUlS18_E_NS1_11comp_targetILNS1_3genE3ELNS1_11target_archE908ELNS1_3gpuE7ELNS1_3repE0EEENS1_30default_config_static_selectorELNS0_4arch9wavefront6targetE0EEEvT1_.num_named_barrier, 0
	.set _ZN7rocprim17ROCPRIM_400000_NS6detail17trampoline_kernelINS0_14default_configENS1_25partition_config_selectorILNS1_17partition_subalgoE5EjNS0_10empty_typeEbEEZZNS1_14partition_implILS5_5ELb0ES3_mN6thrust23THRUST_200600_302600_NS6detail15normal_iteratorINSA_10device_ptrIjEEEEPS6_NSA_18transform_iteratorINSB_9not_fun_tI7is_trueIjEEENSC_INSD_IbEEEENSA_11use_defaultESO_EENS0_5tupleIJSF_S6_EEENSQ_IJSG_SG_EEES6_PlJS6_EEE10hipError_tPvRmT3_T4_T5_T6_T7_T9_mT8_P12ihipStream_tbDpT10_ENKUlT_T0_E_clISt17integral_constantIbLb1EES1C_IbLb0EEEEDaS18_S19_EUlS18_E_NS1_11comp_targetILNS1_3genE3ELNS1_11target_archE908ELNS1_3gpuE7ELNS1_3repE0EEENS1_30default_config_static_selectorELNS0_4arch9wavefront6targetE0EEEvT1_.private_seg_size, 0
	.set _ZN7rocprim17ROCPRIM_400000_NS6detail17trampoline_kernelINS0_14default_configENS1_25partition_config_selectorILNS1_17partition_subalgoE5EjNS0_10empty_typeEbEEZZNS1_14partition_implILS5_5ELb0ES3_mN6thrust23THRUST_200600_302600_NS6detail15normal_iteratorINSA_10device_ptrIjEEEEPS6_NSA_18transform_iteratorINSB_9not_fun_tI7is_trueIjEEENSC_INSD_IbEEEENSA_11use_defaultESO_EENS0_5tupleIJSF_S6_EEENSQ_IJSG_SG_EEES6_PlJS6_EEE10hipError_tPvRmT3_T4_T5_T6_T7_T9_mT8_P12ihipStream_tbDpT10_ENKUlT_T0_E_clISt17integral_constantIbLb1EES1C_IbLb0EEEEDaS18_S19_EUlS18_E_NS1_11comp_targetILNS1_3genE3ELNS1_11target_archE908ELNS1_3gpuE7ELNS1_3repE0EEENS1_30default_config_static_selectorELNS0_4arch9wavefront6targetE0EEEvT1_.uses_vcc, 0
	.set _ZN7rocprim17ROCPRIM_400000_NS6detail17trampoline_kernelINS0_14default_configENS1_25partition_config_selectorILNS1_17partition_subalgoE5EjNS0_10empty_typeEbEEZZNS1_14partition_implILS5_5ELb0ES3_mN6thrust23THRUST_200600_302600_NS6detail15normal_iteratorINSA_10device_ptrIjEEEEPS6_NSA_18transform_iteratorINSB_9not_fun_tI7is_trueIjEEENSC_INSD_IbEEEENSA_11use_defaultESO_EENS0_5tupleIJSF_S6_EEENSQ_IJSG_SG_EEES6_PlJS6_EEE10hipError_tPvRmT3_T4_T5_T6_T7_T9_mT8_P12ihipStream_tbDpT10_ENKUlT_T0_E_clISt17integral_constantIbLb1EES1C_IbLb0EEEEDaS18_S19_EUlS18_E_NS1_11comp_targetILNS1_3genE3ELNS1_11target_archE908ELNS1_3gpuE7ELNS1_3repE0EEENS1_30default_config_static_selectorELNS0_4arch9wavefront6targetE0EEEvT1_.uses_flat_scratch, 0
	.set _ZN7rocprim17ROCPRIM_400000_NS6detail17trampoline_kernelINS0_14default_configENS1_25partition_config_selectorILNS1_17partition_subalgoE5EjNS0_10empty_typeEbEEZZNS1_14partition_implILS5_5ELb0ES3_mN6thrust23THRUST_200600_302600_NS6detail15normal_iteratorINSA_10device_ptrIjEEEEPS6_NSA_18transform_iteratorINSB_9not_fun_tI7is_trueIjEEENSC_INSD_IbEEEENSA_11use_defaultESO_EENS0_5tupleIJSF_S6_EEENSQ_IJSG_SG_EEES6_PlJS6_EEE10hipError_tPvRmT3_T4_T5_T6_T7_T9_mT8_P12ihipStream_tbDpT10_ENKUlT_T0_E_clISt17integral_constantIbLb1EES1C_IbLb0EEEEDaS18_S19_EUlS18_E_NS1_11comp_targetILNS1_3genE3ELNS1_11target_archE908ELNS1_3gpuE7ELNS1_3repE0EEENS1_30default_config_static_selectorELNS0_4arch9wavefront6targetE0EEEvT1_.has_dyn_sized_stack, 0
	.set _ZN7rocprim17ROCPRIM_400000_NS6detail17trampoline_kernelINS0_14default_configENS1_25partition_config_selectorILNS1_17partition_subalgoE5EjNS0_10empty_typeEbEEZZNS1_14partition_implILS5_5ELb0ES3_mN6thrust23THRUST_200600_302600_NS6detail15normal_iteratorINSA_10device_ptrIjEEEEPS6_NSA_18transform_iteratorINSB_9not_fun_tI7is_trueIjEEENSC_INSD_IbEEEENSA_11use_defaultESO_EENS0_5tupleIJSF_S6_EEENSQ_IJSG_SG_EEES6_PlJS6_EEE10hipError_tPvRmT3_T4_T5_T6_T7_T9_mT8_P12ihipStream_tbDpT10_ENKUlT_T0_E_clISt17integral_constantIbLb1EES1C_IbLb0EEEEDaS18_S19_EUlS18_E_NS1_11comp_targetILNS1_3genE3ELNS1_11target_archE908ELNS1_3gpuE7ELNS1_3repE0EEENS1_30default_config_static_selectorELNS0_4arch9wavefront6targetE0EEEvT1_.has_recursion, 0
	.set _ZN7rocprim17ROCPRIM_400000_NS6detail17trampoline_kernelINS0_14default_configENS1_25partition_config_selectorILNS1_17partition_subalgoE5EjNS0_10empty_typeEbEEZZNS1_14partition_implILS5_5ELb0ES3_mN6thrust23THRUST_200600_302600_NS6detail15normal_iteratorINSA_10device_ptrIjEEEEPS6_NSA_18transform_iteratorINSB_9not_fun_tI7is_trueIjEEENSC_INSD_IbEEEENSA_11use_defaultESO_EENS0_5tupleIJSF_S6_EEENSQ_IJSG_SG_EEES6_PlJS6_EEE10hipError_tPvRmT3_T4_T5_T6_T7_T9_mT8_P12ihipStream_tbDpT10_ENKUlT_T0_E_clISt17integral_constantIbLb1EES1C_IbLb0EEEEDaS18_S19_EUlS18_E_NS1_11comp_targetILNS1_3genE3ELNS1_11target_archE908ELNS1_3gpuE7ELNS1_3repE0EEENS1_30default_config_static_selectorELNS0_4arch9wavefront6targetE0EEEvT1_.has_indirect_call, 0
	.section	.AMDGPU.csdata,"",@progbits
; Kernel info:
; codeLenInByte = 0
; TotalNumSgprs: 0
; NumVgprs: 0
; ScratchSize: 0
; MemoryBound: 0
; FloatMode: 240
; IeeeMode: 1
; LDSByteSize: 0 bytes/workgroup (compile time only)
; SGPRBlocks: 0
; VGPRBlocks: 0
; NumSGPRsForWavesPerEU: 1
; NumVGPRsForWavesPerEU: 1
; Occupancy: 16
; WaveLimiterHint : 0
; COMPUTE_PGM_RSRC2:SCRATCH_EN: 0
; COMPUTE_PGM_RSRC2:USER_SGPR: 2
; COMPUTE_PGM_RSRC2:TRAP_HANDLER: 0
; COMPUTE_PGM_RSRC2:TGID_X_EN: 1
; COMPUTE_PGM_RSRC2:TGID_Y_EN: 0
; COMPUTE_PGM_RSRC2:TGID_Z_EN: 0
; COMPUTE_PGM_RSRC2:TIDIG_COMP_CNT: 0
	.section	.text._ZN7rocprim17ROCPRIM_400000_NS6detail17trampoline_kernelINS0_14default_configENS1_25partition_config_selectorILNS1_17partition_subalgoE5EjNS0_10empty_typeEbEEZZNS1_14partition_implILS5_5ELb0ES3_mN6thrust23THRUST_200600_302600_NS6detail15normal_iteratorINSA_10device_ptrIjEEEEPS6_NSA_18transform_iteratorINSB_9not_fun_tI7is_trueIjEEENSC_INSD_IbEEEENSA_11use_defaultESO_EENS0_5tupleIJSF_S6_EEENSQ_IJSG_SG_EEES6_PlJS6_EEE10hipError_tPvRmT3_T4_T5_T6_T7_T9_mT8_P12ihipStream_tbDpT10_ENKUlT_T0_E_clISt17integral_constantIbLb1EES1C_IbLb0EEEEDaS18_S19_EUlS18_E_NS1_11comp_targetILNS1_3genE2ELNS1_11target_archE906ELNS1_3gpuE6ELNS1_3repE0EEENS1_30default_config_static_selectorELNS0_4arch9wavefront6targetE0EEEvT1_,"axG",@progbits,_ZN7rocprim17ROCPRIM_400000_NS6detail17trampoline_kernelINS0_14default_configENS1_25partition_config_selectorILNS1_17partition_subalgoE5EjNS0_10empty_typeEbEEZZNS1_14partition_implILS5_5ELb0ES3_mN6thrust23THRUST_200600_302600_NS6detail15normal_iteratorINSA_10device_ptrIjEEEEPS6_NSA_18transform_iteratorINSB_9not_fun_tI7is_trueIjEEENSC_INSD_IbEEEENSA_11use_defaultESO_EENS0_5tupleIJSF_S6_EEENSQ_IJSG_SG_EEES6_PlJS6_EEE10hipError_tPvRmT3_T4_T5_T6_T7_T9_mT8_P12ihipStream_tbDpT10_ENKUlT_T0_E_clISt17integral_constantIbLb1EES1C_IbLb0EEEEDaS18_S19_EUlS18_E_NS1_11comp_targetILNS1_3genE2ELNS1_11target_archE906ELNS1_3gpuE6ELNS1_3repE0EEENS1_30default_config_static_selectorELNS0_4arch9wavefront6targetE0EEEvT1_,comdat
	.protected	_ZN7rocprim17ROCPRIM_400000_NS6detail17trampoline_kernelINS0_14default_configENS1_25partition_config_selectorILNS1_17partition_subalgoE5EjNS0_10empty_typeEbEEZZNS1_14partition_implILS5_5ELb0ES3_mN6thrust23THRUST_200600_302600_NS6detail15normal_iteratorINSA_10device_ptrIjEEEEPS6_NSA_18transform_iteratorINSB_9not_fun_tI7is_trueIjEEENSC_INSD_IbEEEENSA_11use_defaultESO_EENS0_5tupleIJSF_S6_EEENSQ_IJSG_SG_EEES6_PlJS6_EEE10hipError_tPvRmT3_T4_T5_T6_T7_T9_mT8_P12ihipStream_tbDpT10_ENKUlT_T0_E_clISt17integral_constantIbLb1EES1C_IbLb0EEEEDaS18_S19_EUlS18_E_NS1_11comp_targetILNS1_3genE2ELNS1_11target_archE906ELNS1_3gpuE6ELNS1_3repE0EEENS1_30default_config_static_selectorELNS0_4arch9wavefront6targetE0EEEvT1_ ; -- Begin function _ZN7rocprim17ROCPRIM_400000_NS6detail17trampoline_kernelINS0_14default_configENS1_25partition_config_selectorILNS1_17partition_subalgoE5EjNS0_10empty_typeEbEEZZNS1_14partition_implILS5_5ELb0ES3_mN6thrust23THRUST_200600_302600_NS6detail15normal_iteratorINSA_10device_ptrIjEEEEPS6_NSA_18transform_iteratorINSB_9not_fun_tI7is_trueIjEEENSC_INSD_IbEEEENSA_11use_defaultESO_EENS0_5tupleIJSF_S6_EEENSQ_IJSG_SG_EEES6_PlJS6_EEE10hipError_tPvRmT3_T4_T5_T6_T7_T9_mT8_P12ihipStream_tbDpT10_ENKUlT_T0_E_clISt17integral_constantIbLb1EES1C_IbLb0EEEEDaS18_S19_EUlS18_E_NS1_11comp_targetILNS1_3genE2ELNS1_11target_archE906ELNS1_3gpuE6ELNS1_3repE0EEENS1_30default_config_static_selectorELNS0_4arch9wavefront6targetE0EEEvT1_
	.globl	_ZN7rocprim17ROCPRIM_400000_NS6detail17trampoline_kernelINS0_14default_configENS1_25partition_config_selectorILNS1_17partition_subalgoE5EjNS0_10empty_typeEbEEZZNS1_14partition_implILS5_5ELb0ES3_mN6thrust23THRUST_200600_302600_NS6detail15normal_iteratorINSA_10device_ptrIjEEEEPS6_NSA_18transform_iteratorINSB_9not_fun_tI7is_trueIjEEENSC_INSD_IbEEEENSA_11use_defaultESO_EENS0_5tupleIJSF_S6_EEENSQ_IJSG_SG_EEES6_PlJS6_EEE10hipError_tPvRmT3_T4_T5_T6_T7_T9_mT8_P12ihipStream_tbDpT10_ENKUlT_T0_E_clISt17integral_constantIbLb1EES1C_IbLb0EEEEDaS18_S19_EUlS18_E_NS1_11comp_targetILNS1_3genE2ELNS1_11target_archE906ELNS1_3gpuE6ELNS1_3repE0EEENS1_30default_config_static_selectorELNS0_4arch9wavefront6targetE0EEEvT1_
	.p2align	8
	.type	_ZN7rocprim17ROCPRIM_400000_NS6detail17trampoline_kernelINS0_14default_configENS1_25partition_config_selectorILNS1_17partition_subalgoE5EjNS0_10empty_typeEbEEZZNS1_14partition_implILS5_5ELb0ES3_mN6thrust23THRUST_200600_302600_NS6detail15normal_iteratorINSA_10device_ptrIjEEEEPS6_NSA_18transform_iteratorINSB_9not_fun_tI7is_trueIjEEENSC_INSD_IbEEEENSA_11use_defaultESO_EENS0_5tupleIJSF_S6_EEENSQ_IJSG_SG_EEES6_PlJS6_EEE10hipError_tPvRmT3_T4_T5_T6_T7_T9_mT8_P12ihipStream_tbDpT10_ENKUlT_T0_E_clISt17integral_constantIbLb1EES1C_IbLb0EEEEDaS18_S19_EUlS18_E_NS1_11comp_targetILNS1_3genE2ELNS1_11target_archE906ELNS1_3gpuE6ELNS1_3repE0EEENS1_30default_config_static_selectorELNS0_4arch9wavefront6targetE0EEEvT1_,@function
_ZN7rocprim17ROCPRIM_400000_NS6detail17trampoline_kernelINS0_14default_configENS1_25partition_config_selectorILNS1_17partition_subalgoE5EjNS0_10empty_typeEbEEZZNS1_14partition_implILS5_5ELb0ES3_mN6thrust23THRUST_200600_302600_NS6detail15normal_iteratorINSA_10device_ptrIjEEEEPS6_NSA_18transform_iteratorINSB_9not_fun_tI7is_trueIjEEENSC_INSD_IbEEEENSA_11use_defaultESO_EENS0_5tupleIJSF_S6_EEENSQ_IJSG_SG_EEES6_PlJS6_EEE10hipError_tPvRmT3_T4_T5_T6_T7_T9_mT8_P12ihipStream_tbDpT10_ENKUlT_T0_E_clISt17integral_constantIbLb1EES1C_IbLb0EEEEDaS18_S19_EUlS18_E_NS1_11comp_targetILNS1_3genE2ELNS1_11target_archE906ELNS1_3gpuE6ELNS1_3repE0EEENS1_30default_config_static_selectorELNS0_4arch9wavefront6targetE0EEEvT1_: ; @_ZN7rocprim17ROCPRIM_400000_NS6detail17trampoline_kernelINS0_14default_configENS1_25partition_config_selectorILNS1_17partition_subalgoE5EjNS0_10empty_typeEbEEZZNS1_14partition_implILS5_5ELb0ES3_mN6thrust23THRUST_200600_302600_NS6detail15normal_iteratorINSA_10device_ptrIjEEEEPS6_NSA_18transform_iteratorINSB_9not_fun_tI7is_trueIjEEENSC_INSD_IbEEEENSA_11use_defaultESO_EENS0_5tupleIJSF_S6_EEENSQ_IJSG_SG_EEES6_PlJS6_EEE10hipError_tPvRmT3_T4_T5_T6_T7_T9_mT8_P12ihipStream_tbDpT10_ENKUlT_T0_E_clISt17integral_constantIbLb1EES1C_IbLb0EEEEDaS18_S19_EUlS18_E_NS1_11comp_targetILNS1_3genE2ELNS1_11target_archE906ELNS1_3gpuE6ELNS1_3repE0EEENS1_30default_config_static_selectorELNS0_4arch9wavefront6targetE0EEEvT1_
; %bb.0:
	.section	.rodata,"a",@progbits
	.p2align	6, 0x0
	.amdhsa_kernel _ZN7rocprim17ROCPRIM_400000_NS6detail17trampoline_kernelINS0_14default_configENS1_25partition_config_selectorILNS1_17partition_subalgoE5EjNS0_10empty_typeEbEEZZNS1_14partition_implILS5_5ELb0ES3_mN6thrust23THRUST_200600_302600_NS6detail15normal_iteratorINSA_10device_ptrIjEEEEPS6_NSA_18transform_iteratorINSB_9not_fun_tI7is_trueIjEEENSC_INSD_IbEEEENSA_11use_defaultESO_EENS0_5tupleIJSF_S6_EEENSQ_IJSG_SG_EEES6_PlJS6_EEE10hipError_tPvRmT3_T4_T5_T6_T7_T9_mT8_P12ihipStream_tbDpT10_ENKUlT_T0_E_clISt17integral_constantIbLb1EES1C_IbLb0EEEEDaS18_S19_EUlS18_E_NS1_11comp_targetILNS1_3genE2ELNS1_11target_archE906ELNS1_3gpuE6ELNS1_3repE0EEENS1_30default_config_static_selectorELNS0_4arch9wavefront6targetE0EEEvT1_
		.amdhsa_group_segment_fixed_size 0
		.amdhsa_private_segment_fixed_size 0
		.amdhsa_kernarg_size 120
		.amdhsa_user_sgpr_count 2
		.amdhsa_user_sgpr_dispatch_ptr 0
		.amdhsa_user_sgpr_queue_ptr 0
		.amdhsa_user_sgpr_kernarg_segment_ptr 1
		.amdhsa_user_sgpr_dispatch_id 0
		.amdhsa_user_sgpr_private_segment_size 0
		.amdhsa_wavefront_size32 1
		.amdhsa_uses_dynamic_stack 0
		.amdhsa_enable_private_segment 0
		.amdhsa_system_sgpr_workgroup_id_x 1
		.amdhsa_system_sgpr_workgroup_id_y 0
		.amdhsa_system_sgpr_workgroup_id_z 0
		.amdhsa_system_sgpr_workgroup_info 0
		.amdhsa_system_vgpr_workitem_id 0
		.amdhsa_next_free_vgpr 1
		.amdhsa_next_free_sgpr 1
		.amdhsa_reserve_vcc 0
		.amdhsa_float_round_mode_32 0
		.amdhsa_float_round_mode_16_64 0
		.amdhsa_float_denorm_mode_32 3
		.amdhsa_float_denorm_mode_16_64 3
		.amdhsa_fp16_overflow 0
		.amdhsa_workgroup_processor_mode 1
		.amdhsa_memory_ordered 1
		.amdhsa_forward_progress 1
		.amdhsa_inst_pref_size 0
		.amdhsa_round_robin_scheduling 0
		.amdhsa_exception_fp_ieee_invalid_op 0
		.amdhsa_exception_fp_denorm_src 0
		.amdhsa_exception_fp_ieee_div_zero 0
		.amdhsa_exception_fp_ieee_overflow 0
		.amdhsa_exception_fp_ieee_underflow 0
		.amdhsa_exception_fp_ieee_inexact 0
		.amdhsa_exception_int_div_zero 0
	.end_amdhsa_kernel
	.section	.text._ZN7rocprim17ROCPRIM_400000_NS6detail17trampoline_kernelINS0_14default_configENS1_25partition_config_selectorILNS1_17partition_subalgoE5EjNS0_10empty_typeEbEEZZNS1_14partition_implILS5_5ELb0ES3_mN6thrust23THRUST_200600_302600_NS6detail15normal_iteratorINSA_10device_ptrIjEEEEPS6_NSA_18transform_iteratorINSB_9not_fun_tI7is_trueIjEEENSC_INSD_IbEEEENSA_11use_defaultESO_EENS0_5tupleIJSF_S6_EEENSQ_IJSG_SG_EEES6_PlJS6_EEE10hipError_tPvRmT3_T4_T5_T6_T7_T9_mT8_P12ihipStream_tbDpT10_ENKUlT_T0_E_clISt17integral_constantIbLb1EES1C_IbLb0EEEEDaS18_S19_EUlS18_E_NS1_11comp_targetILNS1_3genE2ELNS1_11target_archE906ELNS1_3gpuE6ELNS1_3repE0EEENS1_30default_config_static_selectorELNS0_4arch9wavefront6targetE0EEEvT1_,"axG",@progbits,_ZN7rocprim17ROCPRIM_400000_NS6detail17trampoline_kernelINS0_14default_configENS1_25partition_config_selectorILNS1_17partition_subalgoE5EjNS0_10empty_typeEbEEZZNS1_14partition_implILS5_5ELb0ES3_mN6thrust23THRUST_200600_302600_NS6detail15normal_iteratorINSA_10device_ptrIjEEEEPS6_NSA_18transform_iteratorINSB_9not_fun_tI7is_trueIjEEENSC_INSD_IbEEEENSA_11use_defaultESO_EENS0_5tupleIJSF_S6_EEENSQ_IJSG_SG_EEES6_PlJS6_EEE10hipError_tPvRmT3_T4_T5_T6_T7_T9_mT8_P12ihipStream_tbDpT10_ENKUlT_T0_E_clISt17integral_constantIbLb1EES1C_IbLb0EEEEDaS18_S19_EUlS18_E_NS1_11comp_targetILNS1_3genE2ELNS1_11target_archE906ELNS1_3gpuE6ELNS1_3repE0EEENS1_30default_config_static_selectorELNS0_4arch9wavefront6targetE0EEEvT1_,comdat
.Lfunc_end2449:
	.size	_ZN7rocprim17ROCPRIM_400000_NS6detail17trampoline_kernelINS0_14default_configENS1_25partition_config_selectorILNS1_17partition_subalgoE5EjNS0_10empty_typeEbEEZZNS1_14partition_implILS5_5ELb0ES3_mN6thrust23THRUST_200600_302600_NS6detail15normal_iteratorINSA_10device_ptrIjEEEEPS6_NSA_18transform_iteratorINSB_9not_fun_tI7is_trueIjEEENSC_INSD_IbEEEENSA_11use_defaultESO_EENS0_5tupleIJSF_S6_EEENSQ_IJSG_SG_EEES6_PlJS6_EEE10hipError_tPvRmT3_T4_T5_T6_T7_T9_mT8_P12ihipStream_tbDpT10_ENKUlT_T0_E_clISt17integral_constantIbLb1EES1C_IbLb0EEEEDaS18_S19_EUlS18_E_NS1_11comp_targetILNS1_3genE2ELNS1_11target_archE906ELNS1_3gpuE6ELNS1_3repE0EEENS1_30default_config_static_selectorELNS0_4arch9wavefront6targetE0EEEvT1_, .Lfunc_end2449-_ZN7rocprim17ROCPRIM_400000_NS6detail17trampoline_kernelINS0_14default_configENS1_25partition_config_selectorILNS1_17partition_subalgoE5EjNS0_10empty_typeEbEEZZNS1_14partition_implILS5_5ELb0ES3_mN6thrust23THRUST_200600_302600_NS6detail15normal_iteratorINSA_10device_ptrIjEEEEPS6_NSA_18transform_iteratorINSB_9not_fun_tI7is_trueIjEEENSC_INSD_IbEEEENSA_11use_defaultESO_EENS0_5tupleIJSF_S6_EEENSQ_IJSG_SG_EEES6_PlJS6_EEE10hipError_tPvRmT3_T4_T5_T6_T7_T9_mT8_P12ihipStream_tbDpT10_ENKUlT_T0_E_clISt17integral_constantIbLb1EES1C_IbLb0EEEEDaS18_S19_EUlS18_E_NS1_11comp_targetILNS1_3genE2ELNS1_11target_archE906ELNS1_3gpuE6ELNS1_3repE0EEENS1_30default_config_static_selectorELNS0_4arch9wavefront6targetE0EEEvT1_
                                        ; -- End function
	.set _ZN7rocprim17ROCPRIM_400000_NS6detail17trampoline_kernelINS0_14default_configENS1_25partition_config_selectorILNS1_17partition_subalgoE5EjNS0_10empty_typeEbEEZZNS1_14partition_implILS5_5ELb0ES3_mN6thrust23THRUST_200600_302600_NS6detail15normal_iteratorINSA_10device_ptrIjEEEEPS6_NSA_18transform_iteratorINSB_9not_fun_tI7is_trueIjEEENSC_INSD_IbEEEENSA_11use_defaultESO_EENS0_5tupleIJSF_S6_EEENSQ_IJSG_SG_EEES6_PlJS6_EEE10hipError_tPvRmT3_T4_T5_T6_T7_T9_mT8_P12ihipStream_tbDpT10_ENKUlT_T0_E_clISt17integral_constantIbLb1EES1C_IbLb0EEEEDaS18_S19_EUlS18_E_NS1_11comp_targetILNS1_3genE2ELNS1_11target_archE906ELNS1_3gpuE6ELNS1_3repE0EEENS1_30default_config_static_selectorELNS0_4arch9wavefront6targetE0EEEvT1_.num_vgpr, 0
	.set _ZN7rocprim17ROCPRIM_400000_NS6detail17trampoline_kernelINS0_14default_configENS1_25partition_config_selectorILNS1_17partition_subalgoE5EjNS0_10empty_typeEbEEZZNS1_14partition_implILS5_5ELb0ES3_mN6thrust23THRUST_200600_302600_NS6detail15normal_iteratorINSA_10device_ptrIjEEEEPS6_NSA_18transform_iteratorINSB_9not_fun_tI7is_trueIjEEENSC_INSD_IbEEEENSA_11use_defaultESO_EENS0_5tupleIJSF_S6_EEENSQ_IJSG_SG_EEES6_PlJS6_EEE10hipError_tPvRmT3_T4_T5_T6_T7_T9_mT8_P12ihipStream_tbDpT10_ENKUlT_T0_E_clISt17integral_constantIbLb1EES1C_IbLb0EEEEDaS18_S19_EUlS18_E_NS1_11comp_targetILNS1_3genE2ELNS1_11target_archE906ELNS1_3gpuE6ELNS1_3repE0EEENS1_30default_config_static_selectorELNS0_4arch9wavefront6targetE0EEEvT1_.num_agpr, 0
	.set _ZN7rocprim17ROCPRIM_400000_NS6detail17trampoline_kernelINS0_14default_configENS1_25partition_config_selectorILNS1_17partition_subalgoE5EjNS0_10empty_typeEbEEZZNS1_14partition_implILS5_5ELb0ES3_mN6thrust23THRUST_200600_302600_NS6detail15normal_iteratorINSA_10device_ptrIjEEEEPS6_NSA_18transform_iteratorINSB_9not_fun_tI7is_trueIjEEENSC_INSD_IbEEEENSA_11use_defaultESO_EENS0_5tupleIJSF_S6_EEENSQ_IJSG_SG_EEES6_PlJS6_EEE10hipError_tPvRmT3_T4_T5_T6_T7_T9_mT8_P12ihipStream_tbDpT10_ENKUlT_T0_E_clISt17integral_constantIbLb1EES1C_IbLb0EEEEDaS18_S19_EUlS18_E_NS1_11comp_targetILNS1_3genE2ELNS1_11target_archE906ELNS1_3gpuE6ELNS1_3repE0EEENS1_30default_config_static_selectorELNS0_4arch9wavefront6targetE0EEEvT1_.numbered_sgpr, 0
	.set _ZN7rocprim17ROCPRIM_400000_NS6detail17trampoline_kernelINS0_14default_configENS1_25partition_config_selectorILNS1_17partition_subalgoE5EjNS0_10empty_typeEbEEZZNS1_14partition_implILS5_5ELb0ES3_mN6thrust23THRUST_200600_302600_NS6detail15normal_iteratorINSA_10device_ptrIjEEEEPS6_NSA_18transform_iteratorINSB_9not_fun_tI7is_trueIjEEENSC_INSD_IbEEEENSA_11use_defaultESO_EENS0_5tupleIJSF_S6_EEENSQ_IJSG_SG_EEES6_PlJS6_EEE10hipError_tPvRmT3_T4_T5_T6_T7_T9_mT8_P12ihipStream_tbDpT10_ENKUlT_T0_E_clISt17integral_constantIbLb1EES1C_IbLb0EEEEDaS18_S19_EUlS18_E_NS1_11comp_targetILNS1_3genE2ELNS1_11target_archE906ELNS1_3gpuE6ELNS1_3repE0EEENS1_30default_config_static_selectorELNS0_4arch9wavefront6targetE0EEEvT1_.num_named_barrier, 0
	.set _ZN7rocprim17ROCPRIM_400000_NS6detail17trampoline_kernelINS0_14default_configENS1_25partition_config_selectorILNS1_17partition_subalgoE5EjNS0_10empty_typeEbEEZZNS1_14partition_implILS5_5ELb0ES3_mN6thrust23THRUST_200600_302600_NS6detail15normal_iteratorINSA_10device_ptrIjEEEEPS6_NSA_18transform_iteratorINSB_9not_fun_tI7is_trueIjEEENSC_INSD_IbEEEENSA_11use_defaultESO_EENS0_5tupleIJSF_S6_EEENSQ_IJSG_SG_EEES6_PlJS6_EEE10hipError_tPvRmT3_T4_T5_T6_T7_T9_mT8_P12ihipStream_tbDpT10_ENKUlT_T0_E_clISt17integral_constantIbLb1EES1C_IbLb0EEEEDaS18_S19_EUlS18_E_NS1_11comp_targetILNS1_3genE2ELNS1_11target_archE906ELNS1_3gpuE6ELNS1_3repE0EEENS1_30default_config_static_selectorELNS0_4arch9wavefront6targetE0EEEvT1_.private_seg_size, 0
	.set _ZN7rocprim17ROCPRIM_400000_NS6detail17trampoline_kernelINS0_14default_configENS1_25partition_config_selectorILNS1_17partition_subalgoE5EjNS0_10empty_typeEbEEZZNS1_14partition_implILS5_5ELb0ES3_mN6thrust23THRUST_200600_302600_NS6detail15normal_iteratorINSA_10device_ptrIjEEEEPS6_NSA_18transform_iteratorINSB_9not_fun_tI7is_trueIjEEENSC_INSD_IbEEEENSA_11use_defaultESO_EENS0_5tupleIJSF_S6_EEENSQ_IJSG_SG_EEES6_PlJS6_EEE10hipError_tPvRmT3_T4_T5_T6_T7_T9_mT8_P12ihipStream_tbDpT10_ENKUlT_T0_E_clISt17integral_constantIbLb1EES1C_IbLb0EEEEDaS18_S19_EUlS18_E_NS1_11comp_targetILNS1_3genE2ELNS1_11target_archE906ELNS1_3gpuE6ELNS1_3repE0EEENS1_30default_config_static_selectorELNS0_4arch9wavefront6targetE0EEEvT1_.uses_vcc, 0
	.set _ZN7rocprim17ROCPRIM_400000_NS6detail17trampoline_kernelINS0_14default_configENS1_25partition_config_selectorILNS1_17partition_subalgoE5EjNS0_10empty_typeEbEEZZNS1_14partition_implILS5_5ELb0ES3_mN6thrust23THRUST_200600_302600_NS6detail15normal_iteratorINSA_10device_ptrIjEEEEPS6_NSA_18transform_iteratorINSB_9not_fun_tI7is_trueIjEEENSC_INSD_IbEEEENSA_11use_defaultESO_EENS0_5tupleIJSF_S6_EEENSQ_IJSG_SG_EEES6_PlJS6_EEE10hipError_tPvRmT3_T4_T5_T6_T7_T9_mT8_P12ihipStream_tbDpT10_ENKUlT_T0_E_clISt17integral_constantIbLb1EES1C_IbLb0EEEEDaS18_S19_EUlS18_E_NS1_11comp_targetILNS1_3genE2ELNS1_11target_archE906ELNS1_3gpuE6ELNS1_3repE0EEENS1_30default_config_static_selectorELNS0_4arch9wavefront6targetE0EEEvT1_.uses_flat_scratch, 0
	.set _ZN7rocprim17ROCPRIM_400000_NS6detail17trampoline_kernelINS0_14default_configENS1_25partition_config_selectorILNS1_17partition_subalgoE5EjNS0_10empty_typeEbEEZZNS1_14partition_implILS5_5ELb0ES3_mN6thrust23THRUST_200600_302600_NS6detail15normal_iteratorINSA_10device_ptrIjEEEEPS6_NSA_18transform_iteratorINSB_9not_fun_tI7is_trueIjEEENSC_INSD_IbEEEENSA_11use_defaultESO_EENS0_5tupleIJSF_S6_EEENSQ_IJSG_SG_EEES6_PlJS6_EEE10hipError_tPvRmT3_T4_T5_T6_T7_T9_mT8_P12ihipStream_tbDpT10_ENKUlT_T0_E_clISt17integral_constantIbLb1EES1C_IbLb0EEEEDaS18_S19_EUlS18_E_NS1_11comp_targetILNS1_3genE2ELNS1_11target_archE906ELNS1_3gpuE6ELNS1_3repE0EEENS1_30default_config_static_selectorELNS0_4arch9wavefront6targetE0EEEvT1_.has_dyn_sized_stack, 0
	.set _ZN7rocprim17ROCPRIM_400000_NS6detail17trampoline_kernelINS0_14default_configENS1_25partition_config_selectorILNS1_17partition_subalgoE5EjNS0_10empty_typeEbEEZZNS1_14partition_implILS5_5ELb0ES3_mN6thrust23THRUST_200600_302600_NS6detail15normal_iteratorINSA_10device_ptrIjEEEEPS6_NSA_18transform_iteratorINSB_9not_fun_tI7is_trueIjEEENSC_INSD_IbEEEENSA_11use_defaultESO_EENS0_5tupleIJSF_S6_EEENSQ_IJSG_SG_EEES6_PlJS6_EEE10hipError_tPvRmT3_T4_T5_T6_T7_T9_mT8_P12ihipStream_tbDpT10_ENKUlT_T0_E_clISt17integral_constantIbLb1EES1C_IbLb0EEEEDaS18_S19_EUlS18_E_NS1_11comp_targetILNS1_3genE2ELNS1_11target_archE906ELNS1_3gpuE6ELNS1_3repE0EEENS1_30default_config_static_selectorELNS0_4arch9wavefront6targetE0EEEvT1_.has_recursion, 0
	.set _ZN7rocprim17ROCPRIM_400000_NS6detail17trampoline_kernelINS0_14default_configENS1_25partition_config_selectorILNS1_17partition_subalgoE5EjNS0_10empty_typeEbEEZZNS1_14partition_implILS5_5ELb0ES3_mN6thrust23THRUST_200600_302600_NS6detail15normal_iteratorINSA_10device_ptrIjEEEEPS6_NSA_18transform_iteratorINSB_9not_fun_tI7is_trueIjEEENSC_INSD_IbEEEENSA_11use_defaultESO_EENS0_5tupleIJSF_S6_EEENSQ_IJSG_SG_EEES6_PlJS6_EEE10hipError_tPvRmT3_T4_T5_T6_T7_T9_mT8_P12ihipStream_tbDpT10_ENKUlT_T0_E_clISt17integral_constantIbLb1EES1C_IbLb0EEEEDaS18_S19_EUlS18_E_NS1_11comp_targetILNS1_3genE2ELNS1_11target_archE906ELNS1_3gpuE6ELNS1_3repE0EEENS1_30default_config_static_selectorELNS0_4arch9wavefront6targetE0EEEvT1_.has_indirect_call, 0
	.section	.AMDGPU.csdata,"",@progbits
; Kernel info:
; codeLenInByte = 0
; TotalNumSgprs: 0
; NumVgprs: 0
; ScratchSize: 0
; MemoryBound: 0
; FloatMode: 240
; IeeeMode: 1
; LDSByteSize: 0 bytes/workgroup (compile time only)
; SGPRBlocks: 0
; VGPRBlocks: 0
; NumSGPRsForWavesPerEU: 1
; NumVGPRsForWavesPerEU: 1
; Occupancy: 16
; WaveLimiterHint : 0
; COMPUTE_PGM_RSRC2:SCRATCH_EN: 0
; COMPUTE_PGM_RSRC2:USER_SGPR: 2
; COMPUTE_PGM_RSRC2:TRAP_HANDLER: 0
; COMPUTE_PGM_RSRC2:TGID_X_EN: 1
; COMPUTE_PGM_RSRC2:TGID_Y_EN: 0
; COMPUTE_PGM_RSRC2:TGID_Z_EN: 0
; COMPUTE_PGM_RSRC2:TIDIG_COMP_CNT: 0
	.section	.text._ZN7rocprim17ROCPRIM_400000_NS6detail17trampoline_kernelINS0_14default_configENS1_25partition_config_selectorILNS1_17partition_subalgoE5EjNS0_10empty_typeEbEEZZNS1_14partition_implILS5_5ELb0ES3_mN6thrust23THRUST_200600_302600_NS6detail15normal_iteratorINSA_10device_ptrIjEEEEPS6_NSA_18transform_iteratorINSB_9not_fun_tI7is_trueIjEEENSC_INSD_IbEEEENSA_11use_defaultESO_EENS0_5tupleIJSF_S6_EEENSQ_IJSG_SG_EEES6_PlJS6_EEE10hipError_tPvRmT3_T4_T5_T6_T7_T9_mT8_P12ihipStream_tbDpT10_ENKUlT_T0_E_clISt17integral_constantIbLb1EES1C_IbLb0EEEEDaS18_S19_EUlS18_E_NS1_11comp_targetILNS1_3genE10ELNS1_11target_archE1200ELNS1_3gpuE4ELNS1_3repE0EEENS1_30default_config_static_selectorELNS0_4arch9wavefront6targetE0EEEvT1_,"axG",@progbits,_ZN7rocprim17ROCPRIM_400000_NS6detail17trampoline_kernelINS0_14default_configENS1_25partition_config_selectorILNS1_17partition_subalgoE5EjNS0_10empty_typeEbEEZZNS1_14partition_implILS5_5ELb0ES3_mN6thrust23THRUST_200600_302600_NS6detail15normal_iteratorINSA_10device_ptrIjEEEEPS6_NSA_18transform_iteratorINSB_9not_fun_tI7is_trueIjEEENSC_INSD_IbEEEENSA_11use_defaultESO_EENS0_5tupleIJSF_S6_EEENSQ_IJSG_SG_EEES6_PlJS6_EEE10hipError_tPvRmT3_T4_T5_T6_T7_T9_mT8_P12ihipStream_tbDpT10_ENKUlT_T0_E_clISt17integral_constantIbLb1EES1C_IbLb0EEEEDaS18_S19_EUlS18_E_NS1_11comp_targetILNS1_3genE10ELNS1_11target_archE1200ELNS1_3gpuE4ELNS1_3repE0EEENS1_30default_config_static_selectorELNS0_4arch9wavefront6targetE0EEEvT1_,comdat
	.protected	_ZN7rocprim17ROCPRIM_400000_NS6detail17trampoline_kernelINS0_14default_configENS1_25partition_config_selectorILNS1_17partition_subalgoE5EjNS0_10empty_typeEbEEZZNS1_14partition_implILS5_5ELb0ES3_mN6thrust23THRUST_200600_302600_NS6detail15normal_iteratorINSA_10device_ptrIjEEEEPS6_NSA_18transform_iteratorINSB_9not_fun_tI7is_trueIjEEENSC_INSD_IbEEEENSA_11use_defaultESO_EENS0_5tupleIJSF_S6_EEENSQ_IJSG_SG_EEES6_PlJS6_EEE10hipError_tPvRmT3_T4_T5_T6_T7_T9_mT8_P12ihipStream_tbDpT10_ENKUlT_T0_E_clISt17integral_constantIbLb1EES1C_IbLb0EEEEDaS18_S19_EUlS18_E_NS1_11comp_targetILNS1_3genE10ELNS1_11target_archE1200ELNS1_3gpuE4ELNS1_3repE0EEENS1_30default_config_static_selectorELNS0_4arch9wavefront6targetE0EEEvT1_ ; -- Begin function _ZN7rocprim17ROCPRIM_400000_NS6detail17trampoline_kernelINS0_14default_configENS1_25partition_config_selectorILNS1_17partition_subalgoE5EjNS0_10empty_typeEbEEZZNS1_14partition_implILS5_5ELb0ES3_mN6thrust23THRUST_200600_302600_NS6detail15normal_iteratorINSA_10device_ptrIjEEEEPS6_NSA_18transform_iteratorINSB_9not_fun_tI7is_trueIjEEENSC_INSD_IbEEEENSA_11use_defaultESO_EENS0_5tupleIJSF_S6_EEENSQ_IJSG_SG_EEES6_PlJS6_EEE10hipError_tPvRmT3_T4_T5_T6_T7_T9_mT8_P12ihipStream_tbDpT10_ENKUlT_T0_E_clISt17integral_constantIbLb1EES1C_IbLb0EEEEDaS18_S19_EUlS18_E_NS1_11comp_targetILNS1_3genE10ELNS1_11target_archE1200ELNS1_3gpuE4ELNS1_3repE0EEENS1_30default_config_static_selectorELNS0_4arch9wavefront6targetE0EEEvT1_
	.globl	_ZN7rocprim17ROCPRIM_400000_NS6detail17trampoline_kernelINS0_14default_configENS1_25partition_config_selectorILNS1_17partition_subalgoE5EjNS0_10empty_typeEbEEZZNS1_14partition_implILS5_5ELb0ES3_mN6thrust23THRUST_200600_302600_NS6detail15normal_iteratorINSA_10device_ptrIjEEEEPS6_NSA_18transform_iteratorINSB_9not_fun_tI7is_trueIjEEENSC_INSD_IbEEEENSA_11use_defaultESO_EENS0_5tupleIJSF_S6_EEENSQ_IJSG_SG_EEES6_PlJS6_EEE10hipError_tPvRmT3_T4_T5_T6_T7_T9_mT8_P12ihipStream_tbDpT10_ENKUlT_T0_E_clISt17integral_constantIbLb1EES1C_IbLb0EEEEDaS18_S19_EUlS18_E_NS1_11comp_targetILNS1_3genE10ELNS1_11target_archE1200ELNS1_3gpuE4ELNS1_3repE0EEENS1_30default_config_static_selectorELNS0_4arch9wavefront6targetE0EEEvT1_
	.p2align	8
	.type	_ZN7rocprim17ROCPRIM_400000_NS6detail17trampoline_kernelINS0_14default_configENS1_25partition_config_selectorILNS1_17partition_subalgoE5EjNS0_10empty_typeEbEEZZNS1_14partition_implILS5_5ELb0ES3_mN6thrust23THRUST_200600_302600_NS6detail15normal_iteratorINSA_10device_ptrIjEEEEPS6_NSA_18transform_iteratorINSB_9not_fun_tI7is_trueIjEEENSC_INSD_IbEEEENSA_11use_defaultESO_EENS0_5tupleIJSF_S6_EEENSQ_IJSG_SG_EEES6_PlJS6_EEE10hipError_tPvRmT3_T4_T5_T6_T7_T9_mT8_P12ihipStream_tbDpT10_ENKUlT_T0_E_clISt17integral_constantIbLb1EES1C_IbLb0EEEEDaS18_S19_EUlS18_E_NS1_11comp_targetILNS1_3genE10ELNS1_11target_archE1200ELNS1_3gpuE4ELNS1_3repE0EEENS1_30default_config_static_selectorELNS0_4arch9wavefront6targetE0EEEvT1_,@function
_ZN7rocprim17ROCPRIM_400000_NS6detail17trampoline_kernelINS0_14default_configENS1_25partition_config_selectorILNS1_17partition_subalgoE5EjNS0_10empty_typeEbEEZZNS1_14partition_implILS5_5ELb0ES3_mN6thrust23THRUST_200600_302600_NS6detail15normal_iteratorINSA_10device_ptrIjEEEEPS6_NSA_18transform_iteratorINSB_9not_fun_tI7is_trueIjEEENSC_INSD_IbEEEENSA_11use_defaultESO_EENS0_5tupleIJSF_S6_EEENSQ_IJSG_SG_EEES6_PlJS6_EEE10hipError_tPvRmT3_T4_T5_T6_T7_T9_mT8_P12ihipStream_tbDpT10_ENKUlT_T0_E_clISt17integral_constantIbLb1EES1C_IbLb0EEEEDaS18_S19_EUlS18_E_NS1_11comp_targetILNS1_3genE10ELNS1_11target_archE1200ELNS1_3gpuE4ELNS1_3repE0EEENS1_30default_config_static_selectorELNS0_4arch9wavefront6targetE0EEEvT1_: ; @_ZN7rocprim17ROCPRIM_400000_NS6detail17trampoline_kernelINS0_14default_configENS1_25partition_config_selectorILNS1_17partition_subalgoE5EjNS0_10empty_typeEbEEZZNS1_14partition_implILS5_5ELb0ES3_mN6thrust23THRUST_200600_302600_NS6detail15normal_iteratorINSA_10device_ptrIjEEEEPS6_NSA_18transform_iteratorINSB_9not_fun_tI7is_trueIjEEENSC_INSD_IbEEEENSA_11use_defaultESO_EENS0_5tupleIJSF_S6_EEENSQ_IJSG_SG_EEES6_PlJS6_EEE10hipError_tPvRmT3_T4_T5_T6_T7_T9_mT8_P12ihipStream_tbDpT10_ENKUlT_T0_E_clISt17integral_constantIbLb1EES1C_IbLb0EEEEDaS18_S19_EUlS18_E_NS1_11comp_targetILNS1_3genE10ELNS1_11target_archE1200ELNS1_3gpuE4ELNS1_3repE0EEENS1_30default_config_static_selectorELNS0_4arch9wavefront6targetE0EEEvT1_
; %bb.0:
	s_endpgm
	.section	.rodata,"a",@progbits
	.p2align	6, 0x0
	.amdhsa_kernel _ZN7rocprim17ROCPRIM_400000_NS6detail17trampoline_kernelINS0_14default_configENS1_25partition_config_selectorILNS1_17partition_subalgoE5EjNS0_10empty_typeEbEEZZNS1_14partition_implILS5_5ELb0ES3_mN6thrust23THRUST_200600_302600_NS6detail15normal_iteratorINSA_10device_ptrIjEEEEPS6_NSA_18transform_iteratorINSB_9not_fun_tI7is_trueIjEEENSC_INSD_IbEEEENSA_11use_defaultESO_EENS0_5tupleIJSF_S6_EEENSQ_IJSG_SG_EEES6_PlJS6_EEE10hipError_tPvRmT3_T4_T5_T6_T7_T9_mT8_P12ihipStream_tbDpT10_ENKUlT_T0_E_clISt17integral_constantIbLb1EES1C_IbLb0EEEEDaS18_S19_EUlS18_E_NS1_11comp_targetILNS1_3genE10ELNS1_11target_archE1200ELNS1_3gpuE4ELNS1_3repE0EEENS1_30default_config_static_selectorELNS0_4arch9wavefront6targetE0EEEvT1_
		.amdhsa_group_segment_fixed_size 0
		.amdhsa_private_segment_fixed_size 0
		.amdhsa_kernarg_size 120
		.amdhsa_user_sgpr_count 2
		.amdhsa_user_sgpr_dispatch_ptr 0
		.amdhsa_user_sgpr_queue_ptr 0
		.amdhsa_user_sgpr_kernarg_segment_ptr 1
		.amdhsa_user_sgpr_dispatch_id 0
		.amdhsa_user_sgpr_private_segment_size 0
		.amdhsa_wavefront_size32 1
		.amdhsa_uses_dynamic_stack 0
		.amdhsa_enable_private_segment 0
		.amdhsa_system_sgpr_workgroup_id_x 1
		.amdhsa_system_sgpr_workgroup_id_y 0
		.amdhsa_system_sgpr_workgroup_id_z 0
		.amdhsa_system_sgpr_workgroup_info 0
		.amdhsa_system_vgpr_workitem_id 0
		.amdhsa_next_free_vgpr 1
		.amdhsa_next_free_sgpr 1
		.amdhsa_reserve_vcc 0
		.amdhsa_float_round_mode_32 0
		.amdhsa_float_round_mode_16_64 0
		.amdhsa_float_denorm_mode_32 3
		.amdhsa_float_denorm_mode_16_64 3
		.amdhsa_fp16_overflow 0
		.amdhsa_workgroup_processor_mode 1
		.amdhsa_memory_ordered 1
		.amdhsa_forward_progress 1
		.amdhsa_inst_pref_size 1
		.amdhsa_round_robin_scheduling 0
		.amdhsa_exception_fp_ieee_invalid_op 0
		.amdhsa_exception_fp_denorm_src 0
		.amdhsa_exception_fp_ieee_div_zero 0
		.amdhsa_exception_fp_ieee_overflow 0
		.amdhsa_exception_fp_ieee_underflow 0
		.amdhsa_exception_fp_ieee_inexact 0
		.amdhsa_exception_int_div_zero 0
	.end_amdhsa_kernel
	.section	.text._ZN7rocprim17ROCPRIM_400000_NS6detail17trampoline_kernelINS0_14default_configENS1_25partition_config_selectorILNS1_17partition_subalgoE5EjNS0_10empty_typeEbEEZZNS1_14partition_implILS5_5ELb0ES3_mN6thrust23THRUST_200600_302600_NS6detail15normal_iteratorINSA_10device_ptrIjEEEEPS6_NSA_18transform_iteratorINSB_9not_fun_tI7is_trueIjEEENSC_INSD_IbEEEENSA_11use_defaultESO_EENS0_5tupleIJSF_S6_EEENSQ_IJSG_SG_EEES6_PlJS6_EEE10hipError_tPvRmT3_T4_T5_T6_T7_T9_mT8_P12ihipStream_tbDpT10_ENKUlT_T0_E_clISt17integral_constantIbLb1EES1C_IbLb0EEEEDaS18_S19_EUlS18_E_NS1_11comp_targetILNS1_3genE10ELNS1_11target_archE1200ELNS1_3gpuE4ELNS1_3repE0EEENS1_30default_config_static_selectorELNS0_4arch9wavefront6targetE0EEEvT1_,"axG",@progbits,_ZN7rocprim17ROCPRIM_400000_NS6detail17trampoline_kernelINS0_14default_configENS1_25partition_config_selectorILNS1_17partition_subalgoE5EjNS0_10empty_typeEbEEZZNS1_14partition_implILS5_5ELb0ES3_mN6thrust23THRUST_200600_302600_NS6detail15normal_iteratorINSA_10device_ptrIjEEEEPS6_NSA_18transform_iteratorINSB_9not_fun_tI7is_trueIjEEENSC_INSD_IbEEEENSA_11use_defaultESO_EENS0_5tupleIJSF_S6_EEENSQ_IJSG_SG_EEES6_PlJS6_EEE10hipError_tPvRmT3_T4_T5_T6_T7_T9_mT8_P12ihipStream_tbDpT10_ENKUlT_T0_E_clISt17integral_constantIbLb1EES1C_IbLb0EEEEDaS18_S19_EUlS18_E_NS1_11comp_targetILNS1_3genE10ELNS1_11target_archE1200ELNS1_3gpuE4ELNS1_3repE0EEENS1_30default_config_static_selectorELNS0_4arch9wavefront6targetE0EEEvT1_,comdat
.Lfunc_end2450:
	.size	_ZN7rocprim17ROCPRIM_400000_NS6detail17trampoline_kernelINS0_14default_configENS1_25partition_config_selectorILNS1_17partition_subalgoE5EjNS0_10empty_typeEbEEZZNS1_14partition_implILS5_5ELb0ES3_mN6thrust23THRUST_200600_302600_NS6detail15normal_iteratorINSA_10device_ptrIjEEEEPS6_NSA_18transform_iteratorINSB_9not_fun_tI7is_trueIjEEENSC_INSD_IbEEEENSA_11use_defaultESO_EENS0_5tupleIJSF_S6_EEENSQ_IJSG_SG_EEES6_PlJS6_EEE10hipError_tPvRmT3_T4_T5_T6_T7_T9_mT8_P12ihipStream_tbDpT10_ENKUlT_T0_E_clISt17integral_constantIbLb1EES1C_IbLb0EEEEDaS18_S19_EUlS18_E_NS1_11comp_targetILNS1_3genE10ELNS1_11target_archE1200ELNS1_3gpuE4ELNS1_3repE0EEENS1_30default_config_static_selectorELNS0_4arch9wavefront6targetE0EEEvT1_, .Lfunc_end2450-_ZN7rocprim17ROCPRIM_400000_NS6detail17trampoline_kernelINS0_14default_configENS1_25partition_config_selectorILNS1_17partition_subalgoE5EjNS0_10empty_typeEbEEZZNS1_14partition_implILS5_5ELb0ES3_mN6thrust23THRUST_200600_302600_NS6detail15normal_iteratorINSA_10device_ptrIjEEEEPS6_NSA_18transform_iteratorINSB_9not_fun_tI7is_trueIjEEENSC_INSD_IbEEEENSA_11use_defaultESO_EENS0_5tupleIJSF_S6_EEENSQ_IJSG_SG_EEES6_PlJS6_EEE10hipError_tPvRmT3_T4_T5_T6_T7_T9_mT8_P12ihipStream_tbDpT10_ENKUlT_T0_E_clISt17integral_constantIbLb1EES1C_IbLb0EEEEDaS18_S19_EUlS18_E_NS1_11comp_targetILNS1_3genE10ELNS1_11target_archE1200ELNS1_3gpuE4ELNS1_3repE0EEENS1_30default_config_static_selectorELNS0_4arch9wavefront6targetE0EEEvT1_
                                        ; -- End function
	.set _ZN7rocprim17ROCPRIM_400000_NS6detail17trampoline_kernelINS0_14default_configENS1_25partition_config_selectorILNS1_17partition_subalgoE5EjNS0_10empty_typeEbEEZZNS1_14partition_implILS5_5ELb0ES3_mN6thrust23THRUST_200600_302600_NS6detail15normal_iteratorINSA_10device_ptrIjEEEEPS6_NSA_18transform_iteratorINSB_9not_fun_tI7is_trueIjEEENSC_INSD_IbEEEENSA_11use_defaultESO_EENS0_5tupleIJSF_S6_EEENSQ_IJSG_SG_EEES6_PlJS6_EEE10hipError_tPvRmT3_T4_T5_T6_T7_T9_mT8_P12ihipStream_tbDpT10_ENKUlT_T0_E_clISt17integral_constantIbLb1EES1C_IbLb0EEEEDaS18_S19_EUlS18_E_NS1_11comp_targetILNS1_3genE10ELNS1_11target_archE1200ELNS1_3gpuE4ELNS1_3repE0EEENS1_30default_config_static_selectorELNS0_4arch9wavefront6targetE0EEEvT1_.num_vgpr, 0
	.set _ZN7rocprim17ROCPRIM_400000_NS6detail17trampoline_kernelINS0_14default_configENS1_25partition_config_selectorILNS1_17partition_subalgoE5EjNS0_10empty_typeEbEEZZNS1_14partition_implILS5_5ELb0ES3_mN6thrust23THRUST_200600_302600_NS6detail15normal_iteratorINSA_10device_ptrIjEEEEPS6_NSA_18transform_iteratorINSB_9not_fun_tI7is_trueIjEEENSC_INSD_IbEEEENSA_11use_defaultESO_EENS0_5tupleIJSF_S6_EEENSQ_IJSG_SG_EEES6_PlJS6_EEE10hipError_tPvRmT3_T4_T5_T6_T7_T9_mT8_P12ihipStream_tbDpT10_ENKUlT_T0_E_clISt17integral_constantIbLb1EES1C_IbLb0EEEEDaS18_S19_EUlS18_E_NS1_11comp_targetILNS1_3genE10ELNS1_11target_archE1200ELNS1_3gpuE4ELNS1_3repE0EEENS1_30default_config_static_selectorELNS0_4arch9wavefront6targetE0EEEvT1_.num_agpr, 0
	.set _ZN7rocprim17ROCPRIM_400000_NS6detail17trampoline_kernelINS0_14default_configENS1_25partition_config_selectorILNS1_17partition_subalgoE5EjNS0_10empty_typeEbEEZZNS1_14partition_implILS5_5ELb0ES3_mN6thrust23THRUST_200600_302600_NS6detail15normal_iteratorINSA_10device_ptrIjEEEEPS6_NSA_18transform_iteratorINSB_9not_fun_tI7is_trueIjEEENSC_INSD_IbEEEENSA_11use_defaultESO_EENS0_5tupleIJSF_S6_EEENSQ_IJSG_SG_EEES6_PlJS6_EEE10hipError_tPvRmT3_T4_T5_T6_T7_T9_mT8_P12ihipStream_tbDpT10_ENKUlT_T0_E_clISt17integral_constantIbLb1EES1C_IbLb0EEEEDaS18_S19_EUlS18_E_NS1_11comp_targetILNS1_3genE10ELNS1_11target_archE1200ELNS1_3gpuE4ELNS1_3repE0EEENS1_30default_config_static_selectorELNS0_4arch9wavefront6targetE0EEEvT1_.numbered_sgpr, 0
	.set _ZN7rocprim17ROCPRIM_400000_NS6detail17trampoline_kernelINS0_14default_configENS1_25partition_config_selectorILNS1_17partition_subalgoE5EjNS0_10empty_typeEbEEZZNS1_14partition_implILS5_5ELb0ES3_mN6thrust23THRUST_200600_302600_NS6detail15normal_iteratorINSA_10device_ptrIjEEEEPS6_NSA_18transform_iteratorINSB_9not_fun_tI7is_trueIjEEENSC_INSD_IbEEEENSA_11use_defaultESO_EENS0_5tupleIJSF_S6_EEENSQ_IJSG_SG_EEES6_PlJS6_EEE10hipError_tPvRmT3_T4_T5_T6_T7_T9_mT8_P12ihipStream_tbDpT10_ENKUlT_T0_E_clISt17integral_constantIbLb1EES1C_IbLb0EEEEDaS18_S19_EUlS18_E_NS1_11comp_targetILNS1_3genE10ELNS1_11target_archE1200ELNS1_3gpuE4ELNS1_3repE0EEENS1_30default_config_static_selectorELNS0_4arch9wavefront6targetE0EEEvT1_.num_named_barrier, 0
	.set _ZN7rocprim17ROCPRIM_400000_NS6detail17trampoline_kernelINS0_14default_configENS1_25partition_config_selectorILNS1_17partition_subalgoE5EjNS0_10empty_typeEbEEZZNS1_14partition_implILS5_5ELb0ES3_mN6thrust23THRUST_200600_302600_NS6detail15normal_iteratorINSA_10device_ptrIjEEEEPS6_NSA_18transform_iteratorINSB_9not_fun_tI7is_trueIjEEENSC_INSD_IbEEEENSA_11use_defaultESO_EENS0_5tupleIJSF_S6_EEENSQ_IJSG_SG_EEES6_PlJS6_EEE10hipError_tPvRmT3_T4_T5_T6_T7_T9_mT8_P12ihipStream_tbDpT10_ENKUlT_T0_E_clISt17integral_constantIbLb1EES1C_IbLb0EEEEDaS18_S19_EUlS18_E_NS1_11comp_targetILNS1_3genE10ELNS1_11target_archE1200ELNS1_3gpuE4ELNS1_3repE0EEENS1_30default_config_static_selectorELNS0_4arch9wavefront6targetE0EEEvT1_.private_seg_size, 0
	.set _ZN7rocprim17ROCPRIM_400000_NS6detail17trampoline_kernelINS0_14default_configENS1_25partition_config_selectorILNS1_17partition_subalgoE5EjNS0_10empty_typeEbEEZZNS1_14partition_implILS5_5ELb0ES3_mN6thrust23THRUST_200600_302600_NS6detail15normal_iteratorINSA_10device_ptrIjEEEEPS6_NSA_18transform_iteratorINSB_9not_fun_tI7is_trueIjEEENSC_INSD_IbEEEENSA_11use_defaultESO_EENS0_5tupleIJSF_S6_EEENSQ_IJSG_SG_EEES6_PlJS6_EEE10hipError_tPvRmT3_T4_T5_T6_T7_T9_mT8_P12ihipStream_tbDpT10_ENKUlT_T0_E_clISt17integral_constantIbLb1EES1C_IbLb0EEEEDaS18_S19_EUlS18_E_NS1_11comp_targetILNS1_3genE10ELNS1_11target_archE1200ELNS1_3gpuE4ELNS1_3repE0EEENS1_30default_config_static_selectorELNS0_4arch9wavefront6targetE0EEEvT1_.uses_vcc, 0
	.set _ZN7rocprim17ROCPRIM_400000_NS6detail17trampoline_kernelINS0_14default_configENS1_25partition_config_selectorILNS1_17partition_subalgoE5EjNS0_10empty_typeEbEEZZNS1_14partition_implILS5_5ELb0ES3_mN6thrust23THRUST_200600_302600_NS6detail15normal_iteratorINSA_10device_ptrIjEEEEPS6_NSA_18transform_iteratorINSB_9not_fun_tI7is_trueIjEEENSC_INSD_IbEEEENSA_11use_defaultESO_EENS0_5tupleIJSF_S6_EEENSQ_IJSG_SG_EEES6_PlJS6_EEE10hipError_tPvRmT3_T4_T5_T6_T7_T9_mT8_P12ihipStream_tbDpT10_ENKUlT_T0_E_clISt17integral_constantIbLb1EES1C_IbLb0EEEEDaS18_S19_EUlS18_E_NS1_11comp_targetILNS1_3genE10ELNS1_11target_archE1200ELNS1_3gpuE4ELNS1_3repE0EEENS1_30default_config_static_selectorELNS0_4arch9wavefront6targetE0EEEvT1_.uses_flat_scratch, 0
	.set _ZN7rocprim17ROCPRIM_400000_NS6detail17trampoline_kernelINS0_14default_configENS1_25partition_config_selectorILNS1_17partition_subalgoE5EjNS0_10empty_typeEbEEZZNS1_14partition_implILS5_5ELb0ES3_mN6thrust23THRUST_200600_302600_NS6detail15normal_iteratorINSA_10device_ptrIjEEEEPS6_NSA_18transform_iteratorINSB_9not_fun_tI7is_trueIjEEENSC_INSD_IbEEEENSA_11use_defaultESO_EENS0_5tupleIJSF_S6_EEENSQ_IJSG_SG_EEES6_PlJS6_EEE10hipError_tPvRmT3_T4_T5_T6_T7_T9_mT8_P12ihipStream_tbDpT10_ENKUlT_T0_E_clISt17integral_constantIbLb1EES1C_IbLb0EEEEDaS18_S19_EUlS18_E_NS1_11comp_targetILNS1_3genE10ELNS1_11target_archE1200ELNS1_3gpuE4ELNS1_3repE0EEENS1_30default_config_static_selectorELNS0_4arch9wavefront6targetE0EEEvT1_.has_dyn_sized_stack, 0
	.set _ZN7rocprim17ROCPRIM_400000_NS6detail17trampoline_kernelINS0_14default_configENS1_25partition_config_selectorILNS1_17partition_subalgoE5EjNS0_10empty_typeEbEEZZNS1_14partition_implILS5_5ELb0ES3_mN6thrust23THRUST_200600_302600_NS6detail15normal_iteratorINSA_10device_ptrIjEEEEPS6_NSA_18transform_iteratorINSB_9not_fun_tI7is_trueIjEEENSC_INSD_IbEEEENSA_11use_defaultESO_EENS0_5tupleIJSF_S6_EEENSQ_IJSG_SG_EEES6_PlJS6_EEE10hipError_tPvRmT3_T4_T5_T6_T7_T9_mT8_P12ihipStream_tbDpT10_ENKUlT_T0_E_clISt17integral_constantIbLb1EES1C_IbLb0EEEEDaS18_S19_EUlS18_E_NS1_11comp_targetILNS1_3genE10ELNS1_11target_archE1200ELNS1_3gpuE4ELNS1_3repE0EEENS1_30default_config_static_selectorELNS0_4arch9wavefront6targetE0EEEvT1_.has_recursion, 0
	.set _ZN7rocprim17ROCPRIM_400000_NS6detail17trampoline_kernelINS0_14default_configENS1_25partition_config_selectorILNS1_17partition_subalgoE5EjNS0_10empty_typeEbEEZZNS1_14partition_implILS5_5ELb0ES3_mN6thrust23THRUST_200600_302600_NS6detail15normal_iteratorINSA_10device_ptrIjEEEEPS6_NSA_18transform_iteratorINSB_9not_fun_tI7is_trueIjEEENSC_INSD_IbEEEENSA_11use_defaultESO_EENS0_5tupleIJSF_S6_EEENSQ_IJSG_SG_EEES6_PlJS6_EEE10hipError_tPvRmT3_T4_T5_T6_T7_T9_mT8_P12ihipStream_tbDpT10_ENKUlT_T0_E_clISt17integral_constantIbLb1EES1C_IbLb0EEEEDaS18_S19_EUlS18_E_NS1_11comp_targetILNS1_3genE10ELNS1_11target_archE1200ELNS1_3gpuE4ELNS1_3repE0EEENS1_30default_config_static_selectorELNS0_4arch9wavefront6targetE0EEEvT1_.has_indirect_call, 0
	.section	.AMDGPU.csdata,"",@progbits
; Kernel info:
; codeLenInByte = 4
; TotalNumSgprs: 0
; NumVgprs: 0
; ScratchSize: 0
; MemoryBound: 0
; FloatMode: 240
; IeeeMode: 1
; LDSByteSize: 0 bytes/workgroup (compile time only)
; SGPRBlocks: 0
; VGPRBlocks: 0
; NumSGPRsForWavesPerEU: 1
; NumVGPRsForWavesPerEU: 1
; Occupancy: 16
; WaveLimiterHint : 0
; COMPUTE_PGM_RSRC2:SCRATCH_EN: 0
; COMPUTE_PGM_RSRC2:USER_SGPR: 2
; COMPUTE_PGM_RSRC2:TRAP_HANDLER: 0
; COMPUTE_PGM_RSRC2:TGID_X_EN: 1
; COMPUTE_PGM_RSRC2:TGID_Y_EN: 0
; COMPUTE_PGM_RSRC2:TGID_Z_EN: 0
; COMPUTE_PGM_RSRC2:TIDIG_COMP_CNT: 0
	.section	.text._ZN7rocprim17ROCPRIM_400000_NS6detail17trampoline_kernelINS0_14default_configENS1_25partition_config_selectorILNS1_17partition_subalgoE5EjNS0_10empty_typeEbEEZZNS1_14partition_implILS5_5ELb0ES3_mN6thrust23THRUST_200600_302600_NS6detail15normal_iteratorINSA_10device_ptrIjEEEEPS6_NSA_18transform_iteratorINSB_9not_fun_tI7is_trueIjEEENSC_INSD_IbEEEENSA_11use_defaultESO_EENS0_5tupleIJSF_S6_EEENSQ_IJSG_SG_EEES6_PlJS6_EEE10hipError_tPvRmT3_T4_T5_T6_T7_T9_mT8_P12ihipStream_tbDpT10_ENKUlT_T0_E_clISt17integral_constantIbLb1EES1C_IbLb0EEEEDaS18_S19_EUlS18_E_NS1_11comp_targetILNS1_3genE9ELNS1_11target_archE1100ELNS1_3gpuE3ELNS1_3repE0EEENS1_30default_config_static_selectorELNS0_4arch9wavefront6targetE0EEEvT1_,"axG",@progbits,_ZN7rocprim17ROCPRIM_400000_NS6detail17trampoline_kernelINS0_14default_configENS1_25partition_config_selectorILNS1_17partition_subalgoE5EjNS0_10empty_typeEbEEZZNS1_14partition_implILS5_5ELb0ES3_mN6thrust23THRUST_200600_302600_NS6detail15normal_iteratorINSA_10device_ptrIjEEEEPS6_NSA_18transform_iteratorINSB_9not_fun_tI7is_trueIjEEENSC_INSD_IbEEEENSA_11use_defaultESO_EENS0_5tupleIJSF_S6_EEENSQ_IJSG_SG_EEES6_PlJS6_EEE10hipError_tPvRmT3_T4_T5_T6_T7_T9_mT8_P12ihipStream_tbDpT10_ENKUlT_T0_E_clISt17integral_constantIbLb1EES1C_IbLb0EEEEDaS18_S19_EUlS18_E_NS1_11comp_targetILNS1_3genE9ELNS1_11target_archE1100ELNS1_3gpuE3ELNS1_3repE0EEENS1_30default_config_static_selectorELNS0_4arch9wavefront6targetE0EEEvT1_,comdat
	.protected	_ZN7rocprim17ROCPRIM_400000_NS6detail17trampoline_kernelINS0_14default_configENS1_25partition_config_selectorILNS1_17partition_subalgoE5EjNS0_10empty_typeEbEEZZNS1_14partition_implILS5_5ELb0ES3_mN6thrust23THRUST_200600_302600_NS6detail15normal_iteratorINSA_10device_ptrIjEEEEPS6_NSA_18transform_iteratorINSB_9not_fun_tI7is_trueIjEEENSC_INSD_IbEEEENSA_11use_defaultESO_EENS0_5tupleIJSF_S6_EEENSQ_IJSG_SG_EEES6_PlJS6_EEE10hipError_tPvRmT3_T4_T5_T6_T7_T9_mT8_P12ihipStream_tbDpT10_ENKUlT_T0_E_clISt17integral_constantIbLb1EES1C_IbLb0EEEEDaS18_S19_EUlS18_E_NS1_11comp_targetILNS1_3genE9ELNS1_11target_archE1100ELNS1_3gpuE3ELNS1_3repE0EEENS1_30default_config_static_selectorELNS0_4arch9wavefront6targetE0EEEvT1_ ; -- Begin function _ZN7rocprim17ROCPRIM_400000_NS6detail17trampoline_kernelINS0_14default_configENS1_25partition_config_selectorILNS1_17partition_subalgoE5EjNS0_10empty_typeEbEEZZNS1_14partition_implILS5_5ELb0ES3_mN6thrust23THRUST_200600_302600_NS6detail15normal_iteratorINSA_10device_ptrIjEEEEPS6_NSA_18transform_iteratorINSB_9not_fun_tI7is_trueIjEEENSC_INSD_IbEEEENSA_11use_defaultESO_EENS0_5tupleIJSF_S6_EEENSQ_IJSG_SG_EEES6_PlJS6_EEE10hipError_tPvRmT3_T4_T5_T6_T7_T9_mT8_P12ihipStream_tbDpT10_ENKUlT_T0_E_clISt17integral_constantIbLb1EES1C_IbLb0EEEEDaS18_S19_EUlS18_E_NS1_11comp_targetILNS1_3genE9ELNS1_11target_archE1100ELNS1_3gpuE3ELNS1_3repE0EEENS1_30default_config_static_selectorELNS0_4arch9wavefront6targetE0EEEvT1_
	.globl	_ZN7rocprim17ROCPRIM_400000_NS6detail17trampoline_kernelINS0_14default_configENS1_25partition_config_selectorILNS1_17partition_subalgoE5EjNS0_10empty_typeEbEEZZNS1_14partition_implILS5_5ELb0ES3_mN6thrust23THRUST_200600_302600_NS6detail15normal_iteratorINSA_10device_ptrIjEEEEPS6_NSA_18transform_iteratorINSB_9not_fun_tI7is_trueIjEEENSC_INSD_IbEEEENSA_11use_defaultESO_EENS0_5tupleIJSF_S6_EEENSQ_IJSG_SG_EEES6_PlJS6_EEE10hipError_tPvRmT3_T4_T5_T6_T7_T9_mT8_P12ihipStream_tbDpT10_ENKUlT_T0_E_clISt17integral_constantIbLb1EES1C_IbLb0EEEEDaS18_S19_EUlS18_E_NS1_11comp_targetILNS1_3genE9ELNS1_11target_archE1100ELNS1_3gpuE3ELNS1_3repE0EEENS1_30default_config_static_selectorELNS0_4arch9wavefront6targetE0EEEvT1_
	.p2align	8
	.type	_ZN7rocprim17ROCPRIM_400000_NS6detail17trampoline_kernelINS0_14default_configENS1_25partition_config_selectorILNS1_17partition_subalgoE5EjNS0_10empty_typeEbEEZZNS1_14partition_implILS5_5ELb0ES3_mN6thrust23THRUST_200600_302600_NS6detail15normal_iteratorINSA_10device_ptrIjEEEEPS6_NSA_18transform_iteratorINSB_9not_fun_tI7is_trueIjEEENSC_INSD_IbEEEENSA_11use_defaultESO_EENS0_5tupleIJSF_S6_EEENSQ_IJSG_SG_EEES6_PlJS6_EEE10hipError_tPvRmT3_T4_T5_T6_T7_T9_mT8_P12ihipStream_tbDpT10_ENKUlT_T0_E_clISt17integral_constantIbLb1EES1C_IbLb0EEEEDaS18_S19_EUlS18_E_NS1_11comp_targetILNS1_3genE9ELNS1_11target_archE1100ELNS1_3gpuE3ELNS1_3repE0EEENS1_30default_config_static_selectorELNS0_4arch9wavefront6targetE0EEEvT1_,@function
_ZN7rocprim17ROCPRIM_400000_NS6detail17trampoline_kernelINS0_14default_configENS1_25partition_config_selectorILNS1_17partition_subalgoE5EjNS0_10empty_typeEbEEZZNS1_14partition_implILS5_5ELb0ES3_mN6thrust23THRUST_200600_302600_NS6detail15normal_iteratorINSA_10device_ptrIjEEEEPS6_NSA_18transform_iteratorINSB_9not_fun_tI7is_trueIjEEENSC_INSD_IbEEEENSA_11use_defaultESO_EENS0_5tupleIJSF_S6_EEENSQ_IJSG_SG_EEES6_PlJS6_EEE10hipError_tPvRmT3_T4_T5_T6_T7_T9_mT8_P12ihipStream_tbDpT10_ENKUlT_T0_E_clISt17integral_constantIbLb1EES1C_IbLb0EEEEDaS18_S19_EUlS18_E_NS1_11comp_targetILNS1_3genE9ELNS1_11target_archE1100ELNS1_3gpuE3ELNS1_3repE0EEENS1_30default_config_static_selectorELNS0_4arch9wavefront6targetE0EEEvT1_: ; @_ZN7rocprim17ROCPRIM_400000_NS6detail17trampoline_kernelINS0_14default_configENS1_25partition_config_selectorILNS1_17partition_subalgoE5EjNS0_10empty_typeEbEEZZNS1_14partition_implILS5_5ELb0ES3_mN6thrust23THRUST_200600_302600_NS6detail15normal_iteratorINSA_10device_ptrIjEEEEPS6_NSA_18transform_iteratorINSB_9not_fun_tI7is_trueIjEEENSC_INSD_IbEEEENSA_11use_defaultESO_EENS0_5tupleIJSF_S6_EEENSQ_IJSG_SG_EEES6_PlJS6_EEE10hipError_tPvRmT3_T4_T5_T6_T7_T9_mT8_P12ihipStream_tbDpT10_ENKUlT_T0_E_clISt17integral_constantIbLb1EES1C_IbLb0EEEEDaS18_S19_EUlS18_E_NS1_11comp_targetILNS1_3genE9ELNS1_11target_archE1100ELNS1_3gpuE3ELNS1_3repE0EEENS1_30default_config_static_selectorELNS0_4arch9wavefront6targetE0EEEvT1_
; %bb.0:
	.section	.rodata,"a",@progbits
	.p2align	6, 0x0
	.amdhsa_kernel _ZN7rocprim17ROCPRIM_400000_NS6detail17trampoline_kernelINS0_14default_configENS1_25partition_config_selectorILNS1_17partition_subalgoE5EjNS0_10empty_typeEbEEZZNS1_14partition_implILS5_5ELb0ES3_mN6thrust23THRUST_200600_302600_NS6detail15normal_iteratorINSA_10device_ptrIjEEEEPS6_NSA_18transform_iteratorINSB_9not_fun_tI7is_trueIjEEENSC_INSD_IbEEEENSA_11use_defaultESO_EENS0_5tupleIJSF_S6_EEENSQ_IJSG_SG_EEES6_PlJS6_EEE10hipError_tPvRmT3_T4_T5_T6_T7_T9_mT8_P12ihipStream_tbDpT10_ENKUlT_T0_E_clISt17integral_constantIbLb1EES1C_IbLb0EEEEDaS18_S19_EUlS18_E_NS1_11comp_targetILNS1_3genE9ELNS1_11target_archE1100ELNS1_3gpuE3ELNS1_3repE0EEENS1_30default_config_static_selectorELNS0_4arch9wavefront6targetE0EEEvT1_
		.amdhsa_group_segment_fixed_size 0
		.amdhsa_private_segment_fixed_size 0
		.amdhsa_kernarg_size 120
		.amdhsa_user_sgpr_count 2
		.amdhsa_user_sgpr_dispatch_ptr 0
		.amdhsa_user_sgpr_queue_ptr 0
		.amdhsa_user_sgpr_kernarg_segment_ptr 1
		.amdhsa_user_sgpr_dispatch_id 0
		.amdhsa_user_sgpr_private_segment_size 0
		.amdhsa_wavefront_size32 1
		.amdhsa_uses_dynamic_stack 0
		.amdhsa_enable_private_segment 0
		.amdhsa_system_sgpr_workgroup_id_x 1
		.amdhsa_system_sgpr_workgroup_id_y 0
		.amdhsa_system_sgpr_workgroup_id_z 0
		.amdhsa_system_sgpr_workgroup_info 0
		.amdhsa_system_vgpr_workitem_id 0
		.amdhsa_next_free_vgpr 1
		.amdhsa_next_free_sgpr 1
		.amdhsa_reserve_vcc 0
		.amdhsa_float_round_mode_32 0
		.amdhsa_float_round_mode_16_64 0
		.amdhsa_float_denorm_mode_32 3
		.amdhsa_float_denorm_mode_16_64 3
		.amdhsa_fp16_overflow 0
		.amdhsa_workgroup_processor_mode 1
		.amdhsa_memory_ordered 1
		.amdhsa_forward_progress 1
		.amdhsa_inst_pref_size 0
		.amdhsa_round_robin_scheduling 0
		.amdhsa_exception_fp_ieee_invalid_op 0
		.amdhsa_exception_fp_denorm_src 0
		.amdhsa_exception_fp_ieee_div_zero 0
		.amdhsa_exception_fp_ieee_overflow 0
		.amdhsa_exception_fp_ieee_underflow 0
		.amdhsa_exception_fp_ieee_inexact 0
		.amdhsa_exception_int_div_zero 0
	.end_amdhsa_kernel
	.section	.text._ZN7rocprim17ROCPRIM_400000_NS6detail17trampoline_kernelINS0_14default_configENS1_25partition_config_selectorILNS1_17partition_subalgoE5EjNS0_10empty_typeEbEEZZNS1_14partition_implILS5_5ELb0ES3_mN6thrust23THRUST_200600_302600_NS6detail15normal_iteratorINSA_10device_ptrIjEEEEPS6_NSA_18transform_iteratorINSB_9not_fun_tI7is_trueIjEEENSC_INSD_IbEEEENSA_11use_defaultESO_EENS0_5tupleIJSF_S6_EEENSQ_IJSG_SG_EEES6_PlJS6_EEE10hipError_tPvRmT3_T4_T5_T6_T7_T9_mT8_P12ihipStream_tbDpT10_ENKUlT_T0_E_clISt17integral_constantIbLb1EES1C_IbLb0EEEEDaS18_S19_EUlS18_E_NS1_11comp_targetILNS1_3genE9ELNS1_11target_archE1100ELNS1_3gpuE3ELNS1_3repE0EEENS1_30default_config_static_selectorELNS0_4arch9wavefront6targetE0EEEvT1_,"axG",@progbits,_ZN7rocprim17ROCPRIM_400000_NS6detail17trampoline_kernelINS0_14default_configENS1_25partition_config_selectorILNS1_17partition_subalgoE5EjNS0_10empty_typeEbEEZZNS1_14partition_implILS5_5ELb0ES3_mN6thrust23THRUST_200600_302600_NS6detail15normal_iteratorINSA_10device_ptrIjEEEEPS6_NSA_18transform_iteratorINSB_9not_fun_tI7is_trueIjEEENSC_INSD_IbEEEENSA_11use_defaultESO_EENS0_5tupleIJSF_S6_EEENSQ_IJSG_SG_EEES6_PlJS6_EEE10hipError_tPvRmT3_T4_T5_T6_T7_T9_mT8_P12ihipStream_tbDpT10_ENKUlT_T0_E_clISt17integral_constantIbLb1EES1C_IbLb0EEEEDaS18_S19_EUlS18_E_NS1_11comp_targetILNS1_3genE9ELNS1_11target_archE1100ELNS1_3gpuE3ELNS1_3repE0EEENS1_30default_config_static_selectorELNS0_4arch9wavefront6targetE0EEEvT1_,comdat
.Lfunc_end2451:
	.size	_ZN7rocprim17ROCPRIM_400000_NS6detail17trampoline_kernelINS0_14default_configENS1_25partition_config_selectorILNS1_17partition_subalgoE5EjNS0_10empty_typeEbEEZZNS1_14partition_implILS5_5ELb0ES3_mN6thrust23THRUST_200600_302600_NS6detail15normal_iteratorINSA_10device_ptrIjEEEEPS6_NSA_18transform_iteratorINSB_9not_fun_tI7is_trueIjEEENSC_INSD_IbEEEENSA_11use_defaultESO_EENS0_5tupleIJSF_S6_EEENSQ_IJSG_SG_EEES6_PlJS6_EEE10hipError_tPvRmT3_T4_T5_T6_T7_T9_mT8_P12ihipStream_tbDpT10_ENKUlT_T0_E_clISt17integral_constantIbLb1EES1C_IbLb0EEEEDaS18_S19_EUlS18_E_NS1_11comp_targetILNS1_3genE9ELNS1_11target_archE1100ELNS1_3gpuE3ELNS1_3repE0EEENS1_30default_config_static_selectorELNS0_4arch9wavefront6targetE0EEEvT1_, .Lfunc_end2451-_ZN7rocprim17ROCPRIM_400000_NS6detail17trampoline_kernelINS0_14default_configENS1_25partition_config_selectorILNS1_17partition_subalgoE5EjNS0_10empty_typeEbEEZZNS1_14partition_implILS5_5ELb0ES3_mN6thrust23THRUST_200600_302600_NS6detail15normal_iteratorINSA_10device_ptrIjEEEEPS6_NSA_18transform_iteratorINSB_9not_fun_tI7is_trueIjEEENSC_INSD_IbEEEENSA_11use_defaultESO_EENS0_5tupleIJSF_S6_EEENSQ_IJSG_SG_EEES6_PlJS6_EEE10hipError_tPvRmT3_T4_T5_T6_T7_T9_mT8_P12ihipStream_tbDpT10_ENKUlT_T0_E_clISt17integral_constantIbLb1EES1C_IbLb0EEEEDaS18_S19_EUlS18_E_NS1_11comp_targetILNS1_3genE9ELNS1_11target_archE1100ELNS1_3gpuE3ELNS1_3repE0EEENS1_30default_config_static_selectorELNS0_4arch9wavefront6targetE0EEEvT1_
                                        ; -- End function
	.set _ZN7rocprim17ROCPRIM_400000_NS6detail17trampoline_kernelINS0_14default_configENS1_25partition_config_selectorILNS1_17partition_subalgoE5EjNS0_10empty_typeEbEEZZNS1_14partition_implILS5_5ELb0ES3_mN6thrust23THRUST_200600_302600_NS6detail15normal_iteratorINSA_10device_ptrIjEEEEPS6_NSA_18transform_iteratorINSB_9not_fun_tI7is_trueIjEEENSC_INSD_IbEEEENSA_11use_defaultESO_EENS0_5tupleIJSF_S6_EEENSQ_IJSG_SG_EEES6_PlJS6_EEE10hipError_tPvRmT3_T4_T5_T6_T7_T9_mT8_P12ihipStream_tbDpT10_ENKUlT_T0_E_clISt17integral_constantIbLb1EES1C_IbLb0EEEEDaS18_S19_EUlS18_E_NS1_11comp_targetILNS1_3genE9ELNS1_11target_archE1100ELNS1_3gpuE3ELNS1_3repE0EEENS1_30default_config_static_selectorELNS0_4arch9wavefront6targetE0EEEvT1_.num_vgpr, 0
	.set _ZN7rocprim17ROCPRIM_400000_NS6detail17trampoline_kernelINS0_14default_configENS1_25partition_config_selectorILNS1_17partition_subalgoE5EjNS0_10empty_typeEbEEZZNS1_14partition_implILS5_5ELb0ES3_mN6thrust23THRUST_200600_302600_NS6detail15normal_iteratorINSA_10device_ptrIjEEEEPS6_NSA_18transform_iteratorINSB_9not_fun_tI7is_trueIjEEENSC_INSD_IbEEEENSA_11use_defaultESO_EENS0_5tupleIJSF_S6_EEENSQ_IJSG_SG_EEES6_PlJS6_EEE10hipError_tPvRmT3_T4_T5_T6_T7_T9_mT8_P12ihipStream_tbDpT10_ENKUlT_T0_E_clISt17integral_constantIbLb1EES1C_IbLb0EEEEDaS18_S19_EUlS18_E_NS1_11comp_targetILNS1_3genE9ELNS1_11target_archE1100ELNS1_3gpuE3ELNS1_3repE0EEENS1_30default_config_static_selectorELNS0_4arch9wavefront6targetE0EEEvT1_.num_agpr, 0
	.set _ZN7rocprim17ROCPRIM_400000_NS6detail17trampoline_kernelINS0_14default_configENS1_25partition_config_selectorILNS1_17partition_subalgoE5EjNS0_10empty_typeEbEEZZNS1_14partition_implILS5_5ELb0ES3_mN6thrust23THRUST_200600_302600_NS6detail15normal_iteratorINSA_10device_ptrIjEEEEPS6_NSA_18transform_iteratorINSB_9not_fun_tI7is_trueIjEEENSC_INSD_IbEEEENSA_11use_defaultESO_EENS0_5tupleIJSF_S6_EEENSQ_IJSG_SG_EEES6_PlJS6_EEE10hipError_tPvRmT3_T4_T5_T6_T7_T9_mT8_P12ihipStream_tbDpT10_ENKUlT_T0_E_clISt17integral_constantIbLb1EES1C_IbLb0EEEEDaS18_S19_EUlS18_E_NS1_11comp_targetILNS1_3genE9ELNS1_11target_archE1100ELNS1_3gpuE3ELNS1_3repE0EEENS1_30default_config_static_selectorELNS0_4arch9wavefront6targetE0EEEvT1_.numbered_sgpr, 0
	.set _ZN7rocprim17ROCPRIM_400000_NS6detail17trampoline_kernelINS0_14default_configENS1_25partition_config_selectorILNS1_17partition_subalgoE5EjNS0_10empty_typeEbEEZZNS1_14partition_implILS5_5ELb0ES3_mN6thrust23THRUST_200600_302600_NS6detail15normal_iteratorINSA_10device_ptrIjEEEEPS6_NSA_18transform_iteratorINSB_9not_fun_tI7is_trueIjEEENSC_INSD_IbEEEENSA_11use_defaultESO_EENS0_5tupleIJSF_S6_EEENSQ_IJSG_SG_EEES6_PlJS6_EEE10hipError_tPvRmT3_T4_T5_T6_T7_T9_mT8_P12ihipStream_tbDpT10_ENKUlT_T0_E_clISt17integral_constantIbLb1EES1C_IbLb0EEEEDaS18_S19_EUlS18_E_NS1_11comp_targetILNS1_3genE9ELNS1_11target_archE1100ELNS1_3gpuE3ELNS1_3repE0EEENS1_30default_config_static_selectorELNS0_4arch9wavefront6targetE0EEEvT1_.num_named_barrier, 0
	.set _ZN7rocprim17ROCPRIM_400000_NS6detail17trampoline_kernelINS0_14default_configENS1_25partition_config_selectorILNS1_17partition_subalgoE5EjNS0_10empty_typeEbEEZZNS1_14partition_implILS5_5ELb0ES3_mN6thrust23THRUST_200600_302600_NS6detail15normal_iteratorINSA_10device_ptrIjEEEEPS6_NSA_18transform_iteratorINSB_9not_fun_tI7is_trueIjEEENSC_INSD_IbEEEENSA_11use_defaultESO_EENS0_5tupleIJSF_S6_EEENSQ_IJSG_SG_EEES6_PlJS6_EEE10hipError_tPvRmT3_T4_T5_T6_T7_T9_mT8_P12ihipStream_tbDpT10_ENKUlT_T0_E_clISt17integral_constantIbLb1EES1C_IbLb0EEEEDaS18_S19_EUlS18_E_NS1_11comp_targetILNS1_3genE9ELNS1_11target_archE1100ELNS1_3gpuE3ELNS1_3repE0EEENS1_30default_config_static_selectorELNS0_4arch9wavefront6targetE0EEEvT1_.private_seg_size, 0
	.set _ZN7rocprim17ROCPRIM_400000_NS6detail17trampoline_kernelINS0_14default_configENS1_25partition_config_selectorILNS1_17partition_subalgoE5EjNS0_10empty_typeEbEEZZNS1_14partition_implILS5_5ELb0ES3_mN6thrust23THRUST_200600_302600_NS6detail15normal_iteratorINSA_10device_ptrIjEEEEPS6_NSA_18transform_iteratorINSB_9not_fun_tI7is_trueIjEEENSC_INSD_IbEEEENSA_11use_defaultESO_EENS0_5tupleIJSF_S6_EEENSQ_IJSG_SG_EEES6_PlJS6_EEE10hipError_tPvRmT3_T4_T5_T6_T7_T9_mT8_P12ihipStream_tbDpT10_ENKUlT_T0_E_clISt17integral_constantIbLb1EES1C_IbLb0EEEEDaS18_S19_EUlS18_E_NS1_11comp_targetILNS1_3genE9ELNS1_11target_archE1100ELNS1_3gpuE3ELNS1_3repE0EEENS1_30default_config_static_selectorELNS0_4arch9wavefront6targetE0EEEvT1_.uses_vcc, 0
	.set _ZN7rocprim17ROCPRIM_400000_NS6detail17trampoline_kernelINS0_14default_configENS1_25partition_config_selectorILNS1_17partition_subalgoE5EjNS0_10empty_typeEbEEZZNS1_14partition_implILS5_5ELb0ES3_mN6thrust23THRUST_200600_302600_NS6detail15normal_iteratorINSA_10device_ptrIjEEEEPS6_NSA_18transform_iteratorINSB_9not_fun_tI7is_trueIjEEENSC_INSD_IbEEEENSA_11use_defaultESO_EENS0_5tupleIJSF_S6_EEENSQ_IJSG_SG_EEES6_PlJS6_EEE10hipError_tPvRmT3_T4_T5_T6_T7_T9_mT8_P12ihipStream_tbDpT10_ENKUlT_T0_E_clISt17integral_constantIbLb1EES1C_IbLb0EEEEDaS18_S19_EUlS18_E_NS1_11comp_targetILNS1_3genE9ELNS1_11target_archE1100ELNS1_3gpuE3ELNS1_3repE0EEENS1_30default_config_static_selectorELNS0_4arch9wavefront6targetE0EEEvT1_.uses_flat_scratch, 0
	.set _ZN7rocprim17ROCPRIM_400000_NS6detail17trampoline_kernelINS0_14default_configENS1_25partition_config_selectorILNS1_17partition_subalgoE5EjNS0_10empty_typeEbEEZZNS1_14partition_implILS5_5ELb0ES3_mN6thrust23THRUST_200600_302600_NS6detail15normal_iteratorINSA_10device_ptrIjEEEEPS6_NSA_18transform_iteratorINSB_9not_fun_tI7is_trueIjEEENSC_INSD_IbEEEENSA_11use_defaultESO_EENS0_5tupleIJSF_S6_EEENSQ_IJSG_SG_EEES6_PlJS6_EEE10hipError_tPvRmT3_T4_T5_T6_T7_T9_mT8_P12ihipStream_tbDpT10_ENKUlT_T0_E_clISt17integral_constantIbLb1EES1C_IbLb0EEEEDaS18_S19_EUlS18_E_NS1_11comp_targetILNS1_3genE9ELNS1_11target_archE1100ELNS1_3gpuE3ELNS1_3repE0EEENS1_30default_config_static_selectorELNS0_4arch9wavefront6targetE0EEEvT1_.has_dyn_sized_stack, 0
	.set _ZN7rocprim17ROCPRIM_400000_NS6detail17trampoline_kernelINS0_14default_configENS1_25partition_config_selectorILNS1_17partition_subalgoE5EjNS0_10empty_typeEbEEZZNS1_14partition_implILS5_5ELb0ES3_mN6thrust23THRUST_200600_302600_NS6detail15normal_iteratorINSA_10device_ptrIjEEEEPS6_NSA_18transform_iteratorINSB_9not_fun_tI7is_trueIjEEENSC_INSD_IbEEEENSA_11use_defaultESO_EENS0_5tupleIJSF_S6_EEENSQ_IJSG_SG_EEES6_PlJS6_EEE10hipError_tPvRmT3_T4_T5_T6_T7_T9_mT8_P12ihipStream_tbDpT10_ENKUlT_T0_E_clISt17integral_constantIbLb1EES1C_IbLb0EEEEDaS18_S19_EUlS18_E_NS1_11comp_targetILNS1_3genE9ELNS1_11target_archE1100ELNS1_3gpuE3ELNS1_3repE0EEENS1_30default_config_static_selectorELNS0_4arch9wavefront6targetE0EEEvT1_.has_recursion, 0
	.set _ZN7rocprim17ROCPRIM_400000_NS6detail17trampoline_kernelINS0_14default_configENS1_25partition_config_selectorILNS1_17partition_subalgoE5EjNS0_10empty_typeEbEEZZNS1_14partition_implILS5_5ELb0ES3_mN6thrust23THRUST_200600_302600_NS6detail15normal_iteratorINSA_10device_ptrIjEEEEPS6_NSA_18transform_iteratorINSB_9not_fun_tI7is_trueIjEEENSC_INSD_IbEEEENSA_11use_defaultESO_EENS0_5tupleIJSF_S6_EEENSQ_IJSG_SG_EEES6_PlJS6_EEE10hipError_tPvRmT3_T4_T5_T6_T7_T9_mT8_P12ihipStream_tbDpT10_ENKUlT_T0_E_clISt17integral_constantIbLb1EES1C_IbLb0EEEEDaS18_S19_EUlS18_E_NS1_11comp_targetILNS1_3genE9ELNS1_11target_archE1100ELNS1_3gpuE3ELNS1_3repE0EEENS1_30default_config_static_selectorELNS0_4arch9wavefront6targetE0EEEvT1_.has_indirect_call, 0
	.section	.AMDGPU.csdata,"",@progbits
; Kernel info:
; codeLenInByte = 0
; TotalNumSgprs: 0
; NumVgprs: 0
; ScratchSize: 0
; MemoryBound: 0
; FloatMode: 240
; IeeeMode: 1
; LDSByteSize: 0 bytes/workgroup (compile time only)
; SGPRBlocks: 0
; VGPRBlocks: 0
; NumSGPRsForWavesPerEU: 1
; NumVGPRsForWavesPerEU: 1
; Occupancy: 16
; WaveLimiterHint : 0
; COMPUTE_PGM_RSRC2:SCRATCH_EN: 0
; COMPUTE_PGM_RSRC2:USER_SGPR: 2
; COMPUTE_PGM_RSRC2:TRAP_HANDLER: 0
; COMPUTE_PGM_RSRC2:TGID_X_EN: 1
; COMPUTE_PGM_RSRC2:TGID_Y_EN: 0
; COMPUTE_PGM_RSRC2:TGID_Z_EN: 0
; COMPUTE_PGM_RSRC2:TIDIG_COMP_CNT: 0
	.section	.text._ZN7rocprim17ROCPRIM_400000_NS6detail17trampoline_kernelINS0_14default_configENS1_25partition_config_selectorILNS1_17partition_subalgoE5EjNS0_10empty_typeEbEEZZNS1_14partition_implILS5_5ELb0ES3_mN6thrust23THRUST_200600_302600_NS6detail15normal_iteratorINSA_10device_ptrIjEEEEPS6_NSA_18transform_iteratorINSB_9not_fun_tI7is_trueIjEEENSC_INSD_IbEEEENSA_11use_defaultESO_EENS0_5tupleIJSF_S6_EEENSQ_IJSG_SG_EEES6_PlJS6_EEE10hipError_tPvRmT3_T4_T5_T6_T7_T9_mT8_P12ihipStream_tbDpT10_ENKUlT_T0_E_clISt17integral_constantIbLb1EES1C_IbLb0EEEEDaS18_S19_EUlS18_E_NS1_11comp_targetILNS1_3genE8ELNS1_11target_archE1030ELNS1_3gpuE2ELNS1_3repE0EEENS1_30default_config_static_selectorELNS0_4arch9wavefront6targetE0EEEvT1_,"axG",@progbits,_ZN7rocprim17ROCPRIM_400000_NS6detail17trampoline_kernelINS0_14default_configENS1_25partition_config_selectorILNS1_17partition_subalgoE5EjNS0_10empty_typeEbEEZZNS1_14partition_implILS5_5ELb0ES3_mN6thrust23THRUST_200600_302600_NS6detail15normal_iteratorINSA_10device_ptrIjEEEEPS6_NSA_18transform_iteratorINSB_9not_fun_tI7is_trueIjEEENSC_INSD_IbEEEENSA_11use_defaultESO_EENS0_5tupleIJSF_S6_EEENSQ_IJSG_SG_EEES6_PlJS6_EEE10hipError_tPvRmT3_T4_T5_T6_T7_T9_mT8_P12ihipStream_tbDpT10_ENKUlT_T0_E_clISt17integral_constantIbLb1EES1C_IbLb0EEEEDaS18_S19_EUlS18_E_NS1_11comp_targetILNS1_3genE8ELNS1_11target_archE1030ELNS1_3gpuE2ELNS1_3repE0EEENS1_30default_config_static_selectorELNS0_4arch9wavefront6targetE0EEEvT1_,comdat
	.protected	_ZN7rocprim17ROCPRIM_400000_NS6detail17trampoline_kernelINS0_14default_configENS1_25partition_config_selectorILNS1_17partition_subalgoE5EjNS0_10empty_typeEbEEZZNS1_14partition_implILS5_5ELb0ES3_mN6thrust23THRUST_200600_302600_NS6detail15normal_iteratorINSA_10device_ptrIjEEEEPS6_NSA_18transform_iteratorINSB_9not_fun_tI7is_trueIjEEENSC_INSD_IbEEEENSA_11use_defaultESO_EENS0_5tupleIJSF_S6_EEENSQ_IJSG_SG_EEES6_PlJS6_EEE10hipError_tPvRmT3_T4_T5_T6_T7_T9_mT8_P12ihipStream_tbDpT10_ENKUlT_T0_E_clISt17integral_constantIbLb1EES1C_IbLb0EEEEDaS18_S19_EUlS18_E_NS1_11comp_targetILNS1_3genE8ELNS1_11target_archE1030ELNS1_3gpuE2ELNS1_3repE0EEENS1_30default_config_static_selectorELNS0_4arch9wavefront6targetE0EEEvT1_ ; -- Begin function _ZN7rocprim17ROCPRIM_400000_NS6detail17trampoline_kernelINS0_14default_configENS1_25partition_config_selectorILNS1_17partition_subalgoE5EjNS0_10empty_typeEbEEZZNS1_14partition_implILS5_5ELb0ES3_mN6thrust23THRUST_200600_302600_NS6detail15normal_iteratorINSA_10device_ptrIjEEEEPS6_NSA_18transform_iteratorINSB_9not_fun_tI7is_trueIjEEENSC_INSD_IbEEEENSA_11use_defaultESO_EENS0_5tupleIJSF_S6_EEENSQ_IJSG_SG_EEES6_PlJS6_EEE10hipError_tPvRmT3_T4_T5_T6_T7_T9_mT8_P12ihipStream_tbDpT10_ENKUlT_T0_E_clISt17integral_constantIbLb1EES1C_IbLb0EEEEDaS18_S19_EUlS18_E_NS1_11comp_targetILNS1_3genE8ELNS1_11target_archE1030ELNS1_3gpuE2ELNS1_3repE0EEENS1_30default_config_static_selectorELNS0_4arch9wavefront6targetE0EEEvT1_
	.globl	_ZN7rocprim17ROCPRIM_400000_NS6detail17trampoline_kernelINS0_14default_configENS1_25partition_config_selectorILNS1_17partition_subalgoE5EjNS0_10empty_typeEbEEZZNS1_14partition_implILS5_5ELb0ES3_mN6thrust23THRUST_200600_302600_NS6detail15normal_iteratorINSA_10device_ptrIjEEEEPS6_NSA_18transform_iteratorINSB_9not_fun_tI7is_trueIjEEENSC_INSD_IbEEEENSA_11use_defaultESO_EENS0_5tupleIJSF_S6_EEENSQ_IJSG_SG_EEES6_PlJS6_EEE10hipError_tPvRmT3_T4_T5_T6_T7_T9_mT8_P12ihipStream_tbDpT10_ENKUlT_T0_E_clISt17integral_constantIbLb1EES1C_IbLb0EEEEDaS18_S19_EUlS18_E_NS1_11comp_targetILNS1_3genE8ELNS1_11target_archE1030ELNS1_3gpuE2ELNS1_3repE0EEENS1_30default_config_static_selectorELNS0_4arch9wavefront6targetE0EEEvT1_
	.p2align	8
	.type	_ZN7rocprim17ROCPRIM_400000_NS6detail17trampoline_kernelINS0_14default_configENS1_25partition_config_selectorILNS1_17partition_subalgoE5EjNS0_10empty_typeEbEEZZNS1_14partition_implILS5_5ELb0ES3_mN6thrust23THRUST_200600_302600_NS6detail15normal_iteratorINSA_10device_ptrIjEEEEPS6_NSA_18transform_iteratorINSB_9not_fun_tI7is_trueIjEEENSC_INSD_IbEEEENSA_11use_defaultESO_EENS0_5tupleIJSF_S6_EEENSQ_IJSG_SG_EEES6_PlJS6_EEE10hipError_tPvRmT3_T4_T5_T6_T7_T9_mT8_P12ihipStream_tbDpT10_ENKUlT_T0_E_clISt17integral_constantIbLb1EES1C_IbLb0EEEEDaS18_S19_EUlS18_E_NS1_11comp_targetILNS1_3genE8ELNS1_11target_archE1030ELNS1_3gpuE2ELNS1_3repE0EEENS1_30default_config_static_selectorELNS0_4arch9wavefront6targetE0EEEvT1_,@function
_ZN7rocprim17ROCPRIM_400000_NS6detail17trampoline_kernelINS0_14default_configENS1_25partition_config_selectorILNS1_17partition_subalgoE5EjNS0_10empty_typeEbEEZZNS1_14partition_implILS5_5ELb0ES3_mN6thrust23THRUST_200600_302600_NS6detail15normal_iteratorINSA_10device_ptrIjEEEEPS6_NSA_18transform_iteratorINSB_9not_fun_tI7is_trueIjEEENSC_INSD_IbEEEENSA_11use_defaultESO_EENS0_5tupleIJSF_S6_EEENSQ_IJSG_SG_EEES6_PlJS6_EEE10hipError_tPvRmT3_T4_T5_T6_T7_T9_mT8_P12ihipStream_tbDpT10_ENKUlT_T0_E_clISt17integral_constantIbLb1EES1C_IbLb0EEEEDaS18_S19_EUlS18_E_NS1_11comp_targetILNS1_3genE8ELNS1_11target_archE1030ELNS1_3gpuE2ELNS1_3repE0EEENS1_30default_config_static_selectorELNS0_4arch9wavefront6targetE0EEEvT1_: ; @_ZN7rocprim17ROCPRIM_400000_NS6detail17trampoline_kernelINS0_14default_configENS1_25partition_config_selectorILNS1_17partition_subalgoE5EjNS0_10empty_typeEbEEZZNS1_14partition_implILS5_5ELb0ES3_mN6thrust23THRUST_200600_302600_NS6detail15normal_iteratorINSA_10device_ptrIjEEEEPS6_NSA_18transform_iteratorINSB_9not_fun_tI7is_trueIjEEENSC_INSD_IbEEEENSA_11use_defaultESO_EENS0_5tupleIJSF_S6_EEENSQ_IJSG_SG_EEES6_PlJS6_EEE10hipError_tPvRmT3_T4_T5_T6_T7_T9_mT8_P12ihipStream_tbDpT10_ENKUlT_T0_E_clISt17integral_constantIbLb1EES1C_IbLb0EEEEDaS18_S19_EUlS18_E_NS1_11comp_targetILNS1_3genE8ELNS1_11target_archE1030ELNS1_3gpuE2ELNS1_3repE0EEENS1_30default_config_static_selectorELNS0_4arch9wavefront6targetE0EEEvT1_
; %bb.0:
	.section	.rodata,"a",@progbits
	.p2align	6, 0x0
	.amdhsa_kernel _ZN7rocprim17ROCPRIM_400000_NS6detail17trampoline_kernelINS0_14default_configENS1_25partition_config_selectorILNS1_17partition_subalgoE5EjNS0_10empty_typeEbEEZZNS1_14partition_implILS5_5ELb0ES3_mN6thrust23THRUST_200600_302600_NS6detail15normal_iteratorINSA_10device_ptrIjEEEEPS6_NSA_18transform_iteratorINSB_9not_fun_tI7is_trueIjEEENSC_INSD_IbEEEENSA_11use_defaultESO_EENS0_5tupleIJSF_S6_EEENSQ_IJSG_SG_EEES6_PlJS6_EEE10hipError_tPvRmT3_T4_T5_T6_T7_T9_mT8_P12ihipStream_tbDpT10_ENKUlT_T0_E_clISt17integral_constantIbLb1EES1C_IbLb0EEEEDaS18_S19_EUlS18_E_NS1_11comp_targetILNS1_3genE8ELNS1_11target_archE1030ELNS1_3gpuE2ELNS1_3repE0EEENS1_30default_config_static_selectorELNS0_4arch9wavefront6targetE0EEEvT1_
		.amdhsa_group_segment_fixed_size 0
		.amdhsa_private_segment_fixed_size 0
		.amdhsa_kernarg_size 120
		.amdhsa_user_sgpr_count 2
		.amdhsa_user_sgpr_dispatch_ptr 0
		.amdhsa_user_sgpr_queue_ptr 0
		.amdhsa_user_sgpr_kernarg_segment_ptr 1
		.amdhsa_user_sgpr_dispatch_id 0
		.amdhsa_user_sgpr_private_segment_size 0
		.amdhsa_wavefront_size32 1
		.amdhsa_uses_dynamic_stack 0
		.amdhsa_enable_private_segment 0
		.amdhsa_system_sgpr_workgroup_id_x 1
		.amdhsa_system_sgpr_workgroup_id_y 0
		.amdhsa_system_sgpr_workgroup_id_z 0
		.amdhsa_system_sgpr_workgroup_info 0
		.amdhsa_system_vgpr_workitem_id 0
		.amdhsa_next_free_vgpr 1
		.amdhsa_next_free_sgpr 1
		.amdhsa_reserve_vcc 0
		.amdhsa_float_round_mode_32 0
		.amdhsa_float_round_mode_16_64 0
		.amdhsa_float_denorm_mode_32 3
		.amdhsa_float_denorm_mode_16_64 3
		.amdhsa_fp16_overflow 0
		.amdhsa_workgroup_processor_mode 1
		.amdhsa_memory_ordered 1
		.amdhsa_forward_progress 1
		.amdhsa_inst_pref_size 0
		.amdhsa_round_robin_scheduling 0
		.amdhsa_exception_fp_ieee_invalid_op 0
		.amdhsa_exception_fp_denorm_src 0
		.amdhsa_exception_fp_ieee_div_zero 0
		.amdhsa_exception_fp_ieee_overflow 0
		.amdhsa_exception_fp_ieee_underflow 0
		.amdhsa_exception_fp_ieee_inexact 0
		.amdhsa_exception_int_div_zero 0
	.end_amdhsa_kernel
	.section	.text._ZN7rocprim17ROCPRIM_400000_NS6detail17trampoline_kernelINS0_14default_configENS1_25partition_config_selectorILNS1_17partition_subalgoE5EjNS0_10empty_typeEbEEZZNS1_14partition_implILS5_5ELb0ES3_mN6thrust23THRUST_200600_302600_NS6detail15normal_iteratorINSA_10device_ptrIjEEEEPS6_NSA_18transform_iteratorINSB_9not_fun_tI7is_trueIjEEENSC_INSD_IbEEEENSA_11use_defaultESO_EENS0_5tupleIJSF_S6_EEENSQ_IJSG_SG_EEES6_PlJS6_EEE10hipError_tPvRmT3_T4_T5_T6_T7_T9_mT8_P12ihipStream_tbDpT10_ENKUlT_T0_E_clISt17integral_constantIbLb1EES1C_IbLb0EEEEDaS18_S19_EUlS18_E_NS1_11comp_targetILNS1_3genE8ELNS1_11target_archE1030ELNS1_3gpuE2ELNS1_3repE0EEENS1_30default_config_static_selectorELNS0_4arch9wavefront6targetE0EEEvT1_,"axG",@progbits,_ZN7rocprim17ROCPRIM_400000_NS6detail17trampoline_kernelINS0_14default_configENS1_25partition_config_selectorILNS1_17partition_subalgoE5EjNS0_10empty_typeEbEEZZNS1_14partition_implILS5_5ELb0ES3_mN6thrust23THRUST_200600_302600_NS6detail15normal_iteratorINSA_10device_ptrIjEEEEPS6_NSA_18transform_iteratorINSB_9not_fun_tI7is_trueIjEEENSC_INSD_IbEEEENSA_11use_defaultESO_EENS0_5tupleIJSF_S6_EEENSQ_IJSG_SG_EEES6_PlJS6_EEE10hipError_tPvRmT3_T4_T5_T6_T7_T9_mT8_P12ihipStream_tbDpT10_ENKUlT_T0_E_clISt17integral_constantIbLb1EES1C_IbLb0EEEEDaS18_S19_EUlS18_E_NS1_11comp_targetILNS1_3genE8ELNS1_11target_archE1030ELNS1_3gpuE2ELNS1_3repE0EEENS1_30default_config_static_selectorELNS0_4arch9wavefront6targetE0EEEvT1_,comdat
.Lfunc_end2452:
	.size	_ZN7rocprim17ROCPRIM_400000_NS6detail17trampoline_kernelINS0_14default_configENS1_25partition_config_selectorILNS1_17partition_subalgoE5EjNS0_10empty_typeEbEEZZNS1_14partition_implILS5_5ELb0ES3_mN6thrust23THRUST_200600_302600_NS6detail15normal_iteratorINSA_10device_ptrIjEEEEPS6_NSA_18transform_iteratorINSB_9not_fun_tI7is_trueIjEEENSC_INSD_IbEEEENSA_11use_defaultESO_EENS0_5tupleIJSF_S6_EEENSQ_IJSG_SG_EEES6_PlJS6_EEE10hipError_tPvRmT3_T4_T5_T6_T7_T9_mT8_P12ihipStream_tbDpT10_ENKUlT_T0_E_clISt17integral_constantIbLb1EES1C_IbLb0EEEEDaS18_S19_EUlS18_E_NS1_11comp_targetILNS1_3genE8ELNS1_11target_archE1030ELNS1_3gpuE2ELNS1_3repE0EEENS1_30default_config_static_selectorELNS0_4arch9wavefront6targetE0EEEvT1_, .Lfunc_end2452-_ZN7rocprim17ROCPRIM_400000_NS6detail17trampoline_kernelINS0_14default_configENS1_25partition_config_selectorILNS1_17partition_subalgoE5EjNS0_10empty_typeEbEEZZNS1_14partition_implILS5_5ELb0ES3_mN6thrust23THRUST_200600_302600_NS6detail15normal_iteratorINSA_10device_ptrIjEEEEPS6_NSA_18transform_iteratorINSB_9not_fun_tI7is_trueIjEEENSC_INSD_IbEEEENSA_11use_defaultESO_EENS0_5tupleIJSF_S6_EEENSQ_IJSG_SG_EEES6_PlJS6_EEE10hipError_tPvRmT3_T4_T5_T6_T7_T9_mT8_P12ihipStream_tbDpT10_ENKUlT_T0_E_clISt17integral_constantIbLb1EES1C_IbLb0EEEEDaS18_S19_EUlS18_E_NS1_11comp_targetILNS1_3genE8ELNS1_11target_archE1030ELNS1_3gpuE2ELNS1_3repE0EEENS1_30default_config_static_selectorELNS0_4arch9wavefront6targetE0EEEvT1_
                                        ; -- End function
	.set _ZN7rocprim17ROCPRIM_400000_NS6detail17trampoline_kernelINS0_14default_configENS1_25partition_config_selectorILNS1_17partition_subalgoE5EjNS0_10empty_typeEbEEZZNS1_14partition_implILS5_5ELb0ES3_mN6thrust23THRUST_200600_302600_NS6detail15normal_iteratorINSA_10device_ptrIjEEEEPS6_NSA_18transform_iteratorINSB_9not_fun_tI7is_trueIjEEENSC_INSD_IbEEEENSA_11use_defaultESO_EENS0_5tupleIJSF_S6_EEENSQ_IJSG_SG_EEES6_PlJS6_EEE10hipError_tPvRmT3_T4_T5_T6_T7_T9_mT8_P12ihipStream_tbDpT10_ENKUlT_T0_E_clISt17integral_constantIbLb1EES1C_IbLb0EEEEDaS18_S19_EUlS18_E_NS1_11comp_targetILNS1_3genE8ELNS1_11target_archE1030ELNS1_3gpuE2ELNS1_3repE0EEENS1_30default_config_static_selectorELNS0_4arch9wavefront6targetE0EEEvT1_.num_vgpr, 0
	.set _ZN7rocprim17ROCPRIM_400000_NS6detail17trampoline_kernelINS0_14default_configENS1_25partition_config_selectorILNS1_17partition_subalgoE5EjNS0_10empty_typeEbEEZZNS1_14partition_implILS5_5ELb0ES3_mN6thrust23THRUST_200600_302600_NS6detail15normal_iteratorINSA_10device_ptrIjEEEEPS6_NSA_18transform_iteratorINSB_9not_fun_tI7is_trueIjEEENSC_INSD_IbEEEENSA_11use_defaultESO_EENS0_5tupleIJSF_S6_EEENSQ_IJSG_SG_EEES6_PlJS6_EEE10hipError_tPvRmT3_T4_T5_T6_T7_T9_mT8_P12ihipStream_tbDpT10_ENKUlT_T0_E_clISt17integral_constantIbLb1EES1C_IbLb0EEEEDaS18_S19_EUlS18_E_NS1_11comp_targetILNS1_3genE8ELNS1_11target_archE1030ELNS1_3gpuE2ELNS1_3repE0EEENS1_30default_config_static_selectorELNS0_4arch9wavefront6targetE0EEEvT1_.num_agpr, 0
	.set _ZN7rocprim17ROCPRIM_400000_NS6detail17trampoline_kernelINS0_14default_configENS1_25partition_config_selectorILNS1_17partition_subalgoE5EjNS0_10empty_typeEbEEZZNS1_14partition_implILS5_5ELb0ES3_mN6thrust23THRUST_200600_302600_NS6detail15normal_iteratorINSA_10device_ptrIjEEEEPS6_NSA_18transform_iteratorINSB_9not_fun_tI7is_trueIjEEENSC_INSD_IbEEEENSA_11use_defaultESO_EENS0_5tupleIJSF_S6_EEENSQ_IJSG_SG_EEES6_PlJS6_EEE10hipError_tPvRmT3_T4_T5_T6_T7_T9_mT8_P12ihipStream_tbDpT10_ENKUlT_T0_E_clISt17integral_constantIbLb1EES1C_IbLb0EEEEDaS18_S19_EUlS18_E_NS1_11comp_targetILNS1_3genE8ELNS1_11target_archE1030ELNS1_3gpuE2ELNS1_3repE0EEENS1_30default_config_static_selectorELNS0_4arch9wavefront6targetE0EEEvT1_.numbered_sgpr, 0
	.set _ZN7rocprim17ROCPRIM_400000_NS6detail17trampoline_kernelINS0_14default_configENS1_25partition_config_selectorILNS1_17partition_subalgoE5EjNS0_10empty_typeEbEEZZNS1_14partition_implILS5_5ELb0ES3_mN6thrust23THRUST_200600_302600_NS6detail15normal_iteratorINSA_10device_ptrIjEEEEPS6_NSA_18transform_iteratorINSB_9not_fun_tI7is_trueIjEEENSC_INSD_IbEEEENSA_11use_defaultESO_EENS0_5tupleIJSF_S6_EEENSQ_IJSG_SG_EEES6_PlJS6_EEE10hipError_tPvRmT3_T4_T5_T6_T7_T9_mT8_P12ihipStream_tbDpT10_ENKUlT_T0_E_clISt17integral_constantIbLb1EES1C_IbLb0EEEEDaS18_S19_EUlS18_E_NS1_11comp_targetILNS1_3genE8ELNS1_11target_archE1030ELNS1_3gpuE2ELNS1_3repE0EEENS1_30default_config_static_selectorELNS0_4arch9wavefront6targetE0EEEvT1_.num_named_barrier, 0
	.set _ZN7rocprim17ROCPRIM_400000_NS6detail17trampoline_kernelINS0_14default_configENS1_25partition_config_selectorILNS1_17partition_subalgoE5EjNS0_10empty_typeEbEEZZNS1_14partition_implILS5_5ELb0ES3_mN6thrust23THRUST_200600_302600_NS6detail15normal_iteratorINSA_10device_ptrIjEEEEPS6_NSA_18transform_iteratorINSB_9not_fun_tI7is_trueIjEEENSC_INSD_IbEEEENSA_11use_defaultESO_EENS0_5tupleIJSF_S6_EEENSQ_IJSG_SG_EEES6_PlJS6_EEE10hipError_tPvRmT3_T4_T5_T6_T7_T9_mT8_P12ihipStream_tbDpT10_ENKUlT_T0_E_clISt17integral_constantIbLb1EES1C_IbLb0EEEEDaS18_S19_EUlS18_E_NS1_11comp_targetILNS1_3genE8ELNS1_11target_archE1030ELNS1_3gpuE2ELNS1_3repE0EEENS1_30default_config_static_selectorELNS0_4arch9wavefront6targetE0EEEvT1_.private_seg_size, 0
	.set _ZN7rocprim17ROCPRIM_400000_NS6detail17trampoline_kernelINS0_14default_configENS1_25partition_config_selectorILNS1_17partition_subalgoE5EjNS0_10empty_typeEbEEZZNS1_14partition_implILS5_5ELb0ES3_mN6thrust23THRUST_200600_302600_NS6detail15normal_iteratorINSA_10device_ptrIjEEEEPS6_NSA_18transform_iteratorINSB_9not_fun_tI7is_trueIjEEENSC_INSD_IbEEEENSA_11use_defaultESO_EENS0_5tupleIJSF_S6_EEENSQ_IJSG_SG_EEES6_PlJS6_EEE10hipError_tPvRmT3_T4_T5_T6_T7_T9_mT8_P12ihipStream_tbDpT10_ENKUlT_T0_E_clISt17integral_constantIbLb1EES1C_IbLb0EEEEDaS18_S19_EUlS18_E_NS1_11comp_targetILNS1_3genE8ELNS1_11target_archE1030ELNS1_3gpuE2ELNS1_3repE0EEENS1_30default_config_static_selectorELNS0_4arch9wavefront6targetE0EEEvT1_.uses_vcc, 0
	.set _ZN7rocprim17ROCPRIM_400000_NS6detail17trampoline_kernelINS0_14default_configENS1_25partition_config_selectorILNS1_17partition_subalgoE5EjNS0_10empty_typeEbEEZZNS1_14partition_implILS5_5ELb0ES3_mN6thrust23THRUST_200600_302600_NS6detail15normal_iteratorINSA_10device_ptrIjEEEEPS6_NSA_18transform_iteratorINSB_9not_fun_tI7is_trueIjEEENSC_INSD_IbEEEENSA_11use_defaultESO_EENS0_5tupleIJSF_S6_EEENSQ_IJSG_SG_EEES6_PlJS6_EEE10hipError_tPvRmT3_T4_T5_T6_T7_T9_mT8_P12ihipStream_tbDpT10_ENKUlT_T0_E_clISt17integral_constantIbLb1EES1C_IbLb0EEEEDaS18_S19_EUlS18_E_NS1_11comp_targetILNS1_3genE8ELNS1_11target_archE1030ELNS1_3gpuE2ELNS1_3repE0EEENS1_30default_config_static_selectorELNS0_4arch9wavefront6targetE0EEEvT1_.uses_flat_scratch, 0
	.set _ZN7rocprim17ROCPRIM_400000_NS6detail17trampoline_kernelINS0_14default_configENS1_25partition_config_selectorILNS1_17partition_subalgoE5EjNS0_10empty_typeEbEEZZNS1_14partition_implILS5_5ELb0ES3_mN6thrust23THRUST_200600_302600_NS6detail15normal_iteratorINSA_10device_ptrIjEEEEPS6_NSA_18transform_iteratorINSB_9not_fun_tI7is_trueIjEEENSC_INSD_IbEEEENSA_11use_defaultESO_EENS0_5tupleIJSF_S6_EEENSQ_IJSG_SG_EEES6_PlJS6_EEE10hipError_tPvRmT3_T4_T5_T6_T7_T9_mT8_P12ihipStream_tbDpT10_ENKUlT_T0_E_clISt17integral_constantIbLb1EES1C_IbLb0EEEEDaS18_S19_EUlS18_E_NS1_11comp_targetILNS1_3genE8ELNS1_11target_archE1030ELNS1_3gpuE2ELNS1_3repE0EEENS1_30default_config_static_selectorELNS0_4arch9wavefront6targetE0EEEvT1_.has_dyn_sized_stack, 0
	.set _ZN7rocprim17ROCPRIM_400000_NS6detail17trampoline_kernelINS0_14default_configENS1_25partition_config_selectorILNS1_17partition_subalgoE5EjNS0_10empty_typeEbEEZZNS1_14partition_implILS5_5ELb0ES3_mN6thrust23THRUST_200600_302600_NS6detail15normal_iteratorINSA_10device_ptrIjEEEEPS6_NSA_18transform_iteratorINSB_9not_fun_tI7is_trueIjEEENSC_INSD_IbEEEENSA_11use_defaultESO_EENS0_5tupleIJSF_S6_EEENSQ_IJSG_SG_EEES6_PlJS6_EEE10hipError_tPvRmT3_T4_T5_T6_T7_T9_mT8_P12ihipStream_tbDpT10_ENKUlT_T0_E_clISt17integral_constantIbLb1EES1C_IbLb0EEEEDaS18_S19_EUlS18_E_NS1_11comp_targetILNS1_3genE8ELNS1_11target_archE1030ELNS1_3gpuE2ELNS1_3repE0EEENS1_30default_config_static_selectorELNS0_4arch9wavefront6targetE0EEEvT1_.has_recursion, 0
	.set _ZN7rocprim17ROCPRIM_400000_NS6detail17trampoline_kernelINS0_14default_configENS1_25partition_config_selectorILNS1_17partition_subalgoE5EjNS0_10empty_typeEbEEZZNS1_14partition_implILS5_5ELb0ES3_mN6thrust23THRUST_200600_302600_NS6detail15normal_iteratorINSA_10device_ptrIjEEEEPS6_NSA_18transform_iteratorINSB_9not_fun_tI7is_trueIjEEENSC_INSD_IbEEEENSA_11use_defaultESO_EENS0_5tupleIJSF_S6_EEENSQ_IJSG_SG_EEES6_PlJS6_EEE10hipError_tPvRmT3_T4_T5_T6_T7_T9_mT8_P12ihipStream_tbDpT10_ENKUlT_T0_E_clISt17integral_constantIbLb1EES1C_IbLb0EEEEDaS18_S19_EUlS18_E_NS1_11comp_targetILNS1_3genE8ELNS1_11target_archE1030ELNS1_3gpuE2ELNS1_3repE0EEENS1_30default_config_static_selectorELNS0_4arch9wavefront6targetE0EEEvT1_.has_indirect_call, 0
	.section	.AMDGPU.csdata,"",@progbits
; Kernel info:
; codeLenInByte = 0
; TotalNumSgprs: 0
; NumVgprs: 0
; ScratchSize: 0
; MemoryBound: 0
; FloatMode: 240
; IeeeMode: 1
; LDSByteSize: 0 bytes/workgroup (compile time only)
; SGPRBlocks: 0
; VGPRBlocks: 0
; NumSGPRsForWavesPerEU: 1
; NumVGPRsForWavesPerEU: 1
; Occupancy: 16
; WaveLimiterHint : 0
; COMPUTE_PGM_RSRC2:SCRATCH_EN: 0
; COMPUTE_PGM_RSRC2:USER_SGPR: 2
; COMPUTE_PGM_RSRC2:TRAP_HANDLER: 0
; COMPUTE_PGM_RSRC2:TGID_X_EN: 1
; COMPUTE_PGM_RSRC2:TGID_Y_EN: 0
; COMPUTE_PGM_RSRC2:TGID_Z_EN: 0
; COMPUTE_PGM_RSRC2:TIDIG_COMP_CNT: 0
	.section	.text._ZN7rocprim17ROCPRIM_400000_NS6detail17trampoline_kernelINS0_14default_configENS1_25partition_config_selectorILNS1_17partition_subalgoE5EjNS0_10empty_typeEbEEZZNS1_14partition_implILS5_5ELb0ES3_mN6thrust23THRUST_200600_302600_NS6detail15normal_iteratorINSA_10device_ptrIjEEEEPS6_NSA_18transform_iteratorINSB_9not_fun_tI7is_trueIjEEENSC_INSD_IbEEEENSA_11use_defaultESO_EENS0_5tupleIJSF_S6_EEENSQ_IJSG_SG_EEES6_PlJS6_EEE10hipError_tPvRmT3_T4_T5_T6_T7_T9_mT8_P12ihipStream_tbDpT10_ENKUlT_T0_E_clISt17integral_constantIbLb0EES1C_IbLb1EEEEDaS18_S19_EUlS18_E_NS1_11comp_targetILNS1_3genE0ELNS1_11target_archE4294967295ELNS1_3gpuE0ELNS1_3repE0EEENS1_30default_config_static_selectorELNS0_4arch9wavefront6targetE0EEEvT1_,"axG",@progbits,_ZN7rocprim17ROCPRIM_400000_NS6detail17trampoline_kernelINS0_14default_configENS1_25partition_config_selectorILNS1_17partition_subalgoE5EjNS0_10empty_typeEbEEZZNS1_14partition_implILS5_5ELb0ES3_mN6thrust23THRUST_200600_302600_NS6detail15normal_iteratorINSA_10device_ptrIjEEEEPS6_NSA_18transform_iteratorINSB_9not_fun_tI7is_trueIjEEENSC_INSD_IbEEEENSA_11use_defaultESO_EENS0_5tupleIJSF_S6_EEENSQ_IJSG_SG_EEES6_PlJS6_EEE10hipError_tPvRmT3_T4_T5_T6_T7_T9_mT8_P12ihipStream_tbDpT10_ENKUlT_T0_E_clISt17integral_constantIbLb0EES1C_IbLb1EEEEDaS18_S19_EUlS18_E_NS1_11comp_targetILNS1_3genE0ELNS1_11target_archE4294967295ELNS1_3gpuE0ELNS1_3repE0EEENS1_30default_config_static_selectorELNS0_4arch9wavefront6targetE0EEEvT1_,comdat
	.protected	_ZN7rocprim17ROCPRIM_400000_NS6detail17trampoline_kernelINS0_14default_configENS1_25partition_config_selectorILNS1_17partition_subalgoE5EjNS0_10empty_typeEbEEZZNS1_14partition_implILS5_5ELb0ES3_mN6thrust23THRUST_200600_302600_NS6detail15normal_iteratorINSA_10device_ptrIjEEEEPS6_NSA_18transform_iteratorINSB_9not_fun_tI7is_trueIjEEENSC_INSD_IbEEEENSA_11use_defaultESO_EENS0_5tupleIJSF_S6_EEENSQ_IJSG_SG_EEES6_PlJS6_EEE10hipError_tPvRmT3_T4_T5_T6_T7_T9_mT8_P12ihipStream_tbDpT10_ENKUlT_T0_E_clISt17integral_constantIbLb0EES1C_IbLb1EEEEDaS18_S19_EUlS18_E_NS1_11comp_targetILNS1_3genE0ELNS1_11target_archE4294967295ELNS1_3gpuE0ELNS1_3repE0EEENS1_30default_config_static_selectorELNS0_4arch9wavefront6targetE0EEEvT1_ ; -- Begin function _ZN7rocprim17ROCPRIM_400000_NS6detail17trampoline_kernelINS0_14default_configENS1_25partition_config_selectorILNS1_17partition_subalgoE5EjNS0_10empty_typeEbEEZZNS1_14partition_implILS5_5ELb0ES3_mN6thrust23THRUST_200600_302600_NS6detail15normal_iteratorINSA_10device_ptrIjEEEEPS6_NSA_18transform_iteratorINSB_9not_fun_tI7is_trueIjEEENSC_INSD_IbEEEENSA_11use_defaultESO_EENS0_5tupleIJSF_S6_EEENSQ_IJSG_SG_EEES6_PlJS6_EEE10hipError_tPvRmT3_T4_T5_T6_T7_T9_mT8_P12ihipStream_tbDpT10_ENKUlT_T0_E_clISt17integral_constantIbLb0EES1C_IbLb1EEEEDaS18_S19_EUlS18_E_NS1_11comp_targetILNS1_3genE0ELNS1_11target_archE4294967295ELNS1_3gpuE0ELNS1_3repE0EEENS1_30default_config_static_selectorELNS0_4arch9wavefront6targetE0EEEvT1_
	.globl	_ZN7rocprim17ROCPRIM_400000_NS6detail17trampoline_kernelINS0_14default_configENS1_25partition_config_selectorILNS1_17partition_subalgoE5EjNS0_10empty_typeEbEEZZNS1_14partition_implILS5_5ELb0ES3_mN6thrust23THRUST_200600_302600_NS6detail15normal_iteratorINSA_10device_ptrIjEEEEPS6_NSA_18transform_iteratorINSB_9not_fun_tI7is_trueIjEEENSC_INSD_IbEEEENSA_11use_defaultESO_EENS0_5tupleIJSF_S6_EEENSQ_IJSG_SG_EEES6_PlJS6_EEE10hipError_tPvRmT3_T4_T5_T6_T7_T9_mT8_P12ihipStream_tbDpT10_ENKUlT_T0_E_clISt17integral_constantIbLb0EES1C_IbLb1EEEEDaS18_S19_EUlS18_E_NS1_11comp_targetILNS1_3genE0ELNS1_11target_archE4294967295ELNS1_3gpuE0ELNS1_3repE0EEENS1_30default_config_static_selectorELNS0_4arch9wavefront6targetE0EEEvT1_
	.p2align	8
	.type	_ZN7rocprim17ROCPRIM_400000_NS6detail17trampoline_kernelINS0_14default_configENS1_25partition_config_selectorILNS1_17partition_subalgoE5EjNS0_10empty_typeEbEEZZNS1_14partition_implILS5_5ELb0ES3_mN6thrust23THRUST_200600_302600_NS6detail15normal_iteratorINSA_10device_ptrIjEEEEPS6_NSA_18transform_iteratorINSB_9not_fun_tI7is_trueIjEEENSC_INSD_IbEEEENSA_11use_defaultESO_EENS0_5tupleIJSF_S6_EEENSQ_IJSG_SG_EEES6_PlJS6_EEE10hipError_tPvRmT3_T4_T5_T6_T7_T9_mT8_P12ihipStream_tbDpT10_ENKUlT_T0_E_clISt17integral_constantIbLb0EES1C_IbLb1EEEEDaS18_S19_EUlS18_E_NS1_11comp_targetILNS1_3genE0ELNS1_11target_archE4294967295ELNS1_3gpuE0ELNS1_3repE0EEENS1_30default_config_static_selectorELNS0_4arch9wavefront6targetE0EEEvT1_,@function
_ZN7rocprim17ROCPRIM_400000_NS6detail17trampoline_kernelINS0_14default_configENS1_25partition_config_selectorILNS1_17partition_subalgoE5EjNS0_10empty_typeEbEEZZNS1_14partition_implILS5_5ELb0ES3_mN6thrust23THRUST_200600_302600_NS6detail15normal_iteratorINSA_10device_ptrIjEEEEPS6_NSA_18transform_iteratorINSB_9not_fun_tI7is_trueIjEEENSC_INSD_IbEEEENSA_11use_defaultESO_EENS0_5tupleIJSF_S6_EEENSQ_IJSG_SG_EEES6_PlJS6_EEE10hipError_tPvRmT3_T4_T5_T6_T7_T9_mT8_P12ihipStream_tbDpT10_ENKUlT_T0_E_clISt17integral_constantIbLb0EES1C_IbLb1EEEEDaS18_S19_EUlS18_E_NS1_11comp_targetILNS1_3genE0ELNS1_11target_archE4294967295ELNS1_3gpuE0ELNS1_3repE0EEENS1_30default_config_static_selectorELNS0_4arch9wavefront6targetE0EEEvT1_: ; @_ZN7rocprim17ROCPRIM_400000_NS6detail17trampoline_kernelINS0_14default_configENS1_25partition_config_selectorILNS1_17partition_subalgoE5EjNS0_10empty_typeEbEEZZNS1_14partition_implILS5_5ELb0ES3_mN6thrust23THRUST_200600_302600_NS6detail15normal_iteratorINSA_10device_ptrIjEEEEPS6_NSA_18transform_iteratorINSB_9not_fun_tI7is_trueIjEEENSC_INSD_IbEEEENSA_11use_defaultESO_EENS0_5tupleIJSF_S6_EEENSQ_IJSG_SG_EEES6_PlJS6_EEE10hipError_tPvRmT3_T4_T5_T6_T7_T9_mT8_P12ihipStream_tbDpT10_ENKUlT_T0_E_clISt17integral_constantIbLb0EES1C_IbLb1EEEEDaS18_S19_EUlS18_E_NS1_11comp_targetILNS1_3genE0ELNS1_11target_archE4294967295ELNS1_3gpuE0ELNS1_3repE0EEENS1_30default_config_static_selectorELNS0_4arch9wavefront6targetE0EEEvT1_
; %bb.0:
	.section	.rodata,"a",@progbits
	.p2align	6, 0x0
	.amdhsa_kernel _ZN7rocprim17ROCPRIM_400000_NS6detail17trampoline_kernelINS0_14default_configENS1_25partition_config_selectorILNS1_17partition_subalgoE5EjNS0_10empty_typeEbEEZZNS1_14partition_implILS5_5ELb0ES3_mN6thrust23THRUST_200600_302600_NS6detail15normal_iteratorINSA_10device_ptrIjEEEEPS6_NSA_18transform_iteratorINSB_9not_fun_tI7is_trueIjEEENSC_INSD_IbEEEENSA_11use_defaultESO_EENS0_5tupleIJSF_S6_EEENSQ_IJSG_SG_EEES6_PlJS6_EEE10hipError_tPvRmT3_T4_T5_T6_T7_T9_mT8_P12ihipStream_tbDpT10_ENKUlT_T0_E_clISt17integral_constantIbLb0EES1C_IbLb1EEEEDaS18_S19_EUlS18_E_NS1_11comp_targetILNS1_3genE0ELNS1_11target_archE4294967295ELNS1_3gpuE0ELNS1_3repE0EEENS1_30default_config_static_selectorELNS0_4arch9wavefront6targetE0EEEvT1_
		.amdhsa_group_segment_fixed_size 0
		.amdhsa_private_segment_fixed_size 0
		.amdhsa_kernarg_size 136
		.amdhsa_user_sgpr_count 2
		.amdhsa_user_sgpr_dispatch_ptr 0
		.amdhsa_user_sgpr_queue_ptr 0
		.amdhsa_user_sgpr_kernarg_segment_ptr 1
		.amdhsa_user_sgpr_dispatch_id 0
		.amdhsa_user_sgpr_private_segment_size 0
		.amdhsa_wavefront_size32 1
		.amdhsa_uses_dynamic_stack 0
		.amdhsa_enable_private_segment 0
		.amdhsa_system_sgpr_workgroup_id_x 1
		.amdhsa_system_sgpr_workgroup_id_y 0
		.amdhsa_system_sgpr_workgroup_id_z 0
		.amdhsa_system_sgpr_workgroup_info 0
		.amdhsa_system_vgpr_workitem_id 0
		.amdhsa_next_free_vgpr 1
		.amdhsa_next_free_sgpr 1
		.amdhsa_reserve_vcc 0
		.amdhsa_float_round_mode_32 0
		.amdhsa_float_round_mode_16_64 0
		.amdhsa_float_denorm_mode_32 3
		.amdhsa_float_denorm_mode_16_64 3
		.amdhsa_fp16_overflow 0
		.amdhsa_workgroup_processor_mode 1
		.amdhsa_memory_ordered 1
		.amdhsa_forward_progress 1
		.amdhsa_inst_pref_size 0
		.amdhsa_round_robin_scheduling 0
		.amdhsa_exception_fp_ieee_invalid_op 0
		.amdhsa_exception_fp_denorm_src 0
		.amdhsa_exception_fp_ieee_div_zero 0
		.amdhsa_exception_fp_ieee_overflow 0
		.amdhsa_exception_fp_ieee_underflow 0
		.amdhsa_exception_fp_ieee_inexact 0
		.amdhsa_exception_int_div_zero 0
	.end_amdhsa_kernel
	.section	.text._ZN7rocprim17ROCPRIM_400000_NS6detail17trampoline_kernelINS0_14default_configENS1_25partition_config_selectorILNS1_17partition_subalgoE5EjNS0_10empty_typeEbEEZZNS1_14partition_implILS5_5ELb0ES3_mN6thrust23THRUST_200600_302600_NS6detail15normal_iteratorINSA_10device_ptrIjEEEEPS6_NSA_18transform_iteratorINSB_9not_fun_tI7is_trueIjEEENSC_INSD_IbEEEENSA_11use_defaultESO_EENS0_5tupleIJSF_S6_EEENSQ_IJSG_SG_EEES6_PlJS6_EEE10hipError_tPvRmT3_T4_T5_T6_T7_T9_mT8_P12ihipStream_tbDpT10_ENKUlT_T0_E_clISt17integral_constantIbLb0EES1C_IbLb1EEEEDaS18_S19_EUlS18_E_NS1_11comp_targetILNS1_3genE0ELNS1_11target_archE4294967295ELNS1_3gpuE0ELNS1_3repE0EEENS1_30default_config_static_selectorELNS0_4arch9wavefront6targetE0EEEvT1_,"axG",@progbits,_ZN7rocprim17ROCPRIM_400000_NS6detail17trampoline_kernelINS0_14default_configENS1_25partition_config_selectorILNS1_17partition_subalgoE5EjNS0_10empty_typeEbEEZZNS1_14partition_implILS5_5ELb0ES3_mN6thrust23THRUST_200600_302600_NS6detail15normal_iteratorINSA_10device_ptrIjEEEEPS6_NSA_18transform_iteratorINSB_9not_fun_tI7is_trueIjEEENSC_INSD_IbEEEENSA_11use_defaultESO_EENS0_5tupleIJSF_S6_EEENSQ_IJSG_SG_EEES6_PlJS6_EEE10hipError_tPvRmT3_T4_T5_T6_T7_T9_mT8_P12ihipStream_tbDpT10_ENKUlT_T0_E_clISt17integral_constantIbLb0EES1C_IbLb1EEEEDaS18_S19_EUlS18_E_NS1_11comp_targetILNS1_3genE0ELNS1_11target_archE4294967295ELNS1_3gpuE0ELNS1_3repE0EEENS1_30default_config_static_selectorELNS0_4arch9wavefront6targetE0EEEvT1_,comdat
.Lfunc_end2453:
	.size	_ZN7rocprim17ROCPRIM_400000_NS6detail17trampoline_kernelINS0_14default_configENS1_25partition_config_selectorILNS1_17partition_subalgoE5EjNS0_10empty_typeEbEEZZNS1_14partition_implILS5_5ELb0ES3_mN6thrust23THRUST_200600_302600_NS6detail15normal_iteratorINSA_10device_ptrIjEEEEPS6_NSA_18transform_iteratorINSB_9not_fun_tI7is_trueIjEEENSC_INSD_IbEEEENSA_11use_defaultESO_EENS0_5tupleIJSF_S6_EEENSQ_IJSG_SG_EEES6_PlJS6_EEE10hipError_tPvRmT3_T4_T5_T6_T7_T9_mT8_P12ihipStream_tbDpT10_ENKUlT_T0_E_clISt17integral_constantIbLb0EES1C_IbLb1EEEEDaS18_S19_EUlS18_E_NS1_11comp_targetILNS1_3genE0ELNS1_11target_archE4294967295ELNS1_3gpuE0ELNS1_3repE0EEENS1_30default_config_static_selectorELNS0_4arch9wavefront6targetE0EEEvT1_, .Lfunc_end2453-_ZN7rocprim17ROCPRIM_400000_NS6detail17trampoline_kernelINS0_14default_configENS1_25partition_config_selectorILNS1_17partition_subalgoE5EjNS0_10empty_typeEbEEZZNS1_14partition_implILS5_5ELb0ES3_mN6thrust23THRUST_200600_302600_NS6detail15normal_iteratorINSA_10device_ptrIjEEEEPS6_NSA_18transform_iteratorINSB_9not_fun_tI7is_trueIjEEENSC_INSD_IbEEEENSA_11use_defaultESO_EENS0_5tupleIJSF_S6_EEENSQ_IJSG_SG_EEES6_PlJS6_EEE10hipError_tPvRmT3_T4_T5_T6_T7_T9_mT8_P12ihipStream_tbDpT10_ENKUlT_T0_E_clISt17integral_constantIbLb0EES1C_IbLb1EEEEDaS18_S19_EUlS18_E_NS1_11comp_targetILNS1_3genE0ELNS1_11target_archE4294967295ELNS1_3gpuE0ELNS1_3repE0EEENS1_30default_config_static_selectorELNS0_4arch9wavefront6targetE0EEEvT1_
                                        ; -- End function
	.set _ZN7rocprim17ROCPRIM_400000_NS6detail17trampoline_kernelINS0_14default_configENS1_25partition_config_selectorILNS1_17partition_subalgoE5EjNS0_10empty_typeEbEEZZNS1_14partition_implILS5_5ELb0ES3_mN6thrust23THRUST_200600_302600_NS6detail15normal_iteratorINSA_10device_ptrIjEEEEPS6_NSA_18transform_iteratorINSB_9not_fun_tI7is_trueIjEEENSC_INSD_IbEEEENSA_11use_defaultESO_EENS0_5tupleIJSF_S6_EEENSQ_IJSG_SG_EEES6_PlJS6_EEE10hipError_tPvRmT3_T4_T5_T6_T7_T9_mT8_P12ihipStream_tbDpT10_ENKUlT_T0_E_clISt17integral_constantIbLb0EES1C_IbLb1EEEEDaS18_S19_EUlS18_E_NS1_11comp_targetILNS1_3genE0ELNS1_11target_archE4294967295ELNS1_3gpuE0ELNS1_3repE0EEENS1_30default_config_static_selectorELNS0_4arch9wavefront6targetE0EEEvT1_.num_vgpr, 0
	.set _ZN7rocprim17ROCPRIM_400000_NS6detail17trampoline_kernelINS0_14default_configENS1_25partition_config_selectorILNS1_17partition_subalgoE5EjNS0_10empty_typeEbEEZZNS1_14partition_implILS5_5ELb0ES3_mN6thrust23THRUST_200600_302600_NS6detail15normal_iteratorINSA_10device_ptrIjEEEEPS6_NSA_18transform_iteratorINSB_9not_fun_tI7is_trueIjEEENSC_INSD_IbEEEENSA_11use_defaultESO_EENS0_5tupleIJSF_S6_EEENSQ_IJSG_SG_EEES6_PlJS6_EEE10hipError_tPvRmT3_T4_T5_T6_T7_T9_mT8_P12ihipStream_tbDpT10_ENKUlT_T0_E_clISt17integral_constantIbLb0EES1C_IbLb1EEEEDaS18_S19_EUlS18_E_NS1_11comp_targetILNS1_3genE0ELNS1_11target_archE4294967295ELNS1_3gpuE0ELNS1_3repE0EEENS1_30default_config_static_selectorELNS0_4arch9wavefront6targetE0EEEvT1_.num_agpr, 0
	.set _ZN7rocprim17ROCPRIM_400000_NS6detail17trampoline_kernelINS0_14default_configENS1_25partition_config_selectorILNS1_17partition_subalgoE5EjNS0_10empty_typeEbEEZZNS1_14partition_implILS5_5ELb0ES3_mN6thrust23THRUST_200600_302600_NS6detail15normal_iteratorINSA_10device_ptrIjEEEEPS6_NSA_18transform_iteratorINSB_9not_fun_tI7is_trueIjEEENSC_INSD_IbEEEENSA_11use_defaultESO_EENS0_5tupleIJSF_S6_EEENSQ_IJSG_SG_EEES6_PlJS6_EEE10hipError_tPvRmT3_T4_T5_T6_T7_T9_mT8_P12ihipStream_tbDpT10_ENKUlT_T0_E_clISt17integral_constantIbLb0EES1C_IbLb1EEEEDaS18_S19_EUlS18_E_NS1_11comp_targetILNS1_3genE0ELNS1_11target_archE4294967295ELNS1_3gpuE0ELNS1_3repE0EEENS1_30default_config_static_selectorELNS0_4arch9wavefront6targetE0EEEvT1_.numbered_sgpr, 0
	.set _ZN7rocprim17ROCPRIM_400000_NS6detail17trampoline_kernelINS0_14default_configENS1_25partition_config_selectorILNS1_17partition_subalgoE5EjNS0_10empty_typeEbEEZZNS1_14partition_implILS5_5ELb0ES3_mN6thrust23THRUST_200600_302600_NS6detail15normal_iteratorINSA_10device_ptrIjEEEEPS6_NSA_18transform_iteratorINSB_9not_fun_tI7is_trueIjEEENSC_INSD_IbEEEENSA_11use_defaultESO_EENS0_5tupleIJSF_S6_EEENSQ_IJSG_SG_EEES6_PlJS6_EEE10hipError_tPvRmT3_T4_T5_T6_T7_T9_mT8_P12ihipStream_tbDpT10_ENKUlT_T0_E_clISt17integral_constantIbLb0EES1C_IbLb1EEEEDaS18_S19_EUlS18_E_NS1_11comp_targetILNS1_3genE0ELNS1_11target_archE4294967295ELNS1_3gpuE0ELNS1_3repE0EEENS1_30default_config_static_selectorELNS0_4arch9wavefront6targetE0EEEvT1_.num_named_barrier, 0
	.set _ZN7rocprim17ROCPRIM_400000_NS6detail17trampoline_kernelINS0_14default_configENS1_25partition_config_selectorILNS1_17partition_subalgoE5EjNS0_10empty_typeEbEEZZNS1_14partition_implILS5_5ELb0ES3_mN6thrust23THRUST_200600_302600_NS6detail15normal_iteratorINSA_10device_ptrIjEEEEPS6_NSA_18transform_iteratorINSB_9not_fun_tI7is_trueIjEEENSC_INSD_IbEEEENSA_11use_defaultESO_EENS0_5tupleIJSF_S6_EEENSQ_IJSG_SG_EEES6_PlJS6_EEE10hipError_tPvRmT3_T4_T5_T6_T7_T9_mT8_P12ihipStream_tbDpT10_ENKUlT_T0_E_clISt17integral_constantIbLb0EES1C_IbLb1EEEEDaS18_S19_EUlS18_E_NS1_11comp_targetILNS1_3genE0ELNS1_11target_archE4294967295ELNS1_3gpuE0ELNS1_3repE0EEENS1_30default_config_static_selectorELNS0_4arch9wavefront6targetE0EEEvT1_.private_seg_size, 0
	.set _ZN7rocprim17ROCPRIM_400000_NS6detail17trampoline_kernelINS0_14default_configENS1_25partition_config_selectorILNS1_17partition_subalgoE5EjNS0_10empty_typeEbEEZZNS1_14partition_implILS5_5ELb0ES3_mN6thrust23THRUST_200600_302600_NS6detail15normal_iteratorINSA_10device_ptrIjEEEEPS6_NSA_18transform_iteratorINSB_9not_fun_tI7is_trueIjEEENSC_INSD_IbEEEENSA_11use_defaultESO_EENS0_5tupleIJSF_S6_EEENSQ_IJSG_SG_EEES6_PlJS6_EEE10hipError_tPvRmT3_T4_T5_T6_T7_T9_mT8_P12ihipStream_tbDpT10_ENKUlT_T0_E_clISt17integral_constantIbLb0EES1C_IbLb1EEEEDaS18_S19_EUlS18_E_NS1_11comp_targetILNS1_3genE0ELNS1_11target_archE4294967295ELNS1_3gpuE0ELNS1_3repE0EEENS1_30default_config_static_selectorELNS0_4arch9wavefront6targetE0EEEvT1_.uses_vcc, 0
	.set _ZN7rocprim17ROCPRIM_400000_NS6detail17trampoline_kernelINS0_14default_configENS1_25partition_config_selectorILNS1_17partition_subalgoE5EjNS0_10empty_typeEbEEZZNS1_14partition_implILS5_5ELb0ES3_mN6thrust23THRUST_200600_302600_NS6detail15normal_iteratorINSA_10device_ptrIjEEEEPS6_NSA_18transform_iteratorINSB_9not_fun_tI7is_trueIjEEENSC_INSD_IbEEEENSA_11use_defaultESO_EENS0_5tupleIJSF_S6_EEENSQ_IJSG_SG_EEES6_PlJS6_EEE10hipError_tPvRmT3_T4_T5_T6_T7_T9_mT8_P12ihipStream_tbDpT10_ENKUlT_T0_E_clISt17integral_constantIbLb0EES1C_IbLb1EEEEDaS18_S19_EUlS18_E_NS1_11comp_targetILNS1_3genE0ELNS1_11target_archE4294967295ELNS1_3gpuE0ELNS1_3repE0EEENS1_30default_config_static_selectorELNS0_4arch9wavefront6targetE0EEEvT1_.uses_flat_scratch, 0
	.set _ZN7rocprim17ROCPRIM_400000_NS6detail17trampoline_kernelINS0_14default_configENS1_25partition_config_selectorILNS1_17partition_subalgoE5EjNS0_10empty_typeEbEEZZNS1_14partition_implILS5_5ELb0ES3_mN6thrust23THRUST_200600_302600_NS6detail15normal_iteratorINSA_10device_ptrIjEEEEPS6_NSA_18transform_iteratorINSB_9not_fun_tI7is_trueIjEEENSC_INSD_IbEEEENSA_11use_defaultESO_EENS0_5tupleIJSF_S6_EEENSQ_IJSG_SG_EEES6_PlJS6_EEE10hipError_tPvRmT3_T4_T5_T6_T7_T9_mT8_P12ihipStream_tbDpT10_ENKUlT_T0_E_clISt17integral_constantIbLb0EES1C_IbLb1EEEEDaS18_S19_EUlS18_E_NS1_11comp_targetILNS1_3genE0ELNS1_11target_archE4294967295ELNS1_3gpuE0ELNS1_3repE0EEENS1_30default_config_static_selectorELNS0_4arch9wavefront6targetE0EEEvT1_.has_dyn_sized_stack, 0
	.set _ZN7rocprim17ROCPRIM_400000_NS6detail17trampoline_kernelINS0_14default_configENS1_25partition_config_selectorILNS1_17partition_subalgoE5EjNS0_10empty_typeEbEEZZNS1_14partition_implILS5_5ELb0ES3_mN6thrust23THRUST_200600_302600_NS6detail15normal_iteratorINSA_10device_ptrIjEEEEPS6_NSA_18transform_iteratorINSB_9not_fun_tI7is_trueIjEEENSC_INSD_IbEEEENSA_11use_defaultESO_EENS0_5tupleIJSF_S6_EEENSQ_IJSG_SG_EEES6_PlJS6_EEE10hipError_tPvRmT3_T4_T5_T6_T7_T9_mT8_P12ihipStream_tbDpT10_ENKUlT_T0_E_clISt17integral_constantIbLb0EES1C_IbLb1EEEEDaS18_S19_EUlS18_E_NS1_11comp_targetILNS1_3genE0ELNS1_11target_archE4294967295ELNS1_3gpuE0ELNS1_3repE0EEENS1_30default_config_static_selectorELNS0_4arch9wavefront6targetE0EEEvT1_.has_recursion, 0
	.set _ZN7rocprim17ROCPRIM_400000_NS6detail17trampoline_kernelINS0_14default_configENS1_25partition_config_selectorILNS1_17partition_subalgoE5EjNS0_10empty_typeEbEEZZNS1_14partition_implILS5_5ELb0ES3_mN6thrust23THRUST_200600_302600_NS6detail15normal_iteratorINSA_10device_ptrIjEEEEPS6_NSA_18transform_iteratorINSB_9not_fun_tI7is_trueIjEEENSC_INSD_IbEEEENSA_11use_defaultESO_EENS0_5tupleIJSF_S6_EEENSQ_IJSG_SG_EEES6_PlJS6_EEE10hipError_tPvRmT3_T4_T5_T6_T7_T9_mT8_P12ihipStream_tbDpT10_ENKUlT_T0_E_clISt17integral_constantIbLb0EES1C_IbLb1EEEEDaS18_S19_EUlS18_E_NS1_11comp_targetILNS1_3genE0ELNS1_11target_archE4294967295ELNS1_3gpuE0ELNS1_3repE0EEENS1_30default_config_static_selectorELNS0_4arch9wavefront6targetE0EEEvT1_.has_indirect_call, 0
	.section	.AMDGPU.csdata,"",@progbits
; Kernel info:
; codeLenInByte = 0
; TotalNumSgprs: 0
; NumVgprs: 0
; ScratchSize: 0
; MemoryBound: 0
; FloatMode: 240
; IeeeMode: 1
; LDSByteSize: 0 bytes/workgroup (compile time only)
; SGPRBlocks: 0
; VGPRBlocks: 0
; NumSGPRsForWavesPerEU: 1
; NumVGPRsForWavesPerEU: 1
; Occupancy: 16
; WaveLimiterHint : 0
; COMPUTE_PGM_RSRC2:SCRATCH_EN: 0
; COMPUTE_PGM_RSRC2:USER_SGPR: 2
; COMPUTE_PGM_RSRC2:TRAP_HANDLER: 0
; COMPUTE_PGM_RSRC2:TGID_X_EN: 1
; COMPUTE_PGM_RSRC2:TGID_Y_EN: 0
; COMPUTE_PGM_RSRC2:TGID_Z_EN: 0
; COMPUTE_PGM_RSRC2:TIDIG_COMP_CNT: 0
	.section	.text._ZN7rocprim17ROCPRIM_400000_NS6detail17trampoline_kernelINS0_14default_configENS1_25partition_config_selectorILNS1_17partition_subalgoE5EjNS0_10empty_typeEbEEZZNS1_14partition_implILS5_5ELb0ES3_mN6thrust23THRUST_200600_302600_NS6detail15normal_iteratorINSA_10device_ptrIjEEEEPS6_NSA_18transform_iteratorINSB_9not_fun_tI7is_trueIjEEENSC_INSD_IbEEEENSA_11use_defaultESO_EENS0_5tupleIJSF_S6_EEENSQ_IJSG_SG_EEES6_PlJS6_EEE10hipError_tPvRmT3_T4_T5_T6_T7_T9_mT8_P12ihipStream_tbDpT10_ENKUlT_T0_E_clISt17integral_constantIbLb0EES1C_IbLb1EEEEDaS18_S19_EUlS18_E_NS1_11comp_targetILNS1_3genE5ELNS1_11target_archE942ELNS1_3gpuE9ELNS1_3repE0EEENS1_30default_config_static_selectorELNS0_4arch9wavefront6targetE0EEEvT1_,"axG",@progbits,_ZN7rocprim17ROCPRIM_400000_NS6detail17trampoline_kernelINS0_14default_configENS1_25partition_config_selectorILNS1_17partition_subalgoE5EjNS0_10empty_typeEbEEZZNS1_14partition_implILS5_5ELb0ES3_mN6thrust23THRUST_200600_302600_NS6detail15normal_iteratorINSA_10device_ptrIjEEEEPS6_NSA_18transform_iteratorINSB_9not_fun_tI7is_trueIjEEENSC_INSD_IbEEEENSA_11use_defaultESO_EENS0_5tupleIJSF_S6_EEENSQ_IJSG_SG_EEES6_PlJS6_EEE10hipError_tPvRmT3_T4_T5_T6_T7_T9_mT8_P12ihipStream_tbDpT10_ENKUlT_T0_E_clISt17integral_constantIbLb0EES1C_IbLb1EEEEDaS18_S19_EUlS18_E_NS1_11comp_targetILNS1_3genE5ELNS1_11target_archE942ELNS1_3gpuE9ELNS1_3repE0EEENS1_30default_config_static_selectorELNS0_4arch9wavefront6targetE0EEEvT1_,comdat
	.protected	_ZN7rocprim17ROCPRIM_400000_NS6detail17trampoline_kernelINS0_14default_configENS1_25partition_config_selectorILNS1_17partition_subalgoE5EjNS0_10empty_typeEbEEZZNS1_14partition_implILS5_5ELb0ES3_mN6thrust23THRUST_200600_302600_NS6detail15normal_iteratorINSA_10device_ptrIjEEEEPS6_NSA_18transform_iteratorINSB_9not_fun_tI7is_trueIjEEENSC_INSD_IbEEEENSA_11use_defaultESO_EENS0_5tupleIJSF_S6_EEENSQ_IJSG_SG_EEES6_PlJS6_EEE10hipError_tPvRmT3_T4_T5_T6_T7_T9_mT8_P12ihipStream_tbDpT10_ENKUlT_T0_E_clISt17integral_constantIbLb0EES1C_IbLb1EEEEDaS18_S19_EUlS18_E_NS1_11comp_targetILNS1_3genE5ELNS1_11target_archE942ELNS1_3gpuE9ELNS1_3repE0EEENS1_30default_config_static_selectorELNS0_4arch9wavefront6targetE0EEEvT1_ ; -- Begin function _ZN7rocprim17ROCPRIM_400000_NS6detail17trampoline_kernelINS0_14default_configENS1_25partition_config_selectorILNS1_17partition_subalgoE5EjNS0_10empty_typeEbEEZZNS1_14partition_implILS5_5ELb0ES3_mN6thrust23THRUST_200600_302600_NS6detail15normal_iteratorINSA_10device_ptrIjEEEEPS6_NSA_18transform_iteratorINSB_9not_fun_tI7is_trueIjEEENSC_INSD_IbEEEENSA_11use_defaultESO_EENS0_5tupleIJSF_S6_EEENSQ_IJSG_SG_EEES6_PlJS6_EEE10hipError_tPvRmT3_T4_T5_T6_T7_T9_mT8_P12ihipStream_tbDpT10_ENKUlT_T0_E_clISt17integral_constantIbLb0EES1C_IbLb1EEEEDaS18_S19_EUlS18_E_NS1_11comp_targetILNS1_3genE5ELNS1_11target_archE942ELNS1_3gpuE9ELNS1_3repE0EEENS1_30default_config_static_selectorELNS0_4arch9wavefront6targetE0EEEvT1_
	.globl	_ZN7rocprim17ROCPRIM_400000_NS6detail17trampoline_kernelINS0_14default_configENS1_25partition_config_selectorILNS1_17partition_subalgoE5EjNS0_10empty_typeEbEEZZNS1_14partition_implILS5_5ELb0ES3_mN6thrust23THRUST_200600_302600_NS6detail15normal_iteratorINSA_10device_ptrIjEEEEPS6_NSA_18transform_iteratorINSB_9not_fun_tI7is_trueIjEEENSC_INSD_IbEEEENSA_11use_defaultESO_EENS0_5tupleIJSF_S6_EEENSQ_IJSG_SG_EEES6_PlJS6_EEE10hipError_tPvRmT3_T4_T5_T6_T7_T9_mT8_P12ihipStream_tbDpT10_ENKUlT_T0_E_clISt17integral_constantIbLb0EES1C_IbLb1EEEEDaS18_S19_EUlS18_E_NS1_11comp_targetILNS1_3genE5ELNS1_11target_archE942ELNS1_3gpuE9ELNS1_3repE0EEENS1_30default_config_static_selectorELNS0_4arch9wavefront6targetE0EEEvT1_
	.p2align	8
	.type	_ZN7rocprim17ROCPRIM_400000_NS6detail17trampoline_kernelINS0_14default_configENS1_25partition_config_selectorILNS1_17partition_subalgoE5EjNS0_10empty_typeEbEEZZNS1_14partition_implILS5_5ELb0ES3_mN6thrust23THRUST_200600_302600_NS6detail15normal_iteratorINSA_10device_ptrIjEEEEPS6_NSA_18transform_iteratorINSB_9not_fun_tI7is_trueIjEEENSC_INSD_IbEEEENSA_11use_defaultESO_EENS0_5tupleIJSF_S6_EEENSQ_IJSG_SG_EEES6_PlJS6_EEE10hipError_tPvRmT3_T4_T5_T6_T7_T9_mT8_P12ihipStream_tbDpT10_ENKUlT_T0_E_clISt17integral_constantIbLb0EES1C_IbLb1EEEEDaS18_S19_EUlS18_E_NS1_11comp_targetILNS1_3genE5ELNS1_11target_archE942ELNS1_3gpuE9ELNS1_3repE0EEENS1_30default_config_static_selectorELNS0_4arch9wavefront6targetE0EEEvT1_,@function
_ZN7rocprim17ROCPRIM_400000_NS6detail17trampoline_kernelINS0_14default_configENS1_25partition_config_selectorILNS1_17partition_subalgoE5EjNS0_10empty_typeEbEEZZNS1_14partition_implILS5_5ELb0ES3_mN6thrust23THRUST_200600_302600_NS6detail15normal_iteratorINSA_10device_ptrIjEEEEPS6_NSA_18transform_iteratorINSB_9not_fun_tI7is_trueIjEEENSC_INSD_IbEEEENSA_11use_defaultESO_EENS0_5tupleIJSF_S6_EEENSQ_IJSG_SG_EEES6_PlJS6_EEE10hipError_tPvRmT3_T4_T5_T6_T7_T9_mT8_P12ihipStream_tbDpT10_ENKUlT_T0_E_clISt17integral_constantIbLb0EES1C_IbLb1EEEEDaS18_S19_EUlS18_E_NS1_11comp_targetILNS1_3genE5ELNS1_11target_archE942ELNS1_3gpuE9ELNS1_3repE0EEENS1_30default_config_static_selectorELNS0_4arch9wavefront6targetE0EEEvT1_: ; @_ZN7rocprim17ROCPRIM_400000_NS6detail17trampoline_kernelINS0_14default_configENS1_25partition_config_selectorILNS1_17partition_subalgoE5EjNS0_10empty_typeEbEEZZNS1_14partition_implILS5_5ELb0ES3_mN6thrust23THRUST_200600_302600_NS6detail15normal_iteratorINSA_10device_ptrIjEEEEPS6_NSA_18transform_iteratorINSB_9not_fun_tI7is_trueIjEEENSC_INSD_IbEEEENSA_11use_defaultESO_EENS0_5tupleIJSF_S6_EEENSQ_IJSG_SG_EEES6_PlJS6_EEE10hipError_tPvRmT3_T4_T5_T6_T7_T9_mT8_P12ihipStream_tbDpT10_ENKUlT_T0_E_clISt17integral_constantIbLb0EES1C_IbLb1EEEEDaS18_S19_EUlS18_E_NS1_11comp_targetILNS1_3genE5ELNS1_11target_archE942ELNS1_3gpuE9ELNS1_3repE0EEENS1_30default_config_static_selectorELNS0_4arch9wavefront6targetE0EEEvT1_
; %bb.0:
	.section	.rodata,"a",@progbits
	.p2align	6, 0x0
	.amdhsa_kernel _ZN7rocprim17ROCPRIM_400000_NS6detail17trampoline_kernelINS0_14default_configENS1_25partition_config_selectorILNS1_17partition_subalgoE5EjNS0_10empty_typeEbEEZZNS1_14partition_implILS5_5ELb0ES3_mN6thrust23THRUST_200600_302600_NS6detail15normal_iteratorINSA_10device_ptrIjEEEEPS6_NSA_18transform_iteratorINSB_9not_fun_tI7is_trueIjEEENSC_INSD_IbEEEENSA_11use_defaultESO_EENS0_5tupleIJSF_S6_EEENSQ_IJSG_SG_EEES6_PlJS6_EEE10hipError_tPvRmT3_T4_T5_T6_T7_T9_mT8_P12ihipStream_tbDpT10_ENKUlT_T0_E_clISt17integral_constantIbLb0EES1C_IbLb1EEEEDaS18_S19_EUlS18_E_NS1_11comp_targetILNS1_3genE5ELNS1_11target_archE942ELNS1_3gpuE9ELNS1_3repE0EEENS1_30default_config_static_selectorELNS0_4arch9wavefront6targetE0EEEvT1_
		.amdhsa_group_segment_fixed_size 0
		.amdhsa_private_segment_fixed_size 0
		.amdhsa_kernarg_size 136
		.amdhsa_user_sgpr_count 2
		.amdhsa_user_sgpr_dispatch_ptr 0
		.amdhsa_user_sgpr_queue_ptr 0
		.amdhsa_user_sgpr_kernarg_segment_ptr 1
		.amdhsa_user_sgpr_dispatch_id 0
		.amdhsa_user_sgpr_private_segment_size 0
		.amdhsa_wavefront_size32 1
		.amdhsa_uses_dynamic_stack 0
		.amdhsa_enable_private_segment 0
		.amdhsa_system_sgpr_workgroup_id_x 1
		.amdhsa_system_sgpr_workgroup_id_y 0
		.amdhsa_system_sgpr_workgroup_id_z 0
		.amdhsa_system_sgpr_workgroup_info 0
		.amdhsa_system_vgpr_workitem_id 0
		.amdhsa_next_free_vgpr 1
		.amdhsa_next_free_sgpr 1
		.amdhsa_reserve_vcc 0
		.amdhsa_float_round_mode_32 0
		.amdhsa_float_round_mode_16_64 0
		.amdhsa_float_denorm_mode_32 3
		.amdhsa_float_denorm_mode_16_64 3
		.amdhsa_fp16_overflow 0
		.amdhsa_workgroup_processor_mode 1
		.amdhsa_memory_ordered 1
		.amdhsa_forward_progress 1
		.amdhsa_inst_pref_size 0
		.amdhsa_round_robin_scheduling 0
		.amdhsa_exception_fp_ieee_invalid_op 0
		.amdhsa_exception_fp_denorm_src 0
		.amdhsa_exception_fp_ieee_div_zero 0
		.amdhsa_exception_fp_ieee_overflow 0
		.amdhsa_exception_fp_ieee_underflow 0
		.amdhsa_exception_fp_ieee_inexact 0
		.amdhsa_exception_int_div_zero 0
	.end_amdhsa_kernel
	.section	.text._ZN7rocprim17ROCPRIM_400000_NS6detail17trampoline_kernelINS0_14default_configENS1_25partition_config_selectorILNS1_17partition_subalgoE5EjNS0_10empty_typeEbEEZZNS1_14partition_implILS5_5ELb0ES3_mN6thrust23THRUST_200600_302600_NS6detail15normal_iteratorINSA_10device_ptrIjEEEEPS6_NSA_18transform_iteratorINSB_9not_fun_tI7is_trueIjEEENSC_INSD_IbEEEENSA_11use_defaultESO_EENS0_5tupleIJSF_S6_EEENSQ_IJSG_SG_EEES6_PlJS6_EEE10hipError_tPvRmT3_T4_T5_T6_T7_T9_mT8_P12ihipStream_tbDpT10_ENKUlT_T0_E_clISt17integral_constantIbLb0EES1C_IbLb1EEEEDaS18_S19_EUlS18_E_NS1_11comp_targetILNS1_3genE5ELNS1_11target_archE942ELNS1_3gpuE9ELNS1_3repE0EEENS1_30default_config_static_selectorELNS0_4arch9wavefront6targetE0EEEvT1_,"axG",@progbits,_ZN7rocprim17ROCPRIM_400000_NS6detail17trampoline_kernelINS0_14default_configENS1_25partition_config_selectorILNS1_17partition_subalgoE5EjNS0_10empty_typeEbEEZZNS1_14partition_implILS5_5ELb0ES3_mN6thrust23THRUST_200600_302600_NS6detail15normal_iteratorINSA_10device_ptrIjEEEEPS6_NSA_18transform_iteratorINSB_9not_fun_tI7is_trueIjEEENSC_INSD_IbEEEENSA_11use_defaultESO_EENS0_5tupleIJSF_S6_EEENSQ_IJSG_SG_EEES6_PlJS6_EEE10hipError_tPvRmT3_T4_T5_T6_T7_T9_mT8_P12ihipStream_tbDpT10_ENKUlT_T0_E_clISt17integral_constantIbLb0EES1C_IbLb1EEEEDaS18_S19_EUlS18_E_NS1_11comp_targetILNS1_3genE5ELNS1_11target_archE942ELNS1_3gpuE9ELNS1_3repE0EEENS1_30default_config_static_selectorELNS0_4arch9wavefront6targetE0EEEvT1_,comdat
.Lfunc_end2454:
	.size	_ZN7rocprim17ROCPRIM_400000_NS6detail17trampoline_kernelINS0_14default_configENS1_25partition_config_selectorILNS1_17partition_subalgoE5EjNS0_10empty_typeEbEEZZNS1_14partition_implILS5_5ELb0ES3_mN6thrust23THRUST_200600_302600_NS6detail15normal_iteratorINSA_10device_ptrIjEEEEPS6_NSA_18transform_iteratorINSB_9not_fun_tI7is_trueIjEEENSC_INSD_IbEEEENSA_11use_defaultESO_EENS0_5tupleIJSF_S6_EEENSQ_IJSG_SG_EEES6_PlJS6_EEE10hipError_tPvRmT3_T4_T5_T6_T7_T9_mT8_P12ihipStream_tbDpT10_ENKUlT_T0_E_clISt17integral_constantIbLb0EES1C_IbLb1EEEEDaS18_S19_EUlS18_E_NS1_11comp_targetILNS1_3genE5ELNS1_11target_archE942ELNS1_3gpuE9ELNS1_3repE0EEENS1_30default_config_static_selectorELNS0_4arch9wavefront6targetE0EEEvT1_, .Lfunc_end2454-_ZN7rocprim17ROCPRIM_400000_NS6detail17trampoline_kernelINS0_14default_configENS1_25partition_config_selectorILNS1_17partition_subalgoE5EjNS0_10empty_typeEbEEZZNS1_14partition_implILS5_5ELb0ES3_mN6thrust23THRUST_200600_302600_NS6detail15normal_iteratorINSA_10device_ptrIjEEEEPS6_NSA_18transform_iteratorINSB_9not_fun_tI7is_trueIjEEENSC_INSD_IbEEEENSA_11use_defaultESO_EENS0_5tupleIJSF_S6_EEENSQ_IJSG_SG_EEES6_PlJS6_EEE10hipError_tPvRmT3_T4_T5_T6_T7_T9_mT8_P12ihipStream_tbDpT10_ENKUlT_T0_E_clISt17integral_constantIbLb0EES1C_IbLb1EEEEDaS18_S19_EUlS18_E_NS1_11comp_targetILNS1_3genE5ELNS1_11target_archE942ELNS1_3gpuE9ELNS1_3repE0EEENS1_30default_config_static_selectorELNS0_4arch9wavefront6targetE0EEEvT1_
                                        ; -- End function
	.set _ZN7rocprim17ROCPRIM_400000_NS6detail17trampoline_kernelINS0_14default_configENS1_25partition_config_selectorILNS1_17partition_subalgoE5EjNS0_10empty_typeEbEEZZNS1_14partition_implILS5_5ELb0ES3_mN6thrust23THRUST_200600_302600_NS6detail15normal_iteratorINSA_10device_ptrIjEEEEPS6_NSA_18transform_iteratorINSB_9not_fun_tI7is_trueIjEEENSC_INSD_IbEEEENSA_11use_defaultESO_EENS0_5tupleIJSF_S6_EEENSQ_IJSG_SG_EEES6_PlJS6_EEE10hipError_tPvRmT3_T4_T5_T6_T7_T9_mT8_P12ihipStream_tbDpT10_ENKUlT_T0_E_clISt17integral_constantIbLb0EES1C_IbLb1EEEEDaS18_S19_EUlS18_E_NS1_11comp_targetILNS1_3genE5ELNS1_11target_archE942ELNS1_3gpuE9ELNS1_3repE0EEENS1_30default_config_static_selectorELNS0_4arch9wavefront6targetE0EEEvT1_.num_vgpr, 0
	.set _ZN7rocprim17ROCPRIM_400000_NS6detail17trampoline_kernelINS0_14default_configENS1_25partition_config_selectorILNS1_17partition_subalgoE5EjNS0_10empty_typeEbEEZZNS1_14partition_implILS5_5ELb0ES3_mN6thrust23THRUST_200600_302600_NS6detail15normal_iteratorINSA_10device_ptrIjEEEEPS6_NSA_18transform_iteratorINSB_9not_fun_tI7is_trueIjEEENSC_INSD_IbEEEENSA_11use_defaultESO_EENS0_5tupleIJSF_S6_EEENSQ_IJSG_SG_EEES6_PlJS6_EEE10hipError_tPvRmT3_T4_T5_T6_T7_T9_mT8_P12ihipStream_tbDpT10_ENKUlT_T0_E_clISt17integral_constantIbLb0EES1C_IbLb1EEEEDaS18_S19_EUlS18_E_NS1_11comp_targetILNS1_3genE5ELNS1_11target_archE942ELNS1_3gpuE9ELNS1_3repE0EEENS1_30default_config_static_selectorELNS0_4arch9wavefront6targetE0EEEvT1_.num_agpr, 0
	.set _ZN7rocprim17ROCPRIM_400000_NS6detail17trampoline_kernelINS0_14default_configENS1_25partition_config_selectorILNS1_17partition_subalgoE5EjNS0_10empty_typeEbEEZZNS1_14partition_implILS5_5ELb0ES3_mN6thrust23THRUST_200600_302600_NS6detail15normal_iteratorINSA_10device_ptrIjEEEEPS6_NSA_18transform_iteratorINSB_9not_fun_tI7is_trueIjEEENSC_INSD_IbEEEENSA_11use_defaultESO_EENS0_5tupleIJSF_S6_EEENSQ_IJSG_SG_EEES6_PlJS6_EEE10hipError_tPvRmT3_T4_T5_T6_T7_T9_mT8_P12ihipStream_tbDpT10_ENKUlT_T0_E_clISt17integral_constantIbLb0EES1C_IbLb1EEEEDaS18_S19_EUlS18_E_NS1_11comp_targetILNS1_3genE5ELNS1_11target_archE942ELNS1_3gpuE9ELNS1_3repE0EEENS1_30default_config_static_selectorELNS0_4arch9wavefront6targetE0EEEvT1_.numbered_sgpr, 0
	.set _ZN7rocprim17ROCPRIM_400000_NS6detail17trampoline_kernelINS0_14default_configENS1_25partition_config_selectorILNS1_17partition_subalgoE5EjNS0_10empty_typeEbEEZZNS1_14partition_implILS5_5ELb0ES3_mN6thrust23THRUST_200600_302600_NS6detail15normal_iteratorINSA_10device_ptrIjEEEEPS6_NSA_18transform_iteratorINSB_9not_fun_tI7is_trueIjEEENSC_INSD_IbEEEENSA_11use_defaultESO_EENS0_5tupleIJSF_S6_EEENSQ_IJSG_SG_EEES6_PlJS6_EEE10hipError_tPvRmT3_T4_T5_T6_T7_T9_mT8_P12ihipStream_tbDpT10_ENKUlT_T0_E_clISt17integral_constantIbLb0EES1C_IbLb1EEEEDaS18_S19_EUlS18_E_NS1_11comp_targetILNS1_3genE5ELNS1_11target_archE942ELNS1_3gpuE9ELNS1_3repE0EEENS1_30default_config_static_selectorELNS0_4arch9wavefront6targetE0EEEvT1_.num_named_barrier, 0
	.set _ZN7rocprim17ROCPRIM_400000_NS6detail17trampoline_kernelINS0_14default_configENS1_25partition_config_selectorILNS1_17partition_subalgoE5EjNS0_10empty_typeEbEEZZNS1_14partition_implILS5_5ELb0ES3_mN6thrust23THRUST_200600_302600_NS6detail15normal_iteratorINSA_10device_ptrIjEEEEPS6_NSA_18transform_iteratorINSB_9not_fun_tI7is_trueIjEEENSC_INSD_IbEEEENSA_11use_defaultESO_EENS0_5tupleIJSF_S6_EEENSQ_IJSG_SG_EEES6_PlJS6_EEE10hipError_tPvRmT3_T4_T5_T6_T7_T9_mT8_P12ihipStream_tbDpT10_ENKUlT_T0_E_clISt17integral_constantIbLb0EES1C_IbLb1EEEEDaS18_S19_EUlS18_E_NS1_11comp_targetILNS1_3genE5ELNS1_11target_archE942ELNS1_3gpuE9ELNS1_3repE0EEENS1_30default_config_static_selectorELNS0_4arch9wavefront6targetE0EEEvT1_.private_seg_size, 0
	.set _ZN7rocprim17ROCPRIM_400000_NS6detail17trampoline_kernelINS0_14default_configENS1_25partition_config_selectorILNS1_17partition_subalgoE5EjNS0_10empty_typeEbEEZZNS1_14partition_implILS5_5ELb0ES3_mN6thrust23THRUST_200600_302600_NS6detail15normal_iteratorINSA_10device_ptrIjEEEEPS6_NSA_18transform_iteratorINSB_9not_fun_tI7is_trueIjEEENSC_INSD_IbEEEENSA_11use_defaultESO_EENS0_5tupleIJSF_S6_EEENSQ_IJSG_SG_EEES6_PlJS6_EEE10hipError_tPvRmT3_T4_T5_T6_T7_T9_mT8_P12ihipStream_tbDpT10_ENKUlT_T0_E_clISt17integral_constantIbLb0EES1C_IbLb1EEEEDaS18_S19_EUlS18_E_NS1_11comp_targetILNS1_3genE5ELNS1_11target_archE942ELNS1_3gpuE9ELNS1_3repE0EEENS1_30default_config_static_selectorELNS0_4arch9wavefront6targetE0EEEvT1_.uses_vcc, 0
	.set _ZN7rocprim17ROCPRIM_400000_NS6detail17trampoline_kernelINS0_14default_configENS1_25partition_config_selectorILNS1_17partition_subalgoE5EjNS0_10empty_typeEbEEZZNS1_14partition_implILS5_5ELb0ES3_mN6thrust23THRUST_200600_302600_NS6detail15normal_iteratorINSA_10device_ptrIjEEEEPS6_NSA_18transform_iteratorINSB_9not_fun_tI7is_trueIjEEENSC_INSD_IbEEEENSA_11use_defaultESO_EENS0_5tupleIJSF_S6_EEENSQ_IJSG_SG_EEES6_PlJS6_EEE10hipError_tPvRmT3_T4_T5_T6_T7_T9_mT8_P12ihipStream_tbDpT10_ENKUlT_T0_E_clISt17integral_constantIbLb0EES1C_IbLb1EEEEDaS18_S19_EUlS18_E_NS1_11comp_targetILNS1_3genE5ELNS1_11target_archE942ELNS1_3gpuE9ELNS1_3repE0EEENS1_30default_config_static_selectorELNS0_4arch9wavefront6targetE0EEEvT1_.uses_flat_scratch, 0
	.set _ZN7rocprim17ROCPRIM_400000_NS6detail17trampoline_kernelINS0_14default_configENS1_25partition_config_selectorILNS1_17partition_subalgoE5EjNS0_10empty_typeEbEEZZNS1_14partition_implILS5_5ELb0ES3_mN6thrust23THRUST_200600_302600_NS6detail15normal_iteratorINSA_10device_ptrIjEEEEPS6_NSA_18transform_iteratorINSB_9not_fun_tI7is_trueIjEEENSC_INSD_IbEEEENSA_11use_defaultESO_EENS0_5tupleIJSF_S6_EEENSQ_IJSG_SG_EEES6_PlJS6_EEE10hipError_tPvRmT3_T4_T5_T6_T7_T9_mT8_P12ihipStream_tbDpT10_ENKUlT_T0_E_clISt17integral_constantIbLb0EES1C_IbLb1EEEEDaS18_S19_EUlS18_E_NS1_11comp_targetILNS1_3genE5ELNS1_11target_archE942ELNS1_3gpuE9ELNS1_3repE0EEENS1_30default_config_static_selectorELNS0_4arch9wavefront6targetE0EEEvT1_.has_dyn_sized_stack, 0
	.set _ZN7rocprim17ROCPRIM_400000_NS6detail17trampoline_kernelINS0_14default_configENS1_25partition_config_selectorILNS1_17partition_subalgoE5EjNS0_10empty_typeEbEEZZNS1_14partition_implILS5_5ELb0ES3_mN6thrust23THRUST_200600_302600_NS6detail15normal_iteratorINSA_10device_ptrIjEEEEPS6_NSA_18transform_iteratorINSB_9not_fun_tI7is_trueIjEEENSC_INSD_IbEEEENSA_11use_defaultESO_EENS0_5tupleIJSF_S6_EEENSQ_IJSG_SG_EEES6_PlJS6_EEE10hipError_tPvRmT3_T4_T5_T6_T7_T9_mT8_P12ihipStream_tbDpT10_ENKUlT_T0_E_clISt17integral_constantIbLb0EES1C_IbLb1EEEEDaS18_S19_EUlS18_E_NS1_11comp_targetILNS1_3genE5ELNS1_11target_archE942ELNS1_3gpuE9ELNS1_3repE0EEENS1_30default_config_static_selectorELNS0_4arch9wavefront6targetE0EEEvT1_.has_recursion, 0
	.set _ZN7rocprim17ROCPRIM_400000_NS6detail17trampoline_kernelINS0_14default_configENS1_25partition_config_selectorILNS1_17partition_subalgoE5EjNS0_10empty_typeEbEEZZNS1_14partition_implILS5_5ELb0ES3_mN6thrust23THRUST_200600_302600_NS6detail15normal_iteratorINSA_10device_ptrIjEEEEPS6_NSA_18transform_iteratorINSB_9not_fun_tI7is_trueIjEEENSC_INSD_IbEEEENSA_11use_defaultESO_EENS0_5tupleIJSF_S6_EEENSQ_IJSG_SG_EEES6_PlJS6_EEE10hipError_tPvRmT3_T4_T5_T6_T7_T9_mT8_P12ihipStream_tbDpT10_ENKUlT_T0_E_clISt17integral_constantIbLb0EES1C_IbLb1EEEEDaS18_S19_EUlS18_E_NS1_11comp_targetILNS1_3genE5ELNS1_11target_archE942ELNS1_3gpuE9ELNS1_3repE0EEENS1_30default_config_static_selectorELNS0_4arch9wavefront6targetE0EEEvT1_.has_indirect_call, 0
	.section	.AMDGPU.csdata,"",@progbits
; Kernel info:
; codeLenInByte = 0
; TotalNumSgprs: 0
; NumVgprs: 0
; ScratchSize: 0
; MemoryBound: 0
; FloatMode: 240
; IeeeMode: 1
; LDSByteSize: 0 bytes/workgroup (compile time only)
; SGPRBlocks: 0
; VGPRBlocks: 0
; NumSGPRsForWavesPerEU: 1
; NumVGPRsForWavesPerEU: 1
; Occupancy: 16
; WaveLimiterHint : 0
; COMPUTE_PGM_RSRC2:SCRATCH_EN: 0
; COMPUTE_PGM_RSRC2:USER_SGPR: 2
; COMPUTE_PGM_RSRC2:TRAP_HANDLER: 0
; COMPUTE_PGM_RSRC2:TGID_X_EN: 1
; COMPUTE_PGM_RSRC2:TGID_Y_EN: 0
; COMPUTE_PGM_RSRC2:TGID_Z_EN: 0
; COMPUTE_PGM_RSRC2:TIDIG_COMP_CNT: 0
	.section	.text._ZN7rocprim17ROCPRIM_400000_NS6detail17trampoline_kernelINS0_14default_configENS1_25partition_config_selectorILNS1_17partition_subalgoE5EjNS0_10empty_typeEbEEZZNS1_14partition_implILS5_5ELb0ES3_mN6thrust23THRUST_200600_302600_NS6detail15normal_iteratorINSA_10device_ptrIjEEEEPS6_NSA_18transform_iteratorINSB_9not_fun_tI7is_trueIjEEENSC_INSD_IbEEEENSA_11use_defaultESO_EENS0_5tupleIJSF_S6_EEENSQ_IJSG_SG_EEES6_PlJS6_EEE10hipError_tPvRmT3_T4_T5_T6_T7_T9_mT8_P12ihipStream_tbDpT10_ENKUlT_T0_E_clISt17integral_constantIbLb0EES1C_IbLb1EEEEDaS18_S19_EUlS18_E_NS1_11comp_targetILNS1_3genE4ELNS1_11target_archE910ELNS1_3gpuE8ELNS1_3repE0EEENS1_30default_config_static_selectorELNS0_4arch9wavefront6targetE0EEEvT1_,"axG",@progbits,_ZN7rocprim17ROCPRIM_400000_NS6detail17trampoline_kernelINS0_14default_configENS1_25partition_config_selectorILNS1_17partition_subalgoE5EjNS0_10empty_typeEbEEZZNS1_14partition_implILS5_5ELb0ES3_mN6thrust23THRUST_200600_302600_NS6detail15normal_iteratorINSA_10device_ptrIjEEEEPS6_NSA_18transform_iteratorINSB_9not_fun_tI7is_trueIjEEENSC_INSD_IbEEEENSA_11use_defaultESO_EENS0_5tupleIJSF_S6_EEENSQ_IJSG_SG_EEES6_PlJS6_EEE10hipError_tPvRmT3_T4_T5_T6_T7_T9_mT8_P12ihipStream_tbDpT10_ENKUlT_T0_E_clISt17integral_constantIbLb0EES1C_IbLb1EEEEDaS18_S19_EUlS18_E_NS1_11comp_targetILNS1_3genE4ELNS1_11target_archE910ELNS1_3gpuE8ELNS1_3repE0EEENS1_30default_config_static_selectorELNS0_4arch9wavefront6targetE0EEEvT1_,comdat
	.protected	_ZN7rocprim17ROCPRIM_400000_NS6detail17trampoline_kernelINS0_14default_configENS1_25partition_config_selectorILNS1_17partition_subalgoE5EjNS0_10empty_typeEbEEZZNS1_14partition_implILS5_5ELb0ES3_mN6thrust23THRUST_200600_302600_NS6detail15normal_iteratorINSA_10device_ptrIjEEEEPS6_NSA_18transform_iteratorINSB_9not_fun_tI7is_trueIjEEENSC_INSD_IbEEEENSA_11use_defaultESO_EENS0_5tupleIJSF_S6_EEENSQ_IJSG_SG_EEES6_PlJS6_EEE10hipError_tPvRmT3_T4_T5_T6_T7_T9_mT8_P12ihipStream_tbDpT10_ENKUlT_T0_E_clISt17integral_constantIbLb0EES1C_IbLb1EEEEDaS18_S19_EUlS18_E_NS1_11comp_targetILNS1_3genE4ELNS1_11target_archE910ELNS1_3gpuE8ELNS1_3repE0EEENS1_30default_config_static_selectorELNS0_4arch9wavefront6targetE0EEEvT1_ ; -- Begin function _ZN7rocprim17ROCPRIM_400000_NS6detail17trampoline_kernelINS0_14default_configENS1_25partition_config_selectorILNS1_17partition_subalgoE5EjNS0_10empty_typeEbEEZZNS1_14partition_implILS5_5ELb0ES3_mN6thrust23THRUST_200600_302600_NS6detail15normal_iteratorINSA_10device_ptrIjEEEEPS6_NSA_18transform_iteratorINSB_9not_fun_tI7is_trueIjEEENSC_INSD_IbEEEENSA_11use_defaultESO_EENS0_5tupleIJSF_S6_EEENSQ_IJSG_SG_EEES6_PlJS6_EEE10hipError_tPvRmT3_T4_T5_T6_T7_T9_mT8_P12ihipStream_tbDpT10_ENKUlT_T0_E_clISt17integral_constantIbLb0EES1C_IbLb1EEEEDaS18_S19_EUlS18_E_NS1_11comp_targetILNS1_3genE4ELNS1_11target_archE910ELNS1_3gpuE8ELNS1_3repE0EEENS1_30default_config_static_selectorELNS0_4arch9wavefront6targetE0EEEvT1_
	.globl	_ZN7rocprim17ROCPRIM_400000_NS6detail17trampoline_kernelINS0_14default_configENS1_25partition_config_selectorILNS1_17partition_subalgoE5EjNS0_10empty_typeEbEEZZNS1_14partition_implILS5_5ELb0ES3_mN6thrust23THRUST_200600_302600_NS6detail15normal_iteratorINSA_10device_ptrIjEEEEPS6_NSA_18transform_iteratorINSB_9not_fun_tI7is_trueIjEEENSC_INSD_IbEEEENSA_11use_defaultESO_EENS0_5tupleIJSF_S6_EEENSQ_IJSG_SG_EEES6_PlJS6_EEE10hipError_tPvRmT3_T4_T5_T6_T7_T9_mT8_P12ihipStream_tbDpT10_ENKUlT_T0_E_clISt17integral_constantIbLb0EES1C_IbLb1EEEEDaS18_S19_EUlS18_E_NS1_11comp_targetILNS1_3genE4ELNS1_11target_archE910ELNS1_3gpuE8ELNS1_3repE0EEENS1_30default_config_static_selectorELNS0_4arch9wavefront6targetE0EEEvT1_
	.p2align	8
	.type	_ZN7rocprim17ROCPRIM_400000_NS6detail17trampoline_kernelINS0_14default_configENS1_25partition_config_selectorILNS1_17partition_subalgoE5EjNS0_10empty_typeEbEEZZNS1_14partition_implILS5_5ELb0ES3_mN6thrust23THRUST_200600_302600_NS6detail15normal_iteratorINSA_10device_ptrIjEEEEPS6_NSA_18transform_iteratorINSB_9not_fun_tI7is_trueIjEEENSC_INSD_IbEEEENSA_11use_defaultESO_EENS0_5tupleIJSF_S6_EEENSQ_IJSG_SG_EEES6_PlJS6_EEE10hipError_tPvRmT3_T4_T5_T6_T7_T9_mT8_P12ihipStream_tbDpT10_ENKUlT_T0_E_clISt17integral_constantIbLb0EES1C_IbLb1EEEEDaS18_S19_EUlS18_E_NS1_11comp_targetILNS1_3genE4ELNS1_11target_archE910ELNS1_3gpuE8ELNS1_3repE0EEENS1_30default_config_static_selectorELNS0_4arch9wavefront6targetE0EEEvT1_,@function
_ZN7rocprim17ROCPRIM_400000_NS6detail17trampoline_kernelINS0_14default_configENS1_25partition_config_selectorILNS1_17partition_subalgoE5EjNS0_10empty_typeEbEEZZNS1_14partition_implILS5_5ELb0ES3_mN6thrust23THRUST_200600_302600_NS6detail15normal_iteratorINSA_10device_ptrIjEEEEPS6_NSA_18transform_iteratorINSB_9not_fun_tI7is_trueIjEEENSC_INSD_IbEEEENSA_11use_defaultESO_EENS0_5tupleIJSF_S6_EEENSQ_IJSG_SG_EEES6_PlJS6_EEE10hipError_tPvRmT3_T4_T5_T6_T7_T9_mT8_P12ihipStream_tbDpT10_ENKUlT_T0_E_clISt17integral_constantIbLb0EES1C_IbLb1EEEEDaS18_S19_EUlS18_E_NS1_11comp_targetILNS1_3genE4ELNS1_11target_archE910ELNS1_3gpuE8ELNS1_3repE0EEENS1_30default_config_static_selectorELNS0_4arch9wavefront6targetE0EEEvT1_: ; @_ZN7rocprim17ROCPRIM_400000_NS6detail17trampoline_kernelINS0_14default_configENS1_25partition_config_selectorILNS1_17partition_subalgoE5EjNS0_10empty_typeEbEEZZNS1_14partition_implILS5_5ELb0ES3_mN6thrust23THRUST_200600_302600_NS6detail15normal_iteratorINSA_10device_ptrIjEEEEPS6_NSA_18transform_iteratorINSB_9not_fun_tI7is_trueIjEEENSC_INSD_IbEEEENSA_11use_defaultESO_EENS0_5tupleIJSF_S6_EEENSQ_IJSG_SG_EEES6_PlJS6_EEE10hipError_tPvRmT3_T4_T5_T6_T7_T9_mT8_P12ihipStream_tbDpT10_ENKUlT_T0_E_clISt17integral_constantIbLb0EES1C_IbLb1EEEEDaS18_S19_EUlS18_E_NS1_11comp_targetILNS1_3genE4ELNS1_11target_archE910ELNS1_3gpuE8ELNS1_3repE0EEENS1_30default_config_static_selectorELNS0_4arch9wavefront6targetE0EEEvT1_
; %bb.0:
	.section	.rodata,"a",@progbits
	.p2align	6, 0x0
	.amdhsa_kernel _ZN7rocprim17ROCPRIM_400000_NS6detail17trampoline_kernelINS0_14default_configENS1_25partition_config_selectorILNS1_17partition_subalgoE5EjNS0_10empty_typeEbEEZZNS1_14partition_implILS5_5ELb0ES3_mN6thrust23THRUST_200600_302600_NS6detail15normal_iteratorINSA_10device_ptrIjEEEEPS6_NSA_18transform_iteratorINSB_9not_fun_tI7is_trueIjEEENSC_INSD_IbEEEENSA_11use_defaultESO_EENS0_5tupleIJSF_S6_EEENSQ_IJSG_SG_EEES6_PlJS6_EEE10hipError_tPvRmT3_T4_T5_T6_T7_T9_mT8_P12ihipStream_tbDpT10_ENKUlT_T0_E_clISt17integral_constantIbLb0EES1C_IbLb1EEEEDaS18_S19_EUlS18_E_NS1_11comp_targetILNS1_3genE4ELNS1_11target_archE910ELNS1_3gpuE8ELNS1_3repE0EEENS1_30default_config_static_selectorELNS0_4arch9wavefront6targetE0EEEvT1_
		.amdhsa_group_segment_fixed_size 0
		.amdhsa_private_segment_fixed_size 0
		.amdhsa_kernarg_size 136
		.amdhsa_user_sgpr_count 2
		.amdhsa_user_sgpr_dispatch_ptr 0
		.amdhsa_user_sgpr_queue_ptr 0
		.amdhsa_user_sgpr_kernarg_segment_ptr 1
		.amdhsa_user_sgpr_dispatch_id 0
		.amdhsa_user_sgpr_private_segment_size 0
		.amdhsa_wavefront_size32 1
		.amdhsa_uses_dynamic_stack 0
		.amdhsa_enable_private_segment 0
		.amdhsa_system_sgpr_workgroup_id_x 1
		.amdhsa_system_sgpr_workgroup_id_y 0
		.amdhsa_system_sgpr_workgroup_id_z 0
		.amdhsa_system_sgpr_workgroup_info 0
		.amdhsa_system_vgpr_workitem_id 0
		.amdhsa_next_free_vgpr 1
		.amdhsa_next_free_sgpr 1
		.amdhsa_reserve_vcc 0
		.amdhsa_float_round_mode_32 0
		.amdhsa_float_round_mode_16_64 0
		.amdhsa_float_denorm_mode_32 3
		.amdhsa_float_denorm_mode_16_64 3
		.amdhsa_fp16_overflow 0
		.amdhsa_workgroup_processor_mode 1
		.amdhsa_memory_ordered 1
		.amdhsa_forward_progress 1
		.amdhsa_inst_pref_size 0
		.amdhsa_round_robin_scheduling 0
		.amdhsa_exception_fp_ieee_invalid_op 0
		.amdhsa_exception_fp_denorm_src 0
		.amdhsa_exception_fp_ieee_div_zero 0
		.amdhsa_exception_fp_ieee_overflow 0
		.amdhsa_exception_fp_ieee_underflow 0
		.amdhsa_exception_fp_ieee_inexact 0
		.amdhsa_exception_int_div_zero 0
	.end_amdhsa_kernel
	.section	.text._ZN7rocprim17ROCPRIM_400000_NS6detail17trampoline_kernelINS0_14default_configENS1_25partition_config_selectorILNS1_17partition_subalgoE5EjNS0_10empty_typeEbEEZZNS1_14partition_implILS5_5ELb0ES3_mN6thrust23THRUST_200600_302600_NS6detail15normal_iteratorINSA_10device_ptrIjEEEEPS6_NSA_18transform_iteratorINSB_9not_fun_tI7is_trueIjEEENSC_INSD_IbEEEENSA_11use_defaultESO_EENS0_5tupleIJSF_S6_EEENSQ_IJSG_SG_EEES6_PlJS6_EEE10hipError_tPvRmT3_T4_T5_T6_T7_T9_mT8_P12ihipStream_tbDpT10_ENKUlT_T0_E_clISt17integral_constantIbLb0EES1C_IbLb1EEEEDaS18_S19_EUlS18_E_NS1_11comp_targetILNS1_3genE4ELNS1_11target_archE910ELNS1_3gpuE8ELNS1_3repE0EEENS1_30default_config_static_selectorELNS0_4arch9wavefront6targetE0EEEvT1_,"axG",@progbits,_ZN7rocprim17ROCPRIM_400000_NS6detail17trampoline_kernelINS0_14default_configENS1_25partition_config_selectorILNS1_17partition_subalgoE5EjNS0_10empty_typeEbEEZZNS1_14partition_implILS5_5ELb0ES3_mN6thrust23THRUST_200600_302600_NS6detail15normal_iteratorINSA_10device_ptrIjEEEEPS6_NSA_18transform_iteratorINSB_9not_fun_tI7is_trueIjEEENSC_INSD_IbEEEENSA_11use_defaultESO_EENS0_5tupleIJSF_S6_EEENSQ_IJSG_SG_EEES6_PlJS6_EEE10hipError_tPvRmT3_T4_T5_T6_T7_T9_mT8_P12ihipStream_tbDpT10_ENKUlT_T0_E_clISt17integral_constantIbLb0EES1C_IbLb1EEEEDaS18_S19_EUlS18_E_NS1_11comp_targetILNS1_3genE4ELNS1_11target_archE910ELNS1_3gpuE8ELNS1_3repE0EEENS1_30default_config_static_selectorELNS0_4arch9wavefront6targetE0EEEvT1_,comdat
.Lfunc_end2455:
	.size	_ZN7rocprim17ROCPRIM_400000_NS6detail17trampoline_kernelINS0_14default_configENS1_25partition_config_selectorILNS1_17partition_subalgoE5EjNS0_10empty_typeEbEEZZNS1_14partition_implILS5_5ELb0ES3_mN6thrust23THRUST_200600_302600_NS6detail15normal_iteratorINSA_10device_ptrIjEEEEPS6_NSA_18transform_iteratorINSB_9not_fun_tI7is_trueIjEEENSC_INSD_IbEEEENSA_11use_defaultESO_EENS0_5tupleIJSF_S6_EEENSQ_IJSG_SG_EEES6_PlJS6_EEE10hipError_tPvRmT3_T4_T5_T6_T7_T9_mT8_P12ihipStream_tbDpT10_ENKUlT_T0_E_clISt17integral_constantIbLb0EES1C_IbLb1EEEEDaS18_S19_EUlS18_E_NS1_11comp_targetILNS1_3genE4ELNS1_11target_archE910ELNS1_3gpuE8ELNS1_3repE0EEENS1_30default_config_static_selectorELNS0_4arch9wavefront6targetE0EEEvT1_, .Lfunc_end2455-_ZN7rocprim17ROCPRIM_400000_NS6detail17trampoline_kernelINS0_14default_configENS1_25partition_config_selectorILNS1_17partition_subalgoE5EjNS0_10empty_typeEbEEZZNS1_14partition_implILS5_5ELb0ES3_mN6thrust23THRUST_200600_302600_NS6detail15normal_iteratorINSA_10device_ptrIjEEEEPS6_NSA_18transform_iteratorINSB_9not_fun_tI7is_trueIjEEENSC_INSD_IbEEEENSA_11use_defaultESO_EENS0_5tupleIJSF_S6_EEENSQ_IJSG_SG_EEES6_PlJS6_EEE10hipError_tPvRmT3_T4_T5_T6_T7_T9_mT8_P12ihipStream_tbDpT10_ENKUlT_T0_E_clISt17integral_constantIbLb0EES1C_IbLb1EEEEDaS18_S19_EUlS18_E_NS1_11comp_targetILNS1_3genE4ELNS1_11target_archE910ELNS1_3gpuE8ELNS1_3repE0EEENS1_30default_config_static_selectorELNS0_4arch9wavefront6targetE0EEEvT1_
                                        ; -- End function
	.set _ZN7rocprim17ROCPRIM_400000_NS6detail17trampoline_kernelINS0_14default_configENS1_25partition_config_selectorILNS1_17partition_subalgoE5EjNS0_10empty_typeEbEEZZNS1_14partition_implILS5_5ELb0ES3_mN6thrust23THRUST_200600_302600_NS6detail15normal_iteratorINSA_10device_ptrIjEEEEPS6_NSA_18transform_iteratorINSB_9not_fun_tI7is_trueIjEEENSC_INSD_IbEEEENSA_11use_defaultESO_EENS0_5tupleIJSF_S6_EEENSQ_IJSG_SG_EEES6_PlJS6_EEE10hipError_tPvRmT3_T4_T5_T6_T7_T9_mT8_P12ihipStream_tbDpT10_ENKUlT_T0_E_clISt17integral_constantIbLb0EES1C_IbLb1EEEEDaS18_S19_EUlS18_E_NS1_11comp_targetILNS1_3genE4ELNS1_11target_archE910ELNS1_3gpuE8ELNS1_3repE0EEENS1_30default_config_static_selectorELNS0_4arch9wavefront6targetE0EEEvT1_.num_vgpr, 0
	.set _ZN7rocprim17ROCPRIM_400000_NS6detail17trampoline_kernelINS0_14default_configENS1_25partition_config_selectorILNS1_17partition_subalgoE5EjNS0_10empty_typeEbEEZZNS1_14partition_implILS5_5ELb0ES3_mN6thrust23THRUST_200600_302600_NS6detail15normal_iteratorINSA_10device_ptrIjEEEEPS6_NSA_18transform_iteratorINSB_9not_fun_tI7is_trueIjEEENSC_INSD_IbEEEENSA_11use_defaultESO_EENS0_5tupleIJSF_S6_EEENSQ_IJSG_SG_EEES6_PlJS6_EEE10hipError_tPvRmT3_T4_T5_T6_T7_T9_mT8_P12ihipStream_tbDpT10_ENKUlT_T0_E_clISt17integral_constantIbLb0EES1C_IbLb1EEEEDaS18_S19_EUlS18_E_NS1_11comp_targetILNS1_3genE4ELNS1_11target_archE910ELNS1_3gpuE8ELNS1_3repE0EEENS1_30default_config_static_selectorELNS0_4arch9wavefront6targetE0EEEvT1_.num_agpr, 0
	.set _ZN7rocprim17ROCPRIM_400000_NS6detail17trampoline_kernelINS0_14default_configENS1_25partition_config_selectorILNS1_17partition_subalgoE5EjNS0_10empty_typeEbEEZZNS1_14partition_implILS5_5ELb0ES3_mN6thrust23THRUST_200600_302600_NS6detail15normal_iteratorINSA_10device_ptrIjEEEEPS6_NSA_18transform_iteratorINSB_9not_fun_tI7is_trueIjEEENSC_INSD_IbEEEENSA_11use_defaultESO_EENS0_5tupleIJSF_S6_EEENSQ_IJSG_SG_EEES6_PlJS6_EEE10hipError_tPvRmT3_T4_T5_T6_T7_T9_mT8_P12ihipStream_tbDpT10_ENKUlT_T0_E_clISt17integral_constantIbLb0EES1C_IbLb1EEEEDaS18_S19_EUlS18_E_NS1_11comp_targetILNS1_3genE4ELNS1_11target_archE910ELNS1_3gpuE8ELNS1_3repE0EEENS1_30default_config_static_selectorELNS0_4arch9wavefront6targetE0EEEvT1_.numbered_sgpr, 0
	.set _ZN7rocprim17ROCPRIM_400000_NS6detail17trampoline_kernelINS0_14default_configENS1_25partition_config_selectorILNS1_17partition_subalgoE5EjNS0_10empty_typeEbEEZZNS1_14partition_implILS5_5ELb0ES3_mN6thrust23THRUST_200600_302600_NS6detail15normal_iteratorINSA_10device_ptrIjEEEEPS6_NSA_18transform_iteratorINSB_9not_fun_tI7is_trueIjEEENSC_INSD_IbEEEENSA_11use_defaultESO_EENS0_5tupleIJSF_S6_EEENSQ_IJSG_SG_EEES6_PlJS6_EEE10hipError_tPvRmT3_T4_T5_T6_T7_T9_mT8_P12ihipStream_tbDpT10_ENKUlT_T0_E_clISt17integral_constantIbLb0EES1C_IbLb1EEEEDaS18_S19_EUlS18_E_NS1_11comp_targetILNS1_3genE4ELNS1_11target_archE910ELNS1_3gpuE8ELNS1_3repE0EEENS1_30default_config_static_selectorELNS0_4arch9wavefront6targetE0EEEvT1_.num_named_barrier, 0
	.set _ZN7rocprim17ROCPRIM_400000_NS6detail17trampoline_kernelINS0_14default_configENS1_25partition_config_selectorILNS1_17partition_subalgoE5EjNS0_10empty_typeEbEEZZNS1_14partition_implILS5_5ELb0ES3_mN6thrust23THRUST_200600_302600_NS6detail15normal_iteratorINSA_10device_ptrIjEEEEPS6_NSA_18transform_iteratorINSB_9not_fun_tI7is_trueIjEEENSC_INSD_IbEEEENSA_11use_defaultESO_EENS0_5tupleIJSF_S6_EEENSQ_IJSG_SG_EEES6_PlJS6_EEE10hipError_tPvRmT3_T4_T5_T6_T7_T9_mT8_P12ihipStream_tbDpT10_ENKUlT_T0_E_clISt17integral_constantIbLb0EES1C_IbLb1EEEEDaS18_S19_EUlS18_E_NS1_11comp_targetILNS1_3genE4ELNS1_11target_archE910ELNS1_3gpuE8ELNS1_3repE0EEENS1_30default_config_static_selectorELNS0_4arch9wavefront6targetE0EEEvT1_.private_seg_size, 0
	.set _ZN7rocprim17ROCPRIM_400000_NS6detail17trampoline_kernelINS0_14default_configENS1_25partition_config_selectorILNS1_17partition_subalgoE5EjNS0_10empty_typeEbEEZZNS1_14partition_implILS5_5ELb0ES3_mN6thrust23THRUST_200600_302600_NS6detail15normal_iteratorINSA_10device_ptrIjEEEEPS6_NSA_18transform_iteratorINSB_9not_fun_tI7is_trueIjEEENSC_INSD_IbEEEENSA_11use_defaultESO_EENS0_5tupleIJSF_S6_EEENSQ_IJSG_SG_EEES6_PlJS6_EEE10hipError_tPvRmT3_T4_T5_T6_T7_T9_mT8_P12ihipStream_tbDpT10_ENKUlT_T0_E_clISt17integral_constantIbLb0EES1C_IbLb1EEEEDaS18_S19_EUlS18_E_NS1_11comp_targetILNS1_3genE4ELNS1_11target_archE910ELNS1_3gpuE8ELNS1_3repE0EEENS1_30default_config_static_selectorELNS0_4arch9wavefront6targetE0EEEvT1_.uses_vcc, 0
	.set _ZN7rocprim17ROCPRIM_400000_NS6detail17trampoline_kernelINS0_14default_configENS1_25partition_config_selectorILNS1_17partition_subalgoE5EjNS0_10empty_typeEbEEZZNS1_14partition_implILS5_5ELb0ES3_mN6thrust23THRUST_200600_302600_NS6detail15normal_iteratorINSA_10device_ptrIjEEEEPS6_NSA_18transform_iteratorINSB_9not_fun_tI7is_trueIjEEENSC_INSD_IbEEEENSA_11use_defaultESO_EENS0_5tupleIJSF_S6_EEENSQ_IJSG_SG_EEES6_PlJS6_EEE10hipError_tPvRmT3_T4_T5_T6_T7_T9_mT8_P12ihipStream_tbDpT10_ENKUlT_T0_E_clISt17integral_constantIbLb0EES1C_IbLb1EEEEDaS18_S19_EUlS18_E_NS1_11comp_targetILNS1_3genE4ELNS1_11target_archE910ELNS1_3gpuE8ELNS1_3repE0EEENS1_30default_config_static_selectorELNS0_4arch9wavefront6targetE0EEEvT1_.uses_flat_scratch, 0
	.set _ZN7rocprim17ROCPRIM_400000_NS6detail17trampoline_kernelINS0_14default_configENS1_25partition_config_selectorILNS1_17partition_subalgoE5EjNS0_10empty_typeEbEEZZNS1_14partition_implILS5_5ELb0ES3_mN6thrust23THRUST_200600_302600_NS6detail15normal_iteratorINSA_10device_ptrIjEEEEPS6_NSA_18transform_iteratorINSB_9not_fun_tI7is_trueIjEEENSC_INSD_IbEEEENSA_11use_defaultESO_EENS0_5tupleIJSF_S6_EEENSQ_IJSG_SG_EEES6_PlJS6_EEE10hipError_tPvRmT3_T4_T5_T6_T7_T9_mT8_P12ihipStream_tbDpT10_ENKUlT_T0_E_clISt17integral_constantIbLb0EES1C_IbLb1EEEEDaS18_S19_EUlS18_E_NS1_11comp_targetILNS1_3genE4ELNS1_11target_archE910ELNS1_3gpuE8ELNS1_3repE0EEENS1_30default_config_static_selectorELNS0_4arch9wavefront6targetE0EEEvT1_.has_dyn_sized_stack, 0
	.set _ZN7rocprim17ROCPRIM_400000_NS6detail17trampoline_kernelINS0_14default_configENS1_25partition_config_selectorILNS1_17partition_subalgoE5EjNS0_10empty_typeEbEEZZNS1_14partition_implILS5_5ELb0ES3_mN6thrust23THRUST_200600_302600_NS6detail15normal_iteratorINSA_10device_ptrIjEEEEPS6_NSA_18transform_iteratorINSB_9not_fun_tI7is_trueIjEEENSC_INSD_IbEEEENSA_11use_defaultESO_EENS0_5tupleIJSF_S6_EEENSQ_IJSG_SG_EEES6_PlJS6_EEE10hipError_tPvRmT3_T4_T5_T6_T7_T9_mT8_P12ihipStream_tbDpT10_ENKUlT_T0_E_clISt17integral_constantIbLb0EES1C_IbLb1EEEEDaS18_S19_EUlS18_E_NS1_11comp_targetILNS1_3genE4ELNS1_11target_archE910ELNS1_3gpuE8ELNS1_3repE0EEENS1_30default_config_static_selectorELNS0_4arch9wavefront6targetE0EEEvT1_.has_recursion, 0
	.set _ZN7rocprim17ROCPRIM_400000_NS6detail17trampoline_kernelINS0_14default_configENS1_25partition_config_selectorILNS1_17partition_subalgoE5EjNS0_10empty_typeEbEEZZNS1_14partition_implILS5_5ELb0ES3_mN6thrust23THRUST_200600_302600_NS6detail15normal_iteratorINSA_10device_ptrIjEEEEPS6_NSA_18transform_iteratorINSB_9not_fun_tI7is_trueIjEEENSC_INSD_IbEEEENSA_11use_defaultESO_EENS0_5tupleIJSF_S6_EEENSQ_IJSG_SG_EEES6_PlJS6_EEE10hipError_tPvRmT3_T4_T5_T6_T7_T9_mT8_P12ihipStream_tbDpT10_ENKUlT_T0_E_clISt17integral_constantIbLb0EES1C_IbLb1EEEEDaS18_S19_EUlS18_E_NS1_11comp_targetILNS1_3genE4ELNS1_11target_archE910ELNS1_3gpuE8ELNS1_3repE0EEENS1_30default_config_static_selectorELNS0_4arch9wavefront6targetE0EEEvT1_.has_indirect_call, 0
	.section	.AMDGPU.csdata,"",@progbits
; Kernel info:
; codeLenInByte = 0
; TotalNumSgprs: 0
; NumVgprs: 0
; ScratchSize: 0
; MemoryBound: 0
; FloatMode: 240
; IeeeMode: 1
; LDSByteSize: 0 bytes/workgroup (compile time only)
; SGPRBlocks: 0
; VGPRBlocks: 0
; NumSGPRsForWavesPerEU: 1
; NumVGPRsForWavesPerEU: 1
; Occupancy: 16
; WaveLimiterHint : 0
; COMPUTE_PGM_RSRC2:SCRATCH_EN: 0
; COMPUTE_PGM_RSRC2:USER_SGPR: 2
; COMPUTE_PGM_RSRC2:TRAP_HANDLER: 0
; COMPUTE_PGM_RSRC2:TGID_X_EN: 1
; COMPUTE_PGM_RSRC2:TGID_Y_EN: 0
; COMPUTE_PGM_RSRC2:TGID_Z_EN: 0
; COMPUTE_PGM_RSRC2:TIDIG_COMP_CNT: 0
	.section	.text._ZN7rocprim17ROCPRIM_400000_NS6detail17trampoline_kernelINS0_14default_configENS1_25partition_config_selectorILNS1_17partition_subalgoE5EjNS0_10empty_typeEbEEZZNS1_14partition_implILS5_5ELb0ES3_mN6thrust23THRUST_200600_302600_NS6detail15normal_iteratorINSA_10device_ptrIjEEEEPS6_NSA_18transform_iteratorINSB_9not_fun_tI7is_trueIjEEENSC_INSD_IbEEEENSA_11use_defaultESO_EENS0_5tupleIJSF_S6_EEENSQ_IJSG_SG_EEES6_PlJS6_EEE10hipError_tPvRmT3_T4_T5_T6_T7_T9_mT8_P12ihipStream_tbDpT10_ENKUlT_T0_E_clISt17integral_constantIbLb0EES1C_IbLb1EEEEDaS18_S19_EUlS18_E_NS1_11comp_targetILNS1_3genE3ELNS1_11target_archE908ELNS1_3gpuE7ELNS1_3repE0EEENS1_30default_config_static_selectorELNS0_4arch9wavefront6targetE0EEEvT1_,"axG",@progbits,_ZN7rocprim17ROCPRIM_400000_NS6detail17trampoline_kernelINS0_14default_configENS1_25partition_config_selectorILNS1_17partition_subalgoE5EjNS0_10empty_typeEbEEZZNS1_14partition_implILS5_5ELb0ES3_mN6thrust23THRUST_200600_302600_NS6detail15normal_iteratorINSA_10device_ptrIjEEEEPS6_NSA_18transform_iteratorINSB_9not_fun_tI7is_trueIjEEENSC_INSD_IbEEEENSA_11use_defaultESO_EENS0_5tupleIJSF_S6_EEENSQ_IJSG_SG_EEES6_PlJS6_EEE10hipError_tPvRmT3_T4_T5_T6_T7_T9_mT8_P12ihipStream_tbDpT10_ENKUlT_T0_E_clISt17integral_constantIbLb0EES1C_IbLb1EEEEDaS18_S19_EUlS18_E_NS1_11comp_targetILNS1_3genE3ELNS1_11target_archE908ELNS1_3gpuE7ELNS1_3repE0EEENS1_30default_config_static_selectorELNS0_4arch9wavefront6targetE0EEEvT1_,comdat
	.protected	_ZN7rocprim17ROCPRIM_400000_NS6detail17trampoline_kernelINS0_14default_configENS1_25partition_config_selectorILNS1_17partition_subalgoE5EjNS0_10empty_typeEbEEZZNS1_14partition_implILS5_5ELb0ES3_mN6thrust23THRUST_200600_302600_NS6detail15normal_iteratorINSA_10device_ptrIjEEEEPS6_NSA_18transform_iteratorINSB_9not_fun_tI7is_trueIjEEENSC_INSD_IbEEEENSA_11use_defaultESO_EENS0_5tupleIJSF_S6_EEENSQ_IJSG_SG_EEES6_PlJS6_EEE10hipError_tPvRmT3_T4_T5_T6_T7_T9_mT8_P12ihipStream_tbDpT10_ENKUlT_T0_E_clISt17integral_constantIbLb0EES1C_IbLb1EEEEDaS18_S19_EUlS18_E_NS1_11comp_targetILNS1_3genE3ELNS1_11target_archE908ELNS1_3gpuE7ELNS1_3repE0EEENS1_30default_config_static_selectorELNS0_4arch9wavefront6targetE0EEEvT1_ ; -- Begin function _ZN7rocprim17ROCPRIM_400000_NS6detail17trampoline_kernelINS0_14default_configENS1_25partition_config_selectorILNS1_17partition_subalgoE5EjNS0_10empty_typeEbEEZZNS1_14partition_implILS5_5ELb0ES3_mN6thrust23THRUST_200600_302600_NS6detail15normal_iteratorINSA_10device_ptrIjEEEEPS6_NSA_18transform_iteratorINSB_9not_fun_tI7is_trueIjEEENSC_INSD_IbEEEENSA_11use_defaultESO_EENS0_5tupleIJSF_S6_EEENSQ_IJSG_SG_EEES6_PlJS6_EEE10hipError_tPvRmT3_T4_T5_T6_T7_T9_mT8_P12ihipStream_tbDpT10_ENKUlT_T0_E_clISt17integral_constantIbLb0EES1C_IbLb1EEEEDaS18_S19_EUlS18_E_NS1_11comp_targetILNS1_3genE3ELNS1_11target_archE908ELNS1_3gpuE7ELNS1_3repE0EEENS1_30default_config_static_selectorELNS0_4arch9wavefront6targetE0EEEvT1_
	.globl	_ZN7rocprim17ROCPRIM_400000_NS6detail17trampoline_kernelINS0_14default_configENS1_25partition_config_selectorILNS1_17partition_subalgoE5EjNS0_10empty_typeEbEEZZNS1_14partition_implILS5_5ELb0ES3_mN6thrust23THRUST_200600_302600_NS6detail15normal_iteratorINSA_10device_ptrIjEEEEPS6_NSA_18transform_iteratorINSB_9not_fun_tI7is_trueIjEEENSC_INSD_IbEEEENSA_11use_defaultESO_EENS0_5tupleIJSF_S6_EEENSQ_IJSG_SG_EEES6_PlJS6_EEE10hipError_tPvRmT3_T4_T5_T6_T7_T9_mT8_P12ihipStream_tbDpT10_ENKUlT_T0_E_clISt17integral_constantIbLb0EES1C_IbLb1EEEEDaS18_S19_EUlS18_E_NS1_11comp_targetILNS1_3genE3ELNS1_11target_archE908ELNS1_3gpuE7ELNS1_3repE0EEENS1_30default_config_static_selectorELNS0_4arch9wavefront6targetE0EEEvT1_
	.p2align	8
	.type	_ZN7rocprim17ROCPRIM_400000_NS6detail17trampoline_kernelINS0_14default_configENS1_25partition_config_selectorILNS1_17partition_subalgoE5EjNS0_10empty_typeEbEEZZNS1_14partition_implILS5_5ELb0ES3_mN6thrust23THRUST_200600_302600_NS6detail15normal_iteratorINSA_10device_ptrIjEEEEPS6_NSA_18transform_iteratorINSB_9not_fun_tI7is_trueIjEEENSC_INSD_IbEEEENSA_11use_defaultESO_EENS0_5tupleIJSF_S6_EEENSQ_IJSG_SG_EEES6_PlJS6_EEE10hipError_tPvRmT3_T4_T5_T6_T7_T9_mT8_P12ihipStream_tbDpT10_ENKUlT_T0_E_clISt17integral_constantIbLb0EES1C_IbLb1EEEEDaS18_S19_EUlS18_E_NS1_11comp_targetILNS1_3genE3ELNS1_11target_archE908ELNS1_3gpuE7ELNS1_3repE0EEENS1_30default_config_static_selectorELNS0_4arch9wavefront6targetE0EEEvT1_,@function
_ZN7rocprim17ROCPRIM_400000_NS6detail17trampoline_kernelINS0_14default_configENS1_25partition_config_selectorILNS1_17partition_subalgoE5EjNS0_10empty_typeEbEEZZNS1_14partition_implILS5_5ELb0ES3_mN6thrust23THRUST_200600_302600_NS6detail15normal_iteratorINSA_10device_ptrIjEEEEPS6_NSA_18transform_iteratorINSB_9not_fun_tI7is_trueIjEEENSC_INSD_IbEEEENSA_11use_defaultESO_EENS0_5tupleIJSF_S6_EEENSQ_IJSG_SG_EEES6_PlJS6_EEE10hipError_tPvRmT3_T4_T5_T6_T7_T9_mT8_P12ihipStream_tbDpT10_ENKUlT_T0_E_clISt17integral_constantIbLb0EES1C_IbLb1EEEEDaS18_S19_EUlS18_E_NS1_11comp_targetILNS1_3genE3ELNS1_11target_archE908ELNS1_3gpuE7ELNS1_3repE0EEENS1_30default_config_static_selectorELNS0_4arch9wavefront6targetE0EEEvT1_: ; @_ZN7rocprim17ROCPRIM_400000_NS6detail17trampoline_kernelINS0_14default_configENS1_25partition_config_selectorILNS1_17partition_subalgoE5EjNS0_10empty_typeEbEEZZNS1_14partition_implILS5_5ELb0ES3_mN6thrust23THRUST_200600_302600_NS6detail15normal_iteratorINSA_10device_ptrIjEEEEPS6_NSA_18transform_iteratorINSB_9not_fun_tI7is_trueIjEEENSC_INSD_IbEEEENSA_11use_defaultESO_EENS0_5tupleIJSF_S6_EEENSQ_IJSG_SG_EEES6_PlJS6_EEE10hipError_tPvRmT3_T4_T5_T6_T7_T9_mT8_P12ihipStream_tbDpT10_ENKUlT_T0_E_clISt17integral_constantIbLb0EES1C_IbLb1EEEEDaS18_S19_EUlS18_E_NS1_11comp_targetILNS1_3genE3ELNS1_11target_archE908ELNS1_3gpuE7ELNS1_3repE0EEENS1_30default_config_static_selectorELNS0_4arch9wavefront6targetE0EEEvT1_
; %bb.0:
	.section	.rodata,"a",@progbits
	.p2align	6, 0x0
	.amdhsa_kernel _ZN7rocprim17ROCPRIM_400000_NS6detail17trampoline_kernelINS0_14default_configENS1_25partition_config_selectorILNS1_17partition_subalgoE5EjNS0_10empty_typeEbEEZZNS1_14partition_implILS5_5ELb0ES3_mN6thrust23THRUST_200600_302600_NS6detail15normal_iteratorINSA_10device_ptrIjEEEEPS6_NSA_18transform_iteratorINSB_9not_fun_tI7is_trueIjEEENSC_INSD_IbEEEENSA_11use_defaultESO_EENS0_5tupleIJSF_S6_EEENSQ_IJSG_SG_EEES6_PlJS6_EEE10hipError_tPvRmT3_T4_T5_T6_T7_T9_mT8_P12ihipStream_tbDpT10_ENKUlT_T0_E_clISt17integral_constantIbLb0EES1C_IbLb1EEEEDaS18_S19_EUlS18_E_NS1_11comp_targetILNS1_3genE3ELNS1_11target_archE908ELNS1_3gpuE7ELNS1_3repE0EEENS1_30default_config_static_selectorELNS0_4arch9wavefront6targetE0EEEvT1_
		.amdhsa_group_segment_fixed_size 0
		.amdhsa_private_segment_fixed_size 0
		.amdhsa_kernarg_size 136
		.amdhsa_user_sgpr_count 2
		.amdhsa_user_sgpr_dispatch_ptr 0
		.amdhsa_user_sgpr_queue_ptr 0
		.amdhsa_user_sgpr_kernarg_segment_ptr 1
		.amdhsa_user_sgpr_dispatch_id 0
		.amdhsa_user_sgpr_private_segment_size 0
		.amdhsa_wavefront_size32 1
		.amdhsa_uses_dynamic_stack 0
		.amdhsa_enable_private_segment 0
		.amdhsa_system_sgpr_workgroup_id_x 1
		.amdhsa_system_sgpr_workgroup_id_y 0
		.amdhsa_system_sgpr_workgroup_id_z 0
		.amdhsa_system_sgpr_workgroup_info 0
		.amdhsa_system_vgpr_workitem_id 0
		.amdhsa_next_free_vgpr 1
		.amdhsa_next_free_sgpr 1
		.amdhsa_reserve_vcc 0
		.amdhsa_float_round_mode_32 0
		.amdhsa_float_round_mode_16_64 0
		.amdhsa_float_denorm_mode_32 3
		.amdhsa_float_denorm_mode_16_64 3
		.amdhsa_fp16_overflow 0
		.amdhsa_workgroup_processor_mode 1
		.amdhsa_memory_ordered 1
		.amdhsa_forward_progress 1
		.amdhsa_inst_pref_size 0
		.amdhsa_round_robin_scheduling 0
		.amdhsa_exception_fp_ieee_invalid_op 0
		.amdhsa_exception_fp_denorm_src 0
		.amdhsa_exception_fp_ieee_div_zero 0
		.amdhsa_exception_fp_ieee_overflow 0
		.amdhsa_exception_fp_ieee_underflow 0
		.amdhsa_exception_fp_ieee_inexact 0
		.amdhsa_exception_int_div_zero 0
	.end_amdhsa_kernel
	.section	.text._ZN7rocprim17ROCPRIM_400000_NS6detail17trampoline_kernelINS0_14default_configENS1_25partition_config_selectorILNS1_17partition_subalgoE5EjNS0_10empty_typeEbEEZZNS1_14partition_implILS5_5ELb0ES3_mN6thrust23THRUST_200600_302600_NS6detail15normal_iteratorINSA_10device_ptrIjEEEEPS6_NSA_18transform_iteratorINSB_9not_fun_tI7is_trueIjEEENSC_INSD_IbEEEENSA_11use_defaultESO_EENS0_5tupleIJSF_S6_EEENSQ_IJSG_SG_EEES6_PlJS6_EEE10hipError_tPvRmT3_T4_T5_T6_T7_T9_mT8_P12ihipStream_tbDpT10_ENKUlT_T0_E_clISt17integral_constantIbLb0EES1C_IbLb1EEEEDaS18_S19_EUlS18_E_NS1_11comp_targetILNS1_3genE3ELNS1_11target_archE908ELNS1_3gpuE7ELNS1_3repE0EEENS1_30default_config_static_selectorELNS0_4arch9wavefront6targetE0EEEvT1_,"axG",@progbits,_ZN7rocprim17ROCPRIM_400000_NS6detail17trampoline_kernelINS0_14default_configENS1_25partition_config_selectorILNS1_17partition_subalgoE5EjNS0_10empty_typeEbEEZZNS1_14partition_implILS5_5ELb0ES3_mN6thrust23THRUST_200600_302600_NS6detail15normal_iteratorINSA_10device_ptrIjEEEEPS6_NSA_18transform_iteratorINSB_9not_fun_tI7is_trueIjEEENSC_INSD_IbEEEENSA_11use_defaultESO_EENS0_5tupleIJSF_S6_EEENSQ_IJSG_SG_EEES6_PlJS6_EEE10hipError_tPvRmT3_T4_T5_T6_T7_T9_mT8_P12ihipStream_tbDpT10_ENKUlT_T0_E_clISt17integral_constantIbLb0EES1C_IbLb1EEEEDaS18_S19_EUlS18_E_NS1_11comp_targetILNS1_3genE3ELNS1_11target_archE908ELNS1_3gpuE7ELNS1_3repE0EEENS1_30default_config_static_selectorELNS0_4arch9wavefront6targetE0EEEvT1_,comdat
.Lfunc_end2456:
	.size	_ZN7rocprim17ROCPRIM_400000_NS6detail17trampoline_kernelINS0_14default_configENS1_25partition_config_selectorILNS1_17partition_subalgoE5EjNS0_10empty_typeEbEEZZNS1_14partition_implILS5_5ELb0ES3_mN6thrust23THRUST_200600_302600_NS6detail15normal_iteratorINSA_10device_ptrIjEEEEPS6_NSA_18transform_iteratorINSB_9not_fun_tI7is_trueIjEEENSC_INSD_IbEEEENSA_11use_defaultESO_EENS0_5tupleIJSF_S6_EEENSQ_IJSG_SG_EEES6_PlJS6_EEE10hipError_tPvRmT3_T4_T5_T6_T7_T9_mT8_P12ihipStream_tbDpT10_ENKUlT_T0_E_clISt17integral_constantIbLb0EES1C_IbLb1EEEEDaS18_S19_EUlS18_E_NS1_11comp_targetILNS1_3genE3ELNS1_11target_archE908ELNS1_3gpuE7ELNS1_3repE0EEENS1_30default_config_static_selectorELNS0_4arch9wavefront6targetE0EEEvT1_, .Lfunc_end2456-_ZN7rocprim17ROCPRIM_400000_NS6detail17trampoline_kernelINS0_14default_configENS1_25partition_config_selectorILNS1_17partition_subalgoE5EjNS0_10empty_typeEbEEZZNS1_14partition_implILS5_5ELb0ES3_mN6thrust23THRUST_200600_302600_NS6detail15normal_iteratorINSA_10device_ptrIjEEEEPS6_NSA_18transform_iteratorINSB_9not_fun_tI7is_trueIjEEENSC_INSD_IbEEEENSA_11use_defaultESO_EENS0_5tupleIJSF_S6_EEENSQ_IJSG_SG_EEES6_PlJS6_EEE10hipError_tPvRmT3_T4_T5_T6_T7_T9_mT8_P12ihipStream_tbDpT10_ENKUlT_T0_E_clISt17integral_constantIbLb0EES1C_IbLb1EEEEDaS18_S19_EUlS18_E_NS1_11comp_targetILNS1_3genE3ELNS1_11target_archE908ELNS1_3gpuE7ELNS1_3repE0EEENS1_30default_config_static_selectorELNS0_4arch9wavefront6targetE0EEEvT1_
                                        ; -- End function
	.set _ZN7rocprim17ROCPRIM_400000_NS6detail17trampoline_kernelINS0_14default_configENS1_25partition_config_selectorILNS1_17partition_subalgoE5EjNS0_10empty_typeEbEEZZNS1_14partition_implILS5_5ELb0ES3_mN6thrust23THRUST_200600_302600_NS6detail15normal_iteratorINSA_10device_ptrIjEEEEPS6_NSA_18transform_iteratorINSB_9not_fun_tI7is_trueIjEEENSC_INSD_IbEEEENSA_11use_defaultESO_EENS0_5tupleIJSF_S6_EEENSQ_IJSG_SG_EEES6_PlJS6_EEE10hipError_tPvRmT3_T4_T5_T6_T7_T9_mT8_P12ihipStream_tbDpT10_ENKUlT_T0_E_clISt17integral_constantIbLb0EES1C_IbLb1EEEEDaS18_S19_EUlS18_E_NS1_11comp_targetILNS1_3genE3ELNS1_11target_archE908ELNS1_3gpuE7ELNS1_3repE0EEENS1_30default_config_static_selectorELNS0_4arch9wavefront6targetE0EEEvT1_.num_vgpr, 0
	.set _ZN7rocprim17ROCPRIM_400000_NS6detail17trampoline_kernelINS0_14default_configENS1_25partition_config_selectorILNS1_17partition_subalgoE5EjNS0_10empty_typeEbEEZZNS1_14partition_implILS5_5ELb0ES3_mN6thrust23THRUST_200600_302600_NS6detail15normal_iteratorINSA_10device_ptrIjEEEEPS6_NSA_18transform_iteratorINSB_9not_fun_tI7is_trueIjEEENSC_INSD_IbEEEENSA_11use_defaultESO_EENS0_5tupleIJSF_S6_EEENSQ_IJSG_SG_EEES6_PlJS6_EEE10hipError_tPvRmT3_T4_T5_T6_T7_T9_mT8_P12ihipStream_tbDpT10_ENKUlT_T0_E_clISt17integral_constantIbLb0EES1C_IbLb1EEEEDaS18_S19_EUlS18_E_NS1_11comp_targetILNS1_3genE3ELNS1_11target_archE908ELNS1_3gpuE7ELNS1_3repE0EEENS1_30default_config_static_selectorELNS0_4arch9wavefront6targetE0EEEvT1_.num_agpr, 0
	.set _ZN7rocprim17ROCPRIM_400000_NS6detail17trampoline_kernelINS0_14default_configENS1_25partition_config_selectorILNS1_17partition_subalgoE5EjNS0_10empty_typeEbEEZZNS1_14partition_implILS5_5ELb0ES3_mN6thrust23THRUST_200600_302600_NS6detail15normal_iteratorINSA_10device_ptrIjEEEEPS6_NSA_18transform_iteratorINSB_9not_fun_tI7is_trueIjEEENSC_INSD_IbEEEENSA_11use_defaultESO_EENS0_5tupleIJSF_S6_EEENSQ_IJSG_SG_EEES6_PlJS6_EEE10hipError_tPvRmT3_T4_T5_T6_T7_T9_mT8_P12ihipStream_tbDpT10_ENKUlT_T0_E_clISt17integral_constantIbLb0EES1C_IbLb1EEEEDaS18_S19_EUlS18_E_NS1_11comp_targetILNS1_3genE3ELNS1_11target_archE908ELNS1_3gpuE7ELNS1_3repE0EEENS1_30default_config_static_selectorELNS0_4arch9wavefront6targetE0EEEvT1_.numbered_sgpr, 0
	.set _ZN7rocprim17ROCPRIM_400000_NS6detail17trampoline_kernelINS0_14default_configENS1_25partition_config_selectorILNS1_17partition_subalgoE5EjNS0_10empty_typeEbEEZZNS1_14partition_implILS5_5ELb0ES3_mN6thrust23THRUST_200600_302600_NS6detail15normal_iteratorINSA_10device_ptrIjEEEEPS6_NSA_18transform_iteratorINSB_9not_fun_tI7is_trueIjEEENSC_INSD_IbEEEENSA_11use_defaultESO_EENS0_5tupleIJSF_S6_EEENSQ_IJSG_SG_EEES6_PlJS6_EEE10hipError_tPvRmT3_T4_T5_T6_T7_T9_mT8_P12ihipStream_tbDpT10_ENKUlT_T0_E_clISt17integral_constantIbLb0EES1C_IbLb1EEEEDaS18_S19_EUlS18_E_NS1_11comp_targetILNS1_3genE3ELNS1_11target_archE908ELNS1_3gpuE7ELNS1_3repE0EEENS1_30default_config_static_selectorELNS0_4arch9wavefront6targetE0EEEvT1_.num_named_barrier, 0
	.set _ZN7rocprim17ROCPRIM_400000_NS6detail17trampoline_kernelINS0_14default_configENS1_25partition_config_selectorILNS1_17partition_subalgoE5EjNS0_10empty_typeEbEEZZNS1_14partition_implILS5_5ELb0ES3_mN6thrust23THRUST_200600_302600_NS6detail15normal_iteratorINSA_10device_ptrIjEEEEPS6_NSA_18transform_iteratorINSB_9not_fun_tI7is_trueIjEEENSC_INSD_IbEEEENSA_11use_defaultESO_EENS0_5tupleIJSF_S6_EEENSQ_IJSG_SG_EEES6_PlJS6_EEE10hipError_tPvRmT3_T4_T5_T6_T7_T9_mT8_P12ihipStream_tbDpT10_ENKUlT_T0_E_clISt17integral_constantIbLb0EES1C_IbLb1EEEEDaS18_S19_EUlS18_E_NS1_11comp_targetILNS1_3genE3ELNS1_11target_archE908ELNS1_3gpuE7ELNS1_3repE0EEENS1_30default_config_static_selectorELNS0_4arch9wavefront6targetE0EEEvT1_.private_seg_size, 0
	.set _ZN7rocprim17ROCPRIM_400000_NS6detail17trampoline_kernelINS0_14default_configENS1_25partition_config_selectorILNS1_17partition_subalgoE5EjNS0_10empty_typeEbEEZZNS1_14partition_implILS5_5ELb0ES3_mN6thrust23THRUST_200600_302600_NS6detail15normal_iteratorINSA_10device_ptrIjEEEEPS6_NSA_18transform_iteratorINSB_9not_fun_tI7is_trueIjEEENSC_INSD_IbEEEENSA_11use_defaultESO_EENS0_5tupleIJSF_S6_EEENSQ_IJSG_SG_EEES6_PlJS6_EEE10hipError_tPvRmT3_T4_T5_T6_T7_T9_mT8_P12ihipStream_tbDpT10_ENKUlT_T0_E_clISt17integral_constantIbLb0EES1C_IbLb1EEEEDaS18_S19_EUlS18_E_NS1_11comp_targetILNS1_3genE3ELNS1_11target_archE908ELNS1_3gpuE7ELNS1_3repE0EEENS1_30default_config_static_selectorELNS0_4arch9wavefront6targetE0EEEvT1_.uses_vcc, 0
	.set _ZN7rocprim17ROCPRIM_400000_NS6detail17trampoline_kernelINS0_14default_configENS1_25partition_config_selectorILNS1_17partition_subalgoE5EjNS0_10empty_typeEbEEZZNS1_14partition_implILS5_5ELb0ES3_mN6thrust23THRUST_200600_302600_NS6detail15normal_iteratorINSA_10device_ptrIjEEEEPS6_NSA_18transform_iteratorINSB_9not_fun_tI7is_trueIjEEENSC_INSD_IbEEEENSA_11use_defaultESO_EENS0_5tupleIJSF_S6_EEENSQ_IJSG_SG_EEES6_PlJS6_EEE10hipError_tPvRmT3_T4_T5_T6_T7_T9_mT8_P12ihipStream_tbDpT10_ENKUlT_T0_E_clISt17integral_constantIbLb0EES1C_IbLb1EEEEDaS18_S19_EUlS18_E_NS1_11comp_targetILNS1_3genE3ELNS1_11target_archE908ELNS1_3gpuE7ELNS1_3repE0EEENS1_30default_config_static_selectorELNS0_4arch9wavefront6targetE0EEEvT1_.uses_flat_scratch, 0
	.set _ZN7rocprim17ROCPRIM_400000_NS6detail17trampoline_kernelINS0_14default_configENS1_25partition_config_selectorILNS1_17partition_subalgoE5EjNS0_10empty_typeEbEEZZNS1_14partition_implILS5_5ELb0ES3_mN6thrust23THRUST_200600_302600_NS6detail15normal_iteratorINSA_10device_ptrIjEEEEPS6_NSA_18transform_iteratorINSB_9not_fun_tI7is_trueIjEEENSC_INSD_IbEEEENSA_11use_defaultESO_EENS0_5tupleIJSF_S6_EEENSQ_IJSG_SG_EEES6_PlJS6_EEE10hipError_tPvRmT3_T4_T5_T6_T7_T9_mT8_P12ihipStream_tbDpT10_ENKUlT_T0_E_clISt17integral_constantIbLb0EES1C_IbLb1EEEEDaS18_S19_EUlS18_E_NS1_11comp_targetILNS1_3genE3ELNS1_11target_archE908ELNS1_3gpuE7ELNS1_3repE0EEENS1_30default_config_static_selectorELNS0_4arch9wavefront6targetE0EEEvT1_.has_dyn_sized_stack, 0
	.set _ZN7rocprim17ROCPRIM_400000_NS6detail17trampoline_kernelINS0_14default_configENS1_25partition_config_selectorILNS1_17partition_subalgoE5EjNS0_10empty_typeEbEEZZNS1_14partition_implILS5_5ELb0ES3_mN6thrust23THRUST_200600_302600_NS6detail15normal_iteratorINSA_10device_ptrIjEEEEPS6_NSA_18transform_iteratorINSB_9not_fun_tI7is_trueIjEEENSC_INSD_IbEEEENSA_11use_defaultESO_EENS0_5tupleIJSF_S6_EEENSQ_IJSG_SG_EEES6_PlJS6_EEE10hipError_tPvRmT3_T4_T5_T6_T7_T9_mT8_P12ihipStream_tbDpT10_ENKUlT_T0_E_clISt17integral_constantIbLb0EES1C_IbLb1EEEEDaS18_S19_EUlS18_E_NS1_11comp_targetILNS1_3genE3ELNS1_11target_archE908ELNS1_3gpuE7ELNS1_3repE0EEENS1_30default_config_static_selectorELNS0_4arch9wavefront6targetE0EEEvT1_.has_recursion, 0
	.set _ZN7rocprim17ROCPRIM_400000_NS6detail17trampoline_kernelINS0_14default_configENS1_25partition_config_selectorILNS1_17partition_subalgoE5EjNS0_10empty_typeEbEEZZNS1_14partition_implILS5_5ELb0ES3_mN6thrust23THRUST_200600_302600_NS6detail15normal_iteratorINSA_10device_ptrIjEEEEPS6_NSA_18transform_iteratorINSB_9not_fun_tI7is_trueIjEEENSC_INSD_IbEEEENSA_11use_defaultESO_EENS0_5tupleIJSF_S6_EEENSQ_IJSG_SG_EEES6_PlJS6_EEE10hipError_tPvRmT3_T4_T5_T6_T7_T9_mT8_P12ihipStream_tbDpT10_ENKUlT_T0_E_clISt17integral_constantIbLb0EES1C_IbLb1EEEEDaS18_S19_EUlS18_E_NS1_11comp_targetILNS1_3genE3ELNS1_11target_archE908ELNS1_3gpuE7ELNS1_3repE0EEENS1_30default_config_static_selectorELNS0_4arch9wavefront6targetE0EEEvT1_.has_indirect_call, 0
	.section	.AMDGPU.csdata,"",@progbits
; Kernel info:
; codeLenInByte = 0
; TotalNumSgprs: 0
; NumVgprs: 0
; ScratchSize: 0
; MemoryBound: 0
; FloatMode: 240
; IeeeMode: 1
; LDSByteSize: 0 bytes/workgroup (compile time only)
; SGPRBlocks: 0
; VGPRBlocks: 0
; NumSGPRsForWavesPerEU: 1
; NumVGPRsForWavesPerEU: 1
; Occupancy: 16
; WaveLimiterHint : 0
; COMPUTE_PGM_RSRC2:SCRATCH_EN: 0
; COMPUTE_PGM_RSRC2:USER_SGPR: 2
; COMPUTE_PGM_RSRC2:TRAP_HANDLER: 0
; COMPUTE_PGM_RSRC2:TGID_X_EN: 1
; COMPUTE_PGM_RSRC2:TGID_Y_EN: 0
; COMPUTE_PGM_RSRC2:TGID_Z_EN: 0
; COMPUTE_PGM_RSRC2:TIDIG_COMP_CNT: 0
	.section	.text._ZN7rocprim17ROCPRIM_400000_NS6detail17trampoline_kernelINS0_14default_configENS1_25partition_config_selectorILNS1_17partition_subalgoE5EjNS0_10empty_typeEbEEZZNS1_14partition_implILS5_5ELb0ES3_mN6thrust23THRUST_200600_302600_NS6detail15normal_iteratorINSA_10device_ptrIjEEEEPS6_NSA_18transform_iteratorINSB_9not_fun_tI7is_trueIjEEENSC_INSD_IbEEEENSA_11use_defaultESO_EENS0_5tupleIJSF_S6_EEENSQ_IJSG_SG_EEES6_PlJS6_EEE10hipError_tPvRmT3_T4_T5_T6_T7_T9_mT8_P12ihipStream_tbDpT10_ENKUlT_T0_E_clISt17integral_constantIbLb0EES1C_IbLb1EEEEDaS18_S19_EUlS18_E_NS1_11comp_targetILNS1_3genE2ELNS1_11target_archE906ELNS1_3gpuE6ELNS1_3repE0EEENS1_30default_config_static_selectorELNS0_4arch9wavefront6targetE0EEEvT1_,"axG",@progbits,_ZN7rocprim17ROCPRIM_400000_NS6detail17trampoline_kernelINS0_14default_configENS1_25partition_config_selectorILNS1_17partition_subalgoE5EjNS0_10empty_typeEbEEZZNS1_14partition_implILS5_5ELb0ES3_mN6thrust23THRUST_200600_302600_NS6detail15normal_iteratorINSA_10device_ptrIjEEEEPS6_NSA_18transform_iteratorINSB_9not_fun_tI7is_trueIjEEENSC_INSD_IbEEEENSA_11use_defaultESO_EENS0_5tupleIJSF_S6_EEENSQ_IJSG_SG_EEES6_PlJS6_EEE10hipError_tPvRmT3_T4_T5_T6_T7_T9_mT8_P12ihipStream_tbDpT10_ENKUlT_T0_E_clISt17integral_constantIbLb0EES1C_IbLb1EEEEDaS18_S19_EUlS18_E_NS1_11comp_targetILNS1_3genE2ELNS1_11target_archE906ELNS1_3gpuE6ELNS1_3repE0EEENS1_30default_config_static_selectorELNS0_4arch9wavefront6targetE0EEEvT1_,comdat
	.protected	_ZN7rocprim17ROCPRIM_400000_NS6detail17trampoline_kernelINS0_14default_configENS1_25partition_config_selectorILNS1_17partition_subalgoE5EjNS0_10empty_typeEbEEZZNS1_14partition_implILS5_5ELb0ES3_mN6thrust23THRUST_200600_302600_NS6detail15normal_iteratorINSA_10device_ptrIjEEEEPS6_NSA_18transform_iteratorINSB_9not_fun_tI7is_trueIjEEENSC_INSD_IbEEEENSA_11use_defaultESO_EENS0_5tupleIJSF_S6_EEENSQ_IJSG_SG_EEES6_PlJS6_EEE10hipError_tPvRmT3_T4_T5_T6_T7_T9_mT8_P12ihipStream_tbDpT10_ENKUlT_T0_E_clISt17integral_constantIbLb0EES1C_IbLb1EEEEDaS18_S19_EUlS18_E_NS1_11comp_targetILNS1_3genE2ELNS1_11target_archE906ELNS1_3gpuE6ELNS1_3repE0EEENS1_30default_config_static_selectorELNS0_4arch9wavefront6targetE0EEEvT1_ ; -- Begin function _ZN7rocprim17ROCPRIM_400000_NS6detail17trampoline_kernelINS0_14default_configENS1_25partition_config_selectorILNS1_17partition_subalgoE5EjNS0_10empty_typeEbEEZZNS1_14partition_implILS5_5ELb0ES3_mN6thrust23THRUST_200600_302600_NS6detail15normal_iteratorINSA_10device_ptrIjEEEEPS6_NSA_18transform_iteratorINSB_9not_fun_tI7is_trueIjEEENSC_INSD_IbEEEENSA_11use_defaultESO_EENS0_5tupleIJSF_S6_EEENSQ_IJSG_SG_EEES6_PlJS6_EEE10hipError_tPvRmT3_T4_T5_T6_T7_T9_mT8_P12ihipStream_tbDpT10_ENKUlT_T0_E_clISt17integral_constantIbLb0EES1C_IbLb1EEEEDaS18_S19_EUlS18_E_NS1_11comp_targetILNS1_3genE2ELNS1_11target_archE906ELNS1_3gpuE6ELNS1_3repE0EEENS1_30default_config_static_selectorELNS0_4arch9wavefront6targetE0EEEvT1_
	.globl	_ZN7rocprim17ROCPRIM_400000_NS6detail17trampoline_kernelINS0_14default_configENS1_25partition_config_selectorILNS1_17partition_subalgoE5EjNS0_10empty_typeEbEEZZNS1_14partition_implILS5_5ELb0ES3_mN6thrust23THRUST_200600_302600_NS6detail15normal_iteratorINSA_10device_ptrIjEEEEPS6_NSA_18transform_iteratorINSB_9not_fun_tI7is_trueIjEEENSC_INSD_IbEEEENSA_11use_defaultESO_EENS0_5tupleIJSF_S6_EEENSQ_IJSG_SG_EEES6_PlJS6_EEE10hipError_tPvRmT3_T4_T5_T6_T7_T9_mT8_P12ihipStream_tbDpT10_ENKUlT_T0_E_clISt17integral_constantIbLb0EES1C_IbLb1EEEEDaS18_S19_EUlS18_E_NS1_11comp_targetILNS1_3genE2ELNS1_11target_archE906ELNS1_3gpuE6ELNS1_3repE0EEENS1_30default_config_static_selectorELNS0_4arch9wavefront6targetE0EEEvT1_
	.p2align	8
	.type	_ZN7rocprim17ROCPRIM_400000_NS6detail17trampoline_kernelINS0_14default_configENS1_25partition_config_selectorILNS1_17partition_subalgoE5EjNS0_10empty_typeEbEEZZNS1_14partition_implILS5_5ELb0ES3_mN6thrust23THRUST_200600_302600_NS6detail15normal_iteratorINSA_10device_ptrIjEEEEPS6_NSA_18transform_iteratorINSB_9not_fun_tI7is_trueIjEEENSC_INSD_IbEEEENSA_11use_defaultESO_EENS0_5tupleIJSF_S6_EEENSQ_IJSG_SG_EEES6_PlJS6_EEE10hipError_tPvRmT3_T4_T5_T6_T7_T9_mT8_P12ihipStream_tbDpT10_ENKUlT_T0_E_clISt17integral_constantIbLb0EES1C_IbLb1EEEEDaS18_S19_EUlS18_E_NS1_11comp_targetILNS1_3genE2ELNS1_11target_archE906ELNS1_3gpuE6ELNS1_3repE0EEENS1_30default_config_static_selectorELNS0_4arch9wavefront6targetE0EEEvT1_,@function
_ZN7rocprim17ROCPRIM_400000_NS6detail17trampoline_kernelINS0_14default_configENS1_25partition_config_selectorILNS1_17partition_subalgoE5EjNS0_10empty_typeEbEEZZNS1_14partition_implILS5_5ELb0ES3_mN6thrust23THRUST_200600_302600_NS6detail15normal_iteratorINSA_10device_ptrIjEEEEPS6_NSA_18transform_iteratorINSB_9not_fun_tI7is_trueIjEEENSC_INSD_IbEEEENSA_11use_defaultESO_EENS0_5tupleIJSF_S6_EEENSQ_IJSG_SG_EEES6_PlJS6_EEE10hipError_tPvRmT3_T4_T5_T6_T7_T9_mT8_P12ihipStream_tbDpT10_ENKUlT_T0_E_clISt17integral_constantIbLb0EES1C_IbLb1EEEEDaS18_S19_EUlS18_E_NS1_11comp_targetILNS1_3genE2ELNS1_11target_archE906ELNS1_3gpuE6ELNS1_3repE0EEENS1_30default_config_static_selectorELNS0_4arch9wavefront6targetE0EEEvT1_: ; @_ZN7rocprim17ROCPRIM_400000_NS6detail17trampoline_kernelINS0_14default_configENS1_25partition_config_selectorILNS1_17partition_subalgoE5EjNS0_10empty_typeEbEEZZNS1_14partition_implILS5_5ELb0ES3_mN6thrust23THRUST_200600_302600_NS6detail15normal_iteratorINSA_10device_ptrIjEEEEPS6_NSA_18transform_iteratorINSB_9not_fun_tI7is_trueIjEEENSC_INSD_IbEEEENSA_11use_defaultESO_EENS0_5tupleIJSF_S6_EEENSQ_IJSG_SG_EEES6_PlJS6_EEE10hipError_tPvRmT3_T4_T5_T6_T7_T9_mT8_P12ihipStream_tbDpT10_ENKUlT_T0_E_clISt17integral_constantIbLb0EES1C_IbLb1EEEEDaS18_S19_EUlS18_E_NS1_11comp_targetILNS1_3genE2ELNS1_11target_archE906ELNS1_3gpuE6ELNS1_3repE0EEENS1_30default_config_static_selectorELNS0_4arch9wavefront6targetE0EEEvT1_
; %bb.0:
	.section	.rodata,"a",@progbits
	.p2align	6, 0x0
	.amdhsa_kernel _ZN7rocprim17ROCPRIM_400000_NS6detail17trampoline_kernelINS0_14default_configENS1_25partition_config_selectorILNS1_17partition_subalgoE5EjNS0_10empty_typeEbEEZZNS1_14partition_implILS5_5ELb0ES3_mN6thrust23THRUST_200600_302600_NS6detail15normal_iteratorINSA_10device_ptrIjEEEEPS6_NSA_18transform_iteratorINSB_9not_fun_tI7is_trueIjEEENSC_INSD_IbEEEENSA_11use_defaultESO_EENS0_5tupleIJSF_S6_EEENSQ_IJSG_SG_EEES6_PlJS6_EEE10hipError_tPvRmT3_T4_T5_T6_T7_T9_mT8_P12ihipStream_tbDpT10_ENKUlT_T0_E_clISt17integral_constantIbLb0EES1C_IbLb1EEEEDaS18_S19_EUlS18_E_NS1_11comp_targetILNS1_3genE2ELNS1_11target_archE906ELNS1_3gpuE6ELNS1_3repE0EEENS1_30default_config_static_selectorELNS0_4arch9wavefront6targetE0EEEvT1_
		.amdhsa_group_segment_fixed_size 0
		.amdhsa_private_segment_fixed_size 0
		.amdhsa_kernarg_size 136
		.amdhsa_user_sgpr_count 2
		.amdhsa_user_sgpr_dispatch_ptr 0
		.amdhsa_user_sgpr_queue_ptr 0
		.amdhsa_user_sgpr_kernarg_segment_ptr 1
		.amdhsa_user_sgpr_dispatch_id 0
		.amdhsa_user_sgpr_private_segment_size 0
		.amdhsa_wavefront_size32 1
		.amdhsa_uses_dynamic_stack 0
		.amdhsa_enable_private_segment 0
		.amdhsa_system_sgpr_workgroup_id_x 1
		.amdhsa_system_sgpr_workgroup_id_y 0
		.amdhsa_system_sgpr_workgroup_id_z 0
		.amdhsa_system_sgpr_workgroup_info 0
		.amdhsa_system_vgpr_workitem_id 0
		.amdhsa_next_free_vgpr 1
		.amdhsa_next_free_sgpr 1
		.amdhsa_reserve_vcc 0
		.amdhsa_float_round_mode_32 0
		.amdhsa_float_round_mode_16_64 0
		.amdhsa_float_denorm_mode_32 3
		.amdhsa_float_denorm_mode_16_64 3
		.amdhsa_fp16_overflow 0
		.amdhsa_workgroup_processor_mode 1
		.amdhsa_memory_ordered 1
		.amdhsa_forward_progress 1
		.amdhsa_inst_pref_size 0
		.amdhsa_round_robin_scheduling 0
		.amdhsa_exception_fp_ieee_invalid_op 0
		.amdhsa_exception_fp_denorm_src 0
		.amdhsa_exception_fp_ieee_div_zero 0
		.amdhsa_exception_fp_ieee_overflow 0
		.amdhsa_exception_fp_ieee_underflow 0
		.amdhsa_exception_fp_ieee_inexact 0
		.amdhsa_exception_int_div_zero 0
	.end_amdhsa_kernel
	.section	.text._ZN7rocprim17ROCPRIM_400000_NS6detail17trampoline_kernelINS0_14default_configENS1_25partition_config_selectorILNS1_17partition_subalgoE5EjNS0_10empty_typeEbEEZZNS1_14partition_implILS5_5ELb0ES3_mN6thrust23THRUST_200600_302600_NS6detail15normal_iteratorINSA_10device_ptrIjEEEEPS6_NSA_18transform_iteratorINSB_9not_fun_tI7is_trueIjEEENSC_INSD_IbEEEENSA_11use_defaultESO_EENS0_5tupleIJSF_S6_EEENSQ_IJSG_SG_EEES6_PlJS6_EEE10hipError_tPvRmT3_T4_T5_T6_T7_T9_mT8_P12ihipStream_tbDpT10_ENKUlT_T0_E_clISt17integral_constantIbLb0EES1C_IbLb1EEEEDaS18_S19_EUlS18_E_NS1_11comp_targetILNS1_3genE2ELNS1_11target_archE906ELNS1_3gpuE6ELNS1_3repE0EEENS1_30default_config_static_selectorELNS0_4arch9wavefront6targetE0EEEvT1_,"axG",@progbits,_ZN7rocprim17ROCPRIM_400000_NS6detail17trampoline_kernelINS0_14default_configENS1_25partition_config_selectorILNS1_17partition_subalgoE5EjNS0_10empty_typeEbEEZZNS1_14partition_implILS5_5ELb0ES3_mN6thrust23THRUST_200600_302600_NS6detail15normal_iteratorINSA_10device_ptrIjEEEEPS6_NSA_18transform_iteratorINSB_9not_fun_tI7is_trueIjEEENSC_INSD_IbEEEENSA_11use_defaultESO_EENS0_5tupleIJSF_S6_EEENSQ_IJSG_SG_EEES6_PlJS6_EEE10hipError_tPvRmT3_T4_T5_T6_T7_T9_mT8_P12ihipStream_tbDpT10_ENKUlT_T0_E_clISt17integral_constantIbLb0EES1C_IbLb1EEEEDaS18_S19_EUlS18_E_NS1_11comp_targetILNS1_3genE2ELNS1_11target_archE906ELNS1_3gpuE6ELNS1_3repE0EEENS1_30default_config_static_selectorELNS0_4arch9wavefront6targetE0EEEvT1_,comdat
.Lfunc_end2457:
	.size	_ZN7rocprim17ROCPRIM_400000_NS6detail17trampoline_kernelINS0_14default_configENS1_25partition_config_selectorILNS1_17partition_subalgoE5EjNS0_10empty_typeEbEEZZNS1_14partition_implILS5_5ELb0ES3_mN6thrust23THRUST_200600_302600_NS6detail15normal_iteratorINSA_10device_ptrIjEEEEPS6_NSA_18transform_iteratorINSB_9not_fun_tI7is_trueIjEEENSC_INSD_IbEEEENSA_11use_defaultESO_EENS0_5tupleIJSF_S6_EEENSQ_IJSG_SG_EEES6_PlJS6_EEE10hipError_tPvRmT3_T4_T5_T6_T7_T9_mT8_P12ihipStream_tbDpT10_ENKUlT_T0_E_clISt17integral_constantIbLb0EES1C_IbLb1EEEEDaS18_S19_EUlS18_E_NS1_11comp_targetILNS1_3genE2ELNS1_11target_archE906ELNS1_3gpuE6ELNS1_3repE0EEENS1_30default_config_static_selectorELNS0_4arch9wavefront6targetE0EEEvT1_, .Lfunc_end2457-_ZN7rocprim17ROCPRIM_400000_NS6detail17trampoline_kernelINS0_14default_configENS1_25partition_config_selectorILNS1_17partition_subalgoE5EjNS0_10empty_typeEbEEZZNS1_14partition_implILS5_5ELb0ES3_mN6thrust23THRUST_200600_302600_NS6detail15normal_iteratorINSA_10device_ptrIjEEEEPS6_NSA_18transform_iteratorINSB_9not_fun_tI7is_trueIjEEENSC_INSD_IbEEEENSA_11use_defaultESO_EENS0_5tupleIJSF_S6_EEENSQ_IJSG_SG_EEES6_PlJS6_EEE10hipError_tPvRmT3_T4_T5_T6_T7_T9_mT8_P12ihipStream_tbDpT10_ENKUlT_T0_E_clISt17integral_constantIbLb0EES1C_IbLb1EEEEDaS18_S19_EUlS18_E_NS1_11comp_targetILNS1_3genE2ELNS1_11target_archE906ELNS1_3gpuE6ELNS1_3repE0EEENS1_30default_config_static_selectorELNS0_4arch9wavefront6targetE0EEEvT1_
                                        ; -- End function
	.set _ZN7rocprim17ROCPRIM_400000_NS6detail17trampoline_kernelINS0_14default_configENS1_25partition_config_selectorILNS1_17partition_subalgoE5EjNS0_10empty_typeEbEEZZNS1_14partition_implILS5_5ELb0ES3_mN6thrust23THRUST_200600_302600_NS6detail15normal_iteratorINSA_10device_ptrIjEEEEPS6_NSA_18transform_iteratorINSB_9not_fun_tI7is_trueIjEEENSC_INSD_IbEEEENSA_11use_defaultESO_EENS0_5tupleIJSF_S6_EEENSQ_IJSG_SG_EEES6_PlJS6_EEE10hipError_tPvRmT3_T4_T5_T6_T7_T9_mT8_P12ihipStream_tbDpT10_ENKUlT_T0_E_clISt17integral_constantIbLb0EES1C_IbLb1EEEEDaS18_S19_EUlS18_E_NS1_11comp_targetILNS1_3genE2ELNS1_11target_archE906ELNS1_3gpuE6ELNS1_3repE0EEENS1_30default_config_static_selectorELNS0_4arch9wavefront6targetE0EEEvT1_.num_vgpr, 0
	.set _ZN7rocprim17ROCPRIM_400000_NS6detail17trampoline_kernelINS0_14default_configENS1_25partition_config_selectorILNS1_17partition_subalgoE5EjNS0_10empty_typeEbEEZZNS1_14partition_implILS5_5ELb0ES3_mN6thrust23THRUST_200600_302600_NS6detail15normal_iteratorINSA_10device_ptrIjEEEEPS6_NSA_18transform_iteratorINSB_9not_fun_tI7is_trueIjEEENSC_INSD_IbEEEENSA_11use_defaultESO_EENS0_5tupleIJSF_S6_EEENSQ_IJSG_SG_EEES6_PlJS6_EEE10hipError_tPvRmT3_T4_T5_T6_T7_T9_mT8_P12ihipStream_tbDpT10_ENKUlT_T0_E_clISt17integral_constantIbLb0EES1C_IbLb1EEEEDaS18_S19_EUlS18_E_NS1_11comp_targetILNS1_3genE2ELNS1_11target_archE906ELNS1_3gpuE6ELNS1_3repE0EEENS1_30default_config_static_selectorELNS0_4arch9wavefront6targetE0EEEvT1_.num_agpr, 0
	.set _ZN7rocprim17ROCPRIM_400000_NS6detail17trampoline_kernelINS0_14default_configENS1_25partition_config_selectorILNS1_17partition_subalgoE5EjNS0_10empty_typeEbEEZZNS1_14partition_implILS5_5ELb0ES3_mN6thrust23THRUST_200600_302600_NS6detail15normal_iteratorINSA_10device_ptrIjEEEEPS6_NSA_18transform_iteratorINSB_9not_fun_tI7is_trueIjEEENSC_INSD_IbEEEENSA_11use_defaultESO_EENS0_5tupleIJSF_S6_EEENSQ_IJSG_SG_EEES6_PlJS6_EEE10hipError_tPvRmT3_T4_T5_T6_T7_T9_mT8_P12ihipStream_tbDpT10_ENKUlT_T0_E_clISt17integral_constantIbLb0EES1C_IbLb1EEEEDaS18_S19_EUlS18_E_NS1_11comp_targetILNS1_3genE2ELNS1_11target_archE906ELNS1_3gpuE6ELNS1_3repE0EEENS1_30default_config_static_selectorELNS0_4arch9wavefront6targetE0EEEvT1_.numbered_sgpr, 0
	.set _ZN7rocprim17ROCPRIM_400000_NS6detail17trampoline_kernelINS0_14default_configENS1_25partition_config_selectorILNS1_17partition_subalgoE5EjNS0_10empty_typeEbEEZZNS1_14partition_implILS5_5ELb0ES3_mN6thrust23THRUST_200600_302600_NS6detail15normal_iteratorINSA_10device_ptrIjEEEEPS6_NSA_18transform_iteratorINSB_9not_fun_tI7is_trueIjEEENSC_INSD_IbEEEENSA_11use_defaultESO_EENS0_5tupleIJSF_S6_EEENSQ_IJSG_SG_EEES6_PlJS6_EEE10hipError_tPvRmT3_T4_T5_T6_T7_T9_mT8_P12ihipStream_tbDpT10_ENKUlT_T0_E_clISt17integral_constantIbLb0EES1C_IbLb1EEEEDaS18_S19_EUlS18_E_NS1_11comp_targetILNS1_3genE2ELNS1_11target_archE906ELNS1_3gpuE6ELNS1_3repE0EEENS1_30default_config_static_selectorELNS0_4arch9wavefront6targetE0EEEvT1_.num_named_barrier, 0
	.set _ZN7rocprim17ROCPRIM_400000_NS6detail17trampoline_kernelINS0_14default_configENS1_25partition_config_selectorILNS1_17partition_subalgoE5EjNS0_10empty_typeEbEEZZNS1_14partition_implILS5_5ELb0ES3_mN6thrust23THRUST_200600_302600_NS6detail15normal_iteratorINSA_10device_ptrIjEEEEPS6_NSA_18transform_iteratorINSB_9not_fun_tI7is_trueIjEEENSC_INSD_IbEEEENSA_11use_defaultESO_EENS0_5tupleIJSF_S6_EEENSQ_IJSG_SG_EEES6_PlJS6_EEE10hipError_tPvRmT3_T4_T5_T6_T7_T9_mT8_P12ihipStream_tbDpT10_ENKUlT_T0_E_clISt17integral_constantIbLb0EES1C_IbLb1EEEEDaS18_S19_EUlS18_E_NS1_11comp_targetILNS1_3genE2ELNS1_11target_archE906ELNS1_3gpuE6ELNS1_3repE0EEENS1_30default_config_static_selectorELNS0_4arch9wavefront6targetE0EEEvT1_.private_seg_size, 0
	.set _ZN7rocprim17ROCPRIM_400000_NS6detail17trampoline_kernelINS0_14default_configENS1_25partition_config_selectorILNS1_17partition_subalgoE5EjNS0_10empty_typeEbEEZZNS1_14partition_implILS5_5ELb0ES3_mN6thrust23THRUST_200600_302600_NS6detail15normal_iteratorINSA_10device_ptrIjEEEEPS6_NSA_18transform_iteratorINSB_9not_fun_tI7is_trueIjEEENSC_INSD_IbEEEENSA_11use_defaultESO_EENS0_5tupleIJSF_S6_EEENSQ_IJSG_SG_EEES6_PlJS6_EEE10hipError_tPvRmT3_T4_T5_T6_T7_T9_mT8_P12ihipStream_tbDpT10_ENKUlT_T0_E_clISt17integral_constantIbLb0EES1C_IbLb1EEEEDaS18_S19_EUlS18_E_NS1_11comp_targetILNS1_3genE2ELNS1_11target_archE906ELNS1_3gpuE6ELNS1_3repE0EEENS1_30default_config_static_selectorELNS0_4arch9wavefront6targetE0EEEvT1_.uses_vcc, 0
	.set _ZN7rocprim17ROCPRIM_400000_NS6detail17trampoline_kernelINS0_14default_configENS1_25partition_config_selectorILNS1_17partition_subalgoE5EjNS0_10empty_typeEbEEZZNS1_14partition_implILS5_5ELb0ES3_mN6thrust23THRUST_200600_302600_NS6detail15normal_iteratorINSA_10device_ptrIjEEEEPS6_NSA_18transform_iteratorINSB_9not_fun_tI7is_trueIjEEENSC_INSD_IbEEEENSA_11use_defaultESO_EENS0_5tupleIJSF_S6_EEENSQ_IJSG_SG_EEES6_PlJS6_EEE10hipError_tPvRmT3_T4_T5_T6_T7_T9_mT8_P12ihipStream_tbDpT10_ENKUlT_T0_E_clISt17integral_constantIbLb0EES1C_IbLb1EEEEDaS18_S19_EUlS18_E_NS1_11comp_targetILNS1_3genE2ELNS1_11target_archE906ELNS1_3gpuE6ELNS1_3repE0EEENS1_30default_config_static_selectorELNS0_4arch9wavefront6targetE0EEEvT1_.uses_flat_scratch, 0
	.set _ZN7rocprim17ROCPRIM_400000_NS6detail17trampoline_kernelINS0_14default_configENS1_25partition_config_selectorILNS1_17partition_subalgoE5EjNS0_10empty_typeEbEEZZNS1_14partition_implILS5_5ELb0ES3_mN6thrust23THRUST_200600_302600_NS6detail15normal_iteratorINSA_10device_ptrIjEEEEPS6_NSA_18transform_iteratorINSB_9not_fun_tI7is_trueIjEEENSC_INSD_IbEEEENSA_11use_defaultESO_EENS0_5tupleIJSF_S6_EEENSQ_IJSG_SG_EEES6_PlJS6_EEE10hipError_tPvRmT3_T4_T5_T6_T7_T9_mT8_P12ihipStream_tbDpT10_ENKUlT_T0_E_clISt17integral_constantIbLb0EES1C_IbLb1EEEEDaS18_S19_EUlS18_E_NS1_11comp_targetILNS1_3genE2ELNS1_11target_archE906ELNS1_3gpuE6ELNS1_3repE0EEENS1_30default_config_static_selectorELNS0_4arch9wavefront6targetE0EEEvT1_.has_dyn_sized_stack, 0
	.set _ZN7rocprim17ROCPRIM_400000_NS6detail17trampoline_kernelINS0_14default_configENS1_25partition_config_selectorILNS1_17partition_subalgoE5EjNS0_10empty_typeEbEEZZNS1_14partition_implILS5_5ELb0ES3_mN6thrust23THRUST_200600_302600_NS6detail15normal_iteratorINSA_10device_ptrIjEEEEPS6_NSA_18transform_iteratorINSB_9not_fun_tI7is_trueIjEEENSC_INSD_IbEEEENSA_11use_defaultESO_EENS0_5tupleIJSF_S6_EEENSQ_IJSG_SG_EEES6_PlJS6_EEE10hipError_tPvRmT3_T4_T5_T6_T7_T9_mT8_P12ihipStream_tbDpT10_ENKUlT_T0_E_clISt17integral_constantIbLb0EES1C_IbLb1EEEEDaS18_S19_EUlS18_E_NS1_11comp_targetILNS1_3genE2ELNS1_11target_archE906ELNS1_3gpuE6ELNS1_3repE0EEENS1_30default_config_static_selectorELNS0_4arch9wavefront6targetE0EEEvT1_.has_recursion, 0
	.set _ZN7rocprim17ROCPRIM_400000_NS6detail17trampoline_kernelINS0_14default_configENS1_25partition_config_selectorILNS1_17partition_subalgoE5EjNS0_10empty_typeEbEEZZNS1_14partition_implILS5_5ELb0ES3_mN6thrust23THRUST_200600_302600_NS6detail15normal_iteratorINSA_10device_ptrIjEEEEPS6_NSA_18transform_iteratorINSB_9not_fun_tI7is_trueIjEEENSC_INSD_IbEEEENSA_11use_defaultESO_EENS0_5tupleIJSF_S6_EEENSQ_IJSG_SG_EEES6_PlJS6_EEE10hipError_tPvRmT3_T4_T5_T6_T7_T9_mT8_P12ihipStream_tbDpT10_ENKUlT_T0_E_clISt17integral_constantIbLb0EES1C_IbLb1EEEEDaS18_S19_EUlS18_E_NS1_11comp_targetILNS1_3genE2ELNS1_11target_archE906ELNS1_3gpuE6ELNS1_3repE0EEENS1_30default_config_static_selectorELNS0_4arch9wavefront6targetE0EEEvT1_.has_indirect_call, 0
	.section	.AMDGPU.csdata,"",@progbits
; Kernel info:
; codeLenInByte = 0
; TotalNumSgprs: 0
; NumVgprs: 0
; ScratchSize: 0
; MemoryBound: 0
; FloatMode: 240
; IeeeMode: 1
; LDSByteSize: 0 bytes/workgroup (compile time only)
; SGPRBlocks: 0
; VGPRBlocks: 0
; NumSGPRsForWavesPerEU: 1
; NumVGPRsForWavesPerEU: 1
; Occupancy: 16
; WaveLimiterHint : 0
; COMPUTE_PGM_RSRC2:SCRATCH_EN: 0
; COMPUTE_PGM_RSRC2:USER_SGPR: 2
; COMPUTE_PGM_RSRC2:TRAP_HANDLER: 0
; COMPUTE_PGM_RSRC2:TGID_X_EN: 1
; COMPUTE_PGM_RSRC2:TGID_Y_EN: 0
; COMPUTE_PGM_RSRC2:TGID_Z_EN: 0
; COMPUTE_PGM_RSRC2:TIDIG_COMP_CNT: 0
	.section	.text._ZN7rocprim17ROCPRIM_400000_NS6detail17trampoline_kernelINS0_14default_configENS1_25partition_config_selectorILNS1_17partition_subalgoE5EjNS0_10empty_typeEbEEZZNS1_14partition_implILS5_5ELb0ES3_mN6thrust23THRUST_200600_302600_NS6detail15normal_iteratorINSA_10device_ptrIjEEEEPS6_NSA_18transform_iteratorINSB_9not_fun_tI7is_trueIjEEENSC_INSD_IbEEEENSA_11use_defaultESO_EENS0_5tupleIJSF_S6_EEENSQ_IJSG_SG_EEES6_PlJS6_EEE10hipError_tPvRmT3_T4_T5_T6_T7_T9_mT8_P12ihipStream_tbDpT10_ENKUlT_T0_E_clISt17integral_constantIbLb0EES1C_IbLb1EEEEDaS18_S19_EUlS18_E_NS1_11comp_targetILNS1_3genE10ELNS1_11target_archE1200ELNS1_3gpuE4ELNS1_3repE0EEENS1_30default_config_static_selectorELNS0_4arch9wavefront6targetE0EEEvT1_,"axG",@progbits,_ZN7rocprim17ROCPRIM_400000_NS6detail17trampoline_kernelINS0_14default_configENS1_25partition_config_selectorILNS1_17partition_subalgoE5EjNS0_10empty_typeEbEEZZNS1_14partition_implILS5_5ELb0ES3_mN6thrust23THRUST_200600_302600_NS6detail15normal_iteratorINSA_10device_ptrIjEEEEPS6_NSA_18transform_iteratorINSB_9not_fun_tI7is_trueIjEEENSC_INSD_IbEEEENSA_11use_defaultESO_EENS0_5tupleIJSF_S6_EEENSQ_IJSG_SG_EEES6_PlJS6_EEE10hipError_tPvRmT3_T4_T5_T6_T7_T9_mT8_P12ihipStream_tbDpT10_ENKUlT_T0_E_clISt17integral_constantIbLb0EES1C_IbLb1EEEEDaS18_S19_EUlS18_E_NS1_11comp_targetILNS1_3genE10ELNS1_11target_archE1200ELNS1_3gpuE4ELNS1_3repE0EEENS1_30default_config_static_selectorELNS0_4arch9wavefront6targetE0EEEvT1_,comdat
	.protected	_ZN7rocprim17ROCPRIM_400000_NS6detail17trampoline_kernelINS0_14default_configENS1_25partition_config_selectorILNS1_17partition_subalgoE5EjNS0_10empty_typeEbEEZZNS1_14partition_implILS5_5ELb0ES3_mN6thrust23THRUST_200600_302600_NS6detail15normal_iteratorINSA_10device_ptrIjEEEEPS6_NSA_18transform_iteratorINSB_9not_fun_tI7is_trueIjEEENSC_INSD_IbEEEENSA_11use_defaultESO_EENS0_5tupleIJSF_S6_EEENSQ_IJSG_SG_EEES6_PlJS6_EEE10hipError_tPvRmT3_T4_T5_T6_T7_T9_mT8_P12ihipStream_tbDpT10_ENKUlT_T0_E_clISt17integral_constantIbLb0EES1C_IbLb1EEEEDaS18_S19_EUlS18_E_NS1_11comp_targetILNS1_3genE10ELNS1_11target_archE1200ELNS1_3gpuE4ELNS1_3repE0EEENS1_30default_config_static_selectorELNS0_4arch9wavefront6targetE0EEEvT1_ ; -- Begin function _ZN7rocprim17ROCPRIM_400000_NS6detail17trampoline_kernelINS0_14default_configENS1_25partition_config_selectorILNS1_17partition_subalgoE5EjNS0_10empty_typeEbEEZZNS1_14partition_implILS5_5ELb0ES3_mN6thrust23THRUST_200600_302600_NS6detail15normal_iteratorINSA_10device_ptrIjEEEEPS6_NSA_18transform_iteratorINSB_9not_fun_tI7is_trueIjEEENSC_INSD_IbEEEENSA_11use_defaultESO_EENS0_5tupleIJSF_S6_EEENSQ_IJSG_SG_EEES6_PlJS6_EEE10hipError_tPvRmT3_T4_T5_T6_T7_T9_mT8_P12ihipStream_tbDpT10_ENKUlT_T0_E_clISt17integral_constantIbLb0EES1C_IbLb1EEEEDaS18_S19_EUlS18_E_NS1_11comp_targetILNS1_3genE10ELNS1_11target_archE1200ELNS1_3gpuE4ELNS1_3repE0EEENS1_30default_config_static_selectorELNS0_4arch9wavefront6targetE0EEEvT1_
	.globl	_ZN7rocprim17ROCPRIM_400000_NS6detail17trampoline_kernelINS0_14default_configENS1_25partition_config_selectorILNS1_17partition_subalgoE5EjNS0_10empty_typeEbEEZZNS1_14partition_implILS5_5ELb0ES3_mN6thrust23THRUST_200600_302600_NS6detail15normal_iteratorINSA_10device_ptrIjEEEEPS6_NSA_18transform_iteratorINSB_9not_fun_tI7is_trueIjEEENSC_INSD_IbEEEENSA_11use_defaultESO_EENS0_5tupleIJSF_S6_EEENSQ_IJSG_SG_EEES6_PlJS6_EEE10hipError_tPvRmT3_T4_T5_T6_T7_T9_mT8_P12ihipStream_tbDpT10_ENKUlT_T0_E_clISt17integral_constantIbLb0EES1C_IbLb1EEEEDaS18_S19_EUlS18_E_NS1_11comp_targetILNS1_3genE10ELNS1_11target_archE1200ELNS1_3gpuE4ELNS1_3repE0EEENS1_30default_config_static_selectorELNS0_4arch9wavefront6targetE0EEEvT1_
	.p2align	8
	.type	_ZN7rocprim17ROCPRIM_400000_NS6detail17trampoline_kernelINS0_14default_configENS1_25partition_config_selectorILNS1_17partition_subalgoE5EjNS0_10empty_typeEbEEZZNS1_14partition_implILS5_5ELb0ES3_mN6thrust23THRUST_200600_302600_NS6detail15normal_iteratorINSA_10device_ptrIjEEEEPS6_NSA_18transform_iteratorINSB_9not_fun_tI7is_trueIjEEENSC_INSD_IbEEEENSA_11use_defaultESO_EENS0_5tupleIJSF_S6_EEENSQ_IJSG_SG_EEES6_PlJS6_EEE10hipError_tPvRmT3_T4_T5_T6_T7_T9_mT8_P12ihipStream_tbDpT10_ENKUlT_T0_E_clISt17integral_constantIbLb0EES1C_IbLb1EEEEDaS18_S19_EUlS18_E_NS1_11comp_targetILNS1_3genE10ELNS1_11target_archE1200ELNS1_3gpuE4ELNS1_3repE0EEENS1_30default_config_static_selectorELNS0_4arch9wavefront6targetE0EEEvT1_,@function
_ZN7rocprim17ROCPRIM_400000_NS6detail17trampoline_kernelINS0_14default_configENS1_25partition_config_selectorILNS1_17partition_subalgoE5EjNS0_10empty_typeEbEEZZNS1_14partition_implILS5_5ELb0ES3_mN6thrust23THRUST_200600_302600_NS6detail15normal_iteratorINSA_10device_ptrIjEEEEPS6_NSA_18transform_iteratorINSB_9not_fun_tI7is_trueIjEEENSC_INSD_IbEEEENSA_11use_defaultESO_EENS0_5tupleIJSF_S6_EEENSQ_IJSG_SG_EEES6_PlJS6_EEE10hipError_tPvRmT3_T4_T5_T6_T7_T9_mT8_P12ihipStream_tbDpT10_ENKUlT_T0_E_clISt17integral_constantIbLb0EES1C_IbLb1EEEEDaS18_S19_EUlS18_E_NS1_11comp_targetILNS1_3genE10ELNS1_11target_archE1200ELNS1_3gpuE4ELNS1_3repE0EEENS1_30default_config_static_selectorELNS0_4arch9wavefront6targetE0EEEvT1_: ; @_ZN7rocprim17ROCPRIM_400000_NS6detail17trampoline_kernelINS0_14default_configENS1_25partition_config_selectorILNS1_17partition_subalgoE5EjNS0_10empty_typeEbEEZZNS1_14partition_implILS5_5ELb0ES3_mN6thrust23THRUST_200600_302600_NS6detail15normal_iteratorINSA_10device_ptrIjEEEEPS6_NSA_18transform_iteratorINSB_9not_fun_tI7is_trueIjEEENSC_INSD_IbEEEENSA_11use_defaultESO_EENS0_5tupleIJSF_S6_EEENSQ_IJSG_SG_EEES6_PlJS6_EEE10hipError_tPvRmT3_T4_T5_T6_T7_T9_mT8_P12ihipStream_tbDpT10_ENKUlT_T0_E_clISt17integral_constantIbLb0EES1C_IbLb1EEEEDaS18_S19_EUlS18_E_NS1_11comp_targetILNS1_3genE10ELNS1_11target_archE1200ELNS1_3gpuE4ELNS1_3repE0EEENS1_30default_config_static_selectorELNS0_4arch9wavefront6targetE0EEEvT1_
; %bb.0:
	s_clause 0x3
	s_load_b64 s[12:13], s[0:1], 0x30
	s_load_b128 s[4:7], s[0:1], 0x48
	s_load_b64 s[18:19], s[0:1], 0x58
	s_load_b64 s[14:15], s[0:1], 0x68
	v_cmp_eq_u32_e64 s2, 0, v0
	s_and_saveexec_b32 s3, s2
	s_cbranch_execz .LBB2458_4
; %bb.1:
	s_mov_b32 s9, exec_lo
	s_mov_b32 s8, exec_lo
	v_mbcnt_lo_u32_b32 v1, s9, 0
                                        ; implicit-def: $vgpr2
	s_delay_alu instid0(VALU_DEP_1)
	v_cmpx_eq_u32_e32 0, v1
	s_cbranch_execz .LBB2458_3
; %bb.2:
	s_load_b64 s[10:11], s[0:1], 0x78
	s_bcnt1_i32_b32 s9, s9
	s_wait_alu 0xfffe
	v_dual_mov_b32 v2, 0 :: v_dual_mov_b32 v3, s9
	s_wait_kmcnt 0x0
	global_atomic_add_u32 v2, v2, v3, s[10:11] th:TH_ATOMIC_RETURN scope:SCOPE_DEV
.LBB2458_3:
	s_or_b32 exec_lo, exec_lo, s8
	s_wait_loadcnt 0x0
	v_readfirstlane_b32 s8, v2
	s_wait_alu 0xf1ff
	s_delay_alu instid0(VALU_DEP_1)
	v_dual_mov_b32 v2, 0 :: v_dual_add_nc_u32 v1, s8, v1
	ds_store_b32 v2, v1
.LBB2458_4:
	s_or_b32 exec_lo, exec_lo, s3
	v_dual_mov_b32 v1, 0 :: v_dual_add_nc_u32 v24, 0x180, v0
	s_clause 0x2
	s_load_b128 s[8:11], s[0:1], 0x8
	s_load_b64 s[16:17], s[0:1], 0x20
	s_load_b32 s0, s[0:1], 0x70
	s_wait_dscnt 0x0
	s_barrier_signal -1
	s_barrier_wait -1
	global_inv scope:SCOPE_SE
	ds_load_b32 v2, v1
	s_wait_loadcnt_dscnt 0x0
	s_barrier_signal -1
	s_barrier_wait -1
	global_inv scope:SCOPE_SE
	s_wait_kmcnt 0x0
	global_load_b64 v[9:10], v1, s[6:7]
	v_lshlrev_b32_e32 v11, 2, v0
	v_lshrrev_b32_e32 v12, 3, v0
	v_add_nc_u32_e32 v23, 0x240, v0
	v_or_b32_e32 v22, 0x300, v0
	v_add_nc_u32_e32 v21, 0x3c0, v0
	v_add_nc_u32_e32 v20, 0x480, v0
	;; [unrolled: 1-line block ×3, first 2 shown]
	s_lshl_b64 s[6:7], s[10:11], 2
	s_delay_alu instid0(SALU_CYCLE_1)
	s_add_nc_u64 s[8:9], s[8:9], s[6:7]
	s_mul_i32 s6, s0, 0x600
	s_mov_b32 s7, 0
	s_add_co_i32 s3, s6, s10
	s_add_co_i32 s21, s0, -1
	v_readfirstlane_b32 s20, v2
	s_add_nc_u64 s[0:1], s[10:11], s[6:7]
	s_sub_co_i32 s3, s18, s3
	v_cmp_le_u64_e64 s0, s[18:19], s[0:1]
	s_addk_co_i32 s3, 0x600
	s_cmp_eq_u32 s20, s21
	s_mul_i32 s6, s20, 0x600
	s_cselect_b32 s18, -1, 0
	s_lshl_b64 s[22:23], s[6:7], 2
	s_wait_alu 0xfffe
	s_and_b32 s0, s0, s18
	s_mov_b32 s1, -1
	s_wait_alu 0xfffe
	s_xor_b32 s19, s0, -1
	s_add_nc_u64 s[8:9], s[8:9], s[22:23]
	s_wait_alu 0xfffe
	s_and_b32 vcc_lo, exec_lo, s19
	s_cbranch_vccz .LBB2458_6
; %bb.5:
	v_add_co_u32 v1, s0, s8, v11
	s_wait_alu 0xf1ff
	v_add_co_ci_u32_e64 v2, null, s9, 0, s0
	v_add_nc_u32_e32 v14, 0xc0, v0
	v_lshrrev_b32_e32 v15, 3, v24
	v_lshrrev_b32_e32 v16, 3, v23
	s_clause 0x7
	flat_load_b32 v3, v[1:2]
	flat_load_b32 v4, v[1:2] offset:768
	flat_load_b32 v5, v[1:2] offset:1536
	;; [unrolled: 1-line block ×7, first 2 shown]
	v_lshrrev_b32_e32 v17, 3, v22
	v_lshrrev_b32_e32 v14, 3, v14
	v_and_b32_e32 v2, 28, v12
	v_lshrrev_b32_e32 v18, 3, v21
	v_lshrrev_b32_e32 v25, 3, v20
	;; [unrolled: 1-line block ×3, first 2 shown]
	v_and_b32_e32 v14, 60, v14
	v_and_b32_e32 v15, 0x7c, v15
	;; [unrolled: 1-line block ×4, first 2 shown]
	v_add_nc_u32_e32 v2, v2, v11
	v_and_b32_e32 v18, 0xfc, v18
	v_and_b32_e32 v25, 0xbc, v25
	;; [unrolled: 1-line block ×3, first 2 shown]
	v_add_nc_u32_e32 v14, v14, v11
	v_add_nc_u32_e32 v15, v15, v11
	v_add_nc_u32_e32 v16, v16, v11
	v_add_nc_u32_e32 v17, v17, v11
	s_mov_b32 s1, s7
	v_add_nc_u32_e32 v18, v18, v11
	v_add_nc_u32_e32 v25, v25, v11
	;; [unrolled: 1-line block ×3, first 2 shown]
	s_wait_loadcnt_dscnt 0x707
	ds_store_b32 v2, v3
	s_wait_loadcnt_dscnt 0x607
	ds_store_b32 v14, v4 offset:768
	s_wait_loadcnt_dscnt 0x507
	ds_store_b32 v15, v5 offset:1536
	;; [unrolled: 2-line block ×7, first 2 shown]
	s_wait_dscnt 0x0
	s_barrier_signal -1
	s_barrier_wait -1
.LBB2458_6:
	v_cmp_gt_u32_e64 s0, s3, v0
	s_wait_alu 0xfffe
	s_and_not1_b32 vcc_lo, exec_lo, s1
	s_cbranch_vccnz .LBB2458_18
; %bb.7:
	v_mov_b32_e32 v1, 0
	s_delay_alu instid0(VALU_DEP_1)
	v_dual_mov_b32 v2, v1 :: v_dual_mov_b32 v3, v1
	v_dual_mov_b32 v4, v1 :: v_dual_mov_b32 v5, v1
	;; [unrolled: 1-line block ×3, first 2 shown]
	v_mov_b32_e32 v8, v1
	s_and_saveexec_b32 s1, s0
	s_cbranch_execz .LBB2458_9
; %bb.8:
	v_add_co_u32 v2, s0, s8, v11
	s_wait_alu 0xf1ff
	v_add_co_ci_u32_e64 v3, null, s9, 0, s0
	v_dual_mov_b32 v26, v1 :: v_dual_mov_b32 v27, v1
	v_dual_mov_b32 v28, v1 :: v_dual_mov_b32 v29, v1
	flat_load_b32 v25, v[2:3]
	v_dual_mov_b32 v30, v1 :: v_dual_mov_b32 v31, v1
	v_mov_b32_e32 v32, v1
	s_wait_loadcnt_dscnt 0x0
	v_dual_mov_b32 v1, v25 :: v_dual_mov_b32 v2, v26
	v_dual_mov_b32 v3, v27 :: v_dual_mov_b32 v4, v28
	;; [unrolled: 1-line block ×4, first 2 shown]
.LBB2458_9:
	s_wait_alu 0xfffe
	s_or_b32 exec_lo, exec_lo, s1
	v_add_nc_u32_e32 v13, 0xc0, v0
	s_mov_b32 s0, exec_lo
	s_delay_alu instid0(VALU_DEP_1)
	v_cmpx_gt_u32_e64 s3, v13
	s_cbranch_execnz .LBB2458_162
; %bb.10:
	s_wait_alu 0xfffe
	s_or_b32 exec_lo, exec_lo, s0
	s_delay_alu instid0(SALU_CYCLE_1)
	s_mov_b32 s0, exec_lo
	v_cmpx_gt_u32_e64 s3, v24
	s_cbranch_execnz .LBB2458_163
.LBB2458_11:
	s_wait_alu 0xfffe
	s_or_b32 exec_lo, exec_lo, s0
	s_delay_alu instid0(SALU_CYCLE_1)
	s_mov_b32 s0, exec_lo
	v_cmpx_gt_u32_e64 s3, v23
	s_cbranch_execnz .LBB2458_164
.LBB2458_12:
	s_wait_alu 0xfffe
	s_or_b32 exec_lo, exec_lo, s0
	s_delay_alu instid0(SALU_CYCLE_1)
	s_mov_b32 s0, exec_lo
	v_cmpx_gt_u32_e64 s3, v22
	s_cbranch_execnz .LBB2458_165
.LBB2458_13:
	s_wait_alu 0xfffe
	s_or_b32 exec_lo, exec_lo, s0
	s_delay_alu instid0(SALU_CYCLE_1)
	s_mov_b32 s0, exec_lo
	v_cmpx_gt_u32_e64 s3, v21
	s_cbranch_execnz .LBB2458_166
.LBB2458_14:
	s_wait_alu 0xfffe
	s_or_b32 exec_lo, exec_lo, s0
	s_delay_alu instid0(SALU_CYCLE_1)
	s_mov_b32 s0, exec_lo
	v_cmpx_gt_u32_e64 s3, v20
	s_cbranch_execnz .LBB2458_167
.LBB2458_15:
	s_wait_alu 0xfffe
	s_or_b32 exec_lo, exec_lo, s0
	s_delay_alu instid0(SALU_CYCLE_1)
	s_mov_b32 s0, exec_lo
	v_cmpx_gt_u32_e64 s3, v19
	s_cbranch_execz .LBB2458_17
.LBB2458_16:
	v_add_co_u32 v14, s1, s8, v11
	s_wait_alu 0xf1ff
	v_add_co_ci_u32_e64 v15, null, s9, 0, s1
	flat_load_b32 v8, v[14:15] offset:5376
.LBB2458_17:
	s_wait_alu 0xfffe
	s_or_b32 exec_lo, exec_lo, s0
	v_lshrrev_b32_e32 v13, 3, v13
	v_lshrrev_b32_e32 v14, 3, v24
	;; [unrolled: 1-line block ×4, first 2 shown]
	v_and_b32_e32 v12, 28, v12
	v_lshrrev_b32_e32 v17, 3, v21
	v_lshrrev_b32_e32 v18, 3, v20
	v_lshrrev_b32_e32 v25, 3, v19
	v_and_b32_e32 v13, 60, v13
	v_and_b32_e32 v14, 0x7c, v14
	;; [unrolled: 1-line block ×4, first 2 shown]
	v_add_nc_u32_e32 v12, v12, v11
	v_and_b32_e32 v17, 0xfc, v17
	v_and_b32_e32 v18, 0xfc, v18
	;; [unrolled: 1-line block ×3, first 2 shown]
	v_add_nc_u32_e32 v13, v13, v11
	v_add_nc_u32_e32 v14, v14, v11
	;; [unrolled: 1-line block ×7, first 2 shown]
	ds_store_b32 v12, v1
	s_wait_loadcnt_dscnt 0x1
	ds_store_b32 v13, v2 offset:768
	ds_store_b32 v14, v3 offset:1536
	;; [unrolled: 1-line block ×7, first 2 shown]
	s_wait_dscnt 0x0
	s_barrier_signal -1
	s_barrier_wait -1
.LBB2458_18:
	v_and_b32_e32 v1, 0xfc, v0
	s_wait_loadcnt 0x0
	global_inv scope:SCOPE_SE
	v_lshrrev_b32_e32 v37, 5, v0
	s_add_nc_u64 s[0:1], s[16:17], s[10:11]
	s_and_b32 vcc_lo, exec_lo, s19
	v_lshl_add_u32 v1, v0, 5, v1
	s_wait_alu 0xfffe
	s_add_nc_u64 s[0:1], s[0:1], s[6:7]
	s_mov_b32 s6, -1
	ds_load_2addr_b32 v[17:18], v1 offset1:1
	ds_load_2addr_b32 v[15:16], v1 offset0:2 offset1:3
	ds_load_2addr_b32 v[13:14], v1 offset0:4 offset1:5
	;; [unrolled: 1-line block ×3, first 2 shown]
	s_wait_loadcnt_dscnt 0x0
	s_barrier_signal -1
	s_barrier_wait -1
	global_inv scope:SCOPE_SE
	s_cbranch_vccz .LBB2458_20
; %bb.19:
	s_clause 0x7
	global_load_u8 v1, v0, s[0:1]
	global_load_u8 v2, v0, s[0:1] offset:192
	global_load_u8 v3, v0, s[0:1] offset:384
	;; [unrolled: 1-line block ×7, first 2 shown]
	v_add_nc_u32_e32 v26, 0xc0, v0
	v_lshrrev_b32_e32 v27, 5, v24
	v_lshrrev_b32_e32 v28, 5, v23
	;; [unrolled: 1-line block ×3, first 2 shown]
	v_and_b32_e32 v25, 4, v37
	v_lshrrev_b32_e32 v26, 5, v26
	v_lshrrev_b32_e32 v30, 5, v21
	v_lshrrev_b32_e32 v31, 5, v20
	v_lshrrev_b32_e32 v32, 5, v19
	v_and_b32_e32 v27, 28, v27
	v_and_b32_e32 v26, 12, v26
	;; [unrolled: 1-line block ×4, first 2 shown]
	v_add_nc_u32_e32 v25, v25, v0
	v_and_b32_e32 v30, 60, v30
	v_and_b32_e32 v31, 44, v31
	;; [unrolled: 1-line block ×3, first 2 shown]
	v_add_nc_u32_e32 v26, v26, v0
	v_add_nc_u32_e32 v27, v27, v0
	;; [unrolled: 1-line block ×4, first 2 shown]
	s_mov_b32 s6, 0
	v_add_nc_u32_e32 v30, v30, v0
	v_add_nc_u32_e32 v31, v31, v0
	v_add_nc_u32_e32 v32, v32, v0
	s_wait_loadcnt 0x7
	v_xor_b32_e32 v1, 1, v1
	s_wait_loadcnt 0x6
	v_xor_b32_e32 v2, 1, v2
	;; [unrolled: 2-line block ×8, first 2 shown]
	ds_store_b8 v25, v1
	ds_store_b8 v26, v2 offset:192
	ds_store_b8 v27, v3 offset:384
	;; [unrolled: 1-line block ×7, first 2 shown]
	s_wait_dscnt 0x0
	s_barrier_signal -1
	s_barrier_wait -1
.LBB2458_20:
	v_lshlrev_b32_e32 v40, 3, v0
	v_lshrrev_b32_e32 v1, 2, v0
	s_and_not1_b32 vcc_lo, exec_lo, s6
	s_cbranch_vccnz .LBB2458_32
; %bb.21:
	v_mov_b32_e32 v2, 0
	s_mov_b32 s6, exec_lo
	s_delay_alu instid0(VALU_DEP_1)
	v_dual_mov_b32 v3, v2 :: v_dual_mov_b32 v4, v2
	v_cmpx_gt_u32_e64 s3, v0
	s_cbranch_execz .LBB2458_23
; %bb.22:
	global_load_u8 v2, v0, s[0:1]
	v_mov_b32_e32 v3, s7
	s_wait_loadcnt 0x0
	v_xor_b32_e32 v4, 1, v2
	s_delay_alu instid0(VALU_DEP_1) | instskip(NEXT) | instid1(VALU_DEP_1)
	v_and_b32_e32 v2, 1, v4
	v_and_b32_e32 v2, 0xffff, v2
.LBB2458_23:
	s_or_b32 exec_lo, exec_lo, s6
	v_add_nc_u32_e32 v5, 0xc0, v0
	s_mov_b32 s6, exec_lo
	s_delay_alu instid0(VALU_DEP_1)
	v_cmpx_gt_u32_e64 s3, v5
	s_cbranch_execnz .LBB2458_168
; %bb.24:
	s_wait_alu 0xfffe
	s_or_b32 exec_lo, exec_lo, s6
	s_delay_alu instid0(SALU_CYCLE_1)
	s_mov_b32 s6, exec_lo
	v_cmpx_gt_u32_e64 s3, v24
	s_cbranch_execnz .LBB2458_169
.LBB2458_25:
	s_wait_alu 0xfffe
	s_or_b32 exec_lo, exec_lo, s6
	s_delay_alu instid0(SALU_CYCLE_1)
	s_mov_b32 s6, exec_lo
	v_cmpx_gt_u32_e64 s3, v23
	s_cbranch_execnz .LBB2458_170
.LBB2458_26:
	s_wait_alu 0xfffe
	s_or_b32 exec_lo, exec_lo, s6
	s_delay_alu instid0(SALU_CYCLE_1)
	s_mov_b32 s6, exec_lo
	v_cmpx_gt_u32_e64 s3, v22
	s_cbranch_execnz .LBB2458_171
.LBB2458_27:
	s_wait_alu 0xfffe
	s_or_b32 exec_lo, exec_lo, s6
	s_delay_alu instid0(SALU_CYCLE_1)
	s_mov_b32 s6, exec_lo
	v_cmpx_gt_u32_e64 s3, v21
	s_cbranch_execnz .LBB2458_172
.LBB2458_28:
	s_wait_alu 0xfffe
	s_or_b32 exec_lo, exec_lo, s6
	s_delay_alu instid0(SALU_CYCLE_1)
	s_mov_b32 s6, exec_lo
	v_cmpx_gt_u32_e64 s3, v20
	s_cbranch_execnz .LBB2458_173
.LBB2458_29:
	s_wait_alu 0xfffe
	s_or_b32 exec_lo, exec_lo, s6
	v_cmp_gt_u32_e32 vcc_lo, s3, v19
	s_and_saveexec_b32 s3, vcc_lo
	s_cbranch_execz .LBB2458_31
.LBB2458_30:
	global_load_u8 v6, v0, s[0:1] offset:1344
	v_lshrrev_b32_e32 v7, 16, v3
	s_delay_alu instid0(VALU_DEP_1) | instskip(SKIP_2) | instid1(VALU_DEP_1)
	v_and_b32_e32 v7, 0xff, v7
	s_wait_loadcnt 0x0
	v_xor_b32_e32 v6, 1, v6
	v_lshlrev_b16 v6, 8, v6
	s_delay_alu instid0(VALU_DEP_1) | instskip(NEXT) | instid1(VALU_DEP_1)
	v_or_b32_e32 v6, v7, v6
	v_lshlrev_b32_e32 v6, 16, v6
	s_delay_alu instid0(VALU_DEP_1)
	v_and_or_b32 v3, 0xffff, v3, v6
.LBB2458_31:
	s_wait_alu 0xfffe
	s_or_b32 exec_lo, exec_lo, s3
	v_lshrrev_b32_e32 v5, 5, v5
	v_lshrrev_b32_e32 v6, 5, v24
	;; [unrolled: 1-line block ×4, first 2 shown]
	v_and_b32_e32 v7, 4, v37
	v_lshrrev_b32_e32 v21, 5, v21
	v_lshrrev_b32_e32 v20, 5, v20
	;; [unrolled: 1-line block ×3, first 2 shown]
	v_and_b32_e32 v5, 12, v5
	v_and_b32_e32 v6, 28, v6
	;; [unrolled: 1-line block ×4, first 2 shown]
	v_add_nc_u32_e32 v7, v7, v0
	v_and_b32_e32 v21, 60, v21
	v_and_b32_e32 v20, 60, v20
	;; [unrolled: 1-line block ×3, first 2 shown]
	v_lshrrev_b32_e32 v8, 8, v2
	v_add_nc_u32_e32 v5, v5, v0
	v_add_nc_u32_e32 v6, v6, v0
	v_lshrrev_b32_e32 v24, 24, v2
	v_add_nc_u32_e32 v23, v23, v0
	v_add_nc_u32_e32 v22, v22, v0
	;; [unrolled: 3-line block ×3, first 2 shown]
	v_lshrrev_b32_e32 v26, 24, v3
	v_add_nc_u32_e32 v19, v19, v0
	ds_store_b8 v7, v4
	ds_store_b8 v5, v8 offset:192
	ds_store_b8_d16_hi v6, v2 offset:384
	ds_store_b8 v23, v24 offset:576
	ds_store_b8 v22, v3 offset:768
	;; [unrolled: 1-line block ×3, first 2 shown]
	ds_store_b8_d16_hi v20, v3 offset:1152
	ds_store_b8 v19, v26 offset:1344
	s_wait_loadcnt_dscnt 0x0
	s_barrier_signal -1
	s_barrier_wait -1
.LBB2458_32:
	s_delay_alu instid0(VALU_DEP_1)
	v_dual_mov_b32 v2, 0 :: v_dual_and_b32 v1, 60, v1
	s_wait_loadcnt 0x0
	global_inv scope:SCOPE_SE
	v_mbcnt_lo_u32_b32 v47, -1, 0
	s_cmp_lg_u32 s20, 0
	v_add_nc_u32_e32 v1, v1, v40
	s_mov_b32 s1, -1
	s_delay_alu instid0(VALU_DEP_2)
	v_and_b32_e32 v48, 15, v47
	ds_load_2addr_b32 v[19:20], v1 offset1:1
	s_wait_loadcnt_dscnt 0x0
	s_barrier_signal -1
	s_barrier_wait -1
	global_inv scope:SCOPE_SE
	v_and_b32_e32 v43, 0xff, v19
	v_bfe_u32 v42, v19, 8, 8
	v_bfe_u32 v41, v19, 16, 8
	v_lshrrev_b32_e32 v39, 24, v19
	v_and_b32_e32 v46, 0xff, v20
	v_bfe_u32 v45, v20, 8, 8
	v_bfe_u32 v44, v20, 16, 8
	v_add3_u32 v1, v42, v43, v41
	v_lshrrev_b32_e32 v38, 24, v20
	s_delay_alu instid0(VALU_DEP_2) | instskip(SKIP_3) | instid1(VALU_DEP_3)
	v_add_co_u32 v1, s0, v1, v39
	s_wait_alu 0xf1fe
	v_add_co_ci_u32_e64 v3, null, 0, 0, s0
	v_cmp_ne_u32_e64 s0, 0, v48
	v_add_co_u32 v1, vcc_lo, v1, v46
	s_delay_alu instid0(VALU_DEP_1) | instskip(NEXT) | instid1(VALU_DEP_2)
	v_add_co_ci_u32_e64 v3, null, 0, v3, vcc_lo
	v_add_co_u32 v1, vcc_lo, v1, v45
	s_wait_alu 0xfffd
	s_delay_alu instid0(VALU_DEP_2) | instskip(NEXT) | instid1(VALU_DEP_2)
	v_add_co_ci_u32_e64 v3, null, 0, v3, vcc_lo
	v_add_co_u32 v1, vcc_lo, v1, v44
	s_wait_alu 0xfffd
	s_delay_alu instid0(VALU_DEP_2) | instskip(NEXT) | instid1(VALU_DEP_2)
	v_add_co_ci_u32_e64 v3, null, 0, v3, vcc_lo
	v_add_co_u32 v21, vcc_lo, v1, v38
	s_wait_alu 0xfffd
	s_delay_alu instid0(VALU_DEP_2)
	v_add_co_ci_u32_e64 v22, null, 0, v3, vcc_lo
	s_cbranch_scc0 .LBB2458_89
; %bb.33:
	v_mov_b32_e32 v3, v21
	v_mov_b32_dpp v1, v21 row_shr:1 row_mask:0xf bank_mask:0xf
	v_mov_b32_dpp v6, v2 row_shr:1 row_mask:0xf bank_mask:0xf
	v_dual_mov_b32 v5, v21 :: v_dual_mov_b32 v4, v22
	s_and_saveexec_b32 s1, s0
; %bb.34:
	s_delay_alu instid0(VALU_DEP_3) | instskip(SKIP_2) | instid1(VALU_DEP_2)
	v_add_co_u32 v5, vcc_lo, v21, v1
	s_wait_alu 0xfffd
	v_add_co_ci_u32_e64 v2, null, 0, v22, vcc_lo
	v_add_co_u32 v1, vcc_lo, 0, v5
	s_wait_alu 0xfffd
	s_delay_alu instid0(VALU_DEP_2) | instskip(NEXT) | instid1(VALU_DEP_1)
	v_add_co_ci_u32_e64 v2, null, v6, v2, vcc_lo
	v_dual_mov_b32 v4, v2 :: v_dual_mov_b32 v3, v1
; %bb.35:
	s_wait_alu 0xfffe
	s_or_b32 exec_lo, exec_lo, s1
	v_mov_b32_dpp v1, v5 row_shr:2 row_mask:0xf bank_mask:0xf
	v_mov_b32_dpp v6, v2 row_shr:2 row_mask:0xf bank_mask:0xf
	s_mov_b32 s1, exec_lo
	v_cmpx_lt_u32_e32 1, v48
; %bb.36:
	s_delay_alu instid0(VALU_DEP_3) | instskip(SKIP_2) | instid1(VALU_DEP_2)
	v_add_co_u32 v5, vcc_lo, v3, v1
	s_wait_alu 0xfffd
	v_add_co_ci_u32_e64 v2, null, 0, v4, vcc_lo
	v_add_co_u32 v1, vcc_lo, 0, v5
	s_wait_alu 0xfffd
	s_delay_alu instid0(VALU_DEP_2) | instskip(NEXT) | instid1(VALU_DEP_1)
	v_add_co_ci_u32_e64 v2, null, v6, v2, vcc_lo
	v_dual_mov_b32 v4, v2 :: v_dual_mov_b32 v3, v1
; %bb.37:
	s_wait_alu 0xfffe
	s_or_b32 exec_lo, exec_lo, s1
	v_mov_b32_dpp v1, v5 row_shr:4 row_mask:0xf bank_mask:0xf
	v_mov_b32_dpp v6, v2 row_shr:4 row_mask:0xf bank_mask:0xf
	s_mov_b32 s1, exec_lo
	v_cmpx_lt_u32_e32 3, v48
	;; [unrolled: 17-line block ×3, first 2 shown]
; %bb.40:
	s_delay_alu instid0(VALU_DEP_3) | instskip(SKIP_2) | instid1(VALU_DEP_2)
	v_add_co_u32 v5, vcc_lo, v3, v6
	s_wait_alu 0xfffd
	v_add_co_ci_u32_e64 v2, null, 0, v4, vcc_lo
	v_add_co_u32 v3, vcc_lo, 0, v5
	s_wait_alu 0xfffd
	s_delay_alu instid0(VALU_DEP_2) | instskip(NEXT) | instid1(VALU_DEP_1)
	v_add_co_ci_u32_e64 v4, null, v1, v2, vcc_lo
	v_mov_b32_e32 v2, v4
; %bb.41:
	s_wait_alu 0xfffe
	s_or_b32 exec_lo, exec_lo, s1
	ds_swizzle_b32 v1, v5 offset:swizzle(BROADCAST,32,15)
	ds_swizzle_b32 v6, v2 offset:swizzle(BROADCAST,32,15)
	v_and_b32_e32 v7, 16, v47
	s_mov_b32 s1, exec_lo
	s_delay_alu instid0(VALU_DEP_1)
	v_cmpx_ne_u32_e32 0, v7
	s_cbranch_execz .LBB2458_43
; %bb.42:
	s_wait_dscnt 0x1
	v_add_co_u32 v5, vcc_lo, v3, v1
	s_wait_alu 0xfffd
	v_add_co_ci_u32_e64 v2, null, 0, v4, vcc_lo
	s_delay_alu instid0(VALU_DEP_2) | instskip(SKIP_2) | instid1(VALU_DEP_2)
	v_add_co_u32 v1, vcc_lo, 0, v5
	s_wait_dscnt 0x0
	s_wait_alu 0xfffd
	v_add_co_ci_u32_e64 v2, null, v6, v2, vcc_lo
	s_delay_alu instid0(VALU_DEP_1)
	v_dual_mov_b32 v4, v2 :: v_dual_mov_b32 v3, v1
.LBB2458_43:
	s_wait_alu 0xfffe
	s_or_b32 exec_lo, exec_lo, s1
	s_wait_dscnt 0x1
	v_and_b32_e32 v1, 0xe0, v0
	s_mov_b32 s1, exec_lo
	s_delay_alu instid0(VALU_DEP_1) | instskip(NEXT) | instid1(VALU_DEP_1)
	v_min_u32_e32 v1, 0xa0, v1
	v_or_b32_e32 v1, 31, v1
	s_delay_alu instid0(VALU_DEP_1)
	v_cmpx_eq_u32_e64 v0, v1
; %bb.44:
	v_lshlrev_b32_e32 v1, 3, v37
	ds_store_b64 v1, v[3:4]
; %bb.45:
	s_wait_alu 0xfffe
	s_or_b32 exec_lo, exec_lo, s1
	s_delay_alu instid0(SALU_CYCLE_1)
	s_mov_b32 s1, exec_lo
	s_wait_loadcnt_dscnt 0x0
	s_barrier_signal -1
	s_barrier_wait -1
	global_inv scope:SCOPE_SE
	v_cmpx_gt_u32_e32 6, v0
	s_cbranch_execz .LBB2458_53
; %bb.46:
	ds_load_b64 v[3:4], v40
	v_and_b32_e32 v1, 7, v47
	s_mov_b32 s3, exec_lo
	s_wait_dscnt 0x0
	v_mov_b32_dpp v8, v3 row_shr:1 row_mask:0xf bank_mask:0xf
	v_mov_b32_dpp v7, v4 row_shr:1 row_mask:0xf bank_mask:0xf
	v_mov_b32_e32 v6, v3
	v_cmpx_ne_u32_e32 0, v1
; %bb.47:
	s_delay_alu instid0(VALU_DEP_4) | instskip(SKIP_2) | instid1(VALU_DEP_2)
	v_add_co_u32 v6, vcc_lo, v3, v8
	s_wait_alu 0xfffd
	v_add_co_ci_u32_e64 v4, null, 0, v4, vcc_lo
	v_add_co_u32 v3, vcc_lo, 0, v6
	s_wait_alu 0xfffd
	s_delay_alu instid0(VALU_DEP_2)
	v_add_co_ci_u32_e64 v4, null, v7, v4, vcc_lo
; %bb.48:
	s_wait_alu 0xfffe
	s_or_b32 exec_lo, exec_lo, s3
	v_mov_b32_dpp v8, v6 row_shr:2 row_mask:0xf bank_mask:0xf
	s_delay_alu instid0(VALU_DEP_2)
	v_mov_b32_dpp v7, v4 row_shr:2 row_mask:0xf bank_mask:0xf
	s_mov_b32 s3, exec_lo
	v_cmpx_lt_u32_e32 1, v1
; %bb.49:
	s_delay_alu instid0(VALU_DEP_3) | instskip(SKIP_2) | instid1(VALU_DEP_2)
	v_add_co_u32 v6, vcc_lo, v3, v8
	s_wait_alu 0xfffd
	v_add_co_ci_u32_e64 v4, null, 0, v4, vcc_lo
	v_add_co_u32 v3, vcc_lo, 0, v6
	s_wait_alu 0xfffd
	s_delay_alu instid0(VALU_DEP_2)
	v_add_co_ci_u32_e64 v4, null, v7, v4, vcc_lo
; %bb.50:
	s_wait_alu 0xfffe
	s_or_b32 exec_lo, exec_lo, s3
	v_mov_b32_dpp v7, v6 row_shr:4 row_mask:0xf bank_mask:0xf
	s_delay_alu instid0(VALU_DEP_2)
	v_mov_b32_dpp v6, v4 row_shr:4 row_mask:0xf bank_mask:0xf
	s_mov_b32 s3, exec_lo
	v_cmpx_lt_u32_e32 3, v1
; %bb.51:
	s_delay_alu instid0(VALU_DEP_3) | instskip(SKIP_2) | instid1(VALU_DEP_2)
	v_add_co_u32 v1, vcc_lo, v3, v7
	s_wait_alu 0xfffd
	v_add_co_ci_u32_e64 v4, null, 0, v4, vcc_lo
	v_add_co_u32 v3, vcc_lo, v1, 0
	s_wait_alu 0xfffd
	s_delay_alu instid0(VALU_DEP_2)
	v_add_co_ci_u32_e64 v4, null, v4, v6, vcc_lo
; %bb.52:
	s_wait_alu 0xfffe
	s_or_b32 exec_lo, exec_lo, s3
	ds_store_b64 v40, v[3:4]
.LBB2458_53:
	s_wait_alu 0xfffe
	s_or_b32 exec_lo, exec_lo, s1
	s_delay_alu instid0(SALU_CYCLE_1)
	s_mov_b32 s3, exec_lo
	v_cmp_gt_u32_e32 vcc_lo, 32, v0
	s_wait_loadcnt_dscnt 0x0
	s_barrier_signal -1
	s_barrier_wait -1
	global_inv scope:SCOPE_SE
                                        ; implicit-def: $vgpr23_vgpr24
	v_cmpx_lt_u32_e32 31, v0
	s_cbranch_execz .LBB2458_55
; %bb.54:
	v_lshl_add_u32 v1, v37, 3, -8
	ds_load_b64 v[23:24], v1
	s_wait_dscnt 0x0
	v_add_co_u32 v5, s1, v5, v23
	s_wait_alu 0xf1ff
	v_add_co_ci_u32_e64 v2, null, v2, v24, s1
.LBB2458_55:
	s_wait_alu 0xfffe
	s_or_b32 exec_lo, exec_lo, s3
	v_sub_co_u32 v1, s1, v47, 1
	s_delay_alu instid0(VALU_DEP_1) | instskip(SKIP_1) | instid1(VALU_DEP_1)
	v_cmp_gt_i32_e64 s3, 0, v1
	s_wait_alu 0xf1ff
	v_cndmask_b32_e64 v1, v1, v47, s3
	s_delay_alu instid0(VALU_DEP_1)
	v_lshlrev_b32_e32 v1, 2, v1
	ds_bpermute_b32 v29, v1, v5
	ds_bpermute_b32 v30, v1, v2
	s_and_saveexec_b32 s3, vcc_lo
	s_cbranch_execz .LBB2458_94
; %bb.56:
	v_mov_b32_e32 v4, 0
	ds_load_b64 v[1:2], v4 offset:40
	s_and_saveexec_b32 s6, s1
	s_cbranch_execz .LBB2458_58
; %bb.57:
	s_add_co_i32 s8, s20, 32
	s_mov_b32 s9, 0
	s_wait_alu 0xfffe
	s_lshl_b64 s[8:9], s[8:9], 4
	s_wait_alu 0xfffe
	s_add_nc_u64 s[8:9], s[14:15], s[8:9]
	v_mov_b32_e32 v3, 1
	s_wait_alu 0xfffe
	v_dual_mov_b32 v5, s8 :: v_dual_mov_b32 v6, s9
	s_wait_dscnt 0x0
	;;#ASMSTART
	global_store_b128 v[5:6], v[1:4] off scope:SCOPE_DEV	
s_wait_storecnt 0x0
	;;#ASMEND
.LBB2458_58:
	s_wait_alu 0xfffe
	s_or_b32 exec_lo, exec_lo, s6
	v_xad_u32 v25, v47, -1, s20
	s_mov_b32 s6, exec_lo
	s_delay_alu instid0(VALU_DEP_1) | instskip(NEXT) | instid1(VALU_DEP_1)
	v_add_nc_u32_e32 v3, 32, v25
	v_lshlrev_b64_e32 v[3:4], 4, v[3:4]
	s_delay_alu instid0(VALU_DEP_1) | instskip(SKIP_1) | instid1(VALU_DEP_2)
	v_add_co_u32 v3, vcc_lo, s14, v3
	s_wait_alu 0xfffd
	v_add_co_ci_u32_e64 v4, null, s15, v4, vcc_lo
	;;#ASMSTART
	global_load_b128 v[5:8], v[3:4] off scope:SCOPE_DEV	
s_wait_loadcnt 0x0
	;;#ASMEND
	v_and_b32_e32 v8, 0xff, v7
	s_delay_alu instid0(VALU_DEP_1)
	v_cmpx_eq_u16_e32 0, v8
	s_cbranch_execz .LBB2458_61
.LBB2458_59:                            ; =>This Inner Loop Header: Depth=1
	;;#ASMSTART
	global_load_b128 v[5:8], v[3:4] off scope:SCOPE_DEV	
s_wait_loadcnt 0x0
	;;#ASMEND
	v_and_b32_e32 v8, 0xff, v7
	s_delay_alu instid0(VALU_DEP_1)
	v_cmp_ne_u16_e32 vcc_lo, 0, v8
	s_or_b32 s7, vcc_lo, s7
	s_wait_alu 0xfffe
	s_and_not1_b32 exec_lo, exec_lo, s7
	s_cbranch_execnz .LBB2458_59
; %bb.60:
	s_or_b32 exec_lo, exec_lo, s7
.LBB2458_61:
	s_wait_alu 0xfffe
	s_or_b32 exec_lo, exec_lo, s6
	v_cmp_ne_u32_e32 vcc_lo, 31, v47
	v_and_b32_e32 v4, 0xff, v7
	v_lshlrev_b32_e64 v32, v47, -1
	s_mov_b32 s6, exec_lo
	s_wait_alu 0xfffd
	v_add_co_ci_u32_e64 v3, null, 0, v47, vcc_lo
	v_cmp_eq_u16_e32 vcc_lo, 2, v4
	s_delay_alu instid0(VALU_DEP_2)
	v_dual_mov_b32 v4, v5 :: v_dual_lshlrev_b32 v31, 2, v3
	s_wait_alu 0xfffd
	v_and_or_b32 v3, vcc_lo, v32, 0x80000000
	ds_bpermute_b32 v26, v31, v5
	ds_bpermute_b32 v8, v31, v6
	v_ctz_i32_b32_e32 v3, v3
	s_delay_alu instid0(VALU_DEP_1)
	v_cmpx_lt_u32_e64 v47, v3
	s_cbranch_execz .LBB2458_63
; %bb.62:
	s_wait_dscnt 0x1
	v_add_co_u32 v4, vcc_lo, v5, v26
	s_wait_alu 0xfffd
	v_add_co_ci_u32_e64 v6, null, 0, v6, vcc_lo
	s_delay_alu instid0(VALU_DEP_2) | instskip(SKIP_2) | instid1(VALU_DEP_2)
	v_add_co_u32 v5, vcc_lo, 0, v4
	s_wait_dscnt 0x0
	s_wait_alu 0xfffd
	v_add_co_ci_u32_e64 v6, null, v8, v6, vcc_lo
.LBB2458_63:
	s_wait_alu 0xfffe
	s_or_b32 exec_lo, exec_lo, s6
	v_cmp_gt_u32_e32 vcc_lo, 30, v47
	v_add_nc_u32_e32 v34, 2, v47
	s_mov_b32 s6, exec_lo
	s_wait_dscnt 0x0
	s_wait_alu 0xfffd
	v_cndmask_b32_e64 v8, 0, 2, vcc_lo
	s_delay_alu instid0(VALU_DEP_1)
	v_add_lshl_u32 v33, v8, v47, 2
	ds_bpermute_b32 v26, v33, v4
	ds_bpermute_b32 v8, v33, v6
	v_cmpx_le_u32_e64 v34, v3
	s_cbranch_execz .LBB2458_65
; %bb.64:
	s_wait_dscnt 0x1
	v_add_co_u32 v4, vcc_lo, v5, v26
	s_wait_alu 0xfffd
	v_add_co_ci_u32_e64 v6, null, 0, v6, vcc_lo
	s_delay_alu instid0(VALU_DEP_2) | instskip(SKIP_2) | instid1(VALU_DEP_2)
	v_add_co_u32 v5, vcc_lo, 0, v4
	s_wait_dscnt 0x0
	s_wait_alu 0xfffd
	v_add_co_ci_u32_e64 v6, null, v8, v6, vcc_lo
.LBB2458_65:
	s_wait_alu 0xfffe
	s_or_b32 exec_lo, exec_lo, s6
	v_cmp_gt_u32_e32 vcc_lo, 28, v47
	v_add_nc_u32_e32 v36, 4, v47
	s_mov_b32 s6, exec_lo
	s_wait_dscnt 0x0
	s_wait_alu 0xfffd
	v_cndmask_b32_e64 v8, 0, 4, vcc_lo
	s_delay_alu instid0(VALU_DEP_1)
	v_add_lshl_u32 v35, v8, v47, 2
	ds_bpermute_b32 v26, v35, v4
	ds_bpermute_b32 v8, v35, v6
	v_cmpx_le_u32_e64 v36, v3
	;; [unrolled: 25-line block ×3, first 2 shown]
	s_cbranch_execz .LBB2458_69
; %bb.68:
	s_wait_dscnt 0x1
	v_add_co_u32 v4, vcc_lo, v5, v26
	s_wait_alu 0xfffd
	v_add_co_ci_u32_e64 v6, null, 0, v6, vcc_lo
	s_delay_alu instid0(VALU_DEP_2) | instskip(SKIP_2) | instid1(VALU_DEP_2)
	v_add_co_u32 v5, vcc_lo, 0, v4
	s_wait_dscnt 0x0
	s_wait_alu 0xfffd
	v_add_co_ci_u32_e64 v6, null, v8, v6, vcc_lo
.LBB2458_69:
	s_wait_alu 0xfffe
	s_or_b32 exec_lo, exec_lo, s6
	v_lshl_or_b32 v51, v47, 2, 64
	v_add_nc_u32_e32 v52, 16, v47
	s_mov_b32 s6, exec_lo
	s_wait_dscnt 0x0
	ds_bpermute_b32 v8, v51, v4
	ds_bpermute_b32 v4, v51, v6
	v_cmpx_le_u32_e64 v52, v3
	s_cbranch_execz .LBB2458_71
; %bb.70:
	s_wait_dscnt 0x1
	v_add_co_u32 v3, vcc_lo, v5, v8
	s_wait_alu 0xfffd
	v_add_co_ci_u32_e64 v6, null, 0, v6, vcc_lo
	s_delay_alu instid0(VALU_DEP_2) | instskip(SKIP_2) | instid1(VALU_DEP_2)
	v_add_co_u32 v5, vcc_lo, v3, 0
	s_wait_dscnt 0x0
	s_wait_alu 0xfffd
	v_add_co_ci_u32_e64 v6, null, v6, v4, vcc_lo
.LBB2458_71:
	s_wait_alu 0xfffe
	s_or_b32 exec_lo, exec_lo, s6
	v_mov_b32_e32 v26, 0
	s_branch .LBB2458_74
.LBB2458_72:                            ;   in Loop: Header=BB2458_74 Depth=1
	s_wait_alu 0xfffe
	s_or_b32 exec_lo, exec_lo, s6
	v_add_co_u32 v5, vcc_lo, v5, v3
	v_subrev_nc_u32_e32 v25, 32, v25
	s_wait_alu 0xfffd
	v_add_co_ci_u32_e64 v6, null, v6, v4, vcc_lo
	s_mov_b32 s6, 0
.LBB2458_73:                            ;   in Loop: Header=BB2458_74 Depth=1
	s_wait_alu 0xfffe
	s_and_b32 vcc_lo, exec_lo, s6
	s_wait_alu 0xfffe
	s_cbranch_vccnz .LBB2458_90
.LBB2458_74:                            ; =>This Loop Header: Depth=1
                                        ;     Child Loop BB2458_77 Depth 2
	v_and_b32_e32 v3, 0xff, v7
	s_mov_b32 s6, -1
	s_delay_alu instid0(VALU_DEP_1)
	v_cmp_ne_u16_e32 vcc_lo, 2, v3
	s_wait_dscnt 0x0
	v_dual_mov_b32 v3, v5 :: v_dual_mov_b32 v4, v6
                                        ; implicit-def: $vgpr5_vgpr6
	s_cmp_lg_u32 vcc_lo, exec_lo
	s_cbranch_scc1 .LBB2458_73
; %bb.75:                               ;   in Loop: Header=BB2458_74 Depth=1
	v_lshlrev_b64_e32 v[5:6], 4, v[25:26]
	s_mov_b32 s6, exec_lo
	s_delay_alu instid0(VALU_DEP_1) | instskip(SKIP_1) | instid1(VALU_DEP_2)
	v_add_co_u32 v27, vcc_lo, s14, v5
	s_wait_alu 0xfffd
	v_add_co_ci_u32_e64 v28, null, s15, v6, vcc_lo
	;;#ASMSTART
	global_load_b128 v[5:8], v[27:28] off scope:SCOPE_DEV	
s_wait_loadcnt 0x0
	;;#ASMEND
	v_and_b32_e32 v8, 0xff, v7
	s_delay_alu instid0(VALU_DEP_1)
	v_cmpx_eq_u16_e32 0, v8
	s_cbranch_execz .LBB2458_79
; %bb.76:                               ;   in Loop: Header=BB2458_74 Depth=1
	s_mov_b32 s7, 0
.LBB2458_77:                            ;   Parent Loop BB2458_74 Depth=1
                                        ; =>  This Inner Loop Header: Depth=2
	;;#ASMSTART
	global_load_b128 v[5:8], v[27:28] off scope:SCOPE_DEV	
s_wait_loadcnt 0x0
	;;#ASMEND
	v_and_b32_e32 v8, 0xff, v7
	s_delay_alu instid0(VALU_DEP_1)
	v_cmp_ne_u16_e32 vcc_lo, 0, v8
	s_wait_alu 0xfffe
	s_or_b32 s7, vcc_lo, s7
	s_wait_alu 0xfffe
	s_and_not1_b32 exec_lo, exec_lo, s7
	s_cbranch_execnz .LBB2458_77
; %bb.78:                               ;   in Loop: Header=BB2458_74 Depth=1
	s_or_b32 exec_lo, exec_lo, s7
.LBB2458_79:                            ;   in Loop: Header=BB2458_74 Depth=1
	s_wait_alu 0xfffe
	s_or_b32 exec_lo, exec_lo, s6
	v_dual_mov_b32 v27, v5 :: v_dual_and_b32 v8, 0xff, v7
	ds_bpermute_b32 v53, v31, v5
	ds_bpermute_b32 v28, v31, v6
	s_mov_b32 s6, exec_lo
	v_cmp_eq_u16_e32 vcc_lo, 2, v8
	s_wait_alu 0xfffd
	v_and_or_b32 v8, vcc_lo, v32, 0x80000000
	s_delay_alu instid0(VALU_DEP_1) | instskip(NEXT) | instid1(VALU_DEP_1)
	v_ctz_i32_b32_e32 v8, v8
	v_cmpx_lt_u32_e64 v47, v8
	s_cbranch_execz .LBB2458_81
; %bb.80:                               ;   in Loop: Header=BB2458_74 Depth=1
	s_wait_dscnt 0x1
	v_add_co_u32 v27, vcc_lo, v5, v53
	s_wait_alu 0xfffd
	v_add_co_ci_u32_e64 v6, null, 0, v6, vcc_lo
	s_delay_alu instid0(VALU_DEP_2) | instskip(SKIP_2) | instid1(VALU_DEP_2)
	v_add_co_u32 v5, vcc_lo, 0, v27
	s_wait_dscnt 0x0
	s_wait_alu 0xfffd
	v_add_co_ci_u32_e64 v6, null, v28, v6, vcc_lo
.LBB2458_81:                            ;   in Loop: Header=BB2458_74 Depth=1
	s_wait_alu 0xfffe
	s_or_b32 exec_lo, exec_lo, s6
	s_wait_dscnt 0x1
	ds_bpermute_b32 v53, v33, v27
	s_wait_dscnt 0x1
	ds_bpermute_b32 v28, v33, v6
	s_mov_b32 s6, exec_lo
	v_cmpx_le_u32_e64 v34, v8
	s_cbranch_execz .LBB2458_83
; %bb.82:                               ;   in Loop: Header=BB2458_74 Depth=1
	s_wait_dscnt 0x1
	v_add_co_u32 v27, vcc_lo, v5, v53
	s_wait_alu 0xfffd
	v_add_co_ci_u32_e64 v6, null, 0, v6, vcc_lo
	s_delay_alu instid0(VALU_DEP_2) | instskip(SKIP_2) | instid1(VALU_DEP_2)
	v_add_co_u32 v5, vcc_lo, 0, v27
	s_wait_dscnt 0x0
	s_wait_alu 0xfffd
	v_add_co_ci_u32_e64 v6, null, v28, v6, vcc_lo
.LBB2458_83:                            ;   in Loop: Header=BB2458_74 Depth=1
	s_wait_alu 0xfffe
	s_or_b32 exec_lo, exec_lo, s6
	s_wait_dscnt 0x1
	ds_bpermute_b32 v53, v35, v27
	s_wait_dscnt 0x1
	ds_bpermute_b32 v28, v35, v6
	s_mov_b32 s6, exec_lo
	v_cmpx_le_u32_e64 v36, v8
	;; [unrolled: 20-line block ×3, first 2 shown]
	s_cbranch_execz .LBB2458_87
; %bb.86:                               ;   in Loop: Header=BB2458_74 Depth=1
	s_wait_dscnt 0x1
	v_add_co_u32 v27, vcc_lo, v5, v53
	s_wait_alu 0xfffd
	v_add_co_ci_u32_e64 v6, null, 0, v6, vcc_lo
	s_delay_alu instid0(VALU_DEP_2) | instskip(SKIP_2) | instid1(VALU_DEP_2)
	v_add_co_u32 v5, vcc_lo, 0, v27
	s_wait_dscnt 0x0
	s_wait_alu 0xfffd
	v_add_co_ci_u32_e64 v6, null, v28, v6, vcc_lo
.LBB2458_87:                            ;   in Loop: Header=BB2458_74 Depth=1
	s_wait_alu 0xfffe
	s_or_b32 exec_lo, exec_lo, s6
	s_wait_dscnt 0x0
	ds_bpermute_b32 v28, v51, v27
	ds_bpermute_b32 v27, v51, v6
	s_mov_b32 s6, exec_lo
	v_cmpx_le_u32_e64 v52, v8
	s_cbranch_execz .LBB2458_72
; %bb.88:                               ;   in Loop: Header=BB2458_74 Depth=1
	s_wait_dscnt 0x1
	v_add_co_u32 v5, vcc_lo, v5, v28
	s_wait_alu 0xfffd
	v_add_co_ci_u32_e64 v6, null, 0, v6, vcc_lo
	s_delay_alu instid0(VALU_DEP_2) | instskip(SKIP_2) | instid1(VALU_DEP_2)
	v_add_co_u32 v5, vcc_lo, v5, 0
	s_wait_dscnt 0x0
	s_wait_alu 0xfffd
	v_add_co_ci_u32_e64 v6, null, v6, v27, vcc_lo
	s_branch .LBB2458_72
.LBB2458_89:
                                        ; implicit-def: $vgpr23_vgpr24
                                        ; implicit-def: $vgpr6_vgpr7
                                        ; implicit-def: $vgpr25_vgpr26
                                        ; implicit-def: $vgpr27_vgpr28
                                        ; implicit-def: $vgpr29_vgpr30
                                        ; implicit-def: $vgpr31_vgpr32
                                        ; implicit-def: $vgpr33_vgpr34
                                        ; implicit-def: $vgpr35_vgpr36
                                        ; implicit-def: $vgpr4_vgpr5
	s_and_b32 vcc_lo, exec_lo, s1
	s_wait_alu 0xfffe
	s_cbranch_vccnz .LBB2458_95
	s_branch .LBB2458_120
.LBB2458_90:
	s_and_saveexec_b32 s6, s1
	s_cbranch_execz .LBB2458_92
; %bb.91:
	s_add_co_i32 s8, s20, 32
	s_mov_b32 s9, 0
	v_add_co_u32 v5, vcc_lo, v3, v1
	s_wait_alu 0xfffe
	s_lshl_b64 s[8:9], s[8:9], 4
	v_dual_mov_b32 v7, 2 :: v_dual_mov_b32 v8, 0
	s_wait_alu 0xfffe
	s_add_nc_u64 s[8:9], s[14:15], s[8:9]
	s_wait_alu 0xfffd
	v_add_co_ci_u32_e64 v6, null, v4, v2, vcc_lo
	s_wait_alu 0xfffe
	v_dual_mov_b32 v26, s9 :: v_dual_mov_b32 v25, s8
	;;#ASMSTART
	global_store_b128 v[25:26], v[5:8] off scope:SCOPE_DEV	
s_wait_storecnt 0x0
	;;#ASMEND
	ds_store_b128 v8, v[1:4] offset:6336
.LBB2458_92:
	s_wait_alu 0xfffe
	s_or_b32 exec_lo, exec_lo, s6
	s_delay_alu instid0(SALU_CYCLE_1)
	s_and_b32 exec_lo, exec_lo, s2
; %bb.93:
	v_mov_b32_e32 v1, 0
	ds_store_b64 v1, v[3:4] offset:40
.LBB2458_94:
	s_wait_alu 0xfffe
	s_or_b32 exec_lo, exec_lo, s3
	v_mov_b32_e32 v3, 0
	s_wait_loadcnt_dscnt 0x0
	s_barrier_signal -1
	s_barrier_wait -1
	global_inv scope:SCOPE_SE
	ds_load_b64 v[1:2], v3 offset:40
	v_cndmask_b32_e64 v4, v29, v23, s1
	v_cndmask_b32_e64 v5, v30, v24, s1
	s_wait_loadcnt_dscnt 0x0
	s_barrier_signal -1
	s_barrier_wait -1
	v_cndmask_b32_e64 v4, v4, 0, s2
	v_cndmask_b32_e64 v5, v5, 0, s2
	global_inv scope:SCOPE_SE
	v_add_co_u32 v35, vcc_lo, v1, v4
	s_wait_alu 0xfffd
	v_add_co_ci_u32_e64 v36, null, v2, v5, vcc_lo
	ds_load_b128 v[2:5], v3 offset:6336
	v_add_co_u32 v33, vcc_lo, v35, v43
	s_wait_alu 0xfffd
	v_add_co_ci_u32_e64 v34, null, 0, v36, vcc_lo
	s_delay_alu instid0(VALU_DEP_2) | instskip(SKIP_1) | instid1(VALU_DEP_2)
	v_add_co_u32 v31, vcc_lo, v33, v42
	s_wait_alu 0xfffd
	v_add_co_ci_u32_e64 v32, null, 0, v34, vcc_lo
	s_delay_alu instid0(VALU_DEP_2) | instskip(SKIP_1) | instid1(VALU_DEP_2)
	;; [unrolled: 4-line block ×6, first 2 shown]
	v_add_co_u32 v23, vcc_lo, v6, v44
	s_wait_alu 0xfffd
	v_add_co_ci_u32_e64 v24, null, 0, v7, vcc_lo
	s_branch .LBB2458_120
.LBB2458_95:
	s_wait_dscnt 0x0
	v_dual_mov_b32 v2, 0 :: v_dual_mov_b32 v3, v21
	v_mov_b32_dpp v4, v21 row_shr:1 row_mask:0xf bank_mask:0xf
	s_delay_alu instid0(VALU_DEP_2)
	v_mov_b32_dpp v1, v2 row_shr:1 row_mask:0xf bank_mask:0xf
	s_and_saveexec_b32 s1, s0
; %bb.96:
	s_delay_alu instid0(VALU_DEP_2) | instskip(SKIP_2) | instid1(VALU_DEP_2)
	v_add_co_u32 v3, vcc_lo, v21, v4
	s_wait_alu 0xfffd
	v_add_co_ci_u32_e64 v2, null, 0, v22, vcc_lo
	v_add_co_u32 v21, vcc_lo, 0, v3
	s_wait_alu 0xfffd
	s_delay_alu instid0(VALU_DEP_2) | instskip(NEXT) | instid1(VALU_DEP_1)
	v_add_co_ci_u32_e64 v22, null, v1, v2, vcc_lo
	v_mov_b32_e32 v2, v22
; %bb.97:
	s_wait_alu 0xfffe
	s_or_b32 exec_lo, exec_lo, s1
	v_mov_b32_dpp v1, v3 row_shr:2 row_mask:0xf bank_mask:0xf
	s_delay_alu instid0(VALU_DEP_2)
	v_mov_b32_dpp v4, v2 row_shr:2 row_mask:0xf bank_mask:0xf
	s_mov_b32 s0, exec_lo
	v_cmpx_lt_u32_e32 1, v48
; %bb.98:
	s_delay_alu instid0(VALU_DEP_3) | instskip(SKIP_2) | instid1(VALU_DEP_2)
	v_add_co_u32 v3, vcc_lo, v21, v1
	s_wait_alu 0xfffd
	v_add_co_ci_u32_e64 v2, null, 0, v22, vcc_lo
	v_add_co_u32 v1, vcc_lo, 0, v3
	s_wait_alu 0xfffd
	s_delay_alu instid0(VALU_DEP_2) | instskip(NEXT) | instid1(VALU_DEP_1)
	v_add_co_ci_u32_e64 v2, null, v4, v2, vcc_lo
	v_dual_mov_b32 v22, v2 :: v_dual_mov_b32 v21, v1
; %bb.99:
	s_wait_alu 0xfffe
	s_or_b32 exec_lo, exec_lo, s0
	v_mov_b32_dpp v1, v3 row_shr:4 row_mask:0xf bank_mask:0xf
	v_mov_b32_dpp v4, v2 row_shr:4 row_mask:0xf bank_mask:0xf
	s_mov_b32 s0, exec_lo
	v_cmpx_lt_u32_e32 3, v48
; %bb.100:
	s_delay_alu instid0(VALU_DEP_3) | instskip(SKIP_2) | instid1(VALU_DEP_2)
	v_add_co_u32 v3, vcc_lo, v21, v1
	s_wait_alu 0xfffd
	v_add_co_ci_u32_e64 v2, null, 0, v22, vcc_lo
	v_add_co_u32 v1, vcc_lo, 0, v3
	s_wait_alu 0xfffd
	s_delay_alu instid0(VALU_DEP_2) | instskip(NEXT) | instid1(VALU_DEP_1)
	v_add_co_ci_u32_e64 v2, null, v4, v2, vcc_lo
	v_dual_mov_b32 v22, v2 :: v_dual_mov_b32 v21, v1
; %bb.101:
	s_wait_alu 0xfffe
	s_or_b32 exec_lo, exec_lo, s0
	v_mov_b32_dpp v4, v3 row_shr:8 row_mask:0xf bank_mask:0xf
	v_mov_b32_dpp v1, v2 row_shr:8 row_mask:0xf bank_mask:0xf
	s_mov_b32 s0, exec_lo
	v_cmpx_lt_u32_e32 7, v48
; %bb.102:
	s_delay_alu instid0(VALU_DEP_3) | instskip(SKIP_2) | instid1(VALU_DEP_2)
	v_add_co_u32 v3, vcc_lo, v21, v4
	s_wait_alu 0xfffd
	v_add_co_ci_u32_e64 v2, null, 0, v22, vcc_lo
	v_add_co_u32 v21, vcc_lo, 0, v3
	s_wait_alu 0xfffd
	s_delay_alu instid0(VALU_DEP_2) | instskip(NEXT) | instid1(VALU_DEP_1)
	v_add_co_ci_u32_e64 v22, null, v1, v2, vcc_lo
	v_mov_b32_e32 v2, v22
; %bb.103:
	s_wait_alu 0xfffe
	s_or_b32 exec_lo, exec_lo, s0
	ds_swizzle_b32 v3, v3 offset:swizzle(BROADCAST,32,15)
	ds_swizzle_b32 v1, v2 offset:swizzle(BROADCAST,32,15)
	v_and_b32_e32 v2, 16, v47
	s_mov_b32 s0, exec_lo
	s_delay_alu instid0(VALU_DEP_1)
	v_cmpx_ne_u32_e32 0, v2
	s_cbranch_execz .LBB2458_105
; %bb.104:
	s_wait_dscnt 0x1
	v_add_co_u32 v2, vcc_lo, v21, v3
	s_wait_alu 0xfffd
	v_add_co_ci_u32_e64 v3, null, 0, v22, vcc_lo
	s_delay_alu instid0(VALU_DEP_2) | instskip(SKIP_2) | instid1(VALU_DEP_2)
	v_add_co_u32 v21, vcc_lo, v2, 0
	s_wait_dscnt 0x0
	s_wait_alu 0xfffd
	v_add_co_ci_u32_e64 v22, null, v3, v1, vcc_lo
.LBB2458_105:
	s_wait_alu 0xfffe
	s_or_b32 exec_lo, exec_lo, s0
	s_wait_dscnt 0x0
	v_and_b32_e32 v1, 0xe0, v0
	s_mov_b32 s0, exec_lo
	s_delay_alu instid0(VALU_DEP_1) | instskip(NEXT) | instid1(VALU_DEP_1)
	v_min_u32_e32 v1, 0xa0, v1
	v_or_b32_e32 v1, 31, v1
	s_delay_alu instid0(VALU_DEP_1)
	v_cmpx_eq_u32_e64 v0, v1
; %bb.106:
	v_lshlrev_b32_e32 v1, 3, v37
	ds_store_b64 v1, v[21:22]
; %bb.107:
	s_wait_alu 0xfffe
	s_or_b32 exec_lo, exec_lo, s0
	s_delay_alu instid0(SALU_CYCLE_1)
	s_mov_b32 s0, exec_lo
	s_wait_loadcnt_dscnt 0x0
	s_barrier_signal -1
	s_barrier_wait -1
	global_inv scope:SCOPE_SE
	v_cmpx_gt_u32_e32 6, v0
	s_cbranch_execz .LBB2458_115
; %bb.108:
	ds_load_b64 v[1:2], v40
	v_and_b32_e32 v3, 7, v47
	s_mov_b32 s1, exec_lo
	s_wait_dscnt 0x0
	v_mov_b32_dpp v6, v1 row_shr:1 row_mask:0xf bank_mask:0xf
	v_mov_b32_dpp v5, v2 row_shr:1 row_mask:0xf bank_mask:0xf
	v_mov_b32_e32 v4, v1
	v_cmpx_ne_u32_e32 0, v3
; %bb.109:
	s_delay_alu instid0(VALU_DEP_4) | instskip(SKIP_2) | instid1(VALU_DEP_2)
	v_add_co_u32 v4, vcc_lo, v1, v6
	s_wait_alu 0xfffd
	v_add_co_ci_u32_e64 v2, null, 0, v2, vcc_lo
	v_add_co_u32 v1, vcc_lo, 0, v4
	s_wait_alu 0xfffd
	s_delay_alu instid0(VALU_DEP_2)
	v_add_co_ci_u32_e64 v2, null, v5, v2, vcc_lo
; %bb.110:
	s_wait_alu 0xfffe
	s_or_b32 exec_lo, exec_lo, s1
	v_mov_b32_dpp v6, v4 row_shr:2 row_mask:0xf bank_mask:0xf
	s_delay_alu instid0(VALU_DEP_2)
	v_mov_b32_dpp v5, v2 row_shr:2 row_mask:0xf bank_mask:0xf
	s_mov_b32 s1, exec_lo
	v_cmpx_lt_u32_e32 1, v3
; %bb.111:
	s_delay_alu instid0(VALU_DEP_3) | instskip(SKIP_2) | instid1(VALU_DEP_2)
	v_add_co_u32 v4, vcc_lo, v1, v6
	s_wait_alu 0xfffd
	v_add_co_ci_u32_e64 v2, null, 0, v2, vcc_lo
	v_add_co_u32 v1, vcc_lo, 0, v4
	s_wait_alu 0xfffd
	s_delay_alu instid0(VALU_DEP_2)
	v_add_co_ci_u32_e64 v2, null, v5, v2, vcc_lo
; %bb.112:
	s_wait_alu 0xfffe
	s_or_b32 exec_lo, exec_lo, s1
	v_mov_b32_dpp v5, v4 row_shr:4 row_mask:0xf bank_mask:0xf
	s_delay_alu instid0(VALU_DEP_2)
	v_mov_b32_dpp v4, v2 row_shr:4 row_mask:0xf bank_mask:0xf
	s_mov_b32 s1, exec_lo
	v_cmpx_lt_u32_e32 3, v3
; %bb.113:
	s_delay_alu instid0(VALU_DEP_3) | instskip(SKIP_2) | instid1(VALU_DEP_2)
	v_add_co_u32 v1, vcc_lo, v1, v5
	s_wait_alu 0xfffd
	v_add_co_ci_u32_e64 v2, null, 0, v2, vcc_lo
	v_add_co_u32 v1, vcc_lo, v1, 0
	s_wait_alu 0xfffd
	s_delay_alu instid0(VALU_DEP_2)
	v_add_co_ci_u32_e64 v2, null, v2, v4, vcc_lo
; %bb.114:
	s_wait_alu 0xfffe
	s_or_b32 exec_lo, exec_lo, s1
	ds_store_b64 v40, v[1:2]
.LBB2458_115:
	s_wait_alu 0xfffe
	s_or_b32 exec_lo, exec_lo, s0
	v_mov_b32_e32 v6, 0
	v_mov_b32_e32 v7, 0
	s_mov_b32 s0, exec_lo
	s_wait_loadcnt_dscnt 0x0
	s_barrier_signal -1
	s_barrier_wait -1
	global_inv scope:SCOPE_SE
	v_cmpx_lt_u32_e32 31, v0
; %bb.116:
	v_lshl_add_u32 v1, v37, 3, -8
	ds_load_b64 v[6:7], v1
; %bb.117:
	s_wait_alu 0xfffe
	s_or_b32 exec_lo, exec_lo, s0
	v_sub_co_u32 v1, vcc_lo, v47, 1
	v_mov_b32_e32 v5, 0
	s_delay_alu instid0(VALU_DEP_2) | instskip(SKIP_1) | instid1(VALU_DEP_1)
	v_cmp_gt_i32_e64 s0, 0, v1
	s_wait_alu 0xf1ff
	v_cndmask_b32_e64 v1, v1, v47, s0
	s_delay_alu instid0(VALU_DEP_1)
	v_lshlrev_b32_e32 v2, 2, v1
	s_wait_dscnt 0x0
	v_add_co_u32 v1, s0, v6, v21
	s_wait_alu 0xf1ff
	v_add_co_ci_u32_e64 v3, null, v7, v22, s0
	ds_bpermute_b32 v1, v2, v1
	ds_bpermute_b32 v8, v2, v3
	ds_load_b64 v[2:3], v5 offset:40
	s_and_saveexec_b32 s0, s2
	s_cbranch_execz .LBB2458_119
; %bb.118:
	s_add_nc_u64 s[6:7], s[14:15], 0x200
	v_mov_b32_e32 v4, 2
	s_wait_alu 0xfffe
	v_dual_mov_b32 v22, s7 :: v_dual_mov_b32 v21, s6
	s_wait_dscnt 0x0
	;;#ASMSTART
	global_store_b128 v[21:22], v[2:5] off scope:SCOPE_DEV	
s_wait_storecnt 0x0
	;;#ASMEND
.LBB2458_119:
	s_wait_alu 0xfffe
	s_or_b32 exec_lo, exec_lo, s0
	s_wait_dscnt 0x1
	s_wait_alu 0xfffd
	v_dual_cndmask_b32 v1, v1, v6 :: v_dual_cndmask_b32 v4, v8, v7
	s_wait_loadcnt_dscnt 0x0
	s_barrier_signal -1
	s_barrier_wait -1
	s_delay_alu instid0(VALU_DEP_1)
	v_cndmask_b32_e64 v35, v1, 0, s2
	v_cndmask_b32_e64 v36, v4, 0, s2
	v_mov_b32_e32 v4, 0
	v_mov_b32_e32 v5, 0
	global_inv scope:SCOPE_SE
	v_add_co_u32 v33, vcc_lo, v35, v43
	s_wait_alu 0xfffd
	v_add_co_ci_u32_e64 v34, null, 0, v36, vcc_lo
	s_delay_alu instid0(VALU_DEP_2) | instskip(SKIP_1) | instid1(VALU_DEP_2)
	v_add_co_u32 v31, vcc_lo, v33, v42
	s_wait_alu 0xfffd
	v_add_co_ci_u32_e64 v32, null, 0, v34, vcc_lo
	s_delay_alu instid0(VALU_DEP_2) | instskip(SKIP_1) | instid1(VALU_DEP_2)
	;; [unrolled: 4-line block ×6, first 2 shown]
	v_add_co_u32 v23, vcc_lo, v6, v44
	s_wait_alu 0xfffd
	v_add_co_ci_u32_e64 v24, null, 0, v7, vcc_lo
.LBB2458_120:
	v_lshrrev_b32_e32 v40, 8, v19
	v_lshrrev_b32_e32 v37, 16, v19
	v_and_b32_e32 v19, 1, v19
	s_wait_dscnt 0x0
	v_cmp_gt_u64_e32 vcc_lo, 0xc1, v[2:3]
	v_lshrrev_b32_e32 v8, 8, v20
	v_lshrrev_b32_e32 v1, 16, v20
	s_mov_b32 s1, -1
	v_cmp_eq_u32_e64 s0, 1, v19
	s_cbranch_vccnz .LBB2458_124
; %bb.121:
	s_wait_alu 0xfffe
	s_and_b32 vcc_lo, exec_lo, s1
	s_wait_alu 0xfffe
	s_cbranch_vccnz .LBB2458_141
.LBB2458_122:
	s_and_b32 s0, s2, s18
	s_wait_alu 0xfffe
	s_and_saveexec_b32 s1, s0
	s_cbranch_execnz .LBB2458_161
.LBB2458_123:
	s_endpgm
.LBB2458_124:
	v_add_co_u32 v21, vcc_lo, v4, v2
	s_wait_alu 0xfffd
	v_add_co_ci_u32_e64 v22, null, v5, v3, vcc_lo
	v_lshlrev_b64_e32 v[41:42], 2, v[9:10]
	s_delay_alu instid0(VALU_DEP_2) | instskip(NEXT) | instid1(VALU_DEP_2)
	v_cmp_lt_u64_e32 vcc_lo, v[35:36], v[21:22]
	v_add_co_u32 v41, s1, s12, v41
	s_wait_alu 0xf1fe
	s_delay_alu instid0(VALU_DEP_3)
	v_add_co_ci_u32_e64 v42, null, s13, v42, s1
	s_or_b32 s1, s19, vcc_lo
	s_wait_alu 0xfffe
	s_and_b32 s1, s1, s0
	s_wait_alu 0xfffe
	s_and_saveexec_b32 s0, s1
	s_cbranch_execz .LBB2458_126
; %bb.125:
	v_lshlrev_b64_e32 v[43:44], 2, v[35:36]
	s_delay_alu instid0(VALU_DEP_1) | instskip(SKIP_1) | instid1(VALU_DEP_2)
	v_add_co_u32 v43, vcc_lo, v41, v43
	s_wait_alu 0xfffd
	v_add_co_ci_u32_e64 v44, null, v42, v44, vcc_lo
	global_store_b32 v[43:44], v17, off
.LBB2458_126:
	s_wait_alu 0xfffe
	s_or_b32 exec_lo, exec_lo, s0
	v_and_b32_e32 v36, 1, v40
	v_cmp_lt_u64_e32 vcc_lo, v[33:34], v[21:22]
	s_delay_alu instid0(VALU_DEP_2)
	v_cmp_eq_u32_e64 s0, 1, v36
	s_or_b32 s1, s19, vcc_lo
	s_wait_alu 0xfffe
	s_and_b32 s1, s1, s0
	s_wait_alu 0xfffe
	s_and_saveexec_b32 s0, s1
	s_cbranch_execz .LBB2458_128
; %bb.127:
	v_lshlrev_b64_e32 v[43:44], 2, v[33:34]
	s_delay_alu instid0(VALU_DEP_1) | instskip(SKIP_1) | instid1(VALU_DEP_2)
	v_add_co_u32 v43, vcc_lo, v41, v43
	s_wait_alu 0xfffd
	v_add_co_ci_u32_e64 v44, null, v42, v44, vcc_lo
	global_store_b32 v[43:44], v18, off
.LBB2458_128:
	s_wait_alu 0xfffe
	s_or_b32 exec_lo, exec_lo, s0
	v_and_b32_e32 v34, 1, v37
	v_cmp_lt_u64_e32 vcc_lo, v[31:32], v[21:22]
	s_delay_alu instid0(VALU_DEP_2)
	v_cmp_eq_u32_e64 s0, 1, v34
	;; [unrolled: 20-line block ×7, first 2 shown]
	s_or_b32 s1, s19, vcc_lo
	s_wait_alu 0xfffe
	s_and_b32 s1, s1, s0
	s_wait_alu 0xfffe
	s_and_saveexec_b32 s0, s1
	s_cbranch_execz .LBB2458_140
; %bb.139:
	v_lshlrev_b64_e32 v[21:22], 2, v[23:24]
	s_delay_alu instid0(VALU_DEP_1) | instskip(SKIP_1) | instid1(VALU_DEP_2)
	v_add_co_u32 v21, vcc_lo, v41, v21
	s_wait_alu 0xfffd
	v_add_co_ci_u32_e64 v22, null, v42, v22, vcc_lo
	global_store_b32 v[21:22], v12, off
.LBB2458_140:
	s_wait_alu 0xfffe
	s_or_b32 exec_lo, exec_lo, s0
	s_branch .LBB2458_122
.LBB2458_141:
	s_mov_b32 s0, exec_lo
	v_cmpx_eq_u32_e32 1, v19
; %bb.142:
	v_sub_nc_u32_e32 v7, v35, v4
	s_delay_alu instid0(VALU_DEP_1)
	v_lshlrev_b32_e32 v7, 2, v7
	ds_store_b32 v7, v17
; %bb.143:
	s_wait_alu 0xfffe
	s_or_b32 exec_lo, exec_lo, s0
	v_and_b32_e32 v7, 1, v40
	s_mov_b32 s0, exec_lo
	s_delay_alu instid0(VALU_DEP_1)
	v_cmpx_eq_u32_e32 1, v7
; %bb.144:
	v_sub_nc_u32_e32 v7, v33, v4
	s_delay_alu instid0(VALU_DEP_1)
	v_lshlrev_b32_e32 v7, 2, v7
	ds_store_b32 v7, v18
; %bb.145:
	s_wait_alu 0xfffe
	s_or_b32 exec_lo, exec_lo, s0
	v_and_b32_e32 v7, 1, v37
	s_mov_b32 s0, exec_lo
	s_delay_alu instid0(VALU_DEP_1)
	;; [unrolled: 12-line block ×7, first 2 shown]
	v_cmpx_eq_u32_e32 1, v1
; %bb.156:
	v_sub_nc_u32_e32 v1, v23, v4
	s_delay_alu instid0(VALU_DEP_1)
	v_lshlrev_b32_e32 v1, 2, v1
	ds_store_b32 v1, v12
; %bb.157:
	s_wait_alu 0xfffe
	s_or_b32 exec_lo, exec_lo, s0
	v_mov_b32_e32 v1, 0
	s_mov_b32 s1, exec_lo
	s_wait_storecnt 0x0
	s_wait_loadcnt_dscnt 0x0
	s_barrier_signal -1
	s_barrier_wait -1
	global_inv scope:SCOPE_SE
	v_cmpx_gt_u64_e64 v[2:3], v[0:1]
	s_cbranch_execz .LBB2458_160
; %bb.158:
	v_lshlrev_b64_e32 v[6:7], 2, v[4:5]
	v_lshlrev_b64_e32 v[11:12], 2, v[9:10]
	s_mov_b32 s3, 0
	s_delay_alu instid0(VALU_DEP_2) | instskip(SKIP_1) | instid1(VALU_DEP_3)
	v_add_co_u32 v8, vcc_lo, s12, v6
	s_wait_alu 0xfffd
	v_add_co_ci_u32_e64 v13, null, s13, v7, vcc_lo
	v_dual_mov_b32 v7, v1 :: v_dual_mov_b32 v6, v0
	s_delay_alu instid0(VALU_DEP_3) | instskip(SKIP_1) | instid1(VALU_DEP_3)
	v_add_co_u32 v8, vcc_lo, v8, v11
	s_wait_alu 0xfffd
	v_add_co_ci_u32_e64 v11, null, v13, v12, vcc_lo
	v_add_nc_u32_e32 v0, 0xc0, v0
.LBB2458_159:                           ; =>This Inner Loop Header: Depth=1
	v_lshlrev_b32_e32 v12, 2, v6
	s_delay_alu instid0(VALU_DEP_2)
	v_cmp_le_u64_e32 vcc_lo, v[2:3], v[0:1]
	ds_load_b32 v14, v12
	v_lshlrev_b64_e32 v[12:13], 2, v[6:7]
	v_dual_mov_b32 v7, v1 :: v_dual_mov_b32 v6, v0
	v_add_nc_u32_e32 v0, 0xc0, v0
	s_wait_alu 0xfffe
	s_or_b32 s3, vcc_lo, s3
	s_delay_alu instid0(VALU_DEP_3)
	v_add_co_u32 v12, s0, v8, v12
	s_wait_alu 0xf1ff
	v_add_co_ci_u32_e64 v13, null, v11, v13, s0
	s_wait_dscnt 0x0
	global_store_b32 v[12:13], v14, off
	s_wait_alu 0xfffe
	s_and_not1_b32 exec_lo, exec_lo, s3
	s_cbranch_execnz .LBB2458_159
.LBB2458_160:
	s_wait_alu 0xfffe
	s_or_b32 exec_lo, exec_lo, s1
	s_and_b32 s0, s2, s18
	s_wait_alu 0xfffe
	s_and_saveexec_b32 s1, s0
	s_cbranch_execz .LBB2458_123
.LBB2458_161:
	v_add_co_u32 v0, vcc_lo, v4, v2
	s_wait_alu 0xfffd
	v_add_co_ci_u32_e64 v1, null, v5, v3, vcc_lo
	v_mov_b32_e32 v2, 0
	s_delay_alu instid0(VALU_DEP_3) | instskip(SKIP_1) | instid1(VALU_DEP_3)
	v_add_co_u32 v0, vcc_lo, v0, v9
	s_wait_alu 0xfffd
	v_add_co_ci_u32_e64 v1, null, v1, v10, vcc_lo
	global_store_b64 v2, v[0:1], s[4:5]
	s_endpgm
.LBB2458_162:
	v_add_co_u32 v14, s1, s8, v11
	s_wait_alu 0xf1ff
	v_add_co_ci_u32_e64 v15, null, s9, 0, s1
	flat_load_b32 v2, v[14:15] offset:768
	s_wait_alu 0xfffe
	s_or_b32 exec_lo, exec_lo, s0
	s_delay_alu instid0(SALU_CYCLE_1)
	s_mov_b32 s0, exec_lo
	v_cmpx_gt_u32_e64 s3, v24
	s_cbranch_execz .LBB2458_11
.LBB2458_163:
	v_add_co_u32 v14, s1, s8, v11
	s_wait_alu 0xf1ff
	v_add_co_ci_u32_e64 v15, null, s9, 0, s1
	flat_load_b32 v3, v[14:15] offset:1536
	s_wait_alu 0xfffe
	s_or_b32 exec_lo, exec_lo, s0
	s_delay_alu instid0(SALU_CYCLE_1)
	s_mov_b32 s0, exec_lo
	v_cmpx_gt_u32_e64 s3, v23
	s_cbranch_execz .LBB2458_12
.LBB2458_164:
	v_add_co_u32 v14, s1, s8, v11
	s_wait_alu 0xf1ff
	v_add_co_ci_u32_e64 v15, null, s9, 0, s1
	flat_load_b32 v4, v[14:15] offset:2304
	s_wait_alu 0xfffe
	s_or_b32 exec_lo, exec_lo, s0
	s_delay_alu instid0(SALU_CYCLE_1)
	s_mov_b32 s0, exec_lo
	v_cmpx_gt_u32_e64 s3, v22
	s_cbranch_execz .LBB2458_13
.LBB2458_165:
	v_add_co_u32 v14, s1, s8, v11
	s_wait_alu 0xf1ff
	v_add_co_ci_u32_e64 v15, null, s9, 0, s1
	flat_load_b32 v5, v[14:15] offset:3072
	s_wait_alu 0xfffe
	s_or_b32 exec_lo, exec_lo, s0
	s_delay_alu instid0(SALU_CYCLE_1)
	s_mov_b32 s0, exec_lo
	v_cmpx_gt_u32_e64 s3, v21
	s_cbranch_execz .LBB2458_14
.LBB2458_166:
	v_add_co_u32 v14, s1, s8, v11
	s_wait_alu 0xf1ff
	v_add_co_ci_u32_e64 v15, null, s9, 0, s1
	flat_load_b32 v6, v[14:15] offset:3840
	s_wait_alu 0xfffe
	s_or_b32 exec_lo, exec_lo, s0
	s_delay_alu instid0(SALU_CYCLE_1)
	s_mov_b32 s0, exec_lo
	v_cmpx_gt_u32_e64 s3, v20
	s_cbranch_execz .LBB2458_15
.LBB2458_167:
	v_add_co_u32 v14, s1, s8, v11
	s_wait_alu 0xf1ff
	v_add_co_ci_u32_e64 v15, null, s9, 0, s1
	flat_load_b32 v7, v[14:15] offset:4608
	s_wait_alu 0xfffe
	s_or_b32 exec_lo, exec_lo, s0
	s_delay_alu instid0(SALU_CYCLE_1)
	s_mov_b32 s0, exec_lo
	v_cmpx_gt_u32_e64 s3, v19
	s_cbranch_execnz .LBB2458_16
	s_branch .LBB2458_17
.LBB2458_168:
	global_load_u8 v6, v0, s[0:1] offset:192
	v_and_b32_e32 v7, 0xff, v2
	s_wait_loadcnt 0x0
	v_xor_b32_e32 v6, 1, v6
	s_delay_alu instid0(VALU_DEP_1) | instskip(NEXT) | instid1(VALU_DEP_1)
	v_lshlrev_b16 v6, 8, v6
	v_or_b32_e32 v6, v7, v6
	s_delay_alu instid0(VALU_DEP_1) | instskip(NEXT) | instid1(VALU_DEP_1)
	v_and_b32_e32 v6, 0xffff, v6
	v_and_or_b32 v2, 0xffff0000, v2, v6
	s_wait_alu 0xfffe
	s_or_b32 exec_lo, exec_lo, s6
	s_delay_alu instid0(SALU_CYCLE_1)
	s_mov_b32 s6, exec_lo
	v_cmpx_gt_u32_e64 s3, v24
	s_cbranch_execz .LBB2458_25
.LBB2458_169:
	global_load_u8 v6, v0, s[0:1] offset:384
	v_lshrrev_b32_e32 v7, 16, v2
	s_delay_alu instid0(VALU_DEP_1) | instskip(SKIP_2) | instid1(VALU_DEP_1)
	v_and_b32_e32 v7, 0xffffff00, v7
	s_wait_loadcnt 0x0
	v_xor_b32_e32 v6, 1, v6
	v_or_b32_e32 v6, v6, v7
	s_delay_alu instid0(VALU_DEP_1) | instskip(NEXT) | instid1(VALU_DEP_1)
	v_lshlrev_b32_e32 v6, 16, v6
	v_and_or_b32 v2, 0xffff, v2, v6
	s_wait_alu 0xfffe
	s_or_b32 exec_lo, exec_lo, s6
	s_delay_alu instid0(SALU_CYCLE_1)
	s_mov_b32 s6, exec_lo
	v_cmpx_gt_u32_e64 s3, v23
	s_cbranch_execz .LBB2458_26
.LBB2458_170:
	global_load_u8 v6, v0, s[0:1] offset:576
	v_lshrrev_b32_e32 v7, 16, v2
	s_delay_alu instid0(VALU_DEP_1) | instskip(SKIP_2) | instid1(VALU_DEP_1)
	v_and_b32_e32 v7, 0xff, v7
	s_wait_loadcnt 0x0
	v_xor_b32_e32 v6, 1, v6
	v_lshlrev_b16 v6, 8, v6
	s_delay_alu instid0(VALU_DEP_1) | instskip(NEXT) | instid1(VALU_DEP_1)
	v_or_b32_e32 v6, v7, v6
	v_lshlrev_b32_e32 v6, 16, v6
	s_delay_alu instid0(VALU_DEP_1) | instskip(SKIP_2) | instid1(SALU_CYCLE_1)
	v_and_or_b32 v2, 0xffff, v2, v6
	s_wait_alu 0xfffe
	s_or_b32 exec_lo, exec_lo, s6
	s_mov_b32 s6, exec_lo
	v_cmpx_gt_u32_e64 s3, v22
	s_cbranch_execz .LBB2458_27
.LBB2458_171:
	global_load_u8 v6, v0, s[0:1] offset:768
	v_and_b32_e32 v7, 0xffffff00, v3
	s_wait_loadcnt 0x0
	v_xor_b32_e32 v6, 1, v6
	s_delay_alu instid0(VALU_DEP_1) | instskip(NEXT) | instid1(VALU_DEP_1)
	v_or_b32_e32 v6, v6, v7
	v_and_b32_e32 v6, 0xffff, v6
	s_delay_alu instid0(VALU_DEP_1) | instskip(SKIP_2) | instid1(SALU_CYCLE_1)
	v_and_or_b32 v3, 0xffff0000, v3, v6
	s_wait_alu 0xfffe
	s_or_b32 exec_lo, exec_lo, s6
	s_mov_b32 s6, exec_lo
	v_cmpx_gt_u32_e64 s3, v21
	s_cbranch_execz .LBB2458_28
.LBB2458_172:
	global_load_u8 v6, v0, s[0:1] offset:960
	v_and_b32_e32 v7, 0xff, v3
	s_wait_loadcnt 0x0
	v_xor_b32_e32 v6, 1, v6
	s_delay_alu instid0(VALU_DEP_1) | instskip(NEXT) | instid1(VALU_DEP_1)
	v_lshlrev_b16 v6, 8, v6
	v_or_b32_e32 v6, v7, v6
	s_delay_alu instid0(VALU_DEP_1) | instskip(NEXT) | instid1(VALU_DEP_1)
	v_and_b32_e32 v6, 0xffff, v6
	v_and_or_b32 v3, 0xffff0000, v3, v6
	s_wait_alu 0xfffe
	s_or_b32 exec_lo, exec_lo, s6
	s_delay_alu instid0(SALU_CYCLE_1)
	s_mov_b32 s6, exec_lo
	v_cmpx_gt_u32_e64 s3, v20
	s_cbranch_execz .LBB2458_29
.LBB2458_173:
	global_load_u8 v6, v0, s[0:1] offset:1152
	v_lshrrev_b32_e32 v7, 16, v3
	s_delay_alu instid0(VALU_DEP_1) | instskip(SKIP_2) | instid1(VALU_DEP_1)
	v_and_b32_e32 v7, 0xffffff00, v7
	s_wait_loadcnt 0x0
	v_xor_b32_e32 v6, 1, v6
	v_or_b32_e32 v6, v6, v7
	s_delay_alu instid0(VALU_DEP_1) | instskip(NEXT) | instid1(VALU_DEP_1)
	v_lshlrev_b32_e32 v6, 16, v6
	v_and_or_b32 v3, 0xffff, v3, v6
	s_wait_alu 0xfffe
	s_or_b32 exec_lo, exec_lo, s6
	v_cmp_gt_u32_e32 vcc_lo, s3, v19
	s_and_saveexec_b32 s3, vcc_lo
	s_cbranch_execnz .LBB2458_30
	s_branch .LBB2458_31
	.section	.rodata,"a",@progbits
	.p2align	6, 0x0
	.amdhsa_kernel _ZN7rocprim17ROCPRIM_400000_NS6detail17trampoline_kernelINS0_14default_configENS1_25partition_config_selectorILNS1_17partition_subalgoE5EjNS0_10empty_typeEbEEZZNS1_14partition_implILS5_5ELb0ES3_mN6thrust23THRUST_200600_302600_NS6detail15normal_iteratorINSA_10device_ptrIjEEEEPS6_NSA_18transform_iteratorINSB_9not_fun_tI7is_trueIjEEENSC_INSD_IbEEEENSA_11use_defaultESO_EENS0_5tupleIJSF_S6_EEENSQ_IJSG_SG_EEES6_PlJS6_EEE10hipError_tPvRmT3_T4_T5_T6_T7_T9_mT8_P12ihipStream_tbDpT10_ENKUlT_T0_E_clISt17integral_constantIbLb0EES1C_IbLb1EEEEDaS18_S19_EUlS18_E_NS1_11comp_targetILNS1_3genE10ELNS1_11target_archE1200ELNS1_3gpuE4ELNS1_3repE0EEENS1_30default_config_static_selectorELNS0_4arch9wavefront6targetE0EEEvT1_
		.amdhsa_group_segment_fixed_size 6352
		.amdhsa_private_segment_fixed_size 0
		.amdhsa_kernarg_size 136
		.amdhsa_user_sgpr_count 2
		.amdhsa_user_sgpr_dispatch_ptr 0
		.amdhsa_user_sgpr_queue_ptr 0
		.amdhsa_user_sgpr_kernarg_segment_ptr 1
		.amdhsa_user_sgpr_dispatch_id 0
		.amdhsa_user_sgpr_private_segment_size 0
		.amdhsa_wavefront_size32 1
		.amdhsa_uses_dynamic_stack 0
		.amdhsa_enable_private_segment 0
		.amdhsa_system_sgpr_workgroup_id_x 1
		.amdhsa_system_sgpr_workgroup_id_y 0
		.amdhsa_system_sgpr_workgroup_id_z 0
		.amdhsa_system_sgpr_workgroup_info 0
		.amdhsa_system_vgpr_workitem_id 0
		.amdhsa_next_free_vgpr 54
		.amdhsa_next_free_sgpr 24
		.amdhsa_reserve_vcc 1
		.amdhsa_float_round_mode_32 0
		.amdhsa_float_round_mode_16_64 0
		.amdhsa_float_denorm_mode_32 3
		.amdhsa_float_denorm_mode_16_64 3
		.amdhsa_fp16_overflow 0
		.amdhsa_workgroup_processor_mode 1
		.amdhsa_memory_ordered 1
		.amdhsa_forward_progress 1
		.amdhsa_inst_pref_size 74
		.amdhsa_round_robin_scheduling 0
		.amdhsa_exception_fp_ieee_invalid_op 0
		.amdhsa_exception_fp_denorm_src 0
		.amdhsa_exception_fp_ieee_div_zero 0
		.amdhsa_exception_fp_ieee_overflow 0
		.amdhsa_exception_fp_ieee_underflow 0
		.amdhsa_exception_fp_ieee_inexact 0
		.amdhsa_exception_int_div_zero 0
	.end_amdhsa_kernel
	.section	.text._ZN7rocprim17ROCPRIM_400000_NS6detail17trampoline_kernelINS0_14default_configENS1_25partition_config_selectorILNS1_17partition_subalgoE5EjNS0_10empty_typeEbEEZZNS1_14partition_implILS5_5ELb0ES3_mN6thrust23THRUST_200600_302600_NS6detail15normal_iteratorINSA_10device_ptrIjEEEEPS6_NSA_18transform_iteratorINSB_9not_fun_tI7is_trueIjEEENSC_INSD_IbEEEENSA_11use_defaultESO_EENS0_5tupleIJSF_S6_EEENSQ_IJSG_SG_EEES6_PlJS6_EEE10hipError_tPvRmT3_T4_T5_T6_T7_T9_mT8_P12ihipStream_tbDpT10_ENKUlT_T0_E_clISt17integral_constantIbLb0EES1C_IbLb1EEEEDaS18_S19_EUlS18_E_NS1_11comp_targetILNS1_3genE10ELNS1_11target_archE1200ELNS1_3gpuE4ELNS1_3repE0EEENS1_30default_config_static_selectorELNS0_4arch9wavefront6targetE0EEEvT1_,"axG",@progbits,_ZN7rocprim17ROCPRIM_400000_NS6detail17trampoline_kernelINS0_14default_configENS1_25partition_config_selectorILNS1_17partition_subalgoE5EjNS0_10empty_typeEbEEZZNS1_14partition_implILS5_5ELb0ES3_mN6thrust23THRUST_200600_302600_NS6detail15normal_iteratorINSA_10device_ptrIjEEEEPS6_NSA_18transform_iteratorINSB_9not_fun_tI7is_trueIjEEENSC_INSD_IbEEEENSA_11use_defaultESO_EENS0_5tupleIJSF_S6_EEENSQ_IJSG_SG_EEES6_PlJS6_EEE10hipError_tPvRmT3_T4_T5_T6_T7_T9_mT8_P12ihipStream_tbDpT10_ENKUlT_T0_E_clISt17integral_constantIbLb0EES1C_IbLb1EEEEDaS18_S19_EUlS18_E_NS1_11comp_targetILNS1_3genE10ELNS1_11target_archE1200ELNS1_3gpuE4ELNS1_3repE0EEENS1_30default_config_static_selectorELNS0_4arch9wavefront6targetE0EEEvT1_,comdat
.Lfunc_end2458:
	.size	_ZN7rocprim17ROCPRIM_400000_NS6detail17trampoline_kernelINS0_14default_configENS1_25partition_config_selectorILNS1_17partition_subalgoE5EjNS0_10empty_typeEbEEZZNS1_14partition_implILS5_5ELb0ES3_mN6thrust23THRUST_200600_302600_NS6detail15normal_iteratorINSA_10device_ptrIjEEEEPS6_NSA_18transform_iteratorINSB_9not_fun_tI7is_trueIjEEENSC_INSD_IbEEEENSA_11use_defaultESO_EENS0_5tupleIJSF_S6_EEENSQ_IJSG_SG_EEES6_PlJS6_EEE10hipError_tPvRmT3_T4_T5_T6_T7_T9_mT8_P12ihipStream_tbDpT10_ENKUlT_T0_E_clISt17integral_constantIbLb0EES1C_IbLb1EEEEDaS18_S19_EUlS18_E_NS1_11comp_targetILNS1_3genE10ELNS1_11target_archE1200ELNS1_3gpuE4ELNS1_3repE0EEENS1_30default_config_static_selectorELNS0_4arch9wavefront6targetE0EEEvT1_, .Lfunc_end2458-_ZN7rocprim17ROCPRIM_400000_NS6detail17trampoline_kernelINS0_14default_configENS1_25partition_config_selectorILNS1_17partition_subalgoE5EjNS0_10empty_typeEbEEZZNS1_14partition_implILS5_5ELb0ES3_mN6thrust23THRUST_200600_302600_NS6detail15normal_iteratorINSA_10device_ptrIjEEEEPS6_NSA_18transform_iteratorINSB_9not_fun_tI7is_trueIjEEENSC_INSD_IbEEEENSA_11use_defaultESO_EENS0_5tupleIJSF_S6_EEENSQ_IJSG_SG_EEES6_PlJS6_EEE10hipError_tPvRmT3_T4_T5_T6_T7_T9_mT8_P12ihipStream_tbDpT10_ENKUlT_T0_E_clISt17integral_constantIbLb0EES1C_IbLb1EEEEDaS18_S19_EUlS18_E_NS1_11comp_targetILNS1_3genE10ELNS1_11target_archE1200ELNS1_3gpuE4ELNS1_3repE0EEENS1_30default_config_static_selectorELNS0_4arch9wavefront6targetE0EEEvT1_
                                        ; -- End function
	.set _ZN7rocprim17ROCPRIM_400000_NS6detail17trampoline_kernelINS0_14default_configENS1_25partition_config_selectorILNS1_17partition_subalgoE5EjNS0_10empty_typeEbEEZZNS1_14partition_implILS5_5ELb0ES3_mN6thrust23THRUST_200600_302600_NS6detail15normal_iteratorINSA_10device_ptrIjEEEEPS6_NSA_18transform_iteratorINSB_9not_fun_tI7is_trueIjEEENSC_INSD_IbEEEENSA_11use_defaultESO_EENS0_5tupleIJSF_S6_EEENSQ_IJSG_SG_EEES6_PlJS6_EEE10hipError_tPvRmT3_T4_T5_T6_T7_T9_mT8_P12ihipStream_tbDpT10_ENKUlT_T0_E_clISt17integral_constantIbLb0EES1C_IbLb1EEEEDaS18_S19_EUlS18_E_NS1_11comp_targetILNS1_3genE10ELNS1_11target_archE1200ELNS1_3gpuE4ELNS1_3repE0EEENS1_30default_config_static_selectorELNS0_4arch9wavefront6targetE0EEEvT1_.num_vgpr, 54
	.set _ZN7rocprim17ROCPRIM_400000_NS6detail17trampoline_kernelINS0_14default_configENS1_25partition_config_selectorILNS1_17partition_subalgoE5EjNS0_10empty_typeEbEEZZNS1_14partition_implILS5_5ELb0ES3_mN6thrust23THRUST_200600_302600_NS6detail15normal_iteratorINSA_10device_ptrIjEEEEPS6_NSA_18transform_iteratorINSB_9not_fun_tI7is_trueIjEEENSC_INSD_IbEEEENSA_11use_defaultESO_EENS0_5tupleIJSF_S6_EEENSQ_IJSG_SG_EEES6_PlJS6_EEE10hipError_tPvRmT3_T4_T5_T6_T7_T9_mT8_P12ihipStream_tbDpT10_ENKUlT_T0_E_clISt17integral_constantIbLb0EES1C_IbLb1EEEEDaS18_S19_EUlS18_E_NS1_11comp_targetILNS1_3genE10ELNS1_11target_archE1200ELNS1_3gpuE4ELNS1_3repE0EEENS1_30default_config_static_selectorELNS0_4arch9wavefront6targetE0EEEvT1_.num_agpr, 0
	.set _ZN7rocprim17ROCPRIM_400000_NS6detail17trampoline_kernelINS0_14default_configENS1_25partition_config_selectorILNS1_17partition_subalgoE5EjNS0_10empty_typeEbEEZZNS1_14partition_implILS5_5ELb0ES3_mN6thrust23THRUST_200600_302600_NS6detail15normal_iteratorINSA_10device_ptrIjEEEEPS6_NSA_18transform_iteratorINSB_9not_fun_tI7is_trueIjEEENSC_INSD_IbEEEENSA_11use_defaultESO_EENS0_5tupleIJSF_S6_EEENSQ_IJSG_SG_EEES6_PlJS6_EEE10hipError_tPvRmT3_T4_T5_T6_T7_T9_mT8_P12ihipStream_tbDpT10_ENKUlT_T0_E_clISt17integral_constantIbLb0EES1C_IbLb1EEEEDaS18_S19_EUlS18_E_NS1_11comp_targetILNS1_3genE10ELNS1_11target_archE1200ELNS1_3gpuE4ELNS1_3repE0EEENS1_30default_config_static_selectorELNS0_4arch9wavefront6targetE0EEEvT1_.numbered_sgpr, 24
	.set _ZN7rocprim17ROCPRIM_400000_NS6detail17trampoline_kernelINS0_14default_configENS1_25partition_config_selectorILNS1_17partition_subalgoE5EjNS0_10empty_typeEbEEZZNS1_14partition_implILS5_5ELb0ES3_mN6thrust23THRUST_200600_302600_NS6detail15normal_iteratorINSA_10device_ptrIjEEEEPS6_NSA_18transform_iteratorINSB_9not_fun_tI7is_trueIjEEENSC_INSD_IbEEEENSA_11use_defaultESO_EENS0_5tupleIJSF_S6_EEENSQ_IJSG_SG_EEES6_PlJS6_EEE10hipError_tPvRmT3_T4_T5_T6_T7_T9_mT8_P12ihipStream_tbDpT10_ENKUlT_T0_E_clISt17integral_constantIbLb0EES1C_IbLb1EEEEDaS18_S19_EUlS18_E_NS1_11comp_targetILNS1_3genE10ELNS1_11target_archE1200ELNS1_3gpuE4ELNS1_3repE0EEENS1_30default_config_static_selectorELNS0_4arch9wavefront6targetE0EEEvT1_.num_named_barrier, 0
	.set _ZN7rocprim17ROCPRIM_400000_NS6detail17trampoline_kernelINS0_14default_configENS1_25partition_config_selectorILNS1_17partition_subalgoE5EjNS0_10empty_typeEbEEZZNS1_14partition_implILS5_5ELb0ES3_mN6thrust23THRUST_200600_302600_NS6detail15normal_iteratorINSA_10device_ptrIjEEEEPS6_NSA_18transform_iteratorINSB_9not_fun_tI7is_trueIjEEENSC_INSD_IbEEEENSA_11use_defaultESO_EENS0_5tupleIJSF_S6_EEENSQ_IJSG_SG_EEES6_PlJS6_EEE10hipError_tPvRmT3_T4_T5_T6_T7_T9_mT8_P12ihipStream_tbDpT10_ENKUlT_T0_E_clISt17integral_constantIbLb0EES1C_IbLb1EEEEDaS18_S19_EUlS18_E_NS1_11comp_targetILNS1_3genE10ELNS1_11target_archE1200ELNS1_3gpuE4ELNS1_3repE0EEENS1_30default_config_static_selectorELNS0_4arch9wavefront6targetE0EEEvT1_.private_seg_size, 0
	.set _ZN7rocprim17ROCPRIM_400000_NS6detail17trampoline_kernelINS0_14default_configENS1_25partition_config_selectorILNS1_17partition_subalgoE5EjNS0_10empty_typeEbEEZZNS1_14partition_implILS5_5ELb0ES3_mN6thrust23THRUST_200600_302600_NS6detail15normal_iteratorINSA_10device_ptrIjEEEEPS6_NSA_18transform_iteratorINSB_9not_fun_tI7is_trueIjEEENSC_INSD_IbEEEENSA_11use_defaultESO_EENS0_5tupleIJSF_S6_EEENSQ_IJSG_SG_EEES6_PlJS6_EEE10hipError_tPvRmT3_T4_T5_T6_T7_T9_mT8_P12ihipStream_tbDpT10_ENKUlT_T0_E_clISt17integral_constantIbLb0EES1C_IbLb1EEEEDaS18_S19_EUlS18_E_NS1_11comp_targetILNS1_3genE10ELNS1_11target_archE1200ELNS1_3gpuE4ELNS1_3repE0EEENS1_30default_config_static_selectorELNS0_4arch9wavefront6targetE0EEEvT1_.uses_vcc, 1
	.set _ZN7rocprim17ROCPRIM_400000_NS6detail17trampoline_kernelINS0_14default_configENS1_25partition_config_selectorILNS1_17partition_subalgoE5EjNS0_10empty_typeEbEEZZNS1_14partition_implILS5_5ELb0ES3_mN6thrust23THRUST_200600_302600_NS6detail15normal_iteratorINSA_10device_ptrIjEEEEPS6_NSA_18transform_iteratorINSB_9not_fun_tI7is_trueIjEEENSC_INSD_IbEEEENSA_11use_defaultESO_EENS0_5tupleIJSF_S6_EEENSQ_IJSG_SG_EEES6_PlJS6_EEE10hipError_tPvRmT3_T4_T5_T6_T7_T9_mT8_P12ihipStream_tbDpT10_ENKUlT_T0_E_clISt17integral_constantIbLb0EES1C_IbLb1EEEEDaS18_S19_EUlS18_E_NS1_11comp_targetILNS1_3genE10ELNS1_11target_archE1200ELNS1_3gpuE4ELNS1_3repE0EEENS1_30default_config_static_selectorELNS0_4arch9wavefront6targetE0EEEvT1_.uses_flat_scratch, 1
	.set _ZN7rocprim17ROCPRIM_400000_NS6detail17trampoline_kernelINS0_14default_configENS1_25partition_config_selectorILNS1_17partition_subalgoE5EjNS0_10empty_typeEbEEZZNS1_14partition_implILS5_5ELb0ES3_mN6thrust23THRUST_200600_302600_NS6detail15normal_iteratorINSA_10device_ptrIjEEEEPS6_NSA_18transform_iteratorINSB_9not_fun_tI7is_trueIjEEENSC_INSD_IbEEEENSA_11use_defaultESO_EENS0_5tupleIJSF_S6_EEENSQ_IJSG_SG_EEES6_PlJS6_EEE10hipError_tPvRmT3_T4_T5_T6_T7_T9_mT8_P12ihipStream_tbDpT10_ENKUlT_T0_E_clISt17integral_constantIbLb0EES1C_IbLb1EEEEDaS18_S19_EUlS18_E_NS1_11comp_targetILNS1_3genE10ELNS1_11target_archE1200ELNS1_3gpuE4ELNS1_3repE0EEENS1_30default_config_static_selectorELNS0_4arch9wavefront6targetE0EEEvT1_.has_dyn_sized_stack, 0
	.set _ZN7rocprim17ROCPRIM_400000_NS6detail17trampoline_kernelINS0_14default_configENS1_25partition_config_selectorILNS1_17partition_subalgoE5EjNS0_10empty_typeEbEEZZNS1_14partition_implILS5_5ELb0ES3_mN6thrust23THRUST_200600_302600_NS6detail15normal_iteratorINSA_10device_ptrIjEEEEPS6_NSA_18transform_iteratorINSB_9not_fun_tI7is_trueIjEEENSC_INSD_IbEEEENSA_11use_defaultESO_EENS0_5tupleIJSF_S6_EEENSQ_IJSG_SG_EEES6_PlJS6_EEE10hipError_tPvRmT3_T4_T5_T6_T7_T9_mT8_P12ihipStream_tbDpT10_ENKUlT_T0_E_clISt17integral_constantIbLb0EES1C_IbLb1EEEEDaS18_S19_EUlS18_E_NS1_11comp_targetILNS1_3genE10ELNS1_11target_archE1200ELNS1_3gpuE4ELNS1_3repE0EEENS1_30default_config_static_selectorELNS0_4arch9wavefront6targetE0EEEvT1_.has_recursion, 0
	.set _ZN7rocprim17ROCPRIM_400000_NS6detail17trampoline_kernelINS0_14default_configENS1_25partition_config_selectorILNS1_17partition_subalgoE5EjNS0_10empty_typeEbEEZZNS1_14partition_implILS5_5ELb0ES3_mN6thrust23THRUST_200600_302600_NS6detail15normal_iteratorINSA_10device_ptrIjEEEEPS6_NSA_18transform_iteratorINSB_9not_fun_tI7is_trueIjEEENSC_INSD_IbEEEENSA_11use_defaultESO_EENS0_5tupleIJSF_S6_EEENSQ_IJSG_SG_EEES6_PlJS6_EEE10hipError_tPvRmT3_T4_T5_T6_T7_T9_mT8_P12ihipStream_tbDpT10_ENKUlT_T0_E_clISt17integral_constantIbLb0EES1C_IbLb1EEEEDaS18_S19_EUlS18_E_NS1_11comp_targetILNS1_3genE10ELNS1_11target_archE1200ELNS1_3gpuE4ELNS1_3repE0EEENS1_30default_config_static_selectorELNS0_4arch9wavefront6targetE0EEEvT1_.has_indirect_call, 0
	.section	.AMDGPU.csdata,"",@progbits
; Kernel info:
; codeLenInByte = 9368
; TotalNumSgprs: 26
; NumVgprs: 54
; ScratchSize: 0
; MemoryBound: 0
; FloatMode: 240
; IeeeMode: 1
; LDSByteSize: 6352 bytes/workgroup (compile time only)
; SGPRBlocks: 0
; VGPRBlocks: 6
; NumSGPRsForWavesPerEU: 26
; NumVGPRsForWavesPerEU: 54
; Occupancy: 15
; WaveLimiterHint : 1
; COMPUTE_PGM_RSRC2:SCRATCH_EN: 0
; COMPUTE_PGM_RSRC2:USER_SGPR: 2
; COMPUTE_PGM_RSRC2:TRAP_HANDLER: 0
; COMPUTE_PGM_RSRC2:TGID_X_EN: 1
; COMPUTE_PGM_RSRC2:TGID_Y_EN: 0
; COMPUTE_PGM_RSRC2:TGID_Z_EN: 0
; COMPUTE_PGM_RSRC2:TIDIG_COMP_CNT: 0
	.section	.text._ZN7rocprim17ROCPRIM_400000_NS6detail17trampoline_kernelINS0_14default_configENS1_25partition_config_selectorILNS1_17partition_subalgoE5EjNS0_10empty_typeEbEEZZNS1_14partition_implILS5_5ELb0ES3_mN6thrust23THRUST_200600_302600_NS6detail15normal_iteratorINSA_10device_ptrIjEEEEPS6_NSA_18transform_iteratorINSB_9not_fun_tI7is_trueIjEEENSC_INSD_IbEEEENSA_11use_defaultESO_EENS0_5tupleIJSF_S6_EEENSQ_IJSG_SG_EEES6_PlJS6_EEE10hipError_tPvRmT3_T4_T5_T6_T7_T9_mT8_P12ihipStream_tbDpT10_ENKUlT_T0_E_clISt17integral_constantIbLb0EES1C_IbLb1EEEEDaS18_S19_EUlS18_E_NS1_11comp_targetILNS1_3genE9ELNS1_11target_archE1100ELNS1_3gpuE3ELNS1_3repE0EEENS1_30default_config_static_selectorELNS0_4arch9wavefront6targetE0EEEvT1_,"axG",@progbits,_ZN7rocprim17ROCPRIM_400000_NS6detail17trampoline_kernelINS0_14default_configENS1_25partition_config_selectorILNS1_17partition_subalgoE5EjNS0_10empty_typeEbEEZZNS1_14partition_implILS5_5ELb0ES3_mN6thrust23THRUST_200600_302600_NS6detail15normal_iteratorINSA_10device_ptrIjEEEEPS6_NSA_18transform_iteratorINSB_9not_fun_tI7is_trueIjEEENSC_INSD_IbEEEENSA_11use_defaultESO_EENS0_5tupleIJSF_S6_EEENSQ_IJSG_SG_EEES6_PlJS6_EEE10hipError_tPvRmT3_T4_T5_T6_T7_T9_mT8_P12ihipStream_tbDpT10_ENKUlT_T0_E_clISt17integral_constantIbLb0EES1C_IbLb1EEEEDaS18_S19_EUlS18_E_NS1_11comp_targetILNS1_3genE9ELNS1_11target_archE1100ELNS1_3gpuE3ELNS1_3repE0EEENS1_30default_config_static_selectorELNS0_4arch9wavefront6targetE0EEEvT1_,comdat
	.protected	_ZN7rocprim17ROCPRIM_400000_NS6detail17trampoline_kernelINS0_14default_configENS1_25partition_config_selectorILNS1_17partition_subalgoE5EjNS0_10empty_typeEbEEZZNS1_14partition_implILS5_5ELb0ES3_mN6thrust23THRUST_200600_302600_NS6detail15normal_iteratorINSA_10device_ptrIjEEEEPS6_NSA_18transform_iteratorINSB_9not_fun_tI7is_trueIjEEENSC_INSD_IbEEEENSA_11use_defaultESO_EENS0_5tupleIJSF_S6_EEENSQ_IJSG_SG_EEES6_PlJS6_EEE10hipError_tPvRmT3_T4_T5_T6_T7_T9_mT8_P12ihipStream_tbDpT10_ENKUlT_T0_E_clISt17integral_constantIbLb0EES1C_IbLb1EEEEDaS18_S19_EUlS18_E_NS1_11comp_targetILNS1_3genE9ELNS1_11target_archE1100ELNS1_3gpuE3ELNS1_3repE0EEENS1_30default_config_static_selectorELNS0_4arch9wavefront6targetE0EEEvT1_ ; -- Begin function _ZN7rocprim17ROCPRIM_400000_NS6detail17trampoline_kernelINS0_14default_configENS1_25partition_config_selectorILNS1_17partition_subalgoE5EjNS0_10empty_typeEbEEZZNS1_14partition_implILS5_5ELb0ES3_mN6thrust23THRUST_200600_302600_NS6detail15normal_iteratorINSA_10device_ptrIjEEEEPS6_NSA_18transform_iteratorINSB_9not_fun_tI7is_trueIjEEENSC_INSD_IbEEEENSA_11use_defaultESO_EENS0_5tupleIJSF_S6_EEENSQ_IJSG_SG_EEES6_PlJS6_EEE10hipError_tPvRmT3_T4_T5_T6_T7_T9_mT8_P12ihipStream_tbDpT10_ENKUlT_T0_E_clISt17integral_constantIbLb0EES1C_IbLb1EEEEDaS18_S19_EUlS18_E_NS1_11comp_targetILNS1_3genE9ELNS1_11target_archE1100ELNS1_3gpuE3ELNS1_3repE0EEENS1_30default_config_static_selectorELNS0_4arch9wavefront6targetE0EEEvT1_
	.globl	_ZN7rocprim17ROCPRIM_400000_NS6detail17trampoline_kernelINS0_14default_configENS1_25partition_config_selectorILNS1_17partition_subalgoE5EjNS0_10empty_typeEbEEZZNS1_14partition_implILS5_5ELb0ES3_mN6thrust23THRUST_200600_302600_NS6detail15normal_iteratorINSA_10device_ptrIjEEEEPS6_NSA_18transform_iteratorINSB_9not_fun_tI7is_trueIjEEENSC_INSD_IbEEEENSA_11use_defaultESO_EENS0_5tupleIJSF_S6_EEENSQ_IJSG_SG_EEES6_PlJS6_EEE10hipError_tPvRmT3_T4_T5_T6_T7_T9_mT8_P12ihipStream_tbDpT10_ENKUlT_T0_E_clISt17integral_constantIbLb0EES1C_IbLb1EEEEDaS18_S19_EUlS18_E_NS1_11comp_targetILNS1_3genE9ELNS1_11target_archE1100ELNS1_3gpuE3ELNS1_3repE0EEENS1_30default_config_static_selectorELNS0_4arch9wavefront6targetE0EEEvT1_
	.p2align	8
	.type	_ZN7rocprim17ROCPRIM_400000_NS6detail17trampoline_kernelINS0_14default_configENS1_25partition_config_selectorILNS1_17partition_subalgoE5EjNS0_10empty_typeEbEEZZNS1_14partition_implILS5_5ELb0ES3_mN6thrust23THRUST_200600_302600_NS6detail15normal_iteratorINSA_10device_ptrIjEEEEPS6_NSA_18transform_iteratorINSB_9not_fun_tI7is_trueIjEEENSC_INSD_IbEEEENSA_11use_defaultESO_EENS0_5tupleIJSF_S6_EEENSQ_IJSG_SG_EEES6_PlJS6_EEE10hipError_tPvRmT3_T4_T5_T6_T7_T9_mT8_P12ihipStream_tbDpT10_ENKUlT_T0_E_clISt17integral_constantIbLb0EES1C_IbLb1EEEEDaS18_S19_EUlS18_E_NS1_11comp_targetILNS1_3genE9ELNS1_11target_archE1100ELNS1_3gpuE3ELNS1_3repE0EEENS1_30default_config_static_selectorELNS0_4arch9wavefront6targetE0EEEvT1_,@function
_ZN7rocprim17ROCPRIM_400000_NS6detail17trampoline_kernelINS0_14default_configENS1_25partition_config_selectorILNS1_17partition_subalgoE5EjNS0_10empty_typeEbEEZZNS1_14partition_implILS5_5ELb0ES3_mN6thrust23THRUST_200600_302600_NS6detail15normal_iteratorINSA_10device_ptrIjEEEEPS6_NSA_18transform_iteratorINSB_9not_fun_tI7is_trueIjEEENSC_INSD_IbEEEENSA_11use_defaultESO_EENS0_5tupleIJSF_S6_EEENSQ_IJSG_SG_EEES6_PlJS6_EEE10hipError_tPvRmT3_T4_T5_T6_T7_T9_mT8_P12ihipStream_tbDpT10_ENKUlT_T0_E_clISt17integral_constantIbLb0EES1C_IbLb1EEEEDaS18_S19_EUlS18_E_NS1_11comp_targetILNS1_3genE9ELNS1_11target_archE1100ELNS1_3gpuE3ELNS1_3repE0EEENS1_30default_config_static_selectorELNS0_4arch9wavefront6targetE0EEEvT1_: ; @_ZN7rocprim17ROCPRIM_400000_NS6detail17trampoline_kernelINS0_14default_configENS1_25partition_config_selectorILNS1_17partition_subalgoE5EjNS0_10empty_typeEbEEZZNS1_14partition_implILS5_5ELb0ES3_mN6thrust23THRUST_200600_302600_NS6detail15normal_iteratorINSA_10device_ptrIjEEEEPS6_NSA_18transform_iteratorINSB_9not_fun_tI7is_trueIjEEENSC_INSD_IbEEEENSA_11use_defaultESO_EENS0_5tupleIJSF_S6_EEENSQ_IJSG_SG_EEES6_PlJS6_EEE10hipError_tPvRmT3_T4_T5_T6_T7_T9_mT8_P12ihipStream_tbDpT10_ENKUlT_T0_E_clISt17integral_constantIbLb0EES1C_IbLb1EEEEDaS18_S19_EUlS18_E_NS1_11comp_targetILNS1_3genE9ELNS1_11target_archE1100ELNS1_3gpuE3ELNS1_3repE0EEENS1_30default_config_static_selectorELNS0_4arch9wavefront6targetE0EEEvT1_
; %bb.0:
	.section	.rodata,"a",@progbits
	.p2align	6, 0x0
	.amdhsa_kernel _ZN7rocprim17ROCPRIM_400000_NS6detail17trampoline_kernelINS0_14default_configENS1_25partition_config_selectorILNS1_17partition_subalgoE5EjNS0_10empty_typeEbEEZZNS1_14partition_implILS5_5ELb0ES3_mN6thrust23THRUST_200600_302600_NS6detail15normal_iteratorINSA_10device_ptrIjEEEEPS6_NSA_18transform_iteratorINSB_9not_fun_tI7is_trueIjEEENSC_INSD_IbEEEENSA_11use_defaultESO_EENS0_5tupleIJSF_S6_EEENSQ_IJSG_SG_EEES6_PlJS6_EEE10hipError_tPvRmT3_T4_T5_T6_T7_T9_mT8_P12ihipStream_tbDpT10_ENKUlT_T0_E_clISt17integral_constantIbLb0EES1C_IbLb1EEEEDaS18_S19_EUlS18_E_NS1_11comp_targetILNS1_3genE9ELNS1_11target_archE1100ELNS1_3gpuE3ELNS1_3repE0EEENS1_30default_config_static_selectorELNS0_4arch9wavefront6targetE0EEEvT1_
		.amdhsa_group_segment_fixed_size 0
		.amdhsa_private_segment_fixed_size 0
		.amdhsa_kernarg_size 136
		.amdhsa_user_sgpr_count 2
		.amdhsa_user_sgpr_dispatch_ptr 0
		.amdhsa_user_sgpr_queue_ptr 0
		.amdhsa_user_sgpr_kernarg_segment_ptr 1
		.amdhsa_user_sgpr_dispatch_id 0
		.amdhsa_user_sgpr_private_segment_size 0
		.amdhsa_wavefront_size32 1
		.amdhsa_uses_dynamic_stack 0
		.amdhsa_enable_private_segment 0
		.amdhsa_system_sgpr_workgroup_id_x 1
		.amdhsa_system_sgpr_workgroup_id_y 0
		.amdhsa_system_sgpr_workgroup_id_z 0
		.amdhsa_system_sgpr_workgroup_info 0
		.amdhsa_system_vgpr_workitem_id 0
		.amdhsa_next_free_vgpr 1
		.amdhsa_next_free_sgpr 1
		.amdhsa_reserve_vcc 0
		.amdhsa_float_round_mode_32 0
		.amdhsa_float_round_mode_16_64 0
		.amdhsa_float_denorm_mode_32 3
		.amdhsa_float_denorm_mode_16_64 3
		.amdhsa_fp16_overflow 0
		.amdhsa_workgroup_processor_mode 1
		.amdhsa_memory_ordered 1
		.amdhsa_forward_progress 1
		.amdhsa_inst_pref_size 0
		.amdhsa_round_robin_scheduling 0
		.amdhsa_exception_fp_ieee_invalid_op 0
		.amdhsa_exception_fp_denorm_src 0
		.amdhsa_exception_fp_ieee_div_zero 0
		.amdhsa_exception_fp_ieee_overflow 0
		.amdhsa_exception_fp_ieee_underflow 0
		.amdhsa_exception_fp_ieee_inexact 0
		.amdhsa_exception_int_div_zero 0
	.end_amdhsa_kernel
	.section	.text._ZN7rocprim17ROCPRIM_400000_NS6detail17trampoline_kernelINS0_14default_configENS1_25partition_config_selectorILNS1_17partition_subalgoE5EjNS0_10empty_typeEbEEZZNS1_14partition_implILS5_5ELb0ES3_mN6thrust23THRUST_200600_302600_NS6detail15normal_iteratorINSA_10device_ptrIjEEEEPS6_NSA_18transform_iteratorINSB_9not_fun_tI7is_trueIjEEENSC_INSD_IbEEEENSA_11use_defaultESO_EENS0_5tupleIJSF_S6_EEENSQ_IJSG_SG_EEES6_PlJS6_EEE10hipError_tPvRmT3_T4_T5_T6_T7_T9_mT8_P12ihipStream_tbDpT10_ENKUlT_T0_E_clISt17integral_constantIbLb0EES1C_IbLb1EEEEDaS18_S19_EUlS18_E_NS1_11comp_targetILNS1_3genE9ELNS1_11target_archE1100ELNS1_3gpuE3ELNS1_3repE0EEENS1_30default_config_static_selectorELNS0_4arch9wavefront6targetE0EEEvT1_,"axG",@progbits,_ZN7rocprim17ROCPRIM_400000_NS6detail17trampoline_kernelINS0_14default_configENS1_25partition_config_selectorILNS1_17partition_subalgoE5EjNS0_10empty_typeEbEEZZNS1_14partition_implILS5_5ELb0ES3_mN6thrust23THRUST_200600_302600_NS6detail15normal_iteratorINSA_10device_ptrIjEEEEPS6_NSA_18transform_iteratorINSB_9not_fun_tI7is_trueIjEEENSC_INSD_IbEEEENSA_11use_defaultESO_EENS0_5tupleIJSF_S6_EEENSQ_IJSG_SG_EEES6_PlJS6_EEE10hipError_tPvRmT3_T4_T5_T6_T7_T9_mT8_P12ihipStream_tbDpT10_ENKUlT_T0_E_clISt17integral_constantIbLb0EES1C_IbLb1EEEEDaS18_S19_EUlS18_E_NS1_11comp_targetILNS1_3genE9ELNS1_11target_archE1100ELNS1_3gpuE3ELNS1_3repE0EEENS1_30default_config_static_selectorELNS0_4arch9wavefront6targetE0EEEvT1_,comdat
.Lfunc_end2459:
	.size	_ZN7rocprim17ROCPRIM_400000_NS6detail17trampoline_kernelINS0_14default_configENS1_25partition_config_selectorILNS1_17partition_subalgoE5EjNS0_10empty_typeEbEEZZNS1_14partition_implILS5_5ELb0ES3_mN6thrust23THRUST_200600_302600_NS6detail15normal_iteratorINSA_10device_ptrIjEEEEPS6_NSA_18transform_iteratorINSB_9not_fun_tI7is_trueIjEEENSC_INSD_IbEEEENSA_11use_defaultESO_EENS0_5tupleIJSF_S6_EEENSQ_IJSG_SG_EEES6_PlJS6_EEE10hipError_tPvRmT3_T4_T5_T6_T7_T9_mT8_P12ihipStream_tbDpT10_ENKUlT_T0_E_clISt17integral_constantIbLb0EES1C_IbLb1EEEEDaS18_S19_EUlS18_E_NS1_11comp_targetILNS1_3genE9ELNS1_11target_archE1100ELNS1_3gpuE3ELNS1_3repE0EEENS1_30default_config_static_selectorELNS0_4arch9wavefront6targetE0EEEvT1_, .Lfunc_end2459-_ZN7rocprim17ROCPRIM_400000_NS6detail17trampoline_kernelINS0_14default_configENS1_25partition_config_selectorILNS1_17partition_subalgoE5EjNS0_10empty_typeEbEEZZNS1_14partition_implILS5_5ELb0ES3_mN6thrust23THRUST_200600_302600_NS6detail15normal_iteratorINSA_10device_ptrIjEEEEPS6_NSA_18transform_iteratorINSB_9not_fun_tI7is_trueIjEEENSC_INSD_IbEEEENSA_11use_defaultESO_EENS0_5tupleIJSF_S6_EEENSQ_IJSG_SG_EEES6_PlJS6_EEE10hipError_tPvRmT3_T4_T5_T6_T7_T9_mT8_P12ihipStream_tbDpT10_ENKUlT_T0_E_clISt17integral_constantIbLb0EES1C_IbLb1EEEEDaS18_S19_EUlS18_E_NS1_11comp_targetILNS1_3genE9ELNS1_11target_archE1100ELNS1_3gpuE3ELNS1_3repE0EEENS1_30default_config_static_selectorELNS0_4arch9wavefront6targetE0EEEvT1_
                                        ; -- End function
	.set _ZN7rocprim17ROCPRIM_400000_NS6detail17trampoline_kernelINS0_14default_configENS1_25partition_config_selectorILNS1_17partition_subalgoE5EjNS0_10empty_typeEbEEZZNS1_14partition_implILS5_5ELb0ES3_mN6thrust23THRUST_200600_302600_NS6detail15normal_iteratorINSA_10device_ptrIjEEEEPS6_NSA_18transform_iteratorINSB_9not_fun_tI7is_trueIjEEENSC_INSD_IbEEEENSA_11use_defaultESO_EENS0_5tupleIJSF_S6_EEENSQ_IJSG_SG_EEES6_PlJS6_EEE10hipError_tPvRmT3_T4_T5_T6_T7_T9_mT8_P12ihipStream_tbDpT10_ENKUlT_T0_E_clISt17integral_constantIbLb0EES1C_IbLb1EEEEDaS18_S19_EUlS18_E_NS1_11comp_targetILNS1_3genE9ELNS1_11target_archE1100ELNS1_3gpuE3ELNS1_3repE0EEENS1_30default_config_static_selectorELNS0_4arch9wavefront6targetE0EEEvT1_.num_vgpr, 0
	.set _ZN7rocprim17ROCPRIM_400000_NS6detail17trampoline_kernelINS0_14default_configENS1_25partition_config_selectorILNS1_17partition_subalgoE5EjNS0_10empty_typeEbEEZZNS1_14partition_implILS5_5ELb0ES3_mN6thrust23THRUST_200600_302600_NS6detail15normal_iteratorINSA_10device_ptrIjEEEEPS6_NSA_18transform_iteratorINSB_9not_fun_tI7is_trueIjEEENSC_INSD_IbEEEENSA_11use_defaultESO_EENS0_5tupleIJSF_S6_EEENSQ_IJSG_SG_EEES6_PlJS6_EEE10hipError_tPvRmT3_T4_T5_T6_T7_T9_mT8_P12ihipStream_tbDpT10_ENKUlT_T0_E_clISt17integral_constantIbLb0EES1C_IbLb1EEEEDaS18_S19_EUlS18_E_NS1_11comp_targetILNS1_3genE9ELNS1_11target_archE1100ELNS1_3gpuE3ELNS1_3repE0EEENS1_30default_config_static_selectorELNS0_4arch9wavefront6targetE0EEEvT1_.num_agpr, 0
	.set _ZN7rocprim17ROCPRIM_400000_NS6detail17trampoline_kernelINS0_14default_configENS1_25partition_config_selectorILNS1_17partition_subalgoE5EjNS0_10empty_typeEbEEZZNS1_14partition_implILS5_5ELb0ES3_mN6thrust23THRUST_200600_302600_NS6detail15normal_iteratorINSA_10device_ptrIjEEEEPS6_NSA_18transform_iteratorINSB_9not_fun_tI7is_trueIjEEENSC_INSD_IbEEEENSA_11use_defaultESO_EENS0_5tupleIJSF_S6_EEENSQ_IJSG_SG_EEES6_PlJS6_EEE10hipError_tPvRmT3_T4_T5_T6_T7_T9_mT8_P12ihipStream_tbDpT10_ENKUlT_T0_E_clISt17integral_constantIbLb0EES1C_IbLb1EEEEDaS18_S19_EUlS18_E_NS1_11comp_targetILNS1_3genE9ELNS1_11target_archE1100ELNS1_3gpuE3ELNS1_3repE0EEENS1_30default_config_static_selectorELNS0_4arch9wavefront6targetE0EEEvT1_.numbered_sgpr, 0
	.set _ZN7rocprim17ROCPRIM_400000_NS6detail17trampoline_kernelINS0_14default_configENS1_25partition_config_selectorILNS1_17partition_subalgoE5EjNS0_10empty_typeEbEEZZNS1_14partition_implILS5_5ELb0ES3_mN6thrust23THRUST_200600_302600_NS6detail15normal_iteratorINSA_10device_ptrIjEEEEPS6_NSA_18transform_iteratorINSB_9not_fun_tI7is_trueIjEEENSC_INSD_IbEEEENSA_11use_defaultESO_EENS0_5tupleIJSF_S6_EEENSQ_IJSG_SG_EEES6_PlJS6_EEE10hipError_tPvRmT3_T4_T5_T6_T7_T9_mT8_P12ihipStream_tbDpT10_ENKUlT_T0_E_clISt17integral_constantIbLb0EES1C_IbLb1EEEEDaS18_S19_EUlS18_E_NS1_11comp_targetILNS1_3genE9ELNS1_11target_archE1100ELNS1_3gpuE3ELNS1_3repE0EEENS1_30default_config_static_selectorELNS0_4arch9wavefront6targetE0EEEvT1_.num_named_barrier, 0
	.set _ZN7rocprim17ROCPRIM_400000_NS6detail17trampoline_kernelINS0_14default_configENS1_25partition_config_selectorILNS1_17partition_subalgoE5EjNS0_10empty_typeEbEEZZNS1_14partition_implILS5_5ELb0ES3_mN6thrust23THRUST_200600_302600_NS6detail15normal_iteratorINSA_10device_ptrIjEEEEPS6_NSA_18transform_iteratorINSB_9not_fun_tI7is_trueIjEEENSC_INSD_IbEEEENSA_11use_defaultESO_EENS0_5tupleIJSF_S6_EEENSQ_IJSG_SG_EEES6_PlJS6_EEE10hipError_tPvRmT3_T4_T5_T6_T7_T9_mT8_P12ihipStream_tbDpT10_ENKUlT_T0_E_clISt17integral_constantIbLb0EES1C_IbLb1EEEEDaS18_S19_EUlS18_E_NS1_11comp_targetILNS1_3genE9ELNS1_11target_archE1100ELNS1_3gpuE3ELNS1_3repE0EEENS1_30default_config_static_selectorELNS0_4arch9wavefront6targetE0EEEvT1_.private_seg_size, 0
	.set _ZN7rocprim17ROCPRIM_400000_NS6detail17trampoline_kernelINS0_14default_configENS1_25partition_config_selectorILNS1_17partition_subalgoE5EjNS0_10empty_typeEbEEZZNS1_14partition_implILS5_5ELb0ES3_mN6thrust23THRUST_200600_302600_NS6detail15normal_iteratorINSA_10device_ptrIjEEEEPS6_NSA_18transform_iteratorINSB_9not_fun_tI7is_trueIjEEENSC_INSD_IbEEEENSA_11use_defaultESO_EENS0_5tupleIJSF_S6_EEENSQ_IJSG_SG_EEES6_PlJS6_EEE10hipError_tPvRmT3_T4_T5_T6_T7_T9_mT8_P12ihipStream_tbDpT10_ENKUlT_T0_E_clISt17integral_constantIbLb0EES1C_IbLb1EEEEDaS18_S19_EUlS18_E_NS1_11comp_targetILNS1_3genE9ELNS1_11target_archE1100ELNS1_3gpuE3ELNS1_3repE0EEENS1_30default_config_static_selectorELNS0_4arch9wavefront6targetE0EEEvT1_.uses_vcc, 0
	.set _ZN7rocprim17ROCPRIM_400000_NS6detail17trampoline_kernelINS0_14default_configENS1_25partition_config_selectorILNS1_17partition_subalgoE5EjNS0_10empty_typeEbEEZZNS1_14partition_implILS5_5ELb0ES3_mN6thrust23THRUST_200600_302600_NS6detail15normal_iteratorINSA_10device_ptrIjEEEEPS6_NSA_18transform_iteratorINSB_9not_fun_tI7is_trueIjEEENSC_INSD_IbEEEENSA_11use_defaultESO_EENS0_5tupleIJSF_S6_EEENSQ_IJSG_SG_EEES6_PlJS6_EEE10hipError_tPvRmT3_T4_T5_T6_T7_T9_mT8_P12ihipStream_tbDpT10_ENKUlT_T0_E_clISt17integral_constantIbLb0EES1C_IbLb1EEEEDaS18_S19_EUlS18_E_NS1_11comp_targetILNS1_3genE9ELNS1_11target_archE1100ELNS1_3gpuE3ELNS1_3repE0EEENS1_30default_config_static_selectorELNS0_4arch9wavefront6targetE0EEEvT1_.uses_flat_scratch, 0
	.set _ZN7rocprim17ROCPRIM_400000_NS6detail17trampoline_kernelINS0_14default_configENS1_25partition_config_selectorILNS1_17partition_subalgoE5EjNS0_10empty_typeEbEEZZNS1_14partition_implILS5_5ELb0ES3_mN6thrust23THRUST_200600_302600_NS6detail15normal_iteratorINSA_10device_ptrIjEEEEPS6_NSA_18transform_iteratorINSB_9not_fun_tI7is_trueIjEEENSC_INSD_IbEEEENSA_11use_defaultESO_EENS0_5tupleIJSF_S6_EEENSQ_IJSG_SG_EEES6_PlJS6_EEE10hipError_tPvRmT3_T4_T5_T6_T7_T9_mT8_P12ihipStream_tbDpT10_ENKUlT_T0_E_clISt17integral_constantIbLb0EES1C_IbLb1EEEEDaS18_S19_EUlS18_E_NS1_11comp_targetILNS1_3genE9ELNS1_11target_archE1100ELNS1_3gpuE3ELNS1_3repE0EEENS1_30default_config_static_selectorELNS0_4arch9wavefront6targetE0EEEvT1_.has_dyn_sized_stack, 0
	.set _ZN7rocprim17ROCPRIM_400000_NS6detail17trampoline_kernelINS0_14default_configENS1_25partition_config_selectorILNS1_17partition_subalgoE5EjNS0_10empty_typeEbEEZZNS1_14partition_implILS5_5ELb0ES3_mN6thrust23THRUST_200600_302600_NS6detail15normal_iteratorINSA_10device_ptrIjEEEEPS6_NSA_18transform_iteratorINSB_9not_fun_tI7is_trueIjEEENSC_INSD_IbEEEENSA_11use_defaultESO_EENS0_5tupleIJSF_S6_EEENSQ_IJSG_SG_EEES6_PlJS6_EEE10hipError_tPvRmT3_T4_T5_T6_T7_T9_mT8_P12ihipStream_tbDpT10_ENKUlT_T0_E_clISt17integral_constantIbLb0EES1C_IbLb1EEEEDaS18_S19_EUlS18_E_NS1_11comp_targetILNS1_3genE9ELNS1_11target_archE1100ELNS1_3gpuE3ELNS1_3repE0EEENS1_30default_config_static_selectorELNS0_4arch9wavefront6targetE0EEEvT1_.has_recursion, 0
	.set _ZN7rocprim17ROCPRIM_400000_NS6detail17trampoline_kernelINS0_14default_configENS1_25partition_config_selectorILNS1_17partition_subalgoE5EjNS0_10empty_typeEbEEZZNS1_14partition_implILS5_5ELb0ES3_mN6thrust23THRUST_200600_302600_NS6detail15normal_iteratorINSA_10device_ptrIjEEEEPS6_NSA_18transform_iteratorINSB_9not_fun_tI7is_trueIjEEENSC_INSD_IbEEEENSA_11use_defaultESO_EENS0_5tupleIJSF_S6_EEENSQ_IJSG_SG_EEES6_PlJS6_EEE10hipError_tPvRmT3_T4_T5_T6_T7_T9_mT8_P12ihipStream_tbDpT10_ENKUlT_T0_E_clISt17integral_constantIbLb0EES1C_IbLb1EEEEDaS18_S19_EUlS18_E_NS1_11comp_targetILNS1_3genE9ELNS1_11target_archE1100ELNS1_3gpuE3ELNS1_3repE0EEENS1_30default_config_static_selectorELNS0_4arch9wavefront6targetE0EEEvT1_.has_indirect_call, 0
	.section	.AMDGPU.csdata,"",@progbits
; Kernel info:
; codeLenInByte = 0
; TotalNumSgprs: 0
; NumVgprs: 0
; ScratchSize: 0
; MemoryBound: 0
; FloatMode: 240
; IeeeMode: 1
; LDSByteSize: 0 bytes/workgroup (compile time only)
; SGPRBlocks: 0
; VGPRBlocks: 0
; NumSGPRsForWavesPerEU: 1
; NumVGPRsForWavesPerEU: 1
; Occupancy: 16
; WaveLimiterHint : 0
; COMPUTE_PGM_RSRC2:SCRATCH_EN: 0
; COMPUTE_PGM_RSRC2:USER_SGPR: 2
; COMPUTE_PGM_RSRC2:TRAP_HANDLER: 0
; COMPUTE_PGM_RSRC2:TGID_X_EN: 1
; COMPUTE_PGM_RSRC2:TGID_Y_EN: 0
; COMPUTE_PGM_RSRC2:TGID_Z_EN: 0
; COMPUTE_PGM_RSRC2:TIDIG_COMP_CNT: 0
	.section	.text._ZN7rocprim17ROCPRIM_400000_NS6detail17trampoline_kernelINS0_14default_configENS1_25partition_config_selectorILNS1_17partition_subalgoE5EjNS0_10empty_typeEbEEZZNS1_14partition_implILS5_5ELb0ES3_mN6thrust23THRUST_200600_302600_NS6detail15normal_iteratorINSA_10device_ptrIjEEEEPS6_NSA_18transform_iteratorINSB_9not_fun_tI7is_trueIjEEENSC_INSD_IbEEEENSA_11use_defaultESO_EENS0_5tupleIJSF_S6_EEENSQ_IJSG_SG_EEES6_PlJS6_EEE10hipError_tPvRmT3_T4_T5_T6_T7_T9_mT8_P12ihipStream_tbDpT10_ENKUlT_T0_E_clISt17integral_constantIbLb0EES1C_IbLb1EEEEDaS18_S19_EUlS18_E_NS1_11comp_targetILNS1_3genE8ELNS1_11target_archE1030ELNS1_3gpuE2ELNS1_3repE0EEENS1_30default_config_static_selectorELNS0_4arch9wavefront6targetE0EEEvT1_,"axG",@progbits,_ZN7rocprim17ROCPRIM_400000_NS6detail17trampoline_kernelINS0_14default_configENS1_25partition_config_selectorILNS1_17partition_subalgoE5EjNS0_10empty_typeEbEEZZNS1_14partition_implILS5_5ELb0ES3_mN6thrust23THRUST_200600_302600_NS6detail15normal_iteratorINSA_10device_ptrIjEEEEPS6_NSA_18transform_iteratorINSB_9not_fun_tI7is_trueIjEEENSC_INSD_IbEEEENSA_11use_defaultESO_EENS0_5tupleIJSF_S6_EEENSQ_IJSG_SG_EEES6_PlJS6_EEE10hipError_tPvRmT3_T4_T5_T6_T7_T9_mT8_P12ihipStream_tbDpT10_ENKUlT_T0_E_clISt17integral_constantIbLb0EES1C_IbLb1EEEEDaS18_S19_EUlS18_E_NS1_11comp_targetILNS1_3genE8ELNS1_11target_archE1030ELNS1_3gpuE2ELNS1_3repE0EEENS1_30default_config_static_selectorELNS0_4arch9wavefront6targetE0EEEvT1_,comdat
	.protected	_ZN7rocprim17ROCPRIM_400000_NS6detail17trampoline_kernelINS0_14default_configENS1_25partition_config_selectorILNS1_17partition_subalgoE5EjNS0_10empty_typeEbEEZZNS1_14partition_implILS5_5ELb0ES3_mN6thrust23THRUST_200600_302600_NS6detail15normal_iteratorINSA_10device_ptrIjEEEEPS6_NSA_18transform_iteratorINSB_9not_fun_tI7is_trueIjEEENSC_INSD_IbEEEENSA_11use_defaultESO_EENS0_5tupleIJSF_S6_EEENSQ_IJSG_SG_EEES6_PlJS6_EEE10hipError_tPvRmT3_T4_T5_T6_T7_T9_mT8_P12ihipStream_tbDpT10_ENKUlT_T0_E_clISt17integral_constantIbLb0EES1C_IbLb1EEEEDaS18_S19_EUlS18_E_NS1_11comp_targetILNS1_3genE8ELNS1_11target_archE1030ELNS1_3gpuE2ELNS1_3repE0EEENS1_30default_config_static_selectorELNS0_4arch9wavefront6targetE0EEEvT1_ ; -- Begin function _ZN7rocprim17ROCPRIM_400000_NS6detail17trampoline_kernelINS0_14default_configENS1_25partition_config_selectorILNS1_17partition_subalgoE5EjNS0_10empty_typeEbEEZZNS1_14partition_implILS5_5ELb0ES3_mN6thrust23THRUST_200600_302600_NS6detail15normal_iteratorINSA_10device_ptrIjEEEEPS6_NSA_18transform_iteratorINSB_9not_fun_tI7is_trueIjEEENSC_INSD_IbEEEENSA_11use_defaultESO_EENS0_5tupleIJSF_S6_EEENSQ_IJSG_SG_EEES6_PlJS6_EEE10hipError_tPvRmT3_T4_T5_T6_T7_T9_mT8_P12ihipStream_tbDpT10_ENKUlT_T0_E_clISt17integral_constantIbLb0EES1C_IbLb1EEEEDaS18_S19_EUlS18_E_NS1_11comp_targetILNS1_3genE8ELNS1_11target_archE1030ELNS1_3gpuE2ELNS1_3repE0EEENS1_30default_config_static_selectorELNS0_4arch9wavefront6targetE0EEEvT1_
	.globl	_ZN7rocprim17ROCPRIM_400000_NS6detail17trampoline_kernelINS0_14default_configENS1_25partition_config_selectorILNS1_17partition_subalgoE5EjNS0_10empty_typeEbEEZZNS1_14partition_implILS5_5ELb0ES3_mN6thrust23THRUST_200600_302600_NS6detail15normal_iteratorINSA_10device_ptrIjEEEEPS6_NSA_18transform_iteratorINSB_9not_fun_tI7is_trueIjEEENSC_INSD_IbEEEENSA_11use_defaultESO_EENS0_5tupleIJSF_S6_EEENSQ_IJSG_SG_EEES6_PlJS6_EEE10hipError_tPvRmT3_T4_T5_T6_T7_T9_mT8_P12ihipStream_tbDpT10_ENKUlT_T0_E_clISt17integral_constantIbLb0EES1C_IbLb1EEEEDaS18_S19_EUlS18_E_NS1_11comp_targetILNS1_3genE8ELNS1_11target_archE1030ELNS1_3gpuE2ELNS1_3repE0EEENS1_30default_config_static_selectorELNS0_4arch9wavefront6targetE0EEEvT1_
	.p2align	8
	.type	_ZN7rocprim17ROCPRIM_400000_NS6detail17trampoline_kernelINS0_14default_configENS1_25partition_config_selectorILNS1_17partition_subalgoE5EjNS0_10empty_typeEbEEZZNS1_14partition_implILS5_5ELb0ES3_mN6thrust23THRUST_200600_302600_NS6detail15normal_iteratorINSA_10device_ptrIjEEEEPS6_NSA_18transform_iteratorINSB_9not_fun_tI7is_trueIjEEENSC_INSD_IbEEEENSA_11use_defaultESO_EENS0_5tupleIJSF_S6_EEENSQ_IJSG_SG_EEES6_PlJS6_EEE10hipError_tPvRmT3_T4_T5_T6_T7_T9_mT8_P12ihipStream_tbDpT10_ENKUlT_T0_E_clISt17integral_constantIbLb0EES1C_IbLb1EEEEDaS18_S19_EUlS18_E_NS1_11comp_targetILNS1_3genE8ELNS1_11target_archE1030ELNS1_3gpuE2ELNS1_3repE0EEENS1_30default_config_static_selectorELNS0_4arch9wavefront6targetE0EEEvT1_,@function
_ZN7rocprim17ROCPRIM_400000_NS6detail17trampoline_kernelINS0_14default_configENS1_25partition_config_selectorILNS1_17partition_subalgoE5EjNS0_10empty_typeEbEEZZNS1_14partition_implILS5_5ELb0ES3_mN6thrust23THRUST_200600_302600_NS6detail15normal_iteratorINSA_10device_ptrIjEEEEPS6_NSA_18transform_iteratorINSB_9not_fun_tI7is_trueIjEEENSC_INSD_IbEEEENSA_11use_defaultESO_EENS0_5tupleIJSF_S6_EEENSQ_IJSG_SG_EEES6_PlJS6_EEE10hipError_tPvRmT3_T4_T5_T6_T7_T9_mT8_P12ihipStream_tbDpT10_ENKUlT_T0_E_clISt17integral_constantIbLb0EES1C_IbLb1EEEEDaS18_S19_EUlS18_E_NS1_11comp_targetILNS1_3genE8ELNS1_11target_archE1030ELNS1_3gpuE2ELNS1_3repE0EEENS1_30default_config_static_selectorELNS0_4arch9wavefront6targetE0EEEvT1_: ; @_ZN7rocprim17ROCPRIM_400000_NS6detail17trampoline_kernelINS0_14default_configENS1_25partition_config_selectorILNS1_17partition_subalgoE5EjNS0_10empty_typeEbEEZZNS1_14partition_implILS5_5ELb0ES3_mN6thrust23THRUST_200600_302600_NS6detail15normal_iteratorINSA_10device_ptrIjEEEEPS6_NSA_18transform_iteratorINSB_9not_fun_tI7is_trueIjEEENSC_INSD_IbEEEENSA_11use_defaultESO_EENS0_5tupleIJSF_S6_EEENSQ_IJSG_SG_EEES6_PlJS6_EEE10hipError_tPvRmT3_T4_T5_T6_T7_T9_mT8_P12ihipStream_tbDpT10_ENKUlT_T0_E_clISt17integral_constantIbLb0EES1C_IbLb1EEEEDaS18_S19_EUlS18_E_NS1_11comp_targetILNS1_3genE8ELNS1_11target_archE1030ELNS1_3gpuE2ELNS1_3repE0EEENS1_30default_config_static_selectorELNS0_4arch9wavefront6targetE0EEEvT1_
; %bb.0:
	.section	.rodata,"a",@progbits
	.p2align	6, 0x0
	.amdhsa_kernel _ZN7rocprim17ROCPRIM_400000_NS6detail17trampoline_kernelINS0_14default_configENS1_25partition_config_selectorILNS1_17partition_subalgoE5EjNS0_10empty_typeEbEEZZNS1_14partition_implILS5_5ELb0ES3_mN6thrust23THRUST_200600_302600_NS6detail15normal_iteratorINSA_10device_ptrIjEEEEPS6_NSA_18transform_iteratorINSB_9not_fun_tI7is_trueIjEEENSC_INSD_IbEEEENSA_11use_defaultESO_EENS0_5tupleIJSF_S6_EEENSQ_IJSG_SG_EEES6_PlJS6_EEE10hipError_tPvRmT3_T4_T5_T6_T7_T9_mT8_P12ihipStream_tbDpT10_ENKUlT_T0_E_clISt17integral_constantIbLb0EES1C_IbLb1EEEEDaS18_S19_EUlS18_E_NS1_11comp_targetILNS1_3genE8ELNS1_11target_archE1030ELNS1_3gpuE2ELNS1_3repE0EEENS1_30default_config_static_selectorELNS0_4arch9wavefront6targetE0EEEvT1_
		.amdhsa_group_segment_fixed_size 0
		.amdhsa_private_segment_fixed_size 0
		.amdhsa_kernarg_size 136
		.amdhsa_user_sgpr_count 2
		.amdhsa_user_sgpr_dispatch_ptr 0
		.amdhsa_user_sgpr_queue_ptr 0
		.amdhsa_user_sgpr_kernarg_segment_ptr 1
		.amdhsa_user_sgpr_dispatch_id 0
		.amdhsa_user_sgpr_private_segment_size 0
		.amdhsa_wavefront_size32 1
		.amdhsa_uses_dynamic_stack 0
		.amdhsa_enable_private_segment 0
		.amdhsa_system_sgpr_workgroup_id_x 1
		.amdhsa_system_sgpr_workgroup_id_y 0
		.amdhsa_system_sgpr_workgroup_id_z 0
		.amdhsa_system_sgpr_workgroup_info 0
		.amdhsa_system_vgpr_workitem_id 0
		.amdhsa_next_free_vgpr 1
		.amdhsa_next_free_sgpr 1
		.amdhsa_reserve_vcc 0
		.amdhsa_float_round_mode_32 0
		.amdhsa_float_round_mode_16_64 0
		.amdhsa_float_denorm_mode_32 3
		.amdhsa_float_denorm_mode_16_64 3
		.amdhsa_fp16_overflow 0
		.amdhsa_workgroup_processor_mode 1
		.amdhsa_memory_ordered 1
		.amdhsa_forward_progress 1
		.amdhsa_inst_pref_size 0
		.amdhsa_round_robin_scheduling 0
		.amdhsa_exception_fp_ieee_invalid_op 0
		.amdhsa_exception_fp_denorm_src 0
		.amdhsa_exception_fp_ieee_div_zero 0
		.amdhsa_exception_fp_ieee_overflow 0
		.amdhsa_exception_fp_ieee_underflow 0
		.amdhsa_exception_fp_ieee_inexact 0
		.amdhsa_exception_int_div_zero 0
	.end_amdhsa_kernel
	.section	.text._ZN7rocprim17ROCPRIM_400000_NS6detail17trampoline_kernelINS0_14default_configENS1_25partition_config_selectorILNS1_17partition_subalgoE5EjNS0_10empty_typeEbEEZZNS1_14partition_implILS5_5ELb0ES3_mN6thrust23THRUST_200600_302600_NS6detail15normal_iteratorINSA_10device_ptrIjEEEEPS6_NSA_18transform_iteratorINSB_9not_fun_tI7is_trueIjEEENSC_INSD_IbEEEENSA_11use_defaultESO_EENS0_5tupleIJSF_S6_EEENSQ_IJSG_SG_EEES6_PlJS6_EEE10hipError_tPvRmT3_T4_T5_T6_T7_T9_mT8_P12ihipStream_tbDpT10_ENKUlT_T0_E_clISt17integral_constantIbLb0EES1C_IbLb1EEEEDaS18_S19_EUlS18_E_NS1_11comp_targetILNS1_3genE8ELNS1_11target_archE1030ELNS1_3gpuE2ELNS1_3repE0EEENS1_30default_config_static_selectorELNS0_4arch9wavefront6targetE0EEEvT1_,"axG",@progbits,_ZN7rocprim17ROCPRIM_400000_NS6detail17trampoline_kernelINS0_14default_configENS1_25partition_config_selectorILNS1_17partition_subalgoE5EjNS0_10empty_typeEbEEZZNS1_14partition_implILS5_5ELb0ES3_mN6thrust23THRUST_200600_302600_NS6detail15normal_iteratorINSA_10device_ptrIjEEEEPS6_NSA_18transform_iteratorINSB_9not_fun_tI7is_trueIjEEENSC_INSD_IbEEEENSA_11use_defaultESO_EENS0_5tupleIJSF_S6_EEENSQ_IJSG_SG_EEES6_PlJS6_EEE10hipError_tPvRmT3_T4_T5_T6_T7_T9_mT8_P12ihipStream_tbDpT10_ENKUlT_T0_E_clISt17integral_constantIbLb0EES1C_IbLb1EEEEDaS18_S19_EUlS18_E_NS1_11comp_targetILNS1_3genE8ELNS1_11target_archE1030ELNS1_3gpuE2ELNS1_3repE0EEENS1_30default_config_static_selectorELNS0_4arch9wavefront6targetE0EEEvT1_,comdat
.Lfunc_end2460:
	.size	_ZN7rocprim17ROCPRIM_400000_NS6detail17trampoline_kernelINS0_14default_configENS1_25partition_config_selectorILNS1_17partition_subalgoE5EjNS0_10empty_typeEbEEZZNS1_14partition_implILS5_5ELb0ES3_mN6thrust23THRUST_200600_302600_NS6detail15normal_iteratorINSA_10device_ptrIjEEEEPS6_NSA_18transform_iteratorINSB_9not_fun_tI7is_trueIjEEENSC_INSD_IbEEEENSA_11use_defaultESO_EENS0_5tupleIJSF_S6_EEENSQ_IJSG_SG_EEES6_PlJS6_EEE10hipError_tPvRmT3_T4_T5_T6_T7_T9_mT8_P12ihipStream_tbDpT10_ENKUlT_T0_E_clISt17integral_constantIbLb0EES1C_IbLb1EEEEDaS18_S19_EUlS18_E_NS1_11comp_targetILNS1_3genE8ELNS1_11target_archE1030ELNS1_3gpuE2ELNS1_3repE0EEENS1_30default_config_static_selectorELNS0_4arch9wavefront6targetE0EEEvT1_, .Lfunc_end2460-_ZN7rocprim17ROCPRIM_400000_NS6detail17trampoline_kernelINS0_14default_configENS1_25partition_config_selectorILNS1_17partition_subalgoE5EjNS0_10empty_typeEbEEZZNS1_14partition_implILS5_5ELb0ES3_mN6thrust23THRUST_200600_302600_NS6detail15normal_iteratorINSA_10device_ptrIjEEEEPS6_NSA_18transform_iteratorINSB_9not_fun_tI7is_trueIjEEENSC_INSD_IbEEEENSA_11use_defaultESO_EENS0_5tupleIJSF_S6_EEENSQ_IJSG_SG_EEES6_PlJS6_EEE10hipError_tPvRmT3_T4_T5_T6_T7_T9_mT8_P12ihipStream_tbDpT10_ENKUlT_T0_E_clISt17integral_constantIbLb0EES1C_IbLb1EEEEDaS18_S19_EUlS18_E_NS1_11comp_targetILNS1_3genE8ELNS1_11target_archE1030ELNS1_3gpuE2ELNS1_3repE0EEENS1_30default_config_static_selectorELNS0_4arch9wavefront6targetE0EEEvT1_
                                        ; -- End function
	.set _ZN7rocprim17ROCPRIM_400000_NS6detail17trampoline_kernelINS0_14default_configENS1_25partition_config_selectorILNS1_17partition_subalgoE5EjNS0_10empty_typeEbEEZZNS1_14partition_implILS5_5ELb0ES3_mN6thrust23THRUST_200600_302600_NS6detail15normal_iteratorINSA_10device_ptrIjEEEEPS6_NSA_18transform_iteratorINSB_9not_fun_tI7is_trueIjEEENSC_INSD_IbEEEENSA_11use_defaultESO_EENS0_5tupleIJSF_S6_EEENSQ_IJSG_SG_EEES6_PlJS6_EEE10hipError_tPvRmT3_T4_T5_T6_T7_T9_mT8_P12ihipStream_tbDpT10_ENKUlT_T0_E_clISt17integral_constantIbLb0EES1C_IbLb1EEEEDaS18_S19_EUlS18_E_NS1_11comp_targetILNS1_3genE8ELNS1_11target_archE1030ELNS1_3gpuE2ELNS1_3repE0EEENS1_30default_config_static_selectorELNS0_4arch9wavefront6targetE0EEEvT1_.num_vgpr, 0
	.set _ZN7rocprim17ROCPRIM_400000_NS6detail17trampoline_kernelINS0_14default_configENS1_25partition_config_selectorILNS1_17partition_subalgoE5EjNS0_10empty_typeEbEEZZNS1_14partition_implILS5_5ELb0ES3_mN6thrust23THRUST_200600_302600_NS6detail15normal_iteratorINSA_10device_ptrIjEEEEPS6_NSA_18transform_iteratorINSB_9not_fun_tI7is_trueIjEEENSC_INSD_IbEEEENSA_11use_defaultESO_EENS0_5tupleIJSF_S6_EEENSQ_IJSG_SG_EEES6_PlJS6_EEE10hipError_tPvRmT3_T4_T5_T6_T7_T9_mT8_P12ihipStream_tbDpT10_ENKUlT_T0_E_clISt17integral_constantIbLb0EES1C_IbLb1EEEEDaS18_S19_EUlS18_E_NS1_11comp_targetILNS1_3genE8ELNS1_11target_archE1030ELNS1_3gpuE2ELNS1_3repE0EEENS1_30default_config_static_selectorELNS0_4arch9wavefront6targetE0EEEvT1_.num_agpr, 0
	.set _ZN7rocprim17ROCPRIM_400000_NS6detail17trampoline_kernelINS0_14default_configENS1_25partition_config_selectorILNS1_17partition_subalgoE5EjNS0_10empty_typeEbEEZZNS1_14partition_implILS5_5ELb0ES3_mN6thrust23THRUST_200600_302600_NS6detail15normal_iteratorINSA_10device_ptrIjEEEEPS6_NSA_18transform_iteratorINSB_9not_fun_tI7is_trueIjEEENSC_INSD_IbEEEENSA_11use_defaultESO_EENS0_5tupleIJSF_S6_EEENSQ_IJSG_SG_EEES6_PlJS6_EEE10hipError_tPvRmT3_T4_T5_T6_T7_T9_mT8_P12ihipStream_tbDpT10_ENKUlT_T0_E_clISt17integral_constantIbLb0EES1C_IbLb1EEEEDaS18_S19_EUlS18_E_NS1_11comp_targetILNS1_3genE8ELNS1_11target_archE1030ELNS1_3gpuE2ELNS1_3repE0EEENS1_30default_config_static_selectorELNS0_4arch9wavefront6targetE0EEEvT1_.numbered_sgpr, 0
	.set _ZN7rocprim17ROCPRIM_400000_NS6detail17trampoline_kernelINS0_14default_configENS1_25partition_config_selectorILNS1_17partition_subalgoE5EjNS0_10empty_typeEbEEZZNS1_14partition_implILS5_5ELb0ES3_mN6thrust23THRUST_200600_302600_NS6detail15normal_iteratorINSA_10device_ptrIjEEEEPS6_NSA_18transform_iteratorINSB_9not_fun_tI7is_trueIjEEENSC_INSD_IbEEEENSA_11use_defaultESO_EENS0_5tupleIJSF_S6_EEENSQ_IJSG_SG_EEES6_PlJS6_EEE10hipError_tPvRmT3_T4_T5_T6_T7_T9_mT8_P12ihipStream_tbDpT10_ENKUlT_T0_E_clISt17integral_constantIbLb0EES1C_IbLb1EEEEDaS18_S19_EUlS18_E_NS1_11comp_targetILNS1_3genE8ELNS1_11target_archE1030ELNS1_3gpuE2ELNS1_3repE0EEENS1_30default_config_static_selectorELNS0_4arch9wavefront6targetE0EEEvT1_.num_named_barrier, 0
	.set _ZN7rocprim17ROCPRIM_400000_NS6detail17trampoline_kernelINS0_14default_configENS1_25partition_config_selectorILNS1_17partition_subalgoE5EjNS0_10empty_typeEbEEZZNS1_14partition_implILS5_5ELb0ES3_mN6thrust23THRUST_200600_302600_NS6detail15normal_iteratorINSA_10device_ptrIjEEEEPS6_NSA_18transform_iteratorINSB_9not_fun_tI7is_trueIjEEENSC_INSD_IbEEEENSA_11use_defaultESO_EENS0_5tupleIJSF_S6_EEENSQ_IJSG_SG_EEES6_PlJS6_EEE10hipError_tPvRmT3_T4_T5_T6_T7_T9_mT8_P12ihipStream_tbDpT10_ENKUlT_T0_E_clISt17integral_constantIbLb0EES1C_IbLb1EEEEDaS18_S19_EUlS18_E_NS1_11comp_targetILNS1_3genE8ELNS1_11target_archE1030ELNS1_3gpuE2ELNS1_3repE0EEENS1_30default_config_static_selectorELNS0_4arch9wavefront6targetE0EEEvT1_.private_seg_size, 0
	.set _ZN7rocprim17ROCPRIM_400000_NS6detail17trampoline_kernelINS0_14default_configENS1_25partition_config_selectorILNS1_17partition_subalgoE5EjNS0_10empty_typeEbEEZZNS1_14partition_implILS5_5ELb0ES3_mN6thrust23THRUST_200600_302600_NS6detail15normal_iteratorINSA_10device_ptrIjEEEEPS6_NSA_18transform_iteratorINSB_9not_fun_tI7is_trueIjEEENSC_INSD_IbEEEENSA_11use_defaultESO_EENS0_5tupleIJSF_S6_EEENSQ_IJSG_SG_EEES6_PlJS6_EEE10hipError_tPvRmT3_T4_T5_T6_T7_T9_mT8_P12ihipStream_tbDpT10_ENKUlT_T0_E_clISt17integral_constantIbLb0EES1C_IbLb1EEEEDaS18_S19_EUlS18_E_NS1_11comp_targetILNS1_3genE8ELNS1_11target_archE1030ELNS1_3gpuE2ELNS1_3repE0EEENS1_30default_config_static_selectorELNS0_4arch9wavefront6targetE0EEEvT1_.uses_vcc, 0
	.set _ZN7rocprim17ROCPRIM_400000_NS6detail17trampoline_kernelINS0_14default_configENS1_25partition_config_selectorILNS1_17partition_subalgoE5EjNS0_10empty_typeEbEEZZNS1_14partition_implILS5_5ELb0ES3_mN6thrust23THRUST_200600_302600_NS6detail15normal_iteratorINSA_10device_ptrIjEEEEPS6_NSA_18transform_iteratorINSB_9not_fun_tI7is_trueIjEEENSC_INSD_IbEEEENSA_11use_defaultESO_EENS0_5tupleIJSF_S6_EEENSQ_IJSG_SG_EEES6_PlJS6_EEE10hipError_tPvRmT3_T4_T5_T6_T7_T9_mT8_P12ihipStream_tbDpT10_ENKUlT_T0_E_clISt17integral_constantIbLb0EES1C_IbLb1EEEEDaS18_S19_EUlS18_E_NS1_11comp_targetILNS1_3genE8ELNS1_11target_archE1030ELNS1_3gpuE2ELNS1_3repE0EEENS1_30default_config_static_selectorELNS0_4arch9wavefront6targetE0EEEvT1_.uses_flat_scratch, 0
	.set _ZN7rocprim17ROCPRIM_400000_NS6detail17trampoline_kernelINS0_14default_configENS1_25partition_config_selectorILNS1_17partition_subalgoE5EjNS0_10empty_typeEbEEZZNS1_14partition_implILS5_5ELb0ES3_mN6thrust23THRUST_200600_302600_NS6detail15normal_iteratorINSA_10device_ptrIjEEEEPS6_NSA_18transform_iteratorINSB_9not_fun_tI7is_trueIjEEENSC_INSD_IbEEEENSA_11use_defaultESO_EENS0_5tupleIJSF_S6_EEENSQ_IJSG_SG_EEES6_PlJS6_EEE10hipError_tPvRmT3_T4_T5_T6_T7_T9_mT8_P12ihipStream_tbDpT10_ENKUlT_T0_E_clISt17integral_constantIbLb0EES1C_IbLb1EEEEDaS18_S19_EUlS18_E_NS1_11comp_targetILNS1_3genE8ELNS1_11target_archE1030ELNS1_3gpuE2ELNS1_3repE0EEENS1_30default_config_static_selectorELNS0_4arch9wavefront6targetE0EEEvT1_.has_dyn_sized_stack, 0
	.set _ZN7rocprim17ROCPRIM_400000_NS6detail17trampoline_kernelINS0_14default_configENS1_25partition_config_selectorILNS1_17partition_subalgoE5EjNS0_10empty_typeEbEEZZNS1_14partition_implILS5_5ELb0ES3_mN6thrust23THRUST_200600_302600_NS6detail15normal_iteratorINSA_10device_ptrIjEEEEPS6_NSA_18transform_iteratorINSB_9not_fun_tI7is_trueIjEEENSC_INSD_IbEEEENSA_11use_defaultESO_EENS0_5tupleIJSF_S6_EEENSQ_IJSG_SG_EEES6_PlJS6_EEE10hipError_tPvRmT3_T4_T5_T6_T7_T9_mT8_P12ihipStream_tbDpT10_ENKUlT_T0_E_clISt17integral_constantIbLb0EES1C_IbLb1EEEEDaS18_S19_EUlS18_E_NS1_11comp_targetILNS1_3genE8ELNS1_11target_archE1030ELNS1_3gpuE2ELNS1_3repE0EEENS1_30default_config_static_selectorELNS0_4arch9wavefront6targetE0EEEvT1_.has_recursion, 0
	.set _ZN7rocprim17ROCPRIM_400000_NS6detail17trampoline_kernelINS0_14default_configENS1_25partition_config_selectorILNS1_17partition_subalgoE5EjNS0_10empty_typeEbEEZZNS1_14partition_implILS5_5ELb0ES3_mN6thrust23THRUST_200600_302600_NS6detail15normal_iteratorINSA_10device_ptrIjEEEEPS6_NSA_18transform_iteratorINSB_9not_fun_tI7is_trueIjEEENSC_INSD_IbEEEENSA_11use_defaultESO_EENS0_5tupleIJSF_S6_EEENSQ_IJSG_SG_EEES6_PlJS6_EEE10hipError_tPvRmT3_T4_T5_T6_T7_T9_mT8_P12ihipStream_tbDpT10_ENKUlT_T0_E_clISt17integral_constantIbLb0EES1C_IbLb1EEEEDaS18_S19_EUlS18_E_NS1_11comp_targetILNS1_3genE8ELNS1_11target_archE1030ELNS1_3gpuE2ELNS1_3repE0EEENS1_30default_config_static_selectorELNS0_4arch9wavefront6targetE0EEEvT1_.has_indirect_call, 0
	.section	.AMDGPU.csdata,"",@progbits
; Kernel info:
; codeLenInByte = 0
; TotalNumSgprs: 0
; NumVgprs: 0
; ScratchSize: 0
; MemoryBound: 0
; FloatMode: 240
; IeeeMode: 1
; LDSByteSize: 0 bytes/workgroup (compile time only)
; SGPRBlocks: 0
; VGPRBlocks: 0
; NumSGPRsForWavesPerEU: 1
; NumVGPRsForWavesPerEU: 1
; Occupancy: 16
; WaveLimiterHint : 0
; COMPUTE_PGM_RSRC2:SCRATCH_EN: 0
; COMPUTE_PGM_RSRC2:USER_SGPR: 2
; COMPUTE_PGM_RSRC2:TRAP_HANDLER: 0
; COMPUTE_PGM_RSRC2:TGID_X_EN: 1
; COMPUTE_PGM_RSRC2:TGID_Y_EN: 0
; COMPUTE_PGM_RSRC2:TGID_Z_EN: 0
; COMPUTE_PGM_RSRC2:TIDIG_COMP_CNT: 0
	.section	.text._ZN7rocprim17ROCPRIM_400000_NS6detail17trampoline_kernelINS0_14default_configENS1_25partition_config_selectorILNS1_17partition_subalgoE5EtNS0_10empty_typeEbEEZZNS1_14partition_implILS5_5ELb0ES3_mN6thrust23THRUST_200600_302600_NS6detail15normal_iteratorINSA_10device_ptrItEEEEPS6_NSA_18transform_iteratorINSB_9not_fun_tI7is_trueItEEENSC_INSD_IbEEEENSA_11use_defaultESO_EENS0_5tupleIJSF_S6_EEENSQ_IJSG_SG_EEES6_PlJS6_EEE10hipError_tPvRmT3_T4_T5_T6_T7_T9_mT8_P12ihipStream_tbDpT10_ENKUlT_T0_E_clISt17integral_constantIbLb0EES1D_EEDaS18_S19_EUlS18_E_NS1_11comp_targetILNS1_3genE0ELNS1_11target_archE4294967295ELNS1_3gpuE0ELNS1_3repE0EEENS1_30default_config_static_selectorELNS0_4arch9wavefront6targetE0EEEvT1_,"axG",@progbits,_ZN7rocprim17ROCPRIM_400000_NS6detail17trampoline_kernelINS0_14default_configENS1_25partition_config_selectorILNS1_17partition_subalgoE5EtNS0_10empty_typeEbEEZZNS1_14partition_implILS5_5ELb0ES3_mN6thrust23THRUST_200600_302600_NS6detail15normal_iteratorINSA_10device_ptrItEEEEPS6_NSA_18transform_iteratorINSB_9not_fun_tI7is_trueItEEENSC_INSD_IbEEEENSA_11use_defaultESO_EENS0_5tupleIJSF_S6_EEENSQ_IJSG_SG_EEES6_PlJS6_EEE10hipError_tPvRmT3_T4_T5_T6_T7_T9_mT8_P12ihipStream_tbDpT10_ENKUlT_T0_E_clISt17integral_constantIbLb0EES1D_EEDaS18_S19_EUlS18_E_NS1_11comp_targetILNS1_3genE0ELNS1_11target_archE4294967295ELNS1_3gpuE0ELNS1_3repE0EEENS1_30default_config_static_selectorELNS0_4arch9wavefront6targetE0EEEvT1_,comdat
	.protected	_ZN7rocprim17ROCPRIM_400000_NS6detail17trampoline_kernelINS0_14default_configENS1_25partition_config_selectorILNS1_17partition_subalgoE5EtNS0_10empty_typeEbEEZZNS1_14partition_implILS5_5ELb0ES3_mN6thrust23THRUST_200600_302600_NS6detail15normal_iteratorINSA_10device_ptrItEEEEPS6_NSA_18transform_iteratorINSB_9not_fun_tI7is_trueItEEENSC_INSD_IbEEEENSA_11use_defaultESO_EENS0_5tupleIJSF_S6_EEENSQ_IJSG_SG_EEES6_PlJS6_EEE10hipError_tPvRmT3_T4_T5_T6_T7_T9_mT8_P12ihipStream_tbDpT10_ENKUlT_T0_E_clISt17integral_constantIbLb0EES1D_EEDaS18_S19_EUlS18_E_NS1_11comp_targetILNS1_3genE0ELNS1_11target_archE4294967295ELNS1_3gpuE0ELNS1_3repE0EEENS1_30default_config_static_selectorELNS0_4arch9wavefront6targetE0EEEvT1_ ; -- Begin function _ZN7rocprim17ROCPRIM_400000_NS6detail17trampoline_kernelINS0_14default_configENS1_25partition_config_selectorILNS1_17partition_subalgoE5EtNS0_10empty_typeEbEEZZNS1_14partition_implILS5_5ELb0ES3_mN6thrust23THRUST_200600_302600_NS6detail15normal_iteratorINSA_10device_ptrItEEEEPS6_NSA_18transform_iteratorINSB_9not_fun_tI7is_trueItEEENSC_INSD_IbEEEENSA_11use_defaultESO_EENS0_5tupleIJSF_S6_EEENSQ_IJSG_SG_EEES6_PlJS6_EEE10hipError_tPvRmT3_T4_T5_T6_T7_T9_mT8_P12ihipStream_tbDpT10_ENKUlT_T0_E_clISt17integral_constantIbLb0EES1D_EEDaS18_S19_EUlS18_E_NS1_11comp_targetILNS1_3genE0ELNS1_11target_archE4294967295ELNS1_3gpuE0ELNS1_3repE0EEENS1_30default_config_static_selectorELNS0_4arch9wavefront6targetE0EEEvT1_
	.globl	_ZN7rocprim17ROCPRIM_400000_NS6detail17trampoline_kernelINS0_14default_configENS1_25partition_config_selectorILNS1_17partition_subalgoE5EtNS0_10empty_typeEbEEZZNS1_14partition_implILS5_5ELb0ES3_mN6thrust23THRUST_200600_302600_NS6detail15normal_iteratorINSA_10device_ptrItEEEEPS6_NSA_18transform_iteratorINSB_9not_fun_tI7is_trueItEEENSC_INSD_IbEEEENSA_11use_defaultESO_EENS0_5tupleIJSF_S6_EEENSQ_IJSG_SG_EEES6_PlJS6_EEE10hipError_tPvRmT3_T4_T5_T6_T7_T9_mT8_P12ihipStream_tbDpT10_ENKUlT_T0_E_clISt17integral_constantIbLb0EES1D_EEDaS18_S19_EUlS18_E_NS1_11comp_targetILNS1_3genE0ELNS1_11target_archE4294967295ELNS1_3gpuE0ELNS1_3repE0EEENS1_30default_config_static_selectorELNS0_4arch9wavefront6targetE0EEEvT1_
	.p2align	8
	.type	_ZN7rocprim17ROCPRIM_400000_NS6detail17trampoline_kernelINS0_14default_configENS1_25partition_config_selectorILNS1_17partition_subalgoE5EtNS0_10empty_typeEbEEZZNS1_14partition_implILS5_5ELb0ES3_mN6thrust23THRUST_200600_302600_NS6detail15normal_iteratorINSA_10device_ptrItEEEEPS6_NSA_18transform_iteratorINSB_9not_fun_tI7is_trueItEEENSC_INSD_IbEEEENSA_11use_defaultESO_EENS0_5tupleIJSF_S6_EEENSQ_IJSG_SG_EEES6_PlJS6_EEE10hipError_tPvRmT3_T4_T5_T6_T7_T9_mT8_P12ihipStream_tbDpT10_ENKUlT_T0_E_clISt17integral_constantIbLb0EES1D_EEDaS18_S19_EUlS18_E_NS1_11comp_targetILNS1_3genE0ELNS1_11target_archE4294967295ELNS1_3gpuE0ELNS1_3repE0EEENS1_30default_config_static_selectorELNS0_4arch9wavefront6targetE0EEEvT1_,@function
_ZN7rocprim17ROCPRIM_400000_NS6detail17trampoline_kernelINS0_14default_configENS1_25partition_config_selectorILNS1_17partition_subalgoE5EtNS0_10empty_typeEbEEZZNS1_14partition_implILS5_5ELb0ES3_mN6thrust23THRUST_200600_302600_NS6detail15normal_iteratorINSA_10device_ptrItEEEEPS6_NSA_18transform_iteratorINSB_9not_fun_tI7is_trueItEEENSC_INSD_IbEEEENSA_11use_defaultESO_EENS0_5tupleIJSF_S6_EEENSQ_IJSG_SG_EEES6_PlJS6_EEE10hipError_tPvRmT3_T4_T5_T6_T7_T9_mT8_P12ihipStream_tbDpT10_ENKUlT_T0_E_clISt17integral_constantIbLb0EES1D_EEDaS18_S19_EUlS18_E_NS1_11comp_targetILNS1_3genE0ELNS1_11target_archE4294967295ELNS1_3gpuE0ELNS1_3repE0EEENS1_30default_config_static_selectorELNS0_4arch9wavefront6targetE0EEEvT1_: ; @_ZN7rocprim17ROCPRIM_400000_NS6detail17trampoline_kernelINS0_14default_configENS1_25partition_config_selectorILNS1_17partition_subalgoE5EtNS0_10empty_typeEbEEZZNS1_14partition_implILS5_5ELb0ES3_mN6thrust23THRUST_200600_302600_NS6detail15normal_iteratorINSA_10device_ptrItEEEEPS6_NSA_18transform_iteratorINSB_9not_fun_tI7is_trueItEEENSC_INSD_IbEEEENSA_11use_defaultESO_EENS0_5tupleIJSF_S6_EEENSQ_IJSG_SG_EEES6_PlJS6_EEE10hipError_tPvRmT3_T4_T5_T6_T7_T9_mT8_P12ihipStream_tbDpT10_ENKUlT_T0_E_clISt17integral_constantIbLb0EES1D_EEDaS18_S19_EUlS18_E_NS1_11comp_targetILNS1_3genE0ELNS1_11target_archE4294967295ELNS1_3gpuE0ELNS1_3repE0EEENS1_30default_config_static_selectorELNS0_4arch9wavefront6targetE0EEEvT1_
; %bb.0:
	.section	.rodata,"a",@progbits
	.p2align	6, 0x0
	.amdhsa_kernel _ZN7rocprim17ROCPRIM_400000_NS6detail17trampoline_kernelINS0_14default_configENS1_25partition_config_selectorILNS1_17partition_subalgoE5EtNS0_10empty_typeEbEEZZNS1_14partition_implILS5_5ELb0ES3_mN6thrust23THRUST_200600_302600_NS6detail15normal_iteratorINSA_10device_ptrItEEEEPS6_NSA_18transform_iteratorINSB_9not_fun_tI7is_trueItEEENSC_INSD_IbEEEENSA_11use_defaultESO_EENS0_5tupleIJSF_S6_EEENSQ_IJSG_SG_EEES6_PlJS6_EEE10hipError_tPvRmT3_T4_T5_T6_T7_T9_mT8_P12ihipStream_tbDpT10_ENKUlT_T0_E_clISt17integral_constantIbLb0EES1D_EEDaS18_S19_EUlS18_E_NS1_11comp_targetILNS1_3genE0ELNS1_11target_archE4294967295ELNS1_3gpuE0ELNS1_3repE0EEENS1_30default_config_static_selectorELNS0_4arch9wavefront6targetE0EEEvT1_
		.amdhsa_group_segment_fixed_size 0
		.amdhsa_private_segment_fixed_size 0
		.amdhsa_kernarg_size 120
		.amdhsa_user_sgpr_count 2
		.amdhsa_user_sgpr_dispatch_ptr 0
		.amdhsa_user_sgpr_queue_ptr 0
		.amdhsa_user_sgpr_kernarg_segment_ptr 1
		.amdhsa_user_sgpr_dispatch_id 0
		.amdhsa_user_sgpr_private_segment_size 0
		.amdhsa_wavefront_size32 1
		.amdhsa_uses_dynamic_stack 0
		.amdhsa_enable_private_segment 0
		.amdhsa_system_sgpr_workgroup_id_x 1
		.amdhsa_system_sgpr_workgroup_id_y 0
		.amdhsa_system_sgpr_workgroup_id_z 0
		.amdhsa_system_sgpr_workgroup_info 0
		.amdhsa_system_vgpr_workitem_id 0
		.amdhsa_next_free_vgpr 1
		.amdhsa_next_free_sgpr 1
		.amdhsa_reserve_vcc 0
		.amdhsa_float_round_mode_32 0
		.amdhsa_float_round_mode_16_64 0
		.amdhsa_float_denorm_mode_32 3
		.amdhsa_float_denorm_mode_16_64 3
		.amdhsa_fp16_overflow 0
		.amdhsa_workgroup_processor_mode 1
		.amdhsa_memory_ordered 1
		.amdhsa_forward_progress 1
		.amdhsa_inst_pref_size 0
		.amdhsa_round_robin_scheduling 0
		.amdhsa_exception_fp_ieee_invalid_op 0
		.amdhsa_exception_fp_denorm_src 0
		.amdhsa_exception_fp_ieee_div_zero 0
		.amdhsa_exception_fp_ieee_overflow 0
		.amdhsa_exception_fp_ieee_underflow 0
		.amdhsa_exception_fp_ieee_inexact 0
		.amdhsa_exception_int_div_zero 0
	.end_amdhsa_kernel
	.section	.text._ZN7rocprim17ROCPRIM_400000_NS6detail17trampoline_kernelINS0_14default_configENS1_25partition_config_selectorILNS1_17partition_subalgoE5EtNS0_10empty_typeEbEEZZNS1_14partition_implILS5_5ELb0ES3_mN6thrust23THRUST_200600_302600_NS6detail15normal_iteratorINSA_10device_ptrItEEEEPS6_NSA_18transform_iteratorINSB_9not_fun_tI7is_trueItEEENSC_INSD_IbEEEENSA_11use_defaultESO_EENS0_5tupleIJSF_S6_EEENSQ_IJSG_SG_EEES6_PlJS6_EEE10hipError_tPvRmT3_T4_T5_T6_T7_T9_mT8_P12ihipStream_tbDpT10_ENKUlT_T0_E_clISt17integral_constantIbLb0EES1D_EEDaS18_S19_EUlS18_E_NS1_11comp_targetILNS1_3genE0ELNS1_11target_archE4294967295ELNS1_3gpuE0ELNS1_3repE0EEENS1_30default_config_static_selectorELNS0_4arch9wavefront6targetE0EEEvT1_,"axG",@progbits,_ZN7rocprim17ROCPRIM_400000_NS6detail17trampoline_kernelINS0_14default_configENS1_25partition_config_selectorILNS1_17partition_subalgoE5EtNS0_10empty_typeEbEEZZNS1_14partition_implILS5_5ELb0ES3_mN6thrust23THRUST_200600_302600_NS6detail15normal_iteratorINSA_10device_ptrItEEEEPS6_NSA_18transform_iteratorINSB_9not_fun_tI7is_trueItEEENSC_INSD_IbEEEENSA_11use_defaultESO_EENS0_5tupleIJSF_S6_EEENSQ_IJSG_SG_EEES6_PlJS6_EEE10hipError_tPvRmT3_T4_T5_T6_T7_T9_mT8_P12ihipStream_tbDpT10_ENKUlT_T0_E_clISt17integral_constantIbLb0EES1D_EEDaS18_S19_EUlS18_E_NS1_11comp_targetILNS1_3genE0ELNS1_11target_archE4294967295ELNS1_3gpuE0ELNS1_3repE0EEENS1_30default_config_static_selectorELNS0_4arch9wavefront6targetE0EEEvT1_,comdat
.Lfunc_end2461:
	.size	_ZN7rocprim17ROCPRIM_400000_NS6detail17trampoline_kernelINS0_14default_configENS1_25partition_config_selectorILNS1_17partition_subalgoE5EtNS0_10empty_typeEbEEZZNS1_14partition_implILS5_5ELb0ES3_mN6thrust23THRUST_200600_302600_NS6detail15normal_iteratorINSA_10device_ptrItEEEEPS6_NSA_18transform_iteratorINSB_9not_fun_tI7is_trueItEEENSC_INSD_IbEEEENSA_11use_defaultESO_EENS0_5tupleIJSF_S6_EEENSQ_IJSG_SG_EEES6_PlJS6_EEE10hipError_tPvRmT3_T4_T5_T6_T7_T9_mT8_P12ihipStream_tbDpT10_ENKUlT_T0_E_clISt17integral_constantIbLb0EES1D_EEDaS18_S19_EUlS18_E_NS1_11comp_targetILNS1_3genE0ELNS1_11target_archE4294967295ELNS1_3gpuE0ELNS1_3repE0EEENS1_30default_config_static_selectorELNS0_4arch9wavefront6targetE0EEEvT1_, .Lfunc_end2461-_ZN7rocprim17ROCPRIM_400000_NS6detail17trampoline_kernelINS0_14default_configENS1_25partition_config_selectorILNS1_17partition_subalgoE5EtNS0_10empty_typeEbEEZZNS1_14partition_implILS5_5ELb0ES3_mN6thrust23THRUST_200600_302600_NS6detail15normal_iteratorINSA_10device_ptrItEEEEPS6_NSA_18transform_iteratorINSB_9not_fun_tI7is_trueItEEENSC_INSD_IbEEEENSA_11use_defaultESO_EENS0_5tupleIJSF_S6_EEENSQ_IJSG_SG_EEES6_PlJS6_EEE10hipError_tPvRmT3_T4_T5_T6_T7_T9_mT8_P12ihipStream_tbDpT10_ENKUlT_T0_E_clISt17integral_constantIbLb0EES1D_EEDaS18_S19_EUlS18_E_NS1_11comp_targetILNS1_3genE0ELNS1_11target_archE4294967295ELNS1_3gpuE0ELNS1_3repE0EEENS1_30default_config_static_selectorELNS0_4arch9wavefront6targetE0EEEvT1_
                                        ; -- End function
	.set _ZN7rocprim17ROCPRIM_400000_NS6detail17trampoline_kernelINS0_14default_configENS1_25partition_config_selectorILNS1_17partition_subalgoE5EtNS0_10empty_typeEbEEZZNS1_14partition_implILS5_5ELb0ES3_mN6thrust23THRUST_200600_302600_NS6detail15normal_iteratorINSA_10device_ptrItEEEEPS6_NSA_18transform_iteratorINSB_9not_fun_tI7is_trueItEEENSC_INSD_IbEEEENSA_11use_defaultESO_EENS0_5tupleIJSF_S6_EEENSQ_IJSG_SG_EEES6_PlJS6_EEE10hipError_tPvRmT3_T4_T5_T6_T7_T9_mT8_P12ihipStream_tbDpT10_ENKUlT_T0_E_clISt17integral_constantIbLb0EES1D_EEDaS18_S19_EUlS18_E_NS1_11comp_targetILNS1_3genE0ELNS1_11target_archE4294967295ELNS1_3gpuE0ELNS1_3repE0EEENS1_30default_config_static_selectorELNS0_4arch9wavefront6targetE0EEEvT1_.num_vgpr, 0
	.set _ZN7rocprim17ROCPRIM_400000_NS6detail17trampoline_kernelINS0_14default_configENS1_25partition_config_selectorILNS1_17partition_subalgoE5EtNS0_10empty_typeEbEEZZNS1_14partition_implILS5_5ELb0ES3_mN6thrust23THRUST_200600_302600_NS6detail15normal_iteratorINSA_10device_ptrItEEEEPS6_NSA_18transform_iteratorINSB_9not_fun_tI7is_trueItEEENSC_INSD_IbEEEENSA_11use_defaultESO_EENS0_5tupleIJSF_S6_EEENSQ_IJSG_SG_EEES6_PlJS6_EEE10hipError_tPvRmT3_T4_T5_T6_T7_T9_mT8_P12ihipStream_tbDpT10_ENKUlT_T0_E_clISt17integral_constantIbLb0EES1D_EEDaS18_S19_EUlS18_E_NS1_11comp_targetILNS1_3genE0ELNS1_11target_archE4294967295ELNS1_3gpuE0ELNS1_3repE0EEENS1_30default_config_static_selectorELNS0_4arch9wavefront6targetE0EEEvT1_.num_agpr, 0
	.set _ZN7rocprim17ROCPRIM_400000_NS6detail17trampoline_kernelINS0_14default_configENS1_25partition_config_selectorILNS1_17partition_subalgoE5EtNS0_10empty_typeEbEEZZNS1_14partition_implILS5_5ELb0ES3_mN6thrust23THRUST_200600_302600_NS6detail15normal_iteratorINSA_10device_ptrItEEEEPS6_NSA_18transform_iteratorINSB_9not_fun_tI7is_trueItEEENSC_INSD_IbEEEENSA_11use_defaultESO_EENS0_5tupleIJSF_S6_EEENSQ_IJSG_SG_EEES6_PlJS6_EEE10hipError_tPvRmT3_T4_T5_T6_T7_T9_mT8_P12ihipStream_tbDpT10_ENKUlT_T0_E_clISt17integral_constantIbLb0EES1D_EEDaS18_S19_EUlS18_E_NS1_11comp_targetILNS1_3genE0ELNS1_11target_archE4294967295ELNS1_3gpuE0ELNS1_3repE0EEENS1_30default_config_static_selectorELNS0_4arch9wavefront6targetE0EEEvT1_.numbered_sgpr, 0
	.set _ZN7rocprim17ROCPRIM_400000_NS6detail17trampoline_kernelINS0_14default_configENS1_25partition_config_selectorILNS1_17partition_subalgoE5EtNS0_10empty_typeEbEEZZNS1_14partition_implILS5_5ELb0ES3_mN6thrust23THRUST_200600_302600_NS6detail15normal_iteratorINSA_10device_ptrItEEEEPS6_NSA_18transform_iteratorINSB_9not_fun_tI7is_trueItEEENSC_INSD_IbEEEENSA_11use_defaultESO_EENS0_5tupleIJSF_S6_EEENSQ_IJSG_SG_EEES6_PlJS6_EEE10hipError_tPvRmT3_T4_T5_T6_T7_T9_mT8_P12ihipStream_tbDpT10_ENKUlT_T0_E_clISt17integral_constantIbLb0EES1D_EEDaS18_S19_EUlS18_E_NS1_11comp_targetILNS1_3genE0ELNS1_11target_archE4294967295ELNS1_3gpuE0ELNS1_3repE0EEENS1_30default_config_static_selectorELNS0_4arch9wavefront6targetE0EEEvT1_.num_named_barrier, 0
	.set _ZN7rocprim17ROCPRIM_400000_NS6detail17trampoline_kernelINS0_14default_configENS1_25partition_config_selectorILNS1_17partition_subalgoE5EtNS0_10empty_typeEbEEZZNS1_14partition_implILS5_5ELb0ES3_mN6thrust23THRUST_200600_302600_NS6detail15normal_iteratorINSA_10device_ptrItEEEEPS6_NSA_18transform_iteratorINSB_9not_fun_tI7is_trueItEEENSC_INSD_IbEEEENSA_11use_defaultESO_EENS0_5tupleIJSF_S6_EEENSQ_IJSG_SG_EEES6_PlJS6_EEE10hipError_tPvRmT3_T4_T5_T6_T7_T9_mT8_P12ihipStream_tbDpT10_ENKUlT_T0_E_clISt17integral_constantIbLb0EES1D_EEDaS18_S19_EUlS18_E_NS1_11comp_targetILNS1_3genE0ELNS1_11target_archE4294967295ELNS1_3gpuE0ELNS1_3repE0EEENS1_30default_config_static_selectorELNS0_4arch9wavefront6targetE0EEEvT1_.private_seg_size, 0
	.set _ZN7rocprim17ROCPRIM_400000_NS6detail17trampoline_kernelINS0_14default_configENS1_25partition_config_selectorILNS1_17partition_subalgoE5EtNS0_10empty_typeEbEEZZNS1_14partition_implILS5_5ELb0ES3_mN6thrust23THRUST_200600_302600_NS6detail15normal_iteratorINSA_10device_ptrItEEEEPS6_NSA_18transform_iteratorINSB_9not_fun_tI7is_trueItEEENSC_INSD_IbEEEENSA_11use_defaultESO_EENS0_5tupleIJSF_S6_EEENSQ_IJSG_SG_EEES6_PlJS6_EEE10hipError_tPvRmT3_T4_T5_T6_T7_T9_mT8_P12ihipStream_tbDpT10_ENKUlT_T0_E_clISt17integral_constantIbLb0EES1D_EEDaS18_S19_EUlS18_E_NS1_11comp_targetILNS1_3genE0ELNS1_11target_archE4294967295ELNS1_3gpuE0ELNS1_3repE0EEENS1_30default_config_static_selectorELNS0_4arch9wavefront6targetE0EEEvT1_.uses_vcc, 0
	.set _ZN7rocprim17ROCPRIM_400000_NS6detail17trampoline_kernelINS0_14default_configENS1_25partition_config_selectorILNS1_17partition_subalgoE5EtNS0_10empty_typeEbEEZZNS1_14partition_implILS5_5ELb0ES3_mN6thrust23THRUST_200600_302600_NS6detail15normal_iteratorINSA_10device_ptrItEEEEPS6_NSA_18transform_iteratorINSB_9not_fun_tI7is_trueItEEENSC_INSD_IbEEEENSA_11use_defaultESO_EENS0_5tupleIJSF_S6_EEENSQ_IJSG_SG_EEES6_PlJS6_EEE10hipError_tPvRmT3_T4_T5_T6_T7_T9_mT8_P12ihipStream_tbDpT10_ENKUlT_T0_E_clISt17integral_constantIbLb0EES1D_EEDaS18_S19_EUlS18_E_NS1_11comp_targetILNS1_3genE0ELNS1_11target_archE4294967295ELNS1_3gpuE0ELNS1_3repE0EEENS1_30default_config_static_selectorELNS0_4arch9wavefront6targetE0EEEvT1_.uses_flat_scratch, 0
	.set _ZN7rocprim17ROCPRIM_400000_NS6detail17trampoline_kernelINS0_14default_configENS1_25partition_config_selectorILNS1_17partition_subalgoE5EtNS0_10empty_typeEbEEZZNS1_14partition_implILS5_5ELb0ES3_mN6thrust23THRUST_200600_302600_NS6detail15normal_iteratorINSA_10device_ptrItEEEEPS6_NSA_18transform_iteratorINSB_9not_fun_tI7is_trueItEEENSC_INSD_IbEEEENSA_11use_defaultESO_EENS0_5tupleIJSF_S6_EEENSQ_IJSG_SG_EEES6_PlJS6_EEE10hipError_tPvRmT3_T4_T5_T6_T7_T9_mT8_P12ihipStream_tbDpT10_ENKUlT_T0_E_clISt17integral_constantIbLb0EES1D_EEDaS18_S19_EUlS18_E_NS1_11comp_targetILNS1_3genE0ELNS1_11target_archE4294967295ELNS1_3gpuE0ELNS1_3repE0EEENS1_30default_config_static_selectorELNS0_4arch9wavefront6targetE0EEEvT1_.has_dyn_sized_stack, 0
	.set _ZN7rocprim17ROCPRIM_400000_NS6detail17trampoline_kernelINS0_14default_configENS1_25partition_config_selectorILNS1_17partition_subalgoE5EtNS0_10empty_typeEbEEZZNS1_14partition_implILS5_5ELb0ES3_mN6thrust23THRUST_200600_302600_NS6detail15normal_iteratorINSA_10device_ptrItEEEEPS6_NSA_18transform_iteratorINSB_9not_fun_tI7is_trueItEEENSC_INSD_IbEEEENSA_11use_defaultESO_EENS0_5tupleIJSF_S6_EEENSQ_IJSG_SG_EEES6_PlJS6_EEE10hipError_tPvRmT3_T4_T5_T6_T7_T9_mT8_P12ihipStream_tbDpT10_ENKUlT_T0_E_clISt17integral_constantIbLb0EES1D_EEDaS18_S19_EUlS18_E_NS1_11comp_targetILNS1_3genE0ELNS1_11target_archE4294967295ELNS1_3gpuE0ELNS1_3repE0EEENS1_30default_config_static_selectorELNS0_4arch9wavefront6targetE0EEEvT1_.has_recursion, 0
	.set _ZN7rocprim17ROCPRIM_400000_NS6detail17trampoline_kernelINS0_14default_configENS1_25partition_config_selectorILNS1_17partition_subalgoE5EtNS0_10empty_typeEbEEZZNS1_14partition_implILS5_5ELb0ES3_mN6thrust23THRUST_200600_302600_NS6detail15normal_iteratorINSA_10device_ptrItEEEEPS6_NSA_18transform_iteratorINSB_9not_fun_tI7is_trueItEEENSC_INSD_IbEEEENSA_11use_defaultESO_EENS0_5tupleIJSF_S6_EEENSQ_IJSG_SG_EEES6_PlJS6_EEE10hipError_tPvRmT3_T4_T5_T6_T7_T9_mT8_P12ihipStream_tbDpT10_ENKUlT_T0_E_clISt17integral_constantIbLb0EES1D_EEDaS18_S19_EUlS18_E_NS1_11comp_targetILNS1_3genE0ELNS1_11target_archE4294967295ELNS1_3gpuE0ELNS1_3repE0EEENS1_30default_config_static_selectorELNS0_4arch9wavefront6targetE0EEEvT1_.has_indirect_call, 0
	.section	.AMDGPU.csdata,"",@progbits
; Kernel info:
; codeLenInByte = 0
; TotalNumSgprs: 0
; NumVgprs: 0
; ScratchSize: 0
; MemoryBound: 0
; FloatMode: 240
; IeeeMode: 1
; LDSByteSize: 0 bytes/workgroup (compile time only)
; SGPRBlocks: 0
; VGPRBlocks: 0
; NumSGPRsForWavesPerEU: 1
; NumVGPRsForWavesPerEU: 1
; Occupancy: 16
; WaveLimiterHint : 0
; COMPUTE_PGM_RSRC2:SCRATCH_EN: 0
; COMPUTE_PGM_RSRC2:USER_SGPR: 2
; COMPUTE_PGM_RSRC2:TRAP_HANDLER: 0
; COMPUTE_PGM_RSRC2:TGID_X_EN: 1
; COMPUTE_PGM_RSRC2:TGID_Y_EN: 0
; COMPUTE_PGM_RSRC2:TGID_Z_EN: 0
; COMPUTE_PGM_RSRC2:TIDIG_COMP_CNT: 0
	.section	.text._ZN7rocprim17ROCPRIM_400000_NS6detail17trampoline_kernelINS0_14default_configENS1_25partition_config_selectorILNS1_17partition_subalgoE5EtNS0_10empty_typeEbEEZZNS1_14partition_implILS5_5ELb0ES3_mN6thrust23THRUST_200600_302600_NS6detail15normal_iteratorINSA_10device_ptrItEEEEPS6_NSA_18transform_iteratorINSB_9not_fun_tI7is_trueItEEENSC_INSD_IbEEEENSA_11use_defaultESO_EENS0_5tupleIJSF_S6_EEENSQ_IJSG_SG_EEES6_PlJS6_EEE10hipError_tPvRmT3_T4_T5_T6_T7_T9_mT8_P12ihipStream_tbDpT10_ENKUlT_T0_E_clISt17integral_constantIbLb0EES1D_EEDaS18_S19_EUlS18_E_NS1_11comp_targetILNS1_3genE5ELNS1_11target_archE942ELNS1_3gpuE9ELNS1_3repE0EEENS1_30default_config_static_selectorELNS0_4arch9wavefront6targetE0EEEvT1_,"axG",@progbits,_ZN7rocprim17ROCPRIM_400000_NS6detail17trampoline_kernelINS0_14default_configENS1_25partition_config_selectorILNS1_17partition_subalgoE5EtNS0_10empty_typeEbEEZZNS1_14partition_implILS5_5ELb0ES3_mN6thrust23THRUST_200600_302600_NS6detail15normal_iteratorINSA_10device_ptrItEEEEPS6_NSA_18transform_iteratorINSB_9not_fun_tI7is_trueItEEENSC_INSD_IbEEEENSA_11use_defaultESO_EENS0_5tupleIJSF_S6_EEENSQ_IJSG_SG_EEES6_PlJS6_EEE10hipError_tPvRmT3_T4_T5_T6_T7_T9_mT8_P12ihipStream_tbDpT10_ENKUlT_T0_E_clISt17integral_constantIbLb0EES1D_EEDaS18_S19_EUlS18_E_NS1_11comp_targetILNS1_3genE5ELNS1_11target_archE942ELNS1_3gpuE9ELNS1_3repE0EEENS1_30default_config_static_selectorELNS0_4arch9wavefront6targetE0EEEvT1_,comdat
	.protected	_ZN7rocprim17ROCPRIM_400000_NS6detail17trampoline_kernelINS0_14default_configENS1_25partition_config_selectorILNS1_17partition_subalgoE5EtNS0_10empty_typeEbEEZZNS1_14partition_implILS5_5ELb0ES3_mN6thrust23THRUST_200600_302600_NS6detail15normal_iteratorINSA_10device_ptrItEEEEPS6_NSA_18transform_iteratorINSB_9not_fun_tI7is_trueItEEENSC_INSD_IbEEEENSA_11use_defaultESO_EENS0_5tupleIJSF_S6_EEENSQ_IJSG_SG_EEES6_PlJS6_EEE10hipError_tPvRmT3_T4_T5_T6_T7_T9_mT8_P12ihipStream_tbDpT10_ENKUlT_T0_E_clISt17integral_constantIbLb0EES1D_EEDaS18_S19_EUlS18_E_NS1_11comp_targetILNS1_3genE5ELNS1_11target_archE942ELNS1_3gpuE9ELNS1_3repE0EEENS1_30default_config_static_selectorELNS0_4arch9wavefront6targetE0EEEvT1_ ; -- Begin function _ZN7rocprim17ROCPRIM_400000_NS6detail17trampoline_kernelINS0_14default_configENS1_25partition_config_selectorILNS1_17partition_subalgoE5EtNS0_10empty_typeEbEEZZNS1_14partition_implILS5_5ELb0ES3_mN6thrust23THRUST_200600_302600_NS6detail15normal_iteratorINSA_10device_ptrItEEEEPS6_NSA_18transform_iteratorINSB_9not_fun_tI7is_trueItEEENSC_INSD_IbEEEENSA_11use_defaultESO_EENS0_5tupleIJSF_S6_EEENSQ_IJSG_SG_EEES6_PlJS6_EEE10hipError_tPvRmT3_T4_T5_T6_T7_T9_mT8_P12ihipStream_tbDpT10_ENKUlT_T0_E_clISt17integral_constantIbLb0EES1D_EEDaS18_S19_EUlS18_E_NS1_11comp_targetILNS1_3genE5ELNS1_11target_archE942ELNS1_3gpuE9ELNS1_3repE0EEENS1_30default_config_static_selectorELNS0_4arch9wavefront6targetE0EEEvT1_
	.globl	_ZN7rocprim17ROCPRIM_400000_NS6detail17trampoline_kernelINS0_14default_configENS1_25partition_config_selectorILNS1_17partition_subalgoE5EtNS0_10empty_typeEbEEZZNS1_14partition_implILS5_5ELb0ES3_mN6thrust23THRUST_200600_302600_NS6detail15normal_iteratorINSA_10device_ptrItEEEEPS6_NSA_18transform_iteratorINSB_9not_fun_tI7is_trueItEEENSC_INSD_IbEEEENSA_11use_defaultESO_EENS0_5tupleIJSF_S6_EEENSQ_IJSG_SG_EEES6_PlJS6_EEE10hipError_tPvRmT3_T4_T5_T6_T7_T9_mT8_P12ihipStream_tbDpT10_ENKUlT_T0_E_clISt17integral_constantIbLb0EES1D_EEDaS18_S19_EUlS18_E_NS1_11comp_targetILNS1_3genE5ELNS1_11target_archE942ELNS1_3gpuE9ELNS1_3repE0EEENS1_30default_config_static_selectorELNS0_4arch9wavefront6targetE0EEEvT1_
	.p2align	8
	.type	_ZN7rocprim17ROCPRIM_400000_NS6detail17trampoline_kernelINS0_14default_configENS1_25partition_config_selectorILNS1_17partition_subalgoE5EtNS0_10empty_typeEbEEZZNS1_14partition_implILS5_5ELb0ES3_mN6thrust23THRUST_200600_302600_NS6detail15normal_iteratorINSA_10device_ptrItEEEEPS6_NSA_18transform_iteratorINSB_9not_fun_tI7is_trueItEEENSC_INSD_IbEEEENSA_11use_defaultESO_EENS0_5tupleIJSF_S6_EEENSQ_IJSG_SG_EEES6_PlJS6_EEE10hipError_tPvRmT3_T4_T5_T6_T7_T9_mT8_P12ihipStream_tbDpT10_ENKUlT_T0_E_clISt17integral_constantIbLb0EES1D_EEDaS18_S19_EUlS18_E_NS1_11comp_targetILNS1_3genE5ELNS1_11target_archE942ELNS1_3gpuE9ELNS1_3repE0EEENS1_30default_config_static_selectorELNS0_4arch9wavefront6targetE0EEEvT1_,@function
_ZN7rocprim17ROCPRIM_400000_NS6detail17trampoline_kernelINS0_14default_configENS1_25partition_config_selectorILNS1_17partition_subalgoE5EtNS0_10empty_typeEbEEZZNS1_14partition_implILS5_5ELb0ES3_mN6thrust23THRUST_200600_302600_NS6detail15normal_iteratorINSA_10device_ptrItEEEEPS6_NSA_18transform_iteratorINSB_9not_fun_tI7is_trueItEEENSC_INSD_IbEEEENSA_11use_defaultESO_EENS0_5tupleIJSF_S6_EEENSQ_IJSG_SG_EEES6_PlJS6_EEE10hipError_tPvRmT3_T4_T5_T6_T7_T9_mT8_P12ihipStream_tbDpT10_ENKUlT_T0_E_clISt17integral_constantIbLb0EES1D_EEDaS18_S19_EUlS18_E_NS1_11comp_targetILNS1_3genE5ELNS1_11target_archE942ELNS1_3gpuE9ELNS1_3repE0EEENS1_30default_config_static_selectorELNS0_4arch9wavefront6targetE0EEEvT1_: ; @_ZN7rocprim17ROCPRIM_400000_NS6detail17trampoline_kernelINS0_14default_configENS1_25partition_config_selectorILNS1_17partition_subalgoE5EtNS0_10empty_typeEbEEZZNS1_14partition_implILS5_5ELb0ES3_mN6thrust23THRUST_200600_302600_NS6detail15normal_iteratorINSA_10device_ptrItEEEEPS6_NSA_18transform_iteratorINSB_9not_fun_tI7is_trueItEEENSC_INSD_IbEEEENSA_11use_defaultESO_EENS0_5tupleIJSF_S6_EEENSQ_IJSG_SG_EEES6_PlJS6_EEE10hipError_tPvRmT3_T4_T5_T6_T7_T9_mT8_P12ihipStream_tbDpT10_ENKUlT_T0_E_clISt17integral_constantIbLb0EES1D_EEDaS18_S19_EUlS18_E_NS1_11comp_targetILNS1_3genE5ELNS1_11target_archE942ELNS1_3gpuE9ELNS1_3repE0EEENS1_30default_config_static_selectorELNS0_4arch9wavefront6targetE0EEEvT1_
; %bb.0:
	.section	.rodata,"a",@progbits
	.p2align	6, 0x0
	.amdhsa_kernel _ZN7rocprim17ROCPRIM_400000_NS6detail17trampoline_kernelINS0_14default_configENS1_25partition_config_selectorILNS1_17partition_subalgoE5EtNS0_10empty_typeEbEEZZNS1_14partition_implILS5_5ELb0ES3_mN6thrust23THRUST_200600_302600_NS6detail15normal_iteratorINSA_10device_ptrItEEEEPS6_NSA_18transform_iteratorINSB_9not_fun_tI7is_trueItEEENSC_INSD_IbEEEENSA_11use_defaultESO_EENS0_5tupleIJSF_S6_EEENSQ_IJSG_SG_EEES6_PlJS6_EEE10hipError_tPvRmT3_T4_T5_T6_T7_T9_mT8_P12ihipStream_tbDpT10_ENKUlT_T0_E_clISt17integral_constantIbLb0EES1D_EEDaS18_S19_EUlS18_E_NS1_11comp_targetILNS1_3genE5ELNS1_11target_archE942ELNS1_3gpuE9ELNS1_3repE0EEENS1_30default_config_static_selectorELNS0_4arch9wavefront6targetE0EEEvT1_
		.amdhsa_group_segment_fixed_size 0
		.amdhsa_private_segment_fixed_size 0
		.amdhsa_kernarg_size 120
		.amdhsa_user_sgpr_count 2
		.amdhsa_user_sgpr_dispatch_ptr 0
		.amdhsa_user_sgpr_queue_ptr 0
		.amdhsa_user_sgpr_kernarg_segment_ptr 1
		.amdhsa_user_sgpr_dispatch_id 0
		.amdhsa_user_sgpr_private_segment_size 0
		.amdhsa_wavefront_size32 1
		.amdhsa_uses_dynamic_stack 0
		.amdhsa_enable_private_segment 0
		.amdhsa_system_sgpr_workgroup_id_x 1
		.amdhsa_system_sgpr_workgroup_id_y 0
		.amdhsa_system_sgpr_workgroup_id_z 0
		.amdhsa_system_sgpr_workgroup_info 0
		.amdhsa_system_vgpr_workitem_id 0
		.amdhsa_next_free_vgpr 1
		.amdhsa_next_free_sgpr 1
		.amdhsa_reserve_vcc 0
		.amdhsa_float_round_mode_32 0
		.amdhsa_float_round_mode_16_64 0
		.amdhsa_float_denorm_mode_32 3
		.amdhsa_float_denorm_mode_16_64 3
		.amdhsa_fp16_overflow 0
		.amdhsa_workgroup_processor_mode 1
		.amdhsa_memory_ordered 1
		.amdhsa_forward_progress 1
		.amdhsa_inst_pref_size 0
		.amdhsa_round_robin_scheduling 0
		.amdhsa_exception_fp_ieee_invalid_op 0
		.amdhsa_exception_fp_denorm_src 0
		.amdhsa_exception_fp_ieee_div_zero 0
		.amdhsa_exception_fp_ieee_overflow 0
		.amdhsa_exception_fp_ieee_underflow 0
		.amdhsa_exception_fp_ieee_inexact 0
		.amdhsa_exception_int_div_zero 0
	.end_amdhsa_kernel
	.section	.text._ZN7rocprim17ROCPRIM_400000_NS6detail17trampoline_kernelINS0_14default_configENS1_25partition_config_selectorILNS1_17partition_subalgoE5EtNS0_10empty_typeEbEEZZNS1_14partition_implILS5_5ELb0ES3_mN6thrust23THRUST_200600_302600_NS6detail15normal_iteratorINSA_10device_ptrItEEEEPS6_NSA_18transform_iteratorINSB_9not_fun_tI7is_trueItEEENSC_INSD_IbEEEENSA_11use_defaultESO_EENS0_5tupleIJSF_S6_EEENSQ_IJSG_SG_EEES6_PlJS6_EEE10hipError_tPvRmT3_T4_T5_T6_T7_T9_mT8_P12ihipStream_tbDpT10_ENKUlT_T0_E_clISt17integral_constantIbLb0EES1D_EEDaS18_S19_EUlS18_E_NS1_11comp_targetILNS1_3genE5ELNS1_11target_archE942ELNS1_3gpuE9ELNS1_3repE0EEENS1_30default_config_static_selectorELNS0_4arch9wavefront6targetE0EEEvT1_,"axG",@progbits,_ZN7rocprim17ROCPRIM_400000_NS6detail17trampoline_kernelINS0_14default_configENS1_25partition_config_selectorILNS1_17partition_subalgoE5EtNS0_10empty_typeEbEEZZNS1_14partition_implILS5_5ELb0ES3_mN6thrust23THRUST_200600_302600_NS6detail15normal_iteratorINSA_10device_ptrItEEEEPS6_NSA_18transform_iteratorINSB_9not_fun_tI7is_trueItEEENSC_INSD_IbEEEENSA_11use_defaultESO_EENS0_5tupleIJSF_S6_EEENSQ_IJSG_SG_EEES6_PlJS6_EEE10hipError_tPvRmT3_T4_T5_T6_T7_T9_mT8_P12ihipStream_tbDpT10_ENKUlT_T0_E_clISt17integral_constantIbLb0EES1D_EEDaS18_S19_EUlS18_E_NS1_11comp_targetILNS1_3genE5ELNS1_11target_archE942ELNS1_3gpuE9ELNS1_3repE0EEENS1_30default_config_static_selectorELNS0_4arch9wavefront6targetE0EEEvT1_,comdat
.Lfunc_end2462:
	.size	_ZN7rocprim17ROCPRIM_400000_NS6detail17trampoline_kernelINS0_14default_configENS1_25partition_config_selectorILNS1_17partition_subalgoE5EtNS0_10empty_typeEbEEZZNS1_14partition_implILS5_5ELb0ES3_mN6thrust23THRUST_200600_302600_NS6detail15normal_iteratorINSA_10device_ptrItEEEEPS6_NSA_18transform_iteratorINSB_9not_fun_tI7is_trueItEEENSC_INSD_IbEEEENSA_11use_defaultESO_EENS0_5tupleIJSF_S6_EEENSQ_IJSG_SG_EEES6_PlJS6_EEE10hipError_tPvRmT3_T4_T5_T6_T7_T9_mT8_P12ihipStream_tbDpT10_ENKUlT_T0_E_clISt17integral_constantIbLb0EES1D_EEDaS18_S19_EUlS18_E_NS1_11comp_targetILNS1_3genE5ELNS1_11target_archE942ELNS1_3gpuE9ELNS1_3repE0EEENS1_30default_config_static_selectorELNS0_4arch9wavefront6targetE0EEEvT1_, .Lfunc_end2462-_ZN7rocprim17ROCPRIM_400000_NS6detail17trampoline_kernelINS0_14default_configENS1_25partition_config_selectorILNS1_17partition_subalgoE5EtNS0_10empty_typeEbEEZZNS1_14partition_implILS5_5ELb0ES3_mN6thrust23THRUST_200600_302600_NS6detail15normal_iteratorINSA_10device_ptrItEEEEPS6_NSA_18transform_iteratorINSB_9not_fun_tI7is_trueItEEENSC_INSD_IbEEEENSA_11use_defaultESO_EENS0_5tupleIJSF_S6_EEENSQ_IJSG_SG_EEES6_PlJS6_EEE10hipError_tPvRmT3_T4_T5_T6_T7_T9_mT8_P12ihipStream_tbDpT10_ENKUlT_T0_E_clISt17integral_constantIbLb0EES1D_EEDaS18_S19_EUlS18_E_NS1_11comp_targetILNS1_3genE5ELNS1_11target_archE942ELNS1_3gpuE9ELNS1_3repE0EEENS1_30default_config_static_selectorELNS0_4arch9wavefront6targetE0EEEvT1_
                                        ; -- End function
	.set _ZN7rocprim17ROCPRIM_400000_NS6detail17trampoline_kernelINS0_14default_configENS1_25partition_config_selectorILNS1_17partition_subalgoE5EtNS0_10empty_typeEbEEZZNS1_14partition_implILS5_5ELb0ES3_mN6thrust23THRUST_200600_302600_NS6detail15normal_iteratorINSA_10device_ptrItEEEEPS6_NSA_18transform_iteratorINSB_9not_fun_tI7is_trueItEEENSC_INSD_IbEEEENSA_11use_defaultESO_EENS0_5tupleIJSF_S6_EEENSQ_IJSG_SG_EEES6_PlJS6_EEE10hipError_tPvRmT3_T4_T5_T6_T7_T9_mT8_P12ihipStream_tbDpT10_ENKUlT_T0_E_clISt17integral_constantIbLb0EES1D_EEDaS18_S19_EUlS18_E_NS1_11comp_targetILNS1_3genE5ELNS1_11target_archE942ELNS1_3gpuE9ELNS1_3repE0EEENS1_30default_config_static_selectorELNS0_4arch9wavefront6targetE0EEEvT1_.num_vgpr, 0
	.set _ZN7rocprim17ROCPRIM_400000_NS6detail17trampoline_kernelINS0_14default_configENS1_25partition_config_selectorILNS1_17partition_subalgoE5EtNS0_10empty_typeEbEEZZNS1_14partition_implILS5_5ELb0ES3_mN6thrust23THRUST_200600_302600_NS6detail15normal_iteratorINSA_10device_ptrItEEEEPS6_NSA_18transform_iteratorINSB_9not_fun_tI7is_trueItEEENSC_INSD_IbEEEENSA_11use_defaultESO_EENS0_5tupleIJSF_S6_EEENSQ_IJSG_SG_EEES6_PlJS6_EEE10hipError_tPvRmT3_T4_T5_T6_T7_T9_mT8_P12ihipStream_tbDpT10_ENKUlT_T0_E_clISt17integral_constantIbLb0EES1D_EEDaS18_S19_EUlS18_E_NS1_11comp_targetILNS1_3genE5ELNS1_11target_archE942ELNS1_3gpuE9ELNS1_3repE0EEENS1_30default_config_static_selectorELNS0_4arch9wavefront6targetE0EEEvT1_.num_agpr, 0
	.set _ZN7rocprim17ROCPRIM_400000_NS6detail17trampoline_kernelINS0_14default_configENS1_25partition_config_selectorILNS1_17partition_subalgoE5EtNS0_10empty_typeEbEEZZNS1_14partition_implILS5_5ELb0ES3_mN6thrust23THRUST_200600_302600_NS6detail15normal_iteratorINSA_10device_ptrItEEEEPS6_NSA_18transform_iteratorINSB_9not_fun_tI7is_trueItEEENSC_INSD_IbEEEENSA_11use_defaultESO_EENS0_5tupleIJSF_S6_EEENSQ_IJSG_SG_EEES6_PlJS6_EEE10hipError_tPvRmT3_T4_T5_T6_T7_T9_mT8_P12ihipStream_tbDpT10_ENKUlT_T0_E_clISt17integral_constantIbLb0EES1D_EEDaS18_S19_EUlS18_E_NS1_11comp_targetILNS1_3genE5ELNS1_11target_archE942ELNS1_3gpuE9ELNS1_3repE0EEENS1_30default_config_static_selectorELNS0_4arch9wavefront6targetE0EEEvT1_.numbered_sgpr, 0
	.set _ZN7rocprim17ROCPRIM_400000_NS6detail17trampoline_kernelINS0_14default_configENS1_25partition_config_selectorILNS1_17partition_subalgoE5EtNS0_10empty_typeEbEEZZNS1_14partition_implILS5_5ELb0ES3_mN6thrust23THRUST_200600_302600_NS6detail15normal_iteratorINSA_10device_ptrItEEEEPS6_NSA_18transform_iteratorINSB_9not_fun_tI7is_trueItEEENSC_INSD_IbEEEENSA_11use_defaultESO_EENS0_5tupleIJSF_S6_EEENSQ_IJSG_SG_EEES6_PlJS6_EEE10hipError_tPvRmT3_T4_T5_T6_T7_T9_mT8_P12ihipStream_tbDpT10_ENKUlT_T0_E_clISt17integral_constantIbLb0EES1D_EEDaS18_S19_EUlS18_E_NS1_11comp_targetILNS1_3genE5ELNS1_11target_archE942ELNS1_3gpuE9ELNS1_3repE0EEENS1_30default_config_static_selectorELNS0_4arch9wavefront6targetE0EEEvT1_.num_named_barrier, 0
	.set _ZN7rocprim17ROCPRIM_400000_NS6detail17trampoline_kernelINS0_14default_configENS1_25partition_config_selectorILNS1_17partition_subalgoE5EtNS0_10empty_typeEbEEZZNS1_14partition_implILS5_5ELb0ES3_mN6thrust23THRUST_200600_302600_NS6detail15normal_iteratorINSA_10device_ptrItEEEEPS6_NSA_18transform_iteratorINSB_9not_fun_tI7is_trueItEEENSC_INSD_IbEEEENSA_11use_defaultESO_EENS0_5tupleIJSF_S6_EEENSQ_IJSG_SG_EEES6_PlJS6_EEE10hipError_tPvRmT3_T4_T5_T6_T7_T9_mT8_P12ihipStream_tbDpT10_ENKUlT_T0_E_clISt17integral_constantIbLb0EES1D_EEDaS18_S19_EUlS18_E_NS1_11comp_targetILNS1_3genE5ELNS1_11target_archE942ELNS1_3gpuE9ELNS1_3repE0EEENS1_30default_config_static_selectorELNS0_4arch9wavefront6targetE0EEEvT1_.private_seg_size, 0
	.set _ZN7rocprim17ROCPRIM_400000_NS6detail17trampoline_kernelINS0_14default_configENS1_25partition_config_selectorILNS1_17partition_subalgoE5EtNS0_10empty_typeEbEEZZNS1_14partition_implILS5_5ELb0ES3_mN6thrust23THRUST_200600_302600_NS6detail15normal_iteratorINSA_10device_ptrItEEEEPS6_NSA_18transform_iteratorINSB_9not_fun_tI7is_trueItEEENSC_INSD_IbEEEENSA_11use_defaultESO_EENS0_5tupleIJSF_S6_EEENSQ_IJSG_SG_EEES6_PlJS6_EEE10hipError_tPvRmT3_T4_T5_T6_T7_T9_mT8_P12ihipStream_tbDpT10_ENKUlT_T0_E_clISt17integral_constantIbLb0EES1D_EEDaS18_S19_EUlS18_E_NS1_11comp_targetILNS1_3genE5ELNS1_11target_archE942ELNS1_3gpuE9ELNS1_3repE0EEENS1_30default_config_static_selectorELNS0_4arch9wavefront6targetE0EEEvT1_.uses_vcc, 0
	.set _ZN7rocprim17ROCPRIM_400000_NS6detail17trampoline_kernelINS0_14default_configENS1_25partition_config_selectorILNS1_17partition_subalgoE5EtNS0_10empty_typeEbEEZZNS1_14partition_implILS5_5ELb0ES3_mN6thrust23THRUST_200600_302600_NS6detail15normal_iteratorINSA_10device_ptrItEEEEPS6_NSA_18transform_iteratorINSB_9not_fun_tI7is_trueItEEENSC_INSD_IbEEEENSA_11use_defaultESO_EENS0_5tupleIJSF_S6_EEENSQ_IJSG_SG_EEES6_PlJS6_EEE10hipError_tPvRmT3_T4_T5_T6_T7_T9_mT8_P12ihipStream_tbDpT10_ENKUlT_T0_E_clISt17integral_constantIbLb0EES1D_EEDaS18_S19_EUlS18_E_NS1_11comp_targetILNS1_3genE5ELNS1_11target_archE942ELNS1_3gpuE9ELNS1_3repE0EEENS1_30default_config_static_selectorELNS0_4arch9wavefront6targetE0EEEvT1_.uses_flat_scratch, 0
	.set _ZN7rocprim17ROCPRIM_400000_NS6detail17trampoline_kernelINS0_14default_configENS1_25partition_config_selectorILNS1_17partition_subalgoE5EtNS0_10empty_typeEbEEZZNS1_14partition_implILS5_5ELb0ES3_mN6thrust23THRUST_200600_302600_NS6detail15normal_iteratorINSA_10device_ptrItEEEEPS6_NSA_18transform_iteratorINSB_9not_fun_tI7is_trueItEEENSC_INSD_IbEEEENSA_11use_defaultESO_EENS0_5tupleIJSF_S6_EEENSQ_IJSG_SG_EEES6_PlJS6_EEE10hipError_tPvRmT3_T4_T5_T6_T7_T9_mT8_P12ihipStream_tbDpT10_ENKUlT_T0_E_clISt17integral_constantIbLb0EES1D_EEDaS18_S19_EUlS18_E_NS1_11comp_targetILNS1_3genE5ELNS1_11target_archE942ELNS1_3gpuE9ELNS1_3repE0EEENS1_30default_config_static_selectorELNS0_4arch9wavefront6targetE0EEEvT1_.has_dyn_sized_stack, 0
	.set _ZN7rocprim17ROCPRIM_400000_NS6detail17trampoline_kernelINS0_14default_configENS1_25partition_config_selectorILNS1_17partition_subalgoE5EtNS0_10empty_typeEbEEZZNS1_14partition_implILS5_5ELb0ES3_mN6thrust23THRUST_200600_302600_NS6detail15normal_iteratorINSA_10device_ptrItEEEEPS6_NSA_18transform_iteratorINSB_9not_fun_tI7is_trueItEEENSC_INSD_IbEEEENSA_11use_defaultESO_EENS0_5tupleIJSF_S6_EEENSQ_IJSG_SG_EEES6_PlJS6_EEE10hipError_tPvRmT3_T4_T5_T6_T7_T9_mT8_P12ihipStream_tbDpT10_ENKUlT_T0_E_clISt17integral_constantIbLb0EES1D_EEDaS18_S19_EUlS18_E_NS1_11comp_targetILNS1_3genE5ELNS1_11target_archE942ELNS1_3gpuE9ELNS1_3repE0EEENS1_30default_config_static_selectorELNS0_4arch9wavefront6targetE0EEEvT1_.has_recursion, 0
	.set _ZN7rocprim17ROCPRIM_400000_NS6detail17trampoline_kernelINS0_14default_configENS1_25partition_config_selectorILNS1_17partition_subalgoE5EtNS0_10empty_typeEbEEZZNS1_14partition_implILS5_5ELb0ES3_mN6thrust23THRUST_200600_302600_NS6detail15normal_iteratorINSA_10device_ptrItEEEEPS6_NSA_18transform_iteratorINSB_9not_fun_tI7is_trueItEEENSC_INSD_IbEEEENSA_11use_defaultESO_EENS0_5tupleIJSF_S6_EEENSQ_IJSG_SG_EEES6_PlJS6_EEE10hipError_tPvRmT3_T4_T5_T6_T7_T9_mT8_P12ihipStream_tbDpT10_ENKUlT_T0_E_clISt17integral_constantIbLb0EES1D_EEDaS18_S19_EUlS18_E_NS1_11comp_targetILNS1_3genE5ELNS1_11target_archE942ELNS1_3gpuE9ELNS1_3repE0EEENS1_30default_config_static_selectorELNS0_4arch9wavefront6targetE0EEEvT1_.has_indirect_call, 0
	.section	.AMDGPU.csdata,"",@progbits
; Kernel info:
; codeLenInByte = 0
; TotalNumSgprs: 0
; NumVgprs: 0
; ScratchSize: 0
; MemoryBound: 0
; FloatMode: 240
; IeeeMode: 1
; LDSByteSize: 0 bytes/workgroup (compile time only)
; SGPRBlocks: 0
; VGPRBlocks: 0
; NumSGPRsForWavesPerEU: 1
; NumVGPRsForWavesPerEU: 1
; Occupancy: 16
; WaveLimiterHint : 0
; COMPUTE_PGM_RSRC2:SCRATCH_EN: 0
; COMPUTE_PGM_RSRC2:USER_SGPR: 2
; COMPUTE_PGM_RSRC2:TRAP_HANDLER: 0
; COMPUTE_PGM_RSRC2:TGID_X_EN: 1
; COMPUTE_PGM_RSRC2:TGID_Y_EN: 0
; COMPUTE_PGM_RSRC2:TGID_Z_EN: 0
; COMPUTE_PGM_RSRC2:TIDIG_COMP_CNT: 0
	.section	.text._ZN7rocprim17ROCPRIM_400000_NS6detail17trampoline_kernelINS0_14default_configENS1_25partition_config_selectorILNS1_17partition_subalgoE5EtNS0_10empty_typeEbEEZZNS1_14partition_implILS5_5ELb0ES3_mN6thrust23THRUST_200600_302600_NS6detail15normal_iteratorINSA_10device_ptrItEEEEPS6_NSA_18transform_iteratorINSB_9not_fun_tI7is_trueItEEENSC_INSD_IbEEEENSA_11use_defaultESO_EENS0_5tupleIJSF_S6_EEENSQ_IJSG_SG_EEES6_PlJS6_EEE10hipError_tPvRmT3_T4_T5_T6_T7_T9_mT8_P12ihipStream_tbDpT10_ENKUlT_T0_E_clISt17integral_constantIbLb0EES1D_EEDaS18_S19_EUlS18_E_NS1_11comp_targetILNS1_3genE4ELNS1_11target_archE910ELNS1_3gpuE8ELNS1_3repE0EEENS1_30default_config_static_selectorELNS0_4arch9wavefront6targetE0EEEvT1_,"axG",@progbits,_ZN7rocprim17ROCPRIM_400000_NS6detail17trampoline_kernelINS0_14default_configENS1_25partition_config_selectorILNS1_17partition_subalgoE5EtNS0_10empty_typeEbEEZZNS1_14partition_implILS5_5ELb0ES3_mN6thrust23THRUST_200600_302600_NS6detail15normal_iteratorINSA_10device_ptrItEEEEPS6_NSA_18transform_iteratorINSB_9not_fun_tI7is_trueItEEENSC_INSD_IbEEEENSA_11use_defaultESO_EENS0_5tupleIJSF_S6_EEENSQ_IJSG_SG_EEES6_PlJS6_EEE10hipError_tPvRmT3_T4_T5_T6_T7_T9_mT8_P12ihipStream_tbDpT10_ENKUlT_T0_E_clISt17integral_constantIbLb0EES1D_EEDaS18_S19_EUlS18_E_NS1_11comp_targetILNS1_3genE4ELNS1_11target_archE910ELNS1_3gpuE8ELNS1_3repE0EEENS1_30default_config_static_selectorELNS0_4arch9wavefront6targetE0EEEvT1_,comdat
	.protected	_ZN7rocprim17ROCPRIM_400000_NS6detail17trampoline_kernelINS0_14default_configENS1_25partition_config_selectorILNS1_17partition_subalgoE5EtNS0_10empty_typeEbEEZZNS1_14partition_implILS5_5ELb0ES3_mN6thrust23THRUST_200600_302600_NS6detail15normal_iteratorINSA_10device_ptrItEEEEPS6_NSA_18transform_iteratorINSB_9not_fun_tI7is_trueItEEENSC_INSD_IbEEEENSA_11use_defaultESO_EENS0_5tupleIJSF_S6_EEENSQ_IJSG_SG_EEES6_PlJS6_EEE10hipError_tPvRmT3_T4_T5_T6_T7_T9_mT8_P12ihipStream_tbDpT10_ENKUlT_T0_E_clISt17integral_constantIbLb0EES1D_EEDaS18_S19_EUlS18_E_NS1_11comp_targetILNS1_3genE4ELNS1_11target_archE910ELNS1_3gpuE8ELNS1_3repE0EEENS1_30default_config_static_selectorELNS0_4arch9wavefront6targetE0EEEvT1_ ; -- Begin function _ZN7rocprim17ROCPRIM_400000_NS6detail17trampoline_kernelINS0_14default_configENS1_25partition_config_selectorILNS1_17partition_subalgoE5EtNS0_10empty_typeEbEEZZNS1_14partition_implILS5_5ELb0ES3_mN6thrust23THRUST_200600_302600_NS6detail15normal_iteratorINSA_10device_ptrItEEEEPS6_NSA_18transform_iteratorINSB_9not_fun_tI7is_trueItEEENSC_INSD_IbEEEENSA_11use_defaultESO_EENS0_5tupleIJSF_S6_EEENSQ_IJSG_SG_EEES6_PlJS6_EEE10hipError_tPvRmT3_T4_T5_T6_T7_T9_mT8_P12ihipStream_tbDpT10_ENKUlT_T0_E_clISt17integral_constantIbLb0EES1D_EEDaS18_S19_EUlS18_E_NS1_11comp_targetILNS1_3genE4ELNS1_11target_archE910ELNS1_3gpuE8ELNS1_3repE0EEENS1_30default_config_static_selectorELNS0_4arch9wavefront6targetE0EEEvT1_
	.globl	_ZN7rocprim17ROCPRIM_400000_NS6detail17trampoline_kernelINS0_14default_configENS1_25partition_config_selectorILNS1_17partition_subalgoE5EtNS0_10empty_typeEbEEZZNS1_14partition_implILS5_5ELb0ES3_mN6thrust23THRUST_200600_302600_NS6detail15normal_iteratorINSA_10device_ptrItEEEEPS6_NSA_18transform_iteratorINSB_9not_fun_tI7is_trueItEEENSC_INSD_IbEEEENSA_11use_defaultESO_EENS0_5tupleIJSF_S6_EEENSQ_IJSG_SG_EEES6_PlJS6_EEE10hipError_tPvRmT3_T4_T5_T6_T7_T9_mT8_P12ihipStream_tbDpT10_ENKUlT_T0_E_clISt17integral_constantIbLb0EES1D_EEDaS18_S19_EUlS18_E_NS1_11comp_targetILNS1_3genE4ELNS1_11target_archE910ELNS1_3gpuE8ELNS1_3repE0EEENS1_30default_config_static_selectorELNS0_4arch9wavefront6targetE0EEEvT1_
	.p2align	8
	.type	_ZN7rocprim17ROCPRIM_400000_NS6detail17trampoline_kernelINS0_14default_configENS1_25partition_config_selectorILNS1_17partition_subalgoE5EtNS0_10empty_typeEbEEZZNS1_14partition_implILS5_5ELb0ES3_mN6thrust23THRUST_200600_302600_NS6detail15normal_iteratorINSA_10device_ptrItEEEEPS6_NSA_18transform_iteratorINSB_9not_fun_tI7is_trueItEEENSC_INSD_IbEEEENSA_11use_defaultESO_EENS0_5tupleIJSF_S6_EEENSQ_IJSG_SG_EEES6_PlJS6_EEE10hipError_tPvRmT3_T4_T5_T6_T7_T9_mT8_P12ihipStream_tbDpT10_ENKUlT_T0_E_clISt17integral_constantIbLb0EES1D_EEDaS18_S19_EUlS18_E_NS1_11comp_targetILNS1_3genE4ELNS1_11target_archE910ELNS1_3gpuE8ELNS1_3repE0EEENS1_30default_config_static_selectorELNS0_4arch9wavefront6targetE0EEEvT1_,@function
_ZN7rocprim17ROCPRIM_400000_NS6detail17trampoline_kernelINS0_14default_configENS1_25partition_config_selectorILNS1_17partition_subalgoE5EtNS0_10empty_typeEbEEZZNS1_14partition_implILS5_5ELb0ES3_mN6thrust23THRUST_200600_302600_NS6detail15normal_iteratorINSA_10device_ptrItEEEEPS6_NSA_18transform_iteratorINSB_9not_fun_tI7is_trueItEEENSC_INSD_IbEEEENSA_11use_defaultESO_EENS0_5tupleIJSF_S6_EEENSQ_IJSG_SG_EEES6_PlJS6_EEE10hipError_tPvRmT3_T4_T5_T6_T7_T9_mT8_P12ihipStream_tbDpT10_ENKUlT_T0_E_clISt17integral_constantIbLb0EES1D_EEDaS18_S19_EUlS18_E_NS1_11comp_targetILNS1_3genE4ELNS1_11target_archE910ELNS1_3gpuE8ELNS1_3repE0EEENS1_30default_config_static_selectorELNS0_4arch9wavefront6targetE0EEEvT1_: ; @_ZN7rocprim17ROCPRIM_400000_NS6detail17trampoline_kernelINS0_14default_configENS1_25partition_config_selectorILNS1_17partition_subalgoE5EtNS0_10empty_typeEbEEZZNS1_14partition_implILS5_5ELb0ES3_mN6thrust23THRUST_200600_302600_NS6detail15normal_iteratorINSA_10device_ptrItEEEEPS6_NSA_18transform_iteratorINSB_9not_fun_tI7is_trueItEEENSC_INSD_IbEEEENSA_11use_defaultESO_EENS0_5tupleIJSF_S6_EEENSQ_IJSG_SG_EEES6_PlJS6_EEE10hipError_tPvRmT3_T4_T5_T6_T7_T9_mT8_P12ihipStream_tbDpT10_ENKUlT_T0_E_clISt17integral_constantIbLb0EES1D_EEDaS18_S19_EUlS18_E_NS1_11comp_targetILNS1_3genE4ELNS1_11target_archE910ELNS1_3gpuE8ELNS1_3repE0EEENS1_30default_config_static_selectorELNS0_4arch9wavefront6targetE0EEEvT1_
; %bb.0:
	.section	.rodata,"a",@progbits
	.p2align	6, 0x0
	.amdhsa_kernel _ZN7rocprim17ROCPRIM_400000_NS6detail17trampoline_kernelINS0_14default_configENS1_25partition_config_selectorILNS1_17partition_subalgoE5EtNS0_10empty_typeEbEEZZNS1_14partition_implILS5_5ELb0ES3_mN6thrust23THRUST_200600_302600_NS6detail15normal_iteratorINSA_10device_ptrItEEEEPS6_NSA_18transform_iteratorINSB_9not_fun_tI7is_trueItEEENSC_INSD_IbEEEENSA_11use_defaultESO_EENS0_5tupleIJSF_S6_EEENSQ_IJSG_SG_EEES6_PlJS6_EEE10hipError_tPvRmT3_T4_T5_T6_T7_T9_mT8_P12ihipStream_tbDpT10_ENKUlT_T0_E_clISt17integral_constantIbLb0EES1D_EEDaS18_S19_EUlS18_E_NS1_11comp_targetILNS1_3genE4ELNS1_11target_archE910ELNS1_3gpuE8ELNS1_3repE0EEENS1_30default_config_static_selectorELNS0_4arch9wavefront6targetE0EEEvT1_
		.amdhsa_group_segment_fixed_size 0
		.amdhsa_private_segment_fixed_size 0
		.amdhsa_kernarg_size 120
		.amdhsa_user_sgpr_count 2
		.amdhsa_user_sgpr_dispatch_ptr 0
		.amdhsa_user_sgpr_queue_ptr 0
		.amdhsa_user_sgpr_kernarg_segment_ptr 1
		.amdhsa_user_sgpr_dispatch_id 0
		.amdhsa_user_sgpr_private_segment_size 0
		.amdhsa_wavefront_size32 1
		.amdhsa_uses_dynamic_stack 0
		.amdhsa_enable_private_segment 0
		.amdhsa_system_sgpr_workgroup_id_x 1
		.amdhsa_system_sgpr_workgroup_id_y 0
		.amdhsa_system_sgpr_workgroup_id_z 0
		.amdhsa_system_sgpr_workgroup_info 0
		.amdhsa_system_vgpr_workitem_id 0
		.amdhsa_next_free_vgpr 1
		.amdhsa_next_free_sgpr 1
		.amdhsa_reserve_vcc 0
		.amdhsa_float_round_mode_32 0
		.amdhsa_float_round_mode_16_64 0
		.amdhsa_float_denorm_mode_32 3
		.amdhsa_float_denorm_mode_16_64 3
		.amdhsa_fp16_overflow 0
		.amdhsa_workgroup_processor_mode 1
		.amdhsa_memory_ordered 1
		.amdhsa_forward_progress 1
		.amdhsa_inst_pref_size 0
		.amdhsa_round_robin_scheduling 0
		.amdhsa_exception_fp_ieee_invalid_op 0
		.amdhsa_exception_fp_denorm_src 0
		.amdhsa_exception_fp_ieee_div_zero 0
		.amdhsa_exception_fp_ieee_overflow 0
		.amdhsa_exception_fp_ieee_underflow 0
		.amdhsa_exception_fp_ieee_inexact 0
		.amdhsa_exception_int_div_zero 0
	.end_amdhsa_kernel
	.section	.text._ZN7rocprim17ROCPRIM_400000_NS6detail17trampoline_kernelINS0_14default_configENS1_25partition_config_selectorILNS1_17partition_subalgoE5EtNS0_10empty_typeEbEEZZNS1_14partition_implILS5_5ELb0ES3_mN6thrust23THRUST_200600_302600_NS6detail15normal_iteratorINSA_10device_ptrItEEEEPS6_NSA_18transform_iteratorINSB_9not_fun_tI7is_trueItEEENSC_INSD_IbEEEENSA_11use_defaultESO_EENS0_5tupleIJSF_S6_EEENSQ_IJSG_SG_EEES6_PlJS6_EEE10hipError_tPvRmT3_T4_T5_T6_T7_T9_mT8_P12ihipStream_tbDpT10_ENKUlT_T0_E_clISt17integral_constantIbLb0EES1D_EEDaS18_S19_EUlS18_E_NS1_11comp_targetILNS1_3genE4ELNS1_11target_archE910ELNS1_3gpuE8ELNS1_3repE0EEENS1_30default_config_static_selectorELNS0_4arch9wavefront6targetE0EEEvT1_,"axG",@progbits,_ZN7rocprim17ROCPRIM_400000_NS6detail17trampoline_kernelINS0_14default_configENS1_25partition_config_selectorILNS1_17partition_subalgoE5EtNS0_10empty_typeEbEEZZNS1_14partition_implILS5_5ELb0ES3_mN6thrust23THRUST_200600_302600_NS6detail15normal_iteratorINSA_10device_ptrItEEEEPS6_NSA_18transform_iteratorINSB_9not_fun_tI7is_trueItEEENSC_INSD_IbEEEENSA_11use_defaultESO_EENS0_5tupleIJSF_S6_EEENSQ_IJSG_SG_EEES6_PlJS6_EEE10hipError_tPvRmT3_T4_T5_T6_T7_T9_mT8_P12ihipStream_tbDpT10_ENKUlT_T0_E_clISt17integral_constantIbLb0EES1D_EEDaS18_S19_EUlS18_E_NS1_11comp_targetILNS1_3genE4ELNS1_11target_archE910ELNS1_3gpuE8ELNS1_3repE0EEENS1_30default_config_static_selectorELNS0_4arch9wavefront6targetE0EEEvT1_,comdat
.Lfunc_end2463:
	.size	_ZN7rocprim17ROCPRIM_400000_NS6detail17trampoline_kernelINS0_14default_configENS1_25partition_config_selectorILNS1_17partition_subalgoE5EtNS0_10empty_typeEbEEZZNS1_14partition_implILS5_5ELb0ES3_mN6thrust23THRUST_200600_302600_NS6detail15normal_iteratorINSA_10device_ptrItEEEEPS6_NSA_18transform_iteratorINSB_9not_fun_tI7is_trueItEEENSC_INSD_IbEEEENSA_11use_defaultESO_EENS0_5tupleIJSF_S6_EEENSQ_IJSG_SG_EEES6_PlJS6_EEE10hipError_tPvRmT3_T4_T5_T6_T7_T9_mT8_P12ihipStream_tbDpT10_ENKUlT_T0_E_clISt17integral_constantIbLb0EES1D_EEDaS18_S19_EUlS18_E_NS1_11comp_targetILNS1_3genE4ELNS1_11target_archE910ELNS1_3gpuE8ELNS1_3repE0EEENS1_30default_config_static_selectorELNS0_4arch9wavefront6targetE0EEEvT1_, .Lfunc_end2463-_ZN7rocprim17ROCPRIM_400000_NS6detail17trampoline_kernelINS0_14default_configENS1_25partition_config_selectorILNS1_17partition_subalgoE5EtNS0_10empty_typeEbEEZZNS1_14partition_implILS5_5ELb0ES3_mN6thrust23THRUST_200600_302600_NS6detail15normal_iteratorINSA_10device_ptrItEEEEPS6_NSA_18transform_iteratorINSB_9not_fun_tI7is_trueItEEENSC_INSD_IbEEEENSA_11use_defaultESO_EENS0_5tupleIJSF_S6_EEENSQ_IJSG_SG_EEES6_PlJS6_EEE10hipError_tPvRmT3_T4_T5_T6_T7_T9_mT8_P12ihipStream_tbDpT10_ENKUlT_T0_E_clISt17integral_constantIbLb0EES1D_EEDaS18_S19_EUlS18_E_NS1_11comp_targetILNS1_3genE4ELNS1_11target_archE910ELNS1_3gpuE8ELNS1_3repE0EEENS1_30default_config_static_selectorELNS0_4arch9wavefront6targetE0EEEvT1_
                                        ; -- End function
	.set _ZN7rocprim17ROCPRIM_400000_NS6detail17trampoline_kernelINS0_14default_configENS1_25partition_config_selectorILNS1_17partition_subalgoE5EtNS0_10empty_typeEbEEZZNS1_14partition_implILS5_5ELb0ES3_mN6thrust23THRUST_200600_302600_NS6detail15normal_iteratorINSA_10device_ptrItEEEEPS6_NSA_18transform_iteratorINSB_9not_fun_tI7is_trueItEEENSC_INSD_IbEEEENSA_11use_defaultESO_EENS0_5tupleIJSF_S6_EEENSQ_IJSG_SG_EEES6_PlJS6_EEE10hipError_tPvRmT3_T4_T5_T6_T7_T9_mT8_P12ihipStream_tbDpT10_ENKUlT_T0_E_clISt17integral_constantIbLb0EES1D_EEDaS18_S19_EUlS18_E_NS1_11comp_targetILNS1_3genE4ELNS1_11target_archE910ELNS1_3gpuE8ELNS1_3repE0EEENS1_30default_config_static_selectorELNS0_4arch9wavefront6targetE0EEEvT1_.num_vgpr, 0
	.set _ZN7rocprim17ROCPRIM_400000_NS6detail17trampoline_kernelINS0_14default_configENS1_25partition_config_selectorILNS1_17partition_subalgoE5EtNS0_10empty_typeEbEEZZNS1_14partition_implILS5_5ELb0ES3_mN6thrust23THRUST_200600_302600_NS6detail15normal_iteratorINSA_10device_ptrItEEEEPS6_NSA_18transform_iteratorINSB_9not_fun_tI7is_trueItEEENSC_INSD_IbEEEENSA_11use_defaultESO_EENS0_5tupleIJSF_S6_EEENSQ_IJSG_SG_EEES6_PlJS6_EEE10hipError_tPvRmT3_T4_T5_T6_T7_T9_mT8_P12ihipStream_tbDpT10_ENKUlT_T0_E_clISt17integral_constantIbLb0EES1D_EEDaS18_S19_EUlS18_E_NS1_11comp_targetILNS1_3genE4ELNS1_11target_archE910ELNS1_3gpuE8ELNS1_3repE0EEENS1_30default_config_static_selectorELNS0_4arch9wavefront6targetE0EEEvT1_.num_agpr, 0
	.set _ZN7rocprim17ROCPRIM_400000_NS6detail17trampoline_kernelINS0_14default_configENS1_25partition_config_selectorILNS1_17partition_subalgoE5EtNS0_10empty_typeEbEEZZNS1_14partition_implILS5_5ELb0ES3_mN6thrust23THRUST_200600_302600_NS6detail15normal_iteratorINSA_10device_ptrItEEEEPS6_NSA_18transform_iteratorINSB_9not_fun_tI7is_trueItEEENSC_INSD_IbEEEENSA_11use_defaultESO_EENS0_5tupleIJSF_S6_EEENSQ_IJSG_SG_EEES6_PlJS6_EEE10hipError_tPvRmT3_T4_T5_T6_T7_T9_mT8_P12ihipStream_tbDpT10_ENKUlT_T0_E_clISt17integral_constantIbLb0EES1D_EEDaS18_S19_EUlS18_E_NS1_11comp_targetILNS1_3genE4ELNS1_11target_archE910ELNS1_3gpuE8ELNS1_3repE0EEENS1_30default_config_static_selectorELNS0_4arch9wavefront6targetE0EEEvT1_.numbered_sgpr, 0
	.set _ZN7rocprim17ROCPRIM_400000_NS6detail17trampoline_kernelINS0_14default_configENS1_25partition_config_selectorILNS1_17partition_subalgoE5EtNS0_10empty_typeEbEEZZNS1_14partition_implILS5_5ELb0ES3_mN6thrust23THRUST_200600_302600_NS6detail15normal_iteratorINSA_10device_ptrItEEEEPS6_NSA_18transform_iteratorINSB_9not_fun_tI7is_trueItEEENSC_INSD_IbEEEENSA_11use_defaultESO_EENS0_5tupleIJSF_S6_EEENSQ_IJSG_SG_EEES6_PlJS6_EEE10hipError_tPvRmT3_T4_T5_T6_T7_T9_mT8_P12ihipStream_tbDpT10_ENKUlT_T0_E_clISt17integral_constantIbLb0EES1D_EEDaS18_S19_EUlS18_E_NS1_11comp_targetILNS1_3genE4ELNS1_11target_archE910ELNS1_3gpuE8ELNS1_3repE0EEENS1_30default_config_static_selectorELNS0_4arch9wavefront6targetE0EEEvT1_.num_named_barrier, 0
	.set _ZN7rocprim17ROCPRIM_400000_NS6detail17trampoline_kernelINS0_14default_configENS1_25partition_config_selectorILNS1_17partition_subalgoE5EtNS0_10empty_typeEbEEZZNS1_14partition_implILS5_5ELb0ES3_mN6thrust23THRUST_200600_302600_NS6detail15normal_iteratorINSA_10device_ptrItEEEEPS6_NSA_18transform_iteratorINSB_9not_fun_tI7is_trueItEEENSC_INSD_IbEEEENSA_11use_defaultESO_EENS0_5tupleIJSF_S6_EEENSQ_IJSG_SG_EEES6_PlJS6_EEE10hipError_tPvRmT3_T4_T5_T6_T7_T9_mT8_P12ihipStream_tbDpT10_ENKUlT_T0_E_clISt17integral_constantIbLb0EES1D_EEDaS18_S19_EUlS18_E_NS1_11comp_targetILNS1_3genE4ELNS1_11target_archE910ELNS1_3gpuE8ELNS1_3repE0EEENS1_30default_config_static_selectorELNS0_4arch9wavefront6targetE0EEEvT1_.private_seg_size, 0
	.set _ZN7rocprim17ROCPRIM_400000_NS6detail17trampoline_kernelINS0_14default_configENS1_25partition_config_selectorILNS1_17partition_subalgoE5EtNS0_10empty_typeEbEEZZNS1_14partition_implILS5_5ELb0ES3_mN6thrust23THRUST_200600_302600_NS6detail15normal_iteratorINSA_10device_ptrItEEEEPS6_NSA_18transform_iteratorINSB_9not_fun_tI7is_trueItEEENSC_INSD_IbEEEENSA_11use_defaultESO_EENS0_5tupleIJSF_S6_EEENSQ_IJSG_SG_EEES6_PlJS6_EEE10hipError_tPvRmT3_T4_T5_T6_T7_T9_mT8_P12ihipStream_tbDpT10_ENKUlT_T0_E_clISt17integral_constantIbLb0EES1D_EEDaS18_S19_EUlS18_E_NS1_11comp_targetILNS1_3genE4ELNS1_11target_archE910ELNS1_3gpuE8ELNS1_3repE0EEENS1_30default_config_static_selectorELNS0_4arch9wavefront6targetE0EEEvT1_.uses_vcc, 0
	.set _ZN7rocprim17ROCPRIM_400000_NS6detail17trampoline_kernelINS0_14default_configENS1_25partition_config_selectorILNS1_17partition_subalgoE5EtNS0_10empty_typeEbEEZZNS1_14partition_implILS5_5ELb0ES3_mN6thrust23THRUST_200600_302600_NS6detail15normal_iteratorINSA_10device_ptrItEEEEPS6_NSA_18transform_iteratorINSB_9not_fun_tI7is_trueItEEENSC_INSD_IbEEEENSA_11use_defaultESO_EENS0_5tupleIJSF_S6_EEENSQ_IJSG_SG_EEES6_PlJS6_EEE10hipError_tPvRmT3_T4_T5_T6_T7_T9_mT8_P12ihipStream_tbDpT10_ENKUlT_T0_E_clISt17integral_constantIbLb0EES1D_EEDaS18_S19_EUlS18_E_NS1_11comp_targetILNS1_3genE4ELNS1_11target_archE910ELNS1_3gpuE8ELNS1_3repE0EEENS1_30default_config_static_selectorELNS0_4arch9wavefront6targetE0EEEvT1_.uses_flat_scratch, 0
	.set _ZN7rocprim17ROCPRIM_400000_NS6detail17trampoline_kernelINS0_14default_configENS1_25partition_config_selectorILNS1_17partition_subalgoE5EtNS0_10empty_typeEbEEZZNS1_14partition_implILS5_5ELb0ES3_mN6thrust23THRUST_200600_302600_NS6detail15normal_iteratorINSA_10device_ptrItEEEEPS6_NSA_18transform_iteratorINSB_9not_fun_tI7is_trueItEEENSC_INSD_IbEEEENSA_11use_defaultESO_EENS0_5tupleIJSF_S6_EEENSQ_IJSG_SG_EEES6_PlJS6_EEE10hipError_tPvRmT3_T4_T5_T6_T7_T9_mT8_P12ihipStream_tbDpT10_ENKUlT_T0_E_clISt17integral_constantIbLb0EES1D_EEDaS18_S19_EUlS18_E_NS1_11comp_targetILNS1_3genE4ELNS1_11target_archE910ELNS1_3gpuE8ELNS1_3repE0EEENS1_30default_config_static_selectorELNS0_4arch9wavefront6targetE0EEEvT1_.has_dyn_sized_stack, 0
	.set _ZN7rocprim17ROCPRIM_400000_NS6detail17trampoline_kernelINS0_14default_configENS1_25partition_config_selectorILNS1_17partition_subalgoE5EtNS0_10empty_typeEbEEZZNS1_14partition_implILS5_5ELb0ES3_mN6thrust23THRUST_200600_302600_NS6detail15normal_iteratorINSA_10device_ptrItEEEEPS6_NSA_18transform_iteratorINSB_9not_fun_tI7is_trueItEEENSC_INSD_IbEEEENSA_11use_defaultESO_EENS0_5tupleIJSF_S6_EEENSQ_IJSG_SG_EEES6_PlJS6_EEE10hipError_tPvRmT3_T4_T5_T6_T7_T9_mT8_P12ihipStream_tbDpT10_ENKUlT_T0_E_clISt17integral_constantIbLb0EES1D_EEDaS18_S19_EUlS18_E_NS1_11comp_targetILNS1_3genE4ELNS1_11target_archE910ELNS1_3gpuE8ELNS1_3repE0EEENS1_30default_config_static_selectorELNS0_4arch9wavefront6targetE0EEEvT1_.has_recursion, 0
	.set _ZN7rocprim17ROCPRIM_400000_NS6detail17trampoline_kernelINS0_14default_configENS1_25partition_config_selectorILNS1_17partition_subalgoE5EtNS0_10empty_typeEbEEZZNS1_14partition_implILS5_5ELb0ES3_mN6thrust23THRUST_200600_302600_NS6detail15normal_iteratorINSA_10device_ptrItEEEEPS6_NSA_18transform_iteratorINSB_9not_fun_tI7is_trueItEEENSC_INSD_IbEEEENSA_11use_defaultESO_EENS0_5tupleIJSF_S6_EEENSQ_IJSG_SG_EEES6_PlJS6_EEE10hipError_tPvRmT3_T4_T5_T6_T7_T9_mT8_P12ihipStream_tbDpT10_ENKUlT_T0_E_clISt17integral_constantIbLb0EES1D_EEDaS18_S19_EUlS18_E_NS1_11comp_targetILNS1_3genE4ELNS1_11target_archE910ELNS1_3gpuE8ELNS1_3repE0EEENS1_30default_config_static_selectorELNS0_4arch9wavefront6targetE0EEEvT1_.has_indirect_call, 0
	.section	.AMDGPU.csdata,"",@progbits
; Kernel info:
; codeLenInByte = 0
; TotalNumSgprs: 0
; NumVgprs: 0
; ScratchSize: 0
; MemoryBound: 0
; FloatMode: 240
; IeeeMode: 1
; LDSByteSize: 0 bytes/workgroup (compile time only)
; SGPRBlocks: 0
; VGPRBlocks: 0
; NumSGPRsForWavesPerEU: 1
; NumVGPRsForWavesPerEU: 1
; Occupancy: 16
; WaveLimiterHint : 0
; COMPUTE_PGM_RSRC2:SCRATCH_EN: 0
; COMPUTE_PGM_RSRC2:USER_SGPR: 2
; COMPUTE_PGM_RSRC2:TRAP_HANDLER: 0
; COMPUTE_PGM_RSRC2:TGID_X_EN: 1
; COMPUTE_PGM_RSRC2:TGID_Y_EN: 0
; COMPUTE_PGM_RSRC2:TGID_Z_EN: 0
; COMPUTE_PGM_RSRC2:TIDIG_COMP_CNT: 0
	.section	.text._ZN7rocprim17ROCPRIM_400000_NS6detail17trampoline_kernelINS0_14default_configENS1_25partition_config_selectorILNS1_17partition_subalgoE5EtNS0_10empty_typeEbEEZZNS1_14partition_implILS5_5ELb0ES3_mN6thrust23THRUST_200600_302600_NS6detail15normal_iteratorINSA_10device_ptrItEEEEPS6_NSA_18transform_iteratorINSB_9not_fun_tI7is_trueItEEENSC_INSD_IbEEEENSA_11use_defaultESO_EENS0_5tupleIJSF_S6_EEENSQ_IJSG_SG_EEES6_PlJS6_EEE10hipError_tPvRmT3_T4_T5_T6_T7_T9_mT8_P12ihipStream_tbDpT10_ENKUlT_T0_E_clISt17integral_constantIbLb0EES1D_EEDaS18_S19_EUlS18_E_NS1_11comp_targetILNS1_3genE3ELNS1_11target_archE908ELNS1_3gpuE7ELNS1_3repE0EEENS1_30default_config_static_selectorELNS0_4arch9wavefront6targetE0EEEvT1_,"axG",@progbits,_ZN7rocprim17ROCPRIM_400000_NS6detail17trampoline_kernelINS0_14default_configENS1_25partition_config_selectorILNS1_17partition_subalgoE5EtNS0_10empty_typeEbEEZZNS1_14partition_implILS5_5ELb0ES3_mN6thrust23THRUST_200600_302600_NS6detail15normal_iteratorINSA_10device_ptrItEEEEPS6_NSA_18transform_iteratorINSB_9not_fun_tI7is_trueItEEENSC_INSD_IbEEEENSA_11use_defaultESO_EENS0_5tupleIJSF_S6_EEENSQ_IJSG_SG_EEES6_PlJS6_EEE10hipError_tPvRmT3_T4_T5_T6_T7_T9_mT8_P12ihipStream_tbDpT10_ENKUlT_T0_E_clISt17integral_constantIbLb0EES1D_EEDaS18_S19_EUlS18_E_NS1_11comp_targetILNS1_3genE3ELNS1_11target_archE908ELNS1_3gpuE7ELNS1_3repE0EEENS1_30default_config_static_selectorELNS0_4arch9wavefront6targetE0EEEvT1_,comdat
	.protected	_ZN7rocprim17ROCPRIM_400000_NS6detail17trampoline_kernelINS0_14default_configENS1_25partition_config_selectorILNS1_17partition_subalgoE5EtNS0_10empty_typeEbEEZZNS1_14partition_implILS5_5ELb0ES3_mN6thrust23THRUST_200600_302600_NS6detail15normal_iteratorINSA_10device_ptrItEEEEPS6_NSA_18transform_iteratorINSB_9not_fun_tI7is_trueItEEENSC_INSD_IbEEEENSA_11use_defaultESO_EENS0_5tupleIJSF_S6_EEENSQ_IJSG_SG_EEES6_PlJS6_EEE10hipError_tPvRmT3_T4_T5_T6_T7_T9_mT8_P12ihipStream_tbDpT10_ENKUlT_T0_E_clISt17integral_constantIbLb0EES1D_EEDaS18_S19_EUlS18_E_NS1_11comp_targetILNS1_3genE3ELNS1_11target_archE908ELNS1_3gpuE7ELNS1_3repE0EEENS1_30default_config_static_selectorELNS0_4arch9wavefront6targetE0EEEvT1_ ; -- Begin function _ZN7rocprim17ROCPRIM_400000_NS6detail17trampoline_kernelINS0_14default_configENS1_25partition_config_selectorILNS1_17partition_subalgoE5EtNS0_10empty_typeEbEEZZNS1_14partition_implILS5_5ELb0ES3_mN6thrust23THRUST_200600_302600_NS6detail15normal_iteratorINSA_10device_ptrItEEEEPS6_NSA_18transform_iteratorINSB_9not_fun_tI7is_trueItEEENSC_INSD_IbEEEENSA_11use_defaultESO_EENS0_5tupleIJSF_S6_EEENSQ_IJSG_SG_EEES6_PlJS6_EEE10hipError_tPvRmT3_T4_T5_T6_T7_T9_mT8_P12ihipStream_tbDpT10_ENKUlT_T0_E_clISt17integral_constantIbLb0EES1D_EEDaS18_S19_EUlS18_E_NS1_11comp_targetILNS1_3genE3ELNS1_11target_archE908ELNS1_3gpuE7ELNS1_3repE0EEENS1_30default_config_static_selectorELNS0_4arch9wavefront6targetE0EEEvT1_
	.globl	_ZN7rocprim17ROCPRIM_400000_NS6detail17trampoline_kernelINS0_14default_configENS1_25partition_config_selectorILNS1_17partition_subalgoE5EtNS0_10empty_typeEbEEZZNS1_14partition_implILS5_5ELb0ES3_mN6thrust23THRUST_200600_302600_NS6detail15normal_iteratorINSA_10device_ptrItEEEEPS6_NSA_18transform_iteratorINSB_9not_fun_tI7is_trueItEEENSC_INSD_IbEEEENSA_11use_defaultESO_EENS0_5tupleIJSF_S6_EEENSQ_IJSG_SG_EEES6_PlJS6_EEE10hipError_tPvRmT3_T4_T5_T6_T7_T9_mT8_P12ihipStream_tbDpT10_ENKUlT_T0_E_clISt17integral_constantIbLb0EES1D_EEDaS18_S19_EUlS18_E_NS1_11comp_targetILNS1_3genE3ELNS1_11target_archE908ELNS1_3gpuE7ELNS1_3repE0EEENS1_30default_config_static_selectorELNS0_4arch9wavefront6targetE0EEEvT1_
	.p2align	8
	.type	_ZN7rocprim17ROCPRIM_400000_NS6detail17trampoline_kernelINS0_14default_configENS1_25partition_config_selectorILNS1_17partition_subalgoE5EtNS0_10empty_typeEbEEZZNS1_14partition_implILS5_5ELb0ES3_mN6thrust23THRUST_200600_302600_NS6detail15normal_iteratorINSA_10device_ptrItEEEEPS6_NSA_18transform_iteratorINSB_9not_fun_tI7is_trueItEEENSC_INSD_IbEEEENSA_11use_defaultESO_EENS0_5tupleIJSF_S6_EEENSQ_IJSG_SG_EEES6_PlJS6_EEE10hipError_tPvRmT3_T4_T5_T6_T7_T9_mT8_P12ihipStream_tbDpT10_ENKUlT_T0_E_clISt17integral_constantIbLb0EES1D_EEDaS18_S19_EUlS18_E_NS1_11comp_targetILNS1_3genE3ELNS1_11target_archE908ELNS1_3gpuE7ELNS1_3repE0EEENS1_30default_config_static_selectorELNS0_4arch9wavefront6targetE0EEEvT1_,@function
_ZN7rocprim17ROCPRIM_400000_NS6detail17trampoline_kernelINS0_14default_configENS1_25partition_config_selectorILNS1_17partition_subalgoE5EtNS0_10empty_typeEbEEZZNS1_14partition_implILS5_5ELb0ES3_mN6thrust23THRUST_200600_302600_NS6detail15normal_iteratorINSA_10device_ptrItEEEEPS6_NSA_18transform_iteratorINSB_9not_fun_tI7is_trueItEEENSC_INSD_IbEEEENSA_11use_defaultESO_EENS0_5tupleIJSF_S6_EEENSQ_IJSG_SG_EEES6_PlJS6_EEE10hipError_tPvRmT3_T4_T5_T6_T7_T9_mT8_P12ihipStream_tbDpT10_ENKUlT_T0_E_clISt17integral_constantIbLb0EES1D_EEDaS18_S19_EUlS18_E_NS1_11comp_targetILNS1_3genE3ELNS1_11target_archE908ELNS1_3gpuE7ELNS1_3repE0EEENS1_30default_config_static_selectorELNS0_4arch9wavefront6targetE0EEEvT1_: ; @_ZN7rocprim17ROCPRIM_400000_NS6detail17trampoline_kernelINS0_14default_configENS1_25partition_config_selectorILNS1_17partition_subalgoE5EtNS0_10empty_typeEbEEZZNS1_14partition_implILS5_5ELb0ES3_mN6thrust23THRUST_200600_302600_NS6detail15normal_iteratorINSA_10device_ptrItEEEEPS6_NSA_18transform_iteratorINSB_9not_fun_tI7is_trueItEEENSC_INSD_IbEEEENSA_11use_defaultESO_EENS0_5tupleIJSF_S6_EEENSQ_IJSG_SG_EEES6_PlJS6_EEE10hipError_tPvRmT3_T4_T5_T6_T7_T9_mT8_P12ihipStream_tbDpT10_ENKUlT_T0_E_clISt17integral_constantIbLb0EES1D_EEDaS18_S19_EUlS18_E_NS1_11comp_targetILNS1_3genE3ELNS1_11target_archE908ELNS1_3gpuE7ELNS1_3repE0EEENS1_30default_config_static_selectorELNS0_4arch9wavefront6targetE0EEEvT1_
; %bb.0:
	.section	.rodata,"a",@progbits
	.p2align	6, 0x0
	.amdhsa_kernel _ZN7rocprim17ROCPRIM_400000_NS6detail17trampoline_kernelINS0_14default_configENS1_25partition_config_selectorILNS1_17partition_subalgoE5EtNS0_10empty_typeEbEEZZNS1_14partition_implILS5_5ELb0ES3_mN6thrust23THRUST_200600_302600_NS6detail15normal_iteratorINSA_10device_ptrItEEEEPS6_NSA_18transform_iteratorINSB_9not_fun_tI7is_trueItEEENSC_INSD_IbEEEENSA_11use_defaultESO_EENS0_5tupleIJSF_S6_EEENSQ_IJSG_SG_EEES6_PlJS6_EEE10hipError_tPvRmT3_T4_T5_T6_T7_T9_mT8_P12ihipStream_tbDpT10_ENKUlT_T0_E_clISt17integral_constantIbLb0EES1D_EEDaS18_S19_EUlS18_E_NS1_11comp_targetILNS1_3genE3ELNS1_11target_archE908ELNS1_3gpuE7ELNS1_3repE0EEENS1_30default_config_static_selectorELNS0_4arch9wavefront6targetE0EEEvT1_
		.amdhsa_group_segment_fixed_size 0
		.amdhsa_private_segment_fixed_size 0
		.amdhsa_kernarg_size 120
		.amdhsa_user_sgpr_count 2
		.amdhsa_user_sgpr_dispatch_ptr 0
		.amdhsa_user_sgpr_queue_ptr 0
		.amdhsa_user_sgpr_kernarg_segment_ptr 1
		.amdhsa_user_sgpr_dispatch_id 0
		.amdhsa_user_sgpr_private_segment_size 0
		.amdhsa_wavefront_size32 1
		.amdhsa_uses_dynamic_stack 0
		.amdhsa_enable_private_segment 0
		.amdhsa_system_sgpr_workgroup_id_x 1
		.amdhsa_system_sgpr_workgroup_id_y 0
		.amdhsa_system_sgpr_workgroup_id_z 0
		.amdhsa_system_sgpr_workgroup_info 0
		.amdhsa_system_vgpr_workitem_id 0
		.amdhsa_next_free_vgpr 1
		.amdhsa_next_free_sgpr 1
		.amdhsa_reserve_vcc 0
		.amdhsa_float_round_mode_32 0
		.amdhsa_float_round_mode_16_64 0
		.amdhsa_float_denorm_mode_32 3
		.amdhsa_float_denorm_mode_16_64 3
		.amdhsa_fp16_overflow 0
		.amdhsa_workgroup_processor_mode 1
		.amdhsa_memory_ordered 1
		.amdhsa_forward_progress 1
		.amdhsa_inst_pref_size 0
		.amdhsa_round_robin_scheduling 0
		.amdhsa_exception_fp_ieee_invalid_op 0
		.amdhsa_exception_fp_denorm_src 0
		.amdhsa_exception_fp_ieee_div_zero 0
		.amdhsa_exception_fp_ieee_overflow 0
		.amdhsa_exception_fp_ieee_underflow 0
		.amdhsa_exception_fp_ieee_inexact 0
		.amdhsa_exception_int_div_zero 0
	.end_amdhsa_kernel
	.section	.text._ZN7rocprim17ROCPRIM_400000_NS6detail17trampoline_kernelINS0_14default_configENS1_25partition_config_selectorILNS1_17partition_subalgoE5EtNS0_10empty_typeEbEEZZNS1_14partition_implILS5_5ELb0ES3_mN6thrust23THRUST_200600_302600_NS6detail15normal_iteratorINSA_10device_ptrItEEEEPS6_NSA_18transform_iteratorINSB_9not_fun_tI7is_trueItEEENSC_INSD_IbEEEENSA_11use_defaultESO_EENS0_5tupleIJSF_S6_EEENSQ_IJSG_SG_EEES6_PlJS6_EEE10hipError_tPvRmT3_T4_T5_T6_T7_T9_mT8_P12ihipStream_tbDpT10_ENKUlT_T0_E_clISt17integral_constantIbLb0EES1D_EEDaS18_S19_EUlS18_E_NS1_11comp_targetILNS1_3genE3ELNS1_11target_archE908ELNS1_3gpuE7ELNS1_3repE0EEENS1_30default_config_static_selectorELNS0_4arch9wavefront6targetE0EEEvT1_,"axG",@progbits,_ZN7rocprim17ROCPRIM_400000_NS6detail17trampoline_kernelINS0_14default_configENS1_25partition_config_selectorILNS1_17partition_subalgoE5EtNS0_10empty_typeEbEEZZNS1_14partition_implILS5_5ELb0ES3_mN6thrust23THRUST_200600_302600_NS6detail15normal_iteratorINSA_10device_ptrItEEEEPS6_NSA_18transform_iteratorINSB_9not_fun_tI7is_trueItEEENSC_INSD_IbEEEENSA_11use_defaultESO_EENS0_5tupleIJSF_S6_EEENSQ_IJSG_SG_EEES6_PlJS6_EEE10hipError_tPvRmT3_T4_T5_T6_T7_T9_mT8_P12ihipStream_tbDpT10_ENKUlT_T0_E_clISt17integral_constantIbLb0EES1D_EEDaS18_S19_EUlS18_E_NS1_11comp_targetILNS1_3genE3ELNS1_11target_archE908ELNS1_3gpuE7ELNS1_3repE0EEENS1_30default_config_static_selectorELNS0_4arch9wavefront6targetE0EEEvT1_,comdat
.Lfunc_end2464:
	.size	_ZN7rocprim17ROCPRIM_400000_NS6detail17trampoline_kernelINS0_14default_configENS1_25partition_config_selectorILNS1_17partition_subalgoE5EtNS0_10empty_typeEbEEZZNS1_14partition_implILS5_5ELb0ES3_mN6thrust23THRUST_200600_302600_NS6detail15normal_iteratorINSA_10device_ptrItEEEEPS6_NSA_18transform_iteratorINSB_9not_fun_tI7is_trueItEEENSC_INSD_IbEEEENSA_11use_defaultESO_EENS0_5tupleIJSF_S6_EEENSQ_IJSG_SG_EEES6_PlJS6_EEE10hipError_tPvRmT3_T4_T5_T6_T7_T9_mT8_P12ihipStream_tbDpT10_ENKUlT_T0_E_clISt17integral_constantIbLb0EES1D_EEDaS18_S19_EUlS18_E_NS1_11comp_targetILNS1_3genE3ELNS1_11target_archE908ELNS1_3gpuE7ELNS1_3repE0EEENS1_30default_config_static_selectorELNS0_4arch9wavefront6targetE0EEEvT1_, .Lfunc_end2464-_ZN7rocprim17ROCPRIM_400000_NS6detail17trampoline_kernelINS0_14default_configENS1_25partition_config_selectorILNS1_17partition_subalgoE5EtNS0_10empty_typeEbEEZZNS1_14partition_implILS5_5ELb0ES3_mN6thrust23THRUST_200600_302600_NS6detail15normal_iteratorINSA_10device_ptrItEEEEPS6_NSA_18transform_iteratorINSB_9not_fun_tI7is_trueItEEENSC_INSD_IbEEEENSA_11use_defaultESO_EENS0_5tupleIJSF_S6_EEENSQ_IJSG_SG_EEES6_PlJS6_EEE10hipError_tPvRmT3_T4_T5_T6_T7_T9_mT8_P12ihipStream_tbDpT10_ENKUlT_T0_E_clISt17integral_constantIbLb0EES1D_EEDaS18_S19_EUlS18_E_NS1_11comp_targetILNS1_3genE3ELNS1_11target_archE908ELNS1_3gpuE7ELNS1_3repE0EEENS1_30default_config_static_selectorELNS0_4arch9wavefront6targetE0EEEvT1_
                                        ; -- End function
	.set _ZN7rocprim17ROCPRIM_400000_NS6detail17trampoline_kernelINS0_14default_configENS1_25partition_config_selectorILNS1_17partition_subalgoE5EtNS0_10empty_typeEbEEZZNS1_14partition_implILS5_5ELb0ES3_mN6thrust23THRUST_200600_302600_NS6detail15normal_iteratorINSA_10device_ptrItEEEEPS6_NSA_18transform_iteratorINSB_9not_fun_tI7is_trueItEEENSC_INSD_IbEEEENSA_11use_defaultESO_EENS0_5tupleIJSF_S6_EEENSQ_IJSG_SG_EEES6_PlJS6_EEE10hipError_tPvRmT3_T4_T5_T6_T7_T9_mT8_P12ihipStream_tbDpT10_ENKUlT_T0_E_clISt17integral_constantIbLb0EES1D_EEDaS18_S19_EUlS18_E_NS1_11comp_targetILNS1_3genE3ELNS1_11target_archE908ELNS1_3gpuE7ELNS1_3repE0EEENS1_30default_config_static_selectorELNS0_4arch9wavefront6targetE0EEEvT1_.num_vgpr, 0
	.set _ZN7rocprim17ROCPRIM_400000_NS6detail17trampoline_kernelINS0_14default_configENS1_25partition_config_selectorILNS1_17partition_subalgoE5EtNS0_10empty_typeEbEEZZNS1_14partition_implILS5_5ELb0ES3_mN6thrust23THRUST_200600_302600_NS6detail15normal_iteratorINSA_10device_ptrItEEEEPS6_NSA_18transform_iteratorINSB_9not_fun_tI7is_trueItEEENSC_INSD_IbEEEENSA_11use_defaultESO_EENS0_5tupleIJSF_S6_EEENSQ_IJSG_SG_EEES6_PlJS6_EEE10hipError_tPvRmT3_T4_T5_T6_T7_T9_mT8_P12ihipStream_tbDpT10_ENKUlT_T0_E_clISt17integral_constantIbLb0EES1D_EEDaS18_S19_EUlS18_E_NS1_11comp_targetILNS1_3genE3ELNS1_11target_archE908ELNS1_3gpuE7ELNS1_3repE0EEENS1_30default_config_static_selectorELNS0_4arch9wavefront6targetE0EEEvT1_.num_agpr, 0
	.set _ZN7rocprim17ROCPRIM_400000_NS6detail17trampoline_kernelINS0_14default_configENS1_25partition_config_selectorILNS1_17partition_subalgoE5EtNS0_10empty_typeEbEEZZNS1_14partition_implILS5_5ELb0ES3_mN6thrust23THRUST_200600_302600_NS6detail15normal_iteratorINSA_10device_ptrItEEEEPS6_NSA_18transform_iteratorINSB_9not_fun_tI7is_trueItEEENSC_INSD_IbEEEENSA_11use_defaultESO_EENS0_5tupleIJSF_S6_EEENSQ_IJSG_SG_EEES6_PlJS6_EEE10hipError_tPvRmT3_T4_T5_T6_T7_T9_mT8_P12ihipStream_tbDpT10_ENKUlT_T0_E_clISt17integral_constantIbLb0EES1D_EEDaS18_S19_EUlS18_E_NS1_11comp_targetILNS1_3genE3ELNS1_11target_archE908ELNS1_3gpuE7ELNS1_3repE0EEENS1_30default_config_static_selectorELNS0_4arch9wavefront6targetE0EEEvT1_.numbered_sgpr, 0
	.set _ZN7rocprim17ROCPRIM_400000_NS6detail17trampoline_kernelINS0_14default_configENS1_25partition_config_selectorILNS1_17partition_subalgoE5EtNS0_10empty_typeEbEEZZNS1_14partition_implILS5_5ELb0ES3_mN6thrust23THRUST_200600_302600_NS6detail15normal_iteratorINSA_10device_ptrItEEEEPS6_NSA_18transform_iteratorINSB_9not_fun_tI7is_trueItEEENSC_INSD_IbEEEENSA_11use_defaultESO_EENS0_5tupleIJSF_S6_EEENSQ_IJSG_SG_EEES6_PlJS6_EEE10hipError_tPvRmT3_T4_T5_T6_T7_T9_mT8_P12ihipStream_tbDpT10_ENKUlT_T0_E_clISt17integral_constantIbLb0EES1D_EEDaS18_S19_EUlS18_E_NS1_11comp_targetILNS1_3genE3ELNS1_11target_archE908ELNS1_3gpuE7ELNS1_3repE0EEENS1_30default_config_static_selectorELNS0_4arch9wavefront6targetE0EEEvT1_.num_named_barrier, 0
	.set _ZN7rocprim17ROCPRIM_400000_NS6detail17trampoline_kernelINS0_14default_configENS1_25partition_config_selectorILNS1_17partition_subalgoE5EtNS0_10empty_typeEbEEZZNS1_14partition_implILS5_5ELb0ES3_mN6thrust23THRUST_200600_302600_NS6detail15normal_iteratorINSA_10device_ptrItEEEEPS6_NSA_18transform_iteratorINSB_9not_fun_tI7is_trueItEEENSC_INSD_IbEEEENSA_11use_defaultESO_EENS0_5tupleIJSF_S6_EEENSQ_IJSG_SG_EEES6_PlJS6_EEE10hipError_tPvRmT3_T4_T5_T6_T7_T9_mT8_P12ihipStream_tbDpT10_ENKUlT_T0_E_clISt17integral_constantIbLb0EES1D_EEDaS18_S19_EUlS18_E_NS1_11comp_targetILNS1_3genE3ELNS1_11target_archE908ELNS1_3gpuE7ELNS1_3repE0EEENS1_30default_config_static_selectorELNS0_4arch9wavefront6targetE0EEEvT1_.private_seg_size, 0
	.set _ZN7rocprim17ROCPRIM_400000_NS6detail17trampoline_kernelINS0_14default_configENS1_25partition_config_selectorILNS1_17partition_subalgoE5EtNS0_10empty_typeEbEEZZNS1_14partition_implILS5_5ELb0ES3_mN6thrust23THRUST_200600_302600_NS6detail15normal_iteratorINSA_10device_ptrItEEEEPS6_NSA_18transform_iteratorINSB_9not_fun_tI7is_trueItEEENSC_INSD_IbEEEENSA_11use_defaultESO_EENS0_5tupleIJSF_S6_EEENSQ_IJSG_SG_EEES6_PlJS6_EEE10hipError_tPvRmT3_T4_T5_T6_T7_T9_mT8_P12ihipStream_tbDpT10_ENKUlT_T0_E_clISt17integral_constantIbLb0EES1D_EEDaS18_S19_EUlS18_E_NS1_11comp_targetILNS1_3genE3ELNS1_11target_archE908ELNS1_3gpuE7ELNS1_3repE0EEENS1_30default_config_static_selectorELNS0_4arch9wavefront6targetE0EEEvT1_.uses_vcc, 0
	.set _ZN7rocprim17ROCPRIM_400000_NS6detail17trampoline_kernelINS0_14default_configENS1_25partition_config_selectorILNS1_17partition_subalgoE5EtNS0_10empty_typeEbEEZZNS1_14partition_implILS5_5ELb0ES3_mN6thrust23THRUST_200600_302600_NS6detail15normal_iteratorINSA_10device_ptrItEEEEPS6_NSA_18transform_iteratorINSB_9not_fun_tI7is_trueItEEENSC_INSD_IbEEEENSA_11use_defaultESO_EENS0_5tupleIJSF_S6_EEENSQ_IJSG_SG_EEES6_PlJS6_EEE10hipError_tPvRmT3_T4_T5_T6_T7_T9_mT8_P12ihipStream_tbDpT10_ENKUlT_T0_E_clISt17integral_constantIbLb0EES1D_EEDaS18_S19_EUlS18_E_NS1_11comp_targetILNS1_3genE3ELNS1_11target_archE908ELNS1_3gpuE7ELNS1_3repE0EEENS1_30default_config_static_selectorELNS0_4arch9wavefront6targetE0EEEvT1_.uses_flat_scratch, 0
	.set _ZN7rocprim17ROCPRIM_400000_NS6detail17trampoline_kernelINS0_14default_configENS1_25partition_config_selectorILNS1_17partition_subalgoE5EtNS0_10empty_typeEbEEZZNS1_14partition_implILS5_5ELb0ES3_mN6thrust23THRUST_200600_302600_NS6detail15normal_iteratorINSA_10device_ptrItEEEEPS6_NSA_18transform_iteratorINSB_9not_fun_tI7is_trueItEEENSC_INSD_IbEEEENSA_11use_defaultESO_EENS0_5tupleIJSF_S6_EEENSQ_IJSG_SG_EEES6_PlJS6_EEE10hipError_tPvRmT3_T4_T5_T6_T7_T9_mT8_P12ihipStream_tbDpT10_ENKUlT_T0_E_clISt17integral_constantIbLb0EES1D_EEDaS18_S19_EUlS18_E_NS1_11comp_targetILNS1_3genE3ELNS1_11target_archE908ELNS1_3gpuE7ELNS1_3repE0EEENS1_30default_config_static_selectorELNS0_4arch9wavefront6targetE0EEEvT1_.has_dyn_sized_stack, 0
	.set _ZN7rocprim17ROCPRIM_400000_NS6detail17trampoline_kernelINS0_14default_configENS1_25partition_config_selectorILNS1_17partition_subalgoE5EtNS0_10empty_typeEbEEZZNS1_14partition_implILS5_5ELb0ES3_mN6thrust23THRUST_200600_302600_NS6detail15normal_iteratorINSA_10device_ptrItEEEEPS6_NSA_18transform_iteratorINSB_9not_fun_tI7is_trueItEEENSC_INSD_IbEEEENSA_11use_defaultESO_EENS0_5tupleIJSF_S6_EEENSQ_IJSG_SG_EEES6_PlJS6_EEE10hipError_tPvRmT3_T4_T5_T6_T7_T9_mT8_P12ihipStream_tbDpT10_ENKUlT_T0_E_clISt17integral_constantIbLb0EES1D_EEDaS18_S19_EUlS18_E_NS1_11comp_targetILNS1_3genE3ELNS1_11target_archE908ELNS1_3gpuE7ELNS1_3repE0EEENS1_30default_config_static_selectorELNS0_4arch9wavefront6targetE0EEEvT1_.has_recursion, 0
	.set _ZN7rocprim17ROCPRIM_400000_NS6detail17trampoline_kernelINS0_14default_configENS1_25partition_config_selectorILNS1_17partition_subalgoE5EtNS0_10empty_typeEbEEZZNS1_14partition_implILS5_5ELb0ES3_mN6thrust23THRUST_200600_302600_NS6detail15normal_iteratorINSA_10device_ptrItEEEEPS6_NSA_18transform_iteratorINSB_9not_fun_tI7is_trueItEEENSC_INSD_IbEEEENSA_11use_defaultESO_EENS0_5tupleIJSF_S6_EEENSQ_IJSG_SG_EEES6_PlJS6_EEE10hipError_tPvRmT3_T4_T5_T6_T7_T9_mT8_P12ihipStream_tbDpT10_ENKUlT_T0_E_clISt17integral_constantIbLb0EES1D_EEDaS18_S19_EUlS18_E_NS1_11comp_targetILNS1_3genE3ELNS1_11target_archE908ELNS1_3gpuE7ELNS1_3repE0EEENS1_30default_config_static_selectorELNS0_4arch9wavefront6targetE0EEEvT1_.has_indirect_call, 0
	.section	.AMDGPU.csdata,"",@progbits
; Kernel info:
; codeLenInByte = 0
; TotalNumSgprs: 0
; NumVgprs: 0
; ScratchSize: 0
; MemoryBound: 0
; FloatMode: 240
; IeeeMode: 1
; LDSByteSize: 0 bytes/workgroup (compile time only)
; SGPRBlocks: 0
; VGPRBlocks: 0
; NumSGPRsForWavesPerEU: 1
; NumVGPRsForWavesPerEU: 1
; Occupancy: 16
; WaveLimiterHint : 0
; COMPUTE_PGM_RSRC2:SCRATCH_EN: 0
; COMPUTE_PGM_RSRC2:USER_SGPR: 2
; COMPUTE_PGM_RSRC2:TRAP_HANDLER: 0
; COMPUTE_PGM_RSRC2:TGID_X_EN: 1
; COMPUTE_PGM_RSRC2:TGID_Y_EN: 0
; COMPUTE_PGM_RSRC2:TGID_Z_EN: 0
; COMPUTE_PGM_RSRC2:TIDIG_COMP_CNT: 0
	.section	.text._ZN7rocprim17ROCPRIM_400000_NS6detail17trampoline_kernelINS0_14default_configENS1_25partition_config_selectorILNS1_17partition_subalgoE5EtNS0_10empty_typeEbEEZZNS1_14partition_implILS5_5ELb0ES3_mN6thrust23THRUST_200600_302600_NS6detail15normal_iteratorINSA_10device_ptrItEEEEPS6_NSA_18transform_iteratorINSB_9not_fun_tI7is_trueItEEENSC_INSD_IbEEEENSA_11use_defaultESO_EENS0_5tupleIJSF_S6_EEENSQ_IJSG_SG_EEES6_PlJS6_EEE10hipError_tPvRmT3_T4_T5_T6_T7_T9_mT8_P12ihipStream_tbDpT10_ENKUlT_T0_E_clISt17integral_constantIbLb0EES1D_EEDaS18_S19_EUlS18_E_NS1_11comp_targetILNS1_3genE2ELNS1_11target_archE906ELNS1_3gpuE6ELNS1_3repE0EEENS1_30default_config_static_selectorELNS0_4arch9wavefront6targetE0EEEvT1_,"axG",@progbits,_ZN7rocprim17ROCPRIM_400000_NS6detail17trampoline_kernelINS0_14default_configENS1_25partition_config_selectorILNS1_17partition_subalgoE5EtNS0_10empty_typeEbEEZZNS1_14partition_implILS5_5ELb0ES3_mN6thrust23THRUST_200600_302600_NS6detail15normal_iteratorINSA_10device_ptrItEEEEPS6_NSA_18transform_iteratorINSB_9not_fun_tI7is_trueItEEENSC_INSD_IbEEEENSA_11use_defaultESO_EENS0_5tupleIJSF_S6_EEENSQ_IJSG_SG_EEES6_PlJS6_EEE10hipError_tPvRmT3_T4_T5_T6_T7_T9_mT8_P12ihipStream_tbDpT10_ENKUlT_T0_E_clISt17integral_constantIbLb0EES1D_EEDaS18_S19_EUlS18_E_NS1_11comp_targetILNS1_3genE2ELNS1_11target_archE906ELNS1_3gpuE6ELNS1_3repE0EEENS1_30default_config_static_selectorELNS0_4arch9wavefront6targetE0EEEvT1_,comdat
	.protected	_ZN7rocprim17ROCPRIM_400000_NS6detail17trampoline_kernelINS0_14default_configENS1_25partition_config_selectorILNS1_17partition_subalgoE5EtNS0_10empty_typeEbEEZZNS1_14partition_implILS5_5ELb0ES3_mN6thrust23THRUST_200600_302600_NS6detail15normal_iteratorINSA_10device_ptrItEEEEPS6_NSA_18transform_iteratorINSB_9not_fun_tI7is_trueItEEENSC_INSD_IbEEEENSA_11use_defaultESO_EENS0_5tupleIJSF_S6_EEENSQ_IJSG_SG_EEES6_PlJS6_EEE10hipError_tPvRmT3_T4_T5_T6_T7_T9_mT8_P12ihipStream_tbDpT10_ENKUlT_T0_E_clISt17integral_constantIbLb0EES1D_EEDaS18_S19_EUlS18_E_NS1_11comp_targetILNS1_3genE2ELNS1_11target_archE906ELNS1_3gpuE6ELNS1_3repE0EEENS1_30default_config_static_selectorELNS0_4arch9wavefront6targetE0EEEvT1_ ; -- Begin function _ZN7rocprim17ROCPRIM_400000_NS6detail17trampoline_kernelINS0_14default_configENS1_25partition_config_selectorILNS1_17partition_subalgoE5EtNS0_10empty_typeEbEEZZNS1_14partition_implILS5_5ELb0ES3_mN6thrust23THRUST_200600_302600_NS6detail15normal_iteratorINSA_10device_ptrItEEEEPS6_NSA_18transform_iteratorINSB_9not_fun_tI7is_trueItEEENSC_INSD_IbEEEENSA_11use_defaultESO_EENS0_5tupleIJSF_S6_EEENSQ_IJSG_SG_EEES6_PlJS6_EEE10hipError_tPvRmT3_T4_T5_T6_T7_T9_mT8_P12ihipStream_tbDpT10_ENKUlT_T0_E_clISt17integral_constantIbLb0EES1D_EEDaS18_S19_EUlS18_E_NS1_11comp_targetILNS1_3genE2ELNS1_11target_archE906ELNS1_3gpuE6ELNS1_3repE0EEENS1_30default_config_static_selectorELNS0_4arch9wavefront6targetE0EEEvT1_
	.globl	_ZN7rocprim17ROCPRIM_400000_NS6detail17trampoline_kernelINS0_14default_configENS1_25partition_config_selectorILNS1_17partition_subalgoE5EtNS0_10empty_typeEbEEZZNS1_14partition_implILS5_5ELb0ES3_mN6thrust23THRUST_200600_302600_NS6detail15normal_iteratorINSA_10device_ptrItEEEEPS6_NSA_18transform_iteratorINSB_9not_fun_tI7is_trueItEEENSC_INSD_IbEEEENSA_11use_defaultESO_EENS0_5tupleIJSF_S6_EEENSQ_IJSG_SG_EEES6_PlJS6_EEE10hipError_tPvRmT3_T4_T5_T6_T7_T9_mT8_P12ihipStream_tbDpT10_ENKUlT_T0_E_clISt17integral_constantIbLb0EES1D_EEDaS18_S19_EUlS18_E_NS1_11comp_targetILNS1_3genE2ELNS1_11target_archE906ELNS1_3gpuE6ELNS1_3repE0EEENS1_30default_config_static_selectorELNS0_4arch9wavefront6targetE0EEEvT1_
	.p2align	8
	.type	_ZN7rocprim17ROCPRIM_400000_NS6detail17trampoline_kernelINS0_14default_configENS1_25partition_config_selectorILNS1_17partition_subalgoE5EtNS0_10empty_typeEbEEZZNS1_14partition_implILS5_5ELb0ES3_mN6thrust23THRUST_200600_302600_NS6detail15normal_iteratorINSA_10device_ptrItEEEEPS6_NSA_18transform_iteratorINSB_9not_fun_tI7is_trueItEEENSC_INSD_IbEEEENSA_11use_defaultESO_EENS0_5tupleIJSF_S6_EEENSQ_IJSG_SG_EEES6_PlJS6_EEE10hipError_tPvRmT3_T4_T5_T6_T7_T9_mT8_P12ihipStream_tbDpT10_ENKUlT_T0_E_clISt17integral_constantIbLb0EES1D_EEDaS18_S19_EUlS18_E_NS1_11comp_targetILNS1_3genE2ELNS1_11target_archE906ELNS1_3gpuE6ELNS1_3repE0EEENS1_30default_config_static_selectorELNS0_4arch9wavefront6targetE0EEEvT1_,@function
_ZN7rocprim17ROCPRIM_400000_NS6detail17trampoline_kernelINS0_14default_configENS1_25partition_config_selectorILNS1_17partition_subalgoE5EtNS0_10empty_typeEbEEZZNS1_14partition_implILS5_5ELb0ES3_mN6thrust23THRUST_200600_302600_NS6detail15normal_iteratorINSA_10device_ptrItEEEEPS6_NSA_18transform_iteratorINSB_9not_fun_tI7is_trueItEEENSC_INSD_IbEEEENSA_11use_defaultESO_EENS0_5tupleIJSF_S6_EEENSQ_IJSG_SG_EEES6_PlJS6_EEE10hipError_tPvRmT3_T4_T5_T6_T7_T9_mT8_P12ihipStream_tbDpT10_ENKUlT_T0_E_clISt17integral_constantIbLb0EES1D_EEDaS18_S19_EUlS18_E_NS1_11comp_targetILNS1_3genE2ELNS1_11target_archE906ELNS1_3gpuE6ELNS1_3repE0EEENS1_30default_config_static_selectorELNS0_4arch9wavefront6targetE0EEEvT1_: ; @_ZN7rocprim17ROCPRIM_400000_NS6detail17trampoline_kernelINS0_14default_configENS1_25partition_config_selectorILNS1_17partition_subalgoE5EtNS0_10empty_typeEbEEZZNS1_14partition_implILS5_5ELb0ES3_mN6thrust23THRUST_200600_302600_NS6detail15normal_iteratorINSA_10device_ptrItEEEEPS6_NSA_18transform_iteratorINSB_9not_fun_tI7is_trueItEEENSC_INSD_IbEEEENSA_11use_defaultESO_EENS0_5tupleIJSF_S6_EEENSQ_IJSG_SG_EEES6_PlJS6_EEE10hipError_tPvRmT3_T4_T5_T6_T7_T9_mT8_P12ihipStream_tbDpT10_ENKUlT_T0_E_clISt17integral_constantIbLb0EES1D_EEDaS18_S19_EUlS18_E_NS1_11comp_targetILNS1_3genE2ELNS1_11target_archE906ELNS1_3gpuE6ELNS1_3repE0EEENS1_30default_config_static_selectorELNS0_4arch9wavefront6targetE0EEEvT1_
; %bb.0:
	.section	.rodata,"a",@progbits
	.p2align	6, 0x0
	.amdhsa_kernel _ZN7rocprim17ROCPRIM_400000_NS6detail17trampoline_kernelINS0_14default_configENS1_25partition_config_selectorILNS1_17partition_subalgoE5EtNS0_10empty_typeEbEEZZNS1_14partition_implILS5_5ELb0ES3_mN6thrust23THRUST_200600_302600_NS6detail15normal_iteratorINSA_10device_ptrItEEEEPS6_NSA_18transform_iteratorINSB_9not_fun_tI7is_trueItEEENSC_INSD_IbEEEENSA_11use_defaultESO_EENS0_5tupleIJSF_S6_EEENSQ_IJSG_SG_EEES6_PlJS6_EEE10hipError_tPvRmT3_T4_T5_T6_T7_T9_mT8_P12ihipStream_tbDpT10_ENKUlT_T0_E_clISt17integral_constantIbLb0EES1D_EEDaS18_S19_EUlS18_E_NS1_11comp_targetILNS1_3genE2ELNS1_11target_archE906ELNS1_3gpuE6ELNS1_3repE0EEENS1_30default_config_static_selectorELNS0_4arch9wavefront6targetE0EEEvT1_
		.amdhsa_group_segment_fixed_size 0
		.amdhsa_private_segment_fixed_size 0
		.amdhsa_kernarg_size 120
		.amdhsa_user_sgpr_count 2
		.amdhsa_user_sgpr_dispatch_ptr 0
		.amdhsa_user_sgpr_queue_ptr 0
		.amdhsa_user_sgpr_kernarg_segment_ptr 1
		.amdhsa_user_sgpr_dispatch_id 0
		.amdhsa_user_sgpr_private_segment_size 0
		.amdhsa_wavefront_size32 1
		.amdhsa_uses_dynamic_stack 0
		.amdhsa_enable_private_segment 0
		.amdhsa_system_sgpr_workgroup_id_x 1
		.amdhsa_system_sgpr_workgroup_id_y 0
		.amdhsa_system_sgpr_workgroup_id_z 0
		.amdhsa_system_sgpr_workgroup_info 0
		.amdhsa_system_vgpr_workitem_id 0
		.amdhsa_next_free_vgpr 1
		.amdhsa_next_free_sgpr 1
		.amdhsa_reserve_vcc 0
		.amdhsa_float_round_mode_32 0
		.amdhsa_float_round_mode_16_64 0
		.amdhsa_float_denorm_mode_32 3
		.amdhsa_float_denorm_mode_16_64 3
		.amdhsa_fp16_overflow 0
		.amdhsa_workgroup_processor_mode 1
		.amdhsa_memory_ordered 1
		.amdhsa_forward_progress 1
		.amdhsa_inst_pref_size 0
		.amdhsa_round_robin_scheduling 0
		.amdhsa_exception_fp_ieee_invalid_op 0
		.amdhsa_exception_fp_denorm_src 0
		.amdhsa_exception_fp_ieee_div_zero 0
		.amdhsa_exception_fp_ieee_overflow 0
		.amdhsa_exception_fp_ieee_underflow 0
		.amdhsa_exception_fp_ieee_inexact 0
		.amdhsa_exception_int_div_zero 0
	.end_amdhsa_kernel
	.section	.text._ZN7rocprim17ROCPRIM_400000_NS6detail17trampoline_kernelINS0_14default_configENS1_25partition_config_selectorILNS1_17partition_subalgoE5EtNS0_10empty_typeEbEEZZNS1_14partition_implILS5_5ELb0ES3_mN6thrust23THRUST_200600_302600_NS6detail15normal_iteratorINSA_10device_ptrItEEEEPS6_NSA_18transform_iteratorINSB_9not_fun_tI7is_trueItEEENSC_INSD_IbEEEENSA_11use_defaultESO_EENS0_5tupleIJSF_S6_EEENSQ_IJSG_SG_EEES6_PlJS6_EEE10hipError_tPvRmT3_T4_T5_T6_T7_T9_mT8_P12ihipStream_tbDpT10_ENKUlT_T0_E_clISt17integral_constantIbLb0EES1D_EEDaS18_S19_EUlS18_E_NS1_11comp_targetILNS1_3genE2ELNS1_11target_archE906ELNS1_3gpuE6ELNS1_3repE0EEENS1_30default_config_static_selectorELNS0_4arch9wavefront6targetE0EEEvT1_,"axG",@progbits,_ZN7rocprim17ROCPRIM_400000_NS6detail17trampoline_kernelINS0_14default_configENS1_25partition_config_selectorILNS1_17partition_subalgoE5EtNS0_10empty_typeEbEEZZNS1_14partition_implILS5_5ELb0ES3_mN6thrust23THRUST_200600_302600_NS6detail15normal_iteratorINSA_10device_ptrItEEEEPS6_NSA_18transform_iteratorINSB_9not_fun_tI7is_trueItEEENSC_INSD_IbEEEENSA_11use_defaultESO_EENS0_5tupleIJSF_S6_EEENSQ_IJSG_SG_EEES6_PlJS6_EEE10hipError_tPvRmT3_T4_T5_T6_T7_T9_mT8_P12ihipStream_tbDpT10_ENKUlT_T0_E_clISt17integral_constantIbLb0EES1D_EEDaS18_S19_EUlS18_E_NS1_11comp_targetILNS1_3genE2ELNS1_11target_archE906ELNS1_3gpuE6ELNS1_3repE0EEENS1_30default_config_static_selectorELNS0_4arch9wavefront6targetE0EEEvT1_,comdat
.Lfunc_end2465:
	.size	_ZN7rocprim17ROCPRIM_400000_NS6detail17trampoline_kernelINS0_14default_configENS1_25partition_config_selectorILNS1_17partition_subalgoE5EtNS0_10empty_typeEbEEZZNS1_14partition_implILS5_5ELb0ES3_mN6thrust23THRUST_200600_302600_NS6detail15normal_iteratorINSA_10device_ptrItEEEEPS6_NSA_18transform_iteratorINSB_9not_fun_tI7is_trueItEEENSC_INSD_IbEEEENSA_11use_defaultESO_EENS0_5tupleIJSF_S6_EEENSQ_IJSG_SG_EEES6_PlJS6_EEE10hipError_tPvRmT3_T4_T5_T6_T7_T9_mT8_P12ihipStream_tbDpT10_ENKUlT_T0_E_clISt17integral_constantIbLb0EES1D_EEDaS18_S19_EUlS18_E_NS1_11comp_targetILNS1_3genE2ELNS1_11target_archE906ELNS1_3gpuE6ELNS1_3repE0EEENS1_30default_config_static_selectorELNS0_4arch9wavefront6targetE0EEEvT1_, .Lfunc_end2465-_ZN7rocprim17ROCPRIM_400000_NS6detail17trampoline_kernelINS0_14default_configENS1_25partition_config_selectorILNS1_17partition_subalgoE5EtNS0_10empty_typeEbEEZZNS1_14partition_implILS5_5ELb0ES3_mN6thrust23THRUST_200600_302600_NS6detail15normal_iteratorINSA_10device_ptrItEEEEPS6_NSA_18transform_iteratorINSB_9not_fun_tI7is_trueItEEENSC_INSD_IbEEEENSA_11use_defaultESO_EENS0_5tupleIJSF_S6_EEENSQ_IJSG_SG_EEES6_PlJS6_EEE10hipError_tPvRmT3_T4_T5_T6_T7_T9_mT8_P12ihipStream_tbDpT10_ENKUlT_T0_E_clISt17integral_constantIbLb0EES1D_EEDaS18_S19_EUlS18_E_NS1_11comp_targetILNS1_3genE2ELNS1_11target_archE906ELNS1_3gpuE6ELNS1_3repE0EEENS1_30default_config_static_selectorELNS0_4arch9wavefront6targetE0EEEvT1_
                                        ; -- End function
	.set _ZN7rocprim17ROCPRIM_400000_NS6detail17trampoline_kernelINS0_14default_configENS1_25partition_config_selectorILNS1_17partition_subalgoE5EtNS0_10empty_typeEbEEZZNS1_14partition_implILS5_5ELb0ES3_mN6thrust23THRUST_200600_302600_NS6detail15normal_iteratorINSA_10device_ptrItEEEEPS6_NSA_18transform_iteratorINSB_9not_fun_tI7is_trueItEEENSC_INSD_IbEEEENSA_11use_defaultESO_EENS0_5tupleIJSF_S6_EEENSQ_IJSG_SG_EEES6_PlJS6_EEE10hipError_tPvRmT3_T4_T5_T6_T7_T9_mT8_P12ihipStream_tbDpT10_ENKUlT_T0_E_clISt17integral_constantIbLb0EES1D_EEDaS18_S19_EUlS18_E_NS1_11comp_targetILNS1_3genE2ELNS1_11target_archE906ELNS1_3gpuE6ELNS1_3repE0EEENS1_30default_config_static_selectorELNS0_4arch9wavefront6targetE0EEEvT1_.num_vgpr, 0
	.set _ZN7rocprim17ROCPRIM_400000_NS6detail17trampoline_kernelINS0_14default_configENS1_25partition_config_selectorILNS1_17partition_subalgoE5EtNS0_10empty_typeEbEEZZNS1_14partition_implILS5_5ELb0ES3_mN6thrust23THRUST_200600_302600_NS6detail15normal_iteratorINSA_10device_ptrItEEEEPS6_NSA_18transform_iteratorINSB_9not_fun_tI7is_trueItEEENSC_INSD_IbEEEENSA_11use_defaultESO_EENS0_5tupleIJSF_S6_EEENSQ_IJSG_SG_EEES6_PlJS6_EEE10hipError_tPvRmT3_T4_T5_T6_T7_T9_mT8_P12ihipStream_tbDpT10_ENKUlT_T0_E_clISt17integral_constantIbLb0EES1D_EEDaS18_S19_EUlS18_E_NS1_11comp_targetILNS1_3genE2ELNS1_11target_archE906ELNS1_3gpuE6ELNS1_3repE0EEENS1_30default_config_static_selectorELNS0_4arch9wavefront6targetE0EEEvT1_.num_agpr, 0
	.set _ZN7rocprim17ROCPRIM_400000_NS6detail17trampoline_kernelINS0_14default_configENS1_25partition_config_selectorILNS1_17partition_subalgoE5EtNS0_10empty_typeEbEEZZNS1_14partition_implILS5_5ELb0ES3_mN6thrust23THRUST_200600_302600_NS6detail15normal_iteratorINSA_10device_ptrItEEEEPS6_NSA_18transform_iteratorINSB_9not_fun_tI7is_trueItEEENSC_INSD_IbEEEENSA_11use_defaultESO_EENS0_5tupleIJSF_S6_EEENSQ_IJSG_SG_EEES6_PlJS6_EEE10hipError_tPvRmT3_T4_T5_T6_T7_T9_mT8_P12ihipStream_tbDpT10_ENKUlT_T0_E_clISt17integral_constantIbLb0EES1D_EEDaS18_S19_EUlS18_E_NS1_11comp_targetILNS1_3genE2ELNS1_11target_archE906ELNS1_3gpuE6ELNS1_3repE0EEENS1_30default_config_static_selectorELNS0_4arch9wavefront6targetE0EEEvT1_.numbered_sgpr, 0
	.set _ZN7rocprim17ROCPRIM_400000_NS6detail17trampoline_kernelINS0_14default_configENS1_25partition_config_selectorILNS1_17partition_subalgoE5EtNS0_10empty_typeEbEEZZNS1_14partition_implILS5_5ELb0ES3_mN6thrust23THRUST_200600_302600_NS6detail15normal_iteratorINSA_10device_ptrItEEEEPS6_NSA_18transform_iteratorINSB_9not_fun_tI7is_trueItEEENSC_INSD_IbEEEENSA_11use_defaultESO_EENS0_5tupleIJSF_S6_EEENSQ_IJSG_SG_EEES6_PlJS6_EEE10hipError_tPvRmT3_T4_T5_T6_T7_T9_mT8_P12ihipStream_tbDpT10_ENKUlT_T0_E_clISt17integral_constantIbLb0EES1D_EEDaS18_S19_EUlS18_E_NS1_11comp_targetILNS1_3genE2ELNS1_11target_archE906ELNS1_3gpuE6ELNS1_3repE0EEENS1_30default_config_static_selectorELNS0_4arch9wavefront6targetE0EEEvT1_.num_named_barrier, 0
	.set _ZN7rocprim17ROCPRIM_400000_NS6detail17trampoline_kernelINS0_14default_configENS1_25partition_config_selectorILNS1_17partition_subalgoE5EtNS0_10empty_typeEbEEZZNS1_14partition_implILS5_5ELb0ES3_mN6thrust23THRUST_200600_302600_NS6detail15normal_iteratorINSA_10device_ptrItEEEEPS6_NSA_18transform_iteratorINSB_9not_fun_tI7is_trueItEEENSC_INSD_IbEEEENSA_11use_defaultESO_EENS0_5tupleIJSF_S6_EEENSQ_IJSG_SG_EEES6_PlJS6_EEE10hipError_tPvRmT3_T4_T5_T6_T7_T9_mT8_P12ihipStream_tbDpT10_ENKUlT_T0_E_clISt17integral_constantIbLb0EES1D_EEDaS18_S19_EUlS18_E_NS1_11comp_targetILNS1_3genE2ELNS1_11target_archE906ELNS1_3gpuE6ELNS1_3repE0EEENS1_30default_config_static_selectorELNS0_4arch9wavefront6targetE0EEEvT1_.private_seg_size, 0
	.set _ZN7rocprim17ROCPRIM_400000_NS6detail17trampoline_kernelINS0_14default_configENS1_25partition_config_selectorILNS1_17partition_subalgoE5EtNS0_10empty_typeEbEEZZNS1_14partition_implILS5_5ELb0ES3_mN6thrust23THRUST_200600_302600_NS6detail15normal_iteratorINSA_10device_ptrItEEEEPS6_NSA_18transform_iteratorINSB_9not_fun_tI7is_trueItEEENSC_INSD_IbEEEENSA_11use_defaultESO_EENS0_5tupleIJSF_S6_EEENSQ_IJSG_SG_EEES6_PlJS6_EEE10hipError_tPvRmT3_T4_T5_T6_T7_T9_mT8_P12ihipStream_tbDpT10_ENKUlT_T0_E_clISt17integral_constantIbLb0EES1D_EEDaS18_S19_EUlS18_E_NS1_11comp_targetILNS1_3genE2ELNS1_11target_archE906ELNS1_3gpuE6ELNS1_3repE0EEENS1_30default_config_static_selectorELNS0_4arch9wavefront6targetE0EEEvT1_.uses_vcc, 0
	.set _ZN7rocprim17ROCPRIM_400000_NS6detail17trampoline_kernelINS0_14default_configENS1_25partition_config_selectorILNS1_17partition_subalgoE5EtNS0_10empty_typeEbEEZZNS1_14partition_implILS5_5ELb0ES3_mN6thrust23THRUST_200600_302600_NS6detail15normal_iteratorINSA_10device_ptrItEEEEPS6_NSA_18transform_iteratorINSB_9not_fun_tI7is_trueItEEENSC_INSD_IbEEEENSA_11use_defaultESO_EENS0_5tupleIJSF_S6_EEENSQ_IJSG_SG_EEES6_PlJS6_EEE10hipError_tPvRmT3_T4_T5_T6_T7_T9_mT8_P12ihipStream_tbDpT10_ENKUlT_T0_E_clISt17integral_constantIbLb0EES1D_EEDaS18_S19_EUlS18_E_NS1_11comp_targetILNS1_3genE2ELNS1_11target_archE906ELNS1_3gpuE6ELNS1_3repE0EEENS1_30default_config_static_selectorELNS0_4arch9wavefront6targetE0EEEvT1_.uses_flat_scratch, 0
	.set _ZN7rocprim17ROCPRIM_400000_NS6detail17trampoline_kernelINS0_14default_configENS1_25partition_config_selectorILNS1_17partition_subalgoE5EtNS0_10empty_typeEbEEZZNS1_14partition_implILS5_5ELb0ES3_mN6thrust23THRUST_200600_302600_NS6detail15normal_iteratorINSA_10device_ptrItEEEEPS6_NSA_18transform_iteratorINSB_9not_fun_tI7is_trueItEEENSC_INSD_IbEEEENSA_11use_defaultESO_EENS0_5tupleIJSF_S6_EEENSQ_IJSG_SG_EEES6_PlJS6_EEE10hipError_tPvRmT3_T4_T5_T6_T7_T9_mT8_P12ihipStream_tbDpT10_ENKUlT_T0_E_clISt17integral_constantIbLb0EES1D_EEDaS18_S19_EUlS18_E_NS1_11comp_targetILNS1_3genE2ELNS1_11target_archE906ELNS1_3gpuE6ELNS1_3repE0EEENS1_30default_config_static_selectorELNS0_4arch9wavefront6targetE0EEEvT1_.has_dyn_sized_stack, 0
	.set _ZN7rocprim17ROCPRIM_400000_NS6detail17trampoline_kernelINS0_14default_configENS1_25partition_config_selectorILNS1_17partition_subalgoE5EtNS0_10empty_typeEbEEZZNS1_14partition_implILS5_5ELb0ES3_mN6thrust23THRUST_200600_302600_NS6detail15normal_iteratorINSA_10device_ptrItEEEEPS6_NSA_18transform_iteratorINSB_9not_fun_tI7is_trueItEEENSC_INSD_IbEEEENSA_11use_defaultESO_EENS0_5tupleIJSF_S6_EEENSQ_IJSG_SG_EEES6_PlJS6_EEE10hipError_tPvRmT3_T4_T5_T6_T7_T9_mT8_P12ihipStream_tbDpT10_ENKUlT_T0_E_clISt17integral_constantIbLb0EES1D_EEDaS18_S19_EUlS18_E_NS1_11comp_targetILNS1_3genE2ELNS1_11target_archE906ELNS1_3gpuE6ELNS1_3repE0EEENS1_30default_config_static_selectorELNS0_4arch9wavefront6targetE0EEEvT1_.has_recursion, 0
	.set _ZN7rocprim17ROCPRIM_400000_NS6detail17trampoline_kernelINS0_14default_configENS1_25partition_config_selectorILNS1_17partition_subalgoE5EtNS0_10empty_typeEbEEZZNS1_14partition_implILS5_5ELb0ES3_mN6thrust23THRUST_200600_302600_NS6detail15normal_iteratorINSA_10device_ptrItEEEEPS6_NSA_18transform_iteratorINSB_9not_fun_tI7is_trueItEEENSC_INSD_IbEEEENSA_11use_defaultESO_EENS0_5tupleIJSF_S6_EEENSQ_IJSG_SG_EEES6_PlJS6_EEE10hipError_tPvRmT3_T4_T5_T6_T7_T9_mT8_P12ihipStream_tbDpT10_ENKUlT_T0_E_clISt17integral_constantIbLb0EES1D_EEDaS18_S19_EUlS18_E_NS1_11comp_targetILNS1_3genE2ELNS1_11target_archE906ELNS1_3gpuE6ELNS1_3repE0EEENS1_30default_config_static_selectorELNS0_4arch9wavefront6targetE0EEEvT1_.has_indirect_call, 0
	.section	.AMDGPU.csdata,"",@progbits
; Kernel info:
; codeLenInByte = 0
; TotalNumSgprs: 0
; NumVgprs: 0
; ScratchSize: 0
; MemoryBound: 0
; FloatMode: 240
; IeeeMode: 1
; LDSByteSize: 0 bytes/workgroup (compile time only)
; SGPRBlocks: 0
; VGPRBlocks: 0
; NumSGPRsForWavesPerEU: 1
; NumVGPRsForWavesPerEU: 1
; Occupancy: 16
; WaveLimiterHint : 0
; COMPUTE_PGM_RSRC2:SCRATCH_EN: 0
; COMPUTE_PGM_RSRC2:USER_SGPR: 2
; COMPUTE_PGM_RSRC2:TRAP_HANDLER: 0
; COMPUTE_PGM_RSRC2:TGID_X_EN: 1
; COMPUTE_PGM_RSRC2:TGID_Y_EN: 0
; COMPUTE_PGM_RSRC2:TGID_Z_EN: 0
; COMPUTE_PGM_RSRC2:TIDIG_COMP_CNT: 0
	.section	.text._ZN7rocprim17ROCPRIM_400000_NS6detail17trampoline_kernelINS0_14default_configENS1_25partition_config_selectorILNS1_17partition_subalgoE5EtNS0_10empty_typeEbEEZZNS1_14partition_implILS5_5ELb0ES3_mN6thrust23THRUST_200600_302600_NS6detail15normal_iteratorINSA_10device_ptrItEEEEPS6_NSA_18transform_iteratorINSB_9not_fun_tI7is_trueItEEENSC_INSD_IbEEEENSA_11use_defaultESO_EENS0_5tupleIJSF_S6_EEENSQ_IJSG_SG_EEES6_PlJS6_EEE10hipError_tPvRmT3_T4_T5_T6_T7_T9_mT8_P12ihipStream_tbDpT10_ENKUlT_T0_E_clISt17integral_constantIbLb0EES1D_EEDaS18_S19_EUlS18_E_NS1_11comp_targetILNS1_3genE10ELNS1_11target_archE1200ELNS1_3gpuE4ELNS1_3repE0EEENS1_30default_config_static_selectorELNS0_4arch9wavefront6targetE0EEEvT1_,"axG",@progbits,_ZN7rocprim17ROCPRIM_400000_NS6detail17trampoline_kernelINS0_14default_configENS1_25partition_config_selectorILNS1_17partition_subalgoE5EtNS0_10empty_typeEbEEZZNS1_14partition_implILS5_5ELb0ES3_mN6thrust23THRUST_200600_302600_NS6detail15normal_iteratorINSA_10device_ptrItEEEEPS6_NSA_18transform_iteratorINSB_9not_fun_tI7is_trueItEEENSC_INSD_IbEEEENSA_11use_defaultESO_EENS0_5tupleIJSF_S6_EEENSQ_IJSG_SG_EEES6_PlJS6_EEE10hipError_tPvRmT3_T4_T5_T6_T7_T9_mT8_P12ihipStream_tbDpT10_ENKUlT_T0_E_clISt17integral_constantIbLb0EES1D_EEDaS18_S19_EUlS18_E_NS1_11comp_targetILNS1_3genE10ELNS1_11target_archE1200ELNS1_3gpuE4ELNS1_3repE0EEENS1_30default_config_static_selectorELNS0_4arch9wavefront6targetE0EEEvT1_,comdat
	.protected	_ZN7rocprim17ROCPRIM_400000_NS6detail17trampoline_kernelINS0_14default_configENS1_25partition_config_selectorILNS1_17partition_subalgoE5EtNS0_10empty_typeEbEEZZNS1_14partition_implILS5_5ELb0ES3_mN6thrust23THRUST_200600_302600_NS6detail15normal_iteratorINSA_10device_ptrItEEEEPS6_NSA_18transform_iteratorINSB_9not_fun_tI7is_trueItEEENSC_INSD_IbEEEENSA_11use_defaultESO_EENS0_5tupleIJSF_S6_EEENSQ_IJSG_SG_EEES6_PlJS6_EEE10hipError_tPvRmT3_T4_T5_T6_T7_T9_mT8_P12ihipStream_tbDpT10_ENKUlT_T0_E_clISt17integral_constantIbLb0EES1D_EEDaS18_S19_EUlS18_E_NS1_11comp_targetILNS1_3genE10ELNS1_11target_archE1200ELNS1_3gpuE4ELNS1_3repE0EEENS1_30default_config_static_selectorELNS0_4arch9wavefront6targetE0EEEvT1_ ; -- Begin function _ZN7rocprim17ROCPRIM_400000_NS6detail17trampoline_kernelINS0_14default_configENS1_25partition_config_selectorILNS1_17partition_subalgoE5EtNS0_10empty_typeEbEEZZNS1_14partition_implILS5_5ELb0ES3_mN6thrust23THRUST_200600_302600_NS6detail15normal_iteratorINSA_10device_ptrItEEEEPS6_NSA_18transform_iteratorINSB_9not_fun_tI7is_trueItEEENSC_INSD_IbEEEENSA_11use_defaultESO_EENS0_5tupleIJSF_S6_EEENSQ_IJSG_SG_EEES6_PlJS6_EEE10hipError_tPvRmT3_T4_T5_T6_T7_T9_mT8_P12ihipStream_tbDpT10_ENKUlT_T0_E_clISt17integral_constantIbLb0EES1D_EEDaS18_S19_EUlS18_E_NS1_11comp_targetILNS1_3genE10ELNS1_11target_archE1200ELNS1_3gpuE4ELNS1_3repE0EEENS1_30default_config_static_selectorELNS0_4arch9wavefront6targetE0EEEvT1_
	.globl	_ZN7rocprim17ROCPRIM_400000_NS6detail17trampoline_kernelINS0_14default_configENS1_25partition_config_selectorILNS1_17partition_subalgoE5EtNS0_10empty_typeEbEEZZNS1_14partition_implILS5_5ELb0ES3_mN6thrust23THRUST_200600_302600_NS6detail15normal_iteratorINSA_10device_ptrItEEEEPS6_NSA_18transform_iteratorINSB_9not_fun_tI7is_trueItEEENSC_INSD_IbEEEENSA_11use_defaultESO_EENS0_5tupleIJSF_S6_EEENSQ_IJSG_SG_EEES6_PlJS6_EEE10hipError_tPvRmT3_T4_T5_T6_T7_T9_mT8_P12ihipStream_tbDpT10_ENKUlT_T0_E_clISt17integral_constantIbLb0EES1D_EEDaS18_S19_EUlS18_E_NS1_11comp_targetILNS1_3genE10ELNS1_11target_archE1200ELNS1_3gpuE4ELNS1_3repE0EEENS1_30default_config_static_selectorELNS0_4arch9wavefront6targetE0EEEvT1_
	.p2align	8
	.type	_ZN7rocprim17ROCPRIM_400000_NS6detail17trampoline_kernelINS0_14default_configENS1_25partition_config_selectorILNS1_17partition_subalgoE5EtNS0_10empty_typeEbEEZZNS1_14partition_implILS5_5ELb0ES3_mN6thrust23THRUST_200600_302600_NS6detail15normal_iteratorINSA_10device_ptrItEEEEPS6_NSA_18transform_iteratorINSB_9not_fun_tI7is_trueItEEENSC_INSD_IbEEEENSA_11use_defaultESO_EENS0_5tupleIJSF_S6_EEENSQ_IJSG_SG_EEES6_PlJS6_EEE10hipError_tPvRmT3_T4_T5_T6_T7_T9_mT8_P12ihipStream_tbDpT10_ENKUlT_T0_E_clISt17integral_constantIbLb0EES1D_EEDaS18_S19_EUlS18_E_NS1_11comp_targetILNS1_3genE10ELNS1_11target_archE1200ELNS1_3gpuE4ELNS1_3repE0EEENS1_30default_config_static_selectorELNS0_4arch9wavefront6targetE0EEEvT1_,@function
_ZN7rocprim17ROCPRIM_400000_NS6detail17trampoline_kernelINS0_14default_configENS1_25partition_config_selectorILNS1_17partition_subalgoE5EtNS0_10empty_typeEbEEZZNS1_14partition_implILS5_5ELb0ES3_mN6thrust23THRUST_200600_302600_NS6detail15normal_iteratorINSA_10device_ptrItEEEEPS6_NSA_18transform_iteratorINSB_9not_fun_tI7is_trueItEEENSC_INSD_IbEEEENSA_11use_defaultESO_EENS0_5tupleIJSF_S6_EEENSQ_IJSG_SG_EEES6_PlJS6_EEE10hipError_tPvRmT3_T4_T5_T6_T7_T9_mT8_P12ihipStream_tbDpT10_ENKUlT_T0_E_clISt17integral_constantIbLb0EES1D_EEDaS18_S19_EUlS18_E_NS1_11comp_targetILNS1_3genE10ELNS1_11target_archE1200ELNS1_3gpuE4ELNS1_3repE0EEENS1_30default_config_static_selectorELNS0_4arch9wavefront6targetE0EEEvT1_: ; @_ZN7rocprim17ROCPRIM_400000_NS6detail17trampoline_kernelINS0_14default_configENS1_25partition_config_selectorILNS1_17partition_subalgoE5EtNS0_10empty_typeEbEEZZNS1_14partition_implILS5_5ELb0ES3_mN6thrust23THRUST_200600_302600_NS6detail15normal_iteratorINSA_10device_ptrItEEEEPS6_NSA_18transform_iteratorINSB_9not_fun_tI7is_trueItEEENSC_INSD_IbEEEENSA_11use_defaultESO_EENS0_5tupleIJSF_S6_EEENSQ_IJSG_SG_EEES6_PlJS6_EEE10hipError_tPvRmT3_T4_T5_T6_T7_T9_mT8_P12ihipStream_tbDpT10_ENKUlT_T0_E_clISt17integral_constantIbLb0EES1D_EEDaS18_S19_EUlS18_E_NS1_11comp_targetILNS1_3genE10ELNS1_11target_archE1200ELNS1_3gpuE4ELNS1_3repE0EEENS1_30default_config_static_selectorELNS0_4arch9wavefront6targetE0EEEvT1_
; %bb.0:
	s_clause 0x3
	s_load_b128 s[4:7], s[0:1], 0x8
	s_load_b128 s[8:11], s[0:1], 0x48
	s_load_b32 s16, s[0:1], 0x70
	s_load_b64 s[2:3], s[0:1], 0x58
	s_mov_b32 s13, 0
	s_mul_i32 s19, ttmp9, 0xc00
	v_lshlrev_b32_e32 v9, 1, v0
	s_wait_kmcnt 0x0
	s_lshl_b64 s[14:15], s[6:7], 1
	s_load_b64 s[10:11], s[10:11], 0x0
	s_mul_i32 s12, s16, 0xc00
	s_add_co_i32 s20, s16, -1
	s_add_co_i32 s18, s12, s6
	s_add_nc_u64 s[16:17], s[6:7], s[12:13]
	s_sub_co_i32 s18, s2, s18
	v_cmp_le_u64_e64 s2, s[2:3], s[16:17]
	s_addk_co_i32 s18, 0xc00
	s_cmp_eq_u32 ttmp9, s20
	s_mov_b32 s12, s19
	s_cselect_b32 s16, -1, 0
	s_add_nc_u64 s[4:5], s[4:5], s[14:15]
	s_wait_alu 0xfffe
	s_and_b32 s2, s16, s2
	s_lshl_b64 s[14:15], s[12:13], 1
	s_wait_alu 0xfffe
	s_xor_b32 s17, s2, -1
	s_mov_b32 s3, -1
	s_wait_alu 0xfffe
	s_and_b32 vcc_lo, exec_lo, s17
	s_add_nc_u64 s[4:5], s[4:5], s[14:15]
	s_cbranch_vccz .LBB2466_2
; %bb.1:
	v_add_co_u32 v1, s2, s4, v9
	s_wait_alu 0xf1ff
	v_add_co_ci_u32_e64 v2, null, s5, 0, s2
	s_mov_b32 s3, s13
	s_clause 0xb
	flat_load_u16 v3, v[1:2]
	flat_load_u16 v4, v[1:2] offset:512
	flat_load_u16 v5, v[1:2] offset:1024
	;; [unrolled: 1-line block ×11, first 2 shown]
	s_wait_loadcnt_dscnt 0xb0b
	ds_store_b16 v9, v3
	s_wait_loadcnt_dscnt 0xa0b
	ds_store_b16 v9, v4 offset:512
	s_wait_loadcnt_dscnt 0x90b
	ds_store_b16 v9, v5 offset:1024
	;; [unrolled: 2-line block ×11, first 2 shown]
	s_wait_dscnt 0x0
	s_barrier_signal -1
	s_barrier_wait -1
.LBB2466_2:
	s_load_b64 s[14:15], s[0:1], 0x20
	v_cmp_gt_u32_e64 s2, s18, v0
	s_and_not1_b32 vcc_lo, exec_lo, s3
	s_cbranch_vccnz .LBB2466_28
; %bb.3:
	v_mov_b32_e32 v1, 0
	s_delay_alu instid0(VALU_DEP_1)
	v_dual_mov_b32 v2, v1 :: v_dual_mov_b32 v3, v1
	v_dual_mov_b32 v4, v1 :: v_dual_mov_b32 v5, v1
	v_mov_b32_e32 v6, v1
	s_and_saveexec_b32 s3, s2
	s_cbranch_execz .LBB2466_5
; %bb.4:
	v_add_co_u32 v3, s2, s4, v9
	s_wait_alu 0xf1ff
	v_add_co_ci_u32_e64 v4, null, s5, 0, s2
	v_mov_b32_e32 v2, v1
	v_dual_mov_b32 v6, v1 :: v_dual_mov_b32 v7, v1
	v_mov_b32_e32 v5, v1
	flat_load_d16_b16 v2, v[3:4]
	v_dual_mov_b32 v3, v1 :: v_dual_mov_b32 v4, v1
	s_wait_loadcnt_dscnt 0x0
	v_mov_b32_e32 v1, v2
	s_delay_alu instid0(VALU_DEP_2) | instskip(NEXT) | instid1(VALU_DEP_3)
	v_mov_b32_e32 v2, v3
	v_mov_b32_e32 v3, v4
	;; [unrolled: 1-line block ×7, first 2 shown]
.LBB2466_5:
	s_wait_alu 0xfffe
	s_or_b32 exec_lo, exec_lo, s3
	v_or_b32_e32 v7, 0x100, v0
	s_mov_b32 s2, exec_lo
	s_delay_alu instid0(VALU_DEP_1)
	v_cmpx_gt_u32_e64 s18, v7
	s_cbranch_execz .LBB2466_7
; %bb.6:
	v_add_co_u32 v7, s3, s4, v9
	s_wait_alu 0xf1ff
	v_add_co_ci_u32_e64 v8, null, s5, 0, s3
	flat_load_d16_hi_b16 v1, v[7:8] offset:512
.LBB2466_7:
	s_wait_alu 0xfffe
	s_or_b32 exec_lo, exec_lo, s2
	v_or_b32_e32 v7, 0x200, v0
	s_mov_b32 s2, exec_lo
	s_delay_alu instid0(VALU_DEP_1)
	v_cmpx_gt_u32_e64 s18, v7
	s_cbranch_execz .LBB2466_9
; %bb.8:
	v_add_co_u32 v7, s3, s4, v9
	s_wait_alu 0xf1ff
	v_add_co_ci_u32_e64 v8, null, s5, 0, s3
	flat_load_d16_b16 v2, v[7:8] offset:1024
.LBB2466_9:
	s_wait_alu 0xfffe
	s_or_b32 exec_lo, exec_lo, s2
	v_or_b32_e32 v7, 0x300, v0
	s_mov_b32 s2, exec_lo
	s_delay_alu instid0(VALU_DEP_1)
	v_cmpx_gt_u32_e64 s18, v7
	s_cbranch_execz .LBB2466_11
; %bb.10:
	v_add_co_u32 v7, s3, s4, v9
	s_wait_alu 0xf1ff
	v_add_co_ci_u32_e64 v8, null, s5, 0, s3
	s_wait_loadcnt_dscnt 0x0
	flat_load_d16_hi_b16 v2, v[7:8] offset:1536
.LBB2466_11:
	s_wait_alu 0xfffe
	s_or_b32 exec_lo, exec_lo, s2
	v_or_b32_e32 v7, 0x400, v0
	s_mov_b32 s2, exec_lo
	s_delay_alu instid0(VALU_DEP_1)
	v_cmpx_gt_u32_e64 s18, v7
	s_cbranch_execz .LBB2466_13
; %bb.12:
	v_add_co_u32 v7, s3, s4, v9
	s_wait_alu 0xf1ff
	v_add_co_ci_u32_e64 v8, null, s5, 0, s3
	flat_load_d16_b16 v3, v[7:8] offset:2048
.LBB2466_13:
	s_wait_alu 0xfffe
	s_or_b32 exec_lo, exec_lo, s2
	v_or_b32_e32 v7, 0x500, v0
	s_mov_b32 s2, exec_lo
	s_delay_alu instid0(VALU_DEP_1)
	v_cmpx_gt_u32_e64 s18, v7
	s_cbranch_execz .LBB2466_15
; %bb.14:
	v_add_co_u32 v7, s3, s4, v9
	s_wait_alu 0xf1ff
	v_add_co_ci_u32_e64 v8, null, s5, 0, s3
	s_wait_loadcnt_dscnt 0x0
	flat_load_d16_hi_b16 v3, v[7:8] offset:2560
.LBB2466_15:
	;; [unrolled: 27-line block ×5, first 2 shown]
	s_wait_alu 0xfffe
	s_or_b32 exec_lo, exec_lo, s2
	s_wait_loadcnt_dscnt 0x0
	ds_store_b16 v9, v1
	ds_store_b16_d16_hi v9, v1 offset:512
	ds_store_b16 v9, v2 offset:1024
	ds_store_b16_d16_hi v9, v2 offset:1536
	ds_store_b16 v9, v3 offset:2048
	ds_store_b16_d16_hi v9, v3 offset:2560
	ds_store_b16 v9, v4 offset:3072
	ds_store_b16_d16_hi v9, v4 offset:3584
	ds_store_b16 v9, v5 offset:4096
	ds_store_b16_d16_hi v9, v5 offset:4608
	ds_store_b16 v9, v6 offset:5120
	ds_store_b16_d16_hi v9, v6 offset:5632
	s_wait_dscnt 0x0
	s_barrier_signal -1
	s_barrier_wait -1
.LBB2466_28:
	v_mul_u32_u24_e32 v51, 12, v0
	global_inv scope:SCOPE_SE
	s_wait_kmcnt 0x0
	s_add_nc_u64 s[2:3], s[14:15], s[6:7]
	s_and_b32 vcc_lo, exec_lo, s17
	s_wait_alu 0xfffe
	s_add_nc_u64 s[2:3], s[2:3], s[12:13]
	v_lshlrev_b32_e32 v1, 1, v51
	s_mov_b32 s4, -1
	ds_load_2addr_b64 v[33:36], v1 offset1:1
	ds_load_b64 v[41:42], v1 offset:16
	s_wait_loadcnt_dscnt 0x0
	s_barrier_signal -1
	s_barrier_wait -1
	global_inv scope:SCOPE_SE
	s_cbranch_vccz .LBB2466_30
; %bb.29:
	s_clause 0xb
	global_load_u8 v1, v0, s[2:3]
	global_load_u8 v2, v0, s[2:3] offset:256
	global_load_u8 v3, v0, s[2:3] offset:512
	;; [unrolled: 1-line block ×11, first 2 shown]
	s_mov_b32 s4, 0
	s_wait_loadcnt 0xb
	v_xor_b32_e32 v1, 1, v1
	s_wait_loadcnt 0xa
	v_xor_b32_e32 v2, 1, v2
	;; [unrolled: 2-line block ×12, first 2 shown]
	ds_store_b8 v0, v1
	ds_store_b8 v0, v2 offset:256
	ds_store_b8 v0, v3 offset:512
	;; [unrolled: 1-line block ×11, first 2 shown]
	s_wait_dscnt 0x0
	s_barrier_signal -1
	s_barrier_wait -1
.LBB2466_30:
	s_wait_alu 0xfffe
	s_and_not1_b32 vcc_lo, exec_lo, s4
	s_cbranch_vccnz .LBB2466_56
; %bb.31:
	v_mov_b32_e32 v3, 0
	s_mov_b32 s4, exec_lo
	s_delay_alu instid0(VALU_DEP_1)
	v_dual_mov_b32 v1, v3 :: v_dual_mov_b32 v2, v3
	v_mov_b32_e32 v4, v3
	v_cmpx_gt_u32_e64 s18, v0
	s_cbranch_execz .LBB2466_33
; %bb.32:
	global_load_u8 v1, v0, s[2:3]
	s_wait_loadcnt 0x0
	v_xor_b32_e32 v4, 1, v1
	s_delay_alu instid0(VALU_DEP_1) | instskip(NEXT) | instid1(VALU_DEP_1)
	v_dual_mov_b32 v1, 0 :: v_dual_and_b32 v2, 1, v4
	v_dual_mov_b32 v2, v1 :: v_dual_and_b32 v3, 0xffff, v2
.LBB2466_33:
	s_wait_alu 0xfffe
	s_or_b32 exec_lo, exec_lo, s4
	v_or_b32_e32 v5, 0x100, v0
	s_mov_b32 s4, exec_lo
	s_delay_alu instid0(VALU_DEP_1)
	v_cmpx_gt_u32_e64 s18, v5
	s_cbranch_execz .LBB2466_35
; %bb.34:
	global_load_u8 v5, v0, s[2:3] offset:256
	v_and_b32_e32 v6, 0xff, v3
	s_wait_loadcnt 0x0
	v_xor_b32_e32 v5, 1, v5
	s_delay_alu instid0(VALU_DEP_1) | instskip(NEXT) | instid1(VALU_DEP_1)
	v_lshlrev_b16 v5, 8, v5
	v_or_b32_e32 v5, v6, v5
	s_delay_alu instid0(VALU_DEP_1) | instskip(NEXT) | instid1(VALU_DEP_1)
	v_and_b32_e32 v5, 0xffff, v5
	v_and_or_b32 v3, 0xffff0000, v3, v5
.LBB2466_35:
	s_wait_alu 0xfffe
	s_or_b32 exec_lo, exec_lo, s4
	v_or_b32_e32 v5, 0x200, v0
	s_mov_b32 s4, exec_lo
	s_delay_alu instid0(VALU_DEP_1)
	v_cmpx_gt_u32_e64 s18, v5
	s_cbranch_execz .LBB2466_37
; %bb.36:
	global_load_u8 v5, v0, s[2:3] offset:512
	v_lshrrev_b32_e32 v6, 16, v3
	s_delay_alu instid0(VALU_DEP_1) | instskip(SKIP_2) | instid1(VALU_DEP_1)
	v_and_b32_e32 v6, 0xffffff00, v6
	s_wait_loadcnt 0x0
	v_xor_b32_e32 v5, 1, v5
	v_or_b32_e32 v5, v5, v6
	s_delay_alu instid0(VALU_DEP_1) | instskip(NEXT) | instid1(VALU_DEP_1)
	v_lshlrev_b32_e32 v5, 16, v5
	v_and_or_b32 v3, 0xffff, v3, v5
.LBB2466_37:
	s_wait_alu 0xfffe
	s_or_b32 exec_lo, exec_lo, s4
	v_or_b32_e32 v5, 0x300, v0
	s_mov_b32 s4, exec_lo
	s_delay_alu instid0(VALU_DEP_1)
	v_cmpx_gt_u32_e64 s18, v5
	s_cbranch_execz .LBB2466_39
; %bb.38:
	global_load_u8 v5, v0, s[2:3] offset:768
	v_lshrrev_b32_e32 v6, 16, v3
	s_delay_alu instid0(VALU_DEP_1) | instskip(SKIP_2) | instid1(VALU_DEP_1)
	v_and_b32_e32 v6, 0xff, v6
	s_wait_loadcnt 0x0
	v_xor_b32_e32 v5, 1, v5
	v_lshlrev_b16 v5, 8, v5
	s_delay_alu instid0(VALU_DEP_1) | instskip(NEXT) | instid1(VALU_DEP_1)
	v_or_b32_e32 v5, v6, v5
	v_lshlrev_b32_e32 v5, 16, v5
	s_delay_alu instid0(VALU_DEP_1)
	v_and_or_b32 v3, 0xffff, v3, v5
.LBB2466_39:
	s_wait_alu 0xfffe
	s_or_b32 exec_lo, exec_lo, s4
	v_or_b32_e32 v5, 0x400, v0
	s_mov_b32 s4, exec_lo
	s_delay_alu instid0(VALU_DEP_1)
	v_cmpx_gt_u32_e64 s18, v5
	s_cbranch_execz .LBB2466_41
; %bb.40:
	global_load_u8 v5, v0, s[2:3] offset:1024
	v_and_b32_e32 v6, 0xffffff00, v1
	s_wait_loadcnt 0x0
	v_xor_b32_e32 v5, 1, v5
	s_delay_alu instid0(VALU_DEP_1) | instskip(NEXT) | instid1(VALU_DEP_1)
	v_or_b32_e32 v5, v5, v6
	v_and_b32_e32 v5, 0xffff, v5
	s_delay_alu instid0(VALU_DEP_1)
	v_and_or_b32 v1, 0xffff0000, v1, v5
.LBB2466_41:
	s_wait_alu 0xfffe
	s_or_b32 exec_lo, exec_lo, s4
	v_or_b32_e32 v5, 0x500, v0
	s_mov_b32 s4, exec_lo
	s_delay_alu instid0(VALU_DEP_1)
	v_cmpx_gt_u32_e64 s18, v5
	s_cbranch_execz .LBB2466_43
; %bb.42:
	global_load_u8 v5, v0, s[2:3] offset:1280
	v_and_b32_e32 v6, 0xff, v1
	s_wait_loadcnt 0x0
	v_xor_b32_e32 v5, 1, v5
	s_delay_alu instid0(VALU_DEP_1) | instskip(NEXT) | instid1(VALU_DEP_1)
	v_lshlrev_b16 v5, 8, v5
	v_or_b32_e32 v5, v6, v5
	s_delay_alu instid0(VALU_DEP_1) | instskip(NEXT) | instid1(VALU_DEP_1)
	v_and_b32_e32 v5, 0xffff, v5
	v_and_or_b32 v1, 0xffff0000, v1, v5
.LBB2466_43:
	s_wait_alu 0xfffe
	s_or_b32 exec_lo, exec_lo, s4
	v_or_b32_e32 v5, 0x600, v0
	s_mov_b32 s4, exec_lo
	s_delay_alu instid0(VALU_DEP_1)
	v_cmpx_gt_u32_e64 s18, v5
	s_cbranch_execz .LBB2466_45
; %bb.44:
	global_load_u8 v5, v0, s[2:3] offset:1536
	v_lshrrev_b32_e32 v6, 16, v1
	s_delay_alu instid0(VALU_DEP_1) | instskip(SKIP_2) | instid1(VALU_DEP_1)
	v_and_b32_e32 v6, 0xffffff00, v6
	s_wait_loadcnt 0x0
	v_xor_b32_e32 v5, 1, v5
	v_or_b32_e32 v5, v5, v6
	s_delay_alu instid0(VALU_DEP_1) | instskip(NEXT) | instid1(VALU_DEP_1)
	v_lshlrev_b32_e32 v5, 16, v5
	v_and_or_b32 v1, 0xffff, v1, v5
.LBB2466_45:
	s_wait_alu 0xfffe
	s_or_b32 exec_lo, exec_lo, s4
	v_or_b32_e32 v5, 0x700, v0
	s_mov_b32 s4, exec_lo
	s_delay_alu instid0(VALU_DEP_1)
	v_cmpx_gt_u32_e64 s18, v5
	s_cbranch_execz .LBB2466_47
; %bb.46:
	global_load_u8 v5, v0, s[2:3] offset:1792
	v_lshrrev_b32_e32 v6, 16, v1
	s_delay_alu instid0(VALU_DEP_1) | instskip(SKIP_2) | instid1(VALU_DEP_1)
	v_and_b32_e32 v6, 0xff, v6
	s_wait_loadcnt 0x0
	v_xor_b32_e32 v5, 1, v5
	v_lshlrev_b16 v5, 8, v5
	s_delay_alu instid0(VALU_DEP_1) | instskip(NEXT) | instid1(VALU_DEP_1)
	v_or_b32_e32 v5, v6, v5
	v_lshlrev_b32_e32 v5, 16, v5
	s_delay_alu instid0(VALU_DEP_1)
	v_and_or_b32 v1, 0xffff, v1, v5
.LBB2466_47:
	s_wait_alu 0xfffe
	s_or_b32 exec_lo, exec_lo, s4
	v_or_b32_e32 v5, 0x800, v0
	s_mov_b32 s4, exec_lo
	s_delay_alu instid0(VALU_DEP_1)
	v_cmpx_gt_u32_e64 s18, v5
	s_cbranch_execz .LBB2466_49
; %bb.48:
	global_load_u8 v5, v0, s[2:3] offset:2048
	v_and_b32_e32 v6, 0xffffff00, v2
	s_wait_loadcnt 0x0
	v_xor_b32_e32 v5, 1, v5
	s_delay_alu instid0(VALU_DEP_1) | instskip(NEXT) | instid1(VALU_DEP_1)
	v_or_b32_e32 v5, v5, v6
	v_and_b32_e32 v5, 0xffff, v5
	s_delay_alu instid0(VALU_DEP_1)
	v_and_or_b32 v2, 0xffff0000, v2, v5
.LBB2466_49:
	s_wait_alu 0xfffe
	s_or_b32 exec_lo, exec_lo, s4
	v_or_b32_e32 v5, 0x900, v0
	s_mov_b32 s4, exec_lo
	s_delay_alu instid0(VALU_DEP_1)
	v_cmpx_gt_u32_e64 s18, v5
	s_cbranch_execz .LBB2466_51
; %bb.50:
	global_load_u8 v5, v0, s[2:3] offset:2304
	v_and_b32_e32 v6, 0xff, v2
	s_wait_loadcnt 0x0
	v_xor_b32_e32 v5, 1, v5
	s_delay_alu instid0(VALU_DEP_1) | instskip(NEXT) | instid1(VALU_DEP_1)
	v_lshlrev_b16 v5, 8, v5
	v_or_b32_e32 v5, v6, v5
	s_delay_alu instid0(VALU_DEP_1) | instskip(NEXT) | instid1(VALU_DEP_1)
	v_and_b32_e32 v5, 0xffff, v5
	v_and_or_b32 v2, 0xffff0000, v2, v5
.LBB2466_51:
	s_wait_alu 0xfffe
	s_or_b32 exec_lo, exec_lo, s4
	v_or_b32_e32 v5, 0xa00, v0
	s_mov_b32 s4, exec_lo
	s_delay_alu instid0(VALU_DEP_1)
	v_cmpx_gt_u32_e64 s18, v5
	s_cbranch_execz .LBB2466_53
; %bb.52:
	global_load_u8 v5, v0, s[2:3] offset:2560
	v_lshrrev_b32_e32 v6, 16, v2
	s_delay_alu instid0(VALU_DEP_1) | instskip(SKIP_2) | instid1(VALU_DEP_1)
	v_and_b32_e32 v6, 0xffffff00, v6
	s_wait_loadcnt 0x0
	v_xor_b32_e32 v5, 1, v5
	v_or_b32_e32 v5, v5, v6
	s_delay_alu instid0(VALU_DEP_1) | instskip(NEXT) | instid1(VALU_DEP_1)
	v_lshlrev_b32_e32 v5, 16, v5
	v_and_or_b32 v2, 0xffff, v2, v5
.LBB2466_53:
	s_wait_alu 0xfffe
	s_or_b32 exec_lo, exec_lo, s4
	v_or_b32_e32 v5, 0xb00, v0
	s_mov_b32 s4, exec_lo
	s_delay_alu instid0(VALU_DEP_1)
	v_cmpx_gt_u32_e64 s18, v5
	s_cbranch_execz .LBB2466_55
; %bb.54:
	global_load_u8 v5, v0, s[2:3] offset:2816
	v_lshrrev_b32_e32 v6, 16, v2
	s_delay_alu instid0(VALU_DEP_1) | instskip(SKIP_2) | instid1(VALU_DEP_1)
	v_and_b32_e32 v6, 0xff, v6
	s_wait_loadcnt 0x0
	v_xor_b32_e32 v5, 1, v5
	v_lshlrev_b16 v5, 8, v5
	s_delay_alu instid0(VALU_DEP_1) | instskip(NEXT) | instid1(VALU_DEP_1)
	v_or_b32_e32 v5, v6, v5
	v_lshlrev_b32_e32 v5, 16, v5
	s_delay_alu instid0(VALU_DEP_1)
	v_and_or_b32 v2, 0xffff, v2, v5
.LBB2466_55:
	s_wait_alu 0xfffe
	s_or_b32 exec_lo, exec_lo, s4
	v_lshrrev_b32_e32 v5, 8, v3
	v_lshrrev_b32_e32 v6, 24, v3
	;; [unrolled: 1-line block ×6, first 2 shown]
	ds_store_b8 v0, v4
	ds_store_b8 v0, v5 offset:256
	ds_store_b8_d16_hi v0, v3 offset:512
	ds_store_b8 v0, v6 offset:768
	ds_store_b8 v0, v1 offset:1024
	;; [unrolled: 1-line block ×3, first 2 shown]
	ds_store_b8_d16_hi v0, v1 offset:1536
	ds_store_b8 v0, v8 offset:1792
	ds_store_b8 v0, v2 offset:2048
	;; [unrolled: 1-line block ×3, first 2 shown]
	ds_store_b8_d16_hi v0, v2 offset:2560
	ds_store_b8 v0, v10 offset:2816
	s_wait_loadcnt_dscnt 0x0
	s_barrier_signal -1
	s_barrier_wait -1
.LBB2466_56:
	s_wait_loadcnt 0x0
	global_inv scope:SCOPE_SE
	ds_load_2addr_b32 v[43:44], v51 offset1:1
	ds_load_b32 v47, v51 offset:8
	s_load_b64 s[6:7], s[0:1], 0x68
	v_mbcnt_lo_u32_b32 v61, -1, 0
	s_cmp_lg_u32 ttmp9, 0
	s_mov_b32 s3, -1
	s_wait_loadcnt_dscnt 0x0
	s_barrier_signal -1
	v_and_b32_e32 v62, 15, v61
	s_barrier_wait -1
	global_inv scope:SCOPE_SE
	v_dual_mov_b32 v2, 0 :: v_dual_and_b32 v53, 0xff, v43
	v_bfe_u32 v54, v43, 8, 8
	v_bfe_u32 v52, v43, 16, 8
	v_lshrrev_b32_e32 v50, 24, v43
	v_and_b32_e32 v56, 0xff, v44
	v_bfe_u32 v57, v44, 8, 8
	v_bfe_u32 v58, v44, 16, 8
	v_add3_u32 v1, v54, v53, v52
	v_lshrrev_b32_e32 v49, 24, v44
	v_and_b32_e32 v59, 0xff, v47
	v_bfe_u32 v60, v47, 8, 8
	v_bfe_u32 v55, v47, 16, 8
	v_add_co_u32 v1, s2, v1, v50
	s_wait_alu 0xf1ff
	v_add_co_ci_u32_e64 v3, null, 0, 0, s2
	v_lshrrev_b32_e32 v48, 24, v47
	s_delay_alu instid0(VALU_DEP_3) | instskip(NEXT) | instid1(VALU_DEP_1)
	v_add_co_u32 v1, vcc_lo, v1, v56
	v_add_co_ci_u32_e64 v3, null, 0, v3, vcc_lo
	v_cmp_ne_u32_e64 s2, 0, v62
	s_delay_alu instid0(VALU_DEP_3) | instskip(SKIP_1) | instid1(VALU_DEP_3)
	v_add_co_u32 v1, vcc_lo, v1, v57
	s_wait_alu 0xfffd
	v_add_co_ci_u32_e64 v3, null, 0, v3, vcc_lo
	s_delay_alu instid0(VALU_DEP_2) | instskip(SKIP_1) | instid1(VALU_DEP_2)
	v_add_co_u32 v1, vcc_lo, v1, v58
	s_wait_alu 0xfffd
	v_add_co_ci_u32_e64 v3, null, 0, v3, vcc_lo
	s_delay_alu instid0(VALU_DEP_2) | instskip(SKIP_1) | instid1(VALU_DEP_2)
	;; [unrolled: 4-line block ×6, first 2 shown]
	v_add_co_u32 v45, vcc_lo, v1, v48
	s_wait_alu 0xfffd
	v_add_co_ci_u32_e64 v46, null, 0, v3, vcc_lo
	s_cbranch_scc0 .LBB2466_113
; %bb.57:
	v_mov_b32_e32 v3, v45
	v_mov_b32_dpp v1, v45 row_shr:1 row_mask:0xf bank_mask:0xf
	v_mov_b32_dpp v6, v2 row_shr:1 row_mask:0xf bank_mask:0xf
	v_dual_mov_b32 v5, v45 :: v_dual_mov_b32 v4, v46
	s_and_saveexec_b32 s3, s2
; %bb.58:
	s_delay_alu instid0(VALU_DEP_3) | instskip(SKIP_2) | instid1(VALU_DEP_2)
	v_add_co_u32 v5, vcc_lo, v45, v1
	s_wait_alu 0xfffd
	v_add_co_ci_u32_e64 v2, null, 0, v46, vcc_lo
	v_add_co_u32 v1, vcc_lo, 0, v5
	s_wait_alu 0xfffd
	s_delay_alu instid0(VALU_DEP_2) | instskip(NEXT) | instid1(VALU_DEP_1)
	v_add_co_ci_u32_e64 v2, null, v6, v2, vcc_lo
	v_dual_mov_b32 v4, v2 :: v_dual_mov_b32 v3, v1
; %bb.59:
	s_wait_alu 0xfffe
	s_or_b32 exec_lo, exec_lo, s3
	v_mov_b32_dpp v1, v5 row_shr:2 row_mask:0xf bank_mask:0xf
	v_mov_b32_dpp v6, v2 row_shr:2 row_mask:0xf bank_mask:0xf
	s_mov_b32 s3, exec_lo
	v_cmpx_lt_u32_e32 1, v62
; %bb.60:
	s_delay_alu instid0(VALU_DEP_3) | instskip(SKIP_2) | instid1(VALU_DEP_2)
	v_add_co_u32 v5, vcc_lo, v3, v1
	s_wait_alu 0xfffd
	v_add_co_ci_u32_e64 v2, null, 0, v4, vcc_lo
	v_add_co_u32 v1, vcc_lo, 0, v5
	s_wait_alu 0xfffd
	s_delay_alu instid0(VALU_DEP_2) | instskip(NEXT) | instid1(VALU_DEP_1)
	v_add_co_ci_u32_e64 v2, null, v6, v2, vcc_lo
	v_dual_mov_b32 v4, v2 :: v_dual_mov_b32 v3, v1
; %bb.61:
	s_wait_alu 0xfffe
	s_or_b32 exec_lo, exec_lo, s3
	v_mov_b32_dpp v1, v5 row_shr:4 row_mask:0xf bank_mask:0xf
	v_mov_b32_dpp v6, v2 row_shr:4 row_mask:0xf bank_mask:0xf
	s_mov_b32 s3, exec_lo
	v_cmpx_lt_u32_e32 3, v62
	;; [unrolled: 17-line block ×3, first 2 shown]
; %bb.64:
	s_delay_alu instid0(VALU_DEP_3) | instskip(SKIP_2) | instid1(VALU_DEP_2)
	v_add_co_u32 v5, vcc_lo, v3, v6
	s_wait_alu 0xfffd
	v_add_co_ci_u32_e64 v2, null, 0, v4, vcc_lo
	v_add_co_u32 v3, vcc_lo, 0, v5
	s_wait_alu 0xfffd
	s_delay_alu instid0(VALU_DEP_2) | instskip(NEXT) | instid1(VALU_DEP_1)
	v_add_co_ci_u32_e64 v4, null, v1, v2, vcc_lo
	v_mov_b32_e32 v2, v4
; %bb.65:
	s_wait_alu 0xfffe
	s_or_b32 exec_lo, exec_lo, s3
	ds_swizzle_b32 v1, v5 offset:swizzle(BROADCAST,32,15)
	ds_swizzle_b32 v6, v2 offset:swizzle(BROADCAST,32,15)
	v_and_b32_e32 v7, 16, v61
	s_mov_b32 s3, exec_lo
	s_delay_alu instid0(VALU_DEP_1)
	v_cmpx_ne_u32_e32 0, v7
	s_cbranch_execz .LBB2466_67
; %bb.66:
	s_wait_dscnt 0x1
	v_add_co_u32 v5, vcc_lo, v3, v1
	s_wait_alu 0xfffd
	v_add_co_ci_u32_e64 v2, null, 0, v4, vcc_lo
	s_delay_alu instid0(VALU_DEP_2) | instskip(SKIP_2) | instid1(VALU_DEP_2)
	v_add_co_u32 v1, vcc_lo, 0, v5
	s_wait_dscnt 0x0
	s_wait_alu 0xfffd
	v_add_co_ci_u32_e64 v2, null, v6, v2, vcc_lo
	s_delay_alu instid0(VALU_DEP_1)
	v_dual_mov_b32 v4, v2 :: v_dual_mov_b32 v3, v1
.LBB2466_67:
	s_wait_alu 0xfffe
	s_or_b32 exec_lo, exec_lo, s3
	s_wait_dscnt 0x0
	v_or_b32_e32 v6, 31, v0
	v_lshrrev_b32_e32 v1, 5, v0
	s_mov_b32 s3, exec_lo
	s_delay_alu instid0(VALU_DEP_2)
	v_cmpx_eq_u32_e64 v0, v6
; %bb.68:
	s_delay_alu instid0(VALU_DEP_2)
	v_lshlrev_b32_e32 v6, 3, v1
	ds_store_b64 v6, v[3:4]
; %bb.69:
	s_wait_alu 0xfffe
	s_or_b32 exec_lo, exec_lo, s3
	s_delay_alu instid0(SALU_CYCLE_1)
	s_mov_b32 s3, exec_lo
	s_wait_loadcnt_dscnt 0x0
	s_barrier_signal -1
	s_barrier_wait -1
	global_inv scope:SCOPE_SE
	v_cmpx_gt_u32_e32 8, v0
	s_cbranch_execz .LBB2466_77
; %bb.70:
	v_lshlrev_b32_e32 v6, 3, v0
	s_mov_b32 s4, exec_lo
	ds_load_b64 v[3:4], v6
	s_wait_dscnt 0x0
	v_dual_mov_b32 v8, v3 :: v_dual_and_b32 v7, 7, v61
	v_mov_b32_dpp v10, v3 row_shr:1 row_mask:0xf bank_mask:0xf
	v_mov_b32_dpp v9, v4 row_shr:1 row_mask:0xf bank_mask:0xf
	s_delay_alu instid0(VALU_DEP_3)
	v_cmpx_ne_u32_e32 0, v7
; %bb.71:
	s_delay_alu instid0(VALU_DEP_3) | instskip(SKIP_2) | instid1(VALU_DEP_2)
	v_add_co_u32 v8, vcc_lo, v3, v10
	s_wait_alu 0xfffd
	v_add_co_ci_u32_e64 v4, null, 0, v4, vcc_lo
	v_add_co_u32 v3, vcc_lo, 0, v8
	s_wait_alu 0xfffd
	s_delay_alu instid0(VALU_DEP_2)
	v_add_co_ci_u32_e64 v4, null, v9, v4, vcc_lo
; %bb.72:
	s_wait_alu 0xfffe
	s_or_b32 exec_lo, exec_lo, s4
	v_mov_b32_dpp v10, v8 row_shr:2 row_mask:0xf bank_mask:0xf
	s_delay_alu instid0(VALU_DEP_2)
	v_mov_b32_dpp v9, v4 row_shr:2 row_mask:0xf bank_mask:0xf
	s_mov_b32 s4, exec_lo
	v_cmpx_lt_u32_e32 1, v7
; %bb.73:
	s_delay_alu instid0(VALU_DEP_3) | instskip(SKIP_2) | instid1(VALU_DEP_2)
	v_add_co_u32 v8, vcc_lo, v3, v10
	s_wait_alu 0xfffd
	v_add_co_ci_u32_e64 v4, null, 0, v4, vcc_lo
	v_add_co_u32 v3, vcc_lo, 0, v8
	s_wait_alu 0xfffd
	s_delay_alu instid0(VALU_DEP_2)
	v_add_co_ci_u32_e64 v4, null, v9, v4, vcc_lo
; %bb.74:
	s_wait_alu 0xfffe
	s_or_b32 exec_lo, exec_lo, s4
	v_mov_b32_dpp v9, v8 row_shr:4 row_mask:0xf bank_mask:0xf
	s_delay_alu instid0(VALU_DEP_2)
	v_mov_b32_dpp v8, v4 row_shr:4 row_mask:0xf bank_mask:0xf
	s_mov_b32 s4, exec_lo
	v_cmpx_lt_u32_e32 3, v7
; %bb.75:
	s_delay_alu instid0(VALU_DEP_3) | instskip(SKIP_2) | instid1(VALU_DEP_2)
	v_add_co_u32 v3, vcc_lo, v3, v9
	s_wait_alu 0xfffd
	v_add_co_ci_u32_e64 v4, null, 0, v4, vcc_lo
	v_add_co_u32 v3, vcc_lo, v3, 0
	s_wait_alu 0xfffd
	s_delay_alu instid0(VALU_DEP_2)
	v_add_co_ci_u32_e64 v4, null, v4, v8, vcc_lo
; %bb.76:
	s_wait_alu 0xfffe
	s_or_b32 exec_lo, exec_lo, s4
	ds_store_b64 v6, v[3:4]
.LBB2466_77:
	s_wait_alu 0xfffe
	s_or_b32 exec_lo, exec_lo, s3
	s_delay_alu instid0(SALU_CYCLE_1)
	s_mov_b32 s4, exec_lo
	v_cmp_gt_u32_e32 vcc_lo, 32, v0
	s_wait_loadcnt_dscnt 0x0
	s_barrier_signal -1
	s_barrier_wait -1
	global_inv scope:SCOPE_SE
                                        ; implicit-def: $vgpr9_vgpr10
	v_cmpx_lt_u32_e32 31, v0
	s_cbranch_execz .LBB2466_79
; %bb.78:
	v_lshl_add_u32 v1, v1, 3, -8
	ds_load_b64 v[9:10], v1
	s_wait_dscnt 0x0
	v_add_co_u32 v5, s3, v5, v9
	s_wait_alu 0xf1ff
	v_add_co_ci_u32_e64 v2, null, v2, v10, s3
.LBB2466_79:
	s_wait_alu 0xfffe
	s_or_b32 exec_lo, exec_lo, s4
	v_sub_co_u32 v1, s3, v61, 1
	s_delay_alu instid0(VALU_DEP_1) | instskip(SKIP_1) | instid1(VALU_DEP_1)
	v_cmp_gt_i32_e64 s4, 0, v1
	s_wait_alu 0xf1ff
	v_cndmask_b32_e64 v1, v1, v61, s4
	s_delay_alu instid0(VALU_DEP_1)
	v_lshlrev_b32_e32 v1, 2, v1
	ds_bpermute_b32 v15, v1, v5
	ds_bpermute_b32 v16, v1, v2
	s_and_saveexec_b32 s4, vcc_lo
	s_cbranch_execz .LBB2466_118
; %bb.80:
	v_mov_b32_e32 v4, 0
	ds_load_b64 v[1:2], v4 offset:56
	s_and_saveexec_b32 s5, s3
	s_cbranch_execz .LBB2466_82
; %bb.81:
	s_add_co_i32 s12, ttmp9, 32
	s_delay_alu instid0(SALU_CYCLE_1)
	s_lshl_b64 s[12:13], s[12:13], 4
	s_wait_kmcnt 0x0
	s_add_nc_u64 s[12:13], s[6:7], s[12:13]
	v_mov_b32_e32 v3, 1
	v_dual_mov_b32 v5, s12 :: v_dual_mov_b32 v6, s13
	s_wait_dscnt 0x0
	;;#ASMSTART
	global_store_b128 v[5:6], v[1:4] off scope:SCOPE_DEV	
s_wait_storecnt 0x0
	;;#ASMEND
.LBB2466_82:
	s_wait_alu 0xfffe
	s_or_b32 exec_lo, exec_lo, s5
	v_xad_u32 v11, v61, -1, ttmp9
	s_mov_b32 s12, 0
	s_mov_b32 s5, exec_lo
	s_delay_alu instid0(VALU_DEP_1) | instskip(NEXT) | instid1(VALU_DEP_1)
	v_add_nc_u32_e32 v3, 32, v11
	v_lshlrev_b64_e32 v[3:4], 4, v[3:4]
	s_wait_kmcnt 0x0
	s_delay_alu instid0(VALU_DEP_1) | instskip(SKIP_1) | instid1(VALU_DEP_2)
	v_add_co_u32 v3, vcc_lo, s6, v3
	s_wait_alu 0xfffd
	v_add_co_ci_u32_e64 v4, null, s7, v4, vcc_lo
	;;#ASMSTART
	global_load_b128 v[5:8], v[3:4] off scope:SCOPE_DEV	
s_wait_loadcnt 0x0
	;;#ASMEND
	v_and_b32_e32 v8, 0xff, v7
	s_delay_alu instid0(VALU_DEP_1)
	v_cmpx_eq_u16_e32 0, v8
	s_cbranch_execz .LBB2466_85
.LBB2466_83:                            ; =>This Inner Loop Header: Depth=1
	;;#ASMSTART
	global_load_b128 v[5:8], v[3:4] off scope:SCOPE_DEV	
s_wait_loadcnt 0x0
	;;#ASMEND
	v_and_b32_e32 v8, 0xff, v7
	s_delay_alu instid0(VALU_DEP_1)
	v_cmp_ne_u16_e32 vcc_lo, 0, v8
	s_wait_alu 0xfffe
	s_or_b32 s12, vcc_lo, s12
	s_wait_alu 0xfffe
	s_and_not1_b32 exec_lo, exec_lo, s12
	s_cbranch_execnz .LBB2466_83
; %bb.84:
	s_or_b32 exec_lo, exec_lo, s12
.LBB2466_85:
	s_wait_alu 0xfffe
	s_or_b32 exec_lo, exec_lo, s5
	v_cmp_ne_u32_e32 vcc_lo, 31, v61
	v_and_b32_e32 v4, 0xff, v7
	v_lshlrev_b32_e64 v18, v61, -1
	s_mov_b32 s5, exec_lo
	s_wait_alu 0xfffd
	v_add_co_ci_u32_e64 v3, null, 0, v61, vcc_lo
	v_cmp_eq_u16_e32 vcc_lo, 2, v4
	s_delay_alu instid0(VALU_DEP_2)
	v_dual_mov_b32 v4, v5 :: v_dual_lshlrev_b32 v17, 2, v3
	s_wait_alu 0xfffd
	v_and_or_b32 v3, vcc_lo, v18, 0x80000000
	ds_bpermute_b32 v12, v17, v5
	ds_bpermute_b32 v8, v17, v6
	v_ctz_i32_b32_e32 v3, v3
	s_delay_alu instid0(VALU_DEP_1)
	v_cmpx_lt_u32_e64 v61, v3
	s_cbranch_execz .LBB2466_87
; %bb.86:
	s_wait_dscnt 0x1
	v_add_co_u32 v4, vcc_lo, v5, v12
	s_wait_alu 0xfffd
	v_add_co_ci_u32_e64 v6, null, 0, v6, vcc_lo
	s_delay_alu instid0(VALU_DEP_2) | instskip(SKIP_2) | instid1(VALU_DEP_2)
	v_add_co_u32 v5, vcc_lo, 0, v4
	s_wait_dscnt 0x0
	s_wait_alu 0xfffd
	v_add_co_ci_u32_e64 v6, null, v8, v6, vcc_lo
.LBB2466_87:
	s_wait_alu 0xfffe
	s_or_b32 exec_lo, exec_lo, s5
	v_cmp_gt_u32_e32 vcc_lo, 30, v61
	v_add_nc_u32_e32 v20, 2, v61
	s_mov_b32 s5, exec_lo
	s_wait_dscnt 0x0
	s_wait_alu 0xfffd
	v_cndmask_b32_e64 v8, 0, 2, vcc_lo
	s_delay_alu instid0(VALU_DEP_1)
	v_add_lshl_u32 v19, v8, v61, 2
	ds_bpermute_b32 v12, v19, v4
	ds_bpermute_b32 v8, v19, v6
	v_cmpx_le_u32_e64 v20, v3
	s_cbranch_execz .LBB2466_89
; %bb.88:
	s_wait_dscnt 0x1
	v_add_co_u32 v4, vcc_lo, v5, v12
	s_wait_alu 0xfffd
	v_add_co_ci_u32_e64 v6, null, 0, v6, vcc_lo
	s_delay_alu instid0(VALU_DEP_2) | instskip(SKIP_2) | instid1(VALU_DEP_2)
	v_add_co_u32 v5, vcc_lo, 0, v4
	s_wait_dscnt 0x0
	s_wait_alu 0xfffd
	v_add_co_ci_u32_e64 v6, null, v8, v6, vcc_lo
.LBB2466_89:
	s_wait_alu 0xfffe
	s_or_b32 exec_lo, exec_lo, s5
	v_cmp_gt_u32_e32 vcc_lo, 28, v61
	v_add_nc_u32_e32 v22, 4, v61
	s_mov_b32 s5, exec_lo
	s_wait_dscnt 0x0
	s_wait_alu 0xfffd
	v_cndmask_b32_e64 v8, 0, 4, vcc_lo
	s_delay_alu instid0(VALU_DEP_1)
	v_add_lshl_u32 v21, v8, v61, 2
	ds_bpermute_b32 v12, v21, v4
	ds_bpermute_b32 v8, v21, v6
	v_cmpx_le_u32_e64 v22, v3
	s_cbranch_execz .LBB2466_91
; %bb.90:
	s_wait_dscnt 0x1
	v_add_co_u32 v4, vcc_lo, v5, v12
	s_wait_alu 0xfffd
	v_add_co_ci_u32_e64 v6, null, 0, v6, vcc_lo
	s_delay_alu instid0(VALU_DEP_2) | instskip(SKIP_2) | instid1(VALU_DEP_2)
	v_add_co_u32 v5, vcc_lo, 0, v4
	s_wait_dscnt 0x0
	s_wait_alu 0xfffd
	v_add_co_ci_u32_e64 v6, null, v8, v6, vcc_lo
.LBB2466_91:
	s_wait_alu 0xfffe
	s_or_b32 exec_lo, exec_lo, s5
	v_cmp_gt_u32_e32 vcc_lo, 24, v61
	v_add_nc_u32_e32 v24, 8, v61
	s_mov_b32 s5, exec_lo
	s_wait_dscnt 0x0
	s_wait_alu 0xfffd
	v_cndmask_b32_e64 v8, 0, 8, vcc_lo
	s_delay_alu instid0(VALU_DEP_1)
	v_add_lshl_u32 v23, v8, v61, 2
	ds_bpermute_b32 v12, v23, v4
	ds_bpermute_b32 v8, v23, v6
	v_cmpx_le_u32_e64 v24, v3
	s_cbranch_execz .LBB2466_93
; %bb.92:
	s_wait_dscnt 0x1
	v_add_co_u32 v4, vcc_lo, v5, v12
	s_wait_alu 0xfffd
	v_add_co_ci_u32_e64 v6, null, 0, v6, vcc_lo
	s_delay_alu instid0(VALU_DEP_2) | instskip(SKIP_2) | instid1(VALU_DEP_2)
	v_add_co_u32 v5, vcc_lo, 0, v4
	s_wait_dscnt 0x0
	s_wait_alu 0xfffd
	v_add_co_ci_u32_e64 v6, null, v8, v6, vcc_lo
.LBB2466_93:
	s_wait_alu 0xfffe
	s_or_b32 exec_lo, exec_lo, s5
	v_lshl_or_b32 v25, v61, 2, 64
	v_add_nc_u32_e32 v26, 16, v61
	s_mov_b32 s5, exec_lo
	s_wait_dscnt 0x0
	ds_bpermute_b32 v8, v25, v4
	ds_bpermute_b32 v4, v25, v6
	v_cmpx_le_u32_e64 v26, v3
	s_cbranch_execz .LBB2466_95
; %bb.94:
	s_wait_dscnt 0x1
	v_add_co_u32 v3, vcc_lo, v5, v8
	s_wait_alu 0xfffd
	v_add_co_ci_u32_e64 v6, null, 0, v6, vcc_lo
	s_delay_alu instid0(VALU_DEP_2) | instskip(SKIP_2) | instid1(VALU_DEP_2)
	v_add_co_u32 v5, vcc_lo, v3, 0
	s_wait_dscnt 0x0
	s_wait_alu 0xfffd
	v_add_co_ci_u32_e64 v6, null, v6, v4, vcc_lo
.LBB2466_95:
	s_wait_alu 0xfffe
	s_or_b32 exec_lo, exec_lo, s5
	v_mov_b32_e32 v12, 0
	s_branch .LBB2466_98
.LBB2466_96:                            ;   in Loop: Header=BB2466_98 Depth=1
	s_wait_alu 0xfffe
	s_or_b32 exec_lo, exec_lo, s5
	v_add_co_u32 v5, vcc_lo, v5, v3
	v_subrev_nc_u32_e32 v11, 32, v11
	s_wait_alu 0xfffd
	v_add_co_ci_u32_e64 v6, null, v6, v4, vcc_lo
	s_mov_b32 s5, 0
.LBB2466_97:                            ;   in Loop: Header=BB2466_98 Depth=1
	s_wait_alu 0xfffe
	s_and_b32 vcc_lo, exec_lo, s5
	s_wait_alu 0xfffe
	s_cbranch_vccnz .LBB2466_114
.LBB2466_98:                            ; =>This Loop Header: Depth=1
                                        ;     Child Loop BB2466_101 Depth 2
	v_and_b32_e32 v3, 0xff, v7
	s_mov_b32 s5, -1
	s_delay_alu instid0(VALU_DEP_1)
	v_cmp_ne_u16_e32 vcc_lo, 2, v3
	s_wait_dscnt 0x0
	v_dual_mov_b32 v3, v5 :: v_dual_mov_b32 v4, v6
                                        ; implicit-def: $vgpr5_vgpr6
	s_cmp_lg_u32 vcc_lo, exec_lo
	s_cbranch_scc1 .LBB2466_97
; %bb.99:                               ;   in Loop: Header=BB2466_98 Depth=1
	v_lshlrev_b64_e32 v[5:6], 4, v[11:12]
	s_mov_b32 s5, exec_lo
	s_delay_alu instid0(VALU_DEP_1) | instskip(SKIP_1) | instid1(VALU_DEP_2)
	v_add_co_u32 v13, vcc_lo, s6, v5
	s_wait_alu 0xfffd
	v_add_co_ci_u32_e64 v14, null, s7, v6, vcc_lo
	;;#ASMSTART
	global_load_b128 v[5:8], v[13:14] off scope:SCOPE_DEV	
s_wait_loadcnt 0x0
	;;#ASMEND
	v_and_b32_e32 v8, 0xff, v7
	s_delay_alu instid0(VALU_DEP_1)
	v_cmpx_eq_u16_e32 0, v8
	s_cbranch_execz .LBB2466_103
; %bb.100:                              ;   in Loop: Header=BB2466_98 Depth=1
	s_mov_b32 s12, 0
.LBB2466_101:                           ;   Parent Loop BB2466_98 Depth=1
                                        ; =>  This Inner Loop Header: Depth=2
	;;#ASMSTART
	global_load_b128 v[5:8], v[13:14] off scope:SCOPE_DEV	
s_wait_loadcnt 0x0
	;;#ASMEND
	v_and_b32_e32 v8, 0xff, v7
	s_delay_alu instid0(VALU_DEP_1)
	v_cmp_ne_u16_e32 vcc_lo, 0, v8
	s_wait_alu 0xfffe
	s_or_b32 s12, vcc_lo, s12
	s_wait_alu 0xfffe
	s_and_not1_b32 exec_lo, exec_lo, s12
	s_cbranch_execnz .LBB2466_101
; %bb.102:                              ;   in Loop: Header=BB2466_98 Depth=1
	s_or_b32 exec_lo, exec_lo, s12
.LBB2466_103:                           ;   in Loop: Header=BB2466_98 Depth=1
	s_wait_alu 0xfffe
	s_or_b32 exec_lo, exec_lo, s5
	v_dual_mov_b32 v13, v5 :: v_dual_and_b32 v8, 0xff, v7
	ds_bpermute_b32 v27, v17, v5
	ds_bpermute_b32 v14, v17, v6
	s_mov_b32 s5, exec_lo
	v_cmp_eq_u16_e32 vcc_lo, 2, v8
	s_wait_alu 0xfffd
	v_and_or_b32 v8, vcc_lo, v18, 0x80000000
	s_delay_alu instid0(VALU_DEP_1) | instskip(NEXT) | instid1(VALU_DEP_1)
	v_ctz_i32_b32_e32 v8, v8
	v_cmpx_lt_u32_e64 v61, v8
	s_cbranch_execz .LBB2466_105
; %bb.104:                              ;   in Loop: Header=BB2466_98 Depth=1
	s_wait_dscnt 0x1
	v_add_co_u32 v13, vcc_lo, v5, v27
	s_wait_alu 0xfffd
	v_add_co_ci_u32_e64 v6, null, 0, v6, vcc_lo
	s_delay_alu instid0(VALU_DEP_2) | instskip(SKIP_2) | instid1(VALU_DEP_2)
	v_add_co_u32 v5, vcc_lo, 0, v13
	s_wait_dscnt 0x0
	s_wait_alu 0xfffd
	v_add_co_ci_u32_e64 v6, null, v14, v6, vcc_lo
.LBB2466_105:                           ;   in Loop: Header=BB2466_98 Depth=1
	s_wait_alu 0xfffe
	s_or_b32 exec_lo, exec_lo, s5
	s_wait_dscnt 0x1
	ds_bpermute_b32 v27, v19, v13
	s_wait_dscnt 0x1
	ds_bpermute_b32 v14, v19, v6
	s_mov_b32 s5, exec_lo
	v_cmpx_le_u32_e64 v20, v8
	s_cbranch_execz .LBB2466_107
; %bb.106:                              ;   in Loop: Header=BB2466_98 Depth=1
	s_wait_dscnt 0x1
	v_add_co_u32 v13, vcc_lo, v5, v27
	s_wait_alu 0xfffd
	v_add_co_ci_u32_e64 v6, null, 0, v6, vcc_lo
	s_delay_alu instid0(VALU_DEP_2) | instskip(SKIP_2) | instid1(VALU_DEP_2)
	v_add_co_u32 v5, vcc_lo, 0, v13
	s_wait_dscnt 0x0
	s_wait_alu 0xfffd
	v_add_co_ci_u32_e64 v6, null, v14, v6, vcc_lo
.LBB2466_107:                           ;   in Loop: Header=BB2466_98 Depth=1
	s_wait_alu 0xfffe
	s_or_b32 exec_lo, exec_lo, s5
	s_wait_dscnt 0x1
	ds_bpermute_b32 v27, v21, v13
	s_wait_dscnt 0x1
	ds_bpermute_b32 v14, v21, v6
	s_mov_b32 s5, exec_lo
	v_cmpx_le_u32_e64 v22, v8
	;; [unrolled: 20-line block ×3, first 2 shown]
	s_cbranch_execz .LBB2466_111
; %bb.110:                              ;   in Loop: Header=BB2466_98 Depth=1
	s_wait_dscnt 0x1
	v_add_co_u32 v13, vcc_lo, v5, v27
	s_wait_alu 0xfffd
	v_add_co_ci_u32_e64 v6, null, 0, v6, vcc_lo
	s_delay_alu instid0(VALU_DEP_2) | instskip(SKIP_2) | instid1(VALU_DEP_2)
	v_add_co_u32 v5, vcc_lo, 0, v13
	s_wait_dscnt 0x0
	s_wait_alu 0xfffd
	v_add_co_ci_u32_e64 v6, null, v14, v6, vcc_lo
.LBB2466_111:                           ;   in Loop: Header=BB2466_98 Depth=1
	s_wait_alu 0xfffe
	s_or_b32 exec_lo, exec_lo, s5
	s_wait_dscnt 0x0
	ds_bpermute_b32 v14, v25, v13
	ds_bpermute_b32 v13, v25, v6
	s_mov_b32 s5, exec_lo
	v_cmpx_le_u32_e64 v26, v8
	s_cbranch_execz .LBB2466_96
; %bb.112:                              ;   in Loop: Header=BB2466_98 Depth=1
	s_wait_dscnt 0x1
	v_add_co_u32 v5, vcc_lo, v5, v14
	s_wait_alu 0xfffd
	v_add_co_ci_u32_e64 v6, null, 0, v6, vcc_lo
	s_delay_alu instid0(VALU_DEP_2) | instskip(SKIP_2) | instid1(VALU_DEP_2)
	v_add_co_u32 v5, vcc_lo, v5, 0
	s_wait_dscnt 0x0
	s_wait_alu 0xfffd
	v_add_co_ci_u32_e64 v6, null, v6, v13, vcc_lo
	s_branch .LBB2466_96
.LBB2466_113:
                                        ; implicit-def: $vgpr39_vgpr40
                                        ; implicit-def: $vgpr1_vgpr2_vgpr3_vgpr4_vgpr5_vgpr6_vgpr7_vgpr8_vgpr9_vgpr10_vgpr11_vgpr12_vgpr13_vgpr14_vgpr15_vgpr16_vgpr17_vgpr18_vgpr19_vgpr20_vgpr21_vgpr22_vgpr23_vgpr24_vgpr25_vgpr26_vgpr27_vgpr28_vgpr29_vgpr30_vgpr31_vgpr32
	s_load_b64 s[4:5], s[0:1], 0x30
	s_and_b32 vcc_lo, exec_lo, s3
	s_wait_alu 0xfffe
	s_cbranch_vccnz .LBB2466_119
	s_branch .LBB2466_144
.LBB2466_114:
	s_and_saveexec_b32 s5, s3
	s_cbranch_execz .LBB2466_116
; %bb.115:
	s_add_co_i32 s12, ttmp9, 32
	s_mov_b32 s13, 0
	v_add_co_u32 v5, vcc_lo, v3, v1
	s_wait_alu 0xfffe
	s_lshl_b64 s[12:13], s[12:13], 4
	v_dual_mov_b32 v7, 2 :: v_dual_mov_b32 v8, 0
	s_wait_alu 0xfffe
	s_add_nc_u64 s[12:13], s[6:7], s[12:13]
	s_wait_alu 0xfffd
	v_add_co_ci_u32_e64 v6, null, v4, v2, vcc_lo
	s_wait_alu 0xfffe
	v_dual_mov_b32 v11, s12 :: v_dual_mov_b32 v12, s13
	;;#ASMSTART
	global_store_b128 v[11:12], v[5:8] off scope:SCOPE_DEV	
s_wait_storecnt 0x0
	;;#ASMEND
	ds_store_b128 v8, v[1:4] offset:6144
.LBB2466_116:
	s_wait_alu 0xfffe
	s_or_b32 exec_lo, exec_lo, s5
	v_cmp_eq_u32_e32 vcc_lo, 0, v0
	s_and_b32 exec_lo, exec_lo, vcc_lo
; %bb.117:
	v_mov_b32_e32 v1, 0
	ds_store_b64 v1, v[3:4] offset:56
.LBB2466_118:
	s_wait_alu 0xfffe
	s_or_b32 exec_lo, exec_lo, s4
	s_wait_dscnt 0x0
	v_cndmask_b32_e64 v4, v16, v10, s3
	v_cmp_ne_u32_e32 vcc_lo, 0, v0
	v_mov_b32_e32 v17, 0
	s_wait_loadcnt 0x0
	s_barrier_signal -1
	s_barrier_wait -1
	global_inv scope:SCOPE_SE
	s_wait_alu 0xfffd
	v_cndmask_b32_e32 v4, 0, v4, vcc_lo
	ds_load_b64 v[1:2], v17 offset:56
	v_cndmask_b32_e64 v3, v15, v9, s3
	s_wait_loadcnt_dscnt 0x0
	s_barrier_signal -1
	s_barrier_wait -1
	global_inv scope:SCOPE_SE
	v_cndmask_b32_e32 v3, 0, v3, vcc_lo
	ds_load_b128 v[37:40], v17 offset:6144
	v_add_co_u32 v1, vcc_lo, v1, v3
	s_wait_alu 0xfffd
	v_add_co_ci_u32_e64 v2, null, v2, v4, vcc_lo
	s_delay_alu instid0(VALU_DEP_2) | instskip(SKIP_1) | instid1(VALU_DEP_2)
	v_add_co_u32 v3, vcc_lo, v1, v53
	s_wait_alu 0xfffd
	v_add_co_ci_u32_e64 v4, null, 0, v2, vcc_lo
	s_delay_alu instid0(VALU_DEP_2) | instskip(SKIP_1) | instid1(VALU_DEP_2)
	;; [unrolled: 4-line block ×11, first 2 shown]
	v_add_co_u32 v23, vcc_lo, v21, v55
	s_wait_alu 0xfffd
	v_add_co_ci_u32_e64 v24, null, 0, v22, vcc_lo
	s_load_b64 s[4:5], s[0:1], 0x30
	s_branch .LBB2466_144
.LBB2466_119:
	v_dual_mov_b32 v2, 0 :: v_dual_mov_b32 v3, v45
	v_mov_b32_dpp v4, v45 row_shr:1 row_mask:0xf bank_mask:0xf
	s_delay_alu instid0(VALU_DEP_2)
	v_mov_b32_dpp v1, v2 row_shr:1 row_mask:0xf bank_mask:0xf
	s_and_saveexec_b32 s0, s2
; %bb.120:
	s_delay_alu instid0(VALU_DEP_2) | instskip(SKIP_2) | instid1(VALU_DEP_2)
	v_add_co_u32 v3, vcc_lo, v45, v4
	s_wait_alu 0xfffd
	v_add_co_ci_u32_e64 v2, null, 0, v46, vcc_lo
	v_add_co_u32 v45, vcc_lo, 0, v3
	s_wait_alu 0xfffd
	s_delay_alu instid0(VALU_DEP_2) | instskip(NEXT) | instid1(VALU_DEP_1)
	v_add_co_ci_u32_e64 v46, null, v1, v2, vcc_lo
	v_mov_b32_e32 v2, v46
; %bb.121:
	s_or_b32 exec_lo, exec_lo, s0
	v_mov_b32_dpp v1, v3 row_shr:2 row_mask:0xf bank_mask:0xf
	s_delay_alu instid0(VALU_DEP_2)
	v_mov_b32_dpp v4, v2 row_shr:2 row_mask:0xf bank_mask:0xf
	s_mov_b32 s0, exec_lo
	v_cmpx_lt_u32_e32 1, v62
; %bb.122:
	s_delay_alu instid0(VALU_DEP_3) | instskip(SKIP_2) | instid1(VALU_DEP_2)
	v_add_co_u32 v3, vcc_lo, v45, v1
	s_wait_alu 0xfffd
	v_add_co_ci_u32_e64 v2, null, 0, v46, vcc_lo
	v_add_co_u32 v1, vcc_lo, 0, v3
	s_wait_alu 0xfffd
	s_delay_alu instid0(VALU_DEP_2) | instskip(NEXT) | instid1(VALU_DEP_1)
	v_add_co_ci_u32_e64 v2, null, v4, v2, vcc_lo
	v_dual_mov_b32 v46, v2 :: v_dual_mov_b32 v45, v1
; %bb.123:
	s_or_b32 exec_lo, exec_lo, s0
	v_mov_b32_dpp v1, v3 row_shr:4 row_mask:0xf bank_mask:0xf
	v_mov_b32_dpp v4, v2 row_shr:4 row_mask:0xf bank_mask:0xf
	s_mov_b32 s0, exec_lo
	v_cmpx_lt_u32_e32 3, v62
; %bb.124:
	s_delay_alu instid0(VALU_DEP_3) | instskip(SKIP_2) | instid1(VALU_DEP_2)
	v_add_co_u32 v3, vcc_lo, v45, v1
	s_wait_alu 0xfffd
	v_add_co_ci_u32_e64 v2, null, 0, v46, vcc_lo
	v_add_co_u32 v1, vcc_lo, 0, v3
	s_wait_alu 0xfffd
	s_delay_alu instid0(VALU_DEP_2) | instskip(NEXT) | instid1(VALU_DEP_1)
	v_add_co_ci_u32_e64 v2, null, v4, v2, vcc_lo
	v_dual_mov_b32 v46, v2 :: v_dual_mov_b32 v45, v1
; %bb.125:
	s_or_b32 exec_lo, exec_lo, s0
	v_mov_b32_dpp v4, v3 row_shr:8 row_mask:0xf bank_mask:0xf
	v_mov_b32_dpp v1, v2 row_shr:8 row_mask:0xf bank_mask:0xf
	s_mov_b32 s0, exec_lo
	v_cmpx_lt_u32_e32 7, v62
; %bb.126:
	s_delay_alu instid0(VALU_DEP_3) | instskip(SKIP_2) | instid1(VALU_DEP_2)
	v_add_co_u32 v3, vcc_lo, v45, v4
	s_wait_alu 0xfffd
	v_add_co_ci_u32_e64 v2, null, 0, v46, vcc_lo
	v_add_co_u32 v45, vcc_lo, 0, v3
	s_wait_alu 0xfffd
	s_delay_alu instid0(VALU_DEP_2) | instskip(NEXT) | instid1(VALU_DEP_1)
	v_add_co_ci_u32_e64 v46, null, v1, v2, vcc_lo
	v_mov_b32_e32 v2, v46
; %bb.127:
	s_or_b32 exec_lo, exec_lo, s0
	ds_swizzle_b32 v3, v3 offset:swizzle(BROADCAST,32,15)
	ds_swizzle_b32 v1, v2 offset:swizzle(BROADCAST,32,15)
	v_and_b32_e32 v2, 16, v61
	s_mov_b32 s0, exec_lo
	s_delay_alu instid0(VALU_DEP_1)
	v_cmpx_ne_u32_e32 0, v2
	s_cbranch_execz .LBB2466_129
; %bb.128:
	s_wait_dscnt 0x1
	v_add_co_u32 v2, vcc_lo, v45, v3
	s_wait_alu 0xfffd
	v_add_co_ci_u32_e64 v3, null, 0, v46, vcc_lo
	s_delay_alu instid0(VALU_DEP_2) | instskip(SKIP_2) | instid1(VALU_DEP_2)
	v_add_co_u32 v45, vcc_lo, v2, 0
	s_wait_dscnt 0x0
	s_wait_alu 0xfffd
	v_add_co_ci_u32_e64 v46, null, v3, v1, vcc_lo
.LBB2466_129:
	s_or_b32 exec_lo, exec_lo, s0
	s_wait_dscnt 0x0
	v_or_b32_e32 v1, 31, v0
	v_lshrrev_b32_e32 v3, 5, v0
	s_mov_b32 s0, exec_lo
	s_delay_alu instid0(VALU_DEP_2)
	v_cmpx_eq_u32_e64 v0, v1
; %bb.130:
	s_delay_alu instid0(VALU_DEP_2)
	v_lshlrev_b32_e32 v1, 3, v3
	ds_store_b64 v1, v[45:46]
; %bb.131:
	s_or_b32 exec_lo, exec_lo, s0
	s_delay_alu instid0(SALU_CYCLE_1)
	s_mov_b32 s0, exec_lo
	s_wait_loadcnt_dscnt 0x0
	s_barrier_signal -1
	s_barrier_wait -1
	global_inv scope:SCOPE_SE
	v_cmpx_gt_u32_e32 8, v0
	s_cbranch_execz .LBB2466_139
; %bb.132:
	v_lshlrev_b32_e32 v4, 2, v0
	s_mov_b32 s1, exec_lo
	s_delay_alu instid0(VALU_DEP_1)
	v_sub_nc_u32_e32 v1, v51, v4
	ds_load_b64 v[1:2], v1
	s_wait_dscnt 0x0
	v_dual_mov_b32 v6, v1 :: v_dual_and_b32 v5, 7, v61
	v_mov_b32_dpp v8, v1 row_shr:1 row_mask:0xf bank_mask:0xf
	v_mov_b32_dpp v7, v2 row_shr:1 row_mask:0xf bank_mask:0xf
	s_delay_alu instid0(VALU_DEP_3)
	v_cmpx_ne_u32_e32 0, v5
; %bb.133:
	s_delay_alu instid0(VALU_DEP_3) | instskip(SKIP_2) | instid1(VALU_DEP_2)
	v_add_co_u32 v6, vcc_lo, v1, v8
	s_wait_alu 0xfffd
	v_add_co_ci_u32_e64 v2, null, 0, v2, vcc_lo
	v_add_co_u32 v1, vcc_lo, 0, v6
	s_wait_alu 0xfffd
	s_delay_alu instid0(VALU_DEP_2)
	v_add_co_ci_u32_e64 v2, null, v7, v2, vcc_lo
; %bb.134:
	s_or_b32 exec_lo, exec_lo, s1
	v_mov_b32_dpp v8, v6 row_shr:2 row_mask:0xf bank_mask:0xf
	s_delay_alu instid0(VALU_DEP_2)
	v_mov_b32_dpp v7, v2 row_shr:2 row_mask:0xf bank_mask:0xf
	s_mov_b32 s1, exec_lo
	v_cmpx_lt_u32_e32 1, v5
; %bb.135:
	s_delay_alu instid0(VALU_DEP_3) | instskip(SKIP_2) | instid1(VALU_DEP_2)
	v_add_co_u32 v6, vcc_lo, v1, v8
	s_wait_alu 0xfffd
	v_add_co_ci_u32_e64 v2, null, 0, v2, vcc_lo
	v_add_co_u32 v1, vcc_lo, 0, v6
	s_wait_alu 0xfffd
	s_delay_alu instid0(VALU_DEP_2)
	v_add_co_ci_u32_e64 v2, null, v7, v2, vcc_lo
; %bb.136:
	s_or_b32 exec_lo, exec_lo, s1
	v_sub_nc_u32_e32 v4, 0, v4
	v_mov_b32_dpp v7, v6 row_shr:4 row_mask:0xf bank_mask:0xf
	s_delay_alu instid0(VALU_DEP_3)
	v_mov_b32_dpp v6, v2 row_shr:4 row_mask:0xf bank_mask:0xf
	s_mov_b32 s1, exec_lo
	v_cmpx_lt_u32_e32 3, v5
; %bb.137:
	s_delay_alu instid0(VALU_DEP_3) | instskip(SKIP_2) | instid1(VALU_DEP_2)
	v_add_co_u32 v1, vcc_lo, v1, v7
	s_wait_alu 0xfffd
	v_add_co_ci_u32_e64 v2, null, 0, v2, vcc_lo
	v_add_co_u32 v1, vcc_lo, v1, 0
	s_wait_alu 0xfffd
	s_delay_alu instid0(VALU_DEP_2)
	v_add_co_ci_u32_e64 v2, null, v2, v6, vcc_lo
; %bb.138:
	s_or_b32 exec_lo, exec_lo, s1
	v_add_nc_u32_e32 v4, v51, v4
	ds_store_b64 v4, v[1:2]
.LBB2466_139:
	s_or_b32 exec_lo, exec_lo, s0
	v_mov_b32_e32 v1, 0
	v_mov_b32_e32 v2, 0
	s_mov_b32 s0, exec_lo
	s_wait_loadcnt_dscnt 0x0
	s_barrier_signal -1
	s_barrier_wait -1
	global_inv scope:SCOPE_SE
	v_cmpx_lt_u32_e32 31, v0
; %bb.140:
	v_lshl_add_u32 v1, v3, 3, -8
	ds_load_b64 v[1:2], v1
; %bb.141:
	s_or_b32 exec_lo, exec_lo, s0
	v_sub_co_u32 v3, vcc_lo, v61, 1
	v_mov_b32_e32 v40, 0
	s_delay_alu instid0(VALU_DEP_2) | instskip(SKIP_2) | instid1(VALU_DEP_1)
	v_cmp_gt_i32_e64 s0, 0, v3
	ds_load_b64 v[37:38], v40 offset:56
	v_cndmask_b32_e64 v3, v3, v61, s0
	v_lshlrev_b32_e32 v4, 2, v3
	s_wait_dscnt 0x1
	v_add_co_u32 v3, s0, v1, v45
	s_wait_alu 0xf1ff
	v_add_co_ci_u32_e64 v5, null, v2, v46, s0
	v_cmp_eq_u32_e64 s0, 0, v0
	ds_bpermute_b32 v3, v4, v3
	ds_bpermute_b32 v4, v4, v5
	s_and_saveexec_b32 s1, s0
	s_cbranch_execz .LBB2466_143
; %bb.142:
	s_wait_kmcnt 0x0
	s_add_nc_u64 s[2:3], s[6:7], 0x200
	s_wait_alu 0xfffe
	v_dual_mov_b32 v39, 2 :: v_dual_mov_b32 v6, s3
	v_mov_b32_e32 v5, s2
	s_wait_dscnt 0x2
	;;#ASMSTART
	global_store_b128 v[5:6], v[37:40] off scope:SCOPE_DEV	
s_wait_storecnt 0x0
	;;#ASMEND
.LBB2466_143:
	s_wait_alu 0xfffe
	s_or_b32 exec_lo, exec_lo, s1
	s_wait_dscnt 0x0
	s_wait_alu 0xfffd
	v_dual_cndmask_b32 v1, v3, v1 :: v_dual_cndmask_b32 v2, v4, v2
	v_mov_b32_e32 v39, 0
	v_mov_b32_e32 v40, 0
	s_wait_loadcnt 0x0
	s_delay_alu instid0(VALU_DEP_3)
	v_cndmask_b32_e64 v1, v1, 0, s0
	v_cndmask_b32_e64 v2, v2, 0, s0
	s_barrier_signal -1
	s_barrier_wait -1
	global_inv scope:SCOPE_SE
	v_add_co_u32 v3, vcc_lo, v1, v53
	s_wait_alu 0xfffd
	v_add_co_ci_u32_e64 v4, null, 0, v2, vcc_lo
	s_delay_alu instid0(VALU_DEP_2) | instskip(SKIP_1) | instid1(VALU_DEP_2)
	v_add_co_u32 v5, vcc_lo, v3, v54
	s_wait_alu 0xfffd
	v_add_co_ci_u32_e64 v6, null, 0, v4, vcc_lo
	s_delay_alu instid0(VALU_DEP_2) | instskip(SKIP_1) | instid1(VALU_DEP_2)
	;; [unrolled: 4-line block ×10, first 2 shown]
	v_add_co_u32 v23, vcc_lo, v21, v55
	s_wait_alu 0xfffd
	v_add_co_ci_u32_e64 v24, null, 0, v22, vcc_lo
.LBB2466_144:
	v_lshrrev_b32_e32 v54, 8, v43
	v_lshrrev_b32_e32 v52, 16, v43
	v_and_b32_e32 v43, 1, v43
	s_wait_dscnt 0x0
	v_cmp_gt_u64_e32 vcc_lo, 0x101, v[37:38]
	v_lshrrev_b32_e32 v45, 8, v44
	v_lshrrev_b32_e32 v32, 16, v44
	;; [unrolled: 1-line block ×10, first 2 shown]
	v_cmp_eq_u32_e64 s0, 1, v43
	s_mov_b32 s1, -1
	s_cbranch_vccnz .LBB2466_148
; %bb.145:
	s_wait_alu 0xfffe
	s_and_b32 vcc_lo, exec_lo, s1
	s_wait_alu 0xfffe
	s_cbranch_vccnz .LBB2466_173
.LBB2466_146:
	v_cmp_eq_u32_e32 vcc_lo, 0, v0
	s_and_b32 s0, vcc_lo, s16
	s_wait_alu 0xfffe
	s_and_saveexec_b32 s1, s0
	s_cbranch_execnz .LBB2466_200
.LBB2466_147:
	s_endpgm
.LBB2466_148:
	v_add_co_u32 v25, vcc_lo, v39, v37
	s_wait_alu 0xfffd
	v_add_co_ci_u32_e64 v26, null, v40, v38, vcc_lo
	s_lshl_b64 s[2:3], s[10:11], 1
	s_wait_kmcnt 0x0
	s_wait_alu 0xfffe
	s_add_nc_u64 s[2:3], s[4:5], s[2:3]
	v_cmp_lt_u64_e32 vcc_lo, v[1:2], v[25:26]
	s_or_b32 s1, s17, vcc_lo
	s_wait_alu 0xfffe
	s_and_b32 s1, s1, s0
	s_wait_alu 0xfffe
	s_and_saveexec_b32 s0, s1
	s_cbranch_execz .LBB2466_150
; %bb.149:
	v_lshlrev_b64_e32 v[55:56], 1, v[1:2]
	s_delay_alu instid0(VALU_DEP_1) | instskip(SKIP_1) | instid1(VALU_DEP_2)
	v_add_co_u32 v55, vcc_lo, s2, v55
	s_wait_alu 0xfffd
	v_add_co_ci_u32_e64 v56, null, s3, v56, vcc_lo
	global_store_b16 v[55:56], v33, off
.LBB2466_150:
	s_wait_alu 0xfffe
	s_or_b32 exec_lo, exec_lo, s0
	v_and_b32_e32 v2, 1, v54
	v_cmp_lt_u64_e32 vcc_lo, v[3:4], v[25:26]
	s_delay_alu instid0(VALU_DEP_2)
	v_cmp_eq_u32_e64 s0, 1, v2
	s_or_b32 s1, s17, vcc_lo
	s_wait_alu 0xfffe
	s_and_b32 s1, s1, s0
	s_wait_alu 0xfffe
	s_and_saveexec_b32 s0, s1
	s_cbranch_execz .LBB2466_152
; %bb.151:
	v_lshlrev_b64_e32 v[55:56], 1, v[3:4]
	s_delay_alu instid0(VALU_DEP_1) | instskip(SKIP_1) | instid1(VALU_DEP_2)
	v_add_co_u32 v55, vcc_lo, s2, v55
	s_wait_alu 0xfffd
	v_add_co_ci_u32_e64 v56, null, s3, v56, vcc_lo
	global_store_b16 v[55:56], v53, off
.LBB2466_152:
	s_wait_alu 0xfffe
	s_or_b32 exec_lo, exec_lo, s0
	v_and_b32_e32 v2, 1, v52
	v_cmp_lt_u64_e32 vcc_lo, v[5:6], v[25:26]
	s_delay_alu instid0(VALU_DEP_2)
	v_cmp_eq_u32_e64 s0, 1, v2
	;; [unrolled: 20-line block ×11, first 2 shown]
	s_or_b32 s1, s17, vcc_lo
	s_wait_alu 0xfffe
	s_and_b32 s1, s1, s0
	s_wait_alu 0xfffe
	s_and_saveexec_b32 s0, s1
	s_cbranch_execz .LBB2466_172
; %bb.171:
	v_lshlrev_b64_e32 v[24:25], 1, v[23:24]
	s_delay_alu instid0(VALU_DEP_1) | instskip(SKIP_1) | instid1(VALU_DEP_2)
	v_add_co_u32 v24, vcc_lo, s2, v24
	s_wait_alu 0xfffd
	v_add_co_ci_u32_e64 v25, null, s3, v25, vcc_lo
	global_store_b16 v[24:25], v27, off
.LBB2466_172:
	s_wait_alu 0xfffe
	s_or_b32 exec_lo, exec_lo, s0
	s_branch .LBB2466_146
.LBB2466_173:
	s_mov_b32 s0, exec_lo
	v_cmpx_eq_u32_e32 1, v43
; %bb.174:
	v_sub_nc_u32_e32 v1, v1, v39
	s_delay_alu instid0(VALU_DEP_1)
	v_lshlrev_b32_e32 v1, 1, v1
	ds_store_b16 v1, v33
; %bb.175:
	s_wait_alu 0xfffe
	s_or_b32 exec_lo, exec_lo, s0
	v_and_b32_e32 v1, 1, v54
	s_mov_b32 s0, exec_lo
	s_delay_alu instid0(VALU_DEP_1)
	v_cmpx_eq_u32_e32 1, v1
; %bb.176:
	v_sub_nc_u32_e32 v1, v3, v39
	s_delay_alu instid0(VALU_DEP_1)
	v_lshlrev_b32_e32 v1, 1, v1
	ds_store_b16 v1, v53
; %bb.177:
	s_wait_alu 0xfffe
	s_or_b32 exec_lo, exec_lo, s0
	v_and_b32_e32 v1, 1, v52
	s_mov_b32 s0, exec_lo
	s_delay_alu instid0(VALU_DEP_1)
	;; [unrolled: 12-line block ×11, first 2 shown]
	v_cmpx_eq_u32_e32 1, v1
; %bb.196:
	v_sub_nc_u32_e32 v1, v23, v39
	s_delay_alu instid0(VALU_DEP_1)
	v_lshlrev_b32_e32 v1, 1, v1
	ds_store_b16 v1, v27
; %bb.197:
	s_wait_alu 0xfffe
	s_or_b32 exec_lo, exec_lo, s0
	v_lshlrev_b64_e32 v[1:2], 1, v[39:40]
	v_mov_b32_e32 v3, 0
	s_lshl_b64 s[0:1], s[10:11], 1
	s_wait_storecnt 0x0
	s_wait_loadcnt_dscnt 0x0
	s_barrier_signal -1
	s_barrier_wait -1
	s_wait_kmcnt 0x0
	v_add_co_u32 v4, vcc_lo, s4, v1
	v_mov_b32_e32 v1, v3
	s_wait_alu 0xfffd
	v_add_co_ci_u32_e64 v2, null, s5, v2, vcc_lo
	s_wait_alu 0xfffe
	v_add_co_u32 v6, vcc_lo, v4, s0
	v_mov_b32_e32 v5, v1
	s_wait_alu 0xfffd
	v_add_co_ci_u32_e64 v7, null, s1, v2, vcc_lo
	v_or_b32_e32 v2, 0x100, v0
	v_mov_b32_e32 v4, v0
	s_mov_b32 s1, 0
	global_inv scope:SCOPE_SE
.LBB2466_198:                           ; =>This Inner Loop Header: Depth=1
	v_lshlrev_b32_e32 v1, 1, v4
	v_lshlrev_b64_e32 v[8:9], 1, v[4:5]
	v_dual_mov_b32 v5, v3 :: v_dual_mov_b32 v4, v2
	v_cmp_le_u64_e32 vcc_lo, v[37:38], v[2:3]
	ds_load_u16 v1, v1
	v_add_nc_u32_e32 v2, 0x100, v2
	v_add_co_u32 v8, s0, v6, v8
	s_wait_alu 0xf1ff
	v_add_co_ci_u32_e64 v9, null, v7, v9, s0
	s_wait_alu 0xfffe
	s_or_b32 s1, vcc_lo, s1
	s_wait_dscnt 0x0
	global_store_b16 v[8:9], v1, off
	s_wait_alu 0xfffe
	s_and_not1_b32 exec_lo, exec_lo, s1
	s_cbranch_execnz .LBB2466_198
; %bb.199:
	s_or_b32 exec_lo, exec_lo, s1
	v_cmp_eq_u32_e32 vcc_lo, 0, v0
	s_and_b32 s0, vcc_lo, s16
	s_wait_alu 0xfffe
	s_and_saveexec_b32 s1, s0
	s_cbranch_execz .LBB2466_147
.LBB2466_200:
	v_add_co_u32 v0, vcc_lo, v39, v37
	s_wait_alu 0xfffd
	v_add_co_ci_u32_e64 v1, null, v40, v38, vcc_lo
	v_mov_b32_e32 v2, 0
	s_delay_alu instid0(VALU_DEP_3) | instskip(SKIP_1) | instid1(VALU_DEP_3)
	v_add_co_u32 v0, vcc_lo, v0, s10
	s_wait_alu 0xfffd
	v_add_co_ci_u32_e64 v1, null, s11, v1, vcc_lo
	global_store_b64 v2, v[0:1], s[8:9]
	s_endpgm
	.section	.rodata,"a",@progbits
	.p2align	6, 0x0
	.amdhsa_kernel _ZN7rocprim17ROCPRIM_400000_NS6detail17trampoline_kernelINS0_14default_configENS1_25partition_config_selectorILNS1_17partition_subalgoE5EtNS0_10empty_typeEbEEZZNS1_14partition_implILS5_5ELb0ES3_mN6thrust23THRUST_200600_302600_NS6detail15normal_iteratorINSA_10device_ptrItEEEEPS6_NSA_18transform_iteratorINSB_9not_fun_tI7is_trueItEEENSC_INSD_IbEEEENSA_11use_defaultESO_EENS0_5tupleIJSF_S6_EEENSQ_IJSG_SG_EEES6_PlJS6_EEE10hipError_tPvRmT3_T4_T5_T6_T7_T9_mT8_P12ihipStream_tbDpT10_ENKUlT_T0_E_clISt17integral_constantIbLb0EES1D_EEDaS18_S19_EUlS18_E_NS1_11comp_targetILNS1_3genE10ELNS1_11target_archE1200ELNS1_3gpuE4ELNS1_3repE0EEENS1_30default_config_static_selectorELNS0_4arch9wavefront6targetE0EEEvT1_
		.amdhsa_group_segment_fixed_size 6160
		.amdhsa_private_segment_fixed_size 0
		.amdhsa_kernarg_size 120
		.amdhsa_user_sgpr_count 2
		.amdhsa_user_sgpr_dispatch_ptr 0
		.amdhsa_user_sgpr_queue_ptr 0
		.amdhsa_user_sgpr_kernarg_segment_ptr 1
		.amdhsa_user_sgpr_dispatch_id 0
		.amdhsa_user_sgpr_private_segment_size 0
		.amdhsa_wavefront_size32 1
		.amdhsa_uses_dynamic_stack 0
		.amdhsa_enable_private_segment 0
		.amdhsa_system_sgpr_workgroup_id_x 1
		.amdhsa_system_sgpr_workgroup_id_y 0
		.amdhsa_system_sgpr_workgroup_id_z 0
		.amdhsa_system_sgpr_workgroup_info 0
		.amdhsa_system_vgpr_workitem_id 0
		.amdhsa_next_free_vgpr 63
		.amdhsa_next_free_sgpr 21
		.amdhsa_reserve_vcc 1
		.amdhsa_float_round_mode_32 0
		.amdhsa_float_round_mode_16_64 0
		.amdhsa_float_denorm_mode_32 3
		.amdhsa_float_denorm_mode_16_64 3
		.amdhsa_fp16_overflow 0
		.amdhsa_workgroup_processor_mode 1
		.amdhsa_memory_ordered 1
		.amdhsa_forward_progress 1
		.amdhsa_inst_pref_size 80
		.amdhsa_round_robin_scheduling 0
		.amdhsa_exception_fp_ieee_invalid_op 0
		.amdhsa_exception_fp_denorm_src 0
		.amdhsa_exception_fp_ieee_div_zero 0
		.amdhsa_exception_fp_ieee_overflow 0
		.amdhsa_exception_fp_ieee_underflow 0
		.amdhsa_exception_fp_ieee_inexact 0
		.amdhsa_exception_int_div_zero 0
	.end_amdhsa_kernel
	.section	.text._ZN7rocprim17ROCPRIM_400000_NS6detail17trampoline_kernelINS0_14default_configENS1_25partition_config_selectorILNS1_17partition_subalgoE5EtNS0_10empty_typeEbEEZZNS1_14partition_implILS5_5ELb0ES3_mN6thrust23THRUST_200600_302600_NS6detail15normal_iteratorINSA_10device_ptrItEEEEPS6_NSA_18transform_iteratorINSB_9not_fun_tI7is_trueItEEENSC_INSD_IbEEEENSA_11use_defaultESO_EENS0_5tupleIJSF_S6_EEENSQ_IJSG_SG_EEES6_PlJS6_EEE10hipError_tPvRmT3_T4_T5_T6_T7_T9_mT8_P12ihipStream_tbDpT10_ENKUlT_T0_E_clISt17integral_constantIbLb0EES1D_EEDaS18_S19_EUlS18_E_NS1_11comp_targetILNS1_3genE10ELNS1_11target_archE1200ELNS1_3gpuE4ELNS1_3repE0EEENS1_30default_config_static_selectorELNS0_4arch9wavefront6targetE0EEEvT1_,"axG",@progbits,_ZN7rocprim17ROCPRIM_400000_NS6detail17trampoline_kernelINS0_14default_configENS1_25partition_config_selectorILNS1_17partition_subalgoE5EtNS0_10empty_typeEbEEZZNS1_14partition_implILS5_5ELb0ES3_mN6thrust23THRUST_200600_302600_NS6detail15normal_iteratorINSA_10device_ptrItEEEEPS6_NSA_18transform_iteratorINSB_9not_fun_tI7is_trueItEEENSC_INSD_IbEEEENSA_11use_defaultESO_EENS0_5tupleIJSF_S6_EEENSQ_IJSG_SG_EEES6_PlJS6_EEE10hipError_tPvRmT3_T4_T5_T6_T7_T9_mT8_P12ihipStream_tbDpT10_ENKUlT_T0_E_clISt17integral_constantIbLb0EES1D_EEDaS18_S19_EUlS18_E_NS1_11comp_targetILNS1_3genE10ELNS1_11target_archE1200ELNS1_3gpuE4ELNS1_3repE0EEENS1_30default_config_static_selectorELNS0_4arch9wavefront6targetE0EEEvT1_,comdat
.Lfunc_end2466:
	.size	_ZN7rocprim17ROCPRIM_400000_NS6detail17trampoline_kernelINS0_14default_configENS1_25partition_config_selectorILNS1_17partition_subalgoE5EtNS0_10empty_typeEbEEZZNS1_14partition_implILS5_5ELb0ES3_mN6thrust23THRUST_200600_302600_NS6detail15normal_iteratorINSA_10device_ptrItEEEEPS6_NSA_18transform_iteratorINSB_9not_fun_tI7is_trueItEEENSC_INSD_IbEEEENSA_11use_defaultESO_EENS0_5tupleIJSF_S6_EEENSQ_IJSG_SG_EEES6_PlJS6_EEE10hipError_tPvRmT3_T4_T5_T6_T7_T9_mT8_P12ihipStream_tbDpT10_ENKUlT_T0_E_clISt17integral_constantIbLb0EES1D_EEDaS18_S19_EUlS18_E_NS1_11comp_targetILNS1_3genE10ELNS1_11target_archE1200ELNS1_3gpuE4ELNS1_3repE0EEENS1_30default_config_static_selectorELNS0_4arch9wavefront6targetE0EEEvT1_, .Lfunc_end2466-_ZN7rocprim17ROCPRIM_400000_NS6detail17trampoline_kernelINS0_14default_configENS1_25partition_config_selectorILNS1_17partition_subalgoE5EtNS0_10empty_typeEbEEZZNS1_14partition_implILS5_5ELb0ES3_mN6thrust23THRUST_200600_302600_NS6detail15normal_iteratorINSA_10device_ptrItEEEEPS6_NSA_18transform_iteratorINSB_9not_fun_tI7is_trueItEEENSC_INSD_IbEEEENSA_11use_defaultESO_EENS0_5tupleIJSF_S6_EEENSQ_IJSG_SG_EEES6_PlJS6_EEE10hipError_tPvRmT3_T4_T5_T6_T7_T9_mT8_P12ihipStream_tbDpT10_ENKUlT_T0_E_clISt17integral_constantIbLb0EES1D_EEDaS18_S19_EUlS18_E_NS1_11comp_targetILNS1_3genE10ELNS1_11target_archE1200ELNS1_3gpuE4ELNS1_3repE0EEENS1_30default_config_static_selectorELNS0_4arch9wavefront6targetE0EEEvT1_
                                        ; -- End function
	.set _ZN7rocprim17ROCPRIM_400000_NS6detail17trampoline_kernelINS0_14default_configENS1_25partition_config_selectorILNS1_17partition_subalgoE5EtNS0_10empty_typeEbEEZZNS1_14partition_implILS5_5ELb0ES3_mN6thrust23THRUST_200600_302600_NS6detail15normal_iteratorINSA_10device_ptrItEEEEPS6_NSA_18transform_iteratorINSB_9not_fun_tI7is_trueItEEENSC_INSD_IbEEEENSA_11use_defaultESO_EENS0_5tupleIJSF_S6_EEENSQ_IJSG_SG_EEES6_PlJS6_EEE10hipError_tPvRmT3_T4_T5_T6_T7_T9_mT8_P12ihipStream_tbDpT10_ENKUlT_T0_E_clISt17integral_constantIbLb0EES1D_EEDaS18_S19_EUlS18_E_NS1_11comp_targetILNS1_3genE10ELNS1_11target_archE1200ELNS1_3gpuE4ELNS1_3repE0EEENS1_30default_config_static_selectorELNS0_4arch9wavefront6targetE0EEEvT1_.num_vgpr, 63
	.set _ZN7rocprim17ROCPRIM_400000_NS6detail17trampoline_kernelINS0_14default_configENS1_25partition_config_selectorILNS1_17partition_subalgoE5EtNS0_10empty_typeEbEEZZNS1_14partition_implILS5_5ELb0ES3_mN6thrust23THRUST_200600_302600_NS6detail15normal_iteratorINSA_10device_ptrItEEEEPS6_NSA_18transform_iteratorINSB_9not_fun_tI7is_trueItEEENSC_INSD_IbEEEENSA_11use_defaultESO_EENS0_5tupleIJSF_S6_EEENSQ_IJSG_SG_EEES6_PlJS6_EEE10hipError_tPvRmT3_T4_T5_T6_T7_T9_mT8_P12ihipStream_tbDpT10_ENKUlT_T0_E_clISt17integral_constantIbLb0EES1D_EEDaS18_S19_EUlS18_E_NS1_11comp_targetILNS1_3genE10ELNS1_11target_archE1200ELNS1_3gpuE4ELNS1_3repE0EEENS1_30default_config_static_selectorELNS0_4arch9wavefront6targetE0EEEvT1_.num_agpr, 0
	.set _ZN7rocprim17ROCPRIM_400000_NS6detail17trampoline_kernelINS0_14default_configENS1_25partition_config_selectorILNS1_17partition_subalgoE5EtNS0_10empty_typeEbEEZZNS1_14partition_implILS5_5ELb0ES3_mN6thrust23THRUST_200600_302600_NS6detail15normal_iteratorINSA_10device_ptrItEEEEPS6_NSA_18transform_iteratorINSB_9not_fun_tI7is_trueItEEENSC_INSD_IbEEEENSA_11use_defaultESO_EENS0_5tupleIJSF_S6_EEENSQ_IJSG_SG_EEES6_PlJS6_EEE10hipError_tPvRmT3_T4_T5_T6_T7_T9_mT8_P12ihipStream_tbDpT10_ENKUlT_T0_E_clISt17integral_constantIbLb0EES1D_EEDaS18_S19_EUlS18_E_NS1_11comp_targetILNS1_3genE10ELNS1_11target_archE1200ELNS1_3gpuE4ELNS1_3repE0EEENS1_30default_config_static_selectorELNS0_4arch9wavefront6targetE0EEEvT1_.numbered_sgpr, 21
	.set _ZN7rocprim17ROCPRIM_400000_NS6detail17trampoline_kernelINS0_14default_configENS1_25partition_config_selectorILNS1_17partition_subalgoE5EtNS0_10empty_typeEbEEZZNS1_14partition_implILS5_5ELb0ES3_mN6thrust23THRUST_200600_302600_NS6detail15normal_iteratorINSA_10device_ptrItEEEEPS6_NSA_18transform_iteratorINSB_9not_fun_tI7is_trueItEEENSC_INSD_IbEEEENSA_11use_defaultESO_EENS0_5tupleIJSF_S6_EEENSQ_IJSG_SG_EEES6_PlJS6_EEE10hipError_tPvRmT3_T4_T5_T6_T7_T9_mT8_P12ihipStream_tbDpT10_ENKUlT_T0_E_clISt17integral_constantIbLb0EES1D_EEDaS18_S19_EUlS18_E_NS1_11comp_targetILNS1_3genE10ELNS1_11target_archE1200ELNS1_3gpuE4ELNS1_3repE0EEENS1_30default_config_static_selectorELNS0_4arch9wavefront6targetE0EEEvT1_.num_named_barrier, 0
	.set _ZN7rocprim17ROCPRIM_400000_NS6detail17trampoline_kernelINS0_14default_configENS1_25partition_config_selectorILNS1_17partition_subalgoE5EtNS0_10empty_typeEbEEZZNS1_14partition_implILS5_5ELb0ES3_mN6thrust23THRUST_200600_302600_NS6detail15normal_iteratorINSA_10device_ptrItEEEEPS6_NSA_18transform_iteratorINSB_9not_fun_tI7is_trueItEEENSC_INSD_IbEEEENSA_11use_defaultESO_EENS0_5tupleIJSF_S6_EEENSQ_IJSG_SG_EEES6_PlJS6_EEE10hipError_tPvRmT3_T4_T5_T6_T7_T9_mT8_P12ihipStream_tbDpT10_ENKUlT_T0_E_clISt17integral_constantIbLb0EES1D_EEDaS18_S19_EUlS18_E_NS1_11comp_targetILNS1_3genE10ELNS1_11target_archE1200ELNS1_3gpuE4ELNS1_3repE0EEENS1_30default_config_static_selectorELNS0_4arch9wavefront6targetE0EEEvT1_.private_seg_size, 0
	.set _ZN7rocprim17ROCPRIM_400000_NS6detail17trampoline_kernelINS0_14default_configENS1_25partition_config_selectorILNS1_17partition_subalgoE5EtNS0_10empty_typeEbEEZZNS1_14partition_implILS5_5ELb0ES3_mN6thrust23THRUST_200600_302600_NS6detail15normal_iteratorINSA_10device_ptrItEEEEPS6_NSA_18transform_iteratorINSB_9not_fun_tI7is_trueItEEENSC_INSD_IbEEEENSA_11use_defaultESO_EENS0_5tupleIJSF_S6_EEENSQ_IJSG_SG_EEES6_PlJS6_EEE10hipError_tPvRmT3_T4_T5_T6_T7_T9_mT8_P12ihipStream_tbDpT10_ENKUlT_T0_E_clISt17integral_constantIbLb0EES1D_EEDaS18_S19_EUlS18_E_NS1_11comp_targetILNS1_3genE10ELNS1_11target_archE1200ELNS1_3gpuE4ELNS1_3repE0EEENS1_30default_config_static_selectorELNS0_4arch9wavefront6targetE0EEEvT1_.uses_vcc, 1
	.set _ZN7rocprim17ROCPRIM_400000_NS6detail17trampoline_kernelINS0_14default_configENS1_25partition_config_selectorILNS1_17partition_subalgoE5EtNS0_10empty_typeEbEEZZNS1_14partition_implILS5_5ELb0ES3_mN6thrust23THRUST_200600_302600_NS6detail15normal_iteratorINSA_10device_ptrItEEEEPS6_NSA_18transform_iteratorINSB_9not_fun_tI7is_trueItEEENSC_INSD_IbEEEENSA_11use_defaultESO_EENS0_5tupleIJSF_S6_EEENSQ_IJSG_SG_EEES6_PlJS6_EEE10hipError_tPvRmT3_T4_T5_T6_T7_T9_mT8_P12ihipStream_tbDpT10_ENKUlT_T0_E_clISt17integral_constantIbLb0EES1D_EEDaS18_S19_EUlS18_E_NS1_11comp_targetILNS1_3genE10ELNS1_11target_archE1200ELNS1_3gpuE4ELNS1_3repE0EEENS1_30default_config_static_selectorELNS0_4arch9wavefront6targetE0EEEvT1_.uses_flat_scratch, 1
	.set _ZN7rocprim17ROCPRIM_400000_NS6detail17trampoline_kernelINS0_14default_configENS1_25partition_config_selectorILNS1_17partition_subalgoE5EtNS0_10empty_typeEbEEZZNS1_14partition_implILS5_5ELb0ES3_mN6thrust23THRUST_200600_302600_NS6detail15normal_iteratorINSA_10device_ptrItEEEEPS6_NSA_18transform_iteratorINSB_9not_fun_tI7is_trueItEEENSC_INSD_IbEEEENSA_11use_defaultESO_EENS0_5tupleIJSF_S6_EEENSQ_IJSG_SG_EEES6_PlJS6_EEE10hipError_tPvRmT3_T4_T5_T6_T7_T9_mT8_P12ihipStream_tbDpT10_ENKUlT_T0_E_clISt17integral_constantIbLb0EES1D_EEDaS18_S19_EUlS18_E_NS1_11comp_targetILNS1_3genE10ELNS1_11target_archE1200ELNS1_3gpuE4ELNS1_3repE0EEENS1_30default_config_static_selectorELNS0_4arch9wavefront6targetE0EEEvT1_.has_dyn_sized_stack, 0
	.set _ZN7rocprim17ROCPRIM_400000_NS6detail17trampoline_kernelINS0_14default_configENS1_25partition_config_selectorILNS1_17partition_subalgoE5EtNS0_10empty_typeEbEEZZNS1_14partition_implILS5_5ELb0ES3_mN6thrust23THRUST_200600_302600_NS6detail15normal_iteratorINSA_10device_ptrItEEEEPS6_NSA_18transform_iteratorINSB_9not_fun_tI7is_trueItEEENSC_INSD_IbEEEENSA_11use_defaultESO_EENS0_5tupleIJSF_S6_EEENSQ_IJSG_SG_EEES6_PlJS6_EEE10hipError_tPvRmT3_T4_T5_T6_T7_T9_mT8_P12ihipStream_tbDpT10_ENKUlT_T0_E_clISt17integral_constantIbLb0EES1D_EEDaS18_S19_EUlS18_E_NS1_11comp_targetILNS1_3genE10ELNS1_11target_archE1200ELNS1_3gpuE4ELNS1_3repE0EEENS1_30default_config_static_selectorELNS0_4arch9wavefront6targetE0EEEvT1_.has_recursion, 0
	.set _ZN7rocprim17ROCPRIM_400000_NS6detail17trampoline_kernelINS0_14default_configENS1_25partition_config_selectorILNS1_17partition_subalgoE5EtNS0_10empty_typeEbEEZZNS1_14partition_implILS5_5ELb0ES3_mN6thrust23THRUST_200600_302600_NS6detail15normal_iteratorINSA_10device_ptrItEEEEPS6_NSA_18transform_iteratorINSB_9not_fun_tI7is_trueItEEENSC_INSD_IbEEEENSA_11use_defaultESO_EENS0_5tupleIJSF_S6_EEENSQ_IJSG_SG_EEES6_PlJS6_EEE10hipError_tPvRmT3_T4_T5_T6_T7_T9_mT8_P12ihipStream_tbDpT10_ENKUlT_T0_E_clISt17integral_constantIbLb0EES1D_EEDaS18_S19_EUlS18_E_NS1_11comp_targetILNS1_3genE10ELNS1_11target_archE1200ELNS1_3gpuE4ELNS1_3repE0EEENS1_30default_config_static_selectorELNS0_4arch9wavefront6targetE0EEEvT1_.has_indirect_call, 0
	.section	.AMDGPU.csdata,"",@progbits
; Kernel info:
; codeLenInByte = 10240
; TotalNumSgprs: 23
; NumVgprs: 63
; ScratchSize: 0
; MemoryBound: 0
; FloatMode: 240
; IeeeMode: 1
; LDSByteSize: 6160 bytes/workgroup (compile time only)
; SGPRBlocks: 0
; VGPRBlocks: 7
; NumSGPRsForWavesPerEU: 23
; NumVGPRsForWavesPerEU: 63
; Occupancy: 16
; WaveLimiterHint : 1
; COMPUTE_PGM_RSRC2:SCRATCH_EN: 0
; COMPUTE_PGM_RSRC2:USER_SGPR: 2
; COMPUTE_PGM_RSRC2:TRAP_HANDLER: 0
; COMPUTE_PGM_RSRC2:TGID_X_EN: 1
; COMPUTE_PGM_RSRC2:TGID_Y_EN: 0
; COMPUTE_PGM_RSRC2:TGID_Z_EN: 0
; COMPUTE_PGM_RSRC2:TIDIG_COMP_CNT: 0
	.section	.text._ZN7rocprim17ROCPRIM_400000_NS6detail17trampoline_kernelINS0_14default_configENS1_25partition_config_selectorILNS1_17partition_subalgoE5EtNS0_10empty_typeEbEEZZNS1_14partition_implILS5_5ELb0ES3_mN6thrust23THRUST_200600_302600_NS6detail15normal_iteratorINSA_10device_ptrItEEEEPS6_NSA_18transform_iteratorINSB_9not_fun_tI7is_trueItEEENSC_INSD_IbEEEENSA_11use_defaultESO_EENS0_5tupleIJSF_S6_EEENSQ_IJSG_SG_EEES6_PlJS6_EEE10hipError_tPvRmT3_T4_T5_T6_T7_T9_mT8_P12ihipStream_tbDpT10_ENKUlT_T0_E_clISt17integral_constantIbLb0EES1D_EEDaS18_S19_EUlS18_E_NS1_11comp_targetILNS1_3genE9ELNS1_11target_archE1100ELNS1_3gpuE3ELNS1_3repE0EEENS1_30default_config_static_selectorELNS0_4arch9wavefront6targetE0EEEvT1_,"axG",@progbits,_ZN7rocprim17ROCPRIM_400000_NS6detail17trampoline_kernelINS0_14default_configENS1_25partition_config_selectorILNS1_17partition_subalgoE5EtNS0_10empty_typeEbEEZZNS1_14partition_implILS5_5ELb0ES3_mN6thrust23THRUST_200600_302600_NS6detail15normal_iteratorINSA_10device_ptrItEEEEPS6_NSA_18transform_iteratorINSB_9not_fun_tI7is_trueItEEENSC_INSD_IbEEEENSA_11use_defaultESO_EENS0_5tupleIJSF_S6_EEENSQ_IJSG_SG_EEES6_PlJS6_EEE10hipError_tPvRmT3_T4_T5_T6_T7_T9_mT8_P12ihipStream_tbDpT10_ENKUlT_T0_E_clISt17integral_constantIbLb0EES1D_EEDaS18_S19_EUlS18_E_NS1_11comp_targetILNS1_3genE9ELNS1_11target_archE1100ELNS1_3gpuE3ELNS1_3repE0EEENS1_30default_config_static_selectorELNS0_4arch9wavefront6targetE0EEEvT1_,comdat
	.protected	_ZN7rocprim17ROCPRIM_400000_NS6detail17trampoline_kernelINS0_14default_configENS1_25partition_config_selectorILNS1_17partition_subalgoE5EtNS0_10empty_typeEbEEZZNS1_14partition_implILS5_5ELb0ES3_mN6thrust23THRUST_200600_302600_NS6detail15normal_iteratorINSA_10device_ptrItEEEEPS6_NSA_18transform_iteratorINSB_9not_fun_tI7is_trueItEEENSC_INSD_IbEEEENSA_11use_defaultESO_EENS0_5tupleIJSF_S6_EEENSQ_IJSG_SG_EEES6_PlJS6_EEE10hipError_tPvRmT3_T4_T5_T6_T7_T9_mT8_P12ihipStream_tbDpT10_ENKUlT_T0_E_clISt17integral_constantIbLb0EES1D_EEDaS18_S19_EUlS18_E_NS1_11comp_targetILNS1_3genE9ELNS1_11target_archE1100ELNS1_3gpuE3ELNS1_3repE0EEENS1_30default_config_static_selectorELNS0_4arch9wavefront6targetE0EEEvT1_ ; -- Begin function _ZN7rocprim17ROCPRIM_400000_NS6detail17trampoline_kernelINS0_14default_configENS1_25partition_config_selectorILNS1_17partition_subalgoE5EtNS0_10empty_typeEbEEZZNS1_14partition_implILS5_5ELb0ES3_mN6thrust23THRUST_200600_302600_NS6detail15normal_iteratorINSA_10device_ptrItEEEEPS6_NSA_18transform_iteratorINSB_9not_fun_tI7is_trueItEEENSC_INSD_IbEEEENSA_11use_defaultESO_EENS0_5tupleIJSF_S6_EEENSQ_IJSG_SG_EEES6_PlJS6_EEE10hipError_tPvRmT3_T4_T5_T6_T7_T9_mT8_P12ihipStream_tbDpT10_ENKUlT_T0_E_clISt17integral_constantIbLb0EES1D_EEDaS18_S19_EUlS18_E_NS1_11comp_targetILNS1_3genE9ELNS1_11target_archE1100ELNS1_3gpuE3ELNS1_3repE0EEENS1_30default_config_static_selectorELNS0_4arch9wavefront6targetE0EEEvT1_
	.globl	_ZN7rocprim17ROCPRIM_400000_NS6detail17trampoline_kernelINS0_14default_configENS1_25partition_config_selectorILNS1_17partition_subalgoE5EtNS0_10empty_typeEbEEZZNS1_14partition_implILS5_5ELb0ES3_mN6thrust23THRUST_200600_302600_NS6detail15normal_iteratorINSA_10device_ptrItEEEEPS6_NSA_18transform_iteratorINSB_9not_fun_tI7is_trueItEEENSC_INSD_IbEEEENSA_11use_defaultESO_EENS0_5tupleIJSF_S6_EEENSQ_IJSG_SG_EEES6_PlJS6_EEE10hipError_tPvRmT3_T4_T5_T6_T7_T9_mT8_P12ihipStream_tbDpT10_ENKUlT_T0_E_clISt17integral_constantIbLb0EES1D_EEDaS18_S19_EUlS18_E_NS1_11comp_targetILNS1_3genE9ELNS1_11target_archE1100ELNS1_3gpuE3ELNS1_3repE0EEENS1_30default_config_static_selectorELNS0_4arch9wavefront6targetE0EEEvT1_
	.p2align	8
	.type	_ZN7rocprim17ROCPRIM_400000_NS6detail17trampoline_kernelINS0_14default_configENS1_25partition_config_selectorILNS1_17partition_subalgoE5EtNS0_10empty_typeEbEEZZNS1_14partition_implILS5_5ELb0ES3_mN6thrust23THRUST_200600_302600_NS6detail15normal_iteratorINSA_10device_ptrItEEEEPS6_NSA_18transform_iteratorINSB_9not_fun_tI7is_trueItEEENSC_INSD_IbEEEENSA_11use_defaultESO_EENS0_5tupleIJSF_S6_EEENSQ_IJSG_SG_EEES6_PlJS6_EEE10hipError_tPvRmT3_T4_T5_T6_T7_T9_mT8_P12ihipStream_tbDpT10_ENKUlT_T0_E_clISt17integral_constantIbLb0EES1D_EEDaS18_S19_EUlS18_E_NS1_11comp_targetILNS1_3genE9ELNS1_11target_archE1100ELNS1_3gpuE3ELNS1_3repE0EEENS1_30default_config_static_selectorELNS0_4arch9wavefront6targetE0EEEvT1_,@function
_ZN7rocprim17ROCPRIM_400000_NS6detail17trampoline_kernelINS0_14default_configENS1_25partition_config_selectorILNS1_17partition_subalgoE5EtNS0_10empty_typeEbEEZZNS1_14partition_implILS5_5ELb0ES3_mN6thrust23THRUST_200600_302600_NS6detail15normal_iteratorINSA_10device_ptrItEEEEPS6_NSA_18transform_iteratorINSB_9not_fun_tI7is_trueItEEENSC_INSD_IbEEEENSA_11use_defaultESO_EENS0_5tupleIJSF_S6_EEENSQ_IJSG_SG_EEES6_PlJS6_EEE10hipError_tPvRmT3_T4_T5_T6_T7_T9_mT8_P12ihipStream_tbDpT10_ENKUlT_T0_E_clISt17integral_constantIbLb0EES1D_EEDaS18_S19_EUlS18_E_NS1_11comp_targetILNS1_3genE9ELNS1_11target_archE1100ELNS1_3gpuE3ELNS1_3repE0EEENS1_30default_config_static_selectorELNS0_4arch9wavefront6targetE0EEEvT1_: ; @_ZN7rocprim17ROCPRIM_400000_NS6detail17trampoline_kernelINS0_14default_configENS1_25partition_config_selectorILNS1_17partition_subalgoE5EtNS0_10empty_typeEbEEZZNS1_14partition_implILS5_5ELb0ES3_mN6thrust23THRUST_200600_302600_NS6detail15normal_iteratorINSA_10device_ptrItEEEEPS6_NSA_18transform_iteratorINSB_9not_fun_tI7is_trueItEEENSC_INSD_IbEEEENSA_11use_defaultESO_EENS0_5tupleIJSF_S6_EEENSQ_IJSG_SG_EEES6_PlJS6_EEE10hipError_tPvRmT3_T4_T5_T6_T7_T9_mT8_P12ihipStream_tbDpT10_ENKUlT_T0_E_clISt17integral_constantIbLb0EES1D_EEDaS18_S19_EUlS18_E_NS1_11comp_targetILNS1_3genE9ELNS1_11target_archE1100ELNS1_3gpuE3ELNS1_3repE0EEENS1_30default_config_static_selectorELNS0_4arch9wavefront6targetE0EEEvT1_
; %bb.0:
	.section	.rodata,"a",@progbits
	.p2align	6, 0x0
	.amdhsa_kernel _ZN7rocprim17ROCPRIM_400000_NS6detail17trampoline_kernelINS0_14default_configENS1_25partition_config_selectorILNS1_17partition_subalgoE5EtNS0_10empty_typeEbEEZZNS1_14partition_implILS5_5ELb0ES3_mN6thrust23THRUST_200600_302600_NS6detail15normal_iteratorINSA_10device_ptrItEEEEPS6_NSA_18transform_iteratorINSB_9not_fun_tI7is_trueItEEENSC_INSD_IbEEEENSA_11use_defaultESO_EENS0_5tupleIJSF_S6_EEENSQ_IJSG_SG_EEES6_PlJS6_EEE10hipError_tPvRmT3_T4_T5_T6_T7_T9_mT8_P12ihipStream_tbDpT10_ENKUlT_T0_E_clISt17integral_constantIbLb0EES1D_EEDaS18_S19_EUlS18_E_NS1_11comp_targetILNS1_3genE9ELNS1_11target_archE1100ELNS1_3gpuE3ELNS1_3repE0EEENS1_30default_config_static_selectorELNS0_4arch9wavefront6targetE0EEEvT1_
		.amdhsa_group_segment_fixed_size 0
		.amdhsa_private_segment_fixed_size 0
		.amdhsa_kernarg_size 120
		.amdhsa_user_sgpr_count 2
		.amdhsa_user_sgpr_dispatch_ptr 0
		.amdhsa_user_sgpr_queue_ptr 0
		.amdhsa_user_sgpr_kernarg_segment_ptr 1
		.amdhsa_user_sgpr_dispatch_id 0
		.amdhsa_user_sgpr_private_segment_size 0
		.amdhsa_wavefront_size32 1
		.amdhsa_uses_dynamic_stack 0
		.amdhsa_enable_private_segment 0
		.amdhsa_system_sgpr_workgroup_id_x 1
		.amdhsa_system_sgpr_workgroup_id_y 0
		.amdhsa_system_sgpr_workgroup_id_z 0
		.amdhsa_system_sgpr_workgroup_info 0
		.amdhsa_system_vgpr_workitem_id 0
		.amdhsa_next_free_vgpr 1
		.amdhsa_next_free_sgpr 1
		.amdhsa_reserve_vcc 0
		.amdhsa_float_round_mode_32 0
		.amdhsa_float_round_mode_16_64 0
		.amdhsa_float_denorm_mode_32 3
		.amdhsa_float_denorm_mode_16_64 3
		.amdhsa_fp16_overflow 0
		.amdhsa_workgroup_processor_mode 1
		.amdhsa_memory_ordered 1
		.amdhsa_forward_progress 1
		.amdhsa_inst_pref_size 0
		.amdhsa_round_robin_scheduling 0
		.amdhsa_exception_fp_ieee_invalid_op 0
		.amdhsa_exception_fp_denorm_src 0
		.amdhsa_exception_fp_ieee_div_zero 0
		.amdhsa_exception_fp_ieee_overflow 0
		.amdhsa_exception_fp_ieee_underflow 0
		.amdhsa_exception_fp_ieee_inexact 0
		.amdhsa_exception_int_div_zero 0
	.end_amdhsa_kernel
	.section	.text._ZN7rocprim17ROCPRIM_400000_NS6detail17trampoline_kernelINS0_14default_configENS1_25partition_config_selectorILNS1_17partition_subalgoE5EtNS0_10empty_typeEbEEZZNS1_14partition_implILS5_5ELb0ES3_mN6thrust23THRUST_200600_302600_NS6detail15normal_iteratorINSA_10device_ptrItEEEEPS6_NSA_18transform_iteratorINSB_9not_fun_tI7is_trueItEEENSC_INSD_IbEEEENSA_11use_defaultESO_EENS0_5tupleIJSF_S6_EEENSQ_IJSG_SG_EEES6_PlJS6_EEE10hipError_tPvRmT3_T4_T5_T6_T7_T9_mT8_P12ihipStream_tbDpT10_ENKUlT_T0_E_clISt17integral_constantIbLb0EES1D_EEDaS18_S19_EUlS18_E_NS1_11comp_targetILNS1_3genE9ELNS1_11target_archE1100ELNS1_3gpuE3ELNS1_3repE0EEENS1_30default_config_static_selectorELNS0_4arch9wavefront6targetE0EEEvT1_,"axG",@progbits,_ZN7rocprim17ROCPRIM_400000_NS6detail17trampoline_kernelINS0_14default_configENS1_25partition_config_selectorILNS1_17partition_subalgoE5EtNS0_10empty_typeEbEEZZNS1_14partition_implILS5_5ELb0ES3_mN6thrust23THRUST_200600_302600_NS6detail15normal_iteratorINSA_10device_ptrItEEEEPS6_NSA_18transform_iteratorINSB_9not_fun_tI7is_trueItEEENSC_INSD_IbEEEENSA_11use_defaultESO_EENS0_5tupleIJSF_S6_EEENSQ_IJSG_SG_EEES6_PlJS6_EEE10hipError_tPvRmT3_T4_T5_T6_T7_T9_mT8_P12ihipStream_tbDpT10_ENKUlT_T0_E_clISt17integral_constantIbLb0EES1D_EEDaS18_S19_EUlS18_E_NS1_11comp_targetILNS1_3genE9ELNS1_11target_archE1100ELNS1_3gpuE3ELNS1_3repE0EEENS1_30default_config_static_selectorELNS0_4arch9wavefront6targetE0EEEvT1_,comdat
.Lfunc_end2467:
	.size	_ZN7rocprim17ROCPRIM_400000_NS6detail17trampoline_kernelINS0_14default_configENS1_25partition_config_selectorILNS1_17partition_subalgoE5EtNS0_10empty_typeEbEEZZNS1_14partition_implILS5_5ELb0ES3_mN6thrust23THRUST_200600_302600_NS6detail15normal_iteratorINSA_10device_ptrItEEEEPS6_NSA_18transform_iteratorINSB_9not_fun_tI7is_trueItEEENSC_INSD_IbEEEENSA_11use_defaultESO_EENS0_5tupleIJSF_S6_EEENSQ_IJSG_SG_EEES6_PlJS6_EEE10hipError_tPvRmT3_T4_T5_T6_T7_T9_mT8_P12ihipStream_tbDpT10_ENKUlT_T0_E_clISt17integral_constantIbLb0EES1D_EEDaS18_S19_EUlS18_E_NS1_11comp_targetILNS1_3genE9ELNS1_11target_archE1100ELNS1_3gpuE3ELNS1_3repE0EEENS1_30default_config_static_selectorELNS0_4arch9wavefront6targetE0EEEvT1_, .Lfunc_end2467-_ZN7rocprim17ROCPRIM_400000_NS6detail17trampoline_kernelINS0_14default_configENS1_25partition_config_selectorILNS1_17partition_subalgoE5EtNS0_10empty_typeEbEEZZNS1_14partition_implILS5_5ELb0ES3_mN6thrust23THRUST_200600_302600_NS6detail15normal_iteratorINSA_10device_ptrItEEEEPS6_NSA_18transform_iteratorINSB_9not_fun_tI7is_trueItEEENSC_INSD_IbEEEENSA_11use_defaultESO_EENS0_5tupleIJSF_S6_EEENSQ_IJSG_SG_EEES6_PlJS6_EEE10hipError_tPvRmT3_T4_T5_T6_T7_T9_mT8_P12ihipStream_tbDpT10_ENKUlT_T0_E_clISt17integral_constantIbLb0EES1D_EEDaS18_S19_EUlS18_E_NS1_11comp_targetILNS1_3genE9ELNS1_11target_archE1100ELNS1_3gpuE3ELNS1_3repE0EEENS1_30default_config_static_selectorELNS0_4arch9wavefront6targetE0EEEvT1_
                                        ; -- End function
	.set _ZN7rocprim17ROCPRIM_400000_NS6detail17trampoline_kernelINS0_14default_configENS1_25partition_config_selectorILNS1_17partition_subalgoE5EtNS0_10empty_typeEbEEZZNS1_14partition_implILS5_5ELb0ES3_mN6thrust23THRUST_200600_302600_NS6detail15normal_iteratorINSA_10device_ptrItEEEEPS6_NSA_18transform_iteratorINSB_9not_fun_tI7is_trueItEEENSC_INSD_IbEEEENSA_11use_defaultESO_EENS0_5tupleIJSF_S6_EEENSQ_IJSG_SG_EEES6_PlJS6_EEE10hipError_tPvRmT3_T4_T5_T6_T7_T9_mT8_P12ihipStream_tbDpT10_ENKUlT_T0_E_clISt17integral_constantIbLb0EES1D_EEDaS18_S19_EUlS18_E_NS1_11comp_targetILNS1_3genE9ELNS1_11target_archE1100ELNS1_3gpuE3ELNS1_3repE0EEENS1_30default_config_static_selectorELNS0_4arch9wavefront6targetE0EEEvT1_.num_vgpr, 0
	.set _ZN7rocprim17ROCPRIM_400000_NS6detail17trampoline_kernelINS0_14default_configENS1_25partition_config_selectorILNS1_17partition_subalgoE5EtNS0_10empty_typeEbEEZZNS1_14partition_implILS5_5ELb0ES3_mN6thrust23THRUST_200600_302600_NS6detail15normal_iteratorINSA_10device_ptrItEEEEPS6_NSA_18transform_iteratorINSB_9not_fun_tI7is_trueItEEENSC_INSD_IbEEEENSA_11use_defaultESO_EENS0_5tupleIJSF_S6_EEENSQ_IJSG_SG_EEES6_PlJS6_EEE10hipError_tPvRmT3_T4_T5_T6_T7_T9_mT8_P12ihipStream_tbDpT10_ENKUlT_T0_E_clISt17integral_constantIbLb0EES1D_EEDaS18_S19_EUlS18_E_NS1_11comp_targetILNS1_3genE9ELNS1_11target_archE1100ELNS1_3gpuE3ELNS1_3repE0EEENS1_30default_config_static_selectorELNS0_4arch9wavefront6targetE0EEEvT1_.num_agpr, 0
	.set _ZN7rocprim17ROCPRIM_400000_NS6detail17trampoline_kernelINS0_14default_configENS1_25partition_config_selectorILNS1_17partition_subalgoE5EtNS0_10empty_typeEbEEZZNS1_14partition_implILS5_5ELb0ES3_mN6thrust23THRUST_200600_302600_NS6detail15normal_iteratorINSA_10device_ptrItEEEEPS6_NSA_18transform_iteratorINSB_9not_fun_tI7is_trueItEEENSC_INSD_IbEEEENSA_11use_defaultESO_EENS0_5tupleIJSF_S6_EEENSQ_IJSG_SG_EEES6_PlJS6_EEE10hipError_tPvRmT3_T4_T5_T6_T7_T9_mT8_P12ihipStream_tbDpT10_ENKUlT_T0_E_clISt17integral_constantIbLb0EES1D_EEDaS18_S19_EUlS18_E_NS1_11comp_targetILNS1_3genE9ELNS1_11target_archE1100ELNS1_3gpuE3ELNS1_3repE0EEENS1_30default_config_static_selectorELNS0_4arch9wavefront6targetE0EEEvT1_.numbered_sgpr, 0
	.set _ZN7rocprim17ROCPRIM_400000_NS6detail17trampoline_kernelINS0_14default_configENS1_25partition_config_selectorILNS1_17partition_subalgoE5EtNS0_10empty_typeEbEEZZNS1_14partition_implILS5_5ELb0ES3_mN6thrust23THRUST_200600_302600_NS6detail15normal_iteratorINSA_10device_ptrItEEEEPS6_NSA_18transform_iteratorINSB_9not_fun_tI7is_trueItEEENSC_INSD_IbEEEENSA_11use_defaultESO_EENS0_5tupleIJSF_S6_EEENSQ_IJSG_SG_EEES6_PlJS6_EEE10hipError_tPvRmT3_T4_T5_T6_T7_T9_mT8_P12ihipStream_tbDpT10_ENKUlT_T0_E_clISt17integral_constantIbLb0EES1D_EEDaS18_S19_EUlS18_E_NS1_11comp_targetILNS1_3genE9ELNS1_11target_archE1100ELNS1_3gpuE3ELNS1_3repE0EEENS1_30default_config_static_selectorELNS0_4arch9wavefront6targetE0EEEvT1_.num_named_barrier, 0
	.set _ZN7rocprim17ROCPRIM_400000_NS6detail17trampoline_kernelINS0_14default_configENS1_25partition_config_selectorILNS1_17partition_subalgoE5EtNS0_10empty_typeEbEEZZNS1_14partition_implILS5_5ELb0ES3_mN6thrust23THRUST_200600_302600_NS6detail15normal_iteratorINSA_10device_ptrItEEEEPS6_NSA_18transform_iteratorINSB_9not_fun_tI7is_trueItEEENSC_INSD_IbEEEENSA_11use_defaultESO_EENS0_5tupleIJSF_S6_EEENSQ_IJSG_SG_EEES6_PlJS6_EEE10hipError_tPvRmT3_T4_T5_T6_T7_T9_mT8_P12ihipStream_tbDpT10_ENKUlT_T0_E_clISt17integral_constantIbLb0EES1D_EEDaS18_S19_EUlS18_E_NS1_11comp_targetILNS1_3genE9ELNS1_11target_archE1100ELNS1_3gpuE3ELNS1_3repE0EEENS1_30default_config_static_selectorELNS0_4arch9wavefront6targetE0EEEvT1_.private_seg_size, 0
	.set _ZN7rocprim17ROCPRIM_400000_NS6detail17trampoline_kernelINS0_14default_configENS1_25partition_config_selectorILNS1_17partition_subalgoE5EtNS0_10empty_typeEbEEZZNS1_14partition_implILS5_5ELb0ES3_mN6thrust23THRUST_200600_302600_NS6detail15normal_iteratorINSA_10device_ptrItEEEEPS6_NSA_18transform_iteratorINSB_9not_fun_tI7is_trueItEEENSC_INSD_IbEEEENSA_11use_defaultESO_EENS0_5tupleIJSF_S6_EEENSQ_IJSG_SG_EEES6_PlJS6_EEE10hipError_tPvRmT3_T4_T5_T6_T7_T9_mT8_P12ihipStream_tbDpT10_ENKUlT_T0_E_clISt17integral_constantIbLb0EES1D_EEDaS18_S19_EUlS18_E_NS1_11comp_targetILNS1_3genE9ELNS1_11target_archE1100ELNS1_3gpuE3ELNS1_3repE0EEENS1_30default_config_static_selectorELNS0_4arch9wavefront6targetE0EEEvT1_.uses_vcc, 0
	.set _ZN7rocprim17ROCPRIM_400000_NS6detail17trampoline_kernelINS0_14default_configENS1_25partition_config_selectorILNS1_17partition_subalgoE5EtNS0_10empty_typeEbEEZZNS1_14partition_implILS5_5ELb0ES3_mN6thrust23THRUST_200600_302600_NS6detail15normal_iteratorINSA_10device_ptrItEEEEPS6_NSA_18transform_iteratorINSB_9not_fun_tI7is_trueItEEENSC_INSD_IbEEEENSA_11use_defaultESO_EENS0_5tupleIJSF_S6_EEENSQ_IJSG_SG_EEES6_PlJS6_EEE10hipError_tPvRmT3_T4_T5_T6_T7_T9_mT8_P12ihipStream_tbDpT10_ENKUlT_T0_E_clISt17integral_constantIbLb0EES1D_EEDaS18_S19_EUlS18_E_NS1_11comp_targetILNS1_3genE9ELNS1_11target_archE1100ELNS1_3gpuE3ELNS1_3repE0EEENS1_30default_config_static_selectorELNS0_4arch9wavefront6targetE0EEEvT1_.uses_flat_scratch, 0
	.set _ZN7rocprim17ROCPRIM_400000_NS6detail17trampoline_kernelINS0_14default_configENS1_25partition_config_selectorILNS1_17partition_subalgoE5EtNS0_10empty_typeEbEEZZNS1_14partition_implILS5_5ELb0ES3_mN6thrust23THRUST_200600_302600_NS6detail15normal_iteratorINSA_10device_ptrItEEEEPS6_NSA_18transform_iteratorINSB_9not_fun_tI7is_trueItEEENSC_INSD_IbEEEENSA_11use_defaultESO_EENS0_5tupleIJSF_S6_EEENSQ_IJSG_SG_EEES6_PlJS6_EEE10hipError_tPvRmT3_T4_T5_T6_T7_T9_mT8_P12ihipStream_tbDpT10_ENKUlT_T0_E_clISt17integral_constantIbLb0EES1D_EEDaS18_S19_EUlS18_E_NS1_11comp_targetILNS1_3genE9ELNS1_11target_archE1100ELNS1_3gpuE3ELNS1_3repE0EEENS1_30default_config_static_selectorELNS0_4arch9wavefront6targetE0EEEvT1_.has_dyn_sized_stack, 0
	.set _ZN7rocprim17ROCPRIM_400000_NS6detail17trampoline_kernelINS0_14default_configENS1_25partition_config_selectorILNS1_17partition_subalgoE5EtNS0_10empty_typeEbEEZZNS1_14partition_implILS5_5ELb0ES3_mN6thrust23THRUST_200600_302600_NS6detail15normal_iteratorINSA_10device_ptrItEEEEPS6_NSA_18transform_iteratorINSB_9not_fun_tI7is_trueItEEENSC_INSD_IbEEEENSA_11use_defaultESO_EENS0_5tupleIJSF_S6_EEENSQ_IJSG_SG_EEES6_PlJS6_EEE10hipError_tPvRmT3_T4_T5_T6_T7_T9_mT8_P12ihipStream_tbDpT10_ENKUlT_T0_E_clISt17integral_constantIbLb0EES1D_EEDaS18_S19_EUlS18_E_NS1_11comp_targetILNS1_3genE9ELNS1_11target_archE1100ELNS1_3gpuE3ELNS1_3repE0EEENS1_30default_config_static_selectorELNS0_4arch9wavefront6targetE0EEEvT1_.has_recursion, 0
	.set _ZN7rocprim17ROCPRIM_400000_NS6detail17trampoline_kernelINS0_14default_configENS1_25partition_config_selectorILNS1_17partition_subalgoE5EtNS0_10empty_typeEbEEZZNS1_14partition_implILS5_5ELb0ES3_mN6thrust23THRUST_200600_302600_NS6detail15normal_iteratorINSA_10device_ptrItEEEEPS6_NSA_18transform_iteratorINSB_9not_fun_tI7is_trueItEEENSC_INSD_IbEEEENSA_11use_defaultESO_EENS0_5tupleIJSF_S6_EEENSQ_IJSG_SG_EEES6_PlJS6_EEE10hipError_tPvRmT3_T4_T5_T6_T7_T9_mT8_P12ihipStream_tbDpT10_ENKUlT_T0_E_clISt17integral_constantIbLb0EES1D_EEDaS18_S19_EUlS18_E_NS1_11comp_targetILNS1_3genE9ELNS1_11target_archE1100ELNS1_3gpuE3ELNS1_3repE0EEENS1_30default_config_static_selectorELNS0_4arch9wavefront6targetE0EEEvT1_.has_indirect_call, 0
	.section	.AMDGPU.csdata,"",@progbits
; Kernel info:
; codeLenInByte = 0
; TotalNumSgprs: 0
; NumVgprs: 0
; ScratchSize: 0
; MemoryBound: 0
; FloatMode: 240
; IeeeMode: 1
; LDSByteSize: 0 bytes/workgroup (compile time only)
; SGPRBlocks: 0
; VGPRBlocks: 0
; NumSGPRsForWavesPerEU: 1
; NumVGPRsForWavesPerEU: 1
; Occupancy: 16
; WaveLimiterHint : 0
; COMPUTE_PGM_RSRC2:SCRATCH_EN: 0
; COMPUTE_PGM_RSRC2:USER_SGPR: 2
; COMPUTE_PGM_RSRC2:TRAP_HANDLER: 0
; COMPUTE_PGM_RSRC2:TGID_X_EN: 1
; COMPUTE_PGM_RSRC2:TGID_Y_EN: 0
; COMPUTE_PGM_RSRC2:TGID_Z_EN: 0
; COMPUTE_PGM_RSRC2:TIDIG_COMP_CNT: 0
	.section	.text._ZN7rocprim17ROCPRIM_400000_NS6detail17trampoline_kernelINS0_14default_configENS1_25partition_config_selectorILNS1_17partition_subalgoE5EtNS0_10empty_typeEbEEZZNS1_14partition_implILS5_5ELb0ES3_mN6thrust23THRUST_200600_302600_NS6detail15normal_iteratorINSA_10device_ptrItEEEEPS6_NSA_18transform_iteratorINSB_9not_fun_tI7is_trueItEEENSC_INSD_IbEEEENSA_11use_defaultESO_EENS0_5tupleIJSF_S6_EEENSQ_IJSG_SG_EEES6_PlJS6_EEE10hipError_tPvRmT3_T4_T5_T6_T7_T9_mT8_P12ihipStream_tbDpT10_ENKUlT_T0_E_clISt17integral_constantIbLb0EES1D_EEDaS18_S19_EUlS18_E_NS1_11comp_targetILNS1_3genE8ELNS1_11target_archE1030ELNS1_3gpuE2ELNS1_3repE0EEENS1_30default_config_static_selectorELNS0_4arch9wavefront6targetE0EEEvT1_,"axG",@progbits,_ZN7rocprim17ROCPRIM_400000_NS6detail17trampoline_kernelINS0_14default_configENS1_25partition_config_selectorILNS1_17partition_subalgoE5EtNS0_10empty_typeEbEEZZNS1_14partition_implILS5_5ELb0ES3_mN6thrust23THRUST_200600_302600_NS6detail15normal_iteratorINSA_10device_ptrItEEEEPS6_NSA_18transform_iteratorINSB_9not_fun_tI7is_trueItEEENSC_INSD_IbEEEENSA_11use_defaultESO_EENS0_5tupleIJSF_S6_EEENSQ_IJSG_SG_EEES6_PlJS6_EEE10hipError_tPvRmT3_T4_T5_T6_T7_T9_mT8_P12ihipStream_tbDpT10_ENKUlT_T0_E_clISt17integral_constantIbLb0EES1D_EEDaS18_S19_EUlS18_E_NS1_11comp_targetILNS1_3genE8ELNS1_11target_archE1030ELNS1_3gpuE2ELNS1_3repE0EEENS1_30default_config_static_selectorELNS0_4arch9wavefront6targetE0EEEvT1_,comdat
	.protected	_ZN7rocprim17ROCPRIM_400000_NS6detail17trampoline_kernelINS0_14default_configENS1_25partition_config_selectorILNS1_17partition_subalgoE5EtNS0_10empty_typeEbEEZZNS1_14partition_implILS5_5ELb0ES3_mN6thrust23THRUST_200600_302600_NS6detail15normal_iteratorINSA_10device_ptrItEEEEPS6_NSA_18transform_iteratorINSB_9not_fun_tI7is_trueItEEENSC_INSD_IbEEEENSA_11use_defaultESO_EENS0_5tupleIJSF_S6_EEENSQ_IJSG_SG_EEES6_PlJS6_EEE10hipError_tPvRmT3_T4_T5_T6_T7_T9_mT8_P12ihipStream_tbDpT10_ENKUlT_T0_E_clISt17integral_constantIbLb0EES1D_EEDaS18_S19_EUlS18_E_NS1_11comp_targetILNS1_3genE8ELNS1_11target_archE1030ELNS1_3gpuE2ELNS1_3repE0EEENS1_30default_config_static_selectorELNS0_4arch9wavefront6targetE0EEEvT1_ ; -- Begin function _ZN7rocprim17ROCPRIM_400000_NS6detail17trampoline_kernelINS0_14default_configENS1_25partition_config_selectorILNS1_17partition_subalgoE5EtNS0_10empty_typeEbEEZZNS1_14partition_implILS5_5ELb0ES3_mN6thrust23THRUST_200600_302600_NS6detail15normal_iteratorINSA_10device_ptrItEEEEPS6_NSA_18transform_iteratorINSB_9not_fun_tI7is_trueItEEENSC_INSD_IbEEEENSA_11use_defaultESO_EENS0_5tupleIJSF_S6_EEENSQ_IJSG_SG_EEES6_PlJS6_EEE10hipError_tPvRmT3_T4_T5_T6_T7_T9_mT8_P12ihipStream_tbDpT10_ENKUlT_T0_E_clISt17integral_constantIbLb0EES1D_EEDaS18_S19_EUlS18_E_NS1_11comp_targetILNS1_3genE8ELNS1_11target_archE1030ELNS1_3gpuE2ELNS1_3repE0EEENS1_30default_config_static_selectorELNS0_4arch9wavefront6targetE0EEEvT1_
	.globl	_ZN7rocprim17ROCPRIM_400000_NS6detail17trampoline_kernelINS0_14default_configENS1_25partition_config_selectorILNS1_17partition_subalgoE5EtNS0_10empty_typeEbEEZZNS1_14partition_implILS5_5ELb0ES3_mN6thrust23THRUST_200600_302600_NS6detail15normal_iteratorINSA_10device_ptrItEEEEPS6_NSA_18transform_iteratorINSB_9not_fun_tI7is_trueItEEENSC_INSD_IbEEEENSA_11use_defaultESO_EENS0_5tupleIJSF_S6_EEENSQ_IJSG_SG_EEES6_PlJS6_EEE10hipError_tPvRmT3_T4_T5_T6_T7_T9_mT8_P12ihipStream_tbDpT10_ENKUlT_T0_E_clISt17integral_constantIbLb0EES1D_EEDaS18_S19_EUlS18_E_NS1_11comp_targetILNS1_3genE8ELNS1_11target_archE1030ELNS1_3gpuE2ELNS1_3repE0EEENS1_30default_config_static_selectorELNS0_4arch9wavefront6targetE0EEEvT1_
	.p2align	8
	.type	_ZN7rocprim17ROCPRIM_400000_NS6detail17trampoline_kernelINS0_14default_configENS1_25partition_config_selectorILNS1_17partition_subalgoE5EtNS0_10empty_typeEbEEZZNS1_14partition_implILS5_5ELb0ES3_mN6thrust23THRUST_200600_302600_NS6detail15normal_iteratorINSA_10device_ptrItEEEEPS6_NSA_18transform_iteratorINSB_9not_fun_tI7is_trueItEEENSC_INSD_IbEEEENSA_11use_defaultESO_EENS0_5tupleIJSF_S6_EEENSQ_IJSG_SG_EEES6_PlJS6_EEE10hipError_tPvRmT3_T4_T5_T6_T7_T9_mT8_P12ihipStream_tbDpT10_ENKUlT_T0_E_clISt17integral_constantIbLb0EES1D_EEDaS18_S19_EUlS18_E_NS1_11comp_targetILNS1_3genE8ELNS1_11target_archE1030ELNS1_3gpuE2ELNS1_3repE0EEENS1_30default_config_static_selectorELNS0_4arch9wavefront6targetE0EEEvT1_,@function
_ZN7rocprim17ROCPRIM_400000_NS6detail17trampoline_kernelINS0_14default_configENS1_25partition_config_selectorILNS1_17partition_subalgoE5EtNS0_10empty_typeEbEEZZNS1_14partition_implILS5_5ELb0ES3_mN6thrust23THRUST_200600_302600_NS6detail15normal_iteratorINSA_10device_ptrItEEEEPS6_NSA_18transform_iteratorINSB_9not_fun_tI7is_trueItEEENSC_INSD_IbEEEENSA_11use_defaultESO_EENS0_5tupleIJSF_S6_EEENSQ_IJSG_SG_EEES6_PlJS6_EEE10hipError_tPvRmT3_T4_T5_T6_T7_T9_mT8_P12ihipStream_tbDpT10_ENKUlT_T0_E_clISt17integral_constantIbLb0EES1D_EEDaS18_S19_EUlS18_E_NS1_11comp_targetILNS1_3genE8ELNS1_11target_archE1030ELNS1_3gpuE2ELNS1_3repE0EEENS1_30default_config_static_selectorELNS0_4arch9wavefront6targetE0EEEvT1_: ; @_ZN7rocprim17ROCPRIM_400000_NS6detail17trampoline_kernelINS0_14default_configENS1_25partition_config_selectorILNS1_17partition_subalgoE5EtNS0_10empty_typeEbEEZZNS1_14partition_implILS5_5ELb0ES3_mN6thrust23THRUST_200600_302600_NS6detail15normal_iteratorINSA_10device_ptrItEEEEPS6_NSA_18transform_iteratorINSB_9not_fun_tI7is_trueItEEENSC_INSD_IbEEEENSA_11use_defaultESO_EENS0_5tupleIJSF_S6_EEENSQ_IJSG_SG_EEES6_PlJS6_EEE10hipError_tPvRmT3_T4_T5_T6_T7_T9_mT8_P12ihipStream_tbDpT10_ENKUlT_T0_E_clISt17integral_constantIbLb0EES1D_EEDaS18_S19_EUlS18_E_NS1_11comp_targetILNS1_3genE8ELNS1_11target_archE1030ELNS1_3gpuE2ELNS1_3repE0EEENS1_30default_config_static_selectorELNS0_4arch9wavefront6targetE0EEEvT1_
; %bb.0:
	.section	.rodata,"a",@progbits
	.p2align	6, 0x0
	.amdhsa_kernel _ZN7rocprim17ROCPRIM_400000_NS6detail17trampoline_kernelINS0_14default_configENS1_25partition_config_selectorILNS1_17partition_subalgoE5EtNS0_10empty_typeEbEEZZNS1_14partition_implILS5_5ELb0ES3_mN6thrust23THRUST_200600_302600_NS6detail15normal_iteratorINSA_10device_ptrItEEEEPS6_NSA_18transform_iteratorINSB_9not_fun_tI7is_trueItEEENSC_INSD_IbEEEENSA_11use_defaultESO_EENS0_5tupleIJSF_S6_EEENSQ_IJSG_SG_EEES6_PlJS6_EEE10hipError_tPvRmT3_T4_T5_T6_T7_T9_mT8_P12ihipStream_tbDpT10_ENKUlT_T0_E_clISt17integral_constantIbLb0EES1D_EEDaS18_S19_EUlS18_E_NS1_11comp_targetILNS1_3genE8ELNS1_11target_archE1030ELNS1_3gpuE2ELNS1_3repE0EEENS1_30default_config_static_selectorELNS0_4arch9wavefront6targetE0EEEvT1_
		.amdhsa_group_segment_fixed_size 0
		.amdhsa_private_segment_fixed_size 0
		.amdhsa_kernarg_size 120
		.amdhsa_user_sgpr_count 2
		.amdhsa_user_sgpr_dispatch_ptr 0
		.amdhsa_user_sgpr_queue_ptr 0
		.amdhsa_user_sgpr_kernarg_segment_ptr 1
		.amdhsa_user_sgpr_dispatch_id 0
		.amdhsa_user_sgpr_private_segment_size 0
		.amdhsa_wavefront_size32 1
		.amdhsa_uses_dynamic_stack 0
		.amdhsa_enable_private_segment 0
		.amdhsa_system_sgpr_workgroup_id_x 1
		.amdhsa_system_sgpr_workgroup_id_y 0
		.amdhsa_system_sgpr_workgroup_id_z 0
		.amdhsa_system_sgpr_workgroup_info 0
		.amdhsa_system_vgpr_workitem_id 0
		.amdhsa_next_free_vgpr 1
		.amdhsa_next_free_sgpr 1
		.amdhsa_reserve_vcc 0
		.amdhsa_float_round_mode_32 0
		.amdhsa_float_round_mode_16_64 0
		.amdhsa_float_denorm_mode_32 3
		.amdhsa_float_denorm_mode_16_64 3
		.amdhsa_fp16_overflow 0
		.amdhsa_workgroup_processor_mode 1
		.amdhsa_memory_ordered 1
		.amdhsa_forward_progress 1
		.amdhsa_inst_pref_size 0
		.amdhsa_round_robin_scheduling 0
		.amdhsa_exception_fp_ieee_invalid_op 0
		.amdhsa_exception_fp_denorm_src 0
		.amdhsa_exception_fp_ieee_div_zero 0
		.amdhsa_exception_fp_ieee_overflow 0
		.amdhsa_exception_fp_ieee_underflow 0
		.amdhsa_exception_fp_ieee_inexact 0
		.amdhsa_exception_int_div_zero 0
	.end_amdhsa_kernel
	.section	.text._ZN7rocprim17ROCPRIM_400000_NS6detail17trampoline_kernelINS0_14default_configENS1_25partition_config_selectorILNS1_17partition_subalgoE5EtNS0_10empty_typeEbEEZZNS1_14partition_implILS5_5ELb0ES3_mN6thrust23THRUST_200600_302600_NS6detail15normal_iteratorINSA_10device_ptrItEEEEPS6_NSA_18transform_iteratorINSB_9not_fun_tI7is_trueItEEENSC_INSD_IbEEEENSA_11use_defaultESO_EENS0_5tupleIJSF_S6_EEENSQ_IJSG_SG_EEES6_PlJS6_EEE10hipError_tPvRmT3_T4_T5_T6_T7_T9_mT8_P12ihipStream_tbDpT10_ENKUlT_T0_E_clISt17integral_constantIbLb0EES1D_EEDaS18_S19_EUlS18_E_NS1_11comp_targetILNS1_3genE8ELNS1_11target_archE1030ELNS1_3gpuE2ELNS1_3repE0EEENS1_30default_config_static_selectorELNS0_4arch9wavefront6targetE0EEEvT1_,"axG",@progbits,_ZN7rocprim17ROCPRIM_400000_NS6detail17trampoline_kernelINS0_14default_configENS1_25partition_config_selectorILNS1_17partition_subalgoE5EtNS0_10empty_typeEbEEZZNS1_14partition_implILS5_5ELb0ES3_mN6thrust23THRUST_200600_302600_NS6detail15normal_iteratorINSA_10device_ptrItEEEEPS6_NSA_18transform_iteratorINSB_9not_fun_tI7is_trueItEEENSC_INSD_IbEEEENSA_11use_defaultESO_EENS0_5tupleIJSF_S6_EEENSQ_IJSG_SG_EEES6_PlJS6_EEE10hipError_tPvRmT3_T4_T5_T6_T7_T9_mT8_P12ihipStream_tbDpT10_ENKUlT_T0_E_clISt17integral_constantIbLb0EES1D_EEDaS18_S19_EUlS18_E_NS1_11comp_targetILNS1_3genE8ELNS1_11target_archE1030ELNS1_3gpuE2ELNS1_3repE0EEENS1_30default_config_static_selectorELNS0_4arch9wavefront6targetE0EEEvT1_,comdat
.Lfunc_end2468:
	.size	_ZN7rocprim17ROCPRIM_400000_NS6detail17trampoline_kernelINS0_14default_configENS1_25partition_config_selectorILNS1_17partition_subalgoE5EtNS0_10empty_typeEbEEZZNS1_14partition_implILS5_5ELb0ES3_mN6thrust23THRUST_200600_302600_NS6detail15normal_iteratorINSA_10device_ptrItEEEEPS6_NSA_18transform_iteratorINSB_9not_fun_tI7is_trueItEEENSC_INSD_IbEEEENSA_11use_defaultESO_EENS0_5tupleIJSF_S6_EEENSQ_IJSG_SG_EEES6_PlJS6_EEE10hipError_tPvRmT3_T4_T5_T6_T7_T9_mT8_P12ihipStream_tbDpT10_ENKUlT_T0_E_clISt17integral_constantIbLb0EES1D_EEDaS18_S19_EUlS18_E_NS1_11comp_targetILNS1_3genE8ELNS1_11target_archE1030ELNS1_3gpuE2ELNS1_3repE0EEENS1_30default_config_static_selectorELNS0_4arch9wavefront6targetE0EEEvT1_, .Lfunc_end2468-_ZN7rocprim17ROCPRIM_400000_NS6detail17trampoline_kernelINS0_14default_configENS1_25partition_config_selectorILNS1_17partition_subalgoE5EtNS0_10empty_typeEbEEZZNS1_14partition_implILS5_5ELb0ES3_mN6thrust23THRUST_200600_302600_NS6detail15normal_iteratorINSA_10device_ptrItEEEEPS6_NSA_18transform_iteratorINSB_9not_fun_tI7is_trueItEEENSC_INSD_IbEEEENSA_11use_defaultESO_EENS0_5tupleIJSF_S6_EEENSQ_IJSG_SG_EEES6_PlJS6_EEE10hipError_tPvRmT3_T4_T5_T6_T7_T9_mT8_P12ihipStream_tbDpT10_ENKUlT_T0_E_clISt17integral_constantIbLb0EES1D_EEDaS18_S19_EUlS18_E_NS1_11comp_targetILNS1_3genE8ELNS1_11target_archE1030ELNS1_3gpuE2ELNS1_3repE0EEENS1_30default_config_static_selectorELNS0_4arch9wavefront6targetE0EEEvT1_
                                        ; -- End function
	.set _ZN7rocprim17ROCPRIM_400000_NS6detail17trampoline_kernelINS0_14default_configENS1_25partition_config_selectorILNS1_17partition_subalgoE5EtNS0_10empty_typeEbEEZZNS1_14partition_implILS5_5ELb0ES3_mN6thrust23THRUST_200600_302600_NS6detail15normal_iteratorINSA_10device_ptrItEEEEPS6_NSA_18transform_iteratorINSB_9not_fun_tI7is_trueItEEENSC_INSD_IbEEEENSA_11use_defaultESO_EENS0_5tupleIJSF_S6_EEENSQ_IJSG_SG_EEES6_PlJS6_EEE10hipError_tPvRmT3_T4_T5_T6_T7_T9_mT8_P12ihipStream_tbDpT10_ENKUlT_T0_E_clISt17integral_constantIbLb0EES1D_EEDaS18_S19_EUlS18_E_NS1_11comp_targetILNS1_3genE8ELNS1_11target_archE1030ELNS1_3gpuE2ELNS1_3repE0EEENS1_30default_config_static_selectorELNS0_4arch9wavefront6targetE0EEEvT1_.num_vgpr, 0
	.set _ZN7rocprim17ROCPRIM_400000_NS6detail17trampoline_kernelINS0_14default_configENS1_25partition_config_selectorILNS1_17partition_subalgoE5EtNS0_10empty_typeEbEEZZNS1_14partition_implILS5_5ELb0ES3_mN6thrust23THRUST_200600_302600_NS6detail15normal_iteratorINSA_10device_ptrItEEEEPS6_NSA_18transform_iteratorINSB_9not_fun_tI7is_trueItEEENSC_INSD_IbEEEENSA_11use_defaultESO_EENS0_5tupleIJSF_S6_EEENSQ_IJSG_SG_EEES6_PlJS6_EEE10hipError_tPvRmT3_T4_T5_T6_T7_T9_mT8_P12ihipStream_tbDpT10_ENKUlT_T0_E_clISt17integral_constantIbLb0EES1D_EEDaS18_S19_EUlS18_E_NS1_11comp_targetILNS1_3genE8ELNS1_11target_archE1030ELNS1_3gpuE2ELNS1_3repE0EEENS1_30default_config_static_selectorELNS0_4arch9wavefront6targetE0EEEvT1_.num_agpr, 0
	.set _ZN7rocprim17ROCPRIM_400000_NS6detail17trampoline_kernelINS0_14default_configENS1_25partition_config_selectorILNS1_17partition_subalgoE5EtNS0_10empty_typeEbEEZZNS1_14partition_implILS5_5ELb0ES3_mN6thrust23THRUST_200600_302600_NS6detail15normal_iteratorINSA_10device_ptrItEEEEPS6_NSA_18transform_iteratorINSB_9not_fun_tI7is_trueItEEENSC_INSD_IbEEEENSA_11use_defaultESO_EENS0_5tupleIJSF_S6_EEENSQ_IJSG_SG_EEES6_PlJS6_EEE10hipError_tPvRmT3_T4_T5_T6_T7_T9_mT8_P12ihipStream_tbDpT10_ENKUlT_T0_E_clISt17integral_constantIbLb0EES1D_EEDaS18_S19_EUlS18_E_NS1_11comp_targetILNS1_3genE8ELNS1_11target_archE1030ELNS1_3gpuE2ELNS1_3repE0EEENS1_30default_config_static_selectorELNS0_4arch9wavefront6targetE0EEEvT1_.numbered_sgpr, 0
	.set _ZN7rocprim17ROCPRIM_400000_NS6detail17trampoline_kernelINS0_14default_configENS1_25partition_config_selectorILNS1_17partition_subalgoE5EtNS0_10empty_typeEbEEZZNS1_14partition_implILS5_5ELb0ES3_mN6thrust23THRUST_200600_302600_NS6detail15normal_iteratorINSA_10device_ptrItEEEEPS6_NSA_18transform_iteratorINSB_9not_fun_tI7is_trueItEEENSC_INSD_IbEEEENSA_11use_defaultESO_EENS0_5tupleIJSF_S6_EEENSQ_IJSG_SG_EEES6_PlJS6_EEE10hipError_tPvRmT3_T4_T5_T6_T7_T9_mT8_P12ihipStream_tbDpT10_ENKUlT_T0_E_clISt17integral_constantIbLb0EES1D_EEDaS18_S19_EUlS18_E_NS1_11comp_targetILNS1_3genE8ELNS1_11target_archE1030ELNS1_3gpuE2ELNS1_3repE0EEENS1_30default_config_static_selectorELNS0_4arch9wavefront6targetE0EEEvT1_.num_named_barrier, 0
	.set _ZN7rocprim17ROCPRIM_400000_NS6detail17trampoline_kernelINS0_14default_configENS1_25partition_config_selectorILNS1_17partition_subalgoE5EtNS0_10empty_typeEbEEZZNS1_14partition_implILS5_5ELb0ES3_mN6thrust23THRUST_200600_302600_NS6detail15normal_iteratorINSA_10device_ptrItEEEEPS6_NSA_18transform_iteratorINSB_9not_fun_tI7is_trueItEEENSC_INSD_IbEEEENSA_11use_defaultESO_EENS0_5tupleIJSF_S6_EEENSQ_IJSG_SG_EEES6_PlJS6_EEE10hipError_tPvRmT3_T4_T5_T6_T7_T9_mT8_P12ihipStream_tbDpT10_ENKUlT_T0_E_clISt17integral_constantIbLb0EES1D_EEDaS18_S19_EUlS18_E_NS1_11comp_targetILNS1_3genE8ELNS1_11target_archE1030ELNS1_3gpuE2ELNS1_3repE0EEENS1_30default_config_static_selectorELNS0_4arch9wavefront6targetE0EEEvT1_.private_seg_size, 0
	.set _ZN7rocprim17ROCPRIM_400000_NS6detail17trampoline_kernelINS0_14default_configENS1_25partition_config_selectorILNS1_17partition_subalgoE5EtNS0_10empty_typeEbEEZZNS1_14partition_implILS5_5ELb0ES3_mN6thrust23THRUST_200600_302600_NS6detail15normal_iteratorINSA_10device_ptrItEEEEPS6_NSA_18transform_iteratorINSB_9not_fun_tI7is_trueItEEENSC_INSD_IbEEEENSA_11use_defaultESO_EENS0_5tupleIJSF_S6_EEENSQ_IJSG_SG_EEES6_PlJS6_EEE10hipError_tPvRmT3_T4_T5_T6_T7_T9_mT8_P12ihipStream_tbDpT10_ENKUlT_T0_E_clISt17integral_constantIbLb0EES1D_EEDaS18_S19_EUlS18_E_NS1_11comp_targetILNS1_3genE8ELNS1_11target_archE1030ELNS1_3gpuE2ELNS1_3repE0EEENS1_30default_config_static_selectorELNS0_4arch9wavefront6targetE0EEEvT1_.uses_vcc, 0
	.set _ZN7rocprim17ROCPRIM_400000_NS6detail17trampoline_kernelINS0_14default_configENS1_25partition_config_selectorILNS1_17partition_subalgoE5EtNS0_10empty_typeEbEEZZNS1_14partition_implILS5_5ELb0ES3_mN6thrust23THRUST_200600_302600_NS6detail15normal_iteratorINSA_10device_ptrItEEEEPS6_NSA_18transform_iteratorINSB_9not_fun_tI7is_trueItEEENSC_INSD_IbEEEENSA_11use_defaultESO_EENS0_5tupleIJSF_S6_EEENSQ_IJSG_SG_EEES6_PlJS6_EEE10hipError_tPvRmT3_T4_T5_T6_T7_T9_mT8_P12ihipStream_tbDpT10_ENKUlT_T0_E_clISt17integral_constantIbLb0EES1D_EEDaS18_S19_EUlS18_E_NS1_11comp_targetILNS1_3genE8ELNS1_11target_archE1030ELNS1_3gpuE2ELNS1_3repE0EEENS1_30default_config_static_selectorELNS0_4arch9wavefront6targetE0EEEvT1_.uses_flat_scratch, 0
	.set _ZN7rocprim17ROCPRIM_400000_NS6detail17trampoline_kernelINS0_14default_configENS1_25partition_config_selectorILNS1_17partition_subalgoE5EtNS0_10empty_typeEbEEZZNS1_14partition_implILS5_5ELb0ES3_mN6thrust23THRUST_200600_302600_NS6detail15normal_iteratorINSA_10device_ptrItEEEEPS6_NSA_18transform_iteratorINSB_9not_fun_tI7is_trueItEEENSC_INSD_IbEEEENSA_11use_defaultESO_EENS0_5tupleIJSF_S6_EEENSQ_IJSG_SG_EEES6_PlJS6_EEE10hipError_tPvRmT3_T4_T5_T6_T7_T9_mT8_P12ihipStream_tbDpT10_ENKUlT_T0_E_clISt17integral_constantIbLb0EES1D_EEDaS18_S19_EUlS18_E_NS1_11comp_targetILNS1_3genE8ELNS1_11target_archE1030ELNS1_3gpuE2ELNS1_3repE0EEENS1_30default_config_static_selectorELNS0_4arch9wavefront6targetE0EEEvT1_.has_dyn_sized_stack, 0
	.set _ZN7rocprim17ROCPRIM_400000_NS6detail17trampoline_kernelINS0_14default_configENS1_25partition_config_selectorILNS1_17partition_subalgoE5EtNS0_10empty_typeEbEEZZNS1_14partition_implILS5_5ELb0ES3_mN6thrust23THRUST_200600_302600_NS6detail15normal_iteratorINSA_10device_ptrItEEEEPS6_NSA_18transform_iteratorINSB_9not_fun_tI7is_trueItEEENSC_INSD_IbEEEENSA_11use_defaultESO_EENS0_5tupleIJSF_S6_EEENSQ_IJSG_SG_EEES6_PlJS6_EEE10hipError_tPvRmT3_T4_T5_T6_T7_T9_mT8_P12ihipStream_tbDpT10_ENKUlT_T0_E_clISt17integral_constantIbLb0EES1D_EEDaS18_S19_EUlS18_E_NS1_11comp_targetILNS1_3genE8ELNS1_11target_archE1030ELNS1_3gpuE2ELNS1_3repE0EEENS1_30default_config_static_selectorELNS0_4arch9wavefront6targetE0EEEvT1_.has_recursion, 0
	.set _ZN7rocprim17ROCPRIM_400000_NS6detail17trampoline_kernelINS0_14default_configENS1_25partition_config_selectorILNS1_17partition_subalgoE5EtNS0_10empty_typeEbEEZZNS1_14partition_implILS5_5ELb0ES3_mN6thrust23THRUST_200600_302600_NS6detail15normal_iteratorINSA_10device_ptrItEEEEPS6_NSA_18transform_iteratorINSB_9not_fun_tI7is_trueItEEENSC_INSD_IbEEEENSA_11use_defaultESO_EENS0_5tupleIJSF_S6_EEENSQ_IJSG_SG_EEES6_PlJS6_EEE10hipError_tPvRmT3_T4_T5_T6_T7_T9_mT8_P12ihipStream_tbDpT10_ENKUlT_T0_E_clISt17integral_constantIbLb0EES1D_EEDaS18_S19_EUlS18_E_NS1_11comp_targetILNS1_3genE8ELNS1_11target_archE1030ELNS1_3gpuE2ELNS1_3repE0EEENS1_30default_config_static_selectorELNS0_4arch9wavefront6targetE0EEEvT1_.has_indirect_call, 0
	.section	.AMDGPU.csdata,"",@progbits
; Kernel info:
; codeLenInByte = 0
; TotalNumSgprs: 0
; NumVgprs: 0
; ScratchSize: 0
; MemoryBound: 0
; FloatMode: 240
; IeeeMode: 1
; LDSByteSize: 0 bytes/workgroup (compile time only)
; SGPRBlocks: 0
; VGPRBlocks: 0
; NumSGPRsForWavesPerEU: 1
; NumVGPRsForWavesPerEU: 1
; Occupancy: 16
; WaveLimiterHint : 0
; COMPUTE_PGM_RSRC2:SCRATCH_EN: 0
; COMPUTE_PGM_RSRC2:USER_SGPR: 2
; COMPUTE_PGM_RSRC2:TRAP_HANDLER: 0
; COMPUTE_PGM_RSRC2:TGID_X_EN: 1
; COMPUTE_PGM_RSRC2:TGID_Y_EN: 0
; COMPUTE_PGM_RSRC2:TGID_Z_EN: 0
; COMPUTE_PGM_RSRC2:TIDIG_COMP_CNT: 0
	.section	.text._ZN7rocprim17ROCPRIM_400000_NS6detail17trampoline_kernelINS0_14default_configENS1_25partition_config_selectorILNS1_17partition_subalgoE5EtNS0_10empty_typeEbEEZZNS1_14partition_implILS5_5ELb0ES3_mN6thrust23THRUST_200600_302600_NS6detail15normal_iteratorINSA_10device_ptrItEEEEPS6_NSA_18transform_iteratorINSB_9not_fun_tI7is_trueItEEENSC_INSD_IbEEEENSA_11use_defaultESO_EENS0_5tupleIJSF_S6_EEENSQ_IJSG_SG_EEES6_PlJS6_EEE10hipError_tPvRmT3_T4_T5_T6_T7_T9_mT8_P12ihipStream_tbDpT10_ENKUlT_T0_E_clISt17integral_constantIbLb1EES1D_EEDaS18_S19_EUlS18_E_NS1_11comp_targetILNS1_3genE0ELNS1_11target_archE4294967295ELNS1_3gpuE0ELNS1_3repE0EEENS1_30default_config_static_selectorELNS0_4arch9wavefront6targetE0EEEvT1_,"axG",@progbits,_ZN7rocprim17ROCPRIM_400000_NS6detail17trampoline_kernelINS0_14default_configENS1_25partition_config_selectorILNS1_17partition_subalgoE5EtNS0_10empty_typeEbEEZZNS1_14partition_implILS5_5ELb0ES3_mN6thrust23THRUST_200600_302600_NS6detail15normal_iteratorINSA_10device_ptrItEEEEPS6_NSA_18transform_iteratorINSB_9not_fun_tI7is_trueItEEENSC_INSD_IbEEEENSA_11use_defaultESO_EENS0_5tupleIJSF_S6_EEENSQ_IJSG_SG_EEES6_PlJS6_EEE10hipError_tPvRmT3_T4_T5_T6_T7_T9_mT8_P12ihipStream_tbDpT10_ENKUlT_T0_E_clISt17integral_constantIbLb1EES1D_EEDaS18_S19_EUlS18_E_NS1_11comp_targetILNS1_3genE0ELNS1_11target_archE4294967295ELNS1_3gpuE0ELNS1_3repE0EEENS1_30default_config_static_selectorELNS0_4arch9wavefront6targetE0EEEvT1_,comdat
	.protected	_ZN7rocprim17ROCPRIM_400000_NS6detail17trampoline_kernelINS0_14default_configENS1_25partition_config_selectorILNS1_17partition_subalgoE5EtNS0_10empty_typeEbEEZZNS1_14partition_implILS5_5ELb0ES3_mN6thrust23THRUST_200600_302600_NS6detail15normal_iteratorINSA_10device_ptrItEEEEPS6_NSA_18transform_iteratorINSB_9not_fun_tI7is_trueItEEENSC_INSD_IbEEEENSA_11use_defaultESO_EENS0_5tupleIJSF_S6_EEENSQ_IJSG_SG_EEES6_PlJS6_EEE10hipError_tPvRmT3_T4_T5_T6_T7_T9_mT8_P12ihipStream_tbDpT10_ENKUlT_T0_E_clISt17integral_constantIbLb1EES1D_EEDaS18_S19_EUlS18_E_NS1_11comp_targetILNS1_3genE0ELNS1_11target_archE4294967295ELNS1_3gpuE0ELNS1_3repE0EEENS1_30default_config_static_selectorELNS0_4arch9wavefront6targetE0EEEvT1_ ; -- Begin function _ZN7rocprim17ROCPRIM_400000_NS6detail17trampoline_kernelINS0_14default_configENS1_25partition_config_selectorILNS1_17partition_subalgoE5EtNS0_10empty_typeEbEEZZNS1_14partition_implILS5_5ELb0ES3_mN6thrust23THRUST_200600_302600_NS6detail15normal_iteratorINSA_10device_ptrItEEEEPS6_NSA_18transform_iteratorINSB_9not_fun_tI7is_trueItEEENSC_INSD_IbEEEENSA_11use_defaultESO_EENS0_5tupleIJSF_S6_EEENSQ_IJSG_SG_EEES6_PlJS6_EEE10hipError_tPvRmT3_T4_T5_T6_T7_T9_mT8_P12ihipStream_tbDpT10_ENKUlT_T0_E_clISt17integral_constantIbLb1EES1D_EEDaS18_S19_EUlS18_E_NS1_11comp_targetILNS1_3genE0ELNS1_11target_archE4294967295ELNS1_3gpuE0ELNS1_3repE0EEENS1_30default_config_static_selectorELNS0_4arch9wavefront6targetE0EEEvT1_
	.globl	_ZN7rocprim17ROCPRIM_400000_NS6detail17trampoline_kernelINS0_14default_configENS1_25partition_config_selectorILNS1_17partition_subalgoE5EtNS0_10empty_typeEbEEZZNS1_14partition_implILS5_5ELb0ES3_mN6thrust23THRUST_200600_302600_NS6detail15normal_iteratorINSA_10device_ptrItEEEEPS6_NSA_18transform_iteratorINSB_9not_fun_tI7is_trueItEEENSC_INSD_IbEEEENSA_11use_defaultESO_EENS0_5tupleIJSF_S6_EEENSQ_IJSG_SG_EEES6_PlJS6_EEE10hipError_tPvRmT3_T4_T5_T6_T7_T9_mT8_P12ihipStream_tbDpT10_ENKUlT_T0_E_clISt17integral_constantIbLb1EES1D_EEDaS18_S19_EUlS18_E_NS1_11comp_targetILNS1_3genE0ELNS1_11target_archE4294967295ELNS1_3gpuE0ELNS1_3repE0EEENS1_30default_config_static_selectorELNS0_4arch9wavefront6targetE0EEEvT1_
	.p2align	8
	.type	_ZN7rocprim17ROCPRIM_400000_NS6detail17trampoline_kernelINS0_14default_configENS1_25partition_config_selectorILNS1_17partition_subalgoE5EtNS0_10empty_typeEbEEZZNS1_14partition_implILS5_5ELb0ES3_mN6thrust23THRUST_200600_302600_NS6detail15normal_iteratorINSA_10device_ptrItEEEEPS6_NSA_18transform_iteratorINSB_9not_fun_tI7is_trueItEEENSC_INSD_IbEEEENSA_11use_defaultESO_EENS0_5tupleIJSF_S6_EEENSQ_IJSG_SG_EEES6_PlJS6_EEE10hipError_tPvRmT3_T4_T5_T6_T7_T9_mT8_P12ihipStream_tbDpT10_ENKUlT_T0_E_clISt17integral_constantIbLb1EES1D_EEDaS18_S19_EUlS18_E_NS1_11comp_targetILNS1_3genE0ELNS1_11target_archE4294967295ELNS1_3gpuE0ELNS1_3repE0EEENS1_30default_config_static_selectorELNS0_4arch9wavefront6targetE0EEEvT1_,@function
_ZN7rocprim17ROCPRIM_400000_NS6detail17trampoline_kernelINS0_14default_configENS1_25partition_config_selectorILNS1_17partition_subalgoE5EtNS0_10empty_typeEbEEZZNS1_14partition_implILS5_5ELb0ES3_mN6thrust23THRUST_200600_302600_NS6detail15normal_iteratorINSA_10device_ptrItEEEEPS6_NSA_18transform_iteratorINSB_9not_fun_tI7is_trueItEEENSC_INSD_IbEEEENSA_11use_defaultESO_EENS0_5tupleIJSF_S6_EEENSQ_IJSG_SG_EEES6_PlJS6_EEE10hipError_tPvRmT3_T4_T5_T6_T7_T9_mT8_P12ihipStream_tbDpT10_ENKUlT_T0_E_clISt17integral_constantIbLb1EES1D_EEDaS18_S19_EUlS18_E_NS1_11comp_targetILNS1_3genE0ELNS1_11target_archE4294967295ELNS1_3gpuE0ELNS1_3repE0EEENS1_30default_config_static_selectorELNS0_4arch9wavefront6targetE0EEEvT1_: ; @_ZN7rocprim17ROCPRIM_400000_NS6detail17trampoline_kernelINS0_14default_configENS1_25partition_config_selectorILNS1_17partition_subalgoE5EtNS0_10empty_typeEbEEZZNS1_14partition_implILS5_5ELb0ES3_mN6thrust23THRUST_200600_302600_NS6detail15normal_iteratorINSA_10device_ptrItEEEEPS6_NSA_18transform_iteratorINSB_9not_fun_tI7is_trueItEEENSC_INSD_IbEEEENSA_11use_defaultESO_EENS0_5tupleIJSF_S6_EEENSQ_IJSG_SG_EEES6_PlJS6_EEE10hipError_tPvRmT3_T4_T5_T6_T7_T9_mT8_P12ihipStream_tbDpT10_ENKUlT_T0_E_clISt17integral_constantIbLb1EES1D_EEDaS18_S19_EUlS18_E_NS1_11comp_targetILNS1_3genE0ELNS1_11target_archE4294967295ELNS1_3gpuE0ELNS1_3repE0EEENS1_30default_config_static_selectorELNS0_4arch9wavefront6targetE0EEEvT1_
; %bb.0:
	.section	.rodata,"a",@progbits
	.p2align	6, 0x0
	.amdhsa_kernel _ZN7rocprim17ROCPRIM_400000_NS6detail17trampoline_kernelINS0_14default_configENS1_25partition_config_selectorILNS1_17partition_subalgoE5EtNS0_10empty_typeEbEEZZNS1_14partition_implILS5_5ELb0ES3_mN6thrust23THRUST_200600_302600_NS6detail15normal_iteratorINSA_10device_ptrItEEEEPS6_NSA_18transform_iteratorINSB_9not_fun_tI7is_trueItEEENSC_INSD_IbEEEENSA_11use_defaultESO_EENS0_5tupleIJSF_S6_EEENSQ_IJSG_SG_EEES6_PlJS6_EEE10hipError_tPvRmT3_T4_T5_T6_T7_T9_mT8_P12ihipStream_tbDpT10_ENKUlT_T0_E_clISt17integral_constantIbLb1EES1D_EEDaS18_S19_EUlS18_E_NS1_11comp_targetILNS1_3genE0ELNS1_11target_archE4294967295ELNS1_3gpuE0ELNS1_3repE0EEENS1_30default_config_static_selectorELNS0_4arch9wavefront6targetE0EEEvT1_
		.amdhsa_group_segment_fixed_size 0
		.amdhsa_private_segment_fixed_size 0
		.amdhsa_kernarg_size 136
		.amdhsa_user_sgpr_count 2
		.amdhsa_user_sgpr_dispatch_ptr 0
		.amdhsa_user_sgpr_queue_ptr 0
		.amdhsa_user_sgpr_kernarg_segment_ptr 1
		.amdhsa_user_sgpr_dispatch_id 0
		.amdhsa_user_sgpr_private_segment_size 0
		.amdhsa_wavefront_size32 1
		.amdhsa_uses_dynamic_stack 0
		.amdhsa_enable_private_segment 0
		.amdhsa_system_sgpr_workgroup_id_x 1
		.amdhsa_system_sgpr_workgroup_id_y 0
		.amdhsa_system_sgpr_workgroup_id_z 0
		.amdhsa_system_sgpr_workgroup_info 0
		.amdhsa_system_vgpr_workitem_id 0
		.amdhsa_next_free_vgpr 1
		.amdhsa_next_free_sgpr 1
		.amdhsa_reserve_vcc 0
		.amdhsa_float_round_mode_32 0
		.amdhsa_float_round_mode_16_64 0
		.amdhsa_float_denorm_mode_32 3
		.amdhsa_float_denorm_mode_16_64 3
		.amdhsa_fp16_overflow 0
		.amdhsa_workgroup_processor_mode 1
		.amdhsa_memory_ordered 1
		.amdhsa_forward_progress 1
		.amdhsa_inst_pref_size 0
		.amdhsa_round_robin_scheduling 0
		.amdhsa_exception_fp_ieee_invalid_op 0
		.amdhsa_exception_fp_denorm_src 0
		.amdhsa_exception_fp_ieee_div_zero 0
		.amdhsa_exception_fp_ieee_overflow 0
		.amdhsa_exception_fp_ieee_underflow 0
		.amdhsa_exception_fp_ieee_inexact 0
		.amdhsa_exception_int_div_zero 0
	.end_amdhsa_kernel
	.section	.text._ZN7rocprim17ROCPRIM_400000_NS6detail17trampoline_kernelINS0_14default_configENS1_25partition_config_selectorILNS1_17partition_subalgoE5EtNS0_10empty_typeEbEEZZNS1_14partition_implILS5_5ELb0ES3_mN6thrust23THRUST_200600_302600_NS6detail15normal_iteratorINSA_10device_ptrItEEEEPS6_NSA_18transform_iteratorINSB_9not_fun_tI7is_trueItEEENSC_INSD_IbEEEENSA_11use_defaultESO_EENS0_5tupleIJSF_S6_EEENSQ_IJSG_SG_EEES6_PlJS6_EEE10hipError_tPvRmT3_T4_T5_T6_T7_T9_mT8_P12ihipStream_tbDpT10_ENKUlT_T0_E_clISt17integral_constantIbLb1EES1D_EEDaS18_S19_EUlS18_E_NS1_11comp_targetILNS1_3genE0ELNS1_11target_archE4294967295ELNS1_3gpuE0ELNS1_3repE0EEENS1_30default_config_static_selectorELNS0_4arch9wavefront6targetE0EEEvT1_,"axG",@progbits,_ZN7rocprim17ROCPRIM_400000_NS6detail17trampoline_kernelINS0_14default_configENS1_25partition_config_selectorILNS1_17partition_subalgoE5EtNS0_10empty_typeEbEEZZNS1_14partition_implILS5_5ELb0ES3_mN6thrust23THRUST_200600_302600_NS6detail15normal_iteratorINSA_10device_ptrItEEEEPS6_NSA_18transform_iteratorINSB_9not_fun_tI7is_trueItEEENSC_INSD_IbEEEENSA_11use_defaultESO_EENS0_5tupleIJSF_S6_EEENSQ_IJSG_SG_EEES6_PlJS6_EEE10hipError_tPvRmT3_T4_T5_T6_T7_T9_mT8_P12ihipStream_tbDpT10_ENKUlT_T0_E_clISt17integral_constantIbLb1EES1D_EEDaS18_S19_EUlS18_E_NS1_11comp_targetILNS1_3genE0ELNS1_11target_archE4294967295ELNS1_3gpuE0ELNS1_3repE0EEENS1_30default_config_static_selectorELNS0_4arch9wavefront6targetE0EEEvT1_,comdat
.Lfunc_end2469:
	.size	_ZN7rocprim17ROCPRIM_400000_NS6detail17trampoline_kernelINS0_14default_configENS1_25partition_config_selectorILNS1_17partition_subalgoE5EtNS0_10empty_typeEbEEZZNS1_14partition_implILS5_5ELb0ES3_mN6thrust23THRUST_200600_302600_NS6detail15normal_iteratorINSA_10device_ptrItEEEEPS6_NSA_18transform_iteratorINSB_9not_fun_tI7is_trueItEEENSC_INSD_IbEEEENSA_11use_defaultESO_EENS0_5tupleIJSF_S6_EEENSQ_IJSG_SG_EEES6_PlJS6_EEE10hipError_tPvRmT3_T4_T5_T6_T7_T9_mT8_P12ihipStream_tbDpT10_ENKUlT_T0_E_clISt17integral_constantIbLb1EES1D_EEDaS18_S19_EUlS18_E_NS1_11comp_targetILNS1_3genE0ELNS1_11target_archE4294967295ELNS1_3gpuE0ELNS1_3repE0EEENS1_30default_config_static_selectorELNS0_4arch9wavefront6targetE0EEEvT1_, .Lfunc_end2469-_ZN7rocprim17ROCPRIM_400000_NS6detail17trampoline_kernelINS0_14default_configENS1_25partition_config_selectorILNS1_17partition_subalgoE5EtNS0_10empty_typeEbEEZZNS1_14partition_implILS5_5ELb0ES3_mN6thrust23THRUST_200600_302600_NS6detail15normal_iteratorINSA_10device_ptrItEEEEPS6_NSA_18transform_iteratorINSB_9not_fun_tI7is_trueItEEENSC_INSD_IbEEEENSA_11use_defaultESO_EENS0_5tupleIJSF_S6_EEENSQ_IJSG_SG_EEES6_PlJS6_EEE10hipError_tPvRmT3_T4_T5_T6_T7_T9_mT8_P12ihipStream_tbDpT10_ENKUlT_T0_E_clISt17integral_constantIbLb1EES1D_EEDaS18_S19_EUlS18_E_NS1_11comp_targetILNS1_3genE0ELNS1_11target_archE4294967295ELNS1_3gpuE0ELNS1_3repE0EEENS1_30default_config_static_selectorELNS0_4arch9wavefront6targetE0EEEvT1_
                                        ; -- End function
	.set _ZN7rocprim17ROCPRIM_400000_NS6detail17trampoline_kernelINS0_14default_configENS1_25partition_config_selectorILNS1_17partition_subalgoE5EtNS0_10empty_typeEbEEZZNS1_14partition_implILS5_5ELb0ES3_mN6thrust23THRUST_200600_302600_NS6detail15normal_iteratorINSA_10device_ptrItEEEEPS6_NSA_18transform_iteratorINSB_9not_fun_tI7is_trueItEEENSC_INSD_IbEEEENSA_11use_defaultESO_EENS0_5tupleIJSF_S6_EEENSQ_IJSG_SG_EEES6_PlJS6_EEE10hipError_tPvRmT3_T4_T5_T6_T7_T9_mT8_P12ihipStream_tbDpT10_ENKUlT_T0_E_clISt17integral_constantIbLb1EES1D_EEDaS18_S19_EUlS18_E_NS1_11comp_targetILNS1_3genE0ELNS1_11target_archE4294967295ELNS1_3gpuE0ELNS1_3repE0EEENS1_30default_config_static_selectorELNS0_4arch9wavefront6targetE0EEEvT1_.num_vgpr, 0
	.set _ZN7rocprim17ROCPRIM_400000_NS6detail17trampoline_kernelINS0_14default_configENS1_25partition_config_selectorILNS1_17partition_subalgoE5EtNS0_10empty_typeEbEEZZNS1_14partition_implILS5_5ELb0ES3_mN6thrust23THRUST_200600_302600_NS6detail15normal_iteratorINSA_10device_ptrItEEEEPS6_NSA_18transform_iteratorINSB_9not_fun_tI7is_trueItEEENSC_INSD_IbEEEENSA_11use_defaultESO_EENS0_5tupleIJSF_S6_EEENSQ_IJSG_SG_EEES6_PlJS6_EEE10hipError_tPvRmT3_T4_T5_T6_T7_T9_mT8_P12ihipStream_tbDpT10_ENKUlT_T0_E_clISt17integral_constantIbLb1EES1D_EEDaS18_S19_EUlS18_E_NS1_11comp_targetILNS1_3genE0ELNS1_11target_archE4294967295ELNS1_3gpuE0ELNS1_3repE0EEENS1_30default_config_static_selectorELNS0_4arch9wavefront6targetE0EEEvT1_.num_agpr, 0
	.set _ZN7rocprim17ROCPRIM_400000_NS6detail17trampoline_kernelINS0_14default_configENS1_25partition_config_selectorILNS1_17partition_subalgoE5EtNS0_10empty_typeEbEEZZNS1_14partition_implILS5_5ELb0ES3_mN6thrust23THRUST_200600_302600_NS6detail15normal_iteratorINSA_10device_ptrItEEEEPS6_NSA_18transform_iteratorINSB_9not_fun_tI7is_trueItEEENSC_INSD_IbEEEENSA_11use_defaultESO_EENS0_5tupleIJSF_S6_EEENSQ_IJSG_SG_EEES6_PlJS6_EEE10hipError_tPvRmT3_T4_T5_T6_T7_T9_mT8_P12ihipStream_tbDpT10_ENKUlT_T0_E_clISt17integral_constantIbLb1EES1D_EEDaS18_S19_EUlS18_E_NS1_11comp_targetILNS1_3genE0ELNS1_11target_archE4294967295ELNS1_3gpuE0ELNS1_3repE0EEENS1_30default_config_static_selectorELNS0_4arch9wavefront6targetE0EEEvT1_.numbered_sgpr, 0
	.set _ZN7rocprim17ROCPRIM_400000_NS6detail17trampoline_kernelINS0_14default_configENS1_25partition_config_selectorILNS1_17partition_subalgoE5EtNS0_10empty_typeEbEEZZNS1_14partition_implILS5_5ELb0ES3_mN6thrust23THRUST_200600_302600_NS6detail15normal_iteratorINSA_10device_ptrItEEEEPS6_NSA_18transform_iteratorINSB_9not_fun_tI7is_trueItEEENSC_INSD_IbEEEENSA_11use_defaultESO_EENS0_5tupleIJSF_S6_EEENSQ_IJSG_SG_EEES6_PlJS6_EEE10hipError_tPvRmT3_T4_T5_T6_T7_T9_mT8_P12ihipStream_tbDpT10_ENKUlT_T0_E_clISt17integral_constantIbLb1EES1D_EEDaS18_S19_EUlS18_E_NS1_11comp_targetILNS1_3genE0ELNS1_11target_archE4294967295ELNS1_3gpuE0ELNS1_3repE0EEENS1_30default_config_static_selectorELNS0_4arch9wavefront6targetE0EEEvT1_.num_named_barrier, 0
	.set _ZN7rocprim17ROCPRIM_400000_NS6detail17trampoline_kernelINS0_14default_configENS1_25partition_config_selectorILNS1_17partition_subalgoE5EtNS0_10empty_typeEbEEZZNS1_14partition_implILS5_5ELb0ES3_mN6thrust23THRUST_200600_302600_NS6detail15normal_iteratorINSA_10device_ptrItEEEEPS6_NSA_18transform_iteratorINSB_9not_fun_tI7is_trueItEEENSC_INSD_IbEEEENSA_11use_defaultESO_EENS0_5tupleIJSF_S6_EEENSQ_IJSG_SG_EEES6_PlJS6_EEE10hipError_tPvRmT3_T4_T5_T6_T7_T9_mT8_P12ihipStream_tbDpT10_ENKUlT_T0_E_clISt17integral_constantIbLb1EES1D_EEDaS18_S19_EUlS18_E_NS1_11comp_targetILNS1_3genE0ELNS1_11target_archE4294967295ELNS1_3gpuE0ELNS1_3repE0EEENS1_30default_config_static_selectorELNS0_4arch9wavefront6targetE0EEEvT1_.private_seg_size, 0
	.set _ZN7rocprim17ROCPRIM_400000_NS6detail17trampoline_kernelINS0_14default_configENS1_25partition_config_selectorILNS1_17partition_subalgoE5EtNS0_10empty_typeEbEEZZNS1_14partition_implILS5_5ELb0ES3_mN6thrust23THRUST_200600_302600_NS6detail15normal_iteratorINSA_10device_ptrItEEEEPS6_NSA_18transform_iteratorINSB_9not_fun_tI7is_trueItEEENSC_INSD_IbEEEENSA_11use_defaultESO_EENS0_5tupleIJSF_S6_EEENSQ_IJSG_SG_EEES6_PlJS6_EEE10hipError_tPvRmT3_T4_T5_T6_T7_T9_mT8_P12ihipStream_tbDpT10_ENKUlT_T0_E_clISt17integral_constantIbLb1EES1D_EEDaS18_S19_EUlS18_E_NS1_11comp_targetILNS1_3genE0ELNS1_11target_archE4294967295ELNS1_3gpuE0ELNS1_3repE0EEENS1_30default_config_static_selectorELNS0_4arch9wavefront6targetE0EEEvT1_.uses_vcc, 0
	.set _ZN7rocprim17ROCPRIM_400000_NS6detail17trampoline_kernelINS0_14default_configENS1_25partition_config_selectorILNS1_17partition_subalgoE5EtNS0_10empty_typeEbEEZZNS1_14partition_implILS5_5ELb0ES3_mN6thrust23THRUST_200600_302600_NS6detail15normal_iteratorINSA_10device_ptrItEEEEPS6_NSA_18transform_iteratorINSB_9not_fun_tI7is_trueItEEENSC_INSD_IbEEEENSA_11use_defaultESO_EENS0_5tupleIJSF_S6_EEENSQ_IJSG_SG_EEES6_PlJS6_EEE10hipError_tPvRmT3_T4_T5_T6_T7_T9_mT8_P12ihipStream_tbDpT10_ENKUlT_T0_E_clISt17integral_constantIbLb1EES1D_EEDaS18_S19_EUlS18_E_NS1_11comp_targetILNS1_3genE0ELNS1_11target_archE4294967295ELNS1_3gpuE0ELNS1_3repE0EEENS1_30default_config_static_selectorELNS0_4arch9wavefront6targetE0EEEvT1_.uses_flat_scratch, 0
	.set _ZN7rocprim17ROCPRIM_400000_NS6detail17trampoline_kernelINS0_14default_configENS1_25partition_config_selectorILNS1_17partition_subalgoE5EtNS0_10empty_typeEbEEZZNS1_14partition_implILS5_5ELb0ES3_mN6thrust23THRUST_200600_302600_NS6detail15normal_iteratorINSA_10device_ptrItEEEEPS6_NSA_18transform_iteratorINSB_9not_fun_tI7is_trueItEEENSC_INSD_IbEEEENSA_11use_defaultESO_EENS0_5tupleIJSF_S6_EEENSQ_IJSG_SG_EEES6_PlJS6_EEE10hipError_tPvRmT3_T4_T5_T6_T7_T9_mT8_P12ihipStream_tbDpT10_ENKUlT_T0_E_clISt17integral_constantIbLb1EES1D_EEDaS18_S19_EUlS18_E_NS1_11comp_targetILNS1_3genE0ELNS1_11target_archE4294967295ELNS1_3gpuE0ELNS1_3repE0EEENS1_30default_config_static_selectorELNS0_4arch9wavefront6targetE0EEEvT1_.has_dyn_sized_stack, 0
	.set _ZN7rocprim17ROCPRIM_400000_NS6detail17trampoline_kernelINS0_14default_configENS1_25partition_config_selectorILNS1_17partition_subalgoE5EtNS0_10empty_typeEbEEZZNS1_14partition_implILS5_5ELb0ES3_mN6thrust23THRUST_200600_302600_NS6detail15normal_iteratorINSA_10device_ptrItEEEEPS6_NSA_18transform_iteratorINSB_9not_fun_tI7is_trueItEEENSC_INSD_IbEEEENSA_11use_defaultESO_EENS0_5tupleIJSF_S6_EEENSQ_IJSG_SG_EEES6_PlJS6_EEE10hipError_tPvRmT3_T4_T5_T6_T7_T9_mT8_P12ihipStream_tbDpT10_ENKUlT_T0_E_clISt17integral_constantIbLb1EES1D_EEDaS18_S19_EUlS18_E_NS1_11comp_targetILNS1_3genE0ELNS1_11target_archE4294967295ELNS1_3gpuE0ELNS1_3repE0EEENS1_30default_config_static_selectorELNS0_4arch9wavefront6targetE0EEEvT1_.has_recursion, 0
	.set _ZN7rocprim17ROCPRIM_400000_NS6detail17trampoline_kernelINS0_14default_configENS1_25partition_config_selectorILNS1_17partition_subalgoE5EtNS0_10empty_typeEbEEZZNS1_14partition_implILS5_5ELb0ES3_mN6thrust23THRUST_200600_302600_NS6detail15normal_iteratorINSA_10device_ptrItEEEEPS6_NSA_18transform_iteratorINSB_9not_fun_tI7is_trueItEEENSC_INSD_IbEEEENSA_11use_defaultESO_EENS0_5tupleIJSF_S6_EEENSQ_IJSG_SG_EEES6_PlJS6_EEE10hipError_tPvRmT3_T4_T5_T6_T7_T9_mT8_P12ihipStream_tbDpT10_ENKUlT_T0_E_clISt17integral_constantIbLb1EES1D_EEDaS18_S19_EUlS18_E_NS1_11comp_targetILNS1_3genE0ELNS1_11target_archE4294967295ELNS1_3gpuE0ELNS1_3repE0EEENS1_30default_config_static_selectorELNS0_4arch9wavefront6targetE0EEEvT1_.has_indirect_call, 0
	.section	.AMDGPU.csdata,"",@progbits
; Kernel info:
; codeLenInByte = 0
; TotalNumSgprs: 0
; NumVgprs: 0
; ScratchSize: 0
; MemoryBound: 0
; FloatMode: 240
; IeeeMode: 1
; LDSByteSize: 0 bytes/workgroup (compile time only)
; SGPRBlocks: 0
; VGPRBlocks: 0
; NumSGPRsForWavesPerEU: 1
; NumVGPRsForWavesPerEU: 1
; Occupancy: 16
; WaveLimiterHint : 0
; COMPUTE_PGM_RSRC2:SCRATCH_EN: 0
; COMPUTE_PGM_RSRC2:USER_SGPR: 2
; COMPUTE_PGM_RSRC2:TRAP_HANDLER: 0
; COMPUTE_PGM_RSRC2:TGID_X_EN: 1
; COMPUTE_PGM_RSRC2:TGID_Y_EN: 0
; COMPUTE_PGM_RSRC2:TGID_Z_EN: 0
; COMPUTE_PGM_RSRC2:TIDIG_COMP_CNT: 0
	.section	.text._ZN7rocprim17ROCPRIM_400000_NS6detail17trampoline_kernelINS0_14default_configENS1_25partition_config_selectorILNS1_17partition_subalgoE5EtNS0_10empty_typeEbEEZZNS1_14partition_implILS5_5ELb0ES3_mN6thrust23THRUST_200600_302600_NS6detail15normal_iteratorINSA_10device_ptrItEEEEPS6_NSA_18transform_iteratorINSB_9not_fun_tI7is_trueItEEENSC_INSD_IbEEEENSA_11use_defaultESO_EENS0_5tupleIJSF_S6_EEENSQ_IJSG_SG_EEES6_PlJS6_EEE10hipError_tPvRmT3_T4_T5_T6_T7_T9_mT8_P12ihipStream_tbDpT10_ENKUlT_T0_E_clISt17integral_constantIbLb1EES1D_EEDaS18_S19_EUlS18_E_NS1_11comp_targetILNS1_3genE5ELNS1_11target_archE942ELNS1_3gpuE9ELNS1_3repE0EEENS1_30default_config_static_selectorELNS0_4arch9wavefront6targetE0EEEvT1_,"axG",@progbits,_ZN7rocprim17ROCPRIM_400000_NS6detail17trampoline_kernelINS0_14default_configENS1_25partition_config_selectorILNS1_17partition_subalgoE5EtNS0_10empty_typeEbEEZZNS1_14partition_implILS5_5ELb0ES3_mN6thrust23THRUST_200600_302600_NS6detail15normal_iteratorINSA_10device_ptrItEEEEPS6_NSA_18transform_iteratorINSB_9not_fun_tI7is_trueItEEENSC_INSD_IbEEEENSA_11use_defaultESO_EENS0_5tupleIJSF_S6_EEENSQ_IJSG_SG_EEES6_PlJS6_EEE10hipError_tPvRmT3_T4_T5_T6_T7_T9_mT8_P12ihipStream_tbDpT10_ENKUlT_T0_E_clISt17integral_constantIbLb1EES1D_EEDaS18_S19_EUlS18_E_NS1_11comp_targetILNS1_3genE5ELNS1_11target_archE942ELNS1_3gpuE9ELNS1_3repE0EEENS1_30default_config_static_selectorELNS0_4arch9wavefront6targetE0EEEvT1_,comdat
	.protected	_ZN7rocprim17ROCPRIM_400000_NS6detail17trampoline_kernelINS0_14default_configENS1_25partition_config_selectorILNS1_17partition_subalgoE5EtNS0_10empty_typeEbEEZZNS1_14partition_implILS5_5ELb0ES3_mN6thrust23THRUST_200600_302600_NS6detail15normal_iteratorINSA_10device_ptrItEEEEPS6_NSA_18transform_iteratorINSB_9not_fun_tI7is_trueItEEENSC_INSD_IbEEEENSA_11use_defaultESO_EENS0_5tupleIJSF_S6_EEENSQ_IJSG_SG_EEES6_PlJS6_EEE10hipError_tPvRmT3_T4_T5_T6_T7_T9_mT8_P12ihipStream_tbDpT10_ENKUlT_T0_E_clISt17integral_constantIbLb1EES1D_EEDaS18_S19_EUlS18_E_NS1_11comp_targetILNS1_3genE5ELNS1_11target_archE942ELNS1_3gpuE9ELNS1_3repE0EEENS1_30default_config_static_selectorELNS0_4arch9wavefront6targetE0EEEvT1_ ; -- Begin function _ZN7rocprim17ROCPRIM_400000_NS6detail17trampoline_kernelINS0_14default_configENS1_25partition_config_selectorILNS1_17partition_subalgoE5EtNS0_10empty_typeEbEEZZNS1_14partition_implILS5_5ELb0ES3_mN6thrust23THRUST_200600_302600_NS6detail15normal_iteratorINSA_10device_ptrItEEEEPS6_NSA_18transform_iteratorINSB_9not_fun_tI7is_trueItEEENSC_INSD_IbEEEENSA_11use_defaultESO_EENS0_5tupleIJSF_S6_EEENSQ_IJSG_SG_EEES6_PlJS6_EEE10hipError_tPvRmT3_T4_T5_T6_T7_T9_mT8_P12ihipStream_tbDpT10_ENKUlT_T0_E_clISt17integral_constantIbLb1EES1D_EEDaS18_S19_EUlS18_E_NS1_11comp_targetILNS1_3genE5ELNS1_11target_archE942ELNS1_3gpuE9ELNS1_3repE0EEENS1_30default_config_static_selectorELNS0_4arch9wavefront6targetE0EEEvT1_
	.globl	_ZN7rocprim17ROCPRIM_400000_NS6detail17trampoline_kernelINS0_14default_configENS1_25partition_config_selectorILNS1_17partition_subalgoE5EtNS0_10empty_typeEbEEZZNS1_14partition_implILS5_5ELb0ES3_mN6thrust23THRUST_200600_302600_NS6detail15normal_iteratorINSA_10device_ptrItEEEEPS6_NSA_18transform_iteratorINSB_9not_fun_tI7is_trueItEEENSC_INSD_IbEEEENSA_11use_defaultESO_EENS0_5tupleIJSF_S6_EEENSQ_IJSG_SG_EEES6_PlJS6_EEE10hipError_tPvRmT3_T4_T5_T6_T7_T9_mT8_P12ihipStream_tbDpT10_ENKUlT_T0_E_clISt17integral_constantIbLb1EES1D_EEDaS18_S19_EUlS18_E_NS1_11comp_targetILNS1_3genE5ELNS1_11target_archE942ELNS1_3gpuE9ELNS1_3repE0EEENS1_30default_config_static_selectorELNS0_4arch9wavefront6targetE0EEEvT1_
	.p2align	8
	.type	_ZN7rocprim17ROCPRIM_400000_NS6detail17trampoline_kernelINS0_14default_configENS1_25partition_config_selectorILNS1_17partition_subalgoE5EtNS0_10empty_typeEbEEZZNS1_14partition_implILS5_5ELb0ES3_mN6thrust23THRUST_200600_302600_NS6detail15normal_iteratorINSA_10device_ptrItEEEEPS6_NSA_18transform_iteratorINSB_9not_fun_tI7is_trueItEEENSC_INSD_IbEEEENSA_11use_defaultESO_EENS0_5tupleIJSF_S6_EEENSQ_IJSG_SG_EEES6_PlJS6_EEE10hipError_tPvRmT3_T4_T5_T6_T7_T9_mT8_P12ihipStream_tbDpT10_ENKUlT_T0_E_clISt17integral_constantIbLb1EES1D_EEDaS18_S19_EUlS18_E_NS1_11comp_targetILNS1_3genE5ELNS1_11target_archE942ELNS1_3gpuE9ELNS1_3repE0EEENS1_30default_config_static_selectorELNS0_4arch9wavefront6targetE0EEEvT1_,@function
_ZN7rocprim17ROCPRIM_400000_NS6detail17trampoline_kernelINS0_14default_configENS1_25partition_config_selectorILNS1_17partition_subalgoE5EtNS0_10empty_typeEbEEZZNS1_14partition_implILS5_5ELb0ES3_mN6thrust23THRUST_200600_302600_NS6detail15normal_iteratorINSA_10device_ptrItEEEEPS6_NSA_18transform_iteratorINSB_9not_fun_tI7is_trueItEEENSC_INSD_IbEEEENSA_11use_defaultESO_EENS0_5tupleIJSF_S6_EEENSQ_IJSG_SG_EEES6_PlJS6_EEE10hipError_tPvRmT3_T4_T5_T6_T7_T9_mT8_P12ihipStream_tbDpT10_ENKUlT_T0_E_clISt17integral_constantIbLb1EES1D_EEDaS18_S19_EUlS18_E_NS1_11comp_targetILNS1_3genE5ELNS1_11target_archE942ELNS1_3gpuE9ELNS1_3repE0EEENS1_30default_config_static_selectorELNS0_4arch9wavefront6targetE0EEEvT1_: ; @_ZN7rocprim17ROCPRIM_400000_NS6detail17trampoline_kernelINS0_14default_configENS1_25partition_config_selectorILNS1_17partition_subalgoE5EtNS0_10empty_typeEbEEZZNS1_14partition_implILS5_5ELb0ES3_mN6thrust23THRUST_200600_302600_NS6detail15normal_iteratorINSA_10device_ptrItEEEEPS6_NSA_18transform_iteratorINSB_9not_fun_tI7is_trueItEEENSC_INSD_IbEEEENSA_11use_defaultESO_EENS0_5tupleIJSF_S6_EEENSQ_IJSG_SG_EEES6_PlJS6_EEE10hipError_tPvRmT3_T4_T5_T6_T7_T9_mT8_P12ihipStream_tbDpT10_ENKUlT_T0_E_clISt17integral_constantIbLb1EES1D_EEDaS18_S19_EUlS18_E_NS1_11comp_targetILNS1_3genE5ELNS1_11target_archE942ELNS1_3gpuE9ELNS1_3repE0EEENS1_30default_config_static_selectorELNS0_4arch9wavefront6targetE0EEEvT1_
; %bb.0:
	.section	.rodata,"a",@progbits
	.p2align	6, 0x0
	.amdhsa_kernel _ZN7rocprim17ROCPRIM_400000_NS6detail17trampoline_kernelINS0_14default_configENS1_25partition_config_selectorILNS1_17partition_subalgoE5EtNS0_10empty_typeEbEEZZNS1_14partition_implILS5_5ELb0ES3_mN6thrust23THRUST_200600_302600_NS6detail15normal_iteratorINSA_10device_ptrItEEEEPS6_NSA_18transform_iteratorINSB_9not_fun_tI7is_trueItEEENSC_INSD_IbEEEENSA_11use_defaultESO_EENS0_5tupleIJSF_S6_EEENSQ_IJSG_SG_EEES6_PlJS6_EEE10hipError_tPvRmT3_T4_T5_T6_T7_T9_mT8_P12ihipStream_tbDpT10_ENKUlT_T0_E_clISt17integral_constantIbLb1EES1D_EEDaS18_S19_EUlS18_E_NS1_11comp_targetILNS1_3genE5ELNS1_11target_archE942ELNS1_3gpuE9ELNS1_3repE0EEENS1_30default_config_static_selectorELNS0_4arch9wavefront6targetE0EEEvT1_
		.amdhsa_group_segment_fixed_size 0
		.amdhsa_private_segment_fixed_size 0
		.amdhsa_kernarg_size 136
		.amdhsa_user_sgpr_count 2
		.amdhsa_user_sgpr_dispatch_ptr 0
		.amdhsa_user_sgpr_queue_ptr 0
		.amdhsa_user_sgpr_kernarg_segment_ptr 1
		.amdhsa_user_sgpr_dispatch_id 0
		.amdhsa_user_sgpr_private_segment_size 0
		.amdhsa_wavefront_size32 1
		.amdhsa_uses_dynamic_stack 0
		.amdhsa_enable_private_segment 0
		.amdhsa_system_sgpr_workgroup_id_x 1
		.amdhsa_system_sgpr_workgroup_id_y 0
		.amdhsa_system_sgpr_workgroup_id_z 0
		.amdhsa_system_sgpr_workgroup_info 0
		.amdhsa_system_vgpr_workitem_id 0
		.amdhsa_next_free_vgpr 1
		.amdhsa_next_free_sgpr 1
		.amdhsa_reserve_vcc 0
		.amdhsa_float_round_mode_32 0
		.amdhsa_float_round_mode_16_64 0
		.amdhsa_float_denorm_mode_32 3
		.amdhsa_float_denorm_mode_16_64 3
		.amdhsa_fp16_overflow 0
		.amdhsa_workgroup_processor_mode 1
		.amdhsa_memory_ordered 1
		.amdhsa_forward_progress 1
		.amdhsa_inst_pref_size 0
		.amdhsa_round_robin_scheduling 0
		.amdhsa_exception_fp_ieee_invalid_op 0
		.amdhsa_exception_fp_denorm_src 0
		.amdhsa_exception_fp_ieee_div_zero 0
		.amdhsa_exception_fp_ieee_overflow 0
		.amdhsa_exception_fp_ieee_underflow 0
		.amdhsa_exception_fp_ieee_inexact 0
		.amdhsa_exception_int_div_zero 0
	.end_amdhsa_kernel
	.section	.text._ZN7rocprim17ROCPRIM_400000_NS6detail17trampoline_kernelINS0_14default_configENS1_25partition_config_selectorILNS1_17partition_subalgoE5EtNS0_10empty_typeEbEEZZNS1_14partition_implILS5_5ELb0ES3_mN6thrust23THRUST_200600_302600_NS6detail15normal_iteratorINSA_10device_ptrItEEEEPS6_NSA_18transform_iteratorINSB_9not_fun_tI7is_trueItEEENSC_INSD_IbEEEENSA_11use_defaultESO_EENS0_5tupleIJSF_S6_EEENSQ_IJSG_SG_EEES6_PlJS6_EEE10hipError_tPvRmT3_T4_T5_T6_T7_T9_mT8_P12ihipStream_tbDpT10_ENKUlT_T0_E_clISt17integral_constantIbLb1EES1D_EEDaS18_S19_EUlS18_E_NS1_11comp_targetILNS1_3genE5ELNS1_11target_archE942ELNS1_3gpuE9ELNS1_3repE0EEENS1_30default_config_static_selectorELNS0_4arch9wavefront6targetE0EEEvT1_,"axG",@progbits,_ZN7rocprim17ROCPRIM_400000_NS6detail17trampoline_kernelINS0_14default_configENS1_25partition_config_selectorILNS1_17partition_subalgoE5EtNS0_10empty_typeEbEEZZNS1_14partition_implILS5_5ELb0ES3_mN6thrust23THRUST_200600_302600_NS6detail15normal_iteratorINSA_10device_ptrItEEEEPS6_NSA_18transform_iteratorINSB_9not_fun_tI7is_trueItEEENSC_INSD_IbEEEENSA_11use_defaultESO_EENS0_5tupleIJSF_S6_EEENSQ_IJSG_SG_EEES6_PlJS6_EEE10hipError_tPvRmT3_T4_T5_T6_T7_T9_mT8_P12ihipStream_tbDpT10_ENKUlT_T0_E_clISt17integral_constantIbLb1EES1D_EEDaS18_S19_EUlS18_E_NS1_11comp_targetILNS1_3genE5ELNS1_11target_archE942ELNS1_3gpuE9ELNS1_3repE0EEENS1_30default_config_static_selectorELNS0_4arch9wavefront6targetE0EEEvT1_,comdat
.Lfunc_end2470:
	.size	_ZN7rocprim17ROCPRIM_400000_NS6detail17trampoline_kernelINS0_14default_configENS1_25partition_config_selectorILNS1_17partition_subalgoE5EtNS0_10empty_typeEbEEZZNS1_14partition_implILS5_5ELb0ES3_mN6thrust23THRUST_200600_302600_NS6detail15normal_iteratorINSA_10device_ptrItEEEEPS6_NSA_18transform_iteratorINSB_9not_fun_tI7is_trueItEEENSC_INSD_IbEEEENSA_11use_defaultESO_EENS0_5tupleIJSF_S6_EEENSQ_IJSG_SG_EEES6_PlJS6_EEE10hipError_tPvRmT3_T4_T5_T6_T7_T9_mT8_P12ihipStream_tbDpT10_ENKUlT_T0_E_clISt17integral_constantIbLb1EES1D_EEDaS18_S19_EUlS18_E_NS1_11comp_targetILNS1_3genE5ELNS1_11target_archE942ELNS1_3gpuE9ELNS1_3repE0EEENS1_30default_config_static_selectorELNS0_4arch9wavefront6targetE0EEEvT1_, .Lfunc_end2470-_ZN7rocprim17ROCPRIM_400000_NS6detail17trampoline_kernelINS0_14default_configENS1_25partition_config_selectorILNS1_17partition_subalgoE5EtNS0_10empty_typeEbEEZZNS1_14partition_implILS5_5ELb0ES3_mN6thrust23THRUST_200600_302600_NS6detail15normal_iteratorINSA_10device_ptrItEEEEPS6_NSA_18transform_iteratorINSB_9not_fun_tI7is_trueItEEENSC_INSD_IbEEEENSA_11use_defaultESO_EENS0_5tupleIJSF_S6_EEENSQ_IJSG_SG_EEES6_PlJS6_EEE10hipError_tPvRmT3_T4_T5_T6_T7_T9_mT8_P12ihipStream_tbDpT10_ENKUlT_T0_E_clISt17integral_constantIbLb1EES1D_EEDaS18_S19_EUlS18_E_NS1_11comp_targetILNS1_3genE5ELNS1_11target_archE942ELNS1_3gpuE9ELNS1_3repE0EEENS1_30default_config_static_selectorELNS0_4arch9wavefront6targetE0EEEvT1_
                                        ; -- End function
	.set _ZN7rocprim17ROCPRIM_400000_NS6detail17trampoline_kernelINS0_14default_configENS1_25partition_config_selectorILNS1_17partition_subalgoE5EtNS0_10empty_typeEbEEZZNS1_14partition_implILS5_5ELb0ES3_mN6thrust23THRUST_200600_302600_NS6detail15normal_iteratorINSA_10device_ptrItEEEEPS6_NSA_18transform_iteratorINSB_9not_fun_tI7is_trueItEEENSC_INSD_IbEEEENSA_11use_defaultESO_EENS0_5tupleIJSF_S6_EEENSQ_IJSG_SG_EEES6_PlJS6_EEE10hipError_tPvRmT3_T4_T5_T6_T7_T9_mT8_P12ihipStream_tbDpT10_ENKUlT_T0_E_clISt17integral_constantIbLb1EES1D_EEDaS18_S19_EUlS18_E_NS1_11comp_targetILNS1_3genE5ELNS1_11target_archE942ELNS1_3gpuE9ELNS1_3repE0EEENS1_30default_config_static_selectorELNS0_4arch9wavefront6targetE0EEEvT1_.num_vgpr, 0
	.set _ZN7rocprim17ROCPRIM_400000_NS6detail17trampoline_kernelINS0_14default_configENS1_25partition_config_selectorILNS1_17partition_subalgoE5EtNS0_10empty_typeEbEEZZNS1_14partition_implILS5_5ELb0ES3_mN6thrust23THRUST_200600_302600_NS6detail15normal_iteratorINSA_10device_ptrItEEEEPS6_NSA_18transform_iteratorINSB_9not_fun_tI7is_trueItEEENSC_INSD_IbEEEENSA_11use_defaultESO_EENS0_5tupleIJSF_S6_EEENSQ_IJSG_SG_EEES6_PlJS6_EEE10hipError_tPvRmT3_T4_T5_T6_T7_T9_mT8_P12ihipStream_tbDpT10_ENKUlT_T0_E_clISt17integral_constantIbLb1EES1D_EEDaS18_S19_EUlS18_E_NS1_11comp_targetILNS1_3genE5ELNS1_11target_archE942ELNS1_3gpuE9ELNS1_3repE0EEENS1_30default_config_static_selectorELNS0_4arch9wavefront6targetE0EEEvT1_.num_agpr, 0
	.set _ZN7rocprim17ROCPRIM_400000_NS6detail17trampoline_kernelINS0_14default_configENS1_25partition_config_selectorILNS1_17partition_subalgoE5EtNS0_10empty_typeEbEEZZNS1_14partition_implILS5_5ELb0ES3_mN6thrust23THRUST_200600_302600_NS6detail15normal_iteratorINSA_10device_ptrItEEEEPS6_NSA_18transform_iteratorINSB_9not_fun_tI7is_trueItEEENSC_INSD_IbEEEENSA_11use_defaultESO_EENS0_5tupleIJSF_S6_EEENSQ_IJSG_SG_EEES6_PlJS6_EEE10hipError_tPvRmT3_T4_T5_T6_T7_T9_mT8_P12ihipStream_tbDpT10_ENKUlT_T0_E_clISt17integral_constantIbLb1EES1D_EEDaS18_S19_EUlS18_E_NS1_11comp_targetILNS1_3genE5ELNS1_11target_archE942ELNS1_3gpuE9ELNS1_3repE0EEENS1_30default_config_static_selectorELNS0_4arch9wavefront6targetE0EEEvT1_.numbered_sgpr, 0
	.set _ZN7rocprim17ROCPRIM_400000_NS6detail17trampoline_kernelINS0_14default_configENS1_25partition_config_selectorILNS1_17partition_subalgoE5EtNS0_10empty_typeEbEEZZNS1_14partition_implILS5_5ELb0ES3_mN6thrust23THRUST_200600_302600_NS6detail15normal_iteratorINSA_10device_ptrItEEEEPS6_NSA_18transform_iteratorINSB_9not_fun_tI7is_trueItEEENSC_INSD_IbEEEENSA_11use_defaultESO_EENS0_5tupleIJSF_S6_EEENSQ_IJSG_SG_EEES6_PlJS6_EEE10hipError_tPvRmT3_T4_T5_T6_T7_T9_mT8_P12ihipStream_tbDpT10_ENKUlT_T0_E_clISt17integral_constantIbLb1EES1D_EEDaS18_S19_EUlS18_E_NS1_11comp_targetILNS1_3genE5ELNS1_11target_archE942ELNS1_3gpuE9ELNS1_3repE0EEENS1_30default_config_static_selectorELNS0_4arch9wavefront6targetE0EEEvT1_.num_named_barrier, 0
	.set _ZN7rocprim17ROCPRIM_400000_NS6detail17trampoline_kernelINS0_14default_configENS1_25partition_config_selectorILNS1_17partition_subalgoE5EtNS0_10empty_typeEbEEZZNS1_14partition_implILS5_5ELb0ES3_mN6thrust23THRUST_200600_302600_NS6detail15normal_iteratorINSA_10device_ptrItEEEEPS6_NSA_18transform_iteratorINSB_9not_fun_tI7is_trueItEEENSC_INSD_IbEEEENSA_11use_defaultESO_EENS0_5tupleIJSF_S6_EEENSQ_IJSG_SG_EEES6_PlJS6_EEE10hipError_tPvRmT3_T4_T5_T6_T7_T9_mT8_P12ihipStream_tbDpT10_ENKUlT_T0_E_clISt17integral_constantIbLb1EES1D_EEDaS18_S19_EUlS18_E_NS1_11comp_targetILNS1_3genE5ELNS1_11target_archE942ELNS1_3gpuE9ELNS1_3repE0EEENS1_30default_config_static_selectorELNS0_4arch9wavefront6targetE0EEEvT1_.private_seg_size, 0
	.set _ZN7rocprim17ROCPRIM_400000_NS6detail17trampoline_kernelINS0_14default_configENS1_25partition_config_selectorILNS1_17partition_subalgoE5EtNS0_10empty_typeEbEEZZNS1_14partition_implILS5_5ELb0ES3_mN6thrust23THRUST_200600_302600_NS6detail15normal_iteratorINSA_10device_ptrItEEEEPS6_NSA_18transform_iteratorINSB_9not_fun_tI7is_trueItEEENSC_INSD_IbEEEENSA_11use_defaultESO_EENS0_5tupleIJSF_S6_EEENSQ_IJSG_SG_EEES6_PlJS6_EEE10hipError_tPvRmT3_T4_T5_T6_T7_T9_mT8_P12ihipStream_tbDpT10_ENKUlT_T0_E_clISt17integral_constantIbLb1EES1D_EEDaS18_S19_EUlS18_E_NS1_11comp_targetILNS1_3genE5ELNS1_11target_archE942ELNS1_3gpuE9ELNS1_3repE0EEENS1_30default_config_static_selectorELNS0_4arch9wavefront6targetE0EEEvT1_.uses_vcc, 0
	.set _ZN7rocprim17ROCPRIM_400000_NS6detail17trampoline_kernelINS0_14default_configENS1_25partition_config_selectorILNS1_17partition_subalgoE5EtNS0_10empty_typeEbEEZZNS1_14partition_implILS5_5ELb0ES3_mN6thrust23THRUST_200600_302600_NS6detail15normal_iteratorINSA_10device_ptrItEEEEPS6_NSA_18transform_iteratorINSB_9not_fun_tI7is_trueItEEENSC_INSD_IbEEEENSA_11use_defaultESO_EENS0_5tupleIJSF_S6_EEENSQ_IJSG_SG_EEES6_PlJS6_EEE10hipError_tPvRmT3_T4_T5_T6_T7_T9_mT8_P12ihipStream_tbDpT10_ENKUlT_T0_E_clISt17integral_constantIbLb1EES1D_EEDaS18_S19_EUlS18_E_NS1_11comp_targetILNS1_3genE5ELNS1_11target_archE942ELNS1_3gpuE9ELNS1_3repE0EEENS1_30default_config_static_selectorELNS0_4arch9wavefront6targetE0EEEvT1_.uses_flat_scratch, 0
	.set _ZN7rocprim17ROCPRIM_400000_NS6detail17trampoline_kernelINS0_14default_configENS1_25partition_config_selectorILNS1_17partition_subalgoE5EtNS0_10empty_typeEbEEZZNS1_14partition_implILS5_5ELb0ES3_mN6thrust23THRUST_200600_302600_NS6detail15normal_iteratorINSA_10device_ptrItEEEEPS6_NSA_18transform_iteratorINSB_9not_fun_tI7is_trueItEEENSC_INSD_IbEEEENSA_11use_defaultESO_EENS0_5tupleIJSF_S6_EEENSQ_IJSG_SG_EEES6_PlJS6_EEE10hipError_tPvRmT3_T4_T5_T6_T7_T9_mT8_P12ihipStream_tbDpT10_ENKUlT_T0_E_clISt17integral_constantIbLb1EES1D_EEDaS18_S19_EUlS18_E_NS1_11comp_targetILNS1_3genE5ELNS1_11target_archE942ELNS1_3gpuE9ELNS1_3repE0EEENS1_30default_config_static_selectorELNS0_4arch9wavefront6targetE0EEEvT1_.has_dyn_sized_stack, 0
	.set _ZN7rocprim17ROCPRIM_400000_NS6detail17trampoline_kernelINS0_14default_configENS1_25partition_config_selectorILNS1_17partition_subalgoE5EtNS0_10empty_typeEbEEZZNS1_14partition_implILS5_5ELb0ES3_mN6thrust23THRUST_200600_302600_NS6detail15normal_iteratorINSA_10device_ptrItEEEEPS6_NSA_18transform_iteratorINSB_9not_fun_tI7is_trueItEEENSC_INSD_IbEEEENSA_11use_defaultESO_EENS0_5tupleIJSF_S6_EEENSQ_IJSG_SG_EEES6_PlJS6_EEE10hipError_tPvRmT3_T4_T5_T6_T7_T9_mT8_P12ihipStream_tbDpT10_ENKUlT_T0_E_clISt17integral_constantIbLb1EES1D_EEDaS18_S19_EUlS18_E_NS1_11comp_targetILNS1_3genE5ELNS1_11target_archE942ELNS1_3gpuE9ELNS1_3repE0EEENS1_30default_config_static_selectorELNS0_4arch9wavefront6targetE0EEEvT1_.has_recursion, 0
	.set _ZN7rocprim17ROCPRIM_400000_NS6detail17trampoline_kernelINS0_14default_configENS1_25partition_config_selectorILNS1_17partition_subalgoE5EtNS0_10empty_typeEbEEZZNS1_14partition_implILS5_5ELb0ES3_mN6thrust23THRUST_200600_302600_NS6detail15normal_iteratorINSA_10device_ptrItEEEEPS6_NSA_18transform_iteratorINSB_9not_fun_tI7is_trueItEEENSC_INSD_IbEEEENSA_11use_defaultESO_EENS0_5tupleIJSF_S6_EEENSQ_IJSG_SG_EEES6_PlJS6_EEE10hipError_tPvRmT3_T4_T5_T6_T7_T9_mT8_P12ihipStream_tbDpT10_ENKUlT_T0_E_clISt17integral_constantIbLb1EES1D_EEDaS18_S19_EUlS18_E_NS1_11comp_targetILNS1_3genE5ELNS1_11target_archE942ELNS1_3gpuE9ELNS1_3repE0EEENS1_30default_config_static_selectorELNS0_4arch9wavefront6targetE0EEEvT1_.has_indirect_call, 0
	.section	.AMDGPU.csdata,"",@progbits
; Kernel info:
; codeLenInByte = 0
; TotalNumSgprs: 0
; NumVgprs: 0
; ScratchSize: 0
; MemoryBound: 0
; FloatMode: 240
; IeeeMode: 1
; LDSByteSize: 0 bytes/workgroup (compile time only)
; SGPRBlocks: 0
; VGPRBlocks: 0
; NumSGPRsForWavesPerEU: 1
; NumVGPRsForWavesPerEU: 1
; Occupancy: 16
; WaveLimiterHint : 0
; COMPUTE_PGM_RSRC2:SCRATCH_EN: 0
; COMPUTE_PGM_RSRC2:USER_SGPR: 2
; COMPUTE_PGM_RSRC2:TRAP_HANDLER: 0
; COMPUTE_PGM_RSRC2:TGID_X_EN: 1
; COMPUTE_PGM_RSRC2:TGID_Y_EN: 0
; COMPUTE_PGM_RSRC2:TGID_Z_EN: 0
; COMPUTE_PGM_RSRC2:TIDIG_COMP_CNT: 0
	.section	.text._ZN7rocprim17ROCPRIM_400000_NS6detail17trampoline_kernelINS0_14default_configENS1_25partition_config_selectorILNS1_17partition_subalgoE5EtNS0_10empty_typeEbEEZZNS1_14partition_implILS5_5ELb0ES3_mN6thrust23THRUST_200600_302600_NS6detail15normal_iteratorINSA_10device_ptrItEEEEPS6_NSA_18transform_iteratorINSB_9not_fun_tI7is_trueItEEENSC_INSD_IbEEEENSA_11use_defaultESO_EENS0_5tupleIJSF_S6_EEENSQ_IJSG_SG_EEES6_PlJS6_EEE10hipError_tPvRmT3_T4_T5_T6_T7_T9_mT8_P12ihipStream_tbDpT10_ENKUlT_T0_E_clISt17integral_constantIbLb1EES1D_EEDaS18_S19_EUlS18_E_NS1_11comp_targetILNS1_3genE4ELNS1_11target_archE910ELNS1_3gpuE8ELNS1_3repE0EEENS1_30default_config_static_selectorELNS0_4arch9wavefront6targetE0EEEvT1_,"axG",@progbits,_ZN7rocprim17ROCPRIM_400000_NS6detail17trampoline_kernelINS0_14default_configENS1_25partition_config_selectorILNS1_17partition_subalgoE5EtNS0_10empty_typeEbEEZZNS1_14partition_implILS5_5ELb0ES3_mN6thrust23THRUST_200600_302600_NS6detail15normal_iteratorINSA_10device_ptrItEEEEPS6_NSA_18transform_iteratorINSB_9not_fun_tI7is_trueItEEENSC_INSD_IbEEEENSA_11use_defaultESO_EENS0_5tupleIJSF_S6_EEENSQ_IJSG_SG_EEES6_PlJS6_EEE10hipError_tPvRmT3_T4_T5_T6_T7_T9_mT8_P12ihipStream_tbDpT10_ENKUlT_T0_E_clISt17integral_constantIbLb1EES1D_EEDaS18_S19_EUlS18_E_NS1_11comp_targetILNS1_3genE4ELNS1_11target_archE910ELNS1_3gpuE8ELNS1_3repE0EEENS1_30default_config_static_selectorELNS0_4arch9wavefront6targetE0EEEvT1_,comdat
	.protected	_ZN7rocprim17ROCPRIM_400000_NS6detail17trampoline_kernelINS0_14default_configENS1_25partition_config_selectorILNS1_17partition_subalgoE5EtNS0_10empty_typeEbEEZZNS1_14partition_implILS5_5ELb0ES3_mN6thrust23THRUST_200600_302600_NS6detail15normal_iteratorINSA_10device_ptrItEEEEPS6_NSA_18transform_iteratorINSB_9not_fun_tI7is_trueItEEENSC_INSD_IbEEEENSA_11use_defaultESO_EENS0_5tupleIJSF_S6_EEENSQ_IJSG_SG_EEES6_PlJS6_EEE10hipError_tPvRmT3_T4_T5_T6_T7_T9_mT8_P12ihipStream_tbDpT10_ENKUlT_T0_E_clISt17integral_constantIbLb1EES1D_EEDaS18_S19_EUlS18_E_NS1_11comp_targetILNS1_3genE4ELNS1_11target_archE910ELNS1_3gpuE8ELNS1_3repE0EEENS1_30default_config_static_selectorELNS0_4arch9wavefront6targetE0EEEvT1_ ; -- Begin function _ZN7rocprim17ROCPRIM_400000_NS6detail17trampoline_kernelINS0_14default_configENS1_25partition_config_selectorILNS1_17partition_subalgoE5EtNS0_10empty_typeEbEEZZNS1_14partition_implILS5_5ELb0ES3_mN6thrust23THRUST_200600_302600_NS6detail15normal_iteratorINSA_10device_ptrItEEEEPS6_NSA_18transform_iteratorINSB_9not_fun_tI7is_trueItEEENSC_INSD_IbEEEENSA_11use_defaultESO_EENS0_5tupleIJSF_S6_EEENSQ_IJSG_SG_EEES6_PlJS6_EEE10hipError_tPvRmT3_T4_T5_T6_T7_T9_mT8_P12ihipStream_tbDpT10_ENKUlT_T0_E_clISt17integral_constantIbLb1EES1D_EEDaS18_S19_EUlS18_E_NS1_11comp_targetILNS1_3genE4ELNS1_11target_archE910ELNS1_3gpuE8ELNS1_3repE0EEENS1_30default_config_static_selectorELNS0_4arch9wavefront6targetE0EEEvT1_
	.globl	_ZN7rocprim17ROCPRIM_400000_NS6detail17trampoline_kernelINS0_14default_configENS1_25partition_config_selectorILNS1_17partition_subalgoE5EtNS0_10empty_typeEbEEZZNS1_14partition_implILS5_5ELb0ES3_mN6thrust23THRUST_200600_302600_NS6detail15normal_iteratorINSA_10device_ptrItEEEEPS6_NSA_18transform_iteratorINSB_9not_fun_tI7is_trueItEEENSC_INSD_IbEEEENSA_11use_defaultESO_EENS0_5tupleIJSF_S6_EEENSQ_IJSG_SG_EEES6_PlJS6_EEE10hipError_tPvRmT3_T4_T5_T6_T7_T9_mT8_P12ihipStream_tbDpT10_ENKUlT_T0_E_clISt17integral_constantIbLb1EES1D_EEDaS18_S19_EUlS18_E_NS1_11comp_targetILNS1_3genE4ELNS1_11target_archE910ELNS1_3gpuE8ELNS1_3repE0EEENS1_30default_config_static_selectorELNS0_4arch9wavefront6targetE0EEEvT1_
	.p2align	8
	.type	_ZN7rocprim17ROCPRIM_400000_NS6detail17trampoline_kernelINS0_14default_configENS1_25partition_config_selectorILNS1_17partition_subalgoE5EtNS0_10empty_typeEbEEZZNS1_14partition_implILS5_5ELb0ES3_mN6thrust23THRUST_200600_302600_NS6detail15normal_iteratorINSA_10device_ptrItEEEEPS6_NSA_18transform_iteratorINSB_9not_fun_tI7is_trueItEEENSC_INSD_IbEEEENSA_11use_defaultESO_EENS0_5tupleIJSF_S6_EEENSQ_IJSG_SG_EEES6_PlJS6_EEE10hipError_tPvRmT3_T4_T5_T6_T7_T9_mT8_P12ihipStream_tbDpT10_ENKUlT_T0_E_clISt17integral_constantIbLb1EES1D_EEDaS18_S19_EUlS18_E_NS1_11comp_targetILNS1_3genE4ELNS1_11target_archE910ELNS1_3gpuE8ELNS1_3repE0EEENS1_30default_config_static_selectorELNS0_4arch9wavefront6targetE0EEEvT1_,@function
_ZN7rocprim17ROCPRIM_400000_NS6detail17trampoline_kernelINS0_14default_configENS1_25partition_config_selectorILNS1_17partition_subalgoE5EtNS0_10empty_typeEbEEZZNS1_14partition_implILS5_5ELb0ES3_mN6thrust23THRUST_200600_302600_NS6detail15normal_iteratorINSA_10device_ptrItEEEEPS6_NSA_18transform_iteratorINSB_9not_fun_tI7is_trueItEEENSC_INSD_IbEEEENSA_11use_defaultESO_EENS0_5tupleIJSF_S6_EEENSQ_IJSG_SG_EEES6_PlJS6_EEE10hipError_tPvRmT3_T4_T5_T6_T7_T9_mT8_P12ihipStream_tbDpT10_ENKUlT_T0_E_clISt17integral_constantIbLb1EES1D_EEDaS18_S19_EUlS18_E_NS1_11comp_targetILNS1_3genE4ELNS1_11target_archE910ELNS1_3gpuE8ELNS1_3repE0EEENS1_30default_config_static_selectorELNS0_4arch9wavefront6targetE0EEEvT1_: ; @_ZN7rocprim17ROCPRIM_400000_NS6detail17trampoline_kernelINS0_14default_configENS1_25partition_config_selectorILNS1_17partition_subalgoE5EtNS0_10empty_typeEbEEZZNS1_14partition_implILS5_5ELb0ES3_mN6thrust23THRUST_200600_302600_NS6detail15normal_iteratorINSA_10device_ptrItEEEEPS6_NSA_18transform_iteratorINSB_9not_fun_tI7is_trueItEEENSC_INSD_IbEEEENSA_11use_defaultESO_EENS0_5tupleIJSF_S6_EEENSQ_IJSG_SG_EEES6_PlJS6_EEE10hipError_tPvRmT3_T4_T5_T6_T7_T9_mT8_P12ihipStream_tbDpT10_ENKUlT_T0_E_clISt17integral_constantIbLb1EES1D_EEDaS18_S19_EUlS18_E_NS1_11comp_targetILNS1_3genE4ELNS1_11target_archE910ELNS1_3gpuE8ELNS1_3repE0EEENS1_30default_config_static_selectorELNS0_4arch9wavefront6targetE0EEEvT1_
; %bb.0:
	.section	.rodata,"a",@progbits
	.p2align	6, 0x0
	.amdhsa_kernel _ZN7rocprim17ROCPRIM_400000_NS6detail17trampoline_kernelINS0_14default_configENS1_25partition_config_selectorILNS1_17partition_subalgoE5EtNS0_10empty_typeEbEEZZNS1_14partition_implILS5_5ELb0ES3_mN6thrust23THRUST_200600_302600_NS6detail15normal_iteratorINSA_10device_ptrItEEEEPS6_NSA_18transform_iteratorINSB_9not_fun_tI7is_trueItEEENSC_INSD_IbEEEENSA_11use_defaultESO_EENS0_5tupleIJSF_S6_EEENSQ_IJSG_SG_EEES6_PlJS6_EEE10hipError_tPvRmT3_T4_T5_T6_T7_T9_mT8_P12ihipStream_tbDpT10_ENKUlT_T0_E_clISt17integral_constantIbLb1EES1D_EEDaS18_S19_EUlS18_E_NS1_11comp_targetILNS1_3genE4ELNS1_11target_archE910ELNS1_3gpuE8ELNS1_3repE0EEENS1_30default_config_static_selectorELNS0_4arch9wavefront6targetE0EEEvT1_
		.amdhsa_group_segment_fixed_size 0
		.amdhsa_private_segment_fixed_size 0
		.amdhsa_kernarg_size 136
		.amdhsa_user_sgpr_count 2
		.amdhsa_user_sgpr_dispatch_ptr 0
		.amdhsa_user_sgpr_queue_ptr 0
		.amdhsa_user_sgpr_kernarg_segment_ptr 1
		.amdhsa_user_sgpr_dispatch_id 0
		.amdhsa_user_sgpr_private_segment_size 0
		.amdhsa_wavefront_size32 1
		.amdhsa_uses_dynamic_stack 0
		.amdhsa_enable_private_segment 0
		.amdhsa_system_sgpr_workgroup_id_x 1
		.amdhsa_system_sgpr_workgroup_id_y 0
		.amdhsa_system_sgpr_workgroup_id_z 0
		.amdhsa_system_sgpr_workgroup_info 0
		.amdhsa_system_vgpr_workitem_id 0
		.amdhsa_next_free_vgpr 1
		.amdhsa_next_free_sgpr 1
		.amdhsa_reserve_vcc 0
		.amdhsa_float_round_mode_32 0
		.amdhsa_float_round_mode_16_64 0
		.amdhsa_float_denorm_mode_32 3
		.amdhsa_float_denorm_mode_16_64 3
		.amdhsa_fp16_overflow 0
		.amdhsa_workgroup_processor_mode 1
		.amdhsa_memory_ordered 1
		.amdhsa_forward_progress 1
		.amdhsa_inst_pref_size 0
		.amdhsa_round_robin_scheduling 0
		.amdhsa_exception_fp_ieee_invalid_op 0
		.amdhsa_exception_fp_denorm_src 0
		.amdhsa_exception_fp_ieee_div_zero 0
		.amdhsa_exception_fp_ieee_overflow 0
		.amdhsa_exception_fp_ieee_underflow 0
		.amdhsa_exception_fp_ieee_inexact 0
		.amdhsa_exception_int_div_zero 0
	.end_amdhsa_kernel
	.section	.text._ZN7rocprim17ROCPRIM_400000_NS6detail17trampoline_kernelINS0_14default_configENS1_25partition_config_selectorILNS1_17partition_subalgoE5EtNS0_10empty_typeEbEEZZNS1_14partition_implILS5_5ELb0ES3_mN6thrust23THRUST_200600_302600_NS6detail15normal_iteratorINSA_10device_ptrItEEEEPS6_NSA_18transform_iteratorINSB_9not_fun_tI7is_trueItEEENSC_INSD_IbEEEENSA_11use_defaultESO_EENS0_5tupleIJSF_S6_EEENSQ_IJSG_SG_EEES6_PlJS6_EEE10hipError_tPvRmT3_T4_T5_T6_T7_T9_mT8_P12ihipStream_tbDpT10_ENKUlT_T0_E_clISt17integral_constantIbLb1EES1D_EEDaS18_S19_EUlS18_E_NS1_11comp_targetILNS1_3genE4ELNS1_11target_archE910ELNS1_3gpuE8ELNS1_3repE0EEENS1_30default_config_static_selectorELNS0_4arch9wavefront6targetE0EEEvT1_,"axG",@progbits,_ZN7rocprim17ROCPRIM_400000_NS6detail17trampoline_kernelINS0_14default_configENS1_25partition_config_selectorILNS1_17partition_subalgoE5EtNS0_10empty_typeEbEEZZNS1_14partition_implILS5_5ELb0ES3_mN6thrust23THRUST_200600_302600_NS6detail15normal_iteratorINSA_10device_ptrItEEEEPS6_NSA_18transform_iteratorINSB_9not_fun_tI7is_trueItEEENSC_INSD_IbEEEENSA_11use_defaultESO_EENS0_5tupleIJSF_S6_EEENSQ_IJSG_SG_EEES6_PlJS6_EEE10hipError_tPvRmT3_T4_T5_T6_T7_T9_mT8_P12ihipStream_tbDpT10_ENKUlT_T0_E_clISt17integral_constantIbLb1EES1D_EEDaS18_S19_EUlS18_E_NS1_11comp_targetILNS1_3genE4ELNS1_11target_archE910ELNS1_3gpuE8ELNS1_3repE0EEENS1_30default_config_static_selectorELNS0_4arch9wavefront6targetE0EEEvT1_,comdat
.Lfunc_end2471:
	.size	_ZN7rocprim17ROCPRIM_400000_NS6detail17trampoline_kernelINS0_14default_configENS1_25partition_config_selectorILNS1_17partition_subalgoE5EtNS0_10empty_typeEbEEZZNS1_14partition_implILS5_5ELb0ES3_mN6thrust23THRUST_200600_302600_NS6detail15normal_iteratorINSA_10device_ptrItEEEEPS6_NSA_18transform_iteratorINSB_9not_fun_tI7is_trueItEEENSC_INSD_IbEEEENSA_11use_defaultESO_EENS0_5tupleIJSF_S6_EEENSQ_IJSG_SG_EEES6_PlJS6_EEE10hipError_tPvRmT3_T4_T5_T6_T7_T9_mT8_P12ihipStream_tbDpT10_ENKUlT_T0_E_clISt17integral_constantIbLb1EES1D_EEDaS18_S19_EUlS18_E_NS1_11comp_targetILNS1_3genE4ELNS1_11target_archE910ELNS1_3gpuE8ELNS1_3repE0EEENS1_30default_config_static_selectorELNS0_4arch9wavefront6targetE0EEEvT1_, .Lfunc_end2471-_ZN7rocprim17ROCPRIM_400000_NS6detail17trampoline_kernelINS0_14default_configENS1_25partition_config_selectorILNS1_17partition_subalgoE5EtNS0_10empty_typeEbEEZZNS1_14partition_implILS5_5ELb0ES3_mN6thrust23THRUST_200600_302600_NS6detail15normal_iteratorINSA_10device_ptrItEEEEPS6_NSA_18transform_iteratorINSB_9not_fun_tI7is_trueItEEENSC_INSD_IbEEEENSA_11use_defaultESO_EENS0_5tupleIJSF_S6_EEENSQ_IJSG_SG_EEES6_PlJS6_EEE10hipError_tPvRmT3_T4_T5_T6_T7_T9_mT8_P12ihipStream_tbDpT10_ENKUlT_T0_E_clISt17integral_constantIbLb1EES1D_EEDaS18_S19_EUlS18_E_NS1_11comp_targetILNS1_3genE4ELNS1_11target_archE910ELNS1_3gpuE8ELNS1_3repE0EEENS1_30default_config_static_selectorELNS0_4arch9wavefront6targetE0EEEvT1_
                                        ; -- End function
	.set _ZN7rocprim17ROCPRIM_400000_NS6detail17trampoline_kernelINS0_14default_configENS1_25partition_config_selectorILNS1_17partition_subalgoE5EtNS0_10empty_typeEbEEZZNS1_14partition_implILS5_5ELb0ES3_mN6thrust23THRUST_200600_302600_NS6detail15normal_iteratorINSA_10device_ptrItEEEEPS6_NSA_18transform_iteratorINSB_9not_fun_tI7is_trueItEEENSC_INSD_IbEEEENSA_11use_defaultESO_EENS0_5tupleIJSF_S6_EEENSQ_IJSG_SG_EEES6_PlJS6_EEE10hipError_tPvRmT3_T4_T5_T6_T7_T9_mT8_P12ihipStream_tbDpT10_ENKUlT_T0_E_clISt17integral_constantIbLb1EES1D_EEDaS18_S19_EUlS18_E_NS1_11comp_targetILNS1_3genE4ELNS1_11target_archE910ELNS1_3gpuE8ELNS1_3repE0EEENS1_30default_config_static_selectorELNS0_4arch9wavefront6targetE0EEEvT1_.num_vgpr, 0
	.set _ZN7rocprim17ROCPRIM_400000_NS6detail17trampoline_kernelINS0_14default_configENS1_25partition_config_selectorILNS1_17partition_subalgoE5EtNS0_10empty_typeEbEEZZNS1_14partition_implILS5_5ELb0ES3_mN6thrust23THRUST_200600_302600_NS6detail15normal_iteratorINSA_10device_ptrItEEEEPS6_NSA_18transform_iteratorINSB_9not_fun_tI7is_trueItEEENSC_INSD_IbEEEENSA_11use_defaultESO_EENS0_5tupleIJSF_S6_EEENSQ_IJSG_SG_EEES6_PlJS6_EEE10hipError_tPvRmT3_T4_T5_T6_T7_T9_mT8_P12ihipStream_tbDpT10_ENKUlT_T0_E_clISt17integral_constantIbLb1EES1D_EEDaS18_S19_EUlS18_E_NS1_11comp_targetILNS1_3genE4ELNS1_11target_archE910ELNS1_3gpuE8ELNS1_3repE0EEENS1_30default_config_static_selectorELNS0_4arch9wavefront6targetE0EEEvT1_.num_agpr, 0
	.set _ZN7rocprim17ROCPRIM_400000_NS6detail17trampoline_kernelINS0_14default_configENS1_25partition_config_selectorILNS1_17partition_subalgoE5EtNS0_10empty_typeEbEEZZNS1_14partition_implILS5_5ELb0ES3_mN6thrust23THRUST_200600_302600_NS6detail15normal_iteratorINSA_10device_ptrItEEEEPS6_NSA_18transform_iteratorINSB_9not_fun_tI7is_trueItEEENSC_INSD_IbEEEENSA_11use_defaultESO_EENS0_5tupleIJSF_S6_EEENSQ_IJSG_SG_EEES6_PlJS6_EEE10hipError_tPvRmT3_T4_T5_T6_T7_T9_mT8_P12ihipStream_tbDpT10_ENKUlT_T0_E_clISt17integral_constantIbLb1EES1D_EEDaS18_S19_EUlS18_E_NS1_11comp_targetILNS1_3genE4ELNS1_11target_archE910ELNS1_3gpuE8ELNS1_3repE0EEENS1_30default_config_static_selectorELNS0_4arch9wavefront6targetE0EEEvT1_.numbered_sgpr, 0
	.set _ZN7rocprim17ROCPRIM_400000_NS6detail17trampoline_kernelINS0_14default_configENS1_25partition_config_selectorILNS1_17partition_subalgoE5EtNS0_10empty_typeEbEEZZNS1_14partition_implILS5_5ELb0ES3_mN6thrust23THRUST_200600_302600_NS6detail15normal_iteratorINSA_10device_ptrItEEEEPS6_NSA_18transform_iteratorINSB_9not_fun_tI7is_trueItEEENSC_INSD_IbEEEENSA_11use_defaultESO_EENS0_5tupleIJSF_S6_EEENSQ_IJSG_SG_EEES6_PlJS6_EEE10hipError_tPvRmT3_T4_T5_T6_T7_T9_mT8_P12ihipStream_tbDpT10_ENKUlT_T0_E_clISt17integral_constantIbLb1EES1D_EEDaS18_S19_EUlS18_E_NS1_11comp_targetILNS1_3genE4ELNS1_11target_archE910ELNS1_3gpuE8ELNS1_3repE0EEENS1_30default_config_static_selectorELNS0_4arch9wavefront6targetE0EEEvT1_.num_named_barrier, 0
	.set _ZN7rocprim17ROCPRIM_400000_NS6detail17trampoline_kernelINS0_14default_configENS1_25partition_config_selectorILNS1_17partition_subalgoE5EtNS0_10empty_typeEbEEZZNS1_14partition_implILS5_5ELb0ES3_mN6thrust23THRUST_200600_302600_NS6detail15normal_iteratorINSA_10device_ptrItEEEEPS6_NSA_18transform_iteratorINSB_9not_fun_tI7is_trueItEEENSC_INSD_IbEEEENSA_11use_defaultESO_EENS0_5tupleIJSF_S6_EEENSQ_IJSG_SG_EEES6_PlJS6_EEE10hipError_tPvRmT3_T4_T5_T6_T7_T9_mT8_P12ihipStream_tbDpT10_ENKUlT_T0_E_clISt17integral_constantIbLb1EES1D_EEDaS18_S19_EUlS18_E_NS1_11comp_targetILNS1_3genE4ELNS1_11target_archE910ELNS1_3gpuE8ELNS1_3repE0EEENS1_30default_config_static_selectorELNS0_4arch9wavefront6targetE0EEEvT1_.private_seg_size, 0
	.set _ZN7rocprim17ROCPRIM_400000_NS6detail17trampoline_kernelINS0_14default_configENS1_25partition_config_selectorILNS1_17partition_subalgoE5EtNS0_10empty_typeEbEEZZNS1_14partition_implILS5_5ELb0ES3_mN6thrust23THRUST_200600_302600_NS6detail15normal_iteratorINSA_10device_ptrItEEEEPS6_NSA_18transform_iteratorINSB_9not_fun_tI7is_trueItEEENSC_INSD_IbEEEENSA_11use_defaultESO_EENS0_5tupleIJSF_S6_EEENSQ_IJSG_SG_EEES6_PlJS6_EEE10hipError_tPvRmT3_T4_T5_T6_T7_T9_mT8_P12ihipStream_tbDpT10_ENKUlT_T0_E_clISt17integral_constantIbLb1EES1D_EEDaS18_S19_EUlS18_E_NS1_11comp_targetILNS1_3genE4ELNS1_11target_archE910ELNS1_3gpuE8ELNS1_3repE0EEENS1_30default_config_static_selectorELNS0_4arch9wavefront6targetE0EEEvT1_.uses_vcc, 0
	.set _ZN7rocprim17ROCPRIM_400000_NS6detail17trampoline_kernelINS0_14default_configENS1_25partition_config_selectorILNS1_17partition_subalgoE5EtNS0_10empty_typeEbEEZZNS1_14partition_implILS5_5ELb0ES3_mN6thrust23THRUST_200600_302600_NS6detail15normal_iteratorINSA_10device_ptrItEEEEPS6_NSA_18transform_iteratorINSB_9not_fun_tI7is_trueItEEENSC_INSD_IbEEEENSA_11use_defaultESO_EENS0_5tupleIJSF_S6_EEENSQ_IJSG_SG_EEES6_PlJS6_EEE10hipError_tPvRmT3_T4_T5_T6_T7_T9_mT8_P12ihipStream_tbDpT10_ENKUlT_T0_E_clISt17integral_constantIbLb1EES1D_EEDaS18_S19_EUlS18_E_NS1_11comp_targetILNS1_3genE4ELNS1_11target_archE910ELNS1_3gpuE8ELNS1_3repE0EEENS1_30default_config_static_selectorELNS0_4arch9wavefront6targetE0EEEvT1_.uses_flat_scratch, 0
	.set _ZN7rocprim17ROCPRIM_400000_NS6detail17trampoline_kernelINS0_14default_configENS1_25partition_config_selectorILNS1_17partition_subalgoE5EtNS0_10empty_typeEbEEZZNS1_14partition_implILS5_5ELb0ES3_mN6thrust23THRUST_200600_302600_NS6detail15normal_iteratorINSA_10device_ptrItEEEEPS6_NSA_18transform_iteratorINSB_9not_fun_tI7is_trueItEEENSC_INSD_IbEEEENSA_11use_defaultESO_EENS0_5tupleIJSF_S6_EEENSQ_IJSG_SG_EEES6_PlJS6_EEE10hipError_tPvRmT3_T4_T5_T6_T7_T9_mT8_P12ihipStream_tbDpT10_ENKUlT_T0_E_clISt17integral_constantIbLb1EES1D_EEDaS18_S19_EUlS18_E_NS1_11comp_targetILNS1_3genE4ELNS1_11target_archE910ELNS1_3gpuE8ELNS1_3repE0EEENS1_30default_config_static_selectorELNS0_4arch9wavefront6targetE0EEEvT1_.has_dyn_sized_stack, 0
	.set _ZN7rocprim17ROCPRIM_400000_NS6detail17trampoline_kernelINS0_14default_configENS1_25partition_config_selectorILNS1_17partition_subalgoE5EtNS0_10empty_typeEbEEZZNS1_14partition_implILS5_5ELb0ES3_mN6thrust23THRUST_200600_302600_NS6detail15normal_iteratorINSA_10device_ptrItEEEEPS6_NSA_18transform_iteratorINSB_9not_fun_tI7is_trueItEEENSC_INSD_IbEEEENSA_11use_defaultESO_EENS0_5tupleIJSF_S6_EEENSQ_IJSG_SG_EEES6_PlJS6_EEE10hipError_tPvRmT3_T4_T5_T6_T7_T9_mT8_P12ihipStream_tbDpT10_ENKUlT_T0_E_clISt17integral_constantIbLb1EES1D_EEDaS18_S19_EUlS18_E_NS1_11comp_targetILNS1_3genE4ELNS1_11target_archE910ELNS1_3gpuE8ELNS1_3repE0EEENS1_30default_config_static_selectorELNS0_4arch9wavefront6targetE0EEEvT1_.has_recursion, 0
	.set _ZN7rocprim17ROCPRIM_400000_NS6detail17trampoline_kernelINS0_14default_configENS1_25partition_config_selectorILNS1_17partition_subalgoE5EtNS0_10empty_typeEbEEZZNS1_14partition_implILS5_5ELb0ES3_mN6thrust23THRUST_200600_302600_NS6detail15normal_iteratorINSA_10device_ptrItEEEEPS6_NSA_18transform_iteratorINSB_9not_fun_tI7is_trueItEEENSC_INSD_IbEEEENSA_11use_defaultESO_EENS0_5tupleIJSF_S6_EEENSQ_IJSG_SG_EEES6_PlJS6_EEE10hipError_tPvRmT3_T4_T5_T6_T7_T9_mT8_P12ihipStream_tbDpT10_ENKUlT_T0_E_clISt17integral_constantIbLb1EES1D_EEDaS18_S19_EUlS18_E_NS1_11comp_targetILNS1_3genE4ELNS1_11target_archE910ELNS1_3gpuE8ELNS1_3repE0EEENS1_30default_config_static_selectorELNS0_4arch9wavefront6targetE0EEEvT1_.has_indirect_call, 0
	.section	.AMDGPU.csdata,"",@progbits
; Kernel info:
; codeLenInByte = 0
; TotalNumSgprs: 0
; NumVgprs: 0
; ScratchSize: 0
; MemoryBound: 0
; FloatMode: 240
; IeeeMode: 1
; LDSByteSize: 0 bytes/workgroup (compile time only)
; SGPRBlocks: 0
; VGPRBlocks: 0
; NumSGPRsForWavesPerEU: 1
; NumVGPRsForWavesPerEU: 1
; Occupancy: 16
; WaveLimiterHint : 0
; COMPUTE_PGM_RSRC2:SCRATCH_EN: 0
; COMPUTE_PGM_RSRC2:USER_SGPR: 2
; COMPUTE_PGM_RSRC2:TRAP_HANDLER: 0
; COMPUTE_PGM_RSRC2:TGID_X_EN: 1
; COMPUTE_PGM_RSRC2:TGID_Y_EN: 0
; COMPUTE_PGM_RSRC2:TGID_Z_EN: 0
; COMPUTE_PGM_RSRC2:TIDIG_COMP_CNT: 0
	.section	.text._ZN7rocprim17ROCPRIM_400000_NS6detail17trampoline_kernelINS0_14default_configENS1_25partition_config_selectorILNS1_17partition_subalgoE5EtNS0_10empty_typeEbEEZZNS1_14partition_implILS5_5ELb0ES3_mN6thrust23THRUST_200600_302600_NS6detail15normal_iteratorINSA_10device_ptrItEEEEPS6_NSA_18transform_iteratorINSB_9not_fun_tI7is_trueItEEENSC_INSD_IbEEEENSA_11use_defaultESO_EENS0_5tupleIJSF_S6_EEENSQ_IJSG_SG_EEES6_PlJS6_EEE10hipError_tPvRmT3_T4_T5_T6_T7_T9_mT8_P12ihipStream_tbDpT10_ENKUlT_T0_E_clISt17integral_constantIbLb1EES1D_EEDaS18_S19_EUlS18_E_NS1_11comp_targetILNS1_3genE3ELNS1_11target_archE908ELNS1_3gpuE7ELNS1_3repE0EEENS1_30default_config_static_selectorELNS0_4arch9wavefront6targetE0EEEvT1_,"axG",@progbits,_ZN7rocprim17ROCPRIM_400000_NS6detail17trampoline_kernelINS0_14default_configENS1_25partition_config_selectorILNS1_17partition_subalgoE5EtNS0_10empty_typeEbEEZZNS1_14partition_implILS5_5ELb0ES3_mN6thrust23THRUST_200600_302600_NS6detail15normal_iteratorINSA_10device_ptrItEEEEPS6_NSA_18transform_iteratorINSB_9not_fun_tI7is_trueItEEENSC_INSD_IbEEEENSA_11use_defaultESO_EENS0_5tupleIJSF_S6_EEENSQ_IJSG_SG_EEES6_PlJS6_EEE10hipError_tPvRmT3_T4_T5_T6_T7_T9_mT8_P12ihipStream_tbDpT10_ENKUlT_T0_E_clISt17integral_constantIbLb1EES1D_EEDaS18_S19_EUlS18_E_NS1_11comp_targetILNS1_3genE3ELNS1_11target_archE908ELNS1_3gpuE7ELNS1_3repE0EEENS1_30default_config_static_selectorELNS0_4arch9wavefront6targetE0EEEvT1_,comdat
	.protected	_ZN7rocprim17ROCPRIM_400000_NS6detail17trampoline_kernelINS0_14default_configENS1_25partition_config_selectorILNS1_17partition_subalgoE5EtNS0_10empty_typeEbEEZZNS1_14partition_implILS5_5ELb0ES3_mN6thrust23THRUST_200600_302600_NS6detail15normal_iteratorINSA_10device_ptrItEEEEPS6_NSA_18transform_iteratorINSB_9not_fun_tI7is_trueItEEENSC_INSD_IbEEEENSA_11use_defaultESO_EENS0_5tupleIJSF_S6_EEENSQ_IJSG_SG_EEES6_PlJS6_EEE10hipError_tPvRmT3_T4_T5_T6_T7_T9_mT8_P12ihipStream_tbDpT10_ENKUlT_T0_E_clISt17integral_constantIbLb1EES1D_EEDaS18_S19_EUlS18_E_NS1_11comp_targetILNS1_3genE3ELNS1_11target_archE908ELNS1_3gpuE7ELNS1_3repE0EEENS1_30default_config_static_selectorELNS0_4arch9wavefront6targetE0EEEvT1_ ; -- Begin function _ZN7rocprim17ROCPRIM_400000_NS6detail17trampoline_kernelINS0_14default_configENS1_25partition_config_selectorILNS1_17partition_subalgoE5EtNS0_10empty_typeEbEEZZNS1_14partition_implILS5_5ELb0ES3_mN6thrust23THRUST_200600_302600_NS6detail15normal_iteratorINSA_10device_ptrItEEEEPS6_NSA_18transform_iteratorINSB_9not_fun_tI7is_trueItEEENSC_INSD_IbEEEENSA_11use_defaultESO_EENS0_5tupleIJSF_S6_EEENSQ_IJSG_SG_EEES6_PlJS6_EEE10hipError_tPvRmT3_T4_T5_T6_T7_T9_mT8_P12ihipStream_tbDpT10_ENKUlT_T0_E_clISt17integral_constantIbLb1EES1D_EEDaS18_S19_EUlS18_E_NS1_11comp_targetILNS1_3genE3ELNS1_11target_archE908ELNS1_3gpuE7ELNS1_3repE0EEENS1_30default_config_static_selectorELNS0_4arch9wavefront6targetE0EEEvT1_
	.globl	_ZN7rocprim17ROCPRIM_400000_NS6detail17trampoline_kernelINS0_14default_configENS1_25partition_config_selectorILNS1_17partition_subalgoE5EtNS0_10empty_typeEbEEZZNS1_14partition_implILS5_5ELb0ES3_mN6thrust23THRUST_200600_302600_NS6detail15normal_iteratorINSA_10device_ptrItEEEEPS6_NSA_18transform_iteratorINSB_9not_fun_tI7is_trueItEEENSC_INSD_IbEEEENSA_11use_defaultESO_EENS0_5tupleIJSF_S6_EEENSQ_IJSG_SG_EEES6_PlJS6_EEE10hipError_tPvRmT3_T4_T5_T6_T7_T9_mT8_P12ihipStream_tbDpT10_ENKUlT_T0_E_clISt17integral_constantIbLb1EES1D_EEDaS18_S19_EUlS18_E_NS1_11comp_targetILNS1_3genE3ELNS1_11target_archE908ELNS1_3gpuE7ELNS1_3repE0EEENS1_30default_config_static_selectorELNS0_4arch9wavefront6targetE0EEEvT1_
	.p2align	8
	.type	_ZN7rocprim17ROCPRIM_400000_NS6detail17trampoline_kernelINS0_14default_configENS1_25partition_config_selectorILNS1_17partition_subalgoE5EtNS0_10empty_typeEbEEZZNS1_14partition_implILS5_5ELb0ES3_mN6thrust23THRUST_200600_302600_NS6detail15normal_iteratorINSA_10device_ptrItEEEEPS6_NSA_18transform_iteratorINSB_9not_fun_tI7is_trueItEEENSC_INSD_IbEEEENSA_11use_defaultESO_EENS0_5tupleIJSF_S6_EEENSQ_IJSG_SG_EEES6_PlJS6_EEE10hipError_tPvRmT3_T4_T5_T6_T7_T9_mT8_P12ihipStream_tbDpT10_ENKUlT_T0_E_clISt17integral_constantIbLb1EES1D_EEDaS18_S19_EUlS18_E_NS1_11comp_targetILNS1_3genE3ELNS1_11target_archE908ELNS1_3gpuE7ELNS1_3repE0EEENS1_30default_config_static_selectorELNS0_4arch9wavefront6targetE0EEEvT1_,@function
_ZN7rocprim17ROCPRIM_400000_NS6detail17trampoline_kernelINS0_14default_configENS1_25partition_config_selectorILNS1_17partition_subalgoE5EtNS0_10empty_typeEbEEZZNS1_14partition_implILS5_5ELb0ES3_mN6thrust23THRUST_200600_302600_NS6detail15normal_iteratorINSA_10device_ptrItEEEEPS6_NSA_18transform_iteratorINSB_9not_fun_tI7is_trueItEEENSC_INSD_IbEEEENSA_11use_defaultESO_EENS0_5tupleIJSF_S6_EEENSQ_IJSG_SG_EEES6_PlJS6_EEE10hipError_tPvRmT3_T4_T5_T6_T7_T9_mT8_P12ihipStream_tbDpT10_ENKUlT_T0_E_clISt17integral_constantIbLb1EES1D_EEDaS18_S19_EUlS18_E_NS1_11comp_targetILNS1_3genE3ELNS1_11target_archE908ELNS1_3gpuE7ELNS1_3repE0EEENS1_30default_config_static_selectorELNS0_4arch9wavefront6targetE0EEEvT1_: ; @_ZN7rocprim17ROCPRIM_400000_NS6detail17trampoline_kernelINS0_14default_configENS1_25partition_config_selectorILNS1_17partition_subalgoE5EtNS0_10empty_typeEbEEZZNS1_14partition_implILS5_5ELb0ES3_mN6thrust23THRUST_200600_302600_NS6detail15normal_iteratorINSA_10device_ptrItEEEEPS6_NSA_18transform_iteratorINSB_9not_fun_tI7is_trueItEEENSC_INSD_IbEEEENSA_11use_defaultESO_EENS0_5tupleIJSF_S6_EEENSQ_IJSG_SG_EEES6_PlJS6_EEE10hipError_tPvRmT3_T4_T5_T6_T7_T9_mT8_P12ihipStream_tbDpT10_ENKUlT_T0_E_clISt17integral_constantIbLb1EES1D_EEDaS18_S19_EUlS18_E_NS1_11comp_targetILNS1_3genE3ELNS1_11target_archE908ELNS1_3gpuE7ELNS1_3repE0EEENS1_30default_config_static_selectorELNS0_4arch9wavefront6targetE0EEEvT1_
; %bb.0:
	.section	.rodata,"a",@progbits
	.p2align	6, 0x0
	.amdhsa_kernel _ZN7rocprim17ROCPRIM_400000_NS6detail17trampoline_kernelINS0_14default_configENS1_25partition_config_selectorILNS1_17partition_subalgoE5EtNS0_10empty_typeEbEEZZNS1_14partition_implILS5_5ELb0ES3_mN6thrust23THRUST_200600_302600_NS6detail15normal_iteratorINSA_10device_ptrItEEEEPS6_NSA_18transform_iteratorINSB_9not_fun_tI7is_trueItEEENSC_INSD_IbEEEENSA_11use_defaultESO_EENS0_5tupleIJSF_S6_EEENSQ_IJSG_SG_EEES6_PlJS6_EEE10hipError_tPvRmT3_T4_T5_T6_T7_T9_mT8_P12ihipStream_tbDpT10_ENKUlT_T0_E_clISt17integral_constantIbLb1EES1D_EEDaS18_S19_EUlS18_E_NS1_11comp_targetILNS1_3genE3ELNS1_11target_archE908ELNS1_3gpuE7ELNS1_3repE0EEENS1_30default_config_static_selectorELNS0_4arch9wavefront6targetE0EEEvT1_
		.amdhsa_group_segment_fixed_size 0
		.amdhsa_private_segment_fixed_size 0
		.amdhsa_kernarg_size 136
		.amdhsa_user_sgpr_count 2
		.amdhsa_user_sgpr_dispatch_ptr 0
		.amdhsa_user_sgpr_queue_ptr 0
		.amdhsa_user_sgpr_kernarg_segment_ptr 1
		.amdhsa_user_sgpr_dispatch_id 0
		.amdhsa_user_sgpr_private_segment_size 0
		.amdhsa_wavefront_size32 1
		.amdhsa_uses_dynamic_stack 0
		.amdhsa_enable_private_segment 0
		.amdhsa_system_sgpr_workgroup_id_x 1
		.amdhsa_system_sgpr_workgroup_id_y 0
		.amdhsa_system_sgpr_workgroup_id_z 0
		.amdhsa_system_sgpr_workgroup_info 0
		.amdhsa_system_vgpr_workitem_id 0
		.amdhsa_next_free_vgpr 1
		.amdhsa_next_free_sgpr 1
		.amdhsa_reserve_vcc 0
		.amdhsa_float_round_mode_32 0
		.amdhsa_float_round_mode_16_64 0
		.amdhsa_float_denorm_mode_32 3
		.amdhsa_float_denorm_mode_16_64 3
		.amdhsa_fp16_overflow 0
		.amdhsa_workgroup_processor_mode 1
		.amdhsa_memory_ordered 1
		.amdhsa_forward_progress 1
		.amdhsa_inst_pref_size 0
		.amdhsa_round_robin_scheduling 0
		.amdhsa_exception_fp_ieee_invalid_op 0
		.amdhsa_exception_fp_denorm_src 0
		.amdhsa_exception_fp_ieee_div_zero 0
		.amdhsa_exception_fp_ieee_overflow 0
		.amdhsa_exception_fp_ieee_underflow 0
		.amdhsa_exception_fp_ieee_inexact 0
		.amdhsa_exception_int_div_zero 0
	.end_amdhsa_kernel
	.section	.text._ZN7rocprim17ROCPRIM_400000_NS6detail17trampoline_kernelINS0_14default_configENS1_25partition_config_selectorILNS1_17partition_subalgoE5EtNS0_10empty_typeEbEEZZNS1_14partition_implILS5_5ELb0ES3_mN6thrust23THRUST_200600_302600_NS6detail15normal_iteratorINSA_10device_ptrItEEEEPS6_NSA_18transform_iteratorINSB_9not_fun_tI7is_trueItEEENSC_INSD_IbEEEENSA_11use_defaultESO_EENS0_5tupleIJSF_S6_EEENSQ_IJSG_SG_EEES6_PlJS6_EEE10hipError_tPvRmT3_T4_T5_T6_T7_T9_mT8_P12ihipStream_tbDpT10_ENKUlT_T0_E_clISt17integral_constantIbLb1EES1D_EEDaS18_S19_EUlS18_E_NS1_11comp_targetILNS1_3genE3ELNS1_11target_archE908ELNS1_3gpuE7ELNS1_3repE0EEENS1_30default_config_static_selectorELNS0_4arch9wavefront6targetE0EEEvT1_,"axG",@progbits,_ZN7rocprim17ROCPRIM_400000_NS6detail17trampoline_kernelINS0_14default_configENS1_25partition_config_selectorILNS1_17partition_subalgoE5EtNS0_10empty_typeEbEEZZNS1_14partition_implILS5_5ELb0ES3_mN6thrust23THRUST_200600_302600_NS6detail15normal_iteratorINSA_10device_ptrItEEEEPS6_NSA_18transform_iteratorINSB_9not_fun_tI7is_trueItEEENSC_INSD_IbEEEENSA_11use_defaultESO_EENS0_5tupleIJSF_S6_EEENSQ_IJSG_SG_EEES6_PlJS6_EEE10hipError_tPvRmT3_T4_T5_T6_T7_T9_mT8_P12ihipStream_tbDpT10_ENKUlT_T0_E_clISt17integral_constantIbLb1EES1D_EEDaS18_S19_EUlS18_E_NS1_11comp_targetILNS1_3genE3ELNS1_11target_archE908ELNS1_3gpuE7ELNS1_3repE0EEENS1_30default_config_static_selectorELNS0_4arch9wavefront6targetE0EEEvT1_,comdat
.Lfunc_end2472:
	.size	_ZN7rocprim17ROCPRIM_400000_NS6detail17trampoline_kernelINS0_14default_configENS1_25partition_config_selectorILNS1_17partition_subalgoE5EtNS0_10empty_typeEbEEZZNS1_14partition_implILS5_5ELb0ES3_mN6thrust23THRUST_200600_302600_NS6detail15normal_iteratorINSA_10device_ptrItEEEEPS6_NSA_18transform_iteratorINSB_9not_fun_tI7is_trueItEEENSC_INSD_IbEEEENSA_11use_defaultESO_EENS0_5tupleIJSF_S6_EEENSQ_IJSG_SG_EEES6_PlJS6_EEE10hipError_tPvRmT3_T4_T5_T6_T7_T9_mT8_P12ihipStream_tbDpT10_ENKUlT_T0_E_clISt17integral_constantIbLb1EES1D_EEDaS18_S19_EUlS18_E_NS1_11comp_targetILNS1_3genE3ELNS1_11target_archE908ELNS1_3gpuE7ELNS1_3repE0EEENS1_30default_config_static_selectorELNS0_4arch9wavefront6targetE0EEEvT1_, .Lfunc_end2472-_ZN7rocprim17ROCPRIM_400000_NS6detail17trampoline_kernelINS0_14default_configENS1_25partition_config_selectorILNS1_17partition_subalgoE5EtNS0_10empty_typeEbEEZZNS1_14partition_implILS5_5ELb0ES3_mN6thrust23THRUST_200600_302600_NS6detail15normal_iteratorINSA_10device_ptrItEEEEPS6_NSA_18transform_iteratorINSB_9not_fun_tI7is_trueItEEENSC_INSD_IbEEEENSA_11use_defaultESO_EENS0_5tupleIJSF_S6_EEENSQ_IJSG_SG_EEES6_PlJS6_EEE10hipError_tPvRmT3_T4_T5_T6_T7_T9_mT8_P12ihipStream_tbDpT10_ENKUlT_T0_E_clISt17integral_constantIbLb1EES1D_EEDaS18_S19_EUlS18_E_NS1_11comp_targetILNS1_3genE3ELNS1_11target_archE908ELNS1_3gpuE7ELNS1_3repE0EEENS1_30default_config_static_selectorELNS0_4arch9wavefront6targetE0EEEvT1_
                                        ; -- End function
	.set _ZN7rocprim17ROCPRIM_400000_NS6detail17trampoline_kernelINS0_14default_configENS1_25partition_config_selectorILNS1_17partition_subalgoE5EtNS0_10empty_typeEbEEZZNS1_14partition_implILS5_5ELb0ES3_mN6thrust23THRUST_200600_302600_NS6detail15normal_iteratorINSA_10device_ptrItEEEEPS6_NSA_18transform_iteratorINSB_9not_fun_tI7is_trueItEEENSC_INSD_IbEEEENSA_11use_defaultESO_EENS0_5tupleIJSF_S6_EEENSQ_IJSG_SG_EEES6_PlJS6_EEE10hipError_tPvRmT3_T4_T5_T6_T7_T9_mT8_P12ihipStream_tbDpT10_ENKUlT_T0_E_clISt17integral_constantIbLb1EES1D_EEDaS18_S19_EUlS18_E_NS1_11comp_targetILNS1_3genE3ELNS1_11target_archE908ELNS1_3gpuE7ELNS1_3repE0EEENS1_30default_config_static_selectorELNS0_4arch9wavefront6targetE0EEEvT1_.num_vgpr, 0
	.set _ZN7rocprim17ROCPRIM_400000_NS6detail17trampoline_kernelINS0_14default_configENS1_25partition_config_selectorILNS1_17partition_subalgoE5EtNS0_10empty_typeEbEEZZNS1_14partition_implILS5_5ELb0ES3_mN6thrust23THRUST_200600_302600_NS6detail15normal_iteratorINSA_10device_ptrItEEEEPS6_NSA_18transform_iteratorINSB_9not_fun_tI7is_trueItEEENSC_INSD_IbEEEENSA_11use_defaultESO_EENS0_5tupleIJSF_S6_EEENSQ_IJSG_SG_EEES6_PlJS6_EEE10hipError_tPvRmT3_T4_T5_T6_T7_T9_mT8_P12ihipStream_tbDpT10_ENKUlT_T0_E_clISt17integral_constantIbLb1EES1D_EEDaS18_S19_EUlS18_E_NS1_11comp_targetILNS1_3genE3ELNS1_11target_archE908ELNS1_3gpuE7ELNS1_3repE0EEENS1_30default_config_static_selectorELNS0_4arch9wavefront6targetE0EEEvT1_.num_agpr, 0
	.set _ZN7rocprim17ROCPRIM_400000_NS6detail17trampoline_kernelINS0_14default_configENS1_25partition_config_selectorILNS1_17partition_subalgoE5EtNS0_10empty_typeEbEEZZNS1_14partition_implILS5_5ELb0ES3_mN6thrust23THRUST_200600_302600_NS6detail15normal_iteratorINSA_10device_ptrItEEEEPS6_NSA_18transform_iteratorINSB_9not_fun_tI7is_trueItEEENSC_INSD_IbEEEENSA_11use_defaultESO_EENS0_5tupleIJSF_S6_EEENSQ_IJSG_SG_EEES6_PlJS6_EEE10hipError_tPvRmT3_T4_T5_T6_T7_T9_mT8_P12ihipStream_tbDpT10_ENKUlT_T0_E_clISt17integral_constantIbLb1EES1D_EEDaS18_S19_EUlS18_E_NS1_11comp_targetILNS1_3genE3ELNS1_11target_archE908ELNS1_3gpuE7ELNS1_3repE0EEENS1_30default_config_static_selectorELNS0_4arch9wavefront6targetE0EEEvT1_.numbered_sgpr, 0
	.set _ZN7rocprim17ROCPRIM_400000_NS6detail17trampoline_kernelINS0_14default_configENS1_25partition_config_selectorILNS1_17partition_subalgoE5EtNS0_10empty_typeEbEEZZNS1_14partition_implILS5_5ELb0ES3_mN6thrust23THRUST_200600_302600_NS6detail15normal_iteratorINSA_10device_ptrItEEEEPS6_NSA_18transform_iteratorINSB_9not_fun_tI7is_trueItEEENSC_INSD_IbEEEENSA_11use_defaultESO_EENS0_5tupleIJSF_S6_EEENSQ_IJSG_SG_EEES6_PlJS6_EEE10hipError_tPvRmT3_T4_T5_T6_T7_T9_mT8_P12ihipStream_tbDpT10_ENKUlT_T0_E_clISt17integral_constantIbLb1EES1D_EEDaS18_S19_EUlS18_E_NS1_11comp_targetILNS1_3genE3ELNS1_11target_archE908ELNS1_3gpuE7ELNS1_3repE0EEENS1_30default_config_static_selectorELNS0_4arch9wavefront6targetE0EEEvT1_.num_named_barrier, 0
	.set _ZN7rocprim17ROCPRIM_400000_NS6detail17trampoline_kernelINS0_14default_configENS1_25partition_config_selectorILNS1_17partition_subalgoE5EtNS0_10empty_typeEbEEZZNS1_14partition_implILS5_5ELb0ES3_mN6thrust23THRUST_200600_302600_NS6detail15normal_iteratorINSA_10device_ptrItEEEEPS6_NSA_18transform_iteratorINSB_9not_fun_tI7is_trueItEEENSC_INSD_IbEEEENSA_11use_defaultESO_EENS0_5tupleIJSF_S6_EEENSQ_IJSG_SG_EEES6_PlJS6_EEE10hipError_tPvRmT3_T4_T5_T6_T7_T9_mT8_P12ihipStream_tbDpT10_ENKUlT_T0_E_clISt17integral_constantIbLb1EES1D_EEDaS18_S19_EUlS18_E_NS1_11comp_targetILNS1_3genE3ELNS1_11target_archE908ELNS1_3gpuE7ELNS1_3repE0EEENS1_30default_config_static_selectorELNS0_4arch9wavefront6targetE0EEEvT1_.private_seg_size, 0
	.set _ZN7rocprim17ROCPRIM_400000_NS6detail17trampoline_kernelINS0_14default_configENS1_25partition_config_selectorILNS1_17partition_subalgoE5EtNS0_10empty_typeEbEEZZNS1_14partition_implILS5_5ELb0ES3_mN6thrust23THRUST_200600_302600_NS6detail15normal_iteratorINSA_10device_ptrItEEEEPS6_NSA_18transform_iteratorINSB_9not_fun_tI7is_trueItEEENSC_INSD_IbEEEENSA_11use_defaultESO_EENS0_5tupleIJSF_S6_EEENSQ_IJSG_SG_EEES6_PlJS6_EEE10hipError_tPvRmT3_T4_T5_T6_T7_T9_mT8_P12ihipStream_tbDpT10_ENKUlT_T0_E_clISt17integral_constantIbLb1EES1D_EEDaS18_S19_EUlS18_E_NS1_11comp_targetILNS1_3genE3ELNS1_11target_archE908ELNS1_3gpuE7ELNS1_3repE0EEENS1_30default_config_static_selectorELNS0_4arch9wavefront6targetE0EEEvT1_.uses_vcc, 0
	.set _ZN7rocprim17ROCPRIM_400000_NS6detail17trampoline_kernelINS0_14default_configENS1_25partition_config_selectorILNS1_17partition_subalgoE5EtNS0_10empty_typeEbEEZZNS1_14partition_implILS5_5ELb0ES3_mN6thrust23THRUST_200600_302600_NS6detail15normal_iteratorINSA_10device_ptrItEEEEPS6_NSA_18transform_iteratorINSB_9not_fun_tI7is_trueItEEENSC_INSD_IbEEEENSA_11use_defaultESO_EENS0_5tupleIJSF_S6_EEENSQ_IJSG_SG_EEES6_PlJS6_EEE10hipError_tPvRmT3_T4_T5_T6_T7_T9_mT8_P12ihipStream_tbDpT10_ENKUlT_T0_E_clISt17integral_constantIbLb1EES1D_EEDaS18_S19_EUlS18_E_NS1_11comp_targetILNS1_3genE3ELNS1_11target_archE908ELNS1_3gpuE7ELNS1_3repE0EEENS1_30default_config_static_selectorELNS0_4arch9wavefront6targetE0EEEvT1_.uses_flat_scratch, 0
	.set _ZN7rocprim17ROCPRIM_400000_NS6detail17trampoline_kernelINS0_14default_configENS1_25partition_config_selectorILNS1_17partition_subalgoE5EtNS0_10empty_typeEbEEZZNS1_14partition_implILS5_5ELb0ES3_mN6thrust23THRUST_200600_302600_NS6detail15normal_iteratorINSA_10device_ptrItEEEEPS6_NSA_18transform_iteratorINSB_9not_fun_tI7is_trueItEEENSC_INSD_IbEEEENSA_11use_defaultESO_EENS0_5tupleIJSF_S6_EEENSQ_IJSG_SG_EEES6_PlJS6_EEE10hipError_tPvRmT3_T4_T5_T6_T7_T9_mT8_P12ihipStream_tbDpT10_ENKUlT_T0_E_clISt17integral_constantIbLb1EES1D_EEDaS18_S19_EUlS18_E_NS1_11comp_targetILNS1_3genE3ELNS1_11target_archE908ELNS1_3gpuE7ELNS1_3repE0EEENS1_30default_config_static_selectorELNS0_4arch9wavefront6targetE0EEEvT1_.has_dyn_sized_stack, 0
	.set _ZN7rocprim17ROCPRIM_400000_NS6detail17trampoline_kernelINS0_14default_configENS1_25partition_config_selectorILNS1_17partition_subalgoE5EtNS0_10empty_typeEbEEZZNS1_14partition_implILS5_5ELb0ES3_mN6thrust23THRUST_200600_302600_NS6detail15normal_iteratorINSA_10device_ptrItEEEEPS6_NSA_18transform_iteratorINSB_9not_fun_tI7is_trueItEEENSC_INSD_IbEEEENSA_11use_defaultESO_EENS0_5tupleIJSF_S6_EEENSQ_IJSG_SG_EEES6_PlJS6_EEE10hipError_tPvRmT3_T4_T5_T6_T7_T9_mT8_P12ihipStream_tbDpT10_ENKUlT_T0_E_clISt17integral_constantIbLb1EES1D_EEDaS18_S19_EUlS18_E_NS1_11comp_targetILNS1_3genE3ELNS1_11target_archE908ELNS1_3gpuE7ELNS1_3repE0EEENS1_30default_config_static_selectorELNS0_4arch9wavefront6targetE0EEEvT1_.has_recursion, 0
	.set _ZN7rocprim17ROCPRIM_400000_NS6detail17trampoline_kernelINS0_14default_configENS1_25partition_config_selectorILNS1_17partition_subalgoE5EtNS0_10empty_typeEbEEZZNS1_14partition_implILS5_5ELb0ES3_mN6thrust23THRUST_200600_302600_NS6detail15normal_iteratorINSA_10device_ptrItEEEEPS6_NSA_18transform_iteratorINSB_9not_fun_tI7is_trueItEEENSC_INSD_IbEEEENSA_11use_defaultESO_EENS0_5tupleIJSF_S6_EEENSQ_IJSG_SG_EEES6_PlJS6_EEE10hipError_tPvRmT3_T4_T5_T6_T7_T9_mT8_P12ihipStream_tbDpT10_ENKUlT_T0_E_clISt17integral_constantIbLb1EES1D_EEDaS18_S19_EUlS18_E_NS1_11comp_targetILNS1_3genE3ELNS1_11target_archE908ELNS1_3gpuE7ELNS1_3repE0EEENS1_30default_config_static_selectorELNS0_4arch9wavefront6targetE0EEEvT1_.has_indirect_call, 0
	.section	.AMDGPU.csdata,"",@progbits
; Kernel info:
; codeLenInByte = 0
; TotalNumSgprs: 0
; NumVgprs: 0
; ScratchSize: 0
; MemoryBound: 0
; FloatMode: 240
; IeeeMode: 1
; LDSByteSize: 0 bytes/workgroup (compile time only)
; SGPRBlocks: 0
; VGPRBlocks: 0
; NumSGPRsForWavesPerEU: 1
; NumVGPRsForWavesPerEU: 1
; Occupancy: 16
; WaveLimiterHint : 0
; COMPUTE_PGM_RSRC2:SCRATCH_EN: 0
; COMPUTE_PGM_RSRC2:USER_SGPR: 2
; COMPUTE_PGM_RSRC2:TRAP_HANDLER: 0
; COMPUTE_PGM_RSRC2:TGID_X_EN: 1
; COMPUTE_PGM_RSRC2:TGID_Y_EN: 0
; COMPUTE_PGM_RSRC2:TGID_Z_EN: 0
; COMPUTE_PGM_RSRC2:TIDIG_COMP_CNT: 0
	.section	.text._ZN7rocprim17ROCPRIM_400000_NS6detail17trampoline_kernelINS0_14default_configENS1_25partition_config_selectorILNS1_17partition_subalgoE5EtNS0_10empty_typeEbEEZZNS1_14partition_implILS5_5ELb0ES3_mN6thrust23THRUST_200600_302600_NS6detail15normal_iteratorINSA_10device_ptrItEEEEPS6_NSA_18transform_iteratorINSB_9not_fun_tI7is_trueItEEENSC_INSD_IbEEEENSA_11use_defaultESO_EENS0_5tupleIJSF_S6_EEENSQ_IJSG_SG_EEES6_PlJS6_EEE10hipError_tPvRmT3_T4_T5_T6_T7_T9_mT8_P12ihipStream_tbDpT10_ENKUlT_T0_E_clISt17integral_constantIbLb1EES1D_EEDaS18_S19_EUlS18_E_NS1_11comp_targetILNS1_3genE2ELNS1_11target_archE906ELNS1_3gpuE6ELNS1_3repE0EEENS1_30default_config_static_selectorELNS0_4arch9wavefront6targetE0EEEvT1_,"axG",@progbits,_ZN7rocprim17ROCPRIM_400000_NS6detail17trampoline_kernelINS0_14default_configENS1_25partition_config_selectorILNS1_17partition_subalgoE5EtNS0_10empty_typeEbEEZZNS1_14partition_implILS5_5ELb0ES3_mN6thrust23THRUST_200600_302600_NS6detail15normal_iteratorINSA_10device_ptrItEEEEPS6_NSA_18transform_iteratorINSB_9not_fun_tI7is_trueItEEENSC_INSD_IbEEEENSA_11use_defaultESO_EENS0_5tupleIJSF_S6_EEENSQ_IJSG_SG_EEES6_PlJS6_EEE10hipError_tPvRmT3_T4_T5_T6_T7_T9_mT8_P12ihipStream_tbDpT10_ENKUlT_T0_E_clISt17integral_constantIbLb1EES1D_EEDaS18_S19_EUlS18_E_NS1_11comp_targetILNS1_3genE2ELNS1_11target_archE906ELNS1_3gpuE6ELNS1_3repE0EEENS1_30default_config_static_selectorELNS0_4arch9wavefront6targetE0EEEvT1_,comdat
	.protected	_ZN7rocprim17ROCPRIM_400000_NS6detail17trampoline_kernelINS0_14default_configENS1_25partition_config_selectorILNS1_17partition_subalgoE5EtNS0_10empty_typeEbEEZZNS1_14partition_implILS5_5ELb0ES3_mN6thrust23THRUST_200600_302600_NS6detail15normal_iteratorINSA_10device_ptrItEEEEPS6_NSA_18transform_iteratorINSB_9not_fun_tI7is_trueItEEENSC_INSD_IbEEEENSA_11use_defaultESO_EENS0_5tupleIJSF_S6_EEENSQ_IJSG_SG_EEES6_PlJS6_EEE10hipError_tPvRmT3_T4_T5_T6_T7_T9_mT8_P12ihipStream_tbDpT10_ENKUlT_T0_E_clISt17integral_constantIbLb1EES1D_EEDaS18_S19_EUlS18_E_NS1_11comp_targetILNS1_3genE2ELNS1_11target_archE906ELNS1_3gpuE6ELNS1_3repE0EEENS1_30default_config_static_selectorELNS0_4arch9wavefront6targetE0EEEvT1_ ; -- Begin function _ZN7rocprim17ROCPRIM_400000_NS6detail17trampoline_kernelINS0_14default_configENS1_25partition_config_selectorILNS1_17partition_subalgoE5EtNS0_10empty_typeEbEEZZNS1_14partition_implILS5_5ELb0ES3_mN6thrust23THRUST_200600_302600_NS6detail15normal_iteratorINSA_10device_ptrItEEEEPS6_NSA_18transform_iteratorINSB_9not_fun_tI7is_trueItEEENSC_INSD_IbEEEENSA_11use_defaultESO_EENS0_5tupleIJSF_S6_EEENSQ_IJSG_SG_EEES6_PlJS6_EEE10hipError_tPvRmT3_T4_T5_T6_T7_T9_mT8_P12ihipStream_tbDpT10_ENKUlT_T0_E_clISt17integral_constantIbLb1EES1D_EEDaS18_S19_EUlS18_E_NS1_11comp_targetILNS1_3genE2ELNS1_11target_archE906ELNS1_3gpuE6ELNS1_3repE0EEENS1_30default_config_static_selectorELNS0_4arch9wavefront6targetE0EEEvT1_
	.globl	_ZN7rocprim17ROCPRIM_400000_NS6detail17trampoline_kernelINS0_14default_configENS1_25partition_config_selectorILNS1_17partition_subalgoE5EtNS0_10empty_typeEbEEZZNS1_14partition_implILS5_5ELb0ES3_mN6thrust23THRUST_200600_302600_NS6detail15normal_iteratorINSA_10device_ptrItEEEEPS6_NSA_18transform_iteratorINSB_9not_fun_tI7is_trueItEEENSC_INSD_IbEEEENSA_11use_defaultESO_EENS0_5tupleIJSF_S6_EEENSQ_IJSG_SG_EEES6_PlJS6_EEE10hipError_tPvRmT3_T4_T5_T6_T7_T9_mT8_P12ihipStream_tbDpT10_ENKUlT_T0_E_clISt17integral_constantIbLb1EES1D_EEDaS18_S19_EUlS18_E_NS1_11comp_targetILNS1_3genE2ELNS1_11target_archE906ELNS1_3gpuE6ELNS1_3repE0EEENS1_30default_config_static_selectorELNS0_4arch9wavefront6targetE0EEEvT1_
	.p2align	8
	.type	_ZN7rocprim17ROCPRIM_400000_NS6detail17trampoline_kernelINS0_14default_configENS1_25partition_config_selectorILNS1_17partition_subalgoE5EtNS0_10empty_typeEbEEZZNS1_14partition_implILS5_5ELb0ES3_mN6thrust23THRUST_200600_302600_NS6detail15normal_iteratorINSA_10device_ptrItEEEEPS6_NSA_18transform_iteratorINSB_9not_fun_tI7is_trueItEEENSC_INSD_IbEEEENSA_11use_defaultESO_EENS0_5tupleIJSF_S6_EEENSQ_IJSG_SG_EEES6_PlJS6_EEE10hipError_tPvRmT3_T4_T5_T6_T7_T9_mT8_P12ihipStream_tbDpT10_ENKUlT_T0_E_clISt17integral_constantIbLb1EES1D_EEDaS18_S19_EUlS18_E_NS1_11comp_targetILNS1_3genE2ELNS1_11target_archE906ELNS1_3gpuE6ELNS1_3repE0EEENS1_30default_config_static_selectorELNS0_4arch9wavefront6targetE0EEEvT1_,@function
_ZN7rocprim17ROCPRIM_400000_NS6detail17trampoline_kernelINS0_14default_configENS1_25partition_config_selectorILNS1_17partition_subalgoE5EtNS0_10empty_typeEbEEZZNS1_14partition_implILS5_5ELb0ES3_mN6thrust23THRUST_200600_302600_NS6detail15normal_iteratorINSA_10device_ptrItEEEEPS6_NSA_18transform_iteratorINSB_9not_fun_tI7is_trueItEEENSC_INSD_IbEEEENSA_11use_defaultESO_EENS0_5tupleIJSF_S6_EEENSQ_IJSG_SG_EEES6_PlJS6_EEE10hipError_tPvRmT3_T4_T5_T6_T7_T9_mT8_P12ihipStream_tbDpT10_ENKUlT_T0_E_clISt17integral_constantIbLb1EES1D_EEDaS18_S19_EUlS18_E_NS1_11comp_targetILNS1_3genE2ELNS1_11target_archE906ELNS1_3gpuE6ELNS1_3repE0EEENS1_30default_config_static_selectorELNS0_4arch9wavefront6targetE0EEEvT1_: ; @_ZN7rocprim17ROCPRIM_400000_NS6detail17trampoline_kernelINS0_14default_configENS1_25partition_config_selectorILNS1_17partition_subalgoE5EtNS0_10empty_typeEbEEZZNS1_14partition_implILS5_5ELb0ES3_mN6thrust23THRUST_200600_302600_NS6detail15normal_iteratorINSA_10device_ptrItEEEEPS6_NSA_18transform_iteratorINSB_9not_fun_tI7is_trueItEEENSC_INSD_IbEEEENSA_11use_defaultESO_EENS0_5tupleIJSF_S6_EEENSQ_IJSG_SG_EEES6_PlJS6_EEE10hipError_tPvRmT3_T4_T5_T6_T7_T9_mT8_P12ihipStream_tbDpT10_ENKUlT_T0_E_clISt17integral_constantIbLb1EES1D_EEDaS18_S19_EUlS18_E_NS1_11comp_targetILNS1_3genE2ELNS1_11target_archE906ELNS1_3gpuE6ELNS1_3repE0EEENS1_30default_config_static_selectorELNS0_4arch9wavefront6targetE0EEEvT1_
; %bb.0:
	.section	.rodata,"a",@progbits
	.p2align	6, 0x0
	.amdhsa_kernel _ZN7rocprim17ROCPRIM_400000_NS6detail17trampoline_kernelINS0_14default_configENS1_25partition_config_selectorILNS1_17partition_subalgoE5EtNS0_10empty_typeEbEEZZNS1_14partition_implILS5_5ELb0ES3_mN6thrust23THRUST_200600_302600_NS6detail15normal_iteratorINSA_10device_ptrItEEEEPS6_NSA_18transform_iteratorINSB_9not_fun_tI7is_trueItEEENSC_INSD_IbEEEENSA_11use_defaultESO_EENS0_5tupleIJSF_S6_EEENSQ_IJSG_SG_EEES6_PlJS6_EEE10hipError_tPvRmT3_T4_T5_T6_T7_T9_mT8_P12ihipStream_tbDpT10_ENKUlT_T0_E_clISt17integral_constantIbLb1EES1D_EEDaS18_S19_EUlS18_E_NS1_11comp_targetILNS1_3genE2ELNS1_11target_archE906ELNS1_3gpuE6ELNS1_3repE0EEENS1_30default_config_static_selectorELNS0_4arch9wavefront6targetE0EEEvT1_
		.amdhsa_group_segment_fixed_size 0
		.amdhsa_private_segment_fixed_size 0
		.amdhsa_kernarg_size 136
		.amdhsa_user_sgpr_count 2
		.amdhsa_user_sgpr_dispatch_ptr 0
		.amdhsa_user_sgpr_queue_ptr 0
		.amdhsa_user_sgpr_kernarg_segment_ptr 1
		.amdhsa_user_sgpr_dispatch_id 0
		.amdhsa_user_sgpr_private_segment_size 0
		.amdhsa_wavefront_size32 1
		.amdhsa_uses_dynamic_stack 0
		.amdhsa_enable_private_segment 0
		.amdhsa_system_sgpr_workgroup_id_x 1
		.amdhsa_system_sgpr_workgroup_id_y 0
		.amdhsa_system_sgpr_workgroup_id_z 0
		.amdhsa_system_sgpr_workgroup_info 0
		.amdhsa_system_vgpr_workitem_id 0
		.amdhsa_next_free_vgpr 1
		.amdhsa_next_free_sgpr 1
		.amdhsa_reserve_vcc 0
		.amdhsa_float_round_mode_32 0
		.amdhsa_float_round_mode_16_64 0
		.amdhsa_float_denorm_mode_32 3
		.amdhsa_float_denorm_mode_16_64 3
		.amdhsa_fp16_overflow 0
		.amdhsa_workgroup_processor_mode 1
		.amdhsa_memory_ordered 1
		.amdhsa_forward_progress 1
		.amdhsa_inst_pref_size 0
		.amdhsa_round_robin_scheduling 0
		.amdhsa_exception_fp_ieee_invalid_op 0
		.amdhsa_exception_fp_denorm_src 0
		.amdhsa_exception_fp_ieee_div_zero 0
		.amdhsa_exception_fp_ieee_overflow 0
		.amdhsa_exception_fp_ieee_underflow 0
		.amdhsa_exception_fp_ieee_inexact 0
		.amdhsa_exception_int_div_zero 0
	.end_amdhsa_kernel
	.section	.text._ZN7rocprim17ROCPRIM_400000_NS6detail17trampoline_kernelINS0_14default_configENS1_25partition_config_selectorILNS1_17partition_subalgoE5EtNS0_10empty_typeEbEEZZNS1_14partition_implILS5_5ELb0ES3_mN6thrust23THRUST_200600_302600_NS6detail15normal_iteratorINSA_10device_ptrItEEEEPS6_NSA_18transform_iteratorINSB_9not_fun_tI7is_trueItEEENSC_INSD_IbEEEENSA_11use_defaultESO_EENS0_5tupleIJSF_S6_EEENSQ_IJSG_SG_EEES6_PlJS6_EEE10hipError_tPvRmT3_T4_T5_T6_T7_T9_mT8_P12ihipStream_tbDpT10_ENKUlT_T0_E_clISt17integral_constantIbLb1EES1D_EEDaS18_S19_EUlS18_E_NS1_11comp_targetILNS1_3genE2ELNS1_11target_archE906ELNS1_3gpuE6ELNS1_3repE0EEENS1_30default_config_static_selectorELNS0_4arch9wavefront6targetE0EEEvT1_,"axG",@progbits,_ZN7rocprim17ROCPRIM_400000_NS6detail17trampoline_kernelINS0_14default_configENS1_25partition_config_selectorILNS1_17partition_subalgoE5EtNS0_10empty_typeEbEEZZNS1_14partition_implILS5_5ELb0ES3_mN6thrust23THRUST_200600_302600_NS6detail15normal_iteratorINSA_10device_ptrItEEEEPS6_NSA_18transform_iteratorINSB_9not_fun_tI7is_trueItEEENSC_INSD_IbEEEENSA_11use_defaultESO_EENS0_5tupleIJSF_S6_EEENSQ_IJSG_SG_EEES6_PlJS6_EEE10hipError_tPvRmT3_T4_T5_T6_T7_T9_mT8_P12ihipStream_tbDpT10_ENKUlT_T0_E_clISt17integral_constantIbLb1EES1D_EEDaS18_S19_EUlS18_E_NS1_11comp_targetILNS1_3genE2ELNS1_11target_archE906ELNS1_3gpuE6ELNS1_3repE0EEENS1_30default_config_static_selectorELNS0_4arch9wavefront6targetE0EEEvT1_,comdat
.Lfunc_end2473:
	.size	_ZN7rocprim17ROCPRIM_400000_NS6detail17trampoline_kernelINS0_14default_configENS1_25partition_config_selectorILNS1_17partition_subalgoE5EtNS0_10empty_typeEbEEZZNS1_14partition_implILS5_5ELb0ES3_mN6thrust23THRUST_200600_302600_NS6detail15normal_iteratorINSA_10device_ptrItEEEEPS6_NSA_18transform_iteratorINSB_9not_fun_tI7is_trueItEEENSC_INSD_IbEEEENSA_11use_defaultESO_EENS0_5tupleIJSF_S6_EEENSQ_IJSG_SG_EEES6_PlJS6_EEE10hipError_tPvRmT3_T4_T5_T6_T7_T9_mT8_P12ihipStream_tbDpT10_ENKUlT_T0_E_clISt17integral_constantIbLb1EES1D_EEDaS18_S19_EUlS18_E_NS1_11comp_targetILNS1_3genE2ELNS1_11target_archE906ELNS1_3gpuE6ELNS1_3repE0EEENS1_30default_config_static_selectorELNS0_4arch9wavefront6targetE0EEEvT1_, .Lfunc_end2473-_ZN7rocprim17ROCPRIM_400000_NS6detail17trampoline_kernelINS0_14default_configENS1_25partition_config_selectorILNS1_17partition_subalgoE5EtNS0_10empty_typeEbEEZZNS1_14partition_implILS5_5ELb0ES3_mN6thrust23THRUST_200600_302600_NS6detail15normal_iteratorINSA_10device_ptrItEEEEPS6_NSA_18transform_iteratorINSB_9not_fun_tI7is_trueItEEENSC_INSD_IbEEEENSA_11use_defaultESO_EENS0_5tupleIJSF_S6_EEENSQ_IJSG_SG_EEES6_PlJS6_EEE10hipError_tPvRmT3_T4_T5_T6_T7_T9_mT8_P12ihipStream_tbDpT10_ENKUlT_T0_E_clISt17integral_constantIbLb1EES1D_EEDaS18_S19_EUlS18_E_NS1_11comp_targetILNS1_3genE2ELNS1_11target_archE906ELNS1_3gpuE6ELNS1_3repE0EEENS1_30default_config_static_selectorELNS0_4arch9wavefront6targetE0EEEvT1_
                                        ; -- End function
	.set _ZN7rocprim17ROCPRIM_400000_NS6detail17trampoline_kernelINS0_14default_configENS1_25partition_config_selectorILNS1_17partition_subalgoE5EtNS0_10empty_typeEbEEZZNS1_14partition_implILS5_5ELb0ES3_mN6thrust23THRUST_200600_302600_NS6detail15normal_iteratorINSA_10device_ptrItEEEEPS6_NSA_18transform_iteratorINSB_9not_fun_tI7is_trueItEEENSC_INSD_IbEEEENSA_11use_defaultESO_EENS0_5tupleIJSF_S6_EEENSQ_IJSG_SG_EEES6_PlJS6_EEE10hipError_tPvRmT3_T4_T5_T6_T7_T9_mT8_P12ihipStream_tbDpT10_ENKUlT_T0_E_clISt17integral_constantIbLb1EES1D_EEDaS18_S19_EUlS18_E_NS1_11comp_targetILNS1_3genE2ELNS1_11target_archE906ELNS1_3gpuE6ELNS1_3repE0EEENS1_30default_config_static_selectorELNS0_4arch9wavefront6targetE0EEEvT1_.num_vgpr, 0
	.set _ZN7rocprim17ROCPRIM_400000_NS6detail17trampoline_kernelINS0_14default_configENS1_25partition_config_selectorILNS1_17partition_subalgoE5EtNS0_10empty_typeEbEEZZNS1_14partition_implILS5_5ELb0ES3_mN6thrust23THRUST_200600_302600_NS6detail15normal_iteratorINSA_10device_ptrItEEEEPS6_NSA_18transform_iteratorINSB_9not_fun_tI7is_trueItEEENSC_INSD_IbEEEENSA_11use_defaultESO_EENS0_5tupleIJSF_S6_EEENSQ_IJSG_SG_EEES6_PlJS6_EEE10hipError_tPvRmT3_T4_T5_T6_T7_T9_mT8_P12ihipStream_tbDpT10_ENKUlT_T0_E_clISt17integral_constantIbLb1EES1D_EEDaS18_S19_EUlS18_E_NS1_11comp_targetILNS1_3genE2ELNS1_11target_archE906ELNS1_3gpuE6ELNS1_3repE0EEENS1_30default_config_static_selectorELNS0_4arch9wavefront6targetE0EEEvT1_.num_agpr, 0
	.set _ZN7rocprim17ROCPRIM_400000_NS6detail17trampoline_kernelINS0_14default_configENS1_25partition_config_selectorILNS1_17partition_subalgoE5EtNS0_10empty_typeEbEEZZNS1_14partition_implILS5_5ELb0ES3_mN6thrust23THRUST_200600_302600_NS6detail15normal_iteratorINSA_10device_ptrItEEEEPS6_NSA_18transform_iteratorINSB_9not_fun_tI7is_trueItEEENSC_INSD_IbEEEENSA_11use_defaultESO_EENS0_5tupleIJSF_S6_EEENSQ_IJSG_SG_EEES6_PlJS6_EEE10hipError_tPvRmT3_T4_T5_T6_T7_T9_mT8_P12ihipStream_tbDpT10_ENKUlT_T0_E_clISt17integral_constantIbLb1EES1D_EEDaS18_S19_EUlS18_E_NS1_11comp_targetILNS1_3genE2ELNS1_11target_archE906ELNS1_3gpuE6ELNS1_3repE0EEENS1_30default_config_static_selectorELNS0_4arch9wavefront6targetE0EEEvT1_.numbered_sgpr, 0
	.set _ZN7rocprim17ROCPRIM_400000_NS6detail17trampoline_kernelINS0_14default_configENS1_25partition_config_selectorILNS1_17partition_subalgoE5EtNS0_10empty_typeEbEEZZNS1_14partition_implILS5_5ELb0ES3_mN6thrust23THRUST_200600_302600_NS6detail15normal_iteratorINSA_10device_ptrItEEEEPS6_NSA_18transform_iteratorINSB_9not_fun_tI7is_trueItEEENSC_INSD_IbEEEENSA_11use_defaultESO_EENS0_5tupleIJSF_S6_EEENSQ_IJSG_SG_EEES6_PlJS6_EEE10hipError_tPvRmT3_T4_T5_T6_T7_T9_mT8_P12ihipStream_tbDpT10_ENKUlT_T0_E_clISt17integral_constantIbLb1EES1D_EEDaS18_S19_EUlS18_E_NS1_11comp_targetILNS1_3genE2ELNS1_11target_archE906ELNS1_3gpuE6ELNS1_3repE0EEENS1_30default_config_static_selectorELNS0_4arch9wavefront6targetE0EEEvT1_.num_named_barrier, 0
	.set _ZN7rocprim17ROCPRIM_400000_NS6detail17trampoline_kernelINS0_14default_configENS1_25partition_config_selectorILNS1_17partition_subalgoE5EtNS0_10empty_typeEbEEZZNS1_14partition_implILS5_5ELb0ES3_mN6thrust23THRUST_200600_302600_NS6detail15normal_iteratorINSA_10device_ptrItEEEEPS6_NSA_18transform_iteratorINSB_9not_fun_tI7is_trueItEEENSC_INSD_IbEEEENSA_11use_defaultESO_EENS0_5tupleIJSF_S6_EEENSQ_IJSG_SG_EEES6_PlJS6_EEE10hipError_tPvRmT3_T4_T5_T6_T7_T9_mT8_P12ihipStream_tbDpT10_ENKUlT_T0_E_clISt17integral_constantIbLb1EES1D_EEDaS18_S19_EUlS18_E_NS1_11comp_targetILNS1_3genE2ELNS1_11target_archE906ELNS1_3gpuE6ELNS1_3repE0EEENS1_30default_config_static_selectorELNS0_4arch9wavefront6targetE0EEEvT1_.private_seg_size, 0
	.set _ZN7rocprim17ROCPRIM_400000_NS6detail17trampoline_kernelINS0_14default_configENS1_25partition_config_selectorILNS1_17partition_subalgoE5EtNS0_10empty_typeEbEEZZNS1_14partition_implILS5_5ELb0ES3_mN6thrust23THRUST_200600_302600_NS6detail15normal_iteratorINSA_10device_ptrItEEEEPS6_NSA_18transform_iteratorINSB_9not_fun_tI7is_trueItEEENSC_INSD_IbEEEENSA_11use_defaultESO_EENS0_5tupleIJSF_S6_EEENSQ_IJSG_SG_EEES6_PlJS6_EEE10hipError_tPvRmT3_T4_T5_T6_T7_T9_mT8_P12ihipStream_tbDpT10_ENKUlT_T0_E_clISt17integral_constantIbLb1EES1D_EEDaS18_S19_EUlS18_E_NS1_11comp_targetILNS1_3genE2ELNS1_11target_archE906ELNS1_3gpuE6ELNS1_3repE0EEENS1_30default_config_static_selectorELNS0_4arch9wavefront6targetE0EEEvT1_.uses_vcc, 0
	.set _ZN7rocprim17ROCPRIM_400000_NS6detail17trampoline_kernelINS0_14default_configENS1_25partition_config_selectorILNS1_17partition_subalgoE5EtNS0_10empty_typeEbEEZZNS1_14partition_implILS5_5ELb0ES3_mN6thrust23THRUST_200600_302600_NS6detail15normal_iteratorINSA_10device_ptrItEEEEPS6_NSA_18transform_iteratorINSB_9not_fun_tI7is_trueItEEENSC_INSD_IbEEEENSA_11use_defaultESO_EENS0_5tupleIJSF_S6_EEENSQ_IJSG_SG_EEES6_PlJS6_EEE10hipError_tPvRmT3_T4_T5_T6_T7_T9_mT8_P12ihipStream_tbDpT10_ENKUlT_T0_E_clISt17integral_constantIbLb1EES1D_EEDaS18_S19_EUlS18_E_NS1_11comp_targetILNS1_3genE2ELNS1_11target_archE906ELNS1_3gpuE6ELNS1_3repE0EEENS1_30default_config_static_selectorELNS0_4arch9wavefront6targetE0EEEvT1_.uses_flat_scratch, 0
	.set _ZN7rocprim17ROCPRIM_400000_NS6detail17trampoline_kernelINS0_14default_configENS1_25partition_config_selectorILNS1_17partition_subalgoE5EtNS0_10empty_typeEbEEZZNS1_14partition_implILS5_5ELb0ES3_mN6thrust23THRUST_200600_302600_NS6detail15normal_iteratorINSA_10device_ptrItEEEEPS6_NSA_18transform_iteratorINSB_9not_fun_tI7is_trueItEEENSC_INSD_IbEEEENSA_11use_defaultESO_EENS0_5tupleIJSF_S6_EEENSQ_IJSG_SG_EEES6_PlJS6_EEE10hipError_tPvRmT3_T4_T5_T6_T7_T9_mT8_P12ihipStream_tbDpT10_ENKUlT_T0_E_clISt17integral_constantIbLb1EES1D_EEDaS18_S19_EUlS18_E_NS1_11comp_targetILNS1_3genE2ELNS1_11target_archE906ELNS1_3gpuE6ELNS1_3repE0EEENS1_30default_config_static_selectorELNS0_4arch9wavefront6targetE0EEEvT1_.has_dyn_sized_stack, 0
	.set _ZN7rocprim17ROCPRIM_400000_NS6detail17trampoline_kernelINS0_14default_configENS1_25partition_config_selectorILNS1_17partition_subalgoE5EtNS0_10empty_typeEbEEZZNS1_14partition_implILS5_5ELb0ES3_mN6thrust23THRUST_200600_302600_NS6detail15normal_iteratorINSA_10device_ptrItEEEEPS6_NSA_18transform_iteratorINSB_9not_fun_tI7is_trueItEEENSC_INSD_IbEEEENSA_11use_defaultESO_EENS0_5tupleIJSF_S6_EEENSQ_IJSG_SG_EEES6_PlJS6_EEE10hipError_tPvRmT3_T4_T5_T6_T7_T9_mT8_P12ihipStream_tbDpT10_ENKUlT_T0_E_clISt17integral_constantIbLb1EES1D_EEDaS18_S19_EUlS18_E_NS1_11comp_targetILNS1_3genE2ELNS1_11target_archE906ELNS1_3gpuE6ELNS1_3repE0EEENS1_30default_config_static_selectorELNS0_4arch9wavefront6targetE0EEEvT1_.has_recursion, 0
	.set _ZN7rocprim17ROCPRIM_400000_NS6detail17trampoline_kernelINS0_14default_configENS1_25partition_config_selectorILNS1_17partition_subalgoE5EtNS0_10empty_typeEbEEZZNS1_14partition_implILS5_5ELb0ES3_mN6thrust23THRUST_200600_302600_NS6detail15normal_iteratorINSA_10device_ptrItEEEEPS6_NSA_18transform_iteratorINSB_9not_fun_tI7is_trueItEEENSC_INSD_IbEEEENSA_11use_defaultESO_EENS0_5tupleIJSF_S6_EEENSQ_IJSG_SG_EEES6_PlJS6_EEE10hipError_tPvRmT3_T4_T5_T6_T7_T9_mT8_P12ihipStream_tbDpT10_ENKUlT_T0_E_clISt17integral_constantIbLb1EES1D_EEDaS18_S19_EUlS18_E_NS1_11comp_targetILNS1_3genE2ELNS1_11target_archE906ELNS1_3gpuE6ELNS1_3repE0EEENS1_30default_config_static_selectorELNS0_4arch9wavefront6targetE0EEEvT1_.has_indirect_call, 0
	.section	.AMDGPU.csdata,"",@progbits
; Kernel info:
; codeLenInByte = 0
; TotalNumSgprs: 0
; NumVgprs: 0
; ScratchSize: 0
; MemoryBound: 0
; FloatMode: 240
; IeeeMode: 1
; LDSByteSize: 0 bytes/workgroup (compile time only)
; SGPRBlocks: 0
; VGPRBlocks: 0
; NumSGPRsForWavesPerEU: 1
; NumVGPRsForWavesPerEU: 1
; Occupancy: 16
; WaveLimiterHint : 0
; COMPUTE_PGM_RSRC2:SCRATCH_EN: 0
; COMPUTE_PGM_RSRC2:USER_SGPR: 2
; COMPUTE_PGM_RSRC2:TRAP_HANDLER: 0
; COMPUTE_PGM_RSRC2:TGID_X_EN: 1
; COMPUTE_PGM_RSRC2:TGID_Y_EN: 0
; COMPUTE_PGM_RSRC2:TGID_Z_EN: 0
; COMPUTE_PGM_RSRC2:TIDIG_COMP_CNT: 0
	.section	.text._ZN7rocprim17ROCPRIM_400000_NS6detail17trampoline_kernelINS0_14default_configENS1_25partition_config_selectorILNS1_17partition_subalgoE5EtNS0_10empty_typeEbEEZZNS1_14partition_implILS5_5ELb0ES3_mN6thrust23THRUST_200600_302600_NS6detail15normal_iteratorINSA_10device_ptrItEEEEPS6_NSA_18transform_iteratorINSB_9not_fun_tI7is_trueItEEENSC_INSD_IbEEEENSA_11use_defaultESO_EENS0_5tupleIJSF_S6_EEENSQ_IJSG_SG_EEES6_PlJS6_EEE10hipError_tPvRmT3_T4_T5_T6_T7_T9_mT8_P12ihipStream_tbDpT10_ENKUlT_T0_E_clISt17integral_constantIbLb1EES1D_EEDaS18_S19_EUlS18_E_NS1_11comp_targetILNS1_3genE10ELNS1_11target_archE1200ELNS1_3gpuE4ELNS1_3repE0EEENS1_30default_config_static_selectorELNS0_4arch9wavefront6targetE0EEEvT1_,"axG",@progbits,_ZN7rocprim17ROCPRIM_400000_NS6detail17trampoline_kernelINS0_14default_configENS1_25partition_config_selectorILNS1_17partition_subalgoE5EtNS0_10empty_typeEbEEZZNS1_14partition_implILS5_5ELb0ES3_mN6thrust23THRUST_200600_302600_NS6detail15normal_iteratorINSA_10device_ptrItEEEEPS6_NSA_18transform_iteratorINSB_9not_fun_tI7is_trueItEEENSC_INSD_IbEEEENSA_11use_defaultESO_EENS0_5tupleIJSF_S6_EEENSQ_IJSG_SG_EEES6_PlJS6_EEE10hipError_tPvRmT3_T4_T5_T6_T7_T9_mT8_P12ihipStream_tbDpT10_ENKUlT_T0_E_clISt17integral_constantIbLb1EES1D_EEDaS18_S19_EUlS18_E_NS1_11comp_targetILNS1_3genE10ELNS1_11target_archE1200ELNS1_3gpuE4ELNS1_3repE0EEENS1_30default_config_static_selectorELNS0_4arch9wavefront6targetE0EEEvT1_,comdat
	.protected	_ZN7rocprim17ROCPRIM_400000_NS6detail17trampoline_kernelINS0_14default_configENS1_25partition_config_selectorILNS1_17partition_subalgoE5EtNS0_10empty_typeEbEEZZNS1_14partition_implILS5_5ELb0ES3_mN6thrust23THRUST_200600_302600_NS6detail15normal_iteratorINSA_10device_ptrItEEEEPS6_NSA_18transform_iteratorINSB_9not_fun_tI7is_trueItEEENSC_INSD_IbEEEENSA_11use_defaultESO_EENS0_5tupleIJSF_S6_EEENSQ_IJSG_SG_EEES6_PlJS6_EEE10hipError_tPvRmT3_T4_T5_T6_T7_T9_mT8_P12ihipStream_tbDpT10_ENKUlT_T0_E_clISt17integral_constantIbLb1EES1D_EEDaS18_S19_EUlS18_E_NS1_11comp_targetILNS1_3genE10ELNS1_11target_archE1200ELNS1_3gpuE4ELNS1_3repE0EEENS1_30default_config_static_selectorELNS0_4arch9wavefront6targetE0EEEvT1_ ; -- Begin function _ZN7rocprim17ROCPRIM_400000_NS6detail17trampoline_kernelINS0_14default_configENS1_25partition_config_selectorILNS1_17partition_subalgoE5EtNS0_10empty_typeEbEEZZNS1_14partition_implILS5_5ELb0ES3_mN6thrust23THRUST_200600_302600_NS6detail15normal_iteratorINSA_10device_ptrItEEEEPS6_NSA_18transform_iteratorINSB_9not_fun_tI7is_trueItEEENSC_INSD_IbEEEENSA_11use_defaultESO_EENS0_5tupleIJSF_S6_EEENSQ_IJSG_SG_EEES6_PlJS6_EEE10hipError_tPvRmT3_T4_T5_T6_T7_T9_mT8_P12ihipStream_tbDpT10_ENKUlT_T0_E_clISt17integral_constantIbLb1EES1D_EEDaS18_S19_EUlS18_E_NS1_11comp_targetILNS1_3genE10ELNS1_11target_archE1200ELNS1_3gpuE4ELNS1_3repE0EEENS1_30default_config_static_selectorELNS0_4arch9wavefront6targetE0EEEvT1_
	.globl	_ZN7rocprim17ROCPRIM_400000_NS6detail17trampoline_kernelINS0_14default_configENS1_25partition_config_selectorILNS1_17partition_subalgoE5EtNS0_10empty_typeEbEEZZNS1_14partition_implILS5_5ELb0ES3_mN6thrust23THRUST_200600_302600_NS6detail15normal_iteratorINSA_10device_ptrItEEEEPS6_NSA_18transform_iteratorINSB_9not_fun_tI7is_trueItEEENSC_INSD_IbEEEENSA_11use_defaultESO_EENS0_5tupleIJSF_S6_EEENSQ_IJSG_SG_EEES6_PlJS6_EEE10hipError_tPvRmT3_T4_T5_T6_T7_T9_mT8_P12ihipStream_tbDpT10_ENKUlT_T0_E_clISt17integral_constantIbLb1EES1D_EEDaS18_S19_EUlS18_E_NS1_11comp_targetILNS1_3genE10ELNS1_11target_archE1200ELNS1_3gpuE4ELNS1_3repE0EEENS1_30default_config_static_selectorELNS0_4arch9wavefront6targetE0EEEvT1_
	.p2align	8
	.type	_ZN7rocprim17ROCPRIM_400000_NS6detail17trampoline_kernelINS0_14default_configENS1_25partition_config_selectorILNS1_17partition_subalgoE5EtNS0_10empty_typeEbEEZZNS1_14partition_implILS5_5ELb0ES3_mN6thrust23THRUST_200600_302600_NS6detail15normal_iteratorINSA_10device_ptrItEEEEPS6_NSA_18transform_iteratorINSB_9not_fun_tI7is_trueItEEENSC_INSD_IbEEEENSA_11use_defaultESO_EENS0_5tupleIJSF_S6_EEENSQ_IJSG_SG_EEES6_PlJS6_EEE10hipError_tPvRmT3_T4_T5_T6_T7_T9_mT8_P12ihipStream_tbDpT10_ENKUlT_T0_E_clISt17integral_constantIbLb1EES1D_EEDaS18_S19_EUlS18_E_NS1_11comp_targetILNS1_3genE10ELNS1_11target_archE1200ELNS1_3gpuE4ELNS1_3repE0EEENS1_30default_config_static_selectorELNS0_4arch9wavefront6targetE0EEEvT1_,@function
_ZN7rocprim17ROCPRIM_400000_NS6detail17trampoline_kernelINS0_14default_configENS1_25partition_config_selectorILNS1_17partition_subalgoE5EtNS0_10empty_typeEbEEZZNS1_14partition_implILS5_5ELb0ES3_mN6thrust23THRUST_200600_302600_NS6detail15normal_iteratorINSA_10device_ptrItEEEEPS6_NSA_18transform_iteratorINSB_9not_fun_tI7is_trueItEEENSC_INSD_IbEEEENSA_11use_defaultESO_EENS0_5tupleIJSF_S6_EEENSQ_IJSG_SG_EEES6_PlJS6_EEE10hipError_tPvRmT3_T4_T5_T6_T7_T9_mT8_P12ihipStream_tbDpT10_ENKUlT_T0_E_clISt17integral_constantIbLb1EES1D_EEDaS18_S19_EUlS18_E_NS1_11comp_targetILNS1_3genE10ELNS1_11target_archE1200ELNS1_3gpuE4ELNS1_3repE0EEENS1_30default_config_static_selectorELNS0_4arch9wavefront6targetE0EEEvT1_: ; @_ZN7rocprim17ROCPRIM_400000_NS6detail17trampoline_kernelINS0_14default_configENS1_25partition_config_selectorILNS1_17partition_subalgoE5EtNS0_10empty_typeEbEEZZNS1_14partition_implILS5_5ELb0ES3_mN6thrust23THRUST_200600_302600_NS6detail15normal_iteratorINSA_10device_ptrItEEEEPS6_NSA_18transform_iteratorINSB_9not_fun_tI7is_trueItEEENSC_INSD_IbEEEENSA_11use_defaultESO_EENS0_5tupleIJSF_S6_EEENSQ_IJSG_SG_EEES6_PlJS6_EEE10hipError_tPvRmT3_T4_T5_T6_T7_T9_mT8_P12ihipStream_tbDpT10_ENKUlT_T0_E_clISt17integral_constantIbLb1EES1D_EEDaS18_S19_EUlS18_E_NS1_11comp_targetILNS1_3genE10ELNS1_11target_archE1200ELNS1_3gpuE4ELNS1_3repE0EEENS1_30default_config_static_selectorELNS0_4arch9wavefront6targetE0EEEvT1_
; %bb.0:
	s_endpgm
	.section	.rodata,"a",@progbits
	.p2align	6, 0x0
	.amdhsa_kernel _ZN7rocprim17ROCPRIM_400000_NS6detail17trampoline_kernelINS0_14default_configENS1_25partition_config_selectorILNS1_17partition_subalgoE5EtNS0_10empty_typeEbEEZZNS1_14partition_implILS5_5ELb0ES3_mN6thrust23THRUST_200600_302600_NS6detail15normal_iteratorINSA_10device_ptrItEEEEPS6_NSA_18transform_iteratorINSB_9not_fun_tI7is_trueItEEENSC_INSD_IbEEEENSA_11use_defaultESO_EENS0_5tupleIJSF_S6_EEENSQ_IJSG_SG_EEES6_PlJS6_EEE10hipError_tPvRmT3_T4_T5_T6_T7_T9_mT8_P12ihipStream_tbDpT10_ENKUlT_T0_E_clISt17integral_constantIbLb1EES1D_EEDaS18_S19_EUlS18_E_NS1_11comp_targetILNS1_3genE10ELNS1_11target_archE1200ELNS1_3gpuE4ELNS1_3repE0EEENS1_30default_config_static_selectorELNS0_4arch9wavefront6targetE0EEEvT1_
		.amdhsa_group_segment_fixed_size 0
		.amdhsa_private_segment_fixed_size 0
		.amdhsa_kernarg_size 136
		.amdhsa_user_sgpr_count 2
		.amdhsa_user_sgpr_dispatch_ptr 0
		.amdhsa_user_sgpr_queue_ptr 0
		.amdhsa_user_sgpr_kernarg_segment_ptr 1
		.amdhsa_user_sgpr_dispatch_id 0
		.amdhsa_user_sgpr_private_segment_size 0
		.amdhsa_wavefront_size32 1
		.amdhsa_uses_dynamic_stack 0
		.amdhsa_enable_private_segment 0
		.amdhsa_system_sgpr_workgroup_id_x 1
		.amdhsa_system_sgpr_workgroup_id_y 0
		.amdhsa_system_sgpr_workgroup_id_z 0
		.amdhsa_system_sgpr_workgroup_info 0
		.amdhsa_system_vgpr_workitem_id 0
		.amdhsa_next_free_vgpr 1
		.amdhsa_next_free_sgpr 1
		.amdhsa_reserve_vcc 0
		.amdhsa_float_round_mode_32 0
		.amdhsa_float_round_mode_16_64 0
		.amdhsa_float_denorm_mode_32 3
		.amdhsa_float_denorm_mode_16_64 3
		.amdhsa_fp16_overflow 0
		.amdhsa_workgroup_processor_mode 1
		.amdhsa_memory_ordered 1
		.amdhsa_forward_progress 1
		.amdhsa_inst_pref_size 1
		.amdhsa_round_robin_scheduling 0
		.amdhsa_exception_fp_ieee_invalid_op 0
		.amdhsa_exception_fp_denorm_src 0
		.amdhsa_exception_fp_ieee_div_zero 0
		.amdhsa_exception_fp_ieee_overflow 0
		.amdhsa_exception_fp_ieee_underflow 0
		.amdhsa_exception_fp_ieee_inexact 0
		.amdhsa_exception_int_div_zero 0
	.end_amdhsa_kernel
	.section	.text._ZN7rocprim17ROCPRIM_400000_NS6detail17trampoline_kernelINS0_14default_configENS1_25partition_config_selectorILNS1_17partition_subalgoE5EtNS0_10empty_typeEbEEZZNS1_14partition_implILS5_5ELb0ES3_mN6thrust23THRUST_200600_302600_NS6detail15normal_iteratorINSA_10device_ptrItEEEEPS6_NSA_18transform_iteratorINSB_9not_fun_tI7is_trueItEEENSC_INSD_IbEEEENSA_11use_defaultESO_EENS0_5tupleIJSF_S6_EEENSQ_IJSG_SG_EEES6_PlJS6_EEE10hipError_tPvRmT3_T4_T5_T6_T7_T9_mT8_P12ihipStream_tbDpT10_ENKUlT_T0_E_clISt17integral_constantIbLb1EES1D_EEDaS18_S19_EUlS18_E_NS1_11comp_targetILNS1_3genE10ELNS1_11target_archE1200ELNS1_3gpuE4ELNS1_3repE0EEENS1_30default_config_static_selectorELNS0_4arch9wavefront6targetE0EEEvT1_,"axG",@progbits,_ZN7rocprim17ROCPRIM_400000_NS6detail17trampoline_kernelINS0_14default_configENS1_25partition_config_selectorILNS1_17partition_subalgoE5EtNS0_10empty_typeEbEEZZNS1_14partition_implILS5_5ELb0ES3_mN6thrust23THRUST_200600_302600_NS6detail15normal_iteratorINSA_10device_ptrItEEEEPS6_NSA_18transform_iteratorINSB_9not_fun_tI7is_trueItEEENSC_INSD_IbEEEENSA_11use_defaultESO_EENS0_5tupleIJSF_S6_EEENSQ_IJSG_SG_EEES6_PlJS6_EEE10hipError_tPvRmT3_T4_T5_T6_T7_T9_mT8_P12ihipStream_tbDpT10_ENKUlT_T0_E_clISt17integral_constantIbLb1EES1D_EEDaS18_S19_EUlS18_E_NS1_11comp_targetILNS1_3genE10ELNS1_11target_archE1200ELNS1_3gpuE4ELNS1_3repE0EEENS1_30default_config_static_selectorELNS0_4arch9wavefront6targetE0EEEvT1_,comdat
.Lfunc_end2474:
	.size	_ZN7rocprim17ROCPRIM_400000_NS6detail17trampoline_kernelINS0_14default_configENS1_25partition_config_selectorILNS1_17partition_subalgoE5EtNS0_10empty_typeEbEEZZNS1_14partition_implILS5_5ELb0ES3_mN6thrust23THRUST_200600_302600_NS6detail15normal_iteratorINSA_10device_ptrItEEEEPS6_NSA_18transform_iteratorINSB_9not_fun_tI7is_trueItEEENSC_INSD_IbEEEENSA_11use_defaultESO_EENS0_5tupleIJSF_S6_EEENSQ_IJSG_SG_EEES6_PlJS6_EEE10hipError_tPvRmT3_T4_T5_T6_T7_T9_mT8_P12ihipStream_tbDpT10_ENKUlT_T0_E_clISt17integral_constantIbLb1EES1D_EEDaS18_S19_EUlS18_E_NS1_11comp_targetILNS1_3genE10ELNS1_11target_archE1200ELNS1_3gpuE4ELNS1_3repE0EEENS1_30default_config_static_selectorELNS0_4arch9wavefront6targetE0EEEvT1_, .Lfunc_end2474-_ZN7rocprim17ROCPRIM_400000_NS6detail17trampoline_kernelINS0_14default_configENS1_25partition_config_selectorILNS1_17partition_subalgoE5EtNS0_10empty_typeEbEEZZNS1_14partition_implILS5_5ELb0ES3_mN6thrust23THRUST_200600_302600_NS6detail15normal_iteratorINSA_10device_ptrItEEEEPS6_NSA_18transform_iteratorINSB_9not_fun_tI7is_trueItEEENSC_INSD_IbEEEENSA_11use_defaultESO_EENS0_5tupleIJSF_S6_EEENSQ_IJSG_SG_EEES6_PlJS6_EEE10hipError_tPvRmT3_T4_T5_T6_T7_T9_mT8_P12ihipStream_tbDpT10_ENKUlT_T0_E_clISt17integral_constantIbLb1EES1D_EEDaS18_S19_EUlS18_E_NS1_11comp_targetILNS1_3genE10ELNS1_11target_archE1200ELNS1_3gpuE4ELNS1_3repE0EEENS1_30default_config_static_selectorELNS0_4arch9wavefront6targetE0EEEvT1_
                                        ; -- End function
	.set _ZN7rocprim17ROCPRIM_400000_NS6detail17trampoline_kernelINS0_14default_configENS1_25partition_config_selectorILNS1_17partition_subalgoE5EtNS0_10empty_typeEbEEZZNS1_14partition_implILS5_5ELb0ES3_mN6thrust23THRUST_200600_302600_NS6detail15normal_iteratorINSA_10device_ptrItEEEEPS6_NSA_18transform_iteratorINSB_9not_fun_tI7is_trueItEEENSC_INSD_IbEEEENSA_11use_defaultESO_EENS0_5tupleIJSF_S6_EEENSQ_IJSG_SG_EEES6_PlJS6_EEE10hipError_tPvRmT3_T4_T5_T6_T7_T9_mT8_P12ihipStream_tbDpT10_ENKUlT_T0_E_clISt17integral_constantIbLb1EES1D_EEDaS18_S19_EUlS18_E_NS1_11comp_targetILNS1_3genE10ELNS1_11target_archE1200ELNS1_3gpuE4ELNS1_3repE0EEENS1_30default_config_static_selectorELNS0_4arch9wavefront6targetE0EEEvT1_.num_vgpr, 0
	.set _ZN7rocprim17ROCPRIM_400000_NS6detail17trampoline_kernelINS0_14default_configENS1_25partition_config_selectorILNS1_17partition_subalgoE5EtNS0_10empty_typeEbEEZZNS1_14partition_implILS5_5ELb0ES3_mN6thrust23THRUST_200600_302600_NS6detail15normal_iteratorINSA_10device_ptrItEEEEPS6_NSA_18transform_iteratorINSB_9not_fun_tI7is_trueItEEENSC_INSD_IbEEEENSA_11use_defaultESO_EENS0_5tupleIJSF_S6_EEENSQ_IJSG_SG_EEES6_PlJS6_EEE10hipError_tPvRmT3_T4_T5_T6_T7_T9_mT8_P12ihipStream_tbDpT10_ENKUlT_T0_E_clISt17integral_constantIbLb1EES1D_EEDaS18_S19_EUlS18_E_NS1_11comp_targetILNS1_3genE10ELNS1_11target_archE1200ELNS1_3gpuE4ELNS1_3repE0EEENS1_30default_config_static_selectorELNS0_4arch9wavefront6targetE0EEEvT1_.num_agpr, 0
	.set _ZN7rocprim17ROCPRIM_400000_NS6detail17trampoline_kernelINS0_14default_configENS1_25partition_config_selectorILNS1_17partition_subalgoE5EtNS0_10empty_typeEbEEZZNS1_14partition_implILS5_5ELb0ES3_mN6thrust23THRUST_200600_302600_NS6detail15normal_iteratorINSA_10device_ptrItEEEEPS6_NSA_18transform_iteratorINSB_9not_fun_tI7is_trueItEEENSC_INSD_IbEEEENSA_11use_defaultESO_EENS0_5tupleIJSF_S6_EEENSQ_IJSG_SG_EEES6_PlJS6_EEE10hipError_tPvRmT3_T4_T5_T6_T7_T9_mT8_P12ihipStream_tbDpT10_ENKUlT_T0_E_clISt17integral_constantIbLb1EES1D_EEDaS18_S19_EUlS18_E_NS1_11comp_targetILNS1_3genE10ELNS1_11target_archE1200ELNS1_3gpuE4ELNS1_3repE0EEENS1_30default_config_static_selectorELNS0_4arch9wavefront6targetE0EEEvT1_.numbered_sgpr, 0
	.set _ZN7rocprim17ROCPRIM_400000_NS6detail17trampoline_kernelINS0_14default_configENS1_25partition_config_selectorILNS1_17partition_subalgoE5EtNS0_10empty_typeEbEEZZNS1_14partition_implILS5_5ELb0ES3_mN6thrust23THRUST_200600_302600_NS6detail15normal_iteratorINSA_10device_ptrItEEEEPS6_NSA_18transform_iteratorINSB_9not_fun_tI7is_trueItEEENSC_INSD_IbEEEENSA_11use_defaultESO_EENS0_5tupleIJSF_S6_EEENSQ_IJSG_SG_EEES6_PlJS6_EEE10hipError_tPvRmT3_T4_T5_T6_T7_T9_mT8_P12ihipStream_tbDpT10_ENKUlT_T0_E_clISt17integral_constantIbLb1EES1D_EEDaS18_S19_EUlS18_E_NS1_11comp_targetILNS1_3genE10ELNS1_11target_archE1200ELNS1_3gpuE4ELNS1_3repE0EEENS1_30default_config_static_selectorELNS0_4arch9wavefront6targetE0EEEvT1_.num_named_barrier, 0
	.set _ZN7rocprim17ROCPRIM_400000_NS6detail17trampoline_kernelINS0_14default_configENS1_25partition_config_selectorILNS1_17partition_subalgoE5EtNS0_10empty_typeEbEEZZNS1_14partition_implILS5_5ELb0ES3_mN6thrust23THRUST_200600_302600_NS6detail15normal_iteratorINSA_10device_ptrItEEEEPS6_NSA_18transform_iteratorINSB_9not_fun_tI7is_trueItEEENSC_INSD_IbEEEENSA_11use_defaultESO_EENS0_5tupleIJSF_S6_EEENSQ_IJSG_SG_EEES6_PlJS6_EEE10hipError_tPvRmT3_T4_T5_T6_T7_T9_mT8_P12ihipStream_tbDpT10_ENKUlT_T0_E_clISt17integral_constantIbLb1EES1D_EEDaS18_S19_EUlS18_E_NS1_11comp_targetILNS1_3genE10ELNS1_11target_archE1200ELNS1_3gpuE4ELNS1_3repE0EEENS1_30default_config_static_selectorELNS0_4arch9wavefront6targetE0EEEvT1_.private_seg_size, 0
	.set _ZN7rocprim17ROCPRIM_400000_NS6detail17trampoline_kernelINS0_14default_configENS1_25partition_config_selectorILNS1_17partition_subalgoE5EtNS0_10empty_typeEbEEZZNS1_14partition_implILS5_5ELb0ES3_mN6thrust23THRUST_200600_302600_NS6detail15normal_iteratorINSA_10device_ptrItEEEEPS6_NSA_18transform_iteratorINSB_9not_fun_tI7is_trueItEEENSC_INSD_IbEEEENSA_11use_defaultESO_EENS0_5tupleIJSF_S6_EEENSQ_IJSG_SG_EEES6_PlJS6_EEE10hipError_tPvRmT3_T4_T5_T6_T7_T9_mT8_P12ihipStream_tbDpT10_ENKUlT_T0_E_clISt17integral_constantIbLb1EES1D_EEDaS18_S19_EUlS18_E_NS1_11comp_targetILNS1_3genE10ELNS1_11target_archE1200ELNS1_3gpuE4ELNS1_3repE0EEENS1_30default_config_static_selectorELNS0_4arch9wavefront6targetE0EEEvT1_.uses_vcc, 0
	.set _ZN7rocprim17ROCPRIM_400000_NS6detail17trampoline_kernelINS0_14default_configENS1_25partition_config_selectorILNS1_17partition_subalgoE5EtNS0_10empty_typeEbEEZZNS1_14partition_implILS5_5ELb0ES3_mN6thrust23THRUST_200600_302600_NS6detail15normal_iteratorINSA_10device_ptrItEEEEPS6_NSA_18transform_iteratorINSB_9not_fun_tI7is_trueItEEENSC_INSD_IbEEEENSA_11use_defaultESO_EENS0_5tupleIJSF_S6_EEENSQ_IJSG_SG_EEES6_PlJS6_EEE10hipError_tPvRmT3_T4_T5_T6_T7_T9_mT8_P12ihipStream_tbDpT10_ENKUlT_T0_E_clISt17integral_constantIbLb1EES1D_EEDaS18_S19_EUlS18_E_NS1_11comp_targetILNS1_3genE10ELNS1_11target_archE1200ELNS1_3gpuE4ELNS1_3repE0EEENS1_30default_config_static_selectorELNS0_4arch9wavefront6targetE0EEEvT1_.uses_flat_scratch, 0
	.set _ZN7rocprim17ROCPRIM_400000_NS6detail17trampoline_kernelINS0_14default_configENS1_25partition_config_selectorILNS1_17partition_subalgoE5EtNS0_10empty_typeEbEEZZNS1_14partition_implILS5_5ELb0ES3_mN6thrust23THRUST_200600_302600_NS6detail15normal_iteratorINSA_10device_ptrItEEEEPS6_NSA_18transform_iteratorINSB_9not_fun_tI7is_trueItEEENSC_INSD_IbEEEENSA_11use_defaultESO_EENS0_5tupleIJSF_S6_EEENSQ_IJSG_SG_EEES6_PlJS6_EEE10hipError_tPvRmT3_T4_T5_T6_T7_T9_mT8_P12ihipStream_tbDpT10_ENKUlT_T0_E_clISt17integral_constantIbLb1EES1D_EEDaS18_S19_EUlS18_E_NS1_11comp_targetILNS1_3genE10ELNS1_11target_archE1200ELNS1_3gpuE4ELNS1_3repE0EEENS1_30default_config_static_selectorELNS0_4arch9wavefront6targetE0EEEvT1_.has_dyn_sized_stack, 0
	.set _ZN7rocprim17ROCPRIM_400000_NS6detail17trampoline_kernelINS0_14default_configENS1_25partition_config_selectorILNS1_17partition_subalgoE5EtNS0_10empty_typeEbEEZZNS1_14partition_implILS5_5ELb0ES3_mN6thrust23THRUST_200600_302600_NS6detail15normal_iteratorINSA_10device_ptrItEEEEPS6_NSA_18transform_iteratorINSB_9not_fun_tI7is_trueItEEENSC_INSD_IbEEEENSA_11use_defaultESO_EENS0_5tupleIJSF_S6_EEENSQ_IJSG_SG_EEES6_PlJS6_EEE10hipError_tPvRmT3_T4_T5_T6_T7_T9_mT8_P12ihipStream_tbDpT10_ENKUlT_T0_E_clISt17integral_constantIbLb1EES1D_EEDaS18_S19_EUlS18_E_NS1_11comp_targetILNS1_3genE10ELNS1_11target_archE1200ELNS1_3gpuE4ELNS1_3repE0EEENS1_30default_config_static_selectorELNS0_4arch9wavefront6targetE0EEEvT1_.has_recursion, 0
	.set _ZN7rocprim17ROCPRIM_400000_NS6detail17trampoline_kernelINS0_14default_configENS1_25partition_config_selectorILNS1_17partition_subalgoE5EtNS0_10empty_typeEbEEZZNS1_14partition_implILS5_5ELb0ES3_mN6thrust23THRUST_200600_302600_NS6detail15normal_iteratorINSA_10device_ptrItEEEEPS6_NSA_18transform_iteratorINSB_9not_fun_tI7is_trueItEEENSC_INSD_IbEEEENSA_11use_defaultESO_EENS0_5tupleIJSF_S6_EEENSQ_IJSG_SG_EEES6_PlJS6_EEE10hipError_tPvRmT3_T4_T5_T6_T7_T9_mT8_P12ihipStream_tbDpT10_ENKUlT_T0_E_clISt17integral_constantIbLb1EES1D_EEDaS18_S19_EUlS18_E_NS1_11comp_targetILNS1_3genE10ELNS1_11target_archE1200ELNS1_3gpuE4ELNS1_3repE0EEENS1_30default_config_static_selectorELNS0_4arch9wavefront6targetE0EEEvT1_.has_indirect_call, 0
	.section	.AMDGPU.csdata,"",@progbits
; Kernel info:
; codeLenInByte = 4
; TotalNumSgprs: 0
; NumVgprs: 0
; ScratchSize: 0
; MemoryBound: 0
; FloatMode: 240
; IeeeMode: 1
; LDSByteSize: 0 bytes/workgroup (compile time only)
; SGPRBlocks: 0
; VGPRBlocks: 0
; NumSGPRsForWavesPerEU: 1
; NumVGPRsForWavesPerEU: 1
; Occupancy: 16
; WaveLimiterHint : 0
; COMPUTE_PGM_RSRC2:SCRATCH_EN: 0
; COMPUTE_PGM_RSRC2:USER_SGPR: 2
; COMPUTE_PGM_RSRC2:TRAP_HANDLER: 0
; COMPUTE_PGM_RSRC2:TGID_X_EN: 1
; COMPUTE_PGM_RSRC2:TGID_Y_EN: 0
; COMPUTE_PGM_RSRC2:TGID_Z_EN: 0
; COMPUTE_PGM_RSRC2:TIDIG_COMP_CNT: 0
	.section	.text._ZN7rocprim17ROCPRIM_400000_NS6detail17trampoline_kernelINS0_14default_configENS1_25partition_config_selectorILNS1_17partition_subalgoE5EtNS0_10empty_typeEbEEZZNS1_14partition_implILS5_5ELb0ES3_mN6thrust23THRUST_200600_302600_NS6detail15normal_iteratorINSA_10device_ptrItEEEEPS6_NSA_18transform_iteratorINSB_9not_fun_tI7is_trueItEEENSC_INSD_IbEEEENSA_11use_defaultESO_EENS0_5tupleIJSF_S6_EEENSQ_IJSG_SG_EEES6_PlJS6_EEE10hipError_tPvRmT3_T4_T5_T6_T7_T9_mT8_P12ihipStream_tbDpT10_ENKUlT_T0_E_clISt17integral_constantIbLb1EES1D_EEDaS18_S19_EUlS18_E_NS1_11comp_targetILNS1_3genE9ELNS1_11target_archE1100ELNS1_3gpuE3ELNS1_3repE0EEENS1_30default_config_static_selectorELNS0_4arch9wavefront6targetE0EEEvT1_,"axG",@progbits,_ZN7rocprim17ROCPRIM_400000_NS6detail17trampoline_kernelINS0_14default_configENS1_25partition_config_selectorILNS1_17partition_subalgoE5EtNS0_10empty_typeEbEEZZNS1_14partition_implILS5_5ELb0ES3_mN6thrust23THRUST_200600_302600_NS6detail15normal_iteratorINSA_10device_ptrItEEEEPS6_NSA_18transform_iteratorINSB_9not_fun_tI7is_trueItEEENSC_INSD_IbEEEENSA_11use_defaultESO_EENS0_5tupleIJSF_S6_EEENSQ_IJSG_SG_EEES6_PlJS6_EEE10hipError_tPvRmT3_T4_T5_T6_T7_T9_mT8_P12ihipStream_tbDpT10_ENKUlT_T0_E_clISt17integral_constantIbLb1EES1D_EEDaS18_S19_EUlS18_E_NS1_11comp_targetILNS1_3genE9ELNS1_11target_archE1100ELNS1_3gpuE3ELNS1_3repE0EEENS1_30default_config_static_selectorELNS0_4arch9wavefront6targetE0EEEvT1_,comdat
	.protected	_ZN7rocprim17ROCPRIM_400000_NS6detail17trampoline_kernelINS0_14default_configENS1_25partition_config_selectorILNS1_17partition_subalgoE5EtNS0_10empty_typeEbEEZZNS1_14partition_implILS5_5ELb0ES3_mN6thrust23THRUST_200600_302600_NS6detail15normal_iteratorINSA_10device_ptrItEEEEPS6_NSA_18transform_iteratorINSB_9not_fun_tI7is_trueItEEENSC_INSD_IbEEEENSA_11use_defaultESO_EENS0_5tupleIJSF_S6_EEENSQ_IJSG_SG_EEES6_PlJS6_EEE10hipError_tPvRmT3_T4_T5_T6_T7_T9_mT8_P12ihipStream_tbDpT10_ENKUlT_T0_E_clISt17integral_constantIbLb1EES1D_EEDaS18_S19_EUlS18_E_NS1_11comp_targetILNS1_3genE9ELNS1_11target_archE1100ELNS1_3gpuE3ELNS1_3repE0EEENS1_30default_config_static_selectorELNS0_4arch9wavefront6targetE0EEEvT1_ ; -- Begin function _ZN7rocprim17ROCPRIM_400000_NS6detail17trampoline_kernelINS0_14default_configENS1_25partition_config_selectorILNS1_17partition_subalgoE5EtNS0_10empty_typeEbEEZZNS1_14partition_implILS5_5ELb0ES3_mN6thrust23THRUST_200600_302600_NS6detail15normal_iteratorINSA_10device_ptrItEEEEPS6_NSA_18transform_iteratorINSB_9not_fun_tI7is_trueItEEENSC_INSD_IbEEEENSA_11use_defaultESO_EENS0_5tupleIJSF_S6_EEENSQ_IJSG_SG_EEES6_PlJS6_EEE10hipError_tPvRmT3_T4_T5_T6_T7_T9_mT8_P12ihipStream_tbDpT10_ENKUlT_T0_E_clISt17integral_constantIbLb1EES1D_EEDaS18_S19_EUlS18_E_NS1_11comp_targetILNS1_3genE9ELNS1_11target_archE1100ELNS1_3gpuE3ELNS1_3repE0EEENS1_30default_config_static_selectorELNS0_4arch9wavefront6targetE0EEEvT1_
	.globl	_ZN7rocprim17ROCPRIM_400000_NS6detail17trampoline_kernelINS0_14default_configENS1_25partition_config_selectorILNS1_17partition_subalgoE5EtNS0_10empty_typeEbEEZZNS1_14partition_implILS5_5ELb0ES3_mN6thrust23THRUST_200600_302600_NS6detail15normal_iteratorINSA_10device_ptrItEEEEPS6_NSA_18transform_iteratorINSB_9not_fun_tI7is_trueItEEENSC_INSD_IbEEEENSA_11use_defaultESO_EENS0_5tupleIJSF_S6_EEENSQ_IJSG_SG_EEES6_PlJS6_EEE10hipError_tPvRmT3_T4_T5_T6_T7_T9_mT8_P12ihipStream_tbDpT10_ENKUlT_T0_E_clISt17integral_constantIbLb1EES1D_EEDaS18_S19_EUlS18_E_NS1_11comp_targetILNS1_3genE9ELNS1_11target_archE1100ELNS1_3gpuE3ELNS1_3repE0EEENS1_30default_config_static_selectorELNS0_4arch9wavefront6targetE0EEEvT1_
	.p2align	8
	.type	_ZN7rocprim17ROCPRIM_400000_NS6detail17trampoline_kernelINS0_14default_configENS1_25partition_config_selectorILNS1_17partition_subalgoE5EtNS0_10empty_typeEbEEZZNS1_14partition_implILS5_5ELb0ES3_mN6thrust23THRUST_200600_302600_NS6detail15normal_iteratorINSA_10device_ptrItEEEEPS6_NSA_18transform_iteratorINSB_9not_fun_tI7is_trueItEEENSC_INSD_IbEEEENSA_11use_defaultESO_EENS0_5tupleIJSF_S6_EEENSQ_IJSG_SG_EEES6_PlJS6_EEE10hipError_tPvRmT3_T4_T5_T6_T7_T9_mT8_P12ihipStream_tbDpT10_ENKUlT_T0_E_clISt17integral_constantIbLb1EES1D_EEDaS18_S19_EUlS18_E_NS1_11comp_targetILNS1_3genE9ELNS1_11target_archE1100ELNS1_3gpuE3ELNS1_3repE0EEENS1_30default_config_static_selectorELNS0_4arch9wavefront6targetE0EEEvT1_,@function
_ZN7rocprim17ROCPRIM_400000_NS6detail17trampoline_kernelINS0_14default_configENS1_25partition_config_selectorILNS1_17partition_subalgoE5EtNS0_10empty_typeEbEEZZNS1_14partition_implILS5_5ELb0ES3_mN6thrust23THRUST_200600_302600_NS6detail15normal_iteratorINSA_10device_ptrItEEEEPS6_NSA_18transform_iteratorINSB_9not_fun_tI7is_trueItEEENSC_INSD_IbEEEENSA_11use_defaultESO_EENS0_5tupleIJSF_S6_EEENSQ_IJSG_SG_EEES6_PlJS6_EEE10hipError_tPvRmT3_T4_T5_T6_T7_T9_mT8_P12ihipStream_tbDpT10_ENKUlT_T0_E_clISt17integral_constantIbLb1EES1D_EEDaS18_S19_EUlS18_E_NS1_11comp_targetILNS1_3genE9ELNS1_11target_archE1100ELNS1_3gpuE3ELNS1_3repE0EEENS1_30default_config_static_selectorELNS0_4arch9wavefront6targetE0EEEvT1_: ; @_ZN7rocprim17ROCPRIM_400000_NS6detail17trampoline_kernelINS0_14default_configENS1_25partition_config_selectorILNS1_17partition_subalgoE5EtNS0_10empty_typeEbEEZZNS1_14partition_implILS5_5ELb0ES3_mN6thrust23THRUST_200600_302600_NS6detail15normal_iteratorINSA_10device_ptrItEEEEPS6_NSA_18transform_iteratorINSB_9not_fun_tI7is_trueItEEENSC_INSD_IbEEEENSA_11use_defaultESO_EENS0_5tupleIJSF_S6_EEENSQ_IJSG_SG_EEES6_PlJS6_EEE10hipError_tPvRmT3_T4_T5_T6_T7_T9_mT8_P12ihipStream_tbDpT10_ENKUlT_T0_E_clISt17integral_constantIbLb1EES1D_EEDaS18_S19_EUlS18_E_NS1_11comp_targetILNS1_3genE9ELNS1_11target_archE1100ELNS1_3gpuE3ELNS1_3repE0EEENS1_30default_config_static_selectorELNS0_4arch9wavefront6targetE0EEEvT1_
; %bb.0:
	.section	.rodata,"a",@progbits
	.p2align	6, 0x0
	.amdhsa_kernel _ZN7rocprim17ROCPRIM_400000_NS6detail17trampoline_kernelINS0_14default_configENS1_25partition_config_selectorILNS1_17partition_subalgoE5EtNS0_10empty_typeEbEEZZNS1_14partition_implILS5_5ELb0ES3_mN6thrust23THRUST_200600_302600_NS6detail15normal_iteratorINSA_10device_ptrItEEEEPS6_NSA_18transform_iteratorINSB_9not_fun_tI7is_trueItEEENSC_INSD_IbEEEENSA_11use_defaultESO_EENS0_5tupleIJSF_S6_EEENSQ_IJSG_SG_EEES6_PlJS6_EEE10hipError_tPvRmT3_T4_T5_T6_T7_T9_mT8_P12ihipStream_tbDpT10_ENKUlT_T0_E_clISt17integral_constantIbLb1EES1D_EEDaS18_S19_EUlS18_E_NS1_11comp_targetILNS1_3genE9ELNS1_11target_archE1100ELNS1_3gpuE3ELNS1_3repE0EEENS1_30default_config_static_selectorELNS0_4arch9wavefront6targetE0EEEvT1_
		.amdhsa_group_segment_fixed_size 0
		.amdhsa_private_segment_fixed_size 0
		.amdhsa_kernarg_size 136
		.amdhsa_user_sgpr_count 2
		.amdhsa_user_sgpr_dispatch_ptr 0
		.amdhsa_user_sgpr_queue_ptr 0
		.amdhsa_user_sgpr_kernarg_segment_ptr 1
		.amdhsa_user_sgpr_dispatch_id 0
		.amdhsa_user_sgpr_private_segment_size 0
		.amdhsa_wavefront_size32 1
		.amdhsa_uses_dynamic_stack 0
		.amdhsa_enable_private_segment 0
		.amdhsa_system_sgpr_workgroup_id_x 1
		.amdhsa_system_sgpr_workgroup_id_y 0
		.amdhsa_system_sgpr_workgroup_id_z 0
		.amdhsa_system_sgpr_workgroup_info 0
		.amdhsa_system_vgpr_workitem_id 0
		.amdhsa_next_free_vgpr 1
		.amdhsa_next_free_sgpr 1
		.amdhsa_reserve_vcc 0
		.amdhsa_float_round_mode_32 0
		.amdhsa_float_round_mode_16_64 0
		.amdhsa_float_denorm_mode_32 3
		.amdhsa_float_denorm_mode_16_64 3
		.amdhsa_fp16_overflow 0
		.amdhsa_workgroup_processor_mode 1
		.amdhsa_memory_ordered 1
		.amdhsa_forward_progress 1
		.amdhsa_inst_pref_size 0
		.amdhsa_round_robin_scheduling 0
		.amdhsa_exception_fp_ieee_invalid_op 0
		.amdhsa_exception_fp_denorm_src 0
		.amdhsa_exception_fp_ieee_div_zero 0
		.amdhsa_exception_fp_ieee_overflow 0
		.amdhsa_exception_fp_ieee_underflow 0
		.amdhsa_exception_fp_ieee_inexact 0
		.amdhsa_exception_int_div_zero 0
	.end_amdhsa_kernel
	.section	.text._ZN7rocprim17ROCPRIM_400000_NS6detail17trampoline_kernelINS0_14default_configENS1_25partition_config_selectorILNS1_17partition_subalgoE5EtNS0_10empty_typeEbEEZZNS1_14partition_implILS5_5ELb0ES3_mN6thrust23THRUST_200600_302600_NS6detail15normal_iteratorINSA_10device_ptrItEEEEPS6_NSA_18transform_iteratorINSB_9not_fun_tI7is_trueItEEENSC_INSD_IbEEEENSA_11use_defaultESO_EENS0_5tupleIJSF_S6_EEENSQ_IJSG_SG_EEES6_PlJS6_EEE10hipError_tPvRmT3_T4_T5_T6_T7_T9_mT8_P12ihipStream_tbDpT10_ENKUlT_T0_E_clISt17integral_constantIbLb1EES1D_EEDaS18_S19_EUlS18_E_NS1_11comp_targetILNS1_3genE9ELNS1_11target_archE1100ELNS1_3gpuE3ELNS1_3repE0EEENS1_30default_config_static_selectorELNS0_4arch9wavefront6targetE0EEEvT1_,"axG",@progbits,_ZN7rocprim17ROCPRIM_400000_NS6detail17trampoline_kernelINS0_14default_configENS1_25partition_config_selectorILNS1_17partition_subalgoE5EtNS0_10empty_typeEbEEZZNS1_14partition_implILS5_5ELb0ES3_mN6thrust23THRUST_200600_302600_NS6detail15normal_iteratorINSA_10device_ptrItEEEEPS6_NSA_18transform_iteratorINSB_9not_fun_tI7is_trueItEEENSC_INSD_IbEEEENSA_11use_defaultESO_EENS0_5tupleIJSF_S6_EEENSQ_IJSG_SG_EEES6_PlJS6_EEE10hipError_tPvRmT3_T4_T5_T6_T7_T9_mT8_P12ihipStream_tbDpT10_ENKUlT_T0_E_clISt17integral_constantIbLb1EES1D_EEDaS18_S19_EUlS18_E_NS1_11comp_targetILNS1_3genE9ELNS1_11target_archE1100ELNS1_3gpuE3ELNS1_3repE0EEENS1_30default_config_static_selectorELNS0_4arch9wavefront6targetE0EEEvT1_,comdat
.Lfunc_end2475:
	.size	_ZN7rocprim17ROCPRIM_400000_NS6detail17trampoline_kernelINS0_14default_configENS1_25partition_config_selectorILNS1_17partition_subalgoE5EtNS0_10empty_typeEbEEZZNS1_14partition_implILS5_5ELb0ES3_mN6thrust23THRUST_200600_302600_NS6detail15normal_iteratorINSA_10device_ptrItEEEEPS6_NSA_18transform_iteratorINSB_9not_fun_tI7is_trueItEEENSC_INSD_IbEEEENSA_11use_defaultESO_EENS0_5tupleIJSF_S6_EEENSQ_IJSG_SG_EEES6_PlJS6_EEE10hipError_tPvRmT3_T4_T5_T6_T7_T9_mT8_P12ihipStream_tbDpT10_ENKUlT_T0_E_clISt17integral_constantIbLb1EES1D_EEDaS18_S19_EUlS18_E_NS1_11comp_targetILNS1_3genE9ELNS1_11target_archE1100ELNS1_3gpuE3ELNS1_3repE0EEENS1_30default_config_static_selectorELNS0_4arch9wavefront6targetE0EEEvT1_, .Lfunc_end2475-_ZN7rocprim17ROCPRIM_400000_NS6detail17trampoline_kernelINS0_14default_configENS1_25partition_config_selectorILNS1_17partition_subalgoE5EtNS0_10empty_typeEbEEZZNS1_14partition_implILS5_5ELb0ES3_mN6thrust23THRUST_200600_302600_NS6detail15normal_iteratorINSA_10device_ptrItEEEEPS6_NSA_18transform_iteratorINSB_9not_fun_tI7is_trueItEEENSC_INSD_IbEEEENSA_11use_defaultESO_EENS0_5tupleIJSF_S6_EEENSQ_IJSG_SG_EEES6_PlJS6_EEE10hipError_tPvRmT3_T4_T5_T6_T7_T9_mT8_P12ihipStream_tbDpT10_ENKUlT_T0_E_clISt17integral_constantIbLb1EES1D_EEDaS18_S19_EUlS18_E_NS1_11comp_targetILNS1_3genE9ELNS1_11target_archE1100ELNS1_3gpuE3ELNS1_3repE0EEENS1_30default_config_static_selectorELNS0_4arch9wavefront6targetE0EEEvT1_
                                        ; -- End function
	.set _ZN7rocprim17ROCPRIM_400000_NS6detail17trampoline_kernelINS0_14default_configENS1_25partition_config_selectorILNS1_17partition_subalgoE5EtNS0_10empty_typeEbEEZZNS1_14partition_implILS5_5ELb0ES3_mN6thrust23THRUST_200600_302600_NS6detail15normal_iteratorINSA_10device_ptrItEEEEPS6_NSA_18transform_iteratorINSB_9not_fun_tI7is_trueItEEENSC_INSD_IbEEEENSA_11use_defaultESO_EENS0_5tupleIJSF_S6_EEENSQ_IJSG_SG_EEES6_PlJS6_EEE10hipError_tPvRmT3_T4_T5_T6_T7_T9_mT8_P12ihipStream_tbDpT10_ENKUlT_T0_E_clISt17integral_constantIbLb1EES1D_EEDaS18_S19_EUlS18_E_NS1_11comp_targetILNS1_3genE9ELNS1_11target_archE1100ELNS1_3gpuE3ELNS1_3repE0EEENS1_30default_config_static_selectorELNS0_4arch9wavefront6targetE0EEEvT1_.num_vgpr, 0
	.set _ZN7rocprim17ROCPRIM_400000_NS6detail17trampoline_kernelINS0_14default_configENS1_25partition_config_selectorILNS1_17partition_subalgoE5EtNS0_10empty_typeEbEEZZNS1_14partition_implILS5_5ELb0ES3_mN6thrust23THRUST_200600_302600_NS6detail15normal_iteratorINSA_10device_ptrItEEEEPS6_NSA_18transform_iteratorINSB_9not_fun_tI7is_trueItEEENSC_INSD_IbEEEENSA_11use_defaultESO_EENS0_5tupleIJSF_S6_EEENSQ_IJSG_SG_EEES6_PlJS6_EEE10hipError_tPvRmT3_T4_T5_T6_T7_T9_mT8_P12ihipStream_tbDpT10_ENKUlT_T0_E_clISt17integral_constantIbLb1EES1D_EEDaS18_S19_EUlS18_E_NS1_11comp_targetILNS1_3genE9ELNS1_11target_archE1100ELNS1_3gpuE3ELNS1_3repE0EEENS1_30default_config_static_selectorELNS0_4arch9wavefront6targetE0EEEvT1_.num_agpr, 0
	.set _ZN7rocprim17ROCPRIM_400000_NS6detail17trampoline_kernelINS0_14default_configENS1_25partition_config_selectorILNS1_17partition_subalgoE5EtNS0_10empty_typeEbEEZZNS1_14partition_implILS5_5ELb0ES3_mN6thrust23THRUST_200600_302600_NS6detail15normal_iteratorINSA_10device_ptrItEEEEPS6_NSA_18transform_iteratorINSB_9not_fun_tI7is_trueItEEENSC_INSD_IbEEEENSA_11use_defaultESO_EENS0_5tupleIJSF_S6_EEENSQ_IJSG_SG_EEES6_PlJS6_EEE10hipError_tPvRmT3_T4_T5_T6_T7_T9_mT8_P12ihipStream_tbDpT10_ENKUlT_T0_E_clISt17integral_constantIbLb1EES1D_EEDaS18_S19_EUlS18_E_NS1_11comp_targetILNS1_3genE9ELNS1_11target_archE1100ELNS1_3gpuE3ELNS1_3repE0EEENS1_30default_config_static_selectorELNS0_4arch9wavefront6targetE0EEEvT1_.numbered_sgpr, 0
	.set _ZN7rocprim17ROCPRIM_400000_NS6detail17trampoline_kernelINS0_14default_configENS1_25partition_config_selectorILNS1_17partition_subalgoE5EtNS0_10empty_typeEbEEZZNS1_14partition_implILS5_5ELb0ES3_mN6thrust23THRUST_200600_302600_NS6detail15normal_iteratorINSA_10device_ptrItEEEEPS6_NSA_18transform_iteratorINSB_9not_fun_tI7is_trueItEEENSC_INSD_IbEEEENSA_11use_defaultESO_EENS0_5tupleIJSF_S6_EEENSQ_IJSG_SG_EEES6_PlJS6_EEE10hipError_tPvRmT3_T4_T5_T6_T7_T9_mT8_P12ihipStream_tbDpT10_ENKUlT_T0_E_clISt17integral_constantIbLb1EES1D_EEDaS18_S19_EUlS18_E_NS1_11comp_targetILNS1_3genE9ELNS1_11target_archE1100ELNS1_3gpuE3ELNS1_3repE0EEENS1_30default_config_static_selectorELNS0_4arch9wavefront6targetE0EEEvT1_.num_named_barrier, 0
	.set _ZN7rocprim17ROCPRIM_400000_NS6detail17trampoline_kernelINS0_14default_configENS1_25partition_config_selectorILNS1_17partition_subalgoE5EtNS0_10empty_typeEbEEZZNS1_14partition_implILS5_5ELb0ES3_mN6thrust23THRUST_200600_302600_NS6detail15normal_iteratorINSA_10device_ptrItEEEEPS6_NSA_18transform_iteratorINSB_9not_fun_tI7is_trueItEEENSC_INSD_IbEEEENSA_11use_defaultESO_EENS0_5tupleIJSF_S6_EEENSQ_IJSG_SG_EEES6_PlJS6_EEE10hipError_tPvRmT3_T4_T5_T6_T7_T9_mT8_P12ihipStream_tbDpT10_ENKUlT_T0_E_clISt17integral_constantIbLb1EES1D_EEDaS18_S19_EUlS18_E_NS1_11comp_targetILNS1_3genE9ELNS1_11target_archE1100ELNS1_3gpuE3ELNS1_3repE0EEENS1_30default_config_static_selectorELNS0_4arch9wavefront6targetE0EEEvT1_.private_seg_size, 0
	.set _ZN7rocprim17ROCPRIM_400000_NS6detail17trampoline_kernelINS0_14default_configENS1_25partition_config_selectorILNS1_17partition_subalgoE5EtNS0_10empty_typeEbEEZZNS1_14partition_implILS5_5ELb0ES3_mN6thrust23THRUST_200600_302600_NS6detail15normal_iteratorINSA_10device_ptrItEEEEPS6_NSA_18transform_iteratorINSB_9not_fun_tI7is_trueItEEENSC_INSD_IbEEEENSA_11use_defaultESO_EENS0_5tupleIJSF_S6_EEENSQ_IJSG_SG_EEES6_PlJS6_EEE10hipError_tPvRmT3_T4_T5_T6_T7_T9_mT8_P12ihipStream_tbDpT10_ENKUlT_T0_E_clISt17integral_constantIbLb1EES1D_EEDaS18_S19_EUlS18_E_NS1_11comp_targetILNS1_3genE9ELNS1_11target_archE1100ELNS1_3gpuE3ELNS1_3repE0EEENS1_30default_config_static_selectorELNS0_4arch9wavefront6targetE0EEEvT1_.uses_vcc, 0
	.set _ZN7rocprim17ROCPRIM_400000_NS6detail17trampoline_kernelINS0_14default_configENS1_25partition_config_selectorILNS1_17partition_subalgoE5EtNS0_10empty_typeEbEEZZNS1_14partition_implILS5_5ELb0ES3_mN6thrust23THRUST_200600_302600_NS6detail15normal_iteratorINSA_10device_ptrItEEEEPS6_NSA_18transform_iteratorINSB_9not_fun_tI7is_trueItEEENSC_INSD_IbEEEENSA_11use_defaultESO_EENS0_5tupleIJSF_S6_EEENSQ_IJSG_SG_EEES6_PlJS6_EEE10hipError_tPvRmT3_T4_T5_T6_T7_T9_mT8_P12ihipStream_tbDpT10_ENKUlT_T0_E_clISt17integral_constantIbLb1EES1D_EEDaS18_S19_EUlS18_E_NS1_11comp_targetILNS1_3genE9ELNS1_11target_archE1100ELNS1_3gpuE3ELNS1_3repE0EEENS1_30default_config_static_selectorELNS0_4arch9wavefront6targetE0EEEvT1_.uses_flat_scratch, 0
	.set _ZN7rocprim17ROCPRIM_400000_NS6detail17trampoline_kernelINS0_14default_configENS1_25partition_config_selectorILNS1_17partition_subalgoE5EtNS0_10empty_typeEbEEZZNS1_14partition_implILS5_5ELb0ES3_mN6thrust23THRUST_200600_302600_NS6detail15normal_iteratorINSA_10device_ptrItEEEEPS6_NSA_18transform_iteratorINSB_9not_fun_tI7is_trueItEEENSC_INSD_IbEEEENSA_11use_defaultESO_EENS0_5tupleIJSF_S6_EEENSQ_IJSG_SG_EEES6_PlJS6_EEE10hipError_tPvRmT3_T4_T5_T6_T7_T9_mT8_P12ihipStream_tbDpT10_ENKUlT_T0_E_clISt17integral_constantIbLb1EES1D_EEDaS18_S19_EUlS18_E_NS1_11comp_targetILNS1_3genE9ELNS1_11target_archE1100ELNS1_3gpuE3ELNS1_3repE0EEENS1_30default_config_static_selectorELNS0_4arch9wavefront6targetE0EEEvT1_.has_dyn_sized_stack, 0
	.set _ZN7rocprim17ROCPRIM_400000_NS6detail17trampoline_kernelINS0_14default_configENS1_25partition_config_selectorILNS1_17partition_subalgoE5EtNS0_10empty_typeEbEEZZNS1_14partition_implILS5_5ELb0ES3_mN6thrust23THRUST_200600_302600_NS6detail15normal_iteratorINSA_10device_ptrItEEEEPS6_NSA_18transform_iteratorINSB_9not_fun_tI7is_trueItEEENSC_INSD_IbEEEENSA_11use_defaultESO_EENS0_5tupleIJSF_S6_EEENSQ_IJSG_SG_EEES6_PlJS6_EEE10hipError_tPvRmT3_T4_T5_T6_T7_T9_mT8_P12ihipStream_tbDpT10_ENKUlT_T0_E_clISt17integral_constantIbLb1EES1D_EEDaS18_S19_EUlS18_E_NS1_11comp_targetILNS1_3genE9ELNS1_11target_archE1100ELNS1_3gpuE3ELNS1_3repE0EEENS1_30default_config_static_selectorELNS0_4arch9wavefront6targetE0EEEvT1_.has_recursion, 0
	.set _ZN7rocprim17ROCPRIM_400000_NS6detail17trampoline_kernelINS0_14default_configENS1_25partition_config_selectorILNS1_17partition_subalgoE5EtNS0_10empty_typeEbEEZZNS1_14partition_implILS5_5ELb0ES3_mN6thrust23THRUST_200600_302600_NS6detail15normal_iteratorINSA_10device_ptrItEEEEPS6_NSA_18transform_iteratorINSB_9not_fun_tI7is_trueItEEENSC_INSD_IbEEEENSA_11use_defaultESO_EENS0_5tupleIJSF_S6_EEENSQ_IJSG_SG_EEES6_PlJS6_EEE10hipError_tPvRmT3_T4_T5_T6_T7_T9_mT8_P12ihipStream_tbDpT10_ENKUlT_T0_E_clISt17integral_constantIbLb1EES1D_EEDaS18_S19_EUlS18_E_NS1_11comp_targetILNS1_3genE9ELNS1_11target_archE1100ELNS1_3gpuE3ELNS1_3repE0EEENS1_30default_config_static_selectorELNS0_4arch9wavefront6targetE0EEEvT1_.has_indirect_call, 0
	.section	.AMDGPU.csdata,"",@progbits
; Kernel info:
; codeLenInByte = 0
; TotalNumSgprs: 0
; NumVgprs: 0
; ScratchSize: 0
; MemoryBound: 0
; FloatMode: 240
; IeeeMode: 1
; LDSByteSize: 0 bytes/workgroup (compile time only)
; SGPRBlocks: 0
; VGPRBlocks: 0
; NumSGPRsForWavesPerEU: 1
; NumVGPRsForWavesPerEU: 1
; Occupancy: 16
; WaveLimiterHint : 0
; COMPUTE_PGM_RSRC2:SCRATCH_EN: 0
; COMPUTE_PGM_RSRC2:USER_SGPR: 2
; COMPUTE_PGM_RSRC2:TRAP_HANDLER: 0
; COMPUTE_PGM_RSRC2:TGID_X_EN: 1
; COMPUTE_PGM_RSRC2:TGID_Y_EN: 0
; COMPUTE_PGM_RSRC2:TGID_Z_EN: 0
; COMPUTE_PGM_RSRC2:TIDIG_COMP_CNT: 0
	.section	.text._ZN7rocprim17ROCPRIM_400000_NS6detail17trampoline_kernelINS0_14default_configENS1_25partition_config_selectorILNS1_17partition_subalgoE5EtNS0_10empty_typeEbEEZZNS1_14partition_implILS5_5ELb0ES3_mN6thrust23THRUST_200600_302600_NS6detail15normal_iteratorINSA_10device_ptrItEEEEPS6_NSA_18transform_iteratorINSB_9not_fun_tI7is_trueItEEENSC_INSD_IbEEEENSA_11use_defaultESO_EENS0_5tupleIJSF_S6_EEENSQ_IJSG_SG_EEES6_PlJS6_EEE10hipError_tPvRmT3_T4_T5_T6_T7_T9_mT8_P12ihipStream_tbDpT10_ENKUlT_T0_E_clISt17integral_constantIbLb1EES1D_EEDaS18_S19_EUlS18_E_NS1_11comp_targetILNS1_3genE8ELNS1_11target_archE1030ELNS1_3gpuE2ELNS1_3repE0EEENS1_30default_config_static_selectorELNS0_4arch9wavefront6targetE0EEEvT1_,"axG",@progbits,_ZN7rocprim17ROCPRIM_400000_NS6detail17trampoline_kernelINS0_14default_configENS1_25partition_config_selectorILNS1_17partition_subalgoE5EtNS0_10empty_typeEbEEZZNS1_14partition_implILS5_5ELb0ES3_mN6thrust23THRUST_200600_302600_NS6detail15normal_iteratorINSA_10device_ptrItEEEEPS6_NSA_18transform_iteratorINSB_9not_fun_tI7is_trueItEEENSC_INSD_IbEEEENSA_11use_defaultESO_EENS0_5tupleIJSF_S6_EEENSQ_IJSG_SG_EEES6_PlJS6_EEE10hipError_tPvRmT3_T4_T5_T6_T7_T9_mT8_P12ihipStream_tbDpT10_ENKUlT_T0_E_clISt17integral_constantIbLb1EES1D_EEDaS18_S19_EUlS18_E_NS1_11comp_targetILNS1_3genE8ELNS1_11target_archE1030ELNS1_3gpuE2ELNS1_3repE0EEENS1_30default_config_static_selectorELNS0_4arch9wavefront6targetE0EEEvT1_,comdat
	.protected	_ZN7rocprim17ROCPRIM_400000_NS6detail17trampoline_kernelINS0_14default_configENS1_25partition_config_selectorILNS1_17partition_subalgoE5EtNS0_10empty_typeEbEEZZNS1_14partition_implILS5_5ELb0ES3_mN6thrust23THRUST_200600_302600_NS6detail15normal_iteratorINSA_10device_ptrItEEEEPS6_NSA_18transform_iteratorINSB_9not_fun_tI7is_trueItEEENSC_INSD_IbEEEENSA_11use_defaultESO_EENS0_5tupleIJSF_S6_EEENSQ_IJSG_SG_EEES6_PlJS6_EEE10hipError_tPvRmT3_T4_T5_T6_T7_T9_mT8_P12ihipStream_tbDpT10_ENKUlT_T0_E_clISt17integral_constantIbLb1EES1D_EEDaS18_S19_EUlS18_E_NS1_11comp_targetILNS1_3genE8ELNS1_11target_archE1030ELNS1_3gpuE2ELNS1_3repE0EEENS1_30default_config_static_selectorELNS0_4arch9wavefront6targetE0EEEvT1_ ; -- Begin function _ZN7rocprim17ROCPRIM_400000_NS6detail17trampoline_kernelINS0_14default_configENS1_25partition_config_selectorILNS1_17partition_subalgoE5EtNS0_10empty_typeEbEEZZNS1_14partition_implILS5_5ELb0ES3_mN6thrust23THRUST_200600_302600_NS6detail15normal_iteratorINSA_10device_ptrItEEEEPS6_NSA_18transform_iteratorINSB_9not_fun_tI7is_trueItEEENSC_INSD_IbEEEENSA_11use_defaultESO_EENS0_5tupleIJSF_S6_EEENSQ_IJSG_SG_EEES6_PlJS6_EEE10hipError_tPvRmT3_T4_T5_T6_T7_T9_mT8_P12ihipStream_tbDpT10_ENKUlT_T0_E_clISt17integral_constantIbLb1EES1D_EEDaS18_S19_EUlS18_E_NS1_11comp_targetILNS1_3genE8ELNS1_11target_archE1030ELNS1_3gpuE2ELNS1_3repE0EEENS1_30default_config_static_selectorELNS0_4arch9wavefront6targetE0EEEvT1_
	.globl	_ZN7rocprim17ROCPRIM_400000_NS6detail17trampoline_kernelINS0_14default_configENS1_25partition_config_selectorILNS1_17partition_subalgoE5EtNS0_10empty_typeEbEEZZNS1_14partition_implILS5_5ELb0ES3_mN6thrust23THRUST_200600_302600_NS6detail15normal_iteratorINSA_10device_ptrItEEEEPS6_NSA_18transform_iteratorINSB_9not_fun_tI7is_trueItEEENSC_INSD_IbEEEENSA_11use_defaultESO_EENS0_5tupleIJSF_S6_EEENSQ_IJSG_SG_EEES6_PlJS6_EEE10hipError_tPvRmT3_T4_T5_T6_T7_T9_mT8_P12ihipStream_tbDpT10_ENKUlT_T0_E_clISt17integral_constantIbLb1EES1D_EEDaS18_S19_EUlS18_E_NS1_11comp_targetILNS1_3genE8ELNS1_11target_archE1030ELNS1_3gpuE2ELNS1_3repE0EEENS1_30default_config_static_selectorELNS0_4arch9wavefront6targetE0EEEvT1_
	.p2align	8
	.type	_ZN7rocprim17ROCPRIM_400000_NS6detail17trampoline_kernelINS0_14default_configENS1_25partition_config_selectorILNS1_17partition_subalgoE5EtNS0_10empty_typeEbEEZZNS1_14partition_implILS5_5ELb0ES3_mN6thrust23THRUST_200600_302600_NS6detail15normal_iteratorINSA_10device_ptrItEEEEPS6_NSA_18transform_iteratorINSB_9not_fun_tI7is_trueItEEENSC_INSD_IbEEEENSA_11use_defaultESO_EENS0_5tupleIJSF_S6_EEENSQ_IJSG_SG_EEES6_PlJS6_EEE10hipError_tPvRmT3_T4_T5_T6_T7_T9_mT8_P12ihipStream_tbDpT10_ENKUlT_T0_E_clISt17integral_constantIbLb1EES1D_EEDaS18_S19_EUlS18_E_NS1_11comp_targetILNS1_3genE8ELNS1_11target_archE1030ELNS1_3gpuE2ELNS1_3repE0EEENS1_30default_config_static_selectorELNS0_4arch9wavefront6targetE0EEEvT1_,@function
_ZN7rocprim17ROCPRIM_400000_NS6detail17trampoline_kernelINS0_14default_configENS1_25partition_config_selectorILNS1_17partition_subalgoE5EtNS0_10empty_typeEbEEZZNS1_14partition_implILS5_5ELb0ES3_mN6thrust23THRUST_200600_302600_NS6detail15normal_iteratorINSA_10device_ptrItEEEEPS6_NSA_18transform_iteratorINSB_9not_fun_tI7is_trueItEEENSC_INSD_IbEEEENSA_11use_defaultESO_EENS0_5tupleIJSF_S6_EEENSQ_IJSG_SG_EEES6_PlJS6_EEE10hipError_tPvRmT3_T4_T5_T6_T7_T9_mT8_P12ihipStream_tbDpT10_ENKUlT_T0_E_clISt17integral_constantIbLb1EES1D_EEDaS18_S19_EUlS18_E_NS1_11comp_targetILNS1_3genE8ELNS1_11target_archE1030ELNS1_3gpuE2ELNS1_3repE0EEENS1_30default_config_static_selectorELNS0_4arch9wavefront6targetE0EEEvT1_: ; @_ZN7rocprim17ROCPRIM_400000_NS6detail17trampoline_kernelINS0_14default_configENS1_25partition_config_selectorILNS1_17partition_subalgoE5EtNS0_10empty_typeEbEEZZNS1_14partition_implILS5_5ELb0ES3_mN6thrust23THRUST_200600_302600_NS6detail15normal_iteratorINSA_10device_ptrItEEEEPS6_NSA_18transform_iteratorINSB_9not_fun_tI7is_trueItEEENSC_INSD_IbEEEENSA_11use_defaultESO_EENS0_5tupleIJSF_S6_EEENSQ_IJSG_SG_EEES6_PlJS6_EEE10hipError_tPvRmT3_T4_T5_T6_T7_T9_mT8_P12ihipStream_tbDpT10_ENKUlT_T0_E_clISt17integral_constantIbLb1EES1D_EEDaS18_S19_EUlS18_E_NS1_11comp_targetILNS1_3genE8ELNS1_11target_archE1030ELNS1_3gpuE2ELNS1_3repE0EEENS1_30default_config_static_selectorELNS0_4arch9wavefront6targetE0EEEvT1_
; %bb.0:
	.section	.rodata,"a",@progbits
	.p2align	6, 0x0
	.amdhsa_kernel _ZN7rocprim17ROCPRIM_400000_NS6detail17trampoline_kernelINS0_14default_configENS1_25partition_config_selectorILNS1_17partition_subalgoE5EtNS0_10empty_typeEbEEZZNS1_14partition_implILS5_5ELb0ES3_mN6thrust23THRUST_200600_302600_NS6detail15normal_iteratorINSA_10device_ptrItEEEEPS6_NSA_18transform_iteratorINSB_9not_fun_tI7is_trueItEEENSC_INSD_IbEEEENSA_11use_defaultESO_EENS0_5tupleIJSF_S6_EEENSQ_IJSG_SG_EEES6_PlJS6_EEE10hipError_tPvRmT3_T4_T5_T6_T7_T9_mT8_P12ihipStream_tbDpT10_ENKUlT_T0_E_clISt17integral_constantIbLb1EES1D_EEDaS18_S19_EUlS18_E_NS1_11comp_targetILNS1_3genE8ELNS1_11target_archE1030ELNS1_3gpuE2ELNS1_3repE0EEENS1_30default_config_static_selectorELNS0_4arch9wavefront6targetE0EEEvT1_
		.amdhsa_group_segment_fixed_size 0
		.amdhsa_private_segment_fixed_size 0
		.amdhsa_kernarg_size 136
		.amdhsa_user_sgpr_count 2
		.amdhsa_user_sgpr_dispatch_ptr 0
		.amdhsa_user_sgpr_queue_ptr 0
		.amdhsa_user_sgpr_kernarg_segment_ptr 1
		.amdhsa_user_sgpr_dispatch_id 0
		.amdhsa_user_sgpr_private_segment_size 0
		.amdhsa_wavefront_size32 1
		.amdhsa_uses_dynamic_stack 0
		.amdhsa_enable_private_segment 0
		.amdhsa_system_sgpr_workgroup_id_x 1
		.amdhsa_system_sgpr_workgroup_id_y 0
		.amdhsa_system_sgpr_workgroup_id_z 0
		.amdhsa_system_sgpr_workgroup_info 0
		.amdhsa_system_vgpr_workitem_id 0
		.amdhsa_next_free_vgpr 1
		.amdhsa_next_free_sgpr 1
		.amdhsa_reserve_vcc 0
		.amdhsa_float_round_mode_32 0
		.amdhsa_float_round_mode_16_64 0
		.amdhsa_float_denorm_mode_32 3
		.amdhsa_float_denorm_mode_16_64 3
		.amdhsa_fp16_overflow 0
		.amdhsa_workgroup_processor_mode 1
		.amdhsa_memory_ordered 1
		.amdhsa_forward_progress 1
		.amdhsa_inst_pref_size 0
		.amdhsa_round_robin_scheduling 0
		.amdhsa_exception_fp_ieee_invalid_op 0
		.amdhsa_exception_fp_denorm_src 0
		.amdhsa_exception_fp_ieee_div_zero 0
		.amdhsa_exception_fp_ieee_overflow 0
		.amdhsa_exception_fp_ieee_underflow 0
		.amdhsa_exception_fp_ieee_inexact 0
		.amdhsa_exception_int_div_zero 0
	.end_amdhsa_kernel
	.section	.text._ZN7rocprim17ROCPRIM_400000_NS6detail17trampoline_kernelINS0_14default_configENS1_25partition_config_selectorILNS1_17partition_subalgoE5EtNS0_10empty_typeEbEEZZNS1_14partition_implILS5_5ELb0ES3_mN6thrust23THRUST_200600_302600_NS6detail15normal_iteratorINSA_10device_ptrItEEEEPS6_NSA_18transform_iteratorINSB_9not_fun_tI7is_trueItEEENSC_INSD_IbEEEENSA_11use_defaultESO_EENS0_5tupleIJSF_S6_EEENSQ_IJSG_SG_EEES6_PlJS6_EEE10hipError_tPvRmT3_T4_T5_T6_T7_T9_mT8_P12ihipStream_tbDpT10_ENKUlT_T0_E_clISt17integral_constantIbLb1EES1D_EEDaS18_S19_EUlS18_E_NS1_11comp_targetILNS1_3genE8ELNS1_11target_archE1030ELNS1_3gpuE2ELNS1_3repE0EEENS1_30default_config_static_selectorELNS0_4arch9wavefront6targetE0EEEvT1_,"axG",@progbits,_ZN7rocprim17ROCPRIM_400000_NS6detail17trampoline_kernelINS0_14default_configENS1_25partition_config_selectorILNS1_17partition_subalgoE5EtNS0_10empty_typeEbEEZZNS1_14partition_implILS5_5ELb0ES3_mN6thrust23THRUST_200600_302600_NS6detail15normal_iteratorINSA_10device_ptrItEEEEPS6_NSA_18transform_iteratorINSB_9not_fun_tI7is_trueItEEENSC_INSD_IbEEEENSA_11use_defaultESO_EENS0_5tupleIJSF_S6_EEENSQ_IJSG_SG_EEES6_PlJS6_EEE10hipError_tPvRmT3_T4_T5_T6_T7_T9_mT8_P12ihipStream_tbDpT10_ENKUlT_T0_E_clISt17integral_constantIbLb1EES1D_EEDaS18_S19_EUlS18_E_NS1_11comp_targetILNS1_3genE8ELNS1_11target_archE1030ELNS1_3gpuE2ELNS1_3repE0EEENS1_30default_config_static_selectorELNS0_4arch9wavefront6targetE0EEEvT1_,comdat
.Lfunc_end2476:
	.size	_ZN7rocprim17ROCPRIM_400000_NS6detail17trampoline_kernelINS0_14default_configENS1_25partition_config_selectorILNS1_17partition_subalgoE5EtNS0_10empty_typeEbEEZZNS1_14partition_implILS5_5ELb0ES3_mN6thrust23THRUST_200600_302600_NS6detail15normal_iteratorINSA_10device_ptrItEEEEPS6_NSA_18transform_iteratorINSB_9not_fun_tI7is_trueItEEENSC_INSD_IbEEEENSA_11use_defaultESO_EENS0_5tupleIJSF_S6_EEENSQ_IJSG_SG_EEES6_PlJS6_EEE10hipError_tPvRmT3_T4_T5_T6_T7_T9_mT8_P12ihipStream_tbDpT10_ENKUlT_T0_E_clISt17integral_constantIbLb1EES1D_EEDaS18_S19_EUlS18_E_NS1_11comp_targetILNS1_3genE8ELNS1_11target_archE1030ELNS1_3gpuE2ELNS1_3repE0EEENS1_30default_config_static_selectorELNS0_4arch9wavefront6targetE0EEEvT1_, .Lfunc_end2476-_ZN7rocprim17ROCPRIM_400000_NS6detail17trampoline_kernelINS0_14default_configENS1_25partition_config_selectorILNS1_17partition_subalgoE5EtNS0_10empty_typeEbEEZZNS1_14partition_implILS5_5ELb0ES3_mN6thrust23THRUST_200600_302600_NS6detail15normal_iteratorINSA_10device_ptrItEEEEPS6_NSA_18transform_iteratorINSB_9not_fun_tI7is_trueItEEENSC_INSD_IbEEEENSA_11use_defaultESO_EENS0_5tupleIJSF_S6_EEENSQ_IJSG_SG_EEES6_PlJS6_EEE10hipError_tPvRmT3_T4_T5_T6_T7_T9_mT8_P12ihipStream_tbDpT10_ENKUlT_T0_E_clISt17integral_constantIbLb1EES1D_EEDaS18_S19_EUlS18_E_NS1_11comp_targetILNS1_3genE8ELNS1_11target_archE1030ELNS1_3gpuE2ELNS1_3repE0EEENS1_30default_config_static_selectorELNS0_4arch9wavefront6targetE0EEEvT1_
                                        ; -- End function
	.set _ZN7rocprim17ROCPRIM_400000_NS6detail17trampoline_kernelINS0_14default_configENS1_25partition_config_selectorILNS1_17partition_subalgoE5EtNS0_10empty_typeEbEEZZNS1_14partition_implILS5_5ELb0ES3_mN6thrust23THRUST_200600_302600_NS6detail15normal_iteratorINSA_10device_ptrItEEEEPS6_NSA_18transform_iteratorINSB_9not_fun_tI7is_trueItEEENSC_INSD_IbEEEENSA_11use_defaultESO_EENS0_5tupleIJSF_S6_EEENSQ_IJSG_SG_EEES6_PlJS6_EEE10hipError_tPvRmT3_T4_T5_T6_T7_T9_mT8_P12ihipStream_tbDpT10_ENKUlT_T0_E_clISt17integral_constantIbLb1EES1D_EEDaS18_S19_EUlS18_E_NS1_11comp_targetILNS1_3genE8ELNS1_11target_archE1030ELNS1_3gpuE2ELNS1_3repE0EEENS1_30default_config_static_selectorELNS0_4arch9wavefront6targetE0EEEvT1_.num_vgpr, 0
	.set _ZN7rocprim17ROCPRIM_400000_NS6detail17trampoline_kernelINS0_14default_configENS1_25partition_config_selectorILNS1_17partition_subalgoE5EtNS0_10empty_typeEbEEZZNS1_14partition_implILS5_5ELb0ES3_mN6thrust23THRUST_200600_302600_NS6detail15normal_iteratorINSA_10device_ptrItEEEEPS6_NSA_18transform_iteratorINSB_9not_fun_tI7is_trueItEEENSC_INSD_IbEEEENSA_11use_defaultESO_EENS0_5tupleIJSF_S6_EEENSQ_IJSG_SG_EEES6_PlJS6_EEE10hipError_tPvRmT3_T4_T5_T6_T7_T9_mT8_P12ihipStream_tbDpT10_ENKUlT_T0_E_clISt17integral_constantIbLb1EES1D_EEDaS18_S19_EUlS18_E_NS1_11comp_targetILNS1_3genE8ELNS1_11target_archE1030ELNS1_3gpuE2ELNS1_3repE0EEENS1_30default_config_static_selectorELNS0_4arch9wavefront6targetE0EEEvT1_.num_agpr, 0
	.set _ZN7rocprim17ROCPRIM_400000_NS6detail17trampoline_kernelINS0_14default_configENS1_25partition_config_selectorILNS1_17partition_subalgoE5EtNS0_10empty_typeEbEEZZNS1_14partition_implILS5_5ELb0ES3_mN6thrust23THRUST_200600_302600_NS6detail15normal_iteratorINSA_10device_ptrItEEEEPS6_NSA_18transform_iteratorINSB_9not_fun_tI7is_trueItEEENSC_INSD_IbEEEENSA_11use_defaultESO_EENS0_5tupleIJSF_S6_EEENSQ_IJSG_SG_EEES6_PlJS6_EEE10hipError_tPvRmT3_T4_T5_T6_T7_T9_mT8_P12ihipStream_tbDpT10_ENKUlT_T0_E_clISt17integral_constantIbLb1EES1D_EEDaS18_S19_EUlS18_E_NS1_11comp_targetILNS1_3genE8ELNS1_11target_archE1030ELNS1_3gpuE2ELNS1_3repE0EEENS1_30default_config_static_selectorELNS0_4arch9wavefront6targetE0EEEvT1_.numbered_sgpr, 0
	.set _ZN7rocprim17ROCPRIM_400000_NS6detail17trampoline_kernelINS0_14default_configENS1_25partition_config_selectorILNS1_17partition_subalgoE5EtNS0_10empty_typeEbEEZZNS1_14partition_implILS5_5ELb0ES3_mN6thrust23THRUST_200600_302600_NS6detail15normal_iteratorINSA_10device_ptrItEEEEPS6_NSA_18transform_iteratorINSB_9not_fun_tI7is_trueItEEENSC_INSD_IbEEEENSA_11use_defaultESO_EENS0_5tupleIJSF_S6_EEENSQ_IJSG_SG_EEES6_PlJS6_EEE10hipError_tPvRmT3_T4_T5_T6_T7_T9_mT8_P12ihipStream_tbDpT10_ENKUlT_T0_E_clISt17integral_constantIbLb1EES1D_EEDaS18_S19_EUlS18_E_NS1_11comp_targetILNS1_3genE8ELNS1_11target_archE1030ELNS1_3gpuE2ELNS1_3repE0EEENS1_30default_config_static_selectorELNS0_4arch9wavefront6targetE0EEEvT1_.num_named_barrier, 0
	.set _ZN7rocprim17ROCPRIM_400000_NS6detail17trampoline_kernelINS0_14default_configENS1_25partition_config_selectorILNS1_17partition_subalgoE5EtNS0_10empty_typeEbEEZZNS1_14partition_implILS5_5ELb0ES3_mN6thrust23THRUST_200600_302600_NS6detail15normal_iteratorINSA_10device_ptrItEEEEPS6_NSA_18transform_iteratorINSB_9not_fun_tI7is_trueItEEENSC_INSD_IbEEEENSA_11use_defaultESO_EENS0_5tupleIJSF_S6_EEENSQ_IJSG_SG_EEES6_PlJS6_EEE10hipError_tPvRmT3_T4_T5_T6_T7_T9_mT8_P12ihipStream_tbDpT10_ENKUlT_T0_E_clISt17integral_constantIbLb1EES1D_EEDaS18_S19_EUlS18_E_NS1_11comp_targetILNS1_3genE8ELNS1_11target_archE1030ELNS1_3gpuE2ELNS1_3repE0EEENS1_30default_config_static_selectorELNS0_4arch9wavefront6targetE0EEEvT1_.private_seg_size, 0
	.set _ZN7rocprim17ROCPRIM_400000_NS6detail17trampoline_kernelINS0_14default_configENS1_25partition_config_selectorILNS1_17partition_subalgoE5EtNS0_10empty_typeEbEEZZNS1_14partition_implILS5_5ELb0ES3_mN6thrust23THRUST_200600_302600_NS6detail15normal_iteratorINSA_10device_ptrItEEEEPS6_NSA_18transform_iteratorINSB_9not_fun_tI7is_trueItEEENSC_INSD_IbEEEENSA_11use_defaultESO_EENS0_5tupleIJSF_S6_EEENSQ_IJSG_SG_EEES6_PlJS6_EEE10hipError_tPvRmT3_T4_T5_T6_T7_T9_mT8_P12ihipStream_tbDpT10_ENKUlT_T0_E_clISt17integral_constantIbLb1EES1D_EEDaS18_S19_EUlS18_E_NS1_11comp_targetILNS1_3genE8ELNS1_11target_archE1030ELNS1_3gpuE2ELNS1_3repE0EEENS1_30default_config_static_selectorELNS0_4arch9wavefront6targetE0EEEvT1_.uses_vcc, 0
	.set _ZN7rocprim17ROCPRIM_400000_NS6detail17trampoline_kernelINS0_14default_configENS1_25partition_config_selectorILNS1_17partition_subalgoE5EtNS0_10empty_typeEbEEZZNS1_14partition_implILS5_5ELb0ES3_mN6thrust23THRUST_200600_302600_NS6detail15normal_iteratorINSA_10device_ptrItEEEEPS6_NSA_18transform_iteratorINSB_9not_fun_tI7is_trueItEEENSC_INSD_IbEEEENSA_11use_defaultESO_EENS0_5tupleIJSF_S6_EEENSQ_IJSG_SG_EEES6_PlJS6_EEE10hipError_tPvRmT3_T4_T5_T6_T7_T9_mT8_P12ihipStream_tbDpT10_ENKUlT_T0_E_clISt17integral_constantIbLb1EES1D_EEDaS18_S19_EUlS18_E_NS1_11comp_targetILNS1_3genE8ELNS1_11target_archE1030ELNS1_3gpuE2ELNS1_3repE0EEENS1_30default_config_static_selectorELNS0_4arch9wavefront6targetE0EEEvT1_.uses_flat_scratch, 0
	.set _ZN7rocprim17ROCPRIM_400000_NS6detail17trampoline_kernelINS0_14default_configENS1_25partition_config_selectorILNS1_17partition_subalgoE5EtNS0_10empty_typeEbEEZZNS1_14partition_implILS5_5ELb0ES3_mN6thrust23THRUST_200600_302600_NS6detail15normal_iteratorINSA_10device_ptrItEEEEPS6_NSA_18transform_iteratorINSB_9not_fun_tI7is_trueItEEENSC_INSD_IbEEEENSA_11use_defaultESO_EENS0_5tupleIJSF_S6_EEENSQ_IJSG_SG_EEES6_PlJS6_EEE10hipError_tPvRmT3_T4_T5_T6_T7_T9_mT8_P12ihipStream_tbDpT10_ENKUlT_T0_E_clISt17integral_constantIbLb1EES1D_EEDaS18_S19_EUlS18_E_NS1_11comp_targetILNS1_3genE8ELNS1_11target_archE1030ELNS1_3gpuE2ELNS1_3repE0EEENS1_30default_config_static_selectorELNS0_4arch9wavefront6targetE0EEEvT1_.has_dyn_sized_stack, 0
	.set _ZN7rocprim17ROCPRIM_400000_NS6detail17trampoline_kernelINS0_14default_configENS1_25partition_config_selectorILNS1_17partition_subalgoE5EtNS0_10empty_typeEbEEZZNS1_14partition_implILS5_5ELb0ES3_mN6thrust23THRUST_200600_302600_NS6detail15normal_iteratorINSA_10device_ptrItEEEEPS6_NSA_18transform_iteratorINSB_9not_fun_tI7is_trueItEEENSC_INSD_IbEEEENSA_11use_defaultESO_EENS0_5tupleIJSF_S6_EEENSQ_IJSG_SG_EEES6_PlJS6_EEE10hipError_tPvRmT3_T4_T5_T6_T7_T9_mT8_P12ihipStream_tbDpT10_ENKUlT_T0_E_clISt17integral_constantIbLb1EES1D_EEDaS18_S19_EUlS18_E_NS1_11comp_targetILNS1_3genE8ELNS1_11target_archE1030ELNS1_3gpuE2ELNS1_3repE0EEENS1_30default_config_static_selectorELNS0_4arch9wavefront6targetE0EEEvT1_.has_recursion, 0
	.set _ZN7rocprim17ROCPRIM_400000_NS6detail17trampoline_kernelINS0_14default_configENS1_25partition_config_selectorILNS1_17partition_subalgoE5EtNS0_10empty_typeEbEEZZNS1_14partition_implILS5_5ELb0ES3_mN6thrust23THRUST_200600_302600_NS6detail15normal_iteratorINSA_10device_ptrItEEEEPS6_NSA_18transform_iteratorINSB_9not_fun_tI7is_trueItEEENSC_INSD_IbEEEENSA_11use_defaultESO_EENS0_5tupleIJSF_S6_EEENSQ_IJSG_SG_EEES6_PlJS6_EEE10hipError_tPvRmT3_T4_T5_T6_T7_T9_mT8_P12ihipStream_tbDpT10_ENKUlT_T0_E_clISt17integral_constantIbLb1EES1D_EEDaS18_S19_EUlS18_E_NS1_11comp_targetILNS1_3genE8ELNS1_11target_archE1030ELNS1_3gpuE2ELNS1_3repE0EEENS1_30default_config_static_selectorELNS0_4arch9wavefront6targetE0EEEvT1_.has_indirect_call, 0
	.section	.AMDGPU.csdata,"",@progbits
; Kernel info:
; codeLenInByte = 0
; TotalNumSgprs: 0
; NumVgprs: 0
; ScratchSize: 0
; MemoryBound: 0
; FloatMode: 240
; IeeeMode: 1
; LDSByteSize: 0 bytes/workgroup (compile time only)
; SGPRBlocks: 0
; VGPRBlocks: 0
; NumSGPRsForWavesPerEU: 1
; NumVGPRsForWavesPerEU: 1
; Occupancy: 16
; WaveLimiterHint : 0
; COMPUTE_PGM_RSRC2:SCRATCH_EN: 0
; COMPUTE_PGM_RSRC2:USER_SGPR: 2
; COMPUTE_PGM_RSRC2:TRAP_HANDLER: 0
; COMPUTE_PGM_RSRC2:TGID_X_EN: 1
; COMPUTE_PGM_RSRC2:TGID_Y_EN: 0
; COMPUTE_PGM_RSRC2:TGID_Z_EN: 0
; COMPUTE_PGM_RSRC2:TIDIG_COMP_CNT: 0
	.section	.text._ZN7rocprim17ROCPRIM_400000_NS6detail17trampoline_kernelINS0_14default_configENS1_25partition_config_selectorILNS1_17partition_subalgoE5EtNS0_10empty_typeEbEEZZNS1_14partition_implILS5_5ELb0ES3_mN6thrust23THRUST_200600_302600_NS6detail15normal_iteratorINSA_10device_ptrItEEEEPS6_NSA_18transform_iteratorINSB_9not_fun_tI7is_trueItEEENSC_INSD_IbEEEENSA_11use_defaultESO_EENS0_5tupleIJSF_S6_EEENSQ_IJSG_SG_EEES6_PlJS6_EEE10hipError_tPvRmT3_T4_T5_T6_T7_T9_mT8_P12ihipStream_tbDpT10_ENKUlT_T0_E_clISt17integral_constantIbLb1EES1C_IbLb0EEEEDaS18_S19_EUlS18_E_NS1_11comp_targetILNS1_3genE0ELNS1_11target_archE4294967295ELNS1_3gpuE0ELNS1_3repE0EEENS1_30default_config_static_selectorELNS0_4arch9wavefront6targetE0EEEvT1_,"axG",@progbits,_ZN7rocprim17ROCPRIM_400000_NS6detail17trampoline_kernelINS0_14default_configENS1_25partition_config_selectorILNS1_17partition_subalgoE5EtNS0_10empty_typeEbEEZZNS1_14partition_implILS5_5ELb0ES3_mN6thrust23THRUST_200600_302600_NS6detail15normal_iteratorINSA_10device_ptrItEEEEPS6_NSA_18transform_iteratorINSB_9not_fun_tI7is_trueItEEENSC_INSD_IbEEEENSA_11use_defaultESO_EENS0_5tupleIJSF_S6_EEENSQ_IJSG_SG_EEES6_PlJS6_EEE10hipError_tPvRmT3_T4_T5_T6_T7_T9_mT8_P12ihipStream_tbDpT10_ENKUlT_T0_E_clISt17integral_constantIbLb1EES1C_IbLb0EEEEDaS18_S19_EUlS18_E_NS1_11comp_targetILNS1_3genE0ELNS1_11target_archE4294967295ELNS1_3gpuE0ELNS1_3repE0EEENS1_30default_config_static_selectorELNS0_4arch9wavefront6targetE0EEEvT1_,comdat
	.protected	_ZN7rocprim17ROCPRIM_400000_NS6detail17trampoline_kernelINS0_14default_configENS1_25partition_config_selectorILNS1_17partition_subalgoE5EtNS0_10empty_typeEbEEZZNS1_14partition_implILS5_5ELb0ES3_mN6thrust23THRUST_200600_302600_NS6detail15normal_iteratorINSA_10device_ptrItEEEEPS6_NSA_18transform_iteratorINSB_9not_fun_tI7is_trueItEEENSC_INSD_IbEEEENSA_11use_defaultESO_EENS0_5tupleIJSF_S6_EEENSQ_IJSG_SG_EEES6_PlJS6_EEE10hipError_tPvRmT3_T4_T5_T6_T7_T9_mT8_P12ihipStream_tbDpT10_ENKUlT_T0_E_clISt17integral_constantIbLb1EES1C_IbLb0EEEEDaS18_S19_EUlS18_E_NS1_11comp_targetILNS1_3genE0ELNS1_11target_archE4294967295ELNS1_3gpuE0ELNS1_3repE0EEENS1_30default_config_static_selectorELNS0_4arch9wavefront6targetE0EEEvT1_ ; -- Begin function _ZN7rocprim17ROCPRIM_400000_NS6detail17trampoline_kernelINS0_14default_configENS1_25partition_config_selectorILNS1_17partition_subalgoE5EtNS0_10empty_typeEbEEZZNS1_14partition_implILS5_5ELb0ES3_mN6thrust23THRUST_200600_302600_NS6detail15normal_iteratorINSA_10device_ptrItEEEEPS6_NSA_18transform_iteratorINSB_9not_fun_tI7is_trueItEEENSC_INSD_IbEEEENSA_11use_defaultESO_EENS0_5tupleIJSF_S6_EEENSQ_IJSG_SG_EEES6_PlJS6_EEE10hipError_tPvRmT3_T4_T5_T6_T7_T9_mT8_P12ihipStream_tbDpT10_ENKUlT_T0_E_clISt17integral_constantIbLb1EES1C_IbLb0EEEEDaS18_S19_EUlS18_E_NS1_11comp_targetILNS1_3genE0ELNS1_11target_archE4294967295ELNS1_3gpuE0ELNS1_3repE0EEENS1_30default_config_static_selectorELNS0_4arch9wavefront6targetE0EEEvT1_
	.globl	_ZN7rocprim17ROCPRIM_400000_NS6detail17trampoline_kernelINS0_14default_configENS1_25partition_config_selectorILNS1_17partition_subalgoE5EtNS0_10empty_typeEbEEZZNS1_14partition_implILS5_5ELb0ES3_mN6thrust23THRUST_200600_302600_NS6detail15normal_iteratorINSA_10device_ptrItEEEEPS6_NSA_18transform_iteratorINSB_9not_fun_tI7is_trueItEEENSC_INSD_IbEEEENSA_11use_defaultESO_EENS0_5tupleIJSF_S6_EEENSQ_IJSG_SG_EEES6_PlJS6_EEE10hipError_tPvRmT3_T4_T5_T6_T7_T9_mT8_P12ihipStream_tbDpT10_ENKUlT_T0_E_clISt17integral_constantIbLb1EES1C_IbLb0EEEEDaS18_S19_EUlS18_E_NS1_11comp_targetILNS1_3genE0ELNS1_11target_archE4294967295ELNS1_3gpuE0ELNS1_3repE0EEENS1_30default_config_static_selectorELNS0_4arch9wavefront6targetE0EEEvT1_
	.p2align	8
	.type	_ZN7rocprim17ROCPRIM_400000_NS6detail17trampoline_kernelINS0_14default_configENS1_25partition_config_selectorILNS1_17partition_subalgoE5EtNS0_10empty_typeEbEEZZNS1_14partition_implILS5_5ELb0ES3_mN6thrust23THRUST_200600_302600_NS6detail15normal_iteratorINSA_10device_ptrItEEEEPS6_NSA_18transform_iteratorINSB_9not_fun_tI7is_trueItEEENSC_INSD_IbEEEENSA_11use_defaultESO_EENS0_5tupleIJSF_S6_EEENSQ_IJSG_SG_EEES6_PlJS6_EEE10hipError_tPvRmT3_T4_T5_T6_T7_T9_mT8_P12ihipStream_tbDpT10_ENKUlT_T0_E_clISt17integral_constantIbLb1EES1C_IbLb0EEEEDaS18_S19_EUlS18_E_NS1_11comp_targetILNS1_3genE0ELNS1_11target_archE4294967295ELNS1_3gpuE0ELNS1_3repE0EEENS1_30default_config_static_selectorELNS0_4arch9wavefront6targetE0EEEvT1_,@function
_ZN7rocprim17ROCPRIM_400000_NS6detail17trampoline_kernelINS0_14default_configENS1_25partition_config_selectorILNS1_17partition_subalgoE5EtNS0_10empty_typeEbEEZZNS1_14partition_implILS5_5ELb0ES3_mN6thrust23THRUST_200600_302600_NS6detail15normal_iteratorINSA_10device_ptrItEEEEPS6_NSA_18transform_iteratorINSB_9not_fun_tI7is_trueItEEENSC_INSD_IbEEEENSA_11use_defaultESO_EENS0_5tupleIJSF_S6_EEENSQ_IJSG_SG_EEES6_PlJS6_EEE10hipError_tPvRmT3_T4_T5_T6_T7_T9_mT8_P12ihipStream_tbDpT10_ENKUlT_T0_E_clISt17integral_constantIbLb1EES1C_IbLb0EEEEDaS18_S19_EUlS18_E_NS1_11comp_targetILNS1_3genE0ELNS1_11target_archE4294967295ELNS1_3gpuE0ELNS1_3repE0EEENS1_30default_config_static_selectorELNS0_4arch9wavefront6targetE0EEEvT1_: ; @_ZN7rocprim17ROCPRIM_400000_NS6detail17trampoline_kernelINS0_14default_configENS1_25partition_config_selectorILNS1_17partition_subalgoE5EtNS0_10empty_typeEbEEZZNS1_14partition_implILS5_5ELb0ES3_mN6thrust23THRUST_200600_302600_NS6detail15normal_iteratorINSA_10device_ptrItEEEEPS6_NSA_18transform_iteratorINSB_9not_fun_tI7is_trueItEEENSC_INSD_IbEEEENSA_11use_defaultESO_EENS0_5tupleIJSF_S6_EEENSQ_IJSG_SG_EEES6_PlJS6_EEE10hipError_tPvRmT3_T4_T5_T6_T7_T9_mT8_P12ihipStream_tbDpT10_ENKUlT_T0_E_clISt17integral_constantIbLb1EES1C_IbLb0EEEEDaS18_S19_EUlS18_E_NS1_11comp_targetILNS1_3genE0ELNS1_11target_archE4294967295ELNS1_3gpuE0ELNS1_3repE0EEENS1_30default_config_static_selectorELNS0_4arch9wavefront6targetE0EEEvT1_
; %bb.0:
	.section	.rodata,"a",@progbits
	.p2align	6, 0x0
	.amdhsa_kernel _ZN7rocprim17ROCPRIM_400000_NS6detail17trampoline_kernelINS0_14default_configENS1_25partition_config_selectorILNS1_17partition_subalgoE5EtNS0_10empty_typeEbEEZZNS1_14partition_implILS5_5ELb0ES3_mN6thrust23THRUST_200600_302600_NS6detail15normal_iteratorINSA_10device_ptrItEEEEPS6_NSA_18transform_iteratorINSB_9not_fun_tI7is_trueItEEENSC_INSD_IbEEEENSA_11use_defaultESO_EENS0_5tupleIJSF_S6_EEENSQ_IJSG_SG_EEES6_PlJS6_EEE10hipError_tPvRmT3_T4_T5_T6_T7_T9_mT8_P12ihipStream_tbDpT10_ENKUlT_T0_E_clISt17integral_constantIbLb1EES1C_IbLb0EEEEDaS18_S19_EUlS18_E_NS1_11comp_targetILNS1_3genE0ELNS1_11target_archE4294967295ELNS1_3gpuE0ELNS1_3repE0EEENS1_30default_config_static_selectorELNS0_4arch9wavefront6targetE0EEEvT1_
		.amdhsa_group_segment_fixed_size 0
		.amdhsa_private_segment_fixed_size 0
		.amdhsa_kernarg_size 120
		.amdhsa_user_sgpr_count 2
		.amdhsa_user_sgpr_dispatch_ptr 0
		.amdhsa_user_sgpr_queue_ptr 0
		.amdhsa_user_sgpr_kernarg_segment_ptr 1
		.amdhsa_user_sgpr_dispatch_id 0
		.amdhsa_user_sgpr_private_segment_size 0
		.amdhsa_wavefront_size32 1
		.amdhsa_uses_dynamic_stack 0
		.amdhsa_enable_private_segment 0
		.amdhsa_system_sgpr_workgroup_id_x 1
		.amdhsa_system_sgpr_workgroup_id_y 0
		.amdhsa_system_sgpr_workgroup_id_z 0
		.amdhsa_system_sgpr_workgroup_info 0
		.amdhsa_system_vgpr_workitem_id 0
		.amdhsa_next_free_vgpr 1
		.amdhsa_next_free_sgpr 1
		.amdhsa_reserve_vcc 0
		.amdhsa_float_round_mode_32 0
		.amdhsa_float_round_mode_16_64 0
		.amdhsa_float_denorm_mode_32 3
		.amdhsa_float_denorm_mode_16_64 3
		.amdhsa_fp16_overflow 0
		.amdhsa_workgroup_processor_mode 1
		.amdhsa_memory_ordered 1
		.amdhsa_forward_progress 1
		.amdhsa_inst_pref_size 0
		.amdhsa_round_robin_scheduling 0
		.amdhsa_exception_fp_ieee_invalid_op 0
		.amdhsa_exception_fp_denorm_src 0
		.amdhsa_exception_fp_ieee_div_zero 0
		.amdhsa_exception_fp_ieee_overflow 0
		.amdhsa_exception_fp_ieee_underflow 0
		.amdhsa_exception_fp_ieee_inexact 0
		.amdhsa_exception_int_div_zero 0
	.end_amdhsa_kernel
	.section	.text._ZN7rocprim17ROCPRIM_400000_NS6detail17trampoline_kernelINS0_14default_configENS1_25partition_config_selectorILNS1_17partition_subalgoE5EtNS0_10empty_typeEbEEZZNS1_14partition_implILS5_5ELb0ES3_mN6thrust23THRUST_200600_302600_NS6detail15normal_iteratorINSA_10device_ptrItEEEEPS6_NSA_18transform_iteratorINSB_9not_fun_tI7is_trueItEEENSC_INSD_IbEEEENSA_11use_defaultESO_EENS0_5tupleIJSF_S6_EEENSQ_IJSG_SG_EEES6_PlJS6_EEE10hipError_tPvRmT3_T4_T5_T6_T7_T9_mT8_P12ihipStream_tbDpT10_ENKUlT_T0_E_clISt17integral_constantIbLb1EES1C_IbLb0EEEEDaS18_S19_EUlS18_E_NS1_11comp_targetILNS1_3genE0ELNS1_11target_archE4294967295ELNS1_3gpuE0ELNS1_3repE0EEENS1_30default_config_static_selectorELNS0_4arch9wavefront6targetE0EEEvT1_,"axG",@progbits,_ZN7rocprim17ROCPRIM_400000_NS6detail17trampoline_kernelINS0_14default_configENS1_25partition_config_selectorILNS1_17partition_subalgoE5EtNS0_10empty_typeEbEEZZNS1_14partition_implILS5_5ELb0ES3_mN6thrust23THRUST_200600_302600_NS6detail15normal_iteratorINSA_10device_ptrItEEEEPS6_NSA_18transform_iteratorINSB_9not_fun_tI7is_trueItEEENSC_INSD_IbEEEENSA_11use_defaultESO_EENS0_5tupleIJSF_S6_EEENSQ_IJSG_SG_EEES6_PlJS6_EEE10hipError_tPvRmT3_T4_T5_T6_T7_T9_mT8_P12ihipStream_tbDpT10_ENKUlT_T0_E_clISt17integral_constantIbLb1EES1C_IbLb0EEEEDaS18_S19_EUlS18_E_NS1_11comp_targetILNS1_3genE0ELNS1_11target_archE4294967295ELNS1_3gpuE0ELNS1_3repE0EEENS1_30default_config_static_selectorELNS0_4arch9wavefront6targetE0EEEvT1_,comdat
.Lfunc_end2477:
	.size	_ZN7rocprim17ROCPRIM_400000_NS6detail17trampoline_kernelINS0_14default_configENS1_25partition_config_selectorILNS1_17partition_subalgoE5EtNS0_10empty_typeEbEEZZNS1_14partition_implILS5_5ELb0ES3_mN6thrust23THRUST_200600_302600_NS6detail15normal_iteratorINSA_10device_ptrItEEEEPS6_NSA_18transform_iteratorINSB_9not_fun_tI7is_trueItEEENSC_INSD_IbEEEENSA_11use_defaultESO_EENS0_5tupleIJSF_S6_EEENSQ_IJSG_SG_EEES6_PlJS6_EEE10hipError_tPvRmT3_T4_T5_T6_T7_T9_mT8_P12ihipStream_tbDpT10_ENKUlT_T0_E_clISt17integral_constantIbLb1EES1C_IbLb0EEEEDaS18_S19_EUlS18_E_NS1_11comp_targetILNS1_3genE0ELNS1_11target_archE4294967295ELNS1_3gpuE0ELNS1_3repE0EEENS1_30default_config_static_selectorELNS0_4arch9wavefront6targetE0EEEvT1_, .Lfunc_end2477-_ZN7rocprim17ROCPRIM_400000_NS6detail17trampoline_kernelINS0_14default_configENS1_25partition_config_selectorILNS1_17partition_subalgoE5EtNS0_10empty_typeEbEEZZNS1_14partition_implILS5_5ELb0ES3_mN6thrust23THRUST_200600_302600_NS6detail15normal_iteratorINSA_10device_ptrItEEEEPS6_NSA_18transform_iteratorINSB_9not_fun_tI7is_trueItEEENSC_INSD_IbEEEENSA_11use_defaultESO_EENS0_5tupleIJSF_S6_EEENSQ_IJSG_SG_EEES6_PlJS6_EEE10hipError_tPvRmT3_T4_T5_T6_T7_T9_mT8_P12ihipStream_tbDpT10_ENKUlT_T0_E_clISt17integral_constantIbLb1EES1C_IbLb0EEEEDaS18_S19_EUlS18_E_NS1_11comp_targetILNS1_3genE0ELNS1_11target_archE4294967295ELNS1_3gpuE0ELNS1_3repE0EEENS1_30default_config_static_selectorELNS0_4arch9wavefront6targetE0EEEvT1_
                                        ; -- End function
	.set _ZN7rocprim17ROCPRIM_400000_NS6detail17trampoline_kernelINS0_14default_configENS1_25partition_config_selectorILNS1_17partition_subalgoE5EtNS0_10empty_typeEbEEZZNS1_14partition_implILS5_5ELb0ES3_mN6thrust23THRUST_200600_302600_NS6detail15normal_iteratorINSA_10device_ptrItEEEEPS6_NSA_18transform_iteratorINSB_9not_fun_tI7is_trueItEEENSC_INSD_IbEEEENSA_11use_defaultESO_EENS0_5tupleIJSF_S6_EEENSQ_IJSG_SG_EEES6_PlJS6_EEE10hipError_tPvRmT3_T4_T5_T6_T7_T9_mT8_P12ihipStream_tbDpT10_ENKUlT_T0_E_clISt17integral_constantIbLb1EES1C_IbLb0EEEEDaS18_S19_EUlS18_E_NS1_11comp_targetILNS1_3genE0ELNS1_11target_archE4294967295ELNS1_3gpuE0ELNS1_3repE0EEENS1_30default_config_static_selectorELNS0_4arch9wavefront6targetE0EEEvT1_.num_vgpr, 0
	.set _ZN7rocprim17ROCPRIM_400000_NS6detail17trampoline_kernelINS0_14default_configENS1_25partition_config_selectorILNS1_17partition_subalgoE5EtNS0_10empty_typeEbEEZZNS1_14partition_implILS5_5ELb0ES3_mN6thrust23THRUST_200600_302600_NS6detail15normal_iteratorINSA_10device_ptrItEEEEPS6_NSA_18transform_iteratorINSB_9not_fun_tI7is_trueItEEENSC_INSD_IbEEEENSA_11use_defaultESO_EENS0_5tupleIJSF_S6_EEENSQ_IJSG_SG_EEES6_PlJS6_EEE10hipError_tPvRmT3_T4_T5_T6_T7_T9_mT8_P12ihipStream_tbDpT10_ENKUlT_T0_E_clISt17integral_constantIbLb1EES1C_IbLb0EEEEDaS18_S19_EUlS18_E_NS1_11comp_targetILNS1_3genE0ELNS1_11target_archE4294967295ELNS1_3gpuE0ELNS1_3repE0EEENS1_30default_config_static_selectorELNS0_4arch9wavefront6targetE0EEEvT1_.num_agpr, 0
	.set _ZN7rocprim17ROCPRIM_400000_NS6detail17trampoline_kernelINS0_14default_configENS1_25partition_config_selectorILNS1_17partition_subalgoE5EtNS0_10empty_typeEbEEZZNS1_14partition_implILS5_5ELb0ES3_mN6thrust23THRUST_200600_302600_NS6detail15normal_iteratorINSA_10device_ptrItEEEEPS6_NSA_18transform_iteratorINSB_9not_fun_tI7is_trueItEEENSC_INSD_IbEEEENSA_11use_defaultESO_EENS0_5tupleIJSF_S6_EEENSQ_IJSG_SG_EEES6_PlJS6_EEE10hipError_tPvRmT3_T4_T5_T6_T7_T9_mT8_P12ihipStream_tbDpT10_ENKUlT_T0_E_clISt17integral_constantIbLb1EES1C_IbLb0EEEEDaS18_S19_EUlS18_E_NS1_11comp_targetILNS1_3genE0ELNS1_11target_archE4294967295ELNS1_3gpuE0ELNS1_3repE0EEENS1_30default_config_static_selectorELNS0_4arch9wavefront6targetE0EEEvT1_.numbered_sgpr, 0
	.set _ZN7rocprim17ROCPRIM_400000_NS6detail17trampoline_kernelINS0_14default_configENS1_25partition_config_selectorILNS1_17partition_subalgoE5EtNS0_10empty_typeEbEEZZNS1_14partition_implILS5_5ELb0ES3_mN6thrust23THRUST_200600_302600_NS6detail15normal_iteratorINSA_10device_ptrItEEEEPS6_NSA_18transform_iteratorINSB_9not_fun_tI7is_trueItEEENSC_INSD_IbEEEENSA_11use_defaultESO_EENS0_5tupleIJSF_S6_EEENSQ_IJSG_SG_EEES6_PlJS6_EEE10hipError_tPvRmT3_T4_T5_T6_T7_T9_mT8_P12ihipStream_tbDpT10_ENKUlT_T0_E_clISt17integral_constantIbLb1EES1C_IbLb0EEEEDaS18_S19_EUlS18_E_NS1_11comp_targetILNS1_3genE0ELNS1_11target_archE4294967295ELNS1_3gpuE0ELNS1_3repE0EEENS1_30default_config_static_selectorELNS0_4arch9wavefront6targetE0EEEvT1_.num_named_barrier, 0
	.set _ZN7rocprim17ROCPRIM_400000_NS6detail17trampoline_kernelINS0_14default_configENS1_25partition_config_selectorILNS1_17partition_subalgoE5EtNS0_10empty_typeEbEEZZNS1_14partition_implILS5_5ELb0ES3_mN6thrust23THRUST_200600_302600_NS6detail15normal_iteratorINSA_10device_ptrItEEEEPS6_NSA_18transform_iteratorINSB_9not_fun_tI7is_trueItEEENSC_INSD_IbEEEENSA_11use_defaultESO_EENS0_5tupleIJSF_S6_EEENSQ_IJSG_SG_EEES6_PlJS6_EEE10hipError_tPvRmT3_T4_T5_T6_T7_T9_mT8_P12ihipStream_tbDpT10_ENKUlT_T0_E_clISt17integral_constantIbLb1EES1C_IbLb0EEEEDaS18_S19_EUlS18_E_NS1_11comp_targetILNS1_3genE0ELNS1_11target_archE4294967295ELNS1_3gpuE0ELNS1_3repE0EEENS1_30default_config_static_selectorELNS0_4arch9wavefront6targetE0EEEvT1_.private_seg_size, 0
	.set _ZN7rocprim17ROCPRIM_400000_NS6detail17trampoline_kernelINS0_14default_configENS1_25partition_config_selectorILNS1_17partition_subalgoE5EtNS0_10empty_typeEbEEZZNS1_14partition_implILS5_5ELb0ES3_mN6thrust23THRUST_200600_302600_NS6detail15normal_iteratorINSA_10device_ptrItEEEEPS6_NSA_18transform_iteratorINSB_9not_fun_tI7is_trueItEEENSC_INSD_IbEEEENSA_11use_defaultESO_EENS0_5tupleIJSF_S6_EEENSQ_IJSG_SG_EEES6_PlJS6_EEE10hipError_tPvRmT3_T4_T5_T6_T7_T9_mT8_P12ihipStream_tbDpT10_ENKUlT_T0_E_clISt17integral_constantIbLb1EES1C_IbLb0EEEEDaS18_S19_EUlS18_E_NS1_11comp_targetILNS1_3genE0ELNS1_11target_archE4294967295ELNS1_3gpuE0ELNS1_3repE0EEENS1_30default_config_static_selectorELNS0_4arch9wavefront6targetE0EEEvT1_.uses_vcc, 0
	.set _ZN7rocprim17ROCPRIM_400000_NS6detail17trampoline_kernelINS0_14default_configENS1_25partition_config_selectorILNS1_17partition_subalgoE5EtNS0_10empty_typeEbEEZZNS1_14partition_implILS5_5ELb0ES3_mN6thrust23THRUST_200600_302600_NS6detail15normal_iteratorINSA_10device_ptrItEEEEPS6_NSA_18transform_iteratorINSB_9not_fun_tI7is_trueItEEENSC_INSD_IbEEEENSA_11use_defaultESO_EENS0_5tupleIJSF_S6_EEENSQ_IJSG_SG_EEES6_PlJS6_EEE10hipError_tPvRmT3_T4_T5_T6_T7_T9_mT8_P12ihipStream_tbDpT10_ENKUlT_T0_E_clISt17integral_constantIbLb1EES1C_IbLb0EEEEDaS18_S19_EUlS18_E_NS1_11comp_targetILNS1_3genE0ELNS1_11target_archE4294967295ELNS1_3gpuE0ELNS1_3repE0EEENS1_30default_config_static_selectorELNS0_4arch9wavefront6targetE0EEEvT1_.uses_flat_scratch, 0
	.set _ZN7rocprim17ROCPRIM_400000_NS6detail17trampoline_kernelINS0_14default_configENS1_25partition_config_selectorILNS1_17partition_subalgoE5EtNS0_10empty_typeEbEEZZNS1_14partition_implILS5_5ELb0ES3_mN6thrust23THRUST_200600_302600_NS6detail15normal_iteratorINSA_10device_ptrItEEEEPS6_NSA_18transform_iteratorINSB_9not_fun_tI7is_trueItEEENSC_INSD_IbEEEENSA_11use_defaultESO_EENS0_5tupleIJSF_S6_EEENSQ_IJSG_SG_EEES6_PlJS6_EEE10hipError_tPvRmT3_T4_T5_T6_T7_T9_mT8_P12ihipStream_tbDpT10_ENKUlT_T0_E_clISt17integral_constantIbLb1EES1C_IbLb0EEEEDaS18_S19_EUlS18_E_NS1_11comp_targetILNS1_3genE0ELNS1_11target_archE4294967295ELNS1_3gpuE0ELNS1_3repE0EEENS1_30default_config_static_selectorELNS0_4arch9wavefront6targetE0EEEvT1_.has_dyn_sized_stack, 0
	.set _ZN7rocprim17ROCPRIM_400000_NS6detail17trampoline_kernelINS0_14default_configENS1_25partition_config_selectorILNS1_17partition_subalgoE5EtNS0_10empty_typeEbEEZZNS1_14partition_implILS5_5ELb0ES3_mN6thrust23THRUST_200600_302600_NS6detail15normal_iteratorINSA_10device_ptrItEEEEPS6_NSA_18transform_iteratorINSB_9not_fun_tI7is_trueItEEENSC_INSD_IbEEEENSA_11use_defaultESO_EENS0_5tupleIJSF_S6_EEENSQ_IJSG_SG_EEES6_PlJS6_EEE10hipError_tPvRmT3_T4_T5_T6_T7_T9_mT8_P12ihipStream_tbDpT10_ENKUlT_T0_E_clISt17integral_constantIbLb1EES1C_IbLb0EEEEDaS18_S19_EUlS18_E_NS1_11comp_targetILNS1_3genE0ELNS1_11target_archE4294967295ELNS1_3gpuE0ELNS1_3repE0EEENS1_30default_config_static_selectorELNS0_4arch9wavefront6targetE0EEEvT1_.has_recursion, 0
	.set _ZN7rocprim17ROCPRIM_400000_NS6detail17trampoline_kernelINS0_14default_configENS1_25partition_config_selectorILNS1_17partition_subalgoE5EtNS0_10empty_typeEbEEZZNS1_14partition_implILS5_5ELb0ES3_mN6thrust23THRUST_200600_302600_NS6detail15normal_iteratorINSA_10device_ptrItEEEEPS6_NSA_18transform_iteratorINSB_9not_fun_tI7is_trueItEEENSC_INSD_IbEEEENSA_11use_defaultESO_EENS0_5tupleIJSF_S6_EEENSQ_IJSG_SG_EEES6_PlJS6_EEE10hipError_tPvRmT3_T4_T5_T6_T7_T9_mT8_P12ihipStream_tbDpT10_ENKUlT_T0_E_clISt17integral_constantIbLb1EES1C_IbLb0EEEEDaS18_S19_EUlS18_E_NS1_11comp_targetILNS1_3genE0ELNS1_11target_archE4294967295ELNS1_3gpuE0ELNS1_3repE0EEENS1_30default_config_static_selectorELNS0_4arch9wavefront6targetE0EEEvT1_.has_indirect_call, 0
	.section	.AMDGPU.csdata,"",@progbits
; Kernel info:
; codeLenInByte = 0
; TotalNumSgprs: 0
; NumVgprs: 0
; ScratchSize: 0
; MemoryBound: 0
; FloatMode: 240
; IeeeMode: 1
; LDSByteSize: 0 bytes/workgroup (compile time only)
; SGPRBlocks: 0
; VGPRBlocks: 0
; NumSGPRsForWavesPerEU: 1
; NumVGPRsForWavesPerEU: 1
; Occupancy: 16
; WaveLimiterHint : 0
; COMPUTE_PGM_RSRC2:SCRATCH_EN: 0
; COMPUTE_PGM_RSRC2:USER_SGPR: 2
; COMPUTE_PGM_RSRC2:TRAP_HANDLER: 0
; COMPUTE_PGM_RSRC2:TGID_X_EN: 1
; COMPUTE_PGM_RSRC2:TGID_Y_EN: 0
; COMPUTE_PGM_RSRC2:TGID_Z_EN: 0
; COMPUTE_PGM_RSRC2:TIDIG_COMP_CNT: 0
	.section	.text._ZN7rocprim17ROCPRIM_400000_NS6detail17trampoline_kernelINS0_14default_configENS1_25partition_config_selectorILNS1_17partition_subalgoE5EtNS0_10empty_typeEbEEZZNS1_14partition_implILS5_5ELb0ES3_mN6thrust23THRUST_200600_302600_NS6detail15normal_iteratorINSA_10device_ptrItEEEEPS6_NSA_18transform_iteratorINSB_9not_fun_tI7is_trueItEEENSC_INSD_IbEEEENSA_11use_defaultESO_EENS0_5tupleIJSF_S6_EEENSQ_IJSG_SG_EEES6_PlJS6_EEE10hipError_tPvRmT3_T4_T5_T6_T7_T9_mT8_P12ihipStream_tbDpT10_ENKUlT_T0_E_clISt17integral_constantIbLb1EES1C_IbLb0EEEEDaS18_S19_EUlS18_E_NS1_11comp_targetILNS1_3genE5ELNS1_11target_archE942ELNS1_3gpuE9ELNS1_3repE0EEENS1_30default_config_static_selectorELNS0_4arch9wavefront6targetE0EEEvT1_,"axG",@progbits,_ZN7rocprim17ROCPRIM_400000_NS6detail17trampoline_kernelINS0_14default_configENS1_25partition_config_selectorILNS1_17partition_subalgoE5EtNS0_10empty_typeEbEEZZNS1_14partition_implILS5_5ELb0ES3_mN6thrust23THRUST_200600_302600_NS6detail15normal_iteratorINSA_10device_ptrItEEEEPS6_NSA_18transform_iteratorINSB_9not_fun_tI7is_trueItEEENSC_INSD_IbEEEENSA_11use_defaultESO_EENS0_5tupleIJSF_S6_EEENSQ_IJSG_SG_EEES6_PlJS6_EEE10hipError_tPvRmT3_T4_T5_T6_T7_T9_mT8_P12ihipStream_tbDpT10_ENKUlT_T0_E_clISt17integral_constantIbLb1EES1C_IbLb0EEEEDaS18_S19_EUlS18_E_NS1_11comp_targetILNS1_3genE5ELNS1_11target_archE942ELNS1_3gpuE9ELNS1_3repE0EEENS1_30default_config_static_selectorELNS0_4arch9wavefront6targetE0EEEvT1_,comdat
	.protected	_ZN7rocprim17ROCPRIM_400000_NS6detail17trampoline_kernelINS0_14default_configENS1_25partition_config_selectorILNS1_17partition_subalgoE5EtNS0_10empty_typeEbEEZZNS1_14partition_implILS5_5ELb0ES3_mN6thrust23THRUST_200600_302600_NS6detail15normal_iteratorINSA_10device_ptrItEEEEPS6_NSA_18transform_iteratorINSB_9not_fun_tI7is_trueItEEENSC_INSD_IbEEEENSA_11use_defaultESO_EENS0_5tupleIJSF_S6_EEENSQ_IJSG_SG_EEES6_PlJS6_EEE10hipError_tPvRmT3_T4_T5_T6_T7_T9_mT8_P12ihipStream_tbDpT10_ENKUlT_T0_E_clISt17integral_constantIbLb1EES1C_IbLb0EEEEDaS18_S19_EUlS18_E_NS1_11comp_targetILNS1_3genE5ELNS1_11target_archE942ELNS1_3gpuE9ELNS1_3repE0EEENS1_30default_config_static_selectorELNS0_4arch9wavefront6targetE0EEEvT1_ ; -- Begin function _ZN7rocprim17ROCPRIM_400000_NS6detail17trampoline_kernelINS0_14default_configENS1_25partition_config_selectorILNS1_17partition_subalgoE5EtNS0_10empty_typeEbEEZZNS1_14partition_implILS5_5ELb0ES3_mN6thrust23THRUST_200600_302600_NS6detail15normal_iteratorINSA_10device_ptrItEEEEPS6_NSA_18transform_iteratorINSB_9not_fun_tI7is_trueItEEENSC_INSD_IbEEEENSA_11use_defaultESO_EENS0_5tupleIJSF_S6_EEENSQ_IJSG_SG_EEES6_PlJS6_EEE10hipError_tPvRmT3_T4_T5_T6_T7_T9_mT8_P12ihipStream_tbDpT10_ENKUlT_T0_E_clISt17integral_constantIbLb1EES1C_IbLb0EEEEDaS18_S19_EUlS18_E_NS1_11comp_targetILNS1_3genE5ELNS1_11target_archE942ELNS1_3gpuE9ELNS1_3repE0EEENS1_30default_config_static_selectorELNS0_4arch9wavefront6targetE0EEEvT1_
	.globl	_ZN7rocprim17ROCPRIM_400000_NS6detail17trampoline_kernelINS0_14default_configENS1_25partition_config_selectorILNS1_17partition_subalgoE5EtNS0_10empty_typeEbEEZZNS1_14partition_implILS5_5ELb0ES3_mN6thrust23THRUST_200600_302600_NS6detail15normal_iteratorINSA_10device_ptrItEEEEPS6_NSA_18transform_iteratorINSB_9not_fun_tI7is_trueItEEENSC_INSD_IbEEEENSA_11use_defaultESO_EENS0_5tupleIJSF_S6_EEENSQ_IJSG_SG_EEES6_PlJS6_EEE10hipError_tPvRmT3_T4_T5_T6_T7_T9_mT8_P12ihipStream_tbDpT10_ENKUlT_T0_E_clISt17integral_constantIbLb1EES1C_IbLb0EEEEDaS18_S19_EUlS18_E_NS1_11comp_targetILNS1_3genE5ELNS1_11target_archE942ELNS1_3gpuE9ELNS1_3repE0EEENS1_30default_config_static_selectorELNS0_4arch9wavefront6targetE0EEEvT1_
	.p2align	8
	.type	_ZN7rocprim17ROCPRIM_400000_NS6detail17trampoline_kernelINS0_14default_configENS1_25partition_config_selectorILNS1_17partition_subalgoE5EtNS0_10empty_typeEbEEZZNS1_14partition_implILS5_5ELb0ES3_mN6thrust23THRUST_200600_302600_NS6detail15normal_iteratorINSA_10device_ptrItEEEEPS6_NSA_18transform_iteratorINSB_9not_fun_tI7is_trueItEEENSC_INSD_IbEEEENSA_11use_defaultESO_EENS0_5tupleIJSF_S6_EEENSQ_IJSG_SG_EEES6_PlJS6_EEE10hipError_tPvRmT3_T4_T5_T6_T7_T9_mT8_P12ihipStream_tbDpT10_ENKUlT_T0_E_clISt17integral_constantIbLb1EES1C_IbLb0EEEEDaS18_S19_EUlS18_E_NS1_11comp_targetILNS1_3genE5ELNS1_11target_archE942ELNS1_3gpuE9ELNS1_3repE0EEENS1_30default_config_static_selectorELNS0_4arch9wavefront6targetE0EEEvT1_,@function
_ZN7rocprim17ROCPRIM_400000_NS6detail17trampoline_kernelINS0_14default_configENS1_25partition_config_selectorILNS1_17partition_subalgoE5EtNS0_10empty_typeEbEEZZNS1_14partition_implILS5_5ELb0ES3_mN6thrust23THRUST_200600_302600_NS6detail15normal_iteratorINSA_10device_ptrItEEEEPS6_NSA_18transform_iteratorINSB_9not_fun_tI7is_trueItEEENSC_INSD_IbEEEENSA_11use_defaultESO_EENS0_5tupleIJSF_S6_EEENSQ_IJSG_SG_EEES6_PlJS6_EEE10hipError_tPvRmT3_T4_T5_T6_T7_T9_mT8_P12ihipStream_tbDpT10_ENKUlT_T0_E_clISt17integral_constantIbLb1EES1C_IbLb0EEEEDaS18_S19_EUlS18_E_NS1_11comp_targetILNS1_3genE5ELNS1_11target_archE942ELNS1_3gpuE9ELNS1_3repE0EEENS1_30default_config_static_selectorELNS0_4arch9wavefront6targetE0EEEvT1_: ; @_ZN7rocprim17ROCPRIM_400000_NS6detail17trampoline_kernelINS0_14default_configENS1_25partition_config_selectorILNS1_17partition_subalgoE5EtNS0_10empty_typeEbEEZZNS1_14partition_implILS5_5ELb0ES3_mN6thrust23THRUST_200600_302600_NS6detail15normal_iteratorINSA_10device_ptrItEEEEPS6_NSA_18transform_iteratorINSB_9not_fun_tI7is_trueItEEENSC_INSD_IbEEEENSA_11use_defaultESO_EENS0_5tupleIJSF_S6_EEENSQ_IJSG_SG_EEES6_PlJS6_EEE10hipError_tPvRmT3_T4_T5_T6_T7_T9_mT8_P12ihipStream_tbDpT10_ENKUlT_T0_E_clISt17integral_constantIbLb1EES1C_IbLb0EEEEDaS18_S19_EUlS18_E_NS1_11comp_targetILNS1_3genE5ELNS1_11target_archE942ELNS1_3gpuE9ELNS1_3repE0EEENS1_30default_config_static_selectorELNS0_4arch9wavefront6targetE0EEEvT1_
; %bb.0:
	.section	.rodata,"a",@progbits
	.p2align	6, 0x0
	.amdhsa_kernel _ZN7rocprim17ROCPRIM_400000_NS6detail17trampoline_kernelINS0_14default_configENS1_25partition_config_selectorILNS1_17partition_subalgoE5EtNS0_10empty_typeEbEEZZNS1_14partition_implILS5_5ELb0ES3_mN6thrust23THRUST_200600_302600_NS6detail15normal_iteratorINSA_10device_ptrItEEEEPS6_NSA_18transform_iteratorINSB_9not_fun_tI7is_trueItEEENSC_INSD_IbEEEENSA_11use_defaultESO_EENS0_5tupleIJSF_S6_EEENSQ_IJSG_SG_EEES6_PlJS6_EEE10hipError_tPvRmT3_T4_T5_T6_T7_T9_mT8_P12ihipStream_tbDpT10_ENKUlT_T0_E_clISt17integral_constantIbLb1EES1C_IbLb0EEEEDaS18_S19_EUlS18_E_NS1_11comp_targetILNS1_3genE5ELNS1_11target_archE942ELNS1_3gpuE9ELNS1_3repE0EEENS1_30default_config_static_selectorELNS0_4arch9wavefront6targetE0EEEvT1_
		.amdhsa_group_segment_fixed_size 0
		.amdhsa_private_segment_fixed_size 0
		.amdhsa_kernarg_size 120
		.amdhsa_user_sgpr_count 2
		.amdhsa_user_sgpr_dispatch_ptr 0
		.amdhsa_user_sgpr_queue_ptr 0
		.amdhsa_user_sgpr_kernarg_segment_ptr 1
		.amdhsa_user_sgpr_dispatch_id 0
		.amdhsa_user_sgpr_private_segment_size 0
		.amdhsa_wavefront_size32 1
		.amdhsa_uses_dynamic_stack 0
		.amdhsa_enable_private_segment 0
		.amdhsa_system_sgpr_workgroup_id_x 1
		.amdhsa_system_sgpr_workgroup_id_y 0
		.amdhsa_system_sgpr_workgroup_id_z 0
		.amdhsa_system_sgpr_workgroup_info 0
		.amdhsa_system_vgpr_workitem_id 0
		.amdhsa_next_free_vgpr 1
		.amdhsa_next_free_sgpr 1
		.amdhsa_reserve_vcc 0
		.amdhsa_float_round_mode_32 0
		.amdhsa_float_round_mode_16_64 0
		.amdhsa_float_denorm_mode_32 3
		.amdhsa_float_denorm_mode_16_64 3
		.amdhsa_fp16_overflow 0
		.amdhsa_workgroup_processor_mode 1
		.amdhsa_memory_ordered 1
		.amdhsa_forward_progress 1
		.amdhsa_inst_pref_size 0
		.amdhsa_round_robin_scheduling 0
		.amdhsa_exception_fp_ieee_invalid_op 0
		.amdhsa_exception_fp_denorm_src 0
		.amdhsa_exception_fp_ieee_div_zero 0
		.amdhsa_exception_fp_ieee_overflow 0
		.amdhsa_exception_fp_ieee_underflow 0
		.amdhsa_exception_fp_ieee_inexact 0
		.amdhsa_exception_int_div_zero 0
	.end_amdhsa_kernel
	.section	.text._ZN7rocprim17ROCPRIM_400000_NS6detail17trampoline_kernelINS0_14default_configENS1_25partition_config_selectorILNS1_17partition_subalgoE5EtNS0_10empty_typeEbEEZZNS1_14partition_implILS5_5ELb0ES3_mN6thrust23THRUST_200600_302600_NS6detail15normal_iteratorINSA_10device_ptrItEEEEPS6_NSA_18transform_iteratorINSB_9not_fun_tI7is_trueItEEENSC_INSD_IbEEEENSA_11use_defaultESO_EENS0_5tupleIJSF_S6_EEENSQ_IJSG_SG_EEES6_PlJS6_EEE10hipError_tPvRmT3_T4_T5_T6_T7_T9_mT8_P12ihipStream_tbDpT10_ENKUlT_T0_E_clISt17integral_constantIbLb1EES1C_IbLb0EEEEDaS18_S19_EUlS18_E_NS1_11comp_targetILNS1_3genE5ELNS1_11target_archE942ELNS1_3gpuE9ELNS1_3repE0EEENS1_30default_config_static_selectorELNS0_4arch9wavefront6targetE0EEEvT1_,"axG",@progbits,_ZN7rocprim17ROCPRIM_400000_NS6detail17trampoline_kernelINS0_14default_configENS1_25partition_config_selectorILNS1_17partition_subalgoE5EtNS0_10empty_typeEbEEZZNS1_14partition_implILS5_5ELb0ES3_mN6thrust23THRUST_200600_302600_NS6detail15normal_iteratorINSA_10device_ptrItEEEEPS6_NSA_18transform_iteratorINSB_9not_fun_tI7is_trueItEEENSC_INSD_IbEEEENSA_11use_defaultESO_EENS0_5tupleIJSF_S6_EEENSQ_IJSG_SG_EEES6_PlJS6_EEE10hipError_tPvRmT3_T4_T5_T6_T7_T9_mT8_P12ihipStream_tbDpT10_ENKUlT_T0_E_clISt17integral_constantIbLb1EES1C_IbLb0EEEEDaS18_S19_EUlS18_E_NS1_11comp_targetILNS1_3genE5ELNS1_11target_archE942ELNS1_3gpuE9ELNS1_3repE0EEENS1_30default_config_static_selectorELNS0_4arch9wavefront6targetE0EEEvT1_,comdat
.Lfunc_end2478:
	.size	_ZN7rocprim17ROCPRIM_400000_NS6detail17trampoline_kernelINS0_14default_configENS1_25partition_config_selectorILNS1_17partition_subalgoE5EtNS0_10empty_typeEbEEZZNS1_14partition_implILS5_5ELb0ES3_mN6thrust23THRUST_200600_302600_NS6detail15normal_iteratorINSA_10device_ptrItEEEEPS6_NSA_18transform_iteratorINSB_9not_fun_tI7is_trueItEEENSC_INSD_IbEEEENSA_11use_defaultESO_EENS0_5tupleIJSF_S6_EEENSQ_IJSG_SG_EEES6_PlJS6_EEE10hipError_tPvRmT3_T4_T5_T6_T7_T9_mT8_P12ihipStream_tbDpT10_ENKUlT_T0_E_clISt17integral_constantIbLb1EES1C_IbLb0EEEEDaS18_S19_EUlS18_E_NS1_11comp_targetILNS1_3genE5ELNS1_11target_archE942ELNS1_3gpuE9ELNS1_3repE0EEENS1_30default_config_static_selectorELNS0_4arch9wavefront6targetE0EEEvT1_, .Lfunc_end2478-_ZN7rocprim17ROCPRIM_400000_NS6detail17trampoline_kernelINS0_14default_configENS1_25partition_config_selectorILNS1_17partition_subalgoE5EtNS0_10empty_typeEbEEZZNS1_14partition_implILS5_5ELb0ES3_mN6thrust23THRUST_200600_302600_NS6detail15normal_iteratorINSA_10device_ptrItEEEEPS6_NSA_18transform_iteratorINSB_9not_fun_tI7is_trueItEEENSC_INSD_IbEEEENSA_11use_defaultESO_EENS0_5tupleIJSF_S6_EEENSQ_IJSG_SG_EEES6_PlJS6_EEE10hipError_tPvRmT3_T4_T5_T6_T7_T9_mT8_P12ihipStream_tbDpT10_ENKUlT_T0_E_clISt17integral_constantIbLb1EES1C_IbLb0EEEEDaS18_S19_EUlS18_E_NS1_11comp_targetILNS1_3genE5ELNS1_11target_archE942ELNS1_3gpuE9ELNS1_3repE0EEENS1_30default_config_static_selectorELNS0_4arch9wavefront6targetE0EEEvT1_
                                        ; -- End function
	.set _ZN7rocprim17ROCPRIM_400000_NS6detail17trampoline_kernelINS0_14default_configENS1_25partition_config_selectorILNS1_17partition_subalgoE5EtNS0_10empty_typeEbEEZZNS1_14partition_implILS5_5ELb0ES3_mN6thrust23THRUST_200600_302600_NS6detail15normal_iteratorINSA_10device_ptrItEEEEPS6_NSA_18transform_iteratorINSB_9not_fun_tI7is_trueItEEENSC_INSD_IbEEEENSA_11use_defaultESO_EENS0_5tupleIJSF_S6_EEENSQ_IJSG_SG_EEES6_PlJS6_EEE10hipError_tPvRmT3_T4_T5_T6_T7_T9_mT8_P12ihipStream_tbDpT10_ENKUlT_T0_E_clISt17integral_constantIbLb1EES1C_IbLb0EEEEDaS18_S19_EUlS18_E_NS1_11comp_targetILNS1_3genE5ELNS1_11target_archE942ELNS1_3gpuE9ELNS1_3repE0EEENS1_30default_config_static_selectorELNS0_4arch9wavefront6targetE0EEEvT1_.num_vgpr, 0
	.set _ZN7rocprim17ROCPRIM_400000_NS6detail17trampoline_kernelINS0_14default_configENS1_25partition_config_selectorILNS1_17partition_subalgoE5EtNS0_10empty_typeEbEEZZNS1_14partition_implILS5_5ELb0ES3_mN6thrust23THRUST_200600_302600_NS6detail15normal_iteratorINSA_10device_ptrItEEEEPS6_NSA_18transform_iteratorINSB_9not_fun_tI7is_trueItEEENSC_INSD_IbEEEENSA_11use_defaultESO_EENS0_5tupleIJSF_S6_EEENSQ_IJSG_SG_EEES6_PlJS6_EEE10hipError_tPvRmT3_T4_T5_T6_T7_T9_mT8_P12ihipStream_tbDpT10_ENKUlT_T0_E_clISt17integral_constantIbLb1EES1C_IbLb0EEEEDaS18_S19_EUlS18_E_NS1_11comp_targetILNS1_3genE5ELNS1_11target_archE942ELNS1_3gpuE9ELNS1_3repE0EEENS1_30default_config_static_selectorELNS0_4arch9wavefront6targetE0EEEvT1_.num_agpr, 0
	.set _ZN7rocprim17ROCPRIM_400000_NS6detail17trampoline_kernelINS0_14default_configENS1_25partition_config_selectorILNS1_17partition_subalgoE5EtNS0_10empty_typeEbEEZZNS1_14partition_implILS5_5ELb0ES3_mN6thrust23THRUST_200600_302600_NS6detail15normal_iteratorINSA_10device_ptrItEEEEPS6_NSA_18transform_iteratorINSB_9not_fun_tI7is_trueItEEENSC_INSD_IbEEEENSA_11use_defaultESO_EENS0_5tupleIJSF_S6_EEENSQ_IJSG_SG_EEES6_PlJS6_EEE10hipError_tPvRmT3_T4_T5_T6_T7_T9_mT8_P12ihipStream_tbDpT10_ENKUlT_T0_E_clISt17integral_constantIbLb1EES1C_IbLb0EEEEDaS18_S19_EUlS18_E_NS1_11comp_targetILNS1_3genE5ELNS1_11target_archE942ELNS1_3gpuE9ELNS1_3repE0EEENS1_30default_config_static_selectorELNS0_4arch9wavefront6targetE0EEEvT1_.numbered_sgpr, 0
	.set _ZN7rocprim17ROCPRIM_400000_NS6detail17trampoline_kernelINS0_14default_configENS1_25partition_config_selectorILNS1_17partition_subalgoE5EtNS0_10empty_typeEbEEZZNS1_14partition_implILS5_5ELb0ES3_mN6thrust23THRUST_200600_302600_NS6detail15normal_iteratorINSA_10device_ptrItEEEEPS6_NSA_18transform_iteratorINSB_9not_fun_tI7is_trueItEEENSC_INSD_IbEEEENSA_11use_defaultESO_EENS0_5tupleIJSF_S6_EEENSQ_IJSG_SG_EEES6_PlJS6_EEE10hipError_tPvRmT3_T4_T5_T6_T7_T9_mT8_P12ihipStream_tbDpT10_ENKUlT_T0_E_clISt17integral_constantIbLb1EES1C_IbLb0EEEEDaS18_S19_EUlS18_E_NS1_11comp_targetILNS1_3genE5ELNS1_11target_archE942ELNS1_3gpuE9ELNS1_3repE0EEENS1_30default_config_static_selectorELNS0_4arch9wavefront6targetE0EEEvT1_.num_named_barrier, 0
	.set _ZN7rocprim17ROCPRIM_400000_NS6detail17trampoline_kernelINS0_14default_configENS1_25partition_config_selectorILNS1_17partition_subalgoE5EtNS0_10empty_typeEbEEZZNS1_14partition_implILS5_5ELb0ES3_mN6thrust23THRUST_200600_302600_NS6detail15normal_iteratorINSA_10device_ptrItEEEEPS6_NSA_18transform_iteratorINSB_9not_fun_tI7is_trueItEEENSC_INSD_IbEEEENSA_11use_defaultESO_EENS0_5tupleIJSF_S6_EEENSQ_IJSG_SG_EEES6_PlJS6_EEE10hipError_tPvRmT3_T4_T5_T6_T7_T9_mT8_P12ihipStream_tbDpT10_ENKUlT_T0_E_clISt17integral_constantIbLb1EES1C_IbLb0EEEEDaS18_S19_EUlS18_E_NS1_11comp_targetILNS1_3genE5ELNS1_11target_archE942ELNS1_3gpuE9ELNS1_3repE0EEENS1_30default_config_static_selectorELNS0_4arch9wavefront6targetE0EEEvT1_.private_seg_size, 0
	.set _ZN7rocprim17ROCPRIM_400000_NS6detail17trampoline_kernelINS0_14default_configENS1_25partition_config_selectorILNS1_17partition_subalgoE5EtNS0_10empty_typeEbEEZZNS1_14partition_implILS5_5ELb0ES3_mN6thrust23THRUST_200600_302600_NS6detail15normal_iteratorINSA_10device_ptrItEEEEPS6_NSA_18transform_iteratorINSB_9not_fun_tI7is_trueItEEENSC_INSD_IbEEEENSA_11use_defaultESO_EENS0_5tupleIJSF_S6_EEENSQ_IJSG_SG_EEES6_PlJS6_EEE10hipError_tPvRmT3_T4_T5_T6_T7_T9_mT8_P12ihipStream_tbDpT10_ENKUlT_T0_E_clISt17integral_constantIbLb1EES1C_IbLb0EEEEDaS18_S19_EUlS18_E_NS1_11comp_targetILNS1_3genE5ELNS1_11target_archE942ELNS1_3gpuE9ELNS1_3repE0EEENS1_30default_config_static_selectorELNS0_4arch9wavefront6targetE0EEEvT1_.uses_vcc, 0
	.set _ZN7rocprim17ROCPRIM_400000_NS6detail17trampoline_kernelINS0_14default_configENS1_25partition_config_selectorILNS1_17partition_subalgoE5EtNS0_10empty_typeEbEEZZNS1_14partition_implILS5_5ELb0ES3_mN6thrust23THRUST_200600_302600_NS6detail15normal_iteratorINSA_10device_ptrItEEEEPS6_NSA_18transform_iteratorINSB_9not_fun_tI7is_trueItEEENSC_INSD_IbEEEENSA_11use_defaultESO_EENS0_5tupleIJSF_S6_EEENSQ_IJSG_SG_EEES6_PlJS6_EEE10hipError_tPvRmT3_T4_T5_T6_T7_T9_mT8_P12ihipStream_tbDpT10_ENKUlT_T0_E_clISt17integral_constantIbLb1EES1C_IbLb0EEEEDaS18_S19_EUlS18_E_NS1_11comp_targetILNS1_3genE5ELNS1_11target_archE942ELNS1_3gpuE9ELNS1_3repE0EEENS1_30default_config_static_selectorELNS0_4arch9wavefront6targetE0EEEvT1_.uses_flat_scratch, 0
	.set _ZN7rocprim17ROCPRIM_400000_NS6detail17trampoline_kernelINS0_14default_configENS1_25partition_config_selectorILNS1_17partition_subalgoE5EtNS0_10empty_typeEbEEZZNS1_14partition_implILS5_5ELb0ES3_mN6thrust23THRUST_200600_302600_NS6detail15normal_iteratorINSA_10device_ptrItEEEEPS6_NSA_18transform_iteratorINSB_9not_fun_tI7is_trueItEEENSC_INSD_IbEEEENSA_11use_defaultESO_EENS0_5tupleIJSF_S6_EEENSQ_IJSG_SG_EEES6_PlJS6_EEE10hipError_tPvRmT3_T4_T5_T6_T7_T9_mT8_P12ihipStream_tbDpT10_ENKUlT_T0_E_clISt17integral_constantIbLb1EES1C_IbLb0EEEEDaS18_S19_EUlS18_E_NS1_11comp_targetILNS1_3genE5ELNS1_11target_archE942ELNS1_3gpuE9ELNS1_3repE0EEENS1_30default_config_static_selectorELNS0_4arch9wavefront6targetE0EEEvT1_.has_dyn_sized_stack, 0
	.set _ZN7rocprim17ROCPRIM_400000_NS6detail17trampoline_kernelINS0_14default_configENS1_25partition_config_selectorILNS1_17partition_subalgoE5EtNS0_10empty_typeEbEEZZNS1_14partition_implILS5_5ELb0ES3_mN6thrust23THRUST_200600_302600_NS6detail15normal_iteratorINSA_10device_ptrItEEEEPS6_NSA_18transform_iteratorINSB_9not_fun_tI7is_trueItEEENSC_INSD_IbEEEENSA_11use_defaultESO_EENS0_5tupleIJSF_S6_EEENSQ_IJSG_SG_EEES6_PlJS6_EEE10hipError_tPvRmT3_T4_T5_T6_T7_T9_mT8_P12ihipStream_tbDpT10_ENKUlT_T0_E_clISt17integral_constantIbLb1EES1C_IbLb0EEEEDaS18_S19_EUlS18_E_NS1_11comp_targetILNS1_3genE5ELNS1_11target_archE942ELNS1_3gpuE9ELNS1_3repE0EEENS1_30default_config_static_selectorELNS0_4arch9wavefront6targetE0EEEvT1_.has_recursion, 0
	.set _ZN7rocprim17ROCPRIM_400000_NS6detail17trampoline_kernelINS0_14default_configENS1_25partition_config_selectorILNS1_17partition_subalgoE5EtNS0_10empty_typeEbEEZZNS1_14partition_implILS5_5ELb0ES3_mN6thrust23THRUST_200600_302600_NS6detail15normal_iteratorINSA_10device_ptrItEEEEPS6_NSA_18transform_iteratorINSB_9not_fun_tI7is_trueItEEENSC_INSD_IbEEEENSA_11use_defaultESO_EENS0_5tupleIJSF_S6_EEENSQ_IJSG_SG_EEES6_PlJS6_EEE10hipError_tPvRmT3_T4_T5_T6_T7_T9_mT8_P12ihipStream_tbDpT10_ENKUlT_T0_E_clISt17integral_constantIbLb1EES1C_IbLb0EEEEDaS18_S19_EUlS18_E_NS1_11comp_targetILNS1_3genE5ELNS1_11target_archE942ELNS1_3gpuE9ELNS1_3repE0EEENS1_30default_config_static_selectorELNS0_4arch9wavefront6targetE0EEEvT1_.has_indirect_call, 0
	.section	.AMDGPU.csdata,"",@progbits
; Kernel info:
; codeLenInByte = 0
; TotalNumSgprs: 0
; NumVgprs: 0
; ScratchSize: 0
; MemoryBound: 0
; FloatMode: 240
; IeeeMode: 1
; LDSByteSize: 0 bytes/workgroup (compile time only)
; SGPRBlocks: 0
; VGPRBlocks: 0
; NumSGPRsForWavesPerEU: 1
; NumVGPRsForWavesPerEU: 1
; Occupancy: 16
; WaveLimiterHint : 0
; COMPUTE_PGM_RSRC2:SCRATCH_EN: 0
; COMPUTE_PGM_RSRC2:USER_SGPR: 2
; COMPUTE_PGM_RSRC2:TRAP_HANDLER: 0
; COMPUTE_PGM_RSRC2:TGID_X_EN: 1
; COMPUTE_PGM_RSRC2:TGID_Y_EN: 0
; COMPUTE_PGM_RSRC2:TGID_Z_EN: 0
; COMPUTE_PGM_RSRC2:TIDIG_COMP_CNT: 0
	.section	.text._ZN7rocprim17ROCPRIM_400000_NS6detail17trampoline_kernelINS0_14default_configENS1_25partition_config_selectorILNS1_17partition_subalgoE5EtNS0_10empty_typeEbEEZZNS1_14partition_implILS5_5ELb0ES3_mN6thrust23THRUST_200600_302600_NS6detail15normal_iteratorINSA_10device_ptrItEEEEPS6_NSA_18transform_iteratorINSB_9not_fun_tI7is_trueItEEENSC_INSD_IbEEEENSA_11use_defaultESO_EENS0_5tupleIJSF_S6_EEENSQ_IJSG_SG_EEES6_PlJS6_EEE10hipError_tPvRmT3_T4_T5_T6_T7_T9_mT8_P12ihipStream_tbDpT10_ENKUlT_T0_E_clISt17integral_constantIbLb1EES1C_IbLb0EEEEDaS18_S19_EUlS18_E_NS1_11comp_targetILNS1_3genE4ELNS1_11target_archE910ELNS1_3gpuE8ELNS1_3repE0EEENS1_30default_config_static_selectorELNS0_4arch9wavefront6targetE0EEEvT1_,"axG",@progbits,_ZN7rocprim17ROCPRIM_400000_NS6detail17trampoline_kernelINS0_14default_configENS1_25partition_config_selectorILNS1_17partition_subalgoE5EtNS0_10empty_typeEbEEZZNS1_14partition_implILS5_5ELb0ES3_mN6thrust23THRUST_200600_302600_NS6detail15normal_iteratorINSA_10device_ptrItEEEEPS6_NSA_18transform_iteratorINSB_9not_fun_tI7is_trueItEEENSC_INSD_IbEEEENSA_11use_defaultESO_EENS0_5tupleIJSF_S6_EEENSQ_IJSG_SG_EEES6_PlJS6_EEE10hipError_tPvRmT3_T4_T5_T6_T7_T9_mT8_P12ihipStream_tbDpT10_ENKUlT_T0_E_clISt17integral_constantIbLb1EES1C_IbLb0EEEEDaS18_S19_EUlS18_E_NS1_11comp_targetILNS1_3genE4ELNS1_11target_archE910ELNS1_3gpuE8ELNS1_3repE0EEENS1_30default_config_static_selectorELNS0_4arch9wavefront6targetE0EEEvT1_,comdat
	.protected	_ZN7rocprim17ROCPRIM_400000_NS6detail17trampoline_kernelINS0_14default_configENS1_25partition_config_selectorILNS1_17partition_subalgoE5EtNS0_10empty_typeEbEEZZNS1_14partition_implILS5_5ELb0ES3_mN6thrust23THRUST_200600_302600_NS6detail15normal_iteratorINSA_10device_ptrItEEEEPS6_NSA_18transform_iteratorINSB_9not_fun_tI7is_trueItEEENSC_INSD_IbEEEENSA_11use_defaultESO_EENS0_5tupleIJSF_S6_EEENSQ_IJSG_SG_EEES6_PlJS6_EEE10hipError_tPvRmT3_T4_T5_T6_T7_T9_mT8_P12ihipStream_tbDpT10_ENKUlT_T0_E_clISt17integral_constantIbLb1EES1C_IbLb0EEEEDaS18_S19_EUlS18_E_NS1_11comp_targetILNS1_3genE4ELNS1_11target_archE910ELNS1_3gpuE8ELNS1_3repE0EEENS1_30default_config_static_selectorELNS0_4arch9wavefront6targetE0EEEvT1_ ; -- Begin function _ZN7rocprim17ROCPRIM_400000_NS6detail17trampoline_kernelINS0_14default_configENS1_25partition_config_selectorILNS1_17partition_subalgoE5EtNS0_10empty_typeEbEEZZNS1_14partition_implILS5_5ELb0ES3_mN6thrust23THRUST_200600_302600_NS6detail15normal_iteratorINSA_10device_ptrItEEEEPS6_NSA_18transform_iteratorINSB_9not_fun_tI7is_trueItEEENSC_INSD_IbEEEENSA_11use_defaultESO_EENS0_5tupleIJSF_S6_EEENSQ_IJSG_SG_EEES6_PlJS6_EEE10hipError_tPvRmT3_T4_T5_T6_T7_T9_mT8_P12ihipStream_tbDpT10_ENKUlT_T0_E_clISt17integral_constantIbLb1EES1C_IbLb0EEEEDaS18_S19_EUlS18_E_NS1_11comp_targetILNS1_3genE4ELNS1_11target_archE910ELNS1_3gpuE8ELNS1_3repE0EEENS1_30default_config_static_selectorELNS0_4arch9wavefront6targetE0EEEvT1_
	.globl	_ZN7rocprim17ROCPRIM_400000_NS6detail17trampoline_kernelINS0_14default_configENS1_25partition_config_selectorILNS1_17partition_subalgoE5EtNS0_10empty_typeEbEEZZNS1_14partition_implILS5_5ELb0ES3_mN6thrust23THRUST_200600_302600_NS6detail15normal_iteratorINSA_10device_ptrItEEEEPS6_NSA_18transform_iteratorINSB_9not_fun_tI7is_trueItEEENSC_INSD_IbEEEENSA_11use_defaultESO_EENS0_5tupleIJSF_S6_EEENSQ_IJSG_SG_EEES6_PlJS6_EEE10hipError_tPvRmT3_T4_T5_T6_T7_T9_mT8_P12ihipStream_tbDpT10_ENKUlT_T0_E_clISt17integral_constantIbLb1EES1C_IbLb0EEEEDaS18_S19_EUlS18_E_NS1_11comp_targetILNS1_3genE4ELNS1_11target_archE910ELNS1_3gpuE8ELNS1_3repE0EEENS1_30default_config_static_selectorELNS0_4arch9wavefront6targetE0EEEvT1_
	.p2align	8
	.type	_ZN7rocprim17ROCPRIM_400000_NS6detail17trampoline_kernelINS0_14default_configENS1_25partition_config_selectorILNS1_17partition_subalgoE5EtNS0_10empty_typeEbEEZZNS1_14partition_implILS5_5ELb0ES3_mN6thrust23THRUST_200600_302600_NS6detail15normal_iteratorINSA_10device_ptrItEEEEPS6_NSA_18transform_iteratorINSB_9not_fun_tI7is_trueItEEENSC_INSD_IbEEEENSA_11use_defaultESO_EENS0_5tupleIJSF_S6_EEENSQ_IJSG_SG_EEES6_PlJS6_EEE10hipError_tPvRmT3_T4_T5_T6_T7_T9_mT8_P12ihipStream_tbDpT10_ENKUlT_T0_E_clISt17integral_constantIbLb1EES1C_IbLb0EEEEDaS18_S19_EUlS18_E_NS1_11comp_targetILNS1_3genE4ELNS1_11target_archE910ELNS1_3gpuE8ELNS1_3repE0EEENS1_30default_config_static_selectorELNS0_4arch9wavefront6targetE0EEEvT1_,@function
_ZN7rocprim17ROCPRIM_400000_NS6detail17trampoline_kernelINS0_14default_configENS1_25partition_config_selectorILNS1_17partition_subalgoE5EtNS0_10empty_typeEbEEZZNS1_14partition_implILS5_5ELb0ES3_mN6thrust23THRUST_200600_302600_NS6detail15normal_iteratorINSA_10device_ptrItEEEEPS6_NSA_18transform_iteratorINSB_9not_fun_tI7is_trueItEEENSC_INSD_IbEEEENSA_11use_defaultESO_EENS0_5tupleIJSF_S6_EEENSQ_IJSG_SG_EEES6_PlJS6_EEE10hipError_tPvRmT3_T4_T5_T6_T7_T9_mT8_P12ihipStream_tbDpT10_ENKUlT_T0_E_clISt17integral_constantIbLb1EES1C_IbLb0EEEEDaS18_S19_EUlS18_E_NS1_11comp_targetILNS1_3genE4ELNS1_11target_archE910ELNS1_3gpuE8ELNS1_3repE0EEENS1_30default_config_static_selectorELNS0_4arch9wavefront6targetE0EEEvT1_: ; @_ZN7rocprim17ROCPRIM_400000_NS6detail17trampoline_kernelINS0_14default_configENS1_25partition_config_selectorILNS1_17partition_subalgoE5EtNS0_10empty_typeEbEEZZNS1_14partition_implILS5_5ELb0ES3_mN6thrust23THRUST_200600_302600_NS6detail15normal_iteratorINSA_10device_ptrItEEEEPS6_NSA_18transform_iteratorINSB_9not_fun_tI7is_trueItEEENSC_INSD_IbEEEENSA_11use_defaultESO_EENS0_5tupleIJSF_S6_EEENSQ_IJSG_SG_EEES6_PlJS6_EEE10hipError_tPvRmT3_T4_T5_T6_T7_T9_mT8_P12ihipStream_tbDpT10_ENKUlT_T0_E_clISt17integral_constantIbLb1EES1C_IbLb0EEEEDaS18_S19_EUlS18_E_NS1_11comp_targetILNS1_3genE4ELNS1_11target_archE910ELNS1_3gpuE8ELNS1_3repE0EEENS1_30default_config_static_selectorELNS0_4arch9wavefront6targetE0EEEvT1_
; %bb.0:
	.section	.rodata,"a",@progbits
	.p2align	6, 0x0
	.amdhsa_kernel _ZN7rocprim17ROCPRIM_400000_NS6detail17trampoline_kernelINS0_14default_configENS1_25partition_config_selectorILNS1_17partition_subalgoE5EtNS0_10empty_typeEbEEZZNS1_14partition_implILS5_5ELb0ES3_mN6thrust23THRUST_200600_302600_NS6detail15normal_iteratorINSA_10device_ptrItEEEEPS6_NSA_18transform_iteratorINSB_9not_fun_tI7is_trueItEEENSC_INSD_IbEEEENSA_11use_defaultESO_EENS0_5tupleIJSF_S6_EEENSQ_IJSG_SG_EEES6_PlJS6_EEE10hipError_tPvRmT3_T4_T5_T6_T7_T9_mT8_P12ihipStream_tbDpT10_ENKUlT_T0_E_clISt17integral_constantIbLb1EES1C_IbLb0EEEEDaS18_S19_EUlS18_E_NS1_11comp_targetILNS1_3genE4ELNS1_11target_archE910ELNS1_3gpuE8ELNS1_3repE0EEENS1_30default_config_static_selectorELNS0_4arch9wavefront6targetE0EEEvT1_
		.amdhsa_group_segment_fixed_size 0
		.amdhsa_private_segment_fixed_size 0
		.amdhsa_kernarg_size 120
		.amdhsa_user_sgpr_count 2
		.amdhsa_user_sgpr_dispatch_ptr 0
		.amdhsa_user_sgpr_queue_ptr 0
		.amdhsa_user_sgpr_kernarg_segment_ptr 1
		.amdhsa_user_sgpr_dispatch_id 0
		.amdhsa_user_sgpr_private_segment_size 0
		.amdhsa_wavefront_size32 1
		.amdhsa_uses_dynamic_stack 0
		.amdhsa_enable_private_segment 0
		.amdhsa_system_sgpr_workgroup_id_x 1
		.amdhsa_system_sgpr_workgroup_id_y 0
		.amdhsa_system_sgpr_workgroup_id_z 0
		.amdhsa_system_sgpr_workgroup_info 0
		.amdhsa_system_vgpr_workitem_id 0
		.amdhsa_next_free_vgpr 1
		.amdhsa_next_free_sgpr 1
		.amdhsa_reserve_vcc 0
		.amdhsa_float_round_mode_32 0
		.amdhsa_float_round_mode_16_64 0
		.amdhsa_float_denorm_mode_32 3
		.amdhsa_float_denorm_mode_16_64 3
		.amdhsa_fp16_overflow 0
		.amdhsa_workgroup_processor_mode 1
		.amdhsa_memory_ordered 1
		.amdhsa_forward_progress 1
		.amdhsa_inst_pref_size 0
		.amdhsa_round_robin_scheduling 0
		.amdhsa_exception_fp_ieee_invalid_op 0
		.amdhsa_exception_fp_denorm_src 0
		.amdhsa_exception_fp_ieee_div_zero 0
		.amdhsa_exception_fp_ieee_overflow 0
		.amdhsa_exception_fp_ieee_underflow 0
		.amdhsa_exception_fp_ieee_inexact 0
		.amdhsa_exception_int_div_zero 0
	.end_amdhsa_kernel
	.section	.text._ZN7rocprim17ROCPRIM_400000_NS6detail17trampoline_kernelINS0_14default_configENS1_25partition_config_selectorILNS1_17partition_subalgoE5EtNS0_10empty_typeEbEEZZNS1_14partition_implILS5_5ELb0ES3_mN6thrust23THRUST_200600_302600_NS6detail15normal_iteratorINSA_10device_ptrItEEEEPS6_NSA_18transform_iteratorINSB_9not_fun_tI7is_trueItEEENSC_INSD_IbEEEENSA_11use_defaultESO_EENS0_5tupleIJSF_S6_EEENSQ_IJSG_SG_EEES6_PlJS6_EEE10hipError_tPvRmT3_T4_T5_T6_T7_T9_mT8_P12ihipStream_tbDpT10_ENKUlT_T0_E_clISt17integral_constantIbLb1EES1C_IbLb0EEEEDaS18_S19_EUlS18_E_NS1_11comp_targetILNS1_3genE4ELNS1_11target_archE910ELNS1_3gpuE8ELNS1_3repE0EEENS1_30default_config_static_selectorELNS0_4arch9wavefront6targetE0EEEvT1_,"axG",@progbits,_ZN7rocprim17ROCPRIM_400000_NS6detail17trampoline_kernelINS0_14default_configENS1_25partition_config_selectorILNS1_17partition_subalgoE5EtNS0_10empty_typeEbEEZZNS1_14partition_implILS5_5ELb0ES3_mN6thrust23THRUST_200600_302600_NS6detail15normal_iteratorINSA_10device_ptrItEEEEPS6_NSA_18transform_iteratorINSB_9not_fun_tI7is_trueItEEENSC_INSD_IbEEEENSA_11use_defaultESO_EENS0_5tupleIJSF_S6_EEENSQ_IJSG_SG_EEES6_PlJS6_EEE10hipError_tPvRmT3_T4_T5_T6_T7_T9_mT8_P12ihipStream_tbDpT10_ENKUlT_T0_E_clISt17integral_constantIbLb1EES1C_IbLb0EEEEDaS18_S19_EUlS18_E_NS1_11comp_targetILNS1_3genE4ELNS1_11target_archE910ELNS1_3gpuE8ELNS1_3repE0EEENS1_30default_config_static_selectorELNS0_4arch9wavefront6targetE0EEEvT1_,comdat
.Lfunc_end2479:
	.size	_ZN7rocprim17ROCPRIM_400000_NS6detail17trampoline_kernelINS0_14default_configENS1_25partition_config_selectorILNS1_17partition_subalgoE5EtNS0_10empty_typeEbEEZZNS1_14partition_implILS5_5ELb0ES3_mN6thrust23THRUST_200600_302600_NS6detail15normal_iteratorINSA_10device_ptrItEEEEPS6_NSA_18transform_iteratorINSB_9not_fun_tI7is_trueItEEENSC_INSD_IbEEEENSA_11use_defaultESO_EENS0_5tupleIJSF_S6_EEENSQ_IJSG_SG_EEES6_PlJS6_EEE10hipError_tPvRmT3_T4_T5_T6_T7_T9_mT8_P12ihipStream_tbDpT10_ENKUlT_T0_E_clISt17integral_constantIbLb1EES1C_IbLb0EEEEDaS18_S19_EUlS18_E_NS1_11comp_targetILNS1_3genE4ELNS1_11target_archE910ELNS1_3gpuE8ELNS1_3repE0EEENS1_30default_config_static_selectorELNS0_4arch9wavefront6targetE0EEEvT1_, .Lfunc_end2479-_ZN7rocprim17ROCPRIM_400000_NS6detail17trampoline_kernelINS0_14default_configENS1_25partition_config_selectorILNS1_17partition_subalgoE5EtNS0_10empty_typeEbEEZZNS1_14partition_implILS5_5ELb0ES3_mN6thrust23THRUST_200600_302600_NS6detail15normal_iteratorINSA_10device_ptrItEEEEPS6_NSA_18transform_iteratorINSB_9not_fun_tI7is_trueItEEENSC_INSD_IbEEEENSA_11use_defaultESO_EENS0_5tupleIJSF_S6_EEENSQ_IJSG_SG_EEES6_PlJS6_EEE10hipError_tPvRmT3_T4_T5_T6_T7_T9_mT8_P12ihipStream_tbDpT10_ENKUlT_T0_E_clISt17integral_constantIbLb1EES1C_IbLb0EEEEDaS18_S19_EUlS18_E_NS1_11comp_targetILNS1_3genE4ELNS1_11target_archE910ELNS1_3gpuE8ELNS1_3repE0EEENS1_30default_config_static_selectorELNS0_4arch9wavefront6targetE0EEEvT1_
                                        ; -- End function
	.set _ZN7rocprim17ROCPRIM_400000_NS6detail17trampoline_kernelINS0_14default_configENS1_25partition_config_selectorILNS1_17partition_subalgoE5EtNS0_10empty_typeEbEEZZNS1_14partition_implILS5_5ELb0ES3_mN6thrust23THRUST_200600_302600_NS6detail15normal_iteratorINSA_10device_ptrItEEEEPS6_NSA_18transform_iteratorINSB_9not_fun_tI7is_trueItEEENSC_INSD_IbEEEENSA_11use_defaultESO_EENS0_5tupleIJSF_S6_EEENSQ_IJSG_SG_EEES6_PlJS6_EEE10hipError_tPvRmT3_T4_T5_T6_T7_T9_mT8_P12ihipStream_tbDpT10_ENKUlT_T0_E_clISt17integral_constantIbLb1EES1C_IbLb0EEEEDaS18_S19_EUlS18_E_NS1_11comp_targetILNS1_3genE4ELNS1_11target_archE910ELNS1_3gpuE8ELNS1_3repE0EEENS1_30default_config_static_selectorELNS0_4arch9wavefront6targetE0EEEvT1_.num_vgpr, 0
	.set _ZN7rocprim17ROCPRIM_400000_NS6detail17trampoline_kernelINS0_14default_configENS1_25partition_config_selectorILNS1_17partition_subalgoE5EtNS0_10empty_typeEbEEZZNS1_14partition_implILS5_5ELb0ES3_mN6thrust23THRUST_200600_302600_NS6detail15normal_iteratorINSA_10device_ptrItEEEEPS6_NSA_18transform_iteratorINSB_9not_fun_tI7is_trueItEEENSC_INSD_IbEEEENSA_11use_defaultESO_EENS0_5tupleIJSF_S6_EEENSQ_IJSG_SG_EEES6_PlJS6_EEE10hipError_tPvRmT3_T4_T5_T6_T7_T9_mT8_P12ihipStream_tbDpT10_ENKUlT_T0_E_clISt17integral_constantIbLb1EES1C_IbLb0EEEEDaS18_S19_EUlS18_E_NS1_11comp_targetILNS1_3genE4ELNS1_11target_archE910ELNS1_3gpuE8ELNS1_3repE0EEENS1_30default_config_static_selectorELNS0_4arch9wavefront6targetE0EEEvT1_.num_agpr, 0
	.set _ZN7rocprim17ROCPRIM_400000_NS6detail17trampoline_kernelINS0_14default_configENS1_25partition_config_selectorILNS1_17partition_subalgoE5EtNS0_10empty_typeEbEEZZNS1_14partition_implILS5_5ELb0ES3_mN6thrust23THRUST_200600_302600_NS6detail15normal_iteratorINSA_10device_ptrItEEEEPS6_NSA_18transform_iteratorINSB_9not_fun_tI7is_trueItEEENSC_INSD_IbEEEENSA_11use_defaultESO_EENS0_5tupleIJSF_S6_EEENSQ_IJSG_SG_EEES6_PlJS6_EEE10hipError_tPvRmT3_T4_T5_T6_T7_T9_mT8_P12ihipStream_tbDpT10_ENKUlT_T0_E_clISt17integral_constantIbLb1EES1C_IbLb0EEEEDaS18_S19_EUlS18_E_NS1_11comp_targetILNS1_3genE4ELNS1_11target_archE910ELNS1_3gpuE8ELNS1_3repE0EEENS1_30default_config_static_selectorELNS0_4arch9wavefront6targetE0EEEvT1_.numbered_sgpr, 0
	.set _ZN7rocprim17ROCPRIM_400000_NS6detail17trampoline_kernelINS0_14default_configENS1_25partition_config_selectorILNS1_17partition_subalgoE5EtNS0_10empty_typeEbEEZZNS1_14partition_implILS5_5ELb0ES3_mN6thrust23THRUST_200600_302600_NS6detail15normal_iteratorINSA_10device_ptrItEEEEPS6_NSA_18transform_iteratorINSB_9not_fun_tI7is_trueItEEENSC_INSD_IbEEEENSA_11use_defaultESO_EENS0_5tupleIJSF_S6_EEENSQ_IJSG_SG_EEES6_PlJS6_EEE10hipError_tPvRmT3_T4_T5_T6_T7_T9_mT8_P12ihipStream_tbDpT10_ENKUlT_T0_E_clISt17integral_constantIbLb1EES1C_IbLb0EEEEDaS18_S19_EUlS18_E_NS1_11comp_targetILNS1_3genE4ELNS1_11target_archE910ELNS1_3gpuE8ELNS1_3repE0EEENS1_30default_config_static_selectorELNS0_4arch9wavefront6targetE0EEEvT1_.num_named_barrier, 0
	.set _ZN7rocprim17ROCPRIM_400000_NS6detail17trampoline_kernelINS0_14default_configENS1_25partition_config_selectorILNS1_17partition_subalgoE5EtNS0_10empty_typeEbEEZZNS1_14partition_implILS5_5ELb0ES3_mN6thrust23THRUST_200600_302600_NS6detail15normal_iteratorINSA_10device_ptrItEEEEPS6_NSA_18transform_iteratorINSB_9not_fun_tI7is_trueItEEENSC_INSD_IbEEEENSA_11use_defaultESO_EENS0_5tupleIJSF_S6_EEENSQ_IJSG_SG_EEES6_PlJS6_EEE10hipError_tPvRmT3_T4_T5_T6_T7_T9_mT8_P12ihipStream_tbDpT10_ENKUlT_T0_E_clISt17integral_constantIbLb1EES1C_IbLb0EEEEDaS18_S19_EUlS18_E_NS1_11comp_targetILNS1_3genE4ELNS1_11target_archE910ELNS1_3gpuE8ELNS1_3repE0EEENS1_30default_config_static_selectorELNS0_4arch9wavefront6targetE0EEEvT1_.private_seg_size, 0
	.set _ZN7rocprim17ROCPRIM_400000_NS6detail17trampoline_kernelINS0_14default_configENS1_25partition_config_selectorILNS1_17partition_subalgoE5EtNS0_10empty_typeEbEEZZNS1_14partition_implILS5_5ELb0ES3_mN6thrust23THRUST_200600_302600_NS6detail15normal_iteratorINSA_10device_ptrItEEEEPS6_NSA_18transform_iteratorINSB_9not_fun_tI7is_trueItEEENSC_INSD_IbEEEENSA_11use_defaultESO_EENS0_5tupleIJSF_S6_EEENSQ_IJSG_SG_EEES6_PlJS6_EEE10hipError_tPvRmT3_T4_T5_T6_T7_T9_mT8_P12ihipStream_tbDpT10_ENKUlT_T0_E_clISt17integral_constantIbLb1EES1C_IbLb0EEEEDaS18_S19_EUlS18_E_NS1_11comp_targetILNS1_3genE4ELNS1_11target_archE910ELNS1_3gpuE8ELNS1_3repE0EEENS1_30default_config_static_selectorELNS0_4arch9wavefront6targetE0EEEvT1_.uses_vcc, 0
	.set _ZN7rocprim17ROCPRIM_400000_NS6detail17trampoline_kernelINS0_14default_configENS1_25partition_config_selectorILNS1_17partition_subalgoE5EtNS0_10empty_typeEbEEZZNS1_14partition_implILS5_5ELb0ES3_mN6thrust23THRUST_200600_302600_NS6detail15normal_iteratorINSA_10device_ptrItEEEEPS6_NSA_18transform_iteratorINSB_9not_fun_tI7is_trueItEEENSC_INSD_IbEEEENSA_11use_defaultESO_EENS0_5tupleIJSF_S6_EEENSQ_IJSG_SG_EEES6_PlJS6_EEE10hipError_tPvRmT3_T4_T5_T6_T7_T9_mT8_P12ihipStream_tbDpT10_ENKUlT_T0_E_clISt17integral_constantIbLb1EES1C_IbLb0EEEEDaS18_S19_EUlS18_E_NS1_11comp_targetILNS1_3genE4ELNS1_11target_archE910ELNS1_3gpuE8ELNS1_3repE0EEENS1_30default_config_static_selectorELNS0_4arch9wavefront6targetE0EEEvT1_.uses_flat_scratch, 0
	.set _ZN7rocprim17ROCPRIM_400000_NS6detail17trampoline_kernelINS0_14default_configENS1_25partition_config_selectorILNS1_17partition_subalgoE5EtNS0_10empty_typeEbEEZZNS1_14partition_implILS5_5ELb0ES3_mN6thrust23THRUST_200600_302600_NS6detail15normal_iteratorINSA_10device_ptrItEEEEPS6_NSA_18transform_iteratorINSB_9not_fun_tI7is_trueItEEENSC_INSD_IbEEEENSA_11use_defaultESO_EENS0_5tupleIJSF_S6_EEENSQ_IJSG_SG_EEES6_PlJS6_EEE10hipError_tPvRmT3_T4_T5_T6_T7_T9_mT8_P12ihipStream_tbDpT10_ENKUlT_T0_E_clISt17integral_constantIbLb1EES1C_IbLb0EEEEDaS18_S19_EUlS18_E_NS1_11comp_targetILNS1_3genE4ELNS1_11target_archE910ELNS1_3gpuE8ELNS1_3repE0EEENS1_30default_config_static_selectorELNS0_4arch9wavefront6targetE0EEEvT1_.has_dyn_sized_stack, 0
	.set _ZN7rocprim17ROCPRIM_400000_NS6detail17trampoline_kernelINS0_14default_configENS1_25partition_config_selectorILNS1_17partition_subalgoE5EtNS0_10empty_typeEbEEZZNS1_14partition_implILS5_5ELb0ES3_mN6thrust23THRUST_200600_302600_NS6detail15normal_iteratorINSA_10device_ptrItEEEEPS6_NSA_18transform_iteratorINSB_9not_fun_tI7is_trueItEEENSC_INSD_IbEEEENSA_11use_defaultESO_EENS0_5tupleIJSF_S6_EEENSQ_IJSG_SG_EEES6_PlJS6_EEE10hipError_tPvRmT3_T4_T5_T6_T7_T9_mT8_P12ihipStream_tbDpT10_ENKUlT_T0_E_clISt17integral_constantIbLb1EES1C_IbLb0EEEEDaS18_S19_EUlS18_E_NS1_11comp_targetILNS1_3genE4ELNS1_11target_archE910ELNS1_3gpuE8ELNS1_3repE0EEENS1_30default_config_static_selectorELNS0_4arch9wavefront6targetE0EEEvT1_.has_recursion, 0
	.set _ZN7rocprim17ROCPRIM_400000_NS6detail17trampoline_kernelINS0_14default_configENS1_25partition_config_selectorILNS1_17partition_subalgoE5EtNS0_10empty_typeEbEEZZNS1_14partition_implILS5_5ELb0ES3_mN6thrust23THRUST_200600_302600_NS6detail15normal_iteratorINSA_10device_ptrItEEEEPS6_NSA_18transform_iteratorINSB_9not_fun_tI7is_trueItEEENSC_INSD_IbEEEENSA_11use_defaultESO_EENS0_5tupleIJSF_S6_EEENSQ_IJSG_SG_EEES6_PlJS6_EEE10hipError_tPvRmT3_T4_T5_T6_T7_T9_mT8_P12ihipStream_tbDpT10_ENKUlT_T0_E_clISt17integral_constantIbLb1EES1C_IbLb0EEEEDaS18_S19_EUlS18_E_NS1_11comp_targetILNS1_3genE4ELNS1_11target_archE910ELNS1_3gpuE8ELNS1_3repE0EEENS1_30default_config_static_selectorELNS0_4arch9wavefront6targetE0EEEvT1_.has_indirect_call, 0
	.section	.AMDGPU.csdata,"",@progbits
; Kernel info:
; codeLenInByte = 0
; TotalNumSgprs: 0
; NumVgprs: 0
; ScratchSize: 0
; MemoryBound: 0
; FloatMode: 240
; IeeeMode: 1
; LDSByteSize: 0 bytes/workgroup (compile time only)
; SGPRBlocks: 0
; VGPRBlocks: 0
; NumSGPRsForWavesPerEU: 1
; NumVGPRsForWavesPerEU: 1
; Occupancy: 16
; WaveLimiterHint : 0
; COMPUTE_PGM_RSRC2:SCRATCH_EN: 0
; COMPUTE_PGM_RSRC2:USER_SGPR: 2
; COMPUTE_PGM_RSRC2:TRAP_HANDLER: 0
; COMPUTE_PGM_RSRC2:TGID_X_EN: 1
; COMPUTE_PGM_RSRC2:TGID_Y_EN: 0
; COMPUTE_PGM_RSRC2:TGID_Z_EN: 0
; COMPUTE_PGM_RSRC2:TIDIG_COMP_CNT: 0
	.section	.text._ZN7rocprim17ROCPRIM_400000_NS6detail17trampoline_kernelINS0_14default_configENS1_25partition_config_selectorILNS1_17partition_subalgoE5EtNS0_10empty_typeEbEEZZNS1_14partition_implILS5_5ELb0ES3_mN6thrust23THRUST_200600_302600_NS6detail15normal_iteratorINSA_10device_ptrItEEEEPS6_NSA_18transform_iteratorINSB_9not_fun_tI7is_trueItEEENSC_INSD_IbEEEENSA_11use_defaultESO_EENS0_5tupleIJSF_S6_EEENSQ_IJSG_SG_EEES6_PlJS6_EEE10hipError_tPvRmT3_T4_T5_T6_T7_T9_mT8_P12ihipStream_tbDpT10_ENKUlT_T0_E_clISt17integral_constantIbLb1EES1C_IbLb0EEEEDaS18_S19_EUlS18_E_NS1_11comp_targetILNS1_3genE3ELNS1_11target_archE908ELNS1_3gpuE7ELNS1_3repE0EEENS1_30default_config_static_selectorELNS0_4arch9wavefront6targetE0EEEvT1_,"axG",@progbits,_ZN7rocprim17ROCPRIM_400000_NS6detail17trampoline_kernelINS0_14default_configENS1_25partition_config_selectorILNS1_17partition_subalgoE5EtNS0_10empty_typeEbEEZZNS1_14partition_implILS5_5ELb0ES3_mN6thrust23THRUST_200600_302600_NS6detail15normal_iteratorINSA_10device_ptrItEEEEPS6_NSA_18transform_iteratorINSB_9not_fun_tI7is_trueItEEENSC_INSD_IbEEEENSA_11use_defaultESO_EENS0_5tupleIJSF_S6_EEENSQ_IJSG_SG_EEES6_PlJS6_EEE10hipError_tPvRmT3_T4_T5_T6_T7_T9_mT8_P12ihipStream_tbDpT10_ENKUlT_T0_E_clISt17integral_constantIbLb1EES1C_IbLb0EEEEDaS18_S19_EUlS18_E_NS1_11comp_targetILNS1_3genE3ELNS1_11target_archE908ELNS1_3gpuE7ELNS1_3repE0EEENS1_30default_config_static_selectorELNS0_4arch9wavefront6targetE0EEEvT1_,comdat
	.protected	_ZN7rocprim17ROCPRIM_400000_NS6detail17trampoline_kernelINS0_14default_configENS1_25partition_config_selectorILNS1_17partition_subalgoE5EtNS0_10empty_typeEbEEZZNS1_14partition_implILS5_5ELb0ES3_mN6thrust23THRUST_200600_302600_NS6detail15normal_iteratorINSA_10device_ptrItEEEEPS6_NSA_18transform_iteratorINSB_9not_fun_tI7is_trueItEEENSC_INSD_IbEEEENSA_11use_defaultESO_EENS0_5tupleIJSF_S6_EEENSQ_IJSG_SG_EEES6_PlJS6_EEE10hipError_tPvRmT3_T4_T5_T6_T7_T9_mT8_P12ihipStream_tbDpT10_ENKUlT_T0_E_clISt17integral_constantIbLb1EES1C_IbLb0EEEEDaS18_S19_EUlS18_E_NS1_11comp_targetILNS1_3genE3ELNS1_11target_archE908ELNS1_3gpuE7ELNS1_3repE0EEENS1_30default_config_static_selectorELNS0_4arch9wavefront6targetE0EEEvT1_ ; -- Begin function _ZN7rocprim17ROCPRIM_400000_NS6detail17trampoline_kernelINS0_14default_configENS1_25partition_config_selectorILNS1_17partition_subalgoE5EtNS0_10empty_typeEbEEZZNS1_14partition_implILS5_5ELb0ES3_mN6thrust23THRUST_200600_302600_NS6detail15normal_iteratorINSA_10device_ptrItEEEEPS6_NSA_18transform_iteratorINSB_9not_fun_tI7is_trueItEEENSC_INSD_IbEEEENSA_11use_defaultESO_EENS0_5tupleIJSF_S6_EEENSQ_IJSG_SG_EEES6_PlJS6_EEE10hipError_tPvRmT3_T4_T5_T6_T7_T9_mT8_P12ihipStream_tbDpT10_ENKUlT_T0_E_clISt17integral_constantIbLb1EES1C_IbLb0EEEEDaS18_S19_EUlS18_E_NS1_11comp_targetILNS1_3genE3ELNS1_11target_archE908ELNS1_3gpuE7ELNS1_3repE0EEENS1_30default_config_static_selectorELNS0_4arch9wavefront6targetE0EEEvT1_
	.globl	_ZN7rocprim17ROCPRIM_400000_NS6detail17trampoline_kernelINS0_14default_configENS1_25partition_config_selectorILNS1_17partition_subalgoE5EtNS0_10empty_typeEbEEZZNS1_14partition_implILS5_5ELb0ES3_mN6thrust23THRUST_200600_302600_NS6detail15normal_iteratorINSA_10device_ptrItEEEEPS6_NSA_18transform_iteratorINSB_9not_fun_tI7is_trueItEEENSC_INSD_IbEEEENSA_11use_defaultESO_EENS0_5tupleIJSF_S6_EEENSQ_IJSG_SG_EEES6_PlJS6_EEE10hipError_tPvRmT3_T4_T5_T6_T7_T9_mT8_P12ihipStream_tbDpT10_ENKUlT_T0_E_clISt17integral_constantIbLb1EES1C_IbLb0EEEEDaS18_S19_EUlS18_E_NS1_11comp_targetILNS1_3genE3ELNS1_11target_archE908ELNS1_3gpuE7ELNS1_3repE0EEENS1_30default_config_static_selectorELNS0_4arch9wavefront6targetE0EEEvT1_
	.p2align	8
	.type	_ZN7rocprim17ROCPRIM_400000_NS6detail17trampoline_kernelINS0_14default_configENS1_25partition_config_selectorILNS1_17partition_subalgoE5EtNS0_10empty_typeEbEEZZNS1_14partition_implILS5_5ELb0ES3_mN6thrust23THRUST_200600_302600_NS6detail15normal_iteratorINSA_10device_ptrItEEEEPS6_NSA_18transform_iteratorINSB_9not_fun_tI7is_trueItEEENSC_INSD_IbEEEENSA_11use_defaultESO_EENS0_5tupleIJSF_S6_EEENSQ_IJSG_SG_EEES6_PlJS6_EEE10hipError_tPvRmT3_T4_T5_T6_T7_T9_mT8_P12ihipStream_tbDpT10_ENKUlT_T0_E_clISt17integral_constantIbLb1EES1C_IbLb0EEEEDaS18_S19_EUlS18_E_NS1_11comp_targetILNS1_3genE3ELNS1_11target_archE908ELNS1_3gpuE7ELNS1_3repE0EEENS1_30default_config_static_selectorELNS0_4arch9wavefront6targetE0EEEvT1_,@function
_ZN7rocprim17ROCPRIM_400000_NS6detail17trampoline_kernelINS0_14default_configENS1_25partition_config_selectorILNS1_17partition_subalgoE5EtNS0_10empty_typeEbEEZZNS1_14partition_implILS5_5ELb0ES3_mN6thrust23THRUST_200600_302600_NS6detail15normal_iteratorINSA_10device_ptrItEEEEPS6_NSA_18transform_iteratorINSB_9not_fun_tI7is_trueItEEENSC_INSD_IbEEEENSA_11use_defaultESO_EENS0_5tupleIJSF_S6_EEENSQ_IJSG_SG_EEES6_PlJS6_EEE10hipError_tPvRmT3_T4_T5_T6_T7_T9_mT8_P12ihipStream_tbDpT10_ENKUlT_T0_E_clISt17integral_constantIbLb1EES1C_IbLb0EEEEDaS18_S19_EUlS18_E_NS1_11comp_targetILNS1_3genE3ELNS1_11target_archE908ELNS1_3gpuE7ELNS1_3repE0EEENS1_30default_config_static_selectorELNS0_4arch9wavefront6targetE0EEEvT1_: ; @_ZN7rocprim17ROCPRIM_400000_NS6detail17trampoline_kernelINS0_14default_configENS1_25partition_config_selectorILNS1_17partition_subalgoE5EtNS0_10empty_typeEbEEZZNS1_14partition_implILS5_5ELb0ES3_mN6thrust23THRUST_200600_302600_NS6detail15normal_iteratorINSA_10device_ptrItEEEEPS6_NSA_18transform_iteratorINSB_9not_fun_tI7is_trueItEEENSC_INSD_IbEEEENSA_11use_defaultESO_EENS0_5tupleIJSF_S6_EEENSQ_IJSG_SG_EEES6_PlJS6_EEE10hipError_tPvRmT3_T4_T5_T6_T7_T9_mT8_P12ihipStream_tbDpT10_ENKUlT_T0_E_clISt17integral_constantIbLb1EES1C_IbLb0EEEEDaS18_S19_EUlS18_E_NS1_11comp_targetILNS1_3genE3ELNS1_11target_archE908ELNS1_3gpuE7ELNS1_3repE0EEENS1_30default_config_static_selectorELNS0_4arch9wavefront6targetE0EEEvT1_
; %bb.0:
	.section	.rodata,"a",@progbits
	.p2align	6, 0x0
	.amdhsa_kernel _ZN7rocprim17ROCPRIM_400000_NS6detail17trampoline_kernelINS0_14default_configENS1_25partition_config_selectorILNS1_17partition_subalgoE5EtNS0_10empty_typeEbEEZZNS1_14partition_implILS5_5ELb0ES3_mN6thrust23THRUST_200600_302600_NS6detail15normal_iteratorINSA_10device_ptrItEEEEPS6_NSA_18transform_iteratorINSB_9not_fun_tI7is_trueItEEENSC_INSD_IbEEEENSA_11use_defaultESO_EENS0_5tupleIJSF_S6_EEENSQ_IJSG_SG_EEES6_PlJS6_EEE10hipError_tPvRmT3_T4_T5_T6_T7_T9_mT8_P12ihipStream_tbDpT10_ENKUlT_T0_E_clISt17integral_constantIbLb1EES1C_IbLb0EEEEDaS18_S19_EUlS18_E_NS1_11comp_targetILNS1_3genE3ELNS1_11target_archE908ELNS1_3gpuE7ELNS1_3repE0EEENS1_30default_config_static_selectorELNS0_4arch9wavefront6targetE0EEEvT1_
		.amdhsa_group_segment_fixed_size 0
		.amdhsa_private_segment_fixed_size 0
		.amdhsa_kernarg_size 120
		.amdhsa_user_sgpr_count 2
		.amdhsa_user_sgpr_dispatch_ptr 0
		.amdhsa_user_sgpr_queue_ptr 0
		.amdhsa_user_sgpr_kernarg_segment_ptr 1
		.amdhsa_user_sgpr_dispatch_id 0
		.amdhsa_user_sgpr_private_segment_size 0
		.amdhsa_wavefront_size32 1
		.amdhsa_uses_dynamic_stack 0
		.amdhsa_enable_private_segment 0
		.amdhsa_system_sgpr_workgroup_id_x 1
		.amdhsa_system_sgpr_workgroup_id_y 0
		.amdhsa_system_sgpr_workgroup_id_z 0
		.amdhsa_system_sgpr_workgroup_info 0
		.amdhsa_system_vgpr_workitem_id 0
		.amdhsa_next_free_vgpr 1
		.amdhsa_next_free_sgpr 1
		.amdhsa_reserve_vcc 0
		.amdhsa_float_round_mode_32 0
		.amdhsa_float_round_mode_16_64 0
		.amdhsa_float_denorm_mode_32 3
		.amdhsa_float_denorm_mode_16_64 3
		.amdhsa_fp16_overflow 0
		.amdhsa_workgroup_processor_mode 1
		.amdhsa_memory_ordered 1
		.amdhsa_forward_progress 1
		.amdhsa_inst_pref_size 0
		.amdhsa_round_robin_scheduling 0
		.amdhsa_exception_fp_ieee_invalid_op 0
		.amdhsa_exception_fp_denorm_src 0
		.amdhsa_exception_fp_ieee_div_zero 0
		.amdhsa_exception_fp_ieee_overflow 0
		.amdhsa_exception_fp_ieee_underflow 0
		.amdhsa_exception_fp_ieee_inexact 0
		.amdhsa_exception_int_div_zero 0
	.end_amdhsa_kernel
	.section	.text._ZN7rocprim17ROCPRIM_400000_NS6detail17trampoline_kernelINS0_14default_configENS1_25partition_config_selectorILNS1_17partition_subalgoE5EtNS0_10empty_typeEbEEZZNS1_14partition_implILS5_5ELb0ES3_mN6thrust23THRUST_200600_302600_NS6detail15normal_iteratorINSA_10device_ptrItEEEEPS6_NSA_18transform_iteratorINSB_9not_fun_tI7is_trueItEEENSC_INSD_IbEEEENSA_11use_defaultESO_EENS0_5tupleIJSF_S6_EEENSQ_IJSG_SG_EEES6_PlJS6_EEE10hipError_tPvRmT3_T4_T5_T6_T7_T9_mT8_P12ihipStream_tbDpT10_ENKUlT_T0_E_clISt17integral_constantIbLb1EES1C_IbLb0EEEEDaS18_S19_EUlS18_E_NS1_11comp_targetILNS1_3genE3ELNS1_11target_archE908ELNS1_3gpuE7ELNS1_3repE0EEENS1_30default_config_static_selectorELNS0_4arch9wavefront6targetE0EEEvT1_,"axG",@progbits,_ZN7rocprim17ROCPRIM_400000_NS6detail17trampoline_kernelINS0_14default_configENS1_25partition_config_selectorILNS1_17partition_subalgoE5EtNS0_10empty_typeEbEEZZNS1_14partition_implILS5_5ELb0ES3_mN6thrust23THRUST_200600_302600_NS6detail15normal_iteratorINSA_10device_ptrItEEEEPS6_NSA_18transform_iteratorINSB_9not_fun_tI7is_trueItEEENSC_INSD_IbEEEENSA_11use_defaultESO_EENS0_5tupleIJSF_S6_EEENSQ_IJSG_SG_EEES6_PlJS6_EEE10hipError_tPvRmT3_T4_T5_T6_T7_T9_mT8_P12ihipStream_tbDpT10_ENKUlT_T0_E_clISt17integral_constantIbLb1EES1C_IbLb0EEEEDaS18_S19_EUlS18_E_NS1_11comp_targetILNS1_3genE3ELNS1_11target_archE908ELNS1_3gpuE7ELNS1_3repE0EEENS1_30default_config_static_selectorELNS0_4arch9wavefront6targetE0EEEvT1_,comdat
.Lfunc_end2480:
	.size	_ZN7rocprim17ROCPRIM_400000_NS6detail17trampoline_kernelINS0_14default_configENS1_25partition_config_selectorILNS1_17partition_subalgoE5EtNS0_10empty_typeEbEEZZNS1_14partition_implILS5_5ELb0ES3_mN6thrust23THRUST_200600_302600_NS6detail15normal_iteratorINSA_10device_ptrItEEEEPS6_NSA_18transform_iteratorINSB_9not_fun_tI7is_trueItEEENSC_INSD_IbEEEENSA_11use_defaultESO_EENS0_5tupleIJSF_S6_EEENSQ_IJSG_SG_EEES6_PlJS6_EEE10hipError_tPvRmT3_T4_T5_T6_T7_T9_mT8_P12ihipStream_tbDpT10_ENKUlT_T0_E_clISt17integral_constantIbLb1EES1C_IbLb0EEEEDaS18_S19_EUlS18_E_NS1_11comp_targetILNS1_3genE3ELNS1_11target_archE908ELNS1_3gpuE7ELNS1_3repE0EEENS1_30default_config_static_selectorELNS0_4arch9wavefront6targetE0EEEvT1_, .Lfunc_end2480-_ZN7rocprim17ROCPRIM_400000_NS6detail17trampoline_kernelINS0_14default_configENS1_25partition_config_selectorILNS1_17partition_subalgoE5EtNS0_10empty_typeEbEEZZNS1_14partition_implILS5_5ELb0ES3_mN6thrust23THRUST_200600_302600_NS6detail15normal_iteratorINSA_10device_ptrItEEEEPS6_NSA_18transform_iteratorINSB_9not_fun_tI7is_trueItEEENSC_INSD_IbEEEENSA_11use_defaultESO_EENS0_5tupleIJSF_S6_EEENSQ_IJSG_SG_EEES6_PlJS6_EEE10hipError_tPvRmT3_T4_T5_T6_T7_T9_mT8_P12ihipStream_tbDpT10_ENKUlT_T0_E_clISt17integral_constantIbLb1EES1C_IbLb0EEEEDaS18_S19_EUlS18_E_NS1_11comp_targetILNS1_3genE3ELNS1_11target_archE908ELNS1_3gpuE7ELNS1_3repE0EEENS1_30default_config_static_selectorELNS0_4arch9wavefront6targetE0EEEvT1_
                                        ; -- End function
	.set _ZN7rocprim17ROCPRIM_400000_NS6detail17trampoline_kernelINS0_14default_configENS1_25partition_config_selectorILNS1_17partition_subalgoE5EtNS0_10empty_typeEbEEZZNS1_14partition_implILS5_5ELb0ES3_mN6thrust23THRUST_200600_302600_NS6detail15normal_iteratorINSA_10device_ptrItEEEEPS6_NSA_18transform_iteratorINSB_9not_fun_tI7is_trueItEEENSC_INSD_IbEEEENSA_11use_defaultESO_EENS0_5tupleIJSF_S6_EEENSQ_IJSG_SG_EEES6_PlJS6_EEE10hipError_tPvRmT3_T4_T5_T6_T7_T9_mT8_P12ihipStream_tbDpT10_ENKUlT_T0_E_clISt17integral_constantIbLb1EES1C_IbLb0EEEEDaS18_S19_EUlS18_E_NS1_11comp_targetILNS1_3genE3ELNS1_11target_archE908ELNS1_3gpuE7ELNS1_3repE0EEENS1_30default_config_static_selectorELNS0_4arch9wavefront6targetE0EEEvT1_.num_vgpr, 0
	.set _ZN7rocprim17ROCPRIM_400000_NS6detail17trampoline_kernelINS0_14default_configENS1_25partition_config_selectorILNS1_17partition_subalgoE5EtNS0_10empty_typeEbEEZZNS1_14partition_implILS5_5ELb0ES3_mN6thrust23THRUST_200600_302600_NS6detail15normal_iteratorINSA_10device_ptrItEEEEPS6_NSA_18transform_iteratorINSB_9not_fun_tI7is_trueItEEENSC_INSD_IbEEEENSA_11use_defaultESO_EENS0_5tupleIJSF_S6_EEENSQ_IJSG_SG_EEES6_PlJS6_EEE10hipError_tPvRmT3_T4_T5_T6_T7_T9_mT8_P12ihipStream_tbDpT10_ENKUlT_T0_E_clISt17integral_constantIbLb1EES1C_IbLb0EEEEDaS18_S19_EUlS18_E_NS1_11comp_targetILNS1_3genE3ELNS1_11target_archE908ELNS1_3gpuE7ELNS1_3repE0EEENS1_30default_config_static_selectorELNS0_4arch9wavefront6targetE0EEEvT1_.num_agpr, 0
	.set _ZN7rocprim17ROCPRIM_400000_NS6detail17trampoline_kernelINS0_14default_configENS1_25partition_config_selectorILNS1_17partition_subalgoE5EtNS0_10empty_typeEbEEZZNS1_14partition_implILS5_5ELb0ES3_mN6thrust23THRUST_200600_302600_NS6detail15normal_iteratorINSA_10device_ptrItEEEEPS6_NSA_18transform_iteratorINSB_9not_fun_tI7is_trueItEEENSC_INSD_IbEEEENSA_11use_defaultESO_EENS0_5tupleIJSF_S6_EEENSQ_IJSG_SG_EEES6_PlJS6_EEE10hipError_tPvRmT3_T4_T5_T6_T7_T9_mT8_P12ihipStream_tbDpT10_ENKUlT_T0_E_clISt17integral_constantIbLb1EES1C_IbLb0EEEEDaS18_S19_EUlS18_E_NS1_11comp_targetILNS1_3genE3ELNS1_11target_archE908ELNS1_3gpuE7ELNS1_3repE0EEENS1_30default_config_static_selectorELNS0_4arch9wavefront6targetE0EEEvT1_.numbered_sgpr, 0
	.set _ZN7rocprim17ROCPRIM_400000_NS6detail17trampoline_kernelINS0_14default_configENS1_25partition_config_selectorILNS1_17partition_subalgoE5EtNS0_10empty_typeEbEEZZNS1_14partition_implILS5_5ELb0ES3_mN6thrust23THRUST_200600_302600_NS6detail15normal_iteratorINSA_10device_ptrItEEEEPS6_NSA_18transform_iteratorINSB_9not_fun_tI7is_trueItEEENSC_INSD_IbEEEENSA_11use_defaultESO_EENS0_5tupleIJSF_S6_EEENSQ_IJSG_SG_EEES6_PlJS6_EEE10hipError_tPvRmT3_T4_T5_T6_T7_T9_mT8_P12ihipStream_tbDpT10_ENKUlT_T0_E_clISt17integral_constantIbLb1EES1C_IbLb0EEEEDaS18_S19_EUlS18_E_NS1_11comp_targetILNS1_3genE3ELNS1_11target_archE908ELNS1_3gpuE7ELNS1_3repE0EEENS1_30default_config_static_selectorELNS0_4arch9wavefront6targetE0EEEvT1_.num_named_barrier, 0
	.set _ZN7rocprim17ROCPRIM_400000_NS6detail17trampoline_kernelINS0_14default_configENS1_25partition_config_selectorILNS1_17partition_subalgoE5EtNS0_10empty_typeEbEEZZNS1_14partition_implILS5_5ELb0ES3_mN6thrust23THRUST_200600_302600_NS6detail15normal_iteratorINSA_10device_ptrItEEEEPS6_NSA_18transform_iteratorINSB_9not_fun_tI7is_trueItEEENSC_INSD_IbEEEENSA_11use_defaultESO_EENS0_5tupleIJSF_S6_EEENSQ_IJSG_SG_EEES6_PlJS6_EEE10hipError_tPvRmT3_T4_T5_T6_T7_T9_mT8_P12ihipStream_tbDpT10_ENKUlT_T0_E_clISt17integral_constantIbLb1EES1C_IbLb0EEEEDaS18_S19_EUlS18_E_NS1_11comp_targetILNS1_3genE3ELNS1_11target_archE908ELNS1_3gpuE7ELNS1_3repE0EEENS1_30default_config_static_selectorELNS0_4arch9wavefront6targetE0EEEvT1_.private_seg_size, 0
	.set _ZN7rocprim17ROCPRIM_400000_NS6detail17trampoline_kernelINS0_14default_configENS1_25partition_config_selectorILNS1_17partition_subalgoE5EtNS0_10empty_typeEbEEZZNS1_14partition_implILS5_5ELb0ES3_mN6thrust23THRUST_200600_302600_NS6detail15normal_iteratorINSA_10device_ptrItEEEEPS6_NSA_18transform_iteratorINSB_9not_fun_tI7is_trueItEEENSC_INSD_IbEEEENSA_11use_defaultESO_EENS0_5tupleIJSF_S6_EEENSQ_IJSG_SG_EEES6_PlJS6_EEE10hipError_tPvRmT3_T4_T5_T6_T7_T9_mT8_P12ihipStream_tbDpT10_ENKUlT_T0_E_clISt17integral_constantIbLb1EES1C_IbLb0EEEEDaS18_S19_EUlS18_E_NS1_11comp_targetILNS1_3genE3ELNS1_11target_archE908ELNS1_3gpuE7ELNS1_3repE0EEENS1_30default_config_static_selectorELNS0_4arch9wavefront6targetE0EEEvT1_.uses_vcc, 0
	.set _ZN7rocprim17ROCPRIM_400000_NS6detail17trampoline_kernelINS0_14default_configENS1_25partition_config_selectorILNS1_17partition_subalgoE5EtNS0_10empty_typeEbEEZZNS1_14partition_implILS5_5ELb0ES3_mN6thrust23THRUST_200600_302600_NS6detail15normal_iteratorINSA_10device_ptrItEEEEPS6_NSA_18transform_iteratorINSB_9not_fun_tI7is_trueItEEENSC_INSD_IbEEEENSA_11use_defaultESO_EENS0_5tupleIJSF_S6_EEENSQ_IJSG_SG_EEES6_PlJS6_EEE10hipError_tPvRmT3_T4_T5_T6_T7_T9_mT8_P12ihipStream_tbDpT10_ENKUlT_T0_E_clISt17integral_constantIbLb1EES1C_IbLb0EEEEDaS18_S19_EUlS18_E_NS1_11comp_targetILNS1_3genE3ELNS1_11target_archE908ELNS1_3gpuE7ELNS1_3repE0EEENS1_30default_config_static_selectorELNS0_4arch9wavefront6targetE0EEEvT1_.uses_flat_scratch, 0
	.set _ZN7rocprim17ROCPRIM_400000_NS6detail17trampoline_kernelINS0_14default_configENS1_25partition_config_selectorILNS1_17partition_subalgoE5EtNS0_10empty_typeEbEEZZNS1_14partition_implILS5_5ELb0ES3_mN6thrust23THRUST_200600_302600_NS6detail15normal_iteratorINSA_10device_ptrItEEEEPS6_NSA_18transform_iteratorINSB_9not_fun_tI7is_trueItEEENSC_INSD_IbEEEENSA_11use_defaultESO_EENS0_5tupleIJSF_S6_EEENSQ_IJSG_SG_EEES6_PlJS6_EEE10hipError_tPvRmT3_T4_T5_T6_T7_T9_mT8_P12ihipStream_tbDpT10_ENKUlT_T0_E_clISt17integral_constantIbLb1EES1C_IbLb0EEEEDaS18_S19_EUlS18_E_NS1_11comp_targetILNS1_3genE3ELNS1_11target_archE908ELNS1_3gpuE7ELNS1_3repE0EEENS1_30default_config_static_selectorELNS0_4arch9wavefront6targetE0EEEvT1_.has_dyn_sized_stack, 0
	.set _ZN7rocprim17ROCPRIM_400000_NS6detail17trampoline_kernelINS0_14default_configENS1_25partition_config_selectorILNS1_17partition_subalgoE5EtNS0_10empty_typeEbEEZZNS1_14partition_implILS5_5ELb0ES3_mN6thrust23THRUST_200600_302600_NS6detail15normal_iteratorINSA_10device_ptrItEEEEPS6_NSA_18transform_iteratorINSB_9not_fun_tI7is_trueItEEENSC_INSD_IbEEEENSA_11use_defaultESO_EENS0_5tupleIJSF_S6_EEENSQ_IJSG_SG_EEES6_PlJS6_EEE10hipError_tPvRmT3_T4_T5_T6_T7_T9_mT8_P12ihipStream_tbDpT10_ENKUlT_T0_E_clISt17integral_constantIbLb1EES1C_IbLb0EEEEDaS18_S19_EUlS18_E_NS1_11comp_targetILNS1_3genE3ELNS1_11target_archE908ELNS1_3gpuE7ELNS1_3repE0EEENS1_30default_config_static_selectorELNS0_4arch9wavefront6targetE0EEEvT1_.has_recursion, 0
	.set _ZN7rocprim17ROCPRIM_400000_NS6detail17trampoline_kernelINS0_14default_configENS1_25partition_config_selectorILNS1_17partition_subalgoE5EtNS0_10empty_typeEbEEZZNS1_14partition_implILS5_5ELb0ES3_mN6thrust23THRUST_200600_302600_NS6detail15normal_iteratorINSA_10device_ptrItEEEEPS6_NSA_18transform_iteratorINSB_9not_fun_tI7is_trueItEEENSC_INSD_IbEEEENSA_11use_defaultESO_EENS0_5tupleIJSF_S6_EEENSQ_IJSG_SG_EEES6_PlJS6_EEE10hipError_tPvRmT3_T4_T5_T6_T7_T9_mT8_P12ihipStream_tbDpT10_ENKUlT_T0_E_clISt17integral_constantIbLb1EES1C_IbLb0EEEEDaS18_S19_EUlS18_E_NS1_11comp_targetILNS1_3genE3ELNS1_11target_archE908ELNS1_3gpuE7ELNS1_3repE0EEENS1_30default_config_static_selectorELNS0_4arch9wavefront6targetE0EEEvT1_.has_indirect_call, 0
	.section	.AMDGPU.csdata,"",@progbits
; Kernel info:
; codeLenInByte = 0
; TotalNumSgprs: 0
; NumVgprs: 0
; ScratchSize: 0
; MemoryBound: 0
; FloatMode: 240
; IeeeMode: 1
; LDSByteSize: 0 bytes/workgroup (compile time only)
; SGPRBlocks: 0
; VGPRBlocks: 0
; NumSGPRsForWavesPerEU: 1
; NumVGPRsForWavesPerEU: 1
; Occupancy: 16
; WaveLimiterHint : 0
; COMPUTE_PGM_RSRC2:SCRATCH_EN: 0
; COMPUTE_PGM_RSRC2:USER_SGPR: 2
; COMPUTE_PGM_RSRC2:TRAP_HANDLER: 0
; COMPUTE_PGM_RSRC2:TGID_X_EN: 1
; COMPUTE_PGM_RSRC2:TGID_Y_EN: 0
; COMPUTE_PGM_RSRC2:TGID_Z_EN: 0
; COMPUTE_PGM_RSRC2:TIDIG_COMP_CNT: 0
	.section	.text._ZN7rocprim17ROCPRIM_400000_NS6detail17trampoline_kernelINS0_14default_configENS1_25partition_config_selectorILNS1_17partition_subalgoE5EtNS0_10empty_typeEbEEZZNS1_14partition_implILS5_5ELb0ES3_mN6thrust23THRUST_200600_302600_NS6detail15normal_iteratorINSA_10device_ptrItEEEEPS6_NSA_18transform_iteratorINSB_9not_fun_tI7is_trueItEEENSC_INSD_IbEEEENSA_11use_defaultESO_EENS0_5tupleIJSF_S6_EEENSQ_IJSG_SG_EEES6_PlJS6_EEE10hipError_tPvRmT3_T4_T5_T6_T7_T9_mT8_P12ihipStream_tbDpT10_ENKUlT_T0_E_clISt17integral_constantIbLb1EES1C_IbLb0EEEEDaS18_S19_EUlS18_E_NS1_11comp_targetILNS1_3genE2ELNS1_11target_archE906ELNS1_3gpuE6ELNS1_3repE0EEENS1_30default_config_static_selectorELNS0_4arch9wavefront6targetE0EEEvT1_,"axG",@progbits,_ZN7rocprim17ROCPRIM_400000_NS6detail17trampoline_kernelINS0_14default_configENS1_25partition_config_selectorILNS1_17partition_subalgoE5EtNS0_10empty_typeEbEEZZNS1_14partition_implILS5_5ELb0ES3_mN6thrust23THRUST_200600_302600_NS6detail15normal_iteratorINSA_10device_ptrItEEEEPS6_NSA_18transform_iteratorINSB_9not_fun_tI7is_trueItEEENSC_INSD_IbEEEENSA_11use_defaultESO_EENS0_5tupleIJSF_S6_EEENSQ_IJSG_SG_EEES6_PlJS6_EEE10hipError_tPvRmT3_T4_T5_T6_T7_T9_mT8_P12ihipStream_tbDpT10_ENKUlT_T0_E_clISt17integral_constantIbLb1EES1C_IbLb0EEEEDaS18_S19_EUlS18_E_NS1_11comp_targetILNS1_3genE2ELNS1_11target_archE906ELNS1_3gpuE6ELNS1_3repE0EEENS1_30default_config_static_selectorELNS0_4arch9wavefront6targetE0EEEvT1_,comdat
	.protected	_ZN7rocprim17ROCPRIM_400000_NS6detail17trampoline_kernelINS0_14default_configENS1_25partition_config_selectorILNS1_17partition_subalgoE5EtNS0_10empty_typeEbEEZZNS1_14partition_implILS5_5ELb0ES3_mN6thrust23THRUST_200600_302600_NS6detail15normal_iteratorINSA_10device_ptrItEEEEPS6_NSA_18transform_iteratorINSB_9not_fun_tI7is_trueItEEENSC_INSD_IbEEEENSA_11use_defaultESO_EENS0_5tupleIJSF_S6_EEENSQ_IJSG_SG_EEES6_PlJS6_EEE10hipError_tPvRmT3_T4_T5_T6_T7_T9_mT8_P12ihipStream_tbDpT10_ENKUlT_T0_E_clISt17integral_constantIbLb1EES1C_IbLb0EEEEDaS18_S19_EUlS18_E_NS1_11comp_targetILNS1_3genE2ELNS1_11target_archE906ELNS1_3gpuE6ELNS1_3repE0EEENS1_30default_config_static_selectorELNS0_4arch9wavefront6targetE0EEEvT1_ ; -- Begin function _ZN7rocprim17ROCPRIM_400000_NS6detail17trampoline_kernelINS0_14default_configENS1_25partition_config_selectorILNS1_17partition_subalgoE5EtNS0_10empty_typeEbEEZZNS1_14partition_implILS5_5ELb0ES3_mN6thrust23THRUST_200600_302600_NS6detail15normal_iteratorINSA_10device_ptrItEEEEPS6_NSA_18transform_iteratorINSB_9not_fun_tI7is_trueItEEENSC_INSD_IbEEEENSA_11use_defaultESO_EENS0_5tupleIJSF_S6_EEENSQ_IJSG_SG_EEES6_PlJS6_EEE10hipError_tPvRmT3_T4_T5_T6_T7_T9_mT8_P12ihipStream_tbDpT10_ENKUlT_T0_E_clISt17integral_constantIbLb1EES1C_IbLb0EEEEDaS18_S19_EUlS18_E_NS1_11comp_targetILNS1_3genE2ELNS1_11target_archE906ELNS1_3gpuE6ELNS1_3repE0EEENS1_30default_config_static_selectorELNS0_4arch9wavefront6targetE0EEEvT1_
	.globl	_ZN7rocprim17ROCPRIM_400000_NS6detail17trampoline_kernelINS0_14default_configENS1_25partition_config_selectorILNS1_17partition_subalgoE5EtNS0_10empty_typeEbEEZZNS1_14partition_implILS5_5ELb0ES3_mN6thrust23THRUST_200600_302600_NS6detail15normal_iteratorINSA_10device_ptrItEEEEPS6_NSA_18transform_iteratorINSB_9not_fun_tI7is_trueItEEENSC_INSD_IbEEEENSA_11use_defaultESO_EENS0_5tupleIJSF_S6_EEENSQ_IJSG_SG_EEES6_PlJS6_EEE10hipError_tPvRmT3_T4_T5_T6_T7_T9_mT8_P12ihipStream_tbDpT10_ENKUlT_T0_E_clISt17integral_constantIbLb1EES1C_IbLb0EEEEDaS18_S19_EUlS18_E_NS1_11comp_targetILNS1_3genE2ELNS1_11target_archE906ELNS1_3gpuE6ELNS1_3repE0EEENS1_30default_config_static_selectorELNS0_4arch9wavefront6targetE0EEEvT1_
	.p2align	8
	.type	_ZN7rocprim17ROCPRIM_400000_NS6detail17trampoline_kernelINS0_14default_configENS1_25partition_config_selectorILNS1_17partition_subalgoE5EtNS0_10empty_typeEbEEZZNS1_14partition_implILS5_5ELb0ES3_mN6thrust23THRUST_200600_302600_NS6detail15normal_iteratorINSA_10device_ptrItEEEEPS6_NSA_18transform_iteratorINSB_9not_fun_tI7is_trueItEEENSC_INSD_IbEEEENSA_11use_defaultESO_EENS0_5tupleIJSF_S6_EEENSQ_IJSG_SG_EEES6_PlJS6_EEE10hipError_tPvRmT3_T4_T5_T6_T7_T9_mT8_P12ihipStream_tbDpT10_ENKUlT_T0_E_clISt17integral_constantIbLb1EES1C_IbLb0EEEEDaS18_S19_EUlS18_E_NS1_11comp_targetILNS1_3genE2ELNS1_11target_archE906ELNS1_3gpuE6ELNS1_3repE0EEENS1_30default_config_static_selectorELNS0_4arch9wavefront6targetE0EEEvT1_,@function
_ZN7rocprim17ROCPRIM_400000_NS6detail17trampoline_kernelINS0_14default_configENS1_25partition_config_selectorILNS1_17partition_subalgoE5EtNS0_10empty_typeEbEEZZNS1_14partition_implILS5_5ELb0ES3_mN6thrust23THRUST_200600_302600_NS6detail15normal_iteratorINSA_10device_ptrItEEEEPS6_NSA_18transform_iteratorINSB_9not_fun_tI7is_trueItEEENSC_INSD_IbEEEENSA_11use_defaultESO_EENS0_5tupleIJSF_S6_EEENSQ_IJSG_SG_EEES6_PlJS6_EEE10hipError_tPvRmT3_T4_T5_T6_T7_T9_mT8_P12ihipStream_tbDpT10_ENKUlT_T0_E_clISt17integral_constantIbLb1EES1C_IbLb0EEEEDaS18_S19_EUlS18_E_NS1_11comp_targetILNS1_3genE2ELNS1_11target_archE906ELNS1_3gpuE6ELNS1_3repE0EEENS1_30default_config_static_selectorELNS0_4arch9wavefront6targetE0EEEvT1_: ; @_ZN7rocprim17ROCPRIM_400000_NS6detail17trampoline_kernelINS0_14default_configENS1_25partition_config_selectorILNS1_17partition_subalgoE5EtNS0_10empty_typeEbEEZZNS1_14partition_implILS5_5ELb0ES3_mN6thrust23THRUST_200600_302600_NS6detail15normal_iteratorINSA_10device_ptrItEEEEPS6_NSA_18transform_iteratorINSB_9not_fun_tI7is_trueItEEENSC_INSD_IbEEEENSA_11use_defaultESO_EENS0_5tupleIJSF_S6_EEENSQ_IJSG_SG_EEES6_PlJS6_EEE10hipError_tPvRmT3_T4_T5_T6_T7_T9_mT8_P12ihipStream_tbDpT10_ENKUlT_T0_E_clISt17integral_constantIbLb1EES1C_IbLb0EEEEDaS18_S19_EUlS18_E_NS1_11comp_targetILNS1_3genE2ELNS1_11target_archE906ELNS1_3gpuE6ELNS1_3repE0EEENS1_30default_config_static_selectorELNS0_4arch9wavefront6targetE0EEEvT1_
; %bb.0:
	.section	.rodata,"a",@progbits
	.p2align	6, 0x0
	.amdhsa_kernel _ZN7rocprim17ROCPRIM_400000_NS6detail17trampoline_kernelINS0_14default_configENS1_25partition_config_selectorILNS1_17partition_subalgoE5EtNS0_10empty_typeEbEEZZNS1_14partition_implILS5_5ELb0ES3_mN6thrust23THRUST_200600_302600_NS6detail15normal_iteratorINSA_10device_ptrItEEEEPS6_NSA_18transform_iteratorINSB_9not_fun_tI7is_trueItEEENSC_INSD_IbEEEENSA_11use_defaultESO_EENS0_5tupleIJSF_S6_EEENSQ_IJSG_SG_EEES6_PlJS6_EEE10hipError_tPvRmT3_T4_T5_T6_T7_T9_mT8_P12ihipStream_tbDpT10_ENKUlT_T0_E_clISt17integral_constantIbLb1EES1C_IbLb0EEEEDaS18_S19_EUlS18_E_NS1_11comp_targetILNS1_3genE2ELNS1_11target_archE906ELNS1_3gpuE6ELNS1_3repE0EEENS1_30default_config_static_selectorELNS0_4arch9wavefront6targetE0EEEvT1_
		.amdhsa_group_segment_fixed_size 0
		.amdhsa_private_segment_fixed_size 0
		.amdhsa_kernarg_size 120
		.amdhsa_user_sgpr_count 2
		.amdhsa_user_sgpr_dispatch_ptr 0
		.amdhsa_user_sgpr_queue_ptr 0
		.amdhsa_user_sgpr_kernarg_segment_ptr 1
		.amdhsa_user_sgpr_dispatch_id 0
		.amdhsa_user_sgpr_private_segment_size 0
		.amdhsa_wavefront_size32 1
		.amdhsa_uses_dynamic_stack 0
		.amdhsa_enable_private_segment 0
		.amdhsa_system_sgpr_workgroup_id_x 1
		.amdhsa_system_sgpr_workgroup_id_y 0
		.amdhsa_system_sgpr_workgroup_id_z 0
		.amdhsa_system_sgpr_workgroup_info 0
		.amdhsa_system_vgpr_workitem_id 0
		.amdhsa_next_free_vgpr 1
		.amdhsa_next_free_sgpr 1
		.amdhsa_reserve_vcc 0
		.amdhsa_float_round_mode_32 0
		.amdhsa_float_round_mode_16_64 0
		.amdhsa_float_denorm_mode_32 3
		.amdhsa_float_denorm_mode_16_64 3
		.amdhsa_fp16_overflow 0
		.amdhsa_workgroup_processor_mode 1
		.amdhsa_memory_ordered 1
		.amdhsa_forward_progress 1
		.amdhsa_inst_pref_size 0
		.amdhsa_round_robin_scheduling 0
		.amdhsa_exception_fp_ieee_invalid_op 0
		.amdhsa_exception_fp_denorm_src 0
		.amdhsa_exception_fp_ieee_div_zero 0
		.amdhsa_exception_fp_ieee_overflow 0
		.amdhsa_exception_fp_ieee_underflow 0
		.amdhsa_exception_fp_ieee_inexact 0
		.amdhsa_exception_int_div_zero 0
	.end_amdhsa_kernel
	.section	.text._ZN7rocprim17ROCPRIM_400000_NS6detail17trampoline_kernelINS0_14default_configENS1_25partition_config_selectorILNS1_17partition_subalgoE5EtNS0_10empty_typeEbEEZZNS1_14partition_implILS5_5ELb0ES3_mN6thrust23THRUST_200600_302600_NS6detail15normal_iteratorINSA_10device_ptrItEEEEPS6_NSA_18transform_iteratorINSB_9not_fun_tI7is_trueItEEENSC_INSD_IbEEEENSA_11use_defaultESO_EENS0_5tupleIJSF_S6_EEENSQ_IJSG_SG_EEES6_PlJS6_EEE10hipError_tPvRmT3_T4_T5_T6_T7_T9_mT8_P12ihipStream_tbDpT10_ENKUlT_T0_E_clISt17integral_constantIbLb1EES1C_IbLb0EEEEDaS18_S19_EUlS18_E_NS1_11comp_targetILNS1_3genE2ELNS1_11target_archE906ELNS1_3gpuE6ELNS1_3repE0EEENS1_30default_config_static_selectorELNS0_4arch9wavefront6targetE0EEEvT1_,"axG",@progbits,_ZN7rocprim17ROCPRIM_400000_NS6detail17trampoline_kernelINS0_14default_configENS1_25partition_config_selectorILNS1_17partition_subalgoE5EtNS0_10empty_typeEbEEZZNS1_14partition_implILS5_5ELb0ES3_mN6thrust23THRUST_200600_302600_NS6detail15normal_iteratorINSA_10device_ptrItEEEEPS6_NSA_18transform_iteratorINSB_9not_fun_tI7is_trueItEEENSC_INSD_IbEEEENSA_11use_defaultESO_EENS0_5tupleIJSF_S6_EEENSQ_IJSG_SG_EEES6_PlJS6_EEE10hipError_tPvRmT3_T4_T5_T6_T7_T9_mT8_P12ihipStream_tbDpT10_ENKUlT_T0_E_clISt17integral_constantIbLb1EES1C_IbLb0EEEEDaS18_S19_EUlS18_E_NS1_11comp_targetILNS1_3genE2ELNS1_11target_archE906ELNS1_3gpuE6ELNS1_3repE0EEENS1_30default_config_static_selectorELNS0_4arch9wavefront6targetE0EEEvT1_,comdat
.Lfunc_end2481:
	.size	_ZN7rocprim17ROCPRIM_400000_NS6detail17trampoline_kernelINS0_14default_configENS1_25partition_config_selectorILNS1_17partition_subalgoE5EtNS0_10empty_typeEbEEZZNS1_14partition_implILS5_5ELb0ES3_mN6thrust23THRUST_200600_302600_NS6detail15normal_iteratorINSA_10device_ptrItEEEEPS6_NSA_18transform_iteratorINSB_9not_fun_tI7is_trueItEEENSC_INSD_IbEEEENSA_11use_defaultESO_EENS0_5tupleIJSF_S6_EEENSQ_IJSG_SG_EEES6_PlJS6_EEE10hipError_tPvRmT3_T4_T5_T6_T7_T9_mT8_P12ihipStream_tbDpT10_ENKUlT_T0_E_clISt17integral_constantIbLb1EES1C_IbLb0EEEEDaS18_S19_EUlS18_E_NS1_11comp_targetILNS1_3genE2ELNS1_11target_archE906ELNS1_3gpuE6ELNS1_3repE0EEENS1_30default_config_static_selectorELNS0_4arch9wavefront6targetE0EEEvT1_, .Lfunc_end2481-_ZN7rocprim17ROCPRIM_400000_NS6detail17trampoline_kernelINS0_14default_configENS1_25partition_config_selectorILNS1_17partition_subalgoE5EtNS0_10empty_typeEbEEZZNS1_14partition_implILS5_5ELb0ES3_mN6thrust23THRUST_200600_302600_NS6detail15normal_iteratorINSA_10device_ptrItEEEEPS6_NSA_18transform_iteratorINSB_9not_fun_tI7is_trueItEEENSC_INSD_IbEEEENSA_11use_defaultESO_EENS0_5tupleIJSF_S6_EEENSQ_IJSG_SG_EEES6_PlJS6_EEE10hipError_tPvRmT3_T4_T5_T6_T7_T9_mT8_P12ihipStream_tbDpT10_ENKUlT_T0_E_clISt17integral_constantIbLb1EES1C_IbLb0EEEEDaS18_S19_EUlS18_E_NS1_11comp_targetILNS1_3genE2ELNS1_11target_archE906ELNS1_3gpuE6ELNS1_3repE0EEENS1_30default_config_static_selectorELNS0_4arch9wavefront6targetE0EEEvT1_
                                        ; -- End function
	.set _ZN7rocprim17ROCPRIM_400000_NS6detail17trampoline_kernelINS0_14default_configENS1_25partition_config_selectorILNS1_17partition_subalgoE5EtNS0_10empty_typeEbEEZZNS1_14partition_implILS5_5ELb0ES3_mN6thrust23THRUST_200600_302600_NS6detail15normal_iteratorINSA_10device_ptrItEEEEPS6_NSA_18transform_iteratorINSB_9not_fun_tI7is_trueItEEENSC_INSD_IbEEEENSA_11use_defaultESO_EENS0_5tupleIJSF_S6_EEENSQ_IJSG_SG_EEES6_PlJS6_EEE10hipError_tPvRmT3_T4_T5_T6_T7_T9_mT8_P12ihipStream_tbDpT10_ENKUlT_T0_E_clISt17integral_constantIbLb1EES1C_IbLb0EEEEDaS18_S19_EUlS18_E_NS1_11comp_targetILNS1_3genE2ELNS1_11target_archE906ELNS1_3gpuE6ELNS1_3repE0EEENS1_30default_config_static_selectorELNS0_4arch9wavefront6targetE0EEEvT1_.num_vgpr, 0
	.set _ZN7rocprim17ROCPRIM_400000_NS6detail17trampoline_kernelINS0_14default_configENS1_25partition_config_selectorILNS1_17partition_subalgoE5EtNS0_10empty_typeEbEEZZNS1_14partition_implILS5_5ELb0ES3_mN6thrust23THRUST_200600_302600_NS6detail15normal_iteratorINSA_10device_ptrItEEEEPS6_NSA_18transform_iteratorINSB_9not_fun_tI7is_trueItEEENSC_INSD_IbEEEENSA_11use_defaultESO_EENS0_5tupleIJSF_S6_EEENSQ_IJSG_SG_EEES6_PlJS6_EEE10hipError_tPvRmT3_T4_T5_T6_T7_T9_mT8_P12ihipStream_tbDpT10_ENKUlT_T0_E_clISt17integral_constantIbLb1EES1C_IbLb0EEEEDaS18_S19_EUlS18_E_NS1_11comp_targetILNS1_3genE2ELNS1_11target_archE906ELNS1_3gpuE6ELNS1_3repE0EEENS1_30default_config_static_selectorELNS0_4arch9wavefront6targetE0EEEvT1_.num_agpr, 0
	.set _ZN7rocprim17ROCPRIM_400000_NS6detail17trampoline_kernelINS0_14default_configENS1_25partition_config_selectorILNS1_17partition_subalgoE5EtNS0_10empty_typeEbEEZZNS1_14partition_implILS5_5ELb0ES3_mN6thrust23THRUST_200600_302600_NS6detail15normal_iteratorINSA_10device_ptrItEEEEPS6_NSA_18transform_iteratorINSB_9not_fun_tI7is_trueItEEENSC_INSD_IbEEEENSA_11use_defaultESO_EENS0_5tupleIJSF_S6_EEENSQ_IJSG_SG_EEES6_PlJS6_EEE10hipError_tPvRmT3_T4_T5_T6_T7_T9_mT8_P12ihipStream_tbDpT10_ENKUlT_T0_E_clISt17integral_constantIbLb1EES1C_IbLb0EEEEDaS18_S19_EUlS18_E_NS1_11comp_targetILNS1_3genE2ELNS1_11target_archE906ELNS1_3gpuE6ELNS1_3repE0EEENS1_30default_config_static_selectorELNS0_4arch9wavefront6targetE0EEEvT1_.numbered_sgpr, 0
	.set _ZN7rocprim17ROCPRIM_400000_NS6detail17trampoline_kernelINS0_14default_configENS1_25partition_config_selectorILNS1_17partition_subalgoE5EtNS0_10empty_typeEbEEZZNS1_14partition_implILS5_5ELb0ES3_mN6thrust23THRUST_200600_302600_NS6detail15normal_iteratorINSA_10device_ptrItEEEEPS6_NSA_18transform_iteratorINSB_9not_fun_tI7is_trueItEEENSC_INSD_IbEEEENSA_11use_defaultESO_EENS0_5tupleIJSF_S6_EEENSQ_IJSG_SG_EEES6_PlJS6_EEE10hipError_tPvRmT3_T4_T5_T6_T7_T9_mT8_P12ihipStream_tbDpT10_ENKUlT_T0_E_clISt17integral_constantIbLb1EES1C_IbLb0EEEEDaS18_S19_EUlS18_E_NS1_11comp_targetILNS1_3genE2ELNS1_11target_archE906ELNS1_3gpuE6ELNS1_3repE0EEENS1_30default_config_static_selectorELNS0_4arch9wavefront6targetE0EEEvT1_.num_named_barrier, 0
	.set _ZN7rocprim17ROCPRIM_400000_NS6detail17trampoline_kernelINS0_14default_configENS1_25partition_config_selectorILNS1_17partition_subalgoE5EtNS0_10empty_typeEbEEZZNS1_14partition_implILS5_5ELb0ES3_mN6thrust23THRUST_200600_302600_NS6detail15normal_iteratorINSA_10device_ptrItEEEEPS6_NSA_18transform_iteratorINSB_9not_fun_tI7is_trueItEEENSC_INSD_IbEEEENSA_11use_defaultESO_EENS0_5tupleIJSF_S6_EEENSQ_IJSG_SG_EEES6_PlJS6_EEE10hipError_tPvRmT3_T4_T5_T6_T7_T9_mT8_P12ihipStream_tbDpT10_ENKUlT_T0_E_clISt17integral_constantIbLb1EES1C_IbLb0EEEEDaS18_S19_EUlS18_E_NS1_11comp_targetILNS1_3genE2ELNS1_11target_archE906ELNS1_3gpuE6ELNS1_3repE0EEENS1_30default_config_static_selectorELNS0_4arch9wavefront6targetE0EEEvT1_.private_seg_size, 0
	.set _ZN7rocprim17ROCPRIM_400000_NS6detail17trampoline_kernelINS0_14default_configENS1_25partition_config_selectorILNS1_17partition_subalgoE5EtNS0_10empty_typeEbEEZZNS1_14partition_implILS5_5ELb0ES3_mN6thrust23THRUST_200600_302600_NS6detail15normal_iteratorINSA_10device_ptrItEEEEPS6_NSA_18transform_iteratorINSB_9not_fun_tI7is_trueItEEENSC_INSD_IbEEEENSA_11use_defaultESO_EENS0_5tupleIJSF_S6_EEENSQ_IJSG_SG_EEES6_PlJS6_EEE10hipError_tPvRmT3_T4_T5_T6_T7_T9_mT8_P12ihipStream_tbDpT10_ENKUlT_T0_E_clISt17integral_constantIbLb1EES1C_IbLb0EEEEDaS18_S19_EUlS18_E_NS1_11comp_targetILNS1_3genE2ELNS1_11target_archE906ELNS1_3gpuE6ELNS1_3repE0EEENS1_30default_config_static_selectorELNS0_4arch9wavefront6targetE0EEEvT1_.uses_vcc, 0
	.set _ZN7rocprim17ROCPRIM_400000_NS6detail17trampoline_kernelINS0_14default_configENS1_25partition_config_selectorILNS1_17partition_subalgoE5EtNS0_10empty_typeEbEEZZNS1_14partition_implILS5_5ELb0ES3_mN6thrust23THRUST_200600_302600_NS6detail15normal_iteratorINSA_10device_ptrItEEEEPS6_NSA_18transform_iteratorINSB_9not_fun_tI7is_trueItEEENSC_INSD_IbEEEENSA_11use_defaultESO_EENS0_5tupleIJSF_S6_EEENSQ_IJSG_SG_EEES6_PlJS6_EEE10hipError_tPvRmT3_T4_T5_T6_T7_T9_mT8_P12ihipStream_tbDpT10_ENKUlT_T0_E_clISt17integral_constantIbLb1EES1C_IbLb0EEEEDaS18_S19_EUlS18_E_NS1_11comp_targetILNS1_3genE2ELNS1_11target_archE906ELNS1_3gpuE6ELNS1_3repE0EEENS1_30default_config_static_selectorELNS0_4arch9wavefront6targetE0EEEvT1_.uses_flat_scratch, 0
	.set _ZN7rocprim17ROCPRIM_400000_NS6detail17trampoline_kernelINS0_14default_configENS1_25partition_config_selectorILNS1_17partition_subalgoE5EtNS0_10empty_typeEbEEZZNS1_14partition_implILS5_5ELb0ES3_mN6thrust23THRUST_200600_302600_NS6detail15normal_iteratorINSA_10device_ptrItEEEEPS6_NSA_18transform_iteratorINSB_9not_fun_tI7is_trueItEEENSC_INSD_IbEEEENSA_11use_defaultESO_EENS0_5tupleIJSF_S6_EEENSQ_IJSG_SG_EEES6_PlJS6_EEE10hipError_tPvRmT3_T4_T5_T6_T7_T9_mT8_P12ihipStream_tbDpT10_ENKUlT_T0_E_clISt17integral_constantIbLb1EES1C_IbLb0EEEEDaS18_S19_EUlS18_E_NS1_11comp_targetILNS1_3genE2ELNS1_11target_archE906ELNS1_3gpuE6ELNS1_3repE0EEENS1_30default_config_static_selectorELNS0_4arch9wavefront6targetE0EEEvT1_.has_dyn_sized_stack, 0
	.set _ZN7rocprim17ROCPRIM_400000_NS6detail17trampoline_kernelINS0_14default_configENS1_25partition_config_selectorILNS1_17partition_subalgoE5EtNS0_10empty_typeEbEEZZNS1_14partition_implILS5_5ELb0ES3_mN6thrust23THRUST_200600_302600_NS6detail15normal_iteratorINSA_10device_ptrItEEEEPS6_NSA_18transform_iteratorINSB_9not_fun_tI7is_trueItEEENSC_INSD_IbEEEENSA_11use_defaultESO_EENS0_5tupleIJSF_S6_EEENSQ_IJSG_SG_EEES6_PlJS6_EEE10hipError_tPvRmT3_T4_T5_T6_T7_T9_mT8_P12ihipStream_tbDpT10_ENKUlT_T0_E_clISt17integral_constantIbLb1EES1C_IbLb0EEEEDaS18_S19_EUlS18_E_NS1_11comp_targetILNS1_3genE2ELNS1_11target_archE906ELNS1_3gpuE6ELNS1_3repE0EEENS1_30default_config_static_selectorELNS0_4arch9wavefront6targetE0EEEvT1_.has_recursion, 0
	.set _ZN7rocprim17ROCPRIM_400000_NS6detail17trampoline_kernelINS0_14default_configENS1_25partition_config_selectorILNS1_17partition_subalgoE5EtNS0_10empty_typeEbEEZZNS1_14partition_implILS5_5ELb0ES3_mN6thrust23THRUST_200600_302600_NS6detail15normal_iteratorINSA_10device_ptrItEEEEPS6_NSA_18transform_iteratorINSB_9not_fun_tI7is_trueItEEENSC_INSD_IbEEEENSA_11use_defaultESO_EENS0_5tupleIJSF_S6_EEENSQ_IJSG_SG_EEES6_PlJS6_EEE10hipError_tPvRmT3_T4_T5_T6_T7_T9_mT8_P12ihipStream_tbDpT10_ENKUlT_T0_E_clISt17integral_constantIbLb1EES1C_IbLb0EEEEDaS18_S19_EUlS18_E_NS1_11comp_targetILNS1_3genE2ELNS1_11target_archE906ELNS1_3gpuE6ELNS1_3repE0EEENS1_30default_config_static_selectorELNS0_4arch9wavefront6targetE0EEEvT1_.has_indirect_call, 0
	.section	.AMDGPU.csdata,"",@progbits
; Kernel info:
; codeLenInByte = 0
; TotalNumSgprs: 0
; NumVgprs: 0
; ScratchSize: 0
; MemoryBound: 0
; FloatMode: 240
; IeeeMode: 1
; LDSByteSize: 0 bytes/workgroup (compile time only)
; SGPRBlocks: 0
; VGPRBlocks: 0
; NumSGPRsForWavesPerEU: 1
; NumVGPRsForWavesPerEU: 1
; Occupancy: 16
; WaveLimiterHint : 0
; COMPUTE_PGM_RSRC2:SCRATCH_EN: 0
; COMPUTE_PGM_RSRC2:USER_SGPR: 2
; COMPUTE_PGM_RSRC2:TRAP_HANDLER: 0
; COMPUTE_PGM_RSRC2:TGID_X_EN: 1
; COMPUTE_PGM_RSRC2:TGID_Y_EN: 0
; COMPUTE_PGM_RSRC2:TGID_Z_EN: 0
; COMPUTE_PGM_RSRC2:TIDIG_COMP_CNT: 0
	.section	.text._ZN7rocprim17ROCPRIM_400000_NS6detail17trampoline_kernelINS0_14default_configENS1_25partition_config_selectorILNS1_17partition_subalgoE5EtNS0_10empty_typeEbEEZZNS1_14partition_implILS5_5ELb0ES3_mN6thrust23THRUST_200600_302600_NS6detail15normal_iteratorINSA_10device_ptrItEEEEPS6_NSA_18transform_iteratorINSB_9not_fun_tI7is_trueItEEENSC_INSD_IbEEEENSA_11use_defaultESO_EENS0_5tupleIJSF_S6_EEENSQ_IJSG_SG_EEES6_PlJS6_EEE10hipError_tPvRmT3_T4_T5_T6_T7_T9_mT8_P12ihipStream_tbDpT10_ENKUlT_T0_E_clISt17integral_constantIbLb1EES1C_IbLb0EEEEDaS18_S19_EUlS18_E_NS1_11comp_targetILNS1_3genE10ELNS1_11target_archE1200ELNS1_3gpuE4ELNS1_3repE0EEENS1_30default_config_static_selectorELNS0_4arch9wavefront6targetE0EEEvT1_,"axG",@progbits,_ZN7rocprim17ROCPRIM_400000_NS6detail17trampoline_kernelINS0_14default_configENS1_25partition_config_selectorILNS1_17partition_subalgoE5EtNS0_10empty_typeEbEEZZNS1_14partition_implILS5_5ELb0ES3_mN6thrust23THRUST_200600_302600_NS6detail15normal_iteratorINSA_10device_ptrItEEEEPS6_NSA_18transform_iteratorINSB_9not_fun_tI7is_trueItEEENSC_INSD_IbEEEENSA_11use_defaultESO_EENS0_5tupleIJSF_S6_EEENSQ_IJSG_SG_EEES6_PlJS6_EEE10hipError_tPvRmT3_T4_T5_T6_T7_T9_mT8_P12ihipStream_tbDpT10_ENKUlT_T0_E_clISt17integral_constantIbLb1EES1C_IbLb0EEEEDaS18_S19_EUlS18_E_NS1_11comp_targetILNS1_3genE10ELNS1_11target_archE1200ELNS1_3gpuE4ELNS1_3repE0EEENS1_30default_config_static_selectorELNS0_4arch9wavefront6targetE0EEEvT1_,comdat
	.protected	_ZN7rocprim17ROCPRIM_400000_NS6detail17trampoline_kernelINS0_14default_configENS1_25partition_config_selectorILNS1_17partition_subalgoE5EtNS0_10empty_typeEbEEZZNS1_14partition_implILS5_5ELb0ES3_mN6thrust23THRUST_200600_302600_NS6detail15normal_iteratorINSA_10device_ptrItEEEEPS6_NSA_18transform_iteratorINSB_9not_fun_tI7is_trueItEEENSC_INSD_IbEEEENSA_11use_defaultESO_EENS0_5tupleIJSF_S6_EEENSQ_IJSG_SG_EEES6_PlJS6_EEE10hipError_tPvRmT3_T4_T5_T6_T7_T9_mT8_P12ihipStream_tbDpT10_ENKUlT_T0_E_clISt17integral_constantIbLb1EES1C_IbLb0EEEEDaS18_S19_EUlS18_E_NS1_11comp_targetILNS1_3genE10ELNS1_11target_archE1200ELNS1_3gpuE4ELNS1_3repE0EEENS1_30default_config_static_selectorELNS0_4arch9wavefront6targetE0EEEvT1_ ; -- Begin function _ZN7rocprim17ROCPRIM_400000_NS6detail17trampoline_kernelINS0_14default_configENS1_25partition_config_selectorILNS1_17partition_subalgoE5EtNS0_10empty_typeEbEEZZNS1_14partition_implILS5_5ELb0ES3_mN6thrust23THRUST_200600_302600_NS6detail15normal_iteratorINSA_10device_ptrItEEEEPS6_NSA_18transform_iteratorINSB_9not_fun_tI7is_trueItEEENSC_INSD_IbEEEENSA_11use_defaultESO_EENS0_5tupleIJSF_S6_EEENSQ_IJSG_SG_EEES6_PlJS6_EEE10hipError_tPvRmT3_T4_T5_T6_T7_T9_mT8_P12ihipStream_tbDpT10_ENKUlT_T0_E_clISt17integral_constantIbLb1EES1C_IbLb0EEEEDaS18_S19_EUlS18_E_NS1_11comp_targetILNS1_3genE10ELNS1_11target_archE1200ELNS1_3gpuE4ELNS1_3repE0EEENS1_30default_config_static_selectorELNS0_4arch9wavefront6targetE0EEEvT1_
	.globl	_ZN7rocprim17ROCPRIM_400000_NS6detail17trampoline_kernelINS0_14default_configENS1_25partition_config_selectorILNS1_17partition_subalgoE5EtNS0_10empty_typeEbEEZZNS1_14partition_implILS5_5ELb0ES3_mN6thrust23THRUST_200600_302600_NS6detail15normal_iteratorINSA_10device_ptrItEEEEPS6_NSA_18transform_iteratorINSB_9not_fun_tI7is_trueItEEENSC_INSD_IbEEEENSA_11use_defaultESO_EENS0_5tupleIJSF_S6_EEENSQ_IJSG_SG_EEES6_PlJS6_EEE10hipError_tPvRmT3_T4_T5_T6_T7_T9_mT8_P12ihipStream_tbDpT10_ENKUlT_T0_E_clISt17integral_constantIbLb1EES1C_IbLb0EEEEDaS18_S19_EUlS18_E_NS1_11comp_targetILNS1_3genE10ELNS1_11target_archE1200ELNS1_3gpuE4ELNS1_3repE0EEENS1_30default_config_static_selectorELNS0_4arch9wavefront6targetE0EEEvT1_
	.p2align	8
	.type	_ZN7rocprim17ROCPRIM_400000_NS6detail17trampoline_kernelINS0_14default_configENS1_25partition_config_selectorILNS1_17partition_subalgoE5EtNS0_10empty_typeEbEEZZNS1_14partition_implILS5_5ELb0ES3_mN6thrust23THRUST_200600_302600_NS6detail15normal_iteratorINSA_10device_ptrItEEEEPS6_NSA_18transform_iteratorINSB_9not_fun_tI7is_trueItEEENSC_INSD_IbEEEENSA_11use_defaultESO_EENS0_5tupleIJSF_S6_EEENSQ_IJSG_SG_EEES6_PlJS6_EEE10hipError_tPvRmT3_T4_T5_T6_T7_T9_mT8_P12ihipStream_tbDpT10_ENKUlT_T0_E_clISt17integral_constantIbLb1EES1C_IbLb0EEEEDaS18_S19_EUlS18_E_NS1_11comp_targetILNS1_3genE10ELNS1_11target_archE1200ELNS1_3gpuE4ELNS1_3repE0EEENS1_30default_config_static_selectorELNS0_4arch9wavefront6targetE0EEEvT1_,@function
_ZN7rocprim17ROCPRIM_400000_NS6detail17trampoline_kernelINS0_14default_configENS1_25partition_config_selectorILNS1_17partition_subalgoE5EtNS0_10empty_typeEbEEZZNS1_14partition_implILS5_5ELb0ES3_mN6thrust23THRUST_200600_302600_NS6detail15normal_iteratorINSA_10device_ptrItEEEEPS6_NSA_18transform_iteratorINSB_9not_fun_tI7is_trueItEEENSC_INSD_IbEEEENSA_11use_defaultESO_EENS0_5tupleIJSF_S6_EEENSQ_IJSG_SG_EEES6_PlJS6_EEE10hipError_tPvRmT3_T4_T5_T6_T7_T9_mT8_P12ihipStream_tbDpT10_ENKUlT_T0_E_clISt17integral_constantIbLb1EES1C_IbLb0EEEEDaS18_S19_EUlS18_E_NS1_11comp_targetILNS1_3genE10ELNS1_11target_archE1200ELNS1_3gpuE4ELNS1_3repE0EEENS1_30default_config_static_selectorELNS0_4arch9wavefront6targetE0EEEvT1_: ; @_ZN7rocprim17ROCPRIM_400000_NS6detail17trampoline_kernelINS0_14default_configENS1_25partition_config_selectorILNS1_17partition_subalgoE5EtNS0_10empty_typeEbEEZZNS1_14partition_implILS5_5ELb0ES3_mN6thrust23THRUST_200600_302600_NS6detail15normal_iteratorINSA_10device_ptrItEEEEPS6_NSA_18transform_iteratorINSB_9not_fun_tI7is_trueItEEENSC_INSD_IbEEEENSA_11use_defaultESO_EENS0_5tupleIJSF_S6_EEENSQ_IJSG_SG_EEES6_PlJS6_EEE10hipError_tPvRmT3_T4_T5_T6_T7_T9_mT8_P12ihipStream_tbDpT10_ENKUlT_T0_E_clISt17integral_constantIbLb1EES1C_IbLb0EEEEDaS18_S19_EUlS18_E_NS1_11comp_targetILNS1_3genE10ELNS1_11target_archE1200ELNS1_3gpuE4ELNS1_3repE0EEENS1_30default_config_static_selectorELNS0_4arch9wavefront6targetE0EEEvT1_
; %bb.0:
	s_endpgm
	.section	.rodata,"a",@progbits
	.p2align	6, 0x0
	.amdhsa_kernel _ZN7rocprim17ROCPRIM_400000_NS6detail17trampoline_kernelINS0_14default_configENS1_25partition_config_selectorILNS1_17partition_subalgoE5EtNS0_10empty_typeEbEEZZNS1_14partition_implILS5_5ELb0ES3_mN6thrust23THRUST_200600_302600_NS6detail15normal_iteratorINSA_10device_ptrItEEEEPS6_NSA_18transform_iteratorINSB_9not_fun_tI7is_trueItEEENSC_INSD_IbEEEENSA_11use_defaultESO_EENS0_5tupleIJSF_S6_EEENSQ_IJSG_SG_EEES6_PlJS6_EEE10hipError_tPvRmT3_T4_T5_T6_T7_T9_mT8_P12ihipStream_tbDpT10_ENKUlT_T0_E_clISt17integral_constantIbLb1EES1C_IbLb0EEEEDaS18_S19_EUlS18_E_NS1_11comp_targetILNS1_3genE10ELNS1_11target_archE1200ELNS1_3gpuE4ELNS1_3repE0EEENS1_30default_config_static_selectorELNS0_4arch9wavefront6targetE0EEEvT1_
		.amdhsa_group_segment_fixed_size 0
		.amdhsa_private_segment_fixed_size 0
		.amdhsa_kernarg_size 120
		.amdhsa_user_sgpr_count 2
		.amdhsa_user_sgpr_dispatch_ptr 0
		.amdhsa_user_sgpr_queue_ptr 0
		.amdhsa_user_sgpr_kernarg_segment_ptr 1
		.amdhsa_user_sgpr_dispatch_id 0
		.amdhsa_user_sgpr_private_segment_size 0
		.amdhsa_wavefront_size32 1
		.amdhsa_uses_dynamic_stack 0
		.amdhsa_enable_private_segment 0
		.amdhsa_system_sgpr_workgroup_id_x 1
		.amdhsa_system_sgpr_workgroup_id_y 0
		.amdhsa_system_sgpr_workgroup_id_z 0
		.amdhsa_system_sgpr_workgroup_info 0
		.amdhsa_system_vgpr_workitem_id 0
		.amdhsa_next_free_vgpr 1
		.amdhsa_next_free_sgpr 1
		.amdhsa_reserve_vcc 0
		.amdhsa_float_round_mode_32 0
		.amdhsa_float_round_mode_16_64 0
		.amdhsa_float_denorm_mode_32 3
		.amdhsa_float_denorm_mode_16_64 3
		.amdhsa_fp16_overflow 0
		.amdhsa_workgroup_processor_mode 1
		.amdhsa_memory_ordered 1
		.amdhsa_forward_progress 1
		.amdhsa_inst_pref_size 1
		.amdhsa_round_robin_scheduling 0
		.amdhsa_exception_fp_ieee_invalid_op 0
		.amdhsa_exception_fp_denorm_src 0
		.amdhsa_exception_fp_ieee_div_zero 0
		.amdhsa_exception_fp_ieee_overflow 0
		.amdhsa_exception_fp_ieee_underflow 0
		.amdhsa_exception_fp_ieee_inexact 0
		.amdhsa_exception_int_div_zero 0
	.end_amdhsa_kernel
	.section	.text._ZN7rocprim17ROCPRIM_400000_NS6detail17trampoline_kernelINS0_14default_configENS1_25partition_config_selectorILNS1_17partition_subalgoE5EtNS0_10empty_typeEbEEZZNS1_14partition_implILS5_5ELb0ES3_mN6thrust23THRUST_200600_302600_NS6detail15normal_iteratorINSA_10device_ptrItEEEEPS6_NSA_18transform_iteratorINSB_9not_fun_tI7is_trueItEEENSC_INSD_IbEEEENSA_11use_defaultESO_EENS0_5tupleIJSF_S6_EEENSQ_IJSG_SG_EEES6_PlJS6_EEE10hipError_tPvRmT3_T4_T5_T6_T7_T9_mT8_P12ihipStream_tbDpT10_ENKUlT_T0_E_clISt17integral_constantIbLb1EES1C_IbLb0EEEEDaS18_S19_EUlS18_E_NS1_11comp_targetILNS1_3genE10ELNS1_11target_archE1200ELNS1_3gpuE4ELNS1_3repE0EEENS1_30default_config_static_selectorELNS0_4arch9wavefront6targetE0EEEvT1_,"axG",@progbits,_ZN7rocprim17ROCPRIM_400000_NS6detail17trampoline_kernelINS0_14default_configENS1_25partition_config_selectorILNS1_17partition_subalgoE5EtNS0_10empty_typeEbEEZZNS1_14partition_implILS5_5ELb0ES3_mN6thrust23THRUST_200600_302600_NS6detail15normal_iteratorINSA_10device_ptrItEEEEPS6_NSA_18transform_iteratorINSB_9not_fun_tI7is_trueItEEENSC_INSD_IbEEEENSA_11use_defaultESO_EENS0_5tupleIJSF_S6_EEENSQ_IJSG_SG_EEES6_PlJS6_EEE10hipError_tPvRmT3_T4_T5_T6_T7_T9_mT8_P12ihipStream_tbDpT10_ENKUlT_T0_E_clISt17integral_constantIbLb1EES1C_IbLb0EEEEDaS18_S19_EUlS18_E_NS1_11comp_targetILNS1_3genE10ELNS1_11target_archE1200ELNS1_3gpuE4ELNS1_3repE0EEENS1_30default_config_static_selectorELNS0_4arch9wavefront6targetE0EEEvT1_,comdat
.Lfunc_end2482:
	.size	_ZN7rocprim17ROCPRIM_400000_NS6detail17trampoline_kernelINS0_14default_configENS1_25partition_config_selectorILNS1_17partition_subalgoE5EtNS0_10empty_typeEbEEZZNS1_14partition_implILS5_5ELb0ES3_mN6thrust23THRUST_200600_302600_NS6detail15normal_iteratorINSA_10device_ptrItEEEEPS6_NSA_18transform_iteratorINSB_9not_fun_tI7is_trueItEEENSC_INSD_IbEEEENSA_11use_defaultESO_EENS0_5tupleIJSF_S6_EEENSQ_IJSG_SG_EEES6_PlJS6_EEE10hipError_tPvRmT3_T4_T5_T6_T7_T9_mT8_P12ihipStream_tbDpT10_ENKUlT_T0_E_clISt17integral_constantIbLb1EES1C_IbLb0EEEEDaS18_S19_EUlS18_E_NS1_11comp_targetILNS1_3genE10ELNS1_11target_archE1200ELNS1_3gpuE4ELNS1_3repE0EEENS1_30default_config_static_selectorELNS0_4arch9wavefront6targetE0EEEvT1_, .Lfunc_end2482-_ZN7rocprim17ROCPRIM_400000_NS6detail17trampoline_kernelINS0_14default_configENS1_25partition_config_selectorILNS1_17partition_subalgoE5EtNS0_10empty_typeEbEEZZNS1_14partition_implILS5_5ELb0ES3_mN6thrust23THRUST_200600_302600_NS6detail15normal_iteratorINSA_10device_ptrItEEEEPS6_NSA_18transform_iteratorINSB_9not_fun_tI7is_trueItEEENSC_INSD_IbEEEENSA_11use_defaultESO_EENS0_5tupleIJSF_S6_EEENSQ_IJSG_SG_EEES6_PlJS6_EEE10hipError_tPvRmT3_T4_T5_T6_T7_T9_mT8_P12ihipStream_tbDpT10_ENKUlT_T0_E_clISt17integral_constantIbLb1EES1C_IbLb0EEEEDaS18_S19_EUlS18_E_NS1_11comp_targetILNS1_3genE10ELNS1_11target_archE1200ELNS1_3gpuE4ELNS1_3repE0EEENS1_30default_config_static_selectorELNS0_4arch9wavefront6targetE0EEEvT1_
                                        ; -- End function
	.set _ZN7rocprim17ROCPRIM_400000_NS6detail17trampoline_kernelINS0_14default_configENS1_25partition_config_selectorILNS1_17partition_subalgoE5EtNS0_10empty_typeEbEEZZNS1_14partition_implILS5_5ELb0ES3_mN6thrust23THRUST_200600_302600_NS6detail15normal_iteratorINSA_10device_ptrItEEEEPS6_NSA_18transform_iteratorINSB_9not_fun_tI7is_trueItEEENSC_INSD_IbEEEENSA_11use_defaultESO_EENS0_5tupleIJSF_S6_EEENSQ_IJSG_SG_EEES6_PlJS6_EEE10hipError_tPvRmT3_T4_T5_T6_T7_T9_mT8_P12ihipStream_tbDpT10_ENKUlT_T0_E_clISt17integral_constantIbLb1EES1C_IbLb0EEEEDaS18_S19_EUlS18_E_NS1_11comp_targetILNS1_3genE10ELNS1_11target_archE1200ELNS1_3gpuE4ELNS1_3repE0EEENS1_30default_config_static_selectorELNS0_4arch9wavefront6targetE0EEEvT1_.num_vgpr, 0
	.set _ZN7rocprim17ROCPRIM_400000_NS6detail17trampoline_kernelINS0_14default_configENS1_25partition_config_selectorILNS1_17partition_subalgoE5EtNS0_10empty_typeEbEEZZNS1_14partition_implILS5_5ELb0ES3_mN6thrust23THRUST_200600_302600_NS6detail15normal_iteratorINSA_10device_ptrItEEEEPS6_NSA_18transform_iteratorINSB_9not_fun_tI7is_trueItEEENSC_INSD_IbEEEENSA_11use_defaultESO_EENS0_5tupleIJSF_S6_EEENSQ_IJSG_SG_EEES6_PlJS6_EEE10hipError_tPvRmT3_T4_T5_T6_T7_T9_mT8_P12ihipStream_tbDpT10_ENKUlT_T0_E_clISt17integral_constantIbLb1EES1C_IbLb0EEEEDaS18_S19_EUlS18_E_NS1_11comp_targetILNS1_3genE10ELNS1_11target_archE1200ELNS1_3gpuE4ELNS1_3repE0EEENS1_30default_config_static_selectorELNS0_4arch9wavefront6targetE0EEEvT1_.num_agpr, 0
	.set _ZN7rocprim17ROCPRIM_400000_NS6detail17trampoline_kernelINS0_14default_configENS1_25partition_config_selectorILNS1_17partition_subalgoE5EtNS0_10empty_typeEbEEZZNS1_14partition_implILS5_5ELb0ES3_mN6thrust23THRUST_200600_302600_NS6detail15normal_iteratorINSA_10device_ptrItEEEEPS6_NSA_18transform_iteratorINSB_9not_fun_tI7is_trueItEEENSC_INSD_IbEEEENSA_11use_defaultESO_EENS0_5tupleIJSF_S6_EEENSQ_IJSG_SG_EEES6_PlJS6_EEE10hipError_tPvRmT3_T4_T5_T6_T7_T9_mT8_P12ihipStream_tbDpT10_ENKUlT_T0_E_clISt17integral_constantIbLb1EES1C_IbLb0EEEEDaS18_S19_EUlS18_E_NS1_11comp_targetILNS1_3genE10ELNS1_11target_archE1200ELNS1_3gpuE4ELNS1_3repE0EEENS1_30default_config_static_selectorELNS0_4arch9wavefront6targetE0EEEvT1_.numbered_sgpr, 0
	.set _ZN7rocprim17ROCPRIM_400000_NS6detail17trampoline_kernelINS0_14default_configENS1_25partition_config_selectorILNS1_17partition_subalgoE5EtNS0_10empty_typeEbEEZZNS1_14partition_implILS5_5ELb0ES3_mN6thrust23THRUST_200600_302600_NS6detail15normal_iteratorINSA_10device_ptrItEEEEPS6_NSA_18transform_iteratorINSB_9not_fun_tI7is_trueItEEENSC_INSD_IbEEEENSA_11use_defaultESO_EENS0_5tupleIJSF_S6_EEENSQ_IJSG_SG_EEES6_PlJS6_EEE10hipError_tPvRmT3_T4_T5_T6_T7_T9_mT8_P12ihipStream_tbDpT10_ENKUlT_T0_E_clISt17integral_constantIbLb1EES1C_IbLb0EEEEDaS18_S19_EUlS18_E_NS1_11comp_targetILNS1_3genE10ELNS1_11target_archE1200ELNS1_3gpuE4ELNS1_3repE0EEENS1_30default_config_static_selectorELNS0_4arch9wavefront6targetE0EEEvT1_.num_named_barrier, 0
	.set _ZN7rocprim17ROCPRIM_400000_NS6detail17trampoline_kernelINS0_14default_configENS1_25partition_config_selectorILNS1_17partition_subalgoE5EtNS0_10empty_typeEbEEZZNS1_14partition_implILS5_5ELb0ES3_mN6thrust23THRUST_200600_302600_NS6detail15normal_iteratorINSA_10device_ptrItEEEEPS6_NSA_18transform_iteratorINSB_9not_fun_tI7is_trueItEEENSC_INSD_IbEEEENSA_11use_defaultESO_EENS0_5tupleIJSF_S6_EEENSQ_IJSG_SG_EEES6_PlJS6_EEE10hipError_tPvRmT3_T4_T5_T6_T7_T9_mT8_P12ihipStream_tbDpT10_ENKUlT_T0_E_clISt17integral_constantIbLb1EES1C_IbLb0EEEEDaS18_S19_EUlS18_E_NS1_11comp_targetILNS1_3genE10ELNS1_11target_archE1200ELNS1_3gpuE4ELNS1_3repE0EEENS1_30default_config_static_selectorELNS0_4arch9wavefront6targetE0EEEvT1_.private_seg_size, 0
	.set _ZN7rocprim17ROCPRIM_400000_NS6detail17trampoline_kernelINS0_14default_configENS1_25partition_config_selectorILNS1_17partition_subalgoE5EtNS0_10empty_typeEbEEZZNS1_14partition_implILS5_5ELb0ES3_mN6thrust23THRUST_200600_302600_NS6detail15normal_iteratorINSA_10device_ptrItEEEEPS6_NSA_18transform_iteratorINSB_9not_fun_tI7is_trueItEEENSC_INSD_IbEEEENSA_11use_defaultESO_EENS0_5tupleIJSF_S6_EEENSQ_IJSG_SG_EEES6_PlJS6_EEE10hipError_tPvRmT3_T4_T5_T6_T7_T9_mT8_P12ihipStream_tbDpT10_ENKUlT_T0_E_clISt17integral_constantIbLb1EES1C_IbLb0EEEEDaS18_S19_EUlS18_E_NS1_11comp_targetILNS1_3genE10ELNS1_11target_archE1200ELNS1_3gpuE4ELNS1_3repE0EEENS1_30default_config_static_selectorELNS0_4arch9wavefront6targetE0EEEvT1_.uses_vcc, 0
	.set _ZN7rocprim17ROCPRIM_400000_NS6detail17trampoline_kernelINS0_14default_configENS1_25partition_config_selectorILNS1_17partition_subalgoE5EtNS0_10empty_typeEbEEZZNS1_14partition_implILS5_5ELb0ES3_mN6thrust23THRUST_200600_302600_NS6detail15normal_iteratorINSA_10device_ptrItEEEEPS6_NSA_18transform_iteratorINSB_9not_fun_tI7is_trueItEEENSC_INSD_IbEEEENSA_11use_defaultESO_EENS0_5tupleIJSF_S6_EEENSQ_IJSG_SG_EEES6_PlJS6_EEE10hipError_tPvRmT3_T4_T5_T6_T7_T9_mT8_P12ihipStream_tbDpT10_ENKUlT_T0_E_clISt17integral_constantIbLb1EES1C_IbLb0EEEEDaS18_S19_EUlS18_E_NS1_11comp_targetILNS1_3genE10ELNS1_11target_archE1200ELNS1_3gpuE4ELNS1_3repE0EEENS1_30default_config_static_selectorELNS0_4arch9wavefront6targetE0EEEvT1_.uses_flat_scratch, 0
	.set _ZN7rocprim17ROCPRIM_400000_NS6detail17trampoline_kernelINS0_14default_configENS1_25partition_config_selectorILNS1_17partition_subalgoE5EtNS0_10empty_typeEbEEZZNS1_14partition_implILS5_5ELb0ES3_mN6thrust23THRUST_200600_302600_NS6detail15normal_iteratorINSA_10device_ptrItEEEEPS6_NSA_18transform_iteratorINSB_9not_fun_tI7is_trueItEEENSC_INSD_IbEEEENSA_11use_defaultESO_EENS0_5tupleIJSF_S6_EEENSQ_IJSG_SG_EEES6_PlJS6_EEE10hipError_tPvRmT3_T4_T5_T6_T7_T9_mT8_P12ihipStream_tbDpT10_ENKUlT_T0_E_clISt17integral_constantIbLb1EES1C_IbLb0EEEEDaS18_S19_EUlS18_E_NS1_11comp_targetILNS1_3genE10ELNS1_11target_archE1200ELNS1_3gpuE4ELNS1_3repE0EEENS1_30default_config_static_selectorELNS0_4arch9wavefront6targetE0EEEvT1_.has_dyn_sized_stack, 0
	.set _ZN7rocprim17ROCPRIM_400000_NS6detail17trampoline_kernelINS0_14default_configENS1_25partition_config_selectorILNS1_17partition_subalgoE5EtNS0_10empty_typeEbEEZZNS1_14partition_implILS5_5ELb0ES3_mN6thrust23THRUST_200600_302600_NS6detail15normal_iteratorINSA_10device_ptrItEEEEPS6_NSA_18transform_iteratorINSB_9not_fun_tI7is_trueItEEENSC_INSD_IbEEEENSA_11use_defaultESO_EENS0_5tupleIJSF_S6_EEENSQ_IJSG_SG_EEES6_PlJS6_EEE10hipError_tPvRmT3_T4_T5_T6_T7_T9_mT8_P12ihipStream_tbDpT10_ENKUlT_T0_E_clISt17integral_constantIbLb1EES1C_IbLb0EEEEDaS18_S19_EUlS18_E_NS1_11comp_targetILNS1_3genE10ELNS1_11target_archE1200ELNS1_3gpuE4ELNS1_3repE0EEENS1_30default_config_static_selectorELNS0_4arch9wavefront6targetE0EEEvT1_.has_recursion, 0
	.set _ZN7rocprim17ROCPRIM_400000_NS6detail17trampoline_kernelINS0_14default_configENS1_25partition_config_selectorILNS1_17partition_subalgoE5EtNS0_10empty_typeEbEEZZNS1_14partition_implILS5_5ELb0ES3_mN6thrust23THRUST_200600_302600_NS6detail15normal_iteratorINSA_10device_ptrItEEEEPS6_NSA_18transform_iteratorINSB_9not_fun_tI7is_trueItEEENSC_INSD_IbEEEENSA_11use_defaultESO_EENS0_5tupleIJSF_S6_EEENSQ_IJSG_SG_EEES6_PlJS6_EEE10hipError_tPvRmT3_T4_T5_T6_T7_T9_mT8_P12ihipStream_tbDpT10_ENKUlT_T0_E_clISt17integral_constantIbLb1EES1C_IbLb0EEEEDaS18_S19_EUlS18_E_NS1_11comp_targetILNS1_3genE10ELNS1_11target_archE1200ELNS1_3gpuE4ELNS1_3repE0EEENS1_30default_config_static_selectorELNS0_4arch9wavefront6targetE0EEEvT1_.has_indirect_call, 0
	.section	.AMDGPU.csdata,"",@progbits
; Kernel info:
; codeLenInByte = 4
; TotalNumSgprs: 0
; NumVgprs: 0
; ScratchSize: 0
; MemoryBound: 0
; FloatMode: 240
; IeeeMode: 1
; LDSByteSize: 0 bytes/workgroup (compile time only)
; SGPRBlocks: 0
; VGPRBlocks: 0
; NumSGPRsForWavesPerEU: 1
; NumVGPRsForWavesPerEU: 1
; Occupancy: 16
; WaveLimiterHint : 0
; COMPUTE_PGM_RSRC2:SCRATCH_EN: 0
; COMPUTE_PGM_RSRC2:USER_SGPR: 2
; COMPUTE_PGM_RSRC2:TRAP_HANDLER: 0
; COMPUTE_PGM_RSRC2:TGID_X_EN: 1
; COMPUTE_PGM_RSRC2:TGID_Y_EN: 0
; COMPUTE_PGM_RSRC2:TGID_Z_EN: 0
; COMPUTE_PGM_RSRC2:TIDIG_COMP_CNT: 0
	.section	.text._ZN7rocprim17ROCPRIM_400000_NS6detail17trampoline_kernelINS0_14default_configENS1_25partition_config_selectorILNS1_17partition_subalgoE5EtNS0_10empty_typeEbEEZZNS1_14partition_implILS5_5ELb0ES3_mN6thrust23THRUST_200600_302600_NS6detail15normal_iteratorINSA_10device_ptrItEEEEPS6_NSA_18transform_iteratorINSB_9not_fun_tI7is_trueItEEENSC_INSD_IbEEEENSA_11use_defaultESO_EENS0_5tupleIJSF_S6_EEENSQ_IJSG_SG_EEES6_PlJS6_EEE10hipError_tPvRmT3_T4_T5_T6_T7_T9_mT8_P12ihipStream_tbDpT10_ENKUlT_T0_E_clISt17integral_constantIbLb1EES1C_IbLb0EEEEDaS18_S19_EUlS18_E_NS1_11comp_targetILNS1_3genE9ELNS1_11target_archE1100ELNS1_3gpuE3ELNS1_3repE0EEENS1_30default_config_static_selectorELNS0_4arch9wavefront6targetE0EEEvT1_,"axG",@progbits,_ZN7rocprim17ROCPRIM_400000_NS6detail17trampoline_kernelINS0_14default_configENS1_25partition_config_selectorILNS1_17partition_subalgoE5EtNS0_10empty_typeEbEEZZNS1_14partition_implILS5_5ELb0ES3_mN6thrust23THRUST_200600_302600_NS6detail15normal_iteratorINSA_10device_ptrItEEEEPS6_NSA_18transform_iteratorINSB_9not_fun_tI7is_trueItEEENSC_INSD_IbEEEENSA_11use_defaultESO_EENS0_5tupleIJSF_S6_EEENSQ_IJSG_SG_EEES6_PlJS6_EEE10hipError_tPvRmT3_T4_T5_T6_T7_T9_mT8_P12ihipStream_tbDpT10_ENKUlT_T0_E_clISt17integral_constantIbLb1EES1C_IbLb0EEEEDaS18_S19_EUlS18_E_NS1_11comp_targetILNS1_3genE9ELNS1_11target_archE1100ELNS1_3gpuE3ELNS1_3repE0EEENS1_30default_config_static_selectorELNS0_4arch9wavefront6targetE0EEEvT1_,comdat
	.protected	_ZN7rocprim17ROCPRIM_400000_NS6detail17trampoline_kernelINS0_14default_configENS1_25partition_config_selectorILNS1_17partition_subalgoE5EtNS0_10empty_typeEbEEZZNS1_14partition_implILS5_5ELb0ES3_mN6thrust23THRUST_200600_302600_NS6detail15normal_iteratorINSA_10device_ptrItEEEEPS6_NSA_18transform_iteratorINSB_9not_fun_tI7is_trueItEEENSC_INSD_IbEEEENSA_11use_defaultESO_EENS0_5tupleIJSF_S6_EEENSQ_IJSG_SG_EEES6_PlJS6_EEE10hipError_tPvRmT3_T4_T5_T6_T7_T9_mT8_P12ihipStream_tbDpT10_ENKUlT_T0_E_clISt17integral_constantIbLb1EES1C_IbLb0EEEEDaS18_S19_EUlS18_E_NS1_11comp_targetILNS1_3genE9ELNS1_11target_archE1100ELNS1_3gpuE3ELNS1_3repE0EEENS1_30default_config_static_selectorELNS0_4arch9wavefront6targetE0EEEvT1_ ; -- Begin function _ZN7rocprim17ROCPRIM_400000_NS6detail17trampoline_kernelINS0_14default_configENS1_25partition_config_selectorILNS1_17partition_subalgoE5EtNS0_10empty_typeEbEEZZNS1_14partition_implILS5_5ELb0ES3_mN6thrust23THRUST_200600_302600_NS6detail15normal_iteratorINSA_10device_ptrItEEEEPS6_NSA_18transform_iteratorINSB_9not_fun_tI7is_trueItEEENSC_INSD_IbEEEENSA_11use_defaultESO_EENS0_5tupleIJSF_S6_EEENSQ_IJSG_SG_EEES6_PlJS6_EEE10hipError_tPvRmT3_T4_T5_T6_T7_T9_mT8_P12ihipStream_tbDpT10_ENKUlT_T0_E_clISt17integral_constantIbLb1EES1C_IbLb0EEEEDaS18_S19_EUlS18_E_NS1_11comp_targetILNS1_3genE9ELNS1_11target_archE1100ELNS1_3gpuE3ELNS1_3repE0EEENS1_30default_config_static_selectorELNS0_4arch9wavefront6targetE0EEEvT1_
	.globl	_ZN7rocprim17ROCPRIM_400000_NS6detail17trampoline_kernelINS0_14default_configENS1_25partition_config_selectorILNS1_17partition_subalgoE5EtNS0_10empty_typeEbEEZZNS1_14partition_implILS5_5ELb0ES3_mN6thrust23THRUST_200600_302600_NS6detail15normal_iteratorINSA_10device_ptrItEEEEPS6_NSA_18transform_iteratorINSB_9not_fun_tI7is_trueItEEENSC_INSD_IbEEEENSA_11use_defaultESO_EENS0_5tupleIJSF_S6_EEENSQ_IJSG_SG_EEES6_PlJS6_EEE10hipError_tPvRmT3_T4_T5_T6_T7_T9_mT8_P12ihipStream_tbDpT10_ENKUlT_T0_E_clISt17integral_constantIbLb1EES1C_IbLb0EEEEDaS18_S19_EUlS18_E_NS1_11comp_targetILNS1_3genE9ELNS1_11target_archE1100ELNS1_3gpuE3ELNS1_3repE0EEENS1_30default_config_static_selectorELNS0_4arch9wavefront6targetE0EEEvT1_
	.p2align	8
	.type	_ZN7rocprim17ROCPRIM_400000_NS6detail17trampoline_kernelINS0_14default_configENS1_25partition_config_selectorILNS1_17partition_subalgoE5EtNS0_10empty_typeEbEEZZNS1_14partition_implILS5_5ELb0ES3_mN6thrust23THRUST_200600_302600_NS6detail15normal_iteratorINSA_10device_ptrItEEEEPS6_NSA_18transform_iteratorINSB_9not_fun_tI7is_trueItEEENSC_INSD_IbEEEENSA_11use_defaultESO_EENS0_5tupleIJSF_S6_EEENSQ_IJSG_SG_EEES6_PlJS6_EEE10hipError_tPvRmT3_T4_T5_T6_T7_T9_mT8_P12ihipStream_tbDpT10_ENKUlT_T0_E_clISt17integral_constantIbLb1EES1C_IbLb0EEEEDaS18_S19_EUlS18_E_NS1_11comp_targetILNS1_3genE9ELNS1_11target_archE1100ELNS1_3gpuE3ELNS1_3repE0EEENS1_30default_config_static_selectorELNS0_4arch9wavefront6targetE0EEEvT1_,@function
_ZN7rocprim17ROCPRIM_400000_NS6detail17trampoline_kernelINS0_14default_configENS1_25partition_config_selectorILNS1_17partition_subalgoE5EtNS0_10empty_typeEbEEZZNS1_14partition_implILS5_5ELb0ES3_mN6thrust23THRUST_200600_302600_NS6detail15normal_iteratorINSA_10device_ptrItEEEEPS6_NSA_18transform_iteratorINSB_9not_fun_tI7is_trueItEEENSC_INSD_IbEEEENSA_11use_defaultESO_EENS0_5tupleIJSF_S6_EEENSQ_IJSG_SG_EEES6_PlJS6_EEE10hipError_tPvRmT3_T4_T5_T6_T7_T9_mT8_P12ihipStream_tbDpT10_ENKUlT_T0_E_clISt17integral_constantIbLb1EES1C_IbLb0EEEEDaS18_S19_EUlS18_E_NS1_11comp_targetILNS1_3genE9ELNS1_11target_archE1100ELNS1_3gpuE3ELNS1_3repE0EEENS1_30default_config_static_selectorELNS0_4arch9wavefront6targetE0EEEvT1_: ; @_ZN7rocprim17ROCPRIM_400000_NS6detail17trampoline_kernelINS0_14default_configENS1_25partition_config_selectorILNS1_17partition_subalgoE5EtNS0_10empty_typeEbEEZZNS1_14partition_implILS5_5ELb0ES3_mN6thrust23THRUST_200600_302600_NS6detail15normal_iteratorINSA_10device_ptrItEEEEPS6_NSA_18transform_iteratorINSB_9not_fun_tI7is_trueItEEENSC_INSD_IbEEEENSA_11use_defaultESO_EENS0_5tupleIJSF_S6_EEENSQ_IJSG_SG_EEES6_PlJS6_EEE10hipError_tPvRmT3_T4_T5_T6_T7_T9_mT8_P12ihipStream_tbDpT10_ENKUlT_T0_E_clISt17integral_constantIbLb1EES1C_IbLb0EEEEDaS18_S19_EUlS18_E_NS1_11comp_targetILNS1_3genE9ELNS1_11target_archE1100ELNS1_3gpuE3ELNS1_3repE0EEENS1_30default_config_static_selectorELNS0_4arch9wavefront6targetE0EEEvT1_
; %bb.0:
	.section	.rodata,"a",@progbits
	.p2align	6, 0x0
	.amdhsa_kernel _ZN7rocprim17ROCPRIM_400000_NS6detail17trampoline_kernelINS0_14default_configENS1_25partition_config_selectorILNS1_17partition_subalgoE5EtNS0_10empty_typeEbEEZZNS1_14partition_implILS5_5ELb0ES3_mN6thrust23THRUST_200600_302600_NS6detail15normal_iteratorINSA_10device_ptrItEEEEPS6_NSA_18transform_iteratorINSB_9not_fun_tI7is_trueItEEENSC_INSD_IbEEEENSA_11use_defaultESO_EENS0_5tupleIJSF_S6_EEENSQ_IJSG_SG_EEES6_PlJS6_EEE10hipError_tPvRmT3_T4_T5_T6_T7_T9_mT8_P12ihipStream_tbDpT10_ENKUlT_T0_E_clISt17integral_constantIbLb1EES1C_IbLb0EEEEDaS18_S19_EUlS18_E_NS1_11comp_targetILNS1_3genE9ELNS1_11target_archE1100ELNS1_3gpuE3ELNS1_3repE0EEENS1_30default_config_static_selectorELNS0_4arch9wavefront6targetE0EEEvT1_
		.amdhsa_group_segment_fixed_size 0
		.amdhsa_private_segment_fixed_size 0
		.amdhsa_kernarg_size 120
		.amdhsa_user_sgpr_count 2
		.amdhsa_user_sgpr_dispatch_ptr 0
		.amdhsa_user_sgpr_queue_ptr 0
		.amdhsa_user_sgpr_kernarg_segment_ptr 1
		.amdhsa_user_sgpr_dispatch_id 0
		.amdhsa_user_sgpr_private_segment_size 0
		.amdhsa_wavefront_size32 1
		.amdhsa_uses_dynamic_stack 0
		.amdhsa_enable_private_segment 0
		.amdhsa_system_sgpr_workgroup_id_x 1
		.amdhsa_system_sgpr_workgroup_id_y 0
		.amdhsa_system_sgpr_workgroup_id_z 0
		.amdhsa_system_sgpr_workgroup_info 0
		.amdhsa_system_vgpr_workitem_id 0
		.amdhsa_next_free_vgpr 1
		.amdhsa_next_free_sgpr 1
		.amdhsa_reserve_vcc 0
		.amdhsa_float_round_mode_32 0
		.amdhsa_float_round_mode_16_64 0
		.amdhsa_float_denorm_mode_32 3
		.amdhsa_float_denorm_mode_16_64 3
		.amdhsa_fp16_overflow 0
		.amdhsa_workgroup_processor_mode 1
		.amdhsa_memory_ordered 1
		.amdhsa_forward_progress 1
		.amdhsa_inst_pref_size 0
		.amdhsa_round_robin_scheduling 0
		.amdhsa_exception_fp_ieee_invalid_op 0
		.amdhsa_exception_fp_denorm_src 0
		.amdhsa_exception_fp_ieee_div_zero 0
		.amdhsa_exception_fp_ieee_overflow 0
		.amdhsa_exception_fp_ieee_underflow 0
		.amdhsa_exception_fp_ieee_inexact 0
		.amdhsa_exception_int_div_zero 0
	.end_amdhsa_kernel
	.section	.text._ZN7rocprim17ROCPRIM_400000_NS6detail17trampoline_kernelINS0_14default_configENS1_25partition_config_selectorILNS1_17partition_subalgoE5EtNS0_10empty_typeEbEEZZNS1_14partition_implILS5_5ELb0ES3_mN6thrust23THRUST_200600_302600_NS6detail15normal_iteratorINSA_10device_ptrItEEEEPS6_NSA_18transform_iteratorINSB_9not_fun_tI7is_trueItEEENSC_INSD_IbEEEENSA_11use_defaultESO_EENS0_5tupleIJSF_S6_EEENSQ_IJSG_SG_EEES6_PlJS6_EEE10hipError_tPvRmT3_T4_T5_T6_T7_T9_mT8_P12ihipStream_tbDpT10_ENKUlT_T0_E_clISt17integral_constantIbLb1EES1C_IbLb0EEEEDaS18_S19_EUlS18_E_NS1_11comp_targetILNS1_3genE9ELNS1_11target_archE1100ELNS1_3gpuE3ELNS1_3repE0EEENS1_30default_config_static_selectorELNS0_4arch9wavefront6targetE0EEEvT1_,"axG",@progbits,_ZN7rocprim17ROCPRIM_400000_NS6detail17trampoline_kernelINS0_14default_configENS1_25partition_config_selectorILNS1_17partition_subalgoE5EtNS0_10empty_typeEbEEZZNS1_14partition_implILS5_5ELb0ES3_mN6thrust23THRUST_200600_302600_NS6detail15normal_iteratorINSA_10device_ptrItEEEEPS6_NSA_18transform_iteratorINSB_9not_fun_tI7is_trueItEEENSC_INSD_IbEEEENSA_11use_defaultESO_EENS0_5tupleIJSF_S6_EEENSQ_IJSG_SG_EEES6_PlJS6_EEE10hipError_tPvRmT3_T4_T5_T6_T7_T9_mT8_P12ihipStream_tbDpT10_ENKUlT_T0_E_clISt17integral_constantIbLb1EES1C_IbLb0EEEEDaS18_S19_EUlS18_E_NS1_11comp_targetILNS1_3genE9ELNS1_11target_archE1100ELNS1_3gpuE3ELNS1_3repE0EEENS1_30default_config_static_selectorELNS0_4arch9wavefront6targetE0EEEvT1_,comdat
.Lfunc_end2483:
	.size	_ZN7rocprim17ROCPRIM_400000_NS6detail17trampoline_kernelINS0_14default_configENS1_25partition_config_selectorILNS1_17partition_subalgoE5EtNS0_10empty_typeEbEEZZNS1_14partition_implILS5_5ELb0ES3_mN6thrust23THRUST_200600_302600_NS6detail15normal_iteratorINSA_10device_ptrItEEEEPS6_NSA_18transform_iteratorINSB_9not_fun_tI7is_trueItEEENSC_INSD_IbEEEENSA_11use_defaultESO_EENS0_5tupleIJSF_S6_EEENSQ_IJSG_SG_EEES6_PlJS6_EEE10hipError_tPvRmT3_T4_T5_T6_T7_T9_mT8_P12ihipStream_tbDpT10_ENKUlT_T0_E_clISt17integral_constantIbLb1EES1C_IbLb0EEEEDaS18_S19_EUlS18_E_NS1_11comp_targetILNS1_3genE9ELNS1_11target_archE1100ELNS1_3gpuE3ELNS1_3repE0EEENS1_30default_config_static_selectorELNS0_4arch9wavefront6targetE0EEEvT1_, .Lfunc_end2483-_ZN7rocprim17ROCPRIM_400000_NS6detail17trampoline_kernelINS0_14default_configENS1_25partition_config_selectorILNS1_17partition_subalgoE5EtNS0_10empty_typeEbEEZZNS1_14partition_implILS5_5ELb0ES3_mN6thrust23THRUST_200600_302600_NS6detail15normal_iteratorINSA_10device_ptrItEEEEPS6_NSA_18transform_iteratorINSB_9not_fun_tI7is_trueItEEENSC_INSD_IbEEEENSA_11use_defaultESO_EENS0_5tupleIJSF_S6_EEENSQ_IJSG_SG_EEES6_PlJS6_EEE10hipError_tPvRmT3_T4_T5_T6_T7_T9_mT8_P12ihipStream_tbDpT10_ENKUlT_T0_E_clISt17integral_constantIbLb1EES1C_IbLb0EEEEDaS18_S19_EUlS18_E_NS1_11comp_targetILNS1_3genE9ELNS1_11target_archE1100ELNS1_3gpuE3ELNS1_3repE0EEENS1_30default_config_static_selectorELNS0_4arch9wavefront6targetE0EEEvT1_
                                        ; -- End function
	.set _ZN7rocprim17ROCPRIM_400000_NS6detail17trampoline_kernelINS0_14default_configENS1_25partition_config_selectorILNS1_17partition_subalgoE5EtNS0_10empty_typeEbEEZZNS1_14partition_implILS5_5ELb0ES3_mN6thrust23THRUST_200600_302600_NS6detail15normal_iteratorINSA_10device_ptrItEEEEPS6_NSA_18transform_iteratorINSB_9not_fun_tI7is_trueItEEENSC_INSD_IbEEEENSA_11use_defaultESO_EENS0_5tupleIJSF_S6_EEENSQ_IJSG_SG_EEES6_PlJS6_EEE10hipError_tPvRmT3_T4_T5_T6_T7_T9_mT8_P12ihipStream_tbDpT10_ENKUlT_T0_E_clISt17integral_constantIbLb1EES1C_IbLb0EEEEDaS18_S19_EUlS18_E_NS1_11comp_targetILNS1_3genE9ELNS1_11target_archE1100ELNS1_3gpuE3ELNS1_3repE0EEENS1_30default_config_static_selectorELNS0_4arch9wavefront6targetE0EEEvT1_.num_vgpr, 0
	.set _ZN7rocprim17ROCPRIM_400000_NS6detail17trampoline_kernelINS0_14default_configENS1_25partition_config_selectorILNS1_17partition_subalgoE5EtNS0_10empty_typeEbEEZZNS1_14partition_implILS5_5ELb0ES3_mN6thrust23THRUST_200600_302600_NS6detail15normal_iteratorINSA_10device_ptrItEEEEPS6_NSA_18transform_iteratorINSB_9not_fun_tI7is_trueItEEENSC_INSD_IbEEEENSA_11use_defaultESO_EENS0_5tupleIJSF_S6_EEENSQ_IJSG_SG_EEES6_PlJS6_EEE10hipError_tPvRmT3_T4_T5_T6_T7_T9_mT8_P12ihipStream_tbDpT10_ENKUlT_T0_E_clISt17integral_constantIbLb1EES1C_IbLb0EEEEDaS18_S19_EUlS18_E_NS1_11comp_targetILNS1_3genE9ELNS1_11target_archE1100ELNS1_3gpuE3ELNS1_3repE0EEENS1_30default_config_static_selectorELNS0_4arch9wavefront6targetE0EEEvT1_.num_agpr, 0
	.set _ZN7rocprim17ROCPRIM_400000_NS6detail17trampoline_kernelINS0_14default_configENS1_25partition_config_selectorILNS1_17partition_subalgoE5EtNS0_10empty_typeEbEEZZNS1_14partition_implILS5_5ELb0ES3_mN6thrust23THRUST_200600_302600_NS6detail15normal_iteratorINSA_10device_ptrItEEEEPS6_NSA_18transform_iteratorINSB_9not_fun_tI7is_trueItEEENSC_INSD_IbEEEENSA_11use_defaultESO_EENS0_5tupleIJSF_S6_EEENSQ_IJSG_SG_EEES6_PlJS6_EEE10hipError_tPvRmT3_T4_T5_T6_T7_T9_mT8_P12ihipStream_tbDpT10_ENKUlT_T0_E_clISt17integral_constantIbLb1EES1C_IbLb0EEEEDaS18_S19_EUlS18_E_NS1_11comp_targetILNS1_3genE9ELNS1_11target_archE1100ELNS1_3gpuE3ELNS1_3repE0EEENS1_30default_config_static_selectorELNS0_4arch9wavefront6targetE0EEEvT1_.numbered_sgpr, 0
	.set _ZN7rocprim17ROCPRIM_400000_NS6detail17trampoline_kernelINS0_14default_configENS1_25partition_config_selectorILNS1_17partition_subalgoE5EtNS0_10empty_typeEbEEZZNS1_14partition_implILS5_5ELb0ES3_mN6thrust23THRUST_200600_302600_NS6detail15normal_iteratorINSA_10device_ptrItEEEEPS6_NSA_18transform_iteratorINSB_9not_fun_tI7is_trueItEEENSC_INSD_IbEEEENSA_11use_defaultESO_EENS0_5tupleIJSF_S6_EEENSQ_IJSG_SG_EEES6_PlJS6_EEE10hipError_tPvRmT3_T4_T5_T6_T7_T9_mT8_P12ihipStream_tbDpT10_ENKUlT_T0_E_clISt17integral_constantIbLb1EES1C_IbLb0EEEEDaS18_S19_EUlS18_E_NS1_11comp_targetILNS1_3genE9ELNS1_11target_archE1100ELNS1_3gpuE3ELNS1_3repE0EEENS1_30default_config_static_selectorELNS0_4arch9wavefront6targetE0EEEvT1_.num_named_barrier, 0
	.set _ZN7rocprim17ROCPRIM_400000_NS6detail17trampoline_kernelINS0_14default_configENS1_25partition_config_selectorILNS1_17partition_subalgoE5EtNS0_10empty_typeEbEEZZNS1_14partition_implILS5_5ELb0ES3_mN6thrust23THRUST_200600_302600_NS6detail15normal_iteratorINSA_10device_ptrItEEEEPS6_NSA_18transform_iteratorINSB_9not_fun_tI7is_trueItEEENSC_INSD_IbEEEENSA_11use_defaultESO_EENS0_5tupleIJSF_S6_EEENSQ_IJSG_SG_EEES6_PlJS6_EEE10hipError_tPvRmT3_T4_T5_T6_T7_T9_mT8_P12ihipStream_tbDpT10_ENKUlT_T0_E_clISt17integral_constantIbLb1EES1C_IbLb0EEEEDaS18_S19_EUlS18_E_NS1_11comp_targetILNS1_3genE9ELNS1_11target_archE1100ELNS1_3gpuE3ELNS1_3repE0EEENS1_30default_config_static_selectorELNS0_4arch9wavefront6targetE0EEEvT1_.private_seg_size, 0
	.set _ZN7rocprim17ROCPRIM_400000_NS6detail17trampoline_kernelINS0_14default_configENS1_25partition_config_selectorILNS1_17partition_subalgoE5EtNS0_10empty_typeEbEEZZNS1_14partition_implILS5_5ELb0ES3_mN6thrust23THRUST_200600_302600_NS6detail15normal_iteratorINSA_10device_ptrItEEEEPS6_NSA_18transform_iteratorINSB_9not_fun_tI7is_trueItEEENSC_INSD_IbEEEENSA_11use_defaultESO_EENS0_5tupleIJSF_S6_EEENSQ_IJSG_SG_EEES6_PlJS6_EEE10hipError_tPvRmT3_T4_T5_T6_T7_T9_mT8_P12ihipStream_tbDpT10_ENKUlT_T0_E_clISt17integral_constantIbLb1EES1C_IbLb0EEEEDaS18_S19_EUlS18_E_NS1_11comp_targetILNS1_3genE9ELNS1_11target_archE1100ELNS1_3gpuE3ELNS1_3repE0EEENS1_30default_config_static_selectorELNS0_4arch9wavefront6targetE0EEEvT1_.uses_vcc, 0
	.set _ZN7rocprim17ROCPRIM_400000_NS6detail17trampoline_kernelINS0_14default_configENS1_25partition_config_selectorILNS1_17partition_subalgoE5EtNS0_10empty_typeEbEEZZNS1_14partition_implILS5_5ELb0ES3_mN6thrust23THRUST_200600_302600_NS6detail15normal_iteratorINSA_10device_ptrItEEEEPS6_NSA_18transform_iteratorINSB_9not_fun_tI7is_trueItEEENSC_INSD_IbEEEENSA_11use_defaultESO_EENS0_5tupleIJSF_S6_EEENSQ_IJSG_SG_EEES6_PlJS6_EEE10hipError_tPvRmT3_T4_T5_T6_T7_T9_mT8_P12ihipStream_tbDpT10_ENKUlT_T0_E_clISt17integral_constantIbLb1EES1C_IbLb0EEEEDaS18_S19_EUlS18_E_NS1_11comp_targetILNS1_3genE9ELNS1_11target_archE1100ELNS1_3gpuE3ELNS1_3repE0EEENS1_30default_config_static_selectorELNS0_4arch9wavefront6targetE0EEEvT1_.uses_flat_scratch, 0
	.set _ZN7rocprim17ROCPRIM_400000_NS6detail17trampoline_kernelINS0_14default_configENS1_25partition_config_selectorILNS1_17partition_subalgoE5EtNS0_10empty_typeEbEEZZNS1_14partition_implILS5_5ELb0ES3_mN6thrust23THRUST_200600_302600_NS6detail15normal_iteratorINSA_10device_ptrItEEEEPS6_NSA_18transform_iteratorINSB_9not_fun_tI7is_trueItEEENSC_INSD_IbEEEENSA_11use_defaultESO_EENS0_5tupleIJSF_S6_EEENSQ_IJSG_SG_EEES6_PlJS6_EEE10hipError_tPvRmT3_T4_T5_T6_T7_T9_mT8_P12ihipStream_tbDpT10_ENKUlT_T0_E_clISt17integral_constantIbLb1EES1C_IbLb0EEEEDaS18_S19_EUlS18_E_NS1_11comp_targetILNS1_3genE9ELNS1_11target_archE1100ELNS1_3gpuE3ELNS1_3repE0EEENS1_30default_config_static_selectorELNS0_4arch9wavefront6targetE0EEEvT1_.has_dyn_sized_stack, 0
	.set _ZN7rocprim17ROCPRIM_400000_NS6detail17trampoline_kernelINS0_14default_configENS1_25partition_config_selectorILNS1_17partition_subalgoE5EtNS0_10empty_typeEbEEZZNS1_14partition_implILS5_5ELb0ES3_mN6thrust23THRUST_200600_302600_NS6detail15normal_iteratorINSA_10device_ptrItEEEEPS6_NSA_18transform_iteratorINSB_9not_fun_tI7is_trueItEEENSC_INSD_IbEEEENSA_11use_defaultESO_EENS0_5tupleIJSF_S6_EEENSQ_IJSG_SG_EEES6_PlJS6_EEE10hipError_tPvRmT3_T4_T5_T6_T7_T9_mT8_P12ihipStream_tbDpT10_ENKUlT_T0_E_clISt17integral_constantIbLb1EES1C_IbLb0EEEEDaS18_S19_EUlS18_E_NS1_11comp_targetILNS1_3genE9ELNS1_11target_archE1100ELNS1_3gpuE3ELNS1_3repE0EEENS1_30default_config_static_selectorELNS0_4arch9wavefront6targetE0EEEvT1_.has_recursion, 0
	.set _ZN7rocprim17ROCPRIM_400000_NS6detail17trampoline_kernelINS0_14default_configENS1_25partition_config_selectorILNS1_17partition_subalgoE5EtNS0_10empty_typeEbEEZZNS1_14partition_implILS5_5ELb0ES3_mN6thrust23THRUST_200600_302600_NS6detail15normal_iteratorINSA_10device_ptrItEEEEPS6_NSA_18transform_iteratorINSB_9not_fun_tI7is_trueItEEENSC_INSD_IbEEEENSA_11use_defaultESO_EENS0_5tupleIJSF_S6_EEENSQ_IJSG_SG_EEES6_PlJS6_EEE10hipError_tPvRmT3_T4_T5_T6_T7_T9_mT8_P12ihipStream_tbDpT10_ENKUlT_T0_E_clISt17integral_constantIbLb1EES1C_IbLb0EEEEDaS18_S19_EUlS18_E_NS1_11comp_targetILNS1_3genE9ELNS1_11target_archE1100ELNS1_3gpuE3ELNS1_3repE0EEENS1_30default_config_static_selectorELNS0_4arch9wavefront6targetE0EEEvT1_.has_indirect_call, 0
	.section	.AMDGPU.csdata,"",@progbits
; Kernel info:
; codeLenInByte = 0
; TotalNumSgprs: 0
; NumVgprs: 0
; ScratchSize: 0
; MemoryBound: 0
; FloatMode: 240
; IeeeMode: 1
; LDSByteSize: 0 bytes/workgroup (compile time only)
; SGPRBlocks: 0
; VGPRBlocks: 0
; NumSGPRsForWavesPerEU: 1
; NumVGPRsForWavesPerEU: 1
; Occupancy: 16
; WaveLimiterHint : 0
; COMPUTE_PGM_RSRC2:SCRATCH_EN: 0
; COMPUTE_PGM_RSRC2:USER_SGPR: 2
; COMPUTE_PGM_RSRC2:TRAP_HANDLER: 0
; COMPUTE_PGM_RSRC2:TGID_X_EN: 1
; COMPUTE_PGM_RSRC2:TGID_Y_EN: 0
; COMPUTE_PGM_RSRC2:TGID_Z_EN: 0
; COMPUTE_PGM_RSRC2:TIDIG_COMP_CNT: 0
	.section	.text._ZN7rocprim17ROCPRIM_400000_NS6detail17trampoline_kernelINS0_14default_configENS1_25partition_config_selectorILNS1_17partition_subalgoE5EtNS0_10empty_typeEbEEZZNS1_14partition_implILS5_5ELb0ES3_mN6thrust23THRUST_200600_302600_NS6detail15normal_iteratorINSA_10device_ptrItEEEEPS6_NSA_18transform_iteratorINSB_9not_fun_tI7is_trueItEEENSC_INSD_IbEEEENSA_11use_defaultESO_EENS0_5tupleIJSF_S6_EEENSQ_IJSG_SG_EEES6_PlJS6_EEE10hipError_tPvRmT3_T4_T5_T6_T7_T9_mT8_P12ihipStream_tbDpT10_ENKUlT_T0_E_clISt17integral_constantIbLb1EES1C_IbLb0EEEEDaS18_S19_EUlS18_E_NS1_11comp_targetILNS1_3genE8ELNS1_11target_archE1030ELNS1_3gpuE2ELNS1_3repE0EEENS1_30default_config_static_selectorELNS0_4arch9wavefront6targetE0EEEvT1_,"axG",@progbits,_ZN7rocprim17ROCPRIM_400000_NS6detail17trampoline_kernelINS0_14default_configENS1_25partition_config_selectorILNS1_17partition_subalgoE5EtNS0_10empty_typeEbEEZZNS1_14partition_implILS5_5ELb0ES3_mN6thrust23THRUST_200600_302600_NS6detail15normal_iteratorINSA_10device_ptrItEEEEPS6_NSA_18transform_iteratorINSB_9not_fun_tI7is_trueItEEENSC_INSD_IbEEEENSA_11use_defaultESO_EENS0_5tupleIJSF_S6_EEENSQ_IJSG_SG_EEES6_PlJS6_EEE10hipError_tPvRmT3_T4_T5_T6_T7_T9_mT8_P12ihipStream_tbDpT10_ENKUlT_T0_E_clISt17integral_constantIbLb1EES1C_IbLb0EEEEDaS18_S19_EUlS18_E_NS1_11comp_targetILNS1_3genE8ELNS1_11target_archE1030ELNS1_3gpuE2ELNS1_3repE0EEENS1_30default_config_static_selectorELNS0_4arch9wavefront6targetE0EEEvT1_,comdat
	.protected	_ZN7rocprim17ROCPRIM_400000_NS6detail17trampoline_kernelINS0_14default_configENS1_25partition_config_selectorILNS1_17partition_subalgoE5EtNS0_10empty_typeEbEEZZNS1_14partition_implILS5_5ELb0ES3_mN6thrust23THRUST_200600_302600_NS6detail15normal_iteratorINSA_10device_ptrItEEEEPS6_NSA_18transform_iteratorINSB_9not_fun_tI7is_trueItEEENSC_INSD_IbEEEENSA_11use_defaultESO_EENS0_5tupleIJSF_S6_EEENSQ_IJSG_SG_EEES6_PlJS6_EEE10hipError_tPvRmT3_T4_T5_T6_T7_T9_mT8_P12ihipStream_tbDpT10_ENKUlT_T0_E_clISt17integral_constantIbLb1EES1C_IbLb0EEEEDaS18_S19_EUlS18_E_NS1_11comp_targetILNS1_3genE8ELNS1_11target_archE1030ELNS1_3gpuE2ELNS1_3repE0EEENS1_30default_config_static_selectorELNS0_4arch9wavefront6targetE0EEEvT1_ ; -- Begin function _ZN7rocprim17ROCPRIM_400000_NS6detail17trampoline_kernelINS0_14default_configENS1_25partition_config_selectorILNS1_17partition_subalgoE5EtNS0_10empty_typeEbEEZZNS1_14partition_implILS5_5ELb0ES3_mN6thrust23THRUST_200600_302600_NS6detail15normal_iteratorINSA_10device_ptrItEEEEPS6_NSA_18transform_iteratorINSB_9not_fun_tI7is_trueItEEENSC_INSD_IbEEEENSA_11use_defaultESO_EENS0_5tupleIJSF_S6_EEENSQ_IJSG_SG_EEES6_PlJS6_EEE10hipError_tPvRmT3_T4_T5_T6_T7_T9_mT8_P12ihipStream_tbDpT10_ENKUlT_T0_E_clISt17integral_constantIbLb1EES1C_IbLb0EEEEDaS18_S19_EUlS18_E_NS1_11comp_targetILNS1_3genE8ELNS1_11target_archE1030ELNS1_3gpuE2ELNS1_3repE0EEENS1_30default_config_static_selectorELNS0_4arch9wavefront6targetE0EEEvT1_
	.globl	_ZN7rocprim17ROCPRIM_400000_NS6detail17trampoline_kernelINS0_14default_configENS1_25partition_config_selectorILNS1_17partition_subalgoE5EtNS0_10empty_typeEbEEZZNS1_14partition_implILS5_5ELb0ES3_mN6thrust23THRUST_200600_302600_NS6detail15normal_iteratorINSA_10device_ptrItEEEEPS6_NSA_18transform_iteratorINSB_9not_fun_tI7is_trueItEEENSC_INSD_IbEEEENSA_11use_defaultESO_EENS0_5tupleIJSF_S6_EEENSQ_IJSG_SG_EEES6_PlJS6_EEE10hipError_tPvRmT3_T4_T5_T6_T7_T9_mT8_P12ihipStream_tbDpT10_ENKUlT_T0_E_clISt17integral_constantIbLb1EES1C_IbLb0EEEEDaS18_S19_EUlS18_E_NS1_11comp_targetILNS1_3genE8ELNS1_11target_archE1030ELNS1_3gpuE2ELNS1_3repE0EEENS1_30default_config_static_selectorELNS0_4arch9wavefront6targetE0EEEvT1_
	.p2align	8
	.type	_ZN7rocprim17ROCPRIM_400000_NS6detail17trampoline_kernelINS0_14default_configENS1_25partition_config_selectorILNS1_17partition_subalgoE5EtNS0_10empty_typeEbEEZZNS1_14partition_implILS5_5ELb0ES3_mN6thrust23THRUST_200600_302600_NS6detail15normal_iteratorINSA_10device_ptrItEEEEPS6_NSA_18transform_iteratorINSB_9not_fun_tI7is_trueItEEENSC_INSD_IbEEEENSA_11use_defaultESO_EENS0_5tupleIJSF_S6_EEENSQ_IJSG_SG_EEES6_PlJS6_EEE10hipError_tPvRmT3_T4_T5_T6_T7_T9_mT8_P12ihipStream_tbDpT10_ENKUlT_T0_E_clISt17integral_constantIbLb1EES1C_IbLb0EEEEDaS18_S19_EUlS18_E_NS1_11comp_targetILNS1_3genE8ELNS1_11target_archE1030ELNS1_3gpuE2ELNS1_3repE0EEENS1_30default_config_static_selectorELNS0_4arch9wavefront6targetE0EEEvT1_,@function
_ZN7rocprim17ROCPRIM_400000_NS6detail17trampoline_kernelINS0_14default_configENS1_25partition_config_selectorILNS1_17partition_subalgoE5EtNS0_10empty_typeEbEEZZNS1_14partition_implILS5_5ELb0ES3_mN6thrust23THRUST_200600_302600_NS6detail15normal_iteratorINSA_10device_ptrItEEEEPS6_NSA_18transform_iteratorINSB_9not_fun_tI7is_trueItEEENSC_INSD_IbEEEENSA_11use_defaultESO_EENS0_5tupleIJSF_S6_EEENSQ_IJSG_SG_EEES6_PlJS6_EEE10hipError_tPvRmT3_T4_T5_T6_T7_T9_mT8_P12ihipStream_tbDpT10_ENKUlT_T0_E_clISt17integral_constantIbLb1EES1C_IbLb0EEEEDaS18_S19_EUlS18_E_NS1_11comp_targetILNS1_3genE8ELNS1_11target_archE1030ELNS1_3gpuE2ELNS1_3repE0EEENS1_30default_config_static_selectorELNS0_4arch9wavefront6targetE0EEEvT1_: ; @_ZN7rocprim17ROCPRIM_400000_NS6detail17trampoline_kernelINS0_14default_configENS1_25partition_config_selectorILNS1_17partition_subalgoE5EtNS0_10empty_typeEbEEZZNS1_14partition_implILS5_5ELb0ES3_mN6thrust23THRUST_200600_302600_NS6detail15normal_iteratorINSA_10device_ptrItEEEEPS6_NSA_18transform_iteratorINSB_9not_fun_tI7is_trueItEEENSC_INSD_IbEEEENSA_11use_defaultESO_EENS0_5tupleIJSF_S6_EEENSQ_IJSG_SG_EEES6_PlJS6_EEE10hipError_tPvRmT3_T4_T5_T6_T7_T9_mT8_P12ihipStream_tbDpT10_ENKUlT_T0_E_clISt17integral_constantIbLb1EES1C_IbLb0EEEEDaS18_S19_EUlS18_E_NS1_11comp_targetILNS1_3genE8ELNS1_11target_archE1030ELNS1_3gpuE2ELNS1_3repE0EEENS1_30default_config_static_selectorELNS0_4arch9wavefront6targetE0EEEvT1_
; %bb.0:
	.section	.rodata,"a",@progbits
	.p2align	6, 0x0
	.amdhsa_kernel _ZN7rocprim17ROCPRIM_400000_NS6detail17trampoline_kernelINS0_14default_configENS1_25partition_config_selectorILNS1_17partition_subalgoE5EtNS0_10empty_typeEbEEZZNS1_14partition_implILS5_5ELb0ES3_mN6thrust23THRUST_200600_302600_NS6detail15normal_iteratorINSA_10device_ptrItEEEEPS6_NSA_18transform_iteratorINSB_9not_fun_tI7is_trueItEEENSC_INSD_IbEEEENSA_11use_defaultESO_EENS0_5tupleIJSF_S6_EEENSQ_IJSG_SG_EEES6_PlJS6_EEE10hipError_tPvRmT3_T4_T5_T6_T7_T9_mT8_P12ihipStream_tbDpT10_ENKUlT_T0_E_clISt17integral_constantIbLb1EES1C_IbLb0EEEEDaS18_S19_EUlS18_E_NS1_11comp_targetILNS1_3genE8ELNS1_11target_archE1030ELNS1_3gpuE2ELNS1_3repE0EEENS1_30default_config_static_selectorELNS0_4arch9wavefront6targetE0EEEvT1_
		.amdhsa_group_segment_fixed_size 0
		.amdhsa_private_segment_fixed_size 0
		.amdhsa_kernarg_size 120
		.amdhsa_user_sgpr_count 2
		.amdhsa_user_sgpr_dispatch_ptr 0
		.amdhsa_user_sgpr_queue_ptr 0
		.amdhsa_user_sgpr_kernarg_segment_ptr 1
		.amdhsa_user_sgpr_dispatch_id 0
		.amdhsa_user_sgpr_private_segment_size 0
		.amdhsa_wavefront_size32 1
		.amdhsa_uses_dynamic_stack 0
		.amdhsa_enable_private_segment 0
		.amdhsa_system_sgpr_workgroup_id_x 1
		.amdhsa_system_sgpr_workgroup_id_y 0
		.amdhsa_system_sgpr_workgroup_id_z 0
		.amdhsa_system_sgpr_workgroup_info 0
		.amdhsa_system_vgpr_workitem_id 0
		.amdhsa_next_free_vgpr 1
		.amdhsa_next_free_sgpr 1
		.amdhsa_reserve_vcc 0
		.amdhsa_float_round_mode_32 0
		.amdhsa_float_round_mode_16_64 0
		.amdhsa_float_denorm_mode_32 3
		.amdhsa_float_denorm_mode_16_64 3
		.amdhsa_fp16_overflow 0
		.amdhsa_workgroup_processor_mode 1
		.amdhsa_memory_ordered 1
		.amdhsa_forward_progress 1
		.amdhsa_inst_pref_size 0
		.amdhsa_round_robin_scheduling 0
		.amdhsa_exception_fp_ieee_invalid_op 0
		.amdhsa_exception_fp_denorm_src 0
		.amdhsa_exception_fp_ieee_div_zero 0
		.amdhsa_exception_fp_ieee_overflow 0
		.amdhsa_exception_fp_ieee_underflow 0
		.amdhsa_exception_fp_ieee_inexact 0
		.amdhsa_exception_int_div_zero 0
	.end_amdhsa_kernel
	.section	.text._ZN7rocprim17ROCPRIM_400000_NS6detail17trampoline_kernelINS0_14default_configENS1_25partition_config_selectorILNS1_17partition_subalgoE5EtNS0_10empty_typeEbEEZZNS1_14partition_implILS5_5ELb0ES3_mN6thrust23THRUST_200600_302600_NS6detail15normal_iteratorINSA_10device_ptrItEEEEPS6_NSA_18transform_iteratorINSB_9not_fun_tI7is_trueItEEENSC_INSD_IbEEEENSA_11use_defaultESO_EENS0_5tupleIJSF_S6_EEENSQ_IJSG_SG_EEES6_PlJS6_EEE10hipError_tPvRmT3_T4_T5_T6_T7_T9_mT8_P12ihipStream_tbDpT10_ENKUlT_T0_E_clISt17integral_constantIbLb1EES1C_IbLb0EEEEDaS18_S19_EUlS18_E_NS1_11comp_targetILNS1_3genE8ELNS1_11target_archE1030ELNS1_3gpuE2ELNS1_3repE0EEENS1_30default_config_static_selectorELNS0_4arch9wavefront6targetE0EEEvT1_,"axG",@progbits,_ZN7rocprim17ROCPRIM_400000_NS6detail17trampoline_kernelINS0_14default_configENS1_25partition_config_selectorILNS1_17partition_subalgoE5EtNS0_10empty_typeEbEEZZNS1_14partition_implILS5_5ELb0ES3_mN6thrust23THRUST_200600_302600_NS6detail15normal_iteratorINSA_10device_ptrItEEEEPS6_NSA_18transform_iteratorINSB_9not_fun_tI7is_trueItEEENSC_INSD_IbEEEENSA_11use_defaultESO_EENS0_5tupleIJSF_S6_EEENSQ_IJSG_SG_EEES6_PlJS6_EEE10hipError_tPvRmT3_T4_T5_T6_T7_T9_mT8_P12ihipStream_tbDpT10_ENKUlT_T0_E_clISt17integral_constantIbLb1EES1C_IbLb0EEEEDaS18_S19_EUlS18_E_NS1_11comp_targetILNS1_3genE8ELNS1_11target_archE1030ELNS1_3gpuE2ELNS1_3repE0EEENS1_30default_config_static_selectorELNS0_4arch9wavefront6targetE0EEEvT1_,comdat
.Lfunc_end2484:
	.size	_ZN7rocprim17ROCPRIM_400000_NS6detail17trampoline_kernelINS0_14default_configENS1_25partition_config_selectorILNS1_17partition_subalgoE5EtNS0_10empty_typeEbEEZZNS1_14partition_implILS5_5ELb0ES3_mN6thrust23THRUST_200600_302600_NS6detail15normal_iteratorINSA_10device_ptrItEEEEPS6_NSA_18transform_iteratorINSB_9not_fun_tI7is_trueItEEENSC_INSD_IbEEEENSA_11use_defaultESO_EENS0_5tupleIJSF_S6_EEENSQ_IJSG_SG_EEES6_PlJS6_EEE10hipError_tPvRmT3_T4_T5_T6_T7_T9_mT8_P12ihipStream_tbDpT10_ENKUlT_T0_E_clISt17integral_constantIbLb1EES1C_IbLb0EEEEDaS18_S19_EUlS18_E_NS1_11comp_targetILNS1_3genE8ELNS1_11target_archE1030ELNS1_3gpuE2ELNS1_3repE0EEENS1_30default_config_static_selectorELNS0_4arch9wavefront6targetE0EEEvT1_, .Lfunc_end2484-_ZN7rocprim17ROCPRIM_400000_NS6detail17trampoline_kernelINS0_14default_configENS1_25partition_config_selectorILNS1_17partition_subalgoE5EtNS0_10empty_typeEbEEZZNS1_14partition_implILS5_5ELb0ES3_mN6thrust23THRUST_200600_302600_NS6detail15normal_iteratorINSA_10device_ptrItEEEEPS6_NSA_18transform_iteratorINSB_9not_fun_tI7is_trueItEEENSC_INSD_IbEEEENSA_11use_defaultESO_EENS0_5tupleIJSF_S6_EEENSQ_IJSG_SG_EEES6_PlJS6_EEE10hipError_tPvRmT3_T4_T5_T6_T7_T9_mT8_P12ihipStream_tbDpT10_ENKUlT_T0_E_clISt17integral_constantIbLb1EES1C_IbLb0EEEEDaS18_S19_EUlS18_E_NS1_11comp_targetILNS1_3genE8ELNS1_11target_archE1030ELNS1_3gpuE2ELNS1_3repE0EEENS1_30default_config_static_selectorELNS0_4arch9wavefront6targetE0EEEvT1_
                                        ; -- End function
	.set _ZN7rocprim17ROCPRIM_400000_NS6detail17trampoline_kernelINS0_14default_configENS1_25partition_config_selectorILNS1_17partition_subalgoE5EtNS0_10empty_typeEbEEZZNS1_14partition_implILS5_5ELb0ES3_mN6thrust23THRUST_200600_302600_NS6detail15normal_iteratorINSA_10device_ptrItEEEEPS6_NSA_18transform_iteratorINSB_9not_fun_tI7is_trueItEEENSC_INSD_IbEEEENSA_11use_defaultESO_EENS0_5tupleIJSF_S6_EEENSQ_IJSG_SG_EEES6_PlJS6_EEE10hipError_tPvRmT3_T4_T5_T6_T7_T9_mT8_P12ihipStream_tbDpT10_ENKUlT_T0_E_clISt17integral_constantIbLb1EES1C_IbLb0EEEEDaS18_S19_EUlS18_E_NS1_11comp_targetILNS1_3genE8ELNS1_11target_archE1030ELNS1_3gpuE2ELNS1_3repE0EEENS1_30default_config_static_selectorELNS0_4arch9wavefront6targetE0EEEvT1_.num_vgpr, 0
	.set _ZN7rocprim17ROCPRIM_400000_NS6detail17trampoline_kernelINS0_14default_configENS1_25partition_config_selectorILNS1_17partition_subalgoE5EtNS0_10empty_typeEbEEZZNS1_14partition_implILS5_5ELb0ES3_mN6thrust23THRUST_200600_302600_NS6detail15normal_iteratorINSA_10device_ptrItEEEEPS6_NSA_18transform_iteratorINSB_9not_fun_tI7is_trueItEEENSC_INSD_IbEEEENSA_11use_defaultESO_EENS0_5tupleIJSF_S6_EEENSQ_IJSG_SG_EEES6_PlJS6_EEE10hipError_tPvRmT3_T4_T5_T6_T7_T9_mT8_P12ihipStream_tbDpT10_ENKUlT_T0_E_clISt17integral_constantIbLb1EES1C_IbLb0EEEEDaS18_S19_EUlS18_E_NS1_11comp_targetILNS1_3genE8ELNS1_11target_archE1030ELNS1_3gpuE2ELNS1_3repE0EEENS1_30default_config_static_selectorELNS0_4arch9wavefront6targetE0EEEvT1_.num_agpr, 0
	.set _ZN7rocprim17ROCPRIM_400000_NS6detail17trampoline_kernelINS0_14default_configENS1_25partition_config_selectorILNS1_17partition_subalgoE5EtNS0_10empty_typeEbEEZZNS1_14partition_implILS5_5ELb0ES3_mN6thrust23THRUST_200600_302600_NS6detail15normal_iteratorINSA_10device_ptrItEEEEPS6_NSA_18transform_iteratorINSB_9not_fun_tI7is_trueItEEENSC_INSD_IbEEEENSA_11use_defaultESO_EENS0_5tupleIJSF_S6_EEENSQ_IJSG_SG_EEES6_PlJS6_EEE10hipError_tPvRmT3_T4_T5_T6_T7_T9_mT8_P12ihipStream_tbDpT10_ENKUlT_T0_E_clISt17integral_constantIbLb1EES1C_IbLb0EEEEDaS18_S19_EUlS18_E_NS1_11comp_targetILNS1_3genE8ELNS1_11target_archE1030ELNS1_3gpuE2ELNS1_3repE0EEENS1_30default_config_static_selectorELNS0_4arch9wavefront6targetE0EEEvT1_.numbered_sgpr, 0
	.set _ZN7rocprim17ROCPRIM_400000_NS6detail17trampoline_kernelINS0_14default_configENS1_25partition_config_selectorILNS1_17partition_subalgoE5EtNS0_10empty_typeEbEEZZNS1_14partition_implILS5_5ELb0ES3_mN6thrust23THRUST_200600_302600_NS6detail15normal_iteratorINSA_10device_ptrItEEEEPS6_NSA_18transform_iteratorINSB_9not_fun_tI7is_trueItEEENSC_INSD_IbEEEENSA_11use_defaultESO_EENS0_5tupleIJSF_S6_EEENSQ_IJSG_SG_EEES6_PlJS6_EEE10hipError_tPvRmT3_T4_T5_T6_T7_T9_mT8_P12ihipStream_tbDpT10_ENKUlT_T0_E_clISt17integral_constantIbLb1EES1C_IbLb0EEEEDaS18_S19_EUlS18_E_NS1_11comp_targetILNS1_3genE8ELNS1_11target_archE1030ELNS1_3gpuE2ELNS1_3repE0EEENS1_30default_config_static_selectorELNS0_4arch9wavefront6targetE0EEEvT1_.num_named_barrier, 0
	.set _ZN7rocprim17ROCPRIM_400000_NS6detail17trampoline_kernelINS0_14default_configENS1_25partition_config_selectorILNS1_17partition_subalgoE5EtNS0_10empty_typeEbEEZZNS1_14partition_implILS5_5ELb0ES3_mN6thrust23THRUST_200600_302600_NS6detail15normal_iteratorINSA_10device_ptrItEEEEPS6_NSA_18transform_iteratorINSB_9not_fun_tI7is_trueItEEENSC_INSD_IbEEEENSA_11use_defaultESO_EENS0_5tupleIJSF_S6_EEENSQ_IJSG_SG_EEES6_PlJS6_EEE10hipError_tPvRmT3_T4_T5_T6_T7_T9_mT8_P12ihipStream_tbDpT10_ENKUlT_T0_E_clISt17integral_constantIbLb1EES1C_IbLb0EEEEDaS18_S19_EUlS18_E_NS1_11comp_targetILNS1_3genE8ELNS1_11target_archE1030ELNS1_3gpuE2ELNS1_3repE0EEENS1_30default_config_static_selectorELNS0_4arch9wavefront6targetE0EEEvT1_.private_seg_size, 0
	.set _ZN7rocprim17ROCPRIM_400000_NS6detail17trampoline_kernelINS0_14default_configENS1_25partition_config_selectorILNS1_17partition_subalgoE5EtNS0_10empty_typeEbEEZZNS1_14partition_implILS5_5ELb0ES3_mN6thrust23THRUST_200600_302600_NS6detail15normal_iteratorINSA_10device_ptrItEEEEPS6_NSA_18transform_iteratorINSB_9not_fun_tI7is_trueItEEENSC_INSD_IbEEEENSA_11use_defaultESO_EENS0_5tupleIJSF_S6_EEENSQ_IJSG_SG_EEES6_PlJS6_EEE10hipError_tPvRmT3_T4_T5_T6_T7_T9_mT8_P12ihipStream_tbDpT10_ENKUlT_T0_E_clISt17integral_constantIbLb1EES1C_IbLb0EEEEDaS18_S19_EUlS18_E_NS1_11comp_targetILNS1_3genE8ELNS1_11target_archE1030ELNS1_3gpuE2ELNS1_3repE0EEENS1_30default_config_static_selectorELNS0_4arch9wavefront6targetE0EEEvT1_.uses_vcc, 0
	.set _ZN7rocprim17ROCPRIM_400000_NS6detail17trampoline_kernelINS0_14default_configENS1_25partition_config_selectorILNS1_17partition_subalgoE5EtNS0_10empty_typeEbEEZZNS1_14partition_implILS5_5ELb0ES3_mN6thrust23THRUST_200600_302600_NS6detail15normal_iteratorINSA_10device_ptrItEEEEPS6_NSA_18transform_iteratorINSB_9not_fun_tI7is_trueItEEENSC_INSD_IbEEEENSA_11use_defaultESO_EENS0_5tupleIJSF_S6_EEENSQ_IJSG_SG_EEES6_PlJS6_EEE10hipError_tPvRmT3_T4_T5_T6_T7_T9_mT8_P12ihipStream_tbDpT10_ENKUlT_T0_E_clISt17integral_constantIbLb1EES1C_IbLb0EEEEDaS18_S19_EUlS18_E_NS1_11comp_targetILNS1_3genE8ELNS1_11target_archE1030ELNS1_3gpuE2ELNS1_3repE0EEENS1_30default_config_static_selectorELNS0_4arch9wavefront6targetE0EEEvT1_.uses_flat_scratch, 0
	.set _ZN7rocprim17ROCPRIM_400000_NS6detail17trampoline_kernelINS0_14default_configENS1_25partition_config_selectorILNS1_17partition_subalgoE5EtNS0_10empty_typeEbEEZZNS1_14partition_implILS5_5ELb0ES3_mN6thrust23THRUST_200600_302600_NS6detail15normal_iteratorINSA_10device_ptrItEEEEPS6_NSA_18transform_iteratorINSB_9not_fun_tI7is_trueItEEENSC_INSD_IbEEEENSA_11use_defaultESO_EENS0_5tupleIJSF_S6_EEENSQ_IJSG_SG_EEES6_PlJS6_EEE10hipError_tPvRmT3_T4_T5_T6_T7_T9_mT8_P12ihipStream_tbDpT10_ENKUlT_T0_E_clISt17integral_constantIbLb1EES1C_IbLb0EEEEDaS18_S19_EUlS18_E_NS1_11comp_targetILNS1_3genE8ELNS1_11target_archE1030ELNS1_3gpuE2ELNS1_3repE0EEENS1_30default_config_static_selectorELNS0_4arch9wavefront6targetE0EEEvT1_.has_dyn_sized_stack, 0
	.set _ZN7rocprim17ROCPRIM_400000_NS6detail17trampoline_kernelINS0_14default_configENS1_25partition_config_selectorILNS1_17partition_subalgoE5EtNS0_10empty_typeEbEEZZNS1_14partition_implILS5_5ELb0ES3_mN6thrust23THRUST_200600_302600_NS6detail15normal_iteratorINSA_10device_ptrItEEEEPS6_NSA_18transform_iteratorINSB_9not_fun_tI7is_trueItEEENSC_INSD_IbEEEENSA_11use_defaultESO_EENS0_5tupleIJSF_S6_EEENSQ_IJSG_SG_EEES6_PlJS6_EEE10hipError_tPvRmT3_T4_T5_T6_T7_T9_mT8_P12ihipStream_tbDpT10_ENKUlT_T0_E_clISt17integral_constantIbLb1EES1C_IbLb0EEEEDaS18_S19_EUlS18_E_NS1_11comp_targetILNS1_3genE8ELNS1_11target_archE1030ELNS1_3gpuE2ELNS1_3repE0EEENS1_30default_config_static_selectorELNS0_4arch9wavefront6targetE0EEEvT1_.has_recursion, 0
	.set _ZN7rocprim17ROCPRIM_400000_NS6detail17trampoline_kernelINS0_14default_configENS1_25partition_config_selectorILNS1_17partition_subalgoE5EtNS0_10empty_typeEbEEZZNS1_14partition_implILS5_5ELb0ES3_mN6thrust23THRUST_200600_302600_NS6detail15normal_iteratorINSA_10device_ptrItEEEEPS6_NSA_18transform_iteratorINSB_9not_fun_tI7is_trueItEEENSC_INSD_IbEEEENSA_11use_defaultESO_EENS0_5tupleIJSF_S6_EEENSQ_IJSG_SG_EEES6_PlJS6_EEE10hipError_tPvRmT3_T4_T5_T6_T7_T9_mT8_P12ihipStream_tbDpT10_ENKUlT_T0_E_clISt17integral_constantIbLb1EES1C_IbLb0EEEEDaS18_S19_EUlS18_E_NS1_11comp_targetILNS1_3genE8ELNS1_11target_archE1030ELNS1_3gpuE2ELNS1_3repE0EEENS1_30default_config_static_selectorELNS0_4arch9wavefront6targetE0EEEvT1_.has_indirect_call, 0
	.section	.AMDGPU.csdata,"",@progbits
; Kernel info:
; codeLenInByte = 0
; TotalNumSgprs: 0
; NumVgprs: 0
; ScratchSize: 0
; MemoryBound: 0
; FloatMode: 240
; IeeeMode: 1
; LDSByteSize: 0 bytes/workgroup (compile time only)
; SGPRBlocks: 0
; VGPRBlocks: 0
; NumSGPRsForWavesPerEU: 1
; NumVGPRsForWavesPerEU: 1
; Occupancy: 16
; WaveLimiterHint : 0
; COMPUTE_PGM_RSRC2:SCRATCH_EN: 0
; COMPUTE_PGM_RSRC2:USER_SGPR: 2
; COMPUTE_PGM_RSRC2:TRAP_HANDLER: 0
; COMPUTE_PGM_RSRC2:TGID_X_EN: 1
; COMPUTE_PGM_RSRC2:TGID_Y_EN: 0
; COMPUTE_PGM_RSRC2:TGID_Z_EN: 0
; COMPUTE_PGM_RSRC2:TIDIG_COMP_CNT: 0
	.section	.text._ZN7rocprim17ROCPRIM_400000_NS6detail17trampoline_kernelINS0_14default_configENS1_25partition_config_selectorILNS1_17partition_subalgoE5EtNS0_10empty_typeEbEEZZNS1_14partition_implILS5_5ELb0ES3_mN6thrust23THRUST_200600_302600_NS6detail15normal_iteratorINSA_10device_ptrItEEEEPS6_NSA_18transform_iteratorINSB_9not_fun_tI7is_trueItEEENSC_INSD_IbEEEENSA_11use_defaultESO_EENS0_5tupleIJSF_S6_EEENSQ_IJSG_SG_EEES6_PlJS6_EEE10hipError_tPvRmT3_T4_T5_T6_T7_T9_mT8_P12ihipStream_tbDpT10_ENKUlT_T0_E_clISt17integral_constantIbLb0EES1C_IbLb1EEEEDaS18_S19_EUlS18_E_NS1_11comp_targetILNS1_3genE0ELNS1_11target_archE4294967295ELNS1_3gpuE0ELNS1_3repE0EEENS1_30default_config_static_selectorELNS0_4arch9wavefront6targetE0EEEvT1_,"axG",@progbits,_ZN7rocprim17ROCPRIM_400000_NS6detail17trampoline_kernelINS0_14default_configENS1_25partition_config_selectorILNS1_17partition_subalgoE5EtNS0_10empty_typeEbEEZZNS1_14partition_implILS5_5ELb0ES3_mN6thrust23THRUST_200600_302600_NS6detail15normal_iteratorINSA_10device_ptrItEEEEPS6_NSA_18transform_iteratorINSB_9not_fun_tI7is_trueItEEENSC_INSD_IbEEEENSA_11use_defaultESO_EENS0_5tupleIJSF_S6_EEENSQ_IJSG_SG_EEES6_PlJS6_EEE10hipError_tPvRmT3_T4_T5_T6_T7_T9_mT8_P12ihipStream_tbDpT10_ENKUlT_T0_E_clISt17integral_constantIbLb0EES1C_IbLb1EEEEDaS18_S19_EUlS18_E_NS1_11comp_targetILNS1_3genE0ELNS1_11target_archE4294967295ELNS1_3gpuE0ELNS1_3repE0EEENS1_30default_config_static_selectorELNS0_4arch9wavefront6targetE0EEEvT1_,comdat
	.protected	_ZN7rocprim17ROCPRIM_400000_NS6detail17trampoline_kernelINS0_14default_configENS1_25partition_config_selectorILNS1_17partition_subalgoE5EtNS0_10empty_typeEbEEZZNS1_14partition_implILS5_5ELb0ES3_mN6thrust23THRUST_200600_302600_NS6detail15normal_iteratorINSA_10device_ptrItEEEEPS6_NSA_18transform_iteratorINSB_9not_fun_tI7is_trueItEEENSC_INSD_IbEEEENSA_11use_defaultESO_EENS0_5tupleIJSF_S6_EEENSQ_IJSG_SG_EEES6_PlJS6_EEE10hipError_tPvRmT3_T4_T5_T6_T7_T9_mT8_P12ihipStream_tbDpT10_ENKUlT_T0_E_clISt17integral_constantIbLb0EES1C_IbLb1EEEEDaS18_S19_EUlS18_E_NS1_11comp_targetILNS1_3genE0ELNS1_11target_archE4294967295ELNS1_3gpuE0ELNS1_3repE0EEENS1_30default_config_static_selectorELNS0_4arch9wavefront6targetE0EEEvT1_ ; -- Begin function _ZN7rocprim17ROCPRIM_400000_NS6detail17trampoline_kernelINS0_14default_configENS1_25partition_config_selectorILNS1_17partition_subalgoE5EtNS0_10empty_typeEbEEZZNS1_14partition_implILS5_5ELb0ES3_mN6thrust23THRUST_200600_302600_NS6detail15normal_iteratorINSA_10device_ptrItEEEEPS6_NSA_18transform_iteratorINSB_9not_fun_tI7is_trueItEEENSC_INSD_IbEEEENSA_11use_defaultESO_EENS0_5tupleIJSF_S6_EEENSQ_IJSG_SG_EEES6_PlJS6_EEE10hipError_tPvRmT3_T4_T5_T6_T7_T9_mT8_P12ihipStream_tbDpT10_ENKUlT_T0_E_clISt17integral_constantIbLb0EES1C_IbLb1EEEEDaS18_S19_EUlS18_E_NS1_11comp_targetILNS1_3genE0ELNS1_11target_archE4294967295ELNS1_3gpuE0ELNS1_3repE0EEENS1_30default_config_static_selectorELNS0_4arch9wavefront6targetE0EEEvT1_
	.globl	_ZN7rocprim17ROCPRIM_400000_NS6detail17trampoline_kernelINS0_14default_configENS1_25partition_config_selectorILNS1_17partition_subalgoE5EtNS0_10empty_typeEbEEZZNS1_14partition_implILS5_5ELb0ES3_mN6thrust23THRUST_200600_302600_NS6detail15normal_iteratorINSA_10device_ptrItEEEEPS6_NSA_18transform_iteratorINSB_9not_fun_tI7is_trueItEEENSC_INSD_IbEEEENSA_11use_defaultESO_EENS0_5tupleIJSF_S6_EEENSQ_IJSG_SG_EEES6_PlJS6_EEE10hipError_tPvRmT3_T4_T5_T6_T7_T9_mT8_P12ihipStream_tbDpT10_ENKUlT_T0_E_clISt17integral_constantIbLb0EES1C_IbLb1EEEEDaS18_S19_EUlS18_E_NS1_11comp_targetILNS1_3genE0ELNS1_11target_archE4294967295ELNS1_3gpuE0ELNS1_3repE0EEENS1_30default_config_static_selectorELNS0_4arch9wavefront6targetE0EEEvT1_
	.p2align	8
	.type	_ZN7rocprim17ROCPRIM_400000_NS6detail17trampoline_kernelINS0_14default_configENS1_25partition_config_selectorILNS1_17partition_subalgoE5EtNS0_10empty_typeEbEEZZNS1_14partition_implILS5_5ELb0ES3_mN6thrust23THRUST_200600_302600_NS6detail15normal_iteratorINSA_10device_ptrItEEEEPS6_NSA_18transform_iteratorINSB_9not_fun_tI7is_trueItEEENSC_INSD_IbEEEENSA_11use_defaultESO_EENS0_5tupleIJSF_S6_EEENSQ_IJSG_SG_EEES6_PlJS6_EEE10hipError_tPvRmT3_T4_T5_T6_T7_T9_mT8_P12ihipStream_tbDpT10_ENKUlT_T0_E_clISt17integral_constantIbLb0EES1C_IbLb1EEEEDaS18_S19_EUlS18_E_NS1_11comp_targetILNS1_3genE0ELNS1_11target_archE4294967295ELNS1_3gpuE0ELNS1_3repE0EEENS1_30default_config_static_selectorELNS0_4arch9wavefront6targetE0EEEvT1_,@function
_ZN7rocprim17ROCPRIM_400000_NS6detail17trampoline_kernelINS0_14default_configENS1_25partition_config_selectorILNS1_17partition_subalgoE5EtNS0_10empty_typeEbEEZZNS1_14partition_implILS5_5ELb0ES3_mN6thrust23THRUST_200600_302600_NS6detail15normal_iteratorINSA_10device_ptrItEEEEPS6_NSA_18transform_iteratorINSB_9not_fun_tI7is_trueItEEENSC_INSD_IbEEEENSA_11use_defaultESO_EENS0_5tupleIJSF_S6_EEENSQ_IJSG_SG_EEES6_PlJS6_EEE10hipError_tPvRmT3_T4_T5_T6_T7_T9_mT8_P12ihipStream_tbDpT10_ENKUlT_T0_E_clISt17integral_constantIbLb0EES1C_IbLb1EEEEDaS18_S19_EUlS18_E_NS1_11comp_targetILNS1_3genE0ELNS1_11target_archE4294967295ELNS1_3gpuE0ELNS1_3repE0EEENS1_30default_config_static_selectorELNS0_4arch9wavefront6targetE0EEEvT1_: ; @_ZN7rocprim17ROCPRIM_400000_NS6detail17trampoline_kernelINS0_14default_configENS1_25partition_config_selectorILNS1_17partition_subalgoE5EtNS0_10empty_typeEbEEZZNS1_14partition_implILS5_5ELb0ES3_mN6thrust23THRUST_200600_302600_NS6detail15normal_iteratorINSA_10device_ptrItEEEEPS6_NSA_18transform_iteratorINSB_9not_fun_tI7is_trueItEEENSC_INSD_IbEEEENSA_11use_defaultESO_EENS0_5tupleIJSF_S6_EEENSQ_IJSG_SG_EEES6_PlJS6_EEE10hipError_tPvRmT3_T4_T5_T6_T7_T9_mT8_P12ihipStream_tbDpT10_ENKUlT_T0_E_clISt17integral_constantIbLb0EES1C_IbLb1EEEEDaS18_S19_EUlS18_E_NS1_11comp_targetILNS1_3genE0ELNS1_11target_archE4294967295ELNS1_3gpuE0ELNS1_3repE0EEENS1_30default_config_static_selectorELNS0_4arch9wavefront6targetE0EEEvT1_
; %bb.0:
	.section	.rodata,"a",@progbits
	.p2align	6, 0x0
	.amdhsa_kernel _ZN7rocprim17ROCPRIM_400000_NS6detail17trampoline_kernelINS0_14default_configENS1_25partition_config_selectorILNS1_17partition_subalgoE5EtNS0_10empty_typeEbEEZZNS1_14partition_implILS5_5ELb0ES3_mN6thrust23THRUST_200600_302600_NS6detail15normal_iteratorINSA_10device_ptrItEEEEPS6_NSA_18transform_iteratorINSB_9not_fun_tI7is_trueItEEENSC_INSD_IbEEEENSA_11use_defaultESO_EENS0_5tupleIJSF_S6_EEENSQ_IJSG_SG_EEES6_PlJS6_EEE10hipError_tPvRmT3_T4_T5_T6_T7_T9_mT8_P12ihipStream_tbDpT10_ENKUlT_T0_E_clISt17integral_constantIbLb0EES1C_IbLb1EEEEDaS18_S19_EUlS18_E_NS1_11comp_targetILNS1_3genE0ELNS1_11target_archE4294967295ELNS1_3gpuE0ELNS1_3repE0EEENS1_30default_config_static_selectorELNS0_4arch9wavefront6targetE0EEEvT1_
		.amdhsa_group_segment_fixed_size 0
		.amdhsa_private_segment_fixed_size 0
		.amdhsa_kernarg_size 136
		.amdhsa_user_sgpr_count 2
		.amdhsa_user_sgpr_dispatch_ptr 0
		.amdhsa_user_sgpr_queue_ptr 0
		.amdhsa_user_sgpr_kernarg_segment_ptr 1
		.amdhsa_user_sgpr_dispatch_id 0
		.amdhsa_user_sgpr_private_segment_size 0
		.amdhsa_wavefront_size32 1
		.amdhsa_uses_dynamic_stack 0
		.amdhsa_enable_private_segment 0
		.amdhsa_system_sgpr_workgroup_id_x 1
		.amdhsa_system_sgpr_workgroup_id_y 0
		.amdhsa_system_sgpr_workgroup_id_z 0
		.amdhsa_system_sgpr_workgroup_info 0
		.amdhsa_system_vgpr_workitem_id 0
		.amdhsa_next_free_vgpr 1
		.amdhsa_next_free_sgpr 1
		.amdhsa_reserve_vcc 0
		.amdhsa_float_round_mode_32 0
		.amdhsa_float_round_mode_16_64 0
		.amdhsa_float_denorm_mode_32 3
		.amdhsa_float_denorm_mode_16_64 3
		.amdhsa_fp16_overflow 0
		.amdhsa_workgroup_processor_mode 1
		.amdhsa_memory_ordered 1
		.amdhsa_forward_progress 1
		.amdhsa_inst_pref_size 0
		.amdhsa_round_robin_scheduling 0
		.amdhsa_exception_fp_ieee_invalid_op 0
		.amdhsa_exception_fp_denorm_src 0
		.amdhsa_exception_fp_ieee_div_zero 0
		.amdhsa_exception_fp_ieee_overflow 0
		.amdhsa_exception_fp_ieee_underflow 0
		.amdhsa_exception_fp_ieee_inexact 0
		.amdhsa_exception_int_div_zero 0
	.end_amdhsa_kernel
	.section	.text._ZN7rocprim17ROCPRIM_400000_NS6detail17trampoline_kernelINS0_14default_configENS1_25partition_config_selectorILNS1_17partition_subalgoE5EtNS0_10empty_typeEbEEZZNS1_14partition_implILS5_5ELb0ES3_mN6thrust23THRUST_200600_302600_NS6detail15normal_iteratorINSA_10device_ptrItEEEEPS6_NSA_18transform_iteratorINSB_9not_fun_tI7is_trueItEEENSC_INSD_IbEEEENSA_11use_defaultESO_EENS0_5tupleIJSF_S6_EEENSQ_IJSG_SG_EEES6_PlJS6_EEE10hipError_tPvRmT3_T4_T5_T6_T7_T9_mT8_P12ihipStream_tbDpT10_ENKUlT_T0_E_clISt17integral_constantIbLb0EES1C_IbLb1EEEEDaS18_S19_EUlS18_E_NS1_11comp_targetILNS1_3genE0ELNS1_11target_archE4294967295ELNS1_3gpuE0ELNS1_3repE0EEENS1_30default_config_static_selectorELNS0_4arch9wavefront6targetE0EEEvT1_,"axG",@progbits,_ZN7rocprim17ROCPRIM_400000_NS6detail17trampoline_kernelINS0_14default_configENS1_25partition_config_selectorILNS1_17partition_subalgoE5EtNS0_10empty_typeEbEEZZNS1_14partition_implILS5_5ELb0ES3_mN6thrust23THRUST_200600_302600_NS6detail15normal_iteratorINSA_10device_ptrItEEEEPS6_NSA_18transform_iteratorINSB_9not_fun_tI7is_trueItEEENSC_INSD_IbEEEENSA_11use_defaultESO_EENS0_5tupleIJSF_S6_EEENSQ_IJSG_SG_EEES6_PlJS6_EEE10hipError_tPvRmT3_T4_T5_T6_T7_T9_mT8_P12ihipStream_tbDpT10_ENKUlT_T0_E_clISt17integral_constantIbLb0EES1C_IbLb1EEEEDaS18_S19_EUlS18_E_NS1_11comp_targetILNS1_3genE0ELNS1_11target_archE4294967295ELNS1_3gpuE0ELNS1_3repE0EEENS1_30default_config_static_selectorELNS0_4arch9wavefront6targetE0EEEvT1_,comdat
.Lfunc_end2485:
	.size	_ZN7rocprim17ROCPRIM_400000_NS6detail17trampoline_kernelINS0_14default_configENS1_25partition_config_selectorILNS1_17partition_subalgoE5EtNS0_10empty_typeEbEEZZNS1_14partition_implILS5_5ELb0ES3_mN6thrust23THRUST_200600_302600_NS6detail15normal_iteratorINSA_10device_ptrItEEEEPS6_NSA_18transform_iteratorINSB_9not_fun_tI7is_trueItEEENSC_INSD_IbEEEENSA_11use_defaultESO_EENS0_5tupleIJSF_S6_EEENSQ_IJSG_SG_EEES6_PlJS6_EEE10hipError_tPvRmT3_T4_T5_T6_T7_T9_mT8_P12ihipStream_tbDpT10_ENKUlT_T0_E_clISt17integral_constantIbLb0EES1C_IbLb1EEEEDaS18_S19_EUlS18_E_NS1_11comp_targetILNS1_3genE0ELNS1_11target_archE4294967295ELNS1_3gpuE0ELNS1_3repE0EEENS1_30default_config_static_selectorELNS0_4arch9wavefront6targetE0EEEvT1_, .Lfunc_end2485-_ZN7rocprim17ROCPRIM_400000_NS6detail17trampoline_kernelINS0_14default_configENS1_25partition_config_selectorILNS1_17partition_subalgoE5EtNS0_10empty_typeEbEEZZNS1_14partition_implILS5_5ELb0ES3_mN6thrust23THRUST_200600_302600_NS6detail15normal_iteratorINSA_10device_ptrItEEEEPS6_NSA_18transform_iteratorINSB_9not_fun_tI7is_trueItEEENSC_INSD_IbEEEENSA_11use_defaultESO_EENS0_5tupleIJSF_S6_EEENSQ_IJSG_SG_EEES6_PlJS6_EEE10hipError_tPvRmT3_T4_T5_T6_T7_T9_mT8_P12ihipStream_tbDpT10_ENKUlT_T0_E_clISt17integral_constantIbLb0EES1C_IbLb1EEEEDaS18_S19_EUlS18_E_NS1_11comp_targetILNS1_3genE0ELNS1_11target_archE4294967295ELNS1_3gpuE0ELNS1_3repE0EEENS1_30default_config_static_selectorELNS0_4arch9wavefront6targetE0EEEvT1_
                                        ; -- End function
	.set _ZN7rocprim17ROCPRIM_400000_NS6detail17trampoline_kernelINS0_14default_configENS1_25partition_config_selectorILNS1_17partition_subalgoE5EtNS0_10empty_typeEbEEZZNS1_14partition_implILS5_5ELb0ES3_mN6thrust23THRUST_200600_302600_NS6detail15normal_iteratorINSA_10device_ptrItEEEEPS6_NSA_18transform_iteratorINSB_9not_fun_tI7is_trueItEEENSC_INSD_IbEEEENSA_11use_defaultESO_EENS0_5tupleIJSF_S6_EEENSQ_IJSG_SG_EEES6_PlJS6_EEE10hipError_tPvRmT3_T4_T5_T6_T7_T9_mT8_P12ihipStream_tbDpT10_ENKUlT_T0_E_clISt17integral_constantIbLb0EES1C_IbLb1EEEEDaS18_S19_EUlS18_E_NS1_11comp_targetILNS1_3genE0ELNS1_11target_archE4294967295ELNS1_3gpuE0ELNS1_3repE0EEENS1_30default_config_static_selectorELNS0_4arch9wavefront6targetE0EEEvT1_.num_vgpr, 0
	.set _ZN7rocprim17ROCPRIM_400000_NS6detail17trampoline_kernelINS0_14default_configENS1_25partition_config_selectorILNS1_17partition_subalgoE5EtNS0_10empty_typeEbEEZZNS1_14partition_implILS5_5ELb0ES3_mN6thrust23THRUST_200600_302600_NS6detail15normal_iteratorINSA_10device_ptrItEEEEPS6_NSA_18transform_iteratorINSB_9not_fun_tI7is_trueItEEENSC_INSD_IbEEEENSA_11use_defaultESO_EENS0_5tupleIJSF_S6_EEENSQ_IJSG_SG_EEES6_PlJS6_EEE10hipError_tPvRmT3_T4_T5_T6_T7_T9_mT8_P12ihipStream_tbDpT10_ENKUlT_T0_E_clISt17integral_constantIbLb0EES1C_IbLb1EEEEDaS18_S19_EUlS18_E_NS1_11comp_targetILNS1_3genE0ELNS1_11target_archE4294967295ELNS1_3gpuE0ELNS1_3repE0EEENS1_30default_config_static_selectorELNS0_4arch9wavefront6targetE0EEEvT1_.num_agpr, 0
	.set _ZN7rocprim17ROCPRIM_400000_NS6detail17trampoline_kernelINS0_14default_configENS1_25partition_config_selectorILNS1_17partition_subalgoE5EtNS0_10empty_typeEbEEZZNS1_14partition_implILS5_5ELb0ES3_mN6thrust23THRUST_200600_302600_NS6detail15normal_iteratorINSA_10device_ptrItEEEEPS6_NSA_18transform_iteratorINSB_9not_fun_tI7is_trueItEEENSC_INSD_IbEEEENSA_11use_defaultESO_EENS0_5tupleIJSF_S6_EEENSQ_IJSG_SG_EEES6_PlJS6_EEE10hipError_tPvRmT3_T4_T5_T6_T7_T9_mT8_P12ihipStream_tbDpT10_ENKUlT_T0_E_clISt17integral_constantIbLb0EES1C_IbLb1EEEEDaS18_S19_EUlS18_E_NS1_11comp_targetILNS1_3genE0ELNS1_11target_archE4294967295ELNS1_3gpuE0ELNS1_3repE0EEENS1_30default_config_static_selectorELNS0_4arch9wavefront6targetE0EEEvT1_.numbered_sgpr, 0
	.set _ZN7rocprim17ROCPRIM_400000_NS6detail17trampoline_kernelINS0_14default_configENS1_25partition_config_selectorILNS1_17partition_subalgoE5EtNS0_10empty_typeEbEEZZNS1_14partition_implILS5_5ELb0ES3_mN6thrust23THRUST_200600_302600_NS6detail15normal_iteratorINSA_10device_ptrItEEEEPS6_NSA_18transform_iteratorINSB_9not_fun_tI7is_trueItEEENSC_INSD_IbEEEENSA_11use_defaultESO_EENS0_5tupleIJSF_S6_EEENSQ_IJSG_SG_EEES6_PlJS6_EEE10hipError_tPvRmT3_T4_T5_T6_T7_T9_mT8_P12ihipStream_tbDpT10_ENKUlT_T0_E_clISt17integral_constantIbLb0EES1C_IbLb1EEEEDaS18_S19_EUlS18_E_NS1_11comp_targetILNS1_3genE0ELNS1_11target_archE4294967295ELNS1_3gpuE0ELNS1_3repE0EEENS1_30default_config_static_selectorELNS0_4arch9wavefront6targetE0EEEvT1_.num_named_barrier, 0
	.set _ZN7rocprim17ROCPRIM_400000_NS6detail17trampoline_kernelINS0_14default_configENS1_25partition_config_selectorILNS1_17partition_subalgoE5EtNS0_10empty_typeEbEEZZNS1_14partition_implILS5_5ELb0ES3_mN6thrust23THRUST_200600_302600_NS6detail15normal_iteratorINSA_10device_ptrItEEEEPS6_NSA_18transform_iteratorINSB_9not_fun_tI7is_trueItEEENSC_INSD_IbEEEENSA_11use_defaultESO_EENS0_5tupleIJSF_S6_EEENSQ_IJSG_SG_EEES6_PlJS6_EEE10hipError_tPvRmT3_T4_T5_T6_T7_T9_mT8_P12ihipStream_tbDpT10_ENKUlT_T0_E_clISt17integral_constantIbLb0EES1C_IbLb1EEEEDaS18_S19_EUlS18_E_NS1_11comp_targetILNS1_3genE0ELNS1_11target_archE4294967295ELNS1_3gpuE0ELNS1_3repE0EEENS1_30default_config_static_selectorELNS0_4arch9wavefront6targetE0EEEvT1_.private_seg_size, 0
	.set _ZN7rocprim17ROCPRIM_400000_NS6detail17trampoline_kernelINS0_14default_configENS1_25partition_config_selectorILNS1_17partition_subalgoE5EtNS0_10empty_typeEbEEZZNS1_14partition_implILS5_5ELb0ES3_mN6thrust23THRUST_200600_302600_NS6detail15normal_iteratorINSA_10device_ptrItEEEEPS6_NSA_18transform_iteratorINSB_9not_fun_tI7is_trueItEEENSC_INSD_IbEEEENSA_11use_defaultESO_EENS0_5tupleIJSF_S6_EEENSQ_IJSG_SG_EEES6_PlJS6_EEE10hipError_tPvRmT3_T4_T5_T6_T7_T9_mT8_P12ihipStream_tbDpT10_ENKUlT_T0_E_clISt17integral_constantIbLb0EES1C_IbLb1EEEEDaS18_S19_EUlS18_E_NS1_11comp_targetILNS1_3genE0ELNS1_11target_archE4294967295ELNS1_3gpuE0ELNS1_3repE0EEENS1_30default_config_static_selectorELNS0_4arch9wavefront6targetE0EEEvT1_.uses_vcc, 0
	.set _ZN7rocprim17ROCPRIM_400000_NS6detail17trampoline_kernelINS0_14default_configENS1_25partition_config_selectorILNS1_17partition_subalgoE5EtNS0_10empty_typeEbEEZZNS1_14partition_implILS5_5ELb0ES3_mN6thrust23THRUST_200600_302600_NS6detail15normal_iteratorINSA_10device_ptrItEEEEPS6_NSA_18transform_iteratorINSB_9not_fun_tI7is_trueItEEENSC_INSD_IbEEEENSA_11use_defaultESO_EENS0_5tupleIJSF_S6_EEENSQ_IJSG_SG_EEES6_PlJS6_EEE10hipError_tPvRmT3_T4_T5_T6_T7_T9_mT8_P12ihipStream_tbDpT10_ENKUlT_T0_E_clISt17integral_constantIbLb0EES1C_IbLb1EEEEDaS18_S19_EUlS18_E_NS1_11comp_targetILNS1_3genE0ELNS1_11target_archE4294967295ELNS1_3gpuE0ELNS1_3repE0EEENS1_30default_config_static_selectorELNS0_4arch9wavefront6targetE0EEEvT1_.uses_flat_scratch, 0
	.set _ZN7rocprim17ROCPRIM_400000_NS6detail17trampoline_kernelINS0_14default_configENS1_25partition_config_selectorILNS1_17partition_subalgoE5EtNS0_10empty_typeEbEEZZNS1_14partition_implILS5_5ELb0ES3_mN6thrust23THRUST_200600_302600_NS6detail15normal_iteratorINSA_10device_ptrItEEEEPS6_NSA_18transform_iteratorINSB_9not_fun_tI7is_trueItEEENSC_INSD_IbEEEENSA_11use_defaultESO_EENS0_5tupleIJSF_S6_EEENSQ_IJSG_SG_EEES6_PlJS6_EEE10hipError_tPvRmT3_T4_T5_T6_T7_T9_mT8_P12ihipStream_tbDpT10_ENKUlT_T0_E_clISt17integral_constantIbLb0EES1C_IbLb1EEEEDaS18_S19_EUlS18_E_NS1_11comp_targetILNS1_3genE0ELNS1_11target_archE4294967295ELNS1_3gpuE0ELNS1_3repE0EEENS1_30default_config_static_selectorELNS0_4arch9wavefront6targetE0EEEvT1_.has_dyn_sized_stack, 0
	.set _ZN7rocprim17ROCPRIM_400000_NS6detail17trampoline_kernelINS0_14default_configENS1_25partition_config_selectorILNS1_17partition_subalgoE5EtNS0_10empty_typeEbEEZZNS1_14partition_implILS5_5ELb0ES3_mN6thrust23THRUST_200600_302600_NS6detail15normal_iteratorINSA_10device_ptrItEEEEPS6_NSA_18transform_iteratorINSB_9not_fun_tI7is_trueItEEENSC_INSD_IbEEEENSA_11use_defaultESO_EENS0_5tupleIJSF_S6_EEENSQ_IJSG_SG_EEES6_PlJS6_EEE10hipError_tPvRmT3_T4_T5_T6_T7_T9_mT8_P12ihipStream_tbDpT10_ENKUlT_T0_E_clISt17integral_constantIbLb0EES1C_IbLb1EEEEDaS18_S19_EUlS18_E_NS1_11comp_targetILNS1_3genE0ELNS1_11target_archE4294967295ELNS1_3gpuE0ELNS1_3repE0EEENS1_30default_config_static_selectorELNS0_4arch9wavefront6targetE0EEEvT1_.has_recursion, 0
	.set _ZN7rocprim17ROCPRIM_400000_NS6detail17trampoline_kernelINS0_14default_configENS1_25partition_config_selectorILNS1_17partition_subalgoE5EtNS0_10empty_typeEbEEZZNS1_14partition_implILS5_5ELb0ES3_mN6thrust23THRUST_200600_302600_NS6detail15normal_iteratorINSA_10device_ptrItEEEEPS6_NSA_18transform_iteratorINSB_9not_fun_tI7is_trueItEEENSC_INSD_IbEEEENSA_11use_defaultESO_EENS0_5tupleIJSF_S6_EEENSQ_IJSG_SG_EEES6_PlJS6_EEE10hipError_tPvRmT3_T4_T5_T6_T7_T9_mT8_P12ihipStream_tbDpT10_ENKUlT_T0_E_clISt17integral_constantIbLb0EES1C_IbLb1EEEEDaS18_S19_EUlS18_E_NS1_11comp_targetILNS1_3genE0ELNS1_11target_archE4294967295ELNS1_3gpuE0ELNS1_3repE0EEENS1_30default_config_static_selectorELNS0_4arch9wavefront6targetE0EEEvT1_.has_indirect_call, 0
	.section	.AMDGPU.csdata,"",@progbits
; Kernel info:
; codeLenInByte = 0
; TotalNumSgprs: 0
; NumVgprs: 0
; ScratchSize: 0
; MemoryBound: 0
; FloatMode: 240
; IeeeMode: 1
; LDSByteSize: 0 bytes/workgroup (compile time only)
; SGPRBlocks: 0
; VGPRBlocks: 0
; NumSGPRsForWavesPerEU: 1
; NumVGPRsForWavesPerEU: 1
; Occupancy: 16
; WaveLimiterHint : 0
; COMPUTE_PGM_RSRC2:SCRATCH_EN: 0
; COMPUTE_PGM_RSRC2:USER_SGPR: 2
; COMPUTE_PGM_RSRC2:TRAP_HANDLER: 0
; COMPUTE_PGM_RSRC2:TGID_X_EN: 1
; COMPUTE_PGM_RSRC2:TGID_Y_EN: 0
; COMPUTE_PGM_RSRC2:TGID_Z_EN: 0
; COMPUTE_PGM_RSRC2:TIDIG_COMP_CNT: 0
	.section	.text._ZN7rocprim17ROCPRIM_400000_NS6detail17trampoline_kernelINS0_14default_configENS1_25partition_config_selectorILNS1_17partition_subalgoE5EtNS0_10empty_typeEbEEZZNS1_14partition_implILS5_5ELb0ES3_mN6thrust23THRUST_200600_302600_NS6detail15normal_iteratorINSA_10device_ptrItEEEEPS6_NSA_18transform_iteratorINSB_9not_fun_tI7is_trueItEEENSC_INSD_IbEEEENSA_11use_defaultESO_EENS0_5tupleIJSF_S6_EEENSQ_IJSG_SG_EEES6_PlJS6_EEE10hipError_tPvRmT3_T4_T5_T6_T7_T9_mT8_P12ihipStream_tbDpT10_ENKUlT_T0_E_clISt17integral_constantIbLb0EES1C_IbLb1EEEEDaS18_S19_EUlS18_E_NS1_11comp_targetILNS1_3genE5ELNS1_11target_archE942ELNS1_3gpuE9ELNS1_3repE0EEENS1_30default_config_static_selectorELNS0_4arch9wavefront6targetE0EEEvT1_,"axG",@progbits,_ZN7rocprim17ROCPRIM_400000_NS6detail17trampoline_kernelINS0_14default_configENS1_25partition_config_selectorILNS1_17partition_subalgoE5EtNS0_10empty_typeEbEEZZNS1_14partition_implILS5_5ELb0ES3_mN6thrust23THRUST_200600_302600_NS6detail15normal_iteratorINSA_10device_ptrItEEEEPS6_NSA_18transform_iteratorINSB_9not_fun_tI7is_trueItEEENSC_INSD_IbEEEENSA_11use_defaultESO_EENS0_5tupleIJSF_S6_EEENSQ_IJSG_SG_EEES6_PlJS6_EEE10hipError_tPvRmT3_T4_T5_T6_T7_T9_mT8_P12ihipStream_tbDpT10_ENKUlT_T0_E_clISt17integral_constantIbLb0EES1C_IbLb1EEEEDaS18_S19_EUlS18_E_NS1_11comp_targetILNS1_3genE5ELNS1_11target_archE942ELNS1_3gpuE9ELNS1_3repE0EEENS1_30default_config_static_selectorELNS0_4arch9wavefront6targetE0EEEvT1_,comdat
	.protected	_ZN7rocprim17ROCPRIM_400000_NS6detail17trampoline_kernelINS0_14default_configENS1_25partition_config_selectorILNS1_17partition_subalgoE5EtNS0_10empty_typeEbEEZZNS1_14partition_implILS5_5ELb0ES3_mN6thrust23THRUST_200600_302600_NS6detail15normal_iteratorINSA_10device_ptrItEEEEPS6_NSA_18transform_iteratorINSB_9not_fun_tI7is_trueItEEENSC_INSD_IbEEEENSA_11use_defaultESO_EENS0_5tupleIJSF_S6_EEENSQ_IJSG_SG_EEES6_PlJS6_EEE10hipError_tPvRmT3_T4_T5_T6_T7_T9_mT8_P12ihipStream_tbDpT10_ENKUlT_T0_E_clISt17integral_constantIbLb0EES1C_IbLb1EEEEDaS18_S19_EUlS18_E_NS1_11comp_targetILNS1_3genE5ELNS1_11target_archE942ELNS1_3gpuE9ELNS1_3repE0EEENS1_30default_config_static_selectorELNS0_4arch9wavefront6targetE0EEEvT1_ ; -- Begin function _ZN7rocprim17ROCPRIM_400000_NS6detail17trampoline_kernelINS0_14default_configENS1_25partition_config_selectorILNS1_17partition_subalgoE5EtNS0_10empty_typeEbEEZZNS1_14partition_implILS5_5ELb0ES3_mN6thrust23THRUST_200600_302600_NS6detail15normal_iteratorINSA_10device_ptrItEEEEPS6_NSA_18transform_iteratorINSB_9not_fun_tI7is_trueItEEENSC_INSD_IbEEEENSA_11use_defaultESO_EENS0_5tupleIJSF_S6_EEENSQ_IJSG_SG_EEES6_PlJS6_EEE10hipError_tPvRmT3_T4_T5_T6_T7_T9_mT8_P12ihipStream_tbDpT10_ENKUlT_T0_E_clISt17integral_constantIbLb0EES1C_IbLb1EEEEDaS18_S19_EUlS18_E_NS1_11comp_targetILNS1_3genE5ELNS1_11target_archE942ELNS1_3gpuE9ELNS1_3repE0EEENS1_30default_config_static_selectorELNS0_4arch9wavefront6targetE0EEEvT1_
	.globl	_ZN7rocprim17ROCPRIM_400000_NS6detail17trampoline_kernelINS0_14default_configENS1_25partition_config_selectorILNS1_17partition_subalgoE5EtNS0_10empty_typeEbEEZZNS1_14partition_implILS5_5ELb0ES3_mN6thrust23THRUST_200600_302600_NS6detail15normal_iteratorINSA_10device_ptrItEEEEPS6_NSA_18transform_iteratorINSB_9not_fun_tI7is_trueItEEENSC_INSD_IbEEEENSA_11use_defaultESO_EENS0_5tupleIJSF_S6_EEENSQ_IJSG_SG_EEES6_PlJS6_EEE10hipError_tPvRmT3_T4_T5_T6_T7_T9_mT8_P12ihipStream_tbDpT10_ENKUlT_T0_E_clISt17integral_constantIbLb0EES1C_IbLb1EEEEDaS18_S19_EUlS18_E_NS1_11comp_targetILNS1_3genE5ELNS1_11target_archE942ELNS1_3gpuE9ELNS1_3repE0EEENS1_30default_config_static_selectorELNS0_4arch9wavefront6targetE0EEEvT1_
	.p2align	8
	.type	_ZN7rocprim17ROCPRIM_400000_NS6detail17trampoline_kernelINS0_14default_configENS1_25partition_config_selectorILNS1_17partition_subalgoE5EtNS0_10empty_typeEbEEZZNS1_14partition_implILS5_5ELb0ES3_mN6thrust23THRUST_200600_302600_NS6detail15normal_iteratorINSA_10device_ptrItEEEEPS6_NSA_18transform_iteratorINSB_9not_fun_tI7is_trueItEEENSC_INSD_IbEEEENSA_11use_defaultESO_EENS0_5tupleIJSF_S6_EEENSQ_IJSG_SG_EEES6_PlJS6_EEE10hipError_tPvRmT3_T4_T5_T6_T7_T9_mT8_P12ihipStream_tbDpT10_ENKUlT_T0_E_clISt17integral_constantIbLb0EES1C_IbLb1EEEEDaS18_S19_EUlS18_E_NS1_11comp_targetILNS1_3genE5ELNS1_11target_archE942ELNS1_3gpuE9ELNS1_3repE0EEENS1_30default_config_static_selectorELNS0_4arch9wavefront6targetE0EEEvT1_,@function
_ZN7rocprim17ROCPRIM_400000_NS6detail17trampoline_kernelINS0_14default_configENS1_25partition_config_selectorILNS1_17partition_subalgoE5EtNS0_10empty_typeEbEEZZNS1_14partition_implILS5_5ELb0ES3_mN6thrust23THRUST_200600_302600_NS6detail15normal_iteratorINSA_10device_ptrItEEEEPS6_NSA_18transform_iteratorINSB_9not_fun_tI7is_trueItEEENSC_INSD_IbEEEENSA_11use_defaultESO_EENS0_5tupleIJSF_S6_EEENSQ_IJSG_SG_EEES6_PlJS6_EEE10hipError_tPvRmT3_T4_T5_T6_T7_T9_mT8_P12ihipStream_tbDpT10_ENKUlT_T0_E_clISt17integral_constantIbLb0EES1C_IbLb1EEEEDaS18_S19_EUlS18_E_NS1_11comp_targetILNS1_3genE5ELNS1_11target_archE942ELNS1_3gpuE9ELNS1_3repE0EEENS1_30default_config_static_selectorELNS0_4arch9wavefront6targetE0EEEvT1_: ; @_ZN7rocprim17ROCPRIM_400000_NS6detail17trampoline_kernelINS0_14default_configENS1_25partition_config_selectorILNS1_17partition_subalgoE5EtNS0_10empty_typeEbEEZZNS1_14partition_implILS5_5ELb0ES3_mN6thrust23THRUST_200600_302600_NS6detail15normal_iteratorINSA_10device_ptrItEEEEPS6_NSA_18transform_iteratorINSB_9not_fun_tI7is_trueItEEENSC_INSD_IbEEEENSA_11use_defaultESO_EENS0_5tupleIJSF_S6_EEENSQ_IJSG_SG_EEES6_PlJS6_EEE10hipError_tPvRmT3_T4_T5_T6_T7_T9_mT8_P12ihipStream_tbDpT10_ENKUlT_T0_E_clISt17integral_constantIbLb0EES1C_IbLb1EEEEDaS18_S19_EUlS18_E_NS1_11comp_targetILNS1_3genE5ELNS1_11target_archE942ELNS1_3gpuE9ELNS1_3repE0EEENS1_30default_config_static_selectorELNS0_4arch9wavefront6targetE0EEEvT1_
; %bb.0:
	.section	.rodata,"a",@progbits
	.p2align	6, 0x0
	.amdhsa_kernel _ZN7rocprim17ROCPRIM_400000_NS6detail17trampoline_kernelINS0_14default_configENS1_25partition_config_selectorILNS1_17partition_subalgoE5EtNS0_10empty_typeEbEEZZNS1_14partition_implILS5_5ELb0ES3_mN6thrust23THRUST_200600_302600_NS6detail15normal_iteratorINSA_10device_ptrItEEEEPS6_NSA_18transform_iteratorINSB_9not_fun_tI7is_trueItEEENSC_INSD_IbEEEENSA_11use_defaultESO_EENS0_5tupleIJSF_S6_EEENSQ_IJSG_SG_EEES6_PlJS6_EEE10hipError_tPvRmT3_T4_T5_T6_T7_T9_mT8_P12ihipStream_tbDpT10_ENKUlT_T0_E_clISt17integral_constantIbLb0EES1C_IbLb1EEEEDaS18_S19_EUlS18_E_NS1_11comp_targetILNS1_3genE5ELNS1_11target_archE942ELNS1_3gpuE9ELNS1_3repE0EEENS1_30default_config_static_selectorELNS0_4arch9wavefront6targetE0EEEvT1_
		.amdhsa_group_segment_fixed_size 0
		.amdhsa_private_segment_fixed_size 0
		.amdhsa_kernarg_size 136
		.amdhsa_user_sgpr_count 2
		.amdhsa_user_sgpr_dispatch_ptr 0
		.amdhsa_user_sgpr_queue_ptr 0
		.amdhsa_user_sgpr_kernarg_segment_ptr 1
		.amdhsa_user_sgpr_dispatch_id 0
		.amdhsa_user_sgpr_private_segment_size 0
		.amdhsa_wavefront_size32 1
		.amdhsa_uses_dynamic_stack 0
		.amdhsa_enable_private_segment 0
		.amdhsa_system_sgpr_workgroup_id_x 1
		.amdhsa_system_sgpr_workgroup_id_y 0
		.amdhsa_system_sgpr_workgroup_id_z 0
		.amdhsa_system_sgpr_workgroup_info 0
		.amdhsa_system_vgpr_workitem_id 0
		.amdhsa_next_free_vgpr 1
		.amdhsa_next_free_sgpr 1
		.amdhsa_reserve_vcc 0
		.amdhsa_float_round_mode_32 0
		.amdhsa_float_round_mode_16_64 0
		.amdhsa_float_denorm_mode_32 3
		.amdhsa_float_denorm_mode_16_64 3
		.amdhsa_fp16_overflow 0
		.amdhsa_workgroup_processor_mode 1
		.amdhsa_memory_ordered 1
		.amdhsa_forward_progress 1
		.amdhsa_inst_pref_size 0
		.amdhsa_round_robin_scheduling 0
		.amdhsa_exception_fp_ieee_invalid_op 0
		.amdhsa_exception_fp_denorm_src 0
		.amdhsa_exception_fp_ieee_div_zero 0
		.amdhsa_exception_fp_ieee_overflow 0
		.amdhsa_exception_fp_ieee_underflow 0
		.amdhsa_exception_fp_ieee_inexact 0
		.amdhsa_exception_int_div_zero 0
	.end_amdhsa_kernel
	.section	.text._ZN7rocprim17ROCPRIM_400000_NS6detail17trampoline_kernelINS0_14default_configENS1_25partition_config_selectorILNS1_17partition_subalgoE5EtNS0_10empty_typeEbEEZZNS1_14partition_implILS5_5ELb0ES3_mN6thrust23THRUST_200600_302600_NS6detail15normal_iteratorINSA_10device_ptrItEEEEPS6_NSA_18transform_iteratorINSB_9not_fun_tI7is_trueItEEENSC_INSD_IbEEEENSA_11use_defaultESO_EENS0_5tupleIJSF_S6_EEENSQ_IJSG_SG_EEES6_PlJS6_EEE10hipError_tPvRmT3_T4_T5_T6_T7_T9_mT8_P12ihipStream_tbDpT10_ENKUlT_T0_E_clISt17integral_constantIbLb0EES1C_IbLb1EEEEDaS18_S19_EUlS18_E_NS1_11comp_targetILNS1_3genE5ELNS1_11target_archE942ELNS1_3gpuE9ELNS1_3repE0EEENS1_30default_config_static_selectorELNS0_4arch9wavefront6targetE0EEEvT1_,"axG",@progbits,_ZN7rocprim17ROCPRIM_400000_NS6detail17trampoline_kernelINS0_14default_configENS1_25partition_config_selectorILNS1_17partition_subalgoE5EtNS0_10empty_typeEbEEZZNS1_14partition_implILS5_5ELb0ES3_mN6thrust23THRUST_200600_302600_NS6detail15normal_iteratorINSA_10device_ptrItEEEEPS6_NSA_18transform_iteratorINSB_9not_fun_tI7is_trueItEEENSC_INSD_IbEEEENSA_11use_defaultESO_EENS0_5tupleIJSF_S6_EEENSQ_IJSG_SG_EEES6_PlJS6_EEE10hipError_tPvRmT3_T4_T5_T6_T7_T9_mT8_P12ihipStream_tbDpT10_ENKUlT_T0_E_clISt17integral_constantIbLb0EES1C_IbLb1EEEEDaS18_S19_EUlS18_E_NS1_11comp_targetILNS1_3genE5ELNS1_11target_archE942ELNS1_3gpuE9ELNS1_3repE0EEENS1_30default_config_static_selectorELNS0_4arch9wavefront6targetE0EEEvT1_,comdat
.Lfunc_end2486:
	.size	_ZN7rocprim17ROCPRIM_400000_NS6detail17trampoline_kernelINS0_14default_configENS1_25partition_config_selectorILNS1_17partition_subalgoE5EtNS0_10empty_typeEbEEZZNS1_14partition_implILS5_5ELb0ES3_mN6thrust23THRUST_200600_302600_NS6detail15normal_iteratorINSA_10device_ptrItEEEEPS6_NSA_18transform_iteratorINSB_9not_fun_tI7is_trueItEEENSC_INSD_IbEEEENSA_11use_defaultESO_EENS0_5tupleIJSF_S6_EEENSQ_IJSG_SG_EEES6_PlJS6_EEE10hipError_tPvRmT3_T4_T5_T6_T7_T9_mT8_P12ihipStream_tbDpT10_ENKUlT_T0_E_clISt17integral_constantIbLb0EES1C_IbLb1EEEEDaS18_S19_EUlS18_E_NS1_11comp_targetILNS1_3genE5ELNS1_11target_archE942ELNS1_3gpuE9ELNS1_3repE0EEENS1_30default_config_static_selectorELNS0_4arch9wavefront6targetE0EEEvT1_, .Lfunc_end2486-_ZN7rocprim17ROCPRIM_400000_NS6detail17trampoline_kernelINS0_14default_configENS1_25partition_config_selectorILNS1_17partition_subalgoE5EtNS0_10empty_typeEbEEZZNS1_14partition_implILS5_5ELb0ES3_mN6thrust23THRUST_200600_302600_NS6detail15normal_iteratorINSA_10device_ptrItEEEEPS6_NSA_18transform_iteratorINSB_9not_fun_tI7is_trueItEEENSC_INSD_IbEEEENSA_11use_defaultESO_EENS0_5tupleIJSF_S6_EEENSQ_IJSG_SG_EEES6_PlJS6_EEE10hipError_tPvRmT3_T4_T5_T6_T7_T9_mT8_P12ihipStream_tbDpT10_ENKUlT_T0_E_clISt17integral_constantIbLb0EES1C_IbLb1EEEEDaS18_S19_EUlS18_E_NS1_11comp_targetILNS1_3genE5ELNS1_11target_archE942ELNS1_3gpuE9ELNS1_3repE0EEENS1_30default_config_static_selectorELNS0_4arch9wavefront6targetE0EEEvT1_
                                        ; -- End function
	.set _ZN7rocprim17ROCPRIM_400000_NS6detail17trampoline_kernelINS0_14default_configENS1_25partition_config_selectorILNS1_17partition_subalgoE5EtNS0_10empty_typeEbEEZZNS1_14partition_implILS5_5ELb0ES3_mN6thrust23THRUST_200600_302600_NS6detail15normal_iteratorINSA_10device_ptrItEEEEPS6_NSA_18transform_iteratorINSB_9not_fun_tI7is_trueItEEENSC_INSD_IbEEEENSA_11use_defaultESO_EENS0_5tupleIJSF_S6_EEENSQ_IJSG_SG_EEES6_PlJS6_EEE10hipError_tPvRmT3_T4_T5_T6_T7_T9_mT8_P12ihipStream_tbDpT10_ENKUlT_T0_E_clISt17integral_constantIbLb0EES1C_IbLb1EEEEDaS18_S19_EUlS18_E_NS1_11comp_targetILNS1_3genE5ELNS1_11target_archE942ELNS1_3gpuE9ELNS1_3repE0EEENS1_30default_config_static_selectorELNS0_4arch9wavefront6targetE0EEEvT1_.num_vgpr, 0
	.set _ZN7rocprim17ROCPRIM_400000_NS6detail17trampoline_kernelINS0_14default_configENS1_25partition_config_selectorILNS1_17partition_subalgoE5EtNS0_10empty_typeEbEEZZNS1_14partition_implILS5_5ELb0ES3_mN6thrust23THRUST_200600_302600_NS6detail15normal_iteratorINSA_10device_ptrItEEEEPS6_NSA_18transform_iteratorINSB_9not_fun_tI7is_trueItEEENSC_INSD_IbEEEENSA_11use_defaultESO_EENS0_5tupleIJSF_S6_EEENSQ_IJSG_SG_EEES6_PlJS6_EEE10hipError_tPvRmT3_T4_T5_T6_T7_T9_mT8_P12ihipStream_tbDpT10_ENKUlT_T0_E_clISt17integral_constantIbLb0EES1C_IbLb1EEEEDaS18_S19_EUlS18_E_NS1_11comp_targetILNS1_3genE5ELNS1_11target_archE942ELNS1_3gpuE9ELNS1_3repE0EEENS1_30default_config_static_selectorELNS0_4arch9wavefront6targetE0EEEvT1_.num_agpr, 0
	.set _ZN7rocprim17ROCPRIM_400000_NS6detail17trampoline_kernelINS0_14default_configENS1_25partition_config_selectorILNS1_17partition_subalgoE5EtNS0_10empty_typeEbEEZZNS1_14partition_implILS5_5ELb0ES3_mN6thrust23THRUST_200600_302600_NS6detail15normal_iteratorINSA_10device_ptrItEEEEPS6_NSA_18transform_iteratorINSB_9not_fun_tI7is_trueItEEENSC_INSD_IbEEEENSA_11use_defaultESO_EENS0_5tupleIJSF_S6_EEENSQ_IJSG_SG_EEES6_PlJS6_EEE10hipError_tPvRmT3_T4_T5_T6_T7_T9_mT8_P12ihipStream_tbDpT10_ENKUlT_T0_E_clISt17integral_constantIbLb0EES1C_IbLb1EEEEDaS18_S19_EUlS18_E_NS1_11comp_targetILNS1_3genE5ELNS1_11target_archE942ELNS1_3gpuE9ELNS1_3repE0EEENS1_30default_config_static_selectorELNS0_4arch9wavefront6targetE0EEEvT1_.numbered_sgpr, 0
	.set _ZN7rocprim17ROCPRIM_400000_NS6detail17trampoline_kernelINS0_14default_configENS1_25partition_config_selectorILNS1_17partition_subalgoE5EtNS0_10empty_typeEbEEZZNS1_14partition_implILS5_5ELb0ES3_mN6thrust23THRUST_200600_302600_NS6detail15normal_iteratorINSA_10device_ptrItEEEEPS6_NSA_18transform_iteratorINSB_9not_fun_tI7is_trueItEEENSC_INSD_IbEEEENSA_11use_defaultESO_EENS0_5tupleIJSF_S6_EEENSQ_IJSG_SG_EEES6_PlJS6_EEE10hipError_tPvRmT3_T4_T5_T6_T7_T9_mT8_P12ihipStream_tbDpT10_ENKUlT_T0_E_clISt17integral_constantIbLb0EES1C_IbLb1EEEEDaS18_S19_EUlS18_E_NS1_11comp_targetILNS1_3genE5ELNS1_11target_archE942ELNS1_3gpuE9ELNS1_3repE0EEENS1_30default_config_static_selectorELNS0_4arch9wavefront6targetE0EEEvT1_.num_named_barrier, 0
	.set _ZN7rocprim17ROCPRIM_400000_NS6detail17trampoline_kernelINS0_14default_configENS1_25partition_config_selectorILNS1_17partition_subalgoE5EtNS0_10empty_typeEbEEZZNS1_14partition_implILS5_5ELb0ES3_mN6thrust23THRUST_200600_302600_NS6detail15normal_iteratorINSA_10device_ptrItEEEEPS6_NSA_18transform_iteratorINSB_9not_fun_tI7is_trueItEEENSC_INSD_IbEEEENSA_11use_defaultESO_EENS0_5tupleIJSF_S6_EEENSQ_IJSG_SG_EEES6_PlJS6_EEE10hipError_tPvRmT3_T4_T5_T6_T7_T9_mT8_P12ihipStream_tbDpT10_ENKUlT_T0_E_clISt17integral_constantIbLb0EES1C_IbLb1EEEEDaS18_S19_EUlS18_E_NS1_11comp_targetILNS1_3genE5ELNS1_11target_archE942ELNS1_3gpuE9ELNS1_3repE0EEENS1_30default_config_static_selectorELNS0_4arch9wavefront6targetE0EEEvT1_.private_seg_size, 0
	.set _ZN7rocprim17ROCPRIM_400000_NS6detail17trampoline_kernelINS0_14default_configENS1_25partition_config_selectorILNS1_17partition_subalgoE5EtNS0_10empty_typeEbEEZZNS1_14partition_implILS5_5ELb0ES3_mN6thrust23THRUST_200600_302600_NS6detail15normal_iteratorINSA_10device_ptrItEEEEPS6_NSA_18transform_iteratorINSB_9not_fun_tI7is_trueItEEENSC_INSD_IbEEEENSA_11use_defaultESO_EENS0_5tupleIJSF_S6_EEENSQ_IJSG_SG_EEES6_PlJS6_EEE10hipError_tPvRmT3_T4_T5_T6_T7_T9_mT8_P12ihipStream_tbDpT10_ENKUlT_T0_E_clISt17integral_constantIbLb0EES1C_IbLb1EEEEDaS18_S19_EUlS18_E_NS1_11comp_targetILNS1_3genE5ELNS1_11target_archE942ELNS1_3gpuE9ELNS1_3repE0EEENS1_30default_config_static_selectorELNS0_4arch9wavefront6targetE0EEEvT1_.uses_vcc, 0
	.set _ZN7rocprim17ROCPRIM_400000_NS6detail17trampoline_kernelINS0_14default_configENS1_25partition_config_selectorILNS1_17partition_subalgoE5EtNS0_10empty_typeEbEEZZNS1_14partition_implILS5_5ELb0ES3_mN6thrust23THRUST_200600_302600_NS6detail15normal_iteratorINSA_10device_ptrItEEEEPS6_NSA_18transform_iteratorINSB_9not_fun_tI7is_trueItEEENSC_INSD_IbEEEENSA_11use_defaultESO_EENS0_5tupleIJSF_S6_EEENSQ_IJSG_SG_EEES6_PlJS6_EEE10hipError_tPvRmT3_T4_T5_T6_T7_T9_mT8_P12ihipStream_tbDpT10_ENKUlT_T0_E_clISt17integral_constantIbLb0EES1C_IbLb1EEEEDaS18_S19_EUlS18_E_NS1_11comp_targetILNS1_3genE5ELNS1_11target_archE942ELNS1_3gpuE9ELNS1_3repE0EEENS1_30default_config_static_selectorELNS0_4arch9wavefront6targetE0EEEvT1_.uses_flat_scratch, 0
	.set _ZN7rocprim17ROCPRIM_400000_NS6detail17trampoline_kernelINS0_14default_configENS1_25partition_config_selectorILNS1_17partition_subalgoE5EtNS0_10empty_typeEbEEZZNS1_14partition_implILS5_5ELb0ES3_mN6thrust23THRUST_200600_302600_NS6detail15normal_iteratorINSA_10device_ptrItEEEEPS6_NSA_18transform_iteratorINSB_9not_fun_tI7is_trueItEEENSC_INSD_IbEEEENSA_11use_defaultESO_EENS0_5tupleIJSF_S6_EEENSQ_IJSG_SG_EEES6_PlJS6_EEE10hipError_tPvRmT3_T4_T5_T6_T7_T9_mT8_P12ihipStream_tbDpT10_ENKUlT_T0_E_clISt17integral_constantIbLb0EES1C_IbLb1EEEEDaS18_S19_EUlS18_E_NS1_11comp_targetILNS1_3genE5ELNS1_11target_archE942ELNS1_3gpuE9ELNS1_3repE0EEENS1_30default_config_static_selectorELNS0_4arch9wavefront6targetE0EEEvT1_.has_dyn_sized_stack, 0
	.set _ZN7rocprim17ROCPRIM_400000_NS6detail17trampoline_kernelINS0_14default_configENS1_25partition_config_selectorILNS1_17partition_subalgoE5EtNS0_10empty_typeEbEEZZNS1_14partition_implILS5_5ELb0ES3_mN6thrust23THRUST_200600_302600_NS6detail15normal_iteratorINSA_10device_ptrItEEEEPS6_NSA_18transform_iteratorINSB_9not_fun_tI7is_trueItEEENSC_INSD_IbEEEENSA_11use_defaultESO_EENS0_5tupleIJSF_S6_EEENSQ_IJSG_SG_EEES6_PlJS6_EEE10hipError_tPvRmT3_T4_T5_T6_T7_T9_mT8_P12ihipStream_tbDpT10_ENKUlT_T0_E_clISt17integral_constantIbLb0EES1C_IbLb1EEEEDaS18_S19_EUlS18_E_NS1_11comp_targetILNS1_3genE5ELNS1_11target_archE942ELNS1_3gpuE9ELNS1_3repE0EEENS1_30default_config_static_selectorELNS0_4arch9wavefront6targetE0EEEvT1_.has_recursion, 0
	.set _ZN7rocprim17ROCPRIM_400000_NS6detail17trampoline_kernelINS0_14default_configENS1_25partition_config_selectorILNS1_17partition_subalgoE5EtNS0_10empty_typeEbEEZZNS1_14partition_implILS5_5ELb0ES3_mN6thrust23THRUST_200600_302600_NS6detail15normal_iteratorINSA_10device_ptrItEEEEPS6_NSA_18transform_iteratorINSB_9not_fun_tI7is_trueItEEENSC_INSD_IbEEEENSA_11use_defaultESO_EENS0_5tupleIJSF_S6_EEENSQ_IJSG_SG_EEES6_PlJS6_EEE10hipError_tPvRmT3_T4_T5_T6_T7_T9_mT8_P12ihipStream_tbDpT10_ENKUlT_T0_E_clISt17integral_constantIbLb0EES1C_IbLb1EEEEDaS18_S19_EUlS18_E_NS1_11comp_targetILNS1_3genE5ELNS1_11target_archE942ELNS1_3gpuE9ELNS1_3repE0EEENS1_30default_config_static_selectorELNS0_4arch9wavefront6targetE0EEEvT1_.has_indirect_call, 0
	.section	.AMDGPU.csdata,"",@progbits
; Kernel info:
; codeLenInByte = 0
; TotalNumSgprs: 0
; NumVgprs: 0
; ScratchSize: 0
; MemoryBound: 0
; FloatMode: 240
; IeeeMode: 1
; LDSByteSize: 0 bytes/workgroup (compile time only)
; SGPRBlocks: 0
; VGPRBlocks: 0
; NumSGPRsForWavesPerEU: 1
; NumVGPRsForWavesPerEU: 1
; Occupancy: 16
; WaveLimiterHint : 0
; COMPUTE_PGM_RSRC2:SCRATCH_EN: 0
; COMPUTE_PGM_RSRC2:USER_SGPR: 2
; COMPUTE_PGM_RSRC2:TRAP_HANDLER: 0
; COMPUTE_PGM_RSRC2:TGID_X_EN: 1
; COMPUTE_PGM_RSRC2:TGID_Y_EN: 0
; COMPUTE_PGM_RSRC2:TGID_Z_EN: 0
; COMPUTE_PGM_RSRC2:TIDIG_COMP_CNT: 0
	.section	.text._ZN7rocprim17ROCPRIM_400000_NS6detail17trampoline_kernelINS0_14default_configENS1_25partition_config_selectorILNS1_17partition_subalgoE5EtNS0_10empty_typeEbEEZZNS1_14partition_implILS5_5ELb0ES3_mN6thrust23THRUST_200600_302600_NS6detail15normal_iteratorINSA_10device_ptrItEEEEPS6_NSA_18transform_iteratorINSB_9not_fun_tI7is_trueItEEENSC_INSD_IbEEEENSA_11use_defaultESO_EENS0_5tupleIJSF_S6_EEENSQ_IJSG_SG_EEES6_PlJS6_EEE10hipError_tPvRmT3_T4_T5_T6_T7_T9_mT8_P12ihipStream_tbDpT10_ENKUlT_T0_E_clISt17integral_constantIbLb0EES1C_IbLb1EEEEDaS18_S19_EUlS18_E_NS1_11comp_targetILNS1_3genE4ELNS1_11target_archE910ELNS1_3gpuE8ELNS1_3repE0EEENS1_30default_config_static_selectorELNS0_4arch9wavefront6targetE0EEEvT1_,"axG",@progbits,_ZN7rocprim17ROCPRIM_400000_NS6detail17trampoline_kernelINS0_14default_configENS1_25partition_config_selectorILNS1_17partition_subalgoE5EtNS0_10empty_typeEbEEZZNS1_14partition_implILS5_5ELb0ES3_mN6thrust23THRUST_200600_302600_NS6detail15normal_iteratorINSA_10device_ptrItEEEEPS6_NSA_18transform_iteratorINSB_9not_fun_tI7is_trueItEEENSC_INSD_IbEEEENSA_11use_defaultESO_EENS0_5tupleIJSF_S6_EEENSQ_IJSG_SG_EEES6_PlJS6_EEE10hipError_tPvRmT3_T4_T5_T6_T7_T9_mT8_P12ihipStream_tbDpT10_ENKUlT_T0_E_clISt17integral_constantIbLb0EES1C_IbLb1EEEEDaS18_S19_EUlS18_E_NS1_11comp_targetILNS1_3genE4ELNS1_11target_archE910ELNS1_3gpuE8ELNS1_3repE0EEENS1_30default_config_static_selectorELNS0_4arch9wavefront6targetE0EEEvT1_,comdat
	.protected	_ZN7rocprim17ROCPRIM_400000_NS6detail17trampoline_kernelINS0_14default_configENS1_25partition_config_selectorILNS1_17partition_subalgoE5EtNS0_10empty_typeEbEEZZNS1_14partition_implILS5_5ELb0ES3_mN6thrust23THRUST_200600_302600_NS6detail15normal_iteratorINSA_10device_ptrItEEEEPS6_NSA_18transform_iteratorINSB_9not_fun_tI7is_trueItEEENSC_INSD_IbEEEENSA_11use_defaultESO_EENS0_5tupleIJSF_S6_EEENSQ_IJSG_SG_EEES6_PlJS6_EEE10hipError_tPvRmT3_T4_T5_T6_T7_T9_mT8_P12ihipStream_tbDpT10_ENKUlT_T0_E_clISt17integral_constantIbLb0EES1C_IbLb1EEEEDaS18_S19_EUlS18_E_NS1_11comp_targetILNS1_3genE4ELNS1_11target_archE910ELNS1_3gpuE8ELNS1_3repE0EEENS1_30default_config_static_selectorELNS0_4arch9wavefront6targetE0EEEvT1_ ; -- Begin function _ZN7rocprim17ROCPRIM_400000_NS6detail17trampoline_kernelINS0_14default_configENS1_25partition_config_selectorILNS1_17partition_subalgoE5EtNS0_10empty_typeEbEEZZNS1_14partition_implILS5_5ELb0ES3_mN6thrust23THRUST_200600_302600_NS6detail15normal_iteratorINSA_10device_ptrItEEEEPS6_NSA_18transform_iteratorINSB_9not_fun_tI7is_trueItEEENSC_INSD_IbEEEENSA_11use_defaultESO_EENS0_5tupleIJSF_S6_EEENSQ_IJSG_SG_EEES6_PlJS6_EEE10hipError_tPvRmT3_T4_T5_T6_T7_T9_mT8_P12ihipStream_tbDpT10_ENKUlT_T0_E_clISt17integral_constantIbLb0EES1C_IbLb1EEEEDaS18_S19_EUlS18_E_NS1_11comp_targetILNS1_3genE4ELNS1_11target_archE910ELNS1_3gpuE8ELNS1_3repE0EEENS1_30default_config_static_selectorELNS0_4arch9wavefront6targetE0EEEvT1_
	.globl	_ZN7rocprim17ROCPRIM_400000_NS6detail17trampoline_kernelINS0_14default_configENS1_25partition_config_selectorILNS1_17partition_subalgoE5EtNS0_10empty_typeEbEEZZNS1_14partition_implILS5_5ELb0ES3_mN6thrust23THRUST_200600_302600_NS6detail15normal_iteratorINSA_10device_ptrItEEEEPS6_NSA_18transform_iteratorINSB_9not_fun_tI7is_trueItEEENSC_INSD_IbEEEENSA_11use_defaultESO_EENS0_5tupleIJSF_S6_EEENSQ_IJSG_SG_EEES6_PlJS6_EEE10hipError_tPvRmT3_T4_T5_T6_T7_T9_mT8_P12ihipStream_tbDpT10_ENKUlT_T0_E_clISt17integral_constantIbLb0EES1C_IbLb1EEEEDaS18_S19_EUlS18_E_NS1_11comp_targetILNS1_3genE4ELNS1_11target_archE910ELNS1_3gpuE8ELNS1_3repE0EEENS1_30default_config_static_selectorELNS0_4arch9wavefront6targetE0EEEvT1_
	.p2align	8
	.type	_ZN7rocprim17ROCPRIM_400000_NS6detail17trampoline_kernelINS0_14default_configENS1_25partition_config_selectorILNS1_17partition_subalgoE5EtNS0_10empty_typeEbEEZZNS1_14partition_implILS5_5ELb0ES3_mN6thrust23THRUST_200600_302600_NS6detail15normal_iteratorINSA_10device_ptrItEEEEPS6_NSA_18transform_iteratorINSB_9not_fun_tI7is_trueItEEENSC_INSD_IbEEEENSA_11use_defaultESO_EENS0_5tupleIJSF_S6_EEENSQ_IJSG_SG_EEES6_PlJS6_EEE10hipError_tPvRmT3_T4_T5_T6_T7_T9_mT8_P12ihipStream_tbDpT10_ENKUlT_T0_E_clISt17integral_constantIbLb0EES1C_IbLb1EEEEDaS18_S19_EUlS18_E_NS1_11comp_targetILNS1_3genE4ELNS1_11target_archE910ELNS1_3gpuE8ELNS1_3repE0EEENS1_30default_config_static_selectorELNS0_4arch9wavefront6targetE0EEEvT1_,@function
_ZN7rocprim17ROCPRIM_400000_NS6detail17trampoline_kernelINS0_14default_configENS1_25partition_config_selectorILNS1_17partition_subalgoE5EtNS0_10empty_typeEbEEZZNS1_14partition_implILS5_5ELb0ES3_mN6thrust23THRUST_200600_302600_NS6detail15normal_iteratorINSA_10device_ptrItEEEEPS6_NSA_18transform_iteratorINSB_9not_fun_tI7is_trueItEEENSC_INSD_IbEEEENSA_11use_defaultESO_EENS0_5tupleIJSF_S6_EEENSQ_IJSG_SG_EEES6_PlJS6_EEE10hipError_tPvRmT3_T4_T5_T6_T7_T9_mT8_P12ihipStream_tbDpT10_ENKUlT_T0_E_clISt17integral_constantIbLb0EES1C_IbLb1EEEEDaS18_S19_EUlS18_E_NS1_11comp_targetILNS1_3genE4ELNS1_11target_archE910ELNS1_3gpuE8ELNS1_3repE0EEENS1_30default_config_static_selectorELNS0_4arch9wavefront6targetE0EEEvT1_: ; @_ZN7rocprim17ROCPRIM_400000_NS6detail17trampoline_kernelINS0_14default_configENS1_25partition_config_selectorILNS1_17partition_subalgoE5EtNS0_10empty_typeEbEEZZNS1_14partition_implILS5_5ELb0ES3_mN6thrust23THRUST_200600_302600_NS6detail15normal_iteratorINSA_10device_ptrItEEEEPS6_NSA_18transform_iteratorINSB_9not_fun_tI7is_trueItEEENSC_INSD_IbEEEENSA_11use_defaultESO_EENS0_5tupleIJSF_S6_EEENSQ_IJSG_SG_EEES6_PlJS6_EEE10hipError_tPvRmT3_T4_T5_T6_T7_T9_mT8_P12ihipStream_tbDpT10_ENKUlT_T0_E_clISt17integral_constantIbLb0EES1C_IbLb1EEEEDaS18_S19_EUlS18_E_NS1_11comp_targetILNS1_3genE4ELNS1_11target_archE910ELNS1_3gpuE8ELNS1_3repE0EEENS1_30default_config_static_selectorELNS0_4arch9wavefront6targetE0EEEvT1_
; %bb.0:
	.section	.rodata,"a",@progbits
	.p2align	6, 0x0
	.amdhsa_kernel _ZN7rocprim17ROCPRIM_400000_NS6detail17trampoline_kernelINS0_14default_configENS1_25partition_config_selectorILNS1_17partition_subalgoE5EtNS0_10empty_typeEbEEZZNS1_14partition_implILS5_5ELb0ES3_mN6thrust23THRUST_200600_302600_NS6detail15normal_iteratorINSA_10device_ptrItEEEEPS6_NSA_18transform_iteratorINSB_9not_fun_tI7is_trueItEEENSC_INSD_IbEEEENSA_11use_defaultESO_EENS0_5tupleIJSF_S6_EEENSQ_IJSG_SG_EEES6_PlJS6_EEE10hipError_tPvRmT3_T4_T5_T6_T7_T9_mT8_P12ihipStream_tbDpT10_ENKUlT_T0_E_clISt17integral_constantIbLb0EES1C_IbLb1EEEEDaS18_S19_EUlS18_E_NS1_11comp_targetILNS1_3genE4ELNS1_11target_archE910ELNS1_3gpuE8ELNS1_3repE0EEENS1_30default_config_static_selectorELNS0_4arch9wavefront6targetE0EEEvT1_
		.amdhsa_group_segment_fixed_size 0
		.amdhsa_private_segment_fixed_size 0
		.amdhsa_kernarg_size 136
		.amdhsa_user_sgpr_count 2
		.amdhsa_user_sgpr_dispatch_ptr 0
		.amdhsa_user_sgpr_queue_ptr 0
		.amdhsa_user_sgpr_kernarg_segment_ptr 1
		.amdhsa_user_sgpr_dispatch_id 0
		.amdhsa_user_sgpr_private_segment_size 0
		.amdhsa_wavefront_size32 1
		.amdhsa_uses_dynamic_stack 0
		.amdhsa_enable_private_segment 0
		.amdhsa_system_sgpr_workgroup_id_x 1
		.amdhsa_system_sgpr_workgroup_id_y 0
		.amdhsa_system_sgpr_workgroup_id_z 0
		.amdhsa_system_sgpr_workgroup_info 0
		.amdhsa_system_vgpr_workitem_id 0
		.amdhsa_next_free_vgpr 1
		.amdhsa_next_free_sgpr 1
		.amdhsa_reserve_vcc 0
		.amdhsa_float_round_mode_32 0
		.amdhsa_float_round_mode_16_64 0
		.amdhsa_float_denorm_mode_32 3
		.amdhsa_float_denorm_mode_16_64 3
		.amdhsa_fp16_overflow 0
		.amdhsa_workgroup_processor_mode 1
		.amdhsa_memory_ordered 1
		.amdhsa_forward_progress 1
		.amdhsa_inst_pref_size 0
		.amdhsa_round_robin_scheduling 0
		.amdhsa_exception_fp_ieee_invalid_op 0
		.amdhsa_exception_fp_denorm_src 0
		.amdhsa_exception_fp_ieee_div_zero 0
		.amdhsa_exception_fp_ieee_overflow 0
		.amdhsa_exception_fp_ieee_underflow 0
		.amdhsa_exception_fp_ieee_inexact 0
		.amdhsa_exception_int_div_zero 0
	.end_amdhsa_kernel
	.section	.text._ZN7rocprim17ROCPRIM_400000_NS6detail17trampoline_kernelINS0_14default_configENS1_25partition_config_selectorILNS1_17partition_subalgoE5EtNS0_10empty_typeEbEEZZNS1_14partition_implILS5_5ELb0ES3_mN6thrust23THRUST_200600_302600_NS6detail15normal_iteratorINSA_10device_ptrItEEEEPS6_NSA_18transform_iteratorINSB_9not_fun_tI7is_trueItEEENSC_INSD_IbEEEENSA_11use_defaultESO_EENS0_5tupleIJSF_S6_EEENSQ_IJSG_SG_EEES6_PlJS6_EEE10hipError_tPvRmT3_T4_T5_T6_T7_T9_mT8_P12ihipStream_tbDpT10_ENKUlT_T0_E_clISt17integral_constantIbLb0EES1C_IbLb1EEEEDaS18_S19_EUlS18_E_NS1_11comp_targetILNS1_3genE4ELNS1_11target_archE910ELNS1_3gpuE8ELNS1_3repE0EEENS1_30default_config_static_selectorELNS0_4arch9wavefront6targetE0EEEvT1_,"axG",@progbits,_ZN7rocprim17ROCPRIM_400000_NS6detail17trampoline_kernelINS0_14default_configENS1_25partition_config_selectorILNS1_17partition_subalgoE5EtNS0_10empty_typeEbEEZZNS1_14partition_implILS5_5ELb0ES3_mN6thrust23THRUST_200600_302600_NS6detail15normal_iteratorINSA_10device_ptrItEEEEPS6_NSA_18transform_iteratorINSB_9not_fun_tI7is_trueItEEENSC_INSD_IbEEEENSA_11use_defaultESO_EENS0_5tupleIJSF_S6_EEENSQ_IJSG_SG_EEES6_PlJS6_EEE10hipError_tPvRmT3_T4_T5_T6_T7_T9_mT8_P12ihipStream_tbDpT10_ENKUlT_T0_E_clISt17integral_constantIbLb0EES1C_IbLb1EEEEDaS18_S19_EUlS18_E_NS1_11comp_targetILNS1_3genE4ELNS1_11target_archE910ELNS1_3gpuE8ELNS1_3repE0EEENS1_30default_config_static_selectorELNS0_4arch9wavefront6targetE0EEEvT1_,comdat
.Lfunc_end2487:
	.size	_ZN7rocprim17ROCPRIM_400000_NS6detail17trampoline_kernelINS0_14default_configENS1_25partition_config_selectorILNS1_17partition_subalgoE5EtNS0_10empty_typeEbEEZZNS1_14partition_implILS5_5ELb0ES3_mN6thrust23THRUST_200600_302600_NS6detail15normal_iteratorINSA_10device_ptrItEEEEPS6_NSA_18transform_iteratorINSB_9not_fun_tI7is_trueItEEENSC_INSD_IbEEEENSA_11use_defaultESO_EENS0_5tupleIJSF_S6_EEENSQ_IJSG_SG_EEES6_PlJS6_EEE10hipError_tPvRmT3_T4_T5_T6_T7_T9_mT8_P12ihipStream_tbDpT10_ENKUlT_T0_E_clISt17integral_constantIbLb0EES1C_IbLb1EEEEDaS18_S19_EUlS18_E_NS1_11comp_targetILNS1_3genE4ELNS1_11target_archE910ELNS1_3gpuE8ELNS1_3repE0EEENS1_30default_config_static_selectorELNS0_4arch9wavefront6targetE0EEEvT1_, .Lfunc_end2487-_ZN7rocprim17ROCPRIM_400000_NS6detail17trampoline_kernelINS0_14default_configENS1_25partition_config_selectorILNS1_17partition_subalgoE5EtNS0_10empty_typeEbEEZZNS1_14partition_implILS5_5ELb0ES3_mN6thrust23THRUST_200600_302600_NS6detail15normal_iteratorINSA_10device_ptrItEEEEPS6_NSA_18transform_iteratorINSB_9not_fun_tI7is_trueItEEENSC_INSD_IbEEEENSA_11use_defaultESO_EENS0_5tupleIJSF_S6_EEENSQ_IJSG_SG_EEES6_PlJS6_EEE10hipError_tPvRmT3_T4_T5_T6_T7_T9_mT8_P12ihipStream_tbDpT10_ENKUlT_T0_E_clISt17integral_constantIbLb0EES1C_IbLb1EEEEDaS18_S19_EUlS18_E_NS1_11comp_targetILNS1_3genE4ELNS1_11target_archE910ELNS1_3gpuE8ELNS1_3repE0EEENS1_30default_config_static_selectorELNS0_4arch9wavefront6targetE0EEEvT1_
                                        ; -- End function
	.set _ZN7rocprim17ROCPRIM_400000_NS6detail17trampoline_kernelINS0_14default_configENS1_25partition_config_selectorILNS1_17partition_subalgoE5EtNS0_10empty_typeEbEEZZNS1_14partition_implILS5_5ELb0ES3_mN6thrust23THRUST_200600_302600_NS6detail15normal_iteratorINSA_10device_ptrItEEEEPS6_NSA_18transform_iteratorINSB_9not_fun_tI7is_trueItEEENSC_INSD_IbEEEENSA_11use_defaultESO_EENS0_5tupleIJSF_S6_EEENSQ_IJSG_SG_EEES6_PlJS6_EEE10hipError_tPvRmT3_T4_T5_T6_T7_T9_mT8_P12ihipStream_tbDpT10_ENKUlT_T0_E_clISt17integral_constantIbLb0EES1C_IbLb1EEEEDaS18_S19_EUlS18_E_NS1_11comp_targetILNS1_3genE4ELNS1_11target_archE910ELNS1_3gpuE8ELNS1_3repE0EEENS1_30default_config_static_selectorELNS0_4arch9wavefront6targetE0EEEvT1_.num_vgpr, 0
	.set _ZN7rocprim17ROCPRIM_400000_NS6detail17trampoline_kernelINS0_14default_configENS1_25partition_config_selectorILNS1_17partition_subalgoE5EtNS0_10empty_typeEbEEZZNS1_14partition_implILS5_5ELb0ES3_mN6thrust23THRUST_200600_302600_NS6detail15normal_iteratorINSA_10device_ptrItEEEEPS6_NSA_18transform_iteratorINSB_9not_fun_tI7is_trueItEEENSC_INSD_IbEEEENSA_11use_defaultESO_EENS0_5tupleIJSF_S6_EEENSQ_IJSG_SG_EEES6_PlJS6_EEE10hipError_tPvRmT3_T4_T5_T6_T7_T9_mT8_P12ihipStream_tbDpT10_ENKUlT_T0_E_clISt17integral_constantIbLb0EES1C_IbLb1EEEEDaS18_S19_EUlS18_E_NS1_11comp_targetILNS1_3genE4ELNS1_11target_archE910ELNS1_3gpuE8ELNS1_3repE0EEENS1_30default_config_static_selectorELNS0_4arch9wavefront6targetE0EEEvT1_.num_agpr, 0
	.set _ZN7rocprim17ROCPRIM_400000_NS6detail17trampoline_kernelINS0_14default_configENS1_25partition_config_selectorILNS1_17partition_subalgoE5EtNS0_10empty_typeEbEEZZNS1_14partition_implILS5_5ELb0ES3_mN6thrust23THRUST_200600_302600_NS6detail15normal_iteratorINSA_10device_ptrItEEEEPS6_NSA_18transform_iteratorINSB_9not_fun_tI7is_trueItEEENSC_INSD_IbEEEENSA_11use_defaultESO_EENS0_5tupleIJSF_S6_EEENSQ_IJSG_SG_EEES6_PlJS6_EEE10hipError_tPvRmT3_T4_T5_T6_T7_T9_mT8_P12ihipStream_tbDpT10_ENKUlT_T0_E_clISt17integral_constantIbLb0EES1C_IbLb1EEEEDaS18_S19_EUlS18_E_NS1_11comp_targetILNS1_3genE4ELNS1_11target_archE910ELNS1_3gpuE8ELNS1_3repE0EEENS1_30default_config_static_selectorELNS0_4arch9wavefront6targetE0EEEvT1_.numbered_sgpr, 0
	.set _ZN7rocprim17ROCPRIM_400000_NS6detail17trampoline_kernelINS0_14default_configENS1_25partition_config_selectorILNS1_17partition_subalgoE5EtNS0_10empty_typeEbEEZZNS1_14partition_implILS5_5ELb0ES3_mN6thrust23THRUST_200600_302600_NS6detail15normal_iteratorINSA_10device_ptrItEEEEPS6_NSA_18transform_iteratorINSB_9not_fun_tI7is_trueItEEENSC_INSD_IbEEEENSA_11use_defaultESO_EENS0_5tupleIJSF_S6_EEENSQ_IJSG_SG_EEES6_PlJS6_EEE10hipError_tPvRmT3_T4_T5_T6_T7_T9_mT8_P12ihipStream_tbDpT10_ENKUlT_T0_E_clISt17integral_constantIbLb0EES1C_IbLb1EEEEDaS18_S19_EUlS18_E_NS1_11comp_targetILNS1_3genE4ELNS1_11target_archE910ELNS1_3gpuE8ELNS1_3repE0EEENS1_30default_config_static_selectorELNS0_4arch9wavefront6targetE0EEEvT1_.num_named_barrier, 0
	.set _ZN7rocprim17ROCPRIM_400000_NS6detail17trampoline_kernelINS0_14default_configENS1_25partition_config_selectorILNS1_17partition_subalgoE5EtNS0_10empty_typeEbEEZZNS1_14partition_implILS5_5ELb0ES3_mN6thrust23THRUST_200600_302600_NS6detail15normal_iteratorINSA_10device_ptrItEEEEPS6_NSA_18transform_iteratorINSB_9not_fun_tI7is_trueItEEENSC_INSD_IbEEEENSA_11use_defaultESO_EENS0_5tupleIJSF_S6_EEENSQ_IJSG_SG_EEES6_PlJS6_EEE10hipError_tPvRmT3_T4_T5_T6_T7_T9_mT8_P12ihipStream_tbDpT10_ENKUlT_T0_E_clISt17integral_constantIbLb0EES1C_IbLb1EEEEDaS18_S19_EUlS18_E_NS1_11comp_targetILNS1_3genE4ELNS1_11target_archE910ELNS1_3gpuE8ELNS1_3repE0EEENS1_30default_config_static_selectorELNS0_4arch9wavefront6targetE0EEEvT1_.private_seg_size, 0
	.set _ZN7rocprim17ROCPRIM_400000_NS6detail17trampoline_kernelINS0_14default_configENS1_25partition_config_selectorILNS1_17partition_subalgoE5EtNS0_10empty_typeEbEEZZNS1_14partition_implILS5_5ELb0ES3_mN6thrust23THRUST_200600_302600_NS6detail15normal_iteratorINSA_10device_ptrItEEEEPS6_NSA_18transform_iteratorINSB_9not_fun_tI7is_trueItEEENSC_INSD_IbEEEENSA_11use_defaultESO_EENS0_5tupleIJSF_S6_EEENSQ_IJSG_SG_EEES6_PlJS6_EEE10hipError_tPvRmT3_T4_T5_T6_T7_T9_mT8_P12ihipStream_tbDpT10_ENKUlT_T0_E_clISt17integral_constantIbLb0EES1C_IbLb1EEEEDaS18_S19_EUlS18_E_NS1_11comp_targetILNS1_3genE4ELNS1_11target_archE910ELNS1_3gpuE8ELNS1_3repE0EEENS1_30default_config_static_selectorELNS0_4arch9wavefront6targetE0EEEvT1_.uses_vcc, 0
	.set _ZN7rocprim17ROCPRIM_400000_NS6detail17trampoline_kernelINS0_14default_configENS1_25partition_config_selectorILNS1_17partition_subalgoE5EtNS0_10empty_typeEbEEZZNS1_14partition_implILS5_5ELb0ES3_mN6thrust23THRUST_200600_302600_NS6detail15normal_iteratorINSA_10device_ptrItEEEEPS6_NSA_18transform_iteratorINSB_9not_fun_tI7is_trueItEEENSC_INSD_IbEEEENSA_11use_defaultESO_EENS0_5tupleIJSF_S6_EEENSQ_IJSG_SG_EEES6_PlJS6_EEE10hipError_tPvRmT3_T4_T5_T6_T7_T9_mT8_P12ihipStream_tbDpT10_ENKUlT_T0_E_clISt17integral_constantIbLb0EES1C_IbLb1EEEEDaS18_S19_EUlS18_E_NS1_11comp_targetILNS1_3genE4ELNS1_11target_archE910ELNS1_3gpuE8ELNS1_3repE0EEENS1_30default_config_static_selectorELNS0_4arch9wavefront6targetE0EEEvT1_.uses_flat_scratch, 0
	.set _ZN7rocprim17ROCPRIM_400000_NS6detail17trampoline_kernelINS0_14default_configENS1_25partition_config_selectorILNS1_17partition_subalgoE5EtNS0_10empty_typeEbEEZZNS1_14partition_implILS5_5ELb0ES3_mN6thrust23THRUST_200600_302600_NS6detail15normal_iteratorINSA_10device_ptrItEEEEPS6_NSA_18transform_iteratorINSB_9not_fun_tI7is_trueItEEENSC_INSD_IbEEEENSA_11use_defaultESO_EENS0_5tupleIJSF_S6_EEENSQ_IJSG_SG_EEES6_PlJS6_EEE10hipError_tPvRmT3_T4_T5_T6_T7_T9_mT8_P12ihipStream_tbDpT10_ENKUlT_T0_E_clISt17integral_constantIbLb0EES1C_IbLb1EEEEDaS18_S19_EUlS18_E_NS1_11comp_targetILNS1_3genE4ELNS1_11target_archE910ELNS1_3gpuE8ELNS1_3repE0EEENS1_30default_config_static_selectorELNS0_4arch9wavefront6targetE0EEEvT1_.has_dyn_sized_stack, 0
	.set _ZN7rocprim17ROCPRIM_400000_NS6detail17trampoline_kernelINS0_14default_configENS1_25partition_config_selectorILNS1_17partition_subalgoE5EtNS0_10empty_typeEbEEZZNS1_14partition_implILS5_5ELb0ES3_mN6thrust23THRUST_200600_302600_NS6detail15normal_iteratorINSA_10device_ptrItEEEEPS6_NSA_18transform_iteratorINSB_9not_fun_tI7is_trueItEEENSC_INSD_IbEEEENSA_11use_defaultESO_EENS0_5tupleIJSF_S6_EEENSQ_IJSG_SG_EEES6_PlJS6_EEE10hipError_tPvRmT3_T4_T5_T6_T7_T9_mT8_P12ihipStream_tbDpT10_ENKUlT_T0_E_clISt17integral_constantIbLb0EES1C_IbLb1EEEEDaS18_S19_EUlS18_E_NS1_11comp_targetILNS1_3genE4ELNS1_11target_archE910ELNS1_3gpuE8ELNS1_3repE0EEENS1_30default_config_static_selectorELNS0_4arch9wavefront6targetE0EEEvT1_.has_recursion, 0
	.set _ZN7rocprim17ROCPRIM_400000_NS6detail17trampoline_kernelINS0_14default_configENS1_25partition_config_selectorILNS1_17partition_subalgoE5EtNS0_10empty_typeEbEEZZNS1_14partition_implILS5_5ELb0ES3_mN6thrust23THRUST_200600_302600_NS6detail15normal_iteratorINSA_10device_ptrItEEEEPS6_NSA_18transform_iteratorINSB_9not_fun_tI7is_trueItEEENSC_INSD_IbEEEENSA_11use_defaultESO_EENS0_5tupleIJSF_S6_EEENSQ_IJSG_SG_EEES6_PlJS6_EEE10hipError_tPvRmT3_T4_T5_T6_T7_T9_mT8_P12ihipStream_tbDpT10_ENKUlT_T0_E_clISt17integral_constantIbLb0EES1C_IbLb1EEEEDaS18_S19_EUlS18_E_NS1_11comp_targetILNS1_3genE4ELNS1_11target_archE910ELNS1_3gpuE8ELNS1_3repE0EEENS1_30default_config_static_selectorELNS0_4arch9wavefront6targetE0EEEvT1_.has_indirect_call, 0
	.section	.AMDGPU.csdata,"",@progbits
; Kernel info:
; codeLenInByte = 0
; TotalNumSgprs: 0
; NumVgprs: 0
; ScratchSize: 0
; MemoryBound: 0
; FloatMode: 240
; IeeeMode: 1
; LDSByteSize: 0 bytes/workgroup (compile time only)
; SGPRBlocks: 0
; VGPRBlocks: 0
; NumSGPRsForWavesPerEU: 1
; NumVGPRsForWavesPerEU: 1
; Occupancy: 16
; WaveLimiterHint : 0
; COMPUTE_PGM_RSRC2:SCRATCH_EN: 0
; COMPUTE_PGM_RSRC2:USER_SGPR: 2
; COMPUTE_PGM_RSRC2:TRAP_HANDLER: 0
; COMPUTE_PGM_RSRC2:TGID_X_EN: 1
; COMPUTE_PGM_RSRC2:TGID_Y_EN: 0
; COMPUTE_PGM_RSRC2:TGID_Z_EN: 0
; COMPUTE_PGM_RSRC2:TIDIG_COMP_CNT: 0
	.section	.text._ZN7rocprim17ROCPRIM_400000_NS6detail17trampoline_kernelINS0_14default_configENS1_25partition_config_selectorILNS1_17partition_subalgoE5EtNS0_10empty_typeEbEEZZNS1_14partition_implILS5_5ELb0ES3_mN6thrust23THRUST_200600_302600_NS6detail15normal_iteratorINSA_10device_ptrItEEEEPS6_NSA_18transform_iteratorINSB_9not_fun_tI7is_trueItEEENSC_INSD_IbEEEENSA_11use_defaultESO_EENS0_5tupleIJSF_S6_EEENSQ_IJSG_SG_EEES6_PlJS6_EEE10hipError_tPvRmT3_T4_T5_T6_T7_T9_mT8_P12ihipStream_tbDpT10_ENKUlT_T0_E_clISt17integral_constantIbLb0EES1C_IbLb1EEEEDaS18_S19_EUlS18_E_NS1_11comp_targetILNS1_3genE3ELNS1_11target_archE908ELNS1_3gpuE7ELNS1_3repE0EEENS1_30default_config_static_selectorELNS0_4arch9wavefront6targetE0EEEvT1_,"axG",@progbits,_ZN7rocprim17ROCPRIM_400000_NS6detail17trampoline_kernelINS0_14default_configENS1_25partition_config_selectorILNS1_17partition_subalgoE5EtNS0_10empty_typeEbEEZZNS1_14partition_implILS5_5ELb0ES3_mN6thrust23THRUST_200600_302600_NS6detail15normal_iteratorINSA_10device_ptrItEEEEPS6_NSA_18transform_iteratorINSB_9not_fun_tI7is_trueItEEENSC_INSD_IbEEEENSA_11use_defaultESO_EENS0_5tupleIJSF_S6_EEENSQ_IJSG_SG_EEES6_PlJS6_EEE10hipError_tPvRmT3_T4_T5_T6_T7_T9_mT8_P12ihipStream_tbDpT10_ENKUlT_T0_E_clISt17integral_constantIbLb0EES1C_IbLb1EEEEDaS18_S19_EUlS18_E_NS1_11comp_targetILNS1_3genE3ELNS1_11target_archE908ELNS1_3gpuE7ELNS1_3repE0EEENS1_30default_config_static_selectorELNS0_4arch9wavefront6targetE0EEEvT1_,comdat
	.protected	_ZN7rocprim17ROCPRIM_400000_NS6detail17trampoline_kernelINS0_14default_configENS1_25partition_config_selectorILNS1_17partition_subalgoE5EtNS0_10empty_typeEbEEZZNS1_14partition_implILS5_5ELb0ES3_mN6thrust23THRUST_200600_302600_NS6detail15normal_iteratorINSA_10device_ptrItEEEEPS6_NSA_18transform_iteratorINSB_9not_fun_tI7is_trueItEEENSC_INSD_IbEEEENSA_11use_defaultESO_EENS0_5tupleIJSF_S6_EEENSQ_IJSG_SG_EEES6_PlJS6_EEE10hipError_tPvRmT3_T4_T5_T6_T7_T9_mT8_P12ihipStream_tbDpT10_ENKUlT_T0_E_clISt17integral_constantIbLb0EES1C_IbLb1EEEEDaS18_S19_EUlS18_E_NS1_11comp_targetILNS1_3genE3ELNS1_11target_archE908ELNS1_3gpuE7ELNS1_3repE0EEENS1_30default_config_static_selectorELNS0_4arch9wavefront6targetE0EEEvT1_ ; -- Begin function _ZN7rocprim17ROCPRIM_400000_NS6detail17trampoline_kernelINS0_14default_configENS1_25partition_config_selectorILNS1_17partition_subalgoE5EtNS0_10empty_typeEbEEZZNS1_14partition_implILS5_5ELb0ES3_mN6thrust23THRUST_200600_302600_NS6detail15normal_iteratorINSA_10device_ptrItEEEEPS6_NSA_18transform_iteratorINSB_9not_fun_tI7is_trueItEEENSC_INSD_IbEEEENSA_11use_defaultESO_EENS0_5tupleIJSF_S6_EEENSQ_IJSG_SG_EEES6_PlJS6_EEE10hipError_tPvRmT3_T4_T5_T6_T7_T9_mT8_P12ihipStream_tbDpT10_ENKUlT_T0_E_clISt17integral_constantIbLb0EES1C_IbLb1EEEEDaS18_S19_EUlS18_E_NS1_11comp_targetILNS1_3genE3ELNS1_11target_archE908ELNS1_3gpuE7ELNS1_3repE0EEENS1_30default_config_static_selectorELNS0_4arch9wavefront6targetE0EEEvT1_
	.globl	_ZN7rocprim17ROCPRIM_400000_NS6detail17trampoline_kernelINS0_14default_configENS1_25partition_config_selectorILNS1_17partition_subalgoE5EtNS0_10empty_typeEbEEZZNS1_14partition_implILS5_5ELb0ES3_mN6thrust23THRUST_200600_302600_NS6detail15normal_iteratorINSA_10device_ptrItEEEEPS6_NSA_18transform_iteratorINSB_9not_fun_tI7is_trueItEEENSC_INSD_IbEEEENSA_11use_defaultESO_EENS0_5tupleIJSF_S6_EEENSQ_IJSG_SG_EEES6_PlJS6_EEE10hipError_tPvRmT3_T4_T5_T6_T7_T9_mT8_P12ihipStream_tbDpT10_ENKUlT_T0_E_clISt17integral_constantIbLb0EES1C_IbLb1EEEEDaS18_S19_EUlS18_E_NS1_11comp_targetILNS1_3genE3ELNS1_11target_archE908ELNS1_3gpuE7ELNS1_3repE0EEENS1_30default_config_static_selectorELNS0_4arch9wavefront6targetE0EEEvT1_
	.p2align	8
	.type	_ZN7rocprim17ROCPRIM_400000_NS6detail17trampoline_kernelINS0_14default_configENS1_25partition_config_selectorILNS1_17partition_subalgoE5EtNS0_10empty_typeEbEEZZNS1_14partition_implILS5_5ELb0ES3_mN6thrust23THRUST_200600_302600_NS6detail15normal_iteratorINSA_10device_ptrItEEEEPS6_NSA_18transform_iteratorINSB_9not_fun_tI7is_trueItEEENSC_INSD_IbEEEENSA_11use_defaultESO_EENS0_5tupleIJSF_S6_EEENSQ_IJSG_SG_EEES6_PlJS6_EEE10hipError_tPvRmT3_T4_T5_T6_T7_T9_mT8_P12ihipStream_tbDpT10_ENKUlT_T0_E_clISt17integral_constantIbLb0EES1C_IbLb1EEEEDaS18_S19_EUlS18_E_NS1_11comp_targetILNS1_3genE3ELNS1_11target_archE908ELNS1_3gpuE7ELNS1_3repE0EEENS1_30default_config_static_selectorELNS0_4arch9wavefront6targetE0EEEvT1_,@function
_ZN7rocprim17ROCPRIM_400000_NS6detail17trampoline_kernelINS0_14default_configENS1_25partition_config_selectorILNS1_17partition_subalgoE5EtNS0_10empty_typeEbEEZZNS1_14partition_implILS5_5ELb0ES3_mN6thrust23THRUST_200600_302600_NS6detail15normal_iteratorINSA_10device_ptrItEEEEPS6_NSA_18transform_iteratorINSB_9not_fun_tI7is_trueItEEENSC_INSD_IbEEEENSA_11use_defaultESO_EENS0_5tupleIJSF_S6_EEENSQ_IJSG_SG_EEES6_PlJS6_EEE10hipError_tPvRmT3_T4_T5_T6_T7_T9_mT8_P12ihipStream_tbDpT10_ENKUlT_T0_E_clISt17integral_constantIbLb0EES1C_IbLb1EEEEDaS18_S19_EUlS18_E_NS1_11comp_targetILNS1_3genE3ELNS1_11target_archE908ELNS1_3gpuE7ELNS1_3repE0EEENS1_30default_config_static_selectorELNS0_4arch9wavefront6targetE0EEEvT1_: ; @_ZN7rocprim17ROCPRIM_400000_NS6detail17trampoline_kernelINS0_14default_configENS1_25partition_config_selectorILNS1_17partition_subalgoE5EtNS0_10empty_typeEbEEZZNS1_14partition_implILS5_5ELb0ES3_mN6thrust23THRUST_200600_302600_NS6detail15normal_iteratorINSA_10device_ptrItEEEEPS6_NSA_18transform_iteratorINSB_9not_fun_tI7is_trueItEEENSC_INSD_IbEEEENSA_11use_defaultESO_EENS0_5tupleIJSF_S6_EEENSQ_IJSG_SG_EEES6_PlJS6_EEE10hipError_tPvRmT3_T4_T5_T6_T7_T9_mT8_P12ihipStream_tbDpT10_ENKUlT_T0_E_clISt17integral_constantIbLb0EES1C_IbLb1EEEEDaS18_S19_EUlS18_E_NS1_11comp_targetILNS1_3genE3ELNS1_11target_archE908ELNS1_3gpuE7ELNS1_3repE0EEENS1_30default_config_static_selectorELNS0_4arch9wavefront6targetE0EEEvT1_
; %bb.0:
	.section	.rodata,"a",@progbits
	.p2align	6, 0x0
	.amdhsa_kernel _ZN7rocprim17ROCPRIM_400000_NS6detail17trampoline_kernelINS0_14default_configENS1_25partition_config_selectorILNS1_17partition_subalgoE5EtNS0_10empty_typeEbEEZZNS1_14partition_implILS5_5ELb0ES3_mN6thrust23THRUST_200600_302600_NS6detail15normal_iteratorINSA_10device_ptrItEEEEPS6_NSA_18transform_iteratorINSB_9not_fun_tI7is_trueItEEENSC_INSD_IbEEEENSA_11use_defaultESO_EENS0_5tupleIJSF_S6_EEENSQ_IJSG_SG_EEES6_PlJS6_EEE10hipError_tPvRmT3_T4_T5_T6_T7_T9_mT8_P12ihipStream_tbDpT10_ENKUlT_T0_E_clISt17integral_constantIbLb0EES1C_IbLb1EEEEDaS18_S19_EUlS18_E_NS1_11comp_targetILNS1_3genE3ELNS1_11target_archE908ELNS1_3gpuE7ELNS1_3repE0EEENS1_30default_config_static_selectorELNS0_4arch9wavefront6targetE0EEEvT1_
		.amdhsa_group_segment_fixed_size 0
		.amdhsa_private_segment_fixed_size 0
		.amdhsa_kernarg_size 136
		.amdhsa_user_sgpr_count 2
		.amdhsa_user_sgpr_dispatch_ptr 0
		.amdhsa_user_sgpr_queue_ptr 0
		.amdhsa_user_sgpr_kernarg_segment_ptr 1
		.amdhsa_user_sgpr_dispatch_id 0
		.amdhsa_user_sgpr_private_segment_size 0
		.amdhsa_wavefront_size32 1
		.amdhsa_uses_dynamic_stack 0
		.amdhsa_enable_private_segment 0
		.amdhsa_system_sgpr_workgroup_id_x 1
		.amdhsa_system_sgpr_workgroup_id_y 0
		.amdhsa_system_sgpr_workgroup_id_z 0
		.amdhsa_system_sgpr_workgroup_info 0
		.amdhsa_system_vgpr_workitem_id 0
		.amdhsa_next_free_vgpr 1
		.amdhsa_next_free_sgpr 1
		.amdhsa_reserve_vcc 0
		.amdhsa_float_round_mode_32 0
		.amdhsa_float_round_mode_16_64 0
		.amdhsa_float_denorm_mode_32 3
		.amdhsa_float_denorm_mode_16_64 3
		.amdhsa_fp16_overflow 0
		.amdhsa_workgroup_processor_mode 1
		.amdhsa_memory_ordered 1
		.amdhsa_forward_progress 1
		.amdhsa_inst_pref_size 0
		.amdhsa_round_robin_scheduling 0
		.amdhsa_exception_fp_ieee_invalid_op 0
		.amdhsa_exception_fp_denorm_src 0
		.amdhsa_exception_fp_ieee_div_zero 0
		.amdhsa_exception_fp_ieee_overflow 0
		.amdhsa_exception_fp_ieee_underflow 0
		.amdhsa_exception_fp_ieee_inexact 0
		.amdhsa_exception_int_div_zero 0
	.end_amdhsa_kernel
	.section	.text._ZN7rocprim17ROCPRIM_400000_NS6detail17trampoline_kernelINS0_14default_configENS1_25partition_config_selectorILNS1_17partition_subalgoE5EtNS0_10empty_typeEbEEZZNS1_14partition_implILS5_5ELb0ES3_mN6thrust23THRUST_200600_302600_NS6detail15normal_iteratorINSA_10device_ptrItEEEEPS6_NSA_18transform_iteratorINSB_9not_fun_tI7is_trueItEEENSC_INSD_IbEEEENSA_11use_defaultESO_EENS0_5tupleIJSF_S6_EEENSQ_IJSG_SG_EEES6_PlJS6_EEE10hipError_tPvRmT3_T4_T5_T6_T7_T9_mT8_P12ihipStream_tbDpT10_ENKUlT_T0_E_clISt17integral_constantIbLb0EES1C_IbLb1EEEEDaS18_S19_EUlS18_E_NS1_11comp_targetILNS1_3genE3ELNS1_11target_archE908ELNS1_3gpuE7ELNS1_3repE0EEENS1_30default_config_static_selectorELNS0_4arch9wavefront6targetE0EEEvT1_,"axG",@progbits,_ZN7rocprim17ROCPRIM_400000_NS6detail17trampoline_kernelINS0_14default_configENS1_25partition_config_selectorILNS1_17partition_subalgoE5EtNS0_10empty_typeEbEEZZNS1_14partition_implILS5_5ELb0ES3_mN6thrust23THRUST_200600_302600_NS6detail15normal_iteratorINSA_10device_ptrItEEEEPS6_NSA_18transform_iteratorINSB_9not_fun_tI7is_trueItEEENSC_INSD_IbEEEENSA_11use_defaultESO_EENS0_5tupleIJSF_S6_EEENSQ_IJSG_SG_EEES6_PlJS6_EEE10hipError_tPvRmT3_T4_T5_T6_T7_T9_mT8_P12ihipStream_tbDpT10_ENKUlT_T0_E_clISt17integral_constantIbLb0EES1C_IbLb1EEEEDaS18_S19_EUlS18_E_NS1_11comp_targetILNS1_3genE3ELNS1_11target_archE908ELNS1_3gpuE7ELNS1_3repE0EEENS1_30default_config_static_selectorELNS0_4arch9wavefront6targetE0EEEvT1_,comdat
.Lfunc_end2488:
	.size	_ZN7rocprim17ROCPRIM_400000_NS6detail17trampoline_kernelINS0_14default_configENS1_25partition_config_selectorILNS1_17partition_subalgoE5EtNS0_10empty_typeEbEEZZNS1_14partition_implILS5_5ELb0ES3_mN6thrust23THRUST_200600_302600_NS6detail15normal_iteratorINSA_10device_ptrItEEEEPS6_NSA_18transform_iteratorINSB_9not_fun_tI7is_trueItEEENSC_INSD_IbEEEENSA_11use_defaultESO_EENS0_5tupleIJSF_S6_EEENSQ_IJSG_SG_EEES6_PlJS6_EEE10hipError_tPvRmT3_T4_T5_T6_T7_T9_mT8_P12ihipStream_tbDpT10_ENKUlT_T0_E_clISt17integral_constantIbLb0EES1C_IbLb1EEEEDaS18_S19_EUlS18_E_NS1_11comp_targetILNS1_3genE3ELNS1_11target_archE908ELNS1_3gpuE7ELNS1_3repE0EEENS1_30default_config_static_selectorELNS0_4arch9wavefront6targetE0EEEvT1_, .Lfunc_end2488-_ZN7rocprim17ROCPRIM_400000_NS6detail17trampoline_kernelINS0_14default_configENS1_25partition_config_selectorILNS1_17partition_subalgoE5EtNS0_10empty_typeEbEEZZNS1_14partition_implILS5_5ELb0ES3_mN6thrust23THRUST_200600_302600_NS6detail15normal_iteratorINSA_10device_ptrItEEEEPS6_NSA_18transform_iteratorINSB_9not_fun_tI7is_trueItEEENSC_INSD_IbEEEENSA_11use_defaultESO_EENS0_5tupleIJSF_S6_EEENSQ_IJSG_SG_EEES6_PlJS6_EEE10hipError_tPvRmT3_T4_T5_T6_T7_T9_mT8_P12ihipStream_tbDpT10_ENKUlT_T0_E_clISt17integral_constantIbLb0EES1C_IbLb1EEEEDaS18_S19_EUlS18_E_NS1_11comp_targetILNS1_3genE3ELNS1_11target_archE908ELNS1_3gpuE7ELNS1_3repE0EEENS1_30default_config_static_selectorELNS0_4arch9wavefront6targetE0EEEvT1_
                                        ; -- End function
	.set _ZN7rocprim17ROCPRIM_400000_NS6detail17trampoline_kernelINS0_14default_configENS1_25partition_config_selectorILNS1_17partition_subalgoE5EtNS0_10empty_typeEbEEZZNS1_14partition_implILS5_5ELb0ES3_mN6thrust23THRUST_200600_302600_NS6detail15normal_iteratorINSA_10device_ptrItEEEEPS6_NSA_18transform_iteratorINSB_9not_fun_tI7is_trueItEEENSC_INSD_IbEEEENSA_11use_defaultESO_EENS0_5tupleIJSF_S6_EEENSQ_IJSG_SG_EEES6_PlJS6_EEE10hipError_tPvRmT3_T4_T5_T6_T7_T9_mT8_P12ihipStream_tbDpT10_ENKUlT_T0_E_clISt17integral_constantIbLb0EES1C_IbLb1EEEEDaS18_S19_EUlS18_E_NS1_11comp_targetILNS1_3genE3ELNS1_11target_archE908ELNS1_3gpuE7ELNS1_3repE0EEENS1_30default_config_static_selectorELNS0_4arch9wavefront6targetE0EEEvT1_.num_vgpr, 0
	.set _ZN7rocprim17ROCPRIM_400000_NS6detail17trampoline_kernelINS0_14default_configENS1_25partition_config_selectorILNS1_17partition_subalgoE5EtNS0_10empty_typeEbEEZZNS1_14partition_implILS5_5ELb0ES3_mN6thrust23THRUST_200600_302600_NS6detail15normal_iteratorINSA_10device_ptrItEEEEPS6_NSA_18transform_iteratorINSB_9not_fun_tI7is_trueItEEENSC_INSD_IbEEEENSA_11use_defaultESO_EENS0_5tupleIJSF_S6_EEENSQ_IJSG_SG_EEES6_PlJS6_EEE10hipError_tPvRmT3_T4_T5_T6_T7_T9_mT8_P12ihipStream_tbDpT10_ENKUlT_T0_E_clISt17integral_constantIbLb0EES1C_IbLb1EEEEDaS18_S19_EUlS18_E_NS1_11comp_targetILNS1_3genE3ELNS1_11target_archE908ELNS1_3gpuE7ELNS1_3repE0EEENS1_30default_config_static_selectorELNS0_4arch9wavefront6targetE0EEEvT1_.num_agpr, 0
	.set _ZN7rocprim17ROCPRIM_400000_NS6detail17trampoline_kernelINS0_14default_configENS1_25partition_config_selectorILNS1_17partition_subalgoE5EtNS0_10empty_typeEbEEZZNS1_14partition_implILS5_5ELb0ES3_mN6thrust23THRUST_200600_302600_NS6detail15normal_iteratorINSA_10device_ptrItEEEEPS6_NSA_18transform_iteratorINSB_9not_fun_tI7is_trueItEEENSC_INSD_IbEEEENSA_11use_defaultESO_EENS0_5tupleIJSF_S6_EEENSQ_IJSG_SG_EEES6_PlJS6_EEE10hipError_tPvRmT3_T4_T5_T6_T7_T9_mT8_P12ihipStream_tbDpT10_ENKUlT_T0_E_clISt17integral_constantIbLb0EES1C_IbLb1EEEEDaS18_S19_EUlS18_E_NS1_11comp_targetILNS1_3genE3ELNS1_11target_archE908ELNS1_3gpuE7ELNS1_3repE0EEENS1_30default_config_static_selectorELNS0_4arch9wavefront6targetE0EEEvT1_.numbered_sgpr, 0
	.set _ZN7rocprim17ROCPRIM_400000_NS6detail17trampoline_kernelINS0_14default_configENS1_25partition_config_selectorILNS1_17partition_subalgoE5EtNS0_10empty_typeEbEEZZNS1_14partition_implILS5_5ELb0ES3_mN6thrust23THRUST_200600_302600_NS6detail15normal_iteratorINSA_10device_ptrItEEEEPS6_NSA_18transform_iteratorINSB_9not_fun_tI7is_trueItEEENSC_INSD_IbEEEENSA_11use_defaultESO_EENS0_5tupleIJSF_S6_EEENSQ_IJSG_SG_EEES6_PlJS6_EEE10hipError_tPvRmT3_T4_T5_T6_T7_T9_mT8_P12ihipStream_tbDpT10_ENKUlT_T0_E_clISt17integral_constantIbLb0EES1C_IbLb1EEEEDaS18_S19_EUlS18_E_NS1_11comp_targetILNS1_3genE3ELNS1_11target_archE908ELNS1_3gpuE7ELNS1_3repE0EEENS1_30default_config_static_selectorELNS0_4arch9wavefront6targetE0EEEvT1_.num_named_barrier, 0
	.set _ZN7rocprim17ROCPRIM_400000_NS6detail17trampoline_kernelINS0_14default_configENS1_25partition_config_selectorILNS1_17partition_subalgoE5EtNS0_10empty_typeEbEEZZNS1_14partition_implILS5_5ELb0ES3_mN6thrust23THRUST_200600_302600_NS6detail15normal_iteratorINSA_10device_ptrItEEEEPS6_NSA_18transform_iteratorINSB_9not_fun_tI7is_trueItEEENSC_INSD_IbEEEENSA_11use_defaultESO_EENS0_5tupleIJSF_S6_EEENSQ_IJSG_SG_EEES6_PlJS6_EEE10hipError_tPvRmT3_T4_T5_T6_T7_T9_mT8_P12ihipStream_tbDpT10_ENKUlT_T0_E_clISt17integral_constantIbLb0EES1C_IbLb1EEEEDaS18_S19_EUlS18_E_NS1_11comp_targetILNS1_3genE3ELNS1_11target_archE908ELNS1_3gpuE7ELNS1_3repE0EEENS1_30default_config_static_selectorELNS0_4arch9wavefront6targetE0EEEvT1_.private_seg_size, 0
	.set _ZN7rocprim17ROCPRIM_400000_NS6detail17trampoline_kernelINS0_14default_configENS1_25partition_config_selectorILNS1_17partition_subalgoE5EtNS0_10empty_typeEbEEZZNS1_14partition_implILS5_5ELb0ES3_mN6thrust23THRUST_200600_302600_NS6detail15normal_iteratorINSA_10device_ptrItEEEEPS6_NSA_18transform_iteratorINSB_9not_fun_tI7is_trueItEEENSC_INSD_IbEEEENSA_11use_defaultESO_EENS0_5tupleIJSF_S6_EEENSQ_IJSG_SG_EEES6_PlJS6_EEE10hipError_tPvRmT3_T4_T5_T6_T7_T9_mT8_P12ihipStream_tbDpT10_ENKUlT_T0_E_clISt17integral_constantIbLb0EES1C_IbLb1EEEEDaS18_S19_EUlS18_E_NS1_11comp_targetILNS1_3genE3ELNS1_11target_archE908ELNS1_3gpuE7ELNS1_3repE0EEENS1_30default_config_static_selectorELNS0_4arch9wavefront6targetE0EEEvT1_.uses_vcc, 0
	.set _ZN7rocprim17ROCPRIM_400000_NS6detail17trampoline_kernelINS0_14default_configENS1_25partition_config_selectorILNS1_17partition_subalgoE5EtNS0_10empty_typeEbEEZZNS1_14partition_implILS5_5ELb0ES3_mN6thrust23THRUST_200600_302600_NS6detail15normal_iteratorINSA_10device_ptrItEEEEPS6_NSA_18transform_iteratorINSB_9not_fun_tI7is_trueItEEENSC_INSD_IbEEEENSA_11use_defaultESO_EENS0_5tupleIJSF_S6_EEENSQ_IJSG_SG_EEES6_PlJS6_EEE10hipError_tPvRmT3_T4_T5_T6_T7_T9_mT8_P12ihipStream_tbDpT10_ENKUlT_T0_E_clISt17integral_constantIbLb0EES1C_IbLb1EEEEDaS18_S19_EUlS18_E_NS1_11comp_targetILNS1_3genE3ELNS1_11target_archE908ELNS1_3gpuE7ELNS1_3repE0EEENS1_30default_config_static_selectorELNS0_4arch9wavefront6targetE0EEEvT1_.uses_flat_scratch, 0
	.set _ZN7rocprim17ROCPRIM_400000_NS6detail17trampoline_kernelINS0_14default_configENS1_25partition_config_selectorILNS1_17partition_subalgoE5EtNS0_10empty_typeEbEEZZNS1_14partition_implILS5_5ELb0ES3_mN6thrust23THRUST_200600_302600_NS6detail15normal_iteratorINSA_10device_ptrItEEEEPS6_NSA_18transform_iteratorINSB_9not_fun_tI7is_trueItEEENSC_INSD_IbEEEENSA_11use_defaultESO_EENS0_5tupleIJSF_S6_EEENSQ_IJSG_SG_EEES6_PlJS6_EEE10hipError_tPvRmT3_T4_T5_T6_T7_T9_mT8_P12ihipStream_tbDpT10_ENKUlT_T0_E_clISt17integral_constantIbLb0EES1C_IbLb1EEEEDaS18_S19_EUlS18_E_NS1_11comp_targetILNS1_3genE3ELNS1_11target_archE908ELNS1_3gpuE7ELNS1_3repE0EEENS1_30default_config_static_selectorELNS0_4arch9wavefront6targetE0EEEvT1_.has_dyn_sized_stack, 0
	.set _ZN7rocprim17ROCPRIM_400000_NS6detail17trampoline_kernelINS0_14default_configENS1_25partition_config_selectorILNS1_17partition_subalgoE5EtNS0_10empty_typeEbEEZZNS1_14partition_implILS5_5ELb0ES3_mN6thrust23THRUST_200600_302600_NS6detail15normal_iteratorINSA_10device_ptrItEEEEPS6_NSA_18transform_iteratorINSB_9not_fun_tI7is_trueItEEENSC_INSD_IbEEEENSA_11use_defaultESO_EENS0_5tupleIJSF_S6_EEENSQ_IJSG_SG_EEES6_PlJS6_EEE10hipError_tPvRmT3_T4_T5_T6_T7_T9_mT8_P12ihipStream_tbDpT10_ENKUlT_T0_E_clISt17integral_constantIbLb0EES1C_IbLb1EEEEDaS18_S19_EUlS18_E_NS1_11comp_targetILNS1_3genE3ELNS1_11target_archE908ELNS1_3gpuE7ELNS1_3repE0EEENS1_30default_config_static_selectorELNS0_4arch9wavefront6targetE0EEEvT1_.has_recursion, 0
	.set _ZN7rocprim17ROCPRIM_400000_NS6detail17trampoline_kernelINS0_14default_configENS1_25partition_config_selectorILNS1_17partition_subalgoE5EtNS0_10empty_typeEbEEZZNS1_14partition_implILS5_5ELb0ES3_mN6thrust23THRUST_200600_302600_NS6detail15normal_iteratorINSA_10device_ptrItEEEEPS6_NSA_18transform_iteratorINSB_9not_fun_tI7is_trueItEEENSC_INSD_IbEEEENSA_11use_defaultESO_EENS0_5tupleIJSF_S6_EEENSQ_IJSG_SG_EEES6_PlJS6_EEE10hipError_tPvRmT3_T4_T5_T6_T7_T9_mT8_P12ihipStream_tbDpT10_ENKUlT_T0_E_clISt17integral_constantIbLb0EES1C_IbLb1EEEEDaS18_S19_EUlS18_E_NS1_11comp_targetILNS1_3genE3ELNS1_11target_archE908ELNS1_3gpuE7ELNS1_3repE0EEENS1_30default_config_static_selectorELNS0_4arch9wavefront6targetE0EEEvT1_.has_indirect_call, 0
	.section	.AMDGPU.csdata,"",@progbits
; Kernel info:
; codeLenInByte = 0
; TotalNumSgprs: 0
; NumVgprs: 0
; ScratchSize: 0
; MemoryBound: 0
; FloatMode: 240
; IeeeMode: 1
; LDSByteSize: 0 bytes/workgroup (compile time only)
; SGPRBlocks: 0
; VGPRBlocks: 0
; NumSGPRsForWavesPerEU: 1
; NumVGPRsForWavesPerEU: 1
; Occupancy: 16
; WaveLimiterHint : 0
; COMPUTE_PGM_RSRC2:SCRATCH_EN: 0
; COMPUTE_PGM_RSRC2:USER_SGPR: 2
; COMPUTE_PGM_RSRC2:TRAP_HANDLER: 0
; COMPUTE_PGM_RSRC2:TGID_X_EN: 1
; COMPUTE_PGM_RSRC2:TGID_Y_EN: 0
; COMPUTE_PGM_RSRC2:TGID_Z_EN: 0
; COMPUTE_PGM_RSRC2:TIDIG_COMP_CNT: 0
	.section	.text._ZN7rocprim17ROCPRIM_400000_NS6detail17trampoline_kernelINS0_14default_configENS1_25partition_config_selectorILNS1_17partition_subalgoE5EtNS0_10empty_typeEbEEZZNS1_14partition_implILS5_5ELb0ES3_mN6thrust23THRUST_200600_302600_NS6detail15normal_iteratorINSA_10device_ptrItEEEEPS6_NSA_18transform_iteratorINSB_9not_fun_tI7is_trueItEEENSC_INSD_IbEEEENSA_11use_defaultESO_EENS0_5tupleIJSF_S6_EEENSQ_IJSG_SG_EEES6_PlJS6_EEE10hipError_tPvRmT3_T4_T5_T6_T7_T9_mT8_P12ihipStream_tbDpT10_ENKUlT_T0_E_clISt17integral_constantIbLb0EES1C_IbLb1EEEEDaS18_S19_EUlS18_E_NS1_11comp_targetILNS1_3genE2ELNS1_11target_archE906ELNS1_3gpuE6ELNS1_3repE0EEENS1_30default_config_static_selectorELNS0_4arch9wavefront6targetE0EEEvT1_,"axG",@progbits,_ZN7rocprim17ROCPRIM_400000_NS6detail17trampoline_kernelINS0_14default_configENS1_25partition_config_selectorILNS1_17partition_subalgoE5EtNS0_10empty_typeEbEEZZNS1_14partition_implILS5_5ELb0ES3_mN6thrust23THRUST_200600_302600_NS6detail15normal_iteratorINSA_10device_ptrItEEEEPS6_NSA_18transform_iteratorINSB_9not_fun_tI7is_trueItEEENSC_INSD_IbEEEENSA_11use_defaultESO_EENS0_5tupleIJSF_S6_EEENSQ_IJSG_SG_EEES6_PlJS6_EEE10hipError_tPvRmT3_T4_T5_T6_T7_T9_mT8_P12ihipStream_tbDpT10_ENKUlT_T0_E_clISt17integral_constantIbLb0EES1C_IbLb1EEEEDaS18_S19_EUlS18_E_NS1_11comp_targetILNS1_3genE2ELNS1_11target_archE906ELNS1_3gpuE6ELNS1_3repE0EEENS1_30default_config_static_selectorELNS0_4arch9wavefront6targetE0EEEvT1_,comdat
	.protected	_ZN7rocprim17ROCPRIM_400000_NS6detail17trampoline_kernelINS0_14default_configENS1_25partition_config_selectorILNS1_17partition_subalgoE5EtNS0_10empty_typeEbEEZZNS1_14partition_implILS5_5ELb0ES3_mN6thrust23THRUST_200600_302600_NS6detail15normal_iteratorINSA_10device_ptrItEEEEPS6_NSA_18transform_iteratorINSB_9not_fun_tI7is_trueItEEENSC_INSD_IbEEEENSA_11use_defaultESO_EENS0_5tupleIJSF_S6_EEENSQ_IJSG_SG_EEES6_PlJS6_EEE10hipError_tPvRmT3_T4_T5_T6_T7_T9_mT8_P12ihipStream_tbDpT10_ENKUlT_T0_E_clISt17integral_constantIbLb0EES1C_IbLb1EEEEDaS18_S19_EUlS18_E_NS1_11comp_targetILNS1_3genE2ELNS1_11target_archE906ELNS1_3gpuE6ELNS1_3repE0EEENS1_30default_config_static_selectorELNS0_4arch9wavefront6targetE0EEEvT1_ ; -- Begin function _ZN7rocprim17ROCPRIM_400000_NS6detail17trampoline_kernelINS0_14default_configENS1_25partition_config_selectorILNS1_17partition_subalgoE5EtNS0_10empty_typeEbEEZZNS1_14partition_implILS5_5ELb0ES3_mN6thrust23THRUST_200600_302600_NS6detail15normal_iteratorINSA_10device_ptrItEEEEPS6_NSA_18transform_iteratorINSB_9not_fun_tI7is_trueItEEENSC_INSD_IbEEEENSA_11use_defaultESO_EENS0_5tupleIJSF_S6_EEENSQ_IJSG_SG_EEES6_PlJS6_EEE10hipError_tPvRmT3_T4_T5_T6_T7_T9_mT8_P12ihipStream_tbDpT10_ENKUlT_T0_E_clISt17integral_constantIbLb0EES1C_IbLb1EEEEDaS18_S19_EUlS18_E_NS1_11comp_targetILNS1_3genE2ELNS1_11target_archE906ELNS1_3gpuE6ELNS1_3repE0EEENS1_30default_config_static_selectorELNS0_4arch9wavefront6targetE0EEEvT1_
	.globl	_ZN7rocprim17ROCPRIM_400000_NS6detail17trampoline_kernelINS0_14default_configENS1_25partition_config_selectorILNS1_17partition_subalgoE5EtNS0_10empty_typeEbEEZZNS1_14partition_implILS5_5ELb0ES3_mN6thrust23THRUST_200600_302600_NS6detail15normal_iteratorINSA_10device_ptrItEEEEPS6_NSA_18transform_iteratorINSB_9not_fun_tI7is_trueItEEENSC_INSD_IbEEEENSA_11use_defaultESO_EENS0_5tupleIJSF_S6_EEENSQ_IJSG_SG_EEES6_PlJS6_EEE10hipError_tPvRmT3_T4_T5_T6_T7_T9_mT8_P12ihipStream_tbDpT10_ENKUlT_T0_E_clISt17integral_constantIbLb0EES1C_IbLb1EEEEDaS18_S19_EUlS18_E_NS1_11comp_targetILNS1_3genE2ELNS1_11target_archE906ELNS1_3gpuE6ELNS1_3repE0EEENS1_30default_config_static_selectorELNS0_4arch9wavefront6targetE0EEEvT1_
	.p2align	8
	.type	_ZN7rocprim17ROCPRIM_400000_NS6detail17trampoline_kernelINS0_14default_configENS1_25partition_config_selectorILNS1_17partition_subalgoE5EtNS0_10empty_typeEbEEZZNS1_14partition_implILS5_5ELb0ES3_mN6thrust23THRUST_200600_302600_NS6detail15normal_iteratorINSA_10device_ptrItEEEEPS6_NSA_18transform_iteratorINSB_9not_fun_tI7is_trueItEEENSC_INSD_IbEEEENSA_11use_defaultESO_EENS0_5tupleIJSF_S6_EEENSQ_IJSG_SG_EEES6_PlJS6_EEE10hipError_tPvRmT3_T4_T5_T6_T7_T9_mT8_P12ihipStream_tbDpT10_ENKUlT_T0_E_clISt17integral_constantIbLb0EES1C_IbLb1EEEEDaS18_S19_EUlS18_E_NS1_11comp_targetILNS1_3genE2ELNS1_11target_archE906ELNS1_3gpuE6ELNS1_3repE0EEENS1_30default_config_static_selectorELNS0_4arch9wavefront6targetE0EEEvT1_,@function
_ZN7rocprim17ROCPRIM_400000_NS6detail17trampoline_kernelINS0_14default_configENS1_25partition_config_selectorILNS1_17partition_subalgoE5EtNS0_10empty_typeEbEEZZNS1_14partition_implILS5_5ELb0ES3_mN6thrust23THRUST_200600_302600_NS6detail15normal_iteratorINSA_10device_ptrItEEEEPS6_NSA_18transform_iteratorINSB_9not_fun_tI7is_trueItEEENSC_INSD_IbEEEENSA_11use_defaultESO_EENS0_5tupleIJSF_S6_EEENSQ_IJSG_SG_EEES6_PlJS6_EEE10hipError_tPvRmT3_T4_T5_T6_T7_T9_mT8_P12ihipStream_tbDpT10_ENKUlT_T0_E_clISt17integral_constantIbLb0EES1C_IbLb1EEEEDaS18_S19_EUlS18_E_NS1_11comp_targetILNS1_3genE2ELNS1_11target_archE906ELNS1_3gpuE6ELNS1_3repE0EEENS1_30default_config_static_selectorELNS0_4arch9wavefront6targetE0EEEvT1_: ; @_ZN7rocprim17ROCPRIM_400000_NS6detail17trampoline_kernelINS0_14default_configENS1_25partition_config_selectorILNS1_17partition_subalgoE5EtNS0_10empty_typeEbEEZZNS1_14partition_implILS5_5ELb0ES3_mN6thrust23THRUST_200600_302600_NS6detail15normal_iteratorINSA_10device_ptrItEEEEPS6_NSA_18transform_iteratorINSB_9not_fun_tI7is_trueItEEENSC_INSD_IbEEEENSA_11use_defaultESO_EENS0_5tupleIJSF_S6_EEENSQ_IJSG_SG_EEES6_PlJS6_EEE10hipError_tPvRmT3_T4_T5_T6_T7_T9_mT8_P12ihipStream_tbDpT10_ENKUlT_T0_E_clISt17integral_constantIbLb0EES1C_IbLb1EEEEDaS18_S19_EUlS18_E_NS1_11comp_targetILNS1_3genE2ELNS1_11target_archE906ELNS1_3gpuE6ELNS1_3repE0EEENS1_30default_config_static_selectorELNS0_4arch9wavefront6targetE0EEEvT1_
; %bb.0:
	.section	.rodata,"a",@progbits
	.p2align	6, 0x0
	.amdhsa_kernel _ZN7rocprim17ROCPRIM_400000_NS6detail17trampoline_kernelINS0_14default_configENS1_25partition_config_selectorILNS1_17partition_subalgoE5EtNS0_10empty_typeEbEEZZNS1_14partition_implILS5_5ELb0ES3_mN6thrust23THRUST_200600_302600_NS6detail15normal_iteratorINSA_10device_ptrItEEEEPS6_NSA_18transform_iteratorINSB_9not_fun_tI7is_trueItEEENSC_INSD_IbEEEENSA_11use_defaultESO_EENS0_5tupleIJSF_S6_EEENSQ_IJSG_SG_EEES6_PlJS6_EEE10hipError_tPvRmT3_T4_T5_T6_T7_T9_mT8_P12ihipStream_tbDpT10_ENKUlT_T0_E_clISt17integral_constantIbLb0EES1C_IbLb1EEEEDaS18_S19_EUlS18_E_NS1_11comp_targetILNS1_3genE2ELNS1_11target_archE906ELNS1_3gpuE6ELNS1_3repE0EEENS1_30default_config_static_selectorELNS0_4arch9wavefront6targetE0EEEvT1_
		.amdhsa_group_segment_fixed_size 0
		.amdhsa_private_segment_fixed_size 0
		.amdhsa_kernarg_size 136
		.amdhsa_user_sgpr_count 2
		.amdhsa_user_sgpr_dispatch_ptr 0
		.amdhsa_user_sgpr_queue_ptr 0
		.amdhsa_user_sgpr_kernarg_segment_ptr 1
		.amdhsa_user_sgpr_dispatch_id 0
		.amdhsa_user_sgpr_private_segment_size 0
		.amdhsa_wavefront_size32 1
		.amdhsa_uses_dynamic_stack 0
		.amdhsa_enable_private_segment 0
		.amdhsa_system_sgpr_workgroup_id_x 1
		.amdhsa_system_sgpr_workgroup_id_y 0
		.amdhsa_system_sgpr_workgroup_id_z 0
		.amdhsa_system_sgpr_workgroup_info 0
		.amdhsa_system_vgpr_workitem_id 0
		.amdhsa_next_free_vgpr 1
		.amdhsa_next_free_sgpr 1
		.amdhsa_reserve_vcc 0
		.amdhsa_float_round_mode_32 0
		.amdhsa_float_round_mode_16_64 0
		.amdhsa_float_denorm_mode_32 3
		.amdhsa_float_denorm_mode_16_64 3
		.amdhsa_fp16_overflow 0
		.amdhsa_workgroup_processor_mode 1
		.amdhsa_memory_ordered 1
		.amdhsa_forward_progress 1
		.amdhsa_inst_pref_size 0
		.amdhsa_round_robin_scheduling 0
		.amdhsa_exception_fp_ieee_invalid_op 0
		.amdhsa_exception_fp_denorm_src 0
		.amdhsa_exception_fp_ieee_div_zero 0
		.amdhsa_exception_fp_ieee_overflow 0
		.amdhsa_exception_fp_ieee_underflow 0
		.amdhsa_exception_fp_ieee_inexact 0
		.amdhsa_exception_int_div_zero 0
	.end_amdhsa_kernel
	.section	.text._ZN7rocprim17ROCPRIM_400000_NS6detail17trampoline_kernelINS0_14default_configENS1_25partition_config_selectorILNS1_17partition_subalgoE5EtNS0_10empty_typeEbEEZZNS1_14partition_implILS5_5ELb0ES3_mN6thrust23THRUST_200600_302600_NS6detail15normal_iteratorINSA_10device_ptrItEEEEPS6_NSA_18transform_iteratorINSB_9not_fun_tI7is_trueItEEENSC_INSD_IbEEEENSA_11use_defaultESO_EENS0_5tupleIJSF_S6_EEENSQ_IJSG_SG_EEES6_PlJS6_EEE10hipError_tPvRmT3_T4_T5_T6_T7_T9_mT8_P12ihipStream_tbDpT10_ENKUlT_T0_E_clISt17integral_constantIbLb0EES1C_IbLb1EEEEDaS18_S19_EUlS18_E_NS1_11comp_targetILNS1_3genE2ELNS1_11target_archE906ELNS1_3gpuE6ELNS1_3repE0EEENS1_30default_config_static_selectorELNS0_4arch9wavefront6targetE0EEEvT1_,"axG",@progbits,_ZN7rocprim17ROCPRIM_400000_NS6detail17trampoline_kernelINS0_14default_configENS1_25partition_config_selectorILNS1_17partition_subalgoE5EtNS0_10empty_typeEbEEZZNS1_14partition_implILS5_5ELb0ES3_mN6thrust23THRUST_200600_302600_NS6detail15normal_iteratorINSA_10device_ptrItEEEEPS6_NSA_18transform_iteratorINSB_9not_fun_tI7is_trueItEEENSC_INSD_IbEEEENSA_11use_defaultESO_EENS0_5tupleIJSF_S6_EEENSQ_IJSG_SG_EEES6_PlJS6_EEE10hipError_tPvRmT3_T4_T5_T6_T7_T9_mT8_P12ihipStream_tbDpT10_ENKUlT_T0_E_clISt17integral_constantIbLb0EES1C_IbLb1EEEEDaS18_S19_EUlS18_E_NS1_11comp_targetILNS1_3genE2ELNS1_11target_archE906ELNS1_3gpuE6ELNS1_3repE0EEENS1_30default_config_static_selectorELNS0_4arch9wavefront6targetE0EEEvT1_,comdat
.Lfunc_end2489:
	.size	_ZN7rocprim17ROCPRIM_400000_NS6detail17trampoline_kernelINS0_14default_configENS1_25partition_config_selectorILNS1_17partition_subalgoE5EtNS0_10empty_typeEbEEZZNS1_14partition_implILS5_5ELb0ES3_mN6thrust23THRUST_200600_302600_NS6detail15normal_iteratorINSA_10device_ptrItEEEEPS6_NSA_18transform_iteratorINSB_9not_fun_tI7is_trueItEEENSC_INSD_IbEEEENSA_11use_defaultESO_EENS0_5tupleIJSF_S6_EEENSQ_IJSG_SG_EEES6_PlJS6_EEE10hipError_tPvRmT3_T4_T5_T6_T7_T9_mT8_P12ihipStream_tbDpT10_ENKUlT_T0_E_clISt17integral_constantIbLb0EES1C_IbLb1EEEEDaS18_S19_EUlS18_E_NS1_11comp_targetILNS1_3genE2ELNS1_11target_archE906ELNS1_3gpuE6ELNS1_3repE0EEENS1_30default_config_static_selectorELNS0_4arch9wavefront6targetE0EEEvT1_, .Lfunc_end2489-_ZN7rocprim17ROCPRIM_400000_NS6detail17trampoline_kernelINS0_14default_configENS1_25partition_config_selectorILNS1_17partition_subalgoE5EtNS0_10empty_typeEbEEZZNS1_14partition_implILS5_5ELb0ES3_mN6thrust23THRUST_200600_302600_NS6detail15normal_iteratorINSA_10device_ptrItEEEEPS6_NSA_18transform_iteratorINSB_9not_fun_tI7is_trueItEEENSC_INSD_IbEEEENSA_11use_defaultESO_EENS0_5tupleIJSF_S6_EEENSQ_IJSG_SG_EEES6_PlJS6_EEE10hipError_tPvRmT3_T4_T5_T6_T7_T9_mT8_P12ihipStream_tbDpT10_ENKUlT_T0_E_clISt17integral_constantIbLb0EES1C_IbLb1EEEEDaS18_S19_EUlS18_E_NS1_11comp_targetILNS1_3genE2ELNS1_11target_archE906ELNS1_3gpuE6ELNS1_3repE0EEENS1_30default_config_static_selectorELNS0_4arch9wavefront6targetE0EEEvT1_
                                        ; -- End function
	.set _ZN7rocprim17ROCPRIM_400000_NS6detail17trampoline_kernelINS0_14default_configENS1_25partition_config_selectorILNS1_17partition_subalgoE5EtNS0_10empty_typeEbEEZZNS1_14partition_implILS5_5ELb0ES3_mN6thrust23THRUST_200600_302600_NS6detail15normal_iteratorINSA_10device_ptrItEEEEPS6_NSA_18transform_iteratorINSB_9not_fun_tI7is_trueItEEENSC_INSD_IbEEEENSA_11use_defaultESO_EENS0_5tupleIJSF_S6_EEENSQ_IJSG_SG_EEES6_PlJS6_EEE10hipError_tPvRmT3_T4_T5_T6_T7_T9_mT8_P12ihipStream_tbDpT10_ENKUlT_T0_E_clISt17integral_constantIbLb0EES1C_IbLb1EEEEDaS18_S19_EUlS18_E_NS1_11comp_targetILNS1_3genE2ELNS1_11target_archE906ELNS1_3gpuE6ELNS1_3repE0EEENS1_30default_config_static_selectorELNS0_4arch9wavefront6targetE0EEEvT1_.num_vgpr, 0
	.set _ZN7rocprim17ROCPRIM_400000_NS6detail17trampoline_kernelINS0_14default_configENS1_25partition_config_selectorILNS1_17partition_subalgoE5EtNS0_10empty_typeEbEEZZNS1_14partition_implILS5_5ELb0ES3_mN6thrust23THRUST_200600_302600_NS6detail15normal_iteratorINSA_10device_ptrItEEEEPS6_NSA_18transform_iteratorINSB_9not_fun_tI7is_trueItEEENSC_INSD_IbEEEENSA_11use_defaultESO_EENS0_5tupleIJSF_S6_EEENSQ_IJSG_SG_EEES6_PlJS6_EEE10hipError_tPvRmT3_T4_T5_T6_T7_T9_mT8_P12ihipStream_tbDpT10_ENKUlT_T0_E_clISt17integral_constantIbLb0EES1C_IbLb1EEEEDaS18_S19_EUlS18_E_NS1_11comp_targetILNS1_3genE2ELNS1_11target_archE906ELNS1_3gpuE6ELNS1_3repE0EEENS1_30default_config_static_selectorELNS0_4arch9wavefront6targetE0EEEvT1_.num_agpr, 0
	.set _ZN7rocprim17ROCPRIM_400000_NS6detail17trampoline_kernelINS0_14default_configENS1_25partition_config_selectorILNS1_17partition_subalgoE5EtNS0_10empty_typeEbEEZZNS1_14partition_implILS5_5ELb0ES3_mN6thrust23THRUST_200600_302600_NS6detail15normal_iteratorINSA_10device_ptrItEEEEPS6_NSA_18transform_iteratorINSB_9not_fun_tI7is_trueItEEENSC_INSD_IbEEEENSA_11use_defaultESO_EENS0_5tupleIJSF_S6_EEENSQ_IJSG_SG_EEES6_PlJS6_EEE10hipError_tPvRmT3_T4_T5_T6_T7_T9_mT8_P12ihipStream_tbDpT10_ENKUlT_T0_E_clISt17integral_constantIbLb0EES1C_IbLb1EEEEDaS18_S19_EUlS18_E_NS1_11comp_targetILNS1_3genE2ELNS1_11target_archE906ELNS1_3gpuE6ELNS1_3repE0EEENS1_30default_config_static_selectorELNS0_4arch9wavefront6targetE0EEEvT1_.numbered_sgpr, 0
	.set _ZN7rocprim17ROCPRIM_400000_NS6detail17trampoline_kernelINS0_14default_configENS1_25partition_config_selectorILNS1_17partition_subalgoE5EtNS0_10empty_typeEbEEZZNS1_14partition_implILS5_5ELb0ES3_mN6thrust23THRUST_200600_302600_NS6detail15normal_iteratorINSA_10device_ptrItEEEEPS6_NSA_18transform_iteratorINSB_9not_fun_tI7is_trueItEEENSC_INSD_IbEEEENSA_11use_defaultESO_EENS0_5tupleIJSF_S6_EEENSQ_IJSG_SG_EEES6_PlJS6_EEE10hipError_tPvRmT3_T4_T5_T6_T7_T9_mT8_P12ihipStream_tbDpT10_ENKUlT_T0_E_clISt17integral_constantIbLb0EES1C_IbLb1EEEEDaS18_S19_EUlS18_E_NS1_11comp_targetILNS1_3genE2ELNS1_11target_archE906ELNS1_3gpuE6ELNS1_3repE0EEENS1_30default_config_static_selectorELNS0_4arch9wavefront6targetE0EEEvT1_.num_named_barrier, 0
	.set _ZN7rocprim17ROCPRIM_400000_NS6detail17trampoline_kernelINS0_14default_configENS1_25partition_config_selectorILNS1_17partition_subalgoE5EtNS0_10empty_typeEbEEZZNS1_14partition_implILS5_5ELb0ES3_mN6thrust23THRUST_200600_302600_NS6detail15normal_iteratorINSA_10device_ptrItEEEEPS6_NSA_18transform_iteratorINSB_9not_fun_tI7is_trueItEEENSC_INSD_IbEEEENSA_11use_defaultESO_EENS0_5tupleIJSF_S6_EEENSQ_IJSG_SG_EEES6_PlJS6_EEE10hipError_tPvRmT3_T4_T5_T6_T7_T9_mT8_P12ihipStream_tbDpT10_ENKUlT_T0_E_clISt17integral_constantIbLb0EES1C_IbLb1EEEEDaS18_S19_EUlS18_E_NS1_11comp_targetILNS1_3genE2ELNS1_11target_archE906ELNS1_3gpuE6ELNS1_3repE0EEENS1_30default_config_static_selectorELNS0_4arch9wavefront6targetE0EEEvT1_.private_seg_size, 0
	.set _ZN7rocprim17ROCPRIM_400000_NS6detail17trampoline_kernelINS0_14default_configENS1_25partition_config_selectorILNS1_17partition_subalgoE5EtNS0_10empty_typeEbEEZZNS1_14partition_implILS5_5ELb0ES3_mN6thrust23THRUST_200600_302600_NS6detail15normal_iteratorINSA_10device_ptrItEEEEPS6_NSA_18transform_iteratorINSB_9not_fun_tI7is_trueItEEENSC_INSD_IbEEEENSA_11use_defaultESO_EENS0_5tupleIJSF_S6_EEENSQ_IJSG_SG_EEES6_PlJS6_EEE10hipError_tPvRmT3_T4_T5_T6_T7_T9_mT8_P12ihipStream_tbDpT10_ENKUlT_T0_E_clISt17integral_constantIbLb0EES1C_IbLb1EEEEDaS18_S19_EUlS18_E_NS1_11comp_targetILNS1_3genE2ELNS1_11target_archE906ELNS1_3gpuE6ELNS1_3repE0EEENS1_30default_config_static_selectorELNS0_4arch9wavefront6targetE0EEEvT1_.uses_vcc, 0
	.set _ZN7rocprim17ROCPRIM_400000_NS6detail17trampoline_kernelINS0_14default_configENS1_25partition_config_selectorILNS1_17partition_subalgoE5EtNS0_10empty_typeEbEEZZNS1_14partition_implILS5_5ELb0ES3_mN6thrust23THRUST_200600_302600_NS6detail15normal_iteratorINSA_10device_ptrItEEEEPS6_NSA_18transform_iteratorINSB_9not_fun_tI7is_trueItEEENSC_INSD_IbEEEENSA_11use_defaultESO_EENS0_5tupleIJSF_S6_EEENSQ_IJSG_SG_EEES6_PlJS6_EEE10hipError_tPvRmT3_T4_T5_T6_T7_T9_mT8_P12ihipStream_tbDpT10_ENKUlT_T0_E_clISt17integral_constantIbLb0EES1C_IbLb1EEEEDaS18_S19_EUlS18_E_NS1_11comp_targetILNS1_3genE2ELNS1_11target_archE906ELNS1_3gpuE6ELNS1_3repE0EEENS1_30default_config_static_selectorELNS0_4arch9wavefront6targetE0EEEvT1_.uses_flat_scratch, 0
	.set _ZN7rocprim17ROCPRIM_400000_NS6detail17trampoline_kernelINS0_14default_configENS1_25partition_config_selectorILNS1_17partition_subalgoE5EtNS0_10empty_typeEbEEZZNS1_14partition_implILS5_5ELb0ES3_mN6thrust23THRUST_200600_302600_NS6detail15normal_iteratorINSA_10device_ptrItEEEEPS6_NSA_18transform_iteratorINSB_9not_fun_tI7is_trueItEEENSC_INSD_IbEEEENSA_11use_defaultESO_EENS0_5tupleIJSF_S6_EEENSQ_IJSG_SG_EEES6_PlJS6_EEE10hipError_tPvRmT3_T4_T5_T6_T7_T9_mT8_P12ihipStream_tbDpT10_ENKUlT_T0_E_clISt17integral_constantIbLb0EES1C_IbLb1EEEEDaS18_S19_EUlS18_E_NS1_11comp_targetILNS1_3genE2ELNS1_11target_archE906ELNS1_3gpuE6ELNS1_3repE0EEENS1_30default_config_static_selectorELNS0_4arch9wavefront6targetE0EEEvT1_.has_dyn_sized_stack, 0
	.set _ZN7rocprim17ROCPRIM_400000_NS6detail17trampoline_kernelINS0_14default_configENS1_25partition_config_selectorILNS1_17partition_subalgoE5EtNS0_10empty_typeEbEEZZNS1_14partition_implILS5_5ELb0ES3_mN6thrust23THRUST_200600_302600_NS6detail15normal_iteratorINSA_10device_ptrItEEEEPS6_NSA_18transform_iteratorINSB_9not_fun_tI7is_trueItEEENSC_INSD_IbEEEENSA_11use_defaultESO_EENS0_5tupleIJSF_S6_EEENSQ_IJSG_SG_EEES6_PlJS6_EEE10hipError_tPvRmT3_T4_T5_T6_T7_T9_mT8_P12ihipStream_tbDpT10_ENKUlT_T0_E_clISt17integral_constantIbLb0EES1C_IbLb1EEEEDaS18_S19_EUlS18_E_NS1_11comp_targetILNS1_3genE2ELNS1_11target_archE906ELNS1_3gpuE6ELNS1_3repE0EEENS1_30default_config_static_selectorELNS0_4arch9wavefront6targetE0EEEvT1_.has_recursion, 0
	.set _ZN7rocprim17ROCPRIM_400000_NS6detail17trampoline_kernelINS0_14default_configENS1_25partition_config_selectorILNS1_17partition_subalgoE5EtNS0_10empty_typeEbEEZZNS1_14partition_implILS5_5ELb0ES3_mN6thrust23THRUST_200600_302600_NS6detail15normal_iteratorINSA_10device_ptrItEEEEPS6_NSA_18transform_iteratorINSB_9not_fun_tI7is_trueItEEENSC_INSD_IbEEEENSA_11use_defaultESO_EENS0_5tupleIJSF_S6_EEENSQ_IJSG_SG_EEES6_PlJS6_EEE10hipError_tPvRmT3_T4_T5_T6_T7_T9_mT8_P12ihipStream_tbDpT10_ENKUlT_T0_E_clISt17integral_constantIbLb0EES1C_IbLb1EEEEDaS18_S19_EUlS18_E_NS1_11comp_targetILNS1_3genE2ELNS1_11target_archE906ELNS1_3gpuE6ELNS1_3repE0EEENS1_30default_config_static_selectorELNS0_4arch9wavefront6targetE0EEEvT1_.has_indirect_call, 0
	.section	.AMDGPU.csdata,"",@progbits
; Kernel info:
; codeLenInByte = 0
; TotalNumSgprs: 0
; NumVgprs: 0
; ScratchSize: 0
; MemoryBound: 0
; FloatMode: 240
; IeeeMode: 1
; LDSByteSize: 0 bytes/workgroup (compile time only)
; SGPRBlocks: 0
; VGPRBlocks: 0
; NumSGPRsForWavesPerEU: 1
; NumVGPRsForWavesPerEU: 1
; Occupancy: 16
; WaveLimiterHint : 0
; COMPUTE_PGM_RSRC2:SCRATCH_EN: 0
; COMPUTE_PGM_RSRC2:USER_SGPR: 2
; COMPUTE_PGM_RSRC2:TRAP_HANDLER: 0
; COMPUTE_PGM_RSRC2:TGID_X_EN: 1
; COMPUTE_PGM_RSRC2:TGID_Y_EN: 0
; COMPUTE_PGM_RSRC2:TGID_Z_EN: 0
; COMPUTE_PGM_RSRC2:TIDIG_COMP_CNT: 0
	.section	.text._ZN7rocprim17ROCPRIM_400000_NS6detail17trampoline_kernelINS0_14default_configENS1_25partition_config_selectorILNS1_17partition_subalgoE5EtNS0_10empty_typeEbEEZZNS1_14partition_implILS5_5ELb0ES3_mN6thrust23THRUST_200600_302600_NS6detail15normal_iteratorINSA_10device_ptrItEEEEPS6_NSA_18transform_iteratorINSB_9not_fun_tI7is_trueItEEENSC_INSD_IbEEEENSA_11use_defaultESO_EENS0_5tupleIJSF_S6_EEENSQ_IJSG_SG_EEES6_PlJS6_EEE10hipError_tPvRmT3_T4_T5_T6_T7_T9_mT8_P12ihipStream_tbDpT10_ENKUlT_T0_E_clISt17integral_constantIbLb0EES1C_IbLb1EEEEDaS18_S19_EUlS18_E_NS1_11comp_targetILNS1_3genE10ELNS1_11target_archE1200ELNS1_3gpuE4ELNS1_3repE0EEENS1_30default_config_static_selectorELNS0_4arch9wavefront6targetE0EEEvT1_,"axG",@progbits,_ZN7rocprim17ROCPRIM_400000_NS6detail17trampoline_kernelINS0_14default_configENS1_25partition_config_selectorILNS1_17partition_subalgoE5EtNS0_10empty_typeEbEEZZNS1_14partition_implILS5_5ELb0ES3_mN6thrust23THRUST_200600_302600_NS6detail15normal_iteratorINSA_10device_ptrItEEEEPS6_NSA_18transform_iteratorINSB_9not_fun_tI7is_trueItEEENSC_INSD_IbEEEENSA_11use_defaultESO_EENS0_5tupleIJSF_S6_EEENSQ_IJSG_SG_EEES6_PlJS6_EEE10hipError_tPvRmT3_T4_T5_T6_T7_T9_mT8_P12ihipStream_tbDpT10_ENKUlT_T0_E_clISt17integral_constantIbLb0EES1C_IbLb1EEEEDaS18_S19_EUlS18_E_NS1_11comp_targetILNS1_3genE10ELNS1_11target_archE1200ELNS1_3gpuE4ELNS1_3repE0EEENS1_30default_config_static_selectorELNS0_4arch9wavefront6targetE0EEEvT1_,comdat
	.protected	_ZN7rocprim17ROCPRIM_400000_NS6detail17trampoline_kernelINS0_14default_configENS1_25partition_config_selectorILNS1_17partition_subalgoE5EtNS0_10empty_typeEbEEZZNS1_14partition_implILS5_5ELb0ES3_mN6thrust23THRUST_200600_302600_NS6detail15normal_iteratorINSA_10device_ptrItEEEEPS6_NSA_18transform_iteratorINSB_9not_fun_tI7is_trueItEEENSC_INSD_IbEEEENSA_11use_defaultESO_EENS0_5tupleIJSF_S6_EEENSQ_IJSG_SG_EEES6_PlJS6_EEE10hipError_tPvRmT3_T4_T5_T6_T7_T9_mT8_P12ihipStream_tbDpT10_ENKUlT_T0_E_clISt17integral_constantIbLb0EES1C_IbLb1EEEEDaS18_S19_EUlS18_E_NS1_11comp_targetILNS1_3genE10ELNS1_11target_archE1200ELNS1_3gpuE4ELNS1_3repE0EEENS1_30default_config_static_selectorELNS0_4arch9wavefront6targetE0EEEvT1_ ; -- Begin function _ZN7rocprim17ROCPRIM_400000_NS6detail17trampoline_kernelINS0_14default_configENS1_25partition_config_selectorILNS1_17partition_subalgoE5EtNS0_10empty_typeEbEEZZNS1_14partition_implILS5_5ELb0ES3_mN6thrust23THRUST_200600_302600_NS6detail15normal_iteratorINSA_10device_ptrItEEEEPS6_NSA_18transform_iteratorINSB_9not_fun_tI7is_trueItEEENSC_INSD_IbEEEENSA_11use_defaultESO_EENS0_5tupleIJSF_S6_EEENSQ_IJSG_SG_EEES6_PlJS6_EEE10hipError_tPvRmT3_T4_T5_T6_T7_T9_mT8_P12ihipStream_tbDpT10_ENKUlT_T0_E_clISt17integral_constantIbLb0EES1C_IbLb1EEEEDaS18_S19_EUlS18_E_NS1_11comp_targetILNS1_3genE10ELNS1_11target_archE1200ELNS1_3gpuE4ELNS1_3repE0EEENS1_30default_config_static_selectorELNS0_4arch9wavefront6targetE0EEEvT1_
	.globl	_ZN7rocprim17ROCPRIM_400000_NS6detail17trampoline_kernelINS0_14default_configENS1_25partition_config_selectorILNS1_17partition_subalgoE5EtNS0_10empty_typeEbEEZZNS1_14partition_implILS5_5ELb0ES3_mN6thrust23THRUST_200600_302600_NS6detail15normal_iteratorINSA_10device_ptrItEEEEPS6_NSA_18transform_iteratorINSB_9not_fun_tI7is_trueItEEENSC_INSD_IbEEEENSA_11use_defaultESO_EENS0_5tupleIJSF_S6_EEENSQ_IJSG_SG_EEES6_PlJS6_EEE10hipError_tPvRmT3_T4_T5_T6_T7_T9_mT8_P12ihipStream_tbDpT10_ENKUlT_T0_E_clISt17integral_constantIbLb0EES1C_IbLb1EEEEDaS18_S19_EUlS18_E_NS1_11comp_targetILNS1_3genE10ELNS1_11target_archE1200ELNS1_3gpuE4ELNS1_3repE0EEENS1_30default_config_static_selectorELNS0_4arch9wavefront6targetE0EEEvT1_
	.p2align	8
	.type	_ZN7rocprim17ROCPRIM_400000_NS6detail17trampoline_kernelINS0_14default_configENS1_25partition_config_selectorILNS1_17partition_subalgoE5EtNS0_10empty_typeEbEEZZNS1_14partition_implILS5_5ELb0ES3_mN6thrust23THRUST_200600_302600_NS6detail15normal_iteratorINSA_10device_ptrItEEEEPS6_NSA_18transform_iteratorINSB_9not_fun_tI7is_trueItEEENSC_INSD_IbEEEENSA_11use_defaultESO_EENS0_5tupleIJSF_S6_EEENSQ_IJSG_SG_EEES6_PlJS6_EEE10hipError_tPvRmT3_T4_T5_T6_T7_T9_mT8_P12ihipStream_tbDpT10_ENKUlT_T0_E_clISt17integral_constantIbLb0EES1C_IbLb1EEEEDaS18_S19_EUlS18_E_NS1_11comp_targetILNS1_3genE10ELNS1_11target_archE1200ELNS1_3gpuE4ELNS1_3repE0EEENS1_30default_config_static_selectorELNS0_4arch9wavefront6targetE0EEEvT1_,@function
_ZN7rocprim17ROCPRIM_400000_NS6detail17trampoline_kernelINS0_14default_configENS1_25partition_config_selectorILNS1_17partition_subalgoE5EtNS0_10empty_typeEbEEZZNS1_14partition_implILS5_5ELb0ES3_mN6thrust23THRUST_200600_302600_NS6detail15normal_iteratorINSA_10device_ptrItEEEEPS6_NSA_18transform_iteratorINSB_9not_fun_tI7is_trueItEEENSC_INSD_IbEEEENSA_11use_defaultESO_EENS0_5tupleIJSF_S6_EEENSQ_IJSG_SG_EEES6_PlJS6_EEE10hipError_tPvRmT3_T4_T5_T6_T7_T9_mT8_P12ihipStream_tbDpT10_ENKUlT_T0_E_clISt17integral_constantIbLb0EES1C_IbLb1EEEEDaS18_S19_EUlS18_E_NS1_11comp_targetILNS1_3genE10ELNS1_11target_archE1200ELNS1_3gpuE4ELNS1_3repE0EEENS1_30default_config_static_selectorELNS0_4arch9wavefront6targetE0EEEvT1_: ; @_ZN7rocprim17ROCPRIM_400000_NS6detail17trampoline_kernelINS0_14default_configENS1_25partition_config_selectorILNS1_17partition_subalgoE5EtNS0_10empty_typeEbEEZZNS1_14partition_implILS5_5ELb0ES3_mN6thrust23THRUST_200600_302600_NS6detail15normal_iteratorINSA_10device_ptrItEEEEPS6_NSA_18transform_iteratorINSB_9not_fun_tI7is_trueItEEENSC_INSD_IbEEEENSA_11use_defaultESO_EENS0_5tupleIJSF_S6_EEENSQ_IJSG_SG_EEES6_PlJS6_EEE10hipError_tPvRmT3_T4_T5_T6_T7_T9_mT8_P12ihipStream_tbDpT10_ENKUlT_T0_E_clISt17integral_constantIbLb0EES1C_IbLb1EEEEDaS18_S19_EUlS18_E_NS1_11comp_targetILNS1_3genE10ELNS1_11target_archE1200ELNS1_3gpuE4ELNS1_3repE0EEENS1_30default_config_static_selectorELNS0_4arch9wavefront6targetE0EEEvT1_
; %bb.0:
	s_clause 0x3
	s_load_b64 s[12:13], s[0:1], 0x30
	s_load_b128 s[4:7], s[0:1], 0x48
	s_load_b64 s[18:19], s[0:1], 0x58
	s_load_b64 s[14:15], s[0:1], 0x68
	v_cmp_eq_u32_e64 s2, 0, v0
	s_and_saveexec_b32 s3, s2
	s_cbranch_execz .LBB2490_4
; %bb.1:
	s_mov_b32 s9, exec_lo
	s_mov_b32 s8, exec_lo
	v_mbcnt_lo_u32_b32 v1, s9, 0
                                        ; implicit-def: $vgpr2
	s_delay_alu instid0(VALU_DEP_1)
	v_cmpx_eq_u32_e32 0, v1
	s_cbranch_execz .LBB2490_3
; %bb.2:
	s_load_b64 s[10:11], s[0:1], 0x78
	s_bcnt1_i32_b32 s9, s9
	s_wait_alu 0xfffe
	v_dual_mov_b32 v2, 0 :: v_dual_mov_b32 v3, s9
	s_wait_kmcnt 0x0
	global_atomic_add_u32 v2, v2, v3, s[10:11] th:TH_ATOMIC_RETURN scope:SCOPE_DEV
.LBB2490_3:
	s_or_b32 exec_lo, exec_lo, s8
	s_wait_loadcnt 0x0
	v_readfirstlane_b32 s8, v2
	s_wait_alu 0xf1ff
	s_delay_alu instid0(VALU_DEP_1)
	v_dual_mov_b32 v2, 0 :: v_dual_add_nc_u32 v1, s8, v1
	ds_store_b32 v2, v1
.LBB2490_4:
	s_or_b32 exec_lo, exec_lo, s3
	v_mov_b32_e32 v1, 0
	s_clause 0x2
	s_load_b128 s[8:11], s[0:1], 0x8
	s_load_b64 s[16:17], s[0:1], 0x20
	s_load_b32 s0, s[0:1], 0x70
	s_wait_dscnt 0x0
	s_barrier_signal -1
	s_barrier_wait -1
	global_inv scope:SCOPE_SE
	ds_load_b32 v2, v1
	s_wait_loadcnt_dscnt 0x0
	s_barrier_signal -1
	s_barrier_wait -1
	global_inv scope:SCOPE_SE
	s_wait_kmcnt 0x0
	global_load_b64 v[41:42], v1, s[6:7]
	v_lshlrev_b32_e32 v9, 1, v0
	s_lshl_b64 s[6:7], s[10:11], 1
	s_delay_alu instid0(SALU_CYCLE_1)
	s_add_nc_u64 s[8:9], s[8:9], s[6:7]
	s_mul_i32 s6, s0, 0xc00
	s_mov_b32 s7, 0
	s_add_co_i32 s3, s6, s10
	s_add_co_i32 s21, s0, -1
	v_readfirstlane_b32 s20, v2
	s_add_nc_u64 s[0:1], s[10:11], s[6:7]
	s_sub_co_i32 s3, s18, s3
	v_cmp_le_u64_e64 s0, s[18:19], s[0:1]
	s_addk_co_i32 s3, 0xc00
	s_cmp_eq_u32 s20, s21
	s_mul_i32 s6, s20, 0xc00
	s_cselect_b32 s18, -1, 0
	s_lshl_b64 s[22:23], s[6:7], 1
	s_wait_alu 0xfffe
	s_and_b32 s0, s0, s18
	s_mov_b32 s1, -1
	s_wait_alu 0xfffe
	s_xor_b32 s19, s0, -1
	s_add_nc_u64 s[8:9], s[8:9], s[22:23]
	s_wait_alu 0xfffe
	s_and_b32 vcc_lo, exec_lo, s19
	s_cbranch_vccz .LBB2490_6
; %bb.5:
	v_add_co_u32 v1, s0, s8, v9
	s_wait_alu 0xf1ff
	v_add_co_ci_u32_e64 v2, null, s9, 0, s0
	s_mov_b32 s1, s7
	s_clause 0xb
	flat_load_u16 v3, v[1:2]
	flat_load_u16 v4, v[1:2] offset:512
	flat_load_u16 v5, v[1:2] offset:1024
	;; [unrolled: 1-line block ×11, first 2 shown]
	s_wait_loadcnt_dscnt 0xb0b
	ds_store_b16 v9, v3
	s_wait_loadcnt_dscnt 0xa0b
	ds_store_b16 v9, v4 offset:512
	s_wait_loadcnt_dscnt 0x90b
	ds_store_b16 v9, v5 offset:1024
	s_wait_loadcnt_dscnt 0x80b
	ds_store_b16 v9, v6 offset:1536
	s_wait_loadcnt_dscnt 0x70b
	ds_store_b16 v9, v7 offset:2048
	s_wait_loadcnt_dscnt 0x60b
	ds_store_b16 v9, v8 offset:2560
	s_wait_loadcnt_dscnt 0x50b
	ds_store_b16 v9, v10 offset:3072
	s_wait_loadcnt_dscnt 0x40b
	ds_store_b16 v9, v11 offset:3584
	s_wait_loadcnt_dscnt 0x30b
	ds_store_b16 v9, v12 offset:4096
	s_wait_loadcnt_dscnt 0x20b
	ds_store_b16 v9, v13 offset:4608
	s_wait_loadcnt_dscnt 0x10b
	ds_store_b16 v9, v14 offset:5120
	s_wait_loadcnt_dscnt 0xb
	ds_store_b16 v9, v1 offset:5632
	s_wait_dscnt 0x0
	s_barrier_signal -1
	s_barrier_wait -1
.LBB2490_6:
	v_cmp_gt_u32_e64 s0, s3, v0
	s_wait_alu 0xfffe
	s_and_not1_b32 vcc_lo, exec_lo, s1
	s_cbranch_vccnz .LBB2490_32
; %bb.7:
	v_mov_b32_e32 v1, 0
	s_delay_alu instid0(VALU_DEP_1)
	v_dual_mov_b32 v2, v1 :: v_dual_mov_b32 v3, v1
	v_dual_mov_b32 v4, v1 :: v_dual_mov_b32 v5, v1
	v_mov_b32_e32 v6, v1
	s_and_saveexec_b32 s1, s0
	s_cbranch_execz .LBB2490_9
; %bb.8:
	v_add_co_u32 v3, s0, s8, v9
	s_wait_alu 0xf1ff
	v_add_co_ci_u32_e64 v4, null, s9, 0, s0
	v_mov_b32_e32 v2, v1
	v_dual_mov_b32 v6, v1 :: v_dual_mov_b32 v7, v1
	v_mov_b32_e32 v5, v1
	flat_load_d16_b16 v2, v[3:4]
	v_dual_mov_b32 v3, v1 :: v_dual_mov_b32 v4, v1
	s_wait_loadcnt_dscnt 0x0
	v_mov_b32_e32 v1, v2
	s_delay_alu instid0(VALU_DEP_2) | instskip(NEXT) | instid1(VALU_DEP_3)
	v_mov_b32_e32 v2, v3
	v_mov_b32_e32 v3, v4
	;; [unrolled: 1-line block ×7, first 2 shown]
.LBB2490_9:
	s_wait_alu 0xfffe
	s_or_b32 exec_lo, exec_lo, s1
	v_or_b32_e32 v7, 0x100, v0
	s_mov_b32 s0, exec_lo
	s_delay_alu instid0(VALU_DEP_1)
	v_cmpx_gt_u32_e64 s3, v7
	s_cbranch_execz .LBB2490_11
; %bb.10:
	v_add_co_u32 v7, s1, s8, v9
	s_wait_alu 0xf1ff
	v_add_co_ci_u32_e64 v8, null, s9, 0, s1
	flat_load_d16_hi_b16 v1, v[7:8] offset:512
.LBB2490_11:
	s_wait_alu 0xfffe
	s_or_b32 exec_lo, exec_lo, s0
	v_or_b32_e32 v7, 0x200, v0
	s_mov_b32 s0, exec_lo
	s_delay_alu instid0(VALU_DEP_1)
	v_cmpx_gt_u32_e64 s3, v7
	s_cbranch_execz .LBB2490_13
; %bb.12:
	v_add_co_u32 v7, s1, s8, v9
	s_wait_alu 0xf1ff
	v_add_co_ci_u32_e64 v8, null, s9, 0, s1
	flat_load_d16_b16 v2, v[7:8] offset:1024
.LBB2490_13:
	s_wait_alu 0xfffe
	s_or_b32 exec_lo, exec_lo, s0
	v_or_b32_e32 v7, 0x300, v0
	s_mov_b32 s0, exec_lo
	s_delay_alu instid0(VALU_DEP_1)
	v_cmpx_gt_u32_e64 s3, v7
	s_cbranch_execz .LBB2490_15
; %bb.14:
	v_add_co_u32 v7, s1, s8, v9
	s_wait_alu 0xf1ff
	v_add_co_ci_u32_e64 v8, null, s9, 0, s1
	s_wait_loadcnt_dscnt 0x0
	flat_load_d16_hi_b16 v2, v[7:8] offset:1536
.LBB2490_15:
	s_wait_alu 0xfffe
	s_or_b32 exec_lo, exec_lo, s0
	v_or_b32_e32 v7, 0x400, v0
	s_mov_b32 s0, exec_lo
	s_delay_alu instid0(VALU_DEP_1)
	v_cmpx_gt_u32_e64 s3, v7
	s_cbranch_execz .LBB2490_17
; %bb.16:
	v_add_co_u32 v7, s1, s8, v9
	s_wait_alu 0xf1ff
	v_add_co_ci_u32_e64 v8, null, s9, 0, s1
	flat_load_d16_b16 v3, v[7:8] offset:2048
.LBB2490_17:
	s_wait_alu 0xfffe
	s_or_b32 exec_lo, exec_lo, s0
	v_or_b32_e32 v7, 0x500, v0
	s_mov_b32 s0, exec_lo
	s_delay_alu instid0(VALU_DEP_1)
	v_cmpx_gt_u32_e64 s3, v7
	s_cbranch_execz .LBB2490_19
; %bb.18:
	v_add_co_u32 v7, s1, s8, v9
	s_wait_alu 0xf1ff
	v_add_co_ci_u32_e64 v8, null, s9, 0, s1
	s_wait_loadcnt_dscnt 0x0
	flat_load_d16_hi_b16 v3, v[7:8] offset:2560
.LBB2490_19:
	;; [unrolled: 27-line block ×5, first 2 shown]
	s_wait_alu 0xfffe
	s_or_b32 exec_lo, exec_lo, s0
	s_wait_loadcnt_dscnt 0x0
	ds_store_b16 v9, v1
	ds_store_b16_d16_hi v9, v1 offset:512
	ds_store_b16 v9, v2 offset:1024
	ds_store_b16_d16_hi v9, v2 offset:1536
	ds_store_b16 v9, v3 offset:2048
	;; [unrolled: 2-line block ×5, first 2 shown]
	ds_store_b16_d16_hi v9, v6 offset:5632
	s_wait_dscnt 0x0
	s_barrier_signal -1
	s_barrier_wait -1
.LBB2490_32:
	v_mul_u32_u24_e32 v53, 12, v0
	s_wait_loadcnt 0x0
	global_inv scope:SCOPE_SE
	s_add_nc_u64 s[0:1], s[16:17], s[10:11]
	s_and_b32 vcc_lo, exec_lo, s19
	s_wait_alu 0xfffe
	s_add_nc_u64 s[0:1], s[0:1], s[6:7]
	v_lshlrev_b32_e32 v1, 1, v53
	s_mov_b32 s6, -1
	ds_load_2addr_b64 v[33:36], v1 offset1:1
	ds_load_b64 v[43:44], v1 offset:16
	s_wait_loadcnt_dscnt 0x0
	s_barrier_signal -1
	s_barrier_wait -1
	global_inv scope:SCOPE_SE
	s_cbranch_vccz .LBB2490_34
; %bb.33:
	s_clause 0xb
	global_load_u8 v1, v0, s[0:1]
	global_load_u8 v2, v0, s[0:1] offset:256
	global_load_u8 v3, v0, s[0:1] offset:512
	;; [unrolled: 1-line block ×11, first 2 shown]
	s_mov_b32 s6, 0
	s_wait_loadcnt 0xb
	v_xor_b32_e32 v1, 1, v1
	s_wait_loadcnt 0xa
	v_xor_b32_e32 v2, 1, v2
	;; [unrolled: 2-line block ×12, first 2 shown]
	ds_store_b8 v0, v1
	ds_store_b8 v0, v2 offset:256
	ds_store_b8 v0, v3 offset:512
	;; [unrolled: 1-line block ×11, first 2 shown]
	s_wait_dscnt 0x0
	s_barrier_signal -1
	s_barrier_wait -1
.LBB2490_34:
	s_and_not1_b32 vcc_lo, exec_lo, s6
	s_cbranch_vccnz .LBB2490_60
; %bb.35:
	v_mov_b32_e32 v3, 0
	s_mov_b32 s6, exec_lo
	s_delay_alu instid0(VALU_DEP_1)
	v_dual_mov_b32 v1, v3 :: v_dual_mov_b32 v2, v3
	v_mov_b32_e32 v4, v3
	v_cmpx_gt_u32_e64 s3, v0
	s_cbranch_execz .LBB2490_37
; %bb.36:
	global_load_u8 v1, v0, s[0:1]
	s_wait_loadcnt 0x0
	v_xor_b32_e32 v4, 1, v1
	s_delay_alu instid0(VALU_DEP_1) | instskip(NEXT) | instid1(VALU_DEP_1)
	v_dual_mov_b32 v1, 0 :: v_dual_and_b32 v2, 1, v4
	v_dual_mov_b32 v2, v1 :: v_dual_and_b32 v3, 0xffff, v2
.LBB2490_37:
	s_or_b32 exec_lo, exec_lo, s6
	v_or_b32_e32 v5, 0x100, v0
	s_mov_b32 s6, exec_lo
	s_delay_alu instid0(VALU_DEP_1)
	v_cmpx_gt_u32_e64 s3, v5
	s_cbranch_execz .LBB2490_39
; %bb.38:
	global_load_u8 v5, v0, s[0:1] offset:256
	v_and_b32_e32 v6, 0xff, v3
	s_wait_loadcnt 0x0
	v_xor_b32_e32 v5, 1, v5
	s_delay_alu instid0(VALU_DEP_1) | instskip(NEXT) | instid1(VALU_DEP_1)
	v_lshlrev_b16 v5, 8, v5
	v_or_b32_e32 v5, v6, v5
	s_delay_alu instid0(VALU_DEP_1) | instskip(NEXT) | instid1(VALU_DEP_1)
	v_and_b32_e32 v5, 0xffff, v5
	v_and_or_b32 v3, 0xffff0000, v3, v5
.LBB2490_39:
	s_or_b32 exec_lo, exec_lo, s6
	v_or_b32_e32 v5, 0x200, v0
	s_mov_b32 s6, exec_lo
	s_delay_alu instid0(VALU_DEP_1)
	v_cmpx_gt_u32_e64 s3, v5
	s_cbranch_execz .LBB2490_41
; %bb.40:
	global_load_u8 v5, v0, s[0:1] offset:512
	v_lshrrev_b32_e32 v6, 16, v3
	s_delay_alu instid0(VALU_DEP_1) | instskip(SKIP_2) | instid1(VALU_DEP_1)
	v_and_b32_e32 v6, 0xffffff00, v6
	s_wait_loadcnt 0x0
	v_xor_b32_e32 v5, 1, v5
	v_or_b32_e32 v5, v5, v6
	s_delay_alu instid0(VALU_DEP_1) | instskip(NEXT) | instid1(VALU_DEP_1)
	v_lshlrev_b32_e32 v5, 16, v5
	v_and_or_b32 v3, 0xffff, v3, v5
.LBB2490_41:
	s_or_b32 exec_lo, exec_lo, s6
	v_or_b32_e32 v5, 0x300, v0
	s_mov_b32 s6, exec_lo
	s_delay_alu instid0(VALU_DEP_1)
	v_cmpx_gt_u32_e64 s3, v5
	s_cbranch_execz .LBB2490_43
; %bb.42:
	global_load_u8 v5, v0, s[0:1] offset:768
	v_lshrrev_b32_e32 v6, 16, v3
	s_delay_alu instid0(VALU_DEP_1) | instskip(SKIP_2) | instid1(VALU_DEP_1)
	v_and_b32_e32 v6, 0xff, v6
	s_wait_loadcnt 0x0
	v_xor_b32_e32 v5, 1, v5
	v_lshlrev_b16 v5, 8, v5
	s_delay_alu instid0(VALU_DEP_1) | instskip(NEXT) | instid1(VALU_DEP_1)
	v_or_b32_e32 v5, v6, v5
	v_lshlrev_b32_e32 v5, 16, v5
	s_delay_alu instid0(VALU_DEP_1)
	v_and_or_b32 v3, 0xffff, v3, v5
.LBB2490_43:
	s_or_b32 exec_lo, exec_lo, s6
	v_or_b32_e32 v5, 0x400, v0
	s_mov_b32 s6, exec_lo
	s_delay_alu instid0(VALU_DEP_1)
	v_cmpx_gt_u32_e64 s3, v5
	s_cbranch_execz .LBB2490_45
; %bb.44:
	global_load_u8 v5, v0, s[0:1] offset:1024
	v_and_b32_e32 v6, 0xffffff00, v1
	s_wait_loadcnt 0x0
	v_xor_b32_e32 v5, 1, v5
	s_delay_alu instid0(VALU_DEP_1) | instskip(NEXT) | instid1(VALU_DEP_1)
	v_or_b32_e32 v5, v5, v6
	v_and_b32_e32 v5, 0xffff, v5
	s_delay_alu instid0(VALU_DEP_1)
	v_and_or_b32 v1, 0xffff0000, v1, v5
.LBB2490_45:
	s_or_b32 exec_lo, exec_lo, s6
	v_or_b32_e32 v5, 0x500, v0
	s_mov_b32 s6, exec_lo
	s_delay_alu instid0(VALU_DEP_1)
	v_cmpx_gt_u32_e64 s3, v5
	s_cbranch_execz .LBB2490_47
; %bb.46:
	global_load_u8 v5, v0, s[0:1] offset:1280
	v_and_b32_e32 v6, 0xff, v1
	s_wait_loadcnt 0x0
	v_xor_b32_e32 v5, 1, v5
	s_delay_alu instid0(VALU_DEP_1) | instskip(NEXT) | instid1(VALU_DEP_1)
	v_lshlrev_b16 v5, 8, v5
	v_or_b32_e32 v5, v6, v5
	s_delay_alu instid0(VALU_DEP_1) | instskip(NEXT) | instid1(VALU_DEP_1)
	v_and_b32_e32 v5, 0xffff, v5
	v_and_or_b32 v1, 0xffff0000, v1, v5
.LBB2490_47:
	s_or_b32 exec_lo, exec_lo, s6
	v_or_b32_e32 v5, 0x600, v0
	s_mov_b32 s6, exec_lo
	s_delay_alu instid0(VALU_DEP_1)
	v_cmpx_gt_u32_e64 s3, v5
	s_cbranch_execz .LBB2490_49
; %bb.48:
	global_load_u8 v5, v0, s[0:1] offset:1536
	v_lshrrev_b32_e32 v6, 16, v1
	s_delay_alu instid0(VALU_DEP_1) | instskip(SKIP_2) | instid1(VALU_DEP_1)
	v_and_b32_e32 v6, 0xffffff00, v6
	s_wait_loadcnt 0x0
	v_xor_b32_e32 v5, 1, v5
	v_or_b32_e32 v5, v5, v6
	s_delay_alu instid0(VALU_DEP_1) | instskip(NEXT) | instid1(VALU_DEP_1)
	v_lshlrev_b32_e32 v5, 16, v5
	v_and_or_b32 v1, 0xffff, v1, v5
.LBB2490_49:
	s_or_b32 exec_lo, exec_lo, s6
	v_or_b32_e32 v5, 0x700, v0
	s_mov_b32 s6, exec_lo
	s_delay_alu instid0(VALU_DEP_1)
	v_cmpx_gt_u32_e64 s3, v5
	s_cbranch_execz .LBB2490_51
; %bb.50:
	global_load_u8 v5, v0, s[0:1] offset:1792
	v_lshrrev_b32_e32 v6, 16, v1
	s_delay_alu instid0(VALU_DEP_1) | instskip(SKIP_2) | instid1(VALU_DEP_1)
	v_and_b32_e32 v6, 0xff, v6
	s_wait_loadcnt 0x0
	v_xor_b32_e32 v5, 1, v5
	v_lshlrev_b16 v5, 8, v5
	s_delay_alu instid0(VALU_DEP_1) | instskip(NEXT) | instid1(VALU_DEP_1)
	v_or_b32_e32 v5, v6, v5
	v_lshlrev_b32_e32 v5, 16, v5
	s_delay_alu instid0(VALU_DEP_1)
	v_and_or_b32 v1, 0xffff, v1, v5
.LBB2490_51:
	s_or_b32 exec_lo, exec_lo, s6
	v_or_b32_e32 v5, 0x800, v0
	s_mov_b32 s6, exec_lo
	s_delay_alu instid0(VALU_DEP_1)
	v_cmpx_gt_u32_e64 s3, v5
	s_cbranch_execz .LBB2490_53
; %bb.52:
	global_load_u8 v5, v0, s[0:1] offset:2048
	v_and_b32_e32 v6, 0xffffff00, v2
	s_wait_loadcnt 0x0
	v_xor_b32_e32 v5, 1, v5
	s_delay_alu instid0(VALU_DEP_1) | instskip(NEXT) | instid1(VALU_DEP_1)
	v_or_b32_e32 v5, v5, v6
	v_and_b32_e32 v5, 0xffff, v5
	s_delay_alu instid0(VALU_DEP_1)
	v_and_or_b32 v2, 0xffff0000, v2, v5
.LBB2490_53:
	s_or_b32 exec_lo, exec_lo, s6
	v_or_b32_e32 v5, 0x900, v0
	s_mov_b32 s6, exec_lo
	s_delay_alu instid0(VALU_DEP_1)
	v_cmpx_gt_u32_e64 s3, v5
	s_cbranch_execz .LBB2490_55
; %bb.54:
	global_load_u8 v5, v0, s[0:1] offset:2304
	v_and_b32_e32 v6, 0xff, v2
	s_wait_loadcnt 0x0
	v_xor_b32_e32 v5, 1, v5
	s_delay_alu instid0(VALU_DEP_1) | instskip(NEXT) | instid1(VALU_DEP_1)
	v_lshlrev_b16 v5, 8, v5
	v_or_b32_e32 v5, v6, v5
	s_delay_alu instid0(VALU_DEP_1) | instskip(NEXT) | instid1(VALU_DEP_1)
	v_and_b32_e32 v5, 0xffff, v5
	v_and_or_b32 v2, 0xffff0000, v2, v5
.LBB2490_55:
	s_or_b32 exec_lo, exec_lo, s6
	v_or_b32_e32 v5, 0xa00, v0
	s_mov_b32 s6, exec_lo
	s_delay_alu instid0(VALU_DEP_1)
	v_cmpx_gt_u32_e64 s3, v5
	s_cbranch_execz .LBB2490_57
; %bb.56:
	global_load_u8 v5, v0, s[0:1] offset:2560
	v_lshrrev_b32_e32 v6, 16, v2
	s_delay_alu instid0(VALU_DEP_1) | instskip(SKIP_2) | instid1(VALU_DEP_1)
	v_and_b32_e32 v6, 0xffffff00, v6
	s_wait_loadcnt 0x0
	v_xor_b32_e32 v5, 1, v5
	v_or_b32_e32 v5, v5, v6
	s_delay_alu instid0(VALU_DEP_1) | instskip(NEXT) | instid1(VALU_DEP_1)
	v_lshlrev_b32_e32 v5, 16, v5
	v_and_or_b32 v2, 0xffff, v2, v5
.LBB2490_57:
	s_or_b32 exec_lo, exec_lo, s6
	v_or_b32_e32 v5, 0xb00, v0
	s_delay_alu instid0(VALU_DEP_1)
	v_cmp_gt_u32_e32 vcc_lo, s3, v5
	s_and_saveexec_b32 s3, vcc_lo
	s_cbranch_execz .LBB2490_59
; %bb.58:
	global_load_u8 v5, v0, s[0:1] offset:2816
	v_lshrrev_b32_e32 v6, 16, v2
	s_delay_alu instid0(VALU_DEP_1) | instskip(SKIP_2) | instid1(VALU_DEP_1)
	v_and_b32_e32 v6, 0xff, v6
	s_wait_loadcnt 0x0
	v_xor_b32_e32 v5, 1, v5
	v_lshlrev_b16 v5, 8, v5
	s_delay_alu instid0(VALU_DEP_1) | instskip(NEXT) | instid1(VALU_DEP_1)
	v_or_b32_e32 v5, v6, v5
	v_lshlrev_b32_e32 v5, 16, v5
	s_delay_alu instid0(VALU_DEP_1)
	v_and_or_b32 v2, 0xffff, v2, v5
.LBB2490_59:
	s_wait_alu 0xfffe
	s_or_b32 exec_lo, exec_lo, s3
	v_lshrrev_b32_e32 v5, 8, v3
	v_lshrrev_b32_e32 v6, 24, v3
	;; [unrolled: 1-line block ×6, first 2 shown]
	ds_store_b8 v0, v4
	ds_store_b8 v0, v5 offset:256
	ds_store_b8_d16_hi v0, v3 offset:512
	ds_store_b8 v0, v6 offset:768
	ds_store_b8 v0, v1 offset:1024
	;; [unrolled: 1-line block ×3, first 2 shown]
	ds_store_b8_d16_hi v0, v1 offset:1536
	ds_store_b8 v0, v8 offset:1792
	ds_store_b8 v0, v2 offset:2048
	ds_store_b8 v0, v9 offset:2304
	ds_store_b8_d16_hi v0, v2 offset:2560
	ds_store_b8 v0, v10 offset:2816
	s_wait_loadcnt_dscnt 0x0
	s_barrier_signal -1
	s_barrier_wait -1
.LBB2490_60:
	s_wait_loadcnt 0x0
	global_inv scope:SCOPE_SE
	ds_load_2addr_b32 v[45:46], v53 offset1:1
	ds_load_b32 v49, v53 offset:8
	v_mbcnt_lo_u32_b32 v63, -1, 0
	s_cmp_lg_u32 s20, 0
	s_mov_b32 s1, -1
	s_wait_loadcnt_dscnt 0x0
	s_barrier_signal -1
	v_and_b32_e32 v64, 15, v63
	s_barrier_wait -1
	global_inv scope:SCOPE_SE
	v_dual_mov_b32 v2, 0 :: v_dual_and_b32 v55, 0xff, v45
	v_bfe_u32 v56, v45, 8, 8
	v_bfe_u32 v54, v45, 16, 8
	v_lshrrev_b32_e32 v52, 24, v45
	v_and_b32_e32 v58, 0xff, v46
	v_bfe_u32 v59, v46, 8, 8
	v_bfe_u32 v60, v46, 16, 8
	v_add3_u32 v1, v56, v55, v54
	v_lshrrev_b32_e32 v51, 24, v46
	v_and_b32_e32 v61, 0xff, v49
	v_bfe_u32 v62, v49, 8, 8
	v_bfe_u32 v57, v49, 16, 8
	v_add_co_u32 v1, s0, v1, v52
	s_wait_alu 0xf1fe
	v_add_co_ci_u32_e64 v3, null, 0, 0, s0
	v_lshrrev_b32_e32 v50, 24, v49
	s_delay_alu instid0(VALU_DEP_3) | instskip(NEXT) | instid1(VALU_DEP_1)
	v_add_co_u32 v1, vcc_lo, v1, v58
	v_add_co_ci_u32_e64 v3, null, 0, v3, vcc_lo
	v_cmp_ne_u32_e64 s0, 0, v64
	s_delay_alu instid0(VALU_DEP_3) | instskip(SKIP_1) | instid1(VALU_DEP_3)
	v_add_co_u32 v1, vcc_lo, v1, v59
	s_wait_alu 0xfffd
	v_add_co_ci_u32_e64 v3, null, 0, v3, vcc_lo
	s_delay_alu instid0(VALU_DEP_2) | instskip(SKIP_1) | instid1(VALU_DEP_2)
	v_add_co_u32 v1, vcc_lo, v1, v60
	s_wait_alu 0xfffd
	v_add_co_ci_u32_e64 v3, null, 0, v3, vcc_lo
	s_delay_alu instid0(VALU_DEP_2) | instskip(SKIP_1) | instid1(VALU_DEP_2)
	;; [unrolled: 4-line block ×6, first 2 shown]
	v_add_co_u32 v47, vcc_lo, v1, v50
	s_wait_alu 0xfffd
	v_add_co_ci_u32_e64 v48, null, 0, v3, vcc_lo
	s_cbranch_scc0 .LBB2490_117
; %bb.61:
	v_mov_b32_e32 v3, v47
	v_mov_b32_dpp v1, v47 row_shr:1 row_mask:0xf bank_mask:0xf
	v_mov_b32_dpp v6, v2 row_shr:1 row_mask:0xf bank_mask:0xf
	v_dual_mov_b32 v5, v47 :: v_dual_mov_b32 v4, v48
	s_and_saveexec_b32 s1, s0
; %bb.62:
	s_delay_alu instid0(VALU_DEP_3) | instskip(SKIP_2) | instid1(VALU_DEP_2)
	v_add_co_u32 v5, vcc_lo, v47, v1
	s_wait_alu 0xfffd
	v_add_co_ci_u32_e64 v2, null, 0, v48, vcc_lo
	v_add_co_u32 v1, vcc_lo, 0, v5
	s_wait_alu 0xfffd
	s_delay_alu instid0(VALU_DEP_2) | instskip(NEXT) | instid1(VALU_DEP_1)
	v_add_co_ci_u32_e64 v2, null, v6, v2, vcc_lo
	v_dual_mov_b32 v4, v2 :: v_dual_mov_b32 v3, v1
; %bb.63:
	s_wait_alu 0xfffe
	s_or_b32 exec_lo, exec_lo, s1
	v_mov_b32_dpp v1, v5 row_shr:2 row_mask:0xf bank_mask:0xf
	v_mov_b32_dpp v6, v2 row_shr:2 row_mask:0xf bank_mask:0xf
	s_mov_b32 s1, exec_lo
	v_cmpx_lt_u32_e32 1, v64
; %bb.64:
	s_delay_alu instid0(VALU_DEP_3) | instskip(SKIP_2) | instid1(VALU_DEP_2)
	v_add_co_u32 v5, vcc_lo, v3, v1
	s_wait_alu 0xfffd
	v_add_co_ci_u32_e64 v2, null, 0, v4, vcc_lo
	v_add_co_u32 v1, vcc_lo, 0, v5
	s_wait_alu 0xfffd
	s_delay_alu instid0(VALU_DEP_2) | instskip(NEXT) | instid1(VALU_DEP_1)
	v_add_co_ci_u32_e64 v2, null, v6, v2, vcc_lo
	v_dual_mov_b32 v4, v2 :: v_dual_mov_b32 v3, v1
; %bb.65:
	s_wait_alu 0xfffe
	s_or_b32 exec_lo, exec_lo, s1
	v_mov_b32_dpp v1, v5 row_shr:4 row_mask:0xf bank_mask:0xf
	v_mov_b32_dpp v6, v2 row_shr:4 row_mask:0xf bank_mask:0xf
	s_mov_b32 s1, exec_lo
	v_cmpx_lt_u32_e32 3, v64
	;; [unrolled: 17-line block ×3, first 2 shown]
; %bb.68:
	s_delay_alu instid0(VALU_DEP_3) | instskip(SKIP_2) | instid1(VALU_DEP_2)
	v_add_co_u32 v5, vcc_lo, v3, v6
	s_wait_alu 0xfffd
	v_add_co_ci_u32_e64 v2, null, 0, v4, vcc_lo
	v_add_co_u32 v3, vcc_lo, 0, v5
	s_wait_alu 0xfffd
	s_delay_alu instid0(VALU_DEP_2) | instskip(NEXT) | instid1(VALU_DEP_1)
	v_add_co_ci_u32_e64 v4, null, v1, v2, vcc_lo
	v_mov_b32_e32 v2, v4
; %bb.69:
	s_wait_alu 0xfffe
	s_or_b32 exec_lo, exec_lo, s1
	ds_swizzle_b32 v1, v5 offset:swizzle(BROADCAST,32,15)
	ds_swizzle_b32 v6, v2 offset:swizzle(BROADCAST,32,15)
	v_and_b32_e32 v7, 16, v63
	s_mov_b32 s1, exec_lo
	s_delay_alu instid0(VALU_DEP_1)
	v_cmpx_ne_u32_e32 0, v7
	s_cbranch_execz .LBB2490_71
; %bb.70:
	s_wait_dscnt 0x1
	v_add_co_u32 v5, vcc_lo, v3, v1
	s_wait_alu 0xfffd
	v_add_co_ci_u32_e64 v2, null, 0, v4, vcc_lo
	s_delay_alu instid0(VALU_DEP_2) | instskip(SKIP_2) | instid1(VALU_DEP_2)
	v_add_co_u32 v1, vcc_lo, 0, v5
	s_wait_dscnt 0x0
	s_wait_alu 0xfffd
	v_add_co_ci_u32_e64 v2, null, v6, v2, vcc_lo
	s_delay_alu instid0(VALU_DEP_1)
	v_dual_mov_b32 v4, v2 :: v_dual_mov_b32 v3, v1
.LBB2490_71:
	s_wait_alu 0xfffe
	s_or_b32 exec_lo, exec_lo, s1
	s_wait_dscnt 0x0
	v_or_b32_e32 v6, 31, v0
	v_lshrrev_b32_e32 v1, 5, v0
	s_mov_b32 s1, exec_lo
	s_delay_alu instid0(VALU_DEP_2)
	v_cmpx_eq_u32_e64 v0, v6
; %bb.72:
	s_delay_alu instid0(VALU_DEP_2)
	v_lshlrev_b32_e32 v6, 3, v1
	ds_store_b64 v6, v[3:4]
; %bb.73:
	s_wait_alu 0xfffe
	s_or_b32 exec_lo, exec_lo, s1
	s_delay_alu instid0(SALU_CYCLE_1)
	s_mov_b32 s1, exec_lo
	s_wait_loadcnt_dscnt 0x0
	s_barrier_signal -1
	s_barrier_wait -1
	global_inv scope:SCOPE_SE
	v_cmpx_gt_u32_e32 8, v0
	s_cbranch_execz .LBB2490_81
; %bb.74:
	v_lshlrev_b32_e32 v6, 3, v0
	s_mov_b32 s3, exec_lo
	ds_load_b64 v[3:4], v6
	s_wait_dscnt 0x0
	v_dual_mov_b32 v8, v3 :: v_dual_and_b32 v7, 7, v63
	v_mov_b32_dpp v10, v3 row_shr:1 row_mask:0xf bank_mask:0xf
	v_mov_b32_dpp v9, v4 row_shr:1 row_mask:0xf bank_mask:0xf
	s_delay_alu instid0(VALU_DEP_3)
	v_cmpx_ne_u32_e32 0, v7
; %bb.75:
	s_delay_alu instid0(VALU_DEP_3) | instskip(SKIP_2) | instid1(VALU_DEP_2)
	v_add_co_u32 v8, vcc_lo, v3, v10
	s_wait_alu 0xfffd
	v_add_co_ci_u32_e64 v4, null, 0, v4, vcc_lo
	v_add_co_u32 v3, vcc_lo, 0, v8
	s_wait_alu 0xfffd
	s_delay_alu instid0(VALU_DEP_2)
	v_add_co_ci_u32_e64 v4, null, v9, v4, vcc_lo
; %bb.76:
	s_wait_alu 0xfffe
	s_or_b32 exec_lo, exec_lo, s3
	v_mov_b32_dpp v10, v8 row_shr:2 row_mask:0xf bank_mask:0xf
	s_delay_alu instid0(VALU_DEP_2)
	v_mov_b32_dpp v9, v4 row_shr:2 row_mask:0xf bank_mask:0xf
	s_mov_b32 s3, exec_lo
	v_cmpx_lt_u32_e32 1, v7
; %bb.77:
	s_delay_alu instid0(VALU_DEP_3) | instskip(SKIP_2) | instid1(VALU_DEP_2)
	v_add_co_u32 v8, vcc_lo, v3, v10
	s_wait_alu 0xfffd
	v_add_co_ci_u32_e64 v4, null, 0, v4, vcc_lo
	v_add_co_u32 v3, vcc_lo, 0, v8
	s_wait_alu 0xfffd
	s_delay_alu instid0(VALU_DEP_2)
	v_add_co_ci_u32_e64 v4, null, v9, v4, vcc_lo
; %bb.78:
	s_wait_alu 0xfffe
	s_or_b32 exec_lo, exec_lo, s3
	v_mov_b32_dpp v9, v8 row_shr:4 row_mask:0xf bank_mask:0xf
	s_delay_alu instid0(VALU_DEP_2)
	v_mov_b32_dpp v8, v4 row_shr:4 row_mask:0xf bank_mask:0xf
	s_mov_b32 s3, exec_lo
	v_cmpx_lt_u32_e32 3, v7
; %bb.79:
	s_delay_alu instid0(VALU_DEP_3) | instskip(SKIP_2) | instid1(VALU_DEP_2)
	v_add_co_u32 v3, vcc_lo, v3, v9
	s_wait_alu 0xfffd
	v_add_co_ci_u32_e64 v4, null, 0, v4, vcc_lo
	v_add_co_u32 v3, vcc_lo, v3, 0
	s_wait_alu 0xfffd
	s_delay_alu instid0(VALU_DEP_2)
	v_add_co_ci_u32_e64 v4, null, v4, v8, vcc_lo
; %bb.80:
	s_wait_alu 0xfffe
	s_or_b32 exec_lo, exec_lo, s3
	ds_store_b64 v6, v[3:4]
.LBB2490_81:
	s_wait_alu 0xfffe
	s_or_b32 exec_lo, exec_lo, s1
	s_delay_alu instid0(SALU_CYCLE_1)
	s_mov_b32 s3, exec_lo
	v_cmp_gt_u32_e32 vcc_lo, 32, v0
	s_wait_loadcnt_dscnt 0x0
	s_barrier_signal -1
	s_barrier_wait -1
	global_inv scope:SCOPE_SE
                                        ; implicit-def: $vgpr9_vgpr10
	v_cmpx_lt_u32_e32 31, v0
	s_cbranch_execz .LBB2490_83
; %bb.82:
	v_lshl_add_u32 v1, v1, 3, -8
	ds_load_b64 v[9:10], v1
	s_wait_dscnt 0x0
	v_add_co_u32 v5, s1, v5, v9
	s_wait_alu 0xf1ff
	v_add_co_ci_u32_e64 v2, null, v2, v10, s1
.LBB2490_83:
	s_wait_alu 0xfffe
	s_or_b32 exec_lo, exec_lo, s3
	v_sub_co_u32 v1, s1, v63, 1
	s_delay_alu instid0(VALU_DEP_1) | instskip(SKIP_1) | instid1(VALU_DEP_1)
	v_cmp_gt_i32_e64 s3, 0, v1
	s_wait_alu 0xf1ff
	v_cndmask_b32_e64 v1, v1, v63, s3
	s_delay_alu instid0(VALU_DEP_1)
	v_lshlrev_b32_e32 v1, 2, v1
	ds_bpermute_b32 v15, v1, v5
	ds_bpermute_b32 v16, v1, v2
	s_and_saveexec_b32 s3, vcc_lo
	s_cbranch_execz .LBB2490_122
; %bb.84:
	v_mov_b32_e32 v4, 0
	ds_load_b64 v[1:2], v4 offset:56
	s_and_saveexec_b32 s6, s1
	s_cbranch_execz .LBB2490_86
; %bb.85:
	s_add_co_i32 s8, s20, 32
	s_mov_b32 s9, 0
	s_wait_alu 0xfffe
	s_lshl_b64 s[8:9], s[8:9], 4
	s_wait_alu 0xfffe
	s_add_nc_u64 s[8:9], s[14:15], s[8:9]
	v_mov_b32_e32 v3, 1
	s_wait_alu 0xfffe
	v_dual_mov_b32 v5, s8 :: v_dual_mov_b32 v6, s9
	s_wait_dscnt 0x0
	;;#ASMSTART
	global_store_b128 v[5:6], v[1:4] off scope:SCOPE_DEV	
s_wait_storecnt 0x0
	;;#ASMEND
.LBB2490_86:
	s_or_b32 exec_lo, exec_lo, s6
	v_xad_u32 v11, v63, -1, s20
	s_mov_b32 s6, exec_lo
	s_delay_alu instid0(VALU_DEP_1) | instskip(NEXT) | instid1(VALU_DEP_1)
	v_add_nc_u32_e32 v3, 32, v11
	v_lshlrev_b64_e32 v[3:4], 4, v[3:4]
	s_delay_alu instid0(VALU_DEP_1) | instskip(SKIP_1) | instid1(VALU_DEP_2)
	v_add_co_u32 v3, vcc_lo, s14, v3
	s_wait_alu 0xfffd
	v_add_co_ci_u32_e64 v4, null, s15, v4, vcc_lo
	;;#ASMSTART
	global_load_b128 v[5:8], v[3:4] off scope:SCOPE_DEV	
s_wait_loadcnt 0x0
	;;#ASMEND
	v_and_b32_e32 v8, 0xff, v7
	s_delay_alu instid0(VALU_DEP_1)
	v_cmpx_eq_u16_e32 0, v8
	s_cbranch_execz .LBB2490_89
.LBB2490_87:                            ; =>This Inner Loop Header: Depth=1
	;;#ASMSTART
	global_load_b128 v[5:8], v[3:4] off scope:SCOPE_DEV	
s_wait_loadcnt 0x0
	;;#ASMEND
	v_and_b32_e32 v8, 0xff, v7
	s_delay_alu instid0(VALU_DEP_1) | instskip(SKIP_1) | instid1(SALU_CYCLE_1)
	v_cmp_ne_u16_e32 vcc_lo, 0, v8
	s_or_b32 s7, vcc_lo, s7
	s_and_not1_b32 exec_lo, exec_lo, s7
	s_cbranch_execnz .LBB2490_87
; %bb.88:
	s_or_b32 exec_lo, exec_lo, s7
.LBB2490_89:
	s_delay_alu instid0(SALU_CYCLE_1)
	s_or_b32 exec_lo, exec_lo, s6
	v_cmp_ne_u32_e32 vcc_lo, 31, v63
	v_and_b32_e32 v4, 0xff, v7
	v_lshlrev_b32_e64 v18, v63, -1
	s_mov_b32 s6, exec_lo
	s_wait_alu 0xfffd
	v_add_co_ci_u32_e64 v3, null, 0, v63, vcc_lo
	v_cmp_eq_u16_e32 vcc_lo, 2, v4
	s_delay_alu instid0(VALU_DEP_2)
	v_dual_mov_b32 v4, v5 :: v_dual_lshlrev_b32 v17, 2, v3
	s_wait_alu 0xfffd
	v_and_or_b32 v3, vcc_lo, v18, 0x80000000
	ds_bpermute_b32 v12, v17, v5
	ds_bpermute_b32 v8, v17, v6
	v_ctz_i32_b32_e32 v3, v3
	s_delay_alu instid0(VALU_DEP_1)
	v_cmpx_lt_u32_e64 v63, v3
	s_cbranch_execz .LBB2490_91
; %bb.90:
	s_wait_dscnt 0x1
	v_add_co_u32 v4, vcc_lo, v5, v12
	s_wait_alu 0xfffd
	v_add_co_ci_u32_e64 v6, null, 0, v6, vcc_lo
	s_delay_alu instid0(VALU_DEP_2) | instskip(SKIP_2) | instid1(VALU_DEP_2)
	v_add_co_u32 v5, vcc_lo, 0, v4
	s_wait_dscnt 0x0
	s_wait_alu 0xfffd
	v_add_co_ci_u32_e64 v6, null, v8, v6, vcc_lo
.LBB2490_91:
	s_or_b32 exec_lo, exec_lo, s6
	v_cmp_gt_u32_e32 vcc_lo, 30, v63
	v_add_nc_u32_e32 v20, 2, v63
	s_mov_b32 s6, exec_lo
	s_wait_dscnt 0x0
	s_wait_alu 0xfffd
	v_cndmask_b32_e64 v8, 0, 2, vcc_lo
	s_delay_alu instid0(VALU_DEP_1)
	v_add_lshl_u32 v19, v8, v63, 2
	ds_bpermute_b32 v12, v19, v4
	ds_bpermute_b32 v8, v19, v6
	v_cmpx_le_u32_e64 v20, v3
	s_cbranch_execz .LBB2490_93
; %bb.92:
	s_wait_dscnt 0x1
	v_add_co_u32 v4, vcc_lo, v5, v12
	s_wait_alu 0xfffd
	v_add_co_ci_u32_e64 v6, null, 0, v6, vcc_lo
	s_delay_alu instid0(VALU_DEP_2) | instskip(SKIP_2) | instid1(VALU_DEP_2)
	v_add_co_u32 v5, vcc_lo, 0, v4
	s_wait_dscnt 0x0
	s_wait_alu 0xfffd
	v_add_co_ci_u32_e64 v6, null, v8, v6, vcc_lo
.LBB2490_93:
	s_or_b32 exec_lo, exec_lo, s6
	v_cmp_gt_u32_e32 vcc_lo, 28, v63
	v_add_nc_u32_e32 v22, 4, v63
	s_mov_b32 s6, exec_lo
	s_wait_dscnt 0x0
	s_wait_alu 0xfffd
	v_cndmask_b32_e64 v8, 0, 4, vcc_lo
	s_delay_alu instid0(VALU_DEP_1)
	v_add_lshl_u32 v21, v8, v63, 2
	ds_bpermute_b32 v12, v21, v4
	ds_bpermute_b32 v8, v21, v6
	v_cmpx_le_u32_e64 v22, v3
	;; [unrolled: 24-line block ×3, first 2 shown]
	s_cbranch_execz .LBB2490_97
; %bb.96:
	s_wait_dscnt 0x1
	v_add_co_u32 v4, vcc_lo, v5, v12
	s_wait_alu 0xfffd
	v_add_co_ci_u32_e64 v6, null, 0, v6, vcc_lo
	s_delay_alu instid0(VALU_DEP_2) | instskip(SKIP_2) | instid1(VALU_DEP_2)
	v_add_co_u32 v5, vcc_lo, 0, v4
	s_wait_dscnt 0x0
	s_wait_alu 0xfffd
	v_add_co_ci_u32_e64 v6, null, v8, v6, vcc_lo
.LBB2490_97:
	s_or_b32 exec_lo, exec_lo, s6
	v_lshl_or_b32 v25, v63, 2, 64
	v_add_nc_u32_e32 v26, 16, v63
	s_mov_b32 s6, exec_lo
	s_wait_dscnt 0x0
	ds_bpermute_b32 v8, v25, v4
	ds_bpermute_b32 v4, v25, v6
	v_cmpx_le_u32_e64 v26, v3
	s_cbranch_execz .LBB2490_99
; %bb.98:
	s_wait_dscnt 0x1
	v_add_co_u32 v3, vcc_lo, v5, v8
	s_wait_alu 0xfffd
	v_add_co_ci_u32_e64 v6, null, 0, v6, vcc_lo
	s_delay_alu instid0(VALU_DEP_2) | instskip(SKIP_2) | instid1(VALU_DEP_2)
	v_add_co_u32 v5, vcc_lo, v3, 0
	s_wait_dscnt 0x0
	s_wait_alu 0xfffd
	v_add_co_ci_u32_e64 v6, null, v6, v4, vcc_lo
.LBB2490_99:
	s_or_b32 exec_lo, exec_lo, s6
	v_mov_b32_e32 v12, 0
	s_branch .LBB2490_102
.LBB2490_100:                           ;   in Loop: Header=BB2490_102 Depth=1
	s_or_b32 exec_lo, exec_lo, s6
	v_add_co_u32 v5, vcc_lo, v5, v3
	v_subrev_nc_u32_e32 v11, 32, v11
	s_wait_alu 0xfffd
	v_add_co_ci_u32_e64 v6, null, v6, v4, vcc_lo
	s_mov_b32 s6, 0
.LBB2490_101:                           ;   in Loop: Header=BB2490_102 Depth=1
	s_delay_alu instid0(SALU_CYCLE_1)
	s_and_b32 vcc_lo, exec_lo, s6
	s_wait_alu 0xfffe
	s_cbranch_vccnz .LBB2490_118
.LBB2490_102:                           ; =>This Loop Header: Depth=1
                                        ;     Child Loop BB2490_105 Depth 2
	v_and_b32_e32 v3, 0xff, v7
	s_mov_b32 s6, -1
	s_delay_alu instid0(VALU_DEP_1)
	v_cmp_ne_u16_e32 vcc_lo, 2, v3
	s_wait_dscnt 0x0
	v_dual_mov_b32 v3, v5 :: v_dual_mov_b32 v4, v6
                                        ; implicit-def: $vgpr5_vgpr6
	s_cmp_lg_u32 vcc_lo, exec_lo
	s_cbranch_scc1 .LBB2490_101
; %bb.103:                              ;   in Loop: Header=BB2490_102 Depth=1
	v_lshlrev_b64_e32 v[5:6], 4, v[11:12]
	s_mov_b32 s6, exec_lo
	s_delay_alu instid0(VALU_DEP_1) | instskip(SKIP_1) | instid1(VALU_DEP_2)
	v_add_co_u32 v13, vcc_lo, s14, v5
	s_wait_alu 0xfffd
	v_add_co_ci_u32_e64 v14, null, s15, v6, vcc_lo
	;;#ASMSTART
	global_load_b128 v[5:8], v[13:14] off scope:SCOPE_DEV	
s_wait_loadcnt 0x0
	;;#ASMEND
	v_and_b32_e32 v8, 0xff, v7
	s_delay_alu instid0(VALU_DEP_1)
	v_cmpx_eq_u16_e32 0, v8
	s_cbranch_execz .LBB2490_107
; %bb.104:                              ;   in Loop: Header=BB2490_102 Depth=1
	s_mov_b32 s7, 0
.LBB2490_105:                           ;   Parent Loop BB2490_102 Depth=1
                                        ; =>  This Inner Loop Header: Depth=2
	;;#ASMSTART
	global_load_b128 v[5:8], v[13:14] off scope:SCOPE_DEV	
s_wait_loadcnt 0x0
	;;#ASMEND
	v_and_b32_e32 v8, 0xff, v7
	s_delay_alu instid0(VALU_DEP_1) | instskip(SKIP_1) | instid1(SALU_CYCLE_1)
	v_cmp_ne_u16_e32 vcc_lo, 0, v8
	s_or_b32 s7, vcc_lo, s7
	s_and_not1_b32 exec_lo, exec_lo, s7
	s_cbranch_execnz .LBB2490_105
; %bb.106:                              ;   in Loop: Header=BB2490_102 Depth=1
	s_or_b32 exec_lo, exec_lo, s7
.LBB2490_107:                           ;   in Loop: Header=BB2490_102 Depth=1
	s_delay_alu instid0(SALU_CYCLE_1)
	s_or_b32 exec_lo, exec_lo, s6
	v_dual_mov_b32 v13, v5 :: v_dual_and_b32 v8, 0xff, v7
	ds_bpermute_b32 v27, v17, v5
	ds_bpermute_b32 v14, v17, v6
	s_mov_b32 s6, exec_lo
	v_cmp_eq_u16_e32 vcc_lo, 2, v8
	s_wait_alu 0xfffd
	v_and_or_b32 v8, vcc_lo, v18, 0x80000000
	s_delay_alu instid0(VALU_DEP_1) | instskip(NEXT) | instid1(VALU_DEP_1)
	v_ctz_i32_b32_e32 v8, v8
	v_cmpx_lt_u32_e64 v63, v8
	s_cbranch_execz .LBB2490_109
; %bb.108:                              ;   in Loop: Header=BB2490_102 Depth=1
	s_wait_dscnt 0x1
	v_add_co_u32 v13, vcc_lo, v5, v27
	s_wait_alu 0xfffd
	v_add_co_ci_u32_e64 v6, null, 0, v6, vcc_lo
	s_delay_alu instid0(VALU_DEP_2) | instskip(SKIP_2) | instid1(VALU_DEP_2)
	v_add_co_u32 v5, vcc_lo, 0, v13
	s_wait_dscnt 0x0
	s_wait_alu 0xfffd
	v_add_co_ci_u32_e64 v6, null, v14, v6, vcc_lo
.LBB2490_109:                           ;   in Loop: Header=BB2490_102 Depth=1
	s_or_b32 exec_lo, exec_lo, s6
	s_wait_dscnt 0x1
	ds_bpermute_b32 v27, v19, v13
	s_wait_dscnt 0x1
	ds_bpermute_b32 v14, v19, v6
	s_mov_b32 s6, exec_lo
	v_cmpx_le_u32_e64 v20, v8
	s_cbranch_execz .LBB2490_111
; %bb.110:                              ;   in Loop: Header=BB2490_102 Depth=1
	s_wait_dscnt 0x1
	v_add_co_u32 v13, vcc_lo, v5, v27
	s_wait_alu 0xfffd
	v_add_co_ci_u32_e64 v6, null, 0, v6, vcc_lo
	s_delay_alu instid0(VALU_DEP_2) | instskip(SKIP_2) | instid1(VALU_DEP_2)
	v_add_co_u32 v5, vcc_lo, 0, v13
	s_wait_dscnt 0x0
	s_wait_alu 0xfffd
	v_add_co_ci_u32_e64 v6, null, v14, v6, vcc_lo
.LBB2490_111:                           ;   in Loop: Header=BB2490_102 Depth=1
	s_or_b32 exec_lo, exec_lo, s6
	s_wait_dscnt 0x1
	ds_bpermute_b32 v27, v21, v13
	s_wait_dscnt 0x1
	ds_bpermute_b32 v14, v21, v6
	s_mov_b32 s6, exec_lo
	v_cmpx_le_u32_e64 v22, v8
	;; [unrolled: 19-line block ×3, first 2 shown]
	s_cbranch_execz .LBB2490_115
; %bb.114:                              ;   in Loop: Header=BB2490_102 Depth=1
	s_wait_dscnt 0x1
	v_add_co_u32 v13, vcc_lo, v5, v27
	s_wait_alu 0xfffd
	v_add_co_ci_u32_e64 v6, null, 0, v6, vcc_lo
	s_delay_alu instid0(VALU_DEP_2) | instskip(SKIP_2) | instid1(VALU_DEP_2)
	v_add_co_u32 v5, vcc_lo, 0, v13
	s_wait_dscnt 0x0
	s_wait_alu 0xfffd
	v_add_co_ci_u32_e64 v6, null, v14, v6, vcc_lo
.LBB2490_115:                           ;   in Loop: Header=BB2490_102 Depth=1
	s_or_b32 exec_lo, exec_lo, s6
	s_wait_dscnt 0x0
	ds_bpermute_b32 v14, v25, v13
	ds_bpermute_b32 v13, v25, v6
	s_mov_b32 s6, exec_lo
	v_cmpx_le_u32_e64 v26, v8
	s_cbranch_execz .LBB2490_100
; %bb.116:                              ;   in Loop: Header=BB2490_102 Depth=1
	s_wait_dscnt 0x1
	v_add_co_u32 v5, vcc_lo, v5, v14
	s_wait_alu 0xfffd
	v_add_co_ci_u32_e64 v6, null, 0, v6, vcc_lo
	s_delay_alu instid0(VALU_DEP_2) | instskip(SKIP_2) | instid1(VALU_DEP_2)
	v_add_co_u32 v5, vcc_lo, v5, 0
	s_wait_dscnt 0x0
	s_wait_alu 0xfffd
	v_add_co_ci_u32_e64 v6, null, v6, v13, vcc_lo
	s_branch .LBB2490_100
.LBB2490_117:
                                        ; implicit-def: $vgpr39_vgpr40
                                        ; implicit-def: $vgpr1_vgpr2_vgpr3_vgpr4_vgpr5_vgpr6_vgpr7_vgpr8_vgpr9_vgpr10_vgpr11_vgpr12_vgpr13_vgpr14_vgpr15_vgpr16_vgpr17_vgpr18_vgpr19_vgpr20_vgpr21_vgpr22_vgpr23_vgpr24_vgpr25_vgpr26_vgpr27_vgpr28_vgpr29_vgpr30_vgpr31_vgpr32
	s_and_b32 vcc_lo, exec_lo, s1
	s_wait_alu 0xfffe
	s_cbranch_vccnz .LBB2490_123
	s_branch .LBB2490_148
.LBB2490_118:
	s_and_saveexec_b32 s6, s1
	s_cbranch_execz .LBB2490_120
; %bb.119:
	s_add_co_i32 s8, s20, 32
	s_mov_b32 s9, 0
	v_add_co_u32 v5, vcc_lo, v3, v1
	s_wait_alu 0xfffe
	s_lshl_b64 s[8:9], s[8:9], 4
	v_dual_mov_b32 v7, 2 :: v_dual_mov_b32 v8, 0
	s_wait_alu 0xfffe
	s_add_nc_u64 s[8:9], s[14:15], s[8:9]
	s_wait_alu 0xfffd
	v_add_co_ci_u32_e64 v6, null, v4, v2, vcc_lo
	s_wait_alu 0xfffe
	v_dual_mov_b32 v12, s9 :: v_dual_mov_b32 v11, s8
	;;#ASMSTART
	global_store_b128 v[11:12], v[5:8] off scope:SCOPE_DEV	
s_wait_storecnt 0x0
	;;#ASMEND
	ds_store_b128 v8, v[1:4] offset:6144
.LBB2490_120:
	s_or_b32 exec_lo, exec_lo, s6
	s_delay_alu instid0(SALU_CYCLE_1)
	s_and_b32 exec_lo, exec_lo, s2
; %bb.121:
	v_mov_b32_e32 v1, 0
	ds_store_b64 v1, v[3:4] offset:56
.LBB2490_122:
	s_wait_alu 0xfffe
	s_or_b32 exec_lo, exec_lo, s3
	v_mov_b32_e32 v17, 0
	s_wait_loadcnt_dscnt 0x0
	s_barrier_signal -1
	s_barrier_wait -1
	global_inv scope:SCOPE_SE
	ds_load_b64 v[1:2], v17 offset:56
	v_cndmask_b32_e64 v3, v15, v9, s1
	v_cndmask_b32_e64 v4, v16, v10, s1
	s_wait_loadcnt_dscnt 0x0
	s_barrier_signal -1
	s_barrier_wait -1
	v_cndmask_b32_e64 v3, v3, 0, s2
	v_cndmask_b32_e64 v4, v4, 0, s2
	global_inv scope:SCOPE_SE
	ds_load_b128 v[37:40], v17 offset:6144
	v_add_co_u32 v1, vcc_lo, v1, v3
	s_wait_alu 0xfffd
	v_add_co_ci_u32_e64 v2, null, v2, v4, vcc_lo
	s_delay_alu instid0(VALU_DEP_2) | instskip(SKIP_1) | instid1(VALU_DEP_2)
	v_add_co_u32 v3, vcc_lo, v1, v55
	s_wait_alu 0xfffd
	v_add_co_ci_u32_e64 v4, null, 0, v2, vcc_lo
	s_delay_alu instid0(VALU_DEP_2) | instskip(SKIP_1) | instid1(VALU_DEP_2)
	;; [unrolled: 4-line block ×11, first 2 shown]
	v_add_co_u32 v23, vcc_lo, v21, v57
	s_wait_alu 0xfffd
	v_add_co_ci_u32_e64 v24, null, 0, v22, vcc_lo
	s_branch .LBB2490_148
.LBB2490_123:
	v_dual_mov_b32 v2, 0 :: v_dual_mov_b32 v3, v47
	v_mov_b32_dpp v4, v47 row_shr:1 row_mask:0xf bank_mask:0xf
	s_delay_alu instid0(VALU_DEP_2)
	v_mov_b32_dpp v1, v2 row_shr:1 row_mask:0xf bank_mask:0xf
	s_and_saveexec_b32 s1, s0
; %bb.124:
	s_delay_alu instid0(VALU_DEP_2) | instskip(SKIP_2) | instid1(VALU_DEP_2)
	v_add_co_u32 v3, vcc_lo, v47, v4
	s_wait_alu 0xfffd
	v_add_co_ci_u32_e64 v2, null, 0, v48, vcc_lo
	v_add_co_u32 v47, vcc_lo, 0, v3
	s_wait_alu 0xfffd
	s_delay_alu instid0(VALU_DEP_2) | instskip(NEXT) | instid1(VALU_DEP_1)
	v_add_co_ci_u32_e64 v48, null, v1, v2, vcc_lo
	v_mov_b32_e32 v2, v48
; %bb.125:
	s_wait_alu 0xfffe
	s_or_b32 exec_lo, exec_lo, s1
	v_mov_b32_dpp v1, v3 row_shr:2 row_mask:0xf bank_mask:0xf
	s_delay_alu instid0(VALU_DEP_2)
	v_mov_b32_dpp v4, v2 row_shr:2 row_mask:0xf bank_mask:0xf
	s_mov_b32 s0, exec_lo
	v_cmpx_lt_u32_e32 1, v64
; %bb.126:
	s_delay_alu instid0(VALU_DEP_3) | instskip(SKIP_2) | instid1(VALU_DEP_2)
	v_add_co_u32 v3, vcc_lo, v47, v1
	s_wait_alu 0xfffd
	v_add_co_ci_u32_e64 v2, null, 0, v48, vcc_lo
	v_add_co_u32 v1, vcc_lo, 0, v3
	s_wait_alu 0xfffd
	s_delay_alu instid0(VALU_DEP_2) | instskip(NEXT) | instid1(VALU_DEP_1)
	v_add_co_ci_u32_e64 v2, null, v4, v2, vcc_lo
	v_dual_mov_b32 v48, v2 :: v_dual_mov_b32 v47, v1
; %bb.127:
	s_wait_alu 0xfffe
	s_or_b32 exec_lo, exec_lo, s0
	v_mov_b32_dpp v1, v3 row_shr:4 row_mask:0xf bank_mask:0xf
	v_mov_b32_dpp v4, v2 row_shr:4 row_mask:0xf bank_mask:0xf
	s_mov_b32 s0, exec_lo
	v_cmpx_lt_u32_e32 3, v64
; %bb.128:
	s_delay_alu instid0(VALU_DEP_3) | instskip(SKIP_2) | instid1(VALU_DEP_2)
	v_add_co_u32 v3, vcc_lo, v47, v1
	s_wait_alu 0xfffd
	v_add_co_ci_u32_e64 v2, null, 0, v48, vcc_lo
	v_add_co_u32 v1, vcc_lo, 0, v3
	s_wait_alu 0xfffd
	s_delay_alu instid0(VALU_DEP_2) | instskip(NEXT) | instid1(VALU_DEP_1)
	v_add_co_ci_u32_e64 v2, null, v4, v2, vcc_lo
	v_dual_mov_b32 v48, v2 :: v_dual_mov_b32 v47, v1
; %bb.129:
	s_wait_alu 0xfffe
	s_or_b32 exec_lo, exec_lo, s0
	v_mov_b32_dpp v4, v3 row_shr:8 row_mask:0xf bank_mask:0xf
	v_mov_b32_dpp v1, v2 row_shr:8 row_mask:0xf bank_mask:0xf
	s_mov_b32 s0, exec_lo
	v_cmpx_lt_u32_e32 7, v64
; %bb.130:
	s_delay_alu instid0(VALU_DEP_3) | instskip(SKIP_2) | instid1(VALU_DEP_2)
	v_add_co_u32 v3, vcc_lo, v47, v4
	s_wait_alu 0xfffd
	v_add_co_ci_u32_e64 v2, null, 0, v48, vcc_lo
	v_add_co_u32 v47, vcc_lo, 0, v3
	s_wait_alu 0xfffd
	s_delay_alu instid0(VALU_DEP_2) | instskip(NEXT) | instid1(VALU_DEP_1)
	v_add_co_ci_u32_e64 v48, null, v1, v2, vcc_lo
	v_mov_b32_e32 v2, v48
; %bb.131:
	s_wait_alu 0xfffe
	s_or_b32 exec_lo, exec_lo, s0
	ds_swizzle_b32 v3, v3 offset:swizzle(BROADCAST,32,15)
	ds_swizzle_b32 v1, v2 offset:swizzle(BROADCAST,32,15)
	v_and_b32_e32 v2, 16, v63
	s_mov_b32 s0, exec_lo
	s_delay_alu instid0(VALU_DEP_1)
	v_cmpx_ne_u32_e32 0, v2
	s_cbranch_execz .LBB2490_133
; %bb.132:
	s_wait_dscnt 0x1
	v_add_co_u32 v2, vcc_lo, v47, v3
	s_wait_alu 0xfffd
	v_add_co_ci_u32_e64 v3, null, 0, v48, vcc_lo
	s_delay_alu instid0(VALU_DEP_2) | instskip(SKIP_2) | instid1(VALU_DEP_2)
	v_add_co_u32 v47, vcc_lo, v2, 0
	s_wait_dscnt 0x0
	s_wait_alu 0xfffd
	v_add_co_ci_u32_e64 v48, null, v3, v1, vcc_lo
.LBB2490_133:
	s_wait_alu 0xfffe
	s_or_b32 exec_lo, exec_lo, s0
	s_wait_dscnt 0x0
	v_or_b32_e32 v1, 31, v0
	v_lshrrev_b32_e32 v3, 5, v0
	s_mov_b32 s0, exec_lo
	s_delay_alu instid0(VALU_DEP_2)
	v_cmpx_eq_u32_e64 v0, v1
; %bb.134:
	s_delay_alu instid0(VALU_DEP_2)
	v_lshlrev_b32_e32 v1, 3, v3
	ds_store_b64 v1, v[47:48]
; %bb.135:
	s_wait_alu 0xfffe
	s_or_b32 exec_lo, exec_lo, s0
	s_delay_alu instid0(SALU_CYCLE_1)
	s_mov_b32 s0, exec_lo
	s_wait_loadcnt_dscnt 0x0
	s_barrier_signal -1
	s_barrier_wait -1
	global_inv scope:SCOPE_SE
	v_cmpx_gt_u32_e32 8, v0
	s_cbranch_execz .LBB2490_143
; %bb.136:
	v_lshlrev_b32_e32 v4, 2, v0
	s_mov_b32 s1, exec_lo
	s_delay_alu instid0(VALU_DEP_1)
	v_sub_nc_u32_e32 v1, v53, v4
	ds_load_b64 v[1:2], v1
	s_wait_dscnt 0x0
	v_dual_mov_b32 v6, v1 :: v_dual_and_b32 v5, 7, v63
	v_mov_b32_dpp v8, v1 row_shr:1 row_mask:0xf bank_mask:0xf
	v_mov_b32_dpp v7, v2 row_shr:1 row_mask:0xf bank_mask:0xf
	s_delay_alu instid0(VALU_DEP_3)
	v_cmpx_ne_u32_e32 0, v5
; %bb.137:
	s_delay_alu instid0(VALU_DEP_3) | instskip(SKIP_2) | instid1(VALU_DEP_2)
	v_add_co_u32 v6, vcc_lo, v1, v8
	s_wait_alu 0xfffd
	v_add_co_ci_u32_e64 v2, null, 0, v2, vcc_lo
	v_add_co_u32 v1, vcc_lo, 0, v6
	s_wait_alu 0xfffd
	s_delay_alu instid0(VALU_DEP_2)
	v_add_co_ci_u32_e64 v2, null, v7, v2, vcc_lo
; %bb.138:
	s_wait_alu 0xfffe
	s_or_b32 exec_lo, exec_lo, s1
	v_mov_b32_dpp v8, v6 row_shr:2 row_mask:0xf bank_mask:0xf
	s_delay_alu instid0(VALU_DEP_2)
	v_mov_b32_dpp v7, v2 row_shr:2 row_mask:0xf bank_mask:0xf
	s_mov_b32 s1, exec_lo
	v_cmpx_lt_u32_e32 1, v5
; %bb.139:
	s_delay_alu instid0(VALU_DEP_3) | instskip(SKIP_2) | instid1(VALU_DEP_2)
	v_add_co_u32 v6, vcc_lo, v1, v8
	s_wait_alu 0xfffd
	v_add_co_ci_u32_e64 v2, null, 0, v2, vcc_lo
	v_add_co_u32 v1, vcc_lo, 0, v6
	s_wait_alu 0xfffd
	s_delay_alu instid0(VALU_DEP_2)
	v_add_co_ci_u32_e64 v2, null, v7, v2, vcc_lo
; %bb.140:
	s_wait_alu 0xfffe
	s_or_b32 exec_lo, exec_lo, s1
	v_sub_nc_u32_e32 v4, 0, v4
	v_mov_b32_dpp v7, v6 row_shr:4 row_mask:0xf bank_mask:0xf
	v_mov_b32_dpp v6, v2 row_shr:4 row_mask:0xf bank_mask:0xf
	s_mov_b32 s1, exec_lo
	v_cmpx_lt_u32_e32 3, v5
; %bb.141:
	s_delay_alu instid0(VALU_DEP_3) | instskip(SKIP_2) | instid1(VALU_DEP_2)
	v_add_co_u32 v1, vcc_lo, v1, v7
	s_wait_alu 0xfffd
	v_add_co_ci_u32_e64 v2, null, 0, v2, vcc_lo
	v_add_co_u32 v1, vcc_lo, v1, 0
	s_wait_alu 0xfffd
	s_delay_alu instid0(VALU_DEP_2)
	v_add_co_ci_u32_e64 v2, null, v2, v6, vcc_lo
; %bb.142:
	s_wait_alu 0xfffe
	s_or_b32 exec_lo, exec_lo, s1
	v_add_nc_u32_e32 v4, v53, v4
	ds_store_b64 v4, v[1:2]
.LBB2490_143:
	s_wait_alu 0xfffe
	s_or_b32 exec_lo, exec_lo, s0
	v_mov_b32_e32 v1, 0
	v_mov_b32_e32 v2, 0
	s_mov_b32 s0, exec_lo
	s_wait_loadcnt_dscnt 0x0
	s_barrier_signal -1
	s_barrier_wait -1
	global_inv scope:SCOPE_SE
	v_cmpx_lt_u32_e32 31, v0
; %bb.144:
	v_lshl_add_u32 v1, v3, 3, -8
	ds_load_b64 v[1:2], v1
; %bb.145:
	s_wait_alu 0xfffe
	s_or_b32 exec_lo, exec_lo, s0
	v_sub_co_u32 v3, vcc_lo, v63, 1
	v_mov_b32_e32 v40, 0
	s_delay_alu instid0(VALU_DEP_2) | instskip(SKIP_3) | instid1(VALU_DEP_1)
	v_cmp_gt_i32_e64 s0, 0, v3
	ds_load_b64 v[37:38], v40 offset:56
	s_wait_alu 0xf1ff
	v_cndmask_b32_e64 v3, v3, v63, s0
	v_lshlrev_b32_e32 v4, 2, v3
	s_wait_dscnt 0x1
	v_add_co_u32 v3, s0, v1, v47
	s_wait_alu 0xf1ff
	v_add_co_ci_u32_e64 v5, null, v2, v48, s0
	ds_bpermute_b32 v3, v4, v3
	ds_bpermute_b32 v4, v4, v5
	s_and_saveexec_b32 s0, s2
	s_cbranch_execz .LBB2490_147
; %bb.146:
	s_add_nc_u64 s[6:7], s[14:15], 0x200
	v_mov_b32_e32 v39, 2
	v_dual_mov_b32 v5, s6 :: v_dual_mov_b32 v6, s7
	s_wait_dscnt 0x2
	;;#ASMSTART
	global_store_b128 v[5:6], v[37:40] off scope:SCOPE_DEV	
s_wait_storecnt 0x0
	;;#ASMEND
.LBB2490_147:
	s_wait_alu 0xfffe
	s_or_b32 exec_lo, exec_lo, s0
	s_wait_dscnt 0x0
	s_wait_alu 0xfffd
	v_dual_cndmask_b32 v1, v3, v1 :: v_dual_cndmask_b32 v2, v4, v2
	v_mov_b32_e32 v39, 0
	v_mov_b32_e32 v40, 0
	s_wait_loadcnt 0x0
	s_delay_alu instid0(VALU_DEP_3)
	v_cndmask_b32_e64 v1, v1, 0, s2
	v_cndmask_b32_e64 v2, v2, 0, s2
	s_barrier_signal -1
	s_barrier_wait -1
	global_inv scope:SCOPE_SE
	v_add_co_u32 v3, vcc_lo, v1, v55
	s_wait_alu 0xfffd
	v_add_co_ci_u32_e64 v4, null, 0, v2, vcc_lo
	s_delay_alu instid0(VALU_DEP_2) | instskip(SKIP_1) | instid1(VALU_DEP_2)
	v_add_co_u32 v5, vcc_lo, v3, v56
	s_wait_alu 0xfffd
	v_add_co_ci_u32_e64 v6, null, 0, v4, vcc_lo
	s_delay_alu instid0(VALU_DEP_2) | instskip(SKIP_1) | instid1(VALU_DEP_2)
	;; [unrolled: 4-line block ×10, first 2 shown]
	v_add_co_u32 v23, vcc_lo, v21, v57
	s_wait_alu 0xfffd
	v_add_co_ci_u32_e64 v24, null, 0, v22, vcc_lo
.LBB2490_148:
	v_lshrrev_b32_e32 v58, 8, v45
	v_lshrrev_b32_e32 v56, 16, v45
	v_and_b32_e32 v45, 1, v45
	s_wait_dscnt 0x0
	v_cmp_gt_u64_e32 vcc_lo, 0x101, v[37:38]
	v_lshlrev_b64_e32 v[25:26], 1, v[41:42]
	v_lshrrev_b32_e32 v53, 8, v46
	v_lshrrev_b32_e32 v48, 16, v46
	;; [unrolled: 1-line block ×10, first 2 shown]
	v_cmp_eq_u32_e64 s0, 1, v45
	s_mov_b32 s1, -1
	s_cbranch_vccnz .LBB2490_152
; %bb.149:
	s_wait_alu 0xfffe
	s_and_b32 vcc_lo, exec_lo, s1
	s_wait_alu 0xfffe
	s_cbranch_vccnz .LBB2490_177
.LBB2490_150:
	s_and_b32 s0, s2, s18
	s_wait_alu 0xfffe
	s_and_saveexec_b32 s1, s0
	s_cbranch_execnz .LBB2490_204
.LBB2490_151:
	s_endpgm
.LBB2490_152:
	v_add_co_u32 v27, vcc_lo, v39, v37
	s_wait_alu 0xfffd
	v_add_co_ci_u32_e64 v28, null, v40, v38, vcc_lo
	v_add_co_u32 v59, s1, s12, v25
	s_wait_alu 0xf1fe
	v_add_co_ci_u32_e64 v60, null, s13, v26, s1
	s_delay_alu instid0(VALU_DEP_3)
	v_cmp_lt_u64_e32 vcc_lo, v[1:2], v[27:28]
	s_or_b32 s1, s19, vcc_lo
	s_wait_alu 0xfffe
	s_and_b32 s1, s1, s0
	s_wait_alu 0xfffe
	s_and_saveexec_b32 s0, s1
	s_cbranch_execz .LBB2490_154
; %bb.153:
	v_lshlrev_b64_e32 v[61:62], 1, v[1:2]
	s_delay_alu instid0(VALU_DEP_1) | instskip(SKIP_1) | instid1(VALU_DEP_2)
	v_add_co_u32 v61, vcc_lo, v59, v61
	s_wait_alu 0xfffd
	v_add_co_ci_u32_e64 v62, null, v60, v62, vcc_lo
	global_store_b16 v[61:62], v33, off
.LBB2490_154:
	s_wait_alu 0xfffe
	s_or_b32 exec_lo, exec_lo, s0
	v_and_b32_e32 v2, 1, v58
	v_cmp_lt_u64_e32 vcc_lo, v[3:4], v[27:28]
	s_delay_alu instid0(VALU_DEP_2)
	v_cmp_eq_u32_e64 s0, 1, v2
	s_or_b32 s1, s19, vcc_lo
	s_wait_alu 0xfffe
	s_and_b32 s1, s1, s0
	s_wait_alu 0xfffe
	s_and_saveexec_b32 s0, s1
	s_cbranch_execz .LBB2490_156
; %bb.155:
	v_lshlrev_b64_e32 v[61:62], 1, v[3:4]
	s_delay_alu instid0(VALU_DEP_1) | instskip(SKIP_1) | instid1(VALU_DEP_2)
	v_add_co_u32 v61, vcc_lo, v59, v61
	s_wait_alu 0xfffd
	v_add_co_ci_u32_e64 v62, null, v60, v62, vcc_lo
	global_store_b16 v[61:62], v57, off
.LBB2490_156:
	s_wait_alu 0xfffe
	s_or_b32 exec_lo, exec_lo, s0
	v_and_b32_e32 v2, 1, v56
	v_cmp_lt_u64_e32 vcc_lo, v[5:6], v[27:28]
	s_delay_alu instid0(VALU_DEP_2)
	v_cmp_eq_u32_e64 s0, 1, v2
	;; [unrolled: 20-line block ×11, first 2 shown]
	s_or_b32 s1, s19, vcc_lo
	s_wait_alu 0xfffe
	s_and_b32 s1, s1, s0
	s_wait_alu 0xfffe
	s_and_saveexec_b32 s0, s1
	s_cbranch_execz .LBB2490_176
; %bb.175:
	v_lshlrev_b64_e32 v[27:28], 1, v[23:24]
	s_delay_alu instid0(VALU_DEP_1) | instskip(SKIP_1) | instid1(VALU_DEP_2)
	v_add_co_u32 v27, vcc_lo, v59, v27
	s_wait_alu 0xfffd
	v_add_co_ci_u32_e64 v28, null, v60, v28, vcc_lo
	global_store_b16 v[27:28], v29, off
.LBB2490_176:
	s_wait_alu 0xfffe
	s_or_b32 exec_lo, exec_lo, s0
	s_branch .LBB2490_150
.LBB2490_177:
	s_mov_b32 s0, exec_lo
	v_cmpx_eq_u32_e32 1, v45
; %bb.178:
	v_sub_nc_u32_e32 v1, v1, v39
	s_delay_alu instid0(VALU_DEP_1)
	v_lshlrev_b32_e32 v1, 1, v1
	ds_store_b16 v1, v33
; %bb.179:
	s_wait_alu 0xfffe
	s_or_b32 exec_lo, exec_lo, s0
	v_and_b32_e32 v1, 1, v58
	s_mov_b32 s0, exec_lo
	s_delay_alu instid0(VALU_DEP_1)
	v_cmpx_eq_u32_e32 1, v1
; %bb.180:
	v_sub_nc_u32_e32 v1, v3, v39
	s_delay_alu instid0(VALU_DEP_1)
	v_lshlrev_b32_e32 v1, 1, v1
	ds_store_b16 v1, v57
; %bb.181:
	s_wait_alu 0xfffe
	s_or_b32 exec_lo, exec_lo, s0
	v_and_b32_e32 v1, 1, v56
	s_mov_b32 s0, exec_lo
	s_delay_alu instid0(VALU_DEP_1)
	;; [unrolled: 12-line block ×11, first 2 shown]
	v_cmpx_eq_u32_e32 1, v1
; %bb.200:
	v_sub_nc_u32_e32 v1, v23, v39
	s_delay_alu instid0(VALU_DEP_1)
	v_lshlrev_b32_e32 v1, 1, v1
	ds_store_b16 v1, v29
; %bb.201:
	s_wait_alu 0xfffe
	s_or_b32 exec_lo, exec_lo, s0
	v_lshlrev_b64_e32 v[2:3], 1, v[39:40]
	v_mov_b32_e32 v1, 0
	s_mov_b32 s1, 0
	s_wait_storecnt 0x0
	s_wait_loadcnt_dscnt 0x0
	s_barrier_signal -1
	s_barrier_wait -1
	v_add_co_u32 v4, vcc_lo, s12, v2
	s_wait_alu 0xfffd
	v_add_co_ci_u32_e64 v5, null, s13, v3, vcc_lo
	v_dual_mov_b32 v3, v1 :: v_dual_mov_b32 v2, v0
	s_delay_alu instid0(VALU_DEP_3) | instskip(SKIP_1) | instid1(VALU_DEP_3)
	v_add_co_u32 v4, vcc_lo, v4, v25
	s_wait_alu 0xfffd
	v_add_co_ci_u32_e64 v5, null, v5, v26, vcc_lo
	v_or_b32_e32 v0, 0x100, v0
	global_inv scope:SCOPE_SE
.LBB2490_202:                           ; =>This Inner Loop Header: Depth=1
	v_lshlrev_b32_e32 v6, 1, v2
	v_cmp_le_u64_e32 vcc_lo, v[37:38], v[0:1]
	ds_load_u16 v8, v6
	v_lshlrev_b64_e32 v[6:7], 1, v[2:3]
	v_dual_mov_b32 v3, v1 :: v_dual_mov_b32 v2, v0
	v_add_nc_u32_e32 v0, 0x100, v0
	s_wait_alu 0xfffe
	s_or_b32 s1, vcc_lo, s1
	s_delay_alu instid0(VALU_DEP_3)
	v_add_co_u32 v6, s0, v4, v6
	s_wait_alu 0xf1ff
	v_add_co_ci_u32_e64 v7, null, v5, v7, s0
	s_wait_dscnt 0x0
	global_store_b16 v[6:7], v8, off
	s_wait_alu 0xfffe
	s_and_not1_b32 exec_lo, exec_lo, s1
	s_cbranch_execnz .LBB2490_202
; %bb.203:
	s_or_b32 exec_lo, exec_lo, s1
	s_and_b32 s0, s2, s18
	s_wait_alu 0xfffe
	s_and_saveexec_b32 s1, s0
	s_cbranch_execz .LBB2490_151
.LBB2490_204:
	v_add_co_u32 v0, vcc_lo, v39, v37
	s_wait_alu 0xfffd
	v_add_co_ci_u32_e64 v1, null, v40, v38, vcc_lo
	v_mov_b32_e32 v2, 0
	s_delay_alu instid0(VALU_DEP_3) | instskip(SKIP_1) | instid1(VALU_DEP_3)
	v_add_co_u32 v0, vcc_lo, v0, v41
	s_wait_alu 0xfffd
	v_add_co_ci_u32_e64 v1, null, v1, v42, vcc_lo
	global_store_b64 v2, v[0:1], s[4:5]
	s_endpgm
	.section	.rodata,"a",@progbits
	.p2align	6, 0x0
	.amdhsa_kernel _ZN7rocprim17ROCPRIM_400000_NS6detail17trampoline_kernelINS0_14default_configENS1_25partition_config_selectorILNS1_17partition_subalgoE5EtNS0_10empty_typeEbEEZZNS1_14partition_implILS5_5ELb0ES3_mN6thrust23THRUST_200600_302600_NS6detail15normal_iteratorINSA_10device_ptrItEEEEPS6_NSA_18transform_iteratorINSB_9not_fun_tI7is_trueItEEENSC_INSD_IbEEEENSA_11use_defaultESO_EENS0_5tupleIJSF_S6_EEENSQ_IJSG_SG_EEES6_PlJS6_EEE10hipError_tPvRmT3_T4_T5_T6_T7_T9_mT8_P12ihipStream_tbDpT10_ENKUlT_T0_E_clISt17integral_constantIbLb0EES1C_IbLb1EEEEDaS18_S19_EUlS18_E_NS1_11comp_targetILNS1_3genE10ELNS1_11target_archE1200ELNS1_3gpuE4ELNS1_3repE0EEENS1_30default_config_static_selectorELNS0_4arch9wavefront6targetE0EEEvT1_
		.amdhsa_group_segment_fixed_size 6160
		.amdhsa_private_segment_fixed_size 0
		.amdhsa_kernarg_size 136
		.amdhsa_user_sgpr_count 2
		.amdhsa_user_sgpr_dispatch_ptr 0
		.amdhsa_user_sgpr_queue_ptr 0
		.amdhsa_user_sgpr_kernarg_segment_ptr 1
		.amdhsa_user_sgpr_dispatch_id 0
		.amdhsa_user_sgpr_private_segment_size 0
		.amdhsa_wavefront_size32 1
		.amdhsa_uses_dynamic_stack 0
		.amdhsa_enable_private_segment 0
		.amdhsa_system_sgpr_workgroup_id_x 1
		.amdhsa_system_sgpr_workgroup_id_y 0
		.amdhsa_system_sgpr_workgroup_id_z 0
		.amdhsa_system_sgpr_workgroup_info 0
		.amdhsa_system_vgpr_workitem_id 0
		.amdhsa_next_free_vgpr 65
		.amdhsa_next_free_sgpr 24
		.amdhsa_reserve_vcc 1
		.amdhsa_float_round_mode_32 0
		.amdhsa_float_round_mode_16_64 0
		.amdhsa_float_denorm_mode_32 3
		.amdhsa_float_denorm_mode_16_64 3
		.amdhsa_fp16_overflow 0
		.amdhsa_workgroup_processor_mode 1
		.amdhsa_memory_ordered 1
		.amdhsa_forward_progress 1
		.amdhsa_inst_pref_size 81
		.amdhsa_round_robin_scheduling 0
		.amdhsa_exception_fp_ieee_invalid_op 0
		.amdhsa_exception_fp_denorm_src 0
		.amdhsa_exception_fp_ieee_div_zero 0
		.amdhsa_exception_fp_ieee_overflow 0
		.amdhsa_exception_fp_ieee_underflow 0
		.amdhsa_exception_fp_ieee_inexact 0
		.amdhsa_exception_int_div_zero 0
	.end_amdhsa_kernel
	.section	.text._ZN7rocprim17ROCPRIM_400000_NS6detail17trampoline_kernelINS0_14default_configENS1_25partition_config_selectorILNS1_17partition_subalgoE5EtNS0_10empty_typeEbEEZZNS1_14partition_implILS5_5ELb0ES3_mN6thrust23THRUST_200600_302600_NS6detail15normal_iteratorINSA_10device_ptrItEEEEPS6_NSA_18transform_iteratorINSB_9not_fun_tI7is_trueItEEENSC_INSD_IbEEEENSA_11use_defaultESO_EENS0_5tupleIJSF_S6_EEENSQ_IJSG_SG_EEES6_PlJS6_EEE10hipError_tPvRmT3_T4_T5_T6_T7_T9_mT8_P12ihipStream_tbDpT10_ENKUlT_T0_E_clISt17integral_constantIbLb0EES1C_IbLb1EEEEDaS18_S19_EUlS18_E_NS1_11comp_targetILNS1_3genE10ELNS1_11target_archE1200ELNS1_3gpuE4ELNS1_3repE0EEENS1_30default_config_static_selectorELNS0_4arch9wavefront6targetE0EEEvT1_,"axG",@progbits,_ZN7rocprim17ROCPRIM_400000_NS6detail17trampoline_kernelINS0_14default_configENS1_25partition_config_selectorILNS1_17partition_subalgoE5EtNS0_10empty_typeEbEEZZNS1_14partition_implILS5_5ELb0ES3_mN6thrust23THRUST_200600_302600_NS6detail15normal_iteratorINSA_10device_ptrItEEEEPS6_NSA_18transform_iteratorINSB_9not_fun_tI7is_trueItEEENSC_INSD_IbEEEENSA_11use_defaultESO_EENS0_5tupleIJSF_S6_EEENSQ_IJSG_SG_EEES6_PlJS6_EEE10hipError_tPvRmT3_T4_T5_T6_T7_T9_mT8_P12ihipStream_tbDpT10_ENKUlT_T0_E_clISt17integral_constantIbLb0EES1C_IbLb1EEEEDaS18_S19_EUlS18_E_NS1_11comp_targetILNS1_3genE10ELNS1_11target_archE1200ELNS1_3gpuE4ELNS1_3repE0EEENS1_30default_config_static_selectorELNS0_4arch9wavefront6targetE0EEEvT1_,comdat
.Lfunc_end2490:
	.size	_ZN7rocprim17ROCPRIM_400000_NS6detail17trampoline_kernelINS0_14default_configENS1_25partition_config_selectorILNS1_17partition_subalgoE5EtNS0_10empty_typeEbEEZZNS1_14partition_implILS5_5ELb0ES3_mN6thrust23THRUST_200600_302600_NS6detail15normal_iteratorINSA_10device_ptrItEEEEPS6_NSA_18transform_iteratorINSB_9not_fun_tI7is_trueItEEENSC_INSD_IbEEEENSA_11use_defaultESO_EENS0_5tupleIJSF_S6_EEENSQ_IJSG_SG_EEES6_PlJS6_EEE10hipError_tPvRmT3_T4_T5_T6_T7_T9_mT8_P12ihipStream_tbDpT10_ENKUlT_T0_E_clISt17integral_constantIbLb0EES1C_IbLb1EEEEDaS18_S19_EUlS18_E_NS1_11comp_targetILNS1_3genE10ELNS1_11target_archE1200ELNS1_3gpuE4ELNS1_3repE0EEENS1_30default_config_static_selectorELNS0_4arch9wavefront6targetE0EEEvT1_, .Lfunc_end2490-_ZN7rocprim17ROCPRIM_400000_NS6detail17trampoline_kernelINS0_14default_configENS1_25partition_config_selectorILNS1_17partition_subalgoE5EtNS0_10empty_typeEbEEZZNS1_14partition_implILS5_5ELb0ES3_mN6thrust23THRUST_200600_302600_NS6detail15normal_iteratorINSA_10device_ptrItEEEEPS6_NSA_18transform_iteratorINSB_9not_fun_tI7is_trueItEEENSC_INSD_IbEEEENSA_11use_defaultESO_EENS0_5tupleIJSF_S6_EEENSQ_IJSG_SG_EEES6_PlJS6_EEE10hipError_tPvRmT3_T4_T5_T6_T7_T9_mT8_P12ihipStream_tbDpT10_ENKUlT_T0_E_clISt17integral_constantIbLb0EES1C_IbLb1EEEEDaS18_S19_EUlS18_E_NS1_11comp_targetILNS1_3genE10ELNS1_11target_archE1200ELNS1_3gpuE4ELNS1_3repE0EEENS1_30default_config_static_selectorELNS0_4arch9wavefront6targetE0EEEvT1_
                                        ; -- End function
	.set _ZN7rocprim17ROCPRIM_400000_NS6detail17trampoline_kernelINS0_14default_configENS1_25partition_config_selectorILNS1_17partition_subalgoE5EtNS0_10empty_typeEbEEZZNS1_14partition_implILS5_5ELb0ES3_mN6thrust23THRUST_200600_302600_NS6detail15normal_iteratorINSA_10device_ptrItEEEEPS6_NSA_18transform_iteratorINSB_9not_fun_tI7is_trueItEEENSC_INSD_IbEEEENSA_11use_defaultESO_EENS0_5tupleIJSF_S6_EEENSQ_IJSG_SG_EEES6_PlJS6_EEE10hipError_tPvRmT3_T4_T5_T6_T7_T9_mT8_P12ihipStream_tbDpT10_ENKUlT_T0_E_clISt17integral_constantIbLb0EES1C_IbLb1EEEEDaS18_S19_EUlS18_E_NS1_11comp_targetILNS1_3genE10ELNS1_11target_archE1200ELNS1_3gpuE4ELNS1_3repE0EEENS1_30default_config_static_selectorELNS0_4arch9wavefront6targetE0EEEvT1_.num_vgpr, 65
	.set _ZN7rocprim17ROCPRIM_400000_NS6detail17trampoline_kernelINS0_14default_configENS1_25partition_config_selectorILNS1_17partition_subalgoE5EtNS0_10empty_typeEbEEZZNS1_14partition_implILS5_5ELb0ES3_mN6thrust23THRUST_200600_302600_NS6detail15normal_iteratorINSA_10device_ptrItEEEEPS6_NSA_18transform_iteratorINSB_9not_fun_tI7is_trueItEEENSC_INSD_IbEEEENSA_11use_defaultESO_EENS0_5tupleIJSF_S6_EEENSQ_IJSG_SG_EEES6_PlJS6_EEE10hipError_tPvRmT3_T4_T5_T6_T7_T9_mT8_P12ihipStream_tbDpT10_ENKUlT_T0_E_clISt17integral_constantIbLb0EES1C_IbLb1EEEEDaS18_S19_EUlS18_E_NS1_11comp_targetILNS1_3genE10ELNS1_11target_archE1200ELNS1_3gpuE4ELNS1_3repE0EEENS1_30default_config_static_selectorELNS0_4arch9wavefront6targetE0EEEvT1_.num_agpr, 0
	.set _ZN7rocprim17ROCPRIM_400000_NS6detail17trampoline_kernelINS0_14default_configENS1_25partition_config_selectorILNS1_17partition_subalgoE5EtNS0_10empty_typeEbEEZZNS1_14partition_implILS5_5ELb0ES3_mN6thrust23THRUST_200600_302600_NS6detail15normal_iteratorINSA_10device_ptrItEEEEPS6_NSA_18transform_iteratorINSB_9not_fun_tI7is_trueItEEENSC_INSD_IbEEEENSA_11use_defaultESO_EENS0_5tupleIJSF_S6_EEENSQ_IJSG_SG_EEES6_PlJS6_EEE10hipError_tPvRmT3_T4_T5_T6_T7_T9_mT8_P12ihipStream_tbDpT10_ENKUlT_T0_E_clISt17integral_constantIbLb0EES1C_IbLb1EEEEDaS18_S19_EUlS18_E_NS1_11comp_targetILNS1_3genE10ELNS1_11target_archE1200ELNS1_3gpuE4ELNS1_3repE0EEENS1_30default_config_static_selectorELNS0_4arch9wavefront6targetE0EEEvT1_.numbered_sgpr, 24
	.set _ZN7rocprim17ROCPRIM_400000_NS6detail17trampoline_kernelINS0_14default_configENS1_25partition_config_selectorILNS1_17partition_subalgoE5EtNS0_10empty_typeEbEEZZNS1_14partition_implILS5_5ELb0ES3_mN6thrust23THRUST_200600_302600_NS6detail15normal_iteratorINSA_10device_ptrItEEEEPS6_NSA_18transform_iteratorINSB_9not_fun_tI7is_trueItEEENSC_INSD_IbEEEENSA_11use_defaultESO_EENS0_5tupleIJSF_S6_EEENSQ_IJSG_SG_EEES6_PlJS6_EEE10hipError_tPvRmT3_T4_T5_T6_T7_T9_mT8_P12ihipStream_tbDpT10_ENKUlT_T0_E_clISt17integral_constantIbLb0EES1C_IbLb1EEEEDaS18_S19_EUlS18_E_NS1_11comp_targetILNS1_3genE10ELNS1_11target_archE1200ELNS1_3gpuE4ELNS1_3repE0EEENS1_30default_config_static_selectorELNS0_4arch9wavefront6targetE0EEEvT1_.num_named_barrier, 0
	.set _ZN7rocprim17ROCPRIM_400000_NS6detail17trampoline_kernelINS0_14default_configENS1_25partition_config_selectorILNS1_17partition_subalgoE5EtNS0_10empty_typeEbEEZZNS1_14partition_implILS5_5ELb0ES3_mN6thrust23THRUST_200600_302600_NS6detail15normal_iteratorINSA_10device_ptrItEEEEPS6_NSA_18transform_iteratorINSB_9not_fun_tI7is_trueItEEENSC_INSD_IbEEEENSA_11use_defaultESO_EENS0_5tupleIJSF_S6_EEENSQ_IJSG_SG_EEES6_PlJS6_EEE10hipError_tPvRmT3_T4_T5_T6_T7_T9_mT8_P12ihipStream_tbDpT10_ENKUlT_T0_E_clISt17integral_constantIbLb0EES1C_IbLb1EEEEDaS18_S19_EUlS18_E_NS1_11comp_targetILNS1_3genE10ELNS1_11target_archE1200ELNS1_3gpuE4ELNS1_3repE0EEENS1_30default_config_static_selectorELNS0_4arch9wavefront6targetE0EEEvT1_.private_seg_size, 0
	.set _ZN7rocprim17ROCPRIM_400000_NS6detail17trampoline_kernelINS0_14default_configENS1_25partition_config_selectorILNS1_17partition_subalgoE5EtNS0_10empty_typeEbEEZZNS1_14partition_implILS5_5ELb0ES3_mN6thrust23THRUST_200600_302600_NS6detail15normal_iteratorINSA_10device_ptrItEEEEPS6_NSA_18transform_iteratorINSB_9not_fun_tI7is_trueItEEENSC_INSD_IbEEEENSA_11use_defaultESO_EENS0_5tupleIJSF_S6_EEENSQ_IJSG_SG_EEES6_PlJS6_EEE10hipError_tPvRmT3_T4_T5_T6_T7_T9_mT8_P12ihipStream_tbDpT10_ENKUlT_T0_E_clISt17integral_constantIbLb0EES1C_IbLb1EEEEDaS18_S19_EUlS18_E_NS1_11comp_targetILNS1_3genE10ELNS1_11target_archE1200ELNS1_3gpuE4ELNS1_3repE0EEENS1_30default_config_static_selectorELNS0_4arch9wavefront6targetE0EEEvT1_.uses_vcc, 1
	.set _ZN7rocprim17ROCPRIM_400000_NS6detail17trampoline_kernelINS0_14default_configENS1_25partition_config_selectorILNS1_17partition_subalgoE5EtNS0_10empty_typeEbEEZZNS1_14partition_implILS5_5ELb0ES3_mN6thrust23THRUST_200600_302600_NS6detail15normal_iteratorINSA_10device_ptrItEEEEPS6_NSA_18transform_iteratorINSB_9not_fun_tI7is_trueItEEENSC_INSD_IbEEEENSA_11use_defaultESO_EENS0_5tupleIJSF_S6_EEENSQ_IJSG_SG_EEES6_PlJS6_EEE10hipError_tPvRmT3_T4_T5_T6_T7_T9_mT8_P12ihipStream_tbDpT10_ENKUlT_T0_E_clISt17integral_constantIbLb0EES1C_IbLb1EEEEDaS18_S19_EUlS18_E_NS1_11comp_targetILNS1_3genE10ELNS1_11target_archE1200ELNS1_3gpuE4ELNS1_3repE0EEENS1_30default_config_static_selectorELNS0_4arch9wavefront6targetE0EEEvT1_.uses_flat_scratch, 1
	.set _ZN7rocprim17ROCPRIM_400000_NS6detail17trampoline_kernelINS0_14default_configENS1_25partition_config_selectorILNS1_17partition_subalgoE5EtNS0_10empty_typeEbEEZZNS1_14partition_implILS5_5ELb0ES3_mN6thrust23THRUST_200600_302600_NS6detail15normal_iteratorINSA_10device_ptrItEEEEPS6_NSA_18transform_iteratorINSB_9not_fun_tI7is_trueItEEENSC_INSD_IbEEEENSA_11use_defaultESO_EENS0_5tupleIJSF_S6_EEENSQ_IJSG_SG_EEES6_PlJS6_EEE10hipError_tPvRmT3_T4_T5_T6_T7_T9_mT8_P12ihipStream_tbDpT10_ENKUlT_T0_E_clISt17integral_constantIbLb0EES1C_IbLb1EEEEDaS18_S19_EUlS18_E_NS1_11comp_targetILNS1_3genE10ELNS1_11target_archE1200ELNS1_3gpuE4ELNS1_3repE0EEENS1_30default_config_static_selectorELNS0_4arch9wavefront6targetE0EEEvT1_.has_dyn_sized_stack, 0
	.set _ZN7rocprim17ROCPRIM_400000_NS6detail17trampoline_kernelINS0_14default_configENS1_25partition_config_selectorILNS1_17partition_subalgoE5EtNS0_10empty_typeEbEEZZNS1_14partition_implILS5_5ELb0ES3_mN6thrust23THRUST_200600_302600_NS6detail15normal_iteratorINSA_10device_ptrItEEEEPS6_NSA_18transform_iteratorINSB_9not_fun_tI7is_trueItEEENSC_INSD_IbEEEENSA_11use_defaultESO_EENS0_5tupleIJSF_S6_EEENSQ_IJSG_SG_EEES6_PlJS6_EEE10hipError_tPvRmT3_T4_T5_T6_T7_T9_mT8_P12ihipStream_tbDpT10_ENKUlT_T0_E_clISt17integral_constantIbLb0EES1C_IbLb1EEEEDaS18_S19_EUlS18_E_NS1_11comp_targetILNS1_3genE10ELNS1_11target_archE1200ELNS1_3gpuE4ELNS1_3repE0EEENS1_30default_config_static_selectorELNS0_4arch9wavefront6targetE0EEEvT1_.has_recursion, 0
	.set _ZN7rocprim17ROCPRIM_400000_NS6detail17trampoline_kernelINS0_14default_configENS1_25partition_config_selectorILNS1_17partition_subalgoE5EtNS0_10empty_typeEbEEZZNS1_14partition_implILS5_5ELb0ES3_mN6thrust23THRUST_200600_302600_NS6detail15normal_iteratorINSA_10device_ptrItEEEEPS6_NSA_18transform_iteratorINSB_9not_fun_tI7is_trueItEEENSC_INSD_IbEEEENSA_11use_defaultESO_EENS0_5tupleIJSF_S6_EEENSQ_IJSG_SG_EEES6_PlJS6_EEE10hipError_tPvRmT3_T4_T5_T6_T7_T9_mT8_P12ihipStream_tbDpT10_ENKUlT_T0_E_clISt17integral_constantIbLb0EES1C_IbLb1EEEEDaS18_S19_EUlS18_E_NS1_11comp_targetILNS1_3genE10ELNS1_11target_archE1200ELNS1_3gpuE4ELNS1_3repE0EEENS1_30default_config_static_selectorELNS0_4arch9wavefront6targetE0EEEvT1_.has_indirect_call, 0
	.section	.AMDGPU.csdata,"",@progbits
; Kernel info:
; codeLenInByte = 10336
; TotalNumSgprs: 26
; NumVgprs: 65
; ScratchSize: 0
; MemoryBound: 0
; FloatMode: 240
; IeeeMode: 1
; LDSByteSize: 6160 bytes/workgroup (compile time only)
; SGPRBlocks: 0
; VGPRBlocks: 8
; NumSGPRsForWavesPerEU: 26
; NumVGPRsForWavesPerEU: 65
; Occupancy: 16
; WaveLimiterHint : 1
; COMPUTE_PGM_RSRC2:SCRATCH_EN: 0
; COMPUTE_PGM_RSRC2:USER_SGPR: 2
; COMPUTE_PGM_RSRC2:TRAP_HANDLER: 0
; COMPUTE_PGM_RSRC2:TGID_X_EN: 1
; COMPUTE_PGM_RSRC2:TGID_Y_EN: 0
; COMPUTE_PGM_RSRC2:TGID_Z_EN: 0
; COMPUTE_PGM_RSRC2:TIDIG_COMP_CNT: 0
	.section	.text._ZN7rocprim17ROCPRIM_400000_NS6detail17trampoline_kernelINS0_14default_configENS1_25partition_config_selectorILNS1_17partition_subalgoE5EtNS0_10empty_typeEbEEZZNS1_14partition_implILS5_5ELb0ES3_mN6thrust23THRUST_200600_302600_NS6detail15normal_iteratorINSA_10device_ptrItEEEEPS6_NSA_18transform_iteratorINSB_9not_fun_tI7is_trueItEEENSC_INSD_IbEEEENSA_11use_defaultESO_EENS0_5tupleIJSF_S6_EEENSQ_IJSG_SG_EEES6_PlJS6_EEE10hipError_tPvRmT3_T4_T5_T6_T7_T9_mT8_P12ihipStream_tbDpT10_ENKUlT_T0_E_clISt17integral_constantIbLb0EES1C_IbLb1EEEEDaS18_S19_EUlS18_E_NS1_11comp_targetILNS1_3genE9ELNS1_11target_archE1100ELNS1_3gpuE3ELNS1_3repE0EEENS1_30default_config_static_selectorELNS0_4arch9wavefront6targetE0EEEvT1_,"axG",@progbits,_ZN7rocprim17ROCPRIM_400000_NS6detail17trampoline_kernelINS0_14default_configENS1_25partition_config_selectorILNS1_17partition_subalgoE5EtNS0_10empty_typeEbEEZZNS1_14partition_implILS5_5ELb0ES3_mN6thrust23THRUST_200600_302600_NS6detail15normal_iteratorINSA_10device_ptrItEEEEPS6_NSA_18transform_iteratorINSB_9not_fun_tI7is_trueItEEENSC_INSD_IbEEEENSA_11use_defaultESO_EENS0_5tupleIJSF_S6_EEENSQ_IJSG_SG_EEES6_PlJS6_EEE10hipError_tPvRmT3_T4_T5_T6_T7_T9_mT8_P12ihipStream_tbDpT10_ENKUlT_T0_E_clISt17integral_constantIbLb0EES1C_IbLb1EEEEDaS18_S19_EUlS18_E_NS1_11comp_targetILNS1_3genE9ELNS1_11target_archE1100ELNS1_3gpuE3ELNS1_3repE0EEENS1_30default_config_static_selectorELNS0_4arch9wavefront6targetE0EEEvT1_,comdat
	.protected	_ZN7rocprim17ROCPRIM_400000_NS6detail17trampoline_kernelINS0_14default_configENS1_25partition_config_selectorILNS1_17partition_subalgoE5EtNS0_10empty_typeEbEEZZNS1_14partition_implILS5_5ELb0ES3_mN6thrust23THRUST_200600_302600_NS6detail15normal_iteratorINSA_10device_ptrItEEEEPS6_NSA_18transform_iteratorINSB_9not_fun_tI7is_trueItEEENSC_INSD_IbEEEENSA_11use_defaultESO_EENS0_5tupleIJSF_S6_EEENSQ_IJSG_SG_EEES6_PlJS6_EEE10hipError_tPvRmT3_T4_T5_T6_T7_T9_mT8_P12ihipStream_tbDpT10_ENKUlT_T0_E_clISt17integral_constantIbLb0EES1C_IbLb1EEEEDaS18_S19_EUlS18_E_NS1_11comp_targetILNS1_3genE9ELNS1_11target_archE1100ELNS1_3gpuE3ELNS1_3repE0EEENS1_30default_config_static_selectorELNS0_4arch9wavefront6targetE0EEEvT1_ ; -- Begin function _ZN7rocprim17ROCPRIM_400000_NS6detail17trampoline_kernelINS0_14default_configENS1_25partition_config_selectorILNS1_17partition_subalgoE5EtNS0_10empty_typeEbEEZZNS1_14partition_implILS5_5ELb0ES3_mN6thrust23THRUST_200600_302600_NS6detail15normal_iteratorINSA_10device_ptrItEEEEPS6_NSA_18transform_iteratorINSB_9not_fun_tI7is_trueItEEENSC_INSD_IbEEEENSA_11use_defaultESO_EENS0_5tupleIJSF_S6_EEENSQ_IJSG_SG_EEES6_PlJS6_EEE10hipError_tPvRmT3_T4_T5_T6_T7_T9_mT8_P12ihipStream_tbDpT10_ENKUlT_T0_E_clISt17integral_constantIbLb0EES1C_IbLb1EEEEDaS18_S19_EUlS18_E_NS1_11comp_targetILNS1_3genE9ELNS1_11target_archE1100ELNS1_3gpuE3ELNS1_3repE0EEENS1_30default_config_static_selectorELNS0_4arch9wavefront6targetE0EEEvT1_
	.globl	_ZN7rocprim17ROCPRIM_400000_NS6detail17trampoline_kernelINS0_14default_configENS1_25partition_config_selectorILNS1_17partition_subalgoE5EtNS0_10empty_typeEbEEZZNS1_14partition_implILS5_5ELb0ES3_mN6thrust23THRUST_200600_302600_NS6detail15normal_iteratorINSA_10device_ptrItEEEEPS6_NSA_18transform_iteratorINSB_9not_fun_tI7is_trueItEEENSC_INSD_IbEEEENSA_11use_defaultESO_EENS0_5tupleIJSF_S6_EEENSQ_IJSG_SG_EEES6_PlJS6_EEE10hipError_tPvRmT3_T4_T5_T6_T7_T9_mT8_P12ihipStream_tbDpT10_ENKUlT_T0_E_clISt17integral_constantIbLb0EES1C_IbLb1EEEEDaS18_S19_EUlS18_E_NS1_11comp_targetILNS1_3genE9ELNS1_11target_archE1100ELNS1_3gpuE3ELNS1_3repE0EEENS1_30default_config_static_selectorELNS0_4arch9wavefront6targetE0EEEvT1_
	.p2align	8
	.type	_ZN7rocprim17ROCPRIM_400000_NS6detail17trampoline_kernelINS0_14default_configENS1_25partition_config_selectorILNS1_17partition_subalgoE5EtNS0_10empty_typeEbEEZZNS1_14partition_implILS5_5ELb0ES3_mN6thrust23THRUST_200600_302600_NS6detail15normal_iteratorINSA_10device_ptrItEEEEPS6_NSA_18transform_iteratorINSB_9not_fun_tI7is_trueItEEENSC_INSD_IbEEEENSA_11use_defaultESO_EENS0_5tupleIJSF_S6_EEENSQ_IJSG_SG_EEES6_PlJS6_EEE10hipError_tPvRmT3_T4_T5_T6_T7_T9_mT8_P12ihipStream_tbDpT10_ENKUlT_T0_E_clISt17integral_constantIbLb0EES1C_IbLb1EEEEDaS18_S19_EUlS18_E_NS1_11comp_targetILNS1_3genE9ELNS1_11target_archE1100ELNS1_3gpuE3ELNS1_3repE0EEENS1_30default_config_static_selectorELNS0_4arch9wavefront6targetE0EEEvT1_,@function
_ZN7rocprim17ROCPRIM_400000_NS6detail17trampoline_kernelINS0_14default_configENS1_25partition_config_selectorILNS1_17partition_subalgoE5EtNS0_10empty_typeEbEEZZNS1_14partition_implILS5_5ELb0ES3_mN6thrust23THRUST_200600_302600_NS6detail15normal_iteratorINSA_10device_ptrItEEEEPS6_NSA_18transform_iteratorINSB_9not_fun_tI7is_trueItEEENSC_INSD_IbEEEENSA_11use_defaultESO_EENS0_5tupleIJSF_S6_EEENSQ_IJSG_SG_EEES6_PlJS6_EEE10hipError_tPvRmT3_T4_T5_T6_T7_T9_mT8_P12ihipStream_tbDpT10_ENKUlT_T0_E_clISt17integral_constantIbLb0EES1C_IbLb1EEEEDaS18_S19_EUlS18_E_NS1_11comp_targetILNS1_3genE9ELNS1_11target_archE1100ELNS1_3gpuE3ELNS1_3repE0EEENS1_30default_config_static_selectorELNS0_4arch9wavefront6targetE0EEEvT1_: ; @_ZN7rocprim17ROCPRIM_400000_NS6detail17trampoline_kernelINS0_14default_configENS1_25partition_config_selectorILNS1_17partition_subalgoE5EtNS0_10empty_typeEbEEZZNS1_14partition_implILS5_5ELb0ES3_mN6thrust23THRUST_200600_302600_NS6detail15normal_iteratorINSA_10device_ptrItEEEEPS6_NSA_18transform_iteratorINSB_9not_fun_tI7is_trueItEEENSC_INSD_IbEEEENSA_11use_defaultESO_EENS0_5tupleIJSF_S6_EEENSQ_IJSG_SG_EEES6_PlJS6_EEE10hipError_tPvRmT3_T4_T5_T6_T7_T9_mT8_P12ihipStream_tbDpT10_ENKUlT_T0_E_clISt17integral_constantIbLb0EES1C_IbLb1EEEEDaS18_S19_EUlS18_E_NS1_11comp_targetILNS1_3genE9ELNS1_11target_archE1100ELNS1_3gpuE3ELNS1_3repE0EEENS1_30default_config_static_selectorELNS0_4arch9wavefront6targetE0EEEvT1_
; %bb.0:
	.section	.rodata,"a",@progbits
	.p2align	6, 0x0
	.amdhsa_kernel _ZN7rocprim17ROCPRIM_400000_NS6detail17trampoline_kernelINS0_14default_configENS1_25partition_config_selectorILNS1_17partition_subalgoE5EtNS0_10empty_typeEbEEZZNS1_14partition_implILS5_5ELb0ES3_mN6thrust23THRUST_200600_302600_NS6detail15normal_iteratorINSA_10device_ptrItEEEEPS6_NSA_18transform_iteratorINSB_9not_fun_tI7is_trueItEEENSC_INSD_IbEEEENSA_11use_defaultESO_EENS0_5tupleIJSF_S6_EEENSQ_IJSG_SG_EEES6_PlJS6_EEE10hipError_tPvRmT3_T4_T5_T6_T7_T9_mT8_P12ihipStream_tbDpT10_ENKUlT_T0_E_clISt17integral_constantIbLb0EES1C_IbLb1EEEEDaS18_S19_EUlS18_E_NS1_11comp_targetILNS1_3genE9ELNS1_11target_archE1100ELNS1_3gpuE3ELNS1_3repE0EEENS1_30default_config_static_selectorELNS0_4arch9wavefront6targetE0EEEvT1_
		.amdhsa_group_segment_fixed_size 0
		.amdhsa_private_segment_fixed_size 0
		.amdhsa_kernarg_size 136
		.amdhsa_user_sgpr_count 2
		.amdhsa_user_sgpr_dispatch_ptr 0
		.amdhsa_user_sgpr_queue_ptr 0
		.amdhsa_user_sgpr_kernarg_segment_ptr 1
		.amdhsa_user_sgpr_dispatch_id 0
		.amdhsa_user_sgpr_private_segment_size 0
		.amdhsa_wavefront_size32 1
		.amdhsa_uses_dynamic_stack 0
		.amdhsa_enable_private_segment 0
		.amdhsa_system_sgpr_workgroup_id_x 1
		.amdhsa_system_sgpr_workgroup_id_y 0
		.amdhsa_system_sgpr_workgroup_id_z 0
		.amdhsa_system_sgpr_workgroup_info 0
		.amdhsa_system_vgpr_workitem_id 0
		.amdhsa_next_free_vgpr 1
		.amdhsa_next_free_sgpr 1
		.amdhsa_reserve_vcc 0
		.amdhsa_float_round_mode_32 0
		.amdhsa_float_round_mode_16_64 0
		.amdhsa_float_denorm_mode_32 3
		.amdhsa_float_denorm_mode_16_64 3
		.amdhsa_fp16_overflow 0
		.amdhsa_workgroup_processor_mode 1
		.amdhsa_memory_ordered 1
		.amdhsa_forward_progress 1
		.amdhsa_inst_pref_size 0
		.amdhsa_round_robin_scheduling 0
		.amdhsa_exception_fp_ieee_invalid_op 0
		.amdhsa_exception_fp_denorm_src 0
		.amdhsa_exception_fp_ieee_div_zero 0
		.amdhsa_exception_fp_ieee_overflow 0
		.amdhsa_exception_fp_ieee_underflow 0
		.amdhsa_exception_fp_ieee_inexact 0
		.amdhsa_exception_int_div_zero 0
	.end_amdhsa_kernel
	.section	.text._ZN7rocprim17ROCPRIM_400000_NS6detail17trampoline_kernelINS0_14default_configENS1_25partition_config_selectorILNS1_17partition_subalgoE5EtNS0_10empty_typeEbEEZZNS1_14partition_implILS5_5ELb0ES3_mN6thrust23THRUST_200600_302600_NS6detail15normal_iteratorINSA_10device_ptrItEEEEPS6_NSA_18transform_iteratorINSB_9not_fun_tI7is_trueItEEENSC_INSD_IbEEEENSA_11use_defaultESO_EENS0_5tupleIJSF_S6_EEENSQ_IJSG_SG_EEES6_PlJS6_EEE10hipError_tPvRmT3_T4_T5_T6_T7_T9_mT8_P12ihipStream_tbDpT10_ENKUlT_T0_E_clISt17integral_constantIbLb0EES1C_IbLb1EEEEDaS18_S19_EUlS18_E_NS1_11comp_targetILNS1_3genE9ELNS1_11target_archE1100ELNS1_3gpuE3ELNS1_3repE0EEENS1_30default_config_static_selectorELNS0_4arch9wavefront6targetE0EEEvT1_,"axG",@progbits,_ZN7rocprim17ROCPRIM_400000_NS6detail17trampoline_kernelINS0_14default_configENS1_25partition_config_selectorILNS1_17partition_subalgoE5EtNS0_10empty_typeEbEEZZNS1_14partition_implILS5_5ELb0ES3_mN6thrust23THRUST_200600_302600_NS6detail15normal_iteratorINSA_10device_ptrItEEEEPS6_NSA_18transform_iteratorINSB_9not_fun_tI7is_trueItEEENSC_INSD_IbEEEENSA_11use_defaultESO_EENS0_5tupleIJSF_S6_EEENSQ_IJSG_SG_EEES6_PlJS6_EEE10hipError_tPvRmT3_T4_T5_T6_T7_T9_mT8_P12ihipStream_tbDpT10_ENKUlT_T0_E_clISt17integral_constantIbLb0EES1C_IbLb1EEEEDaS18_S19_EUlS18_E_NS1_11comp_targetILNS1_3genE9ELNS1_11target_archE1100ELNS1_3gpuE3ELNS1_3repE0EEENS1_30default_config_static_selectorELNS0_4arch9wavefront6targetE0EEEvT1_,comdat
.Lfunc_end2491:
	.size	_ZN7rocprim17ROCPRIM_400000_NS6detail17trampoline_kernelINS0_14default_configENS1_25partition_config_selectorILNS1_17partition_subalgoE5EtNS0_10empty_typeEbEEZZNS1_14partition_implILS5_5ELb0ES3_mN6thrust23THRUST_200600_302600_NS6detail15normal_iteratorINSA_10device_ptrItEEEEPS6_NSA_18transform_iteratorINSB_9not_fun_tI7is_trueItEEENSC_INSD_IbEEEENSA_11use_defaultESO_EENS0_5tupleIJSF_S6_EEENSQ_IJSG_SG_EEES6_PlJS6_EEE10hipError_tPvRmT3_T4_T5_T6_T7_T9_mT8_P12ihipStream_tbDpT10_ENKUlT_T0_E_clISt17integral_constantIbLb0EES1C_IbLb1EEEEDaS18_S19_EUlS18_E_NS1_11comp_targetILNS1_3genE9ELNS1_11target_archE1100ELNS1_3gpuE3ELNS1_3repE0EEENS1_30default_config_static_selectorELNS0_4arch9wavefront6targetE0EEEvT1_, .Lfunc_end2491-_ZN7rocprim17ROCPRIM_400000_NS6detail17trampoline_kernelINS0_14default_configENS1_25partition_config_selectorILNS1_17partition_subalgoE5EtNS0_10empty_typeEbEEZZNS1_14partition_implILS5_5ELb0ES3_mN6thrust23THRUST_200600_302600_NS6detail15normal_iteratorINSA_10device_ptrItEEEEPS6_NSA_18transform_iteratorINSB_9not_fun_tI7is_trueItEEENSC_INSD_IbEEEENSA_11use_defaultESO_EENS0_5tupleIJSF_S6_EEENSQ_IJSG_SG_EEES6_PlJS6_EEE10hipError_tPvRmT3_T4_T5_T6_T7_T9_mT8_P12ihipStream_tbDpT10_ENKUlT_T0_E_clISt17integral_constantIbLb0EES1C_IbLb1EEEEDaS18_S19_EUlS18_E_NS1_11comp_targetILNS1_3genE9ELNS1_11target_archE1100ELNS1_3gpuE3ELNS1_3repE0EEENS1_30default_config_static_selectorELNS0_4arch9wavefront6targetE0EEEvT1_
                                        ; -- End function
	.set _ZN7rocprim17ROCPRIM_400000_NS6detail17trampoline_kernelINS0_14default_configENS1_25partition_config_selectorILNS1_17partition_subalgoE5EtNS0_10empty_typeEbEEZZNS1_14partition_implILS5_5ELb0ES3_mN6thrust23THRUST_200600_302600_NS6detail15normal_iteratorINSA_10device_ptrItEEEEPS6_NSA_18transform_iteratorINSB_9not_fun_tI7is_trueItEEENSC_INSD_IbEEEENSA_11use_defaultESO_EENS0_5tupleIJSF_S6_EEENSQ_IJSG_SG_EEES6_PlJS6_EEE10hipError_tPvRmT3_T4_T5_T6_T7_T9_mT8_P12ihipStream_tbDpT10_ENKUlT_T0_E_clISt17integral_constantIbLb0EES1C_IbLb1EEEEDaS18_S19_EUlS18_E_NS1_11comp_targetILNS1_3genE9ELNS1_11target_archE1100ELNS1_3gpuE3ELNS1_3repE0EEENS1_30default_config_static_selectorELNS0_4arch9wavefront6targetE0EEEvT1_.num_vgpr, 0
	.set _ZN7rocprim17ROCPRIM_400000_NS6detail17trampoline_kernelINS0_14default_configENS1_25partition_config_selectorILNS1_17partition_subalgoE5EtNS0_10empty_typeEbEEZZNS1_14partition_implILS5_5ELb0ES3_mN6thrust23THRUST_200600_302600_NS6detail15normal_iteratorINSA_10device_ptrItEEEEPS6_NSA_18transform_iteratorINSB_9not_fun_tI7is_trueItEEENSC_INSD_IbEEEENSA_11use_defaultESO_EENS0_5tupleIJSF_S6_EEENSQ_IJSG_SG_EEES6_PlJS6_EEE10hipError_tPvRmT3_T4_T5_T6_T7_T9_mT8_P12ihipStream_tbDpT10_ENKUlT_T0_E_clISt17integral_constantIbLb0EES1C_IbLb1EEEEDaS18_S19_EUlS18_E_NS1_11comp_targetILNS1_3genE9ELNS1_11target_archE1100ELNS1_3gpuE3ELNS1_3repE0EEENS1_30default_config_static_selectorELNS0_4arch9wavefront6targetE0EEEvT1_.num_agpr, 0
	.set _ZN7rocprim17ROCPRIM_400000_NS6detail17trampoline_kernelINS0_14default_configENS1_25partition_config_selectorILNS1_17partition_subalgoE5EtNS0_10empty_typeEbEEZZNS1_14partition_implILS5_5ELb0ES3_mN6thrust23THRUST_200600_302600_NS6detail15normal_iteratorINSA_10device_ptrItEEEEPS6_NSA_18transform_iteratorINSB_9not_fun_tI7is_trueItEEENSC_INSD_IbEEEENSA_11use_defaultESO_EENS0_5tupleIJSF_S6_EEENSQ_IJSG_SG_EEES6_PlJS6_EEE10hipError_tPvRmT3_T4_T5_T6_T7_T9_mT8_P12ihipStream_tbDpT10_ENKUlT_T0_E_clISt17integral_constantIbLb0EES1C_IbLb1EEEEDaS18_S19_EUlS18_E_NS1_11comp_targetILNS1_3genE9ELNS1_11target_archE1100ELNS1_3gpuE3ELNS1_3repE0EEENS1_30default_config_static_selectorELNS0_4arch9wavefront6targetE0EEEvT1_.numbered_sgpr, 0
	.set _ZN7rocprim17ROCPRIM_400000_NS6detail17trampoline_kernelINS0_14default_configENS1_25partition_config_selectorILNS1_17partition_subalgoE5EtNS0_10empty_typeEbEEZZNS1_14partition_implILS5_5ELb0ES3_mN6thrust23THRUST_200600_302600_NS6detail15normal_iteratorINSA_10device_ptrItEEEEPS6_NSA_18transform_iteratorINSB_9not_fun_tI7is_trueItEEENSC_INSD_IbEEEENSA_11use_defaultESO_EENS0_5tupleIJSF_S6_EEENSQ_IJSG_SG_EEES6_PlJS6_EEE10hipError_tPvRmT3_T4_T5_T6_T7_T9_mT8_P12ihipStream_tbDpT10_ENKUlT_T0_E_clISt17integral_constantIbLb0EES1C_IbLb1EEEEDaS18_S19_EUlS18_E_NS1_11comp_targetILNS1_3genE9ELNS1_11target_archE1100ELNS1_3gpuE3ELNS1_3repE0EEENS1_30default_config_static_selectorELNS0_4arch9wavefront6targetE0EEEvT1_.num_named_barrier, 0
	.set _ZN7rocprim17ROCPRIM_400000_NS6detail17trampoline_kernelINS0_14default_configENS1_25partition_config_selectorILNS1_17partition_subalgoE5EtNS0_10empty_typeEbEEZZNS1_14partition_implILS5_5ELb0ES3_mN6thrust23THRUST_200600_302600_NS6detail15normal_iteratorINSA_10device_ptrItEEEEPS6_NSA_18transform_iteratorINSB_9not_fun_tI7is_trueItEEENSC_INSD_IbEEEENSA_11use_defaultESO_EENS0_5tupleIJSF_S6_EEENSQ_IJSG_SG_EEES6_PlJS6_EEE10hipError_tPvRmT3_T4_T5_T6_T7_T9_mT8_P12ihipStream_tbDpT10_ENKUlT_T0_E_clISt17integral_constantIbLb0EES1C_IbLb1EEEEDaS18_S19_EUlS18_E_NS1_11comp_targetILNS1_3genE9ELNS1_11target_archE1100ELNS1_3gpuE3ELNS1_3repE0EEENS1_30default_config_static_selectorELNS0_4arch9wavefront6targetE0EEEvT1_.private_seg_size, 0
	.set _ZN7rocprim17ROCPRIM_400000_NS6detail17trampoline_kernelINS0_14default_configENS1_25partition_config_selectorILNS1_17partition_subalgoE5EtNS0_10empty_typeEbEEZZNS1_14partition_implILS5_5ELb0ES3_mN6thrust23THRUST_200600_302600_NS6detail15normal_iteratorINSA_10device_ptrItEEEEPS6_NSA_18transform_iteratorINSB_9not_fun_tI7is_trueItEEENSC_INSD_IbEEEENSA_11use_defaultESO_EENS0_5tupleIJSF_S6_EEENSQ_IJSG_SG_EEES6_PlJS6_EEE10hipError_tPvRmT3_T4_T5_T6_T7_T9_mT8_P12ihipStream_tbDpT10_ENKUlT_T0_E_clISt17integral_constantIbLb0EES1C_IbLb1EEEEDaS18_S19_EUlS18_E_NS1_11comp_targetILNS1_3genE9ELNS1_11target_archE1100ELNS1_3gpuE3ELNS1_3repE0EEENS1_30default_config_static_selectorELNS0_4arch9wavefront6targetE0EEEvT1_.uses_vcc, 0
	.set _ZN7rocprim17ROCPRIM_400000_NS6detail17trampoline_kernelINS0_14default_configENS1_25partition_config_selectorILNS1_17partition_subalgoE5EtNS0_10empty_typeEbEEZZNS1_14partition_implILS5_5ELb0ES3_mN6thrust23THRUST_200600_302600_NS6detail15normal_iteratorINSA_10device_ptrItEEEEPS6_NSA_18transform_iteratorINSB_9not_fun_tI7is_trueItEEENSC_INSD_IbEEEENSA_11use_defaultESO_EENS0_5tupleIJSF_S6_EEENSQ_IJSG_SG_EEES6_PlJS6_EEE10hipError_tPvRmT3_T4_T5_T6_T7_T9_mT8_P12ihipStream_tbDpT10_ENKUlT_T0_E_clISt17integral_constantIbLb0EES1C_IbLb1EEEEDaS18_S19_EUlS18_E_NS1_11comp_targetILNS1_3genE9ELNS1_11target_archE1100ELNS1_3gpuE3ELNS1_3repE0EEENS1_30default_config_static_selectorELNS0_4arch9wavefront6targetE0EEEvT1_.uses_flat_scratch, 0
	.set _ZN7rocprim17ROCPRIM_400000_NS6detail17trampoline_kernelINS0_14default_configENS1_25partition_config_selectorILNS1_17partition_subalgoE5EtNS0_10empty_typeEbEEZZNS1_14partition_implILS5_5ELb0ES3_mN6thrust23THRUST_200600_302600_NS6detail15normal_iteratorINSA_10device_ptrItEEEEPS6_NSA_18transform_iteratorINSB_9not_fun_tI7is_trueItEEENSC_INSD_IbEEEENSA_11use_defaultESO_EENS0_5tupleIJSF_S6_EEENSQ_IJSG_SG_EEES6_PlJS6_EEE10hipError_tPvRmT3_T4_T5_T6_T7_T9_mT8_P12ihipStream_tbDpT10_ENKUlT_T0_E_clISt17integral_constantIbLb0EES1C_IbLb1EEEEDaS18_S19_EUlS18_E_NS1_11comp_targetILNS1_3genE9ELNS1_11target_archE1100ELNS1_3gpuE3ELNS1_3repE0EEENS1_30default_config_static_selectorELNS0_4arch9wavefront6targetE0EEEvT1_.has_dyn_sized_stack, 0
	.set _ZN7rocprim17ROCPRIM_400000_NS6detail17trampoline_kernelINS0_14default_configENS1_25partition_config_selectorILNS1_17partition_subalgoE5EtNS0_10empty_typeEbEEZZNS1_14partition_implILS5_5ELb0ES3_mN6thrust23THRUST_200600_302600_NS6detail15normal_iteratorINSA_10device_ptrItEEEEPS6_NSA_18transform_iteratorINSB_9not_fun_tI7is_trueItEEENSC_INSD_IbEEEENSA_11use_defaultESO_EENS0_5tupleIJSF_S6_EEENSQ_IJSG_SG_EEES6_PlJS6_EEE10hipError_tPvRmT3_T4_T5_T6_T7_T9_mT8_P12ihipStream_tbDpT10_ENKUlT_T0_E_clISt17integral_constantIbLb0EES1C_IbLb1EEEEDaS18_S19_EUlS18_E_NS1_11comp_targetILNS1_3genE9ELNS1_11target_archE1100ELNS1_3gpuE3ELNS1_3repE0EEENS1_30default_config_static_selectorELNS0_4arch9wavefront6targetE0EEEvT1_.has_recursion, 0
	.set _ZN7rocprim17ROCPRIM_400000_NS6detail17trampoline_kernelINS0_14default_configENS1_25partition_config_selectorILNS1_17partition_subalgoE5EtNS0_10empty_typeEbEEZZNS1_14partition_implILS5_5ELb0ES3_mN6thrust23THRUST_200600_302600_NS6detail15normal_iteratorINSA_10device_ptrItEEEEPS6_NSA_18transform_iteratorINSB_9not_fun_tI7is_trueItEEENSC_INSD_IbEEEENSA_11use_defaultESO_EENS0_5tupleIJSF_S6_EEENSQ_IJSG_SG_EEES6_PlJS6_EEE10hipError_tPvRmT3_T4_T5_T6_T7_T9_mT8_P12ihipStream_tbDpT10_ENKUlT_T0_E_clISt17integral_constantIbLb0EES1C_IbLb1EEEEDaS18_S19_EUlS18_E_NS1_11comp_targetILNS1_3genE9ELNS1_11target_archE1100ELNS1_3gpuE3ELNS1_3repE0EEENS1_30default_config_static_selectorELNS0_4arch9wavefront6targetE0EEEvT1_.has_indirect_call, 0
	.section	.AMDGPU.csdata,"",@progbits
; Kernel info:
; codeLenInByte = 0
; TotalNumSgprs: 0
; NumVgprs: 0
; ScratchSize: 0
; MemoryBound: 0
; FloatMode: 240
; IeeeMode: 1
; LDSByteSize: 0 bytes/workgroup (compile time only)
; SGPRBlocks: 0
; VGPRBlocks: 0
; NumSGPRsForWavesPerEU: 1
; NumVGPRsForWavesPerEU: 1
; Occupancy: 16
; WaveLimiterHint : 0
; COMPUTE_PGM_RSRC2:SCRATCH_EN: 0
; COMPUTE_PGM_RSRC2:USER_SGPR: 2
; COMPUTE_PGM_RSRC2:TRAP_HANDLER: 0
; COMPUTE_PGM_RSRC2:TGID_X_EN: 1
; COMPUTE_PGM_RSRC2:TGID_Y_EN: 0
; COMPUTE_PGM_RSRC2:TGID_Z_EN: 0
; COMPUTE_PGM_RSRC2:TIDIG_COMP_CNT: 0
	.section	.text._ZN7rocprim17ROCPRIM_400000_NS6detail17trampoline_kernelINS0_14default_configENS1_25partition_config_selectorILNS1_17partition_subalgoE5EtNS0_10empty_typeEbEEZZNS1_14partition_implILS5_5ELb0ES3_mN6thrust23THRUST_200600_302600_NS6detail15normal_iteratorINSA_10device_ptrItEEEEPS6_NSA_18transform_iteratorINSB_9not_fun_tI7is_trueItEEENSC_INSD_IbEEEENSA_11use_defaultESO_EENS0_5tupleIJSF_S6_EEENSQ_IJSG_SG_EEES6_PlJS6_EEE10hipError_tPvRmT3_T4_T5_T6_T7_T9_mT8_P12ihipStream_tbDpT10_ENKUlT_T0_E_clISt17integral_constantIbLb0EES1C_IbLb1EEEEDaS18_S19_EUlS18_E_NS1_11comp_targetILNS1_3genE8ELNS1_11target_archE1030ELNS1_3gpuE2ELNS1_3repE0EEENS1_30default_config_static_selectorELNS0_4arch9wavefront6targetE0EEEvT1_,"axG",@progbits,_ZN7rocprim17ROCPRIM_400000_NS6detail17trampoline_kernelINS0_14default_configENS1_25partition_config_selectorILNS1_17partition_subalgoE5EtNS0_10empty_typeEbEEZZNS1_14partition_implILS5_5ELb0ES3_mN6thrust23THRUST_200600_302600_NS6detail15normal_iteratorINSA_10device_ptrItEEEEPS6_NSA_18transform_iteratorINSB_9not_fun_tI7is_trueItEEENSC_INSD_IbEEEENSA_11use_defaultESO_EENS0_5tupleIJSF_S6_EEENSQ_IJSG_SG_EEES6_PlJS6_EEE10hipError_tPvRmT3_T4_T5_T6_T7_T9_mT8_P12ihipStream_tbDpT10_ENKUlT_T0_E_clISt17integral_constantIbLb0EES1C_IbLb1EEEEDaS18_S19_EUlS18_E_NS1_11comp_targetILNS1_3genE8ELNS1_11target_archE1030ELNS1_3gpuE2ELNS1_3repE0EEENS1_30default_config_static_selectorELNS0_4arch9wavefront6targetE0EEEvT1_,comdat
	.protected	_ZN7rocprim17ROCPRIM_400000_NS6detail17trampoline_kernelINS0_14default_configENS1_25partition_config_selectorILNS1_17partition_subalgoE5EtNS0_10empty_typeEbEEZZNS1_14partition_implILS5_5ELb0ES3_mN6thrust23THRUST_200600_302600_NS6detail15normal_iteratorINSA_10device_ptrItEEEEPS6_NSA_18transform_iteratorINSB_9not_fun_tI7is_trueItEEENSC_INSD_IbEEEENSA_11use_defaultESO_EENS0_5tupleIJSF_S6_EEENSQ_IJSG_SG_EEES6_PlJS6_EEE10hipError_tPvRmT3_T4_T5_T6_T7_T9_mT8_P12ihipStream_tbDpT10_ENKUlT_T0_E_clISt17integral_constantIbLb0EES1C_IbLb1EEEEDaS18_S19_EUlS18_E_NS1_11comp_targetILNS1_3genE8ELNS1_11target_archE1030ELNS1_3gpuE2ELNS1_3repE0EEENS1_30default_config_static_selectorELNS0_4arch9wavefront6targetE0EEEvT1_ ; -- Begin function _ZN7rocprim17ROCPRIM_400000_NS6detail17trampoline_kernelINS0_14default_configENS1_25partition_config_selectorILNS1_17partition_subalgoE5EtNS0_10empty_typeEbEEZZNS1_14partition_implILS5_5ELb0ES3_mN6thrust23THRUST_200600_302600_NS6detail15normal_iteratorINSA_10device_ptrItEEEEPS6_NSA_18transform_iteratorINSB_9not_fun_tI7is_trueItEEENSC_INSD_IbEEEENSA_11use_defaultESO_EENS0_5tupleIJSF_S6_EEENSQ_IJSG_SG_EEES6_PlJS6_EEE10hipError_tPvRmT3_T4_T5_T6_T7_T9_mT8_P12ihipStream_tbDpT10_ENKUlT_T0_E_clISt17integral_constantIbLb0EES1C_IbLb1EEEEDaS18_S19_EUlS18_E_NS1_11comp_targetILNS1_3genE8ELNS1_11target_archE1030ELNS1_3gpuE2ELNS1_3repE0EEENS1_30default_config_static_selectorELNS0_4arch9wavefront6targetE0EEEvT1_
	.globl	_ZN7rocprim17ROCPRIM_400000_NS6detail17trampoline_kernelINS0_14default_configENS1_25partition_config_selectorILNS1_17partition_subalgoE5EtNS0_10empty_typeEbEEZZNS1_14partition_implILS5_5ELb0ES3_mN6thrust23THRUST_200600_302600_NS6detail15normal_iteratorINSA_10device_ptrItEEEEPS6_NSA_18transform_iteratorINSB_9not_fun_tI7is_trueItEEENSC_INSD_IbEEEENSA_11use_defaultESO_EENS0_5tupleIJSF_S6_EEENSQ_IJSG_SG_EEES6_PlJS6_EEE10hipError_tPvRmT3_T4_T5_T6_T7_T9_mT8_P12ihipStream_tbDpT10_ENKUlT_T0_E_clISt17integral_constantIbLb0EES1C_IbLb1EEEEDaS18_S19_EUlS18_E_NS1_11comp_targetILNS1_3genE8ELNS1_11target_archE1030ELNS1_3gpuE2ELNS1_3repE0EEENS1_30default_config_static_selectorELNS0_4arch9wavefront6targetE0EEEvT1_
	.p2align	8
	.type	_ZN7rocprim17ROCPRIM_400000_NS6detail17trampoline_kernelINS0_14default_configENS1_25partition_config_selectorILNS1_17partition_subalgoE5EtNS0_10empty_typeEbEEZZNS1_14partition_implILS5_5ELb0ES3_mN6thrust23THRUST_200600_302600_NS6detail15normal_iteratorINSA_10device_ptrItEEEEPS6_NSA_18transform_iteratorINSB_9not_fun_tI7is_trueItEEENSC_INSD_IbEEEENSA_11use_defaultESO_EENS0_5tupleIJSF_S6_EEENSQ_IJSG_SG_EEES6_PlJS6_EEE10hipError_tPvRmT3_T4_T5_T6_T7_T9_mT8_P12ihipStream_tbDpT10_ENKUlT_T0_E_clISt17integral_constantIbLb0EES1C_IbLb1EEEEDaS18_S19_EUlS18_E_NS1_11comp_targetILNS1_3genE8ELNS1_11target_archE1030ELNS1_3gpuE2ELNS1_3repE0EEENS1_30default_config_static_selectorELNS0_4arch9wavefront6targetE0EEEvT1_,@function
_ZN7rocprim17ROCPRIM_400000_NS6detail17trampoline_kernelINS0_14default_configENS1_25partition_config_selectorILNS1_17partition_subalgoE5EtNS0_10empty_typeEbEEZZNS1_14partition_implILS5_5ELb0ES3_mN6thrust23THRUST_200600_302600_NS6detail15normal_iteratorINSA_10device_ptrItEEEEPS6_NSA_18transform_iteratorINSB_9not_fun_tI7is_trueItEEENSC_INSD_IbEEEENSA_11use_defaultESO_EENS0_5tupleIJSF_S6_EEENSQ_IJSG_SG_EEES6_PlJS6_EEE10hipError_tPvRmT3_T4_T5_T6_T7_T9_mT8_P12ihipStream_tbDpT10_ENKUlT_T0_E_clISt17integral_constantIbLb0EES1C_IbLb1EEEEDaS18_S19_EUlS18_E_NS1_11comp_targetILNS1_3genE8ELNS1_11target_archE1030ELNS1_3gpuE2ELNS1_3repE0EEENS1_30default_config_static_selectorELNS0_4arch9wavefront6targetE0EEEvT1_: ; @_ZN7rocprim17ROCPRIM_400000_NS6detail17trampoline_kernelINS0_14default_configENS1_25partition_config_selectorILNS1_17partition_subalgoE5EtNS0_10empty_typeEbEEZZNS1_14partition_implILS5_5ELb0ES3_mN6thrust23THRUST_200600_302600_NS6detail15normal_iteratorINSA_10device_ptrItEEEEPS6_NSA_18transform_iteratorINSB_9not_fun_tI7is_trueItEEENSC_INSD_IbEEEENSA_11use_defaultESO_EENS0_5tupleIJSF_S6_EEENSQ_IJSG_SG_EEES6_PlJS6_EEE10hipError_tPvRmT3_T4_T5_T6_T7_T9_mT8_P12ihipStream_tbDpT10_ENKUlT_T0_E_clISt17integral_constantIbLb0EES1C_IbLb1EEEEDaS18_S19_EUlS18_E_NS1_11comp_targetILNS1_3genE8ELNS1_11target_archE1030ELNS1_3gpuE2ELNS1_3repE0EEENS1_30default_config_static_selectorELNS0_4arch9wavefront6targetE0EEEvT1_
; %bb.0:
	.section	.rodata,"a",@progbits
	.p2align	6, 0x0
	.amdhsa_kernel _ZN7rocprim17ROCPRIM_400000_NS6detail17trampoline_kernelINS0_14default_configENS1_25partition_config_selectorILNS1_17partition_subalgoE5EtNS0_10empty_typeEbEEZZNS1_14partition_implILS5_5ELb0ES3_mN6thrust23THRUST_200600_302600_NS6detail15normal_iteratorINSA_10device_ptrItEEEEPS6_NSA_18transform_iteratorINSB_9not_fun_tI7is_trueItEEENSC_INSD_IbEEEENSA_11use_defaultESO_EENS0_5tupleIJSF_S6_EEENSQ_IJSG_SG_EEES6_PlJS6_EEE10hipError_tPvRmT3_T4_T5_T6_T7_T9_mT8_P12ihipStream_tbDpT10_ENKUlT_T0_E_clISt17integral_constantIbLb0EES1C_IbLb1EEEEDaS18_S19_EUlS18_E_NS1_11comp_targetILNS1_3genE8ELNS1_11target_archE1030ELNS1_3gpuE2ELNS1_3repE0EEENS1_30default_config_static_selectorELNS0_4arch9wavefront6targetE0EEEvT1_
		.amdhsa_group_segment_fixed_size 0
		.amdhsa_private_segment_fixed_size 0
		.amdhsa_kernarg_size 136
		.amdhsa_user_sgpr_count 2
		.amdhsa_user_sgpr_dispatch_ptr 0
		.amdhsa_user_sgpr_queue_ptr 0
		.amdhsa_user_sgpr_kernarg_segment_ptr 1
		.amdhsa_user_sgpr_dispatch_id 0
		.amdhsa_user_sgpr_private_segment_size 0
		.amdhsa_wavefront_size32 1
		.amdhsa_uses_dynamic_stack 0
		.amdhsa_enable_private_segment 0
		.amdhsa_system_sgpr_workgroup_id_x 1
		.amdhsa_system_sgpr_workgroup_id_y 0
		.amdhsa_system_sgpr_workgroup_id_z 0
		.amdhsa_system_sgpr_workgroup_info 0
		.amdhsa_system_vgpr_workitem_id 0
		.amdhsa_next_free_vgpr 1
		.amdhsa_next_free_sgpr 1
		.amdhsa_reserve_vcc 0
		.amdhsa_float_round_mode_32 0
		.amdhsa_float_round_mode_16_64 0
		.amdhsa_float_denorm_mode_32 3
		.amdhsa_float_denorm_mode_16_64 3
		.amdhsa_fp16_overflow 0
		.amdhsa_workgroup_processor_mode 1
		.amdhsa_memory_ordered 1
		.amdhsa_forward_progress 1
		.amdhsa_inst_pref_size 0
		.amdhsa_round_robin_scheduling 0
		.amdhsa_exception_fp_ieee_invalid_op 0
		.amdhsa_exception_fp_denorm_src 0
		.amdhsa_exception_fp_ieee_div_zero 0
		.amdhsa_exception_fp_ieee_overflow 0
		.amdhsa_exception_fp_ieee_underflow 0
		.amdhsa_exception_fp_ieee_inexact 0
		.amdhsa_exception_int_div_zero 0
	.end_amdhsa_kernel
	.section	.text._ZN7rocprim17ROCPRIM_400000_NS6detail17trampoline_kernelINS0_14default_configENS1_25partition_config_selectorILNS1_17partition_subalgoE5EtNS0_10empty_typeEbEEZZNS1_14partition_implILS5_5ELb0ES3_mN6thrust23THRUST_200600_302600_NS6detail15normal_iteratorINSA_10device_ptrItEEEEPS6_NSA_18transform_iteratorINSB_9not_fun_tI7is_trueItEEENSC_INSD_IbEEEENSA_11use_defaultESO_EENS0_5tupleIJSF_S6_EEENSQ_IJSG_SG_EEES6_PlJS6_EEE10hipError_tPvRmT3_T4_T5_T6_T7_T9_mT8_P12ihipStream_tbDpT10_ENKUlT_T0_E_clISt17integral_constantIbLb0EES1C_IbLb1EEEEDaS18_S19_EUlS18_E_NS1_11comp_targetILNS1_3genE8ELNS1_11target_archE1030ELNS1_3gpuE2ELNS1_3repE0EEENS1_30default_config_static_selectorELNS0_4arch9wavefront6targetE0EEEvT1_,"axG",@progbits,_ZN7rocprim17ROCPRIM_400000_NS6detail17trampoline_kernelINS0_14default_configENS1_25partition_config_selectorILNS1_17partition_subalgoE5EtNS0_10empty_typeEbEEZZNS1_14partition_implILS5_5ELb0ES3_mN6thrust23THRUST_200600_302600_NS6detail15normal_iteratorINSA_10device_ptrItEEEEPS6_NSA_18transform_iteratorINSB_9not_fun_tI7is_trueItEEENSC_INSD_IbEEEENSA_11use_defaultESO_EENS0_5tupleIJSF_S6_EEENSQ_IJSG_SG_EEES6_PlJS6_EEE10hipError_tPvRmT3_T4_T5_T6_T7_T9_mT8_P12ihipStream_tbDpT10_ENKUlT_T0_E_clISt17integral_constantIbLb0EES1C_IbLb1EEEEDaS18_S19_EUlS18_E_NS1_11comp_targetILNS1_3genE8ELNS1_11target_archE1030ELNS1_3gpuE2ELNS1_3repE0EEENS1_30default_config_static_selectorELNS0_4arch9wavefront6targetE0EEEvT1_,comdat
.Lfunc_end2492:
	.size	_ZN7rocprim17ROCPRIM_400000_NS6detail17trampoline_kernelINS0_14default_configENS1_25partition_config_selectorILNS1_17partition_subalgoE5EtNS0_10empty_typeEbEEZZNS1_14partition_implILS5_5ELb0ES3_mN6thrust23THRUST_200600_302600_NS6detail15normal_iteratorINSA_10device_ptrItEEEEPS6_NSA_18transform_iteratorINSB_9not_fun_tI7is_trueItEEENSC_INSD_IbEEEENSA_11use_defaultESO_EENS0_5tupleIJSF_S6_EEENSQ_IJSG_SG_EEES6_PlJS6_EEE10hipError_tPvRmT3_T4_T5_T6_T7_T9_mT8_P12ihipStream_tbDpT10_ENKUlT_T0_E_clISt17integral_constantIbLb0EES1C_IbLb1EEEEDaS18_S19_EUlS18_E_NS1_11comp_targetILNS1_3genE8ELNS1_11target_archE1030ELNS1_3gpuE2ELNS1_3repE0EEENS1_30default_config_static_selectorELNS0_4arch9wavefront6targetE0EEEvT1_, .Lfunc_end2492-_ZN7rocprim17ROCPRIM_400000_NS6detail17trampoline_kernelINS0_14default_configENS1_25partition_config_selectorILNS1_17partition_subalgoE5EtNS0_10empty_typeEbEEZZNS1_14partition_implILS5_5ELb0ES3_mN6thrust23THRUST_200600_302600_NS6detail15normal_iteratorINSA_10device_ptrItEEEEPS6_NSA_18transform_iteratorINSB_9not_fun_tI7is_trueItEEENSC_INSD_IbEEEENSA_11use_defaultESO_EENS0_5tupleIJSF_S6_EEENSQ_IJSG_SG_EEES6_PlJS6_EEE10hipError_tPvRmT3_T4_T5_T6_T7_T9_mT8_P12ihipStream_tbDpT10_ENKUlT_T0_E_clISt17integral_constantIbLb0EES1C_IbLb1EEEEDaS18_S19_EUlS18_E_NS1_11comp_targetILNS1_3genE8ELNS1_11target_archE1030ELNS1_3gpuE2ELNS1_3repE0EEENS1_30default_config_static_selectorELNS0_4arch9wavefront6targetE0EEEvT1_
                                        ; -- End function
	.set _ZN7rocprim17ROCPRIM_400000_NS6detail17trampoline_kernelINS0_14default_configENS1_25partition_config_selectorILNS1_17partition_subalgoE5EtNS0_10empty_typeEbEEZZNS1_14partition_implILS5_5ELb0ES3_mN6thrust23THRUST_200600_302600_NS6detail15normal_iteratorINSA_10device_ptrItEEEEPS6_NSA_18transform_iteratorINSB_9not_fun_tI7is_trueItEEENSC_INSD_IbEEEENSA_11use_defaultESO_EENS0_5tupleIJSF_S6_EEENSQ_IJSG_SG_EEES6_PlJS6_EEE10hipError_tPvRmT3_T4_T5_T6_T7_T9_mT8_P12ihipStream_tbDpT10_ENKUlT_T0_E_clISt17integral_constantIbLb0EES1C_IbLb1EEEEDaS18_S19_EUlS18_E_NS1_11comp_targetILNS1_3genE8ELNS1_11target_archE1030ELNS1_3gpuE2ELNS1_3repE0EEENS1_30default_config_static_selectorELNS0_4arch9wavefront6targetE0EEEvT1_.num_vgpr, 0
	.set _ZN7rocprim17ROCPRIM_400000_NS6detail17trampoline_kernelINS0_14default_configENS1_25partition_config_selectorILNS1_17partition_subalgoE5EtNS0_10empty_typeEbEEZZNS1_14partition_implILS5_5ELb0ES3_mN6thrust23THRUST_200600_302600_NS6detail15normal_iteratorINSA_10device_ptrItEEEEPS6_NSA_18transform_iteratorINSB_9not_fun_tI7is_trueItEEENSC_INSD_IbEEEENSA_11use_defaultESO_EENS0_5tupleIJSF_S6_EEENSQ_IJSG_SG_EEES6_PlJS6_EEE10hipError_tPvRmT3_T4_T5_T6_T7_T9_mT8_P12ihipStream_tbDpT10_ENKUlT_T0_E_clISt17integral_constantIbLb0EES1C_IbLb1EEEEDaS18_S19_EUlS18_E_NS1_11comp_targetILNS1_3genE8ELNS1_11target_archE1030ELNS1_3gpuE2ELNS1_3repE0EEENS1_30default_config_static_selectorELNS0_4arch9wavefront6targetE0EEEvT1_.num_agpr, 0
	.set _ZN7rocprim17ROCPRIM_400000_NS6detail17trampoline_kernelINS0_14default_configENS1_25partition_config_selectorILNS1_17partition_subalgoE5EtNS0_10empty_typeEbEEZZNS1_14partition_implILS5_5ELb0ES3_mN6thrust23THRUST_200600_302600_NS6detail15normal_iteratorINSA_10device_ptrItEEEEPS6_NSA_18transform_iteratorINSB_9not_fun_tI7is_trueItEEENSC_INSD_IbEEEENSA_11use_defaultESO_EENS0_5tupleIJSF_S6_EEENSQ_IJSG_SG_EEES6_PlJS6_EEE10hipError_tPvRmT3_T4_T5_T6_T7_T9_mT8_P12ihipStream_tbDpT10_ENKUlT_T0_E_clISt17integral_constantIbLb0EES1C_IbLb1EEEEDaS18_S19_EUlS18_E_NS1_11comp_targetILNS1_3genE8ELNS1_11target_archE1030ELNS1_3gpuE2ELNS1_3repE0EEENS1_30default_config_static_selectorELNS0_4arch9wavefront6targetE0EEEvT1_.numbered_sgpr, 0
	.set _ZN7rocprim17ROCPRIM_400000_NS6detail17trampoline_kernelINS0_14default_configENS1_25partition_config_selectorILNS1_17partition_subalgoE5EtNS0_10empty_typeEbEEZZNS1_14partition_implILS5_5ELb0ES3_mN6thrust23THRUST_200600_302600_NS6detail15normal_iteratorINSA_10device_ptrItEEEEPS6_NSA_18transform_iteratorINSB_9not_fun_tI7is_trueItEEENSC_INSD_IbEEEENSA_11use_defaultESO_EENS0_5tupleIJSF_S6_EEENSQ_IJSG_SG_EEES6_PlJS6_EEE10hipError_tPvRmT3_T4_T5_T6_T7_T9_mT8_P12ihipStream_tbDpT10_ENKUlT_T0_E_clISt17integral_constantIbLb0EES1C_IbLb1EEEEDaS18_S19_EUlS18_E_NS1_11comp_targetILNS1_3genE8ELNS1_11target_archE1030ELNS1_3gpuE2ELNS1_3repE0EEENS1_30default_config_static_selectorELNS0_4arch9wavefront6targetE0EEEvT1_.num_named_barrier, 0
	.set _ZN7rocprim17ROCPRIM_400000_NS6detail17trampoline_kernelINS0_14default_configENS1_25partition_config_selectorILNS1_17partition_subalgoE5EtNS0_10empty_typeEbEEZZNS1_14partition_implILS5_5ELb0ES3_mN6thrust23THRUST_200600_302600_NS6detail15normal_iteratorINSA_10device_ptrItEEEEPS6_NSA_18transform_iteratorINSB_9not_fun_tI7is_trueItEEENSC_INSD_IbEEEENSA_11use_defaultESO_EENS0_5tupleIJSF_S6_EEENSQ_IJSG_SG_EEES6_PlJS6_EEE10hipError_tPvRmT3_T4_T5_T6_T7_T9_mT8_P12ihipStream_tbDpT10_ENKUlT_T0_E_clISt17integral_constantIbLb0EES1C_IbLb1EEEEDaS18_S19_EUlS18_E_NS1_11comp_targetILNS1_3genE8ELNS1_11target_archE1030ELNS1_3gpuE2ELNS1_3repE0EEENS1_30default_config_static_selectorELNS0_4arch9wavefront6targetE0EEEvT1_.private_seg_size, 0
	.set _ZN7rocprim17ROCPRIM_400000_NS6detail17trampoline_kernelINS0_14default_configENS1_25partition_config_selectorILNS1_17partition_subalgoE5EtNS0_10empty_typeEbEEZZNS1_14partition_implILS5_5ELb0ES3_mN6thrust23THRUST_200600_302600_NS6detail15normal_iteratorINSA_10device_ptrItEEEEPS6_NSA_18transform_iteratorINSB_9not_fun_tI7is_trueItEEENSC_INSD_IbEEEENSA_11use_defaultESO_EENS0_5tupleIJSF_S6_EEENSQ_IJSG_SG_EEES6_PlJS6_EEE10hipError_tPvRmT3_T4_T5_T6_T7_T9_mT8_P12ihipStream_tbDpT10_ENKUlT_T0_E_clISt17integral_constantIbLb0EES1C_IbLb1EEEEDaS18_S19_EUlS18_E_NS1_11comp_targetILNS1_3genE8ELNS1_11target_archE1030ELNS1_3gpuE2ELNS1_3repE0EEENS1_30default_config_static_selectorELNS0_4arch9wavefront6targetE0EEEvT1_.uses_vcc, 0
	.set _ZN7rocprim17ROCPRIM_400000_NS6detail17trampoline_kernelINS0_14default_configENS1_25partition_config_selectorILNS1_17partition_subalgoE5EtNS0_10empty_typeEbEEZZNS1_14partition_implILS5_5ELb0ES3_mN6thrust23THRUST_200600_302600_NS6detail15normal_iteratorINSA_10device_ptrItEEEEPS6_NSA_18transform_iteratorINSB_9not_fun_tI7is_trueItEEENSC_INSD_IbEEEENSA_11use_defaultESO_EENS0_5tupleIJSF_S6_EEENSQ_IJSG_SG_EEES6_PlJS6_EEE10hipError_tPvRmT3_T4_T5_T6_T7_T9_mT8_P12ihipStream_tbDpT10_ENKUlT_T0_E_clISt17integral_constantIbLb0EES1C_IbLb1EEEEDaS18_S19_EUlS18_E_NS1_11comp_targetILNS1_3genE8ELNS1_11target_archE1030ELNS1_3gpuE2ELNS1_3repE0EEENS1_30default_config_static_selectorELNS0_4arch9wavefront6targetE0EEEvT1_.uses_flat_scratch, 0
	.set _ZN7rocprim17ROCPRIM_400000_NS6detail17trampoline_kernelINS0_14default_configENS1_25partition_config_selectorILNS1_17partition_subalgoE5EtNS0_10empty_typeEbEEZZNS1_14partition_implILS5_5ELb0ES3_mN6thrust23THRUST_200600_302600_NS6detail15normal_iteratorINSA_10device_ptrItEEEEPS6_NSA_18transform_iteratorINSB_9not_fun_tI7is_trueItEEENSC_INSD_IbEEEENSA_11use_defaultESO_EENS0_5tupleIJSF_S6_EEENSQ_IJSG_SG_EEES6_PlJS6_EEE10hipError_tPvRmT3_T4_T5_T6_T7_T9_mT8_P12ihipStream_tbDpT10_ENKUlT_T0_E_clISt17integral_constantIbLb0EES1C_IbLb1EEEEDaS18_S19_EUlS18_E_NS1_11comp_targetILNS1_3genE8ELNS1_11target_archE1030ELNS1_3gpuE2ELNS1_3repE0EEENS1_30default_config_static_selectorELNS0_4arch9wavefront6targetE0EEEvT1_.has_dyn_sized_stack, 0
	.set _ZN7rocprim17ROCPRIM_400000_NS6detail17trampoline_kernelINS0_14default_configENS1_25partition_config_selectorILNS1_17partition_subalgoE5EtNS0_10empty_typeEbEEZZNS1_14partition_implILS5_5ELb0ES3_mN6thrust23THRUST_200600_302600_NS6detail15normal_iteratorINSA_10device_ptrItEEEEPS6_NSA_18transform_iteratorINSB_9not_fun_tI7is_trueItEEENSC_INSD_IbEEEENSA_11use_defaultESO_EENS0_5tupleIJSF_S6_EEENSQ_IJSG_SG_EEES6_PlJS6_EEE10hipError_tPvRmT3_T4_T5_T6_T7_T9_mT8_P12ihipStream_tbDpT10_ENKUlT_T0_E_clISt17integral_constantIbLb0EES1C_IbLb1EEEEDaS18_S19_EUlS18_E_NS1_11comp_targetILNS1_3genE8ELNS1_11target_archE1030ELNS1_3gpuE2ELNS1_3repE0EEENS1_30default_config_static_selectorELNS0_4arch9wavefront6targetE0EEEvT1_.has_recursion, 0
	.set _ZN7rocprim17ROCPRIM_400000_NS6detail17trampoline_kernelINS0_14default_configENS1_25partition_config_selectorILNS1_17partition_subalgoE5EtNS0_10empty_typeEbEEZZNS1_14partition_implILS5_5ELb0ES3_mN6thrust23THRUST_200600_302600_NS6detail15normal_iteratorINSA_10device_ptrItEEEEPS6_NSA_18transform_iteratorINSB_9not_fun_tI7is_trueItEEENSC_INSD_IbEEEENSA_11use_defaultESO_EENS0_5tupleIJSF_S6_EEENSQ_IJSG_SG_EEES6_PlJS6_EEE10hipError_tPvRmT3_T4_T5_T6_T7_T9_mT8_P12ihipStream_tbDpT10_ENKUlT_T0_E_clISt17integral_constantIbLb0EES1C_IbLb1EEEEDaS18_S19_EUlS18_E_NS1_11comp_targetILNS1_3genE8ELNS1_11target_archE1030ELNS1_3gpuE2ELNS1_3repE0EEENS1_30default_config_static_selectorELNS0_4arch9wavefront6targetE0EEEvT1_.has_indirect_call, 0
	.section	.AMDGPU.csdata,"",@progbits
; Kernel info:
; codeLenInByte = 0
; TotalNumSgprs: 0
; NumVgprs: 0
; ScratchSize: 0
; MemoryBound: 0
; FloatMode: 240
; IeeeMode: 1
; LDSByteSize: 0 bytes/workgroup (compile time only)
; SGPRBlocks: 0
; VGPRBlocks: 0
; NumSGPRsForWavesPerEU: 1
; NumVGPRsForWavesPerEU: 1
; Occupancy: 16
; WaveLimiterHint : 0
; COMPUTE_PGM_RSRC2:SCRATCH_EN: 0
; COMPUTE_PGM_RSRC2:USER_SGPR: 2
; COMPUTE_PGM_RSRC2:TRAP_HANDLER: 0
; COMPUTE_PGM_RSRC2:TGID_X_EN: 1
; COMPUTE_PGM_RSRC2:TGID_Y_EN: 0
; COMPUTE_PGM_RSRC2:TGID_Z_EN: 0
; COMPUTE_PGM_RSRC2:TIDIG_COMP_CNT: 0
	.section	.text._ZN7rocprim17ROCPRIM_400000_NS6detail17trampoline_kernelINS0_14default_configENS1_25partition_config_selectorILNS1_17partition_subalgoE5ExNS0_10empty_typeEbEEZZNS1_14partition_implILS5_5ELb0ES3_mN6thrust23THRUST_200600_302600_NS6detail15normal_iteratorINSA_10device_ptrIxEEEEPS6_NSA_18transform_iteratorINSB_9not_fun_tI7is_trueIxEEENSC_INSD_IbEEEENSA_11use_defaultESO_EENS0_5tupleIJSF_S6_EEENSQ_IJSG_SG_EEES6_PlJS6_EEE10hipError_tPvRmT3_T4_T5_T6_T7_T9_mT8_P12ihipStream_tbDpT10_ENKUlT_T0_E_clISt17integral_constantIbLb0EES1D_EEDaS18_S19_EUlS18_E_NS1_11comp_targetILNS1_3genE0ELNS1_11target_archE4294967295ELNS1_3gpuE0ELNS1_3repE0EEENS1_30default_config_static_selectorELNS0_4arch9wavefront6targetE0EEEvT1_,"axG",@progbits,_ZN7rocprim17ROCPRIM_400000_NS6detail17trampoline_kernelINS0_14default_configENS1_25partition_config_selectorILNS1_17partition_subalgoE5ExNS0_10empty_typeEbEEZZNS1_14partition_implILS5_5ELb0ES3_mN6thrust23THRUST_200600_302600_NS6detail15normal_iteratorINSA_10device_ptrIxEEEEPS6_NSA_18transform_iteratorINSB_9not_fun_tI7is_trueIxEEENSC_INSD_IbEEEENSA_11use_defaultESO_EENS0_5tupleIJSF_S6_EEENSQ_IJSG_SG_EEES6_PlJS6_EEE10hipError_tPvRmT3_T4_T5_T6_T7_T9_mT8_P12ihipStream_tbDpT10_ENKUlT_T0_E_clISt17integral_constantIbLb0EES1D_EEDaS18_S19_EUlS18_E_NS1_11comp_targetILNS1_3genE0ELNS1_11target_archE4294967295ELNS1_3gpuE0ELNS1_3repE0EEENS1_30default_config_static_selectorELNS0_4arch9wavefront6targetE0EEEvT1_,comdat
	.protected	_ZN7rocprim17ROCPRIM_400000_NS6detail17trampoline_kernelINS0_14default_configENS1_25partition_config_selectorILNS1_17partition_subalgoE5ExNS0_10empty_typeEbEEZZNS1_14partition_implILS5_5ELb0ES3_mN6thrust23THRUST_200600_302600_NS6detail15normal_iteratorINSA_10device_ptrIxEEEEPS6_NSA_18transform_iteratorINSB_9not_fun_tI7is_trueIxEEENSC_INSD_IbEEEENSA_11use_defaultESO_EENS0_5tupleIJSF_S6_EEENSQ_IJSG_SG_EEES6_PlJS6_EEE10hipError_tPvRmT3_T4_T5_T6_T7_T9_mT8_P12ihipStream_tbDpT10_ENKUlT_T0_E_clISt17integral_constantIbLb0EES1D_EEDaS18_S19_EUlS18_E_NS1_11comp_targetILNS1_3genE0ELNS1_11target_archE4294967295ELNS1_3gpuE0ELNS1_3repE0EEENS1_30default_config_static_selectorELNS0_4arch9wavefront6targetE0EEEvT1_ ; -- Begin function _ZN7rocprim17ROCPRIM_400000_NS6detail17trampoline_kernelINS0_14default_configENS1_25partition_config_selectorILNS1_17partition_subalgoE5ExNS0_10empty_typeEbEEZZNS1_14partition_implILS5_5ELb0ES3_mN6thrust23THRUST_200600_302600_NS6detail15normal_iteratorINSA_10device_ptrIxEEEEPS6_NSA_18transform_iteratorINSB_9not_fun_tI7is_trueIxEEENSC_INSD_IbEEEENSA_11use_defaultESO_EENS0_5tupleIJSF_S6_EEENSQ_IJSG_SG_EEES6_PlJS6_EEE10hipError_tPvRmT3_T4_T5_T6_T7_T9_mT8_P12ihipStream_tbDpT10_ENKUlT_T0_E_clISt17integral_constantIbLb0EES1D_EEDaS18_S19_EUlS18_E_NS1_11comp_targetILNS1_3genE0ELNS1_11target_archE4294967295ELNS1_3gpuE0ELNS1_3repE0EEENS1_30default_config_static_selectorELNS0_4arch9wavefront6targetE0EEEvT1_
	.globl	_ZN7rocprim17ROCPRIM_400000_NS6detail17trampoline_kernelINS0_14default_configENS1_25partition_config_selectorILNS1_17partition_subalgoE5ExNS0_10empty_typeEbEEZZNS1_14partition_implILS5_5ELb0ES3_mN6thrust23THRUST_200600_302600_NS6detail15normal_iteratorINSA_10device_ptrIxEEEEPS6_NSA_18transform_iteratorINSB_9not_fun_tI7is_trueIxEEENSC_INSD_IbEEEENSA_11use_defaultESO_EENS0_5tupleIJSF_S6_EEENSQ_IJSG_SG_EEES6_PlJS6_EEE10hipError_tPvRmT3_T4_T5_T6_T7_T9_mT8_P12ihipStream_tbDpT10_ENKUlT_T0_E_clISt17integral_constantIbLb0EES1D_EEDaS18_S19_EUlS18_E_NS1_11comp_targetILNS1_3genE0ELNS1_11target_archE4294967295ELNS1_3gpuE0ELNS1_3repE0EEENS1_30default_config_static_selectorELNS0_4arch9wavefront6targetE0EEEvT1_
	.p2align	8
	.type	_ZN7rocprim17ROCPRIM_400000_NS6detail17trampoline_kernelINS0_14default_configENS1_25partition_config_selectorILNS1_17partition_subalgoE5ExNS0_10empty_typeEbEEZZNS1_14partition_implILS5_5ELb0ES3_mN6thrust23THRUST_200600_302600_NS6detail15normal_iteratorINSA_10device_ptrIxEEEEPS6_NSA_18transform_iteratorINSB_9not_fun_tI7is_trueIxEEENSC_INSD_IbEEEENSA_11use_defaultESO_EENS0_5tupleIJSF_S6_EEENSQ_IJSG_SG_EEES6_PlJS6_EEE10hipError_tPvRmT3_T4_T5_T6_T7_T9_mT8_P12ihipStream_tbDpT10_ENKUlT_T0_E_clISt17integral_constantIbLb0EES1D_EEDaS18_S19_EUlS18_E_NS1_11comp_targetILNS1_3genE0ELNS1_11target_archE4294967295ELNS1_3gpuE0ELNS1_3repE0EEENS1_30default_config_static_selectorELNS0_4arch9wavefront6targetE0EEEvT1_,@function
_ZN7rocprim17ROCPRIM_400000_NS6detail17trampoline_kernelINS0_14default_configENS1_25partition_config_selectorILNS1_17partition_subalgoE5ExNS0_10empty_typeEbEEZZNS1_14partition_implILS5_5ELb0ES3_mN6thrust23THRUST_200600_302600_NS6detail15normal_iteratorINSA_10device_ptrIxEEEEPS6_NSA_18transform_iteratorINSB_9not_fun_tI7is_trueIxEEENSC_INSD_IbEEEENSA_11use_defaultESO_EENS0_5tupleIJSF_S6_EEENSQ_IJSG_SG_EEES6_PlJS6_EEE10hipError_tPvRmT3_T4_T5_T6_T7_T9_mT8_P12ihipStream_tbDpT10_ENKUlT_T0_E_clISt17integral_constantIbLb0EES1D_EEDaS18_S19_EUlS18_E_NS1_11comp_targetILNS1_3genE0ELNS1_11target_archE4294967295ELNS1_3gpuE0ELNS1_3repE0EEENS1_30default_config_static_selectorELNS0_4arch9wavefront6targetE0EEEvT1_: ; @_ZN7rocprim17ROCPRIM_400000_NS6detail17trampoline_kernelINS0_14default_configENS1_25partition_config_selectorILNS1_17partition_subalgoE5ExNS0_10empty_typeEbEEZZNS1_14partition_implILS5_5ELb0ES3_mN6thrust23THRUST_200600_302600_NS6detail15normal_iteratorINSA_10device_ptrIxEEEEPS6_NSA_18transform_iteratorINSB_9not_fun_tI7is_trueIxEEENSC_INSD_IbEEEENSA_11use_defaultESO_EENS0_5tupleIJSF_S6_EEENSQ_IJSG_SG_EEES6_PlJS6_EEE10hipError_tPvRmT3_T4_T5_T6_T7_T9_mT8_P12ihipStream_tbDpT10_ENKUlT_T0_E_clISt17integral_constantIbLb0EES1D_EEDaS18_S19_EUlS18_E_NS1_11comp_targetILNS1_3genE0ELNS1_11target_archE4294967295ELNS1_3gpuE0ELNS1_3repE0EEENS1_30default_config_static_selectorELNS0_4arch9wavefront6targetE0EEEvT1_
; %bb.0:
	.section	.rodata,"a",@progbits
	.p2align	6, 0x0
	.amdhsa_kernel _ZN7rocprim17ROCPRIM_400000_NS6detail17trampoline_kernelINS0_14default_configENS1_25partition_config_selectorILNS1_17partition_subalgoE5ExNS0_10empty_typeEbEEZZNS1_14partition_implILS5_5ELb0ES3_mN6thrust23THRUST_200600_302600_NS6detail15normal_iteratorINSA_10device_ptrIxEEEEPS6_NSA_18transform_iteratorINSB_9not_fun_tI7is_trueIxEEENSC_INSD_IbEEEENSA_11use_defaultESO_EENS0_5tupleIJSF_S6_EEENSQ_IJSG_SG_EEES6_PlJS6_EEE10hipError_tPvRmT3_T4_T5_T6_T7_T9_mT8_P12ihipStream_tbDpT10_ENKUlT_T0_E_clISt17integral_constantIbLb0EES1D_EEDaS18_S19_EUlS18_E_NS1_11comp_targetILNS1_3genE0ELNS1_11target_archE4294967295ELNS1_3gpuE0ELNS1_3repE0EEENS1_30default_config_static_selectorELNS0_4arch9wavefront6targetE0EEEvT1_
		.amdhsa_group_segment_fixed_size 0
		.amdhsa_private_segment_fixed_size 0
		.amdhsa_kernarg_size 120
		.amdhsa_user_sgpr_count 2
		.amdhsa_user_sgpr_dispatch_ptr 0
		.amdhsa_user_sgpr_queue_ptr 0
		.amdhsa_user_sgpr_kernarg_segment_ptr 1
		.amdhsa_user_sgpr_dispatch_id 0
		.amdhsa_user_sgpr_private_segment_size 0
		.amdhsa_wavefront_size32 1
		.amdhsa_uses_dynamic_stack 0
		.amdhsa_enable_private_segment 0
		.amdhsa_system_sgpr_workgroup_id_x 1
		.amdhsa_system_sgpr_workgroup_id_y 0
		.amdhsa_system_sgpr_workgroup_id_z 0
		.amdhsa_system_sgpr_workgroup_info 0
		.amdhsa_system_vgpr_workitem_id 0
		.amdhsa_next_free_vgpr 1
		.amdhsa_next_free_sgpr 1
		.amdhsa_reserve_vcc 0
		.amdhsa_float_round_mode_32 0
		.amdhsa_float_round_mode_16_64 0
		.amdhsa_float_denorm_mode_32 3
		.amdhsa_float_denorm_mode_16_64 3
		.amdhsa_fp16_overflow 0
		.amdhsa_workgroup_processor_mode 1
		.amdhsa_memory_ordered 1
		.amdhsa_forward_progress 1
		.amdhsa_inst_pref_size 0
		.amdhsa_round_robin_scheduling 0
		.amdhsa_exception_fp_ieee_invalid_op 0
		.amdhsa_exception_fp_denorm_src 0
		.amdhsa_exception_fp_ieee_div_zero 0
		.amdhsa_exception_fp_ieee_overflow 0
		.amdhsa_exception_fp_ieee_underflow 0
		.amdhsa_exception_fp_ieee_inexact 0
		.amdhsa_exception_int_div_zero 0
	.end_amdhsa_kernel
	.section	.text._ZN7rocprim17ROCPRIM_400000_NS6detail17trampoline_kernelINS0_14default_configENS1_25partition_config_selectorILNS1_17partition_subalgoE5ExNS0_10empty_typeEbEEZZNS1_14partition_implILS5_5ELb0ES3_mN6thrust23THRUST_200600_302600_NS6detail15normal_iteratorINSA_10device_ptrIxEEEEPS6_NSA_18transform_iteratorINSB_9not_fun_tI7is_trueIxEEENSC_INSD_IbEEEENSA_11use_defaultESO_EENS0_5tupleIJSF_S6_EEENSQ_IJSG_SG_EEES6_PlJS6_EEE10hipError_tPvRmT3_T4_T5_T6_T7_T9_mT8_P12ihipStream_tbDpT10_ENKUlT_T0_E_clISt17integral_constantIbLb0EES1D_EEDaS18_S19_EUlS18_E_NS1_11comp_targetILNS1_3genE0ELNS1_11target_archE4294967295ELNS1_3gpuE0ELNS1_3repE0EEENS1_30default_config_static_selectorELNS0_4arch9wavefront6targetE0EEEvT1_,"axG",@progbits,_ZN7rocprim17ROCPRIM_400000_NS6detail17trampoline_kernelINS0_14default_configENS1_25partition_config_selectorILNS1_17partition_subalgoE5ExNS0_10empty_typeEbEEZZNS1_14partition_implILS5_5ELb0ES3_mN6thrust23THRUST_200600_302600_NS6detail15normal_iteratorINSA_10device_ptrIxEEEEPS6_NSA_18transform_iteratorINSB_9not_fun_tI7is_trueIxEEENSC_INSD_IbEEEENSA_11use_defaultESO_EENS0_5tupleIJSF_S6_EEENSQ_IJSG_SG_EEES6_PlJS6_EEE10hipError_tPvRmT3_T4_T5_T6_T7_T9_mT8_P12ihipStream_tbDpT10_ENKUlT_T0_E_clISt17integral_constantIbLb0EES1D_EEDaS18_S19_EUlS18_E_NS1_11comp_targetILNS1_3genE0ELNS1_11target_archE4294967295ELNS1_3gpuE0ELNS1_3repE0EEENS1_30default_config_static_selectorELNS0_4arch9wavefront6targetE0EEEvT1_,comdat
.Lfunc_end2493:
	.size	_ZN7rocprim17ROCPRIM_400000_NS6detail17trampoline_kernelINS0_14default_configENS1_25partition_config_selectorILNS1_17partition_subalgoE5ExNS0_10empty_typeEbEEZZNS1_14partition_implILS5_5ELb0ES3_mN6thrust23THRUST_200600_302600_NS6detail15normal_iteratorINSA_10device_ptrIxEEEEPS6_NSA_18transform_iteratorINSB_9not_fun_tI7is_trueIxEEENSC_INSD_IbEEEENSA_11use_defaultESO_EENS0_5tupleIJSF_S6_EEENSQ_IJSG_SG_EEES6_PlJS6_EEE10hipError_tPvRmT3_T4_T5_T6_T7_T9_mT8_P12ihipStream_tbDpT10_ENKUlT_T0_E_clISt17integral_constantIbLb0EES1D_EEDaS18_S19_EUlS18_E_NS1_11comp_targetILNS1_3genE0ELNS1_11target_archE4294967295ELNS1_3gpuE0ELNS1_3repE0EEENS1_30default_config_static_selectorELNS0_4arch9wavefront6targetE0EEEvT1_, .Lfunc_end2493-_ZN7rocprim17ROCPRIM_400000_NS6detail17trampoline_kernelINS0_14default_configENS1_25partition_config_selectorILNS1_17partition_subalgoE5ExNS0_10empty_typeEbEEZZNS1_14partition_implILS5_5ELb0ES3_mN6thrust23THRUST_200600_302600_NS6detail15normal_iteratorINSA_10device_ptrIxEEEEPS6_NSA_18transform_iteratorINSB_9not_fun_tI7is_trueIxEEENSC_INSD_IbEEEENSA_11use_defaultESO_EENS0_5tupleIJSF_S6_EEENSQ_IJSG_SG_EEES6_PlJS6_EEE10hipError_tPvRmT3_T4_T5_T6_T7_T9_mT8_P12ihipStream_tbDpT10_ENKUlT_T0_E_clISt17integral_constantIbLb0EES1D_EEDaS18_S19_EUlS18_E_NS1_11comp_targetILNS1_3genE0ELNS1_11target_archE4294967295ELNS1_3gpuE0ELNS1_3repE0EEENS1_30default_config_static_selectorELNS0_4arch9wavefront6targetE0EEEvT1_
                                        ; -- End function
	.set _ZN7rocprim17ROCPRIM_400000_NS6detail17trampoline_kernelINS0_14default_configENS1_25partition_config_selectorILNS1_17partition_subalgoE5ExNS0_10empty_typeEbEEZZNS1_14partition_implILS5_5ELb0ES3_mN6thrust23THRUST_200600_302600_NS6detail15normal_iteratorINSA_10device_ptrIxEEEEPS6_NSA_18transform_iteratorINSB_9not_fun_tI7is_trueIxEEENSC_INSD_IbEEEENSA_11use_defaultESO_EENS0_5tupleIJSF_S6_EEENSQ_IJSG_SG_EEES6_PlJS6_EEE10hipError_tPvRmT3_T4_T5_T6_T7_T9_mT8_P12ihipStream_tbDpT10_ENKUlT_T0_E_clISt17integral_constantIbLb0EES1D_EEDaS18_S19_EUlS18_E_NS1_11comp_targetILNS1_3genE0ELNS1_11target_archE4294967295ELNS1_3gpuE0ELNS1_3repE0EEENS1_30default_config_static_selectorELNS0_4arch9wavefront6targetE0EEEvT1_.num_vgpr, 0
	.set _ZN7rocprim17ROCPRIM_400000_NS6detail17trampoline_kernelINS0_14default_configENS1_25partition_config_selectorILNS1_17partition_subalgoE5ExNS0_10empty_typeEbEEZZNS1_14partition_implILS5_5ELb0ES3_mN6thrust23THRUST_200600_302600_NS6detail15normal_iteratorINSA_10device_ptrIxEEEEPS6_NSA_18transform_iteratorINSB_9not_fun_tI7is_trueIxEEENSC_INSD_IbEEEENSA_11use_defaultESO_EENS0_5tupleIJSF_S6_EEENSQ_IJSG_SG_EEES6_PlJS6_EEE10hipError_tPvRmT3_T4_T5_T6_T7_T9_mT8_P12ihipStream_tbDpT10_ENKUlT_T0_E_clISt17integral_constantIbLb0EES1D_EEDaS18_S19_EUlS18_E_NS1_11comp_targetILNS1_3genE0ELNS1_11target_archE4294967295ELNS1_3gpuE0ELNS1_3repE0EEENS1_30default_config_static_selectorELNS0_4arch9wavefront6targetE0EEEvT1_.num_agpr, 0
	.set _ZN7rocprim17ROCPRIM_400000_NS6detail17trampoline_kernelINS0_14default_configENS1_25partition_config_selectorILNS1_17partition_subalgoE5ExNS0_10empty_typeEbEEZZNS1_14partition_implILS5_5ELb0ES3_mN6thrust23THRUST_200600_302600_NS6detail15normal_iteratorINSA_10device_ptrIxEEEEPS6_NSA_18transform_iteratorINSB_9not_fun_tI7is_trueIxEEENSC_INSD_IbEEEENSA_11use_defaultESO_EENS0_5tupleIJSF_S6_EEENSQ_IJSG_SG_EEES6_PlJS6_EEE10hipError_tPvRmT3_T4_T5_T6_T7_T9_mT8_P12ihipStream_tbDpT10_ENKUlT_T0_E_clISt17integral_constantIbLb0EES1D_EEDaS18_S19_EUlS18_E_NS1_11comp_targetILNS1_3genE0ELNS1_11target_archE4294967295ELNS1_3gpuE0ELNS1_3repE0EEENS1_30default_config_static_selectorELNS0_4arch9wavefront6targetE0EEEvT1_.numbered_sgpr, 0
	.set _ZN7rocprim17ROCPRIM_400000_NS6detail17trampoline_kernelINS0_14default_configENS1_25partition_config_selectorILNS1_17partition_subalgoE5ExNS0_10empty_typeEbEEZZNS1_14partition_implILS5_5ELb0ES3_mN6thrust23THRUST_200600_302600_NS6detail15normal_iteratorINSA_10device_ptrIxEEEEPS6_NSA_18transform_iteratorINSB_9not_fun_tI7is_trueIxEEENSC_INSD_IbEEEENSA_11use_defaultESO_EENS0_5tupleIJSF_S6_EEENSQ_IJSG_SG_EEES6_PlJS6_EEE10hipError_tPvRmT3_T4_T5_T6_T7_T9_mT8_P12ihipStream_tbDpT10_ENKUlT_T0_E_clISt17integral_constantIbLb0EES1D_EEDaS18_S19_EUlS18_E_NS1_11comp_targetILNS1_3genE0ELNS1_11target_archE4294967295ELNS1_3gpuE0ELNS1_3repE0EEENS1_30default_config_static_selectorELNS0_4arch9wavefront6targetE0EEEvT1_.num_named_barrier, 0
	.set _ZN7rocprim17ROCPRIM_400000_NS6detail17trampoline_kernelINS0_14default_configENS1_25partition_config_selectorILNS1_17partition_subalgoE5ExNS0_10empty_typeEbEEZZNS1_14partition_implILS5_5ELb0ES3_mN6thrust23THRUST_200600_302600_NS6detail15normal_iteratorINSA_10device_ptrIxEEEEPS6_NSA_18transform_iteratorINSB_9not_fun_tI7is_trueIxEEENSC_INSD_IbEEEENSA_11use_defaultESO_EENS0_5tupleIJSF_S6_EEENSQ_IJSG_SG_EEES6_PlJS6_EEE10hipError_tPvRmT3_T4_T5_T6_T7_T9_mT8_P12ihipStream_tbDpT10_ENKUlT_T0_E_clISt17integral_constantIbLb0EES1D_EEDaS18_S19_EUlS18_E_NS1_11comp_targetILNS1_3genE0ELNS1_11target_archE4294967295ELNS1_3gpuE0ELNS1_3repE0EEENS1_30default_config_static_selectorELNS0_4arch9wavefront6targetE0EEEvT1_.private_seg_size, 0
	.set _ZN7rocprim17ROCPRIM_400000_NS6detail17trampoline_kernelINS0_14default_configENS1_25partition_config_selectorILNS1_17partition_subalgoE5ExNS0_10empty_typeEbEEZZNS1_14partition_implILS5_5ELb0ES3_mN6thrust23THRUST_200600_302600_NS6detail15normal_iteratorINSA_10device_ptrIxEEEEPS6_NSA_18transform_iteratorINSB_9not_fun_tI7is_trueIxEEENSC_INSD_IbEEEENSA_11use_defaultESO_EENS0_5tupleIJSF_S6_EEENSQ_IJSG_SG_EEES6_PlJS6_EEE10hipError_tPvRmT3_T4_T5_T6_T7_T9_mT8_P12ihipStream_tbDpT10_ENKUlT_T0_E_clISt17integral_constantIbLb0EES1D_EEDaS18_S19_EUlS18_E_NS1_11comp_targetILNS1_3genE0ELNS1_11target_archE4294967295ELNS1_3gpuE0ELNS1_3repE0EEENS1_30default_config_static_selectorELNS0_4arch9wavefront6targetE0EEEvT1_.uses_vcc, 0
	.set _ZN7rocprim17ROCPRIM_400000_NS6detail17trampoline_kernelINS0_14default_configENS1_25partition_config_selectorILNS1_17partition_subalgoE5ExNS0_10empty_typeEbEEZZNS1_14partition_implILS5_5ELb0ES3_mN6thrust23THRUST_200600_302600_NS6detail15normal_iteratorINSA_10device_ptrIxEEEEPS6_NSA_18transform_iteratorINSB_9not_fun_tI7is_trueIxEEENSC_INSD_IbEEEENSA_11use_defaultESO_EENS0_5tupleIJSF_S6_EEENSQ_IJSG_SG_EEES6_PlJS6_EEE10hipError_tPvRmT3_T4_T5_T6_T7_T9_mT8_P12ihipStream_tbDpT10_ENKUlT_T0_E_clISt17integral_constantIbLb0EES1D_EEDaS18_S19_EUlS18_E_NS1_11comp_targetILNS1_3genE0ELNS1_11target_archE4294967295ELNS1_3gpuE0ELNS1_3repE0EEENS1_30default_config_static_selectorELNS0_4arch9wavefront6targetE0EEEvT1_.uses_flat_scratch, 0
	.set _ZN7rocprim17ROCPRIM_400000_NS6detail17trampoline_kernelINS0_14default_configENS1_25partition_config_selectorILNS1_17partition_subalgoE5ExNS0_10empty_typeEbEEZZNS1_14partition_implILS5_5ELb0ES3_mN6thrust23THRUST_200600_302600_NS6detail15normal_iteratorINSA_10device_ptrIxEEEEPS6_NSA_18transform_iteratorINSB_9not_fun_tI7is_trueIxEEENSC_INSD_IbEEEENSA_11use_defaultESO_EENS0_5tupleIJSF_S6_EEENSQ_IJSG_SG_EEES6_PlJS6_EEE10hipError_tPvRmT3_T4_T5_T6_T7_T9_mT8_P12ihipStream_tbDpT10_ENKUlT_T0_E_clISt17integral_constantIbLb0EES1D_EEDaS18_S19_EUlS18_E_NS1_11comp_targetILNS1_3genE0ELNS1_11target_archE4294967295ELNS1_3gpuE0ELNS1_3repE0EEENS1_30default_config_static_selectorELNS0_4arch9wavefront6targetE0EEEvT1_.has_dyn_sized_stack, 0
	.set _ZN7rocprim17ROCPRIM_400000_NS6detail17trampoline_kernelINS0_14default_configENS1_25partition_config_selectorILNS1_17partition_subalgoE5ExNS0_10empty_typeEbEEZZNS1_14partition_implILS5_5ELb0ES3_mN6thrust23THRUST_200600_302600_NS6detail15normal_iteratorINSA_10device_ptrIxEEEEPS6_NSA_18transform_iteratorINSB_9not_fun_tI7is_trueIxEEENSC_INSD_IbEEEENSA_11use_defaultESO_EENS0_5tupleIJSF_S6_EEENSQ_IJSG_SG_EEES6_PlJS6_EEE10hipError_tPvRmT3_T4_T5_T6_T7_T9_mT8_P12ihipStream_tbDpT10_ENKUlT_T0_E_clISt17integral_constantIbLb0EES1D_EEDaS18_S19_EUlS18_E_NS1_11comp_targetILNS1_3genE0ELNS1_11target_archE4294967295ELNS1_3gpuE0ELNS1_3repE0EEENS1_30default_config_static_selectorELNS0_4arch9wavefront6targetE0EEEvT1_.has_recursion, 0
	.set _ZN7rocprim17ROCPRIM_400000_NS6detail17trampoline_kernelINS0_14default_configENS1_25partition_config_selectorILNS1_17partition_subalgoE5ExNS0_10empty_typeEbEEZZNS1_14partition_implILS5_5ELb0ES3_mN6thrust23THRUST_200600_302600_NS6detail15normal_iteratorINSA_10device_ptrIxEEEEPS6_NSA_18transform_iteratorINSB_9not_fun_tI7is_trueIxEEENSC_INSD_IbEEEENSA_11use_defaultESO_EENS0_5tupleIJSF_S6_EEENSQ_IJSG_SG_EEES6_PlJS6_EEE10hipError_tPvRmT3_T4_T5_T6_T7_T9_mT8_P12ihipStream_tbDpT10_ENKUlT_T0_E_clISt17integral_constantIbLb0EES1D_EEDaS18_S19_EUlS18_E_NS1_11comp_targetILNS1_3genE0ELNS1_11target_archE4294967295ELNS1_3gpuE0ELNS1_3repE0EEENS1_30default_config_static_selectorELNS0_4arch9wavefront6targetE0EEEvT1_.has_indirect_call, 0
	.section	.AMDGPU.csdata,"",@progbits
; Kernel info:
; codeLenInByte = 0
; TotalNumSgprs: 0
; NumVgprs: 0
; ScratchSize: 0
; MemoryBound: 0
; FloatMode: 240
; IeeeMode: 1
; LDSByteSize: 0 bytes/workgroup (compile time only)
; SGPRBlocks: 0
; VGPRBlocks: 0
; NumSGPRsForWavesPerEU: 1
; NumVGPRsForWavesPerEU: 1
; Occupancy: 16
; WaveLimiterHint : 0
; COMPUTE_PGM_RSRC2:SCRATCH_EN: 0
; COMPUTE_PGM_RSRC2:USER_SGPR: 2
; COMPUTE_PGM_RSRC2:TRAP_HANDLER: 0
; COMPUTE_PGM_RSRC2:TGID_X_EN: 1
; COMPUTE_PGM_RSRC2:TGID_Y_EN: 0
; COMPUTE_PGM_RSRC2:TGID_Z_EN: 0
; COMPUTE_PGM_RSRC2:TIDIG_COMP_CNT: 0
	.section	.text._ZN7rocprim17ROCPRIM_400000_NS6detail17trampoline_kernelINS0_14default_configENS1_25partition_config_selectorILNS1_17partition_subalgoE5ExNS0_10empty_typeEbEEZZNS1_14partition_implILS5_5ELb0ES3_mN6thrust23THRUST_200600_302600_NS6detail15normal_iteratorINSA_10device_ptrIxEEEEPS6_NSA_18transform_iteratorINSB_9not_fun_tI7is_trueIxEEENSC_INSD_IbEEEENSA_11use_defaultESO_EENS0_5tupleIJSF_S6_EEENSQ_IJSG_SG_EEES6_PlJS6_EEE10hipError_tPvRmT3_T4_T5_T6_T7_T9_mT8_P12ihipStream_tbDpT10_ENKUlT_T0_E_clISt17integral_constantIbLb0EES1D_EEDaS18_S19_EUlS18_E_NS1_11comp_targetILNS1_3genE5ELNS1_11target_archE942ELNS1_3gpuE9ELNS1_3repE0EEENS1_30default_config_static_selectorELNS0_4arch9wavefront6targetE0EEEvT1_,"axG",@progbits,_ZN7rocprim17ROCPRIM_400000_NS6detail17trampoline_kernelINS0_14default_configENS1_25partition_config_selectorILNS1_17partition_subalgoE5ExNS0_10empty_typeEbEEZZNS1_14partition_implILS5_5ELb0ES3_mN6thrust23THRUST_200600_302600_NS6detail15normal_iteratorINSA_10device_ptrIxEEEEPS6_NSA_18transform_iteratorINSB_9not_fun_tI7is_trueIxEEENSC_INSD_IbEEEENSA_11use_defaultESO_EENS0_5tupleIJSF_S6_EEENSQ_IJSG_SG_EEES6_PlJS6_EEE10hipError_tPvRmT3_T4_T5_T6_T7_T9_mT8_P12ihipStream_tbDpT10_ENKUlT_T0_E_clISt17integral_constantIbLb0EES1D_EEDaS18_S19_EUlS18_E_NS1_11comp_targetILNS1_3genE5ELNS1_11target_archE942ELNS1_3gpuE9ELNS1_3repE0EEENS1_30default_config_static_selectorELNS0_4arch9wavefront6targetE0EEEvT1_,comdat
	.protected	_ZN7rocprim17ROCPRIM_400000_NS6detail17trampoline_kernelINS0_14default_configENS1_25partition_config_selectorILNS1_17partition_subalgoE5ExNS0_10empty_typeEbEEZZNS1_14partition_implILS5_5ELb0ES3_mN6thrust23THRUST_200600_302600_NS6detail15normal_iteratorINSA_10device_ptrIxEEEEPS6_NSA_18transform_iteratorINSB_9not_fun_tI7is_trueIxEEENSC_INSD_IbEEEENSA_11use_defaultESO_EENS0_5tupleIJSF_S6_EEENSQ_IJSG_SG_EEES6_PlJS6_EEE10hipError_tPvRmT3_T4_T5_T6_T7_T9_mT8_P12ihipStream_tbDpT10_ENKUlT_T0_E_clISt17integral_constantIbLb0EES1D_EEDaS18_S19_EUlS18_E_NS1_11comp_targetILNS1_3genE5ELNS1_11target_archE942ELNS1_3gpuE9ELNS1_3repE0EEENS1_30default_config_static_selectorELNS0_4arch9wavefront6targetE0EEEvT1_ ; -- Begin function _ZN7rocprim17ROCPRIM_400000_NS6detail17trampoline_kernelINS0_14default_configENS1_25partition_config_selectorILNS1_17partition_subalgoE5ExNS0_10empty_typeEbEEZZNS1_14partition_implILS5_5ELb0ES3_mN6thrust23THRUST_200600_302600_NS6detail15normal_iteratorINSA_10device_ptrIxEEEEPS6_NSA_18transform_iteratorINSB_9not_fun_tI7is_trueIxEEENSC_INSD_IbEEEENSA_11use_defaultESO_EENS0_5tupleIJSF_S6_EEENSQ_IJSG_SG_EEES6_PlJS6_EEE10hipError_tPvRmT3_T4_T5_T6_T7_T9_mT8_P12ihipStream_tbDpT10_ENKUlT_T0_E_clISt17integral_constantIbLb0EES1D_EEDaS18_S19_EUlS18_E_NS1_11comp_targetILNS1_3genE5ELNS1_11target_archE942ELNS1_3gpuE9ELNS1_3repE0EEENS1_30default_config_static_selectorELNS0_4arch9wavefront6targetE0EEEvT1_
	.globl	_ZN7rocprim17ROCPRIM_400000_NS6detail17trampoline_kernelINS0_14default_configENS1_25partition_config_selectorILNS1_17partition_subalgoE5ExNS0_10empty_typeEbEEZZNS1_14partition_implILS5_5ELb0ES3_mN6thrust23THRUST_200600_302600_NS6detail15normal_iteratorINSA_10device_ptrIxEEEEPS6_NSA_18transform_iteratorINSB_9not_fun_tI7is_trueIxEEENSC_INSD_IbEEEENSA_11use_defaultESO_EENS0_5tupleIJSF_S6_EEENSQ_IJSG_SG_EEES6_PlJS6_EEE10hipError_tPvRmT3_T4_T5_T6_T7_T9_mT8_P12ihipStream_tbDpT10_ENKUlT_T0_E_clISt17integral_constantIbLb0EES1D_EEDaS18_S19_EUlS18_E_NS1_11comp_targetILNS1_3genE5ELNS1_11target_archE942ELNS1_3gpuE9ELNS1_3repE0EEENS1_30default_config_static_selectorELNS0_4arch9wavefront6targetE0EEEvT1_
	.p2align	8
	.type	_ZN7rocprim17ROCPRIM_400000_NS6detail17trampoline_kernelINS0_14default_configENS1_25partition_config_selectorILNS1_17partition_subalgoE5ExNS0_10empty_typeEbEEZZNS1_14partition_implILS5_5ELb0ES3_mN6thrust23THRUST_200600_302600_NS6detail15normal_iteratorINSA_10device_ptrIxEEEEPS6_NSA_18transform_iteratorINSB_9not_fun_tI7is_trueIxEEENSC_INSD_IbEEEENSA_11use_defaultESO_EENS0_5tupleIJSF_S6_EEENSQ_IJSG_SG_EEES6_PlJS6_EEE10hipError_tPvRmT3_T4_T5_T6_T7_T9_mT8_P12ihipStream_tbDpT10_ENKUlT_T0_E_clISt17integral_constantIbLb0EES1D_EEDaS18_S19_EUlS18_E_NS1_11comp_targetILNS1_3genE5ELNS1_11target_archE942ELNS1_3gpuE9ELNS1_3repE0EEENS1_30default_config_static_selectorELNS0_4arch9wavefront6targetE0EEEvT1_,@function
_ZN7rocprim17ROCPRIM_400000_NS6detail17trampoline_kernelINS0_14default_configENS1_25partition_config_selectorILNS1_17partition_subalgoE5ExNS0_10empty_typeEbEEZZNS1_14partition_implILS5_5ELb0ES3_mN6thrust23THRUST_200600_302600_NS6detail15normal_iteratorINSA_10device_ptrIxEEEEPS6_NSA_18transform_iteratorINSB_9not_fun_tI7is_trueIxEEENSC_INSD_IbEEEENSA_11use_defaultESO_EENS0_5tupleIJSF_S6_EEENSQ_IJSG_SG_EEES6_PlJS6_EEE10hipError_tPvRmT3_T4_T5_T6_T7_T9_mT8_P12ihipStream_tbDpT10_ENKUlT_T0_E_clISt17integral_constantIbLb0EES1D_EEDaS18_S19_EUlS18_E_NS1_11comp_targetILNS1_3genE5ELNS1_11target_archE942ELNS1_3gpuE9ELNS1_3repE0EEENS1_30default_config_static_selectorELNS0_4arch9wavefront6targetE0EEEvT1_: ; @_ZN7rocprim17ROCPRIM_400000_NS6detail17trampoline_kernelINS0_14default_configENS1_25partition_config_selectorILNS1_17partition_subalgoE5ExNS0_10empty_typeEbEEZZNS1_14partition_implILS5_5ELb0ES3_mN6thrust23THRUST_200600_302600_NS6detail15normal_iteratorINSA_10device_ptrIxEEEEPS6_NSA_18transform_iteratorINSB_9not_fun_tI7is_trueIxEEENSC_INSD_IbEEEENSA_11use_defaultESO_EENS0_5tupleIJSF_S6_EEENSQ_IJSG_SG_EEES6_PlJS6_EEE10hipError_tPvRmT3_T4_T5_T6_T7_T9_mT8_P12ihipStream_tbDpT10_ENKUlT_T0_E_clISt17integral_constantIbLb0EES1D_EEDaS18_S19_EUlS18_E_NS1_11comp_targetILNS1_3genE5ELNS1_11target_archE942ELNS1_3gpuE9ELNS1_3repE0EEENS1_30default_config_static_selectorELNS0_4arch9wavefront6targetE0EEEvT1_
; %bb.0:
	.section	.rodata,"a",@progbits
	.p2align	6, 0x0
	.amdhsa_kernel _ZN7rocprim17ROCPRIM_400000_NS6detail17trampoline_kernelINS0_14default_configENS1_25partition_config_selectorILNS1_17partition_subalgoE5ExNS0_10empty_typeEbEEZZNS1_14partition_implILS5_5ELb0ES3_mN6thrust23THRUST_200600_302600_NS6detail15normal_iteratorINSA_10device_ptrIxEEEEPS6_NSA_18transform_iteratorINSB_9not_fun_tI7is_trueIxEEENSC_INSD_IbEEEENSA_11use_defaultESO_EENS0_5tupleIJSF_S6_EEENSQ_IJSG_SG_EEES6_PlJS6_EEE10hipError_tPvRmT3_T4_T5_T6_T7_T9_mT8_P12ihipStream_tbDpT10_ENKUlT_T0_E_clISt17integral_constantIbLb0EES1D_EEDaS18_S19_EUlS18_E_NS1_11comp_targetILNS1_3genE5ELNS1_11target_archE942ELNS1_3gpuE9ELNS1_3repE0EEENS1_30default_config_static_selectorELNS0_4arch9wavefront6targetE0EEEvT1_
		.amdhsa_group_segment_fixed_size 0
		.amdhsa_private_segment_fixed_size 0
		.amdhsa_kernarg_size 120
		.amdhsa_user_sgpr_count 2
		.amdhsa_user_sgpr_dispatch_ptr 0
		.amdhsa_user_sgpr_queue_ptr 0
		.amdhsa_user_sgpr_kernarg_segment_ptr 1
		.amdhsa_user_sgpr_dispatch_id 0
		.amdhsa_user_sgpr_private_segment_size 0
		.amdhsa_wavefront_size32 1
		.amdhsa_uses_dynamic_stack 0
		.amdhsa_enable_private_segment 0
		.amdhsa_system_sgpr_workgroup_id_x 1
		.amdhsa_system_sgpr_workgroup_id_y 0
		.amdhsa_system_sgpr_workgroup_id_z 0
		.amdhsa_system_sgpr_workgroup_info 0
		.amdhsa_system_vgpr_workitem_id 0
		.amdhsa_next_free_vgpr 1
		.amdhsa_next_free_sgpr 1
		.amdhsa_reserve_vcc 0
		.amdhsa_float_round_mode_32 0
		.amdhsa_float_round_mode_16_64 0
		.amdhsa_float_denorm_mode_32 3
		.amdhsa_float_denorm_mode_16_64 3
		.amdhsa_fp16_overflow 0
		.amdhsa_workgroup_processor_mode 1
		.amdhsa_memory_ordered 1
		.amdhsa_forward_progress 1
		.amdhsa_inst_pref_size 0
		.amdhsa_round_robin_scheduling 0
		.amdhsa_exception_fp_ieee_invalid_op 0
		.amdhsa_exception_fp_denorm_src 0
		.amdhsa_exception_fp_ieee_div_zero 0
		.amdhsa_exception_fp_ieee_overflow 0
		.amdhsa_exception_fp_ieee_underflow 0
		.amdhsa_exception_fp_ieee_inexact 0
		.amdhsa_exception_int_div_zero 0
	.end_amdhsa_kernel
	.section	.text._ZN7rocprim17ROCPRIM_400000_NS6detail17trampoline_kernelINS0_14default_configENS1_25partition_config_selectorILNS1_17partition_subalgoE5ExNS0_10empty_typeEbEEZZNS1_14partition_implILS5_5ELb0ES3_mN6thrust23THRUST_200600_302600_NS6detail15normal_iteratorINSA_10device_ptrIxEEEEPS6_NSA_18transform_iteratorINSB_9not_fun_tI7is_trueIxEEENSC_INSD_IbEEEENSA_11use_defaultESO_EENS0_5tupleIJSF_S6_EEENSQ_IJSG_SG_EEES6_PlJS6_EEE10hipError_tPvRmT3_T4_T5_T6_T7_T9_mT8_P12ihipStream_tbDpT10_ENKUlT_T0_E_clISt17integral_constantIbLb0EES1D_EEDaS18_S19_EUlS18_E_NS1_11comp_targetILNS1_3genE5ELNS1_11target_archE942ELNS1_3gpuE9ELNS1_3repE0EEENS1_30default_config_static_selectorELNS0_4arch9wavefront6targetE0EEEvT1_,"axG",@progbits,_ZN7rocprim17ROCPRIM_400000_NS6detail17trampoline_kernelINS0_14default_configENS1_25partition_config_selectorILNS1_17partition_subalgoE5ExNS0_10empty_typeEbEEZZNS1_14partition_implILS5_5ELb0ES3_mN6thrust23THRUST_200600_302600_NS6detail15normal_iteratorINSA_10device_ptrIxEEEEPS6_NSA_18transform_iteratorINSB_9not_fun_tI7is_trueIxEEENSC_INSD_IbEEEENSA_11use_defaultESO_EENS0_5tupleIJSF_S6_EEENSQ_IJSG_SG_EEES6_PlJS6_EEE10hipError_tPvRmT3_T4_T5_T6_T7_T9_mT8_P12ihipStream_tbDpT10_ENKUlT_T0_E_clISt17integral_constantIbLb0EES1D_EEDaS18_S19_EUlS18_E_NS1_11comp_targetILNS1_3genE5ELNS1_11target_archE942ELNS1_3gpuE9ELNS1_3repE0EEENS1_30default_config_static_selectorELNS0_4arch9wavefront6targetE0EEEvT1_,comdat
.Lfunc_end2494:
	.size	_ZN7rocprim17ROCPRIM_400000_NS6detail17trampoline_kernelINS0_14default_configENS1_25partition_config_selectorILNS1_17partition_subalgoE5ExNS0_10empty_typeEbEEZZNS1_14partition_implILS5_5ELb0ES3_mN6thrust23THRUST_200600_302600_NS6detail15normal_iteratorINSA_10device_ptrIxEEEEPS6_NSA_18transform_iteratorINSB_9not_fun_tI7is_trueIxEEENSC_INSD_IbEEEENSA_11use_defaultESO_EENS0_5tupleIJSF_S6_EEENSQ_IJSG_SG_EEES6_PlJS6_EEE10hipError_tPvRmT3_T4_T5_T6_T7_T9_mT8_P12ihipStream_tbDpT10_ENKUlT_T0_E_clISt17integral_constantIbLb0EES1D_EEDaS18_S19_EUlS18_E_NS1_11comp_targetILNS1_3genE5ELNS1_11target_archE942ELNS1_3gpuE9ELNS1_3repE0EEENS1_30default_config_static_selectorELNS0_4arch9wavefront6targetE0EEEvT1_, .Lfunc_end2494-_ZN7rocprim17ROCPRIM_400000_NS6detail17trampoline_kernelINS0_14default_configENS1_25partition_config_selectorILNS1_17partition_subalgoE5ExNS0_10empty_typeEbEEZZNS1_14partition_implILS5_5ELb0ES3_mN6thrust23THRUST_200600_302600_NS6detail15normal_iteratorINSA_10device_ptrIxEEEEPS6_NSA_18transform_iteratorINSB_9not_fun_tI7is_trueIxEEENSC_INSD_IbEEEENSA_11use_defaultESO_EENS0_5tupleIJSF_S6_EEENSQ_IJSG_SG_EEES6_PlJS6_EEE10hipError_tPvRmT3_T4_T5_T6_T7_T9_mT8_P12ihipStream_tbDpT10_ENKUlT_T0_E_clISt17integral_constantIbLb0EES1D_EEDaS18_S19_EUlS18_E_NS1_11comp_targetILNS1_3genE5ELNS1_11target_archE942ELNS1_3gpuE9ELNS1_3repE0EEENS1_30default_config_static_selectorELNS0_4arch9wavefront6targetE0EEEvT1_
                                        ; -- End function
	.set _ZN7rocprim17ROCPRIM_400000_NS6detail17trampoline_kernelINS0_14default_configENS1_25partition_config_selectorILNS1_17partition_subalgoE5ExNS0_10empty_typeEbEEZZNS1_14partition_implILS5_5ELb0ES3_mN6thrust23THRUST_200600_302600_NS6detail15normal_iteratorINSA_10device_ptrIxEEEEPS6_NSA_18transform_iteratorINSB_9not_fun_tI7is_trueIxEEENSC_INSD_IbEEEENSA_11use_defaultESO_EENS0_5tupleIJSF_S6_EEENSQ_IJSG_SG_EEES6_PlJS6_EEE10hipError_tPvRmT3_T4_T5_T6_T7_T9_mT8_P12ihipStream_tbDpT10_ENKUlT_T0_E_clISt17integral_constantIbLb0EES1D_EEDaS18_S19_EUlS18_E_NS1_11comp_targetILNS1_3genE5ELNS1_11target_archE942ELNS1_3gpuE9ELNS1_3repE0EEENS1_30default_config_static_selectorELNS0_4arch9wavefront6targetE0EEEvT1_.num_vgpr, 0
	.set _ZN7rocprim17ROCPRIM_400000_NS6detail17trampoline_kernelINS0_14default_configENS1_25partition_config_selectorILNS1_17partition_subalgoE5ExNS0_10empty_typeEbEEZZNS1_14partition_implILS5_5ELb0ES3_mN6thrust23THRUST_200600_302600_NS6detail15normal_iteratorINSA_10device_ptrIxEEEEPS6_NSA_18transform_iteratorINSB_9not_fun_tI7is_trueIxEEENSC_INSD_IbEEEENSA_11use_defaultESO_EENS0_5tupleIJSF_S6_EEENSQ_IJSG_SG_EEES6_PlJS6_EEE10hipError_tPvRmT3_T4_T5_T6_T7_T9_mT8_P12ihipStream_tbDpT10_ENKUlT_T0_E_clISt17integral_constantIbLb0EES1D_EEDaS18_S19_EUlS18_E_NS1_11comp_targetILNS1_3genE5ELNS1_11target_archE942ELNS1_3gpuE9ELNS1_3repE0EEENS1_30default_config_static_selectorELNS0_4arch9wavefront6targetE0EEEvT1_.num_agpr, 0
	.set _ZN7rocprim17ROCPRIM_400000_NS6detail17trampoline_kernelINS0_14default_configENS1_25partition_config_selectorILNS1_17partition_subalgoE5ExNS0_10empty_typeEbEEZZNS1_14partition_implILS5_5ELb0ES3_mN6thrust23THRUST_200600_302600_NS6detail15normal_iteratorINSA_10device_ptrIxEEEEPS6_NSA_18transform_iteratorINSB_9not_fun_tI7is_trueIxEEENSC_INSD_IbEEEENSA_11use_defaultESO_EENS0_5tupleIJSF_S6_EEENSQ_IJSG_SG_EEES6_PlJS6_EEE10hipError_tPvRmT3_T4_T5_T6_T7_T9_mT8_P12ihipStream_tbDpT10_ENKUlT_T0_E_clISt17integral_constantIbLb0EES1D_EEDaS18_S19_EUlS18_E_NS1_11comp_targetILNS1_3genE5ELNS1_11target_archE942ELNS1_3gpuE9ELNS1_3repE0EEENS1_30default_config_static_selectorELNS0_4arch9wavefront6targetE0EEEvT1_.numbered_sgpr, 0
	.set _ZN7rocprim17ROCPRIM_400000_NS6detail17trampoline_kernelINS0_14default_configENS1_25partition_config_selectorILNS1_17partition_subalgoE5ExNS0_10empty_typeEbEEZZNS1_14partition_implILS5_5ELb0ES3_mN6thrust23THRUST_200600_302600_NS6detail15normal_iteratorINSA_10device_ptrIxEEEEPS6_NSA_18transform_iteratorINSB_9not_fun_tI7is_trueIxEEENSC_INSD_IbEEEENSA_11use_defaultESO_EENS0_5tupleIJSF_S6_EEENSQ_IJSG_SG_EEES6_PlJS6_EEE10hipError_tPvRmT3_T4_T5_T6_T7_T9_mT8_P12ihipStream_tbDpT10_ENKUlT_T0_E_clISt17integral_constantIbLb0EES1D_EEDaS18_S19_EUlS18_E_NS1_11comp_targetILNS1_3genE5ELNS1_11target_archE942ELNS1_3gpuE9ELNS1_3repE0EEENS1_30default_config_static_selectorELNS0_4arch9wavefront6targetE0EEEvT1_.num_named_barrier, 0
	.set _ZN7rocprim17ROCPRIM_400000_NS6detail17trampoline_kernelINS0_14default_configENS1_25partition_config_selectorILNS1_17partition_subalgoE5ExNS0_10empty_typeEbEEZZNS1_14partition_implILS5_5ELb0ES3_mN6thrust23THRUST_200600_302600_NS6detail15normal_iteratorINSA_10device_ptrIxEEEEPS6_NSA_18transform_iteratorINSB_9not_fun_tI7is_trueIxEEENSC_INSD_IbEEEENSA_11use_defaultESO_EENS0_5tupleIJSF_S6_EEENSQ_IJSG_SG_EEES6_PlJS6_EEE10hipError_tPvRmT3_T4_T5_T6_T7_T9_mT8_P12ihipStream_tbDpT10_ENKUlT_T0_E_clISt17integral_constantIbLb0EES1D_EEDaS18_S19_EUlS18_E_NS1_11comp_targetILNS1_3genE5ELNS1_11target_archE942ELNS1_3gpuE9ELNS1_3repE0EEENS1_30default_config_static_selectorELNS0_4arch9wavefront6targetE0EEEvT1_.private_seg_size, 0
	.set _ZN7rocprim17ROCPRIM_400000_NS6detail17trampoline_kernelINS0_14default_configENS1_25partition_config_selectorILNS1_17partition_subalgoE5ExNS0_10empty_typeEbEEZZNS1_14partition_implILS5_5ELb0ES3_mN6thrust23THRUST_200600_302600_NS6detail15normal_iteratorINSA_10device_ptrIxEEEEPS6_NSA_18transform_iteratorINSB_9not_fun_tI7is_trueIxEEENSC_INSD_IbEEEENSA_11use_defaultESO_EENS0_5tupleIJSF_S6_EEENSQ_IJSG_SG_EEES6_PlJS6_EEE10hipError_tPvRmT3_T4_T5_T6_T7_T9_mT8_P12ihipStream_tbDpT10_ENKUlT_T0_E_clISt17integral_constantIbLb0EES1D_EEDaS18_S19_EUlS18_E_NS1_11comp_targetILNS1_3genE5ELNS1_11target_archE942ELNS1_3gpuE9ELNS1_3repE0EEENS1_30default_config_static_selectorELNS0_4arch9wavefront6targetE0EEEvT1_.uses_vcc, 0
	.set _ZN7rocprim17ROCPRIM_400000_NS6detail17trampoline_kernelINS0_14default_configENS1_25partition_config_selectorILNS1_17partition_subalgoE5ExNS0_10empty_typeEbEEZZNS1_14partition_implILS5_5ELb0ES3_mN6thrust23THRUST_200600_302600_NS6detail15normal_iteratorINSA_10device_ptrIxEEEEPS6_NSA_18transform_iteratorINSB_9not_fun_tI7is_trueIxEEENSC_INSD_IbEEEENSA_11use_defaultESO_EENS0_5tupleIJSF_S6_EEENSQ_IJSG_SG_EEES6_PlJS6_EEE10hipError_tPvRmT3_T4_T5_T6_T7_T9_mT8_P12ihipStream_tbDpT10_ENKUlT_T0_E_clISt17integral_constantIbLb0EES1D_EEDaS18_S19_EUlS18_E_NS1_11comp_targetILNS1_3genE5ELNS1_11target_archE942ELNS1_3gpuE9ELNS1_3repE0EEENS1_30default_config_static_selectorELNS0_4arch9wavefront6targetE0EEEvT1_.uses_flat_scratch, 0
	.set _ZN7rocprim17ROCPRIM_400000_NS6detail17trampoline_kernelINS0_14default_configENS1_25partition_config_selectorILNS1_17partition_subalgoE5ExNS0_10empty_typeEbEEZZNS1_14partition_implILS5_5ELb0ES3_mN6thrust23THRUST_200600_302600_NS6detail15normal_iteratorINSA_10device_ptrIxEEEEPS6_NSA_18transform_iteratorINSB_9not_fun_tI7is_trueIxEEENSC_INSD_IbEEEENSA_11use_defaultESO_EENS0_5tupleIJSF_S6_EEENSQ_IJSG_SG_EEES6_PlJS6_EEE10hipError_tPvRmT3_T4_T5_T6_T7_T9_mT8_P12ihipStream_tbDpT10_ENKUlT_T0_E_clISt17integral_constantIbLb0EES1D_EEDaS18_S19_EUlS18_E_NS1_11comp_targetILNS1_3genE5ELNS1_11target_archE942ELNS1_3gpuE9ELNS1_3repE0EEENS1_30default_config_static_selectorELNS0_4arch9wavefront6targetE0EEEvT1_.has_dyn_sized_stack, 0
	.set _ZN7rocprim17ROCPRIM_400000_NS6detail17trampoline_kernelINS0_14default_configENS1_25partition_config_selectorILNS1_17partition_subalgoE5ExNS0_10empty_typeEbEEZZNS1_14partition_implILS5_5ELb0ES3_mN6thrust23THRUST_200600_302600_NS6detail15normal_iteratorINSA_10device_ptrIxEEEEPS6_NSA_18transform_iteratorINSB_9not_fun_tI7is_trueIxEEENSC_INSD_IbEEEENSA_11use_defaultESO_EENS0_5tupleIJSF_S6_EEENSQ_IJSG_SG_EEES6_PlJS6_EEE10hipError_tPvRmT3_T4_T5_T6_T7_T9_mT8_P12ihipStream_tbDpT10_ENKUlT_T0_E_clISt17integral_constantIbLb0EES1D_EEDaS18_S19_EUlS18_E_NS1_11comp_targetILNS1_3genE5ELNS1_11target_archE942ELNS1_3gpuE9ELNS1_3repE0EEENS1_30default_config_static_selectorELNS0_4arch9wavefront6targetE0EEEvT1_.has_recursion, 0
	.set _ZN7rocprim17ROCPRIM_400000_NS6detail17trampoline_kernelINS0_14default_configENS1_25partition_config_selectorILNS1_17partition_subalgoE5ExNS0_10empty_typeEbEEZZNS1_14partition_implILS5_5ELb0ES3_mN6thrust23THRUST_200600_302600_NS6detail15normal_iteratorINSA_10device_ptrIxEEEEPS6_NSA_18transform_iteratorINSB_9not_fun_tI7is_trueIxEEENSC_INSD_IbEEEENSA_11use_defaultESO_EENS0_5tupleIJSF_S6_EEENSQ_IJSG_SG_EEES6_PlJS6_EEE10hipError_tPvRmT3_T4_T5_T6_T7_T9_mT8_P12ihipStream_tbDpT10_ENKUlT_T0_E_clISt17integral_constantIbLb0EES1D_EEDaS18_S19_EUlS18_E_NS1_11comp_targetILNS1_3genE5ELNS1_11target_archE942ELNS1_3gpuE9ELNS1_3repE0EEENS1_30default_config_static_selectorELNS0_4arch9wavefront6targetE0EEEvT1_.has_indirect_call, 0
	.section	.AMDGPU.csdata,"",@progbits
; Kernel info:
; codeLenInByte = 0
; TotalNumSgprs: 0
; NumVgprs: 0
; ScratchSize: 0
; MemoryBound: 0
; FloatMode: 240
; IeeeMode: 1
; LDSByteSize: 0 bytes/workgroup (compile time only)
; SGPRBlocks: 0
; VGPRBlocks: 0
; NumSGPRsForWavesPerEU: 1
; NumVGPRsForWavesPerEU: 1
; Occupancy: 16
; WaveLimiterHint : 0
; COMPUTE_PGM_RSRC2:SCRATCH_EN: 0
; COMPUTE_PGM_RSRC2:USER_SGPR: 2
; COMPUTE_PGM_RSRC2:TRAP_HANDLER: 0
; COMPUTE_PGM_RSRC2:TGID_X_EN: 1
; COMPUTE_PGM_RSRC2:TGID_Y_EN: 0
; COMPUTE_PGM_RSRC2:TGID_Z_EN: 0
; COMPUTE_PGM_RSRC2:TIDIG_COMP_CNT: 0
	.section	.text._ZN7rocprim17ROCPRIM_400000_NS6detail17trampoline_kernelINS0_14default_configENS1_25partition_config_selectorILNS1_17partition_subalgoE5ExNS0_10empty_typeEbEEZZNS1_14partition_implILS5_5ELb0ES3_mN6thrust23THRUST_200600_302600_NS6detail15normal_iteratorINSA_10device_ptrIxEEEEPS6_NSA_18transform_iteratorINSB_9not_fun_tI7is_trueIxEEENSC_INSD_IbEEEENSA_11use_defaultESO_EENS0_5tupleIJSF_S6_EEENSQ_IJSG_SG_EEES6_PlJS6_EEE10hipError_tPvRmT3_T4_T5_T6_T7_T9_mT8_P12ihipStream_tbDpT10_ENKUlT_T0_E_clISt17integral_constantIbLb0EES1D_EEDaS18_S19_EUlS18_E_NS1_11comp_targetILNS1_3genE4ELNS1_11target_archE910ELNS1_3gpuE8ELNS1_3repE0EEENS1_30default_config_static_selectorELNS0_4arch9wavefront6targetE0EEEvT1_,"axG",@progbits,_ZN7rocprim17ROCPRIM_400000_NS6detail17trampoline_kernelINS0_14default_configENS1_25partition_config_selectorILNS1_17partition_subalgoE5ExNS0_10empty_typeEbEEZZNS1_14partition_implILS5_5ELb0ES3_mN6thrust23THRUST_200600_302600_NS6detail15normal_iteratorINSA_10device_ptrIxEEEEPS6_NSA_18transform_iteratorINSB_9not_fun_tI7is_trueIxEEENSC_INSD_IbEEEENSA_11use_defaultESO_EENS0_5tupleIJSF_S6_EEENSQ_IJSG_SG_EEES6_PlJS6_EEE10hipError_tPvRmT3_T4_T5_T6_T7_T9_mT8_P12ihipStream_tbDpT10_ENKUlT_T0_E_clISt17integral_constantIbLb0EES1D_EEDaS18_S19_EUlS18_E_NS1_11comp_targetILNS1_3genE4ELNS1_11target_archE910ELNS1_3gpuE8ELNS1_3repE0EEENS1_30default_config_static_selectorELNS0_4arch9wavefront6targetE0EEEvT1_,comdat
	.protected	_ZN7rocprim17ROCPRIM_400000_NS6detail17trampoline_kernelINS0_14default_configENS1_25partition_config_selectorILNS1_17partition_subalgoE5ExNS0_10empty_typeEbEEZZNS1_14partition_implILS5_5ELb0ES3_mN6thrust23THRUST_200600_302600_NS6detail15normal_iteratorINSA_10device_ptrIxEEEEPS6_NSA_18transform_iteratorINSB_9not_fun_tI7is_trueIxEEENSC_INSD_IbEEEENSA_11use_defaultESO_EENS0_5tupleIJSF_S6_EEENSQ_IJSG_SG_EEES6_PlJS6_EEE10hipError_tPvRmT3_T4_T5_T6_T7_T9_mT8_P12ihipStream_tbDpT10_ENKUlT_T0_E_clISt17integral_constantIbLb0EES1D_EEDaS18_S19_EUlS18_E_NS1_11comp_targetILNS1_3genE4ELNS1_11target_archE910ELNS1_3gpuE8ELNS1_3repE0EEENS1_30default_config_static_selectorELNS0_4arch9wavefront6targetE0EEEvT1_ ; -- Begin function _ZN7rocprim17ROCPRIM_400000_NS6detail17trampoline_kernelINS0_14default_configENS1_25partition_config_selectorILNS1_17partition_subalgoE5ExNS0_10empty_typeEbEEZZNS1_14partition_implILS5_5ELb0ES3_mN6thrust23THRUST_200600_302600_NS6detail15normal_iteratorINSA_10device_ptrIxEEEEPS6_NSA_18transform_iteratorINSB_9not_fun_tI7is_trueIxEEENSC_INSD_IbEEEENSA_11use_defaultESO_EENS0_5tupleIJSF_S6_EEENSQ_IJSG_SG_EEES6_PlJS6_EEE10hipError_tPvRmT3_T4_T5_T6_T7_T9_mT8_P12ihipStream_tbDpT10_ENKUlT_T0_E_clISt17integral_constantIbLb0EES1D_EEDaS18_S19_EUlS18_E_NS1_11comp_targetILNS1_3genE4ELNS1_11target_archE910ELNS1_3gpuE8ELNS1_3repE0EEENS1_30default_config_static_selectorELNS0_4arch9wavefront6targetE0EEEvT1_
	.globl	_ZN7rocprim17ROCPRIM_400000_NS6detail17trampoline_kernelINS0_14default_configENS1_25partition_config_selectorILNS1_17partition_subalgoE5ExNS0_10empty_typeEbEEZZNS1_14partition_implILS5_5ELb0ES3_mN6thrust23THRUST_200600_302600_NS6detail15normal_iteratorINSA_10device_ptrIxEEEEPS6_NSA_18transform_iteratorINSB_9not_fun_tI7is_trueIxEEENSC_INSD_IbEEEENSA_11use_defaultESO_EENS0_5tupleIJSF_S6_EEENSQ_IJSG_SG_EEES6_PlJS6_EEE10hipError_tPvRmT3_T4_T5_T6_T7_T9_mT8_P12ihipStream_tbDpT10_ENKUlT_T0_E_clISt17integral_constantIbLb0EES1D_EEDaS18_S19_EUlS18_E_NS1_11comp_targetILNS1_3genE4ELNS1_11target_archE910ELNS1_3gpuE8ELNS1_3repE0EEENS1_30default_config_static_selectorELNS0_4arch9wavefront6targetE0EEEvT1_
	.p2align	8
	.type	_ZN7rocprim17ROCPRIM_400000_NS6detail17trampoline_kernelINS0_14default_configENS1_25partition_config_selectorILNS1_17partition_subalgoE5ExNS0_10empty_typeEbEEZZNS1_14partition_implILS5_5ELb0ES3_mN6thrust23THRUST_200600_302600_NS6detail15normal_iteratorINSA_10device_ptrIxEEEEPS6_NSA_18transform_iteratorINSB_9not_fun_tI7is_trueIxEEENSC_INSD_IbEEEENSA_11use_defaultESO_EENS0_5tupleIJSF_S6_EEENSQ_IJSG_SG_EEES6_PlJS6_EEE10hipError_tPvRmT3_T4_T5_T6_T7_T9_mT8_P12ihipStream_tbDpT10_ENKUlT_T0_E_clISt17integral_constantIbLb0EES1D_EEDaS18_S19_EUlS18_E_NS1_11comp_targetILNS1_3genE4ELNS1_11target_archE910ELNS1_3gpuE8ELNS1_3repE0EEENS1_30default_config_static_selectorELNS0_4arch9wavefront6targetE0EEEvT1_,@function
_ZN7rocprim17ROCPRIM_400000_NS6detail17trampoline_kernelINS0_14default_configENS1_25partition_config_selectorILNS1_17partition_subalgoE5ExNS0_10empty_typeEbEEZZNS1_14partition_implILS5_5ELb0ES3_mN6thrust23THRUST_200600_302600_NS6detail15normal_iteratorINSA_10device_ptrIxEEEEPS6_NSA_18transform_iteratorINSB_9not_fun_tI7is_trueIxEEENSC_INSD_IbEEEENSA_11use_defaultESO_EENS0_5tupleIJSF_S6_EEENSQ_IJSG_SG_EEES6_PlJS6_EEE10hipError_tPvRmT3_T4_T5_T6_T7_T9_mT8_P12ihipStream_tbDpT10_ENKUlT_T0_E_clISt17integral_constantIbLb0EES1D_EEDaS18_S19_EUlS18_E_NS1_11comp_targetILNS1_3genE4ELNS1_11target_archE910ELNS1_3gpuE8ELNS1_3repE0EEENS1_30default_config_static_selectorELNS0_4arch9wavefront6targetE0EEEvT1_: ; @_ZN7rocprim17ROCPRIM_400000_NS6detail17trampoline_kernelINS0_14default_configENS1_25partition_config_selectorILNS1_17partition_subalgoE5ExNS0_10empty_typeEbEEZZNS1_14partition_implILS5_5ELb0ES3_mN6thrust23THRUST_200600_302600_NS6detail15normal_iteratorINSA_10device_ptrIxEEEEPS6_NSA_18transform_iteratorINSB_9not_fun_tI7is_trueIxEEENSC_INSD_IbEEEENSA_11use_defaultESO_EENS0_5tupleIJSF_S6_EEENSQ_IJSG_SG_EEES6_PlJS6_EEE10hipError_tPvRmT3_T4_T5_T6_T7_T9_mT8_P12ihipStream_tbDpT10_ENKUlT_T0_E_clISt17integral_constantIbLb0EES1D_EEDaS18_S19_EUlS18_E_NS1_11comp_targetILNS1_3genE4ELNS1_11target_archE910ELNS1_3gpuE8ELNS1_3repE0EEENS1_30default_config_static_selectorELNS0_4arch9wavefront6targetE0EEEvT1_
; %bb.0:
	.section	.rodata,"a",@progbits
	.p2align	6, 0x0
	.amdhsa_kernel _ZN7rocprim17ROCPRIM_400000_NS6detail17trampoline_kernelINS0_14default_configENS1_25partition_config_selectorILNS1_17partition_subalgoE5ExNS0_10empty_typeEbEEZZNS1_14partition_implILS5_5ELb0ES3_mN6thrust23THRUST_200600_302600_NS6detail15normal_iteratorINSA_10device_ptrIxEEEEPS6_NSA_18transform_iteratorINSB_9not_fun_tI7is_trueIxEEENSC_INSD_IbEEEENSA_11use_defaultESO_EENS0_5tupleIJSF_S6_EEENSQ_IJSG_SG_EEES6_PlJS6_EEE10hipError_tPvRmT3_T4_T5_T6_T7_T9_mT8_P12ihipStream_tbDpT10_ENKUlT_T0_E_clISt17integral_constantIbLb0EES1D_EEDaS18_S19_EUlS18_E_NS1_11comp_targetILNS1_3genE4ELNS1_11target_archE910ELNS1_3gpuE8ELNS1_3repE0EEENS1_30default_config_static_selectorELNS0_4arch9wavefront6targetE0EEEvT1_
		.amdhsa_group_segment_fixed_size 0
		.amdhsa_private_segment_fixed_size 0
		.amdhsa_kernarg_size 120
		.amdhsa_user_sgpr_count 2
		.amdhsa_user_sgpr_dispatch_ptr 0
		.amdhsa_user_sgpr_queue_ptr 0
		.amdhsa_user_sgpr_kernarg_segment_ptr 1
		.amdhsa_user_sgpr_dispatch_id 0
		.amdhsa_user_sgpr_private_segment_size 0
		.amdhsa_wavefront_size32 1
		.amdhsa_uses_dynamic_stack 0
		.amdhsa_enable_private_segment 0
		.amdhsa_system_sgpr_workgroup_id_x 1
		.amdhsa_system_sgpr_workgroup_id_y 0
		.amdhsa_system_sgpr_workgroup_id_z 0
		.amdhsa_system_sgpr_workgroup_info 0
		.amdhsa_system_vgpr_workitem_id 0
		.amdhsa_next_free_vgpr 1
		.amdhsa_next_free_sgpr 1
		.amdhsa_reserve_vcc 0
		.amdhsa_float_round_mode_32 0
		.amdhsa_float_round_mode_16_64 0
		.amdhsa_float_denorm_mode_32 3
		.amdhsa_float_denorm_mode_16_64 3
		.amdhsa_fp16_overflow 0
		.amdhsa_workgroup_processor_mode 1
		.amdhsa_memory_ordered 1
		.amdhsa_forward_progress 1
		.amdhsa_inst_pref_size 0
		.amdhsa_round_robin_scheduling 0
		.amdhsa_exception_fp_ieee_invalid_op 0
		.amdhsa_exception_fp_denorm_src 0
		.amdhsa_exception_fp_ieee_div_zero 0
		.amdhsa_exception_fp_ieee_overflow 0
		.amdhsa_exception_fp_ieee_underflow 0
		.amdhsa_exception_fp_ieee_inexact 0
		.amdhsa_exception_int_div_zero 0
	.end_amdhsa_kernel
	.section	.text._ZN7rocprim17ROCPRIM_400000_NS6detail17trampoline_kernelINS0_14default_configENS1_25partition_config_selectorILNS1_17partition_subalgoE5ExNS0_10empty_typeEbEEZZNS1_14partition_implILS5_5ELb0ES3_mN6thrust23THRUST_200600_302600_NS6detail15normal_iteratorINSA_10device_ptrIxEEEEPS6_NSA_18transform_iteratorINSB_9not_fun_tI7is_trueIxEEENSC_INSD_IbEEEENSA_11use_defaultESO_EENS0_5tupleIJSF_S6_EEENSQ_IJSG_SG_EEES6_PlJS6_EEE10hipError_tPvRmT3_T4_T5_T6_T7_T9_mT8_P12ihipStream_tbDpT10_ENKUlT_T0_E_clISt17integral_constantIbLb0EES1D_EEDaS18_S19_EUlS18_E_NS1_11comp_targetILNS1_3genE4ELNS1_11target_archE910ELNS1_3gpuE8ELNS1_3repE0EEENS1_30default_config_static_selectorELNS0_4arch9wavefront6targetE0EEEvT1_,"axG",@progbits,_ZN7rocprim17ROCPRIM_400000_NS6detail17trampoline_kernelINS0_14default_configENS1_25partition_config_selectorILNS1_17partition_subalgoE5ExNS0_10empty_typeEbEEZZNS1_14partition_implILS5_5ELb0ES3_mN6thrust23THRUST_200600_302600_NS6detail15normal_iteratorINSA_10device_ptrIxEEEEPS6_NSA_18transform_iteratorINSB_9not_fun_tI7is_trueIxEEENSC_INSD_IbEEEENSA_11use_defaultESO_EENS0_5tupleIJSF_S6_EEENSQ_IJSG_SG_EEES6_PlJS6_EEE10hipError_tPvRmT3_T4_T5_T6_T7_T9_mT8_P12ihipStream_tbDpT10_ENKUlT_T0_E_clISt17integral_constantIbLb0EES1D_EEDaS18_S19_EUlS18_E_NS1_11comp_targetILNS1_3genE4ELNS1_11target_archE910ELNS1_3gpuE8ELNS1_3repE0EEENS1_30default_config_static_selectorELNS0_4arch9wavefront6targetE0EEEvT1_,comdat
.Lfunc_end2495:
	.size	_ZN7rocprim17ROCPRIM_400000_NS6detail17trampoline_kernelINS0_14default_configENS1_25partition_config_selectorILNS1_17partition_subalgoE5ExNS0_10empty_typeEbEEZZNS1_14partition_implILS5_5ELb0ES3_mN6thrust23THRUST_200600_302600_NS6detail15normal_iteratorINSA_10device_ptrIxEEEEPS6_NSA_18transform_iteratorINSB_9not_fun_tI7is_trueIxEEENSC_INSD_IbEEEENSA_11use_defaultESO_EENS0_5tupleIJSF_S6_EEENSQ_IJSG_SG_EEES6_PlJS6_EEE10hipError_tPvRmT3_T4_T5_T6_T7_T9_mT8_P12ihipStream_tbDpT10_ENKUlT_T0_E_clISt17integral_constantIbLb0EES1D_EEDaS18_S19_EUlS18_E_NS1_11comp_targetILNS1_3genE4ELNS1_11target_archE910ELNS1_3gpuE8ELNS1_3repE0EEENS1_30default_config_static_selectorELNS0_4arch9wavefront6targetE0EEEvT1_, .Lfunc_end2495-_ZN7rocprim17ROCPRIM_400000_NS6detail17trampoline_kernelINS0_14default_configENS1_25partition_config_selectorILNS1_17partition_subalgoE5ExNS0_10empty_typeEbEEZZNS1_14partition_implILS5_5ELb0ES3_mN6thrust23THRUST_200600_302600_NS6detail15normal_iteratorINSA_10device_ptrIxEEEEPS6_NSA_18transform_iteratorINSB_9not_fun_tI7is_trueIxEEENSC_INSD_IbEEEENSA_11use_defaultESO_EENS0_5tupleIJSF_S6_EEENSQ_IJSG_SG_EEES6_PlJS6_EEE10hipError_tPvRmT3_T4_T5_T6_T7_T9_mT8_P12ihipStream_tbDpT10_ENKUlT_T0_E_clISt17integral_constantIbLb0EES1D_EEDaS18_S19_EUlS18_E_NS1_11comp_targetILNS1_3genE4ELNS1_11target_archE910ELNS1_3gpuE8ELNS1_3repE0EEENS1_30default_config_static_selectorELNS0_4arch9wavefront6targetE0EEEvT1_
                                        ; -- End function
	.set _ZN7rocprim17ROCPRIM_400000_NS6detail17trampoline_kernelINS0_14default_configENS1_25partition_config_selectorILNS1_17partition_subalgoE5ExNS0_10empty_typeEbEEZZNS1_14partition_implILS5_5ELb0ES3_mN6thrust23THRUST_200600_302600_NS6detail15normal_iteratorINSA_10device_ptrIxEEEEPS6_NSA_18transform_iteratorINSB_9not_fun_tI7is_trueIxEEENSC_INSD_IbEEEENSA_11use_defaultESO_EENS0_5tupleIJSF_S6_EEENSQ_IJSG_SG_EEES6_PlJS6_EEE10hipError_tPvRmT3_T4_T5_T6_T7_T9_mT8_P12ihipStream_tbDpT10_ENKUlT_T0_E_clISt17integral_constantIbLb0EES1D_EEDaS18_S19_EUlS18_E_NS1_11comp_targetILNS1_3genE4ELNS1_11target_archE910ELNS1_3gpuE8ELNS1_3repE0EEENS1_30default_config_static_selectorELNS0_4arch9wavefront6targetE0EEEvT1_.num_vgpr, 0
	.set _ZN7rocprim17ROCPRIM_400000_NS6detail17trampoline_kernelINS0_14default_configENS1_25partition_config_selectorILNS1_17partition_subalgoE5ExNS0_10empty_typeEbEEZZNS1_14partition_implILS5_5ELb0ES3_mN6thrust23THRUST_200600_302600_NS6detail15normal_iteratorINSA_10device_ptrIxEEEEPS6_NSA_18transform_iteratorINSB_9not_fun_tI7is_trueIxEEENSC_INSD_IbEEEENSA_11use_defaultESO_EENS0_5tupleIJSF_S6_EEENSQ_IJSG_SG_EEES6_PlJS6_EEE10hipError_tPvRmT3_T4_T5_T6_T7_T9_mT8_P12ihipStream_tbDpT10_ENKUlT_T0_E_clISt17integral_constantIbLb0EES1D_EEDaS18_S19_EUlS18_E_NS1_11comp_targetILNS1_3genE4ELNS1_11target_archE910ELNS1_3gpuE8ELNS1_3repE0EEENS1_30default_config_static_selectorELNS0_4arch9wavefront6targetE0EEEvT1_.num_agpr, 0
	.set _ZN7rocprim17ROCPRIM_400000_NS6detail17trampoline_kernelINS0_14default_configENS1_25partition_config_selectorILNS1_17partition_subalgoE5ExNS0_10empty_typeEbEEZZNS1_14partition_implILS5_5ELb0ES3_mN6thrust23THRUST_200600_302600_NS6detail15normal_iteratorINSA_10device_ptrIxEEEEPS6_NSA_18transform_iteratorINSB_9not_fun_tI7is_trueIxEEENSC_INSD_IbEEEENSA_11use_defaultESO_EENS0_5tupleIJSF_S6_EEENSQ_IJSG_SG_EEES6_PlJS6_EEE10hipError_tPvRmT3_T4_T5_T6_T7_T9_mT8_P12ihipStream_tbDpT10_ENKUlT_T0_E_clISt17integral_constantIbLb0EES1D_EEDaS18_S19_EUlS18_E_NS1_11comp_targetILNS1_3genE4ELNS1_11target_archE910ELNS1_3gpuE8ELNS1_3repE0EEENS1_30default_config_static_selectorELNS0_4arch9wavefront6targetE0EEEvT1_.numbered_sgpr, 0
	.set _ZN7rocprim17ROCPRIM_400000_NS6detail17trampoline_kernelINS0_14default_configENS1_25partition_config_selectorILNS1_17partition_subalgoE5ExNS0_10empty_typeEbEEZZNS1_14partition_implILS5_5ELb0ES3_mN6thrust23THRUST_200600_302600_NS6detail15normal_iteratorINSA_10device_ptrIxEEEEPS6_NSA_18transform_iteratorINSB_9not_fun_tI7is_trueIxEEENSC_INSD_IbEEEENSA_11use_defaultESO_EENS0_5tupleIJSF_S6_EEENSQ_IJSG_SG_EEES6_PlJS6_EEE10hipError_tPvRmT3_T4_T5_T6_T7_T9_mT8_P12ihipStream_tbDpT10_ENKUlT_T0_E_clISt17integral_constantIbLb0EES1D_EEDaS18_S19_EUlS18_E_NS1_11comp_targetILNS1_3genE4ELNS1_11target_archE910ELNS1_3gpuE8ELNS1_3repE0EEENS1_30default_config_static_selectorELNS0_4arch9wavefront6targetE0EEEvT1_.num_named_barrier, 0
	.set _ZN7rocprim17ROCPRIM_400000_NS6detail17trampoline_kernelINS0_14default_configENS1_25partition_config_selectorILNS1_17partition_subalgoE5ExNS0_10empty_typeEbEEZZNS1_14partition_implILS5_5ELb0ES3_mN6thrust23THRUST_200600_302600_NS6detail15normal_iteratorINSA_10device_ptrIxEEEEPS6_NSA_18transform_iteratorINSB_9not_fun_tI7is_trueIxEEENSC_INSD_IbEEEENSA_11use_defaultESO_EENS0_5tupleIJSF_S6_EEENSQ_IJSG_SG_EEES6_PlJS6_EEE10hipError_tPvRmT3_T4_T5_T6_T7_T9_mT8_P12ihipStream_tbDpT10_ENKUlT_T0_E_clISt17integral_constantIbLb0EES1D_EEDaS18_S19_EUlS18_E_NS1_11comp_targetILNS1_3genE4ELNS1_11target_archE910ELNS1_3gpuE8ELNS1_3repE0EEENS1_30default_config_static_selectorELNS0_4arch9wavefront6targetE0EEEvT1_.private_seg_size, 0
	.set _ZN7rocprim17ROCPRIM_400000_NS6detail17trampoline_kernelINS0_14default_configENS1_25partition_config_selectorILNS1_17partition_subalgoE5ExNS0_10empty_typeEbEEZZNS1_14partition_implILS5_5ELb0ES3_mN6thrust23THRUST_200600_302600_NS6detail15normal_iteratorINSA_10device_ptrIxEEEEPS6_NSA_18transform_iteratorINSB_9not_fun_tI7is_trueIxEEENSC_INSD_IbEEEENSA_11use_defaultESO_EENS0_5tupleIJSF_S6_EEENSQ_IJSG_SG_EEES6_PlJS6_EEE10hipError_tPvRmT3_T4_T5_T6_T7_T9_mT8_P12ihipStream_tbDpT10_ENKUlT_T0_E_clISt17integral_constantIbLb0EES1D_EEDaS18_S19_EUlS18_E_NS1_11comp_targetILNS1_3genE4ELNS1_11target_archE910ELNS1_3gpuE8ELNS1_3repE0EEENS1_30default_config_static_selectorELNS0_4arch9wavefront6targetE0EEEvT1_.uses_vcc, 0
	.set _ZN7rocprim17ROCPRIM_400000_NS6detail17trampoline_kernelINS0_14default_configENS1_25partition_config_selectorILNS1_17partition_subalgoE5ExNS0_10empty_typeEbEEZZNS1_14partition_implILS5_5ELb0ES3_mN6thrust23THRUST_200600_302600_NS6detail15normal_iteratorINSA_10device_ptrIxEEEEPS6_NSA_18transform_iteratorINSB_9not_fun_tI7is_trueIxEEENSC_INSD_IbEEEENSA_11use_defaultESO_EENS0_5tupleIJSF_S6_EEENSQ_IJSG_SG_EEES6_PlJS6_EEE10hipError_tPvRmT3_T4_T5_T6_T7_T9_mT8_P12ihipStream_tbDpT10_ENKUlT_T0_E_clISt17integral_constantIbLb0EES1D_EEDaS18_S19_EUlS18_E_NS1_11comp_targetILNS1_3genE4ELNS1_11target_archE910ELNS1_3gpuE8ELNS1_3repE0EEENS1_30default_config_static_selectorELNS0_4arch9wavefront6targetE0EEEvT1_.uses_flat_scratch, 0
	.set _ZN7rocprim17ROCPRIM_400000_NS6detail17trampoline_kernelINS0_14default_configENS1_25partition_config_selectorILNS1_17partition_subalgoE5ExNS0_10empty_typeEbEEZZNS1_14partition_implILS5_5ELb0ES3_mN6thrust23THRUST_200600_302600_NS6detail15normal_iteratorINSA_10device_ptrIxEEEEPS6_NSA_18transform_iteratorINSB_9not_fun_tI7is_trueIxEEENSC_INSD_IbEEEENSA_11use_defaultESO_EENS0_5tupleIJSF_S6_EEENSQ_IJSG_SG_EEES6_PlJS6_EEE10hipError_tPvRmT3_T4_T5_T6_T7_T9_mT8_P12ihipStream_tbDpT10_ENKUlT_T0_E_clISt17integral_constantIbLb0EES1D_EEDaS18_S19_EUlS18_E_NS1_11comp_targetILNS1_3genE4ELNS1_11target_archE910ELNS1_3gpuE8ELNS1_3repE0EEENS1_30default_config_static_selectorELNS0_4arch9wavefront6targetE0EEEvT1_.has_dyn_sized_stack, 0
	.set _ZN7rocprim17ROCPRIM_400000_NS6detail17trampoline_kernelINS0_14default_configENS1_25partition_config_selectorILNS1_17partition_subalgoE5ExNS0_10empty_typeEbEEZZNS1_14partition_implILS5_5ELb0ES3_mN6thrust23THRUST_200600_302600_NS6detail15normal_iteratorINSA_10device_ptrIxEEEEPS6_NSA_18transform_iteratorINSB_9not_fun_tI7is_trueIxEEENSC_INSD_IbEEEENSA_11use_defaultESO_EENS0_5tupleIJSF_S6_EEENSQ_IJSG_SG_EEES6_PlJS6_EEE10hipError_tPvRmT3_T4_T5_T6_T7_T9_mT8_P12ihipStream_tbDpT10_ENKUlT_T0_E_clISt17integral_constantIbLb0EES1D_EEDaS18_S19_EUlS18_E_NS1_11comp_targetILNS1_3genE4ELNS1_11target_archE910ELNS1_3gpuE8ELNS1_3repE0EEENS1_30default_config_static_selectorELNS0_4arch9wavefront6targetE0EEEvT1_.has_recursion, 0
	.set _ZN7rocprim17ROCPRIM_400000_NS6detail17trampoline_kernelINS0_14default_configENS1_25partition_config_selectorILNS1_17partition_subalgoE5ExNS0_10empty_typeEbEEZZNS1_14partition_implILS5_5ELb0ES3_mN6thrust23THRUST_200600_302600_NS6detail15normal_iteratorINSA_10device_ptrIxEEEEPS6_NSA_18transform_iteratorINSB_9not_fun_tI7is_trueIxEEENSC_INSD_IbEEEENSA_11use_defaultESO_EENS0_5tupleIJSF_S6_EEENSQ_IJSG_SG_EEES6_PlJS6_EEE10hipError_tPvRmT3_T4_T5_T6_T7_T9_mT8_P12ihipStream_tbDpT10_ENKUlT_T0_E_clISt17integral_constantIbLb0EES1D_EEDaS18_S19_EUlS18_E_NS1_11comp_targetILNS1_3genE4ELNS1_11target_archE910ELNS1_3gpuE8ELNS1_3repE0EEENS1_30default_config_static_selectorELNS0_4arch9wavefront6targetE0EEEvT1_.has_indirect_call, 0
	.section	.AMDGPU.csdata,"",@progbits
; Kernel info:
; codeLenInByte = 0
; TotalNumSgprs: 0
; NumVgprs: 0
; ScratchSize: 0
; MemoryBound: 0
; FloatMode: 240
; IeeeMode: 1
; LDSByteSize: 0 bytes/workgroup (compile time only)
; SGPRBlocks: 0
; VGPRBlocks: 0
; NumSGPRsForWavesPerEU: 1
; NumVGPRsForWavesPerEU: 1
; Occupancy: 16
; WaveLimiterHint : 0
; COMPUTE_PGM_RSRC2:SCRATCH_EN: 0
; COMPUTE_PGM_RSRC2:USER_SGPR: 2
; COMPUTE_PGM_RSRC2:TRAP_HANDLER: 0
; COMPUTE_PGM_RSRC2:TGID_X_EN: 1
; COMPUTE_PGM_RSRC2:TGID_Y_EN: 0
; COMPUTE_PGM_RSRC2:TGID_Z_EN: 0
; COMPUTE_PGM_RSRC2:TIDIG_COMP_CNT: 0
	.section	.text._ZN7rocprim17ROCPRIM_400000_NS6detail17trampoline_kernelINS0_14default_configENS1_25partition_config_selectorILNS1_17partition_subalgoE5ExNS0_10empty_typeEbEEZZNS1_14partition_implILS5_5ELb0ES3_mN6thrust23THRUST_200600_302600_NS6detail15normal_iteratorINSA_10device_ptrIxEEEEPS6_NSA_18transform_iteratorINSB_9not_fun_tI7is_trueIxEEENSC_INSD_IbEEEENSA_11use_defaultESO_EENS0_5tupleIJSF_S6_EEENSQ_IJSG_SG_EEES6_PlJS6_EEE10hipError_tPvRmT3_T4_T5_T6_T7_T9_mT8_P12ihipStream_tbDpT10_ENKUlT_T0_E_clISt17integral_constantIbLb0EES1D_EEDaS18_S19_EUlS18_E_NS1_11comp_targetILNS1_3genE3ELNS1_11target_archE908ELNS1_3gpuE7ELNS1_3repE0EEENS1_30default_config_static_selectorELNS0_4arch9wavefront6targetE0EEEvT1_,"axG",@progbits,_ZN7rocprim17ROCPRIM_400000_NS6detail17trampoline_kernelINS0_14default_configENS1_25partition_config_selectorILNS1_17partition_subalgoE5ExNS0_10empty_typeEbEEZZNS1_14partition_implILS5_5ELb0ES3_mN6thrust23THRUST_200600_302600_NS6detail15normal_iteratorINSA_10device_ptrIxEEEEPS6_NSA_18transform_iteratorINSB_9not_fun_tI7is_trueIxEEENSC_INSD_IbEEEENSA_11use_defaultESO_EENS0_5tupleIJSF_S6_EEENSQ_IJSG_SG_EEES6_PlJS6_EEE10hipError_tPvRmT3_T4_T5_T6_T7_T9_mT8_P12ihipStream_tbDpT10_ENKUlT_T0_E_clISt17integral_constantIbLb0EES1D_EEDaS18_S19_EUlS18_E_NS1_11comp_targetILNS1_3genE3ELNS1_11target_archE908ELNS1_3gpuE7ELNS1_3repE0EEENS1_30default_config_static_selectorELNS0_4arch9wavefront6targetE0EEEvT1_,comdat
	.protected	_ZN7rocprim17ROCPRIM_400000_NS6detail17trampoline_kernelINS0_14default_configENS1_25partition_config_selectorILNS1_17partition_subalgoE5ExNS0_10empty_typeEbEEZZNS1_14partition_implILS5_5ELb0ES3_mN6thrust23THRUST_200600_302600_NS6detail15normal_iteratorINSA_10device_ptrIxEEEEPS6_NSA_18transform_iteratorINSB_9not_fun_tI7is_trueIxEEENSC_INSD_IbEEEENSA_11use_defaultESO_EENS0_5tupleIJSF_S6_EEENSQ_IJSG_SG_EEES6_PlJS6_EEE10hipError_tPvRmT3_T4_T5_T6_T7_T9_mT8_P12ihipStream_tbDpT10_ENKUlT_T0_E_clISt17integral_constantIbLb0EES1D_EEDaS18_S19_EUlS18_E_NS1_11comp_targetILNS1_3genE3ELNS1_11target_archE908ELNS1_3gpuE7ELNS1_3repE0EEENS1_30default_config_static_selectorELNS0_4arch9wavefront6targetE0EEEvT1_ ; -- Begin function _ZN7rocprim17ROCPRIM_400000_NS6detail17trampoline_kernelINS0_14default_configENS1_25partition_config_selectorILNS1_17partition_subalgoE5ExNS0_10empty_typeEbEEZZNS1_14partition_implILS5_5ELb0ES3_mN6thrust23THRUST_200600_302600_NS6detail15normal_iteratorINSA_10device_ptrIxEEEEPS6_NSA_18transform_iteratorINSB_9not_fun_tI7is_trueIxEEENSC_INSD_IbEEEENSA_11use_defaultESO_EENS0_5tupleIJSF_S6_EEENSQ_IJSG_SG_EEES6_PlJS6_EEE10hipError_tPvRmT3_T4_T5_T6_T7_T9_mT8_P12ihipStream_tbDpT10_ENKUlT_T0_E_clISt17integral_constantIbLb0EES1D_EEDaS18_S19_EUlS18_E_NS1_11comp_targetILNS1_3genE3ELNS1_11target_archE908ELNS1_3gpuE7ELNS1_3repE0EEENS1_30default_config_static_selectorELNS0_4arch9wavefront6targetE0EEEvT1_
	.globl	_ZN7rocprim17ROCPRIM_400000_NS6detail17trampoline_kernelINS0_14default_configENS1_25partition_config_selectorILNS1_17partition_subalgoE5ExNS0_10empty_typeEbEEZZNS1_14partition_implILS5_5ELb0ES3_mN6thrust23THRUST_200600_302600_NS6detail15normal_iteratorINSA_10device_ptrIxEEEEPS6_NSA_18transform_iteratorINSB_9not_fun_tI7is_trueIxEEENSC_INSD_IbEEEENSA_11use_defaultESO_EENS0_5tupleIJSF_S6_EEENSQ_IJSG_SG_EEES6_PlJS6_EEE10hipError_tPvRmT3_T4_T5_T6_T7_T9_mT8_P12ihipStream_tbDpT10_ENKUlT_T0_E_clISt17integral_constantIbLb0EES1D_EEDaS18_S19_EUlS18_E_NS1_11comp_targetILNS1_3genE3ELNS1_11target_archE908ELNS1_3gpuE7ELNS1_3repE0EEENS1_30default_config_static_selectorELNS0_4arch9wavefront6targetE0EEEvT1_
	.p2align	8
	.type	_ZN7rocprim17ROCPRIM_400000_NS6detail17trampoline_kernelINS0_14default_configENS1_25partition_config_selectorILNS1_17partition_subalgoE5ExNS0_10empty_typeEbEEZZNS1_14partition_implILS5_5ELb0ES3_mN6thrust23THRUST_200600_302600_NS6detail15normal_iteratorINSA_10device_ptrIxEEEEPS6_NSA_18transform_iteratorINSB_9not_fun_tI7is_trueIxEEENSC_INSD_IbEEEENSA_11use_defaultESO_EENS0_5tupleIJSF_S6_EEENSQ_IJSG_SG_EEES6_PlJS6_EEE10hipError_tPvRmT3_T4_T5_T6_T7_T9_mT8_P12ihipStream_tbDpT10_ENKUlT_T0_E_clISt17integral_constantIbLb0EES1D_EEDaS18_S19_EUlS18_E_NS1_11comp_targetILNS1_3genE3ELNS1_11target_archE908ELNS1_3gpuE7ELNS1_3repE0EEENS1_30default_config_static_selectorELNS0_4arch9wavefront6targetE0EEEvT1_,@function
_ZN7rocprim17ROCPRIM_400000_NS6detail17trampoline_kernelINS0_14default_configENS1_25partition_config_selectorILNS1_17partition_subalgoE5ExNS0_10empty_typeEbEEZZNS1_14partition_implILS5_5ELb0ES3_mN6thrust23THRUST_200600_302600_NS6detail15normal_iteratorINSA_10device_ptrIxEEEEPS6_NSA_18transform_iteratorINSB_9not_fun_tI7is_trueIxEEENSC_INSD_IbEEEENSA_11use_defaultESO_EENS0_5tupleIJSF_S6_EEENSQ_IJSG_SG_EEES6_PlJS6_EEE10hipError_tPvRmT3_T4_T5_T6_T7_T9_mT8_P12ihipStream_tbDpT10_ENKUlT_T0_E_clISt17integral_constantIbLb0EES1D_EEDaS18_S19_EUlS18_E_NS1_11comp_targetILNS1_3genE3ELNS1_11target_archE908ELNS1_3gpuE7ELNS1_3repE0EEENS1_30default_config_static_selectorELNS0_4arch9wavefront6targetE0EEEvT1_: ; @_ZN7rocprim17ROCPRIM_400000_NS6detail17trampoline_kernelINS0_14default_configENS1_25partition_config_selectorILNS1_17partition_subalgoE5ExNS0_10empty_typeEbEEZZNS1_14partition_implILS5_5ELb0ES3_mN6thrust23THRUST_200600_302600_NS6detail15normal_iteratorINSA_10device_ptrIxEEEEPS6_NSA_18transform_iteratorINSB_9not_fun_tI7is_trueIxEEENSC_INSD_IbEEEENSA_11use_defaultESO_EENS0_5tupleIJSF_S6_EEENSQ_IJSG_SG_EEES6_PlJS6_EEE10hipError_tPvRmT3_T4_T5_T6_T7_T9_mT8_P12ihipStream_tbDpT10_ENKUlT_T0_E_clISt17integral_constantIbLb0EES1D_EEDaS18_S19_EUlS18_E_NS1_11comp_targetILNS1_3genE3ELNS1_11target_archE908ELNS1_3gpuE7ELNS1_3repE0EEENS1_30default_config_static_selectorELNS0_4arch9wavefront6targetE0EEEvT1_
; %bb.0:
	.section	.rodata,"a",@progbits
	.p2align	6, 0x0
	.amdhsa_kernel _ZN7rocprim17ROCPRIM_400000_NS6detail17trampoline_kernelINS0_14default_configENS1_25partition_config_selectorILNS1_17partition_subalgoE5ExNS0_10empty_typeEbEEZZNS1_14partition_implILS5_5ELb0ES3_mN6thrust23THRUST_200600_302600_NS6detail15normal_iteratorINSA_10device_ptrIxEEEEPS6_NSA_18transform_iteratorINSB_9not_fun_tI7is_trueIxEEENSC_INSD_IbEEEENSA_11use_defaultESO_EENS0_5tupleIJSF_S6_EEENSQ_IJSG_SG_EEES6_PlJS6_EEE10hipError_tPvRmT3_T4_T5_T6_T7_T9_mT8_P12ihipStream_tbDpT10_ENKUlT_T0_E_clISt17integral_constantIbLb0EES1D_EEDaS18_S19_EUlS18_E_NS1_11comp_targetILNS1_3genE3ELNS1_11target_archE908ELNS1_3gpuE7ELNS1_3repE0EEENS1_30default_config_static_selectorELNS0_4arch9wavefront6targetE0EEEvT1_
		.amdhsa_group_segment_fixed_size 0
		.amdhsa_private_segment_fixed_size 0
		.amdhsa_kernarg_size 120
		.amdhsa_user_sgpr_count 2
		.amdhsa_user_sgpr_dispatch_ptr 0
		.amdhsa_user_sgpr_queue_ptr 0
		.amdhsa_user_sgpr_kernarg_segment_ptr 1
		.amdhsa_user_sgpr_dispatch_id 0
		.amdhsa_user_sgpr_private_segment_size 0
		.amdhsa_wavefront_size32 1
		.amdhsa_uses_dynamic_stack 0
		.amdhsa_enable_private_segment 0
		.amdhsa_system_sgpr_workgroup_id_x 1
		.amdhsa_system_sgpr_workgroup_id_y 0
		.amdhsa_system_sgpr_workgroup_id_z 0
		.amdhsa_system_sgpr_workgroup_info 0
		.amdhsa_system_vgpr_workitem_id 0
		.amdhsa_next_free_vgpr 1
		.amdhsa_next_free_sgpr 1
		.amdhsa_reserve_vcc 0
		.amdhsa_float_round_mode_32 0
		.amdhsa_float_round_mode_16_64 0
		.amdhsa_float_denorm_mode_32 3
		.amdhsa_float_denorm_mode_16_64 3
		.amdhsa_fp16_overflow 0
		.amdhsa_workgroup_processor_mode 1
		.amdhsa_memory_ordered 1
		.amdhsa_forward_progress 1
		.amdhsa_inst_pref_size 0
		.amdhsa_round_robin_scheduling 0
		.amdhsa_exception_fp_ieee_invalid_op 0
		.amdhsa_exception_fp_denorm_src 0
		.amdhsa_exception_fp_ieee_div_zero 0
		.amdhsa_exception_fp_ieee_overflow 0
		.amdhsa_exception_fp_ieee_underflow 0
		.amdhsa_exception_fp_ieee_inexact 0
		.amdhsa_exception_int_div_zero 0
	.end_amdhsa_kernel
	.section	.text._ZN7rocprim17ROCPRIM_400000_NS6detail17trampoline_kernelINS0_14default_configENS1_25partition_config_selectorILNS1_17partition_subalgoE5ExNS0_10empty_typeEbEEZZNS1_14partition_implILS5_5ELb0ES3_mN6thrust23THRUST_200600_302600_NS6detail15normal_iteratorINSA_10device_ptrIxEEEEPS6_NSA_18transform_iteratorINSB_9not_fun_tI7is_trueIxEEENSC_INSD_IbEEEENSA_11use_defaultESO_EENS0_5tupleIJSF_S6_EEENSQ_IJSG_SG_EEES6_PlJS6_EEE10hipError_tPvRmT3_T4_T5_T6_T7_T9_mT8_P12ihipStream_tbDpT10_ENKUlT_T0_E_clISt17integral_constantIbLb0EES1D_EEDaS18_S19_EUlS18_E_NS1_11comp_targetILNS1_3genE3ELNS1_11target_archE908ELNS1_3gpuE7ELNS1_3repE0EEENS1_30default_config_static_selectorELNS0_4arch9wavefront6targetE0EEEvT1_,"axG",@progbits,_ZN7rocprim17ROCPRIM_400000_NS6detail17trampoline_kernelINS0_14default_configENS1_25partition_config_selectorILNS1_17partition_subalgoE5ExNS0_10empty_typeEbEEZZNS1_14partition_implILS5_5ELb0ES3_mN6thrust23THRUST_200600_302600_NS6detail15normal_iteratorINSA_10device_ptrIxEEEEPS6_NSA_18transform_iteratorINSB_9not_fun_tI7is_trueIxEEENSC_INSD_IbEEEENSA_11use_defaultESO_EENS0_5tupleIJSF_S6_EEENSQ_IJSG_SG_EEES6_PlJS6_EEE10hipError_tPvRmT3_T4_T5_T6_T7_T9_mT8_P12ihipStream_tbDpT10_ENKUlT_T0_E_clISt17integral_constantIbLb0EES1D_EEDaS18_S19_EUlS18_E_NS1_11comp_targetILNS1_3genE3ELNS1_11target_archE908ELNS1_3gpuE7ELNS1_3repE0EEENS1_30default_config_static_selectorELNS0_4arch9wavefront6targetE0EEEvT1_,comdat
.Lfunc_end2496:
	.size	_ZN7rocprim17ROCPRIM_400000_NS6detail17trampoline_kernelINS0_14default_configENS1_25partition_config_selectorILNS1_17partition_subalgoE5ExNS0_10empty_typeEbEEZZNS1_14partition_implILS5_5ELb0ES3_mN6thrust23THRUST_200600_302600_NS6detail15normal_iteratorINSA_10device_ptrIxEEEEPS6_NSA_18transform_iteratorINSB_9not_fun_tI7is_trueIxEEENSC_INSD_IbEEEENSA_11use_defaultESO_EENS0_5tupleIJSF_S6_EEENSQ_IJSG_SG_EEES6_PlJS6_EEE10hipError_tPvRmT3_T4_T5_T6_T7_T9_mT8_P12ihipStream_tbDpT10_ENKUlT_T0_E_clISt17integral_constantIbLb0EES1D_EEDaS18_S19_EUlS18_E_NS1_11comp_targetILNS1_3genE3ELNS1_11target_archE908ELNS1_3gpuE7ELNS1_3repE0EEENS1_30default_config_static_selectorELNS0_4arch9wavefront6targetE0EEEvT1_, .Lfunc_end2496-_ZN7rocprim17ROCPRIM_400000_NS6detail17trampoline_kernelINS0_14default_configENS1_25partition_config_selectorILNS1_17partition_subalgoE5ExNS0_10empty_typeEbEEZZNS1_14partition_implILS5_5ELb0ES3_mN6thrust23THRUST_200600_302600_NS6detail15normal_iteratorINSA_10device_ptrIxEEEEPS6_NSA_18transform_iteratorINSB_9not_fun_tI7is_trueIxEEENSC_INSD_IbEEEENSA_11use_defaultESO_EENS0_5tupleIJSF_S6_EEENSQ_IJSG_SG_EEES6_PlJS6_EEE10hipError_tPvRmT3_T4_T5_T6_T7_T9_mT8_P12ihipStream_tbDpT10_ENKUlT_T0_E_clISt17integral_constantIbLb0EES1D_EEDaS18_S19_EUlS18_E_NS1_11comp_targetILNS1_3genE3ELNS1_11target_archE908ELNS1_3gpuE7ELNS1_3repE0EEENS1_30default_config_static_selectorELNS0_4arch9wavefront6targetE0EEEvT1_
                                        ; -- End function
	.set _ZN7rocprim17ROCPRIM_400000_NS6detail17trampoline_kernelINS0_14default_configENS1_25partition_config_selectorILNS1_17partition_subalgoE5ExNS0_10empty_typeEbEEZZNS1_14partition_implILS5_5ELb0ES3_mN6thrust23THRUST_200600_302600_NS6detail15normal_iteratorINSA_10device_ptrIxEEEEPS6_NSA_18transform_iteratorINSB_9not_fun_tI7is_trueIxEEENSC_INSD_IbEEEENSA_11use_defaultESO_EENS0_5tupleIJSF_S6_EEENSQ_IJSG_SG_EEES6_PlJS6_EEE10hipError_tPvRmT3_T4_T5_T6_T7_T9_mT8_P12ihipStream_tbDpT10_ENKUlT_T0_E_clISt17integral_constantIbLb0EES1D_EEDaS18_S19_EUlS18_E_NS1_11comp_targetILNS1_3genE3ELNS1_11target_archE908ELNS1_3gpuE7ELNS1_3repE0EEENS1_30default_config_static_selectorELNS0_4arch9wavefront6targetE0EEEvT1_.num_vgpr, 0
	.set _ZN7rocprim17ROCPRIM_400000_NS6detail17trampoline_kernelINS0_14default_configENS1_25partition_config_selectorILNS1_17partition_subalgoE5ExNS0_10empty_typeEbEEZZNS1_14partition_implILS5_5ELb0ES3_mN6thrust23THRUST_200600_302600_NS6detail15normal_iteratorINSA_10device_ptrIxEEEEPS6_NSA_18transform_iteratorINSB_9not_fun_tI7is_trueIxEEENSC_INSD_IbEEEENSA_11use_defaultESO_EENS0_5tupleIJSF_S6_EEENSQ_IJSG_SG_EEES6_PlJS6_EEE10hipError_tPvRmT3_T4_T5_T6_T7_T9_mT8_P12ihipStream_tbDpT10_ENKUlT_T0_E_clISt17integral_constantIbLb0EES1D_EEDaS18_S19_EUlS18_E_NS1_11comp_targetILNS1_3genE3ELNS1_11target_archE908ELNS1_3gpuE7ELNS1_3repE0EEENS1_30default_config_static_selectorELNS0_4arch9wavefront6targetE0EEEvT1_.num_agpr, 0
	.set _ZN7rocprim17ROCPRIM_400000_NS6detail17trampoline_kernelINS0_14default_configENS1_25partition_config_selectorILNS1_17partition_subalgoE5ExNS0_10empty_typeEbEEZZNS1_14partition_implILS5_5ELb0ES3_mN6thrust23THRUST_200600_302600_NS6detail15normal_iteratorINSA_10device_ptrIxEEEEPS6_NSA_18transform_iteratorINSB_9not_fun_tI7is_trueIxEEENSC_INSD_IbEEEENSA_11use_defaultESO_EENS0_5tupleIJSF_S6_EEENSQ_IJSG_SG_EEES6_PlJS6_EEE10hipError_tPvRmT3_T4_T5_T6_T7_T9_mT8_P12ihipStream_tbDpT10_ENKUlT_T0_E_clISt17integral_constantIbLb0EES1D_EEDaS18_S19_EUlS18_E_NS1_11comp_targetILNS1_3genE3ELNS1_11target_archE908ELNS1_3gpuE7ELNS1_3repE0EEENS1_30default_config_static_selectorELNS0_4arch9wavefront6targetE0EEEvT1_.numbered_sgpr, 0
	.set _ZN7rocprim17ROCPRIM_400000_NS6detail17trampoline_kernelINS0_14default_configENS1_25partition_config_selectorILNS1_17partition_subalgoE5ExNS0_10empty_typeEbEEZZNS1_14partition_implILS5_5ELb0ES3_mN6thrust23THRUST_200600_302600_NS6detail15normal_iteratorINSA_10device_ptrIxEEEEPS6_NSA_18transform_iteratorINSB_9not_fun_tI7is_trueIxEEENSC_INSD_IbEEEENSA_11use_defaultESO_EENS0_5tupleIJSF_S6_EEENSQ_IJSG_SG_EEES6_PlJS6_EEE10hipError_tPvRmT3_T4_T5_T6_T7_T9_mT8_P12ihipStream_tbDpT10_ENKUlT_T0_E_clISt17integral_constantIbLb0EES1D_EEDaS18_S19_EUlS18_E_NS1_11comp_targetILNS1_3genE3ELNS1_11target_archE908ELNS1_3gpuE7ELNS1_3repE0EEENS1_30default_config_static_selectorELNS0_4arch9wavefront6targetE0EEEvT1_.num_named_barrier, 0
	.set _ZN7rocprim17ROCPRIM_400000_NS6detail17trampoline_kernelINS0_14default_configENS1_25partition_config_selectorILNS1_17partition_subalgoE5ExNS0_10empty_typeEbEEZZNS1_14partition_implILS5_5ELb0ES3_mN6thrust23THRUST_200600_302600_NS6detail15normal_iteratorINSA_10device_ptrIxEEEEPS6_NSA_18transform_iteratorINSB_9not_fun_tI7is_trueIxEEENSC_INSD_IbEEEENSA_11use_defaultESO_EENS0_5tupleIJSF_S6_EEENSQ_IJSG_SG_EEES6_PlJS6_EEE10hipError_tPvRmT3_T4_T5_T6_T7_T9_mT8_P12ihipStream_tbDpT10_ENKUlT_T0_E_clISt17integral_constantIbLb0EES1D_EEDaS18_S19_EUlS18_E_NS1_11comp_targetILNS1_3genE3ELNS1_11target_archE908ELNS1_3gpuE7ELNS1_3repE0EEENS1_30default_config_static_selectorELNS0_4arch9wavefront6targetE0EEEvT1_.private_seg_size, 0
	.set _ZN7rocprim17ROCPRIM_400000_NS6detail17trampoline_kernelINS0_14default_configENS1_25partition_config_selectorILNS1_17partition_subalgoE5ExNS0_10empty_typeEbEEZZNS1_14partition_implILS5_5ELb0ES3_mN6thrust23THRUST_200600_302600_NS6detail15normal_iteratorINSA_10device_ptrIxEEEEPS6_NSA_18transform_iteratorINSB_9not_fun_tI7is_trueIxEEENSC_INSD_IbEEEENSA_11use_defaultESO_EENS0_5tupleIJSF_S6_EEENSQ_IJSG_SG_EEES6_PlJS6_EEE10hipError_tPvRmT3_T4_T5_T6_T7_T9_mT8_P12ihipStream_tbDpT10_ENKUlT_T0_E_clISt17integral_constantIbLb0EES1D_EEDaS18_S19_EUlS18_E_NS1_11comp_targetILNS1_3genE3ELNS1_11target_archE908ELNS1_3gpuE7ELNS1_3repE0EEENS1_30default_config_static_selectorELNS0_4arch9wavefront6targetE0EEEvT1_.uses_vcc, 0
	.set _ZN7rocprim17ROCPRIM_400000_NS6detail17trampoline_kernelINS0_14default_configENS1_25partition_config_selectorILNS1_17partition_subalgoE5ExNS0_10empty_typeEbEEZZNS1_14partition_implILS5_5ELb0ES3_mN6thrust23THRUST_200600_302600_NS6detail15normal_iteratorINSA_10device_ptrIxEEEEPS6_NSA_18transform_iteratorINSB_9not_fun_tI7is_trueIxEEENSC_INSD_IbEEEENSA_11use_defaultESO_EENS0_5tupleIJSF_S6_EEENSQ_IJSG_SG_EEES6_PlJS6_EEE10hipError_tPvRmT3_T4_T5_T6_T7_T9_mT8_P12ihipStream_tbDpT10_ENKUlT_T0_E_clISt17integral_constantIbLb0EES1D_EEDaS18_S19_EUlS18_E_NS1_11comp_targetILNS1_3genE3ELNS1_11target_archE908ELNS1_3gpuE7ELNS1_3repE0EEENS1_30default_config_static_selectorELNS0_4arch9wavefront6targetE0EEEvT1_.uses_flat_scratch, 0
	.set _ZN7rocprim17ROCPRIM_400000_NS6detail17trampoline_kernelINS0_14default_configENS1_25partition_config_selectorILNS1_17partition_subalgoE5ExNS0_10empty_typeEbEEZZNS1_14partition_implILS5_5ELb0ES3_mN6thrust23THRUST_200600_302600_NS6detail15normal_iteratorINSA_10device_ptrIxEEEEPS6_NSA_18transform_iteratorINSB_9not_fun_tI7is_trueIxEEENSC_INSD_IbEEEENSA_11use_defaultESO_EENS0_5tupleIJSF_S6_EEENSQ_IJSG_SG_EEES6_PlJS6_EEE10hipError_tPvRmT3_T4_T5_T6_T7_T9_mT8_P12ihipStream_tbDpT10_ENKUlT_T0_E_clISt17integral_constantIbLb0EES1D_EEDaS18_S19_EUlS18_E_NS1_11comp_targetILNS1_3genE3ELNS1_11target_archE908ELNS1_3gpuE7ELNS1_3repE0EEENS1_30default_config_static_selectorELNS0_4arch9wavefront6targetE0EEEvT1_.has_dyn_sized_stack, 0
	.set _ZN7rocprim17ROCPRIM_400000_NS6detail17trampoline_kernelINS0_14default_configENS1_25partition_config_selectorILNS1_17partition_subalgoE5ExNS0_10empty_typeEbEEZZNS1_14partition_implILS5_5ELb0ES3_mN6thrust23THRUST_200600_302600_NS6detail15normal_iteratorINSA_10device_ptrIxEEEEPS6_NSA_18transform_iteratorINSB_9not_fun_tI7is_trueIxEEENSC_INSD_IbEEEENSA_11use_defaultESO_EENS0_5tupleIJSF_S6_EEENSQ_IJSG_SG_EEES6_PlJS6_EEE10hipError_tPvRmT3_T4_T5_T6_T7_T9_mT8_P12ihipStream_tbDpT10_ENKUlT_T0_E_clISt17integral_constantIbLb0EES1D_EEDaS18_S19_EUlS18_E_NS1_11comp_targetILNS1_3genE3ELNS1_11target_archE908ELNS1_3gpuE7ELNS1_3repE0EEENS1_30default_config_static_selectorELNS0_4arch9wavefront6targetE0EEEvT1_.has_recursion, 0
	.set _ZN7rocprim17ROCPRIM_400000_NS6detail17trampoline_kernelINS0_14default_configENS1_25partition_config_selectorILNS1_17partition_subalgoE5ExNS0_10empty_typeEbEEZZNS1_14partition_implILS5_5ELb0ES3_mN6thrust23THRUST_200600_302600_NS6detail15normal_iteratorINSA_10device_ptrIxEEEEPS6_NSA_18transform_iteratorINSB_9not_fun_tI7is_trueIxEEENSC_INSD_IbEEEENSA_11use_defaultESO_EENS0_5tupleIJSF_S6_EEENSQ_IJSG_SG_EEES6_PlJS6_EEE10hipError_tPvRmT3_T4_T5_T6_T7_T9_mT8_P12ihipStream_tbDpT10_ENKUlT_T0_E_clISt17integral_constantIbLb0EES1D_EEDaS18_S19_EUlS18_E_NS1_11comp_targetILNS1_3genE3ELNS1_11target_archE908ELNS1_3gpuE7ELNS1_3repE0EEENS1_30default_config_static_selectorELNS0_4arch9wavefront6targetE0EEEvT1_.has_indirect_call, 0
	.section	.AMDGPU.csdata,"",@progbits
; Kernel info:
; codeLenInByte = 0
; TotalNumSgprs: 0
; NumVgprs: 0
; ScratchSize: 0
; MemoryBound: 0
; FloatMode: 240
; IeeeMode: 1
; LDSByteSize: 0 bytes/workgroup (compile time only)
; SGPRBlocks: 0
; VGPRBlocks: 0
; NumSGPRsForWavesPerEU: 1
; NumVGPRsForWavesPerEU: 1
; Occupancy: 16
; WaveLimiterHint : 0
; COMPUTE_PGM_RSRC2:SCRATCH_EN: 0
; COMPUTE_PGM_RSRC2:USER_SGPR: 2
; COMPUTE_PGM_RSRC2:TRAP_HANDLER: 0
; COMPUTE_PGM_RSRC2:TGID_X_EN: 1
; COMPUTE_PGM_RSRC2:TGID_Y_EN: 0
; COMPUTE_PGM_RSRC2:TGID_Z_EN: 0
; COMPUTE_PGM_RSRC2:TIDIG_COMP_CNT: 0
	.section	.text._ZN7rocprim17ROCPRIM_400000_NS6detail17trampoline_kernelINS0_14default_configENS1_25partition_config_selectorILNS1_17partition_subalgoE5ExNS0_10empty_typeEbEEZZNS1_14partition_implILS5_5ELb0ES3_mN6thrust23THRUST_200600_302600_NS6detail15normal_iteratorINSA_10device_ptrIxEEEEPS6_NSA_18transform_iteratorINSB_9not_fun_tI7is_trueIxEEENSC_INSD_IbEEEENSA_11use_defaultESO_EENS0_5tupleIJSF_S6_EEENSQ_IJSG_SG_EEES6_PlJS6_EEE10hipError_tPvRmT3_T4_T5_T6_T7_T9_mT8_P12ihipStream_tbDpT10_ENKUlT_T0_E_clISt17integral_constantIbLb0EES1D_EEDaS18_S19_EUlS18_E_NS1_11comp_targetILNS1_3genE2ELNS1_11target_archE906ELNS1_3gpuE6ELNS1_3repE0EEENS1_30default_config_static_selectorELNS0_4arch9wavefront6targetE0EEEvT1_,"axG",@progbits,_ZN7rocprim17ROCPRIM_400000_NS6detail17trampoline_kernelINS0_14default_configENS1_25partition_config_selectorILNS1_17partition_subalgoE5ExNS0_10empty_typeEbEEZZNS1_14partition_implILS5_5ELb0ES3_mN6thrust23THRUST_200600_302600_NS6detail15normal_iteratorINSA_10device_ptrIxEEEEPS6_NSA_18transform_iteratorINSB_9not_fun_tI7is_trueIxEEENSC_INSD_IbEEEENSA_11use_defaultESO_EENS0_5tupleIJSF_S6_EEENSQ_IJSG_SG_EEES6_PlJS6_EEE10hipError_tPvRmT3_T4_T5_T6_T7_T9_mT8_P12ihipStream_tbDpT10_ENKUlT_T0_E_clISt17integral_constantIbLb0EES1D_EEDaS18_S19_EUlS18_E_NS1_11comp_targetILNS1_3genE2ELNS1_11target_archE906ELNS1_3gpuE6ELNS1_3repE0EEENS1_30default_config_static_selectorELNS0_4arch9wavefront6targetE0EEEvT1_,comdat
	.protected	_ZN7rocprim17ROCPRIM_400000_NS6detail17trampoline_kernelINS0_14default_configENS1_25partition_config_selectorILNS1_17partition_subalgoE5ExNS0_10empty_typeEbEEZZNS1_14partition_implILS5_5ELb0ES3_mN6thrust23THRUST_200600_302600_NS6detail15normal_iteratorINSA_10device_ptrIxEEEEPS6_NSA_18transform_iteratorINSB_9not_fun_tI7is_trueIxEEENSC_INSD_IbEEEENSA_11use_defaultESO_EENS0_5tupleIJSF_S6_EEENSQ_IJSG_SG_EEES6_PlJS6_EEE10hipError_tPvRmT3_T4_T5_T6_T7_T9_mT8_P12ihipStream_tbDpT10_ENKUlT_T0_E_clISt17integral_constantIbLb0EES1D_EEDaS18_S19_EUlS18_E_NS1_11comp_targetILNS1_3genE2ELNS1_11target_archE906ELNS1_3gpuE6ELNS1_3repE0EEENS1_30default_config_static_selectorELNS0_4arch9wavefront6targetE0EEEvT1_ ; -- Begin function _ZN7rocprim17ROCPRIM_400000_NS6detail17trampoline_kernelINS0_14default_configENS1_25partition_config_selectorILNS1_17partition_subalgoE5ExNS0_10empty_typeEbEEZZNS1_14partition_implILS5_5ELb0ES3_mN6thrust23THRUST_200600_302600_NS6detail15normal_iteratorINSA_10device_ptrIxEEEEPS6_NSA_18transform_iteratorINSB_9not_fun_tI7is_trueIxEEENSC_INSD_IbEEEENSA_11use_defaultESO_EENS0_5tupleIJSF_S6_EEENSQ_IJSG_SG_EEES6_PlJS6_EEE10hipError_tPvRmT3_T4_T5_T6_T7_T9_mT8_P12ihipStream_tbDpT10_ENKUlT_T0_E_clISt17integral_constantIbLb0EES1D_EEDaS18_S19_EUlS18_E_NS1_11comp_targetILNS1_3genE2ELNS1_11target_archE906ELNS1_3gpuE6ELNS1_3repE0EEENS1_30default_config_static_selectorELNS0_4arch9wavefront6targetE0EEEvT1_
	.globl	_ZN7rocprim17ROCPRIM_400000_NS6detail17trampoline_kernelINS0_14default_configENS1_25partition_config_selectorILNS1_17partition_subalgoE5ExNS0_10empty_typeEbEEZZNS1_14partition_implILS5_5ELb0ES3_mN6thrust23THRUST_200600_302600_NS6detail15normal_iteratorINSA_10device_ptrIxEEEEPS6_NSA_18transform_iteratorINSB_9not_fun_tI7is_trueIxEEENSC_INSD_IbEEEENSA_11use_defaultESO_EENS0_5tupleIJSF_S6_EEENSQ_IJSG_SG_EEES6_PlJS6_EEE10hipError_tPvRmT3_T4_T5_T6_T7_T9_mT8_P12ihipStream_tbDpT10_ENKUlT_T0_E_clISt17integral_constantIbLb0EES1D_EEDaS18_S19_EUlS18_E_NS1_11comp_targetILNS1_3genE2ELNS1_11target_archE906ELNS1_3gpuE6ELNS1_3repE0EEENS1_30default_config_static_selectorELNS0_4arch9wavefront6targetE0EEEvT1_
	.p2align	8
	.type	_ZN7rocprim17ROCPRIM_400000_NS6detail17trampoline_kernelINS0_14default_configENS1_25partition_config_selectorILNS1_17partition_subalgoE5ExNS0_10empty_typeEbEEZZNS1_14partition_implILS5_5ELb0ES3_mN6thrust23THRUST_200600_302600_NS6detail15normal_iteratorINSA_10device_ptrIxEEEEPS6_NSA_18transform_iteratorINSB_9not_fun_tI7is_trueIxEEENSC_INSD_IbEEEENSA_11use_defaultESO_EENS0_5tupleIJSF_S6_EEENSQ_IJSG_SG_EEES6_PlJS6_EEE10hipError_tPvRmT3_T4_T5_T6_T7_T9_mT8_P12ihipStream_tbDpT10_ENKUlT_T0_E_clISt17integral_constantIbLb0EES1D_EEDaS18_S19_EUlS18_E_NS1_11comp_targetILNS1_3genE2ELNS1_11target_archE906ELNS1_3gpuE6ELNS1_3repE0EEENS1_30default_config_static_selectorELNS0_4arch9wavefront6targetE0EEEvT1_,@function
_ZN7rocprim17ROCPRIM_400000_NS6detail17trampoline_kernelINS0_14default_configENS1_25partition_config_selectorILNS1_17partition_subalgoE5ExNS0_10empty_typeEbEEZZNS1_14partition_implILS5_5ELb0ES3_mN6thrust23THRUST_200600_302600_NS6detail15normal_iteratorINSA_10device_ptrIxEEEEPS6_NSA_18transform_iteratorINSB_9not_fun_tI7is_trueIxEEENSC_INSD_IbEEEENSA_11use_defaultESO_EENS0_5tupleIJSF_S6_EEENSQ_IJSG_SG_EEES6_PlJS6_EEE10hipError_tPvRmT3_T4_T5_T6_T7_T9_mT8_P12ihipStream_tbDpT10_ENKUlT_T0_E_clISt17integral_constantIbLb0EES1D_EEDaS18_S19_EUlS18_E_NS1_11comp_targetILNS1_3genE2ELNS1_11target_archE906ELNS1_3gpuE6ELNS1_3repE0EEENS1_30default_config_static_selectorELNS0_4arch9wavefront6targetE0EEEvT1_: ; @_ZN7rocprim17ROCPRIM_400000_NS6detail17trampoline_kernelINS0_14default_configENS1_25partition_config_selectorILNS1_17partition_subalgoE5ExNS0_10empty_typeEbEEZZNS1_14partition_implILS5_5ELb0ES3_mN6thrust23THRUST_200600_302600_NS6detail15normal_iteratorINSA_10device_ptrIxEEEEPS6_NSA_18transform_iteratorINSB_9not_fun_tI7is_trueIxEEENSC_INSD_IbEEEENSA_11use_defaultESO_EENS0_5tupleIJSF_S6_EEENSQ_IJSG_SG_EEES6_PlJS6_EEE10hipError_tPvRmT3_T4_T5_T6_T7_T9_mT8_P12ihipStream_tbDpT10_ENKUlT_T0_E_clISt17integral_constantIbLb0EES1D_EEDaS18_S19_EUlS18_E_NS1_11comp_targetILNS1_3genE2ELNS1_11target_archE906ELNS1_3gpuE6ELNS1_3repE0EEENS1_30default_config_static_selectorELNS0_4arch9wavefront6targetE0EEEvT1_
; %bb.0:
	.section	.rodata,"a",@progbits
	.p2align	6, 0x0
	.amdhsa_kernel _ZN7rocprim17ROCPRIM_400000_NS6detail17trampoline_kernelINS0_14default_configENS1_25partition_config_selectorILNS1_17partition_subalgoE5ExNS0_10empty_typeEbEEZZNS1_14partition_implILS5_5ELb0ES3_mN6thrust23THRUST_200600_302600_NS6detail15normal_iteratorINSA_10device_ptrIxEEEEPS6_NSA_18transform_iteratorINSB_9not_fun_tI7is_trueIxEEENSC_INSD_IbEEEENSA_11use_defaultESO_EENS0_5tupleIJSF_S6_EEENSQ_IJSG_SG_EEES6_PlJS6_EEE10hipError_tPvRmT3_T4_T5_T6_T7_T9_mT8_P12ihipStream_tbDpT10_ENKUlT_T0_E_clISt17integral_constantIbLb0EES1D_EEDaS18_S19_EUlS18_E_NS1_11comp_targetILNS1_3genE2ELNS1_11target_archE906ELNS1_3gpuE6ELNS1_3repE0EEENS1_30default_config_static_selectorELNS0_4arch9wavefront6targetE0EEEvT1_
		.amdhsa_group_segment_fixed_size 0
		.amdhsa_private_segment_fixed_size 0
		.amdhsa_kernarg_size 120
		.amdhsa_user_sgpr_count 2
		.amdhsa_user_sgpr_dispatch_ptr 0
		.amdhsa_user_sgpr_queue_ptr 0
		.amdhsa_user_sgpr_kernarg_segment_ptr 1
		.amdhsa_user_sgpr_dispatch_id 0
		.amdhsa_user_sgpr_private_segment_size 0
		.amdhsa_wavefront_size32 1
		.amdhsa_uses_dynamic_stack 0
		.amdhsa_enable_private_segment 0
		.amdhsa_system_sgpr_workgroup_id_x 1
		.amdhsa_system_sgpr_workgroup_id_y 0
		.amdhsa_system_sgpr_workgroup_id_z 0
		.amdhsa_system_sgpr_workgroup_info 0
		.amdhsa_system_vgpr_workitem_id 0
		.amdhsa_next_free_vgpr 1
		.amdhsa_next_free_sgpr 1
		.amdhsa_reserve_vcc 0
		.amdhsa_float_round_mode_32 0
		.amdhsa_float_round_mode_16_64 0
		.amdhsa_float_denorm_mode_32 3
		.amdhsa_float_denorm_mode_16_64 3
		.amdhsa_fp16_overflow 0
		.amdhsa_workgroup_processor_mode 1
		.amdhsa_memory_ordered 1
		.amdhsa_forward_progress 1
		.amdhsa_inst_pref_size 0
		.amdhsa_round_robin_scheduling 0
		.amdhsa_exception_fp_ieee_invalid_op 0
		.amdhsa_exception_fp_denorm_src 0
		.amdhsa_exception_fp_ieee_div_zero 0
		.amdhsa_exception_fp_ieee_overflow 0
		.amdhsa_exception_fp_ieee_underflow 0
		.amdhsa_exception_fp_ieee_inexact 0
		.amdhsa_exception_int_div_zero 0
	.end_amdhsa_kernel
	.section	.text._ZN7rocprim17ROCPRIM_400000_NS6detail17trampoline_kernelINS0_14default_configENS1_25partition_config_selectorILNS1_17partition_subalgoE5ExNS0_10empty_typeEbEEZZNS1_14partition_implILS5_5ELb0ES3_mN6thrust23THRUST_200600_302600_NS6detail15normal_iteratorINSA_10device_ptrIxEEEEPS6_NSA_18transform_iteratorINSB_9not_fun_tI7is_trueIxEEENSC_INSD_IbEEEENSA_11use_defaultESO_EENS0_5tupleIJSF_S6_EEENSQ_IJSG_SG_EEES6_PlJS6_EEE10hipError_tPvRmT3_T4_T5_T6_T7_T9_mT8_P12ihipStream_tbDpT10_ENKUlT_T0_E_clISt17integral_constantIbLb0EES1D_EEDaS18_S19_EUlS18_E_NS1_11comp_targetILNS1_3genE2ELNS1_11target_archE906ELNS1_3gpuE6ELNS1_3repE0EEENS1_30default_config_static_selectorELNS0_4arch9wavefront6targetE0EEEvT1_,"axG",@progbits,_ZN7rocprim17ROCPRIM_400000_NS6detail17trampoline_kernelINS0_14default_configENS1_25partition_config_selectorILNS1_17partition_subalgoE5ExNS0_10empty_typeEbEEZZNS1_14partition_implILS5_5ELb0ES3_mN6thrust23THRUST_200600_302600_NS6detail15normal_iteratorINSA_10device_ptrIxEEEEPS6_NSA_18transform_iteratorINSB_9not_fun_tI7is_trueIxEEENSC_INSD_IbEEEENSA_11use_defaultESO_EENS0_5tupleIJSF_S6_EEENSQ_IJSG_SG_EEES6_PlJS6_EEE10hipError_tPvRmT3_T4_T5_T6_T7_T9_mT8_P12ihipStream_tbDpT10_ENKUlT_T0_E_clISt17integral_constantIbLb0EES1D_EEDaS18_S19_EUlS18_E_NS1_11comp_targetILNS1_3genE2ELNS1_11target_archE906ELNS1_3gpuE6ELNS1_3repE0EEENS1_30default_config_static_selectorELNS0_4arch9wavefront6targetE0EEEvT1_,comdat
.Lfunc_end2497:
	.size	_ZN7rocprim17ROCPRIM_400000_NS6detail17trampoline_kernelINS0_14default_configENS1_25partition_config_selectorILNS1_17partition_subalgoE5ExNS0_10empty_typeEbEEZZNS1_14partition_implILS5_5ELb0ES3_mN6thrust23THRUST_200600_302600_NS6detail15normal_iteratorINSA_10device_ptrIxEEEEPS6_NSA_18transform_iteratorINSB_9not_fun_tI7is_trueIxEEENSC_INSD_IbEEEENSA_11use_defaultESO_EENS0_5tupleIJSF_S6_EEENSQ_IJSG_SG_EEES6_PlJS6_EEE10hipError_tPvRmT3_T4_T5_T6_T7_T9_mT8_P12ihipStream_tbDpT10_ENKUlT_T0_E_clISt17integral_constantIbLb0EES1D_EEDaS18_S19_EUlS18_E_NS1_11comp_targetILNS1_3genE2ELNS1_11target_archE906ELNS1_3gpuE6ELNS1_3repE0EEENS1_30default_config_static_selectorELNS0_4arch9wavefront6targetE0EEEvT1_, .Lfunc_end2497-_ZN7rocprim17ROCPRIM_400000_NS6detail17trampoline_kernelINS0_14default_configENS1_25partition_config_selectorILNS1_17partition_subalgoE5ExNS0_10empty_typeEbEEZZNS1_14partition_implILS5_5ELb0ES3_mN6thrust23THRUST_200600_302600_NS6detail15normal_iteratorINSA_10device_ptrIxEEEEPS6_NSA_18transform_iteratorINSB_9not_fun_tI7is_trueIxEEENSC_INSD_IbEEEENSA_11use_defaultESO_EENS0_5tupleIJSF_S6_EEENSQ_IJSG_SG_EEES6_PlJS6_EEE10hipError_tPvRmT3_T4_T5_T6_T7_T9_mT8_P12ihipStream_tbDpT10_ENKUlT_T0_E_clISt17integral_constantIbLb0EES1D_EEDaS18_S19_EUlS18_E_NS1_11comp_targetILNS1_3genE2ELNS1_11target_archE906ELNS1_3gpuE6ELNS1_3repE0EEENS1_30default_config_static_selectorELNS0_4arch9wavefront6targetE0EEEvT1_
                                        ; -- End function
	.set _ZN7rocprim17ROCPRIM_400000_NS6detail17trampoline_kernelINS0_14default_configENS1_25partition_config_selectorILNS1_17partition_subalgoE5ExNS0_10empty_typeEbEEZZNS1_14partition_implILS5_5ELb0ES3_mN6thrust23THRUST_200600_302600_NS6detail15normal_iteratorINSA_10device_ptrIxEEEEPS6_NSA_18transform_iteratorINSB_9not_fun_tI7is_trueIxEEENSC_INSD_IbEEEENSA_11use_defaultESO_EENS0_5tupleIJSF_S6_EEENSQ_IJSG_SG_EEES6_PlJS6_EEE10hipError_tPvRmT3_T4_T5_T6_T7_T9_mT8_P12ihipStream_tbDpT10_ENKUlT_T0_E_clISt17integral_constantIbLb0EES1D_EEDaS18_S19_EUlS18_E_NS1_11comp_targetILNS1_3genE2ELNS1_11target_archE906ELNS1_3gpuE6ELNS1_3repE0EEENS1_30default_config_static_selectorELNS0_4arch9wavefront6targetE0EEEvT1_.num_vgpr, 0
	.set _ZN7rocprim17ROCPRIM_400000_NS6detail17trampoline_kernelINS0_14default_configENS1_25partition_config_selectorILNS1_17partition_subalgoE5ExNS0_10empty_typeEbEEZZNS1_14partition_implILS5_5ELb0ES3_mN6thrust23THRUST_200600_302600_NS6detail15normal_iteratorINSA_10device_ptrIxEEEEPS6_NSA_18transform_iteratorINSB_9not_fun_tI7is_trueIxEEENSC_INSD_IbEEEENSA_11use_defaultESO_EENS0_5tupleIJSF_S6_EEENSQ_IJSG_SG_EEES6_PlJS6_EEE10hipError_tPvRmT3_T4_T5_T6_T7_T9_mT8_P12ihipStream_tbDpT10_ENKUlT_T0_E_clISt17integral_constantIbLb0EES1D_EEDaS18_S19_EUlS18_E_NS1_11comp_targetILNS1_3genE2ELNS1_11target_archE906ELNS1_3gpuE6ELNS1_3repE0EEENS1_30default_config_static_selectorELNS0_4arch9wavefront6targetE0EEEvT1_.num_agpr, 0
	.set _ZN7rocprim17ROCPRIM_400000_NS6detail17trampoline_kernelINS0_14default_configENS1_25partition_config_selectorILNS1_17partition_subalgoE5ExNS0_10empty_typeEbEEZZNS1_14partition_implILS5_5ELb0ES3_mN6thrust23THRUST_200600_302600_NS6detail15normal_iteratorINSA_10device_ptrIxEEEEPS6_NSA_18transform_iteratorINSB_9not_fun_tI7is_trueIxEEENSC_INSD_IbEEEENSA_11use_defaultESO_EENS0_5tupleIJSF_S6_EEENSQ_IJSG_SG_EEES6_PlJS6_EEE10hipError_tPvRmT3_T4_T5_T6_T7_T9_mT8_P12ihipStream_tbDpT10_ENKUlT_T0_E_clISt17integral_constantIbLb0EES1D_EEDaS18_S19_EUlS18_E_NS1_11comp_targetILNS1_3genE2ELNS1_11target_archE906ELNS1_3gpuE6ELNS1_3repE0EEENS1_30default_config_static_selectorELNS0_4arch9wavefront6targetE0EEEvT1_.numbered_sgpr, 0
	.set _ZN7rocprim17ROCPRIM_400000_NS6detail17trampoline_kernelINS0_14default_configENS1_25partition_config_selectorILNS1_17partition_subalgoE5ExNS0_10empty_typeEbEEZZNS1_14partition_implILS5_5ELb0ES3_mN6thrust23THRUST_200600_302600_NS6detail15normal_iteratorINSA_10device_ptrIxEEEEPS6_NSA_18transform_iteratorINSB_9not_fun_tI7is_trueIxEEENSC_INSD_IbEEEENSA_11use_defaultESO_EENS0_5tupleIJSF_S6_EEENSQ_IJSG_SG_EEES6_PlJS6_EEE10hipError_tPvRmT3_T4_T5_T6_T7_T9_mT8_P12ihipStream_tbDpT10_ENKUlT_T0_E_clISt17integral_constantIbLb0EES1D_EEDaS18_S19_EUlS18_E_NS1_11comp_targetILNS1_3genE2ELNS1_11target_archE906ELNS1_3gpuE6ELNS1_3repE0EEENS1_30default_config_static_selectorELNS0_4arch9wavefront6targetE0EEEvT1_.num_named_barrier, 0
	.set _ZN7rocprim17ROCPRIM_400000_NS6detail17trampoline_kernelINS0_14default_configENS1_25partition_config_selectorILNS1_17partition_subalgoE5ExNS0_10empty_typeEbEEZZNS1_14partition_implILS5_5ELb0ES3_mN6thrust23THRUST_200600_302600_NS6detail15normal_iteratorINSA_10device_ptrIxEEEEPS6_NSA_18transform_iteratorINSB_9not_fun_tI7is_trueIxEEENSC_INSD_IbEEEENSA_11use_defaultESO_EENS0_5tupleIJSF_S6_EEENSQ_IJSG_SG_EEES6_PlJS6_EEE10hipError_tPvRmT3_T4_T5_T6_T7_T9_mT8_P12ihipStream_tbDpT10_ENKUlT_T0_E_clISt17integral_constantIbLb0EES1D_EEDaS18_S19_EUlS18_E_NS1_11comp_targetILNS1_3genE2ELNS1_11target_archE906ELNS1_3gpuE6ELNS1_3repE0EEENS1_30default_config_static_selectorELNS0_4arch9wavefront6targetE0EEEvT1_.private_seg_size, 0
	.set _ZN7rocprim17ROCPRIM_400000_NS6detail17trampoline_kernelINS0_14default_configENS1_25partition_config_selectorILNS1_17partition_subalgoE5ExNS0_10empty_typeEbEEZZNS1_14partition_implILS5_5ELb0ES3_mN6thrust23THRUST_200600_302600_NS6detail15normal_iteratorINSA_10device_ptrIxEEEEPS6_NSA_18transform_iteratorINSB_9not_fun_tI7is_trueIxEEENSC_INSD_IbEEEENSA_11use_defaultESO_EENS0_5tupleIJSF_S6_EEENSQ_IJSG_SG_EEES6_PlJS6_EEE10hipError_tPvRmT3_T4_T5_T6_T7_T9_mT8_P12ihipStream_tbDpT10_ENKUlT_T0_E_clISt17integral_constantIbLb0EES1D_EEDaS18_S19_EUlS18_E_NS1_11comp_targetILNS1_3genE2ELNS1_11target_archE906ELNS1_3gpuE6ELNS1_3repE0EEENS1_30default_config_static_selectorELNS0_4arch9wavefront6targetE0EEEvT1_.uses_vcc, 0
	.set _ZN7rocprim17ROCPRIM_400000_NS6detail17trampoline_kernelINS0_14default_configENS1_25partition_config_selectorILNS1_17partition_subalgoE5ExNS0_10empty_typeEbEEZZNS1_14partition_implILS5_5ELb0ES3_mN6thrust23THRUST_200600_302600_NS6detail15normal_iteratorINSA_10device_ptrIxEEEEPS6_NSA_18transform_iteratorINSB_9not_fun_tI7is_trueIxEEENSC_INSD_IbEEEENSA_11use_defaultESO_EENS0_5tupleIJSF_S6_EEENSQ_IJSG_SG_EEES6_PlJS6_EEE10hipError_tPvRmT3_T4_T5_T6_T7_T9_mT8_P12ihipStream_tbDpT10_ENKUlT_T0_E_clISt17integral_constantIbLb0EES1D_EEDaS18_S19_EUlS18_E_NS1_11comp_targetILNS1_3genE2ELNS1_11target_archE906ELNS1_3gpuE6ELNS1_3repE0EEENS1_30default_config_static_selectorELNS0_4arch9wavefront6targetE0EEEvT1_.uses_flat_scratch, 0
	.set _ZN7rocprim17ROCPRIM_400000_NS6detail17trampoline_kernelINS0_14default_configENS1_25partition_config_selectorILNS1_17partition_subalgoE5ExNS0_10empty_typeEbEEZZNS1_14partition_implILS5_5ELb0ES3_mN6thrust23THRUST_200600_302600_NS6detail15normal_iteratorINSA_10device_ptrIxEEEEPS6_NSA_18transform_iteratorINSB_9not_fun_tI7is_trueIxEEENSC_INSD_IbEEEENSA_11use_defaultESO_EENS0_5tupleIJSF_S6_EEENSQ_IJSG_SG_EEES6_PlJS6_EEE10hipError_tPvRmT3_T4_T5_T6_T7_T9_mT8_P12ihipStream_tbDpT10_ENKUlT_T0_E_clISt17integral_constantIbLb0EES1D_EEDaS18_S19_EUlS18_E_NS1_11comp_targetILNS1_3genE2ELNS1_11target_archE906ELNS1_3gpuE6ELNS1_3repE0EEENS1_30default_config_static_selectorELNS0_4arch9wavefront6targetE0EEEvT1_.has_dyn_sized_stack, 0
	.set _ZN7rocprim17ROCPRIM_400000_NS6detail17trampoline_kernelINS0_14default_configENS1_25partition_config_selectorILNS1_17partition_subalgoE5ExNS0_10empty_typeEbEEZZNS1_14partition_implILS5_5ELb0ES3_mN6thrust23THRUST_200600_302600_NS6detail15normal_iteratorINSA_10device_ptrIxEEEEPS6_NSA_18transform_iteratorINSB_9not_fun_tI7is_trueIxEEENSC_INSD_IbEEEENSA_11use_defaultESO_EENS0_5tupleIJSF_S6_EEENSQ_IJSG_SG_EEES6_PlJS6_EEE10hipError_tPvRmT3_T4_T5_T6_T7_T9_mT8_P12ihipStream_tbDpT10_ENKUlT_T0_E_clISt17integral_constantIbLb0EES1D_EEDaS18_S19_EUlS18_E_NS1_11comp_targetILNS1_3genE2ELNS1_11target_archE906ELNS1_3gpuE6ELNS1_3repE0EEENS1_30default_config_static_selectorELNS0_4arch9wavefront6targetE0EEEvT1_.has_recursion, 0
	.set _ZN7rocprim17ROCPRIM_400000_NS6detail17trampoline_kernelINS0_14default_configENS1_25partition_config_selectorILNS1_17partition_subalgoE5ExNS0_10empty_typeEbEEZZNS1_14partition_implILS5_5ELb0ES3_mN6thrust23THRUST_200600_302600_NS6detail15normal_iteratorINSA_10device_ptrIxEEEEPS6_NSA_18transform_iteratorINSB_9not_fun_tI7is_trueIxEEENSC_INSD_IbEEEENSA_11use_defaultESO_EENS0_5tupleIJSF_S6_EEENSQ_IJSG_SG_EEES6_PlJS6_EEE10hipError_tPvRmT3_T4_T5_T6_T7_T9_mT8_P12ihipStream_tbDpT10_ENKUlT_T0_E_clISt17integral_constantIbLb0EES1D_EEDaS18_S19_EUlS18_E_NS1_11comp_targetILNS1_3genE2ELNS1_11target_archE906ELNS1_3gpuE6ELNS1_3repE0EEENS1_30default_config_static_selectorELNS0_4arch9wavefront6targetE0EEEvT1_.has_indirect_call, 0
	.section	.AMDGPU.csdata,"",@progbits
; Kernel info:
; codeLenInByte = 0
; TotalNumSgprs: 0
; NumVgprs: 0
; ScratchSize: 0
; MemoryBound: 0
; FloatMode: 240
; IeeeMode: 1
; LDSByteSize: 0 bytes/workgroup (compile time only)
; SGPRBlocks: 0
; VGPRBlocks: 0
; NumSGPRsForWavesPerEU: 1
; NumVGPRsForWavesPerEU: 1
; Occupancy: 16
; WaveLimiterHint : 0
; COMPUTE_PGM_RSRC2:SCRATCH_EN: 0
; COMPUTE_PGM_RSRC2:USER_SGPR: 2
; COMPUTE_PGM_RSRC2:TRAP_HANDLER: 0
; COMPUTE_PGM_RSRC2:TGID_X_EN: 1
; COMPUTE_PGM_RSRC2:TGID_Y_EN: 0
; COMPUTE_PGM_RSRC2:TGID_Z_EN: 0
; COMPUTE_PGM_RSRC2:TIDIG_COMP_CNT: 0
	.section	.text._ZN7rocprim17ROCPRIM_400000_NS6detail17trampoline_kernelINS0_14default_configENS1_25partition_config_selectorILNS1_17partition_subalgoE5ExNS0_10empty_typeEbEEZZNS1_14partition_implILS5_5ELb0ES3_mN6thrust23THRUST_200600_302600_NS6detail15normal_iteratorINSA_10device_ptrIxEEEEPS6_NSA_18transform_iteratorINSB_9not_fun_tI7is_trueIxEEENSC_INSD_IbEEEENSA_11use_defaultESO_EENS0_5tupleIJSF_S6_EEENSQ_IJSG_SG_EEES6_PlJS6_EEE10hipError_tPvRmT3_T4_T5_T6_T7_T9_mT8_P12ihipStream_tbDpT10_ENKUlT_T0_E_clISt17integral_constantIbLb0EES1D_EEDaS18_S19_EUlS18_E_NS1_11comp_targetILNS1_3genE10ELNS1_11target_archE1200ELNS1_3gpuE4ELNS1_3repE0EEENS1_30default_config_static_selectorELNS0_4arch9wavefront6targetE0EEEvT1_,"axG",@progbits,_ZN7rocprim17ROCPRIM_400000_NS6detail17trampoline_kernelINS0_14default_configENS1_25partition_config_selectorILNS1_17partition_subalgoE5ExNS0_10empty_typeEbEEZZNS1_14partition_implILS5_5ELb0ES3_mN6thrust23THRUST_200600_302600_NS6detail15normal_iteratorINSA_10device_ptrIxEEEEPS6_NSA_18transform_iteratorINSB_9not_fun_tI7is_trueIxEEENSC_INSD_IbEEEENSA_11use_defaultESO_EENS0_5tupleIJSF_S6_EEENSQ_IJSG_SG_EEES6_PlJS6_EEE10hipError_tPvRmT3_T4_T5_T6_T7_T9_mT8_P12ihipStream_tbDpT10_ENKUlT_T0_E_clISt17integral_constantIbLb0EES1D_EEDaS18_S19_EUlS18_E_NS1_11comp_targetILNS1_3genE10ELNS1_11target_archE1200ELNS1_3gpuE4ELNS1_3repE0EEENS1_30default_config_static_selectorELNS0_4arch9wavefront6targetE0EEEvT1_,comdat
	.protected	_ZN7rocprim17ROCPRIM_400000_NS6detail17trampoline_kernelINS0_14default_configENS1_25partition_config_selectorILNS1_17partition_subalgoE5ExNS0_10empty_typeEbEEZZNS1_14partition_implILS5_5ELb0ES3_mN6thrust23THRUST_200600_302600_NS6detail15normal_iteratorINSA_10device_ptrIxEEEEPS6_NSA_18transform_iteratorINSB_9not_fun_tI7is_trueIxEEENSC_INSD_IbEEEENSA_11use_defaultESO_EENS0_5tupleIJSF_S6_EEENSQ_IJSG_SG_EEES6_PlJS6_EEE10hipError_tPvRmT3_T4_T5_T6_T7_T9_mT8_P12ihipStream_tbDpT10_ENKUlT_T0_E_clISt17integral_constantIbLb0EES1D_EEDaS18_S19_EUlS18_E_NS1_11comp_targetILNS1_3genE10ELNS1_11target_archE1200ELNS1_3gpuE4ELNS1_3repE0EEENS1_30default_config_static_selectorELNS0_4arch9wavefront6targetE0EEEvT1_ ; -- Begin function _ZN7rocprim17ROCPRIM_400000_NS6detail17trampoline_kernelINS0_14default_configENS1_25partition_config_selectorILNS1_17partition_subalgoE5ExNS0_10empty_typeEbEEZZNS1_14partition_implILS5_5ELb0ES3_mN6thrust23THRUST_200600_302600_NS6detail15normal_iteratorINSA_10device_ptrIxEEEEPS6_NSA_18transform_iteratorINSB_9not_fun_tI7is_trueIxEEENSC_INSD_IbEEEENSA_11use_defaultESO_EENS0_5tupleIJSF_S6_EEENSQ_IJSG_SG_EEES6_PlJS6_EEE10hipError_tPvRmT3_T4_T5_T6_T7_T9_mT8_P12ihipStream_tbDpT10_ENKUlT_T0_E_clISt17integral_constantIbLb0EES1D_EEDaS18_S19_EUlS18_E_NS1_11comp_targetILNS1_3genE10ELNS1_11target_archE1200ELNS1_3gpuE4ELNS1_3repE0EEENS1_30default_config_static_selectorELNS0_4arch9wavefront6targetE0EEEvT1_
	.globl	_ZN7rocprim17ROCPRIM_400000_NS6detail17trampoline_kernelINS0_14default_configENS1_25partition_config_selectorILNS1_17partition_subalgoE5ExNS0_10empty_typeEbEEZZNS1_14partition_implILS5_5ELb0ES3_mN6thrust23THRUST_200600_302600_NS6detail15normal_iteratorINSA_10device_ptrIxEEEEPS6_NSA_18transform_iteratorINSB_9not_fun_tI7is_trueIxEEENSC_INSD_IbEEEENSA_11use_defaultESO_EENS0_5tupleIJSF_S6_EEENSQ_IJSG_SG_EEES6_PlJS6_EEE10hipError_tPvRmT3_T4_T5_T6_T7_T9_mT8_P12ihipStream_tbDpT10_ENKUlT_T0_E_clISt17integral_constantIbLb0EES1D_EEDaS18_S19_EUlS18_E_NS1_11comp_targetILNS1_3genE10ELNS1_11target_archE1200ELNS1_3gpuE4ELNS1_3repE0EEENS1_30default_config_static_selectorELNS0_4arch9wavefront6targetE0EEEvT1_
	.p2align	8
	.type	_ZN7rocprim17ROCPRIM_400000_NS6detail17trampoline_kernelINS0_14default_configENS1_25partition_config_selectorILNS1_17partition_subalgoE5ExNS0_10empty_typeEbEEZZNS1_14partition_implILS5_5ELb0ES3_mN6thrust23THRUST_200600_302600_NS6detail15normal_iteratorINSA_10device_ptrIxEEEEPS6_NSA_18transform_iteratorINSB_9not_fun_tI7is_trueIxEEENSC_INSD_IbEEEENSA_11use_defaultESO_EENS0_5tupleIJSF_S6_EEENSQ_IJSG_SG_EEES6_PlJS6_EEE10hipError_tPvRmT3_T4_T5_T6_T7_T9_mT8_P12ihipStream_tbDpT10_ENKUlT_T0_E_clISt17integral_constantIbLb0EES1D_EEDaS18_S19_EUlS18_E_NS1_11comp_targetILNS1_3genE10ELNS1_11target_archE1200ELNS1_3gpuE4ELNS1_3repE0EEENS1_30default_config_static_selectorELNS0_4arch9wavefront6targetE0EEEvT1_,@function
_ZN7rocprim17ROCPRIM_400000_NS6detail17trampoline_kernelINS0_14default_configENS1_25partition_config_selectorILNS1_17partition_subalgoE5ExNS0_10empty_typeEbEEZZNS1_14partition_implILS5_5ELb0ES3_mN6thrust23THRUST_200600_302600_NS6detail15normal_iteratorINSA_10device_ptrIxEEEEPS6_NSA_18transform_iteratorINSB_9not_fun_tI7is_trueIxEEENSC_INSD_IbEEEENSA_11use_defaultESO_EENS0_5tupleIJSF_S6_EEENSQ_IJSG_SG_EEES6_PlJS6_EEE10hipError_tPvRmT3_T4_T5_T6_T7_T9_mT8_P12ihipStream_tbDpT10_ENKUlT_T0_E_clISt17integral_constantIbLb0EES1D_EEDaS18_S19_EUlS18_E_NS1_11comp_targetILNS1_3genE10ELNS1_11target_archE1200ELNS1_3gpuE4ELNS1_3repE0EEENS1_30default_config_static_selectorELNS0_4arch9wavefront6targetE0EEEvT1_: ; @_ZN7rocprim17ROCPRIM_400000_NS6detail17trampoline_kernelINS0_14default_configENS1_25partition_config_selectorILNS1_17partition_subalgoE5ExNS0_10empty_typeEbEEZZNS1_14partition_implILS5_5ELb0ES3_mN6thrust23THRUST_200600_302600_NS6detail15normal_iteratorINSA_10device_ptrIxEEEEPS6_NSA_18transform_iteratorINSB_9not_fun_tI7is_trueIxEEENSC_INSD_IbEEEENSA_11use_defaultESO_EENS0_5tupleIJSF_S6_EEENSQ_IJSG_SG_EEES6_PlJS6_EEE10hipError_tPvRmT3_T4_T5_T6_T7_T9_mT8_P12ihipStream_tbDpT10_ENKUlT_T0_E_clISt17integral_constantIbLb0EES1D_EEDaS18_S19_EUlS18_E_NS1_11comp_targetILNS1_3genE10ELNS1_11target_archE1200ELNS1_3gpuE4ELNS1_3repE0EEENS1_30default_config_static_selectorELNS0_4arch9wavefront6targetE0EEEvT1_
; %bb.0:
	s_clause 0x3
	s_load_b128 s[4:7], s[0:1], 0x8
	s_load_b128 s[8:11], s[0:1], 0x48
	s_load_b32 s2, s[0:1], 0x70
	s_load_b64 s[14:15], s[0:1], 0x58
	s_mov_b32 s13, 0
	s_lshl_b32 s19, ttmp9, 10
	v_lshrrev_b32_e32 v11, 2, v0
	v_or_b32_e32 v9, 0x200, v0
	v_or_b32_e32 v10, 0x300, v0
	s_mov_b32 s3, -1
	s_wait_kmcnt 0x0
	s_lshl_b64 s[20:21], s[6:7], 3
	s_load_b64 s[10:11], s[10:11], 0x0
	s_add_co_i32 s22, s2, -1
	s_lshl_b32 s12, s2, 10
	s_lshl_b32 s2, s22, 10
	s_add_nc_u64 s[16:17], s[6:7], s[12:13]
	s_add_co_i32 s2, s6, s2
	v_cmp_le_u64_e64 s12, s[14:15], s[16:17]
	s_sub_co_i32 s18, s14, s2
	s_cmp_eq_u32 ttmp9, s22
	s_add_nc_u64 s[4:5], s[4:5], s[20:21]
	s_cselect_b32 s16, -1, 0
	s_wait_alu 0xfffe
	s_and_b32 s2, s16, s12
	s_mov_b32 s12, s19
	s_xor_b32 s17, s2, -1
	s_lshl_b64 s[14:15], s[12:13], 3
	s_wait_alu 0xfffe
	s_and_b32 vcc_lo, exec_lo, s17
	s_add_nc_u64 s[14:15], s[4:5], s[14:15]
	s_cbranch_vccz .LBB2498_2
; %bb.1:
	v_lshlrev_b32_e32 v12, 3, v0
	v_or_b32_e32 v13, 0x100, v0
	v_lshrrev_b32_e32 v14, 2, v9
	v_lshrrev_b32_e32 v15, 2, v10
	v_and_b32_e32 v16, 56, v11
	s_wait_alu 0xfffe
	v_add_co_u32 v1, s2, s14, v12
	s_delay_alu instid0(VALU_DEP_1)
	v_add_co_ci_u32_e64 v2, null, s15, 0, s2
	v_lshrrev_b32_e32 v13, 2, v13
	v_and_b32_e32 v14, 0xb8, v14
	v_and_b32_e32 v15, 0xf8, v15
	s_clause 0x3
	flat_load_b64 v[3:4], v[1:2]
	flat_load_b64 v[5:6], v[1:2] offset:2048
	flat_load_b64 v[7:8], v[1:2] offset:4096
	;; [unrolled: 1-line block ×3, first 2 shown]
	v_add_nc_u32_e32 v16, v16, v12
	v_and_b32_e32 v13, 0x78, v13
	v_add_nc_u32_e32 v14, v14, v12
	s_mov_b32 s3, s13
	s_delay_alu instid0(VALU_DEP_2)
	v_add_nc_u32_e32 v13, v13, v12
	v_add_nc_u32_e32 v12, v15, v12
	s_wait_loadcnt_dscnt 0x303
	ds_store_b64 v16, v[3:4]
	s_wait_loadcnt_dscnt 0x203
	ds_store_b64 v13, v[5:6] offset:2048
	s_wait_loadcnt_dscnt 0x103
	ds_store_b64 v14, v[7:8] offset:4096
	;; [unrolled: 2-line block ×3, first 2 shown]
	s_wait_dscnt 0x0
	s_barrier_signal -1
	s_barrier_wait -1
.LBB2498_2:
	s_load_b64 s[4:5], s[0:1], 0x20
	v_cmp_gt_u32_e64 s2, s18, v0
	s_and_not1_b32 vcc_lo, exec_lo, s3
	s_cbranch_vccnz .LBB2498_10
; %bb.3:
	v_mov_b32_e32 v1, 0
	s_delay_alu instid0(VALU_DEP_1)
	v_dual_mov_b32 v2, v1 :: v_dual_mov_b32 v3, v1
	v_dual_mov_b32 v4, v1 :: v_dual_mov_b32 v5, v1
	;; [unrolled: 1-line block ×3, first 2 shown]
	v_mov_b32_e32 v8, v1
	s_and_saveexec_b32 s3, s2
	s_cbranch_execz .LBB2498_5
; %bb.4:
	v_dual_mov_b32 v15, v1 :: v_dual_lshlrev_b32 v2, 3, v0
	v_dual_mov_b32 v14, v1 :: v_dual_mov_b32 v17, v1
	v_dual_mov_b32 v16, v1 :: v_dual_mov_b32 v19, v1
	s_delay_alu instid0(VALU_DEP_3)
	v_add_co_u32 v2, s2, s14, v2
	s_wait_alu 0xf1ff
	v_add_co_ci_u32_e64 v3, null, s15, 0, s2
	v_mov_b32_e32 v18, v1
	flat_load_b64 v[12:13], v[2:3]
	s_wait_loadcnt_dscnt 0x0
	v_dual_mov_b32 v1, v12 :: v_dual_mov_b32 v2, v13
	v_dual_mov_b32 v3, v14 :: v_dual_mov_b32 v4, v15
	;; [unrolled: 1-line block ×4, first 2 shown]
.LBB2498_5:
	s_wait_alu 0xfffe
	s_or_b32 exec_lo, exec_lo, s3
	v_or_b32_e32 v12, 0x100, v0
	s_mov_b32 s2, exec_lo
	s_delay_alu instid0(VALU_DEP_1)
	v_cmpx_gt_u32_e64 s18, v12
	s_cbranch_execnz .LBB2498_134
; %bb.6:
	s_wait_alu 0xfffe
	s_or_b32 exec_lo, exec_lo, s2
	s_delay_alu instid0(SALU_CYCLE_1)
	s_mov_b32 s2, exec_lo
	v_cmpx_gt_u32_e64 s18, v9
	s_cbranch_execnz .LBB2498_135
.LBB2498_7:
	s_wait_alu 0xfffe
	s_or_b32 exec_lo, exec_lo, s2
	s_delay_alu instid0(SALU_CYCLE_1)
	s_mov_b32 s2, exec_lo
	v_cmpx_gt_u32_e64 s18, v10
	s_cbranch_execz .LBB2498_9
.LBB2498_8:
	v_lshlrev_b32_e32 v7, 3, v0
	s_delay_alu instid0(VALU_DEP_1)
	v_add_co_u32 v7, s3, s14, v7
	s_wait_alu 0xf1ff
	v_add_co_ci_u32_e64 v8, null, s15, 0, s3
	flat_load_b64 v[7:8], v[7:8] offset:6144
.LBB2498_9:
	s_wait_alu 0xfffe
	s_or_b32 exec_lo, exec_lo, s2
	v_lshrrev_b32_e32 v12, 2, v12
	v_lshrrev_b32_e32 v13, 2, v9
	;; [unrolled: 1-line block ×3, first 2 shown]
	v_and_b32_e32 v11, 56, v11
	v_lshlrev_b32_e32 v15, 3, v0
	v_and_b32_e32 v12, 0x78, v12
	v_and_b32_e32 v13, 0xf8, v13
	;; [unrolled: 1-line block ×3, first 2 shown]
	s_delay_alu instid0(VALU_DEP_4) | instskip(NEXT) | instid1(VALU_DEP_4)
	v_add_nc_u32_e32 v11, v11, v15
	v_add_nc_u32_e32 v12, v12, v15
	s_delay_alu instid0(VALU_DEP_4) | instskip(NEXT) | instid1(VALU_DEP_4)
	v_add_nc_u32_e32 v13, v13, v15
	v_add_nc_u32_e32 v14, v14, v15
	ds_store_b64 v11, v[1:2]
	s_wait_loadcnt_dscnt 0x1
	ds_store_b64 v12, v[3:4] offset:2048
	ds_store_b64 v13, v[5:6] offset:4096
	;; [unrolled: 1-line block ×3, first 2 shown]
	s_wait_dscnt 0x0
	s_barrier_signal -1
	s_barrier_wait -1
.LBB2498_10:
	v_and_b32_e32 v1, 0xf8, v0
	global_inv scope:SCOPE_SE
	v_lshrrev_b32_e32 v26, 5, v0
	s_wait_kmcnt 0x0
	s_add_nc_u64 s[2:3], s[4:5], s[6:7]
	s_and_b32 vcc_lo, exec_lo, s17
	v_lshl_add_u32 v1, v0, 5, v1
	s_wait_alu 0xfffe
	s_add_nc_u64 s[2:3], s[2:3], s[12:13]
	s_mov_b32 s4, -1
	ds_load_2addr_b64 v[5:8], v1 offset1:1
	ds_load_2addr_b64 v[1:4], v1 offset0:2 offset1:3
	s_wait_loadcnt_dscnt 0x0
	s_barrier_signal -1
	s_barrier_wait -1
	global_inv scope:SCOPE_SE
	s_cbranch_vccz .LBB2498_12
; %bb.11:
	s_clause 0x3
	global_load_u8 v11, v0, s[2:3]
	global_load_u8 v12, v0, s[2:3] offset:256
	global_load_u8 v13, v0, s[2:3] offset:512
	;; [unrolled: 1-line block ×3, first 2 shown]
	v_or_b32_e32 v15, 0x100, v0
	v_lshrrev_b32_e32 v16, 5, v9
	v_lshrrev_b32_e32 v17, 5, v10
	v_and_b32_e32 v18, 4, v26
	s_mov_b32 s4, 0
	v_lshrrev_b32_e32 v15, 5, v15
	v_and_b32_e32 v16, 20, v16
	v_and_b32_e32 v17, 28, v17
	v_add_nc_u32_e32 v18, v18, v0
	s_delay_alu instid0(VALU_DEP_4) | instskip(NEXT) | instid1(VALU_DEP_4)
	v_and_b32_e32 v15, 12, v15
	v_add_nc_u32_e32 v16, v16, v0
	s_delay_alu instid0(VALU_DEP_4) | instskip(NEXT) | instid1(VALU_DEP_3)
	v_add_nc_u32_e32 v17, v17, v0
	v_add_nc_u32_e32 v15, v15, v0
	s_wait_loadcnt 0x3
	v_xor_b32_e32 v11, 1, v11
	s_wait_loadcnt 0x2
	v_xor_b32_e32 v12, 1, v12
	;; [unrolled: 2-line block ×4, first 2 shown]
	ds_store_b8 v18, v11
	ds_store_b8 v15, v12 offset:256
	ds_store_b8 v16, v13 offset:512
	;; [unrolled: 1-line block ×3, first 2 shown]
	s_wait_dscnt 0x0
	s_barrier_signal -1
	s_barrier_wait -1
.LBB2498_12:
	v_lshlrev_b32_e32 v11, 2, v0
	v_lshrrev_b32_e32 v12, 3, v0
	s_and_not1_b32 vcc_lo, exec_lo, s4
	s_cbranch_vccnz .LBB2498_20
; %bb.13:
	v_dual_mov_b32 v13, 0 :: v_dual_mov_b32 v14, 0
	s_mov_b32 s4, exec_lo
	v_cmpx_gt_u32_e64 s18, v0
	s_cbranch_execz .LBB2498_15
; %bb.14:
	global_load_u8 v13, v0, s[2:3]
	s_wait_loadcnt 0x0
	v_xor_b32_e32 v13, 1, v13
	s_delay_alu instid0(VALU_DEP_1) | instskip(NEXT) | instid1(VALU_DEP_1)
	v_and_b32_e32 v14, 1, v13
	v_and_b32_e32 v14, 0xffff, v14
.LBB2498_15:
	s_or_b32 exec_lo, exec_lo, s4
	v_or_b32_e32 v15, 0x100, v0
	s_mov_b32 s4, exec_lo
	s_delay_alu instid0(VALU_DEP_1)
	v_cmpx_gt_u32_e64 s18, v15
	s_cbranch_execnz .LBB2498_136
; %bb.16:
	s_or_b32 exec_lo, exec_lo, s4
	s_delay_alu instid0(SALU_CYCLE_1)
	s_mov_b32 s4, exec_lo
	v_cmpx_gt_u32_e64 s18, v9
	s_cbranch_execnz .LBB2498_137
.LBB2498_17:
	s_or_b32 exec_lo, exec_lo, s4
	s_delay_alu instid0(SALU_CYCLE_1)
	s_mov_b32 s4, exec_lo
	v_cmpx_gt_u32_e64 s18, v10
	s_cbranch_execz .LBB2498_19
.LBB2498_18:
	global_load_u8 v16, v0, s[2:3] offset:768
	v_lshrrev_b32_e32 v17, 16, v14
	s_wait_loadcnt 0x0
	v_xor_b32_e32 v16, 1, v16
	s_delay_alu instid0(VALU_DEP_1) | instskip(NEXT) | instid1(VALU_DEP_1)
	v_lshlrev_b16 v16, 8, v16
	v_or_b32_e32 v16, v17, v16
	s_delay_alu instid0(VALU_DEP_1) | instskip(NEXT) | instid1(VALU_DEP_1)
	v_lshlrev_b32_e32 v16, 16, v16
	v_and_or_b32 v14, 0xffff, v14, v16
.LBB2498_19:
	s_or_b32 exec_lo, exec_lo, s4
	v_lshrrev_b32_e32 v15, 5, v15
	v_lshrrev_b32_e32 v9, 5, v9
	v_lshrrev_b32_e32 v10, 5, v10
	v_and_b32_e32 v16, 4, v26
	v_lshrrev_b32_e32 v17, 8, v14
	v_and_b32_e32 v15, 12, v15
	v_and_b32_e32 v9, 28, v9
	;; [unrolled: 1-line block ×3, first 2 shown]
	v_add_nc_u32_e32 v16, v16, v0
	v_lshrrev_b32_e32 v18, 24, v14
	v_add_nc_u32_e32 v15, v15, v0
	v_add_nc_u32_e32 v9, v9, v0
	;; [unrolled: 1-line block ×3, first 2 shown]
	ds_store_b8 v16, v13
	ds_store_b8 v15, v17 offset:256
	ds_store_b8_d16_hi v9, v14 offset:512
	ds_store_b8 v10, v18 offset:768
	s_wait_loadcnt_dscnt 0x0
	s_barrier_signal -1
	s_barrier_wait -1
.LBB2498_20:
	s_delay_alu instid0(VALU_DEP_1)
	v_dual_mov_b32 v10, 0 :: v_dual_and_b32 v9, 28, v12
	s_wait_loadcnt 0x0
	global_inv scope:SCOPE_SE
	s_load_b64 s[6:7], s[0:1], 0x68
	v_mbcnt_lo_u32_b32 v31, -1, 0
	v_add_nc_u32_e32 v9, v9, v11
	s_cmp_lg_u32 ttmp9, 0
	s_mov_b32 s3, -1
	s_delay_alu instid0(VALU_DEP_2)
	v_and_b32_e32 v32, 15, v31
	ds_load_b32 v27, v9
	s_wait_loadcnt_dscnt 0x0
	s_barrier_signal -1
	s_barrier_wait -1
	global_inv scope:SCOPE_SE
	v_and_b32_e32 v30, 0xff, v27
	v_bfe_u32 v29, v27, 8, 8
	v_bfe_u32 v28, v27, 16, 8
	v_lshrrev_b32_e32 v25, 24, v27
	s_delay_alu instid0(VALU_DEP_2) | instskip(NEXT) | instid1(VALU_DEP_1)
	v_add3_u32 v9, v29, v30, v28
	v_add_co_u32 v17, s2, v9, v25
	s_wait_alu 0xf1ff
	v_add_co_ci_u32_e64 v18, null, 0, 0, s2
	v_cmp_ne_u32_e64 s2, 0, v32
	s_cbranch_scc0 .LBB2498_77
; %bb.21:
	v_mov_b32_e32 v11, v17
	v_mov_b32_dpp v9, v17 row_shr:1 row_mask:0xf bank_mask:0xf
	v_mov_b32_dpp v14, v10 row_shr:1 row_mask:0xf bank_mask:0xf
	v_dual_mov_b32 v13, v17 :: v_dual_mov_b32 v12, v18
	s_and_saveexec_b32 s3, s2
; %bb.22:
	s_delay_alu instid0(VALU_DEP_3) | instskip(NEXT) | instid1(VALU_DEP_1)
	v_add_co_u32 v13, vcc_lo, v17, v9
	v_add_co_ci_u32_e64 v10, null, 0, v18, vcc_lo
	s_delay_alu instid0(VALU_DEP_2) | instskip(SKIP_1) | instid1(VALU_DEP_2)
	v_add_co_u32 v9, vcc_lo, 0, v13
	s_wait_alu 0xfffd
	v_add_co_ci_u32_e64 v10, null, v14, v10, vcc_lo
	s_delay_alu instid0(VALU_DEP_1)
	v_dual_mov_b32 v12, v10 :: v_dual_mov_b32 v11, v9
; %bb.23:
	s_wait_alu 0xfffe
	s_or_b32 exec_lo, exec_lo, s3
	v_mov_b32_dpp v9, v13 row_shr:2 row_mask:0xf bank_mask:0xf
	v_mov_b32_dpp v14, v10 row_shr:2 row_mask:0xf bank_mask:0xf
	s_mov_b32 s3, exec_lo
	v_cmpx_lt_u32_e32 1, v32
; %bb.24:
	s_delay_alu instid0(VALU_DEP_3) | instskip(SKIP_2) | instid1(VALU_DEP_2)
	v_add_co_u32 v13, vcc_lo, v11, v9
	s_wait_alu 0xfffd
	v_add_co_ci_u32_e64 v10, null, 0, v12, vcc_lo
	v_add_co_u32 v9, vcc_lo, 0, v13
	s_wait_alu 0xfffd
	s_delay_alu instid0(VALU_DEP_2) | instskip(NEXT) | instid1(VALU_DEP_1)
	v_add_co_ci_u32_e64 v10, null, v14, v10, vcc_lo
	v_dual_mov_b32 v12, v10 :: v_dual_mov_b32 v11, v9
; %bb.25:
	s_wait_alu 0xfffe
	s_or_b32 exec_lo, exec_lo, s3
	v_mov_b32_dpp v9, v13 row_shr:4 row_mask:0xf bank_mask:0xf
	v_mov_b32_dpp v14, v10 row_shr:4 row_mask:0xf bank_mask:0xf
	s_mov_b32 s3, exec_lo
	v_cmpx_lt_u32_e32 3, v32
; %bb.26:
	s_delay_alu instid0(VALU_DEP_3) | instskip(SKIP_2) | instid1(VALU_DEP_2)
	v_add_co_u32 v13, vcc_lo, v11, v9
	s_wait_alu 0xfffd
	v_add_co_ci_u32_e64 v10, null, 0, v12, vcc_lo
	v_add_co_u32 v9, vcc_lo, 0, v13
	s_wait_alu 0xfffd
	s_delay_alu instid0(VALU_DEP_2) | instskip(NEXT) | instid1(VALU_DEP_1)
	v_add_co_ci_u32_e64 v10, null, v14, v10, vcc_lo
	v_dual_mov_b32 v12, v10 :: v_dual_mov_b32 v11, v9
; %bb.27:
	s_wait_alu 0xfffe
	s_or_b32 exec_lo, exec_lo, s3
	v_mov_b32_dpp v14, v13 row_shr:8 row_mask:0xf bank_mask:0xf
	v_mov_b32_dpp v9, v10 row_shr:8 row_mask:0xf bank_mask:0xf
	s_mov_b32 s3, exec_lo
	v_cmpx_lt_u32_e32 7, v32
; %bb.28:
	s_delay_alu instid0(VALU_DEP_3) | instskip(SKIP_2) | instid1(VALU_DEP_2)
	v_add_co_u32 v13, vcc_lo, v11, v14
	s_wait_alu 0xfffd
	v_add_co_ci_u32_e64 v10, null, 0, v12, vcc_lo
	v_add_co_u32 v11, vcc_lo, 0, v13
	s_wait_alu 0xfffd
	s_delay_alu instid0(VALU_DEP_2) | instskip(NEXT) | instid1(VALU_DEP_1)
	v_add_co_ci_u32_e64 v12, null, v9, v10, vcc_lo
	v_mov_b32_e32 v10, v12
; %bb.29:
	s_wait_alu 0xfffe
	s_or_b32 exec_lo, exec_lo, s3
	ds_swizzle_b32 v9, v13 offset:swizzle(BROADCAST,32,15)
	ds_swizzle_b32 v14, v10 offset:swizzle(BROADCAST,32,15)
	v_and_b32_e32 v15, 16, v31
	s_mov_b32 s3, exec_lo
	s_delay_alu instid0(VALU_DEP_1)
	v_cmpx_ne_u32_e32 0, v15
	s_cbranch_execz .LBB2498_31
; %bb.30:
	s_wait_dscnt 0x1
	v_add_co_u32 v13, vcc_lo, v11, v9
	s_wait_alu 0xfffd
	v_add_co_ci_u32_e64 v10, null, 0, v12, vcc_lo
	s_delay_alu instid0(VALU_DEP_2) | instskip(SKIP_2) | instid1(VALU_DEP_2)
	v_add_co_u32 v9, vcc_lo, 0, v13
	s_wait_dscnt 0x0
	s_wait_alu 0xfffd
	v_add_co_ci_u32_e64 v10, null, v14, v10, vcc_lo
	s_delay_alu instid0(VALU_DEP_1)
	v_dual_mov_b32 v12, v10 :: v_dual_mov_b32 v11, v9
.LBB2498_31:
	s_wait_alu 0xfffe
	s_or_b32 exec_lo, exec_lo, s3
	s_wait_dscnt 0x1
	v_or_b32_e32 v9, 31, v0
	s_mov_b32 s3, exec_lo
	s_delay_alu instid0(VALU_DEP_1)
	v_cmpx_eq_u32_e64 v0, v9
; %bb.32:
	v_lshlrev_b32_e32 v9, 3, v26
	ds_store_b64 v9, v[11:12]
; %bb.33:
	s_wait_alu 0xfffe
	s_or_b32 exec_lo, exec_lo, s3
	s_delay_alu instid0(SALU_CYCLE_1)
	s_mov_b32 s3, exec_lo
	s_wait_loadcnt_dscnt 0x0
	s_barrier_signal -1
	s_barrier_wait -1
	global_inv scope:SCOPE_SE
	v_cmpx_gt_u32_e32 8, v0
	s_cbranch_execz .LBB2498_41
; %bb.34:
	v_lshlrev_b32_e32 v9, 3, v0
	s_mov_b32 s4, exec_lo
	ds_load_b64 v[11:12], v9
	s_wait_dscnt 0x0
	v_dual_mov_b32 v15, v11 :: v_dual_and_b32 v14, 7, v31
	v_mov_b32_dpp v19, v11 row_shr:1 row_mask:0xf bank_mask:0xf
	v_mov_b32_dpp v16, v12 row_shr:1 row_mask:0xf bank_mask:0xf
	s_delay_alu instid0(VALU_DEP_3)
	v_cmpx_ne_u32_e32 0, v14
; %bb.35:
	s_delay_alu instid0(VALU_DEP_3) | instskip(SKIP_2) | instid1(VALU_DEP_2)
	v_add_co_u32 v15, vcc_lo, v11, v19
	s_wait_alu 0xfffd
	v_add_co_ci_u32_e64 v12, null, 0, v12, vcc_lo
	v_add_co_u32 v11, vcc_lo, 0, v15
	s_wait_alu 0xfffd
	s_delay_alu instid0(VALU_DEP_2)
	v_add_co_ci_u32_e64 v12, null, v16, v12, vcc_lo
; %bb.36:
	s_or_b32 exec_lo, exec_lo, s4
	v_mov_b32_dpp v19, v15 row_shr:2 row_mask:0xf bank_mask:0xf
	s_delay_alu instid0(VALU_DEP_2)
	v_mov_b32_dpp v16, v12 row_shr:2 row_mask:0xf bank_mask:0xf
	s_mov_b32 s4, exec_lo
	v_cmpx_lt_u32_e32 1, v14
; %bb.37:
	s_delay_alu instid0(VALU_DEP_3) | instskip(SKIP_2) | instid1(VALU_DEP_2)
	v_add_co_u32 v15, vcc_lo, v11, v19
	s_wait_alu 0xfffd
	v_add_co_ci_u32_e64 v12, null, 0, v12, vcc_lo
	v_add_co_u32 v11, vcc_lo, 0, v15
	s_wait_alu 0xfffd
	s_delay_alu instid0(VALU_DEP_2)
	v_add_co_ci_u32_e64 v12, null, v16, v12, vcc_lo
; %bb.38:
	s_or_b32 exec_lo, exec_lo, s4
	v_mov_b32_dpp v16, v15 row_shr:4 row_mask:0xf bank_mask:0xf
	s_delay_alu instid0(VALU_DEP_2)
	v_mov_b32_dpp v15, v12 row_shr:4 row_mask:0xf bank_mask:0xf
	s_mov_b32 s4, exec_lo
	v_cmpx_lt_u32_e32 3, v14
; %bb.39:
	s_delay_alu instid0(VALU_DEP_3) | instskip(SKIP_2) | instid1(VALU_DEP_2)
	v_add_co_u32 v11, vcc_lo, v11, v16
	s_wait_alu 0xfffd
	v_add_co_ci_u32_e64 v12, null, 0, v12, vcc_lo
	v_add_co_u32 v11, vcc_lo, v11, 0
	s_wait_alu 0xfffd
	s_delay_alu instid0(VALU_DEP_2)
	v_add_co_ci_u32_e64 v12, null, v12, v15, vcc_lo
; %bb.40:
	s_or_b32 exec_lo, exec_lo, s4
	ds_store_b64 v9, v[11:12]
.LBB2498_41:
	s_wait_alu 0xfffe
	s_or_b32 exec_lo, exec_lo, s3
	s_delay_alu instid0(SALU_CYCLE_1)
	s_mov_b32 s4, exec_lo
	v_cmp_gt_u32_e32 vcc_lo, 32, v0
	s_wait_loadcnt_dscnt 0x0
	s_barrier_signal -1
	s_barrier_wait -1
	global_inv scope:SCOPE_SE
                                        ; implicit-def: $vgpr19_vgpr20
	v_cmpx_lt_u32_e32 31, v0
	s_cbranch_execz .LBB2498_43
; %bb.42:
	v_lshl_add_u32 v9, v26, 3, -8
	ds_load_b64 v[19:20], v9
	s_wait_dscnt 0x0
	v_add_co_u32 v13, s3, v13, v19
	s_wait_alu 0xf1ff
	v_add_co_ci_u32_e64 v10, null, v10, v20, s3
.LBB2498_43:
	s_or_b32 exec_lo, exec_lo, s4
	v_sub_co_u32 v9, s3, v31, 1
	s_delay_alu instid0(VALU_DEP_1) | instskip(NEXT) | instid1(VALU_DEP_1)
	v_cmp_gt_i32_e64 s4, 0, v9
	v_cndmask_b32_e64 v9, v9, v31, s4
	s_delay_alu instid0(VALU_DEP_1)
	v_lshlrev_b32_e32 v9, 2, v9
	ds_bpermute_b32 v33, v9, v13
	ds_bpermute_b32 v34, v9, v10
	s_and_saveexec_b32 s4, vcc_lo
	s_cbranch_execz .LBB2498_82
; %bb.44:
	v_mov_b32_e32 v12, 0
	ds_load_b64 v[9:10], v12 offset:56
	s_and_saveexec_b32 s5, s3
	s_cbranch_execz .LBB2498_46
; %bb.45:
	s_add_co_i32 s12, ttmp9, 32
	s_delay_alu instid0(SALU_CYCLE_1) | instskip(SKIP_2) | instid1(SALU_CYCLE_1)
	s_lshl_b64 s[12:13], s[12:13], 4
	s_wait_kmcnt 0x0
	s_add_nc_u64 s[12:13], s[6:7], s[12:13]
	v_dual_mov_b32 v11, 1 :: v_dual_mov_b32 v14, s13
	v_mov_b32_e32 v13, s12
	s_wait_dscnt 0x0
	;;#ASMSTART
	global_store_b128 v[13:14], v[9:12] off scope:SCOPE_DEV	
s_wait_storecnt 0x0
	;;#ASMEND
.LBB2498_46:
	s_wait_alu 0xfffe
	s_or_b32 exec_lo, exec_lo, s5
	v_xad_u32 v21, v31, -1, ttmp9
	s_mov_b32 s12, 0
	s_mov_b32 s5, exec_lo
	s_delay_alu instid0(VALU_DEP_1) | instskip(NEXT) | instid1(VALU_DEP_1)
	v_add_nc_u32_e32 v11, 32, v21
	v_lshlrev_b64_e32 v[11:12], 4, v[11:12]
	s_wait_kmcnt 0x0
	s_delay_alu instid0(VALU_DEP_1) | instskip(SKIP_1) | instid1(VALU_DEP_2)
	v_add_co_u32 v11, vcc_lo, s6, v11
	s_wait_alu 0xfffd
	v_add_co_ci_u32_e64 v12, null, s7, v12, vcc_lo
	;;#ASMSTART
	global_load_b128 v[13:16], v[11:12] off scope:SCOPE_DEV	
s_wait_loadcnt 0x0
	;;#ASMEND
	v_and_b32_e32 v16, 0xff, v15
	s_delay_alu instid0(VALU_DEP_1)
	v_cmpx_eq_u16_e32 0, v16
	s_cbranch_execz .LBB2498_49
.LBB2498_47:                            ; =>This Inner Loop Header: Depth=1
	;;#ASMSTART
	global_load_b128 v[13:16], v[11:12] off scope:SCOPE_DEV	
s_wait_loadcnt 0x0
	;;#ASMEND
	v_and_b32_e32 v16, 0xff, v15
	s_delay_alu instid0(VALU_DEP_1)
	v_cmp_ne_u16_e32 vcc_lo, 0, v16
	s_wait_alu 0xfffe
	s_or_b32 s12, vcc_lo, s12
	s_wait_alu 0xfffe
	s_and_not1_b32 exec_lo, exec_lo, s12
	s_cbranch_execnz .LBB2498_47
; %bb.48:
	s_or_b32 exec_lo, exec_lo, s12
.LBB2498_49:
	s_wait_alu 0xfffe
	s_or_b32 exec_lo, exec_lo, s5
	v_cmp_ne_u32_e32 vcc_lo, 31, v31
	v_and_b32_e32 v12, 0xff, v15
	v_lshlrev_b32_e64 v36, v31, -1
	s_mov_b32 s5, exec_lo
	s_wait_alu 0xfffd
	v_add_co_ci_u32_e64 v11, null, 0, v31, vcc_lo
	v_cmp_eq_u16_e32 vcc_lo, 2, v12
	s_delay_alu instid0(VALU_DEP_2)
	v_dual_mov_b32 v12, v13 :: v_dual_lshlrev_b32 v35, 2, v11
	s_wait_alu 0xfffd
	v_and_or_b32 v11, vcc_lo, v36, 0x80000000
	ds_bpermute_b32 v22, v35, v13
	ds_bpermute_b32 v16, v35, v14
	v_ctz_i32_b32_e32 v11, v11
	s_delay_alu instid0(VALU_DEP_1)
	v_cmpx_lt_u32_e64 v31, v11
	s_cbranch_execz .LBB2498_51
; %bb.50:
	s_wait_dscnt 0x1
	v_add_co_u32 v12, vcc_lo, v13, v22
	s_wait_alu 0xfffd
	v_add_co_ci_u32_e64 v14, null, 0, v14, vcc_lo
	s_delay_alu instid0(VALU_DEP_2) | instskip(SKIP_2) | instid1(VALU_DEP_2)
	v_add_co_u32 v13, vcc_lo, 0, v12
	s_wait_dscnt 0x0
	s_wait_alu 0xfffd
	v_add_co_ci_u32_e64 v14, null, v16, v14, vcc_lo
.LBB2498_51:
	s_wait_alu 0xfffe
	s_or_b32 exec_lo, exec_lo, s5
	v_cmp_gt_u32_e32 vcc_lo, 30, v31
	v_add_nc_u32_e32 v38, 2, v31
	s_mov_b32 s5, exec_lo
	s_wait_dscnt 0x0
	s_wait_alu 0xfffd
	v_cndmask_b32_e64 v16, 0, 2, vcc_lo
	s_delay_alu instid0(VALU_DEP_1)
	v_add_lshl_u32 v37, v16, v31, 2
	ds_bpermute_b32 v22, v37, v12
	ds_bpermute_b32 v16, v37, v14
	v_cmpx_le_u32_e64 v38, v11
	s_cbranch_execz .LBB2498_53
; %bb.52:
	s_wait_dscnt 0x1
	v_add_co_u32 v12, vcc_lo, v13, v22
	s_wait_alu 0xfffd
	v_add_co_ci_u32_e64 v14, null, 0, v14, vcc_lo
	s_delay_alu instid0(VALU_DEP_2) | instskip(SKIP_2) | instid1(VALU_DEP_2)
	v_add_co_u32 v13, vcc_lo, 0, v12
	s_wait_dscnt 0x0
	s_wait_alu 0xfffd
	v_add_co_ci_u32_e64 v14, null, v16, v14, vcc_lo
.LBB2498_53:
	s_wait_alu 0xfffe
	s_or_b32 exec_lo, exec_lo, s5
	v_cmp_gt_u32_e32 vcc_lo, 28, v31
	v_add_nc_u32_e32 v40, 4, v31
	s_mov_b32 s5, exec_lo
	s_wait_dscnt 0x0
	s_wait_alu 0xfffd
	v_cndmask_b32_e64 v16, 0, 4, vcc_lo
	s_delay_alu instid0(VALU_DEP_1)
	v_add_lshl_u32 v39, v16, v31, 2
	ds_bpermute_b32 v22, v39, v12
	ds_bpermute_b32 v16, v39, v14
	v_cmpx_le_u32_e64 v40, v11
	;; [unrolled: 25-line block ×3, first 2 shown]
	s_cbranch_execz .LBB2498_57
; %bb.56:
	s_wait_dscnt 0x1
	v_add_co_u32 v12, vcc_lo, v13, v22
	s_wait_alu 0xfffd
	v_add_co_ci_u32_e64 v14, null, 0, v14, vcc_lo
	s_delay_alu instid0(VALU_DEP_2) | instskip(SKIP_2) | instid1(VALU_DEP_2)
	v_add_co_u32 v13, vcc_lo, 0, v12
	s_wait_dscnt 0x0
	s_wait_alu 0xfffd
	v_add_co_ci_u32_e64 v14, null, v16, v14, vcc_lo
.LBB2498_57:
	s_wait_alu 0xfffe
	s_or_b32 exec_lo, exec_lo, s5
	v_lshl_or_b32 v43, v31, 2, 64
	v_add_nc_u32_e32 v44, 16, v31
	s_mov_b32 s5, exec_lo
	s_wait_dscnt 0x0
	ds_bpermute_b32 v16, v43, v12
	ds_bpermute_b32 v12, v43, v14
	v_cmpx_le_u32_e64 v44, v11
	s_cbranch_execz .LBB2498_59
; %bb.58:
	s_wait_dscnt 0x1
	v_add_co_u32 v11, vcc_lo, v13, v16
	s_wait_alu 0xfffd
	v_add_co_ci_u32_e64 v14, null, 0, v14, vcc_lo
	s_delay_alu instid0(VALU_DEP_2) | instskip(SKIP_2) | instid1(VALU_DEP_2)
	v_add_co_u32 v13, vcc_lo, v11, 0
	s_wait_dscnt 0x0
	s_wait_alu 0xfffd
	v_add_co_ci_u32_e64 v14, null, v14, v12, vcc_lo
.LBB2498_59:
	s_wait_alu 0xfffe
	s_or_b32 exec_lo, exec_lo, s5
	v_mov_b32_e32 v22, 0
	s_branch .LBB2498_62
.LBB2498_60:                            ;   in Loop: Header=BB2498_62 Depth=1
	s_wait_alu 0xfffe
	s_or_b32 exec_lo, exec_lo, s5
	v_add_co_u32 v13, vcc_lo, v13, v11
	v_subrev_nc_u32_e32 v21, 32, v21
	s_wait_alu 0xfffd
	v_add_co_ci_u32_e64 v14, null, v14, v12, vcc_lo
	s_mov_b32 s5, 0
.LBB2498_61:                            ;   in Loop: Header=BB2498_62 Depth=1
	s_wait_alu 0xfffe
	s_and_b32 vcc_lo, exec_lo, s5
	s_wait_alu 0xfffe
	s_cbranch_vccnz .LBB2498_78
.LBB2498_62:                            ; =>This Loop Header: Depth=1
                                        ;     Child Loop BB2498_65 Depth 2
	v_and_b32_e32 v11, 0xff, v15
	s_mov_b32 s5, -1
	s_delay_alu instid0(VALU_DEP_1)
	v_cmp_ne_u16_e32 vcc_lo, 2, v11
	s_wait_dscnt 0x0
	v_dual_mov_b32 v11, v13 :: v_dual_mov_b32 v12, v14
                                        ; implicit-def: $vgpr13_vgpr14
	s_cmp_lg_u32 vcc_lo, exec_lo
	s_cbranch_scc1 .LBB2498_61
; %bb.63:                               ;   in Loop: Header=BB2498_62 Depth=1
	v_lshlrev_b64_e32 v[13:14], 4, v[21:22]
	s_mov_b32 s5, exec_lo
	s_delay_alu instid0(VALU_DEP_1) | instskip(SKIP_1) | instid1(VALU_DEP_2)
	v_add_co_u32 v23, vcc_lo, s6, v13
	s_wait_alu 0xfffd
	v_add_co_ci_u32_e64 v24, null, s7, v14, vcc_lo
	;;#ASMSTART
	global_load_b128 v[13:16], v[23:24] off scope:SCOPE_DEV	
s_wait_loadcnt 0x0
	;;#ASMEND
	v_and_b32_e32 v16, 0xff, v15
	s_delay_alu instid0(VALU_DEP_1)
	v_cmpx_eq_u16_e32 0, v16
	s_cbranch_execz .LBB2498_67
; %bb.64:                               ;   in Loop: Header=BB2498_62 Depth=1
	s_mov_b32 s12, 0
.LBB2498_65:                            ;   Parent Loop BB2498_62 Depth=1
                                        ; =>  This Inner Loop Header: Depth=2
	;;#ASMSTART
	global_load_b128 v[13:16], v[23:24] off scope:SCOPE_DEV	
s_wait_loadcnt 0x0
	;;#ASMEND
	v_and_b32_e32 v16, 0xff, v15
	s_delay_alu instid0(VALU_DEP_1)
	v_cmp_ne_u16_e32 vcc_lo, 0, v16
	s_wait_alu 0xfffe
	s_or_b32 s12, vcc_lo, s12
	s_wait_alu 0xfffe
	s_and_not1_b32 exec_lo, exec_lo, s12
	s_cbranch_execnz .LBB2498_65
; %bb.66:                               ;   in Loop: Header=BB2498_62 Depth=1
	s_or_b32 exec_lo, exec_lo, s12
.LBB2498_67:                            ;   in Loop: Header=BB2498_62 Depth=1
	s_wait_alu 0xfffe
	s_or_b32 exec_lo, exec_lo, s5
	v_dual_mov_b32 v23, v13 :: v_dual_and_b32 v16, 0xff, v15
	ds_bpermute_b32 v45, v35, v13
	ds_bpermute_b32 v24, v35, v14
	s_mov_b32 s5, exec_lo
	v_cmp_eq_u16_e32 vcc_lo, 2, v16
	s_wait_alu 0xfffd
	v_and_or_b32 v16, vcc_lo, v36, 0x80000000
	s_delay_alu instid0(VALU_DEP_1) | instskip(NEXT) | instid1(VALU_DEP_1)
	v_ctz_i32_b32_e32 v16, v16
	v_cmpx_lt_u32_e64 v31, v16
	s_cbranch_execz .LBB2498_69
; %bb.68:                               ;   in Loop: Header=BB2498_62 Depth=1
	s_wait_dscnt 0x1
	v_add_co_u32 v23, vcc_lo, v13, v45
	s_wait_alu 0xfffd
	v_add_co_ci_u32_e64 v14, null, 0, v14, vcc_lo
	s_delay_alu instid0(VALU_DEP_2) | instskip(SKIP_2) | instid1(VALU_DEP_2)
	v_add_co_u32 v13, vcc_lo, 0, v23
	s_wait_dscnt 0x0
	s_wait_alu 0xfffd
	v_add_co_ci_u32_e64 v14, null, v24, v14, vcc_lo
.LBB2498_69:                            ;   in Loop: Header=BB2498_62 Depth=1
	s_wait_alu 0xfffe
	s_or_b32 exec_lo, exec_lo, s5
	s_wait_dscnt 0x1
	ds_bpermute_b32 v45, v37, v23
	s_wait_dscnt 0x1
	ds_bpermute_b32 v24, v37, v14
	s_mov_b32 s5, exec_lo
	v_cmpx_le_u32_e64 v38, v16
	s_cbranch_execz .LBB2498_71
; %bb.70:                               ;   in Loop: Header=BB2498_62 Depth=1
	s_wait_dscnt 0x1
	v_add_co_u32 v23, vcc_lo, v13, v45
	s_wait_alu 0xfffd
	v_add_co_ci_u32_e64 v14, null, 0, v14, vcc_lo
	s_delay_alu instid0(VALU_DEP_2) | instskip(SKIP_2) | instid1(VALU_DEP_2)
	v_add_co_u32 v13, vcc_lo, 0, v23
	s_wait_dscnt 0x0
	s_wait_alu 0xfffd
	v_add_co_ci_u32_e64 v14, null, v24, v14, vcc_lo
.LBB2498_71:                            ;   in Loop: Header=BB2498_62 Depth=1
	s_wait_alu 0xfffe
	s_or_b32 exec_lo, exec_lo, s5
	s_wait_dscnt 0x1
	ds_bpermute_b32 v45, v39, v23
	s_wait_dscnt 0x1
	ds_bpermute_b32 v24, v39, v14
	s_mov_b32 s5, exec_lo
	v_cmpx_le_u32_e64 v40, v16
	s_cbranch_execz .LBB2498_73
; %bb.72:                               ;   in Loop: Header=BB2498_62 Depth=1
	s_wait_dscnt 0x1
	v_add_co_u32 v23, vcc_lo, v13, v45
	s_wait_alu 0xfffd
	v_add_co_ci_u32_e64 v14, null, 0, v14, vcc_lo
	s_delay_alu instid0(VALU_DEP_2) | instskip(SKIP_2) | instid1(VALU_DEP_2)
	v_add_co_u32 v13, vcc_lo, 0, v23
	s_wait_dscnt 0x0
	s_wait_alu 0xfffd
	v_add_co_ci_u32_e64 v14, null, v24, v14, vcc_lo
.LBB2498_73:                            ;   in Loop: Header=BB2498_62 Depth=1
	s_wait_alu 0xfffe
	s_or_b32 exec_lo, exec_lo, s5
	s_wait_dscnt 0x1
	ds_bpermute_b32 v45, v41, v23
	s_wait_dscnt 0x1
	ds_bpermute_b32 v24, v41, v14
	s_mov_b32 s5, exec_lo
	v_cmpx_le_u32_e64 v42, v16
	s_cbranch_execz .LBB2498_75
; %bb.74:                               ;   in Loop: Header=BB2498_62 Depth=1
	s_wait_dscnt 0x1
	v_add_co_u32 v23, vcc_lo, v13, v45
	s_wait_alu 0xfffd
	v_add_co_ci_u32_e64 v14, null, 0, v14, vcc_lo
	s_delay_alu instid0(VALU_DEP_2) | instskip(SKIP_2) | instid1(VALU_DEP_2)
	v_add_co_u32 v13, vcc_lo, 0, v23
	s_wait_dscnt 0x0
	s_wait_alu 0xfffd
	v_add_co_ci_u32_e64 v14, null, v24, v14, vcc_lo
.LBB2498_75:                            ;   in Loop: Header=BB2498_62 Depth=1
	s_wait_alu 0xfffe
	s_or_b32 exec_lo, exec_lo, s5
	s_wait_dscnt 0x0
	ds_bpermute_b32 v24, v43, v23
	ds_bpermute_b32 v23, v43, v14
	s_mov_b32 s5, exec_lo
	v_cmpx_le_u32_e64 v44, v16
	s_cbranch_execz .LBB2498_60
; %bb.76:                               ;   in Loop: Header=BB2498_62 Depth=1
	s_wait_dscnt 0x1
	v_add_co_u32 v13, vcc_lo, v13, v24
	s_wait_alu 0xfffd
	v_add_co_ci_u32_e64 v14, null, 0, v14, vcc_lo
	s_delay_alu instid0(VALU_DEP_2) | instskip(SKIP_2) | instid1(VALU_DEP_2)
	v_add_co_u32 v13, vcc_lo, v13, 0
	s_wait_dscnt 0x0
	s_wait_alu 0xfffd
	v_add_co_ci_u32_e64 v14, null, v14, v23, vcc_lo
	s_branch .LBB2498_60
.LBB2498_77:
                                        ; implicit-def: $vgpr15_vgpr16
                                        ; implicit-def: $vgpr13_vgpr14
                                        ; implicit-def: $vgpr19_vgpr20
                                        ; implicit-def: $vgpr21_vgpr22
                                        ; implicit-def: $vgpr11_vgpr12
	s_wait_alu 0xfffe
	s_and_b32 vcc_lo, exec_lo, s3
	s_cbranch_vccnz .LBB2498_83
	s_branch .LBB2498_108
.LBB2498_78:
	s_and_saveexec_b32 s5, s3
	s_cbranch_execz .LBB2498_80
; %bb.79:
	s_add_co_i32 s12, ttmp9, 32
	s_mov_b32 s13, 0
	v_add_co_u32 v13, vcc_lo, v11, v9
	s_wait_alu 0xfffe
	s_lshl_b64 s[12:13], s[12:13], 4
	v_dual_mov_b32 v15, 2 :: v_dual_mov_b32 v16, 0
	s_wait_alu 0xfffe
	s_add_nc_u64 s[12:13], s[6:7], s[12:13]
	s_wait_alu 0xfffd
	v_add_co_ci_u32_e64 v14, null, v12, v10, vcc_lo
	s_wait_alu 0xfffe
	v_dual_mov_b32 v22, s13 :: v_dual_mov_b32 v21, s12
	;;#ASMSTART
	global_store_b128 v[21:22], v[13:16] off scope:SCOPE_DEV	
s_wait_storecnt 0x0
	;;#ASMEND
	ds_store_b128 v16, v[9:12] offset:8448
.LBB2498_80:
	s_wait_alu 0xfffe
	s_or_b32 exec_lo, exec_lo, s5
	v_cmp_eq_u32_e32 vcc_lo, 0, v0
	s_and_b32 exec_lo, exec_lo, vcc_lo
; %bb.81:
	v_mov_b32_e32 v9, 0
	ds_store_b64 v9, v[11:12] offset:56
.LBB2498_82:
	s_wait_alu 0xfffe
	s_or_b32 exec_lo, exec_lo, s4
	s_wait_dscnt 0x1
	v_cndmask_b32_e64 v10, v33, v19, s3
	v_cmp_ne_u32_e32 vcc_lo, 0, v0
	v_mov_b32_e32 v9, 0
	s_wait_loadcnt_dscnt 0x0
	s_barrier_signal -1
	s_barrier_wait -1
	global_inv scope:SCOPE_SE
	s_wait_alu 0xfffd
	v_cndmask_b32_e32 v16, 0, v10, vcc_lo
	ds_load_b64 v[13:14], v9 offset:56
	v_cndmask_b32_e64 v11, v34, v20, s3
	s_wait_loadcnt_dscnt 0x0
	s_barrier_signal -1
	s_barrier_wait -1
	global_inv scope:SCOPE_SE
	v_cndmask_b32_e32 v15, 0, v11, vcc_lo
	ds_load_b128 v[9:12], v9 offset:8448
	v_add_co_u32 v21, vcc_lo, v13, v16
	s_wait_alu 0xfffd
	v_add_co_ci_u32_e64 v22, null, v14, v15, vcc_lo
	s_delay_alu instid0(VALU_DEP_2) | instskip(SKIP_1) | instid1(VALU_DEP_2)
	v_add_co_u32 v19, vcc_lo, v21, v30
	s_wait_alu 0xfffd
	v_add_co_ci_u32_e64 v20, null, 0, v22, vcc_lo
	s_delay_alu instid0(VALU_DEP_2) | instskip(SKIP_1) | instid1(VALU_DEP_2)
	;; [unrolled: 4-line block ×3, first 2 shown]
	v_add_co_u32 v15, vcc_lo, v13, v28
	s_wait_alu 0xfffd
	v_add_co_ci_u32_e64 v16, null, 0, v14, vcc_lo
	s_branch .LBB2498_108
.LBB2498_83:
	s_wait_dscnt 0x0
	v_dual_mov_b32 v10, 0 :: v_dual_mov_b32 v11, v17
	v_mov_b32_dpp v12, v17 row_shr:1 row_mask:0xf bank_mask:0xf
	s_delay_alu instid0(VALU_DEP_2)
	v_mov_b32_dpp v9, v10 row_shr:1 row_mask:0xf bank_mask:0xf
	s_and_saveexec_b32 s3, s2
; %bb.84:
	s_delay_alu instid0(VALU_DEP_2) | instskip(NEXT) | instid1(VALU_DEP_1)
	v_add_co_u32 v11, vcc_lo, v17, v12
	v_add_co_ci_u32_e64 v10, null, 0, v18, vcc_lo
	s_delay_alu instid0(VALU_DEP_2) | instskip(SKIP_1) | instid1(VALU_DEP_2)
	v_add_co_u32 v17, vcc_lo, 0, v11
	s_wait_alu 0xfffd
	v_add_co_ci_u32_e64 v18, null, v9, v10, vcc_lo
	s_delay_alu instid0(VALU_DEP_1)
	v_mov_b32_e32 v10, v18
; %bb.85:
	s_wait_alu 0xfffe
	s_or_b32 exec_lo, exec_lo, s3
	v_mov_b32_dpp v9, v11 row_shr:2 row_mask:0xf bank_mask:0xf
	s_delay_alu instid0(VALU_DEP_2)
	v_mov_b32_dpp v12, v10 row_shr:2 row_mask:0xf bank_mask:0xf
	s_mov_b32 s2, exec_lo
	v_cmpx_lt_u32_e32 1, v32
; %bb.86:
	s_delay_alu instid0(VALU_DEP_3) | instskip(SKIP_2) | instid1(VALU_DEP_2)
	v_add_co_u32 v11, vcc_lo, v17, v9
	s_wait_alu 0xfffd
	v_add_co_ci_u32_e64 v10, null, 0, v18, vcc_lo
	v_add_co_u32 v9, vcc_lo, 0, v11
	s_wait_alu 0xfffd
	s_delay_alu instid0(VALU_DEP_2) | instskip(NEXT) | instid1(VALU_DEP_1)
	v_add_co_ci_u32_e64 v10, null, v12, v10, vcc_lo
	v_dual_mov_b32 v18, v10 :: v_dual_mov_b32 v17, v9
; %bb.87:
	s_wait_alu 0xfffe
	s_or_b32 exec_lo, exec_lo, s2
	v_mov_b32_dpp v9, v11 row_shr:4 row_mask:0xf bank_mask:0xf
	v_mov_b32_dpp v12, v10 row_shr:4 row_mask:0xf bank_mask:0xf
	s_mov_b32 s2, exec_lo
	v_cmpx_lt_u32_e32 3, v32
; %bb.88:
	s_delay_alu instid0(VALU_DEP_3) | instskip(SKIP_2) | instid1(VALU_DEP_2)
	v_add_co_u32 v11, vcc_lo, v17, v9
	s_wait_alu 0xfffd
	v_add_co_ci_u32_e64 v10, null, 0, v18, vcc_lo
	v_add_co_u32 v9, vcc_lo, 0, v11
	s_wait_alu 0xfffd
	s_delay_alu instid0(VALU_DEP_2) | instskip(NEXT) | instid1(VALU_DEP_1)
	v_add_co_ci_u32_e64 v10, null, v12, v10, vcc_lo
	v_dual_mov_b32 v18, v10 :: v_dual_mov_b32 v17, v9
; %bb.89:
	s_wait_alu 0xfffe
	s_or_b32 exec_lo, exec_lo, s2
	v_mov_b32_dpp v12, v11 row_shr:8 row_mask:0xf bank_mask:0xf
	v_mov_b32_dpp v9, v10 row_shr:8 row_mask:0xf bank_mask:0xf
	s_mov_b32 s2, exec_lo
	v_cmpx_lt_u32_e32 7, v32
; %bb.90:
	s_delay_alu instid0(VALU_DEP_3) | instskip(SKIP_2) | instid1(VALU_DEP_2)
	v_add_co_u32 v11, vcc_lo, v17, v12
	s_wait_alu 0xfffd
	v_add_co_ci_u32_e64 v10, null, 0, v18, vcc_lo
	v_add_co_u32 v17, vcc_lo, 0, v11
	s_wait_alu 0xfffd
	s_delay_alu instid0(VALU_DEP_2) | instskip(NEXT) | instid1(VALU_DEP_1)
	v_add_co_ci_u32_e64 v18, null, v9, v10, vcc_lo
	v_mov_b32_e32 v10, v18
; %bb.91:
	s_wait_alu 0xfffe
	s_or_b32 exec_lo, exec_lo, s2
	ds_swizzle_b32 v11, v11 offset:swizzle(BROADCAST,32,15)
	ds_swizzle_b32 v9, v10 offset:swizzle(BROADCAST,32,15)
	v_and_b32_e32 v10, 16, v31
	s_mov_b32 s2, exec_lo
	s_delay_alu instid0(VALU_DEP_1)
	v_cmpx_ne_u32_e32 0, v10
	s_cbranch_execz .LBB2498_93
; %bb.92:
	s_wait_dscnt 0x1
	v_add_co_u32 v10, vcc_lo, v17, v11
	s_wait_alu 0xfffd
	v_add_co_ci_u32_e64 v11, null, 0, v18, vcc_lo
	s_delay_alu instid0(VALU_DEP_2) | instskip(SKIP_2) | instid1(VALU_DEP_2)
	v_add_co_u32 v17, vcc_lo, v10, 0
	s_wait_dscnt 0x0
	s_wait_alu 0xfffd
	v_add_co_ci_u32_e64 v18, null, v11, v9, vcc_lo
.LBB2498_93:
	s_wait_alu 0xfffe
	s_or_b32 exec_lo, exec_lo, s2
	s_wait_dscnt 0x0
	v_or_b32_e32 v9, 31, v0
	s_mov_b32 s2, exec_lo
	s_delay_alu instid0(VALU_DEP_1)
	v_cmpx_eq_u32_e64 v0, v9
; %bb.94:
	v_lshlrev_b32_e32 v9, 3, v26
	ds_store_b64 v9, v[17:18]
; %bb.95:
	s_wait_alu 0xfffe
	s_or_b32 exec_lo, exec_lo, s2
	s_delay_alu instid0(SALU_CYCLE_1)
	s_mov_b32 s2, exec_lo
	s_wait_loadcnt_dscnt 0x0
	s_barrier_signal -1
	s_barrier_wait -1
	global_inv scope:SCOPE_SE
	v_cmpx_gt_u32_e32 8, v0
	s_cbranch_execz .LBB2498_103
; %bb.96:
	v_lshlrev_b32_e32 v11, 3, v0
	s_mov_b32 s3, exec_lo
	ds_load_b64 v[9:10], v11
	s_wait_dscnt 0x0
	v_dual_mov_b32 v13, v9 :: v_dual_and_b32 v12, 7, v31
	v_mov_b32_dpp v15, v9 row_shr:1 row_mask:0xf bank_mask:0xf
	v_mov_b32_dpp v14, v10 row_shr:1 row_mask:0xf bank_mask:0xf
	s_delay_alu instid0(VALU_DEP_3)
	v_cmpx_ne_u32_e32 0, v12
; %bb.97:
	s_delay_alu instid0(VALU_DEP_3) | instskip(SKIP_2) | instid1(VALU_DEP_2)
	v_add_co_u32 v13, vcc_lo, v9, v15
	s_wait_alu 0xfffd
	v_add_co_ci_u32_e64 v10, null, 0, v10, vcc_lo
	v_add_co_u32 v9, vcc_lo, 0, v13
	s_wait_alu 0xfffd
	s_delay_alu instid0(VALU_DEP_2)
	v_add_co_ci_u32_e64 v10, null, v14, v10, vcc_lo
; %bb.98:
	s_wait_alu 0xfffe
	s_or_b32 exec_lo, exec_lo, s3
	v_mov_b32_dpp v15, v13 row_shr:2 row_mask:0xf bank_mask:0xf
	s_delay_alu instid0(VALU_DEP_2)
	v_mov_b32_dpp v14, v10 row_shr:2 row_mask:0xf bank_mask:0xf
	s_mov_b32 s3, exec_lo
	v_cmpx_lt_u32_e32 1, v12
; %bb.99:
	s_delay_alu instid0(VALU_DEP_3) | instskip(SKIP_2) | instid1(VALU_DEP_2)
	v_add_co_u32 v13, vcc_lo, v9, v15
	s_wait_alu 0xfffd
	v_add_co_ci_u32_e64 v10, null, 0, v10, vcc_lo
	v_add_co_u32 v9, vcc_lo, 0, v13
	s_wait_alu 0xfffd
	s_delay_alu instid0(VALU_DEP_2)
	v_add_co_ci_u32_e64 v10, null, v14, v10, vcc_lo
; %bb.100:
	s_wait_alu 0xfffe
	s_or_b32 exec_lo, exec_lo, s3
	v_mov_b32_dpp v14, v13 row_shr:4 row_mask:0xf bank_mask:0xf
	s_delay_alu instid0(VALU_DEP_2)
	v_mov_b32_dpp v13, v10 row_shr:4 row_mask:0xf bank_mask:0xf
	s_mov_b32 s3, exec_lo
	v_cmpx_lt_u32_e32 3, v12
; %bb.101:
	s_delay_alu instid0(VALU_DEP_3) | instskip(SKIP_2) | instid1(VALU_DEP_2)
	v_add_co_u32 v9, vcc_lo, v9, v14
	s_wait_alu 0xfffd
	v_add_co_ci_u32_e64 v10, null, 0, v10, vcc_lo
	v_add_co_u32 v9, vcc_lo, v9, 0
	s_wait_alu 0xfffd
	s_delay_alu instid0(VALU_DEP_2)
	v_add_co_ci_u32_e64 v10, null, v10, v13, vcc_lo
; %bb.102:
	s_wait_alu 0xfffe
	s_or_b32 exec_lo, exec_lo, s3
	ds_store_b64 v11, v[9:10]
.LBB2498_103:
	s_wait_alu 0xfffe
	s_or_b32 exec_lo, exec_lo, s2
	v_mov_b32_e32 v13, 0
	v_mov_b32_e32 v14, 0
	s_mov_b32 s2, exec_lo
	s_wait_loadcnt_dscnt 0x0
	s_barrier_signal -1
	s_barrier_wait -1
	global_inv scope:SCOPE_SE
	v_cmpx_lt_u32_e32 31, v0
; %bb.104:
	v_lshl_add_u32 v9, v26, 3, -8
	ds_load_b64 v[13:14], v9
; %bb.105:
	s_wait_alu 0xfffe
	s_or_b32 exec_lo, exec_lo, s2
	v_sub_co_u32 v9, vcc_lo, v31, 1
	v_mov_b32_e32 v12, 0
	s_delay_alu instid0(VALU_DEP_2) | instskip(SKIP_1) | instid1(VALU_DEP_1)
	v_cmp_gt_i32_e64 s2, 0, v9
	s_wait_alu 0xf1ff
	v_cndmask_b32_e64 v9, v9, v31, s2
	s_wait_dscnt 0x0
	v_add_co_u32 v10, s2, v13, v17
	s_wait_alu 0xf1ff
	v_add_co_ci_u32_e64 v11, null, v14, v18, s2
	v_lshlrev_b32_e32 v9, 2, v9
	v_cmp_eq_u32_e64 s2, 0, v0
	ds_bpermute_b32 v15, v9, v10
	ds_bpermute_b32 v16, v9, v11
	ds_load_b64 v[9:10], v12 offset:56
	s_and_saveexec_b32 s3, s2
	s_cbranch_execz .LBB2498_107
; %bb.106:
	s_wait_kmcnt 0x0
	s_add_nc_u64 s[4:5], s[6:7], 0x200
	s_delay_alu instid0(SALU_CYCLE_1)
	v_dual_mov_b32 v11, 2 :: v_dual_mov_b32 v18, s5
	v_mov_b32_e32 v17, s4
	s_wait_dscnt 0x0
	;;#ASMSTART
	global_store_b128 v[17:18], v[9:12] off scope:SCOPE_DEV	
s_wait_storecnt 0x0
	;;#ASMEND
.LBB2498_107:
	s_wait_alu 0xfffe
	s_or_b32 exec_lo, exec_lo, s3
	s_wait_dscnt 0x1
	s_wait_alu 0xfffd
	v_dual_cndmask_b32 v11, v15, v13 :: v_dual_cndmask_b32 v12, v16, v14
	s_wait_loadcnt_dscnt 0x0
	s_barrier_signal -1
	s_barrier_wait -1
	s_delay_alu instid0(VALU_DEP_1)
	v_cndmask_b32_e64 v21, v11, 0, s2
	v_cndmask_b32_e64 v22, v12, 0, s2
	v_mov_b32_e32 v11, 0
	v_mov_b32_e32 v12, 0
	global_inv scope:SCOPE_SE
	v_add_co_u32 v19, vcc_lo, v21, v30
	s_wait_alu 0xfffd
	v_add_co_ci_u32_e64 v20, null, 0, v22, vcc_lo
	s_delay_alu instid0(VALU_DEP_2) | instskip(SKIP_1) | instid1(VALU_DEP_2)
	v_add_co_u32 v13, vcc_lo, v19, v29
	s_wait_alu 0xfffd
	v_add_co_ci_u32_e64 v14, null, 0, v20, vcc_lo
	s_delay_alu instid0(VALU_DEP_2) | instskip(SKIP_1) | instid1(VALU_DEP_2)
	v_add_co_u32 v15, vcc_lo, v13, v28
	s_wait_alu 0xfffd
	v_add_co_ci_u32_e64 v16, null, 0, v14, vcc_lo
.LBB2498_108:
	s_load_b64 s[2:3], s[0:1], 0x30
	v_and_b32_e32 v26, 1, v27
	s_wait_dscnt 0x0
	v_cmp_gt_u64_e32 vcc_lo, 0x101, v[9:10]
	v_lshrrev_b32_e32 v23, 16, v27
	v_lshrrev_b32_e32 v24, 8, v27
	s_mov_b32 s1, -1
	v_cmp_eq_u32_e64 s0, 1, v26
	s_cbranch_vccnz .LBB2498_112
; %bb.109:
	s_wait_alu 0xfffe
	s_and_b32 vcc_lo, exec_lo, s1
	s_wait_alu 0xfffe
	s_cbranch_vccnz .LBB2498_121
.LBB2498_110:
	v_cmp_eq_u32_e32 vcc_lo, 0, v0
	s_and_b32 s0, vcc_lo, s16
	s_wait_alu 0xfffe
	s_and_saveexec_b32 s1, s0
	s_cbranch_execnz .LBB2498_133
.LBB2498_111:
	s_endpgm
.LBB2498_112:
	v_add_co_u32 v17, vcc_lo, v11, v9
	s_wait_alu 0xfffd
	v_add_co_ci_u32_e64 v18, null, v12, v10, vcc_lo
	s_lshl_b64 s[4:5], s[10:11], 3
	s_wait_kmcnt 0x0
	s_wait_alu 0xfffe
	s_add_nc_u64 s[4:5], s[2:3], s[4:5]
	v_cmp_lt_u64_e32 vcc_lo, v[21:22], v[17:18]
	s_or_b32 s1, s17, vcc_lo
	s_wait_alu 0xfffe
	s_and_b32 s1, s1, s0
	s_wait_alu 0xfffe
	s_and_saveexec_b32 s0, s1
	s_cbranch_execz .LBB2498_114
; %bb.113:
	v_lshlrev_b64_e32 v[27:28], 3, v[21:22]
	s_delay_alu instid0(VALU_DEP_1) | instskip(SKIP_1) | instid1(VALU_DEP_2)
	v_add_co_u32 v27, vcc_lo, s4, v27
	s_wait_alu 0xfffd
	v_add_co_ci_u32_e64 v28, null, s5, v28, vcc_lo
	global_store_b64 v[27:28], v[5:6], off
.LBB2498_114:
	s_wait_alu 0xfffe
	s_or_b32 exec_lo, exec_lo, s0
	v_and_b32_e32 v22, 1, v24
	v_cmp_lt_u64_e32 vcc_lo, v[19:20], v[17:18]
	s_delay_alu instid0(VALU_DEP_2)
	v_cmp_eq_u32_e64 s0, 1, v22
	s_or_b32 s1, s17, vcc_lo
	s_wait_alu 0xfffe
	s_and_b32 s1, s1, s0
	s_wait_alu 0xfffe
	s_and_saveexec_b32 s0, s1
	s_cbranch_execz .LBB2498_116
; %bb.115:
	v_lshlrev_b64_e32 v[27:28], 3, v[19:20]
	s_delay_alu instid0(VALU_DEP_1) | instskip(SKIP_1) | instid1(VALU_DEP_2)
	v_add_co_u32 v27, vcc_lo, s4, v27
	s_wait_alu 0xfffd
	v_add_co_ci_u32_e64 v28, null, s5, v28, vcc_lo
	global_store_b64 v[27:28], v[7:8], off
.LBB2498_116:
	s_wait_alu 0xfffe
	s_or_b32 exec_lo, exec_lo, s0
	v_and_b32_e32 v20, 1, v23
	v_cmp_lt_u64_e32 vcc_lo, v[13:14], v[17:18]
	s_delay_alu instid0(VALU_DEP_2)
	v_cmp_eq_u32_e64 s0, 1, v20
	;; [unrolled: 20-line block ×3, first 2 shown]
	s_or_b32 s1, s17, vcc_lo
	s_wait_alu 0xfffe
	s_and_b32 s1, s1, s0
	s_wait_alu 0xfffe
	s_and_saveexec_b32 s0, s1
	s_cbranch_execz .LBB2498_120
; %bb.119:
	v_lshlrev_b64_e32 v[16:17], 3, v[15:16]
	s_delay_alu instid0(VALU_DEP_1) | instskip(SKIP_1) | instid1(VALU_DEP_2)
	v_add_co_u32 v16, vcc_lo, s4, v16
	s_wait_alu 0xfffd
	v_add_co_ci_u32_e64 v17, null, s5, v17, vcc_lo
	global_store_b64 v[16:17], v[3:4], off
.LBB2498_120:
	s_wait_alu 0xfffe
	s_or_b32 exec_lo, exec_lo, s0
	s_branch .LBB2498_110
.LBB2498_121:
	s_mov_b32 s0, exec_lo
	v_cmpx_eq_u32_e32 1, v26
; %bb.122:
	v_sub_nc_u32_e32 v14, v21, v11
	s_delay_alu instid0(VALU_DEP_1)
	v_lshlrev_b32_e32 v14, 3, v14
	ds_store_b64 v14, v[5:6]
; %bb.123:
	s_wait_alu 0xfffe
	s_or_b32 exec_lo, exec_lo, s0
	v_and_b32_e32 v5, 1, v24
	s_mov_b32 s0, exec_lo
	s_delay_alu instid0(VALU_DEP_1)
	v_cmpx_eq_u32_e32 1, v5
; %bb.124:
	v_sub_nc_u32_e32 v5, v19, v11
	s_delay_alu instid0(VALU_DEP_1)
	v_lshlrev_b32_e32 v5, 3, v5
	ds_store_b64 v5, v[7:8]
; %bb.125:
	s_wait_alu 0xfffe
	s_or_b32 exec_lo, exec_lo, s0
	v_and_b32_e32 v5, 1, v23
	s_mov_b32 s0, exec_lo
	s_delay_alu instid0(VALU_DEP_1)
	;; [unrolled: 12-line block ×3, first 2 shown]
	v_cmpx_eq_u32_e32 1, v1
; %bb.128:
	v_sub_nc_u32_e32 v1, v15, v11
	s_delay_alu instid0(VALU_DEP_1)
	v_lshlrev_b32_e32 v1, 3, v1
	ds_store_b64 v1, v[3:4]
; %bb.129:
	s_wait_alu 0xfffe
	s_or_b32 exec_lo, exec_lo, s0
	v_mov_b32_e32 v3, 0
	s_mov_b32 s1, exec_lo
	s_wait_storecnt 0x0
	s_wait_loadcnt_dscnt 0x0
	s_barrier_signal -1
	s_barrier_wait -1
	v_mov_b32_e32 v1, v3
	global_inv scope:SCOPE_SE
	v_cmpx_gt_u64_e64 v[9:10], v[0:1]
	s_cbranch_execz .LBB2498_132
; %bb.130:
	v_lshlrev_b64_e32 v[4:5], 3, v[11:12]
	s_lshl_b64 s[4:5], s[10:11], 3
	v_or_b32_e32 v2, 0x100, v0
	s_wait_kmcnt 0x0
	s_wait_alu 0xfffe
	s_add_nc_u64 s[2:3], s[2:3], s[4:5]
	s_wait_alu 0xfffe
	v_add_co_u32 v6, vcc_lo, s2, v4
	s_wait_alu 0xfffd
	v_add_co_ci_u32_e64 v7, null, s3, v5, vcc_lo
	v_dual_mov_b32 v5, v1 :: v_dual_mov_b32 v4, v0
	s_mov_b32 s2, 0
.LBB2498_131:                           ; =>This Inner Loop Header: Depth=1
	s_delay_alu instid0(VALU_DEP_1) | instskip(NEXT) | instid1(VALU_DEP_2)
	v_lshlrev_b32_e32 v1, 3, v4
	v_lshlrev_b64_e32 v[15:16], 3, v[4:5]
	v_dual_mov_b32 v5, v3 :: v_dual_mov_b32 v4, v2
	v_cmp_le_u64_e32 vcc_lo, v[9:10], v[2:3]
	ds_load_b64 v[13:14], v1
	v_add_nc_u32_e32 v2, 0x100, v2
	v_add_co_u32 v15, s0, v6, v15
	s_wait_alu 0xf1ff
	v_add_co_ci_u32_e64 v16, null, v7, v16, s0
	s_wait_alu 0xfffe
	s_or_b32 s2, vcc_lo, s2
	s_wait_dscnt 0x0
	global_store_b64 v[15:16], v[13:14], off
	s_wait_alu 0xfffe
	s_and_not1_b32 exec_lo, exec_lo, s2
	s_cbranch_execnz .LBB2498_131
.LBB2498_132:
	s_wait_alu 0xfffe
	s_or_b32 exec_lo, exec_lo, s1
	v_cmp_eq_u32_e32 vcc_lo, 0, v0
	s_and_b32 s0, vcc_lo, s16
	s_wait_alu 0xfffe
	s_and_saveexec_b32 s1, s0
	s_cbranch_execz .LBB2498_111
.LBB2498_133:
	v_add_co_u32 v0, vcc_lo, v11, v9
	s_wait_alu 0xfffd
	v_add_co_ci_u32_e64 v1, null, v12, v10, vcc_lo
	v_mov_b32_e32 v2, 0
	s_delay_alu instid0(VALU_DEP_3) | instskip(SKIP_1) | instid1(VALU_DEP_3)
	v_add_co_u32 v0, vcc_lo, v0, s10
	s_wait_alu 0xfffd
	v_add_co_ci_u32_e64 v1, null, s11, v1, vcc_lo
	global_store_b64 v2, v[0:1], s[8:9]
	s_endpgm
.LBB2498_134:
	v_lshlrev_b32_e32 v3, 3, v0
	s_delay_alu instid0(VALU_DEP_1)
	v_add_co_u32 v3, s3, s14, v3
	s_wait_alu 0xf1ff
	v_add_co_ci_u32_e64 v4, null, s15, 0, s3
	flat_load_b64 v[3:4], v[3:4] offset:2048
	s_wait_alu 0xfffe
	s_or_b32 exec_lo, exec_lo, s2
	s_delay_alu instid0(SALU_CYCLE_1)
	s_mov_b32 s2, exec_lo
	v_cmpx_gt_u32_e64 s18, v9
	s_cbranch_execz .LBB2498_7
.LBB2498_135:
	v_lshlrev_b32_e32 v5, 3, v0
	s_delay_alu instid0(VALU_DEP_1)
	v_add_co_u32 v5, s3, s14, v5
	s_wait_alu 0xf1ff
	v_add_co_ci_u32_e64 v6, null, s15, 0, s3
	flat_load_b64 v[5:6], v[5:6] offset:4096
	s_wait_alu 0xfffe
	s_or_b32 exec_lo, exec_lo, s2
	s_delay_alu instid0(SALU_CYCLE_1)
	s_mov_b32 s2, exec_lo
	v_cmpx_gt_u32_e64 s18, v10
	s_cbranch_execnz .LBB2498_8
	s_branch .LBB2498_9
.LBB2498_136:
	global_load_u8 v16, v0, s[2:3] offset:256
	s_wait_loadcnt 0x0
	v_xor_b32_e32 v16, 1, v16
	s_delay_alu instid0(VALU_DEP_1) | instskip(NEXT) | instid1(VALU_DEP_1)
	v_lshlrev_b16 v16, 8, v16
	v_or_b32_e32 v14, v14, v16
	s_delay_alu instid0(VALU_DEP_1) | instskip(SKIP_1) | instid1(SALU_CYCLE_1)
	v_and_b32_e32 v14, 0xffff, v14
	s_or_b32 exec_lo, exec_lo, s4
	s_mov_b32 s4, exec_lo
	v_cmpx_gt_u32_e64 s18, v9
	s_cbranch_execz .LBB2498_17
.LBB2498_137:
	global_load_u8 v16, v0, s[2:3] offset:512
	s_wait_loadcnt 0x0
	v_xor_b32_e32 v16, 1, v16
	s_delay_alu instid0(VALU_DEP_1) | instskip(NEXT) | instid1(VALU_DEP_1)
	v_lshlrev_b32_e32 v16, 16, v16
	v_or_b32_e32 v14, v14, v16
	s_or_b32 exec_lo, exec_lo, s4
	s_delay_alu instid0(SALU_CYCLE_1)
	s_mov_b32 s4, exec_lo
	v_cmpx_gt_u32_e64 s18, v10
	s_cbranch_execnz .LBB2498_18
	s_branch .LBB2498_19
	.section	.rodata,"a",@progbits
	.p2align	6, 0x0
	.amdhsa_kernel _ZN7rocprim17ROCPRIM_400000_NS6detail17trampoline_kernelINS0_14default_configENS1_25partition_config_selectorILNS1_17partition_subalgoE5ExNS0_10empty_typeEbEEZZNS1_14partition_implILS5_5ELb0ES3_mN6thrust23THRUST_200600_302600_NS6detail15normal_iteratorINSA_10device_ptrIxEEEEPS6_NSA_18transform_iteratorINSB_9not_fun_tI7is_trueIxEEENSC_INSD_IbEEEENSA_11use_defaultESO_EENS0_5tupleIJSF_S6_EEENSQ_IJSG_SG_EEES6_PlJS6_EEE10hipError_tPvRmT3_T4_T5_T6_T7_T9_mT8_P12ihipStream_tbDpT10_ENKUlT_T0_E_clISt17integral_constantIbLb0EES1D_EEDaS18_S19_EUlS18_E_NS1_11comp_targetILNS1_3genE10ELNS1_11target_archE1200ELNS1_3gpuE4ELNS1_3repE0EEENS1_30default_config_static_selectorELNS0_4arch9wavefront6targetE0EEEvT1_
		.amdhsa_group_segment_fixed_size 8464
		.amdhsa_private_segment_fixed_size 0
		.amdhsa_kernarg_size 120
		.amdhsa_user_sgpr_count 2
		.amdhsa_user_sgpr_dispatch_ptr 0
		.amdhsa_user_sgpr_queue_ptr 0
		.amdhsa_user_sgpr_kernarg_segment_ptr 1
		.amdhsa_user_sgpr_dispatch_id 0
		.amdhsa_user_sgpr_private_segment_size 0
		.amdhsa_wavefront_size32 1
		.amdhsa_uses_dynamic_stack 0
		.amdhsa_enable_private_segment 0
		.amdhsa_system_sgpr_workgroup_id_x 1
		.amdhsa_system_sgpr_workgroup_id_y 0
		.amdhsa_system_sgpr_workgroup_id_z 0
		.amdhsa_system_sgpr_workgroup_info 0
		.amdhsa_system_vgpr_workitem_id 0
		.amdhsa_next_free_vgpr 46
		.amdhsa_next_free_sgpr 23
		.amdhsa_reserve_vcc 1
		.amdhsa_float_round_mode_32 0
		.amdhsa_float_round_mode_16_64 0
		.amdhsa_float_denorm_mode_32 3
		.amdhsa_float_denorm_mode_16_64 3
		.amdhsa_fp16_overflow 0
		.amdhsa_workgroup_processor_mode 1
		.amdhsa_memory_ordered 1
		.amdhsa_forward_progress 1
		.amdhsa_inst_pref_size 54
		.amdhsa_round_robin_scheduling 0
		.amdhsa_exception_fp_ieee_invalid_op 0
		.amdhsa_exception_fp_denorm_src 0
		.amdhsa_exception_fp_ieee_div_zero 0
		.amdhsa_exception_fp_ieee_overflow 0
		.amdhsa_exception_fp_ieee_underflow 0
		.amdhsa_exception_fp_ieee_inexact 0
		.amdhsa_exception_int_div_zero 0
	.end_amdhsa_kernel
	.section	.text._ZN7rocprim17ROCPRIM_400000_NS6detail17trampoline_kernelINS0_14default_configENS1_25partition_config_selectorILNS1_17partition_subalgoE5ExNS0_10empty_typeEbEEZZNS1_14partition_implILS5_5ELb0ES3_mN6thrust23THRUST_200600_302600_NS6detail15normal_iteratorINSA_10device_ptrIxEEEEPS6_NSA_18transform_iteratorINSB_9not_fun_tI7is_trueIxEEENSC_INSD_IbEEEENSA_11use_defaultESO_EENS0_5tupleIJSF_S6_EEENSQ_IJSG_SG_EEES6_PlJS6_EEE10hipError_tPvRmT3_T4_T5_T6_T7_T9_mT8_P12ihipStream_tbDpT10_ENKUlT_T0_E_clISt17integral_constantIbLb0EES1D_EEDaS18_S19_EUlS18_E_NS1_11comp_targetILNS1_3genE10ELNS1_11target_archE1200ELNS1_3gpuE4ELNS1_3repE0EEENS1_30default_config_static_selectorELNS0_4arch9wavefront6targetE0EEEvT1_,"axG",@progbits,_ZN7rocprim17ROCPRIM_400000_NS6detail17trampoline_kernelINS0_14default_configENS1_25partition_config_selectorILNS1_17partition_subalgoE5ExNS0_10empty_typeEbEEZZNS1_14partition_implILS5_5ELb0ES3_mN6thrust23THRUST_200600_302600_NS6detail15normal_iteratorINSA_10device_ptrIxEEEEPS6_NSA_18transform_iteratorINSB_9not_fun_tI7is_trueIxEEENSC_INSD_IbEEEENSA_11use_defaultESO_EENS0_5tupleIJSF_S6_EEENSQ_IJSG_SG_EEES6_PlJS6_EEE10hipError_tPvRmT3_T4_T5_T6_T7_T9_mT8_P12ihipStream_tbDpT10_ENKUlT_T0_E_clISt17integral_constantIbLb0EES1D_EEDaS18_S19_EUlS18_E_NS1_11comp_targetILNS1_3genE10ELNS1_11target_archE1200ELNS1_3gpuE4ELNS1_3repE0EEENS1_30default_config_static_selectorELNS0_4arch9wavefront6targetE0EEEvT1_,comdat
.Lfunc_end2498:
	.size	_ZN7rocprim17ROCPRIM_400000_NS6detail17trampoline_kernelINS0_14default_configENS1_25partition_config_selectorILNS1_17partition_subalgoE5ExNS0_10empty_typeEbEEZZNS1_14partition_implILS5_5ELb0ES3_mN6thrust23THRUST_200600_302600_NS6detail15normal_iteratorINSA_10device_ptrIxEEEEPS6_NSA_18transform_iteratorINSB_9not_fun_tI7is_trueIxEEENSC_INSD_IbEEEENSA_11use_defaultESO_EENS0_5tupleIJSF_S6_EEENSQ_IJSG_SG_EEES6_PlJS6_EEE10hipError_tPvRmT3_T4_T5_T6_T7_T9_mT8_P12ihipStream_tbDpT10_ENKUlT_T0_E_clISt17integral_constantIbLb0EES1D_EEDaS18_S19_EUlS18_E_NS1_11comp_targetILNS1_3genE10ELNS1_11target_archE1200ELNS1_3gpuE4ELNS1_3repE0EEENS1_30default_config_static_selectorELNS0_4arch9wavefront6targetE0EEEvT1_, .Lfunc_end2498-_ZN7rocprim17ROCPRIM_400000_NS6detail17trampoline_kernelINS0_14default_configENS1_25partition_config_selectorILNS1_17partition_subalgoE5ExNS0_10empty_typeEbEEZZNS1_14partition_implILS5_5ELb0ES3_mN6thrust23THRUST_200600_302600_NS6detail15normal_iteratorINSA_10device_ptrIxEEEEPS6_NSA_18transform_iteratorINSB_9not_fun_tI7is_trueIxEEENSC_INSD_IbEEEENSA_11use_defaultESO_EENS0_5tupleIJSF_S6_EEENSQ_IJSG_SG_EEES6_PlJS6_EEE10hipError_tPvRmT3_T4_T5_T6_T7_T9_mT8_P12ihipStream_tbDpT10_ENKUlT_T0_E_clISt17integral_constantIbLb0EES1D_EEDaS18_S19_EUlS18_E_NS1_11comp_targetILNS1_3genE10ELNS1_11target_archE1200ELNS1_3gpuE4ELNS1_3repE0EEENS1_30default_config_static_selectorELNS0_4arch9wavefront6targetE0EEEvT1_
                                        ; -- End function
	.set _ZN7rocprim17ROCPRIM_400000_NS6detail17trampoline_kernelINS0_14default_configENS1_25partition_config_selectorILNS1_17partition_subalgoE5ExNS0_10empty_typeEbEEZZNS1_14partition_implILS5_5ELb0ES3_mN6thrust23THRUST_200600_302600_NS6detail15normal_iteratorINSA_10device_ptrIxEEEEPS6_NSA_18transform_iteratorINSB_9not_fun_tI7is_trueIxEEENSC_INSD_IbEEEENSA_11use_defaultESO_EENS0_5tupleIJSF_S6_EEENSQ_IJSG_SG_EEES6_PlJS6_EEE10hipError_tPvRmT3_T4_T5_T6_T7_T9_mT8_P12ihipStream_tbDpT10_ENKUlT_T0_E_clISt17integral_constantIbLb0EES1D_EEDaS18_S19_EUlS18_E_NS1_11comp_targetILNS1_3genE10ELNS1_11target_archE1200ELNS1_3gpuE4ELNS1_3repE0EEENS1_30default_config_static_selectorELNS0_4arch9wavefront6targetE0EEEvT1_.num_vgpr, 46
	.set _ZN7rocprim17ROCPRIM_400000_NS6detail17trampoline_kernelINS0_14default_configENS1_25partition_config_selectorILNS1_17partition_subalgoE5ExNS0_10empty_typeEbEEZZNS1_14partition_implILS5_5ELb0ES3_mN6thrust23THRUST_200600_302600_NS6detail15normal_iteratorINSA_10device_ptrIxEEEEPS6_NSA_18transform_iteratorINSB_9not_fun_tI7is_trueIxEEENSC_INSD_IbEEEENSA_11use_defaultESO_EENS0_5tupleIJSF_S6_EEENSQ_IJSG_SG_EEES6_PlJS6_EEE10hipError_tPvRmT3_T4_T5_T6_T7_T9_mT8_P12ihipStream_tbDpT10_ENKUlT_T0_E_clISt17integral_constantIbLb0EES1D_EEDaS18_S19_EUlS18_E_NS1_11comp_targetILNS1_3genE10ELNS1_11target_archE1200ELNS1_3gpuE4ELNS1_3repE0EEENS1_30default_config_static_selectorELNS0_4arch9wavefront6targetE0EEEvT1_.num_agpr, 0
	.set _ZN7rocprim17ROCPRIM_400000_NS6detail17trampoline_kernelINS0_14default_configENS1_25partition_config_selectorILNS1_17partition_subalgoE5ExNS0_10empty_typeEbEEZZNS1_14partition_implILS5_5ELb0ES3_mN6thrust23THRUST_200600_302600_NS6detail15normal_iteratorINSA_10device_ptrIxEEEEPS6_NSA_18transform_iteratorINSB_9not_fun_tI7is_trueIxEEENSC_INSD_IbEEEENSA_11use_defaultESO_EENS0_5tupleIJSF_S6_EEENSQ_IJSG_SG_EEES6_PlJS6_EEE10hipError_tPvRmT3_T4_T5_T6_T7_T9_mT8_P12ihipStream_tbDpT10_ENKUlT_T0_E_clISt17integral_constantIbLb0EES1D_EEDaS18_S19_EUlS18_E_NS1_11comp_targetILNS1_3genE10ELNS1_11target_archE1200ELNS1_3gpuE4ELNS1_3repE0EEENS1_30default_config_static_selectorELNS0_4arch9wavefront6targetE0EEEvT1_.numbered_sgpr, 23
	.set _ZN7rocprim17ROCPRIM_400000_NS6detail17trampoline_kernelINS0_14default_configENS1_25partition_config_selectorILNS1_17partition_subalgoE5ExNS0_10empty_typeEbEEZZNS1_14partition_implILS5_5ELb0ES3_mN6thrust23THRUST_200600_302600_NS6detail15normal_iteratorINSA_10device_ptrIxEEEEPS6_NSA_18transform_iteratorINSB_9not_fun_tI7is_trueIxEEENSC_INSD_IbEEEENSA_11use_defaultESO_EENS0_5tupleIJSF_S6_EEENSQ_IJSG_SG_EEES6_PlJS6_EEE10hipError_tPvRmT3_T4_T5_T6_T7_T9_mT8_P12ihipStream_tbDpT10_ENKUlT_T0_E_clISt17integral_constantIbLb0EES1D_EEDaS18_S19_EUlS18_E_NS1_11comp_targetILNS1_3genE10ELNS1_11target_archE1200ELNS1_3gpuE4ELNS1_3repE0EEENS1_30default_config_static_selectorELNS0_4arch9wavefront6targetE0EEEvT1_.num_named_barrier, 0
	.set _ZN7rocprim17ROCPRIM_400000_NS6detail17trampoline_kernelINS0_14default_configENS1_25partition_config_selectorILNS1_17partition_subalgoE5ExNS0_10empty_typeEbEEZZNS1_14partition_implILS5_5ELb0ES3_mN6thrust23THRUST_200600_302600_NS6detail15normal_iteratorINSA_10device_ptrIxEEEEPS6_NSA_18transform_iteratorINSB_9not_fun_tI7is_trueIxEEENSC_INSD_IbEEEENSA_11use_defaultESO_EENS0_5tupleIJSF_S6_EEENSQ_IJSG_SG_EEES6_PlJS6_EEE10hipError_tPvRmT3_T4_T5_T6_T7_T9_mT8_P12ihipStream_tbDpT10_ENKUlT_T0_E_clISt17integral_constantIbLb0EES1D_EEDaS18_S19_EUlS18_E_NS1_11comp_targetILNS1_3genE10ELNS1_11target_archE1200ELNS1_3gpuE4ELNS1_3repE0EEENS1_30default_config_static_selectorELNS0_4arch9wavefront6targetE0EEEvT1_.private_seg_size, 0
	.set _ZN7rocprim17ROCPRIM_400000_NS6detail17trampoline_kernelINS0_14default_configENS1_25partition_config_selectorILNS1_17partition_subalgoE5ExNS0_10empty_typeEbEEZZNS1_14partition_implILS5_5ELb0ES3_mN6thrust23THRUST_200600_302600_NS6detail15normal_iteratorINSA_10device_ptrIxEEEEPS6_NSA_18transform_iteratorINSB_9not_fun_tI7is_trueIxEEENSC_INSD_IbEEEENSA_11use_defaultESO_EENS0_5tupleIJSF_S6_EEENSQ_IJSG_SG_EEES6_PlJS6_EEE10hipError_tPvRmT3_T4_T5_T6_T7_T9_mT8_P12ihipStream_tbDpT10_ENKUlT_T0_E_clISt17integral_constantIbLb0EES1D_EEDaS18_S19_EUlS18_E_NS1_11comp_targetILNS1_3genE10ELNS1_11target_archE1200ELNS1_3gpuE4ELNS1_3repE0EEENS1_30default_config_static_selectorELNS0_4arch9wavefront6targetE0EEEvT1_.uses_vcc, 1
	.set _ZN7rocprim17ROCPRIM_400000_NS6detail17trampoline_kernelINS0_14default_configENS1_25partition_config_selectorILNS1_17partition_subalgoE5ExNS0_10empty_typeEbEEZZNS1_14partition_implILS5_5ELb0ES3_mN6thrust23THRUST_200600_302600_NS6detail15normal_iteratorINSA_10device_ptrIxEEEEPS6_NSA_18transform_iteratorINSB_9not_fun_tI7is_trueIxEEENSC_INSD_IbEEEENSA_11use_defaultESO_EENS0_5tupleIJSF_S6_EEENSQ_IJSG_SG_EEES6_PlJS6_EEE10hipError_tPvRmT3_T4_T5_T6_T7_T9_mT8_P12ihipStream_tbDpT10_ENKUlT_T0_E_clISt17integral_constantIbLb0EES1D_EEDaS18_S19_EUlS18_E_NS1_11comp_targetILNS1_3genE10ELNS1_11target_archE1200ELNS1_3gpuE4ELNS1_3repE0EEENS1_30default_config_static_selectorELNS0_4arch9wavefront6targetE0EEEvT1_.uses_flat_scratch, 1
	.set _ZN7rocprim17ROCPRIM_400000_NS6detail17trampoline_kernelINS0_14default_configENS1_25partition_config_selectorILNS1_17partition_subalgoE5ExNS0_10empty_typeEbEEZZNS1_14partition_implILS5_5ELb0ES3_mN6thrust23THRUST_200600_302600_NS6detail15normal_iteratorINSA_10device_ptrIxEEEEPS6_NSA_18transform_iteratorINSB_9not_fun_tI7is_trueIxEEENSC_INSD_IbEEEENSA_11use_defaultESO_EENS0_5tupleIJSF_S6_EEENSQ_IJSG_SG_EEES6_PlJS6_EEE10hipError_tPvRmT3_T4_T5_T6_T7_T9_mT8_P12ihipStream_tbDpT10_ENKUlT_T0_E_clISt17integral_constantIbLb0EES1D_EEDaS18_S19_EUlS18_E_NS1_11comp_targetILNS1_3genE10ELNS1_11target_archE1200ELNS1_3gpuE4ELNS1_3repE0EEENS1_30default_config_static_selectorELNS0_4arch9wavefront6targetE0EEEvT1_.has_dyn_sized_stack, 0
	.set _ZN7rocprim17ROCPRIM_400000_NS6detail17trampoline_kernelINS0_14default_configENS1_25partition_config_selectorILNS1_17partition_subalgoE5ExNS0_10empty_typeEbEEZZNS1_14partition_implILS5_5ELb0ES3_mN6thrust23THRUST_200600_302600_NS6detail15normal_iteratorINSA_10device_ptrIxEEEEPS6_NSA_18transform_iteratorINSB_9not_fun_tI7is_trueIxEEENSC_INSD_IbEEEENSA_11use_defaultESO_EENS0_5tupleIJSF_S6_EEENSQ_IJSG_SG_EEES6_PlJS6_EEE10hipError_tPvRmT3_T4_T5_T6_T7_T9_mT8_P12ihipStream_tbDpT10_ENKUlT_T0_E_clISt17integral_constantIbLb0EES1D_EEDaS18_S19_EUlS18_E_NS1_11comp_targetILNS1_3genE10ELNS1_11target_archE1200ELNS1_3gpuE4ELNS1_3repE0EEENS1_30default_config_static_selectorELNS0_4arch9wavefront6targetE0EEEvT1_.has_recursion, 0
	.set _ZN7rocprim17ROCPRIM_400000_NS6detail17trampoline_kernelINS0_14default_configENS1_25partition_config_selectorILNS1_17partition_subalgoE5ExNS0_10empty_typeEbEEZZNS1_14partition_implILS5_5ELb0ES3_mN6thrust23THRUST_200600_302600_NS6detail15normal_iteratorINSA_10device_ptrIxEEEEPS6_NSA_18transform_iteratorINSB_9not_fun_tI7is_trueIxEEENSC_INSD_IbEEEENSA_11use_defaultESO_EENS0_5tupleIJSF_S6_EEENSQ_IJSG_SG_EEES6_PlJS6_EEE10hipError_tPvRmT3_T4_T5_T6_T7_T9_mT8_P12ihipStream_tbDpT10_ENKUlT_T0_E_clISt17integral_constantIbLb0EES1D_EEDaS18_S19_EUlS18_E_NS1_11comp_targetILNS1_3genE10ELNS1_11target_archE1200ELNS1_3gpuE4ELNS1_3repE0EEENS1_30default_config_static_selectorELNS0_4arch9wavefront6targetE0EEEvT1_.has_indirect_call, 0
	.section	.AMDGPU.csdata,"",@progbits
; Kernel info:
; codeLenInByte = 6852
; TotalNumSgprs: 25
; NumVgprs: 46
; ScratchSize: 0
; MemoryBound: 0
; FloatMode: 240
; IeeeMode: 1
; LDSByteSize: 8464 bytes/workgroup (compile time only)
; SGPRBlocks: 0
; VGPRBlocks: 5
; NumSGPRsForWavesPerEU: 25
; NumVGPRsForWavesPerEU: 46
; Occupancy: 16
; WaveLimiterHint : 1
; COMPUTE_PGM_RSRC2:SCRATCH_EN: 0
; COMPUTE_PGM_RSRC2:USER_SGPR: 2
; COMPUTE_PGM_RSRC2:TRAP_HANDLER: 0
; COMPUTE_PGM_RSRC2:TGID_X_EN: 1
; COMPUTE_PGM_RSRC2:TGID_Y_EN: 0
; COMPUTE_PGM_RSRC2:TGID_Z_EN: 0
; COMPUTE_PGM_RSRC2:TIDIG_COMP_CNT: 0
	.section	.text._ZN7rocprim17ROCPRIM_400000_NS6detail17trampoline_kernelINS0_14default_configENS1_25partition_config_selectorILNS1_17partition_subalgoE5ExNS0_10empty_typeEbEEZZNS1_14partition_implILS5_5ELb0ES3_mN6thrust23THRUST_200600_302600_NS6detail15normal_iteratorINSA_10device_ptrIxEEEEPS6_NSA_18transform_iteratorINSB_9not_fun_tI7is_trueIxEEENSC_INSD_IbEEEENSA_11use_defaultESO_EENS0_5tupleIJSF_S6_EEENSQ_IJSG_SG_EEES6_PlJS6_EEE10hipError_tPvRmT3_T4_T5_T6_T7_T9_mT8_P12ihipStream_tbDpT10_ENKUlT_T0_E_clISt17integral_constantIbLb0EES1D_EEDaS18_S19_EUlS18_E_NS1_11comp_targetILNS1_3genE9ELNS1_11target_archE1100ELNS1_3gpuE3ELNS1_3repE0EEENS1_30default_config_static_selectorELNS0_4arch9wavefront6targetE0EEEvT1_,"axG",@progbits,_ZN7rocprim17ROCPRIM_400000_NS6detail17trampoline_kernelINS0_14default_configENS1_25partition_config_selectorILNS1_17partition_subalgoE5ExNS0_10empty_typeEbEEZZNS1_14partition_implILS5_5ELb0ES3_mN6thrust23THRUST_200600_302600_NS6detail15normal_iteratorINSA_10device_ptrIxEEEEPS6_NSA_18transform_iteratorINSB_9not_fun_tI7is_trueIxEEENSC_INSD_IbEEEENSA_11use_defaultESO_EENS0_5tupleIJSF_S6_EEENSQ_IJSG_SG_EEES6_PlJS6_EEE10hipError_tPvRmT3_T4_T5_T6_T7_T9_mT8_P12ihipStream_tbDpT10_ENKUlT_T0_E_clISt17integral_constantIbLb0EES1D_EEDaS18_S19_EUlS18_E_NS1_11comp_targetILNS1_3genE9ELNS1_11target_archE1100ELNS1_3gpuE3ELNS1_3repE0EEENS1_30default_config_static_selectorELNS0_4arch9wavefront6targetE0EEEvT1_,comdat
	.protected	_ZN7rocprim17ROCPRIM_400000_NS6detail17trampoline_kernelINS0_14default_configENS1_25partition_config_selectorILNS1_17partition_subalgoE5ExNS0_10empty_typeEbEEZZNS1_14partition_implILS5_5ELb0ES3_mN6thrust23THRUST_200600_302600_NS6detail15normal_iteratorINSA_10device_ptrIxEEEEPS6_NSA_18transform_iteratorINSB_9not_fun_tI7is_trueIxEEENSC_INSD_IbEEEENSA_11use_defaultESO_EENS0_5tupleIJSF_S6_EEENSQ_IJSG_SG_EEES6_PlJS6_EEE10hipError_tPvRmT3_T4_T5_T6_T7_T9_mT8_P12ihipStream_tbDpT10_ENKUlT_T0_E_clISt17integral_constantIbLb0EES1D_EEDaS18_S19_EUlS18_E_NS1_11comp_targetILNS1_3genE9ELNS1_11target_archE1100ELNS1_3gpuE3ELNS1_3repE0EEENS1_30default_config_static_selectorELNS0_4arch9wavefront6targetE0EEEvT1_ ; -- Begin function _ZN7rocprim17ROCPRIM_400000_NS6detail17trampoline_kernelINS0_14default_configENS1_25partition_config_selectorILNS1_17partition_subalgoE5ExNS0_10empty_typeEbEEZZNS1_14partition_implILS5_5ELb0ES3_mN6thrust23THRUST_200600_302600_NS6detail15normal_iteratorINSA_10device_ptrIxEEEEPS6_NSA_18transform_iteratorINSB_9not_fun_tI7is_trueIxEEENSC_INSD_IbEEEENSA_11use_defaultESO_EENS0_5tupleIJSF_S6_EEENSQ_IJSG_SG_EEES6_PlJS6_EEE10hipError_tPvRmT3_T4_T5_T6_T7_T9_mT8_P12ihipStream_tbDpT10_ENKUlT_T0_E_clISt17integral_constantIbLb0EES1D_EEDaS18_S19_EUlS18_E_NS1_11comp_targetILNS1_3genE9ELNS1_11target_archE1100ELNS1_3gpuE3ELNS1_3repE0EEENS1_30default_config_static_selectorELNS0_4arch9wavefront6targetE0EEEvT1_
	.globl	_ZN7rocprim17ROCPRIM_400000_NS6detail17trampoline_kernelINS0_14default_configENS1_25partition_config_selectorILNS1_17partition_subalgoE5ExNS0_10empty_typeEbEEZZNS1_14partition_implILS5_5ELb0ES3_mN6thrust23THRUST_200600_302600_NS6detail15normal_iteratorINSA_10device_ptrIxEEEEPS6_NSA_18transform_iteratorINSB_9not_fun_tI7is_trueIxEEENSC_INSD_IbEEEENSA_11use_defaultESO_EENS0_5tupleIJSF_S6_EEENSQ_IJSG_SG_EEES6_PlJS6_EEE10hipError_tPvRmT3_T4_T5_T6_T7_T9_mT8_P12ihipStream_tbDpT10_ENKUlT_T0_E_clISt17integral_constantIbLb0EES1D_EEDaS18_S19_EUlS18_E_NS1_11comp_targetILNS1_3genE9ELNS1_11target_archE1100ELNS1_3gpuE3ELNS1_3repE0EEENS1_30default_config_static_selectorELNS0_4arch9wavefront6targetE0EEEvT1_
	.p2align	8
	.type	_ZN7rocprim17ROCPRIM_400000_NS6detail17trampoline_kernelINS0_14default_configENS1_25partition_config_selectorILNS1_17partition_subalgoE5ExNS0_10empty_typeEbEEZZNS1_14partition_implILS5_5ELb0ES3_mN6thrust23THRUST_200600_302600_NS6detail15normal_iteratorINSA_10device_ptrIxEEEEPS6_NSA_18transform_iteratorINSB_9not_fun_tI7is_trueIxEEENSC_INSD_IbEEEENSA_11use_defaultESO_EENS0_5tupleIJSF_S6_EEENSQ_IJSG_SG_EEES6_PlJS6_EEE10hipError_tPvRmT3_T4_T5_T6_T7_T9_mT8_P12ihipStream_tbDpT10_ENKUlT_T0_E_clISt17integral_constantIbLb0EES1D_EEDaS18_S19_EUlS18_E_NS1_11comp_targetILNS1_3genE9ELNS1_11target_archE1100ELNS1_3gpuE3ELNS1_3repE0EEENS1_30default_config_static_selectorELNS0_4arch9wavefront6targetE0EEEvT1_,@function
_ZN7rocprim17ROCPRIM_400000_NS6detail17trampoline_kernelINS0_14default_configENS1_25partition_config_selectorILNS1_17partition_subalgoE5ExNS0_10empty_typeEbEEZZNS1_14partition_implILS5_5ELb0ES3_mN6thrust23THRUST_200600_302600_NS6detail15normal_iteratorINSA_10device_ptrIxEEEEPS6_NSA_18transform_iteratorINSB_9not_fun_tI7is_trueIxEEENSC_INSD_IbEEEENSA_11use_defaultESO_EENS0_5tupleIJSF_S6_EEENSQ_IJSG_SG_EEES6_PlJS6_EEE10hipError_tPvRmT3_T4_T5_T6_T7_T9_mT8_P12ihipStream_tbDpT10_ENKUlT_T0_E_clISt17integral_constantIbLb0EES1D_EEDaS18_S19_EUlS18_E_NS1_11comp_targetILNS1_3genE9ELNS1_11target_archE1100ELNS1_3gpuE3ELNS1_3repE0EEENS1_30default_config_static_selectorELNS0_4arch9wavefront6targetE0EEEvT1_: ; @_ZN7rocprim17ROCPRIM_400000_NS6detail17trampoline_kernelINS0_14default_configENS1_25partition_config_selectorILNS1_17partition_subalgoE5ExNS0_10empty_typeEbEEZZNS1_14partition_implILS5_5ELb0ES3_mN6thrust23THRUST_200600_302600_NS6detail15normal_iteratorINSA_10device_ptrIxEEEEPS6_NSA_18transform_iteratorINSB_9not_fun_tI7is_trueIxEEENSC_INSD_IbEEEENSA_11use_defaultESO_EENS0_5tupleIJSF_S6_EEENSQ_IJSG_SG_EEES6_PlJS6_EEE10hipError_tPvRmT3_T4_T5_T6_T7_T9_mT8_P12ihipStream_tbDpT10_ENKUlT_T0_E_clISt17integral_constantIbLb0EES1D_EEDaS18_S19_EUlS18_E_NS1_11comp_targetILNS1_3genE9ELNS1_11target_archE1100ELNS1_3gpuE3ELNS1_3repE0EEENS1_30default_config_static_selectorELNS0_4arch9wavefront6targetE0EEEvT1_
; %bb.0:
	.section	.rodata,"a",@progbits
	.p2align	6, 0x0
	.amdhsa_kernel _ZN7rocprim17ROCPRIM_400000_NS6detail17trampoline_kernelINS0_14default_configENS1_25partition_config_selectorILNS1_17partition_subalgoE5ExNS0_10empty_typeEbEEZZNS1_14partition_implILS5_5ELb0ES3_mN6thrust23THRUST_200600_302600_NS6detail15normal_iteratorINSA_10device_ptrIxEEEEPS6_NSA_18transform_iteratorINSB_9not_fun_tI7is_trueIxEEENSC_INSD_IbEEEENSA_11use_defaultESO_EENS0_5tupleIJSF_S6_EEENSQ_IJSG_SG_EEES6_PlJS6_EEE10hipError_tPvRmT3_T4_T5_T6_T7_T9_mT8_P12ihipStream_tbDpT10_ENKUlT_T0_E_clISt17integral_constantIbLb0EES1D_EEDaS18_S19_EUlS18_E_NS1_11comp_targetILNS1_3genE9ELNS1_11target_archE1100ELNS1_3gpuE3ELNS1_3repE0EEENS1_30default_config_static_selectorELNS0_4arch9wavefront6targetE0EEEvT1_
		.amdhsa_group_segment_fixed_size 0
		.amdhsa_private_segment_fixed_size 0
		.amdhsa_kernarg_size 120
		.amdhsa_user_sgpr_count 2
		.amdhsa_user_sgpr_dispatch_ptr 0
		.amdhsa_user_sgpr_queue_ptr 0
		.amdhsa_user_sgpr_kernarg_segment_ptr 1
		.amdhsa_user_sgpr_dispatch_id 0
		.amdhsa_user_sgpr_private_segment_size 0
		.amdhsa_wavefront_size32 1
		.amdhsa_uses_dynamic_stack 0
		.amdhsa_enable_private_segment 0
		.amdhsa_system_sgpr_workgroup_id_x 1
		.amdhsa_system_sgpr_workgroup_id_y 0
		.amdhsa_system_sgpr_workgroup_id_z 0
		.amdhsa_system_sgpr_workgroup_info 0
		.amdhsa_system_vgpr_workitem_id 0
		.amdhsa_next_free_vgpr 1
		.amdhsa_next_free_sgpr 1
		.amdhsa_reserve_vcc 0
		.amdhsa_float_round_mode_32 0
		.amdhsa_float_round_mode_16_64 0
		.amdhsa_float_denorm_mode_32 3
		.amdhsa_float_denorm_mode_16_64 3
		.amdhsa_fp16_overflow 0
		.amdhsa_workgroup_processor_mode 1
		.amdhsa_memory_ordered 1
		.amdhsa_forward_progress 1
		.amdhsa_inst_pref_size 0
		.amdhsa_round_robin_scheduling 0
		.amdhsa_exception_fp_ieee_invalid_op 0
		.amdhsa_exception_fp_denorm_src 0
		.amdhsa_exception_fp_ieee_div_zero 0
		.amdhsa_exception_fp_ieee_overflow 0
		.amdhsa_exception_fp_ieee_underflow 0
		.amdhsa_exception_fp_ieee_inexact 0
		.amdhsa_exception_int_div_zero 0
	.end_amdhsa_kernel
	.section	.text._ZN7rocprim17ROCPRIM_400000_NS6detail17trampoline_kernelINS0_14default_configENS1_25partition_config_selectorILNS1_17partition_subalgoE5ExNS0_10empty_typeEbEEZZNS1_14partition_implILS5_5ELb0ES3_mN6thrust23THRUST_200600_302600_NS6detail15normal_iteratorINSA_10device_ptrIxEEEEPS6_NSA_18transform_iteratorINSB_9not_fun_tI7is_trueIxEEENSC_INSD_IbEEEENSA_11use_defaultESO_EENS0_5tupleIJSF_S6_EEENSQ_IJSG_SG_EEES6_PlJS6_EEE10hipError_tPvRmT3_T4_T5_T6_T7_T9_mT8_P12ihipStream_tbDpT10_ENKUlT_T0_E_clISt17integral_constantIbLb0EES1D_EEDaS18_S19_EUlS18_E_NS1_11comp_targetILNS1_3genE9ELNS1_11target_archE1100ELNS1_3gpuE3ELNS1_3repE0EEENS1_30default_config_static_selectorELNS0_4arch9wavefront6targetE0EEEvT1_,"axG",@progbits,_ZN7rocprim17ROCPRIM_400000_NS6detail17trampoline_kernelINS0_14default_configENS1_25partition_config_selectorILNS1_17partition_subalgoE5ExNS0_10empty_typeEbEEZZNS1_14partition_implILS5_5ELb0ES3_mN6thrust23THRUST_200600_302600_NS6detail15normal_iteratorINSA_10device_ptrIxEEEEPS6_NSA_18transform_iteratorINSB_9not_fun_tI7is_trueIxEEENSC_INSD_IbEEEENSA_11use_defaultESO_EENS0_5tupleIJSF_S6_EEENSQ_IJSG_SG_EEES6_PlJS6_EEE10hipError_tPvRmT3_T4_T5_T6_T7_T9_mT8_P12ihipStream_tbDpT10_ENKUlT_T0_E_clISt17integral_constantIbLb0EES1D_EEDaS18_S19_EUlS18_E_NS1_11comp_targetILNS1_3genE9ELNS1_11target_archE1100ELNS1_3gpuE3ELNS1_3repE0EEENS1_30default_config_static_selectorELNS0_4arch9wavefront6targetE0EEEvT1_,comdat
.Lfunc_end2499:
	.size	_ZN7rocprim17ROCPRIM_400000_NS6detail17trampoline_kernelINS0_14default_configENS1_25partition_config_selectorILNS1_17partition_subalgoE5ExNS0_10empty_typeEbEEZZNS1_14partition_implILS5_5ELb0ES3_mN6thrust23THRUST_200600_302600_NS6detail15normal_iteratorINSA_10device_ptrIxEEEEPS6_NSA_18transform_iteratorINSB_9not_fun_tI7is_trueIxEEENSC_INSD_IbEEEENSA_11use_defaultESO_EENS0_5tupleIJSF_S6_EEENSQ_IJSG_SG_EEES6_PlJS6_EEE10hipError_tPvRmT3_T4_T5_T6_T7_T9_mT8_P12ihipStream_tbDpT10_ENKUlT_T0_E_clISt17integral_constantIbLb0EES1D_EEDaS18_S19_EUlS18_E_NS1_11comp_targetILNS1_3genE9ELNS1_11target_archE1100ELNS1_3gpuE3ELNS1_3repE0EEENS1_30default_config_static_selectorELNS0_4arch9wavefront6targetE0EEEvT1_, .Lfunc_end2499-_ZN7rocprim17ROCPRIM_400000_NS6detail17trampoline_kernelINS0_14default_configENS1_25partition_config_selectorILNS1_17partition_subalgoE5ExNS0_10empty_typeEbEEZZNS1_14partition_implILS5_5ELb0ES3_mN6thrust23THRUST_200600_302600_NS6detail15normal_iteratorINSA_10device_ptrIxEEEEPS6_NSA_18transform_iteratorINSB_9not_fun_tI7is_trueIxEEENSC_INSD_IbEEEENSA_11use_defaultESO_EENS0_5tupleIJSF_S6_EEENSQ_IJSG_SG_EEES6_PlJS6_EEE10hipError_tPvRmT3_T4_T5_T6_T7_T9_mT8_P12ihipStream_tbDpT10_ENKUlT_T0_E_clISt17integral_constantIbLb0EES1D_EEDaS18_S19_EUlS18_E_NS1_11comp_targetILNS1_3genE9ELNS1_11target_archE1100ELNS1_3gpuE3ELNS1_3repE0EEENS1_30default_config_static_selectorELNS0_4arch9wavefront6targetE0EEEvT1_
                                        ; -- End function
	.set _ZN7rocprim17ROCPRIM_400000_NS6detail17trampoline_kernelINS0_14default_configENS1_25partition_config_selectorILNS1_17partition_subalgoE5ExNS0_10empty_typeEbEEZZNS1_14partition_implILS5_5ELb0ES3_mN6thrust23THRUST_200600_302600_NS6detail15normal_iteratorINSA_10device_ptrIxEEEEPS6_NSA_18transform_iteratorINSB_9not_fun_tI7is_trueIxEEENSC_INSD_IbEEEENSA_11use_defaultESO_EENS0_5tupleIJSF_S6_EEENSQ_IJSG_SG_EEES6_PlJS6_EEE10hipError_tPvRmT3_T4_T5_T6_T7_T9_mT8_P12ihipStream_tbDpT10_ENKUlT_T0_E_clISt17integral_constantIbLb0EES1D_EEDaS18_S19_EUlS18_E_NS1_11comp_targetILNS1_3genE9ELNS1_11target_archE1100ELNS1_3gpuE3ELNS1_3repE0EEENS1_30default_config_static_selectorELNS0_4arch9wavefront6targetE0EEEvT1_.num_vgpr, 0
	.set _ZN7rocprim17ROCPRIM_400000_NS6detail17trampoline_kernelINS0_14default_configENS1_25partition_config_selectorILNS1_17partition_subalgoE5ExNS0_10empty_typeEbEEZZNS1_14partition_implILS5_5ELb0ES3_mN6thrust23THRUST_200600_302600_NS6detail15normal_iteratorINSA_10device_ptrIxEEEEPS6_NSA_18transform_iteratorINSB_9not_fun_tI7is_trueIxEEENSC_INSD_IbEEEENSA_11use_defaultESO_EENS0_5tupleIJSF_S6_EEENSQ_IJSG_SG_EEES6_PlJS6_EEE10hipError_tPvRmT3_T4_T5_T6_T7_T9_mT8_P12ihipStream_tbDpT10_ENKUlT_T0_E_clISt17integral_constantIbLb0EES1D_EEDaS18_S19_EUlS18_E_NS1_11comp_targetILNS1_3genE9ELNS1_11target_archE1100ELNS1_3gpuE3ELNS1_3repE0EEENS1_30default_config_static_selectorELNS0_4arch9wavefront6targetE0EEEvT1_.num_agpr, 0
	.set _ZN7rocprim17ROCPRIM_400000_NS6detail17trampoline_kernelINS0_14default_configENS1_25partition_config_selectorILNS1_17partition_subalgoE5ExNS0_10empty_typeEbEEZZNS1_14partition_implILS5_5ELb0ES3_mN6thrust23THRUST_200600_302600_NS6detail15normal_iteratorINSA_10device_ptrIxEEEEPS6_NSA_18transform_iteratorINSB_9not_fun_tI7is_trueIxEEENSC_INSD_IbEEEENSA_11use_defaultESO_EENS0_5tupleIJSF_S6_EEENSQ_IJSG_SG_EEES6_PlJS6_EEE10hipError_tPvRmT3_T4_T5_T6_T7_T9_mT8_P12ihipStream_tbDpT10_ENKUlT_T0_E_clISt17integral_constantIbLb0EES1D_EEDaS18_S19_EUlS18_E_NS1_11comp_targetILNS1_3genE9ELNS1_11target_archE1100ELNS1_3gpuE3ELNS1_3repE0EEENS1_30default_config_static_selectorELNS0_4arch9wavefront6targetE0EEEvT1_.numbered_sgpr, 0
	.set _ZN7rocprim17ROCPRIM_400000_NS6detail17trampoline_kernelINS0_14default_configENS1_25partition_config_selectorILNS1_17partition_subalgoE5ExNS0_10empty_typeEbEEZZNS1_14partition_implILS5_5ELb0ES3_mN6thrust23THRUST_200600_302600_NS6detail15normal_iteratorINSA_10device_ptrIxEEEEPS6_NSA_18transform_iteratorINSB_9not_fun_tI7is_trueIxEEENSC_INSD_IbEEEENSA_11use_defaultESO_EENS0_5tupleIJSF_S6_EEENSQ_IJSG_SG_EEES6_PlJS6_EEE10hipError_tPvRmT3_T4_T5_T6_T7_T9_mT8_P12ihipStream_tbDpT10_ENKUlT_T0_E_clISt17integral_constantIbLb0EES1D_EEDaS18_S19_EUlS18_E_NS1_11comp_targetILNS1_3genE9ELNS1_11target_archE1100ELNS1_3gpuE3ELNS1_3repE0EEENS1_30default_config_static_selectorELNS0_4arch9wavefront6targetE0EEEvT1_.num_named_barrier, 0
	.set _ZN7rocprim17ROCPRIM_400000_NS6detail17trampoline_kernelINS0_14default_configENS1_25partition_config_selectorILNS1_17partition_subalgoE5ExNS0_10empty_typeEbEEZZNS1_14partition_implILS5_5ELb0ES3_mN6thrust23THRUST_200600_302600_NS6detail15normal_iteratorINSA_10device_ptrIxEEEEPS6_NSA_18transform_iteratorINSB_9not_fun_tI7is_trueIxEEENSC_INSD_IbEEEENSA_11use_defaultESO_EENS0_5tupleIJSF_S6_EEENSQ_IJSG_SG_EEES6_PlJS6_EEE10hipError_tPvRmT3_T4_T5_T6_T7_T9_mT8_P12ihipStream_tbDpT10_ENKUlT_T0_E_clISt17integral_constantIbLb0EES1D_EEDaS18_S19_EUlS18_E_NS1_11comp_targetILNS1_3genE9ELNS1_11target_archE1100ELNS1_3gpuE3ELNS1_3repE0EEENS1_30default_config_static_selectorELNS0_4arch9wavefront6targetE0EEEvT1_.private_seg_size, 0
	.set _ZN7rocprim17ROCPRIM_400000_NS6detail17trampoline_kernelINS0_14default_configENS1_25partition_config_selectorILNS1_17partition_subalgoE5ExNS0_10empty_typeEbEEZZNS1_14partition_implILS5_5ELb0ES3_mN6thrust23THRUST_200600_302600_NS6detail15normal_iteratorINSA_10device_ptrIxEEEEPS6_NSA_18transform_iteratorINSB_9not_fun_tI7is_trueIxEEENSC_INSD_IbEEEENSA_11use_defaultESO_EENS0_5tupleIJSF_S6_EEENSQ_IJSG_SG_EEES6_PlJS6_EEE10hipError_tPvRmT3_T4_T5_T6_T7_T9_mT8_P12ihipStream_tbDpT10_ENKUlT_T0_E_clISt17integral_constantIbLb0EES1D_EEDaS18_S19_EUlS18_E_NS1_11comp_targetILNS1_3genE9ELNS1_11target_archE1100ELNS1_3gpuE3ELNS1_3repE0EEENS1_30default_config_static_selectorELNS0_4arch9wavefront6targetE0EEEvT1_.uses_vcc, 0
	.set _ZN7rocprim17ROCPRIM_400000_NS6detail17trampoline_kernelINS0_14default_configENS1_25partition_config_selectorILNS1_17partition_subalgoE5ExNS0_10empty_typeEbEEZZNS1_14partition_implILS5_5ELb0ES3_mN6thrust23THRUST_200600_302600_NS6detail15normal_iteratorINSA_10device_ptrIxEEEEPS6_NSA_18transform_iteratorINSB_9not_fun_tI7is_trueIxEEENSC_INSD_IbEEEENSA_11use_defaultESO_EENS0_5tupleIJSF_S6_EEENSQ_IJSG_SG_EEES6_PlJS6_EEE10hipError_tPvRmT3_T4_T5_T6_T7_T9_mT8_P12ihipStream_tbDpT10_ENKUlT_T0_E_clISt17integral_constantIbLb0EES1D_EEDaS18_S19_EUlS18_E_NS1_11comp_targetILNS1_3genE9ELNS1_11target_archE1100ELNS1_3gpuE3ELNS1_3repE0EEENS1_30default_config_static_selectorELNS0_4arch9wavefront6targetE0EEEvT1_.uses_flat_scratch, 0
	.set _ZN7rocprim17ROCPRIM_400000_NS6detail17trampoline_kernelINS0_14default_configENS1_25partition_config_selectorILNS1_17partition_subalgoE5ExNS0_10empty_typeEbEEZZNS1_14partition_implILS5_5ELb0ES3_mN6thrust23THRUST_200600_302600_NS6detail15normal_iteratorINSA_10device_ptrIxEEEEPS6_NSA_18transform_iteratorINSB_9not_fun_tI7is_trueIxEEENSC_INSD_IbEEEENSA_11use_defaultESO_EENS0_5tupleIJSF_S6_EEENSQ_IJSG_SG_EEES6_PlJS6_EEE10hipError_tPvRmT3_T4_T5_T6_T7_T9_mT8_P12ihipStream_tbDpT10_ENKUlT_T0_E_clISt17integral_constantIbLb0EES1D_EEDaS18_S19_EUlS18_E_NS1_11comp_targetILNS1_3genE9ELNS1_11target_archE1100ELNS1_3gpuE3ELNS1_3repE0EEENS1_30default_config_static_selectorELNS0_4arch9wavefront6targetE0EEEvT1_.has_dyn_sized_stack, 0
	.set _ZN7rocprim17ROCPRIM_400000_NS6detail17trampoline_kernelINS0_14default_configENS1_25partition_config_selectorILNS1_17partition_subalgoE5ExNS0_10empty_typeEbEEZZNS1_14partition_implILS5_5ELb0ES3_mN6thrust23THRUST_200600_302600_NS6detail15normal_iteratorINSA_10device_ptrIxEEEEPS6_NSA_18transform_iteratorINSB_9not_fun_tI7is_trueIxEEENSC_INSD_IbEEEENSA_11use_defaultESO_EENS0_5tupleIJSF_S6_EEENSQ_IJSG_SG_EEES6_PlJS6_EEE10hipError_tPvRmT3_T4_T5_T6_T7_T9_mT8_P12ihipStream_tbDpT10_ENKUlT_T0_E_clISt17integral_constantIbLb0EES1D_EEDaS18_S19_EUlS18_E_NS1_11comp_targetILNS1_3genE9ELNS1_11target_archE1100ELNS1_3gpuE3ELNS1_3repE0EEENS1_30default_config_static_selectorELNS0_4arch9wavefront6targetE0EEEvT1_.has_recursion, 0
	.set _ZN7rocprim17ROCPRIM_400000_NS6detail17trampoline_kernelINS0_14default_configENS1_25partition_config_selectorILNS1_17partition_subalgoE5ExNS0_10empty_typeEbEEZZNS1_14partition_implILS5_5ELb0ES3_mN6thrust23THRUST_200600_302600_NS6detail15normal_iteratorINSA_10device_ptrIxEEEEPS6_NSA_18transform_iteratorINSB_9not_fun_tI7is_trueIxEEENSC_INSD_IbEEEENSA_11use_defaultESO_EENS0_5tupleIJSF_S6_EEENSQ_IJSG_SG_EEES6_PlJS6_EEE10hipError_tPvRmT3_T4_T5_T6_T7_T9_mT8_P12ihipStream_tbDpT10_ENKUlT_T0_E_clISt17integral_constantIbLb0EES1D_EEDaS18_S19_EUlS18_E_NS1_11comp_targetILNS1_3genE9ELNS1_11target_archE1100ELNS1_3gpuE3ELNS1_3repE0EEENS1_30default_config_static_selectorELNS0_4arch9wavefront6targetE0EEEvT1_.has_indirect_call, 0
	.section	.AMDGPU.csdata,"",@progbits
; Kernel info:
; codeLenInByte = 0
; TotalNumSgprs: 0
; NumVgprs: 0
; ScratchSize: 0
; MemoryBound: 0
; FloatMode: 240
; IeeeMode: 1
; LDSByteSize: 0 bytes/workgroup (compile time only)
; SGPRBlocks: 0
; VGPRBlocks: 0
; NumSGPRsForWavesPerEU: 1
; NumVGPRsForWavesPerEU: 1
; Occupancy: 16
; WaveLimiterHint : 0
; COMPUTE_PGM_RSRC2:SCRATCH_EN: 0
; COMPUTE_PGM_RSRC2:USER_SGPR: 2
; COMPUTE_PGM_RSRC2:TRAP_HANDLER: 0
; COMPUTE_PGM_RSRC2:TGID_X_EN: 1
; COMPUTE_PGM_RSRC2:TGID_Y_EN: 0
; COMPUTE_PGM_RSRC2:TGID_Z_EN: 0
; COMPUTE_PGM_RSRC2:TIDIG_COMP_CNT: 0
	.section	.text._ZN7rocprim17ROCPRIM_400000_NS6detail17trampoline_kernelINS0_14default_configENS1_25partition_config_selectorILNS1_17partition_subalgoE5ExNS0_10empty_typeEbEEZZNS1_14partition_implILS5_5ELb0ES3_mN6thrust23THRUST_200600_302600_NS6detail15normal_iteratorINSA_10device_ptrIxEEEEPS6_NSA_18transform_iteratorINSB_9not_fun_tI7is_trueIxEEENSC_INSD_IbEEEENSA_11use_defaultESO_EENS0_5tupleIJSF_S6_EEENSQ_IJSG_SG_EEES6_PlJS6_EEE10hipError_tPvRmT3_T4_T5_T6_T7_T9_mT8_P12ihipStream_tbDpT10_ENKUlT_T0_E_clISt17integral_constantIbLb0EES1D_EEDaS18_S19_EUlS18_E_NS1_11comp_targetILNS1_3genE8ELNS1_11target_archE1030ELNS1_3gpuE2ELNS1_3repE0EEENS1_30default_config_static_selectorELNS0_4arch9wavefront6targetE0EEEvT1_,"axG",@progbits,_ZN7rocprim17ROCPRIM_400000_NS6detail17trampoline_kernelINS0_14default_configENS1_25partition_config_selectorILNS1_17partition_subalgoE5ExNS0_10empty_typeEbEEZZNS1_14partition_implILS5_5ELb0ES3_mN6thrust23THRUST_200600_302600_NS6detail15normal_iteratorINSA_10device_ptrIxEEEEPS6_NSA_18transform_iteratorINSB_9not_fun_tI7is_trueIxEEENSC_INSD_IbEEEENSA_11use_defaultESO_EENS0_5tupleIJSF_S6_EEENSQ_IJSG_SG_EEES6_PlJS6_EEE10hipError_tPvRmT3_T4_T5_T6_T7_T9_mT8_P12ihipStream_tbDpT10_ENKUlT_T0_E_clISt17integral_constantIbLb0EES1D_EEDaS18_S19_EUlS18_E_NS1_11comp_targetILNS1_3genE8ELNS1_11target_archE1030ELNS1_3gpuE2ELNS1_3repE0EEENS1_30default_config_static_selectorELNS0_4arch9wavefront6targetE0EEEvT1_,comdat
	.protected	_ZN7rocprim17ROCPRIM_400000_NS6detail17trampoline_kernelINS0_14default_configENS1_25partition_config_selectorILNS1_17partition_subalgoE5ExNS0_10empty_typeEbEEZZNS1_14partition_implILS5_5ELb0ES3_mN6thrust23THRUST_200600_302600_NS6detail15normal_iteratorINSA_10device_ptrIxEEEEPS6_NSA_18transform_iteratorINSB_9not_fun_tI7is_trueIxEEENSC_INSD_IbEEEENSA_11use_defaultESO_EENS0_5tupleIJSF_S6_EEENSQ_IJSG_SG_EEES6_PlJS6_EEE10hipError_tPvRmT3_T4_T5_T6_T7_T9_mT8_P12ihipStream_tbDpT10_ENKUlT_T0_E_clISt17integral_constantIbLb0EES1D_EEDaS18_S19_EUlS18_E_NS1_11comp_targetILNS1_3genE8ELNS1_11target_archE1030ELNS1_3gpuE2ELNS1_3repE0EEENS1_30default_config_static_selectorELNS0_4arch9wavefront6targetE0EEEvT1_ ; -- Begin function _ZN7rocprim17ROCPRIM_400000_NS6detail17trampoline_kernelINS0_14default_configENS1_25partition_config_selectorILNS1_17partition_subalgoE5ExNS0_10empty_typeEbEEZZNS1_14partition_implILS5_5ELb0ES3_mN6thrust23THRUST_200600_302600_NS6detail15normal_iteratorINSA_10device_ptrIxEEEEPS6_NSA_18transform_iteratorINSB_9not_fun_tI7is_trueIxEEENSC_INSD_IbEEEENSA_11use_defaultESO_EENS0_5tupleIJSF_S6_EEENSQ_IJSG_SG_EEES6_PlJS6_EEE10hipError_tPvRmT3_T4_T5_T6_T7_T9_mT8_P12ihipStream_tbDpT10_ENKUlT_T0_E_clISt17integral_constantIbLb0EES1D_EEDaS18_S19_EUlS18_E_NS1_11comp_targetILNS1_3genE8ELNS1_11target_archE1030ELNS1_3gpuE2ELNS1_3repE0EEENS1_30default_config_static_selectorELNS0_4arch9wavefront6targetE0EEEvT1_
	.globl	_ZN7rocprim17ROCPRIM_400000_NS6detail17trampoline_kernelINS0_14default_configENS1_25partition_config_selectorILNS1_17partition_subalgoE5ExNS0_10empty_typeEbEEZZNS1_14partition_implILS5_5ELb0ES3_mN6thrust23THRUST_200600_302600_NS6detail15normal_iteratorINSA_10device_ptrIxEEEEPS6_NSA_18transform_iteratorINSB_9not_fun_tI7is_trueIxEEENSC_INSD_IbEEEENSA_11use_defaultESO_EENS0_5tupleIJSF_S6_EEENSQ_IJSG_SG_EEES6_PlJS6_EEE10hipError_tPvRmT3_T4_T5_T6_T7_T9_mT8_P12ihipStream_tbDpT10_ENKUlT_T0_E_clISt17integral_constantIbLb0EES1D_EEDaS18_S19_EUlS18_E_NS1_11comp_targetILNS1_3genE8ELNS1_11target_archE1030ELNS1_3gpuE2ELNS1_3repE0EEENS1_30default_config_static_selectorELNS0_4arch9wavefront6targetE0EEEvT1_
	.p2align	8
	.type	_ZN7rocprim17ROCPRIM_400000_NS6detail17trampoline_kernelINS0_14default_configENS1_25partition_config_selectorILNS1_17partition_subalgoE5ExNS0_10empty_typeEbEEZZNS1_14partition_implILS5_5ELb0ES3_mN6thrust23THRUST_200600_302600_NS6detail15normal_iteratorINSA_10device_ptrIxEEEEPS6_NSA_18transform_iteratorINSB_9not_fun_tI7is_trueIxEEENSC_INSD_IbEEEENSA_11use_defaultESO_EENS0_5tupleIJSF_S6_EEENSQ_IJSG_SG_EEES6_PlJS6_EEE10hipError_tPvRmT3_T4_T5_T6_T7_T9_mT8_P12ihipStream_tbDpT10_ENKUlT_T0_E_clISt17integral_constantIbLb0EES1D_EEDaS18_S19_EUlS18_E_NS1_11comp_targetILNS1_3genE8ELNS1_11target_archE1030ELNS1_3gpuE2ELNS1_3repE0EEENS1_30default_config_static_selectorELNS0_4arch9wavefront6targetE0EEEvT1_,@function
_ZN7rocprim17ROCPRIM_400000_NS6detail17trampoline_kernelINS0_14default_configENS1_25partition_config_selectorILNS1_17partition_subalgoE5ExNS0_10empty_typeEbEEZZNS1_14partition_implILS5_5ELb0ES3_mN6thrust23THRUST_200600_302600_NS6detail15normal_iteratorINSA_10device_ptrIxEEEEPS6_NSA_18transform_iteratorINSB_9not_fun_tI7is_trueIxEEENSC_INSD_IbEEEENSA_11use_defaultESO_EENS0_5tupleIJSF_S6_EEENSQ_IJSG_SG_EEES6_PlJS6_EEE10hipError_tPvRmT3_T4_T5_T6_T7_T9_mT8_P12ihipStream_tbDpT10_ENKUlT_T0_E_clISt17integral_constantIbLb0EES1D_EEDaS18_S19_EUlS18_E_NS1_11comp_targetILNS1_3genE8ELNS1_11target_archE1030ELNS1_3gpuE2ELNS1_3repE0EEENS1_30default_config_static_selectorELNS0_4arch9wavefront6targetE0EEEvT1_: ; @_ZN7rocprim17ROCPRIM_400000_NS6detail17trampoline_kernelINS0_14default_configENS1_25partition_config_selectorILNS1_17partition_subalgoE5ExNS0_10empty_typeEbEEZZNS1_14partition_implILS5_5ELb0ES3_mN6thrust23THRUST_200600_302600_NS6detail15normal_iteratorINSA_10device_ptrIxEEEEPS6_NSA_18transform_iteratorINSB_9not_fun_tI7is_trueIxEEENSC_INSD_IbEEEENSA_11use_defaultESO_EENS0_5tupleIJSF_S6_EEENSQ_IJSG_SG_EEES6_PlJS6_EEE10hipError_tPvRmT3_T4_T5_T6_T7_T9_mT8_P12ihipStream_tbDpT10_ENKUlT_T0_E_clISt17integral_constantIbLb0EES1D_EEDaS18_S19_EUlS18_E_NS1_11comp_targetILNS1_3genE8ELNS1_11target_archE1030ELNS1_3gpuE2ELNS1_3repE0EEENS1_30default_config_static_selectorELNS0_4arch9wavefront6targetE0EEEvT1_
; %bb.0:
	.section	.rodata,"a",@progbits
	.p2align	6, 0x0
	.amdhsa_kernel _ZN7rocprim17ROCPRIM_400000_NS6detail17trampoline_kernelINS0_14default_configENS1_25partition_config_selectorILNS1_17partition_subalgoE5ExNS0_10empty_typeEbEEZZNS1_14partition_implILS5_5ELb0ES3_mN6thrust23THRUST_200600_302600_NS6detail15normal_iteratorINSA_10device_ptrIxEEEEPS6_NSA_18transform_iteratorINSB_9not_fun_tI7is_trueIxEEENSC_INSD_IbEEEENSA_11use_defaultESO_EENS0_5tupleIJSF_S6_EEENSQ_IJSG_SG_EEES6_PlJS6_EEE10hipError_tPvRmT3_T4_T5_T6_T7_T9_mT8_P12ihipStream_tbDpT10_ENKUlT_T0_E_clISt17integral_constantIbLb0EES1D_EEDaS18_S19_EUlS18_E_NS1_11comp_targetILNS1_3genE8ELNS1_11target_archE1030ELNS1_3gpuE2ELNS1_3repE0EEENS1_30default_config_static_selectorELNS0_4arch9wavefront6targetE0EEEvT1_
		.amdhsa_group_segment_fixed_size 0
		.amdhsa_private_segment_fixed_size 0
		.amdhsa_kernarg_size 120
		.amdhsa_user_sgpr_count 2
		.amdhsa_user_sgpr_dispatch_ptr 0
		.amdhsa_user_sgpr_queue_ptr 0
		.amdhsa_user_sgpr_kernarg_segment_ptr 1
		.amdhsa_user_sgpr_dispatch_id 0
		.amdhsa_user_sgpr_private_segment_size 0
		.amdhsa_wavefront_size32 1
		.amdhsa_uses_dynamic_stack 0
		.amdhsa_enable_private_segment 0
		.amdhsa_system_sgpr_workgroup_id_x 1
		.amdhsa_system_sgpr_workgroup_id_y 0
		.amdhsa_system_sgpr_workgroup_id_z 0
		.amdhsa_system_sgpr_workgroup_info 0
		.amdhsa_system_vgpr_workitem_id 0
		.amdhsa_next_free_vgpr 1
		.amdhsa_next_free_sgpr 1
		.amdhsa_reserve_vcc 0
		.amdhsa_float_round_mode_32 0
		.amdhsa_float_round_mode_16_64 0
		.amdhsa_float_denorm_mode_32 3
		.amdhsa_float_denorm_mode_16_64 3
		.amdhsa_fp16_overflow 0
		.amdhsa_workgroup_processor_mode 1
		.amdhsa_memory_ordered 1
		.amdhsa_forward_progress 1
		.amdhsa_inst_pref_size 0
		.amdhsa_round_robin_scheduling 0
		.amdhsa_exception_fp_ieee_invalid_op 0
		.amdhsa_exception_fp_denorm_src 0
		.amdhsa_exception_fp_ieee_div_zero 0
		.amdhsa_exception_fp_ieee_overflow 0
		.amdhsa_exception_fp_ieee_underflow 0
		.amdhsa_exception_fp_ieee_inexact 0
		.amdhsa_exception_int_div_zero 0
	.end_amdhsa_kernel
	.section	.text._ZN7rocprim17ROCPRIM_400000_NS6detail17trampoline_kernelINS0_14default_configENS1_25partition_config_selectorILNS1_17partition_subalgoE5ExNS0_10empty_typeEbEEZZNS1_14partition_implILS5_5ELb0ES3_mN6thrust23THRUST_200600_302600_NS6detail15normal_iteratorINSA_10device_ptrIxEEEEPS6_NSA_18transform_iteratorINSB_9not_fun_tI7is_trueIxEEENSC_INSD_IbEEEENSA_11use_defaultESO_EENS0_5tupleIJSF_S6_EEENSQ_IJSG_SG_EEES6_PlJS6_EEE10hipError_tPvRmT3_T4_T5_T6_T7_T9_mT8_P12ihipStream_tbDpT10_ENKUlT_T0_E_clISt17integral_constantIbLb0EES1D_EEDaS18_S19_EUlS18_E_NS1_11comp_targetILNS1_3genE8ELNS1_11target_archE1030ELNS1_3gpuE2ELNS1_3repE0EEENS1_30default_config_static_selectorELNS0_4arch9wavefront6targetE0EEEvT1_,"axG",@progbits,_ZN7rocprim17ROCPRIM_400000_NS6detail17trampoline_kernelINS0_14default_configENS1_25partition_config_selectorILNS1_17partition_subalgoE5ExNS0_10empty_typeEbEEZZNS1_14partition_implILS5_5ELb0ES3_mN6thrust23THRUST_200600_302600_NS6detail15normal_iteratorINSA_10device_ptrIxEEEEPS6_NSA_18transform_iteratorINSB_9not_fun_tI7is_trueIxEEENSC_INSD_IbEEEENSA_11use_defaultESO_EENS0_5tupleIJSF_S6_EEENSQ_IJSG_SG_EEES6_PlJS6_EEE10hipError_tPvRmT3_T4_T5_T6_T7_T9_mT8_P12ihipStream_tbDpT10_ENKUlT_T0_E_clISt17integral_constantIbLb0EES1D_EEDaS18_S19_EUlS18_E_NS1_11comp_targetILNS1_3genE8ELNS1_11target_archE1030ELNS1_3gpuE2ELNS1_3repE0EEENS1_30default_config_static_selectorELNS0_4arch9wavefront6targetE0EEEvT1_,comdat
.Lfunc_end2500:
	.size	_ZN7rocprim17ROCPRIM_400000_NS6detail17trampoline_kernelINS0_14default_configENS1_25partition_config_selectorILNS1_17partition_subalgoE5ExNS0_10empty_typeEbEEZZNS1_14partition_implILS5_5ELb0ES3_mN6thrust23THRUST_200600_302600_NS6detail15normal_iteratorINSA_10device_ptrIxEEEEPS6_NSA_18transform_iteratorINSB_9not_fun_tI7is_trueIxEEENSC_INSD_IbEEEENSA_11use_defaultESO_EENS0_5tupleIJSF_S6_EEENSQ_IJSG_SG_EEES6_PlJS6_EEE10hipError_tPvRmT3_T4_T5_T6_T7_T9_mT8_P12ihipStream_tbDpT10_ENKUlT_T0_E_clISt17integral_constantIbLb0EES1D_EEDaS18_S19_EUlS18_E_NS1_11comp_targetILNS1_3genE8ELNS1_11target_archE1030ELNS1_3gpuE2ELNS1_3repE0EEENS1_30default_config_static_selectorELNS0_4arch9wavefront6targetE0EEEvT1_, .Lfunc_end2500-_ZN7rocprim17ROCPRIM_400000_NS6detail17trampoline_kernelINS0_14default_configENS1_25partition_config_selectorILNS1_17partition_subalgoE5ExNS0_10empty_typeEbEEZZNS1_14partition_implILS5_5ELb0ES3_mN6thrust23THRUST_200600_302600_NS6detail15normal_iteratorINSA_10device_ptrIxEEEEPS6_NSA_18transform_iteratorINSB_9not_fun_tI7is_trueIxEEENSC_INSD_IbEEEENSA_11use_defaultESO_EENS0_5tupleIJSF_S6_EEENSQ_IJSG_SG_EEES6_PlJS6_EEE10hipError_tPvRmT3_T4_T5_T6_T7_T9_mT8_P12ihipStream_tbDpT10_ENKUlT_T0_E_clISt17integral_constantIbLb0EES1D_EEDaS18_S19_EUlS18_E_NS1_11comp_targetILNS1_3genE8ELNS1_11target_archE1030ELNS1_3gpuE2ELNS1_3repE0EEENS1_30default_config_static_selectorELNS0_4arch9wavefront6targetE0EEEvT1_
                                        ; -- End function
	.set _ZN7rocprim17ROCPRIM_400000_NS6detail17trampoline_kernelINS0_14default_configENS1_25partition_config_selectorILNS1_17partition_subalgoE5ExNS0_10empty_typeEbEEZZNS1_14partition_implILS5_5ELb0ES3_mN6thrust23THRUST_200600_302600_NS6detail15normal_iteratorINSA_10device_ptrIxEEEEPS6_NSA_18transform_iteratorINSB_9not_fun_tI7is_trueIxEEENSC_INSD_IbEEEENSA_11use_defaultESO_EENS0_5tupleIJSF_S6_EEENSQ_IJSG_SG_EEES6_PlJS6_EEE10hipError_tPvRmT3_T4_T5_T6_T7_T9_mT8_P12ihipStream_tbDpT10_ENKUlT_T0_E_clISt17integral_constantIbLb0EES1D_EEDaS18_S19_EUlS18_E_NS1_11comp_targetILNS1_3genE8ELNS1_11target_archE1030ELNS1_3gpuE2ELNS1_3repE0EEENS1_30default_config_static_selectorELNS0_4arch9wavefront6targetE0EEEvT1_.num_vgpr, 0
	.set _ZN7rocprim17ROCPRIM_400000_NS6detail17trampoline_kernelINS0_14default_configENS1_25partition_config_selectorILNS1_17partition_subalgoE5ExNS0_10empty_typeEbEEZZNS1_14partition_implILS5_5ELb0ES3_mN6thrust23THRUST_200600_302600_NS6detail15normal_iteratorINSA_10device_ptrIxEEEEPS6_NSA_18transform_iteratorINSB_9not_fun_tI7is_trueIxEEENSC_INSD_IbEEEENSA_11use_defaultESO_EENS0_5tupleIJSF_S6_EEENSQ_IJSG_SG_EEES6_PlJS6_EEE10hipError_tPvRmT3_T4_T5_T6_T7_T9_mT8_P12ihipStream_tbDpT10_ENKUlT_T0_E_clISt17integral_constantIbLb0EES1D_EEDaS18_S19_EUlS18_E_NS1_11comp_targetILNS1_3genE8ELNS1_11target_archE1030ELNS1_3gpuE2ELNS1_3repE0EEENS1_30default_config_static_selectorELNS0_4arch9wavefront6targetE0EEEvT1_.num_agpr, 0
	.set _ZN7rocprim17ROCPRIM_400000_NS6detail17trampoline_kernelINS0_14default_configENS1_25partition_config_selectorILNS1_17partition_subalgoE5ExNS0_10empty_typeEbEEZZNS1_14partition_implILS5_5ELb0ES3_mN6thrust23THRUST_200600_302600_NS6detail15normal_iteratorINSA_10device_ptrIxEEEEPS6_NSA_18transform_iteratorINSB_9not_fun_tI7is_trueIxEEENSC_INSD_IbEEEENSA_11use_defaultESO_EENS0_5tupleIJSF_S6_EEENSQ_IJSG_SG_EEES6_PlJS6_EEE10hipError_tPvRmT3_T4_T5_T6_T7_T9_mT8_P12ihipStream_tbDpT10_ENKUlT_T0_E_clISt17integral_constantIbLb0EES1D_EEDaS18_S19_EUlS18_E_NS1_11comp_targetILNS1_3genE8ELNS1_11target_archE1030ELNS1_3gpuE2ELNS1_3repE0EEENS1_30default_config_static_selectorELNS0_4arch9wavefront6targetE0EEEvT1_.numbered_sgpr, 0
	.set _ZN7rocprim17ROCPRIM_400000_NS6detail17trampoline_kernelINS0_14default_configENS1_25partition_config_selectorILNS1_17partition_subalgoE5ExNS0_10empty_typeEbEEZZNS1_14partition_implILS5_5ELb0ES3_mN6thrust23THRUST_200600_302600_NS6detail15normal_iteratorINSA_10device_ptrIxEEEEPS6_NSA_18transform_iteratorINSB_9not_fun_tI7is_trueIxEEENSC_INSD_IbEEEENSA_11use_defaultESO_EENS0_5tupleIJSF_S6_EEENSQ_IJSG_SG_EEES6_PlJS6_EEE10hipError_tPvRmT3_T4_T5_T6_T7_T9_mT8_P12ihipStream_tbDpT10_ENKUlT_T0_E_clISt17integral_constantIbLb0EES1D_EEDaS18_S19_EUlS18_E_NS1_11comp_targetILNS1_3genE8ELNS1_11target_archE1030ELNS1_3gpuE2ELNS1_3repE0EEENS1_30default_config_static_selectorELNS0_4arch9wavefront6targetE0EEEvT1_.num_named_barrier, 0
	.set _ZN7rocprim17ROCPRIM_400000_NS6detail17trampoline_kernelINS0_14default_configENS1_25partition_config_selectorILNS1_17partition_subalgoE5ExNS0_10empty_typeEbEEZZNS1_14partition_implILS5_5ELb0ES3_mN6thrust23THRUST_200600_302600_NS6detail15normal_iteratorINSA_10device_ptrIxEEEEPS6_NSA_18transform_iteratorINSB_9not_fun_tI7is_trueIxEEENSC_INSD_IbEEEENSA_11use_defaultESO_EENS0_5tupleIJSF_S6_EEENSQ_IJSG_SG_EEES6_PlJS6_EEE10hipError_tPvRmT3_T4_T5_T6_T7_T9_mT8_P12ihipStream_tbDpT10_ENKUlT_T0_E_clISt17integral_constantIbLb0EES1D_EEDaS18_S19_EUlS18_E_NS1_11comp_targetILNS1_3genE8ELNS1_11target_archE1030ELNS1_3gpuE2ELNS1_3repE0EEENS1_30default_config_static_selectorELNS0_4arch9wavefront6targetE0EEEvT1_.private_seg_size, 0
	.set _ZN7rocprim17ROCPRIM_400000_NS6detail17trampoline_kernelINS0_14default_configENS1_25partition_config_selectorILNS1_17partition_subalgoE5ExNS0_10empty_typeEbEEZZNS1_14partition_implILS5_5ELb0ES3_mN6thrust23THRUST_200600_302600_NS6detail15normal_iteratorINSA_10device_ptrIxEEEEPS6_NSA_18transform_iteratorINSB_9not_fun_tI7is_trueIxEEENSC_INSD_IbEEEENSA_11use_defaultESO_EENS0_5tupleIJSF_S6_EEENSQ_IJSG_SG_EEES6_PlJS6_EEE10hipError_tPvRmT3_T4_T5_T6_T7_T9_mT8_P12ihipStream_tbDpT10_ENKUlT_T0_E_clISt17integral_constantIbLb0EES1D_EEDaS18_S19_EUlS18_E_NS1_11comp_targetILNS1_3genE8ELNS1_11target_archE1030ELNS1_3gpuE2ELNS1_3repE0EEENS1_30default_config_static_selectorELNS0_4arch9wavefront6targetE0EEEvT1_.uses_vcc, 0
	.set _ZN7rocprim17ROCPRIM_400000_NS6detail17trampoline_kernelINS0_14default_configENS1_25partition_config_selectorILNS1_17partition_subalgoE5ExNS0_10empty_typeEbEEZZNS1_14partition_implILS5_5ELb0ES3_mN6thrust23THRUST_200600_302600_NS6detail15normal_iteratorINSA_10device_ptrIxEEEEPS6_NSA_18transform_iteratorINSB_9not_fun_tI7is_trueIxEEENSC_INSD_IbEEEENSA_11use_defaultESO_EENS0_5tupleIJSF_S6_EEENSQ_IJSG_SG_EEES6_PlJS6_EEE10hipError_tPvRmT3_T4_T5_T6_T7_T9_mT8_P12ihipStream_tbDpT10_ENKUlT_T0_E_clISt17integral_constantIbLb0EES1D_EEDaS18_S19_EUlS18_E_NS1_11comp_targetILNS1_3genE8ELNS1_11target_archE1030ELNS1_3gpuE2ELNS1_3repE0EEENS1_30default_config_static_selectorELNS0_4arch9wavefront6targetE0EEEvT1_.uses_flat_scratch, 0
	.set _ZN7rocprim17ROCPRIM_400000_NS6detail17trampoline_kernelINS0_14default_configENS1_25partition_config_selectorILNS1_17partition_subalgoE5ExNS0_10empty_typeEbEEZZNS1_14partition_implILS5_5ELb0ES3_mN6thrust23THRUST_200600_302600_NS6detail15normal_iteratorINSA_10device_ptrIxEEEEPS6_NSA_18transform_iteratorINSB_9not_fun_tI7is_trueIxEEENSC_INSD_IbEEEENSA_11use_defaultESO_EENS0_5tupleIJSF_S6_EEENSQ_IJSG_SG_EEES6_PlJS6_EEE10hipError_tPvRmT3_T4_T5_T6_T7_T9_mT8_P12ihipStream_tbDpT10_ENKUlT_T0_E_clISt17integral_constantIbLb0EES1D_EEDaS18_S19_EUlS18_E_NS1_11comp_targetILNS1_3genE8ELNS1_11target_archE1030ELNS1_3gpuE2ELNS1_3repE0EEENS1_30default_config_static_selectorELNS0_4arch9wavefront6targetE0EEEvT1_.has_dyn_sized_stack, 0
	.set _ZN7rocprim17ROCPRIM_400000_NS6detail17trampoline_kernelINS0_14default_configENS1_25partition_config_selectorILNS1_17partition_subalgoE5ExNS0_10empty_typeEbEEZZNS1_14partition_implILS5_5ELb0ES3_mN6thrust23THRUST_200600_302600_NS6detail15normal_iteratorINSA_10device_ptrIxEEEEPS6_NSA_18transform_iteratorINSB_9not_fun_tI7is_trueIxEEENSC_INSD_IbEEEENSA_11use_defaultESO_EENS0_5tupleIJSF_S6_EEENSQ_IJSG_SG_EEES6_PlJS6_EEE10hipError_tPvRmT3_T4_T5_T6_T7_T9_mT8_P12ihipStream_tbDpT10_ENKUlT_T0_E_clISt17integral_constantIbLb0EES1D_EEDaS18_S19_EUlS18_E_NS1_11comp_targetILNS1_3genE8ELNS1_11target_archE1030ELNS1_3gpuE2ELNS1_3repE0EEENS1_30default_config_static_selectorELNS0_4arch9wavefront6targetE0EEEvT1_.has_recursion, 0
	.set _ZN7rocprim17ROCPRIM_400000_NS6detail17trampoline_kernelINS0_14default_configENS1_25partition_config_selectorILNS1_17partition_subalgoE5ExNS0_10empty_typeEbEEZZNS1_14partition_implILS5_5ELb0ES3_mN6thrust23THRUST_200600_302600_NS6detail15normal_iteratorINSA_10device_ptrIxEEEEPS6_NSA_18transform_iteratorINSB_9not_fun_tI7is_trueIxEEENSC_INSD_IbEEEENSA_11use_defaultESO_EENS0_5tupleIJSF_S6_EEENSQ_IJSG_SG_EEES6_PlJS6_EEE10hipError_tPvRmT3_T4_T5_T6_T7_T9_mT8_P12ihipStream_tbDpT10_ENKUlT_T0_E_clISt17integral_constantIbLb0EES1D_EEDaS18_S19_EUlS18_E_NS1_11comp_targetILNS1_3genE8ELNS1_11target_archE1030ELNS1_3gpuE2ELNS1_3repE0EEENS1_30default_config_static_selectorELNS0_4arch9wavefront6targetE0EEEvT1_.has_indirect_call, 0
	.section	.AMDGPU.csdata,"",@progbits
; Kernel info:
; codeLenInByte = 0
; TotalNumSgprs: 0
; NumVgprs: 0
; ScratchSize: 0
; MemoryBound: 0
; FloatMode: 240
; IeeeMode: 1
; LDSByteSize: 0 bytes/workgroup (compile time only)
; SGPRBlocks: 0
; VGPRBlocks: 0
; NumSGPRsForWavesPerEU: 1
; NumVGPRsForWavesPerEU: 1
; Occupancy: 16
; WaveLimiterHint : 0
; COMPUTE_PGM_RSRC2:SCRATCH_EN: 0
; COMPUTE_PGM_RSRC2:USER_SGPR: 2
; COMPUTE_PGM_RSRC2:TRAP_HANDLER: 0
; COMPUTE_PGM_RSRC2:TGID_X_EN: 1
; COMPUTE_PGM_RSRC2:TGID_Y_EN: 0
; COMPUTE_PGM_RSRC2:TGID_Z_EN: 0
; COMPUTE_PGM_RSRC2:TIDIG_COMP_CNT: 0
	.section	.text._ZN7rocprim17ROCPRIM_400000_NS6detail17trampoline_kernelINS0_14default_configENS1_25partition_config_selectorILNS1_17partition_subalgoE5ExNS0_10empty_typeEbEEZZNS1_14partition_implILS5_5ELb0ES3_mN6thrust23THRUST_200600_302600_NS6detail15normal_iteratorINSA_10device_ptrIxEEEEPS6_NSA_18transform_iteratorINSB_9not_fun_tI7is_trueIxEEENSC_INSD_IbEEEENSA_11use_defaultESO_EENS0_5tupleIJSF_S6_EEENSQ_IJSG_SG_EEES6_PlJS6_EEE10hipError_tPvRmT3_T4_T5_T6_T7_T9_mT8_P12ihipStream_tbDpT10_ENKUlT_T0_E_clISt17integral_constantIbLb1EES1D_EEDaS18_S19_EUlS18_E_NS1_11comp_targetILNS1_3genE0ELNS1_11target_archE4294967295ELNS1_3gpuE0ELNS1_3repE0EEENS1_30default_config_static_selectorELNS0_4arch9wavefront6targetE0EEEvT1_,"axG",@progbits,_ZN7rocprim17ROCPRIM_400000_NS6detail17trampoline_kernelINS0_14default_configENS1_25partition_config_selectorILNS1_17partition_subalgoE5ExNS0_10empty_typeEbEEZZNS1_14partition_implILS5_5ELb0ES3_mN6thrust23THRUST_200600_302600_NS6detail15normal_iteratorINSA_10device_ptrIxEEEEPS6_NSA_18transform_iteratorINSB_9not_fun_tI7is_trueIxEEENSC_INSD_IbEEEENSA_11use_defaultESO_EENS0_5tupleIJSF_S6_EEENSQ_IJSG_SG_EEES6_PlJS6_EEE10hipError_tPvRmT3_T4_T5_T6_T7_T9_mT8_P12ihipStream_tbDpT10_ENKUlT_T0_E_clISt17integral_constantIbLb1EES1D_EEDaS18_S19_EUlS18_E_NS1_11comp_targetILNS1_3genE0ELNS1_11target_archE4294967295ELNS1_3gpuE0ELNS1_3repE0EEENS1_30default_config_static_selectorELNS0_4arch9wavefront6targetE0EEEvT1_,comdat
	.protected	_ZN7rocprim17ROCPRIM_400000_NS6detail17trampoline_kernelINS0_14default_configENS1_25partition_config_selectorILNS1_17partition_subalgoE5ExNS0_10empty_typeEbEEZZNS1_14partition_implILS5_5ELb0ES3_mN6thrust23THRUST_200600_302600_NS6detail15normal_iteratorINSA_10device_ptrIxEEEEPS6_NSA_18transform_iteratorINSB_9not_fun_tI7is_trueIxEEENSC_INSD_IbEEEENSA_11use_defaultESO_EENS0_5tupleIJSF_S6_EEENSQ_IJSG_SG_EEES6_PlJS6_EEE10hipError_tPvRmT3_T4_T5_T6_T7_T9_mT8_P12ihipStream_tbDpT10_ENKUlT_T0_E_clISt17integral_constantIbLb1EES1D_EEDaS18_S19_EUlS18_E_NS1_11comp_targetILNS1_3genE0ELNS1_11target_archE4294967295ELNS1_3gpuE0ELNS1_3repE0EEENS1_30default_config_static_selectorELNS0_4arch9wavefront6targetE0EEEvT1_ ; -- Begin function _ZN7rocprim17ROCPRIM_400000_NS6detail17trampoline_kernelINS0_14default_configENS1_25partition_config_selectorILNS1_17partition_subalgoE5ExNS0_10empty_typeEbEEZZNS1_14partition_implILS5_5ELb0ES3_mN6thrust23THRUST_200600_302600_NS6detail15normal_iteratorINSA_10device_ptrIxEEEEPS6_NSA_18transform_iteratorINSB_9not_fun_tI7is_trueIxEEENSC_INSD_IbEEEENSA_11use_defaultESO_EENS0_5tupleIJSF_S6_EEENSQ_IJSG_SG_EEES6_PlJS6_EEE10hipError_tPvRmT3_T4_T5_T6_T7_T9_mT8_P12ihipStream_tbDpT10_ENKUlT_T0_E_clISt17integral_constantIbLb1EES1D_EEDaS18_S19_EUlS18_E_NS1_11comp_targetILNS1_3genE0ELNS1_11target_archE4294967295ELNS1_3gpuE0ELNS1_3repE0EEENS1_30default_config_static_selectorELNS0_4arch9wavefront6targetE0EEEvT1_
	.globl	_ZN7rocprim17ROCPRIM_400000_NS6detail17trampoline_kernelINS0_14default_configENS1_25partition_config_selectorILNS1_17partition_subalgoE5ExNS0_10empty_typeEbEEZZNS1_14partition_implILS5_5ELb0ES3_mN6thrust23THRUST_200600_302600_NS6detail15normal_iteratorINSA_10device_ptrIxEEEEPS6_NSA_18transform_iteratorINSB_9not_fun_tI7is_trueIxEEENSC_INSD_IbEEEENSA_11use_defaultESO_EENS0_5tupleIJSF_S6_EEENSQ_IJSG_SG_EEES6_PlJS6_EEE10hipError_tPvRmT3_T4_T5_T6_T7_T9_mT8_P12ihipStream_tbDpT10_ENKUlT_T0_E_clISt17integral_constantIbLb1EES1D_EEDaS18_S19_EUlS18_E_NS1_11comp_targetILNS1_3genE0ELNS1_11target_archE4294967295ELNS1_3gpuE0ELNS1_3repE0EEENS1_30default_config_static_selectorELNS0_4arch9wavefront6targetE0EEEvT1_
	.p2align	8
	.type	_ZN7rocprim17ROCPRIM_400000_NS6detail17trampoline_kernelINS0_14default_configENS1_25partition_config_selectorILNS1_17partition_subalgoE5ExNS0_10empty_typeEbEEZZNS1_14partition_implILS5_5ELb0ES3_mN6thrust23THRUST_200600_302600_NS6detail15normal_iteratorINSA_10device_ptrIxEEEEPS6_NSA_18transform_iteratorINSB_9not_fun_tI7is_trueIxEEENSC_INSD_IbEEEENSA_11use_defaultESO_EENS0_5tupleIJSF_S6_EEENSQ_IJSG_SG_EEES6_PlJS6_EEE10hipError_tPvRmT3_T4_T5_T6_T7_T9_mT8_P12ihipStream_tbDpT10_ENKUlT_T0_E_clISt17integral_constantIbLb1EES1D_EEDaS18_S19_EUlS18_E_NS1_11comp_targetILNS1_3genE0ELNS1_11target_archE4294967295ELNS1_3gpuE0ELNS1_3repE0EEENS1_30default_config_static_selectorELNS0_4arch9wavefront6targetE0EEEvT1_,@function
_ZN7rocprim17ROCPRIM_400000_NS6detail17trampoline_kernelINS0_14default_configENS1_25partition_config_selectorILNS1_17partition_subalgoE5ExNS0_10empty_typeEbEEZZNS1_14partition_implILS5_5ELb0ES3_mN6thrust23THRUST_200600_302600_NS6detail15normal_iteratorINSA_10device_ptrIxEEEEPS6_NSA_18transform_iteratorINSB_9not_fun_tI7is_trueIxEEENSC_INSD_IbEEEENSA_11use_defaultESO_EENS0_5tupleIJSF_S6_EEENSQ_IJSG_SG_EEES6_PlJS6_EEE10hipError_tPvRmT3_T4_T5_T6_T7_T9_mT8_P12ihipStream_tbDpT10_ENKUlT_T0_E_clISt17integral_constantIbLb1EES1D_EEDaS18_S19_EUlS18_E_NS1_11comp_targetILNS1_3genE0ELNS1_11target_archE4294967295ELNS1_3gpuE0ELNS1_3repE0EEENS1_30default_config_static_selectorELNS0_4arch9wavefront6targetE0EEEvT1_: ; @_ZN7rocprim17ROCPRIM_400000_NS6detail17trampoline_kernelINS0_14default_configENS1_25partition_config_selectorILNS1_17partition_subalgoE5ExNS0_10empty_typeEbEEZZNS1_14partition_implILS5_5ELb0ES3_mN6thrust23THRUST_200600_302600_NS6detail15normal_iteratorINSA_10device_ptrIxEEEEPS6_NSA_18transform_iteratorINSB_9not_fun_tI7is_trueIxEEENSC_INSD_IbEEEENSA_11use_defaultESO_EENS0_5tupleIJSF_S6_EEENSQ_IJSG_SG_EEES6_PlJS6_EEE10hipError_tPvRmT3_T4_T5_T6_T7_T9_mT8_P12ihipStream_tbDpT10_ENKUlT_T0_E_clISt17integral_constantIbLb1EES1D_EEDaS18_S19_EUlS18_E_NS1_11comp_targetILNS1_3genE0ELNS1_11target_archE4294967295ELNS1_3gpuE0ELNS1_3repE0EEENS1_30default_config_static_selectorELNS0_4arch9wavefront6targetE0EEEvT1_
; %bb.0:
	.section	.rodata,"a",@progbits
	.p2align	6, 0x0
	.amdhsa_kernel _ZN7rocprim17ROCPRIM_400000_NS6detail17trampoline_kernelINS0_14default_configENS1_25partition_config_selectorILNS1_17partition_subalgoE5ExNS0_10empty_typeEbEEZZNS1_14partition_implILS5_5ELb0ES3_mN6thrust23THRUST_200600_302600_NS6detail15normal_iteratorINSA_10device_ptrIxEEEEPS6_NSA_18transform_iteratorINSB_9not_fun_tI7is_trueIxEEENSC_INSD_IbEEEENSA_11use_defaultESO_EENS0_5tupleIJSF_S6_EEENSQ_IJSG_SG_EEES6_PlJS6_EEE10hipError_tPvRmT3_T4_T5_T6_T7_T9_mT8_P12ihipStream_tbDpT10_ENKUlT_T0_E_clISt17integral_constantIbLb1EES1D_EEDaS18_S19_EUlS18_E_NS1_11comp_targetILNS1_3genE0ELNS1_11target_archE4294967295ELNS1_3gpuE0ELNS1_3repE0EEENS1_30default_config_static_selectorELNS0_4arch9wavefront6targetE0EEEvT1_
		.amdhsa_group_segment_fixed_size 0
		.amdhsa_private_segment_fixed_size 0
		.amdhsa_kernarg_size 136
		.amdhsa_user_sgpr_count 2
		.amdhsa_user_sgpr_dispatch_ptr 0
		.amdhsa_user_sgpr_queue_ptr 0
		.amdhsa_user_sgpr_kernarg_segment_ptr 1
		.amdhsa_user_sgpr_dispatch_id 0
		.amdhsa_user_sgpr_private_segment_size 0
		.amdhsa_wavefront_size32 1
		.amdhsa_uses_dynamic_stack 0
		.amdhsa_enable_private_segment 0
		.amdhsa_system_sgpr_workgroup_id_x 1
		.amdhsa_system_sgpr_workgroup_id_y 0
		.amdhsa_system_sgpr_workgroup_id_z 0
		.amdhsa_system_sgpr_workgroup_info 0
		.amdhsa_system_vgpr_workitem_id 0
		.amdhsa_next_free_vgpr 1
		.amdhsa_next_free_sgpr 1
		.amdhsa_reserve_vcc 0
		.amdhsa_float_round_mode_32 0
		.amdhsa_float_round_mode_16_64 0
		.amdhsa_float_denorm_mode_32 3
		.amdhsa_float_denorm_mode_16_64 3
		.amdhsa_fp16_overflow 0
		.amdhsa_workgroup_processor_mode 1
		.amdhsa_memory_ordered 1
		.amdhsa_forward_progress 1
		.amdhsa_inst_pref_size 0
		.amdhsa_round_robin_scheduling 0
		.amdhsa_exception_fp_ieee_invalid_op 0
		.amdhsa_exception_fp_denorm_src 0
		.amdhsa_exception_fp_ieee_div_zero 0
		.amdhsa_exception_fp_ieee_overflow 0
		.amdhsa_exception_fp_ieee_underflow 0
		.amdhsa_exception_fp_ieee_inexact 0
		.amdhsa_exception_int_div_zero 0
	.end_amdhsa_kernel
	.section	.text._ZN7rocprim17ROCPRIM_400000_NS6detail17trampoline_kernelINS0_14default_configENS1_25partition_config_selectorILNS1_17partition_subalgoE5ExNS0_10empty_typeEbEEZZNS1_14partition_implILS5_5ELb0ES3_mN6thrust23THRUST_200600_302600_NS6detail15normal_iteratorINSA_10device_ptrIxEEEEPS6_NSA_18transform_iteratorINSB_9not_fun_tI7is_trueIxEEENSC_INSD_IbEEEENSA_11use_defaultESO_EENS0_5tupleIJSF_S6_EEENSQ_IJSG_SG_EEES6_PlJS6_EEE10hipError_tPvRmT3_T4_T5_T6_T7_T9_mT8_P12ihipStream_tbDpT10_ENKUlT_T0_E_clISt17integral_constantIbLb1EES1D_EEDaS18_S19_EUlS18_E_NS1_11comp_targetILNS1_3genE0ELNS1_11target_archE4294967295ELNS1_3gpuE0ELNS1_3repE0EEENS1_30default_config_static_selectorELNS0_4arch9wavefront6targetE0EEEvT1_,"axG",@progbits,_ZN7rocprim17ROCPRIM_400000_NS6detail17trampoline_kernelINS0_14default_configENS1_25partition_config_selectorILNS1_17partition_subalgoE5ExNS0_10empty_typeEbEEZZNS1_14partition_implILS5_5ELb0ES3_mN6thrust23THRUST_200600_302600_NS6detail15normal_iteratorINSA_10device_ptrIxEEEEPS6_NSA_18transform_iteratorINSB_9not_fun_tI7is_trueIxEEENSC_INSD_IbEEEENSA_11use_defaultESO_EENS0_5tupleIJSF_S6_EEENSQ_IJSG_SG_EEES6_PlJS6_EEE10hipError_tPvRmT3_T4_T5_T6_T7_T9_mT8_P12ihipStream_tbDpT10_ENKUlT_T0_E_clISt17integral_constantIbLb1EES1D_EEDaS18_S19_EUlS18_E_NS1_11comp_targetILNS1_3genE0ELNS1_11target_archE4294967295ELNS1_3gpuE0ELNS1_3repE0EEENS1_30default_config_static_selectorELNS0_4arch9wavefront6targetE0EEEvT1_,comdat
.Lfunc_end2501:
	.size	_ZN7rocprim17ROCPRIM_400000_NS6detail17trampoline_kernelINS0_14default_configENS1_25partition_config_selectorILNS1_17partition_subalgoE5ExNS0_10empty_typeEbEEZZNS1_14partition_implILS5_5ELb0ES3_mN6thrust23THRUST_200600_302600_NS6detail15normal_iteratorINSA_10device_ptrIxEEEEPS6_NSA_18transform_iteratorINSB_9not_fun_tI7is_trueIxEEENSC_INSD_IbEEEENSA_11use_defaultESO_EENS0_5tupleIJSF_S6_EEENSQ_IJSG_SG_EEES6_PlJS6_EEE10hipError_tPvRmT3_T4_T5_T6_T7_T9_mT8_P12ihipStream_tbDpT10_ENKUlT_T0_E_clISt17integral_constantIbLb1EES1D_EEDaS18_S19_EUlS18_E_NS1_11comp_targetILNS1_3genE0ELNS1_11target_archE4294967295ELNS1_3gpuE0ELNS1_3repE0EEENS1_30default_config_static_selectorELNS0_4arch9wavefront6targetE0EEEvT1_, .Lfunc_end2501-_ZN7rocprim17ROCPRIM_400000_NS6detail17trampoline_kernelINS0_14default_configENS1_25partition_config_selectorILNS1_17partition_subalgoE5ExNS0_10empty_typeEbEEZZNS1_14partition_implILS5_5ELb0ES3_mN6thrust23THRUST_200600_302600_NS6detail15normal_iteratorINSA_10device_ptrIxEEEEPS6_NSA_18transform_iteratorINSB_9not_fun_tI7is_trueIxEEENSC_INSD_IbEEEENSA_11use_defaultESO_EENS0_5tupleIJSF_S6_EEENSQ_IJSG_SG_EEES6_PlJS6_EEE10hipError_tPvRmT3_T4_T5_T6_T7_T9_mT8_P12ihipStream_tbDpT10_ENKUlT_T0_E_clISt17integral_constantIbLb1EES1D_EEDaS18_S19_EUlS18_E_NS1_11comp_targetILNS1_3genE0ELNS1_11target_archE4294967295ELNS1_3gpuE0ELNS1_3repE0EEENS1_30default_config_static_selectorELNS0_4arch9wavefront6targetE0EEEvT1_
                                        ; -- End function
	.set _ZN7rocprim17ROCPRIM_400000_NS6detail17trampoline_kernelINS0_14default_configENS1_25partition_config_selectorILNS1_17partition_subalgoE5ExNS0_10empty_typeEbEEZZNS1_14partition_implILS5_5ELb0ES3_mN6thrust23THRUST_200600_302600_NS6detail15normal_iteratorINSA_10device_ptrIxEEEEPS6_NSA_18transform_iteratorINSB_9not_fun_tI7is_trueIxEEENSC_INSD_IbEEEENSA_11use_defaultESO_EENS0_5tupleIJSF_S6_EEENSQ_IJSG_SG_EEES6_PlJS6_EEE10hipError_tPvRmT3_T4_T5_T6_T7_T9_mT8_P12ihipStream_tbDpT10_ENKUlT_T0_E_clISt17integral_constantIbLb1EES1D_EEDaS18_S19_EUlS18_E_NS1_11comp_targetILNS1_3genE0ELNS1_11target_archE4294967295ELNS1_3gpuE0ELNS1_3repE0EEENS1_30default_config_static_selectorELNS0_4arch9wavefront6targetE0EEEvT1_.num_vgpr, 0
	.set _ZN7rocprim17ROCPRIM_400000_NS6detail17trampoline_kernelINS0_14default_configENS1_25partition_config_selectorILNS1_17partition_subalgoE5ExNS0_10empty_typeEbEEZZNS1_14partition_implILS5_5ELb0ES3_mN6thrust23THRUST_200600_302600_NS6detail15normal_iteratorINSA_10device_ptrIxEEEEPS6_NSA_18transform_iteratorINSB_9not_fun_tI7is_trueIxEEENSC_INSD_IbEEEENSA_11use_defaultESO_EENS0_5tupleIJSF_S6_EEENSQ_IJSG_SG_EEES6_PlJS6_EEE10hipError_tPvRmT3_T4_T5_T6_T7_T9_mT8_P12ihipStream_tbDpT10_ENKUlT_T0_E_clISt17integral_constantIbLb1EES1D_EEDaS18_S19_EUlS18_E_NS1_11comp_targetILNS1_3genE0ELNS1_11target_archE4294967295ELNS1_3gpuE0ELNS1_3repE0EEENS1_30default_config_static_selectorELNS0_4arch9wavefront6targetE0EEEvT1_.num_agpr, 0
	.set _ZN7rocprim17ROCPRIM_400000_NS6detail17trampoline_kernelINS0_14default_configENS1_25partition_config_selectorILNS1_17partition_subalgoE5ExNS0_10empty_typeEbEEZZNS1_14partition_implILS5_5ELb0ES3_mN6thrust23THRUST_200600_302600_NS6detail15normal_iteratorINSA_10device_ptrIxEEEEPS6_NSA_18transform_iteratorINSB_9not_fun_tI7is_trueIxEEENSC_INSD_IbEEEENSA_11use_defaultESO_EENS0_5tupleIJSF_S6_EEENSQ_IJSG_SG_EEES6_PlJS6_EEE10hipError_tPvRmT3_T4_T5_T6_T7_T9_mT8_P12ihipStream_tbDpT10_ENKUlT_T0_E_clISt17integral_constantIbLb1EES1D_EEDaS18_S19_EUlS18_E_NS1_11comp_targetILNS1_3genE0ELNS1_11target_archE4294967295ELNS1_3gpuE0ELNS1_3repE0EEENS1_30default_config_static_selectorELNS0_4arch9wavefront6targetE0EEEvT1_.numbered_sgpr, 0
	.set _ZN7rocprim17ROCPRIM_400000_NS6detail17trampoline_kernelINS0_14default_configENS1_25partition_config_selectorILNS1_17partition_subalgoE5ExNS0_10empty_typeEbEEZZNS1_14partition_implILS5_5ELb0ES3_mN6thrust23THRUST_200600_302600_NS6detail15normal_iteratorINSA_10device_ptrIxEEEEPS6_NSA_18transform_iteratorINSB_9not_fun_tI7is_trueIxEEENSC_INSD_IbEEEENSA_11use_defaultESO_EENS0_5tupleIJSF_S6_EEENSQ_IJSG_SG_EEES6_PlJS6_EEE10hipError_tPvRmT3_T4_T5_T6_T7_T9_mT8_P12ihipStream_tbDpT10_ENKUlT_T0_E_clISt17integral_constantIbLb1EES1D_EEDaS18_S19_EUlS18_E_NS1_11comp_targetILNS1_3genE0ELNS1_11target_archE4294967295ELNS1_3gpuE0ELNS1_3repE0EEENS1_30default_config_static_selectorELNS0_4arch9wavefront6targetE0EEEvT1_.num_named_barrier, 0
	.set _ZN7rocprim17ROCPRIM_400000_NS6detail17trampoline_kernelINS0_14default_configENS1_25partition_config_selectorILNS1_17partition_subalgoE5ExNS0_10empty_typeEbEEZZNS1_14partition_implILS5_5ELb0ES3_mN6thrust23THRUST_200600_302600_NS6detail15normal_iteratorINSA_10device_ptrIxEEEEPS6_NSA_18transform_iteratorINSB_9not_fun_tI7is_trueIxEEENSC_INSD_IbEEEENSA_11use_defaultESO_EENS0_5tupleIJSF_S6_EEENSQ_IJSG_SG_EEES6_PlJS6_EEE10hipError_tPvRmT3_T4_T5_T6_T7_T9_mT8_P12ihipStream_tbDpT10_ENKUlT_T0_E_clISt17integral_constantIbLb1EES1D_EEDaS18_S19_EUlS18_E_NS1_11comp_targetILNS1_3genE0ELNS1_11target_archE4294967295ELNS1_3gpuE0ELNS1_3repE0EEENS1_30default_config_static_selectorELNS0_4arch9wavefront6targetE0EEEvT1_.private_seg_size, 0
	.set _ZN7rocprim17ROCPRIM_400000_NS6detail17trampoline_kernelINS0_14default_configENS1_25partition_config_selectorILNS1_17partition_subalgoE5ExNS0_10empty_typeEbEEZZNS1_14partition_implILS5_5ELb0ES3_mN6thrust23THRUST_200600_302600_NS6detail15normal_iteratorINSA_10device_ptrIxEEEEPS6_NSA_18transform_iteratorINSB_9not_fun_tI7is_trueIxEEENSC_INSD_IbEEEENSA_11use_defaultESO_EENS0_5tupleIJSF_S6_EEENSQ_IJSG_SG_EEES6_PlJS6_EEE10hipError_tPvRmT3_T4_T5_T6_T7_T9_mT8_P12ihipStream_tbDpT10_ENKUlT_T0_E_clISt17integral_constantIbLb1EES1D_EEDaS18_S19_EUlS18_E_NS1_11comp_targetILNS1_3genE0ELNS1_11target_archE4294967295ELNS1_3gpuE0ELNS1_3repE0EEENS1_30default_config_static_selectorELNS0_4arch9wavefront6targetE0EEEvT1_.uses_vcc, 0
	.set _ZN7rocprim17ROCPRIM_400000_NS6detail17trampoline_kernelINS0_14default_configENS1_25partition_config_selectorILNS1_17partition_subalgoE5ExNS0_10empty_typeEbEEZZNS1_14partition_implILS5_5ELb0ES3_mN6thrust23THRUST_200600_302600_NS6detail15normal_iteratorINSA_10device_ptrIxEEEEPS6_NSA_18transform_iteratorINSB_9not_fun_tI7is_trueIxEEENSC_INSD_IbEEEENSA_11use_defaultESO_EENS0_5tupleIJSF_S6_EEENSQ_IJSG_SG_EEES6_PlJS6_EEE10hipError_tPvRmT3_T4_T5_T6_T7_T9_mT8_P12ihipStream_tbDpT10_ENKUlT_T0_E_clISt17integral_constantIbLb1EES1D_EEDaS18_S19_EUlS18_E_NS1_11comp_targetILNS1_3genE0ELNS1_11target_archE4294967295ELNS1_3gpuE0ELNS1_3repE0EEENS1_30default_config_static_selectorELNS0_4arch9wavefront6targetE0EEEvT1_.uses_flat_scratch, 0
	.set _ZN7rocprim17ROCPRIM_400000_NS6detail17trampoline_kernelINS0_14default_configENS1_25partition_config_selectorILNS1_17partition_subalgoE5ExNS0_10empty_typeEbEEZZNS1_14partition_implILS5_5ELb0ES3_mN6thrust23THRUST_200600_302600_NS6detail15normal_iteratorINSA_10device_ptrIxEEEEPS6_NSA_18transform_iteratorINSB_9not_fun_tI7is_trueIxEEENSC_INSD_IbEEEENSA_11use_defaultESO_EENS0_5tupleIJSF_S6_EEENSQ_IJSG_SG_EEES6_PlJS6_EEE10hipError_tPvRmT3_T4_T5_T6_T7_T9_mT8_P12ihipStream_tbDpT10_ENKUlT_T0_E_clISt17integral_constantIbLb1EES1D_EEDaS18_S19_EUlS18_E_NS1_11comp_targetILNS1_3genE0ELNS1_11target_archE4294967295ELNS1_3gpuE0ELNS1_3repE0EEENS1_30default_config_static_selectorELNS0_4arch9wavefront6targetE0EEEvT1_.has_dyn_sized_stack, 0
	.set _ZN7rocprim17ROCPRIM_400000_NS6detail17trampoline_kernelINS0_14default_configENS1_25partition_config_selectorILNS1_17partition_subalgoE5ExNS0_10empty_typeEbEEZZNS1_14partition_implILS5_5ELb0ES3_mN6thrust23THRUST_200600_302600_NS6detail15normal_iteratorINSA_10device_ptrIxEEEEPS6_NSA_18transform_iteratorINSB_9not_fun_tI7is_trueIxEEENSC_INSD_IbEEEENSA_11use_defaultESO_EENS0_5tupleIJSF_S6_EEENSQ_IJSG_SG_EEES6_PlJS6_EEE10hipError_tPvRmT3_T4_T5_T6_T7_T9_mT8_P12ihipStream_tbDpT10_ENKUlT_T0_E_clISt17integral_constantIbLb1EES1D_EEDaS18_S19_EUlS18_E_NS1_11comp_targetILNS1_3genE0ELNS1_11target_archE4294967295ELNS1_3gpuE0ELNS1_3repE0EEENS1_30default_config_static_selectorELNS0_4arch9wavefront6targetE0EEEvT1_.has_recursion, 0
	.set _ZN7rocprim17ROCPRIM_400000_NS6detail17trampoline_kernelINS0_14default_configENS1_25partition_config_selectorILNS1_17partition_subalgoE5ExNS0_10empty_typeEbEEZZNS1_14partition_implILS5_5ELb0ES3_mN6thrust23THRUST_200600_302600_NS6detail15normal_iteratorINSA_10device_ptrIxEEEEPS6_NSA_18transform_iteratorINSB_9not_fun_tI7is_trueIxEEENSC_INSD_IbEEEENSA_11use_defaultESO_EENS0_5tupleIJSF_S6_EEENSQ_IJSG_SG_EEES6_PlJS6_EEE10hipError_tPvRmT3_T4_T5_T6_T7_T9_mT8_P12ihipStream_tbDpT10_ENKUlT_T0_E_clISt17integral_constantIbLb1EES1D_EEDaS18_S19_EUlS18_E_NS1_11comp_targetILNS1_3genE0ELNS1_11target_archE4294967295ELNS1_3gpuE0ELNS1_3repE0EEENS1_30default_config_static_selectorELNS0_4arch9wavefront6targetE0EEEvT1_.has_indirect_call, 0
	.section	.AMDGPU.csdata,"",@progbits
; Kernel info:
; codeLenInByte = 0
; TotalNumSgprs: 0
; NumVgprs: 0
; ScratchSize: 0
; MemoryBound: 0
; FloatMode: 240
; IeeeMode: 1
; LDSByteSize: 0 bytes/workgroup (compile time only)
; SGPRBlocks: 0
; VGPRBlocks: 0
; NumSGPRsForWavesPerEU: 1
; NumVGPRsForWavesPerEU: 1
; Occupancy: 16
; WaveLimiterHint : 0
; COMPUTE_PGM_RSRC2:SCRATCH_EN: 0
; COMPUTE_PGM_RSRC2:USER_SGPR: 2
; COMPUTE_PGM_RSRC2:TRAP_HANDLER: 0
; COMPUTE_PGM_RSRC2:TGID_X_EN: 1
; COMPUTE_PGM_RSRC2:TGID_Y_EN: 0
; COMPUTE_PGM_RSRC2:TGID_Z_EN: 0
; COMPUTE_PGM_RSRC2:TIDIG_COMP_CNT: 0
	.section	.text._ZN7rocprim17ROCPRIM_400000_NS6detail17trampoline_kernelINS0_14default_configENS1_25partition_config_selectorILNS1_17partition_subalgoE5ExNS0_10empty_typeEbEEZZNS1_14partition_implILS5_5ELb0ES3_mN6thrust23THRUST_200600_302600_NS6detail15normal_iteratorINSA_10device_ptrIxEEEEPS6_NSA_18transform_iteratorINSB_9not_fun_tI7is_trueIxEEENSC_INSD_IbEEEENSA_11use_defaultESO_EENS0_5tupleIJSF_S6_EEENSQ_IJSG_SG_EEES6_PlJS6_EEE10hipError_tPvRmT3_T4_T5_T6_T7_T9_mT8_P12ihipStream_tbDpT10_ENKUlT_T0_E_clISt17integral_constantIbLb1EES1D_EEDaS18_S19_EUlS18_E_NS1_11comp_targetILNS1_3genE5ELNS1_11target_archE942ELNS1_3gpuE9ELNS1_3repE0EEENS1_30default_config_static_selectorELNS0_4arch9wavefront6targetE0EEEvT1_,"axG",@progbits,_ZN7rocprim17ROCPRIM_400000_NS6detail17trampoline_kernelINS0_14default_configENS1_25partition_config_selectorILNS1_17partition_subalgoE5ExNS0_10empty_typeEbEEZZNS1_14partition_implILS5_5ELb0ES3_mN6thrust23THRUST_200600_302600_NS6detail15normal_iteratorINSA_10device_ptrIxEEEEPS6_NSA_18transform_iteratorINSB_9not_fun_tI7is_trueIxEEENSC_INSD_IbEEEENSA_11use_defaultESO_EENS0_5tupleIJSF_S6_EEENSQ_IJSG_SG_EEES6_PlJS6_EEE10hipError_tPvRmT3_T4_T5_T6_T7_T9_mT8_P12ihipStream_tbDpT10_ENKUlT_T0_E_clISt17integral_constantIbLb1EES1D_EEDaS18_S19_EUlS18_E_NS1_11comp_targetILNS1_3genE5ELNS1_11target_archE942ELNS1_3gpuE9ELNS1_3repE0EEENS1_30default_config_static_selectorELNS0_4arch9wavefront6targetE0EEEvT1_,comdat
	.protected	_ZN7rocprim17ROCPRIM_400000_NS6detail17trampoline_kernelINS0_14default_configENS1_25partition_config_selectorILNS1_17partition_subalgoE5ExNS0_10empty_typeEbEEZZNS1_14partition_implILS5_5ELb0ES3_mN6thrust23THRUST_200600_302600_NS6detail15normal_iteratorINSA_10device_ptrIxEEEEPS6_NSA_18transform_iteratorINSB_9not_fun_tI7is_trueIxEEENSC_INSD_IbEEEENSA_11use_defaultESO_EENS0_5tupleIJSF_S6_EEENSQ_IJSG_SG_EEES6_PlJS6_EEE10hipError_tPvRmT3_T4_T5_T6_T7_T9_mT8_P12ihipStream_tbDpT10_ENKUlT_T0_E_clISt17integral_constantIbLb1EES1D_EEDaS18_S19_EUlS18_E_NS1_11comp_targetILNS1_3genE5ELNS1_11target_archE942ELNS1_3gpuE9ELNS1_3repE0EEENS1_30default_config_static_selectorELNS0_4arch9wavefront6targetE0EEEvT1_ ; -- Begin function _ZN7rocprim17ROCPRIM_400000_NS6detail17trampoline_kernelINS0_14default_configENS1_25partition_config_selectorILNS1_17partition_subalgoE5ExNS0_10empty_typeEbEEZZNS1_14partition_implILS5_5ELb0ES3_mN6thrust23THRUST_200600_302600_NS6detail15normal_iteratorINSA_10device_ptrIxEEEEPS6_NSA_18transform_iteratorINSB_9not_fun_tI7is_trueIxEEENSC_INSD_IbEEEENSA_11use_defaultESO_EENS0_5tupleIJSF_S6_EEENSQ_IJSG_SG_EEES6_PlJS6_EEE10hipError_tPvRmT3_T4_T5_T6_T7_T9_mT8_P12ihipStream_tbDpT10_ENKUlT_T0_E_clISt17integral_constantIbLb1EES1D_EEDaS18_S19_EUlS18_E_NS1_11comp_targetILNS1_3genE5ELNS1_11target_archE942ELNS1_3gpuE9ELNS1_3repE0EEENS1_30default_config_static_selectorELNS0_4arch9wavefront6targetE0EEEvT1_
	.globl	_ZN7rocprim17ROCPRIM_400000_NS6detail17trampoline_kernelINS0_14default_configENS1_25partition_config_selectorILNS1_17partition_subalgoE5ExNS0_10empty_typeEbEEZZNS1_14partition_implILS5_5ELb0ES3_mN6thrust23THRUST_200600_302600_NS6detail15normal_iteratorINSA_10device_ptrIxEEEEPS6_NSA_18transform_iteratorINSB_9not_fun_tI7is_trueIxEEENSC_INSD_IbEEEENSA_11use_defaultESO_EENS0_5tupleIJSF_S6_EEENSQ_IJSG_SG_EEES6_PlJS6_EEE10hipError_tPvRmT3_T4_T5_T6_T7_T9_mT8_P12ihipStream_tbDpT10_ENKUlT_T0_E_clISt17integral_constantIbLb1EES1D_EEDaS18_S19_EUlS18_E_NS1_11comp_targetILNS1_3genE5ELNS1_11target_archE942ELNS1_3gpuE9ELNS1_3repE0EEENS1_30default_config_static_selectorELNS0_4arch9wavefront6targetE0EEEvT1_
	.p2align	8
	.type	_ZN7rocprim17ROCPRIM_400000_NS6detail17trampoline_kernelINS0_14default_configENS1_25partition_config_selectorILNS1_17partition_subalgoE5ExNS0_10empty_typeEbEEZZNS1_14partition_implILS5_5ELb0ES3_mN6thrust23THRUST_200600_302600_NS6detail15normal_iteratorINSA_10device_ptrIxEEEEPS6_NSA_18transform_iteratorINSB_9not_fun_tI7is_trueIxEEENSC_INSD_IbEEEENSA_11use_defaultESO_EENS0_5tupleIJSF_S6_EEENSQ_IJSG_SG_EEES6_PlJS6_EEE10hipError_tPvRmT3_T4_T5_T6_T7_T9_mT8_P12ihipStream_tbDpT10_ENKUlT_T0_E_clISt17integral_constantIbLb1EES1D_EEDaS18_S19_EUlS18_E_NS1_11comp_targetILNS1_3genE5ELNS1_11target_archE942ELNS1_3gpuE9ELNS1_3repE0EEENS1_30default_config_static_selectorELNS0_4arch9wavefront6targetE0EEEvT1_,@function
_ZN7rocprim17ROCPRIM_400000_NS6detail17trampoline_kernelINS0_14default_configENS1_25partition_config_selectorILNS1_17partition_subalgoE5ExNS0_10empty_typeEbEEZZNS1_14partition_implILS5_5ELb0ES3_mN6thrust23THRUST_200600_302600_NS6detail15normal_iteratorINSA_10device_ptrIxEEEEPS6_NSA_18transform_iteratorINSB_9not_fun_tI7is_trueIxEEENSC_INSD_IbEEEENSA_11use_defaultESO_EENS0_5tupleIJSF_S6_EEENSQ_IJSG_SG_EEES6_PlJS6_EEE10hipError_tPvRmT3_T4_T5_T6_T7_T9_mT8_P12ihipStream_tbDpT10_ENKUlT_T0_E_clISt17integral_constantIbLb1EES1D_EEDaS18_S19_EUlS18_E_NS1_11comp_targetILNS1_3genE5ELNS1_11target_archE942ELNS1_3gpuE9ELNS1_3repE0EEENS1_30default_config_static_selectorELNS0_4arch9wavefront6targetE0EEEvT1_: ; @_ZN7rocprim17ROCPRIM_400000_NS6detail17trampoline_kernelINS0_14default_configENS1_25partition_config_selectorILNS1_17partition_subalgoE5ExNS0_10empty_typeEbEEZZNS1_14partition_implILS5_5ELb0ES3_mN6thrust23THRUST_200600_302600_NS6detail15normal_iteratorINSA_10device_ptrIxEEEEPS6_NSA_18transform_iteratorINSB_9not_fun_tI7is_trueIxEEENSC_INSD_IbEEEENSA_11use_defaultESO_EENS0_5tupleIJSF_S6_EEENSQ_IJSG_SG_EEES6_PlJS6_EEE10hipError_tPvRmT3_T4_T5_T6_T7_T9_mT8_P12ihipStream_tbDpT10_ENKUlT_T0_E_clISt17integral_constantIbLb1EES1D_EEDaS18_S19_EUlS18_E_NS1_11comp_targetILNS1_3genE5ELNS1_11target_archE942ELNS1_3gpuE9ELNS1_3repE0EEENS1_30default_config_static_selectorELNS0_4arch9wavefront6targetE0EEEvT1_
; %bb.0:
	.section	.rodata,"a",@progbits
	.p2align	6, 0x0
	.amdhsa_kernel _ZN7rocprim17ROCPRIM_400000_NS6detail17trampoline_kernelINS0_14default_configENS1_25partition_config_selectorILNS1_17partition_subalgoE5ExNS0_10empty_typeEbEEZZNS1_14partition_implILS5_5ELb0ES3_mN6thrust23THRUST_200600_302600_NS6detail15normal_iteratorINSA_10device_ptrIxEEEEPS6_NSA_18transform_iteratorINSB_9not_fun_tI7is_trueIxEEENSC_INSD_IbEEEENSA_11use_defaultESO_EENS0_5tupleIJSF_S6_EEENSQ_IJSG_SG_EEES6_PlJS6_EEE10hipError_tPvRmT3_T4_T5_T6_T7_T9_mT8_P12ihipStream_tbDpT10_ENKUlT_T0_E_clISt17integral_constantIbLb1EES1D_EEDaS18_S19_EUlS18_E_NS1_11comp_targetILNS1_3genE5ELNS1_11target_archE942ELNS1_3gpuE9ELNS1_3repE0EEENS1_30default_config_static_selectorELNS0_4arch9wavefront6targetE0EEEvT1_
		.amdhsa_group_segment_fixed_size 0
		.amdhsa_private_segment_fixed_size 0
		.amdhsa_kernarg_size 136
		.amdhsa_user_sgpr_count 2
		.amdhsa_user_sgpr_dispatch_ptr 0
		.amdhsa_user_sgpr_queue_ptr 0
		.amdhsa_user_sgpr_kernarg_segment_ptr 1
		.amdhsa_user_sgpr_dispatch_id 0
		.amdhsa_user_sgpr_private_segment_size 0
		.amdhsa_wavefront_size32 1
		.amdhsa_uses_dynamic_stack 0
		.amdhsa_enable_private_segment 0
		.amdhsa_system_sgpr_workgroup_id_x 1
		.amdhsa_system_sgpr_workgroup_id_y 0
		.amdhsa_system_sgpr_workgroup_id_z 0
		.amdhsa_system_sgpr_workgroup_info 0
		.amdhsa_system_vgpr_workitem_id 0
		.amdhsa_next_free_vgpr 1
		.amdhsa_next_free_sgpr 1
		.amdhsa_reserve_vcc 0
		.amdhsa_float_round_mode_32 0
		.amdhsa_float_round_mode_16_64 0
		.amdhsa_float_denorm_mode_32 3
		.amdhsa_float_denorm_mode_16_64 3
		.amdhsa_fp16_overflow 0
		.amdhsa_workgroup_processor_mode 1
		.amdhsa_memory_ordered 1
		.amdhsa_forward_progress 1
		.amdhsa_inst_pref_size 0
		.amdhsa_round_robin_scheduling 0
		.amdhsa_exception_fp_ieee_invalid_op 0
		.amdhsa_exception_fp_denorm_src 0
		.amdhsa_exception_fp_ieee_div_zero 0
		.amdhsa_exception_fp_ieee_overflow 0
		.amdhsa_exception_fp_ieee_underflow 0
		.amdhsa_exception_fp_ieee_inexact 0
		.amdhsa_exception_int_div_zero 0
	.end_amdhsa_kernel
	.section	.text._ZN7rocprim17ROCPRIM_400000_NS6detail17trampoline_kernelINS0_14default_configENS1_25partition_config_selectorILNS1_17partition_subalgoE5ExNS0_10empty_typeEbEEZZNS1_14partition_implILS5_5ELb0ES3_mN6thrust23THRUST_200600_302600_NS6detail15normal_iteratorINSA_10device_ptrIxEEEEPS6_NSA_18transform_iteratorINSB_9not_fun_tI7is_trueIxEEENSC_INSD_IbEEEENSA_11use_defaultESO_EENS0_5tupleIJSF_S6_EEENSQ_IJSG_SG_EEES6_PlJS6_EEE10hipError_tPvRmT3_T4_T5_T6_T7_T9_mT8_P12ihipStream_tbDpT10_ENKUlT_T0_E_clISt17integral_constantIbLb1EES1D_EEDaS18_S19_EUlS18_E_NS1_11comp_targetILNS1_3genE5ELNS1_11target_archE942ELNS1_3gpuE9ELNS1_3repE0EEENS1_30default_config_static_selectorELNS0_4arch9wavefront6targetE0EEEvT1_,"axG",@progbits,_ZN7rocprim17ROCPRIM_400000_NS6detail17trampoline_kernelINS0_14default_configENS1_25partition_config_selectorILNS1_17partition_subalgoE5ExNS0_10empty_typeEbEEZZNS1_14partition_implILS5_5ELb0ES3_mN6thrust23THRUST_200600_302600_NS6detail15normal_iteratorINSA_10device_ptrIxEEEEPS6_NSA_18transform_iteratorINSB_9not_fun_tI7is_trueIxEEENSC_INSD_IbEEEENSA_11use_defaultESO_EENS0_5tupleIJSF_S6_EEENSQ_IJSG_SG_EEES6_PlJS6_EEE10hipError_tPvRmT3_T4_T5_T6_T7_T9_mT8_P12ihipStream_tbDpT10_ENKUlT_T0_E_clISt17integral_constantIbLb1EES1D_EEDaS18_S19_EUlS18_E_NS1_11comp_targetILNS1_3genE5ELNS1_11target_archE942ELNS1_3gpuE9ELNS1_3repE0EEENS1_30default_config_static_selectorELNS0_4arch9wavefront6targetE0EEEvT1_,comdat
.Lfunc_end2502:
	.size	_ZN7rocprim17ROCPRIM_400000_NS6detail17trampoline_kernelINS0_14default_configENS1_25partition_config_selectorILNS1_17partition_subalgoE5ExNS0_10empty_typeEbEEZZNS1_14partition_implILS5_5ELb0ES3_mN6thrust23THRUST_200600_302600_NS6detail15normal_iteratorINSA_10device_ptrIxEEEEPS6_NSA_18transform_iteratorINSB_9not_fun_tI7is_trueIxEEENSC_INSD_IbEEEENSA_11use_defaultESO_EENS0_5tupleIJSF_S6_EEENSQ_IJSG_SG_EEES6_PlJS6_EEE10hipError_tPvRmT3_T4_T5_T6_T7_T9_mT8_P12ihipStream_tbDpT10_ENKUlT_T0_E_clISt17integral_constantIbLb1EES1D_EEDaS18_S19_EUlS18_E_NS1_11comp_targetILNS1_3genE5ELNS1_11target_archE942ELNS1_3gpuE9ELNS1_3repE0EEENS1_30default_config_static_selectorELNS0_4arch9wavefront6targetE0EEEvT1_, .Lfunc_end2502-_ZN7rocprim17ROCPRIM_400000_NS6detail17trampoline_kernelINS0_14default_configENS1_25partition_config_selectorILNS1_17partition_subalgoE5ExNS0_10empty_typeEbEEZZNS1_14partition_implILS5_5ELb0ES3_mN6thrust23THRUST_200600_302600_NS6detail15normal_iteratorINSA_10device_ptrIxEEEEPS6_NSA_18transform_iteratorINSB_9not_fun_tI7is_trueIxEEENSC_INSD_IbEEEENSA_11use_defaultESO_EENS0_5tupleIJSF_S6_EEENSQ_IJSG_SG_EEES6_PlJS6_EEE10hipError_tPvRmT3_T4_T5_T6_T7_T9_mT8_P12ihipStream_tbDpT10_ENKUlT_T0_E_clISt17integral_constantIbLb1EES1D_EEDaS18_S19_EUlS18_E_NS1_11comp_targetILNS1_3genE5ELNS1_11target_archE942ELNS1_3gpuE9ELNS1_3repE0EEENS1_30default_config_static_selectorELNS0_4arch9wavefront6targetE0EEEvT1_
                                        ; -- End function
	.set _ZN7rocprim17ROCPRIM_400000_NS6detail17trampoline_kernelINS0_14default_configENS1_25partition_config_selectorILNS1_17partition_subalgoE5ExNS0_10empty_typeEbEEZZNS1_14partition_implILS5_5ELb0ES3_mN6thrust23THRUST_200600_302600_NS6detail15normal_iteratorINSA_10device_ptrIxEEEEPS6_NSA_18transform_iteratorINSB_9not_fun_tI7is_trueIxEEENSC_INSD_IbEEEENSA_11use_defaultESO_EENS0_5tupleIJSF_S6_EEENSQ_IJSG_SG_EEES6_PlJS6_EEE10hipError_tPvRmT3_T4_T5_T6_T7_T9_mT8_P12ihipStream_tbDpT10_ENKUlT_T0_E_clISt17integral_constantIbLb1EES1D_EEDaS18_S19_EUlS18_E_NS1_11comp_targetILNS1_3genE5ELNS1_11target_archE942ELNS1_3gpuE9ELNS1_3repE0EEENS1_30default_config_static_selectorELNS0_4arch9wavefront6targetE0EEEvT1_.num_vgpr, 0
	.set _ZN7rocprim17ROCPRIM_400000_NS6detail17trampoline_kernelINS0_14default_configENS1_25partition_config_selectorILNS1_17partition_subalgoE5ExNS0_10empty_typeEbEEZZNS1_14partition_implILS5_5ELb0ES3_mN6thrust23THRUST_200600_302600_NS6detail15normal_iteratorINSA_10device_ptrIxEEEEPS6_NSA_18transform_iteratorINSB_9not_fun_tI7is_trueIxEEENSC_INSD_IbEEEENSA_11use_defaultESO_EENS0_5tupleIJSF_S6_EEENSQ_IJSG_SG_EEES6_PlJS6_EEE10hipError_tPvRmT3_T4_T5_T6_T7_T9_mT8_P12ihipStream_tbDpT10_ENKUlT_T0_E_clISt17integral_constantIbLb1EES1D_EEDaS18_S19_EUlS18_E_NS1_11comp_targetILNS1_3genE5ELNS1_11target_archE942ELNS1_3gpuE9ELNS1_3repE0EEENS1_30default_config_static_selectorELNS0_4arch9wavefront6targetE0EEEvT1_.num_agpr, 0
	.set _ZN7rocprim17ROCPRIM_400000_NS6detail17trampoline_kernelINS0_14default_configENS1_25partition_config_selectorILNS1_17partition_subalgoE5ExNS0_10empty_typeEbEEZZNS1_14partition_implILS5_5ELb0ES3_mN6thrust23THRUST_200600_302600_NS6detail15normal_iteratorINSA_10device_ptrIxEEEEPS6_NSA_18transform_iteratorINSB_9not_fun_tI7is_trueIxEEENSC_INSD_IbEEEENSA_11use_defaultESO_EENS0_5tupleIJSF_S6_EEENSQ_IJSG_SG_EEES6_PlJS6_EEE10hipError_tPvRmT3_T4_T5_T6_T7_T9_mT8_P12ihipStream_tbDpT10_ENKUlT_T0_E_clISt17integral_constantIbLb1EES1D_EEDaS18_S19_EUlS18_E_NS1_11comp_targetILNS1_3genE5ELNS1_11target_archE942ELNS1_3gpuE9ELNS1_3repE0EEENS1_30default_config_static_selectorELNS0_4arch9wavefront6targetE0EEEvT1_.numbered_sgpr, 0
	.set _ZN7rocprim17ROCPRIM_400000_NS6detail17trampoline_kernelINS0_14default_configENS1_25partition_config_selectorILNS1_17partition_subalgoE5ExNS0_10empty_typeEbEEZZNS1_14partition_implILS5_5ELb0ES3_mN6thrust23THRUST_200600_302600_NS6detail15normal_iteratorINSA_10device_ptrIxEEEEPS6_NSA_18transform_iteratorINSB_9not_fun_tI7is_trueIxEEENSC_INSD_IbEEEENSA_11use_defaultESO_EENS0_5tupleIJSF_S6_EEENSQ_IJSG_SG_EEES6_PlJS6_EEE10hipError_tPvRmT3_T4_T5_T6_T7_T9_mT8_P12ihipStream_tbDpT10_ENKUlT_T0_E_clISt17integral_constantIbLb1EES1D_EEDaS18_S19_EUlS18_E_NS1_11comp_targetILNS1_3genE5ELNS1_11target_archE942ELNS1_3gpuE9ELNS1_3repE0EEENS1_30default_config_static_selectorELNS0_4arch9wavefront6targetE0EEEvT1_.num_named_barrier, 0
	.set _ZN7rocprim17ROCPRIM_400000_NS6detail17trampoline_kernelINS0_14default_configENS1_25partition_config_selectorILNS1_17partition_subalgoE5ExNS0_10empty_typeEbEEZZNS1_14partition_implILS5_5ELb0ES3_mN6thrust23THRUST_200600_302600_NS6detail15normal_iteratorINSA_10device_ptrIxEEEEPS6_NSA_18transform_iteratorINSB_9not_fun_tI7is_trueIxEEENSC_INSD_IbEEEENSA_11use_defaultESO_EENS0_5tupleIJSF_S6_EEENSQ_IJSG_SG_EEES6_PlJS6_EEE10hipError_tPvRmT3_T4_T5_T6_T7_T9_mT8_P12ihipStream_tbDpT10_ENKUlT_T0_E_clISt17integral_constantIbLb1EES1D_EEDaS18_S19_EUlS18_E_NS1_11comp_targetILNS1_3genE5ELNS1_11target_archE942ELNS1_3gpuE9ELNS1_3repE0EEENS1_30default_config_static_selectorELNS0_4arch9wavefront6targetE0EEEvT1_.private_seg_size, 0
	.set _ZN7rocprim17ROCPRIM_400000_NS6detail17trampoline_kernelINS0_14default_configENS1_25partition_config_selectorILNS1_17partition_subalgoE5ExNS0_10empty_typeEbEEZZNS1_14partition_implILS5_5ELb0ES3_mN6thrust23THRUST_200600_302600_NS6detail15normal_iteratorINSA_10device_ptrIxEEEEPS6_NSA_18transform_iteratorINSB_9not_fun_tI7is_trueIxEEENSC_INSD_IbEEEENSA_11use_defaultESO_EENS0_5tupleIJSF_S6_EEENSQ_IJSG_SG_EEES6_PlJS6_EEE10hipError_tPvRmT3_T4_T5_T6_T7_T9_mT8_P12ihipStream_tbDpT10_ENKUlT_T0_E_clISt17integral_constantIbLb1EES1D_EEDaS18_S19_EUlS18_E_NS1_11comp_targetILNS1_3genE5ELNS1_11target_archE942ELNS1_3gpuE9ELNS1_3repE0EEENS1_30default_config_static_selectorELNS0_4arch9wavefront6targetE0EEEvT1_.uses_vcc, 0
	.set _ZN7rocprim17ROCPRIM_400000_NS6detail17trampoline_kernelINS0_14default_configENS1_25partition_config_selectorILNS1_17partition_subalgoE5ExNS0_10empty_typeEbEEZZNS1_14partition_implILS5_5ELb0ES3_mN6thrust23THRUST_200600_302600_NS6detail15normal_iteratorINSA_10device_ptrIxEEEEPS6_NSA_18transform_iteratorINSB_9not_fun_tI7is_trueIxEEENSC_INSD_IbEEEENSA_11use_defaultESO_EENS0_5tupleIJSF_S6_EEENSQ_IJSG_SG_EEES6_PlJS6_EEE10hipError_tPvRmT3_T4_T5_T6_T7_T9_mT8_P12ihipStream_tbDpT10_ENKUlT_T0_E_clISt17integral_constantIbLb1EES1D_EEDaS18_S19_EUlS18_E_NS1_11comp_targetILNS1_3genE5ELNS1_11target_archE942ELNS1_3gpuE9ELNS1_3repE0EEENS1_30default_config_static_selectorELNS0_4arch9wavefront6targetE0EEEvT1_.uses_flat_scratch, 0
	.set _ZN7rocprim17ROCPRIM_400000_NS6detail17trampoline_kernelINS0_14default_configENS1_25partition_config_selectorILNS1_17partition_subalgoE5ExNS0_10empty_typeEbEEZZNS1_14partition_implILS5_5ELb0ES3_mN6thrust23THRUST_200600_302600_NS6detail15normal_iteratorINSA_10device_ptrIxEEEEPS6_NSA_18transform_iteratorINSB_9not_fun_tI7is_trueIxEEENSC_INSD_IbEEEENSA_11use_defaultESO_EENS0_5tupleIJSF_S6_EEENSQ_IJSG_SG_EEES6_PlJS6_EEE10hipError_tPvRmT3_T4_T5_T6_T7_T9_mT8_P12ihipStream_tbDpT10_ENKUlT_T0_E_clISt17integral_constantIbLb1EES1D_EEDaS18_S19_EUlS18_E_NS1_11comp_targetILNS1_3genE5ELNS1_11target_archE942ELNS1_3gpuE9ELNS1_3repE0EEENS1_30default_config_static_selectorELNS0_4arch9wavefront6targetE0EEEvT1_.has_dyn_sized_stack, 0
	.set _ZN7rocprim17ROCPRIM_400000_NS6detail17trampoline_kernelINS0_14default_configENS1_25partition_config_selectorILNS1_17partition_subalgoE5ExNS0_10empty_typeEbEEZZNS1_14partition_implILS5_5ELb0ES3_mN6thrust23THRUST_200600_302600_NS6detail15normal_iteratorINSA_10device_ptrIxEEEEPS6_NSA_18transform_iteratorINSB_9not_fun_tI7is_trueIxEEENSC_INSD_IbEEEENSA_11use_defaultESO_EENS0_5tupleIJSF_S6_EEENSQ_IJSG_SG_EEES6_PlJS6_EEE10hipError_tPvRmT3_T4_T5_T6_T7_T9_mT8_P12ihipStream_tbDpT10_ENKUlT_T0_E_clISt17integral_constantIbLb1EES1D_EEDaS18_S19_EUlS18_E_NS1_11comp_targetILNS1_3genE5ELNS1_11target_archE942ELNS1_3gpuE9ELNS1_3repE0EEENS1_30default_config_static_selectorELNS0_4arch9wavefront6targetE0EEEvT1_.has_recursion, 0
	.set _ZN7rocprim17ROCPRIM_400000_NS6detail17trampoline_kernelINS0_14default_configENS1_25partition_config_selectorILNS1_17partition_subalgoE5ExNS0_10empty_typeEbEEZZNS1_14partition_implILS5_5ELb0ES3_mN6thrust23THRUST_200600_302600_NS6detail15normal_iteratorINSA_10device_ptrIxEEEEPS6_NSA_18transform_iteratorINSB_9not_fun_tI7is_trueIxEEENSC_INSD_IbEEEENSA_11use_defaultESO_EENS0_5tupleIJSF_S6_EEENSQ_IJSG_SG_EEES6_PlJS6_EEE10hipError_tPvRmT3_T4_T5_T6_T7_T9_mT8_P12ihipStream_tbDpT10_ENKUlT_T0_E_clISt17integral_constantIbLb1EES1D_EEDaS18_S19_EUlS18_E_NS1_11comp_targetILNS1_3genE5ELNS1_11target_archE942ELNS1_3gpuE9ELNS1_3repE0EEENS1_30default_config_static_selectorELNS0_4arch9wavefront6targetE0EEEvT1_.has_indirect_call, 0
	.section	.AMDGPU.csdata,"",@progbits
; Kernel info:
; codeLenInByte = 0
; TotalNumSgprs: 0
; NumVgprs: 0
; ScratchSize: 0
; MemoryBound: 0
; FloatMode: 240
; IeeeMode: 1
; LDSByteSize: 0 bytes/workgroup (compile time only)
; SGPRBlocks: 0
; VGPRBlocks: 0
; NumSGPRsForWavesPerEU: 1
; NumVGPRsForWavesPerEU: 1
; Occupancy: 16
; WaveLimiterHint : 0
; COMPUTE_PGM_RSRC2:SCRATCH_EN: 0
; COMPUTE_PGM_RSRC2:USER_SGPR: 2
; COMPUTE_PGM_RSRC2:TRAP_HANDLER: 0
; COMPUTE_PGM_RSRC2:TGID_X_EN: 1
; COMPUTE_PGM_RSRC2:TGID_Y_EN: 0
; COMPUTE_PGM_RSRC2:TGID_Z_EN: 0
; COMPUTE_PGM_RSRC2:TIDIG_COMP_CNT: 0
	.section	.text._ZN7rocprim17ROCPRIM_400000_NS6detail17trampoline_kernelINS0_14default_configENS1_25partition_config_selectorILNS1_17partition_subalgoE5ExNS0_10empty_typeEbEEZZNS1_14partition_implILS5_5ELb0ES3_mN6thrust23THRUST_200600_302600_NS6detail15normal_iteratorINSA_10device_ptrIxEEEEPS6_NSA_18transform_iteratorINSB_9not_fun_tI7is_trueIxEEENSC_INSD_IbEEEENSA_11use_defaultESO_EENS0_5tupleIJSF_S6_EEENSQ_IJSG_SG_EEES6_PlJS6_EEE10hipError_tPvRmT3_T4_T5_T6_T7_T9_mT8_P12ihipStream_tbDpT10_ENKUlT_T0_E_clISt17integral_constantIbLb1EES1D_EEDaS18_S19_EUlS18_E_NS1_11comp_targetILNS1_3genE4ELNS1_11target_archE910ELNS1_3gpuE8ELNS1_3repE0EEENS1_30default_config_static_selectorELNS0_4arch9wavefront6targetE0EEEvT1_,"axG",@progbits,_ZN7rocprim17ROCPRIM_400000_NS6detail17trampoline_kernelINS0_14default_configENS1_25partition_config_selectorILNS1_17partition_subalgoE5ExNS0_10empty_typeEbEEZZNS1_14partition_implILS5_5ELb0ES3_mN6thrust23THRUST_200600_302600_NS6detail15normal_iteratorINSA_10device_ptrIxEEEEPS6_NSA_18transform_iteratorINSB_9not_fun_tI7is_trueIxEEENSC_INSD_IbEEEENSA_11use_defaultESO_EENS0_5tupleIJSF_S6_EEENSQ_IJSG_SG_EEES6_PlJS6_EEE10hipError_tPvRmT3_T4_T5_T6_T7_T9_mT8_P12ihipStream_tbDpT10_ENKUlT_T0_E_clISt17integral_constantIbLb1EES1D_EEDaS18_S19_EUlS18_E_NS1_11comp_targetILNS1_3genE4ELNS1_11target_archE910ELNS1_3gpuE8ELNS1_3repE0EEENS1_30default_config_static_selectorELNS0_4arch9wavefront6targetE0EEEvT1_,comdat
	.protected	_ZN7rocprim17ROCPRIM_400000_NS6detail17trampoline_kernelINS0_14default_configENS1_25partition_config_selectorILNS1_17partition_subalgoE5ExNS0_10empty_typeEbEEZZNS1_14partition_implILS5_5ELb0ES3_mN6thrust23THRUST_200600_302600_NS6detail15normal_iteratorINSA_10device_ptrIxEEEEPS6_NSA_18transform_iteratorINSB_9not_fun_tI7is_trueIxEEENSC_INSD_IbEEEENSA_11use_defaultESO_EENS0_5tupleIJSF_S6_EEENSQ_IJSG_SG_EEES6_PlJS6_EEE10hipError_tPvRmT3_T4_T5_T6_T7_T9_mT8_P12ihipStream_tbDpT10_ENKUlT_T0_E_clISt17integral_constantIbLb1EES1D_EEDaS18_S19_EUlS18_E_NS1_11comp_targetILNS1_3genE4ELNS1_11target_archE910ELNS1_3gpuE8ELNS1_3repE0EEENS1_30default_config_static_selectorELNS0_4arch9wavefront6targetE0EEEvT1_ ; -- Begin function _ZN7rocprim17ROCPRIM_400000_NS6detail17trampoline_kernelINS0_14default_configENS1_25partition_config_selectorILNS1_17partition_subalgoE5ExNS0_10empty_typeEbEEZZNS1_14partition_implILS5_5ELb0ES3_mN6thrust23THRUST_200600_302600_NS6detail15normal_iteratorINSA_10device_ptrIxEEEEPS6_NSA_18transform_iteratorINSB_9not_fun_tI7is_trueIxEEENSC_INSD_IbEEEENSA_11use_defaultESO_EENS0_5tupleIJSF_S6_EEENSQ_IJSG_SG_EEES6_PlJS6_EEE10hipError_tPvRmT3_T4_T5_T6_T7_T9_mT8_P12ihipStream_tbDpT10_ENKUlT_T0_E_clISt17integral_constantIbLb1EES1D_EEDaS18_S19_EUlS18_E_NS1_11comp_targetILNS1_3genE4ELNS1_11target_archE910ELNS1_3gpuE8ELNS1_3repE0EEENS1_30default_config_static_selectorELNS0_4arch9wavefront6targetE0EEEvT1_
	.globl	_ZN7rocprim17ROCPRIM_400000_NS6detail17trampoline_kernelINS0_14default_configENS1_25partition_config_selectorILNS1_17partition_subalgoE5ExNS0_10empty_typeEbEEZZNS1_14partition_implILS5_5ELb0ES3_mN6thrust23THRUST_200600_302600_NS6detail15normal_iteratorINSA_10device_ptrIxEEEEPS6_NSA_18transform_iteratorINSB_9not_fun_tI7is_trueIxEEENSC_INSD_IbEEEENSA_11use_defaultESO_EENS0_5tupleIJSF_S6_EEENSQ_IJSG_SG_EEES6_PlJS6_EEE10hipError_tPvRmT3_T4_T5_T6_T7_T9_mT8_P12ihipStream_tbDpT10_ENKUlT_T0_E_clISt17integral_constantIbLb1EES1D_EEDaS18_S19_EUlS18_E_NS1_11comp_targetILNS1_3genE4ELNS1_11target_archE910ELNS1_3gpuE8ELNS1_3repE0EEENS1_30default_config_static_selectorELNS0_4arch9wavefront6targetE0EEEvT1_
	.p2align	8
	.type	_ZN7rocprim17ROCPRIM_400000_NS6detail17trampoline_kernelINS0_14default_configENS1_25partition_config_selectorILNS1_17partition_subalgoE5ExNS0_10empty_typeEbEEZZNS1_14partition_implILS5_5ELb0ES3_mN6thrust23THRUST_200600_302600_NS6detail15normal_iteratorINSA_10device_ptrIxEEEEPS6_NSA_18transform_iteratorINSB_9not_fun_tI7is_trueIxEEENSC_INSD_IbEEEENSA_11use_defaultESO_EENS0_5tupleIJSF_S6_EEENSQ_IJSG_SG_EEES6_PlJS6_EEE10hipError_tPvRmT3_T4_T5_T6_T7_T9_mT8_P12ihipStream_tbDpT10_ENKUlT_T0_E_clISt17integral_constantIbLb1EES1D_EEDaS18_S19_EUlS18_E_NS1_11comp_targetILNS1_3genE4ELNS1_11target_archE910ELNS1_3gpuE8ELNS1_3repE0EEENS1_30default_config_static_selectorELNS0_4arch9wavefront6targetE0EEEvT1_,@function
_ZN7rocprim17ROCPRIM_400000_NS6detail17trampoline_kernelINS0_14default_configENS1_25partition_config_selectorILNS1_17partition_subalgoE5ExNS0_10empty_typeEbEEZZNS1_14partition_implILS5_5ELb0ES3_mN6thrust23THRUST_200600_302600_NS6detail15normal_iteratorINSA_10device_ptrIxEEEEPS6_NSA_18transform_iteratorINSB_9not_fun_tI7is_trueIxEEENSC_INSD_IbEEEENSA_11use_defaultESO_EENS0_5tupleIJSF_S6_EEENSQ_IJSG_SG_EEES6_PlJS6_EEE10hipError_tPvRmT3_T4_T5_T6_T7_T9_mT8_P12ihipStream_tbDpT10_ENKUlT_T0_E_clISt17integral_constantIbLb1EES1D_EEDaS18_S19_EUlS18_E_NS1_11comp_targetILNS1_3genE4ELNS1_11target_archE910ELNS1_3gpuE8ELNS1_3repE0EEENS1_30default_config_static_selectorELNS0_4arch9wavefront6targetE0EEEvT1_: ; @_ZN7rocprim17ROCPRIM_400000_NS6detail17trampoline_kernelINS0_14default_configENS1_25partition_config_selectorILNS1_17partition_subalgoE5ExNS0_10empty_typeEbEEZZNS1_14partition_implILS5_5ELb0ES3_mN6thrust23THRUST_200600_302600_NS6detail15normal_iteratorINSA_10device_ptrIxEEEEPS6_NSA_18transform_iteratorINSB_9not_fun_tI7is_trueIxEEENSC_INSD_IbEEEENSA_11use_defaultESO_EENS0_5tupleIJSF_S6_EEENSQ_IJSG_SG_EEES6_PlJS6_EEE10hipError_tPvRmT3_T4_T5_T6_T7_T9_mT8_P12ihipStream_tbDpT10_ENKUlT_T0_E_clISt17integral_constantIbLb1EES1D_EEDaS18_S19_EUlS18_E_NS1_11comp_targetILNS1_3genE4ELNS1_11target_archE910ELNS1_3gpuE8ELNS1_3repE0EEENS1_30default_config_static_selectorELNS0_4arch9wavefront6targetE0EEEvT1_
; %bb.0:
	.section	.rodata,"a",@progbits
	.p2align	6, 0x0
	.amdhsa_kernel _ZN7rocprim17ROCPRIM_400000_NS6detail17trampoline_kernelINS0_14default_configENS1_25partition_config_selectorILNS1_17partition_subalgoE5ExNS0_10empty_typeEbEEZZNS1_14partition_implILS5_5ELb0ES3_mN6thrust23THRUST_200600_302600_NS6detail15normal_iteratorINSA_10device_ptrIxEEEEPS6_NSA_18transform_iteratorINSB_9not_fun_tI7is_trueIxEEENSC_INSD_IbEEEENSA_11use_defaultESO_EENS0_5tupleIJSF_S6_EEENSQ_IJSG_SG_EEES6_PlJS6_EEE10hipError_tPvRmT3_T4_T5_T6_T7_T9_mT8_P12ihipStream_tbDpT10_ENKUlT_T0_E_clISt17integral_constantIbLb1EES1D_EEDaS18_S19_EUlS18_E_NS1_11comp_targetILNS1_3genE4ELNS1_11target_archE910ELNS1_3gpuE8ELNS1_3repE0EEENS1_30default_config_static_selectorELNS0_4arch9wavefront6targetE0EEEvT1_
		.amdhsa_group_segment_fixed_size 0
		.amdhsa_private_segment_fixed_size 0
		.amdhsa_kernarg_size 136
		.amdhsa_user_sgpr_count 2
		.amdhsa_user_sgpr_dispatch_ptr 0
		.amdhsa_user_sgpr_queue_ptr 0
		.amdhsa_user_sgpr_kernarg_segment_ptr 1
		.amdhsa_user_sgpr_dispatch_id 0
		.amdhsa_user_sgpr_private_segment_size 0
		.amdhsa_wavefront_size32 1
		.amdhsa_uses_dynamic_stack 0
		.amdhsa_enable_private_segment 0
		.amdhsa_system_sgpr_workgroup_id_x 1
		.amdhsa_system_sgpr_workgroup_id_y 0
		.amdhsa_system_sgpr_workgroup_id_z 0
		.amdhsa_system_sgpr_workgroup_info 0
		.amdhsa_system_vgpr_workitem_id 0
		.amdhsa_next_free_vgpr 1
		.amdhsa_next_free_sgpr 1
		.amdhsa_reserve_vcc 0
		.amdhsa_float_round_mode_32 0
		.amdhsa_float_round_mode_16_64 0
		.amdhsa_float_denorm_mode_32 3
		.amdhsa_float_denorm_mode_16_64 3
		.amdhsa_fp16_overflow 0
		.amdhsa_workgroup_processor_mode 1
		.amdhsa_memory_ordered 1
		.amdhsa_forward_progress 1
		.amdhsa_inst_pref_size 0
		.amdhsa_round_robin_scheduling 0
		.amdhsa_exception_fp_ieee_invalid_op 0
		.amdhsa_exception_fp_denorm_src 0
		.amdhsa_exception_fp_ieee_div_zero 0
		.amdhsa_exception_fp_ieee_overflow 0
		.amdhsa_exception_fp_ieee_underflow 0
		.amdhsa_exception_fp_ieee_inexact 0
		.amdhsa_exception_int_div_zero 0
	.end_amdhsa_kernel
	.section	.text._ZN7rocprim17ROCPRIM_400000_NS6detail17trampoline_kernelINS0_14default_configENS1_25partition_config_selectorILNS1_17partition_subalgoE5ExNS0_10empty_typeEbEEZZNS1_14partition_implILS5_5ELb0ES3_mN6thrust23THRUST_200600_302600_NS6detail15normal_iteratorINSA_10device_ptrIxEEEEPS6_NSA_18transform_iteratorINSB_9not_fun_tI7is_trueIxEEENSC_INSD_IbEEEENSA_11use_defaultESO_EENS0_5tupleIJSF_S6_EEENSQ_IJSG_SG_EEES6_PlJS6_EEE10hipError_tPvRmT3_T4_T5_T6_T7_T9_mT8_P12ihipStream_tbDpT10_ENKUlT_T0_E_clISt17integral_constantIbLb1EES1D_EEDaS18_S19_EUlS18_E_NS1_11comp_targetILNS1_3genE4ELNS1_11target_archE910ELNS1_3gpuE8ELNS1_3repE0EEENS1_30default_config_static_selectorELNS0_4arch9wavefront6targetE0EEEvT1_,"axG",@progbits,_ZN7rocprim17ROCPRIM_400000_NS6detail17trampoline_kernelINS0_14default_configENS1_25partition_config_selectorILNS1_17partition_subalgoE5ExNS0_10empty_typeEbEEZZNS1_14partition_implILS5_5ELb0ES3_mN6thrust23THRUST_200600_302600_NS6detail15normal_iteratorINSA_10device_ptrIxEEEEPS6_NSA_18transform_iteratorINSB_9not_fun_tI7is_trueIxEEENSC_INSD_IbEEEENSA_11use_defaultESO_EENS0_5tupleIJSF_S6_EEENSQ_IJSG_SG_EEES6_PlJS6_EEE10hipError_tPvRmT3_T4_T5_T6_T7_T9_mT8_P12ihipStream_tbDpT10_ENKUlT_T0_E_clISt17integral_constantIbLb1EES1D_EEDaS18_S19_EUlS18_E_NS1_11comp_targetILNS1_3genE4ELNS1_11target_archE910ELNS1_3gpuE8ELNS1_3repE0EEENS1_30default_config_static_selectorELNS0_4arch9wavefront6targetE0EEEvT1_,comdat
.Lfunc_end2503:
	.size	_ZN7rocprim17ROCPRIM_400000_NS6detail17trampoline_kernelINS0_14default_configENS1_25partition_config_selectorILNS1_17partition_subalgoE5ExNS0_10empty_typeEbEEZZNS1_14partition_implILS5_5ELb0ES3_mN6thrust23THRUST_200600_302600_NS6detail15normal_iteratorINSA_10device_ptrIxEEEEPS6_NSA_18transform_iteratorINSB_9not_fun_tI7is_trueIxEEENSC_INSD_IbEEEENSA_11use_defaultESO_EENS0_5tupleIJSF_S6_EEENSQ_IJSG_SG_EEES6_PlJS6_EEE10hipError_tPvRmT3_T4_T5_T6_T7_T9_mT8_P12ihipStream_tbDpT10_ENKUlT_T0_E_clISt17integral_constantIbLb1EES1D_EEDaS18_S19_EUlS18_E_NS1_11comp_targetILNS1_3genE4ELNS1_11target_archE910ELNS1_3gpuE8ELNS1_3repE0EEENS1_30default_config_static_selectorELNS0_4arch9wavefront6targetE0EEEvT1_, .Lfunc_end2503-_ZN7rocprim17ROCPRIM_400000_NS6detail17trampoline_kernelINS0_14default_configENS1_25partition_config_selectorILNS1_17partition_subalgoE5ExNS0_10empty_typeEbEEZZNS1_14partition_implILS5_5ELb0ES3_mN6thrust23THRUST_200600_302600_NS6detail15normal_iteratorINSA_10device_ptrIxEEEEPS6_NSA_18transform_iteratorINSB_9not_fun_tI7is_trueIxEEENSC_INSD_IbEEEENSA_11use_defaultESO_EENS0_5tupleIJSF_S6_EEENSQ_IJSG_SG_EEES6_PlJS6_EEE10hipError_tPvRmT3_T4_T5_T6_T7_T9_mT8_P12ihipStream_tbDpT10_ENKUlT_T0_E_clISt17integral_constantIbLb1EES1D_EEDaS18_S19_EUlS18_E_NS1_11comp_targetILNS1_3genE4ELNS1_11target_archE910ELNS1_3gpuE8ELNS1_3repE0EEENS1_30default_config_static_selectorELNS0_4arch9wavefront6targetE0EEEvT1_
                                        ; -- End function
	.set _ZN7rocprim17ROCPRIM_400000_NS6detail17trampoline_kernelINS0_14default_configENS1_25partition_config_selectorILNS1_17partition_subalgoE5ExNS0_10empty_typeEbEEZZNS1_14partition_implILS5_5ELb0ES3_mN6thrust23THRUST_200600_302600_NS6detail15normal_iteratorINSA_10device_ptrIxEEEEPS6_NSA_18transform_iteratorINSB_9not_fun_tI7is_trueIxEEENSC_INSD_IbEEEENSA_11use_defaultESO_EENS0_5tupleIJSF_S6_EEENSQ_IJSG_SG_EEES6_PlJS6_EEE10hipError_tPvRmT3_T4_T5_T6_T7_T9_mT8_P12ihipStream_tbDpT10_ENKUlT_T0_E_clISt17integral_constantIbLb1EES1D_EEDaS18_S19_EUlS18_E_NS1_11comp_targetILNS1_3genE4ELNS1_11target_archE910ELNS1_3gpuE8ELNS1_3repE0EEENS1_30default_config_static_selectorELNS0_4arch9wavefront6targetE0EEEvT1_.num_vgpr, 0
	.set _ZN7rocprim17ROCPRIM_400000_NS6detail17trampoline_kernelINS0_14default_configENS1_25partition_config_selectorILNS1_17partition_subalgoE5ExNS0_10empty_typeEbEEZZNS1_14partition_implILS5_5ELb0ES3_mN6thrust23THRUST_200600_302600_NS6detail15normal_iteratorINSA_10device_ptrIxEEEEPS6_NSA_18transform_iteratorINSB_9not_fun_tI7is_trueIxEEENSC_INSD_IbEEEENSA_11use_defaultESO_EENS0_5tupleIJSF_S6_EEENSQ_IJSG_SG_EEES6_PlJS6_EEE10hipError_tPvRmT3_T4_T5_T6_T7_T9_mT8_P12ihipStream_tbDpT10_ENKUlT_T0_E_clISt17integral_constantIbLb1EES1D_EEDaS18_S19_EUlS18_E_NS1_11comp_targetILNS1_3genE4ELNS1_11target_archE910ELNS1_3gpuE8ELNS1_3repE0EEENS1_30default_config_static_selectorELNS0_4arch9wavefront6targetE0EEEvT1_.num_agpr, 0
	.set _ZN7rocprim17ROCPRIM_400000_NS6detail17trampoline_kernelINS0_14default_configENS1_25partition_config_selectorILNS1_17partition_subalgoE5ExNS0_10empty_typeEbEEZZNS1_14partition_implILS5_5ELb0ES3_mN6thrust23THRUST_200600_302600_NS6detail15normal_iteratorINSA_10device_ptrIxEEEEPS6_NSA_18transform_iteratorINSB_9not_fun_tI7is_trueIxEEENSC_INSD_IbEEEENSA_11use_defaultESO_EENS0_5tupleIJSF_S6_EEENSQ_IJSG_SG_EEES6_PlJS6_EEE10hipError_tPvRmT3_T4_T5_T6_T7_T9_mT8_P12ihipStream_tbDpT10_ENKUlT_T0_E_clISt17integral_constantIbLb1EES1D_EEDaS18_S19_EUlS18_E_NS1_11comp_targetILNS1_3genE4ELNS1_11target_archE910ELNS1_3gpuE8ELNS1_3repE0EEENS1_30default_config_static_selectorELNS0_4arch9wavefront6targetE0EEEvT1_.numbered_sgpr, 0
	.set _ZN7rocprim17ROCPRIM_400000_NS6detail17trampoline_kernelINS0_14default_configENS1_25partition_config_selectorILNS1_17partition_subalgoE5ExNS0_10empty_typeEbEEZZNS1_14partition_implILS5_5ELb0ES3_mN6thrust23THRUST_200600_302600_NS6detail15normal_iteratorINSA_10device_ptrIxEEEEPS6_NSA_18transform_iteratorINSB_9not_fun_tI7is_trueIxEEENSC_INSD_IbEEEENSA_11use_defaultESO_EENS0_5tupleIJSF_S6_EEENSQ_IJSG_SG_EEES6_PlJS6_EEE10hipError_tPvRmT3_T4_T5_T6_T7_T9_mT8_P12ihipStream_tbDpT10_ENKUlT_T0_E_clISt17integral_constantIbLb1EES1D_EEDaS18_S19_EUlS18_E_NS1_11comp_targetILNS1_3genE4ELNS1_11target_archE910ELNS1_3gpuE8ELNS1_3repE0EEENS1_30default_config_static_selectorELNS0_4arch9wavefront6targetE0EEEvT1_.num_named_barrier, 0
	.set _ZN7rocprim17ROCPRIM_400000_NS6detail17trampoline_kernelINS0_14default_configENS1_25partition_config_selectorILNS1_17partition_subalgoE5ExNS0_10empty_typeEbEEZZNS1_14partition_implILS5_5ELb0ES3_mN6thrust23THRUST_200600_302600_NS6detail15normal_iteratorINSA_10device_ptrIxEEEEPS6_NSA_18transform_iteratorINSB_9not_fun_tI7is_trueIxEEENSC_INSD_IbEEEENSA_11use_defaultESO_EENS0_5tupleIJSF_S6_EEENSQ_IJSG_SG_EEES6_PlJS6_EEE10hipError_tPvRmT3_T4_T5_T6_T7_T9_mT8_P12ihipStream_tbDpT10_ENKUlT_T0_E_clISt17integral_constantIbLb1EES1D_EEDaS18_S19_EUlS18_E_NS1_11comp_targetILNS1_3genE4ELNS1_11target_archE910ELNS1_3gpuE8ELNS1_3repE0EEENS1_30default_config_static_selectorELNS0_4arch9wavefront6targetE0EEEvT1_.private_seg_size, 0
	.set _ZN7rocprim17ROCPRIM_400000_NS6detail17trampoline_kernelINS0_14default_configENS1_25partition_config_selectorILNS1_17partition_subalgoE5ExNS0_10empty_typeEbEEZZNS1_14partition_implILS5_5ELb0ES3_mN6thrust23THRUST_200600_302600_NS6detail15normal_iteratorINSA_10device_ptrIxEEEEPS6_NSA_18transform_iteratorINSB_9not_fun_tI7is_trueIxEEENSC_INSD_IbEEEENSA_11use_defaultESO_EENS0_5tupleIJSF_S6_EEENSQ_IJSG_SG_EEES6_PlJS6_EEE10hipError_tPvRmT3_T4_T5_T6_T7_T9_mT8_P12ihipStream_tbDpT10_ENKUlT_T0_E_clISt17integral_constantIbLb1EES1D_EEDaS18_S19_EUlS18_E_NS1_11comp_targetILNS1_3genE4ELNS1_11target_archE910ELNS1_3gpuE8ELNS1_3repE0EEENS1_30default_config_static_selectorELNS0_4arch9wavefront6targetE0EEEvT1_.uses_vcc, 0
	.set _ZN7rocprim17ROCPRIM_400000_NS6detail17trampoline_kernelINS0_14default_configENS1_25partition_config_selectorILNS1_17partition_subalgoE5ExNS0_10empty_typeEbEEZZNS1_14partition_implILS5_5ELb0ES3_mN6thrust23THRUST_200600_302600_NS6detail15normal_iteratorINSA_10device_ptrIxEEEEPS6_NSA_18transform_iteratorINSB_9not_fun_tI7is_trueIxEEENSC_INSD_IbEEEENSA_11use_defaultESO_EENS0_5tupleIJSF_S6_EEENSQ_IJSG_SG_EEES6_PlJS6_EEE10hipError_tPvRmT3_T4_T5_T6_T7_T9_mT8_P12ihipStream_tbDpT10_ENKUlT_T0_E_clISt17integral_constantIbLb1EES1D_EEDaS18_S19_EUlS18_E_NS1_11comp_targetILNS1_3genE4ELNS1_11target_archE910ELNS1_3gpuE8ELNS1_3repE0EEENS1_30default_config_static_selectorELNS0_4arch9wavefront6targetE0EEEvT1_.uses_flat_scratch, 0
	.set _ZN7rocprim17ROCPRIM_400000_NS6detail17trampoline_kernelINS0_14default_configENS1_25partition_config_selectorILNS1_17partition_subalgoE5ExNS0_10empty_typeEbEEZZNS1_14partition_implILS5_5ELb0ES3_mN6thrust23THRUST_200600_302600_NS6detail15normal_iteratorINSA_10device_ptrIxEEEEPS6_NSA_18transform_iteratorINSB_9not_fun_tI7is_trueIxEEENSC_INSD_IbEEEENSA_11use_defaultESO_EENS0_5tupleIJSF_S6_EEENSQ_IJSG_SG_EEES6_PlJS6_EEE10hipError_tPvRmT3_T4_T5_T6_T7_T9_mT8_P12ihipStream_tbDpT10_ENKUlT_T0_E_clISt17integral_constantIbLb1EES1D_EEDaS18_S19_EUlS18_E_NS1_11comp_targetILNS1_3genE4ELNS1_11target_archE910ELNS1_3gpuE8ELNS1_3repE0EEENS1_30default_config_static_selectorELNS0_4arch9wavefront6targetE0EEEvT1_.has_dyn_sized_stack, 0
	.set _ZN7rocprim17ROCPRIM_400000_NS6detail17trampoline_kernelINS0_14default_configENS1_25partition_config_selectorILNS1_17partition_subalgoE5ExNS0_10empty_typeEbEEZZNS1_14partition_implILS5_5ELb0ES3_mN6thrust23THRUST_200600_302600_NS6detail15normal_iteratorINSA_10device_ptrIxEEEEPS6_NSA_18transform_iteratorINSB_9not_fun_tI7is_trueIxEEENSC_INSD_IbEEEENSA_11use_defaultESO_EENS0_5tupleIJSF_S6_EEENSQ_IJSG_SG_EEES6_PlJS6_EEE10hipError_tPvRmT3_T4_T5_T6_T7_T9_mT8_P12ihipStream_tbDpT10_ENKUlT_T0_E_clISt17integral_constantIbLb1EES1D_EEDaS18_S19_EUlS18_E_NS1_11comp_targetILNS1_3genE4ELNS1_11target_archE910ELNS1_3gpuE8ELNS1_3repE0EEENS1_30default_config_static_selectorELNS0_4arch9wavefront6targetE0EEEvT1_.has_recursion, 0
	.set _ZN7rocprim17ROCPRIM_400000_NS6detail17trampoline_kernelINS0_14default_configENS1_25partition_config_selectorILNS1_17partition_subalgoE5ExNS0_10empty_typeEbEEZZNS1_14partition_implILS5_5ELb0ES3_mN6thrust23THRUST_200600_302600_NS6detail15normal_iteratorINSA_10device_ptrIxEEEEPS6_NSA_18transform_iteratorINSB_9not_fun_tI7is_trueIxEEENSC_INSD_IbEEEENSA_11use_defaultESO_EENS0_5tupleIJSF_S6_EEENSQ_IJSG_SG_EEES6_PlJS6_EEE10hipError_tPvRmT3_T4_T5_T6_T7_T9_mT8_P12ihipStream_tbDpT10_ENKUlT_T0_E_clISt17integral_constantIbLb1EES1D_EEDaS18_S19_EUlS18_E_NS1_11comp_targetILNS1_3genE4ELNS1_11target_archE910ELNS1_3gpuE8ELNS1_3repE0EEENS1_30default_config_static_selectorELNS0_4arch9wavefront6targetE0EEEvT1_.has_indirect_call, 0
	.section	.AMDGPU.csdata,"",@progbits
; Kernel info:
; codeLenInByte = 0
; TotalNumSgprs: 0
; NumVgprs: 0
; ScratchSize: 0
; MemoryBound: 0
; FloatMode: 240
; IeeeMode: 1
; LDSByteSize: 0 bytes/workgroup (compile time only)
; SGPRBlocks: 0
; VGPRBlocks: 0
; NumSGPRsForWavesPerEU: 1
; NumVGPRsForWavesPerEU: 1
; Occupancy: 16
; WaveLimiterHint : 0
; COMPUTE_PGM_RSRC2:SCRATCH_EN: 0
; COMPUTE_PGM_RSRC2:USER_SGPR: 2
; COMPUTE_PGM_RSRC2:TRAP_HANDLER: 0
; COMPUTE_PGM_RSRC2:TGID_X_EN: 1
; COMPUTE_PGM_RSRC2:TGID_Y_EN: 0
; COMPUTE_PGM_RSRC2:TGID_Z_EN: 0
; COMPUTE_PGM_RSRC2:TIDIG_COMP_CNT: 0
	.section	.text._ZN7rocprim17ROCPRIM_400000_NS6detail17trampoline_kernelINS0_14default_configENS1_25partition_config_selectorILNS1_17partition_subalgoE5ExNS0_10empty_typeEbEEZZNS1_14partition_implILS5_5ELb0ES3_mN6thrust23THRUST_200600_302600_NS6detail15normal_iteratorINSA_10device_ptrIxEEEEPS6_NSA_18transform_iteratorINSB_9not_fun_tI7is_trueIxEEENSC_INSD_IbEEEENSA_11use_defaultESO_EENS0_5tupleIJSF_S6_EEENSQ_IJSG_SG_EEES6_PlJS6_EEE10hipError_tPvRmT3_T4_T5_T6_T7_T9_mT8_P12ihipStream_tbDpT10_ENKUlT_T0_E_clISt17integral_constantIbLb1EES1D_EEDaS18_S19_EUlS18_E_NS1_11comp_targetILNS1_3genE3ELNS1_11target_archE908ELNS1_3gpuE7ELNS1_3repE0EEENS1_30default_config_static_selectorELNS0_4arch9wavefront6targetE0EEEvT1_,"axG",@progbits,_ZN7rocprim17ROCPRIM_400000_NS6detail17trampoline_kernelINS0_14default_configENS1_25partition_config_selectorILNS1_17partition_subalgoE5ExNS0_10empty_typeEbEEZZNS1_14partition_implILS5_5ELb0ES3_mN6thrust23THRUST_200600_302600_NS6detail15normal_iteratorINSA_10device_ptrIxEEEEPS6_NSA_18transform_iteratorINSB_9not_fun_tI7is_trueIxEEENSC_INSD_IbEEEENSA_11use_defaultESO_EENS0_5tupleIJSF_S6_EEENSQ_IJSG_SG_EEES6_PlJS6_EEE10hipError_tPvRmT3_T4_T5_T6_T7_T9_mT8_P12ihipStream_tbDpT10_ENKUlT_T0_E_clISt17integral_constantIbLb1EES1D_EEDaS18_S19_EUlS18_E_NS1_11comp_targetILNS1_3genE3ELNS1_11target_archE908ELNS1_3gpuE7ELNS1_3repE0EEENS1_30default_config_static_selectorELNS0_4arch9wavefront6targetE0EEEvT1_,comdat
	.protected	_ZN7rocprim17ROCPRIM_400000_NS6detail17trampoline_kernelINS0_14default_configENS1_25partition_config_selectorILNS1_17partition_subalgoE5ExNS0_10empty_typeEbEEZZNS1_14partition_implILS5_5ELb0ES3_mN6thrust23THRUST_200600_302600_NS6detail15normal_iteratorINSA_10device_ptrIxEEEEPS6_NSA_18transform_iteratorINSB_9not_fun_tI7is_trueIxEEENSC_INSD_IbEEEENSA_11use_defaultESO_EENS0_5tupleIJSF_S6_EEENSQ_IJSG_SG_EEES6_PlJS6_EEE10hipError_tPvRmT3_T4_T5_T6_T7_T9_mT8_P12ihipStream_tbDpT10_ENKUlT_T0_E_clISt17integral_constantIbLb1EES1D_EEDaS18_S19_EUlS18_E_NS1_11comp_targetILNS1_3genE3ELNS1_11target_archE908ELNS1_3gpuE7ELNS1_3repE0EEENS1_30default_config_static_selectorELNS0_4arch9wavefront6targetE0EEEvT1_ ; -- Begin function _ZN7rocprim17ROCPRIM_400000_NS6detail17trampoline_kernelINS0_14default_configENS1_25partition_config_selectorILNS1_17partition_subalgoE5ExNS0_10empty_typeEbEEZZNS1_14partition_implILS5_5ELb0ES3_mN6thrust23THRUST_200600_302600_NS6detail15normal_iteratorINSA_10device_ptrIxEEEEPS6_NSA_18transform_iteratorINSB_9not_fun_tI7is_trueIxEEENSC_INSD_IbEEEENSA_11use_defaultESO_EENS0_5tupleIJSF_S6_EEENSQ_IJSG_SG_EEES6_PlJS6_EEE10hipError_tPvRmT3_T4_T5_T6_T7_T9_mT8_P12ihipStream_tbDpT10_ENKUlT_T0_E_clISt17integral_constantIbLb1EES1D_EEDaS18_S19_EUlS18_E_NS1_11comp_targetILNS1_3genE3ELNS1_11target_archE908ELNS1_3gpuE7ELNS1_3repE0EEENS1_30default_config_static_selectorELNS0_4arch9wavefront6targetE0EEEvT1_
	.globl	_ZN7rocprim17ROCPRIM_400000_NS6detail17trampoline_kernelINS0_14default_configENS1_25partition_config_selectorILNS1_17partition_subalgoE5ExNS0_10empty_typeEbEEZZNS1_14partition_implILS5_5ELb0ES3_mN6thrust23THRUST_200600_302600_NS6detail15normal_iteratorINSA_10device_ptrIxEEEEPS6_NSA_18transform_iteratorINSB_9not_fun_tI7is_trueIxEEENSC_INSD_IbEEEENSA_11use_defaultESO_EENS0_5tupleIJSF_S6_EEENSQ_IJSG_SG_EEES6_PlJS6_EEE10hipError_tPvRmT3_T4_T5_T6_T7_T9_mT8_P12ihipStream_tbDpT10_ENKUlT_T0_E_clISt17integral_constantIbLb1EES1D_EEDaS18_S19_EUlS18_E_NS1_11comp_targetILNS1_3genE3ELNS1_11target_archE908ELNS1_3gpuE7ELNS1_3repE0EEENS1_30default_config_static_selectorELNS0_4arch9wavefront6targetE0EEEvT1_
	.p2align	8
	.type	_ZN7rocprim17ROCPRIM_400000_NS6detail17trampoline_kernelINS0_14default_configENS1_25partition_config_selectorILNS1_17partition_subalgoE5ExNS0_10empty_typeEbEEZZNS1_14partition_implILS5_5ELb0ES3_mN6thrust23THRUST_200600_302600_NS6detail15normal_iteratorINSA_10device_ptrIxEEEEPS6_NSA_18transform_iteratorINSB_9not_fun_tI7is_trueIxEEENSC_INSD_IbEEEENSA_11use_defaultESO_EENS0_5tupleIJSF_S6_EEENSQ_IJSG_SG_EEES6_PlJS6_EEE10hipError_tPvRmT3_T4_T5_T6_T7_T9_mT8_P12ihipStream_tbDpT10_ENKUlT_T0_E_clISt17integral_constantIbLb1EES1D_EEDaS18_S19_EUlS18_E_NS1_11comp_targetILNS1_3genE3ELNS1_11target_archE908ELNS1_3gpuE7ELNS1_3repE0EEENS1_30default_config_static_selectorELNS0_4arch9wavefront6targetE0EEEvT1_,@function
_ZN7rocprim17ROCPRIM_400000_NS6detail17trampoline_kernelINS0_14default_configENS1_25partition_config_selectorILNS1_17partition_subalgoE5ExNS0_10empty_typeEbEEZZNS1_14partition_implILS5_5ELb0ES3_mN6thrust23THRUST_200600_302600_NS6detail15normal_iteratorINSA_10device_ptrIxEEEEPS6_NSA_18transform_iteratorINSB_9not_fun_tI7is_trueIxEEENSC_INSD_IbEEEENSA_11use_defaultESO_EENS0_5tupleIJSF_S6_EEENSQ_IJSG_SG_EEES6_PlJS6_EEE10hipError_tPvRmT3_T4_T5_T6_T7_T9_mT8_P12ihipStream_tbDpT10_ENKUlT_T0_E_clISt17integral_constantIbLb1EES1D_EEDaS18_S19_EUlS18_E_NS1_11comp_targetILNS1_3genE3ELNS1_11target_archE908ELNS1_3gpuE7ELNS1_3repE0EEENS1_30default_config_static_selectorELNS0_4arch9wavefront6targetE0EEEvT1_: ; @_ZN7rocprim17ROCPRIM_400000_NS6detail17trampoline_kernelINS0_14default_configENS1_25partition_config_selectorILNS1_17partition_subalgoE5ExNS0_10empty_typeEbEEZZNS1_14partition_implILS5_5ELb0ES3_mN6thrust23THRUST_200600_302600_NS6detail15normal_iteratorINSA_10device_ptrIxEEEEPS6_NSA_18transform_iteratorINSB_9not_fun_tI7is_trueIxEEENSC_INSD_IbEEEENSA_11use_defaultESO_EENS0_5tupleIJSF_S6_EEENSQ_IJSG_SG_EEES6_PlJS6_EEE10hipError_tPvRmT3_T4_T5_T6_T7_T9_mT8_P12ihipStream_tbDpT10_ENKUlT_T0_E_clISt17integral_constantIbLb1EES1D_EEDaS18_S19_EUlS18_E_NS1_11comp_targetILNS1_3genE3ELNS1_11target_archE908ELNS1_3gpuE7ELNS1_3repE0EEENS1_30default_config_static_selectorELNS0_4arch9wavefront6targetE0EEEvT1_
; %bb.0:
	.section	.rodata,"a",@progbits
	.p2align	6, 0x0
	.amdhsa_kernel _ZN7rocprim17ROCPRIM_400000_NS6detail17trampoline_kernelINS0_14default_configENS1_25partition_config_selectorILNS1_17partition_subalgoE5ExNS0_10empty_typeEbEEZZNS1_14partition_implILS5_5ELb0ES3_mN6thrust23THRUST_200600_302600_NS6detail15normal_iteratorINSA_10device_ptrIxEEEEPS6_NSA_18transform_iteratorINSB_9not_fun_tI7is_trueIxEEENSC_INSD_IbEEEENSA_11use_defaultESO_EENS0_5tupleIJSF_S6_EEENSQ_IJSG_SG_EEES6_PlJS6_EEE10hipError_tPvRmT3_T4_T5_T6_T7_T9_mT8_P12ihipStream_tbDpT10_ENKUlT_T0_E_clISt17integral_constantIbLb1EES1D_EEDaS18_S19_EUlS18_E_NS1_11comp_targetILNS1_3genE3ELNS1_11target_archE908ELNS1_3gpuE7ELNS1_3repE0EEENS1_30default_config_static_selectorELNS0_4arch9wavefront6targetE0EEEvT1_
		.amdhsa_group_segment_fixed_size 0
		.amdhsa_private_segment_fixed_size 0
		.amdhsa_kernarg_size 136
		.amdhsa_user_sgpr_count 2
		.amdhsa_user_sgpr_dispatch_ptr 0
		.amdhsa_user_sgpr_queue_ptr 0
		.amdhsa_user_sgpr_kernarg_segment_ptr 1
		.amdhsa_user_sgpr_dispatch_id 0
		.amdhsa_user_sgpr_private_segment_size 0
		.amdhsa_wavefront_size32 1
		.amdhsa_uses_dynamic_stack 0
		.amdhsa_enable_private_segment 0
		.amdhsa_system_sgpr_workgroup_id_x 1
		.amdhsa_system_sgpr_workgroup_id_y 0
		.amdhsa_system_sgpr_workgroup_id_z 0
		.amdhsa_system_sgpr_workgroup_info 0
		.amdhsa_system_vgpr_workitem_id 0
		.amdhsa_next_free_vgpr 1
		.amdhsa_next_free_sgpr 1
		.amdhsa_reserve_vcc 0
		.amdhsa_float_round_mode_32 0
		.amdhsa_float_round_mode_16_64 0
		.amdhsa_float_denorm_mode_32 3
		.amdhsa_float_denorm_mode_16_64 3
		.amdhsa_fp16_overflow 0
		.amdhsa_workgroup_processor_mode 1
		.amdhsa_memory_ordered 1
		.amdhsa_forward_progress 1
		.amdhsa_inst_pref_size 0
		.amdhsa_round_robin_scheduling 0
		.amdhsa_exception_fp_ieee_invalid_op 0
		.amdhsa_exception_fp_denorm_src 0
		.amdhsa_exception_fp_ieee_div_zero 0
		.amdhsa_exception_fp_ieee_overflow 0
		.amdhsa_exception_fp_ieee_underflow 0
		.amdhsa_exception_fp_ieee_inexact 0
		.amdhsa_exception_int_div_zero 0
	.end_amdhsa_kernel
	.section	.text._ZN7rocprim17ROCPRIM_400000_NS6detail17trampoline_kernelINS0_14default_configENS1_25partition_config_selectorILNS1_17partition_subalgoE5ExNS0_10empty_typeEbEEZZNS1_14partition_implILS5_5ELb0ES3_mN6thrust23THRUST_200600_302600_NS6detail15normal_iteratorINSA_10device_ptrIxEEEEPS6_NSA_18transform_iteratorINSB_9not_fun_tI7is_trueIxEEENSC_INSD_IbEEEENSA_11use_defaultESO_EENS0_5tupleIJSF_S6_EEENSQ_IJSG_SG_EEES6_PlJS6_EEE10hipError_tPvRmT3_T4_T5_T6_T7_T9_mT8_P12ihipStream_tbDpT10_ENKUlT_T0_E_clISt17integral_constantIbLb1EES1D_EEDaS18_S19_EUlS18_E_NS1_11comp_targetILNS1_3genE3ELNS1_11target_archE908ELNS1_3gpuE7ELNS1_3repE0EEENS1_30default_config_static_selectorELNS0_4arch9wavefront6targetE0EEEvT1_,"axG",@progbits,_ZN7rocprim17ROCPRIM_400000_NS6detail17trampoline_kernelINS0_14default_configENS1_25partition_config_selectorILNS1_17partition_subalgoE5ExNS0_10empty_typeEbEEZZNS1_14partition_implILS5_5ELb0ES3_mN6thrust23THRUST_200600_302600_NS6detail15normal_iteratorINSA_10device_ptrIxEEEEPS6_NSA_18transform_iteratorINSB_9not_fun_tI7is_trueIxEEENSC_INSD_IbEEEENSA_11use_defaultESO_EENS0_5tupleIJSF_S6_EEENSQ_IJSG_SG_EEES6_PlJS6_EEE10hipError_tPvRmT3_T4_T5_T6_T7_T9_mT8_P12ihipStream_tbDpT10_ENKUlT_T0_E_clISt17integral_constantIbLb1EES1D_EEDaS18_S19_EUlS18_E_NS1_11comp_targetILNS1_3genE3ELNS1_11target_archE908ELNS1_3gpuE7ELNS1_3repE0EEENS1_30default_config_static_selectorELNS0_4arch9wavefront6targetE0EEEvT1_,comdat
.Lfunc_end2504:
	.size	_ZN7rocprim17ROCPRIM_400000_NS6detail17trampoline_kernelINS0_14default_configENS1_25partition_config_selectorILNS1_17partition_subalgoE5ExNS0_10empty_typeEbEEZZNS1_14partition_implILS5_5ELb0ES3_mN6thrust23THRUST_200600_302600_NS6detail15normal_iteratorINSA_10device_ptrIxEEEEPS6_NSA_18transform_iteratorINSB_9not_fun_tI7is_trueIxEEENSC_INSD_IbEEEENSA_11use_defaultESO_EENS0_5tupleIJSF_S6_EEENSQ_IJSG_SG_EEES6_PlJS6_EEE10hipError_tPvRmT3_T4_T5_T6_T7_T9_mT8_P12ihipStream_tbDpT10_ENKUlT_T0_E_clISt17integral_constantIbLb1EES1D_EEDaS18_S19_EUlS18_E_NS1_11comp_targetILNS1_3genE3ELNS1_11target_archE908ELNS1_3gpuE7ELNS1_3repE0EEENS1_30default_config_static_selectorELNS0_4arch9wavefront6targetE0EEEvT1_, .Lfunc_end2504-_ZN7rocprim17ROCPRIM_400000_NS6detail17trampoline_kernelINS0_14default_configENS1_25partition_config_selectorILNS1_17partition_subalgoE5ExNS0_10empty_typeEbEEZZNS1_14partition_implILS5_5ELb0ES3_mN6thrust23THRUST_200600_302600_NS6detail15normal_iteratorINSA_10device_ptrIxEEEEPS6_NSA_18transform_iteratorINSB_9not_fun_tI7is_trueIxEEENSC_INSD_IbEEEENSA_11use_defaultESO_EENS0_5tupleIJSF_S6_EEENSQ_IJSG_SG_EEES6_PlJS6_EEE10hipError_tPvRmT3_T4_T5_T6_T7_T9_mT8_P12ihipStream_tbDpT10_ENKUlT_T0_E_clISt17integral_constantIbLb1EES1D_EEDaS18_S19_EUlS18_E_NS1_11comp_targetILNS1_3genE3ELNS1_11target_archE908ELNS1_3gpuE7ELNS1_3repE0EEENS1_30default_config_static_selectorELNS0_4arch9wavefront6targetE0EEEvT1_
                                        ; -- End function
	.set _ZN7rocprim17ROCPRIM_400000_NS6detail17trampoline_kernelINS0_14default_configENS1_25partition_config_selectorILNS1_17partition_subalgoE5ExNS0_10empty_typeEbEEZZNS1_14partition_implILS5_5ELb0ES3_mN6thrust23THRUST_200600_302600_NS6detail15normal_iteratorINSA_10device_ptrIxEEEEPS6_NSA_18transform_iteratorINSB_9not_fun_tI7is_trueIxEEENSC_INSD_IbEEEENSA_11use_defaultESO_EENS0_5tupleIJSF_S6_EEENSQ_IJSG_SG_EEES6_PlJS6_EEE10hipError_tPvRmT3_T4_T5_T6_T7_T9_mT8_P12ihipStream_tbDpT10_ENKUlT_T0_E_clISt17integral_constantIbLb1EES1D_EEDaS18_S19_EUlS18_E_NS1_11comp_targetILNS1_3genE3ELNS1_11target_archE908ELNS1_3gpuE7ELNS1_3repE0EEENS1_30default_config_static_selectorELNS0_4arch9wavefront6targetE0EEEvT1_.num_vgpr, 0
	.set _ZN7rocprim17ROCPRIM_400000_NS6detail17trampoline_kernelINS0_14default_configENS1_25partition_config_selectorILNS1_17partition_subalgoE5ExNS0_10empty_typeEbEEZZNS1_14partition_implILS5_5ELb0ES3_mN6thrust23THRUST_200600_302600_NS6detail15normal_iteratorINSA_10device_ptrIxEEEEPS6_NSA_18transform_iteratorINSB_9not_fun_tI7is_trueIxEEENSC_INSD_IbEEEENSA_11use_defaultESO_EENS0_5tupleIJSF_S6_EEENSQ_IJSG_SG_EEES6_PlJS6_EEE10hipError_tPvRmT3_T4_T5_T6_T7_T9_mT8_P12ihipStream_tbDpT10_ENKUlT_T0_E_clISt17integral_constantIbLb1EES1D_EEDaS18_S19_EUlS18_E_NS1_11comp_targetILNS1_3genE3ELNS1_11target_archE908ELNS1_3gpuE7ELNS1_3repE0EEENS1_30default_config_static_selectorELNS0_4arch9wavefront6targetE0EEEvT1_.num_agpr, 0
	.set _ZN7rocprim17ROCPRIM_400000_NS6detail17trampoline_kernelINS0_14default_configENS1_25partition_config_selectorILNS1_17partition_subalgoE5ExNS0_10empty_typeEbEEZZNS1_14partition_implILS5_5ELb0ES3_mN6thrust23THRUST_200600_302600_NS6detail15normal_iteratorINSA_10device_ptrIxEEEEPS6_NSA_18transform_iteratorINSB_9not_fun_tI7is_trueIxEEENSC_INSD_IbEEEENSA_11use_defaultESO_EENS0_5tupleIJSF_S6_EEENSQ_IJSG_SG_EEES6_PlJS6_EEE10hipError_tPvRmT3_T4_T5_T6_T7_T9_mT8_P12ihipStream_tbDpT10_ENKUlT_T0_E_clISt17integral_constantIbLb1EES1D_EEDaS18_S19_EUlS18_E_NS1_11comp_targetILNS1_3genE3ELNS1_11target_archE908ELNS1_3gpuE7ELNS1_3repE0EEENS1_30default_config_static_selectorELNS0_4arch9wavefront6targetE0EEEvT1_.numbered_sgpr, 0
	.set _ZN7rocprim17ROCPRIM_400000_NS6detail17trampoline_kernelINS0_14default_configENS1_25partition_config_selectorILNS1_17partition_subalgoE5ExNS0_10empty_typeEbEEZZNS1_14partition_implILS5_5ELb0ES3_mN6thrust23THRUST_200600_302600_NS6detail15normal_iteratorINSA_10device_ptrIxEEEEPS6_NSA_18transform_iteratorINSB_9not_fun_tI7is_trueIxEEENSC_INSD_IbEEEENSA_11use_defaultESO_EENS0_5tupleIJSF_S6_EEENSQ_IJSG_SG_EEES6_PlJS6_EEE10hipError_tPvRmT3_T4_T5_T6_T7_T9_mT8_P12ihipStream_tbDpT10_ENKUlT_T0_E_clISt17integral_constantIbLb1EES1D_EEDaS18_S19_EUlS18_E_NS1_11comp_targetILNS1_3genE3ELNS1_11target_archE908ELNS1_3gpuE7ELNS1_3repE0EEENS1_30default_config_static_selectorELNS0_4arch9wavefront6targetE0EEEvT1_.num_named_barrier, 0
	.set _ZN7rocprim17ROCPRIM_400000_NS6detail17trampoline_kernelINS0_14default_configENS1_25partition_config_selectorILNS1_17partition_subalgoE5ExNS0_10empty_typeEbEEZZNS1_14partition_implILS5_5ELb0ES3_mN6thrust23THRUST_200600_302600_NS6detail15normal_iteratorINSA_10device_ptrIxEEEEPS6_NSA_18transform_iteratorINSB_9not_fun_tI7is_trueIxEEENSC_INSD_IbEEEENSA_11use_defaultESO_EENS0_5tupleIJSF_S6_EEENSQ_IJSG_SG_EEES6_PlJS6_EEE10hipError_tPvRmT3_T4_T5_T6_T7_T9_mT8_P12ihipStream_tbDpT10_ENKUlT_T0_E_clISt17integral_constantIbLb1EES1D_EEDaS18_S19_EUlS18_E_NS1_11comp_targetILNS1_3genE3ELNS1_11target_archE908ELNS1_3gpuE7ELNS1_3repE0EEENS1_30default_config_static_selectorELNS0_4arch9wavefront6targetE0EEEvT1_.private_seg_size, 0
	.set _ZN7rocprim17ROCPRIM_400000_NS6detail17trampoline_kernelINS0_14default_configENS1_25partition_config_selectorILNS1_17partition_subalgoE5ExNS0_10empty_typeEbEEZZNS1_14partition_implILS5_5ELb0ES3_mN6thrust23THRUST_200600_302600_NS6detail15normal_iteratorINSA_10device_ptrIxEEEEPS6_NSA_18transform_iteratorINSB_9not_fun_tI7is_trueIxEEENSC_INSD_IbEEEENSA_11use_defaultESO_EENS0_5tupleIJSF_S6_EEENSQ_IJSG_SG_EEES6_PlJS6_EEE10hipError_tPvRmT3_T4_T5_T6_T7_T9_mT8_P12ihipStream_tbDpT10_ENKUlT_T0_E_clISt17integral_constantIbLb1EES1D_EEDaS18_S19_EUlS18_E_NS1_11comp_targetILNS1_3genE3ELNS1_11target_archE908ELNS1_3gpuE7ELNS1_3repE0EEENS1_30default_config_static_selectorELNS0_4arch9wavefront6targetE0EEEvT1_.uses_vcc, 0
	.set _ZN7rocprim17ROCPRIM_400000_NS6detail17trampoline_kernelINS0_14default_configENS1_25partition_config_selectorILNS1_17partition_subalgoE5ExNS0_10empty_typeEbEEZZNS1_14partition_implILS5_5ELb0ES3_mN6thrust23THRUST_200600_302600_NS6detail15normal_iteratorINSA_10device_ptrIxEEEEPS6_NSA_18transform_iteratorINSB_9not_fun_tI7is_trueIxEEENSC_INSD_IbEEEENSA_11use_defaultESO_EENS0_5tupleIJSF_S6_EEENSQ_IJSG_SG_EEES6_PlJS6_EEE10hipError_tPvRmT3_T4_T5_T6_T7_T9_mT8_P12ihipStream_tbDpT10_ENKUlT_T0_E_clISt17integral_constantIbLb1EES1D_EEDaS18_S19_EUlS18_E_NS1_11comp_targetILNS1_3genE3ELNS1_11target_archE908ELNS1_3gpuE7ELNS1_3repE0EEENS1_30default_config_static_selectorELNS0_4arch9wavefront6targetE0EEEvT1_.uses_flat_scratch, 0
	.set _ZN7rocprim17ROCPRIM_400000_NS6detail17trampoline_kernelINS0_14default_configENS1_25partition_config_selectorILNS1_17partition_subalgoE5ExNS0_10empty_typeEbEEZZNS1_14partition_implILS5_5ELb0ES3_mN6thrust23THRUST_200600_302600_NS6detail15normal_iteratorINSA_10device_ptrIxEEEEPS6_NSA_18transform_iteratorINSB_9not_fun_tI7is_trueIxEEENSC_INSD_IbEEEENSA_11use_defaultESO_EENS0_5tupleIJSF_S6_EEENSQ_IJSG_SG_EEES6_PlJS6_EEE10hipError_tPvRmT3_T4_T5_T6_T7_T9_mT8_P12ihipStream_tbDpT10_ENKUlT_T0_E_clISt17integral_constantIbLb1EES1D_EEDaS18_S19_EUlS18_E_NS1_11comp_targetILNS1_3genE3ELNS1_11target_archE908ELNS1_3gpuE7ELNS1_3repE0EEENS1_30default_config_static_selectorELNS0_4arch9wavefront6targetE0EEEvT1_.has_dyn_sized_stack, 0
	.set _ZN7rocprim17ROCPRIM_400000_NS6detail17trampoline_kernelINS0_14default_configENS1_25partition_config_selectorILNS1_17partition_subalgoE5ExNS0_10empty_typeEbEEZZNS1_14partition_implILS5_5ELb0ES3_mN6thrust23THRUST_200600_302600_NS6detail15normal_iteratorINSA_10device_ptrIxEEEEPS6_NSA_18transform_iteratorINSB_9not_fun_tI7is_trueIxEEENSC_INSD_IbEEEENSA_11use_defaultESO_EENS0_5tupleIJSF_S6_EEENSQ_IJSG_SG_EEES6_PlJS6_EEE10hipError_tPvRmT3_T4_T5_T6_T7_T9_mT8_P12ihipStream_tbDpT10_ENKUlT_T0_E_clISt17integral_constantIbLb1EES1D_EEDaS18_S19_EUlS18_E_NS1_11comp_targetILNS1_3genE3ELNS1_11target_archE908ELNS1_3gpuE7ELNS1_3repE0EEENS1_30default_config_static_selectorELNS0_4arch9wavefront6targetE0EEEvT1_.has_recursion, 0
	.set _ZN7rocprim17ROCPRIM_400000_NS6detail17trampoline_kernelINS0_14default_configENS1_25partition_config_selectorILNS1_17partition_subalgoE5ExNS0_10empty_typeEbEEZZNS1_14partition_implILS5_5ELb0ES3_mN6thrust23THRUST_200600_302600_NS6detail15normal_iteratorINSA_10device_ptrIxEEEEPS6_NSA_18transform_iteratorINSB_9not_fun_tI7is_trueIxEEENSC_INSD_IbEEEENSA_11use_defaultESO_EENS0_5tupleIJSF_S6_EEENSQ_IJSG_SG_EEES6_PlJS6_EEE10hipError_tPvRmT3_T4_T5_T6_T7_T9_mT8_P12ihipStream_tbDpT10_ENKUlT_T0_E_clISt17integral_constantIbLb1EES1D_EEDaS18_S19_EUlS18_E_NS1_11comp_targetILNS1_3genE3ELNS1_11target_archE908ELNS1_3gpuE7ELNS1_3repE0EEENS1_30default_config_static_selectorELNS0_4arch9wavefront6targetE0EEEvT1_.has_indirect_call, 0
	.section	.AMDGPU.csdata,"",@progbits
; Kernel info:
; codeLenInByte = 0
; TotalNumSgprs: 0
; NumVgprs: 0
; ScratchSize: 0
; MemoryBound: 0
; FloatMode: 240
; IeeeMode: 1
; LDSByteSize: 0 bytes/workgroup (compile time only)
; SGPRBlocks: 0
; VGPRBlocks: 0
; NumSGPRsForWavesPerEU: 1
; NumVGPRsForWavesPerEU: 1
; Occupancy: 16
; WaveLimiterHint : 0
; COMPUTE_PGM_RSRC2:SCRATCH_EN: 0
; COMPUTE_PGM_RSRC2:USER_SGPR: 2
; COMPUTE_PGM_RSRC2:TRAP_HANDLER: 0
; COMPUTE_PGM_RSRC2:TGID_X_EN: 1
; COMPUTE_PGM_RSRC2:TGID_Y_EN: 0
; COMPUTE_PGM_RSRC2:TGID_Z_EN: 0
; COMPUTE_PGM_RSRC2:TIDIG_COMP_CNT: 0
	.section	.text._ZN7rocprim17ROCPRIM_400000_NS6detail17trampoline_kernelINS0_14default_configENS1_25partition_config_selectorILNS1_17partition_subalgoE5ExNS0_10empty_typeEbEEZZNS1_14partition_implILS5_5ELb0ES3_mN6thrust23THRUST_200600_302600_NS6detail15normal_iteratorINSA_10device_ptrIxEEEEPS6_NSA_18transform_iteratorINSB_9not_fun_tI7is_trueIxEEENSC_INSD_IbEEEENSA_11use_defaultESO_EENS0_5tupleIJSF_S6_EEENSQ_IJSG_SG_EEES6_PlJS6_EEE10hipError_tPvRmT3_T4_T5_T6_T7_T9_mT8_P12ihipStream_tbDpT10_ENKUlT_T0_E_clISt17integral_constantIbLb1EES1D_EEDaS18_S19_EUlS18_E_NS1_11comp_targetILNS1_3genE2ELNS1_11target_archE906ELNS1_3gpuE6ELNS1_3repE0EEENS1_30default_config_static_selectorELNS0_4arch9wavefront6targetE0EEEvT1_,"axG",@progbits,_ZN7rocprim17ROCPRIM_400000_NS6detail17trampoline_kernelINS0_14default_configENS1_25partition_config_selectorILNS1_17partition_subalgoE5ExNS0_10empty_typeEbEEZZNS1_14partition_implILS5_5ELb0ES3_mN6thrust23THRUST_200600_302600_NS6detail15normal_iteratorINSA_10device_ptrIxEEEEPS6_NSA_18transform_iteratorINSB_9not_fun_tI7is_trueIxEEENSC_INSD_IbEEEENSA_11use_defaultESO_EENS0_5tupleIJSF_S6_EEENSQ_IJSG_SG_EEES6_PlJS6_EEE10hipError_tPvRmT3_T4_T5_T6_T7_T9_mT8_P12ihipStream_tbDpT10_ENKUlT_T0_E_clISt17integral_constantIbLb1EES1D_EEDaS18_S19_EUlS18_E_NS1_11comp_targetILNS1_3genE2ELNS1_11target_archE906ELNS1_3gpuE6ELNS1_3repE0EEENS1_30default_config_static_selectorELNS0_4arch9wavefront6targetE0EEEvT1_,comdat
	.protected	_ZN7rocprim17ROCPRIM_400000_NS6detail17trampoline_kernelINS0_14default_configENS1_25partition_config_selectorILNS1_17partition_subalgoE5ExNS0_10empty_typeEbEEZZNS1_14partition_implILS5_5ELb0ES3_mN6thrust23THRUST_200600_302600_NS6detail15normal_iteratorINSA_10device_ptrIxEEEEPS6_NSA_18transform_iteratorINSB_9not_fun_tI7is_trueIxEEENSC_INSD_IbEEEENSA_11use_defaultESO_EENS0_5tupleIJSF_S6_EEENSQ_IJSG_SG_EEES6_PlJS6_EEE10hipError_tPvRmT3_T4_T5_T6_T7_T9_mT8_P12ihipStream_tbDpT10_ENKUlT_T0_E_clISt17integral_constantIbLb1EES1D_EEDaS18_S19_EUlS18_E_NS1_11comp_targetILNS1_3genE2ELNS1_11target_archE906ELNS1_3gpuE6ELNS1_3repE0EEENS1_30default_config_static_selectorELNS0_4arch9wavefront6targetE0EEEvT1_ ; -- Begin function _ZN7rocprim17ROCPRIM_400000_NS6detail17trampoline_kernelINS0_14default_configENS1_25partition_config_selectorILNS1_17partition_subalgoE5ExNS0_10empty_typeEbEEZZNS1_14partition_implILS5_5ELb0ES3_mN6thrust23THRUST_200600_302600_NS6detail15normal_iteratorINSA_10device_ptrIxEEEEPS6_NSA_18transform_iteratorINSB_9not_fun_tI7is_trueIxEEENSC_INSD_IbEEEENSA_11use_defaultESO_EENS0_5tupleIJSF_S6_EEENSQ_IJSG_SG_EEES6_PlJS6_EEE10hipError_tPvRmT3_T4_T5_T6_T7_T9_mT8_P12ihipStream_tbDpT10_ENKUlT_T0_E_clISt17integral_constantIbLb1EES1D_EEDaS18_S19_EUlS18_E_NS1_11comp_targetILNS1_3genE2ELNS1_11target_archE906ELNS1_3gpuE6ELNS1_3repE0EEENS1_30default_config_static_selectorELNS0_4arch9wavefront6targetE0EEEvT1_
	.globl	_ZN7rocprim17ROCPRIM_400000_NS6detail17trampoline_kernelINS0_14default_configENS1_25partition_config_selectorILNS1_17partition_subalgoE5ExNS0_10empty_typeEbEEZZNS1_14partition_implILS5_5ELb0ES3_mN6thrust23THRUST_200600_302600_NS6detail15normal_iteratorINSA_10device_ptrIxEEEEPS6_NSA_18transform_iteratorINSB_9not_fun_tI7is_trueIxEEENSC_INSD_IbEEEENSA_11use_defaultESO_EENS0_5tupleIJSF_S6_EEENSQ_IJSG_SG_EEES6_PlJS6_EEE10hipError_tPvRmT3_T4_T5_T6_T7_T9_mT8_P12ihipStream_tbDpT10_ENKUlT_T0_E_clISt17integral_constantIbLb1EES1D_EEDaS18_S19_EUlS18_E_NS1_11comp_targetILNS1_3genE2ELNS1_11target_archE906ELNS1_3gpuE6ELNS1_3repE0EEENS1_30default_config_static_selectorELNS0_4arch9wavefront6targetE0EEEvT1_
	.p2align	8
	.type	_ZN7rocprim17ROCPRIM_400000_NS6detail17trampoline_kernelINS0_14default_configENS1_25partition_config_selectorILNS1_17partition_subalgoE5ExNS0_10empty_typeEbEEZZNS1_14partition_implILS5_5ELb0ES3_mN6thrust23THRUST_200600_302600_NS6detail15normal_iteratorINSA_10device_ptrIxEEEEPS6_NSA_18transform_iteratorINSB_9not_fun_tI7is_trueIxEEENSC_INSD_IbEEEENSA_11use_defaultESO_EENS0_5tupleIJSF_S6_EEENSQ_IJSG_SG_EEES6_PlJS6_EEE10hipError_tPvRmT3_T4_T5_T6_T7_T9_mT8_P12ihipStream_tbDpT10_ENKUlT_T0_E_clISt17integral_constantIbLb1EES1D_EEDaS18_S19_EUlS18_E_NS1_11comp_targetILNS1_3genE2ELNS1_11target_archE906ELNS1_3gpuE6ELNS1_3repE0EEENS1_30default_config_static_selectorELNS0_4arch9wavefront6targetE0EEEvT1_,@function
_ZN7rocprim17ROCPRIM_400000_NS6detail17trampoline_kernelINS0_14default_configENS1_25partition_config_selectorILNS1_17partition_subalgoE5ExNS0_10empty_typeEbEEZZNS1_14partition_implILS5_5ELb0ES3_mN6thrust23THRUST_200600_302600_NS6detail15normal_iteratorINSA_10device_ptrIxEEEEPS6_NSA_18transform_iteratorINSB_9not_fun_tI7is_trueIxEEENSC_INSD_IbEEEENSA_11use_defaultESO_EENS0_5tupleIJSF_S6_EEENSQ_IJSG_SG_EEES6_PlJS6_EEE10hipError_tPvRmT3_T4_T5_T6_T7_T9_mT8_P12ihipStream_tbDpT10_ENKUlT_T0_E_clISt17integral_constantIbLb1EES1D_EEDaS18_S19_EUlS18_E_NS1_11comp_targetILNS1_3genE2ELNS1_11target_archE906ELNS1_3gpuE6ELNS1_3repE0EEENS1_30default_config_static_selectorELNS0_4arch9wavefront6targetE0EEEvT1_: ; @_ZN7rocprim17ROCPRIM_400000_NS6detail17trampoline_kernelINS0_14default_configENS1_25partition_config_selectorILNS1_17partition_subalgoE5ExNS0_10empty_typeEbEEZZNS1_14partition_implILS5_5ELb0ES3_mN6thrust23THRUST_200600_302600_NS6detail15normal_iteratorINSA_10device_ptrIxEEEEPS6_NSA_18transform_iteratorINSB_9not_fun_tI7is_trueIxEEENSC_INSD_IbEEEENSA_11use_defaultESO_EENS0_5tupleIJSF_S6_EEENSQ_IJSG_SG_EEES6_PlJS6_EEE10hipError_tPvRmT3_T4_T5_T6_T7_T9_mT8_P12ihipStream_tbDpT10_ENKUlT_T0_E_clISt17integral_constantIbLb1EES1D_EEDaS18_S19_EUlS18_E_NS1_11comp_targetILNS1_3genE2ELNS1_11target_archE906ELNS1_3gpuE6ELNS1_3repE0EEENS1_30default_config_static_selectorELNS0_4arch9wavefront6targetE0EEEvT1_
; %bb.0:
	.section	.rodata,"a",@progbits
	.p2align	6, 0x0
	.amdhsa_kernel _ZN7rocprim17ROCPRIM_400000_NS6detail17trampoline_kernelINS0_14default_configENS1_25partition_config_selectorILNS1_17partition_subalgoE5ExNS0_10empty_typeEbEEZZNS1_14partition_implILS5_5ELb0ES3_mN6thrust23THRUST_200600_302600_NS6detail15normal_iteratorINSA_10device_ptrIxEEEEPS6_NSA_18transform_iteratorINSB_9not_fun_tI7is_trueIxEEENSC_INSD_IbEEEENSA_11use_defaultESO_EENS0_5tupleIJSF_S6_EEENSQ_IJSG_SG_EEES6_PlJS6_EEE10hipError_tPvRmT3_T4_T5_T6_T7_T9_mT8_P12ihipStream_tbDpT10_ENKUlT_T0_E_clISt17integral_constantIbLb1EES1D_EEDaS18_S19_EUlS18_E_NS1_11comp_targetILNS1_3genE2ELNS1_11target_archE906ELNS1_3gpuE6ELNS1_3repE0EEENS1_30default_config_static_selectorELNS0_4arch9wavefront6targetE0EEEvT1_
		.amdhsa_group_segment_fixed_size 0
		.amdhsa_private_segment_fixed_size 0
		.amdhsa_kernarg_size 136
		.amdhsa_user_sgpr_count 2
		.amdhsa_user_sgpr_dispatch_ptr 0
		.amdhsa_user_sgpr_queue_ptr 0
		.amdhsa_user_sgpr_kernarg_segment_ptr 1
		.amdhsa_user_sgpr_dispatch_id 0
		.amdhsa_user_sgpr_private_segment_size 0
		.amdhsa_wavefront_size32 1
		.amdhsa_uses_dynamic_stack 0
		.amdhsa_enable_private_segment 0
		.amdhsa_system_sgpr_workgroup_id_x 1
		.amdhsa_system_sgpr_workgroup_id_y 0
		.amdhsa_system_sgpr_workgroup_id_z 0
		.amdhsa_system_sgpr_workgroup_info 0
		.amdhsa_system_vgpr_workitem_id 0
		.amdhsa_next_free_vgpr 1
		.amdhsa_next_free_sgpr 1
		.amdhsa_reserve_vcc 0
		.amdhsa_float_round_mode_32 0
		.amdhsa_float_round_mode_16_64 0
		.amdhsa_float_denorm_mode_32 3
		.amdhsa_float_denorm_mode_16_64 3
		.amdhsa_fp16_overflow 0
		.amdhsa_workgroup_processor_mode 1
		.amdhsa_memory_ordered 1
		.amdhsa_forward_progress 1
		.amdhsa_inst_pref_size 0
		.amdhsa_round_robin_scheduling 0
		.amdhsa_exception_fp_ieee_invalid_op 0
		.amdhsa_exception_fp_denorm_src 0
		.amdhsa_exception_fp_ieee_div_zero 0
		.amdhsa_exception_fp_ieee_overflow 0
		.amdhsa_exception_fp_ieee_underflow 0
		.amdhsa_exception_fp_ieee_inexact 0
		.amdhsa_exception_int_div_zero 0
	.end_amdhsa_kernel
	.section	.text._ZN7rocprim17ROCPRIM_400000_NS6detail17trampoline_kernelINS0_14default_configENS1_25partition_config_selectorILNS1_17partition_subalgoE5ExNS0_10empty_typeEbEEZZNS1_14partition_implILS5_5ELb0ES3_mN6thrust23THRUST_200600_302600_NS6detail15normal_iteratorINSA_10device_ptrIxEEEEPS6_NSA_18transform_iteratorINSB_9not_fun_tI7is_trueIxEEENSC_INSD_IbEEEENSA_11use_defaultESO_EENS0_5tupleIJSF_S6_EEENSQ_IJSG_SG_EEES6_PlJS6_EEE10hipError_tPvRmT3_T4_T5_T6_T7_T9_mT8_P12ihipStream_tbDpT10_ENKUlT_T0_E_clISt17integral_constantIbLb1EES1D_EEDaS18_S19_EUlS18_E_NS1_11comp_targetILNS1_3genE2ELNS1_11target_archE906ELNS1_3gpuE6ELNS1_3repE0EEENS1_30default_config_static_selectorELNS0_4arch9wavefront6targetE0EEEvT1_,"axG",@progbits,_ZN7rocprim17ROCPRIM_400000_NS6detail17trampoline_kernelINS0_14default_configENS1_25partition_config_selectorILNS1_17partition_subalgoE5ExNS0_10empty_typeEbEEZZNS1_14partition_implILS5_5ELb0ES3_mN6thrust23THRUST_200600_302600_NS6detail15normal_iteratorINSA_10device_ptrIxEEEEPS6_NSA_18transform_iteratorINSB_9not_fun_tI7is_trueIxEEENSC_INSD_IbEEEENSA_11use_defaultESO_EENS0_5tupleIJSF_S6_EEENSQ_IJSG_SG_EEES6_PlJS6_EEE10hipError_tPvRmT3_T4_T5_T6_T7_T9_mT8_P12ihipStream_tbDpT10_ENKUlT_T0_E_clISt17integral_constantIbLb1EES1D_EEDaS18_S19_EUlS18_E_NS1_11comp_targetILNS1_3genE2ELNS1_11target_archE906ELNS1_3gpuE6ELNS1_3repE0EEENS1_30default_config_static_selectorELNS0_4arch9wavefront6targetE0EEEvT1_,comdat
.Lfunc_end2505:
	.size	_ZN7rocprim17ROCPRIM_400000_NS6detail17trampoline_kernelINS0_14default_configENS1_25partition_config_selectorILNS1_17partition_subalgoE5ExNS0_10empty_typeEbEEZZNS1_14partition_implILS5_5ELb0ES3_mN6thrust23THRUST_200600_302600_NS6detail15normal_iteratorINSA_10device_ptrIxEEEEPS6_NSA_18transform_iteratorINSB_9not_fun_tI7is_trueIxEEENSC_INSD_IbEEEENSA_11use_defaultESO_EENS0_5tupleIJSF_S6_EEENSQ_IJSG_SG_EEES6_PlJS6_EEE10hipError_tPvRmT3_T4_T5_T6_T7_T9_mT8_P12ihipStream_tbDpT10_ENKUlT_T0_E_clISt17integral_constantIbLb1EES1D_EEDaS18_S19_EUlS18_E_NS1_11comp_targetILNS1_3genE2ELNS1_11target_archE906ELNS1_3gpuE6ELNS1_3repE0EEENS1_30default_config_static_selectorELNS0_4arch9wavefront6targetE0EEEvT1_, .Lfunc_end2505-_ZN7rocprim17ROCPRIM_400000_NS6detail17trampoline_kernelINS0_14default_configENS1_25partition_config_selectorILNS1_17partition_subalgoE5ExNS0_10empty_typeEbEEZZNS1_14partition_implILS5_5ELb0ES3_mN6thrust23THRUST_200600_302600_NS6detail15normal_iteratorINSA_10device_ptrIxEEEEPS6_NSA_18transform_iteratorINSB_9not_fun_tI7is_trueIxEEENSC_INSD_IbEEEENSA_11use_defaultESO_EENS0_5tupleIJSF_S6_EEENSQ_IJSG_SG_EEES6_PlJS6_EEE10hipError_tPvRmT3_T4_T5_T6_T7_T9_mT8_P12ihipStream_tbDpT10_ENKUlT_T0_E_clISt17integral_constantIbLb1EES1D_EEDaS18_S19_EUlS18_E_NS1_11comp_targetILNS1_3genE2ELNS1_11target_archE906ELNS1_3gpuE6ELNS1_3repE0EEENS1_30default_config_static_selectorELNS0_4arch9wavefront6targetE0EEEvT1_
                                        ; -- End function
	.set _ZN7rocprim17ROCPRIM_400000_NS6detail17trampoline_kernelINS0_14default_configENS1_25partition_config_selectorILNS1_17partition_subalgoE5ExNS0_10empty_typeEbEEZZNS1_14partition_implILS5_5ELb0ES3_mN6thrust23THRUST_200600_302600_NS6detail15normal_iteratorINSA_10device_ptrIxEEEEPS6_NSA_18transform_iteratorINSB_9not_fun_tI7is_trueIxEEENSC_INSD_IbEEEENSA_11use_defaultESO_EENS0_5tupleIJSF_S6_EEENSQ_IJSG_SG_EEES6_PlJS6_EEE10hipError_tPvRmT3_T4_T5_T6_T7_T9_mT8_P12ihipStream_tbDpT10_ENKUlT_T0_E_clISt17integral_constantIbLb1EES1D_EEDaS18_S19_EUlS18_E_NS1_11comp_targetILNS1_3genE2ELNS1_11target_archE906ELNS1_3gpuE6ELNS1_3repE0EEENS1_30default_config_static_selectorELNS0_4arch9wavefront6targetE0EEEvT1_.num_vgpr, 0
	.set _ZN7rocprim17ROCPRIM_400000_NS6detail17trampoline_kernelINS0_14default_configENS1_25partition_config_selectorILNS1_17partition_subalgoE5ExNS0_10empty_typeEbEEZZNS1_14partition_implILS5_5ELb0ES3_mN6thrust23THRUST_200600_302600_NS6detail15normal_iteratorINSA_10device_ptrIxEEEEPS6_NSA_18transform_iteratorINSB_9not_fun_tI7is_trueIxEEENSC_INSD_IbEEEENSA_11use_defaultESO_EENS0_5tupleIJSF_S6_EEENSQ_IJSG_SG_EEES6_PlJS6_EEE10hipError_tPvRmT3_T4_T5_T6_T7_T9_mT8_P12ihipStream_tbDpT10_ENKUlT_T0_E_clISt17integral_constantIbLb1EES1D_EEDaS18_S19_EUlS18_E_NS1_11comp_targetILNS1_3genE2ELNS1_11target_archE906ELNS1_3gpuE6ELNS1_3repE0EEENS1_30default_config_static_selectorELNS0_4arch9wavefront6targetE0EEEvT1_.num_agpr, 0
	.set _ZN7rocprim17ROCPRIM_400000_NS6detail17trampoline_kernelINS0_14default_configENS1_25partition_config_selectorILNS1_17partition_subalgoE5ExNS0_10empty_typeEbEEZZNS1_14partition_implILS5_5ELb0ES3_mN6thrust23THRUST_200600_302600_NS6detail15normal_iteratorINSA_10device_ptrIxEEEEPS6_NSA_18transform_iteratorINSB_9not_fun_tI7is_trueIxEEENSC_INSD_IbEEEENSA_11use_defaultESO_EENS0_5tupleIJSF_S6_EEENSQ_IJSG_SG_EEES6_PlJS6_EEE10hipError_tPvRmT3_T4_T5_T6_T7_T9_mT8_P12ihipStream_tbDpT10_ENKUlT_T0_E_clISt17integral_constantIbLb1EES1D_EEDaS18_S19_EUlS18_E_NS1_11comp_targetILNS1_3genE2ELNS1_11target_archE906ELNS1_3gpuE6ELNS1_3repE0EEENS1_30default_config_static_selectorELNS0_4arch9wavefront6targetE0EEEvT1_.numbered_sgpr, 0
	.set _ZN7rocprim17ROCPRIM_400000_NS6detail17trampoline_kernelINS0_14default_configENS1_25partition_config_selectorILNS1_17partition_subalgoE5ExNS0_10empty_typeEbEEZZNS1_14partition_implILS5_5ELb0ES3_mN6thrust23THRUST_200600_302600_NS6detail15normal_iteratorINSA_10device_ptrIxEEEEPS6_NSA_18transform_iteratorINSB_9not_fun_tI7is_trueIxEEENSC_INSD_IbEEEENSA_11use_defaultESO_EENS0_5tupleIJSF_S6_EEENSQ_IJSG_SG_EEES6_PlJS6_EEE10hipError_tPvRmT3_T4_T5_T6_T7_T9_mT8_P12ihipStream_tbDpT10_ENKUlT_T0_E_clISt17integral_constantIbLb1EES1D_EEDaS18_S19_EUlS18_E_NS1_11comp_targetILNS1_3genE2ELNS1_11target_archE906ELNS1_3gpuE6ELNS1_3repE0EEENS1_30default_config_static_selectorELNS0_4arch9wavefront6targetE0EEEvT1_.num_named_barrier, 0
	.set _ZN7rocprim17ROCPRIM_400000_NS6detail17trampoline_kernelINS0_14default_configENS1_25partition_config_selectorILNS1_17partition_subalgoE5ExNS0_10empty_typeEbEEZZNS1_14partition_implILS5_5ELb0ES3_mN6thrust23THRUST_200600_302600_NS6detail15normal_iteratorINSA_10device_ptrIxEEEEPS6_NSA_18transform_iteratorINSB_9not_fun_tI7is_trueIxEEENSC_INSD_IbEEEENSA_11use_defaultESO_EENS0_5tupleIJSF_S6_EEENSQ_IJSG_SG_EEES6_PlJS6_EEE10hipError_tPvRmT3_T4_T5_T6_T7_T9_mT8_P12ihipStream_tbDpT10_ENKUlT_T0_E_clISt17integral_constantIbLb1EES1D_EEDaS18_S19_EUlS18_E_NS1_11comp_targetILNS1_3genE2ELNS1_11target_archE906ELNS1_3gpuE6ELNS1_3repE0EEENS1_30default_config_static_selectorELNS0_4arch9wavefront6targetE0EEEvT1_.private_seg_size, 0
	.set _ZN7rocprim17ROCPRIM_400000_NS6detail17trampoline_kernelINS0_14default_configENS1_25partition_config_selectorILNS1_17partition_subalgoE5ExNS0_10empty_typeEbEEZZNS1_14partition_implILS5_5ELb0ES3_mN6thrust23THRUST_200600_302600_NS6detail15normal_iteratorINSA_10device_ptrIxEEEEPS6_NSA_18transform_iteratorINSB_9not_fun_tI7is_trueIxEEENSC_INSD_IbEEEENSA_11use_defaultESO_EENS0_5tupleIJSF_S6_EEENSQ_IJSG_SG_EEES6_PlJS6_EEE10hipError_tPvRmT3_T4_T5_T6_T7_T9_mT8_P12ihipStream_tbDpT10_ENKUlT_T0_E_clISt17integral_constantIbLb1EES1D_EEDaS18_S19_EUlS18_E_NS1_11comp_targetILNS1_3genE2ELNS1_11target_archE906ELNS1_3gpuE6ELNS1_3repE0EEENS1_30default_config_static_selectorELNS0_4arch9wavefront6targetE0EEEvT1_.uses_vcc, 0
	.set _ZN7rocprim17ROCPRIM_400000_NS6detail17trampoline_kernelINS0_14default_configENS1_25partition_config_selectorILNS1_17partition_subalgoE5ExNS0_10empty_typeEbEEZZNS1_14partition_implILS5_5ELb0ES3_mN6thrust23THRUST_200600_302600_NS6detail15normal_iteratorINSA_10device_ptrIxEEEEPS6_NSA_18transform_iteratorINSB_9not_fun_tI7is_trueIxEEENSC_INSD_IbEEEENSA_11use_defaultESO_EENS0_5tupleIJSF_S6_EEENSQ_IJSG_SG_EEES6_PlJS6_EEE10hipError_tPvRmT3_T4_T5_T6_T7_T9_mT8_P12ihipStream_tbDpT10_ENKUlT_T0_E_clISt17integral_constantIbLb1EES1D_EEDaS18_S19_EUlS18_E_NS1_11comp_targetILNS1_3genE2ELNS1_11target_archE906ELNS1_3gpuE6ELNS1_3repE0EEENS1_30default_config_static_selectorELNS0_4arch9wavefront6targetE0EEEvT1_.uses_flat_scratch, 0
	.set _ZN7rocprim17ROCPRIM_400000_NS6detail17trampoline_kernelINS0_14default_configENS1_25partition_config_selectorILNS1_17partition_subalgoE5ExNS0_10empty_typeEbEEZZNS1_14partition_implILS5_5ELb0ES3_mN6thrust23THRUST_200600_302600_NS6detail15normal_iteratorINSA_10device_ptrIxEEEEPS6_NSA_18transform_iteratorINSB_9not_fun_tI7is_trueIxEEENSC_INSD_IbEEEENSA_11use_defaultESO_EENS0_5tupleIJSF_S6_EEENSQ_IJSG_SG_EEES6_PlJS6_EEE10hipError_tPvRmT3_T4_T5_T6_T7_T9_mT8_P12ihipStream_tbDpT10_ENKUlT_T0_E_clISt17integral_constantIbLb1EES1D_EEDaS18_S19_EUlS18_E_NS1_11comp_targetILNS1_3genE2ELNS1_11target_archE906ELNS1_3gpuE6ELNS1_3repE0EEENS1_30default_config_static_selectorELNS0_4arch9wavefront6targetE0EEEvT1_.has_dyn_sized_stack, 0
	.set _ZN7rocprim17ROCPRIM_400000_NS6detail17trampoline_kernelINS0_14default_configENS1_25partition_config_selectorILNS1_17partition_subalgoE5ExNS0_10empty_typeEbEEZZNS1_14partition_implILS5_5ELb0ES3_mN6thrust23THRUST_200600_302600_NS6detail15normal_iteratorINSA_10device_ptrIxEEEEPS6_NSA_18transform_iteratorINSB_9not_fun_tI7is_trueIxEEENSC_INSD_IbEEEENSA_11use_defaultESO_EENS0_5tupleIJSF_S6_EEENSQ_IJSG_SG_EEES6_PlJS6_EEE10hipError_tPvRmT3_T4_T5_T6_T7_T9_mT8_P12ihipStream_tbDpT10_ENKUlT_T0_E_clISt17integral_constantIbLb1EES1D_EEDaS18_S19_EUlS18_E_NS1_11comp_targetILNS1_3genE2ELNS1_11target_archE906ELNS1_3gpuE6ELNS1_3repE0EEENS1_30default_config_static_selectorELNS0_4arch9wavefront6targetE0EEEvT1_.has_recursion, 0
	.set _ZN7rocprim17ROCPRIM_400000_NS6detail17trampoline_kernelINS0_14default_configENS1_25partition_config_selectorILNS1_17partition_subalgoE5ExNS0_10empty_typeEbEEZZNS1_14partition_implILS5_5ELb0ES3_mN6thrust23THRUST_200600_302600_NS6detail15normal_iteratorINSA_10device_ptrIxEEEEPS6_NSA_18transform_iteratorINSB_9not_fun_tI7is_trueIxEEENSC_INSD_IbEEEENSA_11use_defaultESO_EENS0_5tupleIJSF_S6_EEENSQ_IJSG_SG_EEES6_PlJS6_EEE10hipError_tPvRmT3_T4_T5_T6_T7_T9_mT8_P12ihipStream_tbDpT10_ENKUlT_T0_E_clISt17integral_constantIbLb1EES1D_EEDaS18_S19_EUlS18_E_NS1_11comp_targetILNS1_3genE2ELNS1_11target_archE906ELNS1_3gpuE6ELNS1_3repE0EEENS1_30default_config_static_selectorELNS0_4arch9wavefront6targetE0EEEvT1_.has_indirect_call, 0
	.section	.AMDGPU.csdata,"",@progbits
; Kernel info:
; codeLenInByte = 0
; TotalNumSgprs: 0
; NumVgprs: 0
; ScratchSize: 0
; MemoryBound: 0
; FloatMode: 240
; IeeeMode: 1
; LDSByteSize: 0 bytes/workgroup (compile time only)
; SGPRBlocks: 0
; VGPRBlocks: 0
; NumSGPRsForWavesPerEU: 1
; NumVGPRsForWavesPerEU: 1
; Occupancy: 16
; WaveLimiterHint : 0
; COMPUTE_PGM_RSRC2:SCRATCH_EN: 0
; COMPUTE_PGM_RSRC2:USER_SGPR: 2
; COMPUTE_PGM_RSRC2:TRAP_HANDLER: 0
; COMPUTE_PGM_RSRC2:TGID_X_EN: 1
; COMPUTE_PGM_RSRC2:TGID_Y_EN: 0
; COMPUTE_PGM_RSRC2:TGID_Z_EN: 0
; COMPUTE_PGM_RSRC2:TIDIG_COMP_CNT: 0
	.section	.text._ZN7rocprim17ROCPRIM_400000_NS6detail17trampoline_kernelINS0_14default_configENS1_25partition_config_selectorILNS1_17partition_subalgoE5ExNS0_10empty_typeEbEEZZNS1_14partition_implILS5_5ELb0ES3_mN6thrust23THRUST_200600_302600_NS6detail15normal_iteratorINSA_10device_ptrIxEEEEPS6_NSA_18transform_iteratorINSB_9not_fun_tI7is_trueIxEEENSC_INSD_IbEEEENSA_11use_defaultESO_EENS0_5tupleIJSF_S6_EEENSQ_IJSG_SG_EEES6_PlJS6_EEE10hipError_tPvRmT3_T4_T5_T6_T7_T9_mT8_P12ihipStream_tbDpT10_ENKUlT_T0_E_clISt17integral_constantIbLb1EES1D_EEDaS18_S19_EUlS18_E_NS1_11comp_targetILNS1_3genE10ELNS1_11target_archE1200ELNS1_3gpuE4ELNS1_3repE0EEENS1_30default_config_static_selectorELNS0_4arch9wavefront6targetE0EEEvT1_,"axG",@progbits,_ZN7rocprim17ROCPRIM_400000_NS6detail17trampoline_kernelINS0_14default_configENS1_25partition_config_selectorILNS1_17partition_subalgoE5ExNS0_10empty_typeEbEEZZNS1_14partition_implILS5_5ELb0ES3_mN6thrust23THRUST_200600_302600_NS6detail15normal_iteratorINSA_10device_ptrIxEEEEPS6_NSA_18transform_iteratorINSB_9not_fun_tI7is_trueIxEEENSC_INSD_IbEEEENSA_11use_defaultESO_EENS0_5tupleIJSF_S6_EEENSQ_IJSG_SG_EEES6_PlJS6_EEE10hipError_tPvRmT3_T4_T5_T6_T7_T9_mT8_P12ihipStream_tbDpT10_ENKUlT_T0_E_clISt17integral_constantIbLb1EES1D_EEDaS18_S19_EUlS18_E_NS1_11comp_targetILNS1_3genE10ELNS1_11target_archE1200ELNS1_3gpuE4ELNS1_3repE0EEENS1_30default_config_static_selectorELNS0_4arch9wavefront6targetE0EEEvT1_,comdat
	.protected	_ZN7rocprim17ROCPRIM_400000_NS6detail17trampoline_kernelINS0_14default_configENS1_25partition_config_selectorILNS1_17partition_subalgoE5ExNS0_10empty_typeEbEEZZNS1_14partition_implILS5_5ELb0ES3_mN6thrust23THRUST_200600_302600_NS6detail15normal_iteratorINSA_10device_ptrIxEEEEPS6_NSA_18transform_iteratorINSB_9not_fun_tI7is_trueIxEEENSC_INSD_IbEEEENSA_11use_defaultESO_EENS0_5tupleIJSF_S6_EEENSQ_IJSG_SG_EEES6_PlJS6_EEE10hipError_tPvRmT3_T4_T5_T6_T7_T9_mT8_P12ihipStream_tbDpT10_ENKUlT_T0_E_clISt17integral_constantIbLb1EES1D_EEDaS18_S19_EUlS18_E_NS1_11comp_targetILNS1_3genE10ELNS1_11target_archE1200ELNS1_3gpuE4ELNS1_3repE0EEENS1_30default_config_static_selectorELNS0_4arch9wavefront6targetE0EEEvT1_ ; -- Begin function _ZN7rocprim17ROCPRIM_400000_NS6detail17trampoline_kernelINS0_14default_configENS1_25partition_config_selectorILNS1_17partition_subalgoE5ExNS0_10empty_typeEbEEZZNS1_14partition_implILS5_5ELb0ES3_mN6thrust23THRUST_200600_302600_NS6detail15normal_iteratorINSA_10device_ptrIxEEEEPS6_NSA_18transform_iteratorINSB_9not_fun_tI7is_trueIxEEENSC_INSD_IbEEEENSA_11use_defaultESO_EENS0_5tupleIJSF_S6_EEENSQ_IJSG_SG_EEES6_PlJS6_EEE10hipError_tPvRmT3_T4_T5_T6_T7_T9_mT8_P12ihipStream_tbDpT10_ENKUlT_T0_E_clISt17integral_constantIbLb1EES1D_EEDaS18_S19_EUlS18_E_NS1_11comp_targetILNS1_3genE10ELNS1_11target_archE1200ELNS1_3gpuE4ELNS1_3repE0EEENS1_30default_config_static_selectorELNS0_4arch9wavefront6targetE0EEEvT1_
	.globl	_ZN7rocprim17ROCPRIM_400000_NS6detail17trampoline_kernelINS0_14default_configENS1_25partition_config_selectorILNS1_17partition_subalgoE5ExNS0_10empty_typeEbEEZZNS1_14partition_implILS5_5ELb0ES3_mN6thrust23THRUST_200600_302600_NS6detail15normal_iteratorINSA_10device_ptrIxEEEEPS6_NSA_18transform_iteratorINSB_9not_fun_tI7is_trueIxEEENSC_INSD_IbEEEENSA_11use_defaultESO_EENS0_5tupleIJSF_S6_EEENSQ_IJSG_SG_EEES6_PlJS6_EEE10hipError_tPvRmT3_T4_T5_T6_T7_T9_mT8_P12ihipStream_tbDpT10_ENKUlT_T0_E_clISt17integral_constantIbLb1EES1D_EEDaS18_S19_EUlS18_E_NS1_11comp_targetILNS1_3genE10ELNS1_11target_archE1200ELNS1_3gpuE4ELNS1_3repE0EEENS1_30default_config_static_selectorELNS0_4arch9wavefront6targetE0EEEvT1_
	.p2align	8
	.type	_ZN7rocprim17ROCPRIM_400000_NS6detail17trampoline_kernelINS0_14default_configENS1_25partition_config_selectorILNS1_17partition_subalgoE5ExNS0_10empty_typeEbEEZZNS1_14partition_implILS5_5ELb0ES3_mN6thrust23THRUST_200600_302600_NS6detail15normal_iteratorINSA_10device_ptrIxEEEEPS6_NSA_18transform_iteratorINSB_9not_fun_tI7is_trueIxEEENSC_INSD_IbEEEENSA_11use_defaultESO_EENS0_5tupleIJSF_S6_EEENSQ_IJSG_SG_EEES6_PlJS6_EEE10hipError_tPvRmT3_T4_T5_T6_T7_T9_mT8_P12ihipStream_tbDpT10_ENKUlT_T0_E_clISt17integral_constantIbLb1EES1D_EEDaS18_S19_EUlS18_E_NS1_11comp_targetILNS1_3genE10ELNS1_11target_archE1200ELNS1_3gpuE4ELNS1_3repE0EEENS1_30default_config_static_selectorELNS0_4arch9wavefront6targetE0EEEvT1_,@function
_ZN7rocprim17ROCPRIM_400000_NS6detail17trampoline_kernelINS0_14default_configENS1_25partition_config_selectorILNS1_17partition_subalgoE5ExNS0_10empty_typeEbEEZZNS1_14partition_implILS5_5ELb0ES3_mN6thrust23THRUST_200600_302600_NS6detail15normal_iteratorINSA_10device_ptrIxEEEEPS6_NSA_18transform_iteratorINSB_9not_fun_tI7is_trueIxEEENSC_INSD_IbEEEENSA_11use_defaultESO_EENS0_5tupleIJSF_S6_EEENSQ_IJSG_SG_EEES6_PlJS6_EEE10hipError_tPvRmT3_T4_T5_T6_T7_T9_mT8_P12ihipStream_tbDpT10_ENKUlT_T0_E_clISt17integral_constantIbLb1EES1D_EEDaS18_S19_EUlS18_E_NS1_11comp_targetILNS1_3genE10ELNS1_11target_archE1200ELNS1_3gpuE4ELNS1_3repE0EEENS1_30default_config_static_selectorELNS0_4arch9wavefront6targetE0EEEvT1_: ; @_ZN7rocprim17ROCPRIM_400000_NS6detail17trampoline_kernelINS0_14default_configENS1_25partition_config_selectorILNS1_17partition_subalgoE5ExNS0_10empty_typeEbEEZZNS1_14partition_implILS5_5ELb0ES3_mN6thrust23THRUST_200600_302600_NS6detail15normal_iteratorINSA_10device_ptrIxEEEEPS6_NSA_18transform_iteratorINSB_9not_fun_tI7is_trueIxEEENSC_INSD_IbEEEENSA_11use_defaultESO_EENS0_5tupleIJSF_S6_EEENSQ_IJSG_SG_EEES6_PlJS6_EEE10hipError_tPvRmT3_T4_T5_T6_T7_T9_mT8_P12ihipStream_tbDpT10_ENKUlT_T0_E_clISt17integral_constantIbLb1EES1D_EEDaS18_S19_EUlS18_E_NS1_11comp_targetILNS1_3genE10ELNS1_11target_archE1200ELNS1_3gpuE4ELNS1_3repE0EEENS1_30default_config_static_selectorELNS0_4arch9wavefront6targetE0EEEvT1_
; %bb.0:
	s_endpgm
	.section	.rodata,"a",@progbits
	.p2align	6, 0x0
	.amdhsa_kernel _ZN7rocprim17ROCPRIM_400000_NS6detail17trampoline_kernelINS0_14default_configENS1_25partition_config_selectorILNS1_17partition_subalgoE5ExNS0_10empty_typeEbEEZZNS1_14partition_implILS5_5ELb0ES3_mN6thrust23THRUST_200600_302600_NS6detail15normal_iteratorINSA_10device_ptrIxEEEEPS6_NSA_18transform_iteratorINSB_9not_fun_tI7is_trueIxEEENSC_INSD_IbEEEENSA_11use_defaultESO_EENS0_5tupleIJSF_S6_EEENSQ_IJSG_SG_EEES6_PlJS6_EEE10hipError_tPvRmT3_T4_T5_T6_T7_T9_mT8_P12ihipStream_tbDpT10_ENKUlT_T0_E_clISt17integral_constantIbLb1EES1D_EEDaS18_S19_EUlS18_E_NS1_11comp_targetILNS1_3genE10ELNS1_11target_archE1200ELNS1_3gpuE4ELNS1_3repE0EEENS1_30default_config_static_selectorELNS0_4arch9wavefront6targetE0EEEvT1_
		.amdhsa_group_segment_fixed_size 0
		.amdhsa_private_segment_fixed_size 0
		.amdhsa_kernarg_size 136
		.amdhsa_user_sgpr_count 2
		.amdhsa_user_sgpr_dispatch_ptr 0
		.amdhsa_user_sgpr_queue_ptr 0
		.amdhsa_user_sgpr_kernarg_segment_ptr 1
		.amdhsa_user_sgpr_dispatch_id 0
		.amdhsa_user_sgpr_private_segment_size 0
		.amdhsa_wavefront_size32 1
		.amdhsa_uses_dynamic_stack 0
		.amdhsa_enable_private_segment 0
		.amdhsa_system_sgpr_workgroup_id_x 1
		.amdhsa_system_sgpr_workgroup_id_y 0
		.amdhsa_system_sgpr_workgroup_id_z 0
		.amdhsa_system_sgpr_workgroup_info 0
		.amdhsa_system_vgpr_workitem_id 0
		.amdhsa_next_free_vgpr 1
		.amdhsa_next_free_sgpr 1
		.amdhsa_reserve_vcc 0
		.amdhsa_float_round_mode_32 0
		.amdhsa_float_round_mode_16_64 0
		.amdhsa_float_denorm_mode_32 3
		.amdhsa_float_denorm_mode_16_64 3
		.amdhsa_fp16_overflow 0
		.amdhsa_workgroup_processor_mode 1
		.amdhsa_memory_ordered 1
		.amdhsa_forward_progress 1
		.amdhsa_inst_pref_size 1
		.amdhsa_round_robin_scheduling 0
		.amdhsa_exception_fp_ieee_invalid_op 0
		.amdhsa_exception_fp_denorm_src 0
		.amdhsa_exception_fp_ieee_div_zero 0
		.amdhsa_exception_fp_ieee_overflow 0
		.amdhsa_exception_fp_ieee_underflow 0
		.amdhsa_exception_fp_ieee_inexact 0
		.amdhsa_exception_int_div_zero 0
	.end_amdhsa_kernel
	.section	.text._ZN7rocprim17ROCPRIM_400000_NS6detail17trampoline_kernelINS0_14default_configENS1_25partition_config_selectorILNS1_17partition_subalgoE5ExNS0_10empty_typeEbEEZZNS1_14partition_implILS5_5ELb0ES3_mN6thrust23THRUST_200600_302600_NS6detail15normal_iteratorINSA_10device_ptrIxEEEEPS6_NSA_18transform_iteratorINSB_9not_fun_tI7is_trueIxEEENSC_INSD_IbEEEENSA_11use_defaultESO_EENS0_5tupleIJSF_S6_EEENSQ_IJSG_SG_EEES6_PlJS6_EEE10hipError_tPvRmT3_T4_T5_T6_T7_T9_mT8_P12ihipStream_tbDpT10_ENKUlT_T0_E_clISt17integral_constantIbLb1EES1D_EEDaS18_S19_EUlS18_E_NS1_11comp_targetILNS1_3genE10ELNS1_11target_archE1200ELNS1_3gpuE4ELNS1_3repE0EEENS1_30default_config_static_selectorELNS0_4arch9wavefront6targetE0EEEvT1_,"axG",@progbits,_ZN7rocprim17ROCPRIM_400000_NS6detail17trampoline_kernelINS0_14default_configENS1_25partition_config_selectorILNS1_17partition_subalgoE5ExNS0_10empty_typeEbEEZZNS1_14partition_implILS5_5ELb0ES3_mN6thrust23THRUST_200600_302600_NS6detail15normal_iteratorINSA_10device_ptrIxEEEEPS6_NSA_18transform_iteratorINSB_9not_fun_tI7is_trueIxEEENSC_INSD_IbEEEENSA_11use_defaultESO_EENS0_5tupleIJSF_S6_EEENSQ_IJSG_SG_EEES6_PlJS6_EEE10hipError_tPvRmT3_T4_T5_T6_T7_T9_mT8_P12ihipStream_tbDpT10_ENKUlT_T0_E_clISt17integral_constantIbLb1EES1D_EEDaS18_S19_EUlS18_E_NS1_11comp_targetILNS1_3genE10ELNS1_11target_archE1200ELNS1_3gpuE4ELNS1_3repE0EEENS1_30default_config_static_selectorELNS0_4arch9wavefront6targetE0EEEvT1_,comdat
.Lfunc_end2506:
	.size	_ZN7rocprim17ROCPRIM_400000_NS6detail17trampoline_kernelINS0_14default_configENS1_25partition_config_selectorILNS1_17partition_subalgoE5ExNS0_10empty_typeEbEEZZNS1_14partition_implILS5_5ELb0ES3_mN6thrust23THRUST_200600_302600_NS6detail15normal_iteratorINSA_10device_ptrIxEEEEPS6_NSA_18transform_iteratorINSB_9not_fun_tI7is_trueIxEEENSC_INSD_IbEEEENSA_11use_defaultESO_EENS0_5tupleIJSF_S6_EEENSQ_IJSG_SG_EEES6_PlJS6_EEE10hipError_tPvRmT3_T4_T5_T6_T7_T9_mT8_P12ihipStream_tbDpT10_ENKUlT_T0_E_clISt17integral_constantIbLb1EES1D_EEDaS18_S19_EUlS18_E_NS1_11comp_targetILNS1_3genE10ELNS1_11target_archE1200ELNS1_3gpuE4ELNS1_3repE0EEENS1_30default_config_static_selectorELNS0_4arch9wavefront6targetE0EEEvT1_, .Lfunc_end2506-_ZN7rocprim17ROCPRIM_400000_NS6detail17trampoline_kernelINS0_14default_configENS1_25partition_config_selectorILNS1_17partition_subalgoE5ExNS0_10empty_typeEbEEZZNS1_14partition_implILS5_5ELb0ES3_mN6thrust23THRUST_200600_302600_NS6detail15normal_iteratorINSA_10device_ptrIxEEEEPS6_NSA_18transform_iteratorINSB_9not_fun_tI7is_trueIxEEENSC_INSD_IbEEEENSA_11use_defaultESO_EENS0_5tupleIJSF_S6_EEENSQ_IJSG_SG_EEES6_PlJS6_EEE10hipError_tPvRmT3_T4_T5_T6_T7_T9_mT8_P12ihipStream_tbDpT10_ENKUlT_T0_E_clISt17integral_constantIbLb1EES1D_EEDaS18_S19_EUlS18_E_NS1_11comp_targetILNS1_3genE10ELNS1_11target_archE1200ELNS1_3gpuE4ELNS1_3repE0EEENS1_30default_config_static_selectorELNS0_4arch9wavefront6targetE0EEEvT1_
                                        ; -- End function
	.set _ZN7rocprim17ROCPRIM_400000_NS6detail17trampoline_kernelINS0_14default_configENS1_25partition_config_selectorILNS1_17partition_subalgoE5ExNS0_10empty_typeEbEEZZNS1_14partition_implILS5_5ELb0ES3_mN6thrust23THRUST_200600_302600_NS6detail15normal_iteratorINSA_10device_ptrIxEEEEPS6_NSA_18transform_iteratorINSB_9not_fun_tI7is_trueIxEEENSC_INSD_IbEEEENSA_11use_defaultESO_EENS0_5tupleIJSF_S6_EEENSQ_IJSG_SG_EEES6_PlJS6_EEE10hipError_tPvRmT3_T4_T5_T6_T7_T9_mT8_P12ihipStream_tbDpT10_ENKUlT_T0_E_clISt17integral_constantIbLb1EES1D_EEDaS18_S19_EUlS18_E_NS1_11comp_targetILNS1_3genE10ELNS1_11target_archE1200ELNS1_3gpuE4ELNS1_3repE0EEENS1_30default_config_static_selectorELNS0_4arch9wavefront6targetE0EEEvT1_.num_vgpr, 0
	.set _ZN7rocprim17ROCPRIM_400000_NS6detail17trampoline_kernelINS0_14default_configENS1_25partition_config_selectorILNS1_17partition_subalgoE5ExNS0_10empty_typeEbEEZZNS1_14partition_implILS5_5ELb0ES3_mN6thrust23THRUST_200600_302600_NS6detail15normal_iteratorINSA_10device_ptrIxEEEEPS6_NSA_18transform_iteratorINSB_9not_fun_tI7is_trueIxEEENSC_INSD_IbEEEENSA_11use_defaultESO_EENS0_5tupleIJSF_S6_EEENSQ_IJSG_SG_EEES6_PlJS6_EEE10hipError_tPvRmT3_T4_T5_T6_T7_T9_mT8_P12ihipStream_tbDpT10_ENKUlT_T0_E_clISt17integral_constantIbLb1EES1D_EEDaS18_S19_EUlS18_E_NS1_11comp_targetILNS1_3genE10ELNS1_11target_archE1200ELNS1_3gpuE4ELNS1_3repE0EEENS1_30default_config_static_selectorELNS0_4arch9wavefront6targetE0EEEvT1_.num_agpr, 0
	.set _ZN7rocprim17ROCPRIM_400000_NS6detail17trampoline_kernelINS0_14default_configENS1_25partition_config_selectorILNS1_17partition_subalgoE5ExNS0_10empty_typeEbEEZZNS1_14partition_implILS5_5ELb0ES3_mN6thrust23THRUST_200600_302600_NS6detail15normal_iteratorINSA_10device_ptrIxEEEEPS6_NSA_18transform_iteratorINSB_9not_fun_tI7is_trueIxEEENSC_INSD_IbEEEENSA_11use_defaultESO_EENS0_5tupleIJSF_S6_EEENSQ_IJSG_SG_EEES6_PlJS6_EEE10hipError_tPvRmT3_T4_T5_T6_T7_T9_mT8_P12ihipStream_tbDpT10_ENKUlT_T0_E_clISt17integral_constantIbLb1EES1D_EEDaS18_S19_EUlS18_E_NS1_11comp_targetILNS1_3genE10ELNS1_11target_archE1200ELNS1_3gpuE4ELNS1_3repE0EEENS1_30default_config_static_selectorELNS0_4arch9wavefront6targetE0EEEvT1_.numbered_sgpr, 0
	.set _ZN7rocprim17ROCPRIM_400000_NS6detail17trampoline_kernelINS0_14default_configENS1_25partition_config_selectorILNS1_17partition_subalgoE5ExNS0_10empty_typeEbEEZZNS1_14partition_implILS5_5ELb0ES3_mN6thrust23THRUST_200600_302600_NS6detail15normal_iteratorINSA_10device_ptrIxEEEEPS6_NSA_18transform_iteratorINSB_9not_fun_tI7is_trueIxEEENSC_INSD_IbEEEENSA_11use_defaultESO_EENS0_5tupleIJSF_S6_EEENSQ_IJSG_SG_EEES6_PlJS6_EEE10hipError_tPvRmT3_T4_T5_T6_T7_T9_mT8_P12ihipStream_tbDpT10_ENKUlT_T0_E_clISt17integral_constantIbLb1EES1D_EEDaS18_S19_EUlS18_E_NS1_11comp_targetILNS1_3genE10ELNS1_11target_archE1200ELNS1_3gpuE4ELNS1_3repE0EEENS1_30default_config_static_selectorELNS0_4arch9wavefront6targetE0EEEvT1_.num_named_barrier, 0
	.set _ZN7rocprim17ROCPRIM_400000_NS6detail17trampoline_kernelINS0_14default_configENS1_25partition_config_selectorILNS1_17partition_subalgoE5ExNS0_10empty_typeEbEEZZNS1_14partition_implILS5_5ELb0ES3_mN6thrust23THRUST_200600_302600_NS6detail15normal_iteratorINSA_10device_ptrIxEEEEPS6_NSA_18transform_iteratorINSB_9not_fun_tI7is_trueIxEEENSC_INSD_IbEEEENSA_11use_defaultESO_EENS0_5tupleIJSF_S6_EEENSQ_IJSG_SG_EEES6_PlJS6_EEE10hipError_tPvRmT3_T4_T5_T6_T7_T9_mT8_P12ihipStream_tbDpT10_ENKUlT_T0_E_clISt17integral_constantIbLb1EES1D_EEDaS18_S19_EUlS18_E_NS1_11comp_targetILNS1_3genE10ELNS1_11target_archE1200ELNS1_3gpuE4ELNS1_3repE0EEENS1_30default_config_static_selectorELNS0_4arch9wavefront6targetE0EEEvT1_.private_seg_size, 0
	.set _ZN7rocprim17ROCPRIM_400000_NS6detail17trampoline_kernelINS0_14default_configENS1_25partition_config_selectorILNS1_17partition_subalgoE5ExNS0_10empty_typeEbEEZZNS1_14partition_implILS5_5ELb0ES3_mN6thrust23THRUST_200600_302600_NS6detail15normal_iteratorINSA_10device_ptrIxEEEEPS6_NSA_18transform_iteratorINSB_9not_fun_tI7is_trueIxEEENSC_INSD_IbEEEENSA_11use_defaultESO_EENS0_5tupleIJSF_S6_EEENSQ_IJSG_SG_EEES6_PlJS6_EEE10hipError_tPvRmT3_T4_T5_T6_T7_T9_mT8_P12ihipStream_tbDpT10_ENKUlT_T0_E_clISt17integral_constantIbLb1EES1D_EEDaS18_S19_EUlS18_E_NS1_11comp_targetILNS1_3genE10ELNS1_11target_archE1200ELNS1_3gpuE4ELNS1_3repE0EEENS1_30default_config_static_selectorELNS0_4arch9wavefront6targetE0EEEvT1_.uses_vcc, 0
	.set _ZN7rocprim17ROCPRIM_400000_NS6detail17trampoline_kernelINS0_14default_configENS1_25partition_config_selectorILNS1_17partition_subalgoE5ExNS0_10empty_typeEbEEZZNS1_14partition_implILS5_5ELb0ES3_mN6thrust23THRUST_200600_302600_NS6detail15normal_iteratorINSA_10device_ptrIxEEEEPS6_NSA_18transform_iteratorINSB_9not_fun_tI7is_trueIxEEENSC_INSD_IbEEEENSA_11use_defaultESO_EENS0_5tupleIJSF_S6_EEENSQ_IJSG_SG_EEES6_PlJS6_EEE10hipError_tPvRmT3_T4_T5_T6_T7_T9_mT8_P12ihipStream_tbDpT10_ENKUlT_T0_E_clISt17integral_constantIbLb1EES1D_EEDaS18_S19_EUlS18_E_NS1_11comp_targetILNS1_3genE10ELNS1_11target_archE1200ELNS1_3gpuE4ELNS1_3repE0EEENS1_30default_config_static_selectorELNS0_4arch9wavefront6targetE0EEEvT1_.uses_flat_scratch, 0
	.set _ZN7rocprim17ROCPRIM_400000_NS6detail17trampoline_kernelINS0_14default_configENS1_25partition_config_selectorILNS1_17partition_subalgoE5ExNS0_10empty_typeEbEEZZNS1_14partition_implILS5_5ELb0ES3_mN6thrust23THRUST_200600_302600_NS6detail15normal_iteratorINSA_10device_ptrIxEEEEPS6_NSA_18transform_iteratorINSB_9not_fun_tI7is_trueIxEEENSC_INSD_IbEEEENSA_11use_defaultESO_EENS0_5tupleIJSF_S6_EEENSQ_IJSG_SG_EEES6_PlJS6_EEE10hipError_tPvRmT3_T4_T5_T6_T7_T9_mT8_P12ihipStream_tbDpT10_ENKUlT_T0_E_clISt17integral_constantIbLb1EES1D_EEDaS18_S19_EUlS18_E_NS1_11comp_targetILNS1_3genE10ELNS1_11target_archE1200ELNS1_3gpuE4ELNS1_3repE0EEENS1_30default_config_static_selectorELNS0_4arch9wavefront6targetE0EEEvT1_.has_dyn_sized_stack, 0
	.set _ZN7rocprim17ROCPRIM_400000_NS6detail17trampoline_kernelINS0_14default_configENS1_25partition_config_selectorILNS1_17partition_subalgoE5ExNS0_10empty_typeEbEEZZNS1_14partition_implILS5_5ELb0ES3_mN6thrust23THRUST_200600_302600_NS6detail15normal_iteratorINSA_10device_ptrIxEEEEPS6_NSA_18transform_iteratorINSB_9not_fun_tI7is_trueIxEEENSC_INSD_IbEEEENSA_11use_defaultESO_EENS0_5tupleIJSF_S6_EEENSQ_IJSG_SG_EEES6_PlJS6_EEE10hipError_tPvRmT3_T4_T5_T6_T7_T9_mT8_P12ihipStream_tbDpT10_ENKUlT_T0_E_clISt17integral_constantIbLb1EES1D_EEDaS18_S19_EUlS18_E_NS1_11comp_targetILNS1_3genE10ELNS1_11target_archE1200ELNS1_3gpuE4ELNS1_3repE0EEENS1_30default_config_static_selectorELNS0_4arch9wavefront6targetE0EEEvT1_.has_recursion, 0
	.set _ZN7rocprim17ROCPRIM_400000_NS6detail17trampoline_kernelINS0_14default_configENS1_25partition_config_selectorILNS1_17partition_subalgoE5ExNS0_10empty_typeEbEEZZNS1_14partition_implILS5_5ELb0ES3_mN6thrust23THRUST_200600_302600_NS6detail15normal_iteratorINSA_10device_ptrIxEEEEPS6_NSA_18transform_iteratorINSB_9not_fun_tI7is_trueIxEEENSC_INSD_IbEEEENSA_11use_defaultESO_EENS0_5tupleIJSF_S6_EEENSQ_IJSG_SG_EEES6_PlJS6_EEE10hipError_tPvRmT3_T4_T5_T6_T7_T9_mT8_P12ihipStream_tbDpT10_ENKUlT_T0_E_clISt17integral_constantIbLb1EES1D_EEDaS18_S19_EUlS18_E_NS1_11comp_targetILNS1_3genE10ELNS1_11target_archE1200ELNS1_3gpuE4ELNS1_3repE0EEENS1_30default_config_static_selectorELNS0_4arch9wavefront6targetE0EEEvT1_.has_indirect_call, 0
	.section	.AMDGPU.csdata,"",@progbits
; Kernel info:
; codeLenInByte = 4
; TotalNumSgprs: 0
; NumVgprs: 0
; ScratchSize: 0
; MemoryBound: 0
; FloatMode: 240
; IeeeMode: 1
; LDSByteSize: 0 bytes/workgroup (compile time only)
; SGPRBlocks: 0
; VGPRBlocks: 0
; NumSGPRsForWavesPerEU: 1
; NumVGPRsForWavesPerEU: 1
; Occupancy: 16
; WaveLimiterHint : 0
; COMPUTE_PGM_RSRC2:SCRATCH_EN: 0
; COMPUTE_PGM_RSRC2:USER_SGPR: 2
; COMPUTE_PGM_RSRC2:TRAP_HANDLER: 0
; COMPUTE_PGM_RSRC2:TGID_X_EN: 1
; COMPUTE_PGM_RSRC2:TGID_Y_EN: 0
; COMPUTE_PGM_RSRC2:TGID_Z_EN: 0
; COMPUTE_PGM_RSRC2:TIDIG_COMP_CNT: 0
	.section	.text._ZN7rocprim17ROCPRIM_400000_NS6detail17trampoline_kernelINS0_14default_configENS1_25partition_config_selectorILNS1_17partition_subalgoE5ExNS0_10empty_typeEbEEZZNS1_14partition_implILS5_5ELb0ES3_mN6thrust23THRUST_200600_302600_NS6detail15normal_iteratorINSA_10device_ptrIxEEEEPS6_NSA_18transform_iteratorINSB_9not_fun_tI7is_trueIxEEENSC_INSD_IbEEEENSA_11use_defaultESO_EENS0_5tupleIJSF_S6_EEENSQ_IJSG_SG_EEES6_PlJS6_EEE10hipError_tPvRmT3_T4_T5_T6_T7_T9_mT8_P12ihipStream_tbDpT10_ENKUlT_T0_E_clISt17integral_constantIbLb1EES1D_EEDaS18_S19_EUlS18_E_NS1_11comp_targetILNS1_3genE9ELNS1_11target_archE1100ELNS1_3gpuE3ELNS1_3repE0EEENS1_30default_config_static_selectorELNS0_4arch9wavefront6targetE0EEEvT1_,"axG",@progbits,_ZN7rocprim17ROCPRIM_400000_NS6detail17trampoline_kernelINS0_14default_configENS1_25partition_config_selectorILNS1_17partition_subalgoE5ExNS0_10empty_typeEbEEZZNS1_14partition_implILS5_5ELb0ES3_mN6thrust23THRUST_200600_302600_NS6detail15normal_iteratorINSA_10device_ptrIxEEEEPS6_NSA_18transform_iteratorINSB_9not_fun_tI7is_trueIxEEENSC_INSD_IbEEEENSA_11use_defaultESO_EENS0_5tupleIJSF_S6_EEENSQ_IJSG_SG_EEES6_PlJS6_EEE10hipError_tPvRmT3_T4_T5_T6_T7_T9_mT8_P12ihipStream_tbDpT10_ENKUlT_T0_E_clISt17integral_constantIbLb1EES1D_EEDaS18_S19_EUlS18_E_NS1_11comp_targetILNS1_3genE9ELNS1_11target_archE1100ELNS1_3gpuE3ELNS1_3repE0EEENS1_30default_config_static_selectorELNS0_4arch9wavefront6targetE0EEEvT1_,comdat
	.protected	_ZN7rocprim17ROCPRIM_400000_NS6detail17trampoline_kernelINS0_14default_configENS1_25partition_config_selectorILNS1_17partition_subalgoE5ExNS0_10empty_typeEbEEZZNS1_14partition_implILS5_5ELb0ES3_mN6thrust23THRUST_200600_302600_NS6detail15normal_iteratorINSA_10device_ptrIxEEEEPS6_NSA_18transform_iteratorINSB_9not_fun_tI7is_trueIxEEENSC_INSD_IbEEEENSA_11use_defaultESO_EENS0_5tupleIJSF_S6_EEENSQ_IJSG_SG_EEES6_PlJS6_EEE10hipError_tPvRmT3_T4_T5_T6_T7_T9_mT8_P12ihipStream_tbDpT10_ENKUlT_T0_E_clISt17integral_constantIbLb1EES1D_EEDaS18_S19_EUlS18_E_NS1_11comp_targetILNS1_3genE9ELNS1_11target_archE1100ELNS1_3gpuE3ELNS1_3repE0EEENS1_30default_config_static_selectorELNS0_4arch9wavefront6targetE0EEEvT1_ ; -- Begin function _ZN7rocprim17ROCPRIM_400000_NS6detail17trampoline_kernelINS0_14default_configENS1_25partition_config_selectorILNS1_17partition_subalgoE5ExNS0_10empty_typeEbEEZZNS1_14partition_implILS5_5ELb0ES3_mN6thrust23THRUST_200600_302600_NS6detail15normal_iteratorINSA_10device_ptrIxEEEEPS6_NSA_18transform_iteratorINSB_9not_fun_tI7is_trueIxEEENSC_INSD_IbEEEENSA_11use_defaultESO_EENS0_5tupleIJSF_S6_EEENSQ_IJSG_SG_EEES6_PlJS6_EEE10hipError_tPvRmT3_T4_T5_T6_T7_T9_mT8_P12ihipStream_tbDpT10_ENKUlT_T0_E_clISt17integral_constantIbLb1EES1D_EEDaS18_S19_EUlS18_E_NS1_11comp_targetILNS1_3genE9ELNS1_11target_archE1100ELNS1_3gpuE3ELNS1_3repE0EEENS1_30default_config_static_selectorELNS0_4arch9wavefront6targetE0EEEvT1_
	.globl	_ZN7rocprim17ROCPRIM_400000_NS6detail17trampoline_kernelINS0_14default_configENS1_25partition_config_selectorILNS1_17partition_subalgoE5ExNS0_10empty_typeEbEEZZNS1_14partition_implILS5_5ELb0ES3_mN6thrust23THRUST_200600_302600_NS6detail15normal_iteratorINSA_10device_ptrIxEEEEPS6_NSA_18transform_iteratorINSB_9not_fun_tI7is_trueIxEEENSC_INSD_IbEEEENSA_11use_defaultESO_EENS0_5tupleIJSF_S6_EEENSQ_IJSG_SG_EEES6_PlJS6_EEE10hipError_tPvRmT3_T4_T5_T6_T7_T9_mT8_P12ihipStream_tbDpT10_ENKUlT_T0_E_clISt17integral_constantIbLb1EES1D_EEDaS18_S19_EUlS18_E_NS1_11comp_targetILNS1_3genE9ELNS1_11target_archE1100ELNS1_3gpuE3ELNS1_3repE0EEENS1_30default_config_static_selectorELNS0_4arch9wavefront6targetE0EEEvT1_
	.p2align	8
	.type	_ZN7rocprim17ROCPRIM_400000_NS6detail17trampoline_kernelINS0_14default_configENS1_25partition_config_selectorILNS1_17partition_subalgoE5ExNS0_10empty_typeEbEEZZNS1_14partition_implILS5_5ELb0ES3_mN6thrust23THRUST_200600_302600_NS6detail15normal_iteratorINSA_10device_ptrIxEEEEPS6_NSA_18transform_iteratorINSB_9not_fun_tI7is_trueIxEEENSC_INSD_IbEEEENSA_11use_defaultESO_EENS0_5tupleIJSF_S6_EEENSQ_IJSG_SG_EEES6_PlJS6_EEE10hipError_tPvRmT3_T4_T5_T6_T7_T9_mT8_P12ihipStream_tbDpT10_ENKUlT_T0_E_clISt17integral_constantIbLb1EES1D_EEDaS18_S19_EUlS18_E_NS1_11comp_targetILNS1_3genE9ELNS1_11target_archE1100ELNS1_3gpuE3ELNS1_3repE0EEENS1_30default_config_static_selectorELNS0_4arch9wavefront6targetE0EEEvT1_,@function
_ZN7rocprim17ROCPRIM_400000_NS6detail17trampoline_kernelINS0_14default_configENS1_25partition_config_selectorILNS1_17partition_subalgoE5ExNS0_10empty_typeEbEEZZNS1_14partition_implILS5_5ELb0ES3_mN6thrust23THRUST_200600_302600_NS6detail15normal_iteratorINSA_10device_ptrIxEEEEPS6_NSA_18transform_iteratorINSB_9not_fun_tI7is_trueIxEEENSC_INSD_IbEEEENSA_11use_defaultESO_EENS0_5tupleIJSF_S6_EEENSQ_IJSG_SG_EEES6_PlJS6_EEE10hipError_tPvRmT3_T4_T5_T6_T7_T9_mT8_P12ihipStream_tbDpT10_ENKUlT_T0_E_clISt17integral_constantIbLb1EES1D_EEDaS18_S19_EUlS18_E_NS1_11comp_targetILNS1_3genE9ELNS1_11target_archE1100ELNS1_3gpuE3ELNS1_3repE0EEENS1_30default_config_static_selectorELNS0_4arch9wavefront6targetE0EEEvT1_: ; @_ZN7rocprim17ROCPRIM_400000_NS6detail17trampoline_kernelINS0_14default_configENS1_25partition_config_selectorILNS1_17partition_subalgoE5ExNS0_10empty_typeEbEEZZNS1_14partition_implILS5_5ELb0ES3_mN6thrust23THRUST_200600_302600_NS6detail15normal_iteratorINSA_10device_ptrIxEEEEPS6_NSA_18transform_iteratorINSB_9not_fun_tI7is_trueIxEEENSC_INSD_IbEEEENSA_11use_defaultESO_EENS0_5tupleIJSF_S6_EEENSQ_IJSG_SG_EEES6_PlJS6_EEE10hipError_tPvRmT3_T4_T5_T6_T7_T9_mT8_P12ihipStream_tbDpT10_ENKUlT_T0_E_clISt17integral_constantIbLb1EES1D_EEDaS18_S19_EUlS18_E_NS1_11comp_targetILNS1_3genE9ELNS1_11target_archE1100ELNS1_3gpuE3ELNS1_3repE0EEENS1_30default_config_static_selectorELNS0_4arch9wavefront6targetE0EEEvT1_
; %bb.0:
	.section	.rodata,"a",@progbits
	.p2align	6, 0x0
	.amdhsa_kernel _ZN7rocprim17ROCPRIM_400000_NS6detail17trampoline_kernelINS0_14default_configENS1_25partition_config_selectorILNS1_17partition_subalgoE5ExNS0_10empty_typeEbEEZZNS1_14partition_implILS5_5ELb0ES3_mN6thrust23THRUST_200600_302600_NS6detail15normal_iteratorINSA_10device_ptrIxEEEEPS6_NSA_18transform_iteratorINSB_9not_fun_tI7is_trueIxEEENSC_INSD_IbEEEENSA_11use_defaultESO_EENS0_5tupleIJSF_S6_EEENSQ_IJSG_SG_EEES6_PlJS6_EEE10hipError_tPvRmT3_T4_T5_T6_T7_T9_mT8_P12ihipStream_tbDpT10_ENKUlT_T0_E_clISt17integral_constantIbLb1EES1D_EEDaS18_S19_EUlS18_E_NS1_11comp_targetILNS1_3genE9ELNS1_11target_archE1100ELNS1_3gpuE3ELNS1_3repE0EEENS1_30default_config_static_selectorELNS0_4arch9wavefront6targetE0EEEvT1_
		.amdhsa_group_segment_fixed_size 0
		.amdhsa_private_segment_fixed_size 0
		.amdhsa_kernarg_size 136
		.amdhsa_user_sgpr_count 2
		.amdhsa_user_sgpr_dispatch_ptr 0
		.amdhsa_user_sgpr_queue_ptr 0
		.amdhsa_user_sgpr_kernarg_segment_ptr 1
		.amdhsa_user_sgpr_dispatch_id 0
		.amdhsa_user_sgpr_private_segment_size 0
		.amdhsa_wavefront_size32 1
		.amdhsa_uses_dynamic_stack 0
		.amdhsa_enable_private_segment 0
		.amdhsa_system_sgpr_workgroup_id_x 1
		.amdhsa_system_sgpr_workgroup_id_y 0
		.amdhsa_system_sgpr_workgroup_id_z 0
		.amdhsa_system_sgpr_workgroup_info 0
		.amdhsa_system_vgpr_workitem_id 0
		.amdhsa_next_free_vgpr 1
		.amdhsa_next_free_sgpr 1
		.amdhsa_reserve_vcc 0
		.amdhsa_float_round_mode_32 0
		.amdhsa_float_round_mode_16_64 0
		.amdhsa_float_denorm_mode_32 3
		.amdhsa_float_denorm_mode_16_64 3
		.amdhsa_fp16_overflow 0
		.amdhsa_workgroup_processor_mode 1
		.amdhsa_memory_ordered 1
		.amdhsa_forward_progress 1
		.amdhsa_inst_pref_size 0
		.amdhsa_round_robin_scheduling 0
		.amdhsa_exception_fp_ieee_invalid_op 0
		.amdhsa_exception_fp_denorm_src 0
		.amdhsa_exception_fp_ieee_div_zero 0
		.amdhsa_exception_fp_ieee_overflow 0
		.amdhsa_exception_fp_ieee_underflow 0
		.amdhsa_exception_fp_ieee_inexact 0
		.amdhsa_exception_int_div_zero 0
	.end_amdhsa_kernel
	.section	.text._ZN7rocprim17ROCPRIM_400000_NS6detail17trampoline_kernelINS0_14default_configENS1_25partition_config_selectorILNS1_17partition_subalgoE5ExNS0_10empty_typeEbEEZZNS1_14partition_implILS5_5ELb0ES3_mN6thrust23THRUST_200600_302600_NS6detail15normal_iteratorINSA_10device_ptrIxEEEEPS6_NSA_18transform_iteratorINSB_9not_fun_tI7is_trueIxEEENSC_INSD_IbEEEENSA_11use_defaultESO_EENS0_5tupleIJSF_S6_EEENSQ_IJSG_SG_EEES6_PlJS6_EEE10hipError_tPvRmT3_T4_T5_T6_T7_T9_mT8_P12ihipStream_tbDpT10_ENKUlT_T0_E_clISt17integral_constantIbLb1EES1D_EEDaS18_S19_EUlS18_E_NS1_11comp_targetILNS1_3genE9ELNS1_11target_archE1100ELNS1_3gpuE3ELNS1_3repE0EEENS1_30default_config_static_selectorELNS0_4arch9wavefront6targetE0EEEvT1_,"axG",@progbits,_ZN7rocprim17ROCPRIM_400000_NS6detail17trampoline_kernelINS0_14default_configENS1_25partition_config_selectorILNS1_17partition_subalgoE5ExNS0_10empty_typeEbEEZZNS1_14partition_implILS5_5ELb0ES3_mN6thrust23THRUST_200600_302600_NS6detail15normal_iteratorINSA_10device_ptrIxEEEEPS6_NSA_18transform_iteratorINSB_9not_fun_tI7is_trueIxEEENSC_INSD_IbEEEENSA_11use_defaultESO_EENS0_5tupleIJSF_S6_EEENSQ_IJSG_SG_EEES6_PlJS6_EEE10hipError_tPvRmT3_T4_T5_T6_T7_T9_mT8_P12ihipStream_tbDpT10_ENKUlT_T0_E_clISt17integral_constantIbLb1EES1D_EEDaS18_S19_EUlS18_E_NS1_11comp_targetILNS1_3genE9ELNS1_11target_archE1100ELNS1_3gpuE3ELNS1_3repE0EEENS1_30default_config_static_selectorELNS0_4arch9wavefront6targetE0EEEvT1_,comdat
.Lfunc_end2507:
	.size	_ZN7rocprim17ROCPRIM_400000_NS6detail17trampoline_kernelINS0_14default_configENS1_25partition_config_selectorILNS1_17partition_subalgoE5ExNS0_10empty_typeEbEEZZNS1_14partition_implILS5_5ELb0ES3_mN6thrust23THRUST_200600_302600_NS6detail15normal_iteratorINSA_10device_ptrIxEEEEPS6_NSA_18transform_iteratorINSB_9not_fun_tI7is_trueIxEEENSC_INSD_IbEEEENSA_11use_defaultESO_EENS0_5tupleIJSF_S6_EEENSQ_IJSG_SG_EEES6_PlJS6_EEE10hipError_tPvRmT3_T4_T5_T6_T7_T9_mT8_P12ihipStream_tbDpT10_ENKUlT_T0_E_clISt17integral_constantIbLb1EES1D_EEDaS18_S19_EUlS18_E_NS1_11comp_targetILNS1_3genE9ELNS1_11target_archE1100ELNS1_3gpuE3ELNS1_3repE0EEENS1_30default_config_static_selectorELNS0_4arch9wavefront6targetE0EEEvT1_, .Lfunc_end2507-_ZN7rocprim17ROCPRIM_400000_NS6detail17trampoline_kernelINS0_14default_configENS1_25partition_config_selectorILNS1_17partition_subalgoE5ExNS0_10empty_typeEbEEZZNS1_14partition_implILS5_5ELb0ES3_mN6thrust23THRUST_200600_302600_NS6detail15normal_iteratorINSA_10device_ptrIxEEEEPS6_NSA_18transform_iteratorINSB_9not_fun_tI7is_trueIxEEENSC_INSD_IbEEEENSA_11use_defaultESO_EENS0_5tupleIJSF_S6_EEENSQ_IJSG_SG_EEES6_PlJS6_EEE10hipError_tPvRmT3_T4_T5_T6_T7_T9_mT8_P12ihipStream_tbDpT10_ENKUlT_T0_E_clISt17integral_constantIbLb1EES1D_EEDaS18_S19_EUlS18_E_NS1_11comp_targetILNS1_3genE9ELNS1_11target_archE1100ELNS1_3gpuE3ELNS1_3repE0EEENS1_30default_config_static_selectorELNS0_4arch9wavefront6targetE0EEEvT1_
                                        ; -- End function
	.set _ZN7rocprim17ROCPRIM_400000_NS6detail17trampoline_kernelINS0_14default_configENS1_25partition_config_selectorILNS1_17partition_subalgoE5ExNS0_10empty_typeEbEEZZNS1_14partition_implILS5_5ELb0ES3_mN6thrust23THRUST_200600_302600_NS6detail15normal_iteratorINSA_10device_ptrIxEEEEPS6_NSA_18transform_iteratorINSB_9not_fun_tI7is_trueIxEEENSC_INSD_IbEEEENSA_11use_defaultESO_EENS0_5tupleIJSF_S6_EEENSQ_IJSG_SG_EEES6_PlJS6_EEE10hipError_tPvRmT3_T4_T5_T6_T7_T9_mT8_P12ihipStream_tbDpT10_ENKUlT_T0_E_clISt17integral_constantIbLb1EES1D_EEDaS18_S19_EUlS18_E_NS1_11comp_targetILNS1_3genE9ELNS1_11target_archE1100ELNS1_3gpuE3ELNS1_3repE0EEENS1_30default_config_static_selectorELNS0_4arch9wavefront6targetE0EEEvT1_.num_vgpr, 0
	.set _ZN7rocprim17ROCPRIM_400000_NS6detail17trampoline_kernelINS0_14default_configENS1_25partition_config_selectorILNS1_17partition_subalgoE5ExNS0_10empty_typeEbEEZZNS1_14partition_implILS5_5ELb0ES3_mN6thrust23THRUST_200600_302600_NS6detail15normal_iteratorINSA_10device_ptrIxEEEEPS6_NSA_18transform_iteratorINSB_9not_fun_tI7is_trueIxEEENSC_INSD_IbEEEENSA_11use_defaultESO_EENS0_5tupleIJSF_S6_EEENSQ_IJSG_SG_EEES6_PlJS6_EEE10hipError_tPvRmT3_T4_T5_T6_T7_T9_mT8_P12ihipStream_tbDpT10_ENKUlT_T0_E_clISt17integral_constantIbLb1EES1D_EEDaS18_S19_EUlS18_E_NS1_11comp_targetILNS1_3genE9ELNS1_11target_archE1100ELNS1_3gpuE3ELNS1_3repE0EEENS1_30default_config_static_selectorELNS0_4arch9wavefront6targetE0EEEvT1_.num_agpr, 0
	.set _ZN7rocprim17ROCPRIM_400000_NS6detail17trampoline_kernelINS0_14default_configENS1_25partition_config_selectorILNS1_17partition_subalgoE5ExNS0_10empty_typeEbEEZZNS1_14partition_implILS5_5ELb0ES3_mN6thrust23THRUST_200600_302600_NS6detail15normal_iteratorINSA_10device_ptrIxEEEEPS6_NSA_18transform_iteratorINSB_9not_fun_tI7is_trueIxEEENSC_INSD_IbEEEENSA_11use_defaultESO_EENS0_5tupleIJSF_S6_EEENSQ_IJSG_SG_EEES6_PlJS6_EEE10hipError_tPvRmT3_T4_T5_T6_T7_T9_mT8_P12ihipStream_tbDpT10_ENKUlT_T0_E_clISt17integral_constantIbLb1EES1D_EEDaS18_S19_EUlS18_E_NS1_11comp_targetILNS1_3genE9ELNS1_11target_archE1100ELNS1_3gpuE3ELNS1_3repE0EEENS1_30default_config_static_selectorELNS0_4arch9wavefront6targetE0EEEvT1_.numbered_sgpr, 0
	.set _ZN7rocprim17ROCPRIM_400000_NS6detail17trampoline_kernelINS0_14default_configENS1_25partition_config_selectorILNS1_17partition_subalgoE5ExNS0_10empty_typeEbEEZZNS1_14partition_implILS5_5ELb0ES3_mN6thrust23THRUST_200600_302600_NS6detail15normal_iteratorINSA_10device_ptrIxEEEEPS6_NSA_18transform_iteratorINSB_9not_fun_tI7is_trueIxEEENSC_INSD_IbEEEENSA_11use_defaultESO_EENS0_5tupleIJSF_S6_EEENSQ_IJSG_SG_EEES6_PlJS6_EEE10hipError_tPvRmT3_T4_T5_T6_T7_T9_mT8_P12ihipStream_tbDpT10_ENKUlT_T0_E_clISt17integral_constantIbLb1EES1D_EEDaS18_S19_EUlS18_E_NS1_11comp_targetILNS1_3genE9ELNS1_11target_archE1100ELNS1_3gpuE3ELNS1_3repE0EEENS1_30default_config_static_selectorELNS0_4arch9wavefront6targetE0EEEvT1_.num_named_barrier, 0
	.set _ZN7rocprim17ROCPRIM_400000_NS6detail17trampoline_kernelINS0_14default_configENS1_25partition_config_selectorILNS1_17partition_subalgoE5ExNS0_10empty_typeEbEEZZNS1_14partition_implILS5_5ELb0ES3_mN6thrust23THRUST_200600_302600_NS6detail15normal_iteratorINSA_10device_ptrIxEEEEPS6_NSA_18transform_iteratorINSB_9not_fun_tI7is_trueIxEEENSC_INSD_IbEEEENSA_11use_defaultESO_EENS0_5tupleIJSF_S6_EEENSQ_IJSG_SG_EEES6_PlJS6_EEE10hipError_tPvRmT3_T4_T5_T6_T7_T9_mT8_P12ihipStream_tbDpT10_ENKUlT_T0_E_clISt17integral_constantIbLb1EES1D_EEDaS18_S19_EUlS18_E_NS1_11comp_targetILNS1_3genE9ELNS1_11target_archE1100ELNS1_3gpuE3ELNS1_3repE0EEENS1_30default_config_static_selectorELNS0_4arch9wavefront6targetE0EEEvT1_.private_seg_size, 0
	.set _ZN7rocprim17ROCPRIM_400000_NS6detail17trampoline_kernelINS0_14default_configENS1_25partition_config_selectorILNS1_17partition_subalgoE5ExNS0_10empty_typeEbEEZZNS1_14partition_implILS5_5ELb0ES3_mN6thrust23THRUST_200600_302600_NS6detail15normal_iteratorINSA_10device_ptrIxEEEEPS6_NSA_18transform_iteratorINSB_9not_fun_tI7is_trueIxEEENSC_INSD_IbEEEENSA_11use_defaultESO_EENS0_5tupleIJSF_S6_EEENSQ_IJSG_SG_EEES6_PlJS6_EEE10hipError_tPvRmT3_T4_T5_T6_T7_T9_mT8_P12ihipStream_tbDpT10_ENKUlT_T0_E_clISt17integral_constantIbLb1EES1D_EEDaS18_S19_EUlS18_E_NS1_11comp_targetILNS1_3genE9ELNS1_11target_archE1100ELNS1_3gpuE3ELNS1_3repE0EEENS1_30default_config_static_selectorELNS0_4arch9wavefront6targetE0EEEvT1_.uses_vcc, 0
	.set _ZN7rocprim17ROCPRIM_400000_NS6detail17trampoline_kernelINS0_14default_configENS1_25partition_config_selectorILNS1_17partition_subalgoE5ExNS0_10empty_typeEbEEZZNS1_14partition_implILS5_5ELb0ES3_mN6thrust23THRUST_200600_302600_NS6detail15normal_iteratorINSA_10device_ptrIxEEEEPS6_NSA_18transform_iteratorINSB_9not_fun_tI7is_trueIxEEENSC_INSD_IbEEEENSA_11use_defaultESO_EENS0_5tupleIJSF_S6_EEENSQ_IJSG_SG_EEES6_PlJS6_EEE10hipError_tPvRmT3_T4_T5_T6_T7_T9_mT8_P12ihipStream_tbDpT10_ENKUlT_T0_E_clISt17integral_constantIbLb1EES1D_EEDaS18_S19_EUlS18_E_NS1_11comp_targetILNS1_3genE9ELNS1_11target_archE1100ELNS1_3gpuE3ELNS1_3repE0EEENS1_30default_config_static_selectorELNS0_4arch9wavefront6targetE0EEEvT1_.uses_flat_scratch, 0
	.set _ZN7rocprim17ROCPRIM_400000_NS6detail17trampoline_kernelINS0_14default_configENS1_25partition_config_selectorILNS1_17partition_subalgoE5ExNS0_10empty_typeEbEEZZNS1_14partition_implILS5_5ELb0ES3_mN6thrust23THRUST_200600_302600_NS6detail15normal_iteratorINSA_10device_ptrIxEEEEPS6_NSA_18transform_iteratorINSB_9not_fun_tI7is_trueIxEEENSC_INSD_IbEEEENSA_11use_defaultESO_EENS0_5tupleIJSF_S6_EEENSQ_IJSG_SG_EEES6_PlJS6_EEE10hipError_tPvRmT3_T4_T5_T6_T7_T9_mT8_P12ihipStream_tbDpT10_ENKUlT_T0_E_clISt17integral_constantIbLb1EES1D_EEDaS18_S19_EUlS18_E_NS1_11comp_targetILNS1_3genE9ELNS1_11target_archE1100ELNS1_3gpuE3ELNS1_3repE0EEENS1_30default_config_static_selectorELNS0_4arch9wavefront6targetE0EEEvT1_.has_dyn_sized_stack, 0
	.set _ZN7rocprim17ROCPRIM_400000_NS6detail17trampoline_kernelINS0_14default_configENS1_25partition_config_selectorILNS1_17partition_subalgoE5ExNS0_10empty_typeEbEEZZNS1_14partition_implILS5_5ELb0ES3_mN6thrust23THRUST_200600_302600_NS6detail15normal_iteratorINSA_10device_ptrIxEEEEPS6_NSA_18transform_iteratorINSB_9not_fun_tI7is_trueIxEEENSC_INSD_IbEEEENSA_11use_defaultESO_EENS0_5tupleIJSF_S6_EEENSQ_IJSG_SG_EEES6_PlJS6_EEE10hipError_tPvRmT3_T4_T5_T6_T7_T9_mT8_P12ihipStream_tbDpT10_ENKUlT_T0_E_clISt17integral_constantIbLb1EES1D_EEDaS18_S19_EUlS18_E_NS1_11comp_targetILNS1_3genE9ELNS1_11target_archE1100ELNS1_3gpuE3ELNS1_3repE0EEENS1_30default_config_static_selectorELNS0_4arch9wavefront6targetE0EEEvT1_.has_recursion, 0
	.set _ZN7rocprim17ROCPRIM_400000_NS6detail17trampoline_kernelINS0_14default_configENS1_25partition_config_selectorILNS1_17partition_subalgoE5ExNS0_10empty_typeEbEEZZNS1_14partition_implILS5_5ELb0ES3_mN6thrust23THRUST_200600_302600_NS6detail15normal_iteratorINSA_10device_ptrIxEEEEPS6_NSA_18transform_iteratorINSB_9not_fun_tI7is_trueIxEEENSC_INSD_IbEEEENSA_11use_defaultESO_EENS0_5tupleIJSF_S6_EEENSQ_IJSG_SG_EEES6_PlJS6_EEE10hipError_tPvRmT3_T4_T5_T6_T7_T9_mT8_P12ihipStream_tbDpT10_ENKUlT_T0_E_clISt17integral_constantIbLb1EES1D_EEDaS18_S19_EUlS18_E_NS1_11comp_targetILNS1_3genE9ELNS1_11target_archE1100ELNS1_3gpuE3ELNS1_3repE0EEENS1_30default_config_static_selectorELNS0_4arch9wavefront6targetE0EEEvT1_.has_indirect_call, 0
	.section	.AMDGPU.csdata,"",@progbits
; Kernel info:
; codeLenInByte = 0
; TotalNumSgprs: 0
; NumVgprs: 0
; ScratchSize: 0
; MemoryBound: 0
; FloatMode: 240
; IeeeMode: 1
; LDSByteSize: 0 bytes/workgroup (compile time only)
; SGPRBlocks: 0
; VGPRBlocks: 0
; NumSGPRsForWavesPerEU: 1
; NumVGPRsForWavesPerEU: 1
; Occupancy: 16
; WaveLimiterHint : 0
; COMPUTE_PGM_RSRC2:SCRATCH_EN: 0
; COMPUTE_PGM_RSRC2:USER_SGPR: 2
; COMPUTE_PGM_RSRC2:TRAP_HANDLER: 0
; COMPUTE_PGM_RSRC2:TGID_X_EN: 1
; COMPUTE_PGM_RSRC2:TGID_Y_EN: 0
; COMPUTE_PGM_RSRC2:TGID_Z_EN: 0
; COMPUTE_PGM_RSRC2:TIDIG_COMP_CNT: 0
	.section	.text._ZN7rocprim17ROCPRIM_400000_NS6detail17trampoline_kernelINS0_14default_configENS1_25partition_config_selectorILNS1_17partition_subalgoE5ExNS0_10empty_typeEbEEZZNS1_14partition_implILS5_5ELb0ES3_mN6thrust23THRUST_200600_302600_NS6detail15normal_iteratorINSA_10device_ptrIxEEEEPS6_NSA_18transform_iteratorINSB_9not_fun_tI7is_trueIxEEENSC_INSD_IbEEEENSA_11use_defaultESO_EENS0_5tupleIJSF_S6_EEENSQ_IJSG_SG_EEES6_PlJS6_EEE10hipError_tPvRmT3_T4_T5_T6_T7_T9_mT8_P12ihipStream_tbDpT10_ENKUlT_T0_E_clISt17integral_constantIbLb1EES1D_EEDaS18_S19_EUlS18_E_NS1_11comp_targetILNS1_3genE8ELNS1_11target_archE1030ELNS1_3gpuE2ELNS1_3repE0EEENS1_30default_config_static_selectorELNS0_4arch9wavefront6targetE0EEEvT1_,"axG",@progbits,_ZN7rocprim17ROCPRIM_400000_NS6detail17trampoline_kernelINS0_14default_configENS1_25partition_config_selectorILNS1_17partition_subalgoE5ExNS0_10empty_typeEbEEZZNS1_14partition_implILS5_5ELb0ES3_mN6thrust23THRUST_200600_302600_NS6detail15normal_iteratorINSA_10device_ptrIxEEEEPS6_NSA_18transform_iteratorINSB_9not_fun_tI7is_trueIxEEENSC_INSD_IbEEEENSA_11use_defaultESO_EENS0_5tupleIJSF_S6_EEENSQ_IJSG_SG_EEES6_PlJS6_EEE10hipError_tPvRmT3_T4_T5_T6_T7_T9_mT8_P12ihipStream_tbDpT10_ENKUlT_T0_E_clISt17integral_constantIbLb1EES1D_EEDaS18_S19_EUlS18_E_NS1_11comp_targetILNS1_3genE8ELNS1_11target_archE1030ELNS1_3gpuE2ELNS1_3repE0EEENS1_30default_config_static_selectorELNS0_4arch9wavefront6targetE0EEEvT1_,comdat
	.protected	_ZN7rocprim17ROCPRIM_400000_NS6detail17trampoline_kernelINS0_14default_configENS1_25partition_config_selectorILNS1_17partition_subalgoE5ExNS0_10empty_typeEbEEZZNS1_14partition_implILS5_5ELb0ES3_mN6thrust23THRUST_200600_302600_NS6detail15normal_iteratorINSA_10device_ptrIxEEEEPS6_NSA_18transform_iteratorINSB_9not_fun_tI7is_trueIxEEENSC_INSD_IbEEEENSA_11use_defaultESO_EENS0_5tupleIJSF_S6_EEENSQ_IJSG_SG_EEES6_PlJS6_EEE10hipError_tPvRmT3_T4_T5_T6_T7_T9_mT8_P12ihipStream_tbDpT10_ENKUlT_T0_E_clISt17integral_constantIbLb1EES1D_EEDaS18_S19_EUlS18_E_NS1_11comp_targetILNS1_3genE8ELNS1_11target_archE1030ELNS1_3gpuE2ELNS1_3repE0EEENS1_30default_config_static_selectorELNS0_4arch9wavefront6targetE0EEEvT1_ ; -- Begin function _ZN7rocprim17ROCPRIM_400000_NS6detail17trampoline_kernelINS0_14default_configENS1_25partition_config_selectorILNS1_17partition_subalgoE5ExNS0_10empty_typeEbEEZZNS1_14partition_implILS5_5ELb0ES3_mN6thrust23THRUST_200600_302600_NS6detail15normal_iteratorINSA_10device_ptrIxEEEEPS6_NSA_18transform_iteratorINSB_9not_fun_tI7is_trueIxEEENSC_INSD_IbEEEENSA_11use_defaultESO_EENS0_5tupleIJSF_S6_EEENSQ_IJSG_SG_EEES6_PlJS6_EEE10hipError_tPvRmT3_T4_T5_T6_T7_T9_mT8_P12ihipStream_tbDpT10_ENKUlT_T0_E_clISt17integral_constantIbLb1EES1D_EEDaS18_S19_EUlS18_E_NS1_11comp_targetILNS1_3genE8ELNS1_11target_archE1030ELNS1_3gpuE2ELNS1_3repE0EEENS1_30default_config_static_selectorELNS0_4arch9wavefront6targetE0EEEvT1_
	.globl	_ZN7rocprim17ROCPRIM_400000_NS6detail17trampoline_kernelINS0_14default_configENS1_25partition_config_selectorILNS1_17partition_subalgoE5ExNS0_10empty_typeEbEEZZNS1_14partition_implILS5_5ELb0ES3_mN6thrust23THRUST_200600_302600_NS6detail15normal_iteratorINSA_10device_ptrIxEEEEPS6_NSA_18transform_iteratorINSB_9not_fun_tI7is_trueIxEEENSC_INSD_IbEEEENSA_11use_defaultESO_EENS0_5tupleIJSF_S6_EEENSQ_IJSG_SG_EEES6_PlJS6_EEE10hipError_tPvRmT3_T4_T5_T6_T7_T9_mT8_P12ihipStream_tbDpT10_ENKUlT_T0_E_clISt17integral_constantIbLb1EES1D_EEDaS18_S19_EUlS18_E_NS1_11comp_targetILNS1_3genE8ELNS1_11target_archE1030ELNS1_3gpuE2ELNS1_3repE0EEENS1_30default_config_static_selectorELNS0_4arch9wavefront6targetE0EEEvT1_
	.p2align	8
	.type	_ZN7rocprim17ROCPRIM_400000_NS6detail17trampoline_kernelINS0_14default_configENS1_25partition_config_selectorILNS1_17partition_subalgoE5ExNS0_10empty_typeEbEEZZNS1_14partition_implILS5_5ELb0ES3_mN6thrust23THRUST_200600_302600_NS6detail15normal_iteratorINSA_10device_ptrIxEEEEPS6_NSA_18transform_iteratorINSB_9not_fun_tI7is_trueIxEEENSC_INSD_IbEEEENSA_11use_defaultESO_EENS0_5tupleIJSF_S6_EEENSQ_IJSG_SG_EEES6_PlJS6_EEE10hipError_tPvRmT3_T4_T5_T6_T7_T9_mT8_P12ihipStream_tbDpT10_ENKUlT_T0_E_clISt17integral_constantIbLb1EES1D_EEDaS18_S19_EUlS18_E_NS1_11comp_targetILNS1_3genE8ELNS1_11target_archE1030ELNS1_3gpuE2ELNS1_3repE0EEENS1_30default_config_static_selectorELNS0_4arch9wavefront6targetE0EEEvT1_,@function
_ZN7rocprim17ROCPRIM_400000_NS6detail17trampoline_kernelINS0_14default_configENS1_25partition_config_selectorILNS1_17partition_subalgoE5ExNS0_10empty_typeEbEEZZNS1_14partition_implILS5_5ELb0ES3_mN6thrust23THRUST_200600_302600_NS6detail15normal_iteratorINSA_10device_ptrIxEEEEPS6_NSA_18transform_iteratorINSB_9not_fun_tI7is_trueIxEEENSC_INSD_IbEEEENSA_11use_defaultESO_EENS0_5tupleIJSF_S6_EEENSQ_IJSG_SG_EEES6_PlJS6_EEE10hipError_tPvRmT3_T4_T5_T6_T7_T9_mT8_P12ihipStream_tbDpT10_ENKUlT_T0_E_clISt17integral_constantIbLb1EES1D_EEDaS18_S19_EUlS18_E_NS1_11comp_targetILNS1_3genE8ELNS1_11target_archE1030ELNS1_3gpuE2ELNS1_3repE0EEENS1_30default_config_static_selectorELNS0_4arch9wavefront6targetE0EEEvT1_: ; @_ZN7rocprim17ROCPRIM_400000_NS6detail17trampoline_kernelINS0_14default_configENS1_25partition_config_selectorILNS1_17partition_subalgoE5ExNS0_10empty_typeEbEEZZNS1_14partition_implILS5_5ELb0ES3_mN6thrust23THRUST_200600_302600_NS6detail15normal_iteratorINSA_10device_ptrIxEEEEPS6_NSA_18transform_iteratorINSB_9not_fun_tI7is_trueIxEEENSC_INSD_IbEEEENSA_11use_defaultESO_EENS0_5tupleIJSF_S6_EEENSQ_IJSG_SG_EEES6_PlJS6_EEE10hipError_tPvRmT3_T4_T5_T6_T7_T9_mT8_P12ihipStream_tbDpT10_ENKUlT_T0_E_clISt17integral_constantIbLb1EES1D_EEDaS18_S19_EUlS18_E_NS1_11comp_targetILNS1_3genE8ELNS1_11target_archE1030ELNS1_3gpuE2ELNS1_3repE0EEENS1_30default_config_static_selectorELNS0_4arch9wavefront6targetE0EEEvT1_
; %bb.0:
	.section	.rodata,"a",@progbits
	.p2align	6, 0x0
	.amdhsa_kernel _ZN7rocprim17ROCPRIM_400000_NS6detail17trampoline_kernelINS0_14default_configENS1_25partition_config_selectorILNS1_17partition_subalgoE5ExNS0_10empty_typeEbEEZZNS1_14partition_implILS5_5ELb0ES3_mN6thrust23THRUST_200600_302600_NS6detail15normal_iteratorINSA_10device_ptrIxEEEEPS6_NSA_18transform_iteratorINSB_9not_fun_tI7is_trueIxEEENSC_INSD_IbEEEENSA_11use_defaultESO_EENS0_5tupleIJSF_S6_EEENSQ_IJSG_SG_EEES6_PlJS6_EEE10hipError_tPvRmT3_T4_T5_T6_T7_T9_mT8_P12ihipStream_tbDpT10_ENKUlT_T0_E_clISt17integral_constantIbLb1EES1D_EEDaS18_S19_EUlS18_E_NS1_11comp_targetILNS1_3genE8ELNS1_11target_archE1030ELNS1_3gpuE2ELNS1_3repE0EEENS1_30default_config_static_selectorELNS0_4arch9wavefront6targetE0EEEvT1_
		.amdhsa_group_segment_fixed_size 0
		.amdhsa_private_segment_fixed_size 0
		.amdhsa_kernarg_size 136
		.amdhsa_user_sgpr_count 2
		.amdhsa_user_sgpr_dispatch_ptr 0
		.amdhsa_user_sgpr_queue_ptr 0
		.amdhsa_user_sgpr_kernarg_segment_ptr 1
		.amdhsa_user_sgpr_dispatch_id 0
		.amdhsa_user_sgpr_private_segment_size 0
		.amdhsa_wavefront_size32 1
		.amdhsa_uses_dynamic_stack 0
		.amdhsa_enable_private_segment 0
		.amdhsa_system_sgpr_workgroup_id_x 1
		.amdhsa_system_sgpr_workgroup_id_y 0
		.amdhsa_system_sgpr_workgroup_id_z 0
		.amdhsa_system_sgpr_workgroup_info 0
		.amdhsa_system_vgpr_workitem_id 0
		.amdhsa_next_free_vgpr 1
		.amdhsa_next_free_sgpr 1
		.amdhsa_reserve_vcc 0
		.amdhsa_float_round_mode_32 0
		.amdhsa_float_round_mode_16_64 0
		.amdhsa_float_denorm_mode_32 3
		.amdhsa_float_denorm_mode_16_64 3
		.amdhsa_fp16_overflow 0
		.amdhsa_workgroup_processor_mode 1
		.amdhsa_memory_ordered 1
		.amdhsa_forward_progress 1
		.amdhsa_inst_pref_size 0
		.amdhsa_round_robin_scheduling 0
		.amdhsa_exception_fp_ieee_invalid_op 0
		.amdhsa_exception_fp_denorm_src 0
		.amdhsa_exception_fp_ieee_div_zero 0
		.amdhsa_exception_fp_ieee_overflow 0
		.amdhsa_exception_fp_ieee_underflow 0
		.amdhsa_exception_fp_ieee_inexact 0
		.amdhsa_exception_int_div_zero 0
	.end_amdhsa_kernel
	.section	.text._ZN7rocprim17ROCPRIM_400000_NS6detail17trampoline_kernelINS0_14default_configENS1_25partition_config_selectorILNS1_17partition_subalgoE5ExNS0_10empty_typeEbEEZZNS1_14partition_implILS5_5ELb0ES3_mN6thrust23THRUST_200600_302600_NS6detail15normal_iteratorINSA_10device_ptrIxEEEEPS6_NSA_18transform_iteratorINSB_9not_fun_tI7is_trueIxEEENSC_INSD_IbEEEENSA_11use_defaultESO_EENS0_5tupleIJSF_S6_EEENSQ_IJSG_SG_EEES6_PlJS6_EEE10hipError_tPvRmT3_T4_T5_T6_T7_T9_mT8_P12ihipStream_tbDpT10_ENKUlT_T0_E_clISt17integral_constantIbLb1EES1D_EEDaS18_S19_EUlS18_E_NS1_11comp_targetILNS1_3genE8ELNS1_11target_archE1030ELNS1_3gpuE2ELNS1_3repE0EEENS1_30default_config_static_selectorELNS0_4arch9wavefront6targetE0EEEvT1_,"axG",@progbits,_ZN7rocprim17ROCPRIM_400000_NS6detail17trampoline_kernelINS0_14default_configENS1_25partition_config_selectorILNS1_17partition_subalgoE5ExNS0_10empty_typeEbEEZZNS1_14partition_implILS5_5ELb0ES3_mN6thrust23THRUST_200600_302600_NS6detail15normal_iteratorINSA_10device_ptrIxEEEEPS6_NSA_18transform_iteratorINSB_9not_fun_tI7is_trueIxEEENSC_INSD_IbEEEENSA_11use_defaultESO_EENS0_5tupleIJSF_S6_EEENSQ_IJSG_SG_EEES6_PlJS6_EEE10hipError_tPvRmT3_T4_T5_T6_T7_T9_mT8_P12ihipStream_tbDpT10_ENKUlT_T0_E_clISt17integral_constantIbLb1EES1D_EEDaS18_S19_EUlS18_E_NS1_11comp_targetILNS1_3genE8ELNS1_11target_archE1030ELNS1_3gpuE2ELNS1_3repE0EEENS1_30default_config_static_selectorELNS0_4arch9wavefront6targetE0EEEvT1_,comdat
.Lfunc_end2508:
	.size	_ZN7rocprim17ROCPRIM_400000_NS6detail17trampoline_kernelINS0_14default_configENS1_25partition_config_selectorILNS1_17partition_subalgoE5ExNS0_10empty_typeEbEEZZNS1_14partition_implILS5_5ELb0ES3_mN6thrust23THRUST_200600_302600_NS6detail15normal_iteratorINSA_10device_ptrIxEEEEPS6_NSA_18transform_iteratorINSB_9not_fun_tI7is_trueIxEEENSC_INSD_IbEEEENSA_11use_defaultESO_EENS0_5tupleIJSF_S6_EEENSQ_IJSG_SG_EEES6_PlJS6_EEE10hipError_tPvRmT3_T4_T5_T6_T7_T9_mT8_P12ihipStream_tbDpT10_ENKUlT_T0_E_clISt17integral_constantIbLb1EES1D_EEDaS18_S19_EUlS18_E_NS1_11comp_targetILNS1_3genE8ELNS1_11target_archE1030ELNS1_3gpuE2ELNS1_3repE0EEENS1_30default_config_static_selectorELNS0_4arch9wavefront6targetE0EEEvT1_, .Lfunc_end2508-_ZN7rocprim17ROCPRIM_400000_NS6detail17trampoline_kernelINS0_14default_configENS1_25partition_config_selectorILNS1_17partition_subalgoE5ExNS0_10empty_typeEbEEZZNS1_14partition_implILS5_5ELb0ES3_mN6thrust23THRUST_200600_302600_NS6detail15normal_iteratorINSA_10device_ptrIxEEEEPS6_NSA_18transform_iteratorINSB_9not_fun_tI7is_trueIxEEENSC_INSD_IbEEEENSA_11use_defaultESO_EENS0_5tupleIJSF_S6_EEENSQ_IJSG_SG_EEES6_PlJS6_EEE10hipError_tPvRmT3_T4_T5_T6_T7_T9_mT8_P12ihipStream_tbDpT10_ENKUlT_T0_E_clISt17integral_constantIbLb1EES1D_EEDaS18_S19_EUlS18_E_NS1_11comp_targetILNS1_3genE8ELNS1_11target_archE1030ELNS1_3gpuE2ELNS1_3repE0EEENS1_30default_config_static_selectorELNS0_4arch9wavefront6targetE0EEEvT1_
                                        ; -- End function
	.set _ZN7rocprim17ROCPRIM_400000_NS6detail17trampoline_kernelINS0_14default_configENS1_25partition_config_selectorILNS1_17partition_subalgoE5ExNS0_10empty_typeEbEEZZNS1_14partition_implILS5_5ELb0ES3_mN6thrust23THRUST_200600_302600_NS6detail15normal_iteratorINSA_10device_ptrIxEEEEPS6_NSA_18transform_iteratorINSB_9not_fun_tI7is_trueIxEEENSC_INSD_IbEEEENSA_11use_defaultESO_EENS0_5tupleIJSF_S6_EEENSQ_IJSG_SG_EEES6_PlJS6_EEE10hipError_tPvRmT3_T4_T5_T6_T7_T9_mT8_P12ihipStream_tbDpT10_ENKUlT_T0_E_clISt17integral_constantIbLb1EES1D_EEDaS18_S19_EUlS18_E_NS1_11comp_targetILNS1_3genE8ELNS1_11target_archE1030ELNS1_3gpuE2ELNS1_3repE0EEENS1_30default_config_static_selectorELNS0_4arch9wavefront6targetE0EEEvT1_.num_vgpr, 0
	.set _ZN7rocprim17ROCPRIM_400000_NS6detail17trampoline_kernelINS0_14default_configENS1_25partition_config_selectorILNS1_17partition_subalgoE5ExNS0_10empty_typeEbEEZZNS1_14partition_implILS5_5ELb0ES3_mN6thrust23THRUST_200600_302600_NS6detail15normal_iteratorINSA_10device_ptrIxEEEEPS6_NSA_18transform_iteratorINSB_9not_fun_tI7is_trueIxEEENSC_INSD_IbEEEENSA_11use_defaultESO_EENS0_5tupleIJSF_S6_EEENSQ_IJSG_SG_EEES6_PlJS6_EEE10hipError_tPvRmT3_T4_T5_T6_T7_T9_mT8_P12ihipStream_tbDpT10_ENKUlT_T0_E_clISt17integral_constantIbLb1EES1D_EEDaS18_S19_EUlS18_E_NS1_11comp_targetILNS1_3genE8ELNS1_11target_archE1030ELNS1_3gpuE2ELNS1_3repE0EEENS1_30default_config_static_selectorELNS0_4arch9wavefront6targetE0EEEvT1_.num_agpr, 0
	.set _ZN7rocprim17ROCPRIM_400000_NS6detail17trampoline_kernelINS0_14default_configENS1_25partition_config_selectorILNS1_17partition_subalgoE5ExNS0_10empty_typeEbEEZZNS1_14partition_implILS5_5ELb0ES3_mN6thrust23THRUST_200600_302600_NS6detail15normal_iteratorINSA_10device_ptrIxEEEEPS6_NSA_18transform_iteratorINSB_9not_fun_tI7is_trueIxEEENSC_INSD_IbEEEENSA_11use_defaultESO_EENS0_5tupleIJSF_S6_EEENSQ_IJSG_SG_EEES6_PlJS6_EEE10hipError_tPvRmT3_T4_T5_T6_T7_T9_mT8_P12ihipStream_tbDpT10_ENKUlT_T0_E_clISt17integral_constantIbLb1EES1D_EEDaS18_S19_EUlS18_E_NS1_11comp_targetILNS1_3genE8ELNS1_11target_archE1030ELNS1_3gpuE2ELNS1_3repE0EEENS1_30default_config_static_selectorELNS0_4arch9wavefront6targetE0EEEvT1_.numbered_sgpr, 0
	.set _ZN7rocprim17ROCPRIM_400000_NS6detail17trampoline_kernelINS0_14default_configENS1_25partition_config_selectorILNS1_17partition_subalgoE5ExNS0_10empty_typeEbEEZZNS1_14partition_implILS5_5ELb0ES3_mN6thrust23THRUST_200600_302600_NS6detail15normal_iteratorINSA_10device_ptrIxEEEEPS6_NSA_18transform_iteratorINSB_9not_fun_tI7is_trueIxEEENSC_INSD_IbEEEENSA_11use_defaultESO_EENS0_5tupleIJSF_S6_EEENSQ_IJSG_SG_EEES6_PlJS6_EEE10hipError_tPvRmT3_T4_T5_T6_T7_T9_mT8_P12ihipStream_tbDpT10_ENKUlT_T0_E_clISt17integral_constantIbLb1EES1D_EEDaS18_S19_EUlS18_E_NS1_11comp_targetILNS1_3genE8ELNS1_11target_archE1030ELNS1_3gpuE2ELNS1_3repE0EEENS1_30default_config_static_selectorELNS0_4arch9wavefront6targetE0EEEvT1_.num_named_barrier, 0
	.set _ZN7rocprim17ROCPRIM_400000_NS6detail17trampoline_kernelINS0_14default_configENS1_25partition_config_selectorILNS1_17partition_subalgoE5ExNS0_10empty_typeEbEEZZNS1_14partition_implILS5_5ELb0ES3_mN6thrust23THRUST_200600_302600_NS6detail15normal_iteratorINSA_10device_ptrIxEEEEPS6_NSA_18transform_iteratorINSB_9not_fun_tI7is_trueIxEEENSC_INSD_IbEEEENSA_11use_defaultESO_EENS0_5tupleIJSF_S6_EEENSQ_IJSG_SG_EEES6_PlJS6_EEE10hipError_tPvRmT3_T4_T5_T6_T7_T9_mT8_P12ihipStream_tbDpT10_ENKUlT_T0_E_clISt17integral_constantIbLb1EES1D_EEDaS18_S19_EUlS18_E_NS1_11comp_targetILNS1_3genE8ELNS1_11target_archE1030ELNS1_3gpuE2ELNS1_3repE0EEENS1_30default_config_static_selectorELNS0_4arch9wavefront6targetE0EEEvT1_.private_seg_size, 0
	.set _ZN7rocprim17ROCPRIM_400000_NS6detail17trampoline_kernelINS0_14default_configENS1_25partition_config_selectorILNS1_17partition_subalgoE5ExNS0_10empty_typeEbEEZZNS1_14partition_implILS5_5ELb0ES3_mN6thrust23THRUST_200600_302600_NS6detail15normal_iteratorINSA_10device_ptrIxEEEEPS6_NSA_18transform_iteratorINSB_9not_fun_tI7is_trueIxEEENSC_INSD_IbEEEENSA_11use_defaultESO_EENS0_5tupleIJSF_S6_EEENSQ_IJSG_SG_EEES6_PlJS6_EEE10hipError_tPvRmT3_T4_T5_T6_T7_T9_mT8_P12ihipStream_tbDpT10_ENKUlT_T0_E_clISt17integral_constantIbLb1EES1D_EEDaS18_S19_EUlS18_E_NS1_11comp_targetILNS1_3genE8ELNS1_11target_archE1030ELNS1_3gpuE2ELNS1_3repE0EEENS1_30default_config_static_selectorELNS0_4arch9wavefront6targetE0EEEvT1_.uses_vcc, 0
	.set _ZN7rocprim17ROCPRIM_400000_NS6detail17trampoline_kernelINS0_14default_configENS1_25partition_config_selectorILNS1_17partition_subalgoE5ExNS0_10empty_typeEbEEZZNS1_14partition_implILS5_5ELb0ES3_mN6thrust23THRUST_200600_302600_NS6detail15normal_iteratorINSA_10device_ptrIxEEEEPS6_NSA_18transform_iteratorINSB_9not_fun_tI7is_trueIxEEENSC_INSD_IbEEEENSA_11use_defaultESO_EENS0_5tupleIJSF_S6_EEENSQ_IJSG_SG_EEES6_PlJS6_EEE10hipError_tPvRmT3_T4_T5_T6_T7_T9_mT8_P12ihipStream_tbDpT10_ENKUlT_T0_E_clISt17integral_constantIbLb1EES1D_EEDaS18_S19_EUlS18_E_NS1_11comp_targetILNS1_3genE8ELNS1_11target_archE1030ELNS1_3gpuE2ELNS1_3repE0EEENS1_30default_config_static_selectorELNS0_4arch9wavefront6targetE0EEEvT1_.uses_flat_scratch, 0
	.set _ZN7rocprim17ROCPRIM_400000_NS6detail17trampoline_kernelINS0_14default_configENS1_25partition_config_selectorILNS1_17partition_subalgoE5ExNS0_10empty_typeEbEEZZNS1_14partition_implILS5_5ELb0ES3_mN6thrust23THRUST_200600_302600_NS6detail15normal_iteratorINSA_10device_ptrIxEEEEPS6_NSA_18transform_iteratorINSB_9not_fun_tI7is_trueIxEEENSC_INSD_IbEEEENSA_11use_defaultESO_EENS0_5tupleIJSF_S6_EEENSQ_IJSG_SG_EEES6_PlJS6_EEE10hipError_tPvRmT3_T4_T5_T6_T7_T9_mT8_P12ihipStream_tbDpT10_ENKUlT_T0_E_clISt17integral_constantIbLb1EES1D_EEDaS18_S19_EUlS18_E_NS1_11comp_targetILNS1_3genE8ELNS1_11target_archE1030ELNS1_3gpuE2ELNS1_3repE0EEENS1_30default_config_static_selectorELNS0_4arch9wavefront6targetE0EEEvT1_.has_dyn_sized_stack, 0
	.set _ZN7rocprim17ROCPRIM_400000_NS6detail17trampoline_kernelINS0_14default_configENS1_25partition_config_selectorILNS1_17partition_subalgoE5ExNS0_10empty_typeEbEEZZNS1_14partition_implILS5_5ELb0ES3_mN6thrust23THRUST_200600_302600_NS6detail15normal_iteratorINSA_10device_ptrIxEEEEPS6_NSA_18transform_iteratorINSB_9not_fun_tI7is_trueIxEEENSC_INSD_IbEEEENSA_11use_defaultESO_EENS0_5tupleIJSF_S6_EEENSQ_IJSG_SG_EEES6_PlJS6_EEE10hipError_tPvRmT3_T4_T5_T6_T7_T9_mT8_P12ihipStream_tbDpT10_ENKUlT_T0_E_clISt17integral_constantIbLb1EES1D_EEDaS18_S19_EUlS18_E_NS1_11comp_targetILNS1_3genE8ELNS1_11target_archE1030ELNS1_3gpuE2ELNS1_3repE0EEENS1_30default_config_static_selectorELNS0_4arch9wavefront6targetE0EEEvT1_.has_recursion, 0
	.set _ZN7rocprim17ROCPRIM_400000_NS6detail17trampoline_kernelINS0_14default_configENS1_25partition_config_selectorILNS1_17partition_subalgoE5ExNS0_10empty_typeEbEEZZNS1_14partition_implILS5_5ELb0ES3_mN6thrust23THRUST_200600_302600_NS6detail15normal_iteratorINSA_10device_ptrIxEEEEPS6_NSA_18transform_iteratorINSB_9not_fun_tI7is_trueIxEEENSC_INSD_IbEEEENSA_11use_defaultESO_EENS0_5tupleIJSF_S6_EEENSQ_IJSG_SG_EEES6_PlJS6_EEE10hipError_tPvRmT3_T4_T5_T6_T7_T9_mT8_P12ihipStream_tbDpT10_ENKUlT_T0_E_clISt17integral_constantIbLb1EES1D_EEDaS18_S19_EUlS18_E_NS1_11comp_targetILNS1_3genE8ELNS1_11target_archE1030ELNS1_3gpuE2ELNS1_3repE0EEENS1_30default_config_static_selectorELNS0_4arch9wavefront6targetE0EEEvT1_.has_indirect_call, 0
	.section	.AMDGPU.csdata,"",@progbits
; Kernel info:
; codeLenInByte = 0
; TotalNumSgprs: 0
; NumVgprs: 0
; ScratchSize: 0
; MemoryBound: 0
; FloatMode: 240
; IeeeMode: 1
; LDSByteSize: 0 bytes/workgroup (compile time only)
; SGPRBlocks: 0
; VGPRBlocks: 0
; NumSGPRsForWavesPerEU: 1
; NumVGPRsForWavesPerEU: 1
; Occupancy: 16
; WaveLimiterHint : 0
; COMPUTE_PGM_RSRC2:SCRATCH_EN: 0
; COMPUTE_PGM_RSRC2:USER_SGPR: 2
; COMPUTE_PGM_RSRC2:TRAP_HANDLER: 0
; COMPUTE_PGM_RSRC2:TGID_X_EN: 1
; COMPUTE_PGM_RSRC2:TGID_Y_EN: 0
; COMPUTE_PGM_RSRC2:TGID_Z_EN: 0
; COMPUTE_PGM_RSRC2:TIDIG_COMP_CNT: 0
	.section	.text._ZN7rocprim17ROCPRIM_400000_NS6detail17trampoline_kernelINS0_14default_configENS1_25partition_config_selectorILNS1_17partition_subalgoE5ExNS0_10empty_typeEbEEZZNS1_14partition_implILS5_5ELb0ES3_mN6thrust23THRUST_200600_302600_NS6detail15normal_iteratorINSA_10device_ptrIxEEEEPS6_NSA_18transform_iteratorINSB_9not_fun_tI7is_trueIxEEENSC_INSD_IbEEEENSA_11use_defaultESO_EENS0_5tupleIJSF_S6_EEENSQ_IJSG_SG_EEES6_PlJS6_EEE10hipError_tPvRmT3_T4_T5_T6_T7_T9_mT8_P12ihipStream_tbDpT10_ENKUlT_T0_E_clISt17integral_constantIbLb1EES1C_IbLb0EEEEDaS18_S19_EUlS18_E_NS1_11comp_targetILNS1_3genE0ELNS1_11target_archE4294967295ELNS1_3gpuE0ELNS1_3repE0EEENS1_30default_config_static_selectorELNS0_4arch9wavefront6targetE0EEEvT1_,"axG",@progbits,_ZN7rocprim17ROCPRIM_400000_NS6detail17trampoline_kernelINS0_14default_configENS1_25partition_config_selectorILNS1_17partition_subalgoE5ExNS0_10empty_typeEbEEZZNS1_14partition_implILS5_5ELb0ES3_mN6thrust23THRUST_200600_302600_NS6detail15normal_iteratorINSA_10device_ptrIxEEEEPS6_NSA_18transform_iteratorINSB_9not_fun_tI7is_trueIxEEENSC_INSD_IbEEEENSA_11use_defaultESO_EENS0_5tupleIJSF_S6_EEENSQ_IJSG_SG_EEES6_PlJS6_EEE10hipError_tPvRmT3_T4_T5_T6_T7_T9_mT8_P12ihipStream_tbDpT10_ENKUlT_T0_E_clISt17integral_constantIbLb1EES1C_IbLb0EEEEDaS18_S19_EUlS18_E_NS1_11comp_targetILNS1_3genE0ELNS1_11target_archE4294967295ELNS1_3gpuE0ELNS1_3repE0EEENS1_30default_config_static_selectorELNS0_4arch9wavefront6targetE0EEEvT1_,comdat
	.protected	_ZN7rocprim17ROCPRIM_400000_NS6detail17trampoline_kernelINS0_14default_configENS1_25partition_config_selectorILNS1_17partition_subalgoE5ExNS0_10empty_typeEbEEZZNS1_14partition_implILS5_5ELb0ES3_mN6thrust23THRUST_200600_302600_NS6detail15normal_iteratorINSA_10device_ptrIxEEEEPS6_NSA_18transform_iteratorINSB_9not_fun_tI7is_trueIxEEENSC_INSD_IbEEEENSA_11use_defaultESO_EENS0_5tupleIJSF_S6_EEENSQ_IJSG_SG_EEES6_PlJS6_EEE10hipError_tPvRmT3_T4_T5_T6_T7_T9_mT8_P12ihipStream_tbDpT10_ENKUlT_T0_E_clISt17integral_constantIbLb1EES1C_IbLb0EEEEDaS18_S19_EUlS18_E_NS1_11comp_targetILNS1_3genE0ELNS1_11target_archE4294967295ELNS1_3gpuE0ELNS1_3repE0EEENS1_30default_config_static_selectorELNS0_4arch9wavefront6targetE0EEEvT1_ ; -- Begin function _ZN7rocprim17ROCPRIM_400000_NS6detail17trampoline_kernelINS0_14default_configENS1_25partition_config_selectorILNS1_17partition_subalgoE5ExNS0_10empty_typeEbEEZZNS1_14partition_implILS5_5ELb0ES3_mN6thrust23THRUST_200600_302600_NS6detail15normal_iteratorINSA_10device_ptrIxEEEEPS6_NSA_18transform_iteratorINSB_9not_fun_tI7is_trueIxEEENSC_INSD_IbEEEENSA_11use_defaultESO_EENS0_5tupleIJSF_S6_EEENSQ_IJSG_SG_EEES6_PlJS6_EEE10hipError_tPvRmT3_T4_T5_T6_T7_T9_mT8_P12ihipStream_tbDpT10_ENKUlT_T0_E_clISt17integral_constantIbLb1EES1C_IbLb0EEEEDaS18_S19_EUlS18_E_NS1_11comp_targetILNS1_3genE0ELNS1_11target_archE4294967295ELNS1_3gpuE0ELNS1_3repE0EEENS1_30default_config_static_selectorELNS0_4arch9wavefront6targetE0EEEvT1_
	.globl	_ZN7rocprim17ROCPRIM_400000_NS6detail17trampoline_kernelINS0_14default_configENS1_25partition_config_selectorILNS1_17partition_subalgoE5ExNS0_10empty_typeEbEEZZNS1_14partition_implILS5_5ELb0ES3_mN6thrust23THRUST_200600_302600_NS6detail15normal_iteratorINSA_10device_ptrIxEEEEPS6_NSA_18transform_iteratorINSB_9not_fun_tI7is_trueIxEEENSC_INSD_IbEEEENSA_11use_defaultESO_EENS0_5tupleIJSF_S6_EEENSQ_IJSG_SG_EEES6_PlJS6_EEE10hipError_tPvRmT3_T4_T5_T6_T7_T9_mT8_P12ihipStream_tbDpT10_ENKUlT_T0_E_clISt17integral_constantIbLb1EES1C_IbLb0EEEEDaS18_S19_EUlS18_E_NS1_11comp_targetILNS1_3genE0ELNS1_11target_archE4294967295ELNS1_3gpuE0ELNS1_3repE0EEENS1_30default_config_static_selectorELNS0_4arch9wavefront6targetE0EEEvT1_
	.p2align	8
	.type	_ZN7rocprim17ROCPRIM_400000_NS6detail17trampoline_kernelINS0_14default_configENS1_25partition_config_selectorILNS1_17partition_subalgoE5ExNS0_10empty_typeEbEEZZNS1_14partition_implILS5_5ELb0ES3_mN6thrust23THRUST_200600_302600_NS6detail15normal_iteratorINSA_10device_ptrIxEEEEPS6_NSA_18transform_iteratorINSB_9not_fun_tI7is_trueIxEEENSC_INSD_IbEEEENSA_11use_defaultESO_EENS0_5tupleIJSF_S6_EEENSQ_IJSG_SG_EEES6_PlJS6_EEE10hipError_tPvRmT3_T4_T5_T6_T7_T9_mT8_P12ihipStream_tbDpT10_ENKUlT_T0_E_clISt17integral_constantIbLb1EES1C_IbLb0EEEEDaS18_S19_EUlS18_E_NS1_11comp_targetILNS1_3genE0ELNS1_11target_archE4294967295ELNS1_3gpuE0ELNS1_3repE0EEENS1_30default_config_static_selectorELNS0_4arch9wavefront6targetE0EEEvT1_,@function
_ZN7rocprim17ROCPRIM_400000_NS6detail17trampoline_kernelINS0_14default_configENS1_25partition_config_selectorILNS1_17partition_subalgoE5ExNS0_10empty_typeEbEEZZNS1_14partition_implILS5_5ELb0ES3_mN6thrust23THRUST_200600_302600_NS6detail15normal_iteratorINSA_10device_ptrIxEEEEPS6_NSA_18transform_iteratorINSB_9not_fun_tI7is_trueIxEEENSC_INSD_IbEEEENSA_11use_defaultESO_EENS0_5tupleIJSF_S6_EEENSQ_IJSG_SG_EEES6_PlJS6_EEE10hipError_tPvRmT3_T4_T5_T6_T7_T9_mT8_P12ihipStream_tbDpT10_ENKUlT_T0_E_clISt17integral_constantIbLb1EES1C_IbLb0EEEEDaS18_S19_EUlS18_E_NS1_11comp_targetILNS1_3genE0ELNS1_11target_archE4294967295ELNS1_3gpuE0ELNS1_3repE0EEENS1_30default_config_static_selectorELNS0_4arch9wavefront6targetE0EEEvT1_: ; @_ZN7rocprim17ROCPRIM_400000_NS6detail17trampoline_kernelINS0_14default_configENS1_25partition_config_selectorILNS1_17partition_subalgoE5ExNS0_10empty_typeEbEEZZNS1_14partition_implILS5_5ELb0ES3_mN6thrust23THRUST_200600_302600_NS6detail15normal_iteratorINSA_10device_ptrIxEEEEPS6_NSA_18transform_iteratorINSB_9not_fun_tI7is_trueIxEEENSC_INSD_IbEEEENSA_11use_defaultESO_EENS0_5tupleIJSF_S6_EEENSQ_IJSG_SG_EEES6_PlJS6_EEE10hipError_tPvRmT3_T4_T5_T6_T7_T9_mT8_P12ihipStream_tbDpT10_ENKUlT_T0_E_clISt17integral_constantIbLb1EES1C_IbLb0EEEEDaS18_S19_EUlS18_E_NS1_11comp_targetILNS1_3genE0ELNS1_11target_archE4294967295ELNS1_3gpuE0ELNS1_3repE0EEENS1_30default_config_static_selectorELNS0_4arch9wavefront6targetE0EEEvT1_
; %bb.0:
	.section	.rodata,"a",@progbits
	.p2align	6, 0x0
	.amdhsa_kernel _ZN7rocprim17ROCPRIM_400000_NS6detail17trampoline_kernelINS0_14default_configENS1_25partition_config_selectorILNS1_17partition_subalgoE5ExNS0_10empty_typeEbEEZZNS1_14partition_implILS5_5ELb0ES3_mN6thrust23THRUST_200600_302600_NS6detail15normal_iteratorINSA_10device_ptrIxEEEEPS6_NSA_18transform_iteratorINSB_9not_fun_tI7is_trueIxEEENSC_INSD_IbEEEENSA_11use_defaultESO_EENS0_5tupleIJSF_S6_EEENSQ_IJSG_SG_EEES6_PlJS6_EEE10hipError_tPvRmT3_T4_T5_T6_T7_T9_mT8_P12ihipStream_tbDpT10_ENKUlT_T0_E_clISt17integral_constantIbLb1EES1C_IbLb0EEEEDaS18_S19_EUlS18_E_NS1_11comp_targetILNS1_3genE0ELNS1_11target_archE4294967295ELNS1_3gpuE0ELNS1_3repE0EEENS1_30default_config_static_selectorELNS0_4arch9wavefront6targetE0EEEvT1_
		.amdhsa_group_segment_fixed_size 0
		.amdhsa_private_segment_fixed_size 0
		.amdhsa_kernarg_size 120
		.amdhsa_user_sgpr_count 2
		.amdhsa_user_sgpr_dispatch_ptr 0
		.amdhsa_user_sgpr_queue_ptr 0
		.amdhsa_user_sgpr_kernarg_segment_ptr 1
		.amdhsa_user_sgpr_dispatch_id 0
		.amdhsa_user_sgpr_private_segment_size 0
		.amdhsa_wavefront_size32 1
		.amdhsa_uses_dynamic_stack 0
		.amdhsa_enable_private_segment 0
		.amdhsa_system_sgpr_workgroup_id_x 1
		.amdhsa_system_sgpr_workgroup_id_y 0
		.amdhsa_system_sgpr_workgroup_id_z 0
		.amdhsa_system_sgpr_workgroup_info 0
		.amdhsa_system_vgpr_workitem_id 0
		.amdhsa_next_free_vgpr 1
		.amdhsa_next_free_sgpr 1
		.amdhsa_reserve_vcc 0
		.amdhsa_float_round_mode_32 0
		.amdhsa_float_round_mode_16_64 0
		.amdhsa_float_denorm_mode_32 3
		.amdhsa_float_denorm_mode_16_64 3
		.amdhsa_fp16_overflow 0
		.amdhsa_workgroup_processor_mode 1
		.amdhsa_memory_ordered 1
		.amdhsa_forward_progress 1
		.amdhsa_inst_pref_size 0
		.amdhsa_round_robin_scheduling 0
		.amdhsa_exception_fp_ieee_invalid_op 0
		.amdhsa_exception_fp_denorm_src 0
		.amdhsa_exception_fp_ieee_div_zero 0
		.amdhsa_exception_fp_ieee_overflow 0
		.amdhsa_exception_fp_ieee_underflow 0
		.amdhsa_exception_fp_ieee_inexact 0
		.amdhsa_exception_int_div_zero 0
	.end_amdhsa_kernel
	.section	.text._ZN7rocprim17ROCPRIM_400000_NS6detail17trampoline_kernelINS0_14default_configENS1_25partition_config_selectorILNS1_17partition_subalgoE5ExNS0_10empty_typeEbEEZZNS1_14partition_implILS5_5ELb0ES3_mN6thrust23THRUST_200600_302600_NS6detail15normal_iteratorINSA_10device_ptrIxEEEEPS6_NSA_18transform_iteratorINSB_9not_fun_tI7is_trueIxEEENSC_INSD_IbEEEENSA_11use_defaultESO_EENS0_5tupleIJSF_S6_EEENSQ_IJSG_SG_EEES6_PlJS6_EEE10hipError_tPvRmT3_T4_T5_T6_T7_T9_mT8_P12ihipStream_tbDpT10_ENKUlT_T0_E_clISt17integral_constantIbLb1EES1C_IbLb0EEEEDaS18_S19_EUlS18_E_NS1_11comp_targetILNS1_3genE0ELNS1_11target_archE4294967295ELNS1_3gpuE0ELNS1_3repE0EEENS1_30default_config_static_selectorELNS0_4arch9wavefront6targetE0EEEvT1_,"axG",@progbits,_ZN7rocprim17ROCPRIM_400000_NS6detail17trampoline_kernelINS0_14default_configENS1_25partition_config_selectorILNS1_17partition_subalgoE5ExNS0_10empty_typeEbEEZZNS1_14partition_implILS5_5ELb0ES3_mN6thrust23THRUST_200600_302600_NS6detail15normal_iteratorINSA_10device_ptrIxEEEEPS6_NSA_18transform_iteratorINSB_9not_fun_tI7is_trueIxEEENSC_INSD_IbEEEENSA_11use_defaultESO_EENS0_5tupleIJSF_S6_EEENSQ_IJSG_SG_EEES6_PlJS6_EEE10hipError_tPvRmT3_T4_T5_T6_T7_T9_mT8_P12ihipStream_tbDpT10_ENKUlT_T0_E_clISt17integral_constantIbLb1EES1C_IbLb0EEEEDaS18_S19_EUlS18_E_NS1_11comp_targetILNS1_3genE0ELNS1_11target_archE4294967295ELNS1_3gpuE0ELNS1_3repE0EEENS1_30default_config_static_selectorELNS0_4arch9wavefront6targetE0EEEvT1_,comdat
.Lfunc_end2509:
	.size	_ZN7rocprim17ROCPRIM_400000_NS6detail17trampoline_kernelINS0_14default_configENS1_25partition_config_selectorILNS1_17partition_subalgoE5ExNS0_10empty_typeEbEEZZNS1_14partition_implILS5_5ELb0ES3_mN6thrust23THRUST_200600_302600_NS6detail15normal_iteratorINSA_10device_ptrIxEEEEPS6_NSA_18transform_iteratorINSB_9not_fun_tI7is_trueIxEEENSC_INSD_IbEEEENSA_11use_defaultESO_EENS0_5tupleIJSF_S6_EEENSQ_IJSG_SG_EEES6_PlJS6_EEE10hipError_tPvRmT3_T4_T5_T6_T7_T9_mT8_P12ihipStream_tbDpT10_ENKUlT_T0_E_clISt17integral_constantIbLb1EES1C_IbLb0EEEEDaS18_S19_EUlS18_E_NS1_11comp_targetILNS1_3genE0ELNS1_11target_archE4294967295ELNS1_3gpuE0ELNS1_3repE0EEENS1_30default_config_static_selectorELNS0_4arch9wavefront6targetE0EEEvT1_, .Lfunc_end2509-_ZN7rocprim17ROCPRIM_400000_NS6detail17trampoline_kernelINS0_14default_configENS1_25partition_config_selectorILNS1_17partition_subalgoE5ExNS0_10empty_typeEbEEZZNS1_14partition_implILS5_5ELb0ES3_mN6thrust23THRUST_200600_302600_NS6detail15normal_iteratorINSA_10device_ptrIxEEEEPS6_NSA_18transform_iteratorINSB_9not_fun_tI7is_trueIxEEENSC_INSD_IbEEEENSA_11use_defaultESO_EENS0_5tupleIJSF_S6_EEENSQ_IJSG_SG_EEES6_PlJS6_EEE10hipError_tPvRmT3_T4_T5_T6_T7_T9_mT8_P12ihipStream_tbDpT10_ENKUlT_T0_E_clISt17integral_constantIbLb1EES1C_IbLb0EEEEDaS18_S19_EUlS18_E_NS1_11comp_targetILNS1_3genE0ELNS1_11target_archE4294967295ELNS1_3gpuE0ELNS1_3repE0EEENS1_30default_config_static_selectorELNS0_4arch9wavefront6targetE0EEEvT1_
                                        ; -- End function
	.set _ZN7rocprim17ROCPRIM_400000_NS6detail17trampoline_kernelINS0_14default_configENS1_25partition_config_selectorILNS1_17partition_subalgoE5ExNS0_10empty_typeEbEEZZNS1_14partition_implILS5_5ELb0ES3_mN6thrust23THRUST_200600_302600_NS6detail15normal_iteratorINSA_10device_ptrIxEEEEPS6_NSA_18transform_iteratorINSB_9not_fun_tI7is_trueIxEEENSC_INSD_IbEEEENSA_11use_defaultESO_EENS0_5tupleIJSF_S6_EEENSQ_IJSG_SG_EEES6_PlJS6_EEE10hipError_tPvRmT3_T4_T5_T6_T7_T9_mT8_P12ihipStream_tbDpT10_ENKUlT_T0_E_clISt17integral_constantIbLb1EES1C_IbLb0EEEEDaS18_S19_EUlS18_E_NS1_11comp_targetILNS1_3genE0ELNS1_11target_archE4294967295ELNS1_3gpuE0ELNS1_3repE0EEENS1_30default_config_static_selectorELNS0_4arch9wavefront6targetE0EEEvT1_.num_vgpr, 0
	.set _ZN7rocprim17ROCPRIM_400000_NS6detail17trampoline_kernelINS0_14default_configENS1_25partition_config_selectorILNS1_17partition_subalgoE5ExNS0_10empty_typeEbEEZZNS1_14partition_implILS5_5ELb0ES3_mN6thrust23THRUST_200600_302600_NS6detail15normal_iteratorINSA_10device_ptrIxEEEEPS6_NSA_18transform_iteratorINSB_9not_fun_tI7is_trueIxEEENSC_INSD_IbEEEENSA_11use_defaultESO_EENS0_5tupleIJSF_S6_EEENSQ_IJSG_SG_EEES6_PlJS6_EEE10hipError_tPvRmT3_T4_T5_T6_T7_T9_mT8_P12ihipStream_tbDpT10_ENKUlT_T0_E_clISt17integral_constantIbLb1EES1C_IbLb0EEEEDaS18_S19_EUlS18_E_NS1_11comp_targetILNS1_3genE0ELNS1_11target_archE4294967295ELNS1_3gpuE0ELNS1_3repE0EEENS1_30default_config_static_selectorELNS0_4arch9wavefront6targetE0EEEvT1_.num_agpr, 0
	.set _ZN7rocprim17ROCPRIM_400000_NS6detail17trampoline_kernelINS0_14default_configENS1_25partition_config_selectorILNS1_17partition_subalgoE5ExNS0_10empty_typeEbEEZZNS1_14partition_implILS5_5ELb0ES3_mN6thrust23THRUST_200600_302600_NS6detail15normal_iteratorINSA_10device_ptrIxEEEEPS6_NSA_18transform_iteratorINSB_9not_fun_tI7is_trueIxEEENSC_INSD_IbEEEENSA_11use_defaultESO_EENS0_5tupleIJSF_S6_EEENSQ_IJSG_SG_EEES6_PlJS6_EEE10hipError_tPvRmT3_T4_T5_T6_T7_T9_mT8_P12ihipStream_tbDpT10_ENKUlT_T0_E_clISt17integral_constantIbLb1EES1C_IbLb0EEEEDaS18_S19_EUlS18_E_NS1_11comp_targetILNS1_3genE0ELNS1_11target_archE4294967295ELNS1_3gpuE0ELNS1_3repE0EEENS1_30default_config_static_selectorELNS0_4arch9wavefront6targetE0EEEvT1_.numbered_sgpr, 0
	.set _ZN7rocprim17ROCPRIM_400000_NS6detail17trampoline_kernelINS0_14default_configENS1_25partition_config_selectorILNS1_17partition_subalgoE5ExNS0_10empty_typeEbEEZZNS1_14partition_implILS5_5ELb0ES3_mN6thrust23THRUST_200600_302600_NS6detail15normal_iteratorINSA_10device_ptrIxEEEEPS6_NSA_18transform_iteratorINSB_9not_fun_tI7is_trueIxEEENSC_INSD_IbEEEENSA_11use_defaultESO_EENS0_5tupleIJSF_S6_EEENSQ_IJSG_SG_EEES6_PlJS6_EEE10hipError_tPvRmT3_T4_T5_T6_T7_T9_mT8_P12ihipStream_tbDpT10_ENKUlT_T0_E_clISt17integral_constantIbLb1EES1C_IbLb0EEEEDaS18_S19_EUlS18_E_NS1_11comp_targetILNS1_3genE0ELNS1_11target_archE4294967295ELNS1_3gpuE0ELNS1_3repE0EEENS1_30default_config_static_selectorELNS0_4arch9wavefront6targetE0EEEvT1_.num_named_barrier, 0
	.set _ZN7rocprim17ROCPRIM_400000_NS6detail17trampoline_kernelINS0_14default_configENS1_25partition_config_selectorILNS1_17partition_subalgoE5ExNS0_10empty_typeEbEEZZNS1_14partition_implILS5_5ELb0ES3_mN6thrust23THRUST_200600_302600_NS6detail15normal_iteratorINSA_10device_ptrIxEEEEPS6_NSA_18transform_iteratorINSB_9not_fun_tI7is_trueIxEEENSC_INSD_IbEEEENSA_11use_defaultESO_EENS0_5tupleIJSF_S6_EEENSQ_IJSG_SG_EEES6_PlJS6_EEE10hipError_tPvRmT3_T4_T5_T6_T7_T9_mT8_P12ihipStream_tbDpT10_ENKUlT_T0_E_clISt17integral_constantIbLb1EES1C_IbLb0EEEEDaS18_S19_EUlS18_E_NS1_11comp_targetILNS1_3genE0ELNS1_11target_archE4294967295ELNS1_3gpuE0ELNS1_3repE0EEENS1_30default_config_static_selectorELNS0_4arch9wavefront6targetE0EEEvT1_.private_seg_size, 0
	.set _ZN7rocprim17ROCPRIM_400000_NS6detail17trampoline_kernelINS0_14default_configENS1_25partition_config_selectorILNS1_17partition_subalgoE5ExNS0_10empty_typeEbEEZZNS1_14partition_implILS5_5ELb0ES3_mN6thrust23THRUST_200600_302600_NS6detail15normal_iteratorINSA_10device_ptrIxEEEEPS6_NSA_18transform_iteratorINSB_9not_fun_tI7is_trueIxEEENSC_INSD_IbEEEENSA_11use_defaultESO_EENS0_5tupleIJSF_S6_EEENSQ_IJSG_SG_EEES6_PlJS6_EEE10hipError_tPvRmT3_T4_T5_T6_T7_T9_mT8_P12ihipStream_tbDpT10_ENKUlT_T0_E_clISt17integral_constantIbLb1EES1C_IbLb0EEEEDaS18_S19_EUlS18_E_NS1_11comp_targetILNS1_3genE0ELNS1_11target_archE4294967295ELNS1_3gpuE0ELNS1_3repE0EEENS1_30default_config_static_selectorELNS0_4arch9wavefront6targetE0EEEvT1_.uses_vcc, 0
	.set _ZN7rocprim17ROCPRIM_400000_NS6detail17trampoline_kernelINS0_14default_configENS1_25partition_config_selectorILNS1_17partition_subalgoE5ExNS0_10empty_typeEbEEZZNS1_14partition_implILS5_5ELb0ES3_mN6thrust23THRUST_200600_302600_NS6detail15normal_iteratorINSA_10device_ptrIxEEEEPS6_NSA_18transform_iteratorINSB_9not_fun_tI7is_trueIxEEENSC_INSD_IbEEEENSA_11use_defaultESO_EENS0_5tupleIJSF_S6_EEENSQ_IJSG_SG_EEES6_PlJS6_EEE10hipError_tPvRmT3_T4_T5_T6_T7_T9_mT8_P12ihipStream_tbDpT10_ENKUlT_T0_E_clISt17integral_constantIbLb1EES1C_IbLb0EEEEDaS18_S19_EUlS18_E_NS1_11comp_targetILNS1_3genE0ELNS1_11target_archE4294967295ELNS1_3gpuE0ELNS1_3repE0EEENS1_30default_config_static_selectorELNS0_4arch9wavefront6targetE0EEEvT1_.uses_flat_scratch, 0
	.set _ZN7rocprim17ROCPRIM_400000_NS6detail17trampoline_kernelINS0_14default_configENS1_25partition_config_selectorILNS1_17partition_subalgoE5ExNS0_10empty_typeEbEEZZNS1_14partition_implILS5_5ELb0ES3_mN6thrust23THRUST_200600_302600_NS6detail15normal_iteratorINSA_10device_ptrIxEEEEPS6_NSA_18transform_iteratorINSB_9not_fun_tI7is_trueIxEEENSC_INSD_IbEEEENSA_11use_defaultESO_EENS0_5tupleIJSF_S6_EEENSQ_IJSG_SG_EEES6_PlJS6_EEE10hipError_tPvRmT3_T4_T5_T6_T7_T9_mT8_P12ihipStream_tbDpT10_ENKUlT_T0_E_clISt17integral_constantIbLb1EES1C_IbLb0EEEEDaS18_S19_EUlS18_E_NS1_11comp_targetILNS1_3genE0ELNS1_11target_archE4294967295ELNS1_3gpuE0ELNS1_3repE0EEENS1_30default_config_static_selectorELNS0_4arch9wavefront6targetE0EEEvT1_.has_dyn_sized_stack, 0
	.set _ZN7rocprim17ROCPRIM_400000_NS6detail17trampoline_kernelINS0_14default_configENS1_25partition_config_selectorILNS1_17partition_subalgoE5ExNS0_10empty_typeEbEEZZNS1_14partition_implILS5_5ELb0ES3_mN6thrust23THRUST_200600_302600_NS6detail15normal_iteratorINSA_10device_ptrIxEEEEPS6_NSA_18transform_iteratorINSB_9not_fun_tI7is_trueIxEEENSC_INSD_IbEEEENSA_11use_defaultESO_EENS0_5tupleIJSF_S6_EEENSQ_IJSG_SG_EEES6_PlJS6_EEE10hipError_tPvRmT3_T4_T5_T6_T7_T9_mT8_P12ihipStream_tbDpT10_ENKUlT_T0_E_clISt17integral_constantIbLb1EES1C_IbLb0EEEEDaS18_S19_EUlS18_E_NS1_11comp_targetILNS1_3genE0ELNS1_11target_archE4294967295ELNS1_3gpuE0ELNS1_3repE0EEENS1_30default_config_static_selectorELNS0_4arch9wavefront6targetE0EEEvT1_.has_recursion, 0
	.set _ZN7rocprim17ROCPRIM_400000_NS6detail17trampoline_kernelINS0_14default_configENS1_25partition_config_selectorILNS1_17partition_subalgoE5ExNS0_10empty_typeEbEEZZNS1_14partition_implILS5_5ELb0ES3_mN6thrust23THRUST_200600_302600_NS6detail15normal_iteratorINSA_10device_ptrIxEEEEPS6_NSA_18transform_iteratorINSB_9not_fun_tI7is_trueIxEEENSC_INSD_IbEEEENSA_11use_defaultESO_EENS0_5tupleIJSF_S6_EEENSQ_IJSG_SG_EEES6_PlJS6_EEE10hipError_tPvRmT3_T4_T5_T6_T7_T9_mT8_P12ihipStream_tbDpT10_ENKUlT_T0_E_clISt17integral_constantIbLb1EES1C_IbLb0EEEEDaS18_S19_EUlS18_E_NS1_11comp_targetILNS1_3genE0ELNS1_11target_archE4294967295ELNS1_3gpuE0ELNS1_3repE0EEENS1_30default_config_static_selectorELNS0_4arch9wavefront6targetE0EEEvT1_.has_indirect_call, 0
	.section	.AMDGPU.csdata,"",@progbits
; Kernel info:
; codeLenInByte = 0
; TotalNumSgprs: 0
; NumVgprs: 0
; ScratchSize: 0
; MemoryBound: 0
; FloatMode: 240
; IeeeMode: 1
; LDSByteSize: 0 bytes/workgroup (compile time only)
; SGPRBlocks: 0
; VGPRBlocks: 0
; NumSGPRsForWavesPerEU: 1
; NumVGPRsForWavesPerEU: 1
; Occupancy: 16
; WaveLimiterHint : 0
; COMPUTE_PGM_RSRC2:SCRATCH_EN: 0
; COMPUTE_PGM_RSRC2:USER_SGPR: 2
; COMPUTE_PGM_RSRC2:TRAP_HANDLER: 0
; COMPUTE_PGM_RSRC2:TGID_X_EN: 1
; COMPUTE_PGM_RSRC2:TGID_Y_EN: 0
; COMPUTE_PGM_RSRC2:TGID_Z_EN: 0
; COMPUTE_PGM_RSRC2:TIDIG_COMP_CNT: 0
	.section	.text._ZN7rocprim17ROCPRIM_400000_NS6detail17trampoline_kernelINS0_14default_configENS1_25partition_config_selectorILNS1_17partition_subalgoE5ExNS0_10empty_typeEbEEZZNS1_14partition_implILS5_5ELb0ES3_mN6thrust23THRUST_200600_302600_NS6detail15normal_iteratorINSA_10device_ptrIxEEEEPS6_NSA_18transform_iteratorINSB_9not_fun_tI7is_trueIxEEENSC_INSD_IbEEEENSA_11use_defaultESO_EENS0_5tupleIJSF_S6_EEENSQ_IJSG_SG_EEES6_PlJS6_EEE10hipError_tPvRmT3_T4_T5_T6_T7_T9_mT8_P12ihipStream_tbDpT10_ENKUlT_T0_E_clISt17integral_constantIbLb1EES1C_IbLb0EEEEDaS18_S19_EUlS18_E_NS1_11comp_targetILNS1_3genE5ELNS1_11target_archE942ELNS1_3gpuE9ELNS1_3repE0EEENS1_30default_config_static_selectorELNS0_4arch9wavefront6targetE0EEEvT1_,"axG",@progbits,_ZN7rocprim17ROCPRIM_400000_NS6detail17trampoline_kernelINS0_14default_configENS1_25partition_config_selectorILNS1_17partition_subalgoE5ExNS0_10empty_typeEbEEZZNS1_14partition_implILS5_5ELb0ES3_mN6thrust23THRUST_200600_302600_NS6detail15normal_iteratorINSA_10device_ptrIxEEEEPS6_NSA_18transform_iteratorINSB_9not_fun_tI7is_trueIxEEENSC_INSD_IbEEEENSA_11use_defaultESO_EENS0_5tupleIJSF_S6_EEENSQ_IJSG_SG_EEES6_PlJS6_EEE10hipError_tPvRmT3_T4_T5_T6_T7_T9_mT8_P12ihipStream_tbDpT10_ENKUlT_T0_E_clISt17integral_constantIbLb1EES1C_IbLb0EEEEDaS18_S19_EUlS18_E_NS1_11comp_targetILNS1_3genE5ELNS1_11target_archE942ELNS1_3gpuE9ELNS1_3repE0EEENS1_30default_config_static_selectorELNS0_4arch9wavefront6targetE0EEEvT1_,comdat
	.protected	_ZN7rocprim17ROCPRIM_400000_NS6detail17trampoline_kernelINS0_14default_configENS1_25partition_config_selectorILNS1_17partition_subalgoE5ExNS0_10empty_typeEbEEZZNS1_14partition_implILS5_5ELb0ES3_mN6thrust23THRUST_200600_302600_NS6detail15normal_iteratorINSA_10device_ptrIxEEEEPS6_NSA_18transform_iteratorINSB_9not_fun_tI7is_trueIxEEENSC_INSD_IbEEEENSA_11use_defaultESO_EENS0_5tupleIJSF_S6_EEENSQ_IJSG_SG_EEES6_PlJS6_EEE10hipError_tPvRmT3_T4_T5_T6_T7_T9_mT8_P12ihipStream_tbDpT10_ENKUlT_T0_E_clISt17integral_constantIbLb1EES1C_IbLb0EEEEDaS18_S19_EUlS18_E_NS1_11comp_targetILNS1_3genE5ELNS1_11target_archE942ELNS1_3gpuE9ELNS1_3repE0EEENS1_30default_config_static_selectorELNS0_4arch9wavefront6targetE0EEEvT1_ ; -- Begin function _ZN7rocprim17ROCPRIM_400000_NS6detail17trampoline_kernelINS0_14default_configENS1_25partition_config_selectorILNS1_17partition_subalgoE5ExNS0_10empty_typeEbEEZZNS1_14partition_implILS5_5ELb0ES3_mN6thrust23THRUST_200600_302600_NS6detail15normal_iteratorINSA_10device_ptrIxEEEEPS6_NSA_18transform_iteratorINSB_9not_fun_tI7is_trueIxEEENSC_INSD_IbEEEENSA_11use_defaultESO_EENS0_5tupleIJSF_S6_EEENSQ_IJSG_SG_EEES6_PlJS6_EEE10hipError_tPvRmT3_T4_T5_T6_T7_T9_mT8_P12ihipStream_tbDpT10_ENKUlT_T0_E_clISt17integral_constantIbLb1EES1C_IbLb0EEEEDaS18_S19_EUlS18_E_NS1_11comp_targetILNS1_3genE5ELNS1_11target_archE942ELNS1_3gpuE9ELNS1_3repE0EEENS1_30default_config_static_selectorELNS0_4arch9wavefront6targetE0EEEvT1_
	.globl	_ZN7rocprim17ROCPRIM_400000_NS6detail17trampoline_kernelINS0_14default_configENS1_25partition_config_selectorILNS1_17partition_subalgoE5ExNS0_10empty_typeEbEEZZNS1_14partition_implILS5_5ELb0ES3_mN6thrust23THRUST_200600_302600_NS6detail15normal_iteratorINSA_10device_ptrIxEEEEPS6_NSA_18transform_iteratorINSB_9not_fun_tI7is_trueIxEEENSC_INSD_IbEEEENSA_11use_defaultESO_EENS0_5tupleIJSF_S6_EEENSQ_IJSG_SG_EEES6_PlJS6_EEE10hipError_tPvRmT3_T4_T5_T6_T7_T9_mT8_P12ihipStream_tbDpT10_ENKUlT_T0_E_clISt17integral_constantIbLb1EES1C_IbLb0EEEEDaS18_S19_EUlS18_E_NS1_11comp_targetILNS1_3genE5ELNS1_11target_archE942ELNS1_3gpuE9ELNS1_3repE0EEENS1_30default_config_static_selectorELNS0_4arch9wavefront6targetE0EEEvT1_
	.p2align	8
	.type	_ZN7rocprim17ROCPRIM_400000_NS6detail17trampoline_kernelINS0_14default_configENS1_25partition_config_selectorILNS1_17partition_subalgoE5ExNS0_10empty_typeEbEEZZNS1_14partition_implILS5_5ELb0ES3_mN6thrust23THRUST_200600_302600_NS6detail15normal_iteratorINSA_10device_ptrIxEEEEPS6_NSA_18transform_iteratorINSB_9not_fun_tI7is_trueIxEEENSC_INSD_IbEEEENSA_11use_defaultESO_EENS0_5tupleIJSF_S6_EEENSQ_IJSG_SG_EEES6_PlJS6_EEE10hipError_tPvRmT3_T4_T5_T6_T7_T9_mT8_P12ihipStream_tbDpT10_ENKUlT_T0_E_clISt17integral_constantIbLb1EES1C_IbLb0EEEEDaS18_S19_EUlS18_E_NS1_11comp_targetILNS1_3genE5ELNS1_11target_archE942ELNS1_3gpuE9ELNS1_3repE0EEENS1_30default_config_static_selectorELNS0_4arch9wavefront6targetE0EEEvT1_,@function
_ZN7rocprim17ROCPRIM_400000_NS6detail17trampoline_kernelINS0_14default_configENS1_25partition_config_selectorILNS1_17partition_subalgoE5ExNS0_10empty_typeEbEEZZNS1_14partition_implILS5_5ELb0ES3_mN6thrust23THRUST_200600_302600_NS6detail15normal_iteratorINSA_10device_ptrIxEEEEPS6_NSA_18transform_iteratorINSB_9not_fun_tI7is_trueIxEEENSC_INSD_IbEEEENSA_11use_defaultESO_EENS0_5tupleIJSF_S6_EEENSQ_IJSG_SG_EEES6_PlJS6_EEE10hipError_tPvRmT3_T4_T5_T6_T7_T9_mT8_P12ihipStream_tbDpT10_ENKUlT_T0_E_clISt17integral_constantIbLb1EES1C_IbLb0EEEEDaS18_S19_EUlS18_E_NS1_11comp_targetILNS1_3genE5ELNS1_11target_archE942ELNS1_3gpuE9ELNS1_3repE0EEENS1_30default_config_static_selectorELNS0_4arch9wavefront6targetE0EEEvT1_: ; @_ZN7rocprim17ROCPRIM_400000_NS6detail17trampoline_kernelINS0_14default_configENS1_25partition_config_selectorILNS1_17partition_subalgoE5ExNS0_10empty_typeEbEEZZNS1_14partition_implILS5_5ELb0ES3_mN6thrust23THRUST_200600_302600_NS6detail15normal_iteratorINSA_10device_ptrIxEEEEPS6_NSA_18transform_iteratorINSB_9not_fun_tI7is_trueIxEEENSC_INSD_IbEEEENSA_11use_defaultESO_EENS0_5tupleIJSF_S6_EEENSQ_IJSG_SG_EEES6_PlJS6_EEE10hipError_tPvRmT3_T4_T5_T6_T7_T9_mT8_P12ihipStream_tbDpT10_ENKUlT_T0_E_clISt17integral_constantIbLb1EES1C_IbLb0EEEEDaS18_S19_EUlS18_E_NS1_11comp_targetILNS1_3genE5ELNS1_11target_archE942ELNS1_3gpuE9ELNS1_3repE0EEENS1_30default_config_static_selectorELNS0_4arch9wavefront6targetE0EEEvT1_
; %bb.0:
	.section	.rodata,"a",@progbits
	.p2align	6, 0x0
	.amdhsa_kernel _ZN7rocprim17ROCPRIM_400000_NS6detail17trampoline_kernelINS0_14default_configENS1_25partition_config_selectorILNS1_17partition_subalgoE5ExNS0_10empty_typeEbEEZZNS1_14partition_implILS5_5ELb0ES3_mN6thrust23THRUST_200600_302600_NS6detail15normal_iteratorINSA_10device_ptrIxEEEEPS6_NSA_18transform_iteratorINSB_9not_fun_tI7is_trueIxEEENSC_INSD_IbEEEENSA_11use_defaultESO_EENS0_5tupleIJSF_S6_EEENSQ_IJSG_SG_EEES6_PlJS6_EEE10hipError_tPvRmT3_T4_T5_T6_T7_T9_mT8_P12ihipStream_tbDpT10_ENKUlT_T0_E_clISt17integral_constantIbLb1EES1C_IbLb0EEEEDaS18_S19_EUlS18_E_NS1_11comp_targetILNS1_3genE5ELNS1_11target_archE942ELNS1_3gpuE9ELNS1_3repE0EEENS1_30default_config_static_selectorELNS0_4arch9wavefront6targetE0EEEvT1_
		.amdhsa_group_segment_fixed_size 0
		.amdhsa_private_segment_fixed_size 0
		.amdhsa_kernarg_size 120
		.amdhsa_user_sgpr_count 2
		.amdhsa_user_sgpr_dispatch_ptr 0
		.amdhsa_user_sgpr_queue_ptr 0
		.amdhsa_user_sgpr_kernarg_segment_ptr 1
		.amdhsa_user_sgpr_dispatch_id 0
		.amdhsa_user_sgpr_private_segment_size 0
		.amdhsa_wavefront_size32 1
		.amdhsa_uses_dynamic_stack 0
		.amdhsa_enable_private_segment 0
		.amdhsa_system_sgpr_workgroup_id_x 1
		.amdhsa_system_sgpr_workgroup_id_y 0
		.amdhsa_system_sgpr_workgroup_id_z 0
		.amdhsa_system_sgpr_workgroup_info 0
		.amdhsa_system_vgpr_workitem_id 0
		.amdhsa_next_free_vgpr 1
		.amdhsa_next_free_sgpr 1
		.amdhsa_reserve_vcc 0
		.amdhsa_float_round_mode_32 0
		.amdhsa_float_round_mode_16_64 0
		.amdhsa_float_denorm_mode_32 3
		.amdhsa_float_denorm_mode_16_64 3
		.amdhsa_fp16_overflow 0
		.amdhsa_workgroup_processor_mode 1
		.amdhsa_memory_ordered 1
		.amdhsa_forward_progress 1
		.amdhsa_inst_pref_size 0
		.amdhsa_round_robin_scheduling 0
		.amdhsa_exception_fp_ieee_invalid_op 0
		.amdhsa_exception_fp_denorm_src 0
		.amdhsa_exception_fp_ieee_div_zero 0
		.amdhsa_exception_fp_ieee_overflow 0
		.amdhsa_exception_fp_ieee_underflow 0
		.amdhsa_exception_fp_ieee_inexact 0
		.amdhsa_exception_int_div_zero 0
	.end_amdhsa_kernel
	.section	.text._ZN7rocprim17ROCPRIM_400000_NS6detail17trampoline_kernelINS0_14default_configENS1_25partition_config_selectorILNS1_17partition_subalgoE5ExNS0_10empty_typeEbEEZZNS1_14partition_implILS5_5ELb0ES3_mN6thrust23THRUST_200600_302600_NS6detail15normal_iteratorINSA_10device_ptrIxEEEEPS6_NSA_18transform_iteratorINSB_9not_fun_tI7is_trueIxEEENSC_INSD_IbEEEENSA_11use_defaultESO_EENS0_5tupleIJSF_S6_EEENSQ_IJSG_SG_EEES6_PlJS6_EEE10hipError_tPvRmT3_T4_T5_T6_T7_T9_mT8_P12ihipStream_tbDpT10_ENKUlT_T0_E_clISt17integral_constantIbLb1EES1C_IbLb0EEEEDaS18_S19_EUlS18_E_NS1_11comp_targetILNS1_3genE5ELNS1_11target_archE942ELNS1_3gpuE9ELNS1_3repE0EEENS1_30default_config_static_selectorELNS0_4arch9wavefront6targetE0EEEvT1_,"axG",@progbits,_ZN7rocprim17ROCPRIM_400000_NS6detail17trampoline_kernelINS0_14default_configENS1_25partition_config_selectorILNS1_17partition_subalgoE5ExNS0_10empty_typeEbEEZZNS1_14partition_implILS5_5ELb0ES3_mN6thrust23THRUST_200600_302600_NS6detail15normal_iteratorINSA_10device_ptrIxEEEEPS6_NSA_18transform_iteratorINSB_9not_fun_tI7is_trueIxEEENSC_INSD_IbEEEENSA_11use_defaultESO_EENS0_5tupleIJSF_S6_EEENSQ_IJSG_SG_EEES6_PlJS6_EEE10hipError_tPvRmT3_T4_T5_T6_T7_T9_mT8_P12ihipStream_tbDpT10_ENKUlT_T0_E_clISt17integral_constantIbLb1EES1C_IbLb0EEEEDaS18_S19_EUlS18_E_NS1_11comp_targetILNS1_3genE5ELNS1_11target_archE942ELNS1_3gpuE9ELNS1_3repE0EEENS1_30default_config_static_selectorELNS0_4arch9wavefront6targetE0EEEvT1_,comdat
.Lfunc_end2510:
	.size	_ZN7rocprim17ROCPRIM_400000_NS6detail17trampoline_kernelINS0_14default_configENS1_25partition_config_selectorILNS1_17partition_subalgoE5ExNS0_10empty_typeEbEEZZNS1_14partition_implILS5_5ELb0ES3_mN6thrust23THRUST_200600_302600_NS6detail15normal_iteratorINSA_10device_ptrIxEEEEPS6_NSA_18transform_iteratorINSB_9not_fun_tI7is_trueIxEEENSC_INSD_IbEEEENSA_11use_defaultESO_EENS0_5tupleIJSF_S6_EEENSQ_IJSG_SG_EEES6_PlJS6_EEE10hipError_tPvRmT3_T4_T5_T6_T7_T9_mT8_P12ihipStream_tbDpT10_ENKUlT_T0_E_clISt17integral_constantIbLb1EES1C_IbLb0EEEEDaS18_S19_EUlS18_E_NS1_11comp_targetILNS1_3genE5ELNS1_11target_archE942ELNS1_3gpuE9ELNS1_3repE0EEENS1_30default_config_static_selectorELNS0_4arch9wavefront6targetE0EEEvT1_, .Lfunc_end2510-_ZN7rocprim17ROCPRIM_400000_NS6detail17trampoline_kernelINS0_14default_configENS1_25partition_config_selectorILNS1_17partition_subalgoE5ExNS0_10empty_typeEbEEZZNS1_14partition_implILS5_5ELb0ES3_mN6thrust23THRUST_200600_302600_NS6detail15normal_iteratorINSA_10device_ptrIxEEEEPS6_NSA_18transform_iteratorINSB_9not_fun_tI7is_trueIxEEENSC_INSD_IbEEEENSA_11use_defaultESO_EENS0_5tupleIJSF_S6_EEENSQ_IJSG_SG_EEES6_PlJS6_EEE10hipError_tPvRmT3_T4_T5_T6_T7_T9_mT8_P12ihipStream_tbDpT10_ENKUlT_T0_E_clISt17integral_constantIbLb1EES1C_IbLb0EEEEDaS18_S19_EUlS18_E_NS1_11comp_targetILNS1_3genE5ELNS1_11target_archE942ELNS1_3gpuE9ELNS1_3repE0EEENS1_30default_config_static_selectorELNS0_4arch9wavefront6targetE0EEEvT1_
                                        ; -- End function
	.set _ZN7rocprim17ROCPRIM_400000_NS6detail17trampoline_kernelINS0_14default_configENS1_25partition_config_selectorILNS1_17partition_subalgoE5ExNS0_10empty_typeEbEEZZNS1_14partition_implILS5_5ELb0ES3_mN6thrust23THRUST_200600_302600_NS6detail15normal_iteratorINSA_10device_ptrIxEEEEPS6_NSA_18transform_iteratorINSB_9not_fun_tI7is_trueIxEEENSC_INSD_IbEEEENSA_11use_defaultESO_EENS0_5tupleIJSF_S6_EEENSQ_IJSG_SG_EEES6_PlJS6_EEE10hipError_tPvRmT3_T4_T5_T6_T7_T9_mT8_P12ihipStream_tbDpT10_ENKUlT_T0_E_clISt17integral_constantIbLb1EES1C_IbLb0EEEEDaS18_S19_EUlS18_E_NS1_11comp_targetILNS1_3genE5ELNS1_11target_archE942ELNS1_3gpuE9ELNS1_3repE0EEENS1_30default_config_static_selectorELNS0_4arch9wavefront6targetE0EEEvT1_.num_vgpr, 0
	.set _ZN7rocprim17ROCPRIM_400000_NS6detail17trampoline_kernelINS0_14default_configENS1_25partition_config_selectorILNS1_17partition_subalgoE5ExNS0_10empty_typeEbEEZZNS1_14partition_implILS5_5ELb0ES3_mN6thrust23THRUST_200600_302600_NS6detail15normal_iteratorINSA_10device_ptrIxEEEEPS6_NSA_18transform_iteratorINSB_9not_fun_tI7is_trueIxEEENSC_INSD_IbEEEENSA_11use_defaultESO_EENS0_5tupleIJSF_S6_EEENSQ_IJSG_SG_EEES6_PlJS6_EEE10hipError_tPvRmT3_T4_T5_T6_T7_T9_mT8_P12ihipStream_tbDpT10_ENKUlT_T0_E_clISt17integral_constantIbLb1EES1C_IbLb0EEEEDaS18_S19_EUlS18_E_NS1_11comp_targetILNS1_3genE5ELNS1_11target_archE942ELNS1_3gpuE9ELNS1_3repE0EEENS1_30default_config_static_selectorELNS0_4arch9wavefront6targetE0EEEvT1_.num_agpr, 0
	.set _ZN7rocprim17ROCPRIM_400000_NS6detail17trampoline_kernelINS0_14default_configENS1_25partition_config_selectorILNS1_17partition_subalgoE5ExNS0_10empty_typeEbEEZZNS1_14partition_implILS5_5ELb0ES3_mN6thrust23THRUST_200600_302600_NS6detail15normal_iteratorINSA_10device_ptrIxEEEEPS6_NSA_18transform_iteratorINSB_9not_fun_tI7is_trueIxEEENSC_INSD_IbEEEENSA_11use_defaultESO_EENS0_5tupleIJSF_S6_EEENSQ_IJSG_SG_EEES6_PlJS6_EEE10hipError_tPvRmT3_T4_T5_T6_T7_T9_mT8_P12ihipStream_tbDpT10_ENKUlT_T0_E_clISt17integral_constantIbLb1EES1C_IbLb0EEEEDaS18_S19_EUlS18_E_NS1_11comp_targetILNS1_3genE5ELNS1_11target_archE942ELNS1_3gpuE9ELNS1_3repE0EEENS1_30default_config_static_selectorELNS0_4arch9wavefront6targetE0EEEvT1_.numbered_sgpr, 0
	.set _ZN7rocprim17ROCPRIM_400000_NS6detail17trampoline_kernelINS0_14default_configENS1_25partition_config_selectorILNS1_17partition_subalgoE5ExNS0_10empty_typeEbEEZZNS1_14partition_implILS5_5ELb0ES3_mN6thrust23THRUST_200600_302600_NS6detail15normal_iteratorINSA_10device_ptrIxEEEEPS6_NSA_18transform_iteratorINSB_9not_fun_tI7is_trueIxEEENSC_INSD_IbEEEENSA_11use_defaultESO_EENS0_5tupleIJSF_S6_EEENSQ_IJSG_SG_EEES6_PlJS6_EEE10hipError_tPvRmT3_T4_T5_T6_T7_T9_mT8_P12ihipStream_tbDpT10_ENKUlT_T0_E_clISt17integral_constantIbLb1EES1C_IbLb0EEEEDaS18_S19_EUlS18_E_NS1_11comp_targetILNS1_3genE5ELNS1_11target_archE942ELNS1_3gpuE9ELNS1_3repE0EEENS1_30default_config_static_selectorELNS0_4arch9wavefront6targetE0EEEvT1_.num_named_barrier, 0
	.set _ZN7rocprim17ROCPRIM_400000_NS6detail17trampoline_kernelINS0_14default_configENS1_25partition_config_selectorILNS1_17partition_subalgoE5ExNS0_10empty_typeEbEEZZNS1_14partition_implILS5_5ELb0ES3_mN6thrust23THRUST_200600_302600_NS6detail15normal_iteratorINSA_10device_ptrIxEEEEPS6_NSA_18transform_iteratorINSB_9not_fun_tI7is_trueIxEEENSC_INSD_IbEEEENSA_11use_defaultESO_EENS0_5tupleIJSF_S6_EEENSQ_IJSG_SG_EEES6_PlJS6_EEE10hipError_tPvRmT3_T4_T5_T6_T7_T9_mT8_P12ihipStream_tbDpT10_ENKUlT_T0_E_clISt17integral_constantIbLb1EES1C_IbLb0EEEEDaS18_S19_EUlS18_E_NS1_11comp_targetILNS1_3genE5ELNS1_11target_archE942ELNS1_3gpuE9ELNS1_3repE0EEENS1_30default_config_static_selectorELNS0_4arch9wavefront6targetE0EEEvT1_.private_seg_size, 0
	.set _ZN7rocprim17ROCPRIM_400000_NS6detail17trampoline_kernelINS0_14default_configENS1_25partition_config_selectorILNS1_17partition_subalgoE5ExNS0_10empty_typeEbEEZZNS1_14partition_implILS5_5ELb0ES3_mN6thrust23THRUST_200600_302600_NS6detail15normal_iteratorINSA_10device_ptrIxEEEEPS6_NSA_18transform_iteratorINSB_9not_fun_tI7is_trueIxEEENSC_INSD_IbEEEENSA_11use_defaultESO_EENS0_5tupleIJSF_S6_EEENSQ_IJSG_SG_EEES6_PlJS6_EEE10hipError_tPvRmT3_T4_T5_T6_T7_T9_mT8_P12ihipStream_tbDpT10_ENKUlT_T0_E_clISt17integral_constantIbLb1EES1C_IbLb0EEEEDaS18_S19_EUlS18_E_NS1_11comp_targetILNS1_3genE5ELNS1_11target_archE942ELNS1_3gpuE9ELNS1_3repE0EEENS1_30default_config_static_selectorELNS0_4arch9wavefront6targetE0EEEvT1_.uses_vcc, 0
	.set _ZN7rocprim17ROCPRIM_400000_NS6detail17trampoline_kernelINS0_14default_configENS1_25partition_config_selectorILNS1_17partition_subalgoE5ExNS0_10empty_typeEbEEZZNS1_14partition_implILS5_5ELb0ES3_mN6thrust23THRUST_200600_302600_NS6detail15normal_iteratorINSA_10device_ptrIxEEEEPS6_NSA_18transform_iteratorINSB_9not_fun_tI7is_trueIxEEENSC_INSD_IbEEEENSA_11use_defaultESO_EENS0_5tupleIJSF_S6_EEENSQ_IJSG_SG_EEES6_PlJS6_EEE10hipError_tPvRmT3_T4_T5_T6_T7_T9_mT8_P12ihipStream_tbDpT10_ENKUlT_T0_E_clISt17integral_constantIbLb1EES1C_IbLb0EEEEDaS18_S19_EUlS18_E_NS1_11comp_targetILNS1_3genE5ELNS1_11target_archE942ELNS1_3gpuE9ELNS1_3repE0EEENS1_30default_config_static_selectorELNS0_4arch9wavefront6targetE0EEEvT1_.uses_flat_scratch, 0
	.set _ZN7rocprim17ROCPRIM_400000_NS6detail17trampoline_kernelINS0_14default_configENS1_25partition_config_selectorILNS1_17partition_subalgoE5ExNS0_10empty_typeEbEEZZNS1_14partition_implILS5_5ELb0ES3_mN6thrust23THRUST_200600_302600_NS6detail15normal_iteratorINSA_10device_ptrIxEEEEPS6_NSA_18transform_iteratorINSB_9not_fun_tI7is_trueIxEEENSC_INSD_IbEEEENSA_11use_defaultESO_EENS0_5tupleIJSF_S6_EEENSQ_IJSG_SG_EEES6_PlJS6_EEE10hipError_tPvRmT3_T4_T5_T6_T7_T9_mT8_P12ihipStream_tbDpT10_ENKUlT_T0_E_clISt17integral_constantIbLb1EES1C_IbLb0EEEEDaS18_S19_EUlS18_E_NS1_11comp_targetILNS1_3genE5ELNS1_11target_archE942ELNS1_3gpuE9ELNS1_3repE0EEENS1_30default_config_static_selectorELNS0_4arch9wavefront6targetE0EEEvT1_.has_dyn_sized_stack, 0
	.set _ZN7rocprim17ROCPRIM_400000_NS6detail17trampoline_kernelINS0_14default_configENS1_25partition_config_selectorILNS1_17partition_subalgoE5ExNS0_10empty_typeEbEEZZNS1_14partition_implILS5_5ELb0ES3_mN6thrust23THRUST_200600_302600_NS6detail15normal_iteratorINSA_10device_ptrIxEEEEPS6_NSA_18transform_iteratorINSB_9not_fun_tI7is_trueIxEEENSC_INSD_IbEEEENSA_11use_defaultESO_EENS0_5tupleIJSF_S6_EEENSQ_IJSG_SG_EEES6_PlJS6_EEE10hipError_tPvRmT3_T4_T5_T6_T7_T9_mT8_P12ihipStream_tbDpT10_ENKUlT_T0_E_clISt17integral_constantIbLb1EES1C_IbLb0EEEEDaS18_S19_EUlS18_E_NS1_11comp_targetILNS1_3genE5ELNS1_11target_archE942ELNS1_3gpuE9ELNS1_3repE0EEENS1_30default_config_static_selectorELNS0_4arch9wavefront6targetE0EEEvT1_.has_recursion, 0
	.set _ZN7rocprim17ROCPRIM_400000_NS6detail17trampoline_kernelINS0_14default_configENS1_25partition_config_selectorILNS1_17partition_subalgoE5ExNS0_10empty_typeEbEEZZNS1_14partition_implILS5_5ELb0ES3_mN6thrust23THRUST_200600_302600_NS6detail15normal_iteratorINSA_10device_ptrIxEEEEPS6_NSA_18transform_iteratorINSB_9not_fun_tI7is_trueIxEEENSC_INSD_IbEEEENSA_11use_defaultESO_EENS0_5tupleIJSF_S6_EEENSQ_IJSG_SG_EEES6_PlJS6_EEE10hipError_tPvRmT3_T4_T5_T6_T7_T9_mT8_P12ihipStream_tbDpT10_ENKUlT_T0_E_clISt17integral_constantIbLb1EES1C_IbLb0EEEEDaS18_S19_EUlS18_E_NS1_11comp_targetILNS1_3genE5ELNS1_11target_archE942ELNS1_3gpuE9ELNS1_3repE0EEENS1_30default_config_static_selectorELNS0_4arch9wavefront6targetE0EEEvT1_.has_indirect_call, 0
	.section	.AMDGPU.csdata,"",@progbits
; Kernel info:
; codeLenInByte = 0
; TotalNumSgprs: 0
; NumVgprs: 0
; ScratchSize: 0
; MemoryBound: 0
; FloatMode: 240
; IeeeMode: 1
; LDSByteSize: 0 bytes/workgroup (compile time only)
; SGPRBlocks: 0
; VGPRBlocks: 0
; NumSGPRsForWavesPerEU: 1
; NumVGPRsForWavesPerEU: 1
; Occupancy: 16
; WaveLimiterHint : 0
; COMPUTE_PGM_RSRC2:SCRATCH_EN: 0
; COMPUTE_PGM_RSRC2:USER_SGPR: 2
; COMPUTE_PGM_RSRC2:TRAP_HANDLER: 0
; COMPUTE_PGM_RSRC2:TGID_X_EN: 1
; COMPUTE_PGM_RSRC2:TGID_Y_EN: 0
; COMPUTE_PGM_RSRC2:TGID_Z_EN: 0
; COMPUTE_PGM_RSRC2:TIDIG_COMP_CNT: 0
	.section	.text._ZN7rocprim17ROCPRIM_400000_NS6detail17trampoline_kernelINS0_14default_configENS1_25partition_config_selectorILNS1_17partition_subalgoE5ExNS0_10empty_typeEbEEZZNS1_14partition_implILS5_5ELb0ES3_mN6thrust23THRUST_200600_302600_NS6detail15normal_iteratorINSA_10device_ptrIxEEEEPS6_NSA_18transform_iteratorINSB_9not_fun_tI7is_trueIxEEENSC_INSD_IbEEEENSA_11use_defaultESO_EENS0_5tupleIJSF_S6_EEENSQ_IJSG_SG_EEES6_PlJS6_EEE10hipError_tPvRmT3_T4_T5_T6_T7_T9_mT8_P12ihipStream_tbDpT10_ENKUlT_T0_E_clISt17integral_constantIbLb1EES1C_IbLb0EEEEDaS18_S19_EUlS18_E_NS1_11comp_targetILNS1_3genE4ELNS1_11target_archE910ELNS1_3gpuE8ELNS1_3repE0EEENS1_30default_config_static_selectorELNS0_4arch9wavefront6targetE0EEEvT1_,"axG",@progbits,_ZN7rocprim17ROCPRIM_400000_NS6detail17trampoline_kernelINS0_14default_configENS1_25partition_config_selectorILNS1_17partition_subalgoE5ExNS0_10empty_typeEbEEZZNS1_14partition_implILS5_5ELb0ES3_mN6thrust23THRUST_200600_302600_NS6detail15normal_iteratorINSA_10device_ptrIxEEEEPS6_NSA_18transform_iteratorINSB_9not_fun_tI7is_trueIxEEENSC_INSD_IbEEEENSA_11use_defaultESO_EENS0_5tupleIJSF_S6_EEENSQ_IJSG_SG_EEES6_PlJS6_EEE10hipError_tPvRmT3_T4_T5_T6_T7_T9_mT8_P12ihipStream_tbDpT10_ENKUlT_T0_E_clISt17integral_constantIbLb1EES1C_IbLb0EEEEDaS18_S19_EUlS18_E_NS1_11comp_targetILNS1_3genE4ELNS1_11target_archE910ELNS1_3gpuE8ELNS1_3repE0EEENS1_30default_config_static_selectorELNS0_4arch9wavefront6targetE0EEEvT1_,comdat
	.protected	_ZN7rocprim17ROCPRIM_400000_NS6detail17trampoline_kernelINS0_14default_configENS1_25partition_config_selectorILNS1_17partition_subalgoE5ExNS0_10empty_typeEbEEZZNS1_14partition_implILS5_5ELb0ES3_mN6thrust23THRUST_200600_302600_NS6detail15normal_iteratorINSA_10device_ptrIxEEEEPS6_NSA_18transform_iteratorINSB_9not_fun_tI7is_trueIxEEENSC_INSD_IbEEEENSA_11use_defaultESO_EENS0_5tupleIJSF_S6_EEENSQ_IJSG_SG_EEES6_PlJS6_EEE10hipError_tPvRmT3_T4_T5_T6_T7_T9_mT8_P12ihipStream_tbDpT10_ENKUlT_T0_E_clISt17integral_constantIbLb1EES1C_IbLb0EEEEDaS18_S19_EUlS18_E_NS1_11comp_targetILNS1_3genE4ELNS1_11target_archE910ELNS1_3gpuE8ELNS1_3repE0EEENS1_30default_config_static_selectorELNS0_4arch9wavefront6targetE0EEEvT1_ ; -- Begin function _ZN7rocprim17ROCPRIM_400000_NS6detail17trampoline_kernelINS0_14default_configENS1_25partition_config_selectorILNS1_17partition_subalgoE5ExNS0_10empty_typeEbEEZZNS1_14partition_implILS5_5ELb0ES3_mN6thrust23THRUST_200600_302600_NS6detail15normal_iteratorINSA_10device_ptrIxEEEEPS6_NSA_18transform_iteratorINSB_9not_fun_tI7is_trueIxEEENSC_INSD_IbEEEENSA_11use_defaultESO_EENS0_5tupleIJSF_S6_EEENSQ_IJSG_SG_EEES6_PlJS6_EEE10hipError_tPvRmT3_T4_T5_T6_T7_T9_mT8_P12ihipStream_tbDpT10_ENKUlT_T0_E_clISt17integral_constantIbLb1EES1C_IbLb0EEEEDaS18_S19_EUlS18_E_NS1_11comp_targetILNS1_3genE4ELNS1_11target_archE910ELNS1_3gpuE8ELNS1_3repE0EEENS1_30default_config_static_selectorELNS0_4arch9wavefront6targetE0EEEvT1_
	.globl	_ZN7rocprim17ROCPRIM_400000_NS6detail17trampoline_kernelINS0_14default_configENS1_25partition_config_selectorILNS1_17partition_subalgoE5ExNS0_10empty_typeEbEEZZNS1_14partition_implILS5_5ELb0ES3_mN6thrust23THRUST_200600_302600_NS6detail15normal_iteratorINSA_10device_ptrIxEEEEPS6_NSA_18transform_iteratorINSB_9not_fun_tI7is_trueIxEEENSC_INSD_IbEEEENSA_11use_defaultESO_EENS0_5tupleIJSF_S6_EEENSQ_IJSG_SG_EEES6_PlJS6_EEE10hipError_tPvRmT3_T4_T5_T6_T7_T9_mT8_P12ihipStream_tbDpT10_ENKUlT_T0_E_clISt17integral_constantIbLb1EES1C_IbLb0EEEEDaS18_S19_EUlS18_E_NS1_11comp_targetILNS1_3genE4ELNS1_11target_archE910ELNS1_3gpuE8ELNS1_3repE0EEENS1_30default_config_static_selectorELNS0_4arch9wavefront6targetE0EEEvT1_
	.p2align	8
	.type	_ZN7rocprim17ROCPRIM_400000_NS6detail17trampoline_kernelINS0_14default_configENS1_25partition_config_selectorILNS1_17partition_subalgoE5ExNS0_10empty_typeEbEEZZNS1_14partition_implILS5_5ELb0ES3_mN6thrust23THRUST_200600_302600_NS6detail15normal_iteratorINSA_10device_ptrIxEEEEPS6_NSA_18transform_iteratorINSB_9not_fun_tI7is_trueIxEEENSC_INSD_IbEEEENSA_11use_defaultESO_EENS0_5tupleIJSF_S6_EEENSQ_IJSG_SG_EEES6_PlJS6_EEE10hipError_tPvRmT3_T4_T5_T6_T7_T9_mT8_P12ihipStream_tbDpT10_ENKUlT_T0_E_clISt17integral_constantIbLb1EES1C_IbLb0EEEEDaS18_S19_EUlS18_E_NS1_11comp_targetILNS1_3genE4ELNS1_11target_archE910ELNS1_3gpuE8ELNS1_3repE0EEENS1_30default_config_static_selectorELNS0_4arch9wavefront6targetE0EEEvT1_,@function
_ZN7rocprim17ROCPRIM_400000_NS6detail17trampoline_kernelINS0_14default_configENS1_25partition_config_selectorILNS1_17partition_subalgoE5ExNS0_10empty_typeEbEEZZNS1_14partition_implILS5_5ELb0ES3_mN6thrust23THRUST_200600_302600_NS6detail15normal_iteratorINSA_10device_ptrIxEEEEPS6_NSA_18transform_iteratorINSB_9not_fun_tI7is_trueIxEEENSC_INSD_IbEEEENSA_11use_defaultESO_EENS0_5tupleIJSF_S6_EEENSQ_IJSG_SG_EEES6_PlJS6_EEE10hipError_tPvRmT3_T4_T5_T6_T7_T9_mT8_P12ihipStream_tbDpT10_ENKUlT_T0_E_clISt17integral_constantIbLb1EES1C_IbLb0EEEEDaS18_S19_EUlS18_E_NS1_11comp_targetILNS1_3genE4ELNS1_11target_archE910ELNS1_3gpuE8ELNS1_3repE0EEENS1_30default_config_static_selectorELNS0_4arch9wavefront6targetE0EEEvT1_: ; @_ZN7rocprim17ROCPRIM_400000_NS6detail17trampoline_kernelINS0_14default_configENS1_25partition_config_selectorILNS1_17partition_subalgoE5ExNS0_10empty_typeEbEEZZNS1_14partition_implILS5_5ELb0ES3_mN6thrust23THRUST_200600_302600_NS6detail15normal_iteratorINSA_10device_ptrIxEEEEPS6_NSA_18transform_iteratorINSB_9not_fun_tI7is_trueIxEEENSC_INSD_IbEEEENSA_11use_defaultESO_EENS0_5tupleIJSF_S6_EEENSQ_IJSG_SG_EEES6_PlJS6_EEE10hipError_tPvRmT3_T4_T5_T6_T7_T9_mT8_P12ihipStream_tbDpT10_ENKUlT_T0_E_clISt17integral_constantIbLb1EES1C_IbLb0EEEEDaS18_S19_EUlS18_E_NS1_11comp_targetILNS1_3genE4ELNS1_11target_archE910ELNS1_3gpuE8ELNS1_3repE0EEENS1_30default_config_static_selectorELNS0_4arch9wavefront6targetE0EEEvT1_
; %bb.0:
	.section	.rodata,"a",@progbits
	.p2align	6, 0x0
	.amdhsa_kernel _ZN7rocprim17ROCPRIM_400000_NS6detail17trampoline_kernelINS0_14default_configENS1_25partition_config_selectorILNS1_17partition_subalgoE5ExNS0_10empty_typeEbEEZZNS1_14partition_implILS5_5ELb0ES3_mN6thrust23THRUST_200600_302600_NS6detail15normal_iteratorINSA_10device_ptrIxEEEEPS6_NSA_18transform_iteratorINSB_9not_fun_tI7is_trueIxEEENSC_INSD_IbEEEENSA_11use_defaultESO_EENS0_5tupleIJSF_S6_EEENSQ_IJSG_SG_EEES6_PlJS6_EEE10hipError_tPvRmT3_T4_T5_T6_T7_T9_mT8_P12ihipStream_tbDpT10_ENKUlT_T0_E_clISt17integral_constantIbLb1EES1C_IbLb0EEEEDaS18_S19_EUlS18_E_NS1_11comp_targetILNS1_3genE4ELNS1_11target_archE910ELNS1_3gpuE8ELNS1_3repE0EEENS1_30default_config_static_selectorELNS0_4arch9wavefront6targetE0EEEvT1_
		.amdhsa_group_segment_fixed_size 0
		.amdhsa_private_segment_fixed_size 0
		.amdhsa_kernarg_size 120
		.amdhsa_user_sgpr_count 2
		.amdhsa_user_sgpr_dispatch_ptr 0
		.amdhsa_user_sgpr_queue_ptr 0
		.amdhsa_user_sgpr_kernarg_segment_ptr 1
		.amdhsa_user_sgpr_dispatch_id 0
		.amdhsa_user_sgpr_private_segment_size 0
		.amdhsa_wavefront_size32 1
		.amdhsa_uses_dynamic_stack 0
		.amdhsa_enable_private_segment 0
		.amdhsa_system_sgpr_workgroup_id_x 1
		.amdhsa_system_sgpr_workgroup_id_y 0
		.amdhsa_system_sgpr_workgroup_id_z 0
		.amdhsa_system_sgpr_workgroup_info 0
		.amdhsa_system_vgpr_workitem_id 0
		.amdhsa_next_free_vgpr 1
		.amdhsa_next_free_sgpr 1
		.amdhsa_reserve_vcc 0
		.amdhsa_float_round_mode_32 0
		.amdhsa_float_round_mode_16_64 0
		.amdhsa_float_denorm_mode_32 3
		.amdhsa_float_denorm_mode_16_64 3
		.amdhsa_fp16_overflow 0
		.amdhsa_workgroup_processor_mode 1
		.amdhsa_memory_ordered 1
		.amdhsa_forward_progress 1
		.amdhsa_inst_pref_size 0
		.amdhsa_round_robin_scheduling 0
		.amdhsa_exception_fp_ieee_invalid_op 0
		.amdhsa_exception_fp_denorm_src 0
		.amdhsa_exception_fp_ieee_div_zero 0
		.amdhsa_exception_fp_ieee_overflow 0
		.amdhsa_exception_fp_ieee_underflow 0
		.amdhsa_exception_fp_ieee_inexact 0
		.amdhsa_exception_int_div_zero 0
	.end_amdhsa_kernel
	.section	.text._ZN7rocprim17ROCPRIM_400000_NS6detail17trampoline_kernelINS0_14default_configENS1_25partition_config_selectorILNS1_17partition_subalgoE5ExNS0_10empty_typeEbEEZZNS1_14partition_implILS5_5ELb0ES3_mN6thrust23THRUST_200600_302600_NS6detail15normal_iteratorINSA_10device_ptrIxEEEEPS6_NSA_18transform_iteratorINSB_9not_fun_tI7is_trueIxEEENSC_INSD_IbEEEENSA_11use_defaultESO_EENS0_5tupleIJSF_S6_EEENSQ_IJSG_SG_EEES6_PlJS6_EEE10hipError_tPvRmT3_T4_T5_T6_T7_T9_mT8_P12ihipStream_tbDpT10_ENKUlT_T0_E_clISt17integral_constantIbLb1EES1C_IbLb0EEEEDaS18_S19_EUlS18_E_NS1_11comp_targetILNS1_3genE4ELNS1_11target_archE910ELNS1_3gpuE8ELNS1_3repE0EEENS1_30default_config_static_selectorELNS0_4arch9wavefront6targetE0EEEvT1_,"axG",@progbits,_ZN7rocprim17ROCPRIM_400000_NS6detail17trampoline_kernelINS0_14default_configENS1_25partition_config_selectorILNS1_17partition_subalgoE5ExNS0_10empty_typeEbEEZZNS1_14partition_implILS5_5ELb0ES3_mN6thrust23THRUST_200600_302600_NS6detail15normal_iteratorINSA_10device_ptrIxEEEEPS6_NSA_18transform_iteratorINSB_9not_fun_tI7is_trueIxEEENSC_INSD_IbEEEENSA_11use_defaultESO_EENS0_5tupleIJSF_S6_EEENSQ_IJSG_SG_EEES6_PlJS6_EEE10hipError_tPvRmT3_T4_T5_T6_T7_T9_mT8_P12ihipStream_tbDpT10_ENKUlT_T0_E_clISt17integral_constantIbLb1EES1C_IbLb0EEEEDaS18_S19_EUlS18_E_NS1_11comp_targetILNS1_3genE4ELNS1_11target_archE910ELNS1_3gpuE8ELNS1_3repE0EEENS1_30default_config_static_selectorELNS0_4arch9wavefront6targetE0EEEvT1_,comdat
.Lfunc_end2511:
	.size	_ZN7rocprim17ROCPRIM_400000_NS6detail17trampoline_kernelINS0_14default_configENS1_25partition_config_selectorILNS1_17partition_subalgoE5ExNS0_10empty_typeEbEEZZNS1_14partition_implILS5_5ELb0ES3_mN6thrust23THRUST_200600_302600_NS6detail15normal_iteratorINSA_10device_ptrIxEEEEPS6_NSA_18transform_iteratorINSB_9not_fun_tI7is_trueIxEEENSC_INSD_IbEEEENSA_11use_defaultESO_EENS0_5tupleIJSF_S6_EEENSQ_IJSG_SG_EEES6_PlJS6_EEE10hipError_tPvRmT3_T4_T5_T6_T7_T9_mT8_P12ihipStream_tbDpT10_ENKUlT_T0_E_clISt17integral_constantIbLb1EES1C_IbLb0EEEEDaS18_S19_EUlS18_E_NS1_11comp_targetILNS1_3genE4ELNS1_11target_archE910ELNS1_3gpuE8ELNS1_3repE0EEENS1_30default_config_static_selectorELNS0_4arch9wavefront6targetE0EEEvT1_, .Lfunc_end2511-_ZN7rocprim17ROCPRIM_400000_NS6detail17trampoline_kernelINS0_14default_configENS1_25partition_config_selectorILNS1_17partition_subalgoE5ExNS0_10empty_typeEbEEZZNS1_14partition_implILS5_5ELb0ES3_mN6thrust23THRUST_200600_302600_NS6detail15normal_iteratorINSA_10device_ptrIxEEEEPS6_NSA_18transform_iteratorINSB_9not_fun_tI7is_trueIxEEENSC_INSD_IbEEEENSA_11use_defaultESO_EENS0_5tupleIJSF_S6_EEENSQ_IJSG_SG_EEES6_PlJS6_EEE10hipError_tPvRmT3_T4_T5_T6_T7_T9_mT8_P12ihipStream_tbDpT10_ENKUlT_T0_E_clISt17integral_constantIbLb1EES1C_IbLb0EEEEDaS18_S19_EUlS18_E_NS1_11comp_targetILNS1_3genE4ELNS1_11target_archE910ELNS1_3gpuE8ELNS1_3repE0EEENS1_30default_config_static_selectorELNS0_4arch9wavefront6targetE0EEEvT1_
                                        ; -- End function
	.set _ZN7rocprim17ROCPRIM_400000_NS6detail17trampoline_kernelINS0_14default_configENS1_25partition_config_selectorILNS1_17partition_subalgoE5ExNS0_10empty_typeEbEEZZNS1_14partition_implILS5_5ELb0ES3_mN6thrust23THRUST_200600_302600_NS6detail15normal_iteratorINSA_10device_ptrIxEEEEPS6_NSA_18transform_iteratorINSB_9not_fun_tI7is_trueIxEEENSC_INSD_IbEEEENSA_11use_defaultESO_EENS0_5tupleIJSF_S6_EEENSQ_IJSG_SG_EEES6_PlJS6_EEE10hipError_tPvRmT3_T4_T5_T6_T7_T9_mT8_P12ihipStream_tbDpT10_ENKUlT_T0_E_clISt17integral_constantIbLb1EES1C_IbLb0EEEEDaS18_S19_EUlS18_E_NS1_11comp_targetILNS1_3genE4ELNS1_11target_archE910ELNS1_3gpuE8ELNS1_3repE0EEENS1_30default_config_static_selectorELNS0_4arch9wavefront6targetE0EEEvT1_.num_vgpr, 0
	.set _ZN7rocprim17ROCPRIM_400000_NS6detail17trampoline_kernelINS0_14default_configENS1_25partition_config_selectorILNS1_17partition_subalgoE5ExNS0_10empty_typeEbEEZZNS1_14partition_implILS5_5ELb0ES3_mN6thrust23THRUST_200600_302600_NS6detail15normal_iteratorINSA_10device_ptrIxEEEEPS6_NSA_18transform_iteratorINSB_9not_fun_tI7is_trueIxEEENSC_INSD_IbEEEENSA_11use_defaultESO_EENS0_5tupleIJSF_S6_EEENSQ_IJSG_SG_EEES6_PlJS6_EEE10hipError_tPvRmT3_T4_T5_T6_T7_T9_mT8_P12ihipStream_tbDpT10_ENKUlT_T0_E_clISt17integral_constantIbLb1EES1C_IbLb0EEEEDaS18_S19_EUlS18_E_NS1_11comp_targetILNS1_3genE4ELNS1_11target_archE910ELNS1_3gpuE8ELNS1_3repE0EEENS1_30default_config_static_selectorELNS0_4arch9wavefront6targetE0EEEvT1_.num_agpr, 0
	.set _ZN7rocprim17ROCPRIM_400000_NS6detail17trampoline_kernelINS0_14default_configENS1_25partition_config_selectorILNS1_17partition_subalgoE5ExNS0_10empty_typeEbEEZZNS1_14partition_implILS5_5ELb0ES3_mN6thrust23THRUST_200600_302600_NS6detail15normal_iteratorINSA_10device_ptrIxEEEEPS6_NSA_18transform_iteratorINSB_9not_fun_tI7is_trueIxEEENSC_INSD_IbEEEENSA_11use_defaultESO_EENS0_5tupleIJSF_S6_EEENSQ_IJSG_SG_EEES6_PlJS6_EEE10hipError_tPvRmT3_T4_T5_T6_T7_T9_mT8_P12ihipStream_tbDpT10_ENKUlT_T0_E_clISt17integral_constantIbLb1EES1C_IbLb0EEEEDaS18_S19_EUlS18_E_NS1_11comp_targetILNS1_3genE4ELNS1_11target_archE910ELNS1_3gpuE8ELNS1_3repE0EEENS1_30default_config_static_selectorELNS0_4arch9wavefront6targetE0EEEvT1_.numbered_sgpr, 0
	.set _ZN7rocprim17ROCPRIM_400000_NS6detail17trampoline_kernelINS0_14default_configENS1_25partition_config_selectorILNS1_17partition_subalgoE5ExNS0_10empty_typeEbEEZZNS1_14partition_implILS5_5ELb0ES3_mN6thrust23THRUST_200600_302600_NS6detail15normal_iteratorINSA_10device_ptrIxEEEEPS6_NSA_18transform_iteratorINSB_9not_fun_tI7is_trueIxEEENSC_INSD_IbEEEENSA_11use_defaultESO_EENS0_5tupleIJSF_S6_EEENSQ_IJSG_SG_EEES6_PlJS6_EEE10hipError_tPvRmT3_T4_T5_T6_T7_T9_mT8_P12ihipStream_tbDpT10_ENKUlT_T0_E_clISt17integral_constantIbLb1EES1C_IbLb0EEEEDaS18_S19_EUlS18_E_NS1_11comp_targetILNS1_3genE4ELNS1_11target_archE910ELNS1_3gpuE8ELNS1_3repE0EEENS1_30default_config_static_selectorELNS0_4arch9wavefront6targetE0EEEvT1_.num_named_barrier, 0
	.set _ZN7rocprim17ROCPRIM_400000_NS6detail17trampoline_kernelINS0_14default_configENS1_25partition_config_selectorILNS1_17partition_subalgoE5ExNS0_10empty_typeEbEEZZNS1_14partition_implILS5_5ELb0ES3_mN6thrust23THRUST_200600_302600_NS6detail15normal_iteratorINSA_10device_ptrIxEEEEPS6_NSA_18transform_iteratorINSB_9not_fun_tI7is_trueIxEEENSC_INSD_IbEEEENSA_11use_defaultESO_EENS0_5tupleIJSF_S6_EEENSQ_IJSG_SG_EEES6_PlJS6_EEE10hipError_tPvRmT3_T4_T5_T6_T7_T9_mT8_P12ihipStream_tbDpT10_ENKUlT_T0_E_clISt17integral_constantIbLb1EES1C_IbLb0EEEEDaS18_S19_EUlS18_E_NS1_11comp_targetILNS1_3genE4ELNS1_11target_archE910ELNS1_3gpuE8ELNS1_3repE0EEENS1_30default_config_static_selectorELNS0_4arch9wavefront6targetE0EEEvT1_.private_seg_size, 0
	.set _ZN7rocprim17ROCPRIM_400000_NS6detail17trampoline_kernelINS0_14default_configENS1_25partition_config_selectorILNS1_17partition_subalgoE5ExNS0_10empty_typeEbEEZZNS1_14partition_implILS5_5ELb0ES3_mN6thrust23THRUST_200600_302600_NS6detail15normal_iteratorINSA_10device_ptrIxEEEEPS6_NSA_18transform_iteratorINSB_9not_fun_tI7is_trueIxEEENSC_INSD_IbEEEENSA_11use_defaultESO_EENS0_5tupleIJSF_S6_EEENSQ_IJSG_SG_EEES6_PlJS6_EEE10hipError_tPvRmT3_T4_T5_T6_T7_T9_mT8_P12ihipStream_tbDpT10_ENKUlT_T0_E_clISt17integral_constantIbLb1EES1C_IbLb0EEEEDaS18_S19_EUlS18_E_NS1_11comp_targetILNS1_3genE4ELNS1_11target_archE910ELNS1_3gpuE8ELNS1_3repE0EEENS1_30default_config_static_selectorELNS0_4arch9wavefront6targetE0EEEvT1_.uses_vcc, 0
	.set _ZN7rocprim17ROCPRIM_400000_NS6detail17trampoline_kernelINS0_14default_configENS1_25partition_config_selectorILNS1_17partition_subalgoE5ExNS0_10empty_typeEbEEZZNS1_14partition_implILS5_5ELb0ES3_mN6thrust23THRUST_200600_302600_NS6detail15normal_iteratorINSA_10device_ptrIxEEEEPS6_NSA_18transform_iteratorINSB_9not_fun_tI7is_trueIxEEENSC_INSD_IbEEEENSA_11use_defaultESO_EENS0_5tupleIJSF_S6_EEENSQ_IJSG_SG_EEES6_PlJS6_EEE10hipError_tPvRmT3_T4_T5_T6_T7_T9_mT8_P12ihipStream_tbDpT10_ENKUlT_T0_E_clISt17integral_constantIbLb1EES1C_IbLb0EEEEDaS18_S19_EUlS18_E_NS1_11comp_targetILNS1_3genE4ELNS1_11target_archE910ELNS1_3gpuE8ELNS1_3repE0EEENS1_30default_config_static_selectorELNS0_4arch9wavefront6targetE0EEEvT1_.uses_flat_scratch, 0
	.set _ZN7rocprim17ROCPRIM_400000_NS6detail17trampoline_kernelINS0_14default_configENS1_25partition_config_selectorILNS1_17partition_subalgoE5ExNS0_10empty_typeEbEEZZNS1_14partition_implILS5_5ELb0ES3_mN6thrust23THRUST_200600_302600_NS6detail15normal_iteratorINSA_10device_ptrIxEEEEPS6_NSA_18transform_iteratorINSB_9not_fun_tI7is_trueIxEEENSC_INSD_IbEEEENSA_11use_defaultESO_EENS0_5tupleIJSF_S6_EEENSQ_IJSG_SG_EEES6_PlJS6_EEE10hipError_tPvRmT3_T4_T5_T6_T7_T9_mT8_P12ihipStream_tbDpT10_ENKUlT_T0_E_clISt17integral_constantIbLb1EES1C_IbLb0EEEEDaS18_S19_EUlS18_E_NS1_11comp_targetILNS1_3genE4ELNS1_11target_archE910ELNS1_3gpuE8ELNS1_3repE0EEENS1_30default_config_static_selectorELNS0_4arch9wavefront6targetE0EEEvT1_.has_dyn_sized_stack, 0
	.set _ZN7rocprim17ROCPRIM_400000_NS6detail17trampoline_kernelINS0_14default_configENS1_25partition_config_selectorILNS1_17partition_subalgoE5ExNS0_10empty_typeEbEEZZNS1_14partition_implILS5_5ELb0ES3_mN6thrust23THRUST_200600_302600_NS6detail15normal_iteratorINSA_10device_ptrIxEEEEPS6_NSA_18transform_iteratorINSB_9not_fun_tI7is_trueIxEEENSC_INSD_IbEEEENSA_11use_defaultESO_EENS0_5tupleIJSF_S6_EEENSQ_IJSG_SG_EEES6_PlJS6_EEE10hipError_tPvRmT3_T4_T5_T6_T7_T9_mT8_P12ihipStream_tbDpT10_ENKUlT_T0_E_clISt17integral_constantIbLb1EES1C_IbLb0EEEEDaS18_S19_EUlS18_E_NS1_11comp_targetILNS1_3genE4ELNS1_11target_archE910ELNS1_3gpuE8ELNS1_3repE0EEENS1_30default_config_static_selectorELNS0_4arch9wavefront6targetE0EEEvT1_.has_recursion, 0
	.set _ZN7rocprim17ROCPRIM_400000_NS6detail17trampoline_kernelINS0_14default_configENS1_25partition_config_selectorILNS1_17partition_subalgoE5ExNS0_10empty_typeEbEEZZNS1_14partition_implILS5_5ELb0ES3_mN6thrust23THRUST_200600_302600_NS6detail15normal_iteratorINSA_10device_ptrIxEEEEPS6_NSA_18transform_iteratorINSB_9not_fun_tI7is_trueIxEEENSC_INSD_IbEEEENSA_11use_defaultESO_EENS0_5tupleIJSF_S6_EEENSQ_IJSG_SG_EEES6_PlJS6_EEE10hipError_tPvRmT3_T4_T5_T6_T7_T9_mT8_P12ihipStream_tbDpT10_ENKUlT_T0_E_clISt17integral_constantIbLb1EES1C_IbLb0EEEEDaS18_S19_EUlS18_E_NS1_11comp_targetILNS1_3genE4ELNS1_11target_archE910ELNS1_3gpuE8ELNS1_3repE0EEENS1_30default_config_static_selectorELNS0_4arch9wavefront6targetE0EEEvT1_.has_indirect_call, 0
	.section	.AMDGPU.csdata,"",@progbits
; Kernel info:
; codeLenInByte = 0
; TotalNumSgprs: 0
; NumVgprs: 0
; ScratchSize: 0
; MemoryBound: 0
; FloatMode: 240
; IeeeMode: 1
; LDSByteSize: 0 bytes/workgroup (compile time only)
; SGPRBlocks: 0
; VGPRBlocks: 0
; NumSGPRsForWavesPerEU: 1
; NumVGPRsForWavesPerEU: 1
; Occupancy: 16
; WaveLimiterHint : 0
; COMPUTE_PGM_RSRC2:SCRATCH_EN: 0
; COMPUTE_PGM_RSRC2:USER_SGPR: 2
; COMPUTE_PGM_RSRC2:TRAP_HANDLER: 0
; COMPUTE_PGM_RSRC2:TGID_X_EN: 1
; COMPUTE_PGM_RSRC2:TGID_Y_EN: 0
; COMPUTE_PGM_RSRC2:TGID_Z_EN: 0
; COMPUTE_PGM_RSRC2:TIDIG_COMP_CNT: 0
	.section	.text._ZN7rocprim17ROCPRIM_400000_NS6detail17trampoline_kernelINS0_14default_configENS1_25partition_config_selectorILNS1_17partition_subalgoE5ExNS0_10empty_typeEbEEZZNS1_14partition_implILS5_5ELb0ES3_mN6thrust23THRUST_200600_302600_NS6detail15normal_iteratorINSA_10device_ptrIxEEEEPS6_NSA_18transform_iteratorINSB_9not_fun_tI7is_trueIxEEENSC_INSD_IbEEEENSA_11use_defaultESO_EENS0_5tupleIJSF_S6_EEENSQ_IJSG_SG_EEES6_PlJS6_EEE10hipError_tPvRmT3_T4_T5_T6_T7_T9_mT8_P12ihipStream_tbDpT10_ENKUlT_T0_E_clISt17integral_constantIbLb1EES1C_IbLb0EEEEDaS18_S19_EUlS18_E_NS1_11comp_targetILNS1_3genE3ELNS1_11target_archE908ELNS1_3gpuE7ELNS1_3repE0EEENS1_30default_config_static_selectorELNS0_4arch9wavefront6targetE0EEEvT1_,"axG",@progbits,_ZN7rocprim17ROCPRIM_400000_NS6detail17trampoline_kernelINS0_14default_configENS1_25partition_config_selectorILNS1_17partition_subalgoE5ExNS0_10empty_typeEbEEZZNS1_14partition_implILS5_5ELb0ES3_mN6thrust23THRUST_200600_302600_NS6detail15normal_iteratorINSA_10device_ptrIxEEEEPS6_NSA_18transform_iteratorINSB_9not_fun_tI7is_trueIxEEENSC_INSD_IbEEEENSA_11use_defaultESO_EENS0_5tupleIJSF_S6_EEENSQ_IJSG_SG_EEES6_PlJS6_EEE10hipError_tPvRmT3_T4_T5_T6_T7_T9_mT8_P12ihipStream_tbDpT10_ENKUlT_T0_E_clISt17integral_constantIbLb1EES1C_IbLb0EEEEDaS18_S19_EUlS18_E_NS1_11comp_targetILNS1_3genE3ELNS1_11target_archE908ELNS1_3gpuE7ELNS1_3repE0EEENS1_30default_config_static_selectorELNS0_4arch9wavefront6targetE0EEEvT1_,comdat
	.protected	_ZN7rocprim17ROCPRIM_400000_NS6detail17trampoline_kernelINS0_14default_configENS1_25partition_config_selectorILNS1_17partition_subalgoE5ExNS0_10empty_typeEbEEZZNS1_14partition_implILS5_5ELb0ES3_mN6thrust23THRUST_200600_302600_NS6detail15normal_iteratorINSA_10device_ptrIxEEEEPS6_NSA_18transform_iteratorINSB_9not_fun_tI7is_trueIxEEENSC_INSD_IbEEEENSA_11use_defaultESO_EENS0_5tupleIJSF_S6_EEENSQ_IJSG_SG_EEES6_PlJS6_EEE10hipError_tPvRmT3_T4_T5_T6_T7_T9_mT8_P12ihipStream_tbDpT10_ENKUlT_T0_E_clISt17integral_constantIbLb1EES1C_IbLb0EEEEDaS18_S19_EUlS18_E_NS1_11comp_targetILNS1_3genE3ELNS1_11target_archE908ELNS1_3gpuE7ELNS1_3repE0EEENS1_30default_config_static_selectorELNS0_4arch9wavefront6targetE0EEEvT1_ ; -- Begin function _ZN7rocprim17ROCPRIM_400000_NS6detail17trampoline_kernelINS0_14default_configENS1_25partition_config_selectorILNS1_17partition_subalgoE5ExNS0_10empty_typeEbEEZZNS1_14partition_implILS5_5ELb0ES3_mN6thrust23THRUST_200600_302600_NS6detail15normal_iteratorINSA_10device_ptrIxEEEEPS6_NSA_18transform_iteratorINSB_9not_fun_tI7is_trueIxEEENSC_INSD_IbEEEENSA_11use_defaultESO_EENS0_5tupleIJSF_S6_EEENSQ_IJSG_SG_EEES6_PlJS6_EEE10hipError_tPvRmT3_T4_T5_T6_T7_T9_mT8_P12ihipStream_tbDpT10_ENKUlT_T0_E_clISt17integral_constantIbLb1EES1C_IbLb0EEEEDaS18_S19_EUlS18_E_NS1_11comp_targetILNS1_3genE3ELNS1_11target_archE908ELNS1_3gpuE7ELNS1_3repE0EEENS1_30default_config_static_selectorELNS0_4arch9wavefront6targetE0EEEvT1_
	.globl	_ZN7rocprim17ROCPRIM_400000_NS6detail17trampoline_kernelINS0_14default_configENS1_25partition_config_selectorILNS1_17partition_subalgoE5ExNS0_10empty_typeEbEEZZNS1_14partition_implILS5_5ELb0ES3_mN6thrust23THRUST_200600_302600_NS6detail15normal_iteratorINSA_10device_ptrIxEEEEPS6_NSA_18transform_iteratorINSB_9not_fun_tI7is_trueIxEEENSC_INSD_IbEEEENSA_11use_defaultESO_EENS0_5tupleIJSF_S6_EEENSQ_IJSG_SG_EEES6_PlJS6_EEE10hipError_tPvRmT3_T4_T5_T6_T7_T9_mT8_P12ihipStream_tbDpT10_ENKUlT_T0_E_clISt17integral_constantIbLb1EES1C_IbLb0EEEEDaS18_S19_EUlS18_E_NS1_11comp_targetILNS1_3genE3ELNS1_11target_archE908ELNS1_3gpuE7ELNS1_3repE0EEENS1_30default_config_static_selectorELNS0_4arch9wavefront6targetE0EEEvT1_
	.p2align	8
	.type	_ZN7rocprim17ROCPRIM_400000_NS6detail17trampoline_kernelINS0_14default_configENS1_25partition_config_selectorILNS1_17partition_subalgoE5ExNS0_10empty_typeEbEEZZNS1_14partition_implILS5_5ELb0ES3_mN6thrust23THRUST_200600_302600_NS6detail15normal_iteratorINSA_10device_ptrIxEEEEPS6_NSA_18transform_iteratorINSB_9not_fun_tI7is_trueIxEEENSC_INSD_IbEEEENSA_11use_defaultESO_EENS0_5tupleIJSF_S6_EEENSQ_IJSG_SG_EEES6_PlJS6_EEE10hipError_tPvRmT3_T4_T5_T6_T7_T9_mT8_P12ihipStream_tbDpT10_ENKUlT_T0_E_clISt17integral_constantIbLb1EES1C_IbLb0EEEEDaS18_S19_EUlS18_E_NS1_11comp_targetILNS1_3genE3ELNS1_11target_archE908ELNS1_3gpuE7ELNS1_3repE0EEENS1_30default_config_static_selectorELNS0_4arch9wavefront6targetE0EEEvT1_,@function
_ZN7rocprim17ROCPRIM_400000_NS6detail17trampoline_kernelINS0_14default_configENS1_25partition_config_selectorILNS1_17partition_subalgoE5ExNS0_10empty_typeEbEEZZNS1_14partition_implILS5_5ELb0ES3_mN6thrust23THRUST_200600_302600_NS6detail15normal_iteratorINSA_10device_ptrIxEEEEPS6_NSA_18transform_iteratorINSB_9not_fun_tI7is_trueIxEEENSC_INSD_IbEEEENSA_11use_defaultESO_EENS0_5tupleIJSF_S6_EEENSQ_IJSG_SG_EEES6_PlJS6_EEE10hipError_tPvRmT3_T4_T5_T6_T7_T9_mT8_P12ihipStream_tbDpT10_ENKUlT_T0_E_clISt17integral_constantIbLb1EES1C_IbLb0EEEEDaS18_S19_EUlS18_E_NS1_11comp_targetILNS1_3genE3ELNS1_11target_archE908ELNS1_3gpuE7ELNS1_3repE0EEENS1_30default_config_static_selectorELNS0_4arch9wavefront6targetE0EEEvT1_: ; @_ZN7rocprim17ROCPRIM_400000_NS6detail17trampoline_kernelINS0_14default_configENS1_25partition_config_selectorILNS1_17partition_subalgoE5ExNS0_10empty_typeEbEEZZNS1_14partition_implILS5_5ELb0ES3_mN6thrust23THRUST_200600_302600_NS6detail15normal_iteratorINSA_10device_ptrIxEEEEPS6_NSA_18transform_iteratorINSB_9not_fun_tI7is_trueIxEEENSC_INSD_IbEEEENSA_11use_defaultESO_EENS0_5tupleIJSF_S6_EEENSQ_IJSG_SG_EEES6_PlJS6_EEE10hipError_tPvRmT3_T4_T5_T6_T7_T9_mT8_P12ihipStream_tbDpT10_ENKUlT_T0_E_clISt17integral_constantIbLb1EES1C_IbLb0EEEEDaS18_S19_EUlS18_E_NS1_11comp_targetILNS1_3genE3ELNS1_11target_archE908ELNS1_3gpuE7ELNS1_3repE0EEENS1_30default_config_static_selectorELNS0_4arch9wavefront6targetE0EEEvT1_
; %bb.0:
	.section	.rodata,"a",@progbits
	.p2align	6, 0x0
	.amdhsa_kernel _ZN7rocprim17ROCPRIM_400000_NS6detail17trampoline_kernelINS0_14default_configENS1_25partition_config_selectorILNS1_17partition_subalgoE5ExNS0_10empty_typeEbEEZZNS1_14partition_implILS5_5ELb0ES3_mN6thrust23THRUST_200600_302600_NS6detail15normal_iteratorINSA_10device_ptrIxEEEEPS6_NSA_18transform_iteratorINSB_9not_fun_tI7is_trueIxEEENSC_INSD_IbEEEENSA_11use_defaultESO_EENS0_5tupleIJSF_S6_EEENSQ_IJSG_SG_EEES6_PlJS6_EEE10hipError_tPvRmT3_T4_T5_T6_T7_T9_mT8_P12ihipStream_tbDpT10_ENKUlT_T0_E_clISt17integral_constantIbLb1EES1C_IbLb0EEEEDaS18_S19_EUlS18_E_NS1_11comp_targetILNS1_3genE3ELNS1_11target_archE908ELNS1_3gpuE7ELNS1_3repE0EEENS1_30default_config_static_selectorELNS0_4arch9wavefront6targetE0EEEvT1_
		.amdhsa_group_segment_fixed_size 0
		.amdhsa_private_segment_fixed_size 0
		.amdhsa_kernarg_size 120
		.amdhsa_user_sgpr_count 2
		.amdhsa_user_sgpr_dispatch_ptr 0
		.amdhsa_user_sgpr_queue_ptr 0
		.amdhsa_user_sgpr_kernarg_segment_ptr 1
		.amdhsa_user_sgpr_dispatch_id 0
		.amdhsa_user_sgpr_private_segment_size 0
		.amdhsa_wavefront_size32 1
		.amdhsa_uses_dynamic_stack 0
		.amdhsa_enable_private_segment 0
		.amdhsa_system_sgpr_workgroup_id_x 1
		.amdhsa_system_sgpr_workgroup_id_y 0
		.amdhsa_system_sgpr_workgroup_id_z 0
		.amdhsa_system_sgpr_workgroup_info 0
		.amdhsa_system_vgpr_workitem_id 0
		.amdhsa_next_free_vgpr 1
		.amdhsa_next_free_sgpr 1
		.amdhsa_reserve_vcc 0
		.amdhsa_float_round_mode_32 0
		.amdhsa_float_round_mode_16_64 0
		.amdhsa_float_denorm_mode_32 3
		.amdhsa_float_denorm_mode_16_64 3
		.amdhsa_fp16_overflow 0
		.amdhsa_workgroup_processor_mode 1
		.amdhsa_memory_ordered 1
		.amdhsa_forward_progress 1
		.amdhsa_inst_pref_size 0
		.amdhsa_round_robin_scheduling 0
		.amdhsa_exception_fp_ieee_invalid_op 0
		.amdhsa_exception_fp_denorm_src 0
		.amdhsa_exception_fp_ieee_div_zero 0
		.amdhsa_exception_fp_ieee_overflow 0
		.amdhsa_exception_fp_ieee_underflow 0
		.amdhsa_exception_fp_ieee_inexact 0
		.amdhsa_exception_int_div_zero 0
	.end_amdhsa_kernel
	.section	.text._ZN7rocprim17ROCPRIM_400000_NS6detail17trampoline_kernelINS0_14default_configENS1_25partition_config_selectorILNS1_17partition_subalgoE5ExNS0_10empty_typeEbEEZZNS1_14partition_implILS5_5ELb0ES3_mN6thrust23THRUST_200600_302600_NS6detail15normal_iteratorINSA_10device_ptrIxEEEEPS6_NSA_18transform_iteratorINSB_9not_fun_tI7is_trueIxEEENSC_INSD_IbEEEENSA_11use_defaultESO_EENS0_5tupleIJSF_S6_EEENSQ_IJSG_SG_EEES6_PlJS6_EEE10hipError_tPvRmT3_T4_T5_T6_T7_T9_mT8_P12ihipStream_tbDpT10_ENKUlT_T0_E_clISt17integral_constantIbLb1EES1C_IbLb0EEEEDaS18_S19_EUlS18_E_NS1_11comp_targetILNS1_3genE3ELNS1_11target_archE908ELNS1_3gpuE7ELNS1_3repE0EEENS1_30default_config_static_selectorELNS0_4arch9wavefront6targetE0EEEvT1_,"axG",@progbits,_ZN7rocprim17ROCPRIM_400000_NS6detail17trampoline_kernelINS0_14default_configENS1_25partition_config_selectorILNS1_17partition_subalgoE5ExNS0_10empty_typeEbEEZZNS1_14partition_implILS5_5ELb0ES3_mN6thrust23THRUST_200600_302600_NS6detail15normal_iteratorINSA_10device_ptrIxEEEEPS6_NSA_18transform_iteratorINSB_9not_fun_tI7is_trueIxEEENSC_INSD_IbEEEENSA_11use_defaultESO_EENS0_5tupleIJSF_S6_EEENSQ_IJSG_SG_EEES6_PlJS6_EEE10hipError_tPvRmT3_T4_T5_T6_T7_T9_mT8_P12ihipStream_tbDpT10_ENKUlT_T0_E_clISt17integral_constantIbLb1EES1C_IbLb0EEEEDaS18_S19_EUlS18_E_NS1_11comp_targetILNS1_3genE3ELNS1_11target_archE908ELNS1_3gpuE7ELNS1_3repE0EEENS1_30default_config_static_selectorELNS0_4arch9wavefront6targetE0EEEvT1_,comdat
.Lfunc_end2512:
	.size	_ZN7rocprim17ROCPRIM_400000_NS6detail17trampoline_kernelINS0_14default_configENS1_25partition_config_selectorILNS1_17partition_subalgoE5ExNS0_10empty_typeEbEEZZNS1_14partition_implILS5_5ELb0ES3_mN6thrust23THRUST_200600_302600_NS6detail15normal_iteratorINSA_10device_ptrIxEEEEPS6_NSA_18transform_iteratorINSB_9not_fun_tI7is_trueIxEEENSC_INSD_IbEEEENSA_11use_defaultESO_EENS0_5tupleIJSF_S6_EEENSQ_IJSG_SG_EEES6_PlJS6_EEE10hipError_tPvRmT3_T4_T5_T6_T7_T9_mT8_P12ihipStream_tbDpT10_ENKUlT_T0_E_clISt17integral_constantIbLb1EES1C_IbLb0EEEEDaS18_S19_EUlS18_E_NS1_11comp_targetILNS1_3genE3ELNS1_11target_archE908ELNS1_3gpuE7ELNS1_3repE0EEENS1_30default_config_static_selectorELNS0_4arch9wavefront6targetE0EEEvT1_, .Lfunc_end2512-_ZN7rocprim17ROCPRIM_400000_NS6detail17trampoline_kernelINS0_14default_configENS1_25partition_config_selectorILNS1_17partition_subalgoE5ExNS0_10empty_typeEbEEZZNS1_14partition_implILS5_5ELb0ES3_mN6thrust23THRUST_200600_302600_NS6detail15normal_iteratorINSA_10device_ptrIxEEEEPS6_NSA_18transform_iteratorINSB_9not_fun_tI7is_trueIxEEENSC_INSD_IbEEEENSA_11use_defaultESO_EENS0_5tupleIJSF_S6_EEENSQ_IJSG_SG_EEES6_PlJS6_EEE10hipError_tPvRmT3_T4_T5_T6_T7_T9_mT8_P12ihipStream_tbDpT10_ENKUlT_T0_E_clISt17integral_constantIbLb1EES1C_IbLb0EEEEDaS18_S19_EUlS18_E_NS1_11comp_targetILNS1_3genE3ELNS1_11target_archE908ELNS1_3gpuE7ELNS1_3repE0EEENS1_30default_config_static_selectorELNS0_4arch9wavefront6targetE0EEEvT1_
                                        ; -- End function
	.set _ZN7rocprim17ROCPRIM_400000_NS6detail17trampoline_kernelINS0_14default_configENS1_25partition_config_selectorILNS1_17partition_subalgoE5ExNS0_10empty_typeEbEEZZNS1_14partition_implILS5_5ELb0ES3_mN6thrust23THRUST_200600_302600_NS6detail15normal_iteratorINSA_10device_ptrIxEEEEPS6_NSA_18transform_iteratorINSB_9not_fun_tI7is_trueIxEEENSC_INSD_IbEEEENSA_11use_defaultESO_EENS0_5tupleIJSF_S6_EEENSQ_IJSG_SG_EEES6_PlJS6_EEE10hipError_tPvRmT3_T4_T5_T6_T7_T9_mT8_P12ihipStream_tbDpT10_ENKUlT_T0_E_clISt17integral_constantIbLb1EES1C_IbLb0EEEEDaS18_S19_EUlS18_E_NS1_11comp_targetILNS1_3genE3ELNS1_11target_archE908ELNS1_3gpuE7ELNS1_3repE0EEENS1_30default_config_static_selectorELNS0_4arch9wavefront6targetE0EEEvT1_.num_vgpr, 0
	.set _ZN7rocprim17ROCPRIM_400000_NS6detail17trampoline_kernelINS0_14default_configENS1_25partition_config_selectorILNS1_17partition_subalgoE5ExNS0_10empty_typeEbEEZZNS1_14partition_implILS5_5ELb0ES3_mN6thrust23THRUST_200600_302600_NS6detail15normal_iteratorINSA_10device_ptrIxEEEEPS6_NSA_18transform_iteratorINSB_9not_fun_tI7is_trueIxEEENSC_INSD_IbEEEENSA_11use_defaultESO_EENS0_5tupleIJSF_S6_EEENSQ_IJSG_SG_EEES6_PlJS6_EEE10hipError_tPvRmT3_T4_T5_T6_T7_T9_mT8_P12ihipStream_tbDpT10_ENKUlT_T0_E_clISt17integral_constantIbLb1EES1C_IbLb0EEEEDaS18_S19_EUlS18_E_NS1_11comp_targetILNS1_3genE3ELNS1_11target_archE908ELNS1_3gpuE7ELNS1_3repE0EEENS1_30default_config_static_selectorELNS0_4arch9wavefront6targetE0EEEvT1_.num_agpr, 0
	.set _ZN7rocprim17ROCPRIM_400000_NS6detail17trampoline_kernelINS0_14default_configENS1_25partition_config_selectorILNS1_17partition_subalgoE5ExNS0_10empty_typeEbEEZZNS1_14partition_implILS5_5ELb0ES3_mN6thrust23THRUST_200600_302600_NS6detail15normal_iteratorINSA_10device_ptrIxEEEEPS6_NSA_18transform_iteratorINSB_9not_fun_tI7is_trueIxEEENSC_INSD_IbEEEENSA_11use_defaultESO_EENS0_5tupleIJSF_S6_EEENSQ_IJSG_SG_EEES6_PlJS6_EEE10hipError_tPvRmT3_T4_T5_T6_T7_T9_mT8_P12ihipStream_tbDpT10_ENKUlT_T0_E_clISt17integral_constantIbLb1EES1C_IbLb0EEEEDaS18_S19_EUlS18_E_NS1_11comp_targetILNS1_3genE3ELNS1_11target_archE908ELNS1_3gpuE7ELNS1_3repE0EEENS1_30default_config_static_selectorELNS0_4arch9wavefront6targetE0EEEvT1_.numbered_sgpr, 0
	.set _ZN7rocprim17ROCPRIM_400000_NS6detail17trampoline_kernelINS0_14default_configENS1_25partition_config_selectorILNS1_17partition_subalgoE5ExNS0_10empty_typeEbEEZZNS1_14partition_implILS5_5ELb0ES3_mN6thrust23THRUST_200600_302600_NS6detail15normal_iteratorINSA_10device_ptrIxEEEEPS6_NSA_18transform_iteratorINSB_9not_fun_tI7is_trueIxEEENSC_INSD_IbEEEENSA_11use_defaultESO_EENS0_5tupleIJSF_S6_EEENSQ_IJSG_SG_EEES6_PlJS6_EEE10hipError_tPvRmT3_T4_T5_T6_T7_T9_mT8_P12ihipStream_tbDpT10_ENKUlT_T0_E_clISt17integral_constantIbLb1EES1C_IbLb0EEEEDaS18_S19_EUlS18_E_NS1_11comp_targetILNS1_3genE3ELNS1_11target_archE908ELNS1_3gpuE7ELNS1_3repE0EEENS1_30default_config_static_selectorELNS0_4arch9wavefront6targetE0EEEvT1_.num_named_barrier, 0
	.set _ZN7rocprim17ROCPRIM_400000_NS6detail17trampoline_kernelINS0_14default_configENS1_25partition_config_selectorILNS1_17partition_subalgoE5ExNS0_10empty_typeEbEEZZNS1_14partition_implILS5_5ELb0ES3_mN6thrust23THRUST_200600_302600_NS6detail15normal_iteratorINSA_10device_ptrIxEEEEPS6_NSA_18transform_iteratorINSB_9not_fun_tI7is_trueIxEEENSC_INSD_IbEEEENSA_11use_defaultESO_EENS0_5tupleIJSF_S6_EEENSQ_IJSG_SG_EEES6_PlJS6_EEE10hipError_tPvRmT3_T4_T5_T6_T7_T9_mT8_P12ihipStream_tbDpT10_ENKUlT_T0_E_clISt17integral_constantIbLb1EES1C_IbLb0EEEEDaS18_S19_EUlS18_E_NS1_11comp_targetILNS1_3genE3ELNS1_11target_archE908ELNS1_3gpuE7ELNS1_3repE0EEENS1_30default_config_static_selectorELNS0_4arch9wavefront6targetE0EEEvT1_.private_seg_size, 0
	.set _ZN7rocprim17ROCPRIM_400000_NS6detail17trampoline_kernelINS0_14default_configENS1_25partition_config_selectorILNS1_17partition_subalgoE5ExNS0_10empty_typeEbEEZZNS1_14partition_implILS5_5ELb0ES3_mN6thrust23THRUST_200600_302600_NS6detail15normal_iteratorINSA_10device_ptrIxEEEEPS6_NSA_18transform_iteratorINSB_9not_fun_tI7is_trueIxEEENSC_INSD_IbEEEENSA_11use_defaultESO_EENS0_5tupleIJSF_S6_EEENSQ_IJSG_SG_EEES6_PlJS6_EEE10hipError_tPvRmT3_T4_T5_T6_T7_T9_mT8_P12ihipStream_tbDpT10_ENKUlT_T0_E_clISt17integral_constantIbLb1EES1C_IbLb0EEEEDaS18_S19_EUlS18_E_NS1_11comp_targetILNS1_3genE3ELNS1_11target_archE908ELNS1_3gpuE7ELNS1_3repE0EEENS1_30default_config_static_selectorELNS0_4arch9wavefront6targetE0EEEvT1_.uses_vcc, 0
	.set _ZN7rocprim17ROCPRIM_400000_NS6detail17trampoline_kernelINS0_14default_configENS1_25partition_config_selectorILNS1_17partition_subalgoE5ExNS0_10empty_typeEbEEZZNS1_14partition_implILS5_5ELb0ES3_mN6thrust23THRUST_200600_302600_NS6detail15normal_iteratorINSA_10device_ptrIxEEEEPS6_NSA_18transform_iteratorINSB_9not_fun_tI7is_trueIxEEENSC_INSD_IbEEEENSA_11use_defaultESO_EENS0_5tupleIJSF_S6_EEENSQ_IJSG_SG_EEES6_PlJS6_EEE10hipError_tPvRmT3_T4_T5_T6_T7_T9_mT8_P12ihipStream_tbDpT10_ENKUlT_T0_E_clISt17integral_constantIbLb1EES1C_IbLb0EEEEDaS18_S19_EUlS18_E_NS1_11comp_targetILNS1_3genE3ELNS1_11target_archE908ELNS1_3gpuE7ELNS1_3repE0EEENS1_30default_config_static_selectorELNS0_4arch9wavefront6targetE0EEEvT1_.uses_flat_scratch, 0
	.set _ZN7rocprim17ROCPRIM_400000_NS6detail17trampoline_kernelINS0_14default_configENS1_25partition_config_selectorILNS1_17partition_subalgoE5ExNS0_10empty_typeEbEEZZNS1_14partition_implILS5_5ELb0ES3_mN6thrust23THRUST_200600_302600_NS6detail15normal_iteratorINSA_10device_ptrIxEEEEPS6_NSA_18transform_iteratorINSB_9not_fun_tI7is_trueIxEEENSC_INSD_IbEEEENSA_11use_defaultESO_EENS0_5tupleIJSF_S6_EEENSQ_IJSG_SG_EEES6_PlJS6_EEE10hipError_tPvRmT3_T4_T5_T6_T7_T9_mT8_P12ihipStream_tbDpT10_ENKUlT_T0_E_clISt17integral_constantIbLb1EES1C_IbLb0EEEEDaS18_S19_EUlS18_E_NS1_11comp_targetILNS1_3genE3ELNS1_11target_archE908ELNS1_3gpuE7ELNS1_3repE0EEENS1_30default_config_static_selectorELNS0_4arch9wavefront6targetE0EEEvT1_.has_dyn_sized_stack, 0
	.set _ZN7rocprim17ROCPRIM_400000_NS6detail17trampoline_kernelINS0_14default_configENS1_25partition_config_selectorILNS1_17partition_subalgoE5ExNS0_10empty_typeEbEEZZNS1_14partition_implILS5_5ELb0ES3_mN6thrust23THRUST_200600_302600_NS6detail15normal_iteratorINSA_10device_ptrIxEEEEPS6_NSA_18transform_iteratorINSB_9not_fun_tI7is_trueIxEEENSC_INSD_IbEEEENSA_11use_defaultESO_EENS0_5tupleIJSF_S6_EEENSQ_IJSG_SG_EEES6_PlJS6_EEE10hipError_tPvRmT3_T4_T5_T6_T7_T9_mT8_P12ihipStream_tbDpT10_ENKUlT_T0_E_clISt17integral_constantIbLb1EES1C_IbLb0EEEEDaS18_S19_EUlS18_E_NS1_11comp_targetILNS1_3genE3ELNS1_11target_archE908ELNS1_3gpuE7ELNS1_3repE0EEENS1_30default_config_static_selectorELNS0_4arch9wavefront6targetE0EEEvT1_.has_recursion, 0
	.set _ZN7rocprim17ROCPRIM_400000_NS6detail17trampoline_kernelINS0_14default_configENS1_25partition_config_selectorILNS1_17partition_subalgoE5ExNS0_10empty_typeEbEEZZNS1_14partition_implILS5_5ELb0ES3_mN6thrust23THRUST_200600_302600_NS6detail15normal_iteratorINSA_10device_ptrIxEEEEPS6_NSA_18transform_iteratorINSB_9not_fun_tI7is_trueIxEEENSC_INSD_IbEEEENSA_11use_defaultESO_EENS0_5tupleIJSF_S6_EEENSQ_IJSG_SG_EEES6_PlJS6_EEE10hipError_tPvRmT3_T4_T5_T6_T7_T9_mT8_P12ihipStream_tbDpT10_ENKUlT_T0_E_clISt17integral_constantIbLb1EES1C_IbLb0EEEEDaS18_S19_EUlS18_E_NS1_11comp_targetILNS1_3genE3ELNS1_11target_archE908ELNS1_3gpuE7ELNS1_3repE0EEENS1_30default_config_static_selectorELNS0_4arch9wavefront6targetE0EEEvT1_.has_indirect_call, 0
	.section	.AMDGPU.csdata,"",@progbits
; Kernel info:
; codeLenInByte = 0
; TotalNumSgprs: 0
; NumVgprs: 0
; ScratchSize: 0
; MemoryBound: 0
; FloatMode: 240
; IeeeMode: 1
; LDSByteSize: 0 bytes/workgroup (compile time only)
; SGPRBlocks: 0
; VGPRBlocks: 0
; NumSGPRsForWavesPerEU: 1
; NumVGPRsForWavesPerEU: 1
; Occupancy: 16
; WaveLimiterHint : 0
; COMPUTE_PGM_RSRC2:SCRATCH_EN: 0
; COMPUTE_PGM_RSRC2:USER_SGPR: 2
; COMPUTE_PGM_RSRC2:TRAP_HANDLER: 0
; COMPUTE_PGM_RSRC2:TGID_X_EN: 1
; COMPUTE_PGM_RSRC2:TGID_Y_EN: 0
; COMPUTE_PGM_RSRC2:TGID_Z_EN: 0
; COMPUTE_PGM_RSRC2:TIDIG_COMP_CNT: 0
	.section	.text._ZN7rocprim17ROCPRIM_400000_NS6detail17trampoline_kernelINS0_14default_configENS1_25partition_config_selectorILNS1_17partition_subalgoE5ExNS0_10empty_typeEbEEZZNS1_14partition_implILS5_5ELb0ES3_mN6thrust23THRUST_200600_302600_NS6detail15normal_iteratorINSA_10device_ptrIxEEEEPS6_NSA_18transform_iteratorINSB_9not_fun_tI7is_trueIxEEENSC_INSD_IbEEEENSA_11use_defaultESO_EENS0_5tupleIJSF_S6_EEENSQ_IJSG_SG_EEES6_PlJS6_EEE10hipError_tPvRmT3_T4_T5_T6_T7_T9_mT8_P12ihipStream_tbDpT10_ENKUlT_T0_E_clISt17integral_constantIbLb1EES1C_IbLb0EEEEDaS18_S19_EUlS18_E_NS1_11comp_targetILNS1_3genE2ELNS1_11target_archE906ELNS1_3gpuE6ELNS1_3repE0EEENS1_30default_config_static_selectorELNS0_4arch9wavefront6targetE0EEEvT1_,"axG",@progbits,_ZN7rocprim17ROCPRIM_400000_NS6detail17trampoline_kernelINS0_14default_configENS1_25partition_config_selectorILNS1_17partition_subalgoE5ExNS0_10empty_typeEbEEZZNS1_14partition_implILS5_5ELb0ES3_mN6thrust23THRUST_200600_302600_NS6detail15normal_iteratorINSA_10device_ptrIxEEEEPS6_NSA_18transform_iteratorINSB_9not_fun_tI7is_trueIxEEENSC_INSD_IbEEEENSA_11use_defaultESO_EENS0_5tupleIJSF_S6_EEENSQ_IJSG_SG_EEES6_PlJS6_EEE10hipError_tPvRmT3_T4_T5_T6_T7_T9_mT8_P12ihipStream_tbDpT10_ENKUlT_T0_E_clISt17integral_constantIbLb1EES1C_IbLb0EEEEDaS18_S19_EUlS18_E_NS1_11comp_targetILNS1_3genE2ELNS1_11target_archE906ELNS1_3gpuE6ELNS1_3repE0EEENS1_30default_config_static_selectorELNS0_4arch9wavefront6targetE0EEEvT1_,comdat
	.protected	_ZN7rocprim17ROCPRIM_400000_NS6detail17trampoline_kernelINS0_14default_configENS1_25partition_config_selectorILNS1_17partition_subalgoE5ExNS0_10empty_typeEbEEZZNS1_14partition_implILS5_5ELb0ES3_mN6thrust23THRUST_200600_302600_NS6detail15normal_iteratorINSA_10device_ptrIxEEEEPS6_NSA_18transform_iteratorINSB_9not_fun_tI7is_trueIxEEENSC_INSD_IbEEEENSA_11use_defaultESO_EENS0_5tupleIJSF_S6_EEENSQ_IJSG_SG_EEES6_PlJS6_EEE10hipError_tPvRmT3_T4_T5_T6_T7_T9_mT8_P12ihipStream_tbDpT10_ENKUlT_T0_E_clISt17integral_constantIbLb1EES1C_IbLb0EEEEDaS18_S19_EUlS18_E_NS1_11comp_targetILNS1_3genE2ELNS1_11target_archE906ELNS1_3gpuE6ELNS1_3repE0EEENS1_30default_config_static_selectorELNS0_4arch9wavefront6targetE0EEEvT1_ ; -- Begin function _ZN7rocprim17ROCPRIM_400000_NS6detail17trampoline_kernelINS0_14default_configENS1_25partition_config_selectorILNS1_17partition_subalgoE5ExNS0_10empty_typeEbEEZZNS1_14partition_implILS5_5ELb0ES3_mN6thrust23THRUST_200600_302600_NS6detail15normal_iteratorINSA_10device_ptrIxEEEEPS6_NSA_18transform_iteratorINSB_9not_fun_tI7is_trueIxEEENSC_INSD_IbEEEENSA_11use_defaultESO_EENS0_5tupleIJSF_S6_EEENSQ_IJSG_SG_EEES6_PlJS6_EEE10hipError_tPvRmT3_T4_T5_T6_T7_T9_mT8_P12ihipStream_tbDpT10_ENKUlT_T0_E_clISt17integral_constantIbLb1EES1C_IbLb0EEEEDaS18_S19_EUlS18_E_NS1_11comp_targetILNS1_3genE2ELNS1_11target_archE906ELNS1_3gpuE6ELNS1_3repE0EEENS1_30default_config_static_selectorELNS0_4arch9wavefront6targetE0EEEvT1_
	.globl	_ZN7rocprim17ROCPRIM_400000_NS6detail17trampoline_kernelINS0_14default_configENS1_25partition_config_selectorILNS1_17partition_subalgoE5ExNS0_10empty_typeEbEEZZNS1_14partition_implILS5_5ELb0ES3_mN6thrust23THRUST_200600_302600_NS6detail15normal_iteratorINSA_10device_ptrIxEEEEPS6_NSA_18transform_iteratorINSB_9not_fun_tI7is_trueIxEEENSC_INSD_IbEEEENSA_11use_defaultESO_EENS0_5tupleIJSF_S6_EEENSQ_IJSG_SG_EEES6_PlJS6_EEE10hipError_tPvRmT3_T4_T5_T6_T7_T9_mT8_P12ihipStream_tbDpT10_ENKUlT_T0_E_clISt17integral_constantIbLb1EES1C_IbLb0EEEEDaS18_S19_EUlS18_E_NS1_11comp_targetILNS1_3genE2ELNS1_11target_archE906ELNS1_3gpuE6ELNS1_3repE0EEENS1_30default_config_static_selectorELNS0_4arch9wavefront6targetE0EEEvT1_
	.p2align	8
	.type	_ZN7rocprim17ROCPRIM_400000_NS6detail17trampoline_kernelINS0_14default_configENS1_25partition_config_selectorILNS1_17partition_subalgoE5ExNS0_10empty_typeEbEEZZNS1_14partition_implILS5_5ELb0ES3_mN6thrust23THRUST_200600_302600_NS6detail15normal_iteratorINSA_10device_ptrIxEEEEPS6_NSA_18transform_iteratorINSB_9not_fun_tI7is_trueIxEEENSC_INSD_IbEEEENSA_11use_defaultESO_EENS0_5tupleIJSF_S6_EEENSQ_IJSG_SG_EEES6_PlJS6_EEE10hipError_tPvRmT3_T4_T5_T6_T7_T9_mT8_P12ihipStream_tbDpT10_ENKUlT_T0_E_clISt17integral_constantIbLb1EES1C_IbLb0EEEEDaS18_S19_EUlS18_E_NS1_11comp_targetILNS1_3genE2ELNS1_11target_archE906ELNS1_3gpuE6ELNS1_3repE0EEENS1_30default_config_static_selectorELNS0_4arch9wavefront6targetE0EEEvT1_,@function
_ZN7rocprim17ROCPRIM_400000_NS6detail17trampoline_kernelINS0_14default_configENS1_25partition_config_selectorILNS1_17partition_subalgoE5ExNS0_10empty_typeEbEEZZNS1_14partition_implILS5_5ELb0ES3_mN6thrust23THRUST_200600_302600_NS6detail15normal_iteratorINSA_10device_ptrIxEEEEPS6_NSA_18transform_iteratorINSB_9not_fun_tI7is_trueIxEEENSC_INSD_IbEEEENSA_11use_defaultESO_EENS0_5tupleIJSF_S6_EEENSQ_IJSG_SG_EEES6_PlJS6_EEE10hipError_tPvRmT3_T4_T5_T6_T7_T9_mT8_P12ihipStream_tbDpT10_ENKUlT_T0_E_clISt17integral_constantIbLb1EES1C_IbLb0EEEEDaS18_S19_EUlS18_E_NS1_11comp_targetILNS1_3genE2ELNS1_11target_archE906ELNS1_3gpuE6ELNS1_3repE0EEENS1_30default_config_static_selectorELNS0_4arch9wavefront6targetE0EEEvT1_: ; @_ZN7rocprim17ROCPRIM_400000_NS6detail17trampoline_kernelINS0_14default_configENS1_25partition_config_selectorILNS1_17partition_subalgoE5ExNS0_10empty_typeEbEEZZNS1_14partition_implILS5_5ELb0ES3_mN6thrust23THRUST_200600_302600_NS6detail15normal_iteratorINSA_10device_ptrIxEEEEPS6_NSA_18transform_iteratorINSB_9not_fun_tI7is_trueIxEEENSC_INSD_IbEEEENSA_11use_defaultESO_EENS0_5tupleIJSF_S6_EEENSQ_IJSG_SG_EEES6_PlJS6_EEE10hipError_tPvRmT3_T4_T5_T6_T7_T9_mT8_P12ihipStream_tbDpT10_ENKUlT_T0_E_clISt17integral_constantIbLb1EES1C_IbLb0EEEEDaS18_S19_EUlS18_E_NS1_11comp_targetILNS1_3genE2ELNS1_11target_archE906ELNS1_3gpuE6ELNS1_3repE0EEENS1_30default_config_static_selectorELNS0_4arch9wavefront6targetE0EEEvT1_
; %bb.0:
	.section	.rodata,"a",@progbits
	.p2align	6, 0x0
	.amdhsa_kernel _ZN7rocprim17ROCPRIM_400000_NS6detail17trampoline_kernelINS0_14default_configENS1_25partition_config_selectorILNS1_17partition_subalgoE5ExNS0_10empty_typeEbEEZZNS1_14partition_implILS5_5ELb0ES3_mN6thrust23THRUST_200600_302600_NS6detail15normal_iteratorINSA_10device_ptrIxEEEEPS6_NSA_18transform_iteratorINSB_9not_fun_tI7is_trueIxEEENSC_INSD_IbEEEENSA_11use_defaultESO_EENS0_5tupleIJSF_S6_EEENSQ_IJSG_SG_EEES6_PlJS6_EEE10hipError_tPvRmT3_T4_T5_T6_T7_T9_mT8_P12ihipStream_tbDpT10_ENKUlT_T0_E_clISt17integral_constantIbLb1EES1C_IbLb0EEEEDaS18_S19_EUlS18_E_NS1_11comp_targetILNS1_3genE2ELNS1_11target_archE906ELNS1_3gpuE6ELNS1_3repE0EEENS1_30default_config_static_selectorELNS0_4arch9wavefront6targetE0EEEvT1_
		.amdhsa_group_segment_fixed_size 0
		.amdhsa_private_segment_fixed_size 0
		.amdhsa_kernarg_size 120
		.amdhsa_user_sgpr_count 2
		.amdhsa_user_sgpr_dispatch_ptr 0
		.amdhsa_user_sgpr_queue_ptr 0
		.amdhsa_user_sgpr_kernarg_segment_ptr 1
		.amdhsa_user_sgpr_dispatch_id 0
		.amdhsa_user_sgpr_private_segment_size 0
		.amdhsa_wavefront_size32 1
		.amdhsa_uses_dynamic_stack 0
		.amdhsa_enable_private_segment 0
		.amdhsa_system_sgpr_workgroup_id_x 1
		.amdhsa_system_sgpr_workgroup_id_y 0
		.amdhsa_system_sgpr_workgroup_id_z 0
		.amdhsa_system_sgpr_workgroup_info 0
		.amdhsa_system_vgpr_workitem_id 0
		.amdhsa_next_free_vgpr 1
		.amdhsa_next_free_sgpr 1
		.amdhsa_reserve_vcc 0
		.amdhsa_float_round_mode_32 0
		.amdhsa_float_round_mode_16_64 0
		.amdhsa_float_denorm_mode_32 3
		.amdhsa_float_denorm_mode_16_64 3
		.amdhsa_fp16_overflow 0
		.amdhsa_workgroup_processor_mode 1
		.amdhsa_memory_ordered 1
		.amdhsa_forward_progress 1
		.amdhsa_inst_pref_size 0
		.amdhsa_round_robin_scheduling 0
		.amdhsa_exception_fp_ieee_invalid_op 0
		.amdhsa_exception_fp_denorm_src 0
		.amdhsa_exception_fp_ieee_div_zero 0
		.amdhsa_exception_fp_ieee_overflow 0
		.amdhsa_exception_fp_ieee_underflow 0
		.amdhsa_exception_fp_ieee_inexact 0
		.amdhsa_exception_int_div_zero 0
	.end_amdhsa_kernel
	.section	.text._ZN7rocprim17ROCPRIM_400000_NS6detail17trampoline_kernelINS0_14default_configENS1_25partition_config_selectorILNS1_17partition_subalgoE5ExNS0_10empty_typeEbEEZZNS1_14partition_implILS5_5ELb0ES3_mN6thrust23THRUST_200600_302600_NS6detail15normal_iteratorINSA_10device_ptrIxEEEEPS6_NSA_18transform_iteratorINSB_9not_fun_tI7is_trueIxEEENSC_INSD_IbEEEENSA_11use_defaultESO_EENS0_5tupleIJSF_S6_EEENSQ_IJSG_SG_EEES6_PlJS6_EEE10hipError_tPvRmT3_T4_T5_T6_T7_T9_mT8_P12ihipStream_tbDpT10_ENKUlT_T0_E_clISt17integral_constantIbLb1EES1C_IbLb0EEEEDaS18_S19_EUlS18_E_NS1_11comp_targetILNS1_3genE2ELNS1_11target_archE906ELNS1_3gpuE6ELNS1_3repE0EEENS1_30default_config_static_selectorELNS0_4arch9wavefront6targetE0EEEvT1_,"axG",@progbits,_ZN7rocprim17ROCPRIM_400000_NS6detail17trampoline_kernelINS0_14default_configENS1_25partition_config_selectorILNS1_17partition_subalgoE5ExNS0_10empty_typeEbEEZZNS1_14partition_implILS5_5ELb0ES3_mN6thrust23THRUST_200600_302600_NS6detail15normal_iteratorINSA_10device_ptrIxEEEEPS6_NSA_18transform_iteratorINSB_9not_fun_tI7is_trueIxEEENSC_INSD_IbEEEENSA_11use_defaultESO_EENS0_5tupleIJSF_S6_EEENSQ_IJSG_SG_EEES6_PlJS6_EEE10hipError_tPvRmT3_T4_T5_T6_T7_T9_mT8_P12ihipStream_tbDpT10_ENKUlT_T0_E_clISt17integral_constantIbLb1EES1C_IbLb0EEEEDaS18_S19_EUlS18_E_NS1_11comp_targetILNS1_3genE2ELNS1_11target_archE906ELNS1_3gpuE6ELNS1_3repE0EEENS1_30default_config_static_selectorELNS0_4arch9wavefront6targetE0EEEvT1_,comdat
.Lfunc_end2513:
	.size	_ZN7rocprim17ROCPRIM_400000_NS6detail17trampoline_kernelINS0_14default_configENS1_25partition_config_selectorILNS1_17partition_subalgoE5ExNS0_10empty_typeEbEEZZNS1_14partition_implILS5_5ELb0ES3_mN6thrust23THRUST_200600_302600_NS6detail15normal_iteratorINSA_10device_ptrIxEEEEPS6_NSA_18transform_iteratorINSB_9not_fun_tI7is_trueIxEEENSC_INSD_IbEEEENSA_11use_defaultESO_EENS0_5tupleIJSF_S6_EEENSQ_IJSG_SG_EEES6_PlJS6_EEE10hipError_tPvRmT3_T4_T5_T6_T7_T9_mT8_P12ihipStream_tbDpT10_ENKUlT_T0_E_clISt17integral_constantIbLb1EES1C_IbLb0EEEEDaS18_S19_EUlS18_E_NS1_11comp_targetILNS1_3genE2ELNS1_11target_archE906ELNS1_3gpuE6ELNS1_3repE0EEENS1_30default_config_static_selectorELNS0_4arch9wavefront6targetE0EEEvT1_, .Lfunc_end2513-_ZN7rocprim17ROCPRIM_400000_NS6detail17trampoline_kernelINS0_14default_configENS1_25partition_config_selectorILNS1_17partition_subalgoE5ExNS0_10empty_typeEbEEZZNS1_14partition_implILS5_5ELb0ES3_mN6thrust23THRUST_200600_302600_NS6detail15normal_iteratorINSA_10device_ptrIxEEEEPS6_NSA_18transform_iteratorINSB_9not_fun_tI7is_trueIxEEENSC_INSD_IbEEEENSA_11use_defaultESO_EENS0_5tupleIJSF_S6_EEENSQ_IJSG_SG_EEES6_PlJS6_EEE10hipError_tPvRmT3_T4_T5_T6_T7_T9_mT8_P12ihipStream_tbDpT10_ENKUlT_T0_E_clISt17integral_constantIbLb1EES1C_IbLb0EEEEDaS18_S19_EUlS18_E_NS1_11comp_targetILNS1_3genE2ELNS1_11target_archE906ELNS1_3gpuE6ELNS1_3repE0EEENS1_30default_config_static_selectorELNS0_4arch9wavefront6targetE0EEEvT1_
                                        ; -- End function
	.set _ZN7rocprim17ROCPRIM_400000_NS6detail17trampoline_kernelINS0_14default_configENS1_25partition_config_selectorILNS1_17partition_subalgoE5ExNS0_10empty_typeEbEEZZNS1_14partition_implILS5_5ELb0ES3_mN6thrust23THRUST_200600_302600_NS6detail15normal_iteratorINSA_10device_ptrIxEEEEPS6_NSA_18transform_iteratorINSB_9not_fun_tI7is_trueIxEEENSC_INSD_IbEEEENSA_11use_defaultESO_EENS0_5tupleIJSF_S6_EEENSQ_IJSG_SG_EEES6_PlJS6_EEE10hipError_tPvRmT3_T4_T5_T6_T7_T9_mT8_P12ihipStream_tbDpT10_ENKUlT_T0_E_clISt17integral_constantIbLb1EES1C_IbLb0EEEEDaS18_S19_EUlS18_E_NS1_11comp_targetILNS1_3genE2ELNS1_11target_archE906ELNS1_3gpuE6ELNS1_3repE0EEENS1_30default_config_static_selectorELNS0_4arch9wavefront6targetE0EEEvT1_.num_vgpr, 0
	.set _ZN7rocprim17ROCPRIM_400000_NS6detail17trampoline_kernelINS0_14default_configENS1_25partition_config_selectorILNS1_17partition_subalgoE5ExNS0_10empty_typeEbEEZZNS1_14partition_implILS5_5ELb0ES3_mN6thrust23THRUST_200600_302600_NS6detail15normal_iteratorINSA_10device_ptrIxEEEEPS6_NSA_18transform_iteratorINSB_9not_fun_tI7is_trueIxEEENSC_INSD_IbEEEENSA_11use_defaultESO_EENS0_5tupleIJSF_S6_EEENSQ_IJSG_SG_EEES6_PlJS6_EEE10hipError_tPvRmT3_T4_T5_T6_T7_T9_mT8_P12ihipStream_tbDpT10_ENKUlT_T0_E_clISt17integral_constantIbLb1EES1C_IbLb0EEEEDaS18_S19_EUlS18_E_NS1_11comp_targetILNS1_3genE2ELNS1_11target_archE906ELNS1_3gpuE6ELNS1_3repE0EEENS1_30default_config_static_selectorELNS0_4arch9wavefront6targetE0EEEvT1_.num_agpr, 0
	.set _ZN7rocprim17ROCPRIM_400000_NS6detail17trampoline_kernelINS0_14default_configENS1_25partition_config_selectorILNS1_17partition_subalgoE5ExNS0_10empty_typeEbEEZZNS1_14partition_implILS5_5ELb0ES3_mN6thrust23THRUST_200600_302600_NS6detail15normal_iteratorINSA_10device_ptrIxEEEEPS6_NSA_18transform_iteratorINSB_9not_fun_tI7is_trueIxEEENSC_INSD_IbEEEENSA_11use_defaultESO_EENS0_5tupleIJSF_S6_EEENSQ_IJSG_SG_EEES6_PlJS6_EEE10hipError_tPvRmT3_T4_T5_T6_T7_T9_mT8_P12ihipStream_tbDpT10_ENKUlT_T0_E_clISt17integral_constantIbLb1EES1C_IbLb0EEEEDaS18_S19_EUlS18_E_NS1_11comp_targetILNS1_3genE2ELNS1_11target_archE906ELNS1_3gpuE6ELNS1_3repE0EEENS1_30default_config_static_selectorELNS0_4arch9wavefront6targetE0EEEvT1_.numbered_sgpr, 0
	.set _ZN7rocprim17ROCPRIM_400000_NS6detail17trampoline_kernelINS0_14default_configENS1_25partition_config_selectorILNS1_17partition_subalgoE5ExNS0_10empty_typeEbEEZZNS1_14partition_implILS5_5ELb0ES3_mN6thrust23THRUST_200600_302600_NS6detail15normal_iteratorINSA_10device_ptrIxEEEEPS6_NSA_18transform_iteratorINSB_9not_fun_tI7is_trueIxEEENSC_INSD_IbEEEENSA_11use_defaultESO_EENS0_5tupleIJSF_S6_EEENSQ_IJSG_SG_EEES6_PlJS6_EEE10hipError_tPvRmT3_T4_T5_T6_T7_T9_mT8_P12ihipStream_tbDpT10_ENKUlT_T0_E_clISt17integral_constantIbLb1EES1C_IbLb0EEEEDaS18_S19_EUlS18_E_NS1_11comp_targetILNS1_3genE2ELNS1_11target_archE906ELNS1_3gpuE6ELNS1_3repE0EEENS1_30default_config_static_selectorELNS0_4arch9wavefront6targetE0EEEvT1_.num_named_barrier, 0
	.set _ZN7rocprim17ROCPRIM_400000_NS6detail17trampoline_kernelINS0_14default_configENS1_25partition_config_selectorILNS1_17partition_subalgoE5ExNS0_10empty_typeEbEEZZNS1_14partition_implILS5_5ELb0ES3_mN6thrust23THRUST_200600_302600_NS6detail15normal_iteratorINSA_10device_ptrIxEEEEPS6_NSA_18transform_iteratorINSB_9not_fun_tI7is_trueIxEEENSC_INSD_IbEEEENSA_11use_defaultESO_EENS0_5tupleIJSF_S6_EEENSQ_IJSG_SG_EEES6_PlJS6_EEE10hipError_tPvRmT3_T4_T5_T6_T7_T9_mT8_P12ihipStream_tbDpT10_ENKUlT_T0_E_clISt17integral_constantIbLb1EES1C_IbLb0EEEEDaS18_S19_EUlS18_E_NS1_11comp_targetILNS1_3genE2ELNS1_11target_archE906ELNS1_3gpuE6ELNS1_3repE0EEENS1_30default_config_static_selectorELNS0_4arch9wavefront6targetE0EEEvT1_.private_seg_size, 0
	.set _ZN7rocprim17ROCPRIM_400000_NS6detail17trampoline_kernelINS0_14default_configENS1_25partition_config_selectorILNS1_17partition_subalgoE5ExNS0_10empty_typeEbEEZZNS1_14partition_implILS5_5ELb0ES3_mN6thrust23THRUST_200600_302600_NS6detail15normal_iteratorINSA_10device_ptrIxEEEEPS6_NSA_18transform_iteratorINSB_9not_fun_tI7is_trueIxEEENSC_INSD_IbEEEENSA_11use_defaultESO_EENS0_5tupleIJSF_S6_EEENSQ_IJSG_SG_EEES6_PlJS6_EEE10hipError_tPvRmT3_T4_T5_T6_T7_T9_mT8_P12ihipStream_tbDpT10_ENKUlT_T0_E_clISt17integral_constantIbLb1EES1C_IbLb0EEEEDaS18_S19_EUlS18_E_NS1_11comp_targetILNS1_3genE2ELNS1_11target_archE906ELNS1_3gpuE6ELNS1_3repE0EEENS1_30default_config_static_selectorELNS0_4arch9wavefront6targetE0EEEvT1_.uses_vcc, 0
	.set _ZN7rocprim17ROCPRIM_400000_NS6detail17trampoline_kernelINS0_14default_configENS1_25partition_config_selectorILNS1_17partition_subalgoE5ExNS0_10empty_typeEbEEZZNS1_14partition_implILS5_5ELb0ES3_mN6thrust23THRUST_200600_302600_NS6detail15normal_iteratorINSA_10device_ptrIxEEEEPS6_NSA_18transform_iteratorINSB_9not_fun_tI7is_trueIxEEENSC_INSD_IbEEEENSA_11use_defaultESO_EENS0_5tupleIJSF_S6_EEENSQ_IJSG_SG_EEES6_PlJS6_EEE10hipError_tPvRmT3_T4_T5_T6_T7_T9_mT8_P12ihipStream_tbDpT10_ENKUlT_T0_E_clISt17integral_constantIbLb1EES1C_IbLb0EEEEDaS18_S19_EUlS18_E_NS1_11comp_targetILNS1_3genE2ELNS1_11target_archE906ELNS1_3gpuE6ELNS1_3repE0EEENS1_30default_config_static_selectorELNS0_4arch9wavefront6targetE0EEEvT1_.uses_flat_scratch, 0
	.set _ZN7rocprim17ROCPRIM_400000_NS6detail17trampoline_kernelINS0_14default_configENS1_25partition_config_selectorILNS1_17partition_subalgoE5ExNS0_10empty_typeEbEEZZNS1_14partition_implILS5_5ELb0ES3_mN6thrust23THRUST_200600_302600_NS6detail15normal_iteratorINSA_10device_ptrIxEEEEPS6_NSA_18transform_iteratorINSB_9not_fun_tI7is_trueIxEEENSC_INSD_IbEEEENSA_11use_defaultESO_EENS0_5tupleIJSF_S6_EEENSQ_IJSG_SG_EEES6_PlJS6_EEE10hipError_tPvRmT3_T4_T5_T6_T7_T9_mT8_P12ihipStream_tbDpT10_ENKUlT_T0_E_clISt17integral_constantIbLb1EES1C_IbLb0EEEEDaS18_S19_EUlS18_E_NS1_11comp_targetILNS1_3genE2ELNS1_11target_archE906ELNS1_3gpuE6ELNS1_3repE0EEENS1_30default_config_static_selectorELNS0_4arch9wavefront6targetE0EEEvT1_.has_dyn_sized_stack, 0
	.set _ZN7rocprim17ROCPRIM_400000_NS6detail17trampoline_kernelINS0_14default_configENS1_25partition_config_selectorILNS1_17partition_subalgoE5ExNS0_10empty_typeEbEEZZNS1_14partition_implILS5_5ELb0ES3_mN6thrust23THRUST_200600_302600_NS6detail15normal_iteratorINSA_10device_ptrIxEEEEPS6_NSA_18transform_iteratorINSB_9not_fun_tI7is_trueIxEEENSC_INSD_IbEEEENSA_11use_defaultESO_EENS0_5tupleIJSF_S6_EEENSQ_IJSG_SG_EEES6_PlJS6_EEE10hipError_tPvRmT3_T4_T5_T6_T7_T9_mT8_P12ihipStream_tbDpT10_ENKUlT_T0_E_clISt17integral_constantIbLb1EES1C_IbLb0EEEEDaS18_S19_EUlS18_E_NS1_11comp_targetILNS1_3genE2ELNS1_11target_archE906ELNS1_3gpuE6ELNS1_3repE0EEENS1_30default_config_static_selectorELNS0_4arch9wavefront6targetE0EEEvT1_.has_recursion, 0
	.set _ZN7rocprim17ROCPRIM_400000_NS6detail17trampoline_kernelINS0_14default_configENS1_25partition_config_selectorILNS1_17partition_subalgoE5ExNS0_10empty_typeEbEEZZNS1_14partition_implILS5_5ELb0ES3_mN6thrust23THRUST_200600_302600_NS6detail15normal_iteratorINSA_10device_ptrIxEEEEPS6_NSA_18transform_iteratorINSB_9not_fun_tI7is_trueIxEEENSC_INSD_IbEEEENSA_11use_defaultESO_EENS0_5tupleIJSF_S6_EEENSQ_IJSG_SG_EEES6_PlJS6_EEE10hipError_tPvRmT3_T4_T5_T6_T7_T9_mT8_P12ihipStream_tbDpT10_ENKUlT_T0_E_clISt17integral_constantIbLb1EES1C_IbLb0EEEEDaS18_S19_EUlS18_E_NS1_11comp_targetILNS1_3genE2ELNS1_11target_archE906ELNS1_3gpuE6ELNS1_3repE0EEENS1_30default_config_static_selectorELNS0_4arch9wavefront6targetE0EEEvT1_.has_indirect_call, 0
	.section	.AMDGPU.csdata,"",@progbits
; Kernel info:
; codeLenInByte = 0
; TotalNumSgprs: 0
; NumVgprs: 0
; ScratchSize: 0
; MemoryBound: 0
; FloatMode: 240
; IeeeMode: 1
; LDSByteSize: 0 bytes/workgroup (compile time only)
; SGPRBlocks: 0
; VGPRBlocks: 0
; NumSGPRsForWavesPerEU: 1
; NumVGPRsForWavesPerEU: 1
; Occupancy: 16
; WaveLimiterHint : 0
; COMPUTE_PGM_RSRC2:SCRATCH_EN: 0
; COMPUTE_PGM_RSRC2:USER_SGPR: 2
; COMPUTE_PGM_RSRC2:TRAP_HANDLER: 0
; COMPUTE_PGM_RSRC2:TGID_X_EN: 1
; COMPUTE_PGM_RSRC2:TGID_Y_EN: 0
; COMPUTE_PGM_RSRC2:TGID_Z_EN: 0
; COMPUTE_PGM_RSRC2:TIDIG_COMP_CNT: 0
	.section	.text._ZN7rocprim17ROCPRIM_400000_NS6detail17trampoline_kernelINS0_14default_configENS1_25partition_config_selectorILNS1_17partition_subalgoE5ExNS0_10empty_typeEbEEZZNS1_14partition_implILS5_5ELb0ES3_mN6thrust23THRUST_200600_302600_NS6detail15normal_iteratorINSA_10device_ptrIxEEEEPS6_NSA_18transform_iteratorINSB_9not_fun_tI7is_trueIxEEENSC_INSD_IbEEEENSA_11use_defaultESO_EENS0_5tupleIJSF_S6_EEENSQ_IJSG_SG_EEES6_PlJS6_EEE10hipError_tPvRmT3_T4_T5_T6_T7_T9_mT8_P12ihipStream_tbDpT10_ENKUlT_T0_E_clISt17integral_constantIbLb1EES1C_IbLb0EEEEDaS18_S19_EUlS18_E_NS1_11comp_targetILNS1_3genE10ELNS1_11target_archE1200ELNS1_3gpuE4ELNS1_3repE0EEENS1_30default_config_static_selectorELNS0_4arch9wavefront6targetE0EEEvT1_,"axG",@progbits,_ZN7rocprim17ROCPRIM_400000_NS6detail17trampoline_kernelINS0_14default_configENS1_25partition_config_selectorILNS1_17partition_subalgoE5ExNS0_10empty_typeEbEEZZNS1_14partition_implILS5_5ELb0ES3_mN6thrust23THRUST_200600_302600_NS6detail15normal_iteratorINSA_10device_ptrIxEEEEPS6_NSA_18transform_iteratorINSB_9not_fun_tI7is_trueIxEEENSC_INSD_IbEEEENSA_11use_defaultESO_EENS0_5tupleIJSF_S6_EEENSQ_IJSG_SG_EEES6_PlJS6_EEE10hipError_tPvRmT3_T4_T5_T6_T7_T9_mT8_P12ihipStream_tbDpT10_ENKUlT_T0_E_clISt17integral_constantIbLb1EES1C_IbLb0EEEEDaS18_S19_EUlS18_E_NS1_11comp_targetILNS1_3genE10ELNS1_11target_archE1200ELNS1_3gpuE4ELNS1_3repE0EEENS1_30default_config_static_selectorELNS0_4arch9wavefront6targetE0EEEvT1_,comdat
	.protected	_ZN7rocprim17ROCPRIM_400000_NS6detail17trampoline_kernelINS0_14default_configENS1_25partition_config_selectorILNS1_17partition_subalgoE5ExNS0_10empty_typeEbEEZZNS1_14partition_implILS5_5ELb0ES3_mN6thrust23THRUST_200600_302600_NS6detail15normal_iteratorINSA_10device_ptrIxEEEEPS6_NSA_18transform_iteratorINSB_9not_fun_tI7is_trueIxEEENSC_INSD_IbEEEENSA_11use_defaultESO_EENS0_5tupleIJSF_S6_EEENSQ_IJSG_SG_EEES6_PlJS6_EEE10hipError_tPvRmT3_T4_T5_T6_T7_T9_mT8_P12ihipStream_tbDpT10_ENKUlT_T0_E_clISt17integral_constantIbLb1EES1C_IbLb0EEEEDaS18_S19_EUlS18_E_NS1_11comp_targetILNS1_3genE10ELNS1_11target_archE1200ELNS1_3gpuE4ELNS1_3repE0EEENS1_30default_config_static_selectorELNS0_4arch9wavefront6targetE0EEEvT1_ ; -- Begin function _ZN7rocprim17ROCPRIM_400000_NS6detail17trampoline_kernelINS0_14default_configENS1_25partition_config_selectorILNS1_17partition_subalgoE5ExNS0_10empty_typeEbEEZZNS1_14partition_implILS5_5ELb0ES3_mN6thrust23THRUST_200600_302600_NS6detail15normal_iteratorINSA_10device_ptrIxEEEEPS6_NSA_18transform_iteratorINSB_9not_fun_tI7is_trueIxEEENSC_INSD_IbEEEENSA_11use_defaultESO_EENS0_5tupleIJSF_S6_EEENSQ_IJSG_SG_EEES6_PlJS6_EEE10hipError_tPvRmT3_T4_T5_T6_T7_T9_mT8_P12ihipStream_tbDpT10_ENKUlT_T0_E_clISt17integral_constantIbLb1EES1C_IbLb0EEEEDaS18_S19_EUlS18_E_NS1_11comp_targetILNS1_3genE10ELNS1_11target_archE1200ELNS1_3gpuE4ELNS1_3repE0EEENS1_30default_config_static_selectorELNS0_4arch9wavefront6targetE0EEEvT1_
	.globl	_ZN7rocprim17ROCPRIM_400000_NS6detail17trampoline_kernelINS0_14default_configENS1_25partition_config_selectorILNS1_17partition_subalgoE5ExNS0_10empty_typeEbEEZZNS1_14partition_implILS5_5ELb0ES3_mN6thrust23THRUST_200600_302600_NS6detail15normal_iteratorINSA_10device_ptrIxEEEEPS6_NSA_18transform_iteratorINSB_9not_fun_tI7is_trueIxEEENSC_INSD_IbEEEENSA_11use_defaultESO_EENS0_5tupleIJSF_S6_EEENSQ_IJSG_SG_EEES6_PlJS6_EEE10hipError_tPvRmT3_T4_T5_T6_T7_T9_mT8_P12ihipStream_tbDpT10_ENKUlT_T0_E_clISt17integral_constantIbLb1EES1C_IbLb0EEEEDaS18_S19_EUlS18_E_NS1_11comp_targetILNS1_3genE10ELNS1_11target_archE1200ELNS1_3gpuE4ELNS1_3repE0EEENS1_30default_config_static_selectorELNS0_4arch9wavefront6targetE0EEEvT1_
	.p2align	8
	.type	_ZN7rocprim17ROCPRIM_400000_NS6detail17trampoline_kernelINS0_14default_configENS1_25partition_config_selectorILNS1_17partition_subalgoE5ExNS0_10empty_typeEbEEZZNS1_14partition_implILS5_5ELb0ES3_mN6thrust23THRUST_200600_302600_NS6detail15normal_iteratorINSA_10device_ptrIxEEEEPS6_NSA_18transform_iteratorINSB_9not_fun_tI7is_trueIxEEENSC_INSD_IbEEEENSA_11use_defaultESO_EENS0_5tupleIJSF_S6_EEENSQ_IJSG_SG_EEES6_PlJS6_EEE10hipError_tPvRmT3_T4_T5_T6_T7_T9_mT8_P12ihipStream_tbDpT10_ENKUlT_T0_E_clISt17integral_constantIbLb1EES1C_IbLb0EEEEDaS18_S19_EUlS18_E_NS1_11comp_targetILNS1_3genE10ELNS1_11target_archE1200ELNS1_3gpuE4ELNS1_3repE0EEENS1_30default_config_static_selectorELNS0_4arch9wavefront6targetE0EEEvT1_,@function
_ZN7rocprim17ROCPRIM_400000_NS6detail17trampoline_kernelINS0_14default_configENS1_25partition_config_selectorILNS1_17partition_subalgoE5ExNS0_10empty_typeEbEEZZNS1_14partition_implILS5_5ELb0ES3_mN6thrust23THRUST_200600_302600_NS6detail15normal_iteratorINSA_10device_ptrIxEEEEPS6_NSA_18transform_iteratorINSB_9not_fun_tI7is_trueIxEEENSC_INSD_IbEEEENSA_11use_defaultESO_EENS0_5tupleIJSF_S6_EEENSQ_IJSG_SG_EEES6_PlJS6_EEE10hipError_tPvRmT3_T4_T5_T6_T7_T9_mT8_P12ihipStream_tbDpT10_ENKUlT_T0_E_clISt17integral_constantIbLb1EES1C_IbLb0EEEEDaS18_S19_EUlS18_E_NS1_11comp_targetILNS1_3genE10ELNS1_11target_archE1200ELNS1_3gpuE4ELNS1_3repE0EEENS1_30default_config_static_selectorELNS0_4arch9wavefront6targetE0EEEvT1_: ; @_ZN7rocprim17ROCPRIM_400000_NS6detail17trampoline_kernelINS0_14default_configENS1_25partition_config_selectorILNS1_17partition_subalgoE5ExNS0_10empty_typeEbEEZZNS1_14partition_implILS5_5ELb0ES3_mN6thrust23THRUST_200600_302600_NS6detail15normal_iteratorINSA_10device_ptrIxEEEEPS6_NSA_18transform_iteratorINSB_9not_fun_tI7is_trueIxEEENSC_INSD_IbEEEENSA_11use_defaultESO_EENS0_5tupleIJSF_S6_EEENSQ_IJSG_SG_EEES6_PlJS6_EEE10hipError_tPvRmT3_T4_T5_T6_T7_T9_mT8_P12ihipStream_tbDpT10_ENKUlT_T0_E_clISt17integral_constantIbLb1EES1C_IbLb0EEEEDaS18_S19_EUlS18_E_NS1_11comp_targetILNS1_3genE10ELNS1_11target_archE1200ELNS1_3gpuE4ELNS1_3repE0EEENS1_30default_config_static_selectorELNS0_4arch9wavefront6targetE0EEEvT1_
; %bb.0:
	s_endpgm
	.section	.rodata,"a",@progbits
	.p2align	6, 0x0
	.amdhsa_kernel _ZN7rocprim17ROCPRIM_400000_NS6detail17trampoline_kernelINS0_14default_configENS1_25partition_config_selectorILNS1_17partition_subalgoE5ExNS0_10empty_typeEbEEZZNS1_14partition_implILS5_5ELb0ES3_mN6thrust23THRUST_200600_302600_NS6detail15normal_iteratorINSA_10device_ptrIxEEEEPS6_NSA_18transform_iteratorINSB_9not_fun_tI7is_trueIxEEENSC_INSD_IbEEEENSA_11use_defaultESO_EENS0_5tupleIJSF_S6_EEENSQ_IJSG_SG_EEES6_PlJS6_EEE10hipError_tPvRmT3_T4_T5_T6_T7_T9_mT8_P12ihipStream_tbDpT10_ENKUlT_T0_E_clISt17integral_constantIbLb1EES1C_IbLb0EEEEDaS18_S19_EUlS18_E_NS1_11comp_targetILNS1_3genE10ELNS1_11target_archE1200ELNS1_3gpuE4ELNS1_3repE0EEENS1_30default_config_static_selectorELNS0_4arch9wavefront6targetE0EEEvT1_
		.amdhsa_group_segment_fixed_size 0
		.amdhsa_private_segment_fixed_size 0
		.amdhsa_kernarg_size 120
		.amdhsa_user_sgpr_count 2
		.amdhsa_user_sgpr_dispatch_ptr 0
		.amdhsa_user_sgpr_queue_ptr 0
		.amdhsa_user_sgpr_kernarg_segment_ptr 1
		.amdhsa_user_sgpr_dispatch_id 0
		.amdhsa_user_sgpr_private_segment_size 0
		.amdhsa_wavefront_size32 1
		.amdhsa_uses_dynamic_stack 0
		.amdhsa_enable_private_segment 0
		.amdhsa_system_sgpr_workgroup_id_x 1
		.amdhsa_system_sgpr_workgroup_id_y 0
		.amdhsa_system_sgpr_workgroup_id_z 0
		.amdhsa_system_sgpr_workgroup_info 0
		.amdhsa_system_vgpr_workitem_id 0
		.amdhsa_next_free_vgpr 1
		.amdhsa_next_free_sgpr 1
		.amdhsa_reserve_vcc 0
		.amdhsa_float_round_mode_32 0
		.amdhsa_float_round_mode_16_64 0
		.amdhsa_float_denorm_mode_32 3
		.amdhsa_float_denorm_mode_16_64 3
		.amdhsa_fp16_overflow 0
		.amdhsa_workgroup_processor_mode 1
		.amdhsa_memory_ordered 1
		.amdhsa_forward_progress 1
		.amdhsa_inst_pref_size 1
		.amdhsa_round_robin_scheduling 0
		.amdhsa_exception_fp_ieee_invalid_op 0
		.amdhsa_exception_fp_denorm_src 0
		.amdhsa_exception_fp_ieee_div_zero 0
		.amdhsa_exception_fp_ieee_overflow 0
		.amdhsa_exception_fp_ieee_underflow 0
		.amdhsa_exception_fp_ieee_inexact 0
		.amdhsa_exception_int_div_zero 0
	.end_amdhsa_kernel
	.section	.text._ZN7rocprim17ROCPRIM_400000_NS6detail17trampoline_kernelINS0_14default_configENS1_25partition_config_selectorILNS1_17partition_subalgoE5ExNS0_10empty_typeEbEEZZNS1_14partition_implILS5_5ELb0ES3_mN6thrust23THRUST_200600_302600_NS6detail15normal_iteratorINSA_10device_ptrIxEEEEPS6_NSA_18transform_iteratorINSB_9not_fun_tI7is_trueIxEEENSC_INSD_IbEEEENSA_11use_defaultESO_EENS0_5tupleIJSF_S6_EEENSQ_IJSG_SG_EEES6_PlJS6_EEE10hipError_tPvRmT3_T4_T5_T6_T7_T9_mT8_P12ihipStream_tbDpT10_ENKUlT_T0_E_clISt17integral_constantIbLb1EES1C_IbLb0EEEEDaS18_S19_EUlS18_E_NS1_11comp_targetILNS1_3genE10ELNS1_11target_archE1200ELNS1_3gpuE4ELNS1_3repE0EEENS1_30default_config_static_selectorELNS0_4arch9wavefront6targetE0EEEvT1_,"axG",@progbits,_ZN7rocprim17ROCPRIM_400000_NS6detail17trampoline_kernelINS0_14default_configENS1_25partition_config_selectorILNS1_17partition_subalgoE5ExNS0_10empty_typeEbEEZZNS1_14partition_implILS5_5ELb0ES3_mN6thrust23THRUST_200600_302600_NS6detail15normal_iteratorINSA_10device_ptrIxEEEEPS6_NSA_18transform_iteratorINSB_9not_fun_tI7is_trueIxEEENSC_INSD_IbEEEENSA_11use_defaultESO_EENS0_5tupleIJSF_S6_EEENSQ_IJSG_SG_EEES6_PlJS6_EEE10hipError_tPvRmT3_T4_T5_T6_T7_T9_mT8_P12ihipStream_tbDpT10_ENKUlT_T0_E_clISt17integral_constantIbLb1EES1C_IbLb0EEEEDaS18_S19_EUlS18_E_NS1_11comp_targetILNS1_3genE10ELNS1_11target_archE1200ELNS1_3gpuE4ELNS1_3repE0EEENS1_30default_config_static_selectorELNS0_4arch9wavefront6targetE0EEEvT1_,comdat
.Lfunc_end2514:
	.size	_ZN7rocprim17ROCPRIM_400000_NS6detail17trampoline_kernelINS0_14default_configENS1_25partition_config_selectorILNS1_17partition_subalgoE5ExNS0_10empty_typeEbEEZZNS1_14partition_implILS5_5ELb0ES3_mN6thrust23THRUST_200600_302600_NS6detail15normal_iteratorINSA_10device_ptrIxEEEEPS6_NSA_18transform_iteratorINSB_9not_fun_tI7is_trueIxEEENSC_INSD_IbEEEENSA_11use_defaultESO_EENS0_5tupleIJSF_S6_EEENSQ_IJSG_SG_EEES6_PlJS6_EEE10hipError_tPvRmT3_T4_T5_T6_T7_T9_mT8_P12ihipStream_tbDpT10_ENKUlT_T0_E_clISt17integral_constantIbLb1EES1C_IbLb0EEEEDaS18_S19_EUlS18_E_NS1_11comp_targetILNS1_3genE10ELNS1_11target_archE1200ELNS1_3gpuE4ELNS1_3repE0EEENS1_30default_config_static_selectorELNS0_4arch9wavefront6targetE0EEEvT1_, .Lfunc_end2514-_ZN7rocprim17ROCPRIM_400000_NS6detail17trampoline_kernelINS0_14default_configENS1_25partition_config_selectorILNS1_17partition_subalgoE5ExNS0_10empty_typeEbEEZZNS1_14partition_implILS5_5ELb0ES3_mN6thrust23THRUST_200600_302600_NS6detail15normal_iteratorINSA_10device_ptrIxEEEEPS6_NSA_18transform_iteratorINSB_9not_fun_tI7is_trueIxEEENSC_INSD_IbEEEENSA_11use_defaultESO_EENS0_5tupleIJSF_S6_EEENSQ_IJSG_SG_EEES6_PlJS6_EEE10hipError_tPvRmT3_T4_T5_T6_T7_T9_mT8_P12ihipStream_tbDpT10_ENKUlT_T0_E_clISt17integral_constantIbLb1EES1C_IbLb0EEEEDaS18_S19_EUlS18_E_NS1_11comp_targetILNS1_3genE10ELNS1_11target_archE1200ELNS1_3gpuE4ELNS1_3repE0EEENS1_30default_config_static_selectorELNS0_4arch9wavefront6targetE0EEEvT1_
                                        ; -- End function
	.set _ZN7rocprim17ROCPRIM_400000_NS6detail17trampoline_kernelINS0_14default_configENS1_25partition_config_selectorILNS1_17partition_subalgoE5ExNS0_10empty_typeEbEEZZNS1_14partition_implILS5_5ELb0ES3_mN6thrust23THRUST_200600_302600_NS6detail15normal_iteratorINSA_10device_ptrIxEEEEPS6_NSA_18transform_iteratorINSB_9not_fun_tI7is_trueIxEEENSC_INSD_IbEEEENSA_11use_defaultESO_EENS0_5tupleIJSF_S6_EEENSQ_IJSG_SG_EEES6_PlJS6_EEE10hipError_tPvRmT3_T4_T5_T6_T7_T9_mT8_P12ihipStream_tbDpT10_ENKUlT_T0_E_clISt17integral_constantIbLb1EES1C_IbLb0EEEEDaS18_S19_EUlS18_E_NS1_11comp_targetILNS1_3genE10ELNS1_11target_archE1200ELNS1_3gpuE4ELNS1_3repE0EEENS1_30default_config_static_selectorELNS0_4arch9wavefront6targetE0EEEvT1_.num_vgpr, 0
	.set _ZN7rocprim17ROCPRIM_400000_NS6detail17trampoline_kernelINS0_14default_configENS1_25partition_config_selectorILNS1_17partition_subalgoE5ExNS0_10empty_typeEbEEZZNS1_14partition_implILS5_5ELb0ES3_mN6thrust23THRUST_200600_302600_NS6detail15normal_iteratorINSA_10device_ptrIxEEEEPS6_NSA_18transform_iteratorINSB_9not_fun_tI7is_trueIxEEENSC_INSD_IbEEEENSA_11use_defaultESO_EENS0_5tupleIJSF_S6_EEENSQ_IJSG_SG_EEES6_PlJS6_EEE10hipError_tPvRmT3_T4_T5_T6_T7_T9_mT8_P12ihipStream_tbDpT10_ENKUlT_T0_E_clISt17integral_constantIbLb1EES1C_IbLb0EEEEDaS18_S19_EUlS18_E_NS1_11comp_targetILNS1_3genE10ELNS1_11target_archE1200ELNS1_3gpuE4ELNS1_3repE0EEENS1_30default_config_static_selectorELNS0_4arch9wavefront6targetE0EEEvT1_.num_agpr, 0
	.set _ZN7rocprim17ROCPRIM_400000_NS6detail17trampoline_kernelINS0_14default_configENS1_25partition_config_selectorILNS1_17partition_subalgoE5ExNS0_10empty_typeEbEEZZNS1_14partition_implILS5_5ELb0ES3_mN6thrust23THRUST_200600_302600_NS6detail15normal_iteratorINSA_10device_ptrIxEEEEPS6_NSA_18transform_iteratorINSB_9not_fun_tI7is_trueIxEEENSC_INSD_IbEEEENSA_11use_defaultESO_EENS0_5tupleIJSF_S6_EEENSQ_IJSG_SG_EEES6_PlJS6_EEE10hipError_tPvRmT3_T4_T5_T6_T7_T9_mT8_P12ihipStream_tbDpT10_ENKUlT_T0_E_clISt17integral_constantIbLb1EES1C_IbLb0EEEEDaS18_S19_EUlS18_E_NS1_11comp_targetILNS1_3genE10ELNS1_11target_archE1200ELNS1_3gpuE4ELNS1_3repE0EEENS1_30default_config_static_selectorELNS0_4arch9wavefront6targetE0EEEvT1_.numbered_sgpr, 0
	.set _ZN7rocprim17ROCPRIM_400000_NS6detail17trampoline_kernelINS0_14default_configENS1_25partition_config_selectorILNS1_17partition_subalgoE5ExNS0_10empty_typeEbEEZZNS1_14partition_implILS5_5ELb0ES3_mN6thrust23THRUST_200600_302600_NS6detail15normal_iteratorINSA_10device_ptrIxEEEEPS6_NSA_18transform_iteratorINSB_9not_fun_tI7is_trueIxEEENSC_INSD_IbEEEENSA_11use_defaultESO_EENS0_5tupleIJSF_S6_EEENSQ_IJSG_SG_EEES6_PlJS6_EEE10hipError_tPvRmT3_T4_T5_T6_T7_T9_mT8_P12ihipStream_tbDpT10_ENKUlT_T0_E_clISt17integral_constantIbLb1EES1C_IbLb0EEEEDaS18_S19_EUlS18_E_NS1_11comp_targetILNS1_3genE10ELNS1_11target_archE1200ELNS1_3gpuE4ELNS1_3repE0EEENS1_30default_config_static_selectorELNS0_4arch9wavefront6targetE0EEEvT1_.num_named_barrier, 0
	.set _ZN7rocprim17ROCPRIM_400000_NS6detail17trampoline_kernelINS0_14default_configENS1_25partition_config_selectorILNS1_17partition_subalgoE5ExNS0_10empty_typeEbEEZZNS1_14partition_implILS5_5ELb0ES3_mN6thrust23THRUST_200600_302600_NS6detail15normal_iteratorINSA_10device_ptrIxEEEEPS6_NSA_18transform_iteratorINSB_9not_fun_tI7is_trueIxEEENSC_INSD_IbEEEENSA_11use_defaultESO_EENS0_5tupleIJSF_S6_EEENSQ_IJSG_SG_EEES6_PlJS6_EEE10hipError_tPvRmT3_T4_T5_T6_T7_T9_mT8_P12ihipStream_tbDpT10_ENKUlT_T0_E_clISt17integral_constantIbLb1EES1C_IbLb0EEEEDaS18_S19_EUlS18_E_NS1_11comp_targetILNS1_3genE10ELNS1_11target_archE1200ELNS1_3gpuE4ELNS1_3repE0EEENS1_30default_config_static_selectorELNS0_4arch9wavefront6targetE0EEEvT1_.private_seg_size, 0
	.set _ZN7rocprim17ROCPRIM_400000_NS6detail17trampoline_kernelINS0_14default_configENS1_25partition_config_selectorILNS1_17partition_subalgoE5ExNS0_10empty_typeEbEEZZNS1_14partition_implILS5_5ELb0ES3_mN6thrust23THRUST_200600_302600_NS6detail15normal_iteratorINSA_10device_ptrIxEEEEPS6_NSA_18transform_iteratorINSB_9not_fun_tI7is_trueIxEEENSC_INSD_IbEEEENSA_11use_defaultESO_EENS0_5tupleIJSF_S6_EEENSQ_IJSG_SG_EEES6_PlJS6_EEE10hipError_tPvRmT3_T4_T5_T6_T7_T9_mT8_P12ihipStream_tbDpT10_ENKUlT_T0_E_clISt17integral_constantIbLb1EES1C_IbLb0EEEEDaS18_S19_EUlS18_E_NS1_11comp_targetILNS1_3genE10ELNS1_11target_archE1200ELNS1_3gpuE4ELNS1_3repE0EEENS1_30default_config_static_selectorELNS0_4arch9wavefront6targetE0EEEvT1_.uses_vcc, 0
	.set _ZN7rocprim17ROCPRIM_400000_NS6detail17trampoline_kernelINS0_14default_configENS1_25partition_config_selectorILNS1_17partition_subalgoE5ExNS0_10empty_typeEbEEZZNS1_14partition_implILS5_5ELb0ES3_mN6thrust23THRUST_200600_302600_NS6detail15normal_iteratorINSA_10device_ptrIxEEEEPS6_NSA_18transform_iteratorINSB_9not_fun_tI7is_trueIxEEENSC_INSD_IbEEEENSA_11use_defaultESO_EENS0_5tupleIJSF_S6_EEENSQ_IJSG_SG_EEES6_PlJS6_EEE10hipError_tPvRmT3_T4_T5_T6_T7_T9_mT8_P12ihipStream_tbDpT10_ENKUlT_T0_E_clISt17integral_constantIbLb1EES1C_IbLb0EEEEDaS18_S19_EUlS18_E_NS1_11comp_targetILNS1_3genE10ELNS1_11target_archE1200ELNS1_3gpuE4ELNS1_3repE0EEENS1_30default_config_static_selectorELNS0_4arch9wavefront6targetE0EEEvT1_.uses_flat_scratch, 0
	.set _ZN7rocprim17ROCPRIM_400000_NS6detail17trampoline_kernelINS0_14default_configENS1_25partition_config_selectorILNS1_17partition_subalgoE5ExNS0_10empty_typeEbEEZZNS1_14partition_implILS5_5ELb0ES3_mN6thrust23THRUST_200600_302600_NS6detail15normal_iteratorINSA_10device_ptrIxEEEEPS6_NSA_18transform_iteratorINSB_9not_fun_tI7is_trueIxEEENSC_INSD_IbEEEENSA_11use_defaultESO_EENS0_5tupleIJSF_S6_EEENSQ_IJSG_SG_EEES6_PlJS6_EEE10hipError_tPvRmT3_T4_T5_T6_T7_T9_mT8_P12ihipStream_tbDpT10_ENKUlT_T0_E_clISt17integral_constantIbLb1EES1C_IbLb0EEEEDaS18_S19_EUlS18_E_NS1_11comp_targetILNS1_3genE10ELNS1_11target_archE1200ELNS1_3gpuE4ELNS1_3repE0EEENS1_30default_config_static_selectorELNS0_4arch9wavefront6targetE0EEEvT1_.has_dyn_sized_stack, 0
	.set _ZN7rocprim17ROCPRIM_400000_NS6detail17trampoline_kernelINS0_14default_configENS1_25partition_config_selectorILNS1_17partition_subalgoE5ExNS0_10empty_typeEbEEZZNS1_14partition_implILS5_5ELb0ES3_mN6thrust23THRUST_200600_302600_NS6detail15normal_iteratorINSA_10device_ptrIxEEEEPS6_NSA_18transform_iteratorINSB_9not_fun_tI7is_trueIxEEENSC_INSD_IbEEEENSA_11use_defaultESO_EENS0_5tupleIJSF_S6_EEENSQ_IJSG_SG_EEES6_PlJS6_EEE10hipError_tPvRmT3_T4_T5_T6_T7_T9_mT8_P12ihipStream_tbDpT10_ENKUlT_T0_E_clISt17integral_constantIbLb1EES1C_IbLb0EEEEDaS18_S19_EUlS18_E_NS1_11comp_targetILNS1_3genE10ELNS1_11target_archE1200ELNS1_3gpuE4ELNS1_3repE0EEENS1_30default_config_static_selectorELNS0_4arch9wavefront6targetE0EEEvT1_.has_recursion, 0
	.set _ZN7rocprim17ROCPRIM_400000_NS6detail17trampoline_kernelINS0_14default_configENS1_25partition_config_selectorILNS1_17partition_subalgoE5ExNS0_10empty_typeEbEEZZNS1_14partition_implILS5_5ELb0ES3_mN6thrust23THRUST_200600_302600_NS6detail15normal_iteratorINSA_10device_ptrIxEEEEPS6_NSA_18transform_iteratorINSB_9not_fun_tI7is_trueIxEEENSC_INSD_IbEEEENSA_11use_defaultESO_EENS0_5tupleIJSF_S6_EEENSQ_IJSG_SG_EEES6_PlJS6_EEE10hipError_tPvRmT3_T4_T5_T6_T7_T9_mT8_P12ihipStream_tbDpT10_ENKUlT_T0_E_clISt17integral_constantIbLb1EES1C_IbLb0EEEEDaS18_S19_EUlS18_E_NS1_11comp_targetILNS1_3genE10ELNS1_11target_archE1200ELNS1_3gpuE4ELNS1_3repE0EEENS1_30default_config_static_selectorELNS0_4arch9wavefront6targetE0EEEvT1_.has_indirect_call, 0
	.section	.AMDGPU.csdata,"",@progbits
; Kernel info:
; codeLenInByte = 4
; TotalNumSgprs: 0
; NumVgprs: 0
; ScratchSize: 0
; MemoryBound: 0
; FloatMode: 240
; IeeeMode: 1
; LDSByteSize: 0 bytes/workgroup (compile time only)
; SGPRBlocks: 0
; VGPRBlocks: 0
; NumSGPRsForWavesPerEU: 1
; NumVGPRsForWavesPerEU: 1
; Occupancy: 16
; WaveLimiterHint : 0
; COMPUTE_PGM_RSRC2:SCRATCH_EN: 0
; COMPUTE_PGM_RSRC2:USER_SGPR: 2
; COMPUTE_PGM_RSRC2:TRAP_HANDLER: 0
; COMPUTE_PGM_RSRC2:TGID_X_EN: 1
; COMPUTE_PGM_RSRC2:TGID_Y_EN: 0
; COMPUTE_PGM_RSRC2:TGID_Z_EN: 0
; COMPUTE_PGM_RSRC2:TIDIG_COMP_CNT: 0
	.section	.text._ZN7rocprim17ROCPRIM_400000_NS6detail17trampoline_kernelINS0_14default_configENS1_25partition_config_selectorILNS1_17partition_subalgoE5ExNS0_10empty_typeEbEEZZNS1_14partition_implILS5_5ELb0ES3_mN6thrust23THRUST_200600_302600_NS6detail15normal_iteratorINSA_10device_ptrIxEEEEPS6_NSA_18transform_iteratorINSB_9not_fun_tI7is_trueIxEEENSC_INSD_IbEEEENSA_11use_defaultESO_EENS0_5tupleIJSF_S6_EEENSQ_IJSG_SG_EEES6_PlJS6_EEE10hipError_tPvRmT3_T4_T5_T6_T7_T9_mT8_P12ihipStream_tbDpT10_ENKUlT_T0_E_clISt17integral_constantIbLb1EES1C_IbLb0EEEEDaS18_S19_EUlS18_E_NS1_11comp_targetILNS1_3genE9ELNS1_11target_archE1100ELNS1_3gpuE3ELNS1_3repE0EEENS1_30default_config_static_selectorELNS0_4arch9wavefront6targetE0EEEvT1_,"axG",@progbits,_ZN7rocprim17ROCPRIM_400000_NS6detail17trampoline_kernelINS0_14default_configENS1_25partition_config_selectorILNS1_17partition_subalgoE5ExNS0_10empty_typeEbEEZZNS1_14partition_implILS5_5ELb0ES3_mN6thrust23THRUST_200600_302600_NS6detail15normal_iteratorINSA_10device_ptrIxEEEEPS6_NSA_18transform_iteratorINSB_9not_fun_tI7is_trueIxEEENSC_INSD_IbEEEENSA_11use_defaultESO_EENS0_5tupleIJSF_S6_EEENSQ_IJSG_SG_EEES6_PlJS6_EEE10hipError_tPvRmT3_T4_T5_T6_T7_T9_mT8_P12ihipStream_tbDpT10_ENKUlT_T0_E_clISt17integral_constantIbLb1EES1C_IbLb0EEEEDaS18_S19_EUlS18_E_NS1_11comp_targetILNS1_3genE9ELNS1_11target_archE1100ELNS1_3gpuE3ELNS1_3repE0EEENS1_30default_config_static_selectorELNS0_4arch9wavefront6targetE0EEEvT1_,comdat
	.protected	_ZN7rocprim17ROCPRIM_400000_NS6detail17trampoline_kernelINS0_14default_configENS1_25partition_config_selectorILNS1_17partition_subalgoE5ExNS0_10empty_typeEbEEZZNS1_14partition_implILS5_5ELb0ES3_mN6thrust23THRUST_200600_302600_NS6detail15normal_iteratorINSA_10device_ptrIxEEEEPS6_NSA_18transform_iteratorINSB_9not_fun_tI7is_trueIxEEENSC_INSD_IbEEEENSA_11use_defaultESO_EENS0_5tupleIJSF_S6_EEENSQ_IJSG_SG_EEES6_PlJS6_EEE10hipError_tPvRmT3_T4_T5_T6_T7_T9_mT8_P12ihipStream_tbDpT10_ENKUlT_T0_E_clISt17integral_constantIbLb1EES1C_IbLb0EEEEDaS18_S19_EUlS18_E_NS1_11comp_targetILNS1_3genE9ELNS1_11target_archE1100ELNS1_3gpuE3ELNS1_3repE0EEENS1_30default_config_static_selectorELNS0_4arch9wavefront6targetE0EEEvT1_ ; -- Begin function _ZN7rocprim17ROCPRIM_400000_NS6detail17trampoline_kernelINS0_14default_configENS1_25partition_config_selectorILNS1_17partition_subalgoE5ExNS0_10empty_typeEbEEZZNS1_14partition_implILS5_5ELb0ES3_mN6thrust23THRUST_200600_302600_NS6detail15normal_iteratorINSA_10device_ptrIxEEEEPS6_NSA_18transform_iteratorINSB_9not_fun_tI7is_trueIxEEENSC_INSD_IbEEEENSA_11use_defaultESO_EENS0_5tupleIJSF_S6_EEENSQ_IJSG_SG_EEES6_PlJS6_EEE10hipError_tPvRmT3_T4_T5_T6_T7_T9_mT8_P12ihipStream_tbDpT10_ENKUlT_T0_E_clISt17integral_constantIbLb1EES1C_IbLb0EEEEDaS18_S19_EUlS18_E_NS1_11comp_targetILNS1_3genE9ELNS1_11target_archE1100ELNS1_3gpuE3ELNS1_3repE0EEENS1_30default_config_static_selectorELNS0_4arch9wavefront6targetE0EEEvT1_
	.globl	_ZN7rocprim17ROCPRIM_400000_NS6detail17trampoline_kernelINS0_14default_configENS1_25partition_config_selectorILNS1_17partition_subalgoE5ExNS0_10empty_typeEbEEZZNS1_14partition_implILS5_5ELb0ES3_mN6thrust23THRUST_200600_302600_NS6detail15normal_iteratorINSA_10device_ptrIxEEEEPS6_NSA_18transform_iteratorINSB_9not_fun_tI7is_trueIxEEENSC_INSD_IbEEEENSA_11use_defaultESO_EENS0_5tupleIJSF_S6_EEENSQ_IJSG_SG_EEES6_PlJS6_EEE10hipError_tPvRmT3_T4_T5_T6_T7_T9_mT8_P12ihipStream_tbDpT10_ENKUlT_T0_E_clISt17integral_constantIbLb1EES1C_IbLb0EEEEDaS18_S19_EUlS18_E_NS1_11comp_targetILNS1_3genE9ELNS1_11target_archE1100ELNS1_3gpuE3ELNS1_3repE0EEENS1_30default_config_static_selectorELNS0_4arch9wavefront6targetE0EEEvT1_
	.p2align	8
	.type	_ZN7rocprim17ROCPRIM_400000_NS6detail17trampoline_kernelINS0_14default_configENS1_25partition_config_selectorILNS1_17partition_subalgoE5ExNS0_10empty_typeEbEEZZNS1_14partition_implILS5_5ELb0ES3_mN6thrust23THRUST_200600_302600_NS6detail15normal_iteratorINSA_10device_ptrIxEEEEPS6_NSA_18transform_iteratorINSB_9not_fun_tI7is_trueIxEEENSC_INSD_IbEEEENSA_11use_defaultESO_EENS0_5tupleIJSF_S6_EEENSQ_IJSG_SG_EEES6_PlJS6_EEE10hipError_tPvRmT3_T4_T5_T6_T7_T9_mT8_P12ihipStream_tbDpT10_ENKUlT_T0_E_clISt17integral_constantIbLb1EES1C_IbLb0EEEEDaS18_S19_EUlS18_E_NS1_11comp_targetILNS1_3genE9ELNS1_11target_archE1100ELNS1_3gpuE3ELNS1_3repE0EEENS1_30default_config_static_selectorELNS0_4arch9wavefront6targetE0EEEvT1_,@function
_ZN7rocprim17ROCPRIM_400000_NS6detail17trampoline_kernelINS0_14default_configENS1_25partition_config_selectorILNS1_17partition_subalgoE5ExNS0_10empty_typeEbEEZZNS1_14partition_implILS5_5ELb0ES3_mN6thrust23THRUST_200600_302600_NS6detail15normal_iteratorINSA_10device_ptrIxEEEEPS6_NSA_18transform_iteratorINSB_9not_fun_tI7is_trueIxEEENSC_INSD_IbEEEENSA_11use_defaultESO_EENS0_5tupleIJSF_S6_EEENSQ_IJSG_SG_EEES6_PlJS6_EEE10hipError_tPvRmT3_T4_T5_T6_T7_T9_mT8_P12ihipStream_tbDpT10_ENKUlT_T0_E_clISt17integral_constantIbLb1EES1C_IbLb0EEEEDaS18_S19_EUlS18_E_NS1_11comp_targetILNS1_3genE9ELNS1_11target_archE1100ELNS1_3gpuE3ELNS1_3repE0EEENS1_30default_config_static_selectorELNS0_4arch9wavefront6targetE0EEEvT1_: ; @_ZN7rocprim17ROCPRIM_400000_NS6detail17trampoline_kernelINS0_14default_configENS1_25partition_config_selectorILNS1_17partition_subalgoE5ExNS0_10empty_typeEbEEZZNS1_14partition_implILS5_5ELb0ES3_mN6thrust23THRUST_200600_302600_NS6detail15normal_iteratorINSA_10device_ptrIxEEEEPS6_NSA_18transform_iteratorINSB_9not_fun_tI7is_trueIxEEENSC_INSD_IbEEEENSA_11use_defaultESO_EENS0_5tupleIJSF_S6_EEENSQ_IJSG_SG_EEES6_PlJS6_EEE10hipError_tPvRmT3_T4_T5_T6_T7_T9_mT8_P12ihipStream_tbDpT10_ENKUlT_T0_E_clISt17integral_constantIbLb1EES1C_IbLb0EEEEDaS18_S19_EUlS18_E_NS1_11comp_targetILNS1_3genE9ELNS1_11target_archE1100ELNS1_3gpuE3ELNS1_3repE0EEENS1_30default_config_static_selectorELNS0_4arch9wavefront6targetE0EEEvT1_
; %bb.0:
	.section	.rodata,"a",@progbits
	.p2align	6, 0x0
	.amdhsa_kernel _ZN7rocprim17ROCPRIM_400000_NS6detail17trampoline_kernelINS0_14default_configENS1_25partition_config_selectorILNS1_17partition_subalgoE5ExNS0_10empty_typeEbEEZZNS1_14partition_implILS5_5ELb0ES3_mN6thrust23THRUST_200600_302600_NS6detail15normal_iteratorINSA_10device_ptrIxEEEEPS6_NSA_18transform_iteratorINSB_9not_fun_tI7is_trueIxEEENSC_INSD_IbEEEENSA_11use_defaultESO_EENS0_5tupleIJSF_S6_EEENSQ_IJSG_SG_EEES6_PlJS6_EEE10hipError_tPvRmT3_T4_T5_T6_T7_T9_mT8_P12ihipStream_tbDpT10_ENKUlT_T0_E_clISt17integral_constantIbLb1EES1C_IbLb0EEEEDaS18_S19_EUlS18_E_NS1_11comp_targetILNS1_3genE9ELNS1_11target_archE1100ELNS1_3gpuE3ELNS1_3repE0EEENS1_30default_config_static_selectorELNS0_4arch9wavefront6targetE0EEEvT1_
		.amdhsa_group_segment_fixed_size 0
		.amdhsa_private_segment_fixed_size 0
		.amdhsa_kernarg_size 120
		.amdhsa_user_sgpr_count 2
		.amdhsa_user_sgpr_dispatch_ptr 0
		.amdhsa_user_sgpr_queue_ptr 0
		.amdhsa_user_sgpr_kernarg_segment_ptr 1
		.amdhsa_user_sgpr_dispatch_id 0
		.amdhsa_user_sgpr_private_segment_size 0
		.amdhsa_wavefront_size32 1
		.amdhsa_uses_dynamic_stack 0
		.amdhsa_enable_private_segment 0
		.amdhsa_system_sgpr_workgroup_id_x 1
		.amdhsa_system_sgpr_workgroup_id_y 0
		.amdhsa_system_sgpr_workgroup_id_z 0
		.amdhsa_system_sgpr_workgroup_info 0
		.amdhsa_system_vgpr_workitem_id 0
		.amdhsa_next_free_vgpr 1
		.amdhsa_next_free_sgpr 1
		.amdhsa_reserve_vcc 0
		.amdhsa_float_round_mode_32 0
		.amdhsa_float_round_mode_16_64 0
		.amdhsa_float_denorm_mode_32 3
		.amdhsa_float_denorm_mode_16_64 3
		.amdhsa_fp16_overflow 0
		.amdhsa_workgroup_processor_mode 1
		.amdhsa_memory_ordered 1
		.amdhsa_forward_progress 1
		.amdhsa_inst_pref_size 0
		.amdhsa_round_robin_scheduling 0
		.amdhsa_exception_fp_ieee_invalid_op 0
		.amdhsa_exception_fp_denorm_src 0
		.amdhsa_exception_fp_ieee_div_zero 0
		.amdhsa_exception_fp_ieee_overflow 0
		.amdhsa_exception_fp_ieee_underflow 0
		.amdhsa_exception_fp_ieee_inexact 0
		.amdhsa_exception_int_div_zero 0
	.end_amdhsa_kernel
	.section	.text._ZN7rocprim17ROCPRIM_400000_NS6detail17trampoline_kernelINS0_14default_configENS1_25partition_config_selectorILNS1_17partition_subalgoE5ExNS0_10empty_typeEbEEZZNS1_14partition_implILS5_5ELb0ES3_mN6thrust23THRUST_200600_302600_NS6detail15normal_iteratorINSA_10device_ptrIxEEEEPS6_NSA_18transform_iteratorINSB_9not_fun_tI7is_trueIxEEENSC_INSD_IbEEEENSA_11use_defaultESO_EENS0_5tupleIJSF_S6_EEENSQ_IJSG_SG_EEES6_PlJS6_EEE10hipError_tPvRmT3_T4_T5_T6_T7_T9_mT8_P12ihipStream_tbDpT10_ENKUlT_T0_E_clISt17integral_constantIbLb1EES1C_IbLb0EEEEDaS18_S19_EUlS18_E_NS1_11comp_targetILNS1_3genE9ELNS1_11target_archE1100ELNS1_3gpuE3ELNS1_3repE0EEENS1_30default_config_static_selectorELNS0_4arch9wavefront6targetE0EEEvT1_,"axG",@progbits,_ZN7rocprim17ROCPRIM_400000_NS6detail17trampoline_kernelINS0_14default_configENS1_25partition_config_selectorILNS1_17partition_subalgoE5ExNS0_10empty_typeEbEEZZNS1_14partition_implILS5_5ELb0ES3_mN6thrust23THRUST_200600_302600_NS6detail15normal_iteratorINSA_10device_ptrIxEEEEPS6_NSA_18transform_iteratorINSB_9not_fun_tI7is_trueIxEEENSC_INSD_IbEEEENSA_11use_defaultESO_EENS0_5tupleIJSF_S6_EEENSQ_IJSG_SG_EEES6_PlJS6_EEE10hipError_tPvRmT3_T4_T5_T6_T7_T9_mT8_P12ihipStream_tbDpT10_ENKUlT_T0_E_clISt17integral_constantIbLb1EES1C_IbLb0EEEEDaS18_S19_EUlS18_E_NS1_11comp_targetILNS1_3genE9ELNS1_11target_archE1100ELNS1_3gpuE3ELNS1_3repE0EEENS1_30default_config_static_selectorELNS0_4arch9wavefront6targetE0EEEvT1_,comdat
.Lfunc_end2515:
	.size	_ZN7rocprim17ROCPRIM_400000_NS6detail17trampoline_kernelINS0_14default_configENS1_25partition_config_selectorILNS1_17partition_subalgoE5ExNS0_10empty_typeEbEEZZNS1_14partition_implILS5_5ELb0ES3_mN6thrust23THRUST_200600_302600_NS6detail15normal_iteratorINSA_10device_ptrIxEEEEPS6_NSA_18transform_iteratorINSB_9not_fun_tI7is_trueIxEEENSC_INSD_IbEEEENSA_11use_defaultESO_EENS0_5tupleIJSF_S6_EEENSQ_IJSG_SG_EEES6_PlJS6_EEE10hipError_tPvRmT3_T4_T5_T6_T7_T9_mT8_P12ihipStream_tbDpT10_ENKUlT_T0_E_clISt17integral_constantIbLb1EES1C_IbLb0EEEEDaS18_S19_EUlS18_E_NS1_11comp_targetILNS1_3genE9ELNS1_11target_archE1100ELNS1_3gpuE3ELNS1_3repE0EEENS1_30default_config_static_selectorELNS0_4arch9wavefront6targetE0EEEvT1_, .Lfunc_end2515-_ZN7rocprim17ROCPRIM_400000_NS6detail17trampoline_kernelINS0_14default_configENS1_25partition_config_selectorILNS1_17partition_subalgoE5ExNS0_10empty_typeEbEEZZNS1_14partition_implILS5_5ELb0ES3_mN6thrust23THRUST_200600_302600_NS6detail15normal_iteratorINSA_10device_ptrIxEEEEPS6_NSA_18transform_iteratorINSB_9not_fun_tI7is_trueIxEEENSC_INSD_IbEEEENSA_11use_defaultESO_EENS0_5tupleIJSF_S6_EEENSQ_IJSG_SG_EEES6_PlJS6_EEE10hipError_tPvRmT3_T4_T5_T6_T7_T9_mT8_P12ihipStream_tbDpT10_ENKUlT_T0_E_clISt17integral_constantIbLb1EES1C_IbLb0EEEEDaS18_S19_EUlS18_E_NS1_11comp_targetILNS1_3genE9ELNS1_11target_archE1100ELNS1_3gpuE3ELNS1_3repE0EEENS1_30default_config_static_selectorELNS0_4arch9wavefront6targetE0EEEvT1_
                                        ; -- End function
	.set _ZN7rocprim17ROCPRIM_400000_NS6detail17trampoline_kernelINS0_14default_configENS1_25partition_config_selectorILNS1_17partition_subalgoE5ExNS0_10empty_typeEbEEZZNS1_14partition_implILS5_5ELb0ES3_mN6thrust23THRUST_200600_302600_NS6detail15normal_iteratorINSA_10device_ptrIxEEEEPS6_NSA_18transform_iteratorINSB_9not_fun_tI7is_trueIxEEENSC_INSD_IbEEEENSA_11use_defaultESO_EENS0_5tupleIJSF_S6_EEENSQ_IJSG_SG_EEES6_PlJS6_EEE10hipError_tPvRmT3_T4_T5_T6_T7_T9_mT8_P12ihipStream_tbDpT10_ENKUlT_T0_E_clISt17integral_constantIbLb1EES1C_IbLb0EEEEDaS18_S19_EUlS18_E_NS1_11comp_targetILNS1_3genE9ELNS1_11target_archE1100ELNS1_3gpuE3ELNS1_3repE0EEENS1_30default_config_static_selectorELNS0_4arch9wavefront6targetE0EEEvT1_.num_vgpr, 0
	.set _ZN7rocprim17ROCPRIM_400000_NS6detail17trampoline_kernelINS0_14default_configENS1_25partition_config_selectorILNS1_17partition_subalgoE5ExNS0_10empty_typeEbEEZZNS1_14partition_implILS5_5ELb0ES3_mN6thrust23THRUST_200600_302600_NS6detail15normal_iteratorINSA_10device_ptrIxEEEEPS6_NSA_18transform_iteratorINSB_9not_fun_tI7is_trueIxEEENSC_INSD_IbEEEENSA_11use_defaultESO_EENS0_5tupleIJSF_S6_EEENSQ_IJSG_SG_EEES6_PlJS6_EEE10hipError_tPvRmT3_T4_T5_T6_T7_T9_mT8_P12ihipStream_tbDpT10_ENKUlT_T0_E_clISt17integral_constantIbLb1EES1C_IbLb0EEEEDaS18_S19_EUlS18_E_NS1_11comp_targetILNS1_3genE9ELNS1_11target_archE1100ELNS1_3gpuE3ELNS1_3repE0EEENS1_30default_config_static_selectorELNS0_4arch9wavefront6targetE0EEEvT1_.num_agpr, 0
	.set _ZN7rocprim17ROCPRIM_400000_NS6detail17trampoline_kernelINS0_14default_configENS1_25partition_config_selectorILNS1_17partition_subalgoE5ExNS0_10empty_typeEbEEZZNS1_14partition_implILS5_5ELb0ES3_mN6thrust23THRUST_200600_302600_NS6detail15normal_iteratorINSA_10device_ptrIxEEEEPS6_NSA_18transform_iteratorINSB_9not_fun_tI7is_trueIxEEENSC_INSD_IbEEEENSA_11use_defaultESO_EENS0_5tupleIJSF_S6_EEENSQ_IJSG_SG_EEES6_PlJS6_EEE10hipError_tPvRmT3_T4_T5_T6_T7_T9_mT8_P12ihipStream_tbDpT10_ENKUlT_T0_E_clISt17integral_constantIbLb1EES1C_IbLb0EEEEDaS18_S19_EUlS18_E_NS1_11comp_targetILNS1_3genE9ELNS1_11target_archE1100ELNS1_3gpuE3ELNS1_3repE0EEENS1_30default_config_static_selectorELNS0_4arch9wavefront6targetE0EEEvT1_.numbered_sgpr, 0
	.set _ZN7rocprim17ROCPRIM_400000_NS6detail17trampoline_kernelINS0_14default_configENS1_25partition_config_selectorILNS1_17partition_subalgoE5ExNS0_10empty_typeEbEEZZNS1_14partition_implILS5_5ELb0ES3_mN6thrust23THRUST_200600_302600_NS6detail15normal_iteratorINSA_10device_ptrIxEEEEPS6_NSA_18transform_iteratorINSB_9not_fun_tI7is_trueIxEEENSC_INSD_IbEEEENSA_11use_defaultESO_EENS0_5tupleIJSF_S6_EEENSQ_IJSG_SG_EEES6_PlJS6_EEE10hipError_tPvRmT3_T4_T5_T6_T7_T9_mT8_P12ihipStream_tbDpT10_ENKUlT_T0_E_clISt17integral_constantIbLb1EES1C_IbLb0EEEEDaS18_S19_EUlS18_E_NS1_11comp_targetILNS1_3genE9ELNS1_11target_archE1100ELNS1_3gpuE3ELNS1_3repE0EEENS1_30default_config_static_selectorELNS0_4arch9wavefront6targetE0EEEvT1_.num_named_barrier, 0
	.set _ZN7rocprim17ROCPRIM_400000_NS6detail17trampoline_kernelINS0_14default_configENS1_25partition_config_selectorILNS1_17partition_subalgoE5ExNS0_10empty_typeEbEEZZNS1_14partition_implILS5_5ELb0ES3_mN6thrust23THRUST_200600_302600_NS6detail15normal_iteratorINSA_10device_ptrIxEEEEPS6_NSA_18transform_iteratorINSB_9not_fun_tI7is_trueIxEEENSC_INSD_IbEEEENSA_11use_defaultESO_EENS0_5tupleIJSF_S6_EEENSQ_IJSG_SG_EEES6_PlJS6_EEE10hipError_tPvRmT3_T4_T5_T6_T7_T9_mT8_P12ihipStream_tbDpT10_ENKUlT_T0_E_clISt17integral_constantIbLb1EES1C_IbLb0EEEEDaS18_S19_EUlS18_E_NS1_11comp_targetILNS1_3genE9ELNS1_11target_archE1100ELNS1_3gpuE3ELNS1_3repE0EEENS1_30default_config_static_selectorELNS0_4arch9wavefront6targetE0EEEvT1_.private_seg_size, 0
	.set _ZN7rocprim17ROCPRIM_400000_NS6detail17trampoline_kernelINS0_14default_configENS1_25partition_config_selectorILNS1_17partition_subalgoE5ExNS0_10empty_typeEbEEZZNS1_14partition_implILS5_5ELb0ES3_mN6thrust23THRUST_200600_302600_NS6detail15normal_iteratorINSA_10device_ptrIxEEEEPS6_NSA_18transform_iteratorINSB_9not_fun_tI7is_trueIxEEENSC_INSD_IbEEEENSA_11use_defaultESO_EENS0_5tupleIJSF_S6_EEENSQ_IJSG_SG_EEES6_PlJS6_EEE10hipError_tPvRmT3_T4_T5_T6_T7_T9_mT8_P12ihipStream_tbDpT10_ENKUlT_T0_E_clISt17integral_constantIbLb1EES1C_IbLb0EEEEDaS18_S19_EUlS18_E_NS1_11comp_targetILNS1_3genE9ELNS1_11target_archE1100ELNS1_3gpuE3ELNS1_3repE0EEENS1_30default_config_static_selectorELNS0_4arch9wavefront6targetE0EEEvT1_.uses_vcc, 0
	.set _ZN7rocprim17ROCPRIM_400000_NS6detail17trampoline_kernelINS0_14default_configENS1_25partition_config_selectorILNS1_17partition_subalgoE5ExNS0_10empty_typeEbEEZZNS1_14partition_implILS5_5ELb0ES3_mN6thrust23THRUST_200600_302600_NS6detail15normal_iteratorINSA_10device_ptrIxEEEEPS6_NSA_18transform_iteratorINSB_9not_fun_tI7is_trueIxEEENSC_INSD_IbEEEENSA_11use_defaultESO_EENS0_5tupleIJSF_S6_EEENSQ_IJSG_SG_EEES6_PlJS6_EEE10hipError_tPvRmT3_T4_T5_T6_T7_T9_mT8_P12ihipStream_tbDpT10_ENKUlT_T0_E_clISt17integral_constantIbLb1EES1C_IbLb0EEEEDaS18_S19_EUlS18_E_NS1_11comp_targetILNS1_3genE9ELNS1_11target_archE1100ELNS1_3gpuE3ELNS1_3repE0EEENS1_30default_config_static_selectorELNS0_4arch9wavefront6targetE0EEEvT1_.uses_flat_scratch, 0
	.set _ZN7rocprim17ROCPRIM_400000_NS6detail17trampoline_kernelINS0_14default_configENS1_25partition_config_selectorILNS1_17partition_subalgoE5ExNS0_10empty_typeEbEEZZNS1_14partition_implILS5_5ELb0ES3_mN6thrust23THRUST_200600_302600_NS6detail15normal_iteratorINSA_10device_ptrIxEEEEPS6_NSA_18transform_iteratorINSB_9not_fun_tI7is_trueIxEEENSC_INSD_IbEEEENSA_11use_defaultESO_EENS0_5tupleIJSF_S6_EEENSQ_IJSG_SG_EEES6_PlJS6_EEE10hipError_tPvRmT3_T4_T5_T6_T7_T9_mT8_P12ihipStream_tbDpT10_ENKUlT_T0_E_clISt17integral_constantIbLb1EES1C_IbLb0EEEEDaS18_S19_EUlS18_E_NS1_11comp_targetILNS1_3genE9ELNS1_11target_archE1100ELNS1_3gpuE3ELNS1_3repE0EEENS1_30default_config_static_selectorELNS0_4arch9wavefront6targetE0EEEvT1_.has_dyn_sized_stack, 0
	.set _ZN7rocprim17ROCPRIM_400000_NS6detail17trampoline_kernelINS0_14default_configENS1_25partition_config_selectorILNS1_17partition_subalgoE5ExNS0_10empty_typeEbEEZZNS1_14partition_implILS5_5ELb0ES3_mN6thrust23THRUST_200600_302600_NS6detail15normal_iteratorINSA_10device_ptrIxEEEEPS6_NSA_18transform_iteratorINSB_9not_fun_tI7is_trueIxEEENSC_INSD_IbEEEENSA_11use_defaultESO_EENS0_5tupleIJSF_S6_EEENSQ_IJSG_SG_EEES6_PlJS6_EEE10hipError_tPvRmT3_T4_T5_T6_T7_T9_mT8_P12ihipStream_tbDpT10_ENKUlT_T0_E_clISt17integral_constantIbLb1EES1C_IbLb0EEEEDaS18_S19_EUlS18_E_NS1_11comp_targetILNS1_3genE9ELNS1_11target_archE1100ELNS1_3gpuE3ELNS1_3repE0EEENS1_30default_config_static_selectorELNS0_4arch9wavefront6targetE0EEEvT1_.has_recursion, 0
	.set _ZN7rocprim17ROCPRIM_400000_NS6detail17trampoline_kernelINS0_14default_configENS1_25partition_config_selectorILNS1_17partition_subalgoE5ExNS0_10empty_typeEbEEZZNS1_14partition_implILS5_5ELb0ES3_mN6thrust23THRUST_200600_302600_NS6detail15normal_iteratorINSA_10device_ptrIxEEEEPS6_NSA_18transform_iteratorINSB_9not_fun_tI7is_trueIxEEENSC_INSD_IbEEEENSA_11use_defaultESO_EENS0_5tupleIJSF_S6_EEENSQ_IJSG_SG_EEES6_PlJS6_EEE10hipError_tPvRmT3_T4_T5_T6_T7_T9_mT8_P12ihipStream_tbDpT10_ENKUlT_T0_E_clISt17integral_constantIbLb1EES1C_IbLb0EEEEDaS18_S19_EUlS18_E_NS1_11comp_targetILNS1_3genE9ELNS1_11target_archE1100ELNS1_3gpuE3ELNS1_3repE0EEENS1_30default_config_static_selectorELNS0_4arch9wavefront6targetE0EEEvT1_.has_indirect_call, 0
	.section	.AMDGPU.csdata,"",@progbits
; Kernel info:
; codeLenInByte = 0
; TotalNumSgprs: 0
; NumVgprs: 0
; ScratchSize: 0
; MemoryBound: 0
; FloatMode: 240
; IeeeMode: 1
; LDSByteSize: 0 bytes/workgroup (compile time only)
; SGPRBlocks: 0
; VGPRBlocks: 0
; NumSGPRsForWavesPerEU: 1
; NumVGPRsForWavesPerEU: 1
; Occupancy: 16
; WaveLimiterHint : 0
; COMPUTE_PGM_RSRC2:SCRATCH_EN: 0
; COMPUTE_PGM_RSRC2:USER_SGPR: 2
; COMPUTE_PGM_RSRC2:TRAP_HANDLER: 0
; COMPUTE_PGM_RSRC2:TGID_X_EN: 1
; COMPUTE_PGM_RSRC2:TGID_Y_EN: 0
; COMPUTE_PGM_RSRC2:TGID_Z_EN: 0
; COMPUTE_PGM_RSRC2:TIDIG_COMP_CNT: 0
	.section	.text._ZN7rocprim17ROCPRIM_400000_NS6detail17trampoline_kernelINS0_14default_configENS1_25partition_config_selectorILNS1_17partition_subalgoE5ExNS0_10empty_typeEbEEZZNS1_14partition_implILS5_5ELb0ES3_mN6thrust23THRUST_200600_302600_NS6detail15normal_iteratorINSA_10device_ptrIxEEEEPS6_NSA_18transform_iteratorINSB_9not_fun_tI7is_trueIxEEENSC_INSD_IbEEEENSA_11use_defaultESO_EENS0_5tupleIJSF_S6_EEENSQ_IJSG_SG_EEES6_PlJS6_EEE10hipError_tPvRmT3_T4_T5_T6_T7_T9_mT8_P12ihipStream_tbDpT10_ENKUlT_T0_E_clISt17integral_constantIbLb1EES1C_IbLb0EEEEDaS18_S19_EUlS18_E_NS1_11comp_targetILNS1_3genE8ELNS1_11target_archE1030ELNS1_3gpuE2ELNS1_3repE0EEENS1_30default_config_static_selectorELNS0_4arch9wavefront6targetE0EEEvT1_,"axG",@progbits,_ZN7rocprim17ROCPRIM_400000_NS6detail17trampoline_kernelINS0_14default_configENS1_25partition_config_selectorILNS1_17partition_subalgoE5ExNS0_10empty_typeEbEEZZNS1_14partition_implILS5_5ELb0ES3_mN6thrust23THRUST_200600_302600_NS6detail15normal_iteratorINSA_10device_ptrIxEEEEPS6_NSA_18transform_iteratorINSB_9not_fun_tI7is_trueIxEEENSC_INSD_IbEEEENSA_11use_defaultESO_EENS0_5tupleIJSF_S6_EEENSQ_IJSG_SG_EEES6_PlJS6_EEE10hipError_tPvRmT3_T4_T5_T6_T7_T9_mT8_P12ihipStream_tbDpT10_ENKUlT_T0_E_clISt17integral_constantIbLb1EES1C_IbLb0EEEEDaS18_S19_EUlS18_E_NS1_11comp_targetILNS1_3genE8ELNS1_11target_archE1030ELNS1_3gpuE2ELNS1_3repE0EEENS1_30default_config_static_selectorELNS0_4arch9wavefront6targetE0EEEvT1_,comdat
	.protected	_ZN7rocprim17ROCPRIM_400000_NS6detail17trampoline_kernelINS0_14default_configENS1_25partition_config_selectorILNS1_17partition_subalgoE5ExNS0_10empty_typeEbEEZZNS1_14partition_implILS5_5ELb0ES3_mN6thrust23THRUST_200600_302600_NS6detail15normal_iteratorINSA_10device_ptrIxEEEEPS6_NSA_18transform_iteratorINSB_9not_fun_tI7is_trueIxEEENSC_INSD_IbEEEENSA_11use_defaultESO_EENS0_5tupleIJSF_S6_EEENSQ_IJSG_SG_EEES6_PlJS6_EEE10hipError_tPvRmT3_T4_T5_T6_T7_T9_mT8_P12ihipStream_tbDpT10_ENKUlT_T0_E_clISt17integral_constantIbLb1EES1C_IbLb0EEEEDaS18_S19_EUlS18_E_NS1_11comp_targetILNS1_3genE8ELNS1_11target_archE1030ELNS1_3gpuE2ELNS1_3repE0EEENS1_30default_config_static_selectorELNS0_4arch9wavefront6targetE0EEEvT1_ ; -- Begin function _ZN7rocprim17ROCPRIM_400000_NS6detail17trampoline_kernelINS0_14default_configENS1_25partition_config_selectorILNS1_17partition_subalgoE5ExNS0_10empty_typeEbEEZZNS1_14partition_implILS5_5ELb0ES3_mN6thrust23THRUST_200600_302600_NS6detail15normal_iteratorINSA_10device_ptrIxEEEEPS6_NSA_18transform_iteratorINSB_9not_fun_tI7is_trueIxEEENSC_INSD_IbEEEENSA_11use_defaultESO_EENS0_5tupleIJSF_S6_EEENSQ_IJSG_SG_EEES6_PlJS6_EEE10hipError_tPvRmT3_T4_T5_T6_T7_T9_mT8_P12ihipStream_tbDpT10_ENKUlT_T0_E_clISt17integral_constantIbLb1EES1C_IbLb0EEEEDaS18_S19_EUlS18_E_NS1_11comp_targetILNS1_3genE8ELNS1_11target_archE1030ELNS1_3gpuE2ELNS1_3repE0EEENS1_30default_config_static_selectorELNS0_4arch9wavefront6targetE0EEEvT1_
	.globl	_ZN7rocprim17ROCPRIM_400000_NS6detail17trampoline_kernelINS0_14default_configENS1_25partition_config_selectorILNS1_17partition_subalgoE5ExNS0_10empty_typeEbEEZZNS1_14partition_implILS5_5ELb0ES3_mN6thrust23THRUST_200600_302600_NS6detail15normal_iteratorINSA_10device_ptrIxEEEEPS6_NSA_18transform_iteratorINSB_9not_fun_tI7is_trueIxEEENSC_INSD_IbEEEENSA_11use_defaultESO_EENS0_5tupleIJSF_S6_EEENSQ_IJSG_SG_EEES6_PlJS6_EEE10hipError_tPvRmT3_T4_T5_T6_T7_T9_mT8_P12ihipStream_tbDpT10_ENKUlT_T0_E_clISt17integral_constantIbLb1EES1C_IbLb0EEEEDaS18_S19_EUlS18_E_NS1_11comp_targetILNS1_3genE8ELNS1_11target_archE1030ELNS1_3gpuE2ELNS1_3repE0EEENS1_30default_config_static_selectorELNS0_4arch9wavefront6targetE0EEEvT1_
	.p2align	8
	.type	_ZN7rocprim17ROCPRIM_400000_NS6detail17trampoline_kernelINS0_14default_configENS1_25partition_config_selectorILNS1_17partition_subalgoE5ExNS0_10empty_typeEbEEZZNS1_14partition_implILS5_5ELb0ES3_mN6thrust23THRUST_200600_302600_NS6detail15normal_iteratorINSA_10device_ptrIxEEEEPS6_NSA_18transform_iteratorINSB_9not_fun_tI7is_trueIxEEENSC_INSD_IbEEEENSA_11use_defaultESO_EENS0_5tupleIJSF_S6_EEENSQ_IJSG_SG_EEES6_PlJS6_EEE10hipError_tPvRmT3_T4_T5_T6_T7_T9_mT8_P12ihipStream_tbDpT10_ENKUlT_T0_E_clISt17integral_constantIbLb1EES1C_IbLb0EEEEDaS18_S19_EUlS18_E_NS1_11comp_targetILNS1_3genE8ELNS1_11target_archE1030ELNS1_3gpuE2ELNS1_3repE0EEENS1_30default_config_static_selectorELNS0_4arch9wavefront6targetE0EEEvT1_,@function
_ZN7rocprim17ROCPRIM_400000_NS6detail17trampoline_kernelINS0_14default_configENS1_25partition_config_selectorILNS1_17partition_subalgoE5ExNS0_10empty_typeEbEEZZNS1_14partition_implILS5_5ELb0ES3_mN6thrust23THRUST_200600_302600_NS6detail15normal_iteratorINSA_10device_ptrIxEEEEPS6_NSA_18transform_iteratorINSB_9not_fun_tI7is_trueIxEEENSC_INSD_IbEEEENSA_11use_defaultESO_EENS0_5tupleIJSF_S6_EEENSQ_IJSG_SG_EEES6_PlJS6_EEE10hipError_tPvRmT3_T4_T5_T6_T7_T9_mT8_P12ihipStream_tbDpT10_ENKUlT_T0_E_clISt17integral_constantIbLb1EES1C_IbLb0EEEEDaS18_S19_EUlS18_E_NS1_11comp_targetILNS1_3genE8ELNS1_11target_archE1030ELNS1_3gpuE2ELNS1_3repE0EEENS1_30default_config_static_selectorELNS0_4arch9wavefront6targetE0EEEvT1_: ; @_ZN7rocprim17ROCPRIM_400000_NS6detail17trampoline_kernelINS0_14default_configENS1_25partition_config_selectorILNS1_17partition_subalgoE5ExNS0_10empty_typeEbEEZZNS1_14partition_implILS5_5ELb0ES3_mN6thrust23THRUST_200600_302600_NS6detail15normal_iteratorINSA_10device_ptrIxEEEEPS6_NSA_18transform_iteratorINSB_9not_fun_tI7is_trueIxEEENSC_INSD_IbEEEENSA_11use_defaultESO_EENS0_5tupleIJSF_S6_EEENSQ_IJSG_SG_EEES6_PlJS6_EEE10hipError_tPvRmT3_T4_T5_T6_T7_T9_mT8_P12ihipStream_tbDpT10_ENKUlT_T0_E_clISt17integral_constantIbLb1EES1C_IbLb0EEEEDaS18_S19_EUlS18_E_NS1_11comp_targetILNS1_3genE8ELNS1_11target_archE1030ELNS1_3gpuE2ELNS1_3repE0EEENS1_30default_config_static_selectorELNS0_4arch9wavefront6targetE0EEEvT1_
; %bb.0:
	.section	.rodata,"a",@progbits
	.p2align	6, 0x0
	.amdhsa_kernel _ZN7rocprim17ROCPRIM_400000_NS6detail17trampoline_kernelINS0_14default_configENS1_25partition_config_selectorILNS1_17partition_subalgoE5ExNS0_10empty_typeEbEEZZNS1_14partition_implILS5_5ELb0ES3_mN6thrust23THRUST_200600_302600_NS6detail15normal_iteratorINSA_10device_ptrIxEEEEPS6_NSA_18transform_iteratorINSB_9not_fun_tI7is_trueIxEEENSC_INSD_IbEEEENSA_11use_defaultESO_EENS0_5tupleIJSF_S6_EEENSQ_IJSG_SG_EEES6_PlJS6_EEE10hipError_tPvRmT3_T4_T5_T6_T7_T9_mT8_P12ihipStream_tbDpT10_ENKUlT_T0_E_clISt17integral_constantIbLb1EES1C_IbLb0EEEEDaS18_S19_EUlS18_E_NS1_11comp_targetILNS1_3genE8ELNS1_11target_archE1030ELNS1_3gpuE2ELNS1_3repE0EEENS1_30default_config_static_selectorELNS0_4arch9wavefront6targetE0EEEvT1_
		.amdhsa_group_segment_fixed_size 0
		.amdhsa_private_segment_fixed_size 0
		.amdhsa_kernarg_size 120
		.amdhsa_user_sgpr_count 2
		.amdhsa_user_sgpr_dispatch_ptr 0
		.amdhsa_user_sgpr_queue_ptr 0
		.amdhsa_user_sgpr_kernarg_segment_ptr 1
		.amdhsa_user_sgpr_dispatch_id 0
		.amdhsa_user_sgpr_private_segment_size 0
		.amdhsa_wavefront_size32 1
		.amdhsa_uses_dynamic_stack 0
		.amdhsa_enable_private_segment 0
		.amdhsa_system_sgpr_workgroup_id_x 1
		.amdhsa_system_sgpr_workgroup_id_y 0
		.amdhsa_system_sgpr_workgroup_id_z 0
		.amdhsa_system_sgpr_workgroup_info 0
		.amdhsa_system_vgpr_workitem_id 0
		.amdhsa_next_free_vgpr 1
		.amdhsa_next_free_sgpr 1
		.amdhsa_reserve_vcc 0
		.amdhsa_float_round_mode_32 0
		.amdhsa_float_round_mode_16_64 0
		.amdhsa_float_denorm_mode_32 3
		.amdhsa_float_denorm_mode_16_64 3
		.amdhsa_fp16_overflow 0
		.amdhsa_workgroup_processor_mode 1
		.amdhsa_memory_ordered 1
		.amdhsa_forward_progress 1
		.amdhsa_inst_pref_size 0
		.amdhsa_round_robin_scheduling 0
		.amdhsa_exception_fp_ieee_invalid_op 0
		.amdhsa_exception_fp_denorm_src 0
		.amdhsa_exception_fp_ieee_div_zero 0
		.amdhsa_exception_fp_ieee_overflow 0
		.amdhsa_exception_fp_ieee_underflow 0
		.amdhsa_exception_fp_ieee_inexact 0
		.amdhsa_exception_int_div_zero 0
	.end_amdhsa_kernel
	.section	.text._ZN7rocprim17ROCPRIM_400000_NS6detail17trampoline_kernelINS0_14default_configENS1_25partition_config_selectorILNS1_17partition_subalgoE5ExNS0_10empty_typeEbEEZZNS1_14partition_implILS5_5ELb0ES3_mN6thrust23THRUST_200600_302600_NS6detail15normal_iteratorINSA_10device_ptrIxEEEEPS6_NSA_18transform_iteratorINSB_9not_fun_tI7is_trueIxEEENSC_INSD_IbEEEENSA_11use_defaultESO_EENS0_5tupleIJSF_S6_EEENSQ_IJSG_SG_EEES6_PlJS6_EEE10hipError_tPvRmT3_T4_T5_T6_T7_T9_mT8_P12ihipStream_tbDpT10_ENKUlT_T0_E_clISt17integral_constantIbLb1EES1C_IbLb0EEEEDaS18_S19_EUlS18_E_NS1_11comp_targetILNS1_3genE8ELNS1_11target_archE1030ELNS1_3gpuE2ELNS1_3repE0EEENS1_30default_config_static_selectorELNS0_4arch9wavefront6targetE0EEEvT1_,"axG",@progbits,_ZN7rocprim17ROCPRIM_400000_NS6detail17trampoline_kernelINS0_14default_configENS1_25partition_config_selectorILNS1_17partition_subalgoE5ExNS0_10empty_typeEbEEZZNS1_14partition_implILS5_5ELb0ES3_mN6thrust23THRUST_200600_302600_NS6detail15normal_iteratorINSA_10device_ptrIxEEEEPS6_NSA_18transform_iteratorINSB_9not_fun_tI7is_trueIxEEENSC_INSD_IbEEEENSA_11use_defaultESO_EENS0_5tupleIJSF_S6_EEENSQ_IJSG_SG_EEES6_PlJS6_EEE10hipError_tPvRmT3_T4_T5_T6_T7_T9_mT8_P12ihipStream_tbDpT10_ENKUlT_T0_E_clISt17integral_constantIbLb1EES1C_IbLb0EEEEDaS18_S19_EUlS18_E_NS1_11comp_targetILNS1_3genE8ELNS1_11target_archE1030ELNS1_3gpuE2ELNS1_3repE0EEENS1_30default_config_static_selectorELNS0_4arch9wavefront6targetE0EEEvT1_,comdat
.Lfunc_end2516:
	.size	_ZN7rocprim17ROCPRIM_400000_NS6detail17trampoline_kernelINS0_14default_configENS1_25partition_config_selectorILNS1_17partition_subalgoE5ExNS0_10empty_typeEbEEZZNS1_14partition_implILS5_5ELb0ES3_mN6thrust23THRUST_200600_302600_NS6detail15normal_iteratorINSA_10device_ptrIxEEEEPS6_NSA_18transform_iteratorINSB_9not_fun_tI7is_trueIxEEENSC_INSD_IbEEEENSA_11use_defaultESO_EENS0_5tupleIJSF_S6_EEENSQ_IJSG_SG_EEES6_PlJS6_EEE10hipError_tPvRmT3_T4_T5_T6_T7_T9_mT8_P12ihipStream_tbDpT10_ENKUlT_T0_E_clISt17integral_constantIbLb1EES1C_IbLb0EEEEDaS18_S19_EUlS18_E_NS1_11comp_targetILNS1_3genE8ELNS1_11target_archE1030ELNS1_3gpuE2ELNS1_3repE0EEENS1_30default_config_static_selectorELNS0_4arch9wavefront6targetE0EEEvT1_, .Lfunc_end2516-_ZN7rocprim17ROCPRIM_400000_NS6detail17trampoline_kernelINS0_14default_configENS1_25partition_config_selectorILNS1_17partition_subalgoE5ExNS0_10empty_typeEbEEZZNS1_14partition_implILS5_5ELb0ES3_mN6thrust23THRUST_200600_302600_NS6detail15normal_iteratorINSA_10device_ptrIxEEEEPS6_NSA_18transform_iteratorINSB_9not_fun_tI7is_trueIxEEENSC_INSD_IbEEEENSA_11use_defaultESO_EENS0_5tupleIJSF_S6_EEENSQ_IJSG_SG_EEES6_PlJS6_EEE10hipError_tPvRmT3_T4_T5_T6_T7_T9_mT8_P12ihipStream_tbDpT10_ENKUlT_T0_E_clISt17integral_constantIbLb1EES1C_IbLb0EEEEDaS18_S19_EUlS18_E_NS1_11comp_targetILNS1_3genE8ELNS1_11target_archE1030ELNS1_3gpuE2ELNS1_3repE0EEENS1_30default_config_static_selectorELNS0_4arch9wavefront6targetE0EEEvT1_
                                        ; -- End function
	.set _ZN7rocprim17ROCPRIM_400000_NS6detail17trampoline_kernelINS0_14default_configENS1_25partition_config_selectorILNS1_17partition_subalgoE5ExNS0_10empty_typeEbEEZZNS1_14partition_implILS5_5ELb0ES3_mN6thrust23THRUST_200600_302600_NS6detail15normal_iteratorINSA_10device_ptrIxEEEEPS6_NSA_18transform_iteratorINSB_9not_fun_tI7is_trueIxEEENSC_INSD_IbEEEENSA_11use_defaultESO_EENS0_5tupleIJSF_S6_EEENSQ_IJSG_SG_EEES6_PlJS6_EEE10hipError_tPvRmT3_T4_T5_T6_T7_T9_mT8_P12ihipStream_tbDpT10_ENKUlT_T0_E_clISt17integral_constantIbLb1EES1C_IbLb0EEEEDaS18_S19_EUlS18_E_NS1_11comp_targetILNS1_3genE8ELNS1_11target_archE1030ELNS1_3gpuE2ELNS1_3repE0EEENS1_30default_config_static_selectorELNS0_4arch9wavefront6targetE0EEEvT1_.num_vgpr, 0
	.set _ZN7rocprim17ROCPRIM_400000_NS6detail17trampoline_kernelINS0_14default_configENS1_25partition_config_selectorILNS1_17partition_subalgoE5ExNS0_10empty_typeEbEEZZNS1_14partition_implILS5_5ELb0ES3_mN6thrust23THRUST_200600_302600_NS6detail15normal_iteratorINSA_10device_ptrIxEEEEPS6_NSA_18transform_iteratorINSB_9not_fun_tI7is_trueIxEEENSC_INSD_IbEEEENSA_11use_defaultESO_EENS0_5tupleIJSF_S6_EEENSQ_IJSG_SG_EEES6_PlJS6_EEE10hipError_tPvRmT3_T4_T5_T6_T7_T9_mT8_P12ihipStream_tbDpT10_ENKUlT_T0_E_clISt17integral_constantIbLb1EES1C_IbLb0EEEEDaS18_S19_EUlS18_E_NS1_11comp_targetILNS1_3genE8ELNS1_11target_archE1030ELNS1_3gpuE2ELNS1_3repE0EEENS1_30default_config_static_selectorELNS0_4arch9wavefront6targetE0EEEvT1_.num_agpr, 0
	.set _ZN7rocprim17ROCPRIM_400000_NS6detail17trampoline_kernelINS0_14default_configENS1_25partition_config_selectorILNS1_17partition_subalgoE5ExNS0_10empty_typeEbEEZZNS1_14partition_implILS5_5ELb0ES3_mN6thrust23THRUST_200600_302600_NS6detail15normal_iteratorINSA_10device_ptrIxEEEEPS6_NSA_18transform_iteratorINSB_9not_fun_tI7is_trueIxEEENSC_INSD_IbEEEENSA_11use_defaultESO_EENS0_5tupleIJSF_S6_EEENSQ_IJSG_SG_EEES6_PlJS6_EEE10hipError_tPvRmT3_T4_T5_T6_T7_T9_mT8_P12ihipStream_tbDpT10_ENKUlT_T0_E_clISt17integral_constantIbLb1EES1C_IbLb0EEEEDaS18_S19_EUlS18_E_NS1_11comp_targetILNS1_3genE8ELNS1_11target_archE1030ELNS1_3gpuE2ELNS1_3repE0EEENS1_30default_config_static_selectorELNS0_4arch9wavefront6targetE0EEEvT1_.numbered_sgpr, 0
	.set _ZN7rocprim17ROCPRIM_400000_NS6detail17trampoline_kernelINS0_14default_configENS1_25partition_config_selectorILNS1_17partition_subalgoE5ExNS0_10empty_typeEbEEZZNS1_14partition_implILS5_5ELb0ES3_mN6thrust23THRUST_200600_302600_NS6detail15normal_iteratorINSA_10device_ptrIxEEEEPS6_NSA_18transform_iteratorINSB_9not_fun_tI7is_trueIxEEENSC_INSD_IbEEEENSA_11use_defaultESO_EENS0_5tupleIJSF_S6_EEENSQ_IJSG_SG_EEES6_PlJS6_EEE10hipError_tPvRmT3_T4_T5_T6_T7_T9_mT8_P12ihipStream_tbDpT10_ENKUlT_T0_E_clISt17integral_constantIbLb1EES1C_IbLb0EEEEDaS18_S19_EUlS18_E_NS1_11comp_targetILNS1_3genE8ELNS1_11target_archE1030ELNS1_3gpuE2ELNS1_3repE0EEENS1_30default_config_static_selectorELNS0_4arch9wavefront6targetE0EEEvT1_.num_named_barrier, 0
	.set _ZN7rocprim17ROCPRIM_400000_NS6detail17trampoline_kernelINS0_14default_configENS1_25partition_config_selectorILNS1_17partition_subalgoE5ExNS0_10empty_typeEbEEZZNS1_14partition_implILS5_5ELb0ES3_mN6thrust23THRUST_200600_302600_NS6detail15normal_iteratorINSA_10device_ptrIxEEEEPS6_NSA_18transform_iteratorINSB_9not_fun_tI7is_trueIxEEENSC_INSD_IbEEEENSA_11use_defaultESO_EENS0_5tupleIJSF_S6_EEENSQ_IJSG_SG_EEES6_PlJS6_EEE10hipError_tPvRmT3_T4_T5_T6_T7_T9_mT8_P12ihipStream_tbDpT10_ENKUlT_T0_E_clISt17integral_constantIbLb1EES1C_IbLb0EEEEDaS18_S19_EUlS18_E_NS1_11comp_targetILNS1_3genE8ELNS1_11target_archE1030ELNS1_3gpuE2ELNS1_3repE0EEENS1_30default_config_static_selectorELNS0_4arch9wavefront6targetE0EEEvT1_.private_seg_size, 0
	.set _ZN7rocprim17ROCPRIM_400000_NS6detail17trampoline_kernelINS0_14default_configENS1_25partition_config_selectorILNS1_17partition_subalgoE5ExNS0_10empty_typeEbEEZZNS1_14partition_implILS5_5ELb0ES3_mN6thrust23THRUST_200600_302600_NS6detail15normal_iteratorINSA_10device_ptrIxEEEEPS6_NSA_18transform_iteratorINSB_9not_fun_tI7is_trueIxEEENSC_INSD_IbEEEENSA_11use_defaultESO_EENS0_5tupleIJSF_S6_EEENSQ_IJSG_SG_EEES6_PlJS6_EEE10hipError_tPvRmT3_T4_T5_T6_T7_T9_mT8_P12ihipStream_tbDpT10_ENKUlT_T0_E_clISt17integral_constantIbLb1EES1C_IbLb0EEEEDaS18_S19_EUlS18_E_NS1_11comp_targetILNS1_3genE8ELNS1_11target_archE1030ELNS1_3gpuE2ELNS1_3repE0EEENS1_30default_config_static_selectorELNS0_4arch9wavefront6targetE0EEEvT1_.uses_vcc, 0
	.set _ZN7rocprim17ROCPRIM_400000_NS6detail17trampoline_kernelINS0_14default_configENS1_25partition_config_selectorILNS1_17partition_subalgoE5ExNS0_10empty_typeEbEEZZNS1_14partition_implILS5_5ELb0ES3_mN6thrust23THRUST_200600_302600_NS6detail15normal_iteratorINSA_10device_ptrIxEEEEPS6_NSA_18transform_iteratorINSB_9not_fun_tI7is_trueIxEEENSC_INSD_IbEEEENSA_11use_defaultESO_EENS0_5tupleIJSF_S6_EEENSQ_IJSG_SG_EEES6_PlJS6_EEE10hipError_tPvRmT3_T4_T5_T6_T7_T9_mT8_P12ihipStream_tbDpT10_ENKUlT_T0_E_clISt17integral_constantIbLb1EES1C_IbLb0EEEEDaS18_S19_EUlS18_E_NS1_11comp_targetILNS1_3genE8ELNS1_11target_archE1030ELNS1_3gpuE2ELNS1_3repE0EEENS1_30default_config_static_selectorELNS0_4arch9wavefront6targetE0EEEvT1_.uses_flat_scratch, 0
	.set _ZN7rocprim17ROCPRIM_400000_NS6detail17trampoline_kernelINS0_14default_configENS1_25partition_config_selectorILNS1_17partition_subalgoE5ExNS0_10empty_typeEbEEZZNS1_14partition_implILS5_5ELb0ES3_mN6thrust23THRUST_200600_302600_NS6detail15normal_iteratorINSA_10device_ptrIxEEEEPS6_NSA_18transform_iteratorINSB_9not_fun_tI7is_trueIxEEENSC_INSD_IbEEEENSA_11use_defaultESO_EENS0_5tupleIJSF_S6_EEENSQ_IJSG_SG_EEES6_PlJS6_EEE10hipError_tPvRmT3_T4_T5_T6_T7_T9_mT8_P12ihipStream_tbDpT10_ENKUlT_T0_E_clISt17integral_constantIbLb1EES1C_IbLb0EEEEDaS18_S19_EUlS18_E_NS1_11comp_targetILNS1_3genE8ELNS1_11target_archE1030ELNS1_3gpuE2ELNS1_3repE0EEENS1_30default_config_static_selectorELNS0_4arch9wavefront6targetE0EEEvT1_.has_dyn_sized_stack, 0
	.set _ZN7rocprim17ROCPRIM_400000_NS6detail17trampoline_kernelINS0_14default_configENS1_25partition_config_selectorILNS1_17partition_subalgoE5ExNS0_10empty_typeEbEEZZNS1_14partition_implILS5_5ELb0ES3_mN6thrust23THRUST_200600_302600_NS6detail15normal_iteratorINSA_10device_ptrIxEEEEPS6_NSA_18transform_iteratorINSB_9not_fun_tI7is_trueIxEEENSC_INSD_IbEEEENSA_11use_defaultESO_EENS0_5tupleIJSF_S6_EEENSQ_IJSG_SG_EEES6_PlJS6_EEE10hipError_tPvRmT3_T4_T5_T6_T7_T9_mT8_P12ihipStream_tbDpT10_ENKUlT_T0_E_clISt17integral_constantIbLb1EES1C_IbLb0EEEEDaS18_S19_EUlS18_E_NS1_11comp_targetILNS1_3genE8ELNS1_11target_archE1030ELNS1_3gpuE2ELNS1_3repE0EEENS1_30default_config_static_selectorELNS0_4arch9wavefront6targetE0EEEvT1_.has_recursion, 0
	.set _ZN7rocprim17ROCPRIM_400000_NS6detail17trampoline_kernelINS0_14default_configENS1_25partition_config_selectorILNS1_17partition_subalgoE5ExNS0_10empty_typeEbEEZZNS1_14partition_implILS5_5ELb0ES3_mN6thrust23THRUST_200600_302600_NS6detail15normal_iteratorINSA_10device_ptrIxEEEEPS6_NSA_18transform_iteratorINSB_9not_fun_tI7is_trueIxEEENSC_INSD_IbEEEENSA_11use_defaultESO_EENS0_5tupleIJSF_S6_EEENSQ_IJSG_SG_EEES6_PlJS6_EEE10hipError_tPvRmT3_T4_T5_T6_T7_T9_mT8_P12ihipStream_tbDpT10_ENKUlT_T0_E_clISt17integral_constantIbLb1EES1C_IbLb0EEEEDaS18_S19_EUlS18_E_NS1_11comp_targetILNS1_3genE8ELNS1_11target_archE1030ELNS1_3gpuE2ELNS1_3repE0EEENS1_30default_config_static_selectorELNS0_4arch9wavefront6targetE0EEEvT1_.has_indirect_call, 0
	.section	.AMDGPU.csdata,"",@progbits
; Kernel info:
; codeLenInByte = 0
; TotalNumSgprs: 0
; NumVgprs: 0
; ScratchSize: 0
; MemoryBound: 0
; FloatMode: 240
; IeeeMode: 1
; LDSByteSize: 0 bytes/workgroup (compile time only)
; SGPRBlocks: 0
; VGPRBlocks: 0
; NumSGPRsForWavesPerEU: 1
; NumVGPRsForWavesPerEU: 1
; Occupancy: 16
; WaveLimiterHint : 0
; COMPUTE_PGM_RSRC2:SCRATCH_EN: 0
; COMPUTE_PGM_RSRC2:USER_SGPR: 2
; COMPUTE_PGM_RSRC2:TRAP_HANDLER: 0
; COMPUTE_PGM_RSRC2:TGID_X_EN: 1
; COMPUTE_PGM_RSRC2:TGID_Y_EN: 0
; COMPUTE_PGM_RSRC2:TGID_Z_EN: 0
; COMPUTE_PGM_RSRC2:TIDIG_COMP_CNT: 0
	.section	.text._ZN7rocprim17ROCPRIM_400000_NS6detail17trampoline_kernelINS0_14default_configENS1_25partition_config_selectorILNS1_17partition_subalgoE5ExNS0_10empty_typeEbEEZZNS1_14partition_implILS5_5ELb0ES3_mN6thrust23THRUST_200600_302600_NS6detail15normal_iteratorINSA_10device_ptrIxEEEEPS6_NSA_18transform_iteratorINSB_9not_fun_tI7is_trueIxEEENSC_INSD_IbEEEENSA_11use_defaultESO_EENS0_5tupleIJSF_S6_EEENSQ_IJSG_SG_EEES6_PlJS6_EEE10hipError_tPvRmT3_T4_T5_T6_T7_T9_mT8_P12ihipStream_tbDpT10_ENKUlT_T0_E_clISt17integral_constantIbLb0EES1C_IbLb1EEEEDaS18_S19_EUlS18_E_NS1_11comp_targetILNS1_3genE0ELNS1_11target_archE4294967295ELNS1_3gpuE0ELNS1_3repE0EEENS1_30default_config_static_selectorELNS0_4arch9wavefront6targetE0EEEvT1_,"axG",@progbits,_ZN7rocprim17ROCPRIM_400000_NS6detail17trampoline_kernelINS0_14default_configENS1_25partition_config_selectorILNS1_17partition_subalgoE5ExNS0_10empty_typeEbEEZZNS1_14partition_implILS5_5ELb0ES3_mN6thrust23THRUST_200600_302600_NS6detail15normal_iteratorINSA_10device_ptrIxEEEEPS6_NSA_18transform_iteratorINSB_9not_fun_tI7is_trueIxEEENSC_INSD_IbEEEENSA_11use_defaultESO_EENS0_5tupleIJSF_S6_EEENSQ_IJSG_SG_EEES6_PlJS6_EEE10hipError_tPvRmT3_T4_T5_T6_T7_T9_mT8_P12ihipStream_tbDpT10_ENKUlT_T0_E_clISt17integral_constantIbLb0EES1C_IbLb1EEEEDaS18_S19_EUlS18_E_NS1_11comp_targetILNS1_3genE0ELNS1_11target_archE4294967295ELNS1_3gpuE0ELNS1_3repE0EEENS1_30default_config_static_selectorELNS0_4arch9wavefront6targetE0EEEvT1_,comdat
	.protected	_ZN7rocprim17ROCPRIM_400000_NS6detail17trampoline_kernelINS0_14default_configENS1_25partition_config_selectorILNS1_17partition_subalgoE5ExNS0_10empty_typeEbEEZZNS1_14partition_implILS5_5ELb0ES3_mN6thrust23THRUST_200600_302600_NS6detail15normal_iteratorINSA_10device_ptrIxEEEEPS6_NSA_18transform_iteratorINSB_9not_fun_tI7is_trueIxEEENSC_INSD_IbEEEENSA_11use_defaultESO_EENS0_5tupleIJSF_S6_EEENSQ_IJSG_SG_EEES6_PlJS6_EEE10hipError_tPvRmT3_T4_T5_T6_T7_T9_mT8_P12ihipStream_tbDpT10_ENKUlT_T0_E_clISt17integral_constantIbLb0EES1C_IbLb1EEEEDaS18_S19_EUlS18_E_NS1_11comp_targetILNS1_3genE0ELNS1_11target_archE4294967295ELNS1_3gpuE0ELNS1_3repE0EEENS1_30default_config_static_selectorELNS0_4arch9wavefront6targetE0EEEvT1_ ; -- Begin function _ZN7rocprim17ROCPRIM_400000_NS6detail17trampoline_kernelINS0_14default_configENS1_25partition_config_selectorILNS1_17partition_subalgoE5ExNS0_10empty_typeEbEEZZNS1_14partition_implILS5_5ELb0ES3_mN6thrust23THRUST_200600_302600_NS6detail15normal_iteratorINSA_10device_ptrIxEEEEPS6_NSA_18transform_iteratorINSB_9not_fun_tI7is_trueIxEEENSC_INSD_IbEEEENSA_11use_defaultESO_EENS0_5tupleIJSF_S6_EEENSQ_IJSG_SG_EEES6_PlJS6_EEE10hipError_tPvRmT3_T4_T5_T6_T7_T9_mT8_P12ihipStream_tbDpT10_ENKUlT_T0_E_clISt17integral_constantIbLb0EES1C_IbLb1EEEEDaS18_S19_EUlS18_E_NS1_11comp_targetILNS1_3genE0ELNS1_11target_archE4294967295ELNS1_3gpuE0ELNS1_3repE0EEENS1_30default_config_static_selectorELNS0_4arch9wavefront6targetE0EEEvT1_
	.globl	_ZN7rocprim17ROCPRIM_400000_NS6detail17trampoline_kernelINS0_14default_configENS1_25partition_config_selectorILNS1_17partition_subalgoE5ExNS0_10empty_typeEbEEZZNS1_14partition_implILS5_5ELb0ES3_mN6thrust23THRUST_200600_302600_NS6detail15normal_iteratorINSA_10device_ptrIxEEEEPS6_NSA_18transform_iteratorINSB_9not_fun_tI7is_trueIxEEENSC_INSD_IbEEEENSA_11use_defaultESO_EENS0_5tupleIJSF_S6_EEENSQ_IJSG_SG_EEES6_PlJS6_EEE10hipError_tPvRmT3_T4_T5_T6_T7_T9_mT8_P12ihipStream_tbDpT10_ENKUlT_T0_E_clISt17integral_constantIbLb0EES1C_IbLb1EEEEDaS18_S19_EUlS18_E_NS1_11comp_targetILNS1_3genE0ELNS1_11target_archE4294967295ELNS1_3gpuE0ELNS1_3repE0EEENS1_30default_config_static_selectorELNS0_4arch9wavefront6targetE0EEEvT1_
	.p2align	8
	.type	_ZN7rocprim17ROCPRIM_400000_NS6detail17trampoline_kernelINS0_14default_configENS1_25partition_config_selectorILNS1_17partition_subalgoE5ExNS0_10empty_typeEbEEZZNS1_14partition_implILS5_5ELb0ES3_mN6thrust23THRUST_200600_302600_NS6detail15normal_iteratorINSA_10device_ptrIxEEEEPS6_NSA_18transform_iteratorINSB_9not_fun_tI7is_trueIxEEENSC_INSD_IbEEEENSA_11use_defaultESO_EENS0_5tupleIJSF_S6_EEENSQ_IJSG_SG_EEES6_PlJS6_EEE10hipError_tPvRmT3_T4_T5_T6_T7_T9_mT8_P12ihipStream_tbDpT10_ENKUlT_T0_E_clISt17integral_constantIbLb0EES1C_IbLb1EEEEDaS18_S19_EUlS18_E_NS1_11comp_targetILNS1_3genE0ELNS1_11target_archE4294967295ELNS1_3gpuE0ELNS1_3repE0EEENS1_30default_config_static_selectorELNS0_4arch9wavefront6targetE0EEEvT1_,@function
_ZN7rocprim17ROCPRIM_400000_NS6detail17trampoline_kernelINS0_14default_configENS1_25partition_config_selectorILNS1_17partition_subalgoE5ExNS0_10empty_typeEbEEZZNS1_14partition_implILS5_5ELb0ES3_mN6thrust23THRUST_200600_302600_NS6detail15normal_iteratorINSA_10device_ptrIxEEEEPS6_NSA_18transform_iteratorINSB_9not_fun_tI7is_trueIxEEENSC_INSD_IbEEEENSA_11use_defaultESO_EENS0_5tupleIJSF_S6_EEENSQ_IJSG_SG_EEES6_PlJS6_EEE10hipError_tPvRmT3_T4_T5_T6_T7_T9_mT8_P12ihipStream_tbDpT10_ENKUlT_T0_E_clISt17integral_constantIbLb0EES1C_IbLb1EEEEDaS18_S19_EUlS18_E_NS1_11comp_targetILNS1_3genE0ELNS1_11target_archE4294967295ELNS1_3gpuE0ELNS1_3repE0EEENS1_30default_config_static_selectorELNS0_4arch9wavefront6targetE0EEEvT1_: ; @_ZN7rocprim17ROCPRIM_400000_NS6detail17trampoline_kernelINS0_14default_configENS1_25partition_config_selectorILNS1_17partition_subalgoE5ExNS0_10empty_typeEbEEZZNS1_14partition_implILS5_5ELb0ES3_mN6thrust23THRUST_200600_302600_NS6detail15normal_iteratorINSA_10device_ptrIxEEEEPS6_NSA_18transform_iteratorINSB_9not_fun_tI7is_trueIxEEENSC_INSD_IbEEEENSA_11use_defaultESO_EENS0_5tupleIJSF_S6_EEENSQ_IJSG_SG_EEES6_PlJS6_EEE10hipError_tPvRmT3_T4_T5_T6_T7_T9_mT8_P12ihipStream_tbDpT10_ENKUlT_T0_E_clISt17integral_constantIbLb0EES1C_IbLb1EEEEDaS18_S19_EUlS18_E_NS1_11comp_targetILNS1_3genE0ELNS1_11target_archE4294967295ELNS1_3gpuE0ELNS1_3repE0EEENS1_30default_config_static_selectorELNS0_4arch9wavefront6targetE0EEEvT1_
; %bb.0:
	.section	.rodata,"a",@progbits
	.p2align	6, 0x0
	.amdhsa_kernel _ZN7rocprim17ROCPRIM_400000_NS6detail17trampoline_kernelINS0_14default_configENS1_25partition_config_selectorILNS1_17partition_subalgoE5ExNS0_10empty_typeEbEEZZNS1_14partition_implILS5_5ELb0ES3_mN6thrust23THRUST_200600_302600_NS6detail15normal_iteratorINSA_10device_ptrIxEEEEPS6_NSA_18transform_iteratorINSB_9not_fun_tI7is_trueIxEEENSC_INSD_IbEEEENSA_11use_defaultESO_EENS0_5tupleIJSF_S6_EEENSQ_IJSG_SG_EEES6_PlJS6_EEE10hipError_tPvRmT3_T4_T5_T6_T7_T9_mT8_P12ihipStream_tbDpT10_ENKUlT_T0_E_clISt17integral_constantIbLb0EES1C_IbLb1EEEEDaS18_S19_EUlS18_E_NS1_11comp_targetILNS1_3genE0ELNS1_11target_archE4294967295ELNS1_3gpuE0ELNS1_3repE0EEENS1_30default_config_static_selectorELNS0_4arch9wavefront6targetE0EEEvT1_
		.amdhsa_group_segment_fixed_size 0
		.amdhsa_private_segment_fixed_size 0
		.amdhsa_kernarg_size 136
		.amdhsa_user_sgpr_count 2
		.amdhsa_user_sgpr_dispatch_ptr 0
		.amdhsa_user_sgpr_queue_ptr 0
		.amdhsa_user_sgpr_kernarg_segment_ptr 1
		.amdhsa_user_sgpr_dispatch_id 0
		.amdhsa_user_sgpr_private_segment_size 0
		.amdhsa_wavefront_size32 1
		.amdhsa_uses_dynamic_stack 0
		.amdhsa_enable_private_segment 0
		.amdhsa_system_sgpr_workgroup_id_x 1
		.amdhsa_system_sgpr_workgroup_id_y 0
		.amdhsa_system_sgpr_workgroup_id_z 0
		.amdhsa_system_sgpr_workgroup_info 0
		.amdhsa_system_vgpr_workitem_id 0
		.amdhsa_next_free_vgpr 1
		.amdhsa_next_free_sgpr 1
		.amdhsa_reserve_vcc 0
		.amdhsa_float_round_mode_32 0
		.amdhsa_float_round_mode_16_64 0
		.amdhsa_float_denorm_mode_32 3
		.amdhsa_float_denorm_mode_16_64 3
		.amdhsa_fp16_overflow 0
		.amdhsa_workgroup_processor_mode 1
		.amdhsa_memory_ordered 1
		.amdhsa_forward_progress 1
		.amdhsa_inst_pref_size 0
		.amdhsa_round_robin_scheduling 0
		.amdhsa_exception_fp_ieee_invalid_op 0
		.amdhsa_exception_fp_denorm_src 0
		.amdhsa_exception_fp_ieee_div_zero 0
		.amdhsa_exception_fp_ieee_overflow 0
		.amdhsa_exception_fp_ieee_underflow 0
		.amdhsa_exception_fp_ieee_inexact 0
		.amdhsa_exception_int_div_zero 0
	.end_amdhsa_kernel
	.section	.text._ZN7rocprim17ROCPRIM_400000_NS6detail17trampoline_kernelINS0_14default_configENS1_25partition_config_selectorILNS1_17partition_subalgoE5ExNS0_10empty_typeEbEEZZNS1_14partition_implILS5_5ELb0ES3_mN6thrust23THRUST_200600_302600_NS6detail15normal_iteratorINSA_10device_ptrIxEEEEPS6_NSA_18transform_iteratorINSB_9not_fun_tI7is_trueIxEEENSC_INSD_IbEEEENSA_11use_defaultESO_EENS0_5tupleIJSF_S6_EEENSQ_IJSG_SG_EEES6_PlJS6_EEE10hipError_tPvRmT3_T4_T5_T6_T7_T9_mT8_P12ihipStream_tbDpT10_ENKUlT_T0_E_clISt17integral_constantIbLb0EES1C_IbLb1EEEEDaS18_S19_EUlS18_E_NS1_11comp_targetILNS1_3genE0ELNS1_11target_archE4294967295ELNS1_3gpuE0ELNS1_3repE0EEENS1_30default_config_static_selectorELNS0_4arch9wavefront6targetE0EEEvT1_,"axG",@progbits,_ZN7rocprim17ROCPRIM_400000_NS6detail17trampoline_kernelINS0_14default_configENS1_25partition_config_selectorILNS1_17partition_subalgoE5ExNS0_10empty_typeEbEEZZNS1_14partition_implILS5_5ELb0ES3_mN6thrust23THRUST_200600_302600_NS6detail15normal_iteratorINSA_10device_ptrIxEEEEPS6_NSA_18transform_iteratorINSB_9not_fun_tI7is_trueIxEEENSC_INSD_IbEEEENSA_11use_defaultESO_EENS0_5tupleIJSF_S6_EEENSQ_IJSG_SG_EEES6_PlJS6_EEE10hipError_tPvRmT3_T4_T5_T6_T7_T9_mT8_P12ihipStream_tbDpT10_ENKUlT_T0_E_clISt17integral_constantIbLb0EES1C_IbLb1EEEEDaS18_S19_EUlS18_E_NS1_11comp_targetILNS1_3genE0ELNS1_11target_archE4294967295ELNS1_3gpuE0ELNS1_3repE0EEENS1_30default_config_static_selectorELNS0_4arch9wavefront6targetE0EEEvT1_,comdat
.Lfunc_end2517:
	.size	_ZN7rocprim17ROCPRIM_400000_NS6detail17trampoline_kernelINS0_14default_configENS1_25partition_config_selectorILNS1_17partition_subalgoE5ExNS0_10empty_typeEbEEZZNS1_14partition_implILS5_5ELb0ES3_mN6thrust23THRUST_200600_302600_NS6detail15normal_iteratorINSA_10device_ptrIxEEEEPS6_NSA_18transform_iteratorINSB_9not_fun_tI7is_trueIxEEENSC_INSD_IbEEEENSA_11use_defaultESO_EENS0_5tupleIJSF_S6_EEENSQ_IJSG_SG_EEES6_PlJS6_EEE10hipError_tPvRmT3_T4_T5_T6_T7_T9_mT8_P12ihipStream_tbDpT10_ENKUlT_T0_E_clISt17integral_constantIbLb0EES1C_IbLb1EEEEDaS18_S19_EUlS18_E_NS1_11comp_targetILNS1_3genE0ELNS1_11target_archE4294967295ELNS1_3gpuE0ELNS1_3repE0EEENS1_30default_config_static_selectorELNS0_4arch9wavefront6targetE0EEEvT1_, .Lfunc_end2517-_ZN7rocprim17ROCPRIM_400000_NS6detail17trampoline_kernelINS0_14default_configENS1_25partition_config_selectorILNS1_17partition_subalgoE5ExNS0_10empty_typeEbEEZZNS1_14partition_implILS5_5ELb0ES3_mN6thrust23THRUST_200600_302600_NS6detail15normal_iteratorINSA_10device_ptrIxEEEEPS6_NSA_18transform_iteratorINSB_9not_fun_tI7is_trueIxEEENSC_INSD_IbEEEENSA_11use_defaultESO_EENS0_5tupleIJSF_S6_EEENSQ_IJSG_SG_EEES6_PlJS6_EEE10hipError_tPvRmT3_T4_T5_T6_T7_T9_mT8_P12ihipStream_tbDpT10_ENKUlT_T0_E_clISt17integral_constantIbLb0EES1C_IbLb1EEEEDaS18_S19_EUlS18_E_NS1_11comp_targetILNS1_3genE0ELNS1_11target_archE4294967295ELNS1_3gpuE0ELNS1_3repE0EEENS1_30default_config_static_selectorELNS0_4arch9wavefront6targetE0EEEvT1_
                                        ; -- End function
	.set _ZN7rocprim17ROCPRIM_400000_NS6detail17trampoline_kernelINS0_14default_configENS1_25partition_config_selectorILNS1_17partition_subalgoE5ExNS0_10empty_typeEbEEZZNS1_14partition_implILS5_5ELb0ES3_mN6thrust23THRUST_200600_302600_NS6detail15normal_iteratorINSA_10device_ptrIxEEEEPS6_NSA_18transform_iteratorINSB_9not_fun_tI7is_trueIxEEENSC_INSD_IbEEEENSA_11use_defaultESO_EENS0_5tupleIJSF_S6_EEENSQ_IJSG_SG_EEES6_PlJS6_EEE10hipError_tPvRmT3_T4_T5_T6_T7_T9_mT8_P12ihipStream_tbDpT10_ENKUlT_T0_E_clISt17integral_constantIbLb0EES1C_IbLb1EEEEDaS18_S19_EUlS18_E_NS1_11comp_targetILNS1_3genE0ELNS1_11target_archE4294967295ELNS1_3gpuE0ELNS1_3repE0EEENS1_30default_config_static_selectorELNS0_4arch9wavefront6targetE0EEEvT1_.num_vgpr, 0
	.set _ZN7rocprim17ROCPRIM_400000_NS6detail17trampoline_kernelINS0_14default_configENS1_25partition_config_selectorILNS1_17partition_subalgoE5ExNS0_10empty_typeEbEEZZNS1_14partition_implILS5_5ELb0ES3_mN6thrust23THRUST_200600_302600_NS6detail15normal_iteratorINSA_10device_ptrIxEEEEPS6_NSA_18transform_iteratorINSB_9not_fun_tI7is_trueIxEEENSC_INSD_IbEEEENSA_11use_defaultESO_EENS0_5tupleIJSF_S6_EEENSQ_IJSG_SG_EEES6_PlJS6_EEE10hipError_tPvRmT3_T4_T5_T6_T7_T9_mT8_P12ihipStream_tbDpT10_ENKUlT_T0_E_clISt17integral_constantIbLb0EES1C_IbLb1EEEEDaS18_S19_EUlS18_E_NS1_11comp_targetILNS1_3genE0ELNS1_11target_archE4294967295ELNS1_3gpuE0ELNS1_3repE0EEENS1_30default_config_static_selectorELNS0_4arch9wavefront6targetE0EEEvT1_.num_agpr, 0
	.set _ZN7rocprim17ROCPRIM_400000_NS6detail17trampoline_kernelINS0_14default_configENS1_25partition_config_selectorILNS1_17partition_subalgoE5ExNS0_10empty_typeEbEEZZNS1_14partition_implILS5_5ELb0ES3_mN6thrust23THRUST_200600_302600_NS6detail15normal_iteratorINSA_10device_ptrIxEEEEPS6_NSA_18transform_iteratorINSB_9not_fun_tI7is_trueIxEEENSC_INSD_IbEEEENSA_11use_defaultESO_EENS0_5tupleIJSF_S6_EEENSQ_IJSG_SG_EEES6_PlJS6_EEE10hipError_tPvRmT3_T4_T5_T6_T7_T9_mT8_P12ihipStream_tbDpT10_ENKUlT_T0_E_clISt17integral_constantIbLb0EES1C_IbLb1EEEEDaS18_S19_EUlS18_E_NS1_11comp_targetILNS1_3genE0ELNS1_11target_archE4294967295ELNS1_3gpuE0ELNS1_3repE0EEENS1_30default_config_static_selectorELNS0_4arch9wavefront6targetE0EEEvT1_.numbered_sgpr, 0
	.set _ZN7rocprim17ROCPRIM_400000_NS6detail17trampoline_kernelINS0_14default_configENS1_25partition_config_selectorILNS1_17partition_subalgoE5ExNS0_10empty_typeEbEEZZNS1_14partition_implILS5_5ELb0ES3_mN6thrust23THRUST_200600_302600_NS6detail15normal_iteratorINSA_10device_ptrIxEEEEPS6_NSA_18transform_iteratorINSB_9not_fun_tI7is_trueIxEEENSC_INSD_IbEEEENSA_11use_defaultESO_EENS0_5tupleIJSF_S6_EEENSQ_IJSG_SG_EEES6_PlJS6_EEE10hipError_tPvRmT3_T4_T5_T6_T7_T9_mT8_P12ihipStream_tbDpT10_ENKUlT_T0_E_clISt17integral_constantIbLb0EES1C_IbLb1EEEEDaS18_S19_EUlS18_E_NS1_11comp_targetILNS1_3genE0ELNS1_11target_archE4294967295ELNS1_3gpuE0ELNS1_3repE0EEENS1_30default_config_static_selectorELNS0_4arch9wavefront6targetE0EEEvT1_.num_named_barrier, 0
	.set _ZN7rocprim17ROCPRIM_400000_NS6detail17trampoline_kernelINS0_14default_configENS1_25partition_config_selectorILNS1_17partition_subalgoE5ExNS0_10empty_typeEbEEZZNS1_14partition_implILS5_5ELb0ES3_mN6thrust23THRUST_200600_302600_NS6detail15normal_iteratorINSA_10device_ptrIxEEEEPS6_NSA_18transform_iteratorINSB_9not_fun_tI7is_trueIxEEENSC_INSD_IbEEEENSA_11use_defaultESO_EENS0_5tupleIJSF_S6_EEENSQ_IJSG_SG_EEES6_PlJS6_EEE10hipError_tPvRmT3_T4_T5_T6_T7_T9_mT8_P12ihipStream_tbDpT10_ENKUlT_T0_E_clISt17integral_constantIbLb0EES1C_IbLb1EEEEDaS18_S19_EUlS18_E_NS1_11comp_targetILNS1_3genE0ELNS1_11target_archE4294967295ELNS1_3gpuE0ELNS1_3repE0EEENS1_30default_config_static_selectorELNS0_4arch9wavefront6targetE0EEEvT1_.private_seg_size, 0
	.set _ZN7rocprim17ROCPRIM_400000_NS6detail17trampoline_kernelINS0_14default_configENS1_25partition_config_selectorILNS1_17partition_subalgoE5ExNS0_10empty_typeEbEEZZNS1_14partition_implILS5_5ELb0ES3_mN6thrust23THRUST_200600_302600_NS6detail15normal_iteratorINSA_10device_ptrIxEEEEPS6_NSA_18transform_iteratorINSB_9not_fun_tI7is_trueIxEEENSC_INSD_IbEEEENSA_11use_defaultESO_EENS0_5tupleIJSF_S6_EEENSQ_IJSG_SG_EEES6_PlJS6_EEE10hipError_tPvRmT3_T4_T5_T6_T7_T9_mT8_P12ihipStream_tbDpT10_ENKUlT_T0_E_clISt17integral_constantIbLb0EES1C_IbLb1EEEEDaS18_S19_EUlS18_E_NS1_11comp_targetILNS1_3genE0ELNS1_11target_archE4294967295ELNS1_3gpuE0ELNS1_3repE0EEENS1_30default_config_static_selectorELNS0_4arch9wavefront6targetE0EEEvT1_.uses_vcc, 0
	.set _ZN7rocprim17ROCPRIM_400000_NS6detail17trampoline_kernelINS0_14default_configENS1_25partition_config_selectorILNS1_17partition_subalgoE5ExNS0_10empty_typeEbEEZZNS1_14partition_implILS5_5ELb0ES3_mN6thrust23THRUST_200600_302600_NS6detail15normal_iteratorINSA_10device_ptrIxEEEEPS6_NSA_18transform_iteratorINSB_9not_fun_tI7is_trueIxEEENSC_INSD_IbEEEENSA_11use_defaultESO_EENS0_5tupleIJSF_S6_EEENSQ_IJSG_SG_EEES6_PlJS6_EEE10hipError_tPvRmT3_T4_T5_T6_T7_T9_mT8_P12ihipStream_tbDpT10_ENKUlT_T0_E_clISt17integral_constantIbLb0EES1C_IbLb1EEEEDaS18_S19_EUlS18_E_NS1_11comp_targetILNS1_3genE0ELNS1_11target_archE4294967295ELNS1_3gpuE0ELNS1_3repE0EEENS1_30default_config_static_selectorELNS0_4arch9wavefront6targetE0EEEvT1_.uses_flat_scratch, 0
	.set _ZN7rocprim17ROCPRIM_400000_NS6detail17trampoline_kernelINS0_14default_configENS1_25partition_config_selectorILNS1_17partition_subalgoE5ExNS0_10empty_typeEbEEZZNS1_14partition_implILS5_5ELb0ES3_mN6thrust23THRUST_200600_302600_NS6detail15normal_iteratorINSA_10device_ptrIxEEEEPS6_NSA_18transform_iteratorINSB_9not_fun_tI7is_trueIxEEENSC_INSD_IbEEEENSA_11use_defaultESO_EENS0_5tupleIJSF_S6_EEENSQ_IJSG_SG_EEES6_PlJS6_EEE10hipError_tPvRmT3_T4_T5_T6_T7_T9_mT8_P12ihipStream_tbDpT10_ENKUlT_T0_E_clISt17integral_constantIbLb0EES1C_IbLb1EEEEDaS18_S19_EUlS18_E_NS1_11comp_targetILNS1_3genE0ELNS1_11target_archE4294967295ELNS1_3gpuE0ELNS1_3repE0EEENS1_30default_config_static_selectorELNS0_4arch9wavefront6targetE0EEEvT1_.has_dyn_sized_stack, 0
	.set _ZN7rocprim17ROCPRIM_400000_NS6detail17trampoline_kernelINS0_14default_configENS1_25partition_config_selectorILNS1_17partition_subalgoE5ExNS0_10empty_typeEbEEZZNS1_14partition_implILS5_5ELb0ES3_mN6thrust23THRUST_200600_302600_NS6detail15normal_iteratorINSA_10device_ptrIxEEEEPS6_NSA_18transform_iteratorINSB_9not_fun_tI7is_trueIxEEENSC_INSD_IbEEEENSA_11use_defaultESO_EENS0_5tupleIJSF_S6_EEENSQ_IJSG_SG_EEES6_PlJS6_EEE10hipError_tPvRmT3_T4_T5_T6_T7_T9_mT8_P12ihipStream_tbDpT10_ENKUlT_T0_E_clISt17integral_constantIbLb0EES1C_IbLb1EEEEDaS18_S19_EUlS18_E_NS1_11comp_targetILNS1_3genE0ELNS1_11target_archE4294967295ELNS1_3gpuE0ELNS1_3repE0EEENS1_30default_config_static_selectorELNS0_4arch9wavefront6targetE0EEEvT1_.has_recursion, 0
	.set _ZN7rocprim17ROCPRIM_400000_NS6detail17trampoline_kernelINS0_14default_configENS1_25partition_config_selectorILNS1_17partition_subalgoE5ExNS0_10empty_typeEbEEZZNS1_14partition_implILS5_5ELb0ES3_mN6thrust23THRUST_200600_302600_NS6detail15normal_iteratorINSA_10device_ptrIxEEEEPS6_NSA_18transform_iteratorINSB_9not_fun_tI7is_trueIxEEENSC_INSD_IbEEEENSA_11use_defaultESO_EENS0_5tupleIJSF_S6_EEENSQ_IJSG_SG_EEES6_PlJS6_EEE10hipError_tPvRmT3_T4_T5_T6_T7_T9_mT8_P12ihipStream_tbDpT10_ENKUlT_T0_E_clISt17integral_constantIbLb0EES1C_IbLb1EEEEDaS18_S19_EUlS18_E_NS1_11comp_targetILNS1_3genE0ELNS1_11target_archE4294967295ELNS1_3gpuE0ELNS1_3repE0EEENS1_30default_config_static_selectorELNS0_4arch9wavefront6targetE0EEEvT1_.has_indirect_call, 0
	.section	.AMDGPU.csdata,"",@progbits
; Kernel info:
; codeLenInByte = 0
; TotalNumSgprs: 0
; NumVgprs: 0
; ScratchSize: 0
; MemoryBound: 0
; FloatMode: 240
; IeeeMode: 1
; LDSByteSize: 0 bytes/workgroup (compile time only)
; SGPRBlocks: 0
; VGPRBlocks: 0
; NumSGPRsForWavesPerEU: 1
; NumVGPRsForWavesPerEU: 1
; Occupancy: 16
; WaveLimiterHint : 0
; COMPUTE_PGM_RSRC2:SCRATCH_EN: 0
; COMPUTE_PGM_RSRC2:USER_SGPR: 2
; COMPUTE_PGM_RSRC2:TRAP_HANDLER: 0
; COMPUTE_PGM_RSRC2:TGID_X_EN: 1
; COMPUTE_PGM_RSRC2:TGID_Y_EN: 0
; COMPUTE_PGM_RSRC2:TGID_Z_EN: 0
; COMPUTE_PGM_RSRC2:TIDIG_COMP_CNT: 0
	.section	.text._ZN7rocprim17ROCPRIM_400000_NS6detail17trampoline_kernelINS0_14default_configENS1_25partition_config_selectorILNS1_17partition_subalgoE5ExNS0_10empty_typeEbEEZZNS1_14partition_implILS5_5ELb0ES3_mN6thrust23THRUST_200600_302600_NS6detail15normal_iteratorINSA_10device_ptrIxEEEEPS6_NSA_18transform_iteratorINSB_9not_fun_tI7is_trueIxEEENSC_INSD_IbEEEENSA_11use_defaultESO_EENS0_5tupleIJSF_S6_EEENSQ_IJSG_SG_EEES6_PlJS6_EEE10hipError_tPvRmT3_T4_T5_T6_T7_T9_mT8_P12ihipStream_tbDpT10_ENKUlT_T0_E_clISt17integral_constantIbLb0EES1C_IbLb1EEEEDaS18_S19_EUlS18_E_NS1_11comp_targetILNS1_3genE5ELNS1_11target_archE942ELNS1_3gpuE9ELNS1_3repE0EEENS1_30default_config_static_selectorELNS0_4arch9wavefront6targetE0EEEvT1_,"axG",@progbits,_ZN7rocprim17ROCPRIM_400000_NS6detail17trampoline_kernelINS0_14default_configENS1_25partition_config_selectorILNS1_17partition_subalgoE5ExNS0_10empty_typeEbEEZZNS1_14partition_implILS5_5ELb0ES3_mN6thrust23THRUST_200600_302600_NS6detail15normal_iteratorINSA_10device_ptrIxEEEEPS6_NSA_18transform_iteratorINSB_9not_fun_tI7is_trueIxEEENSC_INSD_IbEEEENSA_11use_defaultESO_EENS0_5tupleIJSF_S6_EEENSQ_IJSG_SG_EEES6_PlJS6_EEE10hipError_tPvRmT3_T4_T5_T6_T7_T9_mT8_P12ihipStream_tbDpT10_ENKUlT_T0_E_clISt17integral_constantIbLb0EES1C_IbLb1EEEEDaS18_S19_EUlS18_E_NS1_11comp_targetILNS1_3genE5ELNS1_11target_archE942ELNS1_3gpuE9ELNS1_3repE0EEENS1_30default_config_static_selectorELNS0_4arch9wavefront6targetE0EEEvT1_,comdat
	.protected	_ZN7rocprim17ROCPRIM_400000_NS6detail17trampoline_kernelINS0_14default_configENS1_25partition_config_selectorILNS1_17partition_subalgoE5ExNS0_10empty_typeEbEEZZNS1_14partition_implILS5_5ELb0ES3_mN6thrust23THRUST_200600_302600_NS6detail15normal_iteratorINSA_10device_ptrIxEEEEPS6_NSA_18transform_iteratorINSB_9not_fun_tI7is_trueIxEEENSC_INSD_IbEEEENSA_11use_defaultESO_EENS0_5tupleIJSF_S6_EEENSQ_IJSG_SG_EEES6_PlJS6_EEE10hipError_tPvRmT3_T4_T5_T6_T7_T9_mT8_P12ihipStream_tbDpT10_ENKUlT_T0_E_clISt17integral_constantIbLb0EES1C_IbLb1EEEEDaS18_S19_EUlS18_E_NS1_11comp_targetILNS1_3genE5ELNS1_11target_archE942ELNS1_3gpuE9ELNS1_3repE0EEENS1_30default_config_static_selectorELNS0_4arch9wavefront6targetE0EEEvT1_ ; -- Begin function _ZN7rocprim17ROCPRIM_400000_NS6detail17trampoline_kernelINS0_14default_configENS1_25partition_config_selectorILNS1_17partition_subalgoE5ExNS0_10empty_typeEbEEZZNS1_14partition_implILS5_5ELb0ES3_mN6thrust23THRUST_200600_302600_NS6detail15normal_iteratorINSA_10device_ptrIxEEEEPS6_NSA_18transform_iteratorINSB_9not_fun_tI7is_trueIxEEENSC_INSD_IbEEEENSA_11use_defaultESO_EENS0_5tupleIJSF_S6_EEENSQ_IJSG_SG_EEES6_PlJS6_EEE10hipError_tPvRmT3_T4_T5_T6_T7_T9_mT8_P12ihipStream_tbDpT10_ENKUlT_T0_E_clISt17integral_constantIbLb0EES1C_IbLb1EEEEDaS18_S19_EUlS18_E_NS1_11comp_targetILNS1_3genE5ELNS1_11target_archE942ELNS1_3gpuE9ELNS1_3repE0EEENS1_30default_config_static_selectorELNS0_4arch9wavefront6targetE0EEEvT1_
	.globl	_ZN7rocprim17ROCPRIM_400000_NS6detail17trampoline_kernelINS0_14default_configENS1_25partition_config_selectorILNS1_17partition_subalgoE5ExNS0_10empty_typeEbEEZZNS1_14partition_implILS5_5ELb0ES3_mN6thrust23THRUST_200600_302600_NS6detail15normal_iteratorINSA_10device_ptrIxEEEEPS6_NSA_18transform_iteratorINSB_9not_fun_tI7is_trueIxEEENSC_INSD_IbEEEENSA_11use_defaultESO_EENS0_5tupleIJSF_S6_EEENSQ_IJSG_SG_EEES6_PlJS6_EEE10hipError_tPvRmT3_T4_T5_T6_T7_T9_mT8_P12ihipStream_tbDpT10_ENKUlT_T0_E_clISt17integral_constantIbLb0EES1C_IbLb1EEEEDaS18_S19_EUlS18_E_NS1_11comp_targetILNS1_3genE5ELNS1_11target_archE942ELNS1_3gpuE9ELNS1_3repE0EEENS1_30default_config_static_selectorELNS0_4arch9wavefront6targetE0EEEvT1_
	.p2align	8
	.type	_ZN7rocprim17ROCPRIM_400000_NS6detail17trampoline_kernelINS0_14default_configENS1_25partition_config_selectorILNS1_17partition_subalgoE5ExNS0_10empty_typeEbEEZZNS1_14partition_implILS5_5ELb0ES3_mN6thrust23THRUST_200600_302600_NS6detail15normal_iteratorINSA_10device_ptrIxEEEEPS6_NSA_18transform_iteratorINSB_9not_fun_tI7is_trueIxEEENSC_INSD_IbEEEENSA_11use_defaultESO_EENS0_5tupleIJSF_S6_EEENSQ_IJSG_SG_EEES6_PlJS6_EEE10hipError_tPvRmT3_T4_T5_T6_T7_T9_mT8_P12ihipStream_tbDpT10_ENKUlT_T0_E_clISt17integral_constantIbLb0EES1C_IbLb1EEEEDaS18_S19_EUlS18_E_NS1_11comp_targetILNS1_3genE5ELNS1_11target_archE942ELNS1_3gpuE9ELNS1_3repE0EEENS1_30default_config_static_selectorELNS0_4arch9wavefront6targetE0EEEvT1_,@function
_ZN7rocprim17ROCPRIM_400000_NS6detail17trampoline_kernelINS0_14default_configENS1_25partition_config_selectorILNS1_17partition_subalgoE5ExNS0_10empty_typeEbEEZZNS1_14partition_implILS5_5ELb0ES3_mN6thrust23THRUST_200600_302600_NS6detail15normal_iteratorINSA_10device_ptrIxEEEEPS6_NSA_18transform_iteratorINSB_9not_fun_tI7is_trueIxEEENSC_INSD_IbEEEENSA_11use_defaultESO_EENS0_5tupleIJSF_S6_EEENSQ_IJSG_SG_EEES6_PlJS6_EEE10hipError_tPvRmT3_T4_T5_T6_T7_T9_mT8_P12ihipStream_tbDpT10_ENKUlT_T0_E_clISt17integral_constantIbLb0EES1C_IbLb1EEEEDaS18_S19_EUlS18_E_NS1_11comp_targetILNS1_3genE5ELNS1_11target_archE942ELNS1_3gpuE9ELNS1_3repE0EEENS1_30default_config_static_selectorELNS0_4arch9wavefront6targetE0EEEvT1_: ; @_ZN7rocprim17ROCPRIM_400000_NS6detail17trampoline_kernelINS0_14default_configENS1_25partition_config_selectorILNS1_17partition_subalgoE5ExNS0_10empty_typeEbEEZZNS1_14partition_implILS5_5ELb0ES3_mN6thrust23THRUST_200600_302600_NS6detail15normal_iteratorINSA_10device_ptrIxEEEEPS6_NSA_18transform_iteratorINSB_9not_fun_tI7is_trueIxEEENSC_INSD_IbEEEENSA_11use_defaultESO_EENS0_5tupleIJSF_S6_EEENSQ_IJSG_SG_EEES6_PlJS6_EEE10hipError_tPvRmT3_T4_T5_T6_T7_T9_mT8_P12ihipStream_tbDpT10_ENKUlT_T0_E_clISt17integral_constantIbLb0EES1C_IbLb1EEEEDaS18_S19_EUlS18_E_NS1_11comp_targetILNS1_3genE5ELNS1_11target_archE942ELNS1_3gpuE9ELNS1_3repE0EEENS1_30default_config_static_selectorELNS0_4arch9wavefront6targetE0EEEvT1_
; %bb.0:
	.section	.rodata,"a",@progbits
	.p2align	6, 0x0
	.amdhsa_kernel _ZN7rocprim17ROCPRIM_400000_NS6detail17trampoline_kernelINS0_14default_configENS1_25partition_config_selectorILNS1_17partition_subalgoE5ExNS0_10empty_typeEbEEZZNS1_14partition_implILS5_5ELb0ES3_mN6thrust23THRUST_200600_302600_NS6detail15normal_iteratorINSA_10device_ptrIxEEEEPS6_NSA_18transform_iteratorINSB_9not_fun_tI7is_trueIxEEENSC_INSD_IbEEEENSA_11use_defaultESO_EENS0_5tupleIJSF_S6_EEENSQ_IJSG_SG_EEES6_PlJS6_EEE10hipError_tPvRmT3_T4_T5_T6_T7_T9_mT8_P12ihipStream_tbDpT10_ENKUlT_T0_E_clISt17integral_constantIbLb0EES1C_IbLb1EEEEDaS18_S19_EUlS18_E_NS1_11comp_targetILNS1_3genE5ELNS1_11target_archE942ELNS1_3gpuE9ELNS1_3repE0EEENS1_30default_config_static_selectorELNS0_4arch9wavefront6targetE0EEEvT1_
		.amdhsa_group_segment_fixed_size 0
		.amdhsa_private_segment_fixed_size 0
		.amdhsa_kernarg_size 136
		.amdhsa_user_sgpr_count 2
		.amdhsa_user_sgpr_dispatch_ptr 0
		.amdhsa_user_sgpr_queue_ptr 0
		.amdhsa_user_sgpr_kernarg_segment_ptr 1
		.amdhsa_user_sgpr_dispatch_id 0
		.amdhsa_user_sgpr_private_segment_size 0
		.amdhsa_wavefront_size32 1
		.amdhsa_uses_dynamic_stack 0
		.amdhsa_enable_private_segment 0
		.amdhsa_system_sgpr_workgroup_id_x 1
		.amdhsa_system_sgpr_workgroup_id_y 0
		.amdhsa_system_sgpr_workgroup_id_z 0
		.amdhsa_system_sgpr_workgroup_info 0
		.amdhsa_system_vgpr_workitem_id 0
		.amdhsa_next_free_vgpr 1
		.amdhsa_next_free_sgpr 1
		.amdhsa_reserve_vcc 0
		.amdhsa_float_round_mode_32 0
		.amdhsa_float_round_mode_16_64 0
		.amdhsa_float_denorm_mode_32 3
		.amdhsa_float_denorm_mode_16_64 3
		.amdhsa_fp16_overflow 0
		.amdhsa_workgroup_processor_mode 1
		.amdhsa_memory_ordered 1
		.amdhsa_forward_progress 1
		.amdhsa_inst_pref_size 0
		.amdhsa_round_robin_scheduling 0
		.amdhsa_exception_fp_ieee_invalid_op 0
		.amdhsa_exception_fp_denorm_src 0
		.amdhsa_exception_fp_ieee_div_zero 0
		.amdhsa_exception_fp_ieee_overflow 0
		.amdhsa_exception_fp_ieee_underflow 0
		.amdhsa_exception_fp_ieee_inexact 0
		.amdhsa_exception_int_div_zero 0
	.end_amdhsa_kernel
	.section	.text._ZN7rocprim17ROCPRIM_400000_NS6detail17trampoline_kernelINS0_14default_configENS1_25partition_config_selectorILNS1_17partition_subalgoE5ExNS0_10empty_typeEbEEZZNS1_14partition_implILS5_5ELb0ES3_mN6thrust23THRUST_200600_302600_NS6detail15normal_iteratorINSA_10device_ptrIxEEEEPS6_NSA_18transform_iteratorINSB_9not_fun_tI7is_trueIxEEENSC_INSD_IbEEEENSA_11use_defaultESO_EENS0_5tupleIJSF_S6_EEENSQ_IJSG_SG_EEES6_PlJS6_EEE10hipError_tPvRmT3_T4_T5_T6_T7_T9_mT8_P12ihipStream_tbDpT10_ENKUlT_T0_E_clISt17integral_constantIbLb0EES1C_IbLb1EEEEDaS18_S19_EUlS18_E_NS1_11comp_targetILNS1_3genE5ELNS1_11target_archE942ELNS1_3gpuE9ELNS1_3repE0EEENS1_30default_config_static_selectorELNS0_4arch9wavefront6targetE0EEEvT1_,"axG",@progbits,_ZN7rocprim17ROCPRIM_400000_NS6detail17trampoline_kernelINS0_14default_configENS1_25partition_config_selectorILNS1_17partition_subalgoE5ExNS0_10empty_typeEbEEZZNS1_14partition_implILS5_5ELb0ES3_mN6thrust23THRUST_200600_302600_NS6detail15normal_iteratorINSA_10device_ptrIxEEEEPS6_NSA_18transform_iteratorINSB_9not_fun_tI7is_trueIxEEENSC_INSD_IbEEEENSA_11use_defaultESO_EENS0_5tupleIJSF_S6_EEENSQ_IJSG_SG_EEES6_PlJS6_EEE10hipError_tPvRmT3_T4_T5_T6_T7_T9_mT8_P12ihipStream_tbDpT10_ENKUlT_T0_E_clISt17integral_constantIbLb0EES1C_IbLb1EEEEDaS18_S19_EUlS18_E_NS1_11comp_targetILNS1_3genE5ELNS1_11target_archE942ELNS1_3gpuE9ELNS1_3repE0EEENS1_30default_config_static_selectorELNS0_4arch9wavefront6targetE0EEEvT1_,comdat
.Lfunc_end2518:
	.size	_ZN7rocprim17ROCPRIM_400000_NS6detail17trampoline_kernelINS0_14default_configENS1_25partition_config_selectorILNS1_17partition_subalgoE5ExNS0_10empty_typeEbEEZZNS1_14partition_implILS5_5ELb0ES3_mN6thrust23THRUST_200600_302600_NS6detail15normal_iteratorINSA_10device_ptrIxEEEEPS6_NSA_18transform_iteratorINSB_9not_fun_tI7is_trueIxEEENSC_INSD_IbEEEENSA_11use_defaultESO_EENS0_5tupleIJSF_S6_EEENSQ_IJSG_SG_EEES6_PlJS6_EEE10hipError_tPvRmT3_T4_T5_T6_T7_T9_mT8_P12ihipStream_tbDpT10_ENKUlT_T0_E_clISt17integral_constantIbLb0EES1C_IbLb1EEEEDaS18_S19_EUlS18_E_NS1_11comp_targetILNS1_3genE5ELNS1_11target_archE942ELNS1_3gpuE9ELNS1_3repE0EEENS1_30default_config_static_selectorELNS0_4arch9wavefront6targetE0EEEvT1_, .Lfunc_end2518-_ZN7rocprim17ROCPRIM_400000_NS6detail17trampoline_kernelINS0_14default_configENS1_25partition_config_selectorILNS1_17partition_subalgoE5ExNS0_10empty_typeEbEEZZNS1_14partition_implILS5_5ELb0ES3_mN6thrust23THRUST_200600_302600_NS6detail15normal_iteratorINSA_10device_ptrIxEEEEPS6_NSA_18transform_iteratorINSB_9not_fun_tI7is_trueIxEEENSC_INSD_IbEEEENSA_11use_defaultESO_EENS0_5tupleIJSF_S6_EEENSQ_IJSG_SG_EEES6_PlJS6_EEE10hipError_tPvRmT3_T4_T5_T6_T7_T9_mT8_P12ihipStream_tbDpT10_ENKUlT_T0_E_clISt17integral_constantIbLb0EES1C_IbLb1EEEEDaS18_S19_EUlS18_E_NS1_11comp_targetILNS1_3genE5ELNS1_11target_archE942ELNS1_3gpuE9ELNS1_3repE0EEENS1_30default_config_static_selectorELNS0_4arch9wavefront6targetE0EEEvT1_
                                        ; -- End function
	.set _ZN7rocprim17ROCPRIM_400000_NS6detail17trampoline_kernelINS0_14default_configENS1_25partition_config_selectorILNS1_17partition_subalgoE5ExNS0_10empty_typeEbEEZZNS1_14partition_implILS5_5ELb0ES3_mN6thrust23THRUST_200600_302600_NS6detail15normal_iteratorINSA_10device_ptrIxEEEEPS6_NSA_18transform_iteratorINSB_9not_fun_tI7is_trueIxEEENSC_INSD_IbEEEENSA_11use_defaultESO_EENS0_5tupleIJSF_S6_EEENSQ_IJSG_SG_EEES6_PlJS6_EEE10hipError_tPvRmT3_T4_T5_T6_T7_T9_mT8_P12ihipStream_tbDpT10_ENKUlT_T0_E_clISt17integral_constantIbLb0EES1C_IbLb1EEEEDaS18_S19_EUlS18_E_NS1_11comp_targetILNS1_3genE5ELNS1_11target_archE942ELNS1_3gpuE9ELNS1_3repE0EEENS1_30default_config_static_selectorELNS0_4arch9wavefront6targetE0EEEvT1_.num_vgpr, 0
	.set _ZN7rocprim17ROCPRIM_400000_NS6detail17trampoline_kernelINS0_14default_configENS1_25partition_config_selectorILNS1_17partition_subalgoE5ExNS0_10empty_typeEbEEZZNS1_14partition_implILS5_5ELb0ES3_mN6thrust23THRUST_200600_302600_NS6detail15normal_iteratorINSA_10device_ptrIxEEEEPS6_NSA_18transform_iteratorINSB_9not_fun_tI7is_trueIxEEENSC_INSD_IbEEEENSA_11use_defaultESO_EENS0_5tupleIJSF_S6_EEENSQ_IJSG_SG_EEES6_PlJS6_EEE10hipError_tPvRmT3_T4_T5_T6_T7_T9_mT8_P12ihipStream_tbDpT10_ENKUlT_T0_E_clISt17integral_constantIbLb0EES1C_IbLb1EEEEDaS18_S19_EUlS18_E_NS1_11comp_targetILNS1_3genE5ELNS1_11target_archE942ELNS1_3gpuE9ELNS1_3repE0EEENS1_30default_config_static_selectorELNS0_4arch9wavefront6targetE0EEEvT1_.num_agpr, 0
	.set _ZN7rocprim17ROCPRIM_400000_NS6detail17trampoline_kernelINS0_14default_configENS1_25partition_config_selectorILNS1_17partition_subalgoE5ExNS0_10empty_typeEbEEZZNS1_14partition_implILS5_5ELb0ES3_mN6thrust23THRUST_200600_302600_NS6detail15normal_iteratorINSA_10device_ptrIxEEEEPS6_NSA_18transform_iteratorINSB_9not_fun_tI7is_trueIxEEENSC_INSD_IbEEEENSA_11use_defaultESO_EENS0_5tupleIJSF_S6_EEENSQ_IJSG_SG_EEES6_PlJS6_EEE10hipError_tPvRmT3_T4_T5_T6_T7_T9_mT8_P12ihipStream_tbDpT10_ENKUlT_T0_E_clISt17integral_constantIbLb0EES1C_IbLb1EEEEDaS18_S19_EUlS18_E_NS1_11comp_targetILNS1_3genE5ELNS1_11target_archE942ELNS1_3gpuE9ELNS1_3repE0EEENS1_30default_config_static_selectorELNS0_4arch9wavefront6targetE0EEEvT1_.numbered_sgpr, 0
	.set _ZN7rocprim17ROCPRIM_400000_NS6detail17trampoline_kernelINS0_14default_configENS1_25partition_config_selectorILNS1_17partition_subalgoE5ExNS0_10empty_typeEbEEZZNS1_14partition_implILS5_5ELb0ES3_mN6thrust23THRUST_200600_302600_NS6detail15normal_iteratorINSA_10device_ptrIxEEEEPS6_NSA_18transform_iteratorINSB_9not_fun_tI7is_trueIxEEENSC_INSD_IbEEEENSA_11use_defaultESO_EENS0_5tupleIJSF_S6_EEENSQ_IJSG_SG_EEES6_PlJS6_EEE10hipError_tPvRmT3_T4_T5_T6_T7_T9_mT8_P12ihipStream_tbDpT10_ENKUlT_T0_E_clISt17integral_constantIbLb0EES1C_IbLb1EEEEDaS18_S19_EUlS18_E_NS1_11comp_targetILNS1_3genE5ELNS1_11target_archE942ELNS1_3gpuE9ELNS1_3repE0EEENS1_30default_config_static_selectorELNS0_4arch9wavefront6targetE0EEEvT1_.num_named_barrier, 0
	.set _ZN7rocprim17ROCPRIM_400000_NS6detail17trampoline_kernelINS0_14default_configENS1_25partition_config_selectorILNS1_17partition_subalgoE5ExNS0_10empty_typeEbEEZZNS1_14partition_implILS5_5ELb0ES3_mN6thrust23THRUST_200600_302600_NS6detail15normal_iteratorINSA_10device_ptrIxEEEEPS6_NSA_18transform_iteratorINSB_9not_fun_tI7is_trueIxEEENSC_INSD_IbEEEENSA_11use_defaultESO_EENS0_5tupleIJSF_S6_EEENSQ_IJSG_SG_EEES6_PlJS6_EEE10hipError_tPvRmT3_T4_T5_T6_T7_T9_mT8_P12ihipStream_tbDpT10_ENKUlT_T0_E_clISt17integral_constantIbLb0EES1C_IbLb1EEEEDaS18_S19_EUlS18_E_NS1_11comp_targetILNS1_3genE5ELNS1_11target_archE942ELNS1_3gpuE9ELNS1_3repE0EEENS1_30default_config_static_selectorELNS0_4arch9wavefront6targetE0EEEvT1_.private_seg_size, 0
	.set _ZN7rocprim17ROCPRIM_400000_NS6detail17trampoline_kernelINS0_14default_configENS1_25partition_config_selectorILNS1_17partition_subalgoE5ExNS0_10empty_typeEbEEZZNS1_14partition_implILS5_5ELb0ES3_mN6thrust23THRUST_200600_302600_NS6detail15normal_iteratorINSA_10device_ptrIxEEEEPS6_NSA_18transform_iteratorINSB_9not_fun_tI7is_trueIxEEENSC_INSD_IbEEEENSA_11use_defaultESO_EENS0_5tupleIJSF_S6_EEENSQ_IJSG_SG_EEES6_PlJS6_EEE10hipError_tPvRmT3_T4_T5_T6_T7_T9_mT8_P12ihipStream_tbDpT10_ENKUlT_T0_E_clISt17integral_constantIbLb0EES1C_IbLb1EEEEDaS18_S19_EUlS18_E_NS1_11comp_targetILNS1_3genE5ELNS1_11target_archE942ELNS1_3gpuE9ELNS1_3repE0EEENS1_30default_config_static_selectorELNS0_4arch9wavefront6targetE0EEEvT1_.uses_vcc, 0
	.set _ZN7rocprim17ROCPRIM_400000_NS6detail17trampoline_kernelINS0_14default_configENS1_25partition_config_selectorILNS1_17partition_subalgoE5ExNS0_10empty_typeEbEEZZNS1_14partition_implILS5_5ELb0ES3_mN6thrust23THRUST_200600_302600_NS6detail15normal_iteratorINSA_10device_ptrIxEEEEPS6_NSA_18transform_iteratorINSB_9not_fun_tI7is_trueIxEEENSC_INSD_IbEEEENSA_11use_defaultESO_EENS0_5tupleIJSF_S6_EEENSQ_IJSG_SG_EEES6_PlJS6_EEE10hipError_tPvRmT3_T4_T5_T6_T7_T9_mT8_P12ihipStream_tbDpT10_ENKUlT_T0_E_clISt17integral_constantIbLb0EES1C_IbLb1EEEEDaS18_S19_EUlS18_E_NS1_11comp_targetILNS1_3genE5ELNS1_11target_archE942ELNS1_3gpuE9ELNS1_3repE0EEENS1_30default_config_static_selectorELNS0_4arch9wavefront6targetE0EEEvT1_.uses_flat_scratch, 0
	.set _ZN7rocprim17ROCPRIM_400000_NS6detail17trampoline_kernelINS0_14default_configENS1_25partition_config_selectorILNS1_17partition_subalgoE5ExNS0_10empty_typeEbEEZZNS1_14partition_implILS5_5ELb0ES3_mN6thrust23THRUST_200600_302600_NS6detail15normal_iteratorINSA_10device_ptrIxEEEEPS6_NSA_18transform_iteratorINSB_9not_fun_tI7is_trueIxEEENSC_INSD_IbEEEENSA_11use_defaultESO_EENS0_5tupleIJSF_S6_EEENSQ_IJSG_SG_EEES6_PlJS6_EEE10hipError_tPvRmT3_T4_T5_T6_T7_T9_mT8_P12ihipStream_tbDpT10_ENKUlT_T0_E_clISt17integral_constantIbLb0EES1C_IbLb1EEEEDaS18_S19_EUlS18_E_NS1_11comp_targetILNS1_3genE5ELNS1_11target_archE942ELNS1_3gpuE9ELNS1_3repE0EEENS1_30default_config_static_selectorELNS0_4arch9wavefront6targetE0EEEvT1_.has_dyn_sized_stack, 0
	.set _ZN7rocprim17ROCPRIM_400000_NS6detail17trampoline_kernelINS0_14default_configENS1_25partition_config_selectorILNS1_17partition_subalgoE5ExNS0_10empty_typeEbEEZZNS1_14partition_implILS5_5ELb0ES3_mN6thrust23THRUST_200600_302600_NS6detail15normal_iteratorINSA_10device_ptrIxEEEEPS6_NSA_18transform_iteratorINSB_9not_fun_tI7is_trueIxEEENSC_INSD_IbEEEENSA_11use_defaultESO_EENS0_5tupleIJSF_S6_EEENSQ_IJSG_SG_EEES6_PlJS6_EEE10hipError_tPvRmT3_T4_T5_T6_T7_T9_mT8_P12ihipStream_tbDpT10_ENKUlT_T0_E_clISt17integral_constantIbLb0EES1C_IbLb1EEEEDaS18_S19_EUlS18_E_NS1_11comp_targetILNS1_3genE5ELNS1_11target_archE942ELNS1_3gpuE9ELNS1_3repE0EEENS1_30default_config_static_selectorELNS0_4arch9wavefront6targetE0EEEvT1_.has_recursion, 0
	.set _ZN7rocprim17ROCPRIM_400000_NS6detail17trampoline_kernelINS0_14default_configENS1_25partition_config_selectorILNS1_17partition_subalgoE5ExNS0_10empty_typeEbEEZZNS1_14partition_implILS5_5ELb0ES3_mN6thrust23THRUST_200600_302600_NS6detail15normal_iteratorINSA_10device_ptrIxEEEEPS6_NSA_18transform_iteratorINSB_9not_fun_tI7is_trueIxEEENSC_INSD_IbEEEENSA_11use_defaultESO_EENS0_5tupleIJSF_S6_EEENSQ_IJSG_SG_EEES6_PlJS6_EEE10hipError_tPvRmT3_T4_T5_T6_T7_T9_mT8_P12ihipStream_tbDpT10_ENKUlT_T0_E_clISt17integral_constantIbLb0EES1C_IbLb1EEEEDaS18_S19_EUlS18_E_NS1_11comp_targetILNS1_3genE5ELNS1_11target_archE942ELNS1_3gpuE9ELNS1_3repE0EEENS1_30default_config_static_selectorELNS0_4arch9wavefront6targetE0EEEvT1_.has_indirect_call, 0
	.section	.AMDGPU.csdata,"",@progbits
; Kernel info:
; codeLenInByte = 0
; TotalNumSgprs: 0
; NumVgprs: 0
; ScratchSize: 0
; MemoryBound: 0
; FloatMode: 240
; IeeeMode: 1
; LDSByteSize: 0 bytes/workgroup (compile time only)
; SGPRBlocks: 0
; VGPRBlocks: 0
; NumSGPRsForWavesPerEU: 1
; NumVGPRsForWavesPerEU: 1
; Occupancy: 16
; WaveLimiterHint : 0
; COMPUTE_PGM_RSRC2:SCRATCH_EN: 0
; COMPUTE_PGM_RSRC2:USER_SGPR: 2
; COMPUTE_PGM_RSRC2:TRAP_HANDLER: 0
; COMPUTE_PGM_RSRC2:TGID_X_EN: 1
; COMPUTE_PGM_RSRC2:TGID_Y_EN: 0
; COMPUTE_PGM_RSRC2:TGID_Z_EN: 0
; COMPUTE_PGM_RSRC2:TIDIG_COMP_CNT: 0
	.section	.text._ZN7rocprim17ROCPRIM_400000_NS6detail17trampoline_kernelINS0_14default_configENS1_25partition_config_selectorILNS1_17partition_subalgoE5ExNS0_10empty_typeEbEEZZNS1_14partition_implILS5_5ELb0ES3_mN6thrust23THRUST_200600_302600_NS6detail15normal_iteratorINSA_10device_ptrIxEEEEPS6_NSA_18transform_iteratorINSB_9not_fun_tI7is_trueIxEEENSC_INSD_IbEEEENSA_11use_defaultESO_EENS0_5tupleIJSF_S6_EEENSQ_IJSG_SG_EEES6_PlJS6_EEE10hipError_tPvRmT3_T4_T5_T6_T7_T9_mT8_P12ihipStream_tbDpT10_ENKUlT_T0_E_clISt17integral_constantIbLb0EES1C_IbLb1EEEEDaS18_S19_EUlS18_E_NS1_11comp_targetILNS1_3genE4ELNS1_11target_archE910ELNS1_3gpuE8ELNS1_3repE0EEENS1_30default_config_static_selectorELNS0_4arch9wavefront6targetE0EEEvT1_,"axG",@progbits,_ZN7rocprim17ROCPRIM_400000_NS6detail17trampoline_kernelINS0_14default_configENS1_25partition_config_selectorILNS1_17partition_subalgoE5ExNS0_10empty_typeEbEEZZNS1_14partition_implILS5_5ELb0ES3_mN6thrust23THRUST_200600_302600_NS6detail15normal_iteratorINSA_10device_ptrIxEEEEPS6_NSA_18transform_iteratorINSB_9not_fun_tI7is_trueIxEEENSC_INSD_IbEEEENSA_11use_defaultESO_EENS0_5tupleIJSF_S6_EEENSQ_IJSG_SG_EEES6_PlJS6_EEE10hipError_tPvRmT3_T4_T5_T6_T7_T9_mT8_P12ihipStream_tbDpT10_ENKUlT_T0_E_clISt17integral_constantIbLb0EES1C_IbLb1EEEEDaS18_S19_EUlS18_E_NS1_11comp_targetILNS1_3genE4ELNS1_11target_archE910ELNS1_3gpuE8ELNS1_3repE0EEENS1_30default_config_static_selectorELNS0_4arch9wavefront6targetE0EEEvT1_,comdat
	.protected	_ZN7rocprim17ROCPRIM_400000_NS6detail17trampoline_kernelINS0_14default_configENS1_25partition_config_selectorILNS1_17partition_subalgoE5ExNS0_10empty_typeEbEEZZNS1_14partition_implILS5_5ELb0ES3_mN6thrust23THRUST_200600_302600_NS6detail15normal_iteratorINSA_10device_ptrIxEEEEPS6_NSA_18transform_iteratorINSB_9not_fun_tI7is_trueIxEEENSC_INSD_IbEEEENSA_11use_defaultESO_EENS0_5tupleIJSF_S6_EEENSQ_IJSG_SG_EEES6_PlJS6_EEE10hipError_tPvRmT3_T4_T5_T6_T7_T9_mT8_P12ihipStream_tbDpT10_ENKUlT_T0_E_clISt17integral_constantIbLb0EES1C_IbLb1EEEEDaS18_S19_EUlS18_E_NS1_11comp_targetILNS1_3genE4ELNS1_11target_archE910ELNS1_3gpuE8ELNS1_3repE0EEENS1_30default_config_static_selectorELNS0_4arch9wavefront6targetE0EEEvT1_ ; -- Begin function _ZN7rocprim17ROCPRIM_400000_NS6detail17trampoline_kernelINS0_14default_configENS1_25partition_config_selectorILNS1_17partition_subalgoE5ExNS0_10empty_typeEbEEZZNS1_14partition_implILS5_5ELb0ES3_mN6thrust23THRUST_200600_302600_NS6detail15normal_iteratorINSA_10device_ptrIxEEEEPS6_NSA_18transform_iteratorINSB_9not_fun_tI7is_trueIxEEENSC_INSD_IbEEEENSA_11use_defaultESO_EENS0_5tupleIJSF_S6_EEENSQ_IJSG_SG_EEES6_PlJS6_EEE10hipError_tPvRmT3_T4_T5_T6_T7_T9_mT8_P12ihipStream_tbDpT10_ENKUlT_T0_E_clISt17integral_constantIbLb0EES1C_IbLb1EEEEDaS18_S19_EUlS18_E_NS1_11comp_targetILNS1_3genE4ELNS1_11target_archE910ELNS1_3gpuE8ELNS1_3repE0EEENS1_30default_config_static_selectorELNS0_4arch9wavefront6targetE0EEEvT1_
	.globl	_ZN7rocprim17ROCPRIM_400000_NS6detail17trampoline_kernelINS0_14default_configENS1_25partition_config_selectorILNS1_17partition_subalgoE5ExNS0_10empty_typeEbEEZZNS1_14partition_implILS5_5ELb0ES3_mN6thrust23THRUST_200600_302600_NS6detail15normal_iteratorINSA_10device_ptrIxEEEEPS6_NSA_18transform_iteratorINSB_9not_fun_tI7is_trueIxEEENSC_INSD_IbEEEENSA_11use_defaultESO_EENS0_5tupleIJSF_S6_EEENSQ_IJSG_SG_EEES6_PlJS6_EEE10hipError_tPvRmT3_T4_T5_T6_T7_T9_mT8_P12ihipStream_tbDpT10_ENKUlT_T0_E_clISt17integral_constantIbLb0EES1C_IbLb1EEEEDaS18_S19_EUlS18_E_NS1_11comp_targetILNS1_3genE4ELNS1_11target_archE910ELNS1_3gpuE8ELNS1_3repE0EEENS1_30default_config_static_selectorELNS0_4arch9wavefront6targetE0EEEvT1_
	.p2align	8
	.type	_ZN7rocprim17ROCPRIM_400000_NS6detail17trampoline_kernelINS0_14default_configENS1_25partition_config_selectorILNS1_17partition_subalgoE5ExNS0_10empty_typeEbEEZZNS1_14partition_implILS5_5ELb0ES3_mN6thrust23THRUST_200600_302600_NS6detail15normal_iteratorINSA_10device_ptrIxEEEEPS6_NSA_18transform_iteratorINSB_9not_fun_tI7is_trueIxEEENSC_INSD_IbEEEENSA_11use_defaultESO_EENS0_5tupleIJSF_S6_EEENSQ_IJSG_SG_EEES6_PlJS6_EEE10hipError_tPvRmT3_T4_T5_T6_T7_T9_mT8_P12ihipStream_tbDpT10_ENKUlT_T0_E_clISt17integral_constantIbLb0EES1C_IbLb1EEEEDaS18_S19_EUlS18_E_NS1_11comp_targetILNS1_3genE4ELNS1_11target_archE910ELNS1_3gpuE8ELNS1_3repE0EEENS1_30default_config_static_selectorELNS0_4arch9wavefront6targetE0EEEvT1_,@function
_ZN7rocprim17ROCPRIM_400000_NS6detail17trampoline_kernelINS0_14default_configENS1_25partition_config_selectorILNS1_17partition_subalgoE5ExNS0_10empty_typeEbEEZZNS1_14partition_implILS5_5ELb0ES3_mN6thrust23THRUST_200600_302600_NS6detail15normal_iteratorINSA_10device_ptrIxEEEEPS6_NSA_18transform_iteratorINSB_9not_fun_tI7is_trueIxEEENSC_INSD_IbEEEENSA_11use_defaultESO_EENS0_5tupleIJSF_S6_EEENSQ_IJSG_SG_EEES6_PlJS6_EEE10hipError_tPvRmT3_T4_T5_T6_T7_T9_mT8_P12ihipStream_tbDpT10_ENKUlT_T0_E_clISt17integral_constantIbLb0EES1C_IbLb1EEEEDaS18_S19_EUlS18_E_NS1_11comp_targetILNS1_3genE4ELNS1_11target_archE910ELNS1_3gpuE8ELNS1_3repE0EEENS1_30default_config_static_selectorELNS0_4arch9wavefront6targetE0EEEvT1_: ; @_ZN7rocprim17ROCPRIM_400000_NS6detail17trampoline_kernelINS0_14default_configENS1_25partition_config_selectorILNS1_17partition_subalgoE5ExNS0_10empty_typeEbEEZZNS1_14partition_implILS5_5ELb0ES3_mN6thrust23THRUST_200600_302600_NS6detail15normal_iteratorINSA_10device_ptrIxEEEEPS6_NSA_18transform_iteratorINSB_9not_fun_tI7is_trueIxEEENSC_INSD_IbEEEENSA_11use_defaultESO_EENS0_5tupleIJSF_S6_EEENSQ_IJSG_SG_EEES6_PlJS6_EEE10hipError_tPvRmT3_T4_T5_T6_T7_T9_mT8_P12ihipStream_tbDpT10_ENKUlT_T0_E_clISt17integral_constantIbLb0EES1C_IbLb1EEEEDaS18_S19_EUlS18_E_NS1_11comp_targetILNS1_3genE4ELNS1_11target_archE910ELNS1_3gpuE8ELNS1_3repE0EEENS1_30default_config_static_selectorELNS0_4arch9wavefront6targetE0EEEvT1_
; %bb.0:
	.section	.rodata,"a",@progbits
	.p2align	6, 0x0
	.amdhsa_kernel _ZN7rocprim17ROCPRIM_400000_NS6detail17trampoline_kernelINS0_14default_configENS1_25partition_config_selectorILNS1_17partition_subalgoE5ExNS0_10empty_typeEbEEZZNS1_14partition_implILS5_5ELb0ES3_mN6thrust23THRUST_200600_302600_NS6detail15normal_iteratorINSA_10device_ptrIxEEEEPS6_NSA_18transform_iteratorINSB_9not_fun_tI7is_trueIxEEENSC_INSD_IbEEEENSA_11use_defaultESO_EENS0_5tupleIJSF_S6_EEENSQ_IJSG_SG_EEES6_PlJS6_EEE10hipError_tPvRmT3_T4_T5_T6_T7_T9_mT8_P12ihipStream_tbDpT10_ENKUlT_T0_E_clISt17integral_constantIbLb0EES1C_IbLb1EEEEDaS18_S19_EUlS18_E_NS1_11comp_targetILNS1_3genE4ELNS1_11target_archE910ELNS1_3gpuE8ELNS1_3repE0EEENS1_30default_config_static_selectorELNS0_4arch9wavefront6targetE0EEEvT1_
		.amdhsa_group_segment_fixed_size 0
		.amdhsa_private_segment_fixed_size 0
		.amdhsa_kernarg_size 136
		.amdhsa_user_sgpr_count 2
		.amdhsa_user_sgpr_dispatch_ptr 0
		.amdhsa_user_sgpr_queue_ptr 0
		.amdhsa_user_sgpr_kernarg_segment_ptr 1
		.amdhsa_user_sgpr_dispatch_id 0
		.amdhsa_user_sgpr_private_segment_size 0
		.amdhsa_wavefront_size32 1
		.amdhsa_uses_dynamic_stack 0
		.amdhsa_enable_private_segment 0
		.amdhsa_system_sgpr_workgroup_id_x 1
		.amdhsa_system_sgpr_workgroup_id_y 0
		.amdhsa_system_sgpr_workgroup_id_z 0
		.amdhsa_system_sgpr_workgroup_info 0
		.amdhsa_system_vgpr_workitem_id 0
		.amdhsa_next_free_vgpr 1
		.amdhsa_next_free_sgpr 1
		.amdhsa_reserve_vcc 0
		.amdhsa_float_round_mode_32 0
		.amdhsa_float_round_mode_16_64 0
		.amdhsa_float_denorm_mode_32 3
		.amdhsa_float_denorm_mode_16_64 3
		.amdhsa_fp16_overflow 0
		.amdhsa_workgroup_processor_mode 1
		.amdhsa_memory_ordered 1
		.amdhsa_forward_progress 1
		.amdhsa_inst_pref_size 0
		.amdhsa_round_robin_scheduling 0
		.amdhsa_exception_fp_ieee_invalid_op 0
		.amdhsa_exception_fp_denorm_src 0
		.amdhsa_exception_fp_ieee_div_zero 0
		.amdhsa_exception_fp_ieee_overflow 0
		.amdhsa_exception_fp_ieee_underflow 0
		.amdhsa_exception_fp_ieee_inexact 0
		.amdhsa_exception_int_div_zero 0
	.end_amdhsa_kernel
	.section	.text._ZN7rocprim17ROCPRIM_400000_NS6detail17trampoline_kernelINS0_14default_configENS1_25partition_config_selectorILNS1_17partition_subalgoE5ExNS0_10empty_typeEbEEZZNS1_14partition_implILS5_5ELb0ES3_mN6thrust23THRUST_200600_302600_NS6detail15normal_iteratorINSA_10device_ptrIxEEEEPS6_NSA_18transform_iteratorINSB_9not_fun_tI7is_trueIxEEENSC_INSD_IbEEEENSA_11use_defaultESO_EENS0_5tupleIJSF_S6_EEENSQ_IJSG_SG_EEES6_PlJS6_EEE10hipError_tPvRmT3_T4_T5_T6_T7_T9_mT8_P12ihipStream_tbDpT10_ENKUlT_T0_E_clISt17integral_constantIbLb0EES1C_IbLb1EEEEDaS18_S19_EUlS18_E_NS1_11comp_targetILNS1_3genE4ELNS1_11target_archE910ELNS1_3gpuE8ELNS1_3repE0EEENS1_30default_config_static_selectorELNS0_4arch9wavefront6targetE0EEEvT1_,"axG",@progbits,_ZN7rocprim17ROCPRIM_400000_NS6detail17trampoline_kernelINS0_14default_configENS1_25partition_config_selectorILNS1_17partition_subalgoE5ExNS0_10empty_typeEbEEZZNS1_14partition_implILS5_5ELb0ES3_mN6thrust23THRUST_200600_302600_NS6detail15normal_iteratorINSA_10device_ptrIxEEEEPS6_NSA_18transform_iteratorINSB_9not_fun_tI7is_trueIxEEENSC_INSD_IbEEEENSA_11use_defaultESO_EENS0_5tupleIJSF_S6_EEENSQ_IJSG_SG_EEES6_PlJS6_EEE10hipError_tPvRmT3_T4_T5_T6_T7_T9_mT8_P12ihipStream_tbDpT10_ENKUlT_T0_E_clISt17integral_constantIbLb0EES1C_IbLb1EEEEDaS18_S19_EUlS18_E_NS1_11comp_targetILNS1_3genE4ELNS1_11target_archE910ELNS1_3gpuE8ELNS1_3repE0EEENS1_30default_config_static_selectorELNS0_4arch9wavefront6targetE0EEEvT1_,comdat
.Lfunc_end2519:
	.size	_ZN7rocprim17ROCPRIM_400000_NS6detail17trampoline_kernelINS0_14default_configENS1_25partition_config_selectorILNS1_17partition_subalgoE5ExNS0_10empty_typeEbEEZZNS1_14partition_implILS5_5ELb0ES3_mN6thrust23THRUST_200600_302600_NS6detail15normal_iteratorINSA_10device_ptrIxEEEEPS6_NSA_18transform_iteratorINSB_9not_fun_tI7is_trueIxEEENSC_INSD_IbEEEENSA_11use_defaultESO_EENS0_5tupleIJSF_S6_EEENSQ_IJSG_SG_EEES6_PlJS6_EEE10hipError_tPvRmT3_T4_T5_T6_T7_T9_mT8_P12ihipStream_tbDpT10_ENKUlT_T0_E_clISt17integral_constantIbLb0EES1C_IbLb1EEEEDaS18_S19_EUlS18_E_NS1_11comp_targetILNS1_3genE4ELNS1_11target_archE910ELNS1_3gpuE8ELNS1_3repE0EEENS1_30default_config_static_selectorELNS0_4arch9wavefront6targetE0EEEvT1_, .Lfunc_end2519-_ZN7rocprim17ROCPRIM_400000_NS6detail17trampoline_kernelINS0_14default_configENS1_25partition_config_selectorILNS1_17partition_subalgoE5ExNS0_10empty_typeEbEEZZNS1_14partition_implILS5_5ELb0ES3_mN6thrust23THRUST_200600_302600_NS6detail15normal_iteratorINSA_10device_ptrIxEEEEPS6_NSA_18transform_iteratorINSB_9not_fun_tI7is_trueIxEEENSC_INSD_IbEEEENSA_11use_defaultESO_EENS0_5tupleIJSF_S6_EEENSQ_IJSG_SG_EEES6_PlJS6_EEE10hipError_tPvRmT3_T4_T5_T6_T7_T9_mT8_P12ihipStream_tbDpT10_ENKUlT_T0_E_clISt17integral_constantIbLb0EES1C_IbLb1EEEEDaS18_S19_EUlS18_E_NS1_11comp_targetILNS1_3genE4ELNS1_11target_archE910ELNS1_3gpuE8ELNS1_3repE0EEENS1_30default_config_static_selectorELNS0_4arch9wavefront6targetE0EEEvT1_
                                        ; -- End function
	.set _ZN7rocprim17ROCPRIM_400000_NS6detail17trampoline_kernelINS0_14default_configENS1_25partition_config_selectorILNS1_17partition_subalgoE5ExNS0_10empty_typeEbEEZZNS1_14partition_implILS5_5ELb0ES3_mN6thrust23THRUST_200600_302600_NS6detail15normal_iteratorINSA_10device_ptrIxEEEEPS6_NSA_18transform_iteratorINSB_9not_fun_tI7is_trueIxEEENSC_INSD_IbEEEENSA_11use_defaultESO_EENS0_5tupleIJSF_S6_EEENSQ_IJSG_SG_EEES6_PlJS6_EEE10hipError_tPvRmT3_T4_T5_T6_T7_T9_mT8_P12ihipStream_tbDpT10_ENKUlT_T0_E_clISt17integral_constantIbLb0EES1C_IbLb1EEEEDaS18_S19_EUlS18_E_NS1_11comp_targetILNS1_3genE4ELNS1_11target_archE910ELNS1_3gpuE8ELNS1_3repE0EEENS1_30default_config_static_selectorELNS0_4arch9wavefront6targetE0EEEvT1_.num_vgpr, 0
	.set _ZN7rocprim17ROCPRIM_400000_NS6detail17trampoline_kernelINS0_14default_configENS1_25partition_config_selectorILNS1_17partition_subalgoE5ExNS0_10empty_typeEbEEZZNS1_14partition_implILS5_5ELb0ES3_mN6thrust23THRUST_200600_302600_NS6detail15normal_iteratorINSA_10device_ptrIxEEEEPS6_NSA_18transform_iteratorINSB_9not_fun_tI7is_trueIxEEENSC_INSD_IbEEEENSA_11use_defaultESO_EENS0_5tupleIJSF_S6_EEENSQ_IJSG_SG_EEES6_PlJS6_EEE10hipError_tPvRmT3_T4_T5_T6_T7_T9_mT8_P12ihipStream_tbDpT10_ENKUlT_T0_E_clISt17integral_constantIbLb0EES1C_IbLb1EEEEDaS18_S19_EUlS18_E_NS1_11comp_targetILNS1_3genE4ELNS1_11target_archE910ELNS1_3gpuE8ELNS1_3repE0EEENS1_30default_config_static_selectorELNS0_4arch9wavefront6targetE0EEEvT1_.num_agpr, 0
	.set _ZN7rocprim17ROCPRIM_400000_NS6detail17trampoline_kernelINS0_14default_configENS1_25partition_config_selectorILNS1_17partition_subalgoE5ExNS0_10empty_typeEbEEZZNS1_14partition_implILS5_5ELb0ES3_mN6thrust23THRUST_200600_302600_NS6detail15normal_iteratorINSA_10device_ptrIxEEEEPS6_NSA_18transform_iteratorINSB_9not_fun_tI7is_trueIxEEENSC_INSD_IbEEEENSA_11use_defaultESO_EENS0_5tupleIJSF_S6_EEENSQ_IJSG_SG_EEES6_PlJS6_EEE10hipError_tPvRmT3_T4_T5_T6_T7_T9_mT8_P12ihipStream_tbDpT10_ENKUlT_T0_E_clISt17integral_constantIbLb0EES1C_IbLb1EEEEDaS18_S19_EUlS18_E_NS1_11comp_targetILNS1_3genE4ELNS1_11target_archE910ELNS1_3gpuE8ELNS1_3repE0EEENS1_30default_config_static_selectorELNS0_4arch9wavefront6targetE0EEEvT1_.numbered_sgpr, 0
	.set _ZN7rocprim17ROCPRIM_400000_NS6detail17trampoline_kernelINS0_14default_configENS1_25partition_config_selectorILNS1_17partition_subalgoE5ExNS0_10empty_typeEbEEZZNS1_14partition_implILS5_5ELb0ES3_mN6thrust23THRUST_200600_302600_NS6detail15normal_iteratorINSA_10device_ptrIxEEEEPS6_NSA_18transform_iteratorINSB_9not_fun_tI7is_trueIxEEENSC_INSD_IbEEEENSA_11use_defaultESO_EENS0_5tupleIJSF_S6_EEENSQ_IJSG_SG_EEES6_PlJS6_EEE10hipError_tPvRmT3_T4_T5_T6_T7_T9_mT8_P12ihipStream_tbDpT10_ENKUlT_T0_E_clISt17integral_constantIbLb0EES1C_IbLb1EEEEDaS18_S19_EUlS18_E_NS1_11comp_targetILNS1_3genE4ELNS1_11target_archE910ELNS1_3gpuE8ELNS1_3repE0EEENS1_30default_config_static_selectorELNS0_4arch9wavefront6targetE0EEEvT1_.num_named_barrier, 0
	.set _ZN7rocprim17ROCPRIM_400000_NS6detail17trampoline_kernelINS0_14default_configENS1_25partition_config_selectorILNS1_17partition_subalgoE5ExNS0_10empty_typeEbEEZZNS1_14partition_implILS5_5ELb0ES3_mN6thrust23THRUST_200600_302600_NS6detail15normal_iteratorINSA_10device_ptrIxEEEEPS6_NSA_18transform_iteratorINSB_9not_fun_tI7is_trueIxEEENSC_INSD_IbEEEENSA_11use_defaultESO_EENS0_5tupleIJSF_S6_EEENSQ_IJSG_SG_EEES6_PlJS6_EEE10hipError_tPvRmT3_T4_T5_T6_T7_T9_mT8_P12ihipStream_tbDpT10_ENKUlT_T0_E_clISt17integral_constantIbLb0EES1C_IbLb1EEEEDaS18_S19_EUlS18_E_NS1_11comp_targetILNS1_3genE4ELNS1_11target_archE910ELNS1_3gpuE8ELNS1_3repE0EEENS1_30default_config_static_selectorELNS0_4arch9wavefront6targetE0EEEvT1_.private_seg_size, 0
	.set _ZN7rocprim17ROCPRIM_400000_NS6detail17trampoline_kernelINS0_14default_configENS1_25partition_config_selectorILNS1_17partition_subalgoE5ExNS0_10empty_typeEbEEZZNS1_14partition_implILS5_5ELb0ES3_mN6thrust23THRUST_200600_302600_NS6detail15normal_iteratorINSA_10device_ptrIxEEEEPS6_NSA_18transform_iteratorINSB_9not_fun_tI7is_trueIxEEENSC_INSD_IbEEEENSA_11use_defaultESO_EENS0_5tupleIJSF_S6_EEENSQ_IJSG_SG_EEES6_PlJS6_EEE10hipError_tPvRmT3_T4_T5_T6_T7_T9_mT8_P12ihipStream_tbDpT10_ENKUlT_T0_E_clISt17integral_constantIbLb0EES1C_IbLb1EEEEDaS18_S19_EUlS18_E_NS1_11comp_targetILNS1_3genE4ELNS1_11target_archE910ELNS1_3gpuE8ELNS1_3repE0EEENS1_30default_config_static_selectorELNS0_4arch9wavefront6targetE0EEEvT1_.uses_vcc, 0
	.set _ZN7rocprim17ROCPRIM_400000_NS6detail17trampoline_kernelINS0_14default_configENS1_25partition_config_selectorILNS1_17partition_subalgoE5ExNS0_10empty_typeEbEEZZNS1_14partition_implILS5_5ELb0ES3_mN6thrust23THRUST_200600_302600_NS6detail15normal_iteratorINSA_10device_ptrIxEEEEPS6_NSA_18transform_iteratorINSB_9not_fun_tI7is_trueIxEEENSC_INSD_IbEEEENSA_11use_defaultESO_EENS0_5tupleIJSF_S6_EEENSQ_IJSG_SG_EEES6_PlJS6_EEE10hipError_tPvRmT3_T4_T5_T6_T7_T9_mT8_P12ihipStream_tbDpT10_ENKUlT_T0_E_clISt17integral_constantIbLb0EES1C_IbLb1EEEEDaS18_S19_EUlS18_E_NS1_11comp_targetILNS1_3genE4ELNS1_11target_archE910ELNS1_3gpuE8ELNS1_3repE0EEENS1_30default_config_static_selectorELNS0_4arch9wavefront6targetE0EEEvT1_.uses_flat_scratch, 0
	.set _ZN7rocprim17ROCPRIM_400000_NS6detail17trampoline_kernelINS0_14default_configENS1_25partition_config_selectorILNS1_17partition_subalgoE5ExNS0_10empty_typeEbEEZZNS1_14partition_implILS5_5ELb0ES3_mN6thrust23THRUST_200600_302600_NS6detail15normal_iteratorINSA_10device_ptrIxEEEEPS6_NSA_18transform_iteratorINSB_9not_fun_tI7is_trueIxEEENSC_INSD_IbEEEENSA_11use_defaultESO_EENS0_5tupleIJSF_S6_EEENSQ_IJSG_SG_EEES6_PlJS6_EEE10hipError_tPvRmT3_T4_T5_T6_T7_T9_mT8_P12ihipStream_tbDpT10_ENKUlT_T0_E_clISt17integral_constantIbLb0EES1C_IbLb1EEEEDaS18_S19_EUlS18_E_NS1_11comp_targetILNS1_3genE4ELNS1_11target_archE910ELNS1_3gpuE8ELNS1_3repE0EEENS1_30default_config_static_selectorELNS0_4arch9wavefront6targetE0EEEvT1_.has_dyn_sized_stack, 0
	.set _ZN7rocprim17ROCPRIM_400000_NS6detail17trampoline_kernelINS0_14default_configENS1_25partition_config_selectorILNS1_17partition_subalgoE5ExNS0_10empty_typeEbEEZZNS1_14partition_implILS5_5ELb0ES3_mN6thrust23THRUST_200600_302600_NS6detail15normal_iteratorINSA_10device_ptrIxEEEEPS6_NSA_18transform_iteratorINSB_9not_fun_tI7is_trueIxEEENSC_INSD_IbEEEENSA_11use_defaultESO_EENS0_5tupleIJSF_S6_EEENSQ_IJSG_SG_EEES6_PlJS6_EEE10hipError_tPvRmT3_T4_T5_T6_T7_T9_mT8_P12ihipStream_tbDpT10_ENKUlT_T0_E_clISt17integral_constantIbLb0EES1C_IbLb1EEEEDaS18_S19_EUlS18_E_NS1_11comp_targetILNS1_3genE4ELNS1_11target_archE910ELNS1_3gpuE8ELNS1_3repE0EEENS1_30default_config_static_selectorELNS0_4arch9wavefront6targetE0EEEvT1_.has_recursion, 0
	.set _ZN7rocprim17ROCPRIM_400000_NS6detail17trampoline_kernelINS0_14default_configENS1_25partition_config_selectorILNS1_17partition_subalgoE5ExNS0_10empty_typeEbEEZZNS1_14partition_implILS5_5ELb0ES3_mN6thrust23THRUST_200600_302600_NS6detail15normal_iteratorINSA_10device_ptrIxEEEEPS6_NSA_18transform_iteratorINSB_9not_fun_tI7is_trueIxEEENSC_INSD_IbEEEENSA_11use_defaultESO_EENS0_5tupleIJSF_S6_EEENSQ_IJSG_SG_EEES6_PlJS6_EEE10hipError_tPvRmT3_T4_T5_T6_T7_T9_mT8_P12ihipStream_tbDpT10_ENKUlT_T0_E_clISt17integral_constantIbLb0EES1C_IbLb1EEEEDaS18_S19_EUlS18_E_NS1_11comp_targetILNS1_3genE4ELNS1_11target_archE910ELNS1_3gpuE8ELNS1_3repE0EEENS1_30default_config_static_selectorELNS0_4arch9wavefront6targetE0EEEvT1_.has_indirect_call, 0
	.section	.AMDGPU.csdata,"",@progbits
; Kernel info:
; codeLenInByte = 0
; TotalNumSgprs: 0
; NumVgprs: 0
; ScratchSize: 0
; MemoryBound: 0
; FloatMode: 240
; IeeeMode: 1
; LDSByteSize: 0 bytes/workgroup (compile time only)
; SGPRBlocks: 0
; VGPRBlocks: 0
; NumSGPRsForWavesPerEU: 1
; NumVGPRsForWavesPerEU: 1
; Occupancy: 16
; WaveLimiterHint : 0
; COMPUTE_PGM_RSRC2:SCRATCH_EN: 0
; COMPUTE_PGM_RSRC2:USER_SGPR: 2
; COMPUTE_PGM_RSRC2:TRAP_HANDLER: 0
; COMPUTE_PGM_RSRC2:TGID_X_EN: 1
; COMPUTE_PGM_RSRC2:TGID_Y_EN: 0
; COMPUTE_PGM_RSRC2:TGID_Z_EN: 0
; COMPUTE_PGM_RSRC2:TIDIG_COMP_CNT: 0
	.section	.text._ZN7rocprim17ROCPRIM_400000_NS6detail17trampoline_kernelINS0_14default_configENS1_25partition_config_selectorILNS1_17partition_subalgoE5ExNS0_10empty_typeEbEEZZNS1_14partition_implILS5_5ELb0ES3_mN6thrust23THRUST_200600_302600_NS6detail15normal_iteratorINSA_10device_ptrIxEEEEPS6_NSA_18transform_iteratorINSB_9not_fun_tI7is_trueIxEEENSC_INSD_IbEEEENSA_11use_defaultESO_EENS0_5tupleIJSF_S6_EEENSQ_IJSG_SG_EEES6_PlJS6_EEE10hipError_tPvRmT3_T4_T5_T6_T7_T9_mT8_P12ihipStream_tbDpT10_ENKUlT_T0_E_clISt17integral_constantIbLb0EES1C_IbLb1EEEEDaS18_S19_EUlS18_E_NS1_11comp_targetILNS1_3genE3ELNS1_11target_archE908ELNS1_3gpuE7ELNS1_3repE0EEENS1_30default_config_static_selectorELNS0_4arch9wavefront6targetE0EEEvT1_,"axG",@progbits,_ZN7rocprim17ROCPRIM_400000_NS6detail17trampoline_kernelINS0_14default_configENS1_25partition_config_selectorILNS1_17partition_subalgoE5ExNS0_10empty_typeEbEEZZNS1_14partition_implILS5_5ELb0ES3_mN6thrust23THRUST_200600_302600_NS6detail15normal_iteratorINSA_10device_ptrIxEEEEPS6_NSA_18transform_iteratorINSB_9not_fun_tI7is_trueIxEEENSC_INSD_IbEEEENSA_11use_defaultESO_EENS0_5tupleIJSF_S6_EEENSQ_IJSG_SG_EEES6_PlJS6_EEE10hipError_tPvRmT3_T4_T5_T6_T7_T9_mT8_P12ihipStream_tbDpT10_ENKUlT_T0_E_clISt17integral_constantIbLb0EES1C_IbLb1EEEEDaS18_S19_EUlS18_E_NS1_11comp_targetILNS1_3genE3ELNS1_11target_archE908ELNS1_3gpuE7ELNS1_3repE0EEENS1_30default_config_static_selectorELNS0_4arch9wavefront6targetE0EEEvT1_,comdat
	.protected	_ZN7rocprim17ROCPRIM_400000_NS6detail17trampoline_kernelINS0_14default_configENS1_25partition_config_selectorILNS1_17partition_subalgoE5ExNS0_10empty_typeEbEEZZNS1_14partition_implILS5_5ELb0ES3_mN6thrust23THRUST_200600_302600_NS6detail15normal_iteratorINSA_10device_ptrIxEEEEPS6_NSA_18transform_iteratorINSB_9not_fun_tI7is_trueIxEEENSC_INSD_IbEEEENSA_11use_defaultESO_EENS0_5tupleIJSF_S6_EEENSQ_IJSG_SG_EEES6_PlJS6_EEE10hipError_tPvRmT3_T4_T5_T6_T7_T9_mT8_P12ihipStream_tbDpT10_ENKUlT_T0_E_clISt17integral_constantIbLb0EES1C_IbLb1EEEEDaS18_S19_EUlS18_E_NS1_11comp_targetILNS1_3genE3ELNS1_11target_archE908ELNS1_3gpuE7ELNS1_3repE0EEENS1_30default_config_static_selectorELNS0_4arch9wavefront6targetE0EEEvT1_ ; -- Begin function _ZN7rocprim17ROCPRIM_400000_NS6detail17trampoline_kernelINS0_14default_configENS1_25partition_config_selectorILNS1_17partition_subalgoE5ExNS0_10empty_typeEbEEZZNS1_14partition_implILS5_5ELb0ES3_mN6thrust23THRUST_200600_302600_NS6detail15normal_iteratorINSA_10device_ptrIxEEEEPS6_NSA_18transform_iteratorINSB_9not_fun_tI7is_trueIxEEENSC_INSD_IbEEEENSA_11use_defaultESO_EENS0_5tupleIJSF_S6_EEENSQ_IJSG_SG_EEES6_PlJS6_EEE10hipError_tPvRmT3_T4_T5_T6_T7_T9_mT8_P12ihipStream_tbDpT10_ENKUlT_T0_E_clISt17integral_constantIbLb0EES1C_IbLb1EEEEDaS18_S19_EUlS18_E_NS1_11comp_targetILNS1_3genE3ELNS1_11target_archE908ELNS1_3gpuE7ELNS1_3repE0EEENS1_30default_config_static_selectorELNS0_4arch9wavefront6targetE0EEEvT1_
	.globl	_ZN7rocprim17ROCPRIM_400000_NS6detail17trampoline_kernelINS0_14default_configENS1_25partition_config_selectorILNS1_17partition_subalgoE5ExNS0_10empty_typeEbEEZZNS1_14partition_implILS5_5ELb0ES3_mN6thrust23THRUST_200600_302600_NS6detail15normal_iteratorINSA_10device_ptrIxEEEEPS6_NSA_18transform_iteratorINSB_9not_fun_tI7is_trueIxEEENSC_INSD_IbEEEENSA_11use_defaultESO_EENS0_5tupleIJSF_S6_EEENSQ_IJSG_SG_EEES6_PlJS6_EEE10hipError_tPvRmT3_T4_T5_T6_T7_T9_mT8_P12ihipStream_tbDpT10_ENKUlT_T0_E_clISt17integral_constantIbLb0EES1C_IbLb1EEEEDaS18_S19_EUlS18_E_NS1_11comp_targetILNS1_3genE3ELNS1_11target_archE908ELNS1_3gpuE7ELNS1_3repE0EEENS1_30default_config_static_selectorELNS0_4arch9wavefront6targetE0EEEvT1_
	.p2align	8
	.type	_ZN7rocprim17ROCPRIM_400000_NS6detail17trampoline_kernelINS0_14default_configENS1_25partition_config_selectorILNS1_17partition_subalgoE5ExNS0_10empty_typeEbEEZZNS1_14partition_implILS5_5ELb0ES3_mN6thrust23THRUST_200600_302600_NS6detail15normal_iteratorINSA_10device_ptrIxEEEEPS6_NSA_18transform_iteratorINSB_9not_fun_tI7is_trueIxEEENSC_INSD_IbEEEENSA_11use_defaultESO_EENS0_5tupleIJSF_S6_EEENSQ_IJSG_SG_EEES6_PlJS6_EEE10hipError_tPvRmT3_T4_T5_T6_T7_T9_mT8_P12ihipStream_tbDpT10_ENKUlT_T0_E_clISt17integral_constantIbLb0EES1C_IbLb1EEEEDaS18_S19_EUlS18_E_NS1_11comp_targetILNS1_3genE3ELNS1_11target_archE908ELNS1_3gpuE7ELNS1_3repE0EEENS1_30default_config_static_selectorELNS0_4arch9wavefront6targetE0EEEvT1_,@function
_ZN7rocprim17ROCPRIM_400000_NS6detail17trampoline_kernelINS0_14default_configENS1_25partition_config_selectorILNS1_17partition_subalgoE5ExNS0_10empty_typeEbEEZZNS1_14partition_implILS5_5ELb0ES3_mN6thrust23THRUST_200600_302600_NS6detail15normal_iteratorINSA_10device_ptrIxEEEEPS6_NSA_18transform_iteratorINSB_9not_fun_tI7is_trueIxEEENSC_INSD_IbEEEENSA_11use_defaultESO_EENS0_5tupleIJSF_S6_EEENSQ_IJSG_SG_EEES6_PlJS6_EEE10hipError_tPvRmT3_T4_T5_T6_T7_T9_mT8_P12ihipStream_tbDpT10_ENKUlT_T0_E_clISt17integral_constantIbLb0EES1C_IbLb1EEEEDaS18_S19_EUlS18_E_NS1_11comp_targetILNS1_3genE3ELNS1_11target_archE908ELNS1_3gpuE7ELNS1_3repE0EEENS1_30default_config_static_selectorELNS0_4arch9wavefront6targetE0EEEvT1_: ; @_ZN7rocprim17ROCPRIM_400000_NS6detail17trampoline_kernelINS0_14default_configENS1_25partition_config_selectorILNS1_17partition_subalgoE5ExNS0_10empty_typeEbEEZZNS1_14partition_implILS5_5ELb0ES3_mN6thrust23THRUST_200600_302600_NS6detail15normal_iteratorINSA_10device_ptrIxEEEEPS6_NSA_18transform_iteratorINSB_9not_fun_tI7is_trueIxEEENSC_INSD_IbEEEENSA_11use_defaultESO_EENS0_5tupleIJSF_S6_EEENSQ_IJSG_SG_EEES6_PlJS6_EEE10hipError_tPvRmT3_T4_T5_T6_T7_T9_mT8_P12ihipStream_tbDpT10_ENKUlT_T0_E_clISt17integral_constantIbLb0EES1C_IbLb1EEEEDaS18_S19_EUlS18_E_NS1_11comp_targetILNS1_3genE3ELNS1_11target_archE908ELNS1_3gpuE7ELNS1_3repE0EEENS1_30default_config_static_selectorELNS0_4arch9wavefront6targetE0EEEvT1_
; %bb.0:
	.section	.rodata,"a",@progbits
	.p2align	6, 0x0
	.amdhsa_kernel _ZN7rocprim17ROCPRIM_400000_NS6detail17trampoline_kernelINS0_14default_configENS1_25partition_config_selectorILNS1_17partition_subalgoE5ExNS0_10empty_typeEbEEZZNS1_14partition_implILS5_5ELb0ES3_mN6thrust23THRUST_200600_302600_NS6detail15normal_iteratorINSA_10device_ptrIxEEEEPS6_NSA_18transform_iteratorINSB_9not_fun_tI7is_trueIxEEENSC_INSD_IbEEEENSA_11use_defaultESO_EENS0_5tupleIJSF_S6_EEENSQ_IJSG_SG_EEES6_PlJS6_EEE10hipError_tPvRmT3_T4_T5_T6_T7_T9_mT8_P12ihipStream_tbDpT10_ENKUlT_T0_E_clISt17integral_constantIbLb0EES1C_IbLb1EEEEDaS18_S19_EUlS18_E_NS1_11comp_targetILNS1_3genE3ELNS1_11target_archE908ELNS1_3gpuE7ELNS1_3repE0EEENS1_30default_config_static_selectorELNS0_4arch9wavefront6targetE0EEEvT1_
		.amdhsa_group_segment_fixed_size 0
		.amdhsa_private_segment_fixed_size 0
		.amdhsa_kernarg_size 136
		.amdhsa_user_sgpr_count 2
		.amdhsa_user_sgpr_dispatch_ptr 0
		.amdhsa_user_sgpr_queue_ptr 0
		.amdhsa_user_sgpr_kernarg_segment_ptr 1
		.amdhsa_user_sgpr_dispatch_id 0
		.amdhsa_user_sgpr_private_segment_size 0
		.amdhsa_wavefront_size32 1
		.amdhsa_uses_dynamic_stack 0
		.amdhsa_enable_private_segment 0
		.amdhsa_system_sgpr_workgroup_id_x 1
		.amdhsa_system_sgpr_workgroup_id_y 0
		.amdhsa_system_sgpr_workgroup_id_z 0
		.amdhsa_system_sgpr_workgroup_info 0
		.amdhsa_system_vgpr_workitem_id 0
		.amdhsa_next_free_vgpr 1
		.amdhsa_next_free_sgpr 1
		.amdhsa_reserve_vcc 0
		.amdhsa_float_round_mode_32 0
		.amdhsa_float_round_mode_16_64 0
		.amdhsa_float_denorm_mode_32 3
		.amdhsa_float_denorm_mode_16_64 3
		.amdhsa_fp16_overflow 0
		.amdhsa_workgroup_processor_mode 1
		.amdhsa_memory_ordered 1
		.amdhsa_forward_progress 1
		.amdhsa_inst_pref_size 0
		.amdhsa_round_robin_scheduling 0
		.amdhsa_exception_fp_ieee_invalid_op 0
		.amdhsa_exception_fp_denorm_src 0
		.amdhsa_exception_fp_ieee_div_zero 0
		.amdhsa_exception_fp_ieee_overflow 0
		.amdhsa_exception_fp_ieee_underflow 0
		.amdhsa_exception_fp_ieee_inexact 0
		.amdhsa_exception_int_div_zero 0
	.end_amdhsa_kernel
	.section	.text._ZN7rocprim17ROCPRIM_400000_NS6detail17trampoline_kernelINS0_14default_configENS1_25partition_config_selectorILNS1_17partition_subalgoE5ExNS0_10empty_typeEbEEZZNS1_14partition_implILS5_5ELb0ES3_mN6thrust23THRUST_200600_302600_NS6detail15normal_iteratorINSA_10device_ptrIxEEEEPS6_NSA_18transform_iteratorINSB_9not_fun_tI7is_trueIxEEENSC_INSD_IbEEEENSA_11use_defaultESO_EENS0_5tupleIJSF_S6_EEENSQ_IJSG_SG_EEES6_PlJS6_EEE10hipError_tPvRmT3_T4_T5_T6_T7_T9_mT8_P12ihipStream_tbDpT10_ENKUlT_T0_E_clISt17integral_constantIbLb0EES1C_IbLb1EEEEDaS18_S19_EUlS18_E_NS1_11comp_targetILNS1_3genE3ELNS1_11target_archE908ELNS1_3gpuE7ELNS1_3repE0EEENS1_30default_config_static_selectorELNS0_4arch9wavefront6targetE0EEEvT1_,"axG",@progbits,_ZN7rocprim17ROCPRIM_400000_NS6detail17trampoline_kernelINS0_14default_configENS1_25partition_config_selectorILNS1_17partition_subalgoE5ExNS0_10empty_typeEbEEZZNS1_14partition_implILS5_5ELb0ES3_mN6thrust23THRUST_200600_302600_NS6detail15normal_iteratorINSA_10device_ptrIxEEEEPS6_NSA_18transform_iteratorINSB_9not_fun_tI7is_trueIxEEENSC_INSD_IbEEEENSA_11use_defaultESO_EENS0_5tupleIJSF_S6_EEENSQ_IJSG_SG_EEES6_PlJS6_EEE10hipError_tPvRmT3_T4_T5_T6_T7_T9_mT8_P12ihipStream_tbDpT10_ENKUlT_T0_E_clISt17integral_constantIbLb0EES1C_IbLb1EEEEDaS18_S19_EUlS18_E_NS1_11comp_targetILNS1_3genE3ELNS1_11target_archE908ELNS1_3gpuE7ELNS1_3repE0EEENS1_30default_config_static_selectorELNS0_4arch9wavefront6targetE0EEEvT1_,comdat
.Lfunc_end2520:
	.size	_ZN7rocprim17ROCPRIM_400000_NS6detail17trampoline_kernelINS0_14default_configENS1_25partition_config_selectorILNS1_17partition_subalgoE5ExNS0_10empty_typeEbEEZZNS1_14partition_implILS5_5ELb0ES3_mN6thrust23THRUST_200600_302600_NS6detail15normal_iteratorINSA_10device_ptrIxEEEEPS6_NSA_18transform_iteratorINSB_9not_fun_tI7is_trueIxEEENSC_INSD_IbEEEENSA_11use_defaultESO_EENS0_5tupleIJSF_S6_EEENSQ_IJSG_SG_EEES6_PlJS6_EEE10hipError_tPvRmT3_T4_T5_T6_T7_T9_mT8_P12ihipStream_tbDpT10_ENKUlT_T0_E_clISt17integral_constantIbLb0EES1C_IbLb1EEEEDaS18_S19_EUlS18_E_NS1_11comp_targetILNS1_3genE3ELNS1_11target_archE908ELNS1_3gpuE7ELNS1_3repE0EEENS1_30default_config_static_selectorELNS0_4arch9wavefront6targetE0EEEvT1_, .Lfunc_end2520-_ZN7rocprim17ROCPRIM_400000_NS6detail17trampoline_kernelINS0_14default_configENS1_25partition_config_selectorILNS1_17partition_subalgoE5ExNS0_10empty_typeEbEEZZNS1_14partition_implILS5_5ELb0ES3_mN6thrust23THRUST_200600_302600_NS6detail15normal_iteratorINSA_10device_ptrIxEEEEPS6_NSA_18transform_iteratorINSB_9not_fun_tI7is_trueIxEEENSC_INSD_IbEEEENSA_11use_defaultESO_EENS0_5tupleIJSF_S6_EEENSQ_IJSG_SG_EEES6_PlJS6_EEE10hipError_tPvRmT3_T4_T5_T6_T7_T9_mT8_P12ihipStream_tbDpT10_ENKUlT_T0_E_clISt17integral_constantIbLb0EES1C_IbLb1EEEEDaS18_S19_EUlS18_E_NS1_11comp_targetILNS1_3genE3ELNS1_11target_archE908ELNS1_3gpuE7ELNS1_3repE0EEENS1_30default_config_static_selectorELNS0_4arch9wavefront6targetE0EEEvT1_
                                        ; -- End function
	.set _ZN7rocprim17ROCPRIM_400000_NS6detail17trampoline_kernelINS0_14default_configENS1_25partition_config_selectorILNS1_17partition_subalgoE5ExNS0_10empty_typeEbEEZZNS1_14partition_implILS5_5ELb0ES3_mN6thrust23THRUST_200600_302600_NS6detail15normal_iteratorINSA_10device_ptrIxEEEEPS6_NSA_18transform_iteratorINSB_9not_fun_tI7is_trueIxEEENSC_INSD_IbEEEENSA_11use_defaultESO_EENS0_5tupleIJSF_S6_EEENSQ_IJSG_SG_EEES6_PlJS6_EEE10hipError_tPvRmT3_T4_T5_T6_T7_T9_mT8_P12ihipStream_tbDpT10_ENKUlT_T0_E_clISt17integral_constantIbLb0EES1C_IbLb1EEEEDaS18_S19_EUlS18_E_NS1_11comp_targetILNS1_3genE3ELNS1_11target_archE908ELNS1_3gpuE7ELNS1_3repE0EEENS1_30default_config_static_selectorELNS0_4arch9wavefront6targetE0EEEvT1_.num_vgpr, 0
	.set _ZN7rocprim17ROCPRIM_400000_NS6detail17trampoline_kernelINS0_14default_configENS1_25partition_config_selectorILNS1_17partition_subalgoE5ExNS0_10empty_typeEbEEZZNS1_14partition_implILS5_5ELb0ES3_mN6thrust23THRUST_200600_302600_NS6detail15normal_iteratorINSA_10device_ptrIxEEEEPS6_NSA_18transform_iteratorINSB_9not_fun_tI7is_trueIxEEENSC_INSD_IbEEEENSA_11use_defaultESO_EENS0_5tupleIJSF_S6_EEENSQ_IJSG_SG_EEES6_PlJS6_EEE10hipError_tPvRmT3_T4_T5_T6_T7_T9_mT8_P12ihipStream_tbDpT10_ENKUlT_T0_E_clISt17integral_constantIbLb0EES1C_IbLb1EEEEDaS18_S19_EUlS18_E_NS1_11comp_targetILNS1_3genE3ELNS1_11target_archE908ELNS1_3gpuE7ELNS1_3repE0EEENS1_30default_config_static_selectorELNS0_4arch9wavefront6targetE0EEEvT1_.num_agpr, 0
	.set _ZN7rocprim17ROCPRIM_400000_NS6detail17trampoline_kernelINS0_14default_configENS1_25partition_config_selectorILNS1_17partition_subalgoE5ExNS0_10empty_typeEbEEZZNS1_14partition_implILS5_5ELb0ES3_mN6thrust23THRUST_200600_302600_NS6detail15normal_iteratorINSA_10device_ptrIxEEEEPS6_NSA_18transform_iteratorINSB_9not_fun_tI7is_trueIxEEENSC_INSD_IbEEEENSA_11use_defaultESO_EENS0_5tupleIJSF_S6_EEENSQ_IJSG_SG_EEES6_PlJS6_EEE10hipError_tPvRmT3_T4_T5_T6_T7_T9_mT8_P12ihipStream_tbDpT10_ENKUlT_T0_E_clISt17integral_constantIbLb0EES1C_IbLb1EEEEDaS18_S19_EUlS18_E_NS1_11comp_targetILNS1_3genE3ELNS1_11target_archE908ELNS1_3gpuE7ELNS1_3repE0EEENS1_30default_config_static_selectorELNS0_4arch9wavefront6targetE0EEEvT1_.numbered_sgpr, 0
	.set _ZN7rocprim17ROCPRIM_400000_NS6detail17trampoline_kernelINS0_14default_configENS1_25partition_config_selectorILNS1_17partition_subalgoE5ExNS0_10empty_typeEbEEZZNS1_14partition_implILS5_5ELb0ES3_mN6thrust23THRUST_200600_302600_NS6detail15normal_iteratorINSA_10device_ptrIxEEEEPS6_NSA_18transform_iteratorINSB_9not_fun_tI7is_trueIxEEENSC_INSD_IbEEEENSA_11use_defaultESO_EENS0_5tupleIJSF_S6_EEENSQ_IJSG_SG_EEES6_PlJS6_EEE10hipError_tPvRmT3_T4_T5_T6_T7_T9_mT8_P12ihipStream_tbDpT10_ENKUlT_T0_E_clISt17integral_constantIbLb0EES1C_IbLb1EEEEDaS18_S19_EUlS18_E_NS1_11comp_targetILNS1_3genE3ELNS1_11target_archE908ELNS1_3gpuE7ELNS1_3repE0EEENS1_30default_config_static_selectorELNS0_4arch9wavefront6targetE0EEEvT1_.num_named_barrier, 0
	.set _ZN7rocprim17ROCPRIM_400000_NS6detail17trampoline_kernelINS0_14default_configENS1_25partition_config_selectorILNS1_17partition_subalgoE5ExNS0_10empty_typeEbEEZZNS1_14partition_implILS5_5ELb0ES3_mN6thrust23THRUST_200600_302600_NS6detail15normal_iteratorINSA_10device_ptrIxEEEEPS6_NSA_18transform_iteratorINSB_9not_fun_tI7is_trueIxEEENSC_INSD_IbEEEENSA_11use_defaultESO_EENS0_5tupleIJSF_S6_EEENSQ_IJSG_SG_EEES6_PlJS6_EEE10hipError_tPvRmT3_T4_T5_T6_T7_T9_mT8_P12ihipStream_tbDpT10_ENKUlT_T0_E_clISt17integral_constantIbLb0EES1C_IbLb1EEEEDaS18_S19_EUlS18_E_NS1_11comp_targetILNS1_3genE3ELNS1_11target_archE908ELNS1_3gpuE7ELNS1_3repE0EEENS1_30default_config_static_selectorELNS0_4arch9wavefront6targetE0EEEvT1_.private_seg_size, 0
	.set _ZN7rocprim17ROCPRIM_400000_NS6detail17trampoline_kernelINS0_14default_configENS1_25partition_config_selectorILNS1_17partition_subalgoE5ExNS0_10empty_typeEbEEZZNS1_14partition_implILS5_5ELb0ES3_mN6thrust23THRUST_200600_302600_NS6detail15normal_iteratorINSA_10device_ptrIxEEEEPS6_NSA_18transform_iteratorINSB_9not_fun_tI7is_trueIxEEENSC_INSD_IbEEEENSA_11use_defaultESO_EENS0_5tupleIJSF_S6_EEENSQ_IJSG_SG_EEES6_PlJS6_EEE10hipError_tPvRmT3_T4_T5_T6_T7_T9_mT8_P12ihipStream_tbDpT10_ENKUlT_T0_E_clISt17integral_constantIbLb0EES1C_IbLb1EEEEDaS18_S19_EUlS18_E_NS1_11comp_targetILNS1_3genE3ELNS1_11target_archE908ELNS1_3gpuE7ELNS1_3repE0EEENS1_30default_config_static_selectorELNS0_4arch9wavefront6targetE0EEEvT1_.uses_vcc, 0
	.set _ZN7rocprim17ROCPRIM_400000_NS6detail17trampoline_kernelINS0_14default_configENS1_25partition_config_selectorILNS1_17partition_subalgoE5ExNS0_10empty_typeEbEEZZNS1_14partition_implILS5_5ELb0ES3_mN6thrust23THRUST_200600_302600_NS6detail15normal_iteratorINSA_10device_ptrIxEEEEPS6_NSA_18transform_iteratorINSB_9not_fun_tI7is_trueIxEEENSC_INSD_IbEEEENSA_11use_defaultESO_EENS0_5tupleIJSF_S6_EEENSQ_IJSG_SG_EEES6_PlJS6_EEE10hipError_tPvRmT3_T4_T5_T6_T7_T9_mT8_P12ihipStream_tbDpT10_ENKUlT_T0_E_clISt17integral_constantIbLb0EES1C_IbLb1EEEEDaS18_S19_EUlS18_E_NS1_11comp_targetILNS1_3genE3ELNS1_11target_archE908ELNS1_3gpuE7ELNS1_3repE0EEENS1_30default_config_static_selectorELNS0_4arch9wavefront6targetE0EEEvT1_.uses_flat_scratch, 0
	.set _ZN7rocprim17ROCPRIM_400000_NS6detail17trampoline_kernelINS0_14default_configENS1_25partition_config_selectorILNS1_17partition_subalgoE5ExNS0_10empty_typeEbEEZZNS1_14partition_implILS5_5ELb0ES3_mN6thrust23THRUST_200600_302600_NS6detail15normal_iteratorINSA_10device_ptrIxEEEEPS6_NSA_18transform_iteratorINSB_9not_fun_tI7is_trueIxEEENSC_INSD_IbEEEENSA_11use_defaultESO_EENS0_5tupleIJSF_S6_EEENSQ_IJSG_SG_EEES6_PlJS6_EEE10hipError_tPvRmT3_T4_T5_T6_T7_T9_mT8_P12ihipStream_tbDpT10_ENKUlT_T0_E_clISt17integral_constantIbLb0EES1C_IbLb1EEEEDaS18_S19_EUlS18_E_NS1_11comp_targetILNS1_3genE3ELNS1_11target_archE908ELNS1_3gpuE7ELNS1_3repE0EEENS1_30default_config_static_selectorELNS0_4arch9wavefront6targetE0EEEvT1_.has_dyn_sized_stack, 0
	.set _ZN7rocprim17ROCPRIM_400000_NS6detail17trampoline_kernelINS0_14default_configENS1_25partition_config_selectorILNS1_17partition_subalgoE5ExNS0_10empty_typeEbEEZZNS1_14partition_implILS5_5ELb0ES3_mN6thrust23THRUST_200600_302600_NS6detail15normal_iteratorINSA_10device_ptrIxEEEEPS6_NSA_18transform_iteratorINSB_9not_fun_tI7is_trueIxEEENSC_INSD_IbEEEENSA_11use_defaultESO_EENS0_5tupleIJSF_S6_EEENSQ_IJSG_SG_EEES6_PlJS6_EEE10hipError_tPvRmT3_T4_T5_T6_T7_T9_mT8_P12ihipStream_tbDpT10_ENKUlT_T0_E_clISt17integral_constantIbLb0EES1C_IbLb1EEEEDaS18_S19_EUlS18_E_NS1_11comp_targetILNS1_3genE3ELNS1_11target_archE908ELNS1_3gpuE7ELNS1_3repE0EEENS1_30default_config_static_selectorELNS0_4arch9wavefront6targetE0EEEvT1_.has_recursion, 0
	.set _ZN7rocprim17ROCPRIM_400000_NS6detail17trampoline_kernelINS0_14default_configENS1_25partition_config_selectorILNS1_17partition_subalgoE5ExNS0_10empty_typeEbEEZZNS1_14partition_implILS5_5ELb0ES3_mN6thrust23THRUST_200600_302600_NS6detail15normal_iteratorINSA_10device_ptrIxEEEEPS6_NSA_18transform_iteratorINSB_9not_fun_tI7is_trueIxEEENSC_INSD_IbEEEENSA_11use_defaultESO_EENS0_5tupleIJSF_S6_EEENSQ_IJSG_SG_EEES6_PlJS6_EEE10hipError_tPvRmT3_T4_T5_T6_T7_T9_mT8_P12ihipStream_tbDpT10_ENKUlT_T0_E_clISt17integral_constantIbLb0EES1C_IbLb1EEEEDaS18_S19_EUlS18_E_NS1_11comp_targetILNS1_3genE3ELNS1_11target_archE908ELNS1_3gpuE7ELNS1_3repE0EEENS1_30default_config_static_selectorELNS0_4arch9wavefront6targetE0EEEvT1_.has_indirect_call, 0
	.section	.AMDGPU.csdata,"",@progbits
; Kernel info:
; codeLenInByte = 0
; TotalNumSgprs: 0
; NumVgprs: 0
; ScratchSize: 0
; MemoryBound: 0
; FloatMode: 240
; IeeeMode: 1
; LDSByteSize: 0 bytes/workgroup (compile time only)
; SGPRBlocks: 0
; VGPRBlocks: 0
; NumSGPRsForWavesPerEU: 1
; NumVGPRsForWavesPerEU: 1
; Occupancy: 16
; WaveLimiterHint : 0
; COMPUTE_PGM_RSRC2:SCRATCH_EN: 0
; COMPUTE_PGM_RSRC2:USER_SGPR: 2
; COMPUTE_PGM_RSRC2:TRAP_HANDLER: 0
; COMPUTE_PGM_RSRC2:TGID_X_EN: 1
; COMPUTE_PGM_RSRC2:TGID_Y_EN: 0
; COMPUTE_PGM_RSRC2:TGID_Z_EN: 0
; COMPUTE_PGM_RSRC2:TIDIG_COMP_CNT: 0
	.section	.text._ZN7rocprim17ROCPRIM_400000_NS6detail17trampoline_kernelINS0_14default_configENS1_25partition_config_selectorILNS1_17partition_subalgoE5ExNS0_10empty_typeEbEEZZNS1_14partition_implILS5_5ELb0ES3_mN6thrust23THRUST_200600_302600_NS6detail15normal_iteratorINSA_10device_ptrIxEEEEPS6_NSA_18transform_iteratorINSB_9not_fun_tI7is_trueIxEEENSC_INSD_IbEEEENSA_11use_defaultESO_EENS0_5tupleIJSF_S6_EEENSQ_IJSG_SG_EEES6_PlJS6_EEE10hipError_tPvRmT3_T4_T5_T6_T7_T9_mT8_P12ihipStream_tbDpT10_ENKUlT_T0_E_clISt17integral_constantIbLb0EES1C_IbLb1EEEEDaS18_S19_EUlS18_E_NS1_11comp_targetILNS1_3genE2ELNS1_11target_archE906ELNS1_3gpuE6ELNS1_3repE0EEENS1_30default_config_static_selectorELNS0_4arch9wavefront6targetE0EEEvT1_,"axG",@progbits,_ZN7rocprim17ROCPRIM_400000_NS6detail17trampoline_kernelINS0_14default_configENS1_25partition_config_selectorILNS1_17partition_subalgoE5ExNS0_10empty_typeEbEEZZNS1_14partition_implILS5_5ELb0ES3_mN6thrust23THRUST_200600_302600_NS6detail15normal_iteratorINSA_10device_ptrIxEEEEPS6_NSA_18transform_iteratorINSB_9not_fun_tI7is_trueIxEEENSC_INSD_IbEEEENSA_11use_defaultESO_EENS0_5tupleIJSF_S6_EEENSQ_IJSG_SG_EEES6_PlJS6_EEE10hipError_tPvRmT3_T4_T5_T6_T7_T9_mT8_P12ihipStream_tbDpT10_ENKUlT_T0_E_clISt17integral_constantIbLb0EES1C_IbLb1EEEEDaS18_S19_EUlS18_E_NS1_11comp_targetILNS1_3genE2ELNS1_11target_archE906ELNS1_3gpuE6ELNS1_3repE0EEENS1_30default_config_static_selectorELNS0_4arch9wavefront6targetE0EEEvT1_,comdat
	.protected	_ZN7rocprim17ROCPRIM_400000_NS6detail17trampoline_kernelINS0_14default_configENS1_25partition_config_selectorILNS1_17partition_subalgoE5ExNS0_10empty_typeEbEEZZNS1_14partition_implILS5_5ELb0ES3_mN6thrust23THRUST_200600_302600_NS6detail15normal_iteratorINSA_10device_ptrIxEEEEPS6_NSA_18transform_iteratorINSB_9not_fun_tI7is_trueIxEEENSC_INSD_IbEEEENSA_11use_defaultESO_EENS0_5tupleIJSF_S6_EEENSQ_IJSG_SG_EEES6_PlJS6_EEE10hipError_tPvRmT3_T4_T5_T6_T7_T9_mT8_P12ihipStream_tbDpT10_ENKUlT_T0_E_clISt17integral_constantIbLb0EES1C_IbLb1EEEEDaS18_S19_EUlS18_E_NS1_11comp_targetILNS1_3genE2ELNS1_11target_archE906ELNS1_3gpuE6ELNS1_3repE0EEENS1_30default_config_static_selectorELNS0_4arch9wavefront6targetE0EEEvT1_ ; -- Begin function _ZN7rocprim17ROCPRIM_400000_NS6detail17trampoline_kernelINS0_14default_configENS1_25partition_config_selectorILNS1_17partition_subalgoE5ExNS0_10empty_typeEbEEZZNS1_14partition_implILS5_5ELb0ES3_mN6thrust23THRUST_200600_302600_NS6detail15normal_iteratorINSA_10device_ptrIxEEEEPS6_NSA_18transform_iteratorINSB_9not_fun_tI7is_trueIxEEENSC_INSD_IbEEEENSA_11use_defaultESO_EENS0_5tupleIJSF_S6_EEENSQ_IJSG_SG_EEES6_PlJS6_EEE10hipError_tPvRmT3_T4_T5_T6_T7_T9_mT8_P12ihipStream_tbDpT10_ENKUlT_T0_E_clISt17integral_constantIbLb0EES1C_IbLb1EEEEDaS18_S19_EUlS18_E_NS1_11comp_targetILNS1_3genE2ELNS1_11target_archE906ELNS1_3gpuE6ELNS1_3repE0EEENS1_30default_config_static_selectorELNS0_4arch9wavefront6targetE0EEEvT1_
	.globl	_ZN7rocprim17ROCPRIM_400000_NS6detail17trampoline_kernelINS0_14default_configENS1_25partition_config_selectorILNS1_17partition_subalgoE5ExNS0_10empty_typeEbEEZZNS1_14partition_implILS5_5ELb0ES3_mN6thrust23THRUST_200600_302600_NS6detail15normal_iteratorINSA_10device_ptrIxEEEEPS6_NSA_18transform_iteratorINSB_9not_fun_tI7is_trueIxEEENSC_INSD_IbEEEENSA_11use_defaultESO_EENS0_5tupleIJSF_S6_EEENSQ_IJSG_SG_EEES6_PlJS6_EEE10hipError_tPvRmT3_T4_T5_T6_T7_T9_mT8_P12ihipStream_tbDpT10_ENKUlT_T0_E_clISt17integral_constantIbLb0EES1C_IbLb1EEEEDaS18_S19_EUlS18_E_NS1_11comp_targetILNS1_3genE2ELNS1_11target_archE906ELNS1_3gpuE6ELNS1_3repE0EEENS1_30default_config_static_selectorELNS0_4arch9wavefront6targetE0EEEvT1_
	.p2align	8
	.type	_ZN7rocprim17ROCPRIM_400000_NS6detail17trampoline_kernelINS0_14default_configENS1_25partition_config_selectorILNS1_17partition_subalgoE5ExNS0_10empty_typeEbEEZZNS1_14partition_implILS5_5ELb0ES3_mN6thrust23THRUST_200600_302600_NS6detail15normal_iteratorINSA_10device_ptrIxEEEEPS6_NSA_18transform_iteratorINSB_9not_fun_tI7is_trueIxEEENSC_INSD_IbEEEENSA_11use_defaultESO_EENS0_5tupleIJSF_S6_EEENSQ_IJSG_SG_EEES6_PlJS6_EEE10hipError_tPvRmT3_T4_T5_T6_T7_T9_mT8_P12ihipStream_tbDpT10_ENKUlT_T0_E_clISt17integral_constantIbLb0EES1C_IbLb1EEEEDaS18_S19_EUlS18_E_NS1_11comp_targetILNS1_3genE2ELNS1_11target_archE906ELNS1_3gpuE6ELNS1_3repE0EEENS1_30default_config_static_selectorELNS0_4arch9wavefront6targetE0EEEvT1_,@function
_ZN7rocprim17ROCPRIM_400000_NS6detail17trampoline_kernelINS0_14default_configENS1_25partition_config_selectorILNS1_17partition_subalgoE5ExNS0_10empty_typeEbEEZZNS1_14partition_implILS5_5ELb0ES3_mN6thrust23THRUST_200600_302600_NS6detail15normal_iteratorINSA_10device_ptrIxEEEEPS6_NSA_18transform_iteratorINSB_9not_fun_tI7is_trueIxEEENSC_INSD_IbEEEENSA_11use_defaultESO_EENS0_5tupleIJSF_S6_EEENSQ_IJSG_SG_EEES6_PlJS6_EEE10hipError_tPvRmT3_T4_T5_T6_T7_T9_mT8_P12ihipStream_tbDpT10_ENKUlT_T0_E_clISt17integral_constantIbLb0EES1C_IbLb1EEEEDaS18_S19_EUlS18_E_NS1_11comp_targetILNS1_3genE2ELNS1_11target_archE906ELNS1_3gpuE6ELNS1_3repE0EEENS1_30default_config_static_selectorELNS0_4arch9wavefront6targetE0EEEvT1_: ; @_ZN7rocprim17ROCPRIM_400000_NS6detail17trampoline_kernelINS0_14default_configENS1_25partition_config_selectorILNS1_17partition_subalgoE5ExNS0_10empty_typeEbEEZZNS1_14partition_implILS5_5ELb0ES3_mN6thrust23THRUST_200600_302600_NS6detail15normal_iteratorINSA_10device_ptrIxEEEEPS6_NSA_18transform_iteratorINSB_9not_fun_tI7is_trueIxEEENSC_INSD_IbEEEENSA_11use_defaultESO_EENS0_5tupleIJSF_S6_EEENSQ_IJSG_SG_EEES6_PlJS6_EEE10hipError_tPvRmT3_T4_T5_T6_T7_T9_mT8_P12ihipStream_tbDpT10_ENKUlT_T0_E_clISt17integral_constantIbLb0EES1C_IbLb1EEEEDaS18_S19_EUlS18_E_NS1_11comp_targetILNS1_3genE2ELNS1_11target_archE906ELNS1_3gpuE6ELNS1_3repE0EEENS1_30default_config_static_selectorELNS0_4arch9wavefront6targetE0EEEvT1_
; %bb.0:
	.section	.rodata,"a",@progbits
	.p2align	6, 0x0
	.amdhsa_kernel _ZN7rocprim17ROCPRIM_400000_NS6detail17trampoline_kernelINS0_14default_configENS1_25partition_config_selectorILNS1_17partition_subalgoE5ExNS0_10empty_typeEbEEZZNS1_14partition_implILS5_5ELb0ES3_mN6thrust23THRUST_200600_302600_NS6detail15normal_iteratorINSA_10device_ptrIxEEEEPS6_NSA_18transform_iteratorINSB_9not_fun_tI7is_trueIxEEENSC_INSD_IbEEEENSA_11use_defaultESO_EENS0_5tupleIJSF_S6_EEENSQ_IJSG_SG_EEES6_PlJS6_EEE10hipError_tPvRmT3_T4_T5_T6_T7_T9_mT8_P12ihipStream_tbDpT10_ENKUlT_T0_E_clISt17integral_constantIbLb0EES1C_IbLb1EEEEDaS18_S19_EUlS18_E_NS1_11comp_targetILNS1_3genE2ELNS1_11target_archE906ELNS1_3gpuE6ELNS1_3repE0EEENS1_30default_config_static_selectorELNS0_4arch9wavefront6targetE0EEEvT1_
		.amdhsa_group_segment_fixed_size 0
		.amdhsa_private_segment_fixed_size 0
		.amdhsa_kernarg_size 136
		.amdhsa_user_sgpr_count 2
		.amdhsa_user_sgpr_dispatch_ptr 0
		.amdhsa_user_sgpr_queue_ptr 0
		.amdhsa_user_sgpr_kernarg_segment_ptr 1
		.amdhsa_user_sgpr_dispatch_id 0
		.amdhsa_user_sgpr_private_segment_size 0
		.amdhsa_wavefront_size32 1
		.amdhsa_uses_dynamic_stack 0
		.amdhsa_enable_private_segment 0
		.amdhsa_system_sgpr_workgroup_id_x 1
		.amdhsa_system_sgpr_workgroup_id_y 0
		.amdhsa_system_sgpr_workgroup_id_z 0
		.amdhsa_system_sgpr_workgroup_info 0
		.amdhsa_system_vgpr_workitem_id 0
		.amdhsa_next_free_vgpr 1
		.amdhsa_next_free_sgpr 1
		.amdhsa_reserve_vcc 0
		.amdhsa_float_round_mode_32 0
		.amdhsa_float_round_mode_16_64 0
		.amdhsa_float_denorm_mode_32 3
		.amdhsa_float_denorm_mode_16_64 3
		.amdhsa_fp16_overflow 0
		.amdhsa_workgroup_processor_mode 1
		.amdhsa_memory_ordered 1
		.amdhsa_forward_progress 1
		.amdhsa_inst_pref_size 0
		.amdhsa_round_robin_scheduling 0
		.amdhsa_exception_fp_ieee_invalid_op 0
		.amdhsa_exception_fp_denorm_src 0
		.amdhsa_exception_fp_ieee_div_zero 0
		.amdhsa_exception_fp_ieee_overflow 0
		.amdhsa_exception_fp_ieee_underflow 0
		.amdhsa_exception_fp_ieee_inexact 0
		.amdhsa_exception_int_div_zero 0
	.end_amdhsa_kernel
	.section	.text._ZN7rocprim17ROCPRIM_400000_NS6detail17trampoline_kernelINS0_14default_configENS1_25partition_config_selectorILNS1_17partition_subalgoE5ExNS0_10empty_typeEbEEZZNS1_14partition_implILS5_5ELb0ES3_mN6thrust23THRUST_200600_302600_NS6detail15normal_iteratorINSA_10device_ptrIxEEEEPS6_NSA_18transform_iteratorINSB_9not_fun_tI7is_trueIxEEENSC_INSD_IbEEEENSA_11use_defaultESO_EENS0_5tupleIJSF_S6_EEENSQ_IJSG_SG_EEES6_PlJS6_EEE10hipError_tPvRmT3_T4_T5_T6_T7_T9_mT8_P12ihipStream_tbDpT10_ENKUlT_T0_E_clISt17integral_constantIbLb0EES1C_IbLb1EEEEDaS18_S19_EUlS18_E_NS1_11comp_targetILNS1_3genE2ELNS1_11target_archE906ELNS1_3gpuE6ELNS1_3repE0EEENS1_30default_config_static_selectorELNS0_4arch9wavefront6targetE0EEEvT1_,"axG",@progbits,_ZN7rocprim17ROCPRIM_400000_NS6detail17trampoline_kernelINS0_14default_configENS1_25partition_config_selectorILNS1_17partition_subalgoE5ExNS0_10empty_typeEbEEZZNS1_14partition_implILS5_5ELb0ES3_mN6thrust23THRUST_200600_302600_NS6detail15normal_iteratorINSA_10device_ptrIxEEEEPS6_NSA_18transform_iteratorINSB_9not_fun_tI7is_trueIxEEENSC_INSD_IbEEEENSA_11use_defaultESO_EENS0_5tupleIJSF_S6_EEENSQ_IJSG_SG_EEES6_PlJS6_EEE10hipError_tPvRmT3_T4_T5_T6_T7_T9_mT8_P12ihipStream_tbDpT10_ENKUlT_T0_E_clISt17integral_constantIbLb0EES1C_IbLb1EEEEDaS18_S19_EUlS18_E_NS1_11comp_targetILNS1_3genE2ELNS1_11target_archE906ELNS1_3gpuE6ELNS1_3repE0EEENS1_30default_config_static_selectorELNS0_4arch9wavefront6targetE0EEEvT1_,comdat
.Lfunc_end2521:
	.size	_ZN7rocprim17ROCPRIM_400000_NS6detail17trampoline_kernelINS0_14default_configENS1_25partition_config_selectorILNS1_17partition_subalgoE5ExNS0_10empty_typeEbEEZZNS1_14partition_implILS5_5ELb0ES3_mN6thrust23THRUST_200600_302600_NS6detail15normal_iteratorINSA_10device_ptrIxEEEEPS6_NSA_18transform_iteratorINSB_9not_fun_tI7is_trueIxEEENSC_INSD_IbEEEENSA_11use_defaultESO_EENS0_5tupleIJSF_S6_EEENSQ_IJSG_SG_EEES6_PlJS6_EEE10hipError_tPvRmT3_T4_T5_T6_T7_T9_mT8_P12ihipStream_tbDpT10_ENKUlT_T0_E_clISt17integral_constantIbLb0EES1C_IbLb1EEEEDaS18_S19_EUlS18_E_NS1_11comp_targetILNS1_3genE2ELNS1_11target_archE906ELNS1_3gpuE6ELNS1_3repE0EEENS1_30default_config_static_selectorELNS0_4arch9wavefront6targetE0EEEvT1_, .Lfunc_end2521-_ZN7rocprim17ROCPRIM_400000_NS6detail17trampoline_kernelINS0_14default_configENS1_25partition_config_selectorILNS1_17partition_subalgoE5ExNS0_10empty_typeEbEEZZNS1_14partition_implILS5_5ELb0ES3_mN6thrust23THRUST_200600_302600_NS6detail15normal_iteratorINSA_10device_ptrIxEEEEPS6_NSA_18transform_iteratorINSB_9not_fun_tI7is_trueIxEEENSC_INSD_IbEEEENSA_11use_defaultESO_EENS0_5tupleIJSF_S6_EEENSQ_IJSG_SG_EEES6_PlJS6_EEE10hipError_tPvRmT3_T4_T5_T6_T7_T9_mT8_P12ihipStream_tbDpT10_ENKUlT_T0_E_clISt17integral_constantIbLb0EES1C_IbLb1EEEEDaS18_S19_EUlS18_E_NS1_11comp_targetILNS1_3genE2ELNS1_11target_archE906ELNS1_3gpuE6ELNS1_3repE0EEENS1_30default_config_static_selectorELNS0_4arch9wavefront6targetE0EEEvT1_
                                        ; -- End function
	.set _ZN7rocprim17ROCPRIM_400000_NS6detail17trampoline_kernelINS0_14default_configENS1_25partition_config_selectorILNS1_17partition_subalgoE5ExNS0_10empty_typeEbEEZZNS1_14partition_implILS5_5ELb0ES3_mN6thrust23THRUST_200600_302600_NS6detail15normal_iteratorINSA_10device_ptrIxEEEEPS6_NSA_18transform_iteratorINSB_9not_fun_tI7is_trueIxEEENSC_INSD_IbEEEENSA_11use_defaultESO_EENS0_5tupleIJSF_S6_EEENSQ_IJSG_SG_EEES6_PlJS6_EEE10hipError_tPvRmT3_T4_T5_T6_T7_T9_mT8_P12ihipStream_tbDpT10_ENKUlT_T0_E_clISt17integral_constantIbLb0EES1C_IbLb1EEEEDaS18_S19_EUlS18_E_NS1_11comp_targetILNS1_3genE2ELNS1_11target_archE906ELNS1_3gpuE6ELNS1_3repE0EEENS1_30default_config_static_selectorELNS0_4arch9wavefront6targetE0EEEvT1_.num_vgpr, 0
	.set _ZN7rocprim17ROCPRIM_400000_NS6detail17trampoline_kernelINS0_14default_configENS1_25partition_config_selectorILNS1_17partition_subalgoE5ExNS0_10empty_typeEbEEZZNS1_14partition_implILS5_5ELb0ES3_mN6thrust23THRUST_200600_302600_NS6detail15normal_iteratorINSA_10device_ptrIxEEEEPS6_NSA_18transform_iteratorINSB_9not_fun_tI7is_trueIxEEENSC_INSD_IbEEEENSA_11use_defaultESO_EENS0_5tupleIJSF_S6_EEENSQ_IJSG_SG_EEES6_PlJS6_EEE10hipError_tPvRmT3_T4_T5_T6_T7_T9_mT8_P12ihipStream_tbDpT10_ENKUlT_T0_E_clISt17integral_constantIbLb0EES1C_IbLb1EEEEDaS18_S19_EUlS18_E_NS1_11comp_targetILNS1_3genE2ELNS1_11target_archE906ELNS1_3gpuE6ELNS1_3repE0EEENS1_30default_config_static_selectorELNS0_4arch9wavefront6targetE0EEEvT1_.num_agpr, 0
	.set _ZN7rocprim17ROCPRIM_400000_NS6detail17trampoline_kernelINS0_14default_configENS1_25partition_config_selectorILNS1_17partition_subalgoE5ExNS0_10empty_typeEbEEZZNS1_14partition_implILS5_5ELb0ES3_mN6thrust23THRUST_200600_302600_NS6detail15normal_iteratorINSA_10device_ptrIxEEEEPS6_NSA_18transform_iteratorINSB_9not_fun_tI7is_trueIxEEENSC_INSD_IbEEEENSA_11use_defaultESO_EENS0_5tupleIJSF_S6_EEENSQ_IJSG_SG_EEES6_PlJS6_EEE10hipError_tPvRmT3_T4_T5_T6_T7_T9_mT8_P12ihipStream_tbDpT10_ENKUlT_T0_E_clISt17integral_constantIbLb0EES1C_IbLb1EEEEDaS18_S19_EUlS18_E_NS1_11comp_targetILNS1_3genE2ELNS1_11target_archE906ELNS1_3gpuE6ELNS1_3repE0EEENS1_30default_config_static_selectorELNS0_4arch9wavefront6targetE0EEEvT1_.numbered_sgpr, 0
	.set _ZN7rocprim17ROCPRIM_400000_NS6detail17trampoline_kernelINS0_14default_configENS1_25partition_config_selectorILNS1_17partition_subalgoE5ExNS0_10empty_typeEbEEZZNS1_14partition_implILS5_5ELb0ES3_mN6thrust23THRUST_200600_302600_NS6detail15normal_iteratorINSA_10device_ptrIxEEEEPS6_NSA_18transform_iteratorINSB_9not_fun_tI7is_trueIxEEENSC_INSD_IbEEEENSA_11use_defaultESO_EENS0_5tupleIJSF_S6_EEENSQ_IJSG_SG_EEES6_PlJS6_EEE10hipError_tPvRmT3_T4_T5_T6_T7_T9_mT8_P12ihipStream_tbDpT10_ENKUlT_T0_E_clISt17integral_constantIbLb0EES1C_IbLb1EEEEDaS18_S19_EUlS18_E_NS1_11comp_targetILNS1_3genE2ELNS1_11target_archE906ELNS1_3gpuE6ELNS1_3repE0EEENS1_30default_config_static_selectorELNS0_4arch9wavefront6targetE0EEEvT1_.num_named_barrier, 0
	.set _ZN7rocprim17ROCPRIM_400000_NS6detail17trampoline_kernelINS0_14default_configENS1_25partition_config_selectorILNS1_17partition_subalgoE5ExNS0_10empty_typeEbEEZZNS1_14partition_implILS5_5ELb0ES3_mN6thrust23THRUST_200600_302600_NS6detail15normal_iteratorINSA_10device_ptrIxEEEEPS6_NSA_18transform_iteratorINSB_9not_fun_tI7is_trueIxEEENSC_INSD_IbEEEENSA_11use_defaultESO_EENS0_5tupleIJSF_S6_EEENSQ_IJSG_SG_EEES6_PlJS6_EEE10hipError_tPvRmT3_T4_T5_T6_T7_T9_mT8_P12ihipStream_tbDpT10_ENKUlT_T0_E_clISt17integral_constantIbLb0EES1C_IbLb1EEEEDaS18_S19_EUlS18_E_NS1_11comp_targetILNS1_3genE2ELNS1_11target_archE906ELNS1_3gpuE6ELNS1_3repE0EEENS1_30default_config_static_selectorELNS0_4arch9wavefront6targetE0EEEvT1_.private_seg_size, 0
	.set _ZN7rocprim17ROCPRIM_400000_NS6detail17trampoline_kernelINS0_14default_configENS1_25partition_config_selectorILNS1_17partition_subalgoE5ExNS0_10empty_typeEbEEZZNS1_14partition_implILS5_5ELb0ES3_mN6thrust23THRUST_200600_302600_NS6detail15normal_iteratorINSA_10device_ptrIxEEEEPS6_NSA_18transform_iteratorINSB_9not_fun_tI7is_trueIxEEENSC_INSD_IbEEEENSA_11use_defaultESO_EENS0_5tupleIJSF_S6_EEENSQ_IJSG_SG_EEES6_PlJS6_EEE10hipError_tPvRmT3_T4_T5_T6_T7_T9_mT8_P12ihipStream_tbDpT10_ENKUlT_T0_E_clISt17integral_constantIbLb0EES1C_IbLb1EEEEDaS18_S19_EUlS18_E_NS1_11comp_targetILNS1_3genE2ELNS1_11target_archE906ELNS1_3gpuE6ELNS1_3repE0EEENS1_30default_config_static_selectorELNS0_4arch9wavefront6targetE0EEEvT1_.uses_vcc, 0
	.set _ZN7rocprim17ROCPRIM_400000_NS6detail17trampoline_kernelINS0_14default_configENS1_25partition_config_selectorILNS1_17partition_subalgoE5ExNS0_10empty_typeEbEEZZNS1_14partition_implILS5_5ELb0ES3_mN6thrust23THRUST_200600_302600_NS6detail15normal_iteratorINSA_10device_ptrIxEEEEPS6_NSA_18transform_iteratorINSB_9not_fun_tI7is_trueIxEEENSC_INSD_IbEEEENSA_11use_defaultESO_EENS0_5tupleIJSF_S6_EEENSQ_IJSG_SG_EEES6_PlJS6_EEE10hipError_tPvRmT3_T4_T5_T6_T7_T9_mT8_P12ihipStream_tbDpT10_ENKUlT_T0_E_clISt17integral_constantIbLb0EES1C_IbLb1EEEEDaS18_S19_EUlS18_E_NS1_11comp_targetILNS1_3genE2ELNS1_11target_archE906ELNS1_3gpuE6ELNS1_3repE0EEENS1_30default_config_static_selectorELNS0_4arch9wavefront6targetE0EEEvT1_.uses_flat_scratch, 0
	.set _ZN7rocprim17ROCPRIM_400000_NS6detail17trampoline_kernelINS0_14default_configENS1_25partition_config_selectorILNS1_17partition_subalgoE5ExNS0_10empty_typeEbEEZZNS1_14partition_implILS5_5ELb0ES3_mN6thrust23THRUST_200600_302600_NS6detail15normal_iteratorINSA_10device_ptrIxEEEEPS6_NSA_18transform_iteratorINSB_9not_fun_tI7is_trueIxEEENSC_INSD_IbEEEENSA_11use_defaultESO_EENS0_5tupleIJSF_S6_EEENSQ_IJSG_SG_EEES6_PlJS6_EEE10hipError_tPvRmT3_T4_T5_T6_T7_T9_mT8_P12ihipStream_tbDpT10_ENKUlT_T0_E_clISt17integral_constantIbLb0EES1C_IbLb1EEEEDaS18_S19_EUlS18_E_NS1_11comp_targetILNS1_3genE2ELNS1_11target_archE906ELNS1_3gpuE6ELNS1_3repE0EEENS1_30default_config_static_selectorELNS0_4arch9wavefront6targetE0EEEvT1_.has_dyn_sized_stack, 0
	.set _ZN7rocprim17ROCPRIM_400000_NS6detail17trampoline_kernelINS0_14default_configENS1_25partition_config_selectorILNS1_17partition_subalgoE5ExNS0_10empty_typeEbEEZZNS1_14partition_implILS5_5ELb0ES3_mN6thrust23THRUST_200600_302600_NS6detail15normal_iteratorINSA_10device_ptrIxEEEEPS6_NSA_18transform_iteratorINSB_9not_fun_tI7is_trueIxEEENSC_INSD_IbEEEENSA_11use_defaultESO_EENS0_5tupleIJSF_S6_EEENSQ_IJSG_SG_EEES6_PlJS6_EEE10hipError_tPvRmT3_T4_T5_T6_T7_T9_mT8_P12ihipStream_tbDpT10_ENKUlT_T0_E_clISt17integral_constantIbLb0EES1C_IbLb1EEEEDaS18_S19_EUlS18_E_NS1_11comp_targetILNS1_3genE2ELNS1_11target_archE906ELNS1_3gpuE6ELNS1_3repE0EEENS1_30default_config_static_selectorELNS0_4arch9wavefront6targetE0EEEvT1_.has_recursion, 0
	.set _ZN7rocprim17ROCPRIM_400000_NS6detail17trampoline_kernelINS0_14default_configENS1_25partition_config_selectorILNS1_17partition_subalgoE5ExNS0_10empty_typeEbEEZZNS1_14partition_implILS5_5ELb0ES3_mN6thrust23THRUST_200600_302600_NS6detail15normal_iteratorINSA_10device_ptrIxEEEEPS6_NSA_18transform_iteratorINSB_9not_fun_tI7is_trueIxEEENSC_INSD_IbEEEENSA_11use_defaultESO_EENS0_5tupleIJSF_S6_EEENSQ_IJSG_SG_EEES6_PlJS6_EEE10hipError_tPvRmT3_T4_T5_T6_T7_T9_mT8_P12ihipStream_tbDpT10_ENKUlT_T0_E_clISt17integral_constantIbLb0EES1C_IbLb1EEEEDaS18_S19_EUlS18_E_NS1_11comp_targetILNS1_3genE2ELNS1_11target_archE906ELNS1_3gpuE6ELNS1_3repE0EEENS1_30default_config_static_selectorELNS0_4arch9wavefront6targetE0EEEvT1_.has_indirect_call, 0
	.section	.AMDGPU.csdata,"",@progbits
; Kernel info:
; codeLenInByte = 0
; TotalNumSgprs: 0
; NumVgprs: 0
; ScratchSize: 0
; MemoryBound: 0
; FloatMode: 240
; IeeeMode: 1
; LDSByteSize: 0 bytes/workgroup (compile time only)
; SGPRBlocks: 0
; VGPRBlocks: 0
; NumSGPRsForWavesPerEU: 1
; NumVGPRsForWavesPerEU: 1
; Occupancy: 16
; WaveLimiterHint : 0
; COMPUTE_PGM_RSRC2:SCRATCH_EN: 0
; COMPUTE_PGM_RSRC2:USER_SGPR: 2
; COMPUTE_PGM_RSRC2:TRAP_HANDLER: 0
; COMPUTE_PGM_RSRC2:TGID_X_EN: 1
; COMPUTE_PGM_RSRC2:TGID_Y_EN: 0
; COMPUTE_PGM_RSRC2:TGID_Z_EN: 0
; COMPUTE_PGM_RSRC2:TIDIG_COMP_CNT: 0
	.section	.text._ZN7rocprim17ROCPRIM_400000_NS6detail17trampoline_kernelINS0_14default_configENS1_25partition_config_selectorILNS1_17partition_subalgoE5ExNS0_10empty_typeEbEEZZNS1_14partition_implILS5_5ELb0ES3_mN6thrust23THRUST_200600_302600_NS6detail15normal_iteratorINSA_10device_ptrIxEEEEPS6_NSA_18transform_iteratorINSB_9not_fun_tI7is_trueIxEEENSC_INSD_IbEEEENSA_11use_defaultESO_EENS0_5tupleIJSF_S6_EEENSQ_IJSG_SG_EEES6_PlJS6_EEE10hipError_tPvRmT3_T4_T5_T6_T7_T9_mT8_P12ihipStream_tbDpT10_ENKUlT_T0_E_clISt17integral_constantIbLb0EES1C_IbLb1EEEEDaS18_S19_EUlS18_E_NS1_11comp_targetILNS1_3genE10ELNS1_11target_archE1200ELNS1_3gpuE4ELNS1_3repE0EEENS1_30default_config_static_selectorELNS0_4arch9wavefront6targetE0EEEvT1_,"axG",@progbits,_ZN7rocprim17ROCPRIM_400000_NS6detail17trampoline_kernelINS0_14default_configENS1_25partition_config_selectorILNS1_17partition_subalgoE5ExNS0_10empty_typeEbEEZZNS1_14partition_implILS5_5ELb0ES3_mN6thrust23THRUST_200600_302600_NS6detail15normal_iteratorINSA_10device_ptrIxEEEEPS6_NSA_18transform_iteratorINSB_9not_fun_tI7is_trueIxEEENSC_INSD_IbEEEENSA_11use_defaultESO_EENS0_5tupleIJSF_S6_EEENSQ_IJSG_SG_EEES6_PlJS6_EEE10hipError_tPvRmT3_T4_T5_T6_T7_T9_mT8_P12ihipStream_tbDpT10_ENKUlT_T0_E_clISt17integral_constantIbLb0EES1C_IbLb1EEEEDaS18_S19_EUlS18_E_NS1_11comp_targetILNS1_3genE10ELNS1_11target_archE1200ELNS1_3gpuE4ELNS1_3repE0EEENS1_30default_config_static_selectorELNS0_4arch9wavefront6targetE0EEEvT1_,comdat
	.protected	_ZN7rocprim17ROCPRIM_400000_NS6detail17trampoline_kernelINS0_14default_configENS1_25partition_config_selectorILNS1_17partition_subalgoE5ExNS0_10empty_typeEbEEZZNS1_14partition_implILS5_5ELb0ES3_mN6thrust23THRUST_200600_302600_NS6detail15normal_iteratorINSA_10device_ptrIxEEEEPS6_NSA_18transform_iteratorINSB_9not_fun_tI7is_trueIxEEENSC_INSD_IbEEEENSA_11use_defaultESO_EENS0_5tupleIJSF_S6_EEENSQ_IJSG_SG_EEES6_PlJS6_EEE10hipError_tPvRmT3_T4_T5_T6_T7_T9_mT8_P12ihipStream_tbDpT10_ENKUlT_T0_E_clISt17integral_constantIbLb0EES1C_IbLb1EEEEDaS18_S19_EUlS18_E_NS1_11comp_targetILNS1_3genE10ELNS1_11target_archE1200ELNS1_3gpuE4ELNS1_3repE0EEENS1_30default_config_static_selectorELNS0_4arch9wavefront6targetE0EEEvT1_ ; -- Begin function _ZN7rocprim17ROCPRIM_400000_NS6detail17trampoline_kernelINS0_14default_configENS1_25partition_config_selectorILNS1_17partition_subalgoE5ExNS0_10empty_typeEbEEZZNS1_14partition_implILS5_5ELb0ES3_mN6thrust23THRUST_200600_302600_NS6detail15normal_iteratorINSA_10device_ptrIxEEEEPS6_NSA_18transform_iteratorINSB_9not_fun_tI7is_trueIxEEENSC_INSD_IbEEEENSA_11use_defaultESO_EENS0_5tupleIJSF_S6_EEENSQ_IJSG_SG_EEES6_PlJS6_EEE10hipError_tPvRmT3_T4_T5_T6_T7_T9_mT8_P12ihipStream_tbDpT10_ENKUlT_T0_E_clISt17integral_constantIbLb0EES1C_IbLb1EEEEDaS18_S19_EUlS18_E_NS1_11comp_targetILNS1_3genE10ELNS1_11target_archE1200ELNS1_3gpuE4ELNS1_3repE0EEENS1_30default_config_static_selectorELNS0_4arch9wavefront6targetE0EEEvT1_
	.globl	_ZN7rocprim17ROCPRIM_400000_NS6detail17trampoline_kernelINS0_14default_configENS1_25partition_config_selectorILNS1_17partition_subalgoE5ExNS0_10empty_typeEbEEZZNS1_14partition_implILS5_5ELb0ES3_mN6thrust23THRUST_200600_302600_NS6detail15normal_iteratorINSA_10device_ptrIxEEEEPS6_NSA_18transform_iteratorINSB_9not_fun_tI7is_trueIxEEENSC_INSD_IbEEEENSA_11use_defaultESO_EENS0_5tupleIJSF_S6_EEENSQ_IJSG_SG_EEES6_PlJS6_EEE10hipError_tPvRmT3_T4_T5_T6_T7_T9_mT8_P12ihipStream_tbDpT10_ENKUlT_T0_E_clISt17integral_constantIbLb0EES1C_IbLb1EEEEDaS18_S19_EUlS18_E_NS1_11comp_targetILNS1_3genE10ELNS1_11target_archE1200ELNS1_3gpuE4ELNS1_3repE0EEENS1_30default_config_static_selectorELNS0_4arch9wavefront6targetE0EEEvT1_
	.p2align	8
	.type	_ZN7rocprim17ROCPRIM_400000_NS6detail17trampoline_kernelINS0_14default_configENS1_25partition_config_selectorILNS1_17partition_subalgoE5ExNS0_10empty_typeEbEEZZNS1_14partition_implILS5_5ELb0ES3_mN6thrust23THRUST_200600_302600_NS6detail15normal_iteratorINSA_10device_ptrIxEEEEPS6_NSA_18transform_iteratorINSB_9not_fun_tI7is_trueIxEEENSC_INSD_IbEEEENSA_11use_defaultESO_EENS0_5tupleIJSF_S6_EEENSQ_IJSG_SG_EEES6_PlJS6_EEE10hipError_tPvRmT3_T4_T5_T6_T7_T9_mT8_P12ihipStream_tbDpT10_ENKUlT_T0_E_clISt17integral_constantIbLb0EES1C_IbLb1EEEEDaS18_S19_EUlS18_E_NS1_11comp_targetILNS1_3genE10ELNS1_11target_archE1200ELNS1_3gpuE4ELNS1_3repE0EEENS1_30default_config_static_selectorELNS0_4arch9wavefront6targetE0EEEvT1_,@function
_ZN7rocprim17ROCPRIM_400000_NS6detail17trampoline_kernelINS0_14default_configENS1_25partition_config_selectorILNS1_17partition_subalgoE5ExNS0_10empty_typeEbEEZZNS1_14partition_implILS5_5ELb0ES3_mN6thrust23THRUST_200600_302600_NS6detail15normal_iteratorINSA_10device_ptrIxEEEEPS6_NSA_18transform_iteratorINSB_9not_fun_tI7is_trueIxEEENSC_INSD_IbEEEENSA_11use_defaultESO_EENS0_5tupleIJSF_S6_EEENSQ_IJSG_SG_EEES6_PlJS6_EEE10hipError_tPvRmT3_T4_T5_T6_T7_T9_mT8_P12ihipStream_tbDpT10_ENKUlT_T0_E_clISt17integral_constantIbLb0EES1C_IbLb1EEEEDaS18_S19_EUlS18_E_NS1_11comp_targetILNS1_3genE10ELNS1_11target_archE1200ELNS1_3gpuE4ELNS1_3repE0EEENS1_30default_config_static_selectorELNS0_4arch9wavefront6targetE0EEEvT1_: ; @_ZN7rocprim17ROCPRIM_400000_NS6detail17trampoline_kernelINS0_14default_configENS1_25partition_config_selectorILNS1_17partition_subalgoE5ExNS0_10empty_typeEbEEZZNS1_14partition_implILS5_5ELb0ES3_mN6thrust23THRUST_200600_302600_NS6detail15normal_iteratorINSA_10device_ptrIxEEEEPS6_NSA_18transform_iteratorINSB_9not_fun_tI7is_trueIxEEENSC_INSD_IbEEEENSA_11use_defaultESO_EENS0_5tupleIJSF_S6_EEENSQ_IJSG_SG_EEES6_PlJS6_EEE10hipError_tPvRmT3_T4_T5_T6_T7_T9_mT8_P12ihipStream_tbDpT10_ENKUlT_T0_E_clISt17integral_constantIbLb0EES1C_IbLb1EEEEDaS18_S19_EUlS18_E_NS1_11comp_targetILNS1_3genE10ELNS1_11target_archE1200ELNS1_3gpuE4ELNS1_3repE0EEENS1_30default_config_static_selectorELNS0_4arch9wavefront6targetE0EEEvT1_
; %bb.0:
	s_clause 0x3
	s_load_b64 s[12:13], s[0:1], 0x30
	s_load_b128 s[4:7], s[0:1], 0x48
	s_load_b64 s[18:19], s[0:1], 0x58
	s_load_b64 s[14:15], s[0:1], 0x68
	v_cmp_eq_u32_e64 s2, 0, v0
	s_and_saveexec_b32 s3, s2
	s_cbranch_execz .LBB2522_4
; %bb.1:
	s_mov_b32 s9, exec_lo
	s_mov_b32 s8, exec_lo
	v_mbcnt_lo_u32_b32 v1, s9, 0
                                        ; implicit-def: $vgpr2
	s_delay_alu instid0(VALU_DEP_1)
	v_cmpx_eq_u32_e32 0, v1
	s_cbranch_execz .LBB2522_3
; %bb.2:
	s_load_b64 s[10:11], s[0:1], 0x78
	s_bcnt1_i32_b32 s9, s9
	s_wait_alu 0xfffe
	v_dual_mov_b32 v2, 0 :: v_dual_mov_b32 v3, s9
	s_wait_kmcnt 0x0
	global_atomic_add_u32 v2, v2, v3, s[10:11] th:TH_ATOMIC_RETURN scope:SCOPE_DEV
.LBB2522_3:
	s_or_b32 exec_lo, exec_lo, s8
	s_wait_loadcnt 0x0
	v_readfirstlane_b32 s8, v2
	s_wait_alu 0xf1ff
	s_delay_alu instid0(VALU_DEP_1)
	v_dual_mov_b32 v2, 0 :: v_dual_add_nc_u32 v1, s8, v1
	ds_store_b32 v2, v1
.LBB2522_4:
	s_or_b32 exec_lo, exec_lo, s3
	v_mov_b32_e32 v1, 0
	s_clause 0x2
	s_load_b128 s[8:11], s[0:1], 0x8
	s_load_b64 s[16:17], s[0:1], 0x20
	s_load_b32 s0, s[0:1], 0x70
	s_wait_dscnt 0x0
	s_barrier_signal -1
	s_barrier_wait -1
	global_inv scope:SCOPE_SE
	ds_load_b32 v2, v1
	s_wait_loadcnt_dscnt 0x0
	s_barrier_signal -1
	s_barrier_wait -1
	global_inv scope:SCOPE_SE
	s_wait_kmcnt 0x0
	global_load_b64 v[17:18], v1, s[6:7]
	s_mov_b32 s7, 0
	v_lshrrev_b32_e32 v11, 2, v0
	v_or_b32_e32 v10, 0x200, v0
	v_or_b32_e32 v9, 0x300, v0
	s_lshl_b64 s[22:23], s[10:11], 3
	s_add_co_i32 s24, s0, -1
	s_lshl_b32 s6, s0, 10
	s_lshl_b32 s3, s24, 10
	s_add_nc_u64 s[0:1], s[10:11], s[6:7]
	s_add_co_i32 s3, s10, s3
	v_readfirstlane_b32 s20, v2
	v_cmp_le_u64_e64 s0, s[18:19], s[0:1]
	s_sub_co_i32 s3, s18, s3
	s_add_nc_u64 s[8:9], s[8:9], s[22:23]
	s_mov_b32 s1, -1
	s_lshl_b32 s21, s20, 10
	s_cmp_eq_u32 s20, s24
	s_mov_b32 s6, s21
	s_cselect_b32 s18, -1, 0
	s_lshl_b64 s[22:23], s[6:7], 3
	s_wait_alu 0xfffe
	s_and_b32 s0, s0, s18
	s_add_nc_u64 s[8:9], s[8:9], s[22:23]
	s_wait_alu 0xfffe
	s_xor_b32 s19, s0, -1
	s_wait_alu 0xfffe
	s_and_b32 vcc_lo, exec_lo, s19
	s_cbranch_vccz .LBB2522_6
; %bb.5:
	v_lshlrev_b32_e32 v12, 3, v0
	v_or_b32_e32 v13, 0x100, v0
	v_lshrrev_b32_e32 v14, 2, v10
	v_lshrrev_b32_e32 v15, 2, v9
	v_and_b32_e32 v16, 56, v11
	v_add_co_u32 v1, s0, s8, v12
	s_wait_alu 0xf1ff
	v_add_co_ci_u32_e64 v2, null, s9, 0, s0
	v_lshrrev_b32_e32 v13, 2, v13
	v_and_b32_e32 v14, 0xb8, v14
	v_and_b32_e32 v15, 0xf8, v15
	s_clause 0x3
	flat_load_b64 v[3:4], v[1:2]
	flat_load_b64 v[5:6], v[1:2] offset:2048
	flat_load_b64 v[7:8], v[1:2] offset:4096
	;; [unrolled: 1-line block ×3, first 2 shown]
	v_add_nc_u32_e32 v16, v16, v12
	v_and_b32_e32 v13, 0x78, v13
	v_add_nc_u32_e32 v14, v14, v12
	s_mov_b32 s1, s7
	s_delay_alu instid0(VALU_DEP_2)
	v_add_nc_u32_e32 v13, v13, v12
	v_add_nc_u32_e32 v12, v15, v12
	s_wait_loadcnt_dscnt 0x303
	ds_store_b64 v16, v[3:4]
	s_wait_loadcnt_dscnt 0x203
	ds_store_b64 v13, v[5:6] offset:2048
	s_wait_loadcnt_dscnt 0x103
	ds_store_b64 v14, v[7:8] offset:4096
	;; [unrolled: 2-line block ×3, first 2 shown]
	s_wait_dscnt 0x0
	s_barrier_signal -1
	s_barrier_wait -1
.LBB2522_6:
	v_cmp_gt_u32_e64 s0, s3, v0
	s_wait_alu 0xfffe
	s_and_not1_b32 vcc_lo, exec_lo, s1
	s_cbranch_vccnz .LBB2522_14
; %bb.7:
	v_mov_b32_e32 v1, 0
	s_delay_alu instid0(VALU_DEP_1)
	v_dual_mov_b32 v2, v1 :: v_dual_mov_b32 v3, v1
	v_dual_mov_b32 v4, v1 :: v_dual_mov_b32 v5, v1
	;; [unrolled: 1-line block ×3, first 2 shown]
	v_mov_b32_e32 v8, v1
	s_and_saveexec_b32 s1, s0
	s_cbranch_execz .LBB2522_9
; %bb.8:
	v_dual_mov_b32 v21, v1 :: v_dual_lshlrev_b32 v2, 3, v0
	v_dual_mov_b32 v22, v1 :: v_dual_mov_b32 v23, v1
	v_dual_mov_b32 v24, v1 :: v_dual_mov_b32 v25, v1
	s_delay_alu instid0(VALU_DEP_3)
	v_add_co_u32 v2, s0, s8, v2
	s_wait_alu 0xf1ff
	v_add_co_ci_u32_e64 v3, null, s9, 0, s0
	v_mov_b32_e32 v26, v1
	flat_load_b64 v[19:20], v[2:3]
	s_wait_loadcnt_dscnt 0x0
	v_dual_mov_b32 v1, v19 :: v_dual_mov_b32 v2, v20
	v_dual_mov_b32 v3, v21 :: v_dual_mov_b32 v4, v22
	v_dual_mov_b32 v5, v23 :: v_dual_mov_b32 v6, v24
	v_dual_mov_b32 v7, v25 :: v_dual_mov_b32 v8, v26
.LBB2522_9:
	s_wait_alu 0xfffe
	s_or_b32 exec_lo, exec_lo, s1
	v_or_b32_e32 v12, 0x100, v0
	s_mov_b32 s0, exec_lo
	s_delay_alu instid0(VALU_DEP_1)
	v_cmpx_gt_u32_e64 s3, v12
	s_cbranch_execnz .LBB2522_138
; %bb.10:
	s_wait_alu 0xfffe
	s_or_b32 exec_lo, exec_lo, s0
	s_delay_alu instid0(SALU_CYCLE_1)
	s_mov_b32 s0, exec_lo
	v_cmpx_gt_u32_e64 s3, v10
	s_cbranch_execnz .LBB2522_139
.LBB2522_11:
	s_wait_alu 0xfffe
	s_or_b32 exec_lo, exec_lo, s0
	s_delay_alu instid0(SALU_CYCLE_1)
	s_mov_b32 s0, exec_lo
	v_cmpx_gt_u32_e64 s3, v9
	s_cbranch_execz .LBB2522_13
.LBB2522_12:
	v_lshlrev_b32_e32 v7, 3, v0
	s_delay_alu instid0(VALU_DEP_1)
	v_add_co_u32 v7, s1, s8, v7
	s_wait_alu 0xf1ff
	v_add_co_ci_u32_e64 v8, null, s9, 0, s1
	flat_load_b64 v[7:8], v[7:8] offset:6144
.LBB2522_13:
	s_wait_alu 0xfffe
	s_or_b32 exec_lo, exec_lo, s0
	v_lshrrev_b32_e32 v12, 2, v12
	v_lshrrev_b32_e32 v13, 2, v10
	;; [unrolled: 1-line block ×3, first 2 shown]
	v_and_b32_e32 v11, 56, v11
	v_lshlrev_b32_e32 v15, 3, v0
	v_and_b32_e32 v12, 0x78, v12
	v_and_b32_e32 v13, 0xf8, v13
	v_and_b32_e32 v14, 0xf8, v14
	s_delay_alu instid0(VALU_DEP_4) | instskip(NEXT) | instid1(VALU_DEP_4)
	v_add_nc_u32_e32 v11, v11, v15
	v_add_nc_u32_e32 v12, v12, v15
	s_delay_alu instid0(VALU_DEP_4) | instskip(NEXT) | instid1(VALU_DEP_4)
	v_add_nc_u32_e32 v13, v13, v15
	v_add_nc_u32_e32 v14, v14, v15
	ds_store_b64 v11, v[1:2]
	s_wait_loadcnt_dscnt 0x1
	ds_store_b64 v12, v[3:4] offset:2048
	ds_store_b64 v13, v[5:6] offset:4096
	;; [unrolled: 1-line block ×3, first 2 shown]
	s_wait_dscnt 0x0
	s_barrier_signal -1
	s_barrier_wait -1
.LBB2522_14:
	v_and_b32_e32 v1, 0xf8, v0
	s_wait_loadcnt 0x0
	global_inv scope:SCOPE_SE
	v_lshrrev_b32_e32 v28, 5, v0
	s_add_nc_u64 s[0:1], s[16:17], s[10:11]
	s_and_b32 vcc_lo, exec_lo, s19
	v_lshl_add_u32 v1, v0, 5, v1
	s_wait_alu 0xfffe
	s_add_nc_u64 s[0:1], s[0:1], s[6:7]
	s_mov_b32 s6, -1
	ds_load_2addr_b64 v[5:8], v1 offset1:1
	ds_load_2addr_b64 v[1:4], v1 offset0:2 offset1:3
	s_wait_loadcnt_dscnt 0x0
	s_barrier_signal -1
	s_barrier_wait -1
	global_inv scope:SCOPE_SE
	s_cbranch_vccz .LBB2522_16
; %bb.15:
	s_clause 0x3
	global_load_u8 v11, v0, s[0:1]
	global_load_u8 v12, v0, s[0:1] offset:256
	global_load_u8 v13, v0, s[0:1] offset:512
	;; [unrolled: 1-line block ×3, first 2 shown]
	v_or_b32_e32 v15, 0x100, v0
	v_lshrrev_b32_e32 v16, 5, v10
	v_lshrrev_b32_e32 v19, 5, v9
	v_and_b32_e32 v20, 4, v28
	s_mov_b32 s6, 0
	v_lshrrev_b32_e32 v15, 5, v15
	v_and_b32_e32 v16, 20, v16
	v_and_b32_e32 v19, 28, v19
	v_add_nc_u32_e32 v20, v20, v0
	s_delay_alu instid0(VALU_DEP_4) | instskip(NEXT) | instid1(VALU_DEP_4)
	v_and_b32_e32 v15, 12, v15
	v_add_nc_u32_e32 v16, v16, v0
	s_delay_alu instid0(VALU_DEP_4) | instskip(NEXT) | instid1(VALU_DEP_3)
	v_add_nc_u32_e32 v19, v19, v0
	v_add_nc_u32_e32 v15, v15, v0
	s_wait_loadcnt 0x3
	v_xor_b32_e32 v11, 1, v11
	s_wait_loadcnt 0x2
	v_xor_b32_e32 v12, 1, v12
	;; [unrolled: 2-line block ×4, first 2 shown]
	ds_store_b8 v20, v11
	ds_store_b8 v15, v12 offset:256
	ds_store_b8 v16, v13 offset:512
	;; [unrolled: 1-line block ×3, first 2 shown]
	s_wait_dscnt 0x0
	s_barrier_signal -1
	s_barrier_wait -1
.LBB2522_16:
	v_lshlrev_b32_e32 v11, 2, v0
	v_lshrrev_b32_e32 v12, 3, v0
	s_and_not1_b32 vcc_lo, exec_lo, s6
	s_cbranch_vccnz .LBB2522_24
; %bb.17:
	v_dual_mov_b32 v13, 0 :: v_dual_mov_b32 v14, 0
	s_mov_b32 s6, exec_lo
	v_cmpx_gt_u32_e64 s3, v0
	s_cbranch_execz .LBB2522_19
; %bb.18:
	global_load_u8 v13, v0, s[0:1]
	s_wait_loadcnt 0x0
	v_xor_b32_e32 v13, 1, v13
	s_delay_alu instid0(VALU_DEP_1) | instskip(NEXT) | instid1(VALU_DEP_1)
	v_and_b32_e32 v14, 1, v13
	v_and_b32_e32 v14, 0xffff, v14
.LBB2522_19:
	s_or_b32 exec_lo, exec_lo, s6
	v_or_b32_e32 v15, 0x100, v0
	s_mov_b32 s6, exec_lo
	s_delay_alu instid0(VALU_DEP_1)
	v_cmpx_gt_u32_e64 s3, v15
	s_cbranch_execnz .LBB2522_140
; %bb.20:
	s_or_b32 exec_lo, exec_lo, s6
	s_delay_alu instid0(SALU_CYCLE_1)
	s_mov_b32 s6, exec_lo
	v_cmpx_gt_u32_e64 s3, v10
	s_cbranch_execnz .LBB2522_141
.LBB2522_21:
	s_or_b32 exec_lo, exec_lo, s6
	v_cmp_gt_u32_e32 vcc_lo, s3, v9
	s_and_saveexec_b32 s3, vcc_lo
	s_cbranch_execz .LBB2522_23
.LBB2522_22:
	global_load_u8 v16, v0, s[0:1] offset:768
	v_lshrrev_b32_e32 v19, 16, v14
	s_wait_loadcnt 0x0
	v_xor_b32_e32 v16, 1, v16
	s_delay_alu instid0(VALU_DEP_1) | instskip(NEXT) | instid1(VALU_DEP_1)
	v_lshlrev_b16 v16, 8, v16
	v_or_b32_e32 v16, v19, v16
	s_delay_alu instid0(VALU_DEP_1) | instskip(NEXT) | instid1(VALU_DEP_1)
	v_lshlrev_b32_e32 v16, 16, v16
	v_and_or_b32 v14, 0xffff, v14, v16
.LBB2522_23:
	s_wait_alu 0xfffe
	s_or_b32 exec_lo, exec_lo, s3
	v_lshrrev_b32_e32 v15, 5, v15
	v_lshrrev_b32_e32 v10, 5, v10
	;; [unrolled: 1-line block ×3, first 2 shown]
	v_and_b32_e32 v16, 4, v28
	v_lshrrev_b32_e32 v19, 8, v14
	v_and_b32_e32 v15, 12, v15
	v_and_b32_e32 v10, 28, v10
	;; [unrolled: 1-line block ×3, first 2 shown]
	v_add_nc_u32_e32 v16, v16, v0
	v_lshrrev_b32_e32 v20, 24, v14
	v_add_nc_u32_e32 v15, v15, v0
	v_add_nc_u32_e32 v10, v10, v0
	;; [unrolled: 1-line block ×3, first 2 shown]
	ds_store_b8 v16, v13
	ds_store_b8 v15, v19 offset:256
	ds_store_b8_d16_hi v10, v14 offset:512
	ds_store_b8 v9, v20 offset:768
	s_wait_loadcnt_dscnt 0x0
	s_barrier_signal -1
	s_barrier_wait -1
.LBB2522_24:
	s_delay_alu instid0(VALU_DEP_1)
	v_dual_mov_b32 v10, 0 :: v_dual_and_b32 v9, 28, v12
	s_wait_loadcnt 0x0
	global_inv scope:SCOPE_SE
	v_mbcnt_lo_u32_b32 v33, -1, 0
	s_cmp_lg_u32 s20, 0
	v_add_nc_u32_e32 v9, v9, v11
	s_mov_b32 s1, -1
	s_delay_alu instid0(VALU_DEP_2)
	v_and_b32_e32 v34, 15, v33
	ds_load_b32 v29, v9
	s_wait_loadcnt_dscnt 0x0
	s_barrier_signal -1
	s_barrier_wait -1
	global_inv scope:SCOPE_SE
	v_and_b32_e32 v32, 0xff, v29
	v_bfe_u32 v31, v29, 8, 8
	v_bfe_u32 v30, v29, 16, 8
	v_lshrrev_b32_e32 v27, 24, v29
	s_delay_alu instid0(VALU_DEP_2) | instskip(NEXT) | instid1(VALU_DEP_1)
	v_add3_u32 v9, v31, v32, v30
	v_add_co_u32 v19, s0, v9, v27
	s_wait_alu 0xf1fe
	v_add_co_ci_u32_e64 v20, null, 0, 0, s0
	v_cmp_ne_u32_e64 s0, 0, v34
	s_cbranch_scc0 .LBB2522_81
; %bb.25:
	v_mov_b32_e32 v11, v19
	v_mov_b32_dpp v9, v19 row_shr:1 row_mask:0xf bank_mask:0xf
	v_mov_b32_dpp v14, v10 row_shr:1 row_mask:0xf bank_mask:0xf
	v_dual_mov_b32 v13, v19 :: v_dual_mov_b32 v12, v20
	s_and_saveexec_b32 s1, s0
; %bb.26:
	s_delay_alu instid0(VALU_DEP_3) | instskip(NEXT) | instid1(VALU_DEP_1)
	v_add_co_u32 v13, vcc_lo, v19, v9
	v_add_co_ci_u32_e64 v10, null, 0, v20, vcc_lo
	s_delay_alu instid0(VALU_DEP_2) | instskip(SKIP_1) | instid1(VALU_DEP_2)
	v_add_co_u32 v9, vcc_lo, 0, v13
	s_wait_alu 0xfffd
	v_add_co_ci_u32_e64 v10, null, v14, v10, vcc_lo
	s_delay_alu instid0(VALU_DEP_1)
	v_dual_mov_b32 v12, v10 :: v_dual_mov_b32 v11, v9
; %bb.27:
	s_wait_alu 0xfffe
	s_or_b32 exec_lo, exec_lo, s1
	v_mov_b32_dpp v9, v13 row_shr:2 row_mask:0xf bank_mask:0xf
	v_mov_b32_dpp v14, v10 row_shr:2 row_mask:0xf bank_mask:0xf
	s_mov_b32 s1, exec_lo
	v_cmpx_lt_u32_e32 1, v34
; %bb.28:
	s_delay_alu instid0(VALU_DEP_3) | instskip(SKIP_2) | instid1(VALU_DEP_2)
	v_add_co_u32 v13, vcc_lo, v11, v9
	s_wait_alu 0xfffd
	v_add_co_ci_u32_e64 v10, null, 0, v12, vcc_lo
	v_add_co_u32 v9, vcc_lo, 0, v13
	s_wait_alu 0xfffd
	s_delay_alu instid0(VALU_DEP_2) | instskip(NEXT) | instid1(VALU_DEP_1)
	v_add_co_ci_u32_e64 v10, null, v14, v10, vcc_lo
	v_dual_mov_b32 v12, v10 :: v_dual_mov_b32 v11, v9
; %bb.29:
	s_wait_alu 0xfffe
	s_or_b32 exec_lo, exec_lo, s1
	v_mov_b32_dpp v9, v13 row_shr:4 row_mask:0xf bank_mask:0xf
	v_mov_b32_dpp v14, v10 row_shr:4 row_mask:0xf bank_mask:0xf
	s_mov_b32 s1, exec_lo
	v_cmpx_lt_u32_e32 3, v34
; %bb.30:
	s_delay_alu instid0(VALU_DEP_3) | instskip(SKIP_2) | instid1(VALU_DEP_2)
	v_add_co_u32 v13, vcc_lo, v11, v9
	s_wait_alu 0xfffd
	v_add_co_ci_u32_e64 v10, null, 0, v12, vcc_lo
	v_add_co_u32 v9, vcc_lo, 0, v13
	s_wait_alu 0xfffd
	s_delay_alu instid0(VALU_DEP_2) | instskip(NEXT) | instid1(VALU_DEP_1)
	v_add_co_ci_u32_e64 v10, null, v14, v10, vcc_lo
	;; [unrolled: 17-line block ×3, first 2 shown]
	v_mov_b32_e32 v10, v12
; %bb.33:
	s_wait_alu 0xfffe
	s_or_b32 exec_lo, exec_lo, s1
	ds_swizzle_b32 v9, v13 offset:swizzle(BROADCAST,32,15)
	ds_swizzle_b32 v14, v10 offset:swizzle(BROADCAST,32,15)
	v_and_b32_e32 v15, 16, v33
	s_mov_b32 s1, exec_lo
	s_delay_alu instid0(VALU_DEP_1)
	v_cmpx_ne_u32_e32 0, v15
	s_cbranch_execz .LBB2522_35
; %bb.34:
	s_wait_dscnt 0x1
	v_add_co_u32 v13, vcc_lo, v11, v9
	s_wait_alu 0xfffd
	v_add_co_ci_u32_e64 v10, null, 0, v12, vcc_lo
	s_delay_alu instid0(VALU_DEP_2) | instskip(SKIP_2) | instid1(VALU_DEP_2)
	v_add_co_u32 v9, vcc_lo, 0, v13
	s_wait_dscnt 0x0
	s_wait_alu 0xfffd
	v_add_co_ci_u32_e64 v10, null, v14, v10, vcc_lo
	s_delay_alu instid0(VALU_DEP_1)
	v_dual_mov_b32 v12, v10 :: v_dual_mov_b32 v11, v9
.LBB2522_35:
	s_wait_alu 0xfffe
	s_or_b32 exec_lo, exec_lo, s1
	s_wait_dscnt 0x1
	v_or_b32_e32 v9, 31, v0
	s_mov_b32 s1, exec_lo
	s_delay_alu instid0(VALU_DEP_1)
	v_cmpx_eq_u32_e64 v0, v9
; %bb.36:
	v_lshlrev_b32_e32 v9, 3, v28
	ds_store_b64 v9, v[11:12]
; %bb.37:
	s_wait_alu 0xfffe
	s_or_b32 exec_lo, exec_lo, s1
	s_delay_alu instid0(SALU_CYCLE_1)
	s_mov_b32 s1, exec_lo
	s_wait_loadcnt_dscnt 0x0
	s_barrier_signal -1
	s_barrier_wait -1
	global_inv scope:SCOPE_SE
	v_cmpx_gt_u32_e32 8, v0
	s_cbranch_execz .LBB2522_45
; %bb.38:
	v_lshlrev_b32_e32 v9, 3, v0
	s_mov_b32 s3, exec_lo
	ds_load_b64 v[11:12], v9
	s_wait_dscnt 0x0
	v_dual_mov_b32 v15, v11 :: v_dual_and_b32 v14, 7, v33
	v_mov_b32_dpp v21, v11 row_shr:1 row_mask:0xf bank_mask:0xf
	v_mov_b32_dpp v16, v12 row_shr:1 row_mask:0xf bank_mask:0xf
	s_delay_alu instid0(VALU_DEP_3)
	v_cmpx_ne_u32_e32 0, v14
; %bb.39:
	s_delay_alu instid0(VALU_DEP_3) | instskip(SKIP_2) | instid1(VALU_DEP_2)
	v_add_co_u32 v15, vcc_lo, v11, v21
	s_wait_alu 0xfffd
	v_add_co_ci_u32_e64 v12, null, 0, v12, vcc_lo
	v_add_co_u32 v11, vcc_lo, 0, v15
	s_wait_alu 0xfffd
	s_delay_alu instid0(VALU_DEP_2)
	v_add_co_ci_u32_e64 v12, null, v16, v12, vcc_lo
; %bb.40:
	s_wait_alu 0xfffe
	s_or_b32 exec_lo, exec_lo, s3
	v_mov_b32_dpp v21, v15 row_shr:2 row_mask:0xf bank_mask:0xf
	s_delay_alu instid0(VALU_DEP_2)
	v_mov_b32_dpp v16, v12 row_shr:2 row_mask:0xf bank_mask:0xf
	s_mov_b32 s3, exec_lo
	v_cmpx_lt_u32_e32 1, v14
; %bb.41:
	s_delay_alu instid0(VALU_DEP_3) | instskip(SKIP_2) | instid1(VALU_DEP_2)
	v_add_co_u32 v15, vcc_lo, v11, v21
	s_wait_alu 0xfffd
	v_add_co_ci_u32_e64 v12, null, 0, v12, vcc_lo
	v_add_co_u32 v11, vcc_lo, 0, v15
	s_wait_alu 0xfffd
	s_delay_alu instid0(VALU_DEP_2)
	v_add_co_ci_u32_e64 v12, null, v16, v12, vcc_lo
; %bb.42:
	s_wait_alu 0xfffe
	s_or_b32 exec_lo, exec_lo, s3
	v_mov_b32_dpp v16, v15 row_shr:4 row_mask:0xf bank_mask:0xf
	s_delay_alu instid0(VALU_DEP_2)
	v_mov_b32_dpp v15, v12 row_shr:4 row_mask:0xf bank_mask:0xf
	s_mov_b32 s3, exec_lo
	v_cmpx_lt_u32_e32 3, v14
; %bb.43:
	s_delay_alu instid0(VALU_DEP_3) | instskip(SKIP_2) | instid1(VALU_DEP_2)
	v_add_co_u32 v11, vcc_lo, v11, v16
	s_wait_alu 0xfffd
	v_add_co_ci_u32_e64 v12, null, 0, v12, vcc_lo
	v_add_co_u32 v11, vcc_lo, v11, 0
	s_wait_alu 0xfffd
	s_delay_alu instid0(VALU_DEP_2)
	v_add_co_ci_u32_e64 v12, null, v12, v15, vcc_lo
; %bb.44:
	s_wait_alu 0xfffe
	s_or_b32 exec_lo, exec_lo, s3
	ds_store_b64 v9, v[11:12]
.LBB2522_45:
	s_wait_alu 0xfffe
	s_or_b32 exec_lo, exec_lo, s1
	s_delay_alu instid0(SALU_CYCLE_1)
	s_mov_b32 s3, exec_lo
	v_cmp_gt_u32_e32 vcc_lo, 32, v0
	s_wait_loadcnt_dscnt 0x0
	s_barrier_signal -1
	s_barrier_wait -1
	global_inv scope:SCOPE_SE
                                        ; implicit-def: $vgpr21_vgpr22
	v_cmpx_lt_u32_e32 31, v0
	s_cbranch_execz .LBB2522_47
; %bb.46:
	v_lshl_add_u32 v9, v28, 3, -8
	ds_load_b64 v[21:22], v9
	s_wait_dscnt 0x0
	v_add_co_u32 v13, s1, v13, v21
	s_wait_alu 0xf1ff
	v_add_co_ci_u32_e64 v10, null, v10, v22, s1
.LBB2522_47:
	s_wait_alu 0xfffe
	s_or_b32 exec_lo, exec_lo, s3
	v_sub_co_u32 v9, s1, v33, 1
	s_delay_alu instid0(VALU_DEP_1) | instskip(SKIP_1) | instid1(VALU_DEP_1)
	v_cmp_gt_i32_e64 s3, 0, v9
	s_wait_alu 0xf1ff
	v_cndmask_b32_e64 v9, v9, v33, s3
	s_delay_alu instid0(VALU_DEP_1)
	v_lshlrev_b32_e32 v9, 2, v9
	ds_bpermute_b32 v35, v9, v13
	ds_bpermute_b32 v36, v9, v10
	s_and_saveexec_b32 s3, vcc_lo
	s_cbranch_execz .LBB2522_86
; %bb.48:
	v_mov_b32_e32 v12, 0
	ds_load_b64 v[9:10], v12 offset:56
	s_and_saveexec_b32 s6, s1
	s_cbranch_execz .LBB2522_50
; %bb.49:
	s_add_co_i32 s8, s20, 32
	s_mov_b32 s9, 0
	s_wait_alu 0xfffe
	s_lshl_b64 s[8:9], s[8:9], 4
	s_wait_alu 0xfffe
	s_add_nc_u64 s[8:9], s[14:15], s[8:9]
	s_wait_alu 0xfffe
	v_dual_mov_b32 v11, 1 :: v_dual_mov_b32 v14, s9
	v_mov_b32_e32 v13, s8
	s_wait_dscnt 0x0
	;;#ASMSTART
	global_store_b128 v[13:14], v[9:12] off scope:SCOPE_DEV	
s_wait_storecnt 0x0
	;;#ASMEND
.LBB2522_50:
	s_or_b32 exec_lo, exec_lo, s6
	v_xad_u32 v23, v33, -1, s20
	s_mov_b32 s6, exec_lo
	s_delay_alu instid0(VALU_DEP_1) | instskip(NEXT) | instid1(VALU_DEP_1)
	v_add_nc_u32_e32 v11, 32, v23
	v_lshlrev_b64_e32 v[11:12], 4, v[11:12]
	s_delay_alu instid0(VALU_DEP_1) | instskip(SKIP_1) | instid1(VALU_DEP_2)
	v_add_co_u32 v11, vcc_lo, s14, v11
	s_wait_alu 0xfffd
	v_add_co_ci_u32_e64 v12, null, s15, v12, vcc_lo
	;;#ASMSTART
	global_load_b128 v[13:16], v[11:12] off scope:SCOPE_DEV	
s_wait_loadcnt 0x0
	;;#ASMEND
	v_and_b32_e32 v16, 0xff, v15
	s_delay_alu instid0(VALU_DEP_1)
	v_cmpx_eq_u16_e32 0, v16
	s_cbranch_execz .LBB2522_53
.LBB2522_51:                            ; =>This Inner Loop Header: Depth=1
	;;#ASMSTART
	global_load_b128 v[13:16], v[11:12] off scope:SCOPE_DEV	
s_wait_loadcnt 0x0
	;;#ASMEND
	v_and_b32_e32 v16, 0xff, v15
	s_delay_alu instid0(VALU_DEP_1) | instskip(SKIP_1) | instid1(SALU_CYCLE_1)
	v_cmp_ne_u16_e32 vcc_lo, 0, v16
	s_or_b32 s7, vcc_lo, s7
	s_and_not1_b32 exec_lo, exec_lo, s7
	s_cbranch_execnz .LBB2522_51
; %bb.52:
	s_or_b32 exec_lo, exec_lo, s7
.LBB2522_53:
	s_delay_alu instid0(SALU_CYCLE_1)
	s_or_b32 exec_lo, exec_lo, s6
	v_cmp_ne_u32_e32 vcc_lo, 31, v33
	v_and_b32_e32 v12, 0xff, v15
	v_lshlrev_b32_e64 v38, v33, -1
	s_mov_b32 s6, exec_lo
	s_wait_alu 0xfffd
	v_add_co_ci_u32_e64 v11, null, 0, v33, vcc_lo
	v_cmp_eq_u16_e32 vcc_lo, 2, v12
	s_delay_alu instid0(VALU_DEP_2)
	v_dual_mov_b32 v12, v13 :: v_dual_lshlrev_b32 v37, 2, v11
	s_wait_alu 0xfffd
	v_and_or_b32 v11, vcc_lo, v38, 0x80000000
	ds_bpermute_b32 v24, v37, v13
	ds_bpermute_b32 v16, v37, v14
	v_ctz_i32_b32_e32 v11, v11
	s_delay_alu instid0(VALU_DEP_1)
	v_cmpx_lt_u32_e64 v33, v11
	s_cbranch_execz .LBB2522_55
; %bb.54:
	s_wait_dscnt 0x1
	v_add_co_u32 v12, vcc_lo, v13, v24
	s_wait_alu 0xfffd
	v_add_co_ci_u32_e64 v14, null, 0, v14, vcc_lo
	s_delay_alu instid0(VALU_DEP_2) | instskip(SKIP_2) | instid1(VALU_DEP_2)
	v_add_co_u32 v13, vcc_lo, 0, v12
	s_wait_dscnt 0x0
	s_wait_alu 0xfffd
	v_add_co_ci_u32_e64 v14, null, v16, v14, vcc_lo
.LBB2522_55:
	s_or_b32 exec_lo, exec_lo, s6
	v_cmp_gt_u32_e32 vcc_lo, 30, v33
	v_add_nc_u32_e32 v40, 2, v33
	s_mov_b32 s6, exec_lo
	s_wait_dscnt 0x0
	s_wait_alu 0xfffd
	v_cndmask_b32_e64 v16, 0, 2, vcc_lo
	s_delay_alu instid0(VALU_DEP_1)
	v_add_lshl_u32 v39, v16, v33, 2
	ds_bpermute_b32 v24, v39, v12
	ds_bpermute_b32 v16, v39, v14
	v_cmpx_le_u32_e64 v40, v11
	s_cbranch_execz .LBB2522_57
; %bb.56:
	s_wait_dscnt 0x1
	v_add_co_u32 v12, vcc_lo, v13, v24
	s_wait_alu 0xfffd
	v_add_co_ci_u32_e64 v14, null, 0, v14, vcc_lo
	s_delay_alu instid0(VALU_DEP_2) | instskip(SKIP_2) | instid1(VALU_DEP_2)
	v_add_co_u32 v13, vcc_lo, 0, v12
	s_wait_dscnt 0x0
	s_wait_alu 0xfffd
	v_add_co_ci_u32_e64 v14, null, v16, v14, vcc_lo
.LBB2522_57:
	s_or_b32 exec_lo, exec_lo, s6
	v_cmp_gt_u32_e32 vcc_lo, 28, v33
	v_add_nc_u32_e32 v42, 4, v33
	s_mov_b32 s6, exec_lo
	s_wait_dscnt 0x0
	s_wait_alu 0xfffd
	v_cndmask_b32_e64 v16, 0, 4, vcc_lo
	s_delay_alu instid0(VALU_DEP_1)
	v_add_lshl_u32 v41, v16, v33, 2
	ds_bpermute_b32 v24, v41, v12
	ds_bpermute_b32 v16, v41, v14
	v_cmpx_le_u32_e64 v42, v11
	;; [unrolled: 24-line block ×3, first 2 shown]
	s_cbranch_execz .LBB2522_61
; %bb.60:
	s_wait_dscnt 0x1
	v_add_co_u32 v12, vcc_lo, v13, v24
	s_wait_alu 0xfffd
	v_add_co_ci_u32_e64 v14, null, 0, v14, vcc_lo
	s_delay_alu instid0(VALU_DEP_2) | instskip(SKIP_2) | instid1(VALU_DEP_2)
	v_add_co_u32 v13, vcc_lo, 0, v12
	s_wait_dscnt 0x0
	s_wait_alu 0xfffd
	v_add_co_ci_u32_e64 v14, null, v16, v14, vcc_lo
.LBB2522_61:
	s_or_b32 exec_lo, exec_lo, s6
	v_lshl_or_b32 v45, v33, 2, 64
	v_add_nc_u32_e32 v46, 16, v33
	s_mov_b32 s6, exec_lo
	s_wait_dscnt 0x0
	ds_bpermute_b32 v16, v45, v12
	ds_bpermute_b32 v12, v45, v14
	v_cmpx_le_u32_e64 v46, v11
	s_cbranch_execz .LBB2522_63
; %bb.62:
	s_wait_dscnt 0x1
	v_add_co_u32 v11, vcc_lo, v13, v16
	s_wait_alu 0xfffd
	v_add_co_ci_u32_e64 v14, null, 0, v14, vcc_lo
	s_delay_alu instid0(VALU_DEP_2) | instskip(SKIP_2) | instid1(VALU_DEP_2)
	v_add_co_u32 v13, vcc_lo, v11, 0
	s_wait_dscnt 0x0
	s_wait_alu 0xfffd
	v_add_co_ci_u32_e64 v14, null, v14, v12, vcc_lo
.LBB2522_63:
	s_or_b32 exec_lo, exec_lo, s6
	v_mov_b32_e32 v24, 0
	s_branch .LBB2522_66
.LBB2522_64:                            ;   in Loop: Header=BB2522_66 Depth=1
	s_or_b32 exec_lo, exec_lo, s6
	v_add_co_u32 v13, vcc_lo, v13, v11
	v_subrev_nc_u32_e32 v23, 32, v23
	s_wait_alu 0xfffd
	v_add_co_ci_u32_e64 v14, null, v14, v12, vcc_lo
	s_mov_b32 s6, 0
.LBB2522_65:                            ;   in Loop: Header=BB2522_66 Depth=1
	s_delay_alu instid0(SALU_CYCLE_1)
	s_and_b32 vcc_lo, exec_lo, s6
	s_wait_alu 0xfffe
	s_cbranch_vccnz .LBB2522_82
.LBB2522_66:                            ; =>This Loop Header: Depth=1
                                        ;     Child Loop BB2522_69 Depth 2
	v_and_b32_e32 v11, 0xff, v15
	s_mov_b32 s6, -1
	s_delay_alu instid0(VALU_DEP_1)
	v_cmp_ne_u16_e32 vcc_lo, 2, v11
	s_wait_dscnt 0x0
	v_dual_mov_b32 v11, v13 :: v_dual_mov_b32 v12, v14
                                        ; implicit-def: $vgpr13_vgpr14
	s_cmp_lg_u32 vcc_lo, exec_lo
	s_cbranch_scc1 .LBB2522_65
; %bb.67:                               ;   in Loop: Header=BB2522_66 Depth=1
	v_lshlrev_b64_e32 v[13:14], 4, v[23:24]
	s_mov_b32 s6, exec_lo
	s_delay_alu instid0(VALU_DEP_1) | instskip(SKIP_1) | instid1(VALU_DEP_2)
	v_add_co_u32 v25, vcc_lo, s14, v13
	s_wait_alu 0xfffd
	v_add_co_ci_u32_e64 v26, null, s15, v14, vcc_lo
	;;#ASMSTART
	global_load_b128 v[13:16], v[25:26] off scope:SCOPE_DEV	
s_wait_loadcnt 0x0
	;;#ASMEND
	v_and_b32_e32 v16, 0xff, v15
	s_delay_alu instid0(VALU_DEP_1)
	v_cmpx_eq_u16_e32 0, v16
	s_cbranch_execz .LBB2522_71
; %bb.68:                               ;   in Loop: Header=BB2522_66 Depth=1
	s_mov_b32 s7, 0
.LBB2522_69:                            ;   Parent Loop BB2522_66 Depth=1
                                        ; =>  This Inner Loop Header: Depth=2
	;;#ASMSTART
	global_load_b128 v[13:16], v[25:26] off scope:SCOPE_DEV	
s_wait_loadcnt 0x0
	;;#ASMEND
	v_and_b32_e32 v16, 0xff, v15
	s_delay_alu instid0(VALU_DEP_1) | instskip(SKIP_1) | instid1(SALU_CYCLE_1)
	v_cmp_ne_u16_e32 vcc_lo, 0, v16
	s_or_b32 s7, vcc_lo, s7
	s_and_not1_b32 exec_lo, exec_lo, s7
	s_cbranch_execnz .LBB2522_69
; %bb.70:                               ;   in Loop: Header=BB2522_66 Depth=1
	s_or_b32 exec_lo, exec_lo, s7
.LBB2522_71:                            ;   in Loop: Header=BB2522_66 Depth=1
	s_delay_alu instid0(SALU_CYCLE_1)
	s_or_b32 exec_lo, exec_lo, s6
	v_dual_mov_b32 v25, v13 :: v_dual_and_b32 v16, 0xff, v15
	ds_bpermute_b32 v47, v37, v13
	ds_bpermute_b32 v26, v37, v14
	s_mov_b32 s6, exec_lo
	v_cmp_eq_u16_e32 vcc_lo, 2, v16
	s_wait_alu 0xfffd
	v_and_or_b32 v16, vcc_lo, v38, 0x80000000
	s_delay_alu instid0(VALU_DEP_1) | instskip(NEXT) | instid1(VALU_DEP_1)
	v_ctz_i32_b32_e32 v16, v16
	v_cmpx_lt_u32_e64 v33, v16
	s_cbranch_execz .LBB2522_73
; %bb.72:                               ;   in Loop: Header=BB2522_66 Depth=1
	s_wait_dscnt 0x1
	v_add_co_u32 v25, vcc_lo, v13, v47
	s_wait_alu 0xfffd
	v_add_co_ci_u32_e64 v14, null, 0, v14, vcc_lo
	s_delay_alu instid0(VALU_DEP_2) | instskip(SKIP_2) | instid1(VALU_DEP_2)
	v_add_co_u32 v13, vcc_lo, 0, v25
	s_wait_dscnt 0x0
	s_wait_alu 0xfffd
	v_add_co_ci_u32_e64 v14, null, v26, v14, vcc_lo
.LBB2522_73:                            ;   in Loop: Header=BB2522_66 Depth=1
	s_or_b32 exec_lo, exec_lo, s6
	s_wait_dscnt 0x1
	ds_bpermute_b32 v47, v39, v25
	s_wait_dscnt 0x1
	ds_bpermute_b32 v26, v39, v14
	s_mov_b32 s6, exec_lo
	v_cmpx_le_u32_e64 v40, v16
	s_cbranch_execz .LBB2522_75
; %bb.74:                               ;   in Loop: Header=BB2522_66 Depth=1
	s_wait_dscnt 0x1
	v_add_co_u32 v25, vcc_lo, v13, v47
	s_wait_alu 0xfffd
	v_add_co_ci_u32_e64 v14, null, 0, v14, vcc_lo
	s_delay_alu instid0(VALU_DEP_2) | instskip(SKIP_2) | instid1(VALU_DEP_2)
	v_add_co_u32 v13, vcc_lo, 0, v25
	s_wait_dscnt 0x0
	s_wait_alu 0xfffd
	v_add_co_ci_u32_e64 v14, null, v26, v14, vcc_lo
.LBB2522_75:                            ;   in Loop: Header=BB2522_66 Depth=1
	s_or_b32 exec_lo, exec_lo, s6
	s_wait_dscnt 0x1
	ds_bpermute_b32 v47, v41, v25
	s_wait_dscnt 0x1
	ds_bpermute_b32 v26, v41, v14
	s_mov_b32 s6, exec_lo
	v_cmpx_le_u32_e64 v42, v16
	;; [unrolled: 19-line block ×3, first 2 shown]
	s_cbranch_execz .LBB2522_79
; %bb.78:                               ;   in Loop: Header=BB2522_66 Depth=1
	s_wait_dscnt 0x1
	v_add_co_u32 v25, vcc_lo, v13, v47
	s_wait_alu 0xfffd
	v_add_co_ci_u32_e64 v14, null, 0, v14, vcc_lo
	s_delay_alu instid0(VALU_DEP_2) | instskip(SKIP_2) | instid1(VALU_DEP_2)
	v_add_co_u32 v13, vcc_lo, 0, v25
	s_wait_dscnt 0x0
	s_wait_alu 0xfffd
	v_add_co_ci_u32_e64 v14, null, v26, v14, vcc_lo
.LBB2522_79:                            ;   in Loop: Header=BB2522_66 Depth=1
	s_or_b32 exec_lo, exec_lo, s6
	s_wait_dscnt 0x0
	ds_bpermute_b32 v26, v45, v25
	ds_bpermute_b32 v25, v45, v14
	s_mov_b32 s6, exec_lo
	v_cmpx_le_u32_e64 v46, v16
	s_cbranch_execz .LBB2522_64
; %bb.80:                               ;   in Loop: Header=BB2522_66 Depth=1
	s_wait_dscnt 0x1
	v_add_co_u32 v13, vcc_lo, v13, v26
	s_wait_alu 0xfffd
	v_add_co_ci_u32_e64 v14, null, 0, v14, vcc_lo
	s_delay_alu instid0(VALU_DEP_2) | instskip(SKIP_2) | instid1(VALU_DEP_2)
	v_add_co_u32 v13, vcc_lo, v13, 0
	s_wait_dscnt 0x0
	s_wait_alu 0xfffd
	v_add_co_ci_u32_e64 v14, null, v14, v25, vcc_lo
	s_branch .LBB2522_64
.LBB2522_81:
                                        ; implicit-def: $vgpr15_vgpr16
                                        ; implicit-def: $vgpr13_vgpr14
                                        ; implicit-def: $vgpr21_vgpr22
                                        ; implicit-def: $vgpr23_vgpr24
                                        ; implicit-def: $vgpr11_vgpr12
	s_and_b32 vcc_lo, exec_lo, s1
	s_cbranch_vccnz .LBB2522_87
	s_branch .LBB2522_112
.LBB2522_82:
	s_and_saveexec_b32 s6, s1
	s_cbranch_execz .LBB2522_84
; %bb.83:
	s_add_co_i32 s8, s20, 32
	s_mov_b32 s9, 0
	v_add_co_u32 v13, vcc_lo, v11, v9
	s_wait_alu 0xfffe
	s_lshl_b64 s[8:9], s[8:9], 4
	v_dual_mov_b32 v15, 2 :: v_dual_mov_b32 v16, 0
	s_wait_alu 0xfffe
	s_add_nc_u64 s[8:9], s[14:15], s[8:9]
	s_wait_alu 0xfffd
	v_add_co_ci_u32_e64 v14, null, v12, v10, vcc_lo
	s_wait_alu 0xfffe
	v_dual_mov_b32 v24, s9 :: v_dual_mov_b32 v23, s8
	;;#ASMSTART
	global_store_b128 v[23:24], v[13:16] off scope:SCOPE_DEV	
s_wait_storecnt 0x0
	;;#ASMEND
	ds_store_b128 v16, v[9:12] offset:8448
.LBB2522_84:
	s_or_b32 exec_lo, exec_lo, s6
	s_delay_alu instid0(SALU_CYCLE_1)
	s_and_b32 exec_lo, exec_lo, s2
; %bb.85:
	v_mov_b32_e32 v9, 0
	ds_store_b64 v9, v[11:12] offset:56
.LBB2522_86:
	s_wait_alu 0xfffe
	s_or_b32 exec_lo, exec_lo, s3
	v_mov_b32_e32 v9, 0
	s_wait_loadcnt_dscnt 0x0
	s_barrier_signal -1
	s_barrier_wait -1
	global_inv scope:SCOPE_SE
	ds_load_b64 v[13:14], v9 offset:56
	v_cndmask_b32_e64 v11, v35, v21, s1
	v_cndmask_b32_e64 v10, v36, v22, s1
	s_wait_loadcnt_dscnt 0x0
	s_barrier_signal -1
	s_barrier_wait -1
	v_cndmask_b32_e64 v16, v11, 0, s2
	v_cndmask_b32_e64 v15, v10, 0, s2
	global_inv scope:SCOPE_SE
	ds_load_b128 v[9:12], v9 offset:8448
	v_add_co_u32 v23, vcc_lo, v13, v16
	s_wait_alu 0xfffd
	v_add_co_ci_u32_e64 v24, null, v14, v15, vcc_lo
	s_delay_alu instid0(VALU_DEP_2) | instskip(SKIP_1) | instid1(VALU_DEP_2)
	v_add_co_u32 v21, vcc_lo, v23, v32
	s_wait_alu 0xfffd
	v_add_co_ci_u32_e64 v22, null, 0, v24, vcc_lo
	s_delay_alu instid0(VALU_DEP_2) | instskip(SKIP_1) | instid1(VALU_DEP_2)
	;; [unrolled: 4-line block ×3, first 2 shown]
	v_add_co_u32 v15, vcc_lo, v13, v30
	s_wait_alu 0xfffd
	v_add_co_ci_u32_e64 v16, null, 0, v14, vcc_lo
	s_branch .LBB2522_112
.LBB2522_87:
	s_wait_dscnt 0x0
	v_dual_mov_b32 v10, 0 :: v_dual_mov_b32 v11, v19
	v_mov_b32_dpp v12, v19 row_shr:1 row_mask:0xf bank_mask:0xf
	s_delay_alu instid0(VALU_DEP_2)
	v_mov_b32_dpp v9, v10 row_shr:1 row_mask:0xf bank_mask:0xf
	s_and_saveexec_b32 s1, s0
; %bb.88:
	s_delay_alu instid0(VALU_DEP_2) | instskip(NEXT) | instid1(VALU_DEP_1)
	v_add_co_u32 v11, vcc_lo, v19, v12
	v_add_co_ci_u32_e64 v10, null, 0, v20, vcc_lo
	s_delay_alu instid0(VALU_DEP_2) | instskip(SKIP_1) | instid1(VALU_DEP_2)
	v_add_co_u32 v19, vcc_lo, 0, v11
	s_wait_alu 0xfffd
	v_add_co_ci_u32_e64 v20, null, v9, v10, vcc_lo
	s_delay_alu instid0(VALU_DEP_1)
	v_mov_b32_e32 v10, v20
; %bb.89:
	s_wait_alu 0xfffe
	s_or_b32 exec_lo, exec_lo, s1
	v_mov_b32_dpp v9, v11 row_shr:2 row_mask:0xf bank_mask:0xf
	s_delay_alu instid0(VALU_DEP_2)
	v_mov_b32_dpp v12, v10 row_shr:2 row_mask:0xf bank_mask:0xf
	s_mov_b32 s0, exec_lo
	v_cmpx_lt_u32_e32 1, v34
; %bb.90:
	s_delay_alu instid0(VALU_DEP_3) | instskip(SKIP_2) | instid1(VALU_DEP_2)
	v_add_co_u32 v11, vcc_lo, v19, v9
	s_wait_alu 0xfffd
	v_add_co_ci_u32_e64 v10, null, 0, v20, vcc_lo
	v_add_co_u32 v9, vcc_lo, 0, v11
	s_wait_alu 0xfffd
	s_delay_alu instid0(VALU_DEP_2) | instskip(NEXT) | instid1(VALU_DEP_1)
	v_add_co_ci_u32_e64 v10, null, v12, v10, vcc_lo
	v_dual_mov_b32 v20, v10 :: v_dual_mov_b32 v19, v9
; %bb.91:
	s_wait_alu 0xfffe
	s_or_b32 exec_lo, exec_lo, s0
	v_mov_b32_dpp v9, v11 row_shr:4 row_mask:0xf bank_mask:0xf
	v_mov_b32_dpp v12, v10 row_shr:4 row_mask:0xf bank_mask:0xf
	s_mov_b32 s0, exec_lo
	v_cmpx_lt_u32_e32 3, v34
; %bb.92:
	s_delay_alu instid0(VALU_DEP_3) | instskip(SKIP_2) | instid1(VALU_DEP_2)
	v_add_co_u32 v11, vcc_lo, v19, v9
	s_wait_alu 0xfffd
	v_add_co_ci_u32_e64 v10, null, 0, v20, vcc_lo
	v_add_co_u32 v9, vcc_lo, 0, v11
	s_wait_alu 0xfffd
	s_delay_alu instid0(VALU_DEP_2) | instskip(NEXT) | instid1(VALU_DEP_1)
	v_add_co_ci_u32_e64 v10, null, v12, v10, vcc_lo
	v_dual_mov_b32 v20, v10 :: v_dual_mov_b32 v19, v9
; %bb.93:
	s_wait_alu 0xfffe
	s_or_b32 exec_lo, exec_lo, s0
	v_mov_b32_dpp v12, v11 row_shr:8 row_mask:0xf bank_mask:0xf
	v_mov_b32_dpp v9, v10 row_shr:8 row_mask:0xf bank_mask:0xf
	s_mov_b32 s0, exec_lo
	v_cmpx_lt_u32_e32 7, v34
; %bb.94:
	s_delay_alu instid0(VALU_DEP_3) | instskip(SKIP_2) | instid1(VALU_DEP_2)
	v_add_co_u32 v11, vcc_lo, v19, v12
	s_wait_alu 0xfffd
	v_add_co_ci_u32_e64 v10, null, 0, v20, vcc_lo
	v_add_co_u32 v19, vcc_lo, 0, v11
	s_wait_alu 0xfffd
	s_delay_alu instid0(VALU_DEP_2) | instskip(NEXT) | instid1(VALU_DEP_1)
	v_add_co_ci_u32_e64 v20, null, v9, v10, vcc_lo
	v_mov_b32_e32 v10, v20
; %bb.95:
	s_wait_alu 0xfffe
	s_or_b32 exec_lo, exec_lo, s0
	ds_swizzle_b32 v11, v11 offset:swizzle(BROADCAST,32,15)
	ds_swizzle_b32 v9, v10 offset:swizzle(BROADCAST,32,15)
	v_and_b32_e32 v10, 16, v33
	s_mov_b32 s0, exec_lo
	s_delay_alu instid0(VALU_DEP_1)
	v_cmpx_ne_u32_e32 0, v10
	s_cbranch_execz .LBB2522_97
; %bb.96:
	s_wait_dscnt 0x1
	v_add_co_u32 v10, vcc_lo, v19, v11
	s_wait_alu 0xfffd
	v_add_co_ci_u32_e64 v11, null, 0, v20, vcc_lo
	s_delay_alu instid0(VALU_DEP_2) | instskip(SKIP_2) | instid1(VALU_DEP_2)
	v_add_co_u32 v19, vcc_lo, v10, 0
	s_wait_dscnt 0x0
	s_wait_alu 0xfffd
	v_add_co_ci_u32_e64 v20, null, v11, v9, vcc_lo
.LBB2522_97:
	s_wait_alu 0xfffe
	s_or_b32 exec_lo, exec_lo, s0
	s_wait_dscnt 0x0
	v_or_b32_e32 v9, 31, v0
	s_mov_b32 s0, exec_lo
	s_delay_alu instid0(VALU_DEP_1)
	v_cmpx_eq_u32_e64 v0, v9
; %bb.98:
	v_lshlrev_b32_e32 v9, 3, v28
	ds_store_b64 v9, v[19:20]
; %bb.99:
	s_wait_alu 0xfffe
	s_or_b32 exec_lo, exec_lo, s0
	s_delay_alu instid0(SALU_CYCLE_1)
	s_mov_b32 s0, exec_lo
	s_wait_loadcnt_dscnt 0x0
	s_barrier_signal -1
	s_barrier_wait -1
	global_inv scope:SCOPE_SE
	v_cmpx_gt_u32_e32 8, v0
	s_cbranch_execz .LBB2522_107
; %bb.100:
	v_lshlrev_b32_e32 v11, 3, v0
	s_mov_b32 s1, exec_lo
	ds_load_b64 v[9:10], v11
	s_wait_dscnt 0x0
	v_dual_mov_b32 v13, v9 :: v_dual_and_b32 v12, 7, v33
	v_mov_b32_dpp v15, v9 row_shr:1 row_mask:0xf bank_mask:0xf
	v_mov_b32_dpp v14, v10 row_shr:1 row_mask:0xf bank_mask:0xf
	s_delay_alu instid0(VALU_DEP_3)
	v_cmpx_ne_u32_e32 0, v12
; %bb.101:
	s_delay_alu instid0(VALU_DEP_3) | instskip(SKIP_2) | instid1(VALU_DEP_2)
	v_add_co_u32 v13, vcc_lo, v9, v15
	s_wait_alu 0xfffd
	v_add_co_ci_u32_e64 v10, null, 0, v10, vcc_lo
	v_add_co_u32 v9, vcc_lo, 0, v13
	s_wait_alu 0xfffd
	s_delay_alu instid0(VALU_DEP_2)
	v_add_co_ci_u32_e64 v10, null, v14, v10, vcc_lo
; %bb.102:
	s_wait_alu 0xfffe
	s_or_b32 exec_lo, exec_lo, s1
	v_mov_b32_dpp v15, v13 row_shr:2 row_mask:0xf bank_mask:0xf
	s_delay_alu instid0(VALU_DEP_2)
	v_mov_b32_dpp v14, v10 row_shr:2 row_mask:0xf bank_mask:0xf
	s_mov_b32 s1, exec_lo
	v_cmpx_lt_u32_e32 1, v12
; %bb.103:
	s_delay_alu instid0(VALU_DEP_3) | instskip(SKIP_2) | instid1(VALU_DEP_2)
	v_add_co_u32 v13, vcc_lo, v9, v15
	s_wait_alu 0xfffd
	v_add_co_ci_u32_e64 v10, null, 0, v10, vcc_lo
	v_add_co_u32 v9, vcc_lo, 0, v13
	s_wait_alu 0xfffd
	s_delay_alu instid0(VALU_DEP_2)
	v_add_co_ci_u32_e64 v10, null, v14, v10, vcc_lo
; %bb.104:
	s_wait_alu 0xfffe
	s_or_b32 exec_lo, exec_lo, s1
	v_mov_b32_dpp v14, v13 row_shr:4 row_mask:0xf bank_mask:0xf
	s_delay_alu instid0(VALU_DEP_2)
	v_mov_b32_dpp v13, v10 row_shr:4 row_mask:0xf bank_mask:0xf
	s_mov_b32 s1, exec_lo
	v_cmpx_lt_u32_e32 3, v12
; %bb.105:
	s_delay_alu instid0(VALU_DEP_3) | instskip(SKIP_2) | instid1(VALU_DEP_2)
	v_add_co_u32 v9, vcc_lo, v9, v14
	s_wait_alu 0xfffd
	v_add_co_ci_u32_e64 v10, null, 0, v10, vcc_lo
	v_add_co_u32 v9, vcc_lo, v9, 0
	s_wait_alu 0xfffd
	s_delay_alu instid0(VALU_DEP_2)
	v_add_co_ci_u32_e64 v10, null, v10, v13, vcc_lo
; %bb.106:
	s_wait_alu 0xfffe
	s_or_b32 exec_lo, exec_lo, s1
	ds_store_b64 v11, v[9:10]
.LBB2522_107:
	s_wait_alu 0xfffe
	s_or_b32 exec_lo, exec_lo, s0
	v_mov_b32_e32 v13, 0
	v_mov_b32_e32 v14, 0
	s_mov_b32 s0, exec_lo
	s_wait_loadcnt_dscnt 0x0
	s_barrier_signal -1
	s_barrier_wait -1
	global_inv scope:SCOPE_SE
	v_cmpx_lt_u32_e32 31, v0
; %bb.108:
	v_lshl_add_u32 v9, v28, 3, -8
	ds_load_b64 v[13:14], v9
; %bb.109:
	s_wait_alu 0xfffe
	s_or_b32 exec_lo, exec_lo, s0
	v_sub_co_u32 v9, vcc_lo, v33, 1
	v_mov_b32_e32 v12, 0
	s_delay_alu instid0(VALU_DEP_2) | instskip(SKIP_1) | instid1(VALU_DEP_1)
	v_cmp_gt_i32_e64 s0, 0, v9
	s_wait_alu 0xf1ff
	v_cndmask_b32_e64 v9, v9, v33, s0
	s_wait_dscnt 0x0
	v_add_co_u32 v10, s0, v13, v19
	s_wait_alu 0xf1ff
	v_add_co_ci_u32_e64 v11, null, v14, v20, s0
	v_lshlrev_b32_e32 v9, 2, v9
	ds_bpermute_b32 v15, v9, v10
	ds_bpermute_b32 v16, v9, v11
	ds_load_b64 v[9:10], v12 offset:56
	s_and_saveexec_b32 s0, s2
	s_cbranch_execz .LBB2522_111
; %bb.110:
	s_add_nc_u64 s[6:7], s[14:15], 0x200
	s_delay_alu instid0(SALU_CYCLE_1)
	v_dual_mov_b32 v11, 2 :: v_dual_mov_b32 v20, s7
	v_mov_b32_e32 v19, s6
	s_wait_dscnt 0x0
	;;#ASMSTART
	global_store_b128 v[19:20], v[9:12] off scope:SCOPE_DEV	
s_wait_storecnt 0x0
	;;#ASMEND
.LBB2522_111:
	s_wait_alu 0xfffe
	s_or_b32 exec_lo, exec_lo, s0
	s_wait_dscnt 0x1
	s_wait_alu 0xfffd
	v_dual_cndmask_b32 v11, v15, v13 :: v_dual_cndmask_b32 v12, v16, v14
	s_wait_loadcnt_dscnt 0x0
	s_barrier_signal -1
	s_barrier_wait -1
	s_delay_alu instid0(VALU_DEP_1)
	v_cndmask_b32_e64 v23, v11, 0, s2
	v_cndmask_b32_e64 v24, v12, 0, s2
	v_mov_b32_e32 v11, 0
	v_mov_b32_e32 v12, 0
	global_inv scope:SCOPE_SE
	v_add_co_u32 v21, vcc_lo, v23, v32
	s_wait_alu 0xfffd
	v_add_co_ci_u32_e64 v22, null, 0, v24, vcc_lo
	s_delay_alu instid0(VALU_DEP_2) | instskip(SKIP_1) | instid1(VALU_DEP_2)
	v_add_co_u32 v13, vcc_lo, v21, v31
	s_wait_alu 0xfffd
	v_add_co_ci_u32_e64 v14, null, 0, v22, vcc_lo
	s_delay_alu instid0(VALU_DEP_2) | instskip(SKIP_1) | instid1(VALU_DEP_2)
	v_add_co_u32 v15, vcc_lo, v13, v30
	s_wait_alu 0xfffd
	v_add_co_ci_u32_e64 v16, null, 0, v14, vcc_lo
.LBB2522_112:
	v_and_b32_e32 v28, 1, v29
	s_wait_dscnt 0x0
	v_cmp_gt_u64_e32 vcc_lo, 0x101, v[9:10]
	v_lshrrev_b32_e32 v25, 16, v29
	v_lshrrev_b32_e32 v26, 8, v29
	s_mov_b32 s1, -1
	v_cmp_eq_u32_e64 s0, 1, v28
	s_cbranch_vccnz .LBB2522_116
; %bb.113:
	s_wait_alu 0xfffe
	s_and_b32 vcc_lo, exec_lo, s1
	s_wait_alu 0xfffe
	s_cbranch_vccnz .LBB2522_125
.LBB2522_114:
	s_and_b32 s0, s2, s18
	s_wait_alu 0xfffe
	s_and_saveexec_b32 s1, s0
	s_cbranch_execnz .LBB2522_137
.LBB2522_115:
	s_endpgm
.LBB2522_116:
	v_add_co_u32 v19, vcc_lo, v11, v9
	s_wait_alu 0xfffd
	v_add_co_ci_u32_e64 v20, null, v12, v10, vcc_lo
	v_lshlrev_b64_e32 v[29:30], 3, v[17:18]
	s_delay_alu instid0(VALU_DEP_2) | instskip(NEXT) | instid1(VALU_DEP_2)
	v_cmp_lt_u64_e32 vcc_lo, v[23:24], v[19:20]
	v_add_co_u32 v29, s1, s12, v29
	s_wait_alu 0xf1fe
	s_delay_alu instid0(VALU_DEP_3)
	v_add_co_ci_u32_e64 v30, null, s13, v30, s1
	s_or_b32 s1, s19, vcc_lo
	s_wait_alu 0xfffe
	s_and_b32 s1, s1, s0
	s_wait_alu 0xfffe
	s_and_saveexec_b32 s0, s1
	s_cbranch_execz .LBB2522_118
; %bb.117:
	v_lshlrev_b64_e32 v[31:32], 3, v[23:24]
	s_delay_alu instid0(VALU_DEP_1) | instskip(SKIP_1) | instid1(VALU_DEP_2)
	v_add_co_u32 v31, vcc_lo, v29, v31
	s_wait_alu 0xfffd
	v_add_co_ci_u32_e64 v32, null, v30, v32, vcc_lo
	global_store_b64 v[31:32], v[5:6], off
.LBB2522_118:
	s_wait_alu 0xfffe
	s_or_b32 exec_lo, exec_lo, s0
	v_and_b32_e32 v24, 1, v26
	v_cmp_lt_u64_e32 vcc_lo, v[21:22], v[19:20]
	s_delay_alu instid0(VALU_DEP_2)
	v_cmp_eq_u32_e64 s0, 1, v24
	s_or_b32 s1, s19, vcc_lo
	s_wait_alu 0xfffe
	s_and_b32 s1, s1, s0
	s_wait_alu 0xfffe
	s_and_saveexec_b32 s0, s1
	s_cbranch_execz .LBB2522_120
; %bb.119:
	v_lshlrev_b64_e32 v[31:32], 3, v[21:22]
	s_delay_alu instid0(VALU_DEP_1) | instskip(SKIP_1) | instid1(VALU_DEP_2)
	v_add_co_u32 v31, vcc_lo, v29, v31
	s_wait_alu 0xfffd
	v_add_co_ci_u32_e64 v32, null, v30, v32, vcc_lo
	global_store_b64 v[31:32], v[7:8], off
.LBB2522_120:
	s_wait_alu 0xfffe
	s_or_b32 exec_lo, exec_lo, s0
	v_and_b32_e32 v22, 1, v25
	v_cmp_lt_u64_e32 vcc_lo, v[13:14], v[19:20]
	s_delay_alu instid0(VALU_DEP_2)
	v_cmp_eq_u32_e64 s0, 1, v22
	;; [unrolled: 20-line block ×3, first 2 shown]
	s_or_b32 s1, s19, vcc_lo
	s_wait_alu 0xfffe
	s_and_b32 s1, s1, s0
	s_wait_alu 0xfffe
	s_and_saveexec_b32 s0, s1
	s_cbranch_execz .LBB2522_124
; %bb.123:
	v_lshlrev_b64_e32 v[19:20], 3, v[15:16]
	s_delay_alu instid0(VALU_DEP_1) | instskip(SKIP_1) | instid1(VALU_DEP_2)
	v_add_co_u32 v19, vcc_lo, v29, v19
	s_wait_alu 0xfffd
	v_add_co_ci_u32_e64 v20, null, v30, v20, vcc_lo
	global_store_b64 v[19:20], v[3:4], off
.LBB2522_124:
	s_wait_alu 0xfffe
	s_or_b32 exec_lo, exec_lo, s0
	s_branch .LBB2522_114
.LBB2522_125:
	s_mov_b32 s0, exec_lo
	v_cmpx_eq_u32_e32 1, v28
; %bb.126:
	v_sub_nc_u32_e32 v14, v23, v11
	s_delay_alu instid0(VALU_DEP_1)
	v_lshlrev_b32_e32 v14, 3, v14
	ds_store_b64 v14, v[5:6]
; %bb.127:
	s_wait_alu 0xfffe
	s_or_b32 exec_lo, exec_lo, s0
	v_and_b32_e32 v5, 1, v26
	s_mov_b32 s0, exec_lo
	s_delay_alu instid0(VALU_DEP_1)
	v_cmpx_eq_u32_e32 1, v5
; %bb.128:
	v_sub_nc_u32_e32 v5, v21, v11
	s_delay_alu instid0(VALU_DEP_1)
	v_lshlrev_b32_e32 v5, 3, v5
	ds_store_b64 v5, v[7:8]
; %bb.129:
	s_wait_alu 0xfffe
	s_or_b32 exec_lo, exec_lo, s0
	v_and_b32_e32 v5, 1, v25
	s_mov_b32 s0, exec_lo
	s_delay_alu instid0(VALU_DEP_1)
	;; [unrolled: 12-line block ×3, first 2 shown]
	v_cmpx_eq_u32_e32 1, v1
; %bb.132:
	v_sub_nc_u32_e32 v1, v15, v11
	s_delay_alu instid0(VALU_DEP_1)
	v_lshlrev_b32_e32 v1, 3, v1
	ds_store_b64 v1, v[3:4]
; %bb.133:
	s_wait_alu 0xfffe
	s_or_b32 exec_lo, exec_lo, s0
	v_mov_b32_e32 v1, 0
	s_mov_b32 s1, exec_lo
	s_wait_storecnt 0x0
	s_wait_loadcnt_dscnt 0x0
	s_barrier_signal -1
	s_barrier_wait -1
	global_inv scope:SCOPE_SE
	v_cmpx_gt_u64_e64 v[9:10], v[0:1]
	s_cbranch_execz .LBB2522_136
; %bb.134:
	v_lshlrev_b64_e32 v[2:3], 3, v[17:18]
	v_lshlrev_b64_e32 v[4:5], 3, v[11:12]
	s_mov_b32 s3, 0
	s_delay_alu instid0(VALU_DEP_2) | instskip(SKIP_1) | instid1(VALU_DEP_3)
	v_add_co_u32 v6, vcc_lo, s12, v2
	s_wait_alu 0xfffd
	v_add_co_ci_u32_e64 v7, null, s13, v3, vcc_lo
	v_dual_mov_b32 v3, v1 :: v_dual_mov_b32 v2, v0
	s_delay_alu instid0(VALU_DEP_3) | instskip(SKIP_1) | instid1(VALU_DEP_3)
	v_add_co_u32 v4, vcc_lo, v6, v4
	s_wait_alu 0xfffd
	v_add_co_ci_u32_e64 v5, null, v7, v5, vcc_lo
	v_or_b32_e32 v0, 0x100, v0
.LBB2522_135:                           ; =>This Inner Loop Header: Depth=1
	v_lshlrev_b32_e32 v6, 3, v2
	v_lshlrev_b64_e32 v[13:14], 3, v[2:3]
	v_mov_b32_e32 v3, v1
	s_delay_alu instid0(VALU_DEP_4)
	v_cmp_le_u64_e32 vcc_lo, v[9:10], v[0:1]
	v_mov_b32_e32 v2, v0
	ds_load_b64 v[6:7], v6
	v_add_nc_u32_e32 v0, 0x100, v0
	v_add_co_u32 v13, s0, v4, v13
	s_wait_alu 0xf1ff
	v_add_co_ci_u32_e64 v14, null, v5, v14, s0
	s_wait_alu 0xfffe
	s_or_b32 s3, vcc_lo, s3
	s_wait_dscnt 0x0
	global_store_b64 v[13:14], v[6:7], off
	s_wait_alu 0xfffe
	s_and_not1_b32 exec_lo, exec_lo, s3
	s_cbranch_execnz .LBB2522_135
.LBB2522_136:
	s_wait_alu 0xfffe
	s_or_b32 exec_lo, exec_lo, s1
	s_and_b32 s0, s2, s18
	s_wait_alu 0xfffe
	s_and_saveexec_b32 s1, s0
	s_cbranch_execz .LBB2522_115
.LBB2522_137:
	v_add_co_u32 v0, vcc_lo, v11, v9
	s_wait_alu 0xfffd
	v_add_co_ci_u32_e64 v1, null, v12, v10, vcc_lo
	v_mov_b32_e32 v2, 0
	s_delay_alu instid0(VALU_DEP_3) | instskip(SKIP_1) | instid1(VALU_DEP_3)
	v_add_co_u32 v0, vcc_lo, v0, v17
	s_wait_alu 0xfffd
	v_add_co_ci_u32_e64 v1, null, v1, v18, vcc_lo
	global_store_b64 v2, v[0:1], s[4:5]
	s_endpgm
.LBB2522_138:
	v_lshlrev_b32_e32 v3, 3, v0
	s_delay_alu instid0(VALU_DEP_1)
	v_add_co_u32 v3, s1, s8, v3
	s_wait_alu 0xf1ff
	v_add_co_ci_u32_e64 v4, null, s9, 0, s1
	flat_load_b64 v[3:4], v[3:4] offset:2048
	s_wait_alu 0xfffe
	s_or_b32 exec_lo, exec_lo, s0
	s_delay_alu instid0(SALU_CYCLE_1)
	s_mov_b32 s0, exec_lo
	v_cmpx_gt_u32_e64 s3, v10
	s_cbranch_execz .LBB2522_11
.LBB2522_139:
	v_lshlrev_b32_e32 v5, 3, v0
	s_delay_alu instid0(VALU_DEP_1)
	v_add_co_u32 v5, s1, s8, v5
	s_wait_alu 0xf1ff
	v_add_co_ci_u32_e64 v6, null, s9, 0, s1
	flat_load_b64 v[5:6], v[5:6] offset:4096
	s_wait_alu 0xfffe
	s_or_b32 exec_lo, exec_lo, s0
	s_delay_alu instid0(SALU_CYCLE_1)
	s_mov_b32 s0, exec_lo
	v_cmpx_gt_u32_e64 s3, v9
	s_cbranch_execnz .LBB2522_12
	s_branch .LBB2522_13
.LBB2522_140:
	global_load_u8 v16, v0, s[0:1] offset:256
	s_wait_loadcnt 0x0
	v_xor_b32_e32 v16, 1, v16
	s_delay_alu instid0(VALU_DEP_1) | instskip(NEXT) | instid1(VALU_DEP_1)
	v_lshlrev_b16 v16, 8, v16
	v_or_b32_e32 v14, v14, v16
	s_delay_alu instid0(VALU_DEP_1) | instskip(SKIP_1) | instid1(SALU_CYCLE_1)
	v_and_b32_e32 v14, 0xffff, v14
	s_or_b32 exec_lo, exec_lo, s6
	s_mov_b32 s6, exec_lo
	v_cmpx_gt_u32_e64 s3, v10
	s_cbranch_execz .LBB2522_21
.LBB2522_141:
	global_load_u8 v16, v0, s[0:1] offset:512
	s_wait_loadcnt 0x0
	v_xor_b32_e32 v16, 1, v16
	s_delay_alu instid0(VALU_DEP_1) | instskip(NEXT) | instid1(VALU_DEP_1)
	v_lshlrev_b32_e32 v16, 16, v16
	v_or_b32_e32 v14, v14, v16
	s_or_b32 exec_lo, exec_lo, s6
	v_cmp_gt_u32_e32 vcc_lo, s3, v9
	s_and_saveexec_b32 s3, vcc_lo
	s_cbranch_execnz .LBB2522_22
	s_branch .LBB2522_23
	.section	.rodata,"a",@progbits
	.p2align	6, 0x0
	.amdhsa_kernel _ZN7rocprim17ROCPRIM_400000_NS6detail17trampoline_kernelINS0_14default_configENS1_25partition_config_selectorILNS1_17partition_subalgoE5ExNS0_10empty_typeEbEEZZNS1_14partition_implILS5_5ELb0ES3_mN6thrust23THRUST_200600_302600_NS6detail15normal_iteratorINSA_10device_ptrIxEEEEPS6_NSA_18transform_iteratorINSB_9not_fun_tI7is_trueIxEEENSC_INSD_IbEEEENSA_11use_defaultESO_EENS0_5tupleIJSF_S6_EEENSQ_IJSG_SG_EEES6_PlJS6_EEE10hipError_tPvRmT3_T4_T5_T6_T7_T9_mT8_P12ihipStream_tbDpT10_ENKUlT_T0_E_clISt17integral_constantIbLb0EES1C_IbLb1EEEEDaS18_S19_EUlS18_E_NS1_11comp_targetILNS1_3genE10ELNS1_11target_archE1200ELNS1_3gpuE4ELNS1_3repE0EEENS1_30default_config_static_selectorELNS0_4arch9wavefront6targetE0EEEvT1_
		.amdhsa_group_segment_fixed_size 8464
		.amdhsa_private_segment_fixed_size 0
		.amdhsa_kernarg_size 136
		.amdhsa_user_sgpr_count 2
		.amdhsa_user_sgpr_dispatch_ptr 0
		.amdhsa_user_sgpr_queue_ptr 0
		.amdhsa_user_sgpr_kernarg_segment_ptr 1
		.amdhsa_user_sgpr_dispatch_id 0
		.amdhsa_user_sgpr_private_segment_size 0
		.amdhsa_wavefront_size32 1
		.amdhsa_uses_dynamic_stack 0
		.amdhsa_enable_private_segment 0
		.amdhsa_system_sgpr_workgroup_id_x 1
		.amdhsa_system_sgpr_workgroup_id_y 0
		.amdhsa_system_sgpr_workgroup_id_z 0
		.amdhsa_system_sgpr_workgroup_info 0
		.amdhsa_system_vgpr_workitem_id 0
		.amdhsa_next_free_vgpr 48
		.amdhsa_next_free_sgpr 25
		.amdhsa_reserve_vcc 1
		.amdhsa_float_round_mode_32 0
		.amdhsa_float_round_mode_16_64 0
		.amdhsa_float_denorm_mode_32 3
		.amdhsa_float_denorm_mode_16_64 3
		.amdhsa_fp16_overflow 0
		.amdhsa_workgroup_processor_mode 1
		.amdhsa_memory_ordered 1
		.amdhsa_forward_progress 1
		.amdhsa_inst_pref_size 55
		.amdhsa_round_robin_scheduling 0
		.amdhsa_exception_fp_ieee_invalid_op 0
		.amdhsa_exception_fp_denorm_src 0
		.amdhsa_exception_fp_ieee_div_zero 0
		.amdhsa_exception_fp_ieee_overflow 0
		.amdhsa_exception_fp_ieee_underflow 0
		.amdhsa_exception_fp_ieee_inexact 0
		.amdhsa_exception_int_div_zero 0
	.end_amdhsa_kernel
	.section	.text._ZN7rocprim17ROCPRIM_400000_NS6detail17trampoline_kernelINS0_14default_configENS1_25partition_config_selectorILNS1_17partition_subalgoE5ExNS0_10empty_typeEbEEZZNS1_14partition_implILS5_5ELb0ES3_mN6thrust23THRUST_200600_302600_NS6detail15normal_iteratorINSA_10device_ptrIxEEEEPS6_NSA_18transform_iteratorINSB_9not_fun_tI7is_trueIxEEENSC_INSD_IbEEEENSA_11use_defaultESO_EENS0_5tupleIJSF_S6_EEENSQ_IJSG_SG_EEES6_PlJS6_EEE10hipError_tPvRmT3_T4_T5_T6_T7_T9_mT8_P12ihipStream_tbDpT10_ENKUlT_T0_E_clISt17integral_constantIbLb0EES1C_IbLb1EEEEDaS18_S19_EUlS18_E_NS1_11comp_targetILNS1_3genE10ELNS1_11target_archE1200ELNS1_3gpuE4ELNS1_3repE0EEENS1_30default_config_static_selectorELNS0_4arch9wavefront6targetE0EEEvT1_,"axG",@progbits,_ZN7rocprim17ROCPRIM_400000_NS6detail17trampoline_kernelINS0_14default_configENS1_25partition_config_selectorILNS1_17partition_subalgoE5ExNS0_10empty_typeEbEEZZNS1_14partition_implILS5_5ELb0ES3_mN6thrust23THRUST_200600_302600_NS6detail15normal_iteratorINSA_10device_ptrIxEEEEPS6_NSA_18transform_iteratorINSB_9not_fun_tI7is_trueIxEEENSC_INSD_IbEEEENSA_11use_defaultESO_EENS0_5tupleIJSF_S6_EEENSQ_IJSG_SG_EEES6_PlJS6_EEE10hipError_tPvRmT3_T4_T5_T6_T7_T9_mT8_P12ihipStream_tbDpT10_ENKUlT_T0_E_clISt17integral_constantIbLb0EES1C_IbLb1EEEEDaS18_S19_EUlS18_E_NS1_11comp_targetILNS1_3genE10ELNS1_11target_archE1200ELNS1_3gpuE4ELNS1_3repE0EEENS1_30default_config_static_selectorELNS0_4arch9wavefront6targetE0EEEvT1_,comdat
.Lfunc_end2522:
	.size	_ZN7rocprim17ROCPRIM_400000_NS6detail17trampoline_kernelINS0_14default_configENS1_25partition_config_selectorILNS1_17partition_subalgoE5ExNS0_10empty_typeEbEEZZNS1_14partition_implILS5_5ELb0ES3_mN6thrust23THRUST_200600_302600_NS6detail15normal_iteratorINSA_10device_ptrIxEEEEPS6_NSA_18transform_iteratorINSB_9not_fun_tI7is_trueIxEEENSC_INSD_IbEEEENSA_11use_defaultESO_EENS0_5tupleIJSF_S6_EEENSQ_IJSG_SG_EEES6_PlJS6_EEE10hipError_tPvRmT3_T4_T5_T6_T7_T9_mT8_P12ihipStream_tbDpT10_ENKUlT_T0_E_clISt17integral_constantIbLb0EES1C_IbLb1EEEEDaS18_S19_EUlS18_E_NS1_11comp_targetILNS1_3genE10ELNS1_11target_archE1200ELNS1_3gpuE4ELNS1_3repE0EEENS1_30default_config_static_selectorELNS0_4arch9wavefront6targetE0EEEvT1_, .Lfunc_end2522-_ZN7rocprim17ROCPRIM_400000_NS6detail17trampoline_kernelINS0_14default_configENS1_25partition_config_selectorILNS1_17partition_subalgoE5ExNS0_10empty_typeEbEEZZNS1_14partition_implILS5_5ELb0ES3_mN6thrust23THRUST_200600_302600_NS6detail15normal_iteratorINSA_10device_ptrIxEEEEPS6_NSA_18transform_iteratorINSB_9not_fun_tI7is_trueIxEEENSC_INSD_IbEEEENSA_11use_defaultESO_EENS0_5tupleIJSF_S6_EEENSQ_IJSG_SG_EEES6_PlJS6_EEE10hipError_tPvRmT3_T4_T5_T6_T7_T9_mT8_P12ihipStream_tbDpT10_ENKUlT_T0_E_clISt17integral_constantIbLb0EES1C_IbLb1EEEEDaS18_S19_EUlS18_E_NS1_11comp_targetILNS1_3genE10ELNS1_11target_archE1200ELNS1_3gpuE4ELNS1_3repE0EEENS1_30default_config_static_selectorELNS0_4arch9wavefront6targetE0EEEvT1_
                                        ; -- End function
	.set _ZN7rocprim17ROCPRIM_400000_NS6detail17trampoline_kernelINS0_14default_configENS1_25partition_config_selectorILNS1_17partition_subalgoE5ExNS0_10empty_typeEbEEZZNS1_14partition_implILS5_5ELb0ES3_mN6thrust23THRUST_200600_302600_NS6detail15normal_iteratorINSA_10device_ptrIxEEEEPS6_NSA_18transform_iteratorINSB_9not_fun_tI7is_trueIxEEENSC_INSD_IbEEEENSA_11use_defaultESO_EENS0_5tupleIJSF_S6_EEENSQ_IJSG_SG_EEES6_PlJS6_EEE10hipError_tPvRmT3_T4_T5_T6_T7_T9_mT8_P12ihipStream_tbDpT10_ENKUlT_T0_E_clISt17integral_constantIbLb0EES1C_IbLb1EEEEDaS18_S19_EUlS18_E_NS1_11comp_targetILNS1_3genE10ELNS1_11target_archE1200ELNS1_3gpuE4ELNS1_3repE0EEENS1_30default_config_static_selectorELNS0_4arch9wavefront6targetE0EEEvT1_.num_vgpr, 48
	.set _ZN7rocprim17ROCPRIM_400000_NS6detail17trampoline_kernelINS0_14default_configENS1_25partition_config_selectorILNS1_17partition_subalgoE5ExNS0_10empty_typeEbEEZZNS1_14partition_implILS5_5ELb0ES3_mN6thrust23THRUST_200600_302600_NS6detail15normal_iteratorINSA_10device_ptrIxEEEEPS6_NSA_18transform_iteratorINSB_9not_fun_tI7is_trueIxEEENSC_INSD_IbEEEENSA_11use_defaultESO_EENS0_5tupleIJSF_S6_EEENSQ_IJSG_SG_EEES6_PlJS6_EEE10hipError_tPvRmT3_T4_T5_T6_T7_T9_mT8_P12ihipStream_tbDpT10_ENKUlT_T0_E_clISt17integral_constantIbLb0EES1C_IbLb1EEEEDaS18_S19_EUlS18_E_NS1_11comp_targetILNS1_3genE10ELNS1_11target_archE1200ELNS1_3gpuE4ELNS1_3repE0EEENS1_30default_config_static_selectorELNS0_4arch9wavefront6targetE0EEEvT1_.num_agpr, 0
	.set _ZN7rocprim17ROCPRIM_400000_NS6detail17trampoline_kernelINS0_14default_configENS1_25partition_config_selectorILNS1_17partition_subalgoE5ExNS0_10empty_typeEbEEZZNS1_14partition_implILS5_5ELb0ES3_mN6thrust23THRUST_200600_302600_NS6detail15normal_iteratorINSA_10device_ptrIxEEEEPS6_NSA_18transform_iteratorINSB_9not_fun_tI7is_trueIxEEENSC_INSD_IbEEEENSA_11use_defaultESO_EENS0_5tupleIJSF_S6_EEENSQ_IJSG_SG_EEES6_PlJS6_EEE10hipError_tPvRmT3_T4_T5_T6_T7_T9_mT8_P12ihipStream_tbDpT10_ENKUlT_T0_E_clISt17integral_constantIbLb0EES1C_IbLb1EEEEDaS18_S19_EUlS18_E_NS1_11comp_targetILNS1_3genE10ELNS1_11target_archE1200ELNS1_3gpuE4ELNS1_3repE0EEENS1_30default_config_static_selectorELNS0_4arch9wavefront6targetE0EEEvT1_.numbered_sgpr, 25
	.set _ZN7rocprim17ROCPRIM_400000_NS6detail17trampoline_kernelINS0_14default_configENS1_25partition_config_selectorILNS1_17partition_subalgoE5ExNS0_10empty_typeEbEEZZNS1_14partition_implILS5_5ELb0ES3_mN6thrust23THRUST_200600_302600_NS6detail15normal_iteratorINSA_10device_ptrIxEEEEPS6_NSA_18transform_iteratorINSB_9not_fun_tI7is_trueIxEEENSC_INSD_IbEEEENSA_11use_defaultESO_EENS0_5tupleIJSF_S6_EEENSQ_IJSG_SG_EEES6_PlJS6_EEE10hipError_tPvRmT3_T4_T5_T6_T7_T9_mT8_P12ihipStream_tbDpT10_ENKUlT_T0_E_clISt17integral_constantIbLb0EES1C_IbLb1EEEEDaS18_S19_EUlS18_E_NS1_11comp_targetILNS1_3genE10ELNS1_11target_archE1200ELNS1_3gpuE4ELNS1_3repE0EEENS1_30default_config_static_selectorELNS0_4arch9wavefront6targetE0EEEvT1_.num_named_barrier, 0
	.set _ZN7rocprim17ROCPRIM_400000_NS6detail17trampoline_kernelINS0_14default_configENS1_25partition_config_selectorILNS1_17partition_subalgoE5ExNS0_10empty_typeEbEEZZNS1_14partition_implILS5_5ELb0ES3_mN6thrust23THRUST_200600_302600_NS6detail15normal_iteratorINSA_10device_ptrIxEEEEPS6_NSA_18transform_iteratorINSB_9not_fun_tI7is_trueIxEEENSC_INSD_IbEEEENSA_11use_defaultESO_EENS0_5tupleIJSF_S6_EEENSQ_IJSG_SG_EEES6_PlJS6_EEE10hipError_tPvRmT3_T4_T5_T6_T7_T9_mT8_P12ihipStream_tbDpT10_ENKUlT_T0_E_clISt17integral_constantIbLb0EES1C_IbLb1EEEEDaS18_S19_EUlS18_E_NS1_11comp_targetILNS1_3genE10ELNS1_11target_archE1200ELNS1_3gpuE4ELNS1_3repE0EEENS1_30default_config_static_selectorELNS0_4arch9wavefront6targetE0EEEvT1_.private_seg_size, 0
	.set _ZN7rocprim17ROCPRIM_400000_NS6detail17trampoline_kernelINS0_14default_configENS1_25partition_config_selectorILNS1_17partition_subalgoE5ExNS0_10empty_typeEbEEZZNS1_14partition_implILS5_5ELb0ES3_mN6thrust23THRUST_200600_302600_NS6detail15normal_iteratorINSA_10device_ptrIxEEEEPS6_NSA_18transform_iteratorINSB_9not_fun_tI7is_trueIxEEENSC_INSD_IbEEEENSA_11use_defaultESO_EENS0_5tupleIJSF_S6_EEENSQ_IJSG_SG_EEES6_PlJS6_EEE10hipError_tPvRmT3_T4_T5_T6_T7_T9_mT8_P12ihipStream_tbDpT10_ENKUlT_T0_E_clISt17integral_constantIbLb0EES1C_IbLb1EEEEDaS18_S19_EUlS18_E_NS1_11comp_targetILNS1_3genE10ELNS1_11target_archE1200ELNS1_3gpuE4ELNS1_3repE0EEENS1_30default_config_static_selectorELNS0_4arch9wavefront6targetE0EEEvT1_.uses_vcc, 1
	.set _ZN7rocprim17ROCPRIM_400000_NS6detail17trampoline_kernelINS0_14default_configENS1_25partition_config_selectorILNS1_17partition_subalgoE5ExNS0_10empty_typeEbEEZZNS1_14partition_implILS5_5ELb0ES3_mN6thrust23THRUST_200600_302600_NS6detail15normal_iteratorINSA_10device_ptrIxEEEEPS6_NSA_18transform_iteratorINSB_9not_fun_tI7is_trueIxEEENSC_INSD_IbEEEENSA_11use_defaultESO_EENS0_5tupleIJSF_S6_EEENSQ_IJSG_SG_EEES6_PlJS6_EEE10hipError_tPvRmT3_T4_T5_T6_T7_T9_mT8_P12ihipStream_tbDpT10_ENKUlT_T0_E_clISt17integral_constantIbLb0EES1C_IbLb1EEEEDaS18_S19_EUlS18_E_NS1_11comp_targetILNS1_3genE10ELNS1_11target_archE1200ELNS1_3gpuE4ELNS1_3repE0EEENS1_30default_config_static_selectorELNS0_4arch9wavefront6targetE0EEEvT1_.uses_flat_scratch, 1
	.set _ZN7rocprim17ROCPRIM_400000_NS6detail17trampoline_kernelINS0_14default_configENS1_25partition_config_selectorILNS1_17partition_subalgoE5ExNS0_10empty_typeEbEEZZNS1_14partition_implILS5_5ELb0ES3_mN6thrust23THRUST_200600_302600_NS6detail15normal_iteratorINSA_10device_ptrIxEEEEPS6_NSA_18transform_iteratorINSB_9not_fun_tI7is_trueIxEEENSC_INSD_IbEEEENSA_11use_defaultESO_EENS0_5tupleIJSF_S6_EEENSQ_IJSG_SG_EEES6_PlJS6_EEE10hipError_tPvRmT3_T4_T5_T6_T7_T9_mT8_P12ihipStream_tbDpT10_ENKUlT_T0_E_clISt17integral_constantIbLb0EES1C_IbLb1EEEEDaS18_S19_EUlS18_E_NS1_11comp_targetILNS1_3genE10ELNS1_11target_archE1200ELNS1_3gpuE4ELNS1_3repE0EEENS1_30default_config_static_selectorELNS0_4arch9wavefront6targetE0EEEvT1_.has_dyn_sized_stack, 0
	.set _ZN7rocprim17ROCPRIM_400000_NS6detail17trampoline_kernelINS0_14default_configENS1_25partition_config_selectorILNS1_17partition_subalgoE5ExNS0_10empty_typeEbEEZZNS1_14partition_implILS5_5ELb0ES3_mN6thrust23THRUST_200600_302600_NS6detail15normal_iteratorINSA_10device_ptrIxEEEEPS6_NSA_18transform_iteratorINSB_9not_fun_tI7is_trueIxEEENSC_INSD_IbEEEENSA_11use_defaultESO_EENS0_5tupleIJSF_S6_EEENSQ_IJSG_SG_EEES6_PlJS6_EEE10hipError_tPvRmT3_T4_T5_T6_T7_T9_mT8_P12ihipStream_tbDpT10_ENKUlT_T0_E_clISt17integral_constantIbLb0EES1C_IbLb1EEEEDaS18_S19_EUlS18_E_NS1_11comp_targetILNS1_3genE10ELNS1_11target_archE1200ELNS1_3gpuE4ELNS1_3repE0EEENS1_30default_config_static_selectorELNS0_4arch9wavefront6targetE0EEEvT1_.has_recursion, 0
	.set _ZN7rocprim17ROCPRIM_400000_NS6detail17trampoline_kernelINS0_14default_configENS1_25partition_config_selectorILNS1_17partition_subalgoE5ExNS0_10empty_typeEbEEZZNS1_14partition_implILS5_5ELb0ES3_mN6thrust23THRUST_200600_302600_NS6detail15normal_iteratorINSA_10device_ptrIxEEEEPS6_NSA_18transform_iteratorINSB_9not_fun_tI7is_trueIxEEENSC_INSD_IbEEEENSA_11use_defaultESO_EENS0_5tupleIJSF_S6_EEENSQ_IJSG_SG_EEES6_PlJS6_EEE10hipError_tPvRmT3_T4_T5_T6_T7_T9_mT8_P12ihipStream_tbDpT10_ENKUlT_T0_E_clISt17integral_constantIbLb0EES1C_IbLb1EEEEDaS18_S19_EUlS18_E_NS1_11comp_targetILNS1_3genE10ELNS1_11target_archE1200ELNS1_3gpuE4ELNS1_3repE0EEENS1_30default_config_static_selectorELNS0_4arch9wavefront6targetE0EEEvT1_.has_indirect_call, 0
	.section	.AMDGPU.csdata,"",@progbits
; Kernel info:
; codeLenInByte = 6992
; TotalNumSgprs: 27
; NumVgprs: 48
; ScratchSize: 0
; MemoryBound: 0
; FloatMode: 240
; IeeeMode: 1
; LDSByteSize: 8464 bytes/workgroup (compile time only)
; SGPRBlocks: 0
; VGPRBlocks: 5
; NumSGPRsForWavesPerEU: 27
; NumVGPRsForWavesPerEU: 48
; Occupancy: 16
; WaveLimiterHint : 1
; COMPUTE_PGM_RSRC2:SCRATCH_EN: 0
; COMPUTE_PGM_RSRC2:USER_SGPR: 2
; COMPUTE_PGM_RSRC2:TRAP_HANDLER: 0
; COMPUTE_PGM_RSRC2:TGID_X_EN: 1
; COMPUTE_PGM_RSRC2:TGID_Y_EN: 0
; COMPUTE_PGM_RSRC2:TGID_Z_EN: 0
; COMPUTE_PGM_RSRC2:TIDIG_COMP_CNT: 0
	.section	.text._ZN7rocprim17ROCPRIM_400000_NS6detail17trampoline_kernelINS0_14default_configENS1_25partition_config_selectorILNS1_17partition_subalgoE5ExNS0_10empty_typeEbEEZZNS1_14partition_implILS5_5ELb0ES3_mN6thrust23THRUST_200600_302600_NS6detail15normal_iteratorINSA_10device_ptrIxEEEEPS6_NSA_18transform_iteratorINSB_9not_fun_tI7is_trueIxEEENSC_INSD_IbEEEENSA_11use_defaultESO_EENS0_5tupleIJSF_S6_EEENSQ_IJSG_SG_EEES6_PlJS6_EEE10hipError_tPvRmT3_T4_T5_T6_T7_T9_mT8_P12ihipStream_tbDpT10_ENKUlT_T0_E_clISt17integral_constantIbLb0EES1C_IbLb1EEEEDaS18_S19_EUlS18_E_NS1_11comp_targetILNS1_3genE9ELNS1_11target_archE1100ELNS1_3gpuE3ELNS1_3repE0EEENS1_30default_config_static_selectorELNS0_4arch9wavefront6targetE0EEEvT1_,"axG",@progbits,_ZN7rocprim17ROCPRIM_400000_NS6detail17trampoline_kernelINS0_14default_configENS1_25partition_config_selectorILNS1_17partition_subalgoE5ExNS0_10empty_typeEbEEZZNS1_14partition_implILS5_5ELb0ES3_mN6thrust23THRUST_200600_302600_NS6detail15normal_iteratorINSA_10device_ptrIxEEEEPS6_NSA_18transform_iteratorINSB_9not_fun_tI7is_trueIxEEENSC_INSD_IbEEEENSA_11use_defaultESO_EENS0_5tupleIJSF_S6_EEENSQ_IJSG_SG_EEES6_PlJS6_EEE10hipError_tPvRmT3_T4_T5_T6_T7_T9_mT8_P12ihipStream_tbDpT10_ENKUlT_T0_E_clISt17integral_constantIbLb0EES1C_IbLb1EEEEDaS18_S19_EUlS18_E_NS1_11comp_targetILNS1_3genE9ELNS1_11target_archE1100ELNS1_3gpuE3ELNS1_3repE0EEENS1_30default_config_static_selectorELNS0_4arch9wavefront6targetE0EEEvT1_,comdat
	.protected	_ZN7rocprim17ROCPRIM_400000_NS6detail17trampoline_kernelINS0_14default_configENS1_25partition_config_selectorILNS1_17partition_subalgoE5ExNS0_10empty_typeEbEEZZNS1_14partition_implILS5_5ELb0ES3_mN6thrust23THRUST_200600_302600_NS6detail15normal_iteratorINSA_10device_ptrIxEEEEPS6_NSA_18transform_iteratorINSB_9not_fun_tI7is_trueIxEEENSC_INSD_IbEEEENSA_11use_defaultESO_EENS0_5tupleIJSF_S6_EEENSQ_IJSG_SG_EEES6_PlJS6_EEE10hipError_tPvRmT3_T4_T5_T6_T7_T9_mT8_P12ihipStream_tbDpT10_ENKUlT_T0_E_clISt17integral_constantIbLb0EES1C_IbLb1EEEEDaS18_S19_EUlS18_E_NS1_11comp_targetILNS1_3genE9ELNS1_11target_archE1100ELNS1_3gpuE3ELNS1_3repE0EEENS1_30default_config_static_selectorELNS0_4arch9wavefront6targetE0EEEvT1_ ; -- Begin function _ZN7rocprim17ROCPRIM_400000_NS6detail17trampoline_kernelINS0_14default_configENS1_25partition_config_selectorILNS1_17partition_subalgoE5ExNS0_10empty_typeEbEEZZNS1_14partition_implILS5_5ELb0ES3_mN6thrust23THRUST_200600_302600_NS6detail15normal_iteratorINSA_10device_ptrIxEEEEPS6_NSA_18transform_iteratorINSB_9not_fun_tI7is_trueIxEEENSC_INSD_IbEEEENSA_11use_defaultESO_EENS0_5tupleIJSF_S6_EEENSQ_IJSG_SG_EEES6_PlJS6_EEE10hipError_tPvRmT3_T4_T5_T6_T7_T9_mT8_P12ihipStream_tbDpT10_ENKUlT_T0_E_clISt17integral_constantIbLb0EES1C_IbLb1EEEEDaS18_S19_EUlS18_E_NS1_11comp_targetILNS1_3genE9ELNS1_11target_archE1100ELNS1_3gpuE3ELNS1_3repE0EEENS1_30default_config_static_selectorELNS0_4arch9wavefront6targetE0EEEvT1_
	.globl	_ZN7rocprim17ROCPRIM_400000_NS6detail17trampoline_kernelINS0_14default_configENS1_25partition_config_selectorILNS1_17partition_subalgoE5ExNS0_10empty_typeEbEEZZNS1_14partition_implILS5_5ELb0ES3_mN6thrust23THRUST_200600_302600_NS6detail15normal_iteratorINSA_10device_ptrIxEEEEPS6_NSA_18transform_iteratorINSB_9not_fun_tI7is_trueIxEEENSC_INSD_IbEEEENSA_11use_defaultESO_EENS0_5tupleIJSF_S6_EEENSQ_IJSG_SG_EEES6_PlJS6_EEE10hipError_tPvRmT3_T4_T5_T6_T7_T9_mT8_P12ihipStream_tbDpT10_ENKUlT_T0_E_clISt17integral_constantIbLb0EES1C_IbLb1EEEEDaS18_S19_EUlS18_E_NS1_11comp_targetILNS1_3genE9ELNS1_11target_archE1100ELNS1_3gpuE3ELNS1_3repE0EEENS1_30default_config_static_selectorELNS0_4arch9wavefront6targetE0EEEvT1_
	.p2align	8
	.type	_ZN7rocprim17ROCPRIM_400000_NS6detail17trampoline_kernelINS0_14default_configENS1_25partition_config_selectorILNS1_17partition_subalgoE5ExNS0_10empty_typeEbEEZZNS1_14partition_implILS5_5ELb0ES3_mN6thrust23THRUST_200600_302600_NS6detail15normal_iteratorINSA_10device_ptrIxEEEEPS6_NSA_18transform_iteratorINSB_9not_fun_tI7is_trueIxEEENSC_INSD_IbEEEENSA_11use_defaultESO_EENS0_5tupleIJSF_S6_EEENSQ_IJSG_SG_EEES6_PlJS6_EEE10hipError_tPvRmT3_T4_T5_T6_T7_T9_mT8_P12ihipStream_tbDpT10_ENKUlT_T0_E_clISt17integral_constantIbLb0EES1C_IbLb1EEEEDaS18_S19_EUlS18_E_NS1_11comp_targetILNS1_3genE9ELNS1_11target_archE1100ELNS1_3gpuE3ELNS1_3repE0EEENS1_30default_config_static_selectorELNS0_4arch9wavefront6targetE0EEEvT1_,@function
_ZN7rocprim17ROCPRIM_400000_NS6detail17trampoline_kernelINS0_14default_configENS1_25partition_config_selectorILNS1_17partition_subalgoE5ExNS0_10empty_typeEbEEZZNS1_14partition_implILS5_5ELb0ES3_mN6thrust23THRUST_200600_302600_NS6detail15normal_iteratorINSA_10device_ptrIxEEEEPS6_NSA_18transform_iteratorINSB_9not_fun_tI7is_trueIxEEENSC_INSD_IbEEEENSA_11use_defaultESO_EENS0_5tupleIJSF_S6_EEENSQ_IJSG_SG_EEES6_PlJS6_EEE10hipError_tPvRmT3_T4_T5_T6_T7_T9_mT8_P12ihipStream_tbDpT10_ENKUlT_T0_E_clISt17integral_constantIbLb0EES1C_IbLb1EEEEDaS18_S19_EUlS18_E_NS1_11comp_targetILNS1_3genE9ELNS1_11target_archE1100ELNS1_3gpuE3ELNS1_3repE0EEENS1_30default_config_static_selectorELNS0_4arch9wavefront6targetE0EEEvT1_: ; @_ZN7rocprim17ROCPRIM_400000_NS6detail17trampoline_kernelINS0_14default_configENS1_25partition_config_selectorILNS1_17partition_subalgoE5ExNS0_10empty_typeEbEEZZNS1_14partition_implILS5_5ELb0ES3_mN6thrust23THRUST_200600_302600_NS6detail15normal_iteratorINSA_10device_ptrIxEEEEPS6_NSA_18transform_iteratorINSB_9not_fun_tI7is_trueIxEEENSC_INSD_IbEEEENSA_11use_defaultESO_EENS0_5tupleIJSF_S6_EEENSQ_IJSG_SG_EEES6_PlJS6_EEE10hipError_tPvRmT3_T4_T5_T6_T7_T9_mT8_P12ihipStream_tbDpT10_ENKUlT_T0_E_clISt17integral_constantIbLb0EES1C_IbLb1EEEEDaS18_S19_EUlS18_E_NS1_11comp_targetILNS1_3genE9ELNS1_11target_archE1100ELNS1_3gpuE3ELNS1_3repE0EEENS1_30default_config_static_selectorELNS0_4arch9wavefront6targetE0EEEvT1_
; %bb.0:
	.section	.rodata,"a",@progbits
	.p2align	6, 0x0
	.amdhsa_kernel _ZN7rocprim17ROCPRIM_400000_NS6detail17trampoline_kernelINS0_14default_configENS1_25partition_config_selectorILNS1_17partition_subalgoE5ExNS0_10empty_typeEbEEZZNS1_14partition_implILS5_5ELb0ES3_mN6thrust23THRUST_200600_302600_NS6detail15normal_iteratorINSA_10device_ptrIxEEEEPS6_NSA_18transform_iteratorINSB_9not_fun_tI7is_trueIxEEENSC_INSD_IbEEEENSA_11use_defaultESO_EENS0_5tupleIJSF_S6_EEENSQ_IJSG_SG_EEES6_PlJS6_EEE10hipError_tPvRmT3_T4_T5_T6_T7_T9_mT8_P12ihipStream_tbDpT10_ENKUlT_T0_E_clISt17integral_constantIbLb0EES1C_IbLb1EEEEDaS18_S19_EUlS18_E_NS1_11comp_targetILNS1_3genE9ELNS1_11target_archE1100ELNS1_3gpuE3ELNS1_3repE0EEENS1_30default_config_static_selectorELNS0_4arch9wavefront6targetE0EEEvT1_
		.amdhsa_group_segment_fixed_size 0
		.amdhsa_private_segment_fixed_size 0
		.amdhsa_kernarg_size 136
		.amdhsa_user_sgpr_count 2
		.amdhsa_user_sgpr_dispatch_ptr 0
		.amdhsa_user_sgpr_queue_ptr 0
		.amdhsa_user_sgpr_kernarg_segment_ptr 1
		.amdhsa_user_sgpr_dispatch_id 0
		.amdhsa_user_sgpr_private_segment_size 0
		.amdhsa_wavefront_size32 1
		.amdhsa_uses_dynamic_stack 0
		.amdhsa_enable_private_segment 0
		.amdhsa_system_sgpr_workgroup_id_x 1
		.amdhsa_system_sgpr_workgroup_id_y 0
		.amdhsa_system_sgpr_workgroup_id_z 0
		.amdhsa_system_sgpr_workgroup_info 0
		.amdhsa_system_vgpr_workitem_id 0
		.amdhsa_next_free_vgpr 1
		.amdhsa_next_free_sgpr 1
		.amdhsa_reserve_vcc 0
		.amdhsa_float_round_mode_32 0
		.amdhsa_float_round_mode_16_64 0
		.amdhsa_float_denorm_mode_32 3
		.amdhsa_float_denorm_mode_16_64 3
		.amdhsa_fp16_overflow 0
		.amdhsa_workgroup_processor_mode 1
		.amdhsa_memory_ordered 1
		.amdhsa_forward_progress 1
		.amdhsa_inst_pref_size 0
		.amdhsa_round_robin_scheduling 0
		.amdhsa_exception_fp_ieee_invalid_op 0
		.amdhsa_exception_fp_denorm_src 0
		.amdhsa_exception_fp_ieee_div_zero 0
		.amdhsa_exception_fp_ieee_overflow 0
		.amdhsa_exception_fp_ieee_underflow 0
		.amdhsa_exception_fp_ieee_inexact 0
		.amdhsa_exception_int_div_zero 0
	.end_amdhsa_kernel
	.section	.text._ZN7rocprim17ROCPRIM_400000_NS6detail17trampoline_kernelINS0_14default_configENS1_25partition_config_selectorILNS1_17partition_subalgoE5ExNS0_10empty_typeEbEEZZNS1_14partition_implILS5_5ELb0ES3_mN6thrust23THRUST_200600_302600_NS6detail15normal_iteratorINSA_10device_ptrIxEEEEPS6_NSA_18transform_iteratorINSB_9not_fun_tI7is_trueIxEEENSC_INSD_IbEEEENSA_11use_defaultESO_EENS0_5tupleIJSF_S6_EEENSQ_IJSG_SG_EEES6_PlJS6_EEE10hipError_tPvRmT3_T4_T5_T6_T7_T9_mT8_P12ihipStream_tbDpT10_ENKUlT_T0_E_clISt17integral_constantIbLb0EES1C_IbLb1EEEEDaS18_S19_EUlS18_E_NS1_11comp_targetILNS1_3genE9ELNS1_11target_archE1100ELNS1_3gpuE3ELNS1_3repE0EEENS1_30default_config_static_selectorELNS0_4arch9wavefront6targetE0EEEvT1_,"axG",@progbits,_ZN7rocprim17ROCPRIM_400000_NS6detail17trampoline_kernelINS0_14default_configENS1_25partition_config_selectorILNS1_17partition_subalgoE5ExNS0_10empty_typeEbEEZZNS1_14partition_implILS5_5ELb0ES3_mN6thrust23THRUST_200600_302600_NS6detail15normal_iteratorINSA_10device_ptrIxEEEEPS6_NSA_18transform_iteratorINSB_9not_fun_tI7is_trueIxEEENSC_INSD_IbEEEENSA_11use_defaultESO_EENS0_5tupleIJSF_S6_EEENSQ_IJSG_SG_EEES6_PlJS6_EEE10hipError_tPvRmT3_T4_T5_T6_T7_T9_mT8_P12ihipStream_tbDpT10_ENKUlT_T0_E_clISt17integral_constantIbLb0EES1C_IbLb1EEEEDaS18_S19_EUlS18_E_NS1_11comp_targetILNS1_3genE9ELNS1_11target_archE1100ELNS1_3gpuE3ELNS1_3repE0EEENS1_30default_config_static_selectorELNS0_4arch9wavefront6targetE0EEEvT1_,comdat
.Lfunc_end2523:
	.size	_ZN7rocprim17ROCPRIM_400000_NS6detail17trampoline_kernelINS0_14default_configENS1_25partition_config_selectorILNS1_17partition_subalgoE5ExNS0_10empty_typeEbEEZZNS1_14partition_implILS5_5ELb0ES3_mN6thrust23THRUST_200600_302600_NS6detail15normal_iteratorINSA_10device_ptrIxEEEEPS6_NSA_18transform_iteratorINSB_9not_fun_tI7is_trueIxEEENSC_INSD_IbEEEENSA_11use_defaultESO_EENS0_5tupleIJSF_S6_EEENSQ_IJSG_SG_EEES6_PlJS6_EEE10hipError_tPvRmT3_T4_T5_T6_T7_T9_mT8_P12ihipStream_tbDpT10_ENKUlT_T0_E_clISt17integral_constantIbLb0EES1C_IbLb1EEEEDaS18_S19_EUlS18_E_NS1_11comp_targetILNS1_3genE9ELNS1_11target_archE1100ELNS1_3gpuE3ELNS1_3repE0EEENS1_30default_config_static_selectorELNS0_4arch9wavefront6targetE0EEEvT1_, .Lfunc_end2523-_ZN7rocprim17ROCPRIM_400000_NS6detail17trampoline_kernelINS0_14default_configENS1_25partition_config_selectorILNS1_17partition_subalgoE5ExNS0_10empty_typeEbEEZZNS1_14partition_implILS5_5ELb0ES3_mN6thrust23THRUST_200600_302600_NS6detail15normal_iteratorINSA_10device_ptrIxEEEEPS6_NSA_18transform_iteratorINSB_9not_fun_tI7is_trueIxEEENSC_INSD_IbEEEENSA_11use_defaultESO_EENS0_5tupleIJSF_S6_EEENSQ_IJSG_SG_EEES6_PlJS6_EEE10hipError_tPvRmT3_T4_T5_T6_T7_T9_mT8_P12ihipStream_tbDpT10_ENKUlT_T0_E_clISt17integral_constantIbLb0EES1C_IbLb1EEEEDaS18_S19_EUlS18_E_NS1_11comp_targetILNS1_3genE9ELNS1_11target_archE1100ELNS1_3gpuE3ELNS1_3repE0EEENS1_30default_config_static_selectorELNS0_4arch9wavefront6targetE0EEEvT1_
                                        ; -- End function
	.set _ZN7rocprim17ROCPRIM_400000_NS6detail17trampoline_kernelINS0_14default_configENS1_25partition_config_selectorILNS1_17partition_subalgoE5ExNS0_10empty_typeEbEEZZNS1_14partition_implILS5_5ELb0ES3_mN6thrust23THRUST_200600_302600_NS6detail15normal_iteratorINSA_10device_ptrIxEEEEPS6_NSA_18transform_iteratorINSB_9not_fun_tI7is_trueIxEEENSC_INSD_IbEEEENSA_11use_defaultESO_EENS0_5tupleIJSF_S6_EEENSQ_IJSG_SG_EEES6_PlJS6_EEE10hipError_tPvRmT3_T4_T5_T6_T7_T9_mT8_P12ihipStream_tbDpT10_ENKUlT_T0_E_clISt17integral_constantIbLb0EES1C_IbLb1EEEEDaS18_S19_EUlS18_E_NS1_11comp_targetILNS1_3genE9ELNS1_11target_archE1100ELNS1_3gpuE3ELNS1_3repE0EEENS1_30default_config_static_selectorELNS0_4arch9wavefront6targetE0EEEvT1_.num_vgpr, 0
	.set _ZN7rocprim17ROCPRIM_400000_NS6detail17trampoline_kernelINS0_14default_configENS1_25partition_config_selectorILNS1_17partition_subalgoE5ExNS0_10empty_typeEbEEZZNS1_14partition_implILS5_5ELb0ES3_mN6thrust23THRUST_200600_302600_NS6detail15normal_iteratorINSA_10device_ptrIxEEEEPS6_NSA_18transform_iteratorINSB_9not_fun_tI7is_trueIxEEENSC_INSD_IbEEEENSA_11use_defaultESO_EENS0_5tupleIJSF_S6_EEENSQ_IJSG_SG_EEES6_PlJS6_EEE10hipError_tPvRmT3_T4_T5_T6_T7_T9_mT8_P12ihipStream_tbDpT10_ENKUlT_T0_E_clISt17integral_constantIbLb0EES1C_IbLb1EEEEDaS18_S19_EUlS18_E_NS1_11comp_targetILNS1_3genE9ELNS1_11target_archE1100ELNS1_3gpuE3ELNS1_3repE0EEENS1_30default_config_static_selectorELNS0_4arch9wavefront6targetE0EEEvT1_.num_agpr, 0
	.set _ZN7rocprim17ROCPRIM_400000_NS6detail17trampoline_kernelINS0_14default_configENS1_25partition_config_selectorILNS1_17partition_subalgoE5ExNS0_10empty_typeEbEEZZNS1_14partition_implILS5_5ELb0ES3_mN6thrust23THRUST_200600_302600_NS6detail15normal_iteratorINSA_10device_ptrIxEEEEPS6_NSA_18transform_iteratorINSB_9not_fun_tI7is_trueIxEEENSC_INSD_IbEEEENSA_11use_defaultESO_EENS0_5tupleIJSF_S6_EEENSQ_IJSG_SG_EEES6_PlJS6_EEE10hipError_tPvRmT3_T4_T5_T6_T7_T9_mT8_P12ihipStream_tbDpT10_ENKUlT_T0_E_clISt17integral_constantIbLb0EES1C_IbLb1EEEEDaS18_S19_EUlS18_E_NS1_11comp_targetILNS1_3genE9ELNS1_11target_archE1100ELNS1_3gpuE3ELNS1_3repE0EEENS1_30default_config_static_selectorELNS0_4arch9wavefront6targetE0EEEvT1_.numbered_sgpr, 0
	.set _ZN7rocprim17ROCPRIM_400000_NS6detail17trampoline_kernelINS0_14default_configENS1_25partition_config_selectorILNS1_17partition_subalgoE5ExNS0_10empty_typeEbEEZZNS1_14partition_implILS5_5ELb0ES3_mN6thrust23THRUST_200600_302600_NS6detail15normal_iteratorINSA_10device_ptrIxEEEEPS6_NSA_18transform_iteratorINSB_9not_fun_tI7is_trueIxEEENSC_INSD_IbEEEENSA_11use_defaultESO_EENS0_5tupleIJSF_S6_EEENSQ_IJSG_SG_EEES6_PlJS6_EEE10hipError_tPvRmT3_T4_T5_T6_T7_T9_mT8_P12ihipStream_tbDpT10_ENKUlT_T0_E_clISt17integral_constantIbLb0EES1C_IbLb1EEEEDaS18_S19_EUlS18_E_NS1_11comp_targetILNS1_3genE9ELNS1_11target_archE1100ELNS1_3gpuE3ELNS1_3repE0EEENS1_30default_config_static_selectorELNS0_4arch9wavefront6targetE0EEEvT1_.num_named_barrier, 0
	.set _ZN7rocprim17ROCPRIM_400000_NS6detail17trampoline_kernelINS0_14default_configENS1_25partition_config_selectorILNS1_17partition_subalgoE5ExNS0_10empty_typeEbEEZZNS1_14partition_implILS5_5ELb0ES3_mN6thrust23THRUST_200600_302600_NS6detail15normal_iteratorINSA_10device_ptrIxEEEEPS6_NSA_18transform_iteratorINSB_9not_fun_tI7is_trueIxEEENSC_INSD_IbEEEENSA_11use_defaultESO_EENS0_5tupleIJSF_S6_EEENSQ_IJSG_SG_EEES6_PlJS6_EEE10hipError_tPvRmT3_T4_T5_T6_T7_T9_mT8_P12ihipStream_tbDpT10_ENKUlT_T0_E_clISt17integral_constantIbLb0EES1C_IbLb1EEEEDaS18_S19_EUlS18_E_NS1_11comp_targetILNS1_3genE9ELNS1_11target_archE1100ELNS1_3gpuE3ELNS1_3repE0EEENS1_30default_config_static_selectorELNS0_4arch9wavefront6targetE0EEEvT1_.private_seg_size, 0
	.set _ZN7rocprim17ROCPRIM_400000_NS6detail17trampoline_kernelINS0_14default_configENS1_25partition_config_selectorILNS1_17partition_subalgoE5ExNS0_10empty_typeEbEEZZNS1_14partition_implILS5_5ELb0ES3_mN6thrust23THRUST_200600_302600_NS6detail15normal_iteratorINSA_10device_ptrIxEEEEPS6_NSA_18transform_iteratorINSB_9not_fun_tI7is_trueIxEEENSC_INSD_IbEEEENSA_11use_defaultESO_EENS0_5tupleIJSF_S6_EEENSQ_IJSG_SG_EEES6_PlJS6_EEE10hipError_tPvRmT3_T4_T5_T6_T7_T9_mT8_P12ihipStream_tbDpT10_ENKUlT_T0_E_clISt17integral_constantIbLb0EES1C_IbLb1EEEEDaS18_S19_EUlS18_E_NS1_11comp_targetILNS1_3genE9ELNS1_11target_archE1100ELNS1_3gpuE3ELNS1_3repE0EEENS1_30default_config_static_selectorELNS0_4arch9wavefront6targetE0EEEvT1_.uses_vcc, 0
	.set _ZN7rocprim17ROCPRIM_400000_NS6detail17trampoline_kernelINS0_14default_configENS1_25partition_config_selectorILNS1_17partition_subalgoE5ExNS0_10empty_typeEbEEZZNS1_14partition_implILS5_5ELb0ES3_mN6thrust23THRUST_200600_302600_NS6detail15normal_iteratorINSA_10device_ptrIxEEEEPS6_NSA_18transform_iteratorINSB_9not_fun_tI7is_trueIxEEENSC_INSD_IbEEEENSA_11use_defaultESO_EENS0_5tupleIJSF_S6_EEENSQ_IJSG_SG_EEES6_PlJS6_EEE10hipError_tPvRmT3_T4_T5_T6_T7_T9_mT8_P12ihipStream_tbDpT10_ENKUlT_T0_E_clISt17integral_constantIbLb0EES1C_IbLb1EEEEDaS18_S19_EUlS18_E_NS1_11comp_targetILNS1_3genE9ELNS1_11target_archE1100ELNS1_3gpuE3ELNS1_3repE0EEENS1_30default_config_static_selectorELNS0_4arch9wavefront6targetE0EEEvT1_.uses_flat_scratch, 0
	.set _ZN7rocprim17ROCPRIM_400000_NS6detail17trampoline_kernelINS0_14default_configENS1_25partition_config_selectorILNS1_17partition_subalgoE5ExNS0_10empty_typeEbEEZZNS1_14partition_implILS5_5ELb0ES3_mN6thrust23THRUST_200600_302600_NS6detail15normal_iteratorINSA_10device_ptrIxEEEEPS6_NSA_18transform_iteratorINSB_9not_fun_tI7is_trueIxEEENSC_INSD_IbEEEENSA_11use_defaultESO_EENS0_5tupleIJSF_S6_EEENSQ_IJSG_SG_EEES6_PlJS6_EEE10hipError_tPvRmT3_T4_T5_T6_T7_T9_mT8_P12ihipStream_tbDpT10_ENKUlT_T0_E_clISt17integral_constantIbLb0EES1C_IbLb1EEEEDaS18_S19_EUlS18_E_NS1_11comp_targetILNS1_3genE9ELNS1_11target_archE1100ELNS1_3gpuE3ELNS1_3repE0EEENS1_30default_config_static_selectorELNS0_4arch9wavefront6targetE0EEEvT1_.has_dyn_sized_stack, 0
	.set _ZN7rocprim17ROCPRIM_400000_NS6detail17trampoline_kernelINS0_14default_configENS1_25partition_config_selectorILNS1_17partition_subalgoE5ExNS0_10empty_typeEbEEZZNS1_14partition_implILS5_5ELb0ES3_mN6thrust23THRUST_200600_302600_NS6detail15normal_iteratorINSA_10device_ptrIxEEEEPS6_NSA_18transform_iteratorINSB_9not_fun_tI7is_trueIxEEENSC_INSD_IbEEEENSA_11use_defaultESO_EENS0_5tupleIJSF_S6_EEENSQ_IJSG_SG_EEES6_PlJS6_EEE10hipError_tPvRmT3_T4_T5_T6_T7_T9_mT8_P12ihipStream_tbDpT10_ENKUlT_T0_E_clISt17integral_constantIbLb0EES1C_IbLb1EEEEDaS18_S19_EUlS18_E_NS1_11comp_targetILNS1_3genE9ELNS1_11target_archE1100ELNS1_3gpuE3ELNS1_3repE0EEENS1_30default_config_static_selectorELNS0_4arch9wavefront6targetE0EEEvT1_.has_recursion, 0
	.set _ZN7rocprim17ROCPRIM_400000_NS6detail17trampoline_kernelINS0_14default_configENS1_25partition_config_selectorILNS1_17partition_subalgoE5ExNS0_10empty_typeEbEEZZNS1_14partition_implILS5_5ELb0ES3_mN6thrust23THRUST_200600_302600_NS6detail15normal_iteratorINSA_10device_ptrIxEEEEPS6_NSA_18transform_iteratorINSB_9not_fun_tI7is_trueIxEEENSC_INSD_IbEEEENSA_11use_defaultESO_EENS0_5tupleIJSF_S6_EEENSQ_IJSG_SG_EEES6_PlJS6_EEE10hipError_tPvRmT3_T4_T5_T6_T7_T9_mT8_P12ihipStream_tbDpT10_ENKUlT_T0_E_clISt17integral_constantIbLb0EES1C_IbLb1EEEEDaS18_S19_EUlS18_E_NS1_11comp_targetILNS1_3genE9ELNS1_11target_archE1100ELNS1_3gpuE3ELNS1_3repE0EEENS1_30default_config_static_selectorELNS0_4arch9wavefront6targetE0EEEvT1_.has_indirect_call, 0
	.section	.AMDGPU.csdata,"",@progbits
; Kernel info:
; codeLenInByte = 0
; TotalNumSgprs: 0
; NumVgprs: 0
; ScratchSize: 0
; MemoryBound: 0
; FloatMode: 240
; IeeeMode: 1
; LDSByteSize: 0 bytes/workgroup (compile time only)
; SGPRBlocks: 0
; VGPRBlocks: 0
; NumSGPRsForWavesPerEU: 1
; NumVGPRsForWavesPerEU: 1
; Occupancy: 16
; WaveLimiterHint : 0
; COMPUTE_PGM_RSRC2:SCRATCH_EN: 0
; COMPUTE_PGM_RSRC2:USER_SGPR: 2
; COMPUTE_PGM_RSRC2:TRAP_HANDLER: 0
; COMPUTE_PGM_RSRC2:TGID_X_EN: 1
; COMPUTE_PGM_RSRC2:TGID_Y_EN: 0
; COMPUTE_PGM_RSRC2:TGID_Z_EN: 0
; COMPUTE_PGM_RSRC2:TIDIG_COMP_CNT: 0
	.section	.text._ZN7rocprim17ROCPRIM_400000_NS6detail17trampoline_kernelINS0_14default_configENS1_25partition_config_selectorILNS1_17partition_subalgoE5ExNS0_10empty_typeEbEEZZNS1_14partition_implILS5_5ELb0ES3_mN6thrust23THRUST_200600_302600_NS6detail15normal_iteratorINSA_10device_ptrIxEEEEPS6_NSA_18transform_iteratorINSB_9not_fun_tI7is_trueIxEEENSC_INSD_IbEEEENSA_11use_defaultESO_EENS0_5tupleIJSF_S6_EEENSQ_IJSG_SG_EEES6_PlJS6_EEE10hipError_tPvRmT3_T4_T5_T6_T7_T9_mT8_P12ihipStream_tbDpT10_ENKUlT_T0_E_clISt17integral_constantIbLb0EES1C_IbLb1EEEEDaS18_S19_EUlS18_E_NS1_11comp_targetILNS1_3genE8ELNS1_11target_archE1030ELNS1_3gpuE2ELNS1_3repE0EEENS1_30default_config_static_selectorELNS0_4arch9wavefront6targetE0EEEvT1_,"axG",@progbits,_ZN7rocprim17ROCPRIM_400000_NS6detail17trampoline_kernelINS0_14default_configENS1_25partition_config_selectorILNS1_17partition_subalgoE5ExNS0_10empty_typeEbEEZZNS1_14partition_implILS5_5ELb0ES3_mN6thrust23THRUST_200600_302600_NS6detail15normal_iteratorINSA_10device_ptrIxEEEEPS6_NSA_18transform_iteratorINSB_9not_fun_tI7is_trueIxEEENSC_INSD_IbEEEENSA_11use_defaultESO_EENS0_5tupleIJSF_S6_EEENSQ_IJSG_SG_EEES6_PlJS6_EEE10hipError_tPvRmT3_T4_T5_T6_T7_T9_mT8_P12ihipStream_tbDpT10_ENKUlT_T0_E_clISt17integral_constantIbLb0EES1C_IbLb1EEEEDaS18_S19_EUlS18_E_NS1_11comp_targetILNS1_3genE8ELNS1_11target_archE1030ELNS1_3gpuE2ELNS1_3repE0EEENS1_30default_config_static_selectorELNS0_4arch9wavefront6targetE0EEEvT1_,comdat
	.protected	_ZN7rocprim17ROCPRIM_400000_NS6detail17trampoline_kernelINS0_14default_configENS1_25partition_config_selectorILNS1_17partition_subalgoE5ExNS0_10empty_typeEbEEZZNS1_14partition_implILS5_5ELb0ES3_mN6thrust23THRUST_200600_302600_NS6detail15normal_iteratorINSA_10device_ptrIxEEEEPS6_NSA_18transform_iteratorINSB_9not_fun_tI7is_trueIxEEENSC_INSD_IbEEEENSA_11use_defaultESO_EENS0_5tupleIJSF_S6_EEENSQ_IJSG_SG_EEES6_PlJS6_EEE10hipError_tPvRmT3_T4_T5_T6_T7_T9_mT8_P12ihipStream_tbDpT10_ENKUlT_T0_E_clISt17integral_constantIbLb0EES1C_IbLb1EEEEDaS18_S19_EUlS18_E_NS1_11comp_targetILNS1_3genE8ELNS1_11target_archE1030ELNS1_3gpuE2ELNS1_3repE0EEENS1_30default_config_static_selectorELNS0_4arch9wavefront6targetE0EEEvT1_ ; -- Begin function _ZN7rocprim17ROCPRIM_400000_NS6detail17trampoline_kernelINS0_14default_configENS1_25partition_config_selectorILNS1_17partition_subalgoE5ExNS0_10empty_typeEbEEZZNS1_14partition_implILS5_5ELb0ES3_mN6thrust23THRUST_200600_302600_NS6detail15normal_iteratorINSA_10device_ptrIxEEEEPS6_NSA_18transform_iteratorINSB_9not_fun_tI7is_trueIxEEENSC_INSD_IbEEEENSA_11use_defaultESO_EENS0_5tupleIJSF_S6_EEENSQ_IJSG_SG_EEES6_PlJS6_EEE10hipError_tPvRmT3_T4_T5_T6_T7_T9_mT8_P12ihipStream_tbDpT10_ENKUlT_T0_E_clISt17integral_constantIbLb0EES1C_IbLb1EEEEDaS18_S19_EUlS18_E_NS1_11comp_targetILNS1_3genE8ELNS1_11target_archE1030ELNS1_3gpuE2ELNS1_3repE0EEENS1_30default_config_static_selectorELNS0_4arch9wavefront6targetE0EEEvT1_
	.globl	_ZN7rocprim17ROCPRIM_400000_NS6detail17trampoline_kernelINS0_14default_configENS1_25partition_config_selectorILNS1_17partition_subalgoE5ExNS0_10empty_typeEbEEZZNS1_14partition_implILS5_5ELb0ES3_mN6thrust23THRUST_200600_302600_NS6detail15normal_iteratorINSA_10device_ptrIxEEEEPS6_NSA_18transform_iteratorINSB_9not_fun_tI7is_trueIxEEENSC_INSD_IbEEEENSA_11use_defaultESO_EENS0_5tupleIJSF_S6_EEENSQ_IJSG_SG_EEES6_PlJS6_EEE10hipError_tPvRmT3_T4_T5_T6_T7_T9_mT8_P12ihipStream_tbDpT10_ENKUlT_T0_E_clISt17integral_constantIbLb0EES1C_IbLb1EEEEDaS18_S19_EUlS18_E_NS1_11comp_targetILNS1_3genE8ELNS1_11target_archE1030ELNS1_3gpuE2ELNS1_3repE0EEENS1_30default_config_static_selectorELNS0_4arch9wavefront6targetE0EEEvT1_
	.p2align	8
	.type	_ZN7rocprim17ROCPRIM_400000_NS6detail17trampoline_kernelINS0_14default_configENS1_25partition_config_selectorILNS1_17partition_subalgoE5ExNS0_10empty_typeEbEEZZNS1_14partition_implILS5_5ELb0ES3_mN6thrust23THRUST_200600_302600_NS6detail15normal_iteratorINSA_10device_ptrIxEEEEPS6_NSA_18transform_iteratorINSB_9not_fun_tI7is_trueIxEEENSC_INSD_IbEEEENSA_11use_defaultESO_EENS0_5tupleIJSF_S6_EEENSQ_IJSG_SG_EEES6_PlJS6_EEE10hipError_tPvRmT3_T4_T5_T6_T7_T9_mT8_P12ihipStream_tbDpT10_ENKUlT_T0_E_clISt17integral_constantIbLb0EES1C_IbLb1EEEEDaS18_S19_EUlS18_E_NS1_11comp_targetILNS1_3genE8ELNS1_11target_archE1030ELNS1_3gpuE2ELNS1_3repE0EEENS1_30default_config_static_selectorELNS0_4arch9wavefront6targetE0EEEvT1_,@function
_ZN7rocprim17ROCPRIM_400000_NS6detail17trampoline_kernelINS0_14default_configENS1_25partition_config_selectorILNS1_17partition_subalgoE5ExNS0_10empty_typeEbEEZZNS1_14partition_implILS5_5ELb0ES3_mN6thrust23THRUST_200600_302600_NS6detail15normal_iteratorINSA_10device_ptrIxEEEEPS6_NSA_18transform_iteratorINSB_9not_fun_tI7is_trueIxEEENSC_INSD_IbEEEENSA_11use_defaultESO_EENS0_5tupleIJSF_S6_EEENSQ_IJSG_SG_EEES6_PlJS6_EEE10hipError_tPvRmT3_T4_T5_T6_T7_T9_mT8_P12ihipStream_tbDpT10_ENKUlT_T0_E_clISt17integral_constantIbLb0EES1C_IbLb1EEEEDaS18_S19_EUlS18_E_NS1_11comp_targetILNS1_3genE8ELNS1_11target_archE1030ELNS1_3gpuE2ELNS1_3repE0EEENS1_30default_config_static_selectorELNS0_4arch9wavefront6targetE0EEEvT1_: ; @_ZN7rocprim17ROCPRIM_400000_NS6detail17trampoline_kernelINS0_14default_configENS1_25partition_config_selectorILNS1_17partition_subalgoE5ExNS0_10empty_typeEbEEZZNS1_14partition_implILS5_5ELb0ES3_mN6thrust23THRUST_200600_302600_NS6detail15normal_iteratorINSA_10device_ptrIxEEEEPS6_NSA_18transform_iteratorINSB_9not_fun_tI7is_trueIxEEENSC_INSD_IbEEEENSA_11use_defaultESO_EENS0_5tupleIJSF_S6_EEENSQ_IJSG_SG_EEES6_PlJS6_EEE10hipError_tPvRmT3_T4_T5_T6_T7_T9_mT8_P12ihipStream_tbDpT10_ENKUlT_T0_E_clISt17integral_constantIbLb0EES1C_IbLb1EEEEDaS18_S19_EUlS18_E_NS1_11comp_targetILNS1_3genE8ELNS1_11target_archE1030ELNS1_3gpuE2ELNS1_3repE0EEENS1_30default_config_static_selectorELNS0_4arch9wavefront6targetE0EEEvT1_
; %bb.0:
	.section	.rodata,"a",@progbits
	.p2align	6, 0x0
	.amdhsa_kernel _ZN7rocprim17ROCPRIM_400000_NS6detail17trampoline_kernelINS0_14default_configENS1_25partition_config_selectorILNS1_17partition_subalgoE5ExNS0_10empty_typeEbEEZZNS1_14partition_implILS5_5ELb0ES3_mN6thrust23THRUST_200600_302600_NS6detail15normal_iteratorINSA_10device_ptrIxEEEEPS6_NSA_18transform_iteratorINSB_9not_fun_tI7is_trueIxEEENSC_INSD_IbEEEENSA_11use_defaultESO_EENS0_5tupleIJSF_S6_EEENSQ_IJSG_SG_EEES6_PlJS6_EEE10hipError_tPvRmT3_T4_T5_T6_T7_T9_mT8_P12ihipStream_tbDpT10_ENKUlT_T0_E_clISt17integral_constantIbLb0EES1C_IbLb1EEEEDaS18_S19_EUlS18_E_NS1_11comp_targetILNS1_3genE8ELNS1_11target_archE1030ELNS1_3gpuE2ELNS1_3repE0EEENS1_30default_config_static_selectorELNS0_4arch9wavefront6targetE0EEEvT1_
		.amdhsa_group_segment_fixed_size 0
		.amdhsa_private_segment_fixed_size 0
		.amdhsa_kernarg_size 136
		.amdhsa_user_sgpr_count 2
		.amdhsa_user_sgpr_dispatch_ptr 0
		.amdhsa_user_sgpr_queue_ptr 0
		.amdhsa_user_sgpr_kernarg_segment_ptr 1
		.amdhsa_user_sgpr_dispatch_id 0
		.amdhsa_user_sgpr_private_segment_size 0
		.amdhsa_wavefront_size32 1
		.amdhsa_uses_dynamic_stack 0
		.amdhsa_enable_private_segment 0
		.amdhsa_system_sgpr_workgroup_id_x 1
		.amdhsa_system_sgpr_workgroup_id_y 0
		.amdhsa_system_sgpr_workgroup_id_z 0
		.amdhsa_system_sgpr_workgroup_info 0
		.amdhsa_system_vgpr_workitem_id 0
		.amdhsa_next_free_vgpr 1
		.amdhsa_next_free_sgpr 1
		.amdhsa_reserve_vcc 0
		.amdhsa_float_round_mode_32 0
		.amdhsa_float_round_mode_16_64 0
		.amdhsa_float_denorm_mode_32 3
		.amdhsa_float_denorm_mode_16_64 3
		.amdhsa_fp16_overflow 0
		.amdhsa_workgroup_processor_mode 1
		.amdhsa_memory_ordered 1
		.amdhsa_forward_progress 1
		.amdhsa_inst_pref_size 0
		.amdhsa_round_robin_scheduling 0
		.amdhsa_exception_fp_ieee_invalid_op 0
		.amdhsa_exception_fp_denorm_src 0
		.amdhsa_exception_fp_ieee_div_zero 0
		.amdhsa_exception_fp_ieee_overflow 0
		.amdhsa_exception_fp_ieee_underflow 0
		.amdhsa_exception_fp_ieee_inexact 0
		.amdhsa_exception_int_div_zero 0
	.end_amdhsa_kernel
	.section	.text._ZN7rocprim17ROCPRIM_400000_NS6detail17trampoline_kernelINS0_14default_configENS1_25partition_config_selectorILNS1_17partition_subalgoE5ExNS0_10empty_typeEbEEZZNS1_14partition_implILS5_5ELb0ES3_mN6thrust23THRUST_200600_302600_NS6detail15normal_iteratorINSA_10device_ptrIxEEEEPS6_NSA_18transform_iteratorINSB_9not_fun_tI7is_trueIxEEENSC_INSD_IbEEEENSA_11use_defaultESO_EENS0_5tupleIJSF_S6_EEENSQ_IJSG_SG_EEES6_PlJS6_EEE10hipError_tPvRmT3_T4_T5_T6_T7_T9_mT8_P12ihipStream_tbDpT10_ENKUlT_T0_E_clISt17integral_constantIbLb0EES1C_IbLb1EEEEDaS18_S19_EUlS18_E_NS1_11comp_targetILNS1_3genE8ELNS1_11target_archE1030ELNS1_3gpuE2ELNS1_3repE0EEENS1_30default_config_static_selectorELNS0_4arch9wavefront6targetE0EEEvT1_,"axG",@progbits,_ZN7rocprim17ROCPRIM_400000_NS6detail17trampoline_kernelINS0_14default_configENS1_25partition_config_selectorILNS1_17partition_subalgoE5ExNS0_10empty_typeEbEEZZNS1_14partition_implILS5_5ELb0ES3_mN6thrust23THRUST_200600_302600_NS6detail15normal_iteratorINSA_10device_ptrIxEEEEPS6_NSA_18transform_iteratorINSB_9not_fun_tI7is_trueIxEEENSC_INSD_IbEEEENSA_11use_defaultESO_EENS0_5tupleIJSF_S6_EEENSQ_IJSG_SG_EEES6_PlJS6_EEE10hipError_tPvRmT3_T4_T5_T6_T7_T9_mT8_P12ihipStream_tbDpT10_ENKUlT_T0_E_clISt17integral_constantIbLb0EES1C_IbLb1EEEEDaS18_S19_EUlS18_E_NS1_11comp_targetILNS1_3genE8ELNS1_11target_archE1030ELNS1_3gpuE2ELNS1_3repE0EEENS1_30default_config_static_selectorELNS0_4arch9wavefront6targetE0EEEvT1_,comdat
.Lfunc_end2524:
	.size	_ZN7rocprim17ROCPRIM_400000_NS6detail17trampoline_kernelINS0_14default_configENS1_25partition_config_selectorILNS1_17partition_subalgoE5ExNS0_10empty_typeEbEEZZNS1_14partition_implILS5_5ELb0ES3_mN6thrust23THRUST_200600_302600_NS6detail15normal_iteratorINSA_10device_ptrIxEEEEPS6_NSA_18transform_iteratorINSB_9not_fun_tI7is_trueIxEEENSC_INSD_IbEEEENSA_11use_defaultESO_EENS0_5tupleIJSF_S6_EEENSQ_IJSG_SG_EEES6_PlJS6_EEE10hipError_tPvRmT3_T4_T5_T6_T7_T9_mT8_P12ihipStream_tbDpT10_ENKUlT_T0_E_clISt17integral_constantIbLb0EES1C_IbLb1EEEEDaS18_S19_EUlS18_E_NS1_11comp_targetILNS1_3genE8ELNS1_11target_archE1030ELNS1_3gpuE2ELNS1_3repE0EEENS1_30default_config_static_selectorELNS0_4arch9wavefront6targetE0EEEvT1_, .Lfunc_end2524-_ZN7rocprim17ROCPRIM_400000_NS6detail17trampoline_kernelINS0_14default_configENS1_25partition_config_selectorILNS1_17partition_subalgoE5ExNS0_10empty_typeEbEEZZNS1_14partition_implILS5_5ELb0ES3_mN6thrust23THRUST_200600_302600_NS6detail15normal_iteratorINSA_10device_ptrIxEEEEPS6_NSA_18transform_iteratorINSB_9not_fun_tI7is_trueIxEEENSC_INSD_IbEEEENSA_11use_defaultESO_EENS0_5tupleIJSF_S6_EEENSQ_IJSG_SG_EEES6_PlJS6_EEE10hipError_tPvRmT3_T4_T5_T6_T7_T9_mT8_P12ihipStream_tbDpT10_ENKUlT_T0_E_clISt17integral_constantIbLb0EES1C_IbLb1EEEEDaS18_S19_EUlS18_E_NS1_11comp_targetILNS1_3genE8ELNS1_11target_archE1030ELNS1_3gpuE2ELNS1_3repE0EEENS1_30default_config_static_selectorELNS0_4arch9wavefront6targetE0EEEvT1_
                                        ; -- End function
	.set _ZN7rocprim17ROCPRIM_400000_NS6detail17trampoline_kernelINS0_14default_configENS1_25partition_config_selectorILNS1_17partition_subalgoE5ExNS0_10empty_typeEbEEZZNS1_14partition_implILS5_5ELb0ES3_mN6thrust23THRUST_200600_302600_NS6detail15normal_iteratorINSA_10device_ptrIxEEEEPS6_NSA_18transform_iteratorINSB_9not_fun_tI7is_trueIxEEENSC_INSD_IbEEEENSA_11use_defaultESO_EENS0_5tupleIJSF_S6_EEENSQ_IJSG_SG_EEES6_PlJS6_EEE10hipError_tPvRmT3_T4_T5_T6_T7_T9_mT8_P12ihipStream_tbDpT10_ENKUlT_T0_E_clISt17integral_constantIbLb0EES1C_IbLb1EEEEDaS18_S19_EUlS18_E_NS1_11comp_targetILNS1_3genE8ELNS1_11target_archE1030ELNS1_3gpuE2ELNS1_3repE0EEENS1_30default_config_static_selectorELNS0_4arch9wavefront6targetE0EEEvT1_.num_vgpr, 0
	.set _ZN7rocprim17ROCPRIM_400000_NS6detail17trampoline_kernelINS0_14default_configENS1_25partition_config_selectorILNS1_17partition_subalgoE5ExNS0_10empty_typeEbEEZZNS1_14partition_implILS5_5ELb0ES3_mN6thrust23THRUST_200600_302600_NS6detail15normal_iteratorINSA_10device_ptrIxEEEEPS6_NSA_18transform_iteratorINSB_9not_fun_tI7is_trueIxEEENSC_INSD_IbEEEENSA_11use_defaultESO_EENS0_5tupleIJSF_S6_EEENSQ_IJSG_SG_EEES6_PlJS6_EEE10hipError_tPvRmT3_T4_T5_T6_T7_T9_mT8_P12ihipStream_tbDpT10_ENKUlT_T0_E_clISt17integral_constantIbLb0EES1C_IbLb1EEEEDaS18_S19_EUlS18_E_NS1_11comp_targetILNS1_3genE8ELNS1_11target_archE1030ELNS1_3gpuE2ELNS1_3repE0EEENS1_30default_config_static_selectorELNS0_4arch9wavefront6targetE0EEEvT1_.num_agpr, 0
	.set _ZN7rocprim17ROCPRIM_400000_NS6detail17trampoline_kernelINS0_14default_configENS1_25partition_config_selectorILNS1_17partition_subalgoE5ExNS0_10empty_typeEbEEZZNS1_14partition_implILS5_5ELb0ES3_mN6thrust23THRUST_200600_302600_NS6detail15normal_iteratorINSA_10device_ptrIxEEEEPS6_NSA_18transform_iteratorINSB_9not_fun_tI7is_trueIxEEENSC_INSD_IbEEEENSA_11use_defaultESO_EENS0_5tupleIJSF_S6_EEENSQ_IJSG_SG_EEES6_PlJS6_EEE10hipError_tPvRmT3_T4_T5_T6_T7_T9_mT8_P12ihipStream_tbDpT10_ENKUlT_T0_E_clISt17integral_constantIbLb0EES1C_IbLb1EEEEDaS18_S19_EUlS18_E_NS1_11comp_targetILNS1_3genE8ELNS1_11target_archE1030ELNS1_3gpuE2ELNS1_3repE0EEENS1_30default_config_static_selectorELNS0_4arch9wavefront6targetE0EEEvT1_.numbered_sgpr, 0
	.set _ZN7rocprim17ROCPRIM_400000_NS6detail17trampoline_kernelINS0_14default_configENS1_25partition_config_selectorILNS1_17partition_subalgoE5ExNS0_10empty_typeEbEEZZNS1_14partition_implILS5_5ELb0ES3_mN6thrust23THRUST_200600_302600_NS6detail15normal_iteratorINSA_10device_ptrIxEEEEPS6_NSA_18transform_iteratorINSB_9not_fun_tI7is_trueIxEEENSC_INSD_IbEEEENSA_11use_defaultESO_EENS0_5tupleIJSF_S6_EEENSQ_IJSG_SG_EEES6_PlJS6_EEE10hipError_tPvRmT3_T4_T5_T6_T7_T9_mT8_P12ihipStream_tbDpT10_ENKUlT_T0_E_clISt17integral_constantIbLb0EES1C_IbLb1EEEEDaS18_S19_EUlS18_E_NS1_11comp_targetILNS1_3genE8ELNS1_11target_archE1030ELNS1_3gpuE2ELNS1_3repE0EEENS1_30default_config_static_selectorELNS0_4arch9wavefront6targetE0EEEvT1_.num_named_barrier, 0
	.set _ZN7rocprim17ROCPRIM_400000_NS6detail17trampoline_kernelINS0_14default_configENS1_25partition_config_selectorILNS1_17partition_subalgoE5ExNS0_10empty_typeEbEEZZNS1_14partition_implILS5_5ELb0ES3_mN6thrust23THRUST_200600_302600_NS6detail15normal_iteratorINSA_10device_ptrIxEEEEPS6_NSA_18transform_iteratorINSB_9not_fun_tI7is_trueIxEEENSC_INSD_IbEEEENSA_11use_defaultESO_EENS0_5tupleIJSF_S6_EEENSQ_IJSG_SG_EEES6_PlJS6_EEE10hipError_tPvRmT3_T4_T5_T6_T7_T9_mT8_P12ihipStream_tbDpT10_ENKUlT_T0_E_clISt17integral_constantIbLb0EES1C_IbLb1EEEEDaS18_S19_EUlS18_E_NS1_11comp_targetILNS1_3genE8ELNS1_11target_archE1030ELNS1_3gpuE2ELNS1_3repE0EEENS1_30default_config_static_selectorELNS0_4arch9wavefront6targetE0EEEvT1_.private_seg_size, 0
	.set _ZN7rocprim17ROCPRIM_400000_NS6detail17trampoline_kernelINS0_14default_configENS1_25partition_config_selectorILNS1_17partition_subalgoE5ExNS0_10empty_typeEbEEZZNS1_14partition_implILS5_5ELb0ES3_mN6thrust23THRUST_200600_302600_NS6detail15normal_iteratorINSA_10device_ptrIxEEEEPS6_NSA_18transform_iteratorINSB_9not_fun_tI7is_trueIxEEENSC_INSD_IbEEEENSA_11use_defaultESO_EENS0_5tupleIJSF_S6_EEENSQ_IJSG_SG_EEES6_PlJS6_EEE10hipError_tPvRmT3_T4_T5_T6_T7_T9_mT8_P12ihipStream_tbDpT10_ENKUlT_T0_E_clISt17integral_constantIbLb0EES1C_IbLb1EEEEDaS18_S19_EUlS18_E_NS1_11comp_targetILNS1_3genE8ELNS1_11target_archE1030ELNS1_3gpuE2ELNS1_3repE0EEENS1_30default_config_static_selectorELNS0_4arch9wavefront6targetE0EEEvT1_.uses_vcc, 0
	.set _ZN7rocprim17ROCPRIM_400000_NS6detail17trampoline_kernelINS0_14default_configENS1_25partition_config_selectorILNS1_17partition_subalgoE5ExNS0_10empty_typeEbEEZZNS1_14partition_implILS5_5ELb0ES3_mN6thrust23THRUST_200600_302600_NS6detail15normal_iteratorINSA_10device_ptrIxEEEEPS6_NSA_18transform_iteratorINSB_9not_fun_tI7is_trueIxEEENSC_INSD_IbEEEENSA_11use_defaultESO_EENS0_5tupleIJSF_S6_EEENSQ_IJSG_SG_EEES6_PlJS6_EEE10hipError_tPvRmT3_T4_T5_T6_T7_T9_mT8_P12ihipStream_tbDpT10_ENKUlT_T0_E_clISt17integral_constantIbLb0EES1C_IbLb1EEEEDaS18_S19_EUlS18_E_NS1_11comp_targetILNS1_3genE8ELNS1_11target_archE1030ELNS1_3gpuE2ELNS1_3repE0EEENS1_30default_config_static_selectorELNS0_4arch9wavefront6targetE0EEEvT1_.uses_flat_scratch, 0
	.set _ZN7rocprim17ROCPRIM_400000_NS6detail17trampoline_kernelINS0_14default_configENS1_25partition_config_selectorILNS1_17partition_subalgoE5ExNS0_10empty_typeEbEEZZNS1_14partition_implILS5_5ELb0ES3_mN6thrust23THRUST_200600_302600_NS6detail15normal_iteratorINSA_10device_ptrIxEEEEPS6_NSA_18transform_iteratorINSB_9not_fun_tI7is_trueIxEEENSC_INSD_IbEEEENSA_11use_defaultESO_EENS0_5tupleIJSF_S6_EEENSQ_IJSG_SG_EEES6_PlJS6_EEE10hipError_tPvRmT3_T4_T5_T6_T7_T9_mT8_P12ihipStream_tbDpT10_ENKUlT_T0_E_clISt17integral_constantIbLb0EES1C_IbLb1EEEEDaS18_S19_EUlS18_E_NS1_11comp_targetILNS1_3genE8ELNS1_11target_archE1030ELNS1_3gpuE2ELNS1_3repE0EEENS1_30default_config_static_selectorELNS0_4arch9wavefront6targetE0EEEvT1_.has_dyn_sized_stack, 0
	.set _ZN7rocprim17ROCPRIM_400000_NS6detail17trampoline_kernelINS0_14default_configENS1_25partition_config_selectorILNS1_17partition_subalgoE5ExNS0_10empty_typeEbEEZZNS1_14partition_implILS5_5ELb0ES3_mN6thrust23THRUST_200600_302600_NS6detail15normal_iteratorINSA_10device_ptrIxEEEEPS6_NSA_18transform_iteratorINSB_9not_fun_tI7is_trueIxEEENSC_INSD_IbEEEENSA_11use_defaultESO_EENS0_5tupleIJSF_S6_EEENSQ_IJSG_SG_EEES6_PlJS6_EEE10hipError_tPvRmT3_T4_T5_T6_T7_T9_mT8_P12ihipStream_tbDpT10_ENKUlT_T0_E_clISt17integral_constantIbLb0EES1C_IbLb1EEEEDaS18_S19_EUlS18_E_NS1_11comp_targetILNS1_3genE8ELNS1_11target_archE1030ELNS1_3gpuE2ELNS1_3repE0EEENS1_30default_config_static_selectorELNS0_4arch9wavefront6targetE0EEEvT1_.has_recursion, 0
	.set _ZN7rocprim17ROCPRIM_400000_NS6detail17trampoline_kernelINS0_14default_configENS1_25partition_config_selectorILNS1_17partition_subalgoE5ExNS0_10empty_typeEbEEZZNS1_14partition_implILS5_5ELb0ES3_mN6thrust23THRUST_200600_302600_NS6detail15normal_iteratorINSA_10device_ptrIxEEEEPS6_NSA_18transform_iteratorINSB_9not_fun_tI7is_trueIxEEENSC_INSD_IbEEEENSA_11use_defaultESO_EENS0_5tupleIJSF_S6_EEENSQ_IJSG_SG_EEES6_PlJS6_EEE10hipError_tPvRmT3_T4_T5_T6_T7_T9_mT8_P12ihipStream_tbDpT10_ENKUlT_T0_E_clISt17integral_constantIbLb0EES1C_IbLb1EEEEDaS18_S19_EUlS18_E_NS1_11comp_targetILNS1_3genE8ELNS1_11target_archE1030ELNS1_3gpuE2ELNS1_3repE0EEENS1_30default_config_static_selectorELNS0_4arch9wavefront6targetE0EEEvT1_.has_indirect_call, 0
	.section	.AMDGPU.csdata,"",@progbits
; Kernel info:
; codeLenInByte = 0
; TotalNumSgprs: 0
; NumVgprs: 0
; ScratchSize: 0
; MemoryBound: 0
; FloatMode: 240
; IeeeMode: 1
; LDSByteSize: 0 bytes/workgroup (compile time only)
; SGPRBlocks: 0
; VGPRBlocks: 0
; NumSGPRsForWavesPerEU: 1
; NumVGPRsForWavesPerEU: 1
; Occupancy: 16
; WaveLimiterHint : 0
; COMPUTE_PGM_RSRC2:SCRATCH_EN: 0
; COMPUTE_PGM_RSRC2:USER_SGPR: 2
; COMPUTE_PGM_RSRC2:TRAP_HANDLER: 0
; COMPUTE_PGM_RSRC2:TGID_X_EN: 1
; COMPUTE_PGM_RSRC2:TGID_Y_EN: 0
; COMPUTE_PGM_RSRC2:TGID_Z_EN: 0
; COMPUTE_PGM_RSRC2:TIDIG_COMP_CNT: 0
	.section	.text._ZN7rocprim17ROCPRIM_400000_NS6detail17trampoline_kernelINS0_14default_configENS1_25partition_config_selectorILNS1_17partition_subalgoE5EiNS0_10empty_typeEbEEZZNS1_14partition_implILS5_5ELb0ES3_mN6thrust23THRUST_200600_302600_NS6detail15normal_iteratorINSA_10device_ptrIiEEEEPS6_NSA_18transform_iteratorINSB_9not_fun_tI7is_trueIiEEENSC_INSD_IbEEEENSA_11use_defaultESO_EENS0_5tupleIJSF_S6_EEENSQ_IJSG_SG_EEES6_PlJS6_EEE10hipError_tPvRmT3_T4_T5_T6_T7_T9_mT8_P12ihipStream_tbDpT10_ENKUlT_T0_E_clISt17integral_constantIbLb0EES1D_EEDaS18_S19_EUlS18_E_NS1_11comp_targetILNS1_3genE0ELNS1_11target_archE4294967295ELNS1_3gpuE0ELNS1_3repE0EEENS1_30default_config_static_selectorELNS0_4arch9wavefront6targetE0EEEvT1_,"axG",@progbits,_ZN7rocprim17ROCPRIM_400000_NS6detail17trampoline_kernelINS0_14default_configENS1_25partition_config_selectorILNS1_17partition_subalgoE5EiNS0_10empty_typeEbEEZZNS1_14partition_implILS5_5ELb0ES3_mN6thrust23THRUST_200600_302600_NS6detail15normal_iteratorINSA_10device_ptrIiEEEEPS6_NSA_18transform_iteratorINSB_9not_fun_tI7is_trueIiEEENSC_INSD_IbEEEENSA_11use_defaultESO_EENS0_5tupleIJSF_S6_EEENSQ_IJSG_SG_EEES6_PlJS6_EEE10hipError_tPvRmT3_T4_T5_T6_T7_T9_mT8_P12ihipStream_tbDpT10_ENKUlT_T0_E_clISt17integral_constantIbLb0EES1D_EEDaS18_S19_EUlS18_E_NS1_11comp_targetILNS1_3genE0ELNS1_11target_archE4294967295ELNS1_3gpuE0ELNS1_3repE0EEENS1_30default_config_static_selectorELNS0_4arch9wavefront6targetE0EEEvT1_,comdat
	.protected	_ZN7rocprim17ROCPRIM_400000_NS6detail17trampoline_kernelINS0_14default_configENS1_25partition_config_selectorILNS1_17partition_subalgoE5EiNS0_10empty_typeEbEEZZNS1_14partition_implILS5_5ELb0ES3_mN6thrust23THRUST_200600_302600_NS6detail15normal_iteratorINSA_10device_ptrIiEEEEPS6_NSA_18transform_iteratorINSB_9not_fun_tI7is_trueIiEEENSC_INSD_IbEEEENSA_11use_defaultESO_EENS0_5tupleIJSF_S6_EEENSQ_IJSG_SG_EEES6_PlJS6_EEE10hipError_tPvRmT3_T4_T5_T6_T7_T9_mT8_P12ihipStream_tbDpT10_ENKUlT_T0_E_clISt17integral_constantIbLb0EES1D_EEDaS18_S19_EUlS18_E_NS1_11comp_targetILNS1_3genE0ELNS1_11target_archE4294967295ELNS1_3gpuE0ELNS1_3repE0EEENS1_30default_config_static_selectorELNS0_4arch9wavefront6targetE0EEEvT1_ ; -- Begin function _ZN7rocprim17ROCPRIM_400000_NS6detail17trampoline_kernelINS0_14default_configENS1_25partition_config_selectorILNS1_17partition_subalgoE5EiNS0_10empty_typeEbEEZZNS1_14partition_implILS5_5ELb0ES3_mN6thrust23THRUST_200600_302600_NS6detail15normal_iteratorINSA_10device_ptrIiEEEEPS6_NSA_18transform_iteratorINSB_9not_fun_tI7is_trueIiEEENSC_INSD_IbEEEENSA_11use_defaultESO_EENS0_5tupleIJSF_S6_EEENSQ_IJSG_SG_EEES6_PlJS6_EEE10hipError_tPvRmT3_T4_T5_T6_T7_T9_mT8_P12ihipStream_tbDpT10_ENKUlT_T0_E_clISt17integral_constantIbLb0EES1D_EEDaS18_S19_EUlS18_E_NS1_11comp_targetILNS1_3genE0ELNS1_11target_archE4294967295ELNS1_3gpuE0ELNS1_3repE0EEENS1_30default_config_static_selectorELNS0_4arch9wavefront6targetE0EEEvT1_
	.globl	_ZN7rocprim17ROCPRIM_400000_NS6detail17trampoline_kernelINS0_14default_configENS1_25partition_config_selectorILNS1_17partition_subalgoE5EiNS0_10empty_typeEbEEZZNS1_14partition_implILS5_5ELb0ES3_mN6thrust23THRUST_200600_302600_NS6detail15normal_iteratorINSA_10device_ptrIiEEEEPS6_NSA_18transform_iteratorINSB_9not_fun_tI7is_trueIiEEENSC_INSD_IbEEEENSA_11use_defaultESO_EENS0_5tupleIJSF_S6_EEENSQ_IJSG_SG_EEES6_PlJS6_EEE10hipError_tPvRmT3_T4_T5_T6_T7_T9_mT8_P12ihipStream_tbDpT10_ENKUlT_T0_E_clISt17integral_constantIbLb0EES1D_EEDaS18_S19_EUlS18_E_NS1_11comp_targetILNS1_3genE0ELNS1_11target_archE4294967295ELNS1_3gpuE0ELNS1_3repE0EEENS1_30default_config_static_selectorELNS0_4arch9wavefront6targetE0EEEvT1_
	.p2align	8
	.type	_ZN7rocprim17ROCPRIM_400000_NS6detail17trampoline_kernelINS0_14default_configENS1_25partition_config_selectorILNS1_17partition_subalgoE5EiNS0_10empty_typeEbEEZZNS1_14partition_implILS5_5ELb0ES3_mN6thrust23THRUST_200600_302600_NS6detail15normal_iteratorINSA_10device_ptrIiEEEEPS6_NSA_18transform_iteratorINSB_9not_fun_tI7is_trueIiEEENSC_INSD_IbEEEENSA_11use_defaultESO_EENS0_5tupleIJSF_S6_EEENSQ_IJSG_SG_EEES6_PlJS6_EEE10hipError_tPvRmT3_T4_T5_T6_T7_T9_mT8_P12ihipStream_tbDpT10_ENKUlT_T0_E_clISt17integral_constantIbLb0EES1D_EEDaS18_S19_EUlS18_E_NS1_11comp_targetILNS1_3genE0ELNS1_11target_archE4294967295ELNS1_3gpuE0ELNS1_3repE0EEENS1_30default_config_static_selectorELNS0_4arch9wavefront6targetE0EEEvT1_,@function
_ZN7rocprim17ROCPRIM_400000_NS6detail17trampoline_kernelINS0_14default_configENS1_25partition_config_selectorILNS1_17partition_subalgoE5EiNS0_10empty_typeEbEEZZNS1_14partition_implILS5_5ELb0ES3_mN6thrust23THRUST_200600_302600_NS6detail15normal_iteratorINSA_10device_ptrIiEEEEPS6_NSA_18transform_iteratorINSB_9not_fun_tI7is_trueIiEEENSC_INSD_IbEEEENSA_11use_defaultESO_EENS0_5tupleIJSF_S6_EEENSQ_IJSG_SG_EEES6_PlJS6_EEE10hipError_tPvRmT3_T4_T5_T6_T7_T9_mT8_P12ihipStream_tbDpT10_ENKUlT_T0_E_clISt17integral_constantIbLb0EES1D_EEDaS18_S19_EUlS18_E_NS1_11comp_targetILNS1_3genE0ELNS1_11target_archE4294967295ELNS1_3gpuE0ELNS1_3repE0EEENS1_30default_config_static_selectorELNS0_4arch9wavefront6targetE0EEEvT1_: ; @_ZN7rocprim17ROCPRIM_400000_NS6detail17trampoline_kernelINS0_14default_configENS1_25partition_config_selectorILNS1_17partition_subalgoE5EiNS0_10empty_typeEbEEZZNS1_14partition_implILS5_5ELb0ES3_mN6thrust23THRUST_200600_302600_NS6detail15normal_iteratorINSA_10device_ptrIiEEEEPS6_NSA_18transform_iteratorINSB_9not_fun_tI7is_trueIiEEENSC_INSD_IbEEEENSA_11use_defaultESO_EENS0_5tupleIJSF_S6_EEENSQ_IJSG_SG_EEES6_PlJS6_EEE10hipError_tPvRmT3_T4_T5_T6_T7_T9_mT8_P12ihipStream_tbDpT10_ENKUlT_T0_E_clISt17integral_constantIbLb0EES1D_EEDaS18_S19_EUlS18_E_NS1_11comp_targetILNS1_3genE0ELNS1_11target_archE4294967295ELNS1_3gpuE0ELNS1_3repE0EEENS1_30default_config_static_selectorELNS0_4arch9wavefront6targetE0EEEvT1_
; %bb.0:
	.section	.rodata,"a",@progbits
	.p2align	6, 0x0
	.amdhsa_kernel _ZN7rocprim17ROCPRIM_400000_NS6detail17trampoline_kernelINS0_14default_configENS1_25partition_config_selectorILNS1_17partition_subalgoE5EiNS0_10empty_typeEbEEZZNS1_14partition_implILS5_5ELb0ES3_mN6thrust23THRUST_200600_302600_NS6detail15normal_iteratorINSA_10device_ptrIiEEEEPS6_NSA_18transform_iteratorINSB_9not_fun_tI7is_trueIiEEENSC_INSD_IbEEEENSA_11use_defaultESO_EENS0_5tupleIJSF_S6_EEENSQ_IJSG_SG_EEES6_PlJS6_EEE10hipError_tPvRmT3_T4_T5_T6_T7_T9_mT8_P12ihipStream_tbDpT10_ENKUlT_T0_E_clISt17integral_constantIbLb0EES1D_EEDaS18_S19_EUlS18_E_NS1_11comp_targetILNS1_3genE0ELNS1_11target_archE4294967295ELNS1_3gpuE0ELNS1_3repE0EEENS1_30default_config_static_selectorELNS0_4arch9wavefront6targetE0EEEvT1_
		.amdhsa_group_segment_fixed_size 0
		.amdhsa_private_segment_fixed_size 0
		.amdhsa_kernarg_size 120
		.amdhsa_user_sgpr_count 2
		.amdhsa_user_sgpr_dispatch_ptr 0
		.amdhsa_user_sgpr_queue_ptr 0
		.amdhsa_user_sgpr_kernarg_segment_ptr 1
		.amdhsa_user_sgpr_dispatch_id 0
		.amdhsa_user_sgpr_private_segment_size 0
		.amdhsa_wavefront_size32 1
		.amdhsa_uses_dynamic_stack 0
		.amdhsa_enable_private_segment 0
		.amdhsa_system_sgpr_workgroup_id_x 1
		.amdhsa_system_sgpr_workgroup_id_y 0
		.amdhsa_system_sgpr_workgroup_id_z 0
		.amdhsa_system_sgpr_workgroup_info 0
		.amdhsa_system_vgpr_workitem_id 0
		.amdhsa_next_free_vgpr 1
		.amdhsa_next_free_sgpr 1
		.amdhsa_reserve_vcc 0
		.amdhsa_float_round_mode_32 0
		.amdhsa_float_round_mode_16_64 0
		.amdhsa_float_denorm_mode_32 3
		.amdhsa_float_denorm_mode_16_64 3
		.amdhsa_fp16_overflow 0
		.amdhsa_workgroup_processor_mode 1
		.amdhsa_memory_ordered 1
		.amdhsa_forward_progress 1
		.amdhsa_inst_pref_size 0
		.amdhsa_round_robin_scheduling 0
		.amdhsa_exception_fp_ieee_invalid_op 0
		.amdhsa_exception_fp_denorm_src 0
		.amdhsa_exception_fp_ieee_div_zero 0
		.amdhsa_exception_fp_ieee_overflow 0
		.amdhsa_exception_fp_ieee_underflow 0
		.amdhsa_exception_fp_ieee_inexact 0
		.amdhsa_exception_int_div_zero 0
	.end_amdhsa_kernel
	.section	.text._ZN7rocprim17ROCPRIM_400000_NS6detail17trampoline_kernelINS0_14default_configENS1_25partition_config_selectorILNS1_17partition_subalgoE5EiNS0_10empty_typeEbEEZZNS1_14partition_implILS5_5ELb0ES3_mN6thrust23THRUST_200600_302600_NS6detail15normal_iteratorINSA_10device_ptrIiEEEEPS6_NSA_18transform_iteratorINSB_9not_fun_tI7is_trueIiEEENSC_INSD_IbEEEENSA_11use_defaultESO_EENS0_5tupleIJSF_S6_EEENSQ_IJSG_SG_EEES6_PlJS6_EEE10hipError_tPvRmT3_T4_T5_T6_T7_T9_mT8_P12ihipStream_tbDpT10_ENKUlT_T0_E_clISt17integral_constantIbLb0EES1D_EEDaS18_S19_EUlS18_E_NS1_11comp_targetILNS1_3genE0ELNS1_11target_archE4294967295ELNS1_3gpuE0ELNS1_3repE0EEENS1_30default_config_static_selectorELNS0_4arch9wavefront6targetE0EEEvT1_,"axG",@progbits,_ZN7rocprim17ROCPRIM_400000_NS6detail17trampoline_kernelINS0_14default_configENS1_25partition_config_selectorILNS1_17partition_subalgoE5EiNS0_10empty_typeEbEEZZNS1_14partition_implILS5_5ELb0ES3_mN6thrust23THRUST_200600_302600_NS6detail15normal_iteratorINSA_10device_ptrIiEEEEPS6_NSA_18transform_iteratorINSB_9not_fun_tI7is_trueIiEEENSC_INSD_IbEEEENSA_11use_defaultESO_EENS0_5tupleIJSF_S6_EEENSQ_IJSG_SG_EEES6_PlJS6_EEE10hipError_tPvRmT3_T4_T5_T6_T7_T9_mT8_P12ihipStream_tbDpT10_ENKUlT_T0_E_clISt17integral_constantIbLb0EES1D_EEDaS18_S19_EUlS18_E_NS1_11comp_targetILNS1_3genE0ELNS1_11target_archE4294967295ELNS1_3gpuE0ELNS1_3repE0EEENS1_30default_config_static_selectorELNS0_4arch9wavefront6targetE0EEEvT1_,comdat
.Lfunc_end2525:
	.size	_ZN7rocprim17ROCPRIM_400000_NS6detail17trampoline_kernelINS0_14default_configENS1_25partition_config_selectorILNS1_17partition_subalgoE5EiNS0_10empty_typeEbEEZZNS1_14partition_implILS5_5ELb0ES3_mN6thrust23THRUST_200600_302600_NS6detail15normal_iteratorINSA_10device_ptrIiEEEEPS6_NSA_18transform_iteratorINSB_9not_fun_tI7is_trueIiEEENSC_INSD_IbEEEENSA_11use_defaultESO_EENS0_5tupleIJSF_S6_EEENSQ_IJSG_SG_EEES6_PlJS6_EEE10hipError_tPvRmT3_T4_T5_T6_T7_T9_mT8_P12ihipStream_tbDpT10_ENKUlT_T0_E_clISt17integral_constantIbLb0EES1D_EEDaS18_S19_EUlS18_E_NS1_11comp_targetILNS1_3genE0ELNS1_11target_archE4294967295ELNS1_3gpuE0ELNS1_3repE0EEENS1_30default_config_static_selectorELNS0_4arch9wavefront6targetE0EEEvT1_, .Lfunc_end2525-_ZN7rocprim17ROCPRIM_400000_NS6detail17trampoline_kernelINS0_14default_configENS1_25partition_config_selectorILNS1_17partition_subalgoE5EiNS0_10empty_typeEbEEZZNS1_14partition_implILS5_5ELb0ES3_mN6thrust23THRUST_200600_302600_NS6detail15normal_iteratorINSA_10device_ptrIiEEEEPS6_NSA_18transform_iteratorINSB_9not_fun_tI7is_trueIiEEENSC_INSD_IbEEEENSA_11use_defaultESO_EENS0_5tupleIJSF_S6_EEENSQ_IJSG_SG_EEES6_PlJS6_EEE10hipError_tPvRmT3_T4_T5_T6_T7_T9_mT8_P12ihipStream_tbDpT10_ENKUlT_T0_E_clISt17integral_constantIbLb0EES1D_EEDaS18_S19_EUlS18_E_NS1_11comp_targetILNS1_3genE0ELNS1_11target_archE4294967295ELNS1_3gpuE0ELNS1_3repE0EEENS1_30default_config_static_selectorELNS0_4arch9wavefront6targetE0EEEvT1_
                                        ; -- End function
	.set _ZN7rocprim17ROCPRIM_400000_NS6detail17trampoline_kernelINS0_14default_configENS1_25partition_config_selectorILNS1_17partition_subalgoE5EiNS0_10empty_typeEbEEZZNS1_14partition_implILS5_5ELb0ES3_mN6thrust23THRUST_200600_302600_NS6detail15normal_iteratorINSA_10device_ptrIiEEEEPS6_NSA_18transform_iteratorINSB_9not_fun_tI7is_trueIiEEENSC_INSD_IbEEEENSA_11use_defaultESO_EENS0_5tupleIJSF_S6_EEENSQ_IJSG_SG_EEES6_PlJS6_EEE10hipError_tPvRmT3_T4_T5_T6_T7_T9_mT8_P12ihipStream_tbDpT10_ENKUlT_T0_E_clISt17integral_constantIbLb0EES1D_EEDaS18_S19_EUlS18_E_NS1_11comp_targetILNS1_3genE0ELNS1_11target_archE4294967295ELNS1_3gpuE0ELNS1_3repE0EEENS1_30default_config_static_selectorELNS0_4arch9wavefront6targetE0EEEvT1_.num_vgpr, 0
	.set _ZN7rocprim17ROCPRIM_400000_NS6detail17trampoline_kernelINS0_14default_configENS1_25partition_config_selectorILNS1_17partition_subalgoE5EiNS0_10empty_typeEbEEZZNS1_14partition_implILS5_5ELb0ES3_mN6thrust23THRUST_200600_302600_NS6detail15normal_iteratorINSA_10device_ptrIiEEEEPS6_NSA_18transform_iteratorINSB_9not_fun_tI7is_trueIiEEENSC_INSD_IbEEEENSA_11use_defaultESO_EENS0_5tupleIJSF_S6_EEENSQ_IJSG_SG_EEES6_PlJS6_EEE10hipError_tPvRmT3_T4_T5_T6_T7_T9_mT8_P12ihipStream_tbDpT10_ENKUlT_T0_E_clISt17integral_constantIbLb0EES1D_EEDaS18_S19_EUlS18_E_NS1_11comp_targetILNS1_3genE0ELNS1_11target_archE4294967295ELNS1_3gpuE0ELNS1_3repE0EEENS1_30default_config_static_selectorELNS0_4arch9wavefront6targetE0EEEvT1_.num_agpr, 0
	.set _ZN7rocprim17ROCPRIM_400000_NS6detail17trampoline_kernelINS0_14default_configENS1_25partition_config_selectorILNS1_17partition_subalgoE5EiNS0_10empty_typeEbEEZZNS1_14partition_implILS5_5ELb0ES3_mN6thrust23THRUST_200600_302600_NS6detail15normal_iteratorINSA_10device_ptrIiEEEEPS6_NSA_18transform_iteratorINSB_9not_fun_tI7is_trueIiEEENSC_INSD_IbEEEENSA_11use_defaultESO_EENS0_5tupleIJSF_S6_EEENSQ_IJSG_SG_EEES6_PlJS6_EEE10hipError_tPvRmT3_T4_T5_T6_T7_T9_mT8_P12ihipStream_tbDpT10_ENKUlT_T0_E_clISt17integral_constantIbLb0EES1D_EEDaS18_S19_EUlS18_E_NS1_11comp_targetILNS1_3genE0ELNS1_11target_archE4294967295ELNS1_3gpuE0ELNS1_3repE0EEENS1_30default_config_static_selectorELNS0_4arch9wavefront6targetE0EEEvT1_.numbered_sgpr, 0
	.set _ZN7rocprim17ROCPRIM_400000_NS6detail17trampoline_kernelINS0_14default_configENS1_25partition_config_selectorILNS1_17partition_subalgoE5EiNS0_10empty_typeEbEEZZNS1_14partition_implILS5_5ELb0ES3_mN6thrust23THRUST_200600_302600_NS6detail15normal_iteratorINSA_10device_ptrIiEEEEPS6_NSA_18transform_iteratorINSB_9not_fun_tI7is_trueIiEEENSC_INSD_IbEEEENSA_11use_defaultESO_EENS0_5tupleIJSF_S6_EEENSQ_IJSG_SG_EEES6_PlJS6_EEE10hipError_tPvRmT3_T4_T5_T6_T7_T9_mT8_P12ihipStream_tbDpT10_ENKUlT_T0_E_clISt17integral_constantIbLb0EES1D_EEDaS18_S19_EUlS18_E_NS1_11comp_targetILNS1_3genE0ELNS1_11target_archE4294967295ELNS1_3gpuE0ELNS1_3repE0EEENS1_30default_config_static_selectorELNS0_4arch9wavefront6targetE0EEEvT1_.num_named_barrier, 0
	.set _ZN7rocprim17ROCPRIM_400000_NS6detail17trampoline_kernelINS0_14default_configENS1_25partition_config_selectorILNS1_17partition_subalgoE5EiNS0_10empty_typeEbEEZZNS1_14partition_implILS5_5ELb0ES3_mN6thrust23THRUST_200600_302600_NS6detail15normal_iteratorINSA_10device_ptrIiEEEEPS6_NSA_18transform_iteratorINSB_9not_fun_tI7is_trueIiEEENSC_INSD_IbEEEENSA_11use_defaultESO_EENS0_5tupleIJSF_S6_EEENSQ_IJSG_SG_EEES6_PlJS6_EEE10hipError_tPvRmT3_T4_T5_T6_T7_T9_mT8_P12ihipStream_tbDpT10_ENKUlT_T0_E_clISt17integral_constantIbLb0EES1D_EEDaS18_S19_EUlS18_E_NS1_11comp_targetILNS1_3genE0ELNS1_11target_archE4294967295ELNS1_3gpuE0ELNS1_3repE0EEENS1_30default_config_static_selectorELNS0_4arch9wavefront6targetE0EEEvT1_.private_seg_size, 0
	.set _ZN7rocprim17ROCPRIM_400000_NS6detail17trampoline_kernelINS0_14default_configENS1_25partition_config_selectorILNS1_17partition_subalgoE5EiNS0_10empty_typeEbEEZZNS1_14partition_implILS5_5ELb0ES3_mN6thrust23THRUST_200600_302600_NS6detail15normal_iteratorINSA_10device_ptrIiEEEEPS6_NSA_18transform_iteratorINSB_9not_fun_tI7is_trueIiEEENSC_INSD_IbEEEENSA_11use_defaultESO_EENS0_5tupleIJSF_S6_EEENSQ_IJSG_SG_EEES6_PlJS6_EEE10hipError_tPvRmT3_T4_T5_T6_T7_T9_mT8_P12ihipStream_tbDpT10_ENKUlT_T0_E_clISt17integral_constantIbLb0EES1D_EEDaS18_S19_EUlS18_E_NS1_11comp_targetILNS1_3genE0ELNS1_11target_archE4294967295ELNS1_3gpuE0ELNS1_3repE0EEENS1_30default_config_static_selectorELNS0_4arch9wavefront6targetE0EEEvT1_.uses_vcc, 0
	.set _ZN7rocprim17ROCPRIM_400000_NS6detail17trampoline_kernelINS0_14default_configENS1_25partition_config_selectorILNS1_17partition_subalgoE5EiNS0_10empty_typeEbEEZZNS1_14partition_implILS5_5ELb0ES3_mN6thrust23THRUST_200600_302600_NS6detail15normal_iteratorINSA_10device_ptrIiEEEEPS6_NSA_18transform_iteratorINSB_9not_fun_tI7is_trueIiEEENSC_INSD_IbEEEENSA_11use_defaultESO_EENS0_5tupleIJSF_S6_EEENSQ_IJSG_SG_EEES6_PlJS6_EEE10hipError_tPvRmT3_T4_T5_T6_T7_T9_mT8_P12ihipStream_tbDpT10_ENKUlT_T0_E_clISt17integral_constantIbLb0EES1D_EEDaS18_S19_EUlS18_E_NS1_11comp_targetILNS1_3genE0ELNS1_11target_archE4294967295ELNS1_3gpuE0ELNS1_3repE0EEENS1_30default_config_static_selectorELNS0_4arch9wavefront6targetE0EEEvT1_.uses_flat_scratch, 0
	.set _ZN7rocprim17ROCPRIM_400000_NS6detail17trampoline_kernelINS0_14default_configENS1_25partition_config_selectorILNS1_17partition_subalgoE5EiNS0_10empty_typeEbEEZZNS1_14partition_implILS5_5ELb0ES3_mN6thrust23THRUST_200600_302600_NS6detail15normal_iteratorINSA_10device_ptrIiEEEEPS6_NSA_18transform_iteratorINSB_9not_fun_tI7is_trueIiEEENSC_INSD_IbEEEENSA_11use_defaultESO_EENS0_5tupleIJSF_S6_EEENSQ_IJSG_SG_EEES6_PlJS6_EEE10hipError_tPvRmT3_T4_T5_T6_T7_T9_mT8_P12ihipStream_tbDpT10_ENKUlT_T0_E_clISt17integral_constantIbLb0EES1D_EEDaS18_S19_EUlS18_E_NS1_11comp_targetILNS1_3genE0ELNS1_11target_archE4294967295ELNS1_3gpuE0ELNS1_3repE0EEENS1_30default_config_static_selectorELNS0_4arch9wavefront6targetE0EEEvT1_.has_dyn_sized_stack, 0
	.set _ZN7rocprim17ROCPRIM_400000_NS6detail17trampoline_kernelINS0_14default_configENS1_25partition_config_selectorILNS1_17partition_subalgoE5EiNS0_10empty_typeEbEEZZNS1_14partition_implILS5_5ELb0ES3_mN6thrust23THRUST_200600_302600_NS6detail15normal_iteratorINSA_10device_ptrIiEEEEPS6_NSA_18transform_iteratorINSB_9not_fun_tI7is_trueIiEEENSC_INSD_IbEEEENSA_11use_defaultESO_EENS0_5tupleIJSF_S6_EEENSQ_IJSG_SG_EEES6_PlJS6_EEE10hipError_tPvRmT3_T4_T5_T6_T7_T9_mT8_P12ihipStream_tbDpT10_ENKUlT_T0_E_clISt17integral_constantIbLb0EES1D_EEDaS18_S19_EUlS18_E_NS1_11comp_targetILNS1_3genE0ELNS1_11target_archE4294967295ELNS1_3gpuE0ELNS1_3repE0EEENS1_30default_config_static_selectorELNS0_4arch9wavefront6targetE0EEEvT1_.has_recursion, 0
	.set _ZN7rocprim17ROCPRIM_400000_NS6detail17trampoline_kernelINS0_14default_configENS1_25partition_config_selectorILNS1_17partition_subalgoE5EiNS0_10empty_typeEbEEZZNS1_14partition_implILS5_5ELb0ES3_mN6thrust23THRUST_200600_302600_NS6detail15normal_iteratorINSA_10device_ptrIiEEEEPS6_NSA_18transform_iteratorINSB_9not_fun_tI7is_trueIiEEENSC_INSD_IbEEEENSA_11use_defaultESO_EENS0_5tupleIJSF_S6_EEENSQ_IJSG_SG_EEES6_PlJS6_EEE10hipError_tPvRmT3_T4_T5_T6_T7_T9_mT8_P12ihipStream_tbDpT10_ENKUlT_T0_E_clISt17integral_constantIbLb0EES1D_EEDaS18_S19_EUlS18_E_NS1_11comp_targetILNS1_3genE0ELNS1_11target_archE4294967295ELNS1_3gpuE0ELNS1_3repE0EEENS1_30default_config_static_selectorELNS0_4arch9wavefront6targetE0EEEvT1_.has_indirect_call, 0
	.section	.AMDGPU.csdata,"",@progbits
; Kernel info:
; codeLenInByte = 0
; TotalNumSgprs: 0
; NumVgprs: 0
; ScratchSize: 0
; MemoryBound: 0
; FloatMode: 240
; IeeeMode: 1
; LDSByteSize: 0 bytes/workgroup (compile time only)
; SGPRBlocks: 0
; VGPRBlocks: 0
; NumSGPRsForWavesPerEU: 1
; NumVGPRsForWavesPerEU: 1
; Occupancy: 16
; WaveLimiterHint : 0
; COMPUTE_PGM_RSRC2:SCRATCH_EN: 0
; COMPUTE_PGM_RSRC2:USER_SGPR: 2
; COMPUTE_PGM_RSRC2:TRAP_HANDLER: 0
; COMPUTE_PGM_RSRC2:TGID_X_EN: 1
; COMPUTE_PGM_RSRC2:TGID_Y_EN: 0
; COMPUTE_PGM_RSRC2:TGID_Z_EN: 0
; COMPUTE_PGM_RSRC2:TIDIG_COMP_CNT: 0
	.section	.text._ZN7rocprim17ROCPRIM_400000_NS6detail17trampoline_kernelINS0_14default_configENS1_25partition_config_selectorILNS1_17partition_subalgoE5EiNS0_10empty_typeEbEEZZNS1_14partition_implILS5_5ELb0ES3_mN6thrust23THRUST_200600_302600_NS6detail15normal_iteratorINSA_10device_ptrIiEEEEPS6_NSA_18transform_iteratorINSB_9not_fun_tI7is_trueIiEEENSC_INSD_IbEEEENSA_11use_defaultESO_EENS0_5tupleIJSF_S6_EEENSQ_IJSG_SG_EEES6_PlJS6_EEE10hipError_tPvRmT3_T4_T5_T6_T7_T9_mT8_P12ihipStream_tbDpT10_ENKUlT_T0_E_clISt17integral_constantIbLb0EES1D_EEDaS18_S19_EUlS18_E_NS1_11comp_targetILNS1_3genE5ELNS1_11target_archE942ELNS1_3gpuE9ELNS1_3repE0EEENS1_30default_config_static_selectorELNS0_4arch9wavefront6targetE0EEEvT1_,"axG",@progbits,_ZN7rocprim17ROCPRIM_400000_NS6detail17trampoline_kernelINS0_14default_configENS1_25partition_config_selectorILNS1_17partition_subalgoE5EiNS0_10empty_typeEbEEZZNS1_14partition_implILS5_5ELb0ES3_mN6thrust23THRUST_200600_302600_NS6detail15normal_iteratorINSA_10device_ptrIiEEEEPS6_NSA_18transform_iteratorINSB_9not_fun_tI7is_trueIiEEENSC_INSD_IbEEEENSA_11use_defaultESO_EENS0_5tupleIJSF_S6_EEENSQ_IJSG_SG_EEES6_PlJS6_EEE10hipError_tPvRmT3_T4_T5_T6_T7_T9_mT8_P12ihipStream_tbDpT10_ENKUlT_T0_E_clISt17integral_constantIbLb0EES1D_EEDaS18_S19_EUlS18_E_NS1_11comp_targetILNS1_3genE5ELNS1_11target_archE942ELNS1_3gpuE9ELNS1_3repE0EEENS1_30default_config_static_selectorELNS0_4arch9wavefront6targetE0EEEvT1_,comdat
	.protected	_ZN7rocprim17ROCPRIM_400000_NS6detail17trampoline_kernelINS0_14default_configENS1_25partition_config_selectorILNS1_17partition_subalgoE5EiNS0_10empty_typeEbEEZZNS1_14partition_implILS5_5ELb0ES3_mN6thrust23THRUST_200600_302600_NS6detail15normal_iteratorINSA_10device_ptrIiEEEEPS6_NSA_18transform_iteratorINSB_9not_fun_tI7is_trueIiEEENSC_INSD_IbEEEENSA_11use_defaultESO_EENS0_5tupleIJSF_S6_EEENSQ_IJSG_SG_EEES6_PlJS6_EEE10hipError_tPvRmT3_T4_T5_T6_T7_T9_mT8_P12ihipStream_tbDpT10_ENKUlT_T0_E_clISt17integral_constantIbLb0EES1D_EEDaS18_S19_EUlS18_E_NS1_11comp_targetILNS1_3genE5ELNS1_11target_archE942ELNS1_3gpuE9ELNS1_3repE0EEENS1_30default_config_static_selectorELNS0_4arch9wavefront6targetE0EEEvT1_ ; -- Begin function _ZN7rocprim17ROCPRIM_400000_NS6detail17trampoline_kernelINS0_14default_configENS1_25partition_config_selectorILNS1_17partition_subalgoE5EiNS0_10empty_typeEbEEZZNS1_14partition_implILS5_5ELb0ES3_mN6thrust23THRUST_200600_302600_NS6detail15normal_iteratorINSA_10device_ptrIiEEEEPS6_NSA_18transform_iteratorINSB_9not_fun_tI7is_trueIiEEENSC_INSD_IbEEEENSA_11use_defaultESO_EENS0_5tupleIJSF_S6_EEENSQ_IJSG_SG_EEES6_PlJS6_EEE10hipError_tPvRmT3_T4_T5_T6_T7_T9_mT8_P12ihipStream_tbDpT10_ENKUlT_T0_E_clISt17integral_constantIbLb0EES1D_EEDaS18_S19_EUlS18_E_NS1_11comp_targetILNS1_3genE5ELNS1_11target_archE942ELNS1_3gpuE9ELNS1_3repE0EEENS1_30default_config_static_selectorELNS0_4arch9wavefront6targetE0EEEvT1_
	.globl	_ZN7rocprim17ROCPRIM_400000_NS6detail17trampoline_kernelINS0_14default_configENS1_25partition_config_selectorILNS1_17partition_subalgoE5EiNS0_10empty_typeEbEEZZNS1_14partition_implILS5_5ELb0ES3_mN6thrust23THRUST_200600_302600_NS6detail15normal_iteratorINSA_10device_ptrIiEEEEPS6_NSA_18transform_iteratorINSB_9not_fun_tI7is_trueIiEEENSC_INSD_IbEEEENSA_11use_defaultESO_EENS0_5tupleIJSF_S6_EEENSQ_IJSG_SG_EEES6_PlJS6_EEE10hipError_tPvRmT3_T4_T5_T6_T7_T9_mT8_P12ihipStream_tbDpT10_ENKUlT_T0_E_clISt17integral_constantIbLb0EES1D_EEDaS18_S19_EUlS18_E_NS1_11comp_targetILNS1_3genE5ELNS1_11target_archE942ELNS1_3gpuE9ELNS1_3repE0EEENS1_30default_config_static_selectorELNS0_4arch9wavefront6targetE0EEEvT1_
	.p2align	8
	.type	_ZN7rocprim17ROCPRIM_400000_NS6detail17trampoline_kernelINS0_14default_configENS1_25partition_config_selectorILNS1_17partition_subalgoE5EiNS0_10empty_typeEbEEZZNS1_14partition_implILS5_5ELb0ES3_mN6thrust23THRUST_200600_302600_NS6detail15normal_iteratorINSA_10device_ptrIiEEEEPS6_NSA_18transform_iteratorINSB_9not_fun_tI7is_trueIiEEENSC_INSD_IbEEEENSA_11use_defaultESO_EENS0_5tupleIJSF_S6_EEENSQ_IJSG_SG_EEES6_PlJS6_EEE10hipError_tPvRmT3_T4_T5_T6_T7_T9_mT8_P12ihipStream_tbDpT10_ENKUlT_T0_E_clISt17integral_constantIbLb0EES1D_EEDaS18_S19_EUlS18_E_NS1_11comp_targetILNS1_3genE5ELNS1_11target_archE942ELNS1_3gpuE9ELNS1_3repE0EEENS1_30default_config_static_selectorELNS0_4arch9wavefront6targetE0EEEvT1_,@function
_ZN7rocprim17ROCPRIM_400000_NS6detail17trampoline_kernelINS0_14default_configENS1_25partition_config_selectorILNS1_17partition_subalgoE5EiNS0_10empty_typeEbEEZZNS1_14partition_implILS5_5ELb0ES3_mN6thrust23THRUST_200600_302600_NS6detail15normal_iteratorINSA_10device_ptrIiEEEEPS6_NSA_18transform_iteratorINSB_9not_fun_tI7is_trueIiEEENSC_INSD_IbEEEENSA_11use_defaultESO_EENS0_5tupleIJSF_S6_EEENSQ_IJSG_SG_EEES6_PlJS6_EEE10hipError_tPvRmT3_T4_T5_T6_T7_T9_mT8_P12ihipStream_tbDpT10_ENKUlT_T0_E_clISt17integral_constantIbLb0EES1D_EEDaS18_S19_EUlS18_E_NS1_11comp_targetILNS1_3genE5ELNS1_11target_archE942ELNS1_3gpuE9ELNS1_3repE0EEENS1_30default_config_static_selectorELNS0_4arch9wavefront6targetE0EEEvT1_: ; @_ZN7rocprim17ROCPRIM_400000_NS6detail17trampoline_kernelINS0_14default_configENS1_25partition_config_selectorILNS1_17partition_subalgoE5EiNS0_10empty_typeEbEEZZNS1_14partition_implILS5_5ELb0ES3_mN6thrust23THRUST_200600_302600_NS6detail15normal_iteratorINSA_10device_ptrIiEEEEPS6_NSA_18transform_iteratorINSB_9not_fun_tI7is_trueIiEEENSC_INSD_IbEEEENSA_11use_defaultESO_EENS0_5tupleIJSF_S6_EEENSQ_IJSG_SG_EEES6_PlJS6_EEE10hipError_tPvRmT3_T4_T5_T6_T7_T9_mT8_P12ihipStream_tbDpT10_ENKUlT_T0_E_clISt17integral_constantIbLb0EES1D_EEDaS18_S19_EUlS18_E_NS1_11comp_targetILNS1_3genE5ELNS1_11target_archE942ELNS1_3gpuE9ELNS1_3repE0EEENS1_30default_config_static_selectorELNS0_4arch9wavefront6targetE0EEEvT1_
; %bb.0:
	.section	.rodata,"a",@progbits
	.p2align	6, 0x0
	.amdhsa_kernel _ZN7rocprim17ROCPRIM_400000_NS6detail17trampoline_kernelINS0_14default_configENS1_25partition_config_selectorILNS1_17partition_subalgoE5EiNS0_10empty_typeEbEEZZNS1_14partition_implILS5_5ELb0ES3_mN6thrust23THRUST_200600_302600_NS6detail15normal_iteratorINSA_10device_ptrIiEEEEPS6_NSA_18transform_iteratorINSB_9not_fun_tI7is_trueIiEEENSC_INSD_IbEEEENSA_11use_defaultESO_EENS0_5tupleIJSF_S6_EEENSQ_IJSG_SG_EEES6_PlJS6_EEE10hipError_tPvRmT3_T4_T5_T6_T7_T9_mT8_P12ihipStream_tbDpT10_ENKUlT_T0_E_clISt17integral_constantIbLb0EES1D_EEDaS18_S19_EUlS18_E_NS1_11comp_targetILNS1_3genE5ELNS1_11target_archE942ELNS1_3gpuE9ELNS1_3repE0EEENS1_30default_config_static_selectorELNS0_4arch9wavefront6targetE0EEEvT1_
		.amdhsa_group_segment_fixed_size 0
		.amdhsa_private_segment_fixed_size 0
		.amdhsa_kernarg_size 120
		.amdhsa_user_sgpr_count 2
		.amdhsa_user_sgpr_dispatch_ptr 0
		.amdhsa_user_sgpr_queue_ptr 0
		.amdhsa_user_sgpr_kernarg_segment_ptr 1
		.amdhsa_user_sgpr_dispatch_id 0
		.amdhsa_user_sgpr_private_segment_size 0
		.amdhsa_wavefront_size32 1
		.amdhsa_uses_dynamic_stack 0
		.amdhsa_enable_private_segment 0
		.amdhsa_system_sgpr_workgroup_id_x 1
		.amdhsa_system_sgpr_workgroup_id_y 0
		.amdhsa_system_sgpr_workgroup_id_z 0
		.amdhsa_system_sgpr_workgroup_info 0
		.amdhsa_system_vgpr_workitem_id 0
		.amdhsa_next_free_vgpr 1
		.amdhsa_next_free_sgpr 1
		.amdhsa_reserve_vcc 0
		.amdhsa_float_round_mode_32 0
		.amdhsa_float_round_mode_16_64 0
		.amdhsa_float_denorm_mode_32 3
		.amdhsa_float_denorm_mode_16_64 3
		.amdhsa_fp16_overflow 0
		.amdhsa_workgroup_processor_mode 1
		.amdhsa_memory_ordered 1
		.amdhsa_forward_progress 1
		.amdhsa_inst_pref_size 0
		.amdhsa_round_robin_scheduling 0
		.amdhsa_exception_fp_ieee_invalid_op 0
		.amdhsa_exception_fp_denorm_src 0
		.amdhsa_exception_fp_ieee_div_zero 0
		.amdhsa_exception_fp_ieee_overflow 0
		.amdhsa_exception_fp_ieee_underflow 0
		.amdhsa_exception_fp_ieee_inexact 0
		.amdhsa_exception_int_div_zero 0
	.end_amdhsa_kernel
	.section	.text._ZN7rocprim17ROCPRIM_400000_NS6detail17trampoline_kernelINS0_14default_configENS1_25partition_config_selectorILNS1_17partition_subalgoE5EiNS0_10empty_typeEbEEZZNS1_14partition_implILS5_5ELb0ES3_mN6thrust23THRUST_200600_302600_NS6detail15normal_iteratorINSA_10device_ptrIiEEEEPS6_NSA_18transform_iteratorINSB_9not_fun_tI7is_trueIiEEENSC_INSD_IbEEEENSA_11use_defaultESO_EENS0_5tupleIJSF_S6_EEENSQ_IJSG_SG_EEES6_PlJS6_EEE10hipError_tPvRmT3_T4_T5_T6_T7_T9_mT8_P12ihipStream_tbDpT10_ENKUlT_T0_E_clISt17integral_constantIbLb0EES1D_EEDaS18_S19_EUlS18_E_NS1_11comp_targetILNS1_3genE5ELNS1_11target_archE942ELNS1_3gpuE9ELNS1_3repE0EEENS1_30default_config_static_selectorELNS0_4arch9wavefront6targetE0EEEvT1_,"axG",@progbits,_ZN7rocprim17ROCPRIM_400000_NS6detail17trampoline_kernelINS0_14default_configENS1_25partition_config_selectorILNS1_17partition_subalgoE5EiNS0_10empty_typeEbEEZZNS1_14partition_implILS5_5ELb0ES3_mN6thrust23THRUST_200600_302600_NS6detail15normal_iteratorINSA_10device_ptrIiEEEEPS6_NSA_18transform_iteratorINSB_9not_fun_tI7is_trueIiEEENSC_INSD_IbEEEENSA_11use_defaultESO_EENS0_5tupleIJSF_S6_EEENSQ_IJSG_SG_EEES6_PlJS6_EEE10hipError_tPvRmT3_T4_T5_T6_T7_T9_mT8_P12ihipStream_tbDpT10_ENKUlT_T0_E_clISt17integral_constantIbLb0EES1D_EEDaS18_S19_EUlS18_E_NS1_11comp_targetILNS1_3genE5ELNS1_11target_archE942ELNS1_3gpuE9ELNS1_3repE0EEENS1_30default_config_static_selectorELNS0_4arch9wavefront6targetE0EEEvT1_,comdat
.Lfunc_end2526:
	.size	_ZN7rocprim17ROCPRIM_400000_NS6detail17trampoline_kernelINS0_14default_configENS1_25partition_config_selectorILNS1_17partition_subalgoE5EiNS0_10empty_typeEbEEZZNS1_14partition_implILS5_5ELb0ES3_mN6thrust23THRUST_200600_302600_NS6detail15normal_iteratorINSA_10device_ptrIiEEEEPS6_NSA_18transform_iteratorINSB_9not_fun_tI7is_trueIiEEENSC_INSD_IbEEEENSA_11use_defaultESO_EENS0_5tupleIJSF_S6_EEENSQ_IJSG_SG_EEES6_PlJS6_EEE10hipError_tPvRmT3_T4_T5_T6_T7_T9_mT8_P12ihipStream_tbDpT10_ENKUlT_T0_E_clISt17integral_constantIbLb0EES1D_EEDaS18_S19_EUlS18_E_NS1_11comp_targetILNS1_3genE5ELNS1_11target_archE942ELNS1_3gpuE9ELNS1_3repE0EEENS1_30default_config_static_selectorELNS0_4arch9wavefront6targetE0EEEvT1_, .Lfunc_end2526-_ZN7rocprim17ROCPRIM_400000_NS6detail17trampoline_kernelINS0_14default_configENS1_25partition_config_selectorILNS1_17partition_subalgoE5EiNS0_10empty_typeEbEEZZNS1_14partition_implILS5_5ELb0ES3_mN6thrust23THRUST_200600_302600_NS6detail15normal_iteratorINSA_10device_ptrIiEEEEPS6_NSA_18transform_iteratorINSB_9not_fun_tI7is_trueIiEEENSC_INSD_IbEEEENSA_11use_defaultESO_EENS0_5tupleIJSF_S6_EEENSQ_IJSG_SG_EEES6_PlJS6_EEE10hipError_tPvRmT3_T4_T5_T6_T7_T9_mT8_P12ihipStream_tbDpT10_ENKUlT_T0_E_clISt17integral_constantIbLb0EES1D_EEDaS18_S19_EUlS18_E_NS1_11comp_targetILNS1_3genE5ELNS1_11target_archE942ELNS1_3gpuE9ELNS1_3repE0EEENS1_30default_config_static_selectorELNS0_4arch9wavefront6targetE0EEEvT1_
                                        ; -- End function
	.set _ZN7rocprim17ROCPRIM_400000_NS6detail17trampoline_kernelINS0_14default_configENS1_25partition_config_selectorILNS1_17partition_subalgoE5EiNS0_10empty_typeEbEEZZNS1_14partition_implILS5_5ELb0ES3_mN6thrust23THRUST_200600_302600_NS6detail15normal_iteratorINSA_10device_ptrIiEEEEPS6_NSA_18transform_iteratorINSB_9not_fun_tI7is_trueIiEEENSC_INSD_IbEEEENSA_11use_defaultESO_EENS0_5tupleIJSF_S6_EEENSQ_IJSG_SG_EEES6_PlJS6_EEE10hipError_tPvRmT3_T4_T5_T6_T7_T9_mT8_P12ihipStream_tbDpT10_ENKUlT_T0_E_clISt17integral_constantIbLb0EES1D_EEDaS18_S19_EUlS18_E_NS1_11comp_targetILNS1_3genE5ELNS1_11target_archE942ELNS1_3gpuE9ELNS1_3repE0EEENS1_30default_config_static_selectorELNS0_4arch9wavefront6targetE0EEEvT1_.num_vgpr, 0
	.set _ZN7rocprim17ROCPRIM_400000_NS6detail17trampoline_kernelINS0_14default_configENS1_25partition_config_selectorILNS1_17partition_subalgoE5EiNS0_10empty_typeEbEEZZNS1_14partition_implILS5_5ELb0ES3_mN6thrust23THRUST_200600_302600_NS6detail15normal_iteratorINSA_10device_ptrIiEEEEPS6_NSA_18transform_iteratorINSB_9not_fun_tI7is_trueIiEEENSC_INSD_IbEEEENSA_11use_defaultESO_EENS0_5tupleIJSF_S6_EEENSQ_IJSG_SG_EEES6_PlJS6_EEE10hipError_tPvRmT3_T4_T5_T6_T7_T9_mT8_P12ihipStream_tbDpT10_ENKUlT_T0_E_clISt17integral_constantIbLb0EES1D_EEDaS18_S19_EUlS18_E_NS1_11comp_targetILNS1_3genE5ELNS1_11target_archE942ELNS1_3gpuE9ELNS1_3repE0EEENS1_30default_config_static_selectorELNS0_4arch9wavefront6targetE0EEEvT1_.num_agpr, 0
	.set _ZN7rocprim17ROCPRIM_400000_NS6detail17trampoline_kernelINS0_14default_configENS1_25partition_config_selectorILNS1_17partition_subalgoE5EiNS0_10empty_typeEbEEZZNS1_14partition_implILS5_5ELb0ES3_mN6thrust23THRUST_200600_302600_NS6detail15normal_iteratorINSA_10device_ptrIiEEEEPS6_NSA_18transform_iteratorINSB_9not_fun_tI7is_trueIiEEENSC_INSD_IbEEEENSA_11use_defaultESO_EENS0_5tupleIJSF_S6_EEENSQ_IJSG_SG_EEES6_PlJS6_EEE10hipError_tPvRmT3_T4_T5_T6_T7_T9_mT8_P12ihipStream_tbDpT10_ENKUlT_T0_E_clISt17integral_constantIbLb0EES1D_EEDaS18_S19_EUlS18_E_NS1_11comp_targetILNS1_3genE5ELNS1_11target_archE942ELNS1_3gpuE9ELNS1_3repE0EEENS1_30default_config_static_selectorELNS0_4arch9wavefront6targetE0EEEvT1_.numbered_sgpr, 0
	.set _ZN7rocprim17ROCPRIM_400000_NS6detail17trampoline_kernelINS0_14default_configENS1_25partition_config_selectorILNS1_17partition_subalgoE5EiNS0_10empty_typeEbEEZZNS1_14partition_implILS5_5ELb0ES3_mN6thrust23THRUST_200600_302600_NS6detail15normal_iteratorINSA_10device_ptrIiEEEEPS6_NSA_18transform_iteratorINSB_9not_fun_tI7is_trueIiEEENSC_INSD_IbEEEENSA_11use_defaultESO_EENS0_5tupleIJSF_S6_EEENSQ_IJSG_SG_EEES6_PlJS6_EEE10hipError_tPvRmT3_T4_T5_T6_T7_T9_mT8_P12ihipStream_tbDpT10_ENKUlT_T0_E_clISt17integral_constantIbLb0EES1D_EEDaS18_S19_EUlS18_E_NS1_11comp_targetILNS1_3genE5ELNS1_11target_archE942ELNS1_3gpuE9ELNS1_3repE0EEENS1_30default_config_static_selectorELNS0_4arch9wavefront6targetE0EEEvT1_.num_named_barrier, 0
	.set _ZN7rocprim17ROCPRIM_400000_NS6detail17trampoline_kernelINS0_14default_configENS1_25partition_config_selectorILNS1_17partition_subalgoE5EiNS0_10empty_typeEbEEZZNS1_14partition_implILS5_5ELb0ES3_mN6thrust23THRUST_200600_302600_NS6detail15normal_iteratorINSA_10device_ptrIiEEEEPS6_NSA_18transform_iteratorINSB_9not_fun_tI7is_trueIiEEENSC_INSD_IbEEEENSA_11use_defaultESO_EENS0_5tupleIJSF_S6_EEENSQ_IJSG_SG_EEES6_PlJS6_EEE10hipError_tPvRmT3_T4_T5_T6_T7_T9_mT8_P12ihipStream_tbDpT10_ENKUlT_T0_E_clISt17integral_constantIbLb0EES1D_EEDaS18_S19_EUlS18_E_NS1_11comp_targetILNS1_3genE5ELNS1_11target_archE942ELNS1_3gpuE9ELNS1_3repE0EEENS1_30default_config_static_selectorELNS0_4arch9wavefront6targetE0EEEvT1_.private_seg_size, 0
	.set _ZN7rocprim17ROCPRIM_400000_NS6detail17trampoline_kernelINS0_14default_configENS1_25partition_config_selectorILNS1_17partition_subalgoE5EiNS0_10empty_typeEbEEZZNS1_14partition_implILS5_5ELb0ES3_mN6thrust23THRUST_200600_302600_NS6detail15normal_iteratorINSA_10device_ptrIiEEEEPS6_NSA_18transform_iteratorINSB_9not_fun_tI7is_trueIiEEENSC_INSD_IbEEEENSA_11use_defaultESO_EENS0_5tupleIJSF_S6_EEENSQ_IJSG_SG_EEES6_PlJS6_EEE10hipError_tPvRmT3_T4_T5_T6_T7_T9_mT8_P12ihipStream_tbDpT10_ENKUlT_T0_E_clISt17integral_constantIbLb0EES1D_EEDaS18_S19_EUlS18_E_NS1_11comp_targetILNS1_3genE5ELNS1_11target_archE942ELNS1_3gpuE9ELNS1_3repE0EEENS1_30default_config_static_selectorELNS0_4arch9wavefront6targetE0EEEvT1_.uses_vcc, 0
	.set _ZN7rocprim17ROCPRIM_400000_NS6detail17trampoline_kernelINS0_14default_configENS1_25partition_config_selectorILNS1_17partition_subalgoE5EiNS0_10empty_typeEbEEZZNS1_14partition_implILS5_5ELb0ES3_mN6thrust23THRUST_200600_302600_NS6detail15normal_iteratorINSA_10device_ptrIiEEEEPS6_NSA_18transform_iteratorINSB_9not_fun_tI7is_trueIiEEENSC_INSD_IbEEEENSA_11use_defaultESO_EENS0_5tupleIJSF_S6_EEENSQ_IJSG_SG_EEES6_PlJS6_EEE10hipError_tPvRmT3_T4_T5_T6_T7_T9_mT8_P12ihipStream_tbDpT10_ENKUlT_T0_E_clISt17integral_constantIbLb0EES1D_EEDaS18_S19_EUlS18_E_NS1_11comp_targetILNS1_3genE5ELNS1_11target_archE942ELNS1_3gpuE9ELNS1_3repE0EEENS1_30default_config_static_selectorELNS0_4arch9wavefront6targetE0EEEvT1_.uses_flat_scratch, 0
	.set _ZN7rocprim17ROCPRIM_400000_NS6detail17trampoline_kernelINS0_14default_configENS1_25partition_config_selectorILNS1_17partition_subalgoE5EiNS0_10empty_typeEbEEZZNS1_14partition_implILS5_5ELb0ES3_mN6thrust23THRUST_200600_302600_NS6detail15normal_iteratorINSA_10device_ptrIiEEEEPS6_NSA_18transform_iteratorINSB_9not_fun_tI7is_trueIiEEENSC_INSD_IbEEEENSA_11use_defaultESO_EENS0_5tupleIJSF_S6_EEENSQ_IJSG_SG_EEES6_PlJS6_EEE10hipError_tPvRmT3_T4_T5_T6_T7_T9_mT8_P12ihipStream_tbDpT10_ENKUlT_T0_E_clISt17integral_constantIbLb0EES1D_EEDaS18_S19_EUlS18_E_NS1_11comp_targetILNS1_3genE5ELNS1_11target_archE942ELNS1_3gpuE9ELNS1_3repE0EEENS1_30default_config_static_selectorELNS0_4arch9wavefront6targetE0EEEvT1_.has_dyn_sized_stack, 0
	.set _ZN7rocprim17ROCPRIM_400000_NS6detail17trampoline_kernelINS0_14default_configENS1_25partition_config_selectorILNS1_17partition_subalgoE5EiNS0_10empty_typeEbEEZZNS1_14partition_implILS5_5ELb0ES3_mN6thrust23THRUST_200600_302600_NS6detail15normal_iteratorINSA_10device_ptrIiEEEEPS6_NSA_18transform_iteratorINSB_9not_fun_tI7is_trueIiEEENSC_INSD_IbEEEENSA_11use_defaultESO_EENS0_5tupleIJSF_S6_EEENSQ_IJSG_SG_EEES6_PlJS6_EEE10hipError_tPvRmT3_T4_T5_T6_T7_T9_mT8_P12ihipStream_tbDpT10_ENKUlT_T0_E_clISt17integral_constantIbLb0EES1D_EEDaS18_S19_EUlS18_E_NS1_11comp_targetILNS1_3genE5ELNS1_11target_archE942ELNS1_3gpuE9ELNS1_3repE0EEENS1_30default_config_static_selectorELNS0_4arch9wavefront6targetE0EEEvT1_.has_recursion, 0
	.set _ZN7rocprim17ROCPRIM_400000_NS6detail17trampoline_kernelINS0_14default_configENS1_25partition_config_selectorILNS1_17partition_subalgoE5EiNS0_10empty_typeEbEEZZNS1_14partition_implILS5_5ELb0ES3_mN6thrust23THRUST_200600_302600_NS6detail15normal_iteratorINSA_10device_ptrIiEEEEPS6_NSA_18transform_iteratorINSB_9not_fun_tI7is_trueIiEEENSC_INSD_IbEEEENSA_11use_defaultESO_EENS0_5tupleIJSF_S6_EEENSQ_IJSG_SG_EEES6_PlJS6_EEE10hipError_tPvRmT3_T4_T5_T6_T7_T9_mT8_P12ihipStream_tbDpT10_ENKUlT_T0_E_clISt17integral_constantIbLb0EES1D_EEDaS18_S19_EUlS18_E_NS1_11comp_targetILNS1_3genE5ELNS1_11target_archE942ELNS1_3gpuE9ELNS1_3repE0EEENS1_30default_config_static_selectorELNS0_4arch9wavefront6targetE0EEEvT1_.has_indirect_call, 0
	.section	.AMDGPU.csdata,"",@progbits
; Kernel info:
; codeLenInByte = 0
; TotalNumSgprs: 0
; NumVgprs: 0
; ScratchSize: 0
; MemoryBound: 0
; FloatMode: 240
; IeeeMode: 1
; LDSByteSize: 0 bytes/workgroup (compile time only)
; SGPRBlocks: 0
; VGPRBlocks: 0
; NumSGPRsForWavesPerEU: 1
; NumVGPRsForWavesPerEU: 1
; Occupancy: 16
; WaveLimiterHint : 0
; COMPUTE_PGM_RSRC2:SCRATCH_EN: 0
; COMPUTE_PGM_RSRC2:USER_SGPR: 2
; COMPUTE_PGM_RSRC2:TRAP_HANDLER: 0
; COMPUTE_PGM_RSRC2:TGID_X_EN: 1
; COMPUTE_PGM_RSRC2:TGID_Y_EN: 0
; COMPUTE_PGM_RSRC2:TGID_Z_EN: 0
; COMPUTE_PGM_RSRC2:TIDIG_COMP_CNT: 0
	.section	.text._ZN7rocprim17ROCPRIM_400000_NS6detail17trampoline_kernelINS0_14default_configENS1_25partition_config_selectorILNS1_17partition_subalgoE5EiNS0_10empty_typeEbEEZZNS1_14partition_implILS5_5ELb0ES3_mN6thrust23THRUST_200600_302600_NS6detail15normal_iteratorINSA_10device_ptrIiEEEEPS6_NSA_18transform_iteratorINSB_9not_fun_tI7is_trueIiEEENSC_INSD_IbEEEENSA_11use_defaultESO_EENS0_5tupleIJSF_S6_EEENSQ_IJSG_SG_EEES6_PlJS6_EEE10hipError_tPvRmT3_T4_T5_T6_T7_T9_mT8_P12ihipStream_tbDpT10_ENKUlT_T0_E_clISt17integral_constantIbLb0EES1D_EEDaS18_S19_EUlS18_E_NS1_11comp_targetILNS1_3genE4ELNS1_11target_archE910ELNS1_3gpuE8ELNS1_3repE0EEENS1_30default_config_static_selectorELNS0_4arch9wavefront6targetE0EEEvT1_,"axG",@progbits,_ZN7rocprim17ROCPRIM_400000_NS6detail17trampoline_kernelINS0_14default_configENS1_25partition_config_selectorILNS1_17partition_subalgoE5EiNS0_10empty_typeEbEEZZNS1_14partition_implILS5_5ELb0ES3_mN6thrust23THRUST_200600_302600_NS6detail15normal_iteratorINSA_10device_ptrIiEEEEPS6_NSA_18transform_iteratorINSB_9not_fun_tI7is_trueIiEEENSC_INSD_IbEEEENSA_11use_defaultESO_EENS0_5tupleIJSF_S6_EEENSQ_IJSG_SG_EEES6_PlJS6_EEE10hipError_tPvRmT3_T4_T5_T6_T7_T9_mT8_P12ihipStream_tbDpT10_ENKUlT_T0_E_clISt17integral_constantIbLb0EES1D_EEDaS18_S19_EUlS18_E_NS1_11comp_targetILNS1_3genE4ELNS1_11target_archE910ELNS1_3gpuE8ELNS1_3repE0EEENS1_30default_config_static_selectorELNS0_4arch9wavefront6targetE0EEEvT1_,comdat
	.protected	_ZN7rocprim17ROCPRIM_400000_NS6detail17trampoline_kernelINS0_14default_configENS1_25partition_config_selectorILNS1_17partition_subalgoE5EiNS0_10empty_typeEbEEZZNS1_14partition_implILS5_5ELb0ES3_mN6thrust23THRUST_200600_302600_NS6detail15normal_iteratorINSA_10device_ptrIiEEEEPS6_NSA_18transform_iteratorINSB_9not_fun_tI7is_trueIiEEENSC_INSD_IbEEEENSA_11use_defaultESO_EENS0_5tupleIJSF_S6_EEENSQ_IJSG_SG_EEES6_PlJS6_EEE10hipError_tPvRmT3_T4_T5_T6_T7_T9_mT8_P12ihipStream_tbDpT10_ENKUlT_T0_E_clISt17integral_constantIbLb0EES1D_EEDaS18_S19_EUlS18_E_NS1_11comp_targetILNS1_3genE4ELNS1_11target_archE910ELNS1_3gpuE8ELNS1_3repE0EEENS1_30default_config_static_selectorELNS0_4arch9wavefront6targetE0EEEvT1_ ; -- Begin function _ZN7rocprim17ROCPRIM_400000_NS6detail17trampoline_kernelINS0_14default_configENS1_25partition_config_selectorILNS1_17partition_subalgoE5EiNS0_10empty_typeEbEEZZNS1_14partition_implILS5_5ELb0ES3_mN6thrust23THRUST_200600_302600_NS6detail15normal_iteratorINSA_10device_ptrIiEEEEPS6_NSA_18transform_iteratorINSB_9not_fun_tI7is_trueIiEEENSC_INSD_IbEEEENSA_11use_defaultESO_EENS0_5tupleIJSF_S6_EEENSQ_IJSG_SG_EEES6_PlJS6_EEE10hipError_tPvRmT3_T4_T5_T6_T7_T9_mT8_P12ihipStream_tbDpT10_ENKUlT_T0_E_clISt17integral_constantIbLb0EES1D_EEDaS18_S19_EUlS18_E_NS1_11comp_targetILNS1_3genE4ELNS1_11target_archE910ELNS1_3gpuE8ELNS1_3repE0EEENS1_30default_config_static_selectorELNS0_4arch9wavefront6targetE0EEEvT1_
	.globl	_ZN7rocprim17ROCPRIM_400000_NS6detail17trampoline_kernelINS0_14default_configENS1_25partition_config_selectorILNS1_17partition_subalgoE5EiNS0_10empty_typeEbEEZZNS1_14partition_implILS5_5ELb0ES3_mN6thrust23THRUST_200600_302600_NS6detail15normal_iteratorINSA_10device_ptrIiEEEEPS6_NSA_18transform_iteratorINSB_9not_fun_tI7is_trueIiEEENSC_INSD_IbEEEENSA_11use_defaultESO_EENS0_5tupleIJSF_S6_EEENSQ_IJSG_SG_EEES6_PlJS6_EEE10hipError_tPvRmT3_T4_T5_T6_T7_T9_mT8_P12ihipStream_tbDpT10_ENKUlT_T0_E_clISt17integral_constantIbLb0EES1D_EEDaS18_S19_EUlS18_E_NS1_11comp_targetILNS1_3genE4ELNS1_11target_archE910ELNS1_3gpuE8ELNS1_3repE0EEENS1_30default_config_static_selectorELNS0_4arch9wavefront6targetE0EEEvT1_
	.p2align	8
	.type	_ZN7rocprim17ROCPRIM_400000_NS6detail17trampoline_kernelINS0_14default_configENS1_25partition_config_selectorILNS1_17partition_subalgoE5EiNS0_10empty_typeEbEEZZNS1_14partition_implILS5_5ELb0ES3_mN6thrust23THRUST_200600_302600_NS6detail15normal_iteratorINSA_10device_ptrIiEEEEPS6_NSA_18transform_iteratorINSB_9not_fun_tI7is_trueIiEEENSC_INSD_IbEEEENSA_11use_defaultESO_EENS0_5tupleIJSF_S6_EEENSQ_IJSG_SG_EEES6_PlJS6_EEE10hipError_tPvRmT3_T4_T5_T6_T7_T9_mT8_P12ihipStream_tbDpT10_ENKUlT_T0_E_clISt17integral_constantIbLb0EES1D_EEDaS18_S19_EUlS18_E_NS1_11comp_targetILNS1_3genE4ELNS1_11target_archE910ELNS1_3gpuE8ELNS1_3repE0EEENS1_30default_config_static_selectorELNS0_4arch9wavefront6targetE0EEEvT1_,@function
_ZN7rocprim17ROCPRIM_400000_NS6detail17trampoline_kernelINS0_14default_configENS1_25partition_config_selectorILNS1_17partition_subalgoE5EiNS0_10empty_typeEbEEZZNS1_14partition_implILS5_5ELb0ES3_mN6thrust23THRUST_200600_302600_NS6detail15normal_iteratorINSA_10device_ptrIiEEEEPS6_NSA_18transform_iteratorINSB_9not_fun_tI7is_trueIiEEENSC_INSD_IbEEEENSA_11use_defaultESO_EENS0_5tupleIJSF_S6_EEENSQ_IJSG_SG_EEES6_PlJS6_EEE10hipError_tPvRmT3_T4_T5_T6_T7_T9_mT8_P12ihipStream_tbDpT10_ENKUlT_T0_E_clISt17integral_constantIbLb0EES1D_EEDaS18_S19_EUlS18_E_NS1_11comp_targetILNS1_3genE4ELNS1_11target_archE910ELNS1_3gpuE8ELNS1_3repE0EEENS1_30default_config_static_selectorELNS0_4arch9wavefront6targetE0EEEvT1_: ; @_ZN7rocprim17ROCPRIM_400000_NS6detail17trampoline_kernelINS0_14default_configENS1_25partition_config_selectorILNS1_17partition_subalgoE5EiNS0_10empty_typeEbEEZZNS1_14partition_implILS5_5ELb0ES3_mN6thrust23THRUST_200600_302600_NS6detail15normal_iteratorINSA_10device_ptrIiEEEEPS6_NSA_18transform_iteratorINSB_9not_fun_tI7is_trueIiEEENSC_INSD_IbEEEENSA_11use_defaultESO_EENS0_5tupleIJSF_S6_EEENSQ_IJSG_SG_EEES6_PlJS6_EEE10hipError_tPvRmT3_T4_T5_T6_T7_T9_mT8_P12ihipStream_tbDpT10_ENKUlT_T0_E_clISt17integral_constantIbLb0EES1D_EEDaS18_S19_EUlS18_E_NS1_11comp_targetILNS1_3genE4ELNS1_11target_archE910ELNS1_3gpuE8ELNS1_3repE0EEENS1_30default_config_static_selectorELNS0_4arch9wavefront6targetE0EEEvT1_
; %bb.0:
	.section	.rodata,"a",@progbits
	.p2align	6, 0x0
	.amdhsa_kernel _ZN7rocprim17ROCPRIM_400000_NS6detail17trampoline_kernelINS0_14default_configENS1_25partition_config_selectorILNS1_17partition_subalgoE5EiNS0_10empty_typeEbEEZZNS1_14partition_implILS5_5ELb0ES3_mN6thrust23THRUST_200600_302600_NS6detail15normal_iteratorINSA_10device_ptrIiEEEEPS6_NSA_18transform_iteratorINSB_9not_fun_tI7is_trueIiEEENSC_INSD_IbEEEENSA_11use_defaultESO_EENS0_5tupleIJSF_S6_EEENSQ_IJSG_SG_EEES6_PlJS6_EEE10hipError_tPvRmT3_T4_T5_T6_T7_T9_mT8_P12ihipStream_tbDpT10_ENKUlT_T0_E_clISt17integral_constantIbLb0EES1D_EEDaS18_S19_EUlS18_E_NS1_11comp_targetILNS1_3genE4ELNS1_11target_archE910ELNS1_3gpuE8ELNS1_3repE0EEENS1_30default_config_static_selectorELNS0_4arch9wavefront6targetE0EEEvT1_
		.amdhsa_group_segment_fixed_size 0
		.amdhsa_private_segment_fixed_size 0
		.amdhsa_kernarg_size 120
		.amdhsa_user_sgpr_count 2
		.amdhsa_user_sgpr_dispatch_ptr 0
		.amdhsa_user_sgpr_queue_ptr 0
		.amdhsa_user_sgpr_kernarg_segment_ptr 1
		.amdhsa_user_sgpr_dispatch_id 0
		.amdhsa_user_sgpr_private_segment_size 0
		.amdhsa_wavefront_size32 1
		.amdhsa_uses_dynamic_stack 0
		.amdhsa_enable_private_segment 0
		.amdhsa_system_sgpr_workgroup_id_x 1
		.amdhsa_system_sgpr_workgroup_id_y 0
		.amdhsa_system_sgpr_workgroup_id_z 0
		.amdhsa_system_sgpr_workgroup_info 0
		.amdhsa_system_vgpr_workitem_id 0
		.amdhsa_next_free_vgpr 1
		.amdhsa_next_free_sgpr 1
		.amdhsa_reserve_vcc 0
		.amdhsa_float_round_mode_32 0
		.amdhsa_float_round_mode_16_64 0
		.amdhsa_float_denorm_mode_32 3
		.amdhsa_float_denorm_mode_16_64 3
		.amdhsa_fp16_overflow 0
		.amdhsa_workgroup_processor_mode 1
		.amdhsa_memory_ordered 1
		.amdhsa_forward_progress 1
		.amdhsa_inst_pref_size 0
		.amdhsa_round_robin_scheduling 0
		.amdhsa_exception_fp_ieee_invalid_op 0
		.amdhsa_exception_fp_denorm_src 0
		.amdhsa_exception_fp_ieee_div_zero 0
		.amdhsa_exception_fp_ieee_overflow 0
		.amdhsa_exception_fp_ieee_underflow 0
		.amdhsa_exception_fp_ieee_inexact 0
		.amdhsa_exception_int_div_zero 0
	.end_amdhsa_kernel
	.section	.text._ZN7rocprim17ROCPRIM_400000_NS6detail17trampoline_kernelINS0_14default_configENS1_25partition_config_selectorILNS1_17partition_subalgoE5EiNS0_10empty_typeEbEEZZNS1_14partition_implILS5_5ELb0ES3_mN6thrust23THRUST_200600_302600_NS6detail15normal_iteratorINSA_10device_ptrIiEEEEPS6_NSA_18transform_iteratorINSB_9not_fun_tI7is_trueIiEEENSC_INSD_IbEEEENSA_11use_defaultESO_EENS0_5tupleIJSF_S6_EEENSQ_IJSG_SG_EEES6_PlJS6_EEE10hipError_tPvRmT3_T4_T5_T6_T7_T9_mT8_P12ihipStream_tbDpT10_ENKUlT_T0_E_clISt17integral_constantIbLb0EES1D_EEDaS18_S19_EUlS18_E_NS1_11comp_targetILNS1_3genE4ELNS1_11target_archE910ELNS1_3gpuE8ELNS1_3repE0EEENS1_30default_config_static_selectorELNS0_4arch9wavefront6targetE0EEEvT1_,"axG",@progbits,_ZN7rocprim17ROCPRIM_400000_NS6detail17trampoline_kernelINS0_14default_configENS1_25partition_config_selectorILNS1_17partition_subalgoE5EiNS0_10empty_typeEbEEZZNS1_14partition_implILS5_5ELb0ES3_mN6thrust23THRUST_200600_302600_NS6detail15normal_iteratorINSA_10device_ptrIiEEEEPS6_NSA_18transform_iteratorINSB_9not_fun_tI7is_trueIiEEENSC_INSD_IbEEEENSA_11use_defaultESO_EENS0_5tupleIJSF_S6_EEENSQ_IJSG_SG_EEES6_PlJS6_EEE10hipError_tPvRmT3_T4_T5_T6_T7_T9_mT8_P12ihipStream_tbDpT10_ENKUlT_T0_E_clISt17integral_constantIbLb0EES1D_EEDaS18_S19_EUlS18_E_NS1_11comp_targetILNS1_3genE4ELNS1_11target_archE910ELNS1_3gpuE8ELNS1_3repE0EEENS1_30default_config_static_selectorELNS0_4arch9wavefront6targetE0EEEvT1_,comdat
.Lfunc_end2527:
	.size	_ZN7rocprim17ROCPRIM_400000_NS6detail17trampoline_kernelINS0_14default_configENS1_25partition_config_selectorILNS1_17partition_subalgoE5EiNS0_10empty_typeEbEEZZNS1_14partition_implILS5_5ELb0ES3_mN6thrust23THRUST_200600_302600_NS6detail15normal_iteratorINSA_10device_ptrIiEEEEPS6_NSA_18transform_iteratorINSB_9not_fun_tI7is_trueIiEEENSC_INSD_IbEEEENSA_11use_defaultESO_EENS0_5tupleIJSF_S6_EEENSQ_IJSG_SG_EEES6_PlJS6_EEE10hipError_tPvRmT3_T4_T5_T6_T7_T9_mT8_P12ihipStream_tbDpT10_ENKUlT_T0_E_clISt17integral_constantIbLb0EES1D_EEDaS18_S19_EUlS18_E_NS1_11comp_targetILNS1_3genE4ELNS1_11target_archE910ELNS1_3gpuE8ELNS1_3repE0EEENS1_30default_config_static_selectorELNS0_4arch9wavefront6targetE0EEEvT1_, .Lfunc_end2527-_ZN7rocprim17ROCPRIM_400000_NS6detail17trampoline_kernelINS0_14default_configENS1_25partition_config_selectorILNS1_17partition_subalgoE5EiNS0_10empty_typeEbEEZZNS1_14partition_implILS5_5ELb0ES3_mN6thrust23THRUST_200600_302600_NS6detail15normal_iteratorINSA_10device_ptrIiEEEEPS6_NSA_18transform_iteratorINSB_9not_fun_tI7is_trueIiEEENSC_INSD_IbEEEENSA_11use_defaultESO_EENS0_5tupleIJSF_S6_EEENSQ_IJSG_SG_EEES6_PlJS6_EEE10hipError_tPvRmT3_T4_T5_T6_T7_T9_mT8_P12ihipStream_tbDpT10_ENKUlT_T0_E_clISt17integral_constantIbLb0EES1D_EEDaS18_S19_EUlS18_E_NS1_11comp_targetILNS1_3genE4ELNS1_11target_archE910ELNS1_3gpuE8ELNS1_3repE0EEENS1_30default_config_static_selectorELNS0_4arch9wavefront6targetE0EEEvT1_
                                        ; -- End function
	.set _ZN7rocprim17ROCPRIM_400000_NS6detail17trampoline_kernelINS0_14default_configENS1_25partition_config_selectorILNS1_17partition_subalgoE5EiNS0_10empty_typeEbEEZZNS1_14partition_implILS5_5ELb0ES3_mN6thrust23THRUST_200600_302600_NS6detail15normal_iteratorINSA_10device_ptrIiEEEEPS6_NSA_18transform_iteratorINSB_9not_fun_tI7is_trueIiEEENSC_INSD_IbEEEENSA_11use_defaultESO_EENS0_5tupleIJSF_S6_EEENSQ_IJSG_SG_EEES6_PlJS6_EEE10hipError_tPvRmT3_T4_T5_T6_T7_T9_mT8_P12ihipStream_tbDpT10_ENKUlT_T0_E_clISt17integral_constantIbLb0EES1D_EEDaS18_S19_EUlS18_E_NS1_11comp_targetILNS1_3genE4ELNS1_11target_archE910ELNS1_3gpuE8ELNS1_3repE0EEENS1_30default_config_static_selectorELNS0_4arch9wavefront6targetE0EEEvT1_.num_vgpr, 0
	.set _ZN7rocprim17ROCPRIM_400000_NS6detail17trampoline_kernelINS0_14default_configENS1_25partition_config_selectorILNS1_17partition_subalgoE5EiNS0_10empty_typeEbEEZZNS1_14partition_implILS5_5ELb0ES3_mN6thrust23THRUST_200600_302600_NS6detail15normal_iteratorINSA_10device_ptrIiEEEEPS6_NSA_18transform_iteratorINSB_9not_fun_tI7is_trueIiEEENSC_INSD_IbEEEENSA_11use_defaultESO_EENS0_5tupleIJSF_S6_EEENSQ_IJSG_SG_EEES6_PlJS6_EEE10hipError_tPvRmT3_T4_T5_T6_T7_T9_mT8_P12ihipStream_tbDpT10_ENKUlT_T0_E_clISt17integral_constantIbLb0EES1D_EEDaS18_S19_EUlS18_E_NS1_11comp_targetILNS1_3genE4ELNS1_11target_archE910ELNS1_3gpuE8ELNS1_3repE0EEENS1_30default_config_static_selectorELNS0_4arch9wavefront6targetE0EEEvT1_.num_agpr, 0
	.set _ZN7rocprim17ROCPRIM_400000_NS6detail17trampoline_kernelINS0_14default_configENS1_25partition_config_selectorILNS1_17partition_subalgoE5EiNS0_10empty_typeEbEEZZNS1_14partition_implILS5_5ELb0ES3_mN6thrust23THRUST_200600_302600_NS6detail15normal_iteratorINSA_10device_ptrIiEEEEPS6_NSA_18transform_iteratorINSB_9not_fun_tI7is_trueIiEEENSC_INSD_IbEEEENSA_11use_defaultESO_EENS0_5tupleIJSF_S6_EEENSQ_IJSG_SG_EEES6_PlJS6_EEE10hipError_tPvRmT3_T4_T5_T6_T7_T9_mT8_P12ihipStream_tbDpT10_ENKUlT_T0_E_clISt17integral_constantIbLb0EES1D_EEDaS18_S19_EUlS18_E_NS1_11comp_targetILNS1_3genE4ELNS1_11target_archE910ELNS1_3gpuE8ELNS1_3repE0EEENS1_30default_config_static_selectorELNS0_4arch9wavefront6targetE0EEEvT1_.numbered_sgpr, 0
	.set _ZN7rocprim17ROCPRIM_400000_NS6detail17trampoline_kernelINS0_14default_configENS1_25partition_config_selectorILNS1_17partition_subalgoE5EiNS0_10empty_typeEbEEZZNS1_14partition_implILS5_5ELb0ES3_mN6thrust23THRUST_200600_302600_NS6detail15normal_iteratorINSA_10device_ptrIiEEEEPS6_NSA_18transform_iteratorINSB_9not_fun_tI7is_trueIiEEENSC_INSD_IbEEEENSA_11use_defaultESO_EENS0_5tupleIJSF_S6_EEENSQ_IJSG_SG_EEES6_PlJS6_EEE10hipError_tPvRmT3_T4_T5_T6_T7_T9_mT8_P12ihipStream_tbDpT10_ENKUlT_T0_E_clISt17integral_constantIbLb0EES1D_EEDaS18_S19_EUlS18_E_NS1_11comp_targetILNS1_3genE4ELNS1_11target_archE910ELNS1_3gpuE8ELNS1_3repE0EEENS1_30default_config_static_selectorELNS0_4arch9wavefront6targetE0EEEvT1_.num_named_barrier, 0
	.set _ZN7rocprim17ROCPRIM_400000_NS6detail17trampoline_kernelINS0_14default_configENS1_25partition_config_selectorILNS1_17partition_subalgoE5EiNS0_10empty_typeEbEEZZNS1_14partition_implILS5_5ELb0ES3_mN6thrust23THRUST_200600_302600_NS6detail15normal_iteratorINSA_10device_ptrIiEEEEPS6_NSA_18transform_iteratorINSB_9not_fun_tI7is_trueIiEEENSC_INSD_IbEEEENSA_11use_defaultESO_EENS0_5tupleIJSF_S6_EEENSQ_IJSG_SG_EEES6_PlJS6_EEE10hipError_tPvRmT3_T4_T5_T6_T7_T9_mT8_P12ihipStream_tbDpT10_ENKUlT_T0_E_clISt17integral_constantIbLb0EES1D_EEDaS18_S19_EUlS18_E_NS1_11comp_targetILNS1_3genE4ELNS1_11target_archE910ELNS1_3gpuE8ELNS1_3repE0EEENS1_30default_config_static_selectorELNS0_4arch9wavefront6targetE0EEEvT1_.private_seg_size, 0
	.set _ZN7rocprim17ROCPRIM_400000_NS6detail17trampoline_kernelINS0_14default_configENS1_25partition_config_selectorILNS1_17partition_subalgoE5EiNS0_10empty_typeEbEEZZNS1_14partition_implILS5_5ELb0ES3_mN6thrust23THRUST_200600_302600_NS6detail15normal_iteratorINSA_10device_ptrIiEEEEPS6_NSA_18transform_iteratorINSB_9not_fun_tI7is_trueIiEEENSC_INSD_IbEEEENSA_11use_defaultESO_EENS0_5tupleIJSF_S6_EEENSQ_IJSG_SG_EEES6_PlJS6_EEE10hipError_tPvRmT3_T4_T5_T6_T7_T9_mT8_P12ihipStream_tbDpT10_ENKUlT_T0_E_clISt17integral_constantIbLb0EES1D_EEDaS18_S19_EUlS18_E_NS1_11comp_targetILNS1_3genE4ELNS1_11target_archE910ELNS1_3gpuE8ELNS1_3repE0EEENS1_30default_config_static_selectorELNS0_4arch9wavefront6targetE0EEEvT1_.uses_vcc, 0
	.set _ZN7rocprim17ROCPRIM_400000_NS6detail17trampoline_kernelINS0_14default_configENS1_25partition_config_selectorILNS1_17partition_subalgoE5EiNS0_10empty_typeEbEEZZNS1_14partition_implILS5_5ELb0ES3_mN6thrust23THRUST_200600_302600_NS6detail15normal_iteratorINSA_10device_ptrIiEEEEPS6_NSA_18transform_iteratorINSB_9not_fun_tI7is_trueIiEEENSC_INSD_IbEEEENSA_11use_defaultESO_EENS0_5tupleIJSF_S6_EEENSQ_IJSG_SG_EEES6_PlJS6_EEE10hipError_tPvRmT3_T4_T5_T6_T7_T9_mT8_P12ihipStream_tbDpT10_ENKUlT_T0_E_clISt17integral_constantIbLb0EES1D_EEDaS18_S19_EUlS18_E_NS1_11comp_targetILNS1_3genE4ELNS1_11target_archE910ELNS1_3gpuE8ELNS1_3repE0EEENS1_30default_config_static_selectorELNS0_4arch9wavefront6targetE0EEEvT1_.uses_flat_scratch, 0
	.set _ZN7rocprim17ROCPRIM_400000_NS6detail17trampoline_kernelINS0_14default_configENS1_25partition_config_selectorILNS1_17partition_subalgoE5EiNS0_10empty_typeEbEEZZNS1_14partition_implILS5_5ELb0ES3_mN6thrust23THRUST_200600_302600_NS6detail15normal_iteratorINSA_10device_ptrIiEEEEPS6_NSA_18transform_iteratorINSB_9not_fun_tI7is_trueIiEEENSC_INSD_IbEEEENSA_11use_defaultESO_EENS0_5tupleIJSF_S6_EEENSQ_IJSG_SG_EEES6_PlJS6_EEE10hipError_tPvRmT3_T4_T5_T6_T7_T9_mT8_P12ihipStream_tbDpT10_ENKUlT_T0_E_clISt17integral_constantIbLb0EES1D_EEDaS18_S19_EUlS18_E_NS1_11comp_targetILNS1_3genE4ELNS1_11target_archE910ELNS1_3gpuE8ELNS1_3repE0EEENS1_30default_config_static_selectorELNS0_4arch9wavefront6targetE0EEEvT1_.has_dyn_sized_stack, 0
	.set _ZN7rocprim17ROCPRIM_400000_NS6detail17trampoline_kernelINS0_14default_configENS1_25partition_config_selectorILNS1_17partition_subalgoE5EiNS0_10empty_typeEbEEZZNS1_14partition_implILS5_5ELb0ES3_mN6thrust23THRUST_200600_302600_NS6detail15normal_iteratorINSA_10device_ptrIiEEEEPS6_NSA_18transform_iteratorINSB_9not_fun_tI7is_trueIiEEENSC_INSD_IbEEEENSA_11use_defaultESO_EENS0_5tupleIJSF_S6_EEENSQ_IJSG_SG_EEES6_PlJS6_EEE10hipError_tPvRmT3_T4_T5_T6_T7_T9_mT8_P12ihipStream_tbDpT10_ENKUlT_T0_E_clISt17integral_constantIbLb0EES1D_EEDaS18_S19_EUlS18_E_NS1_11comp_targetILNS1_3genE4ELNS1_11target_archE910ELNS1_3gpuE8ELNS1_3repE0EEENS1_30default_config_static_selectorELNS0_4arch9wavefront6targetE0EEEvT1_.has_recursion, 0
	.set _ZN7rocprim17ROCPRIM_400000_NS6detail17trampoline_kernelINS0_14default_configENS1_25partition_config_selectorILNS1_17partition_subalgoE5EiNS0_10empty_typeEbEEZZNS1_14partition_implILS5_5ELb0ES3_mN6thrust23THRUST_200600_302600_NS6detail15normal_iteratorINSA_10device_ptrIiEEEEPS6_NSA_18transform_iteratorINSB_9not_fun_tI7is_trueIiEEENSC_INSD_IbEEEENSA_11use_defaultESO_EENS0_5tupleIJSF_S6_EEENSQ_IJSG_SG_EEES6_PlJS6_EEE10hipError_tPvRmT3_T4_T5_T6_T7_T9_mT8_P12ihipStream_tbDpT10_ENKUlT_T0_E_clISt17integral_constantIbLb0EES1D_EEDaS18_S19_EUlS18_E_NS1_11comp_targetILNS1_3genE4ELNS1_11target_archE910ELNS1_3gpuE8ELNS1_3repE0EEENS1_30default_config_static_selectorELNS0_4arch9wavefront6targetE0EEEvT1_.has_indirect_call, 0
	.section	.AMDGPU.csdata,"",@progbits
; Kernel info:
; codeLenInByte = 0
; TotalNumSgprs: 0
; NumVgprs: 0
; ScratchSize: 0
; MemoryBound: 0
; FloatMode: 240
; IeeeMode: 1
; LDSByteSize: 0 bytes/workgroup (compile time only)
; SGPRBlocks: 0
; VGPRBlocks: 0
; NumSGPRsForWavesPerEU: 1
; NumVGPRsForWavesPerEU: 1
; Occupancy: 16
; WaveLimiterHint : 0
; COMPUTE_PGM_RSRC2:SCRATCH_EN: 0
; COMPUTE_PGM_RSRC2:USER_SGPR: 2
; COMPUTE_PGM_RSRC2:TRAP_HANDLER: 0
; COMPUTE_PGM_RSRC2:TGID_X_EN: 1
; COMPUTE_PGM_RSRC2:TGID_Y_EN: 0
; COMPUTE_PGM_RSRC2:TGID_Z_EN: 0
; COMPUTE_PGM_RSRC2:TIDIG_COMP_CNT: 0
	.section	.text._ZN7rocprim17ROCPRIM_400000_NS6detail17trampoline_kernelINS0_14default_configENS1_25partition_config_selectorILNS1_17partition_subalgoE5EiNS0_10empty_typeEbEEZZNS1_14partition_implILS5_5ELb0ES3_mN6thrust23THRUST_200600_302600_NS6detail15normal_iteratorINSA_10device_ptrIiEEEEPS6_NSA_18transform_iteratorINSB_9not_fun_tI7is_trueIiEEENSC_INSD_IbEEEENSA_11use_defaultESO_EENS0_5tupleIJSF_S6_EEENSQ_IJSG_SG_EEES6_PlJS6_EEE10hipError_tPvRmT3_T4_T5_T6_T7_T9_mT8_P12ihipStream_tbDpT10_ENKUlT_T0_E_clISt17integral_constantIbLb0EES1D_EEDaS18_S19_EUlS18_E_NS1_11comp_targetILNS1_3genE3ELNS1_11target_archE908ELNS1_3gpuE7ELNS1_3repE0EEENS1_30default_config_static_selectorELNS0_4arch9wavefront6targetE0EEEvT1_,"axG",@progbits,_ZN7rocprim17ROCPRIM_400000_NS6detail17trampoline_kernelINS0_14default_configENS1_25partition_config_selectorILNS1_17partition_subalgoE5EiNS0_10empty_typeEbEEZZNS1_14partition_implILS5_5ELb0ES3_mN6thrust23THRUST_200600_302600_NS6detail15normal_iteratorINSA_10device_ptrIiEEEEPS6_NSA_18transform_iteratorINSB_9not_fun_tI7is_trueIiEEENSC_INSD_IbEEEENSA_11use_defaultESO_EENS0_5tupleIJSF_S6_EEENSQ_IJSG_SG_EEES6_PlJS6_EEE10hipError_tPvRmT3_T4_T5_T6_T7_T9_mT8_P12ihipStream_tbDpT10_ENKUlT_T0_E_clISt17integral_constantIbLb0EES1D_EEDaS18_S19_EUlS18_E_NS1_11comp_targetILNS1_3genE3ELNS1_11target_archE908ELNS1_3gpuE7ELNS1_3repE0EEENS1_30default_config_static_selectorELNS0_4arch9wavefront6targetE0EEEvT1_,comdat
	.protected	_ZN7rocprim17ROCPRIM_400000_NS6detail17trampoline_kernelINS0_14default_configENS1_25partition_config_selectorILNS1_17partition_subalgoE5EiNS0_10empty_typeEbEEZZNS1_14partition_implILS5_5ELb0ES3_mN6thrust23THRUST_200600_302600_NS6detail15normal_iteratorINSA_10device_ptrIiEEEEPS6_NSA_18transform_iteratorINSB_9not_fun_tI7is_trueIiEEENSC_INSD_IbEEEENSA_11use_defaultESO_EENS0_5tupleIJSF_S6_EEENSQ_IJSG_SG_EEES6_PlJS6_EEE10hipError_tPvRmT3_T4_T5_T6_T7_T9_mT8_P12ihipStream_tbDpT10_ENKUlT_T0_E_clISt17integral_constantIbLb0EES1D_EEDaS18_S19_EUlS18_E_NS1_11comp_targetILNS1_3genE3ELNS1_11target_archE908ELNS1_3gpuE7ELNS1_3repE0EEENS1_30default_config_static_selectorELNS0_4arch9wavefront6targetE0EEEvT1_ ; -- Begin function _ZN7rocprim17ROCPRIM_400000_NS6detail17trampoline_kernelINS0_14default_configENS1_25partition_config_selectorILNS1_17partition_subalgoE5EiNS0_10empty_typeEbEEZZNS1_14partition_implILS5_5ELb0ES3_mN6thrust23THRUST_200600_302600_NS6detail15normal_iteratorINSA_10device_ptrIiEEEEPS6_NSA_18transform_iteratorINSB_9not_fun_tI7is_trueIiEEENSC_INSD_IbEEEENSA_11use_defaultESO_EENS0_5tupleIJSF_S6_EEENSQ_IJSG_SG_EEES6_PlJS6_EEE10hipError_tPvRmT3_T4_T5_T6_T7_T9_mT8_P12ihipStream_tbDpT10_ENKUlT_T0_E_clISt17integral_constantIbLb0EES1D_EEDaS18_S19_EUlS18_E_NS1_11comp_targetILNS1_3genE3ELNS1_11target_archE908ELNS1_3gpuE7ELNS1_3repE0EEENS1_30default_config_static_selectorELNS0_4arch9wavefront6targetE0EEEvT1_
	.globl	_ZN7rocprim17ROCPRIM_400000_NS6detail17trampoline_kernelINS0_14default_configENS1_25partition_config_selectorILNS1_17partition_subalgoE5EiNS0_10empty_typeEbEEZZNS1_14partition_implILS5_5ELb0ES3_mN6thrust23THRUST_200600_302600_NS6detail15normal_iteratorINSA_10device_ptrIiEEEEPS6_NSA_18transform_iteratorINSB_9not_fun_tI7is_trueIiEEENSC_INSD_IbEEEENSA_11use_defaultESO_EENS0_5tupleIJSF_S6_EEENSQ_IJSG_SG_EEES6_PlJS6_EEE10hipError_tPvRmT3_T4_T5_T6_T7_T9_mT8_P12ihipStream_tbDpT10_ENKUlT_T0_E_clISt17integral_constantIbLb0EES1D_EEDaS18_S19_EUlS18_E_NS1_11comp_targetILNS1_3genE3ELNS1_11target_archE908ELNS1_3gpuE7ELNS1_3repE0EEENS1_30default_config_static_selectorELNS0_4arch9wavefront6targetE0EEEvT1_
	.p2align	8
	.type	_ZN7rocprim17ROCPRIM_400000_NS6detail17trampoline_kernelINS0_14default_configENS1_25partition_config_selectorILNS1_17partition_subalgoE5EiNS0_10empty_typeEbEEZZNS1_14partition_implILS5_5ELb0ES3_mN6thrust23THRUST_200600_302600_NS6detail15normal_iteratorINSA_10device_ptrIiEEEEPS6_NSA_18transform_iteratorINSB_9not_fun_tI7is_trueIiEEENSC_INSD_IbEEEENSA_11use_defaultESO_EENS0_5tupleIJSF_S6_EEENSQ_IJSG_SG_EEES6_PlJS6_EEE10hipError_tPvRmT3_T4_T5_T6_T7_T9_mT8_P12ihipStream_tbDpT10_ENKUlT_T0_E_clISt17integral_constantIbLb0EES1D_EEDaS18_S19_EUlS18_E_NS1_11comp_targetILNS1_3genE3ELNS1_11target_archE908ELNS1_3gpuE7ELNS1_3repE0EEENS1_30default_config_static_selectorELNS0_4arch9wavefront6targetE0EEEvT1_,@function
_ZN7rocprim17ROCPRIM_400000_NS6detail17trampoline_kernelINS0_14default_configENS1_25partition_config_selectorILNS1_17partition_subalgoE5EiNS0_10empty_typeEbEEZZNS1_14partition_implILS5_5ELb0ES3_mN6thrust23THRUST_200600_302600_NS6detail15normal_iteratorINSA_10device_ptrIiEEEEPS6_NSA_18transform_iteratorINSB_9not_fun_tI7is_trueIiEEENSC_INSD_IbEEEENSA_11use_defaultESO_EENS0_5tupleIJSF_S6_EEENSQ_IJSG_SG_EEES6_PlJS6_EEE10hipError_tPvRmT3_T4_T5_T6_T7_T9_mT8_P12ihipStream_tbDpT10_ENKUlT_T0_E_clISt17integral_constantIbLb0EES1D_EEDaS18_S19_EUlS18_E_NS1_11comp_targetILNS1_3genE3ELNS1_11target_archE908ELNS1_3gpuE7ELNS1_3repE0EEENS1_30default_config_static_selectorELNS0_4arch9wavefront6targetE0EEEvT1_: ; @_ZN7rocprim17ROCPRIM_400000_NS6detail17trampoline_kernelINS0_14default_configENS1_25partition_config_selectorILNS1_17partition_subalgoE5EiNS0_10empty_typeEbEEZZNS1_14partition_implILS5_5ELb0ES3_mN6thrust23THRUST_200600_302600_NS6detail15normal_iteratorINSA_10device_ptrIiEEEEPS6_NSA_18transform_iteratorINSB_9not_fun_tI7is_trueIiEEENSC_INSD_IbEEEENSA_11use_defaultESO_EENS0_5tupleIJSF_S6_EEENSQ_IJSG_SG_EEES6_PlJS6_EEE10hipError_tPvRmT3_T4_T5_T6_T7_T9_mT8_P12ihipStream_tbDpT10_ENKUlT_T0_E_clISt17integral_constantIbLb0EES1D_EEDaS18_S19_EUlS18_E_NS1_11comp_targetILNS1_3genE3ELNS1_11target_archE908ELNS1_3gpuE7ELNS1_3repE0EEENS1_30default_config_static_selectorELNS0_4arch9wavefront6targetE0EEEvT1_
; %bb.0:
	.section	.rodata,"a",@progbits
	.p2align	6, 0x0
	.amdhsa_kernel _ZN7rocprim17ROCPRIM_400000_NS6detail17trampoline_kernelINS0_14default_configENS1_25partition_config_selectorILNS1_17partition_subalgoE5EiNS0_10empty_typeEbEEZZNS1_14partition_implILS5_5ELb0ES3_mN6thrust23THRUST_200600_302600_NS6detail15normal_iteratorINSA_10device_ptrIiEEEEPS6_NSA_18transform_iteratorINSB_9not_fun_tI7is_trueIiEEENSC_INSD_IbEEEENSA_11use_defaultESO_EENS0_5tupleIJSF_S6_EEENSQ_IJSG_SG_EEES6_PlJS6_EEE10hipError_tPvRmT3_T4_T5_T6_T7_T9_mT8_P12ihipStream_tbDpT10_ENKUlT_T0_E_clISt17integral_constantIbLb0EES1D_EEDaS18_S19_EUlS18_E_NS1_11comp_targetILNS1_3genE3ELNS1_11target_archE908ELNS1_3gpuE7ELNS1_3repE0EEENS1_30default_config_static_selectorELNS0_4arch9wavefront6targetE0EEEvT1_
		.amdhsa_group_segment_fixed_size 0
		.amdhsa_private_segment_fixed_size 0
		.amdhsa_kernarg_size 120
		.amdhsa_user_sgpr_count 2
		.amdhsa_user_sgpr_dispatch_ptr 0
		.amdhsa_user_sgpr_queue_ptr 0
		.amdhsa_user_sgpr_kernarg_segment_ptr 1
		.amdhsa_user_sgpr_dispatch_id 0
		.amdhsa_user_sgpr_private_segment_size 0
		.amdhsa_wavefront_size32 1
		.amdhsa_uses_dynamic_stack 0
		.amdhsa_enable_private_segment 0
		.amdhsa_system_sgpr_workgroup_id_x 1
		.amdhsa_system_sgpr_workgroup_id_y 0
		.amdhsa_system_sgpr_workgroup_id_z 0
		.amdhsa_system_sgpr_workgroup_info 0
		.amdhsa_system_vgpr_workitem_id 0
		.amdhsa_next_free_vgpr 1
		.amdhsa_next_free_sgpr 1
		.amdhsa_reserve_vcc 0
		.amdhsa_float_round_mode_32 0
		.amdhsa_float_round_mode_16_64 0
		.amdhsa_float_denorm_mode_32 3
		.amdhsa_float_denorm_mode_16_64 3
		.amdhsa_fp16_overflow 0
		.amdhsa_workgroup_processor_mode 1
		.amdhsa_memory_ordered 1
		.amdhsa_forward_progress 1
		.amdhsa_inst_pref_size 0
		.amdhsa_round_robin_scheduling 0
		.amdhsa_exception_fp_ieee_invalid_op 0
		.amdhsa_exception_fp_denorm_src 0
		.amdhsa_exception_fp_ieee_div_zero 0
		.amdhsa_exception_fp_ieee_overflow 0
		.amdhsa_exception_fp_ieee_underflow 0
		.amdhsa_exception_fp_ieee_inexact 0
		.amdhsa_exception_int_div_zero 0
	.end_amdhsa_kernel
	.section	.text._ZN7rocprim17ROCPRIM_400000_NS6detail17trampoline_kernelINS0_14default_configENS1_25partition_config_selectorILNS1_17partition_subalgoE5EiNS0_10empty_typeEbEEZZNS1_14partition_implILS5_5ELb0ES3_mN6thrust23THRUST_200600_302600_NS6detail15normal_iteratorINSA_10device_ptrIiEEEEPS6_NSA_18transform_iteratorINSB_9not_fun_tI7is_trueIiEEENSC_INSD_IbEEEENSA_11use_defaultESO_EENS0_5tupleIJSF_S6_EEENSQ_IJSG_SG_EEES6_PlJS6_EEE10hipError_tPvRmT3_T4_T5_T6_T7_T9_mT8_P12ihipStream_tbDpT10_ENKUlT_T0_E_clISt17integral_constantIbLb0EES1D_EEDaS18_S19_EUlS18_E_NS1_11comp_targetILNS1_3genE3ELNS1_11target_archE908ELNS1_3gpuE7ELNS1_3repE0EEENS1_30default_config_static_selectorELNS0_4arch9wavefront6targetE0EEEvT1_,"axG",@progbits,_ZN7rocprim17ROCPRIM_400000_NS6detail17trampoline_kernelINS0_14default_configENS1_25partition_config_selectorILNS1_17partition_subalgoE5EiNS0_10empty_typeEbEEZZNS1_14partition_implILS5_5ELb0ES3_mN6thrust23THRUST_200600_302600_NS6detail15normal_iteratorINSA_10device_ptrIiEEEEPS6_NSA_18transform_iteratorINSB_9not_fun_tI7is_trueIiEEENSC_INSD_IbEEEENSA_11use_defaultESO_EENS0_5tupleIJSF_S6_EEENSQ_IJSG_SG_EEES6_PlJS6_EEE10hipError_tPvRmT3_T4_T5_T6_T7_T9_mT8_P12ihipStream_tbDpT10_ENKUlT_T0_E_clISt17integral_constantIbLb0EES1D_EEDaS18_S19_EUlS18_E_NS1_11comp_targetILNS1_3genE3ELNS1_11target_archE908ELNS1_3gpuE7ELNS1_3repE0EEENS1_30default_config_static_selectorELNS0_4arch9wavefront6targetE0EEEvT1_,comdat
.Lfunc_end2528:
	.size	_ZN7rocprim17ROCPRIM_400000_NS6detail17trampoline_kernelINS0_14default_configENS1_25partition_config_selectorILNS1_17partition_subalgoE5EiNS0_10empty_typeEbEEZZNS1_14partition_implILS5_5ELb0ES3_mN6thrust23THRUST_200600_302600_NS6detail15normal_iteratorINSA_10device_ptrIiEEEEPS6_NSA_18transform_iteratorINSB_9not_fun_tI7is_trueIiEEENSC_INSD_IbEEEENSA_11use_defaultESO_EENS0_5tupleIJSF_S6_EEENSQ_IJSG_SG_EEES6_PlJS6_EEE10hipError_tPvRmT3_T4_T5_T6_T7_T9_mT8_P12ihipStream_tbDpT10_ENKUlT_T0_E_clISt17integral_constantIbLb0EES1D_EEDaS18_S19_EUlS18_E_NS1_11comp_targetILNS1_3genE3ELNS1_11target_archE908ELNS1_3gpuE7ELNS1_3repE0EEENS1_30default_config_static_selectorELNS0_4arch9wavefront6targetE0EEEvT1_, .Lfunc_end2528-_ZN7rocprim17ROCPRIM_400000_NS6detail17trampoline_kernelINS0_14default_configENS1_25partition_config_selectorILNS1_17partition_subalgoE5EiNS0_10empty_typeEbEEZZNS1_14partition_implILS5_5ELb0ES3_mN6thrust23THRUST_200600_302600_NS6detail15normal_iteratorINSA_10device_ptrIiEEEEPS6_NSA_18transform_iteratorINSB_9not_fun_tI7is_trueIiEEENSC_INSD_IbEEEENSA_11use_defaultESO_EENS0_5tupleIJSF_S6_EEENSQ_IJSG_SG_EEES6_PlJS6_EEE10hipError_tPvRmT3_T4_T5_T6_T7_T9_mT8_P12ihipStream_tbDpT10_ENKUlT_T0_E_clISt17integral_constantIbLb0EES1D_EEDaS18_S19_EUlS18_E_NS1_11comp_targetILNS1_3genE3ELNS1_11target_archE908ELNS1_3gpuE7ELNS1_3repE0EEENS1_30default_config_static_selectorELNS0_4arch9wavefront6targetE0EEEvT1_
                                        ; -- End function
	.set _ZN7rocprim17ROCPRIM_400000_NS6detail17trampoline_kernelINS0_14default_configENS1_25partition_config_selectorILNS1_17partition_subalgoE5EiNS0_10empty_typeEbEEZZNS1_14partition_implILS5_5ELb0ES3_mN6thrust23THRUST_200600_302600_NS6detail15normal_iteratorINSA_10device_ptrIiEEEEPS6_NSA_18transform_iteratorINSB_9not_fun_tI7is_trueIiEEENSC_INSD_IbEEEENSA_11use_defaultESO_EENS0_5tupleIJSF_S6_EEENSQ_IJSG_SG_EEES6_PlJS6_EEE10hipError_tPvRmT3_T4_T5_T6_T7_T9_mT8_P12ihipStream_tbDpT10_ENKUlT_T0_E_clISt17integral_constantIbLb0EES1D_EEDaS18_S19_EUlS18_E_NS1_11comp_targetILNS1_3genE3ELNS1_11target_archE908ELNS1_3gpuE7ELNS1_3repE0EEENS1_30default_config_static_selectorELNS0_4arch9wavefront6targetE0EEEvT1_.num_vgpr, 0
	.set _ZN7rocprim17ROCPRIM_400000_NS6detail17trampoline_kernelINS0_14default_configENS1_25partition_config_selectorILNS1_17partition_subalgoE5EiNS0_10empty_typeEbEEZZNS1_14partition_implILS5_5ELb0ES3_mN6thrust23THRUST_200600_302600_NS6detail15normal_iteratorINSA_10device_ptrIiEEEEPS6_NSA_18transform_iteratorINSB_9not_fun_tI7is_trueIiEEENSC_INSD_IbEEEENSA_11use_defaultESO_EENS0_5tupleIJSF_S6_EEENSQ_IJSG_SG_EEES6_PlJS6_EEE10hipError_tPvRmT3_T4_T5_T6_T7_T9_mT8_P12ihipStream_tbDpT10_ENKUlT_T0_E_clISt17integral_constantIbLb0EES1D_EEDaS18_S19_EUlS18_E_NS1_11comp_targetILNS1_3genE3ELNS1_11target_archE908ELNS1_3gpuE7ELNS1_3repE0EEENS1_30default_config_static_selectorELNS0_4arch9wavefront6targetE0EEEvT1_.num_agpr, 0
	.set _ZN7rocprim17ROCPRIM_400000_NS6detail17trampoline_kernelINS0_14default_configENS1_25partition_config_selectorILNS1_17partition_subalgoE5EiNS0_10empty_typeEbEEZZNS1_14partition_implILS5_5ELb0ES3_mN6thrust23THRUST_200600_302600_NS6detail15normal_iteratorINSA_10device_ptrIiEEEEPS6_NSA_18transform_iteratorINSB_9not_fun_tI7is_trueIiEEENSC_INSD_IbEEEENSA_11use_defaultESO_EENS0_5tupleIJSF_S6_EEENSQ_IJSG_SG_EEES6_PlJS6_EEE10hipError_tPvRmT3_T4_T5_T6_T7_T9_mT8_P12ihipStream_tbDpT10_ENKUlT_T0_E_clISt17integral_constantIbLb0EES1D_EEDaS18_S19_EUlS18_E_NS1_11comp_targetILNS1_3genE3ELNS1_11target_archE908ELNS1_3gpuE7ELNS1_3repE0EEENS1_30default_config_static_selectorELNS0_4arch9wavefront6targetE0EEEvT1_.numbered_sgpr, 0
	.set _ZN7rocprim17ROCPRIM_400000_NS6detail17trampoline_kernelINS0_14default_configENS1_25partition_config_selectorILNS1_17partition_subalgoE5EiNS0_10empty_typeEbEEZZNS1_14partition_implILS5_5ELb0ES3_mN6thrust23THRUST_200600_302600_NS6detail15normal_iteratorINSA_10device_ptrIiEEEEPS6_NSA_18transform_iteratorINSB_9not_fun_tI7is_trueIiEEENSC_INSD_IbEEEENSA_11use_defaultESO_EENS0_5tupleIJSF_S6_EEENSQ_IJSG_SG_EEES6_PlJS6_EEE10hipError_tPvRmT3_T4_T5_T6_T7_T9_mT8_P12ihipStream_tbDpT10_ENKUlT_T0_E_clISt17integral_constantIbLb0EES1D_EEDaS18_S19_EUlS18_E_NS1_11comp_targetILNS1_3genE3ELNS1_11target_archE908ELNS1_3gpuE7ELNS1_3repE0EEENS1_30default_config_static_selectorELNS0_4arch9wavefront6targetE0EEEvT1_.num_named_barrier, 0
	.set _ZN7rocprim17ROCPRIM_400000_NS6detail17trampoline_kernelINS0_14default_configENS1_25partition_config_selectorILNS1_17partition_subalgoE5EiNS0_10empty_typeEbEEZZNS1_14partition_implILS5_5ELb0ES3_mN6thrust23THRUST_200600_302600_NS6detail15normal_iteratorINSA_10device_ptrIiEEEEPS6_NSA_18transform_iteratorINSB_9not_fun_tI7is_trueIiEEENSC_INSD_IbEEEENSA_11use_defaultESO_EENS0_5tupleIJSF_S6_EEENSQ_IJSG_SG_EEES6_PlJS6_EEE10hipError_tPvRmT3_T4_T5_T6_T7_T9_mT8_P12ihipStream_tbDpT10_ENKUlT_T0_E_clISt17integral_constantIbLb0EES1D_EEDaS18_S19_EUlS18_E_NS1_11comp_targetILNS1_3genE3ELNS1_11target_archE908ELNS1_3gpuE7ELNS1_3repE0EEENS1_30default_config_static_selectorELNS0_4arch9wavefront6targetE0EEEvT1_.private_seg_size, 0
	.set _ZN7rocprim17ROCPRIM_400000_NS6detail17trampoline_kernelINS0_14default_configENS1_25partition_config_selectorILNS1_17partition_subalgoE5EiNS0_10empty_typeEbEEZZNS1_14partition_implILS5_5ELb0ES3_mN6thrust23THRUST_200600_302600_NS6detail15normal_iteratorINSA_10device_ptrIiEEEEPS6_NSA_18transform_iteratorINSB_9not_fun_tI7is_trueIiEEENSC_INSD_IbEEEENSA_11use_defaultESO_EENS0_5tupleIJSF_S6_EEENSQ_IJSG_SG_EEES6_PlJS6_EEE10hipError_tPvRmT3_T4_T5_T6_T7_T9_mT8_P12ihipStream_tbDpT10_ENKUlT_T0_E_clISt17integral_constantIbLb0EES1D_EEDaS18_S19_EUlS18_E_NS1_11comp_targetILNS1_3genE3ELNS1_11target_archE908ELNS1_3gpuE7ELNS1_3repE0EEENS1_30default_config_static_selectorELNS0_4arch9wavefront6targetE0EEEvT1_.uses_vcc, 0
	.set _ZN7rocprim17ROCPRIM_400000_NS6detail17trampoline_kernelINS0_14default_configENS1_25partition_config_selectorILNS1_17partition_subalgoE5EiNS0_10empty_typeEbEEZZNS1_14partition_implILS5_5ELb0ES3_mN6thrust23THRUST_200600_302600_NS6detail15normal_iteratorINSA_10device_ptrIiEEEEPS6_NSA_18transform_iteratorINSB_9not_fun_tI7is_trueIiEEENSC_INSD_IbEEEENSA_11use_defaultESO_EENS0_5tupleIJSF_S6_EEENSQ_IJSG_SG_EEES6_PlJS6_EEE10hipError_tPvRmT3_T4_T5_T6_T7_T9_mT8_P12ihipStream_tbDpT10_ENKUlT_T0_E_clISt17integral_constantIbLb0EES1D_EEDaS18_S19_EUlS18_E_NS1_11comp_targetILNS1_3genE3ELNS1_11target_archE908ELNS1_3gpuE7ELNS1_3repE0EEENS1_30default_config_static_selectorELNS0_4arch9wavefront6targetE0EEEvT1_.uses_flat_scratch, 0
	.set _ZN7rocprim17ROCPRIM_400000_NS6detail17trampoline_kernelINS0_14default_configENS1_25partition_config_selectorILNS1_17partition_subalgoE5EiNS0_10empty_typeEbEEZZNS1_14partition_implILS5_5ELb0ES3_mN6thrust23THRUST_200600_302600_NS6detail15normal_iteratorINSA_10device_ptrIiEEEEPS6_NSA_18transform_iteratorINSB_9not_fun_tI7is_trueIiEEENSC_INSD_IbEEEENSA_11use_defaultESO_EENS0_5tupleIJSF_S6_EEENSQ_IJSG_SG_EEES6_PlJS6_EEE10hipError_tPvRmT3_T4_T5_T6_T7_T9_mT8_P12ihipStream_tbDpT10_ENKUlT_T0_E_clISt17integral_constantIbLb0EES1D_EEDaS18_S19_EUlS18_E_NS1_11comp_targetILNS1_3genE3ELNS1_11target_archE908ELNS1_3gpuE7ELNS1_3repE0EEENS1_30default_config_static_selectorELNS0_4arch9wavefront6targetE0EEEvT1_.has_dyn_sized_stack, 0
	.set _ZN7rocprim17ROCPRIM_400000_NS6detail17trampoline_kernelINS0_14default_configENS1_25partition_config_selectorILNS1_17partition_subalgoE5EiNS0_10empty_typeEbEEZZNS1_14partition_implILS5_5ELb0ES3_mN6thrust23THRUST_200600_302600_NS6detail15normal_iteratorINSA_10device_ptrIiEEEEPS6_NSA_18transform_iteratorINSB_9not_fun_tI7is_trueIiEEENSC_INSD_IbEEEENSA_11use_defaultESO_EENS0_5tupleIJSF_S6_EEENSQ_IJSG_SG_EEES6_PlJS6_EEE10hipError_tPvRmT3_T4_T5_T6_T7_T9_mT8_P12ihipStream_tbDpT10_ENKUlT_T0_E_clISt17integral_constantIbLb0EES1D_EEDaS18_S19_EUlS18_E_NS1_11comp_targetILNS1_3genE3ELNS1_11target_archE908ELNS1_3gpuE7ELNS1_3repE0EEENS1_30default_config_static_selectorELNS0_4arch9wavefront6targetE0EEEvT1_.has_recursion, 0
	.set _ZN7rocprim17ROCPRIM_400000_NS6detail17trampoline_kernelINS0_14default_configENS1_25partition_config_selectorILNS1_17partition_subalgoE5EiNS0_10empty_typeEbEEZZNS1_14partition_implILS5_5ELb0ES3_mN6thrust23THRUST_200600_302600_NS6detail15normal_iteratorINSA_10device_ptrIiEEEEPS6_NSA_18transform_iteratorINSB_9not_fun_tI7is_trueIiEEENSC_INSD_IbEEEENSA_11use_defaultESO_EENS0_5tupleIJSF_S6_EEENSQ_IJSG_SG_EEES6_PlJS6_EEE10hipError_tPvRmT3_T4_T5_T6_T7_T9_mT8_P12ihipStream_tbDpT10_ENKUlT_T0_E_clISt17integral_constantIbLb0EES1D_EEDaS18_S19_EUlS18_E_NS1_11comp_targetILNS1_3genE3ELNS1_11target_archE908ELNS1_3gpuE7ELNS1_3repE0EEENS1_30default_config_static_selectorELNS0_4arch9wavefront6targetE0EEEvT1_.has_indirect_call, 0
	.section	.AMDGPU.csdata,"",@progbits
; Kernel info:
; codeLenInByte = 0
; TotalNumSgprs: 0
; NumVgprs: 0
; ScratchSize: 0
; MemoryBound: 0
; FloatMode: 240
; IeeeMode: 1
; LDSByteSize: 0 bytes/workgroup (compile time only)
; SGPRBlocks: 0
; VGPRBlocks: 0
; NumSGPRsForWavesPerEU: 1
; NumVGPRsForWavesPerEU: 1
; Occupancy: 16
; WaveLimiterHint : 0
; COMPUTE_PGM_RSRC2:SCRATCH_EN: 0
; COMPUTE_PGM_RSRC2:USER_SGPR: 2
; COMPUTE_PGM_RSRC2:TRAP_HANDLER: 0
; COMPUTE_PGM_RSRC2:TGID_X_EN: 1
; COMPUTE_PGM_RSRC2:TGID_Y_EN: 0
; COMPUTE_PGM_RSRC2:TGID_Z_EN: 0
; COMPUTE_PGM_RSRC2:TIDIG_COMP_CNT: 0
	.section	.text._ZN7rocprim17ROCPRIM_400000_NS6detail17trampoline_kernelINS0_14default_configENS1_25partition_config_selectorILNS1_17partition_subalgoE5EiNS0_10empty_typeEbEEZZNS1_14partition_implILS5_5ELb0ES3_mN6thrust23THRUST_200600_302600_NS6detail15normal_iteratorINSA_10device_ptrIiEEEEPS6_NSA_18transform_iteratorINSB_9not_fun_tI7is_trueIiEEENSC_INSD_IbEEEENSA_11use_defaultESO_EENS0_5tupleIJSF_S6_EEENSQ_IJSG_SG_EEES6_PlJS6_EEE10hipError_tPvRmT3_T4_T5_T6_T7_T9_mT8_P12ihipStream_tbDpT10_ENKUlT_T0_E_clISt17integral_constantIbLb0EES1D_EEDaS18_S19_EUlS18_E_NS1_11comp_targetILNS1_3genE2ELNS1_11target_archE906ELNS1_3gpuE6ELNS1_3repE0EEENS1_30default_config_static_selectorELNS0_4arch9wavefront6targetE0EEEvT1_,"axG",@progbits,_ZN7rocprim17ROCPRIM_400000_NS6detail17trampoline_kernelINS0_14default_configENS1_25partition_config_selectorILNS1_17partition_subalgoE5EiNS0_10empty_typeEbEEZZNS1_14partition_implILS5_5ELb0ES3_mN6thrust23THRUST_200600_302600_NS6detail15normal_iteratorINSA_10device_ptrIiEEEEPS6_NSA_18transform_iteratorINSB_9not_fun_tI7is_trueIiEEENSC_INSD_IbEEEENSA_11use_defaultESO_EENS0_5tupleIJSF_S6_EEENSQ_IJSG_SG_EEES6_PlJS6_EEE10hipError_tPvRmT3_T4_T5_T6_T7_T9_mT8_P12ihipStream_tbDpT10_ENKUlT_T0_E_clISt17integral_constantIbLb0EES1D_EEDaS18_S19_EUlS18_E_NS1_11comp_targetILNS1_3genE2ELNS1_11target_archE906ELNS1_3gpuE6ELNS1_3repE0EEENS1_30default_config_static_selectorELNS0_4arch9wavefront6targetE0EEEvT1_,comdat
	.protected	_ZN7rocprim17ROCPRIM_400000_NS6detail17trampoline_kernelINS0_14default_configENS1_25partition_config_selectorILNS1_17partition_subalgoE5EiNS0_10empty_typeEbEEZZNS1_14partition_implILS5_5ELb0ES3_mN6thrust23THRUST_200600_302600_NS6detail15normal_iteratorINSA_10device_ptrIiEEEEPS6_NSA_18transform_iteratorINSB_9not_fun_tI7is_trueIiEEENSC_INSD_IbEEEENSA_11use_defaultESO_EENS0_5tupleIJSF_S6_EEENSQ_IJSG_SG_EEES6_PlJS6_EEE10hipError_tPvRmT3_T4_T5_T6_T7_T9_mT8_P12ihipStream_tbDpT10_ENKUlT_T0_E_clISt17integral_constantIbLb0EES1D_EEDaS18_S19_EUlS18_E_NS1_11comp_targetILNS1_3genE2ELNS1_11target_archE906ELNS1_3gpuE6ELNS1_3repE0EEENS1_30default_config_static_selectorELNS0_4arch9wavefront6targetE0EEEvT1_ ; -- Begin function _ZN7rocprim17ROCPRIM_400000_NS6detail17trampoline_kernelINS0_14default_configENS1_25partition_config_selectorILNS1_17partition_subalgoE5EiNS0_10empty_typeEbEEZZNS1_14partition_implILS5_5ELb0ES3_mN6thrust23THRUST_200600_302600_NS6detail15normal_iteratorINSA_10device_ptrIiEEEEPS6_NSA_18transform_iteratorINSB_9not_fun_tI7is_trueIiEEENSC_INSD_IbEEEENSA_11use_defaultESO_EENS0_5tupleIJSF_S6_EEENSQ_IJSG_SG_EEES6_PlJS6_EEE10hipError_tPvRmT3_T4_T5_T6_T7_T9_mT8_P12ihipStream_tbDpT10_ENKUlT_T0_E_clISt17integral_constantIbLb0EES1D_EEDaS18_S19_EUlS18_E_NS1_11comp_targetILNS1_3genE2ELNS1_11target_archE906ELNS1_3gpuE6ELNS1_3repE0EEENS1_30default_config_static_selectorELNS0_4arch9wavefront6targetE0EEEvT1_
	.globl	_ZN7rocprim17ROCPRIM_400000_NS6detail17trampoline_kernelINS0_14default_configENS1_25partition_config_selectorILNS1_17partition_subalgoE5EiNS0_10empty_typeEbEEZZNS1_14partition_implILS5_5ELb0ES3_mN6thrust23THRUST_200600_302600_NS6detail15normal_iteratorINSA_10device_ptrIiEEEEPS6_NSA_18transform_iteratorINSB_9not_fun_tI7is_trueIiEEENSC_INSD_IbEEEENSA_11use_defaultESO_EENS0_5tupleIJSF_S6_EEENSQ_IJSG_SG_EEES6_PlJS6_EEE10hipError_tPvRmT3_T4_T5_T6_T7_T9_mT8_P12ihipStream_tbDpT10_ENKUlT_T0_E_clISt17integral_constantIbLb0EES1D_EEDaS18_S19_EUlS18_E_NS1_11comp_targetILNS1_3genE2ELNS1_11target_archE906ELNS1_3gpuE6ELNS1_3repE0EEENS1_30default_config_static_selectorELNS0_4arch9wavefront6targetE0EEEvT1_
	.p2align	8
	.type	_ZN7rocprim17ROCPRIM_400000_NS6detail17trampoline_kernelINS0_14default_configENS1_25partition_config_selectorILNS1_17partition_subalgoE5EiNS0_10empty_typeEbEEZZNS1_14partition_implILS5_5ELb0ES3_mN6thrust23THRUST_200600_302600_NS6detail15normal_iteratorINSA_10device_ptrIiEEEEPS6_NSA_18transform_iteratorINSB_9not_fun_tI7is_trueIiEEENSC_INSD_IbEEEENSA_11use_defaultESO_EENS0_5tupleIJSF_S6_EEENSQ_IJSG_SG_EEES6_PlJS6_EEE10hipError_tPvRmT3_T4_T5_T6_T7_T9_mT8_P12ihipStream_tbDpT10_ENKUlT_T0_E_clISt17integral_constantIbLb0EES1D_EEDaS18_S19_EUlS18_E_NS1_11comp_targetILNS1_3genE2ELNS1_11target_archE906ELNS1_3gpuE6ELNS1_3repE0EEENS1_30default_config_static_selectorELNS0_4arch9wavefront6targetE0EEEvT1_,@function
_ZN7rocprim17ROCPRIM_400000_NS6detail17trampoline_kernelINS0_14default_configENS1_25partition_config_selectorILNS1_17partition_subalgoE5EiNS0_10empty_typeEbEEZZNS1_14partition_implILS5_5ELb0ES3_mN6thrust23THRUST_200600_302600_NS6detail15normal_iteratorINSA_10device_ptrIiEEEEPS6_NSA_18transform_iteratorINSB_9not_fun_tI7is_trueIiEEENSC_INSD_IbEEEENSA_11use_defaultESO_EENS0_5tupleIJSF_S6_EEENSQ_IJSG_SG_EEES6_PlJS6_EEE10hipError_tPvRmT3_T4_T5_T6_T7_T9_mT8_P12ihipStream_tbDpT10_ENKUlT_T0_E_clISt17integral_constantIbLb0EES1D_EEDaS18_S19_EUlS18_E_NS1_11comp_targetILNS1_3genE2ELNS1_11target_archE906ELNS1_3gpuE6ELNS1_3repE0EEENS1_30default_config_static_selectorELNS0_4arch9wavefront6targetE0EEEvT1_: ; @_ZN7rocprim17ROCPRIM_400000_NS6detail17trampoline_kernelINS0_14default_configENS1_25partition_config_selectorILNS1_17partition_subalgoE5EiNS0_10empty_typeEbEEZZNS1_14partition_implILS5_5ELb0ES3_mN6thrust23THRUST_200600_302600_NS6detail15normal_iteratorINSA_10device_ptrIiEEEEPS6_NSA_18transform_iteratorINSB_9not_fun_tI7is_trueIiEEENSC_INSD_IbEEEENSA_11use_defaultESO_EENS0_5tupleIJSF_S6_EEENSQ_IJSG_SG_EEES6_PlJS6_EEE10hipError_tPvRmT3_T4_T5_T6_T7_T9_mT8_P12ihipStream_tbDpT10_ENKUlT_T0_E_clISt17integral_constantIbLb0EES1D_EEDaS18_S19_EUlS18_E_NS1_11comp_targetILNS1_3genE2ELNS1_11target_archE906ELNS1_3gpuE6ELNS1_3repE0EEENS1_30default_config_static_selectorELNS0_4arch9wavefront6targetE0EEEvT1_
; %bb.0:
	.section	.rodata,"a",@progbits
	.p2align	6, 0x0
	.amdhsa_kernel _ZN7rocprim17ROCPRIM_400000_NS6detail17trampoline_kernelINS0_14default_configENS1_25partition_config_selectorILNS1_17partition_subalgoE5EiNS0_10empty_typeEbEEZZNS1_14partition_implILS5_5ELb0ES3_mN6thrust23THRUST_200600_302600_NS6detail15normal_iteratorINSA_10device_ptrIiEEEEPS6_NSA_18transform_iteratorINSB_9not_fun_tI7is_trueIiEEENSC_INSD_IbEEEENSA_11use_defaultESO_EENS0_5tupleIJSF_S6_EEENSQ_IJSG_SG_EEES6_PlJS6_EEE10hipError_tPvRmT3_T4_T5_T6_T7_T9_mT8_P12ihipStream_tbDpT10_ENKUlT_T0_E_clISt17integral_constantIbLb0EES1D_EEDaS18_S19_EUlS18_E_NS1_11comp_targetILNS1_3genE2ELNS1_11target_archE906ELNS1_3gpuE6ELNS1_3repE0EEENS1_30default_config_static_selectorELNS0_4arch9wavefront6targetE0EEEvT1_
		.amdhsa_group_segment_fixed_size 0
		.amdhsa_private_segment_fixed_size 0
		.amdhsa_kernarg_size 120
		.amdhsa_user_sgpr_count 2
		.amdhsa_user_sgpr_dispatch_ptr 0
		.amdhsa_user_sgpr_queue_ptr 0
		.amdhsa_user_sgpr_kernarg_segment_ptr 1
		.amdhsa_user_sgpr_dispatch_id 0
		.amdhsa_user_sgpr_private_segment_size 0
		.amdhsa_wavefront_size32 1
		.amdhsa_uses_dynamic_stack 0
		.amdhsa_enable_private_segment 0
		.amdhsa_system_sgpr_workgroup_id_x 1
		.amdhsa_system_sgpr_workgroup_id_y 0
		.amdhsa_system_sgpr_workgroup_id_z 0
		.amdhsa_system_sgpr_workgroup_info 0
		.amdhsa_system_vgpr_workitem_id 0
		.amdhsa_next_free_vgpr 1
		.amdhsa_next_free_sgpr 1
		.amdhsa_reserve_vcc 0
		.amdhsa_float_round_mode_32 0
		.amdhsa_float_round_mode_16_64 0
		.amdhsa_float_denorm_mode_32 3
		.amdhsa_float_denorm_mode_16_64 3
		.amdhsa_fp16_overflow 0
		.amdhsa_workgroup_processor_mode 1
		.amdhsa_memory_ordered 1
		.amdhsa_forward_progress 1
		.amdhsa_inst_pref_size 0
		.amdhsa_round_robin_scheduling 0
		.amdhsa_exception_fp_ieee_invalid_op 0
		.amdhsa_exception_fp_denorm_src 0
		.amdhsa_exception_fp_ieee_div_zero 0
		.amdhsa_exception_fp_ieee_overflow 0
		.amdhsa_exception_fp_ieee_underflow 0
		.amdhsa_exception_fp_ieee_inexact 0
		.amdhsa_exception_int_div_zero 0
	.end_amdhsa_kernel
	.section	.text._ZN7rocprim17ROCPRIM_400000_NS6detail17trampoline_kernelINS0_14default_configENS1_25partition_config_selectorILNS1_17partition_subalgoE5EiNS0_10empty_typeEbEEZZNS1_14partition_implILS5_5ELb0ES3_mN6thrust23THRUST_200600_302600_NS6detail15normal_iteratorINSA_10device_ptrIiEEEEPS6_NSA_18transform_iteratorINSB_9not_fun_tI7is_trueIiEEENSC_INSD_IbEEEENSA_11use_defaultESO_EENS0_5tupleIJSF_S6_EEENSQ_IJSG_SG_EEES6_PlJS6_EEE10hipError_tPvRmT3_T4_T5_T6_T7_T9_mT8_P12ihipStream_tbDpT10_ENKUlT_T0_E_clISt17integral_constantIbLb0EES1D_EEDaS18_S19_EUlS18_E_NS1_11comp_targetILNS1_3genE2ELNS1_11target_archE906ELNS1_3gpuE6ELNS1_3repE0EEENS1_30default_config_static_selectorELNS0_4arch9wavefront6targetE0EEEvT1_,"axG",@progbits,_ZN7rocprim17ROCPRIM_400000_NS6detail17trampoline_kernelINS0_14default_configENS1_25partition_config_selectorILNS1_17partition_subalgoE5EiNS0_10empty_typeEbEEZZNS1_14partition_implILS5_5ELb0ES3_mN6thrust23THRUST_200600_302600_NS6detail15normal_iteratorINSA_10device_ptrIiEEEEPS6_NSA_18transform_iteratorINSB_9not_fun_tI7is_trueIiEEENSC_INSD_IbEEEENSA_11use_defaultESO_EENS0_5tupleIJSF_S6_EEENSQ_IJSG_SG_EEES6_PlJS6_EEE10hipError_tPvRmT3_T4_T5_T6_T7_T9_mT8_P12ihipStream_tbDpT10_ENKUlT_T0_E_clISt17integral_constantIbLb0EES1D_EEDaS18_S19_EUlS18_E_NS1_11comp_targetILNS1_3genE2ELNS1_11target_archE906ELNS1_3gpuE6ELNS1_3repE0EEENS1_30default_config_static_selectorELNS0_4arch9wavefront6targetE0EEEvT1_,comdat
.Lfunc_end2529:
	.size	_ZN7rocprim17ROCPRIM_400000_NS6detail17trampoline_kernelINS0_14default_configENS1_25partition_config_selectorILNS1_17partition_subalgoE5EiNS0_10empty_typeEbEEZZNS1_14partition_implILS5_5ELb0ES3_mN6thrust23THRUST_200600_302600_NS6detail15normal_iteratorINSA_10device_ptrIiEEEEPS6_NSA_18transform_iteratorINSB_9not_fun_tI7is_trueIiEEENSC_INSD_IbEEEENSA_11use_defaultESO_EENS0_5tupleIJSF_S6_EEENSQ_IJSG_SG_EEES6_PlJS6_EEE10hipError_tPvRmT3_T4_T5_T6_T7_T9_mT8_P12ihipStream_tbDpT10_ENKUlT_T0_E_clISt17integral_constantIbLb0EES1D_EEDaS18_S19_EUlS18_E_NS1_11comp_targetILNS1_3genE2ELNS1_11target_archE906ELNS1_3gpuE6ELNS1_3repE0EEENS1_30default_config_static_selectorELNS0_4arch9wavefront6targetE0EEEvT1_, .Lfunc_end2529-_ZN7rocprim17ROCPRIM_400000_NS6detail17trampoline_kernelINS0_14default_configENS1_25partition_config_selectorILNS1_17partition_subalgoE5EiNS0_10empty_typeEbEEZZNS1_14partition_implILS5_5ELb0ES3_mN6thrust23THRUST_200600_302600_NS6detail15normal_iteratorINSA_10device_ptrIiEEEEPS6_NSA_18transform_iteratorINSB_9not_fun_tI7is_trueIiEEENSC_INSD_IbEEEENSA_11use_defaultESO_EENS0_5tupleIJSF_S6_EEENSQ_IJSG_SG_EEES6_PlJS6_EEE10hipError_tPvRmT3_T4_T5_T6_T7_T9_mT8_P12ihipStream_tbDpT10_ENKUlT_T0_E_clISt17integral_constantIbLb0EES1D_EEDaS18_S19_EUlS18_E_NS1_11comp_targetILNS1_3genE2ELNS1_11target_archE906ELNS1_3gpuE6ELNS1_3repE0EEENS1_30default_config_static_selectorELNS0_4arch9wavefront6targetE0EEEvT1_
                                        ; -- End function
	.set _ZN7rocprim17ROCPRIM_400000_NS6detail17trampoline_kernelINS0_14default_configENS1_25partition_config_selectorILNS1_17partition_subalgoE5EiNS0_10empty_typeEbEEZZNS1_14partition_implILS5_5ELb0ES3_mN6thrust23THRUST_200600_302600_NS6detail15normal_iteratorINSA_10device_ptrIiEEEEPS6_NSA_18transform_iteratorINSB_9not_fun_tI7is_trueIiEEENSC_INSD_IbEEEENSA_11use_defaultESO_EENS0_5tupleIJSF_S6_EEENSQ_IJSG_SG_EEES6_PlJS6_EEE10hipError_tPvRmT3_T4_T5_T6_T7_T9_mT8_P12ihipStream_tbDpT10_ENKUlT_T0_E_clISt17integral_constantIbLb0EES1D_EEDaS18_S19_EUlS18_E_NS1_11comp_targetILNS1_3genE2ELNS1_11target_archE906ELNS1_3gpuE6ELNS1_3repE0EEENS1_30default_config_static_selectorELNS0_4arch9wavefront6targetE0EEEvT1_.num_vgpr, 0
	.set _ZN7rocprim17ROCPRIM_400000_NS6detail17trampoline_kernelINS0_14default_configENS1_25partition_config_selectorILNS1_17partition_subalgoE5EiNS0_10empty_typeEbEEZZNS1_14partition_implILS5_5ELb0ES3_mN6thrust23THRUST_200600_302600_NS6detail15normal_iteratorINSA_10device_ptrIiEEEEPS6_NSA_18transform_iteratorINSB_9not_fun_tI7is_trueIiEEENSC_INSD_IbEEEENSA_11use_defaultESO_EENS0_5tupleIJSF_S6_EEENSQ_IJSG_SG_EEES6_PlJS6_EEE10hipError_tPvRmT3_T4_T5_T6_T7_T9_mT8_P12ihipStream_tbDpT10_ENKUlT_T0_E_clISt17integral_constantIbLb0EES1D_EEDaS18_S19_EUlS18_E_NS1_11comp_targetILNS1_3genE2ELNS1_11target_archE906ELNS1_3gpuE6ELNS1_3repE0EEENS1_30default_config_static_selectorELNS0_4arch9wavefront6targetE0EEEvT1_.num_agpr, 0
	.set _ZN7rocprim17ROCPRIM_400000_NS6detail17trampoline_kernelINS0_14default_configENS1_25partition_config_selectorILNS1_17partition_subalgoE5EiNS0_10empty_typeEbEEZZNS1_14partition_implILS5_5ELb0ES3_mN6thrust23THRUST_200600_302600_NS6detail15normal_iteratorINSA_10device_ptrIiEEEEPS6_NSA_18transform_iteratorINSB_9not_fun_tI7is_trueIiEEENSC_INSD_IbEEEENSA_11use_defaultESO_EENS0_5tupleIJSF_S6_EEENSQ_IJSG_SG_EEES6_PlJS6_EEE10hipError_tPvRmT3_T4_T5_T6_T7_T9_mT8_P12ihipStream_tbDpT10_ENKUlT_T0_E_clISt17integral_constantIbLb0EES1D_EEDaS18_S19_EUlS18_E_NS1_11comp_targetILNS1_3genE2ELNS1_11target_archE906ELNS1_3gpuE6ELNS1_3repE0EEENS1_30default_config_static_selectorELNS0_4arch9wavefront6targetE0EEEvT1_.numbered_sgpr, 0
	.set _ZN7rocprim17ROCPRIM_400000_NS6detail17trampoline_kernelINS0_14default_configENS1_25partition_config_selectorILNS1_17partition_subalgoE5EiNS0_10empty_typeEbEEZZNS1_14partition_implILS5_5ELb0ES3_mN6thrust23THRUST_200600_302600_NS6detail15normal_iteratorINSA_10device_ptrIiEEEEPS6_NSA_18transform_iteratorINSB_9not_fun_tI7is_trueIiEEENSC_INSD_IbEEEENSA_11use_defaultESO_EENS0_5tupleIJSF_S6_EEENSQ_IJSG_SG_EEES6_PlJS6_EEE10hipError_tPvRmT3_T4_T5_T6_T7_T9_mT8_P12ihipStream_tbDpT10_ENKUlT_T0_E_clISt17integral_constantIbLb0EES1D_EEDaS18_S19_EUlS18_E_NS1_11comp_targetILNS1_3genE2ELNS1_11target_archE906ELNS1_3gpuE6ELNS1_3repE0EEENS1_30default_config_static_selectorELNS0_4arch9wavefront6targetE0EEEvT1_.num_named_barrier, 0
	.set _ZN7rocprim17ROCPRIM_400000_NS6detail17trampoline_kernelINS0_14default_configENS1_25partition_config_selectorILNS1_17partition_subalgoE5EiNS0_10empty_typeEbEEZZNS1_14partition_implILS5_5ELb0ES3_mN6thrust23THRUST_200600_302600_NS6detail15normal_iteratorINSA_10device_ptrIiEEEEPS6_NSA_18transform_iteratorINSB_9not_fun_tI7is_trueIiEEENSC_INSD_IbEEEENSA_11use_defaultESO_EENS0_5tupleIJSF_S6_EEENSQ_IJSG_SG_EEES6_PlJS6_EEE10hipError_tPvRmT3_T4_T5_T6_T7_T9_mT8_P12ihipStream_tbDpT10_ENKUlT_T0_E_clISt17integral_constantIbLb0EES1D_EEDaS18_S19_EUlS18_E_NS1_11comp_targetILNS1_3genE2ELNS1_11target_archE906ELNS1_3gpuE6ELNS1_3repE0EEENS1_30default_config_static_selectorELNS0_4arch9wavefront6targetE0EEEvT1_.private_seg_size, 0
	.set _ZN7rocprim17ROCPRIM_400000_NS6detail17trampoline_kernelINS0_14default_configENS1_25partition_config_selectorILNS1_17partition_subalgoE5EiNS0_10empty_typeEbEEZZNS1_14partition_implILS5_5ELb0ES3_mN6thrust23THRUST_200600_302600_NS6detail15normal_iteratorINSA_10device_ptrIiEEEEPS6_NSA_18transform_iteratorINSB_9not_fun_tI7is_trueIiEEENSC_INSD_IbEEEENSA_11use_defaultESO_EENS0_5tupleIJSF_S6_EEENSQ_IJSG_SG_EEES6_PlJS6_EEE10hipError_tPvRmT3_T4_T5_T6_T7_T9_mT8_P12ihipStream_tbDpT10_ENKUlT_T0_E_clISt17integral_constantIbLb0EES1D_EEDaS18_S19_EUlS18_E_NS1_11comp_targetILNS1_3genE2ELNS1_11target_archE906ELNS1_3gpuE6ELNS1_3repE0EEENS1_30default_config_static_selectorELNS0_4arch9wavefront6targetE0EEEvT1_.uses_vcc, 0
	.set _ZN7rocprim17ROCPRIM_400000_NS6detail17trampoline_kernelINS0_14default_configENS1_25partition_config_selectorILNS1_17partition_subalgoE5EiNS0_10empty_typeEbEEZZNS1_14partition_implILS5_5ELb0ES3_mN6thrust23THRUST_200600_302600_NS6detail15normal_iteratorINSA_10device_ptrIiEEEEPS6_NSA_18transform_iteratorINSB_9not_fun_tI7is_trueIiEEENSC_INSD_IbEEEENSA_11use_defaultESO_EENS0_5tupleIJSF_S6_EEENSQ_IJSG_SG_EEES6_PlJS6_EEE10hipError_tPvRmT3_T4_T5_T6_T7_T9_mT8_P12ihipStream_tbDpT10_ENKUlT_T0_E_clISt17integral_constantIbLb0EES1D_EEDaS18_S19_EUlS18_E_NS1_11comp_targetILNS1_3genE2ELNS1_11target_archE906ELNS1_3gpuE6ELNS1_3repE0EEENS1_30default_config_static_selectorELNS0_4arch9wavefront6targetE0EEEvT1_.uses_flat_scratch, 0
	.set _ZN7rocprim17ROCPRIM_400000_NS6detail17trampoline_kernelINS0_14default_configENS1_25partition_config_selectorILNS1_17partition_subalgoE5EiNS0_10empty_typeEbEEZZNS1_14partition_implILS5_5ELb0ES3_mN6thrust23THRUST_200600_302600_NS6detail15normal_iteratorINSA_10device_ptrIiEEEEPS6_NSA_18transform_iteratorINSB_9not_fun_tI7is_trueIiEEENSC_INSD_IbEEEENSA_11use_defaultESO_EENS0_5tupleIJSF_S6_EEENSQ_IJSG_SG_EEES6_PlJS6_EEE10hipError_tPvRmT3_T4_T5_T6_T7_T9_mT8_P12ihipStream_tbDpT10_ENKUlT_T0_E_clISt17integral_constantIbLb0EES1D_EEDaS18_S19_EUlS18_E_NS1_11comp_targetILNS1_3genE2ELNS1_11target_archE906ELNS1_3gpuE6ELNS1_3repE0EEENS1_30default_config_static_selectorELNS0_4arch9wavefront6targetE0EEEvT1_.has_dyn_sized_stack, 0
	.set _ZN7rocprim17ROCPRIM_400000_NS6detail17trampoline_kernelINS0_14default_configENS1_25partition_config_selectorILNS1_17partition_subalgoE5EiNS0_10empty_typeEbEEZZNS1_14partition_implILS5_5ELb0ES3_mN6thrust23THRUST_200600_302600_NS6detail15normal_iteratorINSA_10device_ptrIiEEEEPS6_NSA_18transform_iteratorINSB_9not_fun_tI7is_trueIiEEENSC_INSD_IbEEEENSA_11use_defaultESO_EENS0_5tupleIJSF_S6_EEENSQ_IJSG_SG_EEES6_PlJS6_EEE10hipError_tPvRmT3_T4_T5_T6_T7_T9_mT8_P12ihipStream_tbDpT10_ENKUlT_T0_E_clISt17integral_constantIbLb0EES1D_EEDaS18_S19_EUlS18_E_NS1_11comp_targetILNS1_3genE2ELNS1_11target_archE906ELNS1_3gpuE6ELNS1_3repE0EEENS1_30default_config_static_selectorELNS0_4arch9wavefront6targetE0EEEvT1_.has_recursion, 0
	.set _ZN7rocprim17ROCPRIM_400000_NS6detail17trampoline_kernelINS0_14default_configENS1_25partition_config_selectorILNS1_17partition_subalgoE5EiNS0_10empty_typeEbEEZZNS1_14partition_implILS5_5ELb0ES3_mN6thrust23THRUST_200600_302600_NS6detail15normal_iteratorINSA_10device_ptrIiEEEEPS6_NSA_18transform_iteratorINSB_9not_fun_tI7is_trueIiEEENSC_INSD_IbEEEENSA_11use_defaultESO_EENS0_5tupleIJSF_S6_EEENSQ_IJSG_SG_EEES6_PlJS6_EEE10hipError_tPvRmT3_T4_T5_T6_T7_T9_mT8_P12ihipStream_tbDpT10_ENKUlT_T0_E_clISt17integral_constantIbLb0EES1D_EEDaS18_S19_EUlS18_E_NS1_11comp_targetILNS1_3genE2ELNS1_11target_archE906ELNS1_3gpuE6ELNS1_3repE0EEENS1_30default_config_static_selectorELNS0_4arch9wavefront6targetE0EEEvT1_.has_indirect_call, 0
	.section	.AMDGPU.csdata,"",@progbits
; Kernel info:
; codeLenInByte = 0
; TotalNumSgprs: 0
; NumVgprs: 0
; ScratchSize: 0
; MemoryBound: 0
; FloatMode: 240
; IeeeMode: 1
; LDSByteSize: 0 bytes/workgroup (compile time only)
; SGPRBlocks: 0
; VGPRBlocks: 0
; NumSGPRsForWavesPerEU: 1
; NumVGPRsForWavesPerEU: 1
; Occupancy: 16
; WaveLimiterHint : 0
; COMPUTE_PGM_RSRC2:SCRATCH_EN: 0
; COMPUTE_PGM_RSRC2:USER_SGPR: 2
; COMPUTE_PGM_RSRC2:TRAP_HANDLER: 0
; COMPUTE_PGM_RSRC2:TGID_X_EN: 1
; COMPUTE_PGM_RSRC2:TGID_Y_EN: 0
; COMPUTE_PGM_RSRC2:TGID_Z_EN: 0
; COMPUTE_PGM_RSRC2:TIDIG_COMP_CNT: 0
	.section	.text._ZN7rocprim17ROCPRIM_400000_NS6detail17trampoline_kernelINS0_14default_configENS1_25partition_config_selectorILNS1_17partition_subalgoE5EiNS0_10empty_typeEbEEZZNS1_14partition_implILS5_5ELb0ES3_mN6thrust23THRUST_200600_302600_NS6detail15normal_iteratorINSA_10device_ptrIiEEEEPS6_NSA_18transform_iteratorINSB_9not_fun_tI7is_trueIiEEENSC_INSD_IbEEEENSA_11use_defaultESO_EENS0_5tupleIJSF_S6_EEENSQ_IJSG_SG_EEES6_PlJS6_EEE10hipError_tPvRmT3_T4_T5_T6_T7_T9_mT8_P12ihipStream_tbDpT10_ENKUlT_T0_E_clISt17integral_constantIbLb0EES1D_EEDaS18_S19_EUlS18_E_NS1_11comp_targetILNS1_3genE10ELNS1_11target_archE1200ELNS1_3gpuE4ELNS1_3repE0EEENS1_30default_config_static_selectorELNS0_4arch9wavefront6targetE0EEEvT1_,"axG",@progbits,_ZN7rocprim17ROCPRIM_400000_NS6detail17trampoline_kernelINS0_14default_configENS1_25partition_config_selectorILNS1_17partition_subalgoE5EiNS0_10empty_typeEbEEZZNS1_14partition_implILS5_5ELb0ES3_mN6thrust23THRUST_200600_302600_NS6detail15normal_iteratorINSA_10device_ptrIiEEEEPS6_NSA_18transform_iteratorINSB_9not_fun_tI7is_trueIiEEENSC_INSD_IbEEEENSA_11use_defaultESO_EENS0_5tupleIJSF_S6_EEENSQ_IJSG_SG_EEES6_PlJS6_EEE10hipError_tPvRmT3_T4_T5_T6_T7_T9_mT8_P12ihipStream_tbDpT10_ENKUlT_T0_E_clISt17integral_constantIbLb0EES1D_EEDaS18_S19_EUlS18_E_NS1_11comp_targetILNS1_3genE10ELNS1_11target_archE1200ELNS1_3gpuE4ELNS1_3repE0EEENS1_30default_config_static_selectorELNS0_4arch9wavefront6targetE0EEEvT1_,comdat
	.protected	_ZN7rocprim17ROCPRIM_400000_NS6detail17trampoline_kernelINS0_14default_configENS1_25partition_config_selectorILNS1_17partition_subalgoE5EiNS0_10empty_typeEbEEZZNS1_14partition_implILS5_5ELb0ES3_mN6thrust23THRUST_200600_302600_NS6detail15normal_iteratorINSA_10device_ptrIiEEEEPS6_NSA_18transform_iteratorINSB_9not_fun_tI7is_trueIiEEENSC_INSD_IbEEEENSA_11use_defaultESO_EENS0_5tupleIJSF_S6_EEENSQ_IJSG_SG_EEES6_PlJS6_EEE10hipError_tPvRmT3_T4_T5_T6_T7_T9_mT8_P12ihipStream_tbDpT10_ENKUlT_T0_E_clISt17integral_constantIbLb0EES1D_EEDaS18_S19_EUlS18_E_NS1_11comp_targetILNS1_3genE10ELNS1_11target_archE1200ELNS1_3gpuE4ELNS1_3repE0EEENS1_30default_config_static_selectorELNS0_4arch9wavefront6targetE0EEEvT1_ ; -- Begin function _ZN7rocprim17ROCPRIM_400000_NS6detail17trampoline_kernelINS0_14default_configENS1_25partition_config_selectorILNS1_17partition_subalgoE5EiNS0_10empty_typeEbEEZZNS1_14partition_implILS5_5ELb0ES3_mN6thrust23THRUST_200600_302600_NS6detail15normal_iteratorINSA_10device_ptrIiEEEEPS6_NSA_18transform_iteratorINSB_9not_fun_tI7is_trueIiEEENSC_INSD_IbEEEENSA_11use_defaultESO_EENS0_5tupleIJSF_S6_EEENSQ_IJSG_SG_EEES6_PlJS6_EEE10hipError_tPvRmT3_T4_T5_T6_T7_T9_mT8_P12ihipStream_tbDpT10_ENKUlT_T0_E_clISt17integral_constantIbLb0EES1D_EEDaS18_S19_EUlS18_E_NS1_11comp_targetILNS1_3genE10ELNS1_11target_archE1200ELNS1_3gpuE4ELNS1_3repE0EEENS1_30default_config_static_selectorELNS0_4arch9wavefront6targetE0EEEvT1_
	.globl	_ZN7rocprim17ROCPRIM_400000_NS6detail17trampoline_kernelINS0_14default_configENS1_25partition_config_selectorILNS1_17partition_subalgoE5EiNS0_10empty_typeEbEEZZNS1_14partition_implILS5_5ELb0ES3_mN6thrust23THRUST_200600_302600_NS6detail15normal_iteratorINSA_10device_ptrIiEEEEPS6_NSA_18transform_iteratorINSB_9not_fun_tI7is_trueIiEEENSC_INSD_IbEEEENSA_11use_defaultESO_EENS0_5tupleIJSF_S6_EEENSQ_IJSG_SG_EEES6_PlJS6_EEE10hipError_tPvRmT3_T4_T5_T6_T7_T9_mT8_P12ihipStream_tbDpT10_ENKUlT_T0_E_clISt17integral_constantIbLb0EES1D_EEDaS18_S19_EUlS18_E_NS1_11comp_targetILNS1_3genE10ELNS1_11target_archE1200ELNS1_3gpuE4ELNS1_3repE0EEENS1_30default_config_static_selectorELNS0_4arch9wavefront6targetE0EEEvT1_
	.p2align	8
	.type	_ZN7rocprim17ROCPRIM_400000_NS6detail17trampoline_kernelINS0_14default_configENS1_25partition_config_selectorILNS1_17partition_subalgoE5EiNS0_10empty_typeEbEEZZNS1_14partition_implILS5_5ELb0ES3_mN6thrust23THRUST_200600_302600_NS6detail15normal_iteratorINSA_10device_ptrIiEEEEPS6_NSA_18transform_iteratorINSB_9not_fun_tI7is_trueIiEEENSC_INSD_IbEEEENSA_11use_defaultESO_EENS0_5tupleIJSF_S6_EEENSQ_IJSG_SG_EEES6_PlJS6_EEE10hipError_tPvRmT3_T4_T5_T6_T7_T9_mT8_P12ihipStream_tbDpT10_ENKUlT_T0_E_clISt17integral_constantIbLb0EES1D_EEDaS18_S19_EUlS18_E_NS1_11comp_targetILNS1_3genE10ELNS1_11target_archE1200ELNS1_3gpuE4ELNS1_3repE0EEENS1_30default_config_static_selectorELNS0_4arch9wavefront6targetE0EEEvT1_,@function
_ZN7rocprim17ROCPRIM_400000_NS6detail17trampoline_kernelINS0_14default_configENS1_25partition_config_selectorILNS1_17partition_subalgoE5EiNS0_10empty_typeEbEEZZNS1_14partition_implILS5_5ELb0ES3_mN6thrust23THRUST_200600_302600_NS6detail15normal_iteratorINSA_10device_ptrIiEEEEPS6_NSA_18transform_iteratorINSB_9not_fun_tI7is_trueIiEEENSC_INSD_IbEEEENSA_11use_defaultESO_EENS0_5tupleIJSF_S6_EEENSQ_IJSG_SG_EEES6_PlJS6_EEE10hipError_tPvRmT3_T4_T5_T6_T7_T9_mT8_P12ihipStream_tbDpT10_ENKUlT_T0_E_clISt17integral_constantIbLb0EES1D_EEDaS18_S19_EUlS18_E_NS1_11comp_targetILNS1_3genE10ELNS1_11target_archE1200ELNS1_3gpuE4ELNS1_3repE0EEENS1_30default_config_static_selectorELNS0_4arch9wavefront6targetE0EEEvT1_: ; @_ZN7rocprim17ROCPRIM_400000_NS6detail17trampoline_kernelINS0_14default_configENS1_25partition_config_selectorILNS1_17partition_subalgoE5EiNS0_10empty_typeEbEEZZNS1_14partition_implILS5_5ELb0ES3_mN6thrust23THRUST_200600_302600_NS6detail15normal_iteratorINSA_10device_ptrIiEEEEPS6_NSA_18transform_iteratorINSB_9not_fun_tI7is_trueIiEEENSC_INSD_IbEEEENSA_11use_defaultESO_EENS0_5tupleIJSF_S6_EEENSQ_IJSG_SG_EEES6_PlJS6_EEE10hipError_tPvRmT3_T4_T5_T6_T7_T9_mT8_P12ihipStream_tbDpT10_ENKUlT_T0_E_clISt17integral_constantIbLb0EES1D_EEDaS18_S19_EUlS18_E_NS1_11comp_targetILNS1_3genE10ELNS1_11target_archE1200ELNS1_3gpuE4ELNS1_3repE0EEENS1_30default_config_static_selectorELNS0_4arch9wavefront6targetE0EEEvT1_
; %bb.0:
	s_clause 0x3
	s_load_b128 s[4:7], s[0:1], 0x8
	s_load_b128 s[8:11], s[0:1], 0x48
	s_load_b32 s2, s[0:1], 0x70
	s_load_b64 s[14:15], s[0:1], 0x58
	s_mov_b32 s13, 0
	s_mul_i32 s19, ttmp9, 0x600
	v_lshlrev_b32_e32 v9, 2, v0
	v_lshrrev_b32_e32 v10, 3, v0
	v_add_nc_u32_e32 v22, 0x180, v0
	v_add_nc_u32_e32 v21, 0x240, v0
	v_or_b32_e32 v19, 0x300, v0
	v_add_nc_u32_e32 v17, 0x3c0, v0
	v_add_nc_u32_e32 v18, 0x480, v0
	v_add_nc_u32_e32 v20, 0x540, v0
	s_mov_b32 s3, -1
	s_wait_kmcnt 0x0
	s_lshl_b64 s[20:21], s[6:7], 2
	s_load_b64 s[10:11], s[10:11], 0x0
	s_mul_i32 s12, s2, 0x600
	s_add_co_i32 s2, s2, -1
	s_add_co_i32 s18, s12, s6
	s_add_nc_u64 s[16:17], s[6:7], s[12:13]
	s_sub_co_i32 s18, s14, s18
	v_cmp_le_u64_e64 s12, s[14:15], s[16:17]
	s_addk_co_i32 s18, 0x600
	s_cmp_eq_u32 ttmp9, s2
	s_add_nc_u64 s[4:5], s[4:5], s[20:21]
	s_cselect_b32 s16, -1, 0
	s_wait_alu 0xfffe
	s_and_b32 s2, s16, s12
	s_mov_b32 s12, s19
	s_xor_b32 s17, s2, -1
	s_lshl_b64 s[14:15], s[12:13], 2
	s_wait_alu 0xfffe
	s_and_b32 vcc_lo, exec_lo, s17
	s_add_nc_u64 s[4:5], s[4:5], s[14:15]
	s_cbranch_vccz .LBB2530_2
; %bb.1:
	v_add_co_u32 v1, s2, s4, v9
	s_delay_alu instid0(VALU_DEP_1)
	v_add_co_ci_u32_e64 v2, null, s5, 0, s2
	v_add_nc_u32_e32 v12, 0xc0, v0
	v_lshrrev_b32_e32 v13, 3, v22
	v_lshrrev_b32_e32 v14, 3, v21
	s_clause 0x7
	flat_load_b32 v3, v[1:2]
	flat_load_b32 v4, v[1:2] offset:768
	flat_load_b32 v5, v[1:2] offset:1536
	;; [unrolled: 1-line block ×7, first 2 shown]
	v_lshrrev_b32_e32 v15, 3, v19
	v_lshrrev_b32_e32 v12, 3, v12
	v_and_b32_e32 v2, 28, v10
	v_lshrrev_b32_e32 v16, 3, v17
	v_lshrrev_b32_e32 v23, 3, v18
	;; [unrolled: 1-line block ×3, first 2 shown]
	v_and_b32_e32 v12, 60, v12
	v_and_b32_e32 v13, 0x7c, v13
	;; [unrolled: 1-line block ×4, first 2 shown]
	v_add_nc_u32_e32 v2, v2, v9
	v_and_b32_e32 v16, 0xfc, v16
	v_and_b32_e32 v23, 0xbc, v23
	;; [unrolled: 1-line block ×3, first 2 shown]
	v_add_nc_u32_e32 v12, v12, v9
	v_add_nc_u32_e32 v13, v13, v9
	v_add_nc_u32_e32 v14, v14, v9
	v_add_nc_u32_e32 v15, v15, v9
	s_mov_b32 s3, s13
	v_add_nc_u32_e32 v16, v16, v9
	v_add_nc_u32_e32 v23, v23, v9
	;; [unrolled: 1-line block ×3, first 2 shown]
	s_wait_loadcnt_dscnt 0x707
	ds_store_b32 v2, v3
	s_wait_loadcnt_dscnt 0x607
	ds_store_b32 v12, v4 offset:768
	s_wait_loadcnt_dscnt 0x507
	ds_store_b32 v13, v5 offset:1536
	;; [unrolled: 2-line block ×7, first 2 shown]
	s_wait_dscnt 0x0
	s_barrier_signal -1
	s_barrier_wait -1
.LBB2530_2:
	s_load_b64 s[14:15], s[0:1], 0x20
	v_cmp_gt_u32_e64 s2, s18, v0
	s_and_not1_b32 vcc_lo, exec_lo, s3
	s_cbranch_vccnz .LBB2530_14
; %bb.3:
	v_mov_b32_e32 v1, 0
	s_delay_alu instid0(VALU_DEP_1)
	v_dual_mov_b32 v2, v1 :: v_dual_mov_b32 v3, v1
	v_dual_mov_b32 v4, v1 :: v_dual_mov_b32 v5, v1
	;; [unrolled: 1-line block ×3, first 2 shown]
	v_mov_b32_e32 v8, v1
	s_and_saveexec_b32 s3, s2
	s_cbranch_execz .LBB2530_5
; %bb.4:
	v_add_co_u32 v2, s2, s4, v9
	s_wait_alu 0xf1ff
	v_add_co_ci_u32_e64 v3, null, s5, 0, s2
	v_dual_mov_b32 v24, v1 :: v_dual_mov_b32 v25, v1
	v_dual_mov_b32 v26, v1 :: v_dual_mov_b32 v27, v1
	flat_load_b32 v23, v[2:3]
	v_dual_mov_b32 v28, v1 :: v_dual_mov_b32 v29, v1
	v_mov_b32_e32 v30, v1
	s_wait_loadcnt_dscnt 0x0
	v_dual_mov_b32 v1, v23 :: v_dual_mov_b32 v2, v24
	v_dual_mov_b32 v3, v25 :: v_dual_mov_b32 v4, v26
	;; [unrolled: 1-line block ×4, first 2 shown]
.LBB2530_5:
	s_wait_alu 0xfffe
	s_or_b32 exec_lo, exec_lo, s3
	v_add_nc_u32_e32 v11, 0xc0, v0
	s_mov_b32 s2, exec_lo
	s_delay_alu instid0(VALU_DEP_1)
	v_cmpx_gt_u32_e64 s18, v11
	s_cbranch_execnz .LBB2530_158
; %bb.6:
	s_wait_alu 0xfffe
	s_or_b32 exec_lo, exec_lo, s2
	s_delay_alu instid0(SALU_CYCLE_1)
	s_mov_b32 s2, exec_lo
	v_cmpx_gt_u32_e64 s18, v22
	s_cbranch_execnz .LBB2530_159
.LBB2530_7:
	s_wait_alu 0xfffe
	s_or_b32 exec_lo, exec_lo, s2
	s_delay_alu instid0(SALU_CYCLE_1)
	s_mov_b32 s2, exec_lo
	v_cmpx_gt_u32_e64 s18, v21
	s_cbranch_execnz .LBB2530_160
.LBB2530_8:
	s_wait_alu 0xfffe
	s_or_b32 exec_lo, exec_lo, s2
	s_delay_alu instid0(SALU_CYCLE_1)
	s_mov_b32 s2, exec_lo
	v_cmpx_gt_u32_e64 s18, v19
	s_cbranch_execnz .LBB2530_161
.LBB2530_9:
	s_wait_alu 0xfffe
	s_or_b32 exec_lo, exec_lo, s2
	s_delay_alu instid0(SALU_CYCLE_1)
	s_mov_b32 s2, exec_lo
	v_cmpx_gt_u32_e64 s18, v17
	s_cbranch_execnz .LBB2530_162
.LBB2530_10:
	s_wait_alu 0xfffe
	s_or_b32 exec_lo, exec_lo, s2
	s_delay_alu instid0(SALU_CYCLE_1)
	s_mov_b32 s2, exec_lo
	v_cmpx_gt_u32_e64 s18, v18
	s_cbranch_execnz .LBB2530_163
.LBB2530_11:
	s_wait_alu 0xfffe
	s_or_b32 exec_lo, exec_lo, s2
	s_delay_alu instid0(SALU_CYCLE_1)
	s_mov_b32 s2, exec_lo
	v_cmpx_gt_u32_e64 s18, v20
	s_cbranch_execz .LBB2530_13
.LBB2530_12:
	v_add_co_u32 v12, s3, s4, v9
	s_wait_alu 0xf1ff
	v_add_co_ci_u32_e64 v13, null, s5, 0, s3
	flat_load_b32 v8, v[12:13] offset:5376
.LBB2530_13:
	s_wait_alu 0xfffe
	s_or_b32 exec_lo, exec_lo, s2
	v_lshrrev_b32_e32 v11, 3, v11
	v_lshrrev_b32_e32 v12, 3, v22
	;; [unrolled: 1-line block ×4, first 2 shown]
	v_and_b32_e32 v10, 28, v10
	v_lshrrev_b32_e32 v15, 3, v17
	v_lshrrev_b32_e32 v16, 3, v18
	;; [unrolled: 1-line block ×3, first 2 shown]
	v_and_b32_e32 v11, 60, v11
	v_and_b32_e32 v12, 0x7c, v12
	v_and_b32_e32 v13, 0x7c, v13
	v_and_b32_e32 v14, 0x7c, v14
	v_add_nc_u32_e32 v10, v10, v9
	v_and_b32_e32 v15, 0xfc, v15
	v_and_b32_e32 v16, 0xfc, v16
	;; [unrolled: 1-line block ×3, first 2 shown]
	v_add_nc_u32_e32 v11, v11, v9
	v_add_nc_u32_e32 v12, v12, v9
	;; [unrolled: 1-line block ×7, first 2 shown]
	ds_store_b32 v10, v1
	s_wait_loadcnt_dscnt 0x1
	ds_store_b32 v11, v2 offset:768
	ds_store_b32 v12, v3 offset:1536
	;; [unrolled: 1-line block ×7, first 2 shown]
	s_wait_dscnt 0x0
	s_barrier_signal -1
	s_barrier_wait -1
.LBB2530_14:
	v_and_b32_e32 v1, 0xfc, v0
	global_inv scope:SCOPE_SE
	v_lshrrev_b32_e32 v35, 5, v0
	s_wait_kmcnt 0x0
	s_add_nc_u64 s[2:3], s[14:15], s[6:7]
	s_and_b32 vcc_lo, exec_lo, s17
	v_lshl_add_u32 v1, v0, 5, v1
	s_wait_alu 0xfffe
	s_add_nc_u64 s[2:3], s[2:3], s[12:13]
	s_mov_b32 s4, -1
	ds_load_2addr_b32 v[15:16], v1 offset1:1
	ds_load_2addr_b32 v[13:14], v1 offset0:2 offset1:3
	ds_load_2addr_b32 v[11:12], v1 offset0:4 offset1:5
	;; [unrolled: 1-line block ×3, first 2 shown]
	s_wait_loadcnt_dscnt 0x0
	s_barrier_signal -1
	s_barrier_wait -1
	global_inv scope:SCOPE_SE
	s_cbranch_vccz .LBB2530_16
; %bb.15:
	s_clause 0x7
	global_load_u8 v1, v0, s[2:3]
	global_load_u8 v2, v0, s[2:3] offset:192
	global_load_u8 v3, v0, s[2:3] offset:384
	;; [unrolled: 1-line block ×7, first 2 shown]
	v_add_nc_u32_e32 v24, 0xc0, v0
	v_lshrrev_b32_e32 v25, 5, v22
	v_lshrrev_b32_e32 v26, 5, v21
	;; [unrolled: 1-line block ×3, first 2 shown]
	v_and_b32_e32 v23, 4, v35
	v_lshrrev_b32_e32 v24, 5, v24
	v_lshrrev_b32_e32 v28, 5, v17
	;; [unrolled: 1-line block ×4, first 2 shown]
	v_and_b32_e32 v25, 28, v25
	v_and_b32_e32 v24, 12, v24
	;; [unrolled: 1-line block ×4, first 2 shown]
	v_add_nc_u32_e32 v23, v23, v0
	v_and_b32_e32 v28, 60, v28
	v_and_b32_e32 v29, 44, v29
	;; [unrolled: 1-line block ×3, first 2 shown]
	v_add_nc_u32_e32 v24, v24, v0
	v_add_nc_u32_e32 v25, v25, v0
	;; [unrolled: 1-line block ×4, first 2 shown]
	s_mov_b32 s4, 0
	v_add_nc_u32_e32 v28, v28, v0
	v_add_nc_u32_e32 v29, v29, v0
	;; [unrolled: 1-line block ×3, first 2 shown]
	s_wait_loadcnt 0x7
	v_xor_b32_e32 v1, 1, v1
	s_wait_loadcnt 0x6
	v_xor_b32_e32 v2, 1, v2
	;; [unrolled: 2-line block ×8, first 2 shown]
	ds_store_b8 v23, v1
	ds_store_b8 v24, v2 offset:192
	ds_store_b8 v25, v3 offset:384
	;; [unrolled: 1-line block ×7, first 2 shown]
	s_wait_dscnt 0x0
	s_barrier_signal -1
	s_barrier_wait -1
.LBB2530_16:
	v_lshlrev_b32_e32 v38, 3, v0
	v_lshrrev_b32_e32 v1, 2, v0
	s_wait_alu 0xfffe
	s_and_not1_b32 vcc_lo, exec_lo, s4
	s_cbranch_vccnz .LBB2530_28
; %bb.17:
	v_mov_b32_e32 v2, 0
	s_mov_b32 s5, 0
	s_mov_b32 s4, exec_lo
	s_delay_alu instid0(VALU_DEP_1)
	v_dual_mov_b32 v3, v2 :: v_dual_mov_b32 v4, v2
	v_cmpx_gt_u32_e64 s18, v0
	s_cbranch_execz .LBB2530_19
; %bb.18:
	global_load_u8 v2, v0, s[2:3]
	s_wait_alu 0xfffe
	v_mov_b32_e32 v3, s5
	s_wait_loadcnt 0x0
	v_xor_b32_e32 v4, 1, v2
	s_delay_alu instid0(VALU_DEP_1) | instskip(NEXT) | instid1(VALU_DEP_1)
	v_and_b32_e32 v2, 1, v4
	v_and_b32_e32 v2, 0xffff, v2
.LBB2530_19:
	s_wait_alu 0xfffe
	s_or_b32 exec_lo, exec_lo, s4
	v_add_nc_u32_e32 v5, 0xc0, v0
	s_mov_b32 s4, exec_lo
	s_delay_alu instid0(VALU_DEP_1)
	v_cmpx_gt_u32_e64 s18, v5
	s_cbranch_execnz .LBB2530_164
; %bb.20:
	s_wait_alu 0xfffe
	s_or_b32 exec_lo, exec_lo, s4
	s_delay_alu instid0(SALU_CYCLE_1)
	s_mov_b32 s4, exec_lo
	v_cmpx_gt_u32_e64 s18, v22
	s_cbranch_execnz .LBB2530_165
.LBB2530_21:
	s_wait_alu 0xfffe
	s_or_b32 exec_lo, exec_lo, s4
	s_delay_alu instid0(SALU_CYCLE_1)
	s_mov_b32 s4, exec_lo
	v_cmpx_gt_u32_e64 s18, v21
	s_cbranch_execnz .LBB2530_166
.LBB2530_22:
	s_wait_alu 0xfffe
	s_or_b32 exec_lo, exec_lo, s4
	s_delay_alu instid0(SALU_CYCLE_1)
	s_mov_b32 s4, exec_lo
	v_cmpx_gt_u32_e64 s18, v19
	s_cbranch_execnz .LBB2530_167
.LBB2530_23:
	s_wait_alu 0xfffe
	s_or_b32 exec_lo, exec_lo, s4
	s_delay_alu instid0(SALU_CYCLE_1)
	s_mov_b32 s4, exec_lo
	v_cmpx_gt_u32_e64 s18, v17
	s_cbranch_execnz .LBB2530_168
.LBB2530_24:
	s_wait_alu 0xfffe
	s_or_b32 exec_lo, exec_lo, s4
	s_delay_alu instid0(SALU_CYCLE_1)
	s_mov_b32 s4, exec_lo
	v_cmpx_gt_u32_e64 s18, v18
	s_cbranch_execnz .LBB2530_169
.LBB2530_25:
	s_wait_alu 0xfffe
	s_or_b32 exec_lo, exec_lo, s4
	s_delay_alu instid0(SALU_CYCLE_1)
	s_mov_b32 s4, exec_lo
	v_cmpx_gt_u32_e64 s18, v20
	s_cbranch_execz .LBB2530_27
.LBB2530_26:
	global_load_u8 v6, v0, s[2:3] offset:1344
	v_lshrrev_b32_e32 v7, 16, v3
	s_delay_alu instid0(VALU_DEP_1) | instskip(SKIP_2) | instid1(VALU_DEP_1)
	v_and_b32_e32 v7, 0xff, v7
	s_wait_loadcnt 0x0
	v_xor_b32_e32 v6, 1, v6
	v_lshlrev_b16 v6, 8, v6
	s_delay_alu instid0(VALU_DEP_1) | instskip(NEXT) | instid1(VALU_DEP_1)
	v_or_b32_e32 v6, v7, v6
	v_lshlrev_b32_e32 v6, 16, v6
	s_delay_alu instid0(VALU_DEP_1)
	v_and_or_b32 v3, 0xffff, v3, v6
.LBB2530_27:
	s_wait_alu 0xfffe
	s_or_b32 exec_lo, exec_lo, s4
	v_lshrrev_b32_e32 v5, 5, v5
	v_lshrrev_b32_e32 v6, 5, v22
	;; [unrolled: 1-line block ×4, first 2 shown]
	v_and_b32_e32 v7, 4, v35
	v_lshrrev_b32_e32 v17, 5, v17
	v_lshrrev_b32_e32 v18, 5, v18
	;; [unrolled: 1-line block ×3, first 2 shown]
	v_and_b32_e32 v5, 12, v5
	v_and_b32_e32 v6, 28, v6
	;; [unrolled: 1-line block ×4, first 2 shown]
	v_add_nc_u32_e32 v7, v7, v0
	v_and_b32_e32 v17, 60, v17
	v_and_b32_e32 v18, 60, v18
	;; [unrolled: 1-line block ×3, first 2 shown]
	v_lshrrev_b32_e32 v8, 8, v2
	v_add_nc_u32_e32 v5, v5, v0
	v_add_nc_u32_e32 v6, v6, v0
	v_lshrrev_b32_e32 v22, 24, v2
	v_add_nc_u32_e32 v21, v21, v0
	v_add_nc_u32_e32 v19, v19, v0
	;; [unrolled: 3-line block ×3, first 2 shown]
	v_lshrrev_b32_e32 v24, 24, v3
	v_add_nc_u32_e32 v20, v20, v0
	ds_store_b8 v7, v4
	ds_store_b8 v5, v8 offset:192
	ds_store_b8_d16_hi v6, v2 offset:384
	ds_store_b8 v21, v22 offset:576
	ds_store_b8 v19, v3 offset:768
	;; [unrolled: 1-line block ×3, first 2 shown]
	ds_store_b8_d16_hi v18, v3 offset:1152
	ds_store_b8 v20, v24 offset:1344
	s_wait_loadcnt_dscnt 0x0
	s_barrier_signal -1
	s_barrier_wait -1
.LBB2530_28:
	s_delay_alu instid0(VALU_DEP_1)
	v_dual_mov_b32 v2, 0 :: v_dual_and_b32 v1, 60, v1
	s_wait_loadcnt 0x0
	global_inv scope:SCOPE_SE
	s_load_b64 s[6:7], s[0:1], 0x68
	v_mbcnt_lo_u32_b32 v45, -1, 0
	v_add_nc_u32_e32 v1, v1, v38
	s_cmp_lg_u32 ttmp9, 0
	s_mov_b32 s3, -1
	s_delay_alu instid0(VALU_DEP_2)
	v_and_b32_e32 v46, 15, v45
	ds_load_2addr_b32 v[17:18], v1 offset1:1
	s_wait_loadcnt_dscnt 0x0
	s_barrier_signal -1
	s_barrier_wait -1
	global_inv scope:SCOPE_SE
	v_and_b32_e32 v41, 0xff, v17
	v_bfe_u32 v40, v17, 8, 8
	v_bfe_u32 v39, v17, 16, 8
	v_lshrrev_b32_e32 v37, 24, v17
	v_and_b32_e32 v44, 0xff, v18
	v_bfe_u32 v43, v18, 8, 8
	v_bfe_u32 v42, v18, 16, 8
	v_add3_u32 v1, v40, v41, v39
	v_lshrrev_b32_e32 v36, 24, v18
	s_delay_alu instid0(VALU_DEP_2) | instskip(SKIP_3) | instid1(VALU_DEP_3)
	v_add_co_u32 v1, s2, v1, v37
	s_wait_alu 0xf1ff
	v_add_co_ci_u32_e64 v3, null, 0, 0, s2
	v_cmp_ne_u32_e64 s2, 0, v46
	v_add_co_u32 v1, vcc_lo, v1, v44
	s_delay_alu instid0(VALU_DEP_1) | instskip(NEXT) | instid1(VALU_DEP_2)
	v_add_co_ci_u32_e64 v3, null, 0, v3, vcc_lo
	v_add_co_u32 v1, vcc_lo, v1, v43
	s_wait_alu 0xfffd
	s_delay_alu instid0(VALU_DEP_2) | instskip(NEXT) | instid1(VALU_DEP_2)
	v_add_co_ci_u32_e64 v3, null, 0, v3, vcc_lo
	v_add_co_u32 v1, vcc_lo, v1, v42
	s_wait_alu 0xfffd
	s_delay_alu instid0(VALU_DEP_2) | instskip(NEXT) | instid1(VALU_DEP_2)
	v_add_co_ci_u32_e64 v3, null, 0, v3, vcc_lo
	v_add_co_u32 v19, vcc_lo, v1, v36
	s_wait_alu 0xfffd
	s_delay_alu instid0(VALU_DEP_2)
	v_add_co_ci_u32_e64 v20, null, 0, v3, vcc_lo
	s_cbranch_scc0 .LBB2530_85
; %bb.29:
	v_mov_b32_e32 v3, v19
	v_mov_b32_dpp v1, v19 row_shr:1 row_mask:0xf bank_mask:0xf
	v_mov_b32_dpp v6, v2 row_shr:1 row_mask:0xf bank_mask:0xf
	v_dual_mov_b32 v5, v19 :: v_dual_mov_b32 v4, v20
	s_and_saveexec_b32 s3, s2
; %bb.30:
	s_delay_alu instid0(VALU_DEP_3) | instskip(SKIP_2) | instid1(VALU_DEP_2)
	v_add_co_u32 v5, vcc_lo, v19, v1
	s_wait_alu 0xfffd
	v_add_co_ci_u32_e64 v2, null, 0, v20, vcc_lo
	v_add_co_u32 v1, vcc_lo, 0, v5
	s_wait_alu 0xfffd
	s_delay_alu instid0(VALU_DEP_2) | instskip(NEXT) | instid1(VALU_DEP_1)
	v_add_co_ci_u32_e64 v2, null, v6, v2, vcc_lo
	v_dual_mov_b32 v4, v2 :: v_dual_mov_b32 v3, v1
; %bb.31:
	s_wait_alu 0xfffe
	s_or_b32 exec_lo, exec_lo, s3
	v_mov_b32_dpp v1, v5 row_shr:2 row_mask:0xf bank_mask:0xf
	v_mov_b32_dpp v6, v2 row_shr:2 row_mask:0xf bank_mask:0xf
	s_mov_b32 s3, exec_lo
	v_cmpx_lt_u32_e32 1, v46
; %bb.32:
	s_delay_alu instid0(VALU_DEP_3) | instskip(SKIP_2) | instid1(VALU_DEP_2)
	v_add_co_u32 v5, vcc_lo, v3, v1
	s_wait_alu 0xfffd
	v_add_co_ci_u32_e64 v2, null, 0, v4, vcc_lo
	v_add_co_u32 v1, vcc_lo, 0, v5
	s_wait_alu 0xfffd
	s_delay_alu instid0(VALU_DEP_2) | instskip(NEXT) | instid1(VALU_DEP_1)
	v_add_co_ci_u32_e64 v2, null, v6, v2, vcc_lo
	v_dual_mov_b32 v4, v2 :: v_dual_mov_b32 v3, v1
; %bb.33:
	s_wait_alu 0xfffe
	s_or_b32 exec_lo, exec_lo, s3
	v_mov_b32_dpp v1, v5 row_shr:4 row_mask:0xf bank_mask:0xf
	v_mov_b32_dpp v6, v2 row_shr:4 row_mask:0xf bank_mask:0xf
	s_mov_b32 s3, exec_lo
	v_cmpx_lt_u32_e32 3, v46
	;; [unrolled: 17-line block ×3, first 2 shown]
; %bb.36:
	s_delay_alu instid0(VALU_DEP_3) | instskip(SKIP_2) | instid1(VALU_DEP_2)
	v_add_co_u32 v5, vcc_lo, v3, v6
	s_wait_alu 0xfffd
	v_add_co_ci_u32_e64 v2, null, 0, v4, vcc_lo
	v_add_co_u32 v3, vcc_lo, 0, v5
	s_wait_alu 0xfffd
	s_delay_alu instid0(VALU_DEP_2) | instskip(NEXT) | instid1(VALU_DEP_1)
	v_add_co_ci_u32_e64 v4, null, v1, v2, vcc_lo
	v_mov_b32_e32 v2, v4
; %bb.37:
	s_wait_alu 0xfffe
	s_or_b32 exec_lo, exec_lo, s3
	ds_swizzle_b32 v1, v5 offset:swizzle(BROADCAST,32,15)
	ds_swizzle_b32 v6, v2 offset:swizzle(BROADCAST,32,15)
	v_and_b32_e32 v7, 16, v45
	s_mov_b32 s3, exec_lo
	s_delay_alu instid0(VALU_DEP_1)
	v_cmpx_ne_u32_e32 0, v7
	s_cbranch_execz .LBB2530_39
; %bb.38:
	s_wait_dscnt 0x1
	v_add_co_u32 v5, vcc_lo, v3, v1
	s_wait_alu 0xfffd
	v_add_co_ci_u32_e64 v2, null, 0, v4, vcc_lo
	s_delay_alu instid0(VALU_DEP_2) | instskip(SKIP_2) | instid1(VALU_DEP_2)
	v_add_co_u32 v1, vcc_lo, 0, v5
	s_wait_dscnt 0x0
	s_wait_alu 0xfffd
	v_add_co_ci_u32_e64 v2, null, v6, v2, vcc_lo
	s_delay_alu instid0(VALU_DEP_1)
	v_dual_mov_b32 v4, v2 :: v_dual_mov_b32 v3, v1
.LBB2530_39:
	s_wait_alu 0xfffe
	s_or_b32 exec_lo, exec_lo, s3
	s_wait_dscnt 0x1
	v_and_b32_e32 v1, 0xe0, v0
	s_mov_b32 s3, exec_lo
	s_delay_alu instid0(VALU_DEP_1) | instskip(NEXT) | instid1(VALU_DEP_1)
	v_min_u32_e32 v1, 0xa0, v1
	v_or_b32_e32 v1, 31, v1
	s_delay_alu instid0(VALU_DEP_1)
	v_cmpx_eq_u32_e64 v0, v1
; %bb.40:
	v_lshlrev_b32_e32 v1, 3, v35
	ds_store_b64 v1, v[3:4]
; %bb.41:
	s_wait_alu 0xfffe
	s_or_b32 exec_lo, exec_lo, s3
	s_delay_alu instid0(SALU_CYCLE_1)
	s_mov_b32 s3, exec_lo
	s_wait_loadcnt_dscnt 0x0
	s_barrier_signal -1
	s_barrier_wait -1
	global_inv scope:SCOPE_SE
	v_cmpx_gt_u32_e32 6, v0
	s_cbranch_execz .LBB2530_49
; %bb.42:
	ds_load_b64 v[3:4], v38
	v_and_b32_e32 v1, 7, v45
	s_mov_b32 s4, exec_lo
	s_wait_dscnt 0x0
	v_mov_b32_dpp v8, v3 row_shr:1 row_mask:0xf bank_mask:0xf
	v_mov_b32_dpp v7, v4 row_shr:1 row_mask:0xf bank_mask:0xf
	v_mov_b32_e32 v6, v3
	v_cmpx_ne_u32_e32 0, v1
; %bb.43:
	s_delay_alu instid0(VALU_DEP_4) | instskip(SKIP_2) | instid1(VALU_DEP_2)
	v_add_co_u32 v6, vcc_lo, v3, v8
	s_wait_alu 0xfffd
	v_add_co_ci_u32_e64 v4, null, 0, v4, vcc_lo
	v_add_co_u32 v3, vcc_lo, 0, v6
	s_wait_alu 0xfffd
	s_delay_alu instid0(VALU_DEP_2)
	v_add_co_ci_u32_e64 v4, null, v7, v4, vcc_lo
; %bb.44:
	s_wait_alu 0xfffe
	s_or_b32 exec_lo, exec_lo, s4
	v_mov_b32_dpp v8, v6 row_shr:2 row_mask:0xf bank_mask:0xf
	s_delay_alu instid0(VALU_DEP_2)
	v_mov_b32_dpp v7, v4 row_shr:2 row_mask:0xf bank_mask:0xf
	s_mov_b32 s4, exec_lo
	v_cmpx_lt_u32_e32 1, v1
; %bb.45:
	s_delay_alu instid0(VALU_DEP_3) | instskip(SKIP_2) | instid1(VALU_DEP_2)
	v_add_co_u32 v6, vcc_lo, v3, v8
	s_wait_alu 0xfffd
	v_add_co_ci_u32_e64 v4, null, 0, v4, vcc_lo
	v_add_co_u32 v3, vcc_lo, 0, v6
	s_wait_alu 0xfffd
	s_delay_alu instid0(VALU_DEP_2)
	v_add_co_ci_u32_e64 v4, null, v7, v4, vcc_lo
; %bb.46:
	s_wait_alu 0xfffe
	s_or_b32 exec_lo, exec_lo, s4
	v_mov_b32_dpp v7, v6 row_shr:4 row_mask:0xf bank_mask:0xf
	s_delay_alu instid0(VALU_DEP_2)
	v_mov_b32_dpp v6, v4 row_shr:4 row_mask:0xf bank_mask:0xf
	s_mov_b32 s4, exec_lo
	v_cmpx_lt_u32_e32 3, v1
; %bb.47:
	s_delay_alu instid0(VALU_DEP_3) | instskip(SKIP_2) | instid1(VALU_DEP_2)
	v_add_co_u32 v1, vcc_lo, v3, v7
	s_wait_alu 0xfffd
	v_add_co_ci_u32_e64 v4, null, 0, v4, vcc_lo
	v_add_co_u32 v3, vcc_lo, v1, 0
	s_wait_alu 0xfffd
	s_delay_alu instid0(VALU_DEP_2)
	v_add_co_ci_u32_e64 v4, null, v4, v6, vcc_lo
; %bb.48:
	s_wait_alu 0xfffe
	s_or_b32 exec_lo, exec_lo, s4
	ds_store_b64 v38, v[3:4]
.LBB2530_49:
	s_wait_alu 0xfffe
	s_or_b32 exec_lo, exec_lo, s3
	s_delay_alu instid0(SALU_CYCLE_1)
	s_mov_b32 s4, exec_lo
	v_cmp_gt_u32_e32 vcc_lo, 32, v0
	s_wait_loadcnt_dscnt 0x0
	s_barrier_signal -1
	s_barrier_wait -1
	global_inv scope:SCOPE_SE
                                        ; implicit-def: $vgpr21_vgpr22
	v_cmpx_lt_u32_e32 31, v0
	s_cbranch_execz .LBB2530_51
; %bb.50:
	v_lshl_add_u32 v1, v35, 3, -8
	ds_load_b64 v[21:22], v1
	s_wait_dscnt 0x0
	v_add_co_u32 v5, s3, v5, v21
	s_wait_alu 0xf1ff
	v_add_co_ci_u32_e64 v2, null, v2, v22, s3
.LBB2530_51:
	s_wait_alu 0xfffe
	s_or_b32 exec_lo, exec_lo, s4
	v_sub_co_u32 v1, s3, v45, 1
	s_delay_alu instid0(VALU_DEP_1) | instskip(SKIP_1) | instid1(VALU_DEP_1)
	v_cmp_gt_i32_e64 s4, 0, v1
	s_wait_alu 0xf1ff
	v_cndmask_b32_e64 v1, v1, v45, s4
	s_delay_alu instid0(VALU_DEP_1)
	v_lshlrev_b32_e32 v1, 2, v1
	ds_bpermute_b32 v27, v1, v5
	ds_bpermute_b32 v28, v1, v2
	s_and_saveexec_b32 s4, vcc_lo
	s_cbranch_execz .LBB2530_90
; %bb.52:
	v_mov_b32_e32 v4, 0
	ds_load_b64 v[1:2], v4 offset:40
	s_and_saveexec_b32 s5, s3
	s_cbranch_execz .LBB2530_54
; %bb.53:
	s_add_co_i32 s12, ttmp9, 32
	s_delay_alu instid0(SALU_CYCLE_1)
	s_lshl_b64 s[12:13], s[12:13], 4
	s_wait_kmcnt 0x0
	s_add_nc_u64 s[12:13], s[6:7], s[12:13]
	v_mov_b32_e32 v3, 1
	v_dual_mov_b32 v5, s12 :: v_dual_mov_b32 v6, s13
	s_wait_dscnt 0x0
	;;#ASMSTART
	global_store_b128 v[5:6], v[1:4] off scope:SCOPE_DEV	
s_wait_storecnt 0x0
	;;#ASMEND
.LBB2530_54:
	s_wait_alu 0xfffe
	s_or_b32 exec_lo, exec_lo, s5
	v_xad_u32 v23, v45, -1, ttmp9
	s_mov_b32 s12, 0
	s_mov_b32 s5, exec_lo
	s_delay_alu instid0(VALU_DEP_1) | instskip(NEXT) | instid1(VALU_DEP_1)
	v_add_nc_u32_e32 v3, 32, v23
	v_lshlrev_b64_e32 v[3:4], 4, v[3:4]
	s_wait_kmcnt 0x0
	s_delay_alu instid0(VALU_DEP_1) | instskip(SKIP_1) | instid1(VALU_DEP_2)
	v_add_co_u32 v3, vcc_lo, s6, v3
	s_wait_alu 0xfffd
	v_add_co_ci_u32_e64 v4, null, s7, v4, vcc_lo
	;;#ASMSTART
	global_load_b128 v[5:8], v[3:4] off scope:SCOPE_DEV	
s_wait_loadcnt 0x0
	;;#ASMEND
	v_and_b32_e32 v8, 0xff, v7
	s_delay_alu instid0(VALU_DEP_1)
	v_cmpx_eq_u16_e32 0, v8
	s_cbranch_execz .LBB2530_57
.LBB2530_55:                            ; =>This Inner Loop Header: Depth=1
	;;#ASMSTART
	global_load_b128 v[5:8], v[3:4] off scope:SCOPE_DEV	
s_wait_loadcnt 0x0
	;;#ASMEND
	v_and_b32_e32 v8, 0xff, v7
	s_delay_alu instid0(VALU_DEP_1)
	v_cmp_ne_u16_e32 vcc_lo, 0, v8
	s_wait_alu 0xfffe
	s_or_b32 s12, vcc_lo, s12
	s_wait_alu 0xfffe
	s_and_not1_b32 exec_lo, exec_lo, s12
	s_cbranch_execnz .LBB2530_55
; %bb.56:
	s_or_b32 exec_lo, exec_lo, s12
.LBB2530_57:
	s_wait_alu 0xfffe
	s_or_b32 exec_lo, exec_lo, s5
	v_cmp_ne_u32_e32 vcc_lo, 31, v45
	v_and_b32_e32 v4, 0xff, v7
	v_lshlrev_b32_e64 v30, v45, -1
	s_mov_b32 s5, exec_lo
	s_wait_alu 0xfffd
	v_add_co_ci_u32_e64 v3, null, 0, v45, vcc_lo
	v_cmp_eq_u16_e32 vcc_lo, 2, v4
	s_delay_alu instid0(VALU_DEP_2)
	v_dual_mov_b32 v4, v5 :: v_dual_lshlrev_b32 v29, 2, v3
	s_wait_alu 0xfffd
	v_and_or_b32 v3, vcc_lo, v30, 0x80000000
	ds_bpermute_b32 v24, v29, v5
	ds_bpermute_b32 v8, v29, v6
	v_ctz_i32_b32_e32 v3, v3
	s_delay_alu instid0(VALU_DEP_1)
	v_cmpx_lt_u32_e64 v45, v3
	s_cbranch_execz .LBB2530_59
; %bb.58:
	s_wait_dscnt 0x1
	v_add_co_u32 v4, vcc_lo, v5, v24
	s_wait_alu 0xfffd
	v_add_co_ci_u32_e64 v6, null, 0, v6, vcc_lo
	s_delay_alu instid0(VALU_DEP_2) | instskip(SKIP_2) | instid1(VALU_DEP_2)
	v_add_co_u32 v5, vcc_lo, 0, v4
	s_wait_dscnt 0x0
	s_wait_alu 0xfffd
	v_add_co_ci_u32_e64 v6, null, v8, v6, vcc_lo
.LBB2530_59:
	s_wait_alu 0xfffe
	s_or_b32 exec_lo, exec_lo, s5
	v_cmp_gt_u32_e32 vcc_lo, 30, v45
	v_add_nc_u32_e32 v32, 2, v45
	s_mov_b32 s5, exec_lo
	s_wait_dscnt 0x0
	s_wait_alu 0xfffd
	v_cndmask_b32_e64 v8, 0, 2, vcc_lo
	s_delay_alu instid0(VALU_DEP_1)
	v_add_lshl_u32 v31, v8, v45, 2
	ds_bpermute_b32 v24, v31, v4
	ds_bpermute_b32 v8, v31, v6
	v_cmpx_le_u32_e64 v32, v3
	s_cbranch_execz .LBB2530_61
; %bb.60:
	s_wait_dscnt 0x1
	v_add_co_u32 v4, vcc_lo, v5, v24
	s_wait_alu 0xfffd
	v_add_co_ci_u32_e64 v6, null, 0, v6, vcc_lo
	s_delay_alu instid0(VALU_DEP_2) | instskip(SKIP_2) | instid1(VALU_DEP_2)
	v_add_co_u32 v5, vcc_lo, 0, v4
	s_wait_dscnt 0x0
	s_wait_alu 0xfffd
	v_add_co_ci_u32_e64 v6, null, v8, v6, vcc_lo
.LBB2530_61:
	s_wait_alu 0xfffe
	s_or_b32 exec_lo, exec_lo, s5
	v_cmp_gt_u32_e32 vcc_lo, 28, v45
	v_add_nc_u32_e32 v34, 4, v45
	s_mov_b32 s5, exec_lo
	s_wait_dscnt 0x0
	s_wait_alu 0xfffd
	v_cndmask_b32_e64 v8, 0, 4, vcc_lo
	s_delay_alu instid0(VALU_DEP_1)
	v_add_lshl_u32 v33, v8, v45, 2
	ds_bpermute_b32 v24, v33, v4
	ds_bpermute_b32 v8, v33, v6
	v_cmpx_le_u32_e64 v34, v3
	s_cbranch_execz .LBB2530_63
; %bb.62:
	s_wait_dscnt 0x1
	v_add_co_u32 v4, vcc_lo, v5, v24
	s_wait_alu 0xfffd
	v_add_co_ci_u32_e64 v6, null, 0, v6, vcc_lo
	s_delay_alu instid0(VALU_DEP_2) | instskip(SKIP_2) | instid1(VALU_DEP_2)
	v_add_co_u32 v5, vcc_lo, 0, v4
	s_wait_dscnt 0x0
	s_wait_alu 0xfffd
	v_add_co_ci_u32_e64 v6, null, v8, v6, vcc_lo
.LBB2530_63:
	s_wait_alu 0xfffe
	s_or_b32 exec_lo, exec_lo, s5
	v_cmp_gt_u32_e32 vcc_lo, 24, v45
	v_add_nc_u32_e32 v48, 8, v45
	s_mov_b32 s5, exec_lo
	s_wait_dscnt 0x0
	s_wait_alu 0xfffd
	v_cndmask_b32_e64 v8, 0, 8, vcc_lo
	s_delay_alu instid0(VALU_DEP_1)
	v_add_lshl_u32 v47, v8, v45, 2
	ds_bpermute_b32 v24, v47, v4
	ds_bpermute_b32 v8, v47, v6
	v_cmpx_le_u32_e64 v48, v3
	s_cbranch_execz .LBB2530_65
; %bb.64:
	s_wait_dscnt 0x1
	v_add_co_u32 v4, vcc_lo, v5, v24
	s_wait_alu 0xfffd
	v_add_co_ci_u32_e64 v6, null, 0, v6, vcc_lo
	s_delay_alu instid0(VALU_DEP_2) | instskip(SKIP_2) | instid1(VALU_DEP_2)
	v_add_co_u32 v5, vcc_lo, 0, v4
	s_wait_dscnt 0x0
	s_wait_alu 0xfffd
	v_add_co_ci_u32_e64 v6, null, v8, v6, vcc_lo
.LBB2530_65:
	s_wait_alu 0xfffe
	s_or_b32 exec_lo, exec_lo, s5
	v_lshl_or_b32 v49, v45, 2, 64
	v_add_nc_u32_e32 v50, 16, v45
	s_mov_b32 s5, exec_lo
	s_wait_dscnt 0x0
	ds_bpermute_b32 v8, v49, v4
	ds_bpermute_b32 v4, v49, v6
	v_cmpx_le_u32_e64 v50, v3
	s_cbranch_execz .LBB2530_67
; %bb.66:
	s_wait_dscnt 0x1
	v_add_co_u32 v3, vcc_lo, v5, v8
	s_wait_alu 0xfffd
	v_add_co_ci_u32_e64 v6, null, 0, v6, vcc_lo
	s_delay_alu instid0(VALU_DEP_2) | instskip(SKIP_2) | instid1(VALU_DEP_2)
	v_add_co_u32 v5, vcc_lo, v3, 0
	s_wait_dscnt 0x0
	s_wait_alu 0xfffd
	v_add_co_ci_u32_e64 v6, null, v6, v4, vcc_lo
.LBB2530_67:
	s_wait_alu 0xfffe
	s_or_b32 exec_lo, exec_lo, s5
	v_mov_b32_e32 v24, 0
	s_branch .LBB2530_70
.LBB2530_68:                            ;   in Loop: Header=BB2530_70 Depth=1
	s_wait_alu 0xfffe
	s_or_b32 exec_lo, exec_lo, s5
	v_add_co_u32 v5, vcc_lo, v5, v3
	v_subrev_nc_u32_e32 v23, 32, v23
	s_wait_alu 0xfffd
	v_add_co_ci_u32_e64 v6, null, v6, v4, vcc_lo
	s_mov_b32 s5, 0
.LBB2530_69:                            ;   in Loop: Header=BB2530_70 Depth=1
	s_wait_alu 0xfffe
	s_and_b32 vcc_lo, exec_lo, s5
	s_wait_alu 0xfffe
	s_cbranch_vccnz .LBB2530_86
.LBB2530_70:                            ; =>This Loop Header: Depth=1
                                        ;     Child Loop BB2530_73 Depth 2
	v_and_b32_e32 v3, 0xff, v7
	s_mov_b32 s5, -1
	s_delay_alu instid0(VALU_DEP_1)
	v_cmp_ne_u16_e32 vcc_lo, 2, v3
	s_wait_dscnt 0x0
	v_dual_mov_b32 v3, v5 :: v_dual_mov_b32 v4, v6
                                        ; implicit-def: $vgpr5_vgpr6
	s_cmp_lg_u32 vcc_lo, exec_lo
	s_cbranch_scc1 .LBB2530_69
; %bb.71:                               ;   in Loop: Header=BB2530_70 Depth=1
	v_lshlrev_b64_e32 v[5:6], 4, v[23:24]
	s_mov_b32 s5, exec_lo
	s_delay_alu instid0(VALU_DEP_1) | instskip(SKIP_1) | instid1(VALU_DEP_2)
	v_add_co_u32 v25, vcc_lo, s6, v5
	s_wait_alu 0xfffd
	v_add_co_ci_u32_e64 v26, null, s7, v6, vcc_lo
	;;#ASMSTART
	global_load_b128 v[5:8], v[25:26] off scope:SCOPE_DEV	
s_wait_loadcnt 0x0
	;;#ASMEND
	v_and_b32_e32 v8, 0xff, v7
	s_delay_alu instid0(VALU_DEP_1)
	v_cmpx_eq_u16_e32 0, v8
	s_cbranch_execz .LBB2530_75
; %bb.72:                               ;   in Loop: Header=BB2530_70 Depth=1
	s_mov_b32 s12, 0
.LBB2530_73:                            ;   Parent Loop BB2530_70 Depth=1
                                        ; =>  This Inner Loop Header: Depth=2
	;;#ASMSTART
	global_load_b128 v[5:8], v[25:26] off scope:SCOPE_DEV	
s_wait_loadcnt 0x0
	;;#ASMEND
	v_and_b32_e32 v8, 0xff, v7
	s_delay_alu instid0(VALU_DEP_1)
	v_cmp_ne_u16_e32 vcc_lo, 0, v8
	s_wait_alu 0xfffe
	s_or_b32 s12, vcc_lo, s12
	s_wait_alu 0xfffe
	s_and_not1_b32 exec_lo, exec_lo, s12
	s_cbranch_execnz .LBB2530_73
; %bb.74:                               ;   in Loop: Header=BB2530_70 Depth=1
	s_or_b32 exec_lo, exec_lo, s12
.LBB2530_75:                            ;   in Loop: Header=BB2530_70 Depth=1
	s_wait_alu 0xfffe
	s_or_b32 exec_lo, exec_lo, s5
	v_dual_mov_b32 v25, v5 :: v_dual_and_b32 v8, 0xff, v7
	ds_bpermute_b32 v51, v29, v5
	ds_bpermute_b32 v26, v29, v6
	s_mov_b32 s5, exec_lo
	v_cmp_eq_u16_e32 vcc_lo, 2, v8
	s_wait_alu 0xfffd
	v_and_or_b32 v8, vcc_lo, v30, 0x80000000
	s_delay_alu instid0(VALU_DEP_1) | instskip(NEXT) | instid1(VALU_DEP_1)
	v_ctz_i32_b32_e32 v8, v8
	v_cmpx_lt_u32_e64 v45, v8
	s_cbranch_execz .LBB2530_77
; %bb.76:                               ;   in Loop: Header=BB2530_70 Depth=1
	s_wait_dscnt 0x1
	v_add_co_u32 v25, vcc_lo, v5, v51
	s_wait_alu 0xfffd
	v_add_co_ci_u32_e64 v6, null, 0, v6, vcc_lo
	s_delay_alu instid0(VALU_DEP_2) | instskip(SKIP_2) | instid1(VALU_DEP_2)
	v_add_co_u32 v5, vcc_lo, 0, v25
	s_wait_dscnt 0x0
	s_wait_alu 0xfffd
	v_add_co_ci_u32_e64 v6, null, v26, v6, vcc_lo
.LBB2530_77:                            ;   in Loop: Header=BB2530_70 Depth=1
	s_wait_alu 0xfffe
	s_or_b32 exec_lo, exec_lo, s5
	s_wait_dscnt 0x1
	ds_bpermute_b32 v51, v31, v25
	s_wait_dscnt 0x1
	ds_bpermute_b32 v26, v31, v6
	s_mov_b32 s5, exec_lo
	v_cmpx_le_u32_e64 v32, v8
	s_cbranch_execz .LBB2530_79
; %bb.78:                               ;   in Loop: Header=BB2530_70 Depth=1
	s_wait_dscnt 0x1
	v_add_co_u32 v25, vcc_lo, v5, v51
	s_wait_alu 0xfffd
	v_add_co_ci_u32_e64 v6, null, 0, v6, vcc_lo
	s_delay_alu instid0(VALU_DEP_2) | instskip(SKIP_2) | instid1(VALU_DEP_2)
	v_add_co_u32 v5, vcc_lo, 0, v25
	s_wait_dscnt 0x0
	s_wait_alu 0xfffd
	v_add_co_ci_u32_e64 v6, null, v26, v6, vcc_lo
.LBB2530_79:                            ;   in Loop: Header=BB2530_70 Depth=1
	s_wait_alu 0xfffe
	s_or_b32 exec_lo, exec_lo, s5
	s_wait_dscnt 0x1
	ds_bpermute_b32 v51, v33, v25
	s_wait_dscnt 0x1
	ds_bpermute_b32 v26, v33, v6
	s_mov_b32 s5, exec_lo
	v_cmpx_le_u32_e64 v34, v8
	;; [unrolled: 20-line block ×3, first 2 shown]
	s_cbranch_execz .LBB2530_83
; %bb.82:                               ;   in Loop: Header=BB2530_70 Depth=1
	s_wait_dscnt 0x1
	v_add_co_u32 v25, vcc_lo, v5, v51
	s_wait_alu 0xfffd
	v_add_co_ci_u32_e64 v6, null, 0, v6, vcc_lo
	s_delay_alu instid0(VALU_DEP_2) | instskip(SKIP_2) | instid1(VALU_DEP_2)
	v_add_co_u32 v5, vcc_lo, 0, v25
	s_wait_dscnt 0x0
	s_wait_alu 0xfffd
	v_add_co_ci_u32_e64 v6, null, v26, v6, vcc_lo
.LBB2530_83:                            ;   in Loop: Header=BB2530_70 Depth=1
	s_wait_alu 0xfffe
	s_or_b32 exec_lo, exec_lo, s5
	s_wait_dscnt 0x0
	ds_bpermute_b32 v26, v49, v25
	ds_bpermute_b32 v25, v49, v6
	s_mov_b32 s5, exec_lo
	v_cmpx_le_u32_e64 v50, v8
	s_cbranch_execz .LBB2530_68
; %bb.84:                               ;   in Loop: Header=BB2530_70 Depth=1
	s_wait_dscnt 0x1
	v_add_co_u32 v5, vcc_lo, v5, v26
	s_wait_alu 0xfffd
	v_add_co_ci_u32_e64 v6, null, 0, v6, vcc_lo
	s_delay_alu instid0(VALU_DEP_2) | instskip(SKIP_2) | instid1(VALU_DEP_2)
	v_add_co_u32 v5, vcc_lo, v5, 0
	s_wait_dscnt 0x0
	s_wait_alu 0xfffd
	v_add_co_ci_u32_e64 v6, null, v6, v25, vcc_lo
	s_branch .LBB2530_68
.LBB2530_85:
                                        ; implicit-def: $vgpr21_vgpr22
                                        ; implicit-def: $vgpr6_vgpr7
                                        ; implicit-def: $vgpr23_vgpr24
                                        ; implicit-def: $vgpr25_vgpr26
                                        ; implicit-def: $vgpr27_vgpr28
                                        ; implicit-def: $vgpr29_vgpr30
                                        ; implicit-def: $vgpr31_vgpr32
                                        ; implicit-def: $vgpr33_vgpr34
                                        ; implicit-def: $vgpr4_vgpr5
	s_wait_alu 0xfffe
	s_and_b32 vcc_lo, exec_lo, s3
	s_wait_alu 0xfffe
	s_cbranch_vccnz .LBB2530_91
	s_branch .LBB2530_116
.LBB2530_86:
	s_and_saveexec_b32 s5, s3
	s_cbranch_execz .LBB2530_88
; %bb.87:
	s_add_co_i32 s12, ttmp9, 32
	s_mov_b32 s13, 0
	v_add_co_u32 v5, vcc_lo, v3, v1
	s_wait_alu 0xfffe
	s_lshl_b64 s[12:13], s[12:13], 4
	v_dual_mov_b32 v7, 2 :: v_dual_mov_b32 v8, 0
	s_wait_alu 0xfffe
	s_add_nc_u64 s[12:13], s[6:7], s[12:13]
	s_wait_alu 0xfffd
	v_add_co_ci_u32_e64 v6, null, v4, v2, vcc_lo
	s_wait_alu 0xfffe
	v_dual_mov_b32 v24, s13 :: v_dual_mov_b32 v23, s12
	;;#ASMSTART
	global_store_b128 v[23:24], v[5:8] off scope:SCOPE_DEV	
s_wait_storecnt 0x0
	;;#ASMEND
	ds_store_b128 v8, v[1:4] offset:6336
.LBB2530_88:
	s_wait_alu 0xfffe
	s_or_b32 exec_lo, exec_lo, s5
	v_cmp_eq_u32_e32 vcc_lo, 0, v0
	s_and_b32 exec_lo, exec_lo, vcc_lo
; %bb.89:
	v_mov_b32_e32 v1, 0
	ds_store_b64 v1, v[3:4] offset:40
.LBB2530_90:
	s_wait_alu 0xfffe
	s_or_b32 exec_lo, exec_lo, s4
	s_wait_dscnt 0x1
	v_cndmask_b32_e64 v4, v27, v21, s3
	v_cmp_ne_u32_e32 vcc_lo, 0, v0
	v_mov_b32_e32 v3, 0
	s_wait_loadcnt_dscnt 0x0
	s_barrier_signal -1
	s_barrier_wait -1
	global_inv scope:SCOPE_SE
	s_wait_alu 0xfffd
	v_cndmask_b32_e32 v4, 0, v4, vcc_lo
	ds_load_b64 v[1:2], v3 offset:40
	v_cndmask_b32_e64 v5, v28, v22, s3
	s_wait_loadcnt_dscnt 0x0
	s_barrier_signal -1
	s_barrier_wait -1
	global_inv scope:SCOPE_SE
	v_cndmask_b32_e32 v5, 0, v5, vcc_lo
	v_add_co_u32 v33, vcc_lo, v1, v4
	s_wait_alu 0xfffd
	s_delay_alu instid0(VALU_DEP_2) | instskip(SKIP_4) | instid1(VALU_DEP_2)
	v_add_co_ci_u32_e64 v34, null, v2, v5, vcc_lo
	ds_load_b128 v[2:5], v3 offset:6336
	v_add_co_u32 v31, vcc_lo, v33, v41
	s_wait_alu 0xfffd
	v_add_co_ci_u32_e64 v32, null, 0, v34, vcc_lo
	v_add_co_u32 v29, vcc_lo, v31, v40
	s_wait_alu 0xfffd
	s_delay_alu instid0(VALU_DEP_2) | instskip(NEXT) | instid1(VALU_DEP_2)
	v_add_co_ci_u32_e64 v30, null, 0, v32, vcc_lo
	v_add_co_u32 v27, vcc_lo, v29, v39
	s_wait_alu 0xfffd
	s_delay_alu instid0(VALU_DEP_2) | instskip(NEXT) | instid1(VALU_DEP_2)
	;; [unrolled: 4-line block ×5, first 2 shown]
	v_add_co_ci_u32_e64 v7, null, 0, v24, vcc_lo
	v_add_co_u32 v21, vcc_lo, v6, v42
	s_wait_alu 0xfffd
	s_delay_alu instid0(VALU_DEP_2)
	v_add_co_ci_u32_e64 v22, null, 0, v7, vcc_lo
	s_branch .LBB2530_116
.LBB2530_91:
	s_wait_dscnt 0x0
	v_dual_mov_b32 v2, 0 :: v_dual_mov_b32 v3, v19
	v_mov_b32_dpp v4, v19 row_shr:1 row_mask:0xf bank_mask:0xf
	s_delay_alu instid0(VALU_DEP_2)
	v_mov_b32_dpp v1, v2 row_shr:1 row_mask:0xf bank_mask:0xf
	s_and_saveexec_b32 s3, s2
; %bb.92:
	s_delay_alu instid0(VALU_DEP_2) | instskip(SKIP_2) | instid1(VALU_DEP_2)
	v_add_co_u32 v3, vcc_lo, v19, v4
	s_wait_alu 0xfffd
	v_add_co_ci_u32_e64 v2, null, 0, v20, vcc_lo
	v_add_co_u32 v19, vcc_lo, 0, v3
	s_wait_alu 0xfffd
	s_delay_alu instid0(VALU_DEP_2) | instskip(NEXT) | instid1(VALU_DEP_1)
	v_add_co_ci_u32_e64 v20, null, v1, v2, vcc_lo
	v_mov_b32_e32 v2, v20
; %bb.93:
	s_wait_alu 0xfffe
	s_or_b32 exec_lo, exec_lo, s3
	v_mov_b32_dpp v1, v3 row_shr:2 row_mask:0xf bank_mask:0xf
	s_delay_alu instid0(VALU_DEP_2)
	v_mov_b32_dpp v4, v2 row_shr:2 row_mask:0xf bank_mask:0xf
	s_mov_b32 s2, exec_lo
	v_cmpx_lt_u32_e32 1, v46
; %bb.94:
	s_delay_alu instid0(VALU_DEP_3) | instskip(SKIP_2) | instid1(VALU_DEP_2)
	v_add_co_u32 v3, vcc_lo, v19, v1
	s_wait_alu 0xfffd
	v_add_co_ci_u32_e64 v2, null, 0, v20, vcc_lo
	v_add_co_u32 v1, vcc_lo, 0, v3
	s_wait_alu 0xfffd
	s_delay_alu instid0(VALU_DEP_2) | instskip(NEXT) | instid1(VALU_DEP_1)
	v_add_co_ci_u32_e64 v2, null, v4, v2, vcc_lo
	v_dual_mov_b32 v20, v2 :: v_dual_mov_b32 v19, v1
; %bb.95:
	s_wait_alu 0xfffe
	s_or_b32 exec_lo, exec_lo, s2
	v_mov_b32_dpp v1, v3 row_shr:4 row_mask:0xf bank_mask:0xf
	v_mov_b32_dpp v4, v2 row_shr:4 row_mask:0xf bank_mask:0xf
	s_mov_b32 s2, exec_lo
	v_cmpx_lt_u32_e32 3, v46
; %bb.96:
	s_delay_alu instid0(VALU_DEP_3) | instskip(SKIP_2) | instid1(VALU_DEP_2)
	v_add_co_u32 v3, vcc_lo, v19, v1
	s_wait_alu 0xfffd
	v_add_co_ci_u32_e64 v2, null, 0, v20, vcc_lo
	v_add_co_u32 v1, vcc_lo, 0, v3
	s_wait_alu 0xfffd
	s_delay_alu instid0(VALU_DEP_2) | instskip(NEXT) | instid1(VALU_DEP_1)
	v_add_co_ci_u32_e64 v2, null, v4, v2, vcc_lo
	v_dual_mov_b32 v20, v2 :: v_dual_mov_b32 v19, v1
; %bb.97:
	s_wait_alu 0xfffe
	s_or_b32 exec_lo, exec_lo, s2
	v_mov_b32_dpp v4, v3 row_shr:8 row_mask:0xf bank_mask:0xf
	v_mov_b32_dpp v1, v2 row_shr:8 row_mask:0xf bank_mask:0xf
	s_mov_b32 s2, exec_lo
	v_cmpx_lt_u32_e32 7, v46
; %bb.98:
	s_delay_alu instid0(VALU_DEP_3) | instskip(SKIP_2) | instid1(VALU_DEP_2)
	v_add_co_u32 v3, vcc_lo, v19, v4
	s_wait_alu 0xfffd
	v_add_co_ci_u32_e64 v2, null, 0, v20, vcc_lo
	v_add_co_u32 v19, vcc_lo, 0, v3
	s_wait_alu 0xfffd
	s_delay_alu instid0(VALU_DEP_2) | instskip(NEXT) | instid1(VALU_DEP_1)
	v_add_co_ci_u32_e64 v20, null, v1, v2, vcc_lo
	v_mov_b32_e32 v2, v20
; %bb.99:
	s_wait_alu 0xfffe
	s_or_b32 exec_lo, exec_lo, s2
	ds_swizzle_b32 v3, v3 offset:swizzle(BROADCAST,32,15)
	ds_swizzle_b32 v1, v2 offset:swizzle(BROADCAST,32,15)
	v_and_b32_e32 v2, 16, v45
	s_mov_b32 s2, exec_lo
	s_delay_alu instid0(VALU_DEP_1)
	v_cmpx_ne_u32_e32 0, v2
	s_cbranch_execz .LBB2530_101
; %bb.100:
	s_wait_dscnt 0x1
	v_add_co_u32 v2, vcc_lo, v19, v3
	s_wait_alu 0xfffd
	v_add_co_ci_u32_e64 v3, null, 0, v20, vcc_lo
	s_delay_alu instid0(VALU_DEP_2) | instskip(SKIP_2) | instid1(VALU_DEP_2)
	v_add_co_u32 v19, vcc_lo, v2, 0
	s_wait_dscnt 0x0
	s_wait_alu 0xfffd
	v_add_co_ci_u32_e64 v20, null, v3, v1, vcc_lo
.LBB2530_101:
	s_wait_alu 0xfffe
	s_or_b32 exec_lo, exec_lo, s2
	s_wait_dscnt 0x0
	v_and_b32_e32 v1, 0xe0, v0
	s_mov_b32 s2, exec_lo
	s_delay_alu instid0(VALU_DEP_1) | instskip(NEXT) | instid1(VALU_DEP_1)
	v_min_u32_e32 v1, 0xa0, v1
	v_or_b32_e32 v1, 31, v1
	s_delay_alu instid0(VALU_DEP_1)
	v_cmpx_eq_u32_e64 v0, v1
; %bb.102:
	v_lshlrev_b32_e32 v1, 3, v35
	ds_store_b64 v1, v[19:20]
; %bb.103:
	s_wait_alu 0xfffe
	s_or_b32 exec_lo, exec_lo, s2
	s_delay_alu instid0(SALU_CYCLE_1)
	s_mov_b32 s2, exec_lo
	s_wait_loadcnt_dscnt 0x0
	s_barrier_signal -1
	s_barrier_wait -1
	global_inv scope:SCOPE_SE
	v_cmpx_gt_u32_e32 6, v0
	s_cbranch_execz .LBB2530_111
; %bb.104:
	ds_load_b64 v[1:2], v38
	v_and_b32_e32 v3, 7, v45
	s_mov_b32 s3, exec_lo
	s_wait_dscnt 0x0
	v_mov_b32_dpp v6, v1 row_shr:1 row_mask:0xf bank_mask:0xf
	v_mov_b32_dpp v5, v2 row_shr:1 row_mask:0xf bank_mask:0xf
	v_mov_b32_e32 v4, v1
	v_cmpx_ne_u32_e32 0, v3
; %bb.105:
	s_delay_alu instid0(VALU_DEP_4) | instskip(SKIP_2) | instid1(VALU_DEP_2)
	v_add_co_u32 v4, vcc_lo, v1, v6
	s_wait_alu 0xfffd
	v_add_co_ci_u32_e64 v2, null, 0, v2, vcc_lo
	v_add_co_u32 v1, vcc_lo, 0, v4
	s_wait_alu 0xfffd
	s_delay_alu instid0(VALU_DEP_2)
	v_add_co_ci_u32_e64 v2, null, v5, v2, vcc_lo
; %bb.106:
	s_wait_alu 0xfffe
	s_or_b32 exec_lo, exec_lo, s3
	v_mov_b32_dpp v6, v4 row_shr:2 row_mask:0xf bank_mask:0xf
	s_delay_alu instid0(VALU_DEP_2)
	v_mov_b32_dpp v5, v2 row_shr:2 row_mask:0xf bank_mask:0xf
	s_mov_b32 s3, exec_lo
	v_cmpx_lt_u32_e32 1, v3
; %bb.107:
	s_delay_alu instid0(VALU_DEP_3) | instskip(SKIP_2) | instid1(VALU_DEP_2)
	v_add_co_u32 v4, vcc_lo, v1, v6
	s_wait_alu 0xfffd
	v_add_co_ci_u32_e64 v2, null, 0, v2, vcc_lo
	v_add_co_u32 v1, vcc_lo, 0, v4
	s_wait_alu 0xfffd
	s_delay_alu instid0(VALU_DEP_2)
	v_add_co_ci_u32_e64 v2, null, v5, v2, vcc_lo
; %bb.108:
	s_wait_alu 0xfffe
	s_or_b32 exec_lo, exec_lo, s3
	v_mov_b32_dpp v5, v4 row_shr:4 row_mask:0xf bank_mask:0xf
	s_delay_alu instid0(VALU_DEP_2)
	v_mov_b32_dpp v4, v2 row_shr:4 row_mask:0xf bank_mask:0xf
	s_mov_b32 s3, exec_lo
	v_cmpx_lt_u32_e32 3, v3
; %bb.109:
	s_delay_alu instid0(VALU_DEP_3) | instskip(SKIP_2) | instid1(VALU_DEP_2)
	v_add_co_u32 v1, vcc_lo, v1, v5
	s_wait_alu 0xfffd
	v_add_co_ci_u32_e64 v2, null, 0, v2, vcc_lo
	v_add_co_u32 v1, vcc_lo, v1, 0
	s_wait_alu 0xfffd
	s_delay_alu instid0(VALU_DEP_2)
	v_add_co_ci_u32_e64 v2, null, v2, v4, vcc_lo
; %bb.110:
	s_wait_alu 0xfffe
	s_or_b32 exec_lo, exec_lo, s3
	ds_store_b64 v38, v[1:2]
.LBB2530_111:
	s_wait_alu 0xfffe
	s_or_b32 exec_lo, exec_lo, s2
	v_mov_b32_e32 v6, 0
	v_mov_b32_e32 v7, 0
	s_mov_b32 s2, exec_lo
	s_wait_loadcnt_dscnt 0x0
	s_barrier_signal -1
	s_barrier_wait -1
	global_inv scope:SCOPE_SE
	v_cmpx_lt_u32_e32 31, v0
; %bb.112:
	v_lshl_add_u32 v1, v35, 3, -8
	ds_load_b64 v[6:7], v1
; %bb.113:
	s_wait_alu 0xfffe
	s_or_b32 exec_lo, exec_lo, s2
	v_sub_co_u32 v1, vcc_lo, v45, 1
	v_mov_b32_e32 v5, 0
	s_delay_alu instid0(VALU_DEP_2) | instskip(SKIP_1) | instid1(VALU_DEP_1)
	v_cmp_gt_i32_e64 s2, 0, v1
	s_wait_alu 0xf1ff
	v_cndmask_b32_e64 v1, v1, v45, s2
	s_delay_alu instid0(VALU_DEP_1)
	v_lshlrev_b32_e32 v2, 2, v1
	s_wait_dscnt 0x0
	v_add_co_u32 v1, s2, v6, v19
	s_wait_alu 0xf1ff
	v_add_co_ci_u32_e64 v3, null, v7, v20, s2
	v_cmp_eq_u32_e64 s2, 0, v0
	ds_bpermute_b32 v1, v2, v1
	ds_bpermute_b32 v8, v2, v3
	ds_load_b64 v[2:3], v5 offset:40
	s_and_saveexec_b32 s3, s2
	s_cbranch_execz .LBB2530_115
; %bb.114:
	s_wait_kmcnt 0x0
	s_add_nc_u64 s[4:5], s[6:7], 0x200
	v_mov_b32_e32 v4, 2
	s_wait_alu 0xfffe
	v_dual_mov_b32 v20, s5 :: v_dual_mov_b32 v19, s4
	s_wait_dscnt 0x0
	;;#ASMSTART
	global_store_b128 v[19:20], v[2:5] off scope:SCOPE_DEV	
s_wait_storecnt 0x0
	;;#ASMEND
.LBB2530_115:
	s_wait_alu 0xfffe
	s_or_b32 exec_lo, exec_lo, s3
	s_wait_dscnt 0x1
	s_wait_alu 0xfffd
	v_dual_cndmask_b32 v1, v1, v6 :: v_dual_cndmask_b32 v4, v8, v7
	s_wait_loadcnt_dscnt 0x0
	s_barrier_signal -1
	s_barrier_wait -1
	s_delay_alu instid0(VALU_DEP_1)
	v_cndmask_b32_e64 v33, v1, 0, s2
	v_cndmask_b32_e64 v34, v4, 0, s2
	v_mov_b32_e32 v4, 0
	v_mov_b32_e32 v5, 0
	global_inv scope:SCOPE_SE
	v_add_co_u32 v31, vcc_lo, v33, v41
	s_wait_alu 0xfffd
	v_add_co_ci_u32_e64 v32, null, 0, v34, vcc_lo
	s_delay_alu instid0(VALU_DEP_2) | instskip(SKIP_1) | instid1(VALU_DEP_2)
	v_add_co_u32 v29, vcc_lo, v31, v40
	s_wait_alu 0xfffd
	v_add_co_ci_u32_e64 v30, null, 0, v32, vcc_lo
	s_delay_alu instid0(VALU_DEP_2) | instskip(SKIP_1) | instid1(VALU_DEP_2)
	;; [unrolled: 4-line block ×6, first 2 shown]
	v_add_co_u32 v21, vcc_lo, v6, v42
	s_wait_alu 0xfffd
	v_add_co_ci_u32_e64 v22, null, 0, v7, vcc_lo
.LBB2530_116:
	s_load_b64 s[2:3], s[0:1], 0x30
	v_lshrrev_b32_e32 v38, 8, v17
	v_lshrrev_b32_e32 v35, 16, v17
	v_and_b32_e32 v17, 1, v17
	s_wait_dscnt 0x0
	v_cmp_gt_u64_e32 vcc_lo, 0xc1, v[2:3]
	v_lshrrev_b32_e32 v8, 8, v18
	v_lshrrev_b32_e32 v1, 16, v18
	s_mov_b32 s1, -1
	v_cmp_eq_u32_e64 s0, 1, v17
	s_cbranch_vccnz .LBB2530_120
; %bb.117:
	s_wait_alu 0xfffe
	s_and_b32 vcc_lo, exec_lo, s1
	s_wait_alu 0xfffe
	s_cbranch_vccnz .LBB2530_137
.LBB2530_118:
	v_cmp_eq_u32_e32 vcc_lo, 0, v0
	s_and_b32 s0, vcc_lo, s16
	s_wait_alu 0xfffe
	s_and_saveexec_b32 s1, s0
	s_cbranch_execnz .LBB2530_157
.LBB2530_119:
	s_endpgm
.LBB2530_120:
	v_add_co_u32 v19, vcc_lo, v4, v2
	s_wait_alu 0xfffd
	v_add_co_ci_u32_e64 v20, null, v5, v3, vcc_lo
	s_lshl_b64 s[4:5], s[10:11], 2
	s_wait_kmcnt 0x0
	s_wait_alu 0xfffe
	s_add_nc_u64 s[4:5], s[2:3], s[4:5]
	v_cmp_lt_u64_e32 vcc_lo, v[33:34], v[19:20]
	s_or_b32 s1, s17, vcc_lo
	s_wait_alu 0xfffe
	s_and_b32 s1, s1, s0
	s_wait_alu 0xfffe
	s_and_saveexec_b32 s0, s1
	s_cbranch_execz .LBB2530_122
; %bb.121:
	v_lshlrev_b64_e32 v[39:40], 2, v[33:34]
	s_delay_alu instid0(VALU_DEP_1) | instskip(SKIP_1) | instid1(VALU_DEP_2)
	v_add_co_u32 v39, vcc_lo, s4, v39
	s_wait_alu 0xfffd
	v_add_co_ci_u32_e64 v40, null, s5, v40, vcc_lo
	global_store_b32 v[39:40], v15, off
.LBB2530_122:
	s_wait_alu 0xfffe
	s_or_b32 exec_lo, exec_lo, s0
	v_and_b32_e32 v34, 1, v38
	v_cmp_lt_u64_e32 vcc_lo, v[31:32], v[19:20]
	s_delay_alu instid0(VALU_DEP_2)
	v_cmp_eq_u32_e64 s0, 1, v34
	s_or_b32 s1, s17, vcc_lo
	s_wait_alu 0xfffe
	s_and_b32 s1, s1, s0
	s_wait_alu 0xfffe
	s_and_saveexec_b32 s0, s1
	s_cbranch_execz .LBB2530_124
; %bb.123:
	v_lshlrev_b64_e32 v[39:40], 2, v[31:32]
	s_delay_alu instid0(VALU_DEP_1) | instskip(SKIP_1) | instid1(VALU_DEP_2)
	v_add_co_u32 v39, vcc_lo, s4, v39
	s_wait_alu 0xfffd
	v_add_co_ci_u32_e64 v40, null, s5, v40, vcc_lo
	global_store_b32 v[39:40], v16, off
.LBB2530_124:
	s_wait_alu 0xfffe
	s_or_b32 exec_lo, exec_lo, s0
	v_and_b32_e32 v32, 1, v35
	v_cmp_lt_u64_e32 vcc_lo, v[29:30], v[19:20]
	s_delay_alu instid0(VALU_DEP_2)
	v_cmp_eq_u32_e64 s0, 1, v32
	;; [unrolled: 20-line block ×7, first 2 shown]
	s_or_b32 s1, s17, vcc_lo
	s_wait_alu 0xfffe
	s_and_b32 s1, s1, s0
	s_wait_alu 0xfffe
	s_and_saveexec_b32 s0, s1
	s_cbranch_execz .LBB2530_136
; %bb.135:
	v_lshlrev_b64_e32 v[19:20], 2, v[21:22]
	s_delay_alu instid0(VALU_DEP_1) | instskip(SKIP_1) | instid1(VALU_DEP_2)
	v_add_co_u32 v19, vcc_lo, s4, v19
	s_wait_alu 0xfffd
	v_add_co_ci_u32_e64 v20, null, s5, v20, vcc_lo
	global_store_b32 v[19:20], v10, off
.LBB2530_136:
	s_wait_alu 0xfffe
	s_or_b32 exec_lo, exec_lo, s0
	s_branch .LBB2530_118
.LBB2530_137:
	s_mov_b32 s0, exec_lo
	v_cmpx_eq_u32_e32 1, v17
; %bb.138:
	v_sub_nc_u32_e32 v7, v33, v4
	s_delay_alu instid0(VALU_DEP_1)
	v_lshlrev_b32_e32 v7, 2, v7
	ds_store_b32 v7, v15
; %bb.139:
	s_wait_alu 0xfffe
	s_or_b32 exec_lo, exec_lo, s0
	v_and_b32_e32 v7, 1, v38
	s_mov_b32 s0, exec_lo
	s_delay_alu instid0(VALU_DEP_1)
	v_cmpx_eq_u32_e32 1, v7
; %bb.140:
	v_sub_nc_u32_e32 v7, v31, v4
	s_delay_alu instid0(VALU_DEP_1)
	v_lshlrev_b32_e32 v7, 2, v7
	ds_store_b32 v7, v16
; %bb.141:
	s_wait_alu 0xfffe
	s_or_b32 exec_lo, exec_lo, s0
	v_and_b32_e32 v7, 1, v35
	s_mov_b32 s0, exec_lo
	s_delay_alu instid0(VALU_DEP_1)
	;; [unrolled: 12-line block ×7, first 2 shown]
	v_cmpx_eq_u32_e32 1, v1
; %bb.152:
	v_sub_nc_u32_e32 v1, v21, v4
	s_delay_alu instid0(VALU_DEP_1)
	v_lshlrev_b32_e32 v1, 2, v1
	ds_store_b32 v1, v10
; %bb.153:
	s_wait_alu 0xfffe
	s_or_b32 exec_lo, exec_lo, s0
	v_mov_b32_e32 v7, 0
	s_mov_b32 s1, exec_lo
	s_wait_storecnt 0x0
	s_wait_loadcnt_dscnt 0x0
	s_barrier_signal -1
	s_barrier_wait -1
	v_mov_b32_e32 v1, v7
	global_inv scope:SCOPE_SE
	v_cmpx_gt_u64_e64 v[2:3], v[0:1]
	s_cbranch_execz .LBB2530_156
; %bb.154:
	v_lshlrev_b64_e32 v[8:9], 2, v[4:5]
	s_lshl_b64 s[4:5], s[10:11], 2
	v_add_nc_u32_e32 v6, 0xc0, v0
	s_wait_kmcnt 0x0
	s_wait_alu 0xfffe
	s_add_nc_u64 s[2:3], s[2:3], s[4:5]
	s_wait_alu 0xfffe
	v_add_co_u32 v10, vcc_lo, s2, v8
	s_wait_alu 0xfffd
	v_add_co_ci_u32_e64 v11, null, s3, v9, vcc_lo
	v_dual_mov_b32 v9, v1 :: v_dual_mov_b32 v8, v0
	s_mov_b32 s2, 0
.LBB2530_155:                           ; =>This Inner Loop Header: Depth=1
	s_delay_alu instid0(VALU_DEP_1) | instskip(NEXT) | instid1(VALU_DEP_2)
	v_lshlrev_b32_e32 v1, 2, v8
	v_lshlrev_b64_e32 v[12:13], 2, v[8:9]
	v_dual_mov_b32 v9, v7 :: v_dual_mov_b32 v8, v6
	v_cmp_le_u64_e32 vcc_lo, v[2:3], v[6:7]
	ds_load_b32 v1, v1
	v_add_nc_u32_e32 v6, 0xc0, v6
	v_add_co_u32 v12, s0, v10, v12
	s_wait_alu 0xf1ff
	v_add_co_ci_u32_e64 v13, null, v11, v13, s0
	s_wait_alu 0xfffe
	s_or_b32 s2, vcc_lo, s2
	s_wait_dscnt 0x0
	global_store_b32 v[12:13], v1, off
	s_wait_alu 0xfffe
	s_and_not1_b32 exec_lo, exec_lo, s2
	s_cbranch_execnz .LBB2530_155
.LBB2530_156:
	s_wait_alu 0xfffe
	s_or_b32 exec_lo, exec_lo, s1
	v_cmp_eq_u32_e32 vcc_lo, 0, v0
	s_and_b32 s0, vcc_lo, s16
	s_wait_alu 0xfffe
	s_and_saveexec_b32 s1, s0
	s_cbranch_execz .LBB2530_119
.LBB2530_157:
	v_add_co_u32 v0, vcc_lo, v4, v2
	s_wait_alu 0xfffd
	v_add_co_ci_u32_e64 v1, null, v5, v3, vcc_lo
	v_mov_b32_e32 v2, 0
	s_delay_alu instid0(VALU_DEP_3) | instskip(SKIP_1) | instid1(VALU_DEP_3)
	v_add_co_u32 v0, vcc_lo, v0, s10
	s_wait_alu 0xfffd
	v_add_co_ci_u32_e64 v1, null, s11, v1, vcc_lo
	global_store_b64 v2, v[0:1], s[8:9]
	s_endpgm
.LBB2530_158:
	v_add_co_u32 v12, s3, s4, v9
	s_wait_alu 0xf1ff
	v_add_co_ci_u32_e64 v13, null, s5, 0, s3
	flat_load_b32 v2, v[12:13] offset:768
	s_wait_alu 0xfffe
	s_or_b32 exec_lo, exec_lo, s2
	s_delay_alu instid0(SALU_CYCLE_1)
	s_mov_b32 s2, exec_lo
	v_cmpx_gt_u32_e64 s18, v22
	s_cbranch_execz .LBB2530_7
.LBB2530_159:
	v_add_co_u32 v12, s3, s4, v9
	s_wait_alu 0xf1ff
	v_add_co_ci_u32_e64 v13, null, s5, 0, s3
	flat_load_b32 v3, v[12:13] offset:1536
	s_wait_alu 0xfffe
	s_or_b32 exec_lo, exec_lo, s2
	s_delay_alu instid0(SALU_CYCLE_1)
	s_mov_b32 s2, exec_lo
	v_cmpx_gt_u32_e64 s18, v21
	s_cbranch_execz .LBB2530_8
.LBB2530_160:
	v_add_co_u32 v12, s3, s4, v9
	s_wait_alu 0xf1ff
	v_add_co_ci_u32_e64 v13, null, s5, 0, s3
	flat_load_b32 v4, v[12:13] offset:2304
	s_wait_alu 0xfffe
	s_or_b32 exec_lo, exec_lo, s2
	s_delay_alu instid0(SALU_CYCLE_1)
	s_mov_b32 s2, exec_lo
	v_cmpx_gt_u32_e64 s18, v19
	s_cbranch_execz .LBB2530_9
.LBB2530_161:
	v_add_co_u32 v12, s3, s4, v9
	s_wait_alu 0xf1ff
	v_add_co_ci_u32_e64 v13, null, s5, 0, s3
	flat_load_b32 v5, v[12:13] offset:3072
	s_wait_alu 0xfffe
	s_or_b32 exec_lo, exec_lo, s2
	s_delay_alu instid0(SALU_CYCLE_1)
	s_mov_b32 s2, exec_lo
	v_cmpx_gt_u32_e64 s18, v17
	s_cbranch_execz .LBB2530_10
.LBB2530_162:
	v_add_co_u32 v12, s3, s4, v9
	s_wait_alu 0xf1ff
	v_add_co_ci_u32_e64 v13, null, s5, 0, s3
	flat_load_b32 v6, v[12:13] offset:3840
	s_wait_alu 0xfffe
	s_or_b32 exec_lo, exec_lo, s2
	s_delay_alu instid0(SALU_CYCLE_1)
	s_mov_b32 s2, exec_lo
	v_cmpx_gt_u32_e64 s18, v18
	s_cbranch_execz .LBB2530_11
.LBB2530_163:
	v_add_co_u32 v12, s3, s4, v9
	s_wait_alu 0xf1ff
	v_add_co_ci_u32_e64 v13, null, s5, 0, s3
	flat_load_b32 v7, v[12:13] offset:4608
	s_wait_alu 0xfffe
	s_or_b32 exec_lo, exec_lo, s2
	s_delay_alu instid0(SALU_CYCLE_1)
	s_mov_b32 s2, exec_lo
	v_cmpx_gt_u32_e64 s18, v20
	s_cbranch_execnz .LBB2530_12
	s_branch .LBB2530_13
.LBB2530_164:
	global_load_u8 v6, v0, s[2:3] offset:192
	v_and_b32_e32 v7, 0xff, v2
	s_wait_loadcnt 0x0
	v_xor_b32_e32 v6, 1, v6
	s_delay_alu instid0(VALU_DEP_1) | instskip(NEXT) | instid1(VALU_DEP_1)
	v_lshlrev_b16 v6, 8, v6
	v_or_b32_e32 v6, v7, v6
	s_delay_alu instid0(VALU_DEP_1) | instskip(NEXT) | instid1(VALU_DEP_1)
	v_and_b32_e32 v6, 0xffff, v6
	v_and_or_b32 v2, 0xffff0000, v2, v6
	s_wait_alu 0xfffe
	s_or_b32 exec_lo, exec_lo, s4
	s_delay_alu instid0(SALU_CYCLE_1)
	s_mov_b32 s4, exec_lo
	v_cmpx_gt_u32_e64 s18, v22
	s_cbranch_execz .LBB2530_21
.LBB2530_165:
	global_load_u8 v6, v0, s[2:3] offset:384
	v_lshrrev_b32_e32 v7, 16, v2
	s_delay_alu instid0(VALU_DEP_1) | instskip(SKIP_2) | instid1(VALU_DEP_1)
	v_and_b32_e32 v7, 0xffffff00, v7
	s_wait_loadcnt 0x0
	v_xor_b32_e32 v6, 1, v6
	v_or_b32_e32 v6, v6, v7
	s_delay_alu instid0(VALU_DEP_1) | instskip(NEXT) | instid1(VALU_DEP_1)
	v_lshlrev_b32_e32 v6, 16, v6
	v_and_or_b32 v2, 0xffff, v2, v6
	s_wait_alu 0xfffe
	s_or_b32 exec_lo, exec_lo, s4
	s_delay_alu instid0(SALU_CYCLE_1)
	s_mov_b32 s4, exec_lo
	v_cmpx_gt_u32_e64 s18, v21
	s_cbranch_execz .LBB2530_22
.LBB2530_166:
	global_load_u8 v6, v0, s[2:3] offset:576
	v_lshrrev_b32_e32 v7, 16, v2
	s_delay_alu instid0(VALU_DEP_1) | instskip(SKIP_2) | instid1(VALU_DEP_1)
	v_and_b32_e32 v7, 0xff, v7
	s_wait_loadcnt 0x0
	v_xor_b32_e32 v6, 1, v6
	v_lshlrev_b16 v6, 8, v6
	s_delay_alu instid0(VALU_DEP_1) | instskip(NEXT) | instid1(VALU_DEP_1)
	v_or_b32_e32 v6, v7, v6
	v_lshlrev_b32_e32 v6, 16, v6
	s_delay_alu instid0(VALU_DEP_1) | instskip(SKIP_2) | instid1(SALU_CYCLE_1)
	v_and_or_b32 v2, 0xffff, v2, v6
	s_wait_alu 0xfffe
	s_or_b32 exec_lo, exec_lo, s4
	s_mov_b32 s4, exec_lo
	v_cmpx_gt_u32_e64 s18, v19
	s_cbranch_execz .LBB2530_23
.LBB2530_167:
	global_load_u8 v6, v0, s[2:3] offset:768
	v_and_b32_e32 v7, 0xffffff00, v3
	s_wait_loadcnt 0x0
	v_xor_b32_e32 v6, 1, v6
	s_delay_alu instid0(VALU_DEP_1) | instskip(NEXT) | instid1(VALU_DEP_1)
	v_or_b32_e32 v6, v6, v7
	v_and_b32_e32 v6, 0xffff, v6
	s_delay_alu instid0(VALU_DEP_1) | instskip(SKIP_2) | instid1(SALU_CYCLE_1)
	v_and_or_b32 v3, 0xffff0000, v3, v6
	s_wait_alu 0xfffe
	s_or_b32 exec_lo, exec_lo, s4
	s_mov_b32 s4, exec_lo
	v_cmpx_gt_u32_e64 s18, v17
	s_cbranch_execz .LBB2530_24
.LBB2530_168:
	global_load_u8 v6, v0, s[2:3] offset:960
	v_and_b32_e32 v7, 0xff, v3
	s_wait_loadcnt 0x0
	v_xor_b32_e32 v6, 1, v6
	s_delay_alu instid0(VALU_DEP_1) | instskip(NEXT) | instid1(VALU_DEP_1)
	v_lshlrev_b16 v6, 8, v6
	v_or_b32_e32 v6, v7, v6
	s_delay_alu instid0(VALU_DEP_1) | instskip(NEXT) | instid1(VALU_DEP_1)
	v_and_b32_e32 v6, 0xffff, v6
	v_and_or_b32 v3, 0xffff0000, v3, v6
	s_wait_alu 0xfffe
	s_or_b32 exec_lo, exec_lo, s4
	s_delay_alu instid0(SALU_CYCLE_1)
	s_mov_b32 s4, exec_lo
	v_cmpx_gt_u32_e64 s18, v18
	s_cbranch_execz .LBB2530_25
.LBB2530_169:
	global_load_u8 v6, v0, s[2:3] offset:1152
	v_lshrrev_b32_e32 v7, 16, v3
	s_delay_alu instid0(VALU_DEP_1) | instskip(SKIP_2) | instid1(VALU_DEP_1)
	v_and_b32_e32 v7, 0xffffff00, v7
	s_wait_loadcnt 0x0
	v_xor_b32_e32 v6, 1, v6
	v_or_b32_e32 v6, v6, v7
	s_delay_alu instid0(VALU_DEP_1) | instskip(NEXT) | instid1(VALU_DEP_1)
	v_lshlrev_b32_e32 v6, 16, v6
	v_and_or_b32 v3, 0xffff, v3, v6
	s_wait_alu 0xfffe
	s_or_b32 exec_lo, exec_lo, s4
	s_delay_alu instid0(SALU_CYCLE_1)
	s_mov_b32 s4, exec_lo
	v_cmpx_gt_u32_e64 s18, v20
	s_cbranch_execnz .LBB2530_26
	s_branch .LBB2530_27
	.section	.rodata,"a",@progbits
	.p2align	6, 0x0
	.amdhsa_kernel _ZN7rocprim17ROCPRIM_400000_NS6detail17trampoline_kernelINS0_14default_configENS1_25partition_config_selectorILNS1_17partition_subalgoE5EiNS0_10empty_typeEbEEZZNS1_14partition_implILS5_5ELb0ES3_mN6thrust23THRUST_200600_302600_NS6detail15normal_iteratorINSA_10device_ptrIiEEEEPS6_NSA_18transform_iteratorINSB_9not_fun_tI7is_trueIiEEENSC_INSD_IbEEEENSA_11use_defaultESO_EENS0_5tupleIJSF_S6_EEENSQ_IJSG_SG_EEES6_PlJS6_EEE10hipError_tPvRmT3_T4_T5_T6_T7_T9_mT8_P12ihipStream_tbDpT10_ENKUlT_T0_E_clISt17integral_constantIbLb0EES1D_EEDaS18_S19_EUlS18_E_NS1_11comp_targetILNS1_3genE10ELNS1_11target_archE1200ELNS1_3gpuE4ELNS1_3repE0EEENS1_30default_config_static_selectorELNS0_4arch9wavefront6targetE0EEEvT1_
		.amdhsa_group_segment_fixed_size 6352
		.amdhsa_private_segment_fixed_size 0
		.amdhsa_kernarg_size 120
		.amdhsa_user_sgpr_count 2
		.amdhsa_user_sgpr_dispatch_ptr 0
		.amdhsa_user_sgpr_queue_ptr 0
		.amdhsa_user_sgpr_kernarg_segment_ptr 1
		.amdhsa_user_sgpr_dispatch_id 0
		.amdhsa_user_sgpr_private_segment_size 0
		.amdhsa_wavefront_size32 1
		.amdhsa_uses_dynamic_stack 0
		.amdhsa_enable_private_segment 0
		.amdhsa_system_sgpr_workgroup_id_x 1
		.amdhsa_system_sgpr_workgroup_id_y 0
		.amdhsa_system_sgpr_workgroup_id_z 0
		.amdhsa_system_sgpr_workgroup_info 0
		.amdhsa_system_vgpr_workitem_id 0
		.amdhsa_next_free_vgpr 52
		.amdhsa_next_free_sgpr 22
		.amdhsa_reserve_vcc 1
		.amdhsa_float_round_mode_32 0
		.amdhsa_float_round_mode_16_64 0
		.amdhsa_float_denorm_mode_32 3
		.amdhsa_float_denorm_mode_16_64 3
		.amdhsa_fp16_overflow 0
		.amdhsa_workgroup_processor_mode 1
		.amdhsa_memory_ordered 1
		.amdhsa_forward_progress 1
		.amdhsa_inst_pref_size 72
		.amdhsa_round_robin_scheduling 0
		.amdhsa_exception_fp_ieee_invalid_op 0
		.amdhsa_exception_fp_denorm_src 0
		.amdhsa_exception_fp_ieee_div_zero 0
		.amdhsa_exception_fp_ieee_overflow 0
		.amdhsa_exception_fp_ieee_underflow 0
		.amdhsa_exception_fp_ieee_inexact 0
		.amdhsa_exception_int_div_zero 0
	.end_amdhsa_kernel
	.section	.text._ZN7rocprim17ROCPRIM_400000_NS6detail17trampoline_kernelINS0_14default_configENS1_25partition_config_selectorILNS1_17partition_subalgoE5EiNS0_10empty_typeEbEEZZNS1_14partition_implILS5_5ELb0ES3_mN6thrust23THRUST_200600_302600_NS6detail15normal_iteratorINSA_10device_ptrIiEEEEPS6_NSA_18transform_iteratorINSB_9not_fun_tI7is_trueIiEEENSC_INSD_IbEEEENSA_11use_defaultESO_EENS0_5tupleIJSF_S6_EEENSQ_IJSG_SG_EEES6_PlJS6_EEE10hipError_tPvRmT3_T4_T5_T6_T7_T9_mT8_P12ihipStream_tbDpT10_ENKUlT_T0_E_clISt17integral_constantIbLb0EES1D_EEDaS18_S19_EUlS18_E_NS1_11comp_targetILNS1_3genE10ELNS1_11target_archE1200ELNS1_3gpuE4ELNS1_3repE0EEENS1_30default_config_static_selectorELNS0_4arch9wavefront6targetE0EEEvT1_,"axG",@progbits,_ZN7rocprim17ROCPRIM_400000_NS6detail17trampoline_kernelINS0_14default_configENS1_25partition_config_selectorILNS1_17partition_subalgoE5EiNS0_10empty_typeEbEEZZNS1_14partition_implILS5_5ELb0ES3_mN6thrust23THRUST_200600_302600_NS6detail15normal_iteratorINSA_10device_ptrIiEEEEPS6_NSA_18transform_iteratorINSB_9not_fun_tI7is_trueIiEEENSC_INSD_IbEEEENSA_11use_defaultESO_EENS0_5tupleIJSF_S6_EEENSQ_IJSG_SG_EEES6_PlJS6_EEE10hipError_tPvRmT3_T4_T5_T6_T7_T9_mT8_P12ihipStream_tbDpT10_ENKUlT_T0_E_clISt17integral_constantIbLb0EES1D_EEDaS18_S19_EUlS18_E_NS1_11comp_targetILNS1_3genE10ELNS1_11target_archE1200ELNS1_3gpuE4ELNS1_3repE0EEENS1_30default_config_static_selectorELNS0_4arch9wavefront6targetE0EEEvT1_,comdat
.Lfunc_end2530:
	.size	_ZN7rocprim17ROCPRIM_400000_NS6detail17trampoline_kernelINS0_14default_configENS1_25partition_config_selectorILNS1_17partition_subalgoE5EiNS0_10empty_typeEbEEZZNS1_14partition_implILS5_5ELb0ES3_mN6thrust23THRUST_200600_302600_NS6detail15normal_iteratorINSA_10device_ptrIiEEEEPS6_NSA_18transform_iteratorINSB_9not_fun_tI7is_trueIiEEENSC_INSD_IbEEEENSA_11use_defaultESO_EENS0_5tupleIJSF_S6_EEENSQ_IJSG_SG_EEES6_PlJS6_EEE10hipError_tPvRmT3_T4_T5_T6_T7_T9_mT8_P12ihipStream_tbDpT10_ENKUlT_T0_E_clISt17integral_constantIbLb0EES1D_EEDaS18_S19_EUlS18_E_NS1_11comp_targetILNS1_3genE10ELNS1_11target_archE1200ELNS1_3gpuE4ELNS1_3repE0EEENS1_30default_config_static_selectorELNS0_4arch9wavefront6targetE0EEEvT1_, .Lfunc_end2530-_ZN7rocprim17ROCPRIM_400000_NS6detail17trampoline_kernelINS0_14default_configENS1_25partition_config_selectorILNS1_17partition_subalgoE5EiNS0_10empty_typeEbEEZZNS1_14partition_implILS5_5ELb0ES3_mN6thrust23THRUST_200600_302600_NS6detail15normal_iteratorINSA_10device_ptrIiEEEEPS6_NSA_18transform_iteratorINSB_9not_fun_tI7is_trueIiEEENSC_INSD_IbEEEENSA_11use_defaultESO_EENS0_5tupleIJSF_S6_EEENSQ_IJSG_SG_EEES6_PlJS6_EEE10hipError_tPvRmT3_T4_T5_T6_T7_T9_mT8_P12ihipStream_tbDpT10_ENKUlT_T0_E_clISt17integral_constantIbLb0EES1D_EEDaS18_S19_EUlS18_E_NS1_11comp_targetILNS1_3genE10ELNS1_11target_archE1200ELNS1_3gpuE4ELNS1_3repE0EEENS1_30default_config_static_selectorELNS0_4arch9wavefront6targetE0EEEvT1_
                                        ; -- End function
	.set _ZN7rocprim17ROCPRIM_400000_NS6detail17trampoline_kernelINS0_14default_configENS1_25partition_config_selectorILNS1_17partition_subalgoE5EiNS0_10empty_typeEbEEZZNS1_14partition_implILS5_5ELb0ES3_mN6thrust23THRUST_200600_302600_NS6detail15normal_iteratorINSA_10device_ptrIiEEEEPS6_NSA_18transform_iteratorINSB_9not_fun_tI7is_trueIiEEENSC_INSD_IbEEEENSA_11use_defaultESO_EENS0_5tupleIJSF_S6_EEENSQ_IJSG_SG_EEES6_PlJS6_EEE10hipError_tPvRmT3_T4_T5_T6_T7_T9_mT8_P12ihipStream_tbDpT10_ENKUlT_T0_E_clISt17integral_constantIbLb0EES1D_EEDaS18_S19_EUlS18_E_NS1_11comp_targetILNS1_3genE10ELNS1_11target_archE1200ELNS1_3gpuE4ELNS1_3repE0EEENS1_30default_config_static_selectorELNS0_4arch9wavefront6targetE0EEEvT1_.num_vgpr, 52
	.set _ZN7rocprim17ROCPRIM_400000_NS6detail17trampoline_kernelINS0_14default_configENS1_25partition_config_selectorILNS1_17partition_subalgoE5EiNS0_10empty_typeEbEEZZNS1_14partition_implILS5_5ELb0ES3_mN6thrust23THRUST_200600_302600_NS6detail15normal_iteratorINSA_10device_ptrIiEEEEPS6_NSA_18transform_iteratorINSB_9not_fun_tI7is_trueIiEEENSC_INSD_IbEEEENSA_11use_defaultESO_EENS0_5tupleIJSF_S6_EEENSQ_IJSG_SG_EEES6_PlJS6_EEE10hipError_tPvRmT3_T4_T5_T6_T7_T9_mT8_P12ihipStream_tbDpT10_ENKUlT_T0_E_clISt17integral_constantIbLb0EES1D_EEDaS18_S19_EUlS18_E_NS1_11comp_targetILNS1_3genE10ELNS1_11target_archE1200ELNS1_3gpuE4ELNS1_3repE0EEENS1_30default_config_static_selectorELNS0_4arch9wavefront6targetE0EEEvT1_.num_agpr, 0
	.set _ZN7rocprim17ROCPRIM_400000_NS6detail17trampoline_kernelINS0_14default_configENS1_25partition_config_selectorILNS1_17partition_subalgoE5EiNS0_10empty_typeEbEEZZNS1_14partition_implILS5_5ELb0ES3_mN6thrust23THRUST_200600_302600_NS6detail15normal_iteratorINSA_10device_ptrIiEEEEPS6_NSA_18transform_iteratorINSB_9not_fun_tI7is_trueIiEEENSC_INSD_IbEEEENSA_11use_defaultESO_EENS0_5tupleIJSF_S6_EEENSQ_IJSG_SG_EEES6_PlJS6_EEE10hipError_tPvRmT3_T4_T5_T6_T7_T9_mT8_P12ihipStream_tbDpT10_ENKUlT_T0_E_clISt17integral_constantIbLb0EES1D_EEDaS18_S19_EUlS18_E_NS1_11comp_targetILNS1_3genE10ELNS1_11target_archE1200ELNS1_3gpuE4ELNS1_3repE0EEENS1_30default_config_static_selectorELNS0_4arch9wavefront6targetE0EEEvT1_.numbered_sgpr, 22
	.set _ZN7rocprim17ROCPRIM_400000_NS6detail17trampoline_kernelINS0_14default_configENS1_25partition_config_selectorILNS1_17partition_subalgoE5EiNS0_10empty_typeEbEEZZNS1_14partition_implILS5_5ELb0ES3_mN6thrust23THRUST_200600_302600_NS6detail15normal_iteratorINSA_10device_ptrIiEEEEPS6_NSA_18transform_iteratorINSB_9not_fun_tI7is_trueIiEEENSC_INSD_IbEEEENSA_11use_defaultESO_EENS0_5tupleIJSF_S6_EEENSQ_IJSG_SG_EEES6_PlJS6_EEE10hipError_tPvRmT3_T4_T5_T6_T7_T9_mT8_P12ihipStream_tbDpT10_ENKUlT_T0_E_clISt17integral_constantIbLb0EES1D_EEDaS18_S19_EUlS18_E_NS1_11comp_targetILNS1_3genE10ELNS1_11target_archE1200ELNS1_3gpuE4ELNS1_3repE0EEENS1_30default_config_static_selectorELNS0_4arch9wavefront6targetE0EEEvT1_.num_named_barrier, 0
	.set _ZN7rocprim17ROCPRIM_400000_NS6detail17trampoline_kernelINS0_14default_configENS1_25partition_config_selectorILNS1_17partition_subalgoE5EiNS0_10empty_typeEbEEZZNS1_14partition_implILS5_5ELb0ES3_mN6thrust23THRUST_200600_302600_NS6detail15normal_iteratorINSA_10device_ptrIiEEEEPS6_NSA_18transform_iteratorINSB_9not_fun_tI7is_trueIiEEENSC_INSD_IbEEEENSA_11use_defaultESO_EENS0_5tupleIJSF_S6_EEENSQ_IJSG_SG_EEES6_PlJS6_EEE10hipError_tPvRmT3_T4_T5_T6_T7_T9_mT8_P12ihipStream_tbDpT10_ENKUlT_T0_E_clISt17integral_constantIbLb0EES1D_EEDaS18_S19_EUlS18_E_NS1_11comp_targetILNS1_3genE10ELNS1_11target_archE1200ELNS1_3gpuE4ELNS1_3repE0EEENS1_30default_config_static_selectorELNS0_4arch9wavefront6targetE0EEEvT1_.private_seg_size, 0
	.set _ZN7rocprim17ROCPRIM_400000_NS6detail17trampoline_kernelINS0_14default_configENS1_25partition_config_selectorILNS1_17partition_subalgoE5EiNS0_10empty_typeEbEEZZNS1_14partition_implILS5_5ELb0ES3_mN6thrust23THRUST_200600_302600_NS6detail15normal_iteratorINSA_10device_ptrIiEEEEPS6_NSA_18transform_iteratorINSB_9not_fun_tI7is_trueIiEEENSC_INSD_IbEEEENSA_11use_defaultESO_EENS0_5tupleIJSF_S6_EEENSQ_IJSG_SG_EEES6_PlJS6_EEE10hipError_tPvRmT3_T4_T5_T6_T7_T9_mT8_P12ihipStream_tbDpT10_ENKUlT_T0_E_clISt17integral_constantIbLb0EES1D_EEDaS18_S19_EUlS18_E_NS1_11comp_targetILNS1_3genE10ELNS1_11target_archE1200ELNS1_3gpuE4ELNS1_3repE0EEENS1_30default_config_static_selectorELNS0_4arch9wavefront6targetE0EEEvT1_.uses_vcc, 1
	.set _ZN7rocprim17ROCPRIM_400000_NS6detail17trampoline_kernelINS0_14default_configENS1_25partition_config_selectorILNS1_17partition_subalgoE5EiNS0_10empty_typeEbEEZZNS1_14partition_implILS5_5ELb0ES3_mN6thrust23THRUST_200600_302600_NS6detail15normal_iteratorINSA_10device_ptrIiEEEEPS6_NSA_18transform_iteratorINSB_9not_fun_tI7is_trueIiEEENSC_INSD_IbEEEENSA_11use_defaultESO_EENS0_5tupleIJSF_S6_EEENSQ_IJSG_SG_EEES6_PlJS6_EEE10hipError_tPvRmT3_T4_T5_T6_T7_T9_mT8_P12ihipStream_tbDpT10_ENKUlT_T0_E_clISt17integral_constantIbLb0EES1D_EEDaS18_S19_EUlS18_E_NS1_11comp_targetILNS1_3genE10ELNS1_11target_archE1200ELNS1_3gpuE4ELNS1_3repE0EEENS1_30default_config_static_selectorELNS0_4arch9wavefront6targetE0EEEvT1_.uses_flat_scratch, 1
	.set _ZN7rocprim17ROCPRIM_400000_NS6detail17trampoline_kernelINS0_14default_configENS1_25partition_config_selectorILNS1_17partition_subalgoE5EiNS0_10empty_typeEbEEZZNS1_14partition_implILS5_5ELb0ES3_mN6thrust23THRUST_200600_302600_NS6detail15normal_iteratorINSA_10device_ptrIiEEEEPS6_NSA_18transform_iteratorINSB_9not_fun_tI7is_trueIiEEENSC_INSD_IbEEEENSA_11use_defaultESO_EENS0_5tupleIJSF_S6_EEENSQ_IJSG_SG_EEES6_PlJS6_EEE10hipError_tPvRmT3_T4_T5_T6_T7_T9_mT8_P12ihipStream_tbDpT10_ENKUlT_T0_E_clISt17integral_constantIbLb0EES1D_EEDaS18_S19_EUlS18_E_NS1_11comp_targetILNS1_3genE10ELNS1_11target_archE1200ELNS1_3gpuE4ELNS1_3repE0EEENS1_30default_config_static_selectorELNS0_4arch9wavefront6targetE0EEEvT1_.has_dyn_sized_stack, 0
	.set _ZN7rocprim17ROCPRIM_400000_NS6detail17trampoline_kernelINS0_14default_configENS1_25partition_config_selectorILNS1_17partition_subalgoE5EiNS0_10empty_typeEbEEZZNS1_14partition_implILS5_5ELb0ES3_mN6thrust23THRUST_200600_302600_NS6detail15normal_iteratorINSA_10device_ptrIiEEEEPS6_NSA_18transform_iteratorINSB_9not_fun_tI7is_trueIiEEENSC_INSD_IbEEEENSA_11use_defaultESO_EENS0_5tupleIJSF_S6_EEENSQ_IJSG_SG_EEES6_PlJS6_EEE10hipError_tPvRmT3_T4_T5_T6_T7_T9_mT8_P12ihipStream_tbDpT10_ENKUlT_T0_E_clISt17integral_constantIbLb0EES1D_EEDaS18_S19_EUlS18_E_NS1_11comp_targetILNS1_3genE10ELNS1_11target_archE1200ELNS1_3gpuE4ELNS1_3repE0EEENS1_30default_config_static_selectorELNS0_4arch9wavefront6targetE0EEEvT1_.has_recursion, 0
	.set _ZN7rocprim17ROCPRIM_400000_NS6detail17trampoline_kernelINS0_14default_configENS1_25partition_config_selectorILNS1_17partition_subalgoE5EiNS0_10empty_typeEbEEZZNS1_14partition_implILS5_5ELb0ES3_mN6thrust23THRUST_200600_302600_NS6detail15normal_iteratorINSA_10device_ptrIiEEEEPS6_NSA_18transform_iteratorINSB_9not_fun_tI7is_trueIiEEENSC_INSD_IbEEEENSA_11use_defaultESO_EENS0_5tupleIJSF_S6_EEENSQ_IJSG_SG_EEES6_PlJS6_EEE10hipError_tPvRmT3_T4_T5_T6_T7_T9_mT8_P12ihipStream_tbDpT10_ENKUlT_T0_E_clISt17integral_constantIbLb0EES1D_EEDaS18_S19_EUlS18_E_NS1_11comp_targetILNS1_3genE10ELNS1_11target_archE1200ELNS1_3gpuE4ELNS1_3repE0EEENS1_30default_config_static_selectorELNS0_4arch9wavefront6targetE0EEEvT1_.has_indirect_call, 0
	.section	.AMDGPU.csdata,"",@progbits
; Kernel info:
; codeLenInByte = 9204
; TotalNumSgprs: 24
; NumVgprs: 52
; ScratchSize: 0
; MemoryBound: 0
; FloatMode: 240
; IeeeMode: 1
; LDSByteSize: 6352 bytes/workgroup (compile time only)
; SGPRBlocks: 0
; VGPRBlocks: 6
; NumSGPRsForWavesPerEU: 24
; NumVGPRsForWavesPerEU: 52
; Occupancy: 15
; WaveLimiterHint : 1
; COMPUTE_PGM_RSRC2:SCRATCH_EN: 0
; COMPUTE_PGM_RSRC2:USER_SGPR: 2
; COMPUTE_PGM_RSRC2:TRAP_HANDLER: 0
; COMPUTE_PGM_RSRC2:TGID_X_EN: 1
; COMPUTE_PGM_RSRC2:TGID_Y_EN: 0
; COMPUTE_PGM_RSRC2:TGID_Z_EN: 0
; COMPUTE_PGM_RSRC2:TIDIG_COMP_CNT: 0
	.section	.text._ZN7rocprim17ROCPRIM_400000_NS6detail17trampoline_kernelINS0_14default_configENS1_25partition_config_selectorILNS1_17partition_subalgoE5EiNS0_10empty_typeEbEEZZNS1_14partition_implILS5_5ELb0ES3_mN6thrust23THRUST_200600_302600_NS6detail15normal_iteratorINSA_10device_ptrIiEEEEPS6_NSA_18transform_iteratorINSB_9not_fun_tI7is_trueIiEEENSC_INSD_IbEEEENSA_11use_defaultESO_EENS0_5tupleIJSF_S6_EEENSQ_IJSG_SG_EEES6_PlJS6_EEE10hipError_tPvRmT3_T4_T5_T6_T7_T9_mT8_P12ihipStream_tbDpT10_ENKUlT_T0_E_clISt17integral_constantIbLb0EES1D_EEDaS18_S19_EUlS18_E_NS1_11comp_targetILNS1_3genE9ELNS1_11target_archE1100ELNS1_3gpuE3ELNS1_3repE0EEENS1_30default_config_static_selectorELNS0_4arch9wavefront6targetE0EEEvT1_,"axG",@progbits,_ZN7rocprim17ROCPRIM_400000_NS6detail17trampoline_kernelINS0_14default_configENS1_25partition_config_selectorILNS1_17partition_subalgoE5EiNS0_10empty_typeEbEEZZNS1_14partition_implILS5_5ELb0ES3_mN6thrust23THRUST_200600_302600_NS6detail15normal_iteratorINSA_10device_ptrIiEEEEPS6_NSA_18transform_iteratorINSB_9not_fun_tI7is_trueIiEEENSC_INSD_IbEEEENSA_11use_defaultESO_EENS0_5tupleIJSF_S6_EEENSQ_IJSG_SG_EEES6_PlJS6_EEE10hipError_tPvRmT3_T4_T5_T6_T7_T9_mT8_P12ihipStream_tbDpT10_ENKUlT_T0_E_clISt17integral_constantIbLb0EES1D_EEDaS18_S19_EUlS18_E_NS1_11comp_targetILNS1_3genE9ELNS1_11target_archE1100ELNS1_3gpuE3ELNS1_3repE0EEENS1_30default_config_static_selectorELNS0_4arch9wavefront6targetE0EEEvT1_,comdat
	.protected	_ZN7rocprim17ROCPRIM_400000_NS6detail17trampoline_kernelINS0_14default_configENS1_25partition_config_selectorILNS1_17partition_subalgoE5EiNS0_10empty_typeEbEEZZNS1_14partition_implILS5_5ELb0ES3_mN6thrust23THRUST_200600_302600_NS6detail15normal_iteratorINSA_10device_ptrIiEEEEPS6_NSA_18transform_iteratorINSB_9not_fun_tI7is_trueIiEEENSC_INSD_IbEEEENSA_11use_defaultESO_EENS0_5tupleIJSF_S6_EEENSQ_IJSG_SG_EEES6_PlJS6_EEE10hipError_tPvRmT3_T4_T5_T6_T7_T9_mT8_P12ihipStream_tbDpT10_ENKUlT_T0_E_clISt17integral_constantIbLb0EES1D_EEDaS18_S19_EUlS18_E_NS1_11comp_targetILNS1_3genE9ELNS1_11target_archE1100ELNS1_3gpuE3ELNS1_3repE0EEENS1_30default_config_static_selectorELNS0_4arch9wavefront6targetE0EEEvT1_ ; -- Begin function _ZN7rocprim17ROCPRIM_400000_NS6detail17trampoline_kernelINS0_14default_configENS1_25partition_config_selectorILNS1_17partition_subalgoE5EiNS0_10empty_typeEbEEZZNS1_14partition_implILS5_5ELb0ES3_mN6thrust23THRUST_200600_302600_NS6detail15normal_iteratorINSA_10device_ptrIiEEEEPS6_NSA_18transform_iteratorINSB_9not_fun_tI7is_trueIiEEENSC_INSD_IbEEEENSA_11use_defaultESO_EENS0_5tupleIJSF_S6_EEENSQ_IJSG_SG_EEES6_PlJS6_EEE10hipError_tPvRmT3_T4_T5_T6_T7_T9_mT8_P12ihipStream_tbDpT10_ENKUlT_T0_E_clISt17integral_constantIbLb0EES1D_EEDaS18_S19_EUlS18_E_NS1_11comp_targetILNS1_3genE9ELNS1_11target_archE1100ELNS1_3gpuE3ELNS1_3repE0EEENS1_30default_config_static_selectorELNS0_4arch9wavefront6targetE0EEEvT1_
	.globl	_ZN7rocprim17ROCPRIM_400000_NS6detail17trampoline_kernelINS0_14default_configENS1_25partition_config_selectorILNS1_17partition_subalgoE5EiNS0_10empty_typeEbEEZZNS1_14partition_implILS5_5ELb0ES3_mN6thrust23THRUST_200600_302600_NS6detail15normal_iteratorINSA_10device_ptrIiEEEEPS6_NSA_18transform_iteratorINSB_9not_fun_tI7is_trueIiEEENSC_INSD_IbEEEENSA_11use_defaultESO_EENS0_5tupleIJSF_S6_EEENSQ_IJSG_SG_EEES6_PlJS6_EEE10hipError_tPvRmT3_T4_T5_T6_T7_T9_mT8_P12ihipStream_tbDpT10_ENKUlT_T0_E_clISt17integral_constantIbLb0EES1D_EEDaS18_S19_EUlS18_E_NS1_11comp_targetILNS1_3genE9ELNS1_11target_archE1100ELNS1_3gpuE3ELNS1_3repE0EEENS1_30default_config_static_selectorELNS0_4arch9wavefront6targetE0EEEvT1_
	.p2align	8
	.type	_ZN7rocprim17ROCPRIM_400000_NS6detail17trampoline_kernelINS0_14default_configENS1_25partition_config_selectorILNS1_17partition_subalgoE5EiNS0_10empty_typeEbEEZZNS1_14partition_implILS5_5ELb0ES3_mN6thrust23THRUST_200600_302600_NS6detail15normal_iteratorINSA_10device_ptrIiEEEEPS6_NSA_18transform_iteratorINSB_9not_fun_tI7is_trueIiEEENSC_INSD_IbEEEENSA_11use_defaultESO_EENS0_5tupleIJSF_S6_EEENSQ_IJSG_SG_EEES6_PlJS6_EEE10hipError_tPvRmT3_T4_T5_T6_T7_T9_mT8_P12ihipStream_tbDpT10_ENKUlT_T0_E_clISt17integral_constantIbLb0EES1D_EEDaS18_S19_EUlS18_E_NS1_11comp_targetILNS1_3genE9ELNS1_11target_archE1100ELNS1_3gpuE3ELNS1_3repE0EEENS1_30default_config_static_selectorELNS0_4arch9wavefront6targetE0EEEvT1_,@function
_ZN7rocprim17ROCPRIM_400000_NS6detail17trampoline_kernelINS0_14default_configENS1_25partition_config_selectorILNS1_17partition_subalgoE5EiNS0_10empty_typeEbEEZZNS1_14partition_implILS5_5ELb0ES3_mN6thrust23THRUST_200600_302600_NS6detail15normal_iteratorINSA_10device_ptrIiEEEEPS6_NSA_18transform_iteratorINSB_9not_fun_tI7is_trueIiEEENSC_INSD_IbEEEENSA_11use_defaultESO_EENS0_5tupleIJSF_S6_EEENSQ_IJSG_SG_EEES6_PlJS6_EEE10hipError_tPvRmT3_T4_T5_T6_T7_T9_mT8_P12ihipStream_tbDpT10_ENKUlT_T0_E_clISt17integral_constantIbLb0EES1D_EEDaS18_S19_EUlS18_E_NS1_11comp_targetILNS1_3genE9ELNS1_11target_archE1100ELNS1_3gpuE3ELNS1_3repE0EEENS1_30default_config_static_selectorELNS0_4arch9wavefront6targetE0EEEvT1_: ; @_ZN7rocprim17ROCPRIM_400000_NS6detail17trampoline_kernelINS0_14default_configENS1_25partition_config_selectorILNS1_17partition_subalgoE5EiNS0_10empty_typeEbEEZZNS1_14partition_implILS5_5ELb0ES3_mN6thrust23THRUST_200600_302600_NS6detail15normal_iteratorINSA_10device_ptrIiEEEEPS6_NSA_18transform_iteratorINSB_9not_fun_tI7is_trueIiEEENSC_INSD_IbEEEENSA_11use_defaultESO_EENS0_5tupleIJSF_S6_EEENSQ_IJSG_SG_EEES6_PlJS6_EEE10hipError_tPvRmT3_T4_T5_T6_T7_T9_mT8_P12ihipStream_tbDpT10_ENKUlT_T0_E_clISt17integral_constantIbLb0EES1D_EEDaS18_S19_EUlS18_E_NS1_11comp_targetILNS1_3genE9ELNS1_11target_archE1100ELNS1_3gpuE3ELNS1_3repE0EEENS1_30default_config_static_selectorELNS0_4arch9wavefront6targetE0EEEvT1_
; %bb.0:
	.section	.rodata,"a",@progbits
	.p2align	6, 0x0
	.amdhsa_kernel _ZN7rocprim17ROCPRIM_400000_NS6detail17trampoline_kernelINS0_14default_configENS1_25partition_config_selectorILNS1_17partition_subalgoE5EiNS0_10empty_typeEbEEZZNS1_14partition_implILS5_5ELb0ES3_mN6thrust23THRUST_200600_302600_NS6detail15normal_iteratorINSA_10device_ptrIiEEEEPS6_NSA_18transform_iteratorINSB_9not_fun_tI7is_trueIiEEENSC_INSD_IbEEEENSA_11use_defaultESO_EENS0_5tupleIJSF_S6_EEENSQ_IJSG_SG_EEES6_PlJS6_EEE10hipError_tPvRmT3_T4_T5_T6_T7_T9_mT8_P12ihipStream_tbDpT10_ENKUlT_T0_E_clISt17integral_constantIbLb0EES1D_EEDaS18_S19_EUlS18_E_NS1_11comp_targetILNS1_3genE9ELNS1_11target_archE1100ELNS1_3gpuE3ELNS1_3repE0EEENS1_30default_config_static_selectorELNS0_4arch9wavefront6targetE0EEEvT1_
		.amdhsa_group_segment_fixed_size 0
		.amdhsa_private_segment_fixed_size 0
		.amdhsa_kernarg_size 120
		.amdhsa_user_sgpr_count 2
		.amdhsa_user_sgpr_dispatch_ptr 0
		.amdhsa_user_sgpr_queue_ptr 0
		.amdhsa_user_sgpr_kernarg_segment_ptr 1
		.amdhsa_user_sgpr_dispatch_id 0
		.amdhsa_user_sgpr_private_segment_size 0
		.amdhsa_wavefront_size32 1
		.amdhsa_uses_dynamic_stack 0
		.amdhsa_enable_private_segment 0
		.amdhsa_system_sgpr_workgroup_id_x 1
		.amdhsa_system_sgpr_workgroup_id_y 0
		.amdhsa_system_sgpr_workgroup_id_z 0
		.amdhsa_system_sgpr_workgroup_info 0
		.amdhsa_system_vgpr_workitem_id 0
		.amdhsa_next_free_vgpr 1
		.amdhsa_next_free_sgpr 1
		.amdhsa_reserve_vcc 0
		.amdhsa_float_round_mode_32 0
		.amdhsa_float_round_mode_16_64 0
		.amdhsa_float_denorm_mode_32 3
		.amdhsa_float_denorm_mode_16_64 3
		.amdhsa_fp16_overflow 0
		.amdhsa_workgroup_processor_mode 1
		.amdhsa_memory_ordered 1
		.amdhsa_forward_progress 1
		.amdhsa_inst_pref_size 0
		.amdhsa_round_robin_scheduling 0
		.amdhsa_exception_fp_ieee_invalid_op 0
		.amdhsa_exception_fp_denorm_src 0
		.amdhsa_exception_fp_ieee_div_zero 0
		.amdhsa_exception_fp_ieee_overflow 0
		.amdhsa_exception_fp_ieee_underflow 0
		.amdhsa_exception_fp_ieee_inexact 0
		.amdhsa_exception_int_div_zero 0
	.end_amdhsa_kernel
	.section	.text._ZN7rocprim17ROCPRIM_400000_NS6detail17trampoline_kernelINS0_14default_configENS1_25partition_config_selectorILNS1_17partition_subalgoE5EiNS0_10empty_typeEbEEZZNS1_14partition_implILS5_5ELb0ES3_mN6thrust23THRUST_200600_302600_NS6detail15normal_iteratorINSA_10device_ptrIiEEEEPS6_NSA_18transform_iteratorINSB_9not_fun_tI7is_trueIiEEENSC_INSD_IbEEEENSA_11use_defaultESO_EENS0_5tupleIJSF_S6_EEENSQ_IJSG_SG_EEES6_PlJS6_EEE10hipError_tPvRmT3_T4_T5_T6_T7_T9_mT8_P12ihipStream_tbDpT10_ENKUlT_T0_E_clISt17integral_constantIbLb0EES1D_EEDaS18_S19_EUlS18_E_NS1_11comp_targetILNS1_3genE9ELNS1_11target_archE1100ELNS1_3gpuE3ELNS1_3repE0EEENS1_30default_config_static_selectorELNS0_4arch9wavefront6targetE0EEEvT1_,"axG",@progbits,_ZN7rocprim17ROCPRIM_400000_NS6detail17trampoline_kernelINS0_14default_configENS1_25partition_config_selectorILNS1_17partition_subalgoE5EiNS0_10empty_typeEbEEZZNS1_14partition_implILS5_5ELb0ES3_mN6thrust23THRUST_200600_302600_NS6detail15normal_iteratorINSA_10device_ptrIiEEEEPS6_NSA_18transform_iteratorINSB_9not_fun_tI7is_trueIiEEENSC_INSD_IbEEEENSA_11use_defaultESO_EENS0_5tupleIJSF_S6_EEENSQ_IJSG_SG_EEES6_PlJS6_EEE10hipError_tPvRmT3_T4_T5_T6_T7_T9_mT8_P12ihipStream_tbDpT10_ENKUlT_T0_E_clISt17integral_constantIbLb0EES1D_EEDaS18_S19_EUlS18_E_NS1_11comp_targetILNS1_3genE9ELNS1_11target_archE1100ELNS1_3gpuE3ELNS1_3repE0EEENS1_30default_config_static_selectorELNS0_4arch9wavefront6targetE0EEEvT1_,comdat
.Lfunc_end2531:
	.size	_ZN7rocprim17ROCPRIM_400000_NS6detail17trampoline_kernelINS0_14default_configENS1_25partition_config_selectorILNS1_17partition_subalgoE5EiNS0_10empty_typeEbEEZZNS1_14partition_implILS5_5ELb0ES3_mN6thrust23THRUST_200600_302600_NS6detail15normal_iteratorINSA_10device_ptrIiEEEEPS6_NSA_18transform_iteratorINSB_9not_fun_tI7is_trueIiEEENSC_INSD_IbEEEENSA_11use_defaultESO_EENS0_5tupleIJSF_S6_EEENSQ_IJSG_SG_EEES6_PlJS6_EEE10hipError_tPvRmT3_T4_T5_T6_T7_T9_mT8_P12ihipStream_tbDpT10_ENKUlT_T0_E_clISt17integral_constantIbLb0EES1D_EEDaS18_S19_EUlS18_E_NS1_11comp_targetILNS1_3genE9ELNS1_11target_archE1100ELNS1_3gpuE3ELNS1_3repE0EEENS1_30default_config_static_selectorELNS0_4arch9wavefront6targetE0EEEvT1_, .Lfunc_end2531-_ZN7rocprim17ROCPRIM_400000_NS6detail17trampoline_kernelINS0_14default_configENS1_25partition_config_selectorILNS1_17partition_subalgoE5EiNS0_10empty_typeEbEEZZNS1_14partition_implILS5_5ELb0ES3_mN6thrust23THRUST_200600_302600_NS6detail15normal_iteratorINSA_10device_ptrIiEEEEPS6_NSA_18transform_iteratorINSB_9not_fun_tI7is_trueIiEEENSC_INSD_IbEEEENSA_11use_defaultESO_EENS0_5tupleIJSF_S6_EEENSQ_IJSG_SG_EEES6_PlJS6_EEE10hipError_tPvRmT3_T4_T5_T6_T7_T9_mT8_P12ihipStream_tbDpT10_ENKUlT_T0_E_clISt17integral_constantIbLb0EES1D_EEDaS18_S19_EUlS18_E_NS1_11comp_targetILNS1_3genE9ELNS1_11target_archE1100ELNS1_3gpuE3ELNS1_3repE0EEENS1_30default_config_static_selectorELNS0_4arch9wavefront6targetE0EEEvT1_
                                        ; -- End function
	.set _ZN7rocprim17ROCPRIM_400000_NS6detail17trampoline_kernelINS0_14default_configENS1_25partition_config_selectorILNS1_17partition_subalgoE5EiNS0_10empty_typeEbEEZZNS1_14partition_implILS5_5ELb0ES3_mN6thrust23THRUST_200600_302600_NS6detail15normal_iteratorINSA_10device_ptrIiEEEEPS6_NSA_18transform_iteratorINSB_9not_fun_tI7is_trueIiEEENSC_INSD_IbEEEENSA_11use_defaultESO_EENS0_5tupleIJSF_S6_EEENSQ_IJSG_SG_EEES6_PlJS6_EEE10hipError_tPvRmT3_T4_T5_T6_T7_T9_mT8_P12ihipStream_tbDpT10_ENKUlT_T0_E_clISt17integral_constantIbLb0EES1D_EEDaS18_S19_EUlS18_E_NS1_11comp_targetILNS1_3genE9ELNS1_11target_archE1100ELNS1_3gpuE3ELNS1_3repE0EEENS1_30default_config_static_selectorELNS0_4arch9wavefront6targetE0EEEvT1_.num_vgpr, 0
	.set _ZN7rocprim17ROCPRIM_400000_NS6detail17trampoline_kernelINS0_14default_configENS1_25partition_config_selectorILNS1_17partition_subalgoE5EiNS0_10empty_typeEbEEZZNS1_14partition_implILS5_5ELb0ES3_mN6thrust23THRUST_200600_302600_NS6detail15normal_iteratorINSA_10device_ptrIiEEEEPS6_NSA_18transform_iteratorINSB_9not_fun_tI7is_trueIiEEENSC_INSD_IbEEEENSA_11use_defaultESO_EENS0_5tupleIJSF_S6_EEENSQ_IJSG_SG_EEES6_PlJS6_EEE10hipError_tPvRmT3_T4_T5_T6_T7_T9_mT8_P12ihipStream_tbDpT10_ENKUlT_T0_E_clISt17integral_constantIbLb0EES1D_EEDaS18_S19_EUlS18_E_NS1_11comp_targetILNS1_3genE9ELNS1_11target_archE1100ELNS1_3gpuE3ELNS1_3repE0EEENS1_30default_config_static_selectorELNS0_4arch9wavefront6targetE0EEEvT1_.num_agpr, 0
	.set _ZN7rocprim17ROCPRIM_400000_NS6detail17trampoline_kernelINS0_14default_configENS1_25partition_config_selectorILNS1_17partition_subalgoE5EiNS0_10empty_typeEbEEZZNS1_14partition_implILS5_5ELb0ES3_mN6thrust23THRUST_200600_302600_NS6detail15normal_iteratorINSA_10device_ptrIiEEEEPS6_NSA_18transform_iteratorINSB_9not_fun_tI7is_trueIiEEENSC_INSD_IbEEEENSA_11use_defaultESO_EENS0_5tupleIJSF_S6_EEENSQ_IJSG_SG_EEES6_PlJS6_EEE10hipError_tPvRmT3_T4_T5_T6_T7_T9_mT8_P12ihipStream_tbDpT10_ENKUlT_T0_E_clISt17integral_constantIbLb0EES1D_EEDaS18_S19_EUlS18_E_NS1_11comp_targetILNS1_3genE9ELNS1_11target_archE1100ELNS1_3gpuE3ELNS1_3repE0EEENS1_30default_config_static_selectorELNS0_4arch9wavefront6targetE0EEEvT1_.numbered_sgpr, 0
	.set _ZN7rocprim17ROCPRIM_400000_NS6detail17trampoline_kernelINS0_14default_configENS1_25partition_config_selectorILNS1_17partition_subalgoE5EiNS0_10empty_typeEbEEZZNS1_14partition_implILS5_5ELb0ES3_mN6thrust23THRUST_200600_302600_NS6detail15normal_iteratorINSA_10device_ptrIiEEEEPS6_NSA_18transform_iteratorINSB_9not_fun_tI7is_trueIiEEENSC_INSD_IbEEEENSA_11use_defaultESO_EENS0_5tupleIJSF_S6_EEENSQ_IJSG_SG_EEES6_PlJS6_EEE10hipError_tPvRmT3_T4_T5_T6_T7_T9_mT8_P12ihipStream_tbDpT10_ENKUlT_T0_E_clISt17integral_constantIbLb0EES1D_EEDaS18_S19_EUlS18_E_NS1_11comp_targetILNS1_3genE9ELNS1_11target_archE1100ELNS1_3gpuE3ELNS1_3repE0EEENS1_30default_config_static_selectorELNS0_4arch9wavefront6targetE0EEEvT1_.num_named_barrier, 0
	.set _ZN7rocprim17ROCPRIM_400000_NS6detail17trampoline_kernelINS0_14default_configENS1_25partition_config_selectorILNS1_17partition_subalgoE5EiNS0_10empty_typeEbEEZZNS1_14partition_implILS5_5ELb0ES3_mN6thrust23THRUST_200600_302600_NS6detail15normal_iteratorINSA_10device_ptrIiEEEEPS6_NSA_18transform_iteratorINSB_9not_fun_tI7is_trueIiEEENSC_INSD_IbEEEENSA_11use_defaultESO_EENS0_5tupleIJSF_S6_EEENSQ_IJSG_SG_EEES6_PlJS6_EEE10hipError_tPvRmT3_T4_T5_T6_T7_T9_mT8_P12ihipStream_tbDpT10_ENKUlT_T0_E_clISt17integral_constantIbLb0EES1D_EEDaS18_S19_EUlS18_E_NS1_11comp_targetILNS1_3genE9ELNS1_11target_archE1100ELNS1_3gpuE3ELNS1_3repE0EEENS1_30default_config_static_selectorELNS0_4arch9wavefront6targetE0EEEvT1_.private_seg_size, 0
	.set _ZN7rocprim17ROCPRIM_400000_NS6detail17trampoline_kernelINS0_14default_configENS1_25partition_config_selectorILNS1_17partition_subalgoE5EiNS0_10empty_typeEbEEZZNS1_14partition_implILS5_5ELb0ES3_mN6thrust23THRUST_200600_302600_NS6detail15normal_iteratorINSA_10device_ptrIiEEEEPS6_NSA_18transform_iteratorINSB_9not_fun_tI7is_trueIiEEENSC_INSD_IbEEEENSA_11use_defaultESO_EENS0_5tupleIJSF_S6_EEENSQ_IJSG_SG_EEES6_PlJS6_EEE10hipError_tPvRmT3_T4_T5_T6_T7_T9_mT8_P12ihipStream_tbDpT10_ENKUlT_T0_E_clISt17integral_constantIbLb0EES1D_EEDaS18_S19_EUlS18_E_NS1_11comp_targetILNS1_3genE9ELNS1_11target_archE1100ELNS1_3gpuE3ELNS1_3repE0EEENS1_30default_config_static_selectorELNS0_4arch9wavefront6targetE0EEEvT1_.uses_vcc, 0
	.set _ZN7rocprim17ROCPRIM_400000_NS6detail17trampoline_kernelINS0_14default_configENS1_25partition_config_selectorILNS1_17partition_subalgoE5EiNS0_10empty_typeEbEEZZNS1_14partition_implILS5_5ELb0ES3_mN6thrust23THRUST_200600_302600_NS6detail15normal_iteratorINSA_10device_ptrIiEEEEPS6_NSA_18transform_iteratorINSB_9not_fun_tI7is_trueIiEEENSC_INSD_IbEEEENSA_11use_defaultESO_EENS0_5tupleIJSF_S6_EEENSQ_IJSG_SG_EEES6_PlJS6_EEE10hipError_tPvRmT3_T4_T5_T6_T7_T9_mT8_P12ihipStream_tbDpT10_ENKUlT_T0_E_clISt17integral_constantIbLb0EES1D_EEDaS18_S19_EUlS18_E_NS1_11comp_targetILNS1_3genE9ELNS1_11target_archE1100ELNS1_3gpuE3ELNS1_3repE0EEENS1_30default_config_static_selectorELNS0_4arch9wavefront6targetE0EEEvT1_.uses_flat_scratch, 0
	.set _ZN7rocprim17ROCPRIM_400000_NS6detail17trampoline_kernelINS0_14default_configENS1_25partition_config_selectorILNS1_17partition_subalgoE5EiNS0_10empty_typeEbEEZZNS1_14partition_implILS5_5ELb0ES3_mN6thrust23THRUST_200600_302600_NS6detail15normal_iteratorINSA_10device_ptrIiEEEEPS6_NSA_18transform_iteratorINSB_9not_fun_tI7is_trueIiEEENSC_INSD_IbEEEENSA_11use_defaultESO_EENS0_5tupleIJSF_S6_EEENSQ_IJSG_SG_EEES6_PlJS6_EEE10hipError_tPvRmT3_T4_T5_T6_T7_T9_mT8_P12ihipStream_tbDpT10_ENKUlT_T0_E_clISt17integral_constantIbLb0EES1D_EEDaS18_S19_EUlS18_E_NS1_11comp_targetILNS1_3genE9ELNS1_11target_archE1100ELNS1_3gpuE3ELNS1_3repE0EEENS1_30default_config_static_selectorELNS0_4arch9wavefront6targetE0EEEvT1_.has_dyn_sized_stack, 0
	.set _ZN7rocprim17ROCPRIM_400000_NS6detail17trampoline_kernelINS0_14default_configENS1_25partition_config_selectorILNS1_17partition_subalgoE5EiNS0_10empty_typeEbEEZZNS1_14partition_implILS5_5ELb0ES3_mN6thrust23THRUST_200600_302600_NS6detail15normal_iteratorINSA_10device_ptrIiEEEEPS6_NSA_18transform_iteratorINSB_9not_fun_tI7is_trueIiEEENSC_INSD_IbEEEENSA_11use_defaultESO_EENS0_5tupleIJSF_S6_EEENSQ_IJSG_SG_EEES6_PlJS6_EEE10hipError_tPvRmT3_T4_T5_T6_T7_T9_mT8_P12ihipStream_tbDpT10_ENKUlT_T0_E_clISt17integral_constantIbLb0EES1D_EEDaS18_S19_EUlS18_E_NS1_11comp_targetILNS1_3genE9ELNS1_11target_archE1100ELNS1_3gpuE3ELNS1_3repE0EEENS1_30default_config_static_selectorELNS0_4arch9wavefront6targetE0EEEvT1_.has_recursion, 0
	.set _ZN7rocprim17ROCPRIM_400000_NS6detail17trampoline_kernelINS0_14default_configENS1_25partition_config_selectorILNS1_17partition_subalgoE5EiNS0_10empty_typeEbEEZZNS1_14partition_implILS5_5ELb0ES3_mN6thrust23THRUST_200600_302600_NS6detail15normal_iteratorINSA_10device_ptrIiEEEEPS6_NSA_18transform_iteratorINSB_9not_fun_tI7is_trueIiEEENSC_INSD_IbEEEENSA_11use_defaultESO_EENS0_5tupleIJSF_S6_EEENSQ_IJSG_SG_EEES6_PlJS6_EEE10hipError_tPvRmT3_T4_T5_T6_T7_T9_mT8_P12ihipStream_tbDpT10_ENKUlT_T0_E_clISt17integral_constantIbLb0EES1D_EEDaS18_S19_EUlS18_E_NS1_11comp_targetILNS1_3genE9ELNS1_11target_archE1100ELNS1_3gpuE3ELNS1_3repE0EEENS1_30default_config_static_selectorELNS0_4arch9wavefront6targetE0EEEvT1_.has_indirect_call, 0
	.section	.AMDGPU.csdata,"",@progbits
; Kernel info:
; codeLenInByte = 0
; TotalNumSgprs: 0
; NumVgprs: 0
; ScratchSize: 0
; MemoryBound: 0
; FloatMode: 240
; IeeeMode: 1
; LDSByteSize: 0 bytes/workgroup (compile time only)
; SGPRBlocks: 0
; VGPRBlocks: 0
; NumSGPRsForWavesPerEU: 1
; NumVGPRsForWavesPerEU: 1
; Occupancy: 16
; WaveLimiterHint : 0
; COMPUTE_PGM_RSRC2:SCRATCH_EN: 0
; COMPUTE_PGM_RSRC2:USER_SGPR: 2
; COMPUTE_PGM_RSRC2:TRAP_HANDLER: 0
; COMPUTE_PGM_RSRC2:TGID_X_EN: 1
; COMPUTE_PGM_RSRC2:TGID_Y_EN: 0
; COMPUTE_PGM_RSRC2:TGID_Z_EN: 0
; COMPUTE_PGM_RSRC2:TIDIG_COMP_CNT: 0
	.section	.text._ZN7rocprim17ROCPRIM_400000_NS6detail17trampoline_kernelINS0_14default_configENS1_25partition_config_selectorILNS1_17partition_subalgoE5EiNS0_10empty_typeEbEEZZNS1_14partition_implILS5_5ELb0ES3_mN6thrust23THRUST_200600_302600_NS6detail15normal_iteratorINSA_10device_ptrIiEEEEPS6_NSA_18transform_iteratorINSB_9not_fun_tI7is_trueIiEEENSC_INSD_IbEEEENSA_11use_defaultESO_EENS0_5tupleIJSF_S6_EEENSQ_IJSG_SG_EEES6_PlJS6_EEE10hipError_tPvRmT3_T4_T5_T6_T7_T9_mT8_P12ihipStream_tbDpT10_ENKUlT_T0_E_clISt17integral_constantIbLb0EES1D_EEDaS18_S19_EUlS18_E_NS1_11comp_targetILNS1_3genE8ELNS1_11target_archE1030ELNS1_3gpuE2ELNS1_3repE0EEENS1_30default_config_static_selectorELNS0_4arch9wavefront6targetE0EEEvT1_,"axG",@progbits,_ZN7rocprim17ROCPRIM_400000_NS6detail17trampoline_kernelINS0_14default_configENS1_25partition_config_selectorILNS1_17partition_subalgoE5EiNS0_10empty_typeEbEEZZNS1_14partition_implILS5_5ELb0ES3_mN6thrust23THRUST_200600_302600_NS6detail15normal_iteratorINSA_10device_ptrIiEEEEPS6_NSA_18transform_iteratorINSB_9not_fun_tI7is_trueIiEEENSC_INSD_IbEEEENSA_11use_defaultESO_EENS0_5tupleIJSF_S6_EEENSQ_IJSG_SG_EEES6_PlJS6_EEE10hipError_tPvRmT3_T4_T5_T6_T7_T9_mT8_P12ihipStream_tbDpT10_ENKUlT_T0_E_clISt17integral_constantIbLb0EES1D_EEDaS18_S19_EUlS18_E_NS1_11comp_targetILNS1_3genE8ELNS1_11target_archE1030ELNS1_3gpuE2ELNS1_3repE0EEENS1_30default_config_static_selectorELNS0_4arch9wavefront6targetE0EEEvT1_,comdat
	.protected	_ZN7rocprim17ROCPRIM_400000_NS6detail17trampoline_kernelINS0_14default_configENS1_25partition_config_selectorILNS1_17partition_subalgoE5EiNS0_10empty_typeEbEEZZNS1_14partition_implILS5_5ELb0ES3_mN6thrust23THRUST_200600_302600_NS6detail15normal_iteratorINSA_10device_ptrIiEEEEPS6_NSA_18transform_iteratorINSB_9not_fun_tI7is_trueIiEEENSC_INSD_IbEEEENSA_11use_defaultESO_EENS0_5tupleIJSF_S6_EEENSQ_IJSG_SG_EEES6_PlJS6_EEE10hipError_tPvRmT3_T4_T5_T6_T7_T9_mT8_P12ihipStream_tbDpT10_ENKUlT_T0_E_clISt17integral_constantIbLb0EES1D_EEDaS18_S19_EUlS18_E_NS1_11comp_targetILNS1_3genE8ELNS1_11target_archE1030ELNS1_3gpuE2ELNS1_3repE0EEENS1_30default_config_static_selectorELNS0_4arch9wavefront6targetE0EEEvT1_ ; -- Begin function _ZN7rocprim17ROCPRIM_400000_NS6detail17trampoline_kernelINS0_14default_configENS1_25partition_config_selectorILNS1_17partition_subalgoE5EiNS0_10empty_typeEbEEZZNS1_14partition_implILS5_5ELb0ES3_mN6thrust23THRUST_200600_302600_NS6detail15normal_iteratorINSA_10device_ptrIiEEEEPS6_NSA_18transform_iteratorINSB_9not_fun_tI7is_trueIiEEENSC_INSD_IbEEEENSA_11use_defaultESO_EENS0_5tupleIJSF_S6_EEENSQ_IJSG_SG_EEES6_PlJS6_EEE10hipError_tPvRmT3_T4_T5_T6_T7_T9_mT8_P12ihipStream_tbDpT10_ENKUlT_T0_E_clISt17integral_constantIbLb0EES1D_EEDaS18_S19_EUlS18_E_NS1_11comp_targetILNS1_3genE8ELNS1_11target_archE1030ELNS1_3gpuE2ELNS1_3repE0EEENS1_30default_config_static_selectorELNS0_4arch9wavefront6targetE0EEEvT1_
	.globl	_ZN7rocprim17ROCPRIM_400000_NS6detail17trampoline_kernelINS0_14default_configENS1_25partition_config_selectorILNS1_17partition_subalgoE5EiNS0_10empty_typeEbEEZZNS1_14partition_implILS5_5ELb0ES3_mN6thrust23THRUST_200600_302600_NS6detail15normal_iteratorINSA_10device_ptrIiEEEEPS6_NSA_18transform_iteratorINSB_9not_fun_tI7is_trueIiEEENSC_INSD_IbEEEENSA_11use_defaultESO_EENS0_5tupleIJSF_S6_EEENSQ_IJSG_SG_EEES6_PlJS6_EEE10hipError_tPvRmT3_T4_T5_T6_T7_T9_mT8_P12ihipStream_tbDpT10_ENKUlT_T0_E_clISt17integral_constantIbLb0EES1D_EEDaS18_S19_EUlS18_E_NS1_11comp_targetILNS1_3genE8ELNS1_11target_archE1030ELNS1_3gpuE2ELNS1_3repE0EEENS1_30default_config_static_selectorELNS0_4arch9wavefront6targetE0EEEvT1_
	.p2align	8
	.type	_ZN7rocprim17ROCPRIM_400000_NS6detail17trampoline_kernelINS0_14default_configENS1_25partition_config_selectorILNS1_17partition_subalgoE5EiNS0_10empty_typeEbEEZZNS1_14partition_implILS5_5ELb0ES3_mN6thrust23THRUST_200600_302600_NS6detail15normal_iteratorINSA_10device_ptrIiEEEEPS6_NSA_18transform_iteratorINSB_9not_fun_tI7is_trueIiEEENSC_INSD_IbEEEENSA_11use_defaultESO_EENS0_5tupleIJSF_S6_EEENSQ_IJSG_SG_EEES6_PlJS6_EEE10hipError_tPvRmT3_T4_T5_T6_T7_T9_mT8_P12ihipStream_tbDpT10_ENKUlT_T0_E_clISt17integral_constantIbLb0EES1D_EEDaS18_S19_EUlS18_E_NS1_11comp_targetILNS1_3genE8ELNS1_11target_archE1030ELNS1_3gpuE2ELNS1_3repE0EEENS1_30default_config_static_selectorELNS0_4arch9wavefront6targetE0EEEvT1_,@function
_ZN7rocprim17ROCPRIM_400000_NS6detail17trampoline_kernelINS0_14default_configENS1_25partition_config_selectorILNS1_17partition_subalgoE5EiNS0_10empty_typeEbEEZZNS1_14partition_implILS5_5ELb0ES3_mN6thrust23THRUST_200600_302600_NS6detail15normal_iteratorINSA_10device_ptrIiEEEEPS6_NSA_18transform_iteratorINSB_9not_fun_tI7is_trueIiEEENSC_INSD_IbEEEENSA_11use_defaultESO_EENS0_5tupleIJSF_S6_EEENSQ_IJSG_SG_EEES6_PlJS6_EEE10hipError_tPvRmT3_T4_T5_T6_T7_T9_mT8_P12ihipStream_tbDpT10_ENKUlT_T0_E_clISt17integral_constantIbLb0EES1D_EEDaS18_S19_EUlS18_E_NS1_11comp_targetILNS1_3genE8ELNS1_11target_archE1030ELNS1_3gpuE2ELNS1_3repE0EEENS1_30default_config_static_selectorELNS0_4arch9wavefront6targetE0EEEvT1_: ; @_ZN7rocprim17ROCPRIM_400000_NS6detail17trampoline_kernelINS0_14default_configENS1_25partition_config_selectorILNS1_17partition_subalgoE5EiNS0_10empty_typeEbEEZZNS1_14partition_implILS5_5ELb0ES3_mN6thrust23THRUST_200600_302600_NS6detail15normal_iteratorINSA_10device_ptrIiEEEEPS6_NSA_18transform_iteratorINSB_9not_fun_tI7is_trueIiEEENSC_INSD_IbEEEENSA_11use_defaultESO_EENS0_5tupleIJSF_S6_EEENSQ_IJSG_SG_EEES6_PlJS6_EEE10hipError_tPvRmT3_T4_T5_T6_T7_T9_mT8_P12ihipStream_tbDpT10_ENKUlT_T0_E_clISt17integral_constantIbLb0EES1D_EEDaS18_S19_EUlS18_E_NS1_11comp_targetILNS1_3genE8ELNS1_11target_archE1030ELNS1_3gpuE2ELNS1_3repE0EEENS1_30default_config_static_selectorELNS0_4arch9wavefront6targetE0EEEvT1_
; %bb.0:
	.section	.rodata,"a",@progbits
	.p2align	6, 0x0
	.amdhsa_kernel _ZN7rocprim17ROCPRIM_400000_NS6detail17trampoline_kernelINS0_14default_configENS1_25partition_config_selectorILNS1_17partition_subalgoE5EiNS0_10empty_typeEbEEZZNS1_14partition_implILS5_5ELb0ES3_mN6thrust23THRUST_200600_302600_NS6detail15normal_iteratorINSA_10device_ptrIiEEEEPS6_NSA_18transform_iteratorINSB_9not_fun_tI7is_trueIiEEENSC_INSD_IbEEEENSA_11use_defaultESO_EENS0_5tupleIJSF_S6_EEENSQ_IJSG_SG_EEES6_PlJS6_EEE10hipError_tPvRmT3_T4_T5_T6_T7_T9_mT8_P12ihipStream_tbDpT10_ENKUlT_T0_E_clISt17integral_constantIbLb0EES1D_EEDaS18_S19_EUlS18_E_NS1_11comp_targetILNS1_3genE8ELNS1_11target_archE1030ELNS1_3gpuE2ELNS1_3repE0EEENS1_30default_config_static_selectorELNS0_4arch9wavefront6targetE0EEEvT1_
		.amdhsa_group_segment_fixed_size 0
		.amdhsa_private_segment_fixed_size 0
		.amdhsa_kernarg_size 120
		.amdhsa_user_sgpr_count 2
		.amdhsa_user_sgpr_dispatch_ptr 0
		.amdhsa_user_sgpr_queue_ptr 0
		.amdhsa_user_sgpr_kernarg_segment_ptr 1
		.amdhsa_user_sgpr_dispatch_id 0
		.amdhsa_user_sgpr_private_segment_size 0
		.amdhsa_wavefront_size32 1
		.amdhsa_uses_dynamic_stack 0
		.amdhsa_enable_private_segment 0
		.amdhsa_system_sgpr_workgroup_id_x 1
		.amdhsa_system_sgpr_workgroup_id_y 0
		.amdhsa_system_sgpr_workgroup_id_z 0
		.amdhsa_system_sgpr_workgroup_info 0
		.amdhsa_system_vgpr_workitem_id 0
		.amdhsa_next_free_vgpr 1
		.amdhsa_next_free_sgpr 1
		.amdhsa_reserve_vcc 0
		.amdhsa_float_round_mode_32 0
		.amdhsa_float_round_mode_16_64 0
		.amdhsa_float_denorm_mode_32 3
		.amdhsa_float_denorm_mode_16_64 3
		.amdhsa_fp16_overflow 0
		.amdhsa_workgroup_processor_mode 1
		.amdhsa_memory_ordered 1
		.amdhsa_forward_progress 1
		.amdhsa_inst_pref_size 0
		.amdhsa_round_robin_scheduling 0
		.amdhsa_exception_fp_ieee_invalid_op 0
		.amdhsa_exception_fp_denorm_src 0
		.amdhsa_exception_fp_ieee_div_zero 0
		.amdhsa_exception_fp_ieee_overflow 0
		.amdhsa_exception_fp_ieee_underflow 0
		.amdhsa_exception_fp_ieee_inexact 0
		.amdhsa_exception_int_div_zero 0
	.end_amdhsa_kernel
	.section	.text._ZN7rocprim17ROCPRIM_400000_NS6detail17trampoline_kernelINS0_14default_configENS1_25partition_config_selectorILNS1_17partition_subalgoE5EiNS0_10empty_typeEbEEZZNS1_14partition_implILS5_5ELb0ES3_mN6thrust23THRUST_200600_302600_NS6detail15normal_iteratorINSA_10device_ptrIiEEEEPS6_NSA_18transform_iteratorINSB_9not_fun_tI7is_trueIiEEENSC_INSD_IbEEEENSA_11use_defaultESO_EENS0_5tupleIJSF_S6_EEENSQ_IJSG_SG_EEES6_PlJS6_EEE10hipError_tPvRmT3_T4_T5_T6_T7_T9_mT8_P12ihipStream_tbDpT10_ENKUlT_T0_E_clISt17integral_constantIbLb0EES1D_EEDaS18_S19_EUlS18_E_NS1_11comp_targetILNS1_3genE8ELNS1_11target_archE1030ELNS1_3gpuE2ELNS1_3repE0EEENS1_30default_config_static_selectorELNS0_4arch9wavefront6targetE0EEEvT1_,"axG",@progbits,_ZN7rocprim17ROCPRIM_400000_NS6detail17trampoline_kernelINS0_14default_configENS1_25partition_config_selectorILNS1_17partition_subalgoE5EiNS0_10empty_typeEbEEZZNS1_14partition_implILS5_5ELb0ES3_mN6thrust23THRUST_200600_302600_NS6detail15normal_iteratorINSA_10device_ptrIiEEEEPS6_NSA_18transform_iteratorINSB_9not_fun_tI7is_trueIiEEENSC_INSD_IbEEEENSA_11use_defaultESO_EENS0_5tupleIJSF_S6_EEENSQ_IJSG_SG_EEES6_PlJS6_EEE10hipError_tPvRmT3_T4_T5_T6_T7_T9_mT8_P12ihipStream_tbDpT10_ENKUlT_T0_E_clISt17integral_constantIbLb0EES1D_EEDaS18_S19_EUlS18_E_NS1_11comp_targetILNS1_3genE8ELNS1_11target_archE1030ELNS1_3gpuE2ELNS1_3repE0EEENS1_30default_config_static_selectorELNS0_4arch9wavefront6targetE0EEEvT1_,comdat
.Lfunc_end2532:
	.size	_ZN7rocprim17ROCPRIM_400000_NS6detail17trampoline_kernelINS0_14default_configENS1_25partition_config_selectorILNS1_17partition_subalgoE5EiNS0_10empty_typeEbEEZZNS1_14partition_implILS5_5ELb0ES3_mN6thrust23THRUST_200600_302600_NS6detail15normal_iteratorINSA_10device_ptrIiEEEEPS6_NSA_18transform_iteratorINSB_9not_fun_tI7is_trueIiEEENSC_INSD_IbEEEENSA_11use_defaultESO_EENS0_5tupleIJSF_S6_EEENSQ_IJSG_SG_EEES6_PlJS6_EEE10hipError_tPvRmT3_T4_T5_T6_T7_T9_mT8_P12ihipStream_tbDpT10_ENKUlT_T0_E_clISt17integral_constantIbLb0EES1D_EEDaS18_S19_EUlS18_E_NS1_11comp_targetILNS1_3genE8ELNS1_11target_archE1030ELNS1_3gpuE2ELNS1_3repE0EEENS1_30default_config_static_selectorELNS0_4arch9wavefront6targetE0EEEvT1_, .Lfunc_end2532-_ZN7rocprim17ROCPRIM_400000_NS6detail17trampoline_kernelINS0_14default_configENS1_25partition_config_selectorILNS1_17partition_subalgoE5EiNS0_10empty_typeEbEEZZNS1_14partition_implILS5_5ELb0ES3_mN6thrust23THRUST_200600_302600_NS6detail15normal_iteratorINSA_10device_ptrIiEEEEPS6_NSA_18transform_iteratorINSB_9not_fun_tI7is_trueIiEEENSC_INSD_IbEEEENSA_11use_defaultESO_EENS0_5tupleIJSF_S6_EEENSQ_IJSG_SG_EEES6_PlJS6_EEE10hipError_tPvRmT3_T4_T5_T6_T7_T9_mT8_P12ihipStream_tbDpT10_ENKUlT_T0_E_clISt17integral_constantIbLb0EES1D_EEDaS18_S19_EUlS18_E_NS1_11comp_targetILNS1_3genE8ELNS1_11target_archE1030ELNS1_3gpuE2ELNS1_3repE0EEENS1_30default_config_static_selectorELNS0_4arch9wavefront6targetE0EEEvT1_
                                        ; -- End function
	.set _ZN7rocprim17ROCPRIM_400000_NS6detail17trampoline_kernelINS0_14default_configENS1_25partition_config_selectorILNS1_17partition_subalgoE5EiNS0_10empty_typeEbEEZZNS1_14partition_implILS5_5ELb0ES3_mN6thrust23THRUST_200600_302600_NS6detail15normal_iteratorINSA_10device_ptrIiEEEEPS6_NSA_18transform_iteratorINSB_9not_fun_tI7is_trueIiEEENSC_INSD_IbEEEENSA_11use_defaultESO_EENS0_5tupleIJSF_S6_EEENSQ_IJSG_SG_EEES6_PlJS6_EEE10hipError_tPvRmT3_T4_T5_T6_T7_T9_mT8_P12ihipStream_tbDpT10_ENKUlT_T0_E_clISt17integral_constantIbLb0EES1D_EEDaS18_S19_EUlS18_E_NS1_11comp_targetILNS1_3genE8ELNS1_11target_archE1030ELNS1_3gpuE2ELNS1_3repE0EEENS1_30default_config_static_selectorELNS0_4arch9wavefront6targetE0EEEvT1_.num_vgpr, 0
	.set _ZN7rocprim17ROCPRIM_400000_NS6detail17trampoline_kernelINS0_14default_configENS1_25partition_config_selectorILNS1_17partition_subalgoE5EiNS0_10empty_typeEbEEZZNS1_14partition_implILS5_5ELb0ES3_mN6thrust23THRUST_200600_302600_NS6detail15normal_iteratorINSA_10device_ptrIiEEEEPS6_NSA_18transform_iteratorINSB_9not_fun_tI7is_trueIiEEENSC_INSD_IbEEEENSA_11use_defaultESO_EENS0_5tupleIJSF_S6_EEENSQ_IJSG_SG_EEES6_PlJS6_EEE10hipError_tPvRmT3_T4_T5_T6_T7_T9_mT8_P12ihipStream_tbDpT10_ENKUlT_T0_E_clISt17integral_constantIbLb0EES1D_EEDaS18_S19_EUlS18_E_NS1_11comp_targetILNS1_3genE8ELNS1_11target_archE1030ELNS1_3gpuE2ELNS1_3repE0EEENS1_30default_config_static_selectorELNS0_4arch9wavefront6targetE0EEEvT1_.num_agpr, 0
	.set _ZN7rocprim17ROCPRIM_400000_NS6detail17trampoline_kernelINS0_14default_configENS1_25partition_config_selectorILNS1_17partition_subalgoE5EiNS0_10empty_typeEbEEZZNS1_14partition_implILS5_5ELb0ES3_mN6thrust23THRUST_200600_302600_NS6detail15normal_iteratorINSA_10device_ptrIiEEEEPS6_NSA_18transform_iteratorINSB_9not_fun_tI7is_trueIiEEENSC_INSD_IbEEEENSA_11use_defaultESO_EENS0_5tupleIJSF_S6_EEENSQ_IJSG_SG_EEES6_PlJS6_EEE10hipError_tPvRmT3_T4_T5_T6_T7_T9_mT8_P12ihipStream_tbDpT10_ENKUlT_T0_E_clISt17integral_constantIbLb0EES1D_EEDaS18_S19_EUlS18_E_NS1_11comp_targetILNS1_3genE8ELNS1_11target_archE1030ELNS1_3gpuE2ELNS1_3repE0EEENS1_30default_config_static_selectorELNS0_4arch9wavefront6targetE0EEEvT1_.numbered_sgpr, 0
	.set _ZN7rocprim17ROCPRIM_400000_NS6detail17trampoline_kernelINS0_14default_configENS1_25partition_config_selectorILNS1_17partition_subalgoE5EiNS0_10empty_typeEbEEZZNS1_14partition_implILS5_5ELb0ES3_mN6thrust23THRUST_200600_302600_NS6detail15normal_iteratorINSA_10device_ptrIiEEEEPS6_NSA_18transform_iteratorINSB_9not_fun_tI7is_trueIiEEENSC_INSD_IbEEEENSA_11use_defaultESO_EENS0_5tupleIJSF_S6_EEENSQ_IJSG_SG_EEES6_PlJS6_EEE10hipError_tPvRmT3_T4_T5_T6_T7_T9_mT8_P12ihipStream_tbDpT10_ENKUlT_T0_E_clISt17integral_constantIbLb0EES1D_EEDaS18_S19_EUlS18_E_NS1_11comp_targetILNS1_3genE8ELNS1_11target_archE1030ELNS1_3gpuE2ELNS1_3repE0EEENS1_30default_config_static_selectorELNS0_4arch9wavefront6targetE0EEEvT1_.num_named_barrier, 0
	.set _ZN7rocprim17ROCPRIM_400000_NS6detail17trampoline_kernelINS0_14default_configENS1_25partition_config_selectorILNS1_17partition_subalgoE5EiNS0_10empty_typeEbEEZZNS1_14partition_implILS5_5ELb0ES3_mN6thrust23THRUST_200600_302600_NS6detail15normal_iteratorINSA_10device_ptrIiEEEEPS6_NSA_18transform_iteratorINSB_9not_fun_tI7is_trueIiEEENSC_INSD_IbEEEENSA_11use_defaultESO_EENS0_5tupleIJSF_S6_EEENSQ_IJSG_SG_EEES6_PlJS6_EEE10hipError_tPvRmT3_T4_T5_T6_T7_T9_mT8_P12ihipStream_tbDpT10_ENKUlT_T0_E_clISt17integral_constantIbLb0EES1D_EEDaS18_S19_EUlS18_E_NS1_11comp_targetILNS1_3genE8ELNS1_11target_archE1030ELNS1_3gpuE2ELNS1_3repE0EEENS1_30default_config_static_selectorELNS0_4arch9wavefront6targetE0EEEvT1_.private_seg_size, 0
	.set _ZN7rocprim17ROCPRIM_400000_NS6detail17trampoline_kernelINS0_14default_configENS1_25partition_config_selectorILNS1_17partition_subalgoE5EiNS0_10empty_typeEbEEZZNS1_14partition_implILS5_5ELb0ES3_mN6thrust23THRUST_200600_302600_NS6detail15normal_iteratorINSA_10device_ptrIiEEEEPS6_NSA_18transform_iteratorINSB_9not_fun_tI7is_trueIiEEENSC_INSD_IbEEEENSA_11use_defaultESO_EENS0_5tupleIJSF_S6_EEENSQ_IJSG_SG_EEES6_PlJS6_EEE10hipError_tPvRmT3_T4_T5_T6_T7_T9_mT8_P12ihipStream_tbDpT10_ENKUlT_T0_E_clISt17integral_constantIbLb0EES1D_EEDaS18_S19_EUlS18_E_NS1_11comp_targetILNS1_3genE8ELNS1_11target_archE1030ELNS1_3gpuE2ELNS1_3repE0EEENS1_30default_config_static_selectorELNS0_4arch9wavefront6targetE0EEEvT1_.uses_vcc, 0
	.set _ZN7rocprim17ROCPRIM_400000_NS6detail17trampoline_kernelINS0_14default_configENS1_25partition_config_selectorILNS1_17partition_subalgoE5EiNS0_10empty_typeEbEEZZNS1_14partition_implILS5_5ELb0ES3_mN6thrust23THRUST_200600_302600_NS6detail15normal_iteratorINSA_10device_ptrIiEEEEPS6_NSA_18transform_iteratorINSB_9not_fun_tI7is_trueIiEEENSC_INSD_IbEEEENSA_11use_defaultESO_EENS0_5tupleIJSF_S6_EEENSQ_IJSG_SG_EEES6_PlJS6_EEE10hipError_tPvRmT3_T4_T5_T6_T7_T9_mT8_P12ihipStream_tbDpT10_ENKUlT_T0_E_clISt17integral_constantIbLb0EES1D_EEDaS18_S19_EUlS18_E_NS1_11comp_targetILNS1_3genE8ELNS1_11target_archE1030ELNS1_3gpuE2ELNS1_3repE0EEENS1_30default_config_static_selectorELNS0_4arch9wavefront6targetE0EEEvT1_.uses_flat_scratch, 0
	.set _ZN7rocprim17ROCPRIM_400000_NS6detail17trampoline_kernelINS0_14default_configENS1_25partition_config_selectorILNS1_17partition_subalgoE5EiNS0_10empty_typeEbEEZZNS1_14partition_implILS5_5ELb0ES3_mN6thrust23THRUST_200600_302600_NS6detail15normal_iteratorINSA_10device_ptrIiEEEEPS6_NSA_18transform_iteratorINSB_9not_fun_tI7is_trueIiEEENSC_INSD_IbEEEENSA_11use_defaultESO_EENS0_5tupleIJSF_S6_EEENSQ_IJSG_SG_EEES6_PlJS6_EEE10hipError_tPvRmT3_T4_T5_T6_T7_T9_mT8_P12ihipStream_tbDpT10_ENKUlT_T0_E_clISt17integral_constantIbLb0EES1D_EEDaS18_S19_EUlS18_E_NS1_11comp_targetILNS1_3genE8ELNS1_11target_archE1030ELNS1_3gpuE2ELNS1_3repE0EEENS1_30default_config_static_selectorELNS0_4arch9wavefront6targetE0EEEvT1_.has_dyn_sized_stack, 0
	.set _ZN7rocprim17ROCPRIM_400000_NS6detail17trampoline_kernelINS0_14default_configENS1_25partition_config_selectorILNS1_17partition_subalgoE5EiNS0_10empty_typeEbEEZZNS1_14partition_implILS5_5ELb0ES3_mN6thrust23THRUST_200600_302600_NS6detail15normal_iteratorINSA_10device_ptrIiEEEEPS6_NSA_18transform_iteratorINSB_9not_fun_tI7is_trueIiEEENSC_INSD_IbEEEENSA_11use_defaultESO_EENS0_5tupleIJSF_S6_EEENSQ_IJSG_SG_EEES6_PlJS6_EEE10hipError_tPvRmT3_T4_T5_T6_T7_T9_mT8_P12ihipStream_tbDpT10_ENKUlT_T0_E_clISt17integral_constantIbLb0EES1D_EEDaS18_S19_EUlS18_E_NS1_11comp_targetILNS1_3genE8ELNS1_11target_archE1030ELNS1_3gpuE2ELNS1_3repE0EEENS1_30default_config_static_selectorELNS0_4arch9wavefront6targetE0EEEvT1_.has_recursion, 0
	.set _ZN7rocprim17ROCPRIM_400000_NS6detail17trampoline_kernelINS0_14default_configENS1_25partition_config_selectorILNS1_17partition_subalgoE5EiNS0_10empty_typeEbEEZZNS1_14partition_implILS5_5ELb0ES3_mN6thrust23THRUST_200600_302600_NS6detail15normal_iteratorINSA_10device_ptrIiEEEEPS6_NSA_18transform_iteratorINSB_9not_fun_tI7is_trueIiEEENSC_INSD_IbEEEENSA_11use_defaultESO_EENS0_5tupleIJSF_S6_EEENSQ_IJSG_SG_EEES6_PlJS6_EEE10hipError_tPvRmT3_T4_T5_T6_T7_T9_mT8_P12ihipStream_tbDpT10_ENKUlT_T0_E_clISt17integral_constantIbLb0EES1D_EEDaS18_S19_EUlS18_E_NS1_11comp_targetILNS1_3genE8ELNS1_11target_archE1030ELNS1_3gpuE2ELNS1_3repE0EEENS1_30default_config_static_selectorELNS0_4arch9wavefront6targetE0EEEvT1_.has_indirect_call, 0
	.section	.AMDGPU.csdata,"",@progbits
; Kernel info:
; codeLenInByte = 0
; TotalNumSgprs: 0
; NumVgprs: 0
; ScratchSize: 0
; MemoryBound: 0
; FloatMode: 240
; IeeeMode: 1
; LDSByteSize: 0 bytes/workgroup (compile time only)
; SGPRBlocks: 0
; VGPRBlocks: 0
; NumSGPRsForWavesPerEU: 1
; NumVGPRsForWavesPerEU: 1
; Occupancy: 16
; WaveLimiterHint : 0
; COMPUTE_PGM_RSRC2:SCRATCH_EN: 0
; COMPUTE_PGM_RSRC2:USER_SGPR: 2
; COMPUTE_PGM_RSRC2:TRAP_HANDLER: 0
; COMPUTE_PGM_RSRC2:TGID_X_EN: 1
; COMPUTE_PGM_RSRC2:TGID_Y_EN: 0
; COMPUTE_PGM_RSRC2:TGID_Z_EN: 0
; COMPUTE_PGM_RSRC2:TIDIG_COMP_CNT: 0
	.section	.text._ZN7rocprim17ROCPRIM_400000_NS6detail17trampoline_kernelINS0_14default_configENS1_25partition_config_selectorILNS1_17partition_subalgoE5EiNS0_10empty_typeEbEEZZNS1_14partition_implILS5_5ELb0ES3_mN6thrust23THRUST_200600_302600_NS6detail15normal_iteratorINSA_10device_ptrIiEEEEPS6_NSA_18transform_iteratorINSB_9not_fun_tI7is_trueIiEEENSC_INSD_IbEEEENSA_11use_defaultESO_EENS0_5tupleIJSF_S6_EEENSQ_IJSG_SG_EEES6_PlJS6_EEE10hipError_tPvRmT3_T4_T5_T6_T7_T9_mT8_P12ihipStream_tbDpT10_ENKUlT_T0_E_clISt17integral_constantIbLb1EES1D_EEDaS18_S19_EUlS18_E_NS1_11comp_targetILNS1_3genE0ELNS1_11target_archE4294967295ELNS1_3gpuE0ELNS1_3repE0EEENS1_30default_config_static_selectorELNS0_4arch9wavefront6targetE0EEEvT1_,"axG",@progbits,_ZN7rocprim17ROCPRIM_400000_NS6detail17trampoline_kernelINS0_14default_configENS1_25partition_config_selectorILNS1_17partition_subalgoE5EiNS0_10empty_typeEbEEZZNS1_14partition_implILS5_5ELb0ES3_mN6thrust23THRUST_200600_302600_NS6detail15normal_iteratorINSA_10device_ptrIiEEEEPS6_NSA_18transform_iteratorINSB_9not_fun_tI7is_trueIiEEENSC_INSD_IbEEEENSA_11use_defaultESO_EENS0_5tupleIJSF_S6_EEENSQ_IJSG_SG_EEES6_PlJS6_EEE10hipError_tPvRmT3_T4_T5_T6_T7_T9_mT8_P12ihipStream_tbDpT10_ENKUlT_T0_E_clISt17integral_constantIbLb1EES1D_EEDaS18_S19_EUlS18_E_NS1_11comp_targetILNS1_3genE0ELNS1_11target_archE4294967295ELNS1_3gpuE0ELNS1_3repE0EEENS1_30default_config_static_selectorELNS0_4arch9wavefront6targetE0EEEvT1_,comdat
	.protected	_ZN7rocprim17ROCPRIM_400000_NS6detail17trampoline_kernelINS0_14default_configENS1_25partition_config_selectorILNS1_17partition_subalgoE5EiNS0_10empty_typeEbEEZZNS1_14partition_implILS5_5ELb0ES3_mN6thrust23THRUST_200600_302600_NS6detail15normal_iteratorINSA_10device_ptrIiEEEEPS6_NSA_18transform_iteratorINSB_9not_fun_tI7is_trueIiEEENSC_INSD_IbEEEENSA_11use_defaultESO_EENS0_5tupleIJSF_S6_EEENSQ_IJSG_SG_EEES6_PlJS6_EEE10hipError_tPvRmT3_T4_T5_T6_T7_T9_mT8_P12ihipStream_tbDpT10_ENKUlT_T0_E_clISt17integral_constantIbLb1EES1D_EEDaS18_S19_EUlS18_E_NS1_11comp_targetILNS1_3genE0ELNS1_11target_archE4294967295ELNS1_3gpuE0ELNS1_3repE0EEENS1_30default_config_static_selectorELNS0_4arch9wavefront6targetE0EEEvT1_ ; -- Begin function _ZN7rocprim17ROCPRIM_400000_NS6detail17trampoline_kernelINS0_14default_configENS1_25partition_config_selectorILNS1_17partition_subalgoE5EiNS0_10empty_typeEbEEZZNS1_14partition_implILS5_5ELb0ES3_mN6thrust23THRUST_200600_302600_NS6detail15normal_iteratorINSA_10device_ptrIiEEEEPS6_NSA_18transform_iteratorINSB_9not_fun_tI7is_trueIiEEENSC_INSD_IbEEEENSA_11use_defaultESO_EENS0_5tupleIJSF_S6_EEENSQ_IJSG_SG_EEES6_PlJS6_EEE10hipError_tPvRmT3_T4_T5_T6_T7_T9_mT8_P12ihipStream_tbDpT10_ENKUlT_T0_E_clISt17integral_constantIbLb1EES1D_EEDaS18_S19_EUlS18_E_NS1_11comp_targetILNS1_3genE0ELNS1_11target_archE4294967295ELNS1_3gpuE0ELNS1_3repE0EEENS1_30default_config_static_selectorELNS0_4arch9wavefront6targetE0EEEvT1_
	.globl	_ZN7rocprim17ROCPRIM_400000_NS6detail17trampoline_kernelINS0_14default_configENS1_25partition_config_selectorILNS1_17partition_subalgoE5EiNS0_10empty_typeEbEEZZNS1_14partition_implILS5_5ELb0ES3_mN6thrust23THRUST_200600_302600_NS6detail15normal_iteratorINSA_10device_ptrIiEEEEPS6_NSA_18transform_iteratorINSB_9not_fun_tI7is_trueIiEEENSC_INSD_IbEEEENSA_11use_defaultESO_EENS0_5tupleIJSF_S6_EEENSQ_IJSG_SG_EEES6_PlJS6_EEE10hipError_tPvRmT3_T4_T5_T6_T7_T9_mT8_P12ihipStream_tbDpT10_ENKUlT_T0_E_clISt17integral_constantIbLb1EES1D_EEDaS18_S19_EUlS18_E_NS1_11comp_targetILNS1_3genE0ELNS1_11target_archE4294967295ELNS1_3gpuE0ELNS1_3repE0EEENS1_30default_config_static_selectorELNS0_4arch9wavefront6targetE0EEEvT1_
	.p2align	8
	.type	_ZN7rocprim17ROCPRIM_400000_NS6detail17trampoline_kernelINS0_14default_configENS1_25partition_config_selectorILNS1_17partition_subalgoE5EiNS0_10empty_typeEbEEZZNS1_14partition_implILS5_5ELb0ES3_mN6thrust23THRUST_200600_302600_NS6detail15normal_iteratorINSA_10device_ptrIiEEEEPS6_NSA_18transform_iteratorINSB_9not_fun_tI7is_trueIiEEENSC_INSD_IbEEEENSA_11use_defaultESO_EENS0_5tupleIJSF_S6_EEENSQ_IJSG_SG_EEES6_PlJS6_EEE10hipError_tPvRmT3_T4_T5_T6_T7_T9_mT8_P12ihipStream_tbDpT10_ENKUlT_T0_E_clISt17integral_constantIbLb1EES1D_EEDaS18_S19_EUlS18_E_NS1_11comp_targetILNS1_3genE0ELNS1_11target_archE4294967295ELNS1_3gpuE0ELNS1_3repE0EEENS1_30default_config_static_selectorELNS0_4arch9wavefront6targetE0EEEvT1_,@function
_ZN7rocprim17ROCPRIM_400000_NS6detail17trampoline_kernelINS0_14default_configENS1_25partition_config_selectorILNS1_17partition_subalgoE5EiNS0_10empty_typeEbEEZZNS1_14partition_implILS5_5ELb0ES3_mN6thrust23THRUST_200600_302600_NS6detail15normal_iteratorINSA_10device_ptrIiEEEEPS6_NSA_18transform_iteratorINSB_9not_fun_tI7is_trueIiEEENSC_INSD_IbEEEENSA_11use_defaultESO_EENS0_5tupleIJSF_S6_EEENSQ_IJSG_SG_EEES6_PlJS6_EEE10hipError_tPvRmT3_T4_T5_T6_T7_T9_mT8_P12ihipStream_tbDpT10_ENKUlT_T0_E_clISt17integral_constantIbLb1EES1D_EEDaS18_S19_EUlS18_E_NS1_11comp_targetILNS1_3genE0ELNS1_11target_archE4294967295ELNS1_3gpuE0ELNS1_3repE0EEENS1_30default_config_static_selectorELNS0_4arch9wavefront6targetE0EEEvT1_: ; @_ZN7rocprim17ROCPRIM_400000_NS6detail17trampoline_kernelINS0_14default_configENS1_25partition_config_selectorILNS1_17partition_subalgoE5EiNS0_10empty_typeEbEEZZNS1_14partition_implILS5_5ELb0ES3_mN6thrust23THRUST_200600_302600_NS6detail15normal_iteratorINSA_10device_ptrIiEEEEPS6_NSA_18transform_iteratorINSB_9not_fun_tI7is_trueIiEEENSC_INSD_IbEEEENSA_11use_defaultESO_EENS0_5tupleIJSF_S6_EEENSQ_IJSG_SG_EEES6_PlJS6_EEE10hipError_tPvRmT3_T4_T5_T6_T7_T9_mT8_P12ihipStream_tbDpT10_ENKUlT_T0_E_clISt17integral_constantIbLb1EES1D_EEDaS18_S19_EUlS18_E_NS1_11comp_targetILNS1_3genE0ELNS1_11target_archE4294967295ELNS1_3gpuE0ELNS1_3repE0EEENS1_30default_config_static_selectorELNS0_4arch9wavefront6targetE0EEEvT1_
; %bb.0:
	.section	.rodata,"a",@progbits
	.p2align	6, 0x0
	.amdhsa_kernel _ZN7rocprim17ROCPRIM_400000_NS6detail17trampoline_kernelINS0_14default_configENS1_25partition_config_selectorILNS1_17partition_subalgoE5EiNS0_10empty_typeEbEEZZNS1_14partition_implILS5_5ELb0ES3_mN6thrust23THRUST_200600_302600_NS6detail15normal_iteratorINSA_10device_ptrIiEEEEPS6_NSA_18transform_iteratorINSB_9not_fun_tI7is_trueIiEEENSC_INSD_IbEEEENSA_11use_defaultESO_EENS0_5tupleIJSF_S6_EEENSQ_IJSG_SG_EEES6_PlJS6_EEE10hipError_tPvRmT3_T4_T5_T6_T7_T9_mT8_P12ihipStream_tbDpT10_ENKUlT_T0_E_clISt17integral_constantIbLb1EES1D_EEDaS18_S19_EUlS18_E_NS1_11comp_targetILNS1_3genE0ELNS1_11target_archE4294967295ELNS1_3gpuE0ELNS1_3repE0EEENS1_30default_config_static_selectorELNS0_4arch9wavefront6targetE0EEEvT1_
		.amdhsa_group_segment_fixed_size 0
		.amdhsa_private_segment_fixed_size 0
		.amdhsa_kernarg_size 136
		.amdhsa_user_sgpr_count 2
		.amdhsa_user_sgpr_dispatch_ptr 0
		.amdhsa_user_sgpr_queue_ptr 0
		.amdhsa_user_sgpr_kernarg_segment_ptr 1
		.amdhsa_user_sgpr_dispatch_id 0
		.amdhsa_user_sgpr_private_segment_size 0
		.amdhsa_wavefront_size32 1
		.amdhsa_uses_dynamic_stack 0
		.amdhsa_enable_private_segment 0
		.amdhsa_system_sgpr_workgroup_id_x 1
		.amdhsa_system_sgpr_workgroup_id_y 0
		.amdhsa_system_sgpr_workgroup_id_z 0
		.amdhsa_system_sgpr_workgroup_info 0
		.amdhsa_system_vgpr_workitem_id 0
		.amdhsa_next_free_vgpr 1
		.amdhsa_next_free_sgpr 1
		.amdhsa_reserve_vcc 0
		.amdhsa_float_round_mode_32 0
		.amdhsa_float_round_mode_16_64 0
		.amdhsa_float_denorm_mode_32 3
		.amdhsa_float_denorm_mode_16_64 3
		.amdhsa_fp16_overflow 0
		.amdhsa_workgroup_processor_mode 1
		.amdhsa_memory_ordered 1
		.amdhsa_forward_progress 1
		.amdhsa_inst_pref_size 0
		.amdhsa_round_robin_scheduling 0
		.amdhsa_exception_fp_ieee_invalid_op 0
		.amdhsa_exception_fp_denorm_src 0
		.amdhsa_exception_fp_ieee_div_zero 0
		.amdhsa_exception_fp_ieee_overflow 0
		.amdhsa_exception_fp_ieee_underflow 0
		.amdhsa_exception_fp_ieee_inexact 0
		.amdhsa_exception_int_div_zero 0
	.end_amdhsa_kernel
	.section	.text._ZN7rocprim17ROCPRIM_400000_NS6detail17trampoline_kernelINS0_14default_configENS1_25partition_config_selectorILNS1_17partition_subalgoE5EiNS0_10empty_typeEbEEZZNS1_14partition_implILS5_5ELb0ES3_mN6thrust23THRUST_200600_302600_NS6detail15normal_iteratorINSA_10device_ptrIiEEEEPS6_NSA_18transform_iteratorINSB_9not_fun_tI7is_trueIiEEENSC_INSD_IbEEEENSA_11use_defaultESO_EENS0_5tupleIJSF_S6_EEENSQ_IJSG_SG_EEES6_PlJS6_EEE10hipError_tPvRmT3_T4_T5_T6_T7_T9_mT8_P12ihipStream_tbDpT10_ENKUlT_T0_E_clISt17integral_constantIbLb1EES1D_EEDaS18_S19_EUlS18_E_NS1_11comp_targetILNS1_3genE0ELNS1_11target_archE4294967295ELNS1_3gpuE0ELNS1_3repE0EEENS1_30default_config_static_selectorELNS0_4arch9wavefront6targetE0EEEvT1_,"axG",@progbits,_ZN7rocprim17ROCPRIM_400000_NS6detail17trampoline_kernelINS0_14default_configENS1_25partition_config_selectorILNS1_17partition_subalgoE5EiNS0_10empty_typeEbEEZZNS1_14partition_implILS5_5ELb0ES3_mN6thrust23THRUST_200600_302600_NS6detail15normal_iteratorINSA_10device_ptrIiEEEEPS6_NSA_18transform_iteratorINSB_9not_fun_tI7is_trueIiEEENSC_INSD_IbEEEENSA_11use_defaultESO_EENS0_5tupleIJSF_S6_EEENSQ_IJSG_SG_EEES6_PlJS6_EEE10hipError_tPvRmT3_T4_T5_T6_T7_T9_mT8_P12ihipStream_tbDpT10_ENKUlT_T0_E_clISt17integral_constantIbLb1EES1D_EEDaS18_S19_EUlS18_E_NS1_11comp_targetILNS1_3genE0ELNS1_11target_archE4294967295ELNS1_3gpuE0ELNS1_3repE0EEENS1_30default_config_static_selectorELNS0_4arch9wavefront6targetE0EEEvT1_,comdat
.Lfunc_end2533:
	.size	_ZN7rocprim17ROCPRIM_400000_NS6detail17trampoline_kernelINS0_14default_configENS1_25partition_config_selectorILNS1_17partition_subalgoE5EiNS0_10empty_typeEbEEZZNS1_14partition_implILS5_5ELb0ES3_mN6thrust23THRUST_200600_302600_NS6detail15normal_iteratorINSA_10device_ptrIiEEEEPS6_NSA_18transform_iteratorINSB_9not_fun_tI7is_trueIiEEENSC_INSD_IbEEEENSA_11use_defaultESO_EENS0_5tupleIJSF_S6_EEENSQ_IJSG_SG_EEES6_PlJS6_EEE10hipError_tPvRmT3_T4_T5_T6_T7_T9_mT8_P12ihipStream_tbDpT10_ENKUlT_T0_E_clISt17integral_constantIbLb1EES1D_EEDaS18_S19_EUlS18_E_NS1_11comp_targetILNS1_3genE0ELNS1_11target_archE4294967295ELNS1_3gpuE0ELNS1_3repE0EEENS1_30default_config_static_selectorELNS0_4arch9wavefront6targetE0EEEvT1_, .Lfunc_end2533-_ZN7rocprim17ROCPRIM_400000_NS6detail17trampoline_kernelINS0_14default_configENS1_25partition_config_selectorILNS1_17partition_subalgoE5EiNS0_10empty_typeEbEEZZNS1_14partition_implILS5_5ELb0ES3_mN6thrust23THRUST_200600_302600_NS6detail15normal_iteratorINSA_10device_ptrIiEEEEPS6_NSA_18transform_iteratorINSB_9not_fun_tI7is_trueIiEEENSC_INSD_IbEEEENSA_11use_defaultESO_EENS0_5tupleIJSF_S6_EEENSQ_IJSG_SG_EEES6_PlJS6_EEE10hipError_tPvRmT3_T4_T5_T6_T7_T9_mT8_P12ihipStream_tbDpT10_ENKUlT_T0_E_clISt17integral_constantIbLb1EES1D_EEDaS18_S19_EUlS18_E_NS1_11comp_targetILNS1_3genE0ELNS1_11target_archE4294967295ELNS1_3gpuE0ELNS1_3repE0EEENS1_30default_config_static_selectorELNS0_4arch9wavefront6targetE0EEEvT1_
                                        ; -- End function
	.set _ZN7rocprim17ROCPRIM_400000_NS6detail17trampoline_kernelINS0_14default_configENS1_25partition_config_selectorILNS1_17partition_subalgoE5EiNS0_10empty_typeEbEEZZNS1_14partition_implILS5_5ELb0ES3_mN6thrust23THRUST_200600_302600_NS6detail15normal_iteratorINSA_10device_ptrIiEEEEPS6_NSA_18transform_iteratorINSB_9not_fun_tI7is_trueIiEEENSC_INSD_IbEEEENSA_11use_defaultESO_EENS0_5tupleIJSF_S6_EEENSQ_IJSG_SG_EEES6_PlJS6_EEE10hipError_tPvRmT3_T4_T5_T6_T7_T9_mT8_P12ihipStream_tbDpT10_ENKUlT_T0_E_clISt17integral_constantIbLb1EES1D_EEDaS18_S19_EUlS18_E_NS1_11comp_targetILNS1_3genE0ELNS1_11target_archE4294967295ELNS1_3gpuE0ELNS1_3repE0EEENS1_30default_config_static_selectorELNS0_4arch9wavefront6targetE0EEEvT1_.num_vgpr, 0
	.set _ZN7rocprim17ROCPRIM_400000_NS6detail17trampoline_kernelINS0_14default_configENS1_25partition_config_selectorILNS1_17partition_subalgoE5EiNS0_10empty_typeEbEEZZNS1_14partition_implILS5_5ELb0ES3_mN6thrust23THRUST_200600_302600_NS6detail15normal_iteratorINSA_10device_ptrIiEEEEPS6_NSA_18transform_iteratorINSB_9not_fun_tI7is_trueIiEEENSC_INSD_IbEEEENSA_11use_defaultESO_EENS0_5tupleIJSF_S6_EEENSQ_IJSG_SG_EEES6_PlJS6_EEE10hipError_tPvRmT3_T4_T5_T6_T7_T9_mT8_P12ihipStream_tbDpT10_ENKUlT_T0_E_clISt17integral_constantIbLb1EES1D_EEDaS18_S19_EUlS18_E_NS1_11comp_targetILNS1_3genE0ELNS1_11target_archE4294967295ELNS1_3gpuE0ELNS1_3repE0EEENS1_30default_config_static_selectorELNS0_4arch9wavefront6targetE0EEEvT1_.num_agpr, 0
	.set _ZN7rocprim17ROCPRIM_400000_NS6detail17trampoline_kernelINS0_14default_configENS1_25partition_config_selectorILNS1_17partition_subalgoE5EiNS0_10empty_typeEbEEZZNS1_14partition_implILS5_5ELb0ES3_mN6thrust23THRUST_200600_302600_NS6detail15normal_iteratorINSA_10device_ptrIiEEEEPS6_NSA_18transform_iteratorINSB_9not_fun_tI7is_trueIiEEENSC_INSD_IbEEEENSA_11use_defaultESO_EENS0_5tupleIJSF_S6_EEENSQ_IJSG_SG_EEES6_PlJS6_EEE10hipError_tPvRmT3_T4_T5_T6_T7_T9_mT8_P12ihipStream_tbDpT10_ENKUlT_T0_E_clISt17integral_constantIbLb1EES1D_EEDaS18_S19_EUlS18_E_NS1_11comp_targetILNS1_3genE0ELNS1_11target_archE4294967295ELNS1_3gpuE0ELNS1_3repE0EEENS1_30default_config_static_selectorELNS0_4arch9wavefront6targetE0EEEvT1_.numbered_sgpr, 0
	.set _ZN7rocprim17ROCPRIM_400000_NS6detail17trampoline_kernelINS0_14default_configENS1_25partition_config_selectorILNS1_17partition_subalgoE5EiNS0_10empty_typeEbEEZZNS1_14partition_implILS5_5ELb0ES3_mN6thrust23THRUST_200600_302600_NS6detail15normal_iteratorINSA_10device_ptrIiEEEEPS6_NSA_18transform_iteratorINSB_9not_fun_tI7is_trueIiEEENSC_INSD_IbEEEENSA_11use_defaultESO_EENS0_5tupleIJSF_S6_EEENSQ_IJSG_SG_EEES6_PlJS6_EEE10hipError_tPvRmT3_T4_T5_T6_T7_T9_mT8_P12ihipStream_tbDpT10_ENKUlT_T0_E_clISt17integral_constantIbLb1EES1D_EEDaS18_S19_EUlS18_E_NS1_11comp_targetILNS1_3genE0ELNS1_11target_archE4294967295ELNS1_3gpuE0ELNS1_3repE0EEENS1_30default_config_static_selectorELNS0_4arch9wavefront6targetE0EEEvT1_.num_named_barrier, 0
	.set _ZN7rocprim17ROCPRIM_400000_NS6detail17trampoline_kernelINS0_14default_configENS1_25partition_config_selectorILNS1_17partition_subalgoE5EiNS0_10empty_typeEbEEZZNS1_14partition_implILS5_5ELb0ES3_mN6thrust23THRUST_200600_302600_NS6detail15normal_iteratorINSA_10device_ptrIiEEEEPS6_NSA_18transform_iteratorINSB_9not_fun_tI7is_trueIiEEENSC_INSD_IbEEEENSA_11use_defaultESO_EENS0_5tupleIJSF_S6_EEENSQ_IJSG_SG_EEES6_PlJS6_EEE10hipError_tPvRmT3_T4_T5_T6_T7_T9_mT8_P12ihipStream_tbDpT10_ENKUlT_T0_E_clISt17integral_constantIbLb1EES1D_EEDaS18_S19_EUlS18_E_NS1_11comp_targetILNS1_3genE0ELNS1_11target_archE4294967295ELNS1_3gpuE0ELNS1_3repE0EEENS1_30default_config_static_selectorELNS0_4arch9wavefront6targetE0EEEvT1_.private_seg_size, 0
	.set _ZN7rocprim17ROCPRIM_400000_NS6detail17trampoline_kernelINS0_14default_configENS1_25partition_config_selectorILNS1_17partition_subalgoE5EiNS0_10empty_typeEbEEZZNS1_14partition_implILS5_5ELb0ES3_mN6thrust23THRUST_200600_302600_NS6detail15normal_iteratorINSA_10device_ptrIiEEEEPS6_NSA_18transform_iteratorINSB_9not_fun_tI7is_trueIiEEENSC_INSD_IbEEEENSA_11use_defaultESO_EENS0_5tupleIJSF_S6_EEENSQ_IJSG_SG_EEES6_PlJS6_EEE10hipError_tPvRmT3_T4_T5_T6_T7_T9_mT8_P12ihipStream_tbDpT10_ENKUlT_T0_E_clISt17integral_constantIbLb1EES1D_EEDaS18_S19_EUlS18_E_NS1_11comp_targetILNS1_3genE0ELNS1_11target_archE4294967295ELNS1_3gpuE0ELNS1_3repE0EEENS1_30default_config_static_selectorELNS0_4arch9wavefront6targetE0EEEvT1_.uses_vcc, 0
	.set _ZN7rocprim17ROCPRIM_400000_NS6detail17trampoline_kernelINS0_14default_configENS1_25partition_config_selectorILNS1_17partition_subalgoE5EiNS0_10empty_typeEbEEZZNS1_14partition_implILS5_5ELb0ES3_mN6thrust23THRUST_200600_302600_NS6detail15normal_iteratorINSA_10device_ptrIiEEEEPS6_NSA_18transform_iteratorINSB_9not_fun_tI7is_trueIiEEENSC_INSD_IbEEEENSA_11use_defaultESO_EENS0_5tupleIJSF_S6_EEENSQ_IJSG_SG_EEES6_PlJS6_EEE10hipError_tPvRmT3_T4_T5_T6_T7_T9_mT8_P12ihipStream_tbDpT10_ENKUlT_T0_E_clISt17integral_constantIbLb1EES1D_EEDaS18_S19_EUlS18_E_NS1_11comp_targetILNS1_3genE0ELNS1_11target_archE4294967295ELNS1_3gpuE0ELNS1_3repE0EEENS1_30default_config_static_selectorELNS0_4arch9wavefront6targetE0EEEvT1_.uses_flat_scratch, 0
	.set _ZN7rocprim17ROCPRIM_400000_NS6detail17trampoline_kernelINS0_14default_configENS1_25partition_config_selectorILNS1_17partition_subalgoE5EiNS0_10empty_typeEbEEZZNS1_14partition_implILS5_5ELb0ES3_mN6thrust23THRUST_200600_302600_NS6detail15normal_iteratorINSA_10device_ptrIiEEEEPS6_NSA_18transform_iteratorINSB_9not_fun_tI7is_trueIiEEENSC_INSD_IbEEEENSA_11use_defaultESO_EENS0_5tupleIJSF_S6_EEENSQ_IJSG_SG_EEES6_PlJS6_EEE10hipError_tPvRmT3_T4_T5_T6_T7_T9_mT8_P12ihipStream_tbDpT10_ENKUlT_T0_E_clISt17integral_constantIbLb1EES1D_EEDaS18_S19_EUlS18_E_NS1_11comp_targetILNS1_3genE0ELNS1_11target_archE4294967295ELNS1_3gpuE0ELNS1_3repE0EEENS1_30default_config_static_selectorELNS0_4arch9wavefront6targetE0EEEvT1_.has_dyn_sized_stack, 0
	.set _ZN7rocprim17ROCPRIM_400000_NS6detail17trampoline_kernelINS0_14default_configENS1_25partition_config_selectorILNS1_17partition_subalgoE5EiNS0_10empty_typeEbEEZZNS1_14partition_implILS5_5ELb0ES3_mN6thrust23THRUST_200600_302600_NS6detail15normal_iteratorINSA_10device_ptrIiEEEEPS6_NSA_18transform_iteratorINSB_9not_fun_tI7is_trueIiEEENSC_INSD_IbEEEENSA_11use_defaultESO_EENS0_5tupleIJSF_S6_EEENSQ_IJSG_SG_EEES6_PlJS6_EEE10hipError_tPvRmT3_T4_T5_T6_T7_T9_mT8_P12ihipStream_tbDpT10_ENKUlT_T0_E_clISt17integral_constantIbLb1EES1D_EEDaS18_S19_EUlS18_E_NS1_11comp_targetILNS1_3genE0ELNS1_11target_archE4294967295ELNS1_3gpuE0ELNS1_3repE0EEENS1_30default_config_static_selectorELNS0_4arch9wavefront6targetE0EEEvT1_.has_recursion, 0
	.set _ZN7rocprim17ROCPRIM_400000_NS6detail17trampoline_kernelINS0_14default_configENS1_25partition_config_selectorILNS1_17partition_subalgoE5EiNS0_10empty_typeEbEEZZNS1_14partition_implILS5_5ELb0ES3_mN6thrust23THRUST_200600_302600_NS6detail15normal_iteratorINSA_10device_ptrIiEEEEPS6_NSA_18transform_iteratorINSB_9not_fun_tI7is_trueIiEEENSC_INSD_IbEEEENSA_11use_defaultESO_EENS0_5tupleIJSF_S6_EEENSQ_IJSG_SG_EEES6_PlJS6_EEE10hipError_tPvRmT3_T4_T5_T6_T7_T9_mT8_P12ihipStream_tbDpT10_ENKUlT_T0_E_clISt17integral_constantIbLb1EES1D_EEDaS18_S19_EUlS18_E_NS1_11comp_targetILNS1_3genE0ELNS1_11target_archE4294967295ELNS1_3gpuE0ELNS1_3repE0EEENS1_30default_config_static_selectorELNS0_4arch9wavefront6targetE0EEEvT1_.has_indirect_call, 0
	.section	.AMDGPU.csdata,"",@progbits
; Kernel info:
; codeLenInByte = 0
; TotalNumSgprs: 0
; NumVgprs: 0
; ScratchSize: 0
; MemoryBound: 0
; FloatMode: 240
; IeeeMode: 1
; LDSByteSize: 0 bytes/workgroup (compile time only)
; SGPRBlocks: 0
; VGPRBlocks: 0
; NumSGPRsForWavesPerEU: 1
; NumVGPRsForWavesPerEU: 1
; Occupancy: 16
; WaveLimiterHint : 0
; COMPUTE_PGM_RSRC2:SCRATCH_EN: 0
; COMPUTE_PGM_RSRC2:USER_SGPR: 2
; COMPUTE_PGM_RSRC2:TRAP_HANDLER: 0
; COMPUTE_PGM_RSRC2:TGID_X_EN: 1
; COMPUTE_PGM_RSRC2:TGID_Y_EN: 0
; COMPUTE_PGM_RSRC2:TGID_Z_EN: 0
; COMPUTE_PGM_RSRC2:TIDIG_COMP_CNT: 0
	.section	.text._ZN7rocprim17ROCPRIM_400000_NS6detail17trampoline_kernelINS0_14default_configENS1_25partition_config_selectorILNS1_17partition_subalgoE5EiNS0_10empty_typeEbEEZZNS1_14partition_implILS5_5ELb0ES3_mN6thrust23THRUST_200600_302600_NS6detail15normal_iteratorINSA_10device_ptrIiEEEEPS6_NSA_18transform_iteratorINSB_9not_fun_tI7is_trueIiEEENSC_INSD_IbEEEENSA_11use_defaultESO_EENS0_5tupleIJSF_S6_EEENSQ_IJSG_SG_EEES6_PlJS6_EEE10hipError_tPvRmT3_T4_T5_T6_T7_T9_mT8_P12ihipStream_tbDpT10_ENKUlT_T0_E_clISt17integral_constantIbLb1EES1D_EEDaS18_S19_EUlS18_E_NS1_11comp_targetILNS1_3genE5ELNS1_11target_archE942ELNS1_3gpuE9ELNS1_3repE0EEENS1_30default_config_static_selectorELNS0_4arch9wavefront6targetE0EEEvT1_,"axG",@progbits,_ZN7rocprim17ROCPRIM_400000_NS6detail17trampoline_kernelINS0_14default_configENS1_25partition_config_selectorILNS1_17partition_subalgoE5EiNS0_10empty_typeEbEEZZNS1_14partition_implILS5_5ELb0ES3_mN6thrust23THRUST_200600_302600_NS6detail15normal_iteratorINSA_10device_ptrIiEEEEPS6_NSA_18transform_iteratorINSB_9not_fun_tI7is_trueIiEEENSC_INSD_IbEEEENSA_11use_defaultESO_EENS0_5tupleIJSF_S6_EEENSQ_IJSG_SG_EEES6_PlJS6_EEE10hipError_tPvRmT3_T4_T5_T6_T7_T9_mT8_P12ihipStream_tbDpT10_ENKUlT_T0_E_clISt17integral_constantIbLb1EES1D_EEDaS18_S19_EUlS18_E_NS1_11comp_targetILNS1_3genE5ELNS1_11target_archE942ELNS1_3gpuE9ELNS1_3repE0EEENS1_30default_config_static_selectorELNS0_4arch9wavefront6targetE0EEEvT1_,comdat
	.protected	_ZN7rocprim17ROCPRIM_400000_NS6detail17trampoline_kernelINS0_14default_configENS1_25partition_config_selectorILNS1_17partition_subalgoE5EiNS0_10empty_typeEbEEZZNS1_14partition_implILS5_5ELb0ES3_mN6thrust23THRUST_200600_302600_NS6detail15normal_iteratorINSA_10device_ptrIiEEEEPS6_NSA_18transform_iteratorINSB_9not_fun_tI7is_trueIiEEENSC_INSD_IbEEEENSA_11use_defaultESO_EENS0_5tupleIJSF_S6_EEENSQ_IJSG_SG_EEES6_PlJS6_EEE10hipError_tPvRmT3_T4_T5_T6_T7_T9_mT8_P12ihipStream_tbDpT10_ENKUlT_T0_E_clISt17integral_constantIbLb1EES1D_EEDaS18_S19_EUlS18_E_NS1_11comp_targetILNS1_3genE5ELNS1_11target_archE942ELNS1_3gpuE9ELNS1_3repE0EEENS1_30default_config_static_selectorELNS0_4arch9wavefront6targetE0EEEvT1_ ; -- Begin function _ZN7rocprim17ROCPRIM_400000_NS6detail17trampoline_kernelINS0_14default_configENS1_25partition_config_selectorILNS1_17partition_subalgoE5EiNS0_10empty_typeEbEEZZNS1_14partition_implILS5_5ELb0ES3_mN6thrust23THRUST_200600_302600_NS6detail15normal_iteratorINSA_10device_ptrIiEEEEPS6_NSA_18transform_iteratorINSB_9not_fun_tI7is_trueIiEEENSC_INSD_IbEEEENSA_11use_defaultESO_EENS0_5tupleIJSF_S6_EEENSQ_IJSG_SG_EEES6_PlJS6_EEE10hipError_tPvRmT3_T4_T5_T6_T7_T9_mT8_P12ihipStream_tbDpT10_ENKUlT_T0_E_clISt17integral_constantIbLb1EES1D_EEDaS18_S19_EUlS18_E_NS1_11comp_targetILNS1_3genE5ELNS1_11target_archE942ELNS1_3gpuE9ELNS1_3repE0EEENS1_30default_config_static_selectorELNS0_4arch9wavefront6targetE0EEEvT1_
	.globl	_ZN7rocprim17ROCPRIM_400000_NS6detail17trampoline_kernelINS0_14default_configENS1_25partition_config_selectorILNS1_17partition_subalgoE5EiNS0_10empty_typeEbEEZZNS1_14partition_implILS5_5ELb0ES3_mN6thrust23THRUST_200600_302600_NS6detail15normal_iteratorINSA_10device_ptrIiEEEEPS6_NSA_18transform_iteratorINSB_9not_fun_tI7is_trueIiEEENSC_INSD_IbEEEENSA_11use_defaultESO_EENS0_5tupleIJSF_S6_EEENSQ_IJSG_SG_EEES6_PlJS6_EEE10hipError_tPvRmT3_T4_T5_T6_T7_T9_mT8_P12ihipStream_tbDpT10_ENKUlT_T0_E_clISt17integral_constantIbLb1EES1D_EEDaS18_S19_EUlS18_E_NS1_11comp_targetILNS1_3genE5ELNS1_11target_archE942ELNS1_3gpuE9ELNS1_3repE0EEENS1_30default_config_static_selectorELNS0_4arch9wavefront6targetE0EEEvT1_
	.p2align	8
	.type	_ZN7rocprim17ROCPRIM_400000_NS6detail17trampoline_kernelINS0_14default_configENS1_25partition_config_selectorILNS1_17partition_subalgoE5EiNS0_10empty_typeEbEEZZNS1_14partition_implILS5_5ELb0ES3_mN6thrust23THRUST_200600_302600_NS6detail15normal_iteratorINSA_10device_ptrIiEEEEPS6_NSA_18transform_iteratorINSB_9not_fun_tI7is_trueIiEEENSC_INSD_IbEEEENSA_11use_defaultESO_EENS0_5tupleIJSF_S6_EEENSQ_IJSG_SG_EEES6_PlJS6_EEE10hipError_tPvRmT3_T4_T5_T6_T7_T9_mT8_P12ihipStream_tbDpT10_ENKUlT_T0_E_clISt17integral_constantIbLb1EES1D_EEDaS18_S19_EUlS18_E_NS1_11comp_targetILNS1_3genE5ELNS1_11target_archE942ELNS1_3gpuE9ELNS1_3repE0EEENS1_30default_config_static_selectorELNS0_4arch9wavefront6targetE0EEEvT1_,@function
_ZN7rocprim17ROCPRIM_400000_NS6detail17trampoline_kernelINS0_14default_configENS1_25partition_config_selectorILNS1_17partition_subalgoE5EiNS0_10empty_typeEbEEZZNS1_14partition_implILS5_5ELb0ES3_mN6thrust23THRUST_200600_302600_NS6detail15normal_iteratorINSA_10device_ptrIiEEEEPS6_NSA_18transform_iteratorINSB_9not_fun_tI7is_trueIiEEENSC_INSD_IbEEEENSA_11use_defaultESO_EENS0_5tupleIJSF_S6_EEENSQ_IJSG_SG_EEES6_PlJS6_EEE10hipError_tPvRmT3_T4_T5_T6_T7_T9_mT8_P12ihipStream_tbDpT10_ENKUlT_T0_E_clISt17integral_constantIbLb1EES1D_EEDaS18_S19_EUlS18_E_NS1_11comp_targetILNS1_3genE5ELNS1_11target_archE942ELNS1_3gpuE9ELNS1_3repE0EEENS1_30default_config_static_selectorELNS0_4arch9wavefront6targetE0EEEvT1_: ; @_ZN7rocprim17ROCPRIM_400000_NS6detail17trampoline_kernelINS0_14default_configENS1_25partition_config_selectorILNS1_17partition_subalgoE5EiNS0_10empty_typeEbEEZZNS1_14partition_implILS5_5ELb0ES3_mN6thrust23THRUST_200600_302600_NS6detail15normal_iteratorINSA_10device_ptrIiEEEEPS6_NSA_18transform_iteratorINSB_9not_fun_tI7is_trueIiEEENSC_INSD_IbEEEENSA_11use_defaultESO_EENS0_5tupleIJSF_S6_EEENSQ_IJSG_SG_EEES6_PlJS6_EEE10hipError_tPvRmT3_T4_T5_T6_T7_T9_mT8_P12ihipStream_tbDpT10_ENKUlT_T0_E_clISt17integral_constantIbLb1EES1D_EEDaS18_S19_EUlS18_E_NS1_11comp_targetILNS1_3genE5ELNS1_11target_archE942ELNS1_3gpuE9ELNS1_3repE0EEENS1_30default_config_static_selectorELNS0_4arch9wavefront6targetE0EEEvT1_
; %bb.0:
	.section	.rodata,"a",@progbits
	.p2align	6, 0x0
	.amdhsa_kernel _ZN7rocprim17ROCPRIM_400000_NS6detail17trampoline_kernelINS0_14default_configENS1_25partition_config_selectorILNS1_17partition_subalgoE5EiNS0_10empty_typeEbEEZZNS1_14partition_implILS5_5ELb0ES3_mN6thrust23THRUST_200600_302600_NS6detail15normal_iteratorINSA_10device_ptrIiEEEEPS6_NSA_18transform_iteratorINSB_9not_fun_tI7is_trueIiEEENSC_INSD_IbEEEENSA_11use_defaultESO_EENS0_5tupleIJSF_S6_EEENSQ_IJSG_SG_EEES6_PlJS6_EEE10hipError_tPvRmT3_T4_T5_T6_T7_T9_mT8_P12ihipStream_tbDpT10_ENKUlT_T0_E_clISt17integral_constantIbLb1EES1D_EEDaS18_S19_EUlS18_E_NS1_11comp_targetILNS1_3genE5ELNS1_11target_archE942ELNS1_3gpuE9ELNS1_3repE0EEENS1_30default_config_static_selectorELNS0_4arch9wavefront6targetE0EEEvT1_
		.amdhsa_group_segment_fixed_size 0
		.amdhsa_private_segment_fixed_size 0
		.amdhsa_kernarg_size 136
		.amdhsa_user_sgpr_count 2
		.amdhsa_user_sgpr_dispatch_ptr 0
		.amdhsa_user_sgpr_queue_ptr 0
		.amdhsa_user_sgpr_kernarg_segment_ptr 1
		.amdhsa_user_sgpr_dispatch_id 0
		.amdhsa_user_sgpr_private_segment_size 0
		.amdhsa_wavefront_size32 1
		.amdhsa_uses_dynamic_stack 0
		.amdhsa_enable_private_segment 0
		.amdhsa_system_sgpr_workgroup_id_x 1
		.amdhsa_system_sgpr_workgroup_id_y 0
		.amdhsa_system_sgpr_workgroup_id_z 0
		.amdhsa_system_sgpr_workgroup_info 0
		.amdhsa_system_vgpr_workitem_id 0
		.amdhsa_next_free_vgpr 1
		.amdhsa_next_free_sgpr 1
		.amdhsa_reserve_vcc 0
		.amdhsa_float_round_mode_32 0
		.amdhsa_float_round_mode_16_64 0
		.amdhsa_float_denorm_mode_32 3
		.amdhsa_float_denorm_mode_16_64 3
		.amdhsa_fp16_overflow 0
		.amdhsa_workgroup_processor_mode 1
		.amdhsa_memory_ordered 1
		.amdhsa_forward_progress 1
		.amdhsa_inst_pref_size 0
		.amdhsa_round_robin_scheduling 0
		.amdhsa_exception_fp_ieee_invalid_op 0
		.amdhsa_exception_fp_denorm_src 0
		.amdhsa_exception_fp_ieee_div_zero 0
		.amdhsa_exception_fp_ieee_overflow 0
		.amdhsa_exception_fp_ieee_underflow 0
		.amdhsa_exception_fp_ieee_inexact 0
		.amdhsa_exception_int_div_zero 0
	.end_amdhsa_kernel
	.section	.text._ZN7rocprim17ROCPRIM_400000_NS6detail17trampoline_kernelINS0_14default_configENS1_25partition_config_selectorILNS1_17partition_subalgoE5EiNS0_10empty_typeEbEEZZNS1_14partition_implILS5_5ELb0ES3_mN6thrust23THRUST_200600_302600_NS6detail15normal_iteratorINSA_10device_ptrIiEEEEPS6_NSA_18transform_iteratorINSB_9not_fun_tI7is_trueIiEEENSC_INSD_IbEEEENSA_11use_defaultESO_EENS0_5tupleIJSF_S6_EEENSQ_IJSG_SG_EEES6_PlJS6_EEE10hipError_tPvRmT3_T4_T5_T6_T7_T9_mT8_P12ihipStream_tbDpT10_ENKUlT_T0_E_clISt17integral_constantIbLb1EES1D_EEDaS18_S19_EUlS18_E_NS1_11comp_targetILNS1_3genE5ELNS1_11target_archE942ELNS1_3gpuE9ELNS1_3repE0EEENS1_30default_config_static_selectorELNS0_4arch9wavefront6targetE0EEEvT1_,"axG",@progbits,_ZN7rocprim17ROCPRIM_400000_NS6detail17trampoline_kernelINS0_14default_configENS1_25partition_config_selectorILNS1_17partition_subalgoE5EiNS0_10empty_typeEbEEZZNS1_14partition_implILS5_5ELb0ES3_mN6thrust23THRUST_200600_302600_NS6detail15normal_iteratorINSA_10device_ptrIiEEEEPS6_NSA_18transform_iteratorINSB_9not_fun_tI7is_trueIiEEENSC_INSD_IbEEEENSA_11use_defaultESO_EENS0_5tupleIJSF_S6_EEENSQ_IJSG_SG_EEES6_PlJS6_EEE10hipError_tPvRmT3_T4_T5_T6_T7_T9_mT8_P12ihipStream_tbDpT10_ENKUlT_T0_E_clISt17integral_constantIbLb1EES1D_EEDaS18_S19_EUlS18_E_NS1_11comp_targetILNS1_3genE5ELNS1_11target_archE942ELNS1_3gpuE9ELNS1_3repE0EEENS1_30default_config_static_selectorELNS0_4arch9wavefront6targetE0EEEvT1_,comdat
.Lfunc_end2534:
	.size	_ZN7rocprim17ROCPRIM_400000_NS6detail17trampoline_kernelINS0_14default_configENS1_25partition_config_selectorILNS1_17partition_subalgoE5EiNS0_10empty_typeEbEEZZNS1_14partition_implILS5_5ELb0ES3_mN6thrust23THRUST_200600_302600_NS6detail15normal_iteratorINSA_10device_ptrIiEEEEPS6_NSA_18transform_iteratorINSB_9not_fun_tI7is_trueIiEEENSC_INSD_IbEEEENSA_11use_defaultESO_EENS0_5tupleIJSF_S6_EEENSQ_IJSG_SG_EEES6_PlJS6_EEE10hipError_tPvRmT3_T4_T5_T6_T7_T9_mT8_P12ihipStream_tbDpT10_ENKUlT_T0_E_clISt17integral_constantIbLb1EES1D_EEDaS18_S19_EUlS18_E_NS1_11comp_targetILNS1_3genE5ELNS1_11target_archE942ELNS1_3gpuE9ELNS1_3repE0EEENS1_30default_config_static_selectorELNS0_4arch9wavefront6targetE0EEEvT1_, .Lfunc_end2534-_ZN7rocprim17ROCPRIM_400000_NS6detail17trampoline_kernelINS0_14default_configENS1_25partition_config_selectorILNS1_17partition_subalgoE5EiNS0_10empty_typeEbEEZZNS1_14partition_implILS5_5ELb0ES3_mN6thrust23THRUST_200600_302600_NS6detail15normal_iteratorINSA_10device_ptrIiEEEEPS6_NSA_18transform_iteratorINSB_9not_fun_tI7is_trueIiEEENSC_INSD_IbEEEENSA_11use_defaultESO_EENS0_5tupleIJSF_S6_EEENSQ_IJSG_SG_EEES6_PlJS6_EEE10hipError_tPvRmT3_T4_T5_T6_T7_T9_mT8_P12ihipStream_tbDpT10_ENKUlT_T0_E_clISt17integral_constantIbLb1EES1D_EEDaS18_S19_EUlS18_E_NS1_11comp_targetILNS1_3genE5ELNS1_11target_archE942ELNS1_3gpuE9ELNS1_3repE0EEENS1_30default_config_static_selectorELNS0_4arch9wavefront6targetE0EEEvT1_
                                        ; -- End function
	.set _ZN7rocprim17ROCPRIM_400000_NS6detail17trampoline_kernelINS0_14default_configENS1_25partition_config_selectorILNS1_17partition_subalgoE5EiNS0_10empty_typeEbEEZZNS1_14partition_implILS5_5ELb0ES3_mN6thrust23THRUST_200600_302600_NS6detail15normal_iteratorINSA_10device_ptrIiEEEEPS6_NSA_18transform_iteratorINSB_9not_fun_tI7is_trueIiEEENSC_INSD_IbEEEENSA_11use_defaultESO_EENS0_5tupleIJSF_S6_EEENSQ_IJSG_SG_EEES6_PlJS6_EEE10hipError_tPvRmT3_T4_T5_T6_T7_T9_mT8_P12ihipStream_tbDpT10_ENKUlT_T0_E_clISt17integral_constantIbLb1EES1D_EEDaS18_S19_EUlS18_E_NS1_11comp_targetILNS1_3genE5ELNS1_11target_archE942ELNS1_3gpuE9ELNS1_3repE0EEENS1_30default_config_static_selectorELNS0_4arch9wavefront6targetE0EEEvT1_.num_vgpr, 0
	.set _ZN7rocprim17ROCPRIM_400000_NS6detail17trampoline_kernelINS0_14default_configENS1_25partition_config_selectorILNS1_17partition_subalgoE5EiNS0_10empty_typeEbEEZZNS1_14partition_implILS5_5ELb0ES3_mN6thrust23THRUST_200600_302600_NS6detail15normal_iteratorINSA_10device_ptrIiEEEEPS6_NSA_18transform_iteratorINSB_9not_fun_tI7is_trueIiEEENSC_INSD_IbEEEENSA_11use_defaultESO_EENS0_5tupleIJSF_S6_EEENSQ_IJSG_SG_EEES6_PlJS6_EEE10hipError_tPvRmT3_T4_T5_T6_T7_T9_mT8_P12ihipStream_tbDpT10_ENKUlT_T0_E_clISt17integral_constantIbLb1EES1D_EEDaS18_S19_EUlS18_E_NS1_11comp_targetILNS1_3genE5ELNS1_11target_archE942ELNS1_3gpuE9ELNS1_3repE0EEENS1_30default_config_static_selectorELNS0_4arch9wavefront6targetE0EEEvT1_.num_agpr, 0
	.set _ZN7rocprim17ROCPRIM_400000_NS6detail17trampoline_kernelINS0_14default_configENS1_25partition_config_selectorILNS1_17partition_subalgoE5EiNS0_10empty_typeEbEEZZNS1_14partition_implILS5_5ELb0ES3_mN6thrust23THRUST_200600_302600_NS6detail15normal_iteratorINSA_10device_ptrIiEEEEPS6_NSA_18transform_iteratorINSB_9not_fun_tI7is_trueIiEEENSC_INSD_IbEEEENSA_11use_defaultESO_EENS0_5tupleIJSF_S6_EEENSQ_IJSG_SG_EEES6_PlJS6_EEE10hipError_tPvRmT3_T4_T5_T6_T7_T9_mT8_P12ihipStream_tbDpT10_ENKUlT_T0_E_clISt17integral_constantIbLb1EES1D_EEDaS18_S19_EUlS18_E_NS1_11comp_targetILNS1_3genE5ELNS1_11target_archE942ELNS1_3gpuE9ELNS1_3repE0EEENS1_30default_config_static_selectorELNS0_4arch9wavefront6targetE0EEEvT1_.numbered_sgpr, 0
	.set _ZN7rocprim17ROCPRIM_400000_NS6detail17trampoline_kernelINS0_14default_configENS1_25partition_config_selectorILNS1_17partition_subalgoE5EiNS0_10empty_typeEbEEZZNS1_14partition_implILS5_5ELb0ES3_mN6thrust23THRUST_200600_302600_NS6detail15normal_iteratorINSA_10device_ptrIiEEEEPS6_NSA_18transform_iteratorINSB_9not_fun_tI7is_trueIiEEENSC_INSD_IbEEEENSA_11use_defaultESO_EENS0_5tupleIJSF_S6_EEENSQ_IJSG_SG_EEES6_PlJS6_EEE10hipError_tPvRmT3_T4_T5_T6_T7_T9_mT8_P12ihipStream_tbDpT10_ENKUlT_T0_E_clISt17integral_constantIbLb1EES1D_EEDaS18_S19_EUlS18_E_NS1_11comp_targetILNS1_3genE5ELNS1_11target_archE942ELNS1_3gpuE9ELNS1_3repE0EEENS1_30default_config_static_selectorELNS0_4arch9wavefront6targetE0EEEvT1_.num_named_barrier, 0
	.set _ZN7rocprim17ROCPRIM_400000_NS6detail17trampoline_kernelINS0_14default_configENS1_25partition_config_selectorILNS1_17partition_subalgoE5EiNS0_10empty_typeEbEEZZNS1_14partition_implILS5_5ELb0ES3_mN6thrust23THRUST_200600_302600_NS6detail15normal_iteratorINSA_10device_ptrIiEEEEPS6_NSA_18transform_iteratorINSB_9not_fun_tI7is_trueIiEEENSC_INSD_IbEEEENSA_11use_defaultESO_EENS0_5tupleIJSF_S6_EEENSQ_IJSG_SG_EEES6_PlJS6_EEE10hipError_tPvRmT3_T4_T5_T6_T7_T9_mT8_P12ihipStream_tbDpT10_ENKUlT_T0_E_clISt17integral_constantIbLb1EES1D_EEDaS18_S19_EUlS18_E_NS1_11comp_targetILNS1_3genE5ELNS1_11target_archE942ELNS1_3gpuE9ELNS1_3repE0EEENS1_30default_config_static_selectorELNS0_4arch9wavefront6targetE0EEEvT1_.private_seg_size, 0
	.set _ZN7rocprim17ROCPRIM_400000_NS6detail17trampoline_kernelINS0_14default_configENS1_25partition_config_selectorILNS1_17partition_subalgoE5EiNS0_10empty_typeEbEEZZNS1_14partition_implILS5_5ELb0ES3_mN6thrust23THRUST_200600_302600_NS6detail15normal_iteratorINSA_10device_ptrIiEEEEPS6_NSA_18transform_iteratorINSB_9not_fun_tI7is_trueIiEEENSC_INSD_IbEEEENSA_11use_defaultESO_EENS0_5tupleIJSF_S6_EEENSQ_IJSG_SG_EEES6_PlJS6_EEE10hipError_tPvRmT3_T4_T5_T6_T7_T9_mT8_P12ihipStream_tbDpT10_ENKUlT_T0_E_clISt17integral_constantIbLb1EES1D_EEDaS18_S19_EUlS18_E_NS1_11comp_targetILNS1_3genE5ELNS1_11target_archE942ELNS1_3gpuE9ELNS1_3repE0EEENS1_30default_config_static_selectorELNS0_4arch9wavefront6targetE0EEEvT1_.uses_vcc, 0
	.set _ZN7rocprim17ROCPRIM_400000_NS6detail17trampoline_kernelINS0_14default_configENS1_25partition_config_selectorILNS1_17partition_subalgoE5EiNS0_10empty_typeEbEEZZNS1_14partition_implILS5_5ELb0ES3_mN6thrust23THRUST_200600_302600_NS6detail15normal_iteratorINSA_10device_ptrIiEEEEPS6_NSA_18transform_iteratorINSB_9not_fun_tI7is_trueIiEEENSC_INSD_IbEEEENSA_11use_defaultESO_EENS0_5tupleIJSF_S6_EEENSQ_IJSG_SG_EEES6_PlJS6_EEE10hipError_tPvRmT3_T4_T5_T6_T7_T9_mT8_P12ihipStream_tbDpT10_ENKUlT_T0_E_clISt17integral_constantIbLb1EES1D_EEDaS18_S19_EUlS18_E_NS1_11comp_targetILNS1_3genE5ELNS1_11target_archE942ELNS1_3gpuE9ELNS1_3repE0EEENS1_30default_config_static_selectorELNS0_4arch9wavefront6targetE0EEEvT1_.uses_flat_scratch, 0
	.set _ZN7rocprim17ROCPRIM_400000_NS6detail17trampoline_kernelINS0_14default_configENS1_25partition_config_selectorILNS1_17partition_subalgoE5EiNS0_10empty_typeEbEEZZNS1_14partition_implILS5_5ELb0ES3_mN6thrust23THRUST_200600_302600_NS6detail15normal_iteratorINSA_10device_ptrIiEEEEPS6_NSA_18transform_iteratorINSB_9not_fun_tI7is_trueIiEEENSC_INSD_IbEEEENSA_11use_defaultESO_EENS0_5tupleIJSF_S6_EEENSQ_IJSG_SG_EEES6_PlJS6_EEE10hipError_tPvRmT3_T4_T5_T6_T7_T9_mT8_P12ihipStream_tbDpT10_ENKUlT_T0_E_clISt17integral_constantIbLb1EES1D_EEDaS18_S19_EUlS18_E_NS1_11comp_targetILNS1_3genE5ELNS1_11target_archE942ELNS1_3gpuE9ELNS1_3repE0EEENS1_30default_config_static_selectorELNS0_4arch9wavefront6targetE0EEEvT1_.has_dyn_sized_stack, 0
	.set _ZN7rocprim17ROCPRIM_400000_NS6detail17trampoline_kernelINS0_14default_configENS1_25partition_config_selectorILNS1_17partition_subalgoE5EiNS0_10empty_typeEbEEZZNS1_14partition_implILS5_5ELb0ES3_mN6thrust23THRUST_200600_302600_NS6detail15normal_iteratorINSA_10device_ptrIiEEEEPS6_NSA_18transform_iteratorINSB_9not_fun_tI7is_trueIiEEENSC_INSD_IbEEEENSA_11use_defaultESO_EENS0_5tupleIJSF_S6_EEENSQ_IJSG_SG_EEES6_PlJS6_EEE10hipError_tPvRmT3_T4_T5_T6_T7_T9_mT8_P12ihipStream_tbDpT10_ENKUlT_T0_E_clISt17integral_constantIbLb1EES1D_EEDaS18_S19_EUlS18_E_NS1_11comp_targetILNS1_3genE5ELNS1_11target_archE942ELNS1_3gpuE9ELNS1_3repE0EEENS1_30default_config_static_selectorELNS0_4arch9wavefront6targetE0EEEvT1_.has_recursion, 0
	.set _ZN7rocprim17ROCPRIM_400000_NS6detail17trampoline_kernelINS0_14default_configENS1_25partition_config_selectorILNS1_17partition_subalgoE5EiNS0_10empty_typeEbEEZZNS1_14partition_implILS5_5ELb0ES3_mN6thrust23THRUST_200600_302600_NS6detail15normal_iteratorINSA_10device_ptrIiEEEEPS6_NSA_18transform_iteratorINSB_9not_fun_tI7is_trueIiEEENSC_INSD_IbEEEENSA_11use_defaultESO_EENS0_5tupleIJSF_S6_EEENSQ_IJSG_SG_EEES6_PlJS6_EEE10hipError_tPvRmT3_T4_T5_T6_T7_T9_mT8_P12ihipStream_tbDpT10_ENKUlT_T0_E_clISt17integral_constantIbLb1EES1D_EEDaS18_S19_EUlS18_E_NS1_11comp_targetILNS1_3genE5ELNS1_11target_archE942ELNS1_3gpuE9ELNS1_3repE0EEENS1_30default_config_static_selectorELNS0_4arch9wavefront6targetE0EEEvT1_.has_indirect_call, 0
	.section	.AMDGPU.csdata,"",@progbits
; Kernel info:
; codeLenInByte = 0
; TotalNumSgprs: 0
; NumVgprs: 0
; ScratchSize: 0
; MemoryBound: 0
; FloatMode: 240
; IeeeMode: 1
; LDSByteSize: 0 bytes/workgroup (compile time only)
; SGPRBlocks: 0
; VGPRBlocks: 0
; NumSGPRsForWavesPerEU: 1
; NumVGPRsForWavesPerEU: 1
; Occupancy: 16
; WaveLimiterHint : 0
; COMPUTE_PGM_RSRC2:SCRATCH_EN: 0
; COMPUTE_PGM_RSRC2:USER_SGPR: 2
; COMPUTE_PGM_RSRC2:TRAP_HANDLER: 0
; COMPUTE_PGM_RSRC2:TGID_X_EN: 1
; COMPUTE_PGM_RSRC2:TGID_Y_EN: 0
; COMPUTE_PGM_RSRC2:TGID_Z_EN: 0
; COMPUTE_PGM_RSRC2:TIDIG_COMP_CNT: 0
	.section	.text._ZN7rocprim17ROCPRIM_400000_NS6detail17trampoline_kernelINS0_14default_configENS1_25partition_config_selectorILNS1_17partition_subalgoE5EiNS0_10empty_typeEbEEZZNS1_14partition_implILS5_5ELb0ES3_mN6thrust23THRUST_200600_302600_NS6detail15normal_iteratorINSA_10device_ptrIiEEEEPS6_NSA_18transform_iteratorINSB_9not_fun_tI7is_trueIiEEENSC_INSD_IbEEEENSA_11use_defaultESO_EENS0_5tupleIJSF_S6_EEENSQ_IJSG_SG_EEES6_PlJS6_EEE10hipError_tPvRmT3_T4_T5_T6_T7_T9_mT8_P12ihipStream_tbDpT10_ENKUlT_T0_E_clISt17integral_constantIbLb1EES1D_EEDaS18_S19_EUlS18_E_NS1_11comp_targetILNS1_3genE4ELNS1_11target_archE910ELNS1_3gpuE8ELNS1_3repE0EEENS1_30default_config_static_selectorELNS0_4arch9wavefront6targetE0EEEvT1_,"axG",@progbits,_ZN7rocprim17ROCPRIM_400000_NS6detail17trampoline_kernelINS0_14default_configENS1_25partition_config_selectorILNS1_17partition_subalgoE5EiNS0_10empty_typeEbEEZZNS1_14partition_implILS5_5ELb0ES3_mN6thrust23THRUST_200600_302600_NS6detail15normal_iteratorINSA_10device_ptrIiEEEEPS6_NSA_18transform_iteratorINSB_9not_fun_tI7is_trueIiEEENSC_INSD_IbEEEENSA_11use_defaultESO_EENS0_5tupleIJSF_S6_EEENSQ_IJSG_SG_EEES6_PlJS6_EEE10hipError_tPvRmT3_T4_T5_T6_T7_T9_mT8_P12ihipStream_tbDpT10_ENKUlT_T0_E_clISt17integral_constantIbLb1EES1D_EEDaS18_S19_EUlS18_E_NS1_11comp_targetILNS1_3genE4ELNS1_11target_archE910ELNS1_3gpuE8ELNS1_3repE0EEENS1_30default_config_static_selectorELNS0_4arch9wavefront6targetE0EEEvT1_,comdat
	.protected	_ZN7rocprim17ROCPRIM_400000_NS6detail17trampoline_kernelINS0_14default_configENS1_25partition_config_selectorILNS1_17partition_subalgoE5EiNS0_10empty_typeEbEEZZNS1_14partition_implILS5_5ELb0ES3_mN6thrust23THRUST_200600_302600_NS6detail15normal_iteratorINSA_10device_ptrIiEEEEPS6_NSA_18transform_iteratorINSB_9not_fun_tI7is_trueIiEEENSC_INSD_IbEEEENSA_11use_defaultESO_EENS0_5tupleIJSF_S6_EEENSQ_IJSG_SG_EEES6_PlJS6_EEE10hipError_tPvRmT3_T4_T5_T6_T7_T9_mT8_P12ihipStream_tbDpT10_ENKUlT_T0_E_clISt17integral_constantIbLb1EES1D_EEDaS18_S19_EUlS18_E_NS1_11comp_targetILNS1_3genE4ELNS1_11target_archE910ELNS1_3gpuE8ELNS1_3repE0EEENS1_30default_config_static_selectorELNS0_4arch9wavefront6targetE0EEEvT1_ ; -- Begin function _ZN7rocprim17ROCPRIM_400000_NS6detail17trampoline_kernelINS0_14default_configENS1_25partition_config_selectorILNS1_17partition_subalgoE5EiNS0_10empty_typeEbEEZZNS1_14partition_implILS5_5ELb0ES3_mN6thrust23THRUST_200600_302600_NS6detail15normal_iteratorINSA_10device_ptrIiEEEEPS6_NSA_18transform_iteratorINSB_9not_fun_tI7is_trueIiEEENSC_INSD_IbEEEENSA_11use_defaultESO_EENS0_5tupleIJSF_S6_EEENSQ_IJSG_SG_EEES6_PlJS6_EEE10hipError_tPvRmT3_T4_T5_T6_T7_T9_mT8_P12ihipStream_tbDpT10_ENKUlT_T0_E_clISt17integral_constantIbLb1EES1D_EEDaS18_S19_EUlS18_E_NS1_11comp_targetILNS1_3genE4ELNS1_11target_archE910ELNS1_3gpuE8ELNS1_3repE0EEENS1_30default_config_static_selectorELNS0_4arch9wavefront6targetE0EEEvT1_
	.globl	_ZN7rocprim17ROCPRIM_400000_NS6detail17trampoline_kernelINS0_14default_configENS1_25partition_config_selectorILNS1_17partition_subalgoE5EiNS0_10empty_typeEbEEZZNS1_14partition_implILS5_5ELb0ES3_mN6thrust23THRUST_200600_302600_NS6detail15normal_iteratorINSA_10device_ptrIiEEEEPS6_NSA_18transform_iteratorINSB_9not_fun_tI7is_trueIiEEENSC_INSD_IbEEEENSA_11use_defaultESO_EENS0_5tupleIJSF_S6_EEENSQ_IJSG_SG_EEES6_PlJS6_EEE10hipError_tPvRmT3_T4_T5_T6_T7_T9_mT8_P12ihipStream_tbDpT10_ENKUlT_T0_E_clISt17integral_constantIbLb1EES1D_EEDaS18_S19_EUlS18_E_NS1_11comp_targetILNS1_3genE4ELNS1_11target_archE910ELNS1_3gpuE8ELNS1_3repE0EEENS1_30default_config_static_selectorELNS0_4arch9wavefront6targetE0EEEvT1_
	.p2align	8
	.type	_ZN7rocprim17ROCPRIM_400000_NS6detail17trampoline_kernelINS0_14default_configENS1_25partition_config_selectorILNS1_17partition_subalgoE5EiNS0_10empty_typeEbEEZZNS1_14partition_implILS5_5ELb0ES3_mN6thrust23THRUST_200600_302600_NS6detail15normal_iteratorINSA_10device_ptrIiEEEEPS6_NSA_18transform_iteratorINSB_9not_fun_tI7is_trueIiEEENSC_INSD_IbEEEENSA_11use_defaultESO_EENS0_5tupleIJSF_S6_EEENSQ_IJSG_SG_EEES6_PlJS6_EEE10hipError_tPvRmT3_T4_T5_T6_T7_T9_mT8_P12ihipStream_tbDpT10_ENKUlT_T0_E_clISt17integral_constantIbLb1EES1D_EEDaS18_S19_EUlS18_E_NS1_11comp_targetILNS1_3genE4ELNS1_11target_archE910ELNS1_3gpuE8ELNS1_3repE0EEENS1_30default_config_static_selectorELNS0_4arch9wavefront6targetE0EEEvT1_,@function
_ZN7rocprim17ROCPRIM_400000_NS6detail17trampoline_kernelINS0_14default_configENS1_25partition_config_selectorILNS1_17partition_subalgoE5EiNS0_10empty_typeEbEEZZNS1_14partition_implILS5_5ELb0ES3_mN6thrust23THRUST_200600_302600_NS6detail15normal_iteratorINSA_10device_ptrIiEEEEPS6_NSA_18transform_iteratorINSB_9not_fun_tI7is_trueIiEEENSC_INSD_IbEEEENSA_11use_defaultESO_EENS0_5tupleIJSF_S6_EEENSQ_IJSG_SG_EEES6_PlJS6_EEE10hipError_tPvRmT3_T4_T5_T6_T7_T9_mT8_P12ihipStream_tbDpT10_ENKUlT_T0_E_clISt17integral_constantIbLb1EES1D_EEDaS18_S19_EUlS18_E_NS1_11comp_targetILNS1_3genE4ELNS1_11target_archE910ELNS1_3gpuE8ELNS1_3repE0EEENS1_30default_config_static_selectorELNS0_4arch9wavefront6targetE0EEEvT1_: ; @_ZN7rocprim17ROCPRIM_400000_NS6detail17trampoline_kernelINS0_14default_configENS1_25partition_config_selectorILNS1_17partition_subalgoE5EiNS0_10empty_typeEbEEZZNS1_14partition_implILS5_5ELb0ES3_mN6thrust23THRUST_200600_302600_NS6detail15normal_iteratorINSA_10device_ptrIiEEEEPS6_NSA_18transform_iteratorINSB_9not_fun_tI7is_trueIiEEENSC_INSD_IbEEEENSA_11use_defaultESO_EENS0_5tupleIJSF_S6_EEENSQ_IJSG_SG_EEES6_PlJS6_EEE10hipError_tPvRmT3_T4_T5_T6_T7_T9_mT8_P12ihipStream_tbDpT10_ENKUlT_T0_E_clISt17integral_constantIbLb1EES1D_EEDaS18_S19_EUlS18_E_NS1_11comp_targetILNS1_3genE4ELNS1_11target_archE910ELNS1_3gpuE8ELNS1_3repE0EEENS1_30default_config_static_selectorELNS0_4arch9wavefront6targetE0EEEvT1_
; %bb.0:
	.section	.rodata,"a",@progbits
	.p2align	6, 0x0
	.amdhsa_kernel _ZN7rocprim17ROCPRIM_400000_NS6detail17trampoline_kernelINS0_14default_configENS1_25partition_config_selectorILNS1_17partition_subalgoE5EiNS0_10empty_typeEbEEZZNS1_14partition_implILS5_5ELb0ES3_mN6thrust23THRUST_200600_302600_NS6detail15normal_iteratorINSA_10device_ptrIiEEEEPS6_NSA_18transform_iteratorINSB_9not_fun_tI7is_trueIiEEENSC_INSD_IbEEEENSA_11use_defaultESO_EENS0_5tupleIJSF_S6_EEENSQ_IJSG_SG_EEES6_PlJS6_EEE10hipError_tPvRmT3_T4_T5_T6_T7_T9_mT8_P12ihipStream_tbDpT10_ENKUlT_T0_E_clISt17integral_constantIbLb1EES1D_EEDaS18_S19_EUlS18_E_NS1_11comp_targetILNS1_3genE4ELNS1_11target_archE910ELNS1_3gpuE8ELNS1_3repE0EEENS1_30default_config_static_selectorELNS0_4arch9wavefront6targetE0EEEvT1_
		.amdhsa_group_segment_fixed_size 0
		.amdhsa_private_segment_fixed_size 0
		.amdhsa_kernarg_size 136
		.amdhsa_user_sgpr_count 2
		.amdhsa_user_sgpr_dispatch_ptr 0
		.amdhsa_user_sgpr_queue_ptr 0
		.amdhsa_user_sgpr_kernarg_segment_ptr 1
		.amdhsa_user_sgpr_dispatch_id 0
		.amdhsa_user_sgpr_private_segment_size 0
		.amdhsa_wavefront_size32 1
		.amdhsa_uses_dynamic_stack 0
		.amdhsa_enable_private_segment 0
		.amdhsa_system_sgpr_workgroup_id_x 1
		.amdhsa_system_sgpr_workgroup_id_y 0
		.amdhsa_system_sgpr_workgroup_id_z 0
		.amdhsa_system_sgpr_workgroup_info 0
		.amdhsa_system_vgpr_workitem_id 0
		.amdhsa_next_free_vgpr 1
		.amdhsa_next_free_sgpr 1
		.amdhsa_reserve_vcc 0
		.amdhsa_float_round_mode_32 0
		.amdhsa_float_round_mode_16_64 0
		.amdhsa_float_denorm_mode_32 3
		.amdhsa_float_denorm_mode_16_64 3
		.amdhsa_fp16_overflow 0
		.amdhsa_workgroup_processor_mode 1
		.amdhsa_memory_ordered 1
		.amdhsa_forward_progress 1
		.amdhsa_inst_pref_size 0
		.amdhsa_round_robin_scheduling 0
		.amdhsa_exception_fp_ieee_invalid_op 0
		.amdhsa_exception_fp_denorm_src 0
		.amdhsa_exception_fp_ieee_div_zero 0
		.amdhsa_exception_fp_ieee_overflow 0
		.amdhsa_exception_fp_ieee_underflow 0
		.amdhsa_exception_fp_ieee_inexact 0
		.amdhsa_exception_int_div_zero 0
	.end_amdhsa_kernel
	.section	.text._ZN7rocprim17ROCPRIM_400000_NS6detail17trampoline_kernelINS0_14default_configENS1_25partition_config_selectorILNS1_17partition_subalgoE5EiNS0_10empty_typeEbEEZZNS1_14partition_implILS5_5ELb0ES3_mN6thrust23THRUST_200600_302600_NS6detail15normal_iteratorINSA_10device_ptrIiEEEEPS6_NSA_18transform_iteratorINSB_9not_fun_tI7is_trueIiEEENSC_INSD_IbEEEENSA_11use_defaultESO_EENS0_5tupleIJSF_S6_EEENSQ_IJSG_SG_EEES6_PlJS6_EEE10hipError_tPvRmT3_T4_T5_T6_T7_T9_mT8_P12ihipStream_tbDpT10_ENKUlT_T0_E_clISt17integral_constantIbLb1EES1D_EEDaS18_S19_EUlS18_E_NS1_11comp_targetILNS1_3genE4ELNS1_11target_archE910ELNS1_3gpuE8ELNS1_3repE0EEENS1_30default_config_static_selectorELNS0_4arch9wavefront6targetE0EEEvT1_,"axG",@progbits,_ZN7rocprim17ROCPRIM_400000_NS6detail17trampoline_kernelINS0_14default_configENS1_25partition_config_selectorILNS1_17partition_subalgoE5EiNS0_10empty_typeEbEEZZNS1_14partition_implILS5_5ELb0ES3_mN6thrust23THRUST_200600_302600_NS6detail15normal_iteratorINSA_10device_ptrIiEEEEPS6_NSA_18transform_iteratorINSB_9not_fun_tI7is_trueIiEEENSC_INSD_IbEEEENSA_11use_defaultESO_EENS0_5tupleIJSF_S6_EEENSQ_IJSG_SG_EEES6_PlJS6_EEE10hipError_tPvRmT3_T4_T5_T6_T7_T9_mT8_P12ihipStream_tbDpT10_ENKUlT_T0_E_clISt17integral_constantIbLb1EES1D_EEDaS18_S19_EUlS18_E_NS1_11comp_targetILNS1_3genE4ELNS1_11target_archE910ELNS1_3gpuE8ELNS1_3repE0EEENS1_30default_config_static_selectorELNS0_4arch9wavefront6targetE0EEEvT1_,comdat
.Lfunc_end2535:
	.size	_ZN7rocprim17ROCPRIM_400000_NS6detail17trampoline_kernelINS0_14default_configENS1_25partition_config_selectorILNS1_17partition_subalgoE5EiNS0_10empty_typeEbEEZZNS1_14partition_implILS5_5ELb0ES3_mN6thrust23THRUST_200600_302600_NS6detail15normal_iteratorINSA_10device_ptrIiEEEEPS6_NSA_18transform_iteratorINSB_9not_fun_tI7is_trueIiEEENSC_INSD_IbEEEENSA_11use_defaultESO_EENS0_5tupleIJSF_S6_EEENSQ_IJSG_SG_EEES6_PlJS6_EEE10hipError_tPvRmT3_T4_T5_T6_T7_T9_mT8_P12ihipStream_tbDpT10_ENKUlT_T0_E_clISt17integral_constantIbLb1EES1D_EEDaS18_S19_EUlS18_E_NS1_11comp_targetILNS1_3genE4ELNS1_11target_archE910ELNS1_3gpuE8ELNS1_3repE0EEENS1_30default_config_static_selectorELNS0_4arch9wavefront6targetE0EEEvT1_, .Lfunc_end2535-_ZN7rocprim17ROCPRIM_400000_NS6detail17trampoline_kernelINS0_14default_configENS1_25partition_config_selectorILNS1_17partition_subalgoE5EiNS0_10empty_typeEbEEZZNS1_14partition_implILS5_5ELb0ES3_mN6thrust23THRUST_200600_302600_NS6detail15normal_iteratorINSA_10device_ptrIiEEEEPS6_NSA_18transform_iteratorINSB_9not_fun_tI7is_trueIiEEENSC_INSD_IbEEEENSA_11use_defaultESO_EENS0_5tupleIJSF_S6_EEENSQ_IJSG_SG_EEES6_PlJS6_EEE10hipError_tPvRmT3_T4_T5_T6_T7_T9_mT8_P12ihipStream_tbDpT10_ENKUlT_T0_E_clISt17integral_constantIbLb1EES1D_EEDaS18_S19_EUlS18_E_NS1_11comp_targetILNS1_3genE4ELNS1_11target_archE910ELNS1_3gpuE8ELNS1_3repE0EEENS1_30default_config_static_selectorELNS0_4arch9wavefront6targetE0EEEvT1_
                                        ; -- End function
	.set _ZN7rocprim17ROCPRIM_400000_NS6detail17trampoline_kernelINS0_14default_configENS1_25partition_config_selectorILNS1_17partition_subalgoE5EiNS0_10empty_typeEbEEZZNS1_14partition_implILS5_5ELb0ES3_mN6thrust23THRUST_200600_302600_NS6detail15normal_iteratorINSA_10device_ptrIiEEEEPS6_NSA_18transform_iteratorINSB_9not_fun_tI7is_trueIiEEENSC_INSD_IbEEEENSA_11use_defaultESO_EENS0_5tupleIJSF_S6_EEENSQ_IJSG_SG_EEES6_PlJS6_EEE10hipError_tPvRmT3_T4_T5_T6_T7_T9_mT8_P12ihipStream_tbDpT10_ENKUlT_T0_E_clISt17integral_constantIbLb1EES1D_EEDaS18_S19_EUlS18_E_NS1_11comp_targetILNS1_3genE4ELNS1_11target_archE910ELNS1_3gpuE8ELNS1_3repE0EEENS1_30default_config_static_selectorELNS0_4arch9wavefront6targetE0EEEvT1_.num_vgpr, 0
	.set _ZN7rocprim17ROCPRIM_400000_NS6detail17trampoline_kernelINS0_14default_configENS1_25partition_config_selectorILNS1_17partition_subalgoE5EiNS0_10empty_typeEbEEZZNS1_14partition_implILS5_5ELb0ES3_mN6thrust23THRUST_200600_302600_NS6detail15normal_iteratorINSA_10device_ptrIiEEEEPS6_NSA_18transform_iteratorINSB_9not_fun_tI7is_trueIiEEENSC_INSD_IbEEEENSA_11use_defaultESO_EENS0_5tupleIJSF_S6_EEENSQ_IJSG_SG_EEES6_PlJS6_EEE10hipError_tPvRmT3_T4_T5_T6_T7_T9_mT8_P12ihipStream_tbDpT10_ENKUlT_T0_E_clISt17integral_constantIbLb1EES1D_EEDaS18_S19_EUlS18_E_NS1_11comp_targetILNS1_3genE4ELNS1_11target_archE910ELNS1_3gpuE8ELNS1_3repE0EEENS1_30default_config_static_selectorELNS0_4arch9wavefront6targetE0EEEvT1_.num_agpr, 0
	.set _ZN7rocprim17ROCPRIM_400000_NS6detail17trampoline_kernelINS0_14default_configENS1_25partition_config_selectorILNS1_17partition_subalgoE5EiNS0_10empty_typeEbEEZZNS1_14partition_implILS5_5ELb0ES3_mN6thrust23THRUST_200600_302600_NS6detail15normal_iteratorINSA_10device_ptrIiEEEEPS6_NSA_18transform_iteratorINSB_9not_fun_tI7is_trueIiEEENSC_INSD_IbEEEENSA_11use_defaultESO_EENS0_5tupleIJSF_S6_EEENSQ_IJSG_SG_EEES6_PlJS6_EEE10hipError_tPvRmT3_T4_T5_T6_T7_T9_mT8_P12ihipStream_tbDpT10_ENKUlT_T0_E_clISt17integral_constantIbLb1EES1D_EEDaS18_S19_EUlS18_E_NS1_11comp_targetILNS1_3genE4ELNS1_11target_archE910ELNS1_3gpuE8ELNS1_3repE0EEENS1_30default_config_static_selectorELNS0_4arch9wavefront6targetE0EEEvT1_.numbered_sgpr, 0
	.set _ZN7rocprim17ROCPRIM_400000_NS6detail17trampoline_kernelINS0_14default_configENS1_25partition_config_selectorILNS1_17partition_subalgoE5EiNS0_10empty_typeEbEEZZNS1_14partition_implILS5_5ELb0ES3_mN6thrust23THRUST_200600_302600_NS6detail15normal_iteratorINSA_10device_ptrIiEEEEPS6_NSA_18transform_iteratorINSB_9not_fun_tI7is_trueIiEEENSC_INSD_IbEEEENSA_11use_defaultESO_EENS0_5tupleIJSF_S6_EEENSQ_IJSG_SG_EEES6_PlJS6_EEE10hipError_tPvRmT3_T4_T5_T6_T7_T9_mT8_P12ihipStream_tbDpT10_ENKUlT_T0_E_clISt17integral_constantIbLb1EES1D_EEDaS18_S19_EUlS18_E_NS1_11comp_targetILNS1_3genE4ELNS1_11target_archE910ELNS1_3gpuE8ELNS1_3repE0EEENS1_30default_config_static_selectorELNS0_4arch9wavefront6targetE0EEEvT1_.num_named_barrier, 0
	.set _ZN7rocprim17ROCPRIM_400000_NS6detail17trampoline_kernelINS0_14default_configENS1_25partition_config_selectorILNS1_17partition_subalgoE5EiNS0_10empty_typeEbEEZZNS1_14partition_implILS5_5ELb0ES3_mN6thrust23THRUST_200600_302600_NS6detail15normal_iteratorINSA_10device_ptrIiEEEEPS6_NSA_18transform_iteratorINSB_9not_fun_tI7is_trueIiEEENSC_INSD_IbEEEENSA_11use_defaultESO_EENS0_5tupleIJSF_S6_EEENSQ_IJSG_SG_EEES6_PlJS6_EEE10hipError_tPvRmT3_T4_T5_T6_T7_T9_mT8_P12ihipStream_tbDpT10_ENKUlT_T0_E_clISt17integral_constantIbLb1EES1D_EEDaS18_S19_EUlS18_E_NS1_11comp_targetILNS1_3genE4ELNS1_11target_archE910ELNS1_3gpuE8ELNS1_3repE0EEENS1_30default_config_static_selectorELNS0_4arch9wavefront6targetE0EEEvT1_.private_seg_size, 0
	.set _ZN7rocprim17ROCPRIM_400000_NS6detail17trampoline_kernelINS0_14default_configENS1_25partition_config_selectorILNS1_17partition_subalgoE5EiNS0_10empty_typeEbEEZZNS1_14partition_implILS5_5ELb0ES3_mN6thrust23THRUST_200600_302600_NS6detail15normal_iteratorINSA_10device_ptrIiEEEEPS6_NSA_18transform_iteratorINSB_9not_fun_tI7is_trueIiEEENSC_INSD_IbEEEENSA_11use_defaultESO_EENS0_5tupleIJSF_S6_EEENSQ_IJSG_SG_EEES6_PlJS6_EEE10hipError_tPvRmT3_T4_T5_T6_T7_T9_mT8_P12ihipStream_tbDpT10_ENKUlT_T0_E_clISt17integral_constantIbLb1EES1D_EEDaS18_S19_EUlS18_E_NS1_11comp_targetILNS1_3genE4ELNS1_11target_archE910ELNS1_3gpuE8ELNS1_3repE0EEENS1_30default_config_static_selectorELNS0_4arch9wavefront6targetE0EEEvT1_.uses_vcc, 0
	.set _ZN7rocprim17ROCPRIM_400000_NS6detail17trampoline_kernelINS0_14default_configENS1_25partition_config_selectorILNS1_17partition_subalgoE5EiNS0_10empty_typeEbEEZZNS1_14partition_implILS5_5ELb0ES3_mN6thrust23THRUST_200600_302600_NS6detail15normal_iteratorINSA_10device_ptrIiEEEEPS6_NSA_18transform_iteratorINSB_9not_fun_tI7is_trueIiEEENSC_INSD_IbEEEENSA_11use_defaultESO_EENS0_5tupleIJSF_S6_EEENSQ_IJSG_SG_EEES6_PlJS6_EEE10hipError_tPvRmT3_T4_T5_T6_T7_T9_mT8_P12ihipStream_tbDpT10_ENKUlT_T0_E_clISt17integral_constantIbLb1EES1D_EEDaS18_S19_EUlS18_E_NS1_11comp_targetILNS1_3genE4ELNS1_11target_archE910ELNS1_3gpuE8ELNS1_3repE0EEENS1_30default_config_static_selectorELNS0_4arch9wavefront6targetE0EEEvT1_.uses_flat_scratch, 0
	.set _ZN7rocprim17ROCPRIM_400000_NS6detail17trampoline_kernelINS0_14default_configENS1_25partition_config_selectorILNS1_17partition_subalgoE5EiNS0_10empty_typeEbEEZZNS1_14partition_implILS5_5ELb0ES3_mN6thrust23THRUST_200600_302600_NS6detail15normal_iteratorINSA_10device_ptrIiEEEEPS6_NSA_18transform_iteratorINSB_9not_fun_tI7is_trueIiEEENSC_INSD_IbEEEENSA_11use_defaultESO_EENS0_5tupleIJSF_S6_EEENSQ_IJSG_SG_EEES6_PlJS6_EEE10hipError_tPvRmT3_T4_T5_T6_T7_T9_mT8_P12ihipStream_tbDpT10_ENKUlT_T0_E_clISt17integral_constantIbLb1EES1D_EEDaS18_S19_EUlS18_E_NS1_11comp_targetILNS1_3genE4ELNS1_11target_archE910ELNS1_3gpuE8ELNS1_3repE0EEENS1_30default_config_static_selectorELNS0_4arch9wavefront6targetE0EEEvT1_.has_dyn_sized_stack, 0
	.set _ZN7rocprim17ROCPRIM_400000_NS6detail17trampoline_kernelINS0_14default_configENS1_25partition_config_selectorILNS1_17partition_subalgoE5EiNS0_10empty_typeEbEEZZNS1_14partition_implILS5_5ELb0ES3_mN6thrust23THRUST_200600_302600_NS6detail15normal_iteratorINSA_10device_ptrIiEEEEPS6_NSA_18transform_iteratorINSB_9not_fun_tI7is_trueIiEEENSC_INSD_IbEEEENSA_11use_defaultESO_EENS0_5tupleIJSF_S6_EEENSQ_IJSG_SG_EEES6_PlJS6_EEE10hipError_tPvRmT3_T4_T5_T6_T7_T9_mT8_P12ihipStream_tbDpT10_ENKUlT_T0_E_clISt17integral_constantIbLb1EES1D_EEDaS18_S19_EUlS18_E_NS1_11comp_targetILNS1_3genE4ELNS1_11target_archE910ELNS1_3gpuE8ELNS1_3repE0EEENS1_30default_config_static_selectorELNS0_4arch9wavefront6targetE0EEEvT1_.has_recursion, 0
	.set _ZN7rocprim17ROCPRIM_400000_NS6detail17trampoline_kernelINS0_14default_configENS1_25partition_config_selectorILNS1_17partition_subalgoE5EiNS0_10empty_typeEbEEZZNS1_14partition_implILS5_5ELb0ES3_mN6thrust23THRUST_200600_302600_NS6detail15normal_iteratorINSA_10device_ptrIiEEEEPS6_NSA_18transform_iteratorINSB_9not_fun_tI7is_trueIiEEENSC_INSD_IbEEEENSA_11use_defaultESO_EENS0_5tupleIJSF_S6_EEENSQ_IJSG_SG_EEES6_PlJS6_EEE10hipError_tPvRmT3_T4_T5_T6_T7_T9_mT8_P12ihipStream_tbDpT10_ENKUlT_T0_E_clISt17integral_constantIbLb1EES1D_EEDaS18_S19_EUlS18_E_NS1_11comp_targetILNS1_3genE4ELNS1_11target_archE910ELNS1_3gpuE8ELNS1_3repE0EEENS1_30default_config_static_selectorELNS0_4arch9wavefront6targetE0EEEvT1_.has_indirect_call, 0
	.section	.AMDGPU.csdata,"",@progbits
; Kernel info:
; codeLenInByte = 0
; TotalNumSgprs: 0
; NumVgprs: 0
; ScratchSize: 0
; MemoryBound: 0
; FloatMode: 240
; IeeeMode: 1
; LDSByteSize: 0 bytes/workgroup (compile time only)
; SGPRBlocks: 0
; VGPRBlocks: 0
; NumSGPRsForWavesPerEU: 1
; NumVGPRsForWavesPerEU: 1
; Occupancy: 16
; WaveLimiterHint : 0
; COMPUTE_PGM_RSRC2:SCRATCH_EN: 0
; COMPUTE_PGM_RSRC2:USER_SGPR: 2
; COMPUTE_PGM_RSRC2:TRAP_HANDLER: 0
; COMPUTE_PGM_RSRC2:TGID_X_EN: 1
; COMPUTE_PGM_RSRC2:TGID_Y_EN: 0
; COMPUTE_PGM_RSRC2:TGID_Z_EN: 0
; COMPUTE_PGM_RSRC2:TIDIG_COMP_CNT: 0
	.section	.text._ZN7rocprim17ROCPRIM_400000_NS6detail17trampoline_kernelINS0_14default_configENS1_25partition_config_selectorILNS1_17partition_subalgoE5EiNS0_10empty_typeEbEEZZNS1_14partition_implILS5_5ELb0ES3_mN6thrust23THRUST_200600_302600_NS6detail15normal_iteratorINSA_10device_ptrIiEEEEPS6_NSA_18transform_iteratorINSB_9not_fun_tI7is_trueIiEEENSC_INSD_IbEEEENSA_11use_defaultESO_EENS0_5tupleIJSF_S6_EEENSQ_IJSG_SG_EEES6_PlJS6_EEE10hipError_tPvRmT3_T4_T5_T6_T7_T9_mT8_P12ihipStream_tbDpT10_ENKUlT_T0_E_clISt17integral_constantIbLb1EES1D_EEDaS18_S19_EUlS18_E_NS1_11comp_targetILNS1_3genE3ELNS1_11target_archE908ELNS1_3gpuE7ELNS1_3repE0EEENS1_30default_config_static_selectorELNS0_4arch9wavefront6targetE0EEEvT1_,"axG",@progbits,_ZN7rocprim17ROCPRIM_400000_NS6detail17trampoline_kernelINS0_14default_configENS1_25partition_config_selectorILNS1_17partition_subalgoE5EiNS0_10empty_typeEbEEZZNS1_14partition_implILS5_5ELb0ES3_mN6thrust23THRUST_200600_302600_NS6detail15normal_iteratorINSA_10device_ptrIiEEEEPS6_NSA_18transform_iteratorINSB_9not_fun_tI7is_trueIiEEENSC_INSD_IbEEEENSA_11use_defaultESO_EENS0_5tupleIJSF_S6_EEENSQ_IJSG_SG_EEES6_PlJS6_EEE10hipError_tPvRmT3_T4_T5_T6_T7_T9_mT8_P12ihipStream_tbDpT10_ENKUlT_T0_E_clISt17integral_constantIbLb1EES1D_EEDaS18_S19_EUlS18_E_NS1_11comp_targetILNS1_3genE3ELNS1_11target_archE908ELNS1_3gpuE7ELNS1_3repE0EEENS1_30default_config_static_selectorELNS0_4arch9wavefront6targetE0EEEvT1_,comdat
	.protected	_ZN7rocprim17ROCPRIM_400000_NS6detail17trampoline_kernelINS0_14default_configENS1_25partition_config_selectorILNS1_17partition_subalgoE5EiNS0_10empty_typeEbEEZZNS1_14partition_implILS5_5ELb0ES3_mN6thrust23THRUST_200600_302600_NS6detail15normal_iteratorINSA_10device_ptrIiEEEEPS6_NSA_18transform_iteratorINSB_9not_fun_tI7is_trueIiEEENSC_INSD_IbEEEENSA_11use_defaultESO_EENS0_5tupleIJSF_S6_EEENSQ_IJSG_SG_EEES6_PlJS6_EEE10hipError_tPvRmT3_T4_T5_T6_T7_T9_mT8_P12ihipStream_tbDpT10_ENKUlT_T0_E_clISt17integral_constantIbLb1EES1D_EEDaS18_S19_EUlS18_E_NS1_11comp_targetILNS1_3genE3ELNS1_11target_archE908ELNS1_3gpuE7ELNS1_3repE0EEENS1_30default_config_static_selectorELNS0_4arch9wavefront6targetE0EEEvT1_ ; -- Begin function _ZN7rocprim17ROCPRIM_400000_NS6detail17trampoline_kernelINS0_14default_configENS1_25partition_config_selectorILNS1_17partition_subalgoE5EiNS0_10empty_typeEbEEZZNS1_14partition_implILS5_5ELb0ES3_mN6thrust23THRUST_200600_302600_NS6detail15normal_iteratorINSA_10device_ptrIiEEEEPS6_NSA_18transform_iteratorINSB_9not_fun_tI7is_trueIiEEENSC_INSD_IbEEEENSA_11use_defaultESO_EENS0_5tupleIJSF_S6_EEENSQ_IJSG_SG_EEES6_PlJS6_EEE10hipError_tPvRmT3_T4_T5_T6_T7_T9_mT8_P12ihipStream_tbDpT10_ENKUlT_T0_E_clISt17integral_constantIbLb1EES1D_EEDaS18_S19_EUlS18_E_NS1_11comp_targetILNS1_3genE3ELNS1_11target_archE908ELNS1_3gpuE7ELNS1_3repE0EEENS1_30default_config_static_selectorELNS0_4arch9wavefront6targetE0EEEvT1_
	.globl	_ZN7rocprim17ROCPRIM_400000_NS6detail17trampoline_kernelINS0_14default_configENS1_25partition_config_selectorILNS1_17partition_subalgoE5EiNS0_10empty_typeEbEEZZNS1_14partition_implILS5_5ELb0ES3_mN6thrust23THRUST_200600_302600_NS6detail15normal_iteratorINSA_10device_ptrIiEEEEPS6_NSA_18transform_iteratorINSB_9not_fun_tI7is_trueIiEEENSC_INSD_IbEEEENSA_11use_defaultESO_EENS0_5tupleIJSF_S6_EEENSQ_IJSG_SG_EEES6_PlJS6_EEE10hipError_tPvRmT3_T4_T5_T6_T7_T9_mT8_P12ihipStream_tbDpT10_ENKUlT_T0_E_clISt17integral_constantIbLb1EES1D_EEDaS18_S19_EUlS18_E_NS1_11comp_targetILNS1_3genE3ELNS1_11target_archE908ELNS1_3gpuE7ELNS1_3repE0EEENS1_30default_config_static_selectorELNS0_4arch9wavefront6targetE0EEEvT1_
	.p2align	8
	.type	_ZN7rocprim17ROCPRIM_400000_NS6detail17trampoline_kernelINS0_14default_configENS1_25partition_config_selectorILNS1_17partition_subalgoE5EiNS0_10empty_typeEbEEZZNS1_14partition_implILS5_5ELb0ES3_mN6thrust23THRUST_200600_302600_NS6detail15normal_iteratorINSA_10device_ptrIiEEEEPS6_NSA_18transform_iteratorINSB_9not_fun_tI7is_trueIiEEENSC_INSD_IbEEEENSA_11use_defaultESO_EENS0_5tupleIJSF_S6_EEENSQ_IJSG_SG_EEES6_PlJS6_EEE10hipError_tPvRmT3_T4_T5_T6_T7_T9_mT8_P12ihipStream_tbDpT10_ENKUlT_T0_E_clISt17integral_constantIbLb1EES1D_EEDaS18_S19_EUlS18_E_NS1_11comp_targetILNS1_3genE3ELNS1_11target_archE908ELNS1_3gpuE7ELNS1_3repE0EEENS1_30default_config_static_selectorELNS0_4arch9wavefront6targetE0EEEvT1_,@function
_ZN7rocprim17ROCPRIM_400000_NS6detail17trampoline_kernelINS0_14default_configENS1_25partition_config_selectorILNS1_17partition_subalgoE5EiNS0_10empty_typeEbEEZZNS1_14partition_implILS5_5ELb0ES3_mN6thrust23THRUST_200600_302600_NS6detail15normal_iteratorINSA_10device_ptrIiEEEEPS6_NSA_18transform_iteratorINSB_9not_fun_tI7is_trueIiEEENSC_INSD_IbEEEENSA_11use_defaultESO_EENS0_5tupleIJSF_S6_EEENSQ_IJSG_SG_EEES6_PlJS6_EEE10hipError_tPvRmT3_T4_T5_T6_T7_T9_mT8_P12ihipStream_tbDpT10_ENKUlT_T0_E_clISt17integral_constantIbLb1EES1D_EEDaS18_S19_EUlS18_E_NS1_11comp_targetILNS1_3genE3ELNS1_11target_archE908ELNS1_3gpuE7ELNS1_3repE0EEENS1_30default_config_static_selectorELNS0_4arch9wavefront6targetE0EEEvT1_: ; @_ZN7rocprim17ROCPRIM_400000_NS6detail17trampoline_kernelINS0_14default_configENS1_25partition_config_selectorILNS1_17partition_subalgoE5EiNS0_10empty_typeEbEEZZNS1_14partition_implILS5_5ELb0ES3_mN6thrust23THRUST_200600_302600_NS6detail15normal_iteratorINSA_10device_ptrIiEEEEPS6_NSA_18transform_iteratorINSB_9not_fun_tI7is_trueIiEEENSC_INSD_IbEEEENSA_11use_defaultESO_EENS0_5tupleIJSF_S6_EEENSQ_IJSG_SG_EEES6_PlJS6_EEE10hipError_tPvRmT3_T4_T5_T6_T7_T9_mT8_P12ihipStream_tbDpT10_ENKUlT_T0_E_clISt17integral_constantIbLb1EES1D_EEDaS18_S19_EUlS18_E_NS1_11comp_targetILNS1_3genE3ELNS1_11target_archE908ELNS1_3gpuE7ELNS1_3repE0EEENS1_30default_config_static_selectorELNS0_4arch9wavefront6targetE0EEEvT1_
; %bb.0:
	.section	.rodata,"a",@progbits
	.p2align	6, 0x0
	.amdhsa_kernel _ZN7rocprim17ROCPRIM_400000_NS6detail17trampoline_kernelINS0_14default_configENS1_25partition_config_selectorILNS1_17partition_subalgoE5EiNS0_10empty_typeEbEEZZNS1_14partition_implILS5_5ELb0ES3_mN6thrust23THRUST_200600_302600_NS6detail15normal_iteratorINSA_10device_ptrIiEEEEPS6_NSA_18transform_iteratorINSB_9not_fun_tI7is_trueIiEEENSC_INSD_IbEEEENSA_11use_defaultESO_EENS0_5tupleIJSF_S6_EEENSQ_IJSG_SG_EEES6_PlJS6_EEE10hipError_tPvRmT3_T4_T5_T6_T7_T9_mT8_P12ihipStream_tbDpT10_ENKUlT_T0_E_clISt17integral_constantIbLb1EES1D_EEDaS18_S19_EUlS18_E_NS1_11comp_targetILNS1_3genE3ELNS1_11target_archE908ELNS1_3gpuE7ELNS1_3repE0EEENS1_30default_config_static_selectorELNS0_4arch9wavefront6targetE0EEEvT1_
		.amdhsa_group_segment_fixed_size 0
		.amdhsa_private_segment_fixed_size 0
		.amdhsa_kernarg_size 136
		.amdhsa_user_sgpr_count 2
		.amdhsa_user_sgpr_dispatch_ptr 0
		.amdhsa_user_sgpr_queue_ptr 0
		.amdhsa_user_sgpr_kernarg_segment_ptr 1
		.amdhsa_user_sgpr_dispatch_id 0
		.amdhsa_user_sgpr_private_segment_size 0
		.amdhsa_wavefront_size32 1
		.amdhsa_uses_dynamic_stack 0
		.amdhsa_enable_private_segment 0
		.amdhsa_system_sgpr_workgroup_id_x 1
		.amdhsa_system_sgpr_workgroup_id_y 0
		.amdhsa_system_sgpr_workgroup_id_z 0
		.amdhsa_system_sgpr_workgroup_info 0
		.amdhsa_system_vgpr_workitem_id 0
		.amdhsa_next_free_vgpr 1
		.amdhsa_next_free_sgpr 1
		.amdhsa_reserve_vcc 0
		.amdhsa_float_round_mode_32 0
		.amdhsa_float_round_mode_16_64 0
		.amdhsa_float_denorm_mode_32 3
		.amdhsa_float_denorm_mode_16_64 3
		.amdhsa_fp16_overflow 0
		.amdhsa_workgroup_processor_mode 1
		.amdhsa_memory_ordered 1
		.amdhsa_forward_progress 1
		.amdhsa_inst_pref_size 0
		.amdhsa_round_robin_scheduling 0
		.amdhsa_exception_fp_ieee_invalid_op 0
		.amdhsa_exception_fp_denorm_src 0
		.amdhsa_exception_fp_ieee_div_zero 0
		.amdhsa_exception_fp_ieee_overflow 0
		.amdhsa_exception_fp_ieee_underflow 0
		.amdhsa_exception_fp_ieee_inexact 0
		.amdhsa_exception_int_div_zero 0
	.end_amdhsa_kernel
	.section	.text._ZN7rocprim17ROCPRIM_400000_NS6detail17trampoline_kernelINS0_14default_configENS1_25partition_config_selectorILNS1_17partition_subalgoE5EiNS0_10empty_typeEbEEZZNS1_14partition_implILS5_5ELb0ES3_mN6thrust23THRUST_200600_302600_NS6detail15normal_iteratorINSA_10device_ptrIiEEEEPS6_NSA_18transform_iteratorINSB_9not_fun_tI7is_trueIiEEENSC_INSD_IbEEEENSA_11use_defaultESO_EENS0_5tupleIJSF_S6_EEENSQ_IJSG_SG_EEES6_PlJS6_EEE10hipError_tPvRmT3_T4_T5_T6_T7_T9_mT8_P12ihipStream_tbDpT10_ENKUlT_T0_E_clISt17integral_constantIbLb1EES1D_EEDaS18_S19_EUlS18_E_NS1_11comp_targetILNS1_3genE3ELNS1_11target_archE908ELNS1_3gpuE7ELNS1_3repE0EEENS1_30default_config_static_selectorELNS0_4arch9wavefront6targetE0EEEvT1_,"axG",@progbits,_ZN7rocprim17ROCPRIM_400000_NS6detail17trampoline_kernelINS0_14default_configENS1_25partition_config_selectorILNS1_17partition_subalgoE5EiNS0_10empty_typeEbEEZZNS1_14partition_implILS5_5ELb0ES3_mN6thrust23THRUST_200600_302600_NS6detail15normal_iteratorINSA_10device_ptrIiEEEEPS6_NSA_18transform_iteratorINSB_9not_fun_tI7is_trueIiEEENSC_INSD_IbEEEENSA_11use_defaultESO_EENS0_5tupleIJSF_S6_EEENSQ_IJSG_SG_EEES6_PlJS6_EEE10hipError_tPvRmT3_T4_T5_T6_T7_T9_mT8_P12ihipStream_tbDpT10_ENKUlT_T0_E_clISt17integral_constantIbLb1EES1D_EEDaS18_S19_EUlS18_E_NS1_11comp_targetILNS1_3genE3ELNS1_11target_archE908ELNS1_3gpuE7ELNS1_3repE0EEENS1_30default_config_static_selectorELNS0_4arch9wavefront6targetE0EEEvT1_,comdat
.Lfunc_end2536:
	.size	_ZN7rocprim17ROCPRIM_400000_NS6detail17trampoline_kernelINS0_14default_configENS1_25partition_config_selectorILNS1_17partition_subalgoE5EiNS0_10empty_typeEbEEZZNS1_14partition_implILS5_5ELb0ES3_mN6thrust23THRUST_200600_302600_NS6detail15normal_iteratorINSA_10device_ptrIiEEEEPS6_NSA_18transform_iteratorINSB_9not_fun_tI7is_trueIiEEENSC_INSD_IbEEEENSA_11use_defaultESO_EENS0_5tupleIJSF_S6_EEENSQ_IJSG_SG_EEES6_PlJS6_EEE10hipError_tPvRmT3_T4_T5_T6_T7_T9_mT8_P12ihipStream_tbDpT10_ENKUlT_T0_E_clISt17integral_constantIbLb1EES1D_EEDaS18_S19_EUlS18_E_NS1_11comp_targetILNS1_3genE3ELNS1_11target_archE908ELNS1_3gpuE7ELNS1_3repE0EEENS1_30default_config_static_selectorELNS0_4arch9wavefront6targetE0EEEvT1_, .Lfunc_end2536-_ZN7rocprim17ROCPRIM_400000_NS6detail17trampoline_kernelINS0_14default_configENS1_25partition_config_selectorILNS1_17partition_subalgoE5EiNS0_10empty_typeEbEEZZNS1_14partition_implILS5_5ELb0ES3_mN6thrust23THRUST_200600_302600_NS6detail15normal_iteratorINSA_10device_ptrIiEEEEPS6_NSA_18transform_iteratorINSB_9not_fun_tI7is_trueIiEEENSC_INSD_IbEEEENSA_11use_defaultESO_EENS0_5tupleIJSF_S6_EEENSQ_IJSG_SG_EEES6_PlJS6_EEE10hipError_tPvRmT3_T4_T5_T6_T7_T9_mT8_P12ihipStream_tbDpT10_ENKUlT_T0_E_clISt17integral_constantIbLb1EES1D_EEDaS18_S19_EUlS18_E_NS1_11comp_targetILNS1_3genE3ELNS1_11target_archE908ELNS1_3gpuE7ELNS1_3repE0EEENS1_30default_config_static_selectorELNS0_4arch9wavefront6targetE0EEEvT1_
                                        ; -- End function
	.set _ZN7rocprim17ROCPRIM_400000_NS6detail17trampoline_kernelINS0_14default_configENS1_25partition_config_selectorILNS1_17partition_subalgoE5EiNS0_10empty_typeEbEEZZNS1_14partition_implILS5_5ELb0ES3_mN6thrust23THRUST_200600_302600_NS6detail15normal_iteratorINSA_10device_ptrIiEEEEPS6_NSA_18transform_iteratorINSB_9not_fun_tI7is_trueIiEEENSC_INSD_IbEEEENSA_11use_defaultESO_EENS0_5tupleIJSF_S6_EEENSQ_IJSG_SG_EEES6_PlJS6_EEE10hipError_tPvRmT3_T4_T5_T6_T7_T9_mT8_P12ihipStream_tbDpT10_ENKUlT_T0_E_clISt17integral_constantIbLb1EES1D_EEDaS18_S19_EUlS18_E_NS1_11comp_targetILNS1_3genE3ELNS1_11target_archE908ELNS1_3gpuE7ELNS1_3repE0EEENS1_30default_config_static_selectorELNS0_4arch9wavefront6targetE0EEEvT1_.num_vgpr, 0
	.set _ZN7rocprim17ROCPRIM_400000_NS6detail17trampoline_kernelINS0_14default_configENS1_25partition_config_selectorILNS1_17partition_subalgoE5EiNS0_10empty_typeEbEEZZNS1_14partition_implILS5_5ELb0ES3_mN6thrust23THRUST_200600_302600_NS6detail15normal_iteratorINSA_10device_ptrIiEEEEPS6_NSA_18transform_iteratorINSB_9not_fun_tI7is_trueIiEEENSC_INSD_IbEEEENSA_11use_defaultESO_EENS0_5tupleIJSF_S6_EEENSQ_IJSG_SG_EEES6_PlJS6_EEE10hipError_tPvRmT3_T4_T5_T6_T7_T9_mT8_P12ihipStream_tbDpT10_ENKUlT_T0_E_clISt17integral_constantIbLb1EES1D_EEDaS18_S19_EUlS18_E_NS1_11comp_targetILNS1_3genE3ELNS1_11target_archE908ELNS1_3gpuE7ELNS1_3repE0EEENS1_30default_config_static_selectorELNS0_4arch9wavefront6targetE0EEEvT1_.num_agpr, 0
	.set _ZN7rocprim17ROCPRIM_400000_NS6detail17trampoline_kernelINS0_14default_configENS1_25partition_config_selectorILNS1_17partition_subalgoE5EiNS0_10empty_typeEbEEZZNS1_14partition_implILS5_5ELb0ES3_mN6thrust23THRUST_200600_302600_NS6detail15normal_iteratorINSA_10device_ptrIiEEEEPS6_NSA_18transform_iteratorINSB_9not_fun_tI7is_trueIiEEENSC_INSD_IbEEEENSA_11use_defaultESO_EENS0_5tupleIJSF_S6_EEENSQ_IJSG_SG_EEES6_PlJS6_EEE10hipError_tPvRmT3_T4_T5_T6_T7_T9_mT8_P12ihipStream_tbDpT10_ENKUlT_T0_E_clISt17integral_constantIbLb1EES1D_EEDaS18_S19_EUlS18_E_NS1_11comp_targetILNS1_3genE3ELNS1_11target_archE908ELNS1_3gpuE7ELNS1_3repE0EEENS1_30default_config_static_selectorELNS0_4arch9wavefront6targetE0EEEvT1_.numbered_sgpr, 0
	.set _ZN7rocprim17ROCPRIM_400000_NS6detail17trampoline_kernelINS0_14default_configENS1_25partition_config_selectorILNS1_17partition_subalgoE5EiNS0_10empty_typeEbEEZZNS1_14partition_implILS5_5ELb0ES3_mN6thrust23THRUST_200600_302600_NS6detail15normal_iteratorINSA_10device_ptrIiEEEEPS6_NSA_18transform_iteratorINSB_9not_fun_tI7is_trueIiEEENSC_INSD_IbEEEENSA_11use_defaultESO_EENS0_5tupleIJSF_S6_EEENSQ_IJSG_SG_EEES6_PlJS6_EEE10hipError_tPvRmT3_T4_T5_T6_T7_T9_mT8_P12ihipStream_tbDpT10_ENKUlT_T0_E_clISt17integral_constantIbLb1EES1D_EEDaS18_S19_EUlS18_E_NS1_11comp_targetILNS1_3genE3ELNS1_11target_archE908ELNS1_3gpuE7ELNS1_3repE0EEENS1_30default_config_static_selectorELNS0_4arch9wavefront6targetE0EEEvT1_.num_named_barrier, 0
	.set _ZN7rocprim17ROCPRIM_400000_NS6detail17trampoline_kernelINS0_14default_configENS1_25partition_config_selectorILNS1_17partition_subalgoE5EiNS0_10empty_typeEbEEZZNS1_14partition_implILS5_5ELb0ES3_mN6thrust23THRUST_200600_302600_NS6detail15normal_iteratorINSA_10device_ptrIiEEEEPS6_NSA_18transform_iteratorINSB_9not_fun_tI7is_trueIiEEENSC_INSD_IbEEEENSA_11use_defaultESO_EENS0_5tupleIJSF_S6_EEENSQ_IJSG_SG_EEES6_PlJS6_EEE10hipError_tPvRmT3_T4_T5_T6_T7_T9_mT8_P12ihipStream_tbDpT10_ENKUlT_T0_E_clISt17integral_constantIbLb1EES1D_EEDaS18_S19_EUlS18_E_NS1_11comp_targetILNS1_3genE3ELNS1_11target_archE908ELNS1_3gpuE7ELNS1_3repE0EEENS1_30default_config_static_selectorELNS0_4arch9wavefront6targetE0EEEvT1_.private_seg_size, 0
	.set _ZN7rocprim17ROCPRIM_400000_NS6detail17trampoline_kernelINS0_14default_configENS1_25partition_config_selectorILNS1_17partition_subalgoE5EiNS0_10empty_typeEbEEZZNS1_14partition_implILS5_5ELb0ES3_mN6thrust23THRUST_200600_302600_NS6detail15normal_iteratorINSA_10device_ptrIiEEEEPS6_NSA_18transform_iteratorINSB_9not_fun_tI7is_trueIiEEENSC_INSD_IbEEEENSA_11use_defaultESO_EENS0_5tupleIJSF_S6_EEENSQ_IJSG_SG_EEES6_PlJS6_EEE10hipError_tPvRmT3_T4_T5_T6_T7_T9_mT8_P12ihipStream_tbDpT10_ENKUlT_T0_E_clISt17integral_constantIbLb1EES1D_EEDaS18_S19_EUlS18_E_NS1_11comp_targetILNS1_3genE3ELNS1_11target_archE908ELNS1_3gpuE7ELNS1_3repE0EEENS1_30default_config_static_selectorELNS0_4arch9wavefront6targetE0EEEvT1_.uses_vcc, 0
	.set _ZN7rocprim17ROCPRIM_400000_NS6detail17trampoline_kernelINS0_14default_configENS1_25partition_config_selectorILNS1_17partition_subalgoE5EiNS0_10empty_typeEbEEZZNS1_14partition_implILS5_5ELb0ES3_mN6thrust23THRUST_200600_302600_NS6detail15normal_iteratorINSA_10device_ptrIiEEEEPS6_NSA_18transform_iteratorINSB_9not_fun_tI7is_trueIiEEENSC_INSD_IbEEEENSA_11use_defaultESO_EENS0_5tupleIJSF_S6_EEENSQ_IJSG_SG_EEES6_PlJS6_EEE10hipError_tPvRmT3_T4_T5_T6_T7_T9_mT8_P12ihipStream_tbDpT10_ENKUlT_T0_E_clISt17integral_constantIbLb1EES1D_EEDaS18_S19_EUlS18_E_NS1_11comp_targetILNS1_3genE3ELNS1_11target_archE908ELNS1_3gpuE7ELNS1_3repE0EEENS1_30default_config_static_selectorELNS0_4arch9wavefront6targetE0EEEvT1_.uses_flat_scratch, 0
	.set _ZN7rocprim17ROCPRIM_400000_NS6detail17trampoline_kernelINS0_14default_configENS1_25partition_config_selectorILNS1_17partition_subalgoE5EiNS0_10empty_typeEbEEZZNS1_14partition_implILS5_5ELb0ES3_mN6thrust23THRUST_200600_302600_NS6detail15normal_iteratorINSA_10device_ptrIiEEEEPS6_NSA_18transform_iteratorINSB_9not_fun_tI7is_trueIiEEENSC_INSD_IbEEEENSA_11use_defaultESO_EENS0_5tupleIJSF_S6_EEENSQ_IJSG_SG_EEES6_PlJS6_EEE10hipError_tPvRmT3_T4_T5_T6_T7_T9_mT8_P12ihipStream_tbDpT10_ENKUlT_T0_E_clISt17integral_constantIbLb1EES1D_EEDaS18_S19_EUlS18_E_NS1_11comp_targetILNS1_3genE3ELNS1_11target_archE908ELNS1_3gpuE7ELNS1_3repE0EEENS1_30default_config_static_selectorELNS0_4arch9wavefront6targetE0EEEvT1_.has_dyn_sized_stack, 0
	.set _ZN7rocprim17ROCPRIM_400000_NS6detail17trampoline_kernelINS0_14default_configENS1_25partition_config_selectorILNS1_17partition_subalgoE5EiNS0_10empty_typeEbEEZZNS1_14partition_implILS5_5ELb0ES3_mN6thrust23THRUST_200600_302600_NS6detail15normal_iteratorINSA_10device_ptrIiEEEEPS6_NSA_18transform_iteratorINSB_9not_fun_tI7is_trueIiEEENSC_INSD_IbEEEENSA_11use_defaultESO_EENS0_5tupleIJSF_S6_EEENSQ_IJSG_SG_EEES6_PlJS6_EEE10hipError_tPvRmT3_T4_T5_T6_T7_T9_mT8_P12ihipStream_tbDpT10_ENKUlT_T0_E_clISt17integral_constantIbLb1EES1D_EEDaS18_S19_EUlS18_E_NS1_11comp_targetILNS1_3genE3ELNS1_11target_archE908ELNS1_3gpuE7ELNS1_3repE0EEENS1_30default_config_static_selectorELNS0_4arch9wavefront6targetE0EEEvT1_.has_recursion, 0
	.set _ZN7rocprim17ROCPRIM_400000_NS6detail17trampoline_kernelINS0_14default_configENS1_25partition_config_selectorILNS1_17partition_subalgoE5EiNS0_10empty_typeEbEEZZNS1_14partition_implILS5_5ELb0ES3_mN6thrust23THRUST_200600_302600_NS6detail15normal_iteratorINSA_10device_ptrIiEEEEPS6_NSA_18transform_iteratorINSB_9not_fun_tI7is_trueIiEEENSC_INSD_IbEEEENSA_11use_defaultESO_EENS0_5tupleIJSF_S6_EEENSQ_IJSG_SG_EEES6_PlJS6_EEE10hipError_tPvRmT3_T4_T5_T6_T7_T9_mT8_P12ihipStream_tbDpT10_ENKUlT_T0_E_clISt17integral_constantIbLb1EES1D_EEDaS18_S19_EUlS18_E_NS1_11comp_targetILNS1_3genE3ELNS1_11target_archE908ELNS1_3gpuE7ELNS1_3repE0EEENS1_30default_config_static_selectorELNS0_4arch9wavefront6targetE0EEEvT1_.has_indirect_call, 0
	.section	.AMDGPU.csdata,"",@progbits
; Kernel info:
; codeLenInByte = 0
; TotalNumSgprs: 0
; NumVgprs: 0
; ScratchSize: 0
; MemoryBound: 0
; FloatMode: 240
; IeeeMode: 1
; LDSByteSize: 0 bytes/workgroup (compile time only)
; SGPRBlocks: 0
; VGPRBlocks: 0
; NumSGPRsForWavesPerEU: 1
; NumVGPRsForWavesPerEU: 1
; Occupancy: 16
; WaveLimiterHint : 0
; COMPUTE_PGM_RSRC2:SCRATCH_EN: 0
; COMPUTE_PGM_RSRC2:USER_SGPR: 2
; COMPUTE_PGM_RSRC2:TRAP_HANDLER: 0
; COMPUTE_PGM_RSRC2:TGID_X_EN: 1
; COMPUTE_PGM_RSRC2:TGID_Y_EN: 0
; COMPUTE_PGM_RSRC2:TGID_Z_EN: 0
; COMPUTE_PGM_RSRC2:TIDIG_COMP_CNT: 0
	.section	.text._ZN7rocprim17ROCPRIM_400000_NS6detail17trampoline_kernelINS0_14default_configENS1_25partition_config_selectorILNS1_17partition_subalgoE5EiNS0_10empty_typeEbEEZZNS1_14partition_implILS5_5ELb0ES3_mN6thrust23THRUST_200600_302600_NS6detail15normal_iteratorINSA_10device_ptrIiEEEEPS6_NSA_18transform_iteratorINSB_9not_fun_tI7is_trueIiEEENSC_INSD_IbEEEENSA_11use_defaultESO_EENS0_5tupleIJSF_S6_EEENSQ_IJSG_SG_EEES6_PlJS6_EEE10hipError_tPvRmT3_T4_T5_T6_T7_T9_mT8_P12ihipStream_tbDpT10_ENKUlT_T0_E_clISt17integral_constantIbLb1EES1D_EEDaS18_S19_EUlS18_E_NS1_11comp_targetILNS1_3genE2ELNS1_11target_archE906ELNS1_3gpuE6ELNS1_3repE0EEENS1_30default_config_static_selectorELNS0_4arch9wavefront6targetE0EEEvT1_,"axG",@progbits,_ZN7rocprim17ROCPRIM_400000_NS6detail17trampoline_kernelINS0_14default_configENS1_25partition_config_selectorILNS1_17partition_subalgoE5EiNS0_10empty_typeEbEEZZNS1_14partition_implILS5_5ELb0ES3_mN6thrust23THRUST_200600_302600_NS6detail15normal_iteratorINSA_10device_ptrIiEEEEPS6_NSA_18transform_iteratorINSB_9not_fun_tI7is_trueIiEEENSC_INSD_IbEEEENSA_11use_defaultESO_EENS0_5tupleIJSF_S6_EEENSQ_IJSG_SG_EEES6_PlJS6_EEE10hipError_tPvRmT3_T4_T5_T6_T7_T9_mT8_P12ihipStream_tbDpT10_ENKUlT_T0_E_clISt17integral_constantIbLb1EES1D_EEDaS18_S19_EUlS18_E_NS1_11comp_targetILNS1_3genE2ELNS1_11target_archE906ELNS1_3gpuE6ELNS1_3repE0EEENS1_30default_config_static_selectorELNS0_4arch9wavefront6targetE0EEEvT1_,comdat
	.protected	_ZN7rocprim17ROCPRIM_400000_NS6detail17trampoline_kernelINS0_14default_configENS1_25partition_config_selectorILNS1_17partition_subalgoE5EiNS0_10empty_typeEbEEZZNS1_14partition_implILS5_5ELb0ES3_mN6thrust23THRUST_200600_302600_NS6detail15normal_iteratorINSA_10device_ptrIiEEEEPS6_NSA_18transform_iteratorINSB_9not_fun_tI7is_trueIiEEENSC_INSD_IbEEEENSA_11use_defaultESO_EENS0_5tupleIJSF_S6_EEENSQ_IJSG_SG_EEES6_PlJS6_EEE10hipError_tPvRmT3_T4_T5_T6_T7_T9_mT8_P12ihipStream_tbDpT10_ENKUlT_T0_E_clISt17integral_constantIbLb1EES1D_EEDaS18_S19_EUlS18_E_NS1_11comp_targetILNS1_3genE2ELNS1_11target_archE906ELNS1_3gpuE6ELNS1_3repE0EEENS1_30default_config_static_selectorELNS0_4arch9wavefront6targetE0EEEvT1_ ; -- Begin function _ZN7rocprim17ROCPRIM_400000_NS6detail17trampoline_kernelINS0_14default_configENS1_25partition_config_selectorILNS1_17partition_subalgoE5EiNS0_10empty_typeEbEEZZNS1_14partition_implILS5_5ELb0ES3_mN6thrust23THRUST_200600_302600_NS6detail15normal_iteratorINSA_10device_ptrIiEEEEPS6_NSA_18transform_iteratorINSB_9not_fun_tI7is_trueIiEEENSC_INSD_IbEEEENSA_11use_defaultESO_EENS0_5tupleIJSF_S6_EEENSQ_IJSG_SG_EEES6_PlJS6_EEE10hipError_tPvRmT3_T4_T5_T6_T7_T9_mT8_P12ihipStream_tbDpT10_ENKUlT_T0_E_clISt17integral_constantIbLb1EES1D_EEDaS18_S19_EUlS18_E_NS1_11comp_targetILNS1_3genE2ELNS1_11target_archE906ELNS1_3gpuE6ELNS1_3repE0EEENS1_30default_config_static_selectorELNS0_4arch9wavefront6targetE0EEEvT1_
	.globl	_ZN7rocprim17ROCPRIM_400000_NS6detail17trampoline_kernelINS0_14default_configENS1_25partition_config_selectorILNS1_17partition_subalgoE5EiNS0_10empty_typeEbEEZZNS1_14partition_implILS5_5ELb0ES3_mN6thrust23THRUST_200600_302600_NS6detail15normal_iteratorINSA_10device_ptrIiEEEEPS6_NSA_18transform_iteratorINSB_9not_fun_tI7is_trueIiEEENSC_INSD_IbEEEENSA_11use_defaultESO_EENS0_5tupleIJSF_S6_EEENSQ_IJSG_SG_EEES6_PlJS6_EEE10hipError_tPvRmT3_T4_T5_T6_T7_T9_mT8_P12ihipStream_tbDpT10_ENKUlT_T0_E_clISt17integral_constantIbLb1EES1D_EEDaS18_S19_EUlS18_E_NS1_11comp_targetILNS1_3genE2ELNS1_11target_archE906ELNS1_3gpuE6ELNS1_3repE0EEENS1_30default_config_static_selectorELNS0_4arch9wavefront6targetE0EEEvT1_
	.p2align	8
	.type	_ZN7rocprim17ROCPRIM_400000_NS6detail17trampoline_kernelINS0_14default_configENS1_25partition_config_selectorILNS1_17partition_subalgoE5EiNS0_10empty_typeEbEEZZNS1_14partition_implILS5_5ELb0ES3_mN6thrust23THRUST_200600_302600_NS6detail15normal_iteratorINSA_10device_ptrIiEEEEPS6_NSA_18transform_iteratorINSB_9not_fun_tI7is_trueIiEEENSC_INSD_IbEEEENSA_11use_defaultESO_EENS0_5tupleIJSF_S6_EEENSQ_IJSG_SG_EEES6_PlJS6_EEE10hipError_tPvRmT3_T4_T5_T6_T7_T9_mT8_P12ihipStream_tbDpT10_ENKUlT_T0_E_clISt17integral_constantIbLb1EES1D_EEDaS18_S19_EUlS18_E_NS1_11comp_targetILNS1_3genE2ELNS1_11target_archE906ELNS1_3gpuE6ELNS1_3repE0EEENS1_30default_config_static_selectorELNS0_4arch9wavefront6targetE0EEEvT1_,@function
_ZN7rocprim17ROCPRIM_400000_NS6detail17trampoline_kernelINS0_14default_configENS1_25partition_config_selectorILNS1_17partition_subalgoE5EiNS0_10empty_typeEbEEZZNS1_14partition_implILS5_5ELb0ES3_mN6thrust23THRUST_200600_302600_NS6detail15normal_iteratorINSA_10device_ptrIiEEEEPS6_NSA_18transform_iteratorINSB_9not_fun_tI7is_trueIiEEENSC_INSD_IbEEEENSA_11use_defaultESO_EENS0_5tupleIJSF_S6_EEENSQ_IJSG_SG_EEES6_PlJS6_EEE10hipError_tPvRmT3_T4_T5_T6_T7_T9_mT8_P12ihipStream_tbDpT10_ENKUlT_T0_E_clISt17integral_constantIbLb1EES1D_EEDaS18_S19_EUlS18_E_NS1_11comp_targetILNS1_3genE2ELNS1_11target_archE906ELNS1_3gpuE6ELNS1_3repE0EEENS1_30default_config_static_selectorELNS0_4arch9wavefront6targetE0EEEvT1_: ; @_ZN7rocprim17ROCPRIM_400000_NS6detail17trampoline_kernelINS0_14default_configENS1_25partition_config_selectorILNS1_17partition_subalgoE5EiNS0_10empty_typeEbEEZZNS1_14partition_implILS5_5ELb0ES3_mN6thrust23THRUST_200600_302600_NS6detail15normal_iteratorINSA_10device_ptrIiEEEEPS6_NSA_18transform_iteratorINSB_9not_fun_tI7is_trueIiEEENSC_INSD_IbEEEENSA_11use_defaultESO_EENS0_5tupleIJSF_S6_EEENSQ_IJSG_SG_EEES6_PlJS6_EEE10hipError_tPvRmT3_T4_T5_T6_T7_T9_mT8_P12ihipStream_tbDpT10_ENKUlT_T0_E_clISt17integral_constantIbLb1EES1D_EEDaS18_S19_EUlS18_E_NS1_11comp_targetILNS1_3genE2ELNS1_11target_archE906ELNS1_3gpuE6ELNS1_3repE0EEENS1_30default_config_static_selectorELNS0_4arch9wavefront6targetE0EEEvT1_
; %bb.0:
	.section	.rodata,"a",@progbits
	.p2align	6, 0x0
	.amdhsa_kernel _ZN7rocprim17ROCPRIM_400000_NS6detail17trampoline_kernelINS0_14default_configENS1_25partition_config_selectorILNS1_17partition_subalgoE5EiNS0_10empty_typeEbEEZZNS1_14partition_implILS5_5ELb0ES3_mN6thrust23THRUST_200600_302600_NS6detail15normal_iteratorINSA_10device_ptrIiEEEEPS6_NSA_18transform_iteratorINSB_9not_fun_tI7is_trueIiEEENSC_INSD_IbEEEENSA_11use_defaultESO_EENS0_5tupleIJSF_S6_EEENSQ_IJSG_SG_EEES6_PlJS6_EEE10hipError_tPvRmT3_T4_T5_T6_T7_T9_mT8_P12ihipStream_tbDpT10_ENKUlT_T0_E_clISt17integral_constantIbLb1EES1D_EEDaS18_S19_EUlS18_E_NS1_11comp_targetILNS1_3genE2ELNS1_11target_archE906ELNS1_3gpuE6ELNS1_3repE0EEENS1_30default_config_static_selectorELNS0_4arch9wavefront6targetE0EEEvT1_
		.amdhsa_group_segment_fixed_size 0
		.amdhsa_private_segment_fixed_size 0
		.amdhsa_kernarg_size 136
		.amdhsa_user_sgpr_count 2
		.amdhsa_user_sgpr_dispatch_ptr 0
		.amdhsa_user_sgpr_queue_ptr 0
		.amdhsa_user_sgpr_kernarg_segment_ptr 1
		.amdhsa_user_sgpr_dispatch_id 0
		.amdhsa_user_sgpr_private_segment_size 0
		.amdhsa_wavefront_size32 1
		.amdhsa_uses_dynamic_stack 0
		.amdhsa_enable_private_segment 0
		.amdhsa_system_sgpr_workgroup_id_x 1
		.amdhsa_system_sgpr_workgroup_id_y 0
		.amdhsa_system_sgpr_workgroup_id_z 0
		.amdhsa_system_sgpr_workgroup_info 0
		.amdhsa_system_vgpr_workitem_id 0
		.amdhsa_next_free_vgpr 1
		.amdhsa_next_free_sgpr 1
		.amdhsa_reserve_vcc 0
		.amdhsa_float_round_mode_32 0
		.amdhsa_float_round_mode_16_64 0
		.amdhsa_float_denorm_mode_32 3
		.amdhsa_float_denorm_mode_16_64 3
		.amdhsa_fp16_overflow 0
		.amdhsa_workgroup_processor_mode 1
		.amdhsa_memory_ordered 1
		.amdhsa_forward_progress 1
		.amdhsa_inst_pref_size 0
		.amdhsa_round_robin_scheduling 0
		.amdhsa_exception_fp_ieee_invalid_op 0
		.amdhsa_exception_fp_denorm_src 0
		.amdhsa_exception_fp_ieee_div_zero 0
		.amdhsa_exception_fp_ieee_overflow 0
		.amdhsa_exception_fp_ieee_underflow 0
		.amdhsa_exception_fp_ieee_inexact 0
		.amdhsa_exception_int_div_zero 0
	.end_amdhsa_kernel
	.section	.text._ZN7rocprim17ROCPRIM_400000_NS6detail17trampoline_kernelINS0_14default_configENS1_25partition_config_selectorILNS1_17partition_subalgoE5EiNS0_10empty_typeEbEEZZNS1_14partition_implILS5_5ELb0ES3_mN6thrust23THRUST_200600_302600_NS6detail15normal_iteratorINSA_10device_ptrIiEEEEPS6_NSA_18transform_iteratorINSB_9not_fun_tI7is_trueIiEEENSC_INSD_IbEEEENSA_11use_defaultESO_EENS0_5tupleIJSF_S6_EEENSQ_IJSG_SG_EEES6_PlJS6_EEE10hipError_tPvRmT3_T4_T5_T6_T7_T9_mT8_P12ihipStream_tbDpT10_ENKUlT_T0_E_clISt17integral_constantIbLb1EES1D_EEDaS18_S19_EUlS18_E_NS1_11comp_targetILNS1_3genE2ELNS1_11target_archE906ELNS1_3gpuE6ELNS1_3repE0EEENS1_30default_config_static_selectorELNS0_4arch9wavefront6targetE0EEEvT1_,"axG",@progbits,_ZN7rocprim17ROCPRIM_400000_NS6detail17trampoline_kernelINS0_14default_configENS1_25partition_config_selectorILNS1_17partition_subalgoE5EiNS0_10empty_typeEbEEZZNS1_14partition_implILS5_5ELb0ES3_mN6thrust23THRUST_200600_302600_NS6detail15normal_iteratorINSA_10device_ptrIiEEEEPS6_NSA_18transform_iteratorINSB_9not_fun_tI7is_trueIiEEENSC_INSD_IbEEEENSA_11use_defaultESO_EENS0_5tupleIJSF_S6_EEENSQ_IJSG_SG_EEES6_PlJS6_EEE10hipError_tPvRmT3_T4_T5_T6_T7_T9_mT8_P12ihipStream_tbDpT10_ENKUlT_T0_E_clISt17integral_constantIbLb1EES1D_EEDaS18_S19_EUlS18_E_NS1_11comp_targetILNS1_3genE2ELNS1_11target_archE906ELNS1_3gpuE6ELNS1_3repE0EEENS1_30default_config_static_selectorELNS0_4arch9wavefront6targetE0EEEvT1_,comdat
.Lfunc_end2537:
	.size	_ZN7rocprim17ROCPRIM_400000_NS6detail17trampoline_kernelINS0_14default_configENS1_25partition_config_selectorILNS1_17partition_subalgoE5EiNS0_10empty_typeEbEEZZNS1_14partition_implILS5_5ELb0ES3_mN6thrust23THRUST_200600_302600_NS6detail15normal_iteratorINSA_10device_ptrIiEEEEPS6_NSA_18transform_iteratorINSB_9not_fun_tI7is_trueIiEEENSC_INSD_IbEEEENSA_11use_defaultESO_EENS0_5tupleIJSF_S6_EEENSQ_IJSG_SG_EEES6_PlJS6_EEE10hipError_tPvRmT3_T4_T5_T6_T7_T9_mT8_P12ihipStream_tbDpT10_ENKUlT_T0_E_clISt17integral_constantIbLb1EES1D_EEDaS18_S19_EUlS18_E_NS1_11comp_targetILNS1_3genE2ELNS1_11target_archE906ELNS1_3gpuE6ELNS1_3repE0EEENS1_30default_config_static_selectorELNS0_4arch9wavefront6targetE0EEEvT1_, .Lfunc_end2537-_ZN7rocprim17ROCPRIM_400000_NS6detail17trampoline_kernelINS0_14default_configENS1_25partition_config_selectorILNS1_17partition_subalgoE5EiNS0_10empty_typeEbEEZZNS1_14partition_implILS5_5ELb0ES3_mN6thrust23THRUST_200600_302600_NS6detail15normal_iteratorINSA_10device_ptrIiEEEEPS6_NSA_18transform_iteratorINSB_9not_fun_tI7is_trueIiEEENSC_INSD_IbEEEENSA_11use_defaultESO_EENS0_5tupleIJSF_S6_EEENSQ_IJSG_SG_EEES6_PlJS6_EEE10hipError_tPvRmT3_T4_T5_T6_T7_T9_mT8_P12ihipStream_tbDpT10_ENKUlT_T0_E_clISt17integral_constantIbLb1EES1D_EEDaS18_S19_EUlS18_E_NS1_11comp_targetILNS1_3genE2ELNS1_11target_archE906ELNS1_3gpuE6ELNS1_3repE0EEENS1_30default_config_static_selectorELNS0_4arch9wavefront6targetE0EEEvT1_
                                        ; -- End function
	.set _ZN7rocprim17ROCPRIM_400000_NS6detail17trampoline_kernelINS0_14default_configENS1_25partition_config_selectorILNS1_17partition_subalgoE5EiNS0_10empty_typeEbEEZZNS1_14partition_implILS5_5ELb0ES3_mN6thrust23THRUST_200600_302600_NS6detail15normal_iteratorINSA_10device_ptrIiEEEEPS6_NSA_18transform_iteratorINSB_9not_fun_tI7is_trueIiEEENSC_INSD_IbEEEENSA_11use_defaultESO_EENS0_5tupleIJSF_S6_EEENSQ_IJSG_SG_EEES6_PlJS6_EEE10hipError_tPvRmT3_T4_T5_T6_T7_T9_mT8_P12ihipStream_tbDpT10_ENKUlT_T0_E_clISt17integral_constantIbLb1EES1D_EEDaS18_S19_EUlS18_E_NS1_11comp_targetILNS1_3genE2ELNS1_11target_archE906ELNS1_3gpuE6ELNS1_3repE0EEENS1_30default_config_static_selectorELNS0_4arch9wavefront6targetE0EEEvT1_.num_vgpr, 0
	.set _ZN7rocprim17ROCPRIM_400000_NS6detail17trampoline_kernelINS0_14default_configENS1_25partition_config_selectorILNS1_17partition_subalgoE5EiNS0_10empty_typeEbEEZZNS1_14partition_implILS5_5ELb0ES3_mN6thrust23THRUST_200600_302600_NS6detail15normal_iteratorINSA_10device_ptrIiEEEEPS6_NSA_18transform_iteratorINSB_9not_fun_tI7is_trueIiEEENSC_INSD_IbEEEENSA_11use_defaultESO_EENS0_5tupleIJSF_S6_EEENSQ_IJSG_SG_EEES6_PlJS6_EEE10hipError_tPvRmT3_T4_T5_T6_T7_T9_mT8_P12ihipStream_tbDpT10_ENKUlT_T0_E_clISt17integral_constantIbLb1EES1D_EEDaS18_S19_EUlS18_E_NS1_11comp_targetILNS1_3genE2ELNS1_11target_archE906ELNS1_3gpuE6ELNS1_3repE0EEENS1_30default_config_static_selectorELNS0_4arch9wavefront6targetE0EEEvT1_.num_agpr, 0
	.set _ZN7rocprim17ROCPRIM_400000_NS6detail17trampoline_kernelINS0_14default_configENS1_25partition_config_selectorILNS1_17partition_subalgoE5EiNS0_10empty_typeEbEEZZNS1_14partition_implILS5_5ELb0ES3_mN6thrust23THRUST_200600_302600_NS6detail15normal_iteratorINSA_10device_ptrIiEEEEPS6_NSA_18transform_iteratorINSB_9not_fun_tI7is_trueIiEEENSC_INSD_IbEEEENSA_11use_defaultESO_EENS0_5tupleIJSF_S6_EEENSQ_IJSG_SG_EEES6_PlJS6_EEE10hipError_tPvRmT3_T4_T5_T6_T7_T9_mT8_P12ihipStream_tbDpT10_ENKUlT_T0_E_clISt17integral_constantIbLb1EES1D_EEDaS18_S19_EUlS18_E_NS1_11comp_targetILNS1_3genE2ELNS1_11target_archE906ELNS1_3gpuE6ELNS1_3repE0EEENS1_30default_config_static_selectorELNS0_4arch9wavefront6targetE0EEEvT1_.numbered_sgpr, 0
	.set _ZN7rocprim17ROCPRIM_400000_NS6detail17trampoline_kernelINS0_14default_configENS1_25partition_config_selectorILNS1_17partition_subalgoE5EiNS0_10empty_typeEbEEZZNS1_14partition_implILS5_5ELb0ES3_mN6thrust23THRUST_200600_302600_NS6detail15normal_iteratorINSA_10device_ptrIiEEEEPS6_NSA_18transform_iteratorINSB_9not_fun_tI7is_trueIiEEENSC_INSD_IbEEEENSA_11use_defaultESO_EENS0_5tupleIJSF_S6_EEENSQ_IJSG_SG_EEES6_PlJS6_EEE10hipError_tPvRmT3_T4_T5_T6_T7_T9_mT8_P12ihipStream_tbDpT10_ENKUlT_T0_E_clISt17integral_constantIbLb1EES1D_EEDaS18_S19_EUlS18_E_NS1_11comp_targetILNS1_3genE2ELNS1_11target_archE906ELNS1_3gpuE6ELNS1_3repE0EEENS1_30default_config_static_selectorELNS0_4arch9wavefront6targetE0EEEvT1_.num_named_barrier, 0
	.set _ZN7rocprim17ROCPRIM_400000_NS6detail17trampoline_kernelINS0_14default_configENS1_25partition_config_selectorILNS1_17partition_subalgoE5EiNS0_10empty_typeEbEEZZNS1_14partition_implILS5_5ELb0ES3_mN6thrust23THRUST_200600_302600_NS6detail15normal_iteratorINSA_10device_ptrIiEEEEPS6_NSA_18transform_iteratorINSB_9not_fun_tI7is_trueIiEEENSC_INSD_IbEEEENSA_11use_defaultESO_EENS0_5tupleIJSF_S6_EEENSQ_IJSG_SG_EEES6_PlJS6_EEE10hipError_tPvRmT3_T4_T5_T6_T7_T9_mT8_P12ihipStream_tbDpT10_ENKUlT_T0_E_clISt17integral_constantIbLb1EES1D_EEDaS18_S19_EUlS18_E_NS1_11comp_targetILNS1_3genE2ELNS1_11target_archE906ELNS1_3gpuE6ELNS1_3repE0EEENS1_30default_config_static_selectorELNS0_4arch9wavefront6targetE0EEEvT1_.private_seg_size, 0
	.set _ZN7rocprim17ROCPRIM_400000_NS6detail17trampoline_kernelINS0_14default_configENS1_25partition_config_selectorILNS1_17partition_subalgoE5EiNS0_10empty_typeEbEEZZNS1_14partition_implILS5_5ELb0ES3_mN6thrust23THRUST_200600_302600_NS6detail15normal_iteratorINSA_10device_ptrIiEEEEPS6_NSA_18transform_iteratorINSB_9not_fun_tI7is_trueIiEEENSC_INSD_IbEEEENSA_11use_defaultESO_EENS0_5tupleIJSF_S6_EEENSQ_IJSG_SG_EEES6_PlJS6_EEE10hipError_tPvRmT3_T4_T5_T6_T7_T9_mT8_P12ihipStream_tbDpT10_ENKUlT_T0_E_clISt17integral_constantIbLb1EES1D_EEDaS18_S19_EUlS18_E_NS1_11comp_targetILNS1_3genE2ELNS1_11target_archE906ELNS1_3gpuE6ELNS1_3repE0EEENS1_30default_config_static_selectorELNS0_4arch9wavefront6targetE0EEEvT1_.uses_vcc, 0
	.set _ZN7rocprim17ROCPRIM_400000_NS6detail17trampoline_kernelINS0_14default_configENS1_25partition_config_selectorILNS1_17partition_subalgoE5EiNS0_10empty_typeEbEEZZNS1_14partition_implILS5_5ELb0ES3_mN6thrust23THRUST_200600_302600_NS6detail15normal_iteratorINSA_10device_ptrIiEEEEPS6_NSA_18transform_iteratorINSB_9not_fun_tI7is_trueIiEEENSC_INSD_IbEEEENSA_11use_defaultESO_EENS0_5tupleIJSF_S6_EEENSQ_IJSG_SG_EEES6_PlJS6_EEE10hipError_tPvRmT3_T4_T5_T6_T7_T9_mT8_P12ihipStream_tbDpT10_ENKUlT_T0_E_clISt17integral_constantIbLb1EES1D_EEDaS18_S19_EUlS18_E_NS1_11comp_targetILNS1_3genE2ELNS1_11target_archE906ELNS1_3gpuE6ELNS1_3repE0EEENS1_30default_config_static_selectorELNS0_4arch9wavefront6targetE0EEEvT1_.uses_flat_scratch, 0
	.set _ZN7rocprim17ROCPRIM_400000_NS6detail17trampoline_kernelINS0_14default_configENS1_25partition_config_selectorILNS1_17partition_subalgoE5EiNS0_10empty_typeEbEEZZNS1_14partition_implILS5_5ELb0ES3_mN6thrust23THRUST_200600_302600_NS6detail15normal_iteratorINSA_10device_ptrIiEEEEPS6_NSA_18transform_iteratorINSB_9not_fun_tI7is_trueIiEEENSC_INSD_IbEEEENSA_11use_defaultESO_EENS0_5tupleIJSF_S6_EEENSQ_IJSG_SG_EEES6_PlJS6_EEE10hipError_tPvRmT3_T4_T5_T6_T7_T9_mT8_P12ihipStream_tbDpT10_ENKUlT_T0_E_clISt17integral_constantIbLb1EES1D_EEDaS18_S19_EUlS18_E_NS1_11comp_targetILNS1_3genE2ELNS1_11target_archE906ELNS1_3gpuE6ELNS1_3repE0EEENS1_30default_config_static_selectorELNS0_4arch9wavefront6targetE0EEEvT1_.has_dyn_sized_stack, 0
	.set _ZN7rocprim17ROCPRIM_400000_NS6detail17trampoline_kernelINS0_14default_configENS1_25partition_config_selectorILNS1_17partition_subalgoE5EiNS0_10empty_typeEbEEZZNS1_14partition_implILS5_5ELb0ES3_mN6thrust23THRUST_200600_302600_NS6detail15normal_iteratorINSA_10device_ptrIiEEEEPS6_NSA_18transform_iteratorINSB_9not_fun_tI7is_trueIiEEENSC_INSD_IbEEEENSA_11use_defaultESO_EENS0_5tupleIJSF_S6_EEENSQ_IJSG_SG_EEES6_PlJS6_EEE10hipError_tPvRmT3_T4_T5_T6_T7_T9_mT8_P12ihipStream_tbDpT10_ENKUlT_T0_E_clISt17integral_constantIbLb1EES1D_EEDaS18_S19_EUlS18_E_NS1_11comp_targetILNS1_3genE2ELNS1_11target_archE906ELNS1_3gpuE6ELNS1_3repE0EEENS1_30default_config_static_selectorELNS0_4arch9wavefront6targetE0EEEvT1_.has_recursion, 0
	.set _ZN7rocprim17ROCPRIM_400000_NS6detail17trampoline_kernelINS0_14default_configENS1_25partition_config_selectorILNS1_17partition_subalgoE5EiNS0_10empty_typeEbEEZZNS1_14partition_implILS5_5ELb0ES3_mN6thrust23THRUST_200600_302600_NS6detail15normal_iteratorINSA_10device_ptrIiEEEEPS6_NSA_18transform_iteratorINSB_9not_fun_tI7is_trueIiEEENSC_INSD_IbEEEENSA_11use_defaultESO_EENS0_5tupleIJSF_S6_EEENSQ_IJSG_SG_EEES6_PlJS6_EEE10hipError_tPvRmT3_T4_T5_T6_T7_T9_mT8_P12ihipStream_tbDpT10_ENKUlT_T0_E_clISt17integral_constantIbLb1EES1D_EEDaS18_S19_EUlS18_E_NS1_11comp_targetILNS1_3genE2ELNS1_11target_archE906ELNS1_3gpuE6ELNS1_3repE0EEENS1_30default_config_static_selectorELNS0_4arch9wavefront6targetE0EEEvT1_.has_indirect_call, 0
	.section	.AMDGPU.csdata,"",@progbits
; Kernel info:
; codeLenInByte = 0
; TotalNumSgprs: 0
; NumVgprs: 0
; ScratchSize: 0
; MemoryBound: 0
; FloatMode: 240
; IeeeMode: 1
; LDSByteSize: 0 bytes/workgroup (compile time only)
; SGPRBlocks: 0
; VGPRBlocks: 0
; NumSGPRsForWavesPerEU: 1
; NumVGPRsForWavesPerEU: 1
; Occupancy: 16
; WaveLimiterHint : 0
; COMPUTE_PGM_RSRC2:SCRATCH_EN: 0
; COMPUTE_PGM_RSRC2:USER_SGPR: 2
; COMPUTE_PGM_RSRC2:TRAP_HANDLER: 0
; COMPUTE_PGM_RSRC2:TGID_X_EN: 1
; COMPUTE_PGM_RSRC2:TGID_Y_EN: 0
; COMPUTE_PGM_RSRC2:TGID_Z_EN: 0
; COMPUTE_PGM_RSRC2:TIDIG_COMP_CNT: 0
	.section	.text._ZN7rocprim17ROCPRIM_400000_NS6detail17trampoline_kernelINS0_14default_configENS1_25partition_config_selectorILNS1_17partition_subalgoE5EiNS0_10empty_typeEbEEZZNS1_14partition_implILS5_5ELb0ES3_mN6thrust23THRUST_200600_302600_NS6detail15normal_iteratorINSA_10device_ptrIiEEEEPS6_NSA_18transform_iteratorINSB_9not_fun_tI7is_trueIiEEENSC_INSD_IbEEEENSA_11use_defaultESO_EENS0_5tupleIJSF_S6_EEENSQ_IJSG_SG_EEES6_PlJS6_EEE10hipError_tPvRmT3_T4_T5_T6_T7_T9_mT8_P12ihipStream_tbDpT10_ENKUlT_T0_E_clISt17integral_constantIbLb1EES1D_EEDaS18_S19_EUlS18_E_NS1_11comp_targetILNS1_3genE10ELNS1_11target_archE1200ELNS1_3gpuE4ELNS1_3repE0EEENS1_30default_config_static_selectorELNS0_4arch9wavefront6targetE0EEEvT1_,"axG",@progbits,_ZN7rocprim17ROCPRIM_400000_NS6detail17trampoline_kernelINS0_14default_configENS1_25partition_config_selectorILNS1_17partition_subalgoE5EiNS0_10empty_typeEbEEZZNS1_14partition_implILS5_5ELb0ES3_mN6thrust23THRUST_200600_302600_NS6detail15normal_iteratorINSA_10device_ptrIiEEEEPS6_NSA_18transform_iteratorINSB_9not_fun_tI7is_trueIiEEENSC_INSD_IbEEEENSA_11use_defaultESO_EENS0_5tupleIJSF_S6_EEENSQ_IJSG_SG_EEES6_PlJS6_EEE10hipError_tPvRmT3_T4_T5_T6_T7_T9_mT8_P12ihipStream_tbDpT10_ENKUlT_T0_E_clISt17integral_constantIbLb1EES1D_EEDaS18_S19_EUlS18_E_NS1_11comp_targetILNS1_3genE10ELNS1_11target_archE1200ELNS1_3gpuE4ELNS1_3repE0EEENS1_30default_config_static_selectorELNS0_4arch9wavefront6targetE0EEEvT1_,comdat
	.protected	_ZN7rocprim17ROCPRIM_400000_NS6detail17trampoline_kernelINS0_14default_configENS1_25partition_config_selectorILNS1_17partition_subalgoE5EiNS0_10empty_typeEbEEZZNS1_14partition_implILS5_5ELb0ES3_mN6thrust23THRUST_200600_302600_NS6detail15normal_iteratorINSA_10device_ptrIiEEEEPS6_NSA_18transform_iteratorINSB_9not_fun_tI7is_trueIiEEENSC_INSD_IbEEEENSA_11use_defaultESO_EENS0_5tupleIJSF_S6_EEENSQ_IJSG_SG_EEES6_PlJS6_EEE10hipError_tPvRmT3_T4_T5_T6_T7_T9_mT8_P12ihipStream_tbDpT10_ENKUlT_T0_E_clISt17integral_constantIbLb1EES1D_EEDaS18_S19_EUlS18_E_NS1_11comp_targetILNS1_3genE10ELNS1_11target_archE1200ELNS1_3gpuE4ELNS1_3repE0EEENS1_30default_config_static_selectorELNS0_4arch9wavefront6targetE0EEEvT1_ ; -- Begin function _ZN7rocprim17ROCPRIM_400000_NS6detail17trampoline_kernelINS0_14default_configENS1_25partition_config_selectorILNS1_17partition_subalgoE5EiNS0_10empty_typeEbEEZZNS1_14partition_implILS5_5ELb0ES3_mN6thrust23THRUST_200600_302600_NS6detail15normal_iteratorINSA_10device_ptrIiEEEEPS6_NSA_18transform_iteratorINSB_9not_fun_tI7is_trueIiEEENSC_INSD_IbEEEENSA_11use_defaultESO_EENS0_5tupleIJSF_S6_EEENSQ_IJSG_SG_EEES6_PlJS6_EEE10hipError_tPvRmT3_T4_T5_T6_T7_T9_mT8_P12ihipStream_tbDpT10_ENKUlT_T0_E_clISt17integral_constantIbLb1EES1D_EEDaS18_S19_EUlS18_E_NS1_11comp_targetILNS1_3genE10ELNS1_11target_archE1200ELNS1_3gpuE4ELNS1_3repE0EEENS1_30default_config_static_selectorELNS0_4arch9wavefront6targetE0EEEvT1_
	.globl	_ZN7rocprim17ROCPRIM_400000_NS6detail17trampoline_kernelINS0_14default_configENS1_25partition_config_selectorILNS1_17partition_subalgoE5EiNS0_10empty_typeEbEEZZNS1_14partition_implILS5_5ELb0ES3_mN6thrust23THRUST_200600_302600_NS6detail15normal_iteratorINSA_10device_ptrIiEEEEPS6_NSA_18transform_iteratorINSB_9not_fun_tI7is_trueIiEEENSC_INSD_IbEEEENSA_11use_defaultESO_EENS0_5tupleIJSF_S6_EEENSQ_IJSG_SG_EEES6_PlJS6_EEE10hipError_tPvRmT3_T4_T5_T6_T7_T9_mT8_P12ihipStream_tbDpT10_ENKUlT_T0_E_clISt17integral_constantIbLb1EES1D_EEDaS18_S19_EUlS18_E_NS1_11comp_targetILNS1_3genE10ELNS1_11target_archE1200ELNS1_3gpuE4ELNS1_3repE0EEENS1_30default_config_static_selectorELNS0_4arch9wavefront6targetE0EEEvT1_
	.p2align	8
	.type	_ZN7rocprim17ROCPRIM_400000_NS6detail17trampoline_kernelINS0_14default_configENS1_25partition_config_selectorILNS1_17partition_subalgoE5EiNS0_10empty_typeEbEEZZNS1_14partition_implILS5_5ELb0ES3_mN6thrust23THRUST_200600_302600_NS6detail15normal_iteratorINSA_10device_ptrIiEEEEPS6_NSA_18transform_iteratorINSB_9not_fun_tI7is_trueIiEEENSC_INSD_IbEEEENSA_11use_defaultESO_EENS0_5tupleIJSF_S6_EEENSQ_IJSG_SG_EEES6_PlJS6_EEE10hipError_tPvRmT3_T4_T5_T6_T7_T9_mT8_P12ihipStream_tbDpT10_ENKUlT_T0_E_clISt17integral_constantIbLb1EES1D_EEDaS18_S19_EUlS18_E_NS1_11comp_targetILNS1_3genE10ELNS1_11target_archE1200ELNS1_3gpuE4ELNS1_3repE0EEENS1_30default_config_static_selectorELNS0_4arch9wavefront6targetE0EEEvT1_,@function
_ZN7rocprim17ROCPRIM_400000_NS6detail17trampoline_kernelINS0_14default_configENS1_25partition_config_selectorILNS1_17partition_subalgoE5EiNS0_10empty_typeEbEEZZNS1_14partition_implILS5_5ELb0ES3_mN6thrust23THRUST_200600_302600_NS6detail15normal_iteratorINSA_10device_ptrIiEEEEPS6_NSA_18transform_iteratorINSB_9not_fun_tI7is_trueIiEEENSC_INSD_IbEEEENSA_11use_defaultESO_EENS0_5tupleIJSF_S6_EEENSQ_IJSG_SG_EEES6_PlJS6_EEE10hipError_tPvRmT3_T4_T5_T6_T7_T9_mT8_P12ihipStream_tbDpT10_ENKUlT_T0_E_clISt17integral_constantIbLb1EES1D_EEDaS18_S19_EUlS18_E_NS1_11comp_targetILNS1_3genE10ELNS1_11target_archE1200ELNS1_3gpuE4ELNS1_3repE0EEENS1_30default_config_static_selectorELNS0_4arch9wavefront6targetE0EEEvT1_: ; @_ZN7rocprim17ROCPRIM_400000_NS6detail17trampoline_kernelINS0_14default_configENS1_25partition_config_selectorILNS1_17partition_subalgoE5EiNS0_10empty_typeEbEEZZNS1_14partition_implILS5_5ELb0ES3_mN6thrust23THRUST_200600_302600_NS6detail15normal_iteratorINSA_10device_ptrIiEEEEPS6_NSA_18transform_iteratorINSB_9not_fun_tI7is_trueIiEEENSC_INSD_IbEEEENSA_11use_defaultESO_EENS0_5tupleIJSF_S6_EEENSQ_IJSG_SG_EEES6_PlJS6_EEE10hipError_tPvRmT3_T4_T5_T6_T7_T9_mT8_P12ihipStream_tbDpT10_ENKUlT_T0_E_clISt17integral_constantIbLb1EES1D_EEDaS18_S19_EUlS18_E_NS1_11comp_targetILNS1_3genE10ELNS1_11target_archE1200ELNS1_3gpuE4ELNS1_3repE0EEENS1_30default_config_static_selectorELNS0_4arch9wavefront6targetE0EEEvT1_
; %bb.0:
	s_endpgm
	.section	.rodata,"a",@progbits
	.p2align	6, 0x0
	.amdhsa_kernel _ZN7rocprim17ROCPRIM_400000_NS6detail17trampoline_kernelINS0_14default_configENS1_25partition_config_selectorILNS1_17partition_subalgoE5EiNS0_10empty_typeEbEEZZNS1_14partition_implILS5_5ELb0ES3_mN6thrust23THRUST_200600_302600_NS6detail15normal_iteratorINSA_10device_ptrIiEEEEPS6_NSA_18transform_iteratorINSB_9not_fun_tI7is_trueIiEEENSC_INSD_IbEEEENSA_11use_defaultESO_EENS0_5tupleIJSF_S6_EEENSQ_IJSG_SG_EEES6_PlJS6_EEE10hipError_tPvRmT3_T4_T5_T6_T7_T9_mT8_P12ihipStream_tbDpT10_ENKUlT_T0_E_clISt17integral_constantIbLb1EES1D_EEDaS18_S19_EUlS18_E_NS1_11comp_targetILNS1_3genE10ELNS1_11target_archE1200ELNS1_3gpuE4ELNS1_3repE0EEENS1_30default_config_static_selectorELNS0_4arch9wavefront6targetE0EEEvT1_
		.amdhsa_group_segment_fixed_size 0
		.amdhsa_private_segment_fixed_size 0
		.amdhsa_kernarg_size 136
		.amdhsa_user_sgpr_count 2
		.amdhsa_user_sgpr_dispatch_ptr 0
		.amdhsa_user_sgpr_queue_ptr 0
		.amdhsa_user_sgpr_kernarg_segment_ptr 1
		.amdhsa_user_sgpr_dispatch_id 0
		.amdhsa_user_sgpr_private_segment_size 0
		.amdhsa_wavefront_size32 1
		.amdhsa_uses_dynamic_stack 0
		.amdhsa_enable_private_segment 0
		.amdhsa_system_sgpr_workgroup_id_x 1
		.amdhsa_system_sgpr_workgroup_id_y 0
		.amdhsa_system_sgpr_workgroup_id_z 0
		.amdhsa_system_sgpr_workgroup_info 0
		.amdhsa_system_vgpr_workitem_id 0
		.amdhsa_next_free_vgpr 1
		.amdhsa_next_free_sgpr 1
		.amdhsa_reserve_vcc 0
		.amdhsa_float_round_mode_32 0
		.amdhsa_float_round_mode_16_64 0
		.amdhsa_float_denorm_mode_32 3
		.amdhsa_float_denorm_mode_16_64 3
		.amdhsa_fp16_overflow 0
		.amdhsa_workgroup_processor_mode 1
		.amdhsa_memory_ordered 1
		.amdhsa_forward_progress 1
		.amdhsa_inst_pref_size 1
		.amdhsa_round_robin_scheduling 0
		.amdhsa_exception_fp_ieee_invalid_op 0
		.amdhsa_exception_fp_denorm_src 0
		.amdhsa_exception_fp_ieee_div_zero 0
		.amdhsa_exception_fp_ieee_overflow 0
		.amdhsa_exception_fp_ieee_underflow 0
		.amdhsa_exception_fp_ieee_inexact 0
		.amdhsa_exception_int_div_zero 0
	.end_amdhsa_kernel
	.section	.text._ZN7rocprim17ROCPRIM_400000_NS6detail17trampoline_kernelINS0_14default_configENS1_25partition_config_selectorILNS1_17partition_subalgoE5EiNS0_10empty_typeEbEEZZNS1_14partition_implILS5_5ELb0ES3_mN6thrust23THRUST_200600_302600_NS6detail15normal_iteratorINSA_10device_ptrIiEEEEPS6_NSA_18transform_iteratorINSB_9not_fun_tI7is_trueIiEEENSC_INSD_IbEEEENSA_11use_defaultESO_EENS0_5tupleIJSF_S6_EEENSQ_IJSG_SG_EEES6_PlJS6_EEE10hipError_tPvRmT3_T4_T5_T6_T7_T9_mT8_P12ihipStream_tbDpT10_ENKUlT_T0_E_clISt17integral_constantIbLb1EES1D_EEDaS18_S19_EUlS18_E_NS1_11comp_targetILNS1_3genE10ELNS1_11target_archE1200ELNS1_3gpuE4ELNS1_3repE0EEENS1_30default_config_static_selectorELNS0_4arch9wavefront6targetE0EEEvT1_,"axG",@progbits,_ZN7rocprim17ROCPRIM_400000_NS6detail17trampoline_kernelINS0_14default_configENS1_25partition_config_selectorILNS1_17partition_subalgoE5EiNS0_10empty_typeEbEEZZNS1_14partition_implILS5_5ELb0ES3_mN6thrust23THRUST_200600_302600_NS6detail15normal_iteratorINSA_10device_ptrIiEEEEPS6_NSA_18transform_iteratorINSB_9not_fun_tI7is_trueIiEEENSC_INSD_IbEEEENSA_11use_defaultESO_EENS0_5tupleIJSF_S6_EEENSQ_IJSG_SG_EEES6_PlJS6_EEE10hipError_tPvRmT3_T4_T5_T6_T7_T9_mT8_P12ihipStream_tbDpT10_ENKUlT_T0_E_clISt17integral_constantIbLb1EES1D_EEDaS18_S19_EUlS18_E_NS1_11comp_targetILNS1_3genE10ELNS1_11target_archE1200ELNS1_3gpuE4ELNS1_3repE0EEENS1_30default_config_static_selectorELNS0_4arch9wavefront6targetE0EEEvT1_,comdat
.Lfunc_end2538:
	.size	_ZN7rocprim17ROCPRIM_400000_NS6detail17trampoline_kernelINS0_14default_configENS1_25partition_config_selectorILNS1_17partition_subalgoE5EiNS0_10empty_typeEbEEZZNS1_14partition_implILS5_5ELb0ES3_mN6thrust23THRUST_200600_302600_NS6detail15normal_iteratorINSA_10device_ptrIiEEEEPS6_NSA_18transform_iteratorINSB_9not_fun_tI7is_trueIiEEENSC_INSD_IbEEEENSA_11use_defaultESO_EENS0_5tupleIJSF_S6_EEENSQ_IJSG_SG_EEES6_PlJS6_EEE10hipError_tPvRmT3_T4_T5_T6_T7_T9_mT8_P12ihipStream_tbDpT10_ENKUlT_T0_E_clISt17integral_constantIbLb1EES1D_EEDaS18_S19_EUlS18_E_NS1_11comp_targetILNS1_3genE10ELNS1_11target_archE1200ELNS1_3gpuE4ELNS1_3repE0EEENS1_30default_config_static_selectorELNS0_4arch9wavefront6targetE0EEEvT1_, .Lfunc_end2538-_ZN7rocprim17ROCPRIM_400000_NS6detail17trampoline_kernelINS0_14default_configENS1_25partition_config_selectorILNS1_17partition_subalgoE5EiNS0_10empty_typeEbEEZZNS1_14partition_implILS5_5ELb0ES3_mN6thrust23THRUST_200600_302600_NS6detail15normal_iteratorINSA_10device_ptrIiEEEEPS6_NSA_18transform_iteratorINSB_9not_fun_tI7is_trueIiEEENSC_INSD_IbEEEENSA_11use_defaultESO_EENS0_5tupleIJSF_S6_EEENSQ_IJSG_SG_EEES6_PlJS6_EEE10hipError_tPvRmT3_T4_T5_T6_T7_T9_mT8_P12ihipStream_tbDpT10_ENKUlT_T0_E_clISt17integral_constantIbLb1EES1D_EEDaS18_S19_EUlS18_E_NS1_11comp_targetILNS1_3genE10ELNS1_11target_archE1200ELNS1_3gpuE4ELNS1_3repE0EEENS1_30default_config_static_selectorELNS0_4arch9wavefront6targetE0EEEvT1_
                                        ; -- End function
	.set _ZN7rocprim17ROCPRIM_400000_NS6detail17trampoline_kernelINS0_14default_configENS1_25partition_config_selectorILNS1_17partition_subalgoE5EiNS0_10empty_typeEbEEZZNS1_14partition_implILS5_5ELb0ES3_mN6thrust23THRUST_200600_302600_NS6detail15normal_iteratorINSA_10device_ptrIiEEEEPS6_NSA_18transform_iteratorINSB_9not_fun_tI7is_trueIiEEENSC_INSD_IbEEEENSA_11use_defaultESO_EENS0_5tupleIJSF_S6_EEENSQ_IJSG_SG_EEES6_PlJS6_EEE10hipError_tPvRmT3_T4_T5_T6_T7_T9_mT8_P12ihipStream_tbDpT10_ENKUlT_T0_E_clISt17integral_constantIbLb1EES1D_EEDaS18_S19_EUlS18_E_NS1_11comp_targetILNS1_3genE10ELNS1_11target_archE1200ELNS1_3gpuE4ELNS1_3repE0EEENS1_30default_config_static_selectorELNS0_4arch9wavefront6targetE0EEEvT1_.num_vgpr, 0
	.set _ZN7rocprim17ROCPRIM_400000_NS6detail17trampoline_kernelINS0_14default_configENS1_25partition_config_selectorILNS1_17partition_subalgoE5EiNS0_10empty_typeEbEEZZNS1_14partition_implILS5_5ELb0ES3_mN6thrust23THRUST_200600_302600_NS6detail15normal_iteratorINSA_10device_ptrIiEEEEPS6_NSA_18transform_iteratorINSB_9not_fun_tI7is_trueIiEEENSC_INSD_IbEEEENSA_11use_defaultESO_EENS0_5tupleIJSF_S6_EEENSQ_IJSG_SG_EEES6_PlJS6_EEE10hipError_tPvRmT3_T4_T5_T6_T7_T9_mT8_P12ihipStream_tbDpT10_ENKUlT_T0_E_clISt17integral_constantIbLb1EES1D_EEDaS18_S19_EUlS18_E_NS1_11comp_targetILNS1_3genE10ELNS1_11target_archE1200ELNS1_3gpuE4ELNS1_3repE0EEENS1_30default_config_static_selectorELNS0_4arch9wavefront6targetE0EEEvT1_.num_agpr, 0
	.set _ZN7rocprim17ROCPRIM_400000_NS6detail17trampoline_kernelINS0_14default_configENS1_25partition_config_selectorILNS1_17partition_subalgoE5EiNS0_10empty_typeEbEEZZNS1_14partition_implILS5_5ELb0ES3_mN6thrust23THRUST_200600_302600_NS6detail15normal_iteratorINSA_10device_ptrIiEEEEPS6_NSA_18transform_iteratorINSB_9not_fun_tI7is_trueIiEEENSC_INSD_IbEEEENSA_11use_defaultESO_EENS0_5tupleIJSF_S6_EEENSQ_IJSG_SG_EEES6_PlJS6_EEE10hipError_tPvRmT3_T4_T5_T6_T7_T9_mT8_P12ihipStream_tbDpT10_ENKUlT_T0_E_clISt17integral_constantIbLb1EES1D_EEDaS18_S19_EUlS18_E_NS1_11comp_targetILNS1_3genE10ELNS1_11target_archE1200ELNS1_3gpuE4ELNS1_3repE0EEENS1_30default_config_static_selectorELNS0_4arch9wavefront6targetE0EEEvT1_.numbered_sgpr, 0
	.set _ZN7rocprim17ROCPRIM_400000_NS6detail17trampoline_kernelINS0_14default_configENS1_25partition_config_selectorILNS1_17partition_subalgoE5EiNS0_10empty_typeEbEEZZNS1_14partition_implILS5_5ELb0ES3_mN6thrust23THRUST_200600_302600_NS6detail15normal_iteratorINSA_10device_ptrIiEEEEPS6_NSA_18transform_iteratorINSB_9not_fun_tI7is_trueIiEEENSC_INSD_IbEEEENSA_11use_defaultESO_EENS0_5tupleIJSF_S6_EEENSQ_IJSG_SG_EEES6_PlJS6_EEE10hipError_tPvRmT3_T4_T5_T6_T7_T9_mT8_P12ihipStream_tbDpT10_ENKUlT_T0_E_clISt17integral_constantIbLb1EES1D_EEDaS18_S19_EUlS18_E_NS1_11comp_targetILNS1_3genE10ELNS1_11target_archE1200ELNS1_3gpuE4ELNS1_3repE0EEENS1_30default_config_static_selectorELNS0_4arch9wavefront6targetE0EEEvT1_.num_named_barrier, 0
	.set _ZN7rocprim17ROCPRIM_400000_NS6detail17trampoline_kernelINS0_14default_configENS1_25partition_config_selectorILNS1_17partition_subalgoE5EiNS0_10empty_typeEbEEZZNS1_14partition_implILS5_5ELb0ES3_mN6thrust23THRUST_200600_302600_NS6detail15normal_iteratorINSA_10device_ptrIiEEEEPS6_NSA_18transform_iteratorINSB_9not_fun_tI7is_trueIiEEENSC_INSD_IbEEEENSA_11use_defaultESO_EENS0_5tupleIJSF_S6_EEENSQ_IJSG_SG_EEES6_PlJS6_EEE10hipError_tPvRmT3_T4_T5_T6_T7_T9_mT8_P12ihipStream_tbDpT10_ENKUlT_T0_E_clISt17integral_constantIbLb1EES1D_EEDaS18_S19_EUlS18_E_NS1_11comp_targetILNS1_3genE10ELNS1_11target_archE1200ELNS1_3gpuE4ELNS1_3repE0EEENS1_30default_config_static_selectorELNS0_4arch9wavefront6targetE0EEEvT1_.private_seg_size, 0
	.set _ZN7rocprim17ROCPRIM_400000_NS6detail17trampoline_kernelINS0_14default_configENS1_25partition_config_selectorILNS1_17partition_subalgoE5EiNS0_10empty_typeEbEEZZNS1_14partition_implILS5_5ELb0ES3_mN6thrust23THRUST_200600_302600_NS6detail15normal_iteratorINSA_10device_ptrIiEEEEPS6_NSA_18transform_iteratorINSB_9not_fun_tI7is_trueIiEEENSC_INSD_IbEEEENSA_11use_defaultESO_EENS0_5tupleIJSF_S6_EEENSQ_IJSG_SG_EEES6_PlJS6_EEE10hipError_tPvRmT3_T4_T5_T6_T7_T9_mT8_P12ihipStream_tbDpT10_ENKUlT_T0_E_clISt17integral_constantIbLb1EES1D_EEDaS18_S19_EUlS18_E_NS1_11comp_targetILNS1_3genE10ELNS1_11target_archE1200ELNS1_3gpuE4ELNS1_3repE0EEENS1_30default_config_static_selectorELNS0_4arch9wavefront6targetE0EEEvT1_.uses_vcc, 0
	.set _ZN7rocprim17ROCPRIM_400000_NS6detail17trampoline_kernelINS0_14default_configENS1_25partition_config_selectorILNS1_17partition_subalgoE5EiNS0_10empty_typeEbEEZZNS1_14partition_implILS5_5ELb0ES3_mN6thrust23THRUST_200600_302600_NS6detail15normal_iteratorINSA_10device_ptrIiEEEEPS6_NSA_18transform_iteratorINSB_9not_fun_tI7is_trueIiEEENSC_INSD_IbEEEENSA_11use_defaultESO_EENS0_5tupleIJSF_S6_EEENSQ_IJSG_SG_EEES6_PlJS6_EEE10hipError_tPvRmT3_T4_T5_T6_T7_T9_mT8_P12ihipStream_tbDpT10_ENKUlT_T0_E_clISt17integral_constantIbLb1EES1D_EEDaS18_S19_EUlS18_E_NS1_11comp_targetILNS1_3genE10ELNS1_11target_archE1200ELNS1_3gpuE4ELNS1_3repE0EEENS1_30default_config_static_selectorELNS0_4arch9wavefront6targetE0EEEvT1_.uses_flat_scratch, 0
	.set _ZN7rocprim17ROCPRIM_400000_NS6detail17trampoline_kernelINS0_14default_configENS1_25partition_config_selectorILNS1_17partition_subalgoE5EiNS0_10empty_typeEbEEZZNS1_14partition_implILS5_5ELb0ES3_mN6thrust23THRUST_200600_302600_NS6detail15normal_iteratorINSA_10device_ptrIiEEEEPS6_NSA_18transform_iteratorINSB_9not_fun_tI7is_trueIiEEENSC_INSD_IbEEEENSA_11use_defaultESO_EENS0_5tupleIJSF_S6_EEENSQ_IJSG_SG_EEES6_PlJS6_EEE10hipError_tPvRmT3_T4_T5_T6_T7_T9_mT8_P12ihipStream_tbDpT10_ENKUlT_T0_E_clISt17integral_constantIbLb1EES1D_EEDaS18_S19_EUlS18_E_NS1_11comp_targetILNS1_3genE10ELNS1_11target_archE1200ELNS1_3gpuE4ELNS1_3repE0EEENS1_30default_config_static_selectorELNS0_4arch9wavefront6targetE0EEEvT1_.has_dyn_sized_stack, 0
	.set _ZN7rocprim17ROCPRIM_400000_NS6detail17trampoline_kernelINS0_14default_configENS1_25partition_config_selectorILNS1_17partition_subalgoE5EiNS0_10empty_typeEbEEZZNS1_14partition_implILS5_5ELb0ES3_mN6thrust23THRUST_200600_302600_NS6detail15normal_iteratorINSA_10device_ptrIiEEEEPS6_NSA_18transform_iteratorINSB_9not_fun_tI7is_trueIiEEENSC_INSD_IbEEEENSA_11use_defaultESO_EENS0_5tupleIJSF_S6_EEENSQ_IJSG_SG_EEES6_PlJS6_EEE10hipError_tPvRmT3_T4_T5_T6_T7_T9_mT8_P12ihipStream_tbDpT10_ENKUlT_T0_E_clISt17integral_constantIbLb1EES1D_EEDaS18_S19_EUlS18_E_NS1_11comp_targetILNS1_3genE10ELNS1_11target_archE1200ELNS1_3gpuE4ELNS1_3repE0EEENS1_30default_config_static_selectorELNS0_4arch9wavefront6targetE0EEEvT1_.has_recursion, 0
	.set _ZN7rocprim17ROCPRIM_400000_NS6detail17trampoline_kernelINS0_14default_configENS1_25partition_config_selectorILNS1_17partition_subalgoE5EiNS0_10empty_typeEbEEZZNS1_14partition_implILS5_5ELb0ES3_mN6thrust23THRUST_200600_302600_NS6detail15normal_iteratorINSA_10device_ptrIiEEEEPS6_NSA_18transform_iteratorINSB_9not_fun_tI7is_trueIiEEENSC_INSD_IbEEEENSA_11use_defaultESO_EENS0_5tupleIJSF_S6_EEENSQ_IJSG_SG_EEES6_PlJS6_EEE10hipError_tPvRmT3_T4_T5_T6_T7_T9_mT8_P12ihipStream_tbDpT10_ENKUlT_T0_E_clISt17integral_constantIbLb1EES1D_EEDaS18_S19_EUlS18_E_NS1_11comp_targetILNS1_3genE10ELNS1_11target_archE1200ELNS1_3gpuE4ELNS1_3repE0EEENS1_30default_config_static_selectorELNS0_4arch9wavefront6targetE0EEEvT1_.has_indirect_call, 0
	.section	.AMDGPU.csdata,"",@progbits
; Kernel info:
; codeLenInByte = 4
; TotalNumSgprs: 0
; NumVgprs: 0
; ScratchSize: 0
; MemoryBound: 0
; FloatMode: 240
; IeeeMode: 1
; LDSByteSize: 0 bytes/workgroup (compile time only)
; SGPRBlocks: 0
; VGPRBlocks: 0
; NumSGPRsForWavesPerEU: 1
; NumVGPRsForWavesPerEU: 1
; Occupancy: 16
; WaveLimiterHint : 0
; COMPUTE_PGM_RSRC2:SCRATCH_EN: 0
; COMPUTE_PGM_RSRC2:USER_SGPR: 2
; COMPUTE_PGM_RSRC2:TRAP_HANDLER: 0
; COMPUTE_PGM_RSRC2:TGID_X_EN: 1
; COMPUTE_PGM_RSRC2:TGID_Y_EN: 0
; COMPUTE_PGM_RSRC2:TGID_Z_EN: 0
; COMPUTE_PGM_RSRC2:TIDIG_COMP_CNT: 0
	.section	.text._ZN7rocprim17ROCPRIM_400000_NS6detail17trampoline_kernelINS0_14default_configENS1_25partition_config_selectorILNS1_17partition_subalgoE5EiNS0_10empty_typeEbEEZZNS1_14partition_implILS5_5ELb0ES3_mN6thrust23THRUST_200600_302600_NS6detail15normal_iteratorINSA_10device_ptrIiEEEEPS6_NSA_18transform_iteratorINSB_9not_fun_tI7is_trueIiEEENSC_INSD_IbEEEENSA_11use_defaultESO_EENS0_5tupleIJSF_S6_EEENSQ_IJSG_SG_EEES6_PlJS6_EEE10hipError_tPvRmT3_T4_T5_T6_T7_T9_mT8_P12ihipStream_tbDpT10_ENKUlT_T0_E_clISt17integral_constantIbLb1EES1D_EEDaS18_S19_EUlS18_E_NS1_11comp_targetILNS1_3genE9ELNS1_11target_archE1100ELNS1_3gpuE3ELNS1_3repE0EEENS1_30default_config_static_selectorELNS0_4arch9wavefront6targetE0EEEvT1_,"axG",@progbits,_ZN7rocprim17ROCPRIM_400000_NS6detail17trampoline_kernelINS0_14default_configENS1_25partition_config_selectorILNS1_17partition_subalgoE5EiNS0_10empty_typeEbEEZZNS1_14partition_implILS5_5ELb0ES3_mN6thrust23THRUST_200600_302600_NS6detail15normal_iteratorINSA_10device_ptrIiEEEEPS6_NSA_18transform_iteratorINSB_9not_fun_tI7is_trueIiEEENSC_INSD_IbEEEENSA_11use_defaultESO_EENS0_5tupleIJSF_S6_EEENSQ_IJSG_SG_EEES6_PlJS6_EEE10hipError_tPvRmT3_T4_T5_T6_T7_T9_mT8_P12ihipStream_tbDpT10_ENKUlT_T0_E_clISt17integral_constantIbLb1EES1D_EEDaS18_S19_EUlS18_E_NS1_11comp_targetILNS1_3genE9ELNS1_11target_archE1100ELNS1_3gpuE3ELNS1_3repE0EEENS1_30default_config_static_selectorELNS0_4arch9wavefront6targetE0EEEvT1_,comdat
	.protected	_ZN7rocprim17ROCPRIM_400000_NS6detail17trampoline_kernelINS0_14default_configENS1_25partition_config_selectorILNS1_17partition_subalgoE5EiNS0_10empty_typeEbEEZZNS1_14partition_implILS5_5ELb0ES3_mN6thrust23THRUST_200600_302600_NS6detail15normal_iteratorINSA_10device_ptrIiEEEEPS6_NSA_18transform_iteratorINSB_9not_fun_tI7is_trueIiEEENSC_INSD_IbEEEENSA_11use_defaultESO_EENS0_5tupleIJSF_S6_EEENSQ_IJSG_SG_EEES6_PlJS6_EEE10hipError_tPvRmT3_T4_T5_T6_T7_T9_mT8_P12ihipStream_tbDpT10_ENKUlT_T0_E_clISt17integral_constantIbLb1EES1D_EEDaS18_S19_EUlS18_E_NS1_11comp_targetILNS1_3genE9ELNS1_11target_archE1100ELNS1_3gpuE3ELNS1_3repE0EEENS1_30default_config_static_selectorELNS0_4arch9wavefront6targetE0EEEvT1_ ; -- Begin function _ZN7rocprim17ROCPRIM_400000_NS6detail17trampoline_kernelINS0_14default_configENS1_25partition_config_selectorILNS1_17partition_subalgoE5EiNS0_10empty_typeEbEEZZNS1_14partition_implILS5_5ELb0ES3_mN6thrust23THRUST_200600_302600_NS6detail15normal_iteratorINSA_10device_ptrIiEEEEPS6_NSA_18transform_iteratorINSB_9not_fun_tI7is_trueIiEEENSC_INSD_IbEEEENSA_11use_defaultESO_EENS0_5tupleIJSF_S6_EEENSQ_IJSG_SG_EEES6_PlJS6_EEE10hipError_tPvRmT3_T4_T5_T6_T7_T9_mT8_P12ihipStream_tbDpT10_ENKUlT_T0_E_clISt17integral_constantIbLb1EES1D_EEDaS18_S19_EUlS18_E_NS1_11comp_targetILNS1_3genE9ELNS1_11target_archE1100ELNS1_3gpuE3ELNS1_3repE0EEENS1_30default_config_static_selectorELNS0_4arch9wavefront6targetE0EEEvT1_
	.globl	_ZN7rocprim17ROCPRIM_400000_NS6detail17trampoline_kernelINS0_14default_configENS1_25partition_config_selectorILNS1_17partition_subalgoE5EiNS0_10empty_typeEbEEZZNS1_14partition_implILS5_5ELb0ES3_mN6thrust23THRUST_200600_302600_NS6detail15normal_iteratorINSA_10device_ptrIiEEEEPS6_NSA_18transform_iteratorINSB_9not_fun_tI7is_trueIiEEENSC_INSD_IbEEEENSA_11use_defaultESO_EENS0_5tupleIJSF_S6_EEENSQ_IJSG_SG_EEES6_PlJS6_EEE10hipError_tPvRmT3_T4_T5_T6_T7_T9_mT8_P12ihipStream_tbDpT10_ENKUlT_T0_E_clISt17integral_constantIbLb1EES1D_EEDaS18_S19_EUlS18_E_NS1_11comp_targetILNS1_3genE9ELNS1_11target_archE1100ELNS1_3gpuE3ELNS1_3repE0EEENS1_30default_config_static_selectorELNS0_4arch9wavefront6targetE0EEEvT1_
	.p2align	8
	.type	_ZN7rocprim17ROCPRIM_400000_NS6detail17trampoline_kernelINS0_14default_configENS1_25partition_config_selectorILNS1_17partition_subalgoE5EiNS0_10empty_typeEbEEZZNS1_14partition_implILS5_5ELb0ES3_mN6thrust23THRUST_200600_302600_NS6detail15normal_iteratorINSA_10device_ptrIiEEEEPS6_NSA_18transform_iteratorINSB_9not_fun_tI7is_trueIiEEENSC_INSD_IbEEEENSA_11use_defaultESO_EENS0_5tupleIJSF_S6_EEENSQ_IJSG_SG_EEES6_PlJS6_EEE10hipError_tPvRmT3_T4_T5_T6_T7_T9_mT8_P12ihipStream_tbDpT10_ENKUlT_T0_E_clISt17integral_constantIbLb1EES1D_EEDaS18_S19_EUlS18_E_NS1_11comp_targetILNS1_3genE9ELNS1_11target_archE1100ELNS1_3gpuE3ELNS1_3repE0EEENS1_30default_config_static_selectorELNS0_4arch9wavefront6targetE0EEEvT1_,@function
_ZN7rocprim17ROCPRIM_400000_NS6detail17trampoline_kernelINS0_14default_configENS1_25partition_config_selectorILNS1_17partition_subalgoE5EiNS0_10empty_typeEbEEZZNS1_14partition_implILS5_5ELb0ES3_mN6thrust23THRUST_200600_302600_NS6detail15normal_iteratorINSA_10device_ptrIiEEEEPS6_NSA_18transform_iteratorINSB_9not_fun_tI7is_trueIiEEENSC_INSD_IbEEEENSA_11use_defaultESO_EENS0_5tupleIJSF_S6_EEENSQ_IJSG_SG_EEES6_PlJS6_EEE10hipError_tPvRmT3_T4_T5_T6_T7_T9_mT8_P12ihipStream_tbDpT10_ENKUlT_T0_E_clISt17integral_constantIbLb1EES1D_EEDaS18_S19_EUlS18_E_NS1_11comp_targetILNS1_3genE9ELNS1_11target_archE1100ELNS1_3gpuE3ELNS1_3repE0EEENS1_30default_config_static_selectorELNS0_4arch9wavefront6targetE0EEEvT1_: ; @_ZN7rocprim17ROCPRIM_400000_NS6detail17trampoline_kernelINS0_14default_configENS1_25partition_config_selectorILNS1_17partition_subalgoE5EiNS0_10empty_typeEbEEZZNS1_14partition_implILS5_5ELb0ES3_mN6thrust23THRUST_200600_302600_NS6detail15normal_iteratorINSA_10device_ptrIiEEEEPS6_NSA_18transform_iteratorINSB_9not_fun_tI7is_trueIiEEENSC_INSD_IbEEEENSA_11use_defaultESO_EENS0_5tupleIJSF_S6_EEENSQ_IJSG_SG_EEES6_PlJS6_EEE10hipError_tPvRmT3_T4_T5_T6_T7_T9_mT8_P12ihipStream_tbDpT10_ENKUlT_T0_E_clISt17integral_constantIbLb1EES1D_EEDaS18_S19_EUlS18_E_NS1_11comp_targetILNS1_3genE9ELNS1_11target_archE1100ELNS1_3gpuE3ELNS1_3repE0EEENS1_30default_config_static_selectorELNS0_4arch9wavefront6targetE0EEEvT1_
; %bb.0:
	.section	.rodata,"a",@progbits
	.p2align	6, 0x0
	.amdhsa_kernel _ZN7rocprim17ROCPRIM_400000_NS6detail17trampoline_kernelINS0_14default_configENS1_25partition_config_selectorILNS1_17partition_subalgoE5EiNS0_10empty_typeEbEEZZNS1_14partition_implILS5_5ELb0ES3_mN6thrust23THRUST_200600_302600_NS6detail15normal_iteratorINSA_10device_ptrIiEEEEPS6_NSA_18transform_iteratorINSB_9not_fun_tI7is_trueIiEEENSC_INSD_IbEEEENSA_11use_defaultESO_EENS0_5tupleIJSF_S6_EEENSQ_IJSG_SG_EEES6_PlJS6_EEE10hipError_tPvRmT3_T4_T5_T6_T7_T9_mT8_P12ihipStream_tbDpT10_ENKUlT_T0_E_clISt17integral_constantIbLb1EES1D_EEDaS18_S19_EUlS18_E_NS1_11comp_targetILNS1_3genE9ELNS1_11target_archE1100ELNS1_3gpuE3ELNS1_3repE0EEENS1_30default_config_static_selectorELNS0_4arch9wavefront6targetE0EEEvT1_
		.amdhsa_group_segment_fixed_size 0
		.amdhsa_private_segment_fixed_size 0
		.amdhsa_kernarg_size 136
		.amdhsa_user_sgpr_count 2
		.amdhsa_user_sgpr_dispatch_ptr 0
		.amdhsa_user_sgpr_queue_ptr 0
		.amdhsa_user_sgpr_kernarg_segment_ptr 1
		.amdhsa_user_sgpr_dispatch_id 0
		.amdhsa_user_sgpr_private_segment_size 0
		.amdhsa_wavefront_size32 1
		.amdhsa_uses_dynamic_stack 0
		.amdhsa_enable_private_segment 0
		.amdhsa_system_sgpr_workgroup_id_x 1
		.amdhsa_system_sgpr_workgroup_id_y 0
		.amdhsa_system_sgpr_workgroup_id_z 0
		.amdhsa_system_sgpr_workgroup_info 0
		.amdhsa_system_vgpr_workitem_id 0
		.amdhsa_next_free_vgpr 1
		.amdhsa_next_free_sgpr 1
		.amdhsa_reserve_vcc 0
		.amdhsa_float_round_mode_32 0
		.amdhsa_float_round_mode_16_64 0
		.amdhsa_float_denorm_mode_32 3
		.amdhsa_float_denorm_mode_16_64 3
		.amdhsa_fp16_overflow 0
		.amdhsa_workgroup_processor_mode 1
		.amdhsa_memory_ordered 1
		.amdhsa_forward_progress 1
		.amdhsa_inst_pref_size 0
		.amdhsa_round_robin_scheduling 0
		.amdhsa_exception_fp_ieee_invalid_op 0
		.amdhsa_exception_fp_denorm_src 0
		.amdhsa_exception_fp_ieee_div_zero 0
		.amdhsa_exception_fp_ieee_overflow 0
		.amdhsa_exception_fp_ieee_underflow 0
		.amdhsa_exception_fp_ieee_inexact 0
		.amdhsa_exception_int_div_zero 0
	.end_amdhsa_kernel
	.section	.text._ZN7rocprim17ROCPRIM_400000_NS6detail17trampoline_kernelINS0_14default_configENS1_25partition_config_selectorILNS1_17partition_subalgoE5EiNS0_10empty_typeEbEEZZNS1_14partition_implILS5_5ELb0ES3_mN6thrust23THRUST_200600_302600_NS6detail15normal_iteratorINSA_10device_ptrIiEEEEPS6_NSA_18transform_iteratorINSB_9not_fun_tI7is_trueIiEEENSC_INSD_IbEEEENSA_11use_defaultESO_EENS0_5tupleIJSF_S6_EEENSQ_IJSG_SG_EEES6_PlJS6_EEE10hipError_tPvRmT3_T4_T5_T6_T7_T9_mT8_P12ihipStream_tbDpT10_ENKUlT_T0_E_clISt17integral_constantIbLb1EES1D_EEDaS18_S19_EUlS18_E_NS1_11comp_targetILNS1_3genE9ELNS1_11target_archE1100ELNS1_3gpuE3ELNS1_3repE0EEENS1_30default_config_static_selectorELNS0_4arch9wavefront6targetE0EEEvT1_,"axG",@progbits,_ZN7rocprim17ROCPRIM_400000_NS6detail17trampoline_kernelINS0_14default_configENS1_25partition_config_selectorILNS1_17partition_subalgoE5EiNS0_10empty_typeEbEEZZNS1_14partition_implILS5_5ELb0ES3_mN6thrust23THRUST_200600_302600_NS6detail15normal_iteratorINSA_10device_ptrIiEEEEPS6_NSA_18transform_iteratorINSB_9not_fun_tI7is_trueIiEEENSC_INSD_IbEEEENSA_11use_defaultESO_EENS0_5tupleIJSF_S6_EEENSQ_IJSG_SG_EEES6_PlJS6_EEE10hipError_tPvRmT3_T4_T5_T6_T7_T9_mT8_P12ihipStream_tbDpT10_ENKUlT_T0_E_clISt17integral_constantIbLb1EES1D_EEDaS18_S19_EUlS18_E_NS1_11comp_targetILNS1_3genE9ELNS1_11target_archE1100ELNS1_3gpuE3ELNS1_3repE0EEENS1_30default_config_static_selectorELNS0_4arch9wavefront6targetE0EEEvT1_,comdat
.Lfunc_end2539:
	.size	_ZN7rocprim17ROCPRIM_400000_NS6detail17trampoline_kernelINS0_14default_configENS1_25partition_config_selectorILNS1_17partition_subalgoE5EiNS0_10empty_typeEbEEZZNS1_14partition_implILS5_5ELb0ES3_mN6thrust23THRUST_200600_302600_NS6detail15normal_iteratorINSA_10device_ptrIiEEEEPS6_NSA_18transform_iteratorINSB_9not_fun_tI7is_trueIiEEENSC_INSD_IbEEEENSA_11use_defaultESO_EENS0_5tupleIJSF_S6_EEENSQ_IJSG_SG_EEES6_PlJS6_EEE10hipError_tPvRmT3_T4_T5_T6_T7_T9_mT8_P12ihipStream_tbDpT10_ENKUlT_T0_E_clISt17integral_constantIbLb1EES1D_EEDaS18_S19_EUlS18_E_NS1_11comp_targetILNS1_3genE9ELNS1_11target_archE1100ELNS1_3gpuE3ELNS1_3repE0EEENS1_30default_config_static_selectorELNS0_4arch9wavefront6targetE0EEEvT1_, .Lfunc_end2539-_ZN7rocprim17ROCPRIM_400000_NS6detail17trampoline_kernelINS0_14default_configENS1_25partition_config_selectorILNS1_17partition_subalgoE5EiNS0_10empty_typeEbEEZZNS1_14partition_implILS5_5ELb0ES3_mN6thrust23THRUST_200600_302600_NS6detail15normal_iteratorINSA_10device_ptrIiEEEEPS6_NSA_18transform_iteratorINSB_9not_fun_tI7is_trueIiEEENSC_INSD_IbEEEENSA_11use_defaultESO_EENS0_5tupleIJSF_S6_EEENSQ_IJSG_SG_EEES6_PlJS6_EEE10hipError_tPvRmT3_T4_T5_T6_T7_T9_mT8_P12ihipStream_tbDpT10_ENKUlT_T0_E_clISt17integral_constantIbLb1EES1D_EEDaS18_S19_EUlS18_E_NS1_11comp_targetILNS1_3genE9ELNS1_11target_archE1100ELNS1_3gpuE3ELNS1_3repE0EEENS1_30default_config_static_selectorELNS0_4arch9wavefront6targetE0EEEvT1_
                                        ; -- End function
	.set _ZN7rocprim17ROCPRIM_400000_NS6detail17trampoline_kernelINS0_14default_configENS1_25partition_config_selectorILNS1_17partition_subalgoE5EiNS0_10empty_typeEbEEZZNS1_14partition_implILS5_5ELb0ES3_mN6thrust23THRUST_200600_302600_NS6detail15normal_iteratorINSA_10device_ptrIiEEEEPS6_NSA_18transform_iteratorINSB_9not_fun_tI7is_trueIiEEENSC_INSD_IbEEEENSA_11use_defaultESO_EENS0_5tupleIJSF_S6_EEENSQ_IJSG_SG_EEES6_PlJS6_EEE10hipError_tPvRmT3_T4_T5_T6_T7_T9_mT8_P12ihipStream_tbDpT10_ENKUlT_T0_E_clISt17integral_constantIbLb1EES1D_EEDaS18_S19_EUlS18_E_NS1_11comp_targetILNS1_3genE9ELNS1_11target_archE1100ELNS1_3gpuE3ELNS1_3repE0EEENS1_30default_config_static_selectorELNS0_4arch9wavefront6targetE0EEEvT1_.num_vgpr, 0
	.set _ZN7rocprim17ROCPRIM_400000_NS6detail17trampoline_kernelINS0_14default_configENS1_25partition_config_selectorILNS1_17partition_subalgoE5EiNS0_10empty_typeEbEEZZNS1_14partition_implILS5_5ELb0ES3_mN6thrust23THRUST_200600_302600_NS6detail15normal_iteratorINSA_10device_ptrIiEEEEPS6_NSA_18transform_iteratorINSB_9not_fun_tI7is_trueIiEEENSC_INSD_IbEEEENSA_11use_defaultESO_EENS0_5tupleIJSF_S6_EEENSQ_IJSG_SG_EEES6_PlJS6_EEE10hipError_tPvRmT3_T4_T5_T6_T7_T9_mT8_P12ihipStream_tbDpT10_ENKUlT_T0_E_clISt17integral_constantIbLb1EES1D_EEDaS18_S19_EUlS18_E_NS1_11comp_targetILNS1_3genE9ELNS1_11target_archE1100ELNS1_3gpuE3ELNS1_3repE0EEENS1_30default_config_static_selectorELNS0_4arch9wavefront6targetE0EEEvT1_.num_agpr, 0
	.set _ZN7rocprim17ROCPRIM_400000_NS6detail17trampoline_kernelINS0_14default_configENS1_25partition_config_selectorILNS1_17partition_subalgoE5EiNS0_10empty_typeEbEEZZNS1_14partition_implILS5_5ELb0ES3_mN6thrust23THRUST_200600_302600_NS6detail15normal_iteratorINSA_10device_ptrIiEEEEPS6_NSA_18transform_iteratorINSB_9not_fun_tI7is_trueIiEEENSC_INSD_IbEEEENSA_11use_defaultESO_EENS0_5tupleIJSF_S6_EEENSQ_IJSG_SG_EEES6_PlJS6_EEE10hipError_tPvRmT3_T4_T5_T6_T7_T9_mT8_P12ihipStream_tbDpT10_ENKUlT_T0_E_clISt17integral_constantIbLb1EES1D_EEDaS18_S19_EUlS18_E_NS1_11comp_targetILNS1_3genE9ELNS1_11target_archE1100ELNS1_3gpuE3ELNS1_3repE0EEENS1_30default_config_static_selectorELNS0_4arch9wavefront6targetE0EEEvT1_.numbered_sgpr, 0
	.set _ZN7rocprim17ROCPRIM_400000_NS6detail17trampoline_kernelINS0_14default_configENS1_25partition_config_selectorILNS1_17partition_subalgoE5EiNS0_10empty_typeEbEEZZNS1_14partition_implILS5_5ELb0ES3_mN6thrust23THRUST_200600_302600_NS6detail15normal_iteratorINSA_10device_ptrIiEEEEPS6_NSA_18transform_iteratorINSB_9not_fun_tI7is_trueIiEEENSC_INSD_IbEEEENSA_11use_defaultESO_EENS0_5tupleIJSF_S6_EEENSQ_IJSG_SG_EEES6_PlJS6_EEE10hipError_tPvRmT3_T4_T5_T6_T7_T9_mT8_P12ihipStream_tbDpT10_ENKUlT_T0_E_clISt17integral_constantIbLb1EES1D_EEDaS18_S19_EUlS18_E_NS1_11comp_targetILNS1_3genE9ELNS1_11target_archE1100ELNS1_3gpuE3ELNS1_3repE0EEENS1_30default_config_static_selectorELNS0_4arch9wavefront6targetE0EEEvT1_.num_named_barrier, 0
	.set _ZN7rocprim17ROCPRIM_400000_NS6detail17trampoline_kernelINS0_14default_configENS1_25partition_config_selectorILNS1_17partition_subalgoE5EiNS0_10empty_typeEbEEZZNS1_14partition_implILS5_5ELb0ES3_mN6thrust23THRUST_200600_302600_NS6detail15normal_iteratorINSA_10device_ptrIiEEEEPS6_NSA_18transform_iteratorINSB_9not_fun_tI7is_trueIiEEENSC_INSD_IbEEEENSA_11use_defaultESO_EENS0_5tupleIJSF_S6_EEENSQ_IJSG_SG_EEES6_PlJS6_EEE10hipError_tPvRmT3_T4_T5_T6_T7_T9_mT8_P12ihipStream_tbDpT10_ENKUlT_T0_E_clISt17integral_constantIbLb1EES1D_EEDaS18_S19_EUlS18_E_NS1_11comp_targetILNS1_3genE9ELNS1_11target_archE1100ELNS1_3gpuE3ELNS1_3repE0EEENS1_30default_config_static_selectorELNS0_4arch9wavefront6targetE0EEEvT1_.private_seg_size, 0
	.set _ZN7rocprim17ROCPRIM_400000_NS6detail17trampoline_kernelINS0_14default_configENS1_25partition_config_selectorILNS1_17partition_subalgoE5EiNS0_10empty_typeEbEEZZNS1_14partition_implILS5_5ELb0ES3_mN6thrust23THRUST_200600_302600_NS6detail15normal_iteratorINSA_10device_ptrIiEEEEPS6_NSA_18transform_iteratorINSB_9not_fun_tI7is_trueIiEEENSC_INSD_IbEEEENSA_11use_defaultESO_EENS0_5tupleIJSF_S6_EEENSQ_IJSG_SG_EEES6_PlJS6_EEE10hipError_tPvRmT3_T4_T5_T6_T7_T9_mT8_P12ihipStream_tbDpT10_ENKUlT_T0_E_clISt17integral_constantIbLb1EES1D_EEDaS18_S19_EUlS18_E_NS1_11comp_targetILNS1_3genE9ELNS1_11target_archE1100ELNS1_3gpuE3ELNS1_3repE0EEENS1_30default_config_static_selectorELNS0_4arch9wavefront6targetE0EEEvT1_.uses_vcc, 0
	.set _ZN7rocprim17ROCPRIM_400000_NS6detail17trampoline_kernelINS0_14default_configENS1_25partition_config_selectorILNS1_17partition_subalgoE5EiNS0_10empty_typeEbEEZZNS1_14partition_implILS5_5ELb0ES3_mN6thrust23THRUST_200600_302600_NS6detail15normal_iteratorINSA_10device_ptrIiEEEEPS6_NSA_18transform_iteratorINSB_9not_fun_tI7is_trueIiEEENSC_INSD_IbEEEENSA_11use_defaultESO_EENS0_5tupleIJSF_S6_EEENSQ_IJSG_SG_EEES6_PlJS6_EEE10hipError_tPvRmT3_T4_T5_T6_T7_T9_mT8_P12ihipStream_tbDpT10_ENKUlT_T0_E_clISt17integral_constantIbLb1EES1D_EEDaS18_S19_EUlS18_E_NS1_11comp_targetILNS1_3genE9ELNS1_11target_archE1100ELNS1_3gpuE3ELNS1_3repE0EEENS1_30default_config_static_selectorELNS0_4arch9wavefront6targetE0EEEvT1_.uses_flat_scratch, 0
	.set _ZN7rocprim17ROCPRIM_400000_NS6detail17trampoline_kernelINS0_14default_configENS1_25partition_config_selectorILNS1_17partition_subalgoE5EiNS0_10empty_typeEbEEZZNS1_14partition_implILS5_5ELb0ES3_mN6thrust23THRUST_200600_302600_NS6detail15normal_iteratorINSA_10device_ptrIiEEEEPS6_NSA_18transform_iteratorINSB_9not_fun_tI7is_trueIiEEENSC_INSD_IbEEEENSA_11use_defaultESO_EENS0_5tupleIJSF_S6_EEENSQ_IJSG_SG_EEES6_PlJS6_EEE10hipError_tPvRmT3_T4_T5_T6_T7_T9_mT8_P12ihipStream_tbDpT10_ENKUlT_T0_E_clISt17integral_constantIbLb1EES1D_EEDaS18_S19_EUlS18_E_NS1_11comp_targetILNS1_3genE9ELNS1_11target_archE1100ELNS1_3gpuE3ELNS1_3repE0EEENS1_30default_config_static_selectorELNS0_4arch9wavefront6targetE0EEEvT1_.has_dyn_sized_stack, 0
	.set _ZN7rocprim17ROCPRIM_400000_NS6detail17trampoline_kernelINS0_14default_configENS1_25partition_config_selectorILNS1_17partition_subalgoE5EiNS0_10empty_typeEbEEZZNS1_14partition_implILS5_5ELb0ES3_mN6thrust23THRUST_200600_302600_NS6detail15normal_iteratorINSA_10device_ptrIiEEEEPS6_NSA_18transform_iteratorINSB_9not_fun_tI7is_trueIiEEENSC_INSD_IbEEEENSA_11use_defaultESO_EENS0_5tupleIJSF_S6_EEENSQ_IJSG_SG_EEES6_PlJS6_EEE10hipError_tPvRmT3_T4_T5_T6_T7_T9_mT8_P12ihipStream_tbDpT10_ENKUlT_T0_E_clISt17integral_constantIbLb1EES1D_EEDaS18_S19_EUlS18_E_NS1_11comp_targetILNS1_3genE9ELNS1_11target_archE1100ELNS1_3gpuE3ELNS1_3repE0EEENS1_30default_config_static_selectorELNS0_4arch9wavefront6targetE0EEEvT1_.has_recursion, 0
	.set _ZN7rocprim17ROCPRIM_400000_NS6detail17trampoline_kernelINS0_14default_configENS1_25partition_config_selectorILNS1_17partition_subalgoE5EiNS0_10empty_typeEbEEZZNS1_14partition_implILS5_5ELb0ES3_mN6thrust23THRUST_200600_302600_NS6detail15normal_iteratorINSA_10device_ptrIiEEEEPS6_NSA_18transform_iteratorINSB_9not_fun_tI7is_trueIiEEENSC_INSD_IbEEEENSA_11use_defaultESO_EENS0_5tupleIJSF_S6_EEENSQ_IJSG_SG_EEES6_PlJS6_EEE10hipError_tPvRmT3_T4_T5_T6_T7_T9_mT8_P12ihipStream_tbDpT10_ENKUlT_T0_E_clISt17integral_constantIbLb1EES1D_EEDaS18_S19_EUlS18_E_NS1_11comp_targetILNS1_3genE9ELNS1_11target_archE1100ELNS1_3gpuE3ELNS1_3repE0EEENS1_30default_config_static_selectorELNS0_4arch9wavefront6targetE0EEEvT1_.has_indirect_call, 0
	.section	.AMDGPU.csdata,"",@progbits
; Kernel info:
; codeLenInByte = 0
; TotalNumSgprs: 0
; NumVgprs: 0
; ScratchSize: 0
; MemoryBound: 0
; FloatMode: 240
; IeeeMode: 1
; LDSByteSize: 0 bytes/workgroup (compile time only)
; SGPRBlocks: 0
; VGPRBlocks: 0
; NumSGPRsForWavesPerEU: 1
; NumVGPRsForWavesPerEU: 1
; Occupancy: 16
; WaveLimiterHint : 0
; COMPUTE_PGM_RSRC2:SCRATCH_EN: 0
; COMPUTE_PGM_RSRC2:USER_SGPR: 2
; COMPUTE_PGM_RSRC2:TRAP_HANDLER: 0
; COMPUTE_PGM_RSRC2:TGID_X_EN: 1
; COMPUTE_PGM_RSRC2:TGID_Y_EN: 0
; COMPUTE_PGM_RSRC2:TGID_Z_EN: 0
; COMPUTE_PGM_RSRC2:TIDIG_COMP_CNT: 0
	.section	.text._ZN7rocprim17ROCPRIM_400000_NS6detail17trampoline_kernelINS0_14default_configENS1_25partition_config_selectorILNS1_17partition_subalgoE5EiNS0_10empty_typeEbEEZZNS1_14partition_implILS5_5ELb0ES3_mN6thrust23THRUST_200600_302600_NS6detail15normal_iteratorINSA_10device_ptrIiEEEEPS6_NSA_18transform_iteratorINSB_9not_fun_tI7is_trueIiEEENSC_INSD_IbEEEENSA_11use_defaultESO_EENS0_5tupleIJSF_S6_EEENSQ_IJSG_SG_EEES6_PlJS6_EEE10hipError_tPvRmT3_T4_T5_T6_T7_T9_mT8_P12ihipStream_tbDpT10_ENKUlT_T0_E_clISt17integral_constantIbLb1EES1D_EEDaS18_S19_EUlS18_E_NS1_11comp_targetILNS1_3genE8ELNS1_11target_archE1030ELNS1_3gpuE2ELNS1_3repE0EEENS1_30default_config_static_selectorELNS0_4arch9wavefront6targetE0EEEvT1_,"axG",@progbits,_ZN7rocprim17ROCPRIM_400000_NS6detail17trampoline_kernelINS0_14default_configENS1_25partition_config_selectorILNS1_17partition_subalgoE5EiNS0_10empty_typeEbEEZZNS1_14partition_implILS5_5ELb0ES3_mN6thrust23THRUST_200600_302600_NS6detail15normal_iteratorINSA_10device_ptrIiEEEEPS6_NSA_18transform_iteratorINSB_9not_fun_tI7is_trueIiEEENSC_INSD_IbEEEENSA_11use_defaultESO_EENS0_5tupleIJSF_S6_EEENSQ_IJSG_SG_EEES6_PlJS6_EEE10hipError_tPvRmT3_T4_T5_T6_T7_T9_mT8_P12ihipStream_tbDpT10_ENKUlT_T0_E_clISt17integral_constantIbLb1EES1D_EEDaS18_S19_EUlS18_E_NS1_11comp_targetILNS1_3genE8ELNS1_11target_archE1030ELNS1_3gpuE2ELNS1_3repE0EEENS1_30default_config_static_selectorELNS0_4arch9wavefront6targetE0EEEvT1_,comdat
	.protected	_ZN7rocprim17ROCPRIM_400000_NS6detail17trampoline_kernelINS0_14default_configENS1_25partition_config_selectorILNS1_17partition_subalgoE5EiNS0_10empty_typeEbEEZZNS1_14partition_implILS5_5ELb0ES3_mN6thrust23THRUST_200600_302600_NS6detail15normal_iteratorINSA_10device_ptrIiEEEEPS6_NSA_18transform_iteratorINSB_9not_fun_tI7is_trueIiEEENSC_INSD_IbEEEENSA_11use_defaultESO_EENS0_5tupleIJSF_S6_EEENSQ_IJSG_SG_EEES6_PlJS6_EEE10hipError_tPvRmT3_T4_T5_T6_T7_T9_mT8_P12ihipStream_tbDpT10_ENKUlT_T0_E_clISt17integral_constantIbLb1EES1D_EEDaS18_S19_EUlS18_E_NS1_11comp_targetILNS1_3genE8ELNS1_11target_archE1030ELNS1_3gpuE2ELNS1_3repE0EEENS1_30default_config_static_selectorELNS0_4arch9wavefront6targetE0EEEvT1_ ; -- Begin function _ZN7rocprim17ROCPRIM_400000_NS6detail17trampoline_kernelINS0_14default_configENS1_25partition_config_selectorILNS1_17partition_subalgoE5EiNS0_10empty_typeEbEEZZNS1_14partition_implILS5_5ELb0ES3_mN6thrust23THRUST_200600_302600_NS6detail15normal_iteratorINSA_10device_ptrIiEEEEPS6_NSA_18transform_iteratorINSB_9not_fun_tI7is_trueIiEEENSC_INSD_IbEEEENSA_11use_defaultESO_EENS0_5tupleIJSF_S6_EEENSQ_IJSG_SG_EEES6_PlJS6_EEE10hipError_tPvRmT3_T4_T5_T6_T7_T9_mT8_P12ihipStream_tbDpT10_ENKUlT_T0_E_clISt17integral_constantIbLb1EES1D_EEDaS18_S19_EUlS18_E_NS1_11comp_targetILNS1_3genE8ELNS1_11target_archE1030ELNS1_3gpuE2ELNS1_3repE0EEENS1_30default_config_static_selectorELNS0_4arch9wavefront6targetE0EEEvT1_
	.globl	_ZN7rocprim17ROCPRIM_400000_NS6detail17trampoline_kernelINS0_14default_configENS1_25partition_config_selectorILNS1_17partition_subalgoE5EiNS0_10empty_typeEbEEZZNS1_14partition_implILS5_5ELb0ES3_mN6thrust23THRUST_200600_302600_NS6detail15normal_iteratorINSA_10device_ptrIiEEEEPS6_NSA_18transform_iteratorINSB_9not_fun_tI7is_trueIiEEENSC_INSD_IbEEEENSA_11use_defaultESO_EENS0_5tupleIJSF_S6_EEENSQ_IJSG_SG_EEES6_PlJS6_EEE10hipError_tPvRmT3_T4_T5_T6_T7_T9_mT8_P12ihipStream_tbDpT10_ENKUlT_T0_E_clISt17integral_constantIbLb1EES1D_EEDaS18_S19_EUlS18_E_NS1_11comp_targetILNS1_3genE8ELNS1_11target_archE1030ELNS1_3gpuE2ELNS1_3repE0EEENS1_30default_config_static_selectorELNS0_4arch9wavefront6targetE0EEEvT1_
	.p2align	8
	.type	_ZN7rocprim17ROCPRIM_400000_NS6detail17trampoline_kernelINS0_14default_configENS1_25partition_config_selectorILNS1_17partition_subalgoE5EiNS0_10empty_typeEbEEZZNS1_14partition_implILS5_5ELb0ES3_mN6thrust23THRUST_200600_302600_NS6detail15normal_iteratorINSA_10device_ptrIiEEEEPS6_NSA_18transform_iteratorINSB_9not_fun_tI7is_trueIiEEENSC_INSD_IbEEEENSA_11use_defaultESO_EENS0_5tupleIJSF_S6_EEENSQ_IJSG_SG_EEES6_PlJS6_EEE10hipError_tPvRmT3_T4_T5_T6_T7_T9_mT8_P12ihipStream_tbDpT10_ENKUlT_T0_E_clISt17integral_constantIbLb1EES1D_EEDaS18_S19_EUlS18_E_NS1_11comp_targetILNS1_3genE8ELNS1_11target_archE1030ELNS1_3gpuE2ELNS1_3repE0EEENS1_30default_config_static_selectorELNS0_4arch9wavefront6targetE0EEEvT1_,@function
_ZN7rocprim17ROCPRIM_400000_NS6detail17trampoline_kernelINS0_14default_configENS1_25partition_config_selectorILNS1_17partition_subalgoE5EiNS0_10empty_typeEbEEZZNS1_14partition_implILS5_5ELb0ES3_mN6thrust23THRUST_200600_302600_NS6detail15normal_iteratorINSA_10device_ptrIiEEEEPS6_NSA_18transform_iteratorINSB_9not_fun_tI7is_trueIiEEENSC_INSD_IbEEEENSA_11use_defaultESO_EENS0_5tupleIJSF_S6_EEENSQ_IJSG_SG_EEES6_PlJS6_EEE10hipError_tPvRmT3_T4_T5_T6_T7_T9_mT8_P12ihipStream_tbDpT10_ENKUlT_T0_E_clISt17integral_constantIbLb1EES1D_EEDaS18_S19_EUlS18_E_NS1_11comp_targetILNS1_3genE8ELNS1_11target_archE1030ELNS1_3gpuE2ELNS1_3repE0EEENS1_30default_config_static_selectorELNS0_4arch9wavefront6targetE0EEEvT1_: ; @_ZN7rocprim17ROCPRIM_400000_NS6detail17trampoline_kernelINS0_14default_configENS1_25partition_config_selectorILNS1_17partition_subalgoE5EiNS0_10empty_typeEbEEZZNS1_14partition_implILS5_5ELb0ES3_mN6thrust23THRUST_200600_302600_NS6detail15normal_iteratorINSA_10device_ptrIiEEEEPS6_NSA_18transform_iteratorINSB_9not_fun_tI7is_trueIiEEENSC_INSD_IbEEEENSA_11use_defaultESO_EENS0_5tupleIJSF_S6_EEENSQ_IJSG_SG_EEES6_PlJS6_EEE10hipError_tPvRmT3_T4_T5_T6_T7_T9_mT8_P12ihipStream_tbDpT10_ENKUlT_T0_E_clISt17integral_constantIbLb1EES1D_EEDaS18_S19_EUlS18_E_NS1_11comp_targetILNS1_3genE8ELNS1_11target_archE1030ELNS1_3gpuE2ELNS1_3repE0EEENS1_30default_config_static_selectorELNS0_4arch9wavefront6targetE0EEEvT1_
; %bb.0:
	.section	.rodata,"a",@progbits
	.p2align	6, 0x0
	.amdhsa_kernel _ZN7rocprim17ROCPRIM_400000_NS6detail17trampoline_kernelINS0_14default_configENS1_25partition_config_selectorILNS1_17partition_subalgoE5EiNS0_10empty_typeEbEEZZNS1_14partition_implILS5_5ELb0ES3_mN6thrust23THRUST_200600_302600_NS6detail15normal_iteratorINSA_10device_ptrIiEEEEPS6_NSA_18transform_iteratorINSB_9not_fun_tI7is_trueIiEEENSC_INSD_IbEEEENSA_11use_defaultESO_EENS0_5tupleIJSF_S6_EEENSQ_IJSG_SG_EEES6_PlJS6_EEE10hipError_tPvRmT3_T4_T5_T6_T7_T9_mT8_P12ihipStream_tbDpT10_ENKUlT_T0_E_clISt17integral_constantIbLb1EES1D_EEDaS18_S19_EUlS18_E_NS1_11comp_targetILNS1_3genE8ELNS1_11target_archE1030ELNS1_3gpuE2ELNS1_3repE0EEENS1_30default_config_static_selectorELNS0_4arch9wavefront6targetE0EEEvT1_
		.amdhsa_group_segment_fixed_size 0
		.amdhsa_private_segment_fixed_size 0
		.amdhsa_kernarg_size 136
		.amdhsa_user_sgpr_count 2
		.amdhsa_user_sgpr_dispatch_ptr 0
		.amdhsa_user_sgpr_queue_ptr 0
		.amdhsa_user_sgpr_kernarg_segment_ptr 1
		.amdhsa_user_sgpr_dispatch_id 0
		.amdhsa_user_sgpr_private_segment_size 0
		.amdhsa_wavefront_size32 1
		.amdhsa_uses_dynamic_stack 0
		.amdhsa_enable_private_segment 0
		.amdhsa_system_sgpr_workgroup_id_x 1
		.amdhsa_system_sgpr_workgroup_id_y 0
		.amdhsa_system_sgpr_workgroup_id_z 0
		.amdhsa_system_sgpr_workgroup_info 0
		.amdhsa_system_vgpr_workitem_id 0
		.amdhsa_next_free_vgpr 1
		.amdhsa_next_free_sgpr 1
		.amdhsa_reserve_vcc 0
		.amdhsa_float_round_mode_32 0
		.amdhsa_float_round_mode_16_64 0
		.amdhsa_float_denorm_mode_32 3
		.amdhsa_float_denorm_mode_16_64 3
		.amdhsa_fp16_overflow 0
		.amdhsa_workgroup_processor_mode 1
		.amdhsa_memory_ordered 1
		.amdhsa_forward_progress 1
		.amdhsa_inst_pref_size 0
		.amdhsa_round_robin_scheduling 0
		.amdhsa_exception_fp_ieee_invalid_op 0
		.amdhsa_exception_fp_denorm_src 0
		.amdhsa_exception_fp_ieee_div_zero 0
		.amdhsa_exception_fp_ieee_overflow 0
		.amdhsa_exception_fp_ieee_underflow 0
		.amdhsa_exception_fp_ieee_inexact 0
		.amdhsa_exception_int_div_zero 0
	.end_amdhsa_kernel
	.section	.text._ZN7rocprim17ROCPRIM_400000_NS6detail17trampoline_kernelINS0_14default_configENS1_25partition_config_selectorILNS1_17partition_subalgoE5EiNS0_10empty_typeEbEEZZNS1_14partition_implILS5_5ELb0ES3_mN6thrust23THRUST_200600_302600_NS6detail15normal_iteratorINSA_10device_ptrIiEEEEPS6_NSA_18transform_iteratorINSB_9not_fun_tI7is_trueIiEEENSC_INSD_IbEEEENSA_11use_defaultESO_EENS0_5tupleIJSF_S6_EEENSQ_IJSG_SG_EEES6_PlJS6_EEE10hipError_tPvRmT3_T4_T5_T6_T7_T9_mT8_P12ihipStream_tbDpT10_ENKUlT_T0_E_clISt17integral_constantIbLb1EES1D_EEDaS18_S19_EUlS18_E_NS1_11comp_targetILNS1_3genE8ELNS1_11target_archE1030ELNS1_3gpuE2ELNS1_3repE0EEENS1_30default_config_static_selectorELNS0_4arch9wavefront6targetE0EEEvT1_,"axG",@progbits,_ZN7rocprim17ROCPRIM_400000_NS6detail17trampoline_kernelINS0_14default_configENS1_25partition_config_selectorILNS1_17partition_subalgoE5EiNS0_10empty_typeEbEEZZNS1_14partition_implILS5_5ELb0ES3_mN6thrust23THRUST_200600_302600_NS6detail15normal_iteratorINSA_10device_ptrIiEEEEPS6_NSA_18transform_iteratorINSB_9not_fun_tI7is_trueIiEEENSC_INSD_IbEEEENSA_11use_defaultESO_EENS0_5tupleIJSF_S6_EEENSQ_IJSG_SG_EEES6_PlJS6_EEE10hipError_tPvRmT3_T4_T5_T6_T7_T9_mT8_P12ihipStream_tbDpT10_ENKUlT_T0_E_clISt17integral_constantIbLb1EES1D_EEDaS18_S19_EUlS18_E_NS1_11comp_targetILNS1_3genE8ELNS1_11target_archE1030ELNS1_3gpuE2ELNS1_3repE0EEENS1_30default_config_static_selectorELNS0_4arch9wavefront6targetE0EEEvT1_,comdat
.Lfunc_end2540:
	.size	_ZN7rocprim17ROCPRIM_400000_NS6detail17trampoline_kernelINS0_14default_configENS1_25partition_config_selectorILNS1_17partition_subalgoE5EiNS0_10empty_typeEbEEZZNS1_14partition_implILS5_5ELb0ES3_mN6thrust23THRUST_200600_302600_NS6detail15normal_iteratorINSA_10device_ptrIiEEEEPS6_NSA_18transform_iteratorINSB_9not_fun_tI7is_trueIiEEENSC_INSD_IbEEEENSA_11use_defaultESO_EENS0_5tupleIJSF_S6_EEENSQ_IJSG_SG_EEES6_PlJS6_EEE10hipError_tPvRmT3_T4_T5_T6_T7_T9_mT8_P12ihipStream_tbDpT10_ENKUlT_T0_E_clISt17integral_constantIbLb1EES1D_EEDaS18_S19_EUlS18_E_NS1_11comp_targetILNS1_3genE8ELNS1_11target_archE1030ELNS1_3gpuE2ELNS1_3repE0EEENS1_30default_config_static_selectorELNS0_4arch9wavefront6targetE0EEEvT1_, .Lfunc_end2540-_ZN7rocprim17ROCPRIM_400000_NS6detail17trampoline_kernelINS0_14default_configENS1_25partition_config_selectorILNS1_17partition_subalgoE5EiNS0_10empty_typeEbEEZZNS1_14partition_implILS5_5ELb0ES3_mN6thrust23THRUST_200600_302600_NS6detail15normal_iteratorINSA_10device_ptrIiEEEEPS6_NSA_18transform_iteratorINSB_9not_fun_tI7is_trueIiEEENSC_INSD_IbEEEENSA_11use_defaultESO_EENS0_5tupleIJSF_S6_EEENSQ_IJSG_SG_EEES6_PlJS6_EEE10hipError_tPvRmT3_T4_T5_T6_T7_T9_mT8_P12ihipStream_tbDpT10_ENKUlT_T0_E_clISt17integral_constantIbLb1EES1D_EEDaS18_S19_EUlS18_E_NS1_11comp_targetILNS1_3genE8ELNS1_11target_archE1030ELNS1_3gpuE2ELNS1_3repE0EEENS1_30default_config_static_selectorELNS0_4arch9wavefront6targetE0EEEvT1_
                                        ; -- End function
	.set _ZN7rocprim17ROCPRIM_400000_NS6detail17trampoline_kernelINS0_14default_configENS1_25partition_config_selectorILNS1_17partition_subalgoE5EiNS0_10empty_typeEbEEZZNS1_14partition_implILS5_5ELb0ES3_mN6thrust23THRUST_200600_302600_NS6detail15normal_iteratorINSA_10device_ptrIiEEEEPS6_NSA_18transform_iteratorINSB_9not_fun_tI7is_trueIiEEENSC_INSD_IbEEEENSA_11use_defaultESO_EENS0_5tupleIJSF_S6_EEENSQ_IJSG_SG_EEES6_PlJS6_EEE10hipError_tPvRmT3_T4_T5_T6_T7_T9_mT8_P12ihipStream_tbDpT10_ENKUlT_T0_E_clISt17integral_constantIbLb1EES1D_EEDaS18_S19_EUlS18_E_NS1_11comp_targetILNS1_3genE8ELNS1_11target_archE1030ELNS1_3gpuE2ELNS1_3repE0EEENS1_30default_config_static_selectorELNS0_4arch9wavefront6targetE0EEEvT1_.num_vgpr, 0
	.set _ZN7rocprim17ROCPRIM_400000_NS6detail17trampoline_kernelINS0_14default_configENS1_25partition_config_selectorILNS1_17partition_subalgoE5EiNS0_10empty_typeEbEEZZNS1_14partition_implILS5_5ELb0ES3_mN6thrust23THRUST_200600_302600_NS6detail15normal_iteratorINSA_10device_ptrIiEEEEPS6_NSA_18transform_iteratorINSB_9not_fun_tI7is_trueIiEEENSC_INSD_IbEEEENSA_11use_defaultESO_EENS0_5tupleIJSF_S6_EEENSQ_IJSG_SG_EEES6_PlJS6_EEE10hipError_tPvRmT3_T4_T5_T6_T7_T9_mT8_P12ihipStream_tbDpT10_ENKUlT_T0_E_clISt17integral_constantIbLb1EES1D_EEDaS18_S19_EUlS18_E_NS1_11comp_targetILNS1_3genE8ELNS1_11target_archE1030ELNS1_3gpuE2ELNS1_3repE0EEENS1_30default_config_static_selectorELNS0_4arch9wavefront6targetE0EEEvT1_.num_agpr, 0
	.set _ZN7rocprim17ROCPRIM_400000_NS6detail17trampoline_kernelINS0_14default_configENS1_25partition_config_selectorILNS1_17partition_subalgoE5EiNS0_10empty_typeEbEEZZNS1_14partition_implILS5_5ELb0ES3_mN6thrust23THRUST_200600_302600_NS6detail15normal_iteratorINSA_10device_ptrIiEEEEPS6_NSA_18transform_iteratorINSB_9not_fun_tI7is_trueIiEEENSC_INSD_IbEEEENSA_11use_defaultESO_EENS0_5tupleIJSF_S6_EEENSQ_IJSG_SG_EEES6_PlJS6_EEE10hipError_tPvRmT3_T4_T5_T6_T7_T9_mT8_P12ihipStream_tbDpT10_ENKUlT_T0_E_clISt17integral_constantIbLb1EES1D_EEDaS18_S19_EUlS18_E_NS1_11comp_targetILNS1_3genE8ELNS1_11target_archE1030ELNS1_3gpuE2ELNS1_3repE0EEENS1_30default_config_static_selectorELNS0_4arch9wavefront6targetE0EEEvT1_.numbered_sgpr, 0
	.set _ZN7rocprim17ROCPRIM_400000_NS6detail17trampoline_kernelINS0_14default_configENS1_25partition_config_selectorILNS1_17partition_subalgoE5EiNS0_10empty_typeEbEEZZNS1_14partition_implILS5_5ELb0ES3_mN6thrust23THRUST_200600_302600_NS6detail15normal_iteratorINSA_10device_ptrIiEEEEPS6_NSA_18transform_iteratorINSB_9not_fun_tI7is_trueIiEEENSC_INSD_IbEEEENSA_11use_defaultESO_EENS0_5tupleIJSF_S6_EEENSQ_IJSG_SG_EEES6_PlJS6_EEE10hipError_tPvRmT3_T4_T5_T6_T7_T9_mT8_P12ihipStream_tbDpT10_ENKUlT_T0_E_clISt17integral_constantIbLb1EES1D_EEDaS18_S19_EUlS18_E_NS1_11comp_targetILNS1_3genE8ELNS1_11target_archE1030ELNS1_3gpuE2ELNS1_3repE0EEENS1_30default_config_static_selectorELNS0_4arch9wavefront6targetE0EEEvT1_.num_named_barrier, 0
	.set _ZN7rocprim17ROCPRIM_400000_NS6detail17trampoline_kernelINS0_14default_configENS1_25partition_config_selectorILNS1_17partition_subalgoE5EiNS0_10empty_typeEbEEZZNS1_14partition_implILS5_5ELb0ES3_mN6thrust23THRUST_200600_302600_NS6detail15normal_iteratorINSA_10device_ptrIiEEEEPS6_NSA_18transform_iteratorINSB_9not_fun_tI7is_trueIiEEENSC_INSD_IbEEEENSA_11use_defaultESO_EENS0_5tupleIJSF_S6_EEENSQ_IJSG_SG_EEES6_PlJS6_EEE10hipError_tPvRmT3_T4_T5_T6_T7_T9_mT8_P12ihipStream_tbDpT10_ENKUlT_T0_E_clISt17integral_constantIbLb1EES1D_EEDaS18_S19_EUlS18_E_NS1_11comp_targetILNS1_3genE8ELNS1_11target_archE1030ELNS1_3gpuE2ELNS1_3repE0EEENS1_30default_config_static_selectorELNS0_4arch9wavefront6targetE0EEEvT1_.private_seg_size, 0
	.set _ZN7rocprim17ROCPRIM_400000_NS6detail17trampoline_kernelINS0_14default_configENS1_25partition_config_selectorILNS1_17partition_subalgoE5EiNS0_10empty_typeEbEEZZNS1_14partition_implILS5_5ELb0ES3_mN6thrust23THRUST_200600_302600_NS6detail15normal_iteratorINSA_10device_ptrIiEEEEPS6_NSA_18transform_iteratorINSB_9not_fun_tI7is_trueIiEEENSC_INSD_IbEEEENSA_11use_defaultESO_EENS0_5tupleIJSF_S6_EEENSQ_IJSG_SG_EEES6_PlJS6_EEE10hipError_tPvRmT3_T4_T5_T6_T7_T9_mT8_P12ihipStream_tbDpT10_ENKUlT_T0_E_clISt17integral_constantIbLb1EES1D_EEDaS18_S19_EUlS18_E_NS1_11comp_targetILNS1_3genE8ELNS1_11target_archE1030ELNS1_3gpuE2ELNS1_3repE0EEENS1_30default_config_static_selectorELNS0_4arch9wavefront6targetE0EEEvT1_.uses_vcc, 0
	.set _ZN7rocprim17ROCPRIM_400000_NS6detail17trampoline_kernelINS0_14default_configENS1_25partition_config_selectorILNS1_17partition_subalgoE5EiNS0_10empty_typeEbEEZZNS1_14partition_implILS5_5ELb0ES3_mN6thrust23THRUST_200600_302600_NS6detail15normal_iteratorINSA_10device_ptrIiEEEEPS6_NSA_18transform_iteratorINSB_9not_fun_tI7is_trueIiEEENSC_INSD_IbEEEENSA_11use_defaultESO_EENS0_5tupleIJSF_S6_EEENSQ_IJSG_SG_EEES6_PlJS6_EEE10hipError_tPvRmT3_T4_T5_T6_T7_T9_mT8_P12ihipStream_tbDpT10_ENKUlT_T0_E_clISt17integral_constantIbLb1EES1D_EEDaS18_S19_EUlS18_E_NS1_11comp_targetILNS1_3genE8ELNS1_11target_archE1030ELNS1_3gpuE2ELNS1_3repE0EEENS1_30default_config_static_selectorELNS0_4arch9wavefront6targetE0EEEvT1_.uses_flat_scratch, 0
	.set _ZN7rocprim17ROCPRIM_400000_NS6detail17trampoline_kernelINS0_14default_configENS1_25partition_config_selectorILNS1_17partition_subalgoE5EiNS0_10empty_typeEbEEZZNS1_14partition_implILS5_5ELb0ES3_mN6thrust23THRUST_200600_302600_NS6detail15normal_iteratorINSA_10device_ptrIiEEEEPS6_NSA_18transform_iteratorINSB_9not_fun_tI7is_trueIiEEENSC_INSD_IbEEEENSA_11use_defaultESO_EENS0_5tupleIJSF_S6_EEENSQ_IJSG_SG_EEES6_PlJS6_EEE10hipError_tPvRmT3_T4_T5_T6_T7_T9_mT8_P12ihipStream_tbDpT10_ENKUlT_T0_E_clISt17integral_constantIbLb1EES1D_EEDaS18_S19_EUlS18_E_NS1_11comp_targetILNS1_3genE8ELNS1_11target_archE1030ELNS1_3gpuE2ELNS1_3repE0EEENS1_30default_config_static_selectorELNS0_4arch9wavefront6targetE0EEEvT1_.has_dyn_sized_stack, 0
	.set _ZN7rocprim17ROCPRIM_400000_NS6detail17trampoline_kernelINS0_14default_configENS1_25partition_config_selectorILNS1_17partition_subalgoE5EiNS0_10empty_typeEbEEZZNS1_14partition_implILS5_5ELb0ES3_mN6thrust23THRUST_200600_302600_NS6detail15normal_iteratorINSA_10device_ptrIiEEEEPS6_NSA_18transform_iteratorINSB_9not_fun_tI7is_trueIiEEENSC_INSD_IbEEEENSA_11use_defaultESO_EENS0_5tupleIJSF_S6_EEENSQ_IJSG_SG_EEES6_PlJS6_EEE10hipError_tPvRmT3_T4_T5_T6_T7_T9_mT8_P12ihipStream_tbDpT10_ENKUlT_T0_E_clISt17integral_constantIbLb1EES1D_EEDaS18_S19_EUlS18_E_NS1_11comp_targetILNS1_3genE8ELNS1_11target_archE1030ELNS1_3gpuE2ELNS1_3repE0EEENS1_30default_config_static_selectorELNS0_4arch9wavefront6targetE0EEEvT1_.has_recursion, 0
	.set _ZN7rocprim17ROCPRIM_400000_NS6detail17trampoline_kernelINS0_14default_configENS1_25partition_config_selectorILNS1_17partition_subalgoE5EiNS0_10empty_typeEbEEZZNS1_14partition_implILS5_5ELb0ES3_mN6thrust23THRUST_200600_302600_NS6detail15normal_iteratorINSA_10device_ptrIiEEEEPS6_NSA_18transform_iteratorINSB_9not_fun_tI7is_trueIiEEENSC_INSD_IbEEEENSA_11use_defaultESO_EENS0_5tupleIJSF_S6_EEENSQ_IJSG_SG_EEES6_PlJS6_EEE10hipError_tPvRmT3_T4_T5_T6_T7_T9_mT8_P12ihipStream_tbDpT10_ENKUlT_T0_E_clISt17integral_constantIbLb1EES1D_EEDaS18_S19_EUlS18_E_NS1_11comp_targetILNS1_3genE8ELNS1_11target_archE1030ELNS1_3gpuE2ELNS1_3repE0EEENS1_30default_config_static_selectorELNS0_4arch9wavefront6targetE0EEEvT1_.has_indirect_call, 0
	.section	.AMDGPU.csdata,"",@progbits
; Kernel info:
; codeLenInByte = 0
; TotalNumSgprs: 0
; NumVgprs: 0
; ScratchSize: 0
; MemoryBound: 0
; FloatMode: 240
; IeeeMode: 1
; LDSByteSize: 0 bytes/workgroup (compile time only)
; SGPRBlocks: 0
; VGPRBlocks: 0
; NumSGPRsForWavesPerEU: 1
; NumVGPRsForWavesPerEU: 1
; Occupancy: 16
; WaveLimiterHint : 0
; COMPUTE_PGM_RSRC2:SCRATCH_EN: 0
; COMPUTE_PGM_RSRC2:USER_SGPR: 2
; COMPUTE_PGM_RSRC2:TRAP_HANDLER: 0
; COMPUTE_PGM_RSRC2:TGID_X_EN: 1
; COMPUTE_PGM_RSRC2:TGID_Y_EN: 0
; COMPUTE_PGM_RSRC2:TGID_Z_EN: 0
; COMPUTE_PGM_RSRC2:TIDIG_COMP_CNT: 0
	.section	.text._ZN7rocprim17ROCPRIM_400000_NS6detail17trampoline_kernelINS0_14default_configENS1_25partition_config_selectorILNS1_17partition_subalgoE5EiNS0_10empty_typeEbEEZZNS1_14partition_implILS5_5ELb0ES3_mN6thrust23THRUST_200600_302600_NS6detail15normal_iteratorINSA_10device_ptrIiEEEEPS6_NSA_18transform_iteratorINSB_9not_fun_tI7is_trueIiEEENSC_INSD_IbEEEENSA_11use_defaultESO_EENS0_5tupleIJSF_S6_EEENSQ_IJSG_SG_EEES6_PlJS6_EEE10hipError_tPvRmT3_T4_T5_T6_T7_T9_mT8_P12ihipStream_tbDpT10_ENKUlT_T0_E_clISt17integral_constantIbLb1EES1C_IbLb0EEEEDaS18_S19_EUlS18_E_NS1_11comp_targetILNS1_3genE0ELNS1_11target_archE4294967295ELNS1_3gpuE0ELNS1_3repE0EEENS1_30default_config_static_selectorELNS0_4arch9wavefront6targetE0EEEvT1_,"axG",@progbits,_ZN7rocprim17ROCPRIM_400000_NS6detail17trampoline_kernelINS0_14default_configENS1_25partition_config_selectorILNS1_17partition_subalgoE5EiNS0_10empty_typeEbEEZZNS1_14partition_implILS5_5ELb0ES3_mN6thrust23THRUST_200600_302600_NS6detail15normal_iteratorINSA_10device_ptrIiEEEEPS6_NSA_18transform_iteratorINSB_9not_fun_tI7is_trueIiEEENSC_INSD_IbEEEENSA_11use_defaultESO_EENS0_5tupleIJSF_S6_EEENSQ_IJSG_SG_EEES6_PlJS6_EEE10hipError_tPvRmT3_T4_T5_T6_T7_T9_mT8_P12ihipStream_tbDpT10_ENKUlT_T0_E_clISt17integral_constantIbLb1EES1C_IbLb0EEEEDaS18_S19_EUlS18_E_NS1_11comp_targetILNS1_3genE0ELNS1_11target_archE4294967295ELNS1_3gpuE0ELNS1_3repE0EEENS1_30default_config_static_selectorELNS0_4arch9wavefront6targetE0EEEvT1_,comdat
	.protected	_ZN7rocprim17ROCPRIM_400000_NS6detail17trampoline_kernelINS0_14default_configENS1_25partition_config_selectorILNS1_17partition_subalgoE5EiNS0_10empty_typeEbEEZZNS1_14partition_implILS5_5ELb0ES3_mN6thrust23THRUST_200600_302600_NS6detail15normal_iteratorINSA_10device_ptrIiEEEEPS6_NSA_18transform_iteratorINSB_9not_fun_tI7is_trueIiEEENSC_INSD_IbEEEENSA_11use_defaultESO_EENS0_5tupleIJSF_S6_EEENSQ_IJSG_SG_EEES6_PlJS6_EEE10hipError_tPvRmT3_T4_T5_T6_T7_T9_mT8_P12ihipStream_tbDpT10_ENKUlT_T0_E_clISt17integral_constantIbLb1EES1C_IbLb0EEEEDaS18_S19_EUlS18_E_NS1_11comp_targetILNS1_3genE0ELNS1_11target_archE4294967295ELNS1_3gpuE0ELNS1_3repE0EEENS1_30default_config_static_selectorELNS0_4arch9wavefront6targetE0EEEvT1_ ; -- Begin function _ZN7rocprim17ROCPRIM_400000_NS6detail17trampoline_kernelINS0_14default_configENS1_25partition_config_selectorILNS1_17partition_subalgoE5EiNS0_10empty_typeEbEEZZNS1_14partition_implILS5_5ELb0ES3_mN6thrust23THRUST_200600_302600_NS6detail15normal_iteratorINSA_10device_ptrIiEEEEPS6_NSA_18transform_iteratorINSB_9not_fun_tI7is_trueIiEEENSC_INSD_IbEEEENSA_11use_defaultESO_EENS0_5tupleIJSF_S6_EEENSQ_IJSG_SG_EEES6_PlJS6_EEE10hipError_tPvRmT3_T4_T5_T6_T7_T9_mT8_P12ihipStream_tbDpT10_ENKUlT_T0_E_clISt17integral_constantIbLb1EES1C_IbLb0EEEEDaS18_S19_EUlS18_E_NS1_11comp_targetILNS1_3genE0ELNS1_11target_archE4294967295ELNS1_3gpuE0ELNS1_3repE0EEENS1_30default_config_static_selectorELNS0_4arch9wavefront6targetE0EEEvT1_
	.globl	_ZN7rocprim17ROCPRIM_400000_NS6detail17trampoline_kernelINS0_14default_configENS1_25partition_config_selectorILNS1_17partition_subalgoE5EiNS0_10empty_typeEbEEZZNS1_14partition_implILS5_5ELb0ES3_mN6thrust23THRUST_200600_302600_NS6detail15normal_iteratorINSA_10device_ptrIiEEEEPS6_NSA_18transform_iteratorINSB_9not_fun_tI7is_trueIiEEENSC_INSD_IbEEEENSA_11use_defaultESO_EENS0_5tupleIJSF_S6_EEENSQ_IJSG_SG_EEES6_PlJS6_EEE10hipError_tPvRmT3_T4_T5_T6_T7_T9_mT8_P12ihipStream_tbDpT10_ENKUlT_T0_E_clISt17integral_constantIbLb1EES1C_IbLb0EEEEDaS18_S19_EUlS18_E_NS1_11comp_targetILNS1_3genE0ELNS1_11target_archE4294967295ELNS1_3gpuE0ELNS1_3repE0EEENS1_30default_config_static_selectorELNS0_4arch9wavefront6targetE0EEEvT1_
	.p2align	8
	.type	_ZN7rocprim17ROCPRIM_400000_NS6detail17trampoline_kernelINS0_14default_configENS1_25partition_config_selectorILNS1_17partition_subalgoE5EiNS0_10empty_typeEbEEZZNS1_14partition_implILS5_5ELb0ES3_mN6thrust23THRUST_200600_302600_NS6detail15normal_iteratorINSA_10device_ptrIiEEEEPS6_NSA_18transform_iteratorINSB_9not_fun_tI7is_trueIiEEENSC_INSD_IbEEEENSA_11use_defaultESO_EENS0_5tupleIJSF_S6_EEENSQ_IJSG_SG_EEES6_PlJS6_EEE10hipError_tPvRmT3_T4_T5_T6_T7_T9_mT8_P12ihipStream_tbDpT10_ENKUlT_T0_E_clISt17integral_constantIbLb1EES1C_IbLb0EEEEDaS18_S19_EUlS18_E_NS1_11comp_targetILNS1_3genE0ELNS1_11target_archE4294967295ELNS1_3gpuE0ELNS1_3repE0EEENS1_30default_config_static_selectorELNS0_4arch9wavefront6targetE0EEEvT1_,@function
_ZN7rocprim17ROCPRIM_400000_NS6detail17trampoline_kernelINS0_14default_configENS1_25partition_config_selectorILNS1_17partition_subalgoE5EiNS0_10empty_typeEbEEZZNS1_14partition_implILS5_5ELb0ES3_mN6thrust23THRUST_200600_302600_NS6detail15normal_iteratorINSA_10device_ptrIiEEEEPS6_NSA_18transform_iteratorINSB_9not_fun_tI7is_trueIiEEENSC_INSD_IbEEEENSA_11use_defaultESO_EENS0_5tupleIJSF_S6_EEENSQ_IJSG_SG_EEES6_PlJS6_EEE10hipError_tPvRmT3_T4_T5_T6_T7_T9_mT8_P12ihipStream_tbDpT10_ENKUlT_T0_E_clISt17integral_constantIbLb1EES1C_IbLb0EEEEDaS18_S19_EUlS18_E_NS1_11comp_targetILNS1_3genE0ELNS1_11target_archE4294967295ELNS1_3gpuE0ELNS1_3repE0EEENS1_30default_config_static_selectorELNS0_4arch9wavefront6targetE0EEEvT1_: ; @_ZN7rocprim17ROCPRIM_400000_NS6detail17trampoline_kernelINS0_14default_configENS1_25partition_config_selectorILNS1_17partition_subalgoE5EiNS0_10empty_typeEbEEZZNS1_14partition_implILS5_5ELb0ES3_mN6thrust23THRUST_200600_302600_NS6detail15normal_iteratorINSA_10device_ptrIiEEEEPS6_NSA_18transform_iteratorINSB_9not_fun_tI7is_trueIiEEENSC_INSD_IbEEEENSA_11use_defaultESO_EENS0_5tupleIJSF_S6_EEENSQ_IJSG_SG_EEES6_PlJS6_EEE10hipError_tPvRmT3_T4_T5_T6_T7_T9_mT8_P12ihipStream_tbDpT10_ENKUlT_T0_E_clISt17integral_constantIbLb1EES1C_IbLb0EEEEDaS18_S19_EUlS18_E_NS1_11comp_targetILNS1_3genE0ELNS1_11target_archE4294967295ELNS1_3gpuE0ELNS1_3repE0EEENS1_30default_config_static_selectorELNS0_4arch9wavefront6targetE0EEEvT1_
; %bb.0:
	.section	.rodata,"a",@progbits
	.p2align	6, 0x0
	.amdhsa_kernel _ZN7rocprim17ROCPRIM_400000_NS6detail17trampoline_kernelINS0_14default_configENS1_25partition_config_selectorILNS1_17partition_subalgoE5EiNS0_10empty_typeEbEEZZNS1_14partition_implILS5_5ELb0ES3_mN6thrust23THRUST_200600_302600_NS6detail15normal_iteratorINSA_10device_ptrIiEEEEPS6_NSA_18transform_iteratorINSB_9not_fun_tI7is_trueIiEEENSC_INSD_IbEEEENSA_11use_defaultESO_EENS0_5tupleIJSF_S6_EEENSQ_IJSG_SG_EEES6_PlJS6_EEE10hipError_tPvRmT3_T4_T5_T6_T7_T9_mT8_P12ihipStream_tbDpT10_ENKUlT_T0_E_clISt17integral_constantIbLb1EES1C_IbLb0EEEEDaS18_S19_EUlS18_E_NS1_11comp_targetILNS1_3genE0ELNS1_11target_archE4294967295ELNS1_3gpuE0ELNS1_3repE0EEENS1_30default_config_static_selectorELNS0_4arch9wavefront6targetE0EEEvT1_
		.amdhsa_group_segment_fixed_size 0
		.amdhsa_private_segment_fixed_size 0
		.amdhsa_kernarg_size 120
		.amdhsa_user_sgpr_count 2
		.amdhsa_user_sgpr_dispatch_ptr 0
		.amdhsa_user_sgpr_queue_ptr 0
		.amdhsa_user_sgpr_kernarg_segment_ptr 1
		.amdhsa_user_sgpr_dispatch_id 0
		.amdhsa_user_sgpr_private_segment_size 0
		.amdhsa_wavefront_size32 1
		.amdhsa_uses_dynamic_stack 0
		.amdhsa_enable_private_segment 0
		.amdhsa_system_sgpr_workgroup_id_x 1
		.amdhsa_system_sgpr_workgroup_id_y 0
		.amdhsa_system_sgpr_workgroup_id_z 0
		.amdhsa_system_sgpr_workgroup_info 0
		.amdhsa_system_vgpr_workitem_id 0
		.amdhsa_next_free_vgpr 1
		.amdhsa_next_free_sgpr 1
		.amdhsa_reserve_vcc 0
		.amdhsa_float_round_mode_32 0
		.amdhsa_float_round_mode_16_64 0
		.amdhsa_float_denorm_mode_32 3
		.amdhsa_float_denorm_mode_16_64 3
		.amdhsa_fp16_overflow 0
		.amdhsa_workgroup_processor_mode 1
		.amdhsa_memory_ordered 1
		.amdhsa_forward_progress 1
		.amdhsa_inst_pref_size 0
		.amdhsa_round_robin_scheduling 0
		.amdhsa_exception_fp_ieee_invalid_op 0
		.amdhsa_exception_fp_denorm_src 0
		.amdhsa_exception_fp_ieee_div_zero 0
		.amdhsa_exception_fp_ieee_overflow 0
		.amdhsa_exception_fp_ieee_underflow 0
		.amdhsa_exception_fp_ieee_inexact 0
		.amdhsa_exception_int_div_zero 0
	.end_amdhsa_kernel
	.section	.text._ZN7rocprim17ROCPRIM_400000_NS6detail17trampoline_kernelINS0_14default_configENS1_25partition_config_selectorILNS1_17partition_subalgoE5EiNS0_10empty_typeEbEEZZNS1_14partition_implILS5_5ELb0ES3_mN6thrust23THRUST_200600_302600_NS6detail15normal_iteratorINSA_10device_ptrIiEEEEPS6_NSA_18transform_iteratorINSB_9not_fun_tI7is_trueIiEEENSC_INSD_IbEEEENSA_11use_defaultESO_EENS0_5tupleIJSF_S6_EEENSQ_IJSG_SG_EEES6_PlJS6_EEE10hipError_tPvRmT3_T4_T5_T6_T7_T9_mT8_P12ihipStream_tbDpT10_ENKUlT_T0_E_clISt17integral_constantIbLb1EES1C_IbLb0EEEEDaS18_S19_EUlS18_E_NS1_11comp_targetILNS1_3genE0ELNS1_11target_archE4294967295ELNS1_3gpuE0ELNS1_3repE0EEENS1_30default_config_static_selectorELNS0_4arch9wavefront6targetE0EEEvT1_,"axG",@progbits,_ZN7rocprim17ROCPRIM_400000_NS6detail17trampoline_kernelINS0_14default_configENS1_25partition_config_selectorILNS1_17partition_subalgoE5EiNS0_10empty_typeEbEEZZNS1_14partition_implILS5_5ELb0ES3_mN6thrust23THRUST_200600_302600_NS6detail15normal_iteratorINSA_10device_ptrIiEEEEPS6_NSA_18transform_iteratorINSB_9not_fun_tI7is_trueIiEEENSC_INSD_IbEEEENSA_11use_defaultESO_EENS0_5tupleIJSF_S6_EEENSQ_IJSG_SG_EEES6_PlJS6_EEE10hipError_tPvRmT3_T4_T5_T6_T7_T9_mT8_P12ihipStream_tbDpT10_ENKUlT_T0_E_clISt17integral_constantIbLb1EES1C_IbLb0EEEEDaS18_S19_EUlS18_E_NS1_11comp_targetILNS1_3genE0ELNS1_11target_archE4294967295ELNS1_3gpuE0ELNS1_3repE0EEENS1_30default_config_static_selectorELNS0_4arch9wavefront6targetE0EEEvT1_,comdat
.Lfunc_end2541:
	.size	_ZN7rocprim17ROCPRIM_400000_NS6detail17trampoline_kernelINS0_14default_configENS1_25partition_config_selectorILNS1_17partition_subalgoE5EiNS0_10empty_typeEbEEZZNS1_14partition_implILS5_5ELb0ES3_mN6thrust23THRUST_200600_302600_NS6detail15normal_iteratorINSA_10device_ptrIiEEEEPS6_NSA_18transform_iteratorINSB_9not_fun_tI7is_trueIiEEENSC_INSD_IbEEEENSA_11use_defaultESO_EENS0_5tupleIJSF_S6_EEENSQ_IJSG_SG_EEES6_PlJS6_EEE10hipError_tPvRmT3_T4_T5_T6_T7_T9_mT8_P12ihipStream_tbDpT10_ENKUlT_T0_E_clISt17integral_constantIbLb1EES1C_IbLb0EEEEDaS18_S19_EUlS18_E_NS1_11comp_targetILNS1_3genE0ELNS1_11target_archE4294967295ELNS1_3gpuE0ELNS1_3repE0EEENS1_30default_config_static_selectorELNS0_4arch9wavefront6targetE0EEEvT1_, .Lfunc_end2541-_ZN7rocprim17ROCPRIM_400000_NS6detail17trampoline_kernelINS0_14default_configENS1_25partition_config_selectorILNS1_17partition_subalgoE5EiNS0_10empty_typeEbEEZZNS1_14partition_implILS5_5ELb0ES3_mN6thrust23THRUST_200600_302600_NS6detail15normal_iteratorINSA_10device_ptrIiEEEEPS6_NSA_18transform_iteratorINSB_9not_fun_tI7is_trueIiEEENSC_INSD_IbEEEENSA_11use_defaultESO_EENS0_5tupleIJSF_S6_EEENSQ_IJSG_SG_EEES6_PlJS6_EEE10hipError_tPvRmT3_T4_T5_T6_T7_T9_mT8_P12ihipStream_tbDpT10_ENKUlT_T0_E_clISt17integral_constantIbLb1EES1C_IbLb0EEEEDaS18_S19_EUlS18_E_NS1_11comp_targetILNS1_3genE0ELNS1_11target_archE4294967295ELNS1_3gpuE0ELNS1_3repE0EEENS1_30default_config_static_selectorELNS0_4arch9wavefront6targetE0EEEvT1_
                                        ; -- End function
	.set _ZN7rocprim17ROCPRIM_400000_NS6detail17trampoline_kernelINS0_14default_configENS1_25partition_config_selectorILNS1_17partition_subalgoE5EiNS0_10empty_typeEbEEZZNS1_14partition_implILS5_5ELb0ES3_mN6thrust23THRUST_200600_302600_NS6detail15normal_iteratorINSA_10device_ptrIiEEEEPS6_NSA_18transform_iteratorINSB_9not_fun_tI7is_trueIiEEENSC_INSD_IbEEEENSA_11use_defaultESO_EENS0_5tupleIJSF_S6_EEENSQ_IJSG_SG_EEES6_PlJS6_EEE10hipError_tPvRmT3_T4_T5_T6_T7_T9_mT8_P12ihipStream_tbDpT10_ENKUlT_T0_E_clISt17integral_constantIbLb1EES1C_IbLb0EEEEDaS18_S19_EUlS18_E_NS1_11comp_targetILNS1_3genE0ELNS1_11target_archE4294967295ELNS1_3gpuE0ELNS1_3repE0EEENS1_30default_config_static_selectorELNS0_4arch9wavefront6targetE0EEEvT1_.num_vgpr, 0
	.set _ZN7rocprim17ROCPRIM_400000_NS6detail17trampoline_kernelINS0_14default_configENS1_25partition_config_selectorILNS1_17partition_subalgoE5EiNS0_10empty_typeEbEEZZNS1_14partition_implILS5_5ELb0ES3_mN6thrust23THRUST_200600_302600_NS6detail15normal_iteratorINSA_10device_ptrIiEEEEPS6_NSA_18transform_iteratorINSB_9not_fun_tI7is_trueIiEEENSC_INSD_IbEEEENSA_11use_defaultESO_EENS0_5tupleIJSF_S6_EEENSQ_IJSG_SG_EEES6_PlJS6_EEE10hipError_tPvRmT3_T4_T5_T6_T7_T9_mT8_P12ihipStream_tbDpT10_ENKUlT_T0_E_clISt17integral_constantIbLb1EES1C_IbLb0EEEEDaS18_S19_EUlS18_E_NS1_11comp_targetILNS1_3genE0ELNS1_11target_archE4294967295ELNS1_3gpuE0ELNS1_3repE0EEENS1_30default_config_static_selectorELNS0_4arch9wavefront6targetE0EEEvT1_.num_agpr, 0
	.set _ZN7rocprim17ROCPRIM_400000_NS6detail17trampoline_kernelINS0_14default_configENS1_25partition_config_selectorILNS1_17partition_subalgoE5EiNS0_10empty_typeEbEEZZNS1_14partition_implILS5_5ELb0ES3_mN6thrust23THRUST_200600_302600_NS6detail15normal_iteratorINSA_10device_ptrIiEEEEPS6_NSA_18transform_iteratorINSB_9not_fun_tI7is_trueIiEEENSC_INSD_IbEEEENSA_11use_defaultESO_EENS0_5tupleIJSF_S6_EEENSQ_IJSG_SG_EEES6_PlJS6_EEE10hipError_tPvRmT3_T4_T5_T6_T7_T9_mT8_P12ihipStream_tbDpT10_ENKUlT_T0_E_clISt17integral_constantIbLb1EES1C_IbLb0EEEEDaS18_S19_EUlS18_E_NS1_11comp_targetILNS1_3genE0ELNS1_11target_archE4294967295ELNS1_3gpuE0ELNS1_3repE0EEENS1_30default_config_static_selectorELNS0_4arch9wavefront6targetE0EEEvT1_.numbered_sgpr, 0
	.set _ZN7rocprim17ROCPRIM_400000_NS6detail17trampoline_kernelINS0_14default_configENS1_25partition_config_selectorILNS1_17partition_subalgoE5EiNS0_10empty_typeEbEEZZNS1_14partition_implILS5_5ELb0ES3_mN6thrust23THRUST_200600_302600_NS6detail15normal_iteratorINSA_10device_ptrIiEEEEPS6_NSA_18transform_iteratorINSB_9not_fun_tI7is_trueIiEEENSC_INSD_IbEEEENSA_11use_defaultESO_EENS0_5tupleIJSF_S6_EEENSQ_IJSG_SG_EEES6_PlJS6_EEE10hipError_tPvRmT3_T4_T5_T6_T7_T9_mT8_P12ihipStream_tbDpT10_ENKUlT_T0_E_clISt17integral_constantIbLb1EES1C_IbLb0EEEEDaS18_S19_EUlS18_E_NS1_11comp_targetILNS1_3genE0ELNS1_11target_archE4294967295ELNS1_3gpuE0ELNS1_3repE0EEENS1_30default_config_static_selectorELNS0_4arch9wavefront6targetE0EEEvT1_.num_named_barrier, 0
	.set _ZN7rocprim17ROCPRIM_400000_NS6detail17trampoline_kernelINS0_14default_configENS1_25partition_config_selectorILNS1_17partition_subalgoE5EiNS0_10empty_typeEbEEZZNS1_14partition_implILS5_5ELb0ES3_mN6thrust23THRUST_200600_302600_NS6detail15normal_iteratorINSA_10device_ptrIiEEEEPS6_NSA_18transform_iteratorINSB_9not_fun_tI7is_trueIiEEENSC_INSD_IbEEEENSA_11use_defaultESO_EENS0_5tupleIJSF_S6_EEENSQ_IJSG_SG_EEES6_PlJS6_EEE10hipError_tPvRmT3_T4_T5_T6_T7_T9_mT8_P12ihipStream_tbDpT10_ENKUlT_T0_E_clISt17integral_constantIbLb1EES1C_IbLb0EEEEDaS18_S19_EUlS18_E_NS1_11comp_targetILNS1_3genE0ELNS1_11target_archE4294967295ELNS1_3gpuE0ELNS1_3repE0EEENS1_30default_config_static_selectorELNS0_4arch9wavefront6targetE0EEEvT1_.private_seg_size, 0
	.set _ZN7rocprim17ROCPRIM_400000_NS6detail17trampoline_kernelINS0_14default_configENS1_25partition_config_selectorILNS1_17partition_subalgoE5EiNS0_10empty_typeEbEEZZNS1_14partition_implILS5_5ELb0ES3_mN6thrust23THRUST_200600_302600_NS6detail15normal_iteratorINSA_10device_ptrIiEEEEPS6_NSA_18transform_iteratorINSB_9not_fun_tI7is_trueIiEEENSC_INSD_IbEEEENSA_11use_defaultESO_EENS0_5tupleIJSF_S6_EEENSQ_IJSG_SG_EEES6_PlJS6_EEE10hipError_tPvRmT3_T4_T5_T6_T7_T9_mT8_P12ihipStream_tbDpT10_ENKUlT_T0_E_clISt17integral_constantIbLb1EES1C_IbLb0EEEEDaS18_S19_EUlS18_E_NS1_11comp_targetILNS1_3genE0ELNS1_11target_archE4294967295ELNS1_3gpuE0ELNS1_3repE0EEENS1_30default_config_static_selectorELNS0_4arch9wavefront6targetE0EEEvT1_.uses_vcc, 0
	.set _ZN7rocprim17ROCPRIM_400000_NS6detail17trampoline_kernelINS0_14default_configENS1_25partition_config_selectorILNS1_17partition_subalgoE5EiNS0_10empty_typeEbEEZZNS1_14partition_implILS5_5ELb0ES3_mN6thrust23THRUST_200600_302600_NS6detail15normal_iteratorINSA_10device_ptrIiEEEEPS6_NSA_18transform_iteratorINSB_9not_fun_tI7is_trueIiEEENSC_INSD_IbEEEENSA_11use_defaultESO_EENS0_5tupleIJSF_S6_EEENSQ_IJSG_SG_EEES6_PlJS6_EEE10hipError_tPvRmT3_T4_T5_T6_T7_T9_mT8_P12ihipStream_tbDpT10_ENKUlT_T0_E_clISt17integral_constantIbLb1EES1C_IbLb0EEEEDaS18_S19_EUlS18_E_NS1_11comp_targetILNS1_3genE0ELNS1_11target_archE4294967295ELNS1_3gpuE0ELNS1_3repE0EEENS1_30default_config_static_selectorELNS0_4arch9wavefront6targetE0EEEvT1_.uses_flat_scratch, 0
	.set _ZN7rocprim17ROCPRIM_400000_NS6detail17trampoline_kernelINS0_14default_configENS1_25partition_config_selectorILNS1_17partition_subalgoE5EiNS0_10empty_typeEbEEZZNS1_14partition_implILS5_5ELb0ES3_mN6thrust23THRUST_200600_302600_NS6detail15normal_iteratorINSA_10device_ptrIiEEEEPS6_NSA_18transform_iteratorINSB_9not_fun_tI7is_trueIiEEENSC_INSD_IbEEEENSA_11use_defaultESO_EENS0_5tupleIJSF_S6_EEENSQ_IJSG_SG_EEES6_PlJS6_EEE10hipError_tPvRmT3_T4_T5_T6_T7_T9_mT8_P12ihipStream_tbDpT10_ENKUlT_T0_E_clISt17integral_constantIbLb1EES1C_IbLb0EEEEDaS18_S19_EUlS18_E_NS1_11comp_targetILNS1_3genE0ELNS1_11target_archE4294967295ELNS1_3gpuE0ELNS1_3repE0EEENS1_30default_config_static_selectorELNS0_4arch9wavefront6targetE0EEEvT1_.has_dyn_sized_stack, 0
	.set _ZN7rocprim17ROCPRIM_400000_NS6detail17trampoline_kernelINS0_14default_configENS1_25partition_config_selectorILNS1_17partition_subalgoE5EiNS0_10empty_typeEbEEZZNS1_14partition_implILS5_5ELb0ES3_mN6thrust23THRUST_200600_302600_NS6detail15normal_iteratorINSA_10device_ptrIiEEEEPS6_NSA_18transform_iteratorINSB_9not_fun_tI7is_trueIiEEENSC_INSD_IbEEEENSA_11use_defaultESO_EENS0_5tupleIJSF_S6_EEENSQ_IJSG_SG_EEES6_PlJS6_EEE10hipError_tPvRmT3_T4_T5_T6_T7_T9_mT8_P12ihipStream_tbDpT10_ENKUlT_T0_E_clISt17integral_constantIbLb1EES1C_IbLb0EEEEDaS18_S19_EUlS18_E_NS1_11comp_targetILNS1_3genE0ELNS1_11target_archE4294967295ELNS1_3gpuE0ELNS1_3repE0EEENS1_30default_config_static_selectorELNS0_4arch9wavefront6targetE0EEEvT1_.has_recursion, 0
	.set _ZN7rocprim17ROCPRIM_400000_NS6detail17trampoline_kernelINS0_14default_configENS1_25partition_config_selectorILNS1_17partition_subalgoE5EiNS0_10empty_typeEbEEZZNS1_14partition_implILS5_5ELb0ES3_mN6thrust23THRUST_200600_302600_NS6detail15normal_iteratorINSA_10device_ptrIiEEEEPS6_NSA_18transform_iteratorINSB_9not_fun_tI7is_trueIiEEENSC_INSD_IbEEEENSA_11use_defaultESO_EENS0_5tupleIJSF_S6_EEENSQ_IJSG_SG_EEES6_PlJS6_EEE10hipError_tPvRmT3_T4_T5_T6_T7_T9_mT8_P12ihipStream_tbDpT10_ENKUlT_T0_E_clISt17integral_constantIbLb1EES1C_IbLb0EEEEDaS18_S19_EUlS18_E_NS1_11comp_targetILNS1_3genE0ELNS1_11target_archE4294967295ELNS1_3gpuE0ELNS1_3repE0EEENS1_30default_config_static_selectorELNS0_4arch9wavefront6targetE0EEEvT1_.has_indirect_call, 0
	.section	.AMDGPU.csdata,"",@progbits
; Kernel info:
; codeLenInByte = 0
; TotalNumSgprs: 0
; NumVgprs: 0
; ScratchSize: 0
; MemoryBound: 0
; FloatMode: 240
; IeeeMode: 1
; LDSByteSize: 0 bytes/workgroup (compile time only)
; SGPRBlocks: 0
; VGPRBlocks: 0
; NumSGPRsForWavesPerEU: 1
; NumVGPRsForWavesPerEU: 1
; Occupancy: 16
; WaveLimiterHint : 0
; COMPUTE_PGM_RSRC2:SCRATCH_EN: 0
; COMPUTE_PGM_RSRC2:USER_SGPR: 2
; COMPUTE_PGM_RSRC2:TRAP_HANDLER: 0
; COMPUTE_PGM_RSRC2:TGID_X_EN: 1
; COMPUTE_PGM_RSRC2:TGID_Y_EN: 0
; COMPUTE_PGM_RSRC2:TGID_Z_EN: 0
; COMPUTE_PGM_RSRC2:TIDIG_COMP_CNT: 0
	.section	.text._ZN7rocprim17ROCPRIM_400000_NS6detail17trampoline_kernelINS0_14default_configENS1_25partition_config_selectorILNS1_17partition_subalgoE5EiNS0_10empty_typeEbEEZZNS1_14partition_implILS5_5ELb0ES3_mN6thrust23THRUST_200600_302600_NS6detail15normal_iteratorINSA_10device_ptrIiEEEEPS6_NSA_18transform_iteratorINSB_9not_fun_tI7is_trueIiEEENSC_INSD_IbEEEENSA_11use_defaultESO_EENS0_5tupleIJSF_S6_EEENSQ_IJSG_SG_EEES6_PlJS6_EEE10hipError_tPvRmT3_T4_T5_T6_T7_T9_mT8_P12ihipStream_tbDpT10_ENKUlT_T0_E_clISt17integral_constantIbLb1EES1C_IbLb0EEEEDaS18_S19_EUlS18_E_NS1_11comp_targetILNS1_3genE5ELNS1_11target_archE942ELNS1_3gpuE9ELNS1_3repE0EEENS1_30default_config_static_selectorELNS0_4arch9wavefront6targetE0EEEvT1_,"axG",@progbits,_ZN7rocprim17ROCPRIM_400000_NS6detail17trampoline_kernelINS0_14default_configENS1_25partition_config_selectorILNS1_17partition_subalgoE5EiNS0_10empty_typeEbEEZZNS1_14partition_implILS5_5ELb0ES3_mN6thrust23THRUST_200600_302600_NS6detail15normal_iteratorINSA_10device_ptrIiEEEEPS6_NSA_18transform_iteratorINSB_9not_fun_tI7is_trueIiEEENSC_INSD_IbEEEENSA_11use_defaultESO_EENS0_5tupleIJSF_S6_EEENSQ_IJSG_SG_EEES6_PlJS6_EEE10hipError_tPvRmT3_T4_T5_T6_T7_T9_mT8_P12ihipStream_tbDpT10_ENKUlT_T0_E_clISt17integral_constantIbLb1EES1C_IbLb0EEEEDaS18_S19_EUlS18_E_NS1_11comp_targetILNS1_3genE5ELNS1_11target_archE942ELNS1_3gpuE9ELNS1_3repE0EEENS1_30default_config_static_selectorELNS0_4arch9wavefront6targetE0EEEvT1_,comdat
	.protected	_ZN7rocprim17ROCPRIM_400000_NS6detail17trampoline_kernelINS0_14default_configENS1_25partition_config_selectorILNS1_17partition_subalgoE5EiNS0_10empty_typeEbEEZZNS1_14partition_implILS5_5ELb0ES3_mN6thrust23THRUST_200600_302600_NS6detail15normal_iteratorINSA_10device_ptrIiEEEEPS6_NSA_18transform_iteratorINSB_9not_fun_tI7is_trueIiEEENSC_INSD_IbEEEENSA_11use_defaultESO_EENS0_5tupleIJSF_S6_EEENSQ_IJSG_SG_EEES6_PlJS6_EEE10hipError_tPvRmT3_T4_T5_T6_T7_T9_mT8_P12ihipStream_tbDpT10_ENKUlT_T0_E_clISt17integral_constantIbLb1EES1C_IbLb0EEEEDaS18_S19_EUlS18_E_NS1_11comp_targetILNS1_3genE5ELNS1_11target_archE942ELNS1_3gpuE9ELNS1_3repE0EEENS1_30default_config_static_selectorELNS0_4arch9wavefront6targetE0EEEvT1_ ; -- Begin function _ZN7rocprim17ROCPRIM_400000_NS6detail17trampoline_kernelINS0_14default_configENS1_25partition_config_selectorILNS1_17partition_subalgoE5EiNS0_10empty_typeEbEEZZNS1_14partition_implILS5_5ELb0ES3_mN6thrust23THRUST_200600_302600_NS6detail15normal_iteratorINSA_10device_ptrIiEEEEPS6_NSA_18transform_iteratorINSB_9not_fun_tI7is_trueIiEEENSC_INSD_IbEEEENSA_11use_defaultESO_EENS0_5tupleIJSF_S6_EEENSQ_IJSG_SG_EEES6_PlJS6_EEE10hipError_tPvRmT3_T4_T5_T6_T7_T9_mT8_P12ihipStream_tbDpT10_ENKUlT_T0_E_clISt17integral_constantIbLb1EES1C_IbLb0EEEEDaS18_S19_EUlS18_E_NS1_11comp_targetILNS1_3genE5ELNS1_11target_archE942ELNS1_3gpuE9ELNS1_3repE0EEENS1_30default_config_static_selectorELNS0_4arch9wavefront6targetE0EEEvT1_
	.globl	_ZN7rocprim17ROCPRIM_400000_NS6detail17trampoline_kernelINS0_14default_configENS1_25partition_config_selectorILNS1_17partition_subalgoE5EiNS0_10empty_typeEbEEZZNS1_14partition_implILS5_5ELb0ES3_mN6thrust23THRUST_200600_302600_NS6detail15normal_iteratorINSA_10device_ptrIiEEEEPS6_NSA_18transform_iteratorINSB_9not_fun_tI7is_trueIiEEENSC_INSD_IbEEEENSA_11use_defaultESO_EENS0_5tupleIJSF_S6_EEENSQ_IJSG_SG_EEES6_PlJS6_EEE10hipError_tPvRmT3_T4_T5_T6_T7_T9_mT8_P12ihipStream_tbDpT10_ENKUlT_T0_E_clISt17integral_constantIbLb1EES1C_IbLb0EEEEDaS18_S19_EUlS18_E_NS1_11comp_targetILNS1_3genE5ELNS1_11target_archE942ELNS1_3gpuE9ELNS1_3repE0EEENS1_30default_config_static_selectorELNS0_4arch9wavefront6targetE0EEEvT1_
	.p2align	8
	.type	_ZN7rocprim17ROCPRIM_400000_NS6detail17trampoline_kernelINS0_14default_configENS1_25partition_config_selectorILNS1_17partition_subalgoE5EiNS0_10empty_typeEbEEZZNS1_14partition_implILS5_5ELb0ES3_mN6thrust23THRUST_200600_302600_NS6detail15normal_iteratorINSA_10device_ptrIiEEEEPS6_NSA_18transform_iteratorINSB_9not_fun_tI7is_trueIiEEENSC_INSD_IbEEEENSA_11use_defaultESO_EENS0_5tupleIJSF_S6_EEENSQ_IJSG_SG_EEES6_PlJS6_EEE10hipError_tPvRmT3_T4_T5_T6_T7_T9_mT8_P12ihipStream_tbDpT10_ENKUlT_T0_E_clISt17integral_constantIbLb1EES1C_IbLb0EEEEDaS18_S19_EUlS18_E_NS1_11comp_targetILNS1_3genE5ELNS1_11target_archE942ELNS1_3gpuE9ELNS1_3repE0EEENS1_30default_config_static_selectorELNS0_4arch9wavefront6targetE0EEEvT1_,@function
_ZN7rocprim17ROCPRIM_400000_NS6detail17trampoline_kernelINS0_14default_configENS1_25partition_config_selectorILNS1_17partition_subalgoE5EiNS0_10empty_typeEbEEZZNS1_14partition_implILS5_5ELb0ES3_mN6thrust23THRUST_200600_302600_NS6detail15normal_iteratorINSA_10device_ptrIiEEEEPS6_NSA_18transform_iteratorINSB_9not_fun_tI7is_trueIiEEENSC_INSD_IbEEEENSA_11use_defaultESO_EENS0_5tupleIJSF_S6_EEENSQ_IJSG_SG_EEES6_PlJS6_EEE10hipError_tPvRmT3_T4_T5_T6_T7_T9_mT8_P12ihipStream_tbDpT10_ENKUlT_T0_E_clISt17integral_constantIbLb1EES1C_IbLb0EEEEDaS18_S19_EUlS18_E_NS1_11comp_targetILNS1_3genE5ELNS1_11target_archE942ELNS1_3gpuE9ELNS1_3repE0EEENS1_30default_config_static_selectorELNS0_4arch9wavefront6targetE0EEEvT1_: ; @_ZN7rocprim17ROCPRIM_400000_NS6detail17trampoline_kernelINS0_14default_configENS1_25partition_config_selectorILNS1_17partition_subalgoE5EiNS0_10empty_typeEbEEZZNS1_14partition_implILS5_5ELb0ES3_mN6thrust23THRUST_200600_302600_NS6detail15normal_iteratorINSA_10device_ptrIiEEEEPS6_NSA_18transform_iteratorINSB_9not_fun_tI7is_trueIiEEENSC_INSD_IbEEEENSA_11use_defaultESO_EENS0_5tupleIJSF_S6_EEENSQ_IJSG_SG_EEES6_PlJS6_EEE10hipError_tPvRmT3_T4_T5_T6_T7_T9_mT8_P12ihipStream_tbDpT10_ENKUlT_T0_E_clISt17integral_constantIbLb1EES1C_IbLb0EEEEDaS18_S19_EUlS18_E_NS1_11comp_targetILNS1_3genE5ELNS1_11target_archE942ELNS1_3gpuE9ELNS1_3repE0EEENS1_30default_config_static_selectorELNS0_4arch9wavefront6targetE0EEEvT1_
; %bb.0:
	.section	.rodata,"a",@progbits
	.p2align	6, 0x0
	.amdhsa_kernel _ZN7rocprim17ROCPRIM_400000_NS6detail17trampoline_kernelINS0_14default_configENS1_25partition_config_selectorILNS1_17partition_subalgoE5EiNS0_10empty_typeEbEEZZNS1_14partition_implILS5_5ELb0ES3_mN6thrust23THRUST_200600_302600_NS6detail15normal_iteratorINSA_10device_ptrIiEEEEPS6_NSA_18transform_iteratorINSB_9not_fun_tI7is_trueIiEEENSC_INSD_IbEEEENSA_11use_defaultESO_EENS0_5tupleIJSF_S6_EEENSQ_IJSG_SG_EEES6_PlJS6_EEE10hipError_tPvRmT3_T4_T5_T6_T7_T9_mT8_P12ihipStream_tbDpT10_ENKUlT_T0_E_clISt17integral_constantIbLb1EES1C_IbLb0EEEEDaS18_S19_EUlS18_E_NS1_11comp_targetILNS1_3genE5ELNS1_11target_archE942ELNS1_3gpuE9ELNS1_3repE0EEENS1_30default_config_static_selectorELNS0_4arch9wavefront6targetE0EEEvT1_
		.amdhsa_group_segment_fixed_size 0
		.amdhsa_private_segment_fixed_size 0
		.amdhsa_kernarg_size 120
		.amdhsa_user_sgpr_count 2
		.amdhsa_user_sgpr_dispatch_ptr 0
		.amdhsa_user_sgpr_queue_ptr 0
		.amdhsa_user_sgpr_kernarg_segment_ptr 1
		.amdhsa_user_sgpr_dispatch_id 0
		.amdhsa_user_sgpr_private_segment_size 0
		.amdhsa_wavefront_size32 1
		.amdhsa_uses_dynamic_stack 0
		.amdhsa_enable_private_segment 0
		.amdhsa_system_sgpr_workgroup_id_x 1
		.amdhsa_system_sgpr_workgroup_id_y 0
		.amdhsa_system_sgpr_workgroup_id_z 0
		.amdhsa_system_sgpr_workgroup_info 0
		.amdhsa_system_vgpr_workitem_id 0
		.amdhsa_next_free_vgpr 1
		.amdhsa_next_free_sgpr 1
		.amdhsa_reserve_vcc 0
		.amdhsa_float_round_mode_32 0
		.amdhsa_float_round_mode_16_64 0
		.amdhsa_float_denorm_mode_32 3
		.amdhsa_float_denorm_mode_16_64 3
		.amdhsa_fp16_overflow 0
		.amdhsa_workgroup_processor_mode 1
		.amdhsa_memory_ordered 1
		.amdhsa_forward_progress 1
		.amdhsa_inst_pref_size 0
		.amdhsa_round_robin_scheduling 0
		.amdhsa_exception_fp_ieee_invalid_op 0
		.amdhsa_exception_fp_denorm_src 0
		.amdhsa_exception_fp_ieee_div_zero 0
		.amdhsa_exception_fp_ieee_overflow 0
		.amdhsa_exception_fp_ieee_underflow 0
		.amdhsa_exception_fp_ieee_inexact 0
		.amdhsa_exception_int_div_zero 0
	.end_amdhsa_kernel
	.section	.text._ZN7rocprim17ROCPRIM_400000_NS6detail17trampoline_kernelINS0_14default_configENS1_25partition_config_selectorILNS1_17partition_subalgoE5EiNS0_10empty_typeEbEEZZNS1_14partition_implILS5_5ELb0ES3_mN6thrust23THRUST_200600_302600_NS6detail15normal_iteratorINSA_10device_ptrIiEEEEPS6_NSA_18transform_iteratorINSB_9not_fun_tI7is_trueIiEEENSC_INSD_IbEEEENSA_11use_defaultESO_EENS0_5tupleIJSF_S6_EEENSQ_IJSG_SG_EEES6_PlJS6_EEE10hipError_tPvRmT3_T4_T5_T6_T7_T9_mT8_P12ihipStream_tbDpT10_ENKUlT_T0_E_clISt17integral_constantIbLb1EES1C_IbLb0EEEEDaS18_S19_EUlS18_E_NS1_11comp_targetILNS1_3genE5ELNS1_11target_archE942ELNS1_3gpuE9ELNS1_3repE0EEENS1_30default_config_static_selectorELNS0_4arch9wavefront6targetE0EEEvT1_,"axG",@progbits,_ZN7rocprim17ROCPRIM_400000_NS6detail17trampoline_kernelINS0_14default_configENS1_25partition_config_selectorILNS1_17partition_subalgoE5EiNS0_10empty_typeEbEEZZNS1_14partition_implILS5_5ELb0ES3_mN6thrust23THRUST_200600_302600_NS6detail15normal_iteratorINSA_10device_ptrIiEEEEPS6_NSA_18transform_iteratorINSB_9not_fun_tI7is_trueIiEEENSC_INSD_IbEEEENSA_11use_defaultESO_EENS0_5tupleIJSF_S6_EEENSQ_IJSG_SG_EEES6_PlJS6_EEE10hipError_tPvRmT3_T4_T5_T6_T7_T9_mT8_P12ihipStream_tbDpT10_ENKUlT_T0_E_clISt17integral_constantIbLb1EES1C_IbLb0EEEEDaS18_S19_EUlS18_E_NS1_11comp_targetILNS1_3genE5ELNS1_11target_archE942ELNS1_3gpuE9ELNS1_3repE0EEENS1_30default_config_static_selectorELNS0_4arch9wavefront6targetE0EEEvT1_,comdat
.Lfunc_end2542:
	.size	_ZN7rocprim17ROCPRIM_400000_NS6detail17trampoline_kernelINS0_14default_configENS1_25partition_config_selectorILNS1_17partition_subalgoE5EiNS0_10empty_typeEbEEZZNS1_14partition_implILS5_5ELb0ES3_mN6thrust23THRUST_200600_302600_NS6detail15normal_iteratorINSA_10device_ptrIiEEEEPS6_NSA_18transform_iteratorINSB_9not_fun_tI7is_trueIiEEENSC_INSD_IbEEEENSA_11use_defaultESO_EENS0_5tupleIJSF_S6_EEENSQ_IJSG_SG_EEES6_PlJS6_EEE10hipError_tPvRmT3_T4_T5_T6_T7_T9_mT8_P12ihipStream_tbDpT10_ENKUlT_T0_E_clISt17integral_constantIbLb1EES1C_IbLb0EEEEDaS18_S19_EUlS18_E_NS1_11comp_targetILNS1_3genE5ELNS1_11target_archE942ELNS1_3gpuE9ELNS1_3repE0EEENS1_30default_config_static_selectorELNS0_4arch9wavefront6targetE0EEEvT1_, .Lfunc_end2542-_ZN7rocprim17ROCPRIM_400000_NS6detail17trampoline_kernelINS0_14default_configENS1_25partition_config_selectorILNS1_17partition_subalgoE5EiNS0_10empty_typeEbEEZZNS1_14partition_implILS5_5ELb0ES3_mN6thrust23THRUST_200600_302600_NS6detail15normal_iteratorINSA_10device_ptrIiEEEEPS6_NSA_18transform_iteratorINSB_9not_fun_tI7is_trueIiEEENSC_INSD_IbEEEENSA_11use_defaultESO_EENS0_5tupleIJSF_S6_EEENSQ_IJSG_SG_EEES6_PlJS6_EEE10hipError_tPvRmT3_T4_T5_T6_T7_T9_mT8_P12ihipStream_tbDpT10_ENKUlT_T0_E_clISt17integral_constantIbLb1EES1C_IbLb0EEEEDaS18_S19_EUlS18_E_NS1_11comp_targetILNS1_3genE5ELNS1_11target_archE942ELNS1_3gpuE9ELNS1_3repE0EEENS1_30default_config_static_selectorELNS0_4arch9wavefront6targetE0EEEvT1_
                                        ; -- End function
	.set _ZN7rocprim17ROCPRIM_400000_NS6detail17trampoline_kernelINS0_14default_configENS1_25partition_config_selectorILNS1_17partition_subalgoE5EiNS0_10empty_typeEbEEZZNS1_14partition_implILS5_5ELb0ES3_mN6thrust23THRUST_200600_302600_NS6detail15normal_iteratorINSA_10device_ptrIiEEEEPS6_NSA_18transform_iteratorINSB_9not_fun_tI7is_trueIiEEENSC_INSD_IbEEEENSA_11use_defaultESO_EENS0_5tupleIJSF_S6_EEENSQ_IJSG_SG_EEES6_PlJS6_EEE10hipError_tPvRmT3_T4_T5_T6_T7_T9_mT8_P12ihipStream_tbDpT10_ENKUlT_T0_E_clISt17integral_constantIbLb1EES1C_IbLb0EEEEDaS18_S19_EUlS18_E_NS1_11comp_targetILNS1_3genE5ELNS1_11target_archE942ELNS1_3gpuE9ELNS1_3repE0EEENS1_30default_config_static_selectorELNS0_4arch9wavefront6targetE0EEEvT1_.num_vgpr, 0
	.set _ZN7rocprim17ROCPRIM_400000_NS6detail17trampoline_kernelINS0_14default_configENS1_25partition_config_selectorILNS1_17partition_subalgoE5EiNS0_10empty_typeEbEEZZNS1_14partition_implILS5_5ELb0ES3_mN6thrust23THRUST_200600_302600_NS6detail15normal_iteratorINSA_10device_ptrIiEEEEPS6_NSA_18transform_iteratorINSB_9not_fun_tI7is_trueIiEEENSC_INSD_IbEEEENSA_11use_defaultESO_EENS0_5tupleIJSF_S6_EEENSQ_IJSG_SG_EEES6_PlJS6_EEE10hipError_tPvRmT3_T4_T5_T6_T7_T9_mT8_P12ihipStream_tbDpT10_ENKUlT_T0_E_clISt17integral_constantIbLb1EES1C_IbLb0EEEEDaS18_S19_EUlS18_E_NS1_11comp_targetILNS1_3genE5ELNS1_11target_archE942ELNS1_3gpuE9ELNS1_3repE0EEENS1_30default_config_static_selectorELNS0_4arch9wavefront6targetE0EEEvT1_.num_agpr, 0
	.set _ZN7rocprim17ROCPRIM_400000_NS6detail17trampoline_kernelINS0_14default_configENS1_25partition_config_selectorILNS1_17partition_subalgoE5EiNS0_10empty_typeEbEEZZNS1_14partition_implILS5_5ELb0ES3_mN6thrust23THRUST_200600_302600_NS6detail15normal_iteratorINSA_10device_ptrIiEEEEPS6_NSA_18transform_iteratorINSB_9not_fun_tI7is_trueIiEEENSC_INSD_IbEEEENSA_11use_defaultESO_EENS0_5tupleIJSF_S6_EEENSQ_IJSG_SG_EEES6_PlJS6_EEE10hipError_tPvRmT3_T4_T5_T6_T7_T9_mT8_P12ihipStream_tbDpT10_ENKUlT_T0_E_clISt17integral_constantIbLb1EES1C_IbLb0EEEEDaS18_S19_EUlS18_E_NS1_11comp_targetILNS1_3genE5ELNS1_11target_archE942ELNS1_3gpuE9ELNS1_3repE0EEENS1_30default_config_static_selectorELNS0_4arch9wavefront6targetE0EEEvT1_.numbered_sgpr, 0
	.set _ZN7rocprim17ROCPRIM_400000_NS6detail17trampoline_kernelINS0_14default_configENS1_25partition_config_selectorILNS1_17partition_subalgoE5EiNS0_10empty_typeEbEEZZNS1_14partition_implILS5_5ELb0ES3_mN6thrust23THRUST_200600_302600_NS6detail15normal_iteratorINSA_10device_ptrIiEEEEPS6_NSA_18transform_iteratorINSB_9not_fun_tI7is_trueIiEEENSC_INSD_IbEEEENSA_11use_defaultESO_EENS0_5tupleIJSF_S6_EEENSQ_IJSG_SG_EEES6_PlJS6_EEE10hipError_tPvRmT3_T4_T5_T6_T7_T9_mT8_P12ihipStream_tbDpT10_ENKUlT_T0_E_clISt17integral_constantIbLb1EES1C_IbLb0EEEEDaS18_S19_EUlS18_E_NS1_11comp_targetILNS1_3genE5ELNS1_11target_archE942ELNS1_3gpuE9ELNS1_3repE0EEENS1_30default_config_static_selectorELNS0_4arch9wavefront6targetE0EEEvT1_.num_named_barrier, 0
	.set _ZN7rocprim17ROCPRIM_400000_NS6detail17trampoline_kernelINS0_14default_configENS1_25partition_config_selectorILNS1_17partition_subalgoE5EiNS0_10empty_typeEbEEZZNS1_14partition_implILS5_5ELb0ES3_mN6thrust23THRUST_200600_302600_NS6detail15normal_iteratorINSA_10device_ptrIiEEEEPS6_NSA_18transform_iteratorINSB_9not_fun_tI7is_trueIiEEENSC_INSD_IbEEEENSA_11use_defaultESO_EENS0_5tupleIJSF_S6_EEENSQ_IJSG_SG_EEES6_PlJS6_EEE10hipError_tPvRmT3_T4_T5_T6_T7_T9_mT8_P12ihipStream_tbDpT10_ENKUlT_T0_E_clISt17integral_constantIbLb1EES1C_IbLb0EEEEDaS18_S19_EUlS18_E_NS1_11comp_targetILNS1_3genE5ELNS1_11target_archE942ELNS1_3gpuE9ELNS1_3repE0EEENS1_30default_config_static_selectorELNS0_4arch9wavefront6targetE0EEEvT1_.private_seg_size, 0
	.set _ZN7rocprim17ROCPRIM_400000_NS6detail17trampoline_kernelINS0_14default_configENS1_25partition_config_selectorILNS1_17partition_subalgoE5EiNS0_10empty_typeEbEEZZNS1_14partition_implILS5_5ELb0ES3_mN6thrust23THRUST_200600_302600_NS6detail15normal_iteratorINSA_10device_ptrIiEEEEPS6_NSA_18transform_iteratorINSB_9not_fun_tI7is_trueIiEEENSC_INSD_IbEEEENSA_11use_defaultESO_EENS0_5tupleIJSF_S6_EEENSQ_IJSG_SG_EEES6_PlJS6_EEE10hipError_tPvRmT3_T4_T5_T6_T7_T9_mT8_P12ihipStream_tbDpT10_ENKUlT_T0_E_clISt17integral_constantIbLb1EES1C_IbLb0EEEEDaS18_S19_EUlS18_E_NS1_11comp_targetILNS1_3genE5ELNS1_11target_archE942ELNS1_3gpuE9ELNS1_3repE0EEENS1_30default_config_static_selectorELNS0_4arch9wavefront6targetE0EEEvT1_.uses_vcc, 0
	.set _ZN7rocprim17ROCPRIM_400000_NS6detail17trampoline_kernelINS0_14default_configENS1_25partition_config_selectorILNS1_17partition_subalgoE5EiNS0_10empty_typeEbEEZZNS1_14partition_implILS5_5ELb0ES3_mN6thrust23THRUST_200600_302600_NS6detail15normal_iteratorINSA_10device_ptrIiEEEEPS6_NSA_18transform_iteratorINSB_9not_fun_tI7is_trueIiEEENSC_INSD_IbEEEENSA_11use_defaultESO_EENS0_5tupleIJSF_S6_EEENSQ_IJSG_SG_EEES6_PlJS6_EEE10hipError_tPvRmT3_T4_T5_T6_T7_T9_mT8_P12ihipStream_tbDpT10_ENKUlT_T0_E_clISt17integral_constantIbLb1EES1C_IbLb0EEEEDaS18_S19_EUlS18_E_NS1_11comp_targetILNS1_3genE5ELNS1_11target_archE942ELNS1_3gpuE9ELNS1_3repE0EEENS1_30default_config_static_selectorELNS0_4arch9wavefront6targetE0EEEvT1_.uses_flat_scratch, 0
	.set _ZN7rocprim17ROCPRIM_400000_NS6detail17trampoline_kernelINS0_14default_configENS1_25partition_config_selectorILNS1_17partition_subalgoE5EiNS0_10empty_typeEbEEZZNS1_14partition_implILS5_5ELb0ES3_mN6thrust23THRUST_200600_302600_NS6detail15normal_iteratorINSA_10device_ptrIiEEEEPS6_NSA_18transform_iteratorINSB_9not_fun_tI7is_trueIiEEENSC_INSD_IbEEEENSA_11use_defaultESO_EENS0_5tupleIJSF_S6_EEENSQ_IJSG_SG_EEES6_PlJS6_EEE10hipError_tPvRmT3_T4_T5_T6_T7_T9_mT8_P12ihipStream_tbDpT10_ENKUlT_T0_E_clISt17integral_constantIbLb1EES1C_IbLb0EEEEDaS18_S19_EUlS18_E_NS1_11comp_targetILNS1_3genE5ELNS1_11target_archE942ELNS1_3gpuE9ELNS1_3repE0EEENS1_30default_config_static_selectorELNS0_4arch9wavefront6targetE0EEEvT1_.has_dyn_sized_stack, 0
	.set _ZN7rocprim17ROCPRIM_400000_NS6detail17trampoline_kernelINS0_14default_configENS1_25partition_config_selectorILNS1_17partition_subalgoE5EiNS0_10empty_typeEbEEZZNS1_14partition_implILS5_5ELb0ES3_mN6thrust23THRUST_200600_302600_NS6detail15normal_iteratorINSA_10device_ptrIiEEEEPS6_NSA_18transform_iteratorINSB_9not_fun_tI7is_trueIiEEENSC_INSD_IbEEEENSA_11use_defaultESO_EENS0_5tupleIJSF_S6_EEENSQ_IJSG_SG_EEES6_PlJS6_EEE10hipError_tPvRmT3_T4_T5_T6_T7_T9_mT8_P12ihipStream_tbDpT10_ENKUlT_T0_E_clISt17integral_constantIbLb1EES1C_IbLb0EEEEDaS18_S19_EUlS18_E_NS1_11comp_targetILNS1_3genE5ELNS1_11target_archE942ELNS1_3gpuE9ELNS1_3repE0EEENS1_30default_config_static_selectorELNS0_4arch9wavefront6targetE0EEEvT1_.has_recursion, 0
	.set _ZN7rocprim17ROCPRIM_400000_NS6detail17trampoline_kernelINS0_14default_configENS1_25partition_config_selectorILNS1_17partition_subalgoE5EiNS0_10empty_typeEbEEZZNS1_14partition_implILS5_5ELb0ES3_mN6thrust23THRUST_200600_302600_NS6detail15normal_iteratorINSA_10device_ptrIiEEEEPS6_NSA_18transform_iteratorINSB_9not_fun_tI7is_trueIiEEENSC_INSD_IbEEEENSA_11use_defaultESO_EENS0_5tupleIJSF_S6_EEENSQ_IJSG_SG_EEES6_PlJS6_EEE10hipError_tPvRmT3_T4_T5_T6_T7_T9_mT8_P12ihipStream_tbDpT10_ENKUlT_T0_E_clISt17integral_constantIbLb1EES1C_IbLb0EEEEDaS18_S19_EUlS18_E_NS1_11comp_targetILNS1_3genE5ELNS1_11target_archE942ELNS1_3gpuE9ELNS1_3repE0EEENS1_30default_config_static_selectorELNS0_4arch9wavefront6targetE0EEEvT1_.has_indirect_call, 0
	.section	.AMDGPU.csdata,"",@progbits
; Kernel info:
; codeLenInByte = 0
; TotalNumSgprs: 0
; NumVgprs: 0
; ScratchSize: 0
; MemoryBound: 0
; FloatMode: 240
; IeeeMode: 1
; LDSByteSize: 0 bytes/workgroup (compile time only)
; SGPRBlocks: 0
; VGPRBlocks: 0
; NumSGPRsForWavesPerEU: 1
; NumVGPRsForWavesPerEU: 1
; Occupancy: 16
; WaveLimiterHint : 0
; COMPUTE_PGM_RSRC2:SCRATCH_EN: 0
; COMPUTE_PGM_RSRC2:USER_SGPR: 2
; COMPUTE_PGM_RSRC2:TRAP_HANDLER: 0
; COMPUTE_PGM_RSRC2:TGID_X_EN: 1
; COMPUTE_PGM_RSRC2:TGID_Y_EN: 0
; COMPUTE_PGM_RSRC2:TGID_Z_EN: 0
; COMPUTE_PGM_RSRC2:TIDIG_COMP_CNT: 0
	.section	.text._ZN7rocprim17ROCPRIM_400000_NS6detail17trampoline_kernelINS0_14default_configENS1_25partition_config_selectorILNS1_17partition_subalgoE5EiNS0_10empty_typeEbEEZZNS1_14partition_implILS5_5ELb0ES3_mN6thrust23THRUST_200600_302600_NS6detail15normal_iteratorINSA_10device_ptrIiEEEEPS6_NSA_18transform_iteratorINSB_9not_fun_tI7is_trueIiEEENSC_INSD_IbEEEENSA_11use_defaultESO_EENS0_5tupleIJSF_S6_EEENSQ_IJSG_SG_EEES6_PlJS6_EEE10hipError_tPvRmT3_T4_T5_T6_T7_T9_mT8_P12ihipStream_tbDpT10_ENKUlT_T0_E_clISt17integral_constantIbLb1EES1C_IbLb0EEEEDaS18_S19_EUlS18_E_NS1_11comp_targetILNS1_3genE4ELNS1_11target_archE910ELNS1_3gpuE8ELNS1_3repE0EEENS1_30default_config_static_selectorELNS0_4arch9wavefront6targetE0EEEvT1_,"axG",@progbits,_ZN7rocprim17ROCPRIM_400000_NS6detail17trampoline_kernelINS0_14default_configENS1_25partition_config_selectorILNS1_17partition_subalgoE5EiNS0_10empty_typeEbEEZZNS1_14partition_implILS5_5ELb0ES3_mN6thrust23THRUST_200600_302600_NS6detail15normal_iteratorINSA_10device_ptrIiEEEEPS6_NSA_18transform_iteratorINSB_9not_fun_tI7is_trueIiEEENSC_INSD_IbEEEENSA_11use_defaultESO_EENS0_5tupleIJSF_S6_EEENSQ_IJSG_SG_EEES6_PlJS6_EEE10hipError_tPvRmT3_T4_T5_T6_T7_T9_mT8_P12ihipStream_tbDpT10_ENKUlT_T0_E_clISt17integral_constantIbLb1EES1C_IbLb0EEEEDaS18_S19_EUlS18_E_NS1_11comp_targetILNS1_3genE4ELNS1_11target_archE910ELNS1_3gpuE8ELNS1_3repE0EEENS1_30default_config_static_selectorELNS0_4arch9wavefront6targetE0EEEvT1_,comdat
	.protected	_ZN7rocprim17ROCPRIM_400000_NS6detail17trampoline_kernelINS0_14default_configENS1_25partition_config_selectorILNS1_17partition_subalgoE5EiNS0_10empty_typeEbEEZZNS1_14partition_implILS5_5ELb0ES3_mN6thrust23THRUST_200600_302600_NS6detail15normal_iteratorINSA_10device_ptrIiEEEEPS6_NSA_18transform_iteratorINSB_9not_fun_tI7is_trueIiEEENSC_INSD_IbEEEENSA_11use_defaultESO_EENS0_5tupleIJSF_S6_EEENSQ_IJSG_SG_EEES6_PlJS6_EEE10hipError_tPvRmT3_T4_T5_T6_T7_T9_mT8_P12ihipStream_tbDpT10_ENKUlT_T0_E_clISt17integral_constantIbLb1EES1C_IbLb0EEEEDaS18_S19_EUlS18_E_NS1_11comp_targetILNS1_3genE4ELNS1_11target_archE910ELNS1_3gpuE8ELNS1_3repE0EEENS1_30default_config_static_selectorELNS0_4arch9wavefront6targetE0EEEvT1_ ; -- Begin function _ZN7rocprim17ROCPRIM_400000_NS6detail17trampoline_kernelINS0_14default_configENS1_25partition_config_selectorILNS1_17partition_subalgoE5EiNS0_10empty_typeEbEEZZNS1_14partition_implILS5_5ELb0ES3_mN6thrust23THRUST_200600_302600_NS6detail15normal_iteratorINSA_10device_ptrIiEEEEPS6_NSA_18transform_iteratorINSB_9not_fun_tI7is_trueIiEEENSC_INSD_IbEEEENSA_11use_defaultESO_EENS0_5tupleIJSF_S6_EEENSQ_IJSG_SG_EEES6_PlJS6_EEE10hipError_tPvRmT3_T4_T5_T6_T7_T9_mT8_P12ihipStream_tbDpT10_ENKUlT_T0_E_clISt17integral_constantIbLb1EES1C_IbLb0EEEEDaS18_S19_EUlS18_E_NS1_11comp_targetILNS1_3genE4ELNS1_11target_archE910ELNS1_3gpuE8ELNS1_3repE0EEENS1_30default_config_static_selectorELNS0_4arch9wavefront6targetE0EEEvT1_
	.globl	_ZN7rocprim17ROCPRIM_400000_NS6detail17trampoline_kernelINS0_14default_configENS1_25partition_config_selectorILNS1_17partition_subalgoE5EiNS0_10empty_typeEbEEZZNS1_14partition_implILS5_5ELb0ES3_mN6thrust23THRUST_200600_302600_NS6detail15normal_iteratorINSA_10device_ptrIiEEEEPS6_NSA_18transform_iteratorINSB_9not_fun_tI7is_trueIiEEENSC_INSD_IbEEEENSA_11use_defaultESO_EENS0_5tupleIJSF_S6_EEENSQ_IJSG_SG_EEES6_PlJS6_EEE10hipError_tPvRmT3_T4_T5_T6_T7_T9_mT8_P12ihipStream_tbDpT10_ENKUlT_T0_E_clISt17integral_constantIbLb1EES1C_IbLb0EEEEDaS18_S19_EUlS18_E_NS1_11comp_targetILNS1_3genE4ELNS1_11target_archE910ELNS1_3gpuE8ELNS1_3repE0EEENS1_30default_config_static_selectorELNS0_4arch9wavefront6targetE0EEEvT1_
	.p2align	8
	.type	_ZN7rocprim17ROCPRIM_400000_NS6detail17trampoline_kernelINS0_14default_configENS1_25partition_config_selectorILNS1_17partition_subalgoE5EiNS0_10empty_typeEbEEZZNS1_14partition_implILS5_5ELb0ES3_mN6thrust23THRUST_200600_302600_NS6detail15normal_iteratorINSA_10device_ptrIiEEEEPS6_NSA_18transform_iteratorINSB_9not_fun_tI7is_trueIiEEENSC_INSD_IbEEEENSA_11use_defaultESO_EENS0_5tupleIJSF_S6_EEENSQ_IJSG_SG_EEES6_PlJS6_EEE10hipError_tPvRmT3_T4_T5_T6_T7_T9_mT8_P12ihipStream_tbDpT10_ENKUlT_T0_E_clISt17integral_constantIbLb1EES1C_IbLb0EEEEDaS18_S19_EUlS18_E_NS1_11comp_targetILNS1_3genE4ELNS1_11target_archE910ELNS1_3gpuE8ELNS1_3repE0EEENS1_30default_config_static_selectorELNS0_4arch9wavefront6targetE0EEEvT1_,@function
_ZN7rocprim17ROCPRIM_400000_NS6detail17trampoline_kernelINS0_14default_configENS1_25partition_config_selectorILNS1_17partition_subalgoE5EiNS0_10empty_typeEbEEZZNS1_14partition_implILS5_5ELb0ES3_mN6thrust23THRUST_200600_302600_NS6detail15normal_iteratorINSA_10device_ptrIiEEEEPS6_NSA_18transform_iteratorINSB_9not_fun_tI7is_trueIiEEENSC_INSD_IbEEEENSA_11use_defaultESO_EENS0_5tupleIJSF_S6_EEENSQ_IJSG_SG_EEES6_PlJS6_EEE10hipError_tPvRmT3_T4_T5_T6_T7_T9_mT8_P12ihipStream_tbDpT10_ENKUlT_T0_E_clISt17integral_constantIbLb1EES1C_IbLb0EEEEDaS18_S19_EUlS18_E_NS1_11comp_targetILNS1_3genE4ELNS1_11target_archE910ELNS1_3gpuE8ELNS1_3repE0EEENS1_30default_config_static_selectorELNS0_4arch9wavefront6targetE0EEEvT1_: ; @_ZN7rocprim17ROCPRIM_400000_NS6detail17trampoline_kernelINS0_14default_configENS1_25partition_config_selectorILNS1_17partition_subalgoE5EiNS0_10empty_typeEbEEZZNS1_14partition_implILS5_5ELb0ES3_mN6thrust23THRUST_200600_302600_NS6detail15normal_iteratorINSA_10device_ptrIiEEEEPS6_NSA_18transform_iteratorINSB_9not_fun_tI7is_trueIiEEENSC_INSD_IbEEEENSA_11use_defaultESO_EENS0_5tupleIJSF_S6_EEENSQ_IJSG_SG_EEES6_PlJS6_EEE10hipError_tPvRmT3_T4_T5_T6_T7_T9_mT8_P12ihipStream_tbDpT10_ENKUlT_T0_E_clISt17integral_constantIbLb1EES1C_IbLb0EEEEDaS18_S19_EUlS18_E_NS1_11comp_targetILNS1_3genE4ELNS1_11target_archE910ELNS1_3gpuE8ELNS1_3repE0EEENS1_30default_config_static_selectorELNS0_4arch9wavefront6targetE0EEEvT1_
; %bb.0:
	.section	.rodata,"a",@progbits
	.p2align	6, 0x0
	.amdhsa_kernel _ZN7rocprim17ROCPRIM_400000_NS6detail17trampoline_kernelINS0_14default_configENS1_25partition_config_selectorILNS1_17partition_subalgoE5EiNS0_10empty_typeEbEEZZNS1_14partition_implILS5_5ELb0ES3_mN6thrust23THRUST_200600_302600_NS6detail15normal_iteratorINSA_10device_ptrIiEEEEPS6_NSA_18transform_iteratorINSB_9not_fun_tI7is_trueIiEEENSC_INSD_IbEEEENSA_11use_defaultESO_EENS0_5tupleIJSF_S6_EEENSQ_IJSG_SG_EEES6_PlJS6_EEE10hipError_tPvRmT3_T4_T5_T6_T7_T9_mT8_P12ihipStream_tbDpT10_ENKUlT_T0_E_clISt17integral_constantIbLb1EES1C_IbLb0EEEEDaS18_S19_EUlS18_E_NS1_11comp_targetILNS1_3genE4ELNS1_11target_archE910ELNS1_3gpuE8ELNS1_3repE0EEENS1_30default_config_static_selectorELNS0_4arch9wavefront6targetE0EEEvT1_
		.amdhsa_group_segment_fixed_size 0
		.amdhsa_private_segment_fixed_size 0
		.amdhsa_kernarg_size 120
		.amdhsa_user_sgpr_count 2
		.amdhsa_user_sgpr_dispatch_ptr 0
		.amdhsa_user_sgpr_queue_ptr 0
		.amdhsa_user_sgpr_kernarg_segment_ptr 1
		.amdhsa_user_sgpr_dispatch_id 0
		.amdhsa_user_sgpr_private_segment_size 0
		.amdhsa_wavefront_size32 1
		.amdhsa_uses_dynamic_stack 0
		.amdhsa_enable_private_segment 0
		.amdhsa_system_sgpr_workgroup_id_x 1
		.amdhsa_system_sgpr_workgroup_id_y 0
		.amdhsa_system_sgpr_workgroup_id_z 0
		.amdhsa_system_sgpr_workgroup_info 0
		.amdhsa_system_vgpr_workitem_id 0
		.amdhsa_next_free_vgpr 1
		.amdhsa_next_free_sgpr 1
		.amdhsa_reserve_vcc 0
		.amdhsa_float_round_mode_32 0
		.amdhsa_float_round_mode_16_64 0
		.amdhsa_float_denorm_mode_32 3
		.amdhsa_float_denorm_mode_16_64 3
		.amdhsa_fp16_overflow 0
		.amdhsa_workgroup_processor_mode 1
		.amdhsa_memory_ordered 1
		.amdhsa_forward_progress 1
		.amdhsa_inst_pref_size 0
		.amdhsa_round_robin_scheduling 0
		.amdhsa_exception_fp_ieee_invalid_op 0
		.amdhsa_exception_fp_denorm_src 0
		.amdhsa_exception_fp_ieee_div_zero 0
		.amdhsa_exception_fp_ieee_overflow 0
		.amdhsa_exception_fp_ieee_underflow 0
		.amdhsa_exception_fp_ieee_inexact 0
		.amdhsa_exception_int_div_zero 0
	.end_amdhsa_kernel
	.section	.text._ZN7rocprim17ROCPRIM_400000_NS6detail17trampoline_kernelINS0_14default_configENS1_25partition_config_selectorILNS1_17partition_subalgoE5EiNS0_10empty_typeEbEEZZNS1_14partition_implILS5_5ELb0ES3_mN6thrust23THRUST_200600_302600_NS6detail15normal_iteratorINSA_10device_ptrIiEEEEPS6_NSA_18transform_iteratorINSB_9not_fun_tI7is_trueIiEEENSC_INSD_IbEEEENSA_11use_defaultESO_EENS0_5tupleIJSF_S6_EEENSQ_IJSG_SG_EEES6_PlJS6_EEE10hipError_tPvRmT3_T4_T5_T6_T7_T9_mT8_P12ihipStream_tbDpT10_ENKUlT_T0_E_clISt17integral_constantIbLb1EES1C_IbLb0EEEEDaS18_S19_EUlS18_E_NS1_11comp_targetILNS1_3genE4ELNS1_11target_archE910ELNS1_3gpuE8ELNS1_3repE0EEENS1_30default_config_static_selectorELNS0_4arch9wavefront6targetE0EEEvT1_,"axG",@progbits,_ZN7rocprim17ROCPRIM_400000_NS6detail17trampoline_kernelINS0_14default_configENS1_25partition_config_selectorILNS1_17partition_subalgoE5EiNS0_10empty_typeEbEEZZNS1_14partition_implILS5_5ELb0ES3_mN6thrust23THRUST_200600_302600_NS6detail15normal_iteratorINSA_10device_ptrIiEEEEPS6_NSA_18transform_iteratorINSB_9not_fun_tI7is_trueIiEEENSC_INSD_IbEEEENSA_11use_defaultESO_EENS0_5tupleIJSF_S6_EEENSQ_IJSG_SG_EEES6_PlJS6_EEE10hipError_tPvRmT3_T4_T5_T6_T7_T9_mT8_P12ihipStream_tbDpT10_ENKUlT_T0_E_clISt17integral_constantIbLb1EES1C_IbLb0EEEEDaS18_S19_EUlS18_E_NS1_11comp_targetILNS1_3genE4ELNS1_11target_archE910ELNS1_3gpuE8ELNS1_3repE0EEENS1_30default_config_static_selectorELNS0_4arch9wavefront6targetE0EEEvT1_,comdat
.Lfunc_end2543:
	.size	_ZN7rocprim17ROCPRIM_400000_NS6detail17trampoline_kernelINS0_14default_configENS1_25partition_config_selectorILNS1_17partition_subalgoE5EiNS0_10empty_typeEbEEZZNS1_14partition_implILS5_5ELb0ES3_mN6thrust23THRUST_200600_302600_NS6detail15normal_iteratorINSA_10device_ptrIiEEEEPS6_NSA_18transform_iteratorINSB_9not_fun_tI7is_trueIiEEENSC_INSD_IbEEEENSA_11use_defaultESO_EENS0_5tupleIJSF_S6_EEENSQ_IJSG_SG_EEES6_PlJS6_EEE10hipError_tPvRmT3_T4_T5_T6_T7_T9_mT8_P12ihipStream_tbDpT10_ENKUlT_T0_E_clISt17integral_constantIbLb1EES1C_IbLb0EEEEDaS18_S19_EUlS18_E_NS1_11comp_targetILNS1_3genE4ELNS1_11target_archE910ELNS1_3gpuE8ELNS1_3repE0EEENS1_30default_config_static_selectorELNS0_4arch9wavefront6targetE0EEEvT1_, .Lfunc_end2543-_ZN7rocprim17ROCPRIM_400000_NS6detail17trampoline_kernelINS0_14default_configENS1_25partition_config_selectorILNS1_17partition_subalgoE5EiNS0_10empty_typeEbEEZZNS1_14partition_implILS5_5ELb0ES3_mN6thrust23THRUST_200600_302600_NS6detail15normal_iteratorINSA_10device_ptrIiEEEEPS6_NSA_18transform_iteratorINSB_9not_fun_tI7is_trueIiEEENSC_INSD_IbEEEENSA_11use_defaultESO_EENS0_5tupleIJSF_S6_EEENSQ_IJSG_SG_EEES6_PlJS6_EEE10hipError_tPvRmT3_T4_T5_T6_T7_T9_mT8_P12ihipStream_tbDpT10_ENKUlT_T0_E_clISt17integral_constantIbLb1EES1C_IbLb0EEEEDaS18_S19_EUlS18_E_NS1_11comp_targetILNS1_3genE4ELNS1_11target_archE910ELNS1_3gpuE8ELNS1_3repE0EEENS1_30default_config_static_selectorELNS0_4arch9wavefront6targetE0EEEvT1_
                                        ; -- End function
	.set _ZN7rocprim17ROCPRIM_400000_NS6detail17trampoline_kernelINS0_14default_configENS1_25partition_config_selectorILNS1_17partition_subalgoE5EiNS0_10empty_typeEbEEZZNS1_14partition_implILS5_5ELb0ES3_mN6thrust23THRUST_200600_302600_NS6detail15normal_iteratorINSA_10device_ptrIiEEEEPS6_NSA_18transform_iteratorINSB_9not_fun_tI7is_trueIiEEENSC_INSD_IbEEEENSA_11use_defaultESO_EENS0_5tupleIJSF_S6_EEENSQ_IJSG_SG_EEES6_PlJS6_EEE10hipError_tPvRmT3_T4_T5_T6_T7_T9_mT8_P12ihipStream_tbDpT10_ENKUlT_T0_E_clISt17integral_constantIbLb1EES1C_IbLb0EEEEDaS18_S19_EUlS18_E_NS1_11comp_targetILNS1_3genE4ELNS1_11target_archE910ELNS1_3gpuE8ELNS1_3repE0EEENS1_30default_config_static_selectorELNS0_4arch9wavefront6targetE0EEEvT1_.num_vgpr, 0
	.set _ZN7rocprim17ROCPRIM_400000_NS6detail17trampoline_kernelINS0_14default_configENS1_25partition_config_selectorILNS1_17partition_subalgoE5EiNS0_10empty_typeEbEEZZNS1_14partition_implILS5_5ELb0ES3_mN6thrust23THRUST_200600_302600_NS6detail15normal_iteratorINSA_10device_ptrIiEEEEPS6_NSA_18transform_iteratorINSB_9not_fun_tI7is_trueIiEEENSC_INSD_IbEEEENSA_11use_defaultESO_EENS0_5tupleIJSF_S6_EEENSQ_IJSG_SG_EEES6_PlJS6_EEE10hipError_tPvRmT3_T4_T5_T6_T7_T9_mT8_P12ihipStream_tbDpT10_ENKUlT_T0_E_clISt17integral_constantIbLb1EES1C_IbLb0EEEEDaS18_S19_EUlS18_E_NS1_11comp_targetILNS1_3genE4ELNS1_11target_archE910ELNS1_3gpuE8ELNS1_3repE0EEENS1_30default_config_static_selectorELNS0_4arch9wavefront6targetE0EEEvT1_.num_agpr, 0
	.set _ZN7rocprim17ROCPRIM_400000_NS6detail17trampoline_kernelINS0_14default_configENS1_25partition_config_selectorILNS1_17partition_subalgoE5EiNS0_10empty_typeEbEEZZNS1_14partition_implILS5_5ELb0ES3_mN6thrust23THRUST_200600_302600_NS6detail15normal_iteratorINSA_10device_ptrIiEEEEPS6_NSA_18transform_iteratorINSB_9not_fun_tI7is_trueIiEEENSC_INSD_IbEEEENSA_11use_defaultESO_EENS0_5tupleIJSF_S6_EEENSQ_IJSG_SG_EEES6_PlJS6_EEE10hipError_tPvRmT3_T4_T5_T6_T7_T9_mT8_P12ihipStream_tbDpT10_ENKUlT_T0_E_clISt17integral_constantIbLb1EES1C_IbLb0EEEEDaS18_S19_EUlS18_E_NS1_11comp_targetILNS1_3genE4ELNS1_11target_archE910ELNS1_3gpuE8ELNS1_3repE0EEENS1_30default_config_static_selectorELNS0_4arch9wavefront6targetE0EEEvT1_.numbered_sgpr, 0
	.set _ZN7rocprim17ROCPRIM_400000_NS6detail17trampoline_kernelINS0_14default_configENS1_25partition_config_selectorILNS1_17partition_subalgoE5EiNS0_10empty_typeEbEEZZNS1_14partition_implILS5_5ELb0ES3_mN6thrust23THRUST_200600_302600_NS6detail15normal_iteratorINSA_10device_ptrIiEEEEPS6_NSA_18transform_iteratorINSB_9not_fun_tI7is_trueIiEEENSC_INSD_IbEEEENSA_11use_defaultESO_EENS0_5tupleIJSF_S6_EEENSQ_IJSG_SG_EEES6_PlJS6_EEE10hipError_tPvRmT3_T4_T5_T6_T7_T9_mT8_P12ihipStream_tbDpT10_ENKUlT_T0_E_clISt17integral_constantIbLb1EES1C_IbLb0EEEEDaS18_S19_EUlS18_E_NS1_11comp_targetILNS1_3genE4ELNS1_11target_archE910ELNS1_3gpuE8ELNS1_3repE0EEENS1_30default_config_static_selectorELNS0_4arch9wavefront6targetE0EEEvT1_.num_named_barrier, 0
	.set _ZN7rocprim17ROCPRIM_400000_NS6detail17trampoline_kernelINS0_14default_configENS1_25partition_config_selectorILNS1_17partition_subalgoE5EiNS0_10empty_typeEbEEZZNS1_14partition_implILS5_5ELb0ES3_mN6thrust23THRUST_200600_302600_NS6detail15normal_iteratorINSA_10device_ptrIiEEEEPS6_NSA_18transform_iteratorINSB_9not_fun_tI7is_trueIiEEENSC_INSD_IbEEEENSA_11use_defaultESO_EENS0_5tupleIJSF_S6_EEENSQ_IJSG_SG_EEES6_PlJS6_EEE10hipError_tPvRmT3_T4_T5_T6_T7_T9_mT8_P12ihipStream_tbDpT10_ENKUlT_T0_E_clISt17integral_constantIbLb1EES1C_IbLb0EEEEDaS18_S19_EUlS18_E_NS1_11comp_targetILNS1_3genE4ELNS1_11target_archE910ELNS1_3gpuE8ELNS1_3repE0EEENS1_30default_config_static_selectorELNS0_4arch9wavefront6targetE0EEEvT1_.private_seg_size, 0
	.set _ZN7rocprim17ROCPRIM_400000_NS6detail17trampoline_kernelINS0_14default_configENS1_25partition_config_selectorILNS1_17partition_subalgoE5EiNS0_10empty_typeEbEEZZNS1_14partition_implILS5_5ELb0ES3_mN6thrust23THRUST_200600_302600_NS6detail15normal_iteratorINSA_10device_ptrIiEEEEPS6_NSA_18transform_iteratorINSB_9not_fun_tI7is_trueIiEEENSC_INSD_IbEEEENSA_11use_defaultESO_EENS0_5tupleIJSF_S6_EEENSQ_IJSG_SG_EEES6_PlJS6_EEE10hipError_tPvRmT3_T4_T5_T6_T7_T9_mT8_P12ihipStream_tbDpT10_ENKUlT_T0_E_clISt17integral_constantIbLb1EES1C_IbLb0EEEEDaS18_S19_EUlS18_E_NS1_11comp_targetILNS1_3genE4ELNS1_11target_archE910ELNS1_3gpuE8ELNS1_3repE0EEENS1_30default_config_static_selectorELNS0_4arch9wavefront6targetE0EEEvT1_.uses_vcc, 0
	.set _ZN7rocprim17ROCPRIM_400000_NS6detail17trampoline_kernelINS0_14default_configENS1_25partition_config_selectorILNS1_17partition_subalgoE5EiNS0_10empty_typeEbEEZZNS1_14partition_implILS5_5ELb0ES3_mN6thrust23THRUST_200600_302600_NS6detail15normal_iteratorINSA_10device_ptrIiEEEEPS6_NSA_18transform_iteratorINSB_9not_fun_tI7is_trueIiEEENSC_INSD_IbEEEENSA_11use_defaultESO_EENS0_5tupleIJSF_S6_EEENSQ_IJSG_SG_EEES6_PlJS6_EEE10hipError_tPvRmT3_T4_T5_T6_T7_T9_mT8_P12ihipStream_tbDpT10_ENKUlT_T0_E_clISt17integral_constantIbLb1EES1C_IbLb0EEEEDaS18_S19_EUlS18_E_NS1_11comp_targetILNS1_3genE4ELNS1_11target_archE910ELNS1_3gpuE8ELNS1_3repE0EEENS1_30default_config_static_selectorELNS0_4arch9wavefront6targetE0EEEvT1_.uses_flat_scratch, 0
	.set _ZN7rocprim17ROCPRIM_400000_NS6detail17trampoline_kernelINS0_14default_configENS1_25partition_config_selectorILNS1_17partition_subalgoE5EiNS0_10empty_typeEbEEZZNS1_14partition_implILS5_5ELb0ES3_mN6thrust23THRUST_200600_302600_NS6detail15normal_iteratorINSA_10device_ptrIiEEEEPS6_NSA_18transform_iteratorINSB_9not_fun_tI7is_trueIiEEENSC_INSD_IbEEEENSA_11use_defaultESO_EENS0_5tupleIJSF_S6_EEENSQ_IJSG_SG_EEES6_PlJS6_EEE10hipError_tPvRmT3_T4_T5_T6_T7_T9_mT8_P12ihipStream_tbDpT10_ENKUlT_T0_E_clISt17integral_constantIbLb1EES1C_IbLb0EEEEDaS18_S19_EUlS18_E_NS1_11comp_targetILNS1_3genE4ELNS1_11target_archE910ELNS1_3gpuE8ELNS1_3repE0EEENS1_30default_config_static_selectorELNS0_4arch9wavefront6targetE0EEEvT1_.has_dyn_sized_stack, 0
	.set _ZN7rocprim17ROCPRIM_400000_NS6detail17trampoline_kernelINS0_14default_configENS1_25partition_config_selectorILNS1_17partition_subalgoE5EiNS0_10empty_typeEbEEZZNS1_14partition_implILS5_5ELb0ES3_mN6thrust23THRUST_200600_302600_NS6detail15normal_iteratorINSA_10device_ptrIiEEEEPS6_NSA_18transform_iteratorINSB_9not_fun_tI7is_trueIiEEENSC_INSD_IbEEEENSA_11use_defaultESO_EENS0_5tupleIJSF_S6_EEENSQ_IJSG_SG_EEES6_PlJS6_EEE10hipError_tPvRmT3_T4_T5_T6_T7_T9_mT8_P12ihipStream_tbDpT10_ENKUlT_T0_E_clISt17integral_constantIbLb1EES1C_IbLb0EEEEDaS18_S19_EUlS18_E_NS1_11comp_targetILNS1_3genE4ELNS1_11target_archE910ELNS1_3gpuE8ELNS1_3repE0EEENS1_30default_config_static_selectorELNS0_4arch9wavefront6targetE0EEEvT1_.has_recursion, 0
	.set _ZN7rocprim17ROCPRIM_400000_NS6detail17trampoline_kernelINS0_14default_configENS1_25partition_config_selectorILNS1_17partition_subalgoE5EiNS0_10empty_typeEbEEZZNS1_14partition_implILS5_5ELb0ES3_mN6thrust23THRUST_200600_302600_NS6detail15normal_iteratorINSA_10device_ptrIiEEEEPS6_NSA_18transform_iteratorINSB_9not_fun_tI7is_trueIiEEENSC_INSD_IbEEEENSA_11use_defaultESO_EENS0_5tupleIJSF_S6_EEENSQ_IJSG_SG_EEES6_PlJS6_EEE10hipError_tPvRmT3_T4_T5_T6_T7_T9_mT8_P12ihipStream_tbDpT10_ENKUlT_T0_E_clISt17integral_constantIbLb1EES1C_IbLb0EEEEDaS18_S19_EUlS18_E_NS1_11comp_targetILNS1_3genE4ELNS1_11target_archE910ELNS1_3gpuE8ELNS1_3repE0EEENS1_30default_config_static_selectorELNS0_4arch9wavefront6targetE0EEEvT1_.has_indirect_call, 0
	.section	.AMDGPU.csdata,"",@progbits
; Kernel info:
; codeLenInByte = 0
; TotalNumSgprs: 0
; NumVgprs: 0
; ScratchSize: 0
; MemoryBound: 0
; FloatMode: 240
; IeeeMode: 1
; LDSByteSize: 0 bytes/workgroup (compile time only)
; SGPRBlocks: 0
; VGPRBlocks: 0
; NumSGPRsForWavesPerEU: 1
; NumVGPRsForWavesPerEU: 1
; Occupancy: 16
; WaveLimiterHint : 0
; COMPUTE_PGM_RSRC2:SCRATCH_EN: 0
; COMPUTE_PGM_RSRC2:USER_SGPR: 2
; COMPUTE_PGM_RSRC2:TRAP_HANDLER: 0
; COMPUTE_PGM_RSRC2:TGID_X_EN: 1
; COMPUTE_PGM_RSRC2:TGID_Y_EN: 0
; COMPUTE_PGM_RSRC2:TGID_Z_EN: 0
; COMPUTE_PGM_RSRC2:TIDIG_COMP_CNT: 0
	.section	.text._ZN7rocprim17ROCPRIM_400000_NS6detail17trampoline_kernelINS0_14default_configENS1_25partition_config_selectorILNS1_17partition_subalgoE5EiNS0_10empty_typeEbEEZZNS1_14partition_implILS5_5ELb0ES3_mN6thrust23THRUST_200600_302600_NS6detail15normal_iteratorINSA_10device_ptrIiEEEEPS6_NSA_18transform_iteratorINSB_9not_fun_tI7is_trueIiEEENSC_INSD_IbEEEENSA_11use_defaultESO_EENS0_5tupleIJSF_S6_EEENSQ_IJSG_SG_EEES6_PlJS6_EEE10hipError_tPvRmT3_T4_T5_T6_T7_T9_mT8_P12ihipStream_tbDpT10_ENKUlT_T0_E_clISt17integral_constantIbLb1EES1C_IbLb0EEEEDaS18_S19_EUlS18_E_NS1_11comp_targetILNS1_3genE3ELNS1_11target_archE908ELNS1_3gpuE7ELNS1_3repE0EEENS1_30default_config_static_selectorELNS0_4arch9wavefront6targetE0EEEvT1_,"axG",@progbits,_ZN7rocprim17ROCPRIM_400000_NS6detail17trampoline_kernelINS0_14default_configENS1_25partition_config_selectorILNS1_17partition_subalgoE5EiNS0_10empty_typeEbEEZZNS1_14partition_implILS5_5ELb0ES3_mN6thrust23THRUST_200600_302600_NS6detail15normal_iteratorINSA_10device_ptrIiEEEEPS6_NSA_18transform_iteratorINSB_9not_fun_tI7is_trueIiEEENSC_INSD_IbEEEENSA_11use_defaultESO_EENS0_5tupleIJSF_S6_EEENSQ_IJSG_SG_EEES6_PlJS6_EEE10hipError_tPvRmT3_T4_T5_T6_T7_T9_mT8_P12ihipStream_tbDpT10_ENKUlT_T0_E_clISt17integral_constantIbLb1EES1C_IbLb0EEEEDaS18_S19_EUlS18_E_NS1_11comp_targetILNS1_3genE3ELNS1_11target_archE908ELNS1_3gpuE7ELNS1_3repE0EEENS1_30default_config_static_selectorELNS0_4arch9wavefront6targetE0EEEvT1_,comdat
	.protected	_ZN7rocprim17ROCPRIM_400000_NS6detail17trampoline_kernelINS0_14default_configENS1_25partition_config_selectorILNS1_17partition_subalgoE5EiNS0_10empty_typeEbEEZZNS1_14partition_implILS5_5ELb0ES3_mN6thrust23THRUST_200600_302600_NS6detail15normal_iteratorINSA_10device_ptrIiEEEEPS6_NSA_18transform_iteratorINSB_9not_fun_tI7is_trueIiEEENSC_INSD_IbEEEENSA_11use_defaultESO_EENS0_5tupleIJSF_S6_EEENSQ_IJSG_SG_EEES6_PlJS6_EEE10hipError_tPvRmT3_T4_T5_T6_T7_T9_mT8_P12ihipStream_tbDpT10_ENKUlT_T0_E_clISt17integral_constantIbLb1EES1C_IbLb0EEEEDaS18_S19_EUlS18_E_NS1_11comp_targetILNS1_3genE3ELNS1_11target_archE908ELNS1_3gpuE7ELNS1_3repE0EEENS1_30default_config_static_selectorELNS0_4arch9wavefront6targetE0EEEvT1_ ; -- Begin function _ZN7rocprim17ROCPRIM_400000_NS6detail17trampoline_kernelINS0_14default_configENS1_25partition_config_selectorILNS1_17partition_subalgoE5EiNS0_10empty_typeEbEEZZNS1_14partition_implILS5_5ELb0ES3_mN6thrust23THRUST_200600_302600_NS6detail15normal_iteratorINSA_10device_ptrIiEEEEPS6_NSA_18transform_iteratorINSB_9not_fun_tI7is_trueIiEEENSC_INSD_IbEEEENSA_11use_defaultESO_EENS0_5tupleIJSF_S6_EEENSQ_IJSG_SG_EEES6_PlJS6_EEE10hipError_tPvRmT3_T4_T5_T6_T7_T9_mT8_P12ihipStream_tbDpT10_ENKUlT_T0_E_clISt17integral_constantIbLb1EES1C_IbLb0EEEEDaS18_S19_EUlS18_E_NS1_11comp_targetILNS1_3genE3ELNS1_11target_archE908ELNS1_3gpuE7ELNS1_3repE0EEENS1_30default_config_static_selectorELNS0_4arch9wavefront6targetE0EEEvT1_
	.globl	_ZN7rocprim17ROCPRIM_400000_NS6detail17trampoline_kernelINS0_14default_configENS1_25partition_config_selectorILNS1_17partition_subalgoE5EiNS0_10empty_typeEbEEZZNS1_14partition_implILS5_5ELb0ES3_mN6thrust23THRUST_200600_302600_NS6detail15normal_iteratorINSA_10device_ptrIiEEEEPS6_NSA_18transform_iteratorINSB_9not_fun_tI7is_trueIiEEENSC_INSD_IbEEEENSA_11use_defaultESO_EENS0_5tupleIJSF_S6_EEENSQ_IJSG_SG_EEES6_PlJS6_EEE10hipError_tPvRmT3_T4_T5_T6_T7_T9_mT8_P12ihipStream_tbDpT10_ENKUlT_T0_E_clISt17integral_constantIbLb1EES1C_IbLb0EEEEDaS18_S19_EUlS18_E_NS1_11comp_targetILNS1_3genE3ELNS1_11target_archE908ELNS1_3gpuE7ELNS1_3repE0EEENS1_30default_config_static_selectorELNS0_4arch9wavefront6targetE0EEEvT1_
	.p2align	8
	.type	_ZN7rocprim17ROCPRIM_400000_NS6detail17trampoline_kernelINS0_14default_configENS1_25partition_config_selectorILNS1_17partition_subalgoE5EiNS0_10empty_typeEbEEZZNS1_14partition_implILS5_5ELb0ES3_mN6thrust23THRUST_200600_302600_NS6detail15normal_iteratorINSA_10device_ptrIiEEEEPS6_NSA_18transform_iteratorINSB_9not_fun_tI7is_trueIiEEENSC_INSD_IbEEEENSA_11use_defaultESO_EENS0_5tupleIJSF_S6_EEENSQ_IJSG_SG_EEES6_PlJS6_EEE10hipError_tPvRmT3_T4_T5_T6_T7_T9_mT8_P12ihipStream_tbDpT10_ENKUlT_T0_E_clISt17integral_constantIbLb1EES1C_IbLb0EEEEDaS18_S19_EUlS18_E_NS1_11comp_targetILNS1_3genE3ELNS1_11target_archE908ELNS1_3gpuE7ELNS1_3repE0EEENS1_30default_config_static_selectorELNS0_4arch9wavefront6targetE0EEEvT1_,@function
_ZN7rocprim17ROCPRIM_400000_NS6detail17trampoline_kernelINS0_14default_configENS1_25partition_config_selectorILNS1_17partition_subalgoE5EiNS0_10empty_typeEbEEZZNS1_14partition_implILS5_5ELb0ES3_mN6thrust23THRUST_200600_302600_NS6detail15normal_iteratorINSA_10device_ptrIiEEEEPS6_NSA_18transform_iteratorINSB_9not_fun_tI7is_trueIiEEENSC_INSD_IbEEEENSA_11use_defaultESO_EENS0_5tupleIJSF_S6_EEENSQ_IJSG_SG_EEES6_PlJS6_EEE10hipError_tPvRmT3_T4_T5_T6_T7_T9_mT8_P12ihipStream_tbDpT10_ENKUlT_T0_E_clISt17integral_constantIbLb1EES1C_IbLb0EEEEDaS18_S19_EUlS18_E_NS1_11comp_targetILNS1_3genE3ELNS1_11target_archE908ELNS1_3gpuE7ELNS1_3repE0EEENS1_30default_config_static_selectorELNS0_4arch9wavefront6targetE0EEEvT1_: ; @_ZN7rocprim17ROCPRIM_400000_NS6detail17trampoline_kernelINS0_14default_configENS1_25partition_config_selectorILNS1_17partition_subalgoE5EiNS0_10empty_typeEbEEZZNS1_14partition_implILS5_5ELb0ES3_mN6thrust23THRUST_200600_302600_NS6detail15normal_iteratorINSA_10device_ptrIiEEEEPS6_NSA_18transform_iteratorINSB_9not_fun_tI7is_trueIiEEENSC_INSD_IbEEEENSA_11use_defaultESO_EENS0_5tupleIJSF_S6_EEENSQ_IJSG_SG_EEES6_PlJS6_EEE10hipError_tPvRmT3_T4_T5_T6_T7_T9_mT8_P12ihipStream_tbDpT10_ENKUlT_T0_E_clISt17integral_constantIbLb1EES1C_IbLb0EEEEDaS18_S19_EUlS18_E_NS1_11comp_targetILNS1_3genE3ELNS1_11target_archE908ELNS1_3gpuE7ELNS1_3repE0EEENS1_30default_config_static_selectorELNS0_4arch9wavefront6targetE0EEEvT1_
; %bb.0:
	.section	.rodata,"a",@progbits
	.p2align	6, 0x0
	.amdhsa_kernel _ZN7rocprim17ROCPRIM_400000_NS6detail17trampoline_kernelINS0_14default_configENS1_25partition_config_selectorILNS1_17partition_subalgoE5EiNS0_10empty_typeEbEEZZNS1_14partition_implILS5_5ELb0ES3_mN6thrust23THRUST_200600_302600_NS6detail15normal_iteratorINSA_10device_ptrIiEEEEPS6_NSA_18transform_iteratorINSB_9not_fun_tI7is_trueIiEEENSC_INSD_IbEEEENSA_11use_defaultESO_EENS0_5tupleIJSF_S6_EEENSQ_IJSG_SG_EEES6_PlJS6_EEE10hipError_tPvRmT3_T4_T5_T6_T7_T9_mT8_P12ihipStream_tbDpT10_ENKUlT_T0_E_clISt17integral_constantIbLb1EES1C_IbLb0EEEEDaS18_S19_EUlS18_E_NS1_11comp_targetILNS1_3genE3ELNS1_11target_archE908ELNS1_3gpuE7ELNS1_3repE0EEENS1_30default_config_static_selectorELNS0_4arch9wavefront6targetE0EEEvT1_
		.amdhsa_group_segment_fixed_size 0
		.amdhsa_private_segment_fixed_size 0
		.amdhsa_kernarg_size 120
		.amdhsa_user_sgpr_count 2
		.amdhsa_user_sgpr_dispatch_ptr 0
		.amdhsa_user_sgpr_queue_ptr 0
		.amdhsa_user_sgpr_kernarg_segment_ptr 1
		.amdhsa_user_sgpr_dispatch_id 0
		.amdhsa_user_sgpr_private_segment_size 0
		.amdhsa_wavefront_size32 1
		.amdhsa_uses_dynamic_stack 0
		.amdhsa_enable_private_segment 0
		.amdhsa_system_sgpr_workgroup_id_x 1
		.amdhsa_system_sgpr_workgroup_id_y 0
		.amdhsa_system_sgpr_workgroup_id_z 0
		.amdhsa_system_sgpr_workgroup_info 0
		.amdhsa_system_vgpr_workitem_id 0
		.amdhsa_next_free_vgpr 1
		.amdhsa_next_free_sgpr 1
		.amdhsa_reserve_vcc 0
		.amdhsa_float_round_mode_32 0
		.amdhsa_float_round_mode_16_64 0
		.amdhsa_float_denorm_mode_32 3
		.amdhsa_float_denorm_mode_16_64 3
		.amdhsa_fp16_overflow 0
		.amdhsa_workgroup_processor_mode 1
		.amdhsa_memory_ordered 1
		.amdhsa_forward_progress 1
		.amdhsa_inst_pref_size 0
		.amdhsa_round_robin_scheduling 0
		.amdhsa_exception_fp_ieee_invalid_op 0
		.amdhsa_exception_fp_denorm_src 0
		.amdhsa_exception_fp_ieee_div_zero 0
		.amdhsa_exception_fp_ieee_overflow 0
		.amdhsa_exception_fp_ieee_underflow 0
		.amdhsa_exception_fp_ieee_inexact 0
		.amdhsa_exception_int_div_zero 0
	.end_amdhsa_kernel
	.section	.text._ZN7rocprim17ROCPRIM_400000_NS6detail17trampoline_kernelINS0_14default_configENS1_25partition_config_selectorILNS1_17partition_subalgoE5EiNS0_10empty_typeEbEEZZNS1_14partition_implILS5_5ELb0ES3_mN6thrust23THRUST_200600_302600_NS6detail15normal_iteratorINSA_10device_ptrIiEEEEPS6_NSA_18transform_iteratorINSB_9not_fun_tI7is_trueIiEEENSC_INSD_IbEEEENSA_11use_defaultESO_EENS0_5tupleIJSF_S6_EEENSQ_IJSG_SG_EEES6_PlJS6_EEE10hipError_tPvRmT3_T4_T5_T6_T7_T9_mT8_P12ihipStream_tbDpT10_ENKUlT_T0_E_clISt17integral_constantIbLb1EES1C_IbLb0EEEEDaS18_S19_EUlS18_E_NS1_11comp_targetILNS1_3genE3ELNS1_11target_archE908ELNS1_3gpuE7ELNS1_3repE0EEENS1_30default_config_static_selectorELNS0_4arch9wavefront6targetE0EEEvT1_,"axG",@progbits,_ZN7rocprim17ROCPRIM_400000_NS6detail17trampoline_kernelINS0_14default_configENS1_25partition_config_selectorILNS1_17partition_subalgoE5EiNS0_10empty_typeEbEEZZNS1_14partition_implILS5_5ELb0ES3_mN6thrust23THRUST_200600_302600_NS6detail15normal_iteratorINSA_10device_ptrIiEEEEPS6_NSA_18transform_iteratorINSB_9not_fun_tI7is_trueIiEEENSC_INSD_IbEEEENSA_11use_defaultESO_EENS0_5tupleIJSF_S6_EEENSQ_IJSG_SG_EEES6_PlJS6_EEE10hipError_tPvRmT3_T4_T5_T6_T7_T9_mT8_P12ihipStream_tbDpT10_ENKUlT_T0_E_clISt17integral_constantIbLb1EES1C_IbLb0EEEEDaS18_S19_EUlS18_E_NS1_11comp_targetILNS1_3genE3ELNS1_11target_archE908ELNS1_3gpuE7ELNS1_3repE0EEENS1_30default_config_static_selectorELNS0_4arch9wavefront6targetE0EEEvT1_,comdat
.Lfunc_end2544:
	.size	_ZN7rocprim17ROCPRIM_400000_NS6detail17trampoline_kernelINS0_14default_configENS1_25partition_config_selectorILNS1_17partition_subalgoE5EiNS0_10empty_typeEbEEZZNS1_14partition_implILS5_5ELb0ES3_mN6thrust23THRUST_200600_302600_NS6detail15normal_iteratorINSA_10device_ptrIiEEEEPS6_NSA_18transform_iteratorINSB_9not_fun_tI7is_trueIiEEENSC_INSD_IbEEEENSA_11use_defaultESO_EENS0_5tupleIJSF_S6_EEENSQ_IJSG_SG_EEES6_PlJS6_EEE10hipError_tPvRmT3_T4_T5_T6_T7_T9_mT8_P12ihipStream_tbDpT10_ENKUlT_T0_E_clISt17integral_constantIbLb1EES1C_IbLb0EEEEDaS18_S19_EUlS18_E_NS1_11comp_targetILNS1_3genE3ELNS1_11target_archE908ELNS1_3gpuE7ELNS1_3repE0EEENS1_30default_config_static_selectorELNS0_4arch9wavefront6targetE0EEEvT1_, .Lfunc_end2544-_ZN7rocprim17ROCPRIM_400000_NS6detail17trampoline_kernelINS0_14default_configENS1_25partition_config_selectorILNS1_17partition_subalgoE5EiNS0_10empty_typeEbEEZZNS1_14partition_implILS5_5ELb0ES3_mN6thrust23THRUST_200600_302600_NS6detail15normal_iteratorINSA_10device_ptrIiEEEEPS6_NSA_18transform_iteratorINSB_9not_fun_tI7is_trueIiEEENSC_INSD_IbEEEENSA_11use_defaultESO_EENS0_5tupleIJSF_S6_EEENSQ_IJSG_SG_EEES6_PlJS6_EEE10hipError_tPvRmT3_T4_T5_T6_T7_T9_mT8_P12ihipStream_tbDpT10_ENKUlT_T0_E_clISt17integral_constantIbLb1EES1C_IbLb0EEEEDaS18_S19_EUlS18_E_NS1_11comp_targetILNS1_3genE3ELNS1_11target_archE908ELNS1_3gpuE7ELNS1_3repE0EEENS1_30default_config_static_selectorELNS0_4arch9wavefront6targetE0EEEvT1_
                                        ; -- End function
	.set _ZN7rocprim17ROCPRIM_400000_NS6detail17trampoline_kernelINS0_14default_configENS1_25partition_config_selectorILNS1_17partition_subalgoE5EiNS0_10empty_typeEbEEZZNS1_14partition_implILS5_5ELb0ES3_mN6thrust23THRUST_200600_302600_NS6detail15normal_iteratorINSA_10device_ptrIiEEEEPS6_NSA_18transform_iteratorINSB_9not_fun_tI7is_trueIiEEENSC_INSD_IbEEEENSA_11use_defaultESO_EENS0_5tupleIJSF_S6_EEENSQ_IJSG_SG_EEES6_PlJS6_EEE10hipError_tPvRmT3_T4_T5_T6_T7_T9_mT8_P12ihipStream_tbDpT10_ENKUlT_T0_E_clISt17integral_constantIbLb1EES1C_IbLb0EEEEDaS18_S19_EUlS18_E_NS1_11comp_targetILNS1_3genE3ELNS1_11target_archE908ELNS1_3gpuE7ELNS1_3repE0EEENS1_30default_config_static_selectorELNS0_4arch9wavefront6targetE0EEEvT1_.num_vgpr, 0
	.set _ZN7rocprim17ROCPRIM_400000_NS6detail17trampoline_kernelINS0_14default_configENS1_25partition_config_selectorILNS1_17partition_subalgoE5EiNS0_10empty_typeEbEEZZNS1_14partition_implILS5_5ELb0ES3_mN6thrust23THRUST_200600_302600_NS6detail15normal_iteratorINSA_10device_ptrIiEEEEPS6_NSA_18transform_iteratorINSB_9not_fun_tI7is_trueIiEEENSC_INSD_IbEEEENSA_11use_defaultESO_EENS0_5tupleIJSF_S6_EEENSQ_IJSG_SG_EEES6_PlJS6_EEE10hipError_tPvRmT3_T4_T5_T6_T7_T9_mT8_P12ihipStream_tbDpT10_ENKUlT_T0_E_clISt17integral_constantIbLb1EES1C_IbLb0EEEEDaS18_S19_EUlS18_E_NS1_11comp_targetILNS1_3genE3ELNS1_11target_archE908ELNS1_3gpuE7ELNS1_3repE0EEENS1_30default_config_static_selectorELNS0_4arch9wavefront6targetE0EEEvT1_.num_agpr, 0
	.set _ZN7rocprim17ROCPRIM_400000_NS6detail17trampoline_kernelINS0_14default_configENS1_25partition_config_selectorILNS1_17partition_subalgoE5EiNS0_10empty_typeEbEEZZNS1_14partition_implILS5_5ELb0ES3_mN6thrust23THRUST_200600_302600_NS6detail15normal_iteratorINSA_10device_ptrIiEEEEPS6_NSA_18transform_iteratorINSB_9not_fun_tI7is_trueIiEEENSC_INSD_IbEEEENSA_11use_defaultESO_EENS0_5tupleIJSF_S6_EEENSQ_IJSG_SG_EEES6_PlJS6_EEE10hipError_tPvRmT3_T4_T5_T6_T7_T9_mT8_P12ihipStream_tbDpT10_ENKUlT_T0_E_clISt17integral_constantIbLb1EES1C_IbLb0EEEEDaS18_S19_EUlS18_E_NS1_11comp_targetILNS1_3genE3ELNS1_11target_archE908ELNS1_3gpuE7ELNS1_3repE0EEENS1_30default_config_static_selectorELNS0_4arch9wavefront6targetE0EEEvT1_.numbered_sgpr, 0
	.set _ZN7rocprim17ROCPRIM_400000_NS6detail17trampoline_kernelINS0_14default_configENS1_25partition_config_selectorILNS1_17partition_subalgoE5EiNS0_10empty_typeEbEEZZNS1_14partition_implILS5_5ELb0ES3_mN6thrust23THRUST_200600_302600_NS6detail15normal_iteratorINSA_10device_ptrIiEEEEPS6_NSA_18transform_iteratorINSB_9not_fun_tI7is_trueIiEEENSC_INSD_IbEEEENSA_11use_defaultESO_EENS0_5tupleIJSF_S6_EEENSQ_IJSG_SG_EEES6_PlJS6_EEE10hipError_tPvRmT3_T4_T5_T6_T7_T9_mT8_P12ihipStream_tbDpT10_ENKUlT_T0_E_clISt17integral_constantIbLb1EES1C_IbLb0EEEEDaS18_S19_EUlS18_E_NS1_11comp_targetILNS1_3genE3ELNS1_11target_archE908ELNS1_3gpuE7ELNS1_3repE0EEENS1_30default_config_static_selectorELNS0_4arch9wavefront6targetE0EEEvT1_.num_named_barrier, 0
	.set _ZN7rocprim17ROCPRIM_400000_NS6detail17trampoline_kernelINS0_14default_configENS1_25partition_config_selectorILNS1_17partition_subalgoE5EiNS0_10empty_typeEbEEZZNS1_14partition_implILS5_5ELb0ES3_mN6thrust23THRUST_200600_302600_NS6detail15normal_iteratorINSA_10device_ptrIiEEEEPS6_NSA_18transform_iteratorINSB_9not_fun_tI7is_trueIiEEENSC_INSD_IbEEEENSA_11use_defaultESO_EENS0_5tupleIJSF_S6_EEENSQ_IJSG_SG_EEES6_PlJS6_EEE10hipError_tPvRmT3_T4_T5_T6_T7_T9_mT8_P12ihipStream_tbDpT10_ENKUlT_T0_E_clISt17integral_constantIbLb1EES1C_IbLb0EEEEDaS18_S19_EUlS18_E_NS1_11comp_targetILNS1_3genE3ELNS1_11target_archE908ELNS1_3gpuE7ELNS1_3repE0EEENS1_30default_config_static_selectorELNS0_4arch9wavefront6targetE0EEEvT1_.private_seg_size, 0
	.set _ZN7rocprim17ROCPRIM_400000_NS6detail17trampoline_kernelINS0_14default_configENS1_25partition_config_selectorILNS1_17partition_subalgoE5EiNS0_10empty_typeEbEEZZNS1_14partition_implILS5_5ELb0ES3_mN6thrust23THRUST_200600_302600_NS6detail15normal_iteratorINSA_10device_ptrIiEEEEPS6_NSA_18transform_iteratorINSB_9not_fun_tI7is_trueIiEEENSC_INSD_IbEEEENSA_11use_defaultESO_EENS0_5tupleIJSF_S6_EEENSQ_IJSG_SG_EEES6_PlJS6_EEE10hipError_tPvRmT3_T4_T5_T6_T7_T9_mT8_P12ihipStream_tbDpT10_ENKUlT_T0_E_clISt17integral_constantIbLb1EES1C_IbLb0EEEEDaS18_S19_EUlS18_E_NS1_11comp_targetILNS1_3genE3ELNS1_11target_archE908ELNS1_3gpuE7ELNS1_3repE0EEENS1_30default_config_static_selectorELNS0_4arch9wavefront6targetE0EEEvT1_.uses_vcc, 0
	.set _ZN7rocprim17ROCPRIM_400000_NS6detail17trampoline_kernelINS0_14default_configENS1_25partition_config_selectorILNS1_17partition_subalgoE5EiNS0_10empty_typeEbEEZZNS1_14partition_implILS5_5ELb0ES3_mN6thrust23THRUST_200600_302600_NS6detail15normal_iteratorINSA_10device_ptrIiEEEEPS6_NSA_18transform_iteratorINSB_9not_fun_tI7is_trueIiEEENSC_INSD_IbEEEENSA_11use_defaultESO_EENS0_5tupleIJSF_S6_EEENSQ_IJSG_SG_EEES6_PlJS6_EEE10hipError_tPvRmT3_T4_T5_T6_T7_T9_mT8_P12ihipStream_tbDpT10_ENKUlT_T0_E_clISt17integral_constantIbLb1EES1C_IbLb0EEEEDaS18_S19_EUlS18_E_NS1_11comp_targetILNS1_3genE3ELNS1_11target_archE908ELNS1_3gpuE7ELNS1_3repE0EEENS1_30default_config_static_selectorELNS0_4arch9wavefront6targetE0EEEvT1_.uses_flat_scratch, 0
	.set _ZN7rocprim17ROCPRIM_400000_NS6detail17trampoline_kernelINS0_14default_configENS1_25partition_config_selectorILNS1_17partition_subalgoE5EiNS0_10empty_typeEbEEZZNS1_14partition_implILS5_5ELb0ES3_mN6thrust23THRUST_200600_302600_NS6detail15normal_iteratorINSA_10device_ptrIiEEEEPS6_NSA_18transform_iteratorINSB_9not_fun_tI7is_trueIiEEENSC_INSD_IbEEEENSA_11use_defaultESO_EENS0_5tupleIJSF_S6_EEENSQ_IJSG_SG_EEES6_PlJS6_EEE10hipError_tPvRmT3_T4_T5_T6_T7_T9_mT8_P12ihipStream_tbDpT10_ENKUlT_T0_E_clISt17integral_constantIbLb1EES1C_IbLb0EEEEDaS18_S19_EUlS18_E_NS1_11comp_targetILNS1_3genE3ELNS1_11target_archE908ELNS1_3gpuE7ELNS1_3repE0EEENS1_30default_config_static_selectorELNS0_4arch9wavefront6targetE0EEEvT1_.has_dyn_sized_stack, 0
	.set _ZN7rocprim17ROCPRIM_400000_NS6detail17trampoline_kernelINS0_14default_configENS1_25partition_config_selectorILNS1_17partition_subalgoE5EiNS0_10empty_typeEbEEZZNS1_14partition_implILS5_5ELb0ES3_mN6thrust23THRUST_200600_302600_NS6detail15normal_iteratorINSA_10device_ptrIiEEEEPS6_NSA_18transform_iteratorINSB_9not_fun_tI7is_trueIiEEENSC_INSD_IbEEEENSA_11use_defaultESO_EENS0_5tupleIJSF_S6_EEENSQ_IJSG_SG_EEES6_PlJS6_EEE10hipError_tPvRmT3_T4_T5_T6_T7_T9_mT8_P12ihipStream_tbDpT10_ENKUlT_T0_E_clISt17integral_constantIbLb1EES1C_IbLb0EEEEDaS18_S19_EUlS18_E_NS1_11comp_targetILNS1_3genE3ELNS1_11target_archE908ELNS1_3gpuE7ELNS1_3repE0EEENS1_30default_config_static_selectorELNS0_4arch9wavefront6targetE0EEEvT1_.has_recursion, 0
	.set _ZN7rocprim17ROCPRIM_400000_NS6detail17trampoline_kernelINS0_14default_configENS1_25partition_config_selectorILNS1_17partition_subalgoE5EiNS0_10empty_typeEbEEZZNS1_14partition_implILS5_5ELb0ES3_mN6thrust23THRUST_200600_302600_NS6detail15normal_iteratorINSA_10device_ptrIiEEEEPS6_NSA_18transform_iteratorINSB_9not_fun_tI7is_trueIiEEENSC_INSD_IbEEEENSA_11use_defaultESO_EENS0_5tupleIJSF_S6_EEENSQ_IJSG_SG_EEES6_PlJS6_EEE10hipError_tPvRmT3_T4_T5_T6_T7_T9_mT8_P12ihipStream_tbDpT10_ENKUlT_T0_E_clISt17integral_constantIbLb1EES1C_IbLb0EEEEDaS18_S19_EUlS18_E_NS1_11comp_targetILNS1_3genE3ELNS1_11target_archE908ELNS1_3gpuE7ELNS1_3repE0EEENS1_30default_config_static_selectorELNS0_4arch9wavefront6targetE0EEEvT1_.has_indirect_call, 0
	.section	.AMDGPU.csdata,"",@progbits
; Kernel info:
; codeLenInByte = 0
; TotalNumSgprs: 0
; NumVgprs: 0
; ScratchSize: 0
; MemoryBound: 0
; FloatMode: 240
; IeeeMode: 1
; LDSByteSize: 0 bytes/workgroup (compile time only)
; SGPRBlocks: 0
; VGPRBlocks: 0
; NumSGPRsForWavesPerEU: 1
; NumVGPRsForWavesPerEU: 1
; Occupancy: 16
; WaveLimiterHint : 0
; COMPUTE_PGM_RSRC2:SCRATCH_EN: 0
; COMPUTE_PGM_RSRC2:USER_SGPR: 2
; COMPUTE_PGM_RSRC2:TRAP_HANDLER: 0
; COMPUTE_PGM_RSRC2:TGID_X_EN: 1
; COMPUTE_PGM_RSRC2:TGID_Y_EN: 0
; COMPUTE_PGM_RSRC2:TGID_Z_EN: 0
; COMPUTE_PGM_RSRC2:TIDIG_COMP_CNT: 0
	.section	.text._ZN7rocprim17ROCPRIM_400000_NS6detail17trampoline_kernelINS0_14default_configENS1_25partition_config_selectorILNS1_17partition_subalgoE5EiNS0_10empty_typeEbEEZZNS1_14partition_implILS5_5ELb0ES3_mN6thrust23THRUST_200600_302600_NS6detail15normal_iteratorINSA_10device_ptrIiEEEEPS6_NSA_18transform_iteratorINSB_9not_fun_tI7is_trueIiEEENSC_INSD_IbEEEENSA_11use_defaultESO_EENS0_5tupleIJSF_S6_EEENSQ_IJSG_SG_EEES6_PlJS6_EEE10hipError_tPvRmT3_T4_T5_T6_T7_T9_mT8_P12ihipStream_tbDpT10_ENKUlT_T0_E_clISt17integral_constantIbLb1EES1C_IbLb0EEEEDaS18_S19_EUlS18_E_NS1_11comp_targetILNS1_3genE2ELNS1_11target_archE906ELNS1_3gpuE6ELNS1_3repE0EEENS1_30default_config_static_selectorELNS0_4arch9wavefront6targetE0EEEvT1_,"axG",@progbits,_ZN7rocprim17ROCPRIM_400000_NS6detail17trampoline_kernelINS0_14default_configENS1_25partition_config_selectorILNS1_17partition_subalgoE5EiNS0_10empty_typeEbEEZZNS1_14partition_implILS5_5ELb0ES3_mN6thrust23THRUST_200600_302600_NS6detail15normal_iteratorINSA_10device_ptrIiEEEEPS6_NSA_18transform_iteratorINSB_9not_fun_tI7is_trueIiEEENSC_INSD_IbEEEENSA_11use_defaultESO_EENS0_5tupleIJSF_S6_EEENSQ_IJSG_SG_EEES6_PlJS6_EEE10hipError_tPvRmT3_T4_T5_T6_T7_T9_mT8_P12ihipStream_tbDpT10_ENKUlT_T0_E_clISt17integral_constantIbLb1EES1C_IbLb0EEEEDaS18_S19_EUlS18_E_NS1_11comp_targetILNS1_3genE2ELNS1_11target_archE906ELNS1_3gpuE6ELNS1_3repE0EEENS1_30default_config_static_selectorELNS0_4arch9wavefront6targetE0EEEvT1_,comdat
	.protected	_ZN7rocprim17ROCPRIM_400000_NS6detail17trampoline_kernelINS0_14default_configENS1_25partition_config_selectorILNS1_17partition_subalgoE5EiNS0_10empty_typeEbEEZZNS1_14partition_implILS5_5ELb0ES3_mN6thrust23THRUST_200600_302600_NS6detail15normal_iteratorINSA_10device_ptrIiEEEEPS6_NSA_18transform_iteratorINSB_9not_fun_tI7is_trueIiEEENSC_INSD_IbEEEENSA_11use_defaultESO_EENS0_5tupleIJSF_S6_EEENSQ_IJSG_SG_EEES6_PlJS6_EEE10hipError_tPvRmT3_T4_T5_T6_T7_T9_mT8_P12ihipStream_tbDpT10_ENKUlT_T0_E_clISt17integral_constantIbLb1EES1C_IbLb0EEEEDaS18_S19_EUlS18_E_NS1_11comp_targetILNS1_3genE2ELNS1_11target_archE906ELNS1_3gpuE6ELNS1_3repE0EEENS1_30default_config_static_selectorELNS0_4arch9wavefront6targetE0EEEvT1_ ; -- Begin function _ZN7rocprim17ROCPRIM_400000_NS6detail17trampoline_kernelINS0_14default_configENS1_25partition_config_selectorILNS1_17partition_subalgoE5EiNS0_10empty_typeEbEEZZNS1_14partition_implILS5_5ELb0ES3_mN6thrust23THRUST_200600_302600_NS6detail15normal_iteratorINSA_10device_ptrIiEEEEPS6_NSA_18transform_iteratorINSB_9not_fun_tI7is_trueIiEEENSC_INSD_IbEEEENSA_11use_defaultESO_EENS0_5tupleIJSF_S6_EEENSQ_IJSG_SG_EEES6_PlJS6_EEE10hipError_tPvRmT3_T4_T5_T6_T7_T9_mT8_P12ihipStream_tbDpT10_ENKUlT_T0_E_clISt17integral_constantIbLb1EES1C_IbLb0EEEEDaS18_S19_EUlS18_E_NS1_11comp_targetILNS1_3genE2ELNS1_11target_archE906ELNS1_3gpuE6ELNS1_3repE0EEENS1_30default_config_static_selectorELNS0_4arch9wavefront6targetE0EEEvT1_
	.globl	_ZN7rocprim17ROCPRIM_400000_NS6detail17trampoline_kernelINS0_14default_configENS1_25partition_config_selectorILNS1_17partition_subalgoE5EiNS0_10empty_typeEbEEZZNS1_14partition_implILS5_5ELb0ES3_mN6thrust23THRUST_200600_302600_NS6detail15normal_iteratorINSA_10device_ptrIiEEEEPS6_NSA_18transform_iteratorINSB_9not_fun_tI7is_trueIiEEENSC_INSD_IbEEEENSA_11use_defaultESO_EENS0_5tupleIJSF_S6_EEENSQ_IJSG_SG_EEES6_PlJS6_EEE10hipError_tPvRmT3_T4_T5_T6_T7_T9_mT8_P12ihipStream_tbDpT10_ENKUlT_T0_E_clISt17integral_constantIbLb1EES1C_IbLb0EEEEDaS18_S19_EUlS18_E_NS1_11comp_targetILNS1_3genE2ELNS1_11target_archE906ELNS1_3gpuE6ELNS1_3repE0EEENS1_30default_config_static_selectorELNS0_4arch9wavefront6targetE0EEEvT1_
	.p2align	8
	.type	_ZN7rocprim17ROCPRIM_400000_NS6detail17trampoline_kernelINS0_14default_configENS1_25partition_config_selectorILNS1_17partition_subalgoE5EiNS0_10empty_typeEbEEZZNS1_14partition_implILS5_5ELb0ES3_mN6thrust23THRUST_200600_302600_NS6detail15normal_iteratorINSA_10device_ptrIiEEEEPS6_NSA_18transform_iteratorINSB_9not_fun_tI7is_trueIiEEENSC_INSD_IbEEEENSA_11use_defaultESO_EENS0_5tupleIJSF_S6_EEENSQ_IJSG_SG_EEES6_PlJS6_EEE10hipError_tPvRmT3_T4_T5_T6_T7_T9_mT8_P12ihipStream_tbDpT10_ENKUlT_T0_E_clISt17integral_constantIbLb1EES1C_IbLb0EEEEDaS18_S19_EUlS18_E_NS1_11comp_targetILNS1_3genE2ELNS1_11target_archE906ELNS1_3gpuE6ELNS1_3repE0EEENS1_30default_config_static_selectorELNS0_4arch9wavefront6targetE0EEEvT1_,@function
_ZN7rocprim17ROCPRIM_400000_NS6detail17trampoline_kernelINS0_14default_configENS1_25partition_config_selectorILNS1_17partition_subalgoE5EiNS0_10empty_typeEbEEZZNS1_14partition_implILS5_5ELb0ES3_mN6thrust23THRUST_200600_302600_NS6detail15normal_iteratorINSA_10device_ptrIiEEEEPS6_NSA_18transform_iteratorINSB_9not_fun_tI7is_trueIiEEENSC_INSD_IbEEEENSA_11use_defaultESO_EENS0_5tupleIJSF_S6_EEENSQ_IJSG_SG_EEES6_PlJS6_EEE10hipError_tPvRmT3_T4_T5_T6_T7_T9_mT8_P12ihipStream_tbDpT10_ENKUlT_T0_E_clISt17integral_constantIbLb1EES1C_IbLb0EEEEDaS18_S19_EUlS18_E_NS1_11comp_targetILNS1_3genE2ELNS1_11target_archE906ELNS1_3gpuE6ELNS1_3repE0EEENS1_30default_config_static_selectorELNS0_4arch9wavefront6targetE0EEEvT1_: ; @_ZN7rocprim17ROCPRIM_400000_NS6detail17trampoline_kernelINS0_14default_configENS1_25partition_config_selectorILNS1_17partition_subalgoE5EiNS0_10empty_typeEbEEZZNS1_14partition_implILS5_5ELb0ES3_mN6thrust23THRUST_200600_302600_NS6detail15normal_iteratorINSA_10device_ptrIiEEEEPS6_NSA_18transform_iteratorINSB_9not_fun_tI7is_trueIiEEENSC_INSD_IbEEEENSA_11use_defaultESO_EENS0_5tupleIJSF_S6_EEENSQ_IJSG_SG_EEES6_PlJS6_EEE10hipError_tPvRmT3_T4_T5_T6_T7_T9_mT8_P12ihipStream_tbDpT10_ENKUlT_T0_E_clISt17integral_constantIbLb1EES1C_IbLb0EEEEDaS18_S19_EUlS18_E_NS1_11comp_targetILNS1_3genE2ELNS1_11target_archE906ELNS1_3gpuE6ELNS1_3repE0EEENS1_30default_config_static_selectorELNS0_4arch9wavefront6targetE0EEEvT1_
; %bb.0:
	.section	.rodata,"a",@progbits
	.p2align	6, 0x0
	.amdhsa_kernel _ZN7rocprim17ROCPRIM_400000_NS6detail17trampoline_kernelINS0_14default_configENS1_25partition_config_selectorILNS1_17partition_subalgoE5EiNS0_10empty_typeEbEEZZNS1_14partition_implILS5_5ELb0ES3_mN6thrust23THRUST_200600_302600_NS6detail15normal_iteratorINSA_10device_ptrIiEEEEPS6_NSA_18transform_iteratorINSB_9not_fun_tI7is_trueIiEEENSC_INSD_IbEEEENSA_11use_defaultESO_EENS0_5tupleIJSF_S6_EEENSQ_IJSG_SG_EEES6_PlJS6_EEE10hipError_tPvRmT3_T4_T5_T6_T7_T9_mT8_P12ihipStream_tbDpT10_ENKUlT_T0_E_clISt17integral_constantIbLb1EES1C_IbLb0EEEEDaS18_S19_EUlS18_E_NS1_11comp_targetILNS1_3genE2ELNS1_11target_archE906ELNS1_3gpuE6ELNS1_3repE0EEENS1_30default_config_static_selectorELNS0_4arch9wavefront6targetE0EEEvT1_
		.amdhsa_group_segment_fixed_size 0
		.amdhsa_private_segment_fixed_size 0
		.amdhsa_kernarg_size 120
		.amdhsa_user_sgpr_count 2
		.amdhsa_user_sgpr_dispatch_ptr 0
		.amdhsa_user_sgpr_queue_ptr 0
		.amdhsa_user_sgpr_kernarg_segment_ptr 1
		.amdhsa_user_sgpr_dispatch_id 0
		.amdhsa_user_sgpr_private_segment_size 0
		.amdhsa_wavefront_size32 1
		.amdhsa_uses_dynamic_stack 0
		.amdhsa_enable_private_segment 0
		.amdhsa_system_sgpr_workgroup_id_x 1
		.amdhsa_system_sgpr_workgroup_id_y 0
		.amdhsa_system_sgpr_workgroup_id_z 0
		.amdhsa_system_sgpr_workgroup_info 0
		.amdhsa_system_vgpr_workitem_id 0
		.amdhsa_next_free_vgpr 1
		.amdhsa_next_free_sgpr 1
		.amdhsa_reserve_vcc 0
		.amdhsa_float_round_mode_32 0
		.amdhsa_float_round_mode_16_64 0
		.amdhsa_float_denorm_mode_32 3
		.amdhsa_float_denorm_mode_16_64 3
		.amdhsa_fp16_overflow 0
		.amdhsa_workgroup_processor_mode 1
		.amdhsa_memory_ordered 1
		.amdhsa_forward_progress 1
		.amdhsa_inst_pref_size 0
		.amdhsa_round_robin_scheduling 0
		.amdhsa_exception_fp_ieee_invalid_op 0
		.amdhsa_exception_fp_denorm_src 0
		.amdhsa_exception_fp_ieee_div_zero 0
		.amdhsa_exception_fp_ieee_overflow 0
		.amdhsa_exception_fp_ieee_underflow 0
		.amdhsa_exception_fp_ieee_inexact 0
		.amdhsa_exception_int_div_zero 0
	.end_amdhsa_kernel
	.section	.text._ZN7rocprim17ROCPRIM_400000_NS6detail17trampoline_kernelINS0_14default_configENS1_25partition_config_selectorILNS1_17partition_subalgoE5EiNS0_10empty_typeEbEEZZNS1_14partition_implILS5_5ELb0ES3_mN6thrust23THRUST_200600_302600_NS6detail15normal_iteratorINSA_10device_ptrIiEEEEPS6_NSA_18transform_iteratorINSB_9not_fun_tI7is_trueIiEEENSC_INSD_IbEEEENSA_11use_defaultESO_EENS0_5tupleIJSF_S6_EEENSQ_IJSG_SG_EEES6_PlJS6_EEE10hipError_tPvRmT3_T4_T5_T6_T7_T9_mT8_P12ihipStream_tbDpT10_ENKUlT_T0_E_clISt17integral_constantIbLb1EES1C_IbLb0EEEEDaS18_S19_EUlS18_E_NS1_11comp_targetILNS1_3genE2ELNS1_11target_archE906ELNS1_3gpuE6ELNS1_3repE0EEENS1_30default_config_static_selectorELNS0_4arch9wavefront6targetE0EEEvT1_,"axG",@progbits,_ZN7rocprim17ROCPRIM_400000_NS6detail17trampoline_kernelINS0_14default_configENS1_25partition_config_selectorILNS1_17partition_subalgoE5EiNS0_10empty_typeEbEEZZNS1_14partition_implILS5_5ELb0ES3_mN6thrust23THRUST_200600_302600_NS6detail15normal_iteratorINSA_10device_ptrIiEEEEPS6_NSA_18transform_iteratorINSB_9not_fun_tI7is_trueIiEEENSC_INSD_IbEEEENSA_11use_defaultESO_EENS0_5tupleIJSF_S6_EEENSQ_IJSG_SG_EEES6_PlJS6_EEE10hipError_tPvRmT3_T4_T5_T6_T7_T9_mT8_P12ihipStream_tbDpT10_ENKUlT_T0_E_clISt17integral_constantIbLb1EES1C_IbLb0EEEEDaS18_S19_EUlS18_E_NS1_11comp_targetILNS1_3genE2ELNS1_11target_archE906ELNS1_3gpuE6ELNS1_3repE0EEENS1_30default_config_static_selectorELNS0_4arch9wavefront6targetE0EEEvT1_,comdat
.Lfunc_end2545:
	.size	_ZN7rocprim17ROCPRIM_400000_NS6detail17trampoline_kernelINS0_14default_configENS1_25partition_config_selectorILNS1_17partition_subalgoE5EiNS0_10empty_typeEbEEZZNS1_14partition_implILS5_5ELb0ES3_mN6thrust23THRUST_200600_302600_NS6detail15normal_iteratorINSA_10device_ptrIiEEEEPS6_NSA_18transform_iteratorINSB_9not_fun_tI7is_trueIiEEENSC_INSD_IbEEEENSA_11use_defaultESO_EENS0_5tupleIJSF_S6_EEENSQ_IJSG_SG_EEES6_PlJS6_EEE10hipError_tPvRmT3_T4_T5_T6_T7_T9_mT8_P12ihipStream_tbDpT10_ENKUlT_T0_E_clISt17integral_constantIbLb1EES1C_IbLb0EEEEDaS18_S19_EUlS18_E_NS1_11comp_targetILNS1_3genE2ELNS1_11target_archE906ELNS1_3gpuE6ELNS1_3repE0EEENS1_30default_config_static_selectorELNS0_4arch9wavefront6targetE0EEEvT1_, .Lfunc_end2545-_ZN7rocprim17ROCPRIM_400000_NS6detail17trampoline_kernelINS0_14default_configENS1_25partition_config_selectorILNS1_17partition_subalgoE5EiNS0_10empty_typeEbEEZZNS1_14partition_implILS5_5ELb0ES3_mN6thrust23THRUST_200600_302600_NS6detail15normal_iteratorINSA_10device_ptrIiEEEEPS6_NSA_18transform_iteratorINSB_9not_fun_tI7is_trueIiEEENSC_INSD_IbEEEENSA_11use_defaultESO_EENS0_5tupleIJSF_S6_EEENSQ_IJSG_SG_EEES6_PlJS6_EEE10hipError_tPvRmT3_T4_T5_T6_T7_T9_mT8_P12ihipStream_tbDpT10_ENKUlT_T0_E_clISt17integral_constantIbLb1EES1C_IbLb0EEEEDaS18_S19_EUlS18_E_NS1_11comp_targetILNS1_3genE2ELNS1_11target_archE906ELNS1_3gpuE6ELNS1_3repE0EEENS1_30default_config_static_selectorELNS0_4arch9wavefront6targetE0EEEvT1_
                                        ; -- End function
	.set _ZN7rocprim17ROCPRIM_400000_NS6detail17trampoline_kernelINS0_14default_configENS1_25partition_config_selectorILNS1_17partition_subalgoE5EiNS0_10empty_typeEbEEZZNS1_14partition_implILS5_5ELb0ES3_mN6thrust23THRUST_200600_302600_NS6detail15normal_iteratorINSA_10device_ptrIiEEEEPS6_NSA_18transform_iteratorINSB_9not_fun_tI7is_trueIiEEENSC_INSD_IbEEEENSA_11use_defaultESO_EENS0_5tupleIJSF_S6_EEENSQ_IJSG_SG_EEES6_PlJS6_EEE10hipError_tPvRmT3_T4_T5_T6_T7_T9_mT8_P12ihipStream_tbDpT10_ENKUlT_T0_E_clISt17integral_constantIbLb1EES1C_IbLb0EEEEDaS18_S19_EUlS18_E_NS1_11comp_targetILNS1_3genE2ELNS1_11target_archE906ELNS1_3gpuE6ELNS1_3repE0EEENS1_30default_config_static_selectorELNS0_4arch9wavefront6targetE0EEEvT1_.num_vgpr, 0
	.set _ZN7rocprim17ROCPRIM_400000_NS6detail17trampoline_kernelINS0_14default_configENS1_25partition_config_selectorILNS1_17partition_subalgoE5EiNS0_10empty_typeEbEEZZNS1_14partition_implILS5_5ELb0ES3_mN6thrust23THRUST_200600_302600_NS6detail15normal_iteratorINSA_10device_ptrIiEEEEPS6_NSA_18transform_iteratorINSB_9not_fun_tI7is_trueIiEEENSC_INSD_IbEEEENSA_11use_defaultESO_EENS0_5tupleIJSF_S6_EEENSQ_IJSG_SG_EEES6_PlJS6_EEE10hipError_tPvRmT3_T4_T5_T6_T7_T9_mT8_P12ihipStream_tbDpT10_ENKUlT_T0_E_clISt17integral_constantIbLb1EES1C_IbLb0EEEEDaS18_S19_EUlS18_E_NS1_11comp_targetILNS1_3genE2ELNS1_11target_archE906ELNS1_3gpuE6ELNS1_3repE0EEENS1_30default_config_static_selectorELNS0_4arch9wavefront6targetE0EEEvT1_.num_agpr, 0
	.set _ZN7rocprim17ROCPRIM_400000_NS6detail17trampoline_kernelINS0_14default_configENS1_25partition_config_selectorILNS1_17partition_subalgoE5EiNS0_10empty_typeEbEEZZNS1_14partition_implILS5_5ELb0ES3_mN6thrust23THRUST_200600_302600_NS6detail15normal_iteratorINSA_10device_ptrIiEEEEPS6_NSA_18transform_iteratorINSB_9not_fun_tI7is_trueIiEEENSC_INSD_IbEEEENSA_11use_defaultESO_EENS0_5tupleIJSF_S6_EEENSQ_IJSG_SG_EEES6_PlJS6_EEE10hipError_tPvRmT3_T4_T5_T6_T7_T9_mT8_P12ihipStream_tbDpT10_ENKUlT_T0_E_clISt17integral_constantIbLb1EES1C_IbLb0EEEEDaS18_S19_EUlS18_E_NS1_11comp_targetILNS1_3genE2ELNS1_11target_archE906ELNS1_3gpuE6ELNS1_3repE0EEENS1_30default_config_static_selectorELNS0_4arch9wavefront6targetE0EEEvT1_.numbered_sgpr, 0
	.set _ZN7rocprim17ROCPRIM_400000_NS6detail17trampoline_kernelINS0_14default_configENS1_25partition_config_selectorILNS1_17partition_subalgoE5EiNS0_10empty_typeEbEEZZNS1_14partition_implILS5_5ELb0ES3_mN6thrust23THRUST_200600_302600_NS6detail15normal_iteratorINSA_10device_ptrIiEEEEPS6_NSA_18transform_iteratorINSB_9not_fun_tI7is_trueIiEEENSC_INSD_IbEEEENSA_11use_defaultESO_EENS0_5tupleIJSF_S6_EEENSQ_IJSG_SG_EEES6_PlJS6_EEE10hipError_tPvRmT3_T4_T5_T6_T7_T9_mT8_P12ihipStream_tbDpT10_ENKUlT_T0_E_clISt17integral_constantIbLb1EES1C_IbLb0EEEEDaS18_S19_EUlS18_E_NS1_11comp_targetILNS1_3genE2ELNS1_11target_archE906ELNS1_3gpuE6ELNS1_3repE0EEENS1_30default_config_static_selectorELNS0_4arch9wavefront6targetE0EEEvT1_.num_named_barrier, 0
	.set _ZN7rocprim17ROCPRIM_400000_NS6detail17trampoline_kernelINS0_14default_configENS1_25partition_config_selectorILNS1_17partition_subalgoE5EiNS0_10empty_typeEbEEZZNS1_14partition_implILS5_5ELb0ES3_mN6thrust23THRUST_200600_302600_NS6detail15normal_iteratorINSA_10device_ptrIiEEEEPS6_NSA_18transform_iteratorINSB_9not_fun_tI7is_trueIiEEENSC_INSD_IbEEEENSA_11use_defaultESO_EENS0_5tupleIJSF_S6_EEENSQ_IJSG_SG_EEES6_PlJS6_EEE10hipError_tPvRmT3_T4_T5_T6_T7_T9_mT8_P12ihipStream_tbDpT10_ENKUlT_T0_E_clISt17integral_constantIbLb1EES1C_IbLb0EEEEDaS18_S19_EUlS18_E_NS1_11comp_targetILNS1_3genE2ELNS1_11target_archE906ELNS1_3gpuE6ELNS1_3repE0EEENS1_30default_config_static_selectorELNS0_4arch9wavefront6targetE0EEEvT1_.private_seg_size, 0
	.set _ZN7rocprim17ROCPRIM_400000_NS6detail17trampoline_kernelINS0_14default_configENS1_25partition_config_selectorILNS1_17partition_subalgoE5EiNS0_10empty_typeEbEEZZNS1_14partition_implILS5_5ELb0ES3_mN6thrust23THRUST_200600_302600_NS6detail15normal_iteratorINSA_10device_ptrIiEEEEPS6_NSA_18transform_iteratorINSB_9not_fun_tI7is_trueIiEEENSC_INSD_IbEEEENSA_11use_defaultESO_EENS0_5tupleIJSF_S6_EEENSQ_IJSG_SG_EEES6_PlJS6_EEE10hipError_tPvRmT3_T4_T5_T6_T7_T9_mT8_P12ihipStream_tbDpT10_ENKUlT_T0_E_clISt17integral_constantIbLb1EES1C_IbLb0EEEEDaS18_S19_EUlS18_E_NS1_11comp_targetILNS1_3genE2ELNS1_11target_archE906ELNS1_3gpuE6ELNS1_3repE0EEENS1_30default_config_static_selectorELNS0_4arch9wavefront6targetE0EEEvT1_.uses_vcc, 0
	.set _ZN7rocprim17ROCPRIM_400000_NS6detail17trampoline_kernelINS0_14default_configENS1_25partition_config_selectorILNS1_17partition_subalgoE5EiNS0_10empty_typeEbEEZZNS1_14partition_implILS5_5ELb0ES3_mN6thrust23THRUST_200600_302600_NS6detail15normal_iteratorINSA_10device_ptrIiEEEEPS6_NSA_18transform_iteratorINSB_9not_fun_tI7is_trueIiEEENSC_INSD_IbEEEENSA_11use_defaultESO_EENS0_5tupleIJSF_S6_EEENSQ_IJSG_SG_EEES6_PlJS6_EEE10hipError_tPvRmT3_T4_T5_T6_T7_T9_mT8_P12ihipStream_tbDpT10_ENKUlT_T0_E_clISt17integral_constantIbLb1EES1C_IbLb0EEEEDaS18_S19_EUlS18_E_NS1_11comp_targetILNS1_3genE2ELNS1_11target_archE906ELNS1_3gpuE6ELNS1_3repE0EEENS1_30default_config_static_selectorELNS0_4arch9wavefront6targetE0EEEvT1_.uses_flat_scratch, 0
	.set _ZN7rocprim17ROCPRIM_400000_NS6detail17trampoline_kernelINS0_14default_configENS1_25partition_config_selectorILNS1_17partition_subalgoE5EiNS0_10empty_typeEbEEZZNS1_14partition_implILS5_5ELb0ES3_mN6thrust23THRUST_200600_302600_NS6detail15normal_iteratorINSA_10device_ptrIiEEEEPS6_NSA_18transform_iteratorINSB_9not_fun_tI7is_trueIiEEENSC_INSD_IbEEEENSA_11use_defaultESO_EENS0_5tupleIJSF_S6_EEENSQ_IJSG_SG_EEES6_PlJS6_EEE10hipError_tPvRmT3_T4_T5_T6_T7_T9_mT8_P12ihipStream_tbDpT10_ENKUlT_T0_E_clISt17integral_constantIbLb1EES1C_IbLb0EEEEDaS18_S19_EUlS18_E_NS1_11comp_targetILNS1_3genE2ELNS1_11target_archE906ELNS1_3gpuE6ELNS1_3repE0EEENS1_30default_config_static_selectorELNS0_4arch9wavefront6targetE0EEEvT1_.has_dyn_sized_stack, 0
	.set _ZN7rocprim17ROCPRIM_400000_NS6detail17trampoline_kernelINS0_14default_configENS1_25partition_config_selectorILNS1_17partition_subalgoE5EiNS0_10empty_typeEbEEZZNS1_14partition_implILS5_5ELb0ES3_mN6thrust23THRUST_200600_302600_NS6detail15normal_iteratorINSA_10device_ptrIiEEEEPS6_NSA_18transform_iteratorINSB_9not_fun_tI7is_trueIiEEENSC_INSD_IbEEEENSA_11use_defaultESO_EENS0_5tupleIJSF_S6_EEENSQ_IJSG_SG_EEES6_PlJS6_EEE10hipError_tPvRmT3_T4_T5_T6_T7_T9_mT8_P12ihipStream_tbDpT10_ENKUlT_T0_E_clISt17integral_constantIbLb1EES1C_IbLb0EEEEDaS18_S19_EUlS18_E_NS1_11comp_targetILNS1_3genE2ELNS1_11target_archE906ELNS1_3gpuE6ELNS1_3repE0EEENS1_30default_config_static_selectorELNS0_4arch9wavefront6targetE0EEEvT1_.has_recursion, 0
	.set _ZN7rocprim17ROCPRIM_400000_NS6detail17trampoline_kernelINS0_14default_configENS1_25partition_config_selectorILNS1_17partition_subalgoE5EiNS0_10empty_typeEbEEZZNS1_14partition_implILS5_5ELb0ES3_mN6thrust23THRUST_200600_302600_NS6detail15normal_iteratorINSA_10device_ptrIiEEEEPS6_NSA_18transform_iteratorINSB_9not_fun_tI7is_trueIiEEENSC_INSD_IbEEEENSA_11use_defaultESO_EENS0_5tupleIJSF_S6_EEENSQ_IJSG_SG_EEES6_PlJS6_EEE10hipError_tPvRmT3_T4_T5_T6_T7_T9_mT8_P12ihipStream_tbDpT10_ENKUlT_T0_E_clISt17integral_constantIbLb1EES1C_IbLb0EEEEDaS18_S19_EUlS18_E_NS1_11comp_targetILNS1_3genE2ELNS1_11target_archE906ELNS1_3gpuE6ELNS1_3repE0EEENS1_30default_config_static_selectorELNS0_4arch9wavefront6targetE0EEEvT1_.has_indirect_call, 0
	.section	.AMDGPU.csdata,"",@progbits
; Kernel info:
; codeLenInByte = 0
; TotalNumSgprs: 0
; NumVgprs: 0
; ScratchSize: 0
; MemoryBound: 0
; FloatMode: 240
; IeeeMode: 1
; LDSByteSize: 0 bytes/workgroup (compile time only)
; SGPRBlocks: 0
; VGPRBlocks: 0
; NumSGPRsForWavesPerEU: 1
; NumVGPRsForWavesPerEU: 1
; Occupancy: 16
; WaveLimiterHint : 0
; COMPUTE_PGM_RSRC2:SCRATCH_EN: 0
; COMPUTE_PGM_RSRC2:USER_SGPR: 2
; COMPUTE_PGM_RSRC2:TRAP_HANDLER: 0
; COMPUTE_PGM_RSRC2:TGID_X_EN: 1
; COMPUTE_PGM_RSRC2:TGID_Y_EN: 0
; COMPUTE_PGM_RSRC2:TGID_Z_EN: 0
; COMPUTE_PGM_RSRC2:TIDIG_COMP_CNT: 0
	.section	.text._ZN7rocprim17ROCPRIM_400000_NS6detail17trampoline_kernelINS0_14default_configENS1_25partition_config_selectorILNS1_17partition_subalgoE5EiNS0_10empty_typeEbEEZZNS1_14partition_implILS5_5ELb0ES3_mN6thrust23THRUST_200600_302600_NS6detail15normal_iteratorINSA_10device_ptrIiEEEEPS6_NSA_18transform_iteratorINSB_9not_fun_tI7is_trueIiEEENSC_INSD_IbEEEENSA_11use_defaultESO_EENS0_5tupleIJSF_S6_EEENSQ_IJSG_SG_EEES6_PlJS6_EEE10hipError_tPvRmT3_T4_T5_T6_T7_T9_mT8_P12ihipStream_tbDpT10_ENKUlT_T0_E_clISt17integral_constantIbLb1EES1C_IbLb0EEEEDaS18_S19_EUlS18_E_NS1_11comp_targetILNS1_3genE10ELNS1_11target_archE1200ELNS1_3gpuE4ELNS1_3repE0EEENS1_30default_config_static_selectorELNS0_4arch9wavefront6targetE0EEEvT1_,"axG",@progbits,_ZN7rocprim17ROCPRIM_400000_NS6detail17trampoline_kernelINS0_14default_configENS1_25partition_config_selectorILNS1_17partition_subalgoE5EiNS0_10empty_typeEbEEZZNS1_14partition_implILS5_5ELb0ES3_mN6thrust23THRUST_200600_302600_NS6detail15normal_iteratorINSA_10device_ptrIiEEEEPS6_NSA_18transform_iteratorINSB_9not_fun_tI7is_trueIiEEENSC_INSD_IbEEEENSA_11use_defaultESO_EENS0_5tupleIJSF_S6_EEENSQ_IJSG_SG_EEES6_PlJS6_EEE10hipError_tPvRmT3_T4_T5_T6_T7_T9_mT8_P12ihipStream_tbDpT10_ENKUlT_T0_E_clISt17integral_constantIbLb1EES1C_IbLb0EEEEDaS18_S19_EUlS18_E_NS1_11comp_targetILNS1_3genE10ELNS1_11target_archE1200ELNS1_3gpuE4ELNS1_3repE0EEENS1_30default_config_static_selectorELNS0_4arch9wavefront6targetE0EEEvT1_,comdat
	.protected	_ZN7rocprim17ROCPRIM_400000_NS6detail17trampoline_kernelINS0_14default_configENS1_25partition_config_selectorILNS1_17partition_subalgoE5EiNS0_10empty_typeEbEEZZNS1_14partition_implILS5_5ELb0ES3_mN6thrust23THRUST_200600_302600_NS6detail15normal_iteratorINSA_10device_ptrIiEEEEPS6_NSA_18transform_iteratorINSB_9not_fun_tI7is_trueIiEEENSC_INSD_IbEEEENSA_11use_defaultESO_EENS0_5tupleIJSF_S6_EEENSQ_IJSG_SG_EEES6_PlJS6_EEE10hipError_tPvRmT3_T4_T5_T6_T7_T9_mT8_P12ihipStream_tbDpT10_ENKUlT_T0_E_clISt17integral_constantIbLb1EES1C_IbLb0EEEEDaS18_S19_EUlS18_E_NS1_11comp_targetILNS1_3genE10ELNS1_11target_archE1200ELNS1_3gpuE4ELNS1_3repE0EEENS1_30default_config_static_selectorELNS0_4arch9wavefront6targetE0EEEvT1_ ; -- Begin function _ZN7rocprim17ROCPRIM_400000_NS6detail17trampoline_kernelINS0_14default_configENS1_25partition_config_selectorILNS1_17partition_subalgoE5EiNS0_10empty_typeEbEEZZNS1_14partition_implILS5_5ELb0ES3_mN6thrust23THRUST_200600_302600_NS6detail15normal_iteratorINSA_10device_ptrIiEEEEPS6_NSA_18transform_iteratorINSB_9not_fun_tI7is_trueIiEEENSC_INSD_IbEEEENSA_11use_defaultESO_EENS0_5tupleIJSF_S6_EEENSQ_IJSG_SG_EEES6_PlJS6_EEE10hipError_tPvRmT3_T4_T5_T6_T7_T9_mT8_P12ihipStream_tbDpT10_ENKUlT_T0_E_clISt17integral_constantIbLb1EES1C_IbLb0EEEEDaS18_S19_EUlS18_E_NS1_11comp_targetILNS1_3genE10ELNS1_11target_archE1200ELNS1_3gpuE4ELNS1_3repE0EEENS1_30default_config_static_selectorELNS0_4arch9wavefront6targetE0EEEvT1_
	.globl	_ZN7rocprim17ROCPRIM_400000_NS6detail17trampoline_kernelINS0_14default_configENS1_25partition_config_selectorILNS1_17partition_subalgoE5EiNS0_10empty_typeEbEEZZNS1_14partition_implILS5_5ELb0ES3_mN6thrust23THRUST_200600_302600_NS6detail15normal_iteratorINSA_10device_ptrIiEEEEPS6_NSA_18transform_iteratorINSB_9not_fun_tI7is_trueIiEEENSC_INSD_IbEEEENSA_11use_defaultESO_EENS0_5tupleIJSF_S6_EEENSQ_IJSG_SG_EEES6_PlJS6_EEE10hipError_tPvRmT3_T4_T5_T6_T7_T9_mT8_P12ihipStream_tbDpT10_ENKUlT_T0_E_clISt17integral_constantIbLb1EES1C_IbLb0EEEEDaS18_S19_EUlS18_E_NS1_11comp_targetILNS1_3genE10ELNS1_11target_archE1200ELNS1_3gpuE4ELNS1_3repE0EEENS1_30default_config_static_selectorELNS0_4arch9wavefront6targetE0EEEvT1_
	.p2align	8
	.type	_ZN7rocprim17ROCPRIM_400000_NS6detail17trampoline_kernelINS0_14default_configENS1_25partition_config_selectorILNS1_17partition_subalgoE5EiNS0_10empty_typeEbEEZZNS1_14partition_implILS5_5ELb0ES3_mN6thrust23THRUST_200600_302600_NS6detail15normal_iteratorINSA_10device_ptrIiEEEEPS6_NSA_18transform_iteratorINSB_9not_fun_tI7is_trueIiEEENSC_INSD_IbEEEENSA_11use_defaultESO_EENS0_5tupleIJSF_S6_EEENSQ_IJSG_SG_EEES6_PlJS6_EEE10hipError_tPvRmT3_T4_T5_T6_T7_T9_mT8_P12ihipStream_tbDpT10_ENKUlT_T0_E_clISt17integral_constantIbLb1EES1C_IbLb0EEEEDaS18_S19_EUlS18_E_NS1_11comp_targetILNS1_3genE10ELNS1_11target_archE1200ELNS1_3gpuE4ELNS1_3repE0EEENS1_30default_config_static_selectorELNS0_4arch9wavefront6targetE0EEEvT1_,@function
_ZN7rocprim17ROCPRIM_400000_NS6detail17trampoline_kernelINS0_14default_configENS1_25partition_config_selectorILNS1_17partition_subalgoE5EiNS0_10empty_typeEbEEZZNS1_14partition_implILS5_5ELb0ES3_mN6thrust23THRUST_200600_302600_NS6detail15normal_iteratorINSA_10device_ptrIiEEEEPS6_NSA_18transform_iteratorINSB_9not_fun_tI7is_trueIiEEENSC_INSD_IbEEEENSA_11use_defaultESO_EENS0_5tupleIJSF_S6_EEENSQ_IJSG_SG_EEES6_PlJS6_EEE10hipError_tPvRmT3_T4_T5_T6_T7_T9_mT8_P12ihipStream_tbDpT10_ENKUlT_T0_E_clISt17integral_constantIbLb1EES1C_IbLb0EEEEDaS18_S19_EUlS18_E_NS1_11comp_targetILNS1_3genE10ELNS1_11target_archE1200ELNS1_3gpuE4ELNS1_3repE0EEENS1_30default_config_static_selectorELNS0_4arch9wavefront6targetE0EEEvT1_: ; @_ZN7rocprim17ROCPRIM_400000_NS6detail17trampoline_kernelINS0_14default_configENS1_25partition_config_selectorILNS1_17partition_subalgoE5EiNS0_10empty_typeEbEEZZNS1_14partition_implILS5_5ELb0ES3_mN6thrust23THRUST_200600_302600_NS6detail15normal_iteratorINSA_10device_ptrIiEEEEPS6_NSA_18transform_iteratorINSB_9not_fun_tI7is_trueIiEEENSC_INSD_IbEEEENSA_11use_defaultESO_EENS0_5tupleIJSF_S6_EEENSQ_IJSG_SG_EEES6_PlJS6_EEE10hipError_tPvRmT3_T4_T5_T6_T7_T9_mT8_P12ihipStream_tbDpT10_ENKUlT_T0_E_clISt17integral_constantIbLb1EES1C_IbLb0EEEEDaS18_S19_EUlS18_E_NS1_11comp_targetILNS1_3genE10ELNS1_11target_archE1200ELNS1_3gpuE4ELNS1_3repE0EEENS1_30default_config_static_selectorELNS0_4arch9wavefront6targetE0EEEvT1_
; %bb.0:
	s_endpgm
	.section	.rodata,"a",@progbits
	.p2align	6, 0x0
	.amdhsa_kernel _ZN7rocprim17ROCPRIM_400000_NS6detail17trampoline_kernelINS0_14default_configENS1_25partition_config_selectorILNS1_17partition_subalgoE5EiNS0_10empty_typeEbEEZZNS1_14partition_implILS5_5ELb0ES3_mN6thrust23THRUST_200600_302600_NS6detail15normal_iteratorINSA_10device_ptrIiEEEEPS6_NSA_18transform_iteratorINSB_9not_fun_tI7is_trueIiEEENSC_INSD_IbEEEENSA_11use_defaultESO_EENS0_5tupleIJSF_S6_EEENSQ_IJSG_SG_EEES6_PlJS6_EEE10hipError_tPvRmT3_T4_T5_T6_T7_T9_mT8_P12ihipStream_tbDpT10_ENKUlT_T0_E_clISt17integral_constantIbLb1EES1C_IbLb0EEEEDaS18_S19_EUlS18_E_NS1_11comp_targetILNS1_3genE10ELNS1_11target_archE1200ELNS1_3gpuE4ELNS1_3repE0EEENS1_30default_config_static_selectorELNS0_4arch9wavefront6targetE0EEEvT1_
		.amdhsa_group_segment_fixed_size 0
		.amdhsa_private_segment_fixed_size 0
		.amdhsa_kernarg_size 120
		.amdhsa_user_sgpr_count 2
		.amdhsa_user_sgpr_dispatch_ptr 0
		.amdhsa_user_sgpr_queue_ptr 0
		.amdhsa_user_sgpr_kernarg_segment_ptr 1
		.amdhsa_user_sgpr_dispatch_id 0
		.amdhsa_user_sgpr_private_segment_size 0
		.amdhsa_wavefront_size32 1
		.amdhsa_uses_dynamic_stack 0
		.amdhsa_enable_private_segment 0
		.amdhsa_system_sgpr_workgroup_id_x 1
		.amdhsa_system_sgpr_workgroup_id_y 0
		.amdhsa_system_sgpr_workgroup_id_z 0
		.amdhsa_system_sgpr_workgroup_info 0
		.amdhsa_system_vgpr_workitem_id 0
		.amdhsa_next_free_vgpr 1
		.amdhsa_next_free_sgpr 1
		.amdhsa_reserve_vcc 0
		.amdhsa_float_round_mode_32 0
		.amdhsa_float_round_mode_16_64 0
		.amdhsa_float_denorm_mode_32 3
		.amdhsa_float_denorm_mode_16_64 3
		.amdhsa_fp16_overflow 0
		.amdhsa_workgroup_processor_mode 1
		.amdhsa_memory_ordered 1
		.amdhsa_forward_progress 1
		.amdhsa_inst_pref_size 1
		.amdhsa_round_robin_scheduling 0
		.amdhsa_exception_fp_ieee_invalid_op 0
		.amdhsa_exception_fp_denorm_src 0
		.amdhsa_exception_fp_ieee_div_zero 0
		.amdhsa_exception_fp_ieee_overflow 0
		.amdhsa_exception_fp_ieee_underflow 0
		.amdhsa_exception_fp_ieee_inexact 0
		.amdhsa_exception_int_div_zero 0
	.end_amdhsa_kernel
	.section	.text._ZN7rocprim17ROCPRIM_400000_NS6detail17trampoline_kernelINS0_14default_configENS1_25partition_config_selectorILNS1_17partition_subalgoE5EiNS0_10empty_typeEbEEZZNS1_14partition_implILS5_5ELb0ES3_mN6thrust23THRUST_200600_302600_NS6detail15normal_iteratorINSA_10device_ptrIiEEEEPS6_NSA_18transform_iteratorINSB_9not_fun_tI7is_trueIiEEENSC_INSD_IbEEEENSA_11use_defaultESO_EENS0_5tupleIJSF_S6_EEENSQ_IJSG_SG_EEES6_PlJS6_EEE10hipError_tPvRmT3_T4_T5_T6_T7_T9_mT8_P12ihipStream_tbDpT10_ENKUlT_T0_E_clISt17integral_constantIbLb1EES1C_IbLb0EEEEDaS18_S19_EUlS18_E_NS1_11comp_targetILNS1_3genE10ELNS1_11target_archE1200ELNS1_3gpuE4ELNS1_3repE0EEENS1_30default_config_static_selectorELNS0_4arch9wavefront6targetE0EEEvT1_,"axG",@progbits,_ZN7rocprim17ROCPRIM_400000_NS6detail17trampoline_kernelINS0_14default_configENS1_25partition_config_selectorILNS1_17partition_subalgoE5EiNS0_10empty_typeEbEEZZNS1_14partition_implILS5_5ELb0ES3_mN6thrust23THRUST_200600_302600_NS6detail15normal_iteratorINSA_10device_ptrIiEEEEPS6_NSA_18transform_iteratorINSB_9not_fun_tI7is_trueIiEEENSC_INSD_IbEEEENSA_11use_defaultESO_EENS0_5tupleIJSF_S6_EEENSQ_IJSG_SG_EEES6_PlJS6_EEE10hipError_tPvRmT3_T4_T5_T6_T7_T9_mT8_P12ihipStream_tbDpT10_ENKUlT_T0_E_clISt17integral_constantIbLb1EES1C_IbLb0EEEEDaS18_S19_EUlS18_E_NS1_11comp_targetILNS1_3genE10ELNS1_11target_archE1200ELNS1_3gpuE4ELNS1_3repE0EEENS1_30default_config_static_selectorELNS0_4arch9wavefront6targetE0EEEvT1_,comdat
.Lfunc_end2546:
	.size	_ZN7rocprim17ROCPRIM_400000_NS6detail17trampoline_kernelINS0_14default_configENS1_25partition_config_selectorILNS1_17partition_subalgoE5EiNS0_10empty_typeEbEEZZNS1_14partition_implILS5_5ELb0ES3_mN6thrust23THRUST_200600_302600_NS6detail15normal_iteratorINSA_10device_ptrIiEEEEPS6_NSA_18transform_iteratorINSB_9not_fun_tI7is_trueIiEEENSC_INSD_IbEEEENSA_11use_defaultESO_EENS0_5tupleIJSF_S6_EEENSQ_IJSG_SG_EEES6_PlJS6_EEE10hipError_tPvRmT3_T4_T5_T6_T7_T9_mT8_P12ihipStream_tbDpT10_ENKUlT_T0_E_clISt17integral_constantIbLb1EES1C_IbLb0EEEEDaS18_S19_EUlS18_E_NS1_11comp_targetILNS1_3genE10ELNS1_11target_archE1200ELNS1_3gpuE4ELNS1_3repE0EEENS1_30default_config_static_selectorELNS0_4arch9wavefront6targetE0EEEvT1_, .Lfunc_end2546-_ZN7rocprim17ROCPRIM_400000_NS6detail17trampoline_kernelINS0_14default_configENS1_25partition_config_selectorILNS1_17partition_subalgoE5EiNS0_10empty_typeEbEEZZNS1_14partition_implILS5_5ELb0ES3_mN6thrust23THRUST_200600_302600_NS6detail15normal_iteratorINSA_10device_ptrIiEEEEPS6_NSA_18transform_iteratorINSB_9not_fun_tI7is_trueIiEEENSC_INSD_IbEEEENSA_11use_defaultESO_EENS0_5tupleIJSF_S6_EEENSQ_IJSG_SG_EEES6_PlJS6_EEE10hipError_tPvRmT3_T4_T5_T6_T7_T9_mT8_P12ihipStream_tbDpT10_ENKUlT_T0_E_clISt17integral_constantIbLb1EES1C_IbLb0EEEEDaS18_S19_EUlS18_E_NS1_11comp_targetILNS1_3genE10ELNS1_11target_archE1200ELNS1_3gpuE4ELNS1_3repE0EEENS1_30default_config_static_selectorELNS0_4arch9wavefront6targetE0EEEvT1_
                                        ; -- End function
	.set _ZN7rocprim17ROCPRIM_400000_NS6detail17trampoline_kernelINS0_14default_configENS1_25partition_config_selectorILNS1_17partition_subalgoE5EiNS0_10empty_typeEbEEZZNS1_14partition_implILS5_5ELb0ES3_mN6thrust23THRUST_200600_302600_NS6detail15normal_iteratorINSA_10device_ptrIiEEEEPS6_NSA_18transform_iteratorINSB_9not_fun_tI7is_trueIiEEENSC_INSD_IbEEEENSA_11use_defaultESO_EENS0_5tupleIJSF_S6_EEENSQ_IJSG_SG_EEES6_PlJS6_EEE10hipError_tPvRmT3_T4_T5_T6_T7_T9_mT8_P12ihipStream_tbDpT10_ENKUlT_T0_E_clISt17integral_constantIbLb1EES1C_IbLb0EEEEDaS18_S19_EUlS18_E_NS1_11comp_targetILNS1_3genE10ELNS1_11target_archE1200ELNS1_3gpuE4ELNS1_3repE0EEENS1_30default_config_static_selectorELNS0_4arch9wavefront6targetE0EEEvT1_.num_vgpr, 0
	.set _ZN7rocprim17ROCPRIM_400000_NS6detail17trampoline_kernelINS0_14default_configENS1_25partition_config_selectorILNS1_17partition_subalgoE5EiNS0_10empty_typeEbEEZZNS1_14partition_implILS5_5ELb0ES3_mN6thrust23THRUST_200600_302600_NS6detail15normal_iteratorINSA_10device_ptrIiEEEEPS6_NSA_18transform_iteratorINSB_9not_fun_tI7is_trueIiEEENSC_INSD_IbEEEENSA_11use_defaultESO_EENS0_5tupleIJSF_S6_EEENSQ_IJSG_SG_EEES6_PlJS6_EEE10hipError_tPvRmT3_T4_T5_T6_T7_T9_mT8_P12ihipStream_tbDpT10_ENKUlT_T0_E_clISt17integral_constantIbLb1EES1C_IbLb0EEEEDaS18_S19_EUlS18_E_NS1_11comp_targetILNS1_3genE10ELNS1_11target_archE1200ELNS1_3gpuE4ELNS1_3repE0EEENS1_30default_config_static_selectorELNS0_4arch9wavefront6targetE0EEEvT1_.num_agpr, 0
	.set _ZN7rocprim17ROCPRIM_400000_NS6detail17trampoline_kernelINS0_14default_configENS1_25partition_config_selectorILNS1_17partition_subalgoE5EiNS0_10empty_typeEbEEZZNS1_14partition_implILS5_5ELb0ES3_mN6thrust23THRUST_200600_302600_NS6detail15normal_iteratorINSA_10device_ptrIiEEEEPS6_NSA_18transform_iteratorINSB_9not_fun_tI7is_trueIiEEENSC_INSD_IbEEEENSA_11use_defaultESO_EENS0_5tupleIJSF_S6_EEENSQ_IJSG_SG_EEES6_PlJS6_EEE10hipError_tPvRmT3_T4_T5_T6_T7_T9_mT8_P12ihipStream_tbDpT10_ENKUlT_T0_E_clISt17integral_constantIbLb1EES1C_IbLb0EEEEDaS18_S19_EUlS18_E_NS1_11comp_targetILNS1_3genE10ELNS1_11target_archE1200ELNS1_3gpuE4ELNS1_3repE0EEENS1_30default_config_static_selectorELNS0_4arch9wavefront6targetE0EEEvT1_.numbered_sgpr, 0
	.set _ZN7rocprim17ROCPRIM_400000_NS6detail17trampoline_kernelINS0_14default_configENS1_25partition_config_selectorILNS1_17partition_subalgoE5EiNS0_10empty_typeEbEEZZNS1_14partition_implILS5_5ELb0ES3_mN6thrust23THRUST_200600_302600_NS6detail15normal_iteratorINSA_10device_ptrIiEEEEPS6_NSA_18transform_iteratorINSB_9not_fun_tI7is_trueIiEEENSC_INSD_IbEEEENSA_11use_defaultESO_EENS0_5tupleIJSF_S6_EEENSQ_IJSG_SG_EEES6_PlJS6_EEE10hipError_tPvRmT3_T4_T5_T6_T7_T9_mT8_P12ihipStream_tbDpT10_ENKUlT_T0_E_clISt17integral_constantIbLb1EES1C_IbLb0EEEEDaS18_S19_EUlS18_E_NS1_11comp_targetILNS1_3genE10ELNS1_11target_archE1200ELNS1_3gpuE4ELNS1_3repE0EEENS1_30default_config_static_selectorELNS0_4arch9wavefront6targetE0EEEvT1_.num_named_barrier, 0
	.set _ZN7rocprim17ROCPRIM_400000_NS6detail17trampoline_kernelINS0_14default_configENS1_25partition_config_selectorILNS1_17partition_subalgoE5EiNS0_10empty_typeEbEEZZNS1_14partition_implILS5_5ELb0ES3_mN6thrust23THRUST_200600_302600_NS6detail15normal_iteratorINSA_10device_ptrIiEEEEPS6_NSA_18transform_iteratorINSB_9not_fun_tI7is_trueIiEEENSC_INSD_IbEEEENSA_11use_defaultESO_EENS0_5tupleIJSF_S6_EEENSQ_IJSG_SG_EEES6_PlJS6_EEE10hipError_tPvRmT3_T4_T5_T6_T7_T9_mT8_P12ihipStream_tbDpT10_ENKUlT_T0_E_clISt17integral_constantIbLb1EES1C_IbLb0EEEEDaS18_S19_EUlS18_E_NS1_11comp_targetILNS1_3genE10ELNS1_11target_archE1200ELNS1_3gpuE4ELNS1_3repE0EEENS1_30default_config_static_selectorELNS0_4arch9wavefront6targetE0EEEvT1_.private_seg_size, 0
	.set _ZN7rocprim17ROCPRIM_400000_NS6detail17trampoline_kernelINS0_14default_configENS1_25partition_config_selectorILNS1_17partition_subalgoE5EiNS0_10empty_typeEbEEZZNS1_14partition_implILS5_5ELb0ES3_mN6thrust23THRUST_200600_302600_NS6detail15normal_iteratorINSA_10device_ptrIiEEEEPS6_NSA_18transform_iteratorINSB_9not_fun_tI7is_trueIiEEENSC_INSD_IbEEEENSA_11use_defaultESO_EENS0_5tupleIJSF_S6_EEENSQ_IJSG_SG_EEES6_PlJS6_EEE10hipError_tPvRmT3_T4_T5_T6_T7_T9_mT8_P12ihipStream_tbDpT10_ENKUlT_T0_E_clISt17integral_constantIbLb1EES1C_IbLb0EEEEDaS18_S19_EUlS18_E_NS1_11comp_targetILNS1_3genE10ELNS1_11target_archE1200ELNS1_3gpuE4ELNS1_3repE0EEENS1_30default_config_static_selectorELNS0_4arch9wavefront6targetE0EEEvT1_.uses_vcc, 0
	.set _ZN7rocprim17ROCPRIM_400000_NS6detail17trampoline_kernelINS0_14default_configENS1_25partition_config_selectorILNS1_17partition_subalgoE5EiNS0_10empty_typeEbEEZZNS1_14partition_implILS5_5ELb0ES3_mN6thrust23THRUST_200600_302600_NS6detail15normal_iteratorINSA_10device_ptrIiEEEEPS6_NSA_18transform_iteratorINSB_9not_fun_tI7is_trueIiEEENSC_INSD_IbEEEENSA_11use_defaultESO_EENS0_5tupleIJSF_S6_EEENSQ_IJSG_SG_EEES6_PlJS6_EEE10hipError_tPvRmT3_T4_T5_T6_T7_T9_mT8_P12ihipStream_tbDpT10_ENKUlT_T0_E_clISt17integral_constantIbLb1EES1C_IbLb0EEEEDaS18_S19_EUlS18_E_NS1_11comp_targetILNS1_3genE10ELNS1_11target_archE1200ELNS1_3gpuE4ELNS1_3repE0EEENS1_30default_config_static_selectorELNS0_4arch9wavefront6targetE0EEEvT1_.uses_flat_scratch, 0
	.set _ZN7rocprim17ROCPRIM_400000_NS6detail17trampoline_kernelINS0_14default_configENS1_25partition_config_selectorILNS1_17partition_subalgoE5EiNS0_10empty_typeEbEEZZNS1_14partition_implILS5_5ELb0ES3_mN6thrust23THRUST_200600_302600_NS6detail15normal_iteratorINSA_10device_ptrIiEEEEPS6_NSA_18transform_iteratorINSB_9not_fun_tI7is_trueIiEEENSC_INSD_IbEEEENSA_11use_defaultESO_EENS0_5tupleIJSF_S6_EEENSQ_IJSG_SG_EEES6_PlJS6_EEE10hipError_tPvRmT3_T4_T5_T6_T7_T9_mT8_P12ihipStream_tbDpT10_ENKUlT_T0_E_clISt17integral_constantIbLb1EES1C_IbLb0EEEEDaS18_S19_EUlS18_E_NS1_11comp_targetILNS1_3genE10ELNS1_11target_archE1200ELNS1_3gpuE4ELNS1_3repE0EEENS1_30default_config_static_selectorELNS0_4arch9wavefront6targetE0EEEvT1_.has_dyn_sized_stack, 0
	.set _ZN7rocprim17ROCPRIM_400000_NS6detail17trampoline_kernelINS0_14default_configENS1_25partition_config_selectorILNS1_17partition_subalgoE5EiNS0_10empty_typeEbEEZZNS1_14partition_implILS5_5ELb0ES3_mN6thrust23THRUST_200600_302600_NS6detail15normal_iteratorINSA_10device_ptrIiEEEEPS6_NSA_18transform_iteratorINSB_9not_fun_tI7is_trueIiEEENSC_INSD_IbEEEENSA_11use_defaultESO_EENS0_5tupleIJSF_S6_EEENSQ_IJSG_SG_EEES6_PlJS6_EEE10hipError_tPvRmT3_T4_T5_T6_T7_T9_mT8_P12ihipStream_tbDpT10_ENKUlT_T0_E_clISt17integral_constantIbLb1EES1C_IbLb0EEEEDaS18_S19_EUlS18_E_NS1_11comp_targetILNS1_3genE10ELNS1_11target_archE1200ELNS1_3gpuE4ELNS1_3repE0EEENS1_30default_config_static_selectorELNS0_4arch9wavefront6targetE0EEEvT1_.has_recursion, 0
	.set _ZN7rocprim17ROCPRIM_400000_NS6detail17trampoline_kernelINS0_14default_configENS1_25partition_config_selectorILNS1_17partition_subalgoE5EiNS0_10empty_typeEbEEZZNS1_14partition_implILS5_5ELb0ES3_mN6thrust23THRUST_200600_302600_NS6detail15normal_iteratorINSA_10device_ptrIiEEEEPS6_NSA_18transform_iteratorINSB_9not_fun_tI7is_trueIiEEENSC_INSD_IbEEEENSA_11use_defaultESO_EENS0_5tupleIJSF_S6_EEENSQ_IJSG_SG_EEES6_PlJS6_EEE10hipError_tPvRmT3_T4_T5_T6_T7_T9_mT8_P12ihipStream_tbDpT10_ENKUlT_T0_E_clISt17integral_constantIbLb1EES1C_IbLb0EEEEDaS18_S19_EUlS18_E_NS1_11comp_targetILNS1_3genE10ELNS1_11target_archE1200ELNS1_3gpuE4ELNS1_3repE0EEENS1_30default_config_static_selectorELNS0_4arch9wavefront6targetE0EEEvT1_.has_indirect_call, 0
	.section	.AMDGPU.csdata,"",@progbits
; Kernel info:
; codeLenInByte = 4
; TotalNumSgprs: 0
; NumVgprs: 0
; ScratchSize: 0
; MemoryBound: 0
; FloatMode: 240
; IeeeMode: 1
; LDSByteSize: 0 bytes/workgroup (compile time only)
; SGPRBlocks: 0
; VGPRBlocks: 0
; NumSGPRsForWavesPerEU: 1
; NumVGPRsForWavesPerEU: 1
; Occupancy: 16
; WaveLimiterHint : 0
; COMPUTE_PGM_RSRC2:SCRATCH_EN: 0
; COMPUTE_PGM_RSRC2:USER_SGPR: 2
; COMPUTE_PGM_RSRC2:TRAP_HANDLER: 0
; COMPUTE_PGM_RSRC2:TGID_X_EN: 1
; COMPUTE_PGM_RSRC2:TGID_Y_EN: 0
; COMPUTE_PGM_RSRC2:TGID_Z_EN: 0
; COMPUTE_PGM_RSRC2:TIDIG_COMP_CNT: 0
	.section	.text._ZN7rocprim17ROCPRIM_400000_NS6detail17trampoline_kernelINS0_14default_configENS1_25partition_config_selectorILNS1_17partition_subalgoE5EiNS0_10empty_typeEbEEZZNS1_14partition_implILS5_5ELb0ES3_mN6thrust23THRUST_200600_302600_NS6detail15normal_iteratorINSA_10device_ptrIiEEEEPS6_NSA_18transform_iteratorINSB_9not_fun_tI7is_trueIiEEENSC_INSD_IbEEEENSA_11use_defaultESO_EENS0_5tupleIJSF_S6_EEENSQ_IJSG_SG_EEES6_PlJS6_EEE10hipError_tPvRmT3_T4_T5_T6_T7_T9_mT8_P12ihipStream_tbDpT10_ENKUlT_T0_E_clISt17integral_constantIbLb1EES1C_IbLb0EEEEDaS18_S19_EUlS18_E_NS1_11comp_targetILNS1_3genE9ELNS1_11target_archE1100ELNS1_3gpuE3ELNS1_3repE0EEENS1_30default_config_static_selectorELNS0_4arch9wavefront6targetE0EEEvT1_,"axG",@progbits,_ZN7rocprim17ROCPRIM_400000_NS6detail17trampoline_kernelINS0_14default_configENS1_25partition_config_selectorILNS1_17partition_subalgoE5EiNS0_10empty_typeEbEEZZNS1_14partition_implILS5_5ELb0ES3_mN6thrust23THRUST_200600_302600_NS6detail15normal_iteratorINSA_10device_ptrIiEEEEPS6_NSA_18transform_iteratorINSB_9not_fun_tI7is_trueIiEEENSC_INSD_IbEEEENSA_11use_defaultESO_EENS0_5tupleIJSF_S6_EEENSQ_IJSG_SG_EEES6_PlJS6_EEE10hipError_tPvRmT3_T4_T5_T6_T7_T9_mT8_P12ihipStream_tbDpT10_ENKUlT_T0_E_clISt17integral_constantIbLb1EES1C_IbLb0EEEEDaS18_S19_EUlS18_E_NS1_11comp_targetILNS1_3genE9ELNS1_11target_archE1100ELNS1_3gpuE3ELNS1_3repE0EEENS1_30default_config_static_selectorELNS0_4arch9wavefront6targetE0EEEvT1_,comdat
	.protected	_ZN7rocprim17ROCPRIM_400000_NS6detail17trampoline_kernelINS0_14default_configENS1_25partition_config_selectorILNS1_17partition_subalgoE5EiNS0_10empty_typeEbEEZZNS1_14partition_implILS5_5ELb0ES3_mN6thrust23THRUST_200600_302600_NS6detail15normal_iteratorINSA_10device_ptrIiEEEEPS6_NSA_18transform_iteratorINSB_9not_fun_tI7is_trueIiEEENSC_INSD_IbEEEENSA_11use_defaultESO_EENS0_5tupleIJSF_S6_EEENSQ_IJSG_SG_EEES6_PlJS6_EEE10hipError_tPvRmT3_T4_T5_T6_T7_T9_mT8_P12ihipStream_tbDpT10_ENKUlT_T0_E_clISt17integral_constantIbLb1EES1C_IbLb0EEEEDaS18_S19_EUlS18_E_NS1_11comp_targetILNS1_3genE9ELNS1_11target_archE1100ELNS1_3gpuE3ELNS1_3repE0EEENS1_30default_config_static_selectorELNS0_4arch9wavefront6targetE0EEEvT1_ ; -- Begin function _ZN7rocprim17ROCPRIM_400000_NS6detail17trampoline_kernelINS0_14default_configENS1_25partition_config_selectorILNS1_17partition_subalgoE5EiNS0_10empty_typeEbEEZZNS1_14partition_implILS5_5ELb0ES3_mN6thrust23THRUST_200600_302600_NS6detail15normal_iteratorINSA_10device_ptrIiEEEEPS6_NSA_18transform_iteratorINSB_9not_fun_tI7is_trueIiEEENSC_INSD_IbEEEENSA_11use_defaultESO_EENS0_5tupleIJSF_S6_EEENSQ_IJSG_SG_EEES6_PlJS6_EEE10hipError_tPvRmT3_T4_T5_T6_T7_T9_mT8_P12ihipStream_tbDpT10_ENKUlT_T0_E_clISt17integral_constantIbLb1EES1C_IbLb0EEEEDaS18_S19_EUlS18_E_NS1_11comp_targetILNS1_3genE9ELNS1_11target_archE1100ELNS1_3gpuE3ELNS1_3repE0EEENS1_30default_config_static_selectorELNS0_4arch9wavefront6targetE0EEEvT1_
	.globl	_ZN7rocprim17ROCPRIM_400000_NS6detail17trampoline_kernelINS0_14default_configENS1_25partition_config_selectorILNS1_17partition_subalgoE5EiNS0_10empty_typeEbEEZZNS1_14partition_implILS5_5ELb0ES3_mN6thrust23THRUST_200600_302600_NS6detail15normal_iteratorINSA_10device_ptrIiEEEEPS6_NSA_18transform_iteratorINSB_9not_fun_tI7is_trueIiEEENSC_INSD_IbEEEENSA_11use_defaultESO_EENS0_5tupleIJSF_S6_EEENSQ_IJSG_SG_EEES6_PlJS6_EEE10hipError_tPvRmT3_T4_T5_T6_T7_T9_mT8_P12ihipStream_tbDpT10_ENKUlT_T0_E_clISt17integral_constantIbLb1EES1C_IbLb0EEEEDaS18_S19_EUlS18_E_NS1_11comp_targetILNS1_3genE9ELNS1_11target_archE1100ELNS1_3gpuE3ELNS1_3repE0EEENS1_30default_config_static_selectorELNS0_4arch9wavefront6targetE0EEEvT1_
	.p2align	8
	.type	_ZN7rocprim17ROCPRIM_400000_NS6detail17trampoline_kernelINS0_14default_configENS1_25partition_config_selectorILNS1_17partition_subalgoE5EiNS0_10empty_typeEbEEZZNS1_14partition_implILS5_5ELb0ES3_mN6thrust23THRUST_200600_302600_NS6detail15normal_iteratorINSA_10device_ptrIiEEEEPS6_NSA_18transform_iteratorINSB_9not_fun_tI7is_trueIiEEENSC_INSD_IbEEEENSA_11use_defaultESO_EENS0_5tupleIJSF_S6_EEENSQ_IJSG_SG_EEES6_PlJS6_EEE10hipError_tPvRmT3_T4_T5_T6_T7_T9_mT8_P12ihipStream_tbDpT10_ENKUlT_T0_E_clISt17integral_constantIbLb1EES1C_IbLb0EEEEDaS18_S19_EUlS18_E_NS1_11comp_targetILNS1_3genE9ELNS1_11target_archE1100ELNS1_3gpuE3ELNS1_3repE0EEENS1_30default_config_static_selectorELNS0_4arch9wavefront6targetE0EEEvT1_,@function
_ZN7rocprim17ROCPRIM_400000_NS6detail17trampoline_kernelINS0_14default_configENS1_25partition_config_selectorILNS1_17partition_subalgoE5EiNS0_10empty_typeEbEEZZNS1_14partition_implILS5_5ELb0ES3_mN6thrust23THRUST_200600_302600_NS6detail15normal_iteratorINSA_10device_ptrIiEEEEPS6_NSA_18transform_iteratorINSB_9not_fun_tI7is_trueIiEEENSC_INSD_IbEEEENSA_11use_defaultESO_EENS0_5tupleIJSF_S6_EEENSQ_IJSG_SG_EEES6_PlJS6_EEE10hipError_tPvRmT3_T4_T5_T6_T7_T9_mT8_P12ihipStream_tbDpT10_ENKUlT_T0_E_clISt17integral_constantIbLb1EES1C_IbLb0EEEEDaS18_S19_EUlS18_E_NS1_11comp_targetILNS1_3genE9ELNS1_11target_archE1100ELNS1_3gpuE3ELNS1_3repE0EEENS1_30default_config_static_selectorELNS0_4arch9wavefront6targetE0EEEvT1_: ; @_ZN7rocprim17ROCPRIM_400000_NS6detail17trampoline_kernelINS0_14default_configENS1_25partition_config_selectorILNS1_17partition_subalgoE5EiNS0_10empty_typeEbEEZZNS1_14partition_implILS5_5ELb0ES3_mN6thrust23THRUST_200600_302600_NS6detail15normal_iteratorINSA_10device_ptrIiEEEEPS6_NSA_18transform_iteratorINSB_9not_fun_tI7is_trueIiEEENSC_INSD_IbEEEENSA_11use_defaultESO_EENS0_5tupleIJSF_S6_EEENSQ_IJSG_SG_EEES6_PlJS6_EEE10hipError_tPvRmT3_T4_T5_T6_T7_T9_mT8_P12ihipStream_tbDpT10_ENKUlT_T0_E_clISt17integral_constantIbLb1EES1C_IbLb0EEEEDaS18_S19_EUlS18_E_NS1_11comp_targetILNS1_3genE9ELNS1_11target_archE1100ELNS1_3gpuE3ELNS1_3repE0EEENS1_30default_config_static_selectorELNS0_4arch9wavefront6targetE0EEEvT1_
; %bb.0:
	.section	.rodata,"a",@progbits
	.p2align	6, 0x0
	.amdhsa_kernel _ZN7rocprim17ROCPRIM_400000_NS6detail17trampoline_kernelINS0_14default_configENS1_25partition_config_selectorILNS1_17partition_subalgoE5EiNS0_10empty_typeEbEEZZNS1_14partition_implILS5_5ELb0ES3_mN6thrust23THRUST_200600_302600_NS6detail15normal_iteratorINSA_10device_ptrIiEEEEPS6_NSA_18transform_iteratorINSB_9not_fun_tI7is_trueIiEEENSC_INSD_IbEEEENSA_11use_defaultESO_EENS0_5tupleIJSF_S6_EEENSQ_IJSG_SG_EEES6_PlJS6_EEE10hipError_tPvRmT3_T4_T5_T6_T7_T9_mT8_P12ihipStream_tbDpT10_ENKUlT_T0_E_clISt17integral_constantIbLb1EES1C_IbLb0EEEEDaS18_S19_EUlS18_E_NS1_11comp_targetILNS1_3genE9ELNS1_11target_archE1100ELNS1_3gpuE3ELNS1_3repE0EEENS1_30default_config_static_selectorELNS0_4arch9wavefront6targetE0EEEvT1_
		.amdhsa_group_segment_fixed_size 0
		.amdhsa_private_segment_fixed_size 0
		.amdhsa_kernarg_size 120
		.amdhsa_user_sgpr_count 2
		.amdhsa_user_sgpr_dispatch_ptr 0
		.amdhsa_user_sgpr_queue_ptr 0
		.amdhsa_user_sgpr_kernarg_segment_ptr 1
		.amdhsa_user_sgpr_dispatch_id 0
		.amdhsa_user_sgpr_private_segment_size 0
		.amdhsa_wavefront_size32 1
		.amdhsa_uses_dynamic_stack 0
		.amdhsa_enable_private_segment 0
		.amdhsa_system_sgpr_workgroup_id_x 1
		.amdhsa_system_sgpr_workgroup_id_y 0
		.amdhsa_system_sgpr_workgroup_id_z 0
		.amdhsa_system_sgpr_workgroup_info 0
		.amdhsa_system_vgpr_workitem_id 0
		.amdhsa_next_free_vgpr 1
		.amdhsa_next_free_sgpr 1
		.amdhsa_reserve_vcc 0
		.amdhsa_float_round_mode_32 0
		.amdhsa_float_round_mode_16_64 0
		.amdhsa_float_denorm_mode_32 3
		.amdhsa_float_denorm_mode_16_64 3
		.amdhsa_fp16_overflow 0
		.amdhsa_workgroup_processor_mode 1
		.amdhsa_memory_ordered 1
		.amdhsa_forward_progress 1
		.amdhsa_inst_pref_size 0
		.amdhsa_round_robin_scheduling 0
		.amdhsa_exception_fp_ieee_invalid_op 0
		.amdhsa_exception_fp_denorm_src 0
		.amdhsa_exception_fp_ieee_div_zero 0
		.amdhsa_exception_fp_ieee_overflow 0
		.amdhsa_exception_fp_ieee_underflow 0
		.amdhsa_exception_fp_ieee_inexact 0
		.amdhsa_exception_int_div_zero 0
	.end_amdhsa_kernel
	.section	.text._ZN7rocprim17ROCPRIM_400000_NS6detail17trampoline_kernelINS0_14default_configENS1_25partition_config_selectorILNS1_17partition_subalgoE5EiNS0_10empty_typeEbEEZZNS1_14partition_implILS5_5ELb0ES3_mN6thrust23THRUST_200600_302600_NS6detail15normal_iteratorINSA_10device_ptrIiEEEEPS6_NSA_18transform_iteratorINSB_9not_fun_tI7is_trueIiEEENSC_INSD_IbEEEENSA_11use_defaultESO_EENS0_5tupleIJSF_S6_EEENSQ_IJSG_SG_EEES6_PlJS6_EEE10hipError_tPvRmT3_T4_T5_T6_T7_T9_mT8_P12ihipStream_tbDpT10_ENKUlT_T0_E_clISt17integral_constantIbLb1EES1C_IbLb0EEEEDaS18_S19_EUlS18_E_NS1_11comp_targetILNS1_3genE9ELNS1_11target_archE1100ELNS1_3gpuE3ELNS1_3repE0EEENS1_30default_config_static_selectorELNS0_4arch9wavefront6targetE0EEEvT1_,"axG",@progbits,_ZN7rocprim17ROCPRIM_400000_NS6detail17trampoline_kernelINS0_14default_configENS1_25partition_config_selectorILNS1_17partition_subalgoE5EiNS0_10empty_typeEbEEZZNS1_14partition_implILS5_5ELb0ES3_mN6thrust23THRUST_200600_302600_NS6detail15normal_iteratorINSA_10device_ptrIiEEEEPS6_NSA_18transform_iteratorINSB_9not_fun_tI7is_trueIiEEENSC_INSD_IbEEEENSA_11use_defaultESO_EENS0_5tupleIJSF_S6_EEENSQ_IJSG_SG_EEES6_PlJS6_EEE10hipError_tPvRmT3_T4_T5_T6_T7_T9_mT8_P12ihipStream_tbDpT10_ENKUlT_T0_E_clISt17integral_constantIbLb1EES1C_IbLb0EEEEDaS18_S19_EUlS18_E_NS1_11comp_targetILNS1_3genE9ELNS1_11target_archE1100ELNS1_3gpuE3ELNS1_3repE0EEENS1_30default_config_static_selectorELNS0_4arch9wavefront6targetE0EEEvT1_,comdat
.Lfunc_end2547:
	.size	_ZN7rocprim17ROCPRIM_400000_NS6detail17trampoline_kernelINS0_14default_configENS1_25partition_config_selectorILNS1_17partition_subalgoE5EiNS0_10empty_typeEbEEZZNS1_14partition_implILS5_5ELb0ES3_mN6thrust23THRUST_200600_302600_NS6detail15normal_iteratorINSA_10device_ptrIiEEEEPS6_NSA_18transform_iteratorINSB_9not_fun_tI7is_trueIiEEENSC_INSD_IbEEEENSA_11use_defaultESO_EENS0_5tupleIJSF_S6_EEENSQ_IJSG_SG_EEES6_PlJS6_EEE10hipError_tPvRmT3_T4_T5_T6_T7_T9_mT8_P12ihipStream_tbDpT10_ENKUlT_T0_E_clISt17integral_constantIbLb1EES1C_IbLb0EEEEDaS18_S19_EUlS18_E_NS1_11comp_targetILNS1_3genE9ELNS1_11target_archE1100ELNS1_3gpuE3ELNS1_3repE0EEENS1_30default_config_static_selectorELNS0_4arch9wavefront6targetE0EEEvT1_, .Lfunc_end2547-_ZN7rocprim17ROCPRIM_400000_NS6detail17trampoline_kernelINS0_14default_configENS1_25partition_config_selectorILNS1_17partition_subalgoE5EiNS0_10empty_typeEbEEZZNS1_14partition_implILS5_5ELb0ES3_mN6thrust23THRUST_200600_302600_NS6detail15normal_iteratorINSA_10device_ptrIiEEEEPS6_NSA_18transform_iteratorINSB_9not_fun_tI7is_trueIiEEENSC_INSD_IbEEEENSA_11use_defaultESO_EENS0_5tupleIJSF_S6_EEENSQ_IJSG_SG_EEES6_PlJS6_EEE10hipError_tPvRmT3_T4_T5_T6_T7_T9_mT8_P12ihipStream_tbDpT10_ENKUlT_T0_E_clISt17integral_constantIbLb1EES1C_IbLb0EEEEDaS18_S19_EUlS18_E_NS1_11comp_targetILNS1_3genE9ELNS1_11target_archE1100ELNS1_3gpuE3ELNS1_3repE0EEENS1_30default_config_static_selectorELNS0_4arch9wavefront6targetE0EEEvT1_
                                        ; -- End function
	.set _ZN7rocprim17ROCPRIM_400000_NS6detail17trampoline_kernelINS0_14default_configENS1_25partition_config_selectorILNS1_17partition_subalgoE5EiNS0_10empty_typeEbEEZZNS1_14partition_implILS5_5ELb0ES3_mN6thrust23THRUST_200600_302600_NS6detail15normal_iteratorINSA_10device_ptrIiEEEEPS6_NSA_18transform_iteratorINSB_9not_fun_tI7is_trueIiEEENSC_INSD_IbEEEENSA_11use_defaultESO_EENS0_5tupleIJSF_S6_EEENSQ_IJSG_SG_EEES6_PlJS6_EEE10hipError_tPvRmT3_T4_T5_T6_T7_T9_mT8_P12ihipStream_tbDpT10_ENKUlT_T0_E_clISt17integral_constantIbLb1EES1C_IbLb0EEEEDaS18_S19_EUlS18_E_NS1_11comp_targetILNS1_3genE9ELNS1_11target_archE1100ELNS1_3gpuE3ELNS1_3repE0EEENS1_30default_config_static_selectorELNS0_4arch9wavefront6targetE0EEEvT1_.num_vgpr, 0
	.set _ZN7rocprim17ROCPRIM_400000_NS6detail17trampoline_kernelINS0_14default_configENS1_25partition_config_selectorILNS1_17partition_subalgoE5EiNS0_10empty_typeEbEEZZNS1_14partition_implILS5_5ELb0ES3_mN6thrust23THRUST_200600_302600_NS6detail15normal_iteratorINSA_10device_ptrIiEEEEPS6_NSA_18transform_iteratorINSB_9not_fun_tI7is_trueIiEEENSC_INSD_IbEEEENSA_11use_defaultESO_EENS0_5tupleIJSF_S6_EEENSQ_IJSG_SG_EEES6_PlJS6_EEE10hipError_tPvRmT3_T4_T5_T6_T7_T9_mT8_P12ihipStream_tbDpT10_ENKUlT_T0_E_clISt17integral_constantIbLb1EES1C_IbLb0EEEEDaS18_S19_EUlS18_E_NS1_11comp_targetILNS1_3genE9ELNS1_11target_archE1100ELNS1_3gpuE3ELNS1_3repE0EEENS1_30default_config_static_selectorELNS0_4arch9wavefront6targetE0EEEvT1_.num_agpr, 0
	.set _ZN7rocprim17ROCPRIM_400000_NS6detail17trampoline_kernelINS0_14default_configENS1_25partition_config_selectorILNS1_17partition_subalgoE5EiNS0_10empty_typeEbEEZZNS1_14partition_implILS5_5ELb0ES3_mN6thrust23THRUST_200600_302600_NS6detail15normal_iteratorINSA_10device_ptrIiEEEEPS6_NSA_18transform_iteratorINSB_9not_fun_tI7is_trueIiEEENSC_INSD_IbEEEENSA_11use_defaultESO_EENS0_5tupleIJSF_S6_EEENSQ_IJSG_SG_EEES6_PlJS6_EEE10hipError_tPvRmT3_T4_T5_T6_T7_T9_mT8_P12ihipStream_tbDpT10_ENKUlT_T0_E_clISt17integral_constantIbLb1EES1C_IbLb0EEEEDaS18_S19_EUlS18_E_NS1_11comp_targetILNS1_3genE9ELNS1_11target_archE1100ELNS1_3gpuE3ELNS1_3repE0EEENS1_30default_config_static_selectorELNS0_4arch9wavefront6targetE0EEEvT1_.numbered_sgpr, 0
	.set _ZN7rocprim17ROCPRIM_400000_NS6detail17trampoline_kernelINS0_14default_configENS1_25partition_config_selectorILNS1_17partition_subalgoE5EiNS0_10empty_typeEbEEZZNS1_14partition_implILS5_5ELb0ES3_mN6thrust23THRUST_200600_302600_NS6detail15normal_iteratorINSA_10device_ptrIiEEEEPS6_NSA_18transform_iteratorINSB_9not_fun_tI7is_trueIiEEENSC_INSD_IbEEEENSA_11use_defaultESO_EENS0_5tupleIJSF_S6_EEENSQ_IJSG_SG_EEES6_PlJS6_EEE10hipError_tPvRmT3_T4_T5_T6_T7_T9_mT8_P12ihipStream_tbDpT10_ENKUlT_T0_E_clISt17integral_constantIbLb1EES1C_IbLb0EEEEDaS18_S19_EUlS18_E_NS1_11comp_targetILNS1_3genE9ELNS1_11target_archE1100ELNS1_3gpuE3ELNS1_3repE0EEENS1_30default_config_static_selectorELNS0_4arch9wavefront6targetE0EEEvT1_.num_named_barrier, 0
	.set _ZN7rocprim17ROCPRIM_400000_NS6detail17trampoline_kernelINS0_14default_configENS1_25partition_config_selectorILNS1_17partition_subalgoE5EiNS0_10empty_typeEbEEZZNS1_14partition_implILS5_5ELb0ES3_mN6thrust23THRUST_200600_302600_NS6detail15normal_iteratorINSA_10device_ptrIiEEEEPS6_NSA_18transform_iteratorINSB_9not_fun_tI7is_trueIiEEENSC_INSD_IbEEEENSA_11use_defaultESO_EENS0_5tupleIJSF_S6_EEENSQ_IJSG_SG_EEES6_PlJS6_EEE10hipError_tPvRmT3_T4_T5_T6_T7_T9_mT8_P12ihipStream_tbDpT10_ENKUlT_T0_E_clISt17integral_constantIbLb1EES1C_IbLb0EEEEDaS18_S19_EUlS18_E_NS1_11comp_targetILNS1_3genE9ELNS1_11target_archE1100ELNS1_3gpuE3ELNS1_3repE0EEENS1_30default_config_static_selectorELNS0_4arch9wavefront6targetE0EEEvT1_.private_seg_size, 0
	.set _ZN7rocprim17ROCPRIM_400000_NS6detail17trampoline_kernelINS0_14default_configENS1_25partition_config_selectorILNS1_17partition_subalgoE5EiNS0_10empty_typeEbEEZZNS1_14partition_implILS5_5ELb0ES3_mN6thrust23THRUST_200600_302600_NS6detail15normal_iteratorINSA_10device_ptrIiEEEEPS6_NSA_18transform_iteratorINSB_9not_fun_tI7is_trueIiEEENSC_INSD_IbEEEENSA_11use_defaultESO_EENS0_5tupleIJSF_S6_EEENSQ_IJSG_SG_EEES6_PlJS6_EEE10hipError_tPvRmT3_T4_T5_T6_T7_T9_mT8_P12ihipStream_tbDpT10_ENKUlT_T0_E_clISt17integral_constantIbLb1EES1C_IbLb0EEEEDaS18_S19_EUlS18_E_NS1_11comp_targetILNS1_3genE9ELNS1_11target_archE1100ELNS1_3gpuE3ELNS1_3repE0EEENS1_30default_config_static_selectorELNS0_4arch9wavefront6targetE0EEEvT1_.uses_vcc, 0
	.set _ZN7rocprim17ROCPRIM_400000_NS6detail17trampoline_kernelINS0_14default_configENS1_25partition_config_selectorILNS1_17partition_subalgoE5EiNS0_10empty_typeEbEEZZNS1_14partition_implILS5_5ELb0ES3_mN6thrust23THRUST_200600_302600_NS6detail15normal_iteratorINSA_10device_ptrIiEEEEPS6_NSA_18transform_iteratorINSB_9not_fun_tI7is_trueIiEEENSC_INSD_IbEEEENSA_11use_defaultESO_EENS0_5tupleIJSF_S6_EEENSQ_IJSG_SG_EEES6_PlJS6_EEE10hipError_tPvRmT3_T4_T5_T6_T7_T9_mT8_P12ihipStream_tbDpT10_ENKUlT_T0_E_clISt17integral_constantIbLb1EES1C_IbLb0EEEEDaS18_S19_EUlS18_E_NS1_11comp_targetILNS1_3genE9ELNS1_11target_archE1100ELNS1_3gpuE3ELNS1_3repE0EEENS1_30default_config_static_selectorELNS0_4arch9wavefront6targetE0EEEvT1_.uses_flat_scratch, 0
	.set _ZN7rocprim17ROCPRIM_400000_NS6detail17trampoline_kernelINS0_14default_configENS1_25partition_config_selectorILNS1_17partition_subalgoE5EiNS0_10empty_typeEbEEZZNS1_14partition_implILS5_5ELb0ES3_mN6thrust23THRUST_200600_302600_NS6detail15normal_iteratorINSA_10device_ptrIiEEEEPS6_NSA_18transform_iteratorINSB_9not_fun_tI7is_trueIiEEENSC_INSD_IbEEEENSA_11use_defaultESO_EENS0_5tupleIJSF_S6_EEENSQ_IJSG_SG_EEES6_PlJS6_EEE10hipError_tPvRmT3_T4_T5_T6_T7_T9_mT8_P12ihipStream_tbDpT10_ENKUlT_T0_E_clISt17integral_constantIbLb1EES1C_IbLb0EEEEDaS18_S19_EUlS18_E_NS1_11comp_targetILNS1_3genE9ELNS1_11target_archE1100ELNS1_3gpuE3ELNS1_3repE0EEENS1_30default_config_static_selectorELNS0_4arch9wavefront6targetE0EEEvT1_.has_dyn_sized_stack, 0
	.set _ZN7rocprim17ROCPRIM_400000_NS6detail17trampoline_kernelINS0_14default_configENS1_25partition_config_selectorILNS1_17partition_subalgoE5EiNS0_10empty_typeEbEEZZNS1_14partition_implILS5_5ELb0ES3_mN6thrust23THRUST_200600_302600_NS6detail15normal_iteratorINSA_10device_ptrIiEEEEPS6_NSA_18transform_iteratorINSB_9not_fun_tI7is_trueIiEEENSC_INSD_IbEEEENSA_11use_defaultESO_EENS0_5tupleIJSF_S6_EEENSQ_IJSG_SG_EEES6_PlJS6_EEE10hipError_tPvRmT3_T4_T5_T6_T7_T9_mT8_P12ihipStream_tbDpT10_ENKUlT_T0_E_clISt17integral_constantIbLb1EES1C_IbLb0EEEEDaS18_S19_EUlS18_E_NS1_11comp_targetILNS1_3genE9ELNS1_11target_archE1100ELNS1_3gpuE3ELNS1_3repE0EEENS1_30default_config_static_selectorELNS0_4arch9wavefront6targetE0EEEvT1_.has_recursion, 0
	.set _ZN7rocprim17ROCPRIM_400000_NS6detail17trampoline_kernelINS0_14default_configENS1_25partition_config_selectorILNS1_17partition_subalgoE5EiNS0_10empty_typeEbEEZZNS1_14partition_implILS5_5ELb0ES3_mN6thrust23THRUST_200600_302600_NS6detail15normal_iteratorINSA_10device_ptrIiEEEEPS6_NSA_18transform_iteratorINSB_9not_fun_tI7is_trueIiEEENSC_INSD_IbEEEENSA_11use_defaultESO_EENS0_5tupleIJSF_S6_EEENSQ_IJSG_SG_EEES6_PlJS6_EEE10hipError_tPvRmT3_T4_T5_T6_T7_T9_mT8_P12ihipStream_tbDpT10_ENKUlT_T0_E_clISt17integral_constantIbLb1EES1C_IbLb0EEEEDaS18_S19_EUlS18_E_NS1_11comp_targetILNS1_3genE9ELNS1_11target_archE1100ELNS1_3gpuE3ELNS1_3repE0EEENS1_30default_config_static_selectorELNS0_4arch9wavefront6targetE0EEEvT1_.has_indirect_call, 0
	.section	.AMDGPU.csdata,"",@progbits
; Kernel info:
; codeLenInByte = 0
; TotalNumSgprs: 0
; NumVgprs: 0
; ScratchSize: 0
; MemoryBound: 0
; FloatMode: 240
; IeeeMode: 1
; LDSByteSize: 0 bytes/workgroup (compile time only)
; SGPRBlocks: 0
; VGPRBlocks: 0
; NumSGPRsForWavesPerEU: 1
; NumVGPRsForWavesPerEU: 1
; Occupancy: 16
; WaveLimiterHint : 0
; COMPUTE_PGM_RSRC2:SCRATCH_EN: 0
; COMPUTE_PGM_RSRC2:USER_SGPR: 2
; COMPUTE_PGM_RSRC2:TRAP_HANDLER: 0
; COMPUTE_PGM_RSRC2:TGID_X_EN: 1
; COMPUTE_PGM_RSRC2:TGID_Y_EN: 0
; COMPUTE_PGM_RSRC2:TGID_Z_EN: 0
; COMPUTE_PGM_RSRC2:TIDIG_COMP_CNT: 0
	.section	.text._ZN7rocprim17ROCPRIM_400000_NS6detail17trampoline_kernelINS0_14default_configENS1_25partition_config_selectorILNS1_17partition_subalgoE5EiNS0_10empty_typeEbEEZZNS1_14partition_implILS5_5ELb0ES3_mN6thrust23THRUST_200600_302600_NS6detail15normal_iteratorINSA_10device_ptrIiEEEEPS6_NSA_18transform_iteratorINSB_9not_fun_tI7is_trueIiEEENSC_INSD_IbEEEENSA_11use_defaultESO_EENS0_5tupleIJSF_S6_EEENSQ_IJSG_SG_EEES6_PlJS6_EEE10hipError_tPvRmT3_T4_T5_T6_T7_T9_mT8_P12ihipStream_tbDpT10_ENKUlT_T0_E_clISt17integral_constantIbLb1EES1C_IbLb0EEEEDaS18_S19_EUlS18_E_NS1_11comp_targetILNS1_3genE8ELNS1_11target_archE1030ELNS1_3gpuE2ELNS1_3repE0EEENS1_30default_config_static_selectorELNS0_4arch9wavefront6targetE0EEEvT1_,"axG",@progbits,_ZN7rocprim17ROCPRIM_400000_NS6detail17trampoline_kernelINS0_14default_configENS1_25partition_config_selectorILNS1_17partition_subalgoE5EiNS0_10empty_typeEbEEZZNS1_14partition_implILS5_5ELb0ES3_mN6thrust23THRUST_200600_302600_NS6detail15normal_iteratorINSA_10device_ptrIiEEEEPS6_NSA_18transform_iteratorINSB_9not_fun_tI7is_trueIiEEENSC_INSD_IbEEEENSA_11use_defaultESO_EENS0_5tupleIJSF_S6_EEENSQ_IJSG_SG_EEES6_PlJS6_EEE10hipError_tPvRmT3_T4_T5_T6_T7_T9_mT8_P12ihipStream_tbDpT10_ENKUlT_T0_E_clISt17integral_constantIbLb1EES1C_IbLb0EEEEDaS18_S19_EUlS18_E_NS1_11comp_targetILNS1_3genE8ELNS1_11target_archE1030ELNS1_3gpuE2ELNS1_3repE0EEENS1_30default_config_static_selectorELNS0_4arch9wavefront6targetE0EEEvT1_,comdat
	.protected	_ZN7rocprim17ROCPRIM_400000_NS6detail17trampoline_kernelINS0_14default_configENS1_25partition_config_selectorILNS1_17partition_subalgoE5EiNS0_10empty_typeEbEEZZNS1_14partition_implILS5_5ELb0ES3_mN6thrust23THRUST_200600_302600_NS6detail15normal_iteratorINSA_10device_ptrIiEEEEPS6_NSA_18transform_iteratorINSB_9not_fun_tI7is_trueIiEEENSC_INSD_IbEEEENSA_11use_defaultESO_EENS0_5tupleIJSF_S6_EEENSQ_IJSG_SG_EEES6_PlJS6_EEE10hipError_tPvRmT3_T4_T5_T6_T7_T9_mT8_P12ihipStream_tbDpT10_ENKUlT_T0_E_clISt17integral_constantIbLb1EES1C_IbLb0EEEEDaS18_S19_EUlS18_E_NS1_11comp_targetILNS1_3genE8ELNS1_11target_archE1030ELNS1_3gpuE2ELNS1_3repE0EEENS1_30default_config_static_selectorELNS0_4arch9wavefront6targetE0EEEvT1_ ; -- Begin function _ZN7rocprim17ROCPRIM_400000_NS6detail17trampoline_kernelINS0_14default_configENS1_25partition_config_selectorILNS1_17partition_subalgoE5EiNS0_10empty_typeEbEEZZNS1_14partition_implILS5_5ELb0ES3_mN6thrust23THRUST_200600_302600_NS6detail15normal_iteratorINSA_10device_ptrIiEEEEPS6_NSA_18transform_iteratorINSB_9not_fun_tI7is_trueIiEEENSC_INSD_IbEEEENSA_11use_defaultESO_EENS0_5tupleIJSF_S6_EEENSQ_IJSG_SG_EEES6_PlJS6_EEE10hipError_tPvRmT3_T4_T5_T6_T7_T9_mT8_P12ihipStream_tbDpT10_ENKUlT_T0_E_clISt17integral_constantIbLb1EES1C_IbLb0EEEEDaS18_S19_EUlS18_E_NS1_11comp_targetILNS1_3genE8ELNS1_11target_archE1030ELNS1_3gpuE2ELNS1_3repE0EEENS1_30default_config_static_selectorELNS0_4arch9wavefront6targetE0EEEvT1_
	.globl	_ZN7rocprim17ROCPRIM_400000_NS6detail17trampoline_kernelINS0_14default_configENS1_25partition_config_selectorILNS1_17partition_subalgoE5EiNS0_10empty_typeEbEEZZNS1_14partition_implILS5_5ELb0ES3_mN6thrust23THRUST_200600_302600_NS6detail15normal_iteratorINSA_10device_ptrIiEEEEPS6_NSA_18transform_iteratorINSB_9not_fun_tI7is_trueIiEEENSC_INSD_IbEEEENSA_11use_defaultESO_EENS0_5tupleIJSF_S6_EEENSQ_IJSG_SG_EEES6_PlJS6_EEE10hipError_tPvRmT3_T4_T5_T6_T7_T9_mT8_P12ihipStream_tbDpT10_ENKUlT_T0_E_clISt17integral_constantIbLb1EES1C_IbLb0EEEEDaS18_S19_EUlS18_E_NS1_11comp_targetILNS1_3genE8ELNS1_11target_archE1030ELNS1_3gpuE2ELNS1_3repE0EEENS1_30default_config_static_selectorELNS0_4arch9wavefront6targetE0EEEvT1_
	.p2align	8
	.type	_ZN7rocprim17ROCPRIM_400000_NS6detail17trampoline_kernelINS0_14default_configENS1_25partition_config_selectorILNS1_17partition_subalgoE5EiNS0_10empty_typeEbEEZZNS1_14partition_implILS5_5ELb0ES3_mN6thrust23THRUST_200600_302600_NS6detail15normal_iteratorINSA_10device_ptrIiEEEEPS6_NSA_18transform_iteratorINSB_9not_fun_tI7is_trueIiEEENSC_INSD_IbEEEENSA_11use_defaultESO_EENS0_5tupleIJSF_S6_EEENSQ_IJSG_SG_EEES6_PlJS6_EEE10hipError_tPvRmT3_T4_T5_T6_T7_T9_mT8_P12ihipStream_tbDpT10_ENKUlT_T0_E_clISt17integral_constantIbLb1EES1C_IbLb0EEEEDaS18_S19_EUlS18_E_NS1_11comp_targetILNS1_3genE8ELNS1_11target_archE1030ELNS1_3gpuE2ELNS1_3repE0EEENS1_30default_config_static_selectorELNS0_4arch9wavefront6targetE0EEEvT1_,@function
_ZN7rocprim17ROCPRIM_400000_NS6detail17trampoline_kernelINS0_14default_configENS1_25partition_config_selectorILNS1_17partition_subalgoE5EiNS0_10empty_typeEbEEZZNS1_14partition_implILS5_5ELb0ES3_mN6thrust23THRUST_200600_302600_NS6detail15normal_iteratorINSA_10device_ptrIiEEEEPS6_NSA_18transform_iteratorINSB_9not_fun_tI7is_trueIiEEENSC_INSD_IbEEEENSA_11use_defaultESO_EENS0_5tupleIJSF_S6_EEENSQ_IJSG_SG_EEES6_PlJS6_EEE10hipError_tPvRmT3_T4_T5_T6_T7_T9_mT8_P12ihipStream_tbDpT10_ENKUlT_T0_E_clISt17integral_constantIbLb1EES1C_IbLb0EEEEDaS18_S19_EUlS18_E_NS1_11comp_targetILNS1_3genE8ELNS1_11target_archE1030ELNS1_3gpuE2ELNS1_3repE0EEENS1_30default_config_static_selectorELNS0_4arch9wavefront6targetE0EEEvT1_: ; @_ZN7rocprim17ROCPRIM_400000_NS6detail17trampoline_kernelINS0_14default_configENS1_25partition_config_selectorILNS1_17partition_subalgoE5EiNS0_10empty_typeEbEEZZNS1_14partition_implILS5_5ELb0ES3_mN6thrust23THRUST_200600_302600_NS6detail15normal_iteratorINSA_10device_ptrIiEEEEPS6_NSA_18transform_iteratorINSB_9not_fun_tI7is_trueIiEEENSC_INSD_IbEEEENSA_11use_defaultESO_EENS0_5tupleIJSF_S6_EEENSQ_IJSG_SG_EEES6_PlJS6_EEE10hipError_tPvRmT3_T4_T5_T6_T7_T9_mT8_P12ihipStream_tbDpT10_ENKUlT_T0_E_clISt17integral_constantIbLb1EES1C_IbLb0EEEEDaS18_S19_EUlS18_E_NS1_11comp_targetILNS1_3genE8ELNS1_11target_archE1030ELNS1_3gpuE2ELNS1_3repE0EEENS1_30default_config_static_selectorELNS0_4arch9wavefront6targetE0EEEvT1_
; %bb.0:
	.section	.rodata,"a",@progbits
	.p2align	6, 0x0
	.amdhsa_kernel _ZN7rocprim17ROCPRIM_400000_NS6detail17trampoline_kernelINS0_14default_configENS1_25partition_config_selectorILNS1_17partition_subalgoE5EiNS0_10empty_typeEbEEZZNS1_14partition_implILS5_5ELb0ES3_mN6thrust23THRUST_200600_302600_NS6detail15normal_iteratorINSA_10device_ptrIiEEEEPS6_NSA_18transform_iteratorINSB_9not_fun_tI7is_trueIiEEENSC_INSD_IbEEEENSA_11use_defaultESO_EENS0_5tupleIJSF_S6_EEENSQ_IJSG_SG_EEES6_PlJS6_EEE10hipError_tPvRmT3_T4_T5_T6_T7_T9_mT8_P12ihipStream_tbDpT10_ENKUlT_T0_E_clISt17integral_constantIbLb1EES1C_IbLb0EEEEDaS18_S19_EUlS18_E_NS1_11comp_targetILNS1_3genE8ELNS1_11target_archE1030ELNS1_3gpuE2ELNS1_3repE0EEENS1_30default_config_static_selectorELNS0_4arch9wavefront6targetE0EEEvT1_
		.amdhsa_group_segment_fixed_size 0
		.amdhsa_private_segment_fixed_size 0
		.amdhsa_kernarg_size 120
		.amdhsa_user_sgpr_count 2
		.amdhsa_user_sgpr_dispatch_ptr 0
		.amdhsa_user_sgpr_queue_ptr 0
		.amdhsa_user_sgpr_kernarg_segment_ptr 1
		.amdhsa_user_sgpr_dispatch_id 0
		.amdhsa_user_sgpr_private_segment_size 0
		.amdhsa_wavefront_size32 1
		.amdhsa_uses_dynamic_stack 0
		.amdhsa_enable_private_segment 0
		.amdhsa_system_sgpr_workgroup_id_x 1
		.amdhsa_system_sgpr_workgroup_id_y 0
		.amdhsa_system_sgpr_workgroup_id_z 0
		.amdhsa_system_sgpr_workgroup_info 0
		.amdhsa_system_vgpr_workitem_id 0
		.amdhsa_next_free_vgpr 1
		.amdhsa_next_free_sgpr 1
		.amdhsa_reserve_vcc 0
		.amdhsa_float_round_mode_32 0
		.amdhsa_float_round_mode_16_64 0
		.amdhsa_float_denorm_mode_32 3
		.amdhsa_float_denorm_mode_16_64 3
		.amdhsa_fp16_overflow 0
		.amdhsa_workgroup_processor_mode 1
		.amdhsa_memory_ordered 1
		.amdhsa_forward_progress 1
		.amdhsa_inst_pref_size 0
		.amdhsa_round_robin_scheduling 0
		.amdhsa_exception_fp_ieee_invalid_op 0
		.amdhsa_exception_fp_denorm_src 0
		.amdhsa_exception_fp_ieee_div_zero 0
		.amdhsa_exception_fp_ieee_overflow 0
		.amdhsa_exception_fp_ieee_underflow 0
		.amdhsa_exception_fp_ieee_inexact 0
		.amdhsa_exception_int_div_zero 0
	.end_amdhsa_kernel
	.section	.text._ZN7rocprim17ROCPRIM_400000_NS6detail17trampoline_kernelINS0_14default_configENS1_25partition_config_selectorILNS1_17partition_subalgoE5EiNS0_10empty_typeEbEEZZNS1_14partition_implILS5_5ELb0ES3_mN6thrust23THRUST_200600_302600_NS6detail15normal_iteratorINSA_10device_ptrIiEEEEPS6_NSA_18transform_iteratorINSB_9not_fun_tI7is_trueIiEEENSC_INSD_IbEEEENSA_11use_defaultESO_EENS0_5tupleIJSF_S6_EEENSQ_IJSG_SG_EEES6_PlJS6_EEE10hipError_tPvRmT3_T4_T5_T6_T7_T9_mT8_P12ihipStream_tbDpT10_ENKUlT_T0_E_clISt17integral_constantIbLb1EES1C_IbLb0EEEEDaS18_S19_EUlS18_E_NS1_11comp_targetILNS1_3genE8ELNS1_11target_archE1030ELNS1_3gpuE2ELNS1_3repE0EEENS1_30default_config_static_selectorELNS0_4arch9wavefront6targetE0EEEvT1_,"axG",@progbits,_ZN7rocprim17ROCPRIM_400000_NS6detail17trampoline_kernelINS0_14default_configENS1_25partition_config_selectorILNS1_17partition_subalgoE5EiNS0_10empty_typeEbEEZZNS1_14partition_implILS5_5ELb0ES3_mN6thrust23THRUST_200600_302600_NS6detail15normal_iteratorINSA_10device_ptrIiEEEEPS6_NSA_18transform_iteratorINSB_9not_fun_tI7is_trueIiEEENSC_INSD_IbEEEENSA_11use_defaultESO_EENS0_5tupleIJSF_S6_EEENSQ_IJSG_SG_EEES6_PlJS6_EEE10hipError_tPvRmT3_T4_T5_T6_T7_T9_mT8_P12ihipStream_tbDpT10_ENKUlT_T0_E_clISt17integral_constantIbLb1EES1C_IbLb0EEEEDaS18_S19_EUlS18_E_NS1_11comp_targetILNS1_3genE8ELNS1_11target_archE1030ELNS1_3gpuE2ELNS1_3repE0EEENS1_30default_config_static_selectorELNS0_4arch9wavefront6targetE0EEEvT1_,comdat
.Lfunc_end2548:
	.size	_ZN7rocprim17ROCPRIM_400000_NS6detail17trampoline_kernelINS0_14default_configENS1_25partition_config_selectorILNS1_17partition_subalgoE5EiNS0_10empty_typeEbEEZZNS1_14partition_implILS5_5ELb0ES3_mN6thrust23THRUST_200600_302600_NS6detail15normal_iteratorINSA_10device_ptrIiEEEEPS6_NSA_18transform_iteratorINSB_9not_fun_tI7is_trueIiEEENSC_INSD_IbEEEENSA_11use_defaultESO_EENS0_5tupleIJSF_S6_EEENSQ_IJSG_SG_EEES6_PlJS6_EEE10hipError_tPvRmT3_T4_T5_T6_T7_T9_mT8_P12ihipStream_tbDpT10_ENKUlT_T0_E_clISt17integral_constantIbLb1EES1C_IbLb0EEEEDaS18_S19_EUlS18_E_NS1_11comp_targetILNS1_3genE8ELNS1_11target_archE1030ELNS1_3gpuE2ELNS1_3repE0EEENS1_30default_config_static_selectorELNS0_4arch9wavefront6targetE0EEEvT1_, .Lfunc_end2548-_ZN7rocprim17ROCPRIM_400000_NS6detail17trampoline_kernelINS0_14default_configENS1_25partition_config_selectorILNS1_17partition_subalgoE5EiNS0_10empty_typeEbEEZZNS1_14partition_implILS5_5ELb0ES3_mN6thrust23THRUST_200600_302600_NS6detail15normal_iteratorINSA_10device_ptrIiEEEEPS6_NSA_18transform_iteratorINSB_9not_fun_tI7is_trueIiEEENSC_INSD_IbEEEENSA_11use_defaultESO_EENS0_5tupleIJSF_S6_EEENSQ_IJSG_SG_EEES6_PlJS6_EEE10hipError_tPvRmT3_T4_T5_T6_T7_T9_mT8_P12ihipStream_tbDpT10_ENKUlT_T0_E_clISt17integral_constantIbLb1EES1C_IbLb0EEEEDaS18_S19_EUlS18_E_NS1_11comp_targetILNS1_3genE8ELNS1_11target_archE1030ELNS1_3gpuE2ELNS1_3repE0EEENS1_30default_config_static_selectorELNS0_4arch9wavefront6targetE0EEEvT1_
                                        ; -- End function
	.set _ZN7rocprim17ROCPRIM_400000_NS6detail17trampoline_kernelINS0_14default_configENS1_25partition_config_selectorILNS1_17partition_subalgoE5EiNS0_10empty_typeEbEEZZNS1_14partition_implILS5_5ELb0ES3_mN6thrust23THRUST_200600_302600_NS6detail15normal_iteratorINSA_10device_ptrIiEEEEPS6_NSA_18transform_iteratorINSB_9not_fun_tI7is_trueIiEEENSC_INSD_IbEEEENSA_11use_defaultESO_EENS0_5tupleIJSF_S6_EEENSQ_IJSG_SG_EEES6_PlJS6_EEE10hipError_tPvRmT3_T4_T5_T6_T7_T9_mT8_P12ihipStream_tbDpT10_ENKUlT_T0_E_clISt17integral_constantIbLb1EES1C_IbLb0EEEEDaS18_S19_EUlS18_E_NS1_11comp_targetILNS1_3genE8ELNS1_11target_archE1030ELNS1_3gpuE2ELNS1_3repE0EEENS1_30default_config_static_selectorELNS0_4arch9wavefront6targetE0EEEvT1_.num_vgpr, 0
	.set _ZN7rocprim17ROCPRIM_400000_NS6detail17trampoline_kernelINS0_14default_configENS1_25partition_config_selectorILNS1_17partition_subalgoE5EiNS0_10empty_typeEbEEZZNS1_14partition_implILS5_5ELb0ES3_mN6thrust23THRUST_200600_302600_NS6detail15normal_iteratorINSA_10device_ptrIiEEEEPS6_NSA_18transform_iteratorINSB_9not_fun_tI7is_trueIiEEENSC_INSD_IbEEEENSA_11use_defaultESO_EENS0_5tupleIJSF_S6_EEENSQ_IJSG_SG_EEES6_PlJS6_EEE10hipError_tPvRmT3_T4_T5_T6_T7_T9_mT8_P12ihipStream_tbDpT10_ENKUlT_T0_E_clISt17integral_constantIbLb1EES1C_IbLb0EEEEDaS18_S19_EUlS18_E_NS1_11comp_targetILNS1_3genE8ELNS1_11target_archE1030ELNS1_3gpuE2ELNS1_3repE0EEENS1_30default_config_static_selectorELNS0_4arch9wavefront6targetE0EEEvT1_.num_agpr, 0
	.set _ZN7rocprim17ROCPRIM_400000_NS6detail17trampoline_kernelINS0_14default_configENS1_25partition_config_selectorILNS1_17partition_subalgoE5EiNS0_10empty_typeEbEEZZNS1_14partition_implILS5_5ELb0ES3_mN6thrust23THRUST_200600_302600_NS6detail15normal_iteratorINSA_10device_ptrIiEEEEPS6_NSA_18transform_iteratorINSB_9not_fun_tI7is_trueIiEEENSC_INSD_IbEEEENSA_11use_defaultESO_EENS0_5tupleIJSF_S6_EEENSQ_IJSG_SG_EEES6_PlJS6_EEE10hipError_tPvRmT3_T4_T5_T6_T7_T9_mT8_P12ihipStream_tbDpT10_ENKUlT_T0_E_clISt17integral_constantIbLb1EES1C_IbLb0EEEEDaS18_S19_EUlS18_E_NS1_11comp_targetILNS1_3genE8ELNS1_11target_archE1030ELNS1_3gpuE2ELNS1_3repE0EEENS1_30default_config_static_selectorELNS0_4arch9wavefront6targetE0EEEvT1_.numbered_sgpr, 0
	.set _ZN7rocprim17ROCPRIM_400000_NS6detail17trampoline_kernelINS0_14default_configENS1_25partition_config_selectorILNS1_17partition_subalgoE5EiNS0_10empty_typeEbEEZZNS1_14partition_implILS5_5ELb0ES3_mN6thrust23THRUST_200600_302600_NS6detail15normal_iteratorINSA_10device_ptrIiEEEEPS6_NSA_18transform_iteratorINSB_9not_fun_tI7is_trueIiEEENSC_INSD_IbEEEENSA_11use_defaultESO_EENS0_5tupleIJSF_S6_EEENSQ_IJSG_SG_EEES6_PlJS6_EEE10hipError_tPvRmT3_T4_T5_T6_T7_T9_mT8_P12ihipStream_tbDpT10_ENKUlT_T0_E_clISt17integral_constantIbLb1EES1C_IbLb0EEEEDaS18_S19_EUlS18_E_NS1_11comp_targetILNS1_3genE8ELNS1_11target_archE1030ELNS1_3gpuE2ELNS1_3repE0EEENS1_30default_config_static_selectorELNS0_4arch9wavefront6targetE0EEEvT1_.num_named_barrier, 0
	.set _ZN7rocprim17ROCPRIM_400000_NS6detail17trampoline_kernelINS0_14default_configENS1_25partition_config_selectorILNS1_17partition_subalgoE5EiNS0_10empty_typeEbEEZZNS1_14partition_implILS5_5ELb0ES3_mN6thrust23THRUST_200600_302600_NS6detail15normal_iteratorINSA_10device_ptrIiEEEEPS6_NSA_18transform_iteratorINSB_9not_fun_tI7is_trueIiEEENSC_INSD_IbEEEENSA_11use_defaultESO_EENS0_5tupleIJSF_S6_EEENSQ_IJSG_SG_EEES6_PlJS6_EEE10hipError_tPvRmT3_T4_T5_T6_T7_T9_mT8_P12ihipStream_tbDpT10_ENKUlT_T0_E_clISt17integral_constantIbLb1EES1C_IbLb0EEEEDaS18_S19_EUlS18_E_NS1_11comp_targetILNS1_3genE8ELNS1_11target_archE1030ELNS1_3gpuE2ELNS1_3repE0EEENS1_30default_config_static_selectorELNS0_4arch9wavefront6targetE0EEEvT1_.private_seg_size, 0
	.set _ZN7rocprim17ROCPRIM_400000_NS6detail17trampoline_kernelINS0_14default_configENS1_25partition_config_selectorILNS1_17partition_subalgoE5EiNS0_10empty_typeEbEEZZNS1_14partition_implILS5_5ELb0ES3_mN6thrust23THRUST_200600_302600_NS6detail15normal_iteratorINSA_10device_ptrIiEEEEPS6_NSA_18transform_iteratorINSB_9not_fun_tI7is_trueIiEEENSC_INSD_IbEEEENSA_11use_defaultESO_EENS0_5tupleIJSF_S6_EEENSQ_IJSG_SG_EEES6_PlJS6_EEE10hipError_tPvRmT3_T4_T5_T6_T7_T9_mT8_P12ihipStream_tbDpT10_ENKUlT_T0_E_clISt17integral_constantIbLb1EES1C_IbLb0EEEEDaS18_S19_EUlS18_E_NS1_11comp_targetILNS1_3genE8ELNS1_11target_archE1030ELNS1_3gpuE2ELNS1_3repE0EEENS1_30default_config_static_selectorELNS0_4arch9wavefront6targetE0EEEvT1_.uses_vcc, 0
	.set _ZN7rocprim17ROCPRIM_400000_NS6detail17trampoline_kernelINS0_14default_configENS1_25partition_config_selectorILNS1_17partition_subalgoE5EiNS0_10empty_typeEbEEZZNS1_14partition_implILS5_5ELb0ES3_mN6thrust23THRUST_200600_302600_NS6detail15normal_iteratorINSA_10device_ptrIiEEEEPS6_NSA_18transform_iteratorINSB_9not_fun_tI7is_trueIiEEENSC_INSD_IbEEEENSA_11use_defaultESO_EENS0_5tupleIJSF_S6_EEENSQ_IJSG_SG_EEES6_PlJS6_EEE10hipError_tPvRmT3_T4_T5_T6_T7_T9_mT8_P12ihipStream_tbDpT10_ENKUlT_T0_E_clISt17integral_constantIbLb1EES1C_IbLb0EEEEDaS18_S19_EUlS18_E_NS1_11comp_targetILNS1_3genE8ELNS1_11target_archE1030ELNS1_3gpuE2ELNS1_3repE0EEENS1_30default_config_static_selectorELNS0_4arch9wavefront6targetE0EEEvT1_.uses_flat_scratch, 0
	.set _ZN7rocprim17ROCPRIM_400000_NS6detail17trampoline_kernelINS0_14default_configENS1_25partition_config_selectorILNS1_17partition_subalgoE5EiNS0_10empty_typeEbEEZZNS1_14partition_implILS5_5ELb0ES3_mN6thrust23THRUST_200600_302600_NS6detail15normal_iteratorINSA_10device_ptrIiEEEEPS6_NSA_18transform_iteratorINSB_9not_fun_tI7is_trueIiEEENSC_INSD_IbEEEENSA_11use_defaultESO_EENS0_5tupleIJSF_S6_EEENSQ_IJSG_SG_EEES6_PlJS6_EEE10hipError_tPvRmT3_T4_T5_T6_T7_T9_mT8_P12ihipStream_tbDpT10_ENKUlT_T0_E_clISt17integral_constantIbLb1EES1C_IbLb0EEEEDaS18_S19_EUlS18_E_NS1_11comp_targetILNS1_3genE8ELNS1_11target_archE1030ELNS1_3gpuE2ELNS1_3repE0EEENS1_30default_config_static_selectorELNS0_4arch9wavefront6targetE0EEEvT1_.has_dyn_sized_stack, 0
	.set _ZN7rocprim17ROCPRIM_400000_NS6detail17trampoline_kernelINS0_14default_configENS1_25partition_config_selectorILNS1_17partition_subalgoE5EiNS0_10empty_typeEbEEZZNS1_14partition_implILS5_5ELb0ES3_mN6thrust23THRUST_200600_302600_NS6detail15normal_iteratorINSA_10device_ptrIiEEEEPS6_NSA_18transform_iteratorINSB_9not_fun_tI7is_trueIiEEENSC_INSD_IbEEEENSA_11use_defaultESO_EENS0_5tupleIJSF_S6_EEENSQ_IJSG_SG_EEES6_PlJS6_EEE10hipError_tPvRmT3_T4_T5_T6_T7_T9_mT8_P12ihipStream_tbDpT10_ENKUlT_T0_E_clISt17integral_constantIbLb1EES1C_IbLb0EEEEDaS18_S19_EUlS18_E_NS1_11comp_targetILNS1_3genE8ELNS1_11target_archE1030ELNS1_3gpuE2ELNS1_3repE0EEENS1_30default_config_static_selectorELNS0_4arch9wavefront6targetE0EEEvT1_.has_recursion, 0
	.set _ZN7rocprim17ROCPRIM_400000_NS6detail17trampoline_kernelINS0_14default_configENS1_25partition_config_selectorILNS1_17partition_subalgoE5EiNS0_10empty_typeEbEEZZNS1_14partition_implILS5_5ELb0ES3_mN6thrust23THRUST_200600_302600_NS6detail15normal_iteratorINSA_10device_ptrIiEEEEPS6_NSA_18transform_iteratorINSB_9not_fun_tI7is_trueIiEEENSC_INSD_IbEEEENSA_11use_defaultESO_EENS0_5tupleIJSF_S6_EEENSQ_IJSG_SG_EEES6_PlJS6_EEE10hipError_tPvRmT3_T4_T5_T6_T7_T9_mT8_P12ihipStream_tbDpT10_ENKUlT_T0_E_clISt17integral_constantIbLb1EES1C_IbLb0EEEEDaS18_S19_EUlS18_E_NS1_11comp_targetILNS1_3genE8ELNS1_11target_archE1030ELNS1_3gpuE2ELNS1_3repE0EEENS1_30default_config_static_selectorELNS0_4arch9wavefront6targetE0EEEvT1_.has_indirect_call, 0
	.section	.AMDGPU.csdata,"",@progbits
; Kernel info:
; codeLenInByte = 0
; TotalNumSgprs: 0
; NumVgprs: 0
; ScratchSize: 0
; MemoryBound: 0
; FloatMode: 240
; IeeeMode: 1
; LDSByteSize: 0 bytes/workgroup (compile time only)
; SGPRBlocks: 0
; VGPRBlocks: 0
; NumSGPRsForWavesPerEU: 1
; NumVGPRsForWavesPerEU: 1
; Occupancy: 16
; WaveLimiterHint : 0
; COMPUTE_PGM_RSRC2:SCRATCH_EN: 0
; COMPUTE_PGM_RSRC2:USER_SGPR: 2
; COMPUTE_PGM_RSRC2:TRAP_HANDLER: 0
; COMPUTE_PGM_RSRC2:TGID_X_EN: 1
; COMPUTE_PGM_RSRC2:TGID_Y_EN: 0
; COMPUTE_PGM_RSRC2:TGID_Z_EN: 0
; COMPUTE_PGM_RSRC2:TIDIG_COMP_CNT: 0
	.section	.text._ZN7rocprim17ROCPRIM_400000_NS6detail17trampoline_kernelINS0_14default_configENS1_25partition_config_selectorILNS1_17partition_subalgoE5EiNS0_10empty_typeEbEEZZNS1_14partition_implILS5_5ELb0ES3_mN6thrust23THRUST_200600_302600_NS6detail15normal_iteratorINSA_10device_ptrIiEEEEPS6_NSA_18transform_iteratorINSB_9not_fun_tI7is_trueIiEEENSC_INSD_IbEEEENSA_11use_defaultESO_EENS0_5tupleIJSF_S6_EEENSQ_IJSG_SG_EEES6_PlJS6_EEE10hipError_tPvRmT3_T4_T5_T6_T7_T9_mT8_P12ihipStream_tbDpT10_ENKUlT_T0_E_clISt17integral_constantIbLb0EES1C_IbLb1EEEEDaS18_S19_EUlS18_E_NS1_11comp_targetILNS1_3genE0ELNS1_11target_archE4294967295ELNS1_3gpuE0ELNS1_3repE0EEENS1_30default_config_static_selectorELNS0_4arch9wavefront6targetE0EEEvT1_,"axG",@progbits,_ZN7rocprim17ROCPRIM_400000_NS6detail17trampoline_kernelINS0_14default_configENS1_25partition_config_selectorILNS1_17partition_subalgoE5EiNS0_10empty_typeEbEEZZNS1_14partition_implILS5_5ELb0ES3_mN6thrust23THRUST_200600_302600_NS6detail15normal_iteratorINSA_10device_ptrIiEEEEPS6_NSA_18transform_iteratorINSB_9not_fun_tI7is_trueIiEEENSC_INSD_IbEEEENSA_11use_defaultESO_EENS0_5tupleIJSF_S6_EEENSQ_IJSG_SG_EEES6_PlJS6_EEE10hipError_tPvRmT3_T4_T5_T6_T7_T9_mT8_P12ihipStream_tbDpT10_ENKUlT_T0_E_clISt17integral_constantIbLb0EES1C_IbLb1EEEEDaS18_S19_EUlS18_E_NS1_11comp_targetILNS1_3genE0ELNS1_11target_archE4294967295ELNS1_3gpuE0ELNS1_3repE0EEENS1_30default_config_static_selectorELNS0_4arch9wavefront6targetE0EEEvT1_,comdat
	.protected	_ZN7rocprim17ROCPRIM_400000_NS6detail17trampoline_kernelINS0_14default_configENS1_25partition_config_selectorILNS1_17partition_subalgoE5EiNS0_10empty_typeEbEEZZNS1_14partition_implILS5_5ELb0ES3_mN6thrust23THRUST_200600_302600_NS6detail15normal_iteratorINSA_10device_ptrIiEEEEPS6_NSA_18transform_iteratorINSB_9not_fun_tI7is_trueIiEEENSC_INSD_IbEEEENSA_11use_defaultESO_EENS0_5tupleIJSF_S6_EEENSQ_IJSG_SG_EEES6_PlJS6_EEE10hipError_tPvRmT3_T4_T5_T6_T7_T9_mT8_P12ihipStream_tbDpT10_ENKUlT_T0_E_clISt17integral_constantIbLb0EES1C_IbLb1EEEEDaS18_S19_EUlS18_E_NS1_11comp_targetILNS1_3genE0ELNS1_11target_archE4294967295ELNS1_3gpuE0ELNS1_3repE0EEENS1_30default_config_static_selectorELNS0_4arch9wavefront6targetE0EEEvT1_ ; -- Begin function _ZN7rocprim17ROCPRIM_400000_NS6detail17trampoline_kernelINS0_14default_configENS1_25partition_config_selectorILNS1_17partition_subalgoE5EiNS0_10empty_typeEbEEZZNS1_14partition_implILS5_5ELb0ES3_mN6thrust23THRUST_200600_302600_NS6detail15normal_iteratorINSA_10device_ptrIiEEEEPS6_NSA_18transform_iteratorINSB_9not_fun_tI7is_trueIiEEENSC_INSD_IbEEEENSA_11use_defaultESO_EENS0_5tupleIJSF_S6_EEENSQ_IJSG_SG_EEES6_PlJS6_EEE10hipError_tPvRmT3_T4_T5_T6_T7_T9_mT8_P12ihipStream_tbDpT10_ENKUlT_T0_E_clISt17integral_constantIbLb0EES1C_IbLb1EEEEDaS18_S19_EUlS18_E_NS1_11comp_targetILNS1_3genE0ELNS1_11target_archE4294967295ELNS1_3gpuE0ELNS1_3repE0EEENS1_30default_config_static_selectorELNS0_4arch9wavefront6targetE0EEEvT1_
	.globl	_ZN7rocprim17ROCPRIM_400000_NS6detail17trampoline_kernelINS0_14default_configENS1_25partition_config_selectorILNS1_17partition_subalgoE5EiNS0_10empty_typeEbEEZZNS1_14partition_implILS5_5ELb0ES3_mN6thrust23THRUST_200600_302600_NS6detail15normal_iteratorINSA_10device_ptrIiEEEEPS6_NSA_18transform_iteratorINSB_9not_fun_tI7is_trueIiEEENSC_INSD_IbEEEENSA_11use_defaultESO_EENS0_5tupleIJSF_S6_EEENSQ_IJSG_SG_EEES6_PlJS6_EEE10hipError_tPvRmT3_T4_T5_T6_T7_T9_mT8_P12ihipStream_tbDpT10_ENKUlT_T0_E_clISt17integral_constantIbLb0EES1C_IbLb1EEEEDaS18_S19_EUlS18_E_NS1_11comp_targetILNS1_3genE0ELNS1_11target_archE4294967295ELNS1_3gpuE0ELNS1_3repE0EEENS1_30default_config_static_selectorELNS0_4arch9wavefront6targetE0EEEvT1_
	.p2align	8
	.type	_ZN7rocprim17ROCPRIM_400000_NS6detail17trampoline_kernelINS0_14default_configENS1_25partition_config_selectorILNS1_17partition_subalgoE5EiNS0_10empty_typeEbEEZZNS1_14partition_implILS5_5ELb0ES3_mN6thrust23THRUST_200600_302600_NS6detail15normal_iteratorINSA_10device_ptrIiEEEEPS6_NSA_18transform_iteratorINSB_9not_fun_tI7is_trueIiEEENSC_INSD_IbEEEENSA_11use_defaultESO_EENS0_5tupleIJSF_S6_EEENSQ_IJSG_SG_EEES6_PlJS6_EEE10hipError_tPvRmT3_T4_T5_T6_T7_T9_mT8_P12ihipStream_tbDpT10_ENKUlT_T0_E_clISt17integral_constantIbLb0EES1C_IbLb1EEEEDaS18_S19_EUlS18_E_NS1_11comp_targetILNS1_3genE0ELNS1_11target_archE4294967295ELNS1_3gpuE0ELNS1_3repE0EEENS1_30default_config_static_selectorELNS0_4arch9wavefront6targetE0EEEvT1_,@function
_ZN7rocprim17ROCPRIM_400000_NS6detail17trampoline_kernelINS0_14default_configENS1_25partition_config_selectorILNS1_17partition_subalgoE5EiNS0_10empty_typeEbEEZZNS1_14partition_implILS5_5ELb0ES3_mN6thrust23THRUST_200600_302600_NS6detail15normal_iteratorINSA_10device_ptrIiEEEEPS6_NSA_18transform_iteratorINSB_9not_fun_tI7is_trueIiEEENSC_INSD_IbEEEENSA_11use_defaultESO_EENS0_5tupleIJSF_S6_EEENSQ_IJSG_SG_EEES6_PlJS6_EEE10hipError_tPvRmT3_T4_T5_T6_T7_T9_mT8_P12ihipStream_tbDpT10_ENKUlT_T0_E_clISt17integral_constantIbLb0EES1C_IbLb1EEEEDaS18_S19_EUlS18_E_NS1_11comp_targetILNS1_3genE0ELNS1_11target_archE4294967295ELNS1_3gpuE0ELNS1_3repE0EEENS1_30default_config_static_selectorELNS0_4arch9wavefront6targetE0EEEvT1_: ; @_ZN7rocprim17ROCPRIM_400000_NS6detail17trampoline_kernelINS0_14default_configENS1_25partition_config_selectorILNS1_17partition_subalgoE5EiNS0_10empty_typeEbEEZZNS1_14partition_implILS5_5ELb0ES3_mN6thrust23THRUST_200600_302600_NS6detail15normal_iteratorINSA_10device_ptrIiEEEEPS6_NSA_18transform_iteratorINSB_9not_fun_tI7is_trueIiEEENSC_INSD_IbEEEENSA_11use_defaultESO_EENS0_5tupleIJSF_S6_EEENSQ_IJSG_SG_EEES6_PlJS6_EEE10hipError_tPvRmT3_T4_T5_T6_T7_T9_mT8_P12ihipStream_tbDpT10_ENKUlT_T0_E_clISt17integral_constantIbLb0EES1C_IbLb1EEEEDaS18_S19_EUlS18_E_NS1_11comp_targetILNS1_3genE0ELNS1_11target_archE4294967295ELNS1_3gpuE0ELNS1_3repE0EEENS1_30default_config_static_selectorELNS0_4arch9wavefront6targetE0EEEvT1_
; %bb.0:
	.section	.rodata,"a",@progbits
	.p2align	6, 0x0
	.amdhsa_kernel _ZN7rocprim17ROCPRIM_400000_NS6detail17trampoline_kernelINS0_14default_configENS1_25partition_config_selectorILNS1_17partition_subalgoE5EiNS0_10empty_typeEbEEZZNS1_14partition_implILS5_5ELb0ES3_mN6thrust23THRUST_200600_302600_NS6detail15normal_iteratorINSA_10device_ptrIiEEEEPS6_NSA_18transform_iteratorINSB_9not_fun_tI7is_trueIiEEENSC_INSD_IbEEEENSA_11use_defaultESO_EENS0_5tupleIJSF_S6_EEENSQ_IJSG_SG_EEES6_PlJS6_EEE10hipError_tPvRmT3_T4_T5_T6_T7_T9_mT8_P12ihipStream_tbDpT10_ENKUlT_T0_E_clISt17integral_constantIbLb0EES1C_IbLb1EEEEDaS18_S19_EUlS18_E_NS1_11comp_targetILNS1_3genE0ELNS1_11target_archE4294967295ELNS1_3gpuE0ELNS1_3repE0EEENS1_30default_config_static_selectorELNS0_4arch9wavefront6targetE0EEEvT1_
		.amdhsa_group_segment_fixed_size 0
		.amdhsa_private_segment_fixed_size 0
		.amdhsa_kernarg_size 136
		.amdhsa_user_sgpr_count 2
		.amdhsa_user_sgpr_dispatch_ptr 0
		.amdhsa_user_sgpr_queue_ptr 0
		.amdhsa_user_sgpr_kernarg_segment_ptr 1
		.amdhsa_user_sgpr_dispatch_id 0
		.amdhsa_user_sgpr_private_segment_size 0
		.amdhsa_wavefront_size32 1
		.amdhsa_uses_dynamic_stack 0
		.amdhsa_enable_private_segment 0
		.amdhsa_system_sgpr_workgroup_id_x 1
		.amdhsa_system_sgpr_workgroup_id_y 0
		.amdhsa_system_sgpr_workgroup_id_z 0
		.amdhsa_system_sgpr_workgroup_info 0
		.amdhsa_system_vgpr_workitem_id 0
		.amdhsa_next_free_vgpr 1
		.amdhsa_next_free_sgpr 1
		.amdhsa_reserve_vcc 0
		.amdhsa_float_round_mode_32 0
		.amdhsa_float_round_mode_16_64 0
		.amdhsa_float_denorm_mode_32 3
		.amdhsa_float_denorm_mode_16_64 3
		.amdhsa_fp16_overflow 0
		.amdhsa_workgroup_processor_mode 1
		.amdhsa_memory_ordered 1
		.amdhsa_forward_progress 1
		.amdhsa_inst_pref_size 0
		.amdhsa_round_robin_scheduling 0
		.amdhsa_exception_fp_ieee_invalid_op 0
		.amdhsa_exception_fp_denorm_src 0
		.amdhsa_exception_fp_ieee_div_zero 0
		.amdhsa_exception_fp_ieee_overflow 0
		.amdhsa_exception_fp_ieee_underflow 0
		.amdhsa_exception_fp_ieee_inexact 0
		.amdhsa_exception_int_div_zero 0
	.end_amdhsa_kernel
	.section	.text._ZN7rocprim17ROCPRIM_400000_NS6detail17trampoline_kernelINS0_14default_configENS1_25partition_config_selectorILNS1_17partition_subalgoE5EiNS0_10empty_typeEbEEZZNS1_14partition_implILS5_5ELb0ES3_mN6thrust23THRUST_200600_302600_NS6detail15normal_iteratorINSA_10device_ptrIiEEEEPS6_NSA_18transform_iteratorINSB_9not_fun_tI7is_trueIiEEENSC_INSD_IbEEEENSA_11use_defaultESO_EENS0_5tupleIJSF_S6_EEENSQ_IJSG_SG_EEES6_PlJS6_EEE10hipError_tPvRmT3_T4_T5_T6_T7_T9_mT8_P12ihipStream_tbDpT10_ENKUlT_T0_E_clISt17integral_constantIbLb0EES1C_IbLb1EEEEDaS18_S19_EUlS18_E_NS1_11comp_targetILNS1_3genE0ELNS1_11target_archE4294967295ELNS1_3gpuE0ELNS1_3repE0EEENS1_30default_config_static_selectorELNS0_4arch9wavefront6targetE0EEEvT1_,"axG",@progbits,_ZN7rocprim17ROCPRIM_400000_NS6detail17trampoline_kernelINS0_14default_configENS1_25partition_config_selectorILNS1_17partition_subalgoE5EiNS0_10empty_typeEbEEZZNS1_14partition_implILS5_5ELb0ES3_mN6thrust23THRUST_200600_302600_NS6detail15normal_iteratorINSA_10device_ptrIiEEEEPS6_NSA_18transform_iteratorINSB_9not_fun_tI7is_trueIiEEENSC_INSD_IbEEEENSA_11use_defaultESO_EENS0_5tupleIJSF_S6_EEENSQ_IJSG_SG_EEES6_PlJS6_EEE10hipError_tPvRmT3_T4_T5_T6_T7_T9_mT8_P12ihipStream_tbDpT10_ENKUlT_T0_E_clISt17integral_constantIbLb0EES1C_IbLb1EEEEDaS18_S19_EUlS18_E_NS1_11comp_targetILNS1_3genE0ELNS1_11target_archE4294967295ELNS1_3gpuE0ELNS1_3repE0EEENS1_30default_config_static_selectorELNS0_4arch9wavefront6targetE0EEEvT1_,comdat
.Lfunc_end2549:
	.size	_ZN7rocprim17ROCPRIM_400000_NS6detail17trampoline_kernelINS0_14default_configENS1_25partition_config_selectorILNS1_17partition_subalgoE5EiNS0_10empty_typeEbEEZZNS1_14partition_implILS5_5ELb0ES3_mN6thrust23THRUST_200600_302600_NS6detail15normal_iteratorINSA_10device_ptrIiEEEEPS6_NSA_18transform_iteratorINSB_9not_fun_tI7is_trueIiEEENSC_INSD_IbEEEENSA_11use_defaultESO_EENS0_5tupleIJSF_S6_EEENSQ_IJSG_SG_EEES6_PlJS6_EEE10hipError_tPvRmT3_T4_T5_T6_T7_T9_mT8_P12ihipStream_tbDpT10_ENKUlT_T0_E_clISt17integral_constantIbLb0EES1C_IbLb1EEEEDaS18_S19_EUlS18_E_NS1_11comp_targetILNS1_3genE0ELNS1_11target_archE4294967295ELNS1_3gpuE0ELNS1_3repE0EEENS1_30default_config_static_selectorELNS0_4arch9wavefront6targetE0EEEvT1_, .Lfunc_end2549-_ZN7rocprim17ROCPRIM_400000_NS6detail17trampoline_kernelINS0_14default_configENS1_25partition_config_selectorILNS1_17partition_subalgoE5EiNS0_10empty_typeEbEEZZNS1_14partition_implILS5_5ELb0ES3_mN6thrust23THRUST_200600_302600_NS6detail15normal_iteratorINSA_10device_ptrIiEEEEPS6_NSA_18transform_iteratorINSB_9not_fun_tI7is_trueIiEEENSC_INSD_IbEEEENSA_11use_defaultESO_EENS0_5tupleIJSF_S6_EEENSQ_IJSG_SG_EEES6_PlJS6_EEE10hipError_tPvRmT3_T4_T5_T6_T7_T9_mT8_P12ihipStream_tbDpT10_ENKUlT_T0_E_clISt17integral_constantIbLb0EES1C_IbLb1EEEEDaS18_S19_EUlS18_E_NS1_11comp_targetILNS1_3genE0ELNS1_11target_archE4294967295ELNS1_3gpuE0ELNS1_3repE0EEENS1_30default_config_static_selectorELNS0_4arch9wavefront6targetE0EEEvT1_
                                        ; -- End function
	.set _ZN7rocprim17ROCPRIM_400000_NS6detail17trampoline_kernelINS0_14default_configENS1_25partition_config_selectorILNS1_17partition_subalgoE5EiNS0_10empty_typeEbEEZZNS1_14partition_implILS5_5ELb0ES3_mN6thrust23THRUST_200600_302600_NS6detail15normal_iteratorINSA_10device_ptrIiEEEEPS6_NSA_18transform_iteratorINSB_9not_fun_tI7is_trueIiEEENSC_INSD_IbEEEENSA_11use_defaultESO_EENS0_5tupleIJSF_S6_EEENSQ_IJSG_SG_EEES6_PlJS6_EEE10hipError_tPvRmT3_T4_T5_T6_T7_T9_mT8_P12ihipStream_tbDpT10_ENKUlT_T0_E_clISt17integral_constantIbLb0EES1C_IbLb1EEEEDaS18_S19_EUlS18_E_NS1_11comp_targetILNS1_3genE0ELNS1_11target_archE4294967295ELNS1_3gpuE0ELNS1_3repE0EEENS1_30default_config_static_selectorELNS0_4arch9wavefront6targetE0EEEvT1_.num_vgpr, 0
	.set _ZN7rocprim17ROCPRIM_400000_NS6detail17trampoline_kernelINS0_14default_configENS1_25partition_config_selectorILNS1_17partition_subalgoE5EiNS0_10empty_typeEbEEZZNS1_14partition_implILS5_5ELb0ES3_mN6thrust23THRUST_200600_302600_NS6detail15normal_iteratorINSA_10device_ptrIiEEEEPS6_NSA_18transform_iteratorINSB_9not_fun_tI7is_trueIiEEENSC_INSD_IbEEEENSA_11use_defaultESO_EENS0_5tupleIJSF_S6_EEENSQ_IJSG_SG_EEES6_PlJS6_EEE10hipError_tPvRmT3_T4_T5_T6_T7_T9_mT8_P12ihipStream_tbDpT10_ENKUlT_T0_E_clISt17integral_constantIbLb0EES1C_IbLb1EEEEDaS18_S19_EUlS18_E_NS1_11comp_targetILNS1_3genE0ELNS1_11target_archE4294967295ELNS1_3gpuE0ELNS1_3repE0EEENS1_30default_config_static_selectorELNS0_4arch9wavefront6targetE0EEEvT1_.num_agpr, 0
	.set _ZN7rocprim17ROCPRIM_400000_NS6detail17trampoline_kernelINS0_14default_configENS1_25partition_config_selectorILNS1_17partition_subalgoE5EiNS0_10empty_typeEbEEZZNS1_14partition_implILS5_5ELb0ES3_mN6thrust23THRUST_200600_302600_NS6detail15normal_iteratorINSA_10device_ptrIiEEEEPS6_NSA_18transform_iteratorINSB_9not_fun_tI7is_trueIiEEENSC_INSD_IbEEEENSA_11use_defaultESO_EENS0_5tupleIJSF_S6_EEENSQ_IJSG_SG_EEES6_PlJS6_EEE10hipError_tPvRmT3_T4_T5_T6_T7_T9_mT8_P12ihipStream_tbDpT10_ENKUlT_T0_E_clISt17integral_constantIbLb0EES1C_IbLb1EEEEDaS18_S19_EUlS18_E_NS1_11comp_targetILNS1_3genE0ELNS1_11target_archE4294967295ELNS1_3gpuE0ELNS1_3repE0EEENS1_30default_config_static_selectorELNS0_4arch9wavefront6targetE0EEEvT1_.numbered_sgpr, 0
	.set _ZN7rocprim17ROCPRIM_400000_NS6detail17trampoline_kernelINS0_14default_configENS1_25partition_config_selectorILNS1_17partition_subalgoE5EiNS0_10empty_typeEbEEZZNS1_14partition_implILS5_5ELb0ES3_mN6thrust23THRUST_200600_302600_NS6detail15normal_iteratorINSA_10device_ptrIiEEEEPS6_NSA_18transform_iteratorINSB_9not_fun_tI7is_trueIiEEENSC_INSD_IbEEEENSA_11use_defaultESO_EENS0_5tupleIJSF_S6_EEENSQ_IJSG_SG_EEES6_PlJS6_EEE10hipError_tPvRmT3_T4_T5_T6_T7_T9_mT8_P12ihipStream_tbDpT10_ENKUlT_T0_E_clISt17integral_constantIbLb0EES1C_IbLb1EEEEDaS18_S19_EUlS18_E_NS1_11comp_targetILNS1_3genE0ELNS1_11target_archE4294967295ELNS1_3gpuE0ELNS1_3repE0EEENS1_30default_config_static_selectorELNS0_4arch9wavefront6targetE0EEEvT1_.num_named_barrier, 0
	.set _ZN7rocprim17ROCPRIM_400000_NS6detail17trampoline_kernelINS0_14default_configENS1_25partition_config_selectorILNS1_17partition_subalgoE5EiNS0_10empty_typeEbEEZZNS1_14partition_implILS5_5ELb0ES3_mN6thrust23THRUST_200600_302600_NS6detail15normal_iteratorINSA_10device_ptrIiEEEEPS6_NSA_18transform_iteratorINSB_9not_fun_tI7is_trueIiEEENSC_INSD_IbEEEENSA_11use_defaultESO_EENS0_5tupleIJSF_S6_EEENSQ_IJSG_SG_EEES6_PlJS6_EEE10hipError_tPvRmT3_T4_T5_T6_T7_T9_mT8_P12ihipStream_tbDpT10_ENKUlT_T0_E_clISt17integral_constantIbLb0EES1C_IbLb1EEEEDaS18_S19_EUlS18_E_NS1_11comp_targetILNS1_3genE0ELNS1_11target_archE4294967295ELNS1_3gpuE0ELNS1_3repE0EEENS1_30default_config_static_selectorELNS0_4arch9wavefront6targetE0EEEvT1_.private_seg_size, 0
	.set _ZN7rocprim17ROCPRIM_400000_NS6detail17trampoline_kernelINS0_14default_configENS1_25partition_config_selectorILNS1_17partition_subalgoE5EiNS0_10empty_typeEbEEZZNS1_14partition_implILS5_5ELb0ES3_mN6thrust23THRUST_200600_302600_NS6detail15normal_iteratorINSA_10device_ptrIiEEEEPS6_NSA_18transform_iteratorINSB_9not_fun_tI7is_trueIiEEENSC_INSD_IbEEEENSA_11use_defaultESO_EENS0_5tupleIJSF_S6_EEENSQ_IJSG_SG_EEES6_PlJS6_EEE10hipError_tPvRmT3_T4_T5_T6_T7_T9_mT8_P12ihipStream_tbDpT10_ENKUlT_T0_E_clISt17integral_constantIbLb0EES1C_IbLb1EEEEDaS18_S19_EUlS18_E_NS1_11comp_targetILNS1_3genE0ELNS1_11target_archE4294967295ELNS1_3gpuE0ELNS1_3repE0EEENS1_30default_config_static_selectorELNS0_4arch9wavefront6targetE0EEEvT1_.uses_vcc, 0
	.set _ZN7rocprim17ROCPRIM_400000_NS6detail17trampoline_kernelINS0_14default_configENS1_25partition_config_selectorILNS1_17partition_subalgoE5EiNS0_10empty_typeEbEEZZNS1_14partition_implILS5_5ELb0ES3_mN6thrust23THRUST_200600_302600_NS6detail15normal_iteratorINSA_10device_ptrIiEEEEPS6_NSA_18transform_iteratorINSB_9not_fun_tI7is_trueIiEEENSC_INSD_IbEEEENSA_11use_defaultESO_EENS0_5tupleIJSF_S6_EEENSQ_IJSG_SG_EEES6_PlJS6_EEE10hipError_tPvRmT3_T4_T5_T6_T7_T9_mT8_P12ihipStream_tbDpT10_ENKUlT_T0_E_clISt17integral_constantIbLb0EES1C_IbLb1EEEEDaS18_S19_EUlS18_E_NS1_11comp_targetILNS1_3genE0ELNS1_11target_archE4294967295ELNS1_3gpuE0ELNS1_3repE0EEENS1_30default_config_static_selectorELNS0_4arch9wavefront6targetE0EEEvT1_.uses_flat_scratch, 0
	.set _ZN7rocprim17ROCPRIM_400000_NS6detail17trampoline_kernelINS0_14default_configENS1_25partition_config_selectorILNS1_17partition_subalgoE5EiNS0_10empty_typeEbEEZZNS1_14partition_implILS5_5ELb0ES3_mN6thrust23THRUST_200600_302600_NS6detail15normal_iteratorINSA_10device_ptrIiEEEEPS6_NSA_18transform_iteratorINSB_9not_fun_tI7is_trueIiEEENSC_INSD_IbEEEENSA_11use_defaultESO_EENS0_5tupleIJSF_S6_EEENSQ_IJSG_SG_EEES6_PlJS6_EEE10hipError_tPvRmT3_T4_T5_T6_T7_T9_mT8_P12ihipStream_tbDpT10_ENKUlT_T0_E_clISt17integral_constantIbLb0EES1C_IbLb1EEEEDaS18_S19_EUlS18_E_NS1_11comp_targetILNS1_3genE0ELNS1_11target_archE4294967295ELNS1_3gpuE0ELNS1_3repE0EEENS1_30default_config_static_selectorELNS0_4arch9wavefront6targetE0EEEvT1_.has_dyn_sized_stack, 0
	.set _ZN7rocprim17ROCPRIM_400000_NS6detail17trampoline_kernelINS0_14default_configENS1_25partition_config_selectorILNS1_17partition_subalgoE5EiNS0_10empty_typeEbEEZZNS1_14partition_implILS5_5ELb0ES3_mN6thrust23THRUST_200600_302600_NS6detail15normal_iteratorINSA_10device_ptrIiEEEEPS6_NSA_18transform_iteratorINSB_9not_fun_tI7is_trueIiEEENSC_INSD_IbEEEENSA_11use_defaultESO_EENS0_5tupleIJSF_S6_EEENSQ_IJSG_SG_EEES6_PlJS6_EEE10hipError_tPvRmT3_T4_T5_T6_T7_T9_mT8_P12ihipStream_tbDpT10_ENKUlT_T0_E_clISt17integral_constantIbLb0EES1C_IbLb1EEEEDaS18_S19_EUlS18_E_NS1_11comp_targetILNS1_3genE0ELNS1_11target_archE4294967295ELNS1_3gpuE0ELNS1_3repE0EEENS1_30default_config_static_selectorELNS0_4arch9wavefront6targetE0EEEvT1_.has_recursion, 0
	.set _ZN7rocprim17ROCPRIM_400000_NS6detail17trampoline_kernelINS0_14default_configENS1_25partition_config_selectorILNS1_17partition_subalgoE5EiNS0_10empty_typeEbEEZZNS1_14partition_implILS5_5ELb0ES3_mN6thrust23THRUST_200600_302600_NS6detail15normal_iteratorINSA_10device_ptrIiEEEEPS6_NSA_18transform_iteratorINSB_9not_fun_tI7is_trueIiEEENSC_INSD_IbEEEENSA_11use_defaultESO_EENS0_5tupleIJSF_S6_EEENSQ_IJSG_SG_EEES6_PlJS6_EEE10hipError_tPvRmT3_T4_T5_T6_T7_T9_mT8_P12ihipStream_tbDpT10_ENKUlT_T0_E_clISt17integral_constantIbLb0EES1C_IbLb1EEEEDaS18_S19_EUlS18_E_NS1_11comp_targetILNS1_3genE0ELNS1_11target_archE4294967295ELNS1_3gpuE0ELNS1_3repE0EEENS1_30default_config_static_selectorELNS0_4arch9wavefront6targetE0EEEvT1_.has_indirect_call, 0
	.section	.AMDGPU.csdata,"",@progbits
; Kernel info:
; codeLenInByte = 0
; TotalNumSgprs: 0
; NumVgprs: 0
; ScratchSize: 0
; MemoryBound: 0
; FloatMode: 240
; IeeeMode: 1
; LDSByteSize: 0 bytes/workgroup (compile time only)
; SGPRBlocks: 0
; VGPRBlocks: 0
; NumSGPRsForWavesPerEU: 1
; NumVGPRsForWavesPerEU: 1
; Occupancy: 16
; WaveLimiterHint : 0
; COMPUTE_PGM_RSRC2:SCRATCH_EN: 0
; COMPUTE_PGM_RSRC2:USER_SGPR: 2
; COMPUTE_PGM_RSRC2:TRAP_HANDLER: 0
; COMPUTE_PGM_RSRC2:TGID_X_EN: 1
; COMPUTE_PGM_RSRC2:TGID_Y_EN: 0
; COMPUTE_PGM_RSRC2:TGID_Z_EN: 0
; COMPUTE_PGM_RSRC2:TIDIG_COMP_CNT: 0
	.section	.text._ZN7rocprim17ROCPRIM_400000_NS6detail17trampoline_kernelINS0_14default_configENS1_25partition_config_selectorILNS1_17partition_subalgoE5EiNS0_10empty_typeEbEEZZNS1_14partition_implILS5_5ELb0ES3_mN6thrust23THRUST_200600_302600_NS6detail15normal_iteratorINSA_10device_ptrIiEEEEPS6_NSA_18transform_iteratorINSB_9not_fun_tI7is_trueIiEEENSC_INSD_IbEEEENSA_11use_defaultESO_EENS0_5tupleIJSF_S6_EEENSQ_IJSG_SG_EEES6_PlJS6_EEE10hipError_tPvRmT3_T4_T5_T6_T7_T9_mT8_P12ihipStream_tbDpT10_ENKUlT_T0_E_clISt17integral_constantIbLb0EES1C_IbLb1EEEEDaS18_S19_EUlS18_E_NS1_11comp_targetILNS1_3genE5ELNS1_11target_archE942ELNS1_3gpuE9ELNS1_3repE0EEENS1_30default_config_static_selectorELNS0_4arch9wavefront6targetE0EEEvT1_,"axG",@progbits,_ZN7rocprim17ROCPRIM_400000_NS6detail17trampoline_kernelINS0_14default_configENS1_25partition_config_selectorILNS1_17partition_subalgoE5EiNS0_10empty_typeEbEEZZNS1_14partition_implILS5_5ELb0ES3_mN6thrust23THRUST_200600_302600_NS6detail15normal_iteratorINSA_10device_ptrIiEEEEPS6_NSA_18transform_iteratorINSB_9not_fun_tI7is_trueIiEEENSC_INSD_IbEEEENSA_11use_defaultESO_EENS0_5tupleIJSF_S6_EEENSQ_IJSG_SG_EEES6_PlJS6_EEE10hipError_tPvRmT3_T4_T5_T6_T7_T9_mT8_P12ihipStream_tbDpT10_ENKUlT_T0_E_clISt17integral_constantIbLb0EES1C_IbLb1EEEEDaS18_S19_EUlS18_E_NS1_11comp_targetILNS1_3genE5ELNS1_11target_archE942ELNS1_3gpuE9ELNS1_3repE0EEENS1_30default_config_static_selectorELNS0_4arch9wavefront6targetE0EEEvT1_,comdat
	.protected	_ZN7rocprim17ROCPRIM_400000_NS6detail17trampoline_kernelINS0_14default_configENS1_25partition_config_selectorILNS1_17partition_subalgoE5EiNS0_10empty_typeEbEEZZNS1_14partition_implILS5_5ELb0ES3_mN6thrust23THRUST_200600_302600_NS6detail15normal_iteratorINSA_10device_ptrIiEEEEPS6_NSA_18transform_iteratorINSB_9not_fun_tI7is_trueIiEEENSC_INSD_IbEEEENSA_11use_defaultESO_EENS0_5tupleIJSF_S6_EEENSQ_IJSG_SG_EEES6_PlJS6_EEE10hipError_tPvRmT3_T4_T5_T6_T7_T9_mT8_P12ihipStream_tbDpT10_ENKUlT_T0_E_clISt17integral_constantIbLb0EES1C_IbLb1EEEEDaS18_S19_EUlS18_E_NS1_11comp_targetILNS1_3genE5ELNS1_11target_archE942ELNS1_3gpuE9ELNS1_3repE0EEENS1_30default_config_static_selectorELNS0_4arch9wavefront6targetE0EEEvT1_ ; -- Begin function _ZN7rocprim17ROCPRIM_400000_NS6detail17trampoline_kernelINS0_14default_configENS1_25partition_config_selectorILNS1_17partition_subalgoE5EiNS0_10empty_typeEbEEZZNS1_14partition_implILS5_5ELb0ES3_mN6thrust23THRUST_200600_302600_NS6detail15normal_iteratorINSA_10device_ptrIiEEEEPS6_NSA_18transform_iteratorINSB_9not_fun_tI7is_trueIiEEENSC_INSD_IbEEEENSA_11use_defaultESO_EENS0_5tupleIJSF_S6_EEENSQ_IJSG_SG_EEES6_PlJS6_EEE10hipError_tPvRmT3_T4_T5_T6_T7_T9_mT8_P12ihipStream_tbDpT10_ENKUlT_T0_E_clISt17integral_constantIbLb0EES1C_IbLb1EEEEDaS18_S19_EUlS18_E_NS1_11comp_targetILNS1_3genE5ELNS1_11target_archE942ELNS1_3gpuE9ELNS1_3repE0EEENS1_30default_config_static_selectorELNS0_4arch9wavefront6targetE0EEEvT1_
	.globl	_ZN7rocprim17ROCPRIM_400000_NS6detail17trampoline_kernelINS0_14default_configENS1_25partition_config_selectorILNS1_17partition_subalgoE5EiNS0_10empty_typeEbEEZZNS1_14partition_implILS5_5ELb0ES3_mN6thrust23THRUST_200600_302600_NS6detail15normal_iteratorINSA_10device_ptrIiEEEEPS6_NSA_18transform_iteratorINSB_9not_fun_tI7is_trueIiEEENSC_INSD_IbEEEENSA_11use_defaultESO_EENS0_5tupleIJSF_S6_EEENSQ_IJSG_SG_EEES6_PlJS6_EEE10hipError_tPvRmT3_T4_T5_T6_T7_T9_mT8_P12ihipStream_tbDpT10_ENKUlT_T0_E_clISt17integral_constantIbLb0EES1C_IbLb1EEEEDaS18_S19_EUlS18_E_NS1_11comp_targetILNS1_3genE5ELNS1_11target_archE942ELNS1_3gpuE9ELNS1_3repE0EEENS1_30default_config_static_selectorELNS0_4arch9wavefront6targetE0EEEvT1_
	.p2align	8
	.type	_ZN7rocprim17ROCPRIM_400000_NS6detail17trampoline_kernelINS0_14default_configENS1_25partition_config_selectorILNS1_17partition_subalgoE5EiNS0_10empty_typeEbEEZZNS1_14partition_implILS5_5ELb0ES3_mN6thrust23THRUST_200600_302600_NS6detail15normal_iteratorINSA_10device_ptrIiEEEEPS6_NSA_18transform_iteratorINSB_9not_fun_tI7is_trueIiEEENSC_INSD_IbEEEENSA_11use_defaultESO_EENS0_5tupleIJSF_S6_EEENSQ_IJSG_SG_EEES6_PlJS6_EEE10hipError_tPvRmT3_T4_T5_T6_T7_T9_mT8_P12ihipStream_tbDpT10_ENKUlT_T0_E_clISt17integral_constantIbLb0EES1C_IbLb1EEEEDaS18_S19_EUlS18_E_NS1_11comp_targetILNS1_3genE5ELNS1_11target_archE942ELNS1_3gpuE9ELNS1_3repE0EEENS1_30default_config_static_selectorELNS0_4arch9wavefront6targetE0EEEvT1_,@function
_ZN7rocprim17ROCPRIM_400000_NS6detail17trampoline_kernelINS0_14default_configENS1_25partition_config_selectorILNS1_17partition_subalgoE5EiNS0_10empty_typeEbEEZZNS1_14partition_implILS5_5ELb0ES3_mN6thrust23THRUST_200600_302600_NS6detail15normal_iteratorINSA_10device_ptrIiEEEEPS6_NSA_18transform_iteratorINSB_9not_fun_tI7is_trueIiEEENSC_INSD_IbEEEENSA_11use_defaultESO_EENS0_5tupleIJSF_S6_EEENSQ_IJSG_SG_EEES6_PlJS6_EEE10hipError_tPvRmT3_T4_T5_T6_T7_T9_mT8_P12ihipStream_tbDpT10_ENKUlT_T0_E_clISt17integral_constantIbLb0EES1C_IbLb1EEEEDaS18_S19_EUlS18_E_NS1_11comp_targetILNS1_3genE5ELNS1_11target_archE942ELNS1_3gpuE9ELNS1_3repE0EEENS1_30default_config_static_selectorELNS0_4arch9wavefront6targetE0EEEvT1_: ; @_ZN7rocprim17ROCPRIM_400000_NS6detail17trampoline_kernelINS0_14default_configENS1_25partition_config_selectorILNS1_17partition_subalgoE5EiNS0_10empty_typeEbEEZZNS1_14partition_implILS5_5ELb0ES3_mN6thrust23THRUST_200600_302600_NS6detail15normal_iteratorINSA_10device_ptrIiEEEEPS6_NSA_18transform_iteratorINSB_9not_fun_tI7is_trueIiEEENSC_INSD_IbEEEENSA_11use_defaultESO_EENS0_5tupleIJSF_S6_EEENSQ_IJSG_SG_EEES6_PlJS6_EEE10hipError_tPvRmT3_T4_T5_T6_T7_T9_mT8_P12ihipStream_tbDpT10_ENKUlT_T0_E_clISt17integral_constantIbLb0EES1C_IbLb1EEEEDaS18_S19_EUlS18_E_NS1_11comp_targetILNS1_3genE5ELNS1_11target_archE942ELNS1_3gpuE9ELNS1_3repE0EEENS1_30default_config_static_selectorELNS0_4arch9wavefront6targetE0EEEvT1_
; %bb.0:
	.section	.rodata,"a",@progbits
	.p2align	6, 0x0
	.amdhsa_kernel _ZN7rocprim17ROCPRIM_400000_NS6detail17trampoline_kernelINS0_14default_configENS1_25partition_config_selectorILNS1_17partition_subalgoE5EiNS0_10empty_typeEbEEZZNS1_14partition_implILS5_5ELb0ES3_mN6thrust23THRUST_200600_302600_NS6detail15normal_iteratorINSA_10device_ptrIiEEEEPS6_NSA_18transform_iteratorINSB_9not_fun_tI7is_trueIiEEENSC_INSD_IbEEEENSA_11use_defaultESO_EENS0_5tupleIJSF_S6_EEENSQ_IJSG_SG_EEES6_PlJS6_EEE10hipError_tPvRmT3_T4_T5_T6_T7_T9_mT8_P12ihipStream_tbDpT10_ENKUlT_T0_E_clISt17integral_constantIbLb0EES1C_IbLb1EEEEDaS18_S19_EUlS18_E_NS1_11comp_targetILNS1_3genE5ELNS1_11target_archE942ELNS1_3gpuE9ELNS1_3repE0EEENS1_30default_config_static_selectorELNS0_4arch9wavefront6targetE0EEEvT1_
		.amdhsa_group_segment_fixed_size 0
		.amdhsa_private_segment_fixed_size 0
		.amdhsa_kernarg_size 136
		.amdhsa_user_sgpr_count 2
		.amdhsa_user_sgpr_dispatch_ptr 0
		.amdhsa_user_sgpr_queue_ptr 0
		.amdhsa_user_sgpr_kernarg_segment_ptr 1
		.amdhsa_user_sgpr_dispatch_id 0
		.amdhsa_user_sgpr_private_segment_size 0
		.amdhsa_wavefront_size32 1
		.amdhsa_uses_dynamic_stack 0
		.amdhsa_enable_private_segment 0
		.amdhsa_system_sgpr_workgroup_id_x 1
		.amdhsa_system_sgpr_workgroup_id_y 0
		.amdhsa_system_sgpr_workgroup_id_z 0
		.amdhsa_system_sgpr_workgroup_info 0
		.amdhsa_system_vgpr_workitem_id 0
		.amdhsa_next_free_vgpr 1
		.amdhsa_next_free_sgpr 1
		.amdhsa_reserve_vcc 0
		.amdhsa_float_round_mode_32 0
		.amdhsa_float_round_mode_16_64 0
		.amdhsa_float_denorm_mode_32 3
		.amdhsa_float_denorm_mode_16_64 3
		.amdhsa_fp16_overflow 0
		.amdhsa_workgroup_processor_mode 1
		.amdhsa_memory_ordered 1
		.amdhsa_forward_progress 1
		.amdhsa_inst_pref_size 0
		.amdhsa_round_robin_scheduling 0
		.amdhsa_exception_fp_ieee_invalid_op 0
		.amdhsa_exception_fp_denorm_src 0
		.amdhsa_exception_fp_ieee_div_zero 0
		.amdhsa_exception_fp_ieee_overflow 0
		.amdhsa_exception_fp_ieee_underflow 0
		.amdhsa_exception_fp_ieee_inexact 0
		.amdhsa_exception_int_div_zero 0
	.end_amdhsa_kernel
	.section	.text._ZN7rocprim17ROCPRIM_400000_NS6detail17trampoline_kernelINS0_14default_configENS1_25partition_config_selectorILNS1_17partition_subalgoE5EiNS0_10empty_typeEbEEZZNS1_14partition_implILS5_5ELb0ES3_mN6thrust23THRUST_200600_302600_NS6detail15normal_iteratorINSA_10device_ptrIiEEEEPS6_NSA_18transform_iteratorINSB_9not_fun_tI7is_trueIiEEENSC_INSD_IbEEEENSA_11use_defaultESO_EENS0_5tupleIJSF_S6_EEENSQ_IJSG_SG_EEES6_PlJS6_EEE10hipError_tPvRmT3_T4_T5_T6_T7_T9_mT8_P12ihipStream_tbDpT10_ENKUlT_T0_E_clISt17integral_constantIbLb0EES1C_IbLb1EEEEDaS18_S19_EUlS18_E_NS1_11comp_targetILNS1_3genE5ELNS1_11target_archE942ELNS1_3gpuE9ELNS1_3repE0EEENS1_30default_config_static_selectorELNS0_4arch9wavefront6targetE0EEEvT1_,"axG",@progbits,_ZN7rocprim17ROCPRIM_400000_NS6detail17trampoline_kernelINS0_14default_configENS1_25partition_config_selectorILNS1_17partition_subalgoE5EiNS0_10empty_typeEbEEZZNS1_14partition_implILS5_5ELb0ES3_mN6thrust23THRUST_200600_302600_NS6detail15normal_iteratorINSA_10device_ptrIiEEEEPS6_NSA_18transform_iteratorINSB_9not_fun_tI7is_trueIiEEENSC_INSD_IbEEEENSA_11use_defaultESO_EENS0_5tupleIJSF_S6_EEENSQ_IJSG_SG_EEES6_PlJS6_EEE10hipError_tPvRmT3_T4_T5_T6_T7_T9_mT8_P12ihipStream_tbDpT10_ENKUlT_T0_E_clISt17integral_constantIbLb0EES1C_IbLb1EEEEDaS18_S19_EUlS18_E_NS1_11comp_targetILNS1_3genE5ELNS1_11target_archE942ELNS1_3gpuE9ELNS1_3repE0EEENS1_30default_config_static_selectorELNS0_4arch9wavefront6targetE0EEEvT1_,comdat
.Lfunc_end2550:
	.size	_ZN7rocprim17ROCPRIM_400000_NS6detail17trampoline_kernelINS0_14default_configENS1_25partition_config_selectorILNS1_17partition_subalgoE5EiNS0_10empty_typeEbEEZZNS1_14partition_implILS5_5ELb0ES3_mN6thrust23THRUST_200600_302600_NS6detail15normal_iteratorINSA_10device_ptrIiEEEEPS6_NSA_18transform_iteratorINSB_9not_fun_tI7is_trueIiEEENSC_INSD_IbEEEENSA_11use_defaultESO_EENS0_5tupleIJSF_S6_EEENSQ_IJSG_SG_EEES6_PlJS6_EEE10hipError_tPvRmT3_T4_T5_T6_T7_T9_mT8_P12ihipStream_tbDpT10_ENKUlT_T0_E_clISt17integral_constantIbLb0EES1C_IbLb1EEEEDaS18_S19_EUlS18_E_NS1_11comp_targetILNS1_3genE5ELNS1_11target_archE942ELNS1_3gpuE9ELNS1_3repE0EEENS1_30default_config_static_selectorELNS0_4arch9wavefront6targetE0EEEvT1_, .Lfunc_end2550-_ZN7rocprim17ROCPRIM_400000_NS6detail17trampoline_kernelINS0_14default_configENS1_25partition_config_selectorILNS1_17partition_subalgoE5EiNS0_10empty_typeEbEEZZNS1_14partition_implILS5_5ELb0ES3_mN6thrust23THRUST_200600_302600_NS6detail15normal_iteratorINSA_10device_ptrIiEEEEPS6_NSA_18transform_iteratorINSB_9not_fun_tI7is_trueIiEEENSC_INSD_IbEEEENSA_11use_defaultESO_EENS0_5tupleIJSF_S6_EEENSQ_IJSG_SG_EEES6_PlJS6_EEE10hipError_tPvRmT3_T4_T5_T6_T7_T9_mT8_P12ihipStream_tbDpT10_ENKUlT_T0_E_clISt17integral_constantIbLb0EES1C_IbLb1EEEEDaS18_S19_EUlS18_E_NS1_11comp_targetILNS1_3genE5ELNS1_11target_archE942ELNS1_3gpuE9ELNS1_3repE0EEENS1_30default_config_static_selectorELNS0_4arch9wavefront6targetE0EEEvT1_
                                        ; -- End function
	.set _ZN7rocprim17ROCPRIM_400000_NS6detail17trampoline_kernelINS0_14default_configENS1_25partition_config_selectorILNS1_17partition_subalgoE5EiNS0_10empty_typeEbEEZZNS1_14partition_implILS5_5ELb0ES3_mN6thrust23THRUST_200600_302600_NS6detail15normal_iteratorINSA_10device_ptrIiEEEEPS6_NSA_18transform_iteratorINSB_9not_fun_tI7is_trueIiEEENSC_INSD_IbEEEENSA_11use_defaultESO_EENS0_5tupleIJSF_S6_EEENSQ_IJSG_SG_EEES6_PlJS6_EEE10hipError_tPvRmT3_T4_T5_T6_T7_T9_mT8_P12ihipStream_tbDpT10_ENKUlT_T0_E_clISt17integral_constantIbLb0EES1C_IbLb1EEEEDaS18_S19_EUlS18_E_NS1_11comp_targetILNS1_3genE5ELNS1_11target_archE942ELNS1_3gpuE9ELNS1_3repE0EEENS1_30default_config_static_selectorELNS0_4arch9wavefront6targetE0EEEvT1_.num_vgpr, 0
	.set _ZN7rocprim17ROCPRIM_400000_NS6detail17trampoline_kernelINS0_14default_configENS1_25partition_config_selectorILNS1_17partition_subalgoE5EiNS0_10empty_typeEbEEZZNS1_14partition_implILS5_5ELb0ES3_mN6thrust23THRUST_200600_302600_NS6detail15normal_iteratorINSA_10device_ptrIiEEEEPS6_NSA_18transform_iteratorINSB_9not_fun_tI7is_trueIiEEENSC_INSD_IbEEEENSA_11use_defaultESO_EENS0_5tupleIJSF_S6_EEENSQ_IJSG_SG_EEES6_PlJS6_EEE10hipError_tPvRmT3_T4_T5_T6_T7_T9_mT8_P12ihipStream_tbDpT10_ENKUlT_T0_E_clISt17integral_constantIbLb0EES1C_IbLb1EEEEDaS18_S19_EUlS18_E_NS1_11comp_targetILNS1_3genE5ELNS1_11target_archE942ELNS1_3gpuE9ELNS1_3repE0EEENS1_30default_config_static_selectorELNS0_4arch9wavefront6targetE0EEEvT1_.num_agpr, 0
	.set _ZN7rocprim17ROCPRIM_400000_NS6detail17trampoline_kernelINS0_14default_configENS1_25partition_config_selectorILNS1_17partition_subalgoE5EiNS0_10empty_typeEbEEZZNS1_14partition_implILS5_5ELb0ES3_mN6thrust23THRUST_200600_302600_NS6detail15normal_iteratorINSA_10device_ptrIiEEEEPS6_NSA_18transform_iteratorINSB_9not_fun_tI7is_trueIiEEENSC_INSD_IbEEEENSA_11use_defaultESO_EENS0_5tupleIJSF_S6_EEENSQ_IJSG_SG_EEES6_PlJS6_EEE10hipError_tPvRmT3_T4_T5_T6_T7_T9_mT8_P12ihipStream_tbDpT10_ENKUlT_T0_E_clISt17integral_constantIbLb0EES1C_IbLb1EEEEDaS18_S19_EUlS18_E_NS1_11comp_targetILNS1_3genE5ELNS1_11target_archE942ELNS1_3gpuE9ELNS1_3repE0EEENS1_30default_config_static_selectorELNS0_4arch9wavefront6targetE0EEEvT1_.numbered_sgpr, 0
	.set _ZN7rocprim17ROCPRIM_400000_NS6detail17trampoline_kernelINS0_14default_configENS1_25partition_config_selectorILNS1_17partition_subalgoE5EiNS0_10empty_typeEbEEZZNS1_14partition_implILS5_5ELb0ES3_mN6thrust23THRUST_200600_302600_NS6detail15normal_iteratorINSA_10device_ptrIiEEEEPS6_NSA_18transform_iteratorINSB_9not_fun_tI7is_trueIiEEENSC_INSD_IbEEEENSA_11use_defaultESO_EENS0_5tupleIJSF_S6_EEENSQ_IJSG_SG_EEES6_PlJS6_EEE10hipError_tPvRmT3_T4_T5_T6_T7_T9_mT8_P12ihipStream_tbDpT10_ENKUlT_T0_E_clISt17integral_constantIbLb0EES1C_IbLb1EEEEDaS18_S19_EUlS18_E_NS1_11comp_targetILNS1_3genE5ELNS1_11target_archE942ELNS1_3gpuE9ELNS1_3repE0EEENS1_30default_config_static_selectorELNS0_4arch9wavefront6targetE0EEEvT1_.num_named_barrier, 0
	.set _ZN7rocprim17ROCPRIM_400000_NS6detail17trampoline_kernelINS0_14default_configENS1_25partition_config_selectorILNS1_17partition_subalgoE5EiNS0_10empty_typeEbEEZZNS1_14partition_implILS5_5ELb0ES3_mN6thrust23THRUST_200600_302600_NS6detail15normal_iteratorINSA_10device_ptrIiEEEEPS6_NSA_18transform_iteratorINSB_9not_fun_tI7is_trueIiEEENSC_INSD_IbEEEENSA_11use_defaultESO_EENS0_5tupleIJSF_S6_EEENSQ_IJSG_SG_EEES6_PlJS6_EEE10hipError_tPvRmT3_T4_T5_T6_T7_T9_mT8_P12ihipStream_tbDpT10_ENKUlT_T0_E_clISt17integral_constantIbLb0EES1C_IbLb1EEEEDaS18_S19_EUlS18_E_NS1_11comp_targetILNS1_3genE5ELNS1_11target_archE942ELNS1_3gpuE9ELNS1_3repE0EEENS1_30default_config_static_selectorELNS0_4arch9wavefront6targetE0EEEvT1_.private_seg_size, 0
	.set _ZN7rocprim17ROCPRIM_400000_NS6detail17trampoline_kernelINS0_14default_configENS1_25partition_config_selectorILNS1_17partition_subalgoE5EiNS0_10empty_typeEbEEZZNS1_14partition_implILS5_5ELb0ES3_mN6thrust23THRUST_200600_302600_NS6detail15normal_iteratorINSA_10device_ptrIiEEEEPS6_NSA_18transform_iteratorINSB_9not_fun_tI7is_trueIiEEENSC_INSD_IbEEEENSA_11use_defaultESO_EENS0_5tupleIJSF_S6_EEENSQ_IJSG_SG_EEES6_PlJS6_EEE10hipError_tPvRmT3_T4_T5_T6_T7_T9_mT8_P12ihipStream_tbDpT10_ENKUlT_T0_E_clISt17integral_constantIbLb0EES1C_IbLb1EEEEDaS18_S19_EUlS18_E_NS1_11comp_targetILNS1_3genE5ELNS1_11target_archE942ELNS1_3gpuE9ELNS1_3repE0EEENS1_30default_config_static_selectorELNS0_4arch9wavefront6targetE0EEEvT1_.uses_vcc, 0
	.set _ZN7rocprim17ROCPRIM_400000_NS6detail17trampoline_kernelINS0_14default_configENS1_25partition_config_selectorILNS1_17partition_subalgoE5EiNS0_10empty_typeEbEEZZNS1_14partition_implILS5_5ELb0ES3_mN6thrust23THRUST_200600_302600_NS6detail15normal_iteratorINSA_10device_ptrIiEEEEPS6_NSA_18transform_iteratorINSB_9not_fun_tI7is_trueIiEEENSC_INSD_IbEEEENSA_11use_defaultESO_EENS0_5tupleIJSF_S6_EEENSQ_IJSG_SG_EEES6_PlJS6_EEE10hipError_tPvRmT3_T4_T5_T6_T7_T9_mT8_P12ihipStream_tbDpT10_ENKUlT_T0_E_clISt17integral_constantIbLb0EES1C_IbLb1EEEEDaS18_S19_EUlS18_E_NS1_11comp_targetILNS1_3genE5ELNS1_11target_archE942ELNS1_3gpuE9ELNS1_3repE0EEENS1_30default_config_static_selectorELNS0_4arch9wavefront6targetE0EEEvT1_.uses_flat_scratch, 0
	.set _ZN7rocprim17ROCPRIM_400000_NS6detail17trampoline_kernelINS0_14default_configENS1_25partition_config_selectorILNS1_17partition_subalgoE5EiNS0_10empty_typeEbEEZZNS1_14partition_implILS5_5ELb0ES3_mN6thrust23THRUST_200600_302600_NS6detail15normal_iteratorINSA_10device_ptrIiEEEEPS6_NSA_18transform_iteratorINSB_9not_fun_tI7is_trueIiEEENSC_INSD_IbEEEENSA_11use_defaultESO_EENS0_5tupleIJSF_S6_EEENSQ_IJSG_SG_EEES6_PlJS6_EEE10hipError_tPvRmT3_T4_T5_T6_T7_T9_mT8_P12ihipStream_tbDpT10_ENKUlT_T0_E_clISt17integral_constantIbLb0EES1C_IbLb1EEEEDaS18_S19_EUlS18_E_NS1_11comp_targetILNS1_3genE5ELNS1_11target_archE942ELNS1_3gpuE9ELNS1_3repE0EEENS1_30default_config_static_selectorELNS0_4arch9wavefront6targetE0EEEvT1_.has_dyn_sized_stack, 0
	.set _ZN7rocprim17ROCPRIM_400000_NS6detail17trampoline_kernelINS0_14default_configENS1_25partition_config_selectorILNS1_17partition_subalgoE5EiNS0_10empty_typeEbEEZZNS1_14partition_implILS5_5ELb0ES3_mN6thrust23THRUST_200600_302600_NS6detail15normal_iteratorINSA_10device_ptrIiEEEEPS6_NSA_18transform_iteratorINSB_9not_fun_tI7is_trueIiEEENSC_INSD_IbEEEENSA_11use_defaultESO_EENS0_5tupleIJSF_S6_EEENSQ_IJSG_SG_EEES6_PlJS6_EEE10hipError_tPvRmT3_T4_T5_T6_T7_T9_mT8_P12ihipStream_tbDpT10_ENKUlT_T0_E_clISt17integral_constantIbLb0EES1C_IbLb1EEEEDaS18_S19_EUlS18_E_NS1_11comp_targetILNS1_3genE5ELNS1_11target_archE942ELNS1_3gpuE9ELNS1_3repE0EEENS1_30default_config_static_selectorELNS0_4arch9wavefront6targetE0EEEvT1_.has_recursion, 0
	.set _ZN7rocprim17ROCPRIM_400000_NS6detail17trampoline_kernelINS0_14default_configENS1_25partition_config_selectorILNS1_17partition_subalgoE5EiNS0_10empty_typeEbEEZZNS1_14partition_implILS5_5ELb0ES3_mN6thrust23THRUST_200600_302600_NS6detail15normal_iteratorINSA_10device_ptrIiEEEEPS6_NSA_18transform_iteratorINSB_9not_fun_tI7is_trueIiEEENSC_INSD_IbEEEENSA_11use_defaultESO_EENS0_5tupleIJSF_S6_EEENSQ_IJSG_SG_EEES6_PlJS6_EEE10hipError_tPvRmT3_T4_T5_T6_T7_T9_mT8_P12ihipStream_tbDpT10_ENKUlT_T0_E_clISt17integral_constantIbLb0EES1C_IbLb1EEEEDaS18_S19_EUlS18_E_NS1_11comp_targetILNS1_3genE5ELNS1_11target_archE942ELNS1_3gpuE9ELNS1_3repE0EEENS1_30default_config_static_selectorELNS0_4arch9wavefront6targetE0EEEvT1_.has_indirect_call, 0
	.section	.AMDGPU.csdata,"",@progbits
; Kernel info:
; codeLenInByte = 0
; TotalNumSgprs: 0
; NumVgprs: 0
; ScratchSize: 0
; MemoryBound: 0
; FloatMode: 240
; IeeeMode: 1
; LDSByteSize: 0 bytes/workgroup (compile time only)
; SGPRBlocks: 0
; VGPRBlocks: 0
; NumSGPRsForWavesPerEU: 1
; NumVGPRsForWavesPerEU: 1
; Occupancy: 16
; WaveLimiterHint : 0
; COMPUTE_PGM_RSRC2:SCRATCH_EN: 0
; COMPUTE_PGM_RSRC2:USER_SGPR: 2
; COMPUTE_PGM_RSRC2:TRAP_HANDLER: 0
; COMPUTE_PGM_RSRC2:TGID_X_EN: 1
; COMPUTE_PGM_RSRC2:TGID_Y_EN: 0
; COMPUTE_PGM_RSRC2:TGID_Z_EN: 0
; COMPUTE_PGM_RSRC2:TIDIG_COMP_CNT: 0
	.section	.text._ZN7rocprim17ROCPRIM_400000_NS6detail17trampoline_kernelINS0_14default_configENS1_25partition_config_selectorILNS1_17partition_subalgoE5EiNS0_10empty_typeEbEEZZNS1_14partition_implILS5_5ELb0ES3_mN6thrust23THRUST_200600_302600_NS6detail15normal_iteratorINSA_10device_ptrIiEEEEPS6_NSA_18transform_iteratorINSB_9not_fun_tI7is_trueIiEEENSC_INSD_IbEEEENSA_11use_defaultESO_EENS0_5tupleIJSF_S6_EEENSQ_IJSG_SG_EEES6_PlJS6_EEE10hipError_tPvRmT3_T4_T5_T6_T7_T9_mT8_P12ihipStream_tbDpT10_ENKUlT_T0_E_clISt17integral_constantIbLb0EES1C_IbLb1EEEEDaS18_S19_EUlS18_E_NS1_11comp_targetILNS1_3genE4ELNS1_11target_archE910ELNS1_3gpuE8ELNS1_3repE0EEENS1_30default_config_static_selectorELNS0_4arch9wavefront6targetE0EEEvT1_,"axG",@progbits,_ZN7rocprim17ROCPRIM_400000_NS6detail17trampoline_kernelINS0_14default_configENS1_25partition_config_selectorILNS1_17partition_subalgoE5EiNS0_10empty_typeEbEEZZNS1_14partition_implILS5_5ELb0ES3_mN6thrust23THRUST_200600_302600_NS6detail15normal_iteratorINSA_10device_ptrIiEEEEPS6_NSA_18transform_iteratorINSB_9not_fun_tI7is_trueIiEEENSC_INSD_IbEEEENSA_11use_defaultESO_EENS0_5tupleIJSF_S6_EEENSQ_IJSG_SG_EEES6_PlJS6_EEE10hipError_tPvRmT3_T4_T5_T6_T7_T9_mT8_P12ihipStream_tbDpT10_ENKUlT_T0_E_clISt17integral_constantIbLb0EES1C_IbLb1EEEEDaS18_S19_EUlS18_E_NS1_11comp_targetILNS1_3genE4ELNS1_11target_archE910ELNS1_3gpuE8ELNS1_3repE0EEENS1_30default_config_static_selectorELNS0_4arch9wavefront6targetE0EEEvT1_,comdat
	.protected	_ZN7rocprim17ROCPRIM_400000_NS6detail17trampoline_kernelINS0_14default_configENS1_25partition_config_selectorILNS1_17partition_subalgoE5EiNS0_10empty_typeEbEEZZNS1_14partition_implILS5_5ELb0ES3_mN6thrust23THRUST_200600_302600_NS6detail15normal_iteratorINSA_10device_ptrIiEEEEPS6_NSA_18transform_iteratorINSB_9not_fun_tI7is_trueIiEEENSC_INSD_IbEEEENSA_11use_defaultESO_EENS0_5tupleIJSF_S6_EEENSQ_IJSG_SG_EEES6_PlJS6_EEE10hipError_tPvRmT3_T4_T5_T6_T7_T9_mT8_P12ihipStream_tbDpT10_ENKUlT_T0_E_clISt17integral_constantIbLb0EES1C_IbLb1EEEEDaS18_S19_EUlS18_E_NS1_11comp_targetILNS1_3genE4ELNS1_11target_archE910ELNS1_3gpuE8ELNS1_3repE0EEENS1_30default_config_static_selectorELNS0_4arch9wavefront6targetE0EEEvT1_ ; -- Begin function _ZN7rocprim17ROCPRIM_400000_NS6detail17trampoline_kernelINS0_14default_configENS1_25partition_config_selectorILNS1_17partition_subalgoE5EiNS0_10empty_typeEbEEZZNS1_14partition_implILS5_5ELb0ES3_mN6thrust23THRUST_200600_302600_NS6detail15normal_iteratorINSA_10device_ptrIiEEEEPS6_NSA_18transform_iteratorINSB_9not_fun_tI7is_trueIiEEENSC_INSD_IbEEEENSA_11use_defaultESO_EENS0_5tupleIJSF_S6_EEENSQ_IJSG_SG_EEES6_PlJS6_EEE10hipError_tPvRmT3_T4_T5_T6_T7_T9_mT8_P12ihipStream_tbDpT10_ENKUlT_T0_E_clISt17integral_constantIbLb0EES1C_IbLb1EEEEDaS18_S19_EUlS18_E_NS1_11comp_targetILNS1_3genE4ELNS1_11target_archE910ELNS1_3gpuE8ELNS1_3repE0EEENS1_30default_config_static_selectorELNS0_4arch9wavefront6targetE0EEEvT1_
	.globl	_ZN7rocprim17ROCPRIM_400000_NS6detail17trampoline_kernelINS0_14default_configENS1_25partition_config_selectorILNS1_17partition_subalgoE5EiNS0_10empty_typeEbEEZZNS1_14partition_implILS5_5ELb0ES3_mN6thrust23THRUST_200600_302600_NS6detail15normal_iteratorINSA_10device_ptrIiEEEEPS6_NSA_18transform_iteratorINSB_9not_fun_tI7is_trueIiEEENSC_INSD_IbEEEENSA_11use_defaultESO_EENS0_5tupleIJSF_S6_EEENSQ_IJSG_SG_EEES6_PlJS6_EEE10hipError_tPvRmT3_T4_T5_T6_T7_T9_mT8_P12ihipStream_tbDpT10_ENKUlT_T0_E_clISt17integral_constantIbLb0EES1C_IbLb1EEEEDaS18_S19_EUlS18_E_NS1_11comp_targetILNS1_3genE4ELNS1_11target_archE910ELNS1_3gpuE8ELNS1_3repE0EEENS1_30default_config_static_selectorELNS0_4arch9wavefront6targetE0EEEvT1_
	.p2align	8
	.type	_ZN7rocprim17ROCPRIM_400000_NS6detail17trampoline_kernelINS0_14default_configENS1_25partition_config_selectorILNS1_17partition_subalgoE5EiNS0_10empty_typeEbEEZZNS1_14partition_implILS5_5ELb0ES3_mN6thrust23THRUST_200600_302600_NS6detail15normal_iteratorINSA_10device_ptrIiEEEEPS6_NSA_18transform_iteratorINSB_9not_fun_tI7is_trueIiEEENSC_INSD_IbEEEENSA_11use_defaultESO_EENS0_5tupleIJSF_S6_EEENSQ_IJSG_SG_EEES6_PlJS6_EEE10hipError_tPvRmT3_T4_T5_T6_T7_T9_mT8_P12ihipStream_tbDpT10_ENKUlT_T0_E_clISt17integral_constantIbLb0EES1C_IbLb1EEEEDaS18_S19_EUlS18_E_NS1_11comp_targetILNS1_3genE4ELNS1_11target_archE910ELNS1_3gpuE8ELNS1_3repE0EEENS1_30default_config_static_selectorELNS0_4arch9wavefront6targetE0EEEvT1_,@function
_ZN7rocprim17ROCPRIM_400000_NS6detail17trampoline_kernelINS0_14default_configENS1_25partition_config_selectorILNS1_17partition_subalgoE5EiNS0_10empty_typeEbEEZZNS1_14partition_implILS5_5ELb0ES3_mN6thrust23THRUST_200600_302600_NS6detail15normal_iteratorINSA_10device_ptrIiEEEEPS6_NSA_18transform_iteratorINSB_9not_fun_tI7is_trueIiEEENSC_INSD_IbEEEENSA_11use_defaultESO_EENS0_5tupleIJSF_S6_EEENSQ_IJSG_SG_EEES6_PlJS6_EEE10hipError_tPvRmT3_T4_T5_T6_T7_T9_mT8_P12ihipStream_tbDpT10_ENKUlT_T0_E_clISt17integral_constantIbLb0EES1C_IbLb1EEEEDaS18_S19_EUlS18_E_NS1_11comp_targetILNS1_3genE4ELNS1_11target_archE910ELNS1_3gpuE8ELNS1_3repE0EEENS1_30default_config_static_selectorELNS0_4arch9wavefront6targetE0EEEvT1_: ; @_ZN7rocprim17ROCPRIM_400000_NS6detail17trampoline_kernelINS0_14default_configENS1_25partition_config_selectorILNS1_17partition_subalgoE5EiNS0_10empty_typeEbEEZZNS1_14partition_implILS5_5ELb0ES3_mN6thrust23THRUST_200600_302600_NS6detail15normal_iteratorINSA_10device_ptrIiEEEEPS6_NSA_18transform_iteratorINSB_9not_fun_tI7is_trueIiEEENSC_INSD_IbEEEENSA_11use_defaultESO_EENS0_5tupleIJSF_S6_EEENSQ_IJSG_SG_EEES6_PlJS6_EEE10hipError_tPvRmT3_T4_T5_T6_T7_T9_mT8_P12ihipStream_tbDpT10_ENKUlT_T0_E_clISt17integral_constantIbLb0EES1C_IbLb1EEEEDaS18_S19_EUlS18_E_NS1_11comp_targetILNS1_3genE4ELNS1_11target_archE910ELNS1_3gpuE8ELNS1_3repE0EEENS1_30default_config_static_selectorELNS0_4arch9wavefront6targetE0EEEvT1_
; %bb.0:
	.section	.rodata,"a",@progbits
	.p2align	6, 0x0
	.amdhsa_kernel _ZN7rocprim17ROCPRIM_400000_NS6detail17trampoline_kernelINS0_14default_configENS1_25partition_config_selectorILNS1_17partition_subalgoE5EiNS0_10empty_typeEbEEZZNS1_14partition_implILS5_5ELb0ES3_mN6thrust23THRUST_200600_302600_NS6detail15normal_iteratorINSA_10device_ptrIiEEEEPS6_NSA_18transform_iteratorINSB_9not_fun_tI7is_trueIiEEENSC_INSD_IbEEEENSA_11use_defaultESO_EENS0_5tupleIJSF_S6_EEENSQ_IJSG_SG_EEES6_PlJS6_EEE10hipError_tPvRmT3_T4_T5_T6_T7_T9_mT8_P12ihipStream_tbDpT10_ENKUlT_T0_E_clISt17integral_constantIbLb0EES1C_IbLb1EEEEDaS18_S19_EUlS18_E_NS1_11comp_targetILNS1_3genE4ELNS1_11target_archE910ELNS1_3gpuE8ELNS1_3repE0EEENS1_30default_config_static_selectorELNS0_4arch9wavefront6targetE0EEEvT1_
		.amdhsa_group_segment_fixed_size 0
		.amdhsa_private_segment_fixed_size 0
		.amdhsa_kernarg_size 136
		.amdhsa_user_sgpr_count 2
		.amdhsa_user_sgpr_dispatch_ptr 0
		.amdhsa_user_sgpr_queue_ptr 0
		.amdhsa_user_sgpr_kernarg_segment_ptr 1
		.amdhsa_user_sgpr_dispatch_id 0
		.amdhsa_user_sgpr_private_segment_size 0
		.amdhsa_wavefront_size32 1
		.amdhsa_uses_dynamic_stack 0
		.amdhsa_enable_private_segment 0
		.amdhsa_system_sgpr_workgroup_id_x 1
		.amdhsa_system_sgpr_workgroup_id_y 0
		.amdhsa_system_sgpr_workgroup_id_z 0
		.amdhsa_system_sgpr_workgroup_info 0
		.amdhsa_system_vgpr_workitem_id 0
		.amdhsa_next_free_vgpr 1
		.amdhsa_next_free_sgpr 1
		.amdhsa_reserve_vcc 0
		.amdhsa_float_round_mode_32 0
		.amdhsa_float_round_mode_16_64 0
		.amdhsa_float_denorm_mode_32 3
		.amdhsa_float_denorm_mode_16_64 3
		.amdhsa_fp16_overflow 0
		.amdhsa_workgroup_processor_mode 1
		.amdhsa_memory_ordered 1
		.amdhsa_forward_progress 1
		.amdhsa_inst_pref_size 0
		.amdhsa_round_robin_scheduling 0
		.amdhsa_exception_fp_ieee_invalid_op 0
		.amdhsa_exception_fp_denorm_src 0
		.amdhsa_exception_fp_ieee_div_zero 0
		.amdhsa_exception_fp_ieee_overflow 0
		.amdhsa_exception_fp_ieee_underflow 0
		.amdhsa_exception_fp_ieee_inexact 0
		.amdhsa_exception_int_div_zero 0
	.end_amdhsa_kernel
	.section	.text._ZN7rocprim17ROCPRIM_400000_NS6detail17trampoline_kernelINS0_14default_configENS1_25partition_config_selectorILNS1_17partition_subalgoE5EiNS0_10empty_typeEbEEZZNS1_14partition_implILS5_5ELb0ES3_mN6thrust23THRUST_200600_302600_NS6detail15normal_iteratorINSA_10device_ptrIiEEEEPS6_NSA_18transform_iteratorINSB_9not_fun_tI7is_trueIiEEENSC_INSD_IbEEEENSA_11use_defaultESO_EENS0_5tupleIJSF_S6_EEENSQ_IJSG_SG_EEES6_PlJS6_EEE10hipError_tPvRmT3_T4_T5_T6_T7_T9_mT8_P12ihipStream_tbDpT10_ENKUlT_T0_E_clISt17integral_constantIbLb0EES1C_IbLb1EEEEDaS18_S19_EUlS18_E_NS1_11comp_targetILNS1_3genE4ELNS1_11target_archE910ELNS1_3gpuE8ELNS1_3repE0EEENS1_30default_config_static_selectorELNS0_4arch9wavefront6targetE0EEEvT1_,"axG",@progbits,_ZN7rocprim17ROCPRIM_400000_NS6detail17trampoline_kernelINS0_14default_configENS1_25partition_config_selectorILNS1_17partition_subalgoE5EiNS0_10empty_typeEbEEZZNS1_14partition_implILS5_5ELb0ES3_mN6thrust23THRUST_200600_302600_NS6detail15normal_iteratorINSA_10device_ptrIiEEEEPS6_NSA_18transform_iteratorINSB_9not_fun_tI7is_trueIiEEENSC_INSD_IbEEEENSA_11use_defaultESO_EENS0_5tupleIJSF_S6_EEENSQ_IJSG_SG_EEES6_PlJS6_EEE10hipError_tPvRmT3_T4_T5_T6_T7_T9_mT8_P12ihipStream_tbDpT10_ENKUlT_T0_E_clISt17integral_constantIbLb0EES1C_IbLb1EEEEDaS18_S19_EUlS18_E_NS1_11comp_targetILNS1_3genE4ELNS1_11target_archE910ELNS1_3gpuE8ELNS1_3repE0EEENS1_30default_config_static_selectorELNS0_4arch9wavefront6targetE0EEEvT1_,comdat
.Lfunc_end2551:
	.size	_ZN7rocprim17ROCPRIM_400000_NS6detail17trampoline_kernelINS0_14default_configENS1_25partition_config_selectorILNS1_17partition_subalgoE5EiNS0_10empty_typeEbEEZZNS1_14partition_implILS5_5ELb0ES3_mN6thrust23THRUST_200600_302600_NS6detail15normal_iteratorINSA_10device_ptrIiEEEEPS6_NSA_18transform_iteratorINSB_9not_fun_tI7is_trueIiEEENSC_INSD_IbEEEENSA_11use_defaultESO_EENS0_5tupleIJSF_S6_EEENSQ_IJSG_SG_EEES6_PlJS6_EEE10hipError_tPvRmT3_T4_T5_T6_T7_T9_mT8_P12ihipStream_tbDpT10_ENKUlT_T0_E_clISt17integral_constantIbLb0EES1C_IbLb1EEEEDaS18_S19_EUlS18_E_NS1_11comp_targetILNS1_3genE4ELNS1_11target_archE910ELNS1_3gpuE8ELNS1_3repE0EEENS1_30default_config_static_selectorELNS0_4arch9wavefront6targetE0EEEvT1_, .Lfunc_end2551-_ZN7rocprim17ROCPRIM_400000_NS6detail17trampoline_kernelINS0_14default_configENS1_25partition_config_selectorILNS1_17partition_subalgoE5EiNS0_10empty_typeEbEEZZNS1_14partition_implILS5_5ELb0ES3_mN6thrust23THRUST_200600_302600_NS6detail15normal_iteratorINSA_10device_ptrIiEEEEPS6_NSA_18transform_iteratorINSB_9not_fun_tI7is_trueIiEEENSC_INSD_IbEEEENSA_11use_defaultESO_EENS0_5tupleIJSF_S6_EEENSQ_IJSG_SG_EEES6_PlJS6_EEE10hipError_tPvRmT3_T4_T5_T6_T7_T9_mT8_P12ihipStream_tbDpT10_ENKUlT_T0_E_clISt17integral_constantIbLb0EES1C_IbLb1EEEEDaS18_S19_EUlS18_E_NS1_11comp_targetILNS1_3genE4ELNS1_11target_archE910ELNS1_3gpuE8ELNS1_3repE0EEENS1_30default_config_static_selectorELNS0_4arch9wavefront6targetE0EEEvT1_
                                        ; -- End function
	.set _ZN7rocprim17ROCPRIM_400000_NS6detail17trampoline_kernelINS0_14default_configENS1_25partition_config_selectorILNS1_17partition_subalgoE5EiNS0_10empty_typeEbEEZZNS1_14partition_implILS5_5ELb0ES3_mN6thrust23THRUST_200600_302600_NS6detail15normal_iteratorINSA_10device_ptrIiEEEEPS6_NSA_18transform_iteratorINSB_9not_fun_tI7is_trueIiEEENSC_INSD_IbEEEENSA_11use_defaultESO_EENS0_5tupleIJSF_S6_EEENSQ_IJSG_SG_EEES6_PlJS6_EEE10hipError_tPvRmT3_T4_T5_T6_T7_T9_mT8_P12ihipStream_tbDpT10_ENKUlT_T0_E_clISt17integral_constantIbLb0EES1C_IbLb1EEEEDaS18_S19_EUlS18_E_NS1_11comp_targetILNS1_3genE4ELNS1_11target_archE910ELNS1_3gpuE8ELNS1_3repE0EEENS1_30default_config_static_selectorELNS0_4arch9wavefront6targetE0EEEvT1_.num_vgpr, 0
	.set _ZN7rocprim17ROCPRIM_400000_NS6detail17trampoline_kernelINS0_14default_configENS1_25partition_config_selectorILNS1_17partition_subalgoE5EiNS0_10empty_typeEbEEZZNS1_14partition_implILS5_5ELb0ES3_mN6thrust23THRUST_200600_302600_NS6detail15normal_iteratorINSA_10device_ptrIiEEEEPS6_NSA_18transform_iteratorINSB_9not_fun_tI7is_trueIiEEENSC_INSD_IbEEEENSA_11use_defaultESO_EENS0_5tupleIJSF_S6_EEENSQ_IJSG_SG_EEES6_PlJS6_EEE10hipError_tPvRmT3_T4_T5_T6_T7_T9_mT8_P12ihipStream_tbDpT10_ENKUlT_T0_E_clISt17integral_constantIbLb0EES1C_IbLb1EEEEDaS18_S19_EUlS18_E_NS1_11comp_targetILNS1_3genE4ELNS1_11target_archE910ELNS1_3gpuE8ELNS1_3repE0EEENS1_30default_config_static_selectorELNS0_4arch9wavefront6targetE0EEEvT1_.num_agpr, 0
	.set _ZN7rocprim17ROCPRIM_400000_NS6detail17trampoline_kernelINS0_14default_configENS1_25partition_config_selectorILNS1_17partition_subalgoE5EiNS0_10empty_typeEbEEZZNS1_14partition_implILS5_5ELb0ES3_mN6thrust23THRUST_200600_302600_NS6detail15normal_iteratorINSA_10device_ptrIiEEEEPS6_NSA_18transform_iteratorINSB_9not_fun_tI7is_trueIiEEENSC_INSD_IbEEEENSA_11use_defaultESO_EENS0_5tupleIJSF_S6_EEENSQ_IJSG_SG_EEES6_PlJS6_EEE10hipError_tPvRmT3_T4_T5_T6_T7_T9_mT8_P12ihipStream_tbDpT10_ENKUlT_T0_E_clISt17integral_constantIbLb0EES1C_IbLb1EEEEDaS18_S19_EUlS18_E_NS1_11comp_targetILNS1_3genE4ELNS1_11target_archE910ELNS1_3gpuE8ELNS1_3repE0EEENS1_30default_config_static_selectorELNS0_4arch9wavefront6targetE0EEEvT1_.numbered_sgpr, 0
	.set _ZN7rocprim17ROCPRIM_400000_NS6detail17trampoline_kernelINS0_14default_configENS1_25partition_config_selectorILNS1_17partition_subalgoE5EiNS0_10empty_typeEbEEZZNS1_14partition_implILS5_5ELb0ES3_mN6thrust23THRUST_200600_302600_NS6detail15normal_iteratorINSA_10device_ptrIiEEEEPS6_NSA_18transform_iteratorINSB_9not_fun_tI7is_trueIiEEENSC_INSD_IbEEEENSA_11use_defaultESO_EENS0_5tupleIJSF_S6_EEENSQ_IJSG_SG_EEES6_PlJS6_EEE10hipError_tPvRmT3_T4_T5_T6_T7_T9_mT8_P12ihipStream_tbDpT10_ENKUlT_T0_E_clISt17integral_constantIbLb0EES1C_IbLb1EEEEDaS18_S19_EUlS18_E_NS1_11comp_targetILNS1_3genE4ELNS1_11target_archE910ELNS1_3gpuE8ELNS1_3repE0EEENS1_30default_config_static_selectorELNS0_4arch9wavefront6targetE0EEEvT1_.num_named_barrier, 0
	.set _ZN7rocprim17ROCPRIM_400000_NS6detail17trampoline_kernelINS0_14default_configENS1_25partition_config_selectorILNS1_17partition_subalgoE5EiNS0_10empty_typeEbEEZZNS1_14partition_implILS5_5ELb0ES3_mN6thrust23THRUST_200600_302600_NS6detail15normal_iteratorINSA_10device_ptrIiEEEEPS6_NSA_18transform_iteratorINSB_9not_fun_tI7is_trueIiEEENSC_INSD_IbEEEENSA_11use_defaultESO_EENS0_5tupleIJSF_S6_EEENSQ_IJSG_SG_EEES6_PlJS6_EEE10hipError_tPvRmT3_T4_T5_T6_T7_T9_mT8_P12ihipStream_tbDpT10_ENKUlT_T0_E_clISt17integral_constantIbLb0EES1C_IbLb1EEEEDaS18_S19_EUlS18_E_NS1_11comp_targetILNS1_3genE4ELNS1_11target_archE910ELNS1_3gpuE8ELNS1_3repE0EEENS1_30default_config_static_selectorELNS0_4arch9wavefront6targetE0EEEvT1_.private_seg_size, 0
	.set _ZN7rocprim17ROCPRIM_400000_NS6detail17trampoline_kernelINS0_14default_configENS1_25partition_config_selectorILNS1_17partition_subalgoE5EiNS0_10empty_typeEbEEZZNS1_14partition_implILS5_5ELb0ES3_mN6thrust23THRUST_200600_302600_NS6detail15normal_iteratorINSA_10device_ptrIiEEEEPS6_NSA_18transform_iteratorINSB_9not_fun_tI7is_trueIiEEENSC_INSD_IbEEEENSA_11use_defaultESO_EENS0_5tupleIJSF_S6_EEENSQ_IJSG_SG_EEES6_PlJS6_EEE10hipError_tPvRmT3_T4_T5_T6_T7_T9_mT8_P12ihipStream_tbDpT10_ENKUlT_T0_E_clISt17integral_constantIbLb0EES1C_IbLb1EEEEDaS18_S19_EUlS18_E_NS1_11comp_targetILNS1_3genE4ELNS1_11target_archE910ELNS1_3gpuE8ELNS1_3repE0EEENS1_30default_config_static_selectorELNS0_4arch9wavefront6targetE0EEEvT1_.uses_vcc, 0
	.set _ZN7rocprim17ROCPRIM_400000_NS6detail17trampoline_kernelINS0_14default_configENS1_25partition_config_selectorILNS1_17partition_subalgoE5EiNS0_10empty_typeEbEEZZNS1_14partition_implILS5_5ELb0ES3_mN6thrust23THRUST_200600_302600_NS6detail15normal_iteratorINSA_10device_ptrIiEEEEPS6_NSA_18transform_iteratorINSB_9not_fun_tI7is_trueIiEEENSC_INSD_IbEEEENSA_11use_defaultESO_EENS0_5tupleIJSF_S6_EEENSQ_IJSG_SG_EEES6_PlJS6_EEE10hipError_tPvRmT3_T4_T5_T6_T7_T9_mT8_P12ihipStream_tbDpT10_ENKUlT_T0_E_clISt17integral_constantIbLb0EES1C_IbLb1EEEEDaS18_S19_EUlS18_E_NS1_11comp_targetILNS1_3genE4ELNS1_11target_archE910ELNS1_3gpuE8ELNS1_3repE0EEENS1_30default_config_static_selectorELNS0_4arch9wavefront6targetE0EEEvT1_.uses_flat_scratch, 0
	.set _ZN7rocprim17ROCPRIM_400000_NS6detail17trampoline_kernelINS0_14default_configENS1_25partition_config_selectorILNS1_17partition_subalgoE5EiNS0_10empty_typeEbEEZZNS1_14partition_implILS5_5ELb0ES3_mN6thrust23THRUST_200600_302600_NS6detail15normal_iteratorINSA_10device_ptrIiEEEEPS6_NSA_18transform_iteratorINSB_9not_fun_tI7is_trueIiEEENSC_INSD_IbEEEENSA_11use_defaultESO_EENS0_5tupleIJSF_S6_EEENSQ_IJSG_SG_EEES6_PlJS6_EEE10hipError_tPvRmT3_T4_T5_T6_T7_T9_mT8_P12ihipStream_tbDpT10_ENKUlT_T0_E_clISt17integral_constantIbLb0EES1C_IbLb1EEEEDaS18_S19_EUlS18_E_NS1_11comp_targetILNS1_3genE4ELNS1_11target_archE910ELNS1_3gpuE8ELNS1_3repE0EEENS1_30default_config_static_selectorELNS0_4arch9wavefront6targetE0EEEvT1_.has_dyn_sized_stack, 0
	.set _ZN7rocprim17ROCPRIM_400000_NS6detail17trampoline_kernelINS0_14default_configENS1_25partition_config_selectorILNS1_17partition_subalgoE5EiNS0_10empty_typeEbEEZZNS1_14partition_implILS5_5ELb0ES3_mN6thrust23THRUST_200600_302600_NS6detail15normal_iteratorINSA_10device_ptrIiEEEEPS6_NSA_18transform_iteratorINSB_9not_fun_tI7is_trueIiEEENSC_INSD_IbEEEENSA_11use_defaultESO_EENS0_5tupleIJSF_S6_EEENSQ_IJSG_SG_EEES6_PlJS6_EEE10hipError_tPvRmT3_T4_T5_T6_T7_T9_mT8_P12ihipStream_tbDpT10_ENKUlT_T0_E_clISt17integral_constantIbLb0EES1C_IbLb1EEEEDaS18_S19_EUlS18_E_NS1_11comp_targetILNS1_3genE4ELNS1_11target_archE910ELNS1_3gpuE8ELNS1_3repE0EEENS1_30default_config_static_selectorELNS0_4arch9wavefront6targetE0EEEvT1_.has_recursion, 0
	.set _ZN7rocprim17ROCPRIM_400000_NS6detail17trampoline_kernelINS0_14default_configENS1_25partition_config_selectorILNS1_17partition_subalgoE5EiNS0_10empty_typeEbEEZZNS1_14partition_implILS5_5ELb0ES3_mN6thrust23THRUST_200600_302600_NS6detail15normal_iteratorINSA_10device_ptrIiEEEEPS6_NSA_18transform_iteratorINSB_9not_fun_tI7is_trueIiEEENSC_INSD_IbEEEENSA_11use_defaultESO_EENS0_5tupleIJSF_S6_EEENSQ_IJSG_SG_EEES6_PlJS6_EEE10hipError_tPvRmT3_T4_T5_T6_T7_T9_mT8_P12ihipStream_tbDpT10_ENKUlT_T0_E_clISt17integral_constantIbLb0EES1C_IbLb1EEEEDaS18_S19_EUlS18_E_NS1_11comp_targetILNS1_3genE4ELNS1_11target_archE910ELNS1_3gpuE8ELNS1_3repE0EEENS1_30default_config_static_selectorELNS0_4arch9wavefront6targetE0EEEvT1_.has_indirect_call, 0
	.section	.AMDGPU.csdata,"",@progbits
; Kernel info:
; codeLenInByte = 0
; TotalNumSgprs: 0
; NumVgprs: 0
; ScratchSize: 0
; MemoryBound: 0
; FloatMode: 240
; IeeeMode: 1
; LDSByteSize: 0 bytes/workgroup (compile time only)
; SGPRBlocks: 0
; VGPRBlocks: 0
; NumSGPRsForWavesPerEU: 1
; NumVGPRsForWavesPerEU: 1
; Occupancy: 16
; WaveLimiterHint : 0
; COMPUTE_PGM_RSRC2:SCRATCH_EN: 0
; COMPUTE_PGM_RSRC2:USER_SGPR: 2
; COMPUTE_PGM_RSRC2:TRAP_HANDLER: 0
; COMPUTE_PGM_RSRC2:TGID_X_EN: 1
; COMPUTE_PGM_RSRC2:TGID_Y_EN: 0
; COMPUTE_PGM_RSRC2:TGID_Z_EN: 0
; COMPUTE_PGM_RSRC2:TIDIG_COMP_CNT: 0
	.section	.text._ZN7rocprim17ROCPRIM_400000_NS6detail17trampoline_kernelINS0_14default_configENS1_25partition_config_selectorILNS1_17partition_subalgoE5EiNS0_10empty_typeEbEEZZNS1_14partition_implILS5_5ELb0ES3_mN6thrust23THRUST_200600_302600_NS6detail15normal_iteratorINSA_10device_ptrIiEEEEPS6_NSA_18transform_iteratorINSB_9not_fun_tI7is_trueIiEEENSC_INSD_IbEEEENSA_11use_defaultESO_EENS0_5tupleIJSF_S6_EEENSQ_IJSG_SG_EEES6_PlJS6_EEE10hipError_tPvRmT3_T4_T5_T6_T7_T9_mT8_P12ihipStream_tbDpT10_ENKUlT_T0_E_clISt17integral_constantIbLb0EES1C_IbLb1EEEEDaS18_S19_EUlS18_E_NS1_11comp_targetILNS1_3genE3ELNS1_11target_archE908ELNS1_3gpuE7ELNS1_3repE0EEENS1_30default_config_static_selectorELNS0_4arch9wavefront6targetE0EEEvT1_,"axG",@progbits,_ZN7rocprim17ROCPRIM_400000_NS6detail17trampoline_kernelINS0_14default_configENS1_25partition_config_selectorILNS1_17partition_subalgoE5EiNS0_10empty_typeEbEEZZNS1_14partition_implILS5_5ELb0ES3_mN6thrust23THRUST_200600_302600_NS6detail15normal_iteratorINSA_10device_ptrIiEEEEPS6_NSA_18transform_iteratorINSB_9not_fun_tI7is_trueIiEEENSC_INSD_IbEEEENSA_11use_defaultESO_EENS0_5tupleIJSF_S6_EEENSQ_IJSG_SG_EEES6_PlJS6_EEE10hipError_tPvRmT3_T4_T5_T6_T7_T9_mT8_P12ihipStream_tbDpT10_ENKUlT_T0_E_clISt17integral_constantIbLb0EES1C_IbLb1EEEEDaS18_S19_EUlS18_E_NS1_11comp_targetILNS1_3genE3ELNS1_11target_archE908ELNS1_3gpuE7ELNS1_3repE0EEENS1_30default_config_static_selectorELNS0_4arch9wavefront6targetE0EEEvT1_,comdat
	.protected	_ZN7rocprim17ROCPRIM_400000_NS6detail17trampoline_kernelINS0_14default_configENS1_25partition_config_selectorILNS1_17partition_subalgoE5EiNS0_10empty_typeEbEEZZNS1_14partition_implILS5_5ELb0ES3_mN6thrust23THRUST_200600_302600_NS6detail15normal_iteratorINSA_10device_ptrIiEEEEPS6_NSA_18transform_iteratorINSB_9not_fun_tI7is_trueIiEEENSC_INSD_IbEEEENSA_11use_defaultESO_EENS0_5tupleIJSF_S6_EEENSQ_IJSG_SG_EEES6_PlJS6_EEE10hipError_tPvRmT3_T4_T5_T6_T7_T9_mT8_P12ihipStream_tbDpT10_ENKUlT_T0_E_clISt17integral_constantIbLb0EES1C_IbLb1EEEEDaS18_S19_EUlS18_E_NS1_11comp_targetILNS1_3genE3ELNS1_11target_archE908ELNS1_3gpuE7ELNS1_3repE0EEENS1_30default_config_static_selectorELNS0_4arch9wavefront6targetE0EEEvT1_ ; -- Begin function _ZN7rocprim17ROCPRIM_400000_NS6detail17trampoline_kernelINS0_14default_configENS1_25partition_config_selectorILNS1_17partition_subalgoE5EiNS0_10empty_typeEbEEZZNS1_14partition_implILS5_5ELb0ES3_mN6thrust23THRUST_200600_302600_NS6detail15normal_iteratorINSA_10device_ptrIiEEEEPS6_NSA_18transform_iteratorINSB_9not_fun_tI7is_trueIiEEENSC_INSD_IbEEEENSA_11use_defaultESO_EENS0_5tupleIJSF_S6_EEENSQ_IJSG_SG_EEES6_PlJS6_EEE10hipError_tPvRmT3_T4_T5_T6_T7_T9_mT8_P12ihipStream_tbDpT10_ENKUlT_T0_E_clISt17integral_constantIbLb0EES1C_IbLb1EEEEDaS18_S19_EUlS18_E_NS1_11comp_targetILNS1_3genE3ELNS1_11target_archE908ELNS1_3gpuE7ELNS1_3repE0EEENS1_30default_config_static_selectorELNS0_4arch9wavefront6targetE0EEEvT1_
	.globl	_ZN7rocprim17ROCPRIM_400000_NS6detail17trampoline_kernelINS0_14default_configENS1_25partition_config_selectorILNS1_17partition_subalgoE5EiNS0_10empty_typeEbEEZZNS1_14partition_implILS5_5ELb0ES3_mN6thrust23THRUST_200600_302600_NS6detail15normal_iteratorINSA_10device_ptrIiEEEEPS6_NSA_18transform_iteratorINSB_9not_fun_tI7is_trueIiEEENSC_INSD_IbEEEENSA_11use_defaultESO_EENS0_5tupleIJSF_S6_EEENSQ_IJSG_SG_EEES6_PlJS6_EEE10hipError_tPvRmT3_T4_T5_T6_T7_T9_mT8_P12ihipStream_tbDpT10_ENKUlT_T0_E_clISt17integral_constantIbLb0EES1C_IbLb1EEEEDaS18_S19_EUlS18_E_NS1_11comp_targetILNS1_3genE3ELNS1_11target_archE908ELNS1_3gpuE7ELNS1_3repE0EEENS1_30default_config_static_selectorELNS0_4arch9wavefront6targetE0EEEvT1_
	.p2align	8
	.type	_ZN7rocprim17ROCPRIM_400000_NS6detail17trampoline_kernelINS0_14default_configENS1_25partition_config_selectorILNS1_17partition_subalgoE5EiNS0_10empty_typeEbEEZZNS1_14partition_implILS5_5ELb0ES3_mN6thrust23THRUST_200600_302600_NS6detail15normal_iteratorINSA_10device_ptrIiEEEEPS6_NSA_18transform_iteratorINSB_9not_fun_tI7is_trueIiEEENSC_INSD_IbEEEENSA_11use_defaultESO_EENS0_5tupleIJSF_S6_EEENSQ_IJSG_SG_EEES6_PlJS6_EEE10hipError_tPvRmT3_T4_T5_T6_T7_T9_mT8_P12ihipStream_tbDpT10_ENKUlT_T0_E_clISt17integral_constantIbLb0EES1C_IbLb1EEEEDaS18_S19_EUlS18_E_NS1_11comp_targetILNS1_3genE3ELNS1_11target_archE908ELNS1_3gpuE7ELNS1_3repE0EEENS1_30default_config_static_selectorELNS0_4arch9wavefront6targetE0EEEvT1_,@function
_ZN7rocprim17ROCPRIM_400000_NS6detail17trampoline_kernelINS0_14default_configENS1_25partition_config_selectorILNS1_17partition_subalgoE5EiNS0_10empty_typeEbEEZZNS1_14partition_implILS5_5ELb0ES3_mN6thrust23THRUST_200600_302600_NS6detail15normal_iteratorINSA_10device_ptrIiEEEEPS6_NSA_18transform_iteratorINSB_9not_fun_tI7is_trueIiEEENSC_INSD_IbEEEENSA_11use_defaultESO_EENS0_5tupleIJSF_S6_EEENSQ_IJSG_SG_EEES6_PlJS6_EEE10hipError_tPvRmT3_T4_T5_T6_T7_T9_mT8_P12ihipStream_tbDpT10_ENKUlT_T0_E_clISt17integral_constantIbLb0EES1C_IbLb1EEEEDaS18_S19_EUlS18_E_NS1_11comp_targetILNS1_3genE3ELNS1_11target_archE908ELNS1_3gpuE7ELNS1_3repE0EEENS1_30default_config_static_selectorELNS0_4arch9wavefront6targetE0EEEvT1_: ; @_ZN7rocprim17ROCPRIM_400000_NS6detail17trampoline_kernelINS0_14default_configENS1_25partition_config_selectorILNS1_17partition_subalgoE5EiNS0_10empty_typeEbEEZZNS1_14partition_implILS5_5ELb0ES3_mN6thrust23THRUST_200600_302600_NS6detail15normal_iteratorINSA_10device_ptrIiEEEEPS6_NSA_18transform_iteratorINSB_9not_fun_tI7is_trueIiEEENSC_INSD_IbEEEENSA_11use_defaultESO_EENS0_5tupleIJSF_S6_EEENSQ_IJSG_SG_EEES6_PlJS6_EEE10hipError_tPvRmT3_T4_T5_T6_T7_T9_mT8_P12ihipStream_tbDpT10_ENKUlT_T0_E_clISt17integral_constantIbLb0EES1C_IbLb1EEEEDaS18_S19_EUlS18_E_NS1_11comp_targetILNS1_3genE3ELNS1_11target_archE908ELNS1_3gpuE7ELNS1_3repE0EEENS1_30default_config_static_selectorELNS0_4arch9wavefront6targetE0EEEvT1_
; %bb.0:
	.section	.rodata,"a",@progbits
	.p2align	6, 0x0
	.amdhsa_kernel _ZN7rocprim17ROCPRIM_400000_NS6detail17trampoline_kernelINS0_14default_configENS1_25partition_config_selectorILNS1_17partition_subalgoE5EiNS0_10empty_typeEbEEZZNS1_14partition_implILS5_5ELb0ES3_mN6thrust23THRUST_200600_302600_NS6detail15normal_iteratorINSA_10device_ptrIiEEEEPS6_NSA_18transform_iteratorINSB_9not_fun_tI7is_trueIiEEENSC_INSD_IbEEEENSA_11use_defaultESO_EENS0_5tupleIJSF_S6_EEENSQ_IJSG_SG_EEES6_PlJS6_EEE10hipError_tPvRmT3_T4_T5_T6_T7_T9_mT8_P12ihipStream_tbDpT10_ENKUlT_T0_E_clISt17integral_constantIbLb0EES1C_IbLb1EEEEDaS18_S19_EUlS18_E_NS1_11comp_targetILNS1_3genE3ELNS1_11target_archE908ELNS1_3gpuE7ELNS1_3repE0EEENS1_30default_config_static_selectorELNS0_4arch9wavefront6targetE0EEEvT1_
		.amdhsa_group_segment_fixed_size 0
		.amdhsa_private_segment_fixed_size 0
		.amdhsa_kernarg_size 136
		.amdhsa_user_sgpr_count 2
		.amdhsa_user_sgpr_dispatch_ptr 0
		.amdhsa_user_sgpr_queue_ptr 0
		.amdhsa_user_sgpr_kernarg_segment_ptr 1
		.amdhsa_user_sgpr_dispatch_id 0
		.amdhsa_user_sgpr_private_segment_size 0
		.amdhsa_wavefront_size32 1
		.amdhsa_uses_dynamic_stack 0
		.amdhsa_enable_private_segment 0
		.amdhsa_system_sgpr_workgroup_id_x 1
		.amdhsa_system_sgpr_workgroup_id_y 0
		.amdhsa_system_sgpr_workgroup_id_z 0
		.amdhsa_system_sgpr_workgroup_info 0
		.amdhsa_system_vgpr_workitem_id 0
		.amdhsa_next_free_vgpr 1
		.amdhsa_next_free_sgpr 1
		.amdhsa_reserve_vcc 0
		.amdhsa_float_round_mode_32 0
		.amdhsa_float_round_mode_16_64 0
		.amdhsa_float_denorm_mode_32 3
		.amdhsa_float_denorm_mode_16_64 3
		.amdhsa_fp16_overflow 0
		.amdhsa_workgroup_processor_mode 1
		.amdhsa_memory_ordered 1
		.amdhsa_forward_progress 1
		.amdhsa_inst_pref_size 0
		.amdhsa_round_robin_scheduling 0
		.amdhsa_exception_fp_ieee_invalid_op 0
		.amdhsa_exception_fp_denorm_src 0
		.amdhsa_exception_fp_ieee_div_zero 0
		.amdhsa_exception_fp_ieee_overflow 0
		.amdhsa_exception_fp_ieee_underflow 0
		.amdhsa_exception_fp_ieee_inexact 0
		.amdhsa_exception_int_div_zero 0
	.end_amdhsa_kernel
	.section	.text._ZN7rocprim17ROCPRIM_400000_NS6detail17trampoline_kernelINS0_14default_configENS1_25partition_config_selectorILNS1_17partition_subalgoE5EiNS0_10empty_typeEbEEZZNS1_14partition_implILS5_5ELb0ES3_mN6thrust23THRUST_200600_302600_NS6detail15normal_iteratorINSA_10device_ptrIiEEEEPS6_NSA_18transform_iteratorINSB_9not_fun_tI7is_trueIiEEENSC_INSD_IbEEEENSA_11use_defaultESO_EENS0_5tupleIJSF_S6_EEENSQ_IJSG_SG_EEES6_PlJS6_EEE10hipError_tPvRmT3_T4_T5_T6_T7_T9_mT8_P12ihipStream_tbDpT10_ENKUlT_T0_E_clISt17integral_constantIbLb0EES1C_IbLb1EEEEDaS18_S19_EUlS18_E_NS1_11comp_targetILNS1_3genE3ELNS1_11target_archE908ELNS1_3gpuE7ELNS1_3repE0EEENS1_30default_config_static_selectorELNS0_4arch9wavefront6targetE0EEEvT1_,"axG",@progbits,_ZN7rocprim17ROCPRIM_400000_NS6detail17trampoline_kernelINS0_14default_configENS1_25partition_config_selectorILNS1_17partition_subalgoE5EiNS0_10empty_typeEbEEZZNS1_14partition_implILS5_5ELb0ES3_mN6thrust23THRUST_200600_302600_NS6detail15normal_iteratorINSA_10device_ptrIiEEEEPS6_NSA_18transform_iteratorINSB_9not_fun_tI7is_trueIiEEENSC_INSD_IbEEEENSA_11use_defaultESO_EENS0_5tupleIJSF_S6_EEENSQ_IJSG_SG_EEES6_PlJS6_EEE10hipError_tPvRmT3_T4_T5_T6_T7_T9_mT8_P12ihipStream_tbDpT10_ENKUlT_T0_E_clISt17integral_constantIbLb0EES1C_IbLb1EEEEDaS18_S19_EUlS18_E_NS1_11comp_targetILNS1_3genE3ELNS1_11target_archE908ELNS1_3gpuE7ELNS1_3repE0EEENS1_30default_config_static_selectorELNS0_4arch9wavefront6targetE0EEEvT1_,comdat
.Lfunc_end2552:
	.size	_ZN7rocprim17ROCPRIM_400000_NS6detail17trampoline_kernelINS0_14default_configENS1_25partition_config_selectorILNS1_17partition_subalgoE5EiNS0_10empty_typeEbEEZZNS1_14partition_implILS5_5ELb0ES3_mN6thrust23THRUST_200600_302600_NS6detail15normal_iteratorINSA_10device_ptrIiEEEEPS6_NSA_18transform_iteratorINSB_9not_fun_tI7is_trueIiEEENSC_INSD_IbEEEENSA_11use_defaultESO_EENS0_5tupleIJSF_S6_EEENSQ_IJSG_SG_EEES6_PlJS6_EEE10hipError_tPvRmT3_T4_T5_T6_T7_T9_mT8_P12ihipStream_tbDpT10_ENKUlT_T0_E_clISt17integral_constantIbLb0EES1C_IbLb1EEEEDaS18_S19_EUlS18_E_NS1_11comp_targetILNS1_3genE3ELNS1_11target_archE908ELNS1_3gpuE7ELNS1_3repE0EEENS1_30default_config_static_selectorELNS0_4arch9wavefront6targetE0EEEvT1_, .Lfunc_end2552-_ZN7rocprim17ROCPRIM_400000_NS6detail17trampoline_kernelINS0_14default_configENS1_25partition_config_selectorILNS1_17partition_subalgoE5EiNS0_10empty_typeEbEEZZNS1_14partition_implILS5_5ELb0ES3_mN6thrust23THRUST_200600_302600_NS6detail15normal_iteratorINSA_10device_ptrIiEEEEPS6_NSA_18transform_iteratorINSB_9not_fun_tI7is_trueIiEEENSC_INSD_IbEEEENSA_11use_defaultESO_EENS0_5tupleIJSF_S6_EEENSQ_IJSG_SG_EEES6_PlJS6_EEE10hipError_tPvRmT3_T4_T5_T6_T7_T9_mT8_P12ihipStream_tbDpT10_ENKUlT_T0_E_clISt17integral_constantIbLb0EES1C_IbLb1EEEEDaS18_S19_EUlS18_E_NS1_11comp_targetILNS1_3genE3ELNS1_11target_archE908ELNS1_3gpuE7ELNS1_3repE0EEENS1_30default_config_static_selectorELNS0_4arch9wavefront6targetE0EEEvT1_
                                        ; -- End function
	.set _ZN7rocprim17ROCPRIM_400000_NS6detail17trampoline_kernelINS0_14default_configENS1_25partition_config_selectorILNS1_17partition_subalgoE5EiNS0_10empty_typeEbEEZZNS1_14partition_implILS5_5ELb0ES3_mN6thrust23THRUST_200600_302600_NS6detail15normal_iteratorINSA_10device_ptrIiEEEEPS6_NSA_18transform_iteratorINSB_9not_fun_tI7is_trueIiEEENSC_INSD_IbEEEENSA_11use_defaultESO_EENS0_5tupleIJSF_S6_EEENSQ_IJSG_SG_EEES6_PlJS6_EEE10hipError_tPvRmT3_T4_T5_T6_T7_T9_mT8_P12ihipStream_tbDpT10_ENKUlT_T0_E_clISt17integral_constantIbLb0EES1C_IbLb1EEEEDaS18_S19_EUlS18_E_NS1_11comp_targetILNS1_3genE3ELNS1_11target_archE908ELNS1_3gpuE7ELNS1_3repE0EEENS1_30default_config_static_selectorELNS0_4arch9wavefront6targetE0EEEvT1_.num_vgpr, 0
	.set _ZN7rocprim17ROCPRIM_400000_NS6detail17trampoline_kernelINS0_14default_configENS1_25partition_config_selectorILNS1_17partition_subalgoE5EiNS0_10empty_typeEbEEZZNS1_14partition_implILS5_5ELb0ES3_mN6thrust23THRUST_200600_302600_NS6detail15normal_iteratorINSA_10device_ptrIiEEEEPS6_NSA_18transform_iteratorINSB_9not_fun_tI7is_trueIiEEENSC_INSD_IbEEEENSA_11use_defaultESO_EENS0_5tupleIJSF_S6_EEENSQ_IJSG_SG_EEES6_PlJS6_EEE10hipError_tPvRmT3_T4_T5_T6_T7_T9_mT8_P12ihipStream_tbDpT10_ENKUlT_T0_E_clISt17integral_constantIbLb0EES1C_IbLb1EEEEDaS18_S19_EUlS18_E_NS1_11comp_targetILNS1_3genE3ELNS1_11target_archE908ELNS1_3gpuE7ELNS1_3repE0EEENS1_30default_config_static_selectorELNS0_4arch9wavefront6targetE0EEEvT1_.num_agpr, 0
	.set _ZN7rocprim17ROCPRIM_400000_NS6detail17trampoline_kernelINS0_14default_configENS1_25partition_config_selectorILNS1_17partition_subalgoE5EiNS0_10empty_typeEbEEZZNS1_14partition_implILS5_5ELb0ES3_mN6thrust23THRUST_200600_302600_NS6detail15normal_iteratorINSA_10device_ptrIiEEEEPS6_NSA_18transform_iteratorINSB_9not_fun_tI7is_trueIiEEENSC_INSD_IbEEEENSA_11use_defaultESO_EENS0_5tupleIJSF_S6_EEENSQ_IJSG_SG_EEES6_PlJS6_EEE10hipError_tPvRmT3_T4_T5_T6_T7_T9_mT8_P12ihipStream_tbDpT10_ENKUlT_T0_E_clISt17integral_constantIbLb0EES1C_IbLb1EEEEDaS18_S19_EUlS18_E_NS1_11comp_targetILNS1_3genE3ELNS1_11target_archE908ELNS1_3gpuE7ELNS1_3repE0EEENS1_30default_config_static_selectorELNS0_4arch9wavefront6targetE0EEEvT1_.numbered_sgpr, 0
	.set _ZN7rocprim17ROCPRIM_400000_NS6detail17trampoline_kernelINS0_14default_configENS1_25partition_config_selectorILNS1_17partition_subalgoE5EiNS0_10empty_typeEbEEZZNS1_14partition_implILS5_5ELb0ES3_mN6thrust23THRUST_200600_302600_NS6detail15normal_iteratorINSA_10device_ptrIiEEEEPS6_NSA_18transform_iteratorINSB_9not_fun_tI7is_trueIiEEENSC_INSD_IbEEEENSA_11use_defaultESO_EENS0_5tupleIJSF_S6_EEENSQ_IJSG_SG_EEES6_PlJS6_EEE10hipError_tPvRmT3_T4_T5_T6_T7_T9_mT8_P12ihipStream_tbDpT10_ENKUlT_T0_E_clISt17integral_constantIbLb0EES1C_IbLb1EEEEDaS18_S19_EUlS18_E_NS1_11comp_targetILNS1_3genE3ELNS1_11target_archE908ELNS1_3gpuE7ELNS1_3repE0EEENS1_30default_config_static_selectorELNS0_4arch9wavefront6targetE0EEEvT1_.num_named_barrier, 0
	.set _ZN7rocprim17ROCPRIM_400000_NS6detail17trampoline_kernelINS0_14default_configENS1_25partition_config_selectorILNS1_17partition_subalgoE5EiNS0_10empty_typeEbEEZZNS1_14partition_implILS5_5ELb0ES3_mN6thrust23THRUST_200600_302600_NS6detail15normal_iteratorINSA_10device_ptrIiEEEEPS6_NSA_18transform_iteratorINSB_9not_fun_tI7is_trueIiEEENSC_INSD_IbEEEENSA_11use_defaultESO_EENS0_5tupleIJSF_S6_EEENSQ_IJSG_SG_EEES6_PlJS6_EEE10hipError_tPvRmT3_T4_T5_T6_T7_T9_mT8_P12ihipStream_tbDpT10_ENKUlT_T0_E_clISt17integral_constantIbLb0EES1C_IbLb1EEEEDaS18_S19_EUlS18_E_NS1_11comp_targetILNS1_3genE3ELNS1_11target_archE908ELNS1_3gpuE7ELNS1_3repE0EEENS1_30default_config_static_selectorELNS0_4arch9wavefront6targetE0EEEvT1_.private_seg_size, 0
	.set _ZN7rocprim17ROCPRIM_400000_NS6detail17trampoline_kernelINS0_14default_configENS1_25partition_config_selectorILNS1_17partition_subalgoE5EiNS0_10empty_typeEbEEZZNS1_14partition_implILS5_5ELb0ES3_mN6thrust23THRUST_200600_302600_NS6detail15normal_iteratorINSA_10device_ptrIiEEEEPS6_NSA_18transform_iteratorINSB_9not_fun_tI7is_trueIiEEENSC_INSD_IbEEEENSA_11use_defaultESO_EENS0_5tupleIJSF_S6_EEENSQ_IJSG_SG_EEES6_PlJS6_EEE10hipError_tPvRmT3_T4_T5_T6_T7_T9_mT8_P12ihipStream_tbDpT10_ENKUlT_T0_E_clISt17integral_constantIbLb0EES1C_IbLb1EEEEDaS18_S19_EUlS18_E_NS1_11comp_targetILNS1_3genE3ELNS1_11target_archE908ELNS1_3gpuE7ELNS1_3repE0EEENS1_30default_config_static_selectorELNS0_4arch9wavefront6targetE0EEEvT1_.uses_vcc, 0
	.set _ZN7rocprim17ROCPRIM_400000_NS6detail17trampoline_kernelINS0_14default_configENS1_25partition_config_selectorILNS1_17partition_subalgoE5EiNS0_10empty_typeEbEEZZNS1_14partition_implILS5_5ELb0ES3_mN6thrust23THRUST_200600_302600_NS6detail15normal_iteratorINSA_10device_ptrIiEEEEPS6_NSA_18transform_iteratorINSB_9not_fun_tI7is_trueIiEEENSC_INSD_IbEEEENSA_11use_defaultESO_EENS0_5tupleIJSF_S6_EEENSQ_IJSG_SG_EEES6_PlJS6_EEE10hipError_tPvRmT3_T4_T5_T6_T7_T9_mT8_P12ihipStream_tbDpT10_ENKUlT_T0_E_clISt17integral_constantIbLb0EES1C_IbLb1EEEEDaS18_S19_EUlS18_E_NS1_11comp_targetILNS1_3genE3ELNS1_11target_archE908ELNS1_3gpuE7ELNS1_3repE0EEENS1_30default_config_static_selectorELNS0_4arch9wavefront6targetE0EEEvT1_.uses_flat_scratch, 0
	.set _ZN7rocprim17ROCPRIM_400000_NS6detail17trampoline_kernelINS0_14default_configENS1_25partition_config_selectorILNS1_17partition_subalgoE5EiNS0_10empty_typeEbEEZZNS1_14partition_implILS5_5ELb0ES3_mN6thrust23THRUST_200600_302600_NS6detail15normal_iteratorINSA_10device_ptrIiEEEEPS6_NSA_18transform_iteratorINSB_9not_fun_tI7is_trueIiEEENSC_INSD_IbEEEENSA_11use_defaultESO_EENS0_5tupleIJSF_S6_EEENSQ_IJSG_SG_EEES6_PlJS6_EEE10hipError_tPvRmT3_T4_T5_T6_T7_T9_mT8_P12ihipStream_tbDpT10_ENKUlT_T0_E_clISt17integral_constantIbLb0EES1C_IbLb1EEEEDaS18_S19_EUlS18_E_NS1_11comp_targetILNS1_3genE3ELNS1_11target_archE908ELNS1_3gpuE7ELNS1_3repE0EEENS1_30default_config_static_selectorELNS0_4arch9wavefront6targetE0EEEvT1_.has_dyn_sized_stack, 0
	.set _ZN7rocprim17ROCPRIM_400000_NS6detail17trampoline_kernelINS0_14default_configENS1_25partition_config_selectorILNS1_17partition_subalgoE5EiNS0_10empty_typeEbEEZZNS1_14partition_implILS5_5ELb0ES3_mN6thrust23THRUST_200600_302600_NS6detail15normal_iteratorINSA_10device_ptrIiEEEEPS6_NSA_18transform_iteratorINSB_9not_fun_tI7is_trueIiEEENSC_INSD_IbEEEENSA_11use_defaultESO_EENS0_5tupleIJSF_S6_EEENSQ_IJSG_SG_EEES6_PlJS6_EEE10hipError_tPvRmT3_T4_T5_T6_T7_T9_mT8_P12ihipStream_tbDpT10_ENKUlT_T0_E_clISt17integral_constantIbLb0EES1C_IbLb1EEEEDaS18_S19_EUlS18_E_NS1_11comp_targetILNS1_3genE3ELNS1_11target_archE908ELNS1_3gpuE7ELNS1_3repE0EEENS1_30default_config_static_selectorELNS0_4arch9wavefront6targetE0EEEvT1_.has_recursion, 0
	.set _ZN7rocprim17ROCPRIM_400000_NS6detail17trampoline_kernelINS0_14default_configENS1_25partition_config_selectorILNS1_17partition_subalgoE5EiNS0_10empty_typeEbEEZZNS1_14partition_implILS5_5ELb0ES3_mN6thrust23THRUST_200600_302600_NS6detail15normal_iteratorINSA_10device_ptrIiEEEEPS6_NSA_18transform_iteratorINSB_9not_fun_tI7is_trueIiEEENSC_INSD_IbEEEENSA_11use_defaultESO_EENS0_5tupleIJSF_S6_EEENSQ_IJSG_SG_EEES6_PlJS6_EEE10hipError_tPvRmT3_T4_T5_T6_T7_T9_mT8_P12ihipStream_tbDpT10_ENKUlT_T0_E_clISt17integral_constantIbLb0EES1C_IbLb1EEEEDaS18_S19_EUlS18_E_NS1_11comp_targetILNS1_3genE3ELNS1_11target_archE908ELNS1_3gpuE7ELNS1_3repE0EEENS1_30default_config_static_selectorELNS0_4arch9wavefront6targetE0EEEvT1_.has_indirect_call, 0
	.section	.AMDGPU.csdata,"",@progbits
; Kernel info:
; codeLenInByte = 0
; TotalNumSgprs: 0
; NumVgprs: 0
; ScratchSize: 0
; MemoryBound: 0
; FloatMode: 240
; IeeeMode: 1
; LDSByteSize: 0 bytes/workgroup (compile time only)
; SGPRBlocks: 0
; VGPRBlocks: 0
; NumSGPRsForWavesPerEU: 1
; NumVGPRsForWavesPerEU: 1
; Occupancy: 16
; WaveLimiterHint : 0
; COMPUTE_PGM_RSRC2:SCRATCH_EN: 0
; COMPUTE_PGM_RSRC2:USER_SGPR: 2
; COMPUTE_PGM_RSRC2:TRAP_HANDLER: 0
; COMPUTE_PGM_RSRC2:TGID_X_EN: 1
; COMPUTE_PGM_RSRC2:TGID_Y_EN: 0
; COMPUTE_PGM_RSRC2:TGID_Z_EN: 0
; COMPUTE_PGM_RSRC2:TIDIG_COMP_CNT: 0
	.section	.text._ZN7rocprim17ROCPRIM_400000_NS6detail17trampoline_kernelINS0_14default_configENS1_25partition_config_selectorILNS1_17partition_subalgoE5EiNS0_10empty_typeEbEEZZNS1_14partition_implILS5_5ELb0ES3_mN6thrust23THRUST_200600_302600_NS6detail15normal_iteratorINSA_10device_ptrIiEEEEPS6_NSA_18transform_iteratorINSB_9not_fun_tI7is_trueIiEEENSC_INSD_IbEEEENSA_11use_defaultESO_EENS0_5tupleIJSF_S6_EEENSQ_IJSG_SG_EEES6_PlJS6_EEE10hipError_tPvRmT3_T4_T5_T6_T7_T9_mT8_P12ihipStream_tbDpT10_ENKUlT_T0_E_clISt17integral_constantIbLb0EES1C_IbLb1EEEEDaS18_S19_EUlS18_E_NS1_11comp_targetILNS1_3genE2ELNS1_11target_archE906ELNS1_3gpuE6ELNS1_3repE0EEENS1_30default_config_static_selectorELNS0_4arch9wavefront6targetE0EEEvT1_,"axG",@progbits,_ZN7rocprim17ROCPRIM_400000_NS6detail17trampoline_kernelINS0_14default_configENS1_25partition_config_selectorILNS1_17partition_subalgoE5EiNS0_10empty_typeEbEEZZNS1_14partition_implILS5_5ELb0ES3_mN6thrust23THRUST_200600_302600_NS6detail15normal_iteratorINSA_10device_ptrIiEEEEPS6_NSA_18transform_iteratorINSB_9not_fun_tI7is_trueIiEEENSC_INSD_IbEEEENSA_11use_defaultESO_EENS0_5tupleIJSF_S6_EEENSQ_IJSG_SG_EEES6_PlJS6_EEE10hipError_tPvRmT3_T4_T5_T6_T7_T9_mT8_P12ihipStream_tbDpT10_ENKUlT_T0_E_clISt17integral_constantIbLb0EES1C_IbLb1EEEEDaS18_S19_EUlS18_E_NS1_11comp_targetILNS1_3genE2ELNS1_11target_archE906ELNS1_3gpuE6ELNS1_3repE0EEENS1_30default_config_static_selectorELNS0_4arch9wavefront6targetE0EEEvT1_,comdat
	.protected	_ZN7rocprim17ROCPRIM_400000_NS6detail17trampoline_kernelINS0_14default_configENS1_25partition_config_selectorILNS1_17partition_subalgoE5EiNS0_10empty_typeEbEEZZNS1_14partition_implILS5_5ELb0ES3_mN6thrust23THRUST_200600_302600_NS6detail15normal_iteratorINSA_10device_ptrIiEEEEPS6_NSA_18transform_iteratorINSB_9not_fun_tI7is_trueIiEEENSC_INSD_IbEEEENSA_11use_defaultESO_EENS0_5tupleIJSF_S6_EEENSQ_IJSG_SG_EEES6_PlJS6_EEE10hipError_tPvRmT3_T4_T5_T6_T7_T9_mT8_P12ihipStream_tbDpT10_ENKUlT_T0_E_clISt17integral_constantIbLb0EES1C_IbLb1EEEEDaS18_S19_EUlS18_E_NS1_11comp_targetILNS1_3genE2ELNS1_11target_archE906ELNS1_3gpuE6ELNS1_3repE0EEENS1_30default_config_static_selectorELNS0_4arch9wavefront6targetE0EEEvT1_ ; -- Begin function _ZN7rocprim17ROCPRIM_400000_NS6detail17trampoline_kernelINS0_14default_configENS1_25partition_config_selectorILNS1_17partition_subalgoE5EiNS0_10empty_typeEbEEZZNS1_14partition_implILS5_5ELb0ES3_mN6thrust23THRUST_200600_302600_NS6detail15normal_iteratorINSA_10device_ptrIiEEEEPS6_NSA_18transform_iteratorINSB_9not_fun_tI7is_trueIiEEENSC_INSD_IbEEEENSA_11use_defaultESO_EENS0_5tupleIJSF_S6_EEENSQ_IJSG_SG_EEES6_PlJS6_EEE10hipError_tPvRmT3_T4_T5_T6_T7_T9_mT8_P12ihipStream_tbDpT10_ENKUlT_T0_E_clISt17integral_constantIbLb0EES1C_IbLb1EEEEDaS18_S19_EUlS18_E_NS1_11comp_targetILNS1_3genE2ELNS1_11target_archE906ELNS1_3gpuE6ELNS1_3repE0EEENS1_30default_config_static_selectorELNS0_4arch9wavefront6targetE0EEEvT1_
	.globl	_ZN7rocprim17ROCPRIM_400000_NS6detail17trampoline_kernelINS0_14default_configENS1_25partition_config_selectorILNS1_17partition_subalgoE5EiNS0_10empty_typeEbEEZZNS1_14partition_implILS5_5ELb0ES3_mN6thrust23THRUST_200600_302600_NS6detail15normal_iteratorINSA_10device_ptrIiEEEEPS6_NSA_18transform_iteratorINSB_9not_fun_tI7is_trueIiEEENSC_INSD_IbEEEENSA_11use_defaultESO_EENS0_5tupleIJSF_S6_EEENSQ_IJSG_SG_EEES6_PlJS6_EEE10hipError_tPvRmT3_T4_T5_T6_T7_T9_mT8_P12ihipStream_tbDpT10_ENKUlT_T0_E_clISt17integral_constantIbLb0EES1C_IbLb1EEEEDaS18_S19_EUlS18_E_NS1_11comp_targetILNS1_3genE2ELNS1_11target_archE906ELNS1_3gpuE6ELNS1_3repE0EEENS1_30default_config_static_selectorELNS0_4arch9wavefront6targetE0EEEvT1_
	.p2align	8
	.type	_ZN7rocprim17ROCPRIM_400000_NS6detail17trampoline_kernelINS0_14default_configENS1_25partition_config_selectorILNS1_17partition_subalgoE5EiNS0_10empty_typeEbEEZZNS1_14partition_implILS5_5ELb0ES3_mN6thrust23THRUST_200600_302600_NS6detail15normal_iteratorINSA_10device_ptrIiEEEEPS6_NSA_18transform_iteratorINSB_9not_fun_tI7is_trueIiEEENSC_INSD_IbEEEENSA_11use_defaultESO_EENS0_5tupleIJSF_S6_EEENSQ_IJSG_SG_EEES6_PlJS6_EEE10hipError_tPvRmT3_T4_T5_T6_T7_T9_mT8_P12ihipStream_tbDpT10_ENKUlT_T0_E_clISt17integral_constantIbLb0EES1C_IbLb1EEEEDaS18_S19_EUlS18_E_NS1_11comp_targetILNS1_3genE2ELNS1_11target_archE906ELNS1_3gpuE6ELNS1_3repE0EEENS1_30default_config_static_selectorELNS0_4arch9wavefront6targetE0EEEvT1_,@function
_ZN7rocprim17ROCPRIM_400000_NS6detail17trampoline_kernelINS0_14default_configENS1_25partition_config_selectorILNS1_17partition_subalgoE5EiNS0_10empty_typeEbEEZZNS1_14partition_implILS5_5ELb0ES3_mN6thrust23THRUST_200600_302600_NS6detail15normal_iteratorINSA_10device_ptrIiEEEEPS6_NSA_18transform_iteratorINSB_9not_fun_tI7is_trueIiEEENSC_INSD_IbEEEENSA_11use_defaultESO_EENS0_5tupleIJSF_S6_EEENSQ_IJSG_SG_EEES6_PlJS6_EEE10hipError_tPvRmT3_T4_T5_T6_T7_T9_mT8_P12ihipStream_tbDpT10_ENKUlT_T0_E_clISt17integral_constantIbLb0EES1C_IbLb1EEEEDaS18_S19_EUlS18_E_NS1_11comp_targetILNS1_3genE2ELNS1_11target_archE906ELNS1_3gpuE6ELNS1_3repE0EEENS1_30default_config_static_selectorELNS0_4arch9wavefront6targetE0EEEvT1_: ; @_ZN7rocprim17ROCPRIM_400000_NS6detail17trampoline_kernelINS0_14default_configENS1_25partition_config_selectorILNS1_17partition_subalgoE5EiNS0_10empty_typeEbEEZZNS1_14partition_implILS5_5ELb0ES3_mN6thrust23THRUST_200600_302600_NS6detail15normal_iteratorINSA_10device_ptrIiEEEEPS6_NSA_18transform_iteratorINSB_9not_fun_tI7is_trueIiEEENSC_INSD_IbEEEENSA_11use_defaultESO_EENS0_5tupleIJSF_S6_EEENSQ_IJSG_SG_EEES6_PlJS6_EEE10hipError_tPvRmT3_T4_T5_T6_T7_T9_mT8_P12ihipStream_tbDpT10_ENKUlT_T0_E_clISt17integral_constantIbLb0EES1C_IbLb1EEEEDaS18_S19_EUlS18_E_NS1_11comp_targetILNS1_3genE2ELNS1_11target_archE906ELNS1_3gpuE6ELNS1_3repE0EEENS1_30default_config_static_selectorELNS0_4arch9wavefront6targetE0EEEvT1_
; %bb.0:
	.section	.rodata,"a",@progbits
	.p2align	6, 0x0
	.amdhsa_kernel _ZN7rocprim17ROCPRIM_400000_NS6detail17trampoline_kernelINS0_14default_configENS1_25partition_config_selectorILNS1_17partition_subalgoE5EiNS0_10empty_typeEbEEZZNS1_14partition_implILS5_5ELb0ES3_mN6thrust23THRUST_200600_302600_NS6detail15normal_iteratorINSA_10device_ptrIiEEEEPS6_NSA_18transform_iteratorINSB_9not_fun_tI7is_trueIiEEENSC_INSD_IbEEEENSA_11use_defaultESO_EENS0_5tupleIJSF_S6_EEENSQ_IJSG_SG_EEES6_PlJS6_EEE10hipError_tPvRmT3_T4_T5_T6_T7_T9_mT8_P12ihipStream_tbDpT10_ENKUlT_T0_E_clISt17integral_constantIbLb0EES1C_IbLb1EEEEDaS18_S19_EUlS18_E_NS1_11comp_targetILNS1_3genE2ELNS1_11target_archE906ELNS1_3gpuE6ELNS1_3repE0EEENS1_30default_config_static_selectorELNS0_4arch9wavefront6targetE0EEEvT1_
		.amdhsa_group_segment_fixed_size 0
		.amdhsa_private_segment_fixed_size 0
		.amdhsa_kernarg_size 136
		.amdhsa_user_sgpr_count 2
		.amdhsa_user_sgpr_dispatch_ptr 0
		.amdhsa_user_sgpr_queue_ptr 0
		.amdhsa_user_sgpr_kernarg_segment_ptr 1
		.amdhsa_user_sgpr_dispatch_id 0
		.amdhsa_user_sgpr_private_segment_size 0
		.amdhsa_wavefront_size32 1
		.amdhsa_uses_dynamic_stack 0
		.amdhsa_enable_private_segment 0
		.amdhsa_system_sgpr_workgroup_id_x 1
		.amdhsa_system_sgpr_workgroup_id_y 0
		.amdhsa_system_sgpr_workgroup_id_z 0
		.amdhsa_system_sgpr_workgroup_info 0
		.amdhsa_system_vgpr_workitem_id 0
		.amdhsa_next_free_vgpr 1
		.amdhsa_next_free_sgpr 1
		.amdhsa_reserve_vcc 0
		.amdhsa_float_round_mode_32 0
		.amdhsa_float_round_mode_16_64 0
		.amdhsa_float_denorm_mode_32 3
		.amdhsa_float_denorm_mode_16_64 3
		.amdhsa_fp16_overflow 0
		.amdhsa_workgroup_processor_mode 1
		.amdhsa_memory_ordered 1
		.amdhsa_forward_progress 1
		.amdhsa_inst_pref_size 0
		.amdhsa_round_robin_scheduling 0
		.amdhsa_exception_fp_ieee_invalid_op 0
		.amdhsa_exception_fp_denorm_src 0
		.amdhsa_exception_fp_ieee_div_zero 0
		.amdhsa_exception_fp_ieee_overflow 0
		.amdhsa_exception_fp_ieee_underflow 0
		.amdhsa_exception_fp_ieee_inexact 0
		.amdhsa_exception_int_div_zero 0
	.end_amdhsa_kernel
	.section	.text._ZN7rocprim17ROCPRIM_400000_NS6detail17trampoline_kernelINS0_14default_configENS1_25partition_config_selectorILNS1_17partition_subalgoE5EiNS0_10empty_typeEbEEZZNS1_14partition_implILS5_5ELb0ES3_mN6thrust23THRUST_200600_302600_NS6detail15normal_iteratorINSA_10device_ptrIiEEEEPS6_NSA_18transform_iteratorINSB_9not_fun_tI7is_trueIiEEENSC_INSD_IbEEEENSA_11use_defaultESO_EENS0_5tupleIJSF_S6_EEENSQ_IJSG_SG_EEES6_PlJS6_EEE10hipError_tPvRmT3_T4_T5_T6_T7_T9_mT8_P12ihipStream_tbDpT10_ENKUlT_T0_E_clISt17integral_constantIbLb0EES1C_IbLb1EEEEDaS18_S19_EUlS18_E_NS1_11comp_targetILNS1_3genE2ELNS1_11target_archE906ELNS1_3gpuE6ELNS1_3repE0EEENS1_30default_config_static_selectorELNS0_4arch9wavefront6targetE0EEEvT1_,"axG",@progbits,_ZN7rocprim17ROCPRIM_400000_NS6detail17trampoline_kernelINS0_14default_configENS1_25partition_config_selectorILNS1_17partition_subalgoE5EiNS0_10empty_typeEbEEZZNS1_14partition_implILS5_5ELb0ES3_mN6thrust23THRUST_200600_302600_NS6detail15normal_iteratorINSA_10device_ptrIiEEEEPS6_NSA_18transform_iteratorINSB_9not_fun_tI7is_trueIiEEENSC_INSD_IbEEEENSA_11use_defaultESO_EENS0_5tupleIJSF_S6_EEENSQ_IJSG_SG_EEES6_PlJS6_EEE10hipError_tPvRmT3_T4_T5_T6_T7_T9_mT8_P12ihipStream_tbDpT10_ENKUlT_T0_E_clISt17integral_constantIbLb0EES1C_IbLb1EEEEDaS18_S19_EUlS18_E_NS1_11comp_targetILNS1_3genE2ELNS1_11target_archE906ELNS1_3gpuE6ELNS1_3repE0EEENS1_30default_config_static_selectorELNS0_4arch9wavefront6targetE0EEEvT1_,comdat
.Lfunc_end2553:
	.size	_ZN7rocprim17ROCPRIM_400000_NS6detail17trampoline_kernelINS0_14default_configENS1_25partition_config_selectorILNS1_17partition_subalgoE5EiNS0_10empty_typeEbEEZZNS1_14partition_implILS5_5ELb0ES3_mN6thrust23THRUST_200600_302600_NS6detail15normal_iteratorINSA_10device_ptrIiEEEEPS6_NSA_18transform_iteratorINSB_9not_fun_tI7is_trueIiEEENSC_INSD_IbEEEENSA_11use_defaultESO_EENS0_5tupleIJSF_S6_EEENSQ_IJSG_SG_EEES6_PlJS6_EEE10hipError_tPvRmT3_T4_T5_T6_T7_T9_mT8_P12ihipStream_tbDpT10_ENKUlT_T0_E_clISt17integral_constantIbLb0EES1C_IbLb1EEEEDaS18_S19_EUlS18_E_NS1_11comp_targetILNS1_3genE2ELNS1_11target_archE906ELNS1_3gpuE6ELNS1_3repE0EEENS1_30default_config_static_selectorELNS0_4arch9wavefront6targetE0EEEvT1_, .Lfunc_end2553-_ZN7rocprim17ROCPRIM_400000_NS6detail17trampoline_kernelINS0_14default_configENS1_25partition_config_selectorILNS1_17partition_subalgoE5EiNS0_10empty_typeEbEEZZNS1_14partition_implILS5_5ELb0ES3_mN6thrust23THRUST_200600_302600_NS6detail15normal_iteratorINSA_10device_ptrIiEEEEPS6_NSA_18transform_iteratorINSB_9not_fun_tI7is_trueIiEEENSC_INSD_IbEEEENSA_11use_defaultESO_EENS0_5tupleIJSF_S6_EEENSQ_IJSG_SG_EEES6_PlJS6_EEE10hipError_tPvRmT3_T4_T5_T6_T7_T9_mT8_P12ihipStream_tbDpT10_ENKUlT_T0_E_clISt17integral_constantIbLb0EES1C_IbLb1EEEEDaS18_S19_EUlS18_E_NS1_11comp_targetILNS1_3genE2ELNS1_11target_archE906ELNS1_3gpuE6ELNS1_3repE0EEENS1_30default_config_static_selectorELNS0_4arch9wavefront6targetE0EEEvT1_
                                        ; -- End function
	.set _ZN7rocprim17ROCPRIM_400000_NS6detail17trampoline_kernelINS0_14default_configENS1_25partition_config_selectorILNS1_17partition_subalgoE5EiNS0_10empty_typeEbEEZZNS1_14partition_implILS5_5ELb0ES3_mN6thrust23THRUST_200600_302600_NS6detail15normal_iteratorINSA_10device_ptrIiEEEEPS6_NSA_18transform_iteratorINSB_9not_fun_tI7is_trueIiEEENSC_INSD_IbEEEENSA_11use_defaultESO_EENS0_5tupleIJSF_S6_EEENSQ_IJSG_SG_EEES6_PlJS6_EEE10hipError_tPvRmT3_T4_T5_T6_T7_T9_mT8_P12ihipStream_tbDpT10_ENKUlT_T0_E_clISt17integral_constantIbLb0EES1C_IbLb1EEEEDaS18_S19_EUlS18_E_NS1_11comp_targetILNS1_3genE2ELNS1_11target_archE906ELNS1_3gpuE6ELNS1_3repE0EEENS1_30default_config_static_selectorELNS0_4arch9wavefront6targetE0EEEvT1_.num_vgpr, 0
	.set _ZN7rocprim17ROCPRIM_400000_NS6detail17trampoline_kernelINS0_14default_configENS1_25partition_config_selectorILNS1_17partition_subalgoE5EiNS0_10empty_typeEbEEZZNS1_14partition_implILS5_5ELb0ES3_mN6thrust23THRUST_200600_302600_NS6detail15normal_iteratorINSA_10device_ptrIiEEEEPS6_NSA_18transform_iteratorINSB_9not_fun_tI7is_trueIiEEENSC_INSD_IbEEEENSA_11use_defaultESO_EENS0_5tupleIJSF_S6_EEENSQ_IJSG_SG_EEES6_PlJS6_EEE10hipError_tPvRmT3_T4_T5_T6_T7_T9_mT8_P12ihipStream_tbDpT10_ENKUlT_T0_E_clISt17integral_constantIbLb0EES1C_IbLb1EEEEDaS18_S19_EUlS18_E_NS1_11comp_targetILNS1_3genE2ELNS1_11target_archE906ELNS1_3gpuE6ELNS1_3repE0EEENS1_30default_config_static_selectorELNS0_4arch9wavefront6targetE0EEEvT1_.num_agpr, 0
	.set _ZN7rocprim17ROCPRIM_400000_NS6detail17trampoline_kernelINS0_14default_configENS1_25partition_config_selectorILNS1_17partition_subalgoE5EiNS0_10empty_typeEbEEZZNS1_14partition_implILS5_5ELb0ES3_mN6thrust23THRUST_200600_302600_NS6detail15normal_iteratorINSA_10device_ptrIiEEEEPS6_NSA_18transform_iteratorINSB_9not_fun_tI7is_trueIiEEENSC_INSD_IbEEEENSA_11use_defaultESO_EENS0_5tupleIJSF_S6_EEENSQ_IJSG_SG_EEES6_PlJS6_EEE10hipError_tPvRmT3_T4_T5_T6_T7_T9_mT8_P12ihipStream_tbDpT10_ENKUlT_T0_E_clISt17integral_constantIbLb0EES1C_IbLb1EEEEDaS18_S19_EUlS18_E_NS1_11comp_targetILNS1_3genE2ELNS1_11target_archE906ELNS1_3gpuE6ELNS1_3repE0EEENS1_30default_config_static_selectorELNS0_4arch9wavefront6targetE0EEEvT1_.numbered_sgpr, 0
	.set _ZN7rocprim17ROCPRIM_400000_NS6detail17trampoline_kernelINS0_14default_configENS1_25partition_config_selectorILNS1_17partition_subalgoE5EiNS0_10empty_typeEbEEZZNS1_14partition_implILS5_5ELb0ES3_mN6thrust23THRUST_200600_302600_NS6detail15normal_iteratorINSA_10device_ptrIiEEEEPS6_NSA_18transform_iteratorINSB_9not_fun_tI7is_trueIiEEENSC_INSD_IbEEEENSA_11use_defaultESO_EENS0_5tupleIJSF_S6_EEENSQ_IJSG_SG_EEES6_PlJS6_EEE10hipError_tPvRmT3_T4_T5_T6_T7_T9_mT8_P12ihipStream_tbDpT10_ENKUlT_T0_E_clISt17integral_constantIbLb0EES1C_IbLb1EEEEDaS18_S19_EUlS18_E_NS1_11comp_targetILNS1_3genE2ELNS1_11target_archE906ELNS1_3gpuE6ELNS1_3repE0EEENS1_30default_config_static_selectorELNS0_4arch9wavefront6targetE0EEEvT1_.num_named_barrier, 0
	.set _ZN7rocprim17ROCPRIM_400000_NS6detail17trampoline_kernelINS0_14default_configENS1_25partition_config_selectorILNS1_17partition_subalgoE5EiNS0_10empty_typeEbEEZZNS1_14partition_implILS5_5ELb0ES3_mN6thrust23THRUST_200600_302600_NS6detail15normal_iteratorINSA_10device_ptrIiEEEEPS6_NSA_18transform_iteratorINSB_9not_fun_tI7is_trueIiEEENSC_INSD_IbEEEENSA_11use_defaultESO_EENS0_5tupleIJSF_S6_EEENSQ_IJSG_SG_EEES6_PlJS6_EEE10hipError_tPvRmT3_T4_T5_T6_T7_T9_mT8_P12ihipStream_tbDpT10_ENKUlT_T0_E_clISt17integral_constantIbLb0EES1C_IbLb1EEEEDaS18_S19_EUlS18_E_NS1_11comp_targetILNS1_3genE2ELNS1_11target_archE906ELNS1_3gpuE6ELNS1_3repE0EEENS1_30default_config_static_selectorELNS0_4arch9wavefront6targetE0EEEvT1_.private_seg_size, 0
	.set _ZN7rocprim17ROCPRIM_400000_NS6detail17trampoline_kernelINS0_14default_configENS1_25partition_config_selectorILNS1_17partition_subalgoE5EiNS0_10empty_typeEbEEZZNS1_14partition_implILS5_5ELb0ES3_mN6thrust23THRUST_200600_302600_NS6detail15normal_iteratorINSA_10device_ptrIiEEEEPS6_NSA_18transform_iteratorINSB_9not_fun_tI7is_trueIiEEENSC_INSD_IbEEEENSA_11use_defaultESO_EENS0_5tupleIJSF_S6_EEENSQ_IJSG_SG_EEES6_PlJS6_EEE10hipError_tPvRmT3_T4_T5_T6_T7_T9_mT8_P12ihipStream_tbDpT10_ENKUlT_T0_E_clISt17integral_constantIbLb0EES1C_IbLb1EEEEDaS18_S19_EUlS18_E_NS1_11comp_targetILNS1_3genE2ELNS1_11target_archE906ELNS1_3gpuE6ELNS1_3repE0EEENS1_30default_config_static_selectorELNS0_4arch9wavefront6targetE0EEEvT1_.uses_vcc, 0
	.set _ZN7rocprim17ROCPRIM_400000_NS6detail17trampoline_kernelINS0_14default_configENS1_25partition_config_selectorILNS1_17partition_subalgoE5EiNS0_10empty_typeEbEEZZNS1_14partition_implILS5_5ELb0ES3_mN6thrust23THRUST_200600_302600_NS6detail15normal_iteratorINSA_10device_ptrIiEEEEPS6_NSA_18transform_iteratorINSB_9not_fun_tI7is_trueIiEEENSC_INSD_IbEEEENSA_11use_defaultESO_EENS0_5tupleIJSF_S6_EEENSQ_IJSG_SG_EEES6_PlJS6_EEE10hipError_tPvRmT3_T4_T5_T6_T7_T9_mT8_P12ihipStream_tbDpT10_ENKUlT_T0_E_clISt17integral_constantIbLb0EES1C_IbLb1EEEEDaS18_S19_EUlS18_E_NS1_11comp_targetILNS1_3genE2ELNS1_11target_archE906ELNS1_3gpuE6ELNS1_3repE0EEENS1_30default_config_static_selectorELNS0_4arch9wavefront6targetE0EEEvT1_.uses_flat_scratch, 0
	.set _ZN7rocprim17ROCPRIM_400000_NS6detail17trampoline_kernelINS0_14default_configENS1_25partition_config_selectorILNS1_17partition_subalgoE5EiNS0_10empty_typeEbEEZZNS1_14partition_implILS5_5ELb0ES3_mN6thrust23THRUST_200600_302600_NS6detail15normal_iteratorINSA_10device_ptrIiEEEEPS6_NSA_18transform_iteratorINSB_9not_fun_tI7is_trueIiEEENSC_INSD_IbEEEENSA_11use_defaultESO_EENS0_5tupleIJSF_S6_EEENSQ_IJSG_SG_EEES6_PlJS6_EEE10hipError_tPvRmT3_T4_T5_T6_T7_T9_mT8_P12ihipStream_tbDpT10_ENKUlT_T0_E_clISt17integral_constantIbLb0EES1C_IbLb1EEEEDaS18_S19_EUlS18_E_NS1_11comp_targetILNS1_3genE2ELNS1_11target_archE906ELNS1_3gpuE6ELNS1_3repE0EEENS1_30default_config_static_selectorELNS0_4arch9wavefront6targetE0EEEvT1_.has_dyn_sized_stack, 0
	.set _ZN7rocprim17ROCPRIM_400000_NS6detail17trampoline_kernelINS0_14default_configENS1_25partition_config_selectorILNS1_17partition_subalgoE5EiNS0_10empty_typeEbEEZZNS1_14partition_implILS5_5ELb0ES3_mN6thrust23THRUST_200600_302600_NS6detail15normal_iteratorINSA_10device_ptrIiEEEEPS6_NSA_18transform_iteratorINSB_9not_fun_tI7is_trueIiEEENSC_INSD_IbEEEENSA_11use_defaultESO_EENS0_5tupleIJSF_S6_EEENSQ_IJSG_SG_EEES6_PlJS6_EEE10hipError_tPvRmT3_T4_T5_T6_T7_T9_mT8_P12ihipStream_tbDpT10_ENKUlT_T0_E_clISt17integral_constantIbLb0EES1C_IbLb1EEEEDaS18_S19_EUlS18_E_NS1_11comp_targetILNS1_3genE2ELNS1_11target_archE906ELNS1_3gpuE6ELNS1_3repE0EEENS1_30default_config_static_selectorELNS0_4arch9wavefront6targetE0EEEvT1_.has_recursion, 0
	.set _ZN7rocprim17ROCPRIM_400000_NS6detail17trampoline_kernelINS0_14default_configENS1_25partition_config_selectorILNS1_17partition_subalgoE5EiNS0_10empty_typeEbEEZZNS1_14partition_implILS5_5ELb0ES3_mN6thrust23THRUST_200600_302600_NS6detail15normal_iteratorINSA_10device_ptrIiEEEEPS6_NSA_18transform_iteratorINSB_9not_fun_tI7is_trueIiEEENSC_INSD_IbEEEENSA_11use_defaultESO_EENS0_5tupleIJSF_S6_EEENSQ_IJSG_SG_EEES6_PlJS6_EEE10hipError_tPvRmT3_T4_T5_T6_T7_T9_mT8_P12ihipStream_tbDpT10_ENKUlT_T0_E_clISt17integral_constantIbLb0EES1C_IbLb1EEEEDaS18_S19_EUlS18_E_NS1_11comp_targetILNS1_3genE2ELNS1_11target_archE906ELNS1_3gpuE6ELNS1_3repE0EEENS1_30default_config_static_selectorELNS0_4arch9wavefront6targetE0EEEvT1_.has_indirect_call, 0
	.section	.AMDGPU.csdata,"",@progbits
; Kernel info:
; codeLenInByte = 0
; TotalNumSgprs: 0
; NumVgprs: 0
; ScratchSize: 0
; MemoryBound: 0
; FloatMode: 240
; IeeeMode: 1
; LDSByteSize: 0 bytes/workgroup (compile time only)
; SGPRBlocks: 0
; VGPRBlocks: 0
; NumSGPRsForWavesPerEU: 1
; NumVGPRsForWavesPerEU: 1
; Occupancy: 16
; WaveLimiterHint : 0
; COMPUTE_PGM_RSRC2:SCRATCH_EN: 0
; COMPUTE_PGM_RSRC2:USER_SGPR: 2
; COMPUTE_PGM_RSRC2:TRAP_HANDLER: 0
; COMPUTE_PGM_RSRC2:TGID_X_EN: 1
; COMPUTE_PGM_RSRC2:TGID_Y_EN: 0
; COMPUTE_PGM_RSRC2:TGID_Z_EN: 0
; COMPUTE_PGM_RSRC2:TIDIG_COMP_CNT: 0
	.section	.text._ZN7rocprim17ROCPRIM_400000_NS6detail17trampoline_kernelINS0_14default_configENS1_25partition_config_selectorILNS1_17partition_subalgoE5EiNS0_10empty_typeEbEEZZNS1_14partition_implILS5_5ELb0ES3_mN6thrust23THRUST_200600_302600_NS6detail15normal_iteratorINSA_10device_ptrIiEEEEPS6_NSA_18transform_iteratorINSB_9not_fun_tI7is_trueIiEEENSC_INSD_IbEEEENSA_11use_defaultESO_EENS0_5tupleIJSF_S6_EEENSQ_IJSG_SG_EEES6_PlJS6_EEE10hipError_tPvRmT3_T4_T5_T6_T7_T9_mT8_P12ihipStream_tbDpT10_ENKUlT_T0_E_clISt17integral_constantIbLb0EES1C_IbLb1EEEEDaS18_S19_EUlS18_E_NS1_11comp_targetILNS1_3genE10ELNS1_11target_archE1200ELNS1_3gpuE4ELNS1_3repE0EEENS1_30default_config_static_selectorELNS0_4arch9wavefront6targetE0EEEvT1_,"axG",@progbits,_ZN7rocprim17ROCPRIM_400000_NS6detail17trampoline_kernelINS0_14default_configENS1_25partition_config_selectorILNS1_17partition_subalgoE5EiNS0_10empty_typeEbEEZZNS1_14partition_implILS5_5ELb0ES3_mN6thrust23THRUST_200600_302600_NS6detail15normal_iteratorINSA_10device_ptrIiEEEEPS6_NSA_18transform_iteratorINSB_9not_fun_tI7is_trueIiEEENSC_INSD_IbEEEENSA_11use_defaultESO_EENS0_5tupleIJSF_S6_EEENSQ_IJSG_SG_EEES6_PlJS6_EEE10hipError_tPvRmT3_T4_T5_T6_T7_T9_mT8_P12ihipStream_tbDpT10_ENKUlT_T0_E_clISt17integral_constantIbLb0EES1C_IbLb1EEEEDaS18_S19_EUlS18_E_NS1_11comp_targetILNS1_3genE10ELNS1_11target_archE1200ELNS1_3gpuE4ELNS1_3repE0EEENS1_30default_config_static_selectorELNS0_4arch9wavefront6targetE0EEEvT1_,comdat
	.protected	_ZN7rocprim17ROCPRIM_400000_NS6detail17trampoline_kernelINS0_14default_configENS1_25partition_config_selectorILNS1_17partition_subalgoE5EiNS0_10empty_typeEbEEZZNS1_14partition_implILS5_5ELb0ES3_mN6thrust23THRUST_200600_302600_NS6detail15normal_iteratorINSA_10device_ptrIiEEEEPS6_NSA_18transform_iteratorINSB_9not_fun_tI7is_trueIiEEENSC_INSD_IbEEEENSA_11use_defaultESO_EENS0_5tupleIJSF_S6_EEENSQ_IJSG_SG_EEES6_PlJS6_EEE10hipError_tPvRmT3_T4_T5_T6_T7_T9_mT8_P12ihipStream_tbDpT10_ENKUlT_T0_E_clISt17integral_constantIbLb0EES1C_IbLb1EEEEDaS18_S19_EUlS18_E_NS1_11comp_targetILNS1_3genE10ELNS1_11target_archE1200ELNS1_3gpuE4ELNS1_3repE0EEENS1_30default_config_static_selectorELNS0_4arch9wavefront6targetE0EEEvT1_ ; -- Begin function _ZN7rocprim17ROCPRIM_400000_NS6detail17trampoline_kernelINS0_14default_configENS1_25partition_config_selectorILNS1_17partition_subalgoE5EiNS0_10empty_typeEbEEZZNS1_14partition_implILS5_5ELb0ES3_mN6thrust23THRUST_200600_302600_NS6detail15normal_iteratorINSA_10device_ptrIiEEEEPS6_NSA_18transform_iteratorINSB_9not_fun_tI7is_trueIiEEENSC_INSD_IbEEEENSA_11use_defaultESO_EENS0_5tupleIJSF_S6_EEENSQ_IJSG_SG_EEES6_PlJS6_EEE10hipError_tPvRmT3_T4_T5_T6_T7_T9_mT8_P12ihipStream_tbDpT10_ENKUlT_T0_E_clISt17integral_constantIbLb0EES1C_IbLb1EEEEDaS18_S19_EUlS18_E_NS1_11comp_targetILNS1_3genE10ELNS1_11target_archE1200ELNS1_3gpuE4ELNS1_3repE0EEENS1_30default_config_static_selectorELNS0_4arch9wavefront6targetE0EEEvT1_
	.globl	_ZN7rocprim17ROCPRIM_400000_NS6detail17trampoline_kernelINS0_14default_configENS1_25partition_config_selectorILNS1_17partition_subalgoE5EiNS0_10empty_typeEbEEZZNS1_14partition_implILS5_5ELb0ES3_mN6thrust23THRUST_200600_302600_NS6detail15normal_iteratorINSA_10device_ptrIiEEEEPS6_NSA_18transform_iteratorINSB_9not_fun_tI7is_trueIiEEENSC_INSD_IbEEEENSA_11use_defaultESO_EENS0_5tupleIJSF_S6_EEENSQ_IJSG_SG_EEES6_PlJS6_EEE10hipError_tPvRmT3_T4_T5_T6_T7_T9_mT8_P12ihipStream_tbDpT10_ENKUlT_T0_E_clISt17integral_constantIbLb0EES1C_IbLb1EEEEDaS18_S19_EUlS18_E_NS1_11comp_targetILNS1_3genE10ELNS1_11target_archE1200ELNS1_3gpuE4ELNS1_3repE0EEENS1_30default_config_static_selectorELNS0_4arch9wavefront6targetE0EEEvT1_
	.p2align	8
	.type	_ZN7rocprim17ROCPRIM_400000_NS6detail17trampoline_kernelINS0_14default_configENS1_25partition_config_selectorILNS1_17partition_subalgoE5EiNS0_10empty_typeEbEEZZNS1_14partition_implILS5_5ELb0ES3_mN6thrust23THRUST_200600_302600_NS6detail15normal_iteratorINSA_10device_ptrIiEEEEPS6_NSA_18transform_iteratorINSB_9not_fun_tI7is_trueIiEEENSC_INSD_IbEEEENSA_11use_defaultESO_EENS0_5tupleIJSF_S6_EEENSQ_IJSG_SG_EEES6_PlJS6_EEE10hipError_tPvRmT3_T4_T5_T6_T7_T9_mT8_P12ihipStream_tbDpT10_ENKUlT_T0_E_clISt17integral_constantIbLb0EES1C_IbLb1EEEEDaS18_S19_EUlS18_E_NS1_11comp_targetILNS1_3genE10ELNS1_11target_archE1200ELNS1_3gpuE4ELNS1_3repE0EEENS1_30default_config_static_selectorELNS0_4arch9wavefront6targetE0EEEvT1_,@function
_ZN7rocprim17ROCPRIM_400000_NS6detail17trampoline_kernelINS0_14default_configENS1_25partition_config_selectorILNS1_17partition_subalgoE5EiNS0_10empty_typeEbEEZZNS1_14partition_implILS5_5ELb0ES3_mN6thrust23THRUST_200600_302600_NS6detail15normal_iteratorINSA_10device_ptrIiEEEEPS6_NSA_18transform_iteratorINSB_9not_fun_tI7is_trueIiEEENSC_INSD_IbEEEENSA_11use_defaultESO_EENS0_5tupleIJSF_S6_EEENSQ_IJSG_SG_EEES6_PlJS6_EEE10hipError_tPvRmT3_T4_T5_T6_T7_T9_mT8_P12ihipStream_tbDpT10_ENKUlT_T0_E_clISt17integral_constantIbLb0EES1C_IbLb1EEEEDaS18_S19_EUlS18_E_NS1_11comp_targetILNS1_3genE10ELNS1_11target_archE1200ELNS1_3gpuE4ELNS1_3repE0EEENS1_30default_config_static_selectorELNS0_4arch9wavefront6targetE0EEEvT1_: ; @_ZN7rocprim17ROCPRIM_400000_NS6detail17trampoline_kernelINS0_14default_configENS1_25partition_config_selectorILNS1_17partition_subalgoE5EiNS0_10empty_typeEbEEZZNS1_14partition_implILS5_5ELb0ES3_mN6thrust23THRUST_200600_302600_NS6detail15normal_iteratorINSA_10device_ptrIiEEEEPS6_NSA_18transform_iteratorINSB_9not_fun_tI7is_trueIiEEENSC_INSD_IbEEEENSA_11use_defaultESO_EENS0_5tupleIJSF_S6_EEENSQ_IJSG_SG_EEES6_PlJS6_EEE10hipError_tPvRmT3_T4_T5_T6_T7_T9_mT8_P12ihipStream_tbDpT10_ENKUlT_T0_E_clISt17integral_constantIbLb0EES1C_IbLb1EEEEDaS18_S19_EUlS18_E_NS1_11comp_targetILNS1_3genE10ELNS1_11target_archE1200ELNS1_3gpuE4ELNS1_3repE0EEENS1_30default_config_static_selectorELNS0_4arch9wavefront6targetE0EEEvT1_
; %bb.0:
	s_clause 0x3
	s_load_b64 s[12:13], s[0:1], 0x30
	s_load_b128 s[4:7], s[0:1], 0x48
	s_load_b64 s[18:19], s[0:1], 0x58
	s_load_b64 s[14:15], s[0:1], 0x68
	v_cmp_eq_u32_e64 s2, 0, v0
	s_and_saveexec_b32 s3, s2
	s_cbranch_execz .LBB2554_4
; %bb.1:
	s_mov_b32 s9, exec_lo
	s_mov_b32 s8, exec_lo
	v_mbcnt_lo_u32_b32 v1, s9, 0
                                        ; implicit-def: $vgpr2
	s_delay_alu instid0(VALU_DEP_1)
	v_cmpx_eq_u32_e32 0, v1
	s_cbranch_execz .LBB2554_3
; %bb.2:
	s_load_b64 s[10:11], s[0:1], 0x78
	s_bcnt1_i32_b32 s9, s9
	s_wait_alu 0xfffe
	v_dual_mov_b32 v2, 0 :: v_dual_mov_b32 v3, s9
	s_wait_kmcnt 0x0
	global_atomic_add_u32 v2, v2, v3, s[10:11] th:TH_ATOMIC_RETURN scope:SCOPE_DEV
.LBB2554_3:
	s_or_b32 exec_lo, exec_lo, s8
	s_wait_loadcnt 0x0
	v_readfirstlane_b32 s8, v2
	s_wait_alu 0xf1ff
	s_delay_alu instid0(VALU_DEP_1)
	v_dual_mov_b32 v2, 0 :: v_dual_add_nc_u32 v1, s8, v1
	ds_store_b32 v2, v1
.LBB2554_4:
	s_or_b32 exec_lo, exec_lo, s3
	v_dual_mov_b32 v1, 0 :: v_dual_add_nc_u32 v24, 0x180, v0
	s_clause 0x2
	s_load_b128 s[8:11], s[0:1], 0x8
	s_load_b64 s[16:17], s[0:1], 0x20
	s_load_b32 s0, s[0:1], 0x70
	s_wait_dscnt 0x0
	s_barrier_signal -1
	s_barrier_wait -1
	global_inv scope:SCOPE_SE
	ds_load_b32 v2, v1
	s_wait_loadcnt_dscnt 0x0
	s_barrier_signal -1
	s_barrier_wait -1
	global_inv scope:SCOPE_SE
	s_wait_kmcnt 0x0
	global_load_b64 v[9:10], v1, s[6:7]
	v_lshlrev_b32_e32 v11, 2, v0
	v_lshrrev_b32_e32 v12, 3, v0
	v_add_nc_u32_e32 v23, 0x240, v0
	v_or_b32_e32 v22, 0x300, v0
	v_add_nc_u32_e32 v21, 0x3c0, v0
	v_add_nc_u32_e32 v20, 0x480, v0
	;; [unrolled: 1-line block ×3, first 2 shown]
	s_lshl_b64 s[6:7], s[10:11], 2
	s_delay_alu instid0(SALU_CYCLE_1)
	s_add_nc_u64 s[8:9], s[8:9], s[6:7]
	s_mul_i32 s6, s0, 0x600
	s_mov_b32 s7, 0
	s_add_co_i32 s3, s6, s10
	s_add_co_i32 s21, s0, -1
	v_readfirstlane_b32 s20, v2
	s_add_nc_u64 s[0:1], s[10:11], s[6:7]
	s_sub_co_i32 s3, s18, s3
	v_cmp_le_u64_e64 s0, s[18:19], s[0:1]
	s_addk_co_i32 s3, 0x600
	s_cmp_eq_u32 s20, s21
	s_mul_i32 s6, s20, 0x600
	s_cselect_b32 s18, -1, 0
	s_lshl_b64 s[22:23], s[6:7], 2
	s_wait_alu 0xfffe
	s_and_b32 s0, s0, s18
	s_mov_b32 s1, -1
	s_wait_alu 0xfffe
	s_xor_b32 s19, s0, -1
	s_add_nc_u64 s[8:9], s[8:9], s[22:23]
	s_wait_alu 0xfffe
	s_and_b32 vcc_lo, exec_lo, s19
	s_cbranch_vccz .LBB2554_6
; %bb.5:
	v_add_co_u32 v1, s0, s8, v11
	s_wait_alu 0xf1ff
	v_add_co_ci_u32_e64 v2, null, s9, 0, s0
	v_add_nc_u32_e32 v14, 0xc0, v0
	v_lshrrev_b32_e32 v15, 3, v24
	v_lshrrev_b32_e32 v16, 3, v23
	s_clause 0x7
	flat_load_b32 v3, v[1:2]
	flat_load_b32 v4, v[1:2] offset:768
	flat_load_b32 v5, v[1:2] offset:1536
	;; [unrolled: 1-line block ×7, first 2 shown]
	v_lshrrev_b32_e32 v17, 3, v22
	v_lshrrev_b32_e32 v14, 3, v14
	v_and_b32_e32 v2, 28, v12
	v_lshrrev_b32_e32 v18, 3, v21
	v_lshrrev_b32_e32 v25, 3, v20
	v_lshrrev_b32_e32 v26, 3, v19
	v_and_b32_e32 v14, 60, v14
	v_and_b32_e32 v15, 0x7c, v15
	;; [unrolled: 1-line block ×4, first 2 shown]
	v_add_nc_u32_e32 v2, v2, v11
	v_and_b32_e32 v18, 0xfc, v18
	v_and_b32_e32 v25, 0xbc, v25
	;; [unrolled: 1-line block ×3, first 2 shown]
	v_add_nc_u32_e32 v14, v14, v11
	v_add_nc_u32_e32 v15, v15, v11
	;; [unrolled: 1-line block ×4, first 2 shown]
	s_mov_b32 s1, s7
	v_add_nc_u32_e32 v18, v18, v11
	v_add_nc_u32_e32 v25, v25, v11
	;; [unrolled: 1-line block ×3, first 2 shown]
	s_wait_loadcnt_dscnt 0x707
	ds_store_b32 v2, v3
	s_wait_loadcnt_dscnt 0x607
	ds_store_b32 v14, v4 offset:768
	s_wait_loadcnt_dscnt 0x507
	ds_store_b32 v15, v5 offset:1536
	s_wait_loadcnt_dscnt 0x407
	ds_store_b32 v16, v6 offset:2304
	s_wait_loadcnt_dscnt 0x307
	ds_store_b32 v17, v7 offset:3072
	s_wait_loadcnt_dscnt 0x207
	ds_store_b32 v18, v8 offset:3840
	s_wait_loadcnt_dscnt 0x107
	ds_store_b32 v25, v13 offset:4608
	s_wait_loadcnt_dscnt 0x7
	ds_store_b32 v26, v1 offset:5376
	s_wait_dscnt 0x0
	s_barrier_signal -1
	s_barrier_wait -1
.LBB2554_6:
	v_cmp_gt_u32_e64 s0, s3, v0
	s_wait_alu 0xfffe
	s_and_not1_b32 vcc_lo, exec_lo, s1
	s_cbranch_vccnz .LBB2554_18
; %bb.7:
	v_mov_b32_e32 v1, 0
	s_delay_alu instid0(VALU_DEP_1)
	v_dual_mov_b32 v2, v1 :: v_dual_mov_b32 v3, v1
	v_dual_mov_b32 v4, v1 :: v_dual_mov_b32 v5, v1
	;; [unrolled: 1-line block ×3, first 2 shown]
	v_mov_b32_e32 v8, v1
	s_and_saveexec_b32 s1, s0
	s_cbranch_execz .LBB2554_9
; %bb.8:
	v_add_co_u32 v2, s0, s8, v11
	s_wait_alu 0xf1ff
	v_add_co_ci_u32_e64 v3, null, s9, 0, s0
	v_dual_mov_b32 v26, v1 :: v_dual_mov_b32 v27, v1
	v_dual_mov_b32 v28, v1 :: v_dual_mov_b32 v29, v1
	flat_load_b32 v25, v[2:3]
	v_dual_mov_b32 v30, v1 :: v_dual_mov_b32 v31, v1
	v_mov_b32_e32 v32, v1
	s_wait_loadcnt_dscnt 0x0
	v_dual_mov_b32 v1, v25 :: v_dual_mov_b32 v2, v26
	v_dual_mov_b32 v3, v27 :: v_dual_mov_b32 v4, v28
	v_dual_mov_b32 v5, v29 :: v_dual_mov_b32 v6, v30
	v_dual_mov_b32 v7, v31 :: v_dual_mov_b32 v8, v32
.LBB2554_9:
	s_wait_alu 0xfffe
	s_or_b32 exec_lo, exec_lo, s1
	v_add_nc_u32_e32 v13, 0xc0, v0
	s_mov_b32 s0, exec_lo
	s_delay_alu instid0(VALU_DEP_1)
	v_cmpx_gt_u32_e64 s3, v13
	s_cbranch_execnz .LBB2554_162
; %bb.10:
	s_wait_alu 0xfffe
	s_or_b32 exec_lo, exec_lo, s0
	s_delay_alu instid0(SALU_CYCLE_1)
	s_mov_b32 s0, exec_lo
	v_cmpx_gt_u32_e64 s3, v24
	s_cbranch_execnz .LBB2554_163
.LBB2554_11:
	s_wait_alu 0xfffe
	s_or_b32 exec_lo, exec_lo, s0
	s_delay_alu instid0(SALU_CYCLE_1)
	s_mov_b32 s0, exec_lo
	v_cmpx_gt_u32_e64 s3, v23
	s_cbranch_execnz .LBB2554_164
.LBB2554_12:
	s_wait_alu 0xfffe
	s_or_b32 exec_lo, exec_lo, s0
	s_delay_alu instid0(SALU_CYCLE_1)
	s_mov_b32 s0, exec_lo
	v_cmpx_gt_u32_e64 s3, v22
	s_cbranch_execnz .LBB2554_165
.LBB2554_13:
	s_wait_alu 0xfffe
	s_or_b32 exec_lo, exec_lo, s0
	s_delay_alu instid0(SALU_CYCLE_1)
	s_mov_b32 s0, exec_lo
	v_cmpx_gt_u32_e64 s3, v21
	s_cbranch_execnz .LBB2554_166
.LBB2554_14:
	s_wait_alu 0xfffe
	s_or_b32 exec_lo, exec_lo, s0
	s_delay_alu instid0(SALU_CYCLE_1)
	s_mov_b32 s0, exec_lo
	v_cmpx_gt_u32_e64 s3, v20
	s_cbranch_execnz .LBB2554_167
.LBB2554_15:
	s_wait_alu 0xfffe
	s_or_b32 exec_lo, exec_lo, s0
	s_delay_alu instid0(SALU_CYCLE_1)
	s_mov_b32 s0, exec_lo
	v_cmpx_gt_u32_e64 s3, v19
	s_cbranch_execz .LBB2554_17
.LBB2554_16:
	v_add_co_u32 v14, s1, s8, v11
	s_wait_alu 0xf1ff
	v_add_co_ci_u32_e64 v15, null, s9, 0, s1
	flat_load_b32 v8, v[14:15] offset:5376
.LBB2554_17:
	s_wait_alu 0xfffe
	s_or_b32 exec_lo, exec_lo, s0
	v_lshrrev_b32_e32 v13, 3, v13
	v_lshrrev_b32_e32 v14, 3, v24
	;; [unrolled: 1-line block ×4, first 2 shown]
	v_and_b32_e32 v12, 28, v12
	v_lshrrev_b32_e32 v17, 3, v21
	v_lshrrev_b32_e32 v18, 3, v20
	;; [unrolled: 1-line block ×3, first 2 shown]
	v_and_b32_e32 v13, 60, v13
	v_and_b32_e32 v14, 0x7c, v14
	;; [unrolled: 1-line block ×4, first 2 shown]
	v_add_nc_u32_e32 v12, v12, v11
	v_and_b32_e32 v17, 0xfc, v17
	v_and_b32_e32 v18, 0xfc, v18
	;; [unrolled: 1-line block ×3, first 2 shown]
	v_add_nc_u32_e32 v13, v13, v11
	v_add_nc_u32_e32 v14, v14, v11
	;; [unrolled: 1-line block ×7, first 2 shown]
	ds_store_b32 v12, v1
	s_wait_loadcnt_dscnt 0x1
	ds_store_b32 v13, v2 offset:768
	ds_store_b32 v14, v3 offset:1536
	;; [unrolled: 1-line block ×7, first 2 shown]
	s_wait_dscnt 0x0
	s_barrier_signal -1
	s_barrier_wait -1
.LBB2554_18:
	v_and_b32_e32 v1, 0xfc, v0
	s_wait_loadcnt 0x0
	global_inv scope:SCOPE_SE
	v_lshrrev_b32_e32 v37, 5, v0
	s_add_nc_u64 s[0:1], s[16:17], s[10:11]
	s_and_b32 vcc_lo, exec_lo, s19
	v_lshl_add_u32 v1, v0, 5, v1
	s_wait_alu 0xfffe
	s_add_nc_u64 s[0:1], s[0:1], s[6:7]
	s_mov_b32 s6, -1
	ds_load_2addr_b32 v[17:18], v1 offset1:1
	ds_load_2addr_b32 v[15:16], v1 offset0:2 offset1:3
	ds_load_2addr_b32 v[13:14], v1 offset0:4 offset1:5
	ds_load_2addr_b32 v[11:12], v1 offset0:6 offset1:7
	s_wait_loadcnt_dscnt 0x0
	s_barrier_signal -1
	s_barrier_wait -1
	global_inv scope:SCOPE_SE
	s_cbranch_vccz .LBB2554_20
; %bb.19:
	s_clause 0x7
	global_load_u8 v1, v0, s[0:1]
	global_load_u8 v2, v0, s[0:1] offset:192
	global_load_u8 v3, v0, s[0:1] offset:384
	;; [unrolled: 1-line block ×7, first 2 shown]
	v_add_nc_u32_e32 v26, 0xc0, v0
	v_lshrrev_b32_e32 v27, 5, v24
	v_lshrrev_b32_e32 v28, 5, v23
	;; [unrolled: 1-line block ×3, first 2 shown]
	v_and_b32_e32 v25, 4, v37
	v_lshrrev_b32_e32 v26, 5, v26
	v_lshrrev_b32_e32 v30, 5, v21
	;; [unrolled: 1-line block ×4, first 2 shown]
	v_and_b32_e32 v27, 28, v27
	v_and_b32_e32 v26, 12, v26
	v_and_b32_e32 v28, 28, v28
	v_and_b32_e32 v29, 28, v29
	v_add_nc_u32_e32 v25, v25, v0
	v_and_b32_e32 v30, 60, v30
	v_and_b32_e32 v31, 44, v31
	;; [unrolled: 1-line block ×3, first 2 shown]
	v_add_nc_u32_e32 v26, v26, v0
	v_add_nc_u32_e32 v27, v27, v0
	;; [unrolled: 1-line block ×4, first 2 shown]
	s_mov_b32 s6, 0
	v_add_nc_u32_e32 v30, v30, v0
	v_add_nc_u32_e32 v31, v31, v0
	;; [unrolled: 1-line block ×3, first 2 shown]
	s_wait_loadcnt 0x7
	v_xor_b32_e32 v1, 1, v1
	s_wait_loadcnt 0x6
	v_xor_b32_e32 v2, 1, v2
	;; [unrolled: 2-line block ×8, first 2 shown]
	ds_store_b8 v25, v1
	ds_store_b8 v26, v2 offset:192
	ds_store_b8 v27, v3 offset:384
	;; [unrolled: 1-line block ×7, first 2 shown]
	s_wait_dscnt 0x0
	s_barrier_signal -1
	s_barrier_wait -1
.LBB2554_20:
	v_lshlrev_b32_e32 v40, 3, v0
	v_lshrrev_b32_e32 v1, 2, v0
	s_and_not1_b32 vcc_lo, exec_lo, s6
	s_cbranch_vccnz .LBB2554_32
; %bb.21:
	v_mov_b32_e32 v2, 0
	s_mov_b32 s6, exec_lo
	s_delay_alu instid0(VALU_DEP_1)
	v_dual_mov_b32 v3, v2 :: v_dual_mov_b32 v4, v2
	v_cmpx_gt_u32_e64 s3, v0
	s_cbranch_execz .LBB2554_23
; %bb.22:
	global_load_u8 v2, v0, s[0:1]
	v_mov_b32_e32 v3, s7
	s_wait_loadcnt 0x0
	v_xor_b32_e32 v4, 1, v2
	s_delay_alu instid0(VALU_DEP_1) | instskip(NEXT) | instid1(VALU_DEP_1)
	v_and_b32_e32 v2, 1, v4
	v_and_b32_e32 v2, 0xffff, v2
.LBB2554_23:
	s_or_b32 exec_lo, exec_lo, s6
	v_add_nc_u32_e32 v5, 0xc0, v0
	s_mov_b32 s6, exec_lo
	s_delay_alu instid0(VALU_DEP_1)
	v_cmpx_gt_u32_e64 s3, v5
	s_cbranch_execnz .LBB2554_168
; %bb.24:
	s_wait_alu 0xfffe
	s_or_b32 exec_lo, exec_lo, s6
	s_delay_alu instid0(SALU_CYCLE_1)
	s_mov_b32 s6, exec_lo
	v_cmpx_gt_u32_e64 s3, v24
	s_cbranch_execnz .LBB2554_169
.LBB2554_25:
	s_wait_alu 0xfffe
	s_or_b32 exec_lo, exec_lo, s6
	s_delay_alu instid0(SALU_CYCLE_1)
	s_mov_b32 s6, exec_lo
	v_cmpx_gt_u32_e64 s3, v23
	s_cbranch_execnz .LBB2554_170
.LBB2554_26:
	s_wait_alu 0xfffe
	s_or_b32 exec_lo, exec_lo, s6
	s_delay_alu instid0(SALU_CYCLE_1)
	s_mov_b32 s6, exec_lo
	v_cmpx_gt_u32_e64 s3, v22
	s_cbranch_execnz .LBB2554_171
.LBB2554_27:
	s_wait_alu 0xfffe
	s_or_b32 exec_lo, exec_lo, s6
	s_delay_alu instid0(SALU_CYCLE_1)
	s_mov_b32 s6, exec_lo
	v_cmpx_gt_u32_e64 s3, v21
	s_cbranch_execnz .LBB2554_172
.LBB2554_28:
	s_wait_alu 0xfffe
	s_or_b32 exec_lo, exec_lo, s6
	s_delay_alu instid0(SALU_CYCLE_1)
	s_mov_b32 s6, exec_lo
	v_cmpx_gt_u32_e64 s3, v20
	s_cbranch_execnz .LBB2554_173
.LBB2554_29:
	s_wait_alu 0xfffe
	s_or_b32 exec_lo, exec_lo, s6
	v_cmp_gt_u32_e32 vcc_lo, s3, v19
	s_and_saveexec_b32 s3, vcc_lo
	s_cbranch_execz .LBB2554_31
.LBB2554_30:
	global_load_u8 v6, v0, s[0:1] offset:1344
	v_lshrrev_b32_e32 v7, 16, v3
	s_delay_alu instid0(VALU_DEP_1) | instskip(SKIP_2) | instid1(VALU_DEP_1)
	v_and_b32_e32 v7, 0xff, v7
	s_wait_loadcnt 0x0
	v_xor_b32_e32 v6, 1, v6
	v_lshlrev_b16 v6, 8, v6
	s_delay_alu instid0(VALU_DEP_1) | instskip(NEXT) | instid1(VALU_DEP_1)
	v_or_b32_e32 v6, v7, v6
	v_lshlrev_b32_e32 v6, 16, v6
	s_delay_alu instid0(VALU_DEP_1)
	v_and_or_b32 v3, 0xffff, v3, v6
.LBB2554_31:
	s_wait_alu 0xfffe
	s_or_b32 exec_lo, exec_lo, s3
	v_lshrrev_b32_e32 v5, 5, v5
	v_lshrrev_b32_e32 v6, 5, v24
	;; [unrolled: 1-line block ×4, first 2 shown]
	v_and_b32_e32 v7, 4, v37
	v_lshrrev_b32_e32 v21, 5, v21
	v_lshrrev_b32_e32 v20, 5, v20
	;; [unrolled: 1-line block ×3, first 2 shown]
	v_and_b32_e32 v5, 12, v5
	v_and_b32_e32 v6, 28, v6
	;; [unrolled: 1-line block ×4, first 2 shown]
	v_add_nc_u32_e32 v7, v7, v0
	v_and_b32_e32 v21, 60, v21
	v_and_b32_e32 v20, 60, v20
	v_and_b32_e32 v19, 60, v19
	v_lshrrev_b32_e32 v8, 8, v2
	v_add_nc_u32_e32 v5, v5, v0
	v_add_nc_u32_e32 v6, v6, v0
	v_lshrrev_b32_e32 v24, 24, v2
	v_add_nc_u32_e32 v23, v23, v0
	v_add_nc_u32_e32 v22, v22, v0
	;; [unrolled: 3-line block ×3, first 2 shown]
	v_lshrrev_b32_e32 v26, 24, v3
	v_add_nc_u32_e32 v19, v19, v0
	ds_store_b8 v7, v4
	ds_store_b8 v5, v8 offset:192
	ds_store_b8_d16_hi v6, v2 offset:384
	ds_store_b8 v23, v24 offset:576
	ds_store_b8 v22, v3 offset:768
	;; [unrolled: 1-line block ×3, first 2 shown]
	ds_store_b8_d16_hi v20, v3 offset:1152
	ds_store_b8 v19, v26 offset:1344
	s_wait_loadcnt_dscnt 0x0
	s_barrier_signal -1
	s_barrier_wait -1
.LBB2554_32:
	s_delay_alu instid0(VALU_DEP_1)
	v_dual_mov_b32 v2, 0 :: v_dual_and_b32 v1, 60, v1
	s_wait_loadcnt 0x0
	global_inv scope:SCOPE_SE
	v_mbcnt_lo_u32_b32 v47, -1, 0
	s_cmp_lg_u32 s20, 0
	v_add_nc_u32_e32 v1, v1, v40
	s_mov_b32 s1, -1
	s_delay_alu instid0(VALU_DEP_2)
	v_and_b32_e32 v48, 15, v47
	ds_load_2addr_b32 v[19:20], v1 offset1:1
	s_wait_loadcnt_dscnt 0x0
	s_barrier_signal -1
	s_barrier_wait -1
	global_inv scope:SCOPE_SE
	v_and_b32_e32 v43, 0xff, v19
	v_bfe_u32 v42, v19, 8, 8
	v_bfe_u32 v41, v19, 16, 8
	v_lshrrev_b32_e32 v39, 24, v19
	v_and_b32_e32 v46, 0xff, v20
	v_bfe_u32 v45, v20, 8, 8
	v_bfe_u32 v44, v20, 16, 8
	v_add3_u32 v1, v42, v43, v41
	v_lshrrev_b32_e32 v38, 24, v20
	s_delay_alu instid0(VALU_DEP_2) | instskip(SKIP_3) | instid1(VALU_DEP_3)
	v_add_co_u32 v1, s0, v1, v39
	s_wait_alu 0xf1fe
	v_add_co_ci_u32_e64 v3, null, 0, 0, s0
	v_cmp_ne_u32_e64 s0, 0, v48
	v_add_co_u32 v1, vcc_lo, v1, v46
	s_delay_alu instid0(VALU_DEP_1) | instskip(NEXT) | instid1(VALU_DEP_2)
	v_add_co_ci_u32_e64 v3, null, 0, v3, vcc_lo
	v_add_co_u32 v1, vcc_lo, v1, v45
	s_wait_alu 0xfffd
	s_delay_alu instid0(VALU_DEP_2) | instskip(NEXT) | instid1(VALU_DEP_2)
	v_add_co_ci_u32_e64 v3, null, 0, v3, vcc_lo
	v_add_co_u32 v1, vcc_lo, v1, v44
	s_wait_alu 0xfffd
	s_delay_alu instid0(VALU_DEP_2) | instskip(NEXT) | instid1(VALU_DEP_2)
	v_add_co_ci_u32_e64 v3, null, 0, v3, vcc_lo
	v_add_co_u32 v21, vcc_lo, v1, v38
	s_wait_alu 0xfffd
	s_delay_alu instid0(VALU_DEP_2)
	v_add_co_ci_u32_e64 v22, null, 0, v3, vcc_lo
	s_cbranch_scc0 .LBB2554_89
; %bb.33:
	v_mov_b32_e32 v3, v21
	v_mov_b32_dpp v1, v21 row_shr:1 row_mask:0xf bank_mask:0xf
	v_mov_b32_dpp v6, v2 row_shr:1 row_mask:0xf bank_mask:0xf
	v_dual_mov_b32 v5, v21 :: v_dual_mov_b32 v4, v22
	s_and_saveexec_b32 s1, s0
; %bb.34:
	s_delay_alu instid0(VALU_DEP_3) | instskip(SKIP_2) | instid1(VALU_DEP_2)
	v_add_co_u32 v5, vcc_lo, v21, v1
	s_wait_alu 0xfffd
	v_add_co_ci_u32_e64 v2, null, 0, v22, vcc_lo
	v_add_co_u32 v1, vcc_lo, 0, v5
	s_wait_alu 0xfffd
	s_delay_alu instid0(VALU_DEP_2) | instskip(NEXT) | instid1(VALU_DEP_1)
	v_add_co_ci_u32_e64 v2, null, v6, v2, vcc_lo
	v_dual_mov_b32 v4, v2 :: v_dual_mov_b32 v3, v1
; %bb.35:
	s_wait_alu 0xfffe
	s_or_b32 exec_lo, exec_lo, s1
	v_mov_b32_dpp v1, v5 row_shr:2 row_mask:0xf bank_mask:0xf
	v_mov_b32_dpp v6, v2 row_shr:2 row_mask:0xf bank_mask:0xf
	s_mov_b32 s1, exec_lo
	v_cmpx_lt_u32_e32 1, v48
; %bb.36:
	s_delay_alu instid0(VALU_DEP_3) | instskip(SKIP_2) | instid1(VALU_DEP_2)
	v_add_co_u32 v5, vcc_lo, v3, v1
	s_wait_alu 0xfffd
	v_add_co_ci_u32_e64 v2, null, 0, v4, vcc_lo
	v_add_co_u32 v1, vcc_lo, 0, v5
	s_wait_alu 0xfffd
	s_delay_alu instid0(VALU_DEP_2) | instskip(NEXT) | instid1(VALU_DEP_1)
	v_add_co_ci_u32_e64 v2, null, v6, v2, vcc_lo
	v_dual_mov_b32 v4, v2 :: v_dual_mov_b32 v3, v1
; %bb.37:
	s_wait_alu 0xfffe
	s_or_b32 exec_lo, exec_lo, s1
	v_mov_b32_dpp v1, v5 row_shr:4 row_mask:0xf bank_mask:0xf
	v_mov_b32_dpp v6, v2 row_shr:4 row_mask:0xf bank_mask:0xf
	s_mov_b32 s1, exec_lo
	v_cmpx_lt_u32_e32 3, v48
	;; [unrolled: 17-line block ×3, first 2 shown]
; %bb.40:
	s_delay_alu instid0(VALU_DEP_3) | instskip(SKIP_2) | instid1(VALU_DEP_2)
	v_add_co_u32 v5, vcc_lo, v3, v6
	s_wait_alu 0xfffd
	v_add_co_ci_u32_e64 v2, null, 0, v4, vcc_lo
	v_add_co_u32 v3, vcc_lo, 0, v5
	s_wait_alu 0xfffd
	s_delay_alu instid0(VALU_DEP_2) | instskip(NEXT) | instid1(VALU_DEP_1)
	v_add_co_ci_u32_e64 v4, null, v1, v2, vcc_lo
	v_mov_b32_e32 v2, v4
; %bb.41:
	s_wait_alu 0xfffe
	s_or_b32 exec_lo, exec_lo, s1
	ds_swizzle_b32 v1, v5 offset:swizzle(BROADCAST,32,15)
	ds_swizzle_b32 v6, v2 offset:swizzle(BROADCAST,32,15)
	v_and_b32_e32 v7, 16, v47
	s_mov_b32 s1, exec_lo
	s_delay_alu instid0(VALU_DEP_1)
	v_cmpx_ne_u32_e32 0, v7
	s_cbranch_execz .LBB2554_43
; %bb.42:
	s_wait_dscnt 0x1
	v_add_co_u32 v5, vcc_lo, v3, v1
	s_wait_alu 0xfffd
	v_add_co_ci_u32_e64 v2, null, 0, v4, vcc_lo
	s_delay_alu instid0(VALU_DEP_2) | instskip(SKIP_2) | instid1(VALU_DEP_2)
	v_add_co_u32 v1, vcc_lo, 0, v5
	s_wait_dscnt 0x0
	s_wait_alu 0xfffd
	v_add_co_ci_u32_e64 v2, null, v6, v2, vcc_lo
	s_delay_alu instid0(VALU_DEP_1)
	v_dual_mov_b32 v4, v2 :: v_dual_mov_b32 v3, v1
.LBB2554_43:
	s_wait_alu 0xfffe
	s_or_b32 exec_lo, exec_lo, s1
	s_wait_dscnt 0x1
	v_and_b32_e32 v1, 0xe0, v0
	s_mov_b32 s1, exec_lo
	s_delay_alu instid0(VALU_DEP_1) | instskip(NEXT) | instid1(VALU_DEP_1)
	v_min_u32_e32 v1, 0xa0, v1
	v_or_b32_e32 v1, 31, v1
	s_delay_alu instid0(VALU_DEP_1)
	v_cmpx_eq_u32_e64 v0, v1
; %bb.44:
	v_lshlrev_b32_e32 v1, 3, v37
	ds_store_b64 v1, v[3:4]
; %bb.45:
	s_wait_alu 0xfffe
	s_or_b32 exec_lo, exec_lo, s1
	s_delay_alu instid0(SALU_CYCLE_1)
	s_mov_b32 s1, exec_lo
	s_wait_loadcnt_dscnt 0x0
	s_barrier_signal -1
	s_barrier_wait -1
	global_inv scope:SCOPE_SE
	v_cmpx_gt_u32_e32 6, v0
	s_cbranch_execz .LBB2554_53
; %bb.46:
	ds_load_b64 v[3:4], v40
	v_and_b32_e32 v1, 7, v47
	s_mov_b32 s3, exec_lo
	s_wait_dscnt 0x0
	v_mov_b32_dpp v8, v3 row_shr:1 row_mask:0xf bank_mask:0xf
	v_mov_b32_dpp v7, v4 row_shr:1 row_mask:0xf bank_mask:0xf
	v_mov_b32_e32 v6, v3
	v_cmpx_ne_u32_e32 0, v1
; %bb.47:
	s_delay_alu instid0(VALU_DEP_4) | instskip(SKIP_2) | instid1(VALU_DEP_2)
	v_add_co_u32 v6, vcc_lo, v3, v8
	s_wait_alu 0xfffd
	v_add_co_ci_u32_e64 v4, null, 0, v4, vcc_lo
	v_add_co_u32 v3, vcc_lo, 0, v6
	s_wait_alu 0xfffd
	s_delay_alu instid0(VALU_DEP_2)
	v_add_co_ci_u32_e64 v4, null, v7, v4, vcc_lo
; %bb.48:
	s_wait_alu 0xfffe
	s_or_b32 exec_lo, exec_lo, s3
	v_mov_b32_dpp v8, v6 row_shr:2 row_mask:0xf bank_mask:0xf
	s_delay_alu instid0(VALU_DEP_2)
	v_mov_b32_dpp v7, v4 row_shr:2 row_mask:0xf bank_mask:0xf
	s_mov_b32 s3, exec_lo
	v_cmpx_lt_u32_e32 1, v1
; %bb.49:
	s_delay_alu instid0(VALU_DEP_3) | instskip(SKIP_2) | instid1(VALU_DEP_2)
	v_add_co_u32 v6, vcc_lo, v3, v8
	s_wait_alu 0xfffd
	v_add_co_ci_u32_e64 v4, null, 0, v4, vcc_lo
	v_add_co_u32 v3, vcc_lo, 0, v6
	s_wait_alu 0xfffd
	s_delay_alu instid0(VALU_DEP_2)
	v_add_co_ci_u32_e64 v4, null, v7, v4, vcc_lo
; %bb.50:
	s_wait_alu 0xfffe
	s_or_b32 exec_lo, exec_lo, s3
	v_mov_b32_dpp v7, v6 row_shr:4 row_mask:0xf bank_mask:0xf
	s_delay_alu instid0(VALU_DEP_2)
	v_mov_b32_dpp v6, v4 row_shr:4 row_mask:0xf bank_mask:0xf
	s_mov_b32 s3, exec_lo
	v_cmpx_lt_u32_e32 3, v1
; %bb.51:
	s_delay_alu instid0(VALU_DEP_3) | instskip(SKIP_2) | instid1(VALU_DEP_2)
	v_add_co_u32 v1, vcc_lo, v3, v7
	s_wait_alu 0xfffd
	v_add_co_ci_u32_e64 v4, null, 0, v4, vcc_lo
	v_add_co_u32 v3, vcc_lo, v1, 0
	s_wait_alu 0xfffd
	s_delay_alu instid0(VALU_DEP_2)
	v_add_co_ci_u32_e64 v4, null, v4, v6, vcc_lo
; %bb.52:
	s_wait_alu 0xfffe
	s_or_b32 exec_lo, exec_lo, s3
	ds_store_b64 v40, v[3:4]
.LBB2554_53:
	s_wait_alu 0xfffe
	s_or_b32 exec_lo, exec_lo, s1
	s_delay_alu instid0(SALU_CYCLE_1)
	s_mov_b32 s3, exec_lo
	v_cmp_gt_u32_e32 vcc_lo, 32, v0
	s_wait_loadcnt_dscnt 0x0
	s_barrier_signal -1
	s_barrier_wait -1
	global_inv scope:SCOPE_SE
                                        ; implicit-def: $vgpr23_vgpr24
	v_cmpx_lt_u32_e32 31, v0
	s_cbranch_execz .LBB2554_55
; %bb.54:
	v_lshl_add_u32 v1, v37, 3, -8
	ds_load_b64 v[23:24], v1
	s_wait_dscnt 0x0
	v_add_co_u32 v5, s1, v5, v23
	s_wait_alu 0xf1ff
	v_add_co_ci_u32_e64 v2, null, v2, v24, s1
.LBB2554_55:
	s_wait_alu 0xfffe
	s_or_b32 exec_lo, exec_lo, s3
	v_sub_co_u32 v1, s1, v47, 1
	s_delay_alu instid0(VALU_DEP_1) | instskip(SKIP_1) | instid1(VALU_DEP_1)
	v_cmp_gt_i32_e64 s3, 0, v1
	s_wait_alu 0xf1ff
	v_cndmask_b32_e64 v1, v1, v47, s3
	s_delay_alu instid0(VALU_DEP_1)
	v_lshlrev_b32_e32 v1, 2, v1
	ds_bpermute_b32 v29, v1, v5
	ds_bpermute_b32 v30, v1, v2
	s_and_saveexec_b32 s3, vcc_lo
	s_cbranch_execz .LBB2554_94
; %bb.56:
	v_mov_b32_e32 v4, 0
	ds_load_b64 v[1:2], v4 offset:40
	s_and_saveexec_b32 s6, s1
	s_cbranch_execz .LBB2554_58
; %bb.57:
	s_add_co_i32 s8, s20, 32
	s_mov_b32 s9, 0
	s_wait_alu 0xfffe
	s_lshl_b64 s[8:9], s[8:9], 4
	s_wait_alu 0xfffe
	s_add_nc_u64 s[8:9], s[14:15], s[8:9]
	v_mov_b32_e32 v3, 1
	s_wait_alu 0xfffe
	v_dual_mov_b32 v5, s8 :: v_dual_mov_b32 v6, s9
	s_wait_dscnt 0x0
	;;#ASMSTART
	global_store_b128 v[5:6], v[1:4] off scope:SCOPE_DEV	
s_wait_storecnt 0x0
	;;#ASMEND
.LBB2554_58:
	s_wait_alu 0xfffe
	s_or_b32 exec_lo, exec_lo, s6
	v_xad_u32 v25, v47, -1, s20
	s_mov_b32 s6, exec_lo
	s_delay_alu instid0(VALU_DEP_1) | instskip(NEXT) | instid1(VALU_DEP_1)
	v_add_nc_u32_e32 v3, 32, v25
	v_lshlrev_b64_e32 v[3:4], 4, v[3:4]
	s_delay_alu instid0(VALU_DEP_1) | instskip(SKIP_1) | instid1(VALU_DEP_2)
	v_add_co_u32 v3, vcc_lo, s14, v3
	s_wait_alu 0xfffd
	v_add_co_ci_u32_e64 v4, null, s15, v4, vcc_lo
	;;#ASMSTART
	global_load_b128 v[5:8], v[3:4] off scope:SCOPE_DEV	
s_wait_loadcnt 0x0
	;;#ASMEND
	v_and_b32_e32 v8, 0xff, v7
	s_delay_alu instid0(VALU_DEP_1)
	v_cmpx_eq_u16_e32 0, v8
	s_cbranch_execz .LBB2554_61
.LBB2554_59:                            ; =>This Inner Loop Header: Depth=1
	;;#ASMSTART
	global_load_b128 v[5:8], v[3:4] off scope:SCOPE_DEV	
s_wait_loadcnt 0x0
	;;#ASMEND
	v_and_b32_e32 v8, 0xff, v7
	s_delay_alu instid0(VALU_DEP_1)
	v_cmp_ne_u16_e32 vcc_lo, 0, v8
	s_or_b32 s7, vcc_lo, s7
	s_wait_alu 0xfffe
	s_and_not1_b32 exec_lo, exec_lo, s7
	s_cbranch_execnz .LBB2554_59
; %bb.60:
	s_or_b32 exec_lo, exec_lo, s7
.LBB2554_61:
	s_wait_alu 0xfffe
	s_or_b32 exec_lo, exec_lo, s6
	v_cmp_ne_u32_e32 vcc_lo, 31, v47
	v_and_b32_e32 v4, 0xff, v7
	v_lshlrev_b32_e64 v32, v47, -1
	s_mov_b32 s6, exec_lo
	s_wait_alu 0xfffd
	v_add_co_ci_u32_e64 v3, null, 0, v47, vcc_lo
	v_cmp_eq_u16_e32 vcc_lo, 2, v4
	s_delay_alu instid0(VALU_DEP_2)
	v_dual_mov_b32 v4, v5 :: v_dual_lshlrev_b32 v31, 2, v3
	s_wait_alu 0xfffd
	v_and_or_b32 v3, vcc_lo, v32, 0x80000000
	ds_bpermute_b32 v26, v31, v5
	ds_bpermute_b32 v8, v31, v6
	v_ctz_i32_b32_e32 v3, v3
	s_delay_alu instid0(VALU_DEP_1)
	v_cmpx_lt_u32_e64 v47, v3
	s_cbranch_execz .LBB2554_63
; %bb.62:
	s_wait_dscnt 0x1
	v_add_co_u32 v4, vcc_lo, v5, v26
	s_wait_alu 0xfffd
	v_add_co_ci_u32_e64 v6, null, 0, v6, vcc_lo
	s_delay_alu instid0(VALU_DEP_2) | instskip(SKIP_2) | instid1(VALU_DEP_2)
	v_add_co_u32 v5, vcc_lo, 0, v4
	s_wait_dscnt 0x0
	s_wait_alu 0xfffd
	v_add_co_ci_u32_e64 v6, null, v8, v6, vcc_lo
.LBB2554_63:
	s_wait_alu 0xfffe
	s_or_b32 exec_lo, exec_lo, s6
	v_cmp_gt_u32_e32 vcc_lo, 30, v47
	v_add_nc_u32_e32 v34, 2, v47
	s_mov_b32 s6, exec_lo
	s_wait_dscnt 0x0
	s_wait_alu 0xfffd
	v_cndmask_b32_e64 v8, 0, 2, vcc_lo
	s_delay_alu instid0(VALU_DEP_1)
	v_add_lshl_u32 v33, v8, v47, 2
	ds_bpermute_b32 v26, v33, v4
	ds_bpermute_b32 v8, v33, v6
	v_cmpx_le_u32_e64 v34, v3
	s_cbranch_execz .LBB2554_65
; %bb.64:
	s_wait_dscnt 0x1
	v_add_co_u32 v4, vcc_lo, v5, v26
	s_wait_alu 0xfffd
	v_add_co_ci_u32_e64 v6, null, 0, v6, vcc_lo
	s_delay_alu instid0(VALU_DEP_2) | instskip(SKIP_2) | instid1(VALU_DEP_2)
	v_add_co_u32 v5, vcc_lo, 0, v4
	s_wait_dscnt 0x0
	s_wait_alu 0xfffd
	v_add_co_ci_u32_e64 v6, null, v8, v6, vcc_lo
.LBB2554_65:
	s_wait_alu 0xfffe
	s_or_b32 exec_lo, exec_lo, s6
	v_cmp_gt_u32_e32 vcc_lo, 28, v47
	v_add_nc_u32_e32 v36, 4, v47
	s_mov_b32 s6, exec_lo
	s_wait_dscnt 0x0
	s_wait_alu 0xfffd
	v_cndmask_b32_e64 v8, 0, 4, vcc_lo
	s_delay_alu instid0(VALU_DEP_1)
	v_add_lshl_u32 v35, v8, v47, 2
	ds_bpermute_b32 v26, v35, v4
	ds_bpermute_b32 v8, v35, v6
	v_cmpx_le_u32_e64 v36, v3
	;; [unrolled: 25-line block ×3, first 2 shown]
	s_cbranch_execz .LBB2554_69
; %bb.68:
	s_wait_dscnt 0x1
	v_add_co_u32 v4, vcc_lo, v5, v26
	s_wait_alu 0xfffd
	v_add_co_ci_u32_e64 v6, null, 0, v6, vcc_lo
	s_delay_alu instid0(VALU_DEP_2) | instskip(SKIP_2) | instid1(VALU_DEP_2)
	v_add_co_u32 v5, vcc_lo, 0, v4
	s_wait_dscnt 0x0
	s_wait_alu 0xfffd
	v_add_co_ci_u32_e64 v6, null, v8, v6, vcc_lo
.LBB2554_69:
	s_wait_alu 0xfffe
	s_or_b32 exec_lo, exec_lo, s6
	v_lshl_or_b32 v51, v47, 2, 64
	v_add_nc_u32_e32 v52, 16, v47
	s_mov_b32 s6, exec_lo
	s_wait_dscnt 0x0
	ds_bpermute_b32 v8, v51, v4
	ds_bpermute_b32 v4, v51, v6
	v_cmpx_le_u32_e64 v52, v3
	s_cbranch_execz .LBB2554_71
; %bb.70:
	s_wait_dscnt 0x1
	v_add_co_u32 v3, vcc_lo, v5, v8
	s_wait_alu 0xfffd
	v_add_co_ci_u32_e64 v6, null, 0, v6, vcc_lo
	s_delay_alu instid0(VALU_DEP_2) | instskip(SKIP_2) | instid1(VALU_DEP_2)
	v_add_co_u32 v5, vcc_lo, v3, 0
	s_wait_dscnt 0x0
	s_wait_alu 0xfffd
	v_add_co_ci_u32_e64 v6, null, v6, v4, vcc_lo
.LBB2554_71:
	s_wait_alu 0xfffe
	s_or_b32 exec_lo, exec_lo, s6
	v_mov_b32_e32 v26, 0
	s_branch .LBB2554_74
.LBB2554_72:                            ;   in Loop: Header=BB2554_74 Depth=1
	s_wait_alu 0xfffe
	s_or_b32 exec_lo, exec_lo, s6
	v_add_co_u32 v5, vcc_lo, v5, v3
	v_subrev_nc_u32_e32 v25, 32, v25
	s_wait_alu 0xfffd
	v_add_co_ci_u32_e64 v6, null, v6, v4, vcc_lo
	s_mov_b32 s6, 0
.LBB2554_73:                            ;   in Loop: Header=BB2554_74 Depth=1
	s_wait_alu 0xfffe
	s_and_b32 vcc_lo, exec_lo, s6
	s_wait_alu 0xfffe
	s_cbranch_vccnz .LBB2554_90
.LBB2554_74:                            ; =>This Loop Header: Depth=1
                                        ;     Child Loop BB2554_77 Depth 2
	v_and_b32_e32 v3, 0xff, v7
	s_mov_b32 s6, -1
	s_delay_alu instid0(VALU_DEP_1)
	v_cmp_ne_u16_e32 vcc_lo, 2, v3
	s_wait_dscnt 0x0
	v_dual_mov_b32 v3, v5 :: v_dual_mov_b32 v4, v6
                                        ; implicit-def: $vgpr5_vgpr6
	s_cmp_lg_u32 vcc_lo, exec_lo
	s_cbranch_scc1 .LBB2554_73
; %bb.75:                               ;   in Loop: Header=BB2554_74 Depth=1
	v_lshlrev_b64_e32 v[5:6], 4, v[25:26]
	s_mov_b32 s6, exec_lo
	s_delay_alu instid0(VALU_DEP_1) | instskip(SKIP_1) | instid1(VALU_DEP_2)
	v_add_co_u32 v27, vcc_lo, s14, v5
	s_wait_alu 0xfffd
	v_add_co_ci_u32_e64 v28, null, s15, v6, vcc_lo
	;;#ASMSTART
	global_load_b128 v[5:8], v[27:28] off scope:SCOPE_DEV	
s_wait_loadcnt 0x0
	;;#ASMEND
	v_and_b32_e32 v8, 0xff, v7
	s_delay_alu instid0(VALU_DEP_1)
	v_cmpx_eq_u16_e32 0, v8
	s_cbranch_execz .LBB2554_79
; %bb.76:                               ;   in Loop: Header=BB2554_74 Depth=1
	s_mov_b32 s7, 0
.LBB2554_77:                            ;   Parent Loop BB2554_74 Depth=1
                                        ; =>  This Inner Loop Header: Depth=2
	;;#ASMSTART
	global_load_b128 v[5:8], v[27:28] off scope:SCOPE_DEV	
s_wait_loadcnt 0x0
	;;#ASMEND
	v_and_b32_e32 v8, 0xff, v7
	s_delay_alu instid0(VALU_DEP_1)
	v_cmp_ne_u16_e32 vcc_lo, 0, v8
	s_wait_alu 0xfffe
	s_or_b32 s7, vcc_lo, s7
	s_wait_alu 0xfffe
	s_and_not1_b32 exec_lo, exec_lo, s7
	s_cbranch_execnz .LBB2554_77
; %bb.78:                               ;   in Loop: Header=BB2554_74 Depth=1
	s_or_b32 exec_lo, exec_lo, s7
.LBB2554_79:                            ;   in Loop: Header=BB2554_74 Depth=1
	s_wait_alu 0xfffe
	s_or_b32 exec_lo, exec_lo, s6
	v_dual_mov_b32 v27, v5 :: v_dual_and_b32 v8, 0xff, v7
	ds_bpermute_b32 v53, v31, v5
	ds_bpermute_b32 v28, v31, v6
	s_mov_b32 s6, exec_lo
	v_cmp_eq_u16_e32 vcc_lo, 2, v8
	s_wait_alu 0xfffd
	v_and_or_b32 v8, vcc_lo, v32, 0x80000000
	s_delay_alu instid0(VALU_DEP_1) | instskip(NEXT) | instid1(VALU_DEP_1)
	v_ctz_i32_b32_e32 v8, v8
	v_cmpx_lt_u32_e64 v47, v8
	s_cbranch_execz .LBB2554_81
; %bb.80:                               ;   in Loop: Header=BB2554_74 Depth=1
	s_wait_dscnt 0x1
	v_add_co_u32 v27, vcc_lo, v5, v53
	s_wait_alu 0xfffd
	v_add_co_ci_u32_e64 v6, null, 0, v6, vcc_lo
	s_delay_alu instid0(VALU_DEP_2) | instskip(SKIP_2) | instid1(VALU_DEP_2)
	v_add_co_u32 v5, vcc_lo, 0, v27
	s_wait_dscnt 0x0
	s_wait_alu 0xfffd
	v_add_co_ci_u32_e64 v6, null, v28, v6, vcc_lo
.LBB2554_81:                            ;   in Loop: Header=BB2554_74 Depth=1
	s_wait_alu 0xfffe
	s_or_b32 exec_lo, exec_lo, s6
	s_wait_dscnt 0x1
	ds_bpermute_b32 v53, v33, v27
	s_wait_dscnt 0x1
	ds_bpermute_b32 v28, v33, v6
	s_mov_b32 s6, exec_lo
	v_cmpx_le_u32_e64 v34, v8
	s_cbranch_execz .LBB2554_83
; %bb.82:                               ;   in Loop: Header=BB2554_74 Depth=1
	s_wait_dscnt 0x1
	v_add_co_u32 v27, vcc_lo, v5, v53
	s_wait_alu 0xfffd
	v_add_co_ci_u32_e64 v6, null, 0, v6, vcc_lo
	s_delay_alu instid0(VALU_DEP_2) | instskip(SKIP_2) | instid1(VALU_DEP_2)
	v_add_co_u32 v5, vcc_lo, 0, v27
	s_wait_dscnt 0x0
	s_wait_alu 0xfffd
	v_add_co_ci_u32_e64 v6, null, v28, v6, vcc_lo
.LBB2554_83:                            ;   in Loop: Header=BB2554_74 Depth=1
	s_wait_alu 0xfffe
	s_or_b32 exec_lo, exec_lo, s6
	s_wait_dscnt 0x1
	ds_bpermute_b32 v53, v35, v27
	s_wait_dscnt 0x1
	ds_bpermute_b32 v28, v35, v6
	s_mov_b32 s6, exec_lo
	v_cmpx_le_u32_e64 v36, v8
	;; [unrolled: 20-line block ×3, first 2 shown]
	s_cbranch_execz .LBB2554_87
; %bb.86:                               ;   in Loop: Header=BB2554_74 Depth=1
	s_wait_dscnt 0x1
	v_add_co_u32 v27, vcc_lo, v5, v53
	s_wait_alu 0xfffd
	v_add_co_ci_u32_e64 v6, null, 0, v6, vcc_lo
	s_delay_alu instid0(VALU_DEP_2) | instskip(SKIP_2) | instid1(VALU_DEP_2)
	v_add_co_u32 v5, vcc_lo, 0, v27
	s_wait_dscnt 0x0
	s_wait_alu 0xfffd
	v_add_co_ci_u32_e64 v6, null, v28, v6, vcc_lo
.LBB2554_87:                            ;   in Loop: Header=BB2554_74 Depth=1
	s_wait_alu 0xfffe
	s_or_b32 exec_lo, exec_lo, s6
	s_wait_dscnt 0x0
	ds_bpermute_b32 v28, v51, v27
	ds_bpermute_b32 v27, v51, v6
	s_mov_b32 s6, exec_lo
	v_cmpx_le_u32_e64 v52, v8
	s_cbranch_execz .LBB2554_72
; %bb.88:                               ;   in Loop: Header=BB2554_74 Depth=1
	s_wait_dscnt 0x1
	v_add_co_u32 v5, vcc_lo, v5, v28
	s_wait_alu 0xfffd
	v_add_co_ci_u32_e64 v6, null, 0, v6, vcc_lo
	s_delay_alu instid0(VALU_DEP_2) | instskip(SKIP_2) | instid1(VALU_DEP_2)
	v_add_co_u32 v5, vcc_lo, v5, 0
	s_wait_dscnt 0x0
	s_wait_alu 0xfffd
	v_add_co_ci_u32_e64 v6, null, v6, v27, vcc_lo
	s_branch .LBB2554_72
.LBB2554_89:
                                        ; implicit-def: $vgpr23_vgpr24
                                        ; implicit-def: $vgpr6_vgpr7
                                        ; implicit-def: $vgpr25_vgpr26
                                        ; implicit-def: $vgpr27_vgpr28
                                        ; implicit-def: $vgpr29_vgpr30
                                        ; implicit-def: $vgpr31_vgpr32
                                        ; implicit-def: $vgpr33_vgpr34
                                        ; implicit-def: $vgpr35_vgpr36
                                        ; implicit-def: $vgpr4_vgpr5
	s_and_b32 vcc_lo, exec_lo, s1
	s_wait_alu 0xfffe
	s_cbranch_vccnz .LBB2554_95
	s_branch .LBB2554_120
.LBB2554_90:
	s_and_saveexec_b32 s6, s1
	s_cbranch_execz .LBB2554_92
; %bb.91:
	s_add_co_i32 s8, s20, 32
	s_mov_b32 s9, 0
	v_add_co_u32 v5, vcc_lo, v3, v1
	s_wait_alu 0xfffe
	s_lshl_b64 s[8:9], s[8:9], 4
	v_dual_mov_b32 v7, 2 :: v_dual_mov_b32 v8, 0
	s_wait_alu 0xfffe
	s_add_nc_u64 s[8:9], s[14:15], s[8:9]
	s_wait_alu 0xfffd
	v_add_co_ci_u32_e64 v6, null, v4, v2, vcc_lo
	s_wait_alu 0xfffe
	v_dual_mov_b32 v26, s9 :: v_dual_mov_b32 v25, s8
	;;#ASMSTART
	global_store_b128 v[25:26], v[5:8] off scope:SCOPE_DEV	
s_wait_storecnt 0x0
	;;#ASMEND
	ds_store_b128 v8, v[1:4] offset:6336
.LBB2554_92:
	s_wait_alu 0xfffe
	s_or_b32 exec_lo, exec_lo, s6
	s_delay_alu instid0(SALU_CYCLE_1)
	s_and_b32 exec_lo, exec_lo, s2
; %bb.93:
	v_mov_b32_e32 v1, 0
	ds_store_b64 v1, v[3:4] offset:40
.LBB2554_94:
	s_wait_alu 0xfffe
	s_or_b32 exec_lo, exec_lo, s3
	v_mov_b32_e32 v3, 0
	s_wait_loadcnt_dscnt 0x0
	s_barrier_signal -1
	s_barrier_wait -1
	global_inv scope:SCOPE_SE
	ds_load_b64 v[1:2], v3 offset:40
	v_cndmask_b32_e64 v4, v29, v23, s1
	v_cndmask_b32_e64 v5, v30, v24, s1
	s_wait_loadcnt_dscnt 0x0
	s_barrier_signal -1
	s_barrier_wait -1
	v_cndmask_b32_e64 v4, v4, 0, s2
	v_cndmask_b32_e64 v5, v5, 0, s2
	global_inv scope:SCOPE_SE
	v_add_co_u32 v35, vcc_lo, v1, v4
	s_wait_alu 0xfffd
	v_add_co_ci_u32_e64 v36, null, v2, v5, vcc_lo
	ds_load_b128 v[2:5], v3 offset:6336
	v_add_co_u32 v33, vcc_lo, v35, v43
	s_wait_alu 0xfffd
	v_add_co_ci_u32_e64 v34, null, 0, v36, vcc_lo
	s_delay_alu instid0(VALU_DEP_2) | instskip(SKIP_1) | instid1(VALU_DEP_2)
	v_add_co_u32 v31, vcc_lo, v33, v42
	s_wait_alu 0xfffd
	v_add_co_ci_u32_e64 v32, null, 0, v34, vcc_lo
	s_delay_alu instid0(VALU_DEP_2) | instskip(SKIP_1) | instid1(VALU_DEP_2)
	;; [unrolled: 4-line block ×6, first 2 shown]
	v_add_co_u32 v23, vcc_lo, v6, v44
	s_wait_alu 0xfffd
	v_add_co_ci_u32_e64 v24, null, 0, v7, vcc_lo
	s_branch .LBB2554_120
.LBB2554_95:
	s_wait_dscnt 0x0
	v_dual_mov_b32 v2, 0 :: v_dual_mov_b32 v3, v21
	v_mov_b32_dpp v4, v21 row_shr:1 row_mask:0xf bank_mask:0xf
	s_delay_alu instid0(VALU_DEP_2)
	v_mov_b32_dpp v1, v2 row_shr:1 row_mask:0xf bank_mask:0xf
	s_and_saveexec_b32 s1, s0
; %bb.96:
	s_delay_alu instid0(VALU_DEP_2) | instskip(SKIP_2) | instid1(VALU_DEP_2)
	v_add_co_u32 v3, vcc_lo, v21, v4
	s_wait_alu 0xfffd
	v_add_co_ci_u32_e64 v2, null, 0, v22, vcc_lo
	v_add_co_u32 v21, vcc_lo, 0, v3
	s_wait_alu 0xfffd
	s_delay_alu instid0(VALU_DEP_2) | instskip(NEXT) | instid1(VALU_DEP_1)
	v_add_co_ci_u32_e64 v22, null, v1, v2, vcc_lo
	v_mov_b32_e32 v2, v22
; %bb.97:
	s_wait_alu 0xfffe
	s_or_b32 exec_lo, exec_lo, s1
	v_mov_b32_dpp v1, v3 row_shr:2 row_mask:0xf bank_mask:0xf
	s_delay_alu instid0(VALU_DEP_2)
	v_mov_b32_dpp v4, v2 row_shr:2 row_mask:0xf bank_mask:0xf
	s_mov_b32 s0, exec_lo
	v_cmpx_lt_u32_e32 1, v48
; %bb.98:
	s_delay_alu instid0(VALU_DEP_3) | instskip(SKIP_2) | instid1(VALU_DEP_2)
	v_add_co_u32 v3, vcc_lo, v21, v1
	s_wait_alu 0xfffd
	v_add_co_ci_u32_e64 v2, null, 0, v22, vcc_lo
	v_add_co_u32 v1, vcc_lo, 0, v3
	s_wait_alu 0xfffd
	s_delay_alu instid0(VALU_DEP_2) | instskip(NEXT) | instid1(VALU_DEP_1)
	v_add_co_ci_u32_e64 v2, null, v4, v2, vcc_lo
	v_dual_mov_b32 v22, v2 :: v_dual_mov_b32 v21, v1
; %bb.99:
	s_wait_alu 0xfffe
	s_or_b32 exec_lo, exec_lo, s0
	v_mov_b32_dpp v1, v3 row_shr:4 row_mask:0xf bank_mask:0xf
	v_mov_b32_dpp v4, v2 row_shr:4 row_mask:0xf bank_mask:0xf
	s_mov_b32 s0, exec_lo
	v_cmpx_lt_u32_e32 3, v48
; %bb.100:
	s_delay_alu instid0(VALU_DEP_3) | instskip(SKIP_2) | instid1(VALU_DEP_2)
	v_add_co_u32 v3, vcc_lo, v21, v1
	s_wait_alu 0xfffd
	v_add_co_ci_u32_e64 v2, null, 0, v22, vcc_lo
	v_add_co_u32 v1, vcc_lo, 0, v3
	s_wait_alu 0xfffd
	s_delay_alu instid0(VALU_DEP_2) | instskip(NEXT) | instid1(VALU_DEP_1)
	v_add_co_ci_u32_e64 v2, null, v4, v2, vcc_lo
	v_dual_mov_b32 v22, v2 :: v_dual_mov_b32 v21, v1
; %bb.101:
	s_wait_alu 0xfffe
	s_or_b32 exec_lo, exec_lo, s0
	v_mov_b32_dpp v4, v3 row_shr:8 row_mask:0xf bank_mask:0xf
	v_mov_b32_dpp v1, v2 row_shr:8 row_mask:0xf bank_mask:0xf
	s_mov_b32 s0, exec_lo
	v_cmpx_lt_u32_e32 7, v48
; %bb.102:
	s_delay_alu instid0(VALU_DEP_3) | instskip(SKIP_2) | instid1(VALU_DEP_2)
	v_add_co_u32 v3, vcc_lo, v21, v4
	s_wait_alu 0xfffd
	v_add_co_ci_u32_e64 v2, null, 0, v22, vcc_lo
	v_add_co_u32 v21, vcc_lo, 0, v3
	s_wait_alu 0xfffd
	s_delay_alu instid0(VALU_DEP_2) | instskip(NEXT) | instid1(VALU_DEP_1)
	v_add_co_ci_u32_e64 v22, null, v1, v2, vcc_lo
	v_mov_b32_e32 v2, v22
; %bb.103:
	s_wait_alu 0xfffe
	s_or_b32 exec_lo, exec_lo, s0
	ds_swizzle_b32 v3, v3 offset:swizzle(BROADCAST,32,15)
	ds_swizzle_b32 v1, v2 offset:swizzle(BROADCAST,32,15)
	v_and_b32_e32 v2, 16, v47
	s_mov_b32 s0, exec_lo
	s_delay_alu instid0(VALU_DEP_1)
	v_cmpx_ne_u32_e32 0, v2
	s_cbranch_execz .LBB2554_105
; %bb.104:
	s_wait_dscnt 0x1
	v_add_co_u32 v2, vcc_lo, v21, v3
	s_wait_alu 0xfffd
	v_add_co_ci_u32_e64 v3, null, 0, v22, vcc_lo
	s_delay_alu instid0(VALU_DEP_2) | instskip(SKIP_2) | instid1(VALU_DEP_2)
	v_add_co_u32 v21, vcc_lo, v2, 0
	s_wait_dscnt 0x0
	s_wait_alu 0xfffd
	v_add_co_ci_u32_e64 v22, null, v3, v1, vcc_lo
.LBB2554_105:
	s_wait_alu 0xfffe
	s_or_b32 exec_lo, exec_lo, s0
	s_wait_dscnt 0x0
	v_and_b32_e32 v1, 0xe0, v0
	s_mov_b32 s0, exec_lo
	s_delay_alu instid0(VALU_DEP_1) | instskip(NEXT) | instid1(VALU_DEP_1)
	v_min_u32_e32 v1, 0xa0, v1
	v_or_b32_e32 v1, 31, v1
	s_delay_alu instid0(VALU_DEP_1)
	v_cmpx_eq_u32_e64 v0, v1
; %bb.106:
	v_lshlrev_b32_e32 v1, 3, v37
	ds_store_b64 v1, v[21:22]
; %bb.107:
	s_wait_alu 0xfffe
	s_or_b32 exec_lo, exec_lo, s0
	s_delay_alu instid0(SALU_CYCLE_1)
	s_mov_b32 s0, exec_lo
	s_wait_loadcnt_dscnt 0x0
	s_barrier_signal -1
	s_barrier_wait -1
	global_inv scope:SCOPE_SE
	v_cmpx_gt_u32_e32 6, v0
	s_cbranch_execz .LBB2554_115
; %bb.108:
	ds_load_b64 v[1:2], v40
	v_and_b32_e32 v3, 7, v47
	s_mov_b32 s1, exec_lo
	s_wait_dscnt 0x0
	v_mov_b32_dpp v6, v1 row_shr:1 row_mask:0xf bank_mask:0xf
	v_mov_b32_dpp v5, v2 row_shr:1 row_mask:0xf bank_mask:0xf
	v_mov_b32_e32 v4, v1
	v_cmpx_ne_u32_e32 0, v3
; %bb.109:
	s_delay_alu instid0(VALU_DEP_4) | instskip(SKIP_2) | instid1(VALU_DEP_2)
	v_add_co_u32 v4, vcc_lo, v1, v6
	s_wait_alu 0xfffd
	v_add_co_ci_u32_e64 v2, null, 0, v2, vcc_lo
	v_add_co_u32 v1, vcc_lo, 0, v4
	s_wait_alu 0xfffd
	s_delay_alu instid0(VALU_DEP_2)
	v_add_co_ci_u32_e64 v2, null, v5, v2, vcc_lo
; %bb.110:
	s_wait_alu 0xfffe
	s_or_b32 exec_lo, exec_lo, s1
	v_mov_b32_dpp v6, v4 row_shr:2 row_mask:0xf bank_mask:0xf
	s_delay_alu instid0(VALU_DEP_2)
	v_mov_b32_dpp v5, v2 row_shr:2 row_mask:0xf bank_mask:0xf
	s_mov_b32 s1, exec_lo
	v_cmpx_lt_u32_e32 1, v3
; %bb.111:
	s_delay_alu instid0(VALU_DEP_3) | instskip(SKIP_2) | instid1(VALU_DEP_2)
	v_add_co_u32 v4, vcc_lo, v1, v6
	s_wait_alu 0xfffd
	v_add_co_ci_u32_e64 v2, null, 0, v2, vcc_lo
	v_add_co_u32 v1, vcc_lo, 0, v4
	s_wait_alu 0xfffd
	s_delay_alu instid0(VALU_DEP_2)
	v_add_co_ci_u32_e64 v2, null, v5, v2, vcc_lo
; %bb.112:
	s_wait_alu 0xfffe
	s_or_b32 exec_lo, exec_lo, s1
	v_mov_b32_dpp v5, v4 row_shr:4 row_mask:0xf bank_mask:0xf
	s_delay_alu instid0(VALU_DEP_2)
	v_mov_b32_dpp v4, v2 row_shr:4 row_mask:0xf bank_mask:0xf
	s_mov_b32 s1, exec_lo
	v_cmpx_lt_u32_e32 3, v3
; %bb.113:
	s_delay_alu instid0(VALU_DEP_3) | instskip(SKIP_2) | instid1(VALU_DEP_2)
	v_add_co_u32 v1, vcc_lo, v1, v5
	s_wait_alu 0xfffd
	v_add_co_ci_u32_e64 v2, null, 0, v2, vcc_lo
	v_add_co_u32 v1, vcc_lo, v1, 0
	s_wait_alu 0xfffd
	s_delay_alu instid0(VALU_DEP_2)
	v_add_co_ci_u32_e64 v2, null, v2, v4, vcc_lo
; %bb.114:
	s_wait_alu 0xfffe
	s_or_b32 exec_lo, exec_lo, s1
	ds_store_b64 v40, v[1:2]
.LBB2554_115:
	s_wait_alu 0xfffe
	s_or_b32 exec_lo, exec_lo, s0
	v_mov_b32_e32 v6, 0
	v_mov_b32_e32 v7, 0
	s_mov_b32 s0, exec_lo
	s_wait_loadcnt_dscnt 0x0
	s_barrier_signal -1
	s_barrier_wait -1
	global_inv scope:SCOPE_SE
	v_cmpx_lt_u32_e32 31, v0
; %bb.116:
	v_lshl_add_u32 v1, v37, 3, -8
	ds_load_b64 v[6:7], v1
; %bb.117:
	s_wait_alu 0xfffe
	s_or_b32 exec_lo, exec_lo, s0
	v_sub_co_u32 v1, vcc_lo, v47, 1
	v_mov_b32_e32 v5, 0
	s_delay_alu instid0(VALU_DEP_2) | instskip(SKIP_1) | instid1(VALU_DEP_1)
	v_cmp_gt_i32_e64 s0, 0, v1
	s_wait_alu 0xf1ff
	v_cndmask_b32_e64 v1, v1, v47, s0
	s_delay_alu instid0(VALU_DEP_1)
	v_lshlrev_b32_e32 v2, 2, v1
	s_wait_dscnt 0x0
	v_add_co_u32 v1, s0, v6, v21
	s_wait_alu 0xf1ff
	v_add_co_ci_u32_e64 v3, null, v7, v22, s0
	ds_bpermute_b32 v1, v2, v1
	ds_bpermute_b32 v8, v2, v3
	ds_load_b64 v[2:3], v5 offset:40
	s_and_saveexec_b32 s0, s2
	s_cbranch_execz .LBB2554_119
; %bb.118:
	s_add_nc_u64 s[6:7], s[14:15], 0x200
	v_mov_b32_e32 v4, 2
	s_wait_alu 0xfffe
	v_dual_mov_b32 v22, s7 :: v_dual_mov_b32 v21, s6
	s_wait_dscnt 0x0
	;;#ASMSTART
	global_store_b128 v[21:22], v[2:5] off scope:SCOPE_DEV	
s_wait_storecnt 0x0
	;;#ASMEND
.LBB2554_119:
	s_wait_alu 0xfffe
	s_or_b32 exec_lo, exec_lo, s0
	s_wait_dscnt 0x1
	s_wait_alu 0xfffd
	v_dual_cndmask_b32 v1, v1, v6 :: v_dual_cndmask_b32 v4, v8, v7
	s_wait_loadcnt_dscnt 0x0
	s_barrier_signal -1
	s_barrier_wait -1
	s_delay_alu instid0(VALU_DEP_1)
	v_cndmask_b32_e64 v35, v1, 0, s2
	v_cndmask_b32_e64 v36, v4, 0, s2
	v_mov_b32_e32 v4, 0
	v_mov_b32_e32 v5, 0
	global_inv scope:SCOPE_SE
	v_add_co_u32 v33, vcc_lo, v35, v43
	s_wait_alu 0xfffd
	v_add_co_ci_u32_e64 v34, null, 0, v36, vcc_lo
	s_delay_alu instid0(VALU_DEP_2) | instskip(SKIP_1) | instid1(VALU_DEP_2)
	v_add_co_u32 v31, vcc_lo, v33, v42
	s_wait_alu 0xfffd
	v_add_co_ci_u32_e64 v32, null, 0, v34, vcc_lo
	s_delay_alu instid0(VALU_DEP_2) | instskip(SKIP_1) | instid1(VALU_DEP_2)
	;; [unrolled: 4-line block ×6, first 2 shown]
	v_add_co_u32 v23, vcc_lo, v6, v44
	s_wait_alu 0xfffd
	v_add_co_ci_u32_e64 v24, null, 0, v7, vcc_lo
.LBB2554_120:
	v_lshrrev_b32_e32 v40, 8, v19
	v_lshrrev_b32_e32 v37, 16, v19
	v_and_b32_e32 v19, 1, v19
	s_wait_dscnt 0x0
	v_cmp_gt_u64_e32 vcc_lo, 0xc1, v[2:3]
	v_lshrrev_b32_e32 v8, 8, v20
	v_lshrrev_b32_e32 v1, 16, v20
	s_mov_b32 s1, -1
	v_cmp_eq_u32_e64 s0, 1, v19
	s_cbranch_vccnz .LBB2554_124
; %bb.121:
	s_wait_alu 0xfffe
	s_and_b32 vcc_lo, exec_lo, s1
	s_wait_alu 0xfffe
	s_cbranch_vccnz .LBB2554_141
.LBB2554_122:
	s_and_b32 s0, s2, s18
	s_wait_alu 0xfffe
	s_and_saveexec_b32 s1, s0
	s_cbranch_execnz .LBB2554_161
.LBB2554_123:
	s_endpgm
.LBB2554_124:
	v_add_co_u32 v21, vcc_lo, v4, v2
	s_wait_alu 0xfffd
	v_add_co_ci_u32_e64 v22, null, v5, v3, vcc_lo
	v_lshlrev_b64_e32 v[41:42], 2, v[9:10]
	s_delay_alu instid0(VALU_DEP_2) | instskip(NEXT) | instid1(VALU_DEP_2)
	v_cmp_lt_u64_e32 vcc_lo, v[35:36], v[21:22]
	v_add_co_u32 v41, s1, s12, v41
	s_wait_alu 0xf1fe
	s_delay_alu instid0(VALU_DEP_3)
	v_add_co_ci_u32_e64 v42, null, s13, v42, s1
	s_or_b32 s1, s19, vcc_lo
	s_wait_alu 0xfffe
	s_and_b32 s1, s1, s0
	s_wait_alu 0xfffe
	s_and_saveexec_b32 s0, s1
	s_cbranch_execz .LBB2554_126
; %bb.125:
	v_lshlrev_b64_e32 v[43:44], 2, v[35:36]
	s_delay_alu instid0(VALU_DEP_1) | instskip(SKIP_1) | instid1(VALU_DEP_2)
	v_add_co_u32 v43, vcc_lo, v41, v43
	s_wait_alu 0xfffd
	v_add_co_ci_u32_e64 v44, null, v42, v44, vcc_lo
	global_store_b32 v[43:44], v17, off
.LBB2554_126:
	s_wait_alu 0xfffe
	s_or_b32 exec_lo, exec_lo, s0
	v_and_b32_e32 v36, 1, v40
	v_cmp_lt_u64_e32 vcc_lo, v[33:34], v[21:22]
	s_delay_alu instid0(VALU_DEP_2)
	v_cmp_eq_u32_e64 s0, 1, v36
	s_or_b32 s1, s19, vcc_lo
	s_wait_alu 0xfffe
	s_and_b32 s1, s1, s0
	s_wait_alu 0xfffe
	s_and_saveexec_b32 s0, s1
	s_cbranch_execz .LBB2554_128
; %bb.127:
	v_lshlrev_b64_e32 v[43:44], 2, v[33:34]
	s_delay_alu instid0(VALU_DEP_1) | instskip(SKIP_1) | instid1(VALU_DEP_2)
	v_add_co_u32 v43, vcc_lo, v41, v43
	s_wait_alu 0xfffd
	v_add_co_ci_u32_e64 v44, null, v42, v44, vcc_lo
	global_store_b32 v[43:44], v18, off
.LBB2554_128:
	s_wait_alu 0xfffe
	s_or_b32 exec_lo, exec_lo, s0
	v_and_b32_e32 v34, 1, v37
	v_cmp_lt_u64_e32 vcc_lo, v[31:32], v[21:22]
	s_delay_alu instid0(VALU_DEP_2)
	v_cmp_eq_u32_e64 s0, 1, v34
	;; [unrolled: 20-line block ×7, first 2 shown]
	s_or_b32 s1, s19, vcc_lo
	s_wait_alu 0xfffe
	s_and_b32 s1, s1, s0
	s_wait_alu 0xfffe
	s_and_saveexec_b32 s0, s1
	s_cbranch_execz .LBB2554_140
; %bb.139:
	v_lshlrev_b64_e32 v[21:22], 2, v[23:24]
	s_delay_alu instid0(VALU_DEP_1) | instskip(SKIP_1) | instid1(VALU_DEP_2)
	v_add_co_u32 v21, vcc_lo, v41, v21
	s_wait_alu 0xfffd
	v_add_co_ci_u32_e64 v22, null, v42, v22, vcc_lo
	global_store_b32 v[21:22], v12, off
.LBB2554_140:
	s_wait_alu 0xfffe
	s_or_b32 exec_lo, exec_lo, s0
	s_branch .LBB2554_122
.LBB2554_141:
	s_mov_b32 s0, exec_lo
	v_cmpx_eq_u32_e32 1, v19
; %bb.142:
	v_sub_nc_u32_e32 v7, v35, v4
	s_delay_alu instid0(VALU_DEP_1)
	v_lshlrev_b32_e32 v7, 2, v7
	ds_store_b32 v7, v17
; %bb.143:
	s_wait_alu 0xfffe
	s_or_b32 exec_lo, exec_lo, s0
	v_and_b32_e32 v7, 1, v40
	s_mov_b32 s0, exec_lo
	s_delay_alu instid0(VALU_DEP_1)
	v_cmpx_eq_u32_e32 1, v7
; %bb.144:
	v_sub_nc_u32_e32 v7, v33, v4
	s_delay_alu instid0(VALU_DEP_1)
	v_lshlrev_b32_e32 v7, 2, v7
	ds_store_b32 v7, v18
; %bb.145:
	s_wait_alu 0xfffe
	s_or_b32 exec_lo, exec_lo, s0
	v_and_b32_e32 v7, 1, v37
	s_mov_b32 s0, exec_lo
	s_delay_alu instid0(VALU_DEP_1)
	;; [unrolled: 12-line block ×7, first 2 shown]
	v_cmpx_eq_u32_e32 1, v1
; %bb.156:
	v_sub_nc_u32_e32 v1, v23, v4
	s_delay_alu instid0(VALU_DEP_1)
	v_lshlrev_b32_e32 v1, 2, v1
	ds_store_b32 v1, v12
; %bb.157:
	s_wait_alu 0xfffe
	s_or_b32 exec_lo, exec_lo, s0
	v_mov_b32_e32 v1, 0
	s_mov_b32 s1, exec_lo
	s_wait_storecnt 0x0
	s_wait_loadcnt_dscnt 0x0
	s_barrier_signal -1
	s_barrier_wait -1
	global_inv scope:SCOPE_SE
	v_cmpx_gt_u64_e64 v[2:3], v[0:1]
	s_cbranch_execz .LBB2554_160
; %bb.158:
	v_lshlrev_b64_e32 v[6:7], 2, v[9:10]
	v_lshlrev_b64_e32 v[11:12], 2, v[4:5]
	s_mov_b32 s3, 0
	s_delay_alu instid0(VALU_DEP_2) | instskip(SKIP_1) | instid1(VALU_DEP_3)
	v_add_co_u32 v8, vcc_lo, s12, v6
	s_wait_alu 0xfffd
	v_add_co_ci_u32_e64 v13, null, s13, v7, vcc_lo
	v_dual_mov_b32 v7, v1 :: v_dual_mov_b32 v6, v0
	s_delay_alu instid0(VALU_DEP_3) | instskip(SKIP_1) | instid1(VALU_DEP_3)
	v_add_co_u32 v8, vcc_lo, v8, v11
	s_wait_alu 0xfffd
	v_add_co_ci_u32_e64 v11, null, v13, v12, vcc_lo
	v_add_nc_u32_e32 v0, 0xc0, v0
.LBB2554_159:                           ; =>This Inner Loop Header: Depth=1
	v_lshlrev_b32_e32 v12, 2, v6
	s_delay_alu instid0(VALU_DEP_2)
	v_cmp_le_u64_e32 vcc_lo, v[2:3], v[0:1]
	ds_load_b32 v14, v12
	v_lshlrev_b64_e32 v[12:13], 2, v[6:7]
	v_dual_mov_b32 v7, v1 :: v_dual_mov_b32 v6, v0
	v_add_nc_u32_e32 v0, 0xc0, v0
	s_wait_alu 0xfffe
	s_or_b32 s3, vcc_lo, s3
	s_delay_alu instid0(VALU_DEP_3)
	v_add_co_u32 v12, s0, v8, v12
	s_wait_alu 0xf1ff
	v_add_co_ci_u32_e64 v13, null, v11, v13, s0
	s_wait_dscnt 0x0
	global_store_b32 v[12:13], v14, off
	s_wait_alu 0xfffe
	s_and_not1_b32 exec_lo, exec_lo, s3
	s_cbranch_execnz .LBB2554_159
.LBB2554_160:
	s_wait_alu 0xfffe
	s_or_b32 exec_lo, exec_lo, s1
	s_and_b32 s0, s2, s18
	s_wait_alu 0xfffe
	s_and_saveexec_b32 s1, s0
	s_cbranch_execz .LBB2554_123
.LBB2554_161:
	v_add_co_u32 v0, vcc_lo, v4, v2
	s_wait_alu 0xfffd
	v_add_co_ci_u32_e64 v1, null, v5, v3, vcc_lo
	v_mov_b32_e32 v2, 0
	s_delay_alu instid0(VALU_DEP_3) | instskip(SKIP_1) | instid1(VALU_DEP_3)
	v_add_co_u32 v0, vcc_lo, v0, v9
	s_wait_alu 0xfffd
	v_add_co_ci_u32_e64 v1, null, v1, v10, vcc_lo
	global_store_b64 v2, v[0:1], s[4:5]
	s_endpgm
.LBB2554_162:
	v_add_co_u32 v14, s1, s8, v11
	s_wait_alu 0xf1ff
	v_add_co_ci_u32_e64 v15, null, s9, 0, s1
	flat_load_b32 v2, v[14:15] offset:768
	s_wait_alu 0xfffe
	s_or_b32 exec_lo, exec_lo, s0
	s_delay_alu instid0(SALU_CYCLE_1)
	s_mov_b32 s0, exec_lo
	v_cmpx_gt_u32_e64 s3, v24
	s_cbranch_execz .LBB2554_11
.LBB2554_163:
	v_add_co_u32 v14, s1, s8, v11
	s_wait_alu 0xf1ff
	v_add_co_ci_u32_e64 v15, null, s9, 0, s1
	flat_load_b32 v3, v[14:15] offset:1536
	s_wait_alu 0xfffe
	s_or_b32 exec_lo, exec_lo, s0
	s_delay_alu instid0(SALU_CYCLE_1)
	s_mov_b32 s0, exec_lo
	v_cmpx_gt_u32_e64 s3, v23
	s_cbranch_execz .LBB2554_12
.LBB2554_164:
	v_add_co_u32 v14, s1, s8, v11
	s_wait_alu 0xf1ff
	v_add_co_ci_u32_e64 v15, null, s9, 0, s1
	flat_load_b32 v4, v[14:15] offset:2304
	s_wait_alu 0xfffe
	s_or_b32 exec_lo, exec_lo, s0
	s_delay_alu instid0(SALU_CYCLE_1)
	s_mov_b32 s0, exec_lo
	v_cmpx_gt_u32_e64 s3, v22
	s_cbranch_execz .LBB2554_13
.LBB2554_165:
	v_add_co_u32 v14, s1, s8, v11
	s_wait_alu 0xf1ff
	v_add_co_ci_u32_e64 v15, null, s9, 0, s1
	flat_load_b32 v5, v[14:15] offset:3072
	s_wait_alu 0xfffe
	s_or_b32 exec_lo, exec_lo, s0
	s_delay_alu instid0(SALU_CYCLE_1)
	s_mov_b32 s0, exec_lo
	v_cmpx_gt_u32_e64 s3, v21
	s_cbranch_execz .LBB2554_14
.LBB2554_166:
	v_add_co_u32 v14, s1, s8, v11
	s_wait_alu 0xf1ff
	v_add_co_ci_u32_e64 v15, null, s9, 0, s1
	flat_load_b32 v6, v[14:15] offset:3840
	s_wait_alu 0xfffe
	s_or_b32 exec_lo, exec_lo, s0
	s_delay_alu instid0(SALU_CYCLE_1)
	s_mov_b32 s0, exec_lo
	v_cmpx_gt_u32_e64 s3, v20
	s_cbranch_execz .LBB2554_15
.LBB2554_167:
	v_add_co_u32 v14, s1, s8, v11
	s_wait_alu 0xf1ff
	v_add_co_ci_u32_e64 v15, null, s9, 0, s1
	flat_load_b32 v7, v[14:15] offset:4608
	s_wait_alu 0xfffe
	s_or_b32 exec_lo, exec_lo, s0
	s_delay_alu instid0(SALU_CYCLE_1)
	s_mov_b32 s0, exec_lo
	v_cmpx_gt_u32_e64 s3, v19
	s_cbranch_execnz .LBB2554_16
	s_branch .LBB2554_17
.LBB2554_168:
	global_load_u8 v6, v0, s[0:1] offset:192
	v_and_b32_e32 v7, 0xff, v2
	s_wait_loadcnt 0x0
	v_xor_b32_e32 v6, 1, v6
	s_delay_alu instid0(VALU_DEP_1) | instskip(NEXT) | instid1(VALU_DEP_1)
	v_lshlrev_b16 v6, 8, v6
	v_or_b32_e32 v6, v7, v6
	s_delay_alu instid0(VALU_DEP_1) | instskip(NEXT) | instid1(VALU_DEP_1)
	v_and_b32_e32 v6, 0xffff, v6
	v_and_or_b32 v2, 0xffff0000, v2, v6
	s_wait_alu 0xfffe
	s_or_b32 exec_lo, exec_lo, s6
	s_delay_alu instid0(SALU_CYCLE_1)
	s_mov_b32 s6, exec_lo
	v_cmpx_gt_u32_e64 s3, v24
	s_cbranch_execz .LBB2554_25
.LBB2554_169:
	global_load_u8 v6, v0, s[0:1] offset:384
	v_lshrrev_b32_e32 v7, 16, v2
	s_delay_alu instid0(VALU_DEP_1) | instskip(SKIP_2) | instid1(VALU_DEP_1)
	v_and_b32_e32 v7, 0xffffff00, v7
	s_wait_loadcnt 0x0
	v_xor_b32_e32 v6, 1, v6
	v_or_b32_e32 v6, v6, v7
	s_delay_alu instid0(VALU_DEP_1) | instskip(NEXT) | instid1(VALU_DEP_1)
	v_lshlrev_b32_e32 v6, 16, v6
	v_and_or_b32 v2, 0xffff, v2, v6
	s_wait_alu 0xfffe
	s_or_b32 exec_lo, exec_lo, s6
	s_delay_alu instid0(SALU_CYCLE_1)
	s_mov_b32 s6, exec_lo
	v_cmpx_gt_u32_e64 s3, v23
	s_cbranch_execz .LBB2554_26
.LBB2554_170:
	global_load_u8 v6, v0, s[0:1] offset:576
	v_lshrrev_b32_e32 v7, 16, v2
	s_delay_alu instid0(VALU_DEP_1) | instskip(SKIP_2) | instid1(VALU_DEP_1)
	v_and_b32_e32 v7, 0xff, v7
	s_wait_loadcnt 0x0
	v_xor_b32_e32 v6, 1, v6
	v_lshlrev_b16 v6, 8, v6
	s_delay_alu instid0(VALU_DEP_1) | instskip(NEXT) | instid1(VALU_DEP_1)
	v_or_b32_e32 v6, v7, v6
	v_lshlrev_b32_e32 v6, 16, v6
	s_delay_alu instid0(VALU_DEP_1) | instskip(SKIP_2) | instid1(SALU_CYCLE_1)
	v_and_or_b32 v2, 0xffff, v2, v6
	s_wait_alu 0xfffe
	s_or_b32 exec_lo, exec_lo, s6
	s_mov_b32 s6, exec_lo
	v_cmpx_gt_u32_e64 s3, v22
	s_cbranch_execz .LBB2554_27
.LBB2554_171:
	global_load_u8 v6, v0, s[0:1] offset:768
	v_and_b32_e32 v7, 0xffffff00, v3
	s_wait_loadcnt 0x0
	v_xor_b32_e32 v6, 1, v6
	s_delay_alu instid0(VALU_DEP_1) | instskip(NEXT) | instid1(VALU_DEP_1)
	v_or_b32_e32 v6, v6, v7
	v_and_b32_e32 v6, 0xffff, v6
	s_delay_alu instid0(VALU_DEP_1) | instskip(SKIP_2) | instid1(SALU_CYCLE_1)
	v_and_or_b32 v3, 0xffff0000, v3, v6
	s_wait_alu 0xfffe
	s_or_b32 exec_lo, exec_lo, s6
	s_mov_b32 s6, exec_lo
	v_cmpx_gt_u32_e64 s3, v21
	s_cbranch_execz .LBB2554_28
.LBB2554_172:
	global_load_u8 v6, v0, s[0:1] offset:960
	v_and_b32_e32 v7, 0xff, v3
	s_wait_loadcnt 0x0
	v_xor_b32_e32 v6, 1, v6
	s_delay_alu instid0(VALU_DEP_1) | instskip(NEXT) | instid1(VALU_DEP_1)
	v_lshlrev_b16 v6, 8, v6
	v_or_b32_e32 v6, v7, v6
	s_delay_alu instid0(VALU_DEP_1) | instskip(NEXT) | instid1(VALU_DEP_1)
	v_and_b32_e32 v6, 0xffff, v6
	v_and_or_b32 v3, 0xffff0000, v3, v6
	s_wait_alu 0xfffe
	s_or_b32 exec_lo, exec_lo, s6
	s_delay_alu instid0(SALU_CYCLE_1)
	s_mov_b32 s6, exec_lo
	v_cmpx_gt_u32_e64 s3, v20
	s_cbranch_execz .LBB2554_29
.LBB2554_173:
	global_load_u8 v6, v0, s[0:1] offset:1152
	v_lshrrev_b32_e32 v7, 16, v3
	s_delay_alu instid0(VALU_DEP_1) | instskip(SKIP_2) | instid1(VALU_DEP_1)
	v_and_b32_e32 v7, 0xffffff00, v7
	s_wait_loadcnt 0x0
	v_xor_b32_e32 v6, 1, v6
	v_or_b32_e32 v6, v6, v7
	s_delay_alu instid0(VALU_DEP_1) | instskip(NEXT) | instid1(VALU_DEP_1)
	v_lshlrev_b32_e32 v6, 16, v6
	v_and_or_b32 v3, 0xffff, v3, v6
	s_wait_alu 0xfffe
	s_or_b32 exec_lo, exec_lo, s6
	v_cmp_gt_u32_e32 vcc_lo, s3, v19
	s_and_saveexec_b32 s3, vcc_lo
	s_cbranch_execnz .LBB2554_30
	s_branch .LBB2554_31
	.section	.rodata,"a",@progbits
	.p2align	6, 0x0
	.amdhsa_kernel _ZN7rocprim17ROCPRIM_400000_NS6detail17trampoline_kernelINS0_14default_configENS1_25partition_config_selectorILNS1_17partition_subalgoE5EiNS0_10empty_typeEbEEZZNS1_14partition_implILS5_5ELb0ES3_mN6thrust23THRUST_200600_302600_NS6detail15normal_iteratorINSA_10device_ptrIiEEEEPS6_NSA_18transform_iteratorINSB_9not_fun_tI7is_trueIiEEENSC_INSD_IbEEEENSA_11use_defaultESO_EENS0_5tupleIJSF_S6_EEENSQ_IJSG_SG_EEES6_PlJS6_EEE10hipError_tPvRmT3_T4_T5_T6_T7_T9_mT8_P12ihipStream_tbDpT10_ENKUlT_T0_E_clISt17integral_constantIbLb0EES1C_IbLb1EEEEDaS18_S19_EUlS18_E_NS1_11comp_targetILNS1_3genE10ELNS1_11target_archE1200ELNS1_3gpuE4ELNS1_3repE0EEENS1_30default_config_static_selectorELNS0_4arch9wavefront6targetE0EEEvT1_
		.amdhsa_group_segment_fixed_size 6352
		.amdhsa_private_segment_fixed_size 0
		.amdhsa_kernarg_size 136
		.amdhsa_user_sgpr_count 2
		.amdhsa_user_sgpr_dispatch_ptr 0
		.amdhsa_user_sgpr_queue_ptr 0
		.amdhsa_user_sgpr_kernarg_segment_ptr 1
		.amdhsa_user_sgpr_dispatch_id 0
		.amdhsa_user_sgpr_private_segment_size 0
		.amdhsa_wavefront_size32 1
		.amdhsa_uses_dynamic_stack 0
		.amdhsa_enable_private_segment 0
		.amdhsa_system_sgpr_workgroup_id_x 1
		.amdhsa_system_sgpr_workgroup_id_y 0
		.amdhsa_system_sgpr_workgroup_id_z 0
		.amdhsa_system_sgpr_workgroup_info 0
		.amdhsa_system_vgpr_workitem_id 0
		.amdhsa_next_free_vgpr 54
		.amdhsa_next_free_sgpr 24
		.amdhsa_reserve_vcc 1
		.amdhsa_float_round_mode_32 0
		.amdhsa_float_round_mode_16_64 0
		.amdhsa_float_denorm_mode_32 3
		.amdhsa_float_denorm_mode_16_64 3
		.amdhsa_fp16_overflow 0
		.amdhsa_workgroup_processor_mode 1
		.amdhsa_memory_ordered 1
		.amdhsa_forward_progress 1
		.amdhsa_inst_pref_size 74
		.amdhsa_round_robin_scheduling 0
		.amdhsa_exception_fp_ieee_invalid_op 0
		.amdhsa_exception_fp_denorm_src 0
		.amdhsa_exception_fp_ieee_div_zero 0
		.amdhsa_exception_fp_ieee_overflow 0
		.amdhsa_exception_fp_ieee_underflow 0
		.amdhsa_exception_fp_ieee_inexact 0
		.amdhsa_exception_int_div_zero 0
	.end_amdhsa_kernel
	.section	.text._ZN7rocprim17ROCPRIM_400000_NS6detail17trampoline_kernelINS0_14default_configENS1_25partition_config_selectorILNS1_17partition_subalgoE5EiNS0_10empty_typeEbEEZZNS1_14partition_implILS5_5ELb0ES3_mN6thrust23THRUST_200600_302600_NS6detail15normal_iteratorINSA_10device_ptrIiEEEEPS6_NSA_18transform_iteratorINSB_9not_fun_tI7is_trueIiEEENSC_INSD_IbEEEENSA_11use_defaultESO_EENS0_5tupleIJSF_S6_EEENSQ_IJSG_SG_EEES6_PlJS6_EEE10hipError_tPvRmT3_T4_T5_T6_T7_T9_mT8_P12ihipStream_tbDpT10_ENKUlT_T0_E_clISt17integral_constantIbLb0EES1C_IbLb1EEEEDaS18_S19_EUlS18_E_NS1_11comp_targetILNS1_3genE10ELNS1_11target_archE1200ELNS1_3gpuE4ELNS1_3repE0EEENS1_30default_config_static_selectorELNS0_4arch9wavefront6targetE0EEEvT1_,"axG",@progbits,_ZN7rocprim17ROCPRIM_400000_NS6detail17trampoline_kernelINS0_14default_configENS1_25partition_config_selectorILNS1_17partition_subalgoE5EiNS0_10empty_typeEbEEZZNS1_14partition_implILS5_5ELb0ES3_mN6thrust23THRUST_200600_302600_NS6detail15normal_iteratorINSA_10device_ptrIiEEEEPS6_NSA_18transform_iteratorINSB_9not_fun_tI7is_trueIiEEENSC_INSD_IbEEEENSA_11use_defaultESO_EENS0_5tupleIJSF_S6_EEENSQ_IJSG_SG_EEES6_PlJS6_EEE10hipError_tPvRmT3_T4_T5_T6_T7_T9_mT8_P12ihipStream_tbDpT10_ENKUlT_T0_E_clISt17integral_constantIbLb0EES1C_IbLb1EEEEDaS18_S19_EUlS18_E_NS1_11comp_targetILNS1_3genE10ELNS1_11target_archE1200ELNS1_3gpuE4ELNS1_3repE0EEENS1_30default_config_static_selectorELNS0_4arch9wavefront6targetE0EEEvT1_,comdat
.Lfunc_end2554:
	.size	_ZN7rocprim17ROCPRIM_400000_NS6detail17trampoline_kernelINS0_14default_configENS1_25partition_config_selectorILNS1_17partition_subalgoE5EiNS0_10empty_typeEbEEZZNS1_14partition_implILS5_5ELb0ES3_mN6thrust23THRUST_200600_302600_NS6detail15normal_iteratorINSA_10device_ptrIiEEEEPS6_NSA_18transform_iteratorINSB_9not_fun_tI7is_trueIiEEENSC_INSD_IbEEEENSA_11use_defaultESO_EENS0_5tupleIJSF_S6_EEENSQ_IJSG_SG_EEES6_PlJS6_EEE10hipError_tPvRmT3_T4_T5_T6_T7_T9_mT8_P12ihipStream_tbDpT10_ENKUlT_T0_E_clISt17integral_constantIbLb0EES1C_IbLb1EEEEDaS18_S19_EUlS18_E_NS1_11comp_targetILNS1_3genE10ELNS1_11target_archE1200ELNS1_3gpuE4ELNS1_3repE0EEENS1_30default_config_static_selectorELNS0_4arch9wavefront6targetE0EEEvT1_, .Lfunc_end2554-_ZN7rocprim17ROCPRIM_400000_NS6detail17trampoline_kernelINS0_14default_configENS1_25partition_config_selectorILNS1_17partition_subalgoE5EiNS0_10empty_typeEbEEZZNS1_14partition_implILS5_5ELb0ES3_mN6thrust23THRUST_200600_302600_NS6detail15normal_iteratorINSA_10device_ptrIiEEEEPS6_NSA_18transform_iteratorINSB_9not_fun_tI7is_trueIiEEENSC_INSD_IbEEEENSA_11use_defaultESO_EENS0_5tupleIJSF_S6_EEENSQ_IJSG_SG_EEES6_PlJS6_EEE10hipError_tPvRmT3_T4_T5_T6_T7_T9_mT8_P12ihipStream_tbDpT10_ENKUlT_T0_E_clISt17integral_constantIbLb0EES1C_IbLb1EEEEDaS18_S19_EUlS18_E_NS1_11comp_targetILNS1_3genE10ELNS1_11target_archE1200ELNS1_3gpuE4ELNS1_3repE0EEENS1_30default_config_static_selectorELNS0_4arch9wavefront6targetE0EEEvT1_
                                        ; -- End function
	.set _ZN7rocprim17ROCPRIM_400000_NS6detail17trampoline_kernelINS0_14default_configENS1_25partition_config_selectorILNS1_17partition_subalgoE5EiNS0_10empty_typeEbEEZZNS1_14partition_implILS5_5ELb0ES3_mN6thrust23THRUST_200600_302600_NS6detail15normal_iteratorINSA_10device_ptrIiEEEEPS6_NSA_18transform_iteratorINSB_9not_fun_tI7is_trueIiEEENSC_INSD_IbEEEENSA_11use_defaultESO_EENS0_5tupleIJSF_S6_EEENSQ_IJSG_SG_EEES6_PlJS6_EEE10hipError_tPvRmT3_T4_T5_T6_T7_T9_mT8_P12ihipStream_tbDpT10_ENKUlT_T0_E_clISt17integral_constantIbLb0EES1C_IbLb1EEEEDaS18_S19_EUlS18_E_NS1_11comp_targetILNS1_3genE10ELNS1_11target_archE1200ELNS1_3gpuE4ELNS1_3repE0EEENS1_30default_config_static_selectorELNS0_4arch9wavefront6targetE0EEEvT1_.num_vgpr, 54
	.set _ZN7rocprim17ROCPRIM_400000_NS6detail17trampoline_kernelINS0_14default_configENS1_25partition_config_selectorILNS1_17partition_subalgoE5EiNS0_10empty_typeEbEEZZNS1_14partition_implILS5_5ELb0ES3_mN6thrust23THRUST_200600_302600_NS6detail15normal_iteratorINSA_10device_ptrIiEEEEPS6_NSA_18transform_iteratorINSB_9not_fun_tI7is_trueIiEEENSC_INSD_IbEEEENSA_11use_defaultESO_EENS0_5tupleIJSF_S6_EEENSQ_IJSG_SG_EEES6_PlJS6_EEE10hipError_tPvRmT3_T4_T5_T6_T7_T9_mT8_P12ihipStream_tbDpT10_ENKUlT_T0_E_clISt17integral_constantIbLb0EES1C_IbLb1EEEEDaS18_S19_EUlS18_E_NS1_11comp_targetILNS1_3genE10ELNS1_11target_archE1200ELNS1_3gpuE4ELNS1_3repE0EEENS1_30default_config_static_selectorELNS0_4arch9wavefront6targetE0EEEvT1_.num_agpr, 0
	.set _ZN7rocprim17ROCPRIM_400000_NS6detail17trampoline_kernelINS0_14default_configENS1_25partition_config_selectorILNS1_17partition_subalgoE5EiNS0_10empty_typeEbEEZZNS1_14partition_implILS5_5ELb0ES3_mN6thrust23THRUST_200600_302600_NS6detail15normal_iteratorINSA_10device_ptrIiEEEEPS6_NSA_18transform_iteratorINSB_9not_fun_tI7is_trueIiEEENSC_INSD_IbEEEENSA_11use_defaultESO_EENS0_5tupleIJSF_S6_EEENSQ_IJSG_SG_EEES6_PlJS6_EEE10hipError_tPvRmT3_T4_T5_T6_T7_T9_mT8_P12ihipStream_tbDpT10_ENKUlT_T0_E_clISt17integral_constantIbLb0EES1C_IbLb1EEEEDaS18_S19_EUlS18_E_NS1_11comp_targetILNS1_3genE10ELNS1_11target_archE1200ELNS1_3gpuE4ELNS1_3repE0EEENS1_30default_config_static_selectorELNS0_4arch9wavefront6targetE0EEEvT1_.numbered_sgpr, 24
	.set _ZN7rocprim17ROCPRIM_400000_NS6detail17trampoline_kernelINS0_14default_configENS1_25partition_config_selectorILNS1_17partition_subalgoE5EiNS0_10empty_typeEbEEZZNS1_14partition_implILS5_5ELb0ES3_mN6thrust23THRUST_200600_302600_NS6detail15normal_iteratorINSA_10device_ptrIiEEEEPS6_NSA_18transform_iteratorINSB_9not_fun_tI7is_trueIiEEENSC_INSD_IbEEEENSA_11use_defaultESO_EENS0_5tupleIJSF_S6_EEENSQ_IJSG_SG_EEES6_PlJS6_EEE10hipError_tPvRmT3_T4_T5_T6_T7_T9_mT8_P12ihipStream_tbDpT10_ENKUlT_T0_E_clISt17integral_constantIbLb0EES1C_IbLb1EEEEDaS18_S19_EUlS18_E_NS1_11comp_targetILNS1_3genE10ELNS1_11target_archE1200ELNS1_3gpuE4ELNS1_3repE0EEENS1_30default_config_static_selectorELNS0_4arch9wavefront6targetE0EEEvT1_.num_named_barrier, 0
	.set _ZN7rocprim17ROCPRIM_400000_NS6detail17trampoline_kernelINS0_14default_configENS1_25partition_config_selectorILNS1_17partition_subalgoE5EiNS0_10empty_typeEbEEZZNS1_14partition_implILS5_5ELb0ES3_mN6thrust23THRUST_200600_302600_NS6detail15normal_iteratorINSA_10device_ptrIiEEEEPS6_NSA_18transform_iteratorINSB_9not_fun_tI7is_trueIiEEENSC_INSD_IbEEEENSA_11use_defaultESO_EENS0_5tupleIJSF_S6_EEENSQ_IJSG_SG_EEES6_PlJS6_EEE10hipError_tPvRmT3_T4_T5_T6_T7_T9_mT8_P12ihipStream_tbDpT10_ENKUlT_T0_E_clISt17integral_constantIbLb0EES1C_IbLb1EEEEDaS18_S19_EUlS18_E_NS1_11comp_targetILNS1_3genE10ELNS1_11target_archE1200ELNS1_3gpuE4ELNS1_3repE0EEENS1_30default_config_static_selectorELNS0_4arch9wavefront6targetE0EEEvT1_.private_seg_size, 0
	.set _ZN7rocprim17ROCPRIM_400000_NS6detail17trampoline_kernelINS0_14default_configENS1_25partition_config_selectorILNS1_17partition_subalgoE5EiNS0_10empty_typeEbEEZZNS1_14partition_implILS5_5ELb0ES3_mN6thrust23THRUST_200600_302600_NS6detail15normal_iteratorINSA_10device_ptrIiEEEEPS6_NSA_18transform_iteratorINSB_9not_fun_tI7is_trueIiEEENSC_INSD_IbEEEENSA_11use_defaultESO_EENS0_5tupleIJSF_S6_EEENSQ_IJSG_SG_EEES6_PlJS6_EEE10hipError_tPvRmT3_T4_T5_T6_T7_T9_mT8_P12ihipStream_tbDpT10_ENKUlT_T0_E_clISt17integral_constantIbLb0EES1C_IbLb1EEEEDaS18_S19_EUlS18_E_NS1_11comp_targetILNS1_3genE10ELNS1_11target_archE1200ELNS1_3gpuE4ELNS1_3repE0EEENS1_30default_config_static_selectorELNS0_4arch9wavefront6targetE0EEEvT1_.uses_vcc, 1
	.set _ZN7rocprim17ROCPRIM_400000_NS6detail17trampoline_kernelINS0_14default_configENS1_25partition_config_selectorILNS1_17partition_subalgoE5EiNS0_10empty_typeEbEEZZNS1_14partition_implILS5_5ELb0ES3_mN6thrust23THRUST_200600_302600_NS6detail15normal_iteratorINSA_10device_ptrIiEEEEPS6_NSA_18transform_iteratorINSB_9not_fun_tI7is_trueIiEEENSC_INSD_IbEEEENSA_11use_defaultESO_EENS0_5tupleIJSF_S6_EEENSQ_IJSG_SG_EEES6_PlJS6_EEE10hipError_tPvRmT3_T4_T5_T6_T7_T9_mT8_P12ihipStream_tbDpT10_ENKUlT_T0_E_clISt17integral_constantIbLb0EES1C_IbLb1EEEEDaS18_S19_EUlS18_E_NS1_11comp_targetILNS1_3genE10ELNS1_11target_archE1200ELNS1_3gpuE4ELNS1_3repE0EEENS1_30default_config_static_selectorELNS0_4arch9wavefront6targetE0EEEvT1_.uses_flat_scratch, 1
	.set _ZN7rocprim17ROCPRIM_400000_NS6detail17trampoline_kernelINS0_14default_configENS1_25partition_config_selectorILNS1_17partition_subalgoE5EiNS0_10empty_typeEbEEZZNS1_14partition_implILS5_5ELb0ES3_mN6thrust23THRUST_200600_302600_NS6detail15normal_iteratorINSA_10device_ptrIiEEEEPS6_NSA_18transform_iteratorINSB_9not_fun_tI7is_trueIiEEENSC_INSD_IbEEEENSA_11use_defaultESO_EENS0_5tupleIJSF_S6_EEENSQ_IJSG_SG_EEES6_PlJS6_EEE10hipError_tPvRmT3_T4_T5_T6_T7_T9_mT8_P12ihipStream_tbDpT10_ENKUlT_T0_E_clISt17integral_constantIbLb0EES1C_IbLb1EEEEDaS18_S19_EUlS18_E_NS1_11comp_targetILNS1_3genE10ELNS1_11target_archE1200ELNS1_3gpuE4ELNS1_3repE0EEENS1_30default_config_static_selectorELNS0_4arch9wavefront6targetE0EEEvT1_.has_dyn_sized_stack, 0
	.set _ZN7rocprim17ROCPRIM_400000_NS6detail17trampoline_kernelINS0_14default_configENS1_25partition_config_selectorILNS1_17partition_subalgoE5EiNS0_10empty_typeEbEEZZNS1_14partition_implILS5_5ELb0ES3_mN6thrust23THRUST_200600_302600_NS6detail15normal_iteratorINSA_10device_ptrIiEEEEPS6_NSA_18transform_iteratorINSB_9not_fun_tI7is_trueIiEEENSC_INSD_IbEEEENSA_11use_defaultESO_EENS0_5tupleIJSF_S6_EEENSQ_IJSG_SG_EEES6_PlJS6_EEE10hipError_tPvRmT3_T4_T5_T6_T7_T9_mT8_P12ihipStream_tbDpT10_ENKUlT_T0_E_clISt17integral_constantIbLb0EES1C_IbLb1EEEEDaS18_S19_EUlS18_E_NS1_11comp_targetILNS1_3genE10ELNS1_11target_archE1200ELNS1_3gpuE4ELNS1_3repE0EEENS1_30default_config_static_selectorELNS0_4arch9wavefront6targetE0EEEvT1_.has_recursion, 0
	.set _ZN7rocprim17ROCPRIM_400000_NS6detail17trampoline_kernelINS0_14default_configENS1_25partition_config_selectorILNS1_17partition_subalgoE5EiNS0_10empty_typeEbEEZZNS1_14partition_implILS5_5ELb0ES3_mN6thrust23THRUST_200600_302600_NS6detail15normal_iteratorINSA_10device_ptrIiEEEEPS6_NSA_18transform_iteratorINSB_9not_fun_tI7is_trueIiEEENSC_INSD_IbEEEENSA_11use_defaultESO_EENS0_5tupleIJSF_S6_EEENSQ_IJSG_SG_EEES6_PlJS6_EEE10hipError_tPvRmT3_T4_T5_T6_T7_T9_mT8_P12ihipStream_tbDpT10_ENKUlT_T0_E_clISt17integral_constantIbLb0EES1C_IbLb1EEEEDaS18_S19_EUlS18_E_NS1_11comp_targetILNS1_3genE10ELNS1_11target_archE1200ELNS1_3gpuE4ELNS1_3repE0EEENS1_30default_config_static_selectorELNS0_4arch9wavefront6targetE0EEEvT1_.has_indirect_call, 0
	.section	.AMDGPU.csdata,"",@progbits
; Kernel info:
; codeLenInByte = 9368
; TotalNumSgprs: 26
; NumVgprs: 54
; ScratchSize: 0
; MemoryBound: 0
; FloatMode: 240
; IeeeMode: 1
; LDSByteSize: 6352 bytes/workgroup (compile time only)
; SGPRBlocks: 0
; VGPRBlocks: 6
; NumSGPRsForWavesPerEU: 26
; NumVGPRsForWavesPerEU: 54
; Occupancy: 15
; WaveLimiterHint : 1
; COMPUTE_PGM_RSRC2:SCRATCH_EN: 0
; COMPUTE_PGM_RSRC2:USER_SGPR: 2
; COMPUTE_PGM_RSRC2:TRAP_HANDLER: 0
; COMPUTE_PGM_RSRC2:TGID_X_EN: 1
; COMPUTE_PGM_RSRC2:TGID_Y_EN: 0
; COMPUTE_PGM_RSRC2:TGID_Z_EN: 0
; COMPUTE_PGM_RSRC2:TIDIG_COMP_CNT: 0
	.section	.text._ZN7rocprim17ROCPRIM_400000_NS6detail17trampoline_kernelINS0_14default_configENS1_25partition_config_selectorILNS1_17partition_subalgoE5EiNS0_10empty_typeEbEEZZNS1_14partition_implILS5_5ELb0ES3_mN6thrust23THRUST_200600_302600_NS6detail15normal_iteratorINSA_10device_ptrIiEEEEPS6_NSA_18transform_iteratorINSB_9not_fun_tI7is_trueIiEEENSC_INSD_IbEEEENSA_11use_defaultESO_EENS0_5tupleIJSF_S6_EEENSQ_IJSG_SG_EEES6_PlJS6_EEE10hipError_tPvRmT3_T4_T5_T6_T7_T9_mT8_P12ihipStream_tbDpT10_ENKUlT_T0_E_clISt17integral_constantIbLb0EES1C_IbLb1EEEEDaS18_S19_EUlS18_E_NS1_11comp_targetILNS1_3genE9ELNS1_11target_archE1100ELNS1_3gpuE3ELNS1_3repE0EEENS1_30default_config_static_selectorELNS0_4arch9wavefront6targetE0EEEvT1_,"axG",@progbits,_ZN7rocprim17ROCPRIM_400000_NS6detail17trampoline_kernelINS0_14default_configENS1_25partition_config_selectorILNS1_17partition_subalgoE5EiNS0_10empty_typeEbEEZZNS1_14partition_implILS5_5ELb0ES3_mN6thrust23THRUST_200600_302600_NS6detail15normal_iteratorINSA_10device_ptrIiEEEEPS6_NSA_18transform_iteratorINSB_9not_fun_tI7is_trueIiEEENSC_INSD_IbEEEENSA_11use_defaultESO_EENS0_5tupleIJSF_S6_EEENSQ_IJSG_SG_EEES6_PlJS6_EEE10hipError_tPvRmT3_T4_T5_T6_T7_T9_mT8_P12ihipStream_tbDpT10_ENKUlT_T0_E_clISt17integral_constantIbLb0EES1C_IbLb1EEEEDaS18_S19_EUlS18_E_NS1_11comp_targetILNS1_3genE9ELNS1_11target_archE1100ELNS1_3gpuE3ELNS1_3repE0EEENS1_30default_config_static_selectorELNS0_4arch9wavefront6targetE0EEEvT1_,comdat
	.protected	_ZN7rocprim17ROCPRIM_400000_NS6detail17trampoline_kernelINS0_14default_configENS1_25partition_config_selectorILNS1_17partition_subalgoE5EiNS0_10empty_typeEbEEZZNS1_14partition_implILS5_5ELb0ES3_mN6thrust23THRUST_200600_302600_NS6detail15normal_iteratorINSA_10device_ptrIiEEEEPS6_NSA_18transform_iteratorINSB_9not_fun_tI7is_trueIiEEENSC_INSD_IbEEEENSA_11use_defaultESO_EENS0_5tupleIJSF_S6_EEENSQ_IJSG_SG_EEES6_PlJS6_EEE10hipError_tPvRmT3_T4_T5_T6_T7_T9_mT8_P12ihipStream_tbDpT10_ENKUlT_T0_E_clISt17integral_constantIbLb0EES1C_IbLb1EEEEDaS18_S19_EUlS18_E_NS1_11comp_targetILNS1_3genE9ELNS1_11target_archE1100ELNS1_3gpuE3ELNS1_3repE0EEENS1_30default_config_static_selectorELNS0_4arch9wavefront6targetE0EEEvT1_ ; -- Begin function _ZN7rocprim17ROCPRIM_400000_NS6detail17trampoline_kernelINS0_14default_configENS1_25partition_config_selectorILNS1_17partition_subalgoE5EiNS0_10empty_typeEbEEZZNS1_14partition_implILS5_5ELb0ES3_mN6thrust23THRUST_200600_302600_NS6detail15normal_iteratorINSA_10device_ptrIiEEEEPS6_NSA_18transform_iteratorINSB_9not_fun_tI7is_trueIiEEENSC_INSD_IbEEEENSA_11use_defaultESO_EENS0_5tupleIJSF_S6_EEENSQ_IJSG_SG_EEES6_PlJS6_EEE10hipError_tPvRmT3_T4_T5_T6_T7_T9_mT8_P12ihipStream_tbDpT10_ENKUlT_T0_E_clISt17integral_constantIbLb0EES1C_IbLb1EEEEDaS18_S19_EUlS18_E_NS1_11comp_targetILNS1_3genE9ELNS1_11target_archE1100ELNS1_3gpuE3ELNS1_3repE0EEENS1_30default_config_static_selectorELNS0_4arch9wavefront6targetE0EEEvT1_
	.globl	_ZN7rocprim17ROCPRIM_400000_NS6detail17trampoline_kernelINS0_14default_configENS1_25partition_config_selectorILNS1_17partition_subalgoE5EiNS0_10empty_typeEbEEZZNS1_14partition_implILS5_5ELb0ES3_mN6thrust23THRUST_200600_302600_NS6detail15normal_iteratorINSA_10device_ptrIiEEEEPS6_NSA_18transform_iteratorINSB_9not_fun_tI7is_trueIiEEENSC_INSD_IbEEEENSA_11use_defaultESO_EENS0_5tupleIJSF_S6_EEENSQ_IJSG_SG_EEES6_PlJS6_EEE10hipError_tPvRmT3_T4_T5_T6_T7_T9_mT8_P12ihipStream_tbDpT10_ENKUlT_T0_E_clISt17integral_constantIbLb0EES1C_IbLb1EEEEDaS18_S19_EUlS18_E_NS1_11comp_targetILNS1_3genE9ELNS1_11target_archE1100ELNS1_3gpuE3ELNS1_3repE0EEENS1_30default_config_static_selectorELNS0_4arch9wavefront6targetE0EEEvT1_
	.p2align	8
	.type	_ZN7rocprim17ROCPRIM_400000_NS6detail17trampoline_kernelINS0_14default_configENS1_25partition_config_selectorILNS1_17partition_subalgoE5EiNS0_10empty_typeEbEEZZNS1_14partition_implILS5_5ELb0ES3_mN6thrust23THRUST_200600_302600_NS6detail15normal_iteratorINSA_10device_ptrIiEEEEPS6_NSA_18transform_iteratorINSB_9not_fun_tI7is_trueIiEEENSC_INSD_IbEEEENSA_11use_defaultESO_EENS0_5tupleIJSF_S6_EEENSQ_IJSG_SG_EEES6_PlJS6_EEE10hipError_tPvRmT3_T4_T5_T6_T7_T9_mT8_P12ihipStream_tbDpT10_ENKUlT_T0_E_clISt17integral_constantIbLb0EES1C_IbLb1EEEEDaS18_S19_EUlS18_E_NS1_11comp_targetILNS1_3genE9ELNS1_11target_archE1100ELNS1_3gpuE3ELNS1_3repE0EEENS1_30default_config_static_selectorELNS0_4arch9wavefront6targetE0EEEvT1_,@function
_ZN7rocprim17ROCPRIM_400000_NS6detail17trampoline_kernelINS0_14default_configENS1_25partition_config_selectorILNS1_17partition_subalgoE5EiNS0_10empty_typeEbEEZZNS1_14partition_implILS5_5ELb0ES3_mN6thrust23THRUST_200600_302600_NS6detail15normal_iteratorINSA_10device_ptrIiEEEEPS6_NSA_18transform_iteratorINSB_9not_fun_tI7is_trueIiEEENSC_INSD_IbEEEENSA_11use_defaultESO_EENS0_5tupleIJSF_S6_EEENSQ_IJSG_SG_EEES6_PlJS6_EEE10hipError_tPvRmT3_T4_T5_T6_T7_T9_mT8_P12ihipStream_tbDpT10_ENKUlT_T0_E_clISt17integral_constantIbLb0EES1C_IbLb1EEEEDaS18_S19_EUlS18_E_NS1_11comp_targetILNS1_3genE9ELNS1_11target_archE1100ELNS1_3gpuE3ELNS1_3repE0EEENS1_30default_config_static_selectorELNS0_4arch9wavefront6targetE0EEEvT1_: ; @_ZN7rocprim17ROCPRIM_400000_NS6detail17trampoline_kernelINS0_14default_configENS1_25partition_config_selectorILNS1_17partition_subalgoE5EiNS0_10empty_typeEbEEZZNS1_14partition_implILS5_5ELb0ES3_mN6thrust23THRUST_200600_302600_NS6detail15normal_iteratorINSA_10device_ptrIiEEEEPS6_NSA_18transform_iteratorINSB_9not_fun_tI7is_trueIiEEENSC_INSD_IbEEEENSA_11use_defaultESO_EENS0_5tupleIJSF_S6_EEENSQ_IJSG_SG_EEES6_PlJS6_EEE10hipError_tPvRmT3_T4_T5_T6_T7_T9_mT8_P12ihipStream_tbDpT10_ENKUlT_T0_E_clISt17integral_constantIbLb0EES1C_IbLb1EEEEDaS18_S19_EUlS18_E_NS1_11comp_targetILNS1_3genE9ELNS1_11target_archE1100ELNS1_3gpuE3ELNS1_3repE0EEENS1_30default_config_static_selectorELNS0_4arch9wavefront6targetE0EEEvT1_
; %bb.0:
	.section	.rodata,"a",@progbits
	.p2align	6, 0x0
	.amdhsa_kernel _ZN7rocprim17ROCPRIM_400000_NS6detail17trampoline_kernelINS0_14default_configENS1_25partition_config_selectorILNS1_17partition_subalgoE5EiNS0_10empty_typeEbEEZZNS1_14partition_implILS5_5ELb0ES3_mN6thrust23THRUST_200600_302600_NS6detail15normal_iteratorINSA_10device_ptrIiEEEEPS6_NSA_18transform_iteratorINSB_9not_fun_tI7is_trueIiEEENSC_INSD_IbEEEENSA_11use_defaultESO_EENS0_5tupleIJSF_S6_EEENSQ_IJSG_SG_EEES6_PlJS6_EEE10hipError_tPvRmT3_T4_T5_T6_T7_T9_mT8_P12ihipStream_tbDpT10_ENKUlT_T0_E_clISt17integral_constantIbLb0EES1C_IbLb1EEEEDaS18_S19_EUlS18_E_NS1_11comp_targetILNS1_3genE9ELNS1_11target_archE1100ELNS1_3gpuE3ELNS1_3repE0EEENS1_30default_config_static_selectorELNS0_4arch9wavefront6targetE0EEEvT1_
		.amdhsa_group_segment_fixed_size 0
		.amdhsa_private_segment_fixed_size 0
		.amdhsa_kernarg_size 136
		.amdhsa_user_sgpr_count 2
		.amdhsa_user_sgpr_dispatch_ptr 0
		.amdhsa_user_sgpr_queue_ptr 0
		.amdhsa_user_sgpr_kernarg_segment_ptr 1
		.amdhsa_user_sgpr_dispatch_id 0
		.amdhsa_user_sgpr_private_segment_size 0
		.amdhsa_wavefront_size32 1
		.amdhsa_uses_dynamic_stack 0
		.amdhsa_enable_private_segment 0
		.amdhsa_system_sgpr_workgroup_id_x 1
		.amdhsa_system_sgpr_workgroup_id_y 0
		.amdhsa_system_sgpr_workgroup_id_z 0
		.amdhsa_system_sgpr_workgroup_info 0
		.amdhsa_system_vgpr_workitem_id 0
		.amdhsa_next_free_vgpr 1
		.amdhsa_next_free_sgpr 1
		.amdhsa_reserve_vcc 0
		.amdhsa_float_round_mode_32 0
		.amdhsa_float_round_mode_16_64 0
		.amdhsa_float_denorm_mode_32 3
		.amdhsa_float_denorm_mode_16_64 3
		.amdhsa_fp16_overflow 0
		.amdhsa_workgroup_processor_mode 1
		.amdhsa_memory_ordered 1
		.amdhsa_forward_progress 1
		.amdhsa_inst_pref_size 0
		.amdhsa_round_robin_scheduling 0
		.amdhsa_exception_fp_ieee_invalid_op 0
		.amdhsa_exception_fp_denorm_src 0
		.amdhsa_exception_fp_ieee_div_zero 0
		.amdhsa_exception_fp_ieee_overflow 0
		.amdhsa_exception_fp_ieee_underflow 0
		.amdhsa_exception_fp_ieee_inexact 0
		.amdhsa_exception_int_div_zero 0
	.end_amdhsa_kernel
	.section	.text._ZN7rocprim17ROCPRIM_400000_NS6detail17trampoline_kernelINS0_14default_configENS1_25partition_config_selectorILNS1_17partition_subalgoE5EiNS0_10empty_typeEbEEZZNS1_14partition_implILS5_5ELb0ES3_mN6thrust23THRUST_200600_302600_NS6detail15normal_iteratorINSA_10device_ptrIiEEEEPS6_NSA_18transform_iteratorINSB_9not_fun_tI7is_trueIiEEENSC_INSD_IbEEEENSA_11use_defaultESO_EENS0_5tupleIJSF_S6_EEENSQ_IJSG_SG_EEES6_PlJS6_EEE10hipError_tPvRmT3_T4_T5_T6_T7_T9_mT8_P12ihipStream_tbDpT10_ENKUlT_T0_E_clISt17integral_constantIbLb0EES1C_IbLb1EEEEDaS18_S19_EUlS18_E_NS1_11comp_targetILNS1_3genE9ELNS1_11target_archE1100ELNS1_3gpuE3ELNS1_3repE0EEENS1_30default_config_static_selectorELNS0_4arch9wavefront6targetE0EEEvT1_,"axG",@progbits,_ZN7rocprim17ROCPRIM_400000_NS6detail17trampoline_kernelINS0_14default_configENS1_25partition_config_selectorILNS1_17partition_subalgoE5EiNS0_10empty_typeEbEEZZNS1_14partition_implILS5_5ELb0ES3_mN6thrust23THRUST_200600_302600_NS6detail15normal_iteratorINSA_10device_ptrIiEEEEPS6_NSA_18transform_iteratorINSB_9not_fun_tI7is_trueIiEEENSC_INSD_IbEEEENSA_11use_defaultESO_EENS0_5tupleIJSF_S6_EEENSQ_IJSG_SG_EEES6_PlJS6_EEE10hipError_tPvRmT3_T4_T5_T6_T7_T9_mT8_P12ihipStream_tbDpT10_ENKUlT_T0_E_clISt17integral_constantIbLb0EES1C_IbLb1EEEEDaS18_S19_EUlS18_E_NS1_11comp_targetILNS1_3genE9ELNS1_11target_archE1100ELNS1_3gpuE3ELNS1_3repE0EEENS1_30default_config_static_selectorELNS0_4arch9wavefront6targetE0EEEvT1_,comdat
.Lfunc_end2555:
	.size	_ZN7rocprim17ROCPRIM_400000_NS6detail17trampoline_kernelINS0_14default_configENS1_25partition_config_selectorILNS1_17partition_subalgoE5EiNS0_10empty_typeEbEEZZNS1_14partition_implILS5_5ELb0ES3_mN6thrust23THRUST_200600_302600_NS6detail15normal_iteratorINSA_10device_ptrIiEEEEPS6_NSA_18transform_iteratorINSB_9not_fun_tI7is_trueIiEEENSC_INSD_IbEEEENSA_11use_defaultESO_EENS0_5tupleIJSF_S6_EEENSQ_IJSG_SG_EEES6_PlJS6_EEE10hipError_tPvRmT3_T4_T5_T6_T7_T9_mT8_P12ihipStream_tbDpT10_ENKUlT_T0_E_clISt17integral_constantIbLb0EES1C_IbLb1EEEEDaS18_S19_EUlS18_E_NS1_11comp_targetILNS1_3genE9ELNS1_11target_archE1100ELNS1_3gpuE3ELNS1_3repE0EEENS1_30default_config_static_selectorELNS0_4arch9wavefront6targetE0EEEvT1_, .Lfunc_end2555-_ZN7rocprim17ROCPRIM_400000_NS6detail17trampoline_kernelINS0_14default_configENS1_25partition_config_selectorILNS1_17partition_subalgoE5EiNS0_10empty_typeEbEEZZNS1_14partition_implILS5_5ELb0ES3_mN6thrust23THRUST_200600_302600_NS6detail15normal_iteratorINSA_10device_ptrIiEEEEPS6_NSA_18transform_iteratorINSB_9not_fun_tI7is_trueIiEEENSC_INSD_IbEEEENSA_11use_defaultESO_EENS0_5tupleIJSF_S6_EEENSQ_IJSG_SG_EEES6_PlJS6_EEE10hipError_tPvRmT3_T4_T5_T6_T7_T9_mT8_P12ihipStream_tbDpT10_ENKUlT_T0_E_clISt17integral_constantIbLb0EES1C_IbLb1EEEEDaS18_S19_EUlS18_E_NS1_11comp_targetILNS1_3genE9ELNS1_11target_archE1100ELNS1_3gpuE3ELNS1_3repE0EEENS1_30default_config_static_selectorELNS0_4arch9wavefront6targetE0EEEvT1_
                                        ; -- End function
	.set _ZN7rocprim17ROCPRIM_400000_NS6detail17trampoline_kernelINS0_14default_configENS1_25partition_config_selectorILNS1_17partition_subalgoE5EiNS0_10empty_typeEbEEZZNS1_14partition_implILS5_5ELb0ES3_mN6thrust23THRUST_200600_302600_NS6detail15normal_iteratorINSA_10device_ptrIiEEEEPS6_NSA_18transform_iteratorINSB_9not_fun_tI7is_trueIiEEENSC_INSD_IbEEEENSA_11use_defaultESO_EENS0_5tupleIJSF_S6_EEENSQ_IJSG_SG_EEES6_PlJS6_EEE10hipError_tPvRmT3_T4_T5_T6_T7_T9_mT8_P12ihipStream_tbDpT10_ENKUlT_T0_E_clISt17integral_constantIbLb0EES1C_IbLb1EEEEDaS18_S19_EUlS18_E_NS1_11comp_targetILNS1_3genE9ELNS1_11target_archE1100ELNS1_3gpuE3ELNS1_3repE0EEENS1_30default_config_static_selectorELNS0_4arch9wavefront6targetE0EEEvT1_.num_vgpr, 0
	.set _ZN7rocprim17ROCPRIM_400000_NS6detail17trampoline_kernelINS0_14default_configENS1_25partition_config_selectorILNS1_17partition_subalgoE5EiNS0_10empty_typeEbEEZZNS1_14partition_implILS5_5ELb0ES3_mN6thrust23THRUST_200600_302600_NS6detail15normal_iteratorINSA_10device_ptrIiEEEEPS6_NSA_18transform_iteratorINSB_9not_fun_tI7is_trueIiEEENSC_INSD_IbEEEENSA_11use_defaultESO_EENS0_5tupleIJSF_S6_EEENSQ_IJSG_SG_EEES6_PlJS6_EEE10hipError_tPvRmT3_T4_T5_T6_T7_T9_mT8_P12ihipStream_tbDpT10_ENKUlT_T0_E_clISt17integral_constantIbLb0EES1C_IbLb1EEEEDaS18_S19_EUlS18_E_NS1_11comp_targetILNS1_3genE9ELNS1_11target_archE1100ELNS1_3gpuE3ELNS1_3repE0EEENS1_30default_config_static_selectorELNS0_4arch9wavefront6targetE0EEEvT1_.num_agpr, 0
	.set _ZN7rocprim17ROCPRIM_400000_NS6detail17trampoline_kernelINS0_14default_configENS1_25partition_config_selectorILNS1_17partition_subalgoE5EiNS0_10empty_typeEbEEZZNS1_14partition_implILS5_5ELb0ES3_mN6thrust23THRUST_200600_302600_NS6detail15normal_iteratorINSA_10device_ptrIiEEEEPS6_NSA_18transform_iteratorINSB_9not_fun_tI7is_trueIiEEENSC_INSD_IbEEEENSA_11use_defaultESO_EENS0_5tupleIJSF_S6_EEENSQ_IJSG_SG_EEES6_PlJS6_EEE10hipError_tPvRmT3_T4_T5_T6_T7_T9_mT8_P12ihipStream_tbDpT10_ENKUlT_T0_E_clISt17integral_constantIbLb0EES1C_IbLb1EEEEDaS18_S19_EUlS18_E_NS1_11comp_targetILNS1_3genE9ELNS1_11target_archE1100ELNS1_3gpuE3ELNS1_3repE0EEENS1_30default_config_static_selectorELNS0_4arch9wavefront6targetE0EEEvT1_.numbered_sgpr, 0
	.set _ZN7rocprim17ROCPRIM_400000_NS6detail17trampoline_kernelINS0_14default_configENS1_25partition_config_selectorILNS1_17partition_subalgoE5EiNS0_10empty_typeEbEEZZNS1_14partition_implILS5_5ELb0ES3_mN6thrust23THRUST_200600_302600_NS6detail15normal_iteratorINSA_10device_ptrIiEEEEPS6_NSA_18transform_iteratorINSB_9not_fun_tI7is_trueIiEEENSC_INSD_IbEEEENSA_11use_defaultESO_EENS0_5tupleIJSF_S6_EEENSQ_IJSG_SG_EEES6_PlJS6_EEE10hipError_tPvRmT3_T4_T5_T6_T7_T9_mT8_P12ihipStream_tbDpT10_ENKUlT_T0_E_clISt17integral_constantIbLb0EES1C_IbLb1EEEEDaS18_S19_EUlS18_E_NS1_11comp_targetILNS1_3genE9ELNS1_11target_archE1100ELNS1_3gpuE3ELNS1_3repE0EEENS1_30default_config_static_selectorELNS0_4arch9wavefront6targetE0EEEvT1_.num_named_barrier, 0
	.set _ZN7rocprim17ROCPRIM_400000_NS6detail17trampoline_kernelINS0_14default_configENS1_25partition_config_selectorILNS1_17partition_subalgoE5EiNS0_10empty_typeEbEEZZNS1_14partition_implILS5_5ELb0ES3_mN6thrust23THRUST_200600_302600_NS6detail15normal_iteratorINSA_10device_ptrIiEEEEPS6_NSA_18transform_iteratorINSB_9not_fun_tI7is_trueIiEEENSC_INSD_IbEEEENSA_11use_defaultESO_EENS0_5tupleIJSF_S6_EEENSQ_IJSG_SG_EEES6_PlJS6_EEE10hipError_tPvRmT3_T4_T5_T6_T7_T9_mT8_P12ihipStream_tbDpT10_ENKUlT_T0_E_clISt17integral_constantIbLb0EES1C_IbLb1EEEEDaS18_S19_EUlS18_E_NS1_11comp_targetILNS1_3genE9ELNS1_11target_archE1100ELNS1_3gpuE3ELNS1_3repE0EEENS1_30default_config_static_selectorELNS0_4arch9wavefront6targetE0EEEvT1_.private_seg_size, 0
	.set _ZN7rocprim17ROCPRIM_400000_NS6detail17trampoline_kernelINS0_14default_configENS1_25partition_config_selectorILNS1_17partition_subalgoE5EiNS0_10empty_typeEbEEZZNS1_14partition_implILS5_5ELb0ES3_mN6thrust23THRUST_200600_302600_NS6detail15normal_iteratorINSA_10device_ptrIiEEEEPS6_NSA_18transform_iteratorINSB_9not_fun_tI7is_trueIiEEENSC_INSD_IbEEEENSA_11use_defaultESO_EENS0_5tupleIJSF_S6_EEENSQ_IJSG_SG_EEES6_PlJS6_EEE10hipError_tPvRmT3_T4_T5_T6_T7_T9_mT8_P12ihipStream_tbDpT10_ENKUlT_T0_E_clISt17integral_constantIbLb0EES1C_IbLb1EEEEDaS18_S19_EUlS18_E_NS1_11comp_targetILNS1_3genE9ELNS1_11target_archE1100ELNS1_3gpuE3ELNS1_3repE0EEENS1_30default_config_static_selectorELNS0_4arch9wavefront6targetE0EEEvT1_.uses_vcc, 0
	.set _ZN7rocprim17ROCPRIM_400000_NS6detail17trampoline_kernelINS0_14default_configENS1_25partition_config_selectorILNS1_17partition_subalgoE5EiNS0_10empty_typeEbEEZZNS1_14partition_implILS5_5ELb0ES3_mN6thrust23THRUST_200600_302600_NS6detail15normal_iteratorINSA_10device_ptrIiEEEEPS6_NSA_18transform_iteratorINSB_9not_fun_tI7is_trueIiEEENSC_INSD_IbEEEENSA_11use_defaultESO_EENS0_5tupleIJSF_S6_EEENSQ_IJSG_SG_EEES6_PlJS6_EEE10hipError_tPvRmT3_T4_T5_T6_T7_T9_mT8_P12ihipStream_tbDpT10_ENKUlT_T0_E_clISt17integral_constantIbLb0EES1C_IbLb1EEEEDaS18_S19_EUlS18_E_NS1_11comp_targetILNS1_3genE9ELNS1_11target_archE1100ELNS1_3gpuE3ELNS1_3repE0EEENS1_30default_config_static_selectorELNS0_4arch9wavefront6targetE0EEEvT1_.uses_flat_scratch, 0
	.set _ZN7rocprim17ROCPRIM_400000_NS6detail17trampoline_kernelINS0_14default_configENS1_25partition_config_selectorILNS1_17partition_subalgoE5EiNS0_10empty_typeEbEEZZNS1_14partition_implILS5_5ELb0ES3_mN6thrust23THRUST_200600_302600_NS6detail15normal_iteratorINSA_10device_ptrIiEEEEPS6_NSA_18transform_iteratorINSB_9not_fun_tI7is_trueIiEEENSC_INSD_IbEEEENSA_11use_defaultESO_EENS0_5tupleIJSF_S6_EEENSQ_IJSG_SG_EEES6_PlJS6_EEE10hipError_tPvRmT3_T4_T5_T6_T7_T9_mT8_P12ihipStream_tbDpT10_ENKUlT_T0_E_clISt17integral_constantIbLb0EES1C_IbLb1EEEEDaS18_S19_EUlS18_E_NS1_11comp_targetILNS1_3genE9ELNS1_11target_archE1100ELNS1_3gpuE3ELNS1_3repE0EEENS1_30default_config_static_selectorELNS0_4arch9wavefront6targetE0EEEvT1_.has_dyn_sized_stack, 0
	.set _ZN7rocprim17ROCPRIM_400000_NS6detail17trampoline_kernelINS0_14default_configENS1_25partition_config_selectorILNS1_17partition_subalgoE5EiNS0_10empty_typeEbEEZZNS1_14partition_implILS5_5ELb0ES3_mN6thrust23THRUST_200600_302600_NS6detail15normal_iteratorINSA_10device_ptrIiEEEEPS6_NSA_18transform_iteratorINSB_9not_fun_tI7is_trueIiEEENSC_INSD_IbEEEENSA_11use_defaultESO_EENS0_5tupleIJSF_S6_EEENSQ_IJSG_SG_EEES6_PlJS6_EEE10hipError_tPvRmT3_T4_T5_T6_T7_T9_mT8_P12ihipStream_tbDpT10_ENKUlT_T0_E_clISt17integral_constantIbLb0EES1C_IbLb1EEEEDaS18_S19_EUlS18_E_NS1_11comp_targetILNS1_3genE9ELNS1_11target_archE1100ELNS1_3gpuE3ELNS1_3repE0EEENS1_30default_config_static_selectorELNS0_4arch9wavefront6targetE0EEEvT1_.has_recursion, 0
	.set _ZN7rocprim17ROCPRIM_400000_NS6detail17trampoline_kernelINS0_14default_configENS1_25partition_config_selectorILNS1_17partition_subalgoE5EiNS0_10empty_typeEbEEZZNS1_14partition_implILS5_5ELb0ES3_mN6thrust23THRUST_200600_302600_NS6detail15normal_iteratorINSA_10device_ptrIiEEEEPS6_NSA_18transform_iteratorINSB_9not_fun_tI7is_trueIiEEENSC_INSD_IbEEEENSA_11use_defaultESO_EENS0_5tupleIJSF_S6_EEENSQ_IJSG_SG_EEES6_PlJS6_EEE10hipError_tPvRmT3_T4_T5_T6_T7_T9_mT8_P12ihipStream_tbDpT10_ENKUlT_T0_E_clISt17integral_constantIbLb0EES1C_IbLb1EEEEDaS18_S19_EUlS18_E_NS1_11comp_targetILNS1_3genE9ELNS1_11target_archE1100ELNS1_3gpuE3ELNS1_3repE0EEENS1_30default_config_static_selectorELNS0_4arch9wavefront6targetE0EEEvT1_.has_indirect_call, 0
	.section	.AMDGPU.csdata,"",@progbits
; Kernel info:
; codeLenInByte = 0
; TotalNumSgprs: 0
; NumVgprs: 0
; ScratchSize: 0
; MemoryBound: 0
; FloatMode: 240
; IeeeMode: 1
; LDSByteSize: 0 bytes/workgroup (compile time only)
; SGPRBlocks: 0
; VGPRBlocks: 0
; NumSGPRsForWavesPerEU: 1
; NumVGPRsForWavesPerEU: 1
; Occupancy: 16
; WaveLimiterHint : 0
; COMPUTE_PGM_RSRC2:SCRATCH_EN: 0
; COMPUTE_PGM_RSRC2:USER_SGPR: 2
; COMPUTE_PGM_RSRC2:TRAP_HANDLER: 0
; COMPUTE_PGM_RSRC2:TGID_X_EN: 1
; COMPUTE_PGM_RSRC2:TGID_Y_EN: 0
; COMPUTE_PGM_RSRC2:TGID_Z_EN: 0
; COMPUTE_PGM_RSRC2:TIDIG_COMP_CNT: 0
	.section	.text._ZN7rocprim17ROCPRIM_400000_NS6detail17trampoline_kernelINS0_14default_configENS1_25partition_config_selectorILNS1_17partition_subalgoE5EiNS0_10empty_typeEbEEZZNS1_14partition_implILS5_5ELb0ES3_mN6thrust23THRUST_200600_302600_NS6detail15normal_iteratorINSA_10device_ptrIiEEEEPS6_NSA_18transform_iteratorINSB_9not_fun_tI7is_trueIiEEENSC_INSD_IbEEEENSA_11use_defaultESO_EENS0_5tupleIJSF_S6_EEENSQ_IJSG_SG_EEES6_PlJS6_EEE10hipError_tPvRmT3_T4_T5_T6_T7_T9_mT8_P12ihipStream_tbDpT10_ENKUlT_T0_E_clISt17integral_constantIbLb0EES1C_IbLb1EEEEDaS18_S19_EUlS18_E_NS1_11comp_targetILNS1_3genE8ELNS1_11target_archE1030ELNS1_3gpuE2ELNS1_3repE0EEENS1_30default_config_static_selectorELNS0_4arch9wavefront6targetE0EEEvT1_,"axG",@progbits,_ZN7rocprim17ROCPRIM_400000_NS6detail17trampoline_kernelINS0_14default_configENS1_25partition_config_selectorILNS1_17partition_subalgoE5EiNS0_10empty_typeEbEEZZNS1_14partition_implILS5_5ELb0ES3_mN6thrust23THRUST_200600_302600_NS6detail15normal_iteratorINSA_10device_ptrIiEEEEPS6_NSA_18transform_iteratorINSB_9not_fun_tI7is_trueIiEEENSC_INSD_IbEEEENSA_11use_defaultESO_EENS0_5tupleIJSF_S6_EEENSQ_IJSG_SG_EEES6_PlJS6_EEE10hipError_tPvRmT3_T4_T5_T6_T7_T9_mT8_P12ihipStream_tbDpT10_ENKUlT_T0_E_clISt17integral_constantIbLb0EES1C_IbLb1EEEEDaS18_S19_EUlS18_E_NS1_11comp_targetILNS1_3genE8ELNS1_11target_archE1030ELNS1_3gpuE2ELNS1_3repE0EEENS1_30default_config_static_selectorELNS0_4arch9wavefront6targetE0EEEvT1_,comdat
	.protected	_ZN7rocprim17ROCPRIM_400000_NS6detail17trampoline_kernelINS0_14default_configENS1_25partition_config_selectorILNS1_17partition_subalgoE5EiNS0_10empty_typeEbEEZZNS1_14partition_implILS5_5ELb0ES3_mN6thrust23THRUST_200600_302600_NS6detail15normal_iteratorINSA_10device_ptrIiEEEEPS6_NSA_18transform_iteratorINSB_9not_fun_tI7is_trueIiEEENSC_INSD_IbEEEENSA_11use_defaultESO_EENS0_5tupleIJSF_S6_EEENSQ_IJSG_SG_EEES6_PlJS6_EEE10hipError_tPvRmT3_T4_T5_T6_T7_T9_mT8_P12ihipStream_tbDpT10_ENKUlT_T0_E_clISt17integral_constantIbLb0EES1C_IbLb1EEEEDaS18_S19_EUlS18_E_NS1_11comp_targetILNS1_3genE8ELNS1_11target_archE1030ELNS1_3gpuE2ELNS1_3repE0EEENS1_30default_config_static_selectorELNS0_4arch9wavefront6targetE0EEEvT1_ ; -- Begin function _ZN7rocprim17ROCPRIM_400000_NS6detail17trampoline_kernelINS0_14default_configENS1_25partition_config_selectorILNS1_17partition_subalgoE5EiNS0_10empty_typeEbEEZZNS1_14partition_implILS5_5ELb0ES3_mN6thrust23THRUST_200600_302600_NS6detail15normal_iteratorINSA_10device_ptrIiEEEEPS6_NSA_18transform_iteratorINSB_9not_fun_tI7is_trueIiEEENSC_INSD_IbEEEENSA_11use_defaultESO_EENS0_5tupleIJSF_S6_EEENSQ_IJSG_SG_EEES6_PlJS6_EEE10hipError_tPvRmT3_T4_T5_T6_T7_T9_mT8_P12ihipStream_tbDpT10_ENKUlT_T0_E_clISt17integral_constantIbLb0EES1C_IbLb1EEEEDaS18_S19_EUlS18_E_NS1_11comp_targetILNS1_3genE8ELNS1_11target_archE1030ELNS1_3gpuE2ELNS1_3repE0EEENS1_30default_config_static_selectorELNS0_4arch9wavefront6targetE0EEEvT1_
	.globl	_ZN7rocprim17ROCPRIM_400000_NS6detail17trampoline_kernelINS0_14default_configENS1_25partition_config_selectorILNS1_17partition_subalgoE5EiNS0_10empty_typeEbEEZZNS1_14partition_implILS5_5ELb0ES3_mN6thrust23THRUST_200600_302600_NS6detail15normal_iteratorINSA_10device_ptrIiEEEEPS6_NSA_18transform_iteratorINSB_9not_fun_tI7is_trueIiEEENSC_INSD_IbEEEENSA_11use_defaultESO_EENS0_5tupleIJSF_S6_EEENSQ_IJSG_SG_EEES6_PlJS6_EEE10hipError_tPvRmT3_T4_T5_T6_T7_T9_mT8_P12ihipStream_tbDpT10_ENKUlT_T0_E_clISt17integral_constantIbLb0EES1C_IbLb1EEEEDaS18_S19_EUlS18_E_NS1_11comp_targetILNS1_3genE8ELNS1_11target_archE1030ELNS1_3gpuE2ELNS1_3repE0EEENS1_30default_config_static_selectorELNS0_4arch9wavefront6targetE0EEEvT1_
	.p2align	8
	.type	_ZN7rocprim17ROCPRIM_400000_NS6detail17trampoline_kernelINS0_14default_configENS1_25partition_config_selectorILNS1_17partition_subalgoE5EiNS0_10empty_typeEbEEZZNS1_14partition_implILS5_5ELb0ES3_mN6thrust23THRUST_200600_302600_NS6detail15normal_iteratorINSA_10device_ptrIiEEEEPS6_NSA_18transform_iteratorINSB_9not_fun_tI7is_trueIiEEENSC_INSD_IbEEEENSA_11use_defaultESO_EENS0_5tupleIJSF_S6_EEENSQ_IJSG_SG_EEES6_PlJS6_EEE10hipError_tPvRmT3_T4_T5_T6_T7_T9_mT8_P12ihipStream_tbDpT10_ENKUlT_T0_E_clISt17integral_constantIbLb0EES1C_IbLb1EEEEDaS18_S19_EUlS18_E_NS1_11comp_targetILNS1_3genE8ELNS1_11target_archE1030ELNS1_3gpuE2ELNS1_3repE0EEENS1_30default_config_static_selectorELNS0_4arch9wavefront6targetE0EEEvT1_,@function
_ZN7rocprim17ROCPRIM_400000_NS6detail17trampoline_kernelINS0_14default_configENS1_25partition_config_selectorILNS1_17partition_subalgoE5EiNS0_10empty_typeEbEEZZNS1_14partition_implILS5_5ELb0ES3_mN6thrust23THRUST_200600_302600_NS6detail15normal_iteratorINSA_10device_ptrIiEEEEPS6_NSA_18transform_iteratorINSB_9not_fun_tI7is_trueIiEEENSC_INSD_IbEEEENSA_11use_defaultESO_EENS0_5tupleIJSF_S6_EEENSQ_IJSG_SG_EEES6_PlJS6_EEE10hipError_tPvRmT3_T4_T5_T6_T7_T9_mT8_P12ihipStream_tbDpT10_ENKUlT_T0_E_clISt17integral_constantIbLb0EES1C_IbLb1EEEEDaS18_S19_EUlS18_E_NS1_11comp_targetILNS1_3genE8ELNS1_11target_archE1030ELNS1_3gpuE2ELNS1_3repE0EEENS1_30default_config_static_selectorELNS0_4arch9wavefront6targetE0EEEvT1_: ; @_ZN7rocprim17ROCPRIM_400000_NS6detail17trampoline_kernelINS0_14default_configENS1_25partition_config_selectorILNS1_17partition_subalgoE5EiNS0_10empty_typeEbEEZZNS1_14partition_implILS5_5ELb0ES3_mN6thrust23THRUST_200600_302600_NS6detail15normal_iteratorINSA_10device_ptrIiEEEEPS6_NSA_18transform_iteratorINSB_9not_fun_tI7is_trueIiEEENSC_INSD_IbEEEENSA_11use_defaultESO_EENS0_5tupleIJSF_S6_EEENSQ_IJSG_SG_EEES6_PlJS6_EEE10hipError_tPvRmT3_T4_T5_T6_T7_T9_mT8_P12ihipStream_tbDpT10_ENKUlT_T0_E_clISt17integral_constantIbLb0EES1C_IbLb1EEEEDaS18_S19_EUlS18_E_NS1_11comp_targetILNS1_3genE8ELNS1_11target_archE1030ELNS1_3gpuE2ELNS1_3repE0EEENS1_30default_config_static_selectorELNS0_4arch9wavefront6targetE0EEEvT1_
; %bb.0:
	.section	.rodata,"a",@progbits
	.p2align	6, 0x0
	.amdhsa_kernel _ZN7rocprim17ROCPRIM_400000_NS6detail17trampoline_kernelINS0_14default_configENS1_25partition_config_selectorILNS1_17partition_subalgoE5EiNS0_10empty_typeEbEEZZNS1_14partition_implILS5_5ELb0ES3_mN6thrust23THRUST_200600_302600_NS6detail15normal_iteratorINSA_10device_ptrIiEEEEPS6_NSA_18transform_iteratorINSB_9not_fun_tI7is_trueIiEEENSC_INSD_IbEEEENSA_11use_defaultESO_EENS0_5tupleIJSF_S6_EEENSQ_IJSG_SG_EEES6_PlJS6_EEE10hipError_tPvRmT3_T4_T5_T6_T7_T9_mT8_P12ihipStream_tbDpT10_ENKUlT_T0_E_clISt17integral_constantIbLb0EES1C_IbLb1EEEEDaS18_S19_EUlS18_E_NS1_11comp_targetILNS1_3genE8ELNS1_11target_archE1030ELNS1_3gpuE2ELNS1_3repE0EEENS1_30default_config_static_selectorELNS0_4arch9wavefront6targetE0EEEvT1_
		.amdhsa_group_segment_fixed_size 0
		.amdhsa_private_segment_fixed_size 0
		.amdhsa_kernarg_size 136
		.amdhsa_user_sgpr_count 2
		.amdhsa_user_sgpr_dispatch_ptr 0
		.amdhsa_user_sgpr_queue_ptr 0
		.amdhsa_user_sgpr_kernarg_segment_ptr 1
		.amdhsa_user_sgpr_dispatch_id 0
		.amdhsa_user_sgpr_private_segment_size 0
		.amdhsa_wavefront_size32 1
		.amdhsa_uses_dynamic_stack 0
		.amdhsa_enable_private_segment 0
		.amdhsa_system_sgpr_workgroup_id_x 1
		.amdhsa_system_sgpr_workgroup_id_y 0
		.amdhsa_system_sgpr_workgroup_id_z 0
		.amdhsa_system_sgpr_workgroup_info 0
		.amdhsa_system_vgpr_workitem_id 0
		.amdhsa_next_free_vgpr 1
		.amdhsa_next_free_sgpr 1
		.amdhsa_reserve_vcc 0
		.amdhsa_float_round_mode_32 0
		.amdhsa_float_round_mode_16_64 0
		.amdhsa_float_denorm_mode_32 3
		.amdhsa_float_denorm_mode_16_64 3
		.amdhsa_fp16_overflow 0
		.amdhsa_workgroup_processor_mode 1
		.amdhsa_memory_ordered 1
		.amdhsa_forward_progress 1
		.amdhsa_inst_pref_size 0
		.amdhsa_round_robin_scheduling 0
		.amdhsa_exception_fp_ieee_invalid_op 0
		.amdhsa_exception_fp_denorm_src 0
		.amdhsa_exception_fp_ieee_div_zero 0
		.amdhsa_exception_fp_ieee_overflow 0
		.amdhsa_exception_fp_ieee_underflow 0
		.amdhsa_exception_fp_ieee_inexact 0
		.amdhsa_exception_int_div_zero 0
	.end_amdhsa_kernel
	.section	.text._ZN7rocprim17ROCPRIM_400000_NS6detail17trampoline_kernelINS0_14default_configENS1_25partition_config_selectorILNS1_17partition_subalgoE5EiNS0_10empty_typeEbEEZZNS1_14partition_implILS5_5ELb0ES3_mN6thrust23THRUST_200600_302600_NS6detail15normal_iteratorINSA_10device_ptrIiEEEEPS6_NSA_18transform_iteratorINSB_9not_fun_tI7is_trueIiEEENSC_INSD_IbEEEENSA_11use_defaultESO_EENS0_5tupleIJSF_S6_EEENSQ_IJSG_SG_EEES6_PlJS6_EEE10hipError_tPvRmT3_T4_T5_T6_T7_T9_mT8_P12ihipStream_tbDpT10_ENKUlT_T0_E_clISt17integral_constantIbLb0EES1C_IbLb1EEEEDaS18_S19_EUlS18_E_NS1_11comp_targetILNS1_3genE8ELNS1_11target_archE1030ELNS1_3gpuE2ELNS1_3repE0EEENS1_30default_config_static_selectorELNS0_4arch9wavefront6targetE0EEEvT1_,"axG",@progbits,_ZN7rocprim17ROCPRIM_400000_NS6detail17trampoline_kernelINS0_14default_configENS1_25partition_config_selectorILNS1_17partition_subalgoE5EiNS0_10empty_typeEbEEZZNS1_14partition_implILS5_5ELb0ES3_mN6thrust23THRUST_200600_302600_NS6detail15normal_iteratorINSA_10device_ptrIiEEEEPS6_NSA_18transform_iteratorINSB_9not_fun_tI7is_trueIiEEENSC_INSD_IbEEEENSA_11use_defaultESO_EENS0_5tupleIJSF_S6_EEENSQ_IJSG_SG_EEES6_PlJS6_EEE10hipError_tPvRmT3_T4_T5_T6_T7_T9_mT8_P12ihipStream_tbDpT10_ENKUlT_T0_E_clISt17integral_constantIbLb0EES1C_IbLb1EEEEDaS18_S19_EUlS18_E_NS1_11comp_targetILNS1_3genE8ELNS1_11target_archE1030ELNS1_3gpuE2ELNS1_3repE0EEENS1_30default_config_static_selectorELNS0_4arch9wavefront6targetE0EEEvT1_,comdat
.Lfunc_end2556:
	.size	_ZN7rocprim17ROCPRIM_400000_NS6detail17trampoline_kernelINS0_14default_configENS1_25partition_config_selectorILNS1_17partition_subalgoE5EiNS0_10empty_typeEbEEZZNS1_14partition_implILS5_5ELb0ES3_mN6thrust23THRUST_200600_302600_NS6detail15normal_iteratorINSA_10device_ptrIiEEEEPS6_NSA_18transform_iteratorINSB_9not_fun_tI7is_trueIiEEENSC_INSD_IbEEEENSA_11use_defaultESO_EENS0_5tupleIJSF_S6_EEENSQ_IJSG_SG_EEES6_PlJS6_EEE10hipError_tPvRmT3_T4_T5_T6_T7_T9_mT8_P12ihipStream_tbDpT10_ENKUlT_T0_E_clISt17integral_constantIbLb0EES1C_IbLb1EEEEDaS18_S19_EUlS18_E_NS1_11comp_targetILNS1_3genE8ELNS1_11target_archE1030ELNS1_3gpuE2ELNS1_3repE0EEENS1_30default_config_static_selectorELNS0_4arch9wavefront6targetE0EEEvT1_, .Lfunc_end2556-_ZN7rocprim17ROCPRIM_400000_NS6detail17trampoline_kernelINS0_14default_configENS1_25partition_config_selectorILNS1_17partition_subalgoE5EiNS0_10empty_typeEbEEZZNS1_14partition_implILS5_5ELb0ES3_mN6thrust23THRUST_200600_302600_NS6detail15normal_iteratorINSA_10device_ptrIiEEEEPS6_NSA_18transform_iteratorINSB_9not_fun_tI7is_trueIiEEENSC_INSD_IbEEEENSA_11use_defaultESO_EENS0_5tupleIJSF_S6_EEENSQ_IJSG_SG_EEES6_PlJS6_EEE10hipError_tPvRmT3_T4_T5_T6_T7_T9_mT8_P12ihipStream_tbDpT10_ENKUlT_T0_E_clISt17integral_constantIbLb0EES1C_IbLb1EEEEDaS18_S19_EUlS18_E_NS1_11comp_targetILNS1_3genE8ELNS1_11target_archE1030ELNS1_3gpuE2ELNS1_3repE0EEENS1_30default_config_static_selectorELNS0_4arch9wavefront6targetE0EEEvT1_
                                        ; -- End function
	.set _ZN7rocprim17ROCPRIM_400000_NS6detail17trampoline_kernelINS0_14default_configENS1_25partition_config_selectorILNS1_17partition_subalgoE5EiNS0_10empty_typeEbEEZZNS1_14partition_implILS5_5ELb0ES3_mN6thrust23THRUST_200600_302600_NS6detail15normal_iteratorINSA_10device_ptrIiEEEEPS6_NSA_18transform_iteratorINSB_9not_fun_tI7is_trueIiEEENSC_INSD_IbEEEENSA_11use_defaultESO_EENS0_5tupleIJSF_S6_EEENSQ_IJSG_SG_EEES6_PlJS6_EEE10hipError_tPvRmT3_T4_T5_T6_T7_T9_mT8_P12ihipStream_tbDpT10_ENKUlT_T0_E_clISt17integral_constantIbLb0EES1C_IbLb1EEEEDaS18_S19_EUlS18_E_NS1_11comp_targetILNS1_3genE8ELNS1_11target_archE1030ELNS1_3gpuE2ELNS1_3repE0EEENS1_30default_config_static_selectorELNS0_4arch9wavefront6targetE0EEEvT1_.num_vgpr, 0
	.set _ZN7rocprim17ROCPRIM_400000_NS6detail17trampoline_kernelINS0_14default_configENS1_25partition_config_selectorILNS1_17partition_subalgoE5EiNS0_10empty_typeEbEEZZNS1_14partition_implILS5_5ELb0ES3_mN6thrust23THRUST_200600_302600_NS6detail15normal_iteratorINSA_10device_ptrIiEEEEPS6_NSA_18transform_iteratorINSB_9not_fun_tI7is_trueIiEEENSC_INSD_IbEEEENSA_11use_defaultESO_EENS0_5tupleIJSF_S6_EEENSQ_IJSG_SG_EEES6_PlJS6_EEE10hipError_tPvRmT3_T4_T5_T6_T7_T9_mT8_P12ihipStream_tbDpT10_ENKUlT_T0_E_clISt17integral_constantIbLb0EES1C_IbLb1EEEEDaS18_S19_EUlS18_E_NS1_11comp_targetILNS1_3genE8ELNS1_11target_archE1030ELNS1_3gpuE2ELNS1_3repE0EEENS1_30default_config_static_selectorELNS0_4arch9wavefront6targetE0EEEvT1_.num_agpr, 0
	.set _ZN7rocprim17ROCPRIM_400000_NS6detail17trampoline_kernelINS0_14default_configENS1_25partition_config_selectorILNS1_17partition_subalgoE5EiNS0_10empty_typeEbEEZZNS1_14partition_implILS5_5ELb0ES3_mN6thrust23THRUST_200600_302600_NS6detail15normal_iteratorINSA_10device_ptrIiEEEEPS6_NSA_18transform_iteratorINSB_9not_fun_tI7is_trueIiEEENSC_INSD_IbEEEENSA_11use_defaultESO_EENS0_5tupleIJSF_S6_EEENSQ_IJSG_SG_EEES6_PlJS6_EEE10hipError_tPvRmT3_T4_T5_T6_T7_T9_mT8_P12ihipStream_tbDpT10_ENKUlT_T0_E_clISt17integral_constantIbLb0EES1C_IbLb1EEEEDaS18_S19_EUlS18_E_NS1_11comp_targetILNS1_3genE8ELNS1_11target_archE1030ELNS1_3gpuE2ELNS1_3repE0EEENS1_30default_config_static_selectorELNS0_4arch9wavefront6targetE0EEEvT1_.numbered_sgpr, 0
	.set _ZN7rocprim17ROCPRIM_400000_NS6detail17trampoline_kernelINS0_14default_configENS1_25partition_config_selectorILNS1_17partition_subalgoE5EiNS0_10empty_typeEbEEZZNS1_14partition_implILS5_5ELb0ES3_mN6thrust23THRUST_200600_302600_NS6detail15normal_iteratorINSA_10device_ptrIiEEEEPS6_NSA_18transform_iteratorINSB_9not_fun_tI7is_trueIiEEENSC_INSD_IbEEEENSA_11use_defaultESO_EENS0_5tupleIJSF_S6_EEENSQ_IJSG_SG_EEES6_PlJS6_EEE10hipError_tPvRmT3_T4_T5_T6_T7_T9_mT8_P12ihipStream_tbDpT10_ENKUlT_T0_E_clISt17integral_constantIbLb0EES1C_IbLb1EEEEDaS18_S19_EUlS18_E_NS1_11comp_targetILNS1_3genE8ELNS1_11target_archE1030ELNS1_3gpuE2ELNS1_3repE0EEENS1_30default_config_static_selectorELNS0_4arch9wavefront6targetE0EEEvT1_.num_named_barrier, 0
	.set _ZN7rocprim17ROCPRIM_400000_NS6detail17trampoline_kernelINS0_14default_configENS1_25partition_config_selectorILNS1_17partition_subalgoE5EiNS0_10empty_typeEbEEZZNS1_14partition_implILS5_5ELb0ES3_mN6thrust23THRUST_200600_302600_NS6detail15normal_iteratorINSA_10device_ptrIiEEEEPS6_NSA_18transform_iteratorINSB_9not_fun_tI7is_trueIiEEENSC_INSD_IbEEEENSA_11use_defaultESO_EENS0_5tupleIJSF_S6_EEENSQ_IJSG_SG_EEES6_PlJS6_EEE10hipError_tPvRmT3_T4_T5_T6_T7_T9_mT8_P12ihipStream_tbDpT10_ENKUlT_T0_E_clISt17integral_constantIbLb0EES1C_IbLb1EEEEDaS18_S19_EUlS18_E_NS1_11comp_targetILNS1_3genE8ELNS1_11target_archE1030ELNS1_3gpuE2ELNS1_3repE0EEENS1_30default_config_static_selectorELNS0_4arch9wavefront6targetE0EEEvT1_.private_seg_size, 0
	.set _ZN7rocprim17ROCPRIM_400000_NS6detail17trampoline_kernelINS0_14default_configENS1_25partition_config_selectorILNS1_17partition_subalgoE5EiNS0_10empty_typeEbEEZZNS1_14partition_implILS5_5ELb0ES3_mN6thrust23THRUST_200600_302600_NS6detail15normal_iteratorINSA_10device_ptrIiEEEEPS6_NSA_18transform_iteratorINSB_9not_fun_tI7is_trueIiEEENSC_INSD_IbEEEENSA_11use_defaultESO_EENS0_5tupleIJSF_S6_EEENSQ_IJSG_SG_EEES6_PlJS6_EEE10hipError_tPvRmT3_T4_T5_T6_T7_T9_mT8_P12ihipStream_tbDpT10_ENKUlT_T0_E_clISt17integral_constantIbLb0EES1C_IbLb1EEEEDaS18_S19_EUlS18_E_NS1_11comp_targetILNS1_3genE8ELNS1_11target_archE1030ELNS1_3gpuE2ELNS1_3repE0EEENS1_30default_config_static_selectorELNS0_4arch9wavefront6targetE0EEEvT1_.uses_vcc, 0
	.set _ZN7rocprim17ROCPRIM_400000_NS6detail17trampoline_kernelINS0_14default_configENS1_25partition_config_selectorILNS1_17partition_subalgoE5EiNS0_10empty_typeEbEEZZNS1_14partition_implILS5_5ELb0ES3_mN6thrust23THRUST_200600_302600_NS6detail15normal_iteratorINSA_10device_ptrIiEEEEPS6_NSA_18transform_iteratorINSB_9not_fun_tI7is_trueIiEEENSC_INSD_IbEEEENSA_11use_defaultESO_EENS0_5tupleIJSF_S6_EEENSQ_IJSG_SG_EEES6_PlJS6_EEE10hipError_tPvRmT3_T4_T5_T6_T7_T9_mT8_P12ihipStream_tbDpT10_ENKUlT_T0_E_clISt17integral_constantIbLb0EES1C_IbLb1EEEEDaS18_S19_EUlS18_E_NS1_11comp_targetILNS1_3genE8ELNS1_11target_archE1030ELNS1_3gpuE2ELNS1_3repE0EEENS1_30default_config_static_selectorELNS0_4arch9wavefront6targetE0EEEvT1_.uses_flat_scratch, 0
	.set _ZN7rocprim17ROCPRIM_400000_NS6detail17trampoline_kernelINS0_14default_configENS1_25partition_config_selectorILNS1_17partition_subalgoE5EiNS0_10empty_typeEbEEZZNS1_14partition_implILS5_5ELb0ES3_mN6thrust23THRUST_200600_302600_NS6detail15normal_iteratorINSA_10device_ptrIiEEEEPS6_NSA_18transform_iteratorINSB_9not_fun_tI7is_trueIiEEENSC_INSD_IbEEEENSA_11use_defaultESO_EENS0_5tupleIJSF_S6_EEENSQ_IJSG_SG_EEES6_PlJS6_EEE10hipError_tPvRmT3_T4_T5_T6_T7_T9_mT8_P12ihipStream_tbDpT10_ENKUlT_T0_E_clISt17integral_constantIbLb0EES1C_IbLb1EEEEDaS18_S19_EUlS18_E_NS1_11comp_targetILNS1_3genE8ELNS1_11target_archE1030ELNS1_3gpuE2ELNS1_3repE0EEENS1_30default_config_static_selectorELNS0_4arch9wavefront6targetE0EEEvT1_.has_dyn_sized_stack, 0
	.set _ZN7rocprim17ROCPRIM_400000_NS6detail17trampoline_kernelINS0_14default_configENS1_25partition_config_selectorILNS1_17partition_subalgoE5EiNS0_10empty_typeEbEEZZNS1_14partition_implILS5_5ELb0ES3_mN6thrust23THRUST_200600_302600_NS6detail15normal_iteratorINSA_10device_ptrIiEEEEPS6_NSA_18transform_iteratorINSB_9not_fun_tI7is_trueIiEEENSC_INSD_IbEEEENSA_11use_defaultESO_EENS0_5tupleIJSF_S6_EEENSQ_IJSG_SG_EEES6_PlJS6_EEE10hipError_tPvRmT3_T4_T5_T6_T7_T9_mT8_P12ihipStream_tbDpT10_ENKUlT_T0_E_clISt17integral_constantIbLb0EES1C_IbLb1EEEEDaS18_S19_EUlS18_E_NS1_11comp_targetILNS1_3genE8ELNS1_11target_archE1030ELNS1_3gpuE2ELNS1_3repE0EEENS1_30default_config_static_selectorELNS0_4arch9wavefront6targetE0EEEvT1_.has_recursion, 0
	.set _ZN7rocprim17ROCPRIM_400000_NS6detail17trampoline_kernelINS0_14default_configENS1_25partition_config_selectorILNS1_17partition_subalgoE5EiNS0_10empty_typeEbEEZZNS1_14partition_implILS5_5ELb0ES3_mN6thrust23THRUST_200600_302600_NS6detail15normal_iteratorINSA_10device_ptrIiEEEEPS6_NSA_18transform_iteratorINSB_9not_fun_tI7is_trueIiEEENSC_INSD_IbEEEENSA_11use_defaultESO_EENS0_5tupleIJSF_S6_EEENSQ_IJSG_SG_EEES6_PlJS6_EEE10hipError_tPvRmT3_T4_T5_T6_T7_T9_mT8_P12ihipStream_tbDpT10_ENKUlT_T0_E_clISt17integral_constantIbLb0EES1C_IbLb1EEEEDaS18_S19_EUlS18_E_NS1_11comp_targetILNS1_3genE8ELNS1_11target_archE1030ELNS1_3gpuE2ELNS1_3repE0EEENS1_30default_config_static_selectorELNS0_4arch9wavefront6targetE0EEEvT1_.has_indirect_call, 0
	.section	.AMDGPU.csdata,"",@progbits
; Kernel info:
; codeLenInByte = 0
; TotalNumSgprs: 0
; NumVgprs: 0
; ScratchSize: 0
; MemoryBound: 0
; FloatMode: 240
; IeeeMode: 1
; LDSByteSize: 0 bytes/workgroup (compile time only)
; SGPRBlocks: 0
; VGPRBlocks: 0
; NumSGPRsForWavesPerEU: 1
; NumVGPRsForWavesPerEU: 1
; Occupancy: 16
; WaveLimiterHint : 0
; COMPUTE_PGM_RSRC2:SCRATCH_EN: 0
; COMPUTE_PGM_RSRC2:USER_SGPR: 2
; COMPUTE_PGM_RSRC2:TRAP_HANDLER: 0
; COMPUTE_PGM_RSRC2:TGID_X_EN: 1
; COMPUTE_PGM_RSRC2:TGID_Y_EN: 0
; COMPUTE_PGM_RSRC2:TGID_Z_EN: 0
; COMPUTE_PGM_RSRC2:TIDIG_COMP_CNT: 0
	.section	.text._ZN7rocprim17ROCPRIM_400000_NS6detail17trampoline_kernelINS0_14default_configENS1_25partition_config_selectorILNS1_17partition_subalgoE5EsNS0_10empty_typeEbEEZZNS1_14partition_implILS5_5ELb0ES3_mN6thrust23THRUST_200600_302600_NS6detail15normal_iteratorINSA_10device_ptrIsEEEEPS6_NSA_18transform_iteratorINSB_9not_fun_tI7is_trueIsEEENSC_INSD_IbEEEENSA_11use_defaultESO_EENS0_5tupleIJSF_S6_EEENSQ_IJSG_SG_EEES6_PlJS6_EEE10hipError_tPvRmT3_T4_T5_T6_T7_T9_mT8_P12ihipStream_tbDpT10_ENKUlT_T0_E_clISt17integral_constantIbLb0EES1D_EEDaS18_S19_EUlS18_E_NS1_11comp_targetILNS1_3genE0ELNS1_11target_archE4294967295ELNS1_3gpuE0ELNS1_3repE0EEENS1_30default_config_static_selectorELNS0_4arch9wavefront6targetE0EEEvT1_,"axG",@progbits,_ZN7rocprim17ROCPRIM_400000_NS6detail17trampoline_kernelINS0_14default_configENS1_25partition_config_selectorILNS1_17partition_subalgoE5EsNS0_10empty_typeEbEEZZNS1_14partition_implILS5_5ELb0ES3_mN6thrust23THRUST_200600_302600_NS6detail15normal_iteratorINSA_10device_ptrIsEEEEPS6_NSA_18transform_iteratorINSB_9not_fun_tI7is_trueIsEEENSC_INSD_IbEEEENSA_11use_defaultESO_EENS0_5tupleIJSF_S6_EEENSQ_IJSG_SG_EEES6_PlJS6_EEE10hipError_tPvRmT3_T4_T5_T6_T7_T9_mT8_P12ihipStream_tbDpT10_ENKUlT_T0_E_clISt17integral_constantIbLb0EES1D_EEDaS18_S19_EUlS18_E_NS1_11comp_targetILNS1_3genE0ELNS1_11target_archE4294967295ELNS1_3gpuE0ELNS1_3repE0EEENS1_30default_config_static_selectorELNS0_4arch9wavefront6targetE0EEEvT1_,comdat
	.protected	_ZN7rocprim17ROCPRIM_400000_NS6detail17trampoline_kernelINS0_14default_configENS1_25partition_config_selectorILNS1_17partition_subalgoE5EsNS0_10empty_typeEbEEZZNS1_14partition_implILS5_5ELb0ES3_mN6thrust23THRUST_200600_302600_NS6detail15normal_iteratorINSA_10device_ptrIsEEEEPS6_NSA_18transform_iteratorINSB_9not_fun_tI7is_trueIsEEENSC_INSD_IbEEEENSA_11use_defaultESO_EENS0_5tupleIJSF_S6_EEENSQ_IJSG_SG_EEES6_PlJS6_EEE10hipError_tPvRmT3_T4_T5_T6_T7_T9_mT8_P12ihipStream_tbDpT10_ENKUlT_T0_E_clISt17integral_constantIbLb0EES1D_EEDaS18_S19_EUlS18_E_NS1_11comp_targetILNS1_3genE0ELNS1_11target_archE4294967295ELNS1_3gpuE0ELNS1_3repE0EEENS1_30default_config_static_selectorELNS0_4arch9wavefront6targetE0EEEvT1_ ; -- Begin function _ZN7rocprim17ROCPRIM_400000_NS6detail17trampoline_kernelINS0_14default_configENS1_25partition_config_selectorILNS1_17partition_subalgoE5EsNS0_10empty_typeEbEEZZNS1_14partition_implILS5_5ELb0ES3_mN6thrust23THRUST_200600_302600_NS6detail15normal_iteratorINSA_10device_ptrIsEEEEPS6_NSA_18transform_iteratorINSB_9not_fun_tI7is_trueIsEEENSC_INSD_IbEEEENSA_11use_defaultESO_EENS0_5tupleIJSF_S6_EEENSQ_IJSG_SG_EEES6_PlJS6_EEE10hipError_tPvRmT3_T4_T5_T6_T7_T9_mT8_P12ihipStream_tbDpT10_ENKUlT_T0_E_clISt17integral_constantIbLb0EES1D_EEDaS18_S19_EUlS18_E_NS1_11comp_targetILNS1_3genE0ELNS1_11target_archE4294967295ELNS1_3gpuE0ELNS1_3repE0EEENS1_30default_config_static_selectorELNS0_4arch9wavefront6targetE0EEEvT1_
	.globl	_ZN7rocprim17ROCPRIM_400000_NS6detail17trampoline_kernelINS0_14default_configENS1_25partition_config_selectorILNS1_17partition_subalgoE5EsNS0_10empty_typeEbEEZZNS1_14partition_implILS5_5ELb0ES3_mN6thrust23THRUST_200600_302600_NS6detail15normal_iteratorINSA_10device_ptrIsEEEEPS6_NSA_18transform_iteratorINSB_9not_fun_tI7is_trueIsEEENSC_INSD_IbEEEENSA_11use_defaultESO_EENS0_5tupleIJSF_S6_EEENSQ_IJSG_SG_EEES6_PlJS6_EEE10hipError_tPvRmT3_T4_T5_T6_T7_T9_mT8_P12ihipStream_tbDpT10_ENKUlT_T0_E_clISt17integral_constantIbLb0EES1D_EEDaS18_S19_EUlS18_E_NS1_11comp_targetILNS1_3genE0ELNS1_11target_archE4294967295ELNS1_3gpuE0ELNS1_3repE0EEENS1_30default_config_static_selectorELNS0_4arch9wavefront6targetE0EEEvT1_
	.p2align	8
	.type	_ZN7rocprim17ROCPRIM_400000_NS6detail17trampoline_kernelINS0_14default_configENS1_25partition_config_selectorILNS1_17partition_subalgoE5EsNS0_10empty_typeEbEEZZNS1_14partition_implILS5_5ELb0ES3_mN6thrust23THRUST_200600_302600_NS6detail15normal_iteratorINSA_10device_ptrIsEEEEPS6_NSA_18transform_iteratorINSB_9not_fun_tI7is_trueIsEEENSC_INSD_IbEEEENSA_11use_defaultESO_EENS0_5tupleIJSF_S6_EEENSQ_IJSG_SG_EEES6_PlJS6_EEE10hipError_tPvRmT3_T4_T5_T6_T7_T9_mT8_P12ihipStream_tbDpT10_ENKUlT_T0_E_clISt17integral_constantIbLb0EES1D_EEDaS18_S19_EUlS18_E_NS1_11comp_targetILNS1_3genE0ELNS1_11target_archE4294967295ELNS1_3gpuE0ELNS1_3repE0EEENS1_30default_config_static_selectorELNS0_4arch9wavefront6targetE0EEEvT1_,@function
_ZN7rocprim17ROCPRIM_400000_NS6detail17trampoline_kernelINS0_14default_configENS1_25partition_config_selectorILNS1_17partition_subalgoE5EsNS0_10empty_typeEbEEZZNS1_14partition_implILS5_5ELb0ES3_mN6thrust23THRUST_200600_302600_NS6detail15normal_iteratorINSA_10device_ptrIsEEEEPS6_NSA_18transform_iteratorINSB_9not_fun_tI7is_trueIsEEENSC_INSD_IbEEEENSA_11use_defaultESO_EENS0_5tupleIJSF_S6_EEENSQ_IJSG_SG_EEES6_PlJS6_EEE10hipError_tPvRmT3_T4_T5_T6_T7_T9_mT8_P12ihipStream_tbDpT10_ENKUlT_T0_E_clISt17integral_constantIbLb0EES1D_EEDaS18_S19_EUlS18_E_NS1_11comp_targetILNS1_3genE0ELNS1_11target_archE4294967295ELNS1_3gpuE0ELNS1_3repE0EEENS1_30default_config_static_selectorELNS0_4arch9wavefront6targetE0EEEvT1_: ; @_ZN7rocprim17ROCPRIM_400000_NS6detail17trampoline_kernelINS0_14default_configENS1_25partition_config_selectorILNS1_17partition_subalgoE5EsNS0_10empty_typeEbEEZZNS1_14partition_implILS5_5ELb0ES3_mN6thrust23THRUST_200600_302600_NS6detail15normal_iteratorINSA_10device_ptrIsEEEEPS6_NSA_18transform_iteratorINSB_9not_fun_tI7is_trueIsEEENSC_INSD_IbEEEENSA_11use_defaultESO_EENS0_5tupleIJSF_S6_EEENSQ_IJSG_SG_EEES6_PlJS6_EEE10hipError_tPvRmT3_T4_T5_T6_T7_T9_mT8_P12ihipStream_tbDpT10_ENKUlT_T0_E_clISt17integral_constantIbLb0EES1D_EEDaS18_S19_EUlS18_E_NS1_11comp_targetILNS1_3genE0ELNS1_11target_archE4294967295ELNS1_3gpuE0ELNS1_3repE0EEENS1_30default_config_static_selectorELNS0_4arch9wavefront6targetE0EEEvT1_
; %bb.0:
	.section	.rodata,"a",@progbits
	.p2align	6, 0x0
	.amdhsa_kernel _ZN7rocprim17ROCPRIM_400000_NS6detail17trampoline_kernelINS0_14default_configENS1_25partition_config_selectorILNS1_17partition_subalgoE5EsNS0_10empty_typeEbEEZZNS1_14partition_implILS5_5ELb0ES3_mN6thrust23THRUST_200600_302600_NS6detail15normal_iteratorINSA_10device_ptrIsEEEEPS6_NSA_18transform_iteratorINSB_9not_fun_tI7is_trueIsEEENSC_INSD_IbEEEENSA_11use_defaultESO_EENS0_5tupleIJSF_S6_EEENSQ_IJSG_SG_EEES6_PlJS6_EEE10hipError_tPvRmT3_T4_T5_T6_T7_T9_mT8_P12ihipStream_tbDpT10_ENKUlT_T0_E_clISt17integral_constantIbLb0EES1D_EEDaS18_S19_EUlS18_E_NS1_11comp_targetILNS1_3genE0ELNS1_11target_archE4294967295ELNS1_3gpuE0ELNS1_3repE0EEENS1_30default_config_static_selectorELNS0_4arch9wavefront6targetE0EEEvT1_
		.amdhsa_group_segment_fixed_size 0
		.amdhsa_private_segment_fixed_size 0
		.amdhsa_kernarg_size 120
		.amdhsa_user_sgpr_count 2
		.amdhsa_user_sgpr_dispatch_ptr 0
		.amdhsa_user_sgpr_queue_ptr 0
		.amdhsa_user_sgpr_kernarg_segment_ptr 1
		.amdhsa_user_sgpr_dispatch_id 0
		.amdhsa_user_sgpr_private_segment_size 0
		.amdhsa_wavefront_size32 1
		.amdhsa_uses_dynamic_stack 0
		.amdhsa_enable_private_segment 0
		.amdhsa_system_sgpr_workgroup_id_x 1
		.amdhsa_system_sgpr_workgroup_id_y 0
		.amdhsa_system_sgpr_workgroup_id_z 0
		.amdhsa_system_sgpr_workgroup_info 0
		.amdhsa_system_vgpr_workitem_id 0
		.amdhsa_next_free_vgpr 1
		.amdhsa_next_free_sgpr 1
		.amdhsa_reserve_vcc 0
		.amdhsa_float_round_mode_32 0
		.amdhsa_float_round_mode_16_64 0
		.amdhsa_float_denorm_mode_32 3
		.amdhsa_float_denorm_mode_16_64 3
		.amdhsa_fp16_overflow 0
		.amdhsa_workgroup_processor_mode 1
		.amdhsa_memory_ordered 1
		.amdhsa_forward_progress 1
		.amdhsa_inst_pref_size 0
		.amdhsa_round_robin_scheduling 0
		.amdhsa_exception_fp_ieee_invalid_op 0
		.amdhsa_exception_fp_denorm_src 0
		.amdhsa_exception_fp_ieee_div_zero 0
		.amdhsa_exception_fp_ieee_overflow 0
		.amdhsa_exception_fp_ieee_underflow 0
		.amdhsa_exception_fp_ieee_inexact 0
		.amdhsa_exception_int_div_zero 0
	.end_amdhsa_kernel
	.section	.text._ZN7rocprim17ROCPRIM_400000_NS6detail17trampoline_kernelINS0_14default_configENS1_25partition_config_selectorILNS1_17partition_subalgoE5EsNS0_10empty_typeEbEEZZNS1_14partition_implILS5_5ELb0ES3_mN6thrust23THRUST_200600_302600_NS6detail15normal_iteratorINSA_10device_ptrIsEEEEPS6_NSA_18transform_iteratorINSB_9not_fun_tI7is_trueIsEEENSC_INSD_IbEEEENSA_11use_defaultESO_EENS0_5tupleIJSF_S6_EEENSQ_IJSG_SG_EEES6_PlJS6_EEE10hipError_tPvRmT3_T4_T5_T6_T7_T9_mT8_P12ihipStream_tbDpT10_ENKUlT_T0_E_clISt17integral_constantIbLb0EES1D_EEDaS18_S19_EUlS18_E_NS1_11comp_targetILNS1_3genE0ELNS1_11target_archE4294967295ELNS1_3gpuE0ELNS1_3repE0EEENS1_30default_config_static_selectorELNS0_4arch9wavefront6targetE0EEEvT1_,"axG",@progbits,_ZN7rocprim17ROCPRIM_400000_NS6detail17trampoline_kernelINS0_14default_configENS1_25partition_config_selectorILNS1_17partition_subalgoE5EsNS0_10empty_typeEbEEZZNS1_14partition_implILS5_5ELb0ES3_mN6thrust23THRUST_200600_302600_NS6detail15normal_iteratorINSA_10device_ptrIsEEEEPS6_NSA_18transform_iteratorINSB_9not_fun_tI7is_trueIsEEENSC_INSD_IbEEEENSA_11use_defaultESO_EENS0_5tupleIJSF_S6_EEENSQ_IJSG_SG_EEES6_PlJS6_EEE10hipError_tPvRmT3_T4_T5_T6_T7_T9_mT8_P12ihipStream_tbDpT10_ENKUlT_T0_E_clISt17integral_constantIbLb0EES1D_EEDaS18_S19_EUlS18_E_NS1_11comp_targetILNS1_3genE0ELNS1_11target_archE4294967295ELNS1_3gpuE0ELNS1_3repE0EEENS1_30default_config_static_selectorELNS0_4arch9wavefront6targetE0EEEvT1_,comdat
.Lfunc_end2557:
	.size	_ZN7rocprim17ROCPRIM_400000_NS6detail17trampoline_kernelINS0_14default_configENS1_25partition_config_selectorILNS1_17partition_subalgoE5EsNS0_10empty_typeEbEEZZNS1_14partition_implILS5_5ELb0ES3_mN6thrust23THRUST_200600_302600_NS6detail15normal_iteratorINSA_10device_ptrIsEEEEPS6_NSA_18transform_iteratorINSB_9not_fun_tI7is_trueIsEEENSC_INSD_IbEEEENSA_11use_defaultESO_EENS0_5tupleIJSF_S6_EEENSQ_IJSG_SG_EEES6_PlJS6_EEE10hipError_tPvRmT3_T4_T5_T6_T7_T9_mT8_P12ihipStream_tbDpT10_ENKUlT_T0_E_clISt17integral_constantIbLb0EES1D_EEDaS18_S19_EUlS18_E_NS1_11comp_targetILNS1_3genE0ELNS1_11target_archE4294967295ELNS1_3gpuE0ELNS1_3repE0EEENS1_30default_config_static_selectorELNS0_4arch9wavefront6targetE0EEEvT1_, .Lfunc_end2557-_ZN7rocprim17ROCPRIM_400000_NS6detail17trampoline_kernelINS0_14default_configENS1_25partition_config_selectorILNS1_17partition_subalgoE5EsNS0_10empty_typeEbEEZZNS1_14partition_implILS5_5ELb0ES3_mN6thrust23THRUST_200600_302600_NS6detail15normal_iteratorINSA_10device_ptrIsEEEEPS6_NSA_18transform_iteratorINSB_9not_fun_tI7is_trueIsEEENSC_INSD_IbEEEENSA_11use_defaultESO_EENS0_5tupleIJSF_S6_EEENSQ_IJSG_SG_EEES6_PlJS6_EEE10hipError_tPvRmT3_T4_T5_T6_T7_T9_mT8_P12ihipStream_tbDpT10_ENKUlT_T0_E_clISt17integral_constantIbLb0EES1D_EEDaS18_S19_EUlS18_E_NS1_11comp_targetILNS1_3genE0ELNS1_11target_archE4294967295ELNS1_3gpuE0ELNS1_3repE0EEENS1_30default_config_static_selectorELNS0_4arch9wavefront6targetE0EEEvT1_
                                        ; -- End function
	.set _ZN7rocprim17ROCPRIM_400000_NS6detail17trampoline_kernelINS0_14default_configENS1_25partition_config_selectorILNS1_17partition_subalgoE5EsNS0_10empty_typeEbEEZZNS1_14partition_implILS5_5ELb0ES3_mN6thrust23THRUST_200600_302600_NS6detail15normal_iteratorINSA_10device_ptrIsEEEEPS6_NSA_18transform_iteratorINSB_9not_fun_tI7is_trueIsEEENSC_INSD_IbEEEENSA_11use_defaultESO_EENS0_5tupleIJSF_S6_EEENSQ_IJSG_SG_EEES6_PlJS6_EEE10hipError_tPvRmT3_T4_T5_T6_T7_T9_mT8_P12ihipStream_tbDpT10_ENKUlT_T0_E_clISt17integral_constantIbLb0EES1D_EEDaS18_S19_EUlS18_E_NS1_11comp_targetILNS1_3genE0ELNS1_11target_archE4294967295ELNS1_3gpuE0ELNS1_3repE0EEENS1_30default_config_static_selectorELNS0_4arch9wavefront6targetE0EEEvT1_.num_vgpr, 0
	.set _ZN7rocprim17ROCPRIM_400000_NS6detail17trampoline_kernelINS0_14default_configENS1_25partition_config_selectorILNS1_17partition_subalgoE5EsNS0_10empty_typeEbEEZZNS1_14partition_implILS5_5ELb0ES3_mN6thrust23THRUST_200600_302600_NS6detail15normal_iteratorINSA_10device_ptrIsEEEEPS6_NSA_18transform_iteratorINSB_9not_fun_tI7is_trueIsEEENSC_INSD_IbEEEENSA_11use_defaultESO_EENS0_5tupleIJSF_S6_EEENSQ_IJSG_SG_EEES6_PlJS6_EEE10hipError_tPvRmT3_T4_T5_T6_T7_T9_mT8_P12ihipStream_tbDpT10_ENKUlT_T0_E_clISt17integral_constantIbLb0EES1D_EEDaS18_S19_EUlS18_E_NS1_11comp_targetILNS1_3genE0ELNS1_11target_archE4294967295ELNS1_3gpuE0ELNS1_3repE0EEENS1_30default_config_static_selectorELNS0_4arch9wavefront6targetE0EEEvT1_.num_agpr, 0
	.set _ZN7rocprim17ROCPRIM_400000_NS6detail17trampoline_kernelINS0_14default_configENS1_25partition_config_selectorILNS1_17partition_subalgoE5EsNS0_10empty_typeEbEEZZNS1_14partition_implILS5_5ELb0ES3_mN6thrust23THRUST_200600_302600_NS6detail15normal_iteratorINSA_10device_ptrIsEEEEPS6_NSA_18transform_iteratorINSB_9not_fun_tI7is_trueIsEEENSC_INSD_IbEEEENSA_11use_defaultESO_EENS0_5tupleIJSF_S6_EEENSQ_IJSG_SG_EEES6_PlJS6_EEE10hipError_tPvRmT3_T4_T5_T6_T7_T9_mT8_P12ihipStream_tbDpT10_ENKUlT_T0_E_clISt17integral_constantIbLb0EES1D_EEDaS18_S19_EUlS18_E_NS1_11comp_targetILNS1_3genE0ELNS1_11target_archE4294967295ELNS1_3gpuE0ELNS1_3repE0EEENS1_30default_config_static_selectorELNS0_4arch9wavefront6targetE0EEEvT1_.numbered_sgpr, 0
	.set _ZN7rocprim17ROCPRIM_400000_NS6detail17trampoline_kernelINS0_14default_configENS1_25partition_config_selectorILNS1_17partition_subalgoE5EsNS0_10empty_typeEbEEZZNS1_14partition_implILS5_5ELb0ES3_mN6thrust23THRUST_200600_302600_NS6detail15normal_iteratorINSA_10device_ptrIsEEEEPS6_NSA_18transform_iteratorINSB_9not_fun_tI7is_trueIsEEENSC_INSD_IbEEEENSA_11use_defaultESO_EENS0_5tupleIJSF_S6_EEENSQ_IJSG_SG_EEES6_PlJS6_EEE10hipError_tPvRmT3_T4_T5_T6_T7_T9_mT8_P12ihipStream_tbDpT10_ENKUlT_T0_E_clISt17integral_constantIbLb0EES1D_EEDaS18_S19_EUlS18_E_NS1_11comp_targetILNS1_3genE0ELNS1_11target_archE4294967295ELNS1_3gpuE0ELNS1_3repE0EEENS1_30default_config_static_selectorELNS0_4arch9wavefront6targetE0EEEvT1_.num_named_barrier, 0
	.set _ZN7rocprim17ROCPRIM_400000_NS6detail17trampoline_kernelINS0_14default_configENS1_25partition_config_selectorILNS1_17partition_subalgoE5EsNS0_10empty_typeEbEEZZNS1_14partition_implILS5_5ELb0ES3_mN6thrust23THRUST_200600_302600_NS6detail15normal_iteratorINSA_10device_ptrIsEEEEPS6_NSA_18transform_iteratorINSB_9not_fun_tI7is_trueIsEEENSC_INSD_IbEEEENSA_11use_defaultESO_EENS0_5tupleIJSF_S6_EEENSQ_IJSG_SG_EEES6_PlJS6_EEE10hipError_tPvRmT3_T4_T5_T6_T7_T9_mT8_P12ihipStream_tbDpT10_ENKUlT_T0_E_clISt17integral_constantIbLb0EES1D_EEDaS18_S19_EUlS18_E_NS1_11comp_targetILNS1_3genE0ELNS1_11target_archE4294967295ELNS1_3gpuE0ELNS1_3repE0EEENS1_30default_config_static_selectorELNS0_4arch9wavefront6targetE0EEEvT1_.private_seg_size, 0
	.set _ZN7rocprim17ROCPRIM_400000_NS6detail17trampoline_kernelINS0_14default_configENS1_25partition_config_selectorILNS1_17partition_subalgoE5EsNS0_10empty_typeEbEEZZNS1_14partition_implILS5_5ELb0ES3_mN6thrust23THRUST_200600_302600_NS6detail15normal_iteratorINSA_10device_ptrIsEEEEPS6_NSA_18transform_iteratorINSB_9not_fun_tI7is_trueIsEEENSC_INSD_IbEEEENSA_11use_defaultESO_EENS0_5tupleIJSF_S6_EEENSQ_IJSG_SG_EEES6_PlJS6_EEE10hipError_tPvRmT3_T4_T5_T6_T7_T9_mT8_P12ihipStream_tbDpT10_ENKUlT_T0_E_clISt17integral_constantIbLb0EES1D_EEDaS18_S19_EUlS18_E_NS1_11comp_targetILNS1_3genE0ELNS1_11target_archE4294967295ELNS1_3gpuE0ELNS1_3repE0EEENS1_30default_config_static_selectorELNS0_4arch9wavefront6targetE0EEEvT1_.uses_vcc, 0
	.set _ZN7rocprim17ROCPRIM_400000_NS6detail17trampoline_kernelINS0_14default_configENS1_25partition_config_selectorILNS1_17partition_subalgoE5EsNS0_10empty_typeEbEEZZNS1_14partition_implILS5_5ELb0ES3_mN6thrust23THRUST_200600_302600_NS6detail15normal_iteratorINSA_10device_ptrIsEEEEPS6_NSA_18transform_iteratorINSB_9not_fun_tI7is_trueIsEEENSC_INSD_IbEEEENSA_11use_defaultESO_EENS0_5tupleIJSF_S6_EEENSQ_IJSG_SG_EEES6_PlJS6_EEE10hipError_tPvRmT3_T4_T5_T6_T7_T9_mT8_P12ihipStream_tbDpT10_ENKUlT_T0_E_clISt17integral_constantIbLb0EES1D_EEDaS18_S19_EUlS18_E_NS1_11comp_targetILNS1_3genE0ELNS1_11target_archE4294967295ELNS1_3gpuE0ELNS1_3repE0EEENS1_30default_config_static_selectorELNS0_4arch9wavefront6targetE0EEEvT1_.uses_flat_scratch, 0
	.set _ZN7rocprim17ROCPRIM_400000_NS6detail17trampoline_kernelINS0_14default_configENS1_25partition_config_selectorILNS1_17partition_subalgoE5EsNS0_10empty_typeEbEEZZNS1_14partition_implILS5_5ELb0ES3_mN6thrust23THRUST_200600_302600_NS6detail15normal_iteratorINSA_10device_ptrIsEEEEPS6_NSA_18transform_iteratorINSB_9not_fun_tI7is_trueIsEEENSC_INSD_IbEEEENSA_11use_defaultESO_EENS0_5tupleIJSF_S6_EEENSQ_IJSG_SG_EEES6_PlJS6_EEE10hipError_tPvRmT3_T4_T5_T6_T7_T9_mT8_P12ihipStream_tbDpT10_ENKUlT_T0_E_clISt17integral_constantIbLb0EES1D_EEDaS18_S19_EUlS18_E_NS1_11comp_targetILNS1_3genE0ELNS1_11target_archE4294967295ELNS1_3gpuE0ELNS1_3repE0EEENS1_30default_config_static_selectorELNS0_4arch9wavefront6targetE0EEEvT1_.has_dyn_sized_stack, 0
	.set _ZN7rocprim17ROCPRIM_400000_NS6detail17trampoline_kernelINS0_14default_configENS1_25partition_config_selectorILNS1_17partition_subalgoE5EsNS0_10empty_typeEbEEZZNS1_14partition_implILS5_5ELb0ES3_mN6thrust23THRUST_200600_302600_NS6detail15normal_iteratorINSA_10device_ptrIsEEEEPS6_NSA_18transform_iteratorINSB_9not_fun_tI7is_trueIsEEENSC_INSD_IbEEEENSA_11use_defaultESO_EENS0_5tupleIJSF_S6_EEENSQ_IJSG_SG_EEES6_PlJS6_EEE10hipError_tPvRmT3_T4_T5_T6_T7_T9_mT8_P12ihipStream_tbDpT10_ENKUlT_T0_E_clISt17integral_constantIbLb0EES1D_EEDaS18_S19_EUlS18_E_NS1_11comp_targetILNS1_3genE0ELNS1_11target_archE4294967295ELNS1_3gpuE0ELNS1_3repE0EEENS1_30default_config_static_selectorELNS0_4arch9wavefront6targetE0EEEvT1_.has_recursion, 0
	.set _ZN7rocprim17ROCPRIM_400000_NS6detail17trampoline_kernelINS0_14default_configENS1_25partition_config_selectorILNS1_17partition_subalgoE5EsNS0_10empty_typeEbEEZZNS1_14partition_implILS5_5ELb0ES3_mN6thrust23THRUST_200600_302600_NS6detail15normal_iteratorINSA_10device_ptrIsEEEEPS6_NSA_18transform_iteratorINSB_9not_fun_tI7is_trueIsEEENSC_INSD_IbEEEENSA_11use_defaultESO_EENS0_5tupleIJSF_S6_EEENSQ_IJSG_SG_EEES6_PlJS6_EEE10hipError_tPvRmT3_T4_T5_T6_T7_T9_mT8_P12ihipStream_tbDpT10_ENKUlT_T0_E_clISt17integral_constantIbLb0EES1D_EEDaS18_S19_EUlS18_E_NS1_11comp_targetILNS1_3genE0ELNS1_11target_archE4294967295ELNS1_3gpuE0ELNS1_3repE0EEENS1_30default_config_static_selectorELNS0_4arch9wavefront6targetE0EEEvT1_.has_indirect_call, 0
	.section	.AMDGPU.csdata,"",@progbits
; Kernel info:
; codeLenInByte = 0
; TotalNumSgprs: 0
; NumVgprs: 0
; ScratchSize: 0
; MemoryBound: 0
; FloatMode: 240
; IeeeMode: 1
; LDSByteSize: 0 bytes/workgroup (compile time only)
; SGPRBlocks: 0
; VGPRBlocks: 0
; NumSGPRsForWavesPerEU: 1
; NumVGPRsForWavesPerEU: 1
; Occupancy: 16
; WaveLimiterHint : 0
; COMPUTE_PGM_RSRC2:SCRATCH_EN: 0
; COMPUTE_PGM_RSRC2:USER_SGPR: 2
; COMPUTE_PGM_RSRC2:TRAP_HANDLER: 0
; COMPUTE_PGM_RSRC2:TGID_X_EN: 1
; COMPUTE_PGM_RSRC2:TGID_Y_EN: 0
; COMPUTE_PGM_RSRC2:TGID_Z_EN: 0
; COMPUTE_PGM_RSRC2:TIDIG_COMP_CNT: 0
	.section	.text._ZN7rocprim17ROCPRIM_400000_NS6detail17trampoline_kernelINS0_14default_configENS1_25partition_config_selectorILNS1_17partition_subalgoE5EsNS0_10empty_typeEbEEZZNS1_14partition_implILS5_5ELb0ES3_mN6thrust23THRUST_200600_302600_NS6detail15normal_iteratorINSA_10device_ptrIsEEEEPS6_NSA_18transform_iteratorINSB_9not_fun_tI7is_trueIsEEENSC_INSD_IbEEEENSA_11use_defaultESO_EENS0_5tupleIJSF_S6_EEENSQ_IJSG_SG_EEES6_PlJS6_EEE10hipError_tPvRmT3_T4_T5_T6_T7_T9_mT8_P12ihipStream_tbDpT10_ENKUlT_T0_E_clISt17integral_constantIbLb0EES1D_EEDaS18_S19_EUlS18_E_NS1_11comp_targetILNS1_3genE5ELNS1_11target_archE942ELNS1_3gpuE9ELNS1_3repE0EEENS1_30default_config_static_selectorELNS0_4arch9wavefront6targetE0EEEvT1_,"axG",@progbits,_ZN7rocprim17ROCPRIM_400000_NS6detail17trampoline_kernelINS0_14default_configENS1_25partition_config_selectorILNS1_17partition_subalgoE5EsNS0_10empty_typeEbEEZZNS1_14partition_implILS5_5ELb0ES3_mN6thrust23THRUST_200600_302600_NS6detail15normal_iteratorINSA_10device_ptrIsEEEEPS6_NSA_18transform_iteratorINSB_9not_fun_tI7is_trueIsEEENSC_INSD_IbEEEENSA_11use_defaultESO_EENS0_5tupleIJSF_S6_EEENSQ_IJSG_SG_EEES6_PlJS6_EEE10hipError_tPvRmT3_T4_T5_T6_T7_T9_mT8_P12ihipStream_tbDpT10_ENKUlT_T0_E_clISt17integral_constantIbLb0EES1D_EEDaS18_S19_EUlS18_E_NS1_11comp_targetILNS1_3genE5ELNS1_11target_archE942ELNS1_3gpuE9ELNS1_3repE0EEENS1_30default_config_static_selectorELNS0_4arch9wavefront6targetE0EEEvT1_,comdat
	.protected	_ZN7rocprim17ROCPRIM_400000_NS6detail17trampoline_kernelINS0_14default_configENS1_25partition_config_selectorILNS1_17partition_subalgoE5EsNS0_10empty_typeEbEEZZNS1_14partition_implILS5_5ELb0ES3_mN6thrust23THRUST_200600_302600_NS6detail15normal_iteratorINSA_10device_ptrIsEEEEPS6_NSA_18transform_iteratorINSB_9not_fun_tI7is_trueIsEEENSC_INSD_IbEEEENSA_11use_defaultESO_EENS0_5tupleIJSF_S6_EEENSQ_IJSG_SG_EEES6_PlJS6_EEE10hipError_tPvRmT3_T4_T5_T6_T7_T9_mT8_P12ihipStream_tbDpT10_ENKUlT_T0_E_clISt17integral_constantIbLb0EES1D_EEDaS18_S19_EUlS18_E_NS1_11comp_targetILNS1_3genE5ELNS1_11target_archE942ELNS1_3gpuE9ELNS1_3repE0EEENS1_30default_config_static_selectorELNS0_4arch9wavefront6targetE0EEEvT1_ ; -- Begin function _ZN7rocprim17ROCPRIM_400000_NS6detail17trampoline_kernelINS0_14default_configENS1_25partition_config_selectorILNS1_17partition_subalgoE5EsNS0_10empty_typeEbEEZZNS1_14partition_implILS5_5ELb0ES3_mN6thrust23THRUST_200600_302600_NS6detail15normal_iteratorINSA_10device_ptrIsEEEEPS6_NSA_18transform_iteratorINSB_9not_fun_tI7is_trueIsEEENSC_INSD_IbEEEENSA_11use_defaultESO_EENS0_5tupleIJSF_S6_EEENSQ_IJSG_SG_EEES6_PlJS6_EEE10hipError_tPvRmT3_T4_T5_T6_T7_T9_mT8_P12ihipStream_tbDpT10_ENKUlT_T0_E_clISt17integral_constantIbLb0EES1D_EEDaS18_S19_EUlS18_E_NS1_11comp_targetILNS1_3genE5ELNS1_11target_archE942ELNS1_3gpuE9ELNS1_3repE0EEENS1_30default_config_static_selectorELNS0_4arch9wavefront6targetE0EEEvT1_
	.globl	_ZN7rocprim17ROCPRIM_400000_NS6detail17trampoline_kernelINS0_14default_configENS1_25partition_config_selectorILNS1_17partition_subalgoE5EsNS0_10empty_typeEbEEZZNS1_14partition_implILS5_5ELb0ES3_mN6thrust23THRUST_200600_302600_NS6detail15normal_iteratorINSA_10device_ptrIsEEEEPS6_NSA_18transform_iteratorINSB_9not_fun_tI7is_trueIsEEENSC_INSD_IbEEEENSA_11use_defaultESO_EENS0_5tupleIJSF_S6_EEENSQ_IJSG_SG_EEES6_PlJS6_EEE10hipError_tPvRmT3_T4_T5_T6_T7_T9_mT8_P12ihipStream_tbDpT10_ENKUlT_T0_E_clISt17integral_constantIbLb0EES1D_EEDaS18_S19_EUlS18_E_NS1_11comp_targetILNS1_3genE5ELNS1_11target_archE942ELNS1_3gpuE9ELNS1_3repE0EEENS1_30default_config_static_selectorELNS0_4arch9wavefront6targetE0EEEvT1_
	.p2align	8
	.type	_ZN7rocprim17ROCPRIM_400000_NS6detail17trampoline_kernelINS0_14default_configENS1_25partition_config_selectorILNS1_17partition_subalgoE5EsNS0_10empty_typeEbEEZZNS1_14partition_implILS5_5ELb0ES3_mN6thrust23THRUST_200600_302600_NS6detail15normal_iteratorINSA_10device_ptrIsEEEEPS6_NSA_18transform_iteratorINSB_9not_fun_tI7is_trueIsEEENSC_INSD_IbEEEENSA_11use_defaultESO_EENS0_5tupleIJSF_S6_EEENSQ_IJSG_SG_EEES6_PlJS6_EEE10hipError_tPvRmT3_T4_T5_T6_T7_T9_mT8_P12ihipStream_tbDpT10_ENKUlT_T0_E_clISt17integral_constantIbLb0EES1D_EEDaS18_S19_EUlS18_E_NS1_11comp_targetILNS1_3genE5ELNS1_11target_archE942ELNS1_3gpuE9ELNS1_3repE0EEENS1_30default_config_static_selectorELNS0_4arch9wavefront6targetE0EEEvT1_,@function
_ZN7rocprim17ROCPRIM_400000_NS6detail17trampoline_kernelINS0_14default_configENS1_25partition_config_selectorILNS1_17partition_subalgoE5EsNS0_10empty_typeEbEEZZNS1_14partition_implILS5_5ELb0ES3_mN6thrust23THRUST_200600_302600_NS6detail15normal_iteratorINSA_10device_ptrIsEEEEPS6_NSA_18transform_iteratorINSB_9not_fun_tI7is_trueIsEEENSC_INSD_IbEEEENSA_11use_defaultESO_EENS0_5tupleIJSF_S6_EEENSQ_IJSG_SG_EEES6_PlJS6_EEE10hipError_tPvRmT3_T4_T5_T6_T7_T9_mT8_P12ihipStream_tbDpT10_ENKUlT_T0_E_clISt17integral_constantIbLb0EES1D_EEDaS18_S19_EUlS18_E_NS1_11comp_targetILNS1_3genE5ELNS1_11target_archE942ELNS1_3gpuE9ELNS1_3repE0EEENS1_30default_config_static_selectorELNS0_4arch9wavefront6targetE0EEEvT1_: ; @_ZN7rocprim17ROCPRIM_400000_NS6detail17trampoline_kernelINS0_14default_configENS1_25partition_config_selectorILNS1_17partition_subalgoE5EsNS0_10empty_typeEbEEZZNS1_14partition_implILS5_5ELb0ES3_mN6thrust23THRUST_200600_302600_NS6detail15normal_iteratorINSA_10device_ptrIsEEEEPS6_NSA_18transform_iteratorINSB_9not_fun_tI7is_trueIsEEENSC_INSD_IbEEEENSA_11use_defaultESO_EENS0_5tupleIJSF_S6_EEENSQ_IJSG_SG_EEES6_PlJS6_EEE10hipError_tPvRmT3_T4_T5_T6_T7_T9_mT8_P12ihipStream_tbDpT10_ENKUlT_T0_E_clISt17integral_constantIbLb0EES1D_EEDaS18_S19_EUlS18_E_NS1_11comp_targetILNS1_3genE5ELNS1_11target_archE942ELNS1_3gpuE9ELNS1_3repE0EEENS1_30default_config_static_selectorELNS0_4arch9wavefront6targetE0EEEvT1_
; %bb.0:
	.section	.rodata,"a",@progbits
	.p2align	6, 0x0
	.amdhsa_kernel _ZN7rocprim17ROCPRIM_400000_NS6detail17trampoline_kernelINS0_14default_configENS1_25partition_config_selectorILNS1_17partition_subalgoE5EsNS0_10empty_typeEbEEZZNS1_14partition_implILS5_5ELb0ES3_mN6thrust23THRUST_200600_302600_NS6detail15normal_iteratorINSA_10device_ptrIsEEEEPS6_NSA_18transform_iteratorINSB_9not_fun_tI7is_trueIsEEENSC_INSD_IbEEEENSA_11use_defaultESO_EENS0_5tupleIJSF_S6_EEENSQ_IJSG_SG_EEES6_PlJS6_EEE10hipError_tPvRmT3_T4_T5_T6_T7_T9_mT8_P12ihipStream_tbDpT10_ENKUlT_T0_E_clISt17integral_constantIbLb0EES1D_EEDaS18_S19_EUlS18_E_NS1_11comp_targetILNS1_3genE5ELNS1_11target_archE942ELNS1_3gpuE9ELNS1_3repE0EEENS1_30default_config_static_selectorELNS0_4arch9wavefront6targetE0EEEvT1_
		.amdhsa_group_segment_fixed_size 0
		.amdhsa_private_segment_fixed_size 0
		.amdhsa_kernarg_size 120
		.amdhsa_user_sgpr_count 2
		.amdhsa_user_sgpr_dispatch_ptr 0
		.amdhsa_user_sgpr_queue_ptr 0
		.amdhsa_user_sgpr_kernarg_segment_ptr 1
		.amdhsa_user_sgpr_dispatch_id 0
		.amdhsa_user_sgpr_private_segment_size 0
		.amdhsa_wavefront_size32 1
		.amdhsa_uses_dynamic_stack 0
		.amdhsa_enable_private_segment 0
		.amdhsa_system_sgpr_workgroup_id_x 1
		.amdhsa_system_sgpr_workgroup_id_y 0
		.amdhsa_system_sgpr_workgroup_id_z 0
		.amdhsa_system_sgpr_workgroup_info 0
		.amdhsa_system_vgpr_workitem_id 0
		.amdhsa_next_free_vgpr 1
		.amdhsa_next_free_sgpr 1
		.amdhsa_reserve_vcc 0
		.amdhsa_float_round_mode_32 0
		.amdhsa_float_round_mode_16_64 0
		.amdhsa_float_denorm_mode_32 3
		.amdhsa_float_denorm_mode_16_64 3
		.amdhsa_fp16_overflow 0
		.amdhsa_workgroup_processor_mode 1
		.amdhsa_memory_ordered 1
		.amdhsa_forward_progress 1
		.amdhsa_inst_pref_size 0
		.amdhsa_round_robin_scheduling 0
		.amdhsa_exception_fp_ieee_invalid_op 0
		.amdhsa_exception_fp_denorm_src 0
		.amdhsa_exception_fp_ieee_div_zero 0
		.amdhsa_exception_fp_ieee_overflow 0
		.amdhsa_exception_fp_ieee_underflow 0
		.amdhsa_exception_fp_ieee_inexact 0
		.amdhsa_exception_int_div_zero 0
	.end_amdhsa_kernel
	.section	.text._ZN7rocprim17ROCPRIM_400000_NS6detail17trampoline_kernelINS0_14default_configENS1_25partition_config_selectorILNS1_17partition_subalgoE5EsNS0_10empty_typeEbEEZZNS1_14partition_implILS5_5ELb0ES3_mN6thrust23THRUST_200600_302600_NS6detail15normal_iteratorINSA_10device_ptrIsEEEEPS6_NSA_18transform_iteratorINSB_9not_fun_tI7is_trueIsEEENSC_INSD_IbEEEENSA_11use_defaultESO_EENS0_5tupleIJSF_S6_EEENSQ_IJSG_SG_EEES6_PlJS6_EEE10hipError_tPvRmT3_T4_T5_T6_T7_T9_mT8_P12ihipStream_tbDpT10_ENKUlT_T0_E_clISt17integral_constantIbLb0EES1D_EEDaS18_S19_EUlS18_E_NS1_11comp_targetILNS1_3genE5ELNS1_11target_archE942ELNS1_3gpuE9ELNS1_3repE0EEENS1_30default_config_static_selectorELNS0_4arch9wavefront6targetE0EEEvT1_,"axG",@progbits,_ZN7rocprim17ROCPRIM_400000_NS6detail17trampoline_kernelINS0_14default_configENS1_25partition_config_selectorILNS1_17partition_subalgoE5EsNS0_10empty_typeEbEEZZNS1_14partition_implILS5_5ELb0ES3_mN6thrust23THRUST_200600_302600_NS6detail15normal_iteratorINSA_10device_ptrIsEEEEPS6_NSA_18transform_iteratorINSB_9not_fun_tI7is_trueIsEEENSC_INSD_IbEEEENSA_11use_defaultESO_EENS0_5tupleIJSF_S6_EEENSQ_IJSG_SG_EEES6_PlJS6_EEE10hipError_tPvRmT3_T4_T5_T6_T7_T9_mT8_P12ihipStream_tbDpT10_ENKUlT_T0_E_clISt17integral_constantIbLb0EES1D_EEDaS18_S19_EUlS18_E_NS1_11comp_targetILNS1_3genE5ELNS1_11target_archE942ELNS1_3gpuE9ELNS1_3repE0EEENS1_30default_config_static_selectorELNS0_4arch9wavefront6targetE0EEEvT1_,comdat
.Lfunc_end2558:
	.size	_ZN7rocprim17ROCPRIM_400000_NS6detail17trampoline_kernelINS0_14default_configENS1_25partition_config_selectorILNS1_17partition_subalgoE5EsNS0_10empty_typeEbEEZZNS1_14partition_implILS5_5ELb0ES3_mN6thrust23THRUST_200600_302600_NS6detail15normal_iteratorINSA_10device_ptrIsEEEEPS6_NSA_18transform_iteratorINSB_9not_fun_tI7is_trueIsEEENSC_INSD_IbEEEENSA_11use_defaultESO_EENS0_5tupleIJSF_S6_EEENSQ_IJSG_SG_EEES6_PlJS6_EEE10hipError_tPvRmT3_T4_T5_T6_T7_T9_mT8_P12ihipStream_tbDpT10_ENKUlT_T0_E_clISt17integral_constantIbLb0EES1D_EEDaS18_S19_EUlS18_E_NS1_11comp_targetILNS1_3genE5ELNS1_11target_archE942ELNS1_3gpuE9ELNS1_3repE0EEENS1_30default_config_static_selectorELNS0_4arch9wavefront6targetE0EEEvT1_, .Lfunc_end2558-_ZN7rocprim17ROCPRIM_400000_NS6detail17trampoline_kernelINS0_14default_configENS1_25partition_config_selectorILNS1_17partition_subalgoE5EsNS0_10empty_typeEbEEZZNS1_14partition_implILS5_5ELb0ES3_mN6thrust23THRUST_200600_302600_NS6detail15normal_iteratorINSA_10device_ptrIsEEEEPS6_NSA_18transform_iteratorINSB_9not_fun_tI7is_trueIsEEENSC_INSD_IbEEEENSA_11use_defaultESO_EENS0_5tupleIJSF_S6_EEENSQ_IJSG_SG_EEES6_PlJS6_EEE10hipError_tPvRmT3_T4_T5_T6_T7_T9_mT8_P12ihipStream_tbDpT10_ENKUlT_T0_E_clISt17integral_constantIbLb0EES1D_EEDaS18_S19_EUlS18_E_NS1_11comp_targetILNS1_3genE5ELNS1_11target_archE942ELNS1_3gpuE9ELNS1_3repE0EEENS1_30default_config_static_selectorELNS0_4arch9wavefront6targetE0EEEvT1_
                                        ; -- End function
	.set _ZN7rocprim17ROCPRIM_400000_NS6detail17trampoline_kernelINS0_14default_configENS1_25partition_config_selectorILNS1_17partition_subalgoE5EsNS0_10empty_typeEbEEZZNS1_14partition_implILS5_5ELb0ES3_mN6thrust23THRUST_200600_302600_NS6detail15normal_iteratorINSA_10device_ptrIsEEEEPS6_NSA_18transform_iteratorINSB_9not_fun_tI7is_trueIsEEENSC_INSD_IbEEEENSA_11use_defaultESO_EENS0_5tupleIJSF_S6_EEENSQ_IJSG_SG_EEES6_PlJS6_EEE10hipError_tPvRmT3_T4_T5_T6_T7_T9_mT8_P12ihipStream_tbDpT10_ENKUlT_T0_E_clISt17integral_constantIbLb0EES1D_EEDaS18_S19_EUlS18_E_NS1_11comp_targetILNS1_3genE5ELNS1_11target_archE942ELNS1_3gpuE9ELNS1_3repE0EEENS1_30default_config_static_selectorELNS0_4arch9wavefront6targetE0EEEvT1_.num_vgpr, 0
	.set _ZN7rocprim17ROCPRIM_400000_NS6detail17trampoline_kernelINS0_14default_configENS1_25partition_config_selectorILNS1_17partition_subalgoE5EsNS0_10empty_typeEbEEZZNS1_14partition_implILS5_5ELb0ES3_mN6thrust23THRUST_200600_302600_NS6detail15normal_iteratorINSA_10device_ptrIsEEEEPS6_NSA_18transform_iteratorINSB_9not_fun_tI7is_trueIsEEENSC_INSD_IbEEEENSA_11use_defaultESO_EENS0_5tupleIJSF_S6_EEENSQ_IJSG_SG_EEES6_PlJS6_EEE10hipError_tPvRmT3_T4_T5_T6_T7_T9_mT8_P12ihipStream_tbDpT10_ENKUlT_T0_E_clISt17integral_constantIbLb0EES1D_EEDaS18_S19_EUlS18_E_NS1_11comp_targetILNS1_3genE5ELNS1_11target_archE942ELNS1_3gpuE9ELNS1_3repE0EEENS1_30default_config_static_selectorELNS0_4arch9wavefront6targetE0EEEvT1_.num_agpr, 0
	.set _ZN7rocprim17ROCPRIM_400000_NS6detail17trampoline_kernelINS0_14default_configENS1_25partition_config_selectorILNS1_17partition_subalgoE5EsNS0_10empty_typeEbEEZZNS1_14partition_implILS5_5ELb0ES3_mN6thrust23THRUST_200600_302600_NS6detail15normal_iteratorINSA_10device_ptrIsEEEEPS6_NSA_18transform_iteratorINSB_9not_fun_tI7is_trueIsEEENSC_INSD_IbEEEENSA_11use_defaultESO_EENS0_5tupleIJSF_S6_EEENSQ_IJSG_SG_EEES6_PlJS6_EEE10hipError_tPvRmT3_T4_T5_T6_T7_T9_mT8_P12ihipStream_tbDpT10_ENKUlT_T0_E_clISt17integral_constantIbLb0EES1D_EEDaS18_S19_EUlS18_E_NS1_11comp_targetILNS1_3genE5ELNS1_11target_archE942ELNS1_3gpuE9ELNS1_3repE0EEENS1_30default_config_static_selectorELNS0_4arch9wavefront6targetE0EEEvT1_.numbered_sgpr, 0
	.set _ZN7rocprim17ROCPRIM_400000_NS6detail17trampoline_kernelINS0_14default_configENS1_25partition_config_selectorILNS1_17partition_subalgoE5EsNS0_10empty_typeEbEEZZNS1_14partition_implILS5_5ELb0ES3_mN6thrust23THRUST_200600_302600_NS6detail15normal_iteratorINSA_10device_ptrIsEEEEPS6_NSA_18transform_iteratorINSB_9not_fun_tI7is_trueIsEEENSC_INSD_IbEEEENSA_11use_defaultESO_EENS0_5tupleIJSF_S6_EEENSQ_IJSG_SG_EEES6_PlJS6_EEE10hipError_tPvRmT3_T4_T5_T6_T7_T9_mT8_P12ihipStream_tbDpT10_ENKUlT_T0_E_clISt17integral_constantIbLb0EES1D_EEDaS18_S19_EUlS18_E_NS1_11comp_targetILNS1_3genE5ELNS1_11target_archE942ELNS1_3gpuE9ELNS1_3repE0EEENS1_30default_config_static_selectorELNS0_4arch9wavefront6targetE0EEEvT1_.num_named_barrier, 0
	.set _ZN7rocprim17ROCPRIM_400000_NS6detail17trampoline_kernelINS0_14default_configENS1_25partition_config_selectorILNS1_17partition_subalgoE5EsNS0_10empty_typeEbEEZZNS1_14partition_implILS5_5ELb0ES3_mN6thrust23THRUST_200600_302600_NS6detail15normal_iteratorINSA_10device_ptrIsEEEEPS6_NSA_18transform_iteratorINSB_9not_fun_tI7is_trueIsEEENSC_INSD_IbEEEENSA_11use_defaultESO_EENS0_5tupleIJSF_S6_EEENSQ_IJSG_SG_EEES6_PlJS6_EEE10hipError_tPvRmT3_T4_T5_T6_T7_T9_mT8_P12ihipStream_tbDpT10_ENKUlT_T0_E_clISt17integral_constantIbLb0EES1D_EEDaS18_S19_EUlS18_E_NS1_11comp_targetILNS1_3genE5ELNS1_11target_archE942ELNS1_3gpuE9ELNS1_3repE0EEENS1_30default_config_static_selectorELNS0_4arch9wavefront6targetE0EEEvT1_.private_seg_size, 0
	.set _ZN7rocprim17ROCPRIM_400000_NS6detail17trampoline_kernelINS0_14default_configENS1_25partition_config_selectorILNS1_17partition_subalgoE5EsNS0_10empty_typeEbEEZZNS1_14partition_implILS5_5ELb0ES3_mN6thrust23THRUST_200600_302600_NS6detail15normal_iteratorINSA_10device_ptrIsEEEEPS6_NSA_18transform_iteratorINSB_9not_fun_tI7is_trueIsEEENSC_INSD_IbEEEENSA_11use_defaultESO_EENS0_5tupleIJSF_S6_EEENSQ_IJSG_SG_EEES6_PlJS6_EEE10hipError_tPvRmT3_T4_T5_T6_T7_T9_mT8_P12ihipStream_tbDpT10_ENKUlT_T0_E_clISt17integral_constantIbLb0EES1D_EEDaS18_S19_EUlS18_E_NS1_11comp_targetILNS1_3genE5ELNS1_11target_archE942ELNS1_3gpuE9ELNS1_3repE0EEENS1_30default_config_static_selectorELNS0_4arch9wavefront6targetE0EEEvT1_.uses_vcc, 0
	.set _ZN7rocprim17ROCPRIM_400000_NS6detail17trampoline_kernelINS0_14default_configENS1_25partition_config_selectorILNS1_17partition_subalgoE5EsNS0_10empty_typeEbEEZZNS1_14partition_implILS5_5ELb0ES3_mN6thrust23THRUST_200600_302600_NS6detail15normal_iteratorINSA_10device_ptrIsEEEEPS6_NSA_18transform_iteratorINSB_9not_fun_tI7is_trueIsEEENSC_INSD_IbEEEENSA_11use_defaultESO_EENS0_5tupleIJSF_S6_EEENSQ_IJSG_SG_EEES6_PlJS6_EEE10hipError_tPvRmT3_T4_T5_T6_T7_T9_mT8_P12ihipStream_tbDpT10_ENKUlT_T0_E_clISt17integral_constantIbLb0EES1D_EEDaS18_S19_EUlS18_E_NS1_11comp_targetILNS1_3genE5ELNS1_11target_archE942ELNS1_3gpuE9ELNS1_3repE0EEENS1_30default_config_static_selectorELNS0_4arch9wavefront6targetE0EEEvT1_.uses_flat_scratch, 0
	.set _ZN7rocprim17ROCPRIM_400000_NS6detail17trampoline_kernelINS0_14default_configENS1_25partition_config_selectorILNS1_17partition_subalgoE5EsNS0_10empty_typeEbEEZZNS1_14partition_implILS5_5ELb0ES3_mN6thrust23THRUST_200600_302600_NS6detail15normal_iteratorINSA_10device_ptrIsEEEEPS6_NSA_18transform_iteratorINSB_9not_fun_tI7is_trueIsEEENSC_INSD_IbEEEENSA_11use_defaultESO_EENS0_5tupleIJSF_S6_EEENSQ_IJSG_SG_EEES6_PlJS6_EEE10hipError_tPvRmT3_T4_T5_T6_T7_T9_mT8_P12ihipStream_tbDpT10_ENKUlT_T0_E_clISt17integral_constantIbLb0EES1D_EEDaS18_S19_EUlS18_E_NS1_11comp_targetILNS1_3genE5ELNS1_11target_archE942ELNS1_3gpuE9ELNS1_3repE0EEENS1_30default_config_static_selectorELNS0_4arch9wavefront6targetE0EEEvT1_.has_dyn_sized_stack, 0
	.set _ZN7rocprim17ROCPRIM_400000_NS6detail17trampoline_kernelINS0_14default_configENS1_25partition_config_selectorILNS1_17partition_subalgoE5EsNS0_10empty_typeEbEEZZNS1_14partition_implILS5_5ELb0ES3_mN6thrust23THRUST_200600_302600_NS6detail15normal_iteratorINSA_10device_ptrIsEEEEPS6_NSA_18transform_iteratorINSB_9not_fun_tI7is_trueIsEEENSC_INSD_IbEEEENSA_11use_defaultESO_EENS0_5tupleIJSF_S6_EEENSQ_IJSG_SG_EEES6_PlJS6_EEE10hipError_tPvRmT3_T4_T5_T6_T7_T9_mT8_P12ihipStream_tbDpT10_ENKUlT_T0_E_clISt17integral_constantIbLb0EES1D_EEDaS18_S19_EUlS18_E_NS1_11comp_targetILNS1_3genE5ELNS1_11target_archE942ELNS1_3gpuE9ELNS1_3repE0EEENS1_30default_config_static_selectorELNS0_4arch9wavefront6targetE0EEEvT1_.has_recursion, 0
	.set _ZN7rocprim17ROCPRIM_400000_NS6detail17trampoline_kernelINS0_14default_configENS1_25partition_config_selectorILNS1_17partition_subalgoE5EsNS0_10empty_typeEbEEZZNS1_14partition_implILS5_5ELb0ES3_mN6thrust23THRUST_200600_302600_NS6detail15normal_iteratorINSA_10device_ptrIsEEEEPS6_NSA_18transform_iteratorINSB_9not_fun_tI7is_trueIsEEENSC_INSD_IbEEEENSA_11use_defaultESO_EENS0_5tupleIJSF_S6_EEENSQ_IJSG_SG_EEES6_PlJS6_EEE10hipError_tPvRmT3_T4_T5_T6_T7_T9_mT8_P12ihipStream_tbDpT10_ENKUlT_T0_E_clISt17integral_constantIbLb0EES1D_EEDaS18_S19_EUlS18_E_NS1_11comp_targetILNS1_3genE5ELNS1_11target_archE942ELNS1_3gpuE9ELNS1_3repE0EEENS1_30default_config_static_selectorELNS0_4arch9wavefront6targetE0EEEvT1_.has_indirect_call, 0
	.section	.AMDGPU.csdata,"",@progbits
; Kernel info:
; codeLenInByte = 0
; TotalNumSgprs: 0
; NumVgprs: 0
; ScratchSize: 0
; MemoryBound: 0
; FloatMode: 240
; IeeeMode: 1
; LDSByteSize: 0 bytes/workgroup (compile time only)
; SGPRBlocks: 0
; VGPRBlocks: 0
; NumSGPRsForWavesPerEU: 1
; NumVGPRsForWavesPerEU: 1
; Occupancy: 16
; WaveLimiterHint : 0
; COMPUTE_PGM_RSRC2:SCRATCH_EN: 0
; COMPUTE_PGM_RSRC2:USER_SGPR: 2
; COMPUTE_PGM_RSRC2:TRAP_HANDLER: 0
; COMPUTE_PGM_RSRC2:TGID_X_EN: 1
; COMPUTE_PGM_RSRC2:TGID_Y_EN: 0
; COMPUTE_PGM_RSRC2:TGID_Z_EN: 0
; COMPUTE_PGM_RSRC2:TIDIG_COMP_CNT: 0
	.section	.text._ZN7rocprim17ROCPRIM_400000_NS6detail17trampoline_kernelINS0_14default_configENS1_25partition_config_selectorILNS1_17partition_subalgoE5EsNS0_10empty_typeEbEEZZNS1_14partition_implILS5_5ELb0ES3_mN6thrust23THRUST_200600_302600_NS6detail15normal_iteratorINSA_10device_ptrIsEEEEPS6_NSA_18transform_iteratorINSB_9not_fun_tI7is_trueIsEEENSC_INSD_IbEEEENSA_11use_defaultESO_EENS0_5tupleIJSF_S6_EEENSQ_IJSG_SG_EEES6_PlJS6_EEE10hipError_tPvRmT3_T4_T5_T6_T7_T9_mT8_P12ihipStream_tbDpT10_ENKUlT_T0_E_clISt17integral_constantIbLb0EES1D_EEDaS18_S19_EUlS18_E_NS1_11comp_targetILNS1_3genE4ELNS1_11target_archE910ELNS1_3gpuE8ELNS1_3repE0EEENS1_30default_config_static_selectorELNS0_4arch9wavefront6targetE0EEEvT1_,"axG",@progbits,_ZN7rocprim17ROCPRIM_400000_NS6detail17trampoline_kernelINS0_14default_configENS1_25partition_config_selectorILNS1_17partition_subalgoE5EsNS0_10empty_typeEbEEZZNS1_14partition_implILS5_5ELb0ES3_mN6thrust23THRUST_200600_302600_NS6detail15normal_iteratorINSA_10device_ptrIsEEEEPS6_NSA_18transform_iteratorINSB_9not_fun_tI7is_trueIsEEENSC_INSD_IbEEEENSA_11use_defaultESO_EENS0_5tupleIJSF_S6_EEENSQ_IJSG_SG_EEES6_PlJS6_EEE10hipError_tPvRmT3_T4_T5_T6_T7_T9_mT8_P12ihipStream_tbDpT10_ENKUlT_T0_E_clISt17integral_constantIbLb0EES1D_EEDaS18_S19_EUlS18_E_NS1_11comp_targetILNS1_3genE4ELNS1_11target_archE910ELNS1_3gpuE8ELNS1_3repE0EEENS1_30default_config_static_selectorELNS0_4arch9wavefront6targetE0EEEvT1_,comdat
	.protected	_ZN7rocprim17ROCPRIM_400000_NS6detail17trampoline_kernelINS0_14default_configENS1_25partition_config_selectorILNS1_17partition_subalgoE5EsNS0_10empty_typeEbEEZZNS1_14partition_implILS5_5ELb0ES3_mN6thrust23THRUST_200600_302600_NS6detail15normal_iteratorINSA_10device_ptrIsEEEEPS6_NSA_18transform_iteratorINSB_9not_fun_tI7is_trueIsEEENSC_INSD_IbEEEENSA_11use_defaultESO_EENS0_5tupleIJSF_S6_EEENSQ_IJSG_SG_EEES6_PlJS6_EEE10hipError_tPvRmT3_T4_T5_T6_T7_T9_mT8_P12ihipStream_tbDpT10_ENKUlT_T0_E_clISt17integral_constantIbLb0EES1D_EEDaS18_S19_EUlS18_E_NS1_11comp_targetILNS1_3genE4ELNS1_11target_archE910ELNS1_3gpuE8ELNS1_3repE0EEENS1_30default_config_static_selectorELNS0_4arch9wavefront6targetE0EEEvT1_ ; -- Begin function _ZN7rocprim17ROCPRIM_400000_NS6detail17trampoline_kernelINS0_14default_configENS1_25partition_config_selectorILNS1_17partition_subalgoE5EsNS0_10empty_typeEbEEZZNS1_14partition_implILS5_5ELb0ES3_mN6thrust23THRUST_200600_302600_NS6detail15normal_iteratorINSA_10device_ptrIsEEEEPS6_NSA_18transform_iteratorINSB_9not_fun_tI7is_trueIsEEENSC_INSD_IbEEEENSA_11use_defaultESO_EENS0_5tupleIJSF_S6_EEENSQ_IJSG_SG_EEES6_PlJS6_EEE10hipError_tPvRmT3_T4_T5_T6_T7_T9_mT8_P12ihipStream_tbDpT10_ENKUlT_T0_E_clISt17integral_constantIbLb0EES1D_EEDaS18_S19_EUlS18_E_NS1_11comp_targetILNS1_3genE4ELNS1_11target_archE910ELNS1_3gpuE8ELNS1_3repE0EEENS1_30default_config_static_selectorELNS0_4arch9wavefront6targetE0EEEvT1_
	.globl	_ZN7rocprim17ROCPRIM_400000_NS6detail17trampoline_kernelINS0_14default_configENS1_25partition_config_selectorILNS1_17partition_subalgoE5EsNS0_10empty_typeEbEEZZNS1_14partition_implILS5_5ELb0ES3_mN6thrust23THRUST_200600_302600_NS6detail15normal_iteratorINSA_10device_ptrIsEEEEPS6_NSA_18transform_iteratorINSB_9not_fun_tI7is_trueIsEEENSC_INSD_IbEEEENSA_11use_defaultESO_EENS0_5tupleIJSF_S6_EEENSQ_IJSG_SG_EEES6_PlJS6_EEE10hipError_tPvRmT3_T4_T5_T6_T7_T9_mT8_P12ihipStream_tbDpT10_ENKUlT_T0_E_clISt17integral_constantIbLb0EES1D_EEDaS18_S19_EUlS18_E_NS1_11comp_targetILNS1_3genE4ELNS1_11target_archE910ELNS1_3gpuE8ELNS1_3repE0EEENS1_30default_config_static_selectorELNS0_4arch9wavefront6targetE0EEEvT1_
	.p2align	8
	.type	_ZN7rocprim17ROCPRIM_400000_NS6detail17trampoline_kernelINS0_14default_configENS1_25partition_config_selectorILNS1_17partition_subalgoE5EsNS0_10empty_typeEbEEZZNS1_14partition_implILS5_5ELb0ES3_mN6thrust23THRUST_200600_302600_NS6detail15normal_iteratorINSA_10device_ptrIsEEEEPS6_NSA_18transform_iteratorINSB_9not_fun_tI7is_trueIsEEENSC_INSD_IbEEEENSA_11use_defaultESO_EENS0_5tupleIJSF_S6_EEENSQ_IJSG_SG_EEES6_PlJS6_EEE10hipError_tPvRmT3_T4_T5_T6_T7_T9_mT8_P12ihipStream_tbDpT10_ENKUlT_T0_E_clISt17integral_constantIbLb0EES1D_EEDaS18_S19_EUlS18_E_NS1_11comp_targetILNS1_3genE4ELNS1_11target_archE910ELNS1_3gpuE8ELNS1_3repE0EEENS1_30default_config_static_selectorELNS0_4arch9wavefront6targetE0EEEvT1_,@function
_ZN7rocprim17ROCPRIM_400000_NS6detail17trampoline_kernelINS0_14default_configENS1_25partition_config_selectorILNS1_17partition_subalgoE5EsNS0_10empty_typeEbEEZZNS1_14partition_implILS5_5ELb0ES3_mN6thrust23THRUST_200600_302600_NS6detail15normal_iteratorINSA_10device_ptrIsEEEEPS6_NSA_18transform_iteratorINSB_9not_fun_tI7is_trueIsEEENSC_INSD_IbEEEENSA_11use_defaultESO_EENS0_5tupleIJSF_S6_EEENSQ_IJSG_SG_EEES6_PlJS6_EEE10hipError_tPvRmT3_T4_T5_T6_T7_T9_mT8_P12ihipStream_tbDpT10_ENKUlT_T0_E_clISt17integral_constantIbLb0EES1D_EEDaS18_S19_EUlS18_E_NS1_11comp_targetILNS1_3genE4ELNS1_11target_archE910ELNS1_3gpuE8ELNS1_3repE0EEENS1_30default_config_static_selectorELNS0_4arch9wavefront6targetE0EEEvT1_: ; @_ZN7rocprim17ROCPRIM_400000_NS6detail17trampoline_kernelINS0_14default_configENS1_25partition_config_selectorILNS1_17partition_subalgoE5EsNS0_10empty_typeEbEEZZNS1_14partition_implILS5_5ELb0ES3_mN6thrust23THRUST_200600_302600_NS6detail15normal_iteratorINSA_10device_ptrIsEEEEPS6_NSA_18transform_iteratorINSB_9not_fun_tI7is_trueIsEEENSC_INSD_IbEEEENSA_11use_defaultESO_EENS0_5tupleIJSF_S6_EEENSQ_IJSG_SG_EEES6_PlJS6_EEE10hipError_tPvRmT3_T4_T5_T6_T7_T9_mT8_P12ihipStream_tbDpT10_ENKUlT_T0_E_clISt17integral_constantIbLb0EES1D_EEDaS18_S19_EUlS18_E_NS1_11comp_targetILNS1_3genE4ELNS1_11target_archE910ELNS1_3gpuE8ELNS1_3repE0EEENS1_30default_config_static_selectorELNS0_4arch9wavefront6targetE0EEEvT1_
; %bb.0:
	.section	.rodata,"a",@progbits
	.p2align	6, 0x0
	.amdhsa_kernel _ZN7rocprim17ROCPRIM_400000_NS6detail17trampoline_kernelINS0_14default_configENS1_25partition_config_selectorILNS1_17partition_subalgoE5EsNS0_10empty_typeEbEEZZNS1_14partition_implILS5_5ELb0ES3_mN6thrust23THRUST_200600_302600_NS6detail15normal_iteratorINSA_10device_ptrIsEEEEPS6_NSA_18transform_iteratorINSB_9not_fun_tI7is_trueIsEEENSC_INSD_IbEEEENSA_11use_defaultESO_EENS0_5tupleIJSF_S6_EEENSQ_IJSG_SG_EEES6_PlJS6_EEE10hipError_tPvRmT3_T4_T5_T6_T7_T9_mT8_P12ihipStream_tbDpT10_ENKUlT_T0_E_clISt17integral_constantIbLb0EES1D_EEDaS18_S19_EUlS18_E_NS1_11comp_targetILNS1_3genE4ELNS1_11target_archE910ELNS1_3gpuE8ELNS1_3repE0EEENS1_30default_config_static_selectorELNS0_4arch9wavefront6targetE0EEEvT1_
		.amdhsa_group_segment_fixed_size 0
		.amdhsa_private_segment_fixed_size 0
		.amdhsa_kernarg_size 120
		.amdhsa_user_sgpr_count 2
		.amdhsa_user_sgpr_dispatch_ptr 0
		.amdhsa_user_sgpr_queue_ptr 0
		.amdhsa_user_sgpr_kernarg_segment_ptr 1
		.amdhsa_user_sgpr_dispatch_id 0
		.amdhsa_user_sgpr_private_segment_size 0
		.amdhsa_wavefront_size32 1
		.amdhsa_uses_dynamic_stack 0
		.amdhsa_enable_private_segment 0
		.amdhsa_system_sgpr_workgroup_id_x 1
		.amdhsa_system_sgpr_workgroup_id_y 0
		.amdhsa_system_sgpr_workgroup_id_z 0
		.amdhsa_system_sgpr_workgroup_info 0
		.amdhsa_system_vgpr_workitem_id 0
		.amdhsa_next_free_vgpr 1
		.amdhsa_next_free_sgpr 1
		.amdhsa_reserve_vcc 0
		.amdhsa_float_round_mode_32 0
		.amdhsa_float_round_mode_16_64 0
		.amdhsa_float_denorm_mode_32 3
		.amdhsa_float_denorm_mode_16_64 3
		.amdhsa_fp16_overflow 0
		.amdhsa_workgroup_processor_mode 1
		.amdhsa_memory_ordered 1
		.amdhsa_forward_progress 1
		.amdhsa_inst_pref_size 0
		.amdhsa_round_robin_scheduling 0
		.amdhsa_exception_fp_ieee_invalid_op 0
		.amdhsa_exception_fp_denorm_src 0
		.amdhsa_exception_fp_ieee_div_zero 0
		.amdhsa_exception_fp_ieee_overflow 0
		.amdhsa_exception_fp_ieee_underflow 0
		.amdhsa_exception_fp_ieee_inexact 0
		.amdhsa_exception_int_div_zero 0
	.end_amdhsa_kernel
	.section	.text._ZN7rocprim17ROCPRIM_400000_NS6detail17trampoline_kernelINS0_14default_configENS1_25partition_config_selectorILNS1_17partition_subalgoE5EsNS0_10empty_typeEbEEZZNS1_14partition_implILS5_5ELb0ES3_mN6thrust23THRUST_200600_302600_NS6detail15normal_iteratorINSA_10device_ptrIsEEEEPS6_NSA_18transform_iteratorINSB_9not_fun_tI7is_trueIsEEENSC_INSD_IbEEEENSA_11use_defaultESO_EENS0_5tupleIJSF_S6_EEENSQ_IJSG_SG_EEES6_PlJS6_EEE10hipError_tPvRmT3_T4_T5_T6_T7_T9_mT8_P12ihipStream_tbDpT10_ENKUlT_T0_E_clISt17integral_constantIbLb0EES1D_EEDaS18_S19_EUlS18_E_NS1_11comp_targetILNS1_3genE4ELNS1_11target_archE910ELNS1_3gpuE8ELNS1_3repE0EEENS1_30default_config_static_selectorELNS0_4arch9wavefront6targetE0EEEvT1_,"axG",@progbits,_ZN7rocprim17ROCPRIM_400000_NS6detail17trampoline_kernelINS0_14default_configENS1_25partition_config_selectorILNS1_17partition_subalgoE5EsNS0_10empty_typeEbEEZZNS1_14partition_implILS5_5ELb0ES3_mN6thrust23THRUST_200600_302600_NS6detail15normal_iteratorINSA_10device_ptrIsEEEEPS6_NSA_18transform_iteratorINSB_9not_fun_tI7is_trueIsEEENSC_INSD_IbEEEENSA_11use_defaultESO_EENS0_5tupleIJSF_S6_EEENSQ_IJSG_SG_EEES6_PlJS6_EEE10hipError_tPvRmT3_T4_T5_T6_T7_T9_mT8_P12ihipStream_tbDpT10_ENKUlT_T0_E_clISt17integral_constantIbLb0EES1D_EEDaS18_S19_EUlS18_E_NS1_11comp_targetILNS1_3genE4ELNS1_11target_archE910ELNS1_3gpuE8ELNS1_3repE0EEENS1_30default_config_static_selectorELNS0_4arch9wavefront6targetE0EEEvT1_,comdat
.Lfunc_end2559:
	.size	_ZN7rocprim17ROCPRIM_400000_NS6detail17trampoline_kernelINS0_14default_configENS1_25partition_config_selectorILNS1_17partition_subalgoE5EsNS0_10empty_typeEbEEZZNS1_14partition_implILS5_5ELb0ES3_mN6thrust23THRUST_200600_302600_NS6detail15normal_iteratorINSA_10device_ptrIsEEEEPS6_NSA_18transform_iteratorINSB_9not_fun_tI7is_trueIsEEENSC_INSD_IbEEEENSA_11use_defaultESO_EENS0_5tupleIJSF_S6_EEENSQ_IJSG_SG_EEES6_PlJS6_EEE10hipError_tPvRmT3_T4_T5_T6_T7_T9_mT8_P12ihipStream_tbDpT10_ENKUlT_T0_E_clISt17integral_constantIbLb0EES1D_EEDaS18_S19_EUlS18_E_NS1_11comp_targetILNS1_3genE4ELNS1_11target_archE910ELNS1_3gpuE8ELNS1_3repE0EEENS1_30default_config_static_selectorELNS0_4arch9wavefront6targetE0EEEvT1_, .Lfunc_end2559-_ZN7rocprim17ROCPRIM_400000_NS6detail17trampoline_kernelINS0_14default_configENS1_25partition_config_selectorILNS1_17partition_subalgoE5EsNS0_10empty_typeEbEEZZNS1_14partition_implILS5_5ELb0ES3_mN6thrust23THRUST_200600_302600_NS6detail15normal_iteratorINSA_10device_ptrIsEEEEPS6_NSA_18transform_iteratorINSB_9not_fun_tI7is_trueIsEEENSC_INSD_IbEEEENSA_11use_defaultESO_EENS0_5tupleIJSF_S6_EEENSQ_IJSG_SG_EEES6_PlJS6_EEE10hipError_tPvRmT3_T4_T5_T6_T7_T9_mT8_P12ihipStream_tbDpT10_ENKUlT_T0_E_clISt17integral_constantIbLb0EES1D_EEDaS18_S19_EUlS18_E_NS1_11comp_targetILNS1_3genE4ELNS1_11target_archE910ELNS1_3gpuE8ELNS1_3repE0EEENS1_30default_config_static_selectorELNS0_4arch9wavefront6targetE0EEEvT1_
                                        ; -- End function
	.set _ZN7rocprim17ROCPRIM_400000_NS6detail17trampoline_kernelINS0_14default_configENS1_25partition_config_selectorILNS1_17partition_subalgoE5EsNS0_10empty_typeEbEEZZNS1_14partition_implILS5_5ELb0ES3_mN6thrust23THRUST_200600_302600_NS6detail15normal_iteratorINSA_10device_ptrIsEEEEPS6_NSA_18transform_iteratorINSB_9not_fun_tI7is_trueIsEEENSC_INSD_IbEEEENSA_11use_defaultESO_EENS0_5tupleIJSF_S6_EEENSQ_IJSG_SG_EEES6_PlJS6_EEE10hipError_tPvRmT3_T4_T5_T6_T7_T9_mT8_P12ihipStream_tbDpT10_ENKUlT_T0_E_clISt17integral_constantIbLb0EES1D_EEDaS18_S19_EUlS18_E_NS1_11comp_targetILNS1_3genE4ELNS1_11target_archE910ELNS1_3gpuE8ELNS1_3repE0EEENS1_30default_config_static_selectorELNS0_4arch9wavefront6targetE0EEEvT1_.num_vgpr, 0
	.set _ZN7rocprim17ROCPRIM_400000_NS6detail17trampoline_kernelINS0_14default_configENS1_25partition_config_selectorILNS1_17partition_subalgoE5EsNS0_10empty_typeEbEEZZNS1_14partition_implILS5_5ELb0ES3_mN6thrust23THRUST_200600_302600_NS6detail15normal_iteratorINSA_10device_ptrIsEEEEPS6_NSA_18transform_iteratorINSB_9not_fun_tI7is_trueIsEEENSC_INSD_IbEEEENSA_11use_defaultESO_EENS0_5tupleIJSF_S6_EEENSQ_IJSG_SG_EEES6_PlJS6_EEE10hipError_tPvRmT3_T4_T5_T6_T7_T9_mT8_P12ihipStream_tbDpT10_ENKUlT_T0_E_clISt17integral_constantIbLb0EES1D_EEDaS18_S19_EUlS18_E_NS1_11comp_targetILNS1_3genE4ELNS1_11target_archE910ELNS1_3gpuE8ELNS1_3repE0EEENS1_30default_config_static_selectorELNS0_4arch9wavefront6targetE0EEEvT1_.num_agpr, 0
	.set _ZN7rocprim17ROCPRIM_400000_NS6detail17trampoline_kernelINS0_14default_configENS1_25partition_config_selectorILNS1_17partition_subalgoE5EsNS0_10empty_typeEbEEZZNS1_14partition_implILS5_5ELb0ES3_mN6thrust23THRUST_200600_302600_NS6detail15normal_iteratorINSA_10device_ptrIsEEEEPS6_NSA_18transform_iteratorINSB_9not_fun_tI7is_trueIsEEENSC_INSD_IbEEEENSA_11use_defaultESO_EENS0_5tupleIJSF_S6_EEENSQ_IJSG_SG_EEES6_PlJS6_EEE10hipError_tPvRmT3_T4_T5_T6_T7_T9_mT8_P12ihipStream_tbDpT10_ENKUlT_T0_E_clISt17integral_constantIbLb0EES1D_EEDaS18_S19_EUlS18_E_NS1_11comp_targetILNS1_3genE4ELNS1_11target_archE910ELNS1_3gpuE8ELNS1_3repE0EEENS1_30default_config_static_selectorELNS0_4arch9wavefront6targetE0EEEvT1_.numbered_sgpr, 0
	.set _ZN7rocprim17ROCPRIM_400000_NS6detail17trampoline_kernelINS0_14default_configENS1_25partition_config_selectorILNS1_17partition_subalgoE5EsNS0_10empty_typeEbEEZZNS1_14partition_implILS5_5ELb0ES3_mN6thrust23THRUST_200600_302600_NS6detail15normal_iteratorINSA_10device_ptrIsEEEEPS6_NSA_18transform_iteratorINSB_9not_fun_tI7is_trueIsEEENSC_INSD_IbEEEENSA_11use_defaultESO_EENS0_5tupleIJSF_S6_EEENSQ_IJSG_SG_EEES6_PlJS6_EEE10hipError_tPvRmT3_T4_T5_T6_T7_T9_mT8_P12ihipStream_tbDpT10_ENKUlT_T0_E_clISt17integral_constantIbLb0EES1D_EEDaS18_S19_EUlS18_E_NS1_11comp_targetILNS1_3genE4ELNS1_11target_archE910ELNS1_3gpuE8ELNS1_3repE0EEENS1_30default_config_static_selectorELNS0_4arch9wavefront6targetE0EEEvT1_.num_named_barrier, 0
	.set _ZN7rocprim17ROCPRIM_400000_NS6detail17trampoline_kernelINS0_14default_configENS1_25partition_config_selectorILNS1_17partition_subalgoE5EsNS0_10empty_typeEbEEZZNS1_14partition_implILS5_5ELb0ES3_mN6thrust23THRUST_200600_302600_NS6detail15normal_iteratorINSA_10device_ptrIsEEEEPS6_NSA_18transform_iteratorINSB_9not_fun_tI7is_trueIsEEENSC_INSD_IbEEEENSA_11use_defaultESO_EENS0_5tupleIJSF_S6_EEENSQ_IJSG_SG_EEES6_PlJS6_EEE10hipError_tPvRmT3_T4_T5_T6_T7_T9_mT8_P12ihipStream_tbDpT10_ENKUlT_T0_E_clISt17integral_constantIbLb0EES1D_EEDaS18_S19_EUlS18_E_NS1_11comp_targetILNS1_3genE4ELNS1_11target_archE910ELNS1_3gpuE8ELNS1_3repE0EEENS1_30default_config_static_selectorELNS0_4arch9wavefront6targetE0EEEvT1_.private_seg_size, 0
	.set _ZN7rocprim17ROCPRIM_400000_NS6detail17trampoline_kernelINS0_14default_configENS1_25partition_config_selectorILNS1_17partition_subalgoE5EsNS0_10empty_typeEbEEZZNS1_14partition_implILS5_5ELb0ES3_mN6thrust23THRUST_200600_302600_NS6detail15normal_iteratorINSA_10device_ptrIsEEEEPS6_NSA_18transform_iteratorINSB_9not_fun_tI7is_trueIsEEENSC_INSD_IbEEEENSA_11use_defaultESO_EENS0_5tupleIJSF_S6_EEENSQ_IJSG_SG_EEES6_PlJS6_EEE10hipError_tPvRmT3_T4_T5_T6_T7_T9_mT8_P12ihipStream_tbDpT10_ENKUlT_T0_E_clISt17integral_constantIbLb0EES1D_EEDaS18_S19_EUlS18_E_NS1_11comp_targetILNS1_3genE4ELNS1_11target_archE910ELNS1_3gpuE8ELNS1_3repE0EEENS1_30default_config_static_selectorELNS0_4arch9wavefront6targetE0EEEvT1_.uses_vcc, 0
	.set _ZN7rocprim17ROCPRIM_400000_NS6detail17trampoline_kernelINS0_14default_configENS1_25partition_config_selectorILNS1_17partition_subalgoE5EsNS0_10empty_typeEbEEZZNS1_14partition_implILS5_5ELb0ES3_mN6thrust23THRUST_200600_302600_NS6detail15normal_iteratorINSA_10device_ptrIsEEEEPS6_NSA_18transform_iteratorINSB_9not_fun_tI7is_trueIsEEENSC_INSD_IbEEEENSA_11use_defaultESO_EENS0_5tupleIJSF_S6_EEENSQ_IJSG_SG_EEES6_PlJS6_EEE10hipError_tPvRmT3_T4_T5_T6_T7_T9_mT8_P12ihipStream_tbDpT10_ENKUlT_T0_E_clISt17integral_constantIbLb0EES1D_EEDaS18_S19_EUlS18_E_NS1_11comp_targetILNS1_3genE4ELNS1_11target_archE910ELNS1_3gpuE8ELNS1_3repE0EEENS1_30default_config_static_selectorELNS0_4arch9wavefront6targetE0EEEvT1_.uses_flat_scratch, 0
	.set _ZN7rocprim17ROCPRIM_400000_NS6detail17trampoline_kernelINS0_14default_configENS1_25partition_config_selectorILNS1_17partition_subalgoE5EsNS0_10empty_typeEbEEZZNS1_14partition_implILS5_5ELb0ES3_mN6thrust23THRUST_200600_302600_NS6detail15normal_iteratorINSA_10device_ptrIsEEEEPS6_NSA_18transform_iteratorINSB_9not_fun_tI7is_trueIsEEENSC_INSD_IbEEEENSA_11use_defaultESO_EENS0_5tupleIJSF_S6_EEENSQ_IJSG_SG_EEES6_PlJS6_EEE10hipError_tPvRmT3_T4_T5_T6_T7_T9_mT8_P12ihipStream_tbDpT10_ENKUlT_T0_E_clISt17integral_constantIbLb0EES1D_EEDaS18_S19_EUlS18_E_NS1_11comp_targetILNS1_3genE4ELNS1_11target_archE910ELNS1_3gpuE8ELNS1_3repE0EEENS1_30default_config_static_selectorELNS0_4arch9wavefront6targetE0EEEvT1_.has_dyn_sized_stack, 0
	.set _ZN7rocprim17ROCPRIM_400000_NS6detail17trampoline_kernelINS0_14default_configENS1_25partition_config_selectorILNS1_17partition_subalgoE5EsNS0_10empty_typeEbEEZZNS1_14partition_implILS5_5ELb0ES3_mN6thrust23THRUST_200600_302600_NS6detail15normal_iteratorINSA_10device_ptrIsEEEEPS6_NSA_18transform_iteratorINSB_9not_fun_tI7is_trueIsEEENSC_INSD_IbEEEENSA_11use_defaultESO_EENS0_5tupleIJSF_S6_EEENSQ_IJSG_SG_EEES6_PlJS6_EEE10hipError_tPvRmT3_T4_T5_T6_T7_T9_mT8_P12ihipStream_tbDpT10_ENKUlT_T0_E_clISt17integral_constantIbLb0EES1D_EEDaS18_S19_EUlS18_E_NS1_11comp_targetILNS1_3genE4ELNS1_11target_archE910ELNS1_3gpuE8ELNS1_3repE0EEENS1_30default_config_static_selectorELNS0_4arch9wavefront6targetE0EEEvT1_.has_recursion, 0
	.set _ZN7rocprim17ROCPRIM_400000_NS6detail17trampoline_kernelINS0_14default_configENS1_25partition_config_selectorILNS1_17partition_subalgoE5EsNS0_10empty_typeEbEEZZNS1_14partition_implILS5_5ELb0ES3_mN6thrust23THRUST_200600_302600_NS6detail15normal_iteratorINSA_10device_ptrIsEEEEPS6_NSA_18transform_iteratorINSB_9not_fun_tI7is_trueIsEEENSC_INSD_IbEEEENSA_11use_defaultESO_EENS0_5tupleIJSF_S6_EEENSQ_IJSG_SG_EEES6_PlJS6_EEE10hipError_tPvRmT3_T4_T5_T6_T7_T9_mT8_P12ihipStream_tbDpT10_ENKUlT_T0_E_clISt17integral_constantIbLb0EES1D_EEDaS18_S19_EUlS18_E_NS1_11comp_targetILNS1_3genE4ELNS1_11target_archE910ELNS1_3gpuE8ELNS1_3repE0EEENS1_30default_config_static_selectorELNS0_4arch9wavefront6targetE0EEEvT1_.has_indirect_call, 0
	.section	.AMDGPU.csdata,"",@progbits
; Kernel info:
; codeLenInByte = 0
; TotalNumSgprs: 0
; NumVgprs: 0
; ScratchSize: 0
; MemoryBound: 0
; FloatMode: 240
; IeeeMode: 1
; LDSByteSize: 0 bytes/workgroup (compile time only)
; SGPRBlocks: 0
; VGPRBlocks: 0
; NumSGPRsForWavesPerEU: 1
; NumVGPRsForWavesPerEU: 1
; Occupancy: 16
; WaveLimiterHint : 0
; COMPUTE_PGM_RSRC2:SCRATCH_EN: 0
; COMPUTE_PGM_RSRC2:USER_SGPR: 2
; COMPUTE_PGM_RSRC2:TRAP_HANDLER: 0
; COMPUTE_PGM_RSRC2:TGID_X_EN: 1
; COMPUTE_PGM_RSRC2:TGID_Y_EN: 0
; COMPUTE_PGM_RSRC2:TGID_Z_EN: 0
; COMPUTE_PGM_RSRC2:TIDIG_COMP_CNT: 0
	.section	.text._ZN7rocprim17ROCPRIM_400000_NS6detail17trampoline_kernelINS0_14default_configENS1_25partition_config_selectorILNS1_17partition_subalgoE5EsNS0_10empty_typeEbEEZZNS1_14partition_implILS5_5ELb0ES3_mN6thrust23THRUST_200600_302600_NS6detail15normal_iteratorINSA_10device_ptrIsEEEEPS6_NSA_18transform_iteratorINSB_9not_fun_tI7is_trueIsEEENSC_INSD_IbEEEENSA_11use_defaultESO_EENS0_5tupleIJSF_S6_EEENSQ_IJSG_SG_EEES6_PlJS6_EEE10hipError_tPvRmT3_T4_T5_T6_T7_T9_mT8_P12ihipStream_tbDpT10_ENKUlT_T0_E_clISt17integral_constantIbLb0EES1D_EEDaS18_S19_EUlS18_E_NS1_11comp_targetILNS1_3genE3ELNS1_11target_archE908ELNS1_3gpuE7ELNS1_3repE0EEENS1_30default_config_static_selectorELNS0_4arch9wavefront6targetE0EEEvT1_,"axG",@progbits,_ZN7rocprim17ROCPRIM_400000_NS6detail17trampoline_kernelINS0_14default_configENS1_25partition_config_selectorILNS1_17partition_subalgoE5EsNS0_10empty_typeEbEEZZNS1_14partition_implILS5_5ELb0ES3_mN6thrust23THRUST_200600_302600_NS6detail15normal_iteratorINSA_10device_ptrIsEEEEPS6_NSA_18transform_iteratorINSB_9not_fun_tI7is_trueIsEEENSC_INSD_IbEEEENSA_11use_defaultESO_EENS0_5tupleIJSF_S6_EEENSQ_IJSG_SG_EEES6_PlJS6_EEE10hipError_tPvRmT3_T4_T5_T6_T7_T9_mT8_P12ihipStream_tbDpT10_ENKUlT_T0_E_clISt17integral_constantIbLb0EES1D_EEDaS18_S19_EUlS18_E_NS1_11comp_targetILNS1_3genE3ELNS1_11target_archE908ELNS1_3gpuE7ELNS1_3repE0EEENS1_30default_config_static_selectorELNS0_4arch9wavefront6targetE0EEEvT1_,comdat
	.protected	_ZN7rocprim17ROCPRIM_400000_NS6detail17trampoline_kernelINS0_14default_configENS1_25partition_config_selectorILNS1_17partition_subalgoE5EsNS0_10empty_typeEbEEZZNS1_14partition_implILS5_5ELb0ES3_mN6thrust23THRUST_200600_302600_NS6detail15normal_iteratorINSA_10device_ptrIsEEEEPS6_NSA_18transform_iteratorINSB_9not_fun_tI7is_trueIsEEENSC_INSD_IbEEEENSA_11use_defaultESO_EENS0_5tupleIJSF_S6_EEENSQ_IJSG_SG_EEES6_PlJS6_EEE10hipError_tPvRmT3_T4_T5_T6_T7_T9_mT8_P12ihipStream_tbDpT10_ENKUlT_T0_E_clISt17integral_constantIbLb0EES1D_EEDaS18_S19_EUlS18_E_NS1_11comp_targetILNS1_3genE3ELNS1_11target_archE908ELNS1_3gpuE7ELNS1_3repE0EEENS1_30default_config_static_selectorELNS0_4arch9wavefront6targetE0EEEvT1_ ; -- Begin function _ZN7rocprim17ROCPRIM_400000_NS6detail17trampoline_kernelINS0_14default_configENS1_25partition_config_selectorILNS1_17partition_subalgoE5EsNS0_10empty_typeEbEEZZNS1_14partition_implILS5_5ELb0ES3_mN6thrust23THRUST_200600_302600_NS6detail15normal_iteratorINSA_10device_ptrIsEEEEPS6_NSA_18transform_iteratorINSB_9not_fun_tI7is_trueIsEEENSC_INSD_IbEEEENSA_11use_defaultESO_EENS0_5tupleIJSF_S6_EEENSQ_IJSG_SG_EEES6_PlJS6_EEE10hipError_tPvRmT3_T4_T5_T6_T7_T9_mT8_P12ihipStream_tbDpT10_ENKUlT_T0_E_clISt17integral_constantIbLb0EES1D_EEDaS18_S19_EUlS18_E_NS1_11comp_targetILNS1_3genE3ELNS1_11target_archE908ELNS1_3gpuE7ELNS1_3repE0EEENS1_30default_config_static_selectorELNS0_4arch9wavefront6targetE0EEEvT1_
	.globl	_ZN7rocprim17ROCPRIM_400000_NS6detail17trampoline_kernelINS0_14default_configENS1_25partition_config_selectorILNS1_17partition_subalgoE5EsNS0_10empty_typeEbEEZZNS1_14partition_implILS5_5ELb0ES3_mN6thrust23THRUST_200600_302600_NS6detail15normal_iteratorINSA_10device_ptrIsEEEEPS6_NSA_18transform_iteratorINSB_9not_fun_tI7is_trueIsEEENSC_INSD_IbEEEENSA_11use_defaultESO_EENS0_5tupleIJSF_S6_EEENSQ_IJSG_SG_EEES6_PlJS6_EEE10hipError_tPvRmT3_T4_T5_T6_T7_T9_mT8_P12ihipStream_tbDpT10_ENKUlT_T0_E_clISt17integral_constantIbLb0EES1D_EEDaS18_S19_EUlS18_E_NS1_11comp_targetILNS1_3genE3ELNS1_11target_archE908ELNS1_3gpuE7ELNS1_3repE0EEENS1_30default_config_static_selectorELNS0_4arch9wavefront6targetE0EEEvT1_
	.p2align	8
	.type	_ZN7rocprim17ROCPRIM_400000_NS6detail17trampoline_kernelINS0_14default_configENS1_25partition_config_selectorILNS1_17partition_subalgoE5EsNS0_10empty_typeEbEEZZNS1_14partition_implILS5_5ELb0ES3_mN6thrust23THRUST_200600_302600_NS6detail15normal_iteratorINSA_10device_ptrIsEEEEPS6_NSA_18transform_iteratorINSB_9not_fun_tI7is_trueIsEEENSC_INSD_IbEEEENSA_11use_defaultESO_EENS0_5tupleIJSF_S6_EEENSQ_IJSG_SG_EEES6_PlJS6_EEE10hipError_tPvRmT3_T4_T5_T6_T7_T9_mT8_P12ihipStream_tbDpT10_ENKUlT_T0_E_clISt17integral_constantIbLb0EES1D_EEDaS18_S19_EUlS18_E_NS1_11comp_targetILNS1_3genE3ELNS1_11target_archE908ELNS1_3gpuE7ELNS1_3repE0EEENS1_30default_config_static_selectorELNS0_4arch9wavefront6targetE0EEEvT1_,@function
_ZN7rocprim17ROCPRIM_400000_NS6detail17trampoline_kernelINS0_14default_configENS1_25partition_config_selectorILNS1_17partition_subalgoE5EsNS0_10empty_typeEbEEZZNS1_14partition_implILS5_5ELb0ES3_mN6thrust23THRUST_200600_302600_NS6detail15normal_iteratorINSA_10device_ptrIsEEEEPS6_NSA_18transform_iteratorINSB_9not_fun_tI7is_trueIsEEENSC_INSD_IbEEEENSA_11use_defaultESO_EENS0_5tupleIJSF_S6_EEENSQ_IJSG_SG_EEES6_PlJS6_EEE10hipError_tPvRmT3_T4_T5_T6_T7_T9_mT8_P12ihipStream_tbDpT10_ENKUlT_T0_E_clISt17integral_constantIbLb0EES1D_EEDaS18_S19_EUlS18_E_NS1_11comp_targetILNS1_3genE3ELNS1_11target_archE908ELNS1_3gpuE7ELNS1_3repE0EEENS1_30default_config_static_selectorELNS0_4arch9wavefront6targetE0EEEvT1_: ; @_ZN7rocprim17ROCPRIM_400000_NS6detail17trampoline_kernelINS0_14default_configENS1_25partition_config_selectorILNS1_17partition_subalgoE5EsNS0_10empty_typeEbEEZZNS1_14partition_implILS5_5ELb0ES3_mN6thrust23THRUST_200600_302600_NS6detail15normal_iteratorINSA_10device_ptrIsEEEEPS6_NSA_18transform_iteratorINSB_9not_fun_tI7is_trueIsEEENSC_INSD_IbEEEENSA_11use_defaultESO_EENS0_5tupleIJSF_S6_EEENSQ_IJSG_SG_EEES6_PlJS6_EEE10hipError_tPvRmT3_T4_T5_T6_T7_T9_mT8_P12ihipStream_tbDpT10_ENKUlT_T0_E_clISt17integral_constantIbLb0EES1D_EEDaS18_S19_EUlS18_E_NS1_11comp_targetILNS1_3genE3ELNS1_11target_archE908ELNS1_3gpuE7ELNS1_3repE0EEENS1_30default_config_static_selectorELNS0_4arch9wavefront6targetE0EEEvT1_
; %bb.0:
	.section	.rodata,"a",@progbits
	.p2align	6, 0x0
	.amdhsa_kernel _ZN7rocprim17ROCPRIM_400000_NS6detail17trampoline_kernelINS0_14default_configENS1_25partition_config_selectorILNS1_17partition_subalgoE5EsNS0_10empty_typeEbEEZZNS1_14partition_implILS5_5ELb0ES3_mN6thrust23THRUST_200600_302600_NS6detail15normal_iteratorINSA_10device_ptrIsEEEEPS6_NSA_18transform_iteratorINSB_9not_fun_tI7is_trueIsEEENSC_INSD_IbEEEENSA_11use_defaultESO_EENS0_5tupleIJSF_S6_EEENSQ_IJSG_SG_EEES6_PlJS6_EEE10hipError_tPvRmT3_T4_T5_T6_T7_T9_mT8_P12ihipStream_tbDpT10_ENKUlT_T0_E_clISt17integral_constantIbLb0EES1D_EEDaS18_S19_EUlS18_E_NS1_11comp_targetILNS1_3genE3ELNS1_11target_archE908ELNS1_3gpuE7ELNS1_3repE0EEENS1_30default_config_static_selectorELNS0_4arch9wavefront6targetE0EEEvT1_
		.amdhsa_group_segment_fixed_size 0
		.amdhsa_private_segment_fixed_size 0
		.amdhsa_kernarg_size 120
		.amdhsa_user_sgpr_count 2
		.amdhsa_user_sgpr_dispatch_ptr 0
		.amdhsa_user_sgpr_queue_ptr 0
		.amdhsa_user_sgpr_kernarg_segment_ptr 1
		.amdhsa_user_sgpr_dispatch_id 0
		.amdhsa_user_sgpr_private_segment_size 0
		.amdhsa_wavefront_size32 1
		.amdhsa_uses_dynamic_stack 0
		.amdhsa_enable_private_segment 0
		.amdhsa_system_sgpr_workgroup_id_x 1
		.amdhsa_system_sgpr_workgroup_id_y 0
		.amdhsa_system_sgpr_workgroup_id_z 0
		.amdhsa_system_sgpr_workgroup_info 0
		.amdhsa_system_vgpr_workitem_id 0
		.amdhsa_next_free_vgpr 1
		.amdhsa_next_free_sgpr 1
		.amdhsa_reserve_vcc 0
		.amdhsa_float_round_mode_32 0
		.amdhsa_float_round_mode_16_64 0
		.amdhsa_float_denorm_mode_32 3
		.amdhsa_float_denorm_mode_16_64 3
		.amdhsa_fp16_overflow 0
		.amdhsa_workgroup_processor_mode 1
		.amdhsa_memory_ordered 1
		.amdhsa_forward_progress 1
		.amdhsa_inst_pref_size 0
		.amdhsa_round_robin_scheduling 0
		.amdhsa_exception_fp_ieee_invalid_op 0
		.amdhsa_exception_fp_denorm_src 0
		.amdhsa_exception_fp_ieee_div_zero 0
		.amdhsa_exception_fp_ieee_overflow 0
		.amdhsa_exception_fp_ieee_underflow 0
		.amdhsa_exception_fp_ieee_inexact 0
		.amdhsa_exception_int_div_zero 0
	.end_amdhsa_kernel
	.section	.text._ZN7rocprim17ROCPRIM_400000_NS6detail17trampoline_kernelINS0_14default_configENS1_25partition_config_selectorILNS1_17partition_subalgoE5EsNS0_10empty_typeEbEEZZNS1_14partition_implILS5_5ELb0ES3_mN6thrust23THRUST_200600_302600_NS6detail15normal_iteratorINSA_10device_ptrIsEEEEPS6_NSA_18transform_iteratorINSB_9not_fun_tI7is_trueIsEEENSC_INSD_IbEEEENSA_11use_defaultESO_EENS0_5tupleIJSF_S6_EEENSQ_IJSG_SG_EEES6_PlJS6_EEE10hipError_tPvRmT3_T4_T5_T6_T7_T9_mT8_P12ihipStream_tbDpT10_ENKUlT_T0_E_clISt17integral_constantIbLb0EES1D_EEDaS18_S19_EUlS18_E_NS1_11comp_targetILNS1_3genE3ELNS1_11target_archE908ELNS1_3gpuE7ELNS1_3repE0EEENS1_30default_config_static_selectorELNS0_4arch9wavefront6targetE0EEEvT1_,"axG",@progbits,_ZN7rocprim17ROCPRIM_400000_NS6detail17trampoline_kernelINS0_14default_configENS1_25partition_config_selectorILNS1_17partition_subalgoE5EsNS0_10empty_typeEbEEZZNS1_14partition_implILS5_5ELb0ES3_mN6thrust23THRUST_200600_302600_NS6detail15normal_iteratorINSA_10device_ptrIsEEEEPS6_NSA_18transform_iteratorINSB_9not_fun_tI7is_trueIsEEENSC_INSD_IbEEEENSA_11use_defaultESO_EENS0_5tupleIJSF_S6_EEENSQ_IJSG_SG_EEES6_PlJS6_EEE10hipError_tPvRmT3_T4_T5_T6_T7_T9_mT8_P12ihipStream_tbDpT10_ENKUlT_T0_E_clISt17integral_constantIbLb0EES1D_EEDaS18_S19_EUlS18_E_NS1_11comp_targetILNS1_3genE3ELNS1_11target_archE908ELNS1_3gpuE7ELNS1_3repE0EEENS1_30default_config_static_selectorELNS0_4arch9wavefront6targetE0EEEvT1_,comdat
.Lfunc_end2560:
	.size	_ZN7rocprim17ROCPRIM_400000_NS6detail17trampoline_kernelINS0_14default_configENS1_25partition_config_selectorILNS1_17partition_subalgoE5EsNS0_10empty_typeEbEEZZNS1_14partition_implILS5_5ELb0ES3_mN6thrust23THRUST_200600_302600_NS6detail15normal_iteratorINSA_10device_ptrIsEEEEPS6_NSA_18transform_iteratorINSB_9not_fun_tI7is_trueIsEEENSC_INSD_IbEEEENSA_11use_defaultESO_EENS0_5tupleIJSF_S6_EEENSQ_IJSG_SG_EEES6_PlJS6_EEE10hipError_tPvRmT3_T4_T5_T6_T7_T9_mT8_P12ihipStream_tbDpT10_ENKUlT_T0_E_clISt17integral_constantIbLb0EES1D_EEDaS18_S19_EUlS18_E_NS1_11comp_targetILNS1_3genE3ELNS1_11target_archE908ELNS1_3gpuE7ELNS1_3repE0EEENS1_30default_config_static_selectorELNS0_4arch9wavefront6targetE0EEEvT1_, .Lfunc_end2560-_ZN7rocprim17ROCPRIM_400000_NS6detail17trampoline_kernelINS0_14default_configENS1_25partition_config_selectorILNS1_17partition_subalgoE5EsNS0_10empty_typeEbEEZZNS1_14partition_implILS5_5ELb0ES3_mN6thrust23THRUST_200600_302600_NS6detail15normal_iteratorINSA_10device_ptrIsEEEEPS6_NSA_18transform_iteratorINSB_9not_fun_tI7is_trueIsEEENSC_INSD_IbEEEENSA_11use_defaultESO_EENS0_5tupleIJSF_S6_EEENSQ_IJSG_SG_EEES6_PlJS6_EEE10hipError_tPvRmT3_T4_T5_T6_T7_T9_mT8_P12ihipStream_tbDpT10_ENKUlT_T0_E_clISt17integral_constantIbLb0EES1D_EEDaS18_S19_EUlS18_E_NS1_11comp_targetILNS1_3genE3ELNS1_11target_archE908ELNS1_3gpuE7ELNS1_3repE0EEENS1_30default_config_static_selectorELNS0_4arch9wavefront6targetE0EEEvT1_
                                        ; -- End function
	.set _ZN7rocprim17ROCPRIM_400000_NS6detail17trampoline_kernelINS0_14default_configENS1_25partition_config_selectorILNS1_17partition_subalgoE5EsNS0_10empty_typeEbEEZZNS1_14partition_implILS5_5ELb0ES3_mN6thrust23THRUST_200600_302600_NS6detail15normal_iteratorINSA_10device_ptrIsEEEEPS6_NSA_18transform_iteratorINSB_9not_fun_tI7is_trueIsEEENSC_INSD_IbEEEENSA_11use_defaultESO_EENS0_5tupleIJSF_S6_EEENSQ_IJSG_SG_EEES6_PlJS6_EEE10hipError_tPvRmT3_T4_T5_T6_T7_T9_mT8_P12ihipStream_tbDpT10_ENKUlT_T0_E_clISt17integral_constantIbLb0EES1D_EEDaS18_S19_EUlS18_E_NS1_11comp_targetILNS1_3genE3ELNS1_11target_archE908ELNS1_3gpuE7ELNS1_3repE0EEENS1_30default_config_static_selectorELNS0_4arch9wavefront6targetE0EEEvT1_.num_vgpr, 0
	.set _ZN7rocprim17ROCPRIM_400000_NS6detail17trampoline_kernelINS0_14default_configENS1_25partition_config_selectorILNS1_17partition_subalgoE5EsNS0_10empty_typeEbEEZZNS1_14partition_implILS5_5ELb0ES3_mN6thrust23THRUST_200600_302600_NS6detail15normal_iteratorINSA_10device_ptrIsEEEEPS6_NSA_18transform_iteratorINSB_9not_fun_tI7is_trueIsEEENSC_INSD_IbEEEENSA_11use_defaultESO_EENS0_5tupleIJSF_S6_EEENSQ_IJSG_SG_EEES6_PlJS6_EEE10hipError_tPvRmT3_T4_T5_T6_T7_T9_mT8_P12ihipStream_tbDpT10_ENKUlT_T0_E_clISt17integral_constantIbLb0EES1D_EEDaS18_S19_EUlS18_E_NS1_11comp_targetILNS1_3genE3ELNS1_11target_archE908ELNS1_3gpuE7ELNS1_3repE0EEENS1_30default_config_static_selectorELNS0_4arch9wavefront6targetE0EEEvT1_.num_agpr, 0
	.set _ZN7rocprim17ROCPRIM_400000_NS6detail17trampoline_kernelINS0_14default_configENS1_25partition_config_selectorILNS1_17partition_subalgoE5EsNS0_10empty_typeEbEEZZNS1_14partition_implILS5_5ELb0ES3_mN6thrust23THRUST_200600_302600_NS6detail15normal_iteratorINSA_10device_ptrIsEEEEPS6_NSA_18transform_iteratorINSB_9not_fun_tI7is_trueIsEEENSC_INSD_IbEEEENSA_11use_defaultESO_EENS0_5tupleIJSF_S6_EEENSQ_IJSG_SG_EEES6_PlJS6_EEE10hipError_tPvRmT3_T4_T5_T6_T7_T9_mT8_P12ihipStream_tbDpT10_ENKUlT_T0_E_clISt17integral_constantIbLb0EES1D_EEDaS18_S19_EUlS18_E_NS1_11comp_targetILNS1_3genE3ELNS1_11target_archE908ELNS1_3gpuE7ELNS1_3repE0EEENS1_30default_config_static_selectorELNS0_4arch9wavefront6targetE0EEEvT1_.numbered_sgpr, 0
	.set _ZN7rocprim17ROCPRIM_400000_NS6detail17trampoline_kernelINS0_14default_configENS1_25partition_config_selectorILNS1_17partition_subalgoE5EsNS0_10empty_typeEbEEZZNS1_14partition_implILS5_5ELb0ES3_mN6thrust23THRUST_200600_302600_NS6detail15normal_iteratorINSA_10device_ptrIsEEEEPS6_NSA_18transform_iteratorINSB_9not_fun_tI7is_trueIsEEENSC_INSD_IbEEEENSA_11use_defaultESO_EENS0_5tupleIJSF_S6_EEENSQ_IJSG_SG_EEES6_PlJS6_EEE10hipError_tPvRmT3_T4_T5_T6_T7_T9_mT8_P12ihipStream_tbDpT10_ENKUlT_T0_E_clISt17integral_constantIbLb0EES1D_EEDaS18_S19_EUlS18_E_NS1_11comp_targetILNS1_3genE3ELNS1_11target_archE908ELNS1_3gpuE7ELNS1_3repE0EEENS1_30default_config_static_selectorELNS0_4arch9wavefront6targetE0EEEvT1_.num_named_barrier, 0
	.set _ZN7rocprim17ROCPRIM_400000_NS6detail17trampoline_kernelINS0_14default_configENS1_25partition_config_selectorILNS1_17partition_subalgoE5EsNS0_10empty_typeEbEEZZNS1_14partition_implILS5_5ELb0ES3_mN6thrust23THRUST_200600_302600_NS6detail15normal_iteratorINSA_10device_ptrIsEEEEPS6_NSA_18transform_iteratorINSB_9not_fun_tI7is_trueIsEEENSC_INSD_IbEEEENSA_11use_defaultESO_EENS0_5tupleIJSF_S6_EEENSQ_IJSG_SG_EEES6_PlJS6_EEE10hipError_tPvRmT3_T4_T5_T6_T7_T9_mT8_P12ihipStream_tbDpT10_ENKUlT_T0_E_clISt17integral_constantIbLb0EES1D_EEDaS18_S19_EUlS18_E_NS1_11comp_targetILNS1_3genE3ELNS1_11target_archE908ELNS1_3gpuE7ELNS1_3repE0EEENS1_30default_config_static_selectorELNS0_4arch9wavefront6targetE0EEEvT1_.private_seg_size, 0
	.set _ZN7rocprim17ROCPRIM_400000_NS6detail17trampoline_kernelINS0_14default_configENS1_25partition_config_selectorILNS1_17partition_subalgoE5EsNS0_10empty_typeEbEEZZNS1_14partition_implILS5_5ELb0ES3_mN6thrust23THRUST_200600_302600_NS6detail15normal_iteratorINSA_10device_ptrIsEEEEPS6_NSA_18transform_iteratorINSB_9not_fun_tI7is_trueIsEEENSC_INSD_IbEEEENSA_11use_defaultESO_EENS0_5tupleIJSF_S6_EEENSQ_IJSG_SG_EEES6_PlJS6_EEE10hipError_tPvRmT3_T4_T5_T6_T7_T9_mT8_P12ihipStream_tbDpT10_ENKUlT_T0_E_clISt17integral_constantIbLb0EES1D_EEDaS18_S19_EUlS18_E_NS1_11comp_targetILNS1_3genE3ELNS1_11target_archE908ELNS1_3gpuE7ELNS1_3repE0EEENS1_30default_config_static_selectorELNS0_4arch9wavefront6targetE0EEEvT1_.uses_vcc, 0
	.set _ZN7rocprim17ROCPRIM_400000_NS6detail17trampoline_kernelINS0_14default_configENS1_25partition_config_selectorILNS1_17partition_subalgoE5EsNS0_10empty_typeEbEEZZNS1_14partition_implILS5_5ELb0ES3_mN6thrust23THRUST_200600_302600_NS6detail15normal_iteratorINSA_10device_ptrIsEEEEPS6_NSA_18transform_iteratorINSB_9not_fun_tI7is_trueIsEEENSC_INSD_IbEEEENSA_11use_defaultESO_EENS0_5tupleIJSF_S6_EEENSQ_IJSG_SG_EEES6_PlJS6_EEE10hipError_tPvRmT3_T4_T5_T6_T7_T9_mT8_P12ihipStream_tbDpT10_ENKUlT_T0_E_clISt17integral_constantIbLb0EES1D_EEDaS18_S19_EUlS18_E_NS1_11comp_targetILNS1_3genE3ELNS1_11target_archE908ELNS1_3gpuE7ELNS1_3repE0EEENS1_30default_config_static_selectorELNS0_4arch9wavefront6targetE0EEEvT1_.uses_flat_scratch, 0
	.set _ZN7rocprim17ROCPRIM_400000_NS6detail17trampoline_kernelINS0_14default_configENS1_25partition_config_selectorILNS1_17partition_subalgoE5EsNS0_10empty_typeEbEEZZNS1_14partition_implILS5_5ELb0ES3_mN6thrust23THRUST_200600_302600_NS6detail15normal_iteratorINSA_10device_ptrIsEEEEPS6_NSA_18transform_iteratorINSB_9not_fun_tI7is_trueIsEEENSC_INSD_IbEEEENSA_11use_defaultESO_EENS0_5tupleIJSF_S6_EEENSQ_IJSG_SG_EEES6_PlJS6_EEE10hipError_tPvRmT3_T4_T5_T6_T7_T9_mT8_P12ihipStream_tbDpT10_ENKUlT_T0_E_clISt17integral_constantIbLb0EES1D_EEDaS18_S19_EUlS18_E_NS1_11comp_targetILNS1_3genE3ELNS1_11target_archE908ELNS1_3gpuE7ELNS1_3repE0EEENS1_30default_config_static_selectorELNS0_4arch9wavefront6targetE0EEEvT1_.has_dyn_sized_stack, 0
	.set _ZN7rocprim17ROCPRIM_400000_NS6detail17trampoline_kernelINS0_14default_configENS1_25partition_config_selectorILNS1_17partition_subalgoE5EsNS0_10empty_typeEbEEZZNS1_14partition_implILS5_5ELb0ES3_mN6thrust23THRUST_200600_302600_NS6detail15normal_iteratorINSA_10device_ptrIsEEEEPS6_NSA_18transform_iteratorINSB_9not_fun_tI7is_trueIsEEENSC_INSD_IbEEEENSA_11use_defaultESO_EENS0_5tupleIJSF_S6_EEENSQ_IJSG_SG_EEES6_PlJS6_EEE10hipError_tPvRmT3_T4_T5_T6_T7_T9_mT8_P12ihipStream_tbDpT10_ENKUlT_T0_E_clISt17integral_constantIbLb0EES1D_EEDaS18_S19_EUlS18_E_NS1_11comp_targetILNS1_3genE3ELNS1_11target_archE908ELNS1_3gpuE7ELNS1_3repE0EEENS1_30default_config_static_selectorELNS0_4arch9wavefront6targetE0EEEvT1_.has_recursion, 0
	.set _ZN7rocprim17ROCPRIM_400000_NS6detail17trampoline_kernelINS0_14default_configENS1_25partition_config_selectorILNS1_17partition_subalgoE5EsNS0_10empty_typeEbEEZZNS1_14partition_implILS5_5ELb0ES3_mN6thrust23THRUST_200600_302600_NS6detail15normal_iteratorINSA_10device_ptrIsEEEEPS6_NSA_18transform_iteratorINSB_9not_fun_tI7is_trueIsEEENSC_INSD_IbEEEENSA_11use_defaultESO_EENS0_5tupleIJSF_S6_EEENSQ_IJSG_SG_EEES6_PlJS6_EEE10hipError_tPvRmT3_T4_T5_T6_T7_T9_mT8_P12ihipStream_tbDpT10_ENKUlT_T0_E_clISt17integral_constantIbLb0EES1D_EEDaS18_S19_EUlS18_E_NS1_11comp_targetILNS1_3genE3ELNS1_11target_archE908ELNS1_3gpuE7ELNS1_3repE0EEENS1_30default_config_static_selectorELNS0_4arch9wavefront6targetE0EEEvT1_.has_indirect_call, 0
	.section	.AMDGPU.csdata,"",@progbits
; Kernel info:
; codeLenInByte = 0
; TotalNumSgprs: 0
; NumVgprs: 0
; ScratchSize: 0
; MemoryBound: 0
; FloatMode: 240
; IeeeMode: 1
; LDSByteSize: 0 bytes/workgroup (compile time only)
; SGPRBlocks: 0
; VGPRBlocks: 0
; NumSGPRsForWavesPerEU: 1
; NumVGPRsForWavesPerEU: 1
; Occupancy: 16
; WaveLimiterHint : 0
; COMPUTE_PGM_RSRC2:SCRATCH_EN: 0
; COMPUTE_PGM_RSRC2:USER_SGPR: 2
; COMPUTE_PGM_RSRC2:TRAP_HANDLER: 0
; COMPUTE_PGM_RSRC2:TGID_X_EN: 1
; COMPUTE_PGM_RSRC2:TGID_Y_EN: 0
; COMPUTE_PGM_RSRC2:TGID_Z_EN: 0
; COMPUTE_PGM_RSRC2:TIDIG_COMP_CNT: 0
	.section	.text._ZN7rocprim17ROCPRIM_400000_NS6detail17trampoline_kernelINS0_14default_configENS1_25partition_config_selectorILNS1_17partition_subalgoE5EsNS0_10empty_typeEbEEZZNS1_14partition_implILS5_5ELb0ES3_mN6thrust23THRUST_200600_302600_NS6detail15normal_iteratorINSA_10device_ptrIsEEEEPS6_NSA_18transform_iteratorINSB_9not_fun_tI7is_trueIsEEENSC_INSD_IbEEEENSA_11use_defaultESO_EENS0_5tupleIJSF_S6_EEENSQ_IJSG_SG_EEES6_PlJS6_EEE10hipError_tPvRmT3_T4_T5_T6_T7_T9_mT8_P12ihipStream_tbDpT10_ENKUlT_T0_E_clISt17integral_constantIbLb0EES1D_EEDaS18_S19_EUlS18_E_NS1_11comp_targetILNS1_3genE2ELNS1_11target_archE906ELNS1_3gpuE6ELNS1_3repE0EEENS1_30default_config_static_selectorELNS0_4arch9wavefront6targetE0EEEvT1_,"axG",@progbits,_ZN7rocprim17ROCPRIM_400000_NS6detail17trampoline_kernelINS0_14default_configENS1_25partition_config_selectorILNS1_17partition_subalgoE5EsNS0_10empty_typeEbEEZZNS1_14partition_implILS5_5ELb0ES3_mN6thrust23THRUST_200600_302600_NS6detail15normal_iteratorINSA_10device_ptrIsEEEEPS6_NSA_18transform_iteratorINSB_9not_fun_tI7is_trueIsEEENSC_INSD_IbEEEENSA_11use_defaultESO_EENS0_5tupleIJSF_S6_EEENSQ_IJSG_SG_EEES6_PlJS6_EEE10hipError_tPvRmT3_T4_T5_T6_T7_T9_mT8_P12ihipStream_tbDpT10_ENKUlT_T0_E_clISt17integral_constantIbLb0EES1D_EEDaS18_S19_EUlS18_E_NS1_11comp_targetILNS1_3genE2ELNS1_11target_archE906ELNS1_3gpuE6ELNS1_3repE0EEENS1_30default_config_static_selectorELNS0_4arch9wavefront6targetE0EEEvT1_,comdat
	.protected	_ZN7rocprim17ROCPRIM_400000_NS6detail17trampoline_kernelINS0_14default_configENS1_25partition_config_selectorILNS1_17partition_subalgoE5EsNS0_10empty_typeEbEEZZNS1_14partition_implILS5_5ELb0ES3_mN6thrust23THRUST_200600_302600_NS6detail15normal_iteratorINSA_10device_ptrIsEEEEPS6_NSA_18transform_iteratorINSB_9not_fun_tI7is_trueIsEEENSC_INSD_IbEEEENSA_11use_defaultESO_EENS0_5tupleIJSF_S6_EEENSQ_IJSG_SG_EEES6_PlJS6_EEE10hipError_tPvRmT3_T4_T5_T6_T7_T9_mT8_P12ihipStream_tbDpT10_ENKUlT_T0_E_clISt17integral_constantIbLb0EES1D_EEDaS18_S19_EUlS18_E_NS1_11comp_targetILNS1_3genE2ELNS1_11target_archE906ELNS1_3gpuE6ELNS1_3repE0EEENS1_30default_config_static_selectorELNS0_4arch9wavefront6targetE0EEEvT1_ ; -- Begin function _ZN7rocprim17ROCPRIM_400000_NS6detail17trampoline_kernelINS0_14default_configENS1_25partition_config_selectorILNS1_17partition_subalgoE5EsNS0_10empty_typeEbEEZZNS1_14partition_implILS5_5ELb0ES3_mN6thrust23THRUST_200600_302600_NS6detail15normal_iteratorINSA_10device_ptrIsEEEEPS6_NSA_18transform_iteratorINSB_9not_fun_tI7is_trueIsEEENSC_INSD_IbEEEENSA_11use_defaultESO_EENS0_5tupleIJSF_S6_EEENSQ_IJSG_SG_EEES6_PlJS6_EEE10hipError_tPvRmT3_T4_T5_T6_T7_T9_mT8_P12ihipStream_tbDpT10_ENKUlT_T0_E_clISt17integral_constantIbLb0EES1D_EEDaS18_S19_EUlS18_E_NS1_11comp_targetILNS1_3genE2ELNS1_11target_archE906ELNS1_3gpuE6ELNS1_3repE0EEENS1_30default_config_static_selectorELNS0_4arch9wavefront6targetE0EEEvT1_
	.globl	_ZN7rocprim17ROCPRIM_400000_NS6detail17trampoline_kernelINS0_14default_configENS1_25partition_config_selectorILNS1_17partition_subalgoE5EsNS0_10empty_typeEbEEZZNS1_14partition_implILS5_5ELb0ES3_mN6thrust23THRUST_200600_302600_NS6detail15normal_iteratorINSA_10device_ptrIsEEEEPS6_NSA_18transform_iteratorINSB_9not_fun_tI7is_trueIsEEENSC_INSD_IbEEEENSA_11use_defaultESO_EENS0_5tupleIJSF_S6_EEENSQ_IJSG_SG_EEES6_PlJS6_EEE10hipError_tPvRmT3_T4_T5_T6_T7_T9_mT8_P12ihipStream_tbDpT10_ENKUlT_T0_E_clISt17integral_constantIbLb0EES1D_EEDaS18_S19_EUlS18_E_NS1_11comp_targetILNS1_3genE2ELNS1_11target_archE906ELNS1_3gpuE6ELNS1_3repE0EEENS1_30default_config_static_selectorELNS0_4arch9wavefront6targetE0EEEvT1_
	.p2align	8
	.type	_ZN7rocprim17ROCPRIM_400000_NS6detail17trampoline_kernelINS0_14default_configENS1_25partition_config_selectorILNS1_17partition_subalgoE5EsNS0_10empty_typeEbEEZZNS1_14partition_implILS5_5ELb0ES3_mN6thrust23THRUST_200600_302600_NS6detail15normal_iteratorINSA_10device_ptrIsEEEEPS6_NSA_18transform_iteratorINSB_9not_fun_tI7is_trueIsEEENSC_INSD_IbEEEENSA_11use_defaultESO_EENS0_5tupleIJSF_S6_EEENSQ_IJSG_SG_EEES6_PlJS6_EEE10hipError_tPvRmT3_T4_T5_T6_T7_T9_mT8_P12ihipStream_tbDpT10_ENKUlT_T0_E_clISt17integral_constantIbLb0EES1D_EEDaS18_S19_EUlS18_E_NS1_11comp_targetILNS1_3genE2ELNS1_11target_archE906ELNS1_3gpuE6ELNS1_3repE0EEENS1_30default_config_static_selectorELNS0_4arch9wavefront6targetE0EEEvT1_,@function
_ZN7rocprim17ROCPRIM_400000_NS6detail17trampoline_kernelINS0_14default_configENS1_25partition_config_selectorILNS1_17partition_subalgoE5EsNS0_10empty_typeEbEEZZNS1_14partition_implILS5_5ELb0ES3_mN6thrust23THRUST_200600_302600_NS6detail15normal_iteratorINSA_10device_ptrIsEEEEPS6_NSA_18transform_iteratorINSB_9not_fun_tI7is_trueIsEEENSC_INSD_IbEEEENSA_11use_defaultESO_EENS0_5tupleIJSF_S6_EEENSQ_IJSG_SG_EEES6_PlJS6_EEE10hipError_tPvRmT3_T4_T5_T6_T7_T9_mT8_P12ihipStream_tbDpT10_ENKUlT_T0_E_clISt17integral_constantIbLb0EES1D_EEDaS18_S19_EUlS18_E_NS1_11comp_targetILNS1_3genE2ELNS1_11target_archE906ELNS1_3gpuE6ELNS1_3repE0EEENS1_30default_config_static_selectorELNS0_4arch9wavefront6targetE0EEEvT1_: ; @_ZN7rocprim17ROCPRIM_400000_NS6detail17trampoline_kernelINS0_14default_configENS1_25partition_config_selectorILNS1_17partition_subalgoE5EsNS0_10empty_typeEbEEZZNS1_14partition_implILS5_5ELb0ES3_mN6thrust23THRUST_200600_302600_NS6detail15normal_iteratorINSA_10device_ptrIsEEEEPS6_NSA_18transform_iteratorINSB_9not_fun_tI7is_trueIsEEENSC_INSD_IbEEEENSA_11use_defaultESO_EENS0_5tupleIJSF_S6_EEENSQ_IJSG_SG_EEES6_PlJS6_EEE10hipError_tPvRmT3_T4_T5_T6_T7_T9_mT8_P12ihipStream_tbDpT10_ENKUlT_T0_E_clISt17integral_constantIbLb0EES1D_EEDaS18_S19_EUlS18_E_NS1_11comp_targetILNS1_3genE2ELNS1_11target_archE906ELNS1_3gpuE6ELNS1_3repE0EEENS1_30default_config_static_selectorELNS0_4arch9wavefront6targetE0EEEvT1_
; %bb.0:
	.section	.rodata,"a",@progbits
	.p2align	6, 0x0
	.amdhsa_kernel _ZN7rocprim17ROCPRIM_400000_NS6detail17trampoline_kernelINS0_14default_configENS1_25partition_config_selectorILNS1_17partition_subalgoE5EsNS0_10empty_typeEbEEZZNS1_14partition_implILS5_5ELb0ES3_mN6thrust23THRUST_200600_302600_NS6detail15normal_iteratorINSA_10device_ptrIsEEEEPS6_NSA_18transform_iteratorINSB_9not_fun_tI7is_trueIsEEENSC_INSD_IbEEEENSA_11use_defaultESO_EENS0_5tupleIJSF_S6_EEENSQ_IJSG_SG_EEES6_PlJS6_EEE10hipError_tPvRmT3_T4_T5_T6_T7_T9_mT8_P12ihipStream_tbDpT10_ENKUlT_T0_E_clISt17integral_constantIbLb0EES1D_EEDaS18_S19_EUlS18_E_NS1_11comp_targetILNS1_3genE2ELNS1_11target_archE906ELNS1_3gpuE6ELNS1_3repE0EEENS1_30default_config_static_selectorELNS0_4arch9wavefront6targetE0EEEvT1_
		.amdhsa_group_segment_fixed_size 0
		.amdhsa_private_segment_fixed_size 0
		.amdhsa_kernarg_size 120
		.amdhsa_user_sgpr_count 2
		.amdhsa_user_sgpr_dispatch_ptr 0
		.amdhsa_user_sgpr_queue_ptr 0
		.amdhsa_user_sgpr_kernarg_segment_ptr 1
		.amdhsa_user_sgpr_dispatch_id 0
		.amdhsa_user_sgpr_private_segment_size 0
		.amdhsa_wavefront_size32 1
		.amdhsa_uses_dynamic_stack 0
		.amdhsa_enable_private_segment 0
		.amdhsa_system_sgpr_workgroup_id_x 1
		.amdhsa_system_sgpr_workgroup_id_y 0
		.amdhsa_system_sgpr_workgroup_id_z 0
		.amdhsa_system_sgpr_workgroup_info 0
		.amdhsa_system_vgpr_workitem_id 0
		.amdhsa_next_free_vgpr 1
		.amdhsa_next_free_sgpr 1
		.amdhsa_reserve_vcc 0
		.amdhsa_float_round_mode_32 0
		.amdhsa_float_round_mode_16_64 0
		.amdhsa_float_denorm_mode_32 3
		.amdhsa_float_denorm_mode_16_64 3
		.amdhsa_fp16_overflow 0
		.amdhsa_workgroup_processor_mode 1
		.amdhsa_memory_ordered 1
		.amdhsa_forward_progress 1
		.amdhsa_inst_pref_size 0
		.amdhsa_round_robin_scheduling 0
		.amdhsa_exception_fp_ieee_invalid_op 0
		.amdhsa_exception_fp_denorm_src 0
		.amdhsa_exception_fp_ieee_div_zero 0
		.amdhsa_exception_fp_ieee_overflow 0
		.amdhsa_exception_fp_ieee_underflow 0
		.amdhsa_exception_fp_ieee_inexact 0
		.amdhsa_exception_int_div_zero 0
	.end_amdhsa_kernel
	.section	.text._ZN7rocprim17ROCPRIM_400000_NS6detail17trampoline_kernelINS0_14default_configENS1_25partition_config_selectorILNS1_17partition_subalgoE5EsNS0_10empty_typeEbEEZZNS1_14partition_implILS5_5ELb0ES3_mN6thrust23THRUST_200600_302600_NS6detail15normal_iteratorINSA_10device_ptrIsEEEEPS6_NSA_18transform_iteratorINSB_9not_fun_tI7is_trueIsEEENSC_INSD_IbEEEENSA_11use_defaultESO_EENS0_5tupleIJSF_S6_EEENSQ_IJSG_SG_EEES6_PlJS6_EEE10hipError_tPvRmT3_T4_T5_T6_T7_T9_mT8_P12ihipStream_tbDpT10_ENKUlT_T0_E_clISt17integral_constantIbLb0EES1D_EEDaS18_S19_EUlS18_E_NS1_11comp_targetILNS1_3genE2ELNS1_11target_archE906ELNS1_3gpuE6ELNS1_3repE0EEENS1_30default_config_static_selectorELNS0_4arch9wavefront6targetE0EEEvT1_,"axG",@progbits,_ZN7rocprim17ROCPRIM_400000_NS6detail17trampoline_kernelINS0_14default_configENS1_25partition_config_selectorILNS1_17partition_subalgoE5EsNS0_10empty_typeEbEEZZNS1_14partition_implILS5_5ELb0ES3_mN6thrust23THRUST_200600_302600_NS6detail15normal_iteratorINSA_10device_ptrIsEEEEPS6_NSA_18transform_iteratorINSB_9not_fun_tI7is_trueIsEEENSC_INSD_IbEEEENSA_11use_defaultESO_EENS0_5tupleIJSF_S6_EEENSQ_IJSG_SG_EEES6_PlJS6_EEE10hipError_tPvRmT3_T4_T5_T6_T7_T9_mT8_P12ihipStream_tbDpT10_ENKUlT_T0_E_clISt17integral_constantIbLb0EES1D_EEDaS18_S19_EUlS18_E_NS1_11comp_targetILNS1_3genE2ELNS1_11target_archE906ELNS1_3gpuE6ELNS1_3repE0EEENS1_30default_config_static_selectorELNS0_4arch9wavefront6targetE0EEEvT1_,comdat
.Lfunc_end2561:
	.size	_ZN7rocprim17ROCPRIM_400000_NS6detail17trampoline_kernelINS0_14default_configENS1_25partition_config_selectorILNS1_17partition_subalgoE5EsNS0_10empty_typeEbEEZZNS1_14partition_implILS5_5ELb0ES3_mN6thrust23THRUST_200600_302600_NS6detail15normal_iteratorINSA_10device_ptrIsEEEEPS6_NSA_18transform_iteratorINSB_9not_fun_tI7is_trueIsEEENSC_INSD_IbEEEENSA_11use_defaultESO_EENS0_5tupleIJSF_S6_EEENSQ_IJSG_SG_EEES6_PlJS6_EEE10hipError_tPvRmT3_T4_T5_T6_T7_T9_mT8_P12ihipStream_tbDpT10_ENKUlT_T0_E_clISt17integral_constantIbLb0EES1D_EEDaS18_S19_EUlS18_E_NS1_11comp_targetILNS1_3genE2ELNS1_11target_archE906ELNS1_3gpuE6ELNS1_3repE0EEENS1_30default_config_static_selectorELNS0_4arch9wavefront6targetE0EEEvT1_, .Lfunc_end2561-_ZN7rocprim17ROCPRIM_400000_NS6detail17trampoline_kernelINS0_14default_configENS1_25partition_config_selectorILNS1_17partition_subalgoE5EsNS0_10empty_typeEbEEZZNS1_14partition_implILS5_5ELb0ES3_mN6thrust23THRUST_200600_302600_NS6detail15normal_iteratorINSA_10device_ptrIsEEEEPS6_NSA_18transform_iteratorINSB_9not_fun_tI7is_trueIsEEENSC_INSD_IbEEEENSA_11use_defaultESO_EENS0_5tupleIJSF_S6_EEENSQ_IJSG_SG_EEES6_PlJS6_EEE10hipError_tPvRmT3_T4_T5_T6_T7_T9_mT8_P12ihipStream_tbDpT10_ENKUlT_T0_E_clISt17integral_constantIbLb0EES1D_EEDaS18_S19_EUlS18_E_NS1_11comp_targetILNS1_3genE2ELNS1_11target_archE906ELNS1_3gpuE6ELNS1_3repE0EEENS1_30default_config_static_selectorELNS0_4arch9wavefront6targetE0EEEvT1_
                                        ; -- End function
	.set _ZN7rocprim17ROCPRIM_400000_NS6detail17trampoline_kernelINS0_14default_configENS1_25partition_config_selectorILNS1_17partition_subalgoE5EsNS0_10empty_typeEbEEZZNS1_14partition_implILS5_5ELb0ES3_mN6thrust23THRUST_200600_302600_NS6detail15normal_iteratorINSA_10device_ptrIsEEEEPS6_NSA_18transform_iteratorINSB_9not_fun_tI7is_trueIsEEENSC_INSD_IbEEEENSA_11use_defaultESO_EENS0_5tupleIJSF_S6_EEENSQ_IJSG_SG_EEES6_PlJS6_EEE10hipError_tPvRmT3_T4_T5_T6_T7_T9_mT8_P12ihipStream_tbDpT10_ENKUlT_T0_E_clISt17integral_constantIbLb0EES1D_EEDaS18_S19_EUlS18_E_NS1_11comp_targetILNS1_3genE2ELNS1_11target_archE906ELNS1_3gpuE6ELNS1_3repE0EEENS1_30default_config_static_selectorELNS0_4arch9wavefront6targetE0EEEvT1_.num_vgpr, 0
	.set _ZN7rocprim17ROCPRIM_400000_NS6detail17trampoline_kernelINS0_14default_configENS1_25partition_config_selectorILNS1_17partition_subalgoE5EsNS0_10empty_typeEbEEZZNS1_14partition_implILS5_5ELb0ES3_mN6thrust23THRUST_200600_302600_NS6detail15normal_iteratorINSA_10device_ptrIsEEEEPS6_NSA_18transform_iteratorINSB_9not_fun_tI7is_trueIsEEENSC_INSD_IbEEEENSA_11use_defaultESO_EENS0_5tupleIJSF_S6_EEENSQ_IJSG_SG_EEES6_PlJS6_EEE10hipError_tPvRmT3_T4_T5_T6_T7_T9_mT8_P12ihipStream_tbDpT10_ENKUlT_T0_E_clISt17integral_constantIbLb0EES1D_EEDaS18_S19_EUlS18_E_NS1_11comp_targetILNS1_3genE2ELNS1_11target_archE906ELNS1_3gpuE6ELNS1_3repE0EEENS1_30default_config_static_selectorELNS0_4arch9wavefront6targetE0EEEvT1_.num_agpr, 0
	.set _ZN7rocprim17ROCPRIM_400000_NS6detail17trampoline_kernelINS0_14default_configENS1_25partition_config_selectorILNS1_17partition_subalgoE5EsNS0_10empty_typeEbEEZZNS1_14partition_implILS5_5ELb0ES3_mN6thrust23THRUST_200600_302600_NS6detail15normal_iteratorINSA_10device_ptrIsEEEEPS6_NSA_18transform_iteratorINSB_9not_fun_tI7is_trueIsEEENSC_INSD_IbEEEENSA_11use_defaultESO_EENS0_5tupleIJSF_S6_EEENSQ_IJSG_SG_EEES6_PlJS6_EEE10hipError_tPvRmT3_T4_T5_T6_T7_T9_mT8_P12ihipStream_tbDpT10_ENKUlT_T0_E_clISt17integral_constantIbLb0EES1D_EEDaS18_S19_EUlS18_E_NS1_11comp_targetILNS1_3genE2ELNS1_11target_archE906ELNS1_3gpuE6ELNS1_3repE0EEENS1_30default_config_static_selectorELNS0_4arch9wavefront6targetE0EEEvT1_.numbered_sgpr, 0
	.set _ZN7rocprim17ROCPRIM_400000_NS6detail17trampoline_kernelINS0_14default_configENS1_25partition_config_selectorILNS1_17partition_subalgoE5EsNS0_10empty_typeEbEEZZNS1_14partition_implILS5_5ELb0ES3_mN6thrust23THRUST_200600_302600_NS6detail15normal_iteratorINSA_10device_ptrIsEEEEPS6_NSA_18transform_iteratorINSB_9not_fun_tI7is_trueIsEEENSC_INSD_IbEEEENSA_11use_defaultESO_EENS0_5tupleIJSF_S6_EEENSQ_IJSG_SG_EEES6_PlJS6_EEE10hipError_tPvRmT3_T4_T5_T6_T7_T9_mT8_P12ihipStream_tbDpT10_ENKUlT_T0_E_clISt17integral_constantIbLb0EES1D_EEDaS18_S19_EUlS18_E_NS1_11comp_targetILNS1_3genE2ELNS1_11target_archE906ELNS1_3gpuE6ELNS1_3repE0EEENS1_30default_config_static_selectorELNS0_4arch9wavefront6targetE0EEEvT1_.num_named_barrier, 0
	.set _ZN7rocprim17ROCPRIM_400000_NS6detail17trampoline_kernelINS0_14default_configENS1_25partition_config_selectorILNS1_17partition_subalgoE5EsNS0_10empty_typeEbEEZZNS1_14partition_implILS5_5ELb0ES3_mN6thrust23THRUST_200600_302600_NS6detail15normal_iteratorINSA_10device_ptrIsEEEEPS6_NSA_18transform_iteratorINSB_9not_fun_tI7is_trueIsEEENSC_INSD_IbEEEENSA_11use_defaultESO_EENS0_5tupleIJSF_S6_EEENSQ_IJSG_SG_EEES6_PlJS6_EEE10hipError_tPvRmT3_T4_T5_T6_T7_T9_mT8_P12ihipStream_tbDpT10_ENKUlT_T0_E_clISt17integral_constantIbLb0EES1D_EEDaS18_S19_EUlS18_E_NS1_11comp_targetILNS1_3genE2ELNS1_11target_archE906ELNS1_3gpuE6ELNS1_3repE0EEENS1_30default_config_static_selectorELNS0_4arch9wavefront6targetE0EEEvT1_.private_seg_size, 0
	.set _ZN7rocprim17ROCPRIM_400000_NS6detail17trampoline_kernelINS0_14default_configENS1_25partition_config_selectorILNS1_17partition_subalgoE5EsNS0_10empty_typeEbEEZZNS1_14partition_implILS5_5ELb0ES3_mN6thrust23THRUST_200600_302600_NS6detail15normal_iteratorINSA_10device_ptrIsEEEEPS6_NSA_18transform_iteratorINSB_9not_fun_tI7is_trueIsEEENSC_INSD_IbEEEENSA_11use_defaultESO_EENS0_5tupleIJSF_S6_EEENSQ_IJSG_SG_EEES6_PlJS6_EEE10hipError_tPvRmT3_T4_T5_T6_T7_T9_mT8_P12ihipStream_tbDpT10_ENKUlT_T0_E_clISt17integral_constantIbLb0EES1D_EEDaS18_S19_EUlS18_E_NS1_11comp_targetILNS1_3genE2ELNS1_11target_archE906ELNS1_3gpuE6ELNS1_3repE0EEENS1_30default_config_static_selectorELNS0_4arch9wavefront6targetE0EEEvT1_.uses_vcc, 0
	.set _ZN7rocprim17ROCPRIM_400000_NS6detail17trampoline_kernelINS0_14default_configENS1_25partition_config_selectorILNS1_17partition_subalgoE5EsNS0_10empty_typeEbEEZZNS1_14partition_implILS5_5ELb0ES3_mN6thrust23THRUST_200600_302600_NS6detail15normal_iteratorINSA_10device_ptrIsEEEEPS6_NSA_18transform_iteratorINSB_9not_fun_tI7is_trueIsEEENSC_INSD_IbEEEENSA_11use_defaultESO_EENS0_5tupleIJSF_S6_EEENSQ_IJSG_SG_EEES6_PlJS6_EEE10hipError_tPvRmT3_T4_T5_T6_T7_T9_mT8_P12ihipStream_tbDpT10_ENKUlT_T0_E_clISt17integral_constantIbLb0EES1D_EEDaS18_S19_EUlS18_E_NS1_11comp_targetILNS1_3genE2ELNS1_11target_archE906ELNS1_3gpuE6ELNS1_3repE0EEENS1_30default_config_static_selectorELNS0_4arch9wavefront6targetE0EEEvT1_.uses_flat_scratch, 0
	.set _ZN7rocprim17ROCPRIM_400000_NS6detail17trampoline_kernelINS0_14default_configENS1_25partition_config_selectorILNS1_17partition_subalgoE5EsNS0_10empty_typeEbEEZZNS1_14partition_implILS5_5ELb0ES3_mN6thrust23THRUST_200600_302600_NS6detail15normal_iteratorINSA_10device_ptrIsEEEEPS6_NSA_18transform_iteratorINSB_9not_fun_tI7is_trueIsEEENSC_INSD_IbEEEENSA_11use_defaultESO_EENS0_5tupleIJSF_S6_EEENSQ_IJSG_SG_EEES6_PlJS6_EEE10hipError_tPvRmT3_T4_T5_T6_T7_T9_mT8_P12ihipStream_tbDpT10_ENKUlT_T0_E_clISt17integral_constantIbLb0EES1D_EEDaS18_S19_EUlS18_E_NS1_11comp_targetILNS1_3genE2ELNS1_11target_archE906ELNS1_3gpuE6ELNS1_3repE0EEENS1_30default_config_static_selectorELNS0_4arch9wavefront6targetE0EEEvT1_.has_dyn_sized_stack, 0
	.set _ZN7rocprim17ROCPRIM_400000_NS6detail17trampoline_kernelINS0_14default_configENS1_25partition_config_selectorILNS1_17partition_subalgoE5EsNS0_10empty_typeEbEEZZNS1_14partition_implILS5_5ELb0ES3_mN6thrust23THRUST_200600_302600_NS6detail15normal_iteratorINSA_10device_ptrIsEEEEPS6_NSA_18transform_iteratorINSB_9not_fun_tI7is_trueIsEEENSC_INSD_IbEEEENSA_11use_defaultESO_EENS0_5tupleIJSF_S6_EEENSQ_IJSG_SG_EEES6_PlJS6_EEE10hipError_tPvRmT3_T4_T5_T6_T7_T9_mT8_P12ihipStream_tbDpT10_ENKUlT_T0_E_clISt17integral_constantIbLb0EES1D_EEDaS18_S19_EUlS18_E_NS1_11comp_targetILNS1_3genE2ELNS1_11target_archE906ELNS1_3gpuE6ELNS1_3repE0EEENS1_30default_config_static_selectorELNS0_4arch9wavefront6targetE0EEEvT1_.has_recursion, 0
	.set _ZN7rocprim17ROCPRIM_400000_NS6detail17trampoline_kernelINS0_14default_configENS1_25partition_config_selectorILNS1_17partition_subalgoE5EsNS0_10empty_typeEbEEZZNS1_14partition_implILS5_5ELb0ES3_mN6thrust23THRUST_200600_302600_NS6detail15normal_iteratorINSA_10device_ptrIsEEEEPS6_NSA_18transform_iteratorINSB_9not_fun_tI7is_trueIsEEENSC_INSD_IbEEEENSA_11use_defaultESO_EENS0_5tupleIJSF_S6_EEENSQ_IJSG_SG_EEES6_PlJS6_EEE10hipError_tPvRmT3_T4_T5_T6_T7_T9_mT8_P12ihipStream_tbDpT10_ENKUlT_T0_E_clISt17integral_constantIbLb0EES1D_EEDaS18_S19_EUlS18_E_NS1_11comp_targetILNS1_3genE2ELNS1_11target_archE906ELNS1_3gpuE6ELNS1_3repE0EEENS1_30default_config_static_selectorELNS0_4arch9wavefront6targetE0EEEvT1_.has_indirect_call, 0
	.section	.AMDGPU.csdata,"",@progbits
; Kernel info:
; codeLenInByte = 0
; TotalNumSgprs: 0
; NumVgprs: 0
; ScratchSize: 0
; MemoryBound: 0
; FloatMode: 240
; IeeeMode: 1
; LDSByteSize: 0 bytes/workgroup (compile time only)
; SGPRBlocks: 0
; VGPRBlocks: 0
; NumSGPRsForWavesPerEU: 1
; NumVGPRsForWavesPerEU: 1
; Occupancy: 16
; WaveLimiterHint : 0
; COMPUTE_PGM_RSRC2:SCRATCH_EN: 0
; COMPUTE_PGM_RSRC2:USER_SGPR: 2
; COMPUTE_PGM_RSRC2:TRAP_HANDLER: 0
; COMPUTE_PGM_RSRC2:TGID_X_EN: 1
; COMPUTE_PGM_RSRC2:TGID_Y_EN: 0
; COMPUTE_PGM_RSRC2:TGID_Z_EN: 0
; COMPUTE_PGM_RSRC2:TIDIG_COMP_CNT: 0
	.section	.text._ZN7rocprim17ROCPRIM_400000_NS6detail17trampoline_kernelINS0_14default_configENS1_25partition_config_selectorILNS1_17partition_subalgoE5EsNS0_10empty_typeEbEEZZNS1_14partition_implILS5_5ELb0ES3_mN6thrust23THRUST_200600_302600_NS6detail15normal_iteratorINSA_10device_ptrIsEEEEPS6_NSA_18transform_iteratorINSB_9not_fun_tI7is_trueIsEEENSC_INSD_IbEEEENSA_11use_defaultESO_EENS0_5tupleIJSF_S6_EEENSQ_IJSG_SG_EEES6_PlJS6_EEE10hipError_tPvRmT3_T4_T5_T6_T7_T9_mT8_P12ihipStream_tbDpT10_ENKUlT_T0_E_clISt17integral_constantIbLb0EES1D_EEDaS18_S19_EUlS18_E_NS1_11comp_targetILNS1_3genE10ELNS1_11target_archE1200ELNS1_3gpuE4ELNS1_3repE0EEENS1_30default_config_static_selectorELNS0_4arch9wavefront6targetE0EEEvT1_,"axG",@progbits,_ZN7rocprim17ROCPRIM_400000_NS6detail17trampoline_kernelINS0_14default_configENS1_25partition_config_selectorILNS1_17partition_subalgoE5EsNS0_10empty_typeEbEEZZNS1_14partition_implILS5_5ELb0ES3_mN6thrust23THRUST_200600_302600_NS6detail15normal_iteratorINSA_10device_ptrIsEEEEPS6_NSA_18transform_iteratorINSB_9not_fun_tI7is_trueIsEEENSC_INSD_IbEEEENSA_11use_defaultESO_EENS0_5tupleIJSF_S6_EEENSQ_IJSG_SG_EEES6_PlJS6_EEE10hipError_tPvRmT3_T4_T5_T6_T7_T9_mT8_P12ihipStream_tbDpT10_ENKUlT_T0_E_clISt17integral_constantIbLb0EES1D_EEDaS18_S19_EUlS18_E_NS1_11comp_targetILNS1_3genE10ELNS1_11target_archE1200ELNS1_3gpuE4ELNS1_3repE0EEENS1_30default_config_static_selectorELNS0_4arch9wavefront6targetE0EEEvT1_,comdat
	.protected	_ZN7rocprim17ROCPRIM_400000_NS6detail17trampoline_kernelINS0_14default_configENS1_25partition_config_selectorILNS1_17partition_subalgoE5EsNS0_10empty_typeEbEEZZNS1_14partition_implILS5_5ELb0ES3_mN6thrust23THRUST_200600_302600_NS6detail15normal_iteratorINSA_10device_ptrIsEEEEPS6_NSA_18transform_iteratorINSB_9not_fun_tI7is_trueIsEEENSC_INSD_IbEEEENSA_11use_defaultESO_EENS0_5tupleIJSF_S6_EEENSQ_IJSG_SG_EEES6_PlJS6_EEE10hipError_tPvRmT3_T4_T5_T6_T7_T9_mT8_P12ihipStream_tbDpT10_ENKUlT_T0_E_clISt17integral_constantIbLb0EES1D_EEDaS18_S19_EUlS18_E_NS1_11comp_targetILNS1_3genE10ELNS1_11target_archE1200ELNS1_3gpuE4ELNS1_3repE0EEENS1_30default_config_static_selectorELNS0_4arch9wavefront6targetE0EEEvT1_ ; -- Begin function _ZN7rocprim17ROCPRIM_400000_NS6detail17trampoline_kernelINS0_14default_configENS1_25partition_config_selectorILNS1_17partition_subalgoE5EsNS0_10empty_typeEbEEZZNS1_14partition_implILS5_5ELb0ES3_mN6thrust23THRUST_200600_302600_NS6detail15normal_iteratorINSA_10device_ptrIsEEEEPS6_NSA_18transform_iteratorINSB_9not_fun_tI7is_trueIsEEENSC_INSD_IbEEEENSA_11use_defaultESO_EENS0_5tupleIJSF_S6_EEENSQ_IJSG_SG_EEES6_PlJS6_EEE10hipError_tPvRmT3_T4_T5_T6_T7_T9_mT8_P12ihipStream_tbDpT10_ENKUlT_T0_E_clISt17integral_constantIbLb0EES1D_EEDaS18_S19_EUlS18_E_NS1_11comp_targetILNS1_3genE10ELNS1_11target_archE1200ELNS1_3gpuE4ELNS1_3repE0EEENS1_30default_config_static_selectorELNS0_4arch9wavefront6targetE0EEEvT1_
	.globl	_ZN7rocprim17ROCPRIM_400000_NS6detail17trampoline_kernelINS0_14default_configENS1_25partition_config_selectorILNS1_17partition_subalgoE5EsNS0_10empty_typeEbEEZZNS1_14partition_implILS5_5ELb0ES3_mN6thrust23THRUST_200600_302600_NS6detail15normal_iteratorINSA_10device_ptrIsEEEEPS6_NSA_18transform_iteratorINSB_9not_fun_tI7is_trueIsEEENSC_INSD_IbEEEENSA_11use_defaultESO_EENS0_5tupleIJSF_S6_EEENSQ_IJSG_SG_EEES6_PlJS6_EEE10hipError_tPvRmT3_T4_T5_T6_T7_T9_mT8_P12ihipStream_tbDpT10_ENKUlT_T0_E_clISt17integral_constantIbLb0EES1D_EEDaS18_S19_EUlS18_E_NS1_11comp_targetILNS1_3genE10ELNS1_11target_archE1200ELNS1_3gpuE4ELNS1_3repE0EEENS1_30default_config_static_selectorELNS0_4arch9wavefront6targetE0EEEvT1_
	.p2align	8
	.type	_ZN7rocprim17ROCPRIM_400000_NS6detail17trampoline_kernelINS0_14default_configENS1_25partition_config_selectorILNS1_17partition_subalgoE5EsNS0_10empty_typeEbEEZZNS1_14partition_implILS5_5ELb0ES3_mN6thrust23THRUST_200600_302600_NS6detail15normal_iteratorINSA_10device_ptrIsEEEEPS6_NSA_18transform_iteratorINSB_9not_fun_tI7is_trueIsEEENSC_INSD_IbEEEENSA_11use_defaultESO_EENS0_5tupleIJSF_S6_EEENSQ_IJSG_SG_EEES6_PlJS6_EEE10hipError_tPvRmT3_T4_T5_T6_T7_T9_mT8_P12ihipStream_tbDpT10_ENKUlT_T0_E_clISt17integral_constantIbLb0EES1D_EEDaS18_S19_EUlS18_E_NS1_11comp_targetILNS1_3genE10ELNS1_11target_archE1200ELNS1_3gpuE4ELNS1_3repE0EEENS1_30default_config_static_selectorELNS0_4arch9wavefront6targetE0EEEvT1_,@function
_ZN7rocprim17ROCPRIM_400000_NS6detail17trampoline_kernelINS0_14default_configENS1_25partition_config_selectorILNS1_17partition_subalgoE5EsNS0_10empty_typeEbEEZZNS1_14partition_implILS5_5ELb0ES3_mN6thrust23THRUST_200600_302600_NS6detail15normal_iteratorINSA_10device_ptrIsEEEEPS6_NSA_18transform_iteratorINSB_9not_fun_tI7is_trueIsEEENSC_INSD_IbEEEENSA_11use_defaultESO_EENS0_5tupleIJSF_S6_EEENSQ_IJSG_SG_EEES6_PlJS6_EEE10hipError_tPvRmT3_T4_T5_T6_T7_T9_mT8_P12ihipStream_tbDpT10_ENKUlT_T0_E_clISt17integral_constantIbLb0EES1D_EEDaS18_S19_EUlS18_E_NS1_11comp_targetILNS1_3genE10ELNS1_11target_archE1200ELNS1_3gpuE4ELNS1_3repE0EEENS1_30default_config_static_selectorELNS0_4arch9wavefront6targetE0EEEvT1_: ; @_ZN7rocprim17ROCPRIM_400000_NS6detail17trampoline_kernelINS0_14default_configENS1_25partition_config_selectorILNS1_17partition_subalgoE5EsNS0_10empty_typeEbEEZZNS1_14partition_implILS5_5ELb0ES3_mN6thrust23THRUST_200600_302600_NS6detail15normal_iteratorINSA_10device_ptrIsEEEEPS6_NSA_18transform_iteratorINSB_9not_fun_tI7is_trueIsEEENSC_INSD_IbEEEENSA_11use_defaultESO_EENS0_5tupleIJSF_S6_EEENSQ_IJSG_SG_EEES6_PlJS6_EEE10hipError_tPvRmT3_T4_T5_T6_T7_T9_mT8_P12ihipStream_tbDpT10_ENKUlT_T0_E_clISt17integral_constantIbLb0EES1D_EEDaS18_S19_EUlS18_E_NS1_11comp_targetILNS1_3genE10ELNS1_11target_archE1200ELNS1_3gpuE4ELNS1_3repE0EEENS1_30default_config_static_selectorELNS0_4arch9wavefront6targetE0EEEvT1_
; %bb.0:
	s_clause 0x3
	s_load_b128 s[4:7], s[0:1], 0x8
	s_load_b128 s[8:11], s[0:1], 0x48
	s_load_b32 s16, s[0:1], 0x70
	s_load_b64 s[2:3], s[0:1], 0x58
	s_mov_b32 s13, 0
	s_mul_i32 s19, ttmp9, 0xc00
	v_lshlrev_b32_e32 v9, 1, v0
	s_wait_kmcnt 0x0
	s_lshl_b64 s[14:15], s[6:7], 1
	s_load_b64 s[10:11], s[10:11], 0x0
	s_mul_i32 s12, s16, 0xc00
	s_add_co_i32 s20, s16, -1
	s_add_co_i32 s18, s12, s6
	s_add_nc_u64 s[16:17], s[6:7], s[12:13]
	s_sub_co_i32 s18, s2, s18
	v_cmp_le_u64_e64 s2, s[2:3], s[16:17]
	s_addk_co_i32 s18, 0xc00
	s_cmp_eq_u32 ttmp9, s20
	s_mov_b32 s12, s19
	s_cselect_b32 s16, -1, 0
	s_add_nc_u64 s[4:5], s[4:5], s[14:15]
	s_wait_alu 0xfffe
	s_and_b32 s2, s16, s2
	s_lshl_b64 s[14:15], s[12:13], 1
	s_wait_alu 0xfffe
	s_xor_b32 s17, s2, -1
	s_mov_b32 s3, -1
	s_wait_alu 0xfffe
	s_and_b32 vcc_lo, exec_lo, s17
	s_add_nc_u64 s[4:5], s[4:5], s[14:15]
	s_cbranch_vccz .LBB2562_2
; %bb.1:
	v_add_co_u32 v1, s2, s4, v9
	s_wait_alu 0xf1ff
	v_add_co_ci_u32_e64 v2, null, s5, 0, s2
	s_mov_b32 s3, s13
	s_clause 0xb
	flat_load_u16 v3, v[1:2]
	flat_load_u16 v4, v[1:2] offset:512
	flat_load_u16 v5, v[1:2] offset:1024
	;; [unrolled: 1-line block ×11, first 2 shown]
	s_wait_loadcnt_dscnt 0xb0b
	ds_store_b16 v9, v3
	s_wait_loadcnt_dscnt 0xa0b
	ds_store_b16 v9, v4 offset:512
	s_wait_loadcnt_dscnt 0x90b
	ds_store_b16 v9, v5 offset:1024
	;; [unrolled: 2-line block ×11, first 2 shown]
	s_wait_dscnt 0x0
	s_barrier_signal -1
	s_barrier_wait -1
.LBB2562_2:
	s_load_b64 s[14:15], s[0:1], 0x20
	v_cmp_gt_u32_e64 s2, s18, v0
	s_and_not1_b32 vcc_lo, exec_lo, s3
	s_cbranch_vccnz .LBB2562_28
; %bb.3:
	v_mov_b32_e32 v1, 0
	s_delay_alu instid0(VALU_DEP_1)
	v_dual_mov_b32 v2, v1 :: v_dual_mov_b32 v3, v1
	v_dual_mov_b32 v4, v1 :: v_dual_mov_b32 v5, v1
	v_mov_b32_e32 v6, v1
	s_and_saveexec_b32 s3, s2
	s_cbranch_execz .LBB2562_5
; %bb.4:
	v_add_co_u32 v3, s2, s4, v9
	s_wait_alu 0xf1ff
	v_add_co_ci_u32_e64 v4, null, s5, 0, s2
	v_mov_b32_e32 v2, v1
	v_dual_mov_b32 v6, v1 :: v_dual_mov_b32 v7, v1
	v_mov_b32_e32 v5, v1
	flat_load_d16_b16 v2, v[3:4]
	v_dual_mov_b32 v3, v1 :: v_dual_mov_b32 v4, v1
	s_wait_loadcnt_dscnt 0x0
	v_mov_b32_e32 v1, v2
	s_delay_alu instid0(VALU_DEP_2) | instskip(NEXT) | instid1(VALU_DEP_3)
	v_mov_b32_e32 v2, v3
	v_mov_b32_e32 v3, v4
	;; [unrolled: 1-line block ×7, first 2 shown]
.LBB2562_5:
	s_wait_alu 0xfffe
	s_or_b32 exec_lo, exec_lo, s3
	v_or_b32_e32 v7, 0x100, v0
	s_mov_b32 s2, exec_lo
	s_delay_alu instid0(VALU_DEP_1)
	v_cmpx_gt_u32_e64 s18, v7
	s_cbranch_execz .LBB2562_7
; %bb.6:
	v_add_co_u32 v7, s3, s4, v9
	s_wait_alu 0xf1ff
	v_add_co_ci_u32_e64 v8, null, s5, 0, s3
	flat_load_d16_hi_b16 v1, v[7:8] offset:512
.LBB2562_7:
	s_wait_alu 0xfffe
	s_or_b32 exec_lo, exec_lo, s2
	v_or_b32_e32 v7, 0x200, v0
	s_mov_b32 s2, exec_lo
	s_delay_alu instid0(VALU_DEP_1)
	v_cmpx_gt_u32_e64 s18, v7
	s_cbranch_execz .LBB2562_9
; %bb.8:
	v_add_co_u32 v7, s3, s4, v9
	s_wait_alu 0xf1ff
	v_add_co_ci_u32_e64 v8, null, s5, 0, s3
	flat_load_d16_b16 v2, v[7:8] offset:1024
.LBB2562_9:
	s_wait_alu 0xfffe
	s_or_b32 exec_lo, exec_lo, s2
	v_or_b32_e32 v7, 0x300, v0
	s_mov_b32 s2, exec_lo
	s_delay_alu instid0(VALU_DEP_1)
	v_cmpx_gt_u32_e64 s18, v7
	s_cbranch_execz .LBB2562_11
; %bb.10:
	v_add_co_u32 v7, s3, s4, v9
	s_wait_alu 0xf1ff
	v_add_co_ci_u32_e64 v8, null, s5, 0, s3
	s_wait_loadcnt_dscnt 0x0
	flat_load_d16_hi_b16 v2, v[7:8] offset:1536
.LBB2562_11:
	s_wait_alu 0xfffe
	s_or_b32 exec_lo, exec_lo, s2
	v_or_b32_e32 v7, 0x400, v0
	s_mov_b32 s2, exec_lo
	s_delay_alu instid0(VALU_DEP_1)
	v_cmpx_gt_u32_e64 s18, v7
	s_cbranch_execz .LBB2562_13
; %bb.12:
	v_add_co_u32 v7, s3, s4, v9
	s_wait_alu 0xf1ff
	v_add_co_ci_u32_e64 v8, null, s5, 0, s3
	flat_load_d16_b16 v3, v[7:8] offset:2048
.LBB2562_13:
	s_wait_alu 0xfffe
	s_or_b32 exec_lo, exec_lo, s2
	v_or_b32_e32 v7, 0x500, v0
	s_mov_b32 s2, exec_lo
	s_delay_alu instid0(VALU_DEP_1)
	v_cmpx_gt_u32_e64 s18, v7
	s_cbranch_execz .LBB2562_15
; %bb.14:
	v_add_co_u32 v7, s3, s4, v9
	s_wait_alu 0xf1ff
	v_add_co_ci_u32_e64 v8, null, s5, 0, s3
	s_wait_loadcnt_dscnt 0x0
	flat_load_d16_hi_b16 v3, v[7:8] offset:2560
.LBB2562_15:
	;; [unrolled: 27-line block ×5, first 2 shown]
	s_wait_alu 0xfffe
	s_or_b32 exec_lo, exec_lo, s2
	s_wait_loadcnt_dscnt 0x0
	ds_store_b16 v9, v1
	ds_store_b16_d16_hi v9, v1 offset:512
	ds_store_b16 v9, v2 offset:1024
	ds_store_b16_d16_hi v9, v2 offset:1536
	ds_store_b16 v9, v3 offset:2048
	;; [unrolled: 2-line block ×5, first 2 shown]
	ds_store_b16_d16_hi v9, v6 offset:5632
	s_wait_dscnt 0x0
	s_barrier_signal -1
	s_barrier_wait -1
.LBB2562_28:
	v_mul_u32_u24_e32 v51, 12, v0
	global_inv scope:SCOPE_SE
	s_wait_kmcnt 0x0
	s_add_nc_u64 s[2:3], s[14:15], s[6:7]
	s_and_b32 vcc_lo, exec_lo, s17
	s_wait_alu 0xfffe
	s_add_nc_u64 s[2:3], s[2:3], s[12:13]
	v_lshlrev_b32_e32 v1, 1, v51
	s_mov_b32 s4, -1
	ds_load_2addr_b64 v[33:36], v1 offset1:1
	ds_load_b64 v[41:42], v1 offset:16
	s_wait_loadcnt_dscnt 0x0
	s_barrier_signal -1
	s_barrier_wait -1
	global_inv scope:SCOPE_SE
	s_cbranch_vccz .LBB2562_30
; %bb.29:
	s_clause 0xb
	global_load_u8 v1, v0, s[2:3]
	global_load_u8 v2, v0, s[2:3] offset:256
	global_load_u8 v3, v0, s[2:3] offset:512
	;; [unrolled: 1-line block ×11, first 2 shown]
	s_mov_b32 s4, 0
	s_wait_loadcnt 0xb
	v_xor_b32_e32 v1, 1, v1
	s_wait_loadcnt 0xa
	v_xor_b32_e32 v2, 1, v2
	;; [unrolled: 2-line block ×12, first 2 shown]
	ds_store_b8 v0, v1
	ds_store_b8 v0, v2 offset:256
	ds_store_b8 v0, v3 offset:512
	;; [unrolled: 1-line block ×11, first 2 shown]
	s_wait_dscnt 0x0
	s_barrier_signal -1
	s_barrier_wait -1
.LBB2562_30:
	s_wait_alu 0xfffe
	s_and_not1_b32 vcc_lo, exec_lo, s4
	s_cbranch_vccnz .LBB2562_56
; %bb.31:
	v_mov_b32_e32 v3, 0
	s_mov_b32 s4, exec_lo
	s_delay_alu instid0(VALU_DEP_1)
	v_dual_mov_b32 v1, v3 :: v_dual_mov_b32 v2, v3
	v_mov_b32_e32 v4, v3
	v_cmpx_gt_u32_e64 s18, v0
	s_cbranch_execz .LBB2562_33
; %bb.32:
	global_load_u8 v1, v0, s[2:3]
	s_wait_loadcnt 0x0
	v_xor_b32_e32 v4, 1, v1
	s_delay_alu instid0(VALU_DEP_1) | instskip(NEXT) | instid1(VALU_DEP_1)
	v_dual_mov_b32 v1, 0 :: v_dual_and_b32 v2, 1, v4
	v_dual_mov_b32 v2, v1 :: v_dual_and_b32 v3, 0xffff, v2
.LBB2562_33:
	s_wait_alu 0xfffe
	s_or_b32 exec_lo, exec_lo, s4
	v_or_b32_e32 v5, 0x100, v0
	s_mov_b32 s4, exec_lo
	s_delay_alu instid0(VALU_DEP_1)
	v_cmpx_gt_u32_e64 s18, v5
	s_cbranch_execz .LBB2562_35
; %bb.34:
	global_load_u8 v5, v0, s[2:3] offset:256
	v_and_b32_e32 v6, 0xff, v3
	s_wait_loadcnt 0x0
	v_xor_b32_e32 v5, 1, v5
	s_delay_alu instid0(VALU_DEP_1) | instskip(NEXT) | instid1(VALU_DEP_1)
	v_lshlrev_b16 v5, 8, v5
	v_or_b32_e32 v5, v6, v5
	s_delay_alu instid0(VALU_DEP_1) | instskip(NEXT) | instid1(VALU_DEP_1)
	v_and_b32_e32 v5, 0xffff, v5
	v_and_or_b32 v3, 0xffff0000, v3, v5
.LBB2562_35:
	s_wait_alu 0xfffe
	s_or_b32 exec_lo, exec_lo, s4
	v_or_b32_e32 v5, 0x200, v0
	s_mov_b32 s4, exec_lo
	s_delay_alu instid0(VALU_DEP_1)
	v_cmpx_gt_u32_e64 s18, v5
	s_cbranch_execz .LBB2562_37
; %bb.36:
	global_load_u8 v5, v0, s[2:3] offset:512
	v_lshrrev_b32_e32 v6, 16, v3
	s_delay_alu instid0(VALU_DEP_1) | instskip(SKIP_2) | instid1(VALU_DEP_1)
	v_and_b32_e32 v6, 0xffffff00, v6
	s_wait_loadcnt 0x0
	v_xor_b32_e32 v5, 1, v5
	v_or_b32_e32 v5, v5, v6
	s_delay_alu instid0(VALU_DEP_1) | instskip(NEXT) | instid1(VALU_DEP_1)
	v_lshlrev_b32_e32 v5, 16, v5
	v_and_or_b32 v3, 0xffff, v3, v5
.LBB2562_37:
	s_wait_alu 0xfffe
	s_or_b32 exec_lo, exec_lo, s4
	v_or_b32_e32 v5, 0x300, v0
	s_mov_b32 s4, exec_lo
	s_delay_alu instid0(VALU_DEP_1)
	v_cmpx_gt_u32_e64 s18, v5
	s_cbranch_execz .LBB2562_39
; %bb.38:
	global_load_u8 v5, v0, s[2:3] offset:768
	v_lshrrev_b32_e32 v6, 16, v3
	s_delay_alu instid0(VALU_DEP_1) | instskip(SKIP_2) | instid1(VALU_DEP_1)
	v_and_b32_e32 v6, 0xff, v6
	s_wait_loadcnt 0x0
	v_xor_b32_e32 v5, 1, v5
	v_lshlrev_b16 v5, 8, v5
	s_delay_alu instid0(VALU_DEP_1) | instskip(NEXT) | instid1(VALU_DEP_1)
	v_or_b32_e32 v5, v6, v5
	v_lshlrev_b32_e32 v5, 16, v5
	s_delay_alu instid0(VALU_DEP_1)
	v_and_or_b32 v3, 0xffff, v3, v5
.LBB2562_39:
	s_wait_alu 0xfffe
	s_or_b32 exec_lo, exec_lo, s4
	v_or_b32_e32 v5, 0x400, v0
	s_mov_b32 s4, exec_lo
	s_delay_alu instid0(VALU_DEP_1)
	v_cmpx_gt_u32_e64 s18, v5
	s_cbranch_execz .LBB2562_41
; %bb.40:
	global_load_u8 v5, v0, s[2:3] offset:1024
	v_and_b32_e32 v6, 0xffffff00, v1
	s_wait_loadcnt 0x0
	v_xor_b32_e32 v5, 1, v5
	s_delay_alu instid0(VALU_DEP_1) | instskip(NEXT) | instid1(VALU_DEP_1)
	v_or_b32_e32 v5, v5, v6
	v_and_b32_e32 v5, 0xffff, v5
	s_delay_alu instid0(VALU_DEP_1)
	v_and_or_b32 v1, 0xffff0000, v1, v5
.LBB2562_41:
	s_wait_alu 0xfffe
	s_or_b32 exec_lo, exec_lo, s4
	v_or_b32_e32 v5, 0x500, v0
	s_mov_b32 s4, exec_lo
	s_delay_alu instid0(VALU_DEP_1)
	v_cmpx_gt_u32_e64 s18, v5
	s_cbranch_execz .LBB2562_43
; %bb.42:
	global_load_u8 v5, v0, s[2:3] offset:1280
	v_and_b32_e32 v6, 0xff, v1
	s_wait_loadcnt 0x0
	v_xor_b32_e32 v5, 1, v5
	s_delay_alu instid0(VALU_DEP_1) | instskip(NEXT) | instid1(VALU_DEP_1)
	v_lshlrev_b16 v5, 8, v5
	v_or_b32_e32 v5, v6, v5
	s_delay_alu instid0(VALU_DEP_1) | instskip(NEXT) | instid1(VALU_DEP_1)
	v_and_b32_e32 v5, 0xffff, v5
	v_and_or_b32 v1, 0xffff0000, v1, v5
.LBB2562_43:
	s_wait_alu 0xfffe
	s_or_b32 exec_lo, exec_lo, s4
	v_or_b32_e32 v5, 0x600, v0
	s_mov_b32 s4, exec_lo
	s_delay_alu instid0(VALU_DEP_1)
	v_cmpx_gt_u32_e64 s18, v5
	s_cbranch_execz .LBB2562_45
; %bb.44:
	global_load_u8 v5, v0, s[2:3] offset:1536
	v_lshrrev_b32_e32 v6, 16, v1
	s_delay_alu instid0(VALU_DEP_1) | instskip(SKIP_2) | instid1(VALU_DEP_1)
	v_and_b32_e32 v6, 0xffffff00, v6
	s_wait_loadcnt 0x0
	v_xor_b32_e32 v5, 1, v5
	v_or_b32_e32 v5, v5, v6
	s_delay_alu instid0(VALU_DEP_1) | instskip(NEXT) | instid1(VALU_DEP_1)
	v_lshlrev_b32_e32 v5, 16, v5
	v_and_or_b32 v1, 0xffff, v1, v5
.LBB2562_45:
	s_wait_alu 0xfffe
	s_or_b32 exec_lo, exec_lo, s4
	v_or_b32_e32 v5, 0x700, v0
	s_mov_b32 s4, exec_lo
	s_delay_alu instid0(VALU_DEP_1)
	v_cmpx_gt_u32_e64 s18, v5
	s_cbranch_execz .LBB2562_47
; %bb.46:
	global_load_u8 v5, v0, s[2:3] offset:1792
	v_lshrrev_b32_e32 v6, 16, v1
	s_delay_alu instid0(VALU_DEP_1) | instskip(SKIP_2) | instid1(VALU_DEP_1)
	v_and_b32_e32 v6, 0xff, v6
	s_wait_loadcnt 0x0
	v_xor_b32_e32 v5, 1, v5
	v_lshlrev_b16 v5, 8, v5
	s_delay_alu instid0(VALU_DEP_1) | instskip(NEXT) | instid1(VALU_DEP_1)
	v_or_b32_e32 v5, v6, v5
	v_lshlrev_b32_e32 v5, 16, v5
	s_delay_alu instid0(VALU_DEP_1)
	v_and_or_b32 v1, 0xffff, v1, v5
.LBB2562_47:
	s_wait_alu 0xfffe
	s_or_b32 exec_lo, exec_lo, s4
	v_or_b32_e32 v5, 0x800, v0
	s_mov_b32 s4, exec_lo
	s_delay_alu instid0(VALU_DEP_1)
	v_cmpx_gt_u32_e64 s18, v5
	s_cbranch_execz .LBB2562_49
; %bb.48:
	global_load_u8 v5, v0, s[2:3] offset:2048
	v_and_b32_e32 v6, 0xffffff00, v2
	s_wait_loadcnt 0x0
	v_xor_b32_e32 v5, 1, v5
	s_delay_alu instid0(VALU_DEP_1) | instskip(NEXT) | instid1(VALU_DEP_1)
	v_or_b32_e32 v5, v5, v6
	v_and_b32_e32 v5, 0xffff, v5
	s_delay_alu instid0(VALU_DEP_1)
	v_and_or_b32 v2, 0xffff0000, v2, v5
.LBB2562_49:
	s_wait_alu 0xfffe
	s_or_b32 exec_lo, exec_lo, s4
	v_or_b32_e32 v5, 0x900, v0
	s_mov_b32 s4, exec_lo
	s_delay_alu instid0(VALU_DEP_1)
	v_cmpx_gt_u32_e64 s18, v5
	s_cbranch_execz .LBB2562_51
; %bb.50:
	global_load_u8 v5, v0, s[2:3] offset:2304
	v_and_b32_e32 v6, 0xff, v2
	s_wait_loadcnt 0x0
	v_xor_b32_e32 v5, 1, v5
	s_delay_alu instid0(VALU_DEP_1) | instskip(NEXT) | instid1(VALU_DEP_1)
	v_lshlrev_b16 v5, 8, v5
	v_or_b32_e32 v5, v6, v5
	s_delay_alu instid0(VALU_DEP_1) | instskip(NEXT) | instid1(VALU_DEP_1)
	v_and_b32_e32 v5, 0xffff, v5
	v_and_or_b32 v2, 0xffff0000, v2, v5
.LBB2562_51:
	s_wait_alu 0xfffe
	s_or_b32 exec_lo, exec_lo, s4
	v_or_b32_e32 v5, 0xa00, v0
	s_mov_b32 s4, exec_lo
	s_delay_alu instid0(VALU_DEP_1)
	v_cmpx_gt_u32_e64 s18, v5
	s_cbranch_execz .LBB2562_53
; %bb.52:
	global_load_u8 v5, v0, s[2:3] offset:2560
	v_lshrrev_b32_e32 v6, 16, v2
	s_delay_alu instid0(VALU_DEP_1) | instskip(SKIP_2) | instid1(VALU_DEP_1)
	v_and_b32_e32 v6, 0xffffff00, v6
	s_wait_loadcnt 0x0
	v_xor_b32_e32 v5, 1, v5
	v_or_b32_e32 v5, v5, v6
	s_delay_alu instid0(VALU_DEP_1) | instskip(NEXT) | instid1(VALU_DEP_1)
	v_lshlrev_b32_e32 v5, 16, v5
	v_and_or_b32 v2, 0xffff, v2, v5
.LBB2562_53:
	s_wait_alu 0xfffe
	s_or_b32 exec_lo, exec_lo, s4
	v_or_b32_e32 v5, 0xb00, v0
	s_mov_b32 s4, exec_lo
	s_delay_alu instid0(VALU_DEP_1)
	v_cmpx_gt_u32_e64 s18, v5
	s_cbranch_execz .LBB2562_55
; %bb.54:
	global_load_u8 v5, v0, s[2:3] offset:2816
	v_lshrrev_b32_e32 v6, 16, v2
	s_delay_alu instid0(VALU_DEP_1) | instskip(SKIP_2) | instid1(VALU_DEP_1)
	v_and_b32_e32 v6, 0xff, v6
	s_wait_loadcnt 0x0
	v_xor_b32_e32 v5, 1, v5
	v_lshlrev_b16 v5, 8, v5
	s_delay_alu instid0(VALU_DEP_1) | instskip(NEXT) | instid1(VALU_DEP_1)
	v_or_b32_e32 v5, v6, v5
	v_lshlrev_b32_e32 v5, 16, v5
	s_delay_alu instid0(VALU_DEP_1)
	v_and_or_b32 v2, 0xffff, v2, v5
.LBB2562_55:
	s_wait_alu 0xfffe
	s_or_b32 exec_lo, exec_lo, s4
	v_lshrrev_b32_e32 v5, 8, v3
	v_lshrrev_b32_e32 v6, 24, v3
	;; [unrolled: 1-line block ×6, first 2 shown]
	ds_store_b8 v0, v4
	ds_store_b8 v0, v5 offset:256
	ds_store_b8_d16_hi v0, v3 offset:512
	ds_store_b8 v0, v6 offset:768
	ds_store_b8 v0, v1 offset:1024
	;; [unrolled: 1-line block ×3, first 2 shown]
	ds_store_b8_d16_hi v0, v1 offset:1536
	ds_store_b8 v0, v8 offset:1792
	ds_store_b8 v0, v2 offset:2048
	;; [unrolled: 1-line block ×3, first 2 shown]
	ds_store_b8_d16_hi v0, v2 offset:2560
	ds_store_b8 v0, v10 offset:2816
	s_wait_loadcnt_dscnt 0x0
	s_barrier_signal -1
	s_barrier_wait -1
.LBB2562_56:
	s_wait_loadcnt 0x0
	global_inv scope:SCOPE_SE
	ds_load_2addr_b32 v[43:44], v51 offset1:1
	ds_load_b32 v47, v51 offset:8
	s_load_b64 s[6:7], s[0:1], 0x68
	v_mbcnt_lo_u32_b32 v61, -1, 0
	s_cmp_lg_u32 ttmp9, 0
	s_mov_b32 s3, -1
	s_wait_loadcnt_dscnt 0x0
	s_barrier_signal -1
	v_and_b32_e32 v62, 15, v61
	s_barrier_wait -1
	global_inv scope:SCOPE_SE
	v_dual_mov_b32 v2, 0 :: v_dual_and_b32 v53, 0xff, v43
	v_bfe_u32 v54, v43, 8, 8
	v_bfe_u32 v52, v43, 16, 8
	v_lshrrev_b32_e32 v50, 24, v43
	v_and_b32_e32 v56, 0xff, v44
	v_bfe_u32 v57, v44, 8, 8
	v_bfe_u32 v58, v44, 16, 8
	v_add3_u32 v1, v54, v53, v52
	v_lshrrev_b32_e32 v49, 24, v44
	v_and_b32_e32 v59, 0xff, v47
	v_bfe_u32 v60, v47, 8, 8
	v_bfe_u32 v55, v47, 16, 8
	v_add_co_u32 v1, s2, v1, v50
	s_wait_alu 0xf1ff
	v_add_co_ci_u32_e64 v3, null, 0, 0, s2
	v_lshrrev_b32_e32 v48, 24, v47
	s_delay_alu instid0(VALU_DEP_3) | instskip(NEXT) | instid1(VALU_DEP_1)
	v_add_co_u32 v1, vcc_lo, v1, v56
	v_add_co_ci_u32_e64 v3, null, 0, v3, vcc_lo
	v_cmp_ne_u32_e64 s2, 0, v62
	s_delay_alu instid0(VALU_DEP_3) | instskip(SKIP_1) | instid1(VALU_DEP_3)
	v_add_co_u32 v1, vcc_lo, v1, v57
	s_wait_alu 0xfffd
	v_add_co_ci_u32_e64 v3, null, 0, v3, vcc_lo
	s_delay_alu instid0(VALU_DEP_2) | instskip(SKIP_1) | instid1(VALU_DEP_2)
	v_add_co_u32 v1, vcc_lo, v1, v58
	s_wait_alu 0xfffd
	v_add_co_ci_u32_e64 v3, null, 0, v3, vcc_lo
	s_delay_alu instid0(VALU_DEP_2) | instskip(SKIP_1) | instid1(VALU_DEP_2)
	;; [unrolled: 4-line block ×6, first 2 shown]
	v_add_co_u32 v45, vcc_lo, v1, v48
	s_wait_alu 0xfffd
	v_add_co_ci_u32_e64 v46, null, 0, v3, vcc_lo
	s_cbranch_scc0 .LBB2562_113
; %bb.57:
	v_mov_b32_e32 v3, v45
	v_mov_b32_dpp v1, v45 row_shr:1 row_mask:0xf bank_mask:0xf
	v_mov_b32_dpp v6, v2 row_shr:1 row_mask:0xf bank_mask:0xf
	v_dual_mov_b32 v5, v45 :: v_dual_mov_b32 v4, v46
	s_and_saveexec_b32 s3, s2
; %bb.58:
	s_delay_alu instid0(VALU_DEP_3) | instskip(SKIP_2) | instid1(VALU_DEP_2)
	v_add_co_u32 v5, vcc_lo, v45, v1
	s_wait_alu 0xfffd
	v_add_co_ci_u32_e64 v2, null, 0, v46, vcc_lo
	v_add_co_u32 v1, vcc_lo, 0, v5
	s_wait_alu 0xfffd
	s_delay_alu instid0(VALU_DEP_2) | instskip(NEXT) | instid1(VALU_DEP_1)
	v_add_co_ci_u32_e64 v2, null, v6, v2, vcc_lo
	v_dual_mov_b32 v4, v2 :: v_dual_mov_b32 v3, v1
; %bb.59:
	s_wait_alu 0xfffe
	s_or_b32 exec_lo, exec_lo, s3
	v_mov_b32_dpp v1, v5 row_shr:2 row_mask:0xf bank_mask:0xf
	v_mov_b32_dpp v6, v2 row_shr:2 row_mask:0xf bank_mask:0xf
	s_mov_b32 s3, exec_lo
	v_cmpx_lt_u32_e32 1, v62
; %bb.60:
	s_delay_alu instid0(VALU_DEP_3) | instskip(SKIP_2) | instid1(VALU_DEP_2)
	v_add_co_u32 v5, vcc_lo, v3, v1
	s_wait_alu 0xfffd
	v_add_co_ci_u32_e64 v2, null, 0, v4, vcc_lo
	v_add_co_u32 v1, vcc_lo, 0, v5
	s_wait_alu 0xfffd
	s_delay_alu instid0(VALU_DEP_2) | instskip(NEXT) | instid1(VALU_DEP_1)
	v_add_co_ci_u32_e64 v2, null, v6, v2, vcc_lo
	v_dual_mov_b32 v4, v2 :: v_dual_mov_b32 v3, v1
; %bb.61:
	s_wait_alu 0xfffe
	s_or_b32 exec_lo, exec_lo, s3
	v_mov_b32_dpp v1, v5 row_shr:4 row_mask:0xf bank_mask:0xf
	v_mov_b32_dpp v6, v2 row_shr:4 row_mask:0xf bank_mask:0xf
	s_mov_b32 s3, exec_lo
	v_cmpx_lt_u32_e32 3, v62
	;; [unrolled: 17-line block ×3, first 2 shown]
; %bb.64:
	s_delay_alu instid0(VALU_DEP_3) | instskip(SKIP_2) | instid1(VALU_DEP_2)
	v_add_co_u32 v5, vcc_lo, v3, v6
	s_wait_alu 0xfffd
	v_add_co_ci_u32_e64 v2, null, 0, v4, vcc_lo
	v_add_co_u32 v3, vcc_lo, 0, v5
	s_wait_alu 0xfffd
	s_delay_alu instid0(VALU_DEP_2) | instskip(NEXT) | instid1(VALU_DEP_1)
	v_add_co_ci_u32_e64 v4, null, v1, v2, vcc_lo
	v_mov_b32_e32 v2, v4
; %bb.65:
	s_wait_alu 0xfffe
	s_or_b32 exec_lo, exec_lo, s3
	ds_swizzle_b32 v1, v5 offset:swizzle(BROADCAST,32,15)
	ds_swizzle_b32 v6, v2 offset:swizzle(BROADCAST,32,15)
	v_and_b32_e32 v7, 16, v61
	s_mov_b32 s3, exec_lo
	s_delay_alu instid0(VALU_DEP_1)
	v_cmpx_ne_u32_e32 0, v7
	s_cbranch_execz .LBB2562_67
; %bb.66:
	s_wait_dscnt 0x1
	v_add_co_u32 v5, vcc_lo, v3, v1
	s_wait_alu 0xfffd
	v_add_co_ci_u32_e64 v2, null, 0, v4, vcc_lo
	s_delay_alu instid0(VALU_DEP_2) | instskip(SKIP_2) | instid1(VALU_DEP_2)
	v_add_co_u32 v1, vcc_lo, 0, v5
	s_wait_dscnt 0x0
	s_wait_alu 0xfffd
	v_add_co_ci_u32_e64 v2, null, v6, v2, vcc_lo
	s_delay_alu instid0(VALU_DEP_1)
	v_dual_mov_b32 v4, v2 :: v_dual_mov_b32 v3, v1
.LBB2562_67:
	s_wait_alu 0xfffe
	s_or_b32 exec_lo, exec_lo, s3
	s_wait_dscnt 0x0
	v_or_b32_e32 v6, 31, v0
	v_lshrrev_b32_e32 v1, 5, v0
	s_mov_b32 s3, exec_lo
	s_delay_alu instid0(VALU_DEP_2)
	v_cmpx_eq_u32_e64 v0, v6
; %bb.68:
	s_delay_alu instid0(VALU_DEP_2)
	v_lshlrev_b32_e32 v6, 3, v1
	ds_store_b64 v6, v[3:4]
; %bb.69:
	s_wait_alu 0xfffe
	s_or_b32 exec_lo, exec_lo, s3
	s_delay_alu instid0(SALU_CYCLE_1)
	s_mov_b32 s3, exec_lo
	s_wait_loadcnt_dscnt 0x0
	s_barrier_signal -1
	s_barrier_wait -1
	global_inv scope:SCOPE_SE
	v_cmpx_gt_u32_e32 8, v0
	s_cbranch_execz .LBB2562_77
; %bb.70:
	v_lshlrev_b32_e32 v6, 3, v0
	s_mov_b32 s4, exec_lo
	ds_load_b64 v[3:4], v6
	s_wait_dscnt 0x0
	v_dual_mov_b32 v8, v3 :: v_dual_and_b32 v7, 7, v61
	v_mov_b32_dpp v10, v3 row_shr:1 row_mask:0xf bank_mask:0xf
	v_mov_b32_dpp v9, v4 row_shr:1 row_mask:0xf bank_mask:0xf
	s_delay_alu instid0(VALU_DEP_3)
	v_cmpx_ne_u32_e32 0, v7
; %bb.71:
	s_delay_alu instid0(VALU_DEP_3) | instskip(SKIP_2) | instid1(VALU_DEP_2)
	v_add_co_u32 v8, vcc_lo, v3, v10
	s_wait_alu 0xfffd
	v_add_co_ci_u32_e64 v4, null, 0, v4, vcc_lo
	v_add_co_u32 v3, vcc_lo, 0, v8
	s_wait_alu 0xfffd
	s_delay_alu instid0(VALU_DEP_2)
	v_add_co_ci_u32_e64 v4, null, v9, v4, vcc_lo
; %bb.72:
	s_wait_alu 0xfffe
	s_or_b32 exec_lo, exec_lo, s4
	v_mov_b32_dpp v10, v8 row_shr:2 row_mask:0xf bank_mask:0xf
	s_delay_alu instid0(VALU_DEP_2)
	v_mov_b32_dpp v9, v4 row_shr:2 row_mask:0xf bank_mask:0xf
	s_mov_b32 s4, exec_lo
	v_cmpx_lt_u32_e32 1, v7
; %bb.73:
	s_delay_alu instid0(VALU_DEP_3) | instskip(SKIP_2) | instid1(VALU_DEP_2)
	v_add_co_u32 v8, vcc_lo, v3, v10
	s_wait_alu 0xfffd
	v_add_co_ci_u32_e64 v4, null, 0, v4, vcc_lo
	v_add_co_u32 v3, vcc_lo, 0, v8
	s_wait_alu 0xfffd
	s_delay_alu instid0(VALU_DEP_2)
	v_add_co_ci_u32_e64 v4, null, v9, v4, vcc_lo
; %bb.74:
	s_wait_alu 0xfffe
	s_or_b32 exec_lo, exec_lo, s4
	v_mov_b32_dpp v9, v8 row_shr:4 row_mask:0xf bank_mask:0xf
	s_delay_alu instid0(VALU_DEP_2)
	v_mov_b32_dpp v8, v4 row_shr:4 row_mask:0xf bank_mask:0xf
	s_mov_b32 s4, exec_lo
	v_cmpx_lt_u32_e32 3, v7
; %bb.75:
	s_delay_alu instid0(VALU_DEP_3) | instskip(SKIP_2) | instid1(VALU_DEP_2)
	v_add_co_u32 v3, vcc_lo, v3, v9
	s_wait_alu 0xfffd
	v_add_co_ci_u32_e64 v4, null, 0, v4, vcc_lo
	v_add_co_u32 v3, vcc_lo, v3, 0
	s_wait_alu 0xfffd
	s_delay_alu instid0(VALU_DEP_2)
	v_add_co_ci_u32_e64 v4, null, v4, v8, vcc_lo
; %bb.76:
	s_wait_alu 0xfffe
	s_or_b32 exec_lo, exec_lo, s4
	ds_store_b64 v6, v[3:4]
.LBB2562_77:
	s_wait_alu 0xfffe
	s_or_b32 exec_lo, exec_lo, s3
	s_delay_alu instid0(SALU_CYCLE_1)
	s_mov_b32 s4, exec_lo
	v_cmp_gt_u32_e32 vcc_lo, 32, v0
	s_wait_loadcnt_dscnt 0x0
	s_barrier_signal -1
	s_barrier_wait -1
	global_inv scope:SCOPE_SE
                                        ; implicit-def: $vgpr9_vgpr10
	v_cmpx_lt_u32_e32 31, v0
	s_cbranch_execz .LBB2562_79
; %bb.78:
	v_lshl_add_u32 v1, v1, 3, -8
	ds_load_b64 v[9:10], v1
	s_wait_dscnt 0x0
	v_add_co_u32 v5, s3, v5, v9
	s_wait_alu 0xf1ff
	v_add_co_ci_u32_e64 v2, null, v2, v10, s3
.LBB2562_79:
	s_wait_alu 0xfffe
	s_or_b32 exec_lo, exec_lo, s4
	v_sub_co_u32 v1, s3, v61, 1
	s_delay_alu instid0(VALU_DEP_1) | instskip(SKIP_1) | instid1(VALU_DEP_1)
	v_cmp_gt_i32_e64 s4, 0, v1
	s_wait_alu 0xf1ff
	v_cndmask_b32_e64 v1, v1, v61, s4
	s_delay_alu instid0(VALU_DEP_1)
	v_lshlrev_b32_e32 v1, 2, v1
	ds_bpermute_b32 v15, v1, v5
	ds_bpermute_b32 v16, v1, v2
	s_and_saveexec_b32 s4, vcc_lo
	s_cbranch_execz .LBB2562_118
; %bb.80:
	v_mov_b32_e32 v4, 0
	ds_load_b64 v[1:2], v4 offset:56
	s_and_saveexec_b32 s5, s3
	s_cbranch_execz .LBB2562_82
; %bb.81:
	s_add_co_i32 s12, ttmp9, 32
	s_delay_alu instid0(SALU_CYCLE_1)
	s_lshl_b64 s[12:13], s[12:13], 4
	s_wait_kmcnt 0x0
	s_add_nc_u64 s[12:13], s[6:7], s[12:13]
	v_mov_b32_e32 v3, 1
	v_dual_mov_b32 v5, s12 :: v_dual_mov_b32 v6, s13
	s_wait_dscnt 0x0
	;;#ASMSTART
	global_store_b128 v[5:6], v[1:4] off scope:SCOPE_DEV	
s_wait_storecnt 0x0
	;;#ASMEND
.LBB2562_82:
	s_wait_alu 0xfffe
	s_or_b32 exec_lo, exec_lo, s5
	v_xad_u32 v11, v61, -1, ttmp9
	s_mov_b32 s12, 0
	s_mov_b32 s5, exec_lo
	s_delay_alu instid0(VALU_DEP_1) | instskip(NEXT) | instid1(VALU_DEP_1)
	v_add_nc_u32_e32 v3, 32, v11
	v_lshlrev_b64_e32 v[3:4], 4, v[3:4]
	s_wait_kmcnt 0x0
	s_delay_alu instid0(VALU_DEP_1) | instskip(SKIP_1) | instid1(VALU_DEP_2)
	v_add_co_u32 v3, vcc_lo, s6, v3
	s_wait_alu 0xfffd
	v_add_co_ci_u32_e64 v4, null, s7, v4, vcc_lo
	;;#ASMSTART
	global_load_b128 v[5:8], v[3:4] off scope:SCOPE_DEV	
s_wait_loadcnt 0x0
	;;#ASMEND
	v_and_b32_e32 v8, 0xff, v7
	s_delay_alu instid0(VALU_DEP_1)
	v_cmpx_eq_u16_e32 0, v8
	s_cbranch_execz .LBB2562_85
.LBB2562_83:                            ; =>This Inner Loop Header: Depth=1
	;;#ASMSTART
	global_load_b128 v[5:8], v[3:4] off scope:SCOPE_DEV	
s_wait_loadcnt 0x0
	;;#ASMEND
	v_and_b32_e32 v8, 0xff, v7
	s_delay_alu instid0(VALU_DEP_1)
	v_cmp_ne_u16_e32 vcc_lo, 0, v8
	s_wait_alu 0xfffe
	s_or_b32 s12, vcc_lo, s12
	s_wait_alu 0xfffe
	s_and_not1_b32 exec_lo, exec_lo, s12
	s_cbranch_execnz .LBB2562_83
; %bb.84:
	s_or_b32 exec_lo, exec_lo, s12
.LBB2562_85:
	s_wait_alu 0xfffe
	s_or_b32 exec_lo, exec_lo, s5
	v_cmp_ne_u32_e32 vcc_lo, 31, v61
	v_and_b32_e32 v4, 0xff, v7
	v_lshlrev_b32_e64 v18, v61, -1
	s_mov_b32 s5, exec_lo
	s_wait_alu 0xfffd
	v_add_co_ci_u32_e64 v3, null, 0, v61, vcc_lo
	v_cmp_eq_u16_e32 vcc_lo, 2, v4
	s_delay_alu instid0(VALU_DEP_2)
	v_dual_mov_b32 v4, v5 :: v_dual_lshlrev_b32 v17, 2, v3
	s_wait_alu 0xfffd
	v_and_or_b32 v3, vcc_lo, v18, 0x80000000
	ds_bpermute_b32 v12, v17, v5
	ds_bpermute_b32 v8, v17, v6
	v_ctz_i32_b32_e32 v3, v3
	s_delay_alu instid0(VALU_DEP_1)
	v_cmpx_lt_u32_e64 v61, v3
	s_cbranch_execz .LBB2562_87
; %bb.86:
	s_wait_dscnt 0x1
	v_add_co_u32 v4, vcc_lo, v5, v12
	s_wait_alu 0xfffd
	v_add_co_ci_u32_e64 v6, null, 0, v6, vcc_lo
	s_delay_alu instid0(VALU_DEP_2) | instskip(SKIP_2) | instid1(VALU_DEP_2)
	v_add_co_u32 v5, vcc_lo, 0, v4
	s_wait_dscnt 0x0
	s_wait_alu 0xfffd
	v_add_co_ci_u32_e64 v6, null, v8, v6, vcc_lo
.LBB2562_87:
	s_wait_alu 0xfffe
	s_or_b32 exec_lo, exec_lo, s5
	v_cmp_gt_u32_e32 vcc_lo, 30, v61
	v_add_nc_u32_e32 v20, 2, v61
	s_mov_b32 s5, exec_lo
	s_wait_dscnt 0x0
	s_wait_alu 0xfffd
	v_cndmask_b32_e64 v8, 0, 2, vcc_lo
	s_delay_alu instid0(VALU_DEP_1)
	v_add_lshl_u32 v19, v8, v61, 2
	ds_bpermute_b32 v12, v19, v4
	ds_bpermute_b32 v8, v19, v6
	v_cmpx_le_u32_e64 v20, v3
	s_cbranch_execz .LBB2562_89
; %bb.88:
	s_wait_dscnt 0x1
	v_add_co_u32 v4, vcc_lo, v5, v12
	s_wait_alu 0xfffd
	v_add_co_ci_u32_e64 v6, null, 0, v6, vcc_lo
	s_delay_alu instid0(VALU_DEP_2) | instskip(SKIP_2) | instid1(VALU_DEP_2)
	v_add_co_u32 v5, vcc_lo, 0, v4
	s_wait_dscnt 0x0
	s_wait_alu 0xfffd
	v_add_co_ci_u32_e64 v6, null, v8, v6, vcc_lo
.LBB2562_89:
	s_wait_alu 0xfffe
	s_or_b32 exec_lo, exec_lo, s5
	v_cmp_gt_u32_e32 vcc_lo, 28, v61
	v_add_nc_u32_e32 v22, 4, v61
	s_mov_b32 s5, exec_lo
	s_wait_dscnt 0x0
	s_wait_alu 0xfffd
	v_cndmask_b32_e64 v8, 0, 4, vcc_lo
	s_delay_alu instid0(VALU_DEP_1)
	v_add_lshl_u32 v21, v8, v61, 2
	ds_bpermute_b32 v12, v21, v4
	ds_bpermute_b32 v8, v21, v6
	v_cmpx_le_u32_e64 v22, v3
	;; [unrolled: 25-line block ×3, first 2 shown]
	s_cbranch_execz .LBB2562_93
; %bb.92:
	s_wait_dscnt 0x1
	v_add_co_u32 v4, vcc_lo, v5, v12
	s_wait_alu 0xfffd
	v_add_co_ci_u32_e64 v6, null, 0, v6, vcc_lo
	s_delay_alu instid0(VALU_DEP_2) | instskip(SKIP_2) | instid1(VALU_DEP_2)
	v_add_co_u32 v5, vcc_lo, 0, v4
	s_wait_dscnt 0x0
	s_wait_alu 0xfffd
	v_add_co_ci_u32_e64 v6, null, v8, v6, vcc_lo
.LBB2562_93:
	s_wait_alu 0xfffe
	s_or_b32 exec_lo, exec_lo, s5
	v_lshl_or_b32 v25, v61, 2, 64
	v_add_nc_u32_e32 v26, 16, v61
	s_mov_b32 s5, exec_lo
	s_wait_dscnt 0x0
	ds_bpermute_b32 v8, v25, v4
	ds_bpermute_b32 v4, v25, v6
	v_cmpx_le_u32_e64 v26, v3
	s_cbranch_execz .LBB2562_95
; %bb.94:
	s_wait_dscnt 0x1
	v_add_co_u32 v3, vcc_lo, v5, v8
	s_wait_alu 0xfffd
	v_add_co_ci_u32_e64 v6, null, 0, v6, vcc_lo
	s_delay_alu instid0(VALU_DEP_2) | instskip(SKIP_2) | instid1(VALU_DEP_2)
	v_add_co_u32 v5, vcc_lo, v3, 0
	s_wait_dscnt 0x0
	s_wait_alu 0xfffd
	v_add_co_ci_u32_e64 v6, null, v6, v4, vcc_lo
.LBB2562_95:
	s_wait_alu 0xfffe
	s_or_b32 exec_lo, exec_lo, s5
	v_mov_b32_e32 v12, 0
	s_branch .LBB2562_98
.LBB2562_96:                            ;   in Loop: Header=BB2562_98 Depth=1
	s_wait_alu 0xfffe
	s_or_b32 exec_lo, exec_lo, s5
	v_add_co_u32 v5, vcc_lo, v5, v3
	v_subrev_nc_u32_e32 v11, 32, v11
	s_wait_alu 0xfffd
	v_add_co_ci_u32_e64 v6, null, v6, v4, vcc_lo
	s_mov_b32 s5, 0
.LBB2562_97:                            ;   in Loop: Header=BB2562_98 Depth=1
	s_wait_alu 0xfffe
	s_and_b32 vcc_lo, exec_lo, s5
	s_wait_alu 0xfffe
	s_cbranch_vccnz .LBB2562_114
.LBB2562_98:                            ; =>This Loop Header: Depth=1
                                        ;     Child Loop BB2562_101 Depth 2
	v_and_b32_e32 v3, 0xff, v7
	s_mov_b32 s5, -1
	s_delay_alu instid0(VALU_DEP_1)
	v_cmp_ne_u16_e32 vcc_lo, 2, v3
	s_wait_dscnt 0x0
	v_dual_mov_b32 v3, v5 :: v_dual_mov_b32 v4, v6
                                        ; implicit-def: $vgpr5_vgpr6
	s_cmp_lg_u32 vcc_lo, exec_lo
	s_cbranch_scc1 .LBB2562_97
; %bb.99:                               ;   in Loop: Header=BB2562_98 Depth=1
	v_lshlrev_b64_e32 v[5:6], 4, v[11:12]
	s_mov_b32 s5, exec_lo
	s_delay_alu instid0(VALU_DEP_1) | instskip(SKIP_1) | instid1(VALU_DEP_2)
	v_add_co_u32 v13, vcc_lo, s6, v5
	s_wait_alu 0xfffd
	v_add_co_ci_u32_e64 v14, null, s7, v6, vcc_lo
	;;#ASMSTART
	global_load_b128 v[5:8], v[13:14] off scope:SCOPE_DEV	
s_wait_loadcnt 0x0
	;;#ASMEND
	v_and_b32_e32 v8, 0xff, v7
	s_delay_alu instid0(VALU_DEP_1)
	v_cmpx_eq_u16_e32 0, v8
	s_cbranch_execz .LBB2562_103
; %bb.100:                              ;   in Loop: Header=BB2562_98 Depth=1
	s_mov_b32 s12, 0
.LBB2562_101:                           ;   Parent Loop BB2562_98 Depth=1
                                        ; =>  This Inner Loop Header: Depth=2
	;;#ASMSTART
	global_load_b128 v[5:8], v[13:14] off scope:SCOPE_DEV	
s_wait_loadcnt 0x0
	;;#ASMEND
	v_and_b32_e32 v8, 0xff, v7
	s_delay_alu instid0(VALU_DEP_1)
	v_cmp_ne_u16_e32 vcc_lo, 0, v8
	s_wait_alu 0xfffe
	s_or_b32 s12, vcc_lo, s12
	s_wait_alu 0xfffe
	s_and_not1_b32 exec_lo, exec_lo, s12
	s_cbranch_execnz .LBB2562_101
; %bb.102:                              ;   in Loop: Header=BB2562_98 Depth=1
	s_or_b32 exec_lo, exec_lo, s12
.LBB2562_103:                           ;   in Loop: Header=BB2562_98 Depth=1
	s_wait_alu 0xfffe
	s_or_b32 exec_lo, exec_lo, s5
	v_dual_mov_b32 v13, v5 :: v_dual_and_b32 v8, 0xff, v7
	ds_bpermute_b32 v27, v17, v5
	ds_bpermute_b32 v14, v17, v6
	s_mov_b32 s5, exec_lo
	v_cmp_eq_u16_e32 vcc_lo, 2, v8
	s_wait_alu 0xfffd
	v_and_or_b32 v8, vcc_lo, v18, 0x80000000
	s_delay_alu instid0(VALU_DEP_1) | instskip(NEXT) | instid1(VALU_DEP_1)
	v_ctz_i32_b32_e32 v8, v8
	v_cmpx_lt_u32_e64 v61, v8
	s_cbranch_execz .LBB2562_105
; %bb.104:                              ;   in Loop: Header=BB2562_98 Depth=1
	s_wait_dscnt 0x1
	v_add_co_u32 v13, vcc_lo, v5, v27
	s_wait_alu 0xfffd
	v_add_co_ci_u32_e64 v6, null, 0, v6, vcc_lo
	s_delay_alu instid0(VALU_DEP_2) | instskip(SKIP_2) | instid1(VALU_DEP_2)
	v_add_co_u32 v5, vcc_lo, 0, v13
	s_wait_dscnt 0x0
	s_wait_alu 0xfffd
	v_add_co_ci_u32_e64 v6, null, v14, v6, vcc_lo
.LBB2562_105:                           ;   in Loop: Header=BB2562_98 Depth=1
	s_wait_alu 0xfffe
	s_or_b32 exec_lo, exec_lo, s5
	s_wait_dscnt 0x1
	ds_bpermute_b32 v27, v19, v13
	s_wait_dscnt 0x1
	ds_bpermute_b32 v14, v19, v6
	s_mov_b32 s5, exec_lo
	v_cmpx_le_u32_e64 v20, v8
	s_cbranch_execz .LBB2562_107
; %bb.106:                              ;   in Loop: Header=BB2562_98 Depth=1
	s_wait_dscnt 0x1
	v_add_co_u32 v13, vcc_lo, v5, v27
	s_wait_alu 0xfffd
	v_add_co_ci_u32_e64 v6, null, 0, v6, vcc_lo
	s_delay_alu instid0(VALU_DEP_2) | instskip(SKIP_2) | instid1(VALU_DEP_2)
	v_add_co_u32 v5, vcc_lo, 0, v13
	s_wait_dscnt 0x0
	s_wait_alu 0xfffd
	v_add_co_ci_u32_e64 v6, null, v14, v6, vcc_lo
.LBB2562_107:                           ;   in Loop: Header=BB2562_98 Depth=1
	s_wait_alu 0xfffe
	s_or_b32 exec_lo, exec_lo, s5
	s_wait_dscnt 0x1
	ds_bpermute_b32 v27, v21, v13
	s_wait_dscnt 0x1
	ds_bpermute_b32 v14, v21, v6
	s_mov_b32 s5, exec_lo
	v_cmpx_le_u32_e64 v22, v8
	s_cbranch_execz .LBB2562_109
; %bb.108:                              ;   in Loop: Header=BB2562_98 Depth=1
	s_wait_dscnt 0x1
	v_add_co_u32 v13, vcc_lo, v5, v27
	s_wait_alu 0xfffd
	v_add_co_ci_u32_e64 v6, null, 0, v6, vcc_lo
	s_delay_alu instid0(VALU_DEP_2) | instskip(SKIP_2) | instid1(VALU_DEP_2)
	v_add_co_u32 v5, vcc_lo, 0, v13
	s_wait_dscnt 0x0
	s_wait_alu 0xfffd
	v_add_co_ci_u32_e64 v6, null, v14, v6, vcc_lo
.LBB2562_109:                           ;   in Loop: Header=BB2562_98 Depth=1
	s_wait_alu 0xfffe
	s_or_b32 exec_lo, exec_lo, s5
	s_wait_dscnt 0x1
	ds_bpermute_b32 v27, v23, v13
	s_wait_dscnt 0x1
	ds_bpermute_b32 v14, v23, v6
	s_mov_b32 s5, exec_lo
	v_cmpx_le_u32_e64 v24, v8
	s_cbranch_execz .LBB2562_111
; %bb.110:                              ;   in Loop: Header=BB2562_98 Depth=1
	s_wait_dscnt 0x1
	v_add_co_u32 v13, vcc_lo, v5, v27
	s_wait_alu 0xfffd
	v_add_co_ci_u32_e64 v6, null, 0, v6, vcc_lo
	s_delay_alu instid0(VALU_DEP_2) | instskip(SKIP_2) | instid1(VALU_DEP_2)
	v_add_co_u32 v5, vcc_lo, 0, v13
	s_wait_dscnt 0x0
	s_wait_alu 0xfffd
	v_add_co_ci_u32_e64 v6, null, v14, v6, vcc_lo
.LBB2562_111:                           ;   in Loop: Header=BB2562_98 Depth=1
	s_wait_alu 0xfffe
	s_or_b32 exec_lo, exec_lo, s5
	s_wait_dscnt 0x0
	ds_bpermute_b32 v14, v25, v13
	ds_bpermute_b32 v13, v25, v6
	s_mov_b32 s5, exec_lo
	v_cmpx_le_u32_e64 v26, v8
	s_cbranch_execz .LBB2562_96
; %bb.112:                              ;   in Loop: Header=BB2562_98 Depth=1
	s_wait_dscnt 0x1
	v_add_co_u32 v5, vcc_lo, v5, v14
	s_wait_alu 0xfffd
	v_add_co_ci_u32_e64 v6, null, 0, v6, vcc_lo
	s_delay_alu instid0(VALU_DEP_2) | instskip(SKIP_2) | instid1(VALU_DEP_2)
	v_add_co_u32 v5, vcc_lo, v5, 0
	s_wait_dscnt 0x0
	s_wait_alu 0xfffd
	v_add_co_ci_u32_e64 v6, null, v6, v13, vcc_lo
	s_branch .LBB2562_96
.LBB2562_113:
                                        ; implicit-def: $vgpr39_vgpr40
                                        ; implicit-def: $vgpr1_vgpr2_vgpr3_vgpr4_vgpr5_vgpr6_vgpr7_vgpr8_vgpr9_vgpr10_vgpr11_vgpr12_vgpr13_vgpr14_vgpr15_vgpr16_vgpr17_vgpr18_vgpr19_vgpr20_vgpr21_vgpr22_vgpr23_vgpr24_vgpr25_vgpr26_vgpr27_vgpr28_vgpr29_vgpr30_vgpr31_vgpr32
	s_wait_alu 0xfffe
	s_and_b32 vcc_lo, exec_lo, s3
	s_wait_alu 0xfffe
	s_cbranch_vccnz .LBB2562_119
	s_branch .LBB2562_144
.LBB2562_114:
	s_and_saveexec_b32 s5, s3
	s_cbranch_execz .LBB2562_116
; %bb.115:
	s_add_co_i32 s12, ttmp9, 32
	s_mov_b32 s13, 0
	v_add_co_u32 v5, vcc_lo, v3, v1
	s_wait_alu 0xfffe
	s_lshl_b64 s[12:13], s[12:13], 4
	v_dual_mov_b32 v7, 2 :: v_dual_mov_b32 v8, 0
	s_wait_alu 0xfffe
	s_add_nc_u64 s[12:13], s[6:7], s[12:13]
	s_wait_alu 0xfffd
	v_add_co_ci_u32_e64 v6, null, v4, v2, vcc_lo
	s_wait_alu 0xfffe
	v_dual_mov_b32 v11, s12 :: v_dual_mov_b32 v12, s13
	;;#ASMSTART
	global_store_b128 v[11:12], v[5:8] off scope:SCOPE_DEV	
s_wait_storecnt 0x0
	;;#ASMEND
	ds_store_b128 v8, v[1:4] offset:6144
.LBB2562_116:
	s_wait_alu 0xfffe
	s_or_b32 exec_lo, exec_lo, s5
	v_cmp_eq_u32_e32 vcc_lo, 0, v0
	s_and_b32 exec_lo, exec_lo, vcc_lo
; %bb.117:
	v_mov_b32_e32 v1, 0
	ds_store_b64 v1, v[3:4] offset:56
.LBB2562_118:
	s_wait_alu 0xfffe
	s_or_b32 exec_lo, exec_lo, s4
	s_wait_dscnt 0x0
	v_cndmask_b32_e64 v4, v16, v10, s3
	v_cmp_ne_u32_e32 vcc_lo, 0, v0
	v_mov_b32_e32 v17, 0
	s_wait_loadcnt 0x0
	s_barrier_signal -1
	s_barrier_wait -1
	global_inv scope:SCOPE_SE
	s_wait_alu 0xfffd
	v_cndmask_b32_e32 v4, 0, v4, vcc_lo
	ds_load_b64 v[1:2], v17 offset:56
	v_cndmask_b32_e64 v3, v15, v9, s3
	s_wait_loadcnt_dscnt 0x0
	s_barrier_signal -1
	s_barrier_wait -1
	global_inv scope:SCOPE_SE
	v_cndmask_b32_e32 v3, 0, v3, vcc_lo
	ds_load_b128 v[37:40], v17 offset:6144
	v_add_co_u32 v1, vcc_lo, v1, v3
	s_wait_alu 0xfffd
	v_add_co_ci_u32_e64 v2, null, v2, v4, vcc_lo
	s_delay_alu instid0(VALU_DEP_2) | instskip(SKIP_1) | instid1(VALU_DEP_2)
	v_add_co_u32 v3, vcc_lo, v1, v53
	s_wait_alu 0xfffd
	v_add_co_ci_u32_e64 v4, null, 0, v2, vcc_lo
	s_delay_alu instid0(VALU_DEP_2) | instskip(SKIP_1) | instid1(VALU_DEP_2)
	v_add_co_u32 v5, vcc_lo, v3, v54
	s_wait_alu 0xfffd
	v_add_co_ci_u32_e64 v6, null, 0, v4, vcc_lo
	s_delay_alu instid0(VALU_DEP_2) | instskip(SKIP_1) | instid1(VALU_DEP_2)
	v_add_co_u32 v7, vcc_lo, v5, v52
	s_wait_alu 0xfffd
	v_add_co_ci_u32_e64 v8, null, 0, v6, vcc_lo
	s_delay_alu instid0(VALU_DEP_2) | instskip(SKIP_1) | instid1(VALU_DEP_2)
	v_add_co_u32 v9, vcc_lo, v7, v50
	s_wait_alu 0xfffd
	v_add_co_ci_u32_e64 v10, null, 0, v8, vcc_lo
	s_delay_alu instid0(VALU_DEP_2) | instskip(SKIP_1) | instid1(VALU_DEP_2)
	v_add_co_u32 v11, vcc_lo, v9, v56
	s_wait_alu 0xfffd
	v_add_co_ci_u32_e64 v12, null, 0, v10, vcc_lo
	s_delay_alu instid0(VALU_DEP_2) | instskip(SKIP_1) | instid1(VALU_DEP_2)
	v_add_co_u32 v13, vcc_lo, v11, v57
	s_wait_alu 0xfffd
	v_add_co_ci_u32_e64 v14, null, 0, v12, vcc_lo
	s_delay_alu instid0(VALU_DEP_2) | instskip(SKIP_1) | instid1(VALU_DEP_2)
	v_add_co_u32 v15, vcc_lo, v13, v58
	s_wait_alu 0xfffd
	v_add_co_ci_u32_e64 v16, null, 0, v14, vcc_lo
	s_delay_alu instid0(VALU_DEP_2) | instskip(SKIP_1) | instid1(VALU_DEP_2)
	v_add_co_u32 v17, vcc_lo, v15, v49
	s_wait_alu 0xfffd
	v_add_co_ci_u32_e64 v18, null, 0, v16, vcc_lo
	s_delay_alu instid0(VALU_DEP_2) | instskip(SKIP_1) | instid1(VALU_DEP_2)
	v_add_co_u32 v19, vcc_lo, v17, v59
	s_wait_alu 0xfffd
	v_add_co_ci_u32_e64 v20, null, 0, v18, vcc_lo
	s_delay_alu instid0(VALU_DEP_2) | instskip(SKIP_1) | instid1(VALU_DEP_2)
	v_add_co_u32 v21, vcc_lo, v19, v60
	s_wait_alu 0xfffd
	v_add_co_ci_u32_e64 v22, null, 0, v20, vcc_lo
	s_delay_alu instid0(VALU_DEP_2) | instskip(SKIP_1) | instid1(VALU_DEP_2)
	v_add_co_u32 v23, vcc_lo, v21, v55
	s_wait_alu 0xfffd
	v_add_co_ci_u32_e64 v24, null, 0, v22, vcc_lo
	s_branch .LBB2562_144
.LBB2562_119:
	v_dual_mov_b32 v2, 0 :: v_dual_mov_b32 v3, v45
	v_mov_b32_dpp v4, v45 row_shr:1 row_mask:0xf bank_mask:0xf
	s_delay_alu instid0(VALU_DEP_2)
	v_mov_b32_dpp v1, v2 row_shr:1 row_mask:0xf bank_mask:0xf
	s_and_saveexec_b32 s3, s2
; %bb.120:
	s_delay_alu instid0(VALU_DEP_2) | instskip(SKIP_2) | instid1(VALU_DEP_2)
	v_add_co_u32 v3, vcc_lo, v45, v4
	s_wait_alu 0xfffd
	v_add_co_ci_u32_e64 v2, null, 0, v46, vcc_lo
	v_add_co_u32 v45, vcc_lo, 0, v3
	s_wait_alu 0xfffd
	s_delay_alu instid0(VALU_DEP_2) | instskip(NEXT) | instid1(VALU_DEP_1)
	v_add_co_ci_u32_e64 v46, null, v1, v2, vcc_lo
	v_mov_b32_e32 v2, v46
; %bb.121:
	s_wait_alu 0xfffe
	s_or_b32 exec_lo, exec_lo, s3
	v_mov_b32_dpp v1, v3 row_shr:2 row_mask:0xf bank_mask:0xf
	s_delay_alu instid0(VALU_DEP_2)
	v_mov_b32_dpp v4, v2 row_shr:2 row_mask:0xf bank_mask:0xf
	s_mov_b32 s2, exec_lo
	v_cmpx_lt_u32_e32 1, v62
; %bb.122:
	s_delay_alu instid0(VALU_DEP_3) | instskip(SKIP_2) | instid1(VALU_DEP_2)
	v_add_co_u32 v3, vcc_lo, v45, v1
	s_wait_alu 0xfffd
	v_add_co_ci_u32_e64 v2, null, 0, v46, vcc_lo
	v_add_co_u32 v1, vcc_lo, 0, v3
	s_wait_alu 0xfffd
	s_delay_alu instid0(VALU_DEP_2) | instskip(NEXT) | instid1(VALU_DEP_1)
	v_add_co_ci_u32_e64 v2, null, v4, v2, vcc_lo
	v_dual_mov_b32 v46, v2 :: v_dual_mov_b32 v45, v1
; %bb.123:
	s_wait_alu 0xfffe
	s_or_b32 exec_lo, exec_lo, s2
	v_mov_b32_dpp v1, v3 row_shr:4 row_mask:0xf bank_mask:0xf
	v_mov_b32_dpp v4, v2 row_shr:4 row_mask:0xf bank_mask:0xf
	s_mov_b32 s2, exec_lo
	v_cmpx_lt_u32_e32 3, v62
; %bb.124:
	s_delay_alu instid0(VALU_DEP_3) | instskip(SKIP_2) | instid1(VALU_DEP_2)
	v_add_co_u32 v3, vcc_lo, v45, v1
	s_wait_alu 0xfffd
	v_add_co_ci_u32_e64 v2, null, 0, v46, vcc_lo
	v_add_co_u32 v1, vcc_lo, 0, v3
	s_wait_alu 0xfffd
	s_delay_alu instid0(VALU_DEP_2) | instskip(NEXT) | instid1(VALU_DEP_1)
	v_add_co_ci_u32_e64 v2, null, v4, v2, vcc_lo
	v_dual_mov_b32 v46, v2 :: v_dual_mov_b32 v45, v1
; %bb.125:
	s_wait_alu 0xfffe
	s_or_b32 exec_lo, exec_lo, s2
	v_mov_b32_dpp v4, v3 row_shr:8 row_mask:0xf bank_mask:0xf
	v_mov_b32_dpp v1, v2 row_shr:8 row_mask:0xf bank_mask:0xf
	s_mov_b32 s2, exec_lo
	v_cmpx_lt_u32_e32 7, v62
; %bb.126:
	s_delay_alu instid0(VALU_DEP_3) | instskip(SKIP_2) | instid1(VALU_DEP_2)
	v_add_co_u32 v3, vcc_lo, v45, v4
	s_wait_alu 0xfffd
	v_add_co_ci_u32_e64 v2, null, 0, v46, vcc_lo
	v_add_co_u32 v45, vcc_lo, 0, v3
	s_wait_alu 0xfffd
	s_delay_alu instid0(VALU_DEP_2) | instskip(NEXT) | instid1(VALU_DEP_1)
	v_add_co_ci_u32_e64 v46, null, v1, v2, vcc_lo
	v_mov_b32_e32 v2, v46
; %bb.127:
	s_wait_alu 0xfffe
	s_or_b32 exec_lo, exec_lo, s2
	ds_swizzle_b32 v3, v3 offset:swizzle(BROADCAST,32,15)
	ds_swizzle_b32 v1, v2 offset:swizzle(BROADCAST,32,15)
	v_and_b32_e32 v2, 16, v61
	s_mov_b32 s2, exec_lo
	s_delay_alu instid0(VALU_DEP_1)
	v_cmpx_ne_u32_e32 0, v2
	s_cbranch_execz .LBB2562_129
; %bb.128:
	s_wait_dscnt 0x1
	v_add_co_u32 v2, vcc_lo, v45, v3
	s_wait_alu 0xfffd
	v_add_co_ci_u32_e64 v3, null, 0, v46, vcc_lo
	s_delay_alu instid0(VALU_DEP_2) | instskip(SKIP_2) | instid1(VALU_DEP_2)
	v_add_co_u32 v45, vcc_lo, v2, 0
	s_wait_dscnt 0x0
	s_wait_alu 0xfffd
	v_add_co_ci_u32_e64 v46, null, v3, v1, vcc_lo
.LBB2562_129:
	s_wait_alu 0xfffe
	s_or_b32 exec_lo, exec_lo, s2
	s_wait_dscnt 0x0
	v_or_b32_e32 v1, 31, v0
	v_lshrrev_b32_e32 v3, 5, v0
	s_mov_b32 s2, exec_lo
	s_delay_alu instid0(VALU_DEP_2)
	v_cmpx_eq_u32_e64 v0, v1
; %bb.130:
	s_delay_alu instid0(VALU_DEP_2)
	v_lshlrev_b32_e32 v1, 3, v3
	ds_store_b64 v1, v[45:46]
; %bb.131:
	s_wait_alu 0xfffe
	s_or_b32 exec_lo, exec_lo, s2
	s_delay_alu instid0(SALU_CYCLE_1)
	s_mov_b32 s2, exec_lo
	s_wait_loadcnt_dscnt 0x0
	s_barrier_signal -1
	s_barrier_wait -1
	global_inv scope:SCOPE_SE
	v_cmpx_gt_u32_e32 8, v0
	s_cbranch_execz .LBB2562_139
; %bb.132:
	v_lshlrev_b32_e32 v4, 2, v0
	s_mov_b32 s3, exec_lo
	s_delay_alu instid0(VALU_DEP_1)
	v_sub_nc_u32_e32 v1, v51, v4
	ds_load_b64 v[1:2], v1
	s_wait_dscnt 0x0
	v_dual_mov_b32 v6, v1 :: v_dual_and_b32 v5, 7, v61
	v_mov_b32_dpp v8, v1 row_shr:1 row_mask:0xf bank_mask:0xf
	v_mov_b32_dpp v7, v2 row_shr:1 row_mask:0xf bank_mask:0xf
	s_delay_alu instid0(VALU_DEP_3)
	v_cmpx_ne_u32_e32 0, v5
; %bb.133:
	s_delay_alu instid0(VALU_DEP_3) | instskip(SKIP_2) | instid1(VALU_DEP_2)
	v_add_co_u32 v6, vcc_lo, v1, v8
	s_wait_alu 0xfffd
	v_add_co_ci_u32_e64 v2, null, 0, v2, vcc_lo
	v_add_co_u32 v1, vcc_lo, 0, v6
	s_wait_alu 0xfffd
	s_delay_alu instid0(VALU_DEP_2)
	v_add_co_ci_u32_e64 v2, null, v7, v2, vcc_lo
; %bb.134:
	s_wait_alu 0xfffe
	s_or_b32 exec_lo, exec_lo, s3
	v_mov_b32_dpp v8, v6 row_shr:2 row_mask:0xf bank_mask:0xf
	s_delay_alu instid0(VALU_DEP_2)
	v_mov_b32_dpp v7, v2 row_shr:2 row_mask:0xf bank_mask:0xf
	s_mov_b32 s3, exec_lo
	v_cmpx_lt_u32_e32 1, v5
; %bb.135:
	s_delay_alu instid0(VALU_DEP_3) | instskip(SKIP_2) | instid1(VALU_DEP_2)
	v_add_co_u32 v6, vcc_lo, v1, v8
	s_wait_alu 0xfffd
	v_add_co_ci_u32_e64 v2, null, 0, v2, vcc_lo
	v_add_co_u32 v1, vcc_lo, 0, v6
	s_wait_alu 0xfffd
	s_delay_alu instid0(VALU_DEP_2)
	v_add_co_ci_u32_e64 v2, null, v7, v2, vcc_lo
; %bb.136:
	s_wait_alu 0xfffe
	s_or_b32 exec_lo, exec_lo, s3
	v_sub_nc_u32_e32 v4, 0, v4
	v_mov_b32_dpp v7, v6 row_shr:4 row_mask:0xf bank_mask:0xf
	v_mov_b32_dpp v6, v2 row_shr:4 row_mask:0xf bank_mask:0xf
	s_mov_b32 s3, exec_lo
	v_cmpx_lt_u32_e32 3, v5
; %bb.137:
	s_delay_alu instid0(VALU_DEP_3) | instskip(SKIP_2) | instid1(VALU_DEP_2)
	v_add_co_u32 v1, vcc_lo, v1, v7
	s_wait_alu 0xfffd
	v_add_co_ci_u32_e64 v2, null, 0, v2, vcc_lo
	v_add_co_u32 v1, vcc_lo, v1, 0
	s_wait_alu 0xfffd
	s_delay_alu instid0(VALU_DEP_2)
	v_add_co_ci_u32_e64 v2, null, v2, v6, vcc_lo
; %bb.138:
	s_wait_alu 0xfffe
	s_or_b32 exec_lo, exec_lo, s3
	v_add_nc_u32_e32 v4, v51, v4
	ds_store_b64 v4, v[1:2]
.LBB2562_139:
	s_wait_alu 0xfffe
	s_or_b32 exec_lo, exec_lo, s2
	v_mov_b32_e32 v1, 0
	v_mov_b32_e32 v2, 0
	s_mov_b32 s2, exec_lo
	s_wait_loadcnt_dscnt 0x0
	s_barrier_signal -1
	s_barrier_wait -1
	global_inv scope:SCOPE_SE
	v_cmpx_lt_u32_e32 31, v0
; %bb.140:
	v_lshl_add_u32 v1, v3, 3, -8
	ds_load_b64 v[1:2], v1
; %bb.141:
	s_wait_alu 0xfffe
	s_or_b32 exec_lo, exec_lo, s2
	v_sub_co_u32 v3, vcc_lo, v61, 1
	v_mov_b32_e32 v40, 0
	s_delay_alu instid0(VALU_DEP_2) | instskip(SKIP_3) | instid1(VALU_DEP_1)
	v_cmp_gt_i32_e64 s2, 0, v3
	ds_load_b64 v[37:38], v40 offset:56
	s_wait_alu 0xf1ff
	v_cndmask_b32_e64 v3, v3, v61, s2
	v_lshlrev_b32_e32 v4, 2, v3
	s_wait_dscnt 0x1
	v_add_co_u32 v3, s2, v1, v45
	s_wait_alu 0xf1ff
	v_add_co_ci_u32_e64 v5, null, v2, v46, s2
	v_cmp_eq_u32_e64 s2, 0, v0
	ds_bpermute_b32 v3, v4, v3
	ds_bpermute_b32 v4, v4, v5
	s_and_saveexec_b32 s3, s2
	s_cbranch_execz .LBB2562_143
; %bb.142:
	s_wait_kmcnt 0x0
	s_add_nc_u64 s[4:5], s[6:7], 0x200
	s_wait_alu 0xfffe
	v_dual_mov_b32 v39, 2 :: v_dual_mov_b32 v6, s5
	v_mov_b32_e32 v5, s4
	s_wait_dscnt 0x2
	;;#ASMSTART
	global_store_b128 v[5:6], v[37:40] off scope:SCOPE_DEV	
s_wait_storecnt 0x0
	;;#ASMEND
.LBB2562_143:
	s_wait_alu 0xfffe
	s_or_b32 exec_lo, exec_lo, s3
	s_wait_dscnt 0x0
	s_wait_alu 0xfffd
	v_dual_cndmask_b32 v1, v3, v1 :: v_dual_cndmask_b32 v2, v4, v2
	v_mov_b32_e32 v39, 0
	v_mov_b32_e32 v40, 0
	s_wait_loadcnt 0x0
	s_delay_alu instid0(VALU_DEP_3)
	v_cndmask_b32_e64 v1, v1, 0, s2
	v_cndmask_b32_e64 v2, v2, 0, s2
	s_barrier_signal -1
	s_barrier_wait -1
	global_inv scope:SCOPE_SE
	v_add_co_u32 v3, vcc_lo, v1, v53
	s_wait_alu 0xfffd
	v_add_co_ci_u32_e64 v4, null, 0, v2, vcc_lo
	s_delay_alu instid0(VALU_DEP_2) | instskip(SKIP_1) | instid1(VALU_DEP_2)
	v_add_co_u32 v5, vcc_lo, v3, v54
	s_wait_alu 0xfffd
	v_add_co_ci_u32_e64 v6, null, 0, v4, vcc_lo
	s_delay_alu instid0(VALU_DEP_2) | instskip(SKIP_1) | instid1(VALU_DEP_2)
	;; [unrolled: 4-line block ×10, first 2 shown]
	v_add_co_u32 v23, vcc_lo, v21, v55
	s_wait_alu 0xfffd
	v_add_co_ci_u32_e64 v24, null, 0, v22, vcc_lo
.LBB2562_144:
	s_load_b64 s[2:3], s[0:1], 0x30
	v_lshrrev_b32_e32 v54, 8, v43
	v_lshrrev_b32_e32 v52, 16, v43
	v_and_b32_e32 v43, 1, v43
	s_wait_dscnt 0x0
	v_cmp_gt_u64_e32 vcc_lo, 0x101, v[37:38]
	v_lshrrev_b32_e32 v45, 8, v44
	v_lshrrev_b32_e32 v32, 16, v44
	;; [unrolled: 1-line block ×10, first 2 shown]
	v_cmp_eq_u32_e64 s0, 1, v43
	s_mov_b32 s1, -1
	s_cbranch_vccnz .LBB2562_148
; %bb.145:
	s_wait_alu 0xfffe
	s_and_b32 vcc_lo, exec_lo, s1
	s_wait_alu 0xfffe
	s_cbranch_vccnz .LBB2562_173
.LBB2562_146:
	v_cmp_eq_u32_e32 vcc_lo, 0, v0
	s_and_b32 s0, vcc_lo, s16
	s_wait_alu 0xfffe
	s_and_saveexec_b32 s1, s0
	s_cbranch_execnz .LBB2562_200
.LBB2562_147:
	s_endpgm
.LBB2562_148:
	v_add_co_u32 v25, vcc_lo, v39, v37
	s_wait_alu 0xfffd
	v_add_co_ci_u32_e64 v26, null, v40, v38, vcc_lo
	s_lshl_b64 s[4:5], s[10:11], 1
	s_wait_kmcnt 0x0
	s_wait_alu 0xfffe
	s_add_nc_u64 s[4:5], s[2:3], s[4:5]
	v_cmp_lt_u64_e32 vcc_lo, v[1:2], v[25:26]
	s_or_b32 s1, s17, vcc_lo
	s_wait_alu 0xfffe
	s_and_b32 s1, s1, s0
	s_wait_alu 0xfffe
	s_and_saveexec_b32 s0, s1
	s_cbranch_execz .LBB2562_150
; %bb.149:
	v_lshlrev_b64_e32 v[55:56], 1, v[1:2]
	s_delay_alu instid0(VALU_DEP_1) | instskip(SKIP_1) | instid1(VALU_DEP_2)
	v_add_co_u32 v55, vcc_lo, s4, v55
	s_wait_alu 0xfffd
	v_add_co_ci_u32_e64 v56, null, s5, v56, vcc_lo
	global_store_b16 v[55:56], v33, off
.LBB2562_150:
	s_wait_alu 0xfffe
	s_or_b32 exec_lo, exec_lo, s0
	v_and_b32_e32 v2, 1, v54
	v_cmp_lt_u64_e32 vcc_lo, v[3:4], v[25:26]
	s_delay_alu instid0(VALU_DEP_2)
	v_cmp_eq_u32_e64 s0, 1, v2
	s_or_b32 s1, s17, vcc_lo
	s_wait_alu 0xfffe
	s_and_b32 s1, s1, s0
	s_wait_alu 0xfffe
	s_and_saveexec_b32 s0, s1
	s_cbranch_execz .LBB2562_152
; %bb.151:
	v_lshlrev_b64_e32 v[55:56], 1, v[3:4]
	s_delay_alu instid0(VALU_DEP_1) | instskip(SKIP_1) | instid1(VALU_DEP_2)
	v_add_co_u32 v55, vcc_lo, s4, v55
	s_wait_alu 0xfffd
	v_add_co_ci_u32_e64 v56, null, s5, v56, vcc_lo
	global_store_b16 v[55:56], v53, off
.LBB2562_152:
	s_wait_alu 0xfffe
	s_or_b32 exec_lo, exec_lo, s0
	v_and_b32_e32 v2, 1, v52
	v_cmp_lt_u64_e32 vcc_lo, v[5:6], v[25:26]
	s_delay_alu instid0(VALU_DEP_2)
	v_cmp_eq_u32_e64 s0, 1, v2
	;; [unrolled: 20-line block ×11, first 2 shown]
	s_or_b32 s1, s17, vcc_lo
	s_wait_alu 0xfffe
	s_and_b32 s1, s1, s0
	s_wait_alu 0xfffe
	s_and_saveexec_b32 s0, s1
	s_cbranch_execz .LBB2562_172
; %bb.171:
	v_lshlrev_b64_e32 v[24:25], 1, v[23:24]
	s_delay_alu instid0(VALU_DEP_1) | instskip(SKIP_1) | instid1(VALU_DEP_2)
	v_add_co_u32 v24, vcc_lo, s4, v24
	s_wait_alu 0xfffd
	v_add_co_ci_u32_e64 v25, null, s5, v25, vcc_lo
	global_store_b16 v[24:25], v27, off
.LBB2562_172:
	s_wait_alu 0xfffe
	s_or_b32 exec_lo, exec_lo, s0
	s_branch .LBB2562_146
.LBB2562_173:
	s_mov_b32 s0, exec_lo
	v_cmpx_eq_u32_e32 1, v43
; %bb.174:
	v_sub_nc_u32_e32 v1, v1, v39
	s_delay_alu instid0(VALU_DEP_1)
	v_lshlrev_b32_e32 v1, 1, v1
	ds_store_b16 v1, v33
; %bb.175:
	s_wait_alu 0xfffe
	s_or_b32 exec_lo, exec_lo, s0
	v_and_b32_e32 v1, 1, v54
	s_mov_b32 s0, exec_lo
	s_delay_alu instid0(VALU_DEP_1)
	v_cmpx_eq_u32_e32 1, v1
; %bb.176:
	v_sub_nc_u32_e32 v1, v3, v39
	s_delay_alu instid0(VALU_DEP_1)
	v_lshlrev_b32_e32 v1, 1, v1
	ds_store_b16 v1, v53
; %bb.177:
	s_wait_alu 0xfffe
	s_or_b32 exec_lo, exec_lo, s0
	v_and_b32_e32 v1, 1, v52
	s_mov_b32 s0, exec_lo
	s_delay_alu instid0(VALU_DEP_1)
	;; [unrolled: 12-line block ×11, first 2 shown]
	v_cmpx_eq_u32_e32 1, v1
; %bb.196:
	v_sub_nc_u32_e32 v1, v23, v39
	s_delay_alu instid0(VALU_DEP_1)
	v_lshlrev_b32_e32 v1, 1, v1
	ds_store_b16 v1, v27
; %bb.197:
	s_wait_alu 0xfffe
	s_or_b32 exec_lo, exec_lo, s0
	v_mov_b32_e32 v3, 0
	v_lshlrev_b64_e32 v[4:5], 1, v[39:40]
	s_lshl_b64 s[0:1], s[10:11], 1
	v_or_b32_e32 v2, 0x100, v0
	s_wait_kmcnt 0x0
	s_wait_alu 0xfffe
	s_add_nc_u64 s[0:1], s[2:3], s[0:1]
	v_mov_b32_e32 v1, v3
	s_wait_storecnt 0x0
	s_wait_loadcnt_dscnt 0x0
	s_wait_alu 0xfffe
	v_add_co_u32 v6, vcc_lo, s0, v4
	s_wait_alu 0xfffd
	v_add_co_ci_u32_e64 v7, null, s1, v5, vcc_lo
	v_dual_mov_b32 v5, v1 :: v_dual_mov_b32 v4, v0
	s_mov_b32 s1, 0
	s_barrier_signal -1
	s_barrier_wait -1
	global_inv scope:SCOPE_SE
.LBB2562_198:                           ; =>This Inner Loop Header: Depth=1
	v_lshlrev_b32_e32 v1, 1, v4
	v_lshlrev_b64_e32 v[8:9], 1, v[4:5]
	v_dual_mov_b32 v5, v3 :: v_dual_mov_b32 v4, v2
	v_cmp_le_u64_e32 vcc_lo, v[37:38], v[2:3]
	ds_load_u16 v1, v1
	v_add_nc_u32_e32 v2, 0x100, v2
	v_add_co_u32 v8, s0, v6, v8
	s_wait_alu 0xf1ff
	v_add_co_ci_u32_e64 v9, null, v7, v9, s0
	s_wait_alu 0xfffe
	s_or_b32 s1, vcc_lo, s1
	s_wait_dscnt 0x0
	global_store_b16 v[8:9], v1, off
	s_wait_alu 0xfffe
	s_and_not1_b32 exec_lo, exec_lo, s1
	s_cbranch_execnz .LBB2562_198
; %bb.199:
	s_or_b32 exec_lo, exec_lo, s1
	v_cmp_eq_u32_e32 vcc_lo, 0, v0
	s_and_b32 s0, vcc_lo, s16
	s_wait_alu 0xfffe
	s_and_saveexec_b32 s1, s0
	s_cbranch_execz .LBB2562_147
.LBB2562_200:
	v_add_co_u32 v0, vcc_lo, v39, v37
	s_wait_alu 0xfffd
	v_add_co_ci_u32_e64 v1, null, v40, v38, vcc_lo
	v_mov_b32_e32 v2, 0
	s_delay_alu instid0(VALU_DEP_3) | instskip(SKIP_1) | instid1(VALU_DEP_3)
	v_add_co_u32 v0, vcc_lo, v0, s10
	s_wait_alu 0xfffd
	v_add_co_ci_u32_e64 v1, null, s11, v1, vcc_lo
	global_store_b64 v2, v[0:1], s[8:9]
	s_endpgm
	.section	.rodata,"a",@progbits
	.p2align	6, 0x0
	.amdhsa_kernel _ZN7rocprim17ROCPRIM_400000_NS6detail17trampoline_kernelINS0_14default_configENS1_25partition_config_selectorILNS1_17partition_subalgoE5EsNS0_10empty_typeEbEEZZNS1_14partition_implILS5_5ELb0ES3_mN6thrust23THRUST_200600_302600_NS6detail15normal_iteratorINSA_10device_ptrIsEEEEPS6_NSA_18transform_iteratorINSB_9not_fun_tI7is_trueIsEEENSC_INSD_IbEEEENSA_11use_defaultESO_EENS0_5tupleIJSF_S6_EEENSQ_IJSG_SG_EEES6_PlJS6_EEE10hipError_tPvRmT3_T4_T5_T6_T7_T9_mT8_P12ihipStream_tbDpT10_ENKUlT_T0_E_clISt17integral_constantIbLb0EES1D_EEDaS18_S19_EUlS18_E_NS1_11comp_targetILNS1_3genE10ELNS1_11target_archE1200ELNS1_3gpuE4ELNS1_3repE0EEENS1_30default_config_static_selectorELNS0_4arch9wavefront6targetE0EEEvT1_
		.amdhsa_group_segment_fixed_size 6160
		.amdhsa_private_segment_fixed_size 0
		.amdhsa_kernarg_size 120
		.amdhsa_user_sgpr_count 2
		.amdhsa_user_sgpr_dispatch_ptr 0
		.amdhsa_user_sgpr_queue_ptr 0
		.amdhsa_user_sgpr_kernarg_segment_ptr 1
		.amdhsa_user_sgpr_dispatch_id 0
		.amdhsa_user_sgpr_private_segment_size 0
		.amdhsa_wavefront_size32 1
		.amdhsa_uses_dynamic_stack 0
		.amdhsa_enable_private_segment 0
		.amdhsa_system_sgpr_workgroup_id_x 1
		.amdhsa_system_sgpr_workgroup_id_y 0
		.amdhsa_system_sgpr_workgroup_id_z 0
		.amdhsa_system_sgpr_workgroup_info 0
		.amdhsa_system_vgpr_workitem_id 0
		.amdhsa_next_free_vgpr 63
		.amdhsa_next_free_sgpr 21
		.amdhsa_reserve_vcc 1
		.amdhsa_float_round_mode_32 0
		.amdhsa_float_round_mode_16_64 0
		.amdhsa_float_denorm_mode_32 3
		.amdhsa_float_denorm_mode_16_64 3
		.amdhsa_fp16_overflow 0
		.amdhsa_workgroup_processor_mode 1
		.amdhsa_memory_ordered 1
		.amdhsa_forward_progress 1
		.amdhsa_inst_pref_size 81
		.amdhsa_round_robin_scheduling 0
		.amdhsa_exception_fp_ieee_invalid_op 0
		.amdhsa_exception_fp_denorm_src 0
		.amdhsa_exception_fp_ieee_div_zero 0
		.amdhsa_exception_fp_ieee_overflow 0
		.amdhsa_exception_fp_ieee_underflow 0
		.amdhsa_exception_fp_ieee_inexact 0
		.amdhsa_exception_int_div_zero 0
	.end_amdhsa_kernel
	.section	.text._ZN7rocprim17ROCPRIM_400000_NS6detail17trampoline_kernelINS0_14default_configENS1_25partition_config_selectorILNS1_17partition_subalgoE5EsNS0_10empty_typeEbEEZZNS1_14partition_implILS5_5ELb0ES3_mN6thrust23THRUST_200600_302600_NS6detail15normal_iteratorINSA_10device_ptrIsEEEEPS6_NSA_18transform_iteratorINSB_9not_fun_tI7is_trueIsEEENSC_INSD_IbEEEENSA_11use_defaultESO_EENS0_5tupleIJSF_S6_EEENSQ_IJSG_SG_EEES6_PlJS6_EEE10hipError_tPvRmT3_T4_T5_T6_T7_T9_mT8_P12ihipStream_tbDpT10_ENKUlT_T0_E_clISt17integral_constantIbLb0EES1D_EEDaS18_S19_EUlS18_E_NS1_11comp_targetILNS1_3genE10ELNS1_11target_archE1200ELNS1_3gpuE4ELNS1_3repE0EEENS1_30default_config_static_selectorELNS0_4arch9wavefront6targetE0EEEvT1_,"axG",@progbits,_ZN7rocprim17ROCPRIM_400000_NS6detail17trampoline_kernelINS0_14default_configENS1_25partition_config_selectorILNS1_17partition_subalgoE5EsNS0_10empty_typeEbEEZZNS1_14partition_implILS5_5ELb0ES3_mN6thrust23THRUST_200600_302600_NS6detail15normal_iteratorINSA_10device_ptrIsEEEEPS6_NSA_18transform_iteratorINSB_9not_fun_tI7is_trueIsEEENSC_INSD_IbEEEENSA_11use_defaultESO_EENS0_5tupleIJSF_S6_EEENSQ_IJSG_SG_EEES6_PlJS6_EEE10hipError_tPvRmT3_T4_T5_T6_T7_T9_mT8_P12ihipStream_tbDpT10_ENKUlT_T0_E_clISt17integral_constantIbLb0EES1D_EEDaS18_S19_EUlS18_E_NS1_11comp_targetILNS1_3genE10ELNS1_11target_archE1200ELNS1_3gpuE4ELNS1_3repE0EEENS1_30default_config_static_selectorELNS0_4arch9wavefront6targetE0EEEvT1_,comdat
.Lfunc_end2562:
	.size	_ZN7rocprim17ROCPRIM_400000_NS6detail17trampoline_kernelINS0_14default_configENS1_25partition_config_selectorILNS1_17partition_subalgoE5EsNS0_10empty_typeEbEEZZNS1_14partition_implILS5_5ELb0ES3_mN6thrust23THRUST_200600_302600_NS6detail15normal_iteratorINSA_10device_ptrIsEEEEPS6_NSA_18transform_iteratorINSB_9not_fun_tI7is_trueIsEEENSC_INSD_IbEEEENSA_11use_defaultESO_EENS0_5tupleIJSF_S6_EEENSQ_IJSG_SG_EEES6_PlJS6_EEE10hipError_tPvRmT3_T4_T5_T6_T7_T9_mT8_P12ihipStream_tbDpT10_ENKUlT_T0_E_clISt17integral_constantIbLb0EES1D_EEDaS18_S19_EUlS18_E_NS1_11comp_targetILNS1_3genE10ELNS1_11target_archE1200ELNS1_3gpuE4ELNS1_3repE0EEENS1_30default_config_static_selectorELNS0_4arch9wavefront6targetE0EEEvT1_, .Lfunc_end2562-_ZN7rocprim17ROCPRIM_400000_NS6detail17trampoline_kernelINS0_14default_configENS1_25partition_config_selectorILNS1_17partition_subalgoE5EsNS0_10empty_typeEbEEZZNS1_14partition_implILS5_5ELb0ES3_mN6thrust23THRUST_200600_302600_NS6detail15normal_iteratorINSA_10device_ptrIsEEEEPS6_NSA_18transform_iteratorINSB_9not_fun_tI7is_trueIsEEENSC_INSD_IbEEEENSA_11use_defaultESO_EENS0_5tupleIJSF_S6_EEENSQ_IJSG_SG_EEES6_PlJS6_EEE10hipError_tPvRmT3_T4_T5_T6_T7_T9_mT8_P12ihipStream_tbDpT10_ENKUlT_T0_E_clISt17integral_constantIbLb0EES1D_EEDaS18_S19_EUlS18_E_NS1_11comp_targetILNS1_3genE10ELNS1_11target_archE1200ELNS1_3gpuE4ELNS1_3repE0EEENS1_30default_config_static_selectorELNS0_4arch9wavefront6targetE0EEEvT1_
                                        ; -- End function
	.set _ZN7rocprim17ROCPRIM_400000_NS6detail17trampoline_kernelINS0_14default_configENS1_25partition_config_selectorILNS1_17partition_subalgoE5EsNS0_10empty_typeEbEEZZNS1_14partition_implILS5_5ELb0ES3_mN6thrust23THRUST_200600_302600_NS6detail15normal_iteratorINSA_10device_ptrIsEEEEPS6_NSA_18transform_iteratorINSB_9not_fun_tI7is_trueIsEEENSC_INSD_IbEEEENSA_11use_defaultESO_EENS0_5tupleIJSF_S6_EEENSQ_IJSG_SG_EEES6_PlJS6_EEE10hipError_tPvRmT3_T4_T5_T6_T7_T9_mT8_P12ihipStream_tbDpT10_ENKUlT_T0_E_clISt17integral_constantIbLb0EES1D_EEDaS18_S19_EUlS18_E_NS1_11comp_targetILNS1_3genE10ELNS1_11target_archE1200ELNS1_3gpuE4ELNS1_3repE0EEENS1_30default_config_static_selectorELNS0_4arch9wavefront6targetE0EEEvT1_.num_vgpr, 63
	.set _ZN7rocprim17ROCPRIM_400000_NS6detail17trampoline_kernelINS0_14default_configENS1_25partition_config_selectorILNS1_17partition_subalgoE5EsNS0_10empty_typeEbEEZZNS1_14partition_implILS5_5ELb0ES3_mN6thrust23THRUST_200600_302600_NS6detail15normal_iteratorINSA_10device_ptrIsEEEEPS6_NSA_18transform_iteratorINSB_9not_fun_tI7is_trueIsEEENSC_INSD_IbEEEENSA_11use_defaultESO_EENS0_5tupleIJSF_S6_EEENSQ_IJSG_SG_EEES6_PlJS6_EEE10hipError_tPvRmT3_T4_T5_T6_T7_T9_mT8_P12ihipStream_tbDpT10_ENKUlT_T0_E_clISt17integral_constantIbLb0EES1D_EEDaS18_S19_EUlS18_E_NS1_11comp_targetILNS1_3genE10ELNS1_11target_archE1200ELNS1_3gpuE4ELNS1_3repE0EEENS1_30default_config_static_selectorELNS0_4arch9wavefront6targetE0EEEvT1_.num_agpr, 0
	.set _ZN7rocprim17ROCPRIM_400000_NS6detail17trampoline_kernelINS0_14default_configENS1_25partition_config_selectorILNS1_17partition_subalgoE5EsNS0_10empty_typeEbEEZZNS1_14partition_implILS5_5ELb0ES3_mN6thrust23THRUST_200600_302600_NS6detail15normal_iteratorINSA_10device_ptrIsEEEEPS6_NSA_18transform_iteratorINSB_9not_fun_tI7is_trueIsEEENSC_INSD_IbEEEENSA_11use_defaultESO_EENS0_5tupleIJSF_S6_EEENSQ_IJSG_SG_EEES6_PlJS6_EEE10hipError_tPvRmT3_T4_T5_T6_T7_T9_mT8_P12ihipStream_tbDpT10_ENKUlT_T0_E_clISt17integral_constantIbLb0EES1D_EEDaS18_S19_EUlS18_E_NS1_11comp_targetILNS1_3genE10ELNS1_11target_archE1200ELNS1_3gpuE4ELNS1_3repE0EEENS1_30default_config_static_selectorELNS0_4arch9wavefront6targetE0EEEvT1_.numbered_sgpr, 21
	.set _ZN7rocprim17ROCPRIM_400000_NS6detail17trampoline_kernelINS0_14default_configENS1_25partition_config_selectorILNS1_17partition_subalgoE5EsNS0_10empty_typeEbEEZZNS1_14partition_implILS5_5ELb0ES3_mN6thrust23THRUST_200600_302600_NS6detail15normal_iteratorINSA_10device_ptrIsEEEEPS6_NSA_18transform_iteratorINSB_9not_fun_tI7is_trueIsEEENSC_INSD_IbEEEENSA_11use_defaultESO_EENS0_5tupleIJSF_S6_EEENSQ_IJSG_SG_EEES6_PlJS6_EEE10hipError_tPvRmT3_T4_T5_T6_T7_T9_mT8_P12ihipStream_tbDpT10_ENKUlT_T0_E_clISt17integral_constantIbLb0EES1D_EEDaS18_S19_EUlS18_E_NS1_11comp_targetILNS1_3genE10ELNS1_11target_archE1200ELNS1_3gpuE4ELNS1_3repE0EEENS1_30default_config_static_selectorELNS0_4arch9wavefront6targetE0EEEvT1_.num_named_barrier, 0
	.set _ZN7rocprim17ROCPRIM_400000_NS6detail17trampoline_kernelINS0_14default_configENS1_25partition_config_selectorILNS1_17partition_subalgoE5EsNS0_10empty_typeEbEEZZNS1_14partition_implILS5_5ELb0ES3_mN6thrust23THRUST_200600_302600_NS6detail15normal_iteratorINSA_10device_ptrIsEEEEPS6_NSA_18transform_iteratorINSB_9not_fun_tI7is_trueIsEEENSC_INSD_IbEEEENSA_11use_defaultESO_EENS0_5tupleIJSF_S6_EEENSQ_IJSG_SG_EEES6_PlJS6_EEE10hipError_tPvRmT3_T4_T5_T6_T7_T9_mT8_P12ihipStream_tbDpT10_ENKUlT_T0_E_clISt17integral_constantIbLb0EES1D_EEDaS18_S19_EUlS18_E_NS1_11comp_targetILNS1_3genE10ELNS1_11target_archE1200ELNS1_3gpuE4ELNS1_3repE0EEENS1_30default_config_static_selectorELNS0_4arch9wavefront6targetE0EEEvT1_.private_seg_size, 0
	.set _ZN7rocprim17ROCPRIM_400000_NS6detail17trampoline_kernelINS0_14default_configENS1_25partition_config_selectorILNS1_17partition_subalgoE5EsNS0_10empty_typeEbEEZZNS1_14partition_implILS5_5ELb0ES3_mN6thrust23THRUST_200600_302600_NS6detail15normal_iteratorINSA_10device_ptrIsEEEEPS6_NSA_18transform_iteratorINSB_9not_fun_tI7is_trueIsEEENSC_INSD_IbEEEENSA_11use_defaultESO_EENS0_5tupleIJSF_S6_EEENSQ_IJSG_SG_EEES6_PlJS6_EEE10hipError_tPvRmT3_T4_T5_T6_T7_T9_mT8_P12ihipStream_tbDpT10_ENKUlT_T0_E_clISt17integral_constantIbLb0EES1D_EEDaS18_S19_EUlS18_E_NS1_11comp_targetILNS1_3genE10ELNS1_11target_archE1200ELNS1_3gpuE4ELNS1_3repE0EEENS1_30default_config_static_selectorELNS0_4arch9wavefront6targetE0EEEvT1_.uses_vcc, 1
	.set _ZN7rocprim17ROCPRIM_400000_NS6detail17trampoline_kernelINS0_14default_configENS1_25partition_config_selectorILNS1_17partition_subalgoE5EsNS0_10empty_typeEbEEZZNS1_14partition_implILS5_5ELb0ES3_mN6thrust23THRUST_200600_302600_NS6detail15normal_iteratorINSA_10device_ptrIsEEEEPS6_NSA_18transform_iteratorINSB_9not_fun_tI7is_trueIsEEENSC_INSD_IbEEEENSA_11use_defaultESO_EENS0_5tupleIJSF_S6_EEENSQ_IJSG_SG_EEES6_PlJS6_EEE10hipError_tPvRmT3_T4_T5_T6_T7_T9_mT8_P12ihipStream_tbDpT10_ENKUlT_T0_E_clISt17integral_constantIbLb0EES1D_EEDaS18_S19_EUlS18_E_NS1_11comp_targetILNS1_3genE10ELNS1_11target_archE1200ELNS1_3gpuE4ELNS1_3repE0EEENS1_30default_config_static_selectorELNS0_4arch9wavefront6targetE0EEEvT1_.uses_flat_scratch, 1
	.set _ZN7rocprim17ROCPRIM_400000_NS6detail17trampoline_kernelINS0_14default_configENS1_25partition_config_selectorILNS1_17partition_subalgoE5EsNS0_10empty_typeEbEEZZNS1_14partition_implILS5_5ELb0ES3_mN6thrust23THRUST_200600_302600_NS6detail15normal_iteratorINSA_10device_ptrIsEEEEPS6_NSA_18transform_iteratorINSB_9not_fun_tI7is_trueIsEEENSC_INSD_IbEEEENSA_11use_defaultESO_EENS0_5tupleIJSF_S6_EEENSQ_IJSG_SG_EEES6_PlJS6_EEE10hipError_tPvRmT3_T4_T5_T6_T7_T9_mT8_P12ihipStream_tbDpT10_ENKUlT_T0_E_clISt17integral_constantIbLb0EES1D_EEDaS18_S19_EUlS18_E_NS1_11comp_targetILNS1_3genE10ELNS1_11target_archE1200ELNS1_3gpuE4ELNS1_3repE0EEENS1_30default_config_static_selectorELNS0_4arch9wavefront6targetE0EEEvT1_.has_dyn_sized_stack, 0
	.set _ZN7rocprim17ROCPRIM_400000_NS6detail17trampoline_kernelINS0_14default_configENS1_25partition_config_selectorILNS1_17partition_subalgoE5EsNS0_10empty_typeEbEEZZNS1_14partition_implILS5_5ELb0ES3_mN6thrust23THRUST_200600_302600_NS6detail15normal_iteratorINSA_10device_ptrIsEEEEPS6_NSA_18transform_iteratorINSB_9not_fun_tI7is_trueIsEEENSC_INSD_IbEEEENSA_11use_defaultESO_EENS0_5tupleIJSF_S6_EEENSQ_IJSG_SG_EEES6_PlJS6_EEE10hipError_tPvRmT3_T4_T5_T6_T7_T9_mT8_P12ihipStream_tbDpT10_ENKUlT_T0_E_clISt17integral_constantIbLb0EES1D_EEDaS18_S19_EUlS18_E_NS1_11comp_targetILNS1_3genE10ELNS1_11target_archE1200ELNS1_3gpuE4ELNS1_3repE0EEENS1_30default_config_static_selectorELNS0_4arch9wavefront6targetE0EEEvT1_.has_recursion, 0
	.set _ZN7rocprim17ROCPRIM_400000_NS6detail17trampoline_kernelINS0_14default_configENS1_25partition_config_selectorILNS1_17partition_subalgoE5EsNS0_10empty_typeEbEEZZNS1_14partition_implILS5_5ELb0ES3_mN6thrust23THRUST_200600_302600_NS6detail15normal_iteratorINSA_10device_ptrIsEEEEPS6_NSA_18transform_iteratorINSB_9not_fun_tI7is_trueIsEEENSC_INSD_IbEEEENSA_11use_defaultESO_EENS0_5tupleIJSF_S6_EEENSQ_IJSG_SG_EEES6_PlJS6_EEE10hipError_tPvRmT3_T4_T5_T6_T7_T9_mT8_P12ihipStream_tbDpT10_ENKUlT_T0_E_clISt17integral_constantIbLb0EES1D_EEDaS18_S19_EUlS18_E_NS1_11comp_targetILNS1_3genE10ELNS1_11target_archE1200ELNS1_3gpuE4ELNS1_3repE0EEENS1_30default_config_static_selectorELNS0_4arch9wavefront6targetE0EEEvT1_.has_indirect_call, 0
	.section	.AMDGPU.csdata,"",@progbits
; Kernel info:
; codeLenInByte = 10268
; TotalNumSgprs: 23
; NumVgprs: 63
; ScratchSize: 0
; MemoryBound: 0
; FloatMode: 240
; IeeeMode: 1
; LDSByteSize: 6160 bytes/workgroup (compile time only)
; SGPRBlocks: 0
; VGPRBlocks: 7
; NumSGPRsForWavesPerEU: 23
; NumVGPRsForWavesPerEU: 63
; Occupancy: 16
; WaveLimiterHint : 1
; COMPUTE_PGM_RSRC2:SCRATCH_EN: 0
; COMPUTE_PGM_RSRC2:USER_SGPR: 2
; COMPUTE_PGM_RSRC2:TRAP_HANDLER: 0
; COMPUTE_PGM_RSRC2:TGID_X_EN: 1
; COMPUTE_PGM_RSRC2:TGID_Y_EN: 0
; COMPUTE_PGM_RSRC2:TGID_Z_EN: 0
; COMPUTE_PGM_RSRC2:TIDIG_COMP_CNT: 0
	.section	.text._ZN7rocprim17ROCPRIM_400000_NS6detail17trampoline_kernelINS0_14default_configENS1_25partition_config_selectorILNS1_17partition_subalgoE5EsNS0_10empty_typeEbEEZZNS1_14partition_implILS5_5ELb0ES3_mN6thrust23THRUST_200600_302600_NS6detail15normal_iteratorINSA_10device_ptrIsEEEEPS6_NSA_18transform_iteratorINSB_9not_fun_tI7is_trueIsEEENSC_INSD_IbEEEENSA_11use_defaultESO_EENS0_5tupleIJSF_S6_EEENSQ_IJSG_SG_EEES6_PlJS6_EEE10hipError_tPvRmT3_T4_T5_T6_T7_T9_mT8_P12ihipStream_tbDpT10_ENKUlT_T0_E_clISt17integral_constantIbLb0EES1D_EEDaS18_S19_EUlS18_E_NS1_11comp_targetILNS1_3genE9ELNS1_11target_archE1100ELNS1_3gpuE3ELNS1_3repE0EEENS1_30default_config_static_selectorELNS0_4arch9wavefront6targetE0EEEvT1_,"axG",@progbits,_ZN7rocprim17ROCPRIM_400000_NS6detail17trampoline_kernelINS0_14default_configENS1_25partition_config_selectorILNS1_17partition_subalgoE5EsNS0_10empty_typeEbEEZZNS1_14partition_implILS5_5ELb0ES3_mN6thrust23THRUST_200600_302600_NS6detail15normal_iteratorINSA_10device_ptrIsEEEEPS6_NSA_18transform_iteratorINSB_9not_fun_tI7is_trueIsEEENSC_INSD_IbEEEENSA_11use_defaultESO_EENS0_5tupleIJSF_S6_EEENSQ_IJSG_SG_EEES6_PlJS6_EEE10hipError_tPvRmT3_T4_T5_T6_T7_T9_mT8_P12ihipStream_tbDpT10_ENKUlT_T0_E_clISt17integral_constantIbLb0EES1D_EEDaS18_S19_EUlS18_E_NS1_11comp_targetILNS1_3genE9ELNS1_11target_archE1100ELNS1_3gpuE3ELNS1_3repE0EEENS1_30default_config_static_selectorELNS0_4arch9wavefront6targetE0EEEvT1_,comdat
	.protected	_ZN7rocprim17ROCPRIM_400000_NS6detail17trampoline_kernelINS0_14default_configENS1_25partition_config_selectorILNS1_17partition_subalgoE5EsNS0_10empty_typeEbEEZZNS1_14partition_implILS5_5ELb0ES3_mN6thrust23THRUST_200600_302600_NS6detail15normal_iteratorINSA_10device_ptrIsEEEEPS6_NSA_18transform_iteratorINSB_9not_fun_tI7is_trueIsEEENSC_INSD_IbEEEENSA_11use_defaultESO_EENS0_5tupleIJSF_S6_EEENSQ_IJSG_SG_EEES6_PlJS6_EEE10hipError_tPvRmT3_T4_T5_T6_T7_T9_mT8_P12ihipStream_tbDpT10_ENKUlT_T0_E_clISt17integral_constantIbLb0EES1D_EEDaS18_S19_EUlS18_E_NS1_11comp_targetILNS1_3genE9ELNS1_11target_archE1100ELNS1_3gpuE3ELNS1_3repE0EEENS1_30default_config_static_selectorELNS0_4arch9wavefront6targetE0EEEvT1_ ; -- Begin function _ZN7rocprim17ROCPRIM_400000_NS6detail17trampoline_kernelINS0_14default_configENS1_25partition_config_selectorILNS1_17partition_subalgoE5EsNS0_10empty_typeEbEEZZNS1_14partition_implILS5_5ELb0ES3_mN6thrust23THRUST_200600_302600_NS6detail15normal_iteratorINSA_10device_ptrIsEEEEPS6_NSA_18transform_iteratorINSB_9not_fun_tI7is_trueIsEEENSC_INSD_IbEEEENSA_11use_defaultESO_EENS0_5tupleIJSF_S6_EEENSQ_IJSG_SG_EEES6_PlJS6_EEE10hipError_tPvRmT3_T4_T5_T6_T7_T9_mT8_P12ihipStream_tbDpT10_ENKUlT_T0_E_clISt17integral_constantIbLb0EES1D_EEDaS18_S19_EUlS18_E_NS1_11comp_targetILNS1_3genE9ELNS1_11target_archE1100ELNS1_3gpuE3ELNS1_3repE0EEENS1_30default_config_static_selectorELNS0_4arch9wavefront6targetE0EEEvT1_
	.globl	_ZN7rocprim17ROCPRIM_400000_NS6detail17trampoline_kernelINS0_14default_configENS1_25partition_config_selectorILNS1_17partition_subalgoE5EsNS0_10empty_typeEbEEZZNS1_14partition_implILS5_5ELb0ES3_mN6thrust23THRUST_200600_302600_NS6detail15normal_iteratorINSA_10device_ptrIsEEEEPS6_NSA_18transform_iteratorINSB_9not_fun_tI7is_trueIsEEENSC_INSD_IbEEEENSA_11use_defaultESO_EENS0_5tupleIJSF_S6_EEENSQ_IJSG_SG_EEES6_PlJS6_EEE10hipError_tPvRmT3_T4_T5_T6_T7_T9_mT8_P12ihipStream_tbDpT10_ENKUlT_T0_E_clISt17integral_constantIbLb0EES1D_EEDaS18_S19_EUlS18_E_NS1_11comp_targetILNS1_3genE9ELNS1_11target_archE1100ELNS1_3gpuE3ELNS1_3repE0EEENS1_30default_config_static_selectorELNS0_4arch9wavefront6targetE0EEEvT1_
	.p2align	8
	.type	_ZN7rocprim17ROCPRIM_400000_NS6detail17trampoline_kernelINS0_14default_configENS1_25partition_config_selectorILNS1_17partition_subalgoE5EsNS0_10empty_typeEbEEZZNS1_14partition_implILS5_5ELb0ES3_mN6thrust23THRUST_200600_302600_NS6detail15normal_iteratorINSA_10device_ptrIsEEEEPS6_NSA_18transform_iteratorINSB_9not_fun_tI7is_trueIsEEENSC_INSD_IbEEEENSA_11use_defaultESO_EENS0_5tupleIJSF_S6_EEENSQ_IJSG_SG_EEES6_PlJS6_EEE10hipError_tPvRmT3_T4_T5_T6_T7_T9_mT8_P12ihipStream_tbDpT10_ENKUlT_T0_E_clISt17integral_constantIbLb0EES1D_EEDaS18_S19_EUlS18_E_NS1_11comp_targetILNS1_3genE9ELNS1_11target_archE1100ELNS1_3gpuE3ELNS1_3repE0EEENS1_30default_config_static_selectorELNS0_4arch9wavefront6targetE0EEEvT1_,@function
_ZN7rocprim17ROCPRIM_400000_NS6detail17trampoline_kernelINS0_14default_configENS1_25partition_config_selectorILNS1_17partition_subalgoE5EsNS0_10empty_typeEbEEZZNS1_14partition_implILS5_5ELb0ES3_mN6thrust23THRUST_200600_302600_NS6detail15normal_iteratorINSA_10device_ptrIsEEEEPS6_NSA_18transform_iteratorINSB_9not_fun_tI7is_trueIsEEENSC_INSD_IbEEEENSA_11use_defaultESO_EENS0_5tupleIJSF_S6_EEENSQ_IJSG_SG_EEES6_PlJS6_EEE10hipError_tPvRmT3_T4_T5_T6_T7_T9_mT8_P12ihipStream_tbDpT10_ENKUlT_T0_E_clISt17integral_constantIbLb0EES1D_EEDaS18_S19_EUlS18_E_NS1_11comp_targetILNS1_3genE9ELNS1_11target_archE1100ELNS1_3gpuE3ELNS1_3repE0EEENS1_30default_config_static_selectorELNS0_4arch9wavefront6targetE0EEEvT1_: ; @_ZN7rocprim17ROCPRIM_400000_NS6detail17trampoline_kernelINS0_14default_configENS1_25partition_config_selectorILNS1_17partition_subalgoE5EsNS0_10empty_typeEbEEZZNS1_14partition_implILS5_5ELb0ES3_mN6thrust23THRUST_200600_302600_NS6detail15normal_iteratorINSA_10device_ptrIsEEEEPS6_NSA_18transform_iteratorINSB_9not_fun_tI7is_trueIsEEENSC_INSD_IbEEEENSA_11use_defaultESO_EENS0_5tupleIJSF_S6_EEENSQ_IJSG_SG_EEES6_PlJS6_EEE10hipError_tPvRmT3_T4_T5_T6_T7_T9_mT8_P12ihipStream_tbDpT10_ENKUlT_T0_E_clISt17integral_constantIbLb0EES1D_EEDaS18_S19_EUlS18_E_NS1_11comp_targetILNS1_3genE9ELNS1_11target_archE1100ELNS1_3gpuE3ELNS1_3repE0EEENS1_30default_config_static_selectorELNS0_4arch9wavefront6targetE0EEEvT1_
; %bb.0:
	.section	.rodata,"a",@progbits
	.p2align	6, 0x0
	.amdhsa_kernel _ZN7rocprim17ROCPRIM_400000_NS6detail17trampoline_kernelINS0_14default_configENS1_25partition_config_selectorILNS1_17partition_subalgoE5EsNS0_10empty_typeEbEEZZNS1_14partition_implILS5_5ELb0ES3_mN6thrust23THRUST_200600_302600_NS6detail15normal_iteratorINSA_10device_ptrIsEEEEPS6_NSA_18transform_iteratorINSB_9not_fun_tI7is_trueIsEEENSC_INSD_IbEEEENSA_11use_defaultESO_EENS0_5tupleIJSF_S6_EEENSQ_IJSG_SG_EEES6_PlJS6_EEE10hipError_tPvRmT3_T4_T5_T6_T7_T9_mT8_P12ihipStream_tbDpT10_ENKUlT_T0_E_clISt17integral_constantIbLb0EES1D_EEDaS18_S19_EUlS18_E_NS1_11comp_targetILNS1_3genE9ELNS1_11target_archE1100ELNS1_3gpuE3ELNS1_3repE0EEENS1_30default_config_static_selectorELNS0_4arch9wavefront6targetE0EEEvT1_
		.amdhsa_group_segment_fixed_size 0
		.amdhsa_private_segment_fixed_size 0
		.amdhsa_kernarg_size 120
		.amdhsa_user_sgpr_count 2
		.amdhsa_user_sgpr_dispatch_ptr 0
		.amdhsa_user_sgpr_queue_ptr 0
		.amdhsa_user_sgpr_kernarg_segment_ptr 1
		.amdhsa_user_sgpr_dispatch_id 0
		.amdhsa_user_sgpr_private_segment_size 0
		.amdhsa_wavefront_size32 1
		.amdhsa_uses_dynamic_stack 0
		.amdhsa_enable_private_segment 0
		.amdhsa_system_sgpr_workgroup_id_x 1
		.amdhsa_system_sgpr_workgroup_id_y 0
		.amdhsa_system_sgpr_workgroup_id_z 0
		.amdhsa_system_sgpr_workgroup_info 0
		.amdhsa_system_vgpr_workitem_id 0
		.amdhsa_next_free_vgpr 1
		.amdhsa_next_free_sgpr 1
		.amdhsa_reserve_vcc 0
		.amdhsa_float_round_mode_32 0
		.amdhsa_float_round_mode_16_64 0
		.amdhsa_float_denorm_mode_32 3
		.amdhsa_float_denorm_mode_16_64 3
		.amdhsa_fp16_overflow 0
		.amdhsa_workgroup_processor_mode 1
		.amdhsa_memory_ordered 1
		.amdhsa_forward_progress 1
		.amdhsa_inst_pref_size 0
		.amdhsa_round_robin_scheduling 0
		.amdhsa_exception_fp_ieee_invalid_op 0
		.amdhsa_exception_fp_denorm_src 0
		.amdhsa_exception_fp_ieee_div_zero 0
		.amdhsa_exception_fp_ieee_overflow 0
		.amdhsa_exception_fp_ieee_underflow 0
		.amdhsa_exception_fp_ieee_inexact 0
		.amdhsa_exception_int_div_zero 0
	.end_amdhsa_kernel
	.section	.text._ZN7rocprim17ROCPRIM_400000_NS6detail17trampoline_kernelINS0_14default_configENS1_25partition_config_selectorILNS1_17partition_subalgoE5EsNS0_10empty_typeEbEEZZNS1_14partition_implILS5_5ELb0ES3_mN6thrust23THRUST_200600_302600_NS6detail15normal_iteratorINSA_10device_ptrIsEEEEPS6_NSA_18transform_iteratorINSB_9not_fun_tI7is_trueIsEEENSC_INSD_IbEEEENSA_11use_defaultESO_EENS0_5tupleIJSF_S6_EEENSQ_IJSG_SG_EEES6_PlJS6_EEE10hipError_tPvRmT3_T4_T5_T6_T7_T9_mT8_P12ihipStream_tbDpT10_ENKUlT_T0_E_clISt17integral_constantIbLb0EES1D_EEDaS18_S19_EUlS18_E_NS1_11comp_targetILNS1_3genE9ELNS1_11target_archE1100ELNS1_3gpuE3ELNS1_3repE0EEENS1_30default_config_static_selectorELNS0_4arch9wavefront6targetE0EEEvT1_,"axG",@progbits,_ZN7rocprim17ROCPRIM_400000_NS6detail17trampoline_kernelINS0_14default_configENS1_25partition_config_selectorILNS1_17partition_subalgoE5EsNS0_10empty_typeEbEEZZNS1_14partition_implILS5_5ELb0ES3_mN6thrust23THRUST_200600_302600_NS6detail15normal_iteratorINSA_10device_ptrIsEEEEPS6_NSA_18transform_iteratorINSB_9not_fun_tI7is_trueIsEEENSC_INSD_IbEEEENSA_11use_defaultESO_EENS0_5tupleIJSF_S6_EEENSQ_IJSG_SG_EEES6_PlJS6_EEE10hipError_tPvRmT3_T4_T5_T6_T7_T9_mT8_P12ihipStream_tbDpT10_ENKUlT_T0_E_clISt17integral_constantIbLb0EES1D_EEDaS18_S19_EUlS18_E_NS1_11comp_targetILNS1_3genE9ELNS1_11target_archE1100ELNS1_3gpuE3ELNS1_3repE0EEENS1_30default_config_static_selectorELNS0_4arch9wavefront6targetE0EEEvT1_,comdat
.Lfunc_end2563:
	.size	_ZN7rocprim17ROCPRIM_400000_NS6detail17trampoline_kernelINS0_14default_configENS1_25partition_config_selectorILNS1_17partition_subalgoE5EsNS0_10empty_typeEbEEZZNS1_14partition_implILS5_5ELb0ES3_mN6thrust23THRUST_200600_302600_NS6detail15normal_iteratorINSA_10device_ptrIsEEEEPS6_NSA_18transform_iteratorINSB_9not_fun_tI7is_trueIsEEENSC_INSD_IbEEEENSA_11use_defaultESO_EENS0_5tupleIJSF_S6_EEENSQ_IJSG_SG_EEES6_PlJS6_EEE10hipError_tPvRmT3_T4_T5_T6_T7_T9_mT8_P12ihipStream_tbDpT10_ENKUlT_T0_E_clISt17integral_constantIbLb0EES1D_EEDaS18_S19_EUlS18_E_NS1_11comp_targetILNS1_3genE9ELNS1_11target_archE1100ELNS1_3gpuE3ELNS1_3repE0EEENS1_30default_config_static_selectorELNS0_4arch9wavefront6targetE0EEEvT1_, .Lfunc_end2563-_ZN7rocprim17ROCPRIM_400000_NS6detail17trampoline_kernelINS0_14default_configENS1_25partition_config_selectorILNS1_17partition_subalgoE5EsNS0_10empty_typeEbEEZZNS1_14partition_implILS5_5ELb0ES3_mN6thrust23THRUST_200600_302600_NS6detail15normal_iteratorINSA_10device_ptrIsEEEEPS6_NSA_18transform_iteratorINSB_9not_fun_tI7is_trueIsEEENSC_INSD_IbEEEENSA_11use_defaultESO_EENS0_5tupleIJSF_S6_EEENSQ_IJSG_SG_EEES6_PlJS6_EEE10hipError_tPvRmT3_T4_T5_T6_T7_T9_mT8_P12ihipStream_tbDpT10_ENKUlT_T0_E_clISt17integral_constantIbLb0EES1D_EEDaS18_S19_EUlS18_E_NS1_11comp_targetILNS1_3genE9ELNS1_11target_archE1100ELNS1_3gpuE3ELNS1_3repE0EEENS1_30default_config_static_selectorELNS0_4arch9wavefront6targetE0EEEvT1_
                                        ; -- End function
	.set _ZN7rocprim17ROCPRIM_400000_NS6detail17trampoline_kernelINS0_14default_configENS1_25partition_config_selectorILNS1_17partition_subalgoE5EsNS0_10empty_typeEbEEZZNS1_14partition_implILS5_5ELb0ES3_mN6thrust23THRUST_200600_302600_NS6detail15normal_iteratorINSA_10device_ptrIsEEEEPS6_NSA_18transform_iteratorINSB_9not_fun_tI7is_trueIsEEENSC_INSD_IbEEEENSA_11use_defaultESO_EENS0_5tupleIJSF_S6_EEENSQ_IJSG_SG_EEES6_PlJS6_EEE10hipError_tPvRmT3_T4_T5_T6_T7_T9_mT8_P12ihipStream_tbDpT10_ENKUlT_T0_E_clISt17integral_constantIbLb0EES1D_EEDaS18_S19_EUlS18_E_NS1_11comp_targetILNS1_3genE9ELNS1_11target_archE1100ELNS1_3gpuE3ELNS1_3repE0EEENS1_30default_config_static_selectorELNS0_4arch9wavefront6targetE0EEEvT1_.num_vgpr, 0
	.set _ZN7rocprim17ROCPRIM_400000_NS6detail17trampoline_kernelINS0_14default_configENS1_25partition_config_selectorILNS1_17partition_subalgoE5EsNS0_10empty_typeEbEEZZNS1_14partition_implILS5_5ELb0ES3_mN6thrust23THRUST_200600_302600_NS6detail15normal_iteratorINSA_10device_ptrIsEEEEPS6_NSA_18transform_iteratorINSB_9not_fun_tI7is_trueIsEEENSC_INSD_IbEEEENSA_11use_defaultESO_EENS0_5tupleIJSF_S6_EEENSQ_IJSG_SG_EEES6_PlJS6_EEE10hipError_tPvRmT3_T4_T5_T6_T7_T9_mT8_P12ihipStream_tbDpT10_ENKUlT_T0_E_clISt17integral_constantIbLb0EES1D_EEDaS18_S19_EUlS18_E_NS1_11comp_targetILNS1_3genE9ELNS1_11target_archE1100ELNS1_3gpuE3ELNS1_3repE0EEENS1_30default_config_static_selectorELNS0_4arch9wavefront6targetE0EEEvT1_.num_agpr, 0
	.set _ZN7rocprim17ROCPRIM_400000_NS6detail17trampoline_kernelINS0_14default_configENS1_25partition_config_selectorILNS1_17partition_subalgoE5EsNS0_10empty_typeEbEEZZNS1_14partition_implILS5_5ELb0ES3_mN6thrust23THRUST_200600_302600_NS6detail15normal_iteratorINSA_10device_ptrIsEEEEPS6_NSA_18transform_iteratorINSB_9not_fun_tI7is_trueIsEEENSC_INSD_IbEEEENSA_11use_defaultESO_EENS0_5tupleIJSF_S6_EEENSQ_IJSG_SG_EEES6_PlJS6_EEE10hipError_tPvRmT3_T4_T5_T6_T7_T9_mT8_P12ihipStream_tbDpT10_ENKUlT_T0_E_clISt17integral_constantIbLb0EES1D_EEDaS18_S19_EUlS18_E_NS1_11comp_targetILNS1_3genE9ELNS1_11target_archE1100ELNS1_3gpuE3ELNS1_3repE0EEENS1_30default_config_static_selectorELNS0_4arch9wavefront6targetE0EEEvT1_.numbered_sgpr, 0
	.set _ZN7rocprim17ROCPRIM_400000_NS6detail17trampoline_kernelINS0_14default_configENS1_25partition_config_selectorILNS1_17partition_subalgoE5EsNS0_10empty_typeEbEEZZNS1_14partition_implILS5_5ELb0ES3_mN6thrust23THRUST_200600_302600_NS6detail15normal_iteratorINSA_10device_ptrIsEEEEPS6_NSA_18transform_iteratorINSB_9not_fun_tI7is_trueIsEEENSC_INSD_IbEEEENSA_11use_defaultESO_EENS0_5tupleIJSF_S6_EEENSQ_IJSG_SG_EEES6_PlJS6_EEE10hipError_tPvRmT3_T4_T5_T6_T7_T9_mT8_P12ihipStream_tbDpT10_ENKUlT_T0_E_clISt17integral_constantIbLb0EES1D_EEDaS18_S19_EUlS18_E_NS1_11comp_targetILNS1_3genE9ELNS1_11target_archE1100ELNS1_3gpuE3ELNS1_3repE0EEENS1_30default_config_static_selectorELNS0_4arch9wavefront6targetE0EEEvT1_.num_named_barrier, 0
	.set _ZN7rocprim17ROCPRIM_400000_NS6detail17trampoline_kernelINS0_14default_configENS1_25partition_config_selectorILNS1_17partition_subalgoE5EsNS0_10empty_typeEbEEZZNS1_14partition_implILS5_5ELb0ES3_mN6thrust23THRUST_200600_302600_NS6detail15normal_iteratorINSA_10device_ptrIsEEEEPS6_NSA_18transform_iteratorINSB_9not_fun_tI7is_trueIsEEENSC_INSD_IbEEEENSA_11use_defaultESO_EENS0_5tupleIJSF_S6_EEENSQ_IJSG_SG_EEES6_PlJS6_EEE10hipError_tPvRmT3_T4_T5_T6_T7_T9_mT8_P12ihipStream_tbDpT10_ENKUlT_T0_E_clISt17integral_constantIbLb0EES1D_EEDaS18_S19_EUlS18_E_NS1_11comp_targetILNS1_3genE9ELNS1_11target_archE1100ELNS1_3gpuE3ELNS1_3repE0EEENS1_30default_config_static_selectorELNS0_4arch9wavefront6targetE0EEEvT1_.private_seg_size, 0
	.set _ZN7rocprim17ROCPRIM_400000_NS6detail17trampoline_kernelINS0_14default_configENS1_25partition_config_selectorILNS1_17partition_subalgoE5EsNS0_10empty_typeEbEEZZNS1_14partition_implILS5_5ELb0ES3_mN6thrust23THRUST_200600_302600_NS6detail15normal_iteratorINSA_10device_ptrIsEEEEPS6_NSA_18transform_iteratorINSB_9not_fun_tI7is_trueIsEEENSC_INSD_IbEEEENSA_11use_defaultESO_EENS0_5tupleIJSF_S6_EEENSQ_IJSG_SG_EEES6_PlJS6_EEE10hipError_tPvRmT3_T4_T5_T6_T7_T9_mT8_P12ihipStream_tbDpT10_ENKUlT_T0_E_clISt17integral_constantIbLb0EES1D_EEDaS18_S19_EUlS18_E_NS1_11comp_targetILNS1_3genE9ELNS1_11target_archE1100ELNS1_3gpuE3ELNS1_3repE0EEENS1_30default_config_static_selectorELNS0_4arch9wavefront6targetE0EEEvT1_.uses_vcc, 0
	.set _ZN7rocprim17ROCPRIM_400000_NS6detail17trampoline_kernelINS0_14default_configENS1_25partition_config_selectorILNS1_17partition_subalgoE5EsNS0_10empty_typeEbEEZZNS1_14partition_implILS5_5ELb0ES3_mN6thrust23THRUST_200600_302600_NS6detail15normal_iteratorINSA_10device_ptrIsEEEEPS6_NSA_18transform_iteratorINSB_9not_fun_tI7is_trueIsEEENSC_INSD_IbEEEENSA_11use_defaultESO_EENS0_5tupleIJSF_S6_EEENSQ_IJSG_SG_EEES6_PlJS6_EEE10hipError_tPvRmT3_T4_T5_T6_T7_T9_mT8_P12ihipStream_tbDpT10_ENKUlT_T0_E_clISt17integral_constantIbLb0EES1D_EEDaS18_S19_EUlS18_E_NS1_11comp_targetILNS1_3genE9ELNS1_11target_archE1100ELNS1_3gpuE3ELNS1_3repE0EEENS1_30default_config_static_selectorELNS0_4arch9wavefront6targetE0EEEvT1_.uses_flat_scratch, 0
	.set _ZN7rocprim17ROCPRIM_400000_NS6detail17trampoline_kernelINS0_14default_configENS1_25partition_config_selectorILNS1_17partition_subalgoE5EsNS0_10empty_typeEbEEZZNS1_14partition_implILS5_5ELb0ES3_mN6thrust23THRUST_200600_302600_NS6detail15normal_iteratorINSA_10device_ptrIsEEEEPS6_NSA_18transform_iteratorINSB_9not_fun_tI7is_trueIsEEENSC_INSD_IbEEEENSA_11use_defaultESO_EENS0_5tupleIJSF_S6_EEENSQ_IJSG_SG_EEES6_PlJS6_EEE10hipError_tPvRmT3_T4_T5_T6_T7_T9_mT8_P12ihipStream_tbDpT10_ENKUlT_T0_E_clISt17integral_constantIbLb0EES1D_EEDaS18_S19_EUlS18_E_NS1_11comp_targetILNS1_3genE9ELNS1_11target_archE1100ELNS1_3gpuE3ELNS1_3repE0EEENS1_30default_config_static_selectorELNS0_4arch9wavefront6targetE0EEEvT1_.has_dyn_sized_stack, 0
	.set _ZN7rocprim17ROCPRIM_400000_NS6detail17trampoline_kernelINS0_14default_configENS1_25partition_config_selectorILNS1_17partition_subalgoE5EsNS0_10empty_typeEbEEZZNS1_14partition_implILS5_5ELb0ES3_mN6thrust23THRUST_200600_302600_NS6detail15normal_iteratorINSA_10device_ptrIsEEEEPS6_NSA_18transform_iteratorINSB_9not_fun_tI7is_trueIsEEENSC_INSD_IbEEEENSA_11use_defaultESO_EENS0_5tupleIJSF_S6_EEENSQ_IJSG_SG_EEES6_PlJS6_EEE10hipError_tPvRmT3_T4_T5_T6_T7_T9_mT8_P12ihipStream_tbDpT10_ENKUlT_T0_E_clISt17integral_constantIbLb0EES1D_EEDaS18_S19_EUlS18_E_NS1_11comp_targetILNS1_3genE9ELNS1_11target_archE1100ELNS1_3gpuE3ELNS1_3repE0EEENS1_30default_config_static_selectorELNS0_4arch9wavefront6targetE0EEEvT1_.has_recursion, 0
	.set _ZN7rocprim17ROCPRIM_400000_NS6detail17trampoline_kernelINS0_14default_configENS1_25partition_config_selectorILNS1_17partition_subalgoE5EsNS0_10empty_typeEbEEZZNS1_14partition_implILS5_5ELb0ES3_mN6thrust23THRUST_200600_302600_NS6detail15normal_iteratorINSA_10device_ptrIsEEEEPS6_NSA_18transform_iteratorINSB_9not_fun_tI7is_trueIsEEENSC_INSD_IbEEEENSA_11use_defaultESO_EENS0_5tupleIJSF_S6_EEENSQ_IJSG_SG_EEES6_PlJS6_EEE10hipError_tPvRmT3_T4_T5_T6_T7_T9_mT8_P12ihipStream_tbDpT10_ENKUlT_T0_E_clISt17integral_constantIbLb0EES1D_EEDaS18_S19_EUlS18_E_NS1_11comp_targetILNS1_3genE9ELNS1_11target_archE1100ELNS1_3gpuE3ELNS1_3repE0EEENS1_30default_config_static_selectorELNS0_4arch9wavefront6targetE0EEEvT1_.has_indirect_call, 0
	.section	.AMDGPU.csdata,"",@progbits
; Kernel info:
; codeLenInByte = 0
; TotalNumSgprs: 0
; NumVgprs: 0
; ScratchSize: 0
; MemoryBound: 0
; FloatMode: 240
; IeeeMode: 1
; LDSByteSize: 0 bytes/workgroup (compile time only)
; SGPRBlocks: 0
; VGPRBlocks: 0
; NumSGPRsForWavesPerEU: 1
; NumVGPRsForWavesPerEU: 1
; Occupancy: 16
; WaveLimiterHint : 0
; COMPUTE_PGM_RSRC2:SCRATCH_EN: 0
; COMPUTE_PGM_RSRC2:USER_SGPR: 2
; COMPUTE_PGM_RSRC2:TRAP_HANDLER: 0
; COMPUTE_PGM_RSRC2:TGID_X_EN: 1
; COMPUTE_PGM_RSRC2:TGID_Y_EN: 0
; COMPUTE_PGM_RSRC2:TGID_Z_EN: 0
; COMPUTE_PGM_RSRC2:TIDIG_COMP_CNT: 0
	.section	.text._ZN7rocprim17ROCPRIM_400000_NS6detail17trampoline_kernelINS0_14default_configENS1_25partition_config_selectorILNS1_17partition_subalgoE5EsNS0_10empty_typeEbEEZZNS1_14partition_implILS5_5ELb0ES3_mN6thrust23THRUST_200600_302600_NS6detail15normal_iteratorINSA_10device_ptrIsEEEEPS6_NSA_18transform_iteratorINSB_9not_fun_tI7is_trueIsEEENSC_INSD_IbEEEENSA_11use_defaultESO_EENS0_5tupleIJSF_S6_EEENSQ_IJSG_SG_EEES6_PlJS6_EEE10hipError_tPvRmT3_T4_T5_T6_T7_T9_mT8_P12ihipStream_tbDpT10_ENKUlT_T0_E_clISt17integral_constantIbLb0EES1D_EEDaS18_S19_EUlS18_E_NS1_11comp_targetILNS1_3genE8ELNS1_11target_archE1030ELNS1_3gpuE2ELNS1_3repE0EEENS1_30default_config_static_selectorELNS0_4arch9wavefront6targetE0EEEvT1_,"axG",@progbits,_ZN7rocprim17ROCPRIM_400000_NS6detail17trampoline_kernelINS0_14default_configENS1_25partition_config_selectorILNS1_17partition_subalgoE5EsNS0_10empty_typeEbEEZZNS1_14partition_implILS5_5ELb0ES3_mN6thrust23THRUST_200600_302600_NS6detail15normal_iteratorINSA_10device_ptrIsEEEEPS6_NSA_18transform_iteratorINSB_9not_fun_tI7is_trueIsEEENSC_INSD_IbEEEENSA_11use_defaultESO_EENS0_5tupleIJSF_S6_EEENSQ_IJSG_SG_EEES6_PlJS6_EEE10hipError_tPvRmT3_T4_T5_T6_T7_T9_mT8_P12ihipStream_tbDpT10_ENKUlT_T0_E_clISt17integral_constantIbLb0EES1D_EEDaS18_S19_EUlS18_E_NS1_11comp_targetILNS1_3genE8ELNS1_11target_archE1030ELNS1_3gpuE2ELNS1_3repE0EEENS1_30default_config_static_selectorELNS0_4arch9wavefront6targetE0EEEvT1_,comdat
	.protected	_ZN7rocprim17ROCPRIM_400000_NS6detail17trampoline_kernelINS0_14default_configENS1_25partition_config_selectorILNS1_17partition_subalgoE5EsNS0_10empty_typeEbEEZZNS1_14partition_implILS5_5ELb0ES3_mN6thrust23THRUST_200600_302600_NS6detail15normal_iteratorINSA_10device_ptrIsEEEEPS6_NSA_18transform_iteratorINSB_9not_fun_tI7is_trueIsEEENSC_INSD_IbEEEENSA_11use_defaultESO_EENS0_5tupleIJSF_S6_EEENSQ_IJSG_SG_EEES6_PlJS6_EEE10hipError_tPvRmT3_T4_T5_T6_T7_T9_mT8_P12ihipStream_tbDpT10_ENKUlT_T0_E_clISt17integral_constantIbLb0EES1D_EEDaS18_S19_EUlS18_E_NS1_11comp_targetILNS1_3genE8ELNS1_11target_archE1030ELNS1_3gpuE2ELNS1_3repE0EEENS1_30default_config_static_selectorELNS0_4arch9wavefront6targetE0EEEvT1_ ; -- Begin function _ZN7rocprim17ROCPRIM_400000_NS6detail17trampoline_kernelINS0_14default_configENS1_25partition_config_selectorILNS1_17partition_subalgoE5EsNS0_10empty_typeEbEEZZNS1_14partition_implILS5_5ELb0ES3_mN6thrust23THRUST_200600_302600_NS6detail15normal_iteratorINSA_10device_ptrIsEEEEPS6_NSA_18transform_iteratorINSB_9not_fun_tI7is_trueIsEEENSC_INSD_IbEEEENSA_11use_defaultESO_EENS0_5tupleIJSF_S6_EEENSQ_IJSG_SG_EEES6_PlJS6_EEE10hipError_tPvRmT3_T4_T5_T6_T7_T9_mT8_P12ihipStream_tbDpT10_ENKUlT_T0_E_clISt17integral_constantIbLb0EES1D_EEDaS18_S19_EUlS18_E_NS1_11comp_targetILNS1_3genE8ELNS1_11target_archE1030ELNS1_3gpuE2ELNS1_3repE0EEENS1_30default_config_static_selectorELNS0_4arch9wavefront6targetE0EEEvT1_
	.globl	_ZN7rocprim17ROCPRIM_400000_NS6detail17trampoline_kernelINS0_14default_configENS1_25partition_config_selectorILNS1_17partition_subalgoE5EsNS0_10empty_typeEbEEZZNS1_14partition_implILS5_5ELb0ES3_mN6thrust23THRUST_200600_302600_NS6detail15normal_iteratorINSA_10device_ptrIsEEEEPS6_NSA_18transform_iteratorINSB_9not_fun_tI7is_trueIsEEENSC_INSD_IbEEEENSA_11use_defaultESO_EENS0_5tupleIJSF_S6_EEENSQ_IJSG_SG_EEES6_PlJS6_EEE10hipError_tPvRmT3_T4_T5_T6_T7_T9_mT8_P12ihipStream_tbDpT10_ENKUlT_T0_E_clISt17integral_constantIbLb0EES1D_EEDaS18_S19_EUlS18_E_NS1_11comp_targetILNS1_3genE8ELNS1_11target_archE1030ELNS1_3gpuE2ELNS1_3repE0EEENS1_30default_config_static_selectorELNS0_4arch9wavefront6targetE0EEEvT1_
	.p2align	8
	.type	_ZN7rocprim17ROCPRIM_400000_NS6detail17trampoline_kernelINS0_14default_configENS1_25partition_config_selectorILNS1_17partition_subalgoE5EsNS0_10empty_typeEbEEZZNS1_14partition_implILS5_5ELb0ES3_mN6thrust23THRUST_200600_302600_NS6detail15normal_iteratorINSA_10device_ptrIsEEEEPS6_NSA_18transform_iteratorINSB_9not_fun_tI7is_trueIsEEENSC_INSD_IbEEEENSA_11use_defaultESO_EENS0_5tupleIJSF_S6_EEENSQ_IJSG_SG_EEES6_PlJS6_EEE10hipError_tPvRmT3_T4_T5_T6_T7_T9_mT8_P12ihipStream_tbDpT10_ENKUlT_T0_E_clISt17integral_constantIbLb0EES1D_EEDaS18_S19_EUlS18_E_NS1_11comp_targetILNS1_3genE8ELNS1_11target_archE1030ELNS1_3gpuE2ELNS1_3repE0EEENS1_30default_config_static_selectorELNS0_4arch9wavefront6targetE0EEEvT1_,@function
_ZN7rocprim17ROCPRIM_400000_NS6detail17trampoline_kernelINS0_14default_configENS1_25partition_config_selectorILNS1_17partition_subalgoE5EsNS0_10empty_typeEbEEZZNS1_14partition_implILS5_5ELb0ES3_mN6thrust23THRUST_200600_302600_NS6detail15normal_iteratorINSA_10device_ptrIsEEEEPS6_NSA_18transform_iteratorINSB_9not_fun_tI7is_trueIsEEENSC_INSD_IbEEEENSA_11use_defaultESO_EENS0_5tupleIJSF_S6_EEENSQ_IJSG_SG_EEES6_PlJS6_EEE10hipError_tPvRmT3_T4_T5_T6_T7_T9_mT8_P12ihipStream_tbDpT10_ENKUlT_T0_E_clISt17integral_constantIbLb0EES1D_EEDaS18_S19_EUlS18_E_NS1_11comp_targetILNS1_3genE8ELNS1_11target_archE1030ELNS1_3gpuE2ELNS1_3repE0EEENS1_30default_config_static_selectorELNS0_4arch9wavefront6targetE0EEEvT1_: ; @_ZN7rocprim17ROCPRIM_400000_NS6detail17trampoline_kernelINS0_14default_configENS1_25partition_config_selectorILNS1_17partition_subalgoE5EsNS0_10empty_typeEbEEZZNS1_14partition_implILS5_5ELb0ES3_mN6thrust23THRUST_200600_302600_NS6detail15normal_iteratorINSA_10device_ptrIsEEEEPS6_NSA_18transform_iteratorINSB_9not_fun_tI7is_trueIsEEENSC_INSD_IbEEEENSA_11use_defaultESO_EENS0_5tupleIJSF_S6_EEENSQ_IJSG_SG_EEES6_PlJS6_EEE10hipError_tPvRmT3_T4_T5_T6_T7_T9_mT8_P12ihipStream_tbDpT10_ENKUlT_T0_E_clISt17integral_constantIbLb0EES1D_EEDaS18_S19_EUlS18_E_NS1_11comp_targetILNS1_3genE8ELNS1_11target_archE1030ELNS1_3gpuE2ELNS1_3repE0EEENS1_30default_config_static_selectorELNS0_4arch9wavefront6targetE0EEEvT1_
; %bb.0:
	.section	.rodata,"a",@progbits
	.p2align	6, 0x0
	.amdhsa_kernel _ZN7rocprim17ROCPRIM_400000_NS6detail17trampoline_kernelINS0_14default_configENS1_25partition_config_selectorILNS1_17partition_subalgoE5EsNS0_10empty_typeEbEEZZNS1_14partition_implILS5_5ELb0ES3_mN6thrust23THRUST_200600_302600_NS6detail15normal_iteratorINSA_10device_ptrIsEEEEPS6_NSA_18transform_iteratorINSB_9not_fun_tI7is_trueIsEEENSC_INSD_IbEEEENSA_11use_defaultESO_EENS0_5tupleIJSF_S6_EEENSQ_IJSG_SG_EEES6_PlJS6_EEE10hipError_tPvRmT3_T4_T5_T6_T7_T9_mT8_P12ihipStream_tbDpT10_ENKUlT_T0_E_clISt17integral_constantIbLb0EES1D_EEDaS18_S19_EUlS18_E_NS1_11comp_targetILNS1_3genE8ELNS1_11target_archE1030ELNS1_3gpuE2ELNS1_3repE0EEENS1_30default_config_static_selectorELNS0_4arch9wavefront6targetE0EEEvT1_
		.amdhsa_group_segment_fixed_size 0
		.amdhsa_private_segment_fixed_size 0
		.amdhsa_kernarg_size 120
		.amdhsa_user_sgpr_count 2
		.amdhsa_user_sgpr_dispatch_ptr 0
		.amdhsa_user_sgpr_queue_ptr 0
		.amdhsa_user_sgpr_kernarg_segment_ptr 1
		.amdhsa_user_sgpr_dispatch_id 0
		.amdhsa_user_sgpr_private_segment_size 0
		.amdhsa_wavefront_size32 1
		.amdhsa_uses_dynamic_stack 0
		.amdhsa_enable_private_segment 0
		.amdhsa_system_sgpr_workgroup_id_x 1
		.amdhsa_system_sgpr_workgroup_id_y 0
		.amdhsa_system_sgpr_workgroup_id_z 0
		.amdhsa_system_sgpr_workgroup_info 0
		.amdhsa_system_vgpr_workitem_id 0
		.amdhsa_next_free_vgpr 1
		.amdhsa_next_free_sgpr 1
		.amdhsa_reserve_vcc 0
		.amdhsa_float_round_mode_32 0
		.amdhsa_float_round_mode_16_64 0
		.amdhsa_float_denorm_mode_32 3
		.amdhsa_float_denorm_mode_16_64 3
		.amdhsa_fp16_overflow 0
		.amdhsa_workgroup_processor_mode 1
		.amdhsa_memory_ordered 1
		.amdhsa_forward_progress 1
		.amdhsa_inst_pref_size 0
		.amdhsa_round_robin_scheduling 0
		.amdhsa_exception_fp_ieee_invalid_op 0
		.amdhsa_exception_fp_denorm_src 0
		.amdhsa_exception_fp_ieee_div_zero 0
		.amdhsa_exception_fp_ieee_overflow 0
		.amdhsa_exception_fp_ieee_underflow 0
		.amdhsa_exception_fp_ieee_inexact 0
		.amdhsa_exception_int_div_zero 0
	.end_amdhsa_kernel
	.section	.text._ZN7rocprim17ROCPRIM_400000_NS6detail17trampoline_kernelINS0_14default_configENS1_25partition_config_selectorILNS1_17partition_subalgoE5EsNS0_10empty_typeEbEEZZNS1_14partition_implILS5_5ELb0ES3_mN6thrust23THRUST_200600_302600_NS6detail15normal_iteratorINSA_10device_ptrIsEEEEPS6_NSA_18transform_iteratorINSB_9not_fun_tI7is_trueIsEEENSC_INSD_IbEEEENSA_11use_defaultESO_EENS0_5tupleIJSF_S6_EEENSQ_IJSG_SG_EEES6_PlJS6_EEE10hipError_tPvRmT3_T4_T5_T6_T7_T9_mT8_P12ihipStream_tbDpT10_ENKUlT_T0_E_clISt17integral_constantIbLb0EES1D_EEDaS18_S19_EUlS18_E_NS1_11comp_targetILNS1_3genE8ELNS1_11target_archE1030ELNS1_3gpuE2ELNS1_3repE0EEENS1_30default_config_static_selectorELNS0_4arch9wavefront6targetE0EEEvT1_,"axG",@progbits,_ZN7rocprim17ROCPRIM_400000_NS6detail17trampoline_kernelINS0_14default_configENS1_25partition_config_selectorILNS1_17partition_subalgoE5EsNS0_10empty_typeEbEEZZNS1_14partition_implILS5_5ELb0ES3_mN6thrust23THRUST_200600_302600_NS6detail15normal_iteratorINSA_10device_ptrIsEEEEPS6_NSA_18transform_iteratorINSB_9not_fun_tI7is_trueIsEEENSC_INSD_IbEEEENSA_11use_defaultESO_EENS0_5tupleIJSF_S6_EEENSQ_IJSG_SG_EEES6_PlJS6_EEE10hipError_tPvRmT3_T4_T5_T6_T7_T9_mT8_P12ihipStream_tbDpT10_ENKUlT_T0_E_clISt17integral_constantIbLb0EES1D_EEDaS18_S19_EUlS18_E_NS1_11comp_targetILNS1_3genE8ELNS1_11target_archE1030ELNS1_3gpuE2ELNS1_3repE0EEENS1_30default_config_static_selectorELNS0_4arch9wavefront6targetE0EEEvT1_,comdat
.Lfunc_end2564:
	.size	_ZN7rocprim17ROCPRIM_400000_NS6detail17trampoline_kernelINS0_14default_configENS1_25partition_config_selectorILNS1_17partition_subalgoE5EsNS0_10empty_typeEbEEZZNS1_14partition_implILS5_5ELb0ES3_mN6thrust23THRUST_200600_302600_NS6detail15normal_iteratorINSA_10device_ptrIsEEEEPS6_NSA_18transform_iteratorINSB_9not_fun_tI7is_trueIsEEENSC_INSD_IbEEEENSA_11use_defaultESO_EENS0_5tupleIJSF_S6_EEENSQ_IJSG_SG_EEES6_PlJS6_EEE10hipError_tPvRmT3_T4_T5_T6_T7_T9_mT8_P12ihipStream_tbDpT10_ENKUlT_T0_E_clISt17integral_constantIbLb0EES1D_EEDaS18_S19_EUlS18_E_NS1_11comp_targetILNS1_3genE8ELNS1_11target_archE1030ELNS1_3gpuE2ELNS1_3repE0EEENS1_30default_config_static_selectorELNS0_4arch9wavefront6targetE0EEEvT1_, .Lfunc_end2564-_ZN7rocprim17ROCPRIM_400000_NS6detail17trampoline_kernelINS0_14default_configENS1_25partition_config_selectorILNS1_17partition_subalgoE5EsNS0_10empty_typeEbEEZZNS1_14partition_implILS5_5ELb0ES3_mN6thrust23THRUST_200600_302600_NS6detail15normal_iteratorINSA_10device_ptrIsEEEEPS6_NSA_18transform_iteratorINSB_9not_fun_tI7is_trueIsEEENSC_INSD_IbEEEENSA_11use_defaultESO_EENS0_5tupleIJSF_S6_EEENSQ_IJSG_SG_EEES6_PlJS6_EEE10hipError_tPvRmT3_T4_T5_T6_T7_T9_mT8_P12ihipStream_tbDpT10_ENKUlT_T0_E_clISt17integral_constantIbLb0EES1D_EEDaS18_S19_EUlS18_E_NS1_11comp_targetILNS1_3genE8ELNS1_11target_archE1030ELNS1_3gpuE2ELNS1_3repE0EEENS1_30default_config_static_selectorELNS0_4arch9wavefront6targetE0EEEvT1_
                                        ; -- End function
	.set _ZN7rocprim17ROCPRIM_400000_NS6detail17trampoline_kernelINS0_14default_configENS1_25partition_config_selectorILNS1_17partition_subalgoE5EsNS0_10empty_typeEbEEZZNS1_14partition_implILS5_5ELb0ES3_mN6thrust23THRUST_200600_302600_NS6detail15normal_iteratorINSA_10device_ptrIsEEEEPS6_NSA_18transform_iteratorINSB_9not_fun_tI7is_trueIsEEENSC_INSD_IbEEEENSA_11use_defaultESO_EENS0_5tupleIJSF_S6_EEENSQ_IJSG_SG_EEES6_PlJS6_EEE10hipError_tPvRmT3_T4_T5_T6_T7_T9_mT8_P12ihipStream_tbDpT10_ENKUlT_T0_E_clISt17integral_constantIbLb0EES1D_EEDaS18_S19_EUlS18_E_NS1_11comp_targetILNS1_3genE8ELNS1_11target_archE1030ELNS1_3gpuE2ELNS1_3repE0EEENS1_30default_config_static_selectorELNS0_4arch9wavefront6targetE0EEEvT1_.num_vgpr, 0
	.set _ZN7rocprim17ROCPRIM_400000_NS6detail17trampoline_kernelINS0_14default_configENS1_25partition_config_selectorILNS1_17partition_subalgoE5EsNS0_10empty_typeEbEEZZNS1_14partition_implILS5_5ELb0ES3_mN6thrust23THRUST_200600_302600_NS6detail15normal_iteratorINSA_10device_ptrIsEEEEPS6_NSA_18transform_iteratorINSB_9not_fun_tI7is_trueIsEEENSC_INSD_IbEEEENSA_11use_defaultESO_EENS0_5tupleIJSF_S6_EEENSQ_IJSG_SG_EEES6_PlJS6_EEE10hipError_tPvRmT3_T4_T5_T6_T7_T9_mT8_P12ihipStream_tbDpT10_ENKUlT_T0_E_clISt17integral_constantIbLb0EES1D_EEDaS18_S19_EUlS18_E_NS1_11comp_targetILNS1_3genE8ELNS1_11target_archE1030ELNS1_3gpuE2ELNS1_3repE0EEENS1_30default_config_static_selectorELNS0_4arch9wavefront6targetE0EEEvT1_.num_agpr, 0
	.set _ZN7rocprim17ROCPRIM_400000_NS6detail17trampoline_kernelINS0_14default_configENS1_25partition_config_selectorILNS1_17partition_subalgoE5EsNS0_10empty_typeEbEEZZNS1_14partition_implILS5_5ELb0ES3_mN6thrust23THRUST_200600_302600_NS6detail15normal_iteratorINSA_10device_ptrIsEEEEPS6_NSA_18transform_iteratorINSB_9not_fun_tI7is_trueIsEEENSC_INSD_IbEEEENSA_11use_defaultESO_EENS0_5tupleIJSF_S6_EEENSQ_IJSG_SG_EEES6_PlJS6_EEE10hipError_tPvRmT3_T4_T5_T6_T7_T9_mT8_P12ihipStream_tbDpT10_ENKUlT_T0_E_clISt17integral_constantIbLb0EES1D_EEDaS18_S19_EUlS18_E_NS1_11comp_targetILNS1_3genE8ELNS1_11target_archE1030ELNS1_3gpuE2ELNS1_3repE0EEENS1_30default_config_static_selectorELNS0_4arch9wavefront6targetE0EEEvT1_.numbered_sgpr, 0
	.set _ZN7rocprim17ROCPRIM_400000_NS6detail17trampoline_kernelINS0_14default_configENS1_25partition_config_selectorILNS1_17partition_subalgoE5EsNS0_10empty_typeEbEEZZNS1_14partition_implILS5_5ELb0ES3_mN6thrust23THRUST_200600_302600_NS6detail15normal_iteratorINSA_10device_ptrIsEEEEPS6_NSA_18transform_iteratorINSB_9not_fun_tI7is_trueIsEEENSC_INSD_IbEEEENSA_11use_defaultESO_EENS0_5tupleIJSF_S6_EEENSQ_IJSG_SG_EEES6_PlJS6_EEE10hipError_tPvRmT3_T4_T5_T6_T7_T9_mT8_P12ihipStream_tbDpT10_ENKUlT_T0_E_clISt17integral_constantIbLb0EES1D_EEDaS18_S19_EUlS18_E_NS1_11comp_targetILNS1_3genE8ELNS1_11target_archE1030ELNS1_3gpuE2ELNS1_3repE0EEENS1_30default_config_static_selectorELNS0_4arch9wavefront6targetE0EEEvT1_.num_named_barrier, 0
	.set _ZN7rocprim17ROCPRIM_400000_NS6detail17trampoline_kernelINS0_14default_configENS1_25partition_config_selectorILNS1_17partition_subalgoE5EsNS0_10empty_typeEbEEZZNS1_14partition_implILS5_5ELb0ES3_mN6thrust23THRUST_200600_302600_NS6detail15normal_iteratorINSA_10device_ptrIsEEEEPS6_NSA_18transform_iteratorINSB_9not_fun_tI7is_trueIsEEENSC_INSD_IbEEEENSA_11use_defaultESO_EENS0_5tupleIJSF_S6_EEENSQ_IJSG_SG_EEES6_PlJS6_EEE10hipError_tPvRmT3_T4_T5_T6_T7_T9_mT8_P12ihipStream_tbDpT10_ENKUlT_T0_E_clISt17integral_constantIbLb0EES1D_EEDaS18_S19_EUlS18_E_NS1_11comp_targetILNS1_3genE8ELNS1_11target_archE1030ELNS1_3gpuE2ELNS1_3repE0EEENS1_30default_config_static_selectorELNS0_4arch9wavefront6targetE0EEEvT1_.private_seg_size, 0
	.set _ZN7rocprim17ROCPRIM_400000_NS6detail17trampoline_kernelINS0_14default_configENS1_25partition_config_selectorILNS1_17partition_subalgoE5EsNS0_10empty_typeEbEEZZNS1_14partition_implILS5_5ELb0ES3_mN6thrust23THRUST_200600_302600_NS6detail15normal_iteratorINSA_10device_ptrIsEEEEPS6_NSA_18transform_iteratorINSB_9not_fun_tI7is_trueIsEEENSC_INSD_IbEEEENSA_11use_defaultESO_EENS0_5tupleIJSF_S6_EEENSQ_IJSG_SG_EEES6_PlJS6_EEE10hipError_tPvRmT3_T4_T5_T6_T7_T9_mT8_P12ihipStream_tbDpT10_ENKUlT_T0_E_clISt17integral_constantIbLb0EES1D_EEDaS18_S19_EUlS18_E_NS1_11comp_targetILNS1_3genE8ELNS1_11target_archE1030ELNS1_3gpuE2ELNS1_3repE0EEENS1_30default_config_static_selectorELNS0_4arch9wavefront6targetE0EEEvT1_.uses_vcc, 0
	.set _ZN7rocprim17ROCPRIM_400000_NS6detail17trampoline_kernelINS0_14default_configENS1_25partition_config_selectorILNS1_17partition_subalgoE5EsNS0_10empty_typeEbEEZZNS1_14partition_implILS5_5ELb0ES3_mN6thrust23THRUST_200600_302600_NS6detail15normal_iteratorINSA_10device_ptrIsEEEEPS6_NSA_18transform_iteratorINSB_9not_fun_tI7is_trueIsEEENSC_INSD_IbEEEENSA_11use_defaultESO_EENS0_5tupleIJSF_S6_EEENSQ_IJSG_SG_EEES6_PlJS6_EEE10hipError_tPvRmT3_T4_T5_T6_T7_T9_mT8_P12ihipStream_tbDpT10_ENKUlT_T0_E_clISt17integral_constantIbLb0EES1D_EEDaS18_S19_EUlS18_E_NS1_11comp_targetILNS1_3genE8ELNS1_11target_archE1030ELNS1_3gpuE2ELNS1_3repE0EEENS1_30default_config_static_selectorELNS0_4arch9wavefront6targetE0EEEvT1_.uses_flat_scratch, 0
	.set _ZN7rocprim17ROCPRIM_400000_NS6detail17trampoline_kernelINS0_14default_configENS1_25partition_config_selectorILNS1_17partition_subalgoE5EsNS0_10empty_typeEbEEZZNS1_14partition_implILS5_5ELb0ES3_mN6thrust23THRUST_200600_302600_NS6detail15normal_iteratorINSA_10device_ptrIsEEEEPS6_NSA_18transform_iteratorINSB_9not_fun_tI7is_trueIsEEENSC_INSD_IbEEEENSA_11use_defaultESO_EENS0_5tupleIJSF_S6_EEENSQ_IJSG_SG_EEES6_PlJS6_EEE10hipError_tPvRmT3_T4_T5_T6_T7_T9_mT8_P12ihipStream_tbDpT10_ENKUlT_T0_E_clISt17integral_constantIbLb0EES1D_EEDaS18_S19_EUlS18_E_NS1_11comp_targetILNS1_3genE8ELNS1_11target_archE1030ELNS1_3gpuE2ELNS1_3repE0EEENS1_30default_config_static_selectorELNS0_4arch9wavefront6targetE0EEEvT1_.has_dyn_sized_stack, 0
	.set _ZN7rocprim17ROCPRIM_400000_NS6detail17trampoline_kernelINS0_14default_configENS1_25partition_config_selectorILNS1_17partition_subalgoE5EsNS0_10empty_typeEbEEZZNS1_14partition_implILS5_5ELb0ES3_mN6thrust23THRUST_200600_302600_NS6detail15normal_iteratorINSA_10device_ptrIsEEEEPS6_NSA_18transform_iteratorINSB_9not_fun_tI7is_trueIsEEENSC_INSD_IbEEEENSA_11use_defaultESO_EENS0_5tupleIJSF_S6_EEENSQ_IJSG_SG_EEES6_PlJS6_EEE10hipError_tPvRmT3_T4_T5_T6_T7_T9_mT8_P12ihipStream_tbDpT10_ENKUlT_T0_E_clISt17integral_constantIbLb0EES1D_EEDaS18_S19_EUlS18_E_NS1_11comp_targetILNS1_3genE8ELNS1_11target_archE1030ELNS1_3gpuE2ELNS1_3repE0EEENS1_30default_config_static_selectorELNS0_4arch9wavefront6targetE0EEEvT1_.has_recursion, 0
	.set _ZN7rocprim17ROCPRIM_400000_NS6detail17trampoline_kernelINS0_14default_configENS1_25partition_config_selectorILNS1_17partition_subalgoE5EsNS0_10empty_typeEbEEZZNS1_14partition_implILS5_5ELb0ES3_mN6thrust23THRUST_200600_302600_NS6detail15normal_iteratorINSA_10device_ptrIsEEEEPS6_NSA_18transform_iteratorINSB_9not_fun_tI7is_trueIsEEENSC_INSD_IbEEEENSA_11use_defaultESO_EENS0_5tupleIJSF_S6_EEENSQ_IJSG_SG_EEES6_PlJS6_EEE10hipError_tPvRmT3_T4_T5_T6_T7_T9_mT8_P12ihipStream_tbDpT10_ENKUlT_T0_E_clISt17integral_constantIbLb0EES1D_EEDaS18_S19_EUlS18_E_NS1_11comp_targetILNS1_3genE8ELNS1_11target_archE1030ELNS1_3gpuE2ELNS1_3repE0EEENS1_30default_config_static_selectorELNS0_4arch9wavefront6targetE0EEEvT1_.has_indirect_call, 0
	.section	.AMDGPU.csdata,"",@progbits
; Kernel info:
; codeLenInByte = 0
; TotalNumSgprs: 0
; NumVgprs: 0
; ScratchSize: 0
; MemoryBound: 0
; FloatMode: 240
; IeeeMode: 1
; LDSByteSize: 0 bytes/workgroup (compile time only)
; SGPRBlocks: 0
; VGPRBlocks: 0
; NumSGPRsForWavesPerEU: 1
; NumVGPRsForWavesPerEU: 1
; Occupancy: 16
; WaveLimiterHint : 0
; COMPUTE_PGM_RSRC2:SCRATCH_EN: 0
; COMPUTE_PGM_RSRC2:USER_SGPR: 2
; COMPUTE_PGM_RSRC2:TRAP_HANDLER: 0
; COMPUTE_PGM_RSRC2:TGID_X_EN: 1
; COMPUTE_PGM_RSRC2:TGID_Y_EN: 0
; COMPUTE_PGM_RSRC2:TGID_Z_EN: 0
; COMPUTE_PGM_RSRC2:TIDIG_COMP_CNT: 0
	.section	.text._ZN7rocprim17ROCPRIM_400000_NS6detail17trampoline_kernelINS0_14default_configENS1_25partition_config_selectorILNS1_17partition_subalgoE5EsNS0_10empty_typeEbEEZZNS1_14partition_implILS5_5ELb0ES3_mN6thrust23THRUST_200600_302600_NS6detail15normal_iteratorINSA_10device_ptrIsEEEEPS6_NSA_18transform_iteratorINSB_9not_fun_tI7is_trueIsEEENSC_INSD_IbEEEENSA_11use_defaultESO_EENS0_5tupleIJSF_S6_EEENSQ_IJSG_SG_EEES6_PlJS6_EEE10hipError_tPvRmT3_T4_T5_T6_T7_T9_mT8_P12ihipStream_tbDpT10_ENKUlT_T0_E_clISt17integral_constantIbLb1EES1D_EEDaS18_S19_EUlS18_E_NS1_11comp_targetILNS1_3genE0ELNS1_11target_archE4294967295ELNS1_3gpuE0ELNS1_3repE0EEENS1_30default_config_static_selectorELNS0_4arch9wavefront6targetE0EEEvT1_,"axG",@progbits,_ZN7rocprim17ROCPRIM_400000_NS6detail17trampoline_kernelINS0_14default_configENS1_25partition_config_selectorILNS1_17partition_subalgoE5EsNS0_10empty_typeEbEEZZNS1_14partition_implILS5_5ELb0ES3_mN6thrust23THRUST_200600_302600_NS6detail15normal_iteratorINSA_10device_ptrIsEEEEPS6_NSA_18transform_iteratorINSB_9not_fun_tI7is_trueIsEEENSC_INSD_IbEEEENSA_11use_defaultESO_EENS0_5tupleIJSF_S6_EEENSQ_IJSG_SG_EEES6_PlJS6_EEE10hipError_tPvRmT3_T4_T5_T6_T7_T9_mT8_P12ihipStream_tbDpT10_ENKUlT_T0_E_clISt17integral_constantIbLb1EES1D_EEDaS18_S19_EUlS18_E_NS1_11comp_targetILNS1_3genE0ELNS1_11target_archE4294967295ELNS1_3gpuE0ELNS1_3repE0EEENS1_30default_config_static_selectorELNS0_4arch9wavefront6targetE0EEEvT1_,comdat
	.protected	_ZN7rocprim17ROCPRIM_400000_NS6detail17trampoline_kernelINS0_14default_configENS1_25partition_config_selectorILNS1_17partition_subalgoE5EsNS0_10empty_typeEbEEZZNS1_14partition_implILS5_5ELb0ES3_mN6thrust23THRUST_200600_302600_NS6detail15normal_iteratorINSA_10device_ptrIsEEEEPS6_NSA_18transform_iteratorINSB_9not_fun_tI7is_trueIsEEENSC_INSD_IbEEEENSA_11use_defaultESO_EENS0_5tupleIJSF_S6_EEENSQ_IJSG_SG_EEES6_PlJS6_EEE10hipError_tPvRmT3_T4_T5_T6_T7_T9_mT8_P12ihipStream_tbDpT10_ENKUlT_T0_E_clISt17integral_constantIbLb1EES1D_EEDaS18_S19_EUlS18_E_NS1_11comp_targetILNS1_3genE0ELNS1_11target_archE4294967295ELNS1_3gpuE0ELNS1_3repE0EEENS1_30default_config_static_selectorELNS0_4arch9wavefront6targetE0EEEvT1_ ; -- Begin function _ZN7rocprim17ROCPRIM_400000_NS6detail17trampoline_kernelINS0_14default_configENS1_25partition_config_selectorILNS1_17partition_subalgoE5EsNS0_10empty_typeEbEEZZNS1_14partition_implILS5_5ELb0ES3_mN6thrust23THRUST_200600_302600_NS6detail15normal_iteratorINSA_10device_ptrIsEEEEPS6_NSA_18transform_iteratorINSB_9not_fun_tI7is_trueIsEEENSC_INSD_IbEEEENSA_11use_defaultESO_EENS0_5tupleIJSF_S6_EEENSQ_IJSG_SG_EEES6_PlJS6_EEE10hipError_tPvRmT3_T4_T5_T6_T7_T9_mT8_P12ihipStream_tbDpT10_ENKUlT_T0_E_clISt17integral_constantIbLb1EES1D_EEDaS18_S19_EUlS18_E_NS1_11comp_targetILNS1_3genE0ELNS1_11target_archE4294967295ELNS1_3gpuE0ELNS1_3repE0EEENS1_30default_config_static_selectorELNS0_4arch9wavefront6targetE0EEEvT1_
	.globl	_ZN7rocprim17ROCPRIM_400000_NS6detail17trampoline_kernelINS0_14default_configENS1_25partition_config_selectorILNS1_17partition_subalgoE5EsNS0_10empty_typeEbEEZZNS1_14partition_implILS5_5ELb0ES3_mN6thrust23THRUST_200600_302600_NS6detail15normal_iteratorINSA_10device_ptrIsEEEEPS6_NSA_18transform_iteratorINSB_9not_fun_tI7is_trueIsEEENSC_INSD_IbEEEENSA_11use_defaultESO_EENS0_5tupleIJSF_S6_EEENSQ_IJSG_SG_EEES6_PlJS6_EEE10hipError_tPvRmT3_T4_T5_T6_T7_T9_mT8_P12ihipStream_tbDpT10_ENKUlT_T0_E_clISt17integral_constantIbLb1EES1D_EEDaS18_S19_EUlS18_E_NS1_11comp_targetILNS1_3genE0ELNS1_11target_archE4294967295ELNS1_3gpuE0ELNS1_3repE0EEENS1_30default_config_static_selectorELNS0_4arch9wavefront6targetE0EEEvT1_
	.p2align	8
	.type	_ZN7rocprim17ROCPRIM_400000_NS6detail17trampoline_kernelINS0_14default_configENS1_25partition_config_selectorILNS1_17partition_subalgoE5EsNS0_10empty_typeEbEEZZNS1_14partition_implILS5_5ELb0ES3_mN6thrust23THRUST_200600_302600_NS6detail15normal_iteratorINSA_10device_ptrIsEEEEPS6_NSA_18transform_iteratorINSB_9not_fun_tI7is_trueIsEEENSC_INSD_IbEEEENSA_11use_defaultESO_EENS0_5tupleIJSF_S6_EEENSQ_IJSG_SG_EEES6_PlJS6_EEE10hipError_tPvRmT3_T4_T5_T6_T7_T9_mT8_P12ihipStream_tbDpT10_ENKUlT_T0_E_clISt17integral_constantIbLb1EES1D_EEDaS18_S19_EUlS18_E_NS1_11comp_targetILNS1_3genE0ELNS1_11target_archE4294967295ELNS1_3gpuE0ELNS1_3repE0EEENS1_30default_config_static_selectorELNS0_4arch9wavefront6targetE0EEEvT1_,@function
_ZN7rocprim17ROCPRIM_400000_NS6detail17trampoline_kernelINS0_14default_configENS1_25partition_config_selectorILNS1_17partition_subalgoE5EsNS0_10empty_typeEbEEZZNS1_14partition_implILS5_5ELb0ES3_mN6thrust23THRUST_200600_302600_NS6detail15normal_iteratorINSA_10device_ptrIsEEEEPS6_NSA_18transform_iteratorINSB_9not_fun_tI7is_trueIsEEENSC_INSD_IbEEEENSA_11use_defaultESO_EENS0_5tupleIJSF_S6_EEENSQ_IJSG_SG_EEES6_PlJS6_EEE10hipError_tPvRmT3_T4_T5_T6_T7_T9_mT8_P12ihipStream_tbDpT10_ENKUlT_T0_E_clISt17integral_constantIbLb1EES1D_EEDaS18_S19_EUlS18_E_NS1_11comp_targetILNS1_3genE0ELNS1_11target_archE4294967295ELNS1_3gpuE0ELNS1_3repE0EEENS1_30default_config_static_selectorELNS0_4arch9wavefront6targetE0EEEvT1_: ; @_ZN7rocprim17ROCPRIM_400000_NS6detail17trampoline_kernelINS0_14default_configENS1_25partition_config_selectorILNS1_17partition_subalgoE5EsNS0_10empty_typeEbEEZZNS1_14partition_implILS5_5ELb0ES3_mN6thrust23THRUST_200600_302600_NS6detail15normal_iteratorINSA_10device_ptrIsEEEEPS6_NSA_18transform_iteratorINSB_9not_fun_tI7is_trueIsEEENSC_INSD_IbEEEENSA_11use_defaultESO_EENS0_5tupleIJSF_S6_EEENSQ_IJSG_SG_EEES6_PlJS6_EEE10hipError_tPvRmT3_T4_T5_T6_T7_T9_mT8_P12ihipStream_tbDpT10_ENKUlT_T0_E_clISt17integral_constantIbLb1EES1D_EEDaS18_S19_EUlS18_E_NS1_11comp_targetILNS1_3genE0ELNS1_11target_archE4294967295ELNS1_3gpuE0ELNS1_3repE0EEENS1_30default_config_static_selectorELNS0_4arch9wavefront6targetE0EEEvT1_
; %bb.0:
	.section	.rodata,"a",@progbits
	.p2align	6, 0x0
	.amdhsa_kernel _ZN7rocprim17ROCPRIM_400000_NS6detail17trampoline_kernelINS0_14default_configENS1_25partition_config_selectorILNS1_17partition_subalgoE5EsNS0_10empty_typeEbEEZZNS1_14partition_implILS5_5ELb0ES3_mN6thrust23THRUST_200600_302600_NS6detail15normal_iteratorINSA_10device_ptrIsEEEEPS6_NSA_18transform_iteratorINSB_9not_fun_tI7is_trueIsEEENSC_INSD_IbEEEENSA_11use_defaultESO_EENS0_5tupleIJSF_S6_EEENSQ_IJSG_SG_EEES6_PlJS6_EEE10hipError_tPvRmT3_T4_T5_T6_T7_T9_mT8_P12ihipStream_tbDpT10_ENKUlT_T0_E_clISt17integral_constantIbLb1EES1D_EEDaS18_S19_EUlS18_E_NS1_11comp_targetILNS1_3genE0ELNS1_11target_archE4294967295ELNS1_3gpuE0ELNS1_3repE0EEENS1_30default_config_static_selectorELNS0_4arch9wavefront6targetE0EEEvT1_
		.amdhsa_group_segment_fixed_size 0
		.amdhsa_private_segment_fixed_size 0
		.amdhsa_kernarg_size 136
		.amdhsa_user_sgpr_count 2
		.amdhsa_user_sgpr_dispatch_ptr 0
		.amdhsa_user_sgpr_queue_ptr 0
		.amdhsa_user_sgpr_kernarg_segment_ptr 1
		.amdhsa_user_sgpr_dispatch_id 0
		.amdhsa_user_sgpr_private_segment_size 0
		.amdhsa_wavefront_size32 1
		.amdhsa_uses_dynamic_stack 0
		.amdhsa_enable_private_segment 0
		.amdhsa_system_sgpr_workgroup_id_x 1
		.amdhsa_system_sgpr_workgroup_id_y 0
		.amdhsa_system_sgpr_workgroup_id_z 0
		.amdhsa_system_sgpr_workgroup_info 0
		.amdhsa_system_vgpr_workitem_id 0
		.amdhsa_next_free_vgpr 1
		.amdhsa_next_free_sgpr 1
		.amdhsa_reserve_vcc 0
		.amdhsa_float_round_mode_32 0
		.amdhsa_float_round_mode_16_64 0
		.amdhsa_float_denorm_mode_32 3
		.amdhsa_float_denorm_mode_16_64 3
		.amdhsa_fp16_overflow 0
		.amdhsa_workgroup_processor_mode 1
		.amdhsa_memory_ordered 1
		.amdhsa_forward_progress 1
		.amdhsa_inst_pref_size 0
		.amdhsa_round_robin_scheduling 0
		.amdhsa_exception_fp_ieee_invalid_op 0
		.amdhsa_exception_fp_denorm_src 0
		.amdhsa_exception_fp_ieee_div_zero 0
		.amdhsa_exception_fp_ieee_overflow 0
		.amdhsa_exception_fp_ieee_underflow 0
		.amdhsa_exception_fp_ieee_inexact 0
		.amdhsa_exception_int_div_zero 0
	.end_amdhsa_kernel
	.section	.text._ZN7rocprim17ROCPRIM_400000_NS6detail17trampoline_kernelINS0_14default_configENS1_25partition_config_selectorILNS1_17partition_subalgoE5EsNS0_10empty_typeEbEEZZNS1_14partition_implILS5_5ELb0ES3_mN6thrust23THRUST_200600_302600_NS6detail15normal_iteratorINSA_10device_ptrIsEEEEPS6_NSA_18transform_iteratorINSB_9not_fun_tI7is_trueIsEEENSC_INSD_IbEEEENSA_11use_defaultESO_EENS0_5tupleIJSF_S6_EEENSQ_IJSG_SG_EEES6_PlJS6_EEE10hipError_tPvRmT3_T4_T5_T6_T7_T9_mT8_P12ihipStream_tbDpT10_ENKUlT_T0_E_clISt17integral_constantIbLb1EES1D_EEDaS18_S19_EUlS18_E_NS1_11comp_targetILNS1_3genE0ELNS1_11target_archE4294967295ELNS1_3gpuE0ELNS1_3repE0EEENS1_30default_config_static_selectorELNS0_4arch9wavefront6targetE0EEEvT1_,"axG",@progbits,_ZN7rocprim17ROCPRIM_400000_NS6detail17trampoline_kernelINS0_14default_configENS1_25partition_config_selectorILNS1_17partition_subalgoE5EsNS0_10empty_typeEbEEZZNS1_14partition_implILS5_5ELb0ES3_mN6thrust23THRUST_200600_302600_NS6detail15normal_iteratorINSA_10device_ptrIsEEEEPS6_NSA_18transform_iteratorINSB_9not_fun_tI7is_trueIsEEENSC_INSD_IbEEEENSA_11use_defaultESO_EENS0_5tupleIJSF_S6_EEENSQ_IJSG_SG_EEES6_PlJS6_EEE10hipError_tPvRmT3_T4_T5_T6_T7_T9_mT8_P12ihipStream_tbDpT10_ENKUlT_T0_E_clISt17integral_constantIbLb1EES1D_EEDaS18_S19_EUlS18_E_NS1_11comp_targetILNS1_3genE0ELNS1_11target_archE4294967295ELNS1_3gpuE0ELNS1_3repE0EEENS1_30default_config_static_selectorELNS0_4arch9wavefront6targetE0EEEvT1_,comdat
.Lfunc_end2565:
	.size	_ZN7rocprim17ROCPRIM_400000_NS6detail17trampoline_kernelINS0_14default_configENS1_25partition_config_selectorILNS1_17partition_subalgoE5EsNS0_10empty_typeEbEEZZNS1_14partition_implILS5_5ELb0ES3_mN6thrust23THRUST_200600_302600_NS6detail15normal_iteratorINSA_10device_ptrIsEEEEPS6_NSA_18transform_iteratorINSB_9not_fun_tI7is_trueIsEEENSC_INSD_IbEEEENSA_11use_defaultESO_EENS0_5tupleIJSF_S6_EEENSQ_IJSG_SG_EEES6_PlJS6_EEE10hipError_tPvRmT3_T4_T5_T6_T7_T9_mT8_P12ihipStream_tbDpT10_ENKUlT_T0_E_clISt17integral_constantIbLb1EES1D_EEDaS18_S19_EUlS18_E_NS1_11comp_targetILNS1_3genE0ELNS1_11target_archE4294967295ELNS1_3gpuE0ELNS1_3repE0EEENS1_30default_config_static_selectorELNS0_4arch9wavefront6targetE0EEEvT1_, .Lfunc_end2565-_ZN7rocprim17ROCPRIM_400000_NS6detail17trampoline_kernelINS0_14default_configENS1_25partition_config_selectorILNS1_17partition_subalgoE5EsNS0_10empty_typeEbEEZZNS1_14partition_implILS5_5ELb0ES3_mN6thrust23THRUST_200600_302600_NS6detail15normal_iteratorINSA_10device_ptrIsEEEEPS6_NSA_18transform_iteratorINSB_9not_fun_tI7is_trueIsEEENSC_INSD_IbEEEENSA_11use_defaultESO_EENS0_5tupleIJSF_S6_EEENSQ_IJSG_SG_EEES6_PlJS6_EEE10hipError_tPvRmT3_T4_T5_T6_T7_T9_mT8_P12ihipStream_tbDpT10_ENKUlT_T0_E_clISt17integral_constantIbLb1EES1D_EEDaS18_S19_EUlS18_E_NS1_11comp_targetILNS1_3genE0ELNS1_11target_archE4294967295ELNS1_3gpuE0ELNS1_3repE0EEENS1_30default_config_static_selectorELNS0_4arch9wavefront6targetE0EEEvT1_
                                        ; -- End function
	.set _ZN7rocprim17ROCPRIM_400000_NS6detail17trampoline_kernelINS0_14default_configENS1_25partition_config_selectorILNS1_17partition_subalgoE5EsNS0_10empty_typeEbEEZZNS1_14partition_implILS5_5ELb0ES3_mN6thrust23THRUST_200600_302600_NS6detail15normal_iteratorINSA_10device_ptrIsEEEEPS6_NSA_18transform_iteratorINSB_9not_fun_tI7is_trueIsEEENSC_INSD_IbEEEENSA_11use_defaultESO_EENS0_5tupleIJSF_S6_EEENSQ_IJSG_SG_EEES6_PlJS6_EEE10hipError_tPvRmT3_T4_T5_T6_T7_T9_mT8_P12ihipStream_tbDpT10_ENKUlT_T0_E_clISt17integral_constantIbLb1EES1D_EEDaS18_S19_EUlS18_E_NS1_11comp_targetILNS1_3genE0ELNS1_11target_archE4294967295ELNS1_3gpuE0ELNS1_3repE0EEENS1_30default_config_static_selectorELNS0_4arch9wavefront6targetE0EEEvT1_.num_vgpr, 0
	.set _ZN7rocprim17ROCPRIM_400000_NS6detail17trampoline_kernelINS0_14default_configENS1_25partition_config_selectorILNS1_17partition_subalgoE5EsNS0_10empty_typeEbEEZZNS1_14partition_implILS5_5ELb0ES3_mN6thrust23THRUST_200600_302600_NS6detail15normal_iteratorINSA_10device_ptrIsEEEEPS6_NSA_18transform_iteratorINSB_9not_fun_tI7is_trueIsEEENSC_INSD_IbEEEENSA_11use_defaultESO_EENS0_5tupleIJSF_S6_EEENSQ_IJSG_SG_EEES6_PlJS6_EEE10hipError_tPvRmT3_T4_T5_T6_T7_T9_mT8_P12ihipStream_tbDpT10_ENKUlT_T0_E_clISt17integral_constantIbLb1EES1D_EEDaS18_S19_EUlS18_E_NS1_11comp_targetILNS1_3genE0ELNS1_11target_archE4294967295ELNS1_3gpuE0ELNS1_3repE0EEENS1_30default_config_static_selectorELNS0_4arch9wavefront6targetE0EEEvT1_.num_agpr, 0
	.set _ZN7rocprim17ROCPRIM_400000_NS6detail17trampoline_kernelINS0_14default_configENS1_25partition_config_selectorILNS1_17partition_subalgoE5EsNS0_10empty_typeEbEEZZNS1_14partition_implILS5_5ELb0ES3_mN6thrust23THRUST_200600_302600_NS6detail15normal_iteratorINSA_10device_ptrIsEEEEPS6_NSA_18transform_iteratorINSB_9not_fun_tI7is_trueIsEEENSC_INSD_IbEEEENSA_11use_defaultESO_EENS0_5tupleIJSF_S6_EEENSQ_IJSG_SG_EEES6_PlJS6_EEE10hipError_tPvRmT3_T4_T5_T6_T7_T9_mT8_P12ihipStream_tbDpT10_ENKUlT_T0_E_clISt17integral_constantIbLb1EES1D_EEDaS18_S19_EUlS18_E_NS1_11comp_targetILNS1_3genE0ELNS1_11target_archE4294967295ELNS1_3gpuE0ELNS1_3repE0EEENS1_30default_config_static_selectorELNS0_4arch9wavefront6targetE0EEEvT1_.numbered_sgpr, 0
	.set _ZN7rocprim17ROCPRIM_400000_NS6detail17trampoline_kernelINS0_14default_configENS1_25partition_config_selectorILNS1_17partition_subalgoE5EsNS0_10empty_typeEbEEZZNS1_14partition_implILS5_5ELb0ES3_mN6thrust23THRUST_200600_302600_NS6detail15normal_iteratorINSA_10device_ptrIsEEEEPS6_NSA_18transform_iteratorINSB_9not_fun_tI7is_trueIsEEENSC_INSD_IbEEEENSA_11use_defaultESO_EENS0_5tupleIJSF_S6_EEENSQ_IJSG_SG_EEES6_PlJS6_EEE10hipError_tPvRmT3_T4_T5_T6_T7_T9_mT8_P12ihipStream_tbDpT10_ENKUlT_T0_E_clISt17integral_constantIbLb1EES1D_EEDaS18_S19_EUlS18_E_NS1_11comp_targetILNS1_3genE0ELNS1_11target_archE4294967295ELNS1_3gpuE0ELNS1_3repE0EEENS1_30default_config_static_selectorELNS0_4arch9wavefront6targetE0EEEvT1_.num_named_barrier, 0
	.set _ZN7rocprim17ROCPRIM_400000_NS6detail17trampoline_kernelINS0_14default_configENS1_25partition_config_selectorILNS1_17partition_subalgoE5EsNS0_10empty_typeEbEEZZNS1_14partition_implILS5_5ELb0ES3_mN6thrust23THRUST_200600_302600_NS6detail15normal_iteratorINSA_10device_ptrIsEEEEPS6_NSA_18transform_iteratorINSB_9not_fun_tI7is_trueIsEEENSC_INSD_IbEEEENSA_11use_defaultESO_EENS0_5tupleIJSF_S6_EEENSQ_IJSG_SG_EEES6_PlJS6_EEE10hipError_tPvRmT3_T4_T5_T6_T7_T9_mT8_P12ihipStream_tbDpT10_ENKUlT_T0_E_clISt17integral_constantIbLb1EES1D_EEDaS18_S19_EUlS18_E_NS1_11comp_targetILNS1_3genE0ELNS1_11target_archE4294967295ELNS1_3gpuE0ELNS1_3repE0EEENS1_30default_config_static_selectorELNS0_4arch9wavefront6targetE0EEEvT1_.private_seg_size, 0
	.set _ZN7rocprim17ROCPRIM_400000_NS6detail17trampoline_kernelINS0_14default_configENS1_25partition_config_selectorILNS1_17partition_subalgoE5EsNS0_10empty_typeEbEEZZNS1_14partition_implILS5_5ELb0ES3_mN6thrust23THRUST_200600_302600_NS6detail15normal_iteratorINSA_10device_ptrIsEEEEPS6_NSA_18transform_iteratorINSB_9not_fun_tI7is_trueIsEEENSC_INSD_IbEEEENSA_11use_defaultESO_EENS0_5tupleIJSF_S6_EEENSQ_IJSG_SG_EEES6_PlJS6_EEE10hipError_tPvRmT3_T4_T5_T6_T7_T9_mT8_P12ihipStream_tbDpT10_ENKUlT_T0_E_clISt17integral_constantIbLb1EES1D_EEDaS18_S19_EUlS18_E_NS1_11comp_targetILNS1_3genE0ELNS1_11target_archE4294967295ELNS1_3gpuE0ELNS1_3repE0EEENS1_30default_config_static_selectorELNS0_4arch9wavefront6targetE0EEEvT1_.uses_vcc, 0
	.set _ZN7rocprim17ROCPRIM_400000_NS6detail17trampoline_kernelINS0_14default_configENS1_25partition_config_selectorILNS1_17partition_subalgoE5EsNS0_10empty_typeEbEEZZNS1_14partition_implILS5_5ELb0ES3_mN6thrust23THRUST_200600_302600_NS6detail15normal_iteratorINSA_10device_ptrIsEEEEPS6_NSA_18transform_iteratorINSB_9not_fun_tI7is_trueIsEEENSC_INSD_IbEEEENSA_11use_defaultESO_EENS0_5tupleIJSF_S6_EEENSQ_IJSG_SG_EEES6_PlJS6_EEE10hipError_tPvRmT3_T4_T5_T6_T7_T9_mT8_P12ihipStream_tbDpT10_ENKUlT_T0_E_clISt17integral_constantIbLb1EES1D_EEDaS18_S19_EUlS18_E_NS1_11comp_targetILNS1_3genE0ELNS1_11target_archE4294967295ELNS1_3gpuE0ELNS1_3repE0EEENS1_30default_config_static_selectorELNS0_4arch9wavefront6targetE0EEEvT1_.uses_flat_scratch, 0
	.set _ZN7rocprim17ROCPRIM_400000_NS6detail17trampoline_kernelINS0_14default_configENS1_25partition_config_selectorILNS1_17partition_subalgoE5EsNS0_10empty_typeEbEEZZNS1_14partition_implILS5_5ELb0ES3_mN6thrust23THRUST_200600_302600_NS6detail15normal_iteratorINSA_10device_ptrIsEEEEPS6_NSA_18transform_iteratorINSB_9not_fun_tI7is_trueIsEEENSC_INSD_IbEEEENSA_11use_defaultESO_EENS0_5tupleIJSF_S6_EEENSQ_IJSG_SG_EEES6_PlJS6_EEE10hipError_tPvRmT3_T4_T5_T6_T7_T9_mT8_P12ihipStream_tbDpT10_ENKUlT_T0_E_clISt17integral_constantIbLb1EES1D_EEDaS18_S19_EUlS18_E_NS1_11comp_targetILNS1_3genE0ELNS1_11target_archE4294967295ELNS1_3gpuE0ELNS1_3repE0EEENS1_30default_config_static_selectorELNS0_4arch9wavefront6targetE0EEEvT1_.has_dyn_sized_stack, 0
	.set _ZN7rocprim17ROCPRIM_400000_NS6detail17trampoline_kernelINS0_14default_configENS1_25partition_config_selectorILNS1_17partition_subalgoE5EsNS0_10empty_typeEbEEZZNS1_14partition_implILS5_5ELb0ES3_mN6thrust23THRUST_200600_302600_NS6detail15normal_iteratorINSA_10device_ptrIsEEEEPS6_NSA_18transform_iteratorINSB_9not_fun_tI7is_trueIsEEENSC_INSD_IbEEEENSA_11use_defaultESO_EENS0_5tupleIJSF_S6_EEENSQ_IJSG_SG_EEES6_PlJS6_EEE10hipError_tPvRmT3_T4_T5_T6_T7_T9_mT8_P12ihipStream_tbDpT10_ENKUlT_T0_E_clISt17integral_constantIbLb1EES1D_EEDaS18_S19_EUlS18_E_NS1_11comp_targetILNS1_3genE0ELNS1_11target_archE4294967295ELNS1_3gpuE0ELNS1_3repE0EEENS1_30default_config_static_selectorELNS0_4arch9wavefront6targetE0EEEvT1_.has_recursion, 0
	.set _ZN7rocprim17ROCPRIM_400000_NS6detail17trampoline_kernelINS0_14default_configENS1_25partition_config_selectorILNS1_17partition_subalgoE5EsNS0_10empty_typeEbEEZZNS1_14partition_implILS5_5ELb0ES3_mN6thrust23THRUST_200600_302600_NS6detail15normal_iteratorINSA_10device_ptrIsEEEEPS6_NSA_18transform_iteratorINSB_9not_fun_tI7is_trueIsEEENSC_INSD_IbEEEENSA_11use_defaultESO_EENS0_5tupleIJSF_S6_EEENSQ_IJSG_SG_EEES6_PlJS6_EEE10hipError_tPvRmT3_T4_T5_T6_T7_T9_mT8_P12ihipStream_tbDpT10_ENKUlT_T0_E_clISt17integral_constantIbLb1EES1D_EEDaS18_S19_EUlS18_E_NS1_11comp_targetILNS1_3genE0ELNS1_11target_archE4294967295ELNS1_3gpuE0ELNS1_3repE0EEENS1_30default_config_static_selectorELNS0_4arch9wavefront6targetE0EEEvT1_.has_indirect_call, 0
	.section	.AMDGPU.csdata,"",@progbits
; Kernel info:
; codeLenInByte = 0
; TotalNumSgprs: 0
; NumVgprs: 0
; ScratchSize: 0
; MemoryBound: 0
; FloatMode: 240
; IeeeMode: 1
; LDSByteSize: 0 bytes/workgroup (compile time only)
; SGPRBlocks: 0
; VGPRBlocks: 0
; NumSGPRsForWavesPerEU: 1
; NumVGPRsForWavesPerEU: 1
; Occupancy: 16
; WaveLimiterHint : 0
; COMPUTE_PGM_RSRC2:SCRATCH_EN: 0
; COMPUTE_PGM_RSRC2:USER_SGPR: 2
; COMPUTE_PGM_RSRC2:TRAP_HANDLER: 0
; COMPUTE_PGM_RSRC2:TGID_X_EN: 1
; COMPUTE_PGM_RSRC2:TGID_Y_EN: 0
; COMPUTE_PGM_RSRC2:TGID_Z_EN: 0
; COMPUTE_PGM_RSRC2:TIDIG_COMP_CNT: 0
	.section	.text._ZN7rocprim17ROCPRIM_400000_NS6detail17trampoline_kernelINS0_14default_configENS1_25partition_config_selectorILNS1_17partition_subalgoE5EsNS0_10empty_typeEbEEZZNS1_14partition_implILS5_5ELb0ES3_mN6thrust23THRUST_200600_302600_NS6detail15normal_iteratorINSA_10device_ptrIsEEEEPS6_NSA_18transform_iteratorINSB_9not_fun_tI7is_trueIsEEENSC_INSD_IbEEEENSA_11use_defaultESO_EENS0_5tupleIJSF_S6_EEENSQ_IJSG_SG_EEES6_PlJS6_EEE10hipError_tPvRmT3_T4_T5_T6_T7_T9_mT8_P12ihipStream_tbDpT10_ENKUlT_T0_E_clISt17integral_constantIbLb1EES1D_EEDaS18_S19_EUlS18_E_NS1_11comp_targetILNS1_3genE5ELNS1_11target_archE942ELNS1_3gpuE9ELNS1_3repE0EEENS1_30default_config_static_selectorELNS0_4arch9wavefront6targetE0EEEvT1_,"axG",@progbits,_ZN7rocprim17ROCPRIM_400000_NS6detail17trampoline_kernelINS0_14default_configENS1_25partition_config_selectorILNS1_17partition_subalgoE5EsNS0_10empty_typeEbEEZZNS1_14partition_implILS5_5ELb0ES3_mN6thrust23THRUST_200600_302600_NS6detail15normal_iteratorINSA_10device_ptrIsEEEEPS6_NSA_18transform_iteratorINSB_9not_fun_tI7is_trueIsEEENSC_INSD_IbEEEENSA_11use_defaultESO_EENS0_5tupleIJSF_S6_EEENSQ_IJSG_SG_EEES6_PlJS6_EEE10hipError_tPvRmT3_T4_T5_T6_T7_T9_mT8_P12ihipStream_tbDpT10_ENKUlT_T0_E_clISt17integral_constantIbLb1EES1D_EEDaS18_S19_EUlS18_E_NS1_11comp_targetILNS1_3genE5ELNS1_11target_archE942ELNS1_3gpuE9ELNS1_3repE0EEENS1_30default_config_static_selectorELNS0_4arch9wavefront6targetE0EEEvT1_,comdat
	.protected	_ZN7rocprim17ROCPRIM_400000_NS6detail17trampoline_kernelINS0_14default_configENS1_25partition_config_selectorILNS1_17partition_subalgoE5EsNS0_10empty_typeEbEEZZNS1_14partition_implILS5_5ELb0ES3_mN6thrust23THRUST_200600_302600_NS6detail15normal_iteratorINSA_10device_ptrIsEEEEPS6_NSA_18transform_iteratorINSB_9not_fun_tI7is_trueIsEEENSC_INSD_IbEEEENSA_11use_defaultESO_EENS0_5tupleIJSF_S6_EEENSQ_IJSG_SG_EEES6_PlJS6_EEE10hipError_tPvRmT3_T4_T5_T6_T7_T9_mT8_P12ihipStream_tbDpT10_ENKUlT_T0_E_clISt17integral_constantIbLb1EES1D_EEDaS18_S19_EUlS18_E_NS1_11comp_targetILNS1_3genE5ELNS1_11target_archE942ELNS1_3gpuE9ELNS1_3repE0EEENS1_30default_config_static_selectorELNS0_4arch9wavefront6targetE0EEEvT1_ ; -- Begin function _ZN7rocprim17ROCPRIM_400000_NS6detail17trampoline_kernelINS0_14default_configENS1_25partition_config_selectorILNS1_17partition_subalgoE5EsNS0_10empty_typeEbEEZZNS1_14partition_implILS5_5ELb0ES3_mN6thrust23THRUST_200600_302600_NS6detail15normal_iteratorINSA_10device_ptrIsEEEEPS6_NSA_18transform_iteratorINSB_9not_fun_tI7is_trueIsEEENSC_INSD_IbEEEENSA_11use_defaultESO_EENS0_5tupleIJSF_S6_EEENSQ_IJSG_SG_EEES6_PlJS6_EEE10hipError_tPvRmT3_T4_T5_T6_T7_T9_mT8_P12ihipStream_tbDpT10_ENKUlT_T0_E_clISt17integral_constantIbLb1EES1D_EEDaS18_S19_EUlS18_E_NS1_11comp_targetILNS1_3genE5ELNS1_11target_archE942ELNS1_3gpuE9ELNS1_3repE0EEENS1_30default_config_static_selectorELNS0_4arch9wavefront6targetE0EEEvT1_
	.globl	_ZN7rocprim17ROCPRIM_400000_NS6detail17trampoline_kernelINS0_14default_configENS1_25partition_config_selectorILNS1_17partition_subalgoE5EsNS0_10empty_typeEbEEZZNS1_14partition_implILS5_5ELb0ES3_mN6thrust23THRUST_200600_302600_NS6detail15normal_iteratorINSA_10device_ptrIsEEEEPS6_NSA_18transform_iteratorINSB_9not_fun_tI7is_trueIsEEENSC_INSD_IbEEEENSA_11use_defaultESO_EENS0_5tupleIJSF_S6_EEENSQ_IJSG_SG_EEES6_PlJS6_EEE10hipError_tPvRmT3_T4_T5_T6_T7_T9_mT8_P12ihipStream_tbDpT10_ENKUlT_T0_E_clISt17integral_constantIbLb1EES1D_EEDaS18_S19_EUlS18_E_NS1_11comp_targetILNS1_3genE5ELNS1_11target_archE942ELNS1_3gpuE9ELNS1_3repE0EEENS1_30default_config_static_selectorELNS0_4arch9wavefront6targetE0EEEvT1_
	.p2align	8
	.type	_ZN7rocprim17ROCPRIM_400000_NS6detail17trampoline_kernelINS0_14default_configENS1_25partition_config_selectorILNS1_17partition_subalgoE5EsNS0_10empty_typeEbEEZZNS1_14partition_implILS5_5ELb0ES3_mN6thrust23THRUST_200600_302600_NS6detail15normal_iteratorINSA_10device_ptrIsEEEEPS6_NSA_18transform_iteratorINSB_9not_fun_tI7is_trueIsEEENSC_INSD_IbEEEENSA_11use_defaultESO_EENS0_5tupleIJSF_S6_EEENSQ_IJSG_SG_EEES6_PlJS6_EEE10hipError_tPvRmT3_T4_T5_T6_T7_T9_mT8_P12ihipStream_tbDpT10_ENKUlT_T0_E_clISt17integral_constantIbLb1EES1D_EEDaS18_S19_EUlS18_E_NS1_11comp_targetILNS1_3genE5ELNS1_11target_archE942ELNS1_3gpuE9ELNS1_3repE0EEENS1_30default_config_static_selectorELNS0_4arch9wavefront6targetE0EEEvT1_,@function
_ZN7rocprim17ROCPRIM_400000_NS6detail17trampoline_kernelINS0_14default_configENS1_25partition_config_selectorILNS1_17partition_subalgoE5EsNS0_10empty_typeEbEEZZNS1_14partition_implILS5_5ELb0ES3_mN6thrust23THRUST_200600_302600_NS6detail15normal_iteratorINSA_10device_ptrIsEEEEPS6_NSA_18transform_iteratorINSB_9not_fun_tI7is_trueIsEEENSC_INSD_IbEEEENSA_11use_defaultESO_EENS0_5tupleIJSF_S6_EEENSQ_IJSG_SG_EEES6_PlJS6_EEE10hipError_tPvRmT3_T4_T5_T6_T7_T9_mT8_P12ihipStream_tbDpT10_ENKUlT_T0_E_clISt17integral_constantIbLb1EES1D_EEDaS18_S19_EUlS18_E_NS1_11comp_targetILNS1_3genE5ELNS1_11target_archE942ELNS1_3gpuE9ELNS1_3repE0EEENS1_30default_config_static_selectorELNS0_4arch9wavefront6targetE0EEEvT1_: ; @_ZN7rocprim17ROCPRIM_400000_NS6detail17trampoline_kernelINS0_14default_configENS1_25partition_config_selectorILNS1_17partition_subalgoE5EsNS0_10empty_typeEbEEZZNS1_14partition_implILS5_5ELb0ES3_mN6thrust23THRUST_200600_302600_NS6detail15normal_iteratorINSA_10device_ptrIsEEEEPS6_NSA_18transform_iteratorINSB_9not_fun_tI7is_trueIsEEENSC_INSD_IbEEEENSA_11use_defaultESO_EENS0_5tupleIJSF_S6_EEENSQ_IJSG_SG_EEES6_PlJS6_EEE10hipError_tPvRmT3_T4_T5_T6_T7_T9_mT8_P12ihipStream_tbDpT10_ENKUlT_T0_E_clISt17integral_constantIbLb1EES1D_EEDaS18_S19_EUlS18_E_NS1_11comp_targetILNS1_3genE5ELNS1_11target_archE942ELNS1_3gpuE9ELNS1_3repE0EEENS1_30default_config_static_selectorELNS0_4arch9wavefront6targetE0EEEvT1_
; %bb.0:
	.section	.rodata,"a",@progbits
	.p2align	6, 0x0
	.amdhsa_kernel _ZN7rocprim17ROCPRIM_400000_NS6detail17trampoline_kernelINS0_14default_configENS1_25partition_config_selectorILNS1_17partition_subalgoE5EsNS0_10empty_typeEbEEZZNS1_14partition_implILS5_5ELb0ES3_mN6thrust23THRUST_200600_302600_NS6detail15normal_iteratorINSA_10device_ptrIsEEEEPS6_NSA_18transform_iteratorINSB_9not_fun_tI7is_trueIsEEENSC_INSD_IbEEEENSA_11use_defaultESO_EENS0_5tupleIJSF_S6_EEENSQ_IJSG_SG_EEES6_PlJS6_EEE10hipError_tPvRmT3_T4_T5_T6_T7_T9_mT8_P12ihipStream_tbDpT10_ENKUlT_T0_E_clISt17integral_constantIbLb1EES1D_EEDaS18_S19_EUlS18_E_NS1_11comp_targetILNS1_3genE5ELNS1_11target_archE942ELNS1_3gpuE9ELNS1_3repE0EEENS1_30default_config_static_selectorELNS0_4arch9wavefront6targetE0EEEvT1_
		.amdhsa_group_segment_fixed_size 0
		.amdhsa_private_segment_fixed_size 0
		.amdhsa_kernarg_size 136
		.amdhsa_user_sgpr_count 2
		.amdhsa_user_sgpr_dispatch_ptr 0
		.amdhsa_user_sgpr_queue_ptr 0
		.amdhsa_user_sgpr_kernarg_segment_ptr 1
		.amdhsa_user_sgpr_dispatch_id 0
		.amdhsa_user_sgpr_private_segment_size 0
		.amdhsa_wavefront_size32 1
		.amdhsa_uses_dynamic_stack 0
		.amdhsa_enable_private_segment 0
		.amdhsa_system_sgpr_workgroup_id_x 1
		.amdhsa_system_sgpr_workgroup_id_y 0
		.amdhsa_system_sgpr_workgroup_id_z 0
		.amdhsa_system_sgpr_workgroup_info 0
		.amdhsa_system_vgpr_workitem_id 0
		.amdhsa_next_free_vgpr 1
		.amdhsa_next_free_sgpr 1
		.amdhsa_reserve_vcc 0
		.amdhsa_float_round_mode_32 0
		.amdhsa_float_round_mode_16_64 0
		.amdhsa_float_denorm_mode_32 3
		.amdhsa_float_denorm_mode_16_64 3
		.amdhsa_fp16_overflow 0
		.amdhsa_workgroup_processor_mode 1
		.amdhsa_memory_ordered 1
		.amdhsa_forward_progress 1
		.amdhsa_inst_pref_size 0
		.amdhsa_round_robin_scheduling 0
		.amdhsa_exception_fp_ieee_invalid_op 0
		.amdhsa_exception_fp_denorm_src 0
		.amdhsa_exception_fp_ieee_div_zero 0
		.amdhsa_exception_fp_ieee_overflow 0
		.amdhsa_exception_fp_ieee_underflow 0
		.amdhsa_exception_fp_ieee_inexact 0
		.amdhsa_exception_int_div_zero 0
	.end_amdhsa_kernel
	.section	.text._ZN7rocprim17ROCPRIM_400000_NS6detail17trampoline_kernelINS0_14default_configENS1_25partition_config_selectorILNS1_17partition_subalgoE5EsNS0_10empty_typeEbEEZZNS1_14partition_implILS5_5ELb0ES3_mN6thrust23THRUST_200600_302600_NS6detail15normal_iteratorINSA_10device_ptrIsEEEEPS6_NSA_18transform_iteratorINSB_9not_fun_tI7is_trueIsEEENSC_INSD_IbEEEENSA_11use_defaultESO_EENS0_5tupleIJSF_S6_EEENSQ_IJSG_SG_EEES6_PlJS6_EEE10hipError_tPvRmT3_T4_T5_T6_T7_T9_mT8_P12ihipStream_tbDpT10_ENKUlT_T0_E_clISt17integral_constantIbLb1EES1D_EEDaS18_S19_EUlS18_E_NS1_11comp_targetILNS1_3genE5ELNS1_11target_archE942ELNS1_3gpuE9ELNS1_3repE0EEENS1_30default_config_static_selectorELNS0_4arch9wavefront6targetE0EEEvT1_,"axG",@progbits,_ZN7rocprim17ROCPRIM_400000_NS6detail17trampoline_kernelINS0_14default_configENS1_25partition_config_selectorILNS1_17partition_subalgoE5EsNS0_10empty_typeEbEEZZNS1_14partition_implILS5_5ELb0ES3_mN6thrust23THRUST_200600_302600_NS6detail15normal_iteratorINSA_10device_ptrIsEEEEPS6_NSA_18transform_iteratorINSB_9not_fun_tI7is_trueIsEEENSC_INSD_IbEEEENSA_11use_defaultESO_EENS0_5tupleIJSF_S6_EEENSQ_IJSG_SG_EEES6_PlJS6_EEE10hipError_tPvRmT3_T4_T5_T6_T7_T9_mT8_P12ihipStream_tbDpT10_ENKUlT_T0_E_clISt17integral_constantIbLb1EES1D_EEDaS18_S19_EUlS18_E_NS1_11comp_targetILNS1_3genE5ELNS1_11target_archE942ELNS1_3gpuE9ELNS1_3repE0EEENS1_30default_config_static_selectorELNS0_4arch9wavefront6targetE0EEEvT1_,comdat
.Lfunc_end2566:
	.size	_ZN7rocprim17ROCPRIM_400000_NS6detail17trampoline_kernelINS0_14default_configENS1_25partition_config_selectorILNS1_17partition_subalgoE5EsNS0_10empty_typeEbEEZZNS1_14partition_implILS5_5ELb0ES3_mN6thrust23THRUST_200600_302600_NS6detail15normal_iteratorINSA_10device_ptrIsEEEEPS6_NSA_18transform_iteratorINSB_9not_fun_tI7is_trueIsEEENSC_INSD_IbEEEENSA_11use_defaultESO_EENS0_5tupleIJSF_S6_EEENSQ_IJSG_SG_EEES6_PlJS6_EEE10hipError_tPvRmT3_T4_T5_T6_T7_T9_mT8_P12ihipStream_tbDpT10_ENKUlT_T0_E_clISt17integral_constantIbLb1EES1D_EEDaS18_S19_EUlS18_E_NS1_11comp_targetILNS1_3genE5ELNS1_11target_archE942ELNS1_3gpuE9ELNS1_3repE0EEENS1_30default_config_static_selectorELNS0_4arch9wavefront6targetE0EEEvT1_, .Lfunc_end2566-_ZN7rocprim17ROCPRIM_400000_NS6detail17trampoline_kernelINS0_14default_configENS1_25partition_config_selectorILNS1_17partition_subalgoE5EsNS0_10empty_typeEbEEZZNS1_14partition_implILS5_5ELb0ES3_mN6thrust23THRUST_200600_302600_NS6detail15normal_iteratorINSA_10device_ptrIsEEEEPS6_NSA_18transform_iteratorINSB_9not_fun_tI7is_trueIsEEENSC_INSD_IbEEEENSA_11use_defaultESO_EENS0_5tupleIJSF_S6_EEENSQ_IJSG_SG_EEES6_PlJS6_EEE10hipError_tPvRmT3_T4_T5_T6_T7_T9_mT8_P12ihipStream_tbDpT10_ENKUlT_T0_E_clISt17integral_constantIbLb1EES1D_EEDaS18_S19_EUlS18_E_NS1_11comp_targetILNS1_3genE5ELNS1_11target_archE942ELNS1_3gpuE9ELNS1_3repE0EEENS1_30default_config_static_selectorELNS0_4arch9wavefront6targetE0EEEvT1_
                                        ; -- End function
	.set _ZN7rocprim17ROCPRIM_400000_NS6detail17trampoline_kernelINS0_14default_configENS1_25partition_config_selectorILNS1_17partition_subalgoE5EsNS0_10empty_typeEbEEZZNS1_14partition_implILS5_5ELb0ES3_mN6thrust23THRUST_200600_302600_NS6detail15normal_iteratorINSA_10device_ptrIsEEEEPS6_NSA_18transform_iteratorINSB_9not_fun_tI7is_trueIsEEENSC_INSD_IbEEEENSA_11use_defaultESO_EENS0_5tupleIJSF_S6_EEENSQ_IJSG_SG_EEES6_PlJS6_EEE10hipError_tPvRmT3_T4_T5_T6_T7_T9_mT8_P12ihipStream_tbDpT10_ENKUlT_T0_E_clISt17integral_constantIbLb1EES1D_EEDaS18_S19_EUlS18_E_NS1_11comp_targetILNS1_3genE5ELNS1_11target_archE942ELNS1_3gpuE9ELNS1_3repE0EEENS1_30default_config_static_selectorELNS0_4arch9wavefront6targetE0EEEvT1_.num_vgpr, 0
	.set _ZN7rocprim17ROCPRIM_400000_NS6detail17trampoline_kernelINS0_14default_configENS1_25partition_config_selectorILNS1_17partition_subalgoE5EsNS0_10empty_typeEbEEZZNS1_14partition_implILS5_5ELb0ES3_mN6thrust23THRUST_200600_302600_NS6detail15normal_iteratorINSA_10device_ptrIsEEEEPS6_NSA_18transform_iteratorINSB_9not_fun_tI7is_trueIsEEENSC_INSD_IbEEEENSA_11use_defaultESO_EENS0_5tupleIJSF_S6_EEENSQ_IJSG_SG_EEES6_PlJS6_EEE10hipError_tPvRmT3_T4_T5_T6_T7_T9_mT8_P12ihipStream_tbDpT10_ENKUlT_T0_E_clISt17integral_constantIbLb1EES1D_EEDaS18_S19_EUlS18_E_NS1_11comp_targetILNS1_3genE5ELNS1_11target_archE942ELNS1_3gpuE9ELNS1_3repE0EEENS1_30default_config_static_selectorELNS0_4arch9wavefront6targetE0EEEvT1_.num_agpr, 0
	.set _ZN7rocprim17ROCPRIM_400000_NS6detail17trampoline_kernelINS0_14default_configENS1_25partition_config_selectorILNS1_17partition_subalgoE5EsNS0_10empty_typeEbEEZZNS1_14partition_implILS5_5ELb0ES3_mN6thrust23THRUST_200600_302600_NS6detail15normal_iteratorINSA_10device_ptrIsEEEEPS6_NSA_18transform_iteratorINSB_9not_fun_tI7is_trueIsEEENSC_INSD_IbEEEENSA_11use_defaultESO_EENS0_5tupleIJSF_S6_EEENSQ_IJSG_SG_EEES6_PlJS6_EEE10hipError_tPvRmT3_T4_T5_T6_T7_T9_mT8_P12ihipStream_tbDpT10_ENKUlT_T0_E_clISt17integral_constantIbLb1EES1D_EEDaS18_S19_EUlS18_E_NS1_11comp_targetILNS1_3genE5ELNS1_11target_archE942ELNS1_3gpuE9ELNS1_3repE0EEENS1_30default_config_static_selectorELNS0_4arch9wavefront6targetE0EEEvT1_.numbered_sgpr, 0
	.set _ZN7rocprim17ROCPRIM_400000_NS6detail17trampoline_kernelINS0_14default_configENS1_25partition_config_selectorILNS1_17partition_subalgoE5EsNS0_10empty_typeEbEEZZNS1_14partition_implILS5_5ELb0ES3_mN6thrust23THRUST_200600_302600_NS6detail15normal_iteratorINSA_10device_ptrIsEEEEPS6_NSA_18transform_iteratorINSB_9not_fun_tI7is_trueIsEEENSC_INSD_IbEEEENSA_11use_defaultESO_EENS0_5tupleIJSF_S6_EEENSQ_IJSG_SG_EEES6_PlJS6_EEE10hipError_tPvRmT3_T4_T5_T6_T7_T9_mT8_P12ihipStream_tbDpT10_ENKUlT_T0_E_clISt17integral_constantIbLb1EES1D_EEDaS18_S19_EUlS18_E_NS1_11comp_targetILNS1_3genE5ELNS1_11target_archE942ELNS1_3gpuE9ELNS1_3repE0EEENS1_30default_config_static_selectorELNS0_4arch9wavefront6targetE0EEEvT1_.num_named_barrier, 0
	.set _ZN7rocprim17ROCPRIM_400000_NS6detail17trampoline_kernelINS0_14default_configENS1_25partition_config_selectorILNS1_17partition_subalgoE5EsNS0_10empty_typeEbEEZZNS1_14partition_implILS5_5ELb0ES3_mN6thrust23THRUST_200600_302600_NS6detail15normal_iteratorINSA_10device_ptrIsEEEEPS6_NSA_18transform_iteratorINSB_9not_fun_tI7is_trueIsEEENSC_INSD_IbEEEENSA_11use_defaultESO_EENS0_5tupleIJSF_S6_EEENSQ_IJSG_SG_EEES6_PlJS6_EEE10hipError_tPvRmT3_T4_T5_T6_T7_T9_mT8_P12ihipStream_tbDpT10_ENKUlT_T0_E_clISt17integral_constantIbLb1EES1D_EEDaS18_S19_EUlS18_E_NS1_11comp_targetILNS1_3genE5ELNS1_11target_archE942ELNS1_3gpuE9ELNS1_3repE0EEENS1_30default_config_static_selectorELNS0_4arch9wavefront6targetE0EEEvT1_.private_seg_size, 0
	.set _ZN7rocprim17ROCPRIM_400000_NS6detail17trampoline_kernelINS0_14default_configENS1_25partition_config_selectorILNS1_17partition_subalgoE5EsNS0_10empty_typeEbEEZZNS1_14partition_implILS5_5ELb0ES3_mN6thrust23THRUST_200600_302600_NS6detail15normal_iteratorINSA_10device_ptrIsEEEEPS6_NSA_18transform_iteratorINSB_9not_fun_tI7is_trueIsEEENSC_INSD_IbEEEENSA_11use_defaultESO_EENS0_5tupleIJSF_S6_EEENSQ_IJSG_SG_EEES6_PlJS6_EEE10hipError_tPvRmT3_T4_T5_T6_T7_T9_mT8_P12ihipStream_tbDpT10_ENKUlT_T0_E_clISt17integral_constantIbLb1EES1D_EEDaS18_S19_EUlS18_E_NS1_11comp_targetILNS1_3genE5ELNS1_11target_archE942ELNS1_3gpuE9ELNS1_3repE0EEENS1_30default_config_static_selectorELNS0_4arch9wavefront6targetE0EEEvT1_.uses_vcc, 0
	.set _ZN7rocprim17ROCPRIM_400000_NS6detail17trampoline_kernelINS0_14default_configENS1_25partition_config_selectorILNS1_17partition_subalgoE5EsNS0_10empty_typeEbEEZZNS1_14partition_implILS5_5ELb0ES3_mN6thrust23THRUST_200600_302600_NS6detail15normal_iteratorINSA_10device_ptrIsEEEEPS6_NSA_18transform_iteratorINSB_9not_fun_tI7is_trueIsEEENSC_INSD_IbEEEENSA_11use_defaultESO_EENS0_5tupleIJSF_S6_EEENSQ_IJSG_SG_EEES6_PlJS6_EEE10hipError_tPvRmT3_T4_T5_T6_T7_T9_mT8_P12ihipStream_tbDpT10_ENKUlT_T0_E_clISt17integral_constantIbLb1EES1D_EEDaS18_S19_EUlS18_E_NS1_11comp_targetILNS1_3genE5ELNS1_11target_archE942ELNS1_3gpuE9ELNS1_3repE0EEENS1_30default_config_static_selectorELNS0_4arch9wavefront6targetE0EEEvT1_.uses_flat_scratch, 0
	.set _ZN7rocprim17ROCPRIM_400000_NS6detail17trampoline_kernelINS0_14default_configENS1_25partition_config_selectorILNS1_17partition_subalgoE5EsNS0_10empty_typeEbEEZZNS1_14partition_implILS5_5ELb0ES3_mN6thrust23THRUST_200600_302600_NS6detail15normal_iteratorINSA_10device_ptrIsEEEEPS6_NSA_18transform_iteratorINSB_9not_fun_tI7is_trueIsEEENSC_INSD_IbEEEENSA_11use_defaultESO_EENS0_5tupleIJSF_S6_EEENSQ_IJSG_SG_EEES6_PlJS6_EEE10hipError_tPvRmT3_T4_T5_T6_T7_T9_mT8_P12ihipStream_tbDpT10_ENKUlT_T0_E_clISt17integral_constantIbLb1EES1D_EEDaS18_S19_EUlS18_E_NS1_11comp_targetILNS1_3genE5ELNS1_11target_archE942ELNS1_3gpuE9ELNS1_3repE0EEENS1_30default_config_static_selectorELNS0_4arch9wavefront6targetE0EEEvT1_.has_dyn_sized_stack, 0
	.set _ZN7rocprim17ROCPRIM_400000_NS6detail17trampoline_kernelINS0_14default_configENS1_25partition_config_selectorILNS1_17partition_subalgoE5EsNS0_10empty_typeEbEEZZNS1_14partition_implILS5_5ELb0ES3_mN6thrust23THRUST_200600_302600_NS6detail15normal_iteratorINSA_10device_ptrIsEEEEPS6_NSA_18transform_iteratorINSB_9not_fun_tI7is_trueIsEEENSC_INSD_IbEEEENSA_11use_defaultESO_EENS0_5tupleIJSF_S6_EEENSQ_IJSG_SG_EEES6_PlJS6_EEE10hipError_tPvRmT3_T4_T5_T6_T7_T9_mT8_P12ihipStream_tbDpT10_ENKUlT_T0_E_clISt17integral_constantIbLb1EES1D_EEDaS18_S19_EUlS18_E_NS1_11comp_targetILNS1_3genE5ELNS1_11target_archE942ELNS1_3gpuE9ELNS1_3repE0EEENS1_30default_config_static_selectorELNS0_4arch9wavefront6targetE0EEEvT1_.has_recursion, 0
	.set _ZN7rocprim17ROCPRIM_400000_NS6detail17trampoline_kernelINS0_14default_configENS1_25partition_config_selectorILNS1_17partition_subalgoE5EsNS0_10empty_typeEbEEZZNS1_14partition_implILS5_5ELb0ES3_mN6thrust23THRUST_200600_302600_NS6detail15normal_iteratorINSA_10device_ptrIsEEEEPS6_NSA_18transform_iteratorINSB_9not_fun_tI7is_trueIsEEENSC_INSD_IbEEEENSA_11use_defaultESO_EENS0_5tupleIJSF_S6_EEENSQ_IJSG_SG_EEES6_PlJS6_EEE10hipError_tPvRmT3_T4_T5_T6_T7_T9_mT8_P12ihipStream_tbDpT10_ENKUlT_T0_E_clISt17integral_constantIbLb1EES1D_EEDaS18_S19_EUlS18_E_NS1_11comp_targetILNS1_3genE5ELNS1_11target_archE942ELNS1_3gpuE9ELNS1_3repE0EEENS1_30default_config_static_selectorELNS0_4arch9wavefront6targetE0EEEvT1_.has_indirect_call, 0
	.section	.AMDGPU.csdata,"",@progbits
; Kernel info:
; codeLenInByte = 0
; TotalNumSgprs: 0
; NumVgprs: 0
; ScratchSize: 0
; MemoryBound: 0
; FloatMode: 240
; IeeeMode: 1
; LDSByteSize: 0 bytes/workgroup (compile time only)
; SGPRBlocks: 0
; VGPRBlocks: 0
; NumSGPRsForWavesPerEU: 1
; NumVGPRsForWavesPerEU: 1
; Occupancy: 16
; WaveLimiterHint : 0
; COMPUTE_PGM_RSRC2:SCRATCH_EN: 0
; COMPUTE_PGM_RSRC2:USER_SGPR: 2
; COMPUTE_PGM_RSRC2:TRAP_HANDLER: 0
; COMPUTE_PGM_RSRC2:TGID_X_EN: 1
; COMPUTE_PGM_RSRC2:TGID_Y_EN: 0
; COMPUTE_PGM_RSRC2:TGID_Z_EN: 0
; COMPUTE_PGM_RSRC2:TIDIG_COMP_CNT: 0
	.section	.text._ZN7rocprim17ROCPRIM_400000_NS6detail17trampoline_kernelINS0_14default_configENS1_25partition_config_selectorILNS1_17partition_subalgoE5EsNS0_10empty_typeEbEEZZNS1_14partition_implILS5_5ELb0ES3_mN6thrust23THRUST_200600_302600_NS6detail15normal_iteratorINSA_10device_ptrIsEEEEPS6_NSA_18transform_iteratorINSB_9not_fun_tI7is_trueIsEEENSC_INSD_IbEEEENSA_11use_defaultESO_EENS0_5tupleIJSF_S6_EEENSQ_IJSG_SG_EEES6_PlJS6_EEE10hipError_tPvRmT3_T4_T5_T6_T7_T9_mT8_P12ihipStream_tbDpT10_ENKUlT_T0_E_clISt17integral_constantIbLb1EES1D_EEDaS18_S19_EUlS18_E_NS1_11comp_targetILNS1_3genE4ELNS1_11target_archE910ELNS1_3gpuE8ELNS1_3repE0EEENS1_30default_config_static_selectorELNS0_4arch9wavefront6targetE0EEEvT1_,"axG",@progbits,_ZN7rocprim17ROCPRIM_400000_NS6detail17trampoline_kernelINS0_14default_configENS1_25partition_config_selectorILNS1_17partition_subalgoE5EsNS0_10empty_typeEbEEZZNS1_14partition_implILS5_5ELb0ES3_mN6thrust23THRUST_200600_302600_NS6detail15normal_iteratorINSA_10device_ptrIsEEEEPS6_NSA_18transform_iteratorINSB_9not_fun_tI7is_trueIsEEENSC_INSD_IbEEEENSA_11use_defaultESO_EENS0_5tupleIJSF_S6_EEENSQ_IJSG_SG_EEES6_PlJS6_EEE10hipError_tPvRmT3_T4_T5_T6_T7_T9_mT8_P12ihipStream_tbDpT10_ENKUlT_T0_E_clISt17integral_constantIbLb1EES1D_EEDaS18_S19_EUlS18_E_NS1_11comp_targetILNS1_3genE4ELNS1_11target_archE910ELNS1_3gpuE8ELNS1_3repE0EEENS1_30default_config_static_selectorELNS0_4arch9wavefront6targetE0EEEvT1_,comdat
	.protected	_ZN7rocprim17ROCPRIM_400000_NS6detail17trampoline_kernelINS0_14default_configENS1_25partition_config_selectorILNS1_17partition_subalgoE5EsNS0_10empty_typeEbEEZZNS1_14partition_implILS5_5ELb0ES3_mN6thrust23THRUST_200600_302600_NS6detail15normal_iteratorINSA_10device_ptrIsEEEEPS6_NSA_18transform_iteratorINSB_9not_fun_tI7is_trueIsEEENSC_INSD_IbEEEENSA_11use_defaultESO_EENS0_5tupleIJSF_S6_EEENSQ_IJSG_SG_EEES6_PlJS6_EEE10hipError_tPvRmT3_T4_T5_T6_T7_T9_mT8_P12ihipStream_tbDpT10_ENKUlT_T0_E_clISt17integral_constantIbLb1EES1D_EEDaS18_S19_EUlS18_E_NS1_11comp_targetILNS1_3genE4ELNS1_11target_archE910ELNS1_3gpuE8ELNS1_3repE0EEENS1_30default_config_static_selectorELNS0_4arch9wavefront6targetE0EEEvT1_ ; -- Begin function _ZN7rocprim17ROCPRIM_400000_NS6detail17trampoline_kernelINS0_14default_configENS1_25partition_config_selectorILNS1_17partition_subalgoE5EsNS0_10empty_typeEbEEZZNS1_14partition_implILS5_5ELb0ES3_mN6thrust23THRUST_200600_302600_NS6detail15normal_iteratorINSA_10device_ptrIsEEEEPS6_NSA_18transform_iteratorINSB_9not_fun_tI7is_trueIsEEENSC_INSD_IbEEEENSA_11use_defaultESO_EENS0_5tupleIJSF_S6_EEENSQ_IJSG_SG_EEES6_PlJS6_EEE10hipError_tPvRmT3_T4_T5_T6_T7_T9_mT8_P12ihipStream_tbDpT10_ENKUlT_T0_E_clISt17integral_constantIbLb1EES1D_EEDaS18_S19_EUlS18_E_NS1_11comp_targetILNS1_3genE4ELNS1_11target_archE910ELNS1_3gpuE8ELNS1_3repE0EEENS1_30default_config_static_selectorELNS0_4arch9wavefront6targetE0EEEvT1_
	.globl	_ZN7rocprim17ROCPRIM_400000_NS6detail17trampoline_kernelINS0_14default_configENS1_25partition_config_selectorILNS1_17partition_subalgoE5EsNS0_10empty_typeEbEEZZNS1_14partition_implILS5_5ELb0ES3_mN6thrust23THRUST_200600_302600_NS6detail15normal_iteratorINSA_10device_ptrIsEEEEPS6_NSA_18transform_iteratorINSB_9not_fun_tI7is_trueIsEEENSC_INSD_IbEEEENSA_11use_defaultESO_EENS0_5tupleIJSF_S6_EEENSQ_IJSG_SG_EEES6_PlJS6_EEE10hipError_tPvRmT3_T4_T5_T6_T7_T9_mT8_P12ihipStream_tbDpT10_ENKUlT_T0_E_clISt17integral_constantIbLb1EES1D_EEDaS18_S19_EUlS18_E_NS1_11comp_targetILNS1_3genE4ELNS1_11target_archE910ELNS1_3gpuE8ELNS1_3repE0EEENS1_30default_config_static_selectorELNS0_4arch9wavefront6targetE0EEEvT1_
	.p2align	8
	.type	_ZN7rocprim17ROCPRIM_400000_NS6detail17trampoline_kernelINS0_14default_configENS1_25partition_config_selectorILNS1_17partition_subalgoE5EsNS0_10empty_typeEbEEZZNS1_14partition_implILS5_5ELb0ES3_mN6thrust23THRUST_200600_302600_NS6detail15normal_iteratorINSA_10device_ptrIsEEEEPS6_NSA_18transform_iteratorINSB_9not_fun_tI7is_trueIsEEENSC_INSD_IbEEEENSA_11use_defaultESO_EENS0_5tupleIJSF_S6_EEENSQ_IJSG_SG_EEES6_PlJS6_EEE10hipError_tPvRmT3_T4_T5_T6_T7_T9_mT8_P12ihipStream_tbDpT10_ENKUlT_T0_E_clISt17integral_constantIbLb1EES1D_EEDaS18_S19_EUlS18_E_NS1_11comp_targetILNS1_3genE4ELNS1_11target_archE910ELNS1_3gpuE8ELNS1_3repE0EEENS1_30default_config_static_selectorELNS0_4arch9wavefront6targetE0EEEvT1_,@function
_ZN7rocprim17ROCPRIM_400000_NS6detail17trampoline_kernelINS0_14default_configENS1_25partition_config_selectorILNS1_17partition_subalgoE5EsNS0_10empty_typeEbEEZZNS1_14partition_implILS5_5ELb0ES3_mN6thrust23THRUST_200600_302600_NS6detail15normal_iteratorINSA_10device_ptrIsEEEEPS6_NSA_18transform_iteratorINSB_9not_fun_tI7is_trueIsEEENSC_INSD_IbEEEENSA_11use_defaultESO_EENS0_5tupleIJSF_S6_EEENSQ_IJSG_SG_EEES6_PlJS6_EEE10hipError_tPvRmT3_T4_T5_T6_T7_T9_mT8_P12ihipStream_tbDpT10_ENKUlT_T0_E_clISt17integral_constantIbLb1EES1D_EEDaS18_S19_EUlS18_E_NS1_11comp_targetILNS1_3genE4ELNS1_11target_archE910ELNS1_3gpuE8ELNS1_3repE0EEENS1_30default_config_static_selectorELNS0_4arch9wavefront6targetE0EEEvT1_: ; @_ZN7rocprim17ROCPRIM_400000_NS6detail17trampoline_kernelINS0_14default_configENS1_25partition_config_selectorILNS1_17partition_subalgoE5EsNS0_10empty_typeEbEEZZNS1_14partition_implILS5_5ELb0ES3_mN6thrust23THRUST_200600_302600_NS6detail15normal_iteratorINSA_10device_ptrIsEEEEPS6_NSA_18transform_iteratorINSB_9not_fun_tI7is_trueIsEEENSC_INSD_IbEEEENSA_11use_defaultESO_EENS0_5tupleIJSF_S6_EEENSQ_IJSG_SG_EEES6_PlJS6_EEE10hipError_tPvRmT3_T4_T5_T6_T7_T9_mT8_P12ihipStream_tbDpT10_ENKUlT_T0_E_clISt17integral_constantIbLb1EES1D_EEDaS18_S19_EUlS18_E_NS1_11comp_targetILNS1_3genE4ELNS1_11target_archE910ELNS1_3gpuE8ELNS1_3repE0EEENS1_30default_config_static_selectorELNS0_4arch9wavefront6targetE0EEEvT1_
; %bb.0:
	.section	.rodata,"a",@progbits
	.p2align	6, 0x0
	.amdhsa_kernel _ZN7rocprim17ROCPRIM_400000_NS6detail17trampoline_kernelINS0_14default_configENS1_25partition_config_selectorILNS1_17partition_subalgoE5EsNS0_10empty_typeEbEEZZNS1_14partition_implILS5_5ELb0ES3_mN6thrust23THRUST_200600_302600_NS6detail15normal_iteratorINSA_10device_ptrIsEEEEPS6_NSA_18transform_iteratorINSB_9not_fun_tI7is_trueIsEEENSC_INSD_IbEEEENSA_11use_defaultESO_EENS0_5tupleIJSF_S6_EEENSQ_IJSG_SG_EEES6_PlJS6_EEE10hipError_tPvRmT3_T4_T5_T6_T7_T9_mT8_P12ihipStream_tbDpT10_ENKUlT_T0_E_clISt17integral_constantIbLb1EES1D_EEDaS18_S19_EUlS18_E_NS1_11comp_targetILNS1_3genE4ELNS1_11target_archE910ELNS1_3gpuE8ELNS1_3repE0EEENS1_30default_config_static_selectorELNS0_4arch9wavefront6targetE0EEEvT1_
		.amdhsa_group_segment_fixed_size 0
		.amdhsa_private_segment_fixed_size 0
		.amdhsa_kernarg_size 136
		.amdhsa_user_sgpr_count 2
		.amdhsa_user_sgpr_dispatch_ptr 0
		.amdhsa_user_sgpr_queue_ptr 0
		.amdhsa_user_sgpr_kernarg_segment_ptr 1
		.amdhsa_user_sgpr_dispatch_id 0
		.amdhsa_user_sgpr_private_segment_size 0
		.amdhsa_wavefront_size32 1
		.amdhsa_uses_dynamic_stack 0
		.amdhsa_enable_private_segment 0
		.amdhsa_system_sgpr_workgroup_id_x 1
		.amdhsa_system_sgpr_workgroup_id_y 0
		.amdhsa_system_sgpr_workgroup_id_z 0
		.amdhsa_system_sgpr_workgroup_info 0
		.amdhsa_system_vgpr_workitem_id 0
		.amdhsa_next_free_vgpr 1
		.amdhsa_next_free_sgpr 1
		.amdhsa_reserve_vcc 0
		.amdhsa_float_round_mode_32 0
		.amdhsa_float_round_mode_16_64 0
		.amdhsa_float_denorm_mode_32 3
		.amdhsa_float_denorm_mode_16_64 3
		.amdhsa_fp16_overflow 0
		.amdhsa_workgroup_processor_mode 1
		.amdhsa_memory_ordered 1
		.amdhsa_forward_progress 1
		.amdhsa_inst_pref_size 0
		.amdhsa_round_robin_scheduling 0
		.amdhsa_exception_fp_ieee_invalid_op 0
		.amdhsa_exception_fp_denorm_src 0
		.amdhsa_exception_fp_ieee_div_zero 0
		.amdhsa_exception_fp_ieee_overflow 0
		.amdhsa_exception_fp_ieee_underflow 0
		.amdhsa_exception_fp_ieee_inexact 0
		.amdhsa_exception_int_div_zero 0
	.end_amdhsa_kernel
	.section	.text._ZN7rocprim17ROCPRIM_400000_NS6detail17trampoline_kernelINS0_14default_configENS1_25partition_config_selectorILNS1_17partition_subalgoE5EsNS0_10empty_typeEbEEZZNS1_14partition_implILS5_5ELb0ES3_mN6thrust23THRUST_200600_302600_NS6detail15normal_iteratorINSA_10device_ptrIsEEEEPS6_NSA_18transform_iteratorINSB_9not_fun_tI7is_trueIsEEENSC_INSD_IbEEEENSA_11use_defaultESO_EENS0_5tupleIJSF_S6_EEENSQ_IJSG_SG_EEES6_PlJS6_EEE10hipError_tPvRmT3_T4_T5_T6_T7_T9_mT8_P12ihipStream_tbDpT10_ENKUlT_T0_E_clISt17integral_constantIbLb1EES1D_EEDaS18_S19_EUlS18_E_NS1_11comp_targetILNS1_3genE4ELNS1_11target_archE910ELNS1_3gpuE8ELNS1_3repE0EEENS1_30default_config_static_selectorELNS0_4arch9wavefront6targetE0EEEvT1_,"axG",@progbits,_ZN7rocprim17ROCPRIM_400000_NS6detail17trampoline_kernelINS0_14default_configENS1_25partition_config_selectorILNS1_17partition_subalgoE5EsNS0_10empty_typeEbEEZZNS1_14partition_implILS5_5ELb0ES3_mN6thrust23THRUST_200600_302600_NS6detail15normal_iteratorINSA_10device_ptrIsEEEEPS6_NSA_18transform_iteratorINSB_9not_fun_tI7is_trueIsEEENSC_INSD_IbEEEENSA_11use_defaultESO_EENS0_5tupleIJSF_S6_EEENSQ_IJSG_SG_EEES6_PlJS6_EEE10hipError_tPvRmT3_T4_T5_T6_T7_T9_mT8_P12ihipStream_tbDpT10_ENKUlT_T0_E_clISt17integral_constantIbLb1EES1D_EEDaS18_S19_EUlS18_E_NS1_11comp_targetILNS1_3genE4ELNS1_11target_archE910ELNS1_3gpuE8ELNS1_3repE0EEENS1_30default_config_static_selectorELNS0_4arch9wavefront6targetE0EEEvT1_,comdat
.Lfunc_end2567:
	.size	_ZN7rocprim17ROCPRIM_400000_NS6detail17trampoline_kernelINS0_14default_configENS1_25partition_config_selectorILNS1_17partition_subalgoE5EsNS0_10empty_typeEbEEZZNS1_14partition_implILS5_5ELb0ES3_mN6thrust23THRUST_200600_302600_NS6detail15normal_iteratorINSA_10device_ptrIsEEEEPS6_NSA_18transform_iteratorINSB_9not_fun_tI7is_trueIsEEENSC_INSD_IbEEEENSA_11use_defaultESO_EENS0_5tupleIJSF_S6_EEENSQ_IJSG_SG_EEES6_PlJS6_EEE10hipError_tPvRmT3_T4_T5_T6_T7_T9_mT8_P12ihipStream_tbDpT10_ENKUlT_T0_E_clISt17integral_constantIbLb1EES1D_EEDaS18_S19_EUlS18_E_NS1_11comp_targetILNS1_3genE4ELNS1_11target_archE910ELNS1_3gpuE8ELNS1_3repE0EEENS1_30default_config_static_selectorELNS0_4arch9wavefront6targetE0EEEvT1_, .Lfunc_end2567-_ZN7rocprim17ROCPRIM_400000_NS6detail17trampoline_kernelINS0_14default_configENS1_25partition_config_selectorILNS1_17partition_subalgoE5EsNS0_10empty_typeEbEEZZNS1_14partition_implILS5_5ELb0ES3_mN6thrust23THRUST_200600_302600_NS6detail15normal_iteratorINSA_10device_ptrIsEEEEPS6_NSA_18transform_iteratorINSB_9not_fun_tI7is_trueIsEEENSC_INSD_IbEEEENSA_11use_defaultESO_EENS0_5tupleIJSF_S6_EEENSQ_IJSG_SG_EEES6_PlJS6_EEE10hipError_tPvRmT3_T4_T5_T6_T7_T9_mT8_P12ihipStream_tbDpT10_ENKUlT_T0_E_clISt17integral_constantIbLb1EES1D_EEDaS18_S19_EUlS18_E_NS1_11comp_targetILNS1_3genE4ELNS1_11target_archE910ELNS1_3gpuE8ELNS1_3repE0EEENS1_30default_config_static_selectorELNS0_4arch9wavefront6targetE0EEEvT1_
                                        ; -- End function
	.set _ZN7rocprim17ROCPRIM_400000_NS6detail17trampoline_kernelINS0_14default_configENS1_25partition_config_selectorILNS1_17partition_subalgoE5EsNS0_10empty_typeEbEEZZNS1_14partition_implILS5_5ELb0ES3_mN6thrust23THRUST_200600_302600_NS6detail15normal_iteratorINSA_10device_ptrIsEEEEPS6_NSA_18transform_iteratorINSB_9not_fun_tI7is_trueIsEEENSC_INSD_IbEEEENSA_11use_defaultESO_EENS0_5tupleIJSF_S6_EEENSQ_IJSG_SG_EEES6_PlJS6_EEE10hipError_tPvRmT3_T4_T5_T6_T7_T9_mT8_P12ihipStream_tbDpT10_ENKUlT_T0_E_clISt17integral_constantIbLb1EES1D_EEDaS18_S19_EUlS18_E_NS1_11comp_targetILNS1_3genE4ELNS1_11target_archE910ELNS1_3gpuE8ELNS1_3repE0EEENS1_30default_config_static_selectorELNS0_4arch9wavefront6targetE0EEEvT1_.num_vgpr, 0
	.set _ZN7rocprim17ROCPRIM_400000_NS6detail17trampoline_kernelINS0_14default_configENS1_25partition_config_selectorILNS1_17partition_subalgoE5EsNS0_10empty_typeEbEEZZNS1_14partition_implILS5_5ELb0ES3_mN6thrust23THRUST_200600_302600_NS6detail15normal_iteratorINSA_10device_ptrIsEEEEPS6_NSA_18transform_iteratorINSB_9not_fun_tI7is_trueIsEEENSC_INSD_IbEEEENSA_11use_defaultESO_EENS0_5tupleIJSF_S6_EEENSQ_IJSG_SG_EEES6_PlJS6_EEE10hipError_tPvRmT3_T4_T5_T6_T7_T9_mT8_P12ihipStream_tbDpT10_ENKUlT_T0_E_clISt17integral_constantIbLb1EES1D_EEDaS18_S19_EUlS18_E_NS1_11comp_targetILNS1_3genE4ELNS1_11target_archE910ELNS1_3gpuE8ELNS1_3repE0EEENS1_30default_config_static_selectorELNS0_4arch9wavefront6targetE0EEEvT1_.num_agpr, 0
	.set _ZN7rocprim17ROCPRIM_400000_NS6detail17trampoline_kernelINS0_14default_configENS1_25partition_config_selectorILNS1_17partition_subalgoE5EsNS0_10empty_typeEbEEZZNS1_14partition_implILS5_5ELb0ES3_mN6thrust23THRUST_200600_302600_NS6detail15normal_iteratorINSA_10device_ptrIsEEEEPS6_NSA_18transform_iteratorINSB_9not_fun_tI7is_trueIsEEENSC_INSD_IbEEEENSA_11use_defaultESO_EENS0_5tupleIJSF_S6_EEENSQ_IJSG_SG_EEES6_PlJS6_EEE10hipError_tPvRmT3_T4_T5_T6_T7_T9_mT8_P12ihipStream_tbDpT10_ENKUlT_T0_E_clISt17integral_constantIbLb1EES1D_EEDaS18_S19_EUlS18_E_NS1_11comp_targetILNS1_3genE4ELNS1_11target_archE910ELNS1_3gpuE8ELNS1_3repE0EEENS1_30default_config_static_selectorELNS0_4arch9wavefront6targetE0EEEvT1_.numbered_sgpr, 0
	.set _ZN7rocprim17ROCPRIM_400000_NS6detail17trampoline_kernelINS0_14default_configENS1_25partition_config_selectorILNS1_17partition_subalgoE5EsNS0_10empty_typeEbEEZZNS1_14partition_implILS5_5ELb0ES3_mN6thrust23THRUST_200600_302600_NS6detail15normal_iteratorINSA_10device_ptrIsEEEEPS6_NSA_18transform_iteratorINSB_9not_fun_tI7is_trueIsEEENSC_INSD_IbEEEENSA_11use_defaultESO_EENS0_5tupleIJSF_S6_EEENSQ_IJSG_SG_EEES6_PlJS6_EEE10hipError_tPvRmT3_T4_T5_T6_T7_T9_mT8_P12ihipStream_tbDpT10_ENKUlT_T0_E_clISt17integral_constantIbLb1EES1D_EEDaS18_S19_EUlS18_E_NS1_11comp_targetILNS1_3genE4ELNS1_11target_archE910ELNS1_3gpuE8ELNS1_3repE0EEENS1_30default_config_static_selectorELNS0_4arch9wavefront6targetE0EEEvT1_.num_named_barrier, 0
	.set _ZN7rocprim17ROCPRIM_400000_NS6detail17trampoline_kernelINS0_14default_configENS1_25partition_config_selectorILNS1_17partition_subalgoE5EsNS0_10empty_typeEbEEZZNS1_14partition_implILS5_5ELb0ES3_mN6thrust23THRUST_200600_302600_NS6detail15normal_iteratorINSA_10device_ptrIsEEEEPS6_NSA_18transform_iteratorINSB_9not_fun_tI7is_trueIsEEENSC_INSD_IbEEEENSA_11use_defaultESO_EENS0_5tupleIJSF_S6_EEENSQ_IJSG_SG_EEES6_PlJS6_EEE10hipError_tPvRmT3_T4_T5_T6_T7_T9_mT8_P12ihipStream_tbDpT10_ENKUlT_T0_E_clISt17integral_constantIbLb1EES1D_EEDaS18_S19_EUlS18_E_NS1_11comp_targetILNS1_3genE4ELNS1_11target_archE910ELNS1_3gpuE8ELNS1_3repE0EEENS1_30default_config_static_selectorELNS0_4arch9wavefront6targetE0EEEvT1_.private_seg_size, 0
	.set _ZN7rocprim17ROCPRIM_400000_NS6detail17trampoline_kernelINS0_14default_configENS1_25partition_config_selectorILNS1_17partition_subalgoE5EsNS0_10empty_typeEbEEZZNS1_14partition_implILS5_5ELb0ES3_mN6thrust23THRUST_200600_302600_NS6detail15normal_iteratorINSA_10device_ptrIsEEEEPS6_NSA_18transform_iteratorINSB_9not_fun_tI7is_trueIsEEENSC_INSD_IbEEEENSA_11use_defaultESO_EENS0_5tupleIJSF_S6_EEENSQ_IJSG_SG_EEES6_PlJS6_EEE10hipError_tPvRmT3_T4_T5_T6_T7_T9_mT8_P12ihipStream_tbDpT10_ENKUlT_T0_E_clISt17integral_constantIbLb1EES1D_EEDaS18_S19_EUlS18_E_NS1_11comp_targetILNS1_3genE4ELNS1_11target_archE910ELNS1_3gpuE8ELNS1_3repE0EEENS1_30default_config_static_selectorELNS0_4arch9wavefront6targetE0EEEvT1_.uses_vcc, 0
	.set _ZN7rocprim17ROCPRIM_400000_NS6detail17trampoline_kernelINS0_14default_configENS1_25partition_config_selectorILNS1_17partition_subalgoE5EsNS0_10empty_typeEbEEZZNS1_14partition_implILS5_5ELb0ES3_mN6thrust23THRUST_200600_302600_NS6detail15normal_iteratorINSA_10device_ptrIsEEEEPS6_NSA_18transform_iteratorINSB_9not_fun_tI7is_trueIsEEENSC_INSD_IbEEEENSA_11use_defaultESO_EENS0_5tupleIJSF_S6_EEENSQ_IJSG_SG_EEES6_PlJS6_EEE10hipError_tPvRmT3_T4_T5_T6_T7_T9_mT8_P12ihipStream_tbDpT10_ENKUlT_T0_E_clISt17integral_constantIbLb1EES1D_EEDaS18_S19_EUlS18_E_NS1_11comp_targetILNS1_3genE4ELNS1_11target_archE910ELNS1_3gpuE8ELNS1_3repE0EEENS1_30default_config_static_selectorELNS0_4arch9wavefront6targetE0EEEvT1_.uses_flat_scratch, 0
	.set _ZN7rocprim17ROCPRIM_400000_NS6detail17trampoline_kernelINS0_14default_configENS1_25partition_config_selectorILNS1_17partition_subalgoE5EsNS0_10empty_typeEbEEZZNS1_14partition_implILS5_5ELb0ES3_mN6thrust23THRUST_200600_302600_NS6detail15normal_iteratorINSA_10device_ptrIsEEEEPS6_NSA_18transform_iteratorINSB_9not_fun_tI7is_trueIsEEENSC_INSD_IbEEEENSA_11use_defaultESO_EENS0_5tupleIJSF_S6_EEENSQ_IJSG_SG_EEES6_PlJS6_EEE10hipError_tPvRmT3_T4_T5_T6_T7_T9_mT8_P12ihipStream_tbDpT10_ENKUlT_T0_E_clISt17integral_constantIbLb1EES1D_EEDaS18_S19_EUlS18_E_NS1_11comp_targetILNS1_3genE4ELNS1_11target_archE910ELNS1_3gpuE8ELNS1_3repE0EEENS1_30default_config_static_selectorELNS0_4arch9wavefront6targetE0EEEvT1_.has_dyn_sized_stack, 0
	.set _ZN7rocprim17ROCPRIM_400000_NS6detail17trampoline_kernelINS0_14default_configENS1_25partition_config_selectorILNS1_17partition_subalgoE5EsNS0_10empty_typeEbEEZZNS1_14partition_implILS5_5ELb0ES3_mN6thrust23THRUST_200600_302600_NS6detail15normal_iteratorINSA_10device_ptrIsEEEEPS6_NSA_18transform_iteratorINSB_9not_fun_tI7is_trueIsEEENSC_INSD_IbEEEENSA_11use_defaultESO_EENS0_5tupleIJSF_S6_EEENSQ_IJSG_SG_EEES6_PlJS6_EEE10hipError_tPvRmT3_T4_T5_T6_T7_T9_mT8_P12ihipStream_tbDpT10_ENKUlT_T0_E_clISt17integral_constantIbLb1EES1D_EEDaS18_S19_EUlS18_E_NS1_11comp_targetILNS1_3genE4ELNS1_11target_archE910ELNS1_3gpuE8ELNS1_3repE0EEENS1_30default_config_static_selectorELNS0_4arch9wavefront6targetE0EEEvT1_.has_recursion, 0
	.set _ZN7rocprim17ROCPRIM_400000_NS6detail17trampoline_kernelINS0_14default_configENS1_25partition_config_selectorILNS1_17partition_subalgoE5EsNS0_10empty_typeEbEEZZNS1_14partition_implILS5_5ELb0ES3_mN6thrust23THRUST_200600_302600_NS6detail15normal_iteratorINSA_10device_ptrIsEEEEPS6_NSA_18transform_iteratorINSB_9not_fun_tI7is_trueIsEEENSC_INSD_IbEEEENSA_11use_defaultESO_EENS0_5tupleIJSF_S6_EEENSQ_IJSG_SG_EEES6_PlJS6_EEE10hipError_tPvRmT3_T4_T5_T6_T7_T9_mT8_P12ihipStream_tbDpT10_ENKUlT_T0_E_clISt17integral_constantIbLb1EES1D_EEDaS18_S19_EUlS18_E_NS1_11comp_targetILNS1_3genE4ELNS1_11target_archE910ELNS1_3gpuE8ELNS1_3repE0EEENS1_30default_config_static_selectorELNS0_4arch9wavefront6targetE0EEEvT1_.has_indirect_call, 0
	.section	.AMDGPU.csdata,"",@progbits
; Kernel info:
; codeLenInByte = 0
; TotalNumSgprs: 0
; NumVgprs: 0
; ScratchSize: 0
; MemoryBound: 0
; FloatMode: 240
; IeeeMode: 1
; LDSByteSize: 0 bytes/workgroup (compile time only)
; SGPRBlocks: 0
; VGPRBlocks: 0
; NumSGPRsForWavesPerEU: 1
; NumVGPRsForWavesPerEU: 1
; Occupancy: 16
; WaveLimiterHint : 0
; COMPUTE_PGM_RSRC2:SCRATCH_EN: 0
; COMPUTE_PGM_RSRC2:USER_SGPR: 2
; COMPUTE_PGM_RSRC2:TRAP_HANDLER: 0
; COMPUTE_PGM_RSRC2:TGID_X_EN: 1
; COMPUTE_PGM_RSRC2:TGID_Y_EN: 0
; COMPUTE_PGM_RSRC2:TGID_Z_EN: 0
; COMPUTE_PGM_RSRC2:TIDIG_COMP_CNT: 0
	.section	.text._ZN7rocprim17ROCPRIM_400000_NS6detail17trampoline_kernelINS0_14default_configENS1_25partition_config_selectorILNS1_17partition_subalgoE5EsNS0_10empty_typeEbEEZZNS1_14partition_implILS5_5ELb0ES3_mN6thrust23THRUST_200600_302600_NS6detail15normal_iteratorINSA_10device_ptrIsEEEEPS6_NSA_18transform_iteratorINSB_9not_fun_tI7is_trueIsEEENSC_INSD_IbEEEENSA_11use_defaultESO_EENS0_5tupleIJSF_S6_EEENSQ_IJSG_SG_EEES6_PlJS6_EEE10hipError_tPvRmT3_T4_T5_T6_T7_T9_mT8_P12ihipStream_tbDpT10_ENKUlT_T0_E_clISt17integral_constantIbLb1EES1D_EEDaS18_S19_EUlS18_E_NS1_11comp_targetILNS1_3genE3ELNS1_11target_archE908ELNS1_3gpuE7ELNS1_3repE0EEENS1_30default_config_static_selectorELNS0_4arch9wavefront6targetE0EEEvT1_,"axG",@progbits,_ZN7rocprim17ROCPRIM_400000_NS6detail17trampoline_kernelINS0_14default_configENS1_25partition_config_selectorILNS1_17partition_subalgoE5EsNS0_10empty_typeEbEEZZNS1_14partition_implILS5_5ELb0ES3_mN6thrust23THRUST_200600_302600_NS6detail15normal_iteratorINSA_10device_ptrIsEEEEPS6_NSA_18transform_iteratorINSB_9not_fun_tI7is_trueIsEEENSC_INSD_IbEEEENSA_11use_defaultESO_EENS0_5tupleIJSF_S6_EEENSQ_IJSG_SG_EEES6_PlJS6_EEE10hipError_tPvRmT3_T4_T5_T6_T7_T9_mT8_P12ihipStream_tbDpT10_ENKUlT_T0_E_clISt17integral_constantIbLb1EES1D_EEDaS18_S19_EUlS18_E_NS1_11comp_targetILNS1_3genE3ELNS1_11target_archE908ELNS1_3gpuE7ELNS1_3repE0EEENS1_30default_config_static_selectorELNS0_4arch9wavefront6targetE0EEEvT1_,comdat
	.protected	_ZN7rocprim17ROCPRIM_400000_NS6detail17trampoline_kernelINS0_14default_configENS1_25partition_config_selectorILNS1_17partition_subalgoE5EsNS0_10empty_typeEbEEZZNS1_14partition_implILS5_5ELb0ES3_mN6thrust23THRUST_200600_302600_NS6detail15normal_iteratorINSA_10device_ptrIsEEEEPS6_NSA_18transform_iteratorINSB_9not_fun_tI7is_trueIsEEENSC_INSD_IbEEEENSA_11use_defaultESO_EENS0_5tupleIJSF_S6_EEENSQ_IJSG_SG_EEES6_PlJS6_EEE10hipError_tPvRmT3_T4_T5_T6_T7_T9_mT8_P12ihipStream_tbDpT10_ENKUlT_T0_E_clISt17integral_constantIbLb1EES1D_EEDaS18_S19_EUlS18_E_NS1_11comp_targetILNS1_3genE3ELNS1_11target_archE908ELNS1_3gpuE7ELNS1_3repE0EEENS1_30default_config_static_selectorELNS0_4arch9wavefront6targetE0EEEvT1_ ; -- Begin function _ZN7rocprim17ROCPRIM_400000_NS6detail17trampoline_kernelINS0_14default_configENS1_25partition_config_selectorILNS1_17partition_subalgoE5EsNS0_10empty_typeEbEEZZNS1_14partition_implILS5_5ELb0ES3_mN6thrust23THRUST_200600_302600_NS6detail15normal_iteratorINSA_10device_ptrIsEEEEPS6_NSA_18transform_iteratorINSB_9not_fun_tI7is_trueIsEEENSC_INSD_IbEEEENSA_11use_defaultESO_EENS0_5tupleIJSF_S6_EEENSQ_IJSG_SG_EEES6_PlJS6_EEE10hipError_tPvRmT3_T4_T5_T6_T7_T9_mT8_P12ihipStream_tbDpT10_ENKUlT_T0_E_clISt17integral_constantIbLb1EES1D_EEDaS18_S19_EUlS18_E_NS1_11comp_targetILNS1_3genE3ELNS1_11target_archE908ELNS1_3gpuE7ELNS1_3repE0EEENS1_30default_config_static_selectorELNS0_4arch9wavefront6targetE0EEEvT1_
	.globl	_ZN7rocprim17ROCPRIM_400000_NS6detail17trampoline_kernelINS0_14default_configENS1_25partition_config_selectorILNS1_17partition_subalgoE5EsNS0_10empty_typeEbEEZZNS1_14partition_implILS5_5ELb0ES3_mN6thrust23THRUST_200600_302600_NS6detail15normal_iteratorINSA_10device_ptrIsEEEEPS6_NSA_18transform_iteratorINSB_9not_fun_tI7is_trueIsEEENSC_INSD_IbEEEENSA_11use_defaultESO_EENS0_5tupleIJSF_S6_EEENSQ_IJSG_SG_EEES6_PlJS6_EEE10hipError_tPvRmT3_T4_T5_T6_T7_T9_mT8_P12ihipStream_tbDpT10_ENKUlT_T0_E_clISt17integral_constantIbLb1EES1D_EEDaS18_S19_EUlS18_E_NS1_11comp_targetILNS1_3genE3ELNS1_11target_archE908ELNS1_3gpuE7ELNS1_3repE0EEENS1_30default_config_static_selectorELNS0_4arch9wavefront6targetE0EEEvT1_
	.p2align	8
	.type	_ZN7rocprim17ROCPRIM_400000_NS6detail17trampoline_kernelINS0_14default_configENS1_25partition_config_selectorILNS1_17partition_subalgoE5EsNS0_10empty_typeEbEEZZNS1_14partition_implILS5_5ELb0ES3_mN6thrust23THRUST_200600_302600_NS6detail15normal_iteratorINSA_10device_ptrIsEEEEPS6_NSA_18transform_iteratorINSB_9not_fun_tI7is_trueIsEEENSC_INSD_IbEEEENSA_11use_defaultESO_EENS0_5tupleIJSF_S6_EEENSQ_IJSG_SG_EEES6_PlJS6_EEE10hipError_tPvRmT3_T4_T5_T6_T7_T9_mT8_P12ihipStream_tbDpT10_ENKUlT_T0_E_clISt17integral_constantIbLb1EES1D_EEDaS18_S19_EUlS18_E_NS1_11comp_targetILNS1_3genE3ELNS1_11target_archE908ELNS1_3gpuE7ELNS1_3repE0EEENS1_30default_config_static_selectorELNS0_4arch9wavefront6targetE0EEEvT1_,@function
_ZN7rocprim17ROCPRIM_400000_NS6detail17trampoline_kernelINS0_14default_configENS1_25partition_config_selectorILNS1_17partition_subalgoE5EsNS0_10empty_typeEbEEZZNS1_14partition_implILS5_5ELb0ES3_mN6thrust23THRUST_200600_302600_NS6detail15normal_iteratorINSA_10device_ptrIsEEEEPS6_NSA_18transform_iteratorINSB_9not_fun_tI7is_trueIsEEENSC_INSD_IbEEEENSA_11use_defaultESO_EENS0_5tupleIJSF_S6_EEENSQ_IJSG_SG_EEES6_PlJS6_EEE10hipError_tPvRmT3_T4_T5_T6_T7_T9_mT8_P12ihipStream_tbDpT10_ENKUlT_T0_E_clISt17integral_constantIbLb1EES1D_EEDaS18_S19_EUlS18_E_NS1_11comp_targetILNS1_3genE3ELNS1_11target_archE908ELNS1_3gpuE7ELNS1_3repE0EEENS1_30default_config_static_selectorELNS0_4arch9wavefront6targetE0EEEvT1_: ; @_ZN7rocprim17ROCPRIM_400000_NS6detail17trampoline_kernelINS0_14default_configENS1_25partition_config_selectorILNS1_17partition_subalgoE5EsNS0_10empty_typeEbEEZZNS1_14partition_implILS5_5ELb0ES3_mN6thrust23THRUST_200600_302600_NS6detail15normal_iteratorINSA_10device_ptrIsEEEEPS6_NSA_18transform_iteratorINSB_9not_fun_tI7is_trueIsEEENSC_INSD_IbEEEENSA_11use_defaultESO_EENS0_5tupleIJSF_S6_EEENSQ_IJSG_SG_EEES6_PlJS6_EEE10hipError_tPvRmT3_T4_T5_T6_T7_T9_mT8_P12ihipStream_tbDpT10_ENKUlT_T0_E_clISt17integral_constantIbLb1EES1D_EEDaS18_S19_EUlS18_E_NS1_11comp_targetILNS1_3genE3ELNS1_11target_archE908ELNS1_3gpuE7ELNS1_3repE0EEENS1_30default_config_static_selectorELNS0_4arch9wavefront6targetE0EEEvT1_
; %bb.0:
	.section	.rodata,"a",@progbits
	.p2align	6, 0x0
	.amdhsa_kernel _ZN7rocprim17ROCPRIM_400000_NS6detail17trampoline_kernelINS0_14default_configENS1_25partition_config_selectorILNS1_17partition_subalgoE5EsNS0_10empty_typeEbEEZZNS1_14partition_implILS5_5ELb0ES3_mN6thrust23THRUST_200600_302600_NS6detail15normal_iteratorINSA_10device_ptrIsEEEEPS6_NSA_18transform_iteratorINSB_9not_fun_tI7is_trueIsEEENSC_INSD_IbEEEENSA_11use_defaultESO_EENS0_5tupleIJSF_S6_EEENSQ_IJSG_SG_EEES6_PlJS6_EEE10hipError_tPvRmT3_T4_T5_T6_T7_T9_mT8_P12ihipStream_tbDpT10_ENKUlT_T0_E_clISt17integral_constantIbLb1EES1D_EEDaS18_S19_EUlS18_E_NS1_11comp_targetILNS1_3genE3ELNS1_11target_archE908ELNS1_3gpuE7ELNS1_3repE0EEENS1_30default_config_static_selectorELNS0_4arch9wavefront6targetE0EEEvT1_
		.amdhsa_group_segment_fixed_size 0
		.amdhsa_private_segment_fixed_size 0
		.amdhsa_kernarg_size 136
		.amdhsa_user_sgpr_count 2
		.amdhsa_user_sgpr_dispatch_ptr 0
		.amdhsa_user_sgpr_queue_ptr 0
		.amdhsa_user_sgpr_kernarg_segment_ptr 1
		.amdhsa_user_sgpr_dispatch_id 0
		.amdhsa_user_sgpr_private_segment_size 0
		.amdhsa_wavefront_size32 1
		.amdhsa_uses_dynamic_stack 0
		.amdhsa_enable_private_segment 0
		.amdhsa_system_sgpr_workgroup_id_x 1
		.amdhsa_system_sgpr_workgroup_id_y 0
		.amdhsa_system_sgpr_workgroup_id_z 0
		.amdhsa_system_sgpr_workgroup_info 0
		.amdhsa_system_vgpr_workitem_id 0
		.amdhsa_next_free_vgpr 1
		.amdhsa_next_free_sgpr 1
		.amdhsa_reserve_vcc 0
		.amdhsa_float_round_mode_32 0
		.amdhsa_float_round_mode_16_64 0
		.amdhsa_float_denorm_mode_32 3
		.amdhsa_float_denorm_mode_16_64 3
		.amdhsa_fp16_overflow 0
		.amdhsa_workgroup_processor_mode 1
		.amdhsa_memory_ordered 1
		.amdhsa_forward_progress 1
		.amdhsa_inst_pref_size 0
		.amdhsa_round_robin_scheduling 0
		.amdhsa_exception_fp_ieee_invalid_op 0
		.amdhsa_exception_fp_denorm_src 0
		.amdhsa_exception_fp_ieee_div_zero 0
		.amdhsa_exception_fp_ieee_overflow 0
		.amdhsa_exception_fp_ieee_underflow 0
		.amdhsa_exception_fp_ieee_inexact 0
		.amdhsa_exception_int_div_zero 0
	.end_amdhsa_kernel
	.section	.text._ZN7rocprim17ROCPRIM_400000_NS6detail17trampoline_kernelINS0_14default_configENS1_25partition_config_selectorILNS1_17partition_subalgoE5EsNS0_10empty_typeEbEEZZNS1_14partition_implILS5_5ELb0ES3_mN6thrust23THRUST_200600_302600_NS6detail15normal_iteratorINSA_10device_ptrIsEEEEPS6_NSA_18transform_iteratorINSB_9not_fun_tI7is_trueIsEEENSC_INSD_IbEEEENSA_11use_defaultESO_EENS0_5tupleIJSF_S6_EEENSQ_IJSG_SG_EEES6_PlJS6_EEE10hipError_tPvRmT3_T4_T5_T6_T7_T9_mT8_P12ihipStream_tbDpT10_ENKUlT_T0_E_clISt17integral_constantIbLb1EES1D_EEDaS18_S19_EUlS18_E_NS1_11comp_targetILNS1_3genE3ELNS1_11target_archE908ELNS1_3gpuE7ELNS1_3repE0EEENS1_30default_config_static_selectorELNS0_4arch9wavefront6targetE0EEEvT1_,"axG",@progbits,_ZN7rocprim17ROCPRIM_400000_NS6detail17trampoline_kernelINS0_14default_configENS1_25partition_config_selectorILNS1_17partition_subalgoE5EsNS0_10empty_typeEbEEZZNS1_14partition_implILS5_5ELb0ES3_mN6thrust23THRUST_200600_302600_NS6detail15normal_iteratorINSA_10device_ptrIsEEEEPS6_NSA_18transform_iteratorINSB_9not_fun_tI7is_trueIsEEENSC_INSD_IbEEEENSA_11use_defaultESO_EENS0_5tupleIJSF_S6_EEENSQ_IJSG_SG_EEES6_PlJS6_EEE10hipError_tPvRmT3_T4_T5_T6_T7_T9_mT8_P12ihipStream_tbDpT10_ENKUlT_T0_E_clISt17integral_constantIbLb1EES1D_EEDaS18_S19_EUlS18_E_NS1_11comp_targetILNS1_3genE3ELNS1_11target_archE908ELNS1_3gpuE7ELNS1_3repE0EEENS1_30default_config_static_selectorELNS0_4arch9wavefront6targetE0EEEvT1_,comdat
.Lfunc_end2568:
	.size	_ZN7rocprim17ROCPRIM_400000_NS6detail17trampoline_kernelINS0_14default_configENS1_25partition_config_selectorILNS1_17partition_subalgoE5EsNS0_10empty_typeEbEEZZNS1_14partition_implILS5_5ELb0ES3_mN6thrust23THRUST_200600_302600_NS6detail15normal_iteratorINSA_10device_ptrIsEEEEPS6_NSA_18transform_iteratorINSB_9not_fun_tI7is_trueIsEEENSC_INSD_IbEEEENSA_11use_defaultESO_EENS0_5tupleIJSF_S6_EEENSQ_IJSG_SG_EEES6_PlJS6_EEE10hipError_tPvRmT3_T4_T5_T6_T7_T9_mT8_P12ihipStream_tbDpT10_ENKUlT_T0_E_clISt17integral_constantIbLb1EES1D_EEDaS18_S19_EUlS18_E_NS1_11comp_targetILNS1_3genE3ELNS1_11target_archE908ELNS1_3gpuE7ELNS1_3repE0EEENS1_30default_config_static_selectorELNS0_4arch9wavefront6targetE0EEEvT1_, .Lfunc_end2568-_ZN7rocprim17ROCPRIM_400000_NS6detail17trampoline_kernelINS0_14default_configENS1_25partition_config_selectorILNS1_17partition_subalgoE5EsNS0_10empty_typeEbEEZZNS1_14partition_implILS5_5ELb0ES3_mN6thrust23THRUST_200600_302600_NS6detail15normal_iteratorINSA_10device_ptrIsEEEEPS6_NSA_18transform_iteratorINSB_9not_fun_tI7is_trueIsEEENSC_INSD_IbEEEENSA_11use_defaultESO_EENS0_5tupleIJSF_S6_EEENSQ_IJSG_SG_EEES6_PlJS6_EEE10hipError_tPvRmT3_T4_T5_T6_T7_T9_mT8_P12ihipStream_tbDpT10_ENKUlT_T0_E_clISt17integral_constantIbLb1EES1D_EEDaS18_S19_EUlS18_E_NS1_11comp_targetILNS1_3genE3ELNS1_11target_archE908ELNS1_3gpuE7ELNS1_3repE0EEENS1_30default_config_static_selectorELNS0_4arch9wavefront6targetE0EEEvT1_
                                        ; -- End function
	.set _ZN7rocprim17ROCPRIM_400000_NS6detail17trampoline_kernelINS0_14default_configENS1_25partition_config_selectorILNS1_17partition_subalgoE5EsNS0_10empty_typeEbEEZZNS1_14partition_implILS5_5ELb0ES3_mN6thrust23THRUST_200600_302600_NS6detail15normal_iteratorINSA_10device_ptrIsEEEEPS6_NSA_18transform_iteratorINSB_9not_fun_tI7is_trueIsEEENSC_INSD_IbEEEENSA_11use_defaultESO_EENS0_5tupleIJSF_S6_EEENSQ_IJSG_SG_EEES6_PlJS6_EEE10hipError_tPvRmT3_T4_T5_T6_T7_T9_mT8_P12ihipStream_tbDpT10_ENKUlT_T0_E_clISt17integral_constantIbLb1EES1D_EEDaS18_S19_EUlS18_E_NS1_11comp_targetILNS1_3genE3ELNS1_11target_archE908ELNS1_3gpuE7ELNS1_3repE0EEENS1_30default_config_static_selectorELNS0_4arch9wavefront6targetE0EEEvT1_.num_vgpr, 0
	.set _ZN7rocprim17ROCPRIM_400000_NS6detail17trampoline_kernelINS0_14default_configENS1_25partition_config_selectorILNS1_17partition_subalgoE5EsNS0_10empty_typeEbEEZZNS1_14partition_implILS5_5ELb0ES3_mN6thrust23THRUST_200600_302600_NS6detail15normal_iteratorINSA_10device_ptrIsEEEEPS6_NSA_18transform_iteratorINSB_9not_fun_tI7is_trueIsEEENSC_INSD_IbEEEENSA_11use_defaultESO_EENS0_5tupleIJSF_S6_EEENSQ_IJSG_SG_EEES6_PlJS6_EEE10hipError_tPvRmT3_T4_T5_T6_T7_T9_mT8_P12ihipStream_tbDpT10_ENKUlT_T0_E_clISt17integral_constantIbLb1EES1D_EEDaS18_S19_EUlS18_E_NS1_11comp_targetILNS1_3genE3ELNS1_11target_archE908ELNS1_3gpuE7ELNS1_3repE0EEENS1_30default_config_static_selectorELNS0_4arch9wavefront6targetE0EEEvT1_.num_agpr, 0
	.set _ZN7rocprim17ROCPRIM_400000_NS6detail17trampoline_kernelINS0_14default_configENS1_25partition_config_selectorILNS1_17partition_subalgoE5EsNS0_10empty_typeEbEEZZNS1_14partition_implILS5_5ELb0ES3_mN6thrust23THRUST_200600_302600_NS6detail15normal_iteratorINSA_10device_ptrIsEEEEPS6_NSA_18transform_iteratorINSB_9not_fun_tI7is_trueIsEEENSC_INSD_IbEEEENSA_11use_defaultESO_EENS0_5tupleIJSF_S6_EEENSQ_IJSG_SG_EEES6_PlJS6_EEE10hipError_tPvRmT3_T4_T5_T6_T7_T9_mT8_P12ihipStream_tbDpT10_ENKUlT_T0_E_clISt17integral_constantIbLb1EES1D_EEDaS18_S19_EUlS18_E_NS1_11comp_targetILNS1_3genE3ELNS1_11target_archE908ELNS1_3gpuE7ELNS1_3repE0EEENS1_30default_config_static_selectorELNS0_4arch9wavefront6targetE0EEEvT1_.numbered_sgpr, 0
	.set _ZN7rocprim17ROCPRIM_400000_NS6detail17trampoline_kernelINS0_14default_configENS1_25partition_config_selectorILNS1_17partition_subalgoE5EsNS0_10empty_typeEbEEZZNS1_14partition_implILS5_5ELb0ES3_mN6thrust23THRUST_200600_302600_NS6detail15normal_iteratorINSA_10device_ptrIsEEEEPS6_NSA_18transform_iteratorINSB_9not_fun_tI7is_trueIsEEENSC_INSD_IbEEEENSA_11use_defaultESO_EENS0_5tupleIJSF_S6_EEENSQ_IJSG_SG_EEES6_PlJS6_EEE10hipError_tPvRmT3_T4_T5_T6_T7_T9_mT8_P12ihipStream_tbDpT10_ENKUlT_T0_E_clISt17integral_constantIbLb1EES1D_EEDaS18_S19_EUlS18_E_NS1_11comp_targetILNS1_3genE3ELNS1_11target_archE908ELNS1_3gpuE7ELNS1_3repE0EEENS1_30default_config_static_selectorELNS0_4arch9wavefront6targetE0EEEvT1_.num_named_barrier, 0
	.set _ZN7rocprim17ROCPRIM_400000_NS6detail17trampoline_kernelINS0_14default_configENS1_25partition_config_selectorILNS1_17partition_subalgoE5EsNS0_10empty_typeEbEEZZNS1_14partition_implILS5_5ELb0ES3_mN6thrust23THRUST_200600_302600_NS6detail15normal_iteratorINSA_10device_ptrIsEEEEPS6_NSA_18transform_iteratorINSB_9not_fun_tI7is_trueIsEEENSC_INSD_IbEEEENSA_11use_defaultESO_EENS0_5tupleIJSF_S6_EEENSQ_IJSG_SG_EEES6_PlJS6_EEE10hipError_tPvRmT3_T4_T5_T6_T7_T9_mT8_P12ihipStream_tbDpT10_ENKUlT_T0_E_clISt17integral_constantIbLb1EES1D_EEDaS18_S19_EUlS18_E_NS1_11comp_targetILNS1_3genE3ELNS1_11target_archE908ELNS1_3gpuE7ELNS1_3repE0EEENS1_30default_config_static_selectorELNS0_4arch9wavefront6targetE0EEEvT1_.private_seg_size, 0
	.set _ZN7rocprim17ROCPRIM_400000_NS6detail17trampoline_kernelINS0_14default_configENS1_25partition_config_selectorILNS1_17partition_subalgoE5EsNS0_10empty_typeEbEEZZNS1_14partition_implILS5_5ELb0ES3_mN6thrust23THRUST_200600_302600_NS6detail15normal_iteratorINSA_10device_ptrIsEEEEPS6_NSA_18transform_iteratorINSB_9not_fun_tI7is_trueIsEEENSC_INSD_IbEEEENSA_11use_defaultESO_EENS0_5tupleIJSF_S6_EEENSQ_IJSG_SG_EEES6_PlJS6_EEE10hipError_tPvRmT3_T4_T5_T6_T7_T9_mT8_P12ihipStream_tbDpT10_ENKUlT_T0_E_clISt17integral_constantIbLb1EES1D_EEDaS18_S19_EUlS18_E_NS1_11comp_targetILNS1_3genE3ELNS1_11target_archE908ELNS1_3gpuE7ELNS1_3repE0EEENS1_30default_config_static_selectorELNS0_4arch9wavefront6targetE0EEEvT1_.uses_vcc, 0
	.set _ZN7rocprim17ROCPRIM_400000_NS6detail17trampoline_kernelINS0_14default_configENS1_25partition_config_selectorILNS1_17partition_subalgoE5EsNS0_10empty_typeEbEEZZNS1_14partition_implILS5_5ELb0ES3_mN6thrust23THRUST_200600_302600_NS6detail15normal_iteratorINSA_10device_ptrIsEEEEPS6_NSA_18transform_iteratorINSB_9not_fun_tI7is_trueIsEEENSC_INSD_IbEEEENSA_11use_defaultESO_EENS0_5tupleIJSF_S6_EEENSQ_IJSG_SG_EEES6_PlJS6_EEE10hipError_tPvRmT3_T4_T5_T6_T7_T9_mT8_P12ihipStream_tbDpT10_ENKUlT_T0_E_clISt17integral_constantIbLb1EES1D_EEDaS18_S19_EUlS18_E_NS1_11comp_targetILNS1_3genE3ELNS1_11target_archE908ELNS1_3gpuE7ELNS1_3repE0EEENS1_30default_config_static_selectorELNS0_4arch9wavefront6targetE0EEEvT1_.uses_flat_scratch, 0
	.set _ZN7rocprim17ROCPRIM_400000_NS6detail17trampoline_kernelINS0_14default_configENS1_25partition_config_selectorILNS1_17partition_subalgoE5EsNS0_10empty_typeEbEEZZNS1_14partition_implILS5_5ELb0ES3_mN6thrust23THRUST_200600_302600_NS6detail15normal_iteratorINSA_10device_ptrIsEEEEPS6_NSA_18transform_iteratorINSB_9not_fun_tI7is_trueIsEEENSC_INSD_IbEEEENSA_11use_defaultESO_EENS0_5tupleIJSF_S6_EEENSQ_IJSG_SG_EEES6_PlJS6_EEE10hipError_tPvRmT3_T4_T5_T6_T7_T9_mT8_P12ihipStream_tbDpT10_ENKUlT_T0_E_clISt17integral_constantIbLb1EES1D_EEDaS18_S19_EUlS18_E_NS1_11comp_targetILNS1_3genE3ELNS1_11target_archE908ELNS1_3gpuE7ELNS1_3repE0EEENS1_30default_config_static_selectorELNS0_4arch9wavefront6targetE0EEEvT1_.has_dyn_sized_stack, 0
	.set _ZN7rocprim17ROCPRIM_400000_NS6detail17trampoline_kernelINS0_14default_configENS1_25partition_config_selectorILNS1_17partition_subalgoE5EsNS0_10empty_typeEbEEZZNS1_14partition_implILS5_5ELb0ES3_mN6thrust23THRUST_200600_302600_NS6detail15normal_iteratorINSA_10device_ptrIsEEEEPS6_NSA_18transform_iteratorINSB_9not_fun_tI7is_trueIsEEENSC_INSD_IbEEEENSA_11use_defaultESO_EENS0_5tupleIJSF_S6_EEENSQ_IJSG_SG_EEES6_PlJS6_EEE10hipError_tPvRmT3_T4_T5_T6_T7_T9_mT8_P12ihipStream_tbDpT10_ENKUlT_T0_E_clISt17integral_constantIbLb1EES1D_EEDaS18_S19_EUlS18_E_NS1_11comp_targetILNS1_3genE3ELNS1_11target_archE908ELNS1_3gpuE7ELNS1_3repE0EEENS1_30default_config_static_selectorELNS0_4arch9wavefront6targetE0EEEvT1_.has_recursion, 0
	.set _ZN7rocprim17ROCPRIM_400000_NS6detail17trampoline_kernelINS0_14default_configENS1_25partition_config_selectorILNS1_17partition_subalgoE5EsNS0_10empty_typeEbEEZZNS1_14partition_implILS5_5ELb0ES3_mN6thrust23THRUST_200600_302600_NS6detail15normal_iteratorINSA_10device_ptrIsEEEEPS6_NSA_18transform_iteratorINSB_9not_fun_tI7is_trueIsEEENSC_INSD_IbEEEENSA_11use_defaultESO_EENS0_5tupleIJSF_S6_EEENSQ_IJSG_SG_EEES6_PlJS6_EEE10hipError_tPvRmT3_T4_T5_T6_T7_T9_mT8_P12ihipStream_tbDpT10_ENKUlT_T0_E_clISt17integral_constantIbLb1EES1D_EEDaS18_S19_EUlS18_E_NS1_11comp_targetILNS1_3genE3ELNS1_11target_archE908ELNS1_3gpuE7ELNS1_3repE0EEENS1_30default_config_static_selectorELNS0_4arch9wavefront6targetE0EEEvT1_.has_indirect_call, 0
	.section	.AMDGPU.csdata,"",@progbits
; Kernel info:
; codeLenInByte = 0
; TotalNumSgprs: 0
; NumVgprs: 0
; ScratchSize: 0
; MemoryBound: 0
; FloatMode: 240
; IeeeMode: 1
; LDSByteSize: 0 bytes/workgroup (compile time only)
; SGPRBlocks: 0
; VGPRBlocks: 0
; NumSGPRsForWavesPerEU: 1
; NumVGPRsForWavesPerEU: 1
; Occupancy: 16
; WaveLimiterHint : 0
; COMPUTE_PGM_RSRC2:SCRATCH_EN: 0
; COMPUTE_PGM_RSRC2:USER_SGPR: 2
; COMPUTE_PGM_RSRC2:TRAP_HANDLER: 0
; COMPUTE_PGM_RSRC2:TGID_X_EN: 1
; COMPUTE_PGM_RSRC2:TGID_Y_EN: 0
; COMPUTE_PGM_RSRC2:TGID_Z_EN: 0
; COMPUTE_PGM_RSRC2:TIDIG_COMP_CNT: 0
	.section	.text._ZN7rocprim17ROCPRIM_400000_NS6detail17trampoline_kernelINS0_14default_configENS1_25partition_config_selectorILNS1_17partition_subalgoE5EsNS0_10empty_typeEbEEZZNS1_14partition_implILS5_5ELb0ES3_mN6thrust23THRUST_200600_302600_NS6detail15normal_iteratorINSA_10device_ptrIsEEEEPS6_NSA_18transform_iteratorINSB_9not_fun_tI7is_trueIsEEENSC_INSD_IbEEEENSA_11use_defaultESO_EENS0_5tupleIJSF_S6_EEENSQ_IJSG_SG_EEES6_PlJS6_EEE10hipError_tPvRmT3_T4_T5_T6_T7_T9_mT8_P12ihipStream_tbDpT10_ENKUlT_T0_E_clISt17integral_constantIbLb1EES1D_EEDaS18_S19_EUlS18_E_NS1_11comp_targetILNS1_3genE2ELNS1_11target_archE906ELNS1_3gpuE6ELNS1_3repE0EEENS1_30default_config_static_selectorELNS0_4arch9wavefront6targetE0EEEvT1_,"axG",@progbits,_ZN7rocprim17ROCPRIM_400000_NS6detail17trampoline_kernelINS0_14default_configENS1_25partition_config_selectorILNS1_17partition_subalgoE5EsNS0_10empty_typeEbEEZZNS1_14partition_implILS5_5ELb0ES3_mN6thrust23THRUST_200600_302600_NS6detail15normal_iteratorINSA_10device_ptrIsEEEEPS6_NSA_18transform_iteratorINSB_9not_fun_tI7is_trueIsEEENSC_INSD_IbEEEENSA_11use_defaultESO_EENS0_5tupleIJSF_S6_EEENSQ_IJSG_SG_EEES6_PlJS6_EEE10hipError_tPvRmT3_T4_T5_T6_T7_T9_mT8_P12ihipStream_tbDpT10_ENKUlT_T0_E_clISt17integral_constantIbLb1EES1D_EEDaS18_S19_EUlS18_E_NS1_11comp_targetILNS1_3genE2ELNS1_11target_archE906ELNS1_3gpuE6ELNS1_3repE0EEENS1_30default_config_static_selectorELNS0_4arch9wavefront6targetE0EEEvT1_,comdat
	.protected	_ZN7rocprim17ROCPRIM_400000_NS6detail17trampoline_kernelINS0_14default_configENS1_25partition_config_selectorILNS1_17partition_subalgoE5EsNS0_10empty_typeEbEEZZNS1_14partition_implILS5_5ELb0ES3_mN6thrust23THRUST_200600_302600_NS6detail15normal_iteratorINSA_10device_ptrIsEEEEPS6_NSA_18transform_iteratorINSB_9not_fun_tI7is_trueIsEEENSC_INSD_IbEEEENSA_11use_defaultESO_EENS0_5tupleIJSF_S6_EEENSQ_IJSG_SG_EEES6_PlJS6_EEE10hipError_tPvRmT3_T4_T5_T6_T7_T9_mT8_P12ihipStream_tbDpT10_ENKUlT_T0_E_clISt17integral_constantIbLb1EES1D_EEDaS18_S19_EUlS18_E_NS1_11comp_targetILNS1_3genE2ELNS1_11target_archE906ELNS1_3gpuE6ELNS1_3repE0EEENS1_30default_config_static_selectorELNS0_4arch9wavefront6targetE0EEEvT1_ ; -- Begin function _ZN7rocprim17ROCPRIM_400000_NS6detail17trampoline_kernelINS0_14default_configENS1_25partition_config_selectorILNS1_17partition_subalgoE5EsNS0_10empty_typeEbEEZZNS1_14partition_implILS5_5ELb0ES3_mN6thrust23THRUST_200600_302600_NS6detail15normal_iteratorINSA_10device_ptrIsEEEEPS6_NSA_18transform_iteratorINSB_9not_fun_tI7is_trueIsEEENSC_INSD_IbEEEENSA_11use_defaultESO_EENS0_5tupleIJSF_S6_EEENSQ_IJSG_SG_EEES6_PlJS6_EEE10hipError_tPvRmT3_T4_T5_T6_T7_T9_mT8_P12ihipStream_tbDpT10_ENKUlT_T0_E_clISt17integral_constantIbLb1EES1D_EEDaS18_S19_EUlS18_E_NS1_11comp_targetILNS1_3genE2ELNS1_11target_archE906ELNS1_3gpuE6ELNS1_3repE0EEENS1_30default_config_static_selectorELNS0_4arch9wavefront6targetE0EEEvT1_
	.globl	_ZN7rocprim17ROCPRIM_400000_NS6detail17trampoline_kernelINS0_14default_configENS1_25partition_config_selectorILNS1_17partition_subalgoE5EsNS0_10empty_typeEbEEZZNS1_14partition_implILS5_5ELb0ES3_mN6thrust23THRUST_200600_302600_NS6detail15normal_iteratorINSA_10device_ptrIsEEEEPS6_NSA_18transform_iteratorINSB_9not_fun_tI7is_trueIsEEENSC_INSD_IbEEEENSA_11use_defaultESO_EENS0_5tupleIJSF_S6_EEENSQ_IJSG_SG_EEES6_PlJS6_EEE10hipError_tPvRmT3_T4_T5_T6_T7_T9_mT8_P12ihipStream_tbDpT10_ENKUlT_T0_E_clISt17integral_constantIbLb1EES1D_EEDaS18_S19_EUlS18_E_NS1_11comp_targetILNS1_3genE2ELNS1_11target_archE906ELNS1_3gpuE6ELNS1_3repE0EEENS1_30default_config_static_selectorELNS0_4arch9wavefront6targetE0EEEvT1_
	.p2align	8
	.type	_ZN7rocprim17ROCPRIM_400000_NS6detail17trampoline_kernelINS0_14default_configENS1_25partition_config_selectorILNS1_17partition_subalgoE5EsNS0_10empty_typeEbEEZZNS1_14partition_implILS5_5ELb0ES3_mN6thrust23THRUST_200600_302600_NS6detail15normal_iteratorINSA_10device_ptrIsEEEEPS6_NSA_18transform_iteratorINSB_9not_fun_tI7is_trueIsEEENSC_INSD_IbEEEENSA_11use_defaultESO_EENS0_5tupleIJSF_S6_EEENSQ_IJSG_SG_EEES6_PlJS6_EEE10hipError_tPvRmT3_T4_T5_T6_T7_T9_mT8_P12ihipStream_tbDpT10_ENKUlT_T0_E_clISt17integral_constantIbLb1EES1D_EEDaS18_S19_EUlS18_E_NS1_11comp_targetILNS1_3genE2ELNS1_11target_archE906ELNS1_3gpuE6ELNS1_3repE0EEENS1_30default_config_static_selectorELNS0_4arch9wavefront6targetE0EEEvT1_,@function
_ZN7rocprim17ROCPRIM_400000_NS6detail17trampoline_kernelINS0_14default_configENS1_25partition_config_selectorILNS1_17partition_subalgoE5EsNS0_10empty_typeEbEEZZNS1_14partition_implILS5_5ELb0ES3_mN6thrust23THRUST_200600_302600_NS6detail15normal_iteratorINSA_10device_ptrIsEEEEPS6_NSA_18transform_iteratorINSB_9not_fun_tI7is_trueIsEEENSC_INSD_IbEEEENSA_11use_defaultESO_EENS0_5tupleIJSF_S6_EEENSQ_IJSG_SG_EEES6_PlJS6_EEE10hipError_tPvRmT3_T4_T5_T6_T7_T9_mT8_P12ihipStream_tbDpT10_ENKUlT_T0_E_clISt17integral_constantIbLb1EES1D_EEDaS18_S19_EUlS18_E_NS1_11comp_targetILNS1_3genE2ELNS1_11target_archE906ELNS1_3gpuE6ELNS1_3repE0EEENS1_30default_config_static_selectorELNS0_4arch9wavefront6targetE0EEEvT1_: ; @_ZN7rocprim17ROCPRIM_400000_NS6detail17trampoline_kernelINS0_14default_configENS1_25partition_config_selectorILNS1_17partition_subalgoE5EsNS0_10empty_typeEbEEZZNS1_14partition_implILS5_5ELb0ES3_mN6thrust23THRUST_200600_302600_NS6detail15normal_iteratorINSA_10device_ptrIsEEEEPS6_NSA_18transform_iteratorINSB_9not_fun_tI7is_trueIsEEENSC_INSD_IbEEEENSA_11use_defaultESO_EENS0_5tupleIJSF_S6_EEENSQ_IJSG_SG_EEES6_PlJS6_EEE10hipError_tPvRmT3_T4_T5_T6_T7_T9_mT8_P12ihipStream_tbDpT10_ENKUlT_T0_E_clISt17integral_constantIbLb1EES1D_EEDaS18_S19_EUlS18_E_NS1_11comp_targetILNS1_3genE2ELNS1_11target_archE906ELNS1_3gpuE6ELNS1_3repE0EEENS1_30default_config_static_selectorELNS0_4arch9wavefront6targetE0EEEvT1_
; %bb.0:
	.section	.rodata,"a",@progbits
	.p2align	6, 0x0
	.amdhsa_kernel _ZN7rocprim17ROCPRIM_400000_NS6detail17trampoline_kernelINS0_14default_configENS1_25partition_config_selectorILNS1_17partition_subalgoE5EsNS0_10empty_typeEbEEZZNS1_14partition_implILS5_5ELb0ES3_mN6thrust23THRUST_200600_302600_NS6detail15normal_iteratorINSA_10device_ptrIsEEEEPS6_NSA_18transform_iteratorINSB_9not_fun_tI7is_trueIsEEENSC_INSD_IbEEEENSA_11use_defaultESO_EENS0_5tupleIJSF_S6_EEENSQ_IJSG_SG_EEES6_PlJS6_EEE10hipError_tPvRmT3_T4_T5_T6_T7_T9_mT8_P12ihipStream_tbDpT10_ENKUlT_T0_E_clISt17integral_constantIbLb1EES1D_EEDaS18_S19_EUlS18_E_NS1_11comp_targetILNS1_3genE2ELNS1_11target_archE906ELNS1_3gpuE6ELNS1_3repE0EEENS1_30default_config_static_selectorELNS0_4arch9wavefront6targetE0EEEvT1_
		.amdhsa_group_segment_fixed_size 0
		.amdhsa_private_segment_fixed_size 0
		.amdhsa_kernarg_size 136
		.amdhsa_user_sgpr_count 2
		.amdhsa_user_sgpr_dispatch_ptr 0
		.amdhsa_user_sgpr_queue_ptr 0
		.amdhsa_user_sgpr_kernarg_segment_ptr 1
		.amdhsa_user_sgpr_dispatch_id 0
		.amdhsa_user_sgpr_private_segment_size 0
		.amdhsa_wavefront_size32 1
		.amdhsa_uses_dynamic_stack 0
		.amdhsa_enable_private_segment 0
		.amdhsa_system_sgpr_workgroup_id_x 1
		.amdhsa_system_sgpr_workgroup_id_y 0
		.amdhsa_system_sgpr_workgroup_id_z 0
		.amdhsa_system_sgpr_workgroup_info 0
		.amdhsa_system_vgpr_workitem_id 0
		.amdhsa_next_free_vgpr 1
		.amdhsa_next_free_sgpr 1
		.amdhsa_reserve_vcc 0
		.amdhsa_float_round_mode_32 0
		.amdhsa_float_round_mode_16_64 0
		.amdhsa_float_denorm_mode_32 3
		.amdhsa_float_denorm_mode_16_64 3
		.amdhsa_fp16_overflow 0
		.amdhsa_workgroup_processor_mode 1
		.amdhsa_memory_ordered 1
		.amdhsa_forward_progress 1
		.amdhsa_inst_pref_size 0
		.amdhsa_round_robin_scheduling 0
		.amdhsa_exception_fp_ieee_invalid_op 0
		.amdhsa_exception_fp_denorm_src 0
		.amdhsa_exception_fp_ieee_div_zero 0
		.amdhsa_exception_fp_ieee_overflow 0
		.amdhsa_exception_fp_ieee_underflow 0
		.amdhsa_exception_fp_ieee_inexact 0
		.amdhsa_exception_int_div_zero 0
	.end_amdhsa_kernel
	.section	.text._ZN7rocprim17ROCPRIM_400000_NS6detail17trampoline_kernelINS0_14default_configENS1_25partition_config_selectorILNS1_17partition_subalgoE5EsNS0_10empty_typeEbEEZZNS1_14partition_implILS5_5ELb0ES3_mN6thrust23THRUST_200600_302600_NS6detail15normal_iteratorINSA_10device_ptrIsEEEEPS6_NSA_18transform_iteratorINSB_9not_fun_tI7is_trueIsEEENSC_INSD_IbEEEENSA_11use_defaultESO_EENS0_5tupleIJSF_S6_EEENSQ_IJSG_SG_EEES6_PlJS6_EEE10hipError_tPvRmT3_T4_T5_T6_T7_T9_mT8_P12ihipStream_tbDpT10_ENKUlT_T0_E_clISt17integral_constantIbLb1EES1D_EEDaS18_S19_EUlS18_E_NS1_11comp_targetILNS1_3genE2ELNS1_11target_archE906ELNS1_3gpuE6ELNS1_3repE0EEENS1_30default_config_static_selectorELNS0_4arch9wavefront6targetE0EEEvT1_,"axG",@progbits,_ZN7rocprim17ROCPRIM_400000_NS6detail17trampoline_kernelINS0_14default_configENS1_25partition_config_selectorILNS1_17partition_subalgoE5EsNS0_10empty_typeEbEEZZNS1_14partition_implILS5_5ELb0ES3_mN6thrust23THRUST_200600_302600_NS6detail15normal_iteratorINSA_10device_ptrIsEEEEPS6_NSA_18transform_iteratorINSB_9not_fun_tI7is_trueIsEEENSC_INSD_IbEEEENSA_11use_defaultESO_EENS0_5tupleIJSF_S6_EEENSQ_IJSG_SG_EEES6_PlJS6_EEE10hipError_tPvRmT3_T4_T5_T6_T7_T9_mT8_P12ihipStream_tbDpT10_ENKUlT_T0_E_clISt17integral_constantIbLb1EES1D_EEDaS18_S19_EUlS18_E_NS1_11comp_targetILNS1_3genE2ELNS1_11target_archE906ELNS1_3gpuE6ELNS1_3repE0EEENS1_30default_config_static_selectorELNS0_4arch9wavefront6targetE0EEEvT1_,comdat
.Lfunc_end2569:
	.size	_ZN7rocprim17ROCPRIM_400000_NS6detail17trampoline_kernelINS0_14default_configENS1_25partition_config_selectorILNS1_17partition_subalgoE5EsNS0_10empty_typeEbEEZZNS1_14partition_implILS5_5ELb0ES3_mN6thrust23THRUST_200600_302600_NS6detail15normal_iteratorINSA_10device_ptrIsEEEEPS6_NSA_18transform_iteratorINSB_9not_fun_tI7is_trueIsEEENSC_INSD_IbEEEENSA_11use_defaultESO_EENS0_5tupleIJSF_S6_EEENSQ_IJSG_SG_EEES6_PlJS6_EEE10hipError_tPvRmT3_T4_T5_T6_T7_T9_mT8_P12ihipStream_tbDpT10_ENKUlT_T0_E_clISt17integral_constantIbLb1EES1D_EEDaS18_S19_EUlS18_E_NS1_11comp_targetILNS1_3genE2ELNS1_11target_archE906ELNS1_3gpuE6ELNS1_3repE0EEENS1_30default_config_static_selectorELNS0_4arch9wavefront6targetE0EEEvT1_, .Lfunc_end2569-_ZN7rocprim17ROCPRIM_400000_NS6detail17trampoline_kernelINS0_14default_configENS1_25partition_config_selectorILNS1_17partition_subalgoE5EsNS0_10empty_typeEbEEZZNS1_14partition_implILS5_5ELb0ES3_mN6thrust23THRUST_200600_302600_NS6detail15normal_iteratorINSA_10device_ptrIsEEEEPS6_NSA_18transform_iteratorINSB_9not_fun_tI7is_trueIsEEENSC_INSD_IbEEEENSA_11use_defaultESO_EENS0_5tupleIJSF_S6_EEENSQ_IJSG_SG_EEES6_PlJS6_EEE10hipError_tPvRmT3_T4_T5_T6_T7_T9_mT8_P12ihipStream_tbDpT10_ENKUlT_T0_E_clISt17integral_constantIbLb1EES1D_EEDaS18_S19_EUlS18_E_NS1_11comp_targetILNS1_3genE2ELNS1_11target_archE906ELNS1_3gpuE6ELNS1_3repE0EEENS1_30default_config_static_selectorELNS0_4arch9wavefront6targetE0EEEvT1_
                                        ; -- End function
	.set _ZN7rocprim17ROCPRIM_400000_NS6detail17trampoline_kernelINS0_14default_configENS1_25partition_config_selectorILNS1_17partition_subalgoE5EsNS0_10empty_typeEbEEZZNS1_14partition_implILS5_5ELb0ES3_mN6thrust23THRUST_200600_302600_NS6detail15normal_iteratorINSA_10device_ptrIsEEEEPS6_NSA_18transform_iteratorINSB_9not_fun_tI7is_trueIsEEENSC_INSD_IbEEEENSA_11use_defaultESO_EENS0_5tupleIJSF_S6_EEENSQ_IJSG_SG_EEES6_PlJS6_EEE10hipError_tPvRmT3_T4_T5_T6_T7_T9_mT8_P12ihipStream_tbDpT10_ENKUlT_T0_E_clISt17integral_constantIbLb1EES1D_EEDaS18_S19_EUlS18_E_NS1_11comp_targetILNS1_3genE2ELNS1_11target_archE906ELNS1_3gpuE6ELNS1_3repE0EEENS1_30default_config_static_selectorELNS0_4arch9wavefront6targetE0EEEvT1_.num_vgpr, 0
	.set _ZN7rocprim17ROCPRIM_400000_NS6detail17trampoline_kernelINS0_14default_configENS1_25partition_config_selectorILNS1_17partition_subalgoE5EsNS0_10empty_typeEbEEZZNS1_14partition_implILS5_5ELb0ES3_mN6thrust23THRUST_200600_302600_NS6detail15normal_iteratorINSA_10device_ptrIsEEEEPS6_NSA_18transform_iteratorINSB_9not_fun_tI7is_trueIsEEENSC_INSD_IbEEEENSA_11use_defaultESO_EENS0_5tupleIJSF_S6_EEENSQ_IJSG_SG_EEES6_PlJS6_EEE10hipError_tPvRmT3_T4_T5_T6_T7_T9_mT8_P12ihipStream_tbDpT10_ENKUlT_T0_E_clISt17integral_constantIbLb1EES1D_EEDaS18_S19_EUlS18_E_NS1_11comp_targetILNS1_3genE2ELNS1_11target_archE906ELNS1_3gpuE6ELNS1_3repE0EEENS1_30default_config_static_selectorELNS0_4arch9wavefront6targetE0EEEvT1_.num_agpr, 0
	.set _ZN7rocprim17ROCPRIM_400000_NS6detail17trampoline_kernelINS0_14default_configENS1_25partition_config_selectorILNS1_17partition_subalgoE5EsNS0_10empty_typeEbEEZZNS1_14partition_implILS5_5ELb0ES3_mN6thrust23THRUST_200600_302600_NS6detail15normal_iteratorINSA_10device_ptrIsEEEEPS6_NSA_18transform_iteratorINSB_9not_fun_tI7is_trueIsEEENSC_INSD_IbEEEENSA_11use_defaultESO_EENS0_5tupleIJSF_S6_EEENSQ_IJSG_SG_EEES6_PlJS6_EEE10hipError_tPvRmT3_T4_T5_T6_T7_T9_mT8_P12ihipStream_tbDpT10_ENKUlT_T0_E_clISt17integral_constantIbLb1EES1D_EEDaS18_S19_EUlS18_E_NS1_11comp_targetILNS1_3genE2ELNS1_11target_archE906ELNS1_3gpuE6ELNS1_3repE0EEENS1_30default_config_static_selectorELNS0_4arch9wavefront6targetE0EEEvT1_.numbered_sgpr, 0
	.set _ZN7rocprim17ROCPRIM_400000_NS6detail17trampoline_kernelINS0_14default_configENS1_25partition_config_selectorILNS1_17partition_subalgoE5EsNS0_10empty_typeEbEEZZNS1_14partition_implILS5_5ELb0ES3_mN6thrust23THRUST_200600_302600_NS6detail15normal_iteratorINSA_10device_ptrIsEEEEPS6_NSA_18transform_iteratorINSB_9not_fun_tI7is_trueIsEEENSC_INSD_IbEEEENSA_11use_defaultESO_EENS0_5tupleIJSF_S6_EEENSQ_IJSG_SG_EEES6_PlJS6_EEE10hipError_tPvRmT3_T4_T5_T6_T7_T9_mT8_P12ihipStream_tbDpT10_ENKUlT_T0_E_clISt17integral_constantIbLb1EES1D_EEDaS18_S19_EUlS18_E_NS1_11comp_targetILNS1_3genE2ELNS1_11target_archE906ELNS1_3gpuE6ELNS1_3repE0EEENS1_30default_config_static_selectorELNS0_4arch9wavefront6targetE0EEEvT1_.num_named_barrier, 0
	.set _ZN7rocprim17ROCPRIM_400000_NS6detail17trampoline_kernelINS0_14default_configENS1_25partition_config_selectorILNS1_17partition_subalgoE5EsNS0_10empty_typeEbEEZZNS1_14partition_implILS5_5ELb0ES3_mN6thrust23THRUST_200600_302600_NS6detail15normal_iteratorINSA_10device_ptrIsEEEEPS6_NSA_18transform_iteratorINSB_9not_fun_tI7is_trueIsEEENSC_INSD_IbEEEENSA_11use_defaultESO_EENS0_5tupleIJSF_S6_EEENSQ_IJSG_SG_EEES6_PlJS6_EEE10hipError_tPvRmT3_T4_T5_T6_T7_T9_mT8_P12ihipStream_tbDpT10_ENKUlT_T0_E_clISt17integral_constantIbLb1EES1D_EEDaS18_S19_EUlS18_E_NS1_11comp_targetILNS1_3genE2ELNS1_11target_archE906ELNS1_3gpuE6ELNS1_3repE0EEENS1_30default_config_static_selectorELNS0_4arch9wavefront6targetE0EEEvT1_.private_seg_size, 0
	.set _ZN7rocprim17ROCPRIM_400000_NS6detail17trampoline_kernelINS0_14default_configENS1_25partition_config_selectorILNS1_17partition_subalgoE5EsNS0_10empty_typeEbEEZZNS1_14partition_implILS5_5ELb0ES3_mN6thrust23THRUST_200600_302600_NS6detail15normal_iteratorINSA_10device_ptrIsEEEEPS6_NSA_18transform_iteratorINSB_9not_fun_tI7is_trueIsEEENSC_INSD_IbEEEENSA_11use_defaultESO_EENS0_5tupleIJSF_S6_EEENSQ_IJSG_SG_EEES6_PlJS6_EEE10hipError_tPvRmT3_T4_T5_T6_T7_T9_mT8_P12ihipStream_tbDpT10_ENKUlT_T0_E_clISt17integral_constantIbLb1EES1D_EEDaS18_S19_EUlS18_E_NS1_11comp_targetILNS1_3genE2ELNS1_11target_archE906ELNS1_3gpuE6ELNS1_3repE0EEENS1_30default_config_static_selectorELNS0_4arch9wavefront6targetE0EEEvT1_.uses_vcc, 0
	.set _ZN7rocprim17ROCPRIM_400000_NS6detail17trampoline_kernelINS0_14default_configENS1_25partition_config_selectorILNS1_17partition_subalgoE5EsNS0_10empty_typeEbEEZZNS1_14partition_implILS5_5ELb0ES3_mN6thrust23THRUST_200600_302600_NS6detail15normal_iteratorINSA_10device_ptrIsEEEEPS6_NSA_18transform_iteratorINSB_9not_fun_tI7is_trueIsEEENSC_INSD_IbEEEENSA_11use_defaultESO_EENS0_5tupleIJSF_S6_EEENSQ_IJSG_SG_EEES6_PlJS6_EEE10hipError_tPvRmT3_T4_T5_T6_T7_T9_mT8_P12ihipStream_tbDpT10_ENKUlT_T0_E_clISt17integral_constantIbLb1EES1D_EEDaS18_S19_EUlS18_E_NS1_11comp_targetILNS1_3genE2ELNS1_11target_archE906ELNS1_3gpuE6ELNS1_3repE0EEENS1_30default_config_static_selectorELNS0_4arch9wavefront6targetE0EEEvT1_.uses_flat_scratch, 0
	.set _ZN7rocprim17ROCPRIM_400000_NS6detail17trampoline_kernelINS0_14default_configENS1_25partition_config_selectorILNS1_17partition_subalgoE5EsNS0_10empty_typeEbEEZZNS1_14partition_implILS5_5ELb0ES3_mN6thrust23THRUST_200600_302600_NS6detail15normal_iteratorINSA_10device_ptrIsEEEEPS6_NSA_18transform_iteratorINSB_9not_fun_tI7is_trueIsEEENSC_INSD_IbEEEENSA_11use_defaultESO_EENS0_5tupleIJSF_S6_EEENSQ_IJSG_SG_EEES6_PlJS6_EEE10hipError_tPvRmT3_T4_T5_T6_T7_T9_mT8_P12ihipStream_tbDpT10_ENKUlT_T0_E_clISt17integral_constantIbLb1EES1D_EEDaS18_S19_EUlS18_E_NS1_11comp_targetILNS1_3genE2ELNS1_11target_archE906ELNS1_3gpuE6ELNS1_3repE0EEENS1_30default_config_static_selectorELNS0_4arch9wavefront6targetE0EEEvT1_.has_dyn_sized_stack, 0
	.set _ZN7rocprim17ROCPRIM_400000_NS6detail17trampoline_kernelINS0_14default_configENS1_25partition_config_selectorILNS1_17partition_subalgoE5EsNS0_10empty_typeEbEEZZNS1_14partition_implILS5_5ELb0ES3_mN6thrust23THRUST_200600_302600_NS6detail15normal_iteratorINSA_10device_ptrIsEEEEPS6_NSA_18transform_iteratorINSB_9not_fun_tI7is_trueIsEEENSC_INSD_IbEEEENSA_11use_defaultESO_EENS0_5tupleIJSF_S6_EEENSQ_IJSG_SG_EEES6_PlJS6_EEE10hipError_tPvRmT3_T4_T5_T6_T7_T9_mT8_P12ihipStream_tbDpT10_ENKUlT_T0_E_clISt17integral_constantIbLb1EES1D_EEDaS18_S19_EUlS18_E_NS1_11comp_targetILNS1_3genE2ELNS1_11target_archE906ELNS1_3gpuE6ELNS1_3repE0EEENS1_30default_config_static_selectorELNS0_4arch9wavefront6targetE0EEEvT1_.has_recursion, 0
	.set _ZN7rocprim17ROCPRIM_400000_NS6detail17trampoline_kernelINS0_14default_configENS1_25partition_config_selectorILNS1_17partition_subalgoE5EsNS0_10empty_typeEbEEZZNS1_14partition_implILS5_5ELb0ES3_mN6thrust23THRUST_200600_302600_NS6detail15normal_iteratorINSA_10device_ptrIsEEEEPS6_NSA_18transform_iteratorINSB_9not_fun_tI7is_trueIsEEENSC_INSD_IbEEEENSA_11use_defaultESO_EENS0_5tupleIJSF_S6_EEENSQ_IJSG_SG_EEES6_PlJS6_EEE10hipError_tPvRmT3_T4_T5_T6_T7_T9_mT8_P12ihipStream_tbDpT10_ENKUlT_T0_E_clISt17integral_constantIbLb1EES1D_EEDaS18_S19_EUlS18_E_NS1_11comp_targetILNS1_3genE2ELNS1_11target_archE906ELNS1_3gpuE6ELNS1_3repE0EEENS1_30default_config_static_selectorELNS0_4arch9wavefront6targetE0EEEvT1_.has_indirect_call, 0
	.section	.AMDGPU.csdata,"",@progbits
; Kernel info:
; codeLenInByte = 0
; TotalNumSgprs: 0
; NumVgprs: 0
; ScratchSize: 0
; MemoryBound: 0
; FloatMode: 240
; IeeeMode: 1
; LDSByteSize: 0 bytes/workgroup (compile time only)
; SGPRBlocks: 0
; VGPRBlocks: 0
; NumSGPRsForWavesPerEU: 1
; NumVGPRsForWavesPerEU: 1
; Occupancy: 16
; WaveLimiterHint : 0
; COMPUTE_PGM_RSRC2:SCRATCH_EN: 0
; COMPUTE_PGM_RSRC2:USER_SGPR: 2
; COMPUTE_PGM_RSRC2:TRAP_HANDLER: 0
; COMPUTE_PGM_RSRC2:TGID_X_EN: 1
; COMPUTE_PGM_RSRC2:TGID_Y_EN: 0
; COMPUTE_PGM_RSRC2:TGID_Z_EN: 0
; COMPUTE_PGM_RSRC2:TIDIG_COMP_CNT: 0
	.section	.text._ZN7rocprim17ROCPRIM_400000_NS6detail17trampoline_kernelINS0_14default_configENS1_25partition_config_selectorILNS1_17partition_subalgoE5EsNS0_10empty_typeEbEEZZNS1_14partition_implILS5_5ELb0ES3_mN6thrust23THRUST_200600_302600_NS6detail15normal_iteratorINSA_10device_ptrIsEEEEPS6_NSA_18transform_iteratorINSB_9not_fun_tI7is_trueIsEEENSC_INSD_IbEEEENSA_11use_defaultESO_EENS0_5tupleIJSF_S6_EEENSQ_IJSG_SG_EEES6_PlJS6_EEE10hipError_tPvRmT3_T4_T5_T6_T7_T9_mT8_P12ihipStream_tbDpT10_ENKUlT_T0_E_clISt17integral_constantIbLb1EES1D_EEDaS18_S19_EUlS18_E_NS1_11comp_targetILNS1_3genE10ELNS1_11target_archE1200ELNS1_3gpuE4ELNS1_3repE0EEENS1_30default_config_static_selectorELNS0_4arch9wavefront6targetE0EEEvT1_,"axG",@progbits,_ZN7rocprim17ROCPRIM_400000_NS6detail17trampoline_kernelINS0_14default_configENS1_25partition_config_selectorILNS1_17partition_subalgoE5EsNS0_10empty_typeEbEEZZNS1_14partition_implILS5_5ELb0ES3_mN6thrust23THRUST_200600_302600_NS6detail15normal_iteratorINSA_10device_ptrIsEEEEPS6_NSA_18transform_iteratorINSB_9not_fun_tI7is_trueIsEEENSC_INSD_IbEEEENSA_11use_defaultESO_EENS0_5tupleIJSF_S6_EEENSQ_IJSG_SG_EEES6_PlJS6_EEE10hipError_tPvRmT3_T4_T5_T6_T7_T9_mT8_P12ihipStream_tbDpT10_ENKUlT_T0_E_clISt17integral_constantIbLb1EES1D_EEDaS18_S19_EUlS18_E_NS1_11comp_targetILNS1_3genE10ELNS1_11target_archE1200ELNS1_3gpuE4ELNS1_3repE0EEENS1_30default_config_static_selectorELNS0_4arch9wavefront6targetE0EEEvT1_,comdat
	.protected	_ZN7rocprim17ROCPRIM_400000_NS6detail17trampoline_kernelINS0_14default_configENS1_25partition_config_selectorILNS1_17partition_subalgoE5EsNS0_10empty_typeEbEEZZNS1_14partition_implILS5_5ELb0ES3_mN6thrust23THRUST_200600_302600_NS6detail15normal_iteratorINSA_10device_ptrIsEEEEPS6_NSA_18transform_iteratorINSB_9not_fun_tI7is_trueIsEEENSC_INSD_IbEEEENSA_11use_defaultESO_EENS0_5tupleIJSF_S6_EEENSQ_IJSG_SG_EEES6_PlJS6_EEE10hipError_tPvRmT3_T4_T5_T6_T7_T9_mT8_P12ihipStream_tbDpT10_ENKUlT_T0_E_clISt17integral_constantIbLb1EES1D_EEDaS18_S19_EUlS18_E_NS1_11comp_targetILNS1_3genE10ELNS1_11target_archE1200ELNS1_3gpuE4ELNS1_3repE0EEENS1_30default_config_static_selectorELNS0_4arch9wavefront6targetE0EEEvT1_ ; -- Begin function _ZN7rocprim17ROCPRIM_400000_NS6detail17trampoline_kernelINS0_14default_configENS1_25partition_config_selectorILNS1_17partition_subalgoE5EsNS0_10empty_typeEbEEZZNS1_14partition_implILS5_5ELb0ES3_mN6thrust23THRUST_200600_302600_NS6detail15normal_iteratorINSA_10device_ptrIsEEEEPS6_NSA_18transform_iteratorINSB_9not_fun_tI7is_trueIsEEENSC_INSD_IbEEEENSA_11use_defaultESO_EENS0_5tupleIJSF_S6_EEENSQ_IJSG_SG_EEES6_PlJS6_EEE10hipError_tPvRmT3_T4_T5_T6_T7_T9_mT8_P12ihipStream_tbDpT10_ENKUlT_T0_E_clISt17integral_constantIbLb1EES1D_EEDaS18_S19_EUlS18_E_NS1_11comp_targetILNS1_3genE10ELNS1_11target_archE1200ELNS1_3gpuE4ELNS1_3repE0EEENS1_30default_config_static_selectorELNS0_4arch9wavefront6targetE0EEEvT1_
	.globl	_ZN7rocprim17ROCPRIM_400000_NS6detail17trampoline_kernelINS0_14default_configENS1_25partition_config_selectorILNS1_17partition_subalgoE5EsNS0_10empty_typeEbEEZZNS1_14partition_implILS5_5ELb0ES3_mN6thrust23THRUST_200600_302600_NS6detail15normal_iteratorINSA_10device_ptrIsEEEEPS6_NSA_18transform_iteratorINSB_9not_fun_tI7is_trueIsEEENSC_INSD_IbEEEENSA_11use_defaultESO_EENS0_5tupleIJSF_S6_EEENSQ_IJSG_SG_EEES6_PlJS6_EEE10hipError_tPvRmT3_T4_T5_T6_T7_T9_mT8_P12ihipStream_tbDpT10_ENKUlT_T0_E_clISt17integral_constantIbLb1EES1D_EEDaS18_S19_EUlS18_E_NS1_11comp_targetILNS1_3genE10ELNS1_11target_archE1200ELNS1_3gpuE4ELNS1_3repE0EEENS1_30default_config_static_selectorELNS0_4arch9wavefront6targetE0EEEvT1_
	.p2align	8
	.type	_ZN7rocprim17ROCPRIM_400000_NS6detail17trampoline_kernelINS0_14default_configENS1_25partition_config_selectorILNS1_17partition_subalgoE5EsNS0_10empty_typeEbEEZZNS1_14partition_implILS5_5ELb0ES3_mN6thrust23THRUST_200600_302600_NS6detail15normal_iteratorINSA_10device_ptrIsEEEEPS6_NSA_18transform_iteratorINSB_9not_fun_tI7is_trueIsEEENSC_INSD_IbEEEENSA_11use_defaultESO_EENS0_5tupleIJSF_S6_EEENSQ_IJSG_SG_EEES6_PlJS6_EEE10hipError_tPvRmT3_T4_T5_T6_T7_T9_mT8_P12ihipStream_tbDpT10_ENKUlT_T0_E_clISt17integral_constantIbLb1EES1D_EEDaS18_S19_EUlS18_E_NS1_11comp_targetILNS1_3genE10ELNS1_11target_archE1200ELNS1_3gpuE4ELNS1_3repE0EEENS1_30default_config_static_selectorELNS0_4arch9wavefront6targetE0EEEvT1_,@function
_ZN7rocprim17ROCPRIM_400000_NS6detail17trampoline_kernelINS0_14default_configENS1_25partition_config_selectorILNS1_17partition_subalgoE5EsNS0_10empty_typeEbEEZZNS1_14partition_implILS5_5ELb0ES3_mN6thrust23THRUST_200600_302600_NS6detail15normal_iteratorINSA_10device_ptrIsEEEEPS6_NSA_18transform_iteratorINSB_9not_fun_tI7is_trueIsEEENSC_INSD_IbEEEENSA_11use_defaultESO_EENS0_5tupleIJSF_S6_EEENSQ_IJSG_SG_EEES6_PlJS6_EEE10hipError_tPvRmT3_T4_T5_T6_T7_T9_mT8_P12ihipStream_tbDpT10_ENKUlT_T0_E_clISt17integral_constantIbLb1EES1D_EEDaS18_S19_EUlS18_E_NS1_11comp_targetILNS1_3genE10ELNS1_11target_archE1200ELNS1_3gpuE4ELNS1_3repE0EEENS1_30default_config_static_selectorELNS0_4arch9wavefront6targetE0EEEvT1_: ; @_ZN7rocprim17ROCPRIM_400000_NS6detail17trampoline_kernelINS0_14default_configENS1_25partition_config_selectorILNS1_17partition_subalgoE5EsNS0_10empty_typeEbEEZZNS1_14partition_implILS5_5ELb0ES3_mN6thrust23THRUST_200600_302600_NS6detail15normal_iteratorINSA_10device_ptrIsEEEEPS6_NSA_18transform_iteratorINSB_9not_fun_tI7is_trueIsEEENSC_INSD_IbEEEENSA_11use_defaultESO_EENS0_5tupleIJSF_S6_EEENSQ_IJSG_SG_EEES6_PlJS6_EEE10hipError_tPvRmT3_T4_T5_T6_T7_T9_mT8_P12ihipStream_tbDpT10_ENKUlT_T0_E_clISt17integral_constantIbLb1EES1D_EEDaS18_S19_EUlS18_E_NS1_11comp_targetILNS1_3genE10ELNS1_11target_archE1200ELNS1_3gpuE4ELNS1_3repE0EEENS1_30default_config_static_selectorELNS0_4arch9wavefront6targetE0EEEvT1_
; %bb.0:
	s_endpgm
	.section	.rodata,"a",@progbits
	.p2align	6, 0x0
	.amdhsa_kernel _ZN7rocprim17ROCPRIM_400000_NS6detail17trampoline_kernelINS0_14default_configENS1_25partition_config_selectorILNS1_17partition_subalgoE5EsNS0_10empty_typeEbEEZZNS1_14partition_implILS5_5ELb0ES3_mN6thrust23THRUST_200600_302600_NS6detail15normal_iteratorINSA_10device_ptrIsEEEEPS6_NSA_18transform_iteratorINSB_9not_fun_tI7is_trueIsEEENSC_INSD_IbEEEENSA_11use_defaultESO_EENS0_5tupleIJSF_S6_EEENSQ_IJSG_SG_EEES6_PlJS6_EEE10hipError_tPvRmT3_T4_T5_T6_T7_T9_mT8_P12ihipStream_tbDpT10_ENKUlT_T0_E_clISt17integral_constantIbLb1EES1D_EEDaS18_S19_EUlS18_E_NS1_11comp_targetILNS1_3genE10ELNS1_11target_archE1200ELNS1_3gpuE4ELNS1_3repE0EEENS1_30default_config_static_selectorELNS0_4arch9wavefront6targetE0EEEvT1_
		.amdhsa_group_segment_fixed_size 0
		.amdhsa_private_segment_fixed_size 0
		.amdhsa_kernarg_size 136
		.amdhsa_user_sgpr_count 2
		.amdhsa_user_sgpr_dispatch_ptr 0
		.amdhsa_user_sgpr_queue_ptr 0
		.amdhsa_user_sgpr_kernarg_segment_ptr 1
		.amdhsa_user_sgpr_dispatch_id 0
		.amdhsa_user_sgpr_private_segment_size 0
		.amdhsa_wavefront_size32 1
		.amdhsa_uses_dynamic_stack 0
		.amdhsa_enable_private_segment 0
		.amdhsa_system_sgpr_workgroup_id_x 1
		.amdhsa_system_sgpr_workgroup_id_y 0
		.amdhsa_system_sgpr_workgroup_id_z 0
		.amdhsa_system_sgpr_workgroup_info 0
		.amdhsa_system_vgpr_workitem_id 0
		.amdhsa_next_free_vgpr 1
		.amdhsa_next_free_sgpr 1
		.amdhsa_reserve_vcc 0
		.amdhsa_float_round_mode_32 0
		.amdhsa_float_round_mode_16_64 0
		.amdhsa_float_denorm_mode_32 3
		.amdhsa_float_denorm_mode_16_64 3
		.amdhsa_fp16_overflow 0
		.amdhsa_workgroup_processor_mode 1
		.amdhsa_memory_ordered 1
		.amdhsa_forward_progress 1
		.amdhsa_inst_pref_size 1
		.amdhsa_round_robin_scheduling 0
		.amdhsa_exception_fp_ieee_invalid_op 0
		.amdhsa_exception_fp_denorm_src 0
		.amdhsa_exception_fp_ieee_div_zero 0
		.amdhsa_exception_fp_ieee_overflow 0
		.amdhsa_exception_fp_ieee_underflow 0
		.amdhsa_exception_fp_ieee_inexact 0
		.amdhsa_exception_int_div_zero 0
	.end_amdhsa_kernel
	.section	.text._ZN7rocprim17ROCPRIM_400000_NS6detail17trampoline_kernelINS0_14default_configENS1_25partition_config_selectorILNS1_17partition_subalgoE5EsNS0_10empty_typeEbEEZZNS1_14partition_implILS5_5ELb0ES3_mN6thrust23THRUST_200600_302600_NS6detail15normal_iteratorINSA_10device_ptrIsEEEEPS6_NSA_18transform_iteratorINSB_9not_fun_tI7is_trueIsEEENSC_INSD_IbEEEENSA_11use_defaultESO_EENS0_5tupleIJSF_S6_EEENSQ_IJSG_SG_EEES6_PlJS6_EEE10hipError_tPvRmT3_T4_T5_T6_T7_T9_mT8_P12ihipStream_tbDpT10_ENKUlT_T0_E_clISt17integral_constantIbLb1EES1D_EEDaS18_S19_EUlS18_E_NS1_11comp_targetILNS1_3genE10ELNS1_11target_archE1200ELNS1_3gpuE4ELNS1_3repE0EEENS1_30default_config_static_selectorELNS0_4arch9wavefront6targetE0EEEvT1_,"axG",@progbits,_ZN7rocprim17ROCPRIM_400000_NS6detail17trampoline_kernelINS0_14default_configENS1_25partition_config_selectorILNS1_17partition_subalgoE5EsNS0_10empty_typeEbEEZZNS1_14partition_implILS5_5ELb0ES3_mN6thrust23THRUST_200600_302600_NS6detail15normal_iteratorINSA_10device_ptrIsEEEEPS6_NSA_18transform_iteratorINSB_9not_fun_tI7is_trueIsEEENSC_INSD_IbEEEENSA_11use_defaultESO_EENS0_5tupleIJSF_S6_EEENSQ_IJSG_SG_EEES6_PlJS6_EEE10hipError_tPvRmT3_T4_T5_T6_T7_T9_mT8_P12ihipStream_tbDpT10_ENKUlT_T0_E_clISt17integral_constantIbLb1EES1D_EEDaS18_S19_EUlS18_E_NS1_11comp_targetILNS1_3genE10ELNS1_11target_archE1200ELNS1_3gpuE4ELNS1_3repE0EEENS1_30default_config_static_selectorELNS0_4arch9wavefront6targetE0EEEvT1_,comdat
.Lfunc_end2570:
	.size	_ZN7rocprim17ROCPRIM_400000_NS6detail17trampoline_kernelINS0_14default_configENS1_25partition_config_selectorILNS1_17partition_subalgoE5EsNS0_10empty_typeEbEEZZNS1_14partition_implILS5_5ELb0ES3_mN6thrust23THRUST_200600_302600_NS6detail15normal_iteratorINSA_10device_ptrIsEEEEPS6_NSA_18transform_iteratorINSB_9not_fun_tI7is_trueIsEEENSC_INSD_IbEEEENSA_11use_defaultESO_EENS0_5tupleIJSF_S6_EEENSQ_IJSG_SG_EEES6_PlJS6_EEE10hipError_tPvRmT3_T4_T5_T6_T7_T9_mT8_P12ihipStream_tbDpT10_ENKUlT_T0_E_clISt17integral_constantIbLb1EES1D_EEDaS18_S19_EUlS18_E_NS1_11comp_targetILNS1_3genE10ELNS1_11target_archE1200ELNS1_3gpuE4ELNS1_3repE0EEENS1_30default_config_static_selectorELNS0_4arch9wavefront6targetE0EEEvT1_, .Lfunc_end2570-_ZN7rocprim17ROCPRIM_400000_NS6detail17trampoline_kernelINS0_14default_configENS1_25partition_config_selectorILNS1_17partition_subalgoE5EsNS0_10empty_typeEbEEZZNS1_14partition_implILS5_5ELb0ES3_mN6thrust23THRUST_200600_302600_NS6detail15normal_iteratorINSA_10device_ptrIsEEEEPS6_NSA_18transform_iteratorINSB_9not_fun_tI7is_trueIsEEENSC_INSD_IbEEEENSA_11use_defaultESO_EENS0_5tupleIJSF_S6_EEENSQ_IJSG_SG_EEES6_PlJS6_EEE10hipError_tPvRmT3_T4_T5_T6_T7_T9_mT8_P12ihipStream_tbDpT10_ENKUlT_T0_E_clISt17integral_constantIbLb1EES1D_EEDaS18_S19_EUlS18_E_NS1_11comp_targetILNS1_3genE10ELNS1_11target_archE1200ELNS1_3gpuE4ELNS1_3repE0EEENS1_30default_config_static_selectorELNS0_4arch9wavefront6targetE0EEEvT1_
                                        ; -- End function
	.set _ZN7rocprim17ROCPRIM_400000_NS6detail17trampoline_kernelINS0_14default_configENS1_25partition_config_selectorILNS1_17partition_subalgoE5EsNS0_10empty_typeEbEEZZNS1_14partition_implILS5_5ELb0ES3_mN6thrust23THRUST_200600_302600_NS6detail15normal_iteratorINSA_10device_ptrIsEEEEPS6_NSA_18transform_iteratorINSB_9not_fun_tI7is_trueIsEEENSC_INSD_IbEEEENSA_11use_defaultESO_EENS0_5tupleIJSF_S6_EEENSQ_IJSG_SG_EEES6_PlJS6_EEE10hipError_tPvRmT3_T4_T5_T6_T7_T9_mT8_P12ihipStream_tbDpT10_ENKUlT_T0_E_clISt17integral_constantIbLb1EES1D_EEDaS18_S19_EUlS18_E_NS1_11comp_targetILNS1_3genE10ELNS1_11target_archE1200ELNS1_3gpuE4ELNS1_3repE0EEENS1_30default_config_static_selectorELNS0_4arch9wavefront6targetE0EEEvT1_.num_vgpr, 0
	.set _ZN7rocprim17ROCPRIM_400000_NS6detail17trampoline_kernelINS0_14default_configENS1_25partition_config_selectorILNS1_17partition_subalgoE5EsNS0_10empty_typeEbEEZZNS1_14partition_implILS5_5ELb0ES3_mN6thrust23THRUST_200600_302600_NS6detail15normal_iteratorINSA_10device_ptrIsEEEEPS6_NSA_18transform_iteratorINSB_9not_fun_tI7is_trueIsEEENSC_INSD_IbEEEENSA_11use_defaultESO_EENS0_5tupleIJSF_S6_EEENSQ_IJSG_SG_EEES6_PlJS6_EEE10hipError_tPvRmT3_T4_T5_T6_T7_T9_mT8_P12ihipStream_tbDpT10_ENKUlT_T0_E_clISt17integral_constantIbLb1EES1D_EEDaS18_S19_EUlS18_E_NS1_11comp_targetILNS1_3genE10ELNS1_11target_archE1200ELNS1_3gpuE4ELNS1_3repE0EEENS1_30default_config_static_selectorELNS0_4arch9wavefront6targetE0EEEvT1_.num_agpr, 0
	.set _ZN7rocprim17ROCPRIM_400000_NS6detail17trampoline_kernelINS0_14default_configENS1_25partition_config_selectorILNS1_17partition_subalgoE5EsNS0_10empty_typeEbEEZZNS1_14partition_implILS5_5ELb0ES3_mN6thrust23THRUST_200600_302600_NS6detail15normal_iteratorINSA_10device_ptrIsEEEEPS6_NSA_18transform_iteratorINSB_9not_fun_tI7is_trueIsEEENSC_INSD_IbEEEENSA_11use_defaultESO_EENS0_5tupleIJSF_S6_EEENSQ_IJSG_SG_EEES6_PlJS6_EEE10hipError_tPvRmT3_T4_T5_T6_T7_T9_mT8_P12ihipStream_tbDpT10_ENKUlT_T0_E_clISt17integral_constantIbLb1EES1D_EEDaS18_S19_EUlS18_E_NS1_11comp_targetILNS1_3genE10ELNS1_11target_archE1200ELNS1_3gpuE4ELNS1_3repE0EEENS1_30default_config_static_selectorELNS0_4arch9wavefront6targetE0EEEvT1_.numbered_sgpr, 0
	.set _ZN7rocprim17ROCPRIM_400000_NS6detail17trampoline_kernelINS0_14default_configENS1_25partition_config_selectorILNS1_17partition_subalgoE5EsNS0_10empty_typeEbEEZZNS1_14partition_implILS5_5ELb0ES3_mN6thrust23THRUST_200600_302600_NS6detail15normal_iteratorINSA_10device_ptrIsEEEEPS6_NSA_18transform_iteratorINSB_9not_fun_tI7is_trueIsEEENSC_INSD_IbEEEENSA_11use_defaultESO_EENS0_5tupleIJSF_S6_EEENSQ_IJSG_SG_EEES6_PlJS6_EEE10hipError_tPvRmT3_T4_T5_T6_T7_T9_mT8_P12ihipStream_tbDpT10_ENKUlT_T0_E_clISt17integral_constantIbLb1EES1D_EEDaS18_S19_EUlS18_E_NS1_11comp_targetILNS1_3genE10ELNS1_11target_archE1200ELNS1_3gpuE4ELNS1_3repE0EEENS1_30default_config_static_selectorELNS0_4arch9wavefront6targetE0EEEvT1_.num_named_barrier, 0
	.set _ZN7rocprim17ROCPRIM_400000_NS6detail17trampoline_kernelINS0_14default_configENS1_25partition_config_selectorILNS1_17partition_subalgoE5EsNS0_10empty_typeEbEEZZNS1_14partition_implILS5_5ELb0ES3_mN6thrust23THRUST_200600_302600_NS6detail15normal_iteratorINSA_10device_ptrIsEEEEPS6_NSA_18transform_iteratorINSB_9not_fun_tI7is_trueIsEEENSC_INSD_IbEEEENSA_11use_defaultESO_EENS0_5tupleIJSF_S6_EEENSQ_IJSG_SG_EEES6_PlJS6_EEE10hipError_tPvRmT3_T4_T5_T6_T7_T9_mT8_P12ihipStream_tbDpT10_ENKUlT_T0_E_clISt17integral_constantIbLb1EES1D_EEDaS18_S19_EUlS18_E_NS1_11comp_targetILNS1_3genE10ELNS1_11target_archE1200ELNS1_3gpuE4ELNS1_3repE0EEENS1_30default_config_static_selectorELNS0_4arch9wavefront6targetE0EEEvT1_.private_seg_size, 0
	.set _ZN7rocprim17ROCPRIM_400000_NS6detail17trampoline_kernelINS0_14default_configENS1_25partition_config_selectorILNS1_17partition_subalgoE5EsNS0_10empty_typeEbEEZZNS1_14partition_implILS5_5ELb0ES3_mN6thrust23THRUST_200600_302600_NS6detail15normal_iteratorINSA_10device_ptrIsEEEEPS6_NSA_18transform_iteratorINSB_9not_fun_tI7is_trueIsEEENSC_INSD_IbEEEENSA_11use_defaultESO_EENS0_5tupleIJSF_S6_EEENSQ_IJSG_SG_EEES6_PlJS6_EEE10hipError_tPvRmT3_T4_T5_T6_T7_T9_mT8_P12ihipStream_tbDpT10_ENKUlT_T0_E_clISt17integral_constantIbLb1EES1D_EEDaS18_S19_EUlS18_E_NS1_11comp_targetILNS1_3genE10ELNS1_11target_archE1200ELNS1_3gpuE4ELNS1_3repE0EEENS1_30default_config_static_selectorELNS0_4arch9wavefront6targetE0EEEvT1_.uses_vcc, 0
	.set _ZN7rocprim17ROCPRIM_400000_NS6detail17trampoline_kernelINS0_14default_configENS1_25partition_config_selectorILNS1_17partition_subalgoE5EsNS0_10empty_typeEbEEZZNS1_14partition_implILS5_5ELb0ES3_mN6thrust23THRUST_200600_302600_NS6detail15normal_iteratorINSA_10device_ptrIsEEEEPS6_NSA_18transform_iteratorINSB_9not_fun_tI7is_trueIsEEENSC_INSD_IbEEEENSA_11use_defaultESO_EENS0_5tupleIJSF_S6_EEENSQ_IJSG_SG_EEES6_PlJS6_EEE10hipError_tPvRmT3_T4_T5_T6_T7_T9_mT8_P12ihipStream_tbDpT10_ENKUlT_T0_E_clISt17integral_constantIbLb1EES1D_EEDaS18_S19_EUlS18_E_NS1_11comp_targetILNS1_3genE10ELNS1_11target_archE1200ELNS1_3gpuE4ELNS1_3repE0EEENS1_30default_config_static_selectorELNS0_4arch9wavefront6targetE0EEEvT1_.uses_flat_scratch, 0
	.set _ZN7rocprim17ROCPRIM_400000_NS6detail17trampoline_kernelINS0_14default_configENS1_25partition_config_selectorILNS1_17partition_subalgoE5EsNS0_10empty_typeEbEEZZNS1_14partition_implILS5_5ELb0ES3_mN6thrust23THRUST_200600_302600_NS6detail15normal_iteratorINSA_10device_ptrIsEEEEPS6_NSA_18transform_iteratorINSB_9not_fun_tI7is_trueIsEEENSC_INSD_IbEEEENSA_11use_defaultESO_EENS0_5tupleIJSF_S6_EEENSQ_IJSG_SG_EEES6_PlJS6_EEE10hipError_tPvRmT3_T4_T5_T6_T7_T9_mT8_P12ihipStream_tbDpT10_ENKUlT_T0_E_clISt17integral_constantIbLb1EES1D_EEDaS18_S19_EUlS18_E_NS1_11comp_targetILNS1_3genE10ELNS1_11target_archE1200ELNS1_3gpuE4ELNS1_3repE0EEENS1_30default_config_static_selectorELNS0_4arch9wavefront6targetE0EEEvT1_.has_dyn_sized_stack, 0
	.set _ZN7rocprim17ROCPRIM_400000_NS6detail17trampoline_kernelINS0_14default_configENS1_25partition_config_selectorILNS1_17partition_subalgoE5EsNS0_10empty_typeEbEEZZNS1_14partition_implILS5_5ELb0ES3_mN6thrust23THRUST_200600_302600_NS6detail15normal_iteratorINSA_10device_ptrIsEEEEPS6_NSA_18transform_iteratorINSB_9not_fun_tI7is_trueIsEEENSC_INSD_IbEEEENSA_11use_defaultESO_EENS0_5tupleIJSF_S6_EEENSQ_IJSG_SG_EEES6_PlJS6_EEE10hipError_tPvRmT3_T4_T5_T6_T7_T9_mT8_P12ihipStream_tbDpT10_ENKUlT_T0_E_clISt17integral_constantIbLb1EES1D_EEDaS18_S19_EUlS18_E_NS1_11comp_targetILNS1_3genE10ELNS1_11target_archE1200ELNS1_3gpuE4ELNS1_3repE0EEENS1_30default_config_static_selectorELNS0_4arch9wavefront6targetE0EEEvT1_.has_recursion, 0
	.set _ZN7rocprim17ROCPRIM_400000_NS6detail17trampoline_kernelINS0_14default_configENS1_25partition_config_selectorILNS1_17partition_subalgoE5EsNS0_10empty_typeEbEEZZNS1_14partition_implILS5_5ELb0ES3_mN6thrust23THRUST_200600_302600_NS6detail15normal_iteratorINSA_10device_ptrIsEEEEPS6_NSA_18transform_iteratorINSB_9not_fun_tI7is_trueIsEEENSC_INSD_IbEEEENSA_11use_defaultESO_EENS0_5tupleIJSF_S6_EEENSQ_IJSG_SG_EEES6_PlJS6_EEE10hipError_tPvRmT3_T4_T5_T6_T7_T9_mT8_P12ihipStream_tbDpT10_ENKUlT_T0_E_clISt17integral_constantIbLb1EES1D_EEDaS18_S19_EUlS18_E_NS1_11comp_targetILNS1_3genE10ELNS1_11target_archE1200ELNS1_3gpuE4ELNS1_3repE0EEENS1_30default_config_static_selectorELNS0_4arch9wavefront6targetE0EEEvT1_.has_indirect_call, 0
	.section	.AMDGPU.csdata,"",@progbits
; Kernel info:
; codeLenInByte = 4
; TotalNumSgprs: 0
; NumVgprs: 0
; ScratchSize: 0
; MemoryBound: 0
; FloatMode: 240
; IeeeMode: 1
; LDSByteSize: 0 bytes/workgroup (compile time only)
; SGPRBlocks: 0
; VGPRBlocks: 0
; NumSGPRsForWavesPerEU: 1
; NumVGPRsForWavesPerEU: 1
; Occupancy: 16
; WaveLimiterHint : 0
; COMPUTE_PGM_RSRC2:SCRATCH_EN: 0
; COMPUTE_PGM_RSRC2:USER_SGPR: 2
; COMPUTE_PGM_RSRC2:TRAP_HANDLER: 0
; COMPUTE_PGM_RSRC2:TGID_X_EN: 1
; COMPUTE_PGM_RSRC2:TGID_Y_EN: 0
; COMPUTE_PGM_RSRC2:TGID_Z_EN: 0
; COMPUTE_PGM_RSRC2:TIDIG_COMP_CNT: 0
	.section	.text._ZN7rocprim17ROCPRIM_400000_NS6detail17trampoline_kernelINS0_14default_configENS1_25partition_config_selectorILNS1_17partition_subalgoE5EsNS0_10empty_typeEbEEZZNS1_14partition_implILS5_5ELb0ES3_mN6thrust23THRUST_200600_302600_NS6detail15normal_iteratorINSA_10device_ptrIsEEEEPS6_NSA_18transform_iteratorINSB_9not_fun_tI7is_trueIsEEENSC_INSD_IbEEEENSA_11use_defaultESO_EENS0_5tupleIJSF_S6_EEENSQ_IJSG_SG_EEES6_PlJS6_EEE10hipError_tPvRmT3_T4_T5_T6_T7_T9_mT8_P12ihipStream_tbDpT10_ENKUlT_T0_E_clISt17integral_constantIbLb1EES1D_EEDaS18_S19_EUlS18_E_NS1_11comp_targetILNS1_3genE9ELNS1_11target_archE1100ELNS1_3gpuE3ELNS1_3repE0EEENS1_30default_config_static_selectorELNS0_4arch9wavefront6targetE0EEEvT1_,"axG",@progbits,_ZN7rocprim17ROCPRIM_400000_NS6detail17trampoline_kernelINS0_14default_configENS1_25partition_config_selectorILNS1_17partition_subalgoE5EsNS0_10empty_typeEbEEZZNS1_14partition_implILS5_5ELb0ES3_mN6thrust23THRUST_200600_302600_NS6detail15normal_iteratorINSA_10device_ptrIsEEEEPS6_NSA_18transform_iteratorINSB_9not_fun_tI7is_trueIsEEENSC_INSD_IbEEEENSA_11use_defaultESO_EENS0_5tupleIJSF_S6_EEENSQ_IJSG_SG_EEES6_PlJS6_EEE10hipError_tPvRmT3_T4_T5_T6_T7_T9_mT8_P12ihipStream_tbDpT10_ENKUlT_T0_E_clISt17integral_constantIbLb1EES1D_EEDaS18_S19_EUlS18_E_NS1_11comp_targetILNS1_3genE9ELNS1_11target_archE1100ELNS1_3gpuE3ELNS1_3repE0EEENS1_30default_config_static_selectorELNS0_4arch9wavefront6targetE0EEEvT1_,comdat
	.protected	_ZN7rocprim17ROCPRIM_400000_NS6detail17trampoline_kernelINS0_14default_configENS1_25partition_config_selectorILNS1_17partition_subalgoE5EsNS0_10empty_typeEbEEZZNS1_14partition_implILS5_5ELb0ES3_mN6thrust23THRUST_200600_302600_NS6detail15normal_iteratorINSA_10device_ptrIsEEEEPS6_NSA_18transform_iteratorINSB_9not_fun_tI7is_trueIsEEENSC_INSD_IbEEEENSA_11use_defaultESO_EENS0_5tupleIJSF_S6_EEENSQ_IJSG_SG_EEES6_PlJS6_EEE10hipError_tPvRmT3_T4_T5_T6_T7_T9_mT8_P12ihipStream_tbDpT10_ENKUlT_T0_E_clISt17integral_constantIbLb1EES1D_EEDaS18_S19_EUlS18_E_NS1_11comp_targetILNS1_3genE9ELNS1_11target_archE1100ELNS1_3gpuE3ELNS1_3repE0EEENS1_30default_config_static_selectorELNS0_4arch9wavefront6targetE0EEEvT1_ ; -- Begin function _ZN7rocprim17ROCPRIM_400000_NS6detail17trampoline_kernelINS0_14default_configENS1_25partition_config_selectorILNS1_17partition_subalgoE5EsNS0_10empty_typeEbEEZZNS1_14partition_implILS5_5ELb0ES3_mN6thrust23THRUST_200600_302600_NS6detail15normal_iteratorINSA_10device_ptrIsEEEEPS6_NSA_18transform_iteratorINSB_9not_fun_tI7is_trueIsEEENSC_INSD_IbEEEENSA_11use_defaultESO_EENS0_5tupleIJSF_S6_EEENSQ_IJSG_SG_EEES6_PlJS6_EEE10hipError_tPvRmT3_T4_T5_T6_T7_T9_mT8_P12ihipStream_tbDpT10_ENKUlT_T0_E_clISt17integral_constantIbLb1EES1D_EEDaS18_S19_EUlS18_E_NS1_11comp_targetILNS1_3genE9ELNS1_11target_archE1100ELNS1_3gpuE3ELNS1_3repE0EEENS1_30default_config_static_selectorELNS0_4arch9wavefront6targetE0EEEvT1_
	.globl	_ZN7rocprim17ROCPRIM_400000_NS6detail17trampoline_kernelINS0_14default_configENS1_25partition_config_selectorILNS1_17partition_subalgoE5EsNS0_10empty_typeEbEEZZNS1_14partition_implILS5_5ELb0ES3_mN6thrust23THRUST_200600_302600_NS6detail15normal_iteratorINSA_10device_ptrIsEEEEPS6_NSA_18transform_iteratorINSB_9not_fun_tI7is_trueIsEEENSC_INSD_IbEEEENSA_11use_defaultESO_EENS0_5tupleIJSF_S6_EEENSQ_IJSG_SG_EEES6_PlJS6_EEE10hipError_tPvRmT3_T4_T5_T6_T7_T9_mT8_P12ihipStream_tbDpT10_ENKUlT_T0_E_clISt17integral_constantIbLb1EES1D_EEDaS18_S19_EUlS18_E_NS1_11comp_targetILNS1_3genE9ELNS1_11target_archE1100ELNS1_3gpuE3ELNS1_3repE0EEENS1_30default_config_static_selectorELNS0_4arch9wavefront6targetE0EEEvT1_
	.p2align	8
	.type	_ZN7rocprim17ROCPRIM_400000_NS6detail17trampoline_kernelINS0_14default_configENS1_25partition_config_selectorILNS1_17partition_subalgoE5EsNS0_10empty_typeEbEEZZNS1_14partition_implILS5_5ELb0ES3_mN6thrust23THRUST_200600_302600_NS6detail15normal_iteratorINSA_10device_ptrIsEEEEPS6_NSA_18transform_iteratorINSB_9not_fun_tI7is_trueIsEEENSC_INSD_IbEEEENSA_11use_defaultESO_EENS0_5tupleIJSF_S6_EEENSQ_IJSG_SG_EEES6_PlJS6_EEE10hipError_tPvRmT3_T4_T5_T6_T7_T9_mT8_P12ihipStream_tbDpT10_ENKUlT_T0_E_clISt17integral_constantIbLb1EES1D_EEDaS18_S19_EUlS18_E_NS1_11comp_targetILNS1_3genE9ELNS1_11target_archE1100ELNS1_3gpuE3ELNS1_3repE0EEENS1_30default_config_static_selectorELNS0_4arch9wavefront6targetE0EEEvT1_,@function
_ZN7rocprim17ROCPRIM_400000_NS6detail17trampoline_kernelINS0_14default_configENS1_25partition_config_selectorILNS1_17partition_subalgoE5EsNS0_10empty_typeEbEEZZNS1_14partition_implILS5_5ELb0ES3_mN6thrust23THRUST_200600_302600_NS6detail15normal_iteratorINSA_10device_ptrIsEEEEPS6_NSA_18transform_iteratorINSB_9not_fun_tI7is_trueIsEEENSC_INSD_IbEEEENSA_11use_defaultESO_EENS0_5tupleIJSF_S6_EEENSQ_IJSG_SG_EEES6_PlJS6_EEE10hipError_tPvRmT3_T4_T5_T6_T7_T9_mT8_P12ihipStream_tbDpT10_ENKUlT_T0_E_clISt17integral_constantIbLb1EES1D_EEDaS18_S19_EUlS18_E_NS1_11comp_targetILNS1_3genE9ELNS1_11target_archE1100ELNS1_3gpuE3ELNS1_3repE0EEENS1_30default_config_static_selectorELNS0_4arch9wavefront6targetE0EEEvT1_: ; @_ZN7rocprim17ROCPRIM_400000_NS6detail17trampoline_kernelINS0_14default_configENS1_25partition_config_selectorILNS1_17partition_subalgoE5EsNS0_10empty_typeEbEEZZNS1_14partition_implILS5_5ELb0ES3_mN6thrust23THRUST_200600_302600_NS6detail15normal_iteratorINSA_10device_ptrIsEEEEPS6_NSA_18transform_iteratorINSB_9not_fun_tI7is_trueIsEEENSC_INSD_IbEEEENSA_11use_defaultESO_EENS0_5tupleIJSF_S6_EEENSQ_IJSG_SG_EEES6_PlJS6_EEE10hipError_tPvRmT3_T4_T5_T6_T7_T9_mT8_P12ihipStream_tbDpT10_ENKUlT_T0_E_clISt17integral_constantIbLb1EES1D_EEDaS18_S19_EUlS18_E_NS1_11comp_targetILNS1_3genE9ELNS1_11target_archE1100ELNS1_3gpuE3ELNS1_3repE0EEENS1_30default_config_static_selectorELNS0_4arch9wavefront6targetE0EEEvT1_
; %bb.0:
	.section	.rodata,"a",@progbits
	.p2align	6, 0x0
	.amdhsa_kernel _ZN7rocprim17ROCPRIM_400000_NS6detail17trampoline_kernelINS0_14default_configENS1_25partition_config_selectorILNS1_17partition_subalgoE5EsNS0_10empty_typeEbEEZZNS1_14partition_implILS5_5ELb0ES3_mN6thrust23THRUST_200600_302600_NS6detail15normal_iteratorINSA_10device_ptrIsEEEEPS6_NSA_18transform_iteratorINSB_9not_fun_tI7is_trueIsEEENSC_INSD_IbEEEENSA_11use_defaultESO_EENS0_5tupleIJSF_S6_EEENSQ_IJSG_SG_EEES6_PlJS6_EEE10hipError_tPvRmT3_T4_T5_T6_T7_T9_mT8_P12ihipStream_tbDpT10_ENKUlT_T0_E_clISt17integral_constantIbLb1EES1D_EEDaS18_S19_EUlS18_E_NS1_11comp_targetILNS1_3genE9ELNS1_11target_archE1100ELNS1_3gpuE3ELNS1_3repE0EEENS1_30default_config_static_selectorELNS0_4arch9wavefront6targetE0EEEvT1_
		.amdhsa_group_segment_fixed_size 0
		.amdhsa_private_segment_fixed_size 0
		.amdhsa_kernarg_size 136
		.amdhsa_user_sgpr_count 2
		.amdhsa_user_sgpr_dispatch_ptr 0
		.amdhsa_user_sgpr_queue_ptr 0
		.amdhsa_user_sgpr_kernarg_segment_ptr 1
		.amdhsa_user_sgpr_dispatch_id 0
		.amdhsa_user_sgpr_private_segment_size 0
		.amdhsa_wavefront_size32 1
		.amdhsa_uses_dynamic_stack 0
		.amdhsa_enable_private_segment 0
		.amdhsa_system_sgpr_workgroup_id_x 1
		.amdhsa_system_sgpr_workgroup_id_y 0
		.amdhsa_system_sgpr_workgroup_id_z 0
		.amdhsa_system_sgpr_workgroup_info 0
		.amdhsa_system_vgpr_workitem_id 0
		.amdhsa_next_free_vgpr 1
		.amdhsa_next_free_sgpr 1
		.amdhsa_reserve_vcc 0
		.amdhsa_float_round_mode_32 0
		.amdhsa_float_round_mode_16_64 0
		.amdhsa_float_denorm_mode_32 3
		.amdhsa_float_denorm_mode_16_64 3
		.amdhsa_fp16_overflow 0
		.amdhsa_workgroup_processor_mode 1
		.amdhsa_memory_ordered 1
		.amdhsa_forward_progress 1
		.amdhsa_inst_pref_size 0
		.amdhsa_round_robin_scheduling 0
		.amdhsa_exception_fp_ieee_invalid_op 0
		.amdhsa_exception_fp_denorm_src 0
		.amdhsa_exception_fp_ieee_div_zero 0
		.amdhsa_exception_fp_ieee_overflow 0
		.amdhsa_exception_fp_ieee_underflow 0
		.amdhsa_exception_fp_ieee_inexact 0
		.amdhsa_exception_int_div_zero 0
	.end_amdhsa_kernel
	.section	.text._ZN7rocprim17ROCPRIM_400000_NS6detail17trampoline_kernelINS0_14default_configENS1_25partition_config_selectorILNS1_17partition_subalgoE5EsNS0_10empty_typeEbEEZZNS1_14partition_implILS5_5ELb0ES3_mN6thrust23THRUST_200600_302600_NS6detail15normal_iteratorINSA_10device_ptrIsEEEEPS6_NSA_18transform_iteratorINSB_9not_fun_tI7is_trueIsEEENSC_INSD_IbEEEENSA_11use_defaultESO_EENS0_5tupleIJSF_S6_EEENSQ_IJSG_SG_EEES6_PlJS6_EEE10hipError_tPvRmT3_T4_T5_T6_T7_T9_mT8_P12ihipStream_tbDpT10_ENKUlT_T0_E_clISt17integral_constantIbLb1EES1D_EEDaS18_S19_EUlS18_E_NS1_11comp_targetILNS1_3genE9ELNS1_11target_archE1100ELNS1_3gpuE3ELNS1_3repE0EEENS1_30default_config_static_selectorELNS0_4arch9wavefront6targetE0EEEvT1_,"axG",@progbits,_ZN7rocprim17ROCPRIM_400000_NS6detail17trampoline_kernelINS0_14default_configENS1_25partition_config_selectorILNS1_17partition_subalgoE5EsNS0_10empty_typeEbEEZZNS1_14partition_implILS5_5ELb0ES3_mN6thrust23THRUST_200600_302600_NS6detail15normal_iteratorINSA_10device_ptrIsEEEEPS6_NSA_18transform_iteratorINSB_9not_fun_tI7is_trueIsEEENSC_INSD_IbEEEENSA_11use_defaultESO_EENS0_5tupleIJSF_S6_EEENSQ_IJSG_SG_EEES6_PlJS6_EEE10hipError_tPvRmT3_T4_T5_T6_T7_T9_mT8_P12ihipStream_tbDpT10_ENKUlT_T0_E_clISt17integral_constantIbLb1EES1D_EEDaS18_S19_EUlS18_E_NS1_11comp_targetILNS1_3genE9ELNS1_11target_archE1100ELNS1_3gpuE3ELNS1_3repE0EEENS1_30default_config_static_selectorELNS0_4arch9wavefront6targetE0EEEvT1_,comdat
.Lfunc_end2571:
	.size	_ZN7rocprim17ROCPRIM_400000_NS6detail17trampoline_kernelINS0_14default_configENS1_25partition_config_selectorILNS1_17partition_subalgoE5EsNS0_10empty_typeEbEEZZNS1_14partition_implILS5_5ELb0ES3_mN6thrust23THRUST_200600_302600_NS6detail15normal_iteratorINSA_10device_ptrIsEEEEPS6_NSA_18transform_iteratorINSB_9not_fun_tI7is_trueIsEEENSC_INSD_IbEEEENSA_11use_defaultESO_EENS0_5tupleIJSF_S6_EEENSQ_IJSG_SG_EEES6_PlJS6_EEE10hipError_tPvRmT3_T4_T5_T6_T7_T9_mT8_P12ihipStream_tbDpT10_ENKUlT_T0_E_clISt17integral_constantIbLb1EES1D_EEDaS18_S19_EUlS18_E_NS1_11comp_targetILNS1_3genE9ELNS1_11target_archE1100ELNS1_3gpuE3ELNS1_3repE0EEENS1_30default_config_static_selectorELNS0_4arch9wavefront6targetE0EEEvT1_, .Lfunc_end2571-_ZN7rocprim17ROCPRIM_400000_NS6detail17trampoline_kernelINS0_14default_configENS1_25partition_config_selectorILNS1_17partition_subalgoE5EsNS0_10empty_typeEbEEZZNS1_14partition_implILS5_5ELb0ES3_mN6thrust23THRUST_200600_302600_NS6detail15normal_iteratorINSA_10device_ptrIsEEEEPS6_NSA_18transform_iteratorINSB_9not_fun_tI7is_trueIsEEENSC_INSD_IbEEEENSA_11use_defaultESO_EENS0_5tupleIJSF_S6_EEENSQ_IJSG_SG_EEES6_PlJS6_EEE10hipError_tPvRmT3_T4_T5_T6_T7_T9_mT8_P12ihipStream_tbDpT10_ENKUlT_T0_E_clISt17integral_constantIbLb1EES1D_EEDaS18_S19_EUlS18_E_NS1_11comp_targetILNS1_3genE9ELNS1_11target_archE1100ELNS1_3gpuE3ELNS1_3repE0EEENS1_30default_config_static_selectorELNS0_4arch9wavefront6targetE0EEEvT1_
                                        ; -- End function
	.set _ZN7rocprim17ROCPRIM_400000_NS6detail17trampoline_kernelINS0_14default_configENS1_25partition_config_selectorILNS1_17partition_subalgoE5EsNS0_10empty_typeEbEEZZNS1_14partition_implILS5_5ELb0ES3_mN6thrust23THRUST_200600_302600_NS6detail15normal_iteratorINSA_10device_ptrIsEEEEPS6_NSA_18transform_iteratorINSB_9not_fun_tI7is_trueIsEEENSC_INSD_IbEEEENSA_11use_defaultESO_EENS0_5tupleIJSF_S6_EEENSQ_IJSG_SG_EEES6_PlJS6_EEE10hipError_tPvRmT3_T4_T5_T6_T7_T9_mT8_P12ihipStream_tbDpT10_ENKUlT_T0_E_clISt17integral_constantIbLb1EES1D_EEDaS18_S19_EUlS18_E_NS1_11comp_targetILNS1_3genE9ELNS1_11target_archE1100ELNS1_3gpuE3ELNS1_3repE0EEENS1_30default_config_static_selectorELNS0_4arch9wavefront6targetE0EEEvT1_.num_vgpr, 0
	.set _ZN7rocprim17ROCPRIM_400000_NS6detail17trampoline_kernelINS0_14default_configENS1_25partition_config_selectorILNS1_17partition_subalgoE5EsNS0_10empty_typeEbEEZZNS1_14partition_implILS5_5ELb0ES3_mN6thrust23THRUST_200600_302600_NS6detail15normal_iteratorINSA_10device_ptrIsEEEEPS6_NSA_18transform_iteratorINSB_9not_fun_tI7is_trueIsEEENSC_INSD_IbEEEENSA_11use_defaultESO_EENS0_5tupleIJSF_S6_EEENSQ_IJSG_SG_EEES6_PlJS6_EEE10hipError_tPvRmT3_T4_T5_T6_T7_T9_mT8_P12ihipStream_tbDpT10_ENKUlT_T0_E_clISt17integral_constantIbLb1EES1D_EEDaS18_S19_EUlS18_E_NS1_11comp_targetILNS1_3genE9ELNS1_11target_archE1100ELNS1_3gpuE3ELNS1_3repE0EEENS1_30default_config_static_selectorELNS0_4arch9wavefront6targetE0EEEvT1_.num_agpr, 0
	.set _ZN7rocprim17ROCPRIM_400000_NS6detail17trampoline_kernelINS0_14default_configENS1_25partition_config_selectorILNS1_17partition_subalgoE5EsNS0_10empty_typeEbEEZZNS1_14partition_implILS5_5ELb0ES3_mN6thrust23THRUST_200600_302600_NS6detail15normal_iteratorINSA_10device_ptrIsEEEEPS6_NSA_18transform_iteratorINSB_9not_fun_tI7is_trueIsEEENSC_INSD_IbEEEENSA_11use_defaultESO_EENS0_5tupleIJSF_S6_EEENSQ_IJSG_SG_EEES6_PlJS6_EEE10hipError_tPvRmT3_T4_T5_T6_T7_T9_mT8_P12ihipStream_tbDpT10_ENKUlT_T0_E_clISt17integral_constantIbLb1EES1D_EEDaS18_S19_EUlS18_E_NS1_11comp_targetILNS1_3genE9ELNS1_11target_archE1100ELNS1_3gpuE3ELNS1_3repE0EEENS1_30default_config_static_selectorELNS0_4arch9wavefront6targetE0EEEvT1_.numbered_sgpr, 0
	.set _ZN7rocprim17ROCPRIM_400000_NS6detail17trampoline_kernelINS0_14default_configENS1_25partition_config_selectorILNS1_17partition_subalgoE5EsNS0_10empty_typeEbEEZZNS1_14partition_implILS5_5ELb0ES3_mN6thrust23THRUST_200600_302600_NS6detail15normal_iteratorINSA_10device_ptrIsEEEEPS6_NSA_18transform_iteratorINSB_9not_fun_tI7is_trueIsEEENSC_INSD_IbEEEENSA_11use_defaultESO_EENS0_5tupleIJSF_S6_EEENSQ_IJSG_SG_EEES6_PlJS6_EEE10hipError_tPvRmT3_T4_T5_T6_T7_T9_mT8_P12ihipStream_tbDpT10_ENKUlT_T0_E_clISt17integral_constantIbLb1EES1D_EEDaS18_S19_EUlS18_E_NS1_11comp_targetILNS1_3genE9ELNS1_11target_archE1100ELNS1_3gpuE3ELNS1_3repE0EEENS1_30default_config_static_selectorELNS0_4arch9wavefront6targetE0EEEvT1_.num_named_barrier, 0
	.set _ZN7rocprim17ROCPRIM_400000_NS6detail17trampoline_kernelINS0_14default_configENS1_25partition_config_selectorILNS1_17partition_subalgoE5EsNS0_10empty_typeEbEEZZNS1_14partition_implILS5_5ELb0ES3_mN6thrust23THRUST_200600_302600_NS6detail15normal_iteratorINSA_10device_ptrIsEEEEPS6_NSA_18transform_iteratorINSB_9not_fun_tI7is_trueIsEEENSC_INSD_IbEEEENSA_11use_defaultESO_EENS0_5tupleIJSF_S6_EEENSQ_IJSG_SG_EEES6_PlJS6_EEE10hipError_tPvRmT3_T4_T5_T6_T7_T9_mT8_P12ihipStream_tbDpT10_ENKUlT_T0_E_clISt17integral_constantIbLb1EES1D_EEDaS18_S19_EUlS18_E_NS1_11comp_targetILNS1_3genE9ELNS1_11target_archE1100ELNS1_3gpuE3ELNS1_3repE0EEENS1_30default_config_static_selectorELNS0_4arch9wavefront6targetE0EEEvT1_.private_seg_size, 0
	.set _ZN7rocprim17ROCPRIM_400000_NS6detail17trampoline_kernelINS0_14default_configENS1_25partition_config_selectorILNS1_17partition_subalgoE5EsNS0_10empty_typeEbEEZZNS1_14partition_implILS5_5ELb0ES3_mN6thrust23THRUST_200600_302600_NS6detail15normal_iteratorINSA_10device_ptrIsEEEEPS6_NSA_18transform_iteratorINSB_9not_fun_tI7is_trueIsEEENSC_INSD_IbEEEENSA_11use_defaultESO_EENS0_5tupleIJSF_S6_EEENSQ_IJSG_SG_EEES6_PlJS6_EEE10hipError_tPvRmT3_T4_T5_T6_T7_T9_mT8_P12ihipStream_tbDpT10_ENKUlT_T0_E_clISt17integral_constantIbLb1EES1D_EEDaS18_S19_EUlS18_E_NS1_11comp_targetILNS1_3genE9ELNS1_11target_archE1100ELNS1_3gpuE3ELNS1_3repE0EEENS1_30default_config_static_selectorELNS0_4arch9wavefront6targetE0EEEvT1_.uses_vcc, 0
	.set _ZN7rocprim17ROCPRIM_400000_NS6detail17trampoline_kernelINS0_14default_configENS1_25partition_config_selectorILNS1_17partition_subalgoE5EsNS0_10empty_typeEbEEZZNS1_14partition_implILS5_5ELb0ES3_mN6thrust23THRUST_200600_302600_NS6detail15normal_iteratorINSA_10device_ptrIsEEEEPS6_NSA_18transform_iteratorINSB_9not_fun_tI7is_trueIsEEENSC_INSD_IbEEEENSA_11use_defaultESO_EENS0_5tupleIJSF_S6_EEENSQ_IJSG_SG_EEES6_PlJS6_EEE10hipError_tPvRmT3_T4_T5_T6_T7_T9_mT8_P12ihipStream_tbDpT10_ENKUlT_T0_E_clISt17integral_constantIbLb1EES1D_EEDaS18_S19_EUlS18_E_NS1_11comp_targetILNS1_3genE9ELNS1_11target_archE1100ELNS1_3gpuE3ELNS1_3repE0EEENS1_30default_config_static_selectorELNS0_4arch9wavefront6targetE0EEEvT1_.uses_flat_scratch, 0
	.set _ZN7rocprim17ROCPRIM_400000_NS6detail17trampoline_kernelINS0_14default_configENS1_25partition_config_selectorILNS1_17partition_subalgoE5EsNS0_10empty_typeEbEEZZNS1_14partition_implILS5_5ELb0ES3_mN6thrust23THRUST_200600_302600_NS6detail15normal_iteratorINSA_10device_ptrIsEEEEPS6_NSA_18transform_iteratorINSB_9not_fun_tI7is_trueIsEEENSC_INSD_IbEEEENSA_11use_defaultESO_EENS0_5tupleIJSF_S6_EEENSQ_IJSG_SG_EEES6_PlJS6_EEE10hipError_tPvRmT3_T4_T5_T6_T7_T9_mT8_P12ihipStream_tbDpT10_ENKUlT_T0_E_clISt17integral_constantIbLb1EES1D_EEDaS18_S19_EUlS18_E_NS1_11comp_targetILNS1_3genE9ELNS1_11target_archE1100ELNS1_3gpuE3ELNS1_3repE0EEENS1_30default_config_static_selectorELNS0_4arch9wavefront6targetE0EEEvT1_.has_dyn_sized_stack, 0
	.set _ZN7rocprim17ROCPRIM_400000_NS6detail17trampoline_kernelINS0_14default_configENS1_25partition_config_selectorILNS1_17partition_subalgoE5EsNS0_10empty_typeEbEEZZNS1_14partition_implILS5_5ELb0ES3_mN6thrust23THRUST_200600_302600_NS6detail15normal_iteratorINSA_10device_ptrIsEEEEPS6_NSA_18transform_iteratorINSB_9not_fun_tI7is_trueIsEEENSC_INSD_IbEEEENSA_11use_defaultESO_EENS0_5tupleIJSF_S6_EEENSQ_IJSG_SG_EEES6_PlJS6_EEE10hipError_tPvRmT3_T4_T5_T6_T7_T9_mT8_P12ihipStream_tbDpT10_ENKUlT_T0_E_clISt17integral_constantIbLb1EES1D_EEDaS18_S19_EUlS18_E_NS1_11comp_targetILNS1_3genE9ELNS1_11target_archE1100ELNS1_3gpuE3ELNS1_3repE0EEENS1_30default_config_static_selectorELNS0_4arch9wavefront6targetE0EEEvT1_.has_recursion, 0
	.set _ZN7rocprim17ROCPRIM_400000_NS6detail17trampoline_kernelINS0_14default_configENS1_25partition_config_selectorILNS1_17partition_subalgoE5EsNS0_10empty_typeEbEEZZNS1_14partition_implILS5_5ELb0ES3_mN6thrust23THRUST_200600_302600_NS6detail15normal_iteratorINSA_10device_ptrIsEEEEPS6_NSA_18transform_iteratorINSB_9not_fun_tI7is_trueIsEEENSC_INSD_IbEEEENSA_11use_defaultESO_EENS0_5tupleIJSF_S6_EEENSQ_IJSG_SG_EEES6_PlJS6_EEE10hipError_tPvRmT3_T4_T5_T6_T7_T9_mT8_P12ihipStream_tbDpT10_ENKUlT_T0_E_clISt17integral_constantIbLb1EES1D_EEDaS18_S19_EUlS18_E_NS1_11comp_targetILNS1_3genE9ELNS1_11target_archE1100ELNS1_3gpuE3ELNS1_3repE0EEENS1_30default_config_static_selectorELNS0_4arch9wavefront6targetE0EEEvT1_.has_indirect_call, 0
	.section	.AMDGPU.csdata,"",@progbits
; Kernel info:
; codeLenInByte = 0
; TotalNumSgprs: 0
; NumVgprs: 0
; ScratchSize: 0
; MemoryBound: 0
; FloatMode: 240
; IeeeMode: 1
; LDSByteSize: 0 bytes/workgroup (compile time only)
; SGPRBlocks: 0
; VGPRBlocks: 0
; NumSGPRsForWavesPerEU: 1
; NumVGPRsForWavesPerEU: 1
; Occupancy: 16
; WaveLimiterHint : 0
; COMPUTE_PGM_RSRC2:SCRATCH_EN: 0
; COMPUTE_PGM_RSRC2:USER_SGPR: 2
; COMPUTE_PGM_RSRC2:TRAP_HANDLER: 0
; COMPUTE_PGM_RSRC2:TGID_X_EN: 1
; COMPUTE_PGM_RSRC2:TGID_Y_EN: 0
; COMPUTE_PGM_RSRC2:TGID_Z_EN: 0
; COMPUTE_PGM_RSRC2:TIDIG_COMP_CNT: 0
	.section	.text._ZN7rocprim17ROCPRIM_400000_NS6detail17trampoline_kernelINS0_14default_configENS1_25partition_config_selectorILNS1_17partition_subalgoE5EsNS0_10empty_typeEbEEZZNS1_14partition_implILS5_5ELb0ES3_mN6thrust23THRUST_200600_302600_NS6detail15normal_iteratorINSA_10device_ptrIsEEEEPS6_NSA_18transform_iteratorINSB_9not_fun_tI7is_trueIsEEENSC_INSD_IbEEEENSA_11use_defaultESO_EENS0_5tupleIJSF_S6_EEENSQ_IJSG_SG_EEES6_PlJS6_EEE10hipError_tPvRmT3_T4_T5_T6_T7_T9_mT8_P12ihipStream_tbDpT10_ENKUlT_T0_E_clISt17integral_constantIbLb1EES1D_EEDaS18_S19_EUlS18_E_NS1_11comp_targetILNS1_3genE8ELNS1_11target_archE1030ELNS1_3gpuE2ELNS1_3repE0EEENS1_30default_config_static_selectorELNS0_4arch9wavefront6targetE0EEEvT1_,"axG",@progbits,_ZN7rocprim17ROCPRIM_400000_NS6detail17trampoline_kernelINS0_14default_configENS1_25partition_config_selectorILNS1_17partition_subalgoE5EsNS0_10empty_typeEbEEZZNS1_14partition_implILS5_5ELb0ES3_mN6thrust23THRUST_200600_302600_NS6detail15normal_iteratorINSA_10device_ptrIsEEEEPS6_NSA_18transform_iteratorINSB_9not_fun_tI7is_trueIsEEENSC_INSD_IbEEEENSA_11use_defaultESO_EENS0_5tupleIJSF_S6_EEENSQ_IJSG_SG_EEES6_PlJS6_EEE10hipError_tPvRmT3_T4_T5_T6_T7_T9_mT8_P12ihipStream_tbDpT10_ENKUlT_T0_E_clISt17integral_constantIbLb1EES1D_EEDaS18_S19_EUlS18_E_NS1_11comp_targetILNS1_3genE8ELNS1_11target_archE1030ELNS1_3gpuE2ELNS1_3repE0EEENS1_30default_config_static_selectorELNS0_4arch9wavefront6targetE0EEEvT1_,comdat
	.protected	_ZN7rocprim17ROCPRIM_400000_NS6detail17trampoline_kernelINS0_14default_configENS1_25partition_config_selectorILNS1_17partition_subalgoE5EsNS0_10empty_typeEbEEZZNS1_14partition_implILS5_5ELb0ES3_mN6thrust23THRUST_200600_302600_NS6detail15normal_iteratorINSA_10device_ptrIsEEEEPS6_NSA_18transform_iteratorINSB_9not_fun_tI7is_trueIsEEENSC_INSD_IbEEEENSA_11use_defaultESO_EENS0_5tupleIJSF_S6_EEENSQ_IJSG_SG_EEES6_PlJS6_EEE10hipError_tPvRmT3_T4_T5_T6_T7_T9_mT8_P12ihipStream_tbDpT10_ENKUlT_T0_E_clISt17integral_constantIbLb1EES1D_EEDaS18_S19_EUlS18_E_NS1_11comp_targetILNS1_3genE8ELNS1_11target_archE1030ELNS1_3gpuE2ELNS1_3repE0EEENS1_30default_config_static_selectorELNS0_4arch9wavefront6targetE0EEEvT1_ ; -- Begin function _ZN7rocprim17ROCPRIM_400000_NS6detail17trampoline_kernelINS0_14default_configENS1_25partition_config_selectorILNS1_17partition_subalgoE5EsNS0_10empty_typeEbEEZZNS1_14partition_implILS5_5ELb0ES3_mN6thrust23THRUST_200600_302600_NS6detail15normal_iteratorINSA_10device_ptrIsEEEEPS6_NSA_18transform_iteratorINSB_9not_fun_tI7is_trueIsEEENSC_INSD_IbEEEENSA_11use_defaultESO_EENS0_5tupleIJSF_S6_EEENSQ_IJSG_SG_EEES6_PlJS6_EEE10hipError_tPvRmT3_T4_T5_T6_T7_T9_mT8_P12ihipStream_tbDpT10_ENKUlT_T0_E_clISt17integral_constantIbLb1EES1D_EEDaS18_S19_EUlS18_E_NS1_11comp_targetILNS1_3genE8ELNS1_11target_archE1030ELNS1_3gpuE2ELNS1_3repE0EEENS1_30default_config_static_selectorELNS0_4arch9wavefront6targetE0EEEvT1_
	.globl	_ZN7rocprim17ROCPRIM_400000_NS6detail17trampoline_kernelINS0_14default_configENS1_25partition_config_selectorILNS1_17partition_subalgoE5EsNS0_10empty_typeEbEEZZNS1_14partition_implILS5_5ELb0ES3_mN6thrust23THRUST_200600_302600_NS6detail15normal_iteratorINSA_10device_ptrIsEEEEPS6_NSA_18transform_iteratorINSB_9not_fun_tI7is_trueIsEEENSC_INSD_IbEEEENSA_11use_defaultESO_EENS0_5tupleIJSF_S6_EEENSQ_IJSG_SG_EEES6_PlJS6_EEE10hipError_tPvRmT3_T4_T5_T6_T7_T9_mT8_P12ihipStream_tbDpT10_ENKUlT_T0_E_clISt17integral_constantIbLb1EES1D_EEDaS18_S19_EUlS18_E_NS1_11comp_targetILNS1_3genE8ELNS1_11target_archE1030ELNS1_3gpuE2ELNS1_3repE0EEENS1_30default_config_static_selectorELNS0_4arch9wavefront6targetE0EEEvT1_
	.p2align	8
	.type	_ZN7rocprim17ROCPRIM_400000_NS6detail17trampoline_kernelINS0_14default_configENS1_25partition_config_selectorILNS1_17partition_subalgoE5EsNS0_10empty_typeEbEEZZNS1_14partition_implILS5_5ELb0ES3_mN6thrust23THRUST_200600_302600_NS6detail15normal_iteratorINSA_10device_ptrIsEEEEPS6_NSA_18transform_iteratorINSB_9not_fun_tI7is_trueIsEEENSC_INSD_IbEEEENSA_11use_defaultESO_EENS0_5tupleIJSF_S6_EEENSQ_IJSG_SG_EEES6_PlJS6_EEE10hipError_tPvRmT3_T4_T5_T6_T7_T9_mT8_P12ihipStream_tbDpT10_ENKUlT_T0_E_clISt17integral_constantIbLb1EES1D_EEDaS18_S19_EUlS18_E_NS1_11comp_targetILNS1_3genE8ELNS1_11target_archE1030ELNS1_3gpuE2ELNS1_3repE0EEENS1_30default_config_static_selectorELNS0_4arch9wavefront6targetE0EEEvT1_,@function
_ZN7rocprim17ROCPRIM_400000_NS6detail17trampoline_kernelINS0_14default_configENS1_25partition_config_selectorILNS1_17partition_subalgoE5EsNS0_10empty_typeEbEEZZNS1_14partition_implILS5_5ELb0ES3_mN6thrust23THRUST_200600_302600_NS6detail15normal_iteratorINSA_10device_ptrIsEEEEPS6_NSA_18transform_iteratorINSB_9not_fun_tI7is_trueIsEEENSC_INSD_IbEEEENSA_11use_defaultESO_EENS0_5tupleIJSF_S6_EEENSQ_IJSG_SG_EEES6_PlJS6_EEE10hipError_tPvRmT3_T4_T5_T6_T7_T9_mT8_P12ihipStream_tbDpT10_ENKUlT_T0_E_clISt17integral_constantIbLb1EES1D_EEDaS18_S19_EUlS18_E_NS1_11comp_targetILNS1_3genE8ELNS1_11target_archE1030ELNS1_3gpuE2ELNS1_3repE0EEENS1_30default_config_static_selectorELNS0_4arch9wavefront6targetE0EEEvT1_: ; @_ZN7rocprim17ROCPRIM_400000_NS6detail17trampoline_kernelINS0_14default_configENS1_25partition_config_selectorILNS1_17partition_subalgoE5EsNS0_10empty_typeEbEEZZNS1_14partition_implILS5_5ELb0ES3_mN6thrust23THRUST_200600_302600_NS6detail15normal_iteratorINSA_10device_ptrIsEEEEPS6_NSA_18transform_iteratorINSB_9not_fun_tI7is_trueIsEEENSC_INSD_IbEEEENSA_11use_defaultESO_EENS0_5tupleIJSF_S6_EEENSQ_IJSG_SG_EEES6_PlJS6_EEE10hipError_tPvRmT3_T4_T5_T6_T7_T9_mT8_P12ihipStream_tbDpT10_ENKUlT_T0_E_clISt17integral_constantIbLb1EES1D_EEDaS18_S19_EUlS18_E_NS1_11comp_targetILNS1_3genE8ELNS1_11target_archE1030ELNS1_3gpuE2ELNS1_3repE0EEENS1_30default_config_static_selectorELNS0_4arch9wavefront6targetE0EEEvT1_
; %bb.0:
	.section	.rodata,"a",@progbits
	.p2align	6, 0x0
	.amdhsa_kernel _ZN7rocprim17ROCPRIM_400000_NS6detail17trampoline_kernelINS0_14default_configENS1_25partition_config_selectorILNS1_17partition_subalgoE5EsNS0_10empty_typeEbEEZZNS1_14partition_implILS5_5ELb0ES3_mN6thrust23THRUST_200600_302600_NS6detail15normal_iteratorINSA_10device_ptrIsEEEEPS6_NSA_18transform_iteratorINSB_9not_fun_tI7is_trueIsEEENSC_INSD_IbEEEENSA_11use_defaultESO_EENS0_5tupleIJSF_S6_EEENSQ_IJSG_SG_EEES6_PlJS6_EEE10hipError_tPvRmT3_T4_T5_T6_T7_T9_mT8_P12ihipStream_tbDpT10_ENKUlT_T0_E_clISt17integral_constantIbLb1EES1D_EEDaS18_S19_EUlS18_E_NS1_11comp_targetILNS1_3genE8ELNS1_11target_archE1030ELNS1_3gpuE2ELNS1_3repE0EEENS1_30default_config_static_selectorELNS0_4arch9wavefront6targetE0EEEvT1_
		.amdhsa_group_segment_fixed_size 0
		.amdhsa_private_segment_fixed_size 0
		.amdhsa_kernarg_size 136
		.amdhsa_user_sgpr_count 2
		.amdhsa_user_sgpr_dispatch_ptr 0
		.amdhsa_user_sgpr_queue_ptr 0
		.amdhsa_user_sgpr_kernarg_segment_ptr 1
		.amdhsa_user_sgpr_dispatch_id 0
		.amdhsa_user_sgpr_private_segment_size 0
		.amdhsa_wavefront_size32 1
		.amdhsa_uses_dynamic_stack 0
		.amdhsa_enable_private_segment 0
		.amdhsa_system_sgpr_workgroup_id_x 1
		.amdhsa_system_sgpr_workgroup_id_y 0
		.amdhsa_system_sgpr_workgroup_id_z 0
		.amdhsa_system_sgpr_workgroup_info 0
		.amdhsa_system_vgpr_workitem_id 0
		.amdhsa_next_free_vgpr 1
		.amdhsa_next_free_sgpr 1
		.amdhsa_reserve_vcc 0
		.amdhsa_float_round_mode_32 0
		.amdhsa_float_round_mode_16_64 0
		.amdhsa_float_denorm_mode_32 3
		.amdhsa_float_denorm_mode_16_64 3
		.amdhsa_fp16_overflow 0
		.amdhsa_workgroup_processor_mode 1
		.amdhsa_memory_ordered 1
		.amdhsa_forward_progress 1
		.amdhsa_inst_pref_size 0
		.amdhsa_round_robin_scheduling 0
		.amdhsa_exception_fp_ieee_invalid_op 0
		.amdhsa_exception_fp_denorm_src 0
		.amdhsa_exception_fp_ieee_div_zero 0
		.amdhsa_exception_fp_ieee_overflow 0
		.amdhsa_exception_fp_ieee_underflow 0
		.amdhsa_exception_fp_ieee_inexact 0
		.amdhsa_exception_int_div_zero 0
	.end_amdhsa_kernel
	.section	.text._ZN7rocprim17ROCPRIM_400000_NS6detail17trampoline_kernelINS0_14default_configENS1_25partition_config_selectorILNS1_17partition_subalgoE5EsNS0_10empty_typeEbEEZZNS1_14partition_implILS5_5ELb0ES3_mN6thrust23THRUST_200600_302600_NS6detail15normal_iteratorINSA_10device_ptrIsEEEEPS6_NSA_18transform_iteratorINSB_9not_fun_tI7is_trueIsEEENSC_INSD_IbEEEENSA_11use_defaultESO_EENS0_5tupleIJSF_S6_EEENSQ_IJSG_SG_EEES6_PlJS6_EEE10hipError_tPvRmT3_T4_T5_T6_T7_T9_mT8_P12ihipStream_tbDpT10_ENKUlT_T0_E_clISt17integral_constantIbLb1EES1D_EEDaS18_S19_EUlS18_E_NS1_11comp_targetILNS1_3genE8ELNS1_11target_archE1030ELNS1_3gpuE2ELNS1_3repE0EEENS1_30default_config_static_selectorELNS0_4arch9wavefront6targetE0EEEvT1_,"axG",@progbits,_ZN7rocprim17ROCPRIM_400000_NS6detail17trampoline_kernelINS0_14default_configENS1_25partition_config_selectorILNS1_17partition_subalgoE5EsNS0_10empty_typeEbEEZZNS1_14partition_implILS5_5ELb0ES3_mN6thrust23THRUST_200600_302600_NS6detail15normal_iteratorINSA_10device_ptrIsEEEEPS6_NSA_18transform_iteratorINSB_9not_fun_tI7is_trueIsEEENSC_INSD_IbEEEENSA_11use_defaultESO_EENS0_5tupleIJSF_S6_EEENSQ_IJSG_SG_EEES6_PlJS6_EEE10hipError_tPvRmT3_T4_T5_T6_T7_T9_mT8_P12ihipStream_tbDpT10_ENKUlT_T0_E_clISt17integral_constantIbLb1EES1D_EEDaS18_S19_EUlS18_E_NS1_11comp_targetILNS1_3genE8ELNS1_11target_archE1030ELNS1_3gpuE2ELNS1_3repE0EEENS1_30default_config_static_selectorELNS0_4arch9wavefront6targetE0EEEvT1_,comdat
.Lfunc_end2572:
	.size	_ZN7rocprim17ROCPRIM_400000_NS6detail17trampoline_kernelINS0_14default_configENS1_25partition_config_selectorILNS1_17partition_subalgoE5EsNS0_10empty_typeEbEEZZNS1_14partition_implILS5_5ELb0ES3_mN6thrust23THRUST_200600_302600_NS6detail15normal_iteratorINSA_10device_ptrIsEEEEPS6_NSA_18transform_iteratorINSB_9not_fun_tI7is_trueIsEEENSC_INSD_IbEEEENSA_11use_defaultESO_EENS0_5tupleIJSF_S6_EEENSQ_IJSG_SG_EEES6_PlJS6_EEE10hipError_tPvRmT3_T4_T5_T6_T7_T9_mT8_P12ihipStream_tbDpT10_ENKUlT_T0_E_clISt17integral_constantIbLb1EES1D_EEDaS18_S19_EUlS18_E_NS1_11comp_targetILNS1_3genE8ELNS1_11target_archE1030ELNS1_3gpuE2ELNS1_3repE0EEENS1_30default_config_static_selectorELNS0_4arch9wavefront6targetE0EEEvT1_, .Lfunc_end2572-_ZN7rocprim17ROCPRIM_400000_NS6detail17trampoline_kernelINS0_14default_configENS1_25partition_config_selectorILNS1_17partition_subalgoE5EsNS0_10empty_typeEbEEZZNS1_14partition_implILS5_5ELb0ES3_mN6thrust23THRUST_200600_302600_NS6detail15normal_iteratorINSA_10device_ptrIsEEEEPS6_NSA_18transform_iteratorINSB_9not_fun_tI7is_trueIsEEENSC_INSD_IbEEEENSA_11use_defaultESO_EENS0_5tupleIJSF_S6_EEENSQ_IJSG_SG_EEES6_PlJS6_EEE10hipError_tPvRmT3_T4_T5_T6_T7_T9_mT8_P12ihipStream_tbDpT10_ENKUlT_T0_E_clISt17integral_constantIbLb1EES1D_EEDaS18_S19_EUlS18_E_NS1_11comp_targetILNS1_3genE8ELNS1_11target_archE1030ELNS1_3gpuE2ELNS1_3repE0EEENS1_30default_config_static_selectorELNS0_4arch9wavefront6targetE0EEEvT1_
                                        ; -- End function
	.set _ZN7rocprim17ROCPRIM_400000_NS6detail17trampoline_kernelINS0_14default_configENS1_25partition_config_selectorILNS1_17partition_subalgoE5EsNS0_10empty_typeEbEEZZNS1_14partition_implILS5_5ELb0ES3_mN6thrust23THRUST_200600_302600_NS6detail15normal_iteratorINSA_10device_ptrIsEEEEPS6_NSA_18transform_iteratorINSB_9not_fun_tI7is_trueIsEEENSC_INSD_IbEEEENSA_11use_defaultESO_EENS0_5tupleIJSF_S6_EEENSQ_IJSG_SG_EEES6_PlJS6_EEE10hipError_tPvRmT3_T4_T5_T6_T7_T9_mT8_P12ihipStream_tbDpT10_ENKUlT_T0_E_clISt17integral_constantIbLb1EES1D_EEDaS18_S19_EUlS18_E_NS1_11comp_targetILNS1_3genE8ELNS1_11target_archE1030ELNS1_3gpuE2ELNS1_3repE0EEENS1_30default_config_static_selectorELNS0_4arch9wavefront6targetE0EEEvT1_.num_vgpr, 0
	.set _ZN7rocprim17ROCPRIM_400000_NS6detail17trampoline_kernelINS0_14default_configENS1_25partition_config_selectorILNS1_17partition_subalgoE5EsNS0_10empty_typeEbEEZZNS1_14partition_implILS5_5ELb0ES3_mN6thrust23THRUST_200600_302600_NS6detail15normal_iteratorINSA_10device_ptrIsEEEEPS6_NSA_18transform_iteratorINSB_9not_fun_tI7is_trueIsEEENSC_INSD_IbEEEENSA_11use_defaultESO_EENS0_5tupleIJSF_S6_EEENSQ_IJSG_SG_EEES6_PlJS6_EEE10hipError_tPvRmT3_T4_T5_T6_T7_T9_mT8_P12ihipStream_tbDpT10_ENKUlT_T0_E_clISt17integral_constantIbLb1EES1D_EEDaS18_S19_EUlS18_E_NS1_11comp_targetILNS1_3genE8ELNS1_11target_archE1030ELNS1_3gpuE2ELNS1_3repE0EEENS1_30default_config_static_selectorELNS0_4arch9wavefront6targetE0EEEvT1_.num_agpr, 0
	.set _ZN7rocprim17ROCPRIM_400000_NS6detail17trampoline_kernelINS0_14default_configENS1_25partition_config_selectorILNS1_17partition_subalgoE5EsNS0_10empty_typeEbEEZZNS1_14partition_implILS5_5ELb0ES3_mN6thrust23THRUST_200600_302600_NS6detail15normal_iteratorINSA_10device_ptrIsEEEEPS6_NSA_18transform_iteratorINSB_9not_fun_tI7is_trueIsEEENSC_INSD_IbEEEENSA_11use_defaultESO_EENS0_5tupleIJSF_S6_EEENSQ_IJSG_SG_EEES6_PlJS6_EEE10hipError_tPvRmT3_T4_T5_T6_T7_T9_mT8_P12ihipStream_tbDpT10_ENKUlT_T0_E_clISt17integral_constantIbLb1EES1D_EEDaS18_S19_EUlS18_E_NS1_11comp_targetILNS1_3genE8ELNS1_11target_archE1030ELNS1_3gpuE2ELNS1_3repE0EEENS1_30default_config_static_selectorELNS0_4arch9wavefront6targetE0EEEvT1_.numbered_sgpr, 0
	.set _ZN7rocprim17ROCPRIM_400000_NS6detail17trampoline_kernelINS0_14default_configENS1_25partition_config_selectorILNS1_17partition_subalgoE5EsNS0_10empty_typeEbEEZZNS1_14partition_implILS5_5ELb0ES3_mN6thrust23THRUST_200600_302600_NS6detail15normal_iteratorINSA_10device_ptrIsEEEEPS6_NSA_18transform_iteratorINSB_9not_fun_tI7is_trueIsEEENSC_INSD_IbEEEENSA_11use_defaultESO_EENS0_5tupleIJSF_S6_EEENSQ_IJSG_SG_EEES6_PlJS6_EEE10hipError_tPvRmT3_T4_T5_T6_T7_T9_mT8_P12ihipStream_tbDpT10_ENKUlT_T0_E_clISt17integral_constantIbLb1EES1D_EEDaS18_S19_EUlS18_E_NS1_11comp_targetILNS1_3genE8ELNS1_11target_archE1030ELNS1_3gpuE2ELNS1_3repE0EEENS1_30default_config_static_selectorELNS0_4arch9wavefront6targetE0EEEvT1_.num_named_barrier, 0
	.set _ZN7rocprim17ROCPRIM_400000_NS6detail17trampoline_kernelINS0_14default_configENS1_25partition_config_selectorILNS1_17partition_subalgoE5EsNS0_10empty_typeEbEEZZNS1_14partition_implILS5_5ELb0ES3_mN6thrust23THRUST_200600_302600_NS6detail15normal_iteratorINSA_10device_ptrIsEEEEPS6_NSA_18transform_iteratorINSB_9not_fun_tI7is_trueIsEEENSC_INSD_IbEEEENSA_11use_defaultESO_EENS0_5tupleIJSF_S6_EEENSQ_IJSG_SG_EEES6_PlJS6_EEE10hipError_tPvRmT3_T4_T5_T6_T7_T9_mT8_P12ihipStream_tbDpT10_ENKUlT_T0_E_clISt17integral_constantIbLb1EES1D_EEDaS18_S19_EUlS18_E_NS1_11comp_targetILNS1_3genE8ELNS1_11target_archE1030ELNS1_3gpuE2ELNS1_3repE0EEENS1_30default_config_static_selectorELNS0_4arch9wavefront6targetE0EEEvT1_.private_seg_size, 0
	.set _ZN7rocprim17ROCPRIM_400000_NS6detail17trampoline_kernelINS0_14default_configENS1_25partition_config_selectorILNS1_17partition_subalgoE5EsNS0_10empty_typeEbEEZZNS1_14partition_implILS5_5ELb0ES3_mN6thrust23THRUST_200600_302600_NS6detail15normal_iteratorINSA_10device_ptrIsEEEEPS6_NSA_18transform_iteratorINSB_9not_fun_tI7is_trueIsEEENSC_INSD_IbEEEENSA_11use_defaultESO_EENS0_5tupleIJSF_S6_EEENSQ_IJSG_SG_EEES6_PlJS6_EEE10hipError_tPvRmT3_T4_T5_T6_T7_T9_mT8_P12ihipStream_tbDpT10_ENKUlT_T0_E_clISt17integral_constantIbLb1EES1D_EEDaS18_S19_EUlS18_E_NS1_11comp_targetILNS1_3genE8ELNS1_11target_archE1030ELNS1_3gpuE2ELNS1_3repE0EEENS1_30default_config_static_selectorELNS0_4arch9wavefront6targetE0EEEvT1_.uses_vcc, 0
	.set _ZN7rocprim17ROCPRIM_400000_NS6detail17trampoline_kernelINS0_14default_configENS1_25partition_config_selectorILNS1_17partition_subalgoE5EsNS0_10empty_typeEbEEZZNS1_14partition_implILS5_5ELb0ES3_mN6thrust23THRUST_200600_302600_NS6detail15normal_iteratorINSA_10device_ptrIsEEEEPS6_NSA_18transform_iteratorINSB_9not_fun_tI7is_trueIsEEENSC_INSD_IbEEEENSA_11use_defaultESO_EENS0_5tupleIJSF_S6_EEENSQ_IJSG_SG_EEES6_PlJS6_EEE10hipError_tPvRmT3_T4_T5_T6_T7_T9_mT8_P12ihipStream_tbDpT10_ENKUlT_T0_E_clISt17integral_constantIbLb1EES1D_EEDaS18_S19_EUlS18_E_NS1_11comp_targetILNS1_3genE8ELNS1_11target_archE1030ELNS1_3gpuE2ELNS1_3repE0EEENS1_30default_config_static_selectorELNS0_4arch9wavefront6targetE0EEEvT1_.uses_flat_scratch, 0
	.set _ZN7rocprim17ROCPRIM_400000_NS6detail17trampoline_kernelINS0_14default_configENS1_25partition_config_selectorILNS1_17partition_subalgoE5EsNS0_10empty_typeEbEEZZNS1_14partition_implILS5_5ELb0ES3_mN6thrust23THRUST_200600_302600_NS6detail15normal_iteratorINSA_10device_ptrIsEEEEPS6_NSA_18transform_iteratorINSB_9not_fun_tI7is_trueIsEEENSC_INSD_IbEEEENSA_11use_defaultESO_EENS0_5tupleIJSF_S6_EEENSQ_IJSG_SG_EEES6_PlJS6_EEE10hipError_tPvRmT3_T4_T5_T6_T7_T9_mT8_P12ihipStream_tbDpT10_ENKUlT_T0_E_clISt17integral_constantIbLb1EES1D_EEDaS18_S19_EUlS18_E_NS1_11comp_targetILNS1_3genE8ELNS1_11target_archE1030ELNS1_3gpuE2ELNS1_3repE0EEENS1_30default_config_static_selectorELNS0_4arch9wavefront6targetE0EEEvT1_.has_dyn_sized_stack, 0
	.set _ZN7rocprim17ROCPRIM_400000_NS6detail17trampoline_kernelINS0_14default_configENS1_25partition_config_selectorILNS1_17partition_subalgoE5EsNS0_10empty_typeEbEEZZNS1_14partition_implILS5_5ELb0ES3_mN6thrust23THRUST_200600_302600_NS6detail15normal_iteratorINSA_10device_ptrIsEEEEPS6_NSA_18transform_iteratorINSB_9not_fun_tI7is_trueIsEEENSC_INSD_IbEEEENSA_11use_defaultESO_EENS0_5tupleIJSF_S6_EEENSQ_IJSG_SG_EEES6_PlJS6_EEE10hipError_tPvRmT3_T4_T5_T6_T7_T9_mT8_P12ihipStream_tbDpT10_ENKUlT_T0_E_clISt17integral_constantIbLb1EES1D_EEDaS18_S19_EUlS18_E_NS1_11comp_targetILNS1_3genE8ELNS1_11target_archE1030ELNS1_3gpuE2ELNS1_3repE0EEENS1_30default_config_static_selectorELNS0_4arch9wavefront6targetE0EEEvT1_.has_recursion, 0
	.set _ZN7rocprim17ROCPRIM_400000_NS6detail17trampoline_kernelINS0_14default_configENS1_25partition_config_selectorILNS1_17partition_subalgoE5EsNS0_10empty_typeEbEEZZNS1_14partition_implILS5_5ELb0ES3_mN6thrust23THRUST_200600_302600_NS6detail15normal_iteratorINSA_10device_ptrIsEEEEPS6_NSA_18transform_iteratorINSB_9not_fun_tI7is_trueIsEEENSC_INSD_IbEEEENSA_11use_defaultESO_EENS0_5tupleIJSF_S6_EEENSQ_IJSG_SG_EEES6_PlJS6_EEE10hipError_tPvRmT3_T4_T5_T6_T7_T9_mT8_P12ihipStream_tbDpT10_ENKUlT_T0_E_clISt17integral_constantIbLb1EES1D_EEDaS18_S19_EUlS18_E_NS1_11comp_targetILNS1_3genE8ELNS1_11target_archE1030ELNS1_3gpuE2ELNS1_3repE0EEENS1_30default_config_static_selectorELNS0_4arch9wavefront6targetE0EEEvT1_.has_indirect_call, 0
	.section	.AMDGPU.csdata,"",@progbits
; Kernel info:
; codeLenInByte = 0
; TotalNumSgprs: 0
; NumVgprs: 0
; ScratchSize: 0
; MemoryBound: 0
; FloatMode: 240
; IeeeMode: 1
; LDSByteSize: 0 bytes/workgroup (compile time only)
; SGPRBlocks: 0
; VGPRBlocks: 0
; NumSGPRsForWavesPerEU: 1
; NumVGPRsForWavesPerEU: 1
; Occupancy: 16
; WaveLimiterHint : 0
; COMPUTE_PGM_RSRC2:SCRATCH_EN: 0
; COMPUTE_PGM_RSRC2:USER_SGPR: 2
; COMPUTE_PGM_RSRC2:TRAP_HANDLER: 0
; COMPUTE_PGM_RSRC2:TGID_X_EN: 1
; COMPUTE_PGM_RSRC2:TGID_Y_EN: 0
; COMPUTE_PGM_RSRC2:TGID_Z_EN: 0
; COMPUTE_PGM_RSRC2:TIDIG_COMP_CNT: 0
	.section	.text._ZN7rocprim17ROCPRIM_400000_NS6detail17trampoline_kernelINS0_14default_configENS1_25partition_config_selectorILNS1_17partition_subalgoE5EsNS0_10empty_typeEbEEZZNS1_14partition_implILS5_5ELb0ES3_mN6thrust23THRUST_200600_302600_NS6detail15normal_iteratorINSA_10device_ptrIsEEEEPS6_NSA_18transform_iteratorINSB_9not_fun_tI7is_trueIsEEENSC_INSD_IbEEEENSA_11use_defaultESO_EENS0_5tupleIJSF_S6_EEENSQ_IJSG_SG_EEES6_PlJS6_EEE10hipError_tPvRmT3_T4_T5_T6_T7_T9_mT8_P12ihipStream_tbDpT10_ENKUlT_T0_E_clISt17integral_constantIbLb1EES1C_IbLb0EEEEDaS18_S19_EUlS18_E_NS1_11comp_targetILNS1_3genE0ELNS1_11target_archE4294967295ELNS1_3gpuE0ELNS1_3repE0EEENS1_30default_config_static_selectorELNS0_4arch9wavefront6targetE0EEEvT1_,"axG",@progbits,_ZN7rocprim17ROCPRIM_400000_NS6detail17trampoline_kernelINS0_14default_configENS1_25partition_config_selectorILNS1_17partition_subalgoE5EsNS0_10empty_typeEbEEZZNS1_14partition_implILS5_5ELb0ES3_mN6thrust23THRUST_200600_302600_NS6detail15normal_iteratorINSA_10device_ptrIsEEEEPS6_NSA_18transform_iteratorINSB_9not_fun_tI7is_trueIsEEENSC_INSD_IbEEEENSA_11use_defaultESO_EENS0_5tupleIJSF_S6_EEENSQ_IJSG_SG_EEES6_PlJS6_EEE10hipError_tPvRmT3_T4_T5_T6_T7_T9_mT8_P12ihipStream_tbDpT10_ENKUlT_T0_E_clISt17integral_constantIbLb1EES1C_IbLb0EEEEDaS18_S19_EUlS18_E_NS1_11comp_targetILNS1_3genE0ELNS1_11target_archE4294967295ELNS1_3gpuE0ELNS1_3repE0EEENS1_30default_config_static_selectorELNS0_4arch9wavefront6targetE0EEEvT1_,comdat
	.protected	_ZN7rocprim17ROCPRIM_400000_NS6detail17trampoline_kernelINS0_14default_configENS1_25partition_config_selectorILNS1_17partition_subalgoE5EsNS0_10empty_typeEbEEZZNS1_14partition_implILS5_5ELb0ES3_mN6thrust23THRUST_200600_302600_NS6detail15normal_iteratorINSA_10device_ptrIsEEEEPS6_NSA_18transform_iteratorINSB_9not_fun_tI7is_trueIsEEENSC_INSD_IbEEEENSA_11use_defaultESO_EENS0_5tupleIJSF_S6_EEENSQ_IJSG_SG_EEES6_PlJS6_EEE10hipError_tPvRmT3_T4_T5_T6_T7_T9_mT8_P12ihipStream_tbDpT10_ENKUlT_T0_E_clISt17integral_constantIbLb1EES1C_IbLb0EEEEDaS18_S19_EUlS18_E_NS1_11comp_targetILNS1_3genE0ELNS1_11target_archE4294967295ELNS1_3gpuE0ELNS1_3repE0EEENS1_30default_config_static_selectorELNS0_4arch9wavefront6targetE0EEEvT1_ ; -- Begin function _ZN7rocprim17ROCPRIM_400000_NS6detail17trampoline_kernelINS0_14default_configENS1_25partition_config_selectorILNS1_17partition_subalgoE5EsNS0_10empty_typeEbEEZZNS1_14partition_implILS5_5ELb0ES3_mN6thrust23THRUST_200600_302600_NS6detail15normal_iteratorINSA_10device_ptrIsEEEEPS6_NSA_18transform_iteratorINSB_9not_fun_tI7is_trueIsEEENSC_INSD_IbEEEENSA_11use_defaultESO_EENS0_5tupleIJSF_S6_EEENSQ_IJSG_SG_EEES6_PlJS6_EEE10hipError_tPvRmT3_T4_T5_T6_T7_T9_mT8_P12ihipStream_tbDpT10_ENKUlT_T0_E_clISt17integral_constantIbLb1EES1C_IbLb0EEEEDaS18_S19_EUlS18_E_NS1_11comp_targetILNS1_3genE0ELNS1_11target_archE4294967295ELNS1_3gpuE0ELNS1_3repE0EEENS1_30default_config_static_selectorELNS0_4arch9wavefront6targetE0EEEvT1_
	.globl	_ZN7rocprim17ROCPRIM_400000_NS6detail17trampoline_kernelINS0_14default_configENS1_25partition_config_selectorILNS1_17partition_subalgoE5EsNS0_10empty_typeEbEEZZNS1_14partition_implILS5_5ELb0ES3_mN6thrust23THRUST_200600_302600_NS6detail15normal_iteratorINSA_10device_ptrIsEEEEPS6_NSA_18transform_iteratorINSB_9not_fun_tI7is_trueIsEEENSC_INSD_IbEEEENSA_11use_defaultESO_EENS0_5tupleIJSF_S6_EEENSQ_IJSG_SG_EEES6_PlJS6_EEE10hipError_tPvRmT3_T4_T5_T6_T7_T9_mT8_P12ihipStream_tbDpT10_ENKUlT_T0_E_clISt17integral_constantIbLb1EES1C_IbLb0EEEEDaS18_S19_EUlS18_E_NS1_11comp_targetILNS1_3genE0ELNS1_11target_archE4294967295ELNS1_3gpuE0ELNS1_3repE0EEENS1_30default_config_static_selectorELNS0_4arch9wavefront6targetE0EEEvT1_
	.p2align	8
	.type	_ZN7rocprim17ROCPRIM_400000_NS6detail17trampoline_kernelINS0_14default_configENS1_25partition_config_selectorILNS1_17partition_subalgoE5EsNS0_10empty_typeEbEEZZNS1_14partition_implILS5_5ELb0ES3_mN6thrust23THRUST_200600_302600_NS6detail15normal_iteratorINSA_10device_ptrIsEEEEPS6_NSA_18transform_iteratorINSB_9not_fun_tI7is_trueIsEEENSC_INSD_IbEEEENSA_11use_defaultESO_EENS0_5tupleIJSF_S6_EEENSQ_IJSG_SG_EEES6_PlJS6_EEE10hipError_tPvRmT3_T4_T5_T6_T7_T9_mT8_P12ihipStream_tbDpT10_ENKUlT_T0_E_clISt17integral_constantIbLb1EES1C_IbLb0EEEEDaS18_S19_EUlS18_E_NS1_11comp_targetILNS1_3genE0ELNS1_11target_archE4294967295ELNS1_3gpuE0ELNS1_3repE0EEENS1_30default_config_static_selectorELNS0_4arch9wavefront6targetE0EEEvT1_,@function
_ZN7rocprim17ROCPRIM_400000_NS6detail17trampoline_kernelINS0_14default_configENS1_25partition_config_selectorILNS1_17partition_subalgoE5EsNS0_10empty_typeEbEEZZNS1_14partition_implILS5_5ELb0ES3_mN6thrust23THRUST_200600_302600_NS6detail15normal_iteratorINSA_10device_ptrIsEEEEPS6_NSA_18transform_iteratorINSB_9not_fun_tI7is_trueIsEEENSC_INSD_IbEEEENSA_11use_defaultESO_EENS0_5tupleIJSF_S6_EEENSQ_IJSG_SG_EEES6_PlJS6_EEE10hipError_tPvRmT3_T4_T5_T6_T7_T9_mT8_P12ihipStream_tbDpT10_ENKUlT_T0_E_clISt17integral_constantIbLb1EES1C_IbLb0EEEEDaS18_S19_EUlS18_E_NS1_11comp_targetILNS1_3genE0ELNS1_11target_archE4294967295ELNS1_3gpuE0ELNS1_3repE0EEENS1_30default_config_static_selectorELNS0_4arch9wavefront6targetE0EEEvT1_: ; @_ZN7rocprim17ROCPRIM_400000_NS6detail17trampoline_kernelINS0_14default_configENS1_25partition_config_selectorILNS1_17partition_subalgoE5EsNS0_10empty_typeEbEEZZNS1_14partition_implILS5_5ELb0ES3_mN6thrust23THRUST_200600_302600_NS6detail15normal_iteratorINSA_10device_ptrIsEEEEPS6_NSA_18transform_iteratorINSB_9not_fun_tI7is_trueIsEEENSC_INSD_IbEEEENSA_11use_defaultESO_EENS0_5tupleIJSF_S6_EEENSQ_IJSG_SG_EEES6_PlJS6_EEE10hipError_tPvRmT3_T4_T5_T6_T7_T9_mT8_P12ihipStream_tbDpT10_ENKUlT_T0_E_clISt17integral_constantIbLb1EES1C_IbLb0EEEEDaS18_S19_EUlS18_E_NS1_11comp_targetILNS1_3genE0ELNS1_11target_archE4294967295ELNS1_3gpuE0ELNS1_3repE0EEENS1_30default_config_static_selectorELNS0_4arch9wavefront6targetE0EEEvT1_
; %bb.0:
	.section	.rodata,"a",@progbits
	.p2align	6, 0x0
	.amdhsa_kernel _ZN7rocprim17ROCPRIM_400000_NS6detail17trampoline_kernelINS0_14default_configENS1_25partition_config_selectorILNS1_17partition_subalgoE5EsNS0_10empty_typeEbEEZZNS1_14partition_implILS5_5ELb0ES3_mN6thrust23THRUST_200600_302600_NS6detail15normal_iteratorINSA_10device_ptrIsEEEEPS6_NSA_18transform_iteratorINSB_9not_fun_tI7is_trueIsEEENSC_INSD_IbEEEENSA_11use_defaultESO_EENS0_5tupleIJSF_S6_EEENSQ_IJSG_SG_EEES6_PlJS6_EEE10hipError_tPvRmT3_T4_T5_T6_T7_T9_mT8_P12ihipStream_tbDpT10_ENKUlT_T0_E_clISt17integral_constantIbLb1EES1C_IbLb0EEEEDaS18_S19_EUlS18_E_NS1_11comp_targetILNS1_3genE0ELNS1_11target_archE4294967295ELNS1_3gpuE0ELNS1_3repE0EEENS1_30default_config_static_selectorELNS0_4arch9wavefront6targetE0EEEvT1_
		.amdhsa_group_segment_fixed_size 0
		.amdhsa_private_segment_fixed_size 0
		.amdhsa_kernarg_size 120
		.amdhsa_user_sgpr_count 2
		.amdhsa_user_sgpr_dispatch_ptr 0
		.amdhsa_user_sgpr_queue_ptr 0
		.amdhsa_user_sgpr_kernarg_segment_ptr 1
		.amdhsa_user_sgpr_dispatch_id 0
		.amdhsa_user_sgpr_private_segment_size 0
		.amdhsa_wavefront_size32 1
		.amdhsa_uses_dynamic_stack 0
		.amdhsa_enable_private_segment 0
		.amdhsa_system_sgpr_workgroup_id_x 1
		.amdhsa_system_sgpr_workgroup_id_y 0
		.amdhsa_system_sgpr_workgroup_id_z 0
		.amdhsa_system_sgpr_workgroup_info 0
		.amdhsa_system_vgpr_workitem_id 0
		.amdhsa_next_free_vgpr 1
		.amdhsa_next_free_sgpr 1
		.amdhsa_reserve_vcc 0
		.amdhsa_float_round_mode_32 0
		.amdhsa_float_round_mode_16_64 0
		.amdhsa_float_denorm_mode_32 3
		.amdhsa_float_denorm_mode_16_64 3
		.amdhsa_fp16_overflow 0
		.amdhsa_workgroup_processor_mode 1
		.amdhsa_memory_ordered 1
		.amdhsa_forward_progress 1
		.amdhsa_inst_pref_size 0
		.amdhsa_round_robin_scheduling 0
		.amdhsa_exception_fp_ieee_invalid_op 0
		.amdhsa_exception_fp_denorm_src 0
		.amdhsa_exception_fp_ieee_div_zero 0
		.amdhsa_exception_fp_ieee_overflow 0
		.amdhsa_exception_fp_ieee_underflow 0
		.amdhsa_exception_fp_ieee_inexact 0
		.amdhsa_exception_int_div_zero 0
	.end_amdhsa_kernel
	.section	.text._ZN7rocprim17ROCPRIM_400000_NS6detail17trampoline_kernelINS0_14default_configENS1_25partition_config_selectorILNS1_17partition_subalgoE5EsNS0_10empty_typeEbEEZZNS1_14partition_implILS5_5ELb0ES3_mN6thrust23THRUST_200600_302600_NS6detail15normal_iteratorINSA_10device_ptrIsEEEEPS6_NSA_18transform_iteratorINSB_9not_fun_tI7is_trueIsEEENSC_INSD_IbEEEENSA_11use_defaultESO_EENS0_5tupleIJSF_S6_EEENSQ_IJSG_SG_EEES6_PlJS6_EEE10hipError_tPvRmT3_T4_T5_T6_T7_T9_mT8_P12ihipStream_tbDpT10_ENKUlT_T0_E_clISt17integral_constantIbLb1EES1C_IbLb0EEEEDaS18_S19_EUlS18_E_NS1_11comp_targetILNS1_3genE0ELNS1_11target_archE4294967295ELNS1_3gpuE0ELNS1_3repE0EEENS1_30default_config_static_selectorELNS0_4arch9wavefront6targetE0EEEvT1_,"axG",@progbits,_ZN7rocprim17ROCPRIM_400000_NS6detail17trampoline_kernelINS0_14default_configENS1_25partition_config_selectorILNS1_17partition_subalgoE5EsNS0_10empty_typeEbEEZZNS1_14partition_implILS5_5ELb0ES3_mN6thrust23THRUST_200600_302600_NS6detail15normal_iteratorINSA_10device_ptrIsEEEEPS6_NSA_18transform_iteratorINSB_9not_fun_tI7is_trueIsEEENSC_INSD_IbEEEENSA_11use_defaultESO_EENS0_5tupleIJSF_S6_EEENSQ_IJSG_SG_EEES6_PlJS6_EEE10hipError_tPvRmT3_T4_T5_T6_T7_T9_mT8_P12ihipStream_tbDpT10_ENKUlT_T0_E_clISt17integral_constantIbLb1EES1C_IbLb0EEEEDaS18_S19_EUlS18_E_NS1_11comp_targetILNS1_3genE0ELNS1_11target_archE4294967295ELNS1_3gpuE0ELNS1_3repE0EEENS1_30default_config_static_selectorELNS0_4arch9wavefront6targetE0EEEvT1_,comdat
.Lfunc_end2573:
	.size	_ZN7rocprim17ROCPRIM_400000_NS6detail17trampoline_kernelINS0_14default_configENS1_25partition_config_selectorILNS1_17partition_subalgoE5EsNS0_10empty_typeEbEEZZNS1_14partition_implILS5_5ELb0ES3_mN6thrust23THRUST_200600_302600_NS6detail15normal_iteratorINSA_10device_ptrIsEEEEPS6_NSA_18transform_iteratorINSB_9not_fun_tI7is_trueIsEEENSC_INSD_IbEEEENSA_11use_defaultESO_EENS0_5tupleIJSF_S6_EEENSQ_IJSG_SG_EEES6_PlJS6_EEE10hipError_tPvRmT3_T4_T5_T6_T7_T9_mT8_P12ihipStream_tbDpT10_ENKUlT_T0_E_clISt17integral_constantIbLb1EES1C_IbLb0EEEEDaS18_S19_EUlS18_E_NS1_11comp_targetILNS1_3genE0ELNS1_11target_archE4294967295ELNS1_3gpuE0ELNS1_3repE0EEENS1_30default_config_static_selectorELNS0_4arch9wavefront6targetE0EEEvT1_, .Lfunc_end2573-_ZN7rocprim17ROCPRIM_400000_NS6detail17trampoline_kernelINS0_14default_configENS1_25partition_config_selectorILNS1_17partition_subalgoE5EsNS0_10empty_typeEbEEZZNS1_14partition_implILS5_5ELb0ES3_mN6thrust23THRUST_200600_302600_NS6detail15normal_iteratorINSA_10device_ptrIsEEEEPS6_NSA_18transform_iteratorINSB_9not_fun_tI7is_trueIsEEENSC_INSD_IbEEEENSA_11use_defaultESO_EENS0_5tupleIJSF_S6_EEENSQ_IJSG_SG_EEES6_PlJS6_EEE10hipError_tPvRmT3_T4_T5_T6_T7_T9_mT8_P12ihipStream_tbDpT10_ENKUlT_T0_E_clISt17integral_constantIbLb1EES1C_IbLb0EEEEDaS18_S19_EUlS18_E_NS1_11comp_targetILNS1_3genE0ELNS1_11target_archE4294967295ELNS1_3gpuE0ELNS1_3repE0EEENS1_30default_config_static_selectorELNS0_4arch9wavefront6targetE0EEEvT1_
                                        ; -- End function
	.set _ZN7rocprim17ROCPRIM_400000_NS6detail17trampoline_kernelINS0_14default_configENS1_25partition_config_selectorILNS1_17partition_subalgoE5EsNS0_10empty_typeEbEEZZNS1_14partition_implILS5_5ELb0ES3_mN6thrust23THRUST_200600_302600_NS6detail15normal_iteratorINSA_10device_ptrIsEEEEPS6_NSA_18transform_iteratorINSB_9not_fun_tI7is_trueIsEEENSC_INSD_IbEEEENSA_11use_defaultESO_EENS0_5tupleIJSF_S6_EEENSQ_IJSG_SG_EEES6_PlJS6_EEE10hipError_tPvRmT3_T4_T5_T6_T7_T9_mT8_P12ihipStream_tbDpT10_ENKUlT_T0_E_clISt17integral_constantIbLb1EES1C_IbLb0EEEEDaS18_S19_EUlS18_E_NS1_11comp_targetILNS1_3genE0ELNS1_11target_archE4294967295ELNS1_3gpuE0ELNS1_3repE0EEENS1_30default_config_static_selectorELNS0_4arch9wavefront6targetE0EEEvT1_.num_vgpr, 0
	.set _ZN7rocprim17ROCPRIM_400000_NS6detail17trampoline_kernelINS0_14default_configENS1_25partition_config_selectorILNS1_17partition_subalgoE5EsNS0_10empty_typeEbEEZZNS1_14partition_implILS5_5ELb0ES3_mN6thrust23THRUST_200600_302600_NS6detail15normal_iteratorINSA_10device_ptrIsEEEEPS6_NSA_18transform_iteratorINSB_9not_fun_tI7is_trueIsEEENSC_INSD_IbEEEENSA_11use_defaultESO_EENS0_5tupleIJSF_S6_EEENSQ_IJSG_SG_EEES6_PlJS6_EEE10hipError_tPvRmT3_T4_T5_T6_T7_T9_mT8_P12ihipStream_tbDpT10_ENKUlT_T0_E_clISt17integral_constantIbLb1EES1C_IbLb0EEEEDaS18_S19_EUlS18_E_NS1_11comp_targetILNS1_3genE0ELNS1_11target_archE4294967295ELNS1_3gpuE0ELNS1_3repE0EEENS1_30default_config_static_selectorELNS0_4arch9wavefront6targetE0EEEvT1_.num_agpr, 0
	.set _ZN7rocprim17ROCPRIM_400000_NS6detail17trampoline_kernelINS0_14default_configENS1_25partition_config_selectorILNS1_17partition_subalgoE5EsNS0_10empty_typeEbEEZZNS1_14partition_implILS5_5ELb0ES3_mN6thrust23THRUST_200600_302600_NS6detail15normal_iteratorINSA_10device_ptrIsEEEEPS6_NSA_18transform_iteratorINSB_9not_fun_tI7is_trueIsEEENSC_INSD_IbEEEENSA_11use_defaultESO_EENS0_5tupleIJSF_S6_EEENSQ_IJSG_SG_EEES6_PlJS6_EEE10hipError_tPvRmT3_T4_T5_T6_T7_T9_mT8_P12ihipStream_tbDpT10_ENKUlT_T0_E_clISt17integral_constantIbLb1EES1C_IbLb0EEEEDaS18_S19_EUlS18_E_NS1_11comp_targetILNS1_3genE0ELNS1_11target_archE4294967295ELNS1_3gpuE0ELNS1_3repE0EEENS1_30default_config_static_selectorELNS0_4arch9wavefront6targetE0EEEvT1_.numbered_sgpr, 0
	.set _ZN7rocprim17ROCPRIM_400000_NS6detail17trampoline_kernelINS0_14default_configENS1_25partition_config_selectorILNS1_17partition_subalgoE5EsNS0_10empty_typeEbEEZZNS1_14partition_implILS5_5ELb0ES3_mN6thrust23THRUST_200600_302600_NS6detail15normal_iteratorINSA_10device_ptrIsEEEEPS6_NSA_18transform_iteratorINSB_9not_fun_tI7is_trueIsEEENSC_INSD_IbEEEENSA_11use_defaultESO_EENS0_5tupleIJSF_S6_EEENSQ_IJSG_SG_EEES6_PlJS6_EEE10hipError_tPvRmT3_T4_T5_T6_T7_T9_mT8_P12ihipStream_tbDpT10_ENKUlT_T0_E_clISt17integral_constantIbLb1EES1C_IbLb0EEEEDaS18_S19_EUlS18_E_NS1_11comp_targetILNS1_3genE0ELNS1_11target_archE4294967295ELNS1_3gpuE0ELNS1_3repE0EEENS1_30default_config_static_selectorELNS0_4arch9wavefront6targetE0EEEvT1_.num_named_barrier, 0
	.set _ZN7rocprim17ROCPRIM_400000_NS6detail17trampoline_kernelINS0_14default_configENS1_25partition_config_selectorILNS1_17partition_subalgoE5EsNS0_10empty_typeEbEEZZNS1_14partition_implILS5_5ELb0ES3_mN6thrust23THRUST_200600_302600_NS6detail15normal_iteratorINSA_10device_ptrIsEEEEPS6_NSA_18transform_iteratorINSB_9not_fun_tI7is_trueIsEEENSC_INSD_IbEEEENSA_11use_defaultESO_EENS0_5tupleIJSF_S6_EEENSQ_IJSG_SG_EEES6_PlJS6_EEE10hipError_tPvRmT3_T4_T5_T6_T7_T9_mT8_P12ihipStream_tbDpT10_ENKUlT_T0_E_clISt17integral_constantIbLb1EES1C_IbLb0EEEEDaS18_S19_EUlS18_E_NS1_11comp_targetILNS1_3genE0ELNS1_11target_archE4294967295ELNS1_3gpuE0ELNS1_3repE0EEENS1_30default_config_static_selectorELNS0_4arch9wavefront6targetE0EEEvT1_.private_seg_size, 0
	.set _ZN7rocprim17ROCPRIM_400000_NS6detail17trampoline_kernelINS0_14default_configENS1_25partition_config_selectorILNS1_17partition_subalgoE5EsNS0_10empty_typeEbEEZZNS1_14partition_implILS5_5ELb0ES3_mN6thrust23THRUST_200600_302600_NS6detail15normal_iteratorINSA_10device_ptrIsEEEEPS6_NSA_18transform_iteratorINSB_9not_fun_tI7is_trueIsEEENSC_INSD_IbEEEENSA_11use_defaultESO_EENS0_5tupleIJSF_S6_EEENSQ_IJSG_SG_EEES6_PlJS6_EEE10hipError_tPvRmT3_T4_T5_T6_T7_T9_mT8_P12ihipStream_tbDpT10_ENKUlT_T0_E_clISt17integral_constantIbLb1EES1C_IbLb0EEEEDaS18_S19_EUlS18_E_NS1_11comp_targetILNS1_3genE0ELNS1_11target_archE4294967295ELNS1_3gpuE0ELNS1_3repE0EEENS1_30default_config_static_selectorELNS0_4arch9wavefront6targetE0EEEvT1_.uses_vcc, 0
	.set _ZN7rocprim17ROCPRIM_400000_NS6detail17trampoline_kernelINS0_14default_configENS1_25partition_config_selectorILNS1_17partition_subalgoE5EsNS0_10empty_typeEbEEZZNS1_14partition_implILS5_5ELb0ES3_mN6thrust23THRUST_200600_302600_NS6detail15normal_iteratorINSA_10device_ptrIsEEEEPS6_NSA_18transform_iteratorINSB_9not_fun_tI7is_trueIsEEENSC_INSD_IbEEEENSA_11use_defaultESO_EENS0_5tupleIJSF_S6_EEENSQ_IJSG_SG_EEES6_PlJS6_EEE10hipError_tPvRmT3_T4_T5_T6_T7_T9_mT8_P12ihipStream_tbDpT10_ENKUlT_T0_E_clISt17integral_constantIbLb1EES1C_IbLb0EEEEDaS18_S19_EUlS18_E_NS1_11comp_targetILNS1_3genE0ELNS1_11target_archE4294967295ELNS1_3gpuE0ELNS1_3repE0EEENS1_30default_config_static_selectorELNS0_4arch9wavefront6targetE0EEEvT1_.uses_flat_scratch, 0
	.set _ZN7rocprim17ROCPRIM_400000_NS6detail17trampoline_kernelINS0_14default_configENS1_25partition_config_selectorILNS1_17partition_subalgoE5EsNS0_10empty_typeEbEEZZNS1_14partition_implILS5_5ELb0ES3_mN6thrust23THRUST_200600_302600_NS6detail15normal_iteratorINSA_10device_ptrIsEEEEPS6_NSA_18transform_iteratorINSB_9not_fun_tI7is_trueIsEEENSC_INSD_IbEEEENSA_11use_defaultESO_EENS0_5tupleIJSF_S6_EEENSQ_IJSG_SG_EEES6_PlJS6_EEE10hipError_tPvRmT3_T4_T5_T6_T7_T9_mT8_P12ihipStream_tbDpT10_ENKUlT_T0_E_clISt17integral_constantIbLb1EES1C_IbLb0EEEEDaS18_S19_EUlS18_E_NS1_11comp_targetILNS1_3genE0ELNS1_11target_archE4294967295ELNS1_3gpuE0ELNS1_3repE0EEENS1_30default_config_static_selectorELNS0_4arch9wavefront6targetE0EEEvT1_.has_dyn_sized_stack, 0
	.set _ZN7rocprim17ROCPRIM_400000_NS6detail17trampoline_kernelINS0_14default_configENS1_25partition_config_selectorILNS1_17partition_subalgoE5EsNS0_10empty_typeEbEEZZNS1_14partition_implILS5_5ELb0ES3_mN6thrust23THRUST_200600_302600_NS6detail15normal_iteratorINSA_10device_ptrIsEEEEPS6_NSA_18transform_iteratorINSB_9not_fun_tI7is_trueIsEEENSC_INSD_IbEEEENSA_11use_defaultESO_EENS0_5tupleIJSF_S6_EEENSQ_IJSG_SG_EEES6_PlJS6_EEE10hipError_tPvRmT3_T4_T5_T6_T7_T9_mT8_P12ihipStream_tbDpT10_ENKUlT_T0_E_clISt17integral_constantIbLb1EES1C_IbLb0EEEEDaS18_S19_EUlS18_E_NS1_11comp_targetILNS1_3genE0ELNS1_11target_archE4294967295ELNS1_3gpuE0ELNS1_3repE0EEENS1_30default_config_static_selectorELNS0_4arch9wavefront6targetE0EEEvT1_.has_recursion, 0
	.set _ZN7rocprim17ROCPRIM_400000_NS6detail17trampoline_kernelINS0_14default_configENS1_25partition_config_selectorILNS1_17partition_subalgoE5EsNS0_10empty_typeEbEEZZNS1_14partition_implILS5_5ELb0ES3_mN6thrust23THRUST_200600_302600_NS6detail15normal_iteratorINSA_10device_ptrIsEEEEPS6_NSA_18transform_iteratorINSB_9not_fun_tI7is_trueIsEEENSC_INSD_IbEEEENSA_11use_defaultESO_EENS0_5tupleIJSF_S6_EEENSQ_IJSG_SG_EEES6_PlJS6_EEE10hipError_tPvRmT3_T4_T5_T6_T7_T9_mT8_P12ihipStream_tbDpT10_ENKUlT_T0_E_clISt17integral_constantIbLb1EES1C_IbLb0EEEEDaS18_S19_EUlS18_E_NS1_11comp_targetILNS1_3genE0ELNS1_11target_archE4294967295ELNS1_3gpuE0ELNS1_3repE0EEENS1_30default_config_static_selectorELNS0_4arch9wavefront6targetE0EEEvT1_.has_indirect_call, 0
	.section	.AMDGPU.csdata,"",@progbits
; Kernel info:
; codeLenInByte = 0
; TotalNumSgprs: 0
; NumVgprs: 0
; ScratchSize: 0
; MemoryBound: 0
; FloatMode: 240
; IeeeMode: 1
; LDSByteSize: 0 bytes/workgroup (compile time only)
; SGPRBlocks: 0
; VGPRBlocks: 0
; NumSGPRsForWavesPerEU: 1
; NumVGPRsForWavesPerEU: 1
; Occupancy: 16
; WaveLimiterHint : 0
; COMPUTE_PGM_RSRC2:SCRATCH_EN: 0
; COMPUTE_PGM_RSRC2:USER_SGPR: 2
; COMPUTE_PGM_RSRC2:TRAP_HANDLER: 0
; COMPUTE_PGM_RSRC2:TGID_X_EN: 1
; COMPUTE_PGM_RSRC2:TGID_Y_EN: 0
; COMPUTE_PGM_RSRC2:TGID_Z_EN: 0
; COMPUTE_PGM_RSRC2:TIDIG_COMP_CNT: 0
	.section	.text._ZN7rocprim17ROCPRIM_400000_NS6detail17trampoline_kernelINS0_14default_configENS1_25partition_config_selectorILNS1_17partition_subalgoE5EsNS0_10empty_typeEbEEZZNS1_14partition_implILS5_5ELb0ES3_mN6thrust23THRUST_200600_302600_NS6detail15normal_iteratorINSA_10device_ptrIsEEEEPS6_NSA_18transform_iteratorINSB_9not_fun_tI7is_trueIsEEENSC_INSD_IbEEEENSA_11use_defaultESO_EENS0_5tupleIJSF_S6_EEENSQ_IJSG_SG_EEES6_PlJS6_EEE10hipError_tPvRmT3_T4_T5_T6_T7_T9_mT8_P12ihipStream_tbDpT10_ENKUlT_T0_E_clISt17integral_constantIbLb1EES1C_IbLb0EEEEDaS18_S19_EUlS18_E_NS1_11comp_targetILNS1_3genE5ELNS1_11target_archE942ELNS1_3gpuE9ELNS1_3repE0EEENS1_30default_config_static_selectorELNS0_4arch9wavefront6targetE0EEEvT1_,"axG",@progbits,_ZN7rocprim17ROCPRIM_400000_NS6detail17trampoline_kernelINS0_14default_configENS1_25partition_config_selectorILNS1_17partition_subalgoE5EsNS0_10empty_typeEbEEZZNS1_14partition_implILS5_5ELb0ES3_mN6thrust23THRUST_200600_302600_NS6detail15normal_iteratorINSA_10device_ptrIsEEEEPS6_NSA_18transform_iteratorINSB_9not_fun_tI7is_trueIsEEENSC_INSD_IbEEEENSA_11use_defaultESO_EENS0_5tupleIJSF_S6_EEENSQ_IJSG_SG_EEES6_PlJS6_EEE10hipError_tPvRmT3_T4_T5_T6_T7_T9_mT8_P12ihipStream_tbDpT10_ENKUlT_T0_E_clISt17integral_constantIbLb1EES1C_IbLb0EEEEDaS18_S19_EUlS18_E_NS1_11comp_targetILNS1_3genE5ELNS1_11target_archE942ELNS1_3gpuE9ELNS1_3repE0EEENS1_30default_config_static_selectorELNS0_4arch9wavefront6targetE0EEEvT1_,comdat
	.protected	_ZN7rocprim17ROCPRIM_400000_NS6detail17trampoline_kernelINS0_14default_configENS1_25partition_config_selectorILNS1_17partition_subalgoE5EsNS0_10empty_typeEbEEZZNS1_14partition_implILS5_5ELb0ES3_mN6thrust23THRUST_200600_302600_NS6detail15normal_iteratorINSA_10device_ptrIsEEEEPS6_NSA_18transform_iteratorINSB_9not_fun_tI7is_trueIsEEENSC_INSD_IbEEEENSA_11use_defaultESO_EENS0_5tupleIJSF_S6_EEENSQ_IJSG_SG_EEES6_PlJS6_EEE10hipError_tPvRmT3_T4_T5_T6_T7_T9_mT8_P12ihipStream_tbDpT10_ENKUlT_T0_E_clISt17integral_constantIbLb1EES1C_IbLb0EEEEDaS18_S19_EUlS18_E_NS1_11comp_targetILNS1_3genE5ELNS1_11target_archE942ELNS1_3gpuE9ELNS1_3repE0EEENS1_30default_config_static_selectorELNS0_4arch9wavefront6targetE0EEEvT1_ ; -- Begin function _ZN7rocprim17ROCPRIM_400000_NS6detail17trampoline_kernelINS0_14default_configENS1_25partition_config_selectorILNS1_17partition_subalgoE5EsNS0_10empty_typeEbEEZZNS1_14partition_implILS5_5ELb0ES3_mN6thrust23THRUST_200600_302600_NS6detail15normal_iteratorINSA_10device_ptrIsEEEEPS6_NSA_18transform_iteratorINSB_9not_fun_tI7is_trueIsEEENSC_INSD_IbEEEENSA_11use_defaultESO_EENS0_5tupleIJSF_S6_EEENSQ_IJSG_SG_EEES6_PlJS6_EEE10hipError_tPvRmT3_T4_T5_T6_T7_T9_mT8_P12ihipStream_tbDpT10_ENKUlT_T0_E_clISt17integral_constantIbLb1EES1C_IbLb0EEEEDaS18_S19_EUlS18_E_NS1_11comp_targetILNS1_3genE5ELNS1_11target_archE942ELNS1_3gpuE9ELNS1_3repE0EEENS1_30default_config_static_selectorELNS0_4arch9wavefront6targetE0EEEvT1_
	.globl	_ZN7rocprim17ROCPRIM_400000_NS6detail17trampoline_kernelINS0_14default_configENS1_25partition_config_selectorILNS1_17partition_subalgoE5EsNS0_10empty_typeEbEEZZNS1_14partition_implILS5_5ELb0ES3_mN6thrust23THRUST_200600_302600_NS6detail15normal_iteratorINSA_10device_ptrIsEEEEPS6_NSA_18transform_iteratorINSB_9not_fun_tI7is_trueIsEEENSC_INSD_IbEEEENSA_11use_defaultESO_EENS0_5tupleIJSF_S6_EEENSQ_IJSG_SG_EEES6_PlJS6_EEE10hipError_tPvRmT3_T4_T5_T6_T7_T9_mT8_P12ihipStream_tbDpT10_ENKUlT_T0_E_clISt17integral_constantIbLb1EES1C_IbLb0EEEEDaS18_S19_EUlS18_E_NS1_11comp_targetILNS1_3genE5ELNS1_11target_archE942ELNS1_3gpuE9ELNS1_3repE0EEENS1_30default_config_static_selectorELNS0_4arch9wavefront6targetE0EEEvT1_
	.p2align	8
	.type	_ZN7rocprim17ROCPRIM_400000_NS6detail17trampoline_kernelINS0_14default_configENS1_25partition_config_selectorILNS1_17partition_subalgoE5EsNS0_10empty_typeEbEEZZNS1_14partition_implILS5_5ELb0ES3_mN6thrust23THRUST_200600_302600_NS6detail15normal_iteratorINSA_10device_ptrIsEEEEPS6_NSA_18transform_iteratorINSB_9not_fun_tI7is_trueIsEEENSC_INSD_IbEEEENSA_11use_defaultESO_EENS0_5tupleIJSF_S6_EEENSQ_IJSG_SG_EEES6_PlJS6_EEE10hipError_tPvRmT3_T4_T5_T6_T7_T9_mT8_P12ihipStream_tbDpT10_ENKUlT_T0_E_clISt17integral_constantIbLb1EES1C_IbLb0EEEEDaS18_S19_EUlS18_E_NS1_11comp_targetILNS1_3genE5ELNS1_11target_archE942ELNS1_3gpuE9ELNS1_3repE0EEENS1_30default_config_static_selectorELNS0_4arch9wavefront6targetE0EEEvT1_,@function
_ZN7rocprim17ROCPRIM_400000_NS6detail17trampoline_kernelINS0_14default_configENS1_25partition_config_selectorILNS1_17partition_subalgoE5EsNS0_10empty_typeEbEEZZNS1_14partition_implILS5_5ELb0ES3_mN6thrust23THRUST_200600_302600_NS6detail15normal_iteratorINSA_10device_ptrIsEEEEPS6_NSA_18transform_iteratorINSB_9not_fun_tI7is_trueIsEEENSC_INSD_IbEEEENSA_11use_defaultESO_EENS0_5tupleIJSF_S6_EEENSQ_IJSG_SG_EEES6_PlJS6_EEE10hipError_tPvRmT3_T4_T5_T6_T7_T9_mT8_P12ihipStream_tbDpT10_ENKUlT_T0_E_clISt17integral_constantIbLb1EES1C_IbLb0EEEEDaS18_S19_EUlS18_E_NS1_11comp_targetILNS1_3genE5ELNS1_11target_archE942ELNS1_3gpuE9ELNS1_3repE0EEENS1_30default_config_static_selectorELNS0_4arch9wavefront6targetE0EEEvT1_: ; @_ZN7rocprim17ROCPRIM_400000_NS6detail17trampoline_kernelINS0_14default_configENS1_25partition_config_selectorILNS1_17partition_subalgoE5EsNS0_10empty_typeEbEEZZNS1_14partition_implILS5_5ELb0ES3_mN6thrust23THRUST_200600_302600_NS6detail15normal_iteratorINSA_10device_ptrIsEEEEPS6_NSA_18transform_iteratorINSB_9not_fun_tI7is_trueIsEEENSC_INSD_IbEEEENSA_11use_defaultESO_EENS0_5tupleIJSF_S6_EEENSQ_IJSG_SG_EEES6_PlJS6_EEE10hipError_tPvRmT3_T4_T5_T6_T7_T9_mT8_P12ihipStream_tbDpT10_ENKUlT_T0_E_clISt17integral_constantIbLb1EES1C_IbLb0EEEEDaS18_S19_EUlS18_E_NS1_11comp_targetILNS1_3genE5ELNS1_11target_archE942ELNS1_3gpuE9ELNS1_3repE0EEENS1_30default_config_static_selectorELNS0_4arch9wavefront6targetE0EEEvT1_
; %bb.0:
	.section	.rodata,"a",@progbits
	.p2align	6, 0x0
	.amdhsa_kernel _ZN7rocprim17ROCPRIM_400000_NS6detail17trampoline_kernelINS0_14default_configENS1_25partition_config_selectorILNS1_17partition_subalgoE5EsNS0_10empty_typeEbEEZZNS1_14partition_implILS5_5ELb0ES3_mN6thrust23THRUST_200600_302600_NS6detail15normal_iteratorINSA_10device_ptrIsEEEEPS6_NSA_18transform_iteratorINSB_9not_fun_tI7is_trueIsEEENSC_INSD_IbEEEENSA_11use_defaultESO_EENS0_5tupleIJSF_S6_EEENSQ_IJSG_SG_EEES6_PlJS6_EEE10hipError_tPvRmT3_T4_T5_T6_T7_T9_mT8_P12ihipStream_tbDpT10_ENKUlT_T0_E_clISt17integral_constantIbLb1EES1C_IbLb0EEEEDaS18_S19_EUlS18_E_NS1_11comp_targetILNS1_3genE5ELNS1_11target_archE942ELNS1_3gpuE9ELNS1_3repE0EEENS1_30default_config_static_selectorELNS0_4arch9wavefront6targetE0EEEvT1_
		.amdhsa_group_segment_fixed_size 0
		.amdhsa_private_segment_fixed_size 0
		.amdhsa_kernarg_size 120
		.amdhsa_user_sgpr_count 2
		.amdhsa_user_sgpr_dispatch_ptr 0
		.amdhsa_user_sgpr_queue_ptr 0
		.amdhsa_user_sgpr_kernarg_segment_ptr 1
		.amdhsa_user_sgpr_dispatch_id 0
		.amdhsa_user_sgpr_private_segment_size 0
		.amdhsa_wavefront_size32 1
		.amdhsa_uses_dynamic_stack 0
		.amdhsa_enable_private_segment 0
		.amdhsa_system_sgpr_workgroup_id_x 1
		.amdhsa_system_sgpr_workgroup_id_y 0
		.amdhsa_system_sgpr_workgroup_id_z 0
		.amdhsa_system_sgpr_workgroup_info 0
		.amdhsa_system_vgpr_workitem_id 0
		.amdhsa_next_free_vgpr 1
		.amdhsa_next_free_sgpr 1
		.amdhsa_reserve_vcc 0
		.amdhsa_float_round_mode_32 0
		.amdhsa_float_round_mode_16_64 0
		.amdhsa_float_denorm_mode_32 3
		.amdhsa_float_denorm_mode_16_64 3
		.amdhsa_fp16_overflow 0
		.amdhsa_workgroup_processor_mode 1
		.amdhsa_memory_ordered 1
		.amdhsa_forward_progress 1
		.amdhsa_inst_pref_size 0
		.amdhsa_round_robin_scheduling 0
		.amdhsa_exception_fp_ieee_invalid_op 0
		.amdhsa_exception_fp_denorm_src 0
		.amdhsa_exception_fp_ieee_div_zero 0
		.amdhsa_exception_fp_ieee_overflow 0
		.amdhsa_exception_fp_ieee_underflow 0
		.amdhsa_exception_fp_ieee_inexact 0
		.amdhsa_exception_int_div_zero 0
	.end_amdhsa_kernel
	.section	.text._ZN7rocprim17ROCPRIM_400000_NS6detail17trampoline_kernelINS0_14default_configENS1_25partition_config_selectorILNS1_17partition_subalgoE5EsNS0_10empty_typeEbEEZZNS1_14partition_implILS5_5ELb0ES3_mN6thrust23THRUST_200600_302600_NS6detail15normal_iteratorINSA_10device_ptrIsEEEEPS6_NSA_18transform_iteratorINSB_9not_fun_tI7is_trueIsEEENSC_INSD_IbEEEENSA_11use_defaultESO_EENS0_5tupleIJSF_S6_EEENSQ_IJSG_SG_EEES6_PlJS6_EEE10hipError_tPvRmT3_T4_T5_T6_T7_T9_mT8_P12ihipStream_tbDpT10_ENKUlT_T0_E_clISt17integral_constantIbLb1EES1C_IbLb0EEEEDaS18_S19_EUlS18_E_NS1_11comp_targetILNS1_3genE5ELNS1_11target_archE942ELNS1_3gpuE9ELNS1_3repE0EEENS1_30default_config_static_selectorELNS0_4arch9wavefront6targetE0EEEvT1_,"axG",@progbits,_ZN7rocprim17ROCPRIM_400000_NS6detail17trampoline_kernelINS0_14default_configENS1_25partition_config_selectorILNS1_17partition_subalgoE5EsNS0_10empty_typeEbEEZZNS1_14partition_implILS5_5ELb0ES3_mN6thrust23THRUST_200600_302600_NS6detail15normal_iteratorINSA_10device_ptrIsEEEEPS6_NSA_18transform_iteratorINSB_9not_fun_tI7is_trueIsEEENSC_INSD_IbEEEENSA_11use_defaultESO_EENS0_5tupleIJSF_S6_EEENSQ_IJSG_SG_EEES6_PlJS6_EEE10hipError_tPvRmT3_T4_T5_T6_T7_T9_mT8_P12ihipStream_tbDpT10_ENKUlT_T0_E_clISt17integral_constantIbLb1EES1C_IbLb0EEEEDaS18_S19_EUlS18_E_NS1_11comp_targetILNS1_3genE5ELNS1_11target_archE942ELNS1_3gpuE9ELNS1_3repE0EEENS1_30default_config_static_selectorELNS0_4arch9wavefront6targetE0EEEvT1_,comdat
.Lfunc_end2574:
	.size	_ZN7rocprim17ROCPRIM_400000_NS6detail17trampoline_kernelINS0_14default_configENS1_25partition_config_selectorILNS1_17partition_subalgoE5EsNS0_10empty_typeEbEEZZNS1_14partition_implILS5_5ELb0ES3_mN6thrust23THRUST_200600_302600_NS6detail15normal_iteratorINSA_10device_ptrIsEEEEPS6_NSA_18transform_iteratorINSB_9not_fun_tI7is_trueIsEEENSC_INSD_IbEEEENSA_11use_defaultESO_EENS0_5tupleIJSF_S6_EEENSQ_IJSG_SG_EEES6_PlJS6_EEE10hipError_tPvRmT3_T4_T5_T6_T7_T9_mT8_P12ihipStream_tbDpT10_ENKUlT_T0_E_clISt17integral_constantIbLb1EES1C_IbLb0EEEEDaS18_S19_EUlS18_E_NS1_11comp_targetILNS1_3genE5ELNS1_11target_archE942ELNS1_3gpuE9ELNS1_3repE0EEENS1_30default_config_static_selectorELNS0_4arch9wavefront6targetE0EEEvT1_, .Lfunc_end2574-_ZN7rocprim17ROCPRIM_400000_NS6detail17trampoline_kernelINS0_14default_configENS1_25partition_config_selectorILNS1_17partition_subalgoE5EsNS0_10empty_typeEbEEZZNS1_14partition_implILS5_5ELb0ES3_mN6thrust23THRUST_200600_302600_NS6detail15normal_iteratorINSA_10device_ptrIsEEEEPS6_NSA_18transform_iteratorINSB_9not_fun_tI7is_trueIsEEENSC_INSD_IbEEEENSA_11use_defaultESO_EENS0_5tupleIJSF_S6_EEENSQ_IJSG_SG_EEES6_PlJS6_EEE10hipError_tPvRmT3_T4_T5_T6_T7_T9_mT8_P12ihipStream_tbDpT10_ENKUlT_T0_E_clISt17integral_constantIbLb1EES1C_IbLb0EEEEDaS18_S19_EUlS18_E_NS1_11comp_targetILNS1_3genE5ELNS1_11target_archE942ELNS1_3gpuE9ELNS1_3repE0EEENS1_30default_config_static_selectorELNS0_4arch9wavefront6targetE0EEEvT1_
                                        ; -- End function
	.set _ZN7rocprim17ROCPRIM_400000_NS6detail17trampoline_kernelINS0_14default_configENS1_25partition_config_selectorILNS1_17partition_subalgoE5EsNS0_10empty_typeEbEEZZNS1_14partition_implILS5_5ELb0ES3_mN6thrust23THRUST_200600_302600_NS6detail15normal_iteratorINSA_10device_ptrIsEEEEPS6_NSA_18transform_iteratorINSB_9not_fun_tI7is_trueIsEEENSC_INSD_IbEEEENSA_11use_defaultESO_EENS0_5tupleIJSF_S6_EEENSQ_IJSG_SG_EEES6_PlJS6_EEE10hipError_tPvRmT3_T4_T5_T6_T7_T9_mT8_P12ihipStream_tbDpT10_ENKUlT_T0_E_clISt17integral_constantIbLb1EES1C_IbLb0EEEEDaS18_S19_EUlS18_E_NS1_11comp_targetILNS1_3genE5ELNS1_11target_archE942ELNS1_3gpuE9ELNS1_3repE0EEENS1_30default_config_static_selectorELNS0_4arch9wavefront6targetE0EEEvT1_.num_vgpr, 0
	.set _ZN7rocprim17ROCPRIM_400000_NS6detail17trampoline_kernelINS0_14default_configENS1_25partition_config_selectorILNS1_17partition_subalgoE5EsNS0_10empty_typeEbEEZZNS1_14partition_implILS5_5ELb0ES3_mN6thrust23THRUST_200600_302600_NS6detail15normal_iteratorINSA_10device_ptrIsEEEEPS6_NSA_18transform_iteratorINSB_9not_fun_tI7is_trueIsEEENSC_INSD_IbEEEENSA_11use_defaultESO_EENS0_5tupleIJSF_S6_EEENSQ_IJSG_SG_EEES6_PlJS6_EEE10hipError_tPvRmT3_T4_T5_T6_T7_T9_mT8_P12ihipStream_tbDpT10_ENKUlT_T0_E_clISt17integral_constantIbLb1EES1C_IbLb0EEEEDaS18_S19_EUlS18_E_NS1_11comp_targetILNS1_3genE5ELNS1_11target_archE942ELNS1_3gpuE9ELNS1_3repE0EEENS1_30default_config_static_selectorELNS0_4arch9wavefront6targetE0EEEvT1_.num_agpr, 0
	.set _ZN7rocprim17ROCPRIM_400000_NS6detail17trampoline_kernelINS0_14default_configENS1_25partition_config_selectorILNS1_17partition_subalgoE5EsNS0_10empty_typeEbEEZZNS1_14partition_implILS5_5ELb0ES3_mN6thrust23THRUST_200600_302600_NS6detail15normal_iteratorINSA_10device_ptrIsEEEEPS6_NSA_18transform_iteratorINSB_9not_fun_tI7is_trueIsEEENSC_INSD_IbEEEENSA_11use_defaultESO_EENS0_5tupleIJSF_S6_EEENSQ_IJSG_SG_EEES6_PlJS6_EEE10hipError_tPvRmT3_T4_T5_T6_T7_T9_mT8_P12ihipStream_tbDpT10_ENKUlT_T0_E_clISt17integral_constantIbLb1EES1C_IbLb0EEEEDaS18_S19_EUlS18_E_NS1_11comp_targetILNS1_3genE5ELNS1_11target_archE942ELNS1_3gpuE9ELNS1_3repE0EEENS1_30default_config_static_selectorELNS0_4arch9wavefront6targetE0EEEvT1_.numbered_sgpr, 0
	.set _ZN7rocprim17ROCPRIM_400000_NS6detail17trampoline_kernelINS0_14default_configENS1_25partition_config_selectorILNS1_17partition_subalgoE5EsNS0_10empty_typeEbEEZZNS1_14partition_implILS5_5ELb0ES3_mN6thrust23THRUST_200600_302600_NS6detail15normal_iteratorINSA_10device_ptrIsEEEEPS6_NSA_18transform_iteratorINSB_9not_fun_tI7is_trueIsEEENSC_INSD_IbEEEENSA_11use_defaultESO_EENS0_5tupleIJSF_S6_EEENSQ_IJSG_SG_EEES6_PlJS6_EEE10hipError_tPvRmT3_T4_T5_T6_T7_T9_mT8_P12ihipStream_tbDpT10_ENKUlT_T0_E_clISt17integral_constantIbLb1EES1C_IbLb0EEEEDaS18_S19_EUlS18_E_NS1_11comp_targetILNS1_3genE5ELNS1_11target_archE942ELNS1_3gpuE9ELNS1_3repE0EEENS1_30default_config_static_selectorELNS0_4arch9wavefront6targetE0EEEvT1_.num_named_barrier, 0
	.set _ZN7rocprim17ROCPRIM_400000_NS6detail17trampoline_kernelINS0_14default_configENS1_25partition_config_selectorILNS1_17partition_subalgoE5EsNS0_10empty_typeEbEEZZNS1_14partition_implILS5_5ELb0ES3_mN6thrust23THRUST_200600_302600_NS6detail15normal_iteratorINSA_10device_ptrIsEEEEPS6_NSA_18transform_iteratorINSB_9not_fun_tI7is_trueIsEEENSC_INSD_IbEEEENSA_11use_defaultESO_EENS0_5tupleIJSF_S6_EEENSQ_IJSG_SG_EEES6_PlJS6_EEE10hipError_tPvRmT3_T4_T5_T6_T7_T9_mT8_P12ihipStream_tbDpT10_ENKUlT_T0_E_clISt17integral_constantIbLb1EES1C_IbLb0EEEEDaS18_S19_EUlS18_E_NS1_11comp_targetILNS1_3genE5ELNS1_11target_archE942ELNS1_3gpuE9ELNS1_3repE0EEENS1_30default_config_static_selectorELNS0_4arch9wavefront6targetE0EEEvT1_.private_seg_size, 0
	.set _ZN7rocprim17ROCPRIM_400000_NS6detail17trampoline_kernelINS0_14default_configENS1_25partition_config_selectorILNS1_17partition_subalgoE5EsNS0_10empty_typeEbEEZZNS1_14partition_implILS5_5ELb0ES3_mN6thrust23THRUST_200600_302600_NS6detail15normal_iteratorINSA_10device_ptrIsEEEEPS6_NSA_18transform_iteratorINSB_9not_fun_tI7is_trueIsEEENSC_INSD_IbEEEENSA_11use_defaultESO_EENS0_5tupleIJSF_S6_EEENSQ_IJSG_SG_EEES6_PlJS6_EEE10hipError_tPvRmT3_T4_T5_T6_T7_T9_mT8_P12ihipStream_tbDpT10_ENKUlT_T0_E_clISt17integral_constantIbLb1EES1C_IbLb0EEEEDaS18_S19_EUlS18_E_NS1_11comp_targetILNS1_3genE5ELNS1_11target_archE942ELNS1_3gpuE9ELNS1_3repE0EEENS1_30default_config_static_selectorELNS0_4arch9wavefront6targetE0EEEvT1_.uses_vcc, 0
	.set _ZN7rocprim17ROCPRIM_400000_NS6detail17trampoline_kernelINS0_14default_configENS1_25partition_config_selectorILNS1_17partition_subalgoE5EsNS0_10empty_typeEbEEZZNS1_14partition_implILS5_5ELb0ES3_mN6thrust23THRUST_200600_302600_NS6detail15normal_iteratorINSA_10device_ptrIsEEEEPS6_NSA_18transform_iteratorINSB_9not_fun_tI7is_trueIsEEENSC_INSD_IbEEEENSA_11use_defaultESO_EENS0_5tupleIJSF_S6_EEENSQ_IJSG_SG_EEES6_PlJS6_EEE10hipError_tPvRmT3_T4_T5_T6_T7_T9_mT8_P12ihipStream_tbDpT10_ENKUlT_T0_E_clISt17integral_constantIbLb1EES1C_IbLb0EEEEDaS18_S19_EUlS18_E_NS1_11comp_targetILNS1_3genE5ELNS1_11target_archE942ELNS1_3gpuE9ELNS1_3repE0EEENS1_30default_config_static_selectorELNS0_4arch9wavefront6targetE0EEEvT1_.uses_flat_scratch, 0
	.set _ZN7rocprim17ROCPRIM_400000_NS6detail17trampoline_kernelINS0_14default_configENS1_25partition_config_selectorILNS1_17partition_subalgoE5EsNS0_10empty_typeEbEEZZNS1_14partition_implILS5_5ELb0ES3_mN6thrust23THRUST_200600_302600_NS6detail15normal_iteratorINSA_10device_ptrIsEEEEPS6_NSA_18transform_iteratorINSB_9not_fun_tI7is_trueIsEEENSC_INSD_IbEEEENSA_11use_defaultESO_EENS0_5tupleIJSF_S6_EEENSQ_IJSG_SG_EEES6_PlJS6_EEE10hipError_tPvRmT3_T4_T5_T6_T7_T9_mT8_P12ihipStream_tbDpT10_ENKUlT_T0_E_clISt17integral_constantIbLb1EES1C_IbLb0EEEEDaS18_S19_EUlS18_E_NS1_11comp_targetILNS1_3genE5ELNS1_11target_archE942ELNS1_3gpuE9ELNS1_3repE0EEENS1_30default_config_static_selectorELNS0_4arch9wavefront6targetE0EEEvT1_.has_dyn_sized_stack, 0
	.set _ZN7rocprim17ROCPRIM_400000_NS6detail17trampoline_kernelINS0_14default_configENS1_25partition_config_selectorILNS1_17partition_subalgoE5EsNS0_10empty_typeEbEEZZNS1_14partition_implILS5_5ELb0ES3_mN6thrust23THRUST_200600_302600_NS6detail15normal_iteratorINSA_10device_ptrIsEEEEPS6_NSA_18transform_iteratorINSB_9not_fun_tI7is_trueIsEEENSC_INSD_IbEEEENSA_11use_defaultESO_EENS0_5tupleIJSF_S6_EEENSQ_IJSG_SG_EEES6_PlJS6_EEE10hipError_tPvRmT3_T4_T5_T6_T7_T9_mT8_P12ihipStream_tbDpT10_ENKUlT_T0_E_clISt17integral_constantIbLb1EES1C_IbLb0EEEEDaS18_S19_EUlS18_E_NS1_11comp_targetILNS1_3genE5ELNS1_11target_archE942ELNS1_3gpuE9ELNS1_3repE0EEENS1_30default_config_static_selectorELNS0_4arch9wavefront6targetE0EEEvT1_.has_recursion, 0
	.set _ZN7rocprim17ROCPRIM_400000_NS6detail17trampoline_kernelINS0_14default_configENS1_25partition_config_selectorILNS1_17partition_subalgoE5EsNS0_10empty_typeEbEEZZNS1_14partition_implILS5_5ELb0ES3_mN6thrust23THRUST_200600_302600_NS6detail15normal_iteratorINSA_10device_ptrIsEEEEPS6_NSA_18transform_iteratorINSB_9not_fun_tI7is_trueIsEEENSC_INSD_IbEEEENSA_11use_defaultESO_EENS0_5tupleIJSF_S6_EEENSQ_IJSG_SG_EEES6_PlJS6_EEE10hipError_tPvRmT3_T4_T5_T6_T7_T9_mT8_P12ihipStream_tbDpT10_ENKUlT_T0_E_clISt17integral_constantIbLb1EES1C_IbLb0EEEEDaS18_S19_EUlS18_E_NS1_11comp_targetILNS1_3genE5ELNS1_11target_archE942ELNS1_3gpuE9ELNS1_3repE0EEENS1_30default_config_static_selectorELNS0_4arch9wavefront6targetE0EEEvT1_.has_indirect_call, 0
	.section	.AMDGPU.csdata,"",@progbits
; Kernel info:
; codeLenInByte = 0
; TotalNumSgprs: 0
; NumVgprs: 0
; ScratchSize: 0
; MemoryBound: 0
; FloatMode: 240
; IeeeMode: 1
; LDSByteSize: 0 bytes/workgroup (compile time only)
; SGPRBlocks: 0
; VGPRBlocks: 0
; NumSGPRsForWavesPerEU: 1
; NumVGPRsForWavesPerEU: 1
; Occupancy: 16
; WaveLimiterHint : 0
; COMPUTE_PGM_RSRC2:SCRATCH_EN: 0
; COMPUTE_PGM_RSRC2:USER_SGPR: 2
; COMPUTE_PGM_RSRC2:TRAP_HANDLER: 0
; COMPUTE_PGM_RSRC2:TGID_X_EN: 1
; COMPUTE_PGM_RSRC2:TGID_Y_EN: 0
; COMPUTE_PGM_RSRC2:TGID_Z_EN: 0
; COMPUTE_PGM_RSRC2:TIDIG_COMP_CNT: 0
	.section	.text._ZN7rocprim17ROCPRIM_400000_NS6detail17trampoline_kernelINS0_14default_configENS1_25partition_config_selectorILNS1_17partition_subalgoE5EsNS0_10empty_typeEbEEZZNS1_14partition_implILS5_5ELb0ES3_mN6thrust23THRUST_200600_302600_NS6detail15normal_iteratorINSA_10device_ptrIsEEEEPS6_NSA_18transform_iteratorINSB_9not_fun_tI7is_trueIsEEENSC_INSD_IbEEEENSA_11use_defaultESO_EENS0_5tupleIJSF_S6_EEENSQ_IJSG_SG_EEES6_PlJS6_EEE10hipError_tPvRmT3_T4_T5_T6_T7_T9_mT8_P12ihipStream_tbDpT10_ENKUlT_T0_E_clISt17integral_constantIbLb1EES1C_IbLb0EEEEDaS18_S19_EUlS18_E_NS1_11comp_targetILNS1_3genE4ELNS1_11target_archE910ELNS1_3gpuE8ELNS1_3repE0EEENS1_30default_config_static_selectorELNS0_4arch9wavefront6targetE0EEEvT1_,"axG",@progbits,_ZN7rocprim17ROCPRIM_400000_NS6detail17trampoline_kernelINS0_14default_configENS1_25partition_config_selectorILNS1_17partition_subalgoE5EsNS0_10empty_typeEbEEZZNS1_14partition_implILS5_5ELb0ES3_mN6thrust23THRUST_200600_302600_NS6detail15normal_iteratorINSA_10device_ptrIsEEEEPS6_NSA_18transform_iteratorINSB_9not_fun_tI7is_trueIsEEENSC_INSD_IbEEEENSA_11use_defaultESO_EENS0_5tupleIJSF_S6_EEENSQ_IJSG_SG_EEES6_PlJS6_EEE10hipError_tPvRmT3_T4_T5_T6_T7_T9_mT8_P12ihipStream_tbDpT10_ENKUlT_T0_E_clISt17integral_constantIbLb1EES1C_IbLb0EEEEDaS18_S19_EUlS18_E_NS1_11comp_targetILNS1_3genE4ELNS1_11target_archE910ELNS1_3gpuE8ELNS1_3repE0EEENS1_30default_config_static_selectorELNS0_4arch9wavefront6targetE0EEEvT1_,comdat
	.protected	_ZN7rocprim17ROCPRIM_400000_NS6detail17trampoline_kernelINS0_14default_configENS1_25partition_config_selectorILNS1_17partition_subalgoE5EsNS0_10empty_typeEbEEZZNS1_14partition_implILS5_5ELb0ES3_mN6thrust23THRUST_200600_302600_NS6detail15normal_iteratorINSA_10device_ptrIsEEEEPS6_NSA_18transform_iteratorINSB_9not_fun_tI7is_trueIsEEENSC_INSD_IbEEEENSA_11use_defaultESO_EENS0_5tupleIJSF_S6_EEENSQ_IJSG_SG_EEES6_PlJS6_EEE10hipError_tPvRmT3_T4_T5_T6_T7_T9_mT8_P12ihipStream_tbDpT10_ENKUlT_T0_E_clISt17integral_constantIbLb1EES1C_IbLb0EEEEDaS18_S19_EUlS18_E_NS1_11comp_targetILNS1_3genE4ELNS1_11target_archE910ELNS1_3gpuE8ELNS1_3repE0EEENS1_30default_config_static_selectorELNS0_4arch9wavefront6targetE0EEEvT1_ ; -- Begin function _ZN7rocprim17ROCPRIM_400000_NS6detail17trampoline_kernelINS0_14default_configENS1_25partition_config_selectorILNS1_17partition_subalgoE5EsNS0_10empty_typeEbEEZZNS1_14partition_implILS5_5ELb0ES3_mN6thrust23THRUST_200600_302600_NS6detail15normal_iteratorINSA_10device_ptrIsEEEEPS6_NSA_18transform_iteratorINSB_9not_fun_tI7is_trueIsEEENSC_INSD_IbEEEENSA_11use_defaultESO_EENS0_5tupleIJSF_S6_EEENSQ_IJSG_SG_EEES6_PlJS6_EEE10hipError_tPvRmT3_T4_T5_T6_T7_T9_mT8_P12ihipStream_tbDpT10_ENKUlT_T0_E_clISt17integral_constantIbLb1EES1C_IbLb0EEEEDaS18_S19_EUlS18_E_NS1_11comp_targetILNS1_3genE4ELNS1_11target_archE910ELNS1_3gpuE8ELNS1_3repE0EEENS1_30default_config_static_selectorELNS0_4arch9wavefront6targetE0EEEvT1_
	.globl	_ZN7rocprim17ROCPRIM_400000_NS6detail17trampoline_kernelINS0_14default_configENS1_25partition_config_selectorILNS1_17partition_subalgoE5EsNS0_10empty_typeEbEEZZNS1_14partition_implILS5_5ELb0ES3_mN6thrust23THRUST_200600_302600_NS6detail15normal_iteratorINSA_10device_ptrIsEEEEPS6_NSA_18transform_iteratorINSB_9not_fun_tI7is_trueIsEEENSC_INSD_IbEEEENSA_11use_defaultESO_EENS0_5tupleIJSF_S6_EEENSQ_IJSG_SG_EEES6_PlJS6_EEE10hipError_tPvRmT3_T4_T5_T6_T7_T9_mT8_P12ihipStream_tbDpT10_ENKUlT_T0_E_clISt17integral_constantIbLb1EES1C_IbLb0EEEEDaS18_S19_EUlS18_E_NS1_11comp_targetILNS1_3genE4ELNS1_11target_archE910ELNS1_3gpuE8ELNS1_3repE0EEENS1_30default_config_static_selectorELNS0_4arch9wavefront6targetE0EEEvT1_
	.p2align	8
	.type	_ZN7rocprim17ROCPRIM_400000_NS6detail17trampoline_kernelINS0_14default_configENS1_25partition_config_selectorILNS1_17partition_subalgoE5EsNS0_10empty_typeEbEEZZNS1_14partition_implILS5_5ELb0ES3_mN6thrust23THRUST_200600_302600_NS6detail15normal_iteratorINSA_10device_ptrIsEEEEPS6_NSA_18transform_iteratorINSB_9not_fun_tI7is_trueIsEEENSC_INSD_IbEEEENSA_11use_defaultESO_EENS0_5tupleIJSF_S6_EEENSQ_IJSG_SG_EEES6_PlJS6_EEE10hipError_tPvRmT3_T4_T5_T6_T7_T9_mT8_P12ihipStream_tbDpT10_ENKUlT_T0_E_clISt17integral_constantIbLb1EES1C_IbLb0EEEEDaS18_S19_EUlS18_E_NS1_11comp_targetILNS1_3genE4ELNS1_11target_archE910ELNS1_3gpuE8ELNS1_3repE0EEENS1_30default_config_static_selectorELNS0_4arch9wavefront6targetE0EEEvT1_,@function
_ZN7rocprim17ROCPRIM_400000_NS6detail17trampoline_kernelINS0_14default_configENS1_25partition_config_selectorILNS1_17partition_subalgoE5EsNS0_10empty_typeEbEEZZNS1_14partition_implILS5_5ELb0ES3_mN6thrust23THRUST_200600_302600_NS6detail15normal_iteratorINSA_10device_ptrIsEEEEPS6_NSA_18transform_iteratorINSB_9not_fun_tI7is_trueIsEEENSC_INSD_IbEEEENSA_11use_defaultESO_EENS0_5tupleIJSF_S6_EEENSQ_IJSG_SG_EEES6_PlJS6_EEE10hipError_tPvRmT3_T4_T5_T6_T7_T9_mT8_P12ihipStream_tbDpT10_ENKUlT_T0_E_clISt17integral_constantIbLb1EES1C_IbLb0EEEEDaS18_S19_EUlS18_E_NS1_11comp_targetILNS1_3genE4ELNS1_11target_archE910ELNS1_3gpuE8ELNS1_3repE0EEENS1_30default_config_static_selectorELNS0_4arch9wavefront6targetE0EEEvT1_: ; @_ZN7rocprim17ROCPRIM_400000_NS6detail17trampoline_kernelINS0_14default_configENS1_25partition_config_selectorILNS1_17partition_subalgoE5EsNS0_10empty_typeEbEEZZNS1_14partition_implILS5_5ELb0ES3_mN6thrust23THRUST_200600_302600_NS6detail15normal_iteratorINSA_10device_ptrIsEEEEPS6_NSA_18transform_iteratorINSB_9not_fun_tI7is_trueIsEEENSC_INSD_IbEEEENSA_11use_defaultESO_EENS0_5tupleIJSF_S6_EEENSQ_IJSG_SG_EEES6_PlJS6_EEE10hipError_tPvRmT3_T4_T5_T6_T7_T9_mT8_P12ihipStream_tbDpT10_ENKUlT_T0_E_clISt17integral_constantIbLb1EES1C_IbLb0EEEEDaS18_S19_EUlS18_E_NS1_11comp_targetILNS1_3genE4ELNS1_11target_archE910ELNS1_3gpuE8ELNS1_3repE0EEENS1_30default_config_static_selectorELNS0_4arch9wavefront6targetE0EEEvT1_
; %bb.0:
	.section	.rodata,"a",@progbits
	.p2align	6, 0x0
	.amdhsa_kernel _ZN7rocprim17ROCPRIM_400000_NS6detail17trampoline_kernelINS0_14default_configENS1_25partition_config_selectorILNS1_17partition_subalgoE5EsNS0_10empty_typeEbEEZZNS1_14partition_implILS5_5ELb0ES3_mN6thrust23THRUST_200600_302600_NS6detail15normal_iteratorINSA_10device_ptrIsEEEEPS6_NSA_18transform_iteratorINSB_9not_fun_tI7is_trueIsEEENSC_INSD_IbEEEENSA_11use_defaultESO_EENS0_5tupleIJSF_S6_EEENSQ_IJSG_SG_EEES6_PlJS6_EEE10hipError_tPvRmT3_T4_T5_T6_T7_T9_mT8_P12ihipStream_tbDpT10_ENKUlT_T0_E_clISt17integral_constantIbLb1EES1C_IbLb0EEEEDaS18_S19_EUlS18_E_NS1_11comp_targetILNS1_3genE4ELNS1_11target_archE910ELNS1_3gpuE8ELNS1_3repE0EEENS1_30default_config_static_selectorELNS0_4arch9wavefront6targetE0EEEvT1_
		.amdhsa_group_segment_fixed_size 0
		.amdhsa_private_segment_fixed_size 0
		.amdhsa_kernarg_size 120
		.amdhsa_user_sgpr_count 2
		.amdhsa_user_sgpr_dispatch_ptr 0
		.amdhsa_user_sgpr_queue_ptr 0
		.amdhsa_user_sgpr_kernarg_segment_ptr 1
		.amdhsa_user_sgpr_dispatch_id 0
		.amdhsa_user_sgpr_private_segment_size 0
		.amdhsa_wavefront_size32 1
		.amdhsa_uses_dynamic_stack 0
		.amdhsa_enable_private_segment 0
		.amdhsa_system_sgpr_workgroup_id_x 1
		.amdhsa_system_sgpr_workgroup_id_y 0
		.amdhsa_system_sgpr_workgroup_id_z 0
		.amdhsa_system_sgpr_workgroup_info 0
		.amdhsa_system_vgpr_workitem_id 0
		.amdhsa_next_free_vgpr 1
		.amdhsa_next_free_sgpr 1
		.amdhsa_reserve_vcc 0
		.amdhsa_float_round_mode_32 0
		.amdhsa_float_round_mode_16_64 0
		.amdhsa_float_denorm_mode_32 3
		.amdhsa_float_denorm_mode_16_64 3
		.amdhsa_fp16_overflow 0
		.amdhsa_workgroup_processor_mode 1
		.amdhsa_memory_ordered 1
		.amdhsa_forward_progress 1
		.amdhsa_inst_pref_size 0
		.amdhsa_round_robin_scheduling 0
		.amdhsa_exception_fp_ieee_invalid_op 0
		.amdhsa_exception_fp_denorm_src 0
		.amdhsa_exception_fp_ieee_div_zero 0
		.amdhsa_exception_fp_ieee_overflow 0
		.amdhsa_exception_fp_ieee_underflow 0
		.amdhsa_exception_fp_ieee_inexact 0
		.amdhsa_exception_int_div_zero 0
	.end_amdhsa_kernel
	.section	.text._ZN7rocprim17ROCPRIM_400000_NS6detail17trampoline_kernelINS0_14default_configENS1_25partition_config_selectorILNS1_17partition_subalgoE5EsNS0_10empty_typeEbEEZZNS1_14partition_implILS5_5ELb0ES3_mN6thrust23THRUST_200600_302600_NS6detail15normal_iteratorINSA_10device_ptrIsEEEEPS6_NSA_18transform_iteratorINSB_9not_fun_tI7is_trueIsEEENSC_INSD_IbEEEENSA_11use_defaultESO_EENS0_5tupleIJSF_S6_EEENSQ_IJSG_SG_EEES6_PlJS6_EEE10hipError_tPvRmT3_T4_T5_T6_T7_T9_mT8_P12ihipStream_tbDpT10_ENKUlT_T0_E_clISt17integral_constantIbLb1EES1C_IbLb0EEEEDaS18_S19_EUlS18_E_NS1_11comp_targetILNS1_3genE4ELNS1_11target_archE910ELNS1_3gpuE8ELNS1_3repE0EEENS1_30default_config_static_selectorELNS0_4arch9wavefront6targetE0EEEvT1_,"axG",@progbits,_ZN7rocprim17ROCPRIM_400000_NS6detail17trampoline_kernelINS0_14default_configENS1_25partition_config_selectorILNS1_17partition_subalgoE5EsNS0_10empty_typeEbEEZZNS1_14partition_implILS5_5ELb0ES3_mN6thrust23THRUST_200600_302600_NS6detail15normal_iteratorINSA_10device_ptrIsEEEEPS6_NSA_18transform_iteratorINSB_9not_fun_tI7is_trueIsEEENSC_INSD_IbEEEENSA_11use_defaultESO_EENS0_5tupleIJSF_S6_EEENSQ_IJSG_SG_EEES6_PlJS6_EEE10hipError_tPvRmT3_T4_T5_T6_T7_T9_mT8_P12ihipStream_tbDpT10_ENKUlT_T0_E_clISt17integral_constantIbLb1EES1C_IbLb0EEEEDaS18_S19_EUlS18_E_NS1_11comp_targetILNS1_3genE4ELNS1_11target_archE910ELNS1_3gpuE8ELNS1_3repE0EEENS1_30default_config_static_selectorELNS0_4arch9wavefront6targetE0EEEvT1_,comdat
.Lfunc_end2575:
	.size	_ZN7rocprim17ROCPRIM_400000_NS6detail17trampoline_kernelINS0_14default_configENS1_25partition_config_selectorILNS1_17partition_subalgoE5EsNS0_10empty_typeEbEEZZNS1_14partition_implILS5_5ELb0ES3_mN6thrust23THRUST_200600_302600_NS6detail15normal_iteratorINSA_10device_ptrIsEEEEPS6_NSA_18transform_iteratorINSB_9not_fun_tI7is_trueIsEEENSC_INSD_IbEEEENSA_11use_defaultESO_EENS0_5tupleIJSF_S6_EEENSQ_IJSG_SG_EEES6_PlJS6_EEE10hipError_tPvRmT3_T4_T5_T6_T7_T9_mT8_P12ihipStream_tbDpT10_ENKUlT_T0_E_clISt17integral_constantIbLb1EES1C_IbLb0EEEEDaS18_S19_EUlS18_E_NS1_11comp_targetILNS1_3genE4ELNS1_11target_archE910ELNS1_3gpuE8ELNS1_3repE0EEENS1_30default_config_static_selectorELNS0_4arch9wavefront6targetE0EEEvT1_, .Lfunc_end2575-_ZN7rocprim17ROCPRIM_400000_NS6detail17trampoline_kernelINS0_14default_configENS1_25partition_config_selectorILNS1_17partition_subalgoE5EsNS0_10empty_typeEbEEZZNS1_14partition_implILS5_5ELb0ES3_mN6thrust23THRUST_200600_302600_NS6detail15normal_iteratorINSA_10device_ptrIsEEEEPS6_NSA_18transform_iteratorINSB_9not_fun_tI7is_trueIsEEENSC_INSD_IbEEEENSA_11use_defaultESO_EENS0_5tupleIJSF_S6_EEENSQ_IJSG_SG_EEES6_PlJS6_EEE10hipError_tPvRmT3_T4_T5_T6_T7_T9_mT8_P12ihipStream_tbDpT10_ENKUlT_T0_E_clISt17integral_constantIbLb1EES1C_IbLb0EEEEDaS18_S19_EUlS18_E_NS1_11comp_targetILNS1_3genE4ELNS1_11target_archE910ELNS1_3gpuE8ELNS1_3repE0EEENS1_30default_config_static_selectorELNS0_4arch9wavefront6targetE0EEEvT1_
                                        ; -- End function
	.set _ZN7rocprim17ROCPRIM_400000_NS6detail17trampoline_kernelINS0_14default_configENS1_25partition_config_selectorILNS1_17partition_subalgoE5EsNS0_10empty_typeEbEEZZNS1_14partition_implILS5_5ELb0ES3_mN6thrust23THRUST_200600_302600_NS6detail15normal_iteratorINSA_10device_ptrIsEEEEPS6_NSA_18transform_iteratorINSB_9not_fun_tI7is_trueIsEEENSC_INSD_IbEEEENSA_11use_defaultESO_EENS0_5tupleIJSF_S6_EEENSQ_IJSG_SG_EEES6_PlJS6_EEE10hipError_tPvRmT3_T4_T5_T6_T7_T9_mT8_P12ihipStream_tbDpT10_ENKUlT_T0_E_clISt17integral_constantIbLb1EES1C_IbLb0EEEEDaS18_S19_EUlS18_E_NS1_11comp_targetILNS1_3genE4ELNS1_11target_archE910ELNS1_3gpuE8ELNS1_3repE0EEENS1_30default_config_static_selectorELNS0_4arch9wavefront6targetE0EEEvT1_.num_vgpr, 0
	.set _ZN7rocprim17ROCPRIM_400000_NS6detail17trampoline_kernelINS0_14default_configENS1_25partition_config_selectorILNS1_17partition_subalgoE5EsNS0_10empty_typeEbEEZZNS1_14partition_implILS5_5ELb0ES3_mN6thrust23THRUST_200600_302600_NS6detail15normal_iteratorINSA_10device_ptrIsEEEEPS6_NSA_18transform_iteratorINSB_9not_fun_tI7is_trueIsEEENSC_INSD_IbEEEENSA_11use_defaultESO_EENS0_5tupleIJSF_S6_EEENSQ_IJSG_SG_EEES6_PlJS6_EEE10hipError_tPvRmT3_T4_T5_T6_T7_T9_mT8_P12ihipStream_tbDpT10_ENKUlT_T0_E_clISt17integral_constantIbLb1EES1C_IbLb0EEEEDaS18_S19_EUlS18_E_NS1_11comp_targetILNS1_3genE4ELNS1_11target_archE910ELNS1_3gpuE8ELNS1_3repE0EEENS1_30default_config_static_selectorELNS0_4arch9wavefront6targetE0EEEvT1_.num_agpr, 0
	.set _ZN7rocprim17ROCPRIM_400000_NS6detail17trampoline_kernelINS0_14default_configENS1_25partition_config_selectorILNS1_17partition_subalgoE5EsNS0_10empty_typeEbEEZZNS1_14partition_implILS5_5ELb0ES3_mN6thrust23THRUST_200600_302600_NS6detail15normal_iteratorINSA_10device_ptrIsEEEEPS6_NSA_18transform_iteratorINSB_9not_fun_tI7is_trueIsEEENSC_INSD_IbEEEENSA_11use_defaultESO_EENS0_5tupleIJSF_S6_EEENSQ_IJSG_SG_EEES6_PlJS6_EEE10hipError_tPvRmT3_T4_T5_T6_T7_T9_mT8_P12ihipStream_tbDpT10_ENKUlT_T0_E_clISt17integral_constantIbLb1EES1C_IbLb0EEEEDaS18_S19_EUlS18_E_NS1_11comp_targetILNS1_3genE4ELNS1_11target_archE910ELNS1_3gpuE8ELNS1_3repE0EEENS1_30default_config_static_selectorELNS0_4arch9wavefront6targetE0EEEvT1_.numbered_sgpr, 0
	.set _ZN7rocprim17ROCPRIM_400000_NS6detail17trampoline_kernelINS0_14default_configENS1_25partition_config_selectorILNS1_17partition_subalgoE5EsNS0_10empty_typeEbEEZZNS1_14partition_implILS5_5ELb0ES3_mN6thrust23THRUST_200600_302600_NS6detail15normal_iteratorINSA_10device_ptrIsEEEEPS6_NSA_18transform_iteratorINSB_9not_fun_tI7is_trueIsEEENSC_INSD_IbEEEENSA_11use_defaultESO_EENS0_5tupleIJSF_S6_EEENSQ_IJSG_SG_EEES6_PlJS6_EEE10hipError_tPvRmT3_T4_T5_T6_T7_T9_mT8_P12ihipStream_tbDpT10_ENKUlT_T0_E_clISt17integral_constantIbLb1EES1C_IbLb0EEEEDaS18_S19_EUlS18_E_NS1_11comp_targetILNS1_3genE4ELNS1_11target_archE910ELNS1_3gpuE8ELNS1_3repE0EEENS1_30default_config_static_selectorELNS0_4arch9wavefront6targetE0EEEvT1_.num_named_barrier, 0
	.set _ZN7rocprim17ROCPRIM_400000_NS6detail17trampoline_kernelINS0_14default_configENS1_25partition_config_selectorILNS1_17partition_subalgoE5EsNS0_10empty_typeEbEEZZNS1_14partition_implILS5_5ELb0ES3_mN6thrust23THRUST_200600_302600_NS6detail15normal_iteratorINSA_10device_ptrIsEEEEPS6_NSA_18transform_iteratorINSB_9not_fun_tI7is_trueIsEEENSC_INSD_IbEEEENSA_11use_defaultESO_EENS0_5tupleIJSF_S6_EEENSQ_IJSG_SG_EEES6_PlJS6_EEE10hipError_tPvRmT3_T4_T5_T6_T7_T9_mT8_P12ihipStream_tbDpT10_ENKUlT_T0_E_clISt17integral_constantIbLb1EES1C_IbLb0EEEEDaS18_S19_EUlS18_E_NS1_11comp_targetILNS1_3genE4ELNS1_11target_archE910ELNS1_3gpuE8ELNS1_3repE0EEENS1_30default_config_static_selectorELNS0_4arch9wavefront6targetE0EEEvT1_.private_seg_size, 0
	.set _ZN7rocprim17ROCPRIM_400000_NS6detail17trampoline_kernelINS0_14default_configENS1_25partition_config_selectorILNS1_17partition_subalgoE5EsNS0_10empty_typeEbEEZZNS1_14partition_implILS5_5ELb0ES3_mN6thrust23THRUST_200600_302600_NS6detail15normal_iteratorINSA_10device_ptrIsEEEEPS6_NSA_18transform_iteratorINSB_9not_fun_tI7is_trueIsEEENSC_INSD_IbEEEENSA_11use_defaultESO_EENS0_5tupleIJSF_S6_EEENSQ_IJSG_SG_EEES6_PlJS6_EEE10hipError_tPvRmT3_T4_T5_T6_T7_T9_mT8_P12ihipStream_tbDpT10_ENKUlT_T0_E_clISt17integral_constantIbLb1EES1C_IbLb0EEEEDaS18_S19_EUlS18_E_NS1_11comp_targetILNS1_3genE4ELNS1_11target_archE910ELNS1_3gpuE8ELNS1_3repE0EEENS1_30default_config_static_selectorELNS0_4arch9wavefront6targetE0EEEvT1_.uses_vcc, 0
	.set _ZN7rocprim17ROCPRIM_400000_NS6detail17trampoline_kernelINS0_14default_configENS1_25partition_config_selectorILNS1_17partition_subalgoE5EsNS0_10empty_typeEbEEZZNS1_14partition_implILS5_5ELb0ES3_mN6thrust23THRUST_200600_302600_NS6detail15normal_iteratorINSA_10device_ptrIsEEEEPS6_NSA_18transform_iteratorINSB_9not_fun_tI7is_trueIsEEENSC_INSD_IbEEEENSA_11use_defaultESO_EENS0_5tupleIJSF_S6_EEENSQ_IJSG_SG_EEES6_PlJS6_EEE10hipError_tPvRmT3_T4_T5_T6_T7_T9_mT8_P12ihipStream_tbDpT10_ENKUlT_T0_E_clISt17integral_constantIbLb1EES1C_IbLb0EEEEDaS18_S19_EUlS18_E_NS1_11comp_targetILNS1_3genE4ELNS1_11target_archE910ELNS1_3gpuE8ELNS1_3repE0EEENS1_30default_config_static_selectorELNS0_4arch9wavefront6targetE0EEEvT1_.uses_flat_scratch, 0
	.set _ZN7rocprim17ROCPRIM_400000_NS6detail17trampoline_kernelINS0_14default_configENS1_25partition_config_selectorILNS1_17partition_subalgoE5EsNS0_10empty_typeEbEEZZNS1_14partition_implILS5_5ELb0ES3_mN6thrust23THRUST_200600_302600_NS6detail15normal_iteratorINSA_10device_ptrIsEEEEPS6_NSA_18transform_iteratorINSB_9not_fun_tI7is_trueIsEEENSC_INSD_IbEEEENSA_11use_defaultESO_EENS0_5tupleIJSF_S6_EEENSQ_IJSG_SG_EEES6_PlJS6_EEE10hipError_tPvRmT3_T4_T5_T6_T7_T9_mT8_P12ihipStream_tbDpT10_ENKUlT_T0_E_clISt17integral_constantIbLb1EES1C_IbLb0EEEEDaS18_S19_EUlS18_E_NS1_11comp_targetILNS1_3genE4ELNS1_11target_archE910ELNS1_3gpuE8ELNS1_3repE0EEENS1_30default_config_static_selectorELNS0_4arch9wavefront6targetE0EEEvT1_.has_dyn_sized_stack, 0
	.set _ZN7rocprim17ROCPRIM_400000_NS6detail17trampoline_kernelINS0_14default_configENS1_25partition_config_selectorILNS1_17partition_subalgoE5EsNS0_10empty_typeEbEEZZNS1_14partition_implILS5_5ELb0ES3_mN6thrust23THRUST_200600_302600_NS6detail15normal_iteratorINSA_10device_ptrIsEEEEPS6_NSA_18transform_iteratorINSB_9not_fun_tI7is_trueIsEEENSC_INSD_IbEEEENSA_11use_defaultESO_EENS0_5tupleIJSF_S6_EEENSQ_IJSG_SG_EEES6_PlJS6_EEE10hipError_tPvRmT3_T4_T5_T6_T7_T9_mT8_P12ihipStream_tbDpT10_ENKUlT_T0_E_clISt17integral_constantIbLb1EES1C_IbLb0EEEEDaS18_S19_EUlS18_E_NS1_11comp_targetILNS1_3genE4ELNS1_11target_archE910ELNS1_3gpuE8ELNS1_3repE0EEENS1_30default_config_static_selectorELNS0_4arch9wavefront6targetE0EEEvT1_.has_recursion, 0
	.set _ZN7rocprim17ROCPRIM_400000_NS6detail17trampoline_kernelINS0_14default_configENS1_25partition_config_selectorILNS1_17partition_subalgoE5EsNS0_10empty_typeEbEEZZNS1_14partition_implILS5_5ELb0ES3_mN6thrust23THRUST_200600_302600_NS6detail15normal_iteratorINSA_10device_ptrIsEEEEPS6_NSA_18transform_iteratorINSB_9not_fun_tI7is_trueIsEEENSC_INSD_IbEEEENSA_11use_defaultESO_EENS0_5tupleIJSF_S6_EEENSQ_IJSG_SG_EEES6_PlJS6_EEE10hipError_tPvRmT3_T4_T5_T6_T7_T9_mT8_P12ihipStream_tbDpT10_ENKUlT_T0_E_clISt17integral_constantIbLb1EES1C_IbLb0EEEEDaS18_S19_EUlS18_E_NS1_11comp_targetILNS1_3genE4ELNS1_11target_archE910ELNS1_3gpuE8ELNS1_3repE0EEENS1_30default_config_static_selectorELNS0_4arch9wavefront6targetE0EEEvT1_.has_indirect_call, 0
	.section	.AMDGPU.csdata,"",@progbits
; Kernel info:
; codeLenInByte = 0
; TotalNumSgprs: 0
; NumVgprs: 0
; ScratchSize: 0
; MemoryBound: 0
; FloatMode: 240
; IeeeMode: 1
; LDSByteSize: 0 bytes/workgroup (compile time only)
; SGPRBlocks: 0
; VGPRBlocks: 0
; NumSGPRsForWavesPerEU: 1
; NumVGPRsForWavesPerEU: 1
; Occupancy: 16
; WaveLimiterHint : 0
; COMPUTE_PGM_RSRC2:SCRATCH_EN: 0
; COMPUTE_PGM_RSRC2:USER_SGPR: 2
; COMPUTE_PGM_RSRC2:TRAP_HANDLER: 0
; COMPUTE_PGM_RSRC2:TGID_X_EN: 1
; COMPUTE_PGM_RSRC2:TGID_Y_EN: 0
; COMPUTE_PGM_RSRC2:TGID_Z_EN: 0
; COMPUTE_PGM_RSRC2:TIDIG_COMP_CNT: 0
	.section	.text._ZN7rocprim17ROCPRIM_400000_NS6detail17trampoline_kernelINS0_14default_configENS1_25partition_config_selectorILNS1_17partition_subalgoE5EsNS0_10empty_typeEbEEZZNS1_14partition_implILS5_5ELb0ES3_mN6thrust23THRUST_200600_302600_NS6detail15normal_iteratorINSA_10device_ptrIsEEEEPS6_NSA_18transform_iteratorINSB_9not_fun_tI7is_trueIsEEENSC_INSD_IbEEEENSA_11use_defaultESO_EENS0_5tupleIJSF_S6_EEENSQ_IJSG_SG_EEES6_PlJS6_EEE10hipError_tPvRmT3_T4_T5_T6_T7_T9_mT8_P12ihipStream_tbDpT10_ENKUlT_T0_E_clISt17integral_constantIbLb1EES1C_IbLb0EEEEDaS18_S19_EUlS18_E_NS1_11comp_targetILNS1_3genE3ELNS1_11target_archE908ELNS1_3gpuE7ELNS1_3repE0EEENS1_30default_config_static_selectorELNS0_4arch9wavefront6targetE0EEEvT1_,"axG",@progbits,_ZN7rocprim17ROCPRIM_400000_NS6detail17trampoline_kernelINS0_14default_configENS1_25partition_config_selectorILNS1_17partition_subalgoE5EsNS0_10empty_typeEbEEZZNS1_14partition_implILS5_5ELb0ES3_mN6thrust23THRUST_200600_302600_NS6detail15normal_iteratorINSA_10device_ptrIsEEEEPS6_NSA_18transform_iteratorINSB_9not_fun_tI7is_trueIsEEENSC_INSD_IbEEEENSA_11use_defaultESO_EENS0_5tupleIJSF_S6_EEENSQ_IJSG_SG_EEES6_PlJS6_EEE10hipError_tPvRmT3_T4_T5_T6_T7_T9_mT8_P12ihipStream_tbDpT10_ENKUlT_T0_E_clISt17integral_constantIbLb1EES1C_IbLb0EEEEDaS18_S19_EUlS18_E_NS1_11comp_targetILNS1_3genE3ELNS1_11target_archE908ELNS1_3gpuE7ELNS1_3repE0EEENS1_30default_config_static_selectorELNS0_4arch9wavefront6targetE0EEEvT1_,comdat
	.protected	_ZN7rocprim17ROCPRIM_400000_NS6detail17trampoline_kernelINS0_14default_configENS1_25partition_config_selectorILNS1_17partition_subalgoE5EsNS0_10empty_typeEbEEZZNS1_14partition_implILS5_5ELb0ES3_mN6thrust23THRUST_200600_302600_NS6detail15normal_iteratorINSA_10device_ptrIsEEEEPS6_NSA_18transform_iteratorINSB_9not_fun_tI7is_trueIsEEENSC_INSD_IbEEEENSA_11use_defaultESO_EENS0_5tupleIJSF_S6_EEENSQ_IJSG_SG_EEES6_PlJS6_EEE10hipError_tPvRmT3_T4_T5_T6_T7_T9_mT8_P12ihipStream_tbDpT10_ENKUlT_T0_E_clISt17integral_constantIbLb1EES1C_IbLb0EEEEDaS18_S19_EUlS18_E_NS1_11comp_targetILNS1_3genE3ELNS1_11target_archE908ELNS1_3gpuE7ELNS1_3repE0EEENS1_30default_config_static_selectorELNS0_4arch9wavefront6targetE0EEEvT1_ ; -- Begin function _ZN7rocprim17ROCPRIM_400000_NS6detail17trampoline_kernelINS0_14default_configENS1_25partition_config_selectorILNS1_17partition_subalgoE5EsNS0_10empty_typeEbEEZZNS1_14partition_implILS5_5ELb0ES3_mN6thrust23THRUST_200600_302600_NS6detail15normal_iteratorINSA_10device_ptrIsEEEEPS6_NSA_18transform_iteratorINSB_9not_fun_tI7is_trueIsEEENSC_INSD_IbEEEENSA_11use_defaultESO_EENS0_5tupleIJSF_S6_EEENSQ_IJSG_SG_EEES6_PlJS6_EEE10hipError_tPvRmT3_T4_T5_T6_T7_T9_mT8_P12ihipStream_tbDpT10_ENKUlT_T0_E_clISt17integral_constantIbLb1EES1C_IbLb0EEEEDaS18_S19_EUlS18_E_NS1_11comp_targetILNS1_3genE3ELNS1_11target_archE908ELNS1_3gpuE7ELNS1_3repE0EEENS1_30default_config_static_selectorELNS0_4arch9wavefront6targetE0EEEvT1_
	.globl	_ZN7rocprim17ROCPRIM_400000_NS6detail17trampoline_kernelINS0_14default_configENS1_25partition_config_selectorILNS1_17partition_subalgoE5EsNS0_10empty_typeEbEEZZNS1_14partition_implILS5_5ELb0ES3_mN6thrust23THRUST_200600_302600_NS6detail15normal_iteratorINSA_10device_ptrIsEEEEPS6_NSA_18transform_iteratorINSB_9not_fun_tI7is_trueIsEEENSC_INSD_IbEEEENSA_11use_defaultESO_EENS0_5tupleIJSF_S6_EEENSQ_IJSG_SG_EEES6_PlJS6_EEE10hipError_tPvRmT3_T4_T5_T6_T7_T9_mT8_P12ihipStream_tbDpT10_ENKUlT_T0_E_clISt17integral_constantIbLb1EES1C_IbLb0EEEEDaS18_S19_EUlS18_E_NS1_11comp_targetILNS1_3genE3ELNS1_11target_archE908ELNS1_3gpuE7ELNS1_3repE0EEENS1_30default_config_static_selectorELNS0_4arch9wavefront6targetE0EEEvT1_
	.p2align	8
	.type	_ZN7rocprim17ROCPRIM_400000_NS6detail17trampoline_kernelINS0_14default_configENS1_25partition_config_selectorILNS1_17partition_subalgoE5EsNS0_10empty_typeEbEEZZNS1_14partition_implILS5_5ELb0ES3_mN6thrust23THRUST_200600_302600_NS6detail15normal_iteratorINSA_10device_ptrIsEEEEPS6_NSA_18transform_iteratorINSB_9not_fun_tI7is_trueIsEEENSC_INSD_IbEEEENSA_11use_defaultESO_EENS0_5tupleIJSF_S6_EEENSQ_IJSG_SG_EEES6_PlJS6_EEE10hipError_tPvRmT3_T4_T5_T6_T7_T9_mT8_P12ihipStream_tbDpT10_ENKUlT_T0_E_clISt17integral_constantIbLb1EES1C_IbLb0EEEEDaS18_S19_EUlS18_E_NS1_11comp_targetILNS1_3genE3ELNS1_11target_archE908ELNS1_3gpuE7ELNS1_3repE0EEENS1_30default_config_static_selectorELNS0_4arch9wavefront6targetE0EEEvT1_,@function
_ZN7rocprim17ROCPRIM_400000_NS6detail17trampoline_kernelINS0_14default_configENS1_25partition_config_selectorILNS1_17partition_subalgoE5EsNS0_10empty_typeEbEEZZNS1_14partition_implILS5_5ELb0ES3_mN6thrust23THRUST_200600_302600_NS6detail15normal_iteratorINSA_10device_ptrIsEEEEPS6_NSA_18transform_iteratorINSB_9not_fun_tI7is_trueIsEEENSC_INSD_IbEEEENSA_11use_defaultESO_EENS0_5tupleIJSF_S6_EEENSQ_IJSG_SG_EEES6_PlJS6_EEE10hipError_tPvRmT3_T4_T5_T6_T7_T9_mT8_P12ihipStream_tbDpT10_ENKUlT_T0_E_clISt17integral_constantIbLb1EES1C_IbLb0EEEEDaS18_S19_EUlS18_E_NS1_11comp_targetILNS1_3genE3ELNS1_11target_archE908ELNS1_3gpuE7ELNS1_3repE0EEENS1_30default_config_static_selectorELNS0_4arch9wavefront6targetE0EEEvT1_: ; @_ZN7rocprim17ROCPRIM_400000_NS6detail17trampoline_kernelINS0_14default_configENS1_25partition_config_selectorILNS1_17partition_subalgoE5EsNS0_10empty_typeEbEEZZNS1_14partition_implILS5_5ELb0ES3_mN6thrust23THRUST_200600_302600_NS6detail15normal_iteratorINSA_10device_ptrIsEEEEPS6_NSA_18transform_iteratorINSB_9not_fun_tI7is_trueIsEEENSC_INSD_IbEEEENSA_11use_defaultESO_EENS0_5tupleIJSF_S6_EEENSQ_IJSG_SG_EEES6_PlJS6_EEE10hipError_tPvRmT3_T4_T5_T6_T7_T9_mT8_P12ihipStream_tbDpT10_ENKUlT_T0_E_clISt17integral_constantIbLb1EES1C_IbLb0EEEEDaS18_S19_EUlS18_E_NS1_11comp_targetILNS1_3genE3ELNS1_11target_archE908ELNS1_3gpuE7ELNS1_3repE0EEENS1_30default_config_static_selectorELNS0_4arch9wavefront6targetE0EEEvT1_
; %bb.0:
	.section	.rodata,"a",@progbits
	.p2align	6, 0x0
	.amdhsa_kernel _ZN7rocprim17ROCPRIM_400000_NS6detail17trampoline_kernelINS0_14default_configENS1_25partition_config_selectorILNS1_17partition_subalgoE5EsNS0_10empty_typeEbEEZZNS1_14partition_implILS5_5ELb0ES3_mN6thrust23THRUST_200600_302600_NS6detail15normal_iteratorINSA_10device_ptrIsEEEEPS6_NSA_18transform_iteratorINSB_9not_fun_tI7is_trueIsEEENSC_INSD_IbEEEENSA_11use_defaultESO_EENS0_5tupleIJSF_S6_EEENSQ_IJSG_SG_EEES6_PlJS6_EEE10hipError_tPvRmT3_T4_T5_T6_T7_T9_mT8_P12ihipStream_tbDpT10_ENKUlT_T0_E_clISt17integral_constantIbLb1EES1C_IbLb0EEEEDaS18_S19_EUlS18_E_NS1_11comp_targetILNS1_3genE3ELNS1_11target_archE908ELNS1_3gpuE7ELNS1_3repE0EEENS1_30default_config_static_selectorELNS0_4arch9wavefront6targetE0EEEvT1_
		.amdhsa_group_segment_fixed_size 0
		.amdhsa_private_segment_fixed_size 0
		.amdhsa_kernarg_size 120
		.amdhsa_user_sgpr_count 2
		.amdhsa_user_sgpr_dispatch_ptr 0
		.amdhsa_user_sgpr_queue_ptr 0
		.amdhsa_user_sgpr_kernarg_segment_ptr 1
		.amdhsa_user_sgpr_dispatch_id 0
		.amdhsa_user_sgpr_private_segment_size 0
		.amdhsa_wavefront_size32 1
		.amdhsa_uses_dynamic_stack 0
		.amdhsa_enable_private_segment 0
		.amdhsa_system_sgpr_workgroup_id_x 1
		.amdhsa_system_sgpr_workgroup_id_y 0
		.amdhsa_system_sgpr_workgroup_id_z 0
		.amdhsa_system_sgpr_workgroup_info 0
		.amdhsa_system_vgpr_workitem_id 0
		.amdhsa_next_free_vgpr 1
		.amdhsa_next_free_sgpr 1
		.amdhsa_reserve_vcc 0
		.amdhsa_float_round_mode_32 0
		.amdhsa_float_round_mode_16_64 0
		.amdhsa_float_denorm_mode_32 3
		.amdhsa_float_denorm_mode_16_64 3
		.amdhsa_fp16_overflow 0
		.amdhsa_workgroup_processor_mode 1
		.amdhsa_memory_ordered 1
		.amdhsa_forward_progress 1
		.amdhsa_inst_pref_size 0
		.amdhsa_round_robin_scheduling 0
		.amdhsa_exception_fp_ieee_invalid_op 0
		.amdhsa_exception_fp_denorm_src 0
		.amdhsa_exception_fp_ieee_div_zero 0
		.amdhsa_exception_fp_ieee_overflow 0
		.amdhsa_exception_fp_ieee_underflow 0
		.amdhsa_exception_fp_ieee_inexact 0
		.amdhsa_exception_int_div_zero 0
	.end_amdhsa_kernel
	.section	.text._ZN7rocprim17ROCPRIM_400000_NS6detail17trampoline_kernelINS0_14default_configENS1_25partition_config_selectorILNS1_17partition_subalgoE5EsNS0_10empty_typeEbEEZZNS1_14partition_implILS5_5ELb0ES3_mN6thrust23THRUST_200600_302600_NS6detail15normal_iteratorINSA_10device_ptrIsEEEEPS6_NSA_18transform_iteratorINSB_9not_fun_tI7is_trueIsEEENSC_INSD_IbEEEENSA_11use_defaultESO_EENS0_5tupleIJSF_S6_EEENSQ_IJSG_SG_EEES6_PlJS6_EEE10hipError_tPvRmT3_T4_T5_T6_T7_T9_mT8_P12ihipStream_tbDpT10_ENKUlT_T0_E_clISt17integral_constantIbLb1EES1C_IbLb0EEEEDaS18_S19_EUlS18_E_NS1_11comp_targetILNS1_3genE3ELNS1_11target_archE908ELNS1_3gpuE7ELNS1_3repE0EEENS1_30default_config_static_selectorELNS0_4arch9wavefront6targetE0EEEvT1_,"axG",@progbits,_ZN7rocprim17ROCPRIM_400000_NS6detail17trampoline_kernelINS0_14default_configENS1_25partition_config_selectorILNS1_17partition_subalgoE5EsNS0_10empty_typeEbEEZZNS1_14partition_implILS5_5ELb0ES3_mN6thrust23THRUST_200600_302600_NS6detail15normal_iteratorINSA_10device_ptrIsEEEEPS6_NSA_18transform_iteratorINSB_9not_fun_tI7is_trueIsEEENSC_INSD_IbEEEENSA_11use_defaultESO_EENS0_5tupleIJSF_S6_EEENSQ_IJSG_SG_EEES6_PlJS6_EEE10hipError_tPvRmT3_T4_T5_T6_T7_T9_mT8_P12ihipStream_tbDpT10_ENKUlT_T0_E_clISt17integral_constantIbLb1EES1C_IbLb0EEEEDaS18_S19_EUlS18_E_NS1_11comp_targetILNS1_3genE3ELNS1_11target_archE908ELNS1_3gpuE7ELNS1_3repE0EEENS1_30default_config_static_selectorELNS0_4arch9wavefront6targetE0EEEvT1_,comdat
.Lfunc_end2576:
	.size	_ZN7rocprim17ROCPRIM_400000_NS6detail17trampoline_kernelINS0_14default_configENS1_25partition_config_selectorILNS1_17partition_subalgoE5EsNS0_10empty_typeEbEEZZNS1_14partition_implILS5_5ELb0ES3_mN6thrust23THRUST_200600_302600_NS6detail15normal_iteratorINSA_10device_ptrIsEEEEPS6_NSA_18transform_iteratorINSB_9not_fun_tI7is_trueIsEEENSC_INSD_IbEEEENSA_11use_defaultESO_EENS0_5tupleIJSF_S6_EEENSQ_IJSG_SG_EEES6_PlJS6_EEE10hipError_tPvRmT3_T4_T5_T6_T7_T9_mT8_P12ihipStream_tbDpT10_ENKUlT_T0_E_clISt17integral_constantIbLb1EES1C_IbLb0EEEEDaS18_S19_EUlS18_E_NS1_11comp_targetILNS1_3genE3ELNS1_11target_archE908ELNS1_3gpuE7ELNS1_3repE0EEENS1_30default_config_static_selectorELNS0_4arch9wavefront6targetE0EEEvT1_, .Lfunc_end2576-_ZN7rocprim17ROCPRIM_400000_NS6detail17trampoline_kernelINS0_14default_configENS1_25partition_config_selectorILNS1_17partition_subalgoE5EsNS0_10empty_typeEbEEZZNS1_14partition_implILS5_5ELb0ES3_mN6thrust23THRUST_200600_302600_NS6detail15normal_iteratorINSA_10device_ptrIsEEEEPS6_NSA_18transform_iteratorINSB_9not_fun_tI7is_trueIsEEENSC_INSD_IbEEEENSA_11use_defaultESO_EENS0_5tupleIJSF_S6_EEENSQ_IJSG_SG_EEES6_PlJS6_EEE10hipError_tPvRmT3_T4_T5_T6_T7_T9_mT8_P12ihipStream_tbDpT10_ENKUlT_T0_E_clISt17integral_constantIbLb1EES1C_IbLb0EEEEDaS18_S19_EUlS18_E_NS1_11comp_targetILNS1_3genE3ELNS1_11target_archE908ELNS1_3gpuE7ELNS1_3repE0EEENS1_30default_config_static_selectorELNS0_4arch9wavefront6targetE0EEEvT1_
                                        ; -- End function
	.set _ZN7rocprim17ROCPRIM_400000_NS6detail17trampoline_kernelINS0_14default_configENS1_25partition_config_selectorILNS1_17partition_subalgoE5EsNS0_10empty_typeEbEEZZNS1_14partition_implILS5_5ELb0ES3_mN6thrust23THRUST_200600_302600_NS6detail15normal_iteratorINSA_10device_ptrIsEEEEPS6_NSA_18transform_iteratorINSB_9not_fun_tI7is_trueIsEEENSC_INSD_IbEEEENSA_11use_defaultESO_EENS0_5tupleIJSF_S6_EEENSQ_IJSG_SG_EEES6_PlJS6_EEE10hipError_tPvRmT3_T4_T5_T6_T7_T9_mT8_P12ihipStream_tbDpT10_ENKUlT_T0_E_clISt17integral_constantIbLb1EES1C_IbLb0EEEEDaS18_S19_EUlS18_E_NS1_11comp_targetILNS1_3genE3ELNS1_11target_archE908ELNS1_3gpuE7ELNS1_3repE0EEENS1_30default_config_static_selectorELNS0_4arch9wavefront6targetE0EEEvT1_.num_vgpr, 0
	.set _ZN7rocprim17ROCPRIM_400000_NS6detail17trampoline_kernelINS0_14default_configENS1_25partition_config_selectorILNS1_17partition_subalgoE5EsNS0_10empty_typeEbEEZZNS1_14partition_implILS5_5ELb0ES3_mN6thrust23THRUST_200600_302600_NS6detail15normal_iteratorINSA_10device_ptrIsEEEEPS6_NSA_18transform_iteratorINSB_9not_fun_tI7is_trueIsEEENSC_INSD_IbEEEENSA_11use_defaultESO_EENS0_5tupleIJSF_S6_EEENSQ_IJSG_SG_EEES6_PlJS6_EEE10hipError_tPvRmT3_T4_T5_T6_T7_T9_mT8_P12ihipStream_tbDpT10_ENKUlT_T0_E_clISt17integral_constantIbLb1EES1C_IbLb0EEEEDaS18_S19_EUlS18_E_NS1_11comp_targetILNS1_3genE3ELNS1_11target_archE908ELNS1_3gpuE7ELNS1_3repE0EEENS1_30default_config_static_selectorELNS0_4arch9wavefront6targetE0EEEvT1_.num_agpr, 0
	.set _ZN7rocprim17ROCPRIM_400000_NS6detail17trampoline_kernelINS0_14default_configENS1_25partition_config_selectorILNS1_17partition_subalgoE5EsNS0_10empty_typeEbEEZZNS1_14partition_implILS5_5ELb0ES3_mN6thrust23THRUST_200600_302600_NS6detail15normal_iteratorINSA_10device_ptrIsEEEEPS6_NSA_18transform_iteratorINSB_9not_fun_tI7is_trueIsEEENSC_INSD_IbEEEENSA_11use_defaultESO_EENS0_5tupleIJSF_S6_EEENSQ_IJSG_SG_EEES6_PlJS6_EEE10hipError_tPvRmT3_T4_T5_T6_T7_T9_mT8_P12ihipStream_tbDpT10_ENKUlT_T0_E_clISt17integral_constantIbLb1EES1C_IbLb0EEEEDaS18_S19_EUlS18_E_NS1_11comp_targetILNS1_3genE3ELNS1_11target_archE908ELNS1_3gpuE7ELNS1_3repE0EEENS1_30default_config_static_selectorELNS0_4arch9wavefront6targetE0EEEvT1_.numbered_sgpr, 0
	.set _ZN7rocprim17ROCPRIM_400000_NS6detail17trampoline_kernelINS0_14default_configENS1_25partition_config_selectorILNS1_17partition_subalgoE5EsNS0_10empty_typeEbEEZZNS1_14partition_implILS5_5ELb0ES3_mN6thrust23THRUST_200600_302600_NS6detail15normal_iteratorINSA_10device_ptrIsEEEEPS6_NSA_18transform_iteratorINSB_9not_fun_tI7is_trueIsEEENSC_INSD_IbEEEENSA_11use_defaultESO_EENS0_5tupleIJSF_S6_EEENSQ_IJSG_SG_EEES6_PlJS6_EEE10hipError_tPvRmT3_T4_T5_T6_T7_T9_mT8_P12ihipStream_tbDpT10_ENKUlT_T0_E_clISt17integral_constantIbLb1EES1C_IbLb0EEEEDaS18_S19_EUlS18_E_NS1_11comp_targetILNS1_3genE3ELNS1_11target_archE908ELNS1_3gpuE7ELNS1_3repE0EEENS1_30default_config_static_selectorELNS0_4arch9wavefront6targetE0EEEvT1_.num_named_barrier, 0
	.set _ZN7rocprim17ROCPRIM_400000_NS6detail17trampoline_kernelINS0_14default_configENS1_25partition_config_selectorILNS1_17partition_subalgoE5EsNS0_10empty_typeEbEEZZNS1_14partition_implILS5_5ELb0ES3_mN6thrust23THRUST_200600_302600_NS6detail15normal_iteratorINSA_10device_ptrIsEEEEPS6_NSA_18transform_iteratorINSB_9not_fun_tI7is_trueIsEEENSC_INSD_IbEEEENSA_11use_defaultESO_EENS0_5tupleIJSF_S6_EEENSQ_IJSG_SG_EEES6_PlJS6_EEE10hipError_tPvRmT3_T4_T5_T6_T7_T9_mT8_P12ihipStream_tbDpT10_ENKUlT_T0_E_clISt17integral_constantIbLb1EES1C_IbLb0EEEEDaS18_S19_EUlS18_E_NS1_11comp_targetILNS1_3genE3ELNS1_11target_archE908ELNS1_3gpuE7ELNS1_3repE0EEENS1_30default_config_static_selectorELNS0_4arch9wavefront6targetE0EEEvT1_.private_seg_size, 0
	.set _ZN7rocprim17ROCPRIM_400000_NS6detail17trampoline_kernelINS0_14default_configENS1_25partition_config_selectorILNS1_17partition_subalgoE5EsNS0_10empty_typeEbEEZZNS1_14partition_implILS5_5ELb0ES3_mN6thrust23THRUST_200600_302600_NS6detail15normal_iteratorINSA_10device_ptrIsEEEEPS6_NSA_18transform_iteratorINSB_9not_fun_tI7is_trueIsEEENSC_INSD_IbEEEENSA_11use_defaultESO_EENS0_5tupleIJSF_S6_EEENSQ_IJSG_SG_EEES6_PlJS6_EEE10hipError_tPvRmT3_T4_T5_T6_T7_T9_mT8_P12ihipStream_tbDpT10_ENKUlT_T0_E_clISt17integral_constantIbLb1EES1C_IbLb0EEEEDaS18_S19_EUlS18_E_NS1_11comp_targetILNS1_3genE3ELNS1_11target_archE908ELNS1_3gpuE7ELNS1_3repE0EEENS1_30default_config_static_selectorELNS0_4arch9wavefront6targetE0EEEvT1_.uses_vcc, 0
	.set _ZN7rocprim17ROCPRIM_400000_NS6detail17trampoline_kernelINS0_14default_configENS1_25partition_config_selectorILNS1_17partition_subalgoE5EsNS0_10empty_typeEbEEZZNS1_14partition_implILS5_5ELb0ES3_mN6thrust23THRUST_200600_302600_NS6detail15normal_iteratorINSA_10device_ptrIsEEEEPS6_NSA_18transform_iteratorINSB_9not_fun_tI7is_trueIsEEENSC_INSD_IbEEEENSA_11use_defaultESO_EENS0_5tupleIJSF_S6_EEENSQ_IJSG_SG_EEES6_PlJS6_EEE10hipError_tPvRmT3_T4_T5_T6_T7_T9_mT8_P12ihipStream_tbDpT10_ENKUlT_T0_E_clISt17integral_constantIbLb1EES1C_IbLb0EEEEDaS18_S19_EUlS18_E_NS1_11comp_targetILNS1_3genE3ELNS1_11target_archE908ELNS1_3gpuE7ELNS1_3repE0EEENS1_30default_config_static_selectorELNS0_4arch9wavefront6targetE0EEEvT1_.uses_flat_scratch, 0
	.set _ZN7rocprim17ROCPRIM_400000_NS6detail17trampoline_kernelINS0_14default_configENS1_25partition_config_selectorILNS1_17partition_subalgoE5EsNS0_10empty_typeEbEEZZNS1_14partition_implILS5_5ELb0ES3_mN6thrust23THRUST_200600_302600_NS6detail15normal_iteratorINSA_10device_ptrIsEEEEPS6_NSA_18transform_iteratorINSB_9not_fun_tI7is_trueIsEEENSC_INSD_IbEEEENSA_11use_defaultESO_EENS0_5tupleIJSF_S6_EEENSQ_IJSG_SG_EEES6_PlJS6_EEE10hipError_tPvRmT3_T4_T5_T6_T7_T9_mT8_P12ihipStream_tbDpT10_ENKUlT_T0_E_clISt17integral_constantIbLb1EES1C_IbLb0EEEEDaS18_S19_EUlS18_E_NS1_11comp_targetILNS1_3genE3ELNS1_11target_archE908ELNS1_3gpuE7ELNS1_3repE0EEENS1_30default_config_static_selectorELNS0_4arch9wavefront6targetE0EEEvT1_.has_dyn_sized_stack, 0
	.set _ZN7rocprim17ROCPRIM_400000_NS6detail17trampoline_kernelINS0_14default_configENS1_25partition_config_selectorILNS1_17partition_subalgoE5EsNS0_10empty_typeEbEEZZNS1_14partition_implILS5_5ELb0ES3_mN6thrust23THRUST_200600_302600_NS6detail15normal_iteratorINSA_10device_ptrIsEEEEPS6_NSA_18transform_iteratorINSB_9not_fun_tI7is_trueIsEEENSC_INSD_IbEEEENSA_11use_defaultESO_EENS0_5tupleIJSF_S6_EEENSQ_IJSG_SG_EEES6_PlJS6_EEE10hipError_tPvRmT3_T4_T5_T6_T7_T9_mT8_P12ihipStream_tbDpT10_ENKUlT_T0_E_clISt17integral_constantIbLb1EES1C_IbLb0EEEEDaS18_S19_EUlS18_E_NS1_11comp_targetILNS1_3genE3ELNS1_11target_archE908ELNS1_3gpuE7ELNS1_3repE0EEENS1_30default_config_static_selectorELNS0_4arch9wavefront6targetE0EEEvT1_.has_recursion, 0
	.set _ZN7rocprim17ROCPRIM_400000_NS6detail17trampoline_kernelINS0_14default_configENS1_25partition_config_selectorILNS1_17partition_subalgoE5EsNS0_10empty_typeEbEEZZNS1_14partition_implILS5_5ELb0ES3_mN6thrust23THRUST_200600_302600_NS6detail15normal_iteratorINSA_10device_ptrIsEEEEPS6_NSA_18transform_iteratorINSB_9not_fun_tI7is_trueIsEEENSC_INSD_IbEEEENSA_11use_defaultESO_EENS0_5tupleIJSF_S6_EEENSQ_IJSG_SG_EEES6_PlJS6_EEE10hipError_tPvRmT3_T4_T5_T6_T7_T9_mT8_P12ihipStream_tbDpT10_ENKUlT_T0_E_clISt17integral_constantIbLb1EES1C_IbLb0EEEEDaS18_S19_EUlS18_E_NS1_11comp_targetILNS1_3genE3ELNS1_11target_archE908ELNS1_3gpuE7ELNS1_3repE0EEENS1_30default_config_static_selectorELNS0_4arch9wavefront6targetE0EEEvT1_.has_indirect_call, 0
	.section	.AMDGPU.csdata,"",@progbits
; Kernel info:
; codeLenInByte = 0
; TotalNumSgprs: 0
; NumVgprs: 0
; ScratchSize: 0
; MemoryBound: 0
; FloatMode: 240
; IeeeMode: 1
; LDSByteSize: 0 bytes/workgroup (compile time only)
; SGPRBlocks: 0
; VGPRBlocks: 0
; NumSGPRsForWavesPerEU: 1
; NumVGPRsForWavesPerEU: 1
; Occupancy: 16
; WaveLimiterHint : 0
; COMPUTE_PGM_RSRC2:SCRATCH_EN: 0
; COMPUTE_PGM_RSRC2:USER_SGPR: 2
; COMPUTE_PGM_RSRC2:TRAP_HANDLER: 0
; COMPUTE_PGM_RSRC2:TGID_X_EN: 1
; COMPUTE_PGM_RSRC2:TGID_Y_EN: 0
; COMPUTE_PGM_RSRC2:TGID_Z_EN: 0
; COMPUTE_PGM_RSRC2:TIDIG_COMP_CNT: 0
	.section	.text._ZN7rocprim17ROCPRIM_400000_NS6detail17trampoline_kernelINS0_14default_configENS1_25partition_config_selectorILNS1_17partition_subalgoE5EsNS0_10empty_typeEbEEZZNS1_14partition_implILS5_5ELb0ES3_mN6thrust23THRUST_200600_302600_NS6detail15normal_iteratorINSA_10device_ptrIsEEEEPS6_NSA_18transform_iteratorINSB_9not_fun_tI7is_trueIsEEENSC_INSD_IbEEEENSA_11use_defaultESO_EENS0_5tupleIJSF_S6_EEENSQ_IJSG_SG_EEES6_PlJS6_EEE10hipError_tPvRmT3_T4_T5_T6_T7_T9_mT8_P12ihipStream_tbDpT10_ENKUlT_T0_E_clISt17integral_constantIbLb1EES1C_IbLb0EEEEDaS18_S19_EUlS18_E_NS1_11comp_targetILNS1_3genE2ELNS1_11target_archE906ELNS1_3gpuE6ELNS1_3repE0EEENS1_30default_config_static_selectorELNS0_4arch9wavefront6targetE0EEEvT1_,"axG",@progbits,_ZN7rocprim17ROCPRIM_400000_NS6detail17trampoline_kernelINS0_14default_configENS1_25partition_config_selectorILNS1_17partition_subalgoE5EsNS0_10empty_typeEbEEZZNS1_14partition_implILS5_5ELb0ES3_mN6thrust23THRUST_200600_302600_NS6detail15normal_iteratorINSA_10device_ptrIsEEEEPS6_NSA_18transform_iteratorINSB_9not_fun_tI7is_trueIsEEENSC_INSD_IbEEEENSA_11use_defaultESO_EENS0_5tupleIJSF_S6_EEENSQ_IJSG_SG_EEES6_PlJS6_EEE10hipError_tPvRmT3_T4_T5_T6_T7_T9_mT8_P12ihipStream_tbDpT10_ENKUlT_T0_E_clISt17integral_constantIbLb1EES1C_IbLb0EEEEDaS18_S19_EUlS18_E_NS1_11comp_targetILNS1_3genE2ELNS1_11target_archE906ELNS1_3gpuE6ELNS1_3repE0EEENS1_30default_config_static_selectorELNS0_4arch9wavefront6targetE0EEEvT1_,comdat
	.protected	_ZN7rocprim17ROCPRIM_400000_NS6detail17trampoline_kernelINS0_14default_configENS1_25partition_config_selectorILNS1_17partition_subalgoE5EsNS0_10empty_typeEbEEZZNS1_14partition_implILS5_5ELb0ES3_mN6thrust23THRUST_200600_302600_NS6detail15normal_iteratorINSA_10device_ptrIsEEEEPS6_NSA_18transform_iteratorINSB_9not_fun_tI7is_trueIsEEENSC_INSD_IbEEEENSA_11use_defaultESO_EENS0_5tupleIJSF_S6_EEENSQ_IJSG_SG_EEES6_PlJS6_EEE10hipError_tPvRmT3_T4_T5_T6_T7_T9_mT8_P12ihipStream_tbDpT10_ENKUlT_T0_E_clISt17integral_constantIbLb1EES1C_IbLb0EEEEDaS18_S19_EUlS18_E_NS1_11comp_targetILNS1_3genE2ELNS1_11target_archE906ELNS1_3gpuE6ELNS1_3repE0EEENS1_30default_config_static_selectorELNS0_4arch9wavefront6targetE0EEEvT1_ ; -- Begin function _ZN7rocprim17ROCPRIM_400000_NS6detail17trampoline_kernelINS0_14default_configENS1_25partition_config_selectorILNS1_17partition_subalgoE5EsNS0_10empty_typeEbEEZZNS1_14partition_implILS5_5ELb0ES3_mN6thrust23THRUST_200600_302600_NS6detail15normal_iteratorINSA_10device_ptrIsEEEEPS6_NSA_18transform_iteratorINSB_9not_fun_tI7is_trueIsEEENSC_INSD_IbEEEENSA_11use_defaultESO_EENS0_5tupleIJSF_S6_EEENSQ_IJSG_SG_EEES6_PlJS6_EEE10hipError_tPvRmT3_T4_T5_T6_T7_T9_mT8_P12ihipStream_tbDpT10_ENKUlT_T0_E_clISt17integral_constantIbLb1EES1C_IbLb0EEEEDaS18_S19_EUlS18_E_NS1_11comp_targetILNS1_3genE2ELNS1_11target_archE906ELNS1_3gpuE6ELNS1_3repE0EEENS1_30default_config_static_selectorELNS0_4arch9wavefront6targetE0EEEvT1_
	.globl	_ZN7rocprim17ROCPRIM_400000_NS6detail17trampoline_kernelINS0_14default_configENS1_25partition_config_selectorILNS1_17partition_subalgoE5EsNS0_10empty_typeEbEEZZNS1_14partition_implILS5_5ELb0ES3_mN6thrust23THRUST_200600_302600_NS6detail15normal_iteratorINSA_10device_ptrIsEEEEPS6_NSA_18transform_iteratorINSB_9not_fun_tI7is_trueIsEEENSC_INSD_IbEEEENSA_11use_defaultESO_EENS0_5tupleIJSF_S6_EEENSQ_IJSG_SG_EEES6_PlJS6_EEE10hipError_tPvRmT3_T4_T5_T6_T7_T9_mT8_P12ihipStream_tbDpT10_ENKUlT_T0_E_clISt17integral_constantIbLb1EES1C_IbLb0EEEEDaS18_S19_EUlS18_E_NS1_11comp_targetILNS1_3genE2ELNS1_11target_archE906ELNS1_3gpuE6ELNS1_3repE0EEENS1_30default_config_static_selectorELNS0_4arch9wavefront6targetE0EEEvT1_
	.p2align	8
	.type	_ZN7rocprim17ROCPRIM_400000_NS6detail17trampoline_kernelINS0_14default_configENS1_25partition_config_selectorILNS1_17partition_subalgoE5EsNS0_10empty_typeEbEEZZNS1_14partition_implILS5_5ELb0ES3_mN6thrust23THRUST_200600_302600_NS6detail15normal_iteratorINSA_10device_ptrIsEEEEPS6_NSA_18transform_iteratorINSB_9not_fun_tI7is_trueIsEEENSC_INSD_IbEEEENSA_11use_defaultESO_EENS0_5tupleIJSF_S6_EEENSQ_IJSG_SG_EEES6_PlJS6_EEE10hipError_tPvRmT3_T4_T5_T6_T7_T9_mT8_P12ihipStream_tbDpT10_ENKUlT_T0_E_clISt17integral_constantIbLb1EES1C_IbLb0EEEEDaS18_S19_EUlS18_E_NS1_11comp_targetILNS1_3genE2ELNS1_11target_archE906ELNS1_3gpuE6ELNS1_3repE0EEENS1_30default_config_static_selectorELNS0_4arch9wavefront6targetE0EEEvT1_,@function
_ZN7rocprim17ROCPRIM_400000_NS6detail17trampoline_kernelINS0_14default_configENS1_25partition_config_selectorILNS1_17partition_subalgoE5EsNS0_10empty_typeEbEEZZNS1_14partition_implILS5_5ELb0ES3_mN6thrust23THRUST_200600_302600_NS6detail15normal_iteratorINSA_10device_ptrIsEEEEPS6_NSA_18transform_iteratorINSB_9not_fun_tI7is_trueIsEEENSC_INSD_IbEEEENSA_11use_defaultESO_EENS0_5tupleIJSF_S6_EEENSQ_IJSG_SG_EEES6_PlJS6_EEE10hipError_tPvRmT3_T4_T5_T6_T7_T9_mT8_P12ihipStream_tbDpT10_ENKUlT_T0_E_clISt17integral_constantIbLb1EES1C_IbLb0EEEEDaS18_S19_EUlS18_E_NS1_11comp_targetILNS1_3genE2ELNS1_11target_archE906ELNS1_3gpuE6ELNS1_3repE0EEENS1_30default_config_static_selectorELNS0_4arch9wavefront6targetE0EEEvT1_: ; @_ZN7rocprim17ROCPRIM_400000_NS6detail17trampoline_kernelINS0_14default_configENS1_25partition_config_selectorILNS1_17partition_subalgoE5EsNS0_10empty_typeEbEEZZNS1_14partition_implILS5_5ELb0ES3_mN6thrust23THRUST_200600_302600_NS6detail15normal_iteratorINSA_10device_ptrIsEEEEPS6_NSA_18transform_iteratorINSB_9not_fun_tI7is_trueIsEEENSC_INSD_IbEEEENSA_11use_defaultESO_EENS0_5tupleIJSF_S6_EEENSQ_IJSG_SG_EEES6_PlJS6_EEE10hipError_tPvRmT3_T4_T5_T6_T7_T9_mT8_P12ihipStream_tbDpT10_ENKUlT_T0_E_clISt17integral_constantIbLb1EES1C_IbLb0EEEEDaS18_S19_EUlS18_E_NS1_11comp_targetILNS1_3genE2ELNS1_11target_archE906ELNS1_3gpuE6ELNS1_3repE0EEENS1_30default_config_static_selectorELNS0_4arch9wavefront6targetE0EEEvT1_
; %bb.0:
	.section	.rodata,"a",@progbits
	.p2align	6, 0x0
	.amdhsa_kernel _ZN7rocprim17ROCPRIM_400000_NS6detail17trampoline_kernelINS0_14default_configENS1_25partition_config_selectorILNS1_17partition_subalgoE5EsNS0_10empty_typeEbEEZZNS1_14partition_implILS5_5ELb0ES3_mN6thrust23THRUST_200600_302600_NS6detail15normal_iteratorINSA_10device_ptrIsEEEEPS6_NSA_18transform_iteratorINSB_9not_fun_tI7is_trueIsEEENSC_INSD_IbEEEENSA_11use_defaultESO_EENS0_5tupleIJSF_S6_EEENSQ_IJSG_SG_EEES6_PlJS6_EEE10hipError_tPvRmT3_T4_T5_T6_T7_T9_mT8_P12ihipStream_tbDpT10_ENKUlT_T0_E_clISt17integral_constantIbLb1EES1C_IbLb0EEEEDaS18_S19_EUlS18_E_NS1_11comp_targetILNS1_3genE2ELNS1_11target_archE906ELNS1_3gpuE6ELNS1_3repE0EEENS1_30default_config_static_selectorELNS0_4arch9wavefront6targetE0EEEvT1_
		.amdhsa_group_segment_fixed_size 0
		.amdhsa_private_segment_fixed_size 0
		.amdhsa_kernarg_size 120
		.amdhsa_user_sgpr_count 2
		.amdhsa_user_sgpr_dispatch_ptr 0
		.amdhsa_user_sgpr_queue_ptr 0
		.amdhsa_user_sgpr_kernarg_segment_ptr 1
		.amdhsa_user_sgpr_dispatch_id 0
		.amdhsa_user_sgpr_private_segment_size 0
		.amdhsa_wavefront_size32 1
		.amdhsa_uses_dynamic_stack 0
		.amdhsa_enable_private_segment 0
		.amdhsa_system_sgpr_workgroup_id_x 1
		.amdhsa_system_sgpr_workgroup_id_y 0
		.amdhsa_system_sgpr_workgroup_id_z 0
		.amdhsa_system_sgpr_workgroup_info 0
		.amdhsa_system_vgpr_workitem_id 0
		.amdhsa_next_free_vgpr 1
		.amdhsa_next_free_sgpr 1
		.amdhsa_reserve_vcc 0
		.amdhsa_float_round_mode_32 0
		.amdhsa_float_round_mode_16_64 0
		.amdhsa_float_denorm_mode_32 3
		.amdhsa_float_denorm_mode_16_64 3
		.amdhsa_fp16_overflow 0
		.amdhsa_workgroup_processor_mode 1
		.amdhsa_memory_ordered 1
		.amdhsa_forward_progress 1
		.amdhsa_inst_pref_size 0
		.amdhsa_round_robin_scheduling 0
		.amdhsa_exception_fp_ieee_invalid_op 0
		.amdhsa_exception_fp_denorm_src 0
		.amdhsa_exception_fp_ieee_div_zero 0
		.amdhsa_exception_fp_ieee_overflow 0
		.amdhsa_exception_fp_ieee_underflow 0
		.amdhsa_exception_fp_ieee_inexact 0
		.amdhsa_exception_int_div_zero 0
	.end_amdhsa_kernel
	.section	.text._ZN7rocprim17ROCPRIM_400000_NS6detail17trampoline_kernelINS0_14default_configENS1_25partition_config_selectorILNS1_17partition_subalgoE5EsNS0_10empty_typeEbEEZZNS1_14partition_implILS5_5ELb0ES3_mN6thrust23THRUST_200600_302600_NS6detail15normal_iteratorINSA_10device_ptrIsEEEEPS6_NSA_18transform_iteratorINSB_9not_fun_tI7is_trueIsEEENSC_INSD_IbEEEENSA_11use_defaultESO_EENS0_5tupleIJSF_S6_EEENSQ_IJSG_SG_EEES6_PlJS6_EEE10hipError_tPvRmT3_T4_T5_T6_T7_T9_mT8_P12ihipStream_tbDpT10_ENKUlT_T0_E_clISt17integral_constantIbLb1EES1C_IbLb0EEEEDaS18_S19_EUlS18_E_NS1_11comp_targetILNS1_3genE2ELNS1_11target_archE906ELNS1_3gpuE6ELNS1_3repE0EEENS1_30default_config_static_selectorELNS0_4arch9wavefront6targetE0EEEvT1_,"axG",@progbits,_ZN7rocprim17ROCPRIM_400000_NS6detail17trampoline_kernelINS0_14default_configENS1_25partition_config_selectorILNS1_17partition_subalgoE5EsNS0_10empty_typeEbEEZZNS1_14partition_implILS5_5ELb0ES3_mN6thrust23THRUST_200600_302600_NS6detail15normal_iteratorINSA_10device_ptrIsEEEEPS6_NSA_18transform_iteratorINSB_9not_fun_tI7is_trueIsEEENSC_INSD_IbEEEENSA_11use_defaultESO_EENS0_5tupleIJSF_S6_EEENSQ_IJSG_SG_EEES6_PlJS6_EEE10hipError_tPvRmT3_T4_T5_T6_T7_T9_mT8_P12ihipStream_tbDpT10_ENKUlT_T0_E_clISt17integral_constantIbLb1EES1C_IbLb0EEEEDaS18_S19_EUlS18_E_NS1_11comp_targetILNS1_3genE2ELNS1_11target_archE906ELNS1_3gpuE6ELNS1_3repE0EEENS1_30default_config_static_selectorELNS0_4arch9wavefront6targetE0EEEvT1_,comdat
.Lfunc_end2577:
	.size	_ZN7rocprim17ROCPRIM_400000_NS6detail17trampoline_kernelINS0_14default_configENS1_25partition_config_selectorILNS1_17partition_subalgoE5EsNS0_10empty_typeEbEEZZNS1_14partition_implILS5_5ELb0ES3_mN6thrust23THRUST_200600_302600_NS6detail15normal_iteratorINSA_10device_ptrIsEEEEPS6_NSA_18transform_iteratorINSB_9not_fun_tI7is_trueIsEEENSC_INSD_IbEEEENSA_11use_defaultESO_EENS0_5tupleIJSF_S6_EEENSQ_IJSG_SG_EEES6_PlJS6_EEE10hipError_tPvRmT3_T4_T5_T6_T7_T9_mT8_P12ihipStream_tbDpT10_ENKUlT_T0_E_clISt17integral_constantIbLb1EES1C_IbLb0EEEEDaS18_S19_EUlS18_E_NS1_11comp_targetILNS1_3genE2ELNS1_11target_archE906ELNS1_3gpuE6ELNS1_3repE0EEENS1_30default_config_static_selectorELNS0_4arch9wavefront6targetE0EEEvT1_, .Lfunc_end2577-_ZN7rocprim17ROCPRIM_400000_NS6detail17trampoline_kernelINS0_14default_configENS1_25partition_config_selectorILNS1_17partition_subalgoE5EsNS0_10empty_typeEbEEZZNS1_14partition_implILS5_5ELb0ES3_mN6thrust23THRUST_200600_302600_NS6detail15normal_iteratorINSA_10device_ptrIsEEEEPS6_NSA_18transform_iteratorINSB_9not_fun_tI7is_trueIsEEENSC_INSD_IbEEEENSA_11use_defaultESO_EENS0_5tupleIJSF_S6_EEENSQ_IJSG_SG_EEES6_PlJS6_EEE10hipError_tPvRmT3_T4_T5_T6_T7_T9_mT8_P12ihipStream_tbDpT10_ENKUlT_T0_E_clISt17integral_constantIbLb1EES1C_IbLb0EEEEDaS18_S19_EUlS18_E_NS1_11comp_targetILNS1_3genE2ELNS1_11target_archE906ELNS1_3gpuE6ELNS1_3repE0EEENS1_30default_config_static_selectorELNS0_4arch9wavefront6targetE0EEEvT1_
                                        ; -- End function
	.set _ZN7rocprim17ROCPRIM_400000_NS6detail17trampoline_kernelINS0_14default_configENS1_25partition_config_selectorILNS1_17partition_subalgoE5EsNS0_10empty_typeEbEEZZNS1_14partition_implILS5_5ELb0ES3_mN6thrust23THRUST_200600_302600_NS6detail15normal_iteratorINSA_10device_ptrIsEEEEPS6_NSA_18transform_iteratorINSB_9not_fun_tI7is_trueIsEEENSC_INSD_IbEEEENSA_11use_defaultESO_EENS0_5tupleIJSF_S6_EEENSQ_IJSG_SG_EEES6_PlJS6_EEE10hipError_tPvRmT3_T4_T5_T6_T7_T9_mT8_P12ihipStream_tbDpT10_ENKUlT_T0_E_clISt17integral_constantIbLb1EES1C_IbLb0EEEEDaS18_S19_EUlS18_E_NS1_11comp_targetILNS1_3genE2ELNS1_11target_archE906ELNS1_3gpuE6ELNS1_3repE0EEENS1_30default_config_static_selectorELNS0_4arch9wavefront6targetE0EEEvT1_.num_vgpr, 0
	.set _ZN7rocprim17ROCPRIM_400000_NS6detail17trampoline_kernelINS0_14default_configENS1_25partition_config_selectorILNS1_17partition_subalgoE5EsNS0_10empty_typeEbEEZZNS1_14partition_implILS5_5ELb0ES3_mN6thrust23THRUST_200600_302600_NS6detail15normal_iteratorINSA_10device_ptrIsEEEEPS6_NSA_18transform_iteratorINSB_9not_fun_tI7is_trueIsEEENSC_INSD_IbEEEENSA_11use_defaultESO_EENS0_5tupleIJSF_S6_EEENSQ_IJSG_SG_EEES6_PlJS6_EEE10hipError_tPvRmT3_T4_T5_T6_T7_T9_mT8_P12ihipStream_tbDpT10_ENKUlT_T0_E_clISt17integral_constantIbLb1EES1C_IbLb0EEEEDaS18_S19_EUlS18_E_NS1_11comp_targetILNS1_3genE2ELNS1_11target_archE906ELNS1_3gpuE6ELNS1_3repE0EEENS1_30default_config_static_selectorELNS0_4arch9wavefront6targetE0EEEvT1_.num_agpr, 0
	.set _ZN7rocprim17ROCPRIM_400000_NS6detail17trampoline_kernelINS0_14default_configENS1_25partition_config_selectorILNS1_17partition_subalgoE5EsNS0_10empty_typeEbEEZZNS1_14partition_implILS5_5ELb0ES3_mN6thrust23THRUST_200600_302600_NS6detail15normal_iteratorINSA_10device_ptrIsEEEEPS6_NSA_18transform_iteratorINSB_9not_fun_tI7is_trueIsEEENSC_INSD_IbEEEENSA_11use_defaultESO_EENS0_5tupleIJSF_S6_EEENSQ_IJSG_SG_EEES6_PlJS6_EEE10hipError_tPvRmT3_T4_T5_T6_T7_T9_mT8_P12ihipStream_tbDpT10_ENKUlT_T0_E_clISt17integral_constantIbLb1EES1C_IbLb0EEEEDaS18_S19_EUlS18_E_NS1_11comp_targetILNS1_3genE2ELNS1_11target_archE906ELNS1_3gpuE6ELNS1_3repE0EEENS1_30default_config_static_selectorELNS0_4arch9wavefront6targetE0EEEvT1_.numbered_sgpr, 0
	.set _ZN7rocprim17ROCPRIM_400000_NS6detail17trampoline_kernelINS0_14default_configENS1_25partition_config_selectorILNS1_17partition_subalgoE5EsNS0_10empty_typeEbEEZZNS1_14partition_implILS5_5ELb0ES3_mN6thrust23THRUST_200600_302600_NS6detail15normal_iteratorINSA_10device_ptrIsEEEEPS6_NSA_18transform_iteratorINSB_9not_fun_tI7is_trueIsEEENSC_INSD_IbEEEENSA_11use_defaultESO_EENS0_5tupleIJSF_S6_EEENSQ_IJSG_SG_EEES6_PlJS6_EEE10hipError_tPvRmT3_T4_T5_T6_T7_T9_mT8_P12ihipStream_tbDpT10_ENKUlT_T0_E_clISt17integral_constantIbLb1EES1C_IbLb0EEEEDaS18_S19_EUlS18_E_NS1_11comp_targetILNS1_3genE2ELNS1_11target_archE906ELNS1_3gpuE6ELNS1_3repE0EEENS1_30default_config_static_selectorELNS0_4arch9wavefront6targetE0EEEvT1_.num_named_barrier, 0
	.set _ZN7rocprim17ROCPRIM_400000_NS6detail17trampoline_kernelINS0_14default_configENS1_25partition_config_selectorILNS1_17partition_subalgoE5EsNS0_10empty_typeEbEEZZNS1_14partition_implILS5_5ELb0ES3_mN6thrust23THRUST_200600_302600_NS6detail15normal_iteratorINSA_10device_ptrIsEEEEPS6_NSA_18transform_iteratorINSB_9not_fun_tI7is_trueIsEEENSC_INSD_IbEEEENSA_11use_defaultESO_EENS0_5tupleIJSF_S6_EEENSQ_IJSG_SG_EEES6_PlJS6_EEE10hipError_tPvRmT3_T4_T5_T6_T7_T9_mT8_P12ihipStream_tbDpT10_ENKUlT_T0_E_clISt17integral_constantIbLb1EES1C_IbLb0EEEEDaS18_S19_EUlS18_E_NS1_11comp_targetILNS1_3genE2ELNS1_11target_archE906ELNS1_3gpuE6ELNS1_3repE0EEENS1_30default_config_static_selectorELNS0_4arch9wavefront6targetE0EEEvT1_.private_seg_size, 0
	.set _ZN7rocprim17ROCPRIM_400000_NS6detail17trampoline_kernelINS0_14default_configENS1_25partition_config_selectorILNS1_17partition_subalgoE5EsNS0_10empty_typeEbEEZZNS1_14partition_implILS5_5ELb0ES3_mN6thrust23THRUST_200600_302600_NS6detail15normal_iteratorINSA_10device_ptrIsEEEEPS6_NSA_18transform_iteratorINSB_9not_fun_tI7is_trueIsEEENSC_INSD_IbEEEENSA_11use_defaultESO_EENS0_5tupleIJSF_S6_EEENSQ_IJSG_SG_EEES6_PlJS6_EEE10hipError_tPvRmT3_T4_T5_T6_T7_T9_mT8_P12ihipStream_tbDpT10_ENKUlT_T0_E_clISt17integral_constantIbLb1EES1C_IbLb0EEEEDaS18_S19_EUlS18_E_NS1_11comp_targetILNS1_3genE2ELNS1_11target_archE906ELNS1_3gpuE6ELNS1_3repE0EEENS1_30default_config_static_selectorELNS0_4arch9wavefront6targetE0EEEvT1_.uses_vcc, 0
	.set _ZN7rocprim17ROCPRIM_400000_NS6detail17trampoline_kernelINS0_14default_configENS1_25partition_config_selectorILNS1_17partition_subalgoE5EsNS0_10empty_typeEbEEZZNS1_14partition_implILS5_5ELb0ES3_mN6thrust23THRUST_200600_302600_NS6detail15normal_iteratorINSA_10device_ptrIsEEEEPS6_NSA_18transform_iteratorINSB_9not_fun_tI7is_trueIsEEENSC_INSD_IbEEEENSA_11use_defaultESO_EENS0_5tupleIJSF_S6_EEENSQ_IJSG_SG_EEES6_PlJS6_EEE10hipError_tPvRmT3_T4_T5_T6_T7_T9_mT8_P12ihipStream_tbDpT10_ENKUlT_T0_E_clISt17integral_constantIbLb1EES1C_IbLb0EEEEDaS18_S19_EUlS18_E_NS1_11comp_targetILNS1_3genE2ELNS1_11target_archE906ELNS1_3gpuE6ELNS1_3repE0EEENS1_30default_config_static_selectorELNS0_4arch9wavefront6targetE0EEEvT1_.uses_flat_scratch, 0
	.set _ZN7rocprim17ROCPRIM_400000_NS6detail17trampoline_kernelINS0_14default_configENS1_25partition_config_selectorILNS1_17partition_subalgoE5EsNS0_10empty_typeEbEEZZNS1_14partition_implILS5_5ELb0ES3_mN6thrust23THRUST_200600_302600_NS6detail15normal_iteratorINSA_10device_ptrIsEEEEPS6_NSA_18transform_iteratorINSB_9not_fun_tI7is_trueIsEEENSC_INSD_IbEEEENSA_11use_defaultESO_EENS0_5tupleIJSF_S6_EEENSQ_IJSG_SG_EEES6_PlJS6_EEE10hipError_tPvRmT3_T4_T5_T6_T7_T9_mT8_P12ihipStream_tbDpT10_ENKUlT_T0_E_clISt17integral_constantIbLb1EES1C_IbLb0EEEEDaS18_S19_EUlS18_E_NS1_11comp_targetILNS1_3genE2ELNS1_11target_archE906ELNS1_3gpuE6ELNS1_3repE0EEENS1_30default_config_static_selectorELNS0_4arch9wavefront6targetE0EEEvT1_.has_dyn_sized_stack, 0
	.set _ZN7rocprim17ROCPRIM_400000_NS6detail17trampoline_kernelINS0_14default_configENS1_25partition_config_selectorILNS1_17partition_subalgoE5EsNS0_10empty_typeEbEEZZNS1_14partition_implILS5_5ELb0ES3_mN6thrust23THRUST_200600_302600_NS6detail15normal_iteratorINSA_10device_ptrIsEEEEPS6_NSA_18transform_iteratorINSB_9not_fun_tI7is_trueIsEEENSC_INSD_IbEEEENSA_11use_defaultESO_EENS0_5tupleIJSF_S6_EEENSQ_IJSG_SG_EEES6_PlJS6_EEE10hipError_tPvRmT3_T4_T5_T6_T7_T9_mT8_P12ihipStream_tbDpT10_ENKUlT_T0_E_clISt17integral_constantIbLb1EES1C_IbLb0EEEEDaS18_S19_EUlS18_E_NS1_11comp_targetILNS1_3genE2ELNS1_11target_archE906ELNS1_3gpuE6ELNS1_3repE0EEENS1_30default_config_static_selectorELNS0_4arch9wavefront6targetE0EEEvT1_.has_recursion, 0
	.set _ZN7rocprim17ROCPRIM_400000_NS6detail17trampoline_kernelINS0_14default_configENS1_25partition_config_selectorILNS1_17partition_subalgoE5EsNS0_10empty_typeEbEEZZNS1_14partition_implILS5_5ELb0ES3_mN6thrust23THRUST_200600_302600_NS6detail15normal_iteratorINSA_10device_ptrIsEEEEPS6_NSA_18transform_iteratorINSB_9not_fun_tI7is_trueIsEEENSC_INSD_IbEEEENSA_11use_defaultESO_EENS0_5tupleIJSF_S6_EEENSQ_IJSG_SG_EEES6_PlJS6_EEE10hipError_tPvRmT3_T4_T5_T6_T7_T9_mT8_P12ihipStream_tbDpT10_ENKUlT_T0_E_clISt17integral_constantIbLb1EES1C_IbLb0EEEEDaS18_S19_EUlS18_E_NS1_11comp_targetILNS1_3genE2ELNS1_11target_archE906ELNS1_3gpuE6ELNS1_3repE0EEENS1_30default_config_static_selectorELNS0_4arch9wavefront6targetE0EEEvT1_.has_indirect_call, 0
	.section	.AMDGPU.csdata,"",@progbits
; Kernel info:
; codeLenInByte = 0
; TotalNumSgprs: 0
; NumVgprs: 0
; ScratchSize: 0
; MemoryBound: 0
; FloatMode: 240
; IeeeMode: 1
; LDSByteSize: 0 bytes/workgroup (compile time only)
; SGPRBlocks: 0
; VGPRBlocks: 0
; NumSGPRsForWavesPerEU: 1
; NumVGPRsForWavesPerEU: 1
; Occupancy: 16
; WaveLimiterHint : 0
; COMPUTE_PGM_RSRC2:SCRATCH_EN: 0
; COMPUTE_PGM_RSRC2:USER_SGPR: 2
; COMPUTE_PGM_RSRC2:TRAP_HANDLER: 0
; COMPUTE_PGM_RSRC2:TGID_X_EN: 1
; COMPUTE_PGM_RSRC2:TGID_Y_EN: 0
; COMPUTE_PGM_RSRC2:TGID_Z_EN: 0
; COMPUTE_PGM_RSRC2:TIDIG_COMP_CNT: 0
	.section	.text._ZN7rocprim17ROCPRIM_400000_NS6detail17trampoline_kernelINS0_14default_configENS1_25partition_config_selectorILNS1_17partition_subalgoE5EsNS0_10empty_typeEbEEZZNS1_14partition_implILS5_5ELb0ES3_mN6thrust23THRUST_200600_302600_NS6detail15normal_iteratorINSA_10device_ptrIsEEEEPS6_NSA_18transform_iteratorINSB_9not_fun_tI7is_trueIsEEENSC_INSD_IbEEEENSA_11use_defaultESO_EENS0_5tupleIJSF_S6_EEENSQ_IJSG_SG_EEES6_PlJS6_EEE10hipError_tPvRmT3_T4_T5_T6_T7_T9_mT8_P12ihipStream_tbDpT10_ENKUlT_T0_E_clISt17integral_constantIbLb1EES1C_IbLb0EEEEDaS18_S19_EUlS18_E_NS1_11comp_targetILNS1_3genE10ELNS1_11target_archE1200ELNS1_3gpuE4ELNS1_3repE0EEENS1_30default_config_static_selectorELNS0_4arch9wavefront6targetE0EEEvT1_,"axG",@progbits,_ZN7rocprim17ROCPRIM_400000_NS6detail17trampoline_kernelINS0_14default_configENS1_25partition_config_selectorILNS1_17partition_subalgoE5EsNS0_10empty_typeEbEEZZNS1_14partition_implILS5_5ELb0ES3_mN6thrust23THRUST_200600_302600_NS6detail15normal_iteratorINSA_10device_ptrIsEEEEPS6_NSA_18transform_iteratorINSB_9not_fun_tI7is_trueIsEEENSC_INSD_IbEEEENSA_11use_defaultESO_EENS0_5tupleIJSF_S6_EEENSQ_IJSG_SG_EEES6_PlJS6_EEE10hipError_tPvRmT3_T4_T5_T6_T7_T9_mT8_P12ihipStream_tbDpT10_ENKUlT_T0_E_clISt17integral_constantIbLb1EES1C_IbLb0EEEEDaS18_S19_EUlS18_E_NS1_11comp_targetILNS1_3genE10ELNS1_11target_archE1200ELNS1_3gpuE4ELNS1_3repE0EEENS1_30default_config_static_selectorELNS0_4arch9wavefront6targetE0EEEvT1_,comdat
	.protected	_ZN7rocprim17ROCPRIM_400000_NS6detail17trampoline_kernelINS0_14default_configENS1_25partition_config_selectorILNS1_17partition_subalgoE5EsNS0_10empty_typeEbEEZZNS1_14partition_implILS5_5ELb0ES3_mN6thrust23THRUST_200600_302600_NS6detail15normal_iteratorINSA_10device_ptrIsEEEEPS6_NSA_18transform_iteratorINSB_9not_fun_tI7is_trueIsEEENSC_INSD_IbEEEENSA_11use_defaultESO_EENS0_5tupleIJSF_S6_EEENSQ_IJSG_SG_EEES6_PlJS6_EEE10hipError_tPvRmT3_T4_T5_T6_T7_T9_mT8_P12ihipStream_tbDpT10_ENKUlT_T0_E_clISt17integral_constantIbLb1EES1C_IbLb0EEEEDaS18_S19_EUlS18_E_NS1_11comp_targetILNS1_3genE10ELNS1_11target_archE1200ELNS1_3gpuE4ELNS1_3repE0EEENS1_30default_config_static_selectorELNS0_4arch9wavefront6targetE0EEEvT1_ ; -- Begin function _ZN7rocprim17ROCPRIM_400000_NS6detail17trampoline_kernelINS0_14default_configENS1_25partition_config_selectorILNS1_17partition_subalgoE5EsNS0_10empty_typeEbEEZZNS1_14partition_implILS5_5ELb0ES3_mN6thrust23THRUST_200600_302600_NS6detail15normal_iteratorINSA_10device_ptrIsEEEEPS6_NSA_18transform_iteratorINSB_9not_fun_tI7is_trueIsEEENSC_INSD_IbEEEENSA_11use_defaultESO_EENS0_5tupleIJSF_S6_EEENSQ_IJSG_SG_EEES6_PlJS6_EEE10hipError_tPvRmT3_T4_T5_T6_T7_T9_mT8_P12ihipStream_tbDpT10_ENKUlT_T0_E_clISt17integral_constantIbLb1EES1C_IbLb0EEEEDaS18_S19_EUlS18_E_NS1_11comp_targetILNS1_3genE10ELNS1_11target_archE1200ELNS1_3gpuE4ELNS1_3repE0EEENS1_30default_config_static_selectorELNS0_4arch9wavefront6targetE0EEEvT1_
	.globl	_ZN7rocprim17ROCPRIM_400000_NS6detail17trampoline_kernelINS0_14default_configENS1_25partition_config_selectorILNS1_17partition_subalgoE5EsNS0_10empty_typeEbEEZZNS1_14partition_implILS5_5ELb0ES3_mN6thrust23THRUST_200600_302600_NS6detail15normal_iteratorINSA_10device_ptrIsEEEEPS6_NSA_18transform_iteratorINSB_9not_fun_tI7is_trueIsEEENSC_INSD_IbEEEENSA_11use_defaultESO_EENS0_5tupleIJSF_S6_EEENSQ_IJSG_SG_EEES6_PlJS6_EEE10hipError_tPvRmT3_T4_T5_T6_T7_T9_mT8_P12ihipStream_tbDpT10_ENKUlT_T0_E_clISt17integral_constantIbLb1EES1C_IbLb0EEEEDaS18_S19_EUlS18_E_NS1_11comp_targetILNS1_3genE10ELNS1_11target_archE1200ELNS1_3gpuE4ELNS1_3repE0EEENS1_30default_config_static_selectorELNS0_4arch9wavefront6targetE0EEEvT1_
	.p2align	8
	.type	_ZN7rocprim17ROCPRIM_400000_NS6detail17trampoline_kernelINS0_14default_configENS1_25partition_config_selectorILNS1_17partition_subalgoE5EsNS0_10empty_typeEbEEZZNS1_14partition_implILS5_5ELb0ES3_mN6thrust23THRUST_200600_302600_NS6detail15normal_iteratorINSA_10device_ptrIsEEEEPS6_NSA_18transform_iteratorINSB_9not_fun_tI7is_trueIsEEENSC_INSD_IbEEEENSA_11use_defaultESO_EENS0_5tupleIJSF_S6_EEENSQ_IJSG_SG_EEES6_PlJS6_EEE10hipError_tPvRmT3_T4_T5_T6_T7_T9_mT8_P12ihipStream_tbDpT10_ENKUlT_T0_E_clISt17integral_constantIbLb1EES1C_IbLb0EEEEDaS18_S19_EUlS18_E_NS1_11comp_targetILNS1_3genE10ELNS1_11target_archE1200ELNS1_3gpuE4ELNS1_3repE0EEENS1_30default_config_static_selectorELNS0_4arch9wavefront6targetE0EEEvT1_,@function
_ZN7rocprim17ROCPRIM_400000_NS6detail17trampoline_kernelINS0_14default_configENS1_25partition_config_selectorILNS1_17partition_subalgoE5EsNS0_10empty_typeEbEEZZNS1_14partition_implILS5_5ELb0ES3_mN6thrust23THRUST_200600_302600_NS6detail15normal_iteratorINSA_10device_ptrIsEEEEPS6_NSA_18transform_iteratorINSB_9not_fun_tI7is_trueIsEEENSC_INSD_IbEEEENSA_11use_defaultESO_EENS0_5tupleIJSF_S6_EEENSQ_IJSG_SG_EEES6_PlJS6_EEE10hipError_tPvRmT3_T4_T5_T6_T7_T9_mT8_P12ihipStream_tbDpT10_ENKUlT_T0_E_clISt17integral_constantIbLb1EES1C_IbLb0EEEEDaS18_S19_EUlS18_E_NS1_11comp_targetILNS1_3genE10ELNS1_11target_archE1200ELNS1_3gpuE4ELNS1_3repE0EEENS1_30default_config_static_selectorELNS0_4arch9wavefront6targetE0EEEvT1_: ; @_ZN7rocprim17ROCPRIM_400000_NS6detail17trampoline_kernelINS0_14default_configENS1_25partition_config_selectorILNS1_17partition_subalgoE5EsNS0_10empty_typeEbEEZZNS1_14partition_implILS5_5ELb0ES3_mN6thrust23THRUST_200600_302600_NS6detail15normal_iteratorINSA_10device_ptrIsEEEEPS6_NSA_18transform_iteratorINSB_9not_fun_tI7is_trueIsEEENSC_INSD_IbEEEENSA_11use_defaultESO_EENS0_5tupleIJSF_S6_EEENSQ_IJSG_SG_EEES6_PlJS6_EEE10hipError_tPvRmT3_T4_T5_T6_T7_T9_mT8_P12ihipStream_tbDpT10_ENKUlT_T0_E_clISt17integral_constantIbLb1EES1C_IbLb0EEEEDaS18_S19_EUlS18_E_NS1_11comp_targetILNS1_3genE10ELNS1_11target_archE1200ELNS1_3gpuE4ELNS1_3repE0EEENS1_30default_config_static_selectorELNS0_4arch9wavefront6targetE0EEEvT1_
; %bb.0:
	s_endpgm
	.section	.rodata,"a",@progbits
	.p2align	6, 0x0
	.amdhsa_kernel _ZN7rocprim17ROCPRIM_400000_NS6detail17trampoline_kernelINS0_14default_configENS1_25partition_config_selectorILNS1_17partition_subalgoE5EsNS0_10empty_typeEbEEZZNS1_14partition_implILS5_5ELb0ES3_mN6thrust23THRUST_200600_302600_NS6detail15normal_iteratorINSA_10device_ptrIsEEEEPS6_NSA_18transform_iteratorINSB_9not_fun_tI7is_trueIsEEENSC_INSD_IbEEEENSA_11use_defaultESO_EENS0_5tupleIJSF_S6_EEENSQ_IJSG_SG_EEES6_PlJS6_EEE10hipError_tPvRmT3_T4_T5_T6_T7_T9_mT8_P12ihipStream_tbDpT10_ENKUlT_T0_E_clISt17integral_constantIbLb1EES1C_IbLb0EEEEDaS18_S19_EUlS18_E_NS1_11comp_targetILNS1_3genE10ELNS1_11target_archE1200ELNS1_3gpuE4ELNS1_3repE0EEENS1_30default_config_static_selectorELNS0_4arch9wavefront6targetE0EEEvT1_
		.amdhsa_group_segment_fixed_size 0
		.amdhsa_private_segment_fixed_size 0
		.amdhsa_kernarg_size 120
		.amdhsa_user_sgpr_count 2
		.amdhsa_user_sgpr_dispatch_ptr 0
		.amdhsa_user_sgpr_queue_ptr 0
		.amdhsa_user_sgpr_kernarg_segment_ptr 1
		.amdhsa_user_sgpr_dispatch_id 0
		.amdhsa_user_sgpr_private_segment_size 0
		.amdhsa_wavefront_size32 1
		.amdhsa_uses_dynamic_stack 0
		.amdhsa_enable_private_segment 0
		.amdhsa_system_sgpr_workgroup_id_x 1
		.amdhsa_system_sgpr_workgroup_id_y 0
		.amdhsa_system_sgpr_workgroup_id_z 0
		.amdhsa_system_sgpr_workgroup_info 0
		.amdhsa_system_vgpr_workitem_id 0
		.amdhsa_next_free_vgpr 1
		.amdhsa_next_free_sgpr 1
		.amdhsa_reserve_vcc 0
		.amdhsa_float_round_mode_32 0
		.amdhsa_float_round_mode_16_64 0
		.amdhsa_float_denorm_mode_32 3
		.amdhsa_float_denorm_mode_16_64 3
		.amdhsa_fp16_overflow 0
		.amdhsa_workgroup_processor_mode 1
		.amdhsa_memory_ordered 1
		.amdhsa_forward_progress 1
		.amdhsa_inst_pref_size 1
		.amdhsa_round_robin_scheduling 0
		.amdhsa_exception_fp_ieee_invalid_op 0
		.amdhsa_exception_fp_denorm_src 0
		.amdhsa_exception_fp_ieee_div_zero 0
		.amdhsa_exception_fp_ieee_overflow 0
		.amdhsa_exception_fp_ieee_underflow 0
		.amdhsa_exception_fp_ieee_inexact 0
		.amdhsa_exception_int_div_zero 0
	.end_amdhsa_kernel
	.section	.text._ZN7rocprim17ROCPRIM_400000_NS6detail17trampoline_kernelINS0_14default_configENS1_25partition_config_selectorILNS1_17partition_subalgoE5EsNS0_10empty_typeEbEEZZNS1_14partition_implILS5_5ELb0ES3_mN6thrust23THRUST_200600_302600_NS6detail15normal_iteratorINSA_10device_ptrIsEEEEPS6_NSA_18transform_iteratorINSB_9not_fun_tI7is_trueIsEEENSC_INSD_IbEEEENSA_11use_defaultESO_EENS0_5tupleIJSF_S6_EEENSQ_IJSG_SG_EEES6_PlJS6_EEE10hipError_tPvRmT3_T4_T5_T6_T7_T9_mT8_P12ihipStream_tbDpT10_ENKUlT_T0_E_clISt17integral_constantIbLb1EES1C_IbLb0EEEEDaS18_S19_EUlS18_E_NS1_11comp_targetILNS1_3genE10ELNS1_11target_archE1200ELNS1_3gpuE4ELNS1_3repE0EEENS1_30default_config_static_selectorELNS0_4arch9wavefront6targetE0EEEvT1_,"axG",@progbits,_ZN7rocprim17ROCPRIM_400000_NS6detail17trampoline_kernelINS0_14default_configENS1_25partition_config_selectorILNS1_17partition_subalgoE5EsNS0_10empty_typeEbEEZZNS1_14partition_implILS5_5ELb0ES3_mN6thrust23THRUST_200600_302600_NS6detail15normal_iteratorINSA_10device_ptrIsEEEEPS6_NSA_18transform_iteratorINSB_9not_fun_tI7is_trueIsEEENSC_INSD_IbEEEENSA_11use_defaultESO_EENS0_5tupleIJSF_S6_EEENSQ_IJSG_SG_EEES6_PlJS6_EEE10hipError_tPvRmT3_T4_T5_T6_T7_T9_mT8_P12ihipStream_tbDpT10_ENKUlT_T0_E_clISt17integral_constantIbLb1EES1C_IbLb0EEEEDaS18_S19_EUlS18_E_NS1_11comp_targetILNS1_3genE10ELNS1_11target_archE1200ELNS1_3gpuE4ELNS1_3repE0EEENS1_30default_config_static_selectorELNS0_4arch9wavefront6targetE0EEEvT1_,comdat
.Lfunc_end2578:
	.size	_ZN7rocprim17ROCPRIM_400000_NS6detail17trampoline_kernelINS0_14default_configENS1_25partition_config_selectorILNS1_17partition_subalgoE5EsNS0_10empty_typeEbEEZZNS1_14partition_implILS5_5ELb0ES3_mN6thrust23THRUST_200600_302600_NS6detail15normal_iteratorINSA_10device_ptrIsEEEEPS6_NSA_18transform_iteratorINSB_9not_fun_tI7is_trueIsEEENSC_INSD_IbEEEENSA_11use_defaultESO_EENS0_5tupleIJSF_S6_EEENSQ_IJSG_SG_EEES6_PlJS6_EEE10hipError_tPvRmT3_T4_T5_T6_T7_T9_mT8_P12ihipStream_tbDpT10_ENKUlT_T0_E_clISt17integral_constantIbLb1EES1C_IbLb0EEEEDaS18_S19_EUlS18_E_NS1_11comp_targetILNS1_3genE10ELNS1_11target_archE1200ELNS1_3gpuE4ELNS1_3repE0EEENS1_30default_config_static_selectorELNS0_4arch9wavefront6targetE0EEEvT1_, .Lfunc_end2578-_ZN7rocprim17ROCPRIM_400000_NS6detail17trampoline_kernelINS0_14default_configENS1_25partition_config_selectorILNS1_17partition_subalgoE5EsNS0_10empty_typeEbEEZZNS1_14partition_implILS5_5ELb0ES3_mN6thrust23THRUST_200600_302600_NS6detail15normal_iteratorINSA_10device_ptrIsEEEEPS6_NSA_18transform_iteratorINSB_9not_fun_tI7is_trueIsEEENSC_INSD_IbEEEENSA_11use_defaultESO_EENS0_5tupleIJSF_S6_EEENSQ_IJSG_SG_EEES6_PlJS6_EEE10hipError_tPvRmT3_T4_T5_T6_T7_T9_mT8_P12ihipStream_tbDpT10_ENKUlT_T0_E_clISt17integral_constantIbLb1EES1C_IbLb0EEEEDaS18_S19_EUlS18_E_NS1_11comp_targetILNS1_3genE10ELNS1_11target_archE1200ELNS1_3gpuE4ELNS1_3repE0EEENS1_30default_config_static_selectorELNS0_4arch9wavefront6targetE0EEEvT1_
                                        ; -- End function
	.set _ZN7rocprim17ROCPRIM_400000_NS6detail17trampoline_kernelINS0_14default_configENS1_25partition_config_selectorILNS1_17partition_subalgoE5EsNS0_10empty_typeEbEEZZNS1_14partition_implILS5_5ELb0ES3_mN6thrust23THRUST_200600_302600_NS6detail15normal_iteratorINSA_10device_ptrIsEEEEPS6_NSA_18transform_iteratorINSB_9not_fun_tI7is_trueIsEEENSC_INSD_IbEEEENSA_11use_defaultESO_EENS0_5tupleIJSF_S6_EEENSQ_IJSG_SG_EEES6_PlJS6_EEE10hipError_tPvRmT3_T4_T5_T6_T7_T9_mT8_P12ihipStream_tbDpT10_ENKUlT_T0_E_clISt17integral_constantIbLb1EES1C_IbLb0EEEEDaS18_S19_EUlS18_E_NS1_11comp_targetILNS1_3genE10ELNS1_11target_archE1200ELNS1_3gpuE4ELNS1_3repE0EEENS1_30default_config_static_selectorELNS0_4arch9wavefront6targetE0EEEvT1_.num_vgpr, 0
	.set _ZN7rocprim17ROCPRIM_400000_NS6detail17trampoline_kernelINS0_14default_configENS1_25partition_config_selectorILNS1_17partition_subalgoE5EsNS0_10empty_typeEbEEZZNS1_14partition_implILS5_5ELb0ES3_mN6thrust23THRUST_200600_302600_NS6detail15normal_iteratorINSA_10device_ptrIsEEEEPS6_NSA_18transform_iteratorINSB_9not_fun_tI7is_trueIsEEENSC_INSD_IbEEEENSA_11use_defaultESO_EENS0_5tupleIJSF_S6_EEENSQ_IJSG_SG_EEES6_PlJS6_EEE10hipError_tPvRmT3_T4_T5_T6_T7_T9_mT8_P12ihipStream_tbDpT10_ENKUlT_T0_E_clISt17integral_constantIbLb1EES1C_IbLb0EEEEDaS18_S19_EUlS18_E_NS1_11comp_targetILNS1_3genE10ELNS1_11target_archE1200ELNS1_3gpuE4ELNS1_3repE0EEENS1_30default_config_static_selectorELNS0_4arch9wavefront6targetE0EEEvT1_.num_agpr, 0
	.set _ZN7rocprim17ROCPRIM_400000_NS6detail17trampoline_kernelINS0_14default_configENS1_25partition_config_selectorILNS1_17partition_subalgoE5EsNS0_10empty_typeEbEEZZNS1_14partition_implILS5_5ELb0ES3_mN6thrust23THRUST_200600_302600_NS6detail15normal_iteratorINSA_10device_ptrIsEEEEPS6_NSA_18transform_iteratorINSB_9not_fun_tI7is_trueIsEEENSC_INSD_IbEEEENSA_11use_defaultESO_EENS0_5tupleIJSF_S6_EEENSQ_IJSG_SG_EEES6_PlJS6_EEE10hipError_tPvRmT3_T4_T5_T6_T7_T9_mT8_P12ihipStream_tbDpT10_ENKUlT_T0_E_clISt17integral_constantIbLb1EES1C_IbLb0EEEEDaS18_S19_EUlS18_E_NS1_11comp_targetILNS1_3genE10ELNS1_11target_archE1200ELNS1_3gpuE4ELNS1_3repE0EEENS1_30default_config_static_selectorELNS0_4arch9wavefront6targetE0EEEvT1_.numbered_sgpr, 0
	.set _ZN7rocprim17ROCPRIM_400000_NS6detail17trampoline_kernelINS0_14default_configENS1_25partition_config_selectorILNS1_17partition_subalgoE5EsNS0_10empty_typeEbEEZZNS1_14partition_implILS5_5ELb0ES3_mN6thrust23THRUST_200600_302600_NS6detail15normal_iteratorINSA_10device_ptrIsEEEEPS6_NSA_18transform_iteratorINSB_9not_fun_tI7is_trueIsEEENSC_INSD_IbEEEENSA_11use_defaultESO_EENS0_5tupleIJSF_S6_EEENSQ_IJSG_SG_EEES6_PlJS6_EEE10hipError_tPvRmT3_T4_T5_T6_T7_T9_mT8_P12ihipStream_tbDpT10_ENKUlT_T0_E_clISt17integral_constantIbLb1EES1C_IbLb0EEEEDaS18_S19_EUlS18_E_NS1_11comp_targetILNS1_3genE10ELNS1_11target_archE1200ELNS1_3gpuE4ELNS1_3repE0EEENS1_30default_config_static_selectorELNS0_4arch9wavefront6targetE0EEEvT1_.num_named_barrier, 0
	.set _ZN7rocprim17ROCPRIM_400000_NS6detail17trampoline_kernelINS0_14default_configENS1_25partition_config_selectorILNS1_17partition_subalgoE5EsNS0_10empty_typeEbEEZZNS1_14partition_implILS5_5ELb0ES3_mN6thrust23THRUST_200600_302600_NS6detail15normal_iteratorINSA_10device_ptrIsEEEEPS6_NSA_18transform_iteratorINSB_9not_fun_tI7is_trueIsEEENSC_INSD_IbEEEENSA_11use_defaultESO_EENS0_5tupleIJSF_S6_EEENSQ_IJSG_SG_EEES6_PlJS6_EEE10hipError_tPvRmT3_T4_T5_T6_T7_T9_mT8_P12ihipStream_tbDpT10_ENKUlT_T0_E_clISt17integral_constantIbLb1EES1C_IbLb0EEEEDaS18_S19_EUlS18_E_NS1_11comp_targetILNS1_3genE10ELNS1_11target_archE1200ELNS1_3gpuE4ELNS1_3repE0EEENS1_30default_config_static_selectorELNS0_4arch9wavefront6targetE0EEEvT1_.private_seg_size, 0
	.set _ZN7rocprim17ROCPRIM_400000_NS6detail17trampoline_kernelINS0_14default_configENS1_25partition_config_selectorILNS1_17partition_subalgoE5EsNS0_10empty_typeEbEEZZNS1_14partition_implILS5_5ELb0ES3_mN6thrust23THRUST_200600_302600_NS6detail15normal_iteratorINSA_10device_ptrIsEEEEPS6_NSA_18transform_iteratorINSB_9not_fun_tI7is_trueIsEEENSC_INSD_IbEEEENSA_11use_defaultESO_EENS0_5tupleIJSF_S6_EEENSQ_IJSG_SG_EEES6_PlJS6_EEE10hipError_tPvRmT3_T4_T5_T6_T7_T9_mT8_P12ihipStream_tbDpT10_ENKUlT_T0_E_clISt17integral_constantIbLb1EES1C_IbLb0EEEEDaS18_S19_EUlS18_E_NS1_11comp_targetILNS1_3genE10ELNS1_11target_archE1200ELNS1_3gpuE4ELNS1_3repE0EEENS1_30default_config_static_selectorELNS0_4arch9wavefront6targetE0EEEvT1_.uses_vcc, 0
	.set _ZN7rocprim17ROCPRIM_400000_NS6detail17trampoline_kernelINS0_14default_configENS1_25partition_config_selectorILNS1_17partition_subalgoE5EsNS0_10empty_typeEbEEZZNS1_14partition_implILS5_5ELb0ES3_mN6thrust23THRUST_200600_302600_NS6detail15normal_iteratorINSA_10device_ptrIsEEEEPS6_NSA_18transform_iteratorINSB_9not_fun_tI7is_trueIsEEENSC_INSD_IbEEEENSA_11use_defaultESO_EENS0_5tupleIJSF_S6_EEENSQ_IJSG_SG_EEES6_PlJS6_EEE10hipError_tPvRmT3_T4_T5_T6_T7_T9_mT8_P12ihipStream_tbDpT10_ENKUlT_T0_E_clISt17integral_constantIbLb1EES1C_IbLb0EEEEDaS18_S19_EUlS18_E_NS1_11comp_targetILNS1_3genE10ELNS1_11target_archE1200ELNS1_3gpuE4ELNS1_3repE0EEENS1_30default_config_static_selectorELNS0_4arch9wavefront6targetE0EEEvT1_.uses_flat_scratch, 0
	.set _ZN7rocprim17ROCPRIM_400000_NS6detail17trampoline_kernelINS0_14default_configENS1_25partition_config_selectorILNS1_17partition_subalgoE5EsNS0_10empty_typeEbEEZZNS1_14partition_implILS5_5ELb0ES3_mN6thrust23THRUST_200600_302600_NS6detail15normal_iteratorINSA_10device_ptrIsEEEEPS6_NSA_18transform_iteratorINSB_9not_fun_tI7is_trueIsEEENSC_INSD_IbEEEENSA_11use_defaultESO_EENS0_5tupleIJSF_S6_EEENSQ_IJSG_SG_EEES6_PlJS6_EEE10hipError_tPvRmT3_T4_T5_T6_T7_T9_mT8_P12ihipStream_tbDpT10_ENKUlT_T0_E_clISt17integral_constantIbLb1EES1C_IbLb0EEEEDaS18_S19_EUlS18_E_NS1_11comp_targetILNS1_3genE10ELNS1_11target_archE1200ELNS1_3gpuE4ELNS1_3repE0EEENS1_30default_config_static_selectorELNS0_4arch9wavefront6targetE0EEEvT1_.has_dyn_sized_stack, 0
	.set _ZN7rocprim17ROCPRIM_400000_NS6detail17trampoline_kernelINS0_14default_configENS1_25partition_config_selectorILNS1_17partition_subalgoE5EsNS0_10empty_typeEbEEZZNS1_14partition_implILS5_5ELb0ES3_mN6thrust23THRUST_200600_302600_NS6detail15normal_iteratorINSA_10device_ptrIsEEEEPS6_NSA_18transform_iteratorINSB_9not_fun_tI7is_trueIsEEENSC_INSD_IbEEEENSA_11use_defaultESO_EENS0_5tupleIJSF_S6_EEENSQ_IJSG_SG_EEES6_PlJS6_EEE10hipError_tPvRmT3_T4_T5_T6_T7_T9_mT8_P12ihipStream_tbDpT10_ENKUlT_T0_E_clISt17integral_constantIbLb1EES1C_IbLb0EEEEDaS18_S19_EUlS18_E_NS1_11comp_targetILNS1_3genE10ELNS1_11target_archE1200ELNS1_3gpuE4ELNS1_3repE0EEENS1_30default_config_static_selectorELNS0_4arch9wavefront6targetE0EEEvT1_.has_recursion, 0
	.set _ZN7rocprim17ROCPRIM_400000_NS6detail17trampoline_kernelINS0_14default_configENS1_25partition_config_selectorILNS1_17partition_subalgoE5EsNS0_10empty_typeEbEEZZNS1_14partition_implILS5_5ELb0ES3_mN6thrust23THRUST_200600_302600_NS6detail15normal_iteratorINSA_10device_ptrIsEEEEPS6_NSA_18transform_iteratorINSB_9not_fun_tI7is_trueIsEEENSC_INSD_IbEEEENSA_11use_defaultESO_EENS0_5tupleIJSF_S6_EEENSQ_IJSG_SG_EEES6_PlJS6_EEE10hipError_tPvRmT3_T4_T5_T6_T7_T9_mT8_P12ihipStream_tbDpT10_ENKUlT_T0_E_clISt17integral_constantIbLb1EES1C_IbLb0EEEEDaS18_S19_EUlS18_E_NS1_11comp_targetILNS1_3genE10ELNS1_11target_archE1200ELNS1_3gpuE4ELNS1_3repE0EEENS1_30default_config_static_selectorELNS0_4arch9wavefront6targetE0EEEvT1_.has_indirect_call, 0
	.section	.AMDGPU.csdata,"",@progbits
; Kernel info:
; codeLenInByte = 4
; TotalNumSgprs: 0
; NumVgprs: 0
; ScratchSize: 0
; MemoryBound: 0
; FloatMode: 240
; IeeeMode: 1
; LDSByteSize: 0 bytes/workgroup (compile time only)
; SGPRBlocks: 0
; VGPRBlocks: 0
; NumSGPRsForWavesPerEU: 1
; NumVGPRsForWavesPerEU: 1
; Occupancy: 16
; WaveLimiterHint : 0
; COMPUTE_PGM_RSRC2:SCRATCH_EN: 0
; COMPUTE_PGM_RSRC2:USER_SGPR: 2
; COMPUTE_PGM_RSRC2:TRAP_HANDLER: 0
; COMPUTE_PGM_RSRC2:TGID_X_EN: 1
; COMPUTE_PGM_RSRC2:TGID_Y_EN: 0
; COMPUTE_PGM_RSRC2:TGID_Z_EN: 0
; COMPUTE_PGM_RSRC2:TIDIG_COMP_CNT: 0
	.section	.text._ZN7rocprim17ROCPRIM_400000_NS6detail17trampoline_kernelINS0_14default_configENS1_25partition_config_selectorILNS1_17partition_subalgoE5EsNS0_10empty_typeEbEEZZNS1_14partition_implILS5_5ELb0ES3_mN6thrust23THRUST_200600_302600_NS6detail15normal_iteratorINSA_10device_ptrIsEEEEPS6_NSA_18transform_iteratorINSB_9not_fun_tI7is_trueIsEEENSC_INSD_IbEEEENSA_11use_defaultESO_EENS0_5tupleIJSF_S6_EEENSQ_IJSG_SG_EEES6_PlJS6_EEE10hipError_tPvRmT3_T4_T5_T6_T7_T9_mT8_P12ihipStream_tbDpT10_ENKUlT_T0_E_clISt17integral_constantIbLb1EES1C_IbLb0EEEEDaS18_S19_EUlS18_E_NS1_11comp_targetILNS1_3genE9ELNS1_11target_archE1100ELNS1_3gpuE3ELNS1_3repE0EEENS1_30default_config_static_selectorELNS0_4arch9wavefront6targetE0EEEvT1_,"axG",@progbits,_ZN7rocprim17ROCPRIM_400000_NS6detail17trampoline_kernelINS0_14default_configENS1_25partition_config_selectorILNS1_17partition_subalgoE5EsNS0_10empty_typeEbEEZZNS1_14partition_implILS5_5ELb0ES3_mN6thrust23THRUST_200600_302600_NS6detail15normal_iteratorINSA_10device_ptrIsEEEEPS6_NSA_18transform_iteratorINSB_9not_fun_tI7is_trueIsEEENSC_INSD_IbEEEENSA_11use_defaultESO_EENS0_5tupleIJSF_S6_EEENSQ_IJSG_SG_EEES6_PlJS6_EEE10hipError_tPvRmT3_T4_T5_T6_T7_T9_mT8_P12ihipStream_tbDpT10_ENKUlT_T0_E_clISt17integral_constantIbLb1EES1C_IbLb0EEEEDaS18_S19_EUlS18_E_NS1_11comp_targetILNS1_3genE9ELNS1_11target_archE1100ELNS1_3gpuE3ELNS1_3repE0EEENS1_30default_config_static_selectorELNS0_4arch9wavefront6targetE0EEEvT1_,comdat
	.protected	_ZN7rocprim17ROCPRIM_400000_NS6detail17trampoline_kernelINS0_14default_configENS1_25partition_config_selectorILNS1_17partition_subalgoE5EsNS0_10empty_typeEbEEZZNS1_14partition_implILS5_5ELb0ES3_mN6thrust23THRUST_200600_302600_NS6detail15normal_iteratorINSA_10device_ptrIsEEEEPS6_NSA_18transform_iteratorINSB_9not_fun_tI7is_trueIsEEENSC_INSD_IbEEEENSA_11use_defaultESO_EENS0_5tupleIJSF_S6_EEENSQ_IJSG_SG_EEES6_PlJS6_EEE10hipError_tPvRmT3_T4_T5_T6_T7_T9_mT8_P12ihipStream_tbDpT10_ENKUlT_T0_E_clISt17integral_constantIbLb1EES1C_IbLb0EEEEDaS18_S19_EUlS18_E_NS1_11comp_targetILNS1_3genE9ELNS1_11target_archE1100ELNS1_3gpuE3ELNS1_3repE0EEENS1_30default_config_static_selectorELNS0_4arch9wavefront6targetE0EEEvT1_ ; -- Begin function _ZN7rocprim17ROCPRIM_400000_NS6detail17trampoline_kernelINS0_14default_configENS1_25partition_config_selectorILNS1_17partition_subalgoE5EsNS0_10empty_typeEbEEZZNS1_14partition_implILS5_5ELb0ES3_mN6thrust23THRUST_200600_302600_NS6detail15normal_iteratorINSA_10device_ptrIsEEEEPS6_NSA_18transform_iteratorINSB_9not_fun_tI7is_trueIsEEENSC_INSD_IbEEEENSA_11use_defaultESO_EENS0_5tupleIJSF_S6_EEENSQ_IJSG_SG_EEES6_PlJS6_EEE10hipError_tPvRmT3_T4_T5_T6_T7_T9_mT8_P12ihipStream_tbDpT10_ENKUlT_T0_E_clISt17integral_constantIbLb1EES1C_IbLb0EEEEDaS18_S19_EUlS18_E_NS1_11comp_targetILNS1_3genE9ELNS1_11target_archE1100ELNS1_3gpuE3ELNS1_3repE0EEENS1_30default_config_static_selectorELNS0_4arch9wavefront6targetE0EEEvT1_
	.globl	_ZN7rocprim17ROCPRIM_400000_NS6detail17trampoline_kernelINS0_14default_configENS1_25partition_config_selectorILNS1_17partition_subalgoE5EsNS0_10empty_typeEbEEZZNS1_14partition_implILS5_5ELb0ES3_mN6thrust23THRUST_200600_302600_NS6detail15normal_iteratorINSA_10device_ptrIsEEEEPS6_NSA_18transform_iteratorINSB_9not_fun_tI7is_trueIsEEENSC_INSD_IbEEEENSA_11use_defaultESO_EENS0_5tupleIJSF_S6_EEENSQ_IJSG_SG_EEES6_PlJS6_EEE10hipError_tPvRmT3_T4_T5_T6_T7_T9_mT8_P12ihipStream_tbDpT10_ENKUlT_T0_E_clISt17integral_constantIbLb1EES1C_IbLb0EEEEDaS18_S19_EUlS18_E_NS1_11comp_targetILNS1_3genE9ELNS1_11target_archE1100ELNS1_3gpuE3ELNS1_3repE0EEENS1_30default_config_static_selectorELNS0_4arch9wavefront6targetE0EEEvT1_
	.p2align	8
	.type	_ZN7rocprim17ROCPRIM_400000_NS6detail17trampoline_kernelINS0_14default_configENS1_25partition_config_selectorILNS1_17partition_subalgoE5EsNS0_10empty_typeEbEEZZNS1_14partition_implILS5_5ELb0ES3_mN6thrust23THRUST_200600_302600_NS6detail15normal_iteratorINSA_10device_ptrIsEEEEPS6_NSA_18transform_iteratorINSB_9not_fun_tI7is_trueIsEEENSC_INSD_IbEEEENSA_11use_defaultESO_EENS0_5tupleIJSF_S6_EEENSQ_IJSG_SG_EEES6_PlJS6_EEE10hipError_tPvRmT3_T4_T5_T6_T7_T9_mT8_P12ihipStream_tbDpT10_ENKUlT_T0_E_clISt17integral_constantIbLb1EES1C_IbLb0EEEEDaS18_S19_EUlS18_E_NS1_11comp_targetILNS1_3genE9ELNS1_11target_archE1100ELNS1_3gpuE3ELNS1_3repE0EEENS1_30default_config_static_selectorELNS0_4arch9wavefront6targetE0EEEvT1_,@function
_ZN7rocprim17ROCPRIM_400000_NS6detail17trampoline_kernelINS0_14default_configENS1_25partition_config_selectorILNS1_17partition_subalgoE5EsNS0_10empty_typeEbEEZZNS1_14partition_implILS5_5ELb0ES3_mN6thrust23THRUST_200600_302600_NS6detail15normal_iteratorINSA_10device_ptrIsEEEEPS6_NSA_18transform_iteratorINSB_9not_fun_tI7is_trueIsEEENSC_INSD_IbEEEENSA_11use_defaultESO_EENS0_5tupleIJSF_S6_EEENSQ_IJSG_SG_EEES6_PlJS6_EEE10hipError_tPvRmT3_T4_T5_T6_T7_T9_mT8_P12ihipStream_tbDpT10_ENKUlT_T0_E_clISt17integral_constantIbLb1EES1C_IbLb0EEEEDaS18_S19_EUlS18_E_NS1_11comp_targetILNS1_3genE9ELNS1_11target_archE1100ELNS1_3gpuE3ELNS1_3repE0EEENS1_30default_config_static_selectorELNS0_4arch9wavefront6targetE0EEEvT1_: ; @_ZN7rocprim17ROCPRIM_400000_NS6detail17trampoline_kernelINS0_14default_configENS1_25partition_config_selectorILNS1_17partition_subalgoE5EsNS0_10empty_typeEbEEZZNS1_14partition_implILS5_5ELb0ES3_mN6thrust23THRUST_200600_302600_NS6detail15normal_iteratorINSA_10device_ptrIsEEEEPS6_NSA_18transform_iteratorINSB_9not_fun_tI7is_trueIsEEENSC_INSD_IbEEEENSA_11use_defaultESO_EENS0_5tupleIJSF_S6_EEENSQ_IJSG_SG_EEES6_PlJS6_EEE10hipError_tPvRmT3_T4_T5_T6_T7_T9_mT8_P12ihipStream_tbDpT10_ENKUlT_T0_E_clISt17integral_constantIbLb1EES1C_IbLb0EEEEDaS18_S19_EUlS18_E_NS1_11comp_targetILNS1_3genE9ELNS1_11target_archE1100ELNS1_3gpuE3ELNS1_3repE0EEENS1_30default_config_static_selectorELNS0_4arch9wavefront6targetE0EEEvT1_
; %bb.0:
	.section	.rodata,"a",@progbits
	.p2align	6, 0x0
	.amdhsa_kernel _ZN7rocprim17ROCPRIM_400000_NS6detail17trampoline_kernelINS0_14default_configENS1_25partition_config_selectorILNS1_17partition_subalgoE5EsNS0_10empty_typeEbEEZZNS1_14partition_implILS5_5ELb0ES3_mN6thrust23THRUST_200600_302600_NS6detail15normal_iteratorINSA_10device_ptrIsEEEEPS6_NSA_18transform_iteratorINSB_9not_fun_tI7is_trueIsEEENSC_INSD_IbEEEENSA_11use_defaultESO_EENS0_5tupleIJSF_S6_EEENSQ_IJSG_SG_EEES6_PlJS6_EEE10hipError_tPvRmT3_T4_T5_T6_T7_T9_mT8_P12ihipStream_tbDpT10_ENKUlT_T0_E_clISt17integral_constantIbLb1EES1C_IbLb0EEEEDaS18_S19_EUlS18_E_NS1_11comp_targetILNS1_3genE9ELNS1_11target_archE1100ELNS1_3gpuE3ELNS1_3repE0EEENS1_30default_config_static_selectorELNS0_4arch9wavefront6targetE0EEEvT1_
		.amdhsa_group_segment_fixed_size 0
		.amdhsa_private_segment_fixed_size 0
		.amdhsa_kernarg_size 120
		.amdhsa_user_sgpr_count 2
		.amdhsa_user_sgpr_dispatch_ptr 0
		.amdhsa_user_sgpr_queue_ptr 0
		.amdhsa_user_sgpr_kernarg_segment_ptr 1
		.amdhsa_user_sgpr_dispatch_id 0
		.amdhsa_user_sgpr_private_segment_size 0
		.amdhsa_wavefront_size32 1
		.amdhsa_uses_dynamic_stack 0
		.amdhsa_enable_private_segment 0
		.amdhsa_system_sgpr_workgroup_id_x 1
		.amdhsa_system_sgpr_workgroup_id_y 0
		.amdhsa_system_sgpr_workgroup_id_z 0
		.amdhsa_system_sgpr_workgroup_info 0
		.amdhsa_system_vgpr_workitem_id 0
		.amdhsa_next_free_vgpr 1
		.amdhsa_next_free_sgpr 1
		.amdhsa_reserve_vcc 0
		.amdhsa_float_round_mode_32 0
		.amdhsa_float_round_mode_16_64 0
		.amdhsa_float_denorm_mode_32 3
		.amdhsa_float_denorm_mode_16_64 3
		.amdhsa_fp16_overflow 0
		.amdhsa_workgroup_processor_mode 1
		.amdhsa_memory_ordered 1
		.amdhsa_forward_progress 1
		.amdhsa_inst_pref_size 0
		.amdhsa_round_robin_scheduling 0
		.amdhsa_exception_fp_ieee_invalid_op 0
		.amdhsa_exception_fp_denorm_src 0
		.amdhsa_exception_fp_ieee_div_zero 0
		.amdhsa_exception_fp_ieee_overflow 0
		.amdhsa_exception_fp_ieee_underflow 0
		.amdhsa_exception_fp_ieee_inexact 0
		.amdhsa_exception_int_div_zero 0
	.end_amdhsa_kernel
	.section	.text._ZN7rocprim17ROCPRIM_400000_NS6detail17trampoline_kernelINS0_14default_configENS1_25partition_config_selectorILNS1_17partition_subalgoE5EsNS0_10empty_typeEbEEZZNS1_14partition_implILS5_5ELb0ES3_mN6thrust23THRUST_200600_302600_NS6detail15normal_iteratorINSA_10device_ptrIsEEEEPS6_NSA_18transform_iteratorINSB_9not_fun_tI7is_trueIsEEENSC_INSD_IbEEEENSA_11use_defaultESO_EENS0_5tupleIJSF_S6_EEENSQ_IJSG_SG_EEES6_PlJS6_EEE10hipError_tPvRmT3_T4_T5_T6_T7_T9_mT8_P12ihipStream_tbDpT10_ENKUlT_T0_E_clISt17integral_constantIbLb1EES1C_IbLb0EEEEDaS18_S19_EUlS18_E_NS1_11comp_targetILNS1_3genE9ELNS1_11target_archE1100ELNS1_3gpuE3ELNS1_3repE0EEENS1_30default_config_static_selectorELNS0_4arch9wavefront6targetE0EEEvT1_,"axG",@progbits,_ZN7rocprim17ROCPRIM_400000_NS6detail17trampoline_kernelINS0_14default_configENS1_25partition_config_selectorILNS1_17partition_subalgoE5EsNS0_10empty_typeEbEEZZNS1_14partition_implILS5_5ELb0ES3_mN6thrust23THRUST_200600_302600_NS6detail15normal_iteratorINSA_10device_ptrIsEEEEPS6_NSA_18transform_iteratorINSB_9not_fun_tI7is_trueIsEEENSC_INSD_IbEEEENSA_11use_defaultESO_EENS0_5tupleIJSF_S6_EEENSQ_IJSG_SG_EEES6_PlJS6_EEE10hipError_tPvRmT3_T4_T5_T6_T7_T9_mT8_P12ihipStream_tbDpT10_ENKUlT_T0_E_clISt17integral_constantIbLb1EES1C_IbLb0EEEEDaS18_S19_EUlS18_E_NS1_11comp_targetILNS1_3genE9ELNS1_11target_archE1100ELNS1_3gpuE3ELNS1_3repE0EEENS1_30default_config_static_selectorELNS0_4arch9wavefront6targetE0EEEvT1_,comdat
.Lfunc_end2579:
	.size	_ZN7rocprim17ROCPRIM_400000_NS6detail17trampoline_kernelINS0_14default_configENS1_25partition_config_selectorILNS1_17partition_subalgoE5EsNS0_10empty_typeEbEEZZNS1_14partition_implILS5_5ELb0ES3_mN6thrust23THRUST_200600_302600_NS6detail15normal_iteratorINSA_10device_ptrIsEEEEPS6_NSA_18transform_iteratorINSB_9not_fun_tI7is_trueIsEEENSC_INSD_IbEEEENSA_11use_defaultESO_EENS0_5tupleIJSF_S6_EEENSQ_IJSG_SG_EEES6_PlJS6_EEE10hipError_tPvRmT3_T4_T5_T6_T7_T9_mT8_P12ihipStream_tbDpT10_ENKUlT_T0_E_clISt17integral_constantIbLb1EES1C_IbLb0EEEEDaS18_S19_EUlS18_E_NS1_11comp_targetILNS1_3genE9ELNS1_11target_archE1100ELNS1_3gpuE3ELNS1_3repE0EEENS1_30default_config_static_selectorELNS0_4arch9wavefront6targetE0EEEvT1_, .Lfunc_end2579-_ZN7rocprim17ROCPRIM_400000_NS6detail17trampoline_kernelINS0_14default_configENS1_25partition_config_selectorILNS1_17partition_subalgoE5EsNS0_10empty_typeEbEEZZNS1_14partition_implILS5_5ELb0ES3_mN6thrust23THRUST_200600_302600_NS6detail15normal_iteratorINSA_10device_ptrIsEEEEPS6_NSA_18transform_iteratorINSB_9not_fun_tI7is_trueIsEEENSC_INSD_IbEEEENSA_11use_defaultESO_EENS0_5tupleIJSF_S6_EEENSQ_IJSG_SG_EEES6_PlJS6_EEE10hipError_tPvRmT3_T4_T5_T6_T7_T9_mT8_P12ihipStream_tbDpT10_ENKUlT_T0_E_clISt17integral_constantIbLb1EES1C_IbLb0EEEEDaS18_S19_EUlS18_E_NS1_11comp_targetILNS1_3genE9ELNS1_11target_archE1100ELNS1_3gpuE3ELNS1_3repE0EEENS1_30default_config_static_selectorELNS0_4arch9wavefront6targetE0EEEvT1_
                                        ; -- End function
	.set _ZN7rocprim17ROCPRIM_400000_NS6detail17trampoline_kernelINS0_14default_configENS1_25partition_config_selectorILNS1_17partition_subalgoE5EsNS0_10empty_typeEbEEZZNS1_14partition_implILS5_5ELb0ES3_mN6thrust23THRUST_200600_302600_NS6detail15normal_iteratorINSA_10device_ptrIsEEEEPS6_NSA_18transform_iteratorINSB_9not_fun_tI7is_trueIsEEENSC_INSD_IbEEEENSA_11use_defaultESO_EENS0_5tupleIJSF_S6_EEENSQ_IJSG_SG_EEES6_PlJS6_EEE10hipError_tPvRmT3_T4_T5_T6_T7_T9_mT8_P12ihipStream_tbDpT10_ENKUlT_T0_E_clISt17integral_constantIbLb1EES1C_IbLb0EEEEDaS18_S19_EUlS18_E_NS1_11comp_targetILNS1_3genE9ELNS1_11target_archE1100ELNS1_3gpuE3ELNS1_3repE0EEENS1_30default_config_static_selectorELNS0_4arch9wavefront6targetE0EEEvT1_.num_vgpr, 0
	.set _ZN7rocprim17ROCPRIM_400000_NS6detail17trampoline_kernelINS0_14default_configENS1_25partition_config_selectorILNS1_17partition_subalgoE5EsNS0_10empty_typeEbEEZZNS1_14partition_implILS5_5ELb0ES3_mN6thrust23THRUST_200600_302600_NS6detail15normal_iteratorINSA_10device_ptrIsEEEEPS6_NSA_18transform_iteratorINSB_9not_fun_tI7is_trueIsEEENSC_INSD_IbEEEENSA_11use_defaultESO_EENS0_5tupleIJSF_S6_EEENSQ_IJSG_SG_EEES6_PlJS6_EEE10hipError_tPvRmT3_T4_T5_T6_T7_T9_mT8_P12ihipStream_tbDpT10_ENKUlT_T0_E_clISt17integral_constantIbLb1EES1C_IbLb0EEEEDaS18_S19_EUlS18_E_NS1_11comp_targetILNS1_3genE9ELNS1_11target_archE1100ELNS1_3gpuE3ELNS1_3repE0EEENS1_30default_config_static_selectorELNS0_4arch9wavefront6targetE0EEEvT1_.num_agpr, 0
	.set _ZN7rocprim17ROCPRIM_400000_NS6detail17trampoline_kernelINS0_14default_configENS1_25partition_config_selectorILNS1_17partition_subalgoE5EsNS0_10empty_typeEbEEZZNS1_14partition_implILS5_5ELb0ES3_mN6thrust23THRUST_200600_302600_NS6detail15normal_iteratorINSA_10device_ptrIsEEEEPS6_NSA_18transform_iteratorINSB_9not_fun_tI7is_trueIsEEENSC_INSD_IbEEEENSA_11use_defaultESO_EENS0_5tupleIJSF_S6_EEENSQ_IJSG_SG_EEES6_PlJS6_EEE10hipError_tPvRmT3_T4_T5_T6_T7_T9_mT8_P12ihipStream_tbDpT10_ENKUlT_T0_E_clISt17integral_constantIbLb1EES1C_IbLb0EEEEDaS18_S19_EUlS18_E_NS1_11comp_targetILNS1_3genE9ELNS1_11target_archE1100ELNS1_3gpuE3ELNS1_3repE0EEENS1_30default_config_static_selectorELNS0_4arch9wavefront6targetE0EEEvT1_.numbered_sgpr, 0
	.set _ZN7rocprim17ROCPRIM_400000_NS6detail17trampoline_kernelINS0_14default_configENS1_25partition_config_selectorILNS1_17partition_subalgoE5EsNS0_10empty_typeEbEEZZNS1_14partition_implILS5_5ELb0ES3_mN6thrust23THRUST_200600_302600_NS6detail15normal_iteratorINSA_10device_ptrIsEEEEPS6_NSA_18transform_iteratorINSB_9not_fun_tI7is_trueIsEEENSC_INSD_IbEEEENSA_11use_defaultESO_EENS0_5tupleIJSF_S6_EEENSQ_IJSG_SG_EEES6_PlJS6_EEE10hipError_tPvRmT3_T4_T5_T6_T7_T9_mT8_P12ihipStream_tbDpT10_ENKUlT_T0_E_clISt17integral_constantIbLb1EES1C_IbLb0EEEEDaS18_S19_EUlS18_E_NS1_11comp_targetILNS1_3genE9ELNS1_11target_archE1100ELNS1_3gpuE3ELNS1_3repE0EEENS1_30default_config_static_selectorELNS0_4arch9wavefront6targetE0EEEvT1_.num_named_barrier, 0
	.set _ZN7rocprim17ROCPRIM_400000_NS6detail17trampoline_kernelINS0_14default_configENS1_25partition_config_selectorILNS1_17partition_subalgoE5EsNS0_10empty_typeEbEEZZNS1_14partition_implILS5_5ELb0ES3_mN6thrust23THRUST_200600_302600_NS6detail15normal_iteratorINSA_10device_ptrIsEEEEPS6_NSA_18transform_iteratorINSB_9not_fun_tI7is_trueIsEEENSC_INSD_IbEEEENSA_11use_defaultESO_EENS0_5tupleIJSF_S6_EEENSQ_IJSG_SG_EEES6_PlJS6_EEE10hipError_tPvRmT3_T4_T5_T6_T7_T9_mT8_P12ihipStream_tbDpT10_ENKUlT_T0_E_clISt17integral_constantIbLb1EES1C_IbLb0EEEEDaS18_S19_EUlS18_E_NS1_11comp_targetILNS1_3genE9ELNS1_11target_archE1100ELNS1_3gpuE3ELNS1_3repE0EEENS1_30default_config_static_selectorELNS0_4arch9wavefront6targetE0EEEvT1_.private_seg_size, 0
	.set _ZN7rocprim17ROCPRIM_400000_NS6detail17trampoline_kernelINS0_14default_configENS1_25partition_config_selectorILNS1_17partition_subalgoE5EsNS0_10empty_typeEbEEZZNS1_14partition_implILS5_5ELb0ES3_mN6thrust23THRUST_200600_302600_NS6detail15normal_iteratorINSA_10device_ptrIsEEEEPS6_NSA_18transform_iteratorINSB_9not_fun_tI7is_trueIsEEENSC_INSD_IbEEEENSA_11use_defaultESO_EENS0_5tupleIJSF_S6_EEENSQ_IJSG_SG_EEES6_PlJS6_EEE10hipError_tPvRmT3_T4_T5_T6_T7_T9_mT8_P12ihipStream_tbDpT10_ENKUlT_T0_E_clISt17integral_constantIbLb1EES1C_IbLb0EEEEDaS18_S19_EUlS18_E_NS1_11comp_targetILNS1_3genE9ELNS1_11target_archE1100ELNS1_3gpuE3ELNS1_3repE0EEENS1_30default_config_static_selectorELNS0_4arch9wavefront6targetE0EEEvT1_.uses_vcc, 0
	.set _ZN7rocprim17ROCPRIM_400000_NS6detail17trampoline_kernelINS0_14default_configENS1_25partition_config_selectorILNS1_17partition_subalgoE5EsNS0_10empty_typeEbEEZZNS1_14partition_implILS5_5ELb0ES3_mN6thrust23THRUST_200600_302600_NS6detail15normal_iteratorINSA_10device_ptrIsEEEEPS6_NSA_18transform_iteratorINSB_9not_fun_tI7is_trueIsEEENSC_INSD_IbEEEENSA_11use_defaultESO_EENS0_5tupleIJSF_S6_EEENSQ_IJSG_SG_EEES6_PlJS6_EEE10hipError_tPvRmT3_T4_T5_T6_T7_T9_mT8_P12ihipStream_tbDpT10_ENKUlT_T0_E_clISt17integral_constantIbLb1EES1C_IbLb0EEEEDaS18_S19_EUlS18_E_NS1_11comp_targetILNS1_3genE9ELNS1_11target_archE1100ELNS1_3gpuE3ELNS1_3repE0EEENS1_30default_config_static_selectorELNS0_4arch9wavefront6targetE0EEEvT1_.uses_flat_scratch, 0
	.set _ZN7rocprim17ROCPRIM_400000_NS6detail17trampoline_kernelINS0_14default_configENS1_25partition_config_selectorILNS1_17partition_subalgoE5EsNS0_10empty_typeEbEEZZNS1_14partition_implILS5_5ELb0ES3_mN6thrust23THRUST_200600_302600_NS6detail15normal_iteratorINSA_10device_ptrIsEEEEPS6_NSA_18transform_iteratorINSB_9not_fun_tI7is_trueIsEEENSC_INSD_IbEEEENSA_11use_defaultESO_EENS0_5tupleIJSF_S6_EEENSQ_IJSG_SG_EEES6_PlJS6_EEE10hipError_tPvRmT3_T4_T5_T6_T7_T9_mT8_P12ihipStream_tbDpT10_ENKUlT_T0_E_clISt17integral_constantIbLb1EES1C_IbLb0EEEEDaS18_S19_EUlS18_E_NS1_11comp_targetILNS1_3genE9ELNS1_11target_archE1100ELNS1_3gpuE3ELNS1_3repE0EEENS1_30default_config_static_selectorELNS0_4arch9wavefront6targetE0EEEvT1_.has_dyn_sized_stack, 0
	.set _ZN7rocprim17ROCPRIM_400000_NS6detail17trampoline_kernelINS0_14default_configENS1_25partition_config_selectorILNS1_17partition_subalgoE5EsNS0_10empty_typeEbEEZZNS1_14partition_implILS5_5ELb0ES3_mN6thrust23THRUST_200600_302600_NS6detail15normal_iteratorINSA_10device_ptrIsEEEEPS6_NSA_18transform_iteratorINSB_9not_fun_tI7is_trueIsEEENSC_INSD_IbEEEENSA_11use_defaultESO_EENS0_5tupleIJSF_S6_EEENSQ_IJSG_SG_EEES6_PlJS6_EEE10hipError_tPvRmT3_T4_T5_T6_T7_T9_mT8_P12ihipStream_tbDpT10_ENKUlT_T0_E_clISt17integral_constantIbLb1EES1C_IbLb0EEEEDaS18_S19_EUlS18_E_NS1_11comp_targetILNS1_3genE9ELNS1_11target_archE1100ELNS1_3gpuE3ELNS1_3repE0EEENS1_30default_config_static_selectorELNS0_4arch9wavefront6targetE0EEEvT1_.has_recursion, 0
	.set _ZN7rocprim17ROCPRIM_400000_NS6detail17trampoline_kernelINS0_14default_configENS1_25partition_config_selectorILNS1_17partition_subalgoE5EsNS0_10empty_typeEbEEZZNS1_14partition_implILS5_5ELb0ES3_mN6thrust23THRUST_200600_302600_NS6detail15normal_iteratorINSA_10device_ptrIsEEEEPS6_NSA_18transform_iteratorINSB_9not_fun_tI7is_trueIsEEENSC_INSD_IbEEEENSA_11use_defaultESO_EENS0_5tupleIJSF_S6_EEENSQ_IJSG_SG_EEES6_PlJS6_EEE10hipError_tPvRmT3_T4_T5_T6_T7_T9_mT8_P12ihipStream_tbDpT10_ENKUlT_T0_E_clISt17integral_constantIbLb1EES1C_IbLb0EEEEDaS18_S19_EUlS18_E_NS1_11comp_targetILNS1_3genE9ELNS1_11target_archE1100ELNS1_3gpuE3ELNS1_3repE0EEENS1_30default_config_static_selectorELNS0_4arch9wavefront6targetE0EEEvT1_.has_indirect_call, 0
	.section	.AMDGPU.csdata,"",@progbits
; Kernel info:
; codeLenInByte = 0
; TotalNumSgprs: 0
; NumVgprs: 0
; ScratchSize: 0
; MemoryBound: 0
; FloatMode: 240
; IeeeMode: 1
; LDSByteSize: 0 bytes/workgroup (compile time only)
; SGPRBlocks: 0
; VGPRBlocks: 0
; NumSGPRsForWavesPerEU: 1
; NumVGPRsForWavesPerEU: 1
; Occupancy: 16
; WaveLimiterHint : 0
; COMPUTE_PGM_RSRC2:SCRATCH_EN: 0
; COMPUTE_PGM_RSRC2:USER_SGPR: 2
; COMPUTE_PGM_RSRC2:TRAP_HANDLER: 0
; COMPUTE_PGM_RSRC2:TGID_X_EN: 1
; COMPUTE_PGM_RSRC2:TGID_Y_EN: 0
; COMPUTE_PGM_RSRC2:TGID_Z_EN: 0
; COMPUTE_PGM_RSRC2:TIDIG_COMP_CNT: 0
	.section	.text._ZN7rocprim17ROCPRIM_400000_NS6detail17trampoline_kernelINS0_14default_configENS1_25partition_config_selectorILNS1_17partition_subalgoE5EsNS0_10empty_typeEbEEZZNS1_14partition_implILS5_5ELb0ES3_mN6thrust23THRUST_200600_302600_NS6detail15normal_iteratorINSA_10device_ptrIsEEEEPS6_NSA_18transform_iteratorINSB_9not_fun_tI7is_trueIsEEENSC_INSD_IbEEEENSA_11use_defaultESO_EENS0_5tupleIJSF_S6_EEENSQ_IJSG_SG_EEES6_PlJS6_EEE10hipError_tPvRmT3_T4_T5_T6_T7_T9_mT8_P12ihipStream_tbDpT10_ENKUlT_T0_E_clISt17integral_constantIbLb1EES1C_IbLb0EEEEDaS18_S19_EUlS18_E_NS1_11comp_targetILNS1_3genE8ELNS1_11target_archE1030ELNS1_3gpuE2ELNS1_3repE0EEENS1_30default_config_static_selectorELNS0_4arch9wavefront6targetE0EEEvT1_,"axG",@progbits,_ZN7rocprim17ROCPRIM_400000_NS6detail17trampoline_kernelINS0_14default_configENS1_25partition_config_selectorILNS1_17partition_subalgoE5EsNS0_10empty_typeEbEEZZNS1_14partition_implILS5_5ELb0ES3_mN6thrust23THRUST_200600_302600_NS6detail15normal_iteratorINSA_10device_ptrIsEEEEPS6_NSA_18transform_iteratorINSB_9not_fun_tI7is_trueIsEEENSC_INSD_IbEEEENSA_11use_defaultESO_EENS0_5tupleIJSF_S6_EEENSQ_IJSG_SG_EEES6_PlJS6_EEE10hipError_tPvRmT3_T4_T5_T6_T7_T9_mT8_P12ihipStream_tbDpT10_ENKUlT_T0_E_clISt17integral_constantIbLb1EES1C_IbLb0EEEEDaS18_S19_EUlS18_E_NS1_11comp_targetILNS1_3genE8ELNS1_11target_archE1030ELNS1_3gpuE2ELNS1_3repE0EEENS1_30default_config_static_selectorELNS0_4arch9wavefront6targetE0EEEvT1_,comdat
	.protected	_ZN7rocprim17ROCPRIM_400000_NS6detail17trampoline_kernelINS0_14default_configENS1_25partition_config_selectorILNS1_17partition_subalgoE5EsNS0_10empty_typeEbEEZZNS1_14partition_implILS5_5ELb0ES3_mN6thrust23THRUST_200600_302600_NS6detail15normal_iteratorINSA_10device_ptrIsEEEEPS6_NSA_18transform_iteratorINSB_9not_fun_tI7is_trueIsEEENSC_INSD_IbEEEENSA_11use_defaultESO_EENS0_5tupleIJSF_S6_EEENSQ_IJSG_SG_EEES6_PlJS6_EEE10hipError_tPvRmT3_T4_T5_T6_T7_T9_mT8_P12ihipStream_tbDpT10_ENKUlT_T0_E_clISt17integral_constantIbLb1EES1C_IbLb0EEEEDaS18_S19_EUlS18_E_NS1_11comp_targetILNS1_3genE8ELNS1_11target_archE1030ELNS1_3gpuE2ELNS1_3repE0EEENS1_30default_config_static_selectorELNS0_4arch9wavefront6targetE0EEEvT1_ ; -- Begin function _ZN7rocprim17ROCPRIM_400000_NS6detail17trampoline_kernelINS0_14default_configENS1_25partition_config_selectorILNS1_17partition_subalgoE5EsNS0_10empty_typeEbEEZZNS1_14partition_implILS5_5ELb0ES3_mN6thrust23THRUST_200600_302600_NS6detail15normal_iteratorINSA_10device_ptrIsEEEEPS6_NSA_18transform_iteratorINSB_9not_fun_tI7is_trueIsEEENSC_INSD_IbEEEENSA_11use_defaultESO_EENS0_5tupleIJSF_S6_EEENSQ_IJSG_SG_EEES6_PlJS6_EEE10hipError_tPvRmT3_T4_T5_T6_T7_T9_mT8_P12ihipStream_tbDpT10_ENKUlT_T0_E_clISt17integral_constantIbLb1EES1C_IbLb0EEEEDaS18_S19_EUlS18_E_NS1_11comp_targetILNS1_3genE8ELNS1_11target_archE1030ELNS1_3gpuE2ELNS1_3repE0EEENS1_30default_config_static_selectorELNS0_4arch9wavefront6targetE0EEEvT1_
	.globl	_ZN7rocprim17ROCPRIM_400000_NS6detail17trampoline_kernelINS0_14default_configENS1_25partition_config_selectorILNS1_17partition_subalgoE5EsNS0_10empty_typeEbEEZZNS1_14partition_implILS5_5ELb0ES3_mN6thrust23THRUST_200600_302600_NS6detail15normal_iteratorINSA_10device_ptrIsEEEEPS6_NSA_18transform_iteratorINSB_9not_fun_tI7is_trueIsEEENSC_INSD_IbEEEENSA_11use_defaultESO_EENS0_5tupleIJSF_S6_EEENSQ_IJSG_SG_EEES6_PlJS6_EEE10hipError_tPvRmT3_T4_T5_T6_T7_T9_mT8_P12ihipStream_tbDpT10_ENKUlT_T0_E_clISt17integral_constantIbLb1EES1C_IbLb0EEEEDaS18_S19_EUlS18_E_NS1_11comp_targetILNS1_3genE8ELNS1_11target_archE1030ELNS1_3gpuE2ELNS1_3repE0EEENS1_30default_config_static_selectorELNS0_4arch9wavefront6targetE0EEEvT1_
	.p2align	8
	.type	_ZN7rocprim17ROCPRIM_400000_NS6detail17trampoline_kernelINS0_14default_configENS1_25partition_config_selectorILNS1_17partition_subalgoE5EsNS0_10empty_typeEbEEZZNS1_14partition_implILS5_5ELb0ES3_mN6thrust23THRUST_200600_302600_NS6detail15normal_iteratorINSA_10device_ptrIsEEEEPS6_NSA_18transform_iteratorINSB_9not_fun_tI7is_trueIsEEENSC_INSD_IbEEEENSA_11use_defaultESO_EENS0_5tupleIJSF_S6_EEENSQ_IJSG_SG_EEES6_PlJS6_EEE10hipError_tPvRmT3_T4_T5_T6_T7_T9_mT8_P12ihipStream_tbDpT10_ENKUlT_T0_E_clISt17integral_constantIbLb1EES1C_IbLb0EEEEDaS18_S19_EUlS18_E_NS1_11comp_targetILNS1_3genE8ELNS1_11target_archE1030ELNS1_3gpuE2ELNS1_3repE0EEENS1_30default_config_static_selectorELNS0_4arch9wavefront6targetE0EEEvT1_,@function
_ZN7rocprim17ROCPRIM_400000_NS6detail17trampoline_kernelINS0_14default_configENS1_25partition_config_selectorILNS1_17partition_subalgoE5EsNS0_10empty_typeEbEEZZNS1_14partition_implILS5_5ELb0ES3_mN6thrust23THRUST_200600_302600_NS6detail15normal_iteratorINSA_10device_ptrIsEEEEPS6_NSA_18transform_iteratorINSB_9not_fun_tI7is_trueIsEEENSC_INSD_IbEEEENSA_11use_defaultESO_EENS0_5tupleIJSF_S6_EEENSQ_IJSG_SG_EEES6_PlJS6_EEE10hipError_tPvRmT3_T4_T5_T6_T7_T9_mT8_P12ihipStream_tbDpT10_ENKUlT_T0_E_clISt17integral_constantIbLb1EES1C_IbLb0EEEEDaS18_S19_EUlS18_E_NS1_11comp_targetILNS1_3genE8ELNS1_11target_archE1030ELNS1_3gpuE2ELNS1_3repE0EEENS1_30default_config_static_selectorELNS0_4arch9wavefront6targetE0EEEvT1_: ; @_ZN7rocprim17ROCPRIM_400000_NS6detail17trampoline_kernelINS0_14default_configENS1_25partition_config_selectorILNS1_17partition_subalgoE5EsNS0_10empty_typeEbEEZZNS1_14partition_implILS5_5ELb0ES3_mN6thrust23THRUST_200600_302600_NS6detail15normal_iteratorINSA_10device_ptrIsEEEEPS6_NSA_18transform_iteratorINSB_9not_fun_tI7is_trueIsEEENSC_INSD_IbEEEENSA_11use_defaultESO_EENS0_5tupleIJSF_S6_EEENSQ_IJSG_SG_EEES6_PlJS6_EEE10hipError_tPvRmT3_T4_T5_T6_T7_T9_mT8_P12ihipStream_tbDpT10_ENKUlT_T0_E_clISt17integral_constantIbLb1EES1C_IbLb0EEEEDaS18_S19_EUlS18_E_NS1_11comp_targetILNS1_3genE8ELNS1_11target_archE1030ELNS1_3gpuE2ELNS1_3repE0EEENS1_30default_config_static_selectorELNS0_4arch9wavefront6targetE0EEEvT1_
; %bb.0:
	.section	.rodata,"a",@progbits
	.p2align	6, 0x0
	.amdhsa_kernel _ZN7rocprim17ROCPRIM_400000_NS6detail17trampoline_kernelINS0_14default_configENS1_25partition_config_selectorILNS1_17partition_subalgoE5EsNS0_10empty_typeEbEEZZNS1_14partition_implILS5_5ELb0ES3_mN6thrust23THRUST_200600_302600_NS6detail15normal_iteratorINSA_10device_ptrIsEEEEPS6_NSA_18transform_iteratorINSB_9not_fun_tI7is_trueIsEEENSC_INSD_IbEEEENSA_11use_defaultESO_EENS0_5tupleIJSF_S6_EEENSQ_IJSG_SG_EEES6_PlJS6_EEE10hipError_tPvRmT3_T4_T5_T6_T7_T9_mT8_P12ihipStream_tbDpT10_ENKUlT_T0_E_clISt17integral_constantIbLb1EES1C_IbLb0EEEEDaS18_S19_EUlS18_E_NS1_11comp_targetILNS1_3genE8ELNS1_11target_archE1030ELNS1_3gpuE2ELNS1_3repE0EEENS1_30default_config_static_selectorELNS0_4arch9wavefront6targetE0EEEvT1_
		.amdhsa_group_segment_fixed_size 0
		.amdhsa_private_segment_fixed_size 0
		.amdhsa_kernarg_size 120
		.amdhsa_user_sgpr_count 2
		.amdhsa_user_sgpr_dispatch_ptr 0
		.amdhsa_user_sgpr_queue_ptr 0
		.amdhsa_user_sgpr_kernarg_segment_ptr 1
		.amdhsa_user_sgpr_dispatch_id 0
		.amdhsa_user_sgpr_private_segment_size 0
		.amdhsa_wavefront_size32 1
		.amdhsa_uses_dynamic_stack 0
		.amdhsa_enable_private_segment 0
		.amdhsa_system_sgpr_workgroup_id_x 1
		.amdhsa_system_sgpr_workgroup_id_y 0
		.amdhsa_system_sgpr_workgroup_id_z 0
		.amdhsa_system_sgpr_workgroup_info 0
		.amdhsa_system_vgpr_workitem_id 0
		.amdhsa_next_free_vgpr 1
		.amdhsa_next_free_sgpr 1
		.amdhsa_reserve_vcc 0
		.amdhsa_float_round_mode_32 0
		.amdhsa_float_round_mode_16_64 0
		.amdhsa_float_denorm_mode_32 3
		.amdhsa_float_denorm_mode_16_64 3
		.amdhsa_fp16_overflow 0
		.amdhsa_workgroup_processor_mode 1
		.amdhsa_memory_ordered 1
		.amdhsa_forward_progress 1
		.amdhsa_inst_pref_size 0
		.amdhsa_round_robin_scheduling 0
		.amdhsa_exception_fp_ieee_invalid_op 0
		.amdhsa_exception_fp_denorm_src 0
		.amdhsa_exception_fp_ieee_div_zero 0
		.amdhsa_exception_fp_ieee_overflow 0
		.amdhsa_exception_fp_ieee_underflow 0
		.amdhsa_exception_fp_ieee_inexact 0
		.amdhsa_exception_int_div_zero 0
	.end_amdhsa_kernel
	.section	.text._ZN7rocprim17ROCPRIM_400000_NS6detail17trampoline_kernelINS0_14default_configENS1_25partition_config_selectorILNS1_17partition_subalgoE5EsNS0_10empty_typeEbEEZZNS1_14partition_implILS5_5ELb0ES3_mN6thrust23THRUST_200600_302600_NS6detail15normal_iteratorINSA_10device_ptrIsEEEEPS6_NSA_18transform_iteratorINSB_9not_fun_tI7is_trueIsEEENSC_INSD_IbEEEENSA_11use_defaultESO_EENS0_5tupleIJSF_S6_EEENSQ_IJSG_SG_EEES6_PlJS6_EEE10hipError_tPvRmT3_T4_T5_T6_T7_T9_mT8_P12ihipStream_tbDpT10_ENKUlT_T0_E_clISt17integral_constantIbLb1EES1C_IbLb0EEEEDaS18_S19_EUlS18_E_NS1_11comp_targetILNS1_3genE8ELNS1_11target_archE1030ELNS1_3gpuE2ELNS1_3repE0EEENS1_30default_config_static_selectorELNS0_4arch9wavefront6targetE0EEEvT1_,"axG",@progbits,_ZN7rocprim17ROCPRIM_400000_NS6detail17trampoline_kernelINS0_14default_configENS1_25partition_config_selectorILNS1_17partition_subalgoE5EsNS0_10empty_typeEbEEZZNS1_14partition_implILS5_5ELb0ES3_mN6thrust23THRUST_200600_302600_NS6detail15normal_iteratorINSA_10device_ptrIsEEEEPS6_NSA_18transform_iteratorINSB_9not_fun_tI7is_trueIsEEENSC_INSD_IbEEEENSA_11use_defaultESO_EENS0_5tupleIJSF_S6_EEENSQ_IJSG_SG_EEES6_PlJS6_EEE10hipError_tPvRmT3_T4_T5_T6_T7_T9_mT8_P12ihipStream_tbDpT10_ENKUlT_T0_E_clISt17integral_constantIbLb1EES1C_IbLb0EEEEDaS18_S19_EUlS18_E_NS1_11comp_targetILNS1_3genE8ELNS1_11target_archE1030ELNS1_3gpuE2ELNS1_3repE0EEENS1_30default_config_static_selectorELNS0_4arch9wavefront6targetE0EEEvT1_,comdat
.Lfunc_end2580:
	.size	_ZN7rocprim17ROCPRIM_400000_NS6detail17trampoline_kernelINS0_14default_configENS1_25partition_config_selectorILNS1_17partition_subalgoE5EsNS0_10empty_typeEbEEZZNS1_14partition_implILS5_5ELb0ES3_mN6thrust23THRUST_200600_302600_NS6detail15normal_iteratorINSA_10device_ptrIsEEEEPS6_NSA_18transform_iteratorINSB_9not_fun_tI7is_trueIsEEENSC_INSD_IbEEEENSA_11use_defaultESO_EENS0_5tupleIJSF_S6_EEENSQ_IJSG_SG_EEES6_PlJS6_EEE10hipError_tPvRmT3_T4_T5_T6_T7_T9_mT8_P12ihipStream_tbDpT10_ENKUlT_T0_E_clISt17integral_constantIbLb1EES1C_IbLb0EEEEDaS18_S19_EUlS18_E_NS1_11comp_targetILNS1_3genE8ELNS1_11target_archE1030ELNS1_3gpuE2ELNS1_3repE0EEENS1_30default_config_static_selectorELNS0_4arch9wavefront6targetE0EEEvT1_, .Lfunc_end2580-_ZN7rocprim17ROCPRIM_400000_NS6detail17trampoline_kernelINS0_14default_configENS1_25partition_config_selectorILNS1_17partition_subalgoE5EsNS0_10empty_typeEbEEZZNS1_14partition_implILS5_5ELb0ES3_mN6thrust23THRUST_200600_302600_NS6detail15normal_iteratorINSA_10device_ptrIsEEEEPS6_NSA_18transform_iteratorINSB_9not_fun_tI7is_trueIsEEENSC_INSD_IbEEEENSA_11use_defaultESO_EENS0_5tupleIJSF_S6_EEENSQ_IJSG_SG_EEES6_PlJS6_EEE10hipError_tPvRmT3_T4_T5_T6_T7_T9_mT8_P12ihipStream_tbDpT10_ENKUlT_T0_E_clISt17integral_constantIbLb1EES1C_IbLb0EEEEDaS18_S19_EUlS18_E_NS1_11comp_targetILNS1_3genE8ELNS1_11target_archE1030ELNS1_3gpuE2ELNS1_3repE0EEENS1_30default_config_static_selectorELNS0_4arch9wavefront6targetE0EEEvT1_
                                        ; -- End function
	.set _ZN7rocprim17ROCPRIM_400000_NS6detail17trampoline_kernelINS0_14default_configENS1_25partition_config_selectorILNS1_17partition_subalgoE5EsNS0_10empty_typeEbEEZZNS1_14partition_implILS5_5ELb0ES3_mN6thrust23THRUST_200600_302600_NS6detail15normal_iteratorINSA_10device_ptrIsEEEEPS6_NSA_18transform_iteratorINSB_9not_fun_tI7is_trueIsEEENSC_INSD_IbEEEENSA_11use_defaultESO_EENS0_5tupleIJSF_S6_EEENSQ_IJSG_SG_EEES6_PlJS6_EEE10hipError_tPvRmT3_T4_T5_T6_T7_T9_mT8_P12ihipStream_tbDpT10_ENKUlT_T0_E_clISt17integral_constantIbLb1EES1C_IbLb0EEEEDaS18_S19_EUlS18_E_NS1_11comp_targetILNS1_3genE8ELNS1_11target_archE1030ELNS1_3gpuE2ELNS1_3repE0EEENS1_30default_config_static_selectorELNS0_4arch9wavefront6targetE0EEEvT1_.num_vgpr, 0
	.set _ZN7rocprim17ROCPRIM_400000_NS6detail17trampoline_kernelINS0_14default_configENS1_25partition_config_selectorILNS1_17partition_subalgoE5EsNS0_10empty_typeEbEEZZNS1_14partition_implILS5_5ELb0ES3_mN6thrust23THRUST_200600_302600_NS6detail15normal_iteratorINSA_10device_ptrIsEEEEPS6_NSA_18transform_iteratorINSB_9not_fun_tI7is_trueIsEEENSC_INSD_IbEEEENSA_11use_defaultESO_EENS0_5tupleIJSF_S6_EEENSQ_IJSG_SG_EEES6_PlJS6_EEE10hipError_tPvRmT3_T4_T5_T6_T7_T9_mT8_P12ihipStream_tbDpT10_ENKUlT_T0_E_clISt17integral_constantIbLb1EES1C_IbLb0EEEEDaS18_S19_EUlS18_E_NS1_11comp_targetILNS1_3genE8ELNS1_11target_archE1030ELNS1_3gpuE2ELNS1_3repE0EEENS1_30default_config_static_selectorELNS0_4arch9wavefront6targetE0EEEvT1_.num_agpr, 0
	.set _ZN7rocprim17ROCPRIM_400000_NS6detail17trampoline_kernelINS0_14default_configENS1_25partition_config_selectorILNS1_17partition_subalgoE5EsNS0_10empty_typeEbEEZZNS1_14partition_implILS5_5ELb0ES3_mN6thrust23THRUST_200600_302600_NS6detail15normal_iteratorINSA_10device_ptrIsEEEEPS6_NSA_18transform_iteratorINSB_9not_fun_tI7is_trueIsEEENSC_INSD_IbEEEENSA_11use_defaultESO_EENS0_5tupleIJSF_S6_EEENSQ_IJSG_SG_EEES6_PlJS6_EEE10hipError_tPvRmT3_T4_T5_T6_T7_T9_mT8_P12ihipStream_tbDpT10_ENKUlT_T0_E_clISt17integral_constantIbLb1EES1C_IbLb0EEEEDaS18_S19_EUlS18_E_NS1_11comp_targetILNS1_3genE8ELNS1_11target_archE1030ELNS1_3gpuE2ELNS1_3repE0EEENS1_30default_config_static_selectorELNS0_4arch9wavefront6targetE0EEEvT1_.numbered_sgpr, 0
	.set _ZN7rocprim17ROCPRIM_400000_NS6detail17trampoline_kernelINS0_14default_configENS1_25partition_config_selectorILNS1_17partition_subalgoE5EsNS0_10empty_typeEbEEZZNS1_14partition_implILS5_5ELb0ES3_mN6thrust23THRUST_200600_302600_NS6detail15normal_iteratorINSA_10device_ptrIsEEEEPS6_NSA_18transform_iteratorINSB_9not_fun_tI7is_trueIsEEENSC_INSD_IbEEEENSA_11use_defaultESO_EENS0_5tupleIJSF_S6_EEENSQ_IJSG_SG_EEES6_PlJS6_EEE10hipError_tPvRmT3_T4_T5_T6_T7_T9_mT8_P12ihipStream_tbDpT10_ENKUlT_T0_E_clISt17integral_constantIbLb1EES1C_IbLb0EEEEDaS18_S19_EUlS18_E_NS1_11comp_targetILNS1_3genE8ELNS1_11target_archE1030ELNS1_3gpuE2ELNS1_3repE0EEENS1_30default_config_static_selectorELNS0_4arch9wavefront6targetE0EEEvT1_.num_named_barrier, 0
	.set _ZN7rocprim17ROCPRIM_400000_NS6detail17trampoline_kernelINS0_14default_configENS1_25partition_config_selectorILNS1_17partition_subalgoE5EsNS0_10empty_typeEbEEZZNS1_14partition_implILS5_5ELb0ES3_mN6thrust23THRUST_200600_302600_NS6detail15normal_iteratorINSA_10device_ptrIsEEEEPS6_NSA_18transform_iteratorINSB_9not_fun_tI7is_trueIsEEENSC_INSD_IbEEEENSA_11use_defaultESO_EENS0_5tupleIJSF_S6_EEENSQ_IJSG_SG_EEES6_PlJS6_EEE10hipError_tPvRmT3_T4_T5_T6_T7_T9_mT8_P12ihipStream_tbDpT10_ENKUlT_T0_E_clISt17integral_constantIbLb1EES1C_IbLb0EEEEDaS18_S19_EUlS18_E_NS1_11comp_targetILNS1_3genE8ELNS1_11target_archE1030ELNS1_3gpuE2ELNS1_3repE0EEENS1_30default_config_static_selectorELNS0_4arch9wavefront6targetE0EEEvT1_.private_seg_size, 0
	.set _ZN7rocprim17ROCPRIM_400000_NS6detail17trampoline_kernelINS0_14default_configENS1_25partition_config_selectorILNS1_17partition_subalgoE5EsNS0_10empty_typeEbEEZZNS1_14partition_implILS5_5ELb0ES3_mN6thrust23THRUST_200600_302600_NS6detail15normal_iteratorINSA_10device_ptrIsEEEEPS6_NSA_18transform_iteratorINSB_9not_fun_tI7is_trueIsEEENSC_INSD_IbEEEENSA_11use_defaultESO_EENS0_5tupleIJSF_S6_EEENSQ_IJSG_SG_EEES6_PlJS6_EEE10hipError_tPvRmT3_T4_T5_T6_T7_T9_mT8_P12ihipStream_tbDpT10_ENKUlT_T0_E_clISt17integral_constantIbLb1EES1C_IbLb0EEEEDaS18_S19_EUlS18_E_NS1_11comp_targetILNS1_3genE8ELNS1_11target_archE1030ELNS1_3gpuE2ELNS1_3repE0EEENS1_30default_config_static_selectorELNS0_4arch9wavefront6targetE0EEEvT1_.uses_vcc, 0
	.set _ZN7rocprim17ROCPRIM_400000_NS6detail17trampoline_kernelINS0_14default_configENS1_25partition_config_selectorILNS1_17partition_subalgoE5EsNS0_10empty_typeEbEEZZNS1_14partition_implILS5_5ELb0ES3_mN6thrust23THRUST_200600_302600_NS6detail15normal_iteratorINSA_10device_ptrIsEEEEPS6_NSA_18transform_iteratorINSB_9not_fun_tI7is_trueIsEEENSC_INSD_IbEEEENSA_11use_defaultESO_EENS0_5tupleIJSF_S6_EEENSQ_IJSG_SG_EEES6_PlJS6_EEE10hipError_tPvRmT3_T4_T5_T6_T7_T9_mT8_P12ihipStream_tbDpT10_ENKUlT_T0_E_clISt17integral_constantIbLb1EES1C_IbLb0EEEEDaS18_S19_EUlS18_E_NS1_11comp_targetILNS1_3genE8ELNS1_11target_archE1030ELNS1_3gpuE2ELNS1_3repE0EEENS1_30default_config_static_selectorELNS0_4arch9wavefront6targetE0EEEvT1_.uses_flat_scratch, 0
	.set _ZN7rocprim17ROCPRIM_400000_NS6detail17trampoline_kernelINS0_14default_configENS1_25partition_config_selectorILNS1_17partition_subalgoE5EsNS0_10empty_typeEbEEZZNS1_14partition_implILS5_5ELb0ES3_mN6thrust23THRUST_200600_302600_NS6detail15normal_iteratorINSA_10device_ptrIsEEEEPS6_NSA_18transform_iteratorINSB_9not_fun_tI7is_trueIsEEENSC_INSD_IbEEEENSA_11use_defaultESO_EENS0_5tupleIJSF_S6_EEENSQ_IJSG_SG_EEES6_PlJS6_EEE10hipError_tPvRmT3_T4_T5_T6_T7_T9_mT8_P12ihipStream_tbDpT10_ENKUlT_T0_E_clISt17integral_constantIbLb1EES1C_IbLb0EEEEDaS18_S19_EUlS18_E_NS1_11comp_targetILNS1_3genE8ELNS1_11target_archE1030ELNS1_3gpuE2ELNS1_3repE0EEENS1_30default_config_static_selectorELNS0_4arch9wavefront6targetE0EEEvT1_.has_dyn_sized_stack, 0
	.set _ZN7rocprim17ROCPRIM_400000_NS6detail17trampoline_kernelINS0_14default_configENS1_25partition_config_selectorILNS1_17partition_subalgoE5EsNS0_10empty_typeEbEEZZNS1_14partition_implILS5_5ELb0ES3_mN6thrust23THRUST_200600_302600_NS6detail15normal_iteratorINSA_10device_ptrIsEEEEPS6_NSA_18transform_iteratorINSB_9not_fun_tI7is_trueIsEEENSC_INSD_IbEEEENSA_11use_defaultESO_EENS0_5tupleIJSF_S6_EEENSQ_IJSG_SG_EEES6_PlJS6_EEE10hipError_tPvRmT3_T4_T5_T6_T7_T9_mT8_P12ihipStream_tbDpT10_ENKUlT_T0_E_clISt17integral_constantIbLb1EES1C_IbLb0EEEEDaS18_S19_EUlS18_E_NS1_11comp_targetILNS1_3genE8ELNS1_11target_archE1030ELNS1_3gpuE2ELNS1_3repE0EEENS1_30default_config_static_selectorELNS0_4arch9wavefront6targetE0EEEvT1_.has_recursion, 0
	.set _ZN7rocprim17ROCPRIM_400000_NS6detail17trampoline_kernelINS0_14default_configENS1_25partition_config_selectorILNS1_17partition_subalgoE5EsNS0_10empty_typeEbEEZZNS1_14partition_implILS5_5ELb0ES3_mN6thrust23THRUST_200600_302600_NS6detail15normal_iteratorINSA_10device_ptrIsEEEEPS6_NSA_18transform_iteratorINSB_9not_fun_tI7is_trueIsEEENSC_INSD_IbEEEENSA_11use_defaultESO_EENS0_5tupleIJSF_S6_EEENSQ_IJSG_SG_EEES6_PlJS6_EEE10hipError_tPvRmT3_T4_T5_T6_T7_T9_mT8_P12ihipStream_tbDpT10_ENKUlT_T0_E_clISt17integral_constantIbLb1EES1C_IbLb0EEEEDaS18_S19_EUlS18_E_NS1_11comp_targetILNS1_3genE8ELNS1_11target_archE1030ELNS1_3gpuE2ELNS1_3repE0EEENS1_30default_config_static_selectorELNS0_4arch9wavefront6targetE0EEEvT1_.has_indirect_call, 0
	.section	.AMDGPU.csdata,"",@progbits
; Kernel info:
; codeLenInByte = 0
; TotalNumSgprs: 0
; NumVgprs: 0
; ScratchSize: 0
; MemoryBound: 0
; FloatMode: 240
; IeeeMode: 1
; LDSByteSize: 0 bytes/workgroup (compile time only)
; SGPRBlocks: 0
; VGPRBlocks: 0
; NumSGPRsForWavesPerEU: 1
; NumVGPRsForWavesPerEU: 1
; Occupancy: 16
; WaveLimiterHint : 0
; COMPUTE_PGM_RSRC2:SCRATCH_EN: 0
; COMPUTE_PGM_RSRC2:USER_SGPR: 2
; COMPUTE_PGM_RSRC2:TRAP_HANDLER: 0
; COMPUTE_PGM_RSRC2:TGID_X_EN: 1
; COMPUTE_PGM_RSRC2:TGID_Y_EN: 0
; COMPUTE_PGM_RSRC2:TGID_Z_EN: 0
; COMPUTE_PGM_RSRC2:TIDIG_COMP_CNT: 0
	.section	.text._ZN7rocprim17ROCPRIM_400000_NS6detail17trampoline_kernelINS0_14default_configENS1_25partition_config_selectorILNS1_17partition_subalgoE5EsNS0_10empty_typeEbEEZZNS1_14partition_implILS5_5ELb0ES3_mN6thrust23THRUST_200600_302600_NS6detail15normal_iteratorINSA_10device_ptrIsEEEEPS6_NSA_18transform_iteratorINSB_9not_fun_tI7is_trueIsEEENSC_INSD_IbEEEENSA_11use_defaultESO_EENS0_5tupleIJSF_S6_EEENSQ_IJSG_SG_EEES6_PlJS6_EEE10hipError_tPvRmT3_T4_T5_T6_T7_T9_mT8_P12ihipStream_tbDpT10_ENKUlT_T0_E_clISt17integral_constantIbLb0EES1C_IbLb1EEEEDaS18_S19_EUlS18_E_NS1_11comp_targetILNS1_3genE0ELNS1_11target_archE4294967295ELNS1_3gpuE0ELNS1_3repE0EEENS1_30default_config_static_selectorELNS0_4arch9wavefront6targetE0EEEvT1_,"axG",@progbits,_ZN7rocprim17ROCPRIM_400000_NS6detail17trampoline_kernelINS0_14default_configENS1_25partition_config_selectorILNS1_17partition_subalgoE5EsNS0_10empty_typeEbEEZZNS1_14partition_implILS5_5ELb0ES3_mN6thrust23THRUST_200600_302600_NS6detail15normal_iteratorINSA_10device_ptrIsEEEEPS6_NSA_18transform_iteratorINSB_9not_fun_tI7is_trueIsEEENSC_INSD_IbEEEENSA_11use_defaultESO_EENS0_5tupleIJSF_S6_EEENSQ_IJSG_SG_EEES6_PlJS6_EEE10hipError_tPvRmT3_T4_T5_T6_T7_T9_mT8_P12ihipStream_tbDpT10_ENKUlT_T0_E_clISt17integral_constantIbLb0EES1C_IbLb1EEEEDaS18_S19_EUlS18_E_NS1_11comp_targetILNS1_3genE0ELNS1_11target_archE4294967295ELNS1_3gpuE0ELNS1_3repE0EEENS1_30default_config_static_selectorELNS0_4arch9wavefront6targetE0EEEvT1_,comdat
	.protected	_ZN7rocprim17ROCPRIM_400000_NS6detail17trampoline_kernelINS0_14default_configENS1_25partition_config_selectorILNS1_17partition_subalgoE5EsNS0_10empty_typeEbEEZZNS1_14partition_implILS5_5ELb0ES3_mN6thrust23THRUST_200600_302600_NS6detail15normal_iteratorINSA_10device_ptrIsEEEEPS6_NSA_18transform_iteratorINSB_9not_fun_tI7is_trueIsEEENSC_INSD_IbEEEENSA_11use_defaultESO_EENS0_5tupleIJSF_S6_EEENSQ_IJSG_SG_EEES6_PlJS6_EEE10hipError_tPvRmT3_T4_T5_T6_T7_T9_mT8_P12ihipStream_tbDpT10_ENKUlT_T0_E_clISt17integral_constantIbLb0EES1C_IbLb1EEEEDaS18_S19_EUlS18_E_NS1_11comp_targetILNS1_3genE0ELNS1_11target_archE4294967295ELNS1_3gpuE0ELNS1_3repE0EEENS1_30default_config_static_selectorELNS0_4arch9wavefront6targetE0EEEvT1_ ; -- Begin function _ZN7rocprim17ROCPRIM_400000_NS6detail17trampoline_kernelINS0_14default_configENS1_25partition_config_selectorILNS1_17partition_subalgoE5EsNS0_10empty_typeEbEEZZNS1_14partition_implILS5_5ELb0ES3_mN6thrust23THRUST_200600_302600_NS6detail15normal_iteratorINSA_10device_ptrIsEEEEPS6_NSA_18transform_iteratorINSB_9not_fun_tI7is_trueIsEEENSC_INSD_IbEEEENSA_11use_defaultESO_EENS0_5tupleIJSF_S6_EEENSQ_IJSG_SG_EEES6_PlJS6_EEE10hipError_tPvRmT3_T4_T5_T6_T7_T9_mT8_P12ihipStream_tbDpT10_ENKUlT_T0_E_clISt17integral_constantIbLb0EES1C_IbLb1EEEEDaS18_S19_EUlS18_E_NS1_11comp_targetILNS1_3genE0ELNS1_11target_archE4294967295ELNS1_3gpuE0ELNS1_3repE0EEENS1_30default_config_static_selectorELNS0_4arch9wavefront6targetE0EEEvT1_
	.globl	_ZN7rocprim17ROCPRIM_400000_NS6detail17trampoline_kernelINS0_14default_configENS1_25partition_config_selectorILNS1_17partition_subalgoE5EsNS0_10empty_typeEbEEZZNS1_14partition_implILS5_5ELb0ES3_mN6thrust23THRUST_200600_302600_NS6detail15normal_iteratorINSA_10device_ptrIsEEEEPS6_NSA_18transform_iteratorINSB_9not_fun_tI7is_trueIsEEENSC_INSD_IbEEEENSA_11use_defaultESO_EENS0_5tupleIJSF_S6_EEENSQ_IJSG_SG_EEES6_PlJS6_EEE10hipError_tPvRmT3_T4_T5_T6_T7_T9_mT8_P12ihipStream_tbDpT10_ENKUlT_T0_E_clISt17integral_constantIbLb0EES1C_IbLb1EEEEDaS18_S19_EUlS18_E_NS1_11comp_targetILNS1_3genE0ELNS1_11target_archE4294967295ELNS1_3gpuE0ELNS1_3repE0EEENS1_30default_config_static_selectorELNS0_4arch9wavefront6targetE0EEEvT1_
	.p2align	8
	.type	_ZN7rocprim17ROCPRIM_400000_NS6detail17trampoline_kernelINS0_14default_configENS1_25partition_config_selectorILNS1_17partition_subalgoE5EsNS0_10empty_typeEbEEZZNS1_14partition_implILS5_5ELb0ES3_mN6thrust23THRUST_200600_302600_NS6detail15normal_iteratorINSA_10device_ptrIsEEEEPS6_NSA_18transform_iteratorINSB_9not_fun_tI7is_trueIsEEENSC_INSD_IbEEEENSA_11use_defaultESO_EENS0_5tupleIJSF_S6_EEENSQ_IJSG_SG_EEES6_PlJS6_EEE10hipError_tPvRmT3_T4_T5_T6_T7_T9_mT8_P12ihipStream_tbDpT10_ENKUlT_T0_E_clISt17integral_constantIbLb0EES1C_IbLb1EEEEDaS18_S19_EUlS18_E_NS1_11comp_targetILNS1_3genE0ELNS1_11target_archE4294967295ELNS1_3gpuE0ELNS1_3repE0EEENS1_30default_config_static_selectorELNS0_4arch9wavefront6targetE0EEEvT1_,@function
_ZN7rocprim17ROCPRIM_400000_NS6detail17trampoline_kernelINS0_14default_configENS1_25partition_config_selectorILNS1_17partition_subalgoE5EsNS0_10empty_typeEbEEZZNS1_14partition_implILS5_5ELb0ES3_mN6thrust23THRUST_200600_302600_NS6detail15normal_iteratorINSA_10device_ptrIsEEEEPS6_NSA_18transform_iteratorINSB_9not_fun_tI7is_trueIsEEENSC_INSD_IbEEEENSA_11use_defaultESO_EENS0_5tupleIJSF_S6_EEENSQ_IJSG_SG_EEES6_PlJS6_EEE10hipError_tPvRmT3_T4_T5_T6_T7_T9_mT8_P12ihipStream_tbDpT10_ENKUlT_T0_E_clISt17integral_constantIbLb0EES1C_IbLb1EEEEDaS18_S19_EUlS18_E_NS1_11comp_targetILNS1_3genE0ELNS1_11target_archE4294967295ELNS1_3gpuE0ELNS1_3repE0EEENS1_30default_config_static_selectorELNS0_4arch9wavefront6targetE0EEEvT1_: ; @_ZN7rocprim17ROCPRIM_400000_NS6detail17trampoline_kernelINS0_14default_configENS1_25partition_config_selectorILNS1_17partition_subalgoE5EsNS0_10empty_typeEbEEZZNS1_14partition_implILS5_5ELb0ES3_mN6thrust23THRUST_200600_302600_NS6detail15normal_iteratorINSA_10device_ptrIsEEEEPS6_NSA_18transform_iteratorINSB_9not_fun_tI7is_trueIsEEENSC_INSD_IbEEEENSA_11use_defaultESO_EENS0_5tupleIJSF_S6_EEENSQ_IJSG_SG_EEES6_PlJS6_EEE10hipError_tPvRmT3_T4_T5_T6_T7_T9_mT8_P12ihipStream_tbDpT10_ENKUlT_T0_E_clISt17integral_constantIbLb0EES1C_IbLb1EEEEDaS18_S19_EUlS18_E_NS1_11comp_targetILNS1_3genE0ELNS1_11target_archE4294967295ELNS1_3gpuE0ELNS1_3repE0EEENS1_30default_config_static_selectorELNS0_4arch9wavefront6targetE0EEEvT1_
; %bb.0:
	.section	.rodata,"a",@progbits
	.p2align	6, 0x0
	.amdhsa_kernel _ZN7rocprim17ROCPRIM_400000_NS6detail17trampoline_kernelINS0_14default_configENS1_25partition_config_selectorILNS1_17partition_subalgoE5EsNS0_10empty_typeEbEEZZNS1_14partition_implILS5_5ELb0ES3_mN6thrust23THRUST_200600_302600_NS6detail15normal_iteratorINSA_10device_ptrIsEEEEPS6_NSA_18transform_iteratorINSB_9not_fun_tI7is_trueIsEEENSC_INSD_IbEEEENSA_11use_defaultESO_EENS0_5tupleIJSF_S6_EEENSQ_IJSG_SG_EEES6_PlJS6_EEE10hipError_tPvRmT3_T4_T5_T6_T7_T9_mT8_P12ihipStream_tbDpT10_ENKUlT_T0_E_clISt17integral_constantIbLb0EES1C_IbLb1EEEEDaS18_S19_EUlS18_E_NS1_11comp_targetILNS1_3genE0ELNS1_11target_archE4294967295ELNS1_3gpuE0ELNS1_3repE0EEENS1_30default_config_static_selectorELNS0_4arch9wavefront6targetE0EEEvT1_
		.amdhsa_group_segment_fixed_size 0
		.amdhsa_private_segment_fixed_size 0
		.amdhsa_kernarg_size 136
		.amdhsa_user_sgpr_count 2
		.amdhsa_user_sgpr_dispatch_ptr 0
		.amdhsa_user_sgpr_queue_ptr 0
		.amdhsa_user_sgpr_kernarg_segment_ptr 1
		.amdhsa_user_sgpr_dispatch_id 0
		.amdhsa_user_sgpr_private_segment_size 0
		.amdhsa_wavefront_size32 1
		.amdhsa_uses_dynamic_stack 0
		.amdhsa_enable_private_segment 0
		.amdhsa_system_sgpr_workgroup_id_x 1
		.amdhsa_system_sgpr_workgroup_id_y 0
		.amdhsa_system_sgpr_workgroup_id_z 0
		.amdhsa_system_sgpr_workgroup_info 0
		.amdhsa_system_vgpr_workitem_id 0
		.amdhsa_next_free_vgpr 1
		.amdhsa_next_free_sgpr 1
		.amdhsa_reserve_vcc 0
		.amdhsa_float_round_mode_32 0
		.amdhsa_float_round_mode_16_64 0
		.amdhsa_float_denorm_mode_32 3
		.amdhsa_float_denorm_mode_16_64 3
		.amdhsa_fp16_overflow 0
		.amdhsa_workgroup_processor_mode 1
		.amdhsa_memory_ordered 1
		.amdhsa_forward_progress 1
		.amdhsa_inst_pref_size 0
		.amdhsa_round_robin_scheduling 0
		.amdhsa_exception_fp_ieee_invalid_op 0
		.amdhsa_exception_fp_denorm_src 0
		.amdhsa_exception_fp_ieee_div_zero 0
		.amdhsa_exception_fp_ieee_overflow 0
		.amdhsa_exception_fp_ieee_underflow 0
		.amdhsa_exception_fp_ieee_inexact 0
		.amdhsa_exception_int_div_zero 0
	.end_amdhsa_kernel
	.section	.text._ZN7rocprim17ROCPRIM_400000_NS6detail17trampoline_kernelINS0_14default_configENS1_25partition_config_selectorILNS1_17partition_subalgoE5EsNS0_10empty_typeEbEEZZNS1_14partition_implILS5_5ELb0ES3_mN6thrust23THRUST_200600_302600_NS6detail15normal_iteratorINSA_10device_ptrIsEEEEPS6_NSA_18transform_iteratorINSB_9not_fun_tI7is_trueIsEEENSC_INSD_IbEEEENSA_11use_defaultESO_EENS0_5tupleIJSF_S6_EEENSQ_IJSG_SG_EEES6_PlJS6_EEE10hipError_tPvRmT3_T4_T5_T6_T7_T9_mT8_P12ihipStream_tbDpT10_ENKUlT_T0_E_clISt17integral_constantIbLb0EES1C_IbLb1EEEEDaS18_S19_EUlS18_E_NS1_11comp_targetILNS1_3genE0ELNS1_11target_archE4294967295ELNS1_3gpuE0ELNS1_3repE0EEENS1_30default_config_static_selectorELNS0_4arch9wavefront6targetE0EEEvT1_,"axG",@progbits,_ZN7rocprim17ROCPRIM_400000_NS6detail17trampoline_kernelINS0_14default_configENS1_25partition_config_selectorILNS1_17partition_subalgoE5EsNS0_10empty_typeEbEEZZNS1_14partition_implILS5_5ELb0ES3_mN6thrust23THRUST_200600_302600_NS6detail15normal_iteratorINSA_10device_ptrIsEEEEPS6_NSA_18transform_iteratorINSB_9not_fun_tI7is_trueIsEEENSC_INSD_IbEEEENSA_11use_defaultESO_EENS0_5tupleIJSF_S6_EEENSQ_IJSG_SG_EEES6_PlJS6_EEE10hipError_tPvRmT3_T4_T5_T6_T7_T9_mT8_P12ihipStream_tbDpT10_ENKUlT_T0_E_clISt17integral_constantIbLb0EES1C_IbLb1EEEEDaS18_S19_EUlS18_E_NS1_11comp_targetILNS1_3genE0ELNS1_11target_archE4294967295ELNS1_3gpuE0ELNS1_3repE0EEENS1_30default_config_static_selectorELNS0_4arch9wavefront6targetE0EEEvT1_,comdat
.Lfunc_end2581:
	.size	_ZN7rocprim17ROCPRIM_400000_NS6detail17trampoline_kernelINS0_14default_configENS1_25partition_config_selectorILNS1_17partition_subalgoE5EsNS0_10empty_typeEbEEZZNS1_14partition_implILS5_5ELb0ES3_mN6thrust23THRUST_200600_302600_NS6detail15normal_iteratorINSA_10device_ptrIsEEEEPS6_NSA_18transform_iteratorINSB_9not_fun_tI7is_trueIsEEENSC_INSD_IbEEEENSA_11use_defaultESO_EENS0_5tupleIJSF_S6_EEENSQ_IJSG_SG_EEES6_PlJS6_EEE10hipError_tPvRmT3_T4_T5_T6_T7_T9_mT8_P12ihipStream_tbDpT10_ENKUlT_T0_E_clISt17integral_constantIbLb0EES1C_IbLb1EEEEDaS18_S19_EUlS18_E_NS1_11comp_targetILNS1_3genE0ELNS1_11target_archE4294967295ELNS1_3gpuE0ELNS1_3repE0EEENS1_30default_config_static_selectorELNS0_4arch9wavefront6targetE0EEEvT1_, .Lfunc_end2581-_ZN7rocprim17ROCPRIM_400000_NS6detail17trampoline_kernelINS0_14default_configENS1_25partition_config_selectorILNS1_17partition_subalgoE5EsNS0_10empty_typeEbEEZZNS1_14partition_implILS5_5ELb0ES3_mN6thrust23THRUST_200600_302600_NS6detail15normal_iteratorINSA_10device_ptrIsEEEEPS6_NSA_18transform_iteratorINSB_9not_fun_tI7is_trueIsEEENSC_INSD_IbEEEENSA_11use_defaultESO_EENS0_5tupleIJSF_S6_EEENSQ_IJSG_SG_EEES6_PlJS6_EEE10hipError_tPvRmT3_T4_T5_T6_T7_T9_mT8_P12ihipStream_tbDpT10_ENKUlT_T0_E_clISt17integral_constantIbLb0EES1C_IbLb1EEEEDaS18_S19_EUlS18_E_NS1_11comp_targetILNS1_3genE0ELNS1_11target_archE4294967295ELNS1_3gpuE0ELNS1_3repE0EEENS1_30default_config_static_selectorELNS0_4arch9wavefront6targetE0EEEvT1_
                                        ; -- End function
	.set _ZN7rocprim17ROCPRIM_400000_NS6detail17trampoline_kernelINS0_14default_configENS1_25partition_config_selectorILNS1_17partition_subalgoE5EsNS0_10empty_typeEbEEZZNS1_14partition_implILS5_5ELb0ES3_mN6thrust23THRUST_200600_302600_NS6detail15normal_iteratorINSA_10device_ptrIsEEEEPS6_NSA_18transform_iteratorINSB_9not_fun_tI7is_trueIsEEENSC_INSD_IbEEEENSA_11use_defaultESO_EENS0_5tupleIJSF_S6_EEENSQ_IJSG_SG_EEES6_PlJS6_EEE10hipError_tPvRmT3_T4_T5_T6_T7_T9_mT8_P12ihipStream_tbDpT10_ENKUlT_T0_E_clISt17integral_constantIbLb0EES1C_IbLb1EEEEDaS18_S19_EUlS18_E_NS1_11comp_targetILNS1_3genE0ELNS1_11target_archE4294967295ELNS1_3gpuE0ELNS1_3repE0EEENS1_30default_config_static_selectorELNS0_4arch9wavefront6targetE0EEEvT1_.num_vgpr, 0
	.set _ZN7rocprim17ROCPRIM_400000_NS6detail17trampoline_kernelINS0_14default_configENS1_25partition_config_selectorILNS1_17partition_subalgoE5EsNS0_10empty_typeEbEEZZNS1_14partition_implILS5_5ELb0ES3_mN6thrust23THRUST_200600_302600_NS6detail15normal_iteratorINSA_10device_ptrIsEEEEPS6_NSA_18transform_iteratorINSB_9not_fun_tI7is_trueIsEEENSC_INSD_IbEEEENSA_11use_defaultESO_EENS0_5tupleIJSF_S6_EEENSQ_IJSG_SG_EEES6_PlJS6_EEE10hipError_tPvRmT3_T4_T5_T6_T7_T9_mT8_P12ihipStream_tbDpT10_ENKUlT_T0_E_clISt17integral_constantIbLb0EES1C_IbLb1EEEEDaS18_S19_EUlS18_E_NS1_11comp_targetILNS1_3genE0ELNS1_11target_archE4294967295ELNS1_3gpuE0ELNS1_3repE0EEENS1_30default_config_static_selectorELNS0_4arch9wavefront6targetE0EEEvT1_.num_agpr, 0
	.set _ZN7rocprim17ROCPRIM_400000_NS6detail17trampoline_kernelINS0_14default_configENS1_25partition_config_selectorILNS1_17partition_subalgoE5EsNS0_10empty_typeEbEEZZNS1_14partition_implILS5_5ELb0ES3_mN6thrust23THRUST_200600_302600_NS6detail15normal_iteratorINSA_10device_ptrIsEEEEPS6_NSA_18transform_iteratorINSB_9not_fun_tI7is_trueIsEEENSC_INSD_IbEEEENSA_11use_defaultESO_EENS0_5tupleIJSF_S6_EEENSQ_IJSG_SG_EEES6_PlJS6_EEE10hipError_tPvRmT3_T4_T5_T6_T7_T9_mT8_P12ihipStream_tbDpT10_ENKUlT_T0_E_clISt17integral_constantIbLb0EES1C_IbLb1EEEEDaS18_S19_EUlS18_E_NS1_11comp_targetILNS1_3genE0ELNS1_11target_archE4294967295ELNS1_3gpuE0ELNS1_3repE0EEENS1_30default_config_static_selectorELNS0_4arch9wavefront6targetE0EEEvT1_.numbered_sgpr, 0
	.set _ZN7rocprim17ROCPRIM_400000_NS6detail17trampoline_kernelINS0_14default_configENS1_25partition_config_selectorILNS1_17partition_subalgoE5EsNS0_10empty_typeEbEEZZNS1_14partition_implILS5_5ELb0ES3_mN6thrust23THRUST_200600_302600_NS6detail15normal_iteratorINSA_10device_ptrIsEEEEPS6_NSA_18transform_iteratorINSB_9not_fun_tI7is_trueIsEEENSC_INSD_IbEEEENSA_11use_defaultESO_EENS0_5tupleIJSF_S6_EEENSQ_IJSG_SG_EEES6_PlJS6_EEE10hipError_tPvRmT3_T4_T5_T6_T7_T9_mT8_P12ihipStream_tbDpT10_ENKUlT_T0_E_clISt17integral_constantIbLb0EES1C_IbLb1EEEEDaS18_S19_EUlS18_E_NS1_11comp_targetILNS1_3genE0ELNS1_11target_archE4294967295ELNS1_3gpuE0ELNS1_3repE0EEENS1_30default_config_static_selectorELNS0_4arch9wavefront6targetE0EEEvT1_.num_named_barrier, 0
	.set _ZN7rocprim17ROCPRIM_400000_NS6detail17trampoline_kernelINS0_14default_configENS1_25partition_config_selectorILNS1_17partition_subalgoE5EsNS0_10empty_typeEbEEZZNS1_14partition_implILS5_5ELb0ES3_mN6thrust23THRUST_200600_302600_NS6detail15normal_iteratorINSA_10device_ptrIsEEEEPS6_NSA_18transform_iteratorINSB_9not_fun_tI7is_trueIsEEENSC_INSD_IbEEEENSA_11use_defaultESO_EENS0_5tupleIJSF_S6_EEENSQ_IJSG_SG_EEES6_PlJS6_EEE10hipError_tPvRmT3_T4_T5_T6_T7_T9_mT8_P12ihipStream_tbDpT10_ENKUlT_T0_E_clISt17integral_constantIbLb0EES1C_IbLb1EEEEDaS18_S19_EUlS18_E_NS1_11comp_targetILNS1_3genE0ELNS1_11target_archE4294967295ELNS1_3gpuE0ELNS1_3repE0EEENS1_30default_config_static_selectorELNS0_4arch9wavefront6targetE0EEEvT1_.private_seg_size, 0
	.set _ZN7rocprim17ROCPRIM_400000_NS6detail17trampoline_kernelINS0_14default_configENS1_25partition_config_selectorILNS1_17partition_subalgoE5EsNS0_10empty_typeEbEEZZNS1_14partition_implILS5_5ELb0ES3_mN6thrust23THRUST_200600_302600_NS6detail15normal_iteratorINSA_10device_ptrIsEEEEPS6_NSA_18transform_iteratorINSB_9not_fun_tI7is_trueIsEEENSC_INSD_IbEEEENSA_11use_defaultESO_EENS0_5tupleIJSF_S6_EEENSQ_IJSG_SG_EEES6_PlJS6_EEE10hipError_tPvRmT3_T4_T5_T6_T7_T9_mT8_P12ihipStream_tbDpT10_ENKUlT_T0_E_clISt17integral_constantIbLb0EES1C_IbLb1EEEEDaS18_S19_EUlS18_E_NS1_11comp_targetILNS1_3genE0ELNS1_11target_archE4294967295ELNS1_3gpuE0ELNS1_3repE0EEENS1_30default_config_static_selectorELNS0_4arch9wavefront6targetE0EEEvT1_.uses_vcc, 0
	.set _ZN7rocprim17ROCPRIM_400000_NS6detail17trampoline_kernelINS0_14default_configENS1_25partition_config_selectorILNS1_17partition_subalgoE5EsNS0_10empty_typeEbEEZZNS1_14partition_implILS5_5ELb0ES3_mN6thrust23THRUST_200600_302600_NS6detail15normal_iteratorINSA_10device_ptrIsEEEEPS6_NSA_18transform_iteratorINSB_9not_fun_tI7is_trueIsEEENSC_INSD_IbEEEENSA_11use_defaultESO_EENS0_5tupleIJSF_S6_EEENSQ_IJSG_SG_EEES6_PlJS6_EEE10hipError_tPvRmT3_T4_T5_T6_T7_T9_mT8_P12ihipStream_tbDpT10_ENKUlT_T0_E_clISt17integral_constantIbLb0EES1C_IbLb1EEEEDaS18_S19_EUlS18_E_NS1_11comp_targetILNS1_3genE0ELNS1_11target_archE4294967295ELNS1_3gpuE0ELNS1_3repE0EEENS1_30default_config_static_selectorELNS0_4arch9wavefront6targetE0EEEvT1_.uses_flat_scratch, 0
	.set _ZN7rocprim17ROCPRIM_400000_NS6detail17trampoline_kernelINS0_14default_configENS1_25partition_config_selectorILNS1_17partition_subalgoE5EsNS0_10empty_typeEbEEZZNS1_14partition_implILS5_5ELb0ES3_mN6thrust23THRUST_200600_302600_NS6detail15normal_iteratorINSA_10device_ptrIsEEEEPS6_NSA_18transform_iteratorINSB_9not_fun_tI7is_trueIsEEENSC_INSD_IbEEEENSA_11use_defaultESO_EENS0_5tupleIJSF_S6_EEENSQ_IJSG_SG_EEES6_PlJS6_EEE10hipError_tPvRmT3_T4_T5_T6_T7_T9_mT8_P12ihipStream_tbDpT10_ENKUlT_T0_E_clISt17integral_constantIbLb0EES1C_IbLb1EEEEDaS18_S19_EUlS18_E_NS1_11comp_targetILNS1_3genE0ELNS1_11target_archE4294967295ELNS1_3gpuE0ELNS1_3repE0EEENS1_30default_config_static_selectorELNS0_4arch9wavefront6targetE0EEEvT1_.has_dyn_sized_stack, 0
	.set _ZN7rocprim17ROCPRIM_400000_NS6detail17trampoline_kernelINS0_14default_configENS1_25partition_config_selectorILNS1_17partition_subalgoE5EsNS0_10empty_typeEbEEZZNS1_14partition_implILS5_5ELb0ES3_mN6thrust23THRUST_200600_302600_NS6detail15normal_iteratorINSA_10device_ptrIsEEEEPS6_NSA_18transform_iteratorINSB_9not_fun_tI7is_trueIsEEENSC_INSD_IbEEEENSA_11use_defaultESO_EENS0_5tupleIJSF_S6_EEENSQ_IJSG_SG_EEES6_PlJS6_EEE10hipError_tPvRmT3_T4_T5_T6_T7_T9_mT8_P12ihipStream_tbDpT10_ENKUlT_T0_E_clISt17integral_constantIbLb0EES1C_IbLb1EEEEDaS18_S19_EUlS18_E_NS1_11comp_targetILNS1_3genE0ELNS1_11target_archE4294967295ELNS1_3gpuE0ELNS1_3repE0EEENS1_30default_config_static_selectorELNS0_4arch9wavefront6targetE0EEEvT1_.has_recursion, 0
	.set _ZN7rocprim17ROCPRIM_400000_NS6detail17trampoline_kernelINS0_14default_configENS1_25partition_config_selectorILNS1_17partition_subalgoE5EsNS0_10empty_typeEbEEZZNS1_14partition_implILS5_5ELb0ES3_mN6thrust23THRUST_200600_302600_NS6detail15normal_iteratorINSA_10device_ptrIsEEEEPS6_NSA_18transform_iteratorINSB_9not_fun_tI7is_trueIsEEENSC_INSD_IbEEEENSA_11use_defaultESO_EENS0_5tupleIJSF_S6_EEENSQ_IJSG_SG_EEES6_PlJS6_EEE10hipError_tPvRmT3_T4_T5_T6_T7_T9_mT8_P12ihipStream_tbDpT10_ENKUlT_T0_E_clISt17integral_constantIbLb0EES1C_IbLb1EEEEDaS18_S19_EUlS18_E_NS1_11comp_targetILNS1_3genE0ELNS1_11target_archE4294967295ELNS1_3gpuE0ELNS1_3repE0EEENS1_30default_config_static_selectorELNS0_4arch9wavefront6targetE0EEEvT1_.has_indirect_call, 0
	.section	.AMDGPU.csdata,"",@progbits
; Kernel info:
; codeLenInByte = 0
; TotalNumSgprs: 0
; NumVgprs: 0
; ScratchSize: 0
; MemoryBound: 0
; FloatMode: 240
; IeeeMode: 1
; LDSByteSize: 0 bytes/workgroup (compile time only)
; SGPRBlocks: 0
; VGPRBlocks: 0
; NumSGPRsForWavesPerEU: 1
; NumVGPRsForWavesPerEU: 1
; Occupancy: 16
; WaveLimiterHint : 0
; COMPUTE_PGM_RSRC2:SCRATCH_EN: 0
; COMPUTE_PGM_RSRC2:USER_SGPR: 2
; COMPUTE_PGM_RSRC2:TRAP_HANDLER: 0
; COMPUTE_PGM_RSRC2:TGID_X_EN: 1
; COMPUTE_PGM_RSRC2:TGID_Y_EN: 0
; COMPUTE_PGM_RSRC2:TGID_Z_EN: 0
; COMPUTE_PGM_RSRC2:TIDIG_COMP_CNT: 0
	.section	.text._ZN7rocprim17ROCPRIM_400000_NS6detail17trampoline_kernelINS0_14default_configENS1_25partition_config_selectorILNS1_17partition_subalgoE5EsNS0_10empty_typeEbEEZZNS1_14partition_implILS5_5ELb0ES3_mN6thrust23THRUST_200600_302600_NS6detail15normal_iteratorINSA_10device_ptrIsEEEEPS6_NSA_18transform_iteratorINSB_9not_fun_tI7is_trueIsEEENSC_INSD_IbEEEENSA_11use_defaultESO_EENS0_5tupleIJSF_S6_EEENSQ_IJSG_SG_EEES6_PlJS6_EEE10hipError_tPvRmT3_T4_T5_T6_T7_T9_mT8_P12ihipStream_tbDpT10_ENKUlT_T0_E_clISt17integral_constantIbLb0EES1C_IbLb1EEEEDaS18_S19_EUlS18_E_NS1_11comp_targetILNS1_3genE5ELNS1_11target_archE942ELNS1_3gpuE9ELNS1_3repE0EEENS1_30default_config_static_selectorELNS0_4arch9wavefront6targetE0EEEvT1_,"axG",@progbits,_ZN7rocprim17ROCPRIM_400000_NS6detail17trampoline_kernelINS0_14default_configENS1_25partition_config_selectorILNS1_17partition_subalgoE5EsNS0_10empty_typeEbEEZZNS1_14partition_implILS5_5ELb0ES3_mN6thrust23THRUST_200600_302600_NS6detail15normal_iteratorINSA_10device_ptrIsEEEEPS6_NSA_18transform_iteratorINSB_9not_fun_tI7is_trueIsEEENSC_INSD_IbEEEENSA_11use_defaultESO_EENS0_5tupleIJSF_S6_EEENSQ_IJSG_SG_EEES6_PlJS6_EEE10hipError_tPvRmT3_T4_T5_T6_T7_T9_mT8_P12ihipStream_tbDpT10_ENKUlT_T0_E_clISt17integral_constantIbLb0EES1C_IbLb1EEEEDaS18_S19_EUlS18_E_NS1_11comp_targetILNS1_3genE5ELNS1_11target_archE942ELNS1_3gpuE9ELNS1_3repE0EEENS1_30default_config_static_selectorELNS0_4arch9wavefront6targetE0EEEvT1_,comdat
	.protected	_ZN7rocprim17ROCPRIM_400000_NS6detail17trampoline_kernelINS0_14default_configENS1_25partition_config_selectorILNS1_17partition_subalgoE5EsNS0_10empty_typeEbEEZZNS1_14partition_implILS5_5ELb0ES3_mN6thrust23THRUST_200600_302600_NS6detail15normal_iteratorINSA_10device_ptrIsEEEEPS6_NSA_18transform_iteratorINSB_9not_fun_tI7is_trueIsEEENSC_INSD_IbEEEENSA_11use_defaultESO_EENS0_5tupleIJSF_S6_EEENSQ_IJSG_SG_EEES6_PlJS6_EEE10hipError_tPvRmT3_T4_T5_T6_T7_T9_mT8_P12ihipStream_tbDpT10_ENKUlT_T0_E_clISt17integral_constantIbLb0EES1C_IbLb1EEEEDaS18_S19_EUlS18_E_NS1_11comp_targetILNS1_3genE5ELNS1_11target_archE942ELNS1_3gpuE9ELNS1_3repE0EEENS1_30default_config_static_selectorELNS0_4arch9wavefront6targetE0EEEvT1_ ; -- Begin function _ZN7rocprim17ROCPRIM_400000_NS6detail17trampoline_kernelINS0_14default_configENS1_25partition_config_selectorILNS1_17partition_subalgoE5EsNS0_10empty_typeEbEEZZNS1_14partition_implILS5_5ELb0ES3_mN6thrust23THRUST_200600_302600_NS6detail15normal_iteratorINSA_10device_ptrIsEEEEPS6_NSA_18transform_iteratorINSB_9not_fun_tI7is_trueIsEEENSC_INSD_IbEEEENSA_11use_defaultESO_EENS0_5tupleIJSF_S6_EEENSQ_IJSG_SG_EEES6_PlJS6_EEE10hipError_tPvRmT3_T4_T5_T6_T7_T9_mT8_P12ihipStream_tbDpT10_ENKUlT_T0_E_clISt17integral_constantIbLb0EES1C_IbLb1EEEEDaS18_S19_EUlS18_E_NS1_11comp_targetILNS1_3genE5ELNS1_11target_archE942ELNS1_3gpuE9ELNS1_3repE0EEENS1_30default_config_static_selectorELNS0_4arch9wavefront6targetE0EEEvT1_
	.globl	_ZN7rocprim17ROCPRIM_400000_NS6detail17trampoline_kernelINS0_14default_configENS1_25partition_config_selectorILNS1_17partition_subalgoE5EsNS0_10empty_typeEbEEZZNS1_14partition_implILS5_5ELb0ES3_mN6thrust23THRUST_200600_302600_NS6detail15normal_iteratorINSA_10device_ptrIsEEEEPS6_NSA_18transform_iteratorINSB_9not_fun_tI7is_trueIsEEENSC_INSD_IbEEEENSA_11use_defaultESO_EENS0_5tupleIJSF_S6_EEENSQ_IJSG_SG_EEES6_PlJS6_EEE10hipError_tPvRmT3_T4_T5_T6_T7_T9_mT8_P12ihipStream_tbDpT10_ENKUlT_T0_E_clISt17integral_constantIbLb0EES1C_IbLb1EEEEDaS18_S19_EUlS18_E_NS1_11comp_targetILNS1_3genE5ELNS1_11target_archE942ELNS1_3gpuE9ELNS1_3repE0EEENS1_30default_config_static_selectorELNS0_4arch9wavefront6targetE0EEEvT1_
	.p2align	8
	.type	_ZN7rocprim17ROCPRIM_400000_NS6detail17trampoline_kernelINS0_14default_configENS1_25partition_config_selectorILNS1_17partition_subalgoE5EsNS0_10empty_typeEbEEZZNS1_14partition_implILS5_5ELb0ES3_mN6thrust23THRUST_200600_302600_NS6detail15normal_iteratorINSA_10device_ptrIsEEEEPS6_NSA_18transform_iteratorINSB_9not_fun_tI7is_trueIsEEENSC_INSD_IbEEEENSA_11use_defaultESO_EENS0_5tupleIJSF_S6_EEENSQ_IJSG_SG_EEES6_PlJS6_EEE10hipError_tPvRmT3_T4_T5_T6_T7_T9_mT8_P12ihipStream_tbDpT10_ENKUlT_T0_E_clISt17integral_constantIbLb0EES1C_IbLb1EEEEDaS18_S19_EUlS18_E_NS1_11comp_targetILNS1_3genE5ELNS1_11target_archE942ELNS1_3gpuE9ELNS1_3repE0EEENS1_30default_config_static_selectorELNS0_4arch9wavefront6targetE0EEEvT1_,@function
_ZN7rocprim17ROCPRIM_400000_NS6detail17trampoline_kernelINS0_14default_configENS1_25partition_config_selectorILNS1_17partition_subalgoE5EsNS0_10empty_typeEbEEZZNS1_14partition_implILS5_5ELb0ES3_mN6thrust23THRUST_200600_302600_NS6detail15normal_iteratorINSA_10device_ptrIsEEEEPS6_NSA_18transform_iteratorINSB_9not_fun_tI7is_trueIsEEENSC_INSD_IbEEEENSA_11use_defaultESO_EENS0_5tupleIJSF_S6_EEENSQ_IJSG_SG_EEES6_PlJS6_EEE10hipError_tPvRmT3_T4_T5_T6_T7_T9_mT8_P12ihipStream_tbDpT10_ENKUlT_T0_E_clISt17integral_constantIbLb0EES1C_IbLb1EEEEDaS18_S19_EUlS18_E_NS1_11comp_targetILNS1_3genE5ELNS1_11target_archE942ELNS1_3gpuE9ELNS1_3repE0EEENS1_30default_config_static_selectorELNS0_4arch9wavefront6targetE0EEEvT1_: ; @_ZN7rocprim17ROCPRIM_400000_NS6detail17trampoline_kernelINS0_14default_configENS1_25partition_config_selectorILNS1_17partition_subalgoE5EsNS0_10empty_typeEbEEZZNS1_14partition_implILS5_5ELb0ES3_mN6thrust23THRUST_200600_302600_NS6detail15normal_iteratorINSA_10device_ptrIsEEEEPS6_NSA_18transform_iteratorINSB_9not_fun_tI7is_trueIsEEENSC_INSD_IbEEEENSA_11use_defaultESO_EENS0_5tupleIJSF_S6_EEENSQ_IJSG_SG_EEES6_PlJS6_EEE10hipError_tPvRmT3_T4_T5_T6_T7_T9_mT8_P12ihipStream_tbDpT10_ENKUlT_T0_E_clISt17integral_constantIbLb0EES1C_IbLb1EEEEDaS18_S19_EUlS18_E_NS1_11comp_targetILNS1_3genE5ELNS1_11target_archE942ELNS1_3gpuE9ELNS1_3repE0EEENS1_30default_config_static_selectorELNS0_4arch9wavefront6targetE0EEEvT1_
; %bb.0:
	.section	.rodata,"a",@progbits
	.p2align	6, 0x0
	.amdhsa_kernel _ZN7rocprim17ROCPRIM_400000_NS6detail17trampoline_kernelINS0_14default_configENS1_25partition_config_selectorILNS1_17partition_subalgoE5EsNS0_10empty_typeEbEEZZNS1_14partition_implILS5_5ELb0ES3_mN6thrust23THRUST_200600_302600_NS6detail15normal_iteratorINSA_10device_ptrIsEEEEPS6_NSA_18transform_iteratorINSB_9not_fun_tI7is_trueIsEEENSC_INSD_IbEEEENSA_11use_defaultESO_EENS0_5tupleIJSF_S6_EEENSQ_IJSG_SG_EEES6_PlJS6_EEE10hipError_tPvRmT3_T4_T5_T6_T7_T9_mT8_P12ihipStream_tbDpT10_ENKUlT_T0_E_clISt17integral_constantIbLb0EES1C_IbLb1EEEEDaS18_S19_EUlS18_E_NS1_11comp_targetILNS1_3genE5ELNS1_11target_archE942ELNS1_3gpuE9ELNS1_3repE0EEENS1_30default_config_static_selectorELNS0_4arch9wavefront6targetE0EEEvT1_
		.amdhsa_group_segment_fixed_size 0
		.amdhsa_private_segment_fixed_size 0
		.amdhsa_kernarg_size 136
		.amdhsa_user_sgpr_count 2
		.amdhsa_user_sgpr_dispatch_ptr 0
		.amdhsa_user_sgpr_queue_ptr 0
		.amdhsa_user_sgpr_kernarg_segment_ptr 1
		.amdhsa_user_sgpr_dispatch_id 0
		.amdhsa_user_sgpr_private_segment_size 0
		.amdhsa_wavefront_size32 1
		.amdhsa_uses_dynamic_stack 0
		.amdhsa_enable_private_segment 0
		.amdhsa_system_sgpr_workgroup_id_x 1
		.amdhsa_system_sgpr_workgroup_id_y 0
		.amdhsa_system_sgpr_workgroup_id_z 0
		.amdhsa_system_sgpr_workgroup_info 0
		.amdhsa_system_vgpr_workitem_id 0
		.amdhsa_next_free_vgpr 1
		.amdhsa_next_free_sgpr 1
		.amdhsa_reserve_vcc 0
		.amdhsa_float_round_mode_32 0
		.amdhsa_float_round_mode_16_64 0
		.amdhsa_float_denorm_mode_32 3
		.amdhsa_float_denorm_mode_16_64 3
		.amdhsa_fp16_overflow 0
		.amdhsa_workgroup_processor_mode 1
		.amdhsa_memory_ordered 1
		.amdhsa_forward_progress 1
		.amdhsa_inst_pref_size 0
		.amdhsa_round_robin_scheduling 0
		.amdhsa_exception_fp_ieee_invalid_op 0
		.amdhsa_exception_fp_denorm_src 0
		.amdhsa_exception_fp_ieee_div_zero 0
		.amdhsa_exception_fp_ieee_overflow 0
		.amdhsa_exception_fp_ieee_underflow 0
		.amdhsa_exception_fp_ieee_inexact 0
		.amdhsa_exception_int_div_zero 0
	.end_amdhsa_kernel
	.section	.text._ZN7rocprim17ROCPRIM_400000_NS6detail17trampoline_kernelINS0_14default_configENS1_25partition_config_selectorILNS1_17partition_subalgoE5EsNS0_10empty_typeEbEEZZNS1_14partition_implILS5_5ELb0ES3_mN6thrust23THRUST_200600_302600_NS6detail15normal_iteratorINSA_10device_ptrIsEEEEPS6_NSA_18transform_iteratorINSB_9not_fun_tI7is_trueIsEEENSC_INSD_IbEEEENSA_11use_defaultESO_EENS0_5tupleIJSF_S6_EEENSQ_IJSG_SG_EEES6_PlJS6_EEE10hipError_tPvRmT3_T4_T5_T6_T7_T9_mT8_P12ihipStream_tbDpT10_ENKUlT_T0_E_clISt17integral_constantIbLb0EES1C_IbLb1EEEEDaS18_S19_EUlS18_E_NS1_11comp_targetILNS1_3genE5ELNS1_11target_archE942ELNS1_3gpuE9ELNS1_3repE0EEENS1_30default_config_static_selectorELNS0_4arch9wavefront6targetE0EEEvT1_,"axG",@progbits,_ZN7rocprim17ROCPRIM_400000_NS6detail17trampoline_kernelINS0_14default_configENS1_25partition_config_selectorILNS1_17partition_subalgoE5EsNS0_10empty_typeEbEEZZNS1_14partition_implILS5_5ELb0ES3_mN6thrust23THRUST_200600_302600_NS6detail15normal_iteratorINSA_10device_ptrIsEEEEPS6_NSA_18transform_iteratorINSB_9not_fun_tI7is_trueIsEEENSC_INSD_IbEEEENSA_11use_defaultESO_EENS0_5tupleIJSF_S6_EEENSQ_IJSG_SG_EEES6_PlJS6_EEE10hipError_tPvRmT3_T4_T5_T6_T7_T9_mT8_P12ihipStream_tbDpT10_ENKUlT_T0_E_clISt17integral_constantIbLb0EES1C_IbLb1EEEEDaS18_S19_EUlS18_E_NS1_11comp_targetILNS1_3genE5ELNS1_11target_archE942ELNS1_3gpuE9ELNS1_3repE0EEENS1_30default_config_static_selectorELNS0_4arch9wavefront6targetE0EEEvT1_,comdat
.Lfunc_end2582:
	.size	_ZN7rocprim17ROCPRIM_400000_NS6detail17trampoline_kernelINS0_14default_configENS1_25partition_config_selectorILNS1_17partition_subalgoE5EsNS0_10empty_typeEbEEZZNS1_14partition_implILS5_5ELb0ES3_mN6thrust23THRUST_200600_302600_NS6detail15normal_iteratorINSA_10device_ptrIsEEEEPS6_NSA_18transform_iteratorINSB_9not_fun_tI7is_trueIsEEENSC_INSD_IbEEEENSA_11use_defaultESO_EENS0_5tupleIJSF_S6_EEENSQ_IJSG_SG_EEES6_PlJS6_EEE10hipError_tPvRmT3_T4_T5_T6_T7_T9_mT8_P12ihipStream_tbDpT10_ENKUlT_T0_E_clISt17integral_constantIbLb0EES1C_IbLb1EEEEDaS18_S19_EUlS18_E_NS1_11comp_targetILNS1_3genE5ELNS1_11target_archE942ELNS1_3gpuE9ELNS1_3repE0EEENS1_30default_config_static_selectorELNS0_4arch9wavefront6targetE0EEEvT1_, .Lfunc_end2582-_ZN7rocprim17ROCPRIM_400000_NS6detail17trampoline_kernelINS0_14default_configENS1_25partition_config_selectorILNS1_17partition_subalgoE5EsNS0_10empty_typeEbEEZZNS1_14partition_implILS5_5ELb0ES3_mN6thrust23THRUST_200600_302600_NS6detail15normal_iteratorINSA_10device_ptrIsEEEEPS6_NSA_18transform_iteratorINSB_9not_fun_tI7is_trueIsEEENSC_INSD_IbEEEENSA_11use_defaultESO_EENS0_5tupleIJSF_S6_EEENSQ_IJSG_SG_EEES6_PlJS6_EEE10hipError_tPvRmT3_T4_T5_T6_T7_T9_mT8_P12ihipStream_tbDpT10_ENKUlT_T0_E_clISt17integral_constantIbLb0EES1C_IbLb1EEEEDaS18_S19_EUlS18_E_NS1_11comp_targetILNS1_3genE5ELNS1_11target_archE942ELNS1_3gpuE9ELNS1_3repE0EEENS1_30default_config_static_selectorELNS0_4arch9wavefront6targetE0EEEvT1_
                                        ; -- End function
	.set _ZN7rocprim17ROCPRIM_400000_NS6detail17trampoline_kernelINS0_14default_configENS1_25partition_config_selectorILNS1_17partition_subalgoE5EsNS0_10empty_typeEbEEZZNS1_14partition_implILS5_5ELb0ES3_mN6thrust23THRUST_200600_302600_NS6detail15normal_iteratorINSA_10device_ptrIsEEEEPS6_NSA_18transform_iteratorINSB_9not_fun_tI7is_trueIsEEENSC_INSD_IbEEEENSA_11use_defaultESO_EENS0_5tupleIJSF_S6_EEENSQ_IJSG_SG_EEES6_PlJS6_EEE10hipError_tPvRmT3_T4_T5_T6_T7_T9_mT8_P12ihipStream_tbDpT10_ENKUlT_T0_E_clISt17integral_constantIbLb0EES1C_IbLb1EEEEDaS18_S19_EUlS18_E_NS1_11comp_targetILNS1_3genE5ELNS1_11target_archE942ELNS1_3gpuE9ELNS1_3repE0EEENS1_30default_config_static_selectorELNS0_4arch9wavefront6targetE0EEEvT1_.num_vgpr, 0
	.set _ZN7rocprim17ROCPRIM_400000_NS6detail17trampoline_kernelINS0_14default_configENS1_25partition_config_selectorILNS1_17partition_subalgoE5EsNS0_10empty_typeEbEEZZNS1_14partition_implILS5_5ELb0ES3_mN6thrust23THRUST_200600_302600_NS6detail15normal_iteratorINSA_10device_ptrIsEEEEPS6_NSA_18transform_iteratorINSB_9not_fun_tI7is_trueIsEEENSC_INSD_IbEEEENSA_11use_defaultESO_EENS0_5tupleIJSF_S6_EEENSQ_IJSG_SG_EEES6_PlJS6_EEE10hipError_tPvRmT3_T4_T5_T6_T7_T9_mT8_P12ihipStream_tbDpT10_ENKUlT_T0_E_clISt17integral_constantIbLb0EES1C_IbLb1EEEEDaS18_S19_EUlS18_E_NS1_11comp_targetILNS1_3genE5ELNS1_11target_archE942ELNS1_3gpuE9ELNS1_3repE0EEENS1_30default_config_static_selectorELNS0_4arch9wavefront6targetE0EEEvT1_.num_agpr, 0
	.set _ZN7rocprim17ROCPRIM_400000_NS6detail17trampoline_kernelINS0_14default_configENS1_25partition_config_selectorILNS1_17partition_subalgoE5EsNS0_10empty_typeEbEEZZNS1_14partition_implILS5_5ELb0ES3_mN6thrust23THRUST_200600_302600_NS6detail15normal_iteratorINSA_10device_ptrIsEEEEPS6_NSA_18transform_iteratorINSB_9not_fun_tI7is_trueIsEEENSC_INSD_IbEEEENSA_11use_defaultESO_EENS0_5tupleIJSF_S6_EEENSQ_IJSG_SG_EEES6_PlJS6_EEE10hipError_tPvRmT3_T4_T5_T6_T7_T9_mT8_P12ihipStream_tbDpT10_ENKUlT_T0_E_clISt17integral_constantIbLb0EES1C_IbLb1EEEEDaS18_S19_EUlS18_E_NS1_11comp_targetILNS1_3genE5ELNS1_11target_archE942ELNS1_3gpuE9ELNS1_3repE0EEENS1_30default_config_static_selectorELNS0_4arch9wavefront6targetE0EEEvT1_.numbered_sgpr, 0
	.set _ZN7rocprim17ROCPRIM_400000_NS6detail17trampoline_kernelINS0_14default_configENS1_25partition_config_selectorILNS1_17partition_subalgoE5EsNS0_10empty_typeEbEEZZNS1_14partition_implILS5_5ELb0ES3_mN6thrust23THRUST_200600_302600_NS6detail15normal_iteratorINSA_10device_ptrIsEEEEPS6_NSA_18transform_iteratorINSB_9not_fun_tI7is_trueIsEEENSC_INSD_IbEEEENSA_11use_defaultESO_EENS0_5tupleIJSF_S6_EEENSQ_IJSG_SG_EEES6_PlJS6_EEE10hipError_tPvRmT3_T4_T5_T6_T7_T9_mT8_P12ihipStream_tbDpT10_ENKUlT_T0_E_clISt17integral_constantIbLb0EES1C_IbLb1EEEEDaS18_S19_EUlS18_E_NS1_11comp_targetILNS1_3genE5ELNS1_11target_archE942ELNS1_3gpuE9ELNS1_3repE0EEENS1_30default_config_static_selectorELNS0_4arch9wavefront6targetE0EEEvT1_.num_named_barrier, 0
	.set _ZN7rocprim17ROCPRIM_400000_NS6detail17trampoline_kernelINS0_14default_configENS1_25partition_config_selectorILNS1_17partition_subalgoE5EsNS0_10empty_typeEbEEZZNS1_14partition_implILS5_5ELb0ES3_mN6thrust23THRUST_200600_302600_NS6detail15normal_iteratorINSA_10device_ptrIsEEEEPS6_NSA_18transform_iteratorINSB_9not_fun_tI7is_trueIsEEENSC_INSD_IbEEEENSA_11use_defaultESO_EENS0_5tupleIJSF_S6_EEENSQ_IJSG_SG_EEES6_PlJS6_EEE10hipError_tPvRmT3_T4_T5_T6_T7_T9_mT8_P12ihipStream_tbDpT10_ENKUlT_T0_E_clISt17integral_constantIbLb0EES1C_IbLb1EEEEDaS18_S19_EUlS18_E_NS1_11comp_targetILNS1_3genE5ELNS1_11target_archE942ELNS1_3gpuE9ELNS1_3repE0EEENS1_30default_config_static_selectorELNS0_4arch9wavefront6targetE0EEEvT1_.private_seg_size, 0
	.set _ZN7rocprim17ROCPRIM_400000_NS6detail17trampoline_kernelINS0_14default_configENS1_25partition_config_selectorILNS1_17partition_subalgoE5EsNS0_10empty_typeEbEEZZNS1_14partition_implILS5_5ELb0ES3_mN6thrust23THRUST_200600_302600_NS6detail15normal_iteratorINSA_10device_ptrIsEEEEPS6_NSA_18transform_iteratorINSB_9not_fun_tI7is_trueIsEEENSC_INSD_IbEEEENSA_11use_defaultESO_EENS0_5tupleIJSF_S6_EEENSQ_IJSG_SG_EEES6_PlJS6_EEE10hipError_tPvRmT3_T4_T5_T6_T7_T9_mT8_P12ihipStream_tbDpT10_ENKUlT_T0_E_clISt17integral_constantIbLb0EES1C_IbLb1EEEEDaS18_S19_EUlS18_E_NS1_11comp_targetILNS1_3genE5ELNS1_11target_archE942ELNS1_3gpuE9ELNS1_3repE0EEENS1_30default_config_static_selectorELNS0_4arch9wavefront6targetE0EEEvT1_.uses_vcc, 0
	.set _ZN7rocprim17ROCPRIM_400000_NS6detail17trampoline_kernelINS0_14default_configENS1_25partition_config_selectorILNS1_17partition_subalgoE5EsNS0_10empty_typeEbEEZZNS1_14partition_implILS5_5ELb0ES3_mN6thrust23THRUST_200600_302600_NS6detail15normal_iteratorINSA_10device_ptrIsEEEEPS6_NSA_18transform_iteratorINSB_9not_fun_tI7is_trueIsEEENSC_INSD_IbEEEENSA_11use_defaultESO_EENS0_5tupleIJSF_S6_EEENSQ_IJSG_SG_EEES6_PlJS6_EEE10hipError_tPvRmT3_T4_T5_T6_T7_T9_mT8_P12ihipStream_tbDpT10_ENKUlT_T0_E_clISt17integral_constantIbLb0EES1C_IbLb1EEEEDaS18_S19_EUlS18_E_NS1_11comp_targetILNS1_3genE5ELNS1_11target_archE942ELNS1_3gpuE9ELNS1_3repE0EEENS1_30default_config_static_selectorELNS0_4arch9wavefront6targetE0EEEvT1_.uses_flat_scratch, 0
	.set _ZN7rocprim17ROCPRIM_400000_NS6detail17trampoline_kernelINS0_14default_configENS1_25partition_config_selectorILNS1_17partition_subalgoE5EsNS0_10empty_typeEbEEZZNS1_14partition_implILS5_5ELb0ES3_mN6thrust23THRUST_200600_302600_NS6detail15normal_iteratorINSA_10device_ptrIsEEEEPS6_NSA_18transform_iteratorINSB_9not_fun_tI7is_trueIsEEENSC_INSD_IbEEEENSA_11use_defaultESO_EENS0_5tupleIJSF_S6_EEENSQ_IJSG_SG_EEES6_PlJS6_EEE10hipError_tPvRmT3_T4_T5_T6_T7_T9_mT8_P12ihipStream_tbDpT10_ENKUlT_T0_E_clISt17integral_constantIbLb0EES1C_IbLb1EEEEDaS18_S19_EUlS18_E_NS1_11comp_targetILNS1_3genE5ELNS1_11target_archE942ELNS1_3gpuE9ELNS1_3repE0EEENS1_30default_config_static_selectorELNS0_4arch9wavefront6targetE0EEEvT1_.has_dyn_sized_stack, 0
	.set _ZN7rocprim17ROCPRIM_400000_NS6detail17trampoline_kernelINS0_14default_configENS1_25partition_config_selectorILNS1_17partition_subalgoE5EsNS0_10empty_typeEbEEZZNS1_14partition_implILS5_5ELb0ES3_mN6thrust23THRUST_200600_302600_NS6detail15normal_iteratorINSA_10device_ptrIsEEEEPS6_NSA_18transform_iteratorINSB_9not_fun_tI7is_trueIsEEENSC_INSD_IbEEEENSA_11use_defaultESO_EENS0_5tupleIJSF_S6_EEENSQ_IJSG_SG_EEES6_PlJS6_EEE10hipError_tPvRmT3_T4_T5_T6_T7_T9_mT8_P12ihipStream_tbDpT10_ENKUlT_T0_E_clISt17integral_constantIbLb0EES1C_IbLb1EEEEDaS18_S19_EUlS18_E_NS1_11comp_targetILNS1_3genE5ELNS1_11target_archE942ELNS1_3gpuE9ELNS1_3repE0EEENS1_30default_config_static_selectorELNS0_4arch9wavefront6targetE0EEEvT1_.has_recursion, 0
	.set _ZN7rocprim17ROCPRIM_400000_NS6detail17trampoline_kernelINS0_14default_configENS1_25partition_config_selectorILNS1_17partition_subalgoE5EsNS0_10empty_typeEbEEZZNS1_14partition_implILS5_5ELb0ES3_mN6thrust23THRUST_200600_302600_NS6detail15normal_iteratorINSA_10device_ptrIsEEEEPS6_NSA_18transform_iteratorINSB_9not_fun_tI7is_trueIsEEENSC_INSD_IbEEEENSA_11use_defaultESO_EENS0_5tupleIJSF_S6_EEENSQ_IJSG_SG_EEES6_PlJS6_EEE10hipError_tPvRmT3_T4_T5_T6_T7_T9_mT8_P12ihipStream_tbDpT10_ENKUlT_T0_E_clISt17integral_constantIbLb0EES1C_IbLb1EEEEDaS18_S19_EUlS18_E_NS1_11comp_targetILNS1_3genE5ELNS1_11target_archE942ELNS1_3gpuE9ELNS1_3repE0EEENS1_30default_config_static_selectorELNS0_4arch9wavefront6targetE0EEEvT1_.has_indirect_call, 0
	.section	.AMDGPU.csdata,"",@progbits
; Kernel info:
; codeLenInByte = 0
; TotalNumSgprs: 0
; NumVgprs: 0
; ScratchSize: 0
; MemoryBound: 0
; FloatMode: 240
; IeeeMode: 1
; LDSByteSize: 0 bytes/workgroup (compile time only)
; SGPRBlocks: 0
; VGPRBlocks: 0
; NumSGPRsForWavesPerEU: 1
; NumVGPRsForWavesPerEU: 1
; Occupancy: 16
; WaveLimiterHint : 0
; COMPUTE_PGM_RSRC2:SCRATCH_EN: 0
; COMPUTE_PGM_RSRC2:USER_SGPR: 2
; COMPUTE_PGM_RSRC2:TRAP_HANDLER: 0
; COMPUTE_PGM_RSRC2:TGID_X_EN: 1
; COMPUTE_PGM_RSRC2:TGID_Y_EN: 0
; COMPUTE_PGM_RSRC2:TGID_Z_EN: 0
; COMPUTE_PGM_RSRC2:TIDIG_COMP_CNT: 0
	.section	.text._ZN7rocprim17ROCPRIM_400000_NS6detail17trampoline_kernelINS0_14default_configENS1_25partition_config_selectorILNS1_17partition_subalgoE5EsNS0_10empty_typeEbEEZZNS1_14partition_implILS5_5ELb0ES3_mN6thrust23THRUST_200600_302600_NS6detail15normal_iteratorINSA_10device_ptrIsEEEEPS6_NSA_18transform_iteratorINSB_9not_fun_tI7is_trueIsEEENSC_INSD_IbEEEENSA_11use_defaultESO_EENS0_5tupleIJSF_S6_EEENSQ_IJSG_SG_EEES6_PlJS6_EEE10hipError_tPvRmT3_T4_T5_T6_T7_T9_mT8_P12ihipStream_tbDpT10_ENKUlT_T0_E_clISt17integral_constantIbLb0EES1C_IbLb1EEEEDaS18_S19_EUlS18_E_NS1_11comp_targetILNS1_3genE4ELNS1_11target_archE910ELNS1_3gpuE8ELNS1_3repE0EEENS1_30default_config_static_selectorELNS0_4arch9wavefront6targetE0EEEvT1_,"axG",@progbits,_ZN7rocprim17ROCPRIM_400000_NS6detail17trampoline_kernelINS0_14default_configENS1_25partition_config_selectorILNS1_17partition_subalgoE5EsNS0_10empty_typeEbEEZZNS1_14partition_implILS5_5ELb0ES3_mN6thrust23THRUST_200600_302600_NS6detail15normal_iteratorINSA_10device_ptrIsEEEEPS6_NSA_18transform_iteratorINSB_9not_fun_tI7is_trueIsEEENSC_INSD_IbEEEENSA_11use_defaultESO_EENS0_5tupleIJSF_S6_EEENSQ_IJSG_SG_EEES6_PlJS6_EEE10hipError_tPvRmT3_T4_T5_T6_T7_T9_mT8_P12ihipStream_tbDpT10_ENKUlT_T0_E_clISt17integral_constantIbLb0EES1C_IbLb1EEEEDaS18_S19_EUlS18_E_NS1_11comp_targetILNS1_3genE4ELNS1_11target_archE910ELNS1_3gpuE8ELNS1_3repE0EEENS1_30default_config_static_selectorELNS0_4arch9wavefront6targetE0EEEvT1_,comdat
	.protected	_ZN7rocprim17ROCPRIM_400000_NS6detail17trampoline_kernelINS0_14default_configENS1_25partition_config_selectorILNS1_17partition_subalgoE5EsNS0_10empty_typeEbEEZZNS1_14partition_implILS5_5ELb0ES3_mN6thrust23THRUST_200600_302600_NS6detail15normal_iteratorINSA_10device_ptrIsEEEEPS6_NSA_18transform_iteratorINSB_9not_fun_tI7is_trueIsEEENSC_INSD_IbEEEENSA_11use_defaultESO_EENS0_5tupleIJSF_S6_EEENSQ_IJSG_SG_EEES6_PlJS6_EEE10hipError_tPvRmT3_T4_T5_T6_T7_T9_mT8_P12ihipStream_tbDpT10_ENKUlT_T0_E_clISt17integral_constantIbLb0EES1C_IbLb1EEEEDaS18_S19_EUlS18_E_NS1_11comp_targetILNS1_3genE4ELNS1_11target_archE910ELNS1_3gpuE8ELNS1_3repE0EEENS1_30default_config_static_selectorELNS0_4arch9wavefront6targetE0EEEvT1_ ; -- Begin function _ZN7rocprim17ROCPRIM_400000_NS6detail17trampoline_kernelINS0_14default_configENS1_25partition_config_selectorILNS1_17partition_subalgoE5EsNS0_10empty_typeEbEEZZNS1_14partition_implILS5_5ELb0ES3_mN6thrust23THRUST_200600_302600_NS6detail15normal_iteratorINSA_10device_ptrIsEEEEPS6_NSA_18transform_iteratorINSB_9not_fun_tI7is_trueIsEEENSC_INSD_IbEEEENSA_11use_defaultESO_EENS0_5tupleIJSF_S6_EEENSQ_IJSG_SG_EEES6_PlJS6_EEE10hipError_tPvRmT3_T4_T5_T6_T7_T9_mT8_P12ihipStream_tbDpT10_ENKUlT_T0_E_clISt17integral_constantIbLb0EES1C_IbLb1EEEEDaS18_S19_EUlS18_E_NS1_11comp_targetILNS1_3genE4ELNS1_11target_archE910ELNS1_3gpuE8ELNS1_3repE0EEENS1_30default_config_static_selectorELNS0_4arch9wavefront6targetE0EEEvT1_
	.globl	_ZN7rocprim17ROCPRIM_400000_NS6detail17trampoline_kernelINS0_14default_configENS1_25partition_config_selectorILNS1_17partition_subalgoE5EsNS0_10empty_typeEbEEZZNS1_14partition_implILS5_5ELb0ES3_mN6thrust23THRUST_200600_302600_NS6detail15normal_iteratorINSA_10device_ptrIsEEEEPS6_NSA_18transform_iteratorINSB_9not_fun_tI7is_trueIsEEENSC_INSD_IbEEEENSA_11use_defaultESO_EENS0_5tupleIJSF_S6_EEENSQ_IJSG_SG_EEES6_PlJS6_EEE10hipError_tPvRmT3_T4_T5_T6_T7_T9_mT8_P12ihipStream_tbDpT10_ENKUlT_T0_E_clISt17integral_constantIbLb0EES1C_IbLb1EEEEDaS18_S19_EUlS18_E_NS1_11comp_targetILNS1_3genE4ELNS1_11target_archE910ELNS1_3gpuE8ELNS1_3repE0EEENS1_30default_config_static_selectorELNS0_4arch9wavefront6targetE0EEEvT1_
	.p2align	8
	.type	_ZN7rocprim17ROCPRIM_400000_NS6detail17trampoline_kernelINS0_14default_configENS1_25partition_config_selectorILNS1_17partition_subalgoE5EsNS0_10empty_typeEbEEZZNS1_14partition_implILS5_5ELb0ES3_mN6thrust23THRUST_200600_302600_NS6detail15normal_iteratorINSA_10device_ptrIsEEEEPS6_NSA_18transform_iteratorINSB_9not_fun_tI7is_trueIsEEENSC_INSD_IbEEEENSA_11use_defaultESO_EENS0_5tupleIJSF_S6_EEENSQ_IJSG_SG_EEES6_PlJS6_EEE10hipError_tPvRmT3_T4_T5_T6_T7_T9_mT8_P12ihipStream_tbDpT10_ENKUlT_T0_E_clISt17integral_constantIbLb0EES1C_IbLb1EEEEDaS18_S19_EUlS18_E_NS1_11comp_targetILNS1_3genE4ELNS1_11target_archE910ELNS1_3gpuE8ELNS1_3repE0EEENS1_30default_config_static_selectorELNS0_4arch9wavefront6targetE0EEEvT1_,@function
_ZN7rocprim17ROCPRIM_400000_NS6detail17trampoline_kernelINS0_14default_configENS1_25partition_config_selectorILNS1_17partition_subalgoE5EsNS0_10empty_typeEbEEZZNS1_14partition_implILS5_5ELb0ES3_mN6thrust23THRUST_200600_302600_NS6detail15normal_iteratorINSA_10device_ptrIsEEEEPS6_NSA_18transform_iteratorINSB_9not_fun_tI7is_trueIsEEENSC_INSD_IbEEEENSA_11use_defaultESO_EENS0_5tupleIJSF_S6_EEENSQ_IJSG_SG_EEES6_PlJS6_EEE10hipError_tPvRmT3_T4_T5_T6_T7_T9_mT8_P12ihipStream_tbDpT10_ENKUlT_T0_E_clISt17integral_constantIbLb0EES1C_IbLb1EEEEDaS18_S19_EUlS18_E_NS1_11comp_targetILNS1_3genE4ELNS1_11target_archE910ELNS1_3gpuE8ELNS1_3repE0EEENS1_30default_config_static_selectorELNS0_4arch9wavefront6targetE0EEEvT1_: ; @_ZN7rocprim17ROCPRIM_400000_NS6detail17trampoline_kernelINS0_14default_configENS1_25partition_config_selectorILNS1_17partition_subalgoE5EsNS0_10empty_typeEbEEZZNS1_14partition_implILS5_5ELb0ES3_mN6thrust23THRUST_200600_302600_NS6detail15normal_iteratorINSA_10device_ptrIsEEEEPS6_NSA_18transform_iteratorINSB_9not_fun_tI7is_trueIsEEENSC_INSD_IbEEEENSA_11use_defaultESO_EENS0_5tupleIJSF_S6_EEENSQ_IJSG_SG_EEES6_PlJS6_EEE10hipError_tPvRmT3_T4_T5_T6_T7_T9_mT8_P12ihipStream_tbDpT10_ENKUlT_T0_E_clISt17integral_constantIbLb0EES1C_IbLb1EEEEDaS18_S19_EUlS18_E_NS1_11comp_targetILNS1_3genE4ELNS1_11target_archE910ELNS1_3gpuE8ELNS1_3repE0EEENS1_30default_config_static_selectorELNS0_4arch9wavefront6targetE0EEEvT1_
; %bb.0:
	.section	.rodata,"a",@progbits
	.p2align	6, 0x0
	.amdhsa_kernel _ZN7rocprim17ROCPRIM_400000_NS6detail17trampoline_kernelINS0_14default_configENS1_25partition_config_selectorILNS1_17partition_subalgoE5EsNS0_10empty_typeEbEEZZNS1_14partition_implILS5_5ELb0ES3_mN6thrust23THRUST_200600_302600_NS6detail15normal_iteratorINSA_10device_ptrIsEEEEPS6_NSA_18transform_iteratorINSB_9not_fun_tI7is_trueIsEEENSC_INSD_IbEEEENSA_11use_defaultESO_EENS0_5tupleIJSF_S6_EEENSQ_IJSG_SG_EEES6_PlJS6_EEE10hipError_tPvRmT3_T4_T5_T6_T7_T9_mT8_P12ihipStream_tbDpT10_ENKUlT_T0_E_clISt17integral_constantIbLb0EES1C_IbLb1EEEEDaS18_S19_EUlS18_E_NS1_11comp_targetILNS1_3genE4ELNS1_11target_archE910ELNS1_3gpuE8ELNS1_3repE0EEENS1_30default_config_static_selectorELNS0_4arch9wavefront6targetE0EEEvT1_
		.amdhsa_group_segment_fixed_size 0
		.amdhsa_private_segment_fixed_size 0
		.amdhsa_kernarg_size 136
		.amdhsa_user_sgpr_count 2
		.amdhsa_user_sgpr_dispatch_ptr 0
		.amdhsa_user_sgpr_queue_ptr 0
		.amdhsa_user_sgpr_kernarg_segment_ptr 1
		.amdhsa_user_sgpr_dispatch_id 0
		.amdhsa_user_sgpr_private_segment_size 0
		.amdhsa_wavefront_size32 1
		.amdhsa_uses_dynamic_stack 0
		.amdhsa_enable_private_segment 0
		.amdhsa_system_sgpr_workgroup_id_x 1
		.amdhsa_system_sgpr_workgroup_id_y 0
		.amdhsa_system_sgpr_workgroup_id_z 0
		.amdhsa_system_sgpr_workgroup_info 0
		.amdhsa_system_vgpr_workitem_id 0
		.amdhsa_next_free_vgpr 1
		.amdhsa_next_free_sgpr 1
		.amdhsa_reserve_vcc 0
		.amdhsa_float_round_mode_32 0
		.amdhsa_float_round_mode_16_64 0
		.amdhsa_float_denorm_mode_32 3
		.amdhsa_float_denorm_mode_16_64 3
		.amdhsa_fp16_overflow 0
		.amdhsa_workgroup_processor_mode 1
		.amdhsa_memory_ordered 1
		.amdhsa_forward_progress 1
		.amdhsa_inst_pref_size 0
		.amdhsa_round_robin_scheduling 0
		.amdhsa_exception_fp_ieee_invalid_op 0
		.amdhsa_exception_fp_denorm_src 0
		.amdhsa_exception_fp_ieee_div_zero 0
		.amdhsa_exception_fp_ieee_overflow 0
		.amdhsa_exception_fp_ieee_underflow 0
		.amdhsa_exception_fp_ieee_inexact 0
		.amdhsa_exception_int_div_zero 0
	.end_amdhsa_kernel
	.section	.text._ZN7rocprim17ROCPRIM_400000_NS6detail17trampoline_kernelINS0_14default_configENS1_25partition_config_selectorILNS1_17partition_subalgoE5EsNS0_10empty_typeEbEEZZNS1_14partition_implILS5_5ELb0ES3_mN6thrust23THRUST_200600_302600_NS6detail15normal_iteratorINSA_10device_ptrIsEEEEPS6_NSA_18transform_iteratorINSB_9not_fun_tI7is_trueIsEEENSC_INSD_IbEEEENSA_11use_defaultESO_EENS0_5tupleIJSF_S6_EEENSQ_IJSG_SG_EEES6_PlJS6_EEE10hipError_tPvRmT3_T4_T5_T6_T7_T9_mT8_P12ihipStream_tbDpT10_ENKUlT_T0_E_clISt17integral_constantIbLb0EES1C_IbLb1EEEEDaS18_S19_EUlS18_E_NS1_11comp_targetILNS1_3genE4ELNS1_11target_archE910ELNS1_3gpuE8ELNS1_3repE0EEENS1_30default_config_static_selectorELNS0_4arch9wavefront6targetE0EEEvT1_,"axG",@progbits,_ZN7rocprim17ROCPRIM_400000_NS6detail17trampoline_kernelINS0_14default_configENS1_25partition_config_selectorILNS1_17partition_subalgoE5EsNS0_10empty_typeEbEEZZNS1_14partition_implILS5_5ELb0ES3_mN6thrust23THRUST_200600_302600_NS6detail15normal_iteratorINSA_10device_ptrIsEEEEPS6_NSA_18transform_iteratorINSB_9not_fun_tI7is_trueIsEEENSC_INSD_IbEEEENSA_11use_defaultESO_EENS0_5tupleIJSF_S6_EEENSQ_IJSG_SG_EEES6_PlJS6_EEE10hipError_tPvRmT3_T4_T5_T6_T7_T9_mT8_P12ihipStream_tbDpT10_ENKUlT_T0_E_clISt17integral_constantIbLb0EES1C_IbLb1EEEEDaS18_S19_EUlS18_E_NS1_11comp_targetILNS1_3genE4ELNS1_11target_archE910ELNS1_3gpuE8ELNS1_3repE0EEENS1_30default_config_static_selectorELNS0_4arch9wavefront6targetE0EEEvT1_,comdat
.Lfunc_end2583:
	.size	_ZN7rocprim17ROCPRIM_400000_NS6detail17trampoline_kernelINS0_14default_configENS1_25partition_config_selectorILNS1_17partition_subalgoE5EsNS0_10empty_typeEbEEZZNS1_14partition_implILS5_5ELb0ES3_mN6thrust23THRUST_200600_302600_NS6detail15normal_iteratorINSA_10device_ptrIsEEEEPS6_NSA_18transform_iteratorINSB_9not_fun_tI7is_trueIsEEENSC_INSD_IbEEEENSA_11use_defaultESO_EENS0_5tupleIJSF_S6_EEENSQ_IJSG_SG_EEES6_PlJS6_EEE10hipError_tPvRmT3_T4_T5_T6_T7_T9_mT8_P12ihipStream_tbDpT10_ENKUlT_T0_E_clISt17integral_constantIbLb0EES1C_IbLb1EEEEDaS18_S19_EUlS18_E_NS1_11comp_targetILNS1_3genE4ELNS1_11target_archE910ELNS1_3gpuE8ELNS1_3repE0EEENS1_30default_config_static_selectorELNS0_4arch9wavefront6targetE0EEEvT1_, .Lfunc_end2583-_ZN7rocprim17ROCPRIM_400000_NS6detail17trampoline_kernelINS0_14default_configENS1_25partition_config_selectorILNS1_17partition_subalgoE5EsNS0_10empty_typeEbEEZZNS1_14partition_implILS5_5ELb0ES3_mN6thrust23THRUST_200600_302600_NS6detail15normal_iteratorINSA_10device_ptrIsEEEEPS6_NSA_18transform_iteratorINSB_9not_fun_tI7is_trueIsEEENSC_INSD_IbEEEENSA_11use_defaultESO_EENS0_5tupleIJSF_S6_EEENSQ_IJSG_SG_EEES6_PlJS6_EEE10hipError_tPvRmT3_T4_T5_T6_T7_T9_mT8_P12ihipStream_tbDpT10_ENKUlT_T0_E_clISt17integral_constantIbLb0EES1C_IbLb1EEEEDaS18_S19_EUlS18_E_NS1_11comp_targetILNS1_3genE4ELNS1_11target_archE910ELNS1_3gpuE8ELNS1_3repE0EEENS1_30default_config_static_selectorELNS0_4arch9wavefront6targetE0EEEvT1_
                                        ; -- End function
	.set _ZN7rocprim17ROCPRIM_400000_NS6detail17trampoline_kernelINS0_14default_configENS1_25partition_config_selectorILNS1_17partition_subalgoE5EsNS0_10empty_typeEbEEZZNS1_14partition_implILS5_5ELb0ES3_mN6thrust23THRUST_200600_302600_NS6detail15normal_iteratorINSA_10device_ptrIsEEEEPS6_NSA_18transform_iteratorINSB_9not_fun_tI7is_trueIsEEENSC_INSD_IbEEEENSA_11use_defaultESO_EENS0_5tupleIJSF_S6_EEENSQ_IJSG_SG_EEES6_PlJS6_EEE10hipError_tPvRmT3_T4_T5_T6_T7_T9_mT8_P12ihipStream_tbDpT10_ENKUlT_T0_E_clISt17integral_constantIbLb0EES1C_IbLb1EEEEDaS18_S19_EUlS18_E_NS1_11comp_targetILNS1_3genE4ELNS1_11target_archE910ELNS1_3gpuE8ELNS1_3repE0EEENS1_30default_config_static_selectorELNS0_4arch9wavefront6targetE0EEEvT1_.num_vgpr, 0
	.set _ZN7rocprim17ROCPRIM_400000_NS6detail17trampoline_kernelINS0_14default_configENS1_25partition_config_selectorILNS1_17partition_subalgoE5EsNS0_10empty_typeEbEEZZNS1_14partition_implILS5_5ELb0ES3_mN6thrust23THRUST_200600_302600_NS6detail15normal_iteratorINSA_10device_ptrIsEEEEPS6_NSA_18transform_iteratorINSB_9not_fun_tI7is_trueIsEEENSC_INSD_IbEEEENSA_11use_defaultESO_EENS0_5tupleIJSF_S6_EEENSQ_IJSG_SG_EEES6_PlJS6_EEE10hipError_tPvRmT3_T4_T5_T6_T7_T9_mT8_P12ihipStream_tbDpT10_ENKUlT_T0_E_clISt17integral_constantIbLb0EES1C_IbLb1EEEEDaS18_S19_EUlS18_E_NS1_11comp_targetILNS1_3genE4ELNS1_11target_archE910ELNS1_3gpuE8ELNS1_3repE0EEENS1_30default_config_static_selectorELNS0_4arch9wavefront6targetE0EEEvT1_.num_agpr, 0
	.set _ZN7rocprim17ROCPRIM_400000_NS6detail17trampoline_kernelINS0_14default_configENS1_25partition_config_selectorILNS1_17partition_subalgoE5EsNS0_10empty_typeEbEEZZNS1_14partition_implILS5_5ELb0ES3_mN6thrust23THRUST_200600_302600_NS6detail15normal_iteratorINSA_10device_ptrIsEEEEPS6_NSA_18transform_iteratorINSB_9not_fun_tI7is_trueIsEEENSC_INSD_IbEEEENSA_11use_defaultESO_EENS0_5tupleIJSF_S6_EEENSQ_IJSG_SG_EEES6_PlJS6_EEE10hipError_tPvRmT3_T4_T5_T6_T7_T9_mT8_P12ihipStream_tbDpT10_ENKUlT_T0_E_clISt17integral_constantIbLb0EES1C_IbLb1EEEEDaS18_S19_EUlS18_E_NS1_11comp_targetILNS1_3genE4ELNS1_11target_archE910ELNS1_3gpuE8ELNS1_3repE0EEENS1_30default_config_static_selectorELNS0_4arch9wavefront6targetE0EEEvT1_.numbered_sgpr, 0
	.set _ZN7rocprim17ROCPRIM_400000_NS6detail17trampoline_kernelINS0_14default_configENS1_25partition_config_selectorILNS1_17partition_subalgoE5EsNS0_10empty_typeEbEEZZNS1_14partition_implILS5_5ELb0ES3_mN6thrust23THRUST_200600_302600_NS6detail15normal_iteratorINSA_10device_ptrIsEEEEPS6_NSA_18transform_iteratorINSB_9not_fun_tI7is_trueIsEEENSC_INSD_IbEEEENSA_11use_defaultESO_EENS0_5tupleIJSF_S6_EEENSQ_IJSG_SG_EEES6_PlJS6_EEE10hipError_tPvRmT3_T4_T5_T6_T7_T9_mT8_P12ihipStream_tbDpT10_ENKUlT_T0_E_clISt17integral_constantIbLb0EES1C_IbLb1EEEEDaS18_S19_EUlS18_E_NS1_11comp_targetILNS1_3genE4ELNS1_11target_archE910ELNS1_3gpuE8ELNS1_3repE0EEENS1_30default_config_static_selectorELNS0_4arch9wavefront6targetE0EEEvT1_.num_named_barrier, 0
	.set _ZN7rocprim17ROCPRIM_400000_NS6detail17trampoline_kernelINS0_14default_configENS1_25partition_config_selectorILNS1_17partition_subalgoE5EsNS0_10empty_typeEbEEZZNS1_14partition_implILS5_5ELb0ES3_mN6thrust23THRUST_200600_302600_NS6detail15normal_iteratorINSA_10device_ptrIsEEEEPS6_NSA_18transform_iteratorINSB_9not_fun_tI7is_trueIsEEENSC_INSD_IbEEEENSA_11use_defaultESO_EENS0_5tupleIJSF_S6_EEENSQ_IJSG_SG_EEES6_PlJS6_EEE10hipError_tPvRmT3_T4_T5_T6_T7_T9_mT8_P12ihipStream_tbDpT10_ENKUlT_T0_E_clISt17integral_constantIbLb0EES1C_IbLb1EEEEDaS18_S19_EUlS18_E_NS1_11comp_targetILNS1_3genE4ELNS1_11target_archE910ELNS1_3gpuE8ELNS1_3repE0EEENS1_30default_config_static_selectorELNS0_4arch9wavefront6targetE0EEEvT1_.private_seg_size, 0
	.set _ZN7rocprim17ROCPRIM_400000_NS6detail17trampoline_kernelINS0_14default_configENS1_25partition_config_selectorILNS1_17partition_subalgoE5EsNS0_10empty_typeEbEEZZNS1_14partition_implILS5_5ELb0ES3_mN6thrust23THRUST_200600_302600_NS6detail15normal_iteratorINSA_10device_ptrIsEEEEPS6_NSA_18transform_iteratorINSB_9not_fun_tI7is_trueIsEEENSC_INSD_IbEEEENSA_11use_defaultESO_EENS0_5tupleIJSF_S6_EEENSQ_IJSG_SG_EEES6_PlJS6_EEE10hipError_tPvRmT3_T4_T5_T6_T7_T9_mT8_P12ihipStream_tbDpT10_ENKUlT_T0_E_clISt17integral_constantIbLb0EES1C_IbLb1EEEEDaS18_S19_EUlS18_E_NS1_11comp_targetILNS1_3genE4ELNS1_11target_archE910ELNS1_3gpuE8ELNS1_3repE0EEENS1_30default_config_static_selectorELNS0_4arch9wavefront6targetE0EEEvT1_.uses_vcc, 0
	.set _ZN7rocprim17ROCPRIM_400000_NS6detail17trampoline_kernelINS0_14default_configENS1_25partition_config_selectorILNS1_17partition_subalgoE5EsNS0_10empty_typeEbEEZZNS1_14partition_implILS5_5ELb0ES3_mN6thrust23THRUST_200600_302600_NS6detail15normal_iteratorINSA_10device_ptrIsEEEEPS6_NSA_18transform_iteratorINSB_9not_fun_tI7is_trueIsEEENSC_INSD_IbEEEENSA_11use_defaultESO_EENS0_5tupleIJSF_S6_EEENSQ_IJSG_SG_EEES6_PlJS6_EEE10hipError_tPvRmT3_T4_T5_T6_T7_T9_mT8_P12ihipStream_tbDpT10_ENKUlT_T0_E_clISt17integral_constantIbLb0EES1C_IbLb1EEEEDaS18_S19_EUlS18_E_NS1_11comp_targetILNS1_3genE4ELNS1_11target_archE910ELNS1_3gpuE8ELNS1_3repE0EEENS1_30default_config_static_selectorELNS0_4arch9wavefront6targetE0EEEvT1_.uses_flat_scratch, 0
	.set _ZN7rocprim17ROCPRIM_400000_NS6detail17trampoline_kernelINS0_14default_configENS1_25partition_config_selectorILNS1_17partition_subalgoE5EsNS0_10empty_typeEbEEZZNS1_14partition_implILS5_5ELb0ES3_mN6thrust23THRUST_200600_302600_NS6detail15normal_iteratorINSA_10device_ptrIsEEEEPS6_NSA_18transform_iteratorINSB_9not_fun_tI7is_trueIsEEENSC_INSD_IbEEEENSA_11use_defaultESO_EENS0_5tupleIJSF_S6_EEENSQ_IJSG_SG_EEES6_PlJS6_EEE10hipError_tPvRmT3_T4_T5_T6_T7_T9_mT8_P12ihipStream_tbDpT10_ENKUlT_T0_E_clISt17integral_constantIbLb0EES1C_IbLb1EEEEDaS18_S19_EUlS18_E_NS1_11comp_targetILNS1_3genE4ELNS1_11target_archE910ELNS1_3gpuE8ELNS1_3repE0EEENS1_30default_config_static_selectorELNS0_4arch9wavefront6targetE0EEEvT1_.has_dyn_sized_stack, 0
	.set _ZN7rocprim17ROCPRIM_400000_NS6detail17trampoline_kernelINS0_14default_configENS1_25partition_config_selectorILNS1_17partition_subalgoE5EsNS0_10empty_typeEbEEZZNS1_14partition_implILS5_5ELb0ES3_mN6thrust23THRUST_200600_302600_NS6detail15normal_iteratorINSA_10device_ptrIsEEEEPS6_NSA_18transform_iteratorINSB_9not_fun_tI7is_trueIsEEENSC_INSD_IbEEEENSA_11use_defaultESO_EENS0_5tupleIJSF_S6_EEENSQ_IJSG_SG_EEES6_PlJS6_EEE10hipError_tPvRmT3_T4_T5_T6_T7_T9_mT8_P12ihipStream_tbDpT10_ENKUlT_T0_E_clISt17integral_constantIbLb0EES1C_IbLb1EEEEDaS18_S19_EUlS18_E_NS1_11comp_targetILNS1_3genE4ELNS1_11target_archE910ELNS1_3gpuE8ELNS1_3repE0EEENS1_30default_config_static_selectorELNS0_4arch9wavefront6targetE0EEEvT1_.has_recursion, 0
	.set _ZN7rocprim17ROCPRIM_400000_NS6detail17trampoline_kernelINS0_14default_configENS1_25partition_config_selectorILNS1_17partition_subalgoE5EsNS0_10empty_typeEbEEZZNS1_14partition_implILS5_5ELb0ES3_mN6thrust23THRUST_200600_302600_NS6detail15normal_iteratorINSA_10device_ptrIsEEEEPS6_NSA_18transform_iteratorINSB_9not_fun_tI7is_trueIsEEENSC_INSD_IbEEEENSA_11use_defaultESO_EENS0_5tupleIJSF_S6_EEENSQ_IJSG_SG_EEES6_PlJS6_EEE10hipError_tPvRmT3_T4_T5_T6_T7_T9_mT8_P12ihipStream_tbDpT10_ENKUlT_T0_E_clISt17integral_constantIbLb0EES1C_IbLb1EEEEDaS18_S19_EUlS18_E_NS1_11comp_targetILNS1_3genE4ELNS1_11target_archE910ELNS1_3gpuE8ELNS1_3repE0EEENS1_30default_config_static_selectorELNS0_4arch9wavefront6targetE0EEEvT1_.has_indirect_call, 0
	.section	.AMDGPU.csdata,"",@progbits
; Kernel info:
; codeLenInByte = 0
; TotalNumSgprs: 0
; NumVgprs: 0
; ScratchSize: 0
; MemoryBound: 0
; FloatMode: 240
; IeeeMode: 1
; LDSByteSize: 0 bytes/workgroup (compile time only)
; SGPRBlocks: 0
; VGPRBlocks: 0
; NumSGPRsForWavesPerEU: 1
; NumVGPRsForWavesPerEU: 1
; Occupancy: 16
; WaveLimiterHint : 0
; COMPUTE_PGM_RSRC2:SCRATCH_EN: 0
; COMPUTE_PGM_RSRC2:USER_SGPR: 2
; COMPUTE_PGM_RSRC2:TRAP_HANDLER: 0
; COMPUTE_PGM_RSRC2:TGID_X_EN: 1
; COMPUTE_PGM_RSRC2:TGID_Y_EN: 0
; COMPUTE_PGM_RSRC2:TGID_Z_EN: 0
; COMPUTE_PGM_RSRC2:TIDIG_COMP_CNT: 0
	.section	.text._ZN7rocprim17ROCPRIM_400000_NS6detail17trampoline_kernelINS0_14default_configENS1_25partition_config_selectorILNS1_17partition_subalgoE5EsNS0_10empty_typeEbEEZZNS1_14partition_implILS5_5ELb0ES3_mN6thrust23THRUST_200600_302600_NS6detail15normal_iteratorINSA_10device_ptrIsEEEEPS6_NSA_18transform_iteratorINSB_9not_fun_tI7is_trueIsEEENSC_INSD_IbEEEENSA_11use_defaultESO_EENS0_5tupleIJSF_S6_EEENSQ_IJSG_SG_EEES6_PlJS6_EEE10hipError_tPvRmT3_T4_T5_T6_T7_T9_mT8_P12ihipStream_tbDpT10_ENKUlT_T0_E_clISt17integral_constantIbLb0EES1C_IbLb1EEEEDaS18_S19_EUlS18_E_NS1_11comp_targetILNS1_3genE3ELNS1_11target_archE908ELNS1_3gpuE7ELNS1_3repE0EEENS1_30default_config_static_selectorELNS0_4arch9wavefront6targetE0EEEvT1_,"axG",@progbits,_ZN7rocprim17ROCPRIM_400000_NS6detail17trampoline_kernelINS0_14default_configENS1_25partition_config_selectorILNS1_17partition_subalgoE5EsNS0_10empty_typeEbEEZZNS1_14partition_implILS5_5ELb0ES3_mN6thrust23THRUST_200600_302600_NS6detail15normal_iteratorINSA_10device_ptrIsEEEEPS6_NSA_18transform_iteratorINSB_9not_fun_tI7is_trueIsEEENSC_INSD_IbEEEENSA_11use_defaultESO_EENS0_5tupleIJSF_S6_EEENSQ_IJSG_SG_EEES6_PlJS6_EEE10hipError_tPvRmT3_T4_T5_T6_T7_T9_mT8_P12ihipStream_tbDpT10_ENKUlT_T0_E_clISt17integral_constantIbLb0EES1C_IbLb1EEEEDaS18_S19_EUlS18_E_NS1_11comp_targetILNS1_3genE3ELNS1_11target_archE908ELNS1_3gpuE7ELNS1_3repE0EEENS1_30default_config_static_selectorELNS0_4arch9wavefront6targetE0EEEvT1_,comdat
	.protected	_ZN7rocprim17ROCPRIM_400000_NS6detail17trampoline_kernelINS0_14default_configENS1_25partition_config_selectorILNS1_17partition_subalgoE5EsNS0_10empty_typeEbEEZZNS1_14partition_implILS5_5ELb0ES3_mN6thrust23THRUST_200600_302600_NS6detail15normal_iteratorINSA_10device_ptrIsEEEEPS6_NSA_18transform_iteratorINSB_9not_fun_tI7is_trueIsEEENSC_INSD_IbEEEENSA_11use_defaultESO_EENS0_5tupleIJSF_S6_EEENSQ_IJSG_SG_EEES6_PlJS6_EEE10hipError_tPvRmT3_T4_T5_T6_T7_T9_mT8_P12ihipStream_tbDpT10_ENKUlT_T0_E_clISt17integral_constantIbLb0EES1C_IbLb1EEEEDaS18_S19_EUlS18_E_NS1_11comp_targetILNS1_3genE3ELNS1_11target_archE908ELNS1_3gpuE7ELNS1_3repE0EEENS1_30default_config_static_selectorELNS0_4arch9wavefront6targetE0EEEvT1_ ; -- Begin function _ZN7rocprim17ROCPRIM_400000_NS6detail17trampoline_kernelINS0_14default_configENS1_25partition_config_selectorILNS1_17partition_subalgoE5EsNS0_10empty_typeEbEEZZNS1_14partition_implILS5_5ELb0ES3_mN6thrust23THRUST_200600_302600_NS6detail15normal_iteratorINSA_10device_ptrIsEEEEPS6_NSA_18transform_iteratorINSB_9not_fun_tI7is_trueIsEEENSC_INSD_IbEEEENSA_11use_defaultESO_EENS0_5tupleIJSF_S6_EEENSQ_IJSG_SG_EEES6_PlJS6_EEE10hipError_tPvRmT3_T4_T5_T6_T7_T9_mT8_P12ihipStream_tbDpT10_ENKUlT_T0_E_clISt17integral_constantIbLb0EES1C_IbLb1EEEEDaS18_S19_EUlS18_E_NS1_11comp_targetILNS1_3genE3ELNS1_11target_archE908ELNS1_3gpuE7ELNS1_3repE0EEENS1_30default_config_static_selectorELNS0_4arch9wavefront6targetE0EEEvT1_
	.globl	_ZN7rocprim17ROCPRIM_400000_NS6detail17trampoline_kernelINS0_14default_configENS1_25partition_config_selectorILNS1_17partition_subalgoE5EsNS0_10empty_typeEbEEZZNS1_14partition_implILS5_5ELb0ES3_mN6thrust23THRUST_200600_302600_NS6detail15normal_iteratorINSA_10device_ptrIsEEEEPS6_NSA_18transform_iteratorINSB_9not_fun_tI7is_trueIsEEENSC_INSD_IbEEEENSA_11use_defaultESO_EENS0_5tupleIJSF_S6_EEENSQ_IJSG_SG_EEES6_PlJS6_EEE10hipError_tPvRmT3_T4_T5_T6_T7_T9_mT8_P12ihipStream_tbDpT10_ENKUlT_T0_E_clISt17integral_constantIbLb0EES1C_IbLb1EEEEDaS18_S19_EUlS18_E_NS1_11comp_targetILNS1_3genE3ELNS1_11target_archE908ELNS1_3gpuE7ELNS1_3repE0EEENS1_30default_config_static_selectorELNS0_4arch9wavefront6targetE0EEEvT1_
	.p2align	8
	.type	_ZN7rocprim17ROCPRIM_400000_NS6detail17trampoline_kernelINS0_14default_configENS1_25partition_config_selectorILNS1_17partition_subalgoE5EsNS0_10empty_typeEbEEZZNS1_14partition_implILS5_5ELb0ES3_mN6thrust23THRUST_200600_302600_NS6detail15normal_iteratorINSA_10device_ptrIsEEEEPS6_NSA_18transform_iteratorINSB_9not_fun_tI7is_trueIsEEENSC_INSD_IbEEEENSA_11use_defaultESO_EENS0_5tupleIJSF_S6_EEENSQ_IJSG_SG_EEES6_PlJS6_EEE10hipError_tPvRmT3_T4_T5_T6_T7_T9_mT8_P12ihipStream_tbDpT10_ENKUlT_T0_E_clISt17integral_constantIbLb0EES1C_IbLb1EEEEDaS18_S19_EUlS18_E_NS1_11comp_targetILNS1_3genE3ELNS1_11target_archE908ELNS1_3gpuE7ELNS1_3repE0EEENS1_30default_config_static_selectorELNS0_4arch9wavefront6targetE0EEEvT1_,@function
_ZN7rocprim17ROCPRIM_400000_NS6detail17trampoline_kernelINS0_14default_configENS1_25partition_config_selectorILNS1_17partition_subalgoE5EsNS0_10empty_typeEbEEZZNS1_14partition_implILS5_5ELb0ES3_mN6thrust23THRUST_200600_302600_NS6detail15normal_iteratorINSA_10device_ptrIsEEEEPS6_NSA_18transform_iteratorINSB_9not_fun_tI7is_trueIsEEENSC_INSD_IbEEEENSA_11use_defaultESO_EENS0_5tupleIJSF_S6_EEENSQ_IJSG_SG_EEES6_PlJS6_EEE10hipError_tPvRmT3_T4_T5_T6_T7_T9_mT8_P12ihipStream_tbDpT10_ENKUlT_T0_E_clISt17integral_constantIbLb0EES1C_IbLb1EEEEDaS18_S19_EUlS18_E_NS1_11comp_targetILNS1_3genE3ELNS1_11target_archE908ELNS1_3gpuE7ELNS1_3repE0EEENS1_30default_config_static_selectorELNS0_4arch9wavefront6targetE0EEEvT1_: ; @_ZN7rocprim17ROCPRIM_400000_NS6detail17trampoline_kernelINS0_14default_configENS1_25partition_config_selectorILNS1_17partition_subalgoE5EsNS0_10empty_typeEbEEZZNS1_14partition_implILS5_5ELb0ES3_mN6thrust23THRUST_200600_302600_NS6detail15normal_iteratorINSA_10device_ptrIsEEEEPS6_NSA_18transform_iteratorINSB_9not_fun_tI7is_trueIsEEENSC_INSD_IbEEEENSA_11use_defaultESO_EENS0_5tupleIJSF_S6_EEENSQ_IJSG_SG_EEES6_PlJS6_EEE10hipError_tPvRmT3_T4_T5_T6_T7_T9_mT8_P12ihipStream_tbDpT10_ENKUlT_T0_E_clISt17integral_constantIbLb0EES1C_IbLb1EEEEDaS18_S19_EUlS18_E_NS1_11comp_targetILNS1_3genE3ELNS1_11target_archE908ELNS1_3gpuE7ELNS1_3repE0EEENS1_30default_config_static_selectorELNS0_4arch9wavefront6targetE0EEEvT1_
; %bb.0:
	.section	.rodata,"a",@progbits
	.p2align	6, 0x0
	.amdhsa_kernel _ZN7rocprim17ROCPRIM_400000_NS6detail17trampoline_kernelINS0_14default_configENS1_25partition_config_selectorILNS1_17partition_subalgoE5EsNS0_10empty_typeEbEEZZNS1_14partition_implILS5_5ELb0ES3_mN6thrust23THRUST_200600_302600_NS6detail15normal_iteratorINSA_10device_ptrIsEEEEPS6_NSA_18transform_iteratorINSB_9not_fun_tI7is_trueIsEEENSC_INSD_IbEEEENSA_11use_defaultESO_EENS0_5tupleIJSF_S6_EEENSQ_IJSG_SG_EEES6_PlJS6_EEE10hipError_tPvRmT3_T4_T5_T6_T7_T9_mT8_P12ihipStream_tbDpT10_ENKUlT_T0_E_clISt17integral_constantIbLb0EES1C_IbLb1EEEEDaS18_S19_EUlS18_E_NS1_11comp_targetILNS1_3genE3ELNS1_11target_archE908ELNS1_3gpuE7ELNS1_3repE0EEENS1_30default_config_static_selectorELNS0_4arch9wavefront6targetE0EEEvT1_
		.amdhsa_group_segment_fixed_size 0
		.amdhsa_private_segment_fixed_size 0
		.amdhsa_kernarg_size 136
		.amdhsa_user_sgpr_count 2
		.amdhsa_user_sgpr_dispatch_ptr 0
		.amdhsa_user_sgpr_queue_ptr 0
		.amdhsa_user_sgpr_kernarg_segment_ptr 1
		.amdhsa_user_sgpr_dispatch_id 0
		.amdhsa_user_sgpr_private_segment_size 0
		.amdhsa_wavefront_size32 1
		.amdhsa_uses_dynamic_stack 0
		.amdhsa_enable_private_segment 0
		.amdhsa_system_sgpr_workgroup_id_x 1
		.amdhsa_system_sgpr_workgroup_id_y 0
		.amdhsa_system_sgpr_workgroup_id_z 0
		.amdhsa_system_sgpr_workgroup_info 0
		.amdhsa_system_vgpr_workitem_id 0
		.amdhsa_next_free_vgpr 1
		.amdhsa_next_free_sgpr 1
		.amdhsa_reserve_vcc 0
		.amdhsa_float_round_mode_32 0
		.amdhsa_float_round_mode_16_64 0
		.amdhsa_float_denorm_mode_32 3
		.amdhsa_float_denorm_mode_16_64 3
		.amdhsa_fp16_overflow 0
		.amdhsa_workgroup_processor_mode 1
		.amdhsa_memory_ordered 1
		.amdhsa_forward_progress 1
		.amdhsa_inst_pref_size 0
		.amdhsa_round_robin_scheduling 0
		.amdhsa_exception_fp_ieee_invalid_op 0
		.amdhsa_exception_fp_denorm_src 0
		.amdhsa_exception_fp_ieee_div_zero 0
		.amdhsa_exception_fp_ieee_overflow 0
		.amdhsa_exception_fp_ieee_underflow 0
		.amdhsa_exception_fp_ieee_inexact 0
		.amdhsa_exception_int_div_zero 0
	.end_amdhsa_kernel
	.section	.text._ZN7rocprim17ROCPRIM_400000_NS6detail17trampoline_kernelINS0_14default_configENS1_25partition_config_selectorILNS1_17partition_subalgoE5EsNS0_10empty_typeEbEEZZNS1_14partition_implILS5_5ELb0ES3_mN6thrust23THRUST_200600_302600_NS6detail15normal_iteratorINSA_10device_ptrIsEEEEPS6_NSA_18transform_iteratorINSB_9not_fun_tI7is_trueIsEEENSC_INSD_IbEEEENSA_11use_defaultESO_EENS0_5tupleIJSF_S6_EEENSQ_IJSG_SG_EEES6_PlJS6_EEE10hipError_tPvRmT3_T4_T5_T6_T7_T9_mT8_P12ihipStream_tbDpT10_ENKUlT_T0_E_clISt17integral_constantIbLb0EES1C_IbLb1EEEEDaS18_S19_EUlS18_E_NS1_11comp_targetILNS1_3genE3ELNS1_11target_archE908ELNS1_3gpuE7ELNS1_3repE0EEENS1_30default_config_static_selectorELNS0_4arch9wavefront6targetE0EEEvT1_,"axG",@progbits,_ZN7rocprim17ROCPRIM_400000_NS6detail17trampoline_kernelINS0_14default_configENS1_25partition_config_selectorILNS1_17partition_subalgoE5EsNS0_10empty_typeEbEEZZNS1_14partition_implILS5_5ELb0ES3_mN6thrust23THRUST_200600_302600_NS6detail15normal_iteratorINSA_10device_ptrIsEEEEPS6_NSA_18transform_iteratorINSB_9not_fun_tI7is_trueIsEEENSC_INSD_IbEEEENSA_11use_defaultESO_EENS0_5tupleIJSF_S6_EEENSQ_IJSG_SG_EEES6_PlJS6_EEE10hipError_tPvRmT3_T4_T5_T6_T7_T9_mT8_P12ihipStream_tbDpT10_ENKUlT_T0_E_clISt17integral_constantIbLb0EES1C_IbLb1EEEEDaS18_S19_EUlS18_E_NS1_11comp_targetILNS1_3genE3ELNS1_11target_archE908ELNS1_3gpuE7ELNS1_3repE0EEENS1_30default_config_static_selectorELNS0_4arch9wavefront6targetE0EEEvT1_,comdat
.Lfunc_end2584:
	.size	_ZN7rocprim17ROCPRIM_400000_NS6detail17trampoline_kernelINS0_14default_configENS1_25partition_config_selectorILNS1_17partition_subalgoE5EsNS0_10empty_typeEbEEZZNS1_14partition_implILS5_5ELb0ES3_mN6thrust23THRUST_200600_302600_NS6detail15normal_iteratorINSA_10device_ptrIsEEEEPS6_NSA_18transform_iteratorINSB_9not_fun_tI7is_trueIsEEENSC_INSD_IbEEEENSA_11use_defaultESO_EENS0_5tupleIJSF_S6_EEENSQ_IJSG_SG_EEES6_PlJS6_EEE10hipError_tPvRmT3_T4_T5_T6_T7_T9_mT8_P12ihipStream_tbDpT10_ENKUlT_T0_E_clISt17integral_constantIbLb0EES1C_IbLb1EEEEDaS18_S19_EUlS18_E_NS1_11comp_targetILNS1_3genE3ELNS1_11target_archE908ELNS1_3gpuE7ELNS1_3repE0EEENS1_30default_config_static_selectorELNS0_4arch9wavefront6targetE0EEEvT1_, .Lfunc_end2584-_ZN7rocprim17ROCPRIM_400000_NS6detail17trampoline_kernelINS0_14default_configENS1_25partition_config_selectorILNS1_17partition_subalgoE5EsNS0_10empty_typeEbEEZZNS1_14partition_implILS5_5ELb0ES3_mN6thrust23THRUST_200600_302600_NS6detail15normal_iteratorINSA_10device_ptrIsEEEEPS6_NSA_18transform_iteratorINSB_9not_fun_tI7is_trueIsEEENSC_INSD_IbEEEENSA_11use_defaultESO_EENS0_5tupleIJSF_S6_EEENSQ_IJSG_SG_EEES6_PlJS6_EEE10hipError_tPvRmT3_T4_T5_T6_T7_T9_mT8_P12ihipStream_tbDpT10_ENKUlT_T0_E_clISt17integral_constantIbLb0EES1C_IbLb1EEEEDaS18_S19_EUlS18_E_NS1_11comp_targetILNS1_3genE3ELNS1_11target_archE908ELNS1_3gpuE7ELNS1_3repE0EEENS1_30default_config_static_selectorELNS0_4arch9wavefront6targetE0EEEvT1_
                                        ; -- End function
	.set _ZN7rocprim17ROCPRIM_400000_NS6detail17trampoline_kernelINS0_14default_configENS1_25partition_config_selectorILNS1_17partition_subalgoE5EsNS0_10empty_typeEbEEZZNS1_14partition_implILS5_5ELb0ES3_mN6thrust23THRUST_200600_302600_NS6detail15normal_iteratorINSA_10device_ptrIsEEEEPS6_NSA_18transform_iteratorINSB_9not_fun_tI7is_trueIsEEENSC_INSD_IbEEEENSA_11use_defaultESO_EENS0_5tupleIJSF_S6_EEENSQ_IJSG_SG_EEES6_PlJS6_EEE10hipError_tPvRmT3_T4_T5_T6_T7_T9_mT8_P12ihipStream_tbDpT10_ENKUlT_T0_E_clISt17integral_constantIbLb0EES1C_IbLb1EEEEDaS18_S19_EUlS18_E_NS1_11comp_targetILNS1_3genE3ELNS1_11target_archE908ELNS1_3gpuE7ELNS1_3repE0EEENS1_30default_config_static_selectorELNS0_4arch9wavefront6targetE0EEEvT1_.num_vgpr, 0
	.set _ZN7rocprim17ROCPRIM_400000_NS6detail17trampoline_kernelINS0_14default_configENS1_25partition_config_selectorILNS1_17partition_subalgoE5EsNS0_10empty_typeEbEEZZNS1_14partition_implILS5_5ELb0ES3_mN6thrust23THRUST_200600_302600_NS6detail15normal_iteratorINSA_10device_ptrIsEEEEPS6_NSA_18transform_iteratorINSB_9not_fun_tI7is_trueIsEEENSC_INSD_IbEEEENSA_11use_defaultESO_EENS0_5tupleIJSF_S6_EEENSQ_IJSG_SG_EEES6_PlJS6_EEE10hipError_tPvRmT3_T4_T5_T6_T7_T9_mT8_P12ihipStream_tbDpT10_ENKUlT_T0_E_clISt17integral_constantIbLb0EES1C_IbLb1EEEEDaS18_S19_EUlS18_E_NS1_11comp_targetILNS1_3genE3ELNS1_11target_archE908ELNS1_3gpuE7ELNS1_3repE0EEENS1_30default_config_static_selectorELNS0_4arch9wavefront6targetE0EEEvT1_.num_agpr, 0
	.set _ZN7rocprim17ROCPRIM_400000_NS6detail17trampoline_kernelINS0_14default_configENS1_25partition_config_selectorILNS1_17partition_subalgoE5EsNS0_10empty_typeEbEEZZNS1_14partition_implILS5_5ELb0ES3_mN6thrust23THRUST_200600_302600_NS6detail15normal_iteratorINSA_10device_ptrIsEEEEPS6_NSA_18transform_iteratorINSB_9not_fun_tI7is_trueIsEEENSC_INSD_IbEEEENSA_11use_defaultESO_EENS0_5tupleIJSF_S6_EEENSQ_IJSG_SG_EEES6_PlJS6_EEE10hipError_tPvRmT3_T4_T5_T6_T7_T9_mT8_P12ihipStream_tbDpT10_ENKUlT_T0_E_clISt17integral_constantIbLb0EES1C_IbLb1EEEEDaS18_S19_EUlS18_E_NS1_11comp_targetILNS1_3genE3ELNS1_11target_archE908ELNS1_3gpuE7ELNS1_3repE0EEENS1_30default_config_static_selectorELNS0_4arch9wavefront6targetE0EEEvT1_.numbered_sgpr, 0
	.set _ZN7rocprim17ROCPRIM_400000_NS6detail17trampoline_kernelINS0_14default_configENS1_25partition_config_selectorILNS1_17partition_subalgoE5EsNS0_10empty_typeEbEEZZNS1_14partition_implILS5_5ELb0ES3_mN6thrust23THRUST_200600_302600_NS6detail15normal_iteratorINSA_10device_ptrIsEEEEPS6_NSA_18transform_iteratorINSB_9not_fun_tI7is_trueIsEEENSC_INSD_IbEEEENSA_11use_defaultESO_EENS0_5tupleIJSF_S6_EEENSQ_IJSG_SG_EEES6_PlJS6_EEE10hipError_tPvRmT3_T4_T5_T6_T7_T9_mT8_P12ihipStream_tbDpT10_ENKUlT_T0_E_clISt17integral_constantIbLb0EES1C_IbLb1EEEEDaS18_S19_EUlS18_E_NS1_11comp_targetILNS1_3genE3ELNS1_11target_archE908ELNS1_3gpuE7ELNS1_3repE0EEENS1_30default_config_static_selectorELNS0_4arch9wavefront6targetE0EEEvT1_.num_named_barrier, 0
	.set _ZN7rocprim17ROCPRIM_400000_NS6detail17trampoline_kernelINS0_14default_configENS1_25partition_config_selectorILNS1_17partition_subalgoE5EsNS0_10empty_typeEbEEZZNS1_14partition_implILS5_5ELb0ES3_mN6thrust23THRUST_200600_302600_NS6detail15normal_iteratorINSA_10device_ptrIsEEEEPS6_NSA_18transform_iteratorINSB_9not_fun_tI7is_trueIsEEENSC_INSD_IbEEEENSA_11use_defaultESO_EENS0_5tupleIJSF_S6_EEENSQ_IJSG_SG_EEES6_PlJS6_EEE10hipError_tPvRmT3_T4_T5_T6_T7_T9_mT8_P12ihipStream_tbDpT10_ENKUlT_T0_E_clISt17integral_constantIbLb0EES1C_IbLb1EEEEDaS18_S19_EUlS18_E_NS1_11comp_targetILNS1_3genE3ELNS1_11target_archE908ELNS1_3gpuE7ELNS1_3repE0EEENS1_30default_config_static_selectorELNS0_4arch9wavefront6targetE0EEEvT1_.private_seg_size, 0
	.set _ZN7rocprim17ROCPRIM_400000_NS6detail17trampoline_kernelINS0_14default_configENS1_25partition_config_selectorILNS1_17partition_subalgoE5EsNS0_10empty_typeEbEEZZNS1_14partition_implILS5_5ELb0ES3_mN6thrust23THRUST_200600_302600_NS6detail15normal_iteratorINSA_10device_ptrIsEEEEPS6_NSA_18transform_iteratorINSB_9not_fun_tI7is_trueIsEEENSC_INSD_IbEEEENSA_11use_defaultESO_EENS0_5tupleIJSF_S6_EEENSQ_IJSG_SG_EEES6_PlJS6_EEE10hipError_tPvRmT3_T4_T5_T6_T7_T9_mT8_P12ihipStream_tbDpT10_ENKUlT_T0_E_clISt17integral_constantIbLb0EES1C_IbLb1EEEEDaS18_S19_EUlS18_E_NS1_11comp_targetILNS1_3genE3ELNS1_11target_archE908ELNS1_3gpuE7ELNS1_3repE0EEENS1_30default_config_static_selectorELNS0_4arch9wavefront6targetE0EEEvT1_.uses_vcc, 0
	.set _ZN7rocprim17ROCPRIM_400000_NS6detail17trampoline_kernelINS0_14default_configENS1_25partition_config_selectorILNS1_17partition_subalgoE5EsNS0_10empty_typeEbEEZZNS1_14partition_implILS5_5ELb0ES3_mN6thrust23THRUST_200600_302600_NS6detail15normal_iteratorINSA_10device_ptrIsEEEEPS6_NSA_18transform_iteratorINSB_9not_fun_tI7is_trueIsEEENSC_INSD_IbEEEENSA_11use_defaultESO_EENS0_5tupleIJSF_S6_EEENSQ_IJSG_SG_EEES6_PlJS6_EEE10hipError_tPvRmT3_T4_T5_T6_T7_T9_mT8_P12ihipStream_tbDpT10_ENKUlT_T0_E_clISt17integral_constantIbLb0EES1C_IbLb1EEEEDaS18_S19_EUlS18_E_NS1_11comp_targetILNS1_3genE3ELNS1_11target_archE908ELNS1_3gpuE7ELNS1_3repE0EEENS1_30default_config_static_selectorELNS0_4arch9wavefront6targetE0EEEvT1_.uses_flat_scratch, 0
	.set _ZN7rocprim17ROCPRIM_400000_NS6detail17trampoline_kernelINS0_14default_configENS1_25partition_config_selectorILNS1_17partition_subalgoE5EsNS0_10empty_typeEbEEZZNS1_14partition_implILS5_5ELb0ES3_mN6thrust23THRUST_200600_302600_NS6detail15normal_iteratorINSA_10device_ptrIsEEEEPS6_NSA_18transform_iteratorINSB_9not_fun_tI7is_trueIsEEENSC_INSD_IbEEEENSA_11use_defaultESO_EENS0_5tupleIJSF_S6_EEENSQ_IJSG_SG_EEES6_PlJS6_EEE10hipError_tPvRmT3_T4_T5_T6_T7_T9_mT8_P12ihipStream_tbDpT10_ENKUlT_T0_E_clISt17integral_constantIbLb0EES1C_IbLb1EEEEDaS18_S19_EUlS18_E_NS1_11comp_targetILNS1_3genE3ELNS1_11target_archE908ELNS1_3gpuE7ELNS1_3repE0EEENS1_30default_config_static_selectorELNS0_4arch9wavefront6targetE0EEEvT1_.has_dyn_sized_stack, 0
	.set _ZN7rocprim17ROCPRIM_400000_NS6detail17trampoline_kernelINS0_14default_configENS1_25partition_config_selectorILNS1_17partition_subalgoE5EsNS0_10empty_typeEbEEZZNS1_14partition_implILS5_5ELb0ES3_mN6thrust23THRUST_200600_302600_NS6detail15normal_iteratorINSA_10device_ptrIsEEEEPS6_NSA_18transform_iteratorINSB_9not_fun_tI7is_trueIsEEENSC_INSD_IbEEEENSA_11use_defaultESO_EENS0_5tupleIJSF_S6_EEENSQ_IJSG_SG_EEES6_PlJS6_EEE10hipError_tPvRmT3_T4_T5_T6_T7_T9_mT8_P12ihipStream_tbDpT10_ENKUlT_T0_E_clISt17integral_constantIbLb0EES1C_IbLb1EEEEDaS18_S19_EUlS18_E_NS1_11comp_targetILNS1_3genE3ELNS1_11target_archE908ELNS1_3gpuE7ELNS1_3repE0EEENS1_30default_config_static_selectorELNS0_4arch9wavefront6targetE0EEEvT1_.has_recursion, 0
	.set _ZN7rocprim17ROCPRIM_400000_NS6detail17trampoline_kernelINS0_14default_configENS1_25partition_config_selectorILNS1_17partition_subalgoE5EsNS0_10empty_typeEbEEZZNS1_14partition_implILS5_5ELb0ES3_mN6thrust23THRUST_200600_302600_NS6detail15normal_iteratorINSA_10device_ptrIsEEEEPS6_NSA_18transform_iteratorINSB_9not_fun_tI7is_trueIsEEENSC_INSD_IbEEEENSA_11use_defaultESO_EENS0_5tupleIJSF_S6_EEENSQ_IJSG_SG_EEES6_PlJS6_EEE10hipError_tPvRmT3_T4_T5_T6_T7_T9_mT8_P12ihipStream_tbDpT10_ENKUlT_T0_E_clISt17integral_constantIbLb0EES1C_IbLb1EEEEDaS18_S19_EUlS18_E_NS1_11comp_targetILNS1_3genE3ELNS1_11target_archE908ELNS1_3gpuE7ELNS1_3repE0EEENS1_30default_config_static_selectorELNS0_4arch9wavefront6targetE0EEEvT1_.has_indirect_call, 0
	.section	.AMDGPU.csdata,"",@progbits
; Kernel info:
; codeLenInByte = 0
; TotalNumSgprs: 0
; NumVgprs: 0
; ScratchSize: 0
; MemoryBound: 0
; FloatMode: 240
; IeeeMode: 1
; LDSByteSize: 0 bytes/workgroup (compile time only)
; SGPRBlocks: 0
; VGPRBlocks: 0
; NumSGPRsForWavesPerEU: 1
; NumVGPRsForWavesPerEU: 1
; Occupancy: 16
; WaveLimiterHint : 0
; COMPUTE_PGM_RSRC2:SCRATCH_EN: 0
; COMPUTE_PGM_RSRC2:USER_SGPR: 2
; COMPUTE_PGM_RSRC2:TRAP_HANDLER: 0
; COMPUTE_PGM_RSRC2:TGID_X_EN: 1
; COMPUTE_PGM_RSRC2:TGID_Y_EN: 0
; COMPUTE_PGM_RSRC2:TGID_Z_EN: 0
; COMPUTE_PGM_RSRC2:TIDIG_COMP_CNT: 0
	.section	.text._ZN7rocprim17ROCPRIM_400000_NS6detail17trampoline_kernelINS0_14default_configENS1_25partition_config_selectorILNS1_17partition_subalgoE5EsNS0_10empty_typeEbEEZZNS1_14partition_implILS5_5ELb0ES3_mN6thrust23THRUST_200600_302600_NS6detail15normal_iteratorINSA_10device_ptrIsEEEEPS6_NSA_18transform_iteratorINSB_9not_fun_tI7is_trueIsEEENSC_INSD_IbEEEENSA_11use_defaultESO_EENS0_5tupleIJSF_S6_EEENSQ_IJSG_SG_EEES6_PlJS6_EEE10hipError_tPvRmT3_T4_T5_T6_T7_T9_mT8_P12ihipStream_tbDpT10_ENKUlT_T0_E_clISt17integral_constantIbLb0EES1C_IbLb1EEEEDaS18_S19_EUlS18_E_NS1_11comp_targetILNS1_3genE2ELNS1_11target_archE906ELNS1_3gpuE6ELNS1_3repE0EEENS1_30default_config_static_selectorELNS0_4arch9wavefront6targetE0EEEvT1_,"axG",@progbits,_ZN7rocprim17ROCPRIM_400000_NS6detail17trampoline_kernelINS0_14default_configENS1_25partition_config_selectorILNS1_17partition_subalgoE5EsNS0_10empty_typeEbEEZZNS1_14partition_implILS5_5ELb0ES3_mN6thrust23THRUST_200600_302600_NS6detail15normal_iteratorINSA_10device_ptrIsEEEEPS6_NSA_18transform_iteratorINSB_9not_fun_tI7is_trueIsEEENSC_INSD_IbEEEENSA_11use_defaultESO_EENS0_5tupleIJSF_S6_EEENSQ_IJSG_SG_EEES6_PlJS6_EEE10hipError_tPvRmT3_T4_T5_T6_T7_T9_mT8_P12ihipStream_tbDpT10_ENKUlT_T0_E_clISt17integral_constantIbLb0EES1C_IbLb1EEEEDaS18_S19_EUlS18_E_NS1_11comp_targetILNS1_3genE2ELNS1_11target_archE906ELNS1_3gpuE6ELNS1_3repE0EEENS1_30default_config_static_selectorELNS0_4arch9wavefront6targetE0EEEvT1_,comdat
	.protected	_ZN7rocprim17ROCPRIM_400000_NS6detail17trampoline_kernelINS0_14default_configENS1_25partition_config_selectorILNS1_17partition_subalgoE5EsNS0_10empty_typeEbEEZZNS1_14partition_implILS5_5ELb0ES3_mN6thrust23THRUST_200600_302600_NS6detail15normal_iteratorINSA_10device_ptrIsEEEEPS6_NSA_18transform_iteratorINSB_9not_fun_tI7is_trueIsEEENSC_INSD_IbEEEENSA_11use_defaultESO_EENS0_5tupleIJSF_S6_EEENSQ_IJSG_SG_EEES6_PlJS6_EEE10hipError_tPvRmT3_T4_T5_T6_T7_T9_mT8_P12ihipStream_tbDpT10_ENKUlT_T0_E_clISt17integral_constantIbLb0EES1C_IbLb1EEEEDaS18_S19_EUlS18_E_NS1_11comp_targetILNS1_3genE2ELNS1_11target_archE906ELNS1_3gpuE6ELNS1_3repE0EEENS1_30default_config_static_selectorELNS0_4arch9wavefront6targetE0EEEvT1_ ; -- Begin function _ZN7rocprim17ROCPRIM_400000_NS6detail17trampoline_kernelINS0_14default_configENS1_25partition_config_selectorILNS1_17partition_subalgoE5EsNS0_10empty_typeEbEEZZNS1_14partition_implILS5_5ELb0ES3_mN6thrust23THRUST_200600_302600_NS6detail15normal_iteratorINSA_10device_ptrIsEEEEPS6_NSA_18transform_iteratorINSB_9not_fun_tI7is_trueIsEEENSC_INSD_IbEEEENSA_11use_defaultESO_EENS0_5tupleIJSF_S6_EEENSQ_IJSG_SG_EEES6_PlJS6_EEE10hipError_tPvRmT3_T4_T5_T6_T7_T9_mT8_P12ihipStream_tbDpT10_ENKUlT_T0_E_clISt17integral_constantIbLb0EES1C_IbLb1EEEEDaS18_S19_EUlS18_E_NS1_11comp_targetILNS1_3genE2ELNS1_11target_archE906ELNS1_3gpuE6ELNS1_3repE0EEENS1_30default_config_static_selectorELNS0_4arch9wavefront6targetE0EEEvT1_
	.globl	_ZN7rocprim17ROCPRIM_400000_NS6detail17trampoline_kernelINS0_14default_configENS1_25partition_config_selectorILNS1_17partition_subalgoE5EsNS0_10empty_typeEbEEZZNS1_14partition_implILS5_5ELb0ES3_mN6thrust23THRUST_200600_302600_NS6detail15normal_iteratorINSA_10device_ptrIsEEEEPS6_NSA_18transform_iteratorINSB_9not_fun_tI7is_trueIsEEENSC_INSD_IbEEEENSA_11use_defaultESO_EENS0_5tupleIJSF_S6_EEENSQ_IJSG_SG_EEES6_PlJS6_EEE10hipError_tPvRmT3_T4_T5_T6_T7_T9_mT8_P12ihipStream_tbDpT10_ENKUlT_T0_E_clISt17integral_constantIbLb0EES1C_IbLb1EEEEDaS18_S19_EUlS18_E_NS1_11comp_targetILNS1_3genE2ELNS1_11target_archE906ELNS1_3gpuE6ELNS1_3repE0EEENS1_30default_config_static_selectorELNS0_4arch9wavefront6targetE0EEEvT1_
	.p2align	8
	.type	_ZN7rocprim17ROCPRIM_400000_NS6detail17trampoline_kernelINS0_14default_configENS1_25partition_config_selectorILNS1_17partition_subalgoE5EsNS0_10empty_typeEbEEZZNS1_14partition_implILS5_5ELb0ES3_mN6thrust23THRUST_200600_302600_NS6detail15normal_iteratorINSA_10device_ptrIsEEEEPS6_NSA_18transform_iteratorINSB_9not_fun_tI7is_trueIsEEENSC_INSD_IbEEEENSA_11use_defaultESO_EENS0_5tupleIJSF_S6_EEENSQ_IJSG_SG_EEES6_PlJS6_EEE10hipError_tPvRmT3_T4_T5_T6_T7_T9_mT8_P12ihipStream_tbDpT10_ENKUlT_T0_E_clISt17integral_constantIbLb0EES1C_IbLb1EEEEDaS18_S19_EUlS18_E_NS1_11comp_targetILNS1_3genE2ELNS1_11target_archE906ELNS1_3gpuE6ELNS1_3repE0EEENS1_30default_config_static_selectorELNS0_4arch9wavefront6targetE0EEEvT1_,@function
_ZN7rocprim17ROCPRIM_400000_NS6detail17trampoline_kernelINS0_14default_configENS1_25partition_config_selectorILNS1_17partition_subalgoE5EsNS0_10empty_typeEbEEZZNS1_14partition_implILS5_5ELb0ES3_mN6thrust23THRUST_200600_302600_NS6detail15normal_iteratorINSA_10device_ptrIsEEEEPS6_NSA_18transform_iteratorINSB_9not_fun_tI7is_trueIsEEENSC_INSD_IbEEEENSA_11use_defaultESO_EENS0_5tupleIJSF_S6_EEENSQ_IJSG_SG_EEES6_PlJS6_EEE10hipError_tPvRmT3_T4_T5_T6_T7_T9_mT8_P12ihipStream_tbDpT10_ENKUlT_T0_E_clISt17integral_constantIbLb0EES1C_IbLb1EEEEDaS18_S19_EUlS18_E_NS1_11comp_targetILNS1_3genE2ELNS1_11target_archE906ELNS1_3gpuE6ELNS1_3repE0EEENS1_30default_config_static_selectorELNS0_4arch9wavefront6targetE0EEEvT1_: ; @_ZN7rocprim17ROCPRIM_400000_NS6detail17trampoline_kernelINS0_14default_configENS1_25partition_config_selectorILNS1_17partition_subalgoE5EsNS0_10empty_typeEbEEZZNS1_14partition_implILS5_5ELb0ES3_mN6thrust23THRUST_200600_302600_NS6detail15normal_iteratorINSA_10device_ptrIsEEEEPS6_NSA_18transform_iteratorINSB_9not_fun_tI7is_trueIsEEENSC_INSD_IbEEEENSA_11use_defaultESO_EENS0_5tupleIJSF_S6_EEENSQ_IJSG_SG_EEES6_PlJS6_EEE10hipError_tPvRmT3_T4_T5_T6_T7_T9_mT8_P12ihipStream_tbDpT10_ENKUlT_T0_E_clISt17integral_constantIbLb0EES1C_IbLb1EEEEDaS18_S19_EUlS18_E_NS1_11comp_targetILNS1_3genE2ELNS1_11target_archE906ELNS1_3gpuE6ELNS1_3repE0EEENS1_30default_config_static_selectorELNS0_4arch9wavefront6targetE0EEEvT1_
; %bb.0:
	.section	.rodata,"a",@progbits
	.p2align	6, 0x0
	.amdhsa_kernel _ZN7rocprim17ROCPRIM_400000_NS6detail17trampoline_kernelINS0_14default_configENS1_25partition_config_selectorILNS1_17partition_subalgoE5EsNS0_10empty_typeEbEEZZNS1_14partition_implILS5_5ELb0ES3_mN6thrust23THRUST_200600_302600_NS6detail15normal_iteratorINSA_10device_ptrIsEEEEPS6_NSA_18transform_iteratorINSB_9not_fun_tI7is_trueIsEEENSC_INSD_IbEEEENSA_11use_defaultESO_EENS0_5tupleIJSF_S6_EEENSQ_IJSG_SG_EEES6_PlJS6_EEE10hipError_tPvRmT3_T4_T5_T6_T7_T9_mT8_P12ihipStream_tbDpT10_ENKUlT_T0_E_clISt17integral_constantIbLb0EES1C_IbLb1EEEEDaS18_S19_EUlS18_E_NS1_11comp_targetILNS1_3genE2ELNS1_11target_archE906ELNS1_3gpuE6ELNS1_3repE0EEENS1_30default_config_static_selectorELNS0_4arch9wavefront6targetE0EEEvT1_
		.amdhsa_group_segment_fixed_size 0
		.amdhsa_private_segment_fixed_size 0
		.amdhsa_kernarg_size 136
		.amdhsa_user_sgpr_count 2
		.amdhsa_user_sgpr_dispatch_ptr 0
		.amdhsa_user_sgpr_queue_ptr 0
		.amdhsa_user_sgpr_kernarg_segment_ptr 1
		.amdhsa_user_sgpr_dispatch_id 0
		.amdhsa_user_sgpr_private_segment_size 0
		.amdhsa_wavefront_size32 1
		.amdhsa_uses_dynamic_stack 0
		.amdhsa_enable_private_segment 0
		.amdhsa_system_sgpr_workgroup_id_x 1
		.amdhsa_system_sgpr_workgroup_id_y 0
		.amdhsa_system_sgpr_workgroup_id_z 0
		.amdhsa_system_sgpr_workgroup_info 0
		.amdhsa_system_vgpr_workitem_id 0
		.amdhsa_next_free_vgpr 1
		.amdhsa_next_free_sgpr 1
		.amdhsa_reserve_vcc 0
		.amdhsa_float_round_mode_32 0
		.amdhsa_float_round_mode_16_64 0
		.amdhsa_float_denorm_mode_32 3
		.amdhsa_float_denorm_mode_16_64 3
		.amdhsa_fp16_overflow 0
		.amdhsa_workgroup_processor_mode 1
		.amdhsa_memory_ordered 1
		.amdhsa_forward_progress 1
		.amdhsa_inst_pref_size 0
		.amdhsa_round_robin_scheduling 0
		.amdhsa_exception_fp_ieee_invalid_op 0
		.amdhsa_exception_fp_denorm_src 0
		.amdhsa_exception_fp_ieee_div_zero 0
		.amdhsa_exception_fp_ieee_overflow 0
		.amdhsa_exception_fp_ieee_underflow 0
		.amdhsa_exception_fp_ieee_inexact 0
		.amdhsa_exception_int_div_zero 0
	.end_amdhsa_kernel
	.section	.text._ZN7rocprim17ROCPRIM_400000_NS6detail17trampoline_kernelINS0_14default_configENS1_25partition_config_selectorILNS1_17partition_subalgoE5EsNS0_10empty_typeEbEEZZNS1_14partition_implILS5_5ELb0ES3_mN6thrust23THRUST_200600_302600_NS6detail15normal_iteratorINSA_10device_ptrIsEEEEPS6_NSA_18transform_iteratorINSB_9not_fun_tI7is_trueIsEEENSC_INSD_IbEEEENSA_11use_defaultESO_EENS0_5tupleIJSF_S6_EEENSQ_IJSG_SG_EEES6_PlJS6_EEE10hipError_tPvRmT3_T4_T5_T6_T7_T9_mT8_P12ihipStream_tbDpT10_ENKUlT_T0_E_clISt17integral_constantIbLb0EES1C_IbLb1EEEEDaS18_S19_EUlS18_E_NS1_11comp_targetILNS1_3genE2ELNS1_11target_archE906ELNS1_3gpuE6ELNS1_3repE0EEENS1_30default_config_static_selectorELNS0_4arch9wavefront6targetE0EEEvT1_,"axG",@progbits,_ZN7rocprim17ROCPRIM_400000_NS6detail17trampoline_kernelINS0_14default_configENS1_25partition_config_selectorILNS1_17partition_subalgoE5EsNS0_10empty_typeEbEEZZNS1_14partition_implILS5_5ELb0ES3_mN6thrust23THRUST_200600_302600_NS6detail15normal_iteratorINSA_10device_ptrIsEEEEPS6_NSA_18transform_iteratorINSB_9not_fun_tI7is_trueIsEEENSC_INSD_IbEEEENSA_11use_defaultESO_EENS0_5tupleIJSF_S6_EEENSQ_IJSG_SG_EEES6_PlJS6_EEE10hipError_tPvRmT3_T4_T5_T6_T7_T9_mT8_P12ihipStream_tbDpT10_ENKUlT_T0_E_clISt17integral_constantIbLb0EES1C_IbLb1EEEEDaS18_S19_EUlS18_E_NS1_11comp_targetILNS1_3genE2ELNS1_11target_archE906ELNS1_3gpuE6ELNS1_3repE0EEENS1_30default_config_static_selectorELNS0_4arch9wavefront6targetE0EEEvT1_,comdat
.Lfunc_end2585:
	.size	_ZN7rocprim17ROCPRIM_400000_NS6detail17trampoline_kernelINS0_14default_configENS1_25partition_config_selectorILNS1_17partition_subalgoE5EsNS0_10empty_typeEbEEZZNS1_14partition_implILS5_5ELb0ES3_mN6thrust23THRUST_200600_302600_NS6detail15normal_iteratorINSA_10device_ptrIsEEEEPS6_NSA_18transform_iteratorINSB_9not_fun_tI7is_trueIsEEENSC_INSD_IbEEEENSA_11use_defaultESO_EENS0_5tupleIJSF_S6_EEENSQ_IJSG_SG_EEES6_PlJS6_EEE10hipError_tPvRmT3_T4_T5_T6_T7_T9_mT8_P12ihipStream_tbDpT10_ENKUlT_T0_E_clISt17integral_constantIbLb0EES1C_IbLb1EEEEDaS18_S19_EUlS18_E_NS1_11comp_targetILNS1_3genE2ELNS1_11target_archE906ELNS1_3gpuE6ELNS1_3repE0EEENS1_30default_config_static_selectorELNS0_4arch9wavefront6targetE0EEEvT1_, .Lfunc_end2585-_ZN7rocprim17ROCPRIM_400000_NS6detail17trampoline_kernelINS0_14default_configENS1_25partition_config_selectorILNS1_17partition_subalgoE5EsNS0_10empty_typeEbEEZZNS1_14partition_implILS5_5ELb0ES3_mN6thrust23THRUST_200600_302600_NS6detail15normal_iteratorINSA_10device_ptrIsEEEEPS6_NSA_18transform_iteratorINSB_9not_fun_tI7is_trueIsEEENSC_INSD_IbEEEENSA_11use_defaultESO_EENS0_5tupleIJSF_S6_EEENSQ_IJSG_SG_EEES6_PlJS6_EEE10hipError_tPvRmT3_T4_T5_T6_T7_T9_mT8_P12ihipStream_tbDpT10_ENKUlT_T0_E_clISt17integral_constantIbLb0EES1C_IbLb1EEEEDaS18_S19_EUlS18_E_NS1_11comp_targetILNS1_3genE2ELNS1_11target_archE906ELNS1_3gpuE6ELNS1_3repE0EEENS1_30default_config_static_selectorELNS0_4arch9wavefront6targetE0EEEvT1_
                                        ; -- End function
	.set _ZN7rocprim17ROCPRIM_400000_NS6detail17trampoline_kernelINS0_14default_configENS1_25partition_config_selectorILNS1_17partition_subalgoE5EsNS0_10empty_typeEbEEZZNS1_14partition_implILS5_5ELb0ES3_mN6thrust23THRUST_200600_302600_NS6detail15normal_iteratorINSA_10device_ptrIsEEEEPS6_NSA_18transform_iteratorINSB_9not_fun_tI7is_trueIsEEENSC_INSD_IbEEEENSA_11use_defaultESO_EENS0_5tupleIJSF_S6_EEENSQ_IJSG_SG_EEES6_PlJS6_EEE10hipError_tPvRmT3_T4_T5_T6_T7_T9_mT8_P12ihipStream_tbDpT10_ENKUlT_T0_E_clISt17integral_constantIbLb0EES1C_IbLb1EEEEDaS18_S19_EUlS18_E_NS1_11comp_targetILNS1_3genE2ELNS1_11target_archE906ELNS1_3gpuE6ELNS1_3repE0EEENS1_30default_config_static_selectorELNS0_4arch9wavefront6targetE0EEEvT1_.num_vgpr, 0
	.set _ZN7rocprim17ROCPRIM_400000_NS6detail17trampoline_kernelINS0_14default_configENS1_25partition_config_selectorILNS1_17partition_subalgoE5EsNS0_10empty_typeEbEEZZNS1_14partition_implILS5_5ELb0ES3_mN6thrust23THRUST_200600_302600_NS6detail15normal_iteratorINSA_10device_ptrIsEEEEPS6_NSA_18transform_iteratorINSB_9not_fun_tI7is_trueIsEEENSC_INSD_IbEEEENSA_11use_defaultESO_EENS0_5tupleIJSF_S6_EEENSQ_IJSG_SG_EEES6_PlJS6_EEE10hipError_tPvRmT3_T4_T5_T6_T7_T9_mT8_P12ihipStream_tbDpT10_ENKUlT_T0_E_clISt17integral_constantIbLb0EES1C_IbLb1EEEEDaS18_S19_EUlS18_E_NS1_11comp_targetILNS1_3genE2ELNS1_11target_archE906ELNS1_3gpuE6ELNS1_3repE0EEENS1_30default_config_static_selectorELNS0_4arch9wavefront6targetE0EEEvT1_.num_agpr, 0
	.set _ZN7rocprim17ROCPRIM_400000_NS6detail17trampoline_kernelINS0_14default_configENS1_25partition_config_selectorILNS1_17partition_subalgoE5EsNS0_10empty_typeEbEEZZNS1_14partition_implILS5_5ELb0ES3_mN6thrust23THRUST_200600_302600_NS6detail15normal_iteratorINSA_10device_ptrIsEEEEPS6_NSA_18transform_iteratorINSB_9not_fun_tI7is_trueIsEEENSC_INSD_IbEEEENSA_11use_defaultESO_EENS0_5tupleIJSF_S6_EEENSQ_IJSG_SG_EEES6_PlJS6_EEE10hipError_tPvRmT3_T4_T5_T6_T7_T9_mT8_P12ihipStream_tbDpT10_ENKUlT_T0_E_clISt17integral_constantIbLb0EES1C_IbLb1EEEEDaS18_S19_EUlS18_E_NS1_11comp_targetILNS1_3genE2ELNS1_11target_archE906ELNS1_3gpuE6ELNS1_3repE0EEENS1_30default_config_static_selectorELNS0_4arch9wavefront6targetE0EEEvT1_.numbered_sgpr, 0
	.set _ZN7rocprim17ROCPRIM_400000_NS6detail17trampoline_kernelINS0_14default_configENS1_25partition_config_selectorILNS1_17partition_subalgoE5EsNS0_10empty_typeEbEEZZNS1_14partition_implILS5_5ELb0ES3_mN6thrust23THRUST_200600_302600_NS6detail15normal_iteratorINSA_10device_ptrIsEEEEPS6_NSA_18transform_iteratorINSB_9not_fun_tI7is_trueIsEEENSC_INSD_IbEEEENSA_11use_defaultESO_EENS0_5tupleIJSF_S6_EEENSQ_IJSG_SG_EEES6_PlJS6_EEE10hipError_tPvRmT3_T4_T5_T6_T7_T9_mT8_P12ihipStream_tbDpT10_ENKUlT_T0_E_clISt17integral_constantIbLb0EES1C_IbLb1EEEEDaS18_S19_EUlS18_E_NS1_11comp_targetILNS1_3genE2ELNS1_11target_archE906ELNS1_3gpuE6ELNS1_3repE0EEENS1_30default_config_static_selectorELNS0_4arch9wavefront6targetE0EEEvT1_.num_named_barrier, 0
	.set _ZN7rocprim17ROCPRIM_400000_NS6detail17trampoline_kernelINS0_14default_configENS1_25partition_config_selectorILNS1_17partition_subalgoE5EsNS0_10empty_typeEbEEZZNS1_14partition_implILS5_5ELb0ES3_mN6thrust23THRUST_200600_302600_NS6detail15normal_iteratorINSA_10device_ptrIsEEEEPS6_NSA_18transform_iteratorINSB_9not_fun_tI7is_trueIsEEENSC_INSD_IbEEEENSA_11use_defaultESO_EENS0_5tupleIJSF_S6_EEENSQ_IJSG_SG_EEES6_PlJS6_EEE10hipError_tPvRmT3_T4_T5_T6_T7_T9_mT8_P12ihipStream_tbDpT10_ENKUlT_T0_E_clISt17integral_constantIbLb0EES1C_IbLb1EEEEDaS18_S19_EUlS18_E_NS1_11comp_targetILNS1_3genE2ELNS1_11target_archE906ELNS1_3gpuE6ELNS1_3repE0EEENS1_30default_config_static_selectorELNS0_4arch9wavefront6targetE0EEEvT1_.private_seg_size, 0
	.set _ZN7rocprim17ROCPRIM_400000_NS6detail17trampoline_kernelINS0_14default_configENS1_25partition_config_selectorILNS1_17partition_subalgoE5EsNS0_10empty_typeEbEEZZNS1_14partition_implILS5_5ELb0ES3_mN6thrust23THRUST_200600_302600_NS6detail15normal_iteratorINSA_10device_ptrIsEEEEPS6_NSA_18transform_iteratorINSB_9not_fun_tI7is_trueIsEEENSC_INSD_IbEEEENSA_11use_defaultESO_EENS0_5tupleIJSF_S6_EEENSQ_IJSG_SG_EEES6_PlJS6_EEE10hipError_tPvRmT3_T4_T5_T6_T7_T9_mT8_P12ihipStream_tbDpT10_ENKUlT_T0_E_clISt17integral_constantIbLb0EES1C_IbLb1EEEEDaS18_S19_EUlS18_E_NS1_11comp_targetILNS1_3genE2ELNS1_11target_archE906ELNS1_3gpuE6ELNS1_3repE0EEENS1_30default_config_static_selectorELNS0_4arch9wavefront6targetE0EEEvT1_.uses_vcc, 0
	.set _ZN7rocprim17ROCPRIM_400000_NS6detail17trampoline_kernelINS0_14default_configENS1_25partition_config_selectorILNS1_17partition_subalgoE5EsNS0_10empty_typeEbEEZZNS1_14partition_implILS5_5ELb0ES3_mN6thrust23THRUST_200600_302600_NS6detail15normal_iteratorINSA_10device_ptrIsEEEEPS6_NSA_18transform_iteratorINSB_9not_fun_tI7is_trueIsEEENSC_INSD_IbEEEENSA_11use_defaultESO_EENS0_5tupleIJSF_S6_EEENSQ_IJSG_SG_EEES6_PlJS6_EEE10hipError_tPvRmT3_T4_T5_T6_T7_T9_mT8_P12ihipStream_tbDpT10_ENKUlT_T0_E_clISt17integral_constantIbLb0EES1C_IbLb1EEEEDaS18_S19_EUlS18_E_NS1_11comp_targetILNS1_3genE2ELNS1_11target_archE906ELNS1_3gpuE6ELNS1_3repE0EEENS1_30default_config_static_selectorELNS0_4arch9wavefront6targetE0EEEvT1_.uses_flat_scratch, 0
	.set _ZN7rocprim17ROCPRIM_400000_NS6detail17trampoline_kernelINS0_14default_configENS1_25partition_config_selectorILNS1_17partition_subalgoE5EsNS0_10empty_typeEbEEZZNS1_14partition_implILS5_5ELb0ES3_mN6thrust23THRUST_200600_302600_NS6detail15normal_iteratorINSA_10device_ptrIsEEEEPS6_NSA_18transform_iteratorINSB_9not_fun_tI7is_trueIsEEENSC_INSD_IbEEEENSA_11use_defaultESO_EENS0_5tupleIJSF_S6_EEENSQ_IJSG_SG_EEES6_PlJS6_EEE10hipError_tPvRmT3_T4_T5_T6_T7_T9_mT8_P12ihipStream_tbDpT10_ENKUlT_T0_E_clISt17integral_constantIbLb0EES1C_IbLb1EEEEDaS18_S19_EUlS18_E_NS1_11comp_targetILNS1_3genE2ELNS1_11target_archE906ELNS1_3gpuE6ELNS1_3repE0EEENS1_30default_config_static_selectorELNS0_4arch9wavefront6targetE0EEEvT1_.has_dyn_sized_stack, 0
	.set _ZN7rocprim17ROCPRIM_400000_NS6detail17trampoline_kernelINS0_14default_configENS1_25partition_config_selectorILNS1_17partition_subalgoE5EsNS0_10empty_typeEbEEZZNS1_14partition_implILS5_5ELb0ES3_mN6thrust23THRUST_200600_302600_NS6detail15normal_iteratorINSA_10device_ptrIsEEEEPS6_NSA_18transform_iteratorINSB_9not_fun_tI7is_trueIsEEENSC_INSD_IbEEEENSA_11use_defaultESO_EENS0_5tupleIJSF_S6_EEENSQ_IJSG_SG_EEES6_PlJS6_EEE10hipError_tPvRmT3_T4_T5_T6_T7_T9_mT8_P12ihipStream_tbDpT10_ENKUlT_T0_E_clISt17integral_constantIbLb0EES1C_IbLb1EEEEDaS18_S19_EUlS18_E_NS1_11comp_targetILNS1_3genE2ELNS1_11target_archE906ELNS1_3gpuE6ELNS1_3repE0EEENS1_30default_config_static_selectorELNS0_4arch9wavefront6targetE0EEEvT1_.has_recursion, 0
	.set _ZN7rocprim17ROCPRIM_400000_NS6detail17trampoline_kernelINS0_14default_configENS1_25partition_config_selectorILNS1_17partition_subalgoE5EsNS0_10empty_typeEbEEZZNS1_14partition_implILS5_5ELb0ES3_mN6thrust23THRUST_200600_302600_NS6detail15normal_iteratorINSA_10device_ptrIsEEEEPS6_NSA_18transform_iteratorINSB_9not_fun_tI7is_trueIsEEENSC_INSD_IbEEEENSA_11use_defaultESO_EENS0_5tupleIJSF_S6_EEENSQ_IJSG_SG_EEES6_PlJS6_EEE10hipError_tPvRmT3_T4_T5_T6_T7_T9_mT8_P12ihipStream_tbDpT10_ENKUlT_T0_E_clISt17integral_constantIbLb0EES1C_IbLb1EEEEDaS18_S19_EUlS18_E_NS1_11comp_targetILNS1_3genE2ELNS1_11target_archE906ELNS1_3gpuE6ELNS1_3repE0EEENS1_30default_config_static_selectorELNS0_4arch9wavefront6targetE0EEEvT1_.has_indirect_call, 0
	.section	.AMDGPU.csdata,"",@progbits
; Kernel info:
; codeLenInByte = 0
; TotalNumSgprs: 0
; NumVgprs: 0
; ScratchSize: 0
; MemoryBound: 0
; FloatMode: 240
; IeeeMode: 1
; LDSByteSize: 0 bytes/workgroup (compile time only)
; SGPRBlocks: 0
; VGPRBlocks: 0
; NumSGPRsForWavesPerEU: 1
; NumVGPRsForWavesPerEU: 1
; Occupancy: 16
; WaveLimiterHint : 0
; COMPUTE_PGM_RSRC2:SCRATCH_EN: 0
; COMPUTE_PGM_RSRC2:USER_SGPR: 2
; COMPUTE_PGM_RSRC2:TRAP_HANDLER: 0
; COMPUTE_PGM_RSRC2:TGID_X_EN: 1
; COMPUTE_PGM_RSRC2:TGID_Y_EN: 0
; COMPUTE_PGM_RSRC2:TGID_Z_EN: 0
; COMPUTE_PGM_RSRC2:TIDIG_COMP_CNT: 0
	.section	.text._ZN7rocprim17ROCPRIM_400000_NS6detail17trampoline_kernelINS0_14default_configENS1_25partition_config_selectorILNS1_17partition_subalgoE5EsNS0_10empty_typeEbEEZZNS1_14partition_implILS5_5ELb0ES3_mN6thrust23THRUST_200600_302600_NS6detail15normal_iteratorINSA_10device_ptrIsEEEEPS6_NSA_18transform_iteratorINSB_9not_fun_tI7is_trueIsEEENSC_INSD_IbEEEENSA_11use_defaultESO_EENS0_5tupleIJSF_S6_EEENSQ_IJSG_SG_EEES6_PlJS6_EEE10hipError_tPvRmT3_T4_T5_T6_T7_T9_mT8_P12ihipStream_tbDpT10_ENKUlT_T0_E_clISt17integral_constantIbLb0EES1C_IbLb1EEEEDaS18_S19_EUlS18_E_NS1_11comp_targetILNS1_3genE10ELNS1_11target_archE1200ELNS1_3gpuE4ELNS1_3repE0EEENS1_30default_config_static_selectorELNS0_4arch9wavefront6targetE0EEEvT1_,"axG",@progbits,_ZN7rocprim17ROCPRIM_400000_NS6detail17trampoline_kernelINS0_14default_configENS1_25partition_config_selectorILNS1_17partition_subalgoE5EsNS0_10empty_typeEbEEZZNS1_14partition_implILS5_5ELb0ES3_mN6thrust23THRUST_200600_302600_NS6detail15normal_iteratorINSA_10device_ptrIsEEEEPS6_NSA_18transform_iteratorINSB_9not_fun_tI7is_trueIsEEENSC_INSD_IbEEEENSA_11use_defaultESO_EENS0_5tupleIJSF_S6_EEENSQ_IJSG_SG_EEES6_PlJS6_EEE10hipError_tPvRmT3_T4_T5_T6_T7_T9_mT8_P12ihipStream_tbDpT10_ENKUlT_T0_E_clISt17integral_constantIbLb0EES1C_IbLb1EEEEDaS18_S19_EUlS18_E_NS1_11comp_targetILNS1_3genE10ELNS1_11target_archE1200ELNS1_3gpuE4ELNS1_3repE0EEENS1_30default_config_static_selectorELNS0_4arch9wavefront6targetE0EEEvT1_,comdat
	.protected	_ZN7rocprim17ROCPRIM_400000_NS6detail17trampoline_kernelINS0_14default_configENS1_25partition_config_selectorILNS1_17partition_subalgoE5EsNS0_10empty_typeEbEEZZNS1_14partition_implILS5_5ELb0ES3_mN6thrust23THRUST_200600_302600_NS6detail15normal_iteratorINSA_10device_ptrIsEEEEPS6_NSA_18transform_iteratorINSB_9not_fun_tI7is_trueIsEEENSC_INSD_IbEEEENSA_11use_defaultESO_EENS0_5tupleIJSF_S6_EEENSQ_IJSG_SG_EEES6_PlJS6_EEE10hipError_tPvRmT3_T4_T5_T6_T7_T9_mT8_P12ihipStream_tbDpT10_ENKUlT_T0_E_clISt17integral_constantIbLb0EES1C_IbLb1EEEEDaS18_S19_EUlS18_E_NS1_11comp_targetILNS1_3genE10ELNS1_11target_archE1200ELNS1_3gpuE4ELNS1_3repE0EEENS1_30default_config_static_selectorELNS0_4arch9wavefront6targetE0EEEvT1_ ; -- Begin function _ZN7rocprim17ROCPRIM_400000_NS6detail17trampoline_kernelINS0_14default_configENS1_25partition_config_selectorILNS1_17partition_subalgoE5EsNS0_10empty_typeEbEEZZNS1_14partition_implILS5_5ELb0ES3_mN6thrust23THRUST_200600_302600_NS6detail15normal_iteratorINSA_10device_ptrIsEEEEPS6_NSA_18transform_iteratorINSB_9not_fun_tI7is_trueIsEEENSC_INSD_IbEEEENSA_11use_defaultESO_EENS0_5tupleIJSF_S6_EEENSQ_IJSG_SG_EEES6_PlJS6_EEE10hipError_tPvRmT3_T4_T5_T6_T7_T9_mT8_P12ihipStream_tbDpT10_ENKUlT_T0_E_clISt17integral_constantIbLb0EES1C_IbLb1EEEEDaS18_S19_EUlS18_E_NS1_11comp_targetILNS1_3genE10ELNS1_11target_archE1200ELNS1_3gpuE4ELNS1_3repE0EEENS1_30default_config_static_selectorELNS0_4arch9wavefront6targetE0EEEvT1_
	.globl	_ZN7rocprim17ROCPRIM_400000_NS6detail17trampoline_kernelINS0_14default_configENS1_25partition_config_selectorILNS1_17partition_subalgoE5EsNS0_10empty_typeEbEEZZNS1_14partition_implILS5_5ELb0ES3_mN6thrust23THRUST_200600_302600_NS6detail15normal_iteratorINSA_10device_ptrIsEEEEPS6_NSA_18transform_iteratorINSB_9not_fun_tI7is_trueIsEEENSC_INSD_IbEEEENSA_11use_defaultESO_EENS0_5tupleIJSF_S6_EEENSQ_IJSG_SG_EEES6_PlJS6_EEE10hipError_tPvRmT3_T4_T5_T6_T7_T9_mT8_P12ihipStream_tbDpT10_ENKUlT_T0_E_clISt17integral_constantIbLb0EES1C_IbLb1EEEEDaS18_S19_EUlS18_E_NS1_11comp_targetILNS1_3genE10ELNS1_11target_archE1200ELNS1_3gpuE4ELNS1_3repE0EEENS1_30default_config_static_selectorELNS0_4arch9wavefront6targetE0EEEvT1_
	.p2align	8
	.type	_ZN7rocprim17ROCPRIM_400000_NS6detail17trampoline_kernelINS0_14default_configENS1_25partition_config_selectorILNS1_17partition_subalgoE5EsNS0_10empty_typeEbEEZZNS1_14partition_implILS5_5ELb0ES3_mN6thrust23THRUST_200600_302600_NS6detail15normal_iteratorINSA_10device_ptrIsEEEEPS6_NSA_18transform_iteratorINSB_9not_fun_tI7is_trueIsEEENSC_INSD_IbEEEENSA_11use_defaultESO_EENS0_5tupleIJSF_S6_EEENSQ_IJSG_SG_EEES6_PlJS6_EEE10hipError_tPvRmT3_T4_T5_T6_T7_T9_mT8_P12ihipStream_tbDpT10_ENKUlT_T0_E_clISt17integral_constantIbLb0EES1C_IbLb1EEEEDaS18_S19_EUlS18_E_NS1_11comp_targetILNS1_3genE10ELNS1_11target_archE1200ELNS1_3gpuE4ELNS1_3repE0EEENS1_30default_config_static_selectorELNS0_4arch9wavefront6targetE0EEEvT1_,@function
_ZN7rocprim17ROCPRIM_400000_NS6detail17trampoline_kernelINS0_14default_configENS1_25partition_config_selectorILNS1_17partition_subalgoE5EsNS0_10empty_typeEbEEZZNS1_14partition_implILS5_5ELb0ES3_mN6thrust23THRUST_200600_302600_NS6detail15normal_iteratorINSA_10device_ptrIsEEEEPS6_NSA_18transform_iteratorINSB_9not_fun_tI7is_trueIsEEENSC_INSD_IbEEEENSA_11use_defaultESO_EENS0_5tupleIJSF_S6_EEENSQ_IJSG_SG_EEES6_PlJS6_EEE10hipError_tPvRmT3_T4_T5_T6_T7_T9_mT8_P12ihipStream_tbDpT10_ENKUlT_T0_E_clISt17integral_constantIbLb0EES1C_IbLb1EEEEDaS18_S19_EUlS18_E_NS1_11comp_targetILNS1_3genE10ELNS1_11target_archE1200ELNS1_3gpuE4ELNS1_3repE0EEENS1_30default_config_static_selectorELNS0_4arch9wavefront6targetE0EEEvT1_: ; @_ZN7rocprim17ROCPRIM_400000_NS6detail17trampoline_kernelINS0_14default_configENS1_25partition_config_selectorILNS1_17partition_subalgoE5EsNS0_10empty_typeEbEEZZNS1_14partition_implILS5_5ELb0ES3_mN6thrust23THRUST_200600_302600_NS6detail15normal_iteratorINSA_10device_ptrIsEEEEPS6_NSA_18transform_iteratorINSB_9not_fun_tI7is_trueIsEEENSC_INSD_IbEEEENSA_11use_defaultESO_EENS0_5tupleIJSF_S6_EEENSQ_IJSG_SG_EEES6_PlJS6_EEE10hipError_tPvRmT3_T4_T5_T6_T7_T9_mT8_P12ihipStream_tbDpT10_ENKUlT_T0_E_clISt17integral_constantIbLb0EES1C_IbLb1EEEEDaS18_S19_EUlS18_E_NS1_11comp_targetILNS1_3genE10ELNS1_11target_archE1200ELNS1_3gpuE4ELNS1_3repE0EEENS1_30default_config_static_selectorELNS0_4arch9wavefront6targetE0EEEvT1_
; %bb.0:
	s_clause 0x3
	s_load_b64 s[12:13], s[0:1], 0x30
	s_load_b128 s[4:7], s[0:1], 0x48
	s_load_b64 s[18:19], s[0:1], 0x58
	s_load_b64 s[14:15], s[0:1], 0x68
	v_cmp_eq_u32_e64 s2, 0, v0
	s_and_saveexec_b32 s3, s2
	s_cbranch_execz .LBB2586_4
; %bb.1:
	s_mov_b32 s9, exec_lo
	s_mov_b32 s8, exec_lo
	v_mbcnt_lo_u32_b32 v1, s9, 0
                                        ; implicit-def: $vgpr2
	s_delay_alu instid0(VALU_DEP_1)
	v_cmpx_eq_u32_e32 0, v1
	s_cbranch_execz .LBB2586_3
; %bb.2:
	s_load_b64 s[10:11], s[0:1], 0x78
	s_bcnt1_i32_b32 s9, s9
	s_wait_alu 0xfffe
	v_dual_mov_b32 v2, 0 :: v_dual_mov_b32 v3, s9
	s_wait_kmcnt 0x0
	global_atomic_add_u32 v2, v2, v3, s[10:11] th:TH_ATOMIC_RETURN scope:SCOPE_DEV
.LBB2586_3:
	s_or_b32 exec_lo, exec_lo, s8
	s_wait_loadcnt 0x0
	v_readfirstlane_b32 s8, v2
	s_wait_alu 0xf1ff
	s_delay_alu instid0(VALU_DEP_1)
	v_dual_mov_b32 v2, 0 :: v_dual_add_nc_u32 v1, s8, v1
	ds_store_b32 v2, v1
.LBB2586_4:
	s_or_b32 exec_lo, exec_lo, s3
	v_mov_b32_e32 v1, 0
	s_clause 0x2
	s_load_b128 s[8:11], s[0:1], 0x8
	s_load_b64 s[16:17], s[0:1], 0x20
	s_load_b32 s0, s[0:1], 0x70
	s_wait_dscnt 0x0
	s_barrier_signal -1
	s_barrier_wait -1
	global_inv scope:SCOPE_SE
	ds_load_b32 v2, v1
	s_wait_loadcnt_dscnt 0x0
	s_barrier_signal -1
	s_barrier_wait -1
	global_inv scope:SCOPE_SE
	s_wait_kmcnt 0x0
	global_load_b64 v[41:42], v1, s[6:7]
	v_lshlrev_b32_e32 v9, 1, v0
	s_lshl_b64 s[6:7], s[10:11], 1
	s_delay_alu instid0(SALU_CYCLE_1)
	s_add_nc_u64 s[8:9], s[8:9], s[6:7]
	s_mul_i32 s6, s0, 0xc00
	s_mov_b32 s7, 0
	s_add_co_i32 s3, s6, s10
	s_add_co_i32 s21, s0, -1
	v_readfirstlane_b32 s20, v2
	s_add_nc_u64 s[0:1], s[10:11], s[6:7]
	s_sub_co_i32 s3, s18, s3
	v_cmp_le_u64_e64 s0, s[18:19], s[0:1]
	s_addk_co_i32 s3, 0xc00
	s_cmp_eq_u32 s20, s21
	s_mul_i32 s6, s20, 0xc00
	s_cselect_b32 s18, -1, 0
	s_lshl_b64 s[22:23], s[6:7], 1
	s_wait_alu 0xfffe
	s_and_b32 s0, s0, s18
	s_mov_b32 s1, -1
	s_wait_alu 0xfffe
	s_xor_b32 s19, s0, -1
	s_add_nc_u64 s[8:9], s[8:9], s[22:23]
	s_wait_alu 0xfffe
	s_and_b32 vcc_lo, exec_lo, s19
	s_cbranch_vccz .LBB2586_6
; %bb.5:
	v_add_co_u32 v1, s0, s8, v9
	s_wait_alu 0xf1ff
	v_add_co_ci_u32_e64 v2, null, s9, 0, s0
	s_mov_b32 s1, s7
	s_clause 0xb
	flat_load_u16 v3, v[1:2]
	flat_load_u16 v4, v[1:2] offset:512
	flat_load_u16 v5, v[1:2] offset:1024
	;; [unrolled: 1-line block ×11, first 2 shown]
	s_wait_loadcnt_dscnt 0xb0b
	ds_store_b16 v9, v3
	s_wait_loadcnt_dscnt 0xa0b
	ds_store_b16 v9, v4 offset:512
	s_wait_loadcnt_dscnt 0x90b
	ds_store_b16 v9, v5 offset:1024
	;; [unrolled: 2-line block ×11, first 2 shown]
	s_wait_dscnt 0x0
	s_barrier_signal -1
	s_barrier_wait -1
.LBB2586_6:
	v_cmp_gt_u32_e64 s0, s3, v0
	s_wait_alu 0xfffe
	s_and_not1_b32 vcc_lo, exec_lo, s1
	s_cbranch_vccnz .LBB2586_32
; %bb.7:
	v_mov_b32_e32 v1, 0
	s_delay_alu instid0(VALU_DEP_1)
	v_dual_mov_b32 v2, v1 :: v_dual_mov_b32 v3, v1
	v_dual_mov_b32 v4, v1 :: v_dual_mov_b32 v5, v1
	v_mov_b32_e32 v6, v1
	s_and_saveexec_b32 s1, s0
	s_cbranch_execz .LBB2586_9
; %bb.8:
	v_add_co_u32 v3, s0, s8, v9
	s_wait_alu 0xf1ff
	v_add_co_ci_u32_e64 v4, null, s9, 0, s0
	v_mov_b32_e32 v2, v1
	v_dual_mov_b32 v6, v1 :: v_dual_mov_b32 v7, v1
	v_mov_b32_e32 v5, v1
	flat_load_d16_b16 v2, v[3:4]
	v_dual_mov_b32 v3, v1 :: v_dual_mov_b32 v4, v1
	s_wait_loadcnt_dscnt 0x0
	v_mov_b32_e32 v1, v2
	s_delay_alu instid0(VALU_DEP_2) | instskip(NEXT) | instid1(VALU_DEP_3)
	v_mov_b32_e32 v2, v3
	v_mov_b32_e32 v3, v4
	;; [unrolled: 1-line block ×7, first 2 shown]
.LBB2586_9:
	s_wait_alu 0xfffe
	s_or_b32 exec_lo, exec_lo, s1
	v_or_b32_e32 v7, 0x100, v0
	s_mov_b32 s0, exec_lo
	s_delay_alu instid0(VALU_DEP_1)
	v_cmpx_gt_u32_e64 s3, v7
	s_cbranch_execz .LBB2586_11
; %bb.10:
	v_add_co_u32 v7, s1, s8, v9
	s_wait_alu 0xf1ff
	v_add_co_ci_u32_e64 v8, null, s9, 0, s1
	flat_load_d16_hi_b16 v1, v[7:8] offset:512
.LBB2586_11:
	s_wait_alu 0xfffe
	s_or_b32 exec_lo, exec_lo, s0
	v_or_b32_e32 v7, 0x200, v0
	s_mov_b32 s0, exec_lo
	s_delay_alu instid0(VALU_DEP_1)
	v_cmpx_gt_u32_e64 s3, v7
	s_cbranch_execz .LBB2586_13
; %bb.12:
	v_add_co_u32 v7, s1, s8, v9
	s_wait_alu 0xf1ff
	v_add_co_ci_u32_e64 v8, null, s9, 0, s1
	flat_load_d16_b16 v2, v[7:8] offset:1024
.LBB2586_13:
	s_wait_alu 0xfffe
	s_or_b32 exec_lo, exec_lo, s0
	v_or_b32_e32 v7, 0x300, v0
	s_mov_b32 s0, exec_lo
	s_delay_alu instid0(VALU_DEP_1)
	v_cmpx_gt_u32_e64 s3, v7
	s_cbranch_execz .LBB2586_15
; %bb.14:
	v_add_co_u32 v7, s1, s8, v9
	s_wait_alu 0xf1ff
	v_add_co_ci_u32_e64 v8, null, s9, 0, s1
	s_wait_loadcnt_dscnt 0x0
	flat_load_d16_hi_b16 v2, v[7:8] offset:1536
.LBB2586_15:
	s_wait_alu 0xfffe
	s_or_b32 exec_lo, exec_lo, s0
	v_or_b32_e32 v7, 0x400, v0
	s_mov_b32 s0, exec_lo
	s_delay_alu instid0(VALU_DEP_1)
	v_cmpx_gt_u32_e64 s3, v7
	s_cbranch_execz .LBB2586_17
; %bb.16:
	v_add_co_u32 v7, s1, s8, v9
	s_wait_alu 0xf1ff
	v_add_co_ci_u32_e64 v8, null, s9, 0, s1
	flat_load_d16_b16 v3, v[7:8] offset:2048
.LBB2586_17:
	s_wait_alu 0xfffe
	s_or_b32 exec_lo, exec_lo, s0
	v_or_b32_e32 v7, 0x500, v0
	s_mov_b32 s0, exec_lo
	s_delay_alu instid0(VALU_DEP_1)
	v_cmpx_gt_u32_e64 s3, v7
	s_cbranch_execz .LBB2586_19
; %bb.18:
	v_add_co_u32 v7, s1, s8, v9
	s_wait_alu 0xf1ff
	v_add_co_ci_u32_e64 v8, null, s9, 0, s1
	s_wait_loadcnt_dscnt 0x0
	flat_load_d16_hi_b16 v3, v[7:8] offset:2560
.LBB2586_19:
	;; [unrolled: 27-line block ×5, first 2 shown]
	s_wait_alu 0xfffe
	s_or_b32 exec_lo, exec_lo, s0
	s_wait_loadcnt_dscnt 0x0
	ds_store_b16 v9, v1
	ds_store_b16_d16_hi v9, v1 offset:512
	ds_store_b16 v9, v2 offset:1024
	ds_store_b16_d16_hi v9, v2 offset:1536
	ds_store_b16 v9, v3 offset:2048
	;; [unrolled: 2-line block ×5, first 2 shown]
	ds_store_b16_d16_hi v9, v6 offset:5632
	s_wait_dscnt 0x0
	s_barrier_signal -1
	s_barrier_wait -1
.LBB2586_32:
	v_mul_u32_u24_e32 v53, 12, v0
	s_wait_loadcnt 0x0
	global_inv scope:SCOPE_SE
	s_add_nc_u64 s[0:1], s[16:17], s[10:11]
	s_and_b32 vcc_lo, exec_lo, s19
	s_wait_alu 0xfffe
	s_add_nc_u64 s[0:1], s[0:1], s[6:7]
	v_lshlrev_b32_e32 v1, 1, v53
	s_mov_b32 s6, -1
	ds_load_2addr_b64 v[33:36], v1 offset1:1
	ds_load_b64 v[43:44], v1 offset:16
	s_wait_loadcnt_dscnt 0x0
	s_barrier_signal -1
	s_barrier_wait -1
	global_inv scope:SCOPE_SE
	s_cbranch_vccz .LBB2586_34
; %bb.33:
	s_clause 0xb
	global_load_u8 v1, v0, s[0:1]
	global_load_u8 v2, v0, s[0:1] offset:256
	global_load_u8 v3, v0, s[0:1] offset:512
	;; [unrolled: 1-line block ×11, first 2 shown]
	s_mov_b32 s6, 0
	s_wait_loadcnt 0xb
	v_xor_b32_e32 v1, 1, v1
	s_wait_loadcnt 0xa
	v_xor_b32_e32 v2, 1, v2
	;; [unrolled: 2-line block ×12, first 2 shown]
	ds_store_b8 v0, v1
	ds_store_b8 v0, v2 offset:256
	ds_store_b8 v0, v3 offset:512
	;; [unrolled: 1-line block ×11, first 2 shown]
	s_wait_dscnt 0x0
	s_barrier_signal -1
	s_barrier_wait -1
.LBB2586_34:
	s_and_not1_b32 vcc_lo, exec_lo, s6
	s_cbranch_vccnz .LBB2586_60
; %bb.35:
	v_mov_b32_e32 v3, 0
	s_mov_b32 s6, exec_lo
	s_delay_alu instid0(VALU_DEP_1)
	v_dual_mov_b32 v1, v3 :: v_dual_mov_b32 v2, v3
	v_mov_b32_e32 v4, v3
	v_cmpx_gt_u32_e64 s3, v0
	s_cbranch_execz .LBB2586_37
; %bb.36:
	global_load_u8 v1, v0, s[0:1]
	s_wait_loadcnt 0x0
	v_xor_b32_e32 v4, 1, v1
	s_delay_alu instid0(VALU_DEP_1) | instskip(NEXT) | instid1(VALU_DEP_1)
	v_dual_mov_b32 v1, 0 :: v_dual_and_b32 v2, 1, v4
	v_dual_mov_b32 v2, v1 :: v_dual_and_b32 v3, 0xffff, v2
.LBB2586_37:
	s_or_b32 exec_lo, exec_lo, s6
	v_or_b32_e32 v5, 0x100, v0
	s_mov_b32 s6, exec_lo
	s_delay_alu instid0(VALU_DEP_1)
	v_cmpx_gt_u32_e64 s3, v5
	s_cbranch_execz .LBB2586_39
; %bb.38:
	global_load_u8 v5, v0, s[0:1] offset:256
	v_and_b32_e32 v6, 0xff, v3
	s_wait_loadcnt 0x0
	v_xor_b32_e32 v5, 1, v5
	s_delay_alu instid0(VALU_DEP_1) | instskip(NEXT) | instid1(VALU_DEP_1)
	v_lshlrev_b16 v5, 8, v5
	v_or_b32_e32 v5, v6, v5
	s_delay_alu instid0(VALU_DEP_1) | instskip(NEXT) | instid1(VALU_DEP_1)
	v_and_b32_e32 v5, 0xffff, v5
	v_and_or_b32 v3, 0xffff0000, v3, v5
.LBB2586_39:
	s_or_b32 exec_lo, exec_lo, s6
	v_or_b32_e32 v5, 0x200, v0
	s_mov_b32 s6, exec_lo
	s_delay_alu instid0(VALU_DEP_1)
	v_cmpx_gt_u32_e64 s3, v5
	s_cbranch_execz .LBB2586_41
; %bb.40:
	global_load_u8 v5, v0, s[0:1] offset:512
	v_lshrrev_b32_e32 v6, 16, v3
	s_delay_alu instid0(VALU_DEP_1) | instskip(SKIP_2) | instid1(VALU_DEP_1)
	v_and_b32_e32 v6, 0xffffff00, v6
	s_wait_loadcnt 0x0
	v_xor_b32_e32 v5, 1, v5
	v_or_b32_e32 v5, v5, v6
	s_delay_alu instid0(VALU_DEP_1) | instskip(NEXT) | instid1(VALU_DEP_1)
	v_lshlrev_b32_e32 v5, 16, v5
	v_and_or_b32 v3, 0xffff, v3, v5
.LBB2586_41:
	s_or_b32 exec_lo, exec_lo, s6
	v_or_b32_e32 v5, 0x300, v0
	s_mov_b32 s6, exec_lo
	s_delay_alu instid0(VALU_DEP_1)
	v_cmpx_gt_u32_e64 s3, v5
	s_cbranch_execz .LBB2586_43
; %bb.42:
	global_load_u8 v5, v0, s[0:1] offset:768
	v_lshrrev_b32_e32 v6, 16, v3
	s_delay_alu instid0(VALU_DEP_1) | instskip(SKIP_2) | instid1(VALU_DEP_1)
	v_and_b32_e32 v6, 0xff, v6
	s_wait_loadcnt 0x0
	v_xor_b32_e32 v5, 1, v5
	v_lshlrev_b16 v5, 8, v5
	s_delay_alu instid0(VALU_DEP_1) | instskip(NEXT) | instid1(VALU_DEP_1)
	v_or_b32_e32 v5, v6, v5
	v_lshlrev_b32_e32 v5, 16, v5
	s_delay_alu instid0(VALU_DEP_1)
	v_and_or_b32 v3, 0xffff, v3, v5
.LBB2586_43:
	s_or_b32 exec_lo, exec_lo, s6
	v_or_b32_e32 v5, 0x400, v0
	s_mov_b32 s6, exec_lo
	s_delay_alu instid0(VALU_DEP_1)
	v_cmpx_gt_u32_e64 s3, v5
	s_cbranch_execz .LBB2586_45
; %bb.44:
	global_load_u8 v5, v0, s[0:1] offset:1024
	v_and_b32_e32 v6, 0xffffff00, v1
	s_wait_loadcnt 0x0
	v_xor_b32_e32 v5, 1, v5
	s_delay_alu instid0(VALU_DEP_1) | instskip(NEXT) | instid1(VALU_DEP_1)
	v_or_b32_e32 v5, v5, v6
	v_and_b32_e32 v5, 0xffff, v5
	s_delay_alu instid0(VALU_DEP_1)
	v_and_or_b32 v1, 0xffff0000, v1, v5
.LBB2586_45:
	s_or_b32 exec_lo, exec_lo, s6
	v_or_b32_e32 v5, 0x500, v0
	s_mov_b32 s6, exec_lo
	s_delay_alu instid0(VALU_DEP_1)
	v_cmpx_gt_u32_e64 s3, v5
	s_cbranch_execz .LBB2586_47
; %bb.46:
	global_load_u8 v5, v0, s[0:1] offset:1280
	v_and_b32_e32 v6, 0xff, v1
	s_wait_loadcnt 0x0
	v_xor_b32_e32 v5, 1, v5
	s_delay_alu instid0(VALU_DEP_1) | instskip(NEXT) | instid1(VALU_DEP_1)
	v_lshlrev_b16 v5, 8, v5
	v_or_b32_e32 v5, v6, v5
	s_delay_alu instid0(VALU_DEP_1) | instskip(NEXT) | instid1(VALU_DEP_1)
	v_and_b32_e32 v5, 0xffff, v5
	v_and_or_b32 v1, 0xffff0000, v1, v5
.LBB2586_47:
	s_or_b32 exec_lo, exec_lo, s6
	v_or_b32_e32 v5, 0x600, v0
	s_mov_b32 s6, exec_lo
	s_delay_alu instid0(VALU_DEP_1)
	v_cmpx_gt_u32_e64 s3, v5
	s_cbranch_execz .LBB2586_49
; %bb.48:
	global_load_u8 v5, v0, s[0:1] offset:1536
	v_lshrrev_b32_e32 v6, 16, v1
	s_delay_alu instid0(VALU_DEP_1) | instskip(SKIP_2) | instid1(VALU_DEP_1)
	v_and_b32_e32 v6, 0xffffff00, v6
	s_wait_loadcnt 0x0
	v_xor_b32_e32 v5, 1, v5
	v_or_b32_e32 v5, v5, v6
	s_delay_alu instid0(VALU_DEP_1) | instskip(NEXT) | instid1(VALU_DEP_1)
	v_lshlrev_b32_e32 v5, 16, v5
	v_and_or_b32 v1, 0xffff, v1, v5
.LBB2586_49:
	s_or_b32 exec_lo, exec_lo, s6
	v_or_b32_e32 v5, 0x700, v0
	s_mov_b32 s6, exec_lo
	s_delay_alu instid0(VALU_DEP_1)
	v_cmpx_gt_u32_e64 s3, v5
	s_cbranch_execz .LBB2586_51
; %bb.50:
	global_load_u8 v5, v0, s[0:1] offset:1792
	v_lshrrev_b32_e32 v6, 16, v1
	s_delay_alu instid0(VALU_DEP_1) | instskip(SKIP_2) | instid1(VALU_DEP_1)
	v_and_b32_e32 v6, 0xff, v6
	s_wait_loadcnt 0x0
	v_xor_b32_e32 v5, 1, v5
	v_lshlrev_b16 v5, 8, v5
	s_delay_alu instid0(VALU_DEP_1) | instskip(NEXT) | instid1(VALU_DEP_1)
	v_or_b32_e32 v5, v6, v5
	v_lshlrev_b32_e32 v5, 16, v5
	s_delay_alu instid0(VALU_DEP_1)
	v_and_or_b32 v1, 0xffff, v1, v5
.LBB2586_51:
	s_or_b32 exec_lo, exec_lo, s6
	v_or_b32_e32 v5, 0x800, v0
	s_mov_b32 s6, exec_lo
	s_delay_alu instid0(VALU_DEP_1)
	v_cmpx_gt_u32_e64 s3, v5
	s_cbranch_execz .LBB2586_53
; %bb.52:
	global_load_u8 v5, v0, s[0:1] offset:2048
	v_and_b32_e32 v6, 0xffffff00, v2
	s_wait_loadcnt 0x0
	v_xor_b32_e32 v5, 1, v5
	s_delay_alu instid0(VALU_DEP_1) | instskip(NEXT) | instid1(VALU_DEP_1)
	v_or_b32_e32 v5, v5, v6
	v_and_b32_e32 v5, 0xffff, v5
	s_delay_alu instid0(VALU_DEP_1)
	v_and_or_b32 v2, 0xffff0000, v2, v5
.LBB2586_53:
	s_or_b32 exec_lo, exec_lo, s6
	v_or_b32_e32 v5, 0x900, v0
	s_mov_b32 s6, exec_lo
	s_delay_alu instid0(VALU_DEP_1)
	v_cmpx_gt_u32_e64 s3, v5
	s_cbranch_execz .LBB2586_55
; %bb.54:
	global_load_u8 v5, v0, s[0:1] offset:2304
	v_and_b32_e32 v6, 0xff, v2
	s_wait_loadcnt 0x0
	v_xor_b32_e32 v5, 1, v5
	s_delay_alu instid0(VALU_DEP_1) | instskip(NEXT) | instid1(VALU_DEP_1)
	v_lshlrev_b16 v5, 8, v5
	v_or_b32_e32 v5, v6, v5
	s_delay_alu instid0(VALU_DEP_1) | instskip(NEXT) | instid1(VALU_DEP_1)
	v_and_b32_e32 v5, 0xffff, v5
	v_and_or_b32 v2, 0xffff0000, v2, v5
.LBB2586_55:
	s_or_b32 exec_lo, exec_lo, s6
	v_or_b32_e32 v5, 0xa00, v0
	s_mov_b32 s6, exec_lo
	s_delay_alu instid0(VALU_DEP_1)
	v_cmpx_gt_u32_e64 s3, v5
	s_cbranch_execz .LBB2586_57
; %bb.56:
	global_load_u8 v5, v0, s[0:1] offset:2560
	v_lshrrev_b32_e32 v6, 16, v2
	s_delay_alu instid0(VALU_DEP_1) | instskip(SKIP_2) | instid1(VALU_DEP_1)
	v_and_b32_e32 v6, 0xffffff00, v6
	s_wait_loadcnt 0x0
	v_xor_b32_e32 v5, 1, v5
	v_or_b32_e32 v5, v5, v6
	s_delay_alu instid0(VALU_DEP_1) | instskip(NEXT) | instid1(VALU_DEP_1)
	v_lshlrev_b32_e32 v5, 16, v5
	v_and_or_b32 v2, 0xffff, v2, v5
.LBB2586_57:
	s_or_b32 exec_lo, exec_lo, s6
	v_or_b32_e32 v5, 0xb00, v0
	s_delay_alu instid0(VALU_DEP_1)
	v_cmp_gt_u32_e32 vcc_lo, s3, v5
	s_and_saveexec_b32 s3, vcc_lo
	s_cbranch_execz .LBB2586_59
; %bb.58:
	global_load_u8 v5, v0, s[0:1] offset:2816
	v_lshrrev_b32_e32 v6, 16, v2
	s_delay_alu instid0(VALU_DEP_1) | instskip(SKIP_2) | instid1(VALU_DEP_1)
	v_and_b32_e32 v6, 0xff, v6
	s_wait_loadcnt 0x0
	v_xor_b32_e32 v5, 1, v5
	v_lshlrev_b16 v5, 8, v5
	s_delay_alu instid0(VALU_DEP_1) | instskip(NEXT) | instid1(VALU_DEP_1)
	v_or_b32_e32 v5, v6, v5
	v_lshlrev_b32_e32 v5, 16, v5
	s_delay_alu instid0(VALU_DEP_1)
	v_and_or_b32 v2, 0xffff, v2, v5
.LBB2586_59:
	s_wait_alu 0xfffe
	s_or_b32 exec_lo, exec_lo, s3
	v_lshrrev_b32_e32 v5, 8, v3
	v_lshrrev_b32_e32 v6, 24, v3
	;; [unrolled: 1-line block ×6, first 2 shown]
	ds_store_b8 v0, v4
	ds_store_b8 v0, v5 offset:256
	ds_store_b8_d16_hi v0, v3 offset:512
	ds_store_b8 v0, v6 offset:768
	ds_store_b8 v0, v1 offset:1024
	;; [unrolled: 1-line block ×3, first 2 shown]
	ds_store_b8_d16_hi v0, v1 offset:1536
	ds_store_b8 v0, v8 offset:1792
	ds_store_b8 v0, v2 offset:2048
	;; [unrolled: 1-line block ×3, first 2 shown]
	ds_store_b8_d16_hi v0, v2 offset:2560
	ds_store_b8 v0, v10 offset:2816
	s_wait_loadcnt_dscnt 0x0
	s_barrier_signal -1
	s_barrier_wait -1
.LBB2586_60:
	s_wait_loadcnt 0x0
	global_inv scope:SCOPE_SE
	ds_load_2addr_b32 v[45:46], v53 offset1:1
	ds_load_b32 v49, v53 offset:8
	v_mbcnt_lo_u32_b32 v63, -1, 0
	s_cmp_lg_u32 s20, 0
	s_mov_b32 s1, -1
	s_wait_loadcnt_dscnt 0x0
	s_barrier_signal -1
	v_and_b32_e32 v64, 15, v63
	s_barrier_wait -1
	global_inv scope:SCOPE_SE
	v_dual_mov_b32 v2, 0 :: v_dual_and_b32 v55, 0xff, v45
	v_bfe_u32 v56, v45, 8, 8
	v_bfe_u32 v54, v45, 16, 8
	v_lshrrev_b32_e32 v52, 24, v45
	v_and_b32_e32 v58, 0xff, v46
	v_bfe_u32 v59, v46, 8, 8
	v_bfe_u32 v60, v46, 16, 8
	v_add3_u32 v1, v56, v55, v54
	v_lshrrev_b32_e32 v51, 24, v46
	v_and_b32_e32 v61, 0xff, v49
	v_bfe_u32 v62, v49, 8, 8
	v_bfe_u32 v57, v49, 16, 8
	v_add_co_u32 v1, s0, v1, v52
	s_wait_alu 0xf1fe
	v_add_co_ci_u32_e64 v3, null, 0, 0, s0
	v_lshrrev_b32_e32 v50, 24, v49
	s_delay_alu instid0(VALU_DEP_3) | instskip(NEXT) | instid1(VALU_DEP_1)
	v_add_co_u32 v1, vcc_lo, v1, v58
	v_add_co_ci_u32_e64 v3, null, 0, v3, vcc_lo
	v_cmp_ne_u32_e64 s0, 0, v64
	s_delay_alu instid0(VALU_DEP_3) | instskip(SKIP_1) | instid1(VALU_DEP_3)
	v_add_co_u32 v1, vcc_lo, v1, v59
	s_wait_alu 0xfffd
	v_add_co_ci_u32_e64 v3, null, 0, v3, vcc_lo
	s_delay_alu instid0(VALU_DEP_2) | instskip(SKIP_1) | instid1(VALU_DEP_2)
	v_add_co_u32 v1, vcc_lo, v1, v60
	s_wait_alu 0xfffd
	v_add_co_ci_u32_e64 v3, null, 0, v3, vcc_lo
	s_delay_alu instid0(VALU_DEP_2) | instskip(SKIP_1) | instid1(VALU_DEP_2)
	;; [unrolled: 4-line block ×6, first 2 shown]
	v_add_co_u32 v47, vcc_lo, v1, v50
	s_wait_alu 0xfffd
	v_add_co_ci_u32_e64 v48, null, 0, v3, vcc_lo
	s_cbranch_scc0 .LBB2586_117
; %bb.61:
	v_mov_b32_e32 v3, v47
	v_mov_b32_dpp v1, v47 row_shr:1 row_mask:0xf bank_mask:0xf
	v_mov_b32_dpp v6, v2 row_shr:1 row_mask:0xf bank_mask:0xf
	v_dual_mov_b32 v5, v47 :: v_dual_mov_b32 v4, v48
	s_and_saveexec_b32 s1, s0
; %bb.62:
	s_delay_alu instid0(VALU_DEP_3) | instskip(SKIP_2) | instid1(VALU_DEP_2)
	v_add_co_u32 v5, vcc_lo, v47, v1
	s_wait_alu 0xfffd
	v_add_co_ci_u32_e64 v2, null, 0, v48, vcc_lo
	v_add_co_u32 v1, vcc_lo, 0, v5
	s_wait_alu 0xfffd
	s_delay_alu instid0(VALU_DEP_2) | instskip(NEXT) | instid1(VALU_DEP_1)
	v_add_co_ci_u32_e64 v2, null, v6, v2, vcc_lo
	v_dual_mov_b32 v4, v2 :: v_dual_mov_b32 v3, v1
; %bb.63:
	s_wait_alu 0xfffe
	s_or_b32 exec_lo, exec_lo, s1
	v_mov_b32_dpp v1, v5 row_shr:2 row_mask:0xf bank_mask:0xf
	v_mov_b32_dpp v6, v2 row_shr:2 row_mask:0xf bank_mask:0xf
	s_mov_b32 s1, exec_lo
	v_cmpx_lt_u32_e32 1, v64
; %bb.64:
	s_delay_alu instid0(VALU_DEP_3) | instskip(SKIP_2) | instid1(VALU_DEP_2)
	v_add_co_u32 v5, vcc_lo, v3, v1
	s_wait_alu 0xfffd
	v_add_co_ci_u32_e64 v2, null, 0, v4, vcc_lo
	v_add_co_u32 v1, vcc_lo, 0, v5
	s_wait_alu 0xfffd
	s_delay_alu instid0(VALU_DEP_2) | instskip(NEXT) | instid1(VALU_DEP_1)
	v_add_co_ci_u32_e64 v2, null, v6, v2, vcc_lo
	v_dual_mov_b32 v4, v2 :: v_dual_mov_b32 v3, v1
; %bb.65:
	s_wait_alu 0xfffe
	s_or_b32 exec_lo, exec_lo, s1
	v_mov_b32_dpp v1, v5 row_shr:4 row_mask:0xf bank_mask:0xf
	v_mov_b32_dpp v6, v2 row_shr:4 row_mask:0xf bank_mask:0xf
	s_mov_b32 s1, exec_lo
	v_cmpx_lt_u32_e32 3, v64
	;; [unrolled: 17-line block ×3, first 2 shown]
; %bb.68:
	s_delay_alu instid0(VALU_DEP_3) | instskip(SKIP_2) | instid1(VALU_DEP_2)
	v_add_co_u32 v5, vcc_lo, v3, v6
	s_wait_alu 0xfffd
	v_add_co_ci_u32_e64 v2, null, 0, v4, vcc_lo
	v_add_co_u32 v3, vcc_lo, 0, v5
	s_wait_alu 0xfffd
	s_delay_alu instid0(VALU_DEP_2) | instskip(NEXT) | instid1(VALU_DEP_1)
	v_add_co_ci_u32_e64 v4, null, v1, v2, vcc_lo
	v_mov_b32_e32 v2, v4
; %bb.69:
	s_wait_alu 0xfffe
	s_or_b32 exec_lo, exec_lo, s1
	ds_swizzle_b32 v1, v5 offset:swizzle(BROADCAST,32,15)
	ds_swizzle_b32 v6, v2 offset:swizzle(BROADCAST,32,15)
	v_and_b32_e32 v7, 16, v63
	s_mov_b32 s1, exec_lo
	s_delay_alu instid0(VALU_DEP_1)
	v_cmpx_ne_u32_e32 0, v7
	s_cbranch_execz .LBB2586_71
; %bb.70:
	s_wait_dscnt 0x1
	v_add_co_u32 v5, vcc_lo, v3, v1
	s_wait_alu 0xfffd
	v_add_co_ci_u32_e64 v2, null, 0, v4, vcc_lo
	s_delay_alu instid0(VALU_DEP_2) | instskip(SKIP_2) | instid1(VALU_DEP_2)
	v_add_co_u32 v1, vcc_lo, 0, v5
	s_wait_dscnt 0x0
	s_wait_alu 0xfffd
	v_add_co_ci_u32_e64 v2, null, v6, v2, vcc_lo
	s_delay_alu instid0(VALU_DEP_1)
	v_dual_mov_b32 v4, v2 :: v_dual_mov_b32 v3, v1
.LBB2586_71:
	s_wait_alu 0xfffe
	s_or_b32 exec_lo, exec_lo, s1
	s_wait_dscnt 0x0
	v_or_b32_e32 v6, 31, v0
	v_lshrrev_b32_e32 v1, 5, v0
	s_mov_b32 s1, exec_lo
	s_delay_alu instid0(VALU_DEP_2)
	v_cmpx_eq_u32_e64 v0, v6
; %bb.72:
	s_delay_alu instid0(VALU_DEP_2)
	v_lshlrev_b32_e32 v6, 3, v1
	ds_store_b64 v6, v[3:4]
; %bb.73:
	s_wait_alu 0xfffe
	s_or_b32 exec_lo, exec_lo, s1
	s_delay_alu instid0(SALU_CYCLE_1)
	s_mov_b32 s1, exec_lo
	s_wait_loadcnt_dscnt 0x0
	s_barrier_signal -1
	s_barrier_wait -1
	global_inv scope:SCOPE_SE
	v_cmpx_gt_u32_e32 8, v0
	s_cbranch_execz .LBB2586_81
; %bb.74:
	v_lshlrev_b32_e32 v6, 3, v0
	s_mov_b32 s3, exec_lo
	ds_load_b64 v[3:4], v6
	s_wait_dscnt 0x0
	v_dual_mov_b32 v8, v3 :: v_dual_and_b32 v7, 7, v63
	v_mov_b32_dpp v10, v3 row_shr:1 row_mask:0xf bank_mask:0xf
	v_mov_b32_dpp v9, v4 row_shr:1 row_mask:0xf bank_mask:0xf
	s_delay_alu instid0(VALU_DEP_3)
	v_cmpx_ne_u32_e32 0, v7
; %bb.75:
	s_delay_alu instid0(VALU_DEP_3) | instskip(SKIP_2) | instid1(VALU_DEP_2)
	v_add_co_u32 v8, vcc_lo, v3, v10
	s_wait_alu 0xfffd
	v_add_co_ci_u32_e64 v4, null, 0, v4, vcc_lo
	v_add_co_u32 v3, vcc_lo, 0, v8
	s_wait_alu 0xfffd
	s_delay_alu instid0(VALU_DEP_2)
	v_add_co_ci_u32_e64 v4, null, v9, v4, vcc_lo
; %bb.76:
	s_wait_alu 0xfffe
	s_or_b32 exec_lo, exec_lo, s3
	v_mov_b32_dpp v10, v8 row_shr:2 row_mask:0xf bank_mask:0xf
	s_delay_alu instid0(VALU_DEP_2)
	v_mov_b32_dpp v9, v4 row_shr:2 row_mask:0xf bank_mask:0xf
	s_mov_b32 s3, exec_lo
	v_cmpx_lt_u32_e32 1, v7
; %bb.77:
	s_delay_alu instid0(VALU_DEP_3) | instskip(SKIP_2) | instid1(VALU_DEP_2)
	v_add_co_u32 v8, vcc_lo, v3, v10
	s_wait_alu 0xfffd
	v_add_co_ci_u32_e64 v4, null, 0, v4, vcc_lo
	v_add_co_u32 v3, vcc_lo, 0, v8
	s_wait_alu 0xfffd
	s_delay_alu instid0(VALU_DEP_2)
	v_add_co_ci_u32_e64 v4, null, v9, v4, vcc_lo
; %bb.78:
	s_wait_alu 0xfffe
	s_or_b32 exec_lo, exec_lo, s3
	v_mov_b32_dpp v9, v8 row_shr:4 row_mask:0xf bank_mask:0xf
	s_delay_alu instid0(VALU_DEP_2)
	v_mov_b32_dpp v8, v4 row_shr:4 row_mask:0xf bank_mask:0xf
	s_mov_b32 s3, exec_lo
	v_cmpx_lt_u32_e32 3, v7
; %bb.79:
	s_delay_alu instid0(VALU_DEP_3) | instskip(SKIP_2) | instid1(VALU_DEP_2)
	v_add_co_u32 v3, vcc_lo, v3, v9
	s_wait_alu 0xfffd
	v_add_co_ci_u32_e64 v4, null, 0, v4, vcc_lo
	v_add_co_u32 v3, vcc_lo, v3, 0
	s_wait_alu 0xfffd
	s_delay_alu instid0(VALU_DEP_2)
	v_add_co_ci_u32_e64 v4, null, v4, v8, vcc_lo
; %bb.80:
	s_wait_alu 0xfffe
	s_or_b32 exec_lo, exec_lo, s3
	ds_store_b64 v6, v[3:4]
.LBB2586_81:
	s_wait_alu 0xfffe
	s_or_b32 exec_lo, exec_lo, s1
	s_delay_alu instid0(SALU_CYCLE_1)
	s_mov_b32 s3, exec_lo
	v_cmp_gt_u32_e32 vcc_lo, 32, v0
	s_wait_loadcnt_dscnt 0x0
	s_barrier_signal -1
	s_barrier_wait -1
	global_inv scope:SCOPE_SE
                                        ; implicit-def: $vgpr9_vgpr10
	v_cmpx_lt_u32_e32 31, v0
	s_cbranch_execz .LBB2586_83
; %bb.82:
	v_lshl_add_u32 v1, v1, 3, -8
	ds_load_b64 v[9:10], v1
	s_wait_dscnt 0x0
	v_add_co_u32 v5, s1, v5, v9
	s_wait_alu 0xf1ff
	v_add_co_ci_u32_e64 v2, null, v2, v10, s1
.LBB2586_83:
	s_wait_alu 0xfffe
	s_or_b32 exec_lo, exec_lo, s3
	v_sub_co_u32 v1, s1, v63, 1
	s_delay_alu instid0(VALU_DEP_1) | instskip(SKIP_1) | instid1(VALU_DEP_1)
	v_cmp_gt_i32_e64 s3, 0, v1
	s_wait_alu 0xf1ff
	v_cndmask_b32_e64 v1, v1, v63, s3
	s_delay_alu instid0(VALU_DEP_1)
	v_lshlrev_b32_e32 v1, 2, v1
	ds_bpermute_b32 v15, v1, v5
	ds_bpermute_b32 v16, v1, v2
	s_and_saveexec_b32 s3, vcc_lo
	s_cbranch_execz .LBB2586_122
; %bb.84:
	v_mov_b32_e32 v4, 0
	ds_load_b64 v[1:2], v4 offset:56
	s_and_saveexec_b32 s6, s1
	s_cbranch_execz .LBB2586_86
; %bb.85:
	s_add_co_i32 s8, s20, 32
	s_mov_b32 s9, 0
	s_wait_alu 0xfffe
	s_lshl_b64 s[8:9], s[8:9], 4
	s_wait_alu 0xfffe
	s_add_nc_u64 s[8:9], s[14:15], s[8:9]
	v_mov_b32_e32 v3, 1
	s_wait_alu 0xfffe
	v_dual_mov_b32 v5, s8 :: v_dual_mov_b32 v6, s9
	s_wait_dscnt 0x0
	;;#ASMSTART
	global_store_b128 v[5:6], v[1:4] off scope:SCOPE_DEV	
s_wait_storecnt 0x0
	;;#ASMEND
.LBB2586_86:
	s_or_b32 exec_lo, exec_lo, s6
	v_xad_u32 v11, v63, -1, s20
	s_mov_b32 s6, exec_lo
	s_delay_alu instid0(VALU_DEP_1) | instskip(NEXT) | instid1(VALU_DEP_1)
	v_add_nc_u32_e32 v3, 32, v11
	v_lshlrev_b64_e32 v[3:4], 4, v[3:4]
	s_delay_alu instid0(VALU_DEP_1) | instskip(SKIP_1) | instid1(VALU_DEP_2)
	v_add_co_u32 v3, vcc_lo, s14, v3
	s_wait_alu 0xfffd
	v_add_co_ci_u32_e64 v4, null, s15, v4, vcc_lo
	;;#ASMSTART
	global_load_b128 v[5:8], v[3:4] off scope:SCOPE_DEV	
s_wait_loadcnt 0x0
	;;#ASMEND
	v_and_b32_e32 v8, 0xff, v7
	s_delay_alu instid0(VALU_DEP_1)
	v_cmpx_eq_u16_e32 0, v8
	s_cbranch_execz .LBB2586_89
.LBB2586_87:                            ; =>This Inner Loop Header: Depth=1
	;;#ASMSTART
	global_load_b128 v[5:8], v[3:4] off scope:SCOPE_DEV	
s_wait_loadcnt 0x0
	;;#ASMEND
	v_and_b32_e32 v8, 0xff, v7
	s_delay_alu instid0(VALU_DEP_1) | instskip(SKIP_1) | instid1(SALU_CYCLE_1)
	v_cmp_ne_u16_e32 vcc_lo, 0, v8
	s_or_b32 s7, vcc_lo, s7
	s_and_not1_b32 exec_lo, exec_lo, s7
	s_cbranch_execnz .LBB2586_87
; %bb.88:
	s_or_b32 exec_lo, exec_lo, s7
.LBB2586_89:
	s_delay_alu instid0(SALU_CYCLE_1)
	s_or_b32 exec_lo, exec_lo, s6
	v_cmp_ne_u32_e32 vcc_lo, 31, v63
	v_and_b32_e32 v4, 0xff, v7
	v_lshlrev_b32_e64 v18, v63, -1
	s_mov_b32 s6, exec_lo
	s_wait_alu 0xfffd
	v_add_co_ci_u32_e64 v3, null, 0, v63, vcc_lo
	v_cmp_eq_u16_e32 vcc_lo, 2, v4
	s_delay_alu instid0(VALU_DEP_2)
	v_dual_mov_b32 v4, v5 :: v_dual_lshlrev_b32 v17, 2, v3
	s_wait_alu 0xfffd
	v_and_or_b32 v3, vcc_lo, v18, 0x80000000
	ds_bpermute_b32 v12, v17, v5
	ds_bpermute_b32 v8, v17, v6
	v_ctz_i32_b32_e32 v3, v3
	s_delay_alu instid0(VALU_DEP_1)
	v_cmpx_lt_u32_e64 v63, v3
	s_cbranch_execz .LBB2586_91
; %bb.90:
	s_wait_dscnt 0x1
	v_add_co_u32 v4, vcc_lo, v5, v12
	s_wait_alu 0xfffd
	v_add_co_ci_u32_e64 v6, null, 0, v6, vcc_lo
	s_delay_alu instid0(VALU_DEP_2) | instskip(SKIP_2) | instid1(VALU_DEP_2)
	v_add_co_u32 v5, vcc_lo, 0, v4
	s_wait_dscnt 0x0
	s_wait_alu 0xfffd
	v_add_co_ci_u32_e64 v6, null, v8, v6, vcc_lo
.LBB2586_91:
	s_or_b32 exec_lo, exec_lo, s6
	v_cmp_gt_u32_e32 vcc_lo, 30, v63
	v_add_nc_u32_e32 v20, 2, v63
	s_mov_b32 s6, exec_lo
	s_wait_dscnt 0x0
	s_wait_alu 0xfffd
	v_cndmask_b32_e64 v8, 0, 2, vcc_lo
	s_delay_alu instid0(VALU_DEP_1)
	v_add_lshl_u32 v19, v8, v63, 2
	ds_bpermute_b32 v12, v19, v4
	ds_bpermute_b32 v8, v19, v6
	v_cmpx_le_u32_e64 v20, v3
	s_cbranch_execz .LBB2586_93
; %bb.92:
	s_wait_dscnt 0x1
	v_add_co_u32 v4, vcc_lo, v5, v12
	s_wait_alu 0xfffd
	v_add_co_ci_u32_e64 v6, null, 0, v6, vcc_lo
	s_delay_alu instid0(VALU_DEP_2) | instskip(SKIP_2) | instid1(VALU_DEP_2)
	v_add_co_u32 v5, vcc_lo, 0, v4
	s_wait_dscnt 0x0
	s_wait_alu 0xfffd
	v_add_co_ci_u32_e64 v6, null, v8, v6, vcc_lo
.LBB2586_93:
	s_or_b32 exec_lo, exec_lo, s6
	v_cmp_gt_u32_e32 vcc_lo, 28, v63
	v_add_nc_u32_e32 v22, 4, v63
	s_mov_b32 s6, exec_lo
	s_wait_dscnt 0x0
	s_wait_alu 0xfffd
	v_cndmask_b32_e64 v8, 0, 4, vcc_lo
	s_delay_alu instid0(VALU_DEP_1)
	v_add_lshl_u32 v21, v8, v63, 2
	ds_bpermute_b32 v12, v21, v4
	ds_bpermute_b32 v8, v21, v6
	v_cmpx_le_u32_e64 v22, v3
	;; [unrolled: 24-line block ×3, first 2 shown]
	s_cbranch_execz .LBB2586_97
; %bb.96:
	s_wait_dscnt 0x1
	v_add_co_u32 v4, vcc_lo, v5, v12
	s_wait_alu 0xfffd
	v_add_co_ci_u32_e64 v6, null, 0, v6, vcc_lo
	s_delay_alu instid0(VALU_DEP_2) | instskip(SKIP_2) | instid1(VALU_DEP_2)
	v_add_co_u32 v5, vcc_lo, 0, v4
	s_wait_dscnt 0x0
	s_wait_alu 0xfffd
	v_add_co_ci_u32_e64 v6, null, v8, v6, vcc_lo
.LBB2586_97:
	s_or_b32 exec_lo, exec_lo, s6
	v_lshl_or_b32 v25, v63, 2, 64
	v_add_nc_u32_e32 v26, 16, v63
	s_mov_b32 s6, exec_lo
	s_wait_dscnt 0x0
	ds_bpermute_b32 v8, v25, v4
	ds_bpermute_b32 v4, v25, v6
	v_cmpx_le_u32_e64 v26, v3
	s_cbranch_execz .LBB2586_99
; %bb.98:
	s_wait_dscnt 0x1
	v_add_co_u32 v3, vcc_lo, v5, v8
	s_wait_alu 0xfffd
	v_add_co_ci_u32_e64 v6, null, 0, v6, vcc_lo
	s_delay_alu instid0(VALU_DEP_2) | instskip(SKIP_2) | instid1(VALU_DEP_2)
	v_add_co_u32 v5, vcc_lo, v3, 0
	s_wait_dscnt 0x0
	s_wait_alu 0xfffd
	v_add_co_ci_u32_e64 v6, null, v6, v4, vcc_lo
.LBB2586_99:
	s_or_b32 exec_lo, exec_lo, s6
	v_mov_b32_e32 v12, 0
	s_branch .LBB2586_102
.LBB2586_100:                           ;   in Loop: Header=BB2586_102 Depth=1
	s_or_b32 exec_lo, exec_lo, s6
	v_add_co_u32 v5, vcc_lo, v5, v3
	v_subrev_nc_u32_e32 v11, 32, v11
	s_wait_alu 0xfffd
	v_add_co_ci_u32_e64 v6, null, v6, v4, vcc_lo
	s_mov_b32 s6, 0
.LBB2586_101:                           ;   in Loop: Header=BB2586_102 Depth=1
	s_delay_alu instid0(SALU_CYCLE_1)
	s_and_b32 vcc_lo, exec_lo, s6
	s_wait_alu 0xfffe
	s_cbranch_vccnz .LBB2586_118
.LBB2586_102:                           ; =>This Loop Header: Depth=1
                                        ;     Child Loop BB2586_105 Depth 2
	v_and_b32_e32 v3, 0xff, v7
	s_mov_b32 s6, -1
	s_delay_alu instid0(VALU_DEP_1)
	v_cmp_ne_u16_e32 vcc_lo, 2, v3
	s_wait_dscnt 0x0
	v_dual_mov_b32 v3, v5 :: v_dual_mov_b32 v4, v6
                                        ; implicit-def: $vgpr5_vgpr6
	s_cmp_lg_u32 vcc_lo, exec_lo
	s_cbranch_scc1 .LBB2586_101
; %bb.103:                              ;   in Loop: Header=BB2586_102 Depth=1
	v_lshlrev_b64_e32 v[5:6], 4, v[11:12]
	s_mov_b32 s6, exec_lo
	s_delay_alu instid0(VALU_DEP_1) | instskip(SKIP_1) | instid1(VALU_DEP_2)
	v_add_co_u32 v13, vcc_lo, s14, v5
	s_wait_alu 0xfffd
	v_add_co_ci_u32_e64 v14, null, s15, v6, vcc_lo
	;;#ASMSTART
	global_load_b128 v[5:8], v[13:14] off scope:SCOPE_DEV	
s_wait_loadcnt 0x0
	;;#ASMEND
	v_and_b32_e32 v8, 0xff, v7
	s_delay_alu instid0(VALU_DEP_1)
	v_cmpx_eq_u16_e32 0, v8
	s_cbranch_execz .LBB2586_107
; %bb.104:                              ;   in Loop: Header=BB2586_102 Depth=1
	s_mov_b32 s7, 0
.LBB2586_105:                           ;   Parent Loop BB2586_102 Depth=1
                                        ; =>  This Inner Loop Header: Depth=2
	;;#ASMSTART
	global_load_b128 v[5:8], v[13:14] off scope:SCOPE_DEV	
s_wait_loadcnt 0x0
	;;#ASMEND
	v_and_b32_e32 v8, 0xff, v7
	s_delay_alu instid0(VALU_DEP_1) | instskip(SKIP_1) | instid1(SALU_CYCLE_1)
	v_cmp_ne_u16_e32 vcc_lo, 0, v8
	s_or_b32 s7, vcc_lo, s7
	s_and_not1_b32 exec_lo, exec_lo, s7
	s_cbranch_execnz .LBB2586_105
; %bb.106:                              ;   in Loop: Header=BB2586_102 Depth=1
	s_or_b32 exec_lo, exec_lo, s7
.LBB2586_107:                           ;   in Loop: Header=BB2586_102 Depth=1
	s_delay_alu instid0(SALU_CYCLE_1)
	s_or_b32 exec_lo, exec_lo, s6
	v_dual_mov_b32 v13, v5 :: v_dual_and_b32 v8, 0xff, v7
	ds_bpermute_b32 v27, v17, v5
	ds_bpermute_b32 v14, v17, v6
	s_mov_b32 s6, exec_lo
	v_cmp_eq_u16_e32 vcc_lo, 2, v8
	s_wait_alu 0xfffd
	v_and_or_b32 v8, vcc_lo, v18, 0x80000000
	s_delay_alu instid0(VALU_DEP_1) | instskip(NEXT) | instid1(VALU_DEP_1)
	v_ctz_i32_b32_e32 v8, v8
	v_cmpx_lt_u32_e64 v63, v8
	s_cbranch_execz .LBB2586_109
; %bb.108:                              ;   in Loop: Header=BB2586_102 Depth=1
	s_wait_dscnt 0x1
	v_add_co_u32 v13, vcc_lo, v5, v27
	s_wait_alu 0xfffd
	v_add_co_ci_u32_e64 v6, null, 0, v6, vcc_lo
	s_delay_alu instid0(VALU_DEP_2) | instskip(SKIP_2) | instid1(VALU_DEP_2)
	v_add_co_u32 v5, vcc_lo, 0, v13
	s_wait_dscnt 0x0
	s_wait_alu 0xfffd
	v_add_co_ci_u32_e64 v6, null, v14, v6, vcc_lo
.LBB2586_109:                           ;   in Loop: Header=BB2586_102 Depth=1
	s_or_b32 exec_lo, exec_lo, s6
	s_wait_dscnt 0x1
	ds_bpermute_b32 v27, v19, v13
	s_wait_dscnt 0x1
	ds_bpermute_b32 v14, v19, v6
	s_mov_b32 s6, exec_lo
	v_cmpx_le_u32_e64 v20, v8
	s_cbranch_execz .LBB2586_111
; %bb.110:                              ;   in Loop: Header=BB2586_102 Depth=1
	s_wait_dscnt 0x1
	v_add_co_u32 v13, vcc_lo, v5, v27
	s_wait_alu 0xfffd
	v_add_co_ci_u32_e64 v6, null, 0, v6, vcc_lo
	s_delay_alu instid0(VALU_DEP_2) | instskip(SKIP_2) | instid1(VALU_DEP_2)
	v_add_co_u32 v5, vcc_lo, 0, v13
	s_wait_dscnt 0x0
	s_wait_alu 0xfffd
	v_add_co_ci_u32_e64 v6, null, v14, v6, vcc_lo
.LBB2586_111:                           ;   in Loop: Header=BB2586_102 Depth=1
	s_or_b32 exec_lo, exec_lo, s6
	s_wait_dscnt 0x1
	ds_bpermute_b32 v27, v21, v13
	s_wait_dscnt 0x1
	ds_bpermute_b32 v14, v21, v6
	s_mov_b32 s6, exec_lo
	v_cmpx_le_u32_e64 v22, v8
	;; [unrolled: 19-line block ×3, first 2 shown]
	s_cbranch_execz .LBB2586_115
; %bb.114:                              ;   in Loop: Header=BB2586_102 Depth=1
	s_wait_dscnt 0x1
	v_add_co_u32 v13, vcc_lo, v5, v27
	s_wait_alu 0xfffd
	v_add_co_ci_u32_e64 v6, null, 0, v6, vcc_lo
	s_delay_alu instid0(VALU_DEP_2) | instskip(SKIP_2) | instid1(VALU_DEP_2)
	v_add_co_u32 v5, vcc_lo, 0, v13
	s_wait_dscnt 0x0
	s_wait_alu 0xfffd
	v_add_co_ci_u32_e64 v6, null, v14, v6, vcc_lo
.LBB2586_115:                           ;   in Loop: Header=BB2586_102 Depth=1
	s_or_b32 exec_lo, exec_lo, s6
	s_wait_dscnt 0x0
	ds_bpermute_b32 v14, v25, v13
	ds_bpermute_b32 v13, v25, v6
	s_mov_b32 s6, exec_lo
	v_cmpx_le_u32_e64 v26, v8
	s_cbranch_execz .LBB2586_100
; %bb.116:                              ;   in Loop: Header=BB2586_102 Depth=1
	s_wait_dscnt 0x1
	v_add_co_u32 v5, vcc_lo, v5, v14
	s_wait_alu 0xfffd
	v_add_co_ci_u32_e64 v6, null, 0, v6, vcc_lo
	s_delay_alu instid0(VALU_DEP_2) | instskip(SKIP_2) | instid1(VALU_DEP_2)
	v_add_co_u32 v5, vcc_lo, v5, 0
	s_wait_dscnt 0x0
	s_wait_alu 0xfffd
	v_add_co_ci_u32_e64 v6, null, v6, v13, vcc_lo
	s_branch .LBB2586_100
.LBB2586_117:
                                        ; implicit-def: $vgpr39_vgpr40
                                        ; implicit-def: $vgpr1_vgpr2_vgpr3_vgpr4_vgpr5_vgpr6_vgpr7_vgpr8_vgpr9_vgpr10_vgpr11_vgpr12_vgpr13_vgpr14_vgpr15_vgpr16_vgpr17_vgpr18_vgpr19_vgpr20_vgpr21_vgpr22_vgpr23_vgpr24_vgpr25_vgpr26_vgpr27_vgpr28_vgpr29_vgpr30_vgpr31_vgpr32
	s_and_b32 vcc_lo, exec_lo, s1
	s_wait_alu 0xfffe
	s_cbranch_vccnz .LBB2586_123
	s_branch .LBB2586_148
.LBB2586_118:
	s_and_saveexec_b32 s6, s1
	s_cbranch_execz .LBB2586_120
; %bb.119:
	s_add_co_i32 s8, s20, 32
	s_mov_b32 s9, 0
	v_add_co_u32 v5, vcc_lo, v3, v1
	s_wait_alu 0xfffe
	s_lshl_b64 s[8:9], s[8:9], 4
	v_dual_mov_b32 v7, 2 :: v_dual_mov_b32 v8, 0
	s_wait_alu 0xfffe
	s_add_nc_u64 s[8:9], s[14:15], s[8:9]
	s_wait_alu 0xfffd
	v_add_co_ci_u32_e64 v6, null, v4, v2, vcc_lo
	s_wait_alu 0xfffe
	v_dual_mov_b32 v12, s9 :: v_dual_mov_b32 v11, s8
	;;#ASMSTART
	global_store_b128 v[11:12], v[5:8] off scope:SCOPE_DEV	
s_wait_storecnt 0x0
	;;#ASMEND
	ds_store_b128 v8, v[1:4] offset:6144
.LBB2586_120:
	s_or_b32 exec_lo, exec_lo, s6
	s_delay_alu instid0(SALU_CYCLE_1)
	s_and_b32 exec_lo, exec_lo, s2
; %bb.121:
	v_mov_b32_e32 v1, 0
	ds_store_b64 v1, v[3:4] offset:56
.LBB2586_122:
	s_wait_alu 0xfffe
	s_or_b32 exec_lo, exec_lo, s3
	v_mov_b32_e32 v17, 0
	s_wait_loadcnt_dscnt 0x0
	s_barrier_signal -1
	s_barrier_wait -1
	global_inv scope:SCOPE_SE
	ds_load_b64 v[1:2], v17 offset:56
	v_cndmask_b32_e64 v3, v15, v9, s1
	v_cndmask_b32_e64 v4, v16, v10, s1
	s_wait_loadcnt_dscnt 0x0
	s_barrier_signal -1
	s_barrier_wait -1
	v_cndmask_b32_e64 v3, v3, 0, s2
	v_cndmask_b32_e64 v4, v4, 0, s2
	global_inv scope:SCOPE_SE
	ds_load_b128 v[37:40], v17 offset:6144
	v_add_co_u32 v1, vcc_lo, v1, v3
	s_wait_alu 0xfffd
	v_add_co_ci_u32_e64 v2, null, v2, v4, vcc_lo
	s_delay_alu instid0(VALU_DEP_2) | instskip(SKIP_1) | instid1(VALU_DEP_2)
	v_add_co_u32 v3, vcc_lo, v1, v55
	s_wait_alu 0xfffd
	v_add_co_ci_u32_e64 v4, null, 0, v2, vcc_lo
	s_delay_alu instid0(VALU_DEP_2) | instskip(SKIP_1) | instid1(VALU_DEP_2)
	;; [unrolled: 4-line block ×11, first 2 shown]
	v_add_co_u32 v23, vcc_lo, v21, v57
	s_wait_alu 0xfffd
	v_add_co_ci_u32_e64 v24, null, 0, v22, vcc_lo
	s_branch .LBB2586_148
.LBB2586_123:
	v_dual_mov_b32 v2, 0 :: v_dual_mov_b32 v3, v47
	v_mov_b32_dpp v4, v47 row_shr:1 row_mask:0xf bank_mask:0xf
	s_delay_alu instid0(VALU_DEP_2)
	v_mov_b32_dpp v1, v2 row_shr:1 row_mask:0xf bank_mask:0xf
	s_and_saveexec_b32 s1, s0
; %bb.124:
	s_delay_alu instid0(VALU_DEP_2) | instskip(SKIP_2) | instid1(VALU_DEP_2)
	v_add_co_u32 v3, vcc_lo, v47, v4
	s_wait_alu 0xfffd
	v_add_co_ci_u32_e64 v2, null, 0, v48, vcc_lo
	v_add_co_u32 v47, vcc_lo, 0, v3
	s_wait_alu 0xfffd
	s_delay_alu instid0(VALU_DEP_2) | instskip(NEXT) | instid1(VALU_DEP_1)
	v_add_co_ci_u32_e64 v48, null, v1, v2, vcc_lo
	v_mov_b32_e32 v2, v48
; %bb.125:
	s_wait_alu 0xfffe
	s_or_b32 exec_lo, exec_lo, s1
	v_mov_b32_dpp v1, v3 row_shr:2 row_mask:0xf bank_mask:0xf
	s_delay_alu instid0(VALU_DEP_2)
	v_mov_b32_dpp v4, v2 row_shr:2 row_mask:0xf bank_mask:0xf
	s_mov_b32 s0, exec_lo
	v_cmpx_lt_u32_e32 1, v64
; %bb.126:
	s_delay_alu instid0(VALU_DEP_3) | instskip(SKIP_2) | instid1(VALU_DEP_2)
	v_add_co_u32 v3, vcc_lo, v47, v1
	s_wait_alu 0xfffd
	v_add_co_ci_u32_e64 v2, null, 0, v48, vcc_lo
	v_add_co_u32 v1, vcc_lo, 0, v3
	s_wait_alu 0xfffd
	s_delay_alu instid0(VALU_DEP_2) | instskip(NEXT) | instid1(VALU_DEP_1)
	v_add_co_ci_u32_e64 v2, null, v4, v2, vcc_lo
	v_dual_mov_b32 v48, v2 :: v_dual_mov_b32 v47, v1
; %bb.127:
	s_wait_alu 0xfffe
	s_or_b32 exec_lo, exec_lo, s0
	v_mov_b32_dpp v1, v3 row_shr:4 row_mask:0xf bank_mask:0xf
	v_mov_b32_dpp v4, v2 row_shr:4 row_mask:0xf bank_mask:0xf
	s_mov_b32 s0, exec_lo
	v_cmpx_lt_u32_e32 3, v64
; %bb.128:
	s_delay_alu instid0(VALU_DEP_3) | instskip(SKIP_2) | instid1(VALU_DEP_2)
	v_add_co_u32 v3, vcc_lo, v47, v1
	s_wait_alu 0xfffd
	v_add_co_ci_u32_e64 v2, null, 0, v48, vcc_lo
	v_add_co_u32 v1, vcc_lo, 0, v3
	s_wait_alu 0xfffd
	s_delay_alu instid0(VALU_DEP_2) | instskip(NEXT) | instid1(VALU_DEP_1)
	v_add_co_ci_u32_e64 v2, null, v4, v2, vcc_lo
	v_dual_mov_b32 v48, v2 :: v_dual_mov_b32 v47, v1
; %bb.129:
	s_wait_alu 0xfffe
	s_or_b32 exec_lo, exec_lo, s0
	v_mov_b32_dpp v4, v3 row_shr:8 row_mask:0xf bank_mask:0xf
	v_mov_b32_dpp v1, v2 row_shr:8 row_mask:0xf bank_mask:0xf
	s_mov_b32 s0, exec_lo
	v_cmpx_lt_u32_e32 7, v64
; %bb.130:
	s_delay_alu instid0(VALU_DEP_3) | instskip(SKIP_2) | instid1(VALU_DEP_2)
	v_add_co_u32 v3, vcc_lo, v47, v4
	s_wait_alu 0xfffd
	v_add_co_ci_u32_e64 v2, null, 0, v48, vcc_lo
	v_add_co_u32 v47, vcc_lo, 0, v3
	s_wait_alu 0xfffd
	s_delay_alu instid0(VALU_DEP_2) | instskip(NEXT) | instid1(VALU_DEP_1)
	v_add_co_ci_u32_e64 v48, null, v1, v2, vcc_lo
	v_mov_b32_e32 v2, v48
; %bb.131:
	s_wait_alu 0xfffe
	s_or_b32 exec_lo, exec_lo, s0
	ds_swizzle_b32 v3, v3 offset:swizzle(BROADCAST,32,15)
	ds_swizzle_b32 v1, v2 offset:swizzle(BROADCAST,32,15)
	v_and_b32_e32 v2, 16, v63
	s_mov_b32 s0, exec_lo
	s_delay_alu instid0(VALU_DEP_1)
	v_cmpx_ne_u32_e32 0, v2
	s_cbranch_execz .LBB2586_133
; %bb.132:
	s_wait_dscnt 0x1
	v_add_co_u32 v2, vcc_lo, v47, v3
	s_wait_alu 0xfffd
	v_add_co_ci_u32_e64 v3, null, 0, v48, vcc_lo
	s_delay_alu instid0(VALU_DEP_2) | instskip(SKIP_2) | instid1(VALU_DEP_2)
	v_add_co_u32 v47, vcc_lo, v2, 0
	s_wait_dscnt 0x0
	s_wait_alu 0xfffd
	v_add_co_ci_u32_e64 v48, null, v3, v1, vcc_lo
.LBB2586_133:
	s_wait_alu 0xfffe
	s_or_b32 exec_lo, exec_lo, s0
	s_wait_dscnt 0x0
	v_or_b32_e32 v1, 31, v0
	v_lshrrev_b32_e32 v3, 5, v0
	s_mov_b32 s0, exec_lo
	s_delay_alu instid0(VALU_DEP_2)
	v_cmpx_eq_u32_e64 v0, v1
; %bb.134:
	s_delay_alu instid0(VALU_DEP_2)
	v_lshlrev_b32_e32 v1, 3, v3
	ds_store_b64 v1, v[47:48]
; %bb.135:
	s_wait_alu 0xfffe
	s_or_b32 exec_lo, exec_lo, s0
	s_delay_alu instid0(SALU_CYCLE_1)
	s_mov_b32 s0, exec_lo
	s_wait_loadcnt_dscnt 0x0
	s_barrier_signal -1
	s_barrier_wait -1
	global_inv scope:SCOPE_SE
	v_cmpx_gt_u32_e32 8, v0
	s_cbranch_execz .LBB2586_143
; %bb.136:
	v_lshlrev_b32_e32 v4, 2, v0
	s_mov_b32 s1, exec_lo
	s_delay_alu instid0(VALU_DEP_1)
	v_sub_nc_u32_e32 v1, v53, v4
	ds_load_b64 v[1:2], v1
	s_wait_dscnt 0x0
	v_dual_mov_b32 v6, v1 :: v_dual_and_b32 v5, 7, v63
	v_mov_b32_dpp v8, v1 row_shr:1 row_mask:0xf bank_mask:0xf
	v_mov_b32_dpp v7, v2 row_shr:1 row_mask:0xf bank_mask:0xf
	s_delay_alu instid0(VALU_DEP_3)
	v_cmpx_ne_u32_e32 0, v5
; %bb.137:
	s_delay_alu instid0(VALU_DEP_3) | instskip(SKIP_2) | instid1(VALU_DEP_2)
	v_add_co_u32 v6, vcc_lo, v1, v8
	s_wait_alu 0xfffd
	v_add_co_ci_u32_e64 v2, null, 0, v2, vcc_lo
	v_add_co_u32 v1, vcc_lo, 0, v6
	s_wait_alu 0xfffd
	s_delay_alu instid0(VALU_DEP_2)
	v_add_co_ci_u32_e64 v2, null, v7, v2, vcc_lo
; %bb.138:
	s_wait_alu 0xfffe
	s_or_b32 exec_lo, exec_lo, s1
	v_mov_b32_dpp v8, v6 row_shr:2 row_mask:0xf bank_mask:0xf
	s_delay_alu instid0(VALU_DEP_2)
	v_mov_b32_dpp v7, v2 row_shr:2 row_mask:0xf bank_mask:0xf
	s_mov_b32 s1, exec_lo
	v_cmpx_lt_u32_e32 1, v5
; %bb.139:
	s_delay_alu instid0(VALU_DEP_3) | instskip(SKIP_2) | instid1(VALU_DEP_2)
	v_add_co_u32 v6, vcc_lo, v1, v8
	s_wait_alu 0xfffd
	v_add_co_ci_u32_e64 v2, null, 0, v2, vcc_lo
	v_add_co_u32 v1, vcc_lo, 0, v6
	s_wait_alu 0xfffd
	s_delay_alu instid0(VALU_DEP_2)
	v_add_co_ci_u32_e64 v2, null, v7, v2, vcc_lo
; %bb.140:
	s_wait_alu 0xfffe
	s_or_b32 exec_lo, exec_lo, s1
	v_sub_nc_u32_e32 v4, 0, v4
	v_mov_b32_dpp v7, v6 row_shr:4 row_mask:0xf bank_mask:0xf
	v_mov_b32_dpp v6, v2 row_shr:4 row_mask:0xf bank_mask:0xf
	s_mov_b32 s1, exec_lo
	v_cmpx_lt_u32_e32 3, v5
; %bb.141:
	s_delay_alu instid0(VALU_DEP_3) | instskip(SKIP_2) | instid1(VALU_DEP_2)
	v_add_co_u32 v1, vcc_lo, v1, v7
	s_wait_alu 0xfffd
	v_add_co_ci_u32_e64 v2, null, 0, v2, vcc_lo
	v_add_co_u32 v1, vcc_lo, v1, 0
	s_wait_alu 0xfffd
	s_delay_alu instid0(VALU_DEP_2)
	v_add_co_ci_u32_e64 v2, null, v2, v6, vcc_lo
; %bb.142:
	s_wait_alu 0xfffe
	s_or_b32 exec_lo, exec_lo, s1
	v_add_nc_u32_e32 v4, v53, v4
	ds_store_b64 v4, v[1:2]
.LBB2586_143:
	s_wait_alu 0xfffe
	s_or_b32 exec_lo, exec_lo, s0
	v_mov_b32_e32 v1, 0
	v_mov_b32_e32 v2, 0
	s_mov_b32 s0, exec_lo
	s_wait_loadcnt_dscnt 0x0
	s_barrier_signal -1
	s_barrier_wait -1
	global_inv scope:SCOPE_SE
	v_cmpx_lt_u32_e32 31, v0
; %bb.144:
	v_lshl_add_u32 v1, v3, 3, -8
	ds_load_b64 v[1:2], v1
; %bb.145:
	s_wait_alu 0xfffe
	s_or_b32 exec_lo, exec_lo, s0
	v_sub_co_u32 v3, vcc_lo, v63, 1
	v_mov_b32_e32 v40, 0
	s_delay_alu instid0(VALU_DEP_2) | instskip(SKIP_3) | instid1(VALU_DEP_1)
	v_cmp_gt_i32_e64 s0, 0, v3
	ds_load_b64 v[37:38], v40 offset:56
	s_wait_alu 0xf1ff
	v_cndmask_b32_e64 v3, v3, v63, s0
	v_lshlrev_b32_e32 v4, 2, v3
	s_wait_dscnt 0x1
	v_add_co_u32 v3, s0, v1, v47
	s_wait_alu 0xf1ff
	v_add_co_ci_u32_e64 v5, null, v2, v48, s0
	ds_bpermute_b32 v3, v4, v3
	ds_bpermute_b32 v4, v4, v5
	s_and_saveexec_b32 s0, s2
	s_cbranch_execz .LBB2586_147
; %bb.146:
	s_add_nc_u64 s[6:7], s[14:15], 0x200
	v_mov_b32_e32 v39, 2
	v_dual_mov_b32 v5, s6 :: v_dual_mov_b32 v6, s7
	s_wait_dscnt 0x2
	;;#ASMSTART
	global_store_b128 v[5:6], v[37:40] off scope:SCOPE_DEV	
s_wait_storecnt 0x0
	;;#ASMEND
.LBB2586_147:
	s_wait_alu 0xfffe
	s_or_b32 exec_lo, exec_lo, s0
	s_wait_dscnt 0x0
	s_wait_alu 0xfffd
	v_dual_cndmask_b32 v1, v3, v1 :: v_dual_cndmask_b32 v2, v4, v2
	v_mov_b32_e32 v39, 0
	v_mov_b32_e32 v40, 0
	s_wait_loadcnt 0x0
	s_delay_alu instid0(VALU_DEP_3)
	v_cndmask_b32_e64 v1, v1, 0, s2
	v_cndmask_b32_e64 v2, v2, 0, s2
	s_barrier_signal -1
	s_barrier_wait -1
	global_inv scope:SCOPE_SE
	v_add_co_u32 v3, vcc_lo, v1, v55
	s_wait_alu 0xfffd
	v_add_co_ci_u32_e64 v4, null, 0, v2, vcc_lo
	s_delay_alu instid0(VALU_DEP_2) | instskip(SKIP_1) | instid1(VALU_DEP_2)
	v_add_co_u32 v5, vcc_lo, v3, v56
	s_wait_alu 0xfffd
	v_add_co_ci_u32_e64 v6, null, 0, v4, vcc_lo
	s_delay_alu instid0(VALU_DEP_2) | instskip(SKIP_1) | instid1(VALU_DEP_2)
	;; [unrolled: 4-line block ×10, first 2 shown]
	v_add_co_u32 v23, vcc_lo, v21, v57
	s_wait_alu 0xfffd
	v_add_co_ci_u32_e64 v24, null, 0, v22, vcc_lo
.LBB2586_148:
	v_lshrrev_b32_e32 v58, 8, v45
	v_lshrrev_b32_e32 v56, 16, v45
	v_and_b32_e32 v45, 1, v45
	s_wait_dscnt 0x0
	v_cmp_gt_u64_e32 vcc_lo, 0x101, v[37:38]
	v_lshlrev_b64_e32 v[25:26], 1, v[41:42]
	v_lshrrev_b32_e32 v53, 8, v46
	v_lshrrev_b32_e32 v48, 16, v46
	;; [unrolled: 1-line block ×10, first 2 shown]
	v_cmp_eq_u32_e64 s0, 1, v45
	s_mov_b32 s1, -1
	s_cbranch_vccnz .LBB2586_152
; %bb.149:
	s_wait_alu 0xfffe
	s_and_b32 vcc_lo, exec_lo, s1
	s_wait_alu 0xfffe
	s_cbranch_vccnz .LBB2586_177
.LBB2586_150:
	s_and_b32 s0, s2, s18
	s_wait_alu 0xfffe
	s_and_saveexec_b32 s1, s0
	s_cbranch_execnz .LBB2586_204
.LBB2586_151:
	s_endpgm
.LBB2586_152:
	v_add_co_u32 v27, vcc_lo, v39, v37
	s_wait_alu 0xfffd
	v_add_co_ci_u32_e64 v28, null, v40, v38, vcc_lo
	v_add_co_u32 v59, s1, s12, v25
	s_wait_alu 0xf1fe
	v_add_co_ci_u32_e64 v60, null, s13, v26, s1
	s_delay_alu instid0(VALU_DEP_3)
	v_cmp_lt_u64_e32 vcc_lo, v[1:2], v[27:28]
	s_or_b32 s1, s19, vcc_lo
	s_wait_alu 0xfffe
	s_and_b32 s1, s1, s0
	s_wait_alu 0xfffe
	s_and_saveexec_b32 s0, s1
	s_cbranch_execz .LBB2586_154
; %bb.153:
	v_lshlrev_b64_e32 v[61:62], 1, v[1:2]
	s_delay_alu instid0(VALU_DEP_1) | instskip(SKIP_1) | instid1(VALU_DEP_2)
	v_add_co_u32 v61, vcc_lo, v59, v61
	s_wait_alu 0xfffd
	v_add_co_ci_u32_e64 v62, null, v60, v62, vcc_lo
	global_store_b16 v[61:62], v33, off
.LBB2586_154:
	s_wait_alu 0xfffe
	s_or_b32 exec_lo, exec_lo, s0
	v_and_b32_e32 v2, 1, v58
	v_cmp_lt_u64_e32 vcc_lo, v[3:4], v[27:28]
	s_delay_alu instid0(VALU_DEP_2)
	v_cmp_eq_u32_e64 s0, 1, v2
	s_or_b32 s1, s19, vcc_lo
	s_wait_alu 0xfffe
	s_and_b32 s1, s1, s0
	s_wait_alu 0xfffe
	s_and_saveexec_b32 s0, s1
	s_cbranch_execz .LBB2586_156
; %bb.155:
	v_lshlrev_b64_e32 v[61:62], 1, v[3:4]
	s_delay_alu instid0(VALU_DEP_1) | instskip(SKIP_1) | instid1(VALU_DEP_2)
	v_add_co_u32 v61, vcc_lo, v59, v61
	s_wait_alu 0xfffd
	v_add_co_ci_u32_e64 v62, null, v60, v62, vcc_lo
	global_store_b16 v[61:62], v57, off
.LBB2586_156:
	s_wait_alu 0xfffe
	s_or_b32 exec_lo, exec_lo, s0
	v_and_b32_e32 v2, 1, v56
	v_cmp_lt_u64_e32 vcc_lo, v[5:6], v[27:28]
	s_delay_alu instid0(VALU_DEP_2)
	v_cmp_eq_u32_e64 s0, 1, v2
	;; [unrolled: 20-line block ×11, first 2 shown]
	s_or_b32 s1, s19, vcc_lo
	s_wait_alu 0xfffe
	s_and_b32 s1, s1, s0
	s_wait_alu 0xfffe
	s_and_saveexec_b32 s0, s1
	s_cbranch_execz .LBB2586_176
; %bb.175:
	v_lshlrev_b64_e32 v[27:28], 1, v[23:24]
	s_delay_alu instid0(VALU_DEP_1) | instskip(SKIP_1) | instid1(VALU_DEP_2)
	v_add_co_u32 v27, vcc_lo, v59, v27
	s_wait_alu 0xfffd
	v_add_co_ci_u32_e64 v28, null, v60, v28, vcc_lo
	global_store_b16 v[27:28], v29, off
.LBB2586_176:
	s_wait_alu 0xfffe
	s_or_b32 exec_lo, exec_lo, s0
	s_branch .LBB2586_150
.LBB2586_177:
	s_mov_b32 s0, exec_lo
	v_cmpx_eq_u32_e32 1, v45
; %bb.178:
	v_sub_nc_u32_e32 v1, v1, v39
	s_delay_alu instid0(VALU_DEP_1)
	v_lshlrev_b32_e32 v1, 1, v1
	ds_store_b16 v1, v33
; %bb.179:
	s_wait_alu 0xfffe
	s_or_b32 exec_lo, exec_lo, s0
	v_and_b32_e32 v1, 1, v58
	s_mov_b32 s0, exec_lo
	s_delay_alu instid0(VALU_DEP_1)
	v_cmpx_eq_u32_e32 1, v1
; %bb.180:
	v_sub_nc_u32_e32 v1, v3, v39
	s_delay_alu instid0(VALU_DEP_1)
	v_lshlrev_b32_e32 v1, 1, v1
	ds_store_b16 v1, v57
; %bb.181:
	s_wait_alu 0xfffe
	s_or_b32 exec_lo, exec_lo, s0
	v_and_b32_e32 v1, 1, v56
	s_mov_b32 s0, exec_lo
	s_delay_alu instid0(VALU_DEP_1)
	;; [unrolled: 12-line block ×11, first 2 shown]
	v_cmpx_eq_u32_e32 1, v1
; %bb.200:
	v_sub_nc_u32_e32 v1, v23, v39
	s_delay_alu instid0(VALU_DEP_1)
	v_lshlrev_b32_e32 v1, 1, v1
	ds_store_b16 v1, v29
; %bb.201:
	s_wait_alu 0xfffe
	s_or_b32 exec_lo, exec_lo, s0
	v_lshlrev_b64_e32 v[4:5], 1, v[39:40]
	v_add_co_u32 v6, vcc_lo, s12, v25
	v_mov_b32_e32 v1, 0
	s_wait_alu 0xfffd
	v_add_co_ci_u32_e64 v7, null, s13, v26, vcc_lo
	s_delay_alu instid0(VALU_DEP_3) | instskip(NEXT) | instid1(VALU_DEP_3)
	v_add_co_u32 v4, vcc_lo, v6, v4
	v_dual_mov_b32 v3, v1 :: v_dual_mov_b32 v2, v0
	s_wait_alu 0xfffd
	s_delay_alu instid0(VALU_DEP_3)
	v_add_co_ci_u32_e64 v5, null, v7, v5, vcc_lo
	v_or_b32_e32 v0, 0x100, v0
	s_mov_b32 s1, 0
	s_wait_storecnt 0x0
	s_wait_loadcnt_dscnt 0x0
	s_barrier_signal -1
	s_barrier_wait -1
	global_inv scope:SCOPE_SE
.LBB2586_202:                           ; =>This Inner Loop Header: Depth=1
	v_lshlrev_b32_e32 v6, 1, v2
	v_cmp_le_u64_e32 vcc_lo, v[37:38], v[0:1]
	ds_load_u16 v8, v6
	v_lshlrev_b64_e32 v[6:7], 1, v[2:3]
	v_dual_mov_b32 v3, v1 :: v_dual_mov_b32 v2, v0
	v_add_nc_u32_e32 v0, 0x100, v0
	s_wait_alu 0xfffe
	s_or_b32 s1, vcc_lo, s1
	s_delay_alu instid0(VALU_DEP_3)
	v_add_co_u32 v6, s0, v4, v6
	s_wait_alu 0xf1ff
	v_add_co_ci_u32_e64 v7, null, v5, v7, s0
	s_wait_dscnt 0x0
	global_store_b16 v[6:7], v8, off
	s_wait_alu 0xfffe
	s_and_not1_b32 exec_lo, exec_lo, s1
	s_cbranch_execnz .LBB2586_202
; %bb.203:
	s_or_b32 exec_lo, exec_lo, s1
	s_and_b32 s0, s2, s18
	s_wait_alu 0xfffe
	s_and_saveexec_b32 s1, s0
	s_cbranch_execz .LBB2586_151
.LBB2586_204:
	v_add_co_u32 v0, vcc_lo, v39, v37
	s_wait_alu 0xfffd
	v_add_co_ci_u32_e64 v1, null, v40, v38, vcc_lo
	v_mov_b32_e32 v2, 0
	s_delay_alu instid0(VALU_DEP_3) | instskip(SKIP_1) | instid1(VALU_DEP_3)
	v_add_co_u32 v0, vcc_lo, v0, v41
	s_wait_alu 0xfffd
	v_add_co_ci_u32_e64 v1, null, v1, v42, vcc_lo
	global_store_b64 v2, v[0:1], s[4:5]
	s_endpgm
	.section	.rodata,"a",@progbits
	.p2align	6, 0x0
	.amdhsa_kernel _ZN7rocprim17ROCPRIM_400000_NS6detail17trampoline_kernelINS0_14default_configENS1_25partition_config_selectorILNS1_17partition_subalgoE5EsNS0_10empty_typeEbEEZZNS1_14partition_implILS5_5ELb0ES3_mN6thrust23THRUST_200600_302600_NS6detail15normal_iteratorINSA_10device_ptrIsEEEEPS6_NSA_18transform_iteratorINSB_9not_fun_tI7is_trueIsEEENSC_INSD_IbEEEENSA_11use_defaultESO_EENS0_5tupleIJSF_S6_EEENSQ_IJSG_SG_EEES6_PlJS6_EEE10hipError_tPvRmT3_T4_T5_T6_T7_T9_mT8_P12ihipStream_tbDpT10_ENKUlT_T0_E_clISt17integral_constantIbLb0EES1C_IbLb1EEEEDaS18_S19_EUlS18_E_NS1_11comp_targetILNS1_3genE10ELNS1_11target_archE1200ELNS1_3gpuE4ELNS1_3repE0EEENS1_30default_config_static_selectorELNS0_4arch9wavefront6targetE0EEEvT1_
		.amdhsa_group_segment_fixed_size 6160
		.amdhsa_private_segment_fixed_size 0
		.amdhsa_kernarg_size 136
		.amdhsa_user_sgpr_count 2
		.amdhsa_user_sgpr_dispatch_ptr 0
		.amdhsa_user_sgpr_queue_ptr 0
		.amdhsa_user_sgpr_kernarg_segment_ptr 1
		.amdhsa_user_sgpr_dispatch_id 0
		.amdhsa_user_sgpr_private_segment_size 0
		.amdhsa_wavefront_size32 1
		.amdhsa_uses_dynamic_stack 0
		.amdhsa_enable_private_segment 0
		.amdhsa_system_sgpr_workgroup_id_x 1
		.amdhsa_system_sgpr_workgroup_id_y 0
		.amdhsa_system_sgpr_workgroup_id_z 0
		.amdhsa_system_sgpr_workgroup_info 0
		.amdhsa_system_vgpr_workitem_id 0
		.amdhsa_next_free_vgpr 65
		.amdhsa_next_free_sgpr 24
		.amdhsa_reserve_vcc 1
		.amdhsa_float_round_mode_32 0
		.amdhsa_float_round_mode_16_64 0
		.amdhsa_float_denorm_mode_32 3
		.amdhsa_float_denorm_mode_16_64 3
		.amdhsa_fp16_overflow 0
		.amdhsa_workgroup_processor_mode 1
		.amdhsa_memory_ordered 1
		.amdhsa_forward_progress 1
		.amdhsa_inst_pref_size 81
		.amdhsa_round_robin_scheduling 0
		.amdhsa_exception_fp_ieee_invalid_op 0
		.amdhsa_exception_fp_denorm_src 0
		.amdhsa_exception_fp_ieee_div_zero 0
		.amdhsa_exception_fp_ieee_overflow 0
		.amdhsa_exception_fp_ieee_underflow 0
		.amdhsa_exception_fp_ieee_inexact 0
		.amdhsa_exception_int_div_zero 0
	.end_amdhsa_kernel
	.section	.text._ZN7rocprim17ROCPRIM_400000_NS6detail17trampoline_kernelINS0_14default_configENS1_25partition_config_selectorILNS1_17partition_subalgoE5EsNS0_10empty_typeEbEEZZNS1_14partition_implILS5_5ELb0ES3_mN6thrust23THRUST_200600_302600_NS6detail15normal_iteratorINSA_10device_ptrIsEEEEPS6_NSA_18transform_iteratorINSB_9not_fun_tI7is_trueIsEEENSC_INSD_IbEEEENSA_11use_defaultESO_EENS0_5tupleIJSF_S6_EEENSQ_IJSG_SG_EEES6_PlJS6_EEE10hipError_tPvRmT3_T4_T5_T6_T7_T9_mT8_P12ihipStream_tbDpT10_ENKUlT_T0_E_clISt17integral_constantIbLb0EES1C_IbLb1EEEEDaS18_S19_EUlS18_E_NS1_11comp_targetILNS1_3genE10ELNS1_11target_archE1200ELNS1_3gpuE4ELNS1_3repE0EEENS1_30default_config_static_selectorELNS0_4arch9wavefront6targetE0EEEvT1_,"axG",@progbits,_ZN7rocprim17ROCPRIM_400000_NS6detail17trampoline_kernelINS0_14default_configENS1_25partition_config_selectorILNS1_17partition_subalgoE5EsNS0_10empty_typeEbEEZZNS1_14partition_implILS5_5ELb0ES3_mN6thrust23THRUST_200600_302600_NS6detail15normal_iteratorINSA_10device_ptrIsEEEEPS6_NSA_18transform_iteratorINSB_9not_fun_tI7is_trueIsEEENSC_INSD_IbEEEENSA_11use_defaultESO_EENS0_5tupleIJSF_S6_EEENSQ_IJSG_SG_EEES6_PlJS6_EEE10hipError_tPvRmT3_T4_T5_T6_T7_T9_mT8_P12ihipStream_tbDpT10_ENKUlT_T0_E_clISt17integral_constantIbLb0EES1C_IbLb1EEEEDaS18_S19_EUlS18_E_NS1_11comp_targetILNS1_3genE10ELNS1_11target_archE1200ELNS1_3gpuE4ELNS1_3repE0EEENS1_30default_config_static_selectorELNS0_4arch9wavefront6targetE0EEEvT1_,comdat
.Lfunc_end2586:
	.size	_ZN7rocprim17ROCPRIM_400000_NS6detail17trampoline_kernelINS0_14default_configENS1_25partition_config_selectorILNS1_17partition_subalgoE5EsNS0_10empty_typeEbEEZZNS1_14partition_implILS5_5ELb0ES3_mN6thrust23THRUST_200600_302600_NS6detail15normal_iteratorINSA_10device_ptrIsEEEEPS6_NSA_18transform_iteratorINSB_9not_fun_tI7is_trueIsEEENSC_INSD_IbEEEENSA_11use_defaultESO_EENS0_5tupleIJSF_S6_EEENSQ_IJSG_SG_EEES6_PlJS6_EEE10hipError_tPvRmT3_T4_T5_T6_T7_T9_mT8_P12ihipStream_tbDpT10_ENKUlT_T0_E_clISt17integral_constantIbLb0EES1C_IbLb1EEEEDaS18_S19_EUlS18_E_NS1_11comp_targetILNS1_3genE10ELNS1_11target_archE1200ELNS1_3gpuE4ELNS1_3repE0EEENS1_30default_config_static_selectorELNS0_4arch9wavefront6targetE0EEEvT1_, .Lfunc_end2586-_ZN7rocprim17ROCPRIM_400000_NS6detail17trampoline_kernelINS0_14default_configENS1_25partition_config_selectorILNS1_17partition_subalgoE5EsNS0_10empty_typeEbEEZZNS1_14partition_implILS5_5ELb0ES3_mN6thrust23THRUST_200600_302600_NS6detail15normal_iteratorINSA_10device_ptrIsEEEEPS6_NSA_18transform_iteratorINSB_9not_fun_tI7is_trueIsEEENSC_INSD_IbEEEENSA_11use_defaultESO_EENS0_5tupleIJSF_S6_EEENSQ_IJSG_SG_EEES6_PlJS6_EEE10hipError_tPvRmT3_T4_T5_T6_T7_T9_mT8_P12ihipStream_tbDpT10_ENKUlT_T0_E_clISt17integral_constantIbLb0EES1C_IbLb1EEEEDaS18_S19_EUlS18_E_NS1_11comp_targetILNS1_3genE10ELNS1_11target_archE1200ELNS1_3gpuE4ELNS1_3repE0EEENS1_30default_config_static_selectorELNS0_4arch9wavefront6targetE0EEEvT1_
                                        ; -- End function
	.set _ZN7rocprim17ROCPRIM_400000_NS6detail17trampoline_kernelINS0_14default_configENS1_25partition_config_selectorILNS1_17partition_subalgoE5EsNS0_10empty_typeEbEEZZNS1_14partition_implILS5_5ELb0ES3_mN6thrust23THRUST_200600_302600_NS6detail15normal_iteratorINSA_10device_ptrIsEEEEPS6_NSA_18transform_iteratorINSB_9not_fun_tI7is_trueIsEEENSC_INSD_IbEEEENSA_11use_defaultESO_EENS0_5tupleIJSF_S6_EEENSQ_IJSG_SG_EEES6_PlJS6_EEE10hipError_tPvRmT3_T4_T5_T6_T7_T9_mT8_P12ihipStream_tbDpT10_ENKUlT_T0_E_clISt17integral_constantIbLb0EES1C_IbLb1EEEEDaS18_S19_EUlS18_E_NS1_11comp_targetILNS1_3genE10ELNS1_11target_archE1200ELNS1_3gpuE4ELNS1_3repE0EEENS1_30default_config_static_selectorELNS0_4arch9wavefront6targetE0EEEvT1_.num_vgpr, 65
	.set _ZN7rocprim17ROCPRIM_400000_NS6detail17trampoline_kernelINS0_14default_configENS1_25partition_config_selectorILNS1_17partition_subalgoE5EsNS0_10empty_typeEbEEZZNS1_14partition_implILS5_5ELb0ES3_mN6thrust23THRUST_200600_302600_NS6detail15normal_iteratorINSA_10device_ptrIsEEEEPS6_NSA_18transform_iteratorINSB_9not_fun_tI7is_trueIsEEENSC_INSD_IbEEEENSA_11use_defaultESO_EENS0_5tupleIJSF_S6_EEENSQ_IJSG_SG_EEES6_PlJS6_EEE10hipError_tPvRmT3_T4_T5_T6_T7_T9_mT8_P12ihipStream_tbDpT10_ENKUlT_T0_E_clISt17integral_constantIbLb0EES1C_IbLb1EEEEDaS18_S19_EUlS18_E_NS1_11comp_targetILNS1_3genE10ELNS1_11target_archE1200ELNS1_3gpuE4ELNS1_3repE0EEENS1_30default_config_static_selectorELNS0_4arch9wavefront6targetE0EEEvT1_.num_agpr, 0
	.set _ZN7rocprim17ROCPRIM_400000_NS6detail17trampoline_kernelINS0_14default_configENS1_25partition_config_selectorILNS1_17partition_subalgoE5EsNS0_10empty_typeEbEEZZNS1_14partition_implILS5_5ELb0ES3_mN6thrust23THRUST_200600_302600_NS6detail15normal_iteratorINSA_10device_ptrIsEEEEPS6_NSA_18transform_iteratorINSB_9not_fun_tI7is_trueIsEEENSC_INSD_IbEEEENSA_11use_defaultESO_EENS0_5tupleIJSF_S6_EEENSQ_IJSG_SG_EEES6_PlJS6_EEE10hipError_tPvRmT3_T4_T5_T6_T7_T9_mT8_P12ihipStream_tbDpT10_ENKUlT_T0_E_clISt17integral_constantIbLb0EES1C_IbLb1EEEEDaS18_S19_EUlS18_E_NS1_11comp_targetILNS1_3genE10ELNS1_11target_archE1200ELNS1_3gpuE4ELNS1_3repE0EEENS1_30default_config_static_selectorELNS0_4arch9wavefront6targetE0EEEvT1_.numbered_sgpr, 24
	.set _ZN7rocprim17ROCPRIM_400000_NS6detail17trampoline_kernelINS0_14default_configENS1_25partition_config_selectorILNS1_17partition_subalgoE5EsNS0_10empty_typeEbEEZZNS1_14partition_implILS5_5ELb0ES3_mN6thrust23THRUST_200600_302600_NS6detail15normal_iteratorINSA_10device_ptrIsEEEEPS6_NSA_18transform_iteratorINSB_9not_fun_tI7is_trueIsEEENSC_INSD_IbEEEENSA_11use_defaultESO_EENS0_5tupleIJSF_S6_EEENSQ_IJSG_SG_EEES6_PlJS6_EEE10hipError_tPvRmT3_T4_T5_T6_T7_T9_mT8_P12ihipStream_tbDpT10_ENKUlT_T0_E_clISt17integral_constantIbLb0EES1C_IbLb1EEEEDaS18_S19_EUlS18_E_NS1_11comp_targetILNS1_3genE10ELNS1_11target_archE1200ELNS1_3gpuE4ELNS1_3repE0EEENS1_30default_config_static_selectorELNS0_4arch9wavefront6targetE0EEEvT1_.num_named_barrier, 0
	.set _ZN7rocprim17ROCPRIM_400000_NS6detail17trampoline_kernelINS0_14default_configENS1_25partition_config_selectorILNS1_17partition_subalgoE5EsNS0_10empty_typeEbEEZZNS1_14partition_implILS5_5ELb0ES3_mN6thrust23THRUST_200600_302600_NS6detail15normal_iteratorINSA_10device_ptrIsEEEEPS6_NSA_18transform_iteratorINSB_9not_fun_tI7is_trueIsEEENSC_INSD_IbEEEENSA_11use_defaultESO_EENS0_5tupleIJSF_S6_EEENSQ_IJSG_SG_EEES6_PlJS6_EEE10hipError_tPvRmT3_T4_T5_T6_T7_T9_mT8_P12ihipStream_tbDpT10_ENKUlT_T0_E_clISt17integral_constantIbLb0EES1C_IbLb1EEEEDaS18_S19_EUlS18_E_NS1_11comp_targetILNS1_3genE10ELNS1_11target_archE1200ELNS1_3gpuE4ELNS1_3repE0EEENS1_30default_config_static_selectorELNS0_4arch9wavefront6targetE0EEEvT1_.private_seg_size, 0
	.set _ZN7rocprim17ROCPRIM_400000_NS6detail17trampoline_kernelINS0_14default_configENS1_25partition_config_selectorILNS1_17partition_subalgoE5EsNS0_10empty_typeEbEEZZNS1_14partition_implILS5_5ELb0ES3_mN6thrust23THRUST_200600_302600_NS6detail15normal_iteratorINSA_10device_ptrIsEEEEPS6_NSA_18transform_iteratorINSB_9not_fun_tI7is_trueIsEEENSC_INSD_IbEEEENSA_11use_defaultESO_EENS0_5tupleIJSF_S6_EEENSQ_IJSG_SG_EEES6_PlJS6_EEE10hipError_tPvRmT3_T4_T5_T6_T7_T9_mT8_P12ihipStream_tbDpT10_ENKUlT_T0_E_clISt17integral_constantIbLb0EES1C_IbLb1EEEEDaS18_S19_EUlS18_E_NS1_11comp_targetILNS1_3genE10ELNS1_11target_archE1200ELNS1_3gpuE4ELNS1_3repE0EEENS1_30default_config_static_selectorELNS0_4arch9wavefront6targetE0EEEvT1_.uses_vcc, 1
	.set _ZN7rocprim17ROCPRIM_400000_NS6detail17trampoline_kernelINS0_14default_configENS1_25partition_config_selectorILNS1_17partition_subalgoE5EsNS0_10empty_typeEbEEZZNS1_14partition_implILS5_5ELb0ES3_mN6thrust23THRUST_200600_302600_NS6detail15normal_iteratorINSA_10device_ptrIsEEEEPS6_NSA_18transform_iteratorINSB_9not_fun_tI7is_trueIsEEENSC_INSD_IbEEEENSA_11use_defaultESO_EENS0_5tupleIJSF_S6_EEENSQ_IJSG_SG_EEES6_PlJS6_EEE10hipError_tPvRmT3_T4_T5_T6_T7_T9_mT8_P12ihipStream_tbDpT10_ENKUlT_T0_E_clISt17integral_constantIbLb0EES1C_IbLb1EEEEDaS18_S19_EUlS18_E_NS1_11comp_targetILNS1_3genE10ELNS1_11target_archE1200ELNS1_3gpuE4ELNS1_3repE0EEENS1_30default_config_static_selectorELNS0_4arch9wavefront6targetE0EEEvT1_.uses_flat_scratch, 1
	.set _ZN7rocprim17ROCPRIM_400000_NS6detail17trampoline_kernelINS0_14default_configENS1_25partition_config_selectorILNS1_17partition_subalgoE5EsNS0_10empty_typeEbEEZZNS1_14partition_implILS5_5ELb0ES3_mN6thrust23THRUST_200600_302600_NS6detail15normal_iteratorINSA_10device_ptrIsEEEEPS6_NSA_18transform_iteratorINSB_9not_fun_tI7is_trueIsEEENSC_INSD_IbEEEENSA_11use_defaultESO_EENS0_5tupleIJSF_S6_EEENSQ_IJSG_SG_EEES6_PlJS6_EEE10hipError_tPvRmT3_T4_T5_T6_T7_T9_mT8_P12ihipStream_tbDpT10_ENKUlT_T0_E_clISt17integral_constantIbLb0EES1C_IbLb1EEEEDaS18_S19_EUlS18_E_NS1_11comp_targetILNS1_3genE10ELNS1_11target_archE1200ELNS1_3gpuE4ELNS1_3repE0EEENS1_30default_config_static_selectorELNS0_4arch9wavefront6targetE0EEEvT1_.has_dyn_sized_stack, 0
	.set _ZN7rocprim17ROCPRIM_400000_NS6detail17trampoline_kernelINS0_14default_configENS1_25partition_config_selectorILNS1_17partition_subalgoE5EsNS0_10empty_typeEbEEZZNS1_14partition_implILS5_5ELb0ES3_mN6thrust23THRUST_200600_302600_NS6detail15normal_iteratorINSA_10device_ptrIsEEEEPS6_NSA_18transform_iteratorINSB_9not_fun_tI7is_trueIsEEENSC_INSD_IbEEEENSA_11use_defaultESO_EENS0_5tupleIJSF_S6_EEENSQ_IJSG_SG_EEES6_PlJS6_EEE10hipError_tPvRmT3_T4_T5_T6_T7_T9_mT8_P12ihipStream_tbDpT10_ENKUlT_T0_E_clISt17integral_constantIbLb0EES1C_IbLb1EEEEDaS18_S19_EUlS18_E_NS1_11comp_targetILNS1_3genE10ELNS1_11target_archE1200ELNS1_3gpuE4ELNS1_3repE0EEENS1_30default_config_static_selectorELNS0_4arch9wavefront6targetE0EEEvT1_.has_recursion, 0
	.set _ZN7rocprim17ROCPRIM_400000_NS6detail17trampoline_kernelINS0_14default_configENS1_25partition_config_selectorILNS1_17partition_subalgoE5EsNS0_10empty_typeEbEEZZNS1_14partition_implILS5_5ELb0ES3_mN6thrust23THRUST_200600_302600_NS6detail15normal_iteratorINSA_10device_ptrIsEEEEPS6_NSA_18transform_iteratorINSB_9not_fun_tI7is_trueIsEEENSC_INSD_IbEEEENSA_11use_defaultESO_EENS0_5tupleIJSF_S6_EEENSQ_IJSG_SG_EEES6_PlJS6_EEE10hipError_tPvRmT3_T4_T5_T6_T7_T9_mT8_P12ihipStream_tbDpT10_ENKUlT_T0_E_clISt17integral_constantIbLb0EES1C_IbLb1EEEEDaS18_S19_EUlS18_E_NS1_11comp_targetILNS1_3genE10ELNS1_11target_archE1200ELNS1_3gpuE4ELNS1_3repE0EEENS1_30default_config_static_selectorELNS0_4arch9wavefront6targetE0EEEvT1_.has_indirect_call, 0
	.section	.AMDGPU.csdata,"",@progbits
; Kernel info:
; codeLenInByte = 10340
; TotalNumSgprs: 26
; NumVgprs: 65
; ScratchSize: 0
; MemoryBound: 0
; FloatMode: 240
; IeeeMode: 1
; LDSByteSize: 6160 bytes/workgroup (compile time only)
; SGPRBlocks: 0
; VGPRBlocks: 8
; NumSGPRsForWavesPerEU: 26
; NumVGPRsForWavesPerEU: 65
; Occupancy: 16
; WaveLimiterHint : 1
; COMPUTE_PGM_RSRC2:SCRATCH_EN: 0
; COMPUTE_PGM_RSRC2:USER_SGPR: 2
; COMPUTE_PGM_RSRC2:TRAP_HANDLER: 0
; COMPUTE_PGM_RSRC2:TGID_X_EN: 1
; COMPUTE_PGM_RSRC2:TGID_Y_EN: 0
; COMPUTE_PGM_RSRC2:TGID_Z_EN: 0
; COMPUTE_PGM_RSRC2:TIDIG_COMP_CNT: 0
	.section	.text._ZN7rocprim17ROCPRIM_400000_NS6detail17trampoline_kernelINS0_14default_configENS1_25partition_config_selectorILNS1_17partition_subalgoE5EsNS0_10empty_typeEbEEZZNS1_14partition_implILS5_5ELb0ES3_mN6thrust23THRUST_200600_302600_NS6detail15normal_iteratorINSA_10device_ptrIsEEEEPS6_NSA_18transform_iteratorINSB_9not_fun_tI7is_trueIsEEENSC_INSD_IbEEEENSA_11use_defaultESO_EENS0_5tupleIJSF_S6_EEENSQ_IJSG_SG_EEES6_PlJS6_EEE10hipError_tPvRmT3_T4_T5_T6_T7_T9_mT8_P12ihipStream_tbDpT10_ENKUlT_T0_E_clISt17integral_constantIbLb0EES1C_IbLb1EEEEDaS18_S19_EUlS18_E_NS1_11comp_targetILNS1_3genE9ELNS1_11target_archE1100ELNS1_3gpuE3ELNS1_3repE0EEENS1_30default_config_static_selectorELNS0_4arch9wavefront6targetE0EEEvT1_,"axG",@progbits,_ZN7rocprim17ROCPRIM_400000_NS6detail17trampoline_kernelINS0_14default_configENS1_25partition_config_selectorILNS1_17partition_subalgoE5EsNS0_10empty_typeEbEEZZNS1_14partition_implILS5_5ELb0ES3_mN6thrust23THRUST_200600_302600_NS6detail15normal_iteratorINSA_10device_ptrIsEEEEPS6_NSA_18transform_iteratorINSB_9not_fun_tI7is_trueIsEEENSC_INSD_IbEEEENSA_11use_defaultESO_EENS0_5tupleIJSF_S6_EEENSQ_IJSG_SG_EEES6_PlJS6_EEE10hipError_tPvRmT3_T4_T5_T6_T7_T9_mT8_P12ihipStream_tbDpT10_ENKUlT_T0_E_clISt17integral_constantIbLb0EES1C_IbLb1EEEEDaS18_S19_EUlS18_E_NS1_11comp_targetILNS1_3genE9ELNS1_11target_archE1100ELNS1_3gpuE3ELNS1_3repE0EEENS1_30default_config_static_selectorELNS0_4arch9wavefront6targetE0EEEvT1_,comdat
	.protected	_ZN7rocprim17ROCPRIM_400000_NS6detail17trampoline_kernelINS0_14default_configENS1_25partition_config_selectorILNS1_17partition_subalgoE5EsNS0_10empty_typeEbEEZZNS1_14partition_implILS5_5ELb0ES3_mN6thrust23THRUST_200600_302600_NS6detail15normal_iteratorINSA_10device_ptrIsEEEEPS6_NSA_18transform_iteratorINSB_9not_fun_tI7is_trueIsEEENSC_INSD_IbEEEENSA_11use_defaultESO_EENS0_5tupleIJSF_S6_EEENSQ_IJSG_SG_EEES6_PlJS6_EEE10hipError_tPvRmT3_T4_T5_T6_T7_T9_mT8_P12ihipStream_tbDpT10_ENKUlT_T0_E_clISt17integral_constantIbLb0EES1C_IbLb1EEEEDaS18_S19_EUlS18_E_NS1_11comp_targetILNS1_3genE9ELNS1_11target_archE1100ELNS1_3gpuE3ELNS1_3repE0EEENS1_30default_config_static_selectorELNS0_4arch9wavefront6targetE0EEEvT1_ ; -- Begin function _ZN7rocprim17ROCPRIM_400000_NS6detail17trampoline_kernelINS0_14default_configENS1_25partition_config_selectorILNS1_17partition_subalgoE5EsNS0_10empty_typeEbEEZZNS1_14partition_implILS5_5ELb0ES3_mN6thrust23THRUST_200600_302600_NS6detail15normal_iteratorINSA_10device_ptrIsEEEEPS6_NSA_18transform_iteratorINSB_9not_fun_tI7is_trueIsEEENSC_INSD_IbEEEENSA_11use_defaultESO_EENS0_5tupleIJSF_S6_EEENSQ_IJSG_SG_EEES6_PlJS6_EEE10hipError_tPvRmT3_T4_T5_T6_T7_T9_mT8_P12ihipStream_tbDpT10_ENKUlT_T0_E_clISt17integral_constantIbLb0EES1C_IbLb1EEEEDaS18_S19_EUlS18_E_NS1_11comp_targetILNS1_3genE9ELNS1_11target_archE1100ELNS1_3gpuE3ELNS1_3repE0EEENS1_30default_config_static_selectorELNS0_4arch9wavefront6targetE0EEEvT1_
	.globl	_ZN7rocprim17ROCPRIM_400000_NS6detail17trampoline_kernelINS0_14default_configENS1_25partition_config_selectorILNS1_17partition_subalgoE5EsNS0_10empty_typeEbEEZZNS1_14partition_implILS5_5ELb0ES3_mN6thrust23THRUST_200600_302600_NS6detail15normal_iteratorINSA_10device_ptrIsEEEEPS6_NSA_18transform_iteratorINSB_9not_fun_tI7is_trueIsEEENSC_INSD_IbEEEENSA_11use_defaultESO_EENS0_5tupleIJSF_S6_EEENSQ_IJSG_SG_EEES6_PlJS6_EEE10hipError_tPvRmT3_T4_T5_T6_T7_T9_mT8_P12ihipStream_tbDpT10_ENKUlT_T0_E_clISt17integral_constantIbLb0EES1C_IbLb1EEEEDaS18_S19_EUlS18_E_NS1_11comp_targetILNS1_3genE9ELNS1_11target_archE1100ELNS1_3gpuE3ELNS1_3repE0EEENS1_30default_config_static_selectorELNS0_4arch9wavefront6targetE0EEEvT1_
	.p2align	8
	.type	_ZN7rocprim17ROCPRIM_400000_NS6detail17trampoline_kernelINS0_14default_configENS1_25partition_config_selectorILNS1_17partition_subalgoE5EsNS0_10empty_typeEbEEZZNS1_14partition_implILS5_5ELb0ES3_mN6thrust23THRUST_200600_302600_NS6detail15normal_iteratorINSA_10device_ptrIsEEEEPS6_NSA_18transform_iteratorINSB_9not_fun_tI7is_trueIsEEENSC_INSD_IbEEEENSA_11use_defaultESO_EENS0_5tupleIJSF_S6_EEENSQ_IJSG_SG_EEES6_PlJS6_EEE10hipError_tPvRmT3_T4_T5_T6_T7_T9_mT8_P12ihipStream_tbDpT10_ENKUlT_T0_E_clISt17integral_constantIbLb0EES1C_IbLb1EEEEDaS18_S19_EUlS18_E_NS1_11comp_targetILNS1_3genE9ELNS1_11target_archE1100ELNS1_3gpuE3ELNS1_3repE0EEENS1_30default_config_static_selectorELNS0_4arch9wavefront6targetE0EEEvT1_,@function
_ZN7rocprim17ROCPRIM_400000_NS6detail17trampoline_kernelINS0_14default_configENS1_25partition_config_selectorILNS1_17partition_subalgoE5EsNS0_10empty_typeEbEEZZNS1_14partition_implILS5_5ELb0ES3_mN6thrust23THRUST_200600_302600_NS6detail15normal_iteratorINSA_10device_ptrIsEEEEPS6_NSA_18transform_iteratorINSB_9not_fun_tI7is_trueIsEEENSC_INSD_IbEEEENSA_11use_defaultESO_EENS0_5tupleIJSF_S6_EEENSQ_IJSG_SG_EEES6_PlJS6_EEE10hipError_tPvRmT3_T4_T5_T6_T7_T9_mT8_P12ihipStream_tbDpT10_ENKUlT_T0_E_clISt17integral_constantIbLb0EES1C_IbLb1EEEEDaS18_S19_EUlS18_E_NS1_11comp_targetILNS1_3genE9ELNS1_11target_archE1100ELNS1_3gpuE3ELNS1_3repE0EEENS1_30default_config_static_selectorELNS0_4arch9wavefront6targetE0EEEvT1_: ; @_ZN7rocprim17ROCPRIM_400000_NS6detail17trampoline_kernelINS0_14default_configENS1_25partition_config_selectorILNS1_17partition_subalgoE5EsNS0_10empty_typeEbEEZZNS1_14partition_implILS5_5ELb0ES3_mN6thrust23THRUST_200600_302600_NS6detail15normal_iteratorINSA_10device_ptrIsEEEEPS6_NSA_18transform_iteratorINSB_9not_fun_tI7is_trueIsEEENSC_INSD_IbEEEENSA_11use_defaultESO_EENS0_5tupleIJSF_S6_EEENSQ_IJSG_SG_EEES6_PlJS6_EEE10hipError_tPvRmT3_T4_T5_T6_T7_T9_mT8_P12ihipStream_tbDpT10_ENKUlT_T0_E_clISt17integral_constantIbLb0EES1C_IbLb1EEEEDaS18_S19_EUlS18_E_NS1_11comp_targetILNS1_3genE9ELNS1_11target_archE1100ELNS1_3gpuE3ELNS1_3repE0EEENS1_30default_config_static_selectorELNS0_4arch9wavefront6targetE0EEEvT1_
; %bb.0:
	.section	.rodata,"a",@progbits
	.p2align	6, 0x0
	.amdhsa_kernel _ZN7rocprim17ROCPRIM_400000_NS6detail17trampoline_kernelINS0_14default_configENS1_25partition_config_selectorILNS1_17partition_subalgoE5EsNS0_10empty_typeEbEEZZNS1_14partition_implILS5_5ELb0ES3_mN6thrust23THRUST_200600_302600_NS6detail15normal_iteratorINSA_10device_ptrIsEEEEPS6_NSA_18transform_iteratorINSB_9not_fun_tI7is_trueIsEEENSC_INSD_IbEEEENSA_11use_defaultESO_EENS0_5tupleIJSF_S6_EEENSQ_IJSG_SG_EEES6_PlJS6_EEE10hipError_tPvRmT3_T4_T5_T6_T7_T9_mT8_P12ihipStream_tbDpT10_ENKUlT_T0_E_clISt17integral_constantIbLb0EES1C_IbLb1EEEEDaS18_S19_EUlS18_E_NS1_11comp_targetILNS1_3genE9ELNS1_11target_archE1100ELNS1_3gpuE3ELNS1_3repE0EEENS1_30default_config_static_selectorELNS0_4arch9wavefront6targetE0EEEvT1_
		.amdhsa_group_segment_fixed_size 0
		.amdhsa_private_segment_fixed_size 0
		.amdhsa_kernarg_size 136
		.amdhsa_user_sgpr_count 2
		.amdhsa_user_sgpr_dispatch_ptr 0
		.amdhsa_user_sgpr_queue_ptr 0
		.amdhsa_user_sgpr_kernarg_segment_ptr 1
		.amdhsa_user_sgpr_dispatch_id 0
		.amdhsa_user_sgpr_private_segment_size 0
		.amdhsa_wavefront_size32 1
		.amdhsa_uses_dynamic_stack 0
		.amdhsa_enable_private_segment 0
		.amdhsa_system_sgpr_workgroup_id_x 1
		.amdhsa_system_sgpr_workgroup_id_y 0
		.amdhsa_system_sgpr_workgroup_id_z 0
		.amdhsa_system_sgpr_workgroup_info 0
		.amdhsa_system_vgpr_workitem_id 0
		.amdhsa_next_free_vgpr 1
		.amdhsa_next_free_sgpr 1
		.amdhsa_reserve_vcc 0
		.amdhsa_float_round_mode_32 0
		.amdhsa_float_round_mode_16_64 0
		.amdhsa_float_denorm_mode_32 3
		.amdhsa_float_denorm_mode_16_64 3
		.amdhsa_fp16_overflow 0
		.amdhsa_workgroup_processor_mode 1
		.amdhsa_memory_ordered 1
		.amdhsa_forward_progress 1
		.amdhsa_inst_pref_size 0
		.amdhsa_round_robin_scheduling 0
		.amdhsa_exception_fp_ieee_invalid_op 0
		.amdhsa_exception_fp_denorm_src 0
		.amdhsa_exception_fp_ieee_div_zero 0
		.amdhsa_exception_fp_ieee_overflow 0
		.amdhsa_exception_fp_ieee_underflow 0
		.amdhsa_exception_fp_ieee_inexact 0
		.amdhsa_exception_int_div_zero 0
	.end_amdhsa_kernel
	.section	.text._ZN7rocprim17ROCPRIM_400000_NS6detail17trampoline_kernelINS0_14default_configENS1_25partition_config_selectorILNS1_17partition_subalgoE5EsNS0_10empty_typeEbEEZZNS1_14partition_implILS5_5ELb0ES3_mN6thrust23THRUST_200600_302600_NS6detail15normal_iteratorINSA_10device_ptrIsEEEEPS6_NSA_18transform_iteratorINSB_9not_fun_tI7is_trueIsEEENSC_INSD_IbEEEENSA_11use_defaultESO_EENS0_5tupleIJSF_S6_EEENSQ_IJSG_SG_EEES6_PlJS6_EEE10hipError_tPvRmT3_T4_T5_T6_T7_T9_mT8_P12ihipStream_tbDpT10_ENKUlT_T0_E_clISt17integral_constantIbLb0EES1C_IbLb1EEEEDaS18_S19_EUlS18_E_NS1_11comp_targetILNS1_3genE9ELNS1_11target_archE1100ELNS1_3gpuE3ELNS1_3repE0EEENS1_30default_config_static_selectorELNS0_4arch9wavefront6targetE0EEEvT1_,"axG",@progbits,_ZN7rocprim17ROCPRIM_400000_NS6detail17trampoline_kernelINS0_14default_configENS1_25partition_config_selectorILNS1_17partition_subalgoE5EsNS0_10empty_typeEbEEZZNS1_14partition_implILS5_5ELb0ES3_mN6thrust23THRUST_200600_302600_NS6detail15normal_iteratorINSA_10device_ptrIsEEEEPS6_NSA_18transform_iteratorINSB_9not_fun_tI7is_trueIsEEENSC_INSD_IbEEEENSA_11use_defaultESO_EENS0_5tupleIJSF_S6_EEENSQ_IJSG_SG_EEES6_PlJS6_EEE10hipError_tPvRmT3_T4_T5_T6_T7_T9_mT8_P12ihipStream_tbDpT10_ENKUlT_T0_E_clISt17integral_constantIbLb0EES1C_IbLb1EEEEDaS18_S19_EUlS18_E_NS1_11comp_targetILNS1_3genE9ELNS1_11target_archE1100ELNS1_3gpuE3ELNS1_3repE0EEENS1_30default_config_static_selectorELNS0_4arch9wavefront6targetE0EEEvT1_,comdat
.Lfunc_end2587:
	.size	_ZN7rocprim17ROCPRIM_400000_NS6detail17trampoline_kernelINS0_14default_configENS1_25partition_config_selectorILNS1_17partition_subalgoE5EsNS0_10empty_typeEbEEZZNS1_14partition_implILS5_5ELb0ES3_mN6thrust23THRUST_200600_302600_NS6detail15normal_iteratorINSA_10device_ptrIsEEEEPS6_NSA_18transform_iteratorINSB_9not_fun_tI7is_trueIsEEENSC_INSD_IbEEEENSA_11use_defaultESO_EENS0_5tupleIJSF_S6_EEENSQ_IJSG_SG_EEES6_PlJS6_EEE10hipError_tPvRmT3_T4_T5_T6_T7_T9_mT8_P12ihipStream_tbDpT10_ENKUlT_T0_E_clISt17integral_constantIbLb0EES1C_IbLb1EEEEDaS18_S19_EUlS18_E_NS1_11comp_targetILNS1_3genE9ELNS1_11target_archE1100ELNS1_3gpuE3ELNS1_3repE0EEENS1_30default_config_static_selectorELNS0_4arch9wavefront6targetE0EEEvT1_, .Lfunc_end2587-_ZN7rocprim17ROCPRIM_400000_NS6detail17trampoline_kernelINS0_14default_configENS1_25partition_config_selectorILNS1_17partition_subalgoE5EsNS0_10empty_typeEbEEZZNS1_14partition_implILS5_5ELb0ES3_mN6thrust23THRUST_200600_302600_NS6detail15normal_iteratorINSA_10device_ptrIsEEEEPS6_NSA_18transform_iteratorINSB_9not_fun_tI7is_trueIsEEENSC_INSD_IbEEEENSA_11use_defaultESO_EENS0_5tupleIJSF_S6_EEENSQ_IJSG_SG_EEES6_PlJS6_EEE10hipError_tPvRmT3_T4_T5_T6_T7_T9_mT8_P12ihipStream_tbDpT10_ENKUlT_T0_E_clISt17integral_constantIbLb0EES1C_IbLb1EEEEDaS18_S19_EUlS18_E_NS1_11comp_targetILNS1_3genE9ELNS1_11target_archE1100ELNS1_3gpuE3ELNS1_3repE0EEENS1_30default_config_static_selectorELNS0_4arch9wavefront6targetE0EEEvT1_
                                        ; -- End function
	.set _ZN7rocprim17ROCPRIM_400000_NS6detail17trampoline_kernelINS0_14default_configENS1_25partition_config_selectorILNS1_17partition_subalgoE5EsNS0_10empty_typeEbEEZZNS1_14partition_implILS5_5ELb0ES3_mN6thrust23THRUST_200600_302600_NS6detail15normal_iteratorINSA_10device_ptrIsEEEEPS6_NSA_18transform_iteratorINSB_9not_fun_tI7is_trueIsEEENSC_INSD_IbEEEENSA_11use_defaultESO_EENS0_5tupleIJSF_S6_EEENSQ_IJSG_SG_EEES6_PlJS6_EEE10hipError_tPvRmT3_T4_T5_T6_T7_T9_mT8_P12ihipStream_tbDpT10_ENKUlT_T0_E_clISt17integral_constantIbLb0EES1C_IbLb1EEEEDaS18_S19_EUlS18_E_NS1_11comp_targetILNS1_3genE9ELNS1_11target_archE1100ELNS1_3gpuE3ELNS1_3repE0EEENS1_30default_config_static_selectorELNS0_4arch9wavefront6targetE0EEEvT1_.num_vgpr, 0
	.set _ZN7rocprim17ROCPRIM_400000_NS6detail17trampoline_kernelINS0_14default_configENS1_25partition_config_selectorILNS1_17partition_subalgoE5EsNS0_10empty_typeEbEEZZNS1_14partition_implILS5_5ELb0ES3_mN6thrust23THRUST_200600_302600_NS6detail15normal_iteratorINSA_10device_ptrIsEEEEPS6_NSA_18transform_iteratorINSB_9not_fun_tI7is_trueIsEEENSC_INSD_IbEEEENSA_11use_defaultESO_EENS0_5tupleIJSF_S6_EEENSQ_IJSG_SG_EEES6_PlJS6_EEE10hipError_tPvRmT3_T4_T5_T6_T7_T9_mT8_P12ihipStream_tbDpT10_ENKUlT_T0_E_clISt17integral_constantIbLb0EES1C_IbLb1EEEEDaS18_S19_EUlS18_E_NS1_11comp_targetILNS1_3genE9ELNS1_11target_archE1100ELNS1_3gpuE3ELNS1_3repE0EEENS1_30default_config_static_selectorELNS0_4arch9wavefront6targetE0EEEvT1_.num_agpr, 0
	.set _ZN7rocprim17ROCPRIM_400000_NS6detail17trampoline_kernelINS0_14default_configENS1_25partition_config_selectorILNS1_17partition_subalgoE5EsNS0_10empty_typeEbEEZZNS1_14partition_implILS5_5ELb0ES3_mN6thrust23THRUST_200600_302600_NS6detail15normal_iteratorINSA_10device_ptrIsEEEEPS6_NSA_18transform_iteratorINSB_9not_fun_tI7is_trueIsEEENSC_INSD_IbEEEENSA_11use_defaultESO_EENS0_5tupleIJSF_S6_EEENSQ_IJSG_SG_EEES6_PlJS6_EEE10hipError_tPvRmT3_T4_T5_T6_T7_T9_mT8_P12ihipStream_tbDpT10_ENKUlT_T0_E_clISt17integral_constantIbLb0EES1C_IbLb1EEEEDaS18_S19_EUlS18_E_NS1_11comp_targetILNS1_3genE9ELNS1_11target_archE1100ELNS1_3gpuE3ELNS1_3repE0EEENS1_30default_config_static_selectorELNS0_4arch9wavefront6targetE0EEEvT1_.numbered_sgpr, 0
	.set _ZN7rocprim17ROCPRIM_400000_NS6detail17trampoline_kernelINS0_14default_configENS1_25partition_config_selectorILNS1_17partition_subalgoE5EsNS0_10empty_typeEbEEZZNS1_14partition_implILS5_5ELb0ES3_mN6thrust23THRUST_200600_302600_NS6detail15normal_iteratorINSA_10device_ptrIsEEEEPS6_NSA_18transform_iteratorINSB_9not_fun_tI7is_trueIsEEENSC_INSD_IbEEEENSA_11use_defaultESO_EENS0_5tupleIJSF_S6_EEENSQ_IJSG_SG_EEES6_PlJS6_EEE10hipError_tPvRmT3_T4_T5_T6_T7_T9_mT8_P12ihipStream_tbDpT10_ENKUlT_T0_E_clISt17integral_constantIbLb0EES1C_IbLb1EEEEDaS18_S19_EUlS18_E_NS1_11comp_targetILNS1_3genE9ELNS1_11target_archE1100ELNS1_3gpuE3ELNS1_3repE0EEENS1_30default_config_static_selectorELNS0_4arch9wavefront6targetE0EEEvT1_.num_named_barrier, 0
	.set _ZN7rocprim17ROCPRIM_400000_NS6detail17trampoline_kernelINS0_14default_configENS1_25partition_config_selectorILNS1_17partition_subalgoE5EsNS0_10empty_typeEbEEZZNS1_14partition_implILS5_5ELb0ES3_mN6thrust23THRUST_200600_302600_NS6detail15normal_iteratorINSA_10device_ptrIsEEEEPS6_NSA_18transform_iteratorINSB_9not_fun_tI7is_trueIsEEENSC_INSD_IbEEEENSA_11use_defaultESO_EENS0_5tupleIJSF_S6_EEENSQ_IJSG_SG_EEES6_PlJS6_EEE10hipError_tPvRmT3_T4_T5_T6_T7_T9_mT8_P12ihipStream_tbDpT10_ENKUlT_T0_E_clISt17integral_constantIbLb0EES1C_IbLb1EEEEDaS18_S19_EUlS18_E_NS1_11comp_targetILNS1_3genE9ELNS1_11target_archE1100ELNS1_3gpuE3ELNS1_3repE0EEENS1_30default_config_static_selectorELNS0_4arch9wavefront6targetE0EEEvT1_.private_seg_size, 0
	.set _ZN7rocprim17ROCPRIM_400000_NS6detail17trampoline_kernelINS0_14default_configENS1_25partition_config_selectorILNS1_17partition_subalgoE5EsNS0_10empty_typeEbEEZZNS1_14partition_implILS5_5ELb0ES3_mN6thrust23THRUST_200600_302600_NS6detail15normal_iteratorINSA_10device_ptrIsEEEEPS6_NSA_18transform_iteratorINSB_9not_fun_tI7is_trueIsEEENSC_INSD_IbEEEENSA_11use_defaultESO_EENS0_5tupleIJSF_S6_EEENSQ_IJSG_SG_EEES6_PlJS6_EEE10hipError_tPvRmT3_T4_T5_T6_T7_T9_mT8_P12ihipStream_tbDpT10_ENKUlT_T0_E_clISt17integral_constantIbLb0EES1C_IbLb1EEEEDaS18_S19_EUlS18_E_NS1_11comp_targetILNS1_3genE9ELNS1_11target_archE1100ELNS1_3gpuE3ELNS1_3repE0EEENS1_30default_config_static_selectorELNS0_4arch9wavefront6targetE0EEEvT1_.uses_vcc, 0
	.set _ZN7rocprim17ROCPRIM_400000_NS6detail17trampoline_kernelINS0_14default_configENS1_25partition_config_selectorILNS1_17partition_subalgoE5EsNS0_10empty_typeEbEEZZNS1_14partition_implILS5_5ELb0ES3_mN6thrust23THRUST_200600_302600_NS6detail15normal_iteratorINSA_10device_ptrIsEEEEPS6_NSA_18transform_iteratorINSB_9not_fun_tI7is_trueIsEEENSC_INSD_IbEEEENSA_11use_defaultESO_EENS0_5tupleIJSF_S6_EEENSQ_IJSG_SG_EEES6_PlJS6_EEE10hipError_tPvRmT3_T4_T5_T6_T7_T9_mT8_P12ihipStream_tbDpT10_ENKUlT_T0_E_clISt17integral_constantIbLb0EES1C_IbLb1EEEEDaS18_S19_EUlS18_E_NS1_11comp_targetILNS1_3genE9ELNS1_11target_archE1100ELNS1_3gpuE3ELNS1_3repE0EEENS1_30default_config_static_selectorELNS0_4arch9wavefront6targetE0EEEvT1_.uses_flat_scratch, 0
	.set _ZN7rocprim17ROCPRIM_400000_NS6detail17trampoline_kernelINS0_14default_configENS1_25partition_config_selectorILNS1_17partition_subalgoE5EsNS0_10empty_typeEbEEZZNS1_14partition_implILS5_5ELb0ES3_mN6thrust23THRUST_200600_302600_NS6detail15normal_iteratorINSA_10device_ptrIsEEEEPS6_NSA_18transform_iteratorINSB_9not_fun_tI7is_trueIsEEENSC_INSD_IbEEEENSA_11use_defaultESO_EENS0_5tupleIJSF_S6_EEENSQ_IJSG_SG_EEES6_PlJS6_EEE10hipError_tPvRmT3_T4_T5_T6_T7_T9_mT8_P12ihipStream_tbDpT10_ENKUlT_T0_E_clISt17integral_constantIbLb0EES1C_IbLb1EEEEDaS18_S19_EUlS18_E_NS1_11comp_targetILNS1_3genE9ELNS1_11target_archE1100ELNS1_3gpuE3ELNS1_3repE0EEENS1_30default_config_static_selectorELNS0_4arch9wavefront6targetE0EEEvT1_.has_dyn_sized_stack, 0
	.set _ZN7rocprim17ROCPRIM_400000_NS6detail17trampoline_kernelINS0_14default_configENS1_25partition_config_selectorILNS1_17partition_subalgoE5EsNS0_10empty_typeEbEEZZNS1_14partition_implILS5_5ELb0ES3_mN6thrust23THRUST_200600_302600_NS6detail15normal_iteratorINSA_10device_ptrIsEEEEPS6_NSA_18transform_iteratorINSB_9not_fun_tI7is_trueIsEEENSC_INSD_IbEEEENSA_11use_defaultESO_EENS0_5tupleIJSF_S6_EEENSQ_IJSG_SG_EEES6_PlJS6_EEE10hipError_tPvRmT3_T4_T5_T6_T7_T9_mT8_P12ihipStream_tbDpT10_ENKUlT_T0_E_clISt17integral_constantIbLb0EES1C_IbLb1EEEEDaS18_S19_EUlS18_E_NS1_11comp_targetILNS1_3genE9ELNS1_11target_archE1100ELNS1_3gpuE3ELNS1_3repE0EEENS1_30default_config_static_selectorELNS0_4arch9wavefront6targetE0EEEvT1_.has_recursion, 0
	.set _ZN7rocprim17ROCPRIM_400000_NS6detail17trampoline_kernelINS0_14default_configENS1_25partition_config_selectorILNS1_17partition_subalgoE5EsNS0_10empty_typeEbEEZZNS1_14partition_implILS5_5ELb0ES3_mN6thrust23THRUST_200600_302600_NS6detail15normal_iteratorINSA_10device_ptrIsEEEEPS6_NSA_18transform_iteratorINSB_9not_fun_tI7is_trueIsEEENSC_INSD_IbEEEENSA_11use_defaultESO_EENS0_5tupleIJSF_S6_EEENSQ_IJSG_SG_EEES6_PlJS6_EEE10hipError_tPvRmT3_T4_T5_T6_T7_T9_mT8_P12ihipStream_tbDpT10_ENKUlT_T0_E_clISt17integral_constantIbLb0EES1C_IbLb1EEEEDaS18_S19_EUlS18_E_NS1_11comp_targetILNS1_3genE9ELNS1_11target_archE1100ELNS1_3gpuE3ELNS1_3repE0EEENS1_30default_config_static_selectorELNS0_4arch9wavefront6targetE0EEEvT1_.has_indirect_call, 0
	.section	.AMDGPU.csdata,"",@progbits
; Kernel info:
; codeLenInByte = 0
; TotalNumSgprs: 0
; NumVgprs: 0
; ScratchSize: 0
; MemoryBound: 0
; FloatMode: 240
; IeeeMode: 1
; LDSByteSize: 0 bytes/workgroup (compile time only)
; SGPRBlocks: 0
; VGPRBlocks: 0
; NumSGPRsForWavesPerEU: 1
; NumVGPRsForWavesPerEU: 1
; Occupancy: 16
; WaveLimiterHint : 0
; COMPUTE_PGM_RSRC2:SCRATCH_EN: 0
; COMPUTE_PGM_RSRC2:USER_SGPR: 2
; COMPUTE_PGM_RSRC2:TRAP_HANDLER: 0
; COMPUTE_PGM_RSRC2:TGID_X_EN: 1
; COMPUTE_PGM_RSRC2:TGID_Y_EN: 0
; COMPUTE_PGM_RSRC2:TGID_Z_EN: 0
; COMPUTE_PGM_RSRC2:TIDIG_COMP_CNT: 0
	.section	.text._ZN7rocprim17ROCPRIM_400000_NS6detail17trampoline_kernelINS0_14default_configENS1_25partition_config_selectorILNS1_17partition_subalgoE5EsNS0_10empty_typeEbEEZZNS1_14partition_implILS5_5ELb0ES3_mN6thrust23THRUST_200600_302600_NS6detail15normal_iteratorINSA_10device_ptrIsEEEEPS6_NSA_18transform_iteratorINSB_9not_fun_tI7is_trueIsEEENSC_INSD_IbEEEENSA_11use_defaultESO_EENS0_5tupleIJSF_S6_EEENSQ_IJSG_SG_EEES6_PlJS6_EEE10hipError_tPvRmT3_T4_T5_T6_T7_T9_mT8_P12ihipStream_tbDpT10_ENKUlT_T0_E_clISt17integral_constantIbLb0EES1C_IbLb1EEEEDaS18_S19_EUlS18_E_NS1_11comp_targetILNS1_3genE8ELNS1_11target_archE1030ELNS1_3gpuE2ELNS1_3repE0EEENS1_30default_config_static_selectorELNS0_4arch9wavefront6targetE0EEEvT1_,"axG",@progbits,_ZN7rocprim17ROCPRIM_400000_NS6detail17trampoline_kernelINS0_14default_configENS1_25partition_config_selectorILNS1_17partition_subalgoE5EsNS0_10empty_typeEbEEZZNS1_14partition_implILS5_5ELb0ES3_mN6thrust23THRUST_200600_302600_NS6detail15normal_iteratorINSA_10device_ptrIsEEEEPS6_NSA_18transform_iteratorINSB_9not_fun_tI7is_trueIsEEENSC_INSD_IbEEEENSA_11use_defaultESO_EENS0_5tupleIJSF_S6_EEENSQ_IJSG_SG_EEES6_PlJS6_EEE10hipError_tPvRmT3_T4_T5_T6_T7_T9_mT8_P12ihipStream_tbDpT10_ENKUlT_T0_E_clISt17integral_constantIbLb0EES1C_IbLb1EEEEDaS18_S19_EUlS18_E_NS1_11comp_targetILNS1_3genE8ELNS1_11target_archE1030ELNS1_3gpuE2ELNS1_3repE0EEENS1_30default_config_static_selectorELNS0_4arch9wavefront6targetE0EEEvT1_,comdat
	.protected	_ZN7rocprim17ROCPRIM_400000_NS6detail17trampoline_kernelINS0_14default_configENS1_25partition_config_selectorILNS1_17partition_subalgoE5EsNS0_10empty_typeEbEEZZNS1_14partition_implILS5_5ELb0ES3_mN6thrust23THRUST_200600_302600_NS6detail15normal_iteratorINSA_10device_ptrIsEEEEPS6_NSA_18transform_iteratorINSB_9not_fun_tI7is_trueIsEEENSC_INSD_IbEEEENSA_11use_defaultESO_EENS0_5tupleIJSF_S6_EEENSQ_IJSG_SG_EEES6_PlJS6_EEE10hipError_tPvRmT3_T4_T5_T6_T7_T9_mT8_P12ihipStream_tbDpT10_ENKUlT_T0_E_clISt17integral_constantIbLb0EES1C_IbLb1EEEEDaS18_S19_EUlS18_E_NS1_11comp_targetILNS1_3genE8ELNS1_11target_archE1030ELNS1_3gpuE2ELNS1_3repE0EEENS1_30default_config_static_selectorELNS0_4arch9wavefront6targetE0EEEvT1_ ; -- Begin function _ZN7rocprim17ROCPRIM_400000_NS6detail17trampoline_kernelINS0_14default_configENS1_25partition_config_selectorILNS1_17partition_subalgoE5EsNS0_10empty_typeEbEEZZNS1_14partition_implILS5_5ELb0ES3_mN6thrust23THRUST_200600_302600_NS6detail15normal_iteratorINSA_10device_ptrIsEEEEPS6_NSA_18transform_iteratorINSB_9not_fun_tI7is_trueIsEEENSC_INSD_IbEEEENSA_11use_defaultESO_EENS0_5tupleIJSF_S6_EEENSQ_IJSG_SG_EEES6_PlJS6_EEE10hipError_tPvRmT3_T4_T5_T6_T7_T9_mT8_P12ihipStream_tbDpT10_ENKUlT_T0_E_clISt17integral_constantIbLb0EES1C_IbLb1EEEEDaS18_S19_EUlS18_E_NS1_11comp_targetILNS1_3genE8ELNS1_11target_archE1030ELNS1_3gpuE2ELNS1_3repE0EEENS1_30default_config_static_selectorELNS0_4arch9wavefront6targetE0EEEvT1_
	.globl	_ZN7rocprim17ROCPRIM_400000_NS6detail17trampoline_kernelINS0_14default_configENS1_25partition_config_selectorILNS1_17partition_subalgoE5EsNS0_10empty_typeEbEEZZNS1_14partition_implILS5_5ELb0ES3_mN6thrust23THRUST_200600_302600_NS6detail15normal_iteratorINSA_10device_ptrIsEEEEPS6_NSA_18transform_iteratorINSB_9not_fun_tI7is_trueIsEEENSC_INSD_IbEEEENSA_11use_defaultESO_EENS0_5tupleIJSF_S6_EEENSQ_IJSG_SG_EEES6_PlJS6_EEE10hipError_tPvRmT3_T4_T5_T6_T7_T9_mT8_P12ihipStream_tbDpT10_ENKUlT_T0_E_clISt17integral_constantIbLb0EES1C_IbLb1EEEEDaS18_S19_EUlS18_E_NS1_11comp_targetILNS1_3genE8ELNS1_11target_archE1030ELNS1_3gpuE2ELNS1_3repE0EEENS1_30default_config_static_selectorELNS0_4arch9wavefront6targetE0EEEvT1_
	.p2align	8
	.type	_ZN7rocprim17ROCPRIM_400000_NS6detail17trampoline_kernelINS0_14default_configENS1_25partition_config_selectorILNS1_17partition_subalgoE5EsNS0_10empty_typeEbEEZZNS1_14partition_implILS5_5ELb0ES3_mN6thrust23THRUST_200600_302600_NS6detail15normal_iteratorINSA_10device_ptrIsEEEEPS6_NSA_18transform_iteratorINSB_9not_fun_tI7is_trueIsEEENSC_INSD_IbEEEENSA_11use_defaultESO_EENS0_5tupleIJSF_S6_EEENSQ_IJSG_SG_EEES6_PlJS6_EEE10hipError_tPvRmT3_T4_T5_T6_T7_T9_mT8_P12ihipStream_tbDpT10_ENKUlT_T0_E_clISt17integral_constantIbLb0EES1C_IbLb1EEEEDaS18_S19_EUlS18_E_NS1_11comp_targetILNS1_3genE8ELNS1_11target_archE1030ELNS1_3gpuE2ELNS1_3repE0EEENS1_30default_config_static_selectorELNS0_4arch9wavefront6targetE0EEEvT1_,@function
_ZN7rocprim17ROCPRIM_400000_NS6detail17trampoline_kernelINS0_14default_configENS1_25partition_config_selectorILNS1_17partition_subalgoE5EsNS0_10empty_typeEbEEZZNS1_14partition_implILS5_5ELb0ES3_mN6thrust23THRUST_200600_302600_NS6detail15normal_iteratorINSA_10device_ptrIsEEEEPS6_NSA_18transform_iteratorINSB_9not_fun_tI7is_trueIsEEENSC_INSD_IbEEEENSA_11use_defaultESO_EENS0_5tupleIJSF_S6_EEENSQ_IJSG_SG_EEES6_PlJS6_EEE10hipError_tPvRmT3_T4_T5_T6_T7_T9_mT8_P12ihipStream_tbDpT10_ENKUlT_T0_E_clISt17integral_constantIbLb0EES1C_IbLb1EEEEDaS18_S19_EUlS18_E_NS1_11comp_targetILNS1_3genE8ELNS1_11target_archE1030ELNS1_3gpuE2ELNS1_3repE0EEENS1_30default_config_static_selectorELNS0_4arch9wavefront6targetE0EEEvT1_: ; @_ZN7rocprim17ROCPRIM_400000_NS6detail17trampoline_kernelINS0_14default_configENS1_25partition_config_selectorILNS1_17partition_subalgoE5EsNS0_10empty_typeEbEEZZNS1_14partition_implILS5_5ELb0ES3_mN6thrust23THRUST_200600_302600_NS6detail15normal_iteratorINSA_10device_ptrIsEEEEPS6_NSA_18transform_iteratorINSB_9not_fun_tI7is_trueIsEEENSC_INSD_IbEEEENSA_11use_defaultESO_EENS0_5tupleIJSF_S6_EEENSQ_IJSG_SG_EEES6_PlJS6_EEE10hipError_tPvRmT3_T4_T5_T6_T7_T9_mT8_P12ihipStream_tbDpT10_ENKUlT_T0_E_clISt17integral_constantIbLb0EES1C_IbLb1EEEEDaS18_S19_EUlS18_E_NS1_11comp_targetILNS1_3genE8ELNS1_11target_archE1030ELNS1_3gpuE2ELNS1_3repE0EEENS1_30default_config_static_selectorELNS0_4arch9wavefront6targetE0EEEvT1_
; %bb.0:
	.section	.rodata,"a",@progbits
	.p2align	6, 0x0
	.amdhsa_kernel _ZN7rocprim17ROCPRIM_400000_NS6detail17trampoline_kernelINS0_14default_configENS1_25partition_config_selectorILNS1_17partition_subalgoE5EsNS0_10empty_typeEbEEZZNS1_14partition_implILS5_5ELb0ES3_mN6thrust23THRUST_200600_302600_NS6detail15normal_iteratorINSA_10device_ptrIsEEEEPS6_NSA_18transform_iteratorINSB_9not_fun_tI7is_trueIsEEENSC_INSD_IbEEEENSA_11use_defaultESO_EENS0_5tupleIJSF_S6_EEENSQ_IJSG_SG_EEES6_PlJS6_EEE10hipError_tPvRmT3_T4_T5_T6_T7_T9_mT8_P12ihipStream_tbDpT10_ENKUlT_T0_E_clISt17integral_constantIbLb0EES1C_IbLb1EEEEDaS18_S19_EUlS18_E_NS1_11comp_targetILNS1_3genE8ELNS1_11target_archE1030ELNS1_3gpuE2ELNS1_3repE0EEENS1_30default_config_static_selectorELNS0_4arch9wavefront6targetE0EEEvT1_
		.amdhsa_group_segment_fixed_size 0
		.amdhsa_private_segment_fixed_size 0
		.amdhsa_kernarg_size 136
		.amdhsa_user_sgpr_count 2
		.amdhsa_user_sgpr_dispatch_ptr 0
		.amdhsa_user_sgpr_queue_ptr 0
		.amdhsa_user_sgpr_kernarg_segment_ptr 1
		.amdhsa_user_sgpr_dispatch_id 0
		.amdhsa_user_sgpr_private_segment_size 0
		.amdhsa_wavefront_size32 1
		.amdhsa_uses_dynamic_stack 0
		.amdhsa_enable_private_segment 0
		.amdhsa_system_sgpr_workgroup_id_x 1
		.amdhsa_system_sgpr_workgroup_id_y 0
		.amdhsa_system_sgpr_workgroup_id_z 0
		.amdhsa_system_sgpr_workgroup_info 0
		.amdhsa_system_vgpr_workitem_id 0
		.amdhsa_next_free_vgpr 1
		.amdhsa_next_free_sgpr 1
		.amdhsa_reserve_vcc 0
		.amdhsa_float_round_mode_32 0
		.amdhsa_float_round_mode_16_64 0
		.amdhsa_float_denorm_mode_32 3
		.amdhsa_float_denorm_mode_16_64 3
		.amdhsa_fp16_overflow 0
		.amdhsa_workgroup_processor_mode 1
		.amdhsa_memory_ordered 1
		.amdhsa_forward_progress 1
		.amdhsa_inst_pref_size 0
		.amdhsa_round_robin_scheduling 0
		.amdhsa_exception_fp_ieee_invalid_op 0
		.amdhsa_exception_fp_denorm_src 0
		.amdhsa_exception_fp_ieee_div_zero 0
		.amdhsa_exception_fp_ieee_overflow 0
		.amdhsa_exception_fp_ieee_underflow 0
		.amdhsa_exception_fp_ieee_inexact 0
		.amdhsa_exception_int_div_zero 0
	.end_amdhsa_kernel
	.section	.text._ZN7rocprim17ROCPRIM_400000_NS6detail17trampoline_kernelINS0_14default_configENS1_25partition_config_selectorILNS1_17partition_subalgoE5EsNS0_10empty_typeEbEEZZNS1_14partition_implILS5_5ELb0ES3_mN6thrust23THRUST_200600_302600_NS6detail15normal_iteratorINSA_10device_ptrIsEEEEPS6_NSA_18transform_iteratorINSB_9not_fun_tI7is_trueIsEEENSC_INSD_IbEEEENSA_11use_defaultESO_EENS0_5tupleIJSF_S6_EEENSQ_IJSG_SG_EEES6_PlJS6_EEE10hipError_tPvRmT3_T4_T5_T6_T7_T9_mT8_P12ihipStream_tbDpT10_ENKUlT_T0_E_clISt17integral_constantIbLb0EES1C_IbLb1EEEEDaS18_S19_EUlS18_E_NS1_11comp_targetILNS1_3genE8ELNS1_11target_archE1030ELNS1_3gpuE2ELNS1_3repE0EEENS1_30default_config_static_selectorELNS0_4arch9wavefront6targetE0EEEvT1_,"axG",@progbits,_ZN7rocprim17ROCPRIM_400000_NS6detail17trampoline_kernelINS0_14default_configENS1_25partition_config_selectorILNS1_17partition_subalgoE5EsNS0_10empty_typeEbEEZZNS1_14partition_implILS5_5ELb0ES3_mN6thrust23THRUST_200600_302600_NS6detail15normal_iteratorINSA_10device_ptrIsEEEEPS6_NSA_18transform_iteratorINSB_9not_fun_tI7is_trueIsEEENSC_INSD_IbEEEENSA_11use_defaultESO_EENS0_5tupleIJSF_S6_EEENSQ_IJSG_SG_EEES6_PlJS6_EEE10hipError_tPvRmT3_T4_T5_T6_T7_T9_mT8_P12ihipStream_tbDpT10_ENKUlT_T0_E_clISt17integral_constantIbLb0EES1C_IbLb1EEEEDaS18_S19_EUlS18_E_NS1_11comp_targetILNS1_3genE8ELNS1_11target_archE1030ELNS1_3gpuE2ELNS1_3repE0EEENS1_30default_config_static_selectorELNS0_4arch9wavefront6targetE0EEEvT1_,comdat
.Lfunc_end2588:
	.size	_ZN7rocprim17ROCPRIM_400000_NS6detail17trampoline_kernelINS0_14default_configENS1_25partition_config_selectorILNS1_17partition_subalgoE5EsNS0_10empty_typeEbEEZZNS1_14partition_implILS5_5ELb0ES3_mN6thrust23THRUST_200600_302600_NS6detail15normal_iteratorINSA_10device_ptrIsEEEEPS6_NSA_18transform_iteratorINSB_9not_fun_tI7is_trueIsEEENSC_INSD_IbEEEENSA_11use_defaultESO_EENS0_5tupleIJSF_S6_EEENSQ_IJSG_SG_EEES6_PlJS6_EEE10hipError_tPvRmT3_T4_T5_T6_T7_T9_mT8_P12ihipStream_tbDpT10_ENKUlT_T0_E_clISt17integral_constantIbLb0EES1C_IbLb1EEEEDaS18_S19_EUlS18_E_NS1_11comp_targetILNS1_3genE8ELNS1_11target_archE1030ELNS1_3gpuE2ELNS1_3repE0EEENS1_30default_config_static_selectorELNS0_4arch9wavefront6targetE0EEEvT1_, .Lfunc_end2588-_ZN7rocprim17ROCPRIM_400000_NS6detail17trampoline_kernelINS0_14default_configENS1_25partition_config_selectorILNS1_17partition_subalgoE5EsNS0_10empty_typeEbEEZZNS1_14partition_implILS5_5ELb0ES3_mN6thrust23THRUST_200600_302600_NS6detail15normal_iteratorINSA_10device_ptrIsEEEEPS6_NSA_18transform_iteratorINSB_9not_fun_tI7is_trueIsEEENSC_INSD_IbEEEENSA_11use_defaultESO_EENS0_5tupleIJSF_S6_EEENSQ_IJSG_SG_EEES6_PlJS6_EEE10hipError_tPvRmT3_T4_T5_T6_T7_T9_mT8_P12ihipStream_tbDpT10_ENKUlT_T0_E_clISt17integral_constantIbLb0EES1C_IbLb1EEEEDaS18_S19_EUlS18_E_NS1_11comp_targetILNS1_3genE8ELNS1_11target_archE1030ELNS1_3gpuE2ELNS1_3repE0EEENS1_30default_config_static_selectorELNS0_4arch9wavefront6targetE0EEEvT1_
                                        ; -- End function
	.set _ZN7rocprim17ROCPRIM_400000_NS6detail17trampoline_kernelINS0_14default_configENS1_25partition_config_selectorILNS1_17partition_subalgoE5EsNS0_10empty_typeEbEEZZNS1_14partition_implILS5_5ELb0ES3_mN6thrust23THRUST_200600_302600_NS6detail15normal_iteratorINSA_10device_ptrIsEEEEPS6_NSA_18transform_iteratorINSB_9not_fun_tI7is_trueIsEEENSC_INSD_IbEEEENSA_11use_defaultESO_EENS0_5tupleIJSF_S6_EEENSQ_IJSG_SG_EEES6_PlJS6_EEE10hipError_tPvRmT3_T4_T5_T6_T7_T9_mT8_P12ihipStream_tbDpT10_ENKUlT_T0_E_clISt17integral_constantIbLb0EES1C_IbLb1EEEEDaS18_S19_EUlS18_E_NS1_11comp_targetILNS1_3genE8ELNS1_11target_archE1030ELNS1_3gpuE2ELNS1_3repE0EEENS1_30default_config_static_selectorELNS0_4arch9wavefront6targetE0EEEvT1_.num_vgpr, 0
	.set _ZN7rocprim17ROCPRIM_400000_NS6detail17trampoline_kernelINS0_14default_configENS1_25partition_config_selectorILNS1_17partition_subalgoE5EsNS0_10empty_typeEbEEZZNS1_14partition_implILS5_5ELb0ES3_mN6thrust23THRUST_200600_302600_NS6detail15normal_iteratorINSA_10device_ptrIsEEEEPS6_NSA_18transform_iteratorINSB_9not_fun_tI7is_trueIsEEENSC_INSD_IbEEEENSA_11use_defaultESO_EENS0_5tupleIJSF_S6_EEENSQ_IJSG_SG_EEES6_PlJS6_EEE10hipError_tPvRmT3_T4_T5_T6_T7_T9_mT8_P12ihipStream_tbDpT10_ENKUlT_T0_E_clISt17integral_constantIbLb0EES1C_IbLb1EEEEDaS18_S19_EUlS18_E_NS1_11comp_targetILNS1_3genE8ELNS1_11target_archE1030ELNS1_3gpuE2ELNS1_3repE0EEENS1_30default_config_static_selectorELNS0_4arch9wavefront6targetE0EEEvT1_.num_agpr, 0
	.set _ZN7rocprim17ROCPRIM_400000_NS6detail17trampoline_kernelINS0_14default_configENS1_25partition_config_selectorILNS1_17partition_subalgoE5EsNS0_10empty_typeEbEEZZNS1_14partition_implILS5_5ELb0ES3_mN6thrust23THRUST_200600_302600_NS6detail15normal_iteratorINSA_10device_ptrIsEEEEPS6_NSA_18transform_iteratorINSB_9not_fun_tI7is_trueIsEEENSC_INSD_IbEEEENSA_11use_defaultESO_EENS0_5tupleIJSF_S6_EEENSQ_IJSG_SG_EEES6_PlJS6_EEE10hipError_tPvRmT3_T4_T5_T6_T7_T9_mT8_P12ihipStream_tbDpT10_ENKUlT_T0_E_clISt17integral_constantIbLb0EES1C_IbLb1EEEEDaS18_S19_EUlS18_E_NS1_11comp_targetILNS1_3genE8ELNS1_11target_archE1030ELNS1_3gpuE2ELNS1_3repE0EEENS1_30default_config_static_selectorELNS0_4arch9wavefront6targetE0EEEvT1_.numbered_sgpr, 0
	.set _ZN7rocprim17ROCPRIM_400000_NS6detail17trampoline_kernelINS0_14default_configENS1_25partition_config_selectorILNS1_17partition_subalgoE5EsNS0_10empty_typeEbEEZZNS1_14partition_implILS5_5ELb0ES3_mN6thrust23THRUST_200600_302600_NS6detail15normal_iteratorINSA_10device_ptrIsEEEEPS6_NSA_18transform_iteratorINSB_9not_fun_tI7is_trueIsEEENSC_INSD_IbEEEENSA_11use_defaultESO_EENS0_5tupleIJSF_S6_EEENSQ_IJSG_SG_EEES6_PlJS6_EEE10hipError_tPvRmT3_T4_T5_T6_T7_T9_mT8_P12ihipStream_tbDpT10_ENKUlT_T0_E_clISt17integral_constantIbLb0EES1C_IbLb1EEEEDaS18_S19_EUlS18_E_NS1_11comp_targetILNS1_3genE8ELNS1_11target_archE1030ELNS1_3gpuE2ELNS1_3repE0EEENS1_30default_config_static_selectorELNS0_4arch9wavefront6targetE0EEEvT1_.num_named_barrier, 0
	.set _ZN7rocprim17ROCPRIM_400000_NS6detail17trampoline_kernelINS0_14default_configENS1_25partition_config_selectorILNS1_17partition_subalgoE5EsNS0_10empty_typeEbEEZZNS1_14partition_implILS5_5ELb0ES3_mN6thrust23THRUST_200600_302600_NS6detail15normal_iteratorINSA_10device_ptrIsEEEEPS6_NSA_18transform_iteratorINSB_9not_fun_tI7is_trueIsEEENSC_INSD_IbEEEENSA_11use_defaultESO_EENS0_5tupleIJSF_S6_EEENSQ_IJSG_SG_EEES6_PlJS6_EEE10hipError_tPvRmT3_T4_T5_T6_T7_T9_mT8_P12ihipStream_tbDpT10_ENKUlT_T0_E_clISt17integral_constantIbLb0EES1C_IbLb1EEEEDaS18_S19_EUlS18_E_NS1_11comp_targetILNS1_3genE8ELNS1_11target_archE1030ELNS1_3gpuE2ELNS1_3repE0EEENS1_30default_config_static_selectorELNS0_4arch9wavefront6targetE0EEEvT1_.private_seg_size, 0
	.set _ZN7rocprim17ROCPRIM_400000_NS6detail17trampoline_kernelINS0_14default_configENS1_25partition_config_selectorILNS1_17partition_subalgoE5EsNS0_10empty_typeEbEEZZNS1_14partition_implILS5_5ELb0ES3_mN6thrust23THRUST_200600_302600_NS6detail15normal_iteratorINSA_10device_ptrIsEEEEPS6_NSA_18transform_iteratorINSB_9not_fun_tI7is_trueIsEEENSC_INSD_IbEEEENSA_11use_defaultESO_EENS0_5tupleIJSF_S6_EEENSQ_IJSG_SG_EEES6_PlJS6_EEE10hipError_tPvRmT3_T4_T5_T6_T7_T9_mT8_P12ihipStream_tbDpT10_ENKUlT_T0_E_clISt17integral_constantIbLb0EES1C_IbLb1EEEEDaS18_S19_EUlS18_E_NS1_11comp_targetILNS1_3genE8ELNS1_11target_archE1030ELNS1_3gpuE2ELNS1_3repE0EEENS1_30default_config_static_selectorELNS0_4arch9wavefront6targetE0EEEvT1_.uses_vcc, 0
	.set _ZN7rocprim17ROCPRIM_400000_NS6detail17trampoline_kernelINS0_14default_configENS1_25partition_config_selectorILNS1_17partition_subalgoE5EsNS0_10empty_typeEbEEZZNS1_14partition_implILS5_5ELb0ES3_mN6thrust23THRUST_200600_302600_NS6detail15normal_iteratorINSA_10device_ptrIsEEEEPS6_NSA_18transform_iteratorINSB_9not_fun_tI7is_trueIsEEENSC_INSD_IbEEEENSA_11use_defaultESO_EENS0_5tupleIJSF_S6_EEENSQ_IJSG_SG_EEES6_PlJS6_EEE10hipError_tPvRmT3_T4_T5_T6_T7_T9_mT8_P12ihipStream_tbDpT10_ENKUlT_T0_E_clISt17integral_constantIbLb0EES1C_IbLb1EEEEDaS18_S19_EUlS18_E_NS1_11comp_targetILNS1_3genE8ELNS1_11target_archE1030ELNS1_3gpuE2ELNS1_3repE0EEENS1_30default_config_static_selectorELNS0_4arch9wavefront6targetE0EEEvT1_.uses_flat_scratch, 0
	.set _ZN7rocprim17ROCPRIM_400000_NS6detail17trampoline_kernelINS0_14default_configENS1_25partition_config_selectorILNS1_17partition_subalgoE5EsNS0_10empty_typeEbEEZZNS1_14partition_implILS5_5ELb0ES3_mN6thrust23THRUST_200600_302600_NS6detail15normal_iteratorINSA_10device_ptrIsEEEEPS6_NSA_18transform_iteratorINSB_9not_fun_tI7is_trueIsEEENSC_INSD_IbEEEENSA_11use_defaultESO_EENS0_5tupleIJSF_S6_EEENSQ_IJSG_SG_EEES6_PlJS6_EEE10hipError_tPvRmT3_T4_T5_T6_T7_T9_mT8_P12ihipStream_tbDpT10_ENKUlT_T0_E_clISt17integral_constantIbLb0EES1C_IbLb1EEEEDaS18_S19_EUlS18_E_NS1_11comp_targetILNS1_3genE8ELNS1_11target_archE1030ELNS1_3gpuE2ELNS1_3repE0EEENS1_30default_config_static_selectorELNS0_4arch9wavefront6targetE0EEEvT1_.has_dyn_sized_stack, 0
	.set _ZN7rocprim17ROCPRIM_400000_NS6detail17trampoline_kernelINS0_14default_configENS1_25partition_config_selectorILNS1_17partition_subalgoE5EsNS0_10empty_typeEbEEZZNS1_14partition_implILS5_5ELb0ES3_mN6thrust23THRUST_200600_302600_NS6detail15normal_iteratorINSA_10device_ptrIsEEEEPS6_NSA_18transform_iteratorINSB_9not_fun_tI7is_trueIsEEENSC_INSD_IbEEEENSA_11use_defaultESO_EENS0_5tupleIJSF_S6_EEENSQ_IJSG_SG_EEES6_PlJS6_EEE10hipError_tPvRmT3_T4_T5_T6_T7_T9_mT8_P12ihipStream_tbDpT10_ENKUlT_T0_E_clISt17integral_constantIbLb0EES1C_IbLb1EEEEDaS18_S19_EUlS18_E_NS1_11comp_targetILNS1_3genE8ELNS1_11target_archE1030ELNS1_3gpuE2ELNS1_3repE0EEENS1_30default_config_static_selectorELNS0_4arch9wavefront6targetE0EEEvT1_.has_recursion, 0
	.set _ZN7rocprim17ROCPRIM_400000_NS6detail17trampoline_kernelINS0_14default_configENS1_25partition_config_selectorILNS1_17partition_subalgoE5EsNS0_10empty_typeEbEEZZNS1_14partition_implILS5_5ELb0ES3_mN6thrust23THRUST_200600_302600_NS6detail15normal_iteratorINSA_10device_ptrIsEEEEPS6_NSA_18transform_iteratorINSB_9not_fun_tI7is_trueIsEEENSC_INSD_IbEEEENSA_11use_defaultESO_EENS0_5tupleIJSF_S6_EEENSQ_IJSG_SG_EEES6_PlJS6_EEE10hipError_tPvRmT3_T4_T5_T6_T7_T9_mT8_P12ihipStream_tbDpT10_ENKUlT_T0_E_clISt17integral_constantIbLb0EES1C_IbLb1EEEEDaS18_S19_EUlS18_E_NS1_11comp_targetILNS1_3genE8ELNS1_11target_archE1030ELNS1_3gpuE2ELNS1_3repE0EEENS1_30default_config_static_selectorELNS0_4arch9wavefront6targetE0EEEvT1_.has_indirect_call, 0
	.section	.AMDGPU.csdata,"",@progbits
; Kernel info:
; codeLenInByte = 0
; TotalNumSgprs: 0
; NumVgprs: 0
; ScratchSize: 0
; MemoryBound: 0
; FloatMode: 240
; IeeeMode: 1
; LDSByteSize: 0 bytes/workgroup (compile time only)
; SGPRBlocks: 0
; VGPRBlocks: 0
; NumSGPRsForWavesPerEU: 1
; NumVGPRsForWavesPerEU: 1
; Occupancy: 16
; WaveLimiterHint : 0
; COMPUTE_PGM_RSRC2:SCRATCH_EN: 0
; COMPUTE_PGM_RSRC2:USER_SGPR: 2
; COMPUTE_PGM_RSRC2:TRAP_HANDLER: 0
; COMPUTE_PGM_RSRC2:TGID_X_EN: 1
; COMPUTE_PGM_RSRC2:TGID_Y_EN: 0
; COMPUTE_PGM_RSRC2:TGID_Z_EN: 0
; COMPUTE_PGM_RSRC2:TIDIG_COMP_CNT: 0
	.section	.text._ZN7rocprim17ROCPRIM_400000_NS6detail17trampoline_kernelINS0_14default_configENS1_25partition_config_selectorILNS1_17partition_subalgoE5EdNS0_10empty_typeEbEEZZNS1_14partition_implILS5_5ELb0ES3_mN6thrust23THRUST_200600_302600_NS6detail15normal_iteratorINSA_10device_ptrIdEEEEPS6_NSA_18transform_iteratorINSB_9not_fun_tI7is_trueIdEEENSC_INSD_IbEEEENSA_11use_defaultESO_EENS0_5tupleIJNSA_16discard_iteratorISO_EES6_EEENSQ_IJSG_SG_EEES6_PlJS6_EEE10hipError_tPvRmT3_T4_T5_T6_T7_T9_mT8_P12ihipStream_tbDpT10_ENKUlT_T0_E_clISt17integral_constantIbLb0EES1F_EEDaS1A_S1B_EUlS1A_E_NS1_11comp_targetILNS1_3genE0ELNS1_11target_archE4294967295ELNS1_3gpuE0ELNS1_3repE0EEENS1_30default_config_static_selectorELNS0_4arch9wavefront6targetE0EEEvT1_,"axG",@progbits,_ZN7rocprim17ROCPRIM_400000_NS6detail17trampoline_kernelINS0_14default_configENS1_25partition_config_selectorILNS1_17partition_subalgoE5EdNS0_10empty_typeEbEEZZNS1_14partition_implILS5_5ELb0ES3_mN6thrust23THRUST_200600_302600_NS6detail15normal_iteratorINSA_10device_ptrIdEEEEPS6_NSA_18transform_iteratorINSB_9not_fun_tI7is_trueIdEEENSC_INSD_IbEEEENSA_11use_defaultESO_EENS0_5tupleIJNSA_16discard_iteratorISO_EES6_EEENSQ_IJSG_SG_EEES6_PlJS6_EEE10hipError_tPvRmT3_T4_T5_T6_T7_T9_mT8_P12ihipStream_tbDpT10_ENKUlT_T0_E_clISt17integral_constantIbLb0EES1F_EEDaS1A_S1B_EUlS1A_E_NS1_11comp_targetILNS1_3genE0ELNS1_11target_archE4294967295ELNS1_3gpuE0ELNS1_3repE0EEENS1_30default_config_static_selectorELNS0_4arch9wavefront6targetE0EEEvT1_,comdat
	.protected	_ZN7rocprim17ROCPRIM_400000_NS6detail17trampoline_kernelINS0_14default_configENS1_25partition_config_selectorILNS1_17partition_subalgoE5EdNS0_10empty_typeEbEEZZNS1_14partition_implILS5_5ELb0ES3_mN6thrust23THRUST_200600_302600_NS6detail15normal_iteratorINSA_10device_ptrIdEEEEPS6_NSA_18transform_iteratorINSB_9not_fun_tI7is_trueIdEEENSC_INSD_IbEEEENSA_11use_defaultESO_EENS0_5tupleIJNSA_16discard_iteratorISO_EES6_EEENSQ_IJSG_SG_EEES6_PlJS6_EEE10hipError_tPvRmT3_T4_T5_T6_T7_T9_mT8_P12ihipStream_tbDpT10_ENKUlT_T0_E_clISt17integral_constantIbLb0EES1F_EEDaS1A_S1B_EUlS1A_E_NS1_11comp_targetILNS1_3genE0ELNS1_11target_archE4294967295ELNS1_3gpuE0ELNS1_3repE0EEENS1_30default_config_static_selectorELNS0_4arch9wavefront6targetE0EEEvT1_ ; -- Begin function _ZN7rocprim17ROCPRIM_400000_NS6detail17trampoline_kernelINS0_14default_configENS1_25partition_config_selectorILNS1_17partition_subalgoE5EdNS0_10empty_typeEbEEZZNS1_14partition_implILS5_5ELb0ES3_mN6thrust23THRUST_200600_302600_NS6detail15normal_iteratorINSA_10device_ptrIdEEEEPS6_NSA_18transform_iteratorINSB_9not_fun_tI7is_trueIdEEENSC_INSD_IbEEEENSA_11use_defaultESO_EENS0_5tupleIJNSA_16discard_iteratorISO_EES6_EEENSQ_IJSG_SG_EEES6_PlJS6_EEE10hipError_tPvRmT3_T4_T5_T6_T7_T9_mT8_P12ihipStream_tbDpT10_ENKUlT_T0_E_clISt17integral_constantIbLb0EES1F_EEDaS1A_S1B_EUlS1A_E_NS1_11comp_targetILNS1_3genE0ELNS1_11target_archE4294967295ELNS1_3gpuE0ELNS1_3repE0EEENS1_30default_config_static_selectorELNS0_4arch9wavefront6targetE0EEEvT1_
	.globl	_ZN7rocprim17ROCPRIM_400000_NS6detail17trampoline_kernelINS0_14default_configENS1_25partition_config_selectorILNS1_17partition_subalgoE5EdNS0_10empty_typeEbEEZZNS1_14partition_implILS5_5ELb0ES3_mN6thrust23THRUST_200600_302600_NS6detail15normal_iteratorINSA_10device_ptrIdEEEEPS6_NSA_18transform_iteratorINSB_9not_fun_tI7is_trueIdEEENSC_INSD_IbEEEENSA_11use_defaultESO_EENS0_5tupleIJNSA_16discard_iteratorISO_EES6_EEENSQ_IJSG_SG_EEES6_PlJS6_EEE10hipError_tPvRmT3_T4_T5_T6_T7_T9_mT8_P12ihipStream_tbDpT10_ENKUlT_T0_E_clISt17integral_constantIbLb0EES1F_EEDaS1A_S1B_EUlS1A_E_NS1_11comp_targetILNS1_3genE0ELNS1_11target_archE4294967295ELNS1_3gpuE0ELNS1_3repE0EEENS1_30default_config_static_selectorELNS0_4arch9wavefront6targetE0EEEvT1_
	.p2align	8
	.type	_ZN7rocprim17ROCPRIM_400000_NS6detail17trampoline_kernelINS0_14default_configENS1_25partition_config_selectorILNS1_17partition_subalgoE5EdNS0_10empty_typeEbEEZZNS1_14partition_implILS5_5ELb0ES3_mN6thrust23THRUST_200600_302600_NS6detail15normal_iteratorINSA_10device_ptrIdEEEEPS6_NSA_18transform_iteratorINSB_9not_fun_tI7is_trueIdEEENSC_INSD_IbEEEENSA_11use_defaultESO_EENS0_5tupleIJNSA_16discard_iteratorISO_EES6_EEENSQ_IJSG_SG_EEES6_PlJS6_EEE10hipError_tPvRmT3_T4_T5_T6_T7_T9_mT8_P12ihipStream_tbDpT10_ENKUlT_T0_E_clISt17integral_constantIbLb0EES1F_EEDaS1A_S1B_EUlS1A_E_NS1_11comp_targetILNS1_3genE0ELNS1_11target_archE4294967295ELNS1_3gpuE0ELNS1_3repE0EEENS1_30default_config_static_selectorELNS0_4arch9wavefront6targetE0EEEvT1_,@function
_ZN7rocprim17ROCPRIM_400000_NS6detail17trampoline_kernelINS0_14default_configENS1_25partition_config_selectorILNS1_17partition_subalgoE5EdNS0_10empty_typeEbEEZZNS1_14partition_implILS5_5ELb0ES3_mN6thrust23THRUST_200600_302600_NS6detail15normal_iteratorINSA_10device_ptrIdEEEEPS6_NSA_18transform_iteratorINSB_9not_fun_tI7is_trueIdEEENSC_INSD_IbEEEENSA_11use_defaultESO_EENS0_5tupleIJNSA_16discard_iteratorISO_EES6_EEENSQ_IJSG_SG_EEES6_PlJS6_EEE10hipError_tPvRmT3_T4_T5_T6_T7_T9_mT8_P12ihipStream_tbDpT10_ENKUlT_T0_E_clISt17integral_constantIbLb0EES1F_EEDaS1A_S1B_EUlS1A_E_NS1_11comp_targetILNS1_3genE0ELNS1_11target_archE4294967295ELNS1_3gpuE0ELNS1_3repE0EEENS1_30default_config_static_selectorELNS0_4arch9wavefront6targetE0EEEvT1_: ; @_ZN7rocprim17ROCPRIM_400000_NS6detail17trampoline_kernelINS0_14default_configENS1_25partition_config_selectorILNS1_17partition_subalgoE5EdNS0_10empty_typeEbEEZZNS1_14partition_implILS5_5ELb0ES3_mN6thrust23THRUST_200600_302600_NS6detail15normal_iteratorINSA_10device_ptrIdEEEEPS6_NSA_18transform_iteratorINSB_9not_fun_tI7is_trueIdEEENSC_INSD_IbEEEENSA_11use_defaultESO_EENS0_5tupleIJNSA_16discard_iteratorISO_EES6_EEENSQ_IJSG_SG_EEES6_PlJS6_EEE10hipError_tPvRmT3_T4_T5_T6_T7_T9_mT8_P12ihipStream_tbDpT10_ENKUlT_T0_E_clISt17integral_constantIbLb0EES1F_EEDaS1A_S1B_EUlS1A_E_NS1_11comp_targetILNS1_3genE0ELNS1_11target_archE4294967295ELNS1_3gpuE0ELNS1_3repE0EEENS1_30default_config_static_selectorELNS0_4arch9wavefront6targetE0EEEvT1_
; %bb.0:
	.section	.rodata,"a",@progbits
	.p2align	6, 0x0
	.amdhsa_kernel _ZN7rocprim17ROCPRIM_400000_NS6detail17trampoline_kernelINS0_14default_configENS1_25partition_config_selectorILNS1_17partition_subalgoE5EdNS0_10empty_typeEbEEZZNS1_14partition_implILS5_5ELb0ES3_mN6thrust23THRUST_200600_302600_NS6detail15normal_iteratorINSA_10device_ptrIdEEEEPS6_NSA_18transform_iteratorINSB_9not_fun_tI7is_trueIdEEENSC_INSD_IbEEEENSA_11use_defaultESO_EENS0_5tupleIJNSA_16discard_iteratorISO_EES6_EEENSQ_IJSG_SG_EEES6_PlJS6_EEE10hipError_tPvRmT3_T4_T5_T6_T7_T9_mT8_P12ihipStream_tbDpT10_ENKUlT_T0_E_clISt17integral_constantIbLb0EES1F_EEDaS1A_S1B_EUlS1A_E_NS1_11comp_targetILNS1_3genE0ELNS1_11target_archE4294967295ELNS1_3gpuE0ELNS1_3repE0EEENS1_30default_config_static_selectorELNS0_4arch9wavefront6targetE0EEEvT1_
		.amdhsa_group_segment_fixed_size 0
		.amdhsa_private_segment_fixed_size 0
		.amdhsa_kernarg_size 128
		.amdhsa_user_sgpr_count 2
		.amdhsa_user_sgpr_dispatch_ptr 0
		.amdhsa_user_sgpr_queue_ptr 0
		.amdhsa_user_sgpr_kernarg_segment_ptr 1
		.amdhsa_user_sgpr_dispatch_id 0
		.amdhsa_user_sgpr_private_segment_size 0
		.amdhsa_wavefront_size32 1
		.amdhsa_uses_dynamic_stack 0
		.amdhsa_enable_private_segment 0
		.amdhsa_system_sgpr_workgroup_id_x 1
		.amdhsa_system_sgpr_workgroup_id_y 0
		.amdhsa_system_sgpr_workgroup_id_z 0
		.amdhsa_system_sgpr_workgroup_info 0
		.amdhsa_system_vgpr_workitem_id 0
		.amdhsa_next_free_vgpr 1
		.amdhsa_next_free_sgpr 1
		.amdhsa_reserve_vcc 0
		.amdhsa_float_round_mode_32 0
		.amdhsa_float_round_mode_16_64 0
		.amdhsa_float_denorm_mode_32 3
		.amdhsa_float_denorm_mode_16_64 3
		.amdhsa_fp16_overflow 0
		.amdhsa_workgroup_processor_mode 1
		.amdhsa_memory_ordered 1
		.amdhsa_forward_progress 1
		.amdhsa_inst_pref_size 0
		.amdhsa_round_robin_scheduling 0
		.amdhsa_exception_fp_ieee_invalid_op 0
		.amdhsa_exception_fp_denorm_src 0
		.amdhsa_exception_fp_ieee_div_zero 0
		.amdhsa_exception_fp_ieee_overflow 0
		.amdhsa_exception_fp_ieee_underflow 0
		.amdhsa_exception_fp_ieee_inexact 0
		.amdhsa_exception_int_div_zero 0
	.end_amdhsa_kernel
	.section	.text._ZN7rocprim17ROCPRIM_400000_NS6detail17trampoline_kernelINS0_14default_configENS1_25partition_config_selectorILNS1_17partition_subalgoE5EdNS0_10empty_typeEbEEZZNS1_14partition_implILS5_5ELb0ES3_mN6thrust23THRUST_200600_302600_NS6detail15normal_iteratorINSA_10device_ptrIdEEEEPS6_NSA_18transform_iteratorINSB_9not_fun_tI7is_trueIdEEENSC_INSD_IbEEEENSA_11use_defaultESO_EENS0_5tupleIJNSA_16discard_iteratorISO_EES6_EEENSQ_IJSG_SG_EEES6_PlJS6_EEE10hipError_tPvRmT3_T4_T5_T6_T7_T9_mT8_P12ihipStream_tbDpT10_ENKUlT_T0_E_clISt17integral_constantIbLb0EES1F_EEDaS1A_S1B_EUlS1A_E_NS1_11comp_targetILNS1_3genE0ELNS1_11target_archE4294967295ELNS1_3gpuE0ELNS1_3repE0EEENS1_30default_config_static_selectorELNS0_4arch9wavefront6targetE0EEEvT1_,"axG",@progbits,_ZN7rocprim17ROCPRIM_400000_NS6detail17trampoline_kernelINS0_14default_configENS1_25partition_config_selectorILNS1_17partition_subalgoE5EdNS0_10empty_typeEbEEZZNS1_14partition_implILS5_5ELb0ES3_mN6thrust23THRUST_200600_302600_NS6detail15normal_iteratorINSA_10device_ptrIdEEEEPS6_NSA_18transform_iteratorINSB_9not_fun_tI7is_trueIdEEENSC_INSD_IbEEEENSA_11use_defaultESO_EENS0_5tupleIJNSA_16discard_iteratorISO_EES6_EEENSQ_IJSG_SG_EEES6_PlJS6_EEE10hipError_tPvRmT3_T4_T5_T6_T7_T9_mT8_P12ihipStream_tbDpT10_ENKUlT_T0_E_clISt17integral_constantIbLb0EES1F_EEDaS1A_S1B_EUlS1A_E_NS1_11comp_targetILNS1_3genE0ELNS1_11target_archE4294967295ELNS1_3gpuE0ELNS1_3repE0EEENS1_30default_config_static_selectorELNS0_4arch9wavefront6targetE0EEEvT1_,comdat
.Lfunc_end2589:
	.size	_ZN7rocprim17ROCPRIM_400000_NS6detail17trampoline_kernelINS0_14default_configENS1_25partition_config_selectorILNS1_17partition_subalgoE5EdNS0_10empty_typeEbEEZZNS1_14partition_implILS5_5ELb0ES3_mN6thrust23THRUST_200600_302600_NS6detail15normal_iteratorINSA_10device_ptrIdEEEEPS6_NSA_18transform_iteratorINSB_9not_fun_tI7is_trueIdEEENSC_INSD_IbEEEENSA_11use_defaultESO_EENS0_5tupleIJNSA_16discard_iteratorISO_EES6_EEENSQ_IJSG_SG_EEES6_PlJS6_EEE10hipError_tPvRmT3_T4_T5_T6_T7_T9_mT8_P12ihipStream_tbDpT10_ENKUlT_T0_E_clISt17integral_constantIbLb0EES1F_EEDaS1A_S1B_EUlS1A_E_NS1_11comp_targetILNS1_3genE0ELNS1_11target_archE4294967295ELNS1_3gpuE0ELNS1_3repE0EEENS1_30default_config_static_selectorELNS0_4arch9wavefront6targetE0EEEvT1_, .Lfunc_end2589-_ZN7rocprim17ROCPRIM_400000_NS6detail17trampoline_kernelINS0_14default_configENS1_25partition_config_selectorILNS1_17partition_subalgoE5EdNS0_10empty_typeEbEEZZNS1_14partition_implILS5_5ELb0ES3_mN6thrust23THRUST_200600_302600_NS6detail15normal_iteratorINSA_10device_ptrIdEEEEPS6_NSA_18transform_iteratorINSB_9not_fun_tI7is_trueIdEEENSC_INSD_IbEEEENSA_11use_defaultESO_EENS0_5tupleIJNSA_16discard_iteratorISO_EES6_EEENSQ_IJSG_SG_EEES6_PlJS6_EEE10hipError_tPvRmT3_T4_T5_T6_T7_T9_mT8_P12ihipStream_tbDpT10_ENKUlT_T0_E_clISt17integral_constantIbLb0EES1F_EEDaS1A_S1B_EUlS1A_E_NS1_11comp_targetILNS1_3genE0ELNS1_11target_archE4294967295ELNS1_3gpuE0ELNS1_3repE0EEENS1_30default_config_static_selectorELNS0_4arch9wavefront6targetE0EEEvT1_
                                        ; -- End function
	.set _ZN7rocprim17ROCPRIM_400000_NS6detail17trampoline_kernelINS0_14default_configENS1_25partition_config_selectorILNS1_17partition_subalgoE5EdNS0_10empty_typeEbEEZZNS1_14partition_implILS5_5ELb0ES3_mN6thrust23THRUST_200600_302600_NS6detail15normal_iteratorINSA_10device_ptrIdEEEEPS6_NSA_18transform_iteratorINSB_9not_fun_tI7is_trueIdEEENSC_INSD_IbEEEENSA_11use_defaultESO_EENS0_5tupleIJNSA_16discard_iteratorISO_EES6_EEENSQ_IJSG_SG_EEES6_PlJS6_EEE10hipError_tPvRmT3_T4_T5_T6_T7_T9_mT8_P12ihipStream_tbDpT10_ENKUlT_T0_E_clISt17integral_constantIbLb0EES1F_EEDaS1A_S1B_EUlS1A_E_NS1_11comp_targetILNS1_3genE0ELNS1_11target_archE4294967295ELNS1_3gpuE0ELNS1_3repE0EEENS1_30default_config_static_selectorELNS0_4arch9wavefront6targetE0EEEvT1_.num_vgpr, 0
	.set _ZN7rocprim17ROCPRIM_400000_NS6detail17trampoline_kernelINS0_14default_configENS1_25partition_config_selectorILNS1_17partition_subalgoE5EdNS0_10empty_typeEbEEZZNS1_14partition_implILS5_5ELb0ES3_mN6thrust23THRUST_200600_302600_NS6detail15normal_iteratorINSA_10device_ptrIdEEEEPS6_NSA_18transform_iteratorINSB_9not_fun_tI7is_trueIdEEENSC_INSD_IbEEEENSA_11use_defaultESO_EENS0_5tupleIJNSA_16discard_iteratorISO_EES6_EEENSQ_IJSG_SG_EEES6_PlJS6_EEE10hipError_tPvRmT3_T4_T5_T6_T7_T9_mT8_P12ihipStream_tbDpT10_ENKUlT_T0_E_clISt17integral_constantIbLb0EES1F_EEDaS1A_S1B_EUlS1A_E_NS1_11comp_targetILNS1_3genE0ELNS1_11target_archE4294967295ELNS1_3gpuE0ELNS1_3repE0EEENS1_30default_config_static_selectorELNS0_4arch9wavefront6targetE0EEEvT1_.num_agpr, 0
	.set _ZN7rocprim17ROCPRIM_400000_NS6detail17trampoline_kernelINS0_14default_configENS1_25partition_config_selectorILNS1_17partition_subalgoE5EdNS0_10empty_typeEbEEZZNS1_14partition_implILS5_5ELb0ES3_mN6thrust23THRUST_200600_302600_NS6detail15normal_iteratorINSA_10device_ptrIdEEEEPS6_NSA_18transform_iteratorINSB_9not_fun_tI7is_trueIdEEENSC_INSD_IbEEEENSA_11use_defaultESO_EENS0_5tupleIJNSA_16discard_iteratorISO_EES6_EEENSQ_IJSG_SG_EEES6_PlJS6_EEE10hipError_tPvRmT3_T4_T5_T6_T7_T9_mT8_P12ihipStream_tbDpT10_ENKUlT_T0_E_clISt17integral_constantIbLb0EES1F_EEDaS1A_S1B_EUlS1A_E_NS1_11comp_targetILNS1_3genE0ELNS1_11target_archE4294967295ELNS1_3gpuE0ELNS1_3repE0EEENS1_30default_config_static_selectorELNS0_4arch9wavefront6targetE0EEEvT1_.numbered_sgpr, 0
	.set _ZN7rocprim17ROCPRIM_400000_NS6detail17trampoline_kernelINS0_14default_configENS1_25partition_config_selectorILNS1_17partition_subalgoE5EdNS0_10empty_typeEbEEZZNS1_14partition_implILS5_5ELb0ES3_mN6thrust23THRUST_200600_302600_NS6detail15normal_iteratorINSA_10device_ptrIdEEEEPS6_NSA_18transform_iteratorINSB_9not_fun_tI7is_trueIdEEENSC_INSD_IbEEEENSA_11use_defaultESO_EENS0_5tupleIJNSA_16discard_iteratorISO_EES6_EEENSQ_IJSG_SG_EEES6_PlJS6_EEE10hipError_tPvRmT3_T4_T5_T6_T7_T9_mT8_P12ihipStream_tbDpT10_ENKUlT_T0_E_clISt17integral_constantIbLb0EES1F_EEDaS1A_S1B_EUlS1A_E_NS1_11comp_targetILNS1_3genE0ELNS1_11target_archE4294967295ELNS1_3gpuE0ELNS1_3repE0EEENS1_30default_config_static_selectorELNS0_4arch9wavefront6targetE0EEEvT1_.num_named_barrier, 0
	.set _ZN7rocprim17ROCPRIM_400000_NS6detail17trampoline_kernelINS0_14default_configENS1_25partition_config_selectorILNS1_17partition_subalgoE5EdNS0_10empty_typeEbEEZZNS1_14partition_implILS5_5ELb0ES3_mN6thrust23THRUST_200600_302600_NS6detail15normal_iteratorINSA_10device_ptrIdEEEEPS6_NSA_18transform_iteratorINSB_9not_fun_tI7is_trueIdEEENSC_INSD_IbEEEENSA_11use_defaultESO_EENS0_5tupleIJNSA_16discard_iteratorISO_EES6_EEENSQ_IJSG_SG_EEES6_PlJS6_EEE10hipError_tPvRmT3_T4_T5_T6_T7_T9_mT8_P12ihipStream_tbDpT10_ENKUlT_T0_E_clISt17integral_constantIbLb0EES1F_EEDaS1A_S1B_EUlS1A_E_NS1_11comp_targetILNS1_3genE0ELNS1_11target_archE4294967295ELNS1_3gpuE0ELNS1_3repE0EEENS1_30default_config_static_selectorELNS0_4arch9wavefront6targetE0EEEvT1_.private_seg_size, 0
	.set _ZN7rocprim17ROCPRIM_400000_NS6detail17trampoline_kernelINS0_14default_configENS1_25partition_config_selectorILNS1_17partition_subalgoE5EdNS0_10empty_typeEbEEZZNS1_14partition_implILS5_5ELb0ES3_mN6thrust23THRUST_200600_302600_NS6detail15normal_iteratorINSA_10device_ptrIdEEEEPS6_NSA_18transform_iteratorINSB_9not_fun_tI7is_trueIdEEENSC_INSD_IbEEEENSA_11use_defaultESO_EENS0_5tupleIJNSA_16discard_iteratorISO_EES6_EEENSQ_IJSG_SG_EEES6_PlJS6_EEE10hipError_tPvRmT3_T4_T5_T6_T7_T9_mT8_P12ihipStream_tbDpT10_ENKUlT_T0_E_clISt17integral_constantIbLb0EES1F_EEDaS1A_S1B_EUlS1A_E_NS1_11comp_targetILNS1_3genE0ELNS1_11target_archE4294967295ELNS1_3gpuE0ELNS1_3repE0EEENS1_30default_config_static_selectorELNS0_4arch9wavefront6targetE0EEEvT1_.uses_vcc, 0
	.set _ZN7rocprim17ROCPRIM_400000_NS6detail17trampoline_kernelINS0_14default_configENS1_25partition_config_selectorILNS1_17partition_subalgoE5EdNS0_10empty_typeEbEEZZNS1_14partition_implILS5_5ELb0ES3_mN6thrust23THRUST_200600_302600_NS6detail15normal_iteratorINSA_10device_ptrIdEEEEPS6_NSA_18transform_iteratorINSB_9not_fun_tI7is_trueIdEEENSC_INSD_IbEEEENSA_11use_defaultESO_EENS0_5tupleIJNSA_16discard_iteratorISO_EES6_EEENSQ_IJSG_SG_EEES6_PlJS6_EEE10hipError_tPvRmT3_T4_T5_T6_T7_T9_mT8_P12ihipStream_tbDpT10_ENKUlT_T0_E_clISt17integral_constantIbLb0EES1F_EEDaS1A_S1B_EUlS1A_E_NS1_11comp_targetILNS1_3genE0ELNS1_11target_archE4294967295ELNS1_3gpuE0ELNS1_3repE0EEENS1_30default_config_static_selectorELNS0_4arch9wavefront6targetE0EEEvT1_.uses_flat_scratch, 0
	.set _ZN7rocprim17ROCPRIM_400000_NS6detail17trampoline_kernelINS0_14default_configENS1_25partition_config_selectorILNS1_17partition_subalgoE5EdNS0_10empty_typeEbEEZZNS1_14partition_implILS5_5ELb0ES3_mN6thrust23THRUST_200600_302600_NS6detail15normal_iteratorINSA_10device_ptrIdEEEEPS6_NSA_18transform_iteratorINSB_9not_fun_tI7is_trueIdEEENSC_INSD_IbEEEENSA_11use_defaultESO_EENS0_5tupleIJNSA_16discard_iteratorISO_EES6_EEENSQ_IJSG_SG_EEES6_PlJS6_EEE10hipError_tPvRmT3_T4_T5_T6_T7_T9_mT8_P12ihipStream_tbDpT10_ENKUlT_T0_E_clISt17integral_constantIbLb0EES1F_EEDaS1A_S1B_EUlS1A_E_NS1_11comp_targetILNS1_3genE0ELNS1_11target_archE4294967295ELNS1_3gpuE0ELNS1_3repE0EEENS1_30default_config_static_selectorELNS0_4arch9wavefront6targetE0EEEvT1_.has_dyn_sized_stack, 0
	.set _ZN7rocprim17ROCPRIM_400000_NS6detail17trampoline_kernelINS0_14default_configENS1_25partition_config_selectorILNS1_17partition_subalgoE5EdNS0_10empty_typeEbEEZZNS1_14partition_implILS5_5ELb0ES3_mN6thrust23THRUST_200600_302600_NS6detail15normal_iteratorINSA_10device_ptrIdEEEEPS6_NSA_18transform_iteratorINSB_9not_fun_tI7is_trueIdEEENSC_INSD_IbEEEENSA_11use_defaultESO_EENS0_5tupleIJNSA_16discard_iteratorISO_EES6_EEENSQ_IJSG_SG_EEES6_PlJS6_EEE10hipError_tPvRmT3_T4_T5_T6_T7_T9_mT8_P12ihipStream_tbDpT10_ENKUlT_T0_E_clISt17integral_constantIbLb0EES1F_EEDaS1A_S1B_EUlS1A_E_NS1_11comp_targetILNS1_3genE0ELNS1_11target_archE4294967295ELNS1_3gpuE0ELNS1_3repE0EEENS1_30default_config_static_selectorELNS0_4arch9wavefront6targetE0EEEvT1_.has_recursion, 0
	.set _ZN7rocprim17ROCPRIM_400000_NS6detail17trampoline_kernelINS0_14default_configENS1_25partition_config_selectorILNS1_17partition_subalgoE5EdNS0_10empty_typeEbEEZZNS1_14partition_implILS5_5ELb0ES3_mN6thrust23THRUST_200600_302600_NS6detail15normal_iteratorINSA_10device_ptrIdEEEEPS6_NSA_18transform_iteratorINSB_9not_fun_tI7is_trueIdEEENSC_INSD_IbEEEENSA_11use_defaultESO_EENS0_5tupleIJNSA_16discard_iteratorISO_EES6_EEENSQ_IJSG_SG_EEES6_PlJS6_EEE10hipError_tPvRmT3_T4_T5_T6_T7_T9_mT8_P12ihipStream_tbDpT10_ENKUlT_T0_E_clISt17integral_constantIbLb0EES1F_EEDaS1A_S1B_EUlS1A_E_NS1_11comp_targetILNS1_3genE0ELNS1_11target_archE4294967295ELNS1_3gpuE0ELNS1_3repE0EEENS1_30default_config_static_selectorELNS0_4arch9wavefront6targetE0EEEvT1_.has_indirect_call, 0
	.section	.AMDGPU.csdata,"",@progbits
; Kernel info:
; codeLenInByte = 0
; TotalNumSgprs: 0
; NumVgprs: 0
; ScratchSize: 0
; MemoryBound: 0
; FloatMode: 240
; IeeeMode: 1
; LDSByteSize: 0 bytes/workgroup (compile time only)
; SGPRBlocks: 0
; VGPRBlocks: 0
; NumSGPRsForWavesPerEU: 1
; NumVGPRsForWavesPerEU: 1
; Occupancy: 16
; WaveLimiterHint : 0
; COMPUTE_PGM_RSRC2:SCRATCH_EN: 0
; COMPUTE_PGM_RSRC2:USER_SGPR: 2
; COMPUTE_PGM_RSRC2:TRAP_HANDLER: 0
; COMPUTE_PGM_RSRC2:TGID_X_EN: 1
; COMPUTE_PGM_RSRC2:TGID_Y_EN: 0
; COMPUTE_PGM_RSRC2:TGID_Z_EN: 0
; COMPUTE_PGM_RSRC2:TIDIG_COMP_CNT: 0
	.section	.text._ZN7rocprim17ROCPRIM_400000_NS6detail17trampoline_kernelINS0_14default_configENS1_25partition_config_selectorILNS1_17partition_subalgoE5EdNS0_10empty_typeEbEEZZNS1_14partition_implILS5_5ELb0ES3_mN6thrust23THRUST_200600_302600_NS6detail15normal_iteratorINSA_10device_ptrIdEEEEPS6_NSA_18transform_iteratorINSB_9not_fun_tI7is_trueIdEEENSC_INSD_IbEEEENSA_11use_defaultESO_EENS0_5tupleIJNSA_16discard_iteratorISO_EES6_EEENSQ_IJSG_SG_EEES6_PlJS6_EEE10hipError_tPvRmT3_T4_T5_T6_T7_T9_mT8_P12ihipStream_tbDpT10_ENKUlT_T0_E_clISt17integral_constantIbLb0EES1F_EEDaS1A_S1B_EUlS1A_E_NS1_11comp_targetILNS1_3genE5ELNS1_11target_archE942ELNS1_3gpuE9ELNS1_3repE0EEENS1_30default_config_static_selectorELNS0_4arch9wavefront6targetE0EEEvT1_,"axG",@progbits,_ZN7rocprim17ROCPRIM_400000_NS6detail17trampoline_kernelINS0_14default_configENS1_25partition_config_selectorILNS1_17partition_subalgoE5EdNS0_10empty_typeEbEEZZNS1_14partition_implILS5_5ELb0ES3_mN6thrust23THRUST_200600_302600_NS6detail15normal_iteratorINSA_10device_ptrIdEEEEPS6_NSA_18transform_iteratorINSB_9not_fun_tI7is_trueIdEEENSC_INSD_IbEEEENSA_11use_defaultESO_EENS0_5tupleIJNSA_16discard_iteratorISO_EES6_EEENSQ_IJSG_SG_EEES6_PlJS6_EEE10hipError_tPvRmT3_T4_T5_T6_T7_T9_mT8_P12ihipStream_tbDpT10_ENKUlT_T0_E_clISt17integral_constantIbLb0EES1F_EEDaS1A_S1B_EUlS1A_E_NS1_11comp_targetILNS1_3genE5ELNS1_11target_archE942ELNS1_3gpuE9ELNS1_3repE0EEENS1_30default_config_static_selectorELNS0_4arch9wavefront6targetE0EEEvT1_,comdat
	.protected	_ZN7rocprim17ROCPRIM_400000_NS6detail17trampoline_kernelINS0_14default_configENS1_25partition_config_selectorILNS1_17partition_subalgoE5EdNS0_10empty_typeEbEEZZNS1_14partition_implILS5_5ELb0ES3_mN6thrust23THRUST_200600_302600_NS6detail15normal_iteratorINSA_10device_ptrIdEEEEPS6_NSA_18transform_iteratorINSB_9not_fun_tI7is_trueIdEEENSC_INSD_IbEEEENSA_11use_defaultESO_EENS0_5tupleIJNSA_16discard_iteratorISO_EES6_EEENSQ_IJSG_SG_EEES6_PlJS6_EEE10hipError_tPvRmT3_T4_T5_T6_T7_T9_mT8_P12ihipStream_tbDpT10_ENKUlT_T0_E_clISt17integral_constantIbLb0EES1F_EEDaS1A_S1B_EUlS1A_E_NS1_11comp_targetILNS1_3genE5ELNS1_11target_archE942ELNS1_3gpuE9ELNS1_3repE0EEENS1_30default_config_static_selectorELNS0_4arch9wavefront6targetE0EEEvT1_ ; -- Begin function _ZN7rocprim17ROCPRIM_400000_NS6detail17trampoline_kernelINS0_14default_configENS1_25partition_config_selectorILNS1_17partition_subalgoE5EdNS0_10empty_typeEbEEZZNS1_14partition_implILS5_5ELb0ES3_mN6thrust23THRUST_200600_302600_NS6detail15normal_iteratorINSA_10device_ptrIdEEEEPS6_NSA_18transform_iteratorINSB_9not_fun_tI7is_trueIdEEENSC_INSD_IbEEEENSA_11use_defaultESO_EENS0_5tupleIJNSA_16discard_iteratorISO_EES6_EEENSQ_IJSG_SG_EEES6_PlJS6_EEE10hipError_tPvRmT3_T4_T5_T6_T7_T9_mT8_P12ihipStream_tbDpT10_ENKUlT_T0_E_clISt17integral_constantIbLb0EES1F_EEDaS1A_S1B_EUlS1A_E_NS1_11comp_targetILNS1_3genE5ELNS1_11target_archE942ELNS1_3gpuE9ELNS1_3repE0EEENS1_30default_config_static_selectorELNS0_4arch9wavefront6targetE0EEEvT1_
	.globl	_ZN7rocprim17ROCPRIM_400000_NS6detail17trampoline_kernelINS0_14default_configENS1_25partition_config_selectorILNS1_17partition_subalgoE5EdNS0_10empty_typeEbEEZZNS1_14partition_implILS5_5ELb0ES3_mN6thrust23THRUST_200600_302600_NS6detail15normal_iteratorINSA_10device_ptrIdEEEEPS6_NSA_18transform_iteratorINSB_9not_fun_tI7is_trueIdEEENSC_INSD_IbEEEENSA_11use_defaultESO_EENS0_5tupleIJNSA_16discard_iteratorISO_EES6_EEENSQ_IJSG_SG_EEES6_PlJS6_EEE10hipError_tPvRmT3_T4_T5_T6_T7_T9_mT8_P12ihipStream_tbDpT10_ENKUlT_T0_E_clISt17integral_constantIbLb0EES1F_EEDaS1A_S1B_EUlS1A_E_NS1_11comp_targetILNS1_3genE5ELNS1_11target_archE942ELNS1_3gpuE9ELNS1_3repE0EEENS1_30default_config_static_selectorELNS0_4arch9wavefront6targetE0EEEvT1_
	.p2align	8
	.type	_ZN7rocprim17ROCPRIM_400000_NS6detail17trampoline_kernelINS0_14default_configENS1_25partition_config_selectorILNS1_17partition_subalgoE5EdNS0_10empty_typeEbEEZZNS1_14partition_implILS5_5ELb0ES3_mN6thrust23THRUST_200600_302600_NS6detail15normal_iteratorINSA_10device_ptrIdEEEEPS6_NSA_18transform_iteratorINSB_9not_fun_tI7is_trueIdEEENSC_INSD_IbEEEENSA_11use_defaultESO_EENS0_5tupleIJNSA_16discard_iteratorISO_EES6_EEENSQ_IJSG_SG_EEES6_PlJS6_EEE10hipError_tPvRmT3_T4_T5_T6_T7_T9_mT8_P12ihipStream_tbDpT10_ENKUlT_T0_E_clISt17integral_constantIbLb0EES1F_EEDaS1A_S1B_EUlS1A_E_NS1_11comp_targetILNS1_3genE5ELNS1_11target_archE942ELNS1_3gpuE9ELNS1_3repE0EEENS1_30default_config_static_selectorELNS0_4arch9wavefront6targetE0EEEvT1_,@function
_ZN7rocprim17ROCPRIM_400000_NS6detail17trampoline_kernelINS0_14default_configENS1_25partition_config_selectorILNS1_17partition_subalgoE5EdNS0_10empty_typeEbEEZZNS1_14partition_implILS5_5ELb0ES3_mN6thrust23THRUST_200600_302600_NS6detail15normal_iteratorINSA_10device_ptrIdEEEEPS6_NSA_18transform_iteratorINSB_9not_fun_tI7is_trueIdEEENSC_INSD_IbEEEENSA_11use_defaultESO_EENS0_5tupleIJNSA_16discard_iteratorISO_EES6_EEENSQ_IJSG_SG_EEES6_PlJS6_EEE10hipError_tPvRmT3_T4_T5_T6_T7_T9_mT8_P12ihipStream_tbDpT10_ENKUlT_T0_E_clISt17integral_constantIbLb0EES1F_EEDaS1A_S1B_EUlS1A_E_NS1_11comp_targetILNS1_3genE5ELNS1_11target_archE942ELNS1_3gpuE9ELNS1_3repE0EEENS1_30default_config_static_selectorELNS0_4arch9wavefront6targetE0EEEvT1_: ; @_ZN7rocprim17ROCPRIM_400000_NS6detail17trampoline_kernelINS0_14default_configENS1_25partition_config_selectorILNS1_17partition_subalgoE5EdNS0_10empty_typeEbEEZZNS1_14partition_implILS5_5ELb0ES3_mN6thrust23THRUST_200600_302600_NS6detail15normal_iteratorINSA_10device_ptrIdEEEEPS6_NSA_18transform_iteratorINSB_9not_fun_tI7is_trueIdEEENSC_INSD_IbEEEENSA_11use_defaultESO_EENS0_5tupleIJNSA_16discard_iteratorISO_EES6_EEENSQ_IJSG_SG_EEES6_PlJS6_EEE10hipError_tPvRmT3_T4_T5_T6_T7_T9_mT8_P12ihipStream_tbDpT10_ENKUlT_T0_E_clISt17integral_constantIbLb0EES1F_EEDaS1A_S1B_EUlS1A_E_NS1_11comp_targetILNS1_3genE5ELNS1_11target_archE942ELNS1_3gpuE9ELNS1_3repE0EEENS1_30default_config_static_selectorELNS0_4arch9wavefront6targetE0EEEvT1_
; %bb.0:
	.section	.rodata,"a",@progbits
	.p2align	6, 0x0
	.amdhsa_kernel _ZN7rocprim17ROCPRIM_400000_NS6detail17trampoline_kernelINS0_14default_configENS1_25partition_config_selectorILNS1_17partition_subalgoE5EdNS0_10empty_typeEbEEZZNS1_14partition_implILS5_5ELb0ES3_mN6thrust23THRUST_200600_302600_NS6detail15normal_iteratorINSA_10device_ptrIdEEEEPS6_NSA_18transform_iteratorINSB_9not_fun_tI7is_trueIdEEENSC_INSD_IbEEEENSA_11use_defaultESO_EENS0_5tupleIJNSA_16discard_iteratorISO_EES6_EEENSQ_IJSG_SG_EEES6_PlJS6_EEE10hipError_tPvRmT3_T4_T5_T6_T7_T9_mT8_P12ihipStream_tbDpT10_ENKUlT_T0_E_clISt17integral_constantIbLb0EES1F_EEDaS1A_S1B_EUlS1A_E_NS1_11comp_targetILNS1_3genE5ELNS1_11target_archE942ELNS1_3gpuE9ELNS1_3repE0EEENS1_30default_config_static_selectorELNS0_4arch9wavefront6targetE0EEEvT1_
		.amdhsa_group_segment_fixed_size 0
		.amdhsa_private_segment_fixed_size 0
		.amdhsa_kernarg_size 128
		.amdhsa_user_sgpr_count 2
		.amdhsa_user_sgpr_dispatch_ptr 0
		.amdhsa_user_sgpr_queue_ptr 0
		.amdhsa_user_sgpr_kernarg_segment_ptr 1
		.amdhsa_user_sgpr_dispatch_id 0
		.amdhsa_user_sgpr_private_segment_size 0
		.amdhsa_wavefront_size32 1
		.amdhsa_uses_dynamic_stack 0
		.amdhsa_enable_private_segment 0
		.amdhsa_system_sgpr_workgroup_id_x 1
		.amdhsa_system_sgpr_workgroup_id_y 0
		.amdhsa_system_sgpr_workgroup_id_z 0
		.amdhsa_system_sgpr_workgroup_info 0
		.amdhsa_system_vgpr_workitem_id 0
		.amdhsa_next_free_vgpr 1
		.amdhsa_next_free_sgpr 1
		.amdhsa_reserve_vcc 0
		.amdhsa_float_round_mode_32 0
		.amdhsa_float_round_mode_16_64 0
		.amdhsa_float_denorm_mode_32 3
		.amdhsa_float_denorm_mode_16_64 3
		.amdhsa_fp16_overflow 0
		.amdhsa_workgroup_processor_mode 1
		.amdhsa_memory_ordered 1
		.amdhsa_forward_progress 1
		.amdhsa_inst_pref_size 0
		.amdhsa_round_robin_scheduling 0
		.amdhsa_exception_fp_ieee_invalid_op 0
		.amdhsa_exception_fp_denorm_src 0
		.amdhsa_exception_fp_ieee_div_zero 0
		.amdhsa_exception_fp_ieee_overflow 0
		.amdhsa_exception_fp_ieee_underflow 0
		.amdhsa_exception_fp_ieee_inexact 0
		.amdhsa_exception_int_div_zero 0
	.end_amdhsa_kernel
	.section	.text._ZN7rocprim17ROCPRIM_400000_NS6detail17trampoline_kernelINS0_14default_configENS1_25partition_config_selectorILNS1_17partition_subalgoE5EdNS0_10empty_typeEbEEZZNS1_14partition_implILS5_5ELb0ES3_mN6thrust23THRUST_200600_302600_NS6detail15normal_iteratorINSA_10device_ptrIdEEEEPS6_NSA_18transform_iteratorINSB_9not_fun_tI7is_trueIdEEENSC_INSD_IbEEEENSA_11use_defaultESO_EENS0_5tupleIJNSA_16discard_iteratorISO_EES6_EEENSQ_IJSG_SG_EEES6_PlJS6_EEE10hipError_tPvRmT3_T4_T5_T6_T7_T9_mT8_P12ihipStream_tbDpT10_ENKUlT_T0_E_clISt17integral_constantIbLb0EES1F_EEDaS1A_S1B_EUlS1A_E_NS1_11comp_targetILNS1_3genE5ELNS1_11target_archE942ELNS1_3gpuE9ELNS1_3repE0EEENS1_30default_config_static_selectorELNS0_4arch9wavefront6targetE0EEEvT1_,"axG",@progbits,_ZN7rocprim17ROCPRIM_400000_NS6detail17trampoline_kernelINS0_14default_configENS1_25partition_config_selectorILNS1_17partition_subalgoE5EdNS0_10empty_typeEbEEZZNS1_14partition_implILS5_5ELb0ES3_mN6thrust23THRUST_200600_302600_NS6detail15normal_iteratorINSA_10device_ptrIdEEEEPS6_NSA_18transform_iteratorINSB_9not_fun_tI7is_trueIdEEENSC_INSD_IbEEEENSA_11use_defaultESO_EENS0_5tupleIJNSA_16discard_iteratorISO_EES6_EEENSQ_IJSG_SG_EEES6_PlJS6_EEE10hipError_tPvRmT3_T4_T5_T6_T7_T9_mT8_P12ihipStream_tbDpT10_ENKUlT_T0_E_clISt17integral_constantIbLb0EES1F_EEDaS1A_S1B_EUlS1A_E_NS1_11comp_targetILNS1_3genE5ELNS1_11target_archE942ELNS1_3gpuE9ELNS1_3repE0EEENS1_30default_config_static_selectorELNS0_4arch9wavefront6targetE0EEEvT1_,comdat
.Lfunc_end2590:
	.size	_ZN7rocprim17ROCPRIM_400000_NS6detail17trampoline_kernelINS0_14default_configENS1_25partition_config_selectorILNS1_17partition_subalgoE5EdNS0_10empty_typeEbEEZZNS1_14partition_implILS5_5ELb0ES3_mN6thrust23THRUST_200600_302600_NS6detail15normal_iteratorINSA_10device_ptrIdEEEEPS6_NSA_18transform_iteratorINSB_9not_fun_tI7is_trueIdEEENSC_INSD_IbEEEENSA_11use_defaultESO_EENS0_5tupleIJNSA_16discard_iteratorISO_EES6_EEENSQ_IJSG_SG_EEES6_PlJS6_EEE10hipError_tPvRmT3_T4_T5_T6_T7_T9_mT8_P12ihipStream_tbDpT10_ENKUlT_T0_E_clISt17integral_constantIbLb0EES1F_EEDaS1A_S1B_EUlS1A_E_NS1_11comp_targetILNS1_3genE5ELNS1_11target_archE942ELNS1_3gpuE9ELNS1_3repE0EEENS1_30default_config_static_selectorELNS0_4arch9wavefront6targetE0EEEvT1_, .Lfunc_end2590-_ZN7rocprim17ROCPRIM_400000_NS6detail17trampoline_kernelINS0_14default_configENS1_25partition_config_selectorILNS1_17partition_subalgoE5EdNS0_10empty_typeEbEEZZNS1_14partition_implILS5_5ELb0ES3_mN6thrust23THRUST_200600_302600_NS6detail15normal_iteratorINSA_10device_ptrIdEEEEPS6_NSA_18transform_iteratorINSB_9not_fun_tI7is_trueIdEEENSC_INSD_IbEEEENSA_11use_defaultESO_EENS0_5tupleIJNSA_16discard_iteratorISO_EES6_EEENSQ_IJSG_SG_EEES6_PlJS6_EEE10hipError_tPvRmT3_T4_T5_T6_T7_T9_mT8_P12ihipStream_tbDpT10_ENKUlT_T0_E_clISt17integral_constantIbLb0EES1F_EEDaS1A_S1B_EUlS1A_E_NS1_11comp_targetILNS1_3genE5ELNS1_11target_archE942ELNS1_3gpuE9ELNS1_3repE0EEENS1_30default_config_static_selectorELNS0_4arch9wavefront6targetE0EEEvT1_
                                        ; -- End function
	.set _ZN7rocprim17ROCPRIM_400000_NS6detail17trampoline_kernelINS0_14default_configENS1_25partition_config_selectorILNS1_17partition_subalgoE5EdNS0_10empty_typeEbEEZZNS1_14partition_implILS5_5ELb0ES3_mN6thrust23THRUST_200600_302600_NS6detail15normal_iteratorINSA_10device_ptrIdEEEEPS6_NSA_18transform_iteratorINSB_9not_fun_tI7is_trueIdEEENSC_INSD_IbEEEENSA_11use_defaultESO_EENS0_5tupleIJNSA_16discard_iteratorISO_EES6_EEENSQ_IJSG_SG_EEES6_PlJS6_EEE10hipError_tPvRmT3_T4_T5_T6_T7_T9_mT8_P12ihipStream_tbDpT10_ENKUlT_T0_E_clISt17integral_constantIbLb0EES1F_EEDaS1A_S1B_EUlS1A_E_NS1_11comp_targetILNS1_3genE5ELNS1_11target_archE942ELNS1_3gpuE9ELNS1_3repE0EEENS1_30default_config_static_selectorELNS0_4arch9wavefront6targetE0EEEvT1_.num_vgpr, 0
	.set _ZN7rocprim17ROCPRIM_400000_NS6detail17trampoline_kernelINS0_14default_configENS1_25partition_config_selectorILNS1_17partition_subalgoE5EdNS0_10empty_typeEbEEZZNS1_14partition_implILS5_5ELb0ES3_mN6thrust23THRUST_200600_302600_NS6detail15normal_iteratorINSA_10device_ptrIdEEEEPS6_NSA_18transform_iteratorINSB_9not_fun_tI7is_trueIdEEENSC_INSD_IbEEEENSA_11use_defaultESO_EENS0_5tupleIJNSA_16discard_iteratorISO_EES6_EEENSQ_IJSG_SG_EEES6_PlJS6_EEE10hipError_tPvRmT3_T4_T5_T6_T7_T9_mT8_P12ihipStream_tbDpT10_ENKUlT_T0_E_clISt17integral_constantIbLb0EES1F_EEDaS1A_S1B_EUlS1A_E_NS1_11comp_targetILNS1_3genE5ELNS1_11target_archE942ELNS1_3gpuE9ELNS1_3repE0EEENS1_30default_config_static_selectorELNS0_4arch9wavefront6targetE0EEEvT1_.num_agpr, 0
	.set _ZN7rocprim17ROCPRIM_400000_NS6detail17trampoline_kernelINS0_14default_configENS1_25partition_config_selectorILNS1_17partition_subalgoE5EdNS0_10empty_typeEbEEZZNS1_14partition_implILS5_5ELb0ES3_mN6thrust23THRUST_200600_302600_NS6detail15normal_iteratorINSA_10device_ptrIdEEEEPS6_NSA_18transform_iteratorINSB_9not_fun_tI7is_trueIdEEENSC_INSD_IbEEEENSA_11use_defaultESO_EENS0_5tupleIJNSA_16discard_iteratorISO_EES6_EEENSQ_IJSG_SG_EEES6_PlJS6_EEE10hipError_tPvRmT3_T4_T5_T6_T7_T9_mT8_P12ihipStream_tbDpT10_ENKUlT_T0_E_clISt17integral_constantIbLb0EES1F_EEDaS1A_S1B_EUlS1A_E_NS1_11comp_targetILNS1_3genE5ELNS1_11target_archE942ELNS1_3gpuE9ELNS1_3repE0EEENS1_30default_config_static_selectorELNS0_4arch9wavefront6targetE0EEEvT1_.numbered_sgpr, 0
	.set _ZN7rocprim17ROCPRIM_400000_NS6detail17trampoline_kernelINS0_14default_configENS1_25partition_config_selectorILNS1_17partition_subalgoE5EdNS0_10empty_typeEbEEZZNS1_14partition_implILS5_5ELb0ES3_mN6thrust23THRUST_200600_302600_NS6detail15normal_iteratorINSA_10device_ptrIdEEEEPS6_NSA_18transform_iteratorINSB_9not_fun_tI7is_trueIdEEENSC_INSD_IbEEEENSA_11use_defaultESO_EENS0_5tupleIJNSA_16discard_iteratorISO_EES6_EEENSQ_IJSG_SG_EEES6_PlJS6_EEE10hipError_tPvRmT3_T4_T5_T6_T7_T9_mT8_P12ihipStream_tbDpT10_ENKUlT_T0_E_clISt17integral_constantIbLb0EES1F_EEDaS1A_S1B_EUlS1A_E_NS1_11comp_targetILNS1_3genE5ELNS1_11target_archE942ELNS1_3gpuE9ELNS1_3repE0EEENS1_30default_config_static_selectorELNS0_4arch9wavefront6targetE0EEEvT1_.num_named_barrier, 0
	.set _ZN7rocprim17ROCPRIM_400000_NS6detail17trampoline_kernelINS0_14default_configENS1_25partition_config_selectorILNS1_17partition_subalgoE5EdNS0_10empty_typeEbEEZZNS1_14partition_implILS5_5ELb0ES3_mN6thrust23THRUST_200600_302600_NS6detail15normal_iteratorINSA_10device_ptrIdEEEEPS6_NSA_18transform_iteratorINSB_9not_fun_tI7is_trueIdEEENSC_INSD_IbEEEENSA_11use_defaultESO_EENS0_5tupleIJNSA_16discard_iteratorISO_EES6_EEENSQ_IJSG_SG_EEES6_PlJS6_EEE10hipError_tPvRmT3_T4_T5_T6_T7_T9_mT8_P12ihipStream_tbDpT10_ENKUlT_T0_E_clISt17integral_constantIbLb0EES1F_EEDaS1A_S1B_EUlS1A_E_NS1_11comp_targetILNS1_3genE5ELNS1_11target_archE942ELNS1_3gpuE9ELNS1_3repE0EEENS1_30default_config_static_selectorELNS0_4arch9wavefront6targetE0EEEvT1_.private_seg_size, 0
	.set _ZN7rocprim17ROCPRIM_400000_NS6detail17trampoline_kernelINS0_14default_configENS1_25partition_config_selectorILNS1_17partition_subalgoE5EdNS0_10empty_typeEbEEZZNS1_14partition_implILS5_5ELb0ES3_mN6thrust23THRUST_200600_302600_NS6detail15normal_iteratorINSA_10device_ptrIdEEEEPS6_NSA_18transform_iteratorINSB_9not_fun_tI7is_trueIdEEENSC_INSD_IbEEEENSA_11use_defaultESO_EENS0_5tupleIJNSA_16discard_iteratorISO_EES6_EEENSQ_IJSG_SG_EEES6_PlJS6_EEE10hipError_tPvRmT3_T4_T5_T6_T7_T9_mT8_P12ihipStream_tbDpT10_ENKUlT_T0_E_clISt17integral_constantIbLb0EES1F_EEDaS1A_S1B_EUlS1A_E_NS1_11comp_targetILNS1_3genE5ELNS1_11target_archE942ELNS1_3gpuE9ELNS1_3repE0EEENS1_30default_config_static_selectorELNS0_4arch9wavefront6targetE0EEEvT1_.uses_vcc, 0
	.set _ZN7rocprim17ROCPRIM_400000_NS6detail17trampoline_kernelINS0_14default_configENS1_25partition_config_selectorILNS1_17partition_subalgoE5EdNS0_10empty_typeEbEEZZNS1_14partition_implILS5_5ELb0ES3_mN6thrust23THRUST_200600_302600_NS6detail15normal_iteratorINSA_10device_ptrIdEEEEPS6_NSA_18transform_iteratorINSB_9not_fun_tI7is_trueIdEEENSC_INSD_IbEEEENSA_11use_defaultESO_EENS0_5tupleIJNSA_16discard_iteratorISO_EES6_EEENSQ_IJSG_SG_EEES6_PlJS6_EEE10hipError_tPvRmT3_T4_T5_T6_T7_T9_mT8_P12ihipStream_tbDpT10_ENKUlT_T0_E_clISt17integral_constantIbLb0EES1F_EEDaS1A_S1B_EUlS1A_E_NS1_11comp_targetILNS1_3genE5ELNS1_11target_archE942ELNS1_3gpuE9ELNS1_3repE0EEENS1_30default_config_static_selectorELNS0_4arch9wavefront6targetE0EEEvT1_.uses_flat_scratch, 0
	.set _ZN7rocprim17ROCPRIM_400000_NS6detail17trampoline_kernelINS0_14default_configENS1_25partition_config_selectorILNS1_17partition_subalgoE5EdNS0_10empty_typeEbEEZZNS1_14partition_implILS5_5ELb0ES3_mN6thrust23THRUST_200600_302600_NS6detail15normal_iteratorINSA_10device_ptrIdEEEEPS6_NSA_18transform_iteratorINSB_9not_fun_tI7is_trueIdEEENSC_INSD_IbEEEENSA_11use_defaultESO_EENS0_5tupleIJNSA_16discard_iteratorISO_EES6_EEENSQ_IJSG_SG_EEES6_PlJS6_EEE10hipError_tPvRmT3_T4_T5_T6_T7_T9_mT8_P12ihipStream_tbDpT10_ENKUlT_T0_E_clISt17integral_constantIbLb0EES1F_EEDaS1A_S1B_EUlS1A_E_NS1_11comp_targetILNS1_3genE5ELNS1_11target_archE942ELNS1_3gpuE9ELNS1_3repE0EEENS1_30default_config_static_selectorELNS0_4arch9wavefront6targetE0EEEvT1_.has_dyn_sized_stack, 0
	.set _ZN7rocprim17ROCPRIM_400000_NS6detail17trampoline_kernelINS0_14default_configENS1_25partition_config_selectorILNS1_17partition_subalgoE5EdNS0_10empty_typeEbEEZZNS1_14partition_implILS5_5ELb0ES3_mN6thrust23THRUST_200600_302600_NS6detail15normal_iteratorINSA_10device_ptrIdEEEEPS6_NSA_18transform_iteratorINSB_9not_fun_tI7is_trueIdEEENSC_INSD_IbEEEENSA_11use_defaultESO_EENS0_5tupleIJNSA_16discard_iteratorISO_EES6_EEENSQ_IJSG_SG_EEES6_PlJS6_EEE10hipError_tPvRmT3_T4_T5_T6_T7_T9_mT8_P12ihipStream_tbDpT10_ENKUlT_T0_E_clISt17integral_constantIbLb0EES1F_EEDaS1A_S1B_EUlS1A_E_NS1_11comp_targetILNS1_3genE5ELNS1_11target_archE942ELNS1_3gpuE9ELNS1_3repE0EEENS1_30default_config_static_selectorELNS0_4arch9wavefront6targetE0EEEvT1_.has_recursion, 0
	.set _ZN7rocprim17ROCPRIM_400000_NS6detail17trampoline_kernelINS0_14default_configENS1_25partition_config_selectorILNS1_17partition_subalgoE5EdNS0_10empty_typeEbEEZZNS1_14partition_implILS5_5ELb0ES3_mN6thrust23THRUST_200600_302600_NS6detail15normal_iteratorINSA_10device_ptrIdEEEEPS6_NSA_18transform_iteratorINSB_9not_fun_tI7is_trueIdEEENSC_INSD_IbEEEENSA_11use_defaultESO_EENS0_5tupleIJNSA_16discard_iteratorISO_EES6_EEENSQ_IJSG_SG_EEES6_PlJS6_EEE10hipError_tPvRmT3_T4_T5_T6_T7_T9_mT8_P12ihipStream_tbDpT10_ENKUlT_T0_E_clISt17integral_constantIbLb0EES1F_EEDaS1A_S1B_EUlS1A_E_NS1_11comp_targetILNS1_3genE5ELNS1_11target_archE942ELNS1_3gpuE9ELNS1_3repE0EEENS1_30default_config_static_selectorELNS0_4arch9wavefront6targetE0EEEvT1_.has_indirect_call, 0
	.section	.AMDGPU.csdata,"",@progbits
; Kernel info:
; codeLenInByte = 0
; TotalNumSgprs: 0
; NumVgprs: 0
; ScratchSize: 0
; MemoryBound: 0
; FloatMode: 240
; IeeeMode: 1
; LDSByteSize: 0 bytes/workgroup (compile time only)
; SGPRBlocks: 0
; VGPRBlocks: 0
; NumSGPRsForWavesPerEU: 1
; NumVGPRsForWavesPerEU: 1
; Occupancy: 16
; WaveLimiterHint : 0
; COMPUTE_PGM_RSRC2:SCRATCH_EN: 0
; COMPUTE_PGM_RSRC2:USER_SGPR: 2
; COMPUTE_PGM_RSRC2:TRAP_HANDLER: 0
; COMPUTE_PGM_RSRC2:TGID_X_EN: 1
; COMPUTE_PGM_RSRC2:TGID_Y_EN: 0
; COMPUTE_PGM_RSRC2:TGID_Z_EN: 0
; COMPUTE_PGM_RSRC2:TIDIG_COMP_CNT: 0
	.section	.text._ZN7rocprim17ROCPRIM_400000_NS6detail17trampoline_kernelINS0_14default_configENS1_25partition_config_selectorILNS1_17partition_subalgoE5EdNS0_10empty_typeEbEEZZNS1_14partition_implILS5_5ELb0ES3_mN6thrust23THRUST_200600_302600_NS6detail15normal_iteratorINSA_10device_ptrIdEEEEPS6_NSA_18transform_iteratorINSB_9not_fun_tI7is_trueIdEEENSC_INSD_IbEEEENSA_11use_defaultESO_EENS0_5tupleIJNSA_16discard_iteratorISO_EES6_EEENSQ_IJSG_SG_EEES6_PlJS6_EEE10hipError_tPvRmT3_T4_T5_T6_T7_T9_mT8_P12ihipStream_tbDpT10_ENKUlT_T0_E_clISt17integral_constantIbLb0EES1F_EEDaS1A_S1B_EUlS1A_E_NS1_11comp_targetILNS1_3genE4ELNS1_11target_archE910ELNS1_3gpuE8ELNS1_3repE0EEENS1_30default_config_static_selectorELNS0_4arch9wavefront6targetE0EEEvT1_,"axG",@progbits,_ZN7rocprim17ROCPRIM_400000_NS6detail17trampoline_kernelINS0_14default_configENS1_25partition_config_selectorILNS1_17partition_subalgoE5EdNS0_10empty_typeEbEEZZNS1_14partition_implILS5_5ELb0ES3_mN6thrust23THRUST_200600_302600_NS6detail15normal_iteratorINSA_10device_ptrIdEEEEPS6_NSA_18transform_iteratorINSB_9not_fun_tI7is_trueIdEEENSC_INSD_IbEEEENSA_11use_defaultESO_EENS0_5tupleIJNSA_16discard_iteratorISO_EES6_EEENSQ_IJSG_SG_EEES6_PlJS6_EEE10hipError_tPvRmT3_T4_T5_T6_T7_T9_mT8_P12ihipStream_tbDpT10_ENKUlT_T0_E_clISt17integral_constantIbLb0EES1F_EEDaS1A_S1B_EUlS1A_E_NS1_11comp_targetILNS1_3genE4ELNS1_11target_archE910ELNS1_3gpuE8ELNS1_3repE0EEENS1_30default_config_static_selectorELNS0_4arch9wavefront6targetE0EEEvT1_,comdat
	.protected	_ZN7rocprim17ROCPRIM_400000_NS6detail17trampoline_kernelINS0_14default_configENS1_25partition_config_selectorILNS1_17partition_subalgoE5EdNS0_10empty_typeEbEEZZNS1_14partition_implILS5_5ELb0ES3_mN6thrust23THRUST_200600_302600_NS6detail15normal_iteratorINSA_10device_ptrIdEEEEPS6_NSA_18transform_iteratorINSB_9not_fun_tI7is_trueIdEEENSC_INSD_IbEEEENSA_11use_defaultESO_EENS0_5tupleIJNSA_16discard_iteratorISO_EES6_EEENSQ_IJSG_SG_EEES6_PlJS6_EEE10hipError_tPvRmT3_T4_T5_T6_T7_T9_mT8_P12ihipStream_tbDpT10_ENKUlT_T0_E_clISt17integral_constantIbLb0EES1F_EEDaS1A_S1B_EUlS1A_E_NS1_11comp_targetILNS1_3genE4ELNS1_11target_archE910ELNS1_3gpuE8ELNS1_3repE0EEENS1_30default_config_static_selectorELNS0_4arch9wavefront6targetE0EEEvT1_ ; -- Begin function _ZN7rocprim17ROCPRIM_400000_NS6detail17trampoline_kernelINS0_14default_configENS1_25partition_config_selectorILNS1_17partition_subalgoE5EdNS0_10empty_typeEbEEZZNS1_14partition_implILS5_5ELb0ES3_mN6thrust23THRUST_200600_302600_NS6detail15normal_iteratorINSA_10device_ptrIdEEEEPS6_NSA_18transform_iteratorINSB_9not_fun_tI7is_trueIdEEENSC_INSD_IbEEEENSA_11use_defaultESO_EENS0_5tupleIJNSA_16discard_iteratorISO_EES6_EEENSQ_IJSG_SG_EEES6_PlJS6_EEE10hipError_tPvRmT3_T4_T5_T6_T7_T9_mT8_P12ihipStream_tbDpT10_ENKUlT_T0_E_clISt17integral_constantIbLb0EES1F_EEDaS1A_S1B_EUlS1A_E_NS1_11comp_targetILNS1_3genE4ELNS1_11target_archE910ELNS1_3gpuE8ELNS1_3repE0EEENS1_30default_config_static_selectorELNS0_4arch9wavefront6targetE0EEEvT1_
	.globl	_ZN7rocprim17ROCPRIM_400000_NS6detail17trampoline_kernelINS0_14default_configENS1_25partition_config_selectorILNS1_17partition_subalgoE5EdNS0_10empty_typeEbEEZZNS1_14partition_implILS5_5ELb0ES3_mN6thrust23THRUST_200600_302600_NS6detail15normal_iteratorINSA_10device_ptrIdEEEEPS6_NSA_18transform_iteratorINSB_9not_fun_tI7is_trueIdEEENSC_INSD_IbEEEENSA_11use_defaultESO_EENS0_5tupleIJNSA_16discard_iteratorISO_EES6_EEENSQ_IJSG_SG_EEES6_PlJS6_EEE10hipError_tPvRmT3_T4_T5_T6_T7_T9_mT8_P12ihipStream_tbDpT10_ENKUlT_T0_E_clISt17integral_constantIbLb0EES1F_EEDaS1A_S1B_EUlS1A_E_NS1_11comp_targetILNS1_3genE4ELNS1_11target_archE910ELNS1_3gpuE8ELNS1_3repE0EEENS1_30default_config_static_selectorELNS0_4arch9wavefront6targetE0EEEvT1_
	.p2align	8
	.type	_ZN7rocprim17ROCPRIM_400000_NS6detail17trampoline_kernelINS0_14default_configENS1_25partition_config_selectorILNS1_17partition_subalgoE5EdNS0_10empty_typeEbEEZZNS1_14partition_implILS5_5ELb0ES3_mN6thrust23THRUST_200600_302600_NS6detail15normal_iteratorINSA_10device_ptrIdEEEEPS6_NSA_18transform_iteratorINSB_9not_fun_tI7is_trueIdEEENSC_INSD_IbEEEENSA_11use_defaultESO_EENS0_5tupleIJNSA_16discard_iteratorISO_EES6_EEENSQ_IJSG_SG_EEES6_PlJS6_EEE10hipError_tPvRmT3_T4_T5_T6_T7_T9_mT8_P12ihipStream_tbDpT10_ENKUlT_T0_E_clISt17integral_constantIbLb0EES1F_EEDaS1A_S1B_EUlS1A_E_NS1_11comp_targetILNS1_3genE4ELNS1_11target_archE910ELNS1_3gpuE8ELNS1_3repE0EEENS1_30default_config_static_selectorELNS0_4arch9wavefront6targetE0EEEvT1_,@function
_ZN7rocprim17ROCPRIM_400000_NS6detail17trampoline_kernelINS0_14default_configENS1_25partition_config_selectorILNS1_17partition_subalgoE5EdNS0_10empty_typeEbEEZZNS1_14partition_implILS5_5ELb0ES3_mN6thrust23THRUST_200600_302600_NS6detail15normal_iteratorINSA_10device_ptrIdEEEEPS6_NSA_18transform_iteratorINSB_9not_fun_tI7is_trueIdEEENSC_INSD_IbEEEENSA_11use_defaultESO_EENS0_5tupleIJNSA_16discard_iteratorISO_EES6_EEENSQ_IJSG_SG_EEES6_PlJS6_EEE10hipError_tPvRmT3_T4_T5_T6_T7_T9_mT8_P12ihipStream_tbDpT10_ENKUlT_T0_E_clISt17integral_constantIbLb0EES1F_EEDaS1A_S1B_EUlS1A_E_NS1_11comp_targetILNS1_3genE4ELNS1_11target_archE910ELNS1_3gpuE8ELNS1_3repE0EEENS1_30default_config_static_selectorELNS0_4arch9wavefront6targetE0EEEvT1_: ; @_ZN7rocprim17ROCPRIM_400000_NS6detail17trampoline_kernelINS0_14default_configENS1_25partition_config_selectorILNS1_17partition_subalgoE5EdNS0_10empty_typeEbEEZZNS1_14partition_implILS5_5ELb0ES3_mN6thrust23THRUST_200600_302600_NS6detail15normal_iteratorINSA_10device_ptrIdEEEEPS6_NSA_18transform_iteratorINSB_9not_fun_tI7is_trueIdEEENSC_INSD_IbEEEENSA_11use_defaultESO_EENS0_5tupleIJNSA_16discard_iteratorISO_EES6_EEENSQ_IJSG_SG_EEES6_PlJS6_EEE10hipError_tPvRmT3_T4_T5_T6_T7_T9_mT8_P12ihipStream_tbDpT10_ENKUlT_T0_E_clISt17integral_constantIbLb0EES1F_EEDaS1A_S1B_EUlS1A_E_NS1_11comp_targetILNS1_3genE4ELNS1_11target_archE910ELNS1_3gpuE8ELNS1_3repE0EEENS1_30default_config_static_selectorELNS0_4arch9wavefront6targetE0EEEvT1_
; %bb.0:
	.section	.rodata,"a",@progbits
	.p2align	6, 0x0
	.amdhsa_kernel _ZN7rocprim17ROCPRIM_400000_NS6detail17trampoline_kernelINS0_14default_configENS1_25partition_config_selectorILNS1_17partition_subalgoE5EdNS0_10empty_typeEbEEZZNS1_14partition_implILS5_5ELb0ES3_mN6thrust23THRUST_200600_302600_NS6detail15normal_iteratorINSA_10device_ptrIdEEEEPS6_NSA_18transform_iteratorINSB_9not_fun_tI7is_trueIdEEENSC_INSD_IbEEEENSA_11use_defaultESO_EENS0_5tupleIJNSA_16discard_iteratorISO_EES6_EEENSQ_IJSG_SG_EEES6_PlJS6_EEE10hipError_tPvRmT3_T4_T5_T6_T7_T9_mT8_P12ihipStream_tbDpT10_ENKUlT_T0_E_clISt17integral_constantIbLb0EES1F_EEDaS1A_S1B_EUlS1A_E_NS1_11comp_targetILNS1_3genE4ELNS1_11target_archE910ELNS1_3gpuE8ELNS1_3repE0EEENS1_30default_config_static_selectorELNS0_4arch9wavefront6targetE0EEEvT1_
		.amdhsa_group_segment_fixed_size 0
		.amdhsa_private_segment_fixed_size 0
		.amdhsa_kernarg_size 128
		.amdhsa_user_sgpr_count 2
		.amdhsa_user_sgpr_dispatch_ptr 0
		.amdhsa_user_sgpr_queue_ptr 0
		.amdhsa_user_sgpr_kernarg_segment_ptr 1
		.amdhsa_user_sgpr_dispatch_id 0
		.amdhsa_user_sgpr_private_segment_size 0
		.amdhsa_wavefront_size32 1
		.amdhsa_uses_dynamic_stack 0
		.amdhsa_enable_private_segment 0
		.amdhsa_system_sgpr_workgroup_id_x 1
		.amdhsa_system_sgpr_workgroup_id_y 0
		.amdhsa_system_sgpr_workgroup_id_z 0
		.amdhsa_system_sgpr_workgroup_info 0
		.amdhsa_system_vgpr_workitem_id 0
		.amdhsa_next_free_vgpr 1
		.amdhsa_next_free_sgpr 1
		.amdhsa_reserve_vcc 0
		.amdhsa_float_round_mode_32 0
		.amdhsa_float_round_mode_16_64 0
		.amdhsa_float_denorm_mode_32 3
		.amdhsa_float_denorm_mode_16_64 3
		.amdhsa_fp16_overflow 0
		.amdhsa_workgroup_processor_mode 1
		.amdhsa_memory_ordered 1
		.amdhsa_forward_progress 1
		.amdhsa_inst_pref_size 0
		.amdhsa_round_robin_scheduling 0
		.amdhsa_exception_fp_ieee_invalid_op 0
		.amdhsa_exception_fp_denorm_src 0
		.amdhsa_exception_fp_ieee_div_zero 0
		.amdhsa_exception_fp_ieee_overflow 0
		.amdhsa_exception_fp_ieee_underflow 0
		.amdhsa_exception_fp_ieee_inexact 0
		.amdhsa_exception_int_div_zero 0
	.end_amdhsa_kernel
	.section	.text._ZN7rocprim17ROCPRIM_400000_NS6detail17trampoline_kernelINS0_14default_configENS1_25partition_config_selectorILNS1_17partition_subalgoE5EdNS0_10empty_typeEbEEZZNS1_14partition_implILS5_5ELb0ES3_mN6thrust23THRUST_200600_302600_NS6detail15normal_iteratorINSA_10device_ptrIdEEEEPS6_NSA_18transform_iteratorINSB_9not_fun_tI7is_trueIdEEENSC_INSD_IbEEEENSA_11use_defaultESO_EENS0_5tupleIJNSA_16discard_iteratorISO_EES6_EEENSQ_IJSG_SG_EEES6_PlJS6_EEE10hipError_tPvRmT3_T4_T5_T6_T7_T9_mT8_P12ihipStream_tbDpT10_ENKUlT_T0_E_clISt17integral_constantIbLb0EES1F_EEDaS1A_S1B_EUlS1A_E_NS1_11comp_targetILNS1_3genE4ELNS1_11target_archE910ELNS1_3gpuE8ELNS1_3repE0EEENS1_30default_config_static_selectorELNS0_4arch9wavefront6targetE0EEEvT1_,"axG",@progbits,_ZN7rocprim17ROCPRIM_400000_NS6detail17trampoline_kernelINS0_14default_configENS1_25partition_config_selectorILNS1_17partition_subalgoE5EdNS0_10empty_typeEbEEZZNS1_14partition_implILS5_5ELb0ES3_mN6thrust23THRUST_200600_302600_NS6detail15normal_iteratorINSA_10device_ptrIdEEEEPS6_NSA_18transform_iteratorINSB_9not_fun_tI7is_trueIdEEENSC_INSD_IbEEEENSA_11use_defaultESO_EENS0_5tupleIJNSA_16discard_iteratorISO_EES6_EEENSQ_IJSG_SG_EEES6_PlJS6_EEE10hipError_tPvRmT3_T4_T5_T6_T7_T9_mT8_P12ihipStream_tbDpT10_ENKUlT_T0_E_clISt17integral_constantIbLb0EES1F_EEDaS1A_S1B_EUlS1A_E_NS1_11comp_targetILNS1_3genE4ELNS1_11target_archE910ELNS1_3gpuE8ELNS1_3repE0EEENS1_30default_config_static_selectorELNS0_4arch9wavefront6targetE0EEEvT1_,comdat
.Lfunc_end2591:
	.size	_ZN7rocprim17ROCPRIM_400000_NS6detail17trampoline_kernelINS0_14default_configENS1_25partition_config_selectorILNS1_17partition_subalgoE5EdNS0_10empty_typeEbEEZZNS1_14partition_implILS5_5ELb0ES3_mN6thrust23THRUST_200600_302600_NS6detail15normal_iteratorINSA_10device_ptrIdEEEEPS6_NSA_18transform_iteratorINSB_9not_fun_tI7is_trueIdEEENSC_INSD_IbEEEENSA_11use_defaultESO_EENS0_5tupleIJNSA_16discard_iteratorISO_EES6_EEENSQ_IJSG_SG_EEES6_PlJS6_EEE10hipError_tPvRmT3_T4_T5_T6_T7_T9_mT8_P12ihipStream_tbDpT10_ENKUlT_T0_E_clISt17integral_constantIbLb0EES1F_EEDaS1A_S1B_EUlS1A_E_NS1_11comp_targetILNS1_3genE4ELNS1_11target_archE910ELNS1_3gpuE8ELNS1_3repE0EEENS1_30default_config_static_selectorELNS0_4arch9wavefront6targetE0EEEvT1_, .Lfunc_end2591-_ZN7rocprim17ROCPRIM_400000_NS6detail17trampoline_kernelINS0_14default_configENS1_25partition_config_selectorILNS1_17partition_subalgoE5EdNS0_10empty_typeEbEEZZNS1_14partition_implILS5_5ELb0ES3_mN6thrust23THRUST_200600_302600_NS6detail15normal_iteratorINSA_10device_ptrIdEEEEPS6_NSA_18transform_iteratorINSB_9not_fun_tI7is_trueIdEEENSC_INSD_IbEEEENSA_11use_defaultESO_EENS0_5tupleIJNSA_16discard_iteratorISO_EES6_EEENSQ_IJSG_SG_EEES6_PlJS6_EEE10hipError_tPvRmT3_T4_T5_T6_T7_T9_mT8_P12ihipStream_tbDpT10_ENKUlT_T0_E_clISt17integral_constantIbLb0EES1F_EEDaS1A_S1B_EUlS1A_E_NS1_11comp_targetILNS1_3genE4ELNS1_11target_archE910ELNS1_3gpuE8ELNS1_3repE0EEENS1_30default_config_static_selectorELNS0_4arch9wavefront6targetE0EEEvT1_
                                        ; -- End function
	.set _ZN7rocprim17ROCPRIM_400000_NS6detail17trampoline_kernelINS0_14default_configENS1_25partition_config_selectorILNS1_17partition_subalgoE5EdNS0_10empty_typeEbEEZZNS1_14partition_implILS5_5ELb0ES3_mN6thrust23THRUST_200600_302600_NS6detail15normal_iteratorINSA_10device_ptrIdEEEEPS6_NSA_18transform_iteratorINSB_9not_fun_tI7is_trueIdEEENSC_INSD_IbEEEENSA_11use_defaultESO_EENS0_5tupleIJNSA_16discard_iteratorISO_EES6_EEENSQ_IJSG_SG_EEES6_PlJS6_EEE10hipError_tPvRmT3_T4_T5_T6_T7_T9_mT8_P12ihipStream_tbDpT10_ENKUlT_T0_E_clISt17integral_constantIbLb0EES1F_EEDaS1A_S1B_EUlS1A_E_NS1_11comp_targetILNS1_3genE4ELNS1_11target_archE910ELNS1_3gpuE8ELNS1_3repE0EEENS1_30default_config_static_selectorELNS0_4arch9wavefront6targetE0EEEvT1_.num_vgpr, 0
	.set _ZN7rocprim17ROCPRIM_400000_NS6detail17trampoline_kernelINS0_14default_configENS1_25partition_config_selectorILNS1_17partition_subalgoE5EdNS0_10empty_typeEbEEZZNS1_14partition_implILS5_5ELb0ES3_mN6thrust23THRUST_200600_302600_NS6detail15normal_iteratorINSA_10device_ptrIdEEEEPS6_NSA_18transform_iteratorINSB_9not_fun_tI7is_trueIdEEENSC_INSD_IbEEEENSA_11use_defaultESO_EENS0_5tupleIJNSA_16discard_iteratorISO_EES6_EEENSQ_IJSG_SG_EEES6_PlJS6_EEE10hipError_tPvRmT3_T4_T5_T6_T7_T9_mT8_P12ihipStream_tbDpT10_ENKUlT_T0_E_clISt17integral_constantIbLb0EES1F_EEDaS1A_S1B_EUlS1A_E_NS1_11comp_targetILNS1_3genE4ELNS1_11target_archE910ELNS1_3gpuE8ELNS1_3repE0EEENS1_30default_config_static_selectorELNS0_4arch9wavefront6targetE0EEEvT1_.num_agpr, 0
	.set _ZN7rocprim17ROCPRIM_400000_NS6detail17trampoline_kernelINS0_14default_configENS1_25partition_config_selectorILNS1_17partition_subalgoE5EdNS0_10empty_typeEbEEZZNS1_14partition_implILS5_5ELb0ES3_mN6thrust23THRUST_200600_302600_NS6detail15normal_iteratorINSA_10device_ptrIdEEEEPS6_NSA_18transform_iteratorINSB_9not_fun_tI7is_trueIdEEENSC_INSD_IbEEEENSA_11use_defaultESO_EENS0_5tupleIJNSA_16discard_iteratorISO_EES6_EEENSQ_IJSG_SG_EEES6_PlJS6_EEE10hipError_tPvRmT3_T4_T5_T6_T7_T9_mT8_P12ihipStream_tbDpT10_ENKUlT_T0_E_clISt17integral_constantIbLb0EES1F_EEDaS1A_S1B_EUlS1A_E_NS1_11comp_targetILNS1_3genE4ELNS1_11target_archE910ELNS1_3gpuE8ELNS1_3repE0EEENS1_30default_config_static_selectorELNS0_4arch9wavefront6targetE0EEEvT1_.numbered_sgpr, 0
	.set _ZN7rocprim17ROCPRIM_400000_NS6detail17trampoline_kernelINS0_14default_configENS1_25partition_config_selectorILNS1_17partition_subalgoE5EdNS0_10empty_typeEbEEZZNS1_14partition_implILS5_5ELb0ES3_mN6thrust23THRUST_200600_302600_NS6detail15normal_iteratorINSA_10device_ptrIdEEEEPS6_NSA_18transform_iteratorINSB_9not_fun_tI7is_trueIdEEENSC_INSD_IbEEEENSA_11use_defaultESO_EENS0_5tupleIJNSA_16discard_iteratorISO_EES6_EEENSQ_IJSG_SG_EEES6_PlJS6_EEE10hipError_tPvRmT3_T4_T5_T6_T7_T9_mT8_P12ihipStream_tbDpT10_ENKUlT_T0_E_clISt17integral_constantIbLb0EES1F_EEDaS1A_S1B_EUlS1A_E_NS1_11comp_targetILNS1_3genE4ELNS1_11target_archE910ELNS1_3gpuE8ELNS1_3repE0EEENS1_30default_config_static_selectorELNS0_4arch9wavefront6targetE0EEEvT1_.num_named_barrier, 0
	.set _ZN7rocprim17ROCPRIM_400000_NS6detail17trampoline_kernelINS0_14default_configENS1_25partition_config_selectorILNS1_17partition_subalgoE5EdNS0_10empty_typeEbEEZZNS1_14partition_implILS5_5ELb0ES3_mN6thrust23THRUST_200600_302600_NS6detail15normal_iteratorINSA_10device_ptrIdEEEEPS6_NSA_18transform_iteratorINSB_9not_fun_tI7is_trueIdEEENSC_INSD_IbEEEENSA_11use_defaultESO_EENS0_5tupleIJNSA_16discard_iteratorISO_EES6_EEENSQ_IJSG_SG_EEES6_PlJS6_EEE10hipError_tPvRmT3_T4_T5_T6_T7_T9_mT8_P12ihipStream_tbDpT10_ENKUlT_T0_E_clISt17integral_constantIbLb0EES1F_EEDaS1A_S1B_EUlS1A_E_NS1_11comp_targetILNS1_3genE4ELNS1_11target_archE910ELNS1_3gpuE8ELNS1_3repE0EEENS1_30default_config_static_selectorELNS0_4arch9wavefront6targetE0EEEvT1_.private_seg_size, 0
	.set _ZN7rocprim17ROCPRIM_400000_NS6detail17trampoline_kernelINS0_14default_configENS1_25partition_config_selectorILNS1_17partition_subalgoE5EdNS0_10empty_typeEbEEZZNS1_14partition_implILS5_5ELb0ES3_mN6thrust23THRUST_200600_302600_NS6detail15normal_iteratorINSA_10device_ptrIdEEEEPS6_NSA_18transform_iteratorINSB_9not_fun_tI7is_trueIdEEENSC_INSD_IbEEEENSA_11use_defaultESO_EENS0_5tupleIJNSA_16discard_iteratorISO_EES6_EEENSQ_IJSG_SG_EEES6_PlJS6_EEE10hipError_tPvRmT3_T4_T5_T6_T7_T9_mT8_P12ihipStream_tbDpT10_ENKUlT_T0_E_clISt17integral_constantIbLb0EES1F_EEDaS1A_S1B_EUlS1A_E_NS1_11comp_targetILNS1_3genE4ELNS1_11target_archE910ELNS1_3gpuE8ELNS1_3repE0EEENS1_30default_config_static_selectorELNS0_4arch9wavefront6targetE0EEEvT1_.uses_vcc, 0
	.set _ZN7rocprim17ROCPRIM_400000_NS6detail17trampoline_kernelINS0_14default_configENS1_25partition_config_selectorILNS1_17partition_subalgoE5EdNS0_10empty_typeEbEEZZNS1_14partition_implILS5_5ELb0ES3_mN6thrust23THRUST_200600_302600_NS6detail15normal_iteratorINSA_10device_ptrIdEEEEPS6_NSA_18transform_iteratorINSB_9not_fun_tI7is_trueIdEEENSC_INSD_IbEEEENSA_11use_defaultESO_EENS0_5tupleIJNSA_16discard_iteratorISO_EES6_EEENSQ_IJSG_SG_EEES6_PlJS6_EEE10hipError_tPvRmT3_T4_T5_T6_T7_T9_mT8_P12ihipStream_tbDpT10_ENKUlT_T0_E_clISt17integral_constantIbLb0EES1F_EEDaS1A_S1B_EUlS1A_E_NS1_11comp_targetILNS1_3genE4ELNS1_11target_archE910ELNS1_3gpuE8ELNS1_3repE0EEENS1_30default_config_static_selectorELNS0_4arch9wavefront6targetE0EEEvT1_.uses_flat_scratch, 0
	.set _ZN7rocprim17ROCPRIM_400000_NS6detail17trampoline_kernelINS0_14default_configENS1_25partition_config_selectorILNS1_17partition_subalgoE5EdNS0_10empty_typeEbEEZZNS1_14partition_implILS5_5ELb0ES3_mN6thrust23THRUST_200600_302600_NS6detail15normal_iteratorINSA_10device_ptrIdEEEEPS6_NSA_18transform_iteratorINSB_9not_fun_tI7is_trueIdEEENSC_INSD_IbEEEENSA_11use_defaultESO_EENS0_5tupleIJNSA_16discard_iteratorISO_EES6_EEENSQ_IJSG_SG_EEES6_PlJS6_EEE10hipError_tPvRmT3_T4_T5_T6_T7_T9_mT8_P12ihipStream_tbDpT10_ENKUlT_T0_E_clISt17integral_constantIbLb0EES1F_EEDaS1A_S1B_EUlS1A_E_NS1_11comp_targetILNS1_3genE4ELNS1_11target_archE910ELNS1_3gpuE8ELNS1_3repE0EEENS1_30default_config_static_selectorELNS0_4arch9wavefront6targetE0EEEvT1_.has_dyn_sized_stack, 0
	.set _ZN7rocprim17ROCPRIM_400000_NS6detail17trampoline_kernelINS0_14default_configENS1_25partition_config_selectorILNS1_17partition_subalgoE5EdNS0_10empty_typeEbEEZZNS1_14partition_implILS5_5ELb0ES3_mN6thrust23THRUST_200600_302600_NS6detail15normal_iteratorINSA_10device_ptrIdEEEEPS6_NSA_18transform_iteratorINSB_9not_fun_tI7is_trueIdEEENSC_INSD_IbEEEENSA_11use_defaultESO_EENS0_5tupleIJNSA_16discard_iteratorISO_EES6_EEENSQ_IJSG_SG_EEES6_PlJS6_EEE10hipError_tPvRmT3_T4_T5_T6_T7_T9_mT8_P12ihipStream_tbDpT10_ENKUlT_T0_E_clISt17integral_constantIbLb0EES1F_EEDaS1A_S1B_EUlS1A_E_NS1_11comp_targetILNS1_3genE4ELNS1_11target_archE910ELNS1_3gpuE8ELNS1_3repE0EEENS1_30default_config_static_selectorELNS0_4arch9wavefront6targetE0EEEvT1_.has_recursion, 0
	.set _ZN7rocprim17ROCPRIM_400000_NS6detail17trampoline_kernelINS0_14default_configENS1_25partition_config_selectorILNS1_17partition_subalgoE5EdNS0_10empty_typeEbEEZZNS1_14partition_implILS5_5ELb0ES3_mN6thrust23THRUST_200600_302600_NS6detail15normal_iteratorINSA_10device_ptrIdEEEEPS6_NSA_18transform_iteratorINSB_9not_fun_tI7is_trueIdEEENSC_INSD_IbEEEENSA_11use_defaultESO_EENS0_5tupleIJNSA_16discard_iteratorISO_EES6_EEENSQ_IJSG_SG_EEES6_PlJS6_EEE10hipError_tPvRmT3_T4_T5_T6_T7_T9_mT8_P12ihipStream_tbDpT10_ENKUlT_T0_E_clISt17integral_constantIbLb0EES1F_EEDaS1A_S1B_EUlS1A_E_NS1_11comp_targetILNS1_3genE4ELNS1_11target_archE910ELNS1_3gpuE8ELNS1_3repE0EEENS1_30default_config_static_selectorELNS0_4arch9wavefront6targetE0EEEvT1_.has_indirect_call, 0
	.section	.AMDGPU.csdata,"",@progbits
; Kernel info:
; codeLenInByte = 0
; TotalNumSgprs: 0
; NumVgprs: 0
; ScratchSize: 0
; MemoryBound: 0
; FloatMode: 240
; IeeeMode: 1
; LDSByteSize: 0 bytes/workgroup (compile time only)
; SGPRBlocks: 0
; VGPRBlocks: 0
; NumSGPRsForWavesPerEU: 1
; NumVGPRsForWavesPerEU: 1
; Occupancy: 16
; WaveLimiterHint : 0
; COMPUTE_PGM_RSRC2:SCRATCH_EN: 0
; COMPUTE_PGM_RSRC2:USER_SGPR: 2
; COMPUTE_PGM_RSRC2:TRAP_HANDLER: 0
; COMPUTE_PGM_RSRC2:TGID_X_EN: 1
; COMPUTE_PGM_RSRC2:TGID_Y_EN: 0
; COMPUTE_PGM_RSRC2:TGID_Z_EN: 0
; COMPUTE_PGM_RSRC2:TIDIG_COMP_CNT: 0
	.section	.text._ZN7rocprim17ROCPRIM_400000_NS6detail17trampoline_kernelINS0_14default_configENS1_25partition_config_selectorILNS1_17partition_subalgoE5EdNS0_10empty_typeEbEEZZNS1_14partition_implILS5_5ELb0ES3_mN6thrust23THRUST_200600_302600_NS6detail15normal_iteratorINSA_10device_ptrIdEEEEPS6_NSA_18transform_iteratorINSB_9not_fun_tI7is_trueIdEEENSC_INSD_IbEEEENSA_11use_defaultESO_EENS0_5tupleIJNSA_16discard_iteratorISO_EES6_EEENSQ_IJSG_SG_EEES6_PlJS6_EEE10hipError_tPvRmT3_T4_T5_T6_T7_T9_mT8_P12ihipStream_tbDpT10_ENKUlT_T0_E_clISt17integral_constantIbLb0EES1F_EEDaS1A_S1B_EUlS1A_E_NS1_11comp_targetILNS1_3genE3ELNS1_11target_archE908ELNS1_3gpuE7ELNS1_3repE0EEENS1_30default_config_static_selectorELNS0_4arch9wavefront6targetE0EEEvT1_,"axG",@progbits,_ZN7rocprim17ROCPRIM_400000_NS6detail17trampoline_kernelINS0_14default_configENS1_25partition_config_selectorILNS1_17partition_subalgoE5EdNS0_10empty_typeEbEEZZNS1_14partition_implILS5_5ELb0ES3_mN6thrust23THRUST_200600_302600_NS6detail15normal_iteratorINSA_10device_ptrIdEEEEPS6_NSA_18transform_iteratorINSB_9not_fun_tI7is_trueIdEEENSC_INSD_IbEEEENSA_11use_defaultESO_EENS0_5tupleIJNSA_16discard_iteratorISO_EES6_EEENSQ_IJSG_SG_EEES6_PlJS6_EEE10hipError_tPvRmT3_T4_T5_T6_T7_T9_mT8_P12ihipStream_tbDpT10_ENKUlT_T0_E_clISt17integral_constantIbLb0EES1F_EEDaS1A_S1B_EUlS1A_E_NS1_11comp_targetILNS1_3genE3ELNS1_11target_archE908ELNS1_3gpuE7ELNS1_3repE0EEENS1_30default_config_static_selectorELNS0_4arch9wavefront6targetE0EEEvT1_,comdat
	.protected	_ZN7rocprim17ROCPRIM_400000_NS6detail17trampoline_kernelINS0_14default_configENS1_25partition_config_selectorILNS1_17partition_subalgoE5EdNS0_10empty_typeEbEEZZNS1_14partition_implILS5_5ELb0ES3_mN6thrust23THRUST_200600_302600_NS6detail15normal_iteratorINSA_10device_ptrIdEEEEPS6_NSA_18transform_iteratorINSB_9not_fun_tI7is_trueIdEEENSC_INSD_IbEEEENSA_11use_defaultESO_EENS0_5tupleIJNSA_16discard_iteratorISO_EES6_EEENSQ_IJSG_SG_EEES6_PlJS6_EEE10hipError_tPvRmT3_T4_T5_T6_T7_T9_mT8_P12ihipStream_tbDpT10_ENKUlT_T0_E_clISt17integral_constantIbLb0EES1F_EEDaS1A_S1B_EUlS1A_E_NS1_11comp_targetILNS1_3genE3ELNS1_11target_archE908ELNS1_3gpuE7ELNS1_3repE0EEENS1_30default_config_static_selectorELNS0_4arch9wavefront6targetE0EEEvT1_ ; -- Begin function _ZN7rocprim17ROCPRIM_400000_NS6detail17trampoline_kernelINS0_14default_configENS1_25partition_config_selectorILNS1_17partition_subalgoE5EdNS0_10empty_typeEbEEZZNS1_14partition_implILS5_5ELb0ES3_mN6thrust23THRUST_200600_302600_NS6detail15normal_iteratorINSA_10device_ptrIdEEEEPS6_NSA_18transform_iteratorINSB_9not_fun_tI7is_trueIdEEENSC_INSD_IbEEEENSA_11use_defaultESO_EENS0_5tupleIJNSA_16discard_iteratorISO_EES6_EEENSQ_IJSG_SG_EEES6_PlJS6_EEE10hipError_tPvRmT3_T4_T5_T6_T7_T9_mT8_P12ihipStream_tbDpT10_ENKUlT_T0_E_clISt17integral_constantIbLb0EES1F_EEDaS1A_S1B_EUlS1A_E_NS1_11comp_targetILNS1_3genE3ELNS1_11target_archE908ELNS1_3gpuE7ELNS1_3repE0EEENS1_30default_config_static_selectorELNS0_4arch9wavefront6targetE0EEEvT1_
	.globl	_ZN7rocprim17ROCPRIM_400000_NS6detail17trampoline_kernelINS0_14default_configENS1_25partition_config_selectorILNS1_17partition_subalgoE5EdNS0_10empty_typeEbEEZZNS1_14partition_implILS5_5ELb0ES3_mN6thrust23THRUST_200600_302600_NS6detail15normal_iteratorINSA_10device_ptrIdEEEEPS6_NSA_18transform_iteratorINSB_9not_fun_tI7is_trueIdEEENSC_INSD_IbEEEENSA_11use_defaultESO_EENS0_5tupleIJNSA_16discard_iteratorISO_EES6_EEENSQ_IJSG_SG_EEES6_PlJS6_EEE10hipError_tPvRmT3_T4_T5_T6_T7_T9_mT8_P12ihipStream_tbDpT10_ENKUlT_T0_E_clISt17integral_constantIbLb0EES1F_EEDaS1A_S1B_EUlS1A_E_NS1_11comp_targetILNS1_3genE3ELNS1_11target_archE908ELNS1_3gpuE7ELNS1_3repE0EEENS1_30default_config_static_selectorELNS0_4arch9wavefront6targetE0EEEvT1_
	.p2align	8
	.type	_ZN7rocprim17ROCPRIM_400000_NS6detail17trampoline_kernelINS0_14default_configENS1_25partition_config_selectorILNS1_17partition_subalgoE5EdNS0_10empty_typeEbEEZZNS1_14partition_implILS5_5ELb0ES3_mN6thrust23THRUST_200600_302600_NS6detail15normal_iteratorINSA_10device_ptrIdEEEEPS6_NSA_18transform_iteratorINSB_9not_fun_tI7is_trueIdEEENSC_INSD_IbEEEENSA_11use_defaultESO_EENS0_5tupleIJNSA_16discard_iteratorISO_EES6_EEENSQ_IJSG_SG_EEES6_PlJS6_EEE10hipError_tPvRmT3_T4_T5_T6_T7_T9_mT8_P12ihipStream_tbDpT10_ENKUlT_T0_E_clISt17integral_constantIbLb0EES1F_EEDaS1A_S1B_EUlS1A_E_NS1_11comp_targetILNS1_3genE3ELNS1_11target_archE908ELNS1_3gpuE7ELNS1_3repE0EEENS1_30default_config_static_selectorELNS0_4arch9wavefront6targetE0EEEvT1_,@function
_ZN7rocprim17ROCPRIM_400000_NS6detail17trampoline_kernelINS0_14default_configENS1_25partition_config_selectorILNS1_17partition_subalgoE5EdNS0_10empty_typeEbEEZZNS1_14partition_implILS5_5ELb0ES3_mN6thrust23THRUST_200600_302600_NS6detail15normal_iteratorINSA_10device_ptrIdEEEEPS6_NSA_18transform_iteratorINSB_9not_fun_tI7is_trueIdEEENSC_INSD_IbEEEENSA_11use_defaultESO_EENS0_5tupleIJNSA_16discard_iteratorISO_EES6_EEENSQ_IJSG_SG_EEES6_PlJS6_EEE10hipError_tPvRmT3_T4_T5_T6_T7_T9_mT8_P12ihipStream_tbDpT10_ENKUlT_T0_E_clISt17integral_constantIbLb0EES1F_EEDaS1A_S1B_EUlS1A_E_NS1_11comp_targetILNS1_3genE3ELNS1_11target_archE908ELNS1_3gpuE7ELNS1_3repE0EEENS1_30default_config_static_selectorELNS0_4arch9wavefront6targetE0EEEvT1_: ; @_ZN7rocprim17ROCPRIM_400000_NS6detail17trampoline_kernelINS0_14default_configENS1_25partition_config_selectorILNS1_17partition_subalgoE5EdNS0_10empty_typeEbEEZZNS1_14partition_implILS5_5ELb0ES3_mN6thrust23THRUST_200600_302600_NS6detail15normal_iteratorINSA_10device_ptrIdEEEEPS6_NSA_18transform_iteratorINSB_9not_fun_tI7is_trueIdEEENSC_INSD_IbEEEENSA_11use_defaultESO_EENS0_5tupleIJNSA_16discard_iteratorISO_EES6_EEENSQ_IJSG_SG_EEES6_PlJS6_EEE10hipError_tPvRmT3_T4_T5_T6_T7_T9_mT8_P12ihipStream_tbDpT10_ENKUlT_T0_E_clISt17integral_constantIbLb0EES1F_EEDaS1A_S1B_EUlS1A_E_NS1_11comp_targetILNS1_3genE3ELNS1_11target_archE908ELNS1_3gpuE7ELNS1_3repE0EEENS1_30default_config_static_selectorELNS0_4arch9wavefront6targetE0EEEvT1_
; %bb.0:
	.section	.rodata,"a",@progbits
	.p2align	6, 0x0
	.amdhsa_kernel _ZN7rocprim17ROCPRIM_400000_NS6detail17trampoline_kernelINS0_14default_configENS1_25partition_config_selectorILNS1_17partition_subalgoE5EdNS0_10empty_typeEbEEZZNS1_14partition_implILS5_5ELb0ES3_mN6thrust23THRUST_200600_302600_NS6detail15normal_iteratorINSA_10device_ptrIdEEEEPS6_NSA_18transform_iteratorINSB_9not_fun_tI7is_trueIdEEENSC_INSD_IbEEEENSA_11use_defaultESO_EENS0_5tupleIJNSA_16discard_iteratorISO_EES6_EEENSQ_IJSG_SG_EEES6_PlJS6_EEE10hipError_tPvRmT3_T4_T5_T6_T7_T9_mT8_P12ihipStream_tbDpT10_ENKUlT_T0_E_clISt17integral_constantIbLb0EES1F_EEDaS1A_S1B_EUlS1A_E_NS1_11comp_targetILNS1_3genE3ELNS1_11target_archE908ELNS1_3gpuE7ELNS1_3repE0EEENS1_30default_config_static_selectorELNS0_4arch9wavefront6targetE0EEEvT1_
		.amdhsa_group_segment_fixed_size 0
		.amdhsa_private_segment_fixed_size 0
		.amdhsa_kernarg_size 128
		.amdhsa_user_sgpr_count 2
		.amdhsa_user_sgpr_dispatch_ptr 0
		.amdhsa_user_sgpr_queue_ptr 0
		.amdhsa_user_sgpr_kernarg_segment_ptr 1
		.amdhsa_user_sgpr_dispatch_id 0
		.amdhsa_user_sgpr_private_segment_size 0
		.amdhsa_wavefront_size32 1
		.amdhsa_uses_dynamic_stack 0
		.amdhsa_enable_private_segment 0
		.amdhsa_system_sgpr_workgroup_id_x 1
		.amdhsa_system_sgpr_workgroup_id_y 0
		.amdhsa_system_sgpr_workgroup_id_z 0
		.amdhsa_system_sgpr_workgroup_info 0
		.amdhsa_system_vgpr_workitem_id 0
		.amdhsa_next_free_vgpr 1
		.amdhsa_next_free_sgpr 1
		.amdhsa_reserve_vcc 0
		.amdhsa_float_round_mode_32 0
		.amdhsa_float_round_mode_16_64 0
		.amdhsa_float_denorm_mode_32 3
		.amdhsa_float_denorm_mode_16_64 3
		.amdhsa_fp16_overflow 0
		.amdhsa_workgroup_processor_mode 1
		.amdhsa_memory_ordered 1
		.amdhsa_forward_progress 1
		.amdhsa_inst_pref_size 0
		.amdhsa_round_robin_scheduling 0
		.amdhsa_exception_fp_ieee_invalid_op 0
		.amdhsa_exception_fp_denorm_src 0
		.amdhsa_exception_fp_ieee_div_zero 0
		.amdhsa_exception_fp_ieee_overflow 0
		.amdhsa_exception_fp_ieee_underflow 0
		.amdhsa_exception_fp_ieee_inexact 0
		.amdhsa_exception_int_div_zero 0
	.end_amdhsa_kernel
	.section	.text._ZN7rocprim17ROCPRIM_400000_NS6detail17trampoline_kernelINS0_14default_configENS1_25partition_config_selectorILNS1_17partition_subalgoE5EdNS0_10empty_typeEbEEZZNS1_14partition_implILS5_5ELb0ES3_mN6thrust23THRUST_200600_302600_NS6detail15normal_iteratorINSA_10device_ptrIdEEEEPS6_NSA_18transform_iteratorINSB_9not_fun_tI7is_trueIdEEENSC_INSD_IbEEEENSA_11use_defaultESO_EENS0_5tupleIJNSA_16discard_iteratorISO_EES6_EEENSQ_IJSG_SG_EEES6_PlJS6_EEE10hipError_tPvRmT3_T4_T5_T6_T7_T9_mT8_P12ihipStream_tbDpT10_ENKUlT_T0_E_clISt17integral_constantIbLb0EES1F_EEDaS1A_S1B_EUlS1A_E_NS1_11comp_targetILNS1_3genE3ELNS1_11target_archE908ELNS1_3gpuE7ELNS1_3repE0EEENS1_30default_config_static_selectorELNS0_4arch9wavefront6targetE0EEEvT1_,"axG",@progbits,_ZN7rocprim17ROCPRIM_400000_NS6detail17trampoline_kernelINS0_14default_configENS1_25partition_config_selectorILNS1_17partition_subalgoE5EdNS0_10empty_typeEbEEZZNS1_14partition_implILS5_5ELb0ES3_mN6thrust23THRUST_200600_302600_NS6detail15normal_iteratorINSA_10device_ptrIdEEEEPS6_NSA_18transform_iteratorINSB_9not_fun_tI7is_trueIdEEENSC_INSD_IbEEEENSA_11use_defaultESO_EENS0_5tupleIJNSA_16discard_iteratorISO_EES6_EEENSQ_IJSG_SG_EEES6_PlJS6_EEE10hipError_tPvRmT3_T4_T5_T6_T7_T9_mT8_P12ihipStream_tbDpT10_ENKUlT_T0_E_clISt17integral_constantIbLb0EES1F_EEDaS1A_S1B_EUlS1A_E_NS1_11comp_targetILNS1_3genE3ELNS1_11target_archE908ELNS1_3gpuE7ELNS1_3repE0EEENS1_30default_config_static_selectorELNS0_4arch9wavefront6targetE0EEEvT1_,comdat
.Lfunc_end2592:
	.size	_ZN7rocprim17ROCPRIM_400000_NS6detail17trampoline_kernelINS0_14default_configENS1_25partition_config_selectorILNS1_17partition_subalgoE5EdNS0_10empty_typeEbEEZZNS1_14partition_implILS5_5ELb0ES3_mN6thrust23THRUST_200600_302600_NS6detail15normal_iteratorINSA_10device_ptrIdEEEEPS6_NSA_18transform_iteratorINSB_9not_fun_tI7is_trueIdEEENSC_INSD_IbEEEENSA_11use_defaultESO_EENS0_5tupleIJNSA_16discard_iteratorISO_EES6_EEENSQ_IJSG_SG_EEES6_PlJS6_EEE10hipError_tPvRmT3_T4_T5_T6_T7_T9_mT8_P12ihipStream_tbDpT10_ENKUlT_T0_E_clISt17integral_constantIbLb0EES1F_EEDaS1A_S1B_EUlS1A_E_NS1_11comp_targetILNS1_3genE3ELNS1_11target_archE908ELNS1_3gpuE7ELNS1_3repE0EEENS1_30default_config_static_selectorELNS0_4arch9wavefront6targetE0EEEvT1_, .Lfunc_end2592-_ZN7rocprim17ROCPRIM_400000_NS6detail17trampoline_kernelINS0_14default_configENS1_25partition_config_selectorILNS1_17partition_subalgoE5EdNS0_10empty_typeEbEEZZNS1_14partition_implILS5_5ELb0ES3_mN6thrust23THRUST_200600_302600_NS6detail15normal_iteratorINSA_10device_ptrIdEEEEPS6_NSA_18transform_iteratorINSB_9not_fun_tI7is_trueIdEEENSC_INSD_IbEEEENSA_11use_defaultESO_EENS0_5tupleIJNSA_16discard_iteratorISO_EES6_EEENSQ_IJSG_SG_EEES6_PlJS6_EEE10hipError_tPvRmT3_T4_T5_T6_T7_T9_mT8_P12ihipStream_tbDpT10_ENKUlT_T0_E_clISt17integral_constantIbLb0EES1F_EEDaS1A_S1B_EUlS1A_E_NS1_11comp_targetILNS1_3genE3ELNS1_11target_archE908ELNS1_3gpuE7ELNS1_3repE0EEENS1_30default_config_static_selectorELNS0_4arch9wavefront6targetE0EEEvT1_
                                        ; -- End function
	.set _ZN7rocprim17ROCPRIM_400000_NS6detail17trampoline_kernelINS0_14default_configENS1_25partition_config_selectorILNS1_17partition_subalgoE5EdNS0_10empty_typeEbEEZZNS1_14partition_implILS5_5ELb0ES3_mN6thrust23THRUST_200600_302600_NS6detail15normal_iteratorINSA_10device_ptrIdEEEEPS6_NSA_18transform_iteratorINSB_9not_fun_tI7is_trueIdEEENSC_INSD_IbEEEENSA_11use_defaultESO_EENS0_5tupleIJNSA_16discard_iteratorISO_EES6_EEENSQ_IJSG_SG_EEES6_PlJS6_EEE10hipError_tPvRmT3_T4_T5_T6_T7_T9_mT8_P12ihipStream_tbDpT10_ENKUlT_T0_E_clISt17integral_constantIbLb0EES1F_EEDaS1A_S1B_EUlS1A_E_NS1_11comp_targetILNS1_3genE3ELNS1_11target_archE908ELNS1_3gpuE7ELNS1_3repE0EEENS1_30default_config_static_selectorELNS0_4arch9wavefront6targetE0EEEvT1_.num_vgpr, 0
	.set _ZN7rocprim17ROCPRIM_400000_NS6detail17trampoline_kernelINS0_14default_configENS1_25partition_config_selectorILNS1_17partition_subalgoE5EdNS0_10empty_typeEbEEZZNS1_14partition_implILS5_5ELb0ES3_mN6thrust23THRUST_200600_302600_NS6detail15normal_iteratorINSA_10device_ptrIdEEEEPS6_NSA_18transform_iteratorINSB_9not_fun_tI7is_trueIdEEENSC_INSD_IbEEEENSA_11use_defaultESO_EENS0_5tupleIJNSA_16discard_iteratorISO_EES6_EEENSQ_IJSG_SG_EEES6_PlJS6_EEE10hipError_tPvRmT3_T4_T5_T6_T7_T9_mT8_P12ihipStream_tbDpT10_ENKUlT_T0_E_clISt17integral_constantIbLb0EES1F_EEDaS1A_S1B_EUlS1A_E_NS1_11comp_targetILNS1_3genE3ELNS1_11target_archE908ELNS1_3gpuE7ELNS1_3repE0EEENS1_30default_config_static_selectorELNS0_4arch9wavefront6targetE0EEEvT1_.num_agpr, 0
	.set _ZN7rocprim17ROCPRIM_400000_NS6detail17trampoline_kernelINS0_14default_configENS1_25partition_config_selectorILNS1_17partition_subalgoE5EdNS0_10empty_typeEbEEZZNS1_14partition_implILS5_5ELb0ES3_mN6thrust23THRUST_200600_302600_NS6detail15normal_iteratorINSA_10device_ptrIdEEEEPS6_NSA_18transform_iteratorINSB_9not_fun_tI7is_trueIdEEENSC_INSD_IbEEEENSA_11use_defaultESO_EENS0_5tupleIJNSA_16discard_iteratorISO_EES6_EEENSQ_IJSG_SG_EEES6_PlJS6_EEE10hipError_tPvRmT3_T4_T5_T6_T7_T9_mT8_P12ihipStream_tbDpT10_ENKUlT_T0_E_clISt17integral_constantIbLb0EES1F_EEDaS1A_S1B_EUlS1A_E_NS1_11comp_targetILNS1_3genE3ELNS1_11target_archE908ELNS1_3gpuE7ELNS1_3repE0EEENS1_30default_config_static_selectorELNS0_4arch9wavefront6targetE0EEEvT1_.numbered_sgpr, 0
	.set _ZN7rocprim17ROCPRIM_400000_NS6detail17trampoline_kernelINS0_14default_configENS1_25partition_config_selectorILNS1_17partition_subalgoE5EdNS0_10empty_typeEbEEZZNS1_14partition_implILS5_5ELb0ES3_mN6thrust23THRUST_200600_302600_NS6detail15normal_iteratorINSA_10device_ptrIdEEEEPS6_NSA_18transform_iteratorINSB_9not_fun_tI7is_trueIdEEENSC_INSD_IbEEEENSA_11use_defaultESO_EENS0_5tupleIJNSA_16discard_iteratorISO_EES6_EEENSQ_IJSG_SG_EEES6_PlJS6_EEE10hipError_tPvRmT3_T4_T5_T6_T7_T9_mT8_P12ihipStream_tbDpT10_ENKUlT_T0_E_clISt17integral_constantIbLb0EES1F_EEDaS1A_S1B_EUlS1A_E_NS1_11comp_targetILNS1_3genE3ELNS1_11target_archE908ELNS1_3gpuE7ELNS1_3repE0EEENS1_30default_config_static_selectorELNS0_4arch9wavefront6targetE0EEEvT1_.num_named_barrier, 0
	.set _ZN7rocprim17ROCPRIM_400000_NS6detail17trampoline_kernelINS0_14default_configENS1_25partition_config_selectorILNS1_17partition_subalgoE5EdNS0_10empty_typeEbEEZZNS1_14partition_implILS5_5ELb0ES3_mN6thrust23THRUST_200600_302600_NS6detail15normal_iteratorINSA_10device_ptrIdEEEEPS6_NSA_18transform_iteratorINSB_9not_fun_tI7is_trueIdEEENSC_INSD_IbEEEENSA_11use_defaultESO_EENS0_5tupleIJNSA_16discard_iteratorISO_EES6_EEENSQ_IJSG_SG_EEES6_PlJS6_EEE10hipError_tPvRmT3_T4_T5_T6_T7_T9_mT8_P12ihipStream_tbDpT10_ENKUlT_T0_E_clISt17integral_constantIbLb0EES1F_EEDaS1A_S1B_EUlS1A_E_NS1_11comp_targetILNS1_3genE3ELNS1_11target_archE908ELNS1_3gpuE7ELNS1_3repE0EEENS1_30default_config_static_selectorELNS0_4arch9wavefront6targetE0EEEvT1_.private_seg_size, 0
	.set _ZN7rocprim17ROCPRIM_400000_NS6detail17trampoline_kernelINS0_14default_configENS1_25partition_config_selectorILNS1_17partition_subalgoE5EdNS0_10empty_typeEbEEZZNS1_14partition_implILS5_5ELb0ES3_mN6thrust23THRUST_200600_302600_NS6detail15normal_iteratorINSA_10device_ptrIdEEEEPS6_NSA_18transform_iteratorINSB_9not_fun_tI7is_trueIdEEENSC_INSD_IbEEEENSA_11use_defaultESO_EENS0_5tupleIJNSA_16discard_iteratorISO_EES6_EEENSQ_IJSG_SG_EEES6_PlJS6_EEE10hipError_tPvRmT3_T4_T5_T6_T7_T9_mT8_P12ihipStream_tbDpT10_ENKUlT_T0_E_clISt17integral_constantIbLb0EES1F_EEDaS1A_S1B_EUlS1A_E_NS1_11comp_targetILNS1_3genE3ELNS1_11target_archE908ELNS1_3gpuE7ELNS1_3repE0EEENS1_30default_config_static_selectorELNS0_4arch9wavefront6targetE0EEEvT1_.uses_vcc, 0
	.set _ZN7rocprim17ROCPRIM_400000_NS6detail17trampoline_kernelINS0_14default_configENS1_25partition_config_selectorILNS1_17partition_subalgoE5EdNS0_10empty_typeEbEEZZNS1_14partition_implILS5_5ELb0ES3_mN6thrust23THRUST_200600_302600_NS6detail15normal_iteratorINSA_10device_ptrIdEEEEPS6_NSA_18transform_iteratorINSB_9not_fun_tI7is_trueIdEEENSC_INSD_IbEEEENSA_11use_defaultESO_EENS0_5tupleIJNSA_16discard_iteratorISO_EES6_EEENSQ_IJSG_SG_EEES6_PlJS6_EEE10hipError_tPvRmT3_T4_T5_T6_T7_T9_mT8_P12ihipStream_tbDpT10_ENKUlT_T0_E_clISt17integral_constantIbLb0EES1F_EEDaS1A_S1B_EUlS1A_E_NS1_11comp_targetILNS1_3genE3ELNS1_11target_archE908ELNS1_3gpuE7ELNS1_3repE0EEENS1_30default_config_static_selectorELNS0_4arch9wavefront6targetE0EEEvT1_.uses_flat_scratch, 0
	.set _ZN7rocprim17ROCPRIM_400000_NS6detail17trampoline_kernelINS0_14default_configENS1_25partition_config_selectorILNS1_17partition_subalgoE5EdNS0_10empty_typeEbEEZZNS1_14partition_implILS5_5ELb0ES3_mN6thrust23THRUST_200600_302600_NS6detail15normal_iteratorINSA_10device_ptrIdEEEEPS6_NSA_18transform_iteratorINSB_9not_fun_tI7is_trueIdEEENSC_INSD_IbEEEENSA_11use_defaultESO_EENS0_5tupleIJNSA_16discard_iteratorISO_EES6_EEENSQ_IJSG_SG_EEES6_PlJS6_EEE10hipError_tPvRmT3_T4_T5_T6_T7_T9_mT8_P12ihipStream_tbDpT10_ENKUlT_T0_E_clISt17integral_constantIbLb0EES1F_EEDaS1A_S1B_EUlS1A_E_NS1_11comp_targetILNS1_3genE3ELNS1_11target_archE908ELNS1_3gpuE7ELNS1_3repE0EEENS1_30default_config_static_selectorELNS0_4arch9wavefront6targetE0EEEvT1_.has_dyn_sized_stack, 0
	.set _ZN7rocprim17ROCPRIM_400000_NS6detail17trampoline_kernelINS0_14default_configENS1_25partition_config_selectorILNS1_17partition_subalgoE5EdNS0_10empty_typeEbEEZZNS1_14partition_implILS5_5ELb0ES3_mN6thrust23THRUST_200600_302600_NS6detail15normal_iteratorINSA_10device_ptrIdEEEEPS6_NSA_18transform_iteratorINSB_9not_fun_tI7is_trueIdEEENSC_INSD_IbEEEENSA_11use_defaultESO_EENS0_5tupleIJNSA_16discard_iteratorISO_EES6_EEENSQ_IJSG_SG_EEES6_PlJS6_EEE10hipError_tPvRmT3_T4_T5_T6_T7_T9_mT8_P12ihipStream_tbDpT10_ENKUlT_T0_E_clISt17integral_constantIbLb0EES1F_EEDaS1A_S1B_EUlS1A_E_NS1_11comp_targetILNS1_3genE3ELNS1_11target_archE908ELNS1_3gpuE7ELNS1_3repE0EEENS1_30default_config_static_selectorELNS0_4arch9wavefront6targetE0EEEvT1_.has_recursion, 0
	.set _ZN7rocprim17ROCPRIM_400000_NS6detail17trampoline_kernelINS0_14default_configENS1_25partition_config_selectorILNS1_17partition_subalgoE5EdNS0_10empty_typeEbEEZZNS1_14partition_implILS5_5ELb0ES3_mN6thrust23THRUST_200600_302600_NS6detail15normal_iteratorINSA_10device_ptrIdEEEEPS6_NSA_18transform_iteratorINSB_9not_fun_tI7is_trueIdEEENSC_INSD_IbEEEENSA_11use_defaultESO_EENS0_5tupleIJNSA_16discard_iteratorISO_EES6_EEENSQ_IJSG_SG_EEES6_PlJS6_EEE10hipError_tPvRmT3_T4_T5_T6_T7_T9_mT8_P12ihipStream_tbDpT10_ENKUlT_T0_E_clISt17integral_constantIbLb0EES1F_EEDaS1A_S1B_EUlS1A_E_NS1_11comp_targetILNS1_3genE3ELNS1_11target_archE908ELNS1_3gpuE7ELNS1_3repE0EEENS1_30default_config_static_selectorELNS0_4arch9wavefront6targetE0EEEvT1_.has_indirect_call, 0
	.section	.AMDGPU.csdata,"",@progbits
; Kernel info:
; codeLenInByte = 0
; TotalNumSgprs: 0
; NumVgprs: 0
; ScratchSize: 0
; MemoryBound: 0
; FloatMode: 240
; IeeeMode: 1
; LDSByteSize: 0 bytes/workgroup (compile time only)
; SGPRBlocks: 0
; VGPRBlocks: 0
; NumSGPRsForWavesPerEU: 1
; NumVGPRsForWavesPerEU: 1
; Occupancy: 16
; WaveLimiterHint : 0
; COMPUTE_PGM_RSRC2:SCRATCH_EN: 0
; COMPUTE_PGM_RSRC2:USER_SGPR: 2
; COMPUTE_PGM_RSRC2:TRAP_HANDLER: 0
; COMPUTE_PGM_RSRC2:TGID_X_EN: 1
; COMPUTE_PGM_RSRC2:TGID_Y_EN: 0
; COMPUTE_PGM_RSRC2:TGID_Z_EN: 0
; COMPUTE_PGM_RSRC2:TIDIG_COMP_CNT: 0
	.section	.text._ZN7rocprim17ROCPRIM_400000_NS6detail17trampoline_kernelINS0_14default_configENS1_25partition_config_selectorILNS1_17partition_subalgoE5EdNS0_10empty_typeEbEEZZNS1_14partition_implILS5_5ELb0ES3_mN6thrust23THRUST_200600_302600_NS6detail15normal_iteratorINSA_10device_ptrIdEEEEPS6_NSA_18transform_iteratorINSB_9not_fun_tI7is_trueIdEEENSC_INSD_IbEEEENSA_11use_defaultESO_EENS0_5tupleIJNSA_16discard_iteratorISO_EES6_EEENSQ_IJSG_SG_EEES6_PlJS6_EEE10hipError_tPvRmT3_T4_T5_T6_T7_T9_mT8_P12ihipStream_tbDpT10_ENKUlT_T0_E_clISt17integral_constantIbLb0EES1F_EEDaS1A_S1B_EUlS1A_E_NS1_11comp_targetILNS1_3genE2ELNS1_11target_archE906ELNS1_3gpuE6ELNS1_3repE0EEENS1_30default_config_static_selectorELNS0_4arch9wavefront6targetE0EEEvT1_,"axG",@progbits,_ZN7rocprim17ROCPRIM_400000_NS6detail17trampoline_kernelINS0_14default_configENS1_25partition_config_selectorILNS1_17partition_subalgoE5EdNS0_10empty_typeEbEEZZNS1_14partition_implILS5_5ELb0ES3_mN6thrust23THRUST_200600_302600_NS6detail15normal_iteratorINSA_10device_ptrIdEEEEPS6_NSA_18transform_iteratorINSB_9not_fun_tI7is_trueIdEEENSC_INSD_IbEEEENSA_11use_defaultESO_EENS0_5tupleIJNSA_16discard_iteratorISO_EES6_EEENSQ_IJSG_SG_EEES6_PlJS6_EEE10hipError_tPvRmT3_T4_T5_T6_T7_T9_mT8_P12ihipStream_tbDpT10_ENKUlT_T0_E_clISt17integral_constantIbLb0EES1F_EEDaS1A_S1B_EUlS1A_E_NS1_11comp_targetILNS1_3genE2ELNS1_11target_archE906ELNS1_3gpuE6ELNS1_3repE0EEENS1_30default_config_static_selectorELNS0_4arch9wavefront6targetE0EEEvT1_,comdat
	.protected	_ZN7rocprim17ROCPRIM_400000_NS6detail17trampoline_kernelINS0_14default_configENS1_25partition_config_selectorILNS1_17partition_subalgoE5EdNS0_10empty_typeEbEEZZNS1_14partition_implILS5_5ELb0ES3_mN6thrust23THRUST_200600_302600_NS6detail15normal_iteratorINSA_10device_ptrIdEEEEPS6_NSA_18transform_iteratorINSB_9not_fun_tI7is_trueIdEEENSC_INSD_IbEEEENSA_11use_defaultESO_EENS0_5tupleIJNSA_16discard_iteratorISO_EES6_EEENSQ_IJSG_SG_EEES6_PlJS6_EEE10hipError_tPvRmT3_T4_T5_T6_T7_T9_mT8_P12ihipStream_tbDpT10_ENKUlT_T0_E_clISt17integral_constantIbLb0EES1F_EEDaS1A_S1B_EUlS1A_E_NS1_11comp_targetILNS1_3genE2ELNS1_11target_archE906ELNS1_3gpuE6ELNS1_3repE0EEENS1_30default_config_static_selectorELNS0_4arch9wavefront6targetE0EEEvT1_ ; -- Begin function _ZN7rocprim17ROCPRIM_400000_NS6detail17trampoline_kernelINS0_14default_configENS1_25partition_config_selectorILNS1_17partition_subalgoE5EdNS0_10empty_typeEbEEZZNS1_14partition_implILS5_5ELb0ES3_mN6thrust23THRUST_200600_302600_NS6detail15normal_iteratorINSA_10device_ptrIdEEEEPS6_NSA_18transform_iteratorINSB_9not_fun_tI7is_trueIdEEENSC_INSD_IbEEEENSA_11use_defaultESO_EENS0_5tupleIJNSA_16discard_iteratorISO_EES6_EEENSQ_IJSG_SG_EEES6_PlJS6_EEE10hipError_tPvRmT3_T4_T5_T6_T7_T9_mT8_P12ihipStream_tbDpT10_ENKUlT_T0_E_clISt17integral_constantIbLb0EES1F_EEDaS1A_S1B_EUlS1A_E_NS1_11comp_targetILNS1_3genE2ELNS1_11target_archE906ELNS1_3gpuE6ELNS1_3repE0EEENS1_30default_config_static_selectorELNS0_4arch9wavefront6targetE0EEEvT1_
	.globl	_ZN7rocprim17ROCPRIM_400000_NS6detail17trampoline_kernelINS0_14default_configENS1_25partition_config_selectorILNS1_17partition_subalgoE5EdNS0_10empty_typeEbEEZZNS1_14partition_implILS5_5ELb0ES3_mN6thrust23THRUST_200600_302600_NS6detail15normal_iteratorINSA_10device_ptrIdEEEEPS6_NSA_18transform_iteratorINSB_9not_fun_tI7is_trueIdEEENSC_INSD_IbEEEENSA_11use_defaultESO_EENS0_5tupleIJNSA_16discard_iteratorISO_EES6_EEENSQ_IJSG_SG_EEES6_PlJS6_EEE10hipError_tPvRmT3_T4_T5_T6_T7_T9_mT8_P12ihipStream_tbDpT10_ENKUlT_T0_E_clISt17integral_constantIbLb0EES1F_EEDaS1A_S1B_EUlS1A_E_NS1_11comp_targetILNS1_3genE2ELNS1_11target_archE906ELNS1_3gpuE6ELNS1_3repE0EEENS1_30default_config_static_selectorELNS0_4arch9wavefront6targetE0EEEvT1_
	.p2align	8
	.type	_ZN7rocprim17ROCPRIM_400000_NS6detail17trampoline_kernelINS0_14default_configENS1_25partition_config_selectorILNS1_17partition_subalgoE5EdNS0_10empty_typeEbEEZZNS1_14partition_implILS5_5ELb0ES3_mN6thrust23THRUST_200600_302600_NS6detail15normal_iteratorINSA_10device_ptrIdEEEEPS6_NSA_18transform_iteratorINSB_9not_fun_tI7is_trueIdEEENSC_INSD_IbEEEENSA_11use_defaultESO_EENS0_5tupleIJNSA_16discard_iteratorISO_EES6_EEENSQ_IJSG_SG_EEES6_PlJS6_EEE10hipError_tPvRmT3_T4_T5_T6_T7_T9_mT8_P12ihipStream_tbDpT10_ENKUlT_T0_E_clISt17integral_constantIbLb0EES1F_EEDaS1A_S1B_EUlS1A_E_NS1_11comp_targetILNS1_3genE2ELNS1_11target_archE906ELNS1_3gpuE6ELNS1_3repE0EEENS1_30default_config_static_selectorELNS0_4arch9wavefront6targetE0EEEvT1_,@function
_ZN7rocprim17ROCPRIM_400000_NS6detail17trampoline_kernelINS0_14default_configENS1_25partition_config_selectorILNS1_17partition_subalgoE5EdNS0_10empty_typeEbEEZZNS1_14partition_implILS5_5ELb0ES3_mN6thrust23THRUST_200600_302600_NS6detail15normal_iteratorINSA_10device_ptrIdEEEEPS6_NSA_18transform_iteratorINSB_9not_fun_tI7is_trueIdEEENSC_INSD_IbEEEENSA_11use_defaultESO_EENS0_5tupleIJNSA_16discard_iteratorISO_EES6_EEENSQ_IJSG_SG_EEES6_PlJS6_EEE10hipError_tPvRmT3_T4_T5_T6_T7_T9_mT8_P12ihipStream_tbDpT10_ENKUlT_T0_E_clISt17integral_constantIbLb0EES1F_EEDaS1A_S1B_EUlS1A_E_NS1_11comp_targetILNS1_3genE2ELNS1_11target_archE906ELNS1_3gpuE6ELNS1_3repE0EEENS1_30default_config_static_selectorELNS0_4arch9wavefront6targetE0EEEvT1_: ; @_ZN7rocprim17ROCPRIM_400000_NS6detail17trampoline_kernelINS0_14default_configENS1_25partition_config_selectorILNS1_17partition_subalgoE5EdNS0_10empty_typeEbEEZZNS1_14partition_implILS5_5ELb0ES3_mN6thrust23THRUST_200600_302600_NS6detail15normal_iteratorINSA_10device_ptrIdEEEEPS6_NSA_18transform_iteratorINSB_9not_fun_tI7is_trueIdEEENSC_INSD_IbEEEENSA_11use_defaultESO_EENS0_5tupleIJNSA_16discard_iteratorISO_EES6_EEENSQ_IJSG_SG_EEES6_PlJS6_EEE10hipError_tPvRmT3_T4_T5_T6_T7_T9_mT8_P12ihipStream_tbDpT10_ENKUlT_T0_E_clISt17integral_constantIbLb0EES1F_EEDaS1A_S1B_EUlS1A_E_NS1_11comp_targetILNS1_3genE2ELNS1_11target_archE906ELNS1_3gpuE6ELNS1_3repE0EEENS1_30default_config_static_selectorELNS0_4arch9wavefront6targetE0EEEvT1_
; %bb.0:
	.section	.rodata,"a",@progbits
	.p2align	6, 0x0
	.amdhsa_kernel _ZN7rocprim17ROCPRIM_400000_NS6detail17trampoline_kernelINS0_14default_configENS1_25partition_config_selectorILNS1_17partition_subalgoE5EdNS0_10empty_typeEbEEZZNS1_14partition_implILS5_5ELb0ES3_mN6thrust23THRUST_200600_302600_NS6detail15normal_iteratorINSA_10device_ptrIdEEEEPS6_NSA_18transform_iteratorINSB_9not_fun_tI7is_trueIdEEENSC_INSD_IbEEEENSA_11use_defaultESO_EENS0_5tupleIJNSA_16discard_iteratorISO_EES6_EEENSQ_IJSG_SG_EEES6_PlJS6_EEE10hipError_tPvRmT3_T4_T5_T6_T7_T9_mT8_P12ihipStream_tbDpT10_ENKUlT_T0_E_clISt17integral_constantIbLb0EES1F_EEDaS1A_S1B_EUlS1A_E_NS1_11comp_targetILNS1_3genE2ELNS1_11target_archE906ELNS1_3gpuE6ELNS1_3repE0EEENS1_30default_config_static_selectorELNS0_4arch9wavefront6targetE0EEEvT1_
		.amdhsa_group_segment_fixed_size 0
		.amdhsa_private_segment_fixed_size 0
		.amdhsa_kernarg_size 128
		.amdhsa_user_sgpr_count 2
		.amdhsa_user_sgpr_dispatch_ptr 0
		.amdhsa_user_sgpr_queue_ptr 0
		.amdhsa_user_sgpr_kernarg_segment_ptr 1
		.amdhsa_user_sgpr_dispatch_id 0
		.amdhsa_user_sgpr_private_segment_size 0
		.amdhsa_wavefront_size32 1
		.amdhsa_uses_dynamic_stack 0
		.amdhsa_enable_private_segment 0
		.amdhsa_system_sgpr_workgroup_id_x 1
		.amdhsa_system_sgpr_workgroup_id_y 0
		.amdhsa_system_sgpr_workgroup_id_z 0
		.amdhsa_system_sgpr_workgroup_info 0
		.amdhsa_system_vgpr_workitem_id 0
		.amdhsa_next_free_vgpr 1
		.amdhsa_next_free_sgpr 1
		.amdhsa_reserve_vcc 0
		.amdhsa_float_round_mode_32 0
		.amdhsa_float_round_mode_16_64 0
		.amdhsa_float_denorm_mode_32 3
		.amdhsa_float_denorm_mode_16_64 3
		.amdhsa_fp16_overflow 0
		.amdhsa_workgroup_processor_mode 1
		.amdhsa_memory_ordered 1
		.amdhsa_forward_progress 1
		.amdhsa_inst_pref_size 0
		.amdhsa_round_robin_scheduling 0
		.amdhsa_exception_fp_ieee_invalid_op 0
		.amdhsa_exception_fp_denorm_src 0
		.amdhsa_exception_fp_ieee_div_zero 0
		.amdhsa_exception_fp_ieee_overflow 0
		.amdhsa_exception_fp_ieee_underflow 0
		.amdhsa_exception_fp_ieee_inexact 0
		.amdhsa_exception_int_div_zero 0
	.end_amdhsa_kernel
	.section	.text._ZN7rocprim17ROCPRIM_400000_NS6detail17trampoline_kernelINS0_14default_configENS1_25partition_config_selectorILNS1_17partition_subalgoE5EdNS0_10empty_typeEbEEZZNS1_14partition_implILS5_5ELb0ES3_mN6thrust23THRUST_200600_302600_NS6detail15normal_iteratorINSA_10device_ptrIdEEEEPS6_NSA_18transform_iteratorINSB_9not_fun_tI7is_trueIdEEENSC_INSD_IbEEEENSA_11use_defaultESO_EENS0_5tupleIJNSA_16discard_iteratorISO_EES6_EEENSQ_IJSG_SG_EEES6_PlJS6_EEE10hipError_tPvRmT3_T4_T5_T6_T7_T9_mT8_P12ihipStream_tbDpT10_ENKUlT_T0_E_clISt17integral_constantIbLb0EES1F_EEDaS1A_S1B_EUlS1A_E_NS1_11comp_targetILNS1_3genE2ELNS1_11target_archE906ELNS1_3gpuE6ELNS1_3repE0EEENS1_30default_config_static_selectorELNS0_4arch9wavefront6targetE0EEEvT1_,"axG",@progbits,_ZN7rocprim17ROCPRIM_400000_NS6detail17trampoline_kernelINS0_14default_configENS1_25partition_config_selectorILNS1_17partition_subalgoE5EdNS0_10empty_typeEbEEZZNS1_14partition_implILS5_5ELb0ES3_mN6thrust23THRUST_200600_302600_NS6detail15normal_iteratorINSA_10device_ptrIdEEEEPS6_NSA_18transform_iteratorINSB_9not_fun_tI7is_trueIdEEENSC_INSD_IbEEEENSA_11use_defaultESO_EENS0_5tupleIJNSA_16discard_iteratorISO_EES6_EEENSQ_IJSG_SG_EEES6_PlJS6_EEE10hipError_tPvRmT3_T4_T5_T6_T7_T9_mT8_P12ihipStream_tbDpT10_ENKUlT_T0_E_clISt17integral_constantIbLb0EES1F_EEDaS1A_S1B_EUlS1A_E_NS1_11comp_targetILNS1_3genE2ELNS1_11target_archE906ELNS1_3gpuE6ELNS1_3repE0EEENS1_30default_config_static_selectorELNS0_4arch9wavefront6targetE0EEEvT1_,comdat
.Lfunc_end2593:
	.size	_ZN7rocprim17ROCPRIM_400000_NS6detail17trampoline_kernelINS0_14default_configENS1_25partition_config_selectorILNS1_17partition_subalgoE5EdNS0_10empty_typeEbEEZZNS1_14partition_implILS5_5ELb0ES3_mN6thrust23THRUST_200600_302600_NS6detail15normal_iteratorINSA_10device_ptrIdEEEEPS6_NSA_18transform_iteratorINSB_9not_fun_tI7is_trueIdEEENSC_INSD_IbEEEENSA_11use_defaultESO_EENS0_5tupleIJNSA_16discard_iteratorISO_EES6_EEENSQ_IJSG_SG_EEES6_PlJS6_EEE10hipError_tPvRmT3_T4_T5_T6_T7_T9_mT8_P12ihipStream_tbDpT10_ENKUlT_T0_E_clISt17integral_constantIbLb0EES1F_EEDaS1A_S1B_EUlS1A_E_NS1_11comp_targetILNS1_3genE2ELNS1_11target_archE906ELNS1_3gpuE6ELNS1_3repE0EEENS1_30default_config_static_selectorELNS0_4arch9wavefront6targetE0EEEvT1_, .Lfunc_end2593-_ZN7rocprim17ROCPRIM_400000_NS6detail17trampoline_kernelINS0_14default_configENS1_25partition_config_selectorILNS1_17partition_subalgoE5EdNS0_10empty_typeEbEEZZNS1_14partition_implILS5_5ELb0ES3_mN6thrust23THRUST_200600_302600_NS6detail15normal_iteratorINSA_10device_ptrIdEEEEPS6_NSA_18transform_iteratorINSB_9not_fun_tI7is_trueIdEEENSC_INSD_IbEEEENSA_11use_defaultESO_EENS0_5tupleIJNSA_16discard_iteratorISO_EES6_EEENSQ_IJSG_SG_EEES6_PlJS6_EEE10hipError_tPvRmT3_T4_T5_T6_T7_T9_mT8_P12ihipStream_tbDpT10_ENKUlT_T0_E_clISt17integral_constantIbLb0EES1F_EEDaS1A_S1B_EUlS1A_E_NS1_11comp_targetILNS1_3genE2ELNS1_11target_archE906ELNS1_3gpuE6ELNS1_3repE0EEENS1_30default_config_static_selectorELNS0_4arch9wavefront6targetE0EEEvT1_
                                        ; -- End function
	.set _ZN7rocprim17ROCPRIM_400000_NS6detail17trampoline_kernelINS0_14default_configENS1_25partition_config_selectorILNS1_17partition_subalgoE5EdNS0_10empty_typeEbEEZZNS1_14partition_implILS5_5ELb0ES3_mN6thrust23THRUST_200600_302600_NS6detail15normal_iteratorINSA_10device_ptrIdEEEEPS6_NSA_18transform_iteratorINSB_9not_fun_tI7is_trueIdEEENSC_INSD_IbEEEENSA_11use_defaultESO_EENS0_5tupleIJNSA_16discard_iteratorISO_EES6_EEENSQ_IJSG_SG_EEES6_PlJS6_EEE10hipError_tPvRmT3_T4_T5_T6_T7_T9_mT8_P12ihipStream_tbDpT10_ENKUlT_T0_E_clISt17integral_constantIbLb0EES1F_EEDaS1A_S1B_EUlS1A_E_NS1_11comp_targetILNS1_3genE2ELNS1_11target_archE906ELNS1_3gpuE6ELNS1_3repE0EEENS1_30default_config_static_selectorELNS0_4arch9wavefront6targetE0EEEvT1_.num_vgpr, 0
	.set _ZN7rocprim17ROCPRIM_400000_NS6detail17trampoline_kernelINS0_14default_configENS1_25partition_config_selectorILNS1_17partition_subalgoE5EdNS0_10empty_typeEbEEZZNS1_14partition_implILS5_5ELb0ES3_mN6thrust23THRUST_200600_302600_NS6detail15normal_iteratorINSA_10device_ptrIdEEEEPS6_NSA_18transform_iteratorINSB_9not_fun_tI7is_trueIdEEENSC_INSD_IbEEEENSA_11use_defaultESO_EENS0_5tupleIJNSA_16discard_iteratorISO_EES6_EEENSQ_IJSG_SG_EEES6_PlJS6_EEE10hipError_tPvRmT3_T4_T5_T6_T7_T9_mT8_P12ihipStream_tbDpT10_ENKUlT_T0_E_clISt17integral_constantIbLb0EES1F_EEDaS1A_S1B_EUlS1A_E_NS1_11comp_targetILNS1_3genE2ELNS1_11target_archE906ELNS1_3gpuE6ELNS1_3repE0EEENS1_30default_config_static_selectorELNS0_4arch9wavefront6targetE0EEEvT1_.num_agpr, 0
	.set _ZN7rocprim17ROCPRIM_400000_NS6detail17trampoline_kernelINS0_14default_configENS1_25partition_config_selectorILNS1_17partition_subalgoE5EdNS0_10empty_typeEbEEZZNS1_14partition_implILS5_5ELb0ES3_mN6thrust23THRUST_200600_302600_NS6detail15normal_iteratorINSA_10device_ptrIdEEEEPS6_NSA_18transform_iteratorINSB_9not_fun_tI7is_trueIdEEENSC_INSD_IbEEEENSA_11use_defaultESO_EENS0_5tupleIJNSA_16discard_iteratorISO_EES6_EEENSQ_IJSG_SG_EEES6_PlJS6_EEE10hipError_tPvRmT3_T4_T5_T6_T7_T9_mT8_P12ihipStream_tbDpT10_ENKUlT_T0_E_clISt17integral_constantIbLb0EES1F_EEDaS1A_S1B_EUlS1A_E_NS1_11comp_targetILNS1_3genE2ELNS1_11target_archE906ELNS1_3gpuE6ELNS1_3repE0EEENS1_30default_config_static_selectorELNS0_4arch9wavefront6targetE0EEEvT1_.numbered_sgpr, 0
	.set _ZN7rocprim17ROCPRIM_400000_NS6detail17trampoline_kernelINS0_14default_configENS1_25partition_config_selectorILNS1_17partition_subalgoE5EdNS0_10empty_typeEbEEZZNS1_14partition_implILS5_5ELb0ES3_mN6thrust23THRUST_200600_302600_NS6detail15normal_iteratorINSA_10device_ptrIdEEEEPS6_NSA_18transform_iteratorINSB_9not_fun_tI7is_trueIdEEENSC_INSD_IbEEEENSA_11use_defaultESO_EENS0_5tupleIJNSA_16discard_iteratorISO_EES6_EEENSQ_IJSG_SG_EEES6_PlJS6_EEE10hipError_tPvRmT3_T4_T5_T6_T7_T9_mT8_P12ihipStream_tbDpT10_ENKUlT_T0_E_clISt17integral_constantIbLb0EES1F_EEDaS1A_S1B_EUlS1A_E_NS1_11comp_targetILNS1_3genE2ELNS1_11target_archE906ELNS1_3gpuE6ELNS1_3repE0EEENS1_30default_config_static_selectorELNS0_4arch9wavefront6targetE0EEEvT1_.num_named_barrier, 0
	.set _ZN7rocprim17ROCPRIM_400000_NS6detail17trampoline_kernelINS0_14default_configENS1_25partition_config_selectorILNS1_17partition_subalgoE5EdNS0_10empty_typeEbEEZZNS1_14partition_implILS5_5ELb0ES3_mN6thrust23THRUST_200600_302600_NS6detail15normal_iteratorINSA_10device_ptrIdEEEEPS6_NSA_18transform_iteratorINSB_9not_fun_tI7is_trueIdEEENSC_INSD_IbEEEENSA_11use_defaultESO_EENS0_5tupleIJNSA_16discard_iteratorISO_EES6_EEENSQ_IJSG_SG_EEES6_PlJS6_EEE10hipError_tPvRmT3_T4_T5_T6_T7_T9_mT8_P12ihipStream_tbDpT10_ENKUlT_T0_E_clISt17integral_constantIbLb0EES1F_EEDaS1A_S1B_EUlS1A_E_NS1_11comp_targetILNS1_3genE2ELNS1_11target_archE906ELNS1_3gpuE6ELNS1_3repE0EEENS1_30default_config_static_selectorELNS0_4arch9wavefront6targetE0EEEvT1_.private_seg_size, 0
	.set _ZN7rocprim17ROCPRIM_400000_NS6detail17trampoline_kernelINS0_14default_configENS1_25partition_config_selectorILNS1_17partition_subalgoE5EdNS0_10empty_typeEbEEZZNS1_14partition_implILS5_5ELb0ES3_mN6thrust23THRUST_200600_302600_NS6detail15normal_iteratorINSA_10device_ptrIdEEEEPS6_NSA_18transform_iteratorINSB_9not_fun_tI7is_trueIdEEENSC_INSD_IbEEEENSA_11use_defaultESO_EENS0_5tupleIJNSA_16discard_iteratorISO_EES6_EEENSQ_IJSG_SG_EEES6_PlJS6_EEE10hipError_tPvRmT3_T4_T5_T6_T7_T9_mT8_P12ihipStream_tbDpT10_ENKUlT_T0_E_clISt17integral_constantIbLb0EES1F_EEDaS1A_S1B_EUlS1A_E_NS1_11comp_targetILNS1_3genE2ELNS1_11target_archE906ELNS1_3gpuE6ELNS1_3repE0EEENS1_30default_config_static_selectorELNS0_4arch9wavefront6targetE0EEEvT1_.uses_vcc, 0
	.set _ZN7rocprim17ROCPRIM_400000_NS6detail17trampoline_kernelINS0_14default_configENS1_25partition_config_selectorILNS1_17partition_subalgoE5EdNS0_10empty_typeEbEEZZNS1_14partition_implILS5_5ELb0ES3_mN6thrust23THRUST_200600_302600_NS6detail15normal_iteratorINSA_10device_ptrIdEEEEPS6_NSA_18transform_iteratorINSB_9not_fun_tI7is_trueIdEEENSC_INSD_IbEEEENSA_11use_defaultESO_EENS0_5tupleIJNSA_16discard_iteratorISO_EES6_EEENSQ_IJSG_SG_EEES6_PlJS6_EEE10hipError_tPvRmT3_T4_T5_T6_T7_T9_mT8_P12ihipStream_tbDpT10_ENKUlT_T0_E_clISt17integral_constantIbLb0EES1F_EEDaS1A_S1B_EUlS1A_E_NS1_11comp_targetILNS1_3genE2ELNS1_11target_archE906ELNS1_3gpuE6ELNS1_3repE0EEENS1_30default_config_static_selectorELNS0_4arch9wavefront6targetE0EEEvT1_.uses_flat_scratch, 0
	.set _ZN7rocprim17ROCPRIM_400000_NS6detail17trampoline_kernelINS0_14default_configENS1_25partition_config_selectorILNS1_17partition_subalgoE5EdNS0_10empty_typeEbEEZZNS1_14partition_implILS5_5ELb0ES3_mN6thrust23THRUST_200600_302600_NS6detail15normal_iteratorINSA_10device_ptrIdEEEEPS6_NSA_18transform_iteratorINSB_9not_fun_tI7is_trueIdEEENSC_INSD_IbEEEENSA_11use_defaultESO_EENS0_5tupleIJNSA_16discard_iteratorISO_EES6_EEENSQ_IJSG_SG_EEES6_PlJS6_EEE10hipError_tPvRmT3_T4_T5_T6_T7_T9_mT8_P12ihipStream_tbDpT10_ENKUlT_T0_E_clISt17integral_constantIbLb0EES1F_EEDaS1A_S1B_EUlS1A_E_NS1_11comp_targetILNS1_3genE2ELNS1_11target_archE906ELNS1_3gpuE6ELNS1_3repE0EEENS1_30default_config_static_selectorELNS0_4arch9wavefront6targetE0EEEvT1_.has_dyn_sized_stack, 0
	.set _ZN7rocprim17ROCPRIM_400000_NS6detail17trampoline_kernelINS0_14default_configENS1_25partition_config_selectorILNS1_17partition_subalgoE5EdNS0_10empty_typeEbEEZZNS1_14partition_implILS5_5ELb0ES3_mN6thrust23THRUST_200600_302600_NS6detail15normal_iteratorINSA_10device_ptrIdEEEEPS6_NSA_18transform_iteratorINSB_9not_fun_tI7is_trueIdEEENSC_INSD_IbEEEENSA_11use_defaultESO_EENS0_5tupleIJNSA_16discard_iteratorISO_EES6_EEENSQ_IJSG_SG_EEES6_PlJS6_EEE10hipError_tPvRmT3_T4_T5_T6_T7_T9_mT8_P12ihipStream_tbDpT10_ENKUlT_T0_E_clISt17integral_constantIbLb0EES1F_EEDaS1A_S1B_EUlS1A_E_NS1_11comp_targetILNS1_3genE2ELNS1_11target_archE906ELNS1_3gpuE6ELNS1_3repE0EEENS1_30default_config_static_selectorELNS0_4arch9wavefront6targetE0EEEvT1_.has_recursion, 0
	.set _ZN7rocprim17ROCPRIM_400000_NS6detail17trampoline_kernelINS0_14default_configENS1_25partition_config_selectorILNS1_17partition_subalgoE5EdNS0_10empty_typeEbEEZZNS1_14partition_implILS5_5ELb0ES3_mN6thrust23THRUST_200600_302600_NS6detail15normal_iteratorINSA_10device_ptrIdEEEEPS6_NSA_18transform_iteratorINSB_9not_fun_tI7is_trueIdEEENSC_INSD_IbEEEENSA_11use_defaultESO_EENS0_5tupleIJNSA_16discard_iteratorISO_EES6_EEENSQ_IJSG_SG_EEES6_PlJS6_EEE10hipError_tPvRmT3_T4_T5_T6_T7_T9_mT8_P12ihipStream_tbDpT10_ENKUlT_T0_E_clISt17integral_constantIbLb0EES1F_EEDaS1A_S1B_EUlS1A_E_NS1_11comp_targetILNS1_3genE2ELNS1_11target_archE906ELNS1_3gpuE6ELNS1_3repE0EEENS1_30default_config_static_selectorELNS0_4arch9wavefront6targetE0EEEvT1_.has_indirect_call, 0
	.section	.AMDGPU.csdata,"",@progbits
; Kernel info:
; codeLenInByte = 0
; TotalNumSgprs: 0
; NumVgprs: 0
; ScratchSize: 0
; MemoryBound: 0
; FloatMode: 240
; IeeeMode: 1
; LDSByteSize: 0 bytes/workgroup (compile time only)
; SGPRBlocks: 0
; VGPRBlocks: 0
; NumSGPRsForWavesPerEU: 1
; NumVGPRsForWavesPerEU: 1
; Occupancy: 16
; WaveLimiterHint : 0
; COMPUTE_PGM_RSRC2:SCRATCH_EN: 0
; COMPUTE_PGM_RSRC2:USER_SGPR: 2
; COMPUTE_PGM_RSRC2:TRAP_HANDLER: 0
; COMPUTE_PGM_RSRC2:TGID_X_EN: 1
; COMPUTE_PGM_RSRC2:TGID_Y_EN: 0
; COMPUTE_PGM_RSRC2:TGID_Z_EN: 0
; COMPUTE_PGM_RSRC2:TIDIG_COMP_CNT: 0
	.section	.text._ZN7rocprim17ROCPRIM_400000_NS6detail17trampoline_kernelINS0_14default_configENS1_25partition_config_selectorILNS1_17partition_subalgoE5EdNS0_10empty_typeEbEEZZNS1_14partition_implILS5_5ELb0ES3_mN6thrust23THRUST_200600_302600_NS6detail15normal_iteratorINSA_10device_ptrIdEEEEPS6_NSA_18transform_iteratorINSB_9not_fun_tI7is_trueIdEEENSC_INSD_IbEEEENSA_11use_defaultESO_EENS0_5tupleIJNSA_16discard_iteratorISO_EES6_EEENSQ_IJSG_SG_EEES6_PlJS6_EEE10hipError_tPvRmT3_T4_T5_T6_T7_T9_mT8_P12ihipStream_tbDpT10_ENKUlT_T0_E_clISt17integral_constantIbLb0EES1F_EEDaS1A_S1B_EUlS1A_E_NS1_11comp_targetILNS1_3genE10ELNS1_11target_archE1200ELNS1_3gpuE4ELNS1_3repE0EEENS1_30default_config_static_selectorELNS0_4arch9wavefront6targetE0EEEvT1_,"axG",@progbits,_ZN7rocprim17ROCPRIM_400000_NS6detail17trampoline_kernelINS0_14default_configENS1_25partition_config_selectorILNS1_17partition_subalgoE5EdNS0_10empty_typeEbEEZZNS1_14partition_implILS5_5ELb0ES3_mN6thrust23THRUST_200600_302600_NS6detail15normal_iteratorINSA_10device_ptrIdEEEEPS6_NSA_18transform_iteratorINSB_9not_fun_tI7is_trueIdEEENSC_INSD_IbEEEENSA_11use_defaultESO_EENS0_5tupleIJNSA_16discard_iteratorISO_EES6_EEENSQ_IJSG_SG_EEES6_PlJS6_EEE10hipError_tPvRmT3_T4_T5_T6_T7_T9_mT8_P12ihipStream_tbDpT10_ENKUlT_T0_E_clISt17integral_constantIbLb0EES1F_EEDaS1A_S1B_EUlS1A_E_NS1_11comp_targetILNS1_3genE10ELNS1_11target_archE1200ELNS1_3gpuE4ELNS1_3repE0EEENS1_30default_config_static_selectorELNS0_4arch9wavefront6targetE0EEEvT1_,comdat
	.protected	_ZN7rocprim17ROCPRIM_400000_NS6detail17trampoline_kernelINS0_14default_configENS1_25partition_config_selectorILNS1_17partition_subalgoE5EdNS0_10empty_typeEbEEZZNS1_14partition_implILS5_5ELb0ES3_mN6thrust23THRUST_200600_302600_NS6detail15normal_iteratorINSA_10device_ptrIdEEEEPS6_NSA_18transform_iteratorINSB_9not_fun_tI7is_trueIdEEENSC_INSD_IbEEEENSA_11use_defaultESO_EENS0_5tupleIJNSA_16discard_iteratorISO_EES6_EEENSQ_IJSG_SG_EEES6_PlJS6_EEE10hipError_tPvRmT3_T4_T5_T6_T7_T9_mT8_P12ihipStream_tbDpT10_ENKUlT_T0_E_clISt17integral_constantIbLb0EES1F_EEDaS1A_S1B_EUlS1A_E_NS1_11comp_targetILNS1_3genE10ELNS1_11target_archE1200ELNS1_3gpuE4ELNS1_3repE0EEENS1_30default_config_static_selectorELNS0_4arch9wavefront6targetE0EEEvT1_ ; -- Begin function _ZN7rocprim17ROCPRIM_400000_NS6detail17trampoline_kernelINS0_14default_configENS1_25partition_config_selectorILNS1_17partition_subalgoE5EdNS0_10empty_typeEbEEZZNS1_14partition_implILS5_5ELb0ES3_mN6thrust23THRUST_200600_302600_NS6detail15normal_iteratorINSA_10device_ptrIdEEEEPS6_NSA_18transform_iteratorINSB_9not_fun_tI7is_trueIdEEENSC_INSD_IbEEEENSA_11use_defaultESO_EENS0_5tupleIJNSA_16discard_iteratorISO_EES6_EEENSQ_IJSG_SG_EEES6_PlJS6_EEE10hipError_tPvRmT3_T4_T5_T6_T7_T9_mT8_P12ihipStream_tbDpT10_ENKUlT_T0_E_clISt17integral_constantIbLb0EES1F_EEDaS1A_S1B_EUlS1A_E_NS1_11comp_targetILNS1_3genE10ELNS1_11target_archE1200ELNS1_3gpuE4ELNS1_3repE0EEENS1_30default_config_static_selectorELNS0_4arch9wavefront6targetE0EEEvT1_
	.globl	_ZN7rocprim17ROCPRIM_400000_NS6detail17trampoline_kernelINS0_14default_configENS1_25partition_config_selectorILNS1_17partition_subalgoE5EdNS0_10empty_typeEbEEZZNS1_14partition_implILS5_5ELb0ES3_mN6thrust23THRUST_200600_302600_NS6detail15normal_iteratorINSA_10device_ptrIdEEEEPS6_NSA_18transform_iteratorINSB_9not_fun_tI7is_trueIdEEENSC_INSD_IbEEEENSA_11use_defaultESO_EENS0_5tupleIJNSA_16discard_iteratorISO_EES6_EEENSQ_IJSG_SG_EEES6_PlJS6_EEE10hipError_tPvRmT3_T4_T5_T6_T7_T9_mT8_P12ihipStream_tbDpT10_ENKUlT_T0_E_clISt17integral_constantIbLb0EES1F_EEDaS1A_S1B_EUlS1A_E_NS1_11comp_targetILNS1_3genE10ELNS1_11target_archE1200ELNS1_3gpuE4ELNS1_3repE0EEENS1_30default_config_static_selectorELNS0_4arch9wavefront6targetE0EEEvT1_
	.p2align	8
	.type	_ZN7rocprim17ROCPRIM_400000_NS6detail17trampoline_kernelINS0_14default_configENS1_25partition_config_selectorILNS1_17partition_subalgoE5EdNS0_10empty_typeEbEEZZNS1_14partition_implILS5_5ELb0ES3_mN6thrust23THRUST_200600_302600_NS6detail15normal_iteratorINSA_10device_ptrIdEEEEPS6_NSA_18transform_iteratorINSB_9not_fun_tI7is_trueIdEEENSC_INSD_IbEEEENSA_11use_defaultESO_EENS0_5tupleIJNSA_16discard_iteratorISO_EES6_EEENSQ_IJSG_SG_EEES6_PlJS6_EEE10hipError_tPvRmT3_T4_T5_T6_T7_T9_mT8_P12ihipStream_tbDpT10_ENKUlT_T0_E_clISt17integral_constantIbLb0EES1F_EEDaS1A_S1B_EUlS1A_E_NS1_11comp_targetILNS1_3genE10ELNS1_11target_archE1200ELNS1_3gpuE4ELNS1_3repE0EEENS1_30default_config_static_selectorELNS0_4arch9wavefront6targetE0EEEvT1_,@function
_ZN7rocprim17ROCPRIM_400000_NS6detail17trampoline_kernelINS0_14default_configENS1_25partition_config_selectorILNS1_17partition_subalgoE5EdNS0_10empty_typeEbEEZZNS1_14partition_implILS5_5ELb0ES3_mN6thrust23THRUST_200600_302600_NS6detail15normal_iteratorINSA_10device_ptrIdEEEEPS6_NSA_18transform_iteratorINSB_9not_fun_tI7is_trueIdEEENSC_INSD_IbEEEENSA_11use_defaultESO_EENS0_5tupleIJNSA_16discard_iteratorISO_EES6_EEENSQ_IJSG_SG_EEES6_PlJS6_EEE10hipError_tPvRmT3_T4_T5_T6_T7_T9_mT8_P12ihipStream_tbDpT10_ENKUlT_T0_E_clISt17integral_constantIbLb0EES1F_EEDaS1A_S1B_EUlS1A_E_NS1_11comp_targetILNS1_3genE10ELNS1_11target_archE1200ELNS1_3gpuE4ELNS1_3repE0EEENS1_30default_config_static_selectorELNS0_4arch9wavefront6targetE0EEEvT1_: ; @_ZN7rocprim17ROCPRIM_400000_NS6detail17trampoline_kernelINS0_14default_configENS1_25partition_config_selectorILNS1_17partition_subalgoE5EdNS0_10empty_typeEbEEZZNS1_14partition_implILS5_5ELb0ES3_mN6thrust23THRUST_200600_302600_NS6detail15normal_iteratorINSA_10device_ptrIdEEEEPS6_NSA_18transform_iteratorINSB_9not_fun_tI7is_trueIdEEENSC_INSD_IbEEEENSA_11use_defaultESO_EENS0_5tupleIJNSA_16discard_iteratorISO_EES6_EEENSQ_IJSG_SG_EEES6_PlJS6_EEE10hipError_tPvRmT3_T4_T5_T6_T7_T9_mT8_P12ihipStream_tbDpT10_ENKUlT_T0_E_clISt17integral_constantIbLb0EES1F_EEDaS1A_S1B_EUlS1A_E_NS1_11comp_targetILNS1_3genE10ELNS1_11target_archE1200ELNS1_3gpuE4ELNS1_3repE0EEENS1_30default_config_static_selectorELNS0_4arch9wavefront6targetE0EEEvT1_
; %bb.0:
	s_clause 0x3
	s_load_b128 s[4:7], s[0:1], 0x8
	s_load_b128 s[8:11], s[0:1], 0x50
	s_load_b32 s16, s[0:1], 0x78
	s_load_b64 s[2:3], s[0:1], 0x60
	s_mov_b32 s13, 0
	s_mul_i32 s19, ttmp9, 0x500
	s_wait_kmcnt 0x0
	s_lshl_b64 s[14:15], s[6:7], 3
	s_load_b64 s[10:11], s[10:11], 0x0
	s_mul_i32 s12, s16, 0x500
	s_add_co_i32 s18, s16, -1
	s_add_co_i32 s16, s12, s6
	s_add_nc_u64 s[4:5], s[4:5], s[14:15]
	s_sub_co_i32 s17, s2, s16
	s_add_nc_u64 s[14:15], s[6:7], s[12:13]
	s_addk_co_i32 s17, 0x500
	s_cmp_eq_u32 ttmp9, s18
	v_cmp_gt_u64_e64 s2, s[2:3], s[14:15]
	s_cselect_b32 s16, -1, 0
	s_cmp_lg_u32 ttmp9, s18
	s_mov_b32 s12, s19
	s_cselect_b32 s3, -1, 0
	s_lshl_b64 s[14:15], s[12:13], 3
	s_wait_alu 0xfffe
	s_or_b32 s3, s3, s2
	s_mov_b32 s18, -1
	s_wait_alu 0xfffe
	s_and_b32 vcc_lo, exec_lo, s3
	s_add_nc_u64 s[14:15], s[4:5], s[14:15]
	s_cbranch_vccz .LBB2594_2
; %bb.1:
	v_lshlrev_b32_e32 v11, 3, v0
	s_mov_b32 s18, s13
	s_wait_alu 0xfffe
	s_delay_alu instid0(VALU_DEP_1)
	v_add_co_u32 v1, s2, s14, v11
	s_wait_alu 0xf1ff
	v_add_co_ci_u32_e64 v2, null, s15, 0, s2
	s_clause 0x4
	flat_load_b64 v[3:4], v[1:2]
	flat_load_b64 v[5:6], v[1:2] offset:2048
	flat_load_b64 v[7:8], v[1:2] offset:4096
	;; [unrolled: 1-line block ×4, first 2 shown]
	s_wait_loadcnt_dscnt 0x303
	ds_store_2addr_stride64_b64 v11, v[3:4], v[5:6] offset1:4
	s_wait_loadcnt_dscnt 0x102
	ds_store_2addr_stride64_b64 v11, v[7:8], v[9:10] offset0:8 offset1:12
	s_wait_loadcnt_dscnt 0x2
	ds_store_b64 v11, v[1:2] offset:8192
	s_wait_dscnt 0x0
	s_barrier_signal -1
	s_barrier_wait -1
.LBB2594_2:
	s_load_b64 s[4:5], s[0:1], 0x20
	v_cmp_gt_u32_e64 s2, s17, v0
	s_and_not1_b32 vcc_lo, exec_lo, s18
	s_cbranch_vccnz .LBB2594_14
; %bb.3:
	v_mov_b32_e32 v1, 0
	s_delay_alu instid0(VALU_DEP_1)
	v_dual_mov_b32 v2, v1 :: v_dual_mov_b32 v3, v1
	v_dual_mov_b32 v4, v1 :: v_dual_mov_b32 v5, v1
	;; [unrolled: 1-line block ×4, first 2 shown]
	v_mov_b32_e32 v10, v1
	s_and_saveexec_b32 s18, s2
	s_cbranch_execz .LBB2594_5
; %bb.4:
	v_dual_mov_b32 v5, v1 :: v_dual_lshlrev_b32 v2, 3, v0
	v_dual_mov_b32 v4, v1 :: v_dual_mov_b32 v7, v1
	v_dual_mov_b32 v6, v1 :: v_dual_mov_b32 v9, v1
	s_delay_alu instid0(VALU_DEP_3)
	v_add_co_u32 v2, s2, s14, v2
	s_wait_alu 0xf1ff
	v_add_co_ci_u32_e64 v3, null, s15, 0, s2
	v_dual_mov_b32 v8, v1 :: v_dual_mov_b32 v11, v1
	v_mov_b32_e32 v10, v1
	flat_load_b64 v[2:3], v[2:3]
	s_wait_loadcnt_dscnt 0x0
	v_mov_b32_e32 v1, v2
	v_mov_b32_e32 v2, v3
	;; [unrolled: 1-line block ×16, first 2 shown]
.LBB2594_5:
	s_or_b32 exec_lo, exec_lo, s18
	v_or_b32_e32 v11, 0x100, v0
	s_mov_b32 s2, exec_lo
	s_delay_alu instid0(VALU_DEP_1)
	v_cmpx_gt_u32_e64 s17, v11
	s_cbranch_execz .LBB2594_7
; %bb.6:
	v_lshlrev_b32_e32 v3, 3, v0
	s_delay_alu instid0(VALU_DEP_1) | instskip(NEXT) | instid1(VALU_DEP_1)
	v_add_co_u32 v3, s18, s14, v3
	v_add_co_ci_u32_e64 v4, null, s15, 0, s18
	flat_load_b64 v[3:4], v[3:4] offset:2048
.LBB2594_7:
	s_wait_alu 0xfffe
	s_or_b32 exec_lo, exec_lo, s2
	v_or_b32_e32 v11, 0x200, v0
	s_mov_b32 s2, exec_lo
	s_delay_alu instid0(VALU_DEP_1)
	v_cmpx_gt_u32_e64 s17, v11
	s_cbranch_execz .LBB2594_9
; %bb.8:
	v_lshlrev_b32_e32 v5, 3, v0
	s_delay_alu instid0(VALU_DEP_1)
	v_add_co_u32 v5, s18, s14, v5
	s_wait_alu 0xf1ff
	v_add_co_ci_u32_e64 v6, null, s15, 0, s18
	flat_load_b64 v[5:6], v[5:6] offset:4096
.LBB2594_9:
	s_wait_alu 0xfffe
	s_or_b32 exec_lo, exec_lo, s2
	v_or_b32_e32 v11, 0x300, v0
	s_mov_b32 s2, exec_lo
	s_delay_alu instid0(VALU_DEP_1)
	v_cmpx_gt_u32_e64 s17, v11
	s_cbranch_execz .LBB2594_11
; %bb.10:
	v_lshlrev_b32_e32 v7, 3, v0
	s_delay_alu instid0(VALU_DEP_1)
	v_add_co_u32 v7, s18, s14, v7
	s_wait_alu 0xf1ff
	v_add_co_ci_u32_e64 v8, null, s15, 0, s18
	flat_load_b64 v[7:8], v[7:8] offset:6144
.LBB2594_11:
	;; [unrolled: 15-line block ×3, first 2 shown]
	s_wait_alu 0xfffe
	s_or_b32 exec_lo, exec_lo, s2
	v_lshlrev_b32_e32 v11, 3, v0
	s_wait_loadcnt_dscnt 0x0
	ds_store_2addr_stride64_b64 v11, v[1:2], v[3:4] offset1:4
	ds_store_2addr_stride64_b64 v11, v[5:6], v[7:8] offset0:8 offset1:12
	ds_store_b64 v11, v[9:10] offset:8192
	s_wait_dscnt 0x0
	s_barrier_signal -1
	s_barrier_wait -1
.LBB2594_14:
	v_mul_u32_u24_e32 v1, 5, v0
	global_inv scope:SCOPE_SE
	s_wait_kmcnt 0x0
	s_add_nc_u64 s[4:5], s[4:5], s[6:7]
	s_and_b32 vcc_lo, exec_lo, s3
	s_add_nc_u64 s[6:7], s[4:5], s[12:13]
	v_lshlrev_b32_e32 v9, 3, v1
	s_mov_b32 s12, -1
	ds_load_2addr_b64 v[5:8], v9 offset1:1
	ds_load_2addr_b64 v[1:4], v9 offset0:2 offset1:3
	ds_load_b64 v[17:18], v9 offset:32
	s_wait_loadcnt_dscnt 0x0
	s_barrier_signal -1
	s_barrier_wait -1
	global_inv scope:SCOPE_SE
	s_cbranch_vccz .LBB2594_16
; %bb.15:
	s_clause 0x4
	global_load_u8 v10, v0, s[6:7]
	global_load_u8 v11, v0, s[6:7] offset:256
	global_load_u8 v12, v0, s[6:7] offset:512
	;; [unrolled: 1-line block ×4, first 2 shown]
	s_mov_b32 s12, 0
	s_wait_loadcnt 0x4
	v_and_b32_e32 v10, 1, v10
	s_wait_loadcnt 0x3
	v_and_b32_e32 v11, 1, v11
	;; [unrolled: 2-line block ×5, first 2 shown]
	v_cmp_eq_u32_e32 vcc_lo, 1, v10
	v_cmp_eq_u32_e64 s2, 1, v11
	v_cmp_eq_u32_e64 s3, 1, v12
	;; [unrolled: 1-line block ×4, first 2 shown]
	s_xor_b32 s13, vcc_lo, -1
	s_xor_b32 s2, s2, -1
	v_cndmask_b32_e64 v10, 0, 1, s13
	s_wait_alu 0xfffe
	v_cndmask_b32_e64 v11, 0, 1, s2
	s_xor_b32 s2, s3, -1
	s_wait_alu 0xfffe
	v_cndmask_b32_e64 v12, 0, 1, s2
	s_xor_b32 s2, s4, -1
	;; [unrolled: 3-line block ×3, first 2 shown]
	s_wait_alu 0xfffe
	v_cndmask_b32_e64 v14, 0, 1, s2
	ds_store_b8 v0, v10
	ds_store_b8 v0, v11 offset:256
	ds_store_b8 v0, v12 offset:512
	ds_store_b8 v0, v13 offset:768
	ds_store_b8 v0, v14 offset:1024
	s_wait_dscnt 0x0
	s_barrier_signal -1
	s_barrier_wait -1
.LBB2594_16:
	s_and_not1_b32 vcc_lo, exec_lo, s12
	s_cbranch_vccnz .LBB2594_28
; %bb.17:
	v_mov_b32_e32 v12, 0
	s_mov_b32 s3, 0
	s_mov_b32 s2, exec_lo
	s_delay_alu instid0(VALU_DEP_1)
	v_dual_mov_b32 v10, v12 :: v_dual_mov_b32 v11, v12
	v_cmpx_gt_u32_e64 s17, v0
	s_cbranch_execz .LBB2594_19
; %bb.18:
	global_load_u8 v10, v0, s[6:7]
	s_wait_loadcnt 0x0
	v_and_b32_e32 v10, 1, v10
	s_delay_alu instid0(VALU_DEP_1) | instskip(SKIP_3) | instid1(SALU_CYCLE_1)
	v_cmp_eq_u32_e32 vcc_lo, 1, v10
	s_wait_alu 0xfffe
	v_mov_b32_e32 v10, s3
	s_xor_b32 s4, vcc_lo, -1
	v_cndmask_b32_e64 v12, 0, 1, s4
	s_delay_alu instid0(VALU_DEP_1)
	v_mov_b32_e32 v11, v12
.LBB2594_19:
	s_wait_alu 0xfffe
	s_or_b32 exec_lo, exec_lo, s2
	v_or_b32_e32 v13, 0x100, v0
	s_mov_b32 s2, exec_lo
	s_delay_alu instid0(VALU_DEP_1)
	v_cmpx_gt_u32_e64 s17, v13
	s_cbranch_execz .LBB2594_21
; %bb.20:
	global_load_u8 v13, v0, s[6:7] offset:256
	v_lshrrev_b32_e32 v14, 16, v12
	v_and_b32_e32 v10, 0xff, v10
	s_delay_alu instid0(VALU_DEP_2) | instskip(SKIP_2) | instid1(VALU_DEP_1)
	v_and_b32_e32 v14, 0xff, v14
	s_wait_loadcnt 0x0
	v_and_b32_e32 v13, 1, v13
	v_cmp_eq_u32_e32 vcc_lo, 1, v13
	v_lshrrev_b32_e32 v13, 24, v12
	v_and_b32_e32 v12, 0xff, v12
	s_xor_b32 s3, vcc_lo, -1
	s_delay_alu instid0(VALU_DEP_2) | instskip(SKIP_2) | instid1(VALU_DEP_2)
	v_lshlrev_b16 v13, 8, v13
	s_wait_alu 0xfffe
	v_cndmask_b32_e64 v15, 0, 1, s3
	v_or_b32_e32 v13, v14, v13
	s_delay_alu instid0(VALU_DEP_2) | instskip(NEXT) | instid1(VALU_DEP_2)
	v_lshlrev_b16 v15, 8, v15
	v_lshlrev_b32_e32 v13, 16, v13
	s_delay_alu instid0(VALU_DEP_2) | instskip(NEXT) | instid1(VALU_DEP_1)
	v_or_b32_e32 v12, v12, v15
	v_and_b32_e32 v12, 0xffff, v12
	s_delay_alu instid0(VALU_DEP_1)
	v_or_b32_e32 v12, v12, v13
.LBB2594_21:
	s_wait_alu 0xfffe
	s_or_b32 exec_lo, exec_lo, s2
	v_or_b32_e32 v13, 0x200, v0
	s_mov_b32 s2, exec_lo
	s_delay_alu instid0(VALU_DEP_1)
	v_cmpx_gt_u32_e64 s17, v13
	s_cbranch_execz .LBB2594_23
; %bb.22:
	global_load_u8 v13, v0, s[6:7] offset:512
	v_lshrrev_b32_e32 v14, 24, v12
	v_perm_b32 v12, v12, v12, 0xc0c0104
	v_and_b32_e32 v10, 0xff, v10
	s_wait_loadcnt 0x0
	v_and_b32_e32 v13, 1, v13
	s_delay_alu instid0(VALU_DEP_1) | instskip(SKIP_4) | instid1(VALU_DEP_1)
	v_cmp_eq_u32_e32 vcc_lo, 1, v13
	v_lshlrev_b16 v13, 8, v14
	s_xor_b32 s3, vcc_lo, -1
	s_wait_alu 0xfffe
	v_cndmask_b32_e64 v14, 0, 1, s3
	v_or_b32_e32 v13, v14, v13
	s_delay_alu instid0(VALU_DEP_1) | instskip(NEXT) | instid1(VALU_DEP_1)
	v_lshlrev_b32_e32 v13, 16, v13
	v_or_b32_e32 v12, v12, v13
.LBB2594_23:
	s_wait_alu 0xfffe
	s_or_b32 exec_lo, exec_lo, s2
	v_or_b32_e32 v13, 0x300, v0
	s_mov_b32 s2, exec_lo
	s_delay_alu instid0(VALU_DEP_1)
	v_cmpx_gt_u32_e64 s17, v13
	s_cbranch_execz .LBB2594_25
; %bb.24:
	global_load_u8 v13, v0, s[6:7] offset:768
	v_and_b32_e32 v10, 0xff, v10
	s_wait_loadcnt 0x0
	v_and_b32_e32 v13, 1, v13
	s_delay_alu instid0(VALU_DEP_1) | instskip(SKIP_3) | instid1(VALU_DEP_2)
	v_cmp_eq_u32_e32 vcc_lo, 1, v13
	v_lshrrev_b32_e32 v13, 16, v12
	v_perm_b32 v12, v12, v12, 0xc0c0104
	s_xor_b32 s3, vcc_lo, -1
	v_and_b32_e32 v13, 0xff, v13
	s_wait_alu 0xfffe
	v_cndmask_b32_e64 v14, 0, 1, s3
	s_delay_alu instid0(VALU_DEP_1) | instskip(NEXT) | instid1(VALU_DEP_1)
	v_lshlrev_b16 v14, 8, v14
	v_or_b32_e32 v13, v13, v14
	s_delay_alu instid0(VALU_DEP_1) | instskip(NEXT) | instid1(VALU_DEP_1)
	v_lshlrev_b32_e32 v13, 16, v13
	v_or_b32_e32 v12, v12, v13
.LBB2594_25:
	s_wait_alu 0xfffe
	s_or_b32 exec_lo, exec_lo, s2
	v_or_b32_e32 v13, 0x400, v0
	s_mov_b32 s2, exec_lo
	s_delay_alu instid0(VALU_DEP_1)
	v_cmpx_gt_u32_e64 s17, v13
	s_cbranch_execz .LBB2594_27
; %bb.26:
	global_load_u8 v10, v0, s[6:7] offset:1024
	v_perm_b32 v12, v12, v12, 0x3020104
	s_wait_loadcnt 0x0
	v_and_b32_e32 v10, 1, v10
	s_delay_alu instid0(VALU_DEP_1)
	v_cmp_eq_u32_e32 vcc_lo, 1, v10
	s_xor_b32 s3, vcc_lo, -1
	s_wait_alu 0xfffe
	v_cndmask_b32_e64 v10, 0, 1, s3
.LBB2594_27:
	s_wait_alu 0xfffe
	s_or_b32 exec_lo, exec_lo, s2
	v_lshrrev_b32_e32 v13, 8, v12
	v_lshrrev_b32_e32 v14, 24, v12
	ds_store_b8 v0, v11
	ds_store_b8 v0, v13 offset:256
	ds_store_b8_d16_hi v0, v12 offset:512
	ds_store_b8 v0, v14 offset:768
	ds_store_b8 v0, v10 offset:1024
	s_wait_loadcnt_dscnt 0x0
	s_barrier_signal -1
	s_barrier_wait -1
.LBB2594_28:
	v_mad_i32_i24 v33, 0xffffffdd, v0, v9
	s_wait_loadcnt 0x0
	global_inv scope:SCOPE_SE
	s_load_b64 s[4:5], s[0:1], 0x70
	v_mbcnt_lo_u32_b32 v32, -1, 0
	s_cmp_lg_u32 ttmp9, 0
	ds_load_u8 v9, v33
	ds_load_u8 v10, v33 offset:1
	ds_load_u8 v11, v33 offset:2
	;; [unrolled: 1-line block ×4, first 2 shown]
	s_mov_b32 s1, -1
	s_wait_loadcnt_dscnt 0x0
	v_and_b32_e32 v34, 15, v32
	s_barrier_signal -1
	s_barrier_wait -1
	global_inv scope:SCOPE_SE
	v_and_b32_e32 v31, 1, v9
	v_and_b32_e32 v30, 1, v10
	v_dual_mov_b32 v10, 0 :: v_dual_and_b32 v29, 1, v11
	v_and_b32_e32 v28, 1, v12
	v_and_b32_e32 v27, 1, v13
	s_delay_alu instid0(VALU_DEP_3) | instskip(NEXT) | instid1(VALU_DEP_1)
	v_add3_u32 v9, v30, v31, v29
	v_add_co_u32 v9, s0, v9, v28
	s_delay_alu instid0(VALU_DEP_1) | instskip(SKIP_1) | instid1(VALU_DEP_3)
	v_add_co_ci_u32_e64 v11, null, 0, 0, s0
	v_cmp_ne_u32_e64 s0, 0, v34
	v_add_co_u32 v19, vcc_lo, v9, v27
	s_delay_alu instid0(VALU_DEP_1)
	v_add_co_ci_u32_e64 v20, null, 0, v11, vcc_lo
	s_cbranch_scc0 .LBB2594_85
; %bb.29:
	v_mov_b32_e32 v11, v19
	v_mov_b32_dpp v9, v19 row_shr:1 row_mask:0xf bank_mask:0xf
	v_mov_b32_dpp v14, v10 row_shr:1 row_mask:0xf bank_mask:0xf
	v_dual_mov_b32 v13, v19 :: v_dual_mov_b32 v12, v20
	s_and_saveexec_b32 s1, s0
; %bb.30:
	s_delay_alu instid0(VALU_DEP_3) | instskip(SKIP_2) | instid1(VALU_DEP_2)
	v_add_co_u32 v13, vcc_lo, v19, v9
	s_wait_alu 0xfffd
	v_add_co_ci_u32_e64 v10, null, 0, v20, vcc_lo
	v_add_co_u32 v9, vcc_lo, 0, v13
	s_wait_alu 0xfffd
	s_delay_alu instid0(VALU_DEP_2) | instskip(NEXT) | instid1(VALU_DEP_1)
	v_add_co_ci_u32_e64 v10, null, v14, v10, vcc_lo
	v_dual_mov_b32 v12, v10 :: v_dual_mov_b32 v11, v9
; %bb.31:
	s_wait_alu 0xfffe
	s_or_b32 exec_lo, exec_lo, s1
	v_mov_b32_dpp v9, v13 row_shr:2 row_mask:0xf bank_mask:0xf
	v_mov_b32_dpp v14, v10 row_shr:2 row_mask:0xf bank_mask:0xf
	s_mov_b32 s1, exec_lo
	v_cmpx_lt_u32_e32 1, v34
; %bb.32:
	s_delay_alu instid0(VALU_DEP_3) | instskip(SKIP_2) | instid1(VALU_DEP_2)
	v_add_co_u32 v13, vcc_lo, v11, v9
	s_wait_alu 0xfffd
	v_add_co_ci_u32_e64 v10, null, 0, v12, vcc_lo
	v_add_co_u32 v9, vcc_lo, 0, v13
	s_wait_alu 0xfffd
	s_delay_alu instid0(VALU_DEP_2) | instskip(NEXT) | instid1(VALU_DEP_1)
	v_add_co_ci_u32_e64 v10, null, v14, v10, vcc_lo
	v_dual_mov_b32 v12, v10 :: v_dual_mov_b32 v11, v9
; %bb.33:
	s_wait_alu 0xfffe
	s_or_b32 exec_lo, exec_lo, s1
	v_mov_b32_dpp v9, v13 row_shr:4 row_mask:0xf bank_mask:0xf
	v_mov_b32_dpp v14, v10 row_shr:4 row_mask:0xf bank_mask:0xf
	s_mov_b32 s1, exec_lo
	v_cmpx_lt_u32_e32 3, v34
; %bb.34:
	s_delay_alu instid0(VALU_DEP_3) | instskip(SKIP_2) | instid1(VALU_DEP_2)
	v_add_co_u32 v13, vcc_lo, v11, v9
	s_wait_alu 0xfffd
	v_add_co_ci_u32_e64 v10, null, 0, v12, vcc_lo
	v_add_co_u32 v9, vcc_lo, 0, v13
	s_wait_alu 0xfffd
	s_delay_alu instid0(VALU_DEP_2) | instskip(NEXT) | instid1(VALU_DEP_1)
	v_add_co_ci_u32_e64 v10, null, v14, v10, vcc_lo
	v_dual_mov_b32 v12, v10 :: v_dual_mov_b32 v11, v9
; %bb.35:
	s_wait_alu 0xfffe
	s_or_b32 exec_lo, exec_lo, s1
	v_mov_b32_dpp v14, v13 row_shr:8 row_mask:0xf bank_mask:0xf
	v_mov_b32_dpp v9, v10 row_shr:8 row_mask:0xf bank_mask:0xf
	s_mov_b32 s1, exec_lo
	v_cmpx_lt_u32_e32 7, v34
; %bb.36:
	s_delay_alu instid0(VALU_DEP_3) | instskip(SKIP_2) | instid1(VALU_DEP_2)
	v_add_co_u32 v13, vcc_lo, v11, v14
	s_wait_alu 0xfffd
	v_add_co_ci_u32_e64 v10, null, 0, v12, vcc_lo
	v_add_co_u32 v11, vcc_lo, 0, v13
	s_wait_alu 0xfffd
	s_delay_alu instid0(VALU_DEP_2) | instskip(NEXT) | instid1(VALU_DEP_1)
	v_add_co_ci_u32_e64 v12, null, v9, v10, vcc_lo
	v_mov_b32_e32 v10, v12
; %bb.37:
	s_wait_alu 0xfffe
	s_or_b32 exec_lo, exec_lo, s1
	ds_swizzle_b32 v14, v13 offset:swizzle(BROADCAST,32,15)
	ds_swizzle_b32 v9, v10 offset:swizzle(BROADCAST,32,15)
	v_and_b32_e32 v10, 16, v32
	s_mov_b32 s1, exec_lo
	s_delay_alu instid0(VALU_DEP_1)
	v_cmpx_ne_u32_e32 0, v10
	s_cbranch_execz .LBB2594_39
; %bb.38:
	s_wait_dscnt 0x1
	v_add_co_u32 v13, vcc_lo, v11, v14
	s_wait_alu 0xfffd
	v_add_co_ci_u32_e64 v10, null, 0, v12, vcc_lo
	s_delay_alu instid0(VALU_DEP_2) | instskip(SKIP_2) | instid1(VALU_DEP_2)
	v_add_co_u32 v11, vcc_lo, 0, v13
	s_wait_dscnt 0x0
	s_wait_alu 0xfffd
	v_add_co_ci_u32_e64 v12, null, v9, v10, vcc_lo
.LBB2594_39:
	s_wait_alu 0xfffe
	s_or_b32 exec_lo, exec_lo, s1
	s_wait_dscnt 0x0
	v_or_b32_e32 v9, 31, v0
	v_lshrrev_b32_e32 v14, 5, v0
	s_mov_b32 s1, exec_lo
	s_delay_alu instid0(VALU_DEP_2)
	v_cmpx_eq_u32_e64 v0, v9
; %bb.40:
	s_delay_alu instid0(VALU_DEP_2)
	v_lshlrev_b32_e32 v9, 3, v14
	ds_store_b64 v9, v[11:12]
; %bb.41:
	s_wait_alu 0xfffe
	s_or_b32 exec_lo, exec_lo, s1
	s_delay_alu instid0(SALU_CYCLE_1)
	s_mov_b32 s1, exec_lo
	s_wait_loadcnt_dscnt 0x0
	s_barrier_signal -1
	s_barrier_wait -1
	global_inv scope:SCOPE_SE
	v_cmpx_gt_u32_e32 8, v0
	s_cbranch_execz .LBB2594_49
; %bb.42:
	v_lshlrev_b32_e32 v11, 3, v0
	s_mov_b32 s2, exec_lo
	ds_load_b64 v[9:10], v11
	s_wait_dscnt 0x0
	v_dual_mov_b32 v15, v9 :: v_dual_and_b32 v12, 7, v32
	v_mov_b32_dpp v21, v9 row_shr:1 row_mask:0xf bank_mask:0xf
	v_mov_b32_dpp v16, v10 row_shr:1 row_mask:0xf bank_mask:0xf
	s_delay_alu instid0(VALU_DEP_3)
	v_cmpx_ne_u32_e32 0, v12
; %bb.43:
	s_delay_alu instid0(VALU_DEP_3) | instskip(SKIP_2) | instid1(VALU_DEP_2)
	v_add_co_u32 v15, vcc_lo, v9, v21
	s_wait_alu 0xfffd
	v_add_co_ci_u32_e64 v10, null, 0, v10, vcc_lo
	v_add_co_u32 v9, vcc_lo, 0, v15
	s_wait_alu 0xfffd
	s_delay_alu instid0(VALU_DEP_2)
	v_add_co_ci_u32_e64 v10, null, v16, v10, vcc_lo
; %bb.44:
	s_wait_alu 0xfffe
	s_or_b32 exec_lo, exec_lo, s2
	v_mov_b32_dpp v21, v15 row_shr:2 row_mask:0xf bank_mask:0xf
	s_delay_alu instid0(VALU_DEP_2)
	v_mov_b32_dpp v16, v10 row_shr:2 row_mask:0xf bank_mask:0xf
	s_mov_b32 s2, exec_lo
	v_cmpx_lt_u32_e32 1, v12
; %bb.45:
	s_delay_alu instid0(VALU_DEP_3) | instskip(SKIP_2) | instid1(VALU_DEP_2)
	v_add_co_u32 v15, vcc_lo, v9, v21
	s_wait_alu 0xfffd
	v_add_co_ci_u32_e64 v10, null, 0, v10, vcc_lo
	v_add_co_u32 v9, vcc_lo, 0, v15
	s_wait_alu 0xfffd
	s_delay_alu instid0(VALU_DEP_2)
	v_add_co_ci_u32_e64 v10, null, v16, v10, vcc_lo
; %bb.46:
	s_wait_alu 0xfffe
	s_or_b32 exec_lo, exec_lo, s2
	v_mov_b32_dpp v16, v15 row_shr:4 row_mask:0xf bank_mask:0xf
	s_delay_alu instid0(VALU_DEP_2)
	v_mov_b32_dpp v15, v10 row_shr:4 row_mask:0xf bank_mask:0xf
	s_mov_b32 s2, exec_lo
	v_cmpx_lt_u32_e32 3, v12
; %bb.47:
	s_delay_alu instid0(VALU_DEP_3) | instskip(SKIP_2) | instid1(VALU_DEP_2)
	v_add_co_u32 v9, vcc_lo, v9, v16
	s_wait_alu 0xfffd
	v_add_co_ci_u32_e64 v10, null, 0, v10, vcc_lo
	v_add_co_u32 v9, vcc_lo, v9, 0
	s_wait_alu 0xfffd
	s_delay_alu instid0(VALU_DEP_2)
	v_add_co_ci_u32_e64 v10, null, v10, v15, vcc_lo
; %bb.48:
	s_wait_alu 0xfffe
	s_or_b32 exec_lo, exec_lo, s2
	ds_store_b64 v11, v[9:10]
.LBB2594_49:
	s_wait_alu 0xfffe
	s_or_b32 exec_lo, exec_lo, s1
	s_delay_alu instid0(SALU_CYCLE_1)
	s_mov_b32 s2, exec_lo
	v_cmp_gt_u32_e32 vcc_lo, 32, v0
	s_wait_loadcnt_dscnt 0x0
	s_barrier_signal -1
	s_barrier_wait -1
	global_inv scope:SCOPE_SE
                                        ; implicit-def: $vgpr21_vgpr22
	v_cmpx_lt_u32_e32 31, v0
	s_cbranch_execz .LBB2594_51
; %bb.50:
	v_lshl_add_u32 v9, v14, 3, -8
	ds_load_b64 v[21:22], v9
	s_wait_dscnt 0x0
	v_add_nc_u32_e32 v13, v13, v21
.LBB2594_51:
	s_wait_alu 0xfffe
	s_or_b32 exec_lo, exec_lo, s2
	v_sub_co_u32 v9, s1, v32, 1
	s_delay_alu instid0(VALU_DEP_1) | instskip(SKIP_1) | instid1(VALU_DEP_1)
	v_cmp_gt_i32_e64 s2, 0, v9
	s_wait_alu 0xf1ff
	v_cndmask_b32_e64 v9, v9, v32, s2
	s_delay_alu instid0(VALU_DEP_1)
	v_lshlrev_b32_e32 v9, 2, v9
	ds_bpermute_b32 v35, v9, v13
	s_and_saveexec_b32 s2, vcc_lo
	s_cbranch_execz .LBB2594_90
; %bb.52:
	v_mov_b32_e32 v12, 0
	ds_load_b64 v[9:10], v12 offset:56
	s_and_saveexec_b32 s3, s1
	s_cbranch_execz .LBB2594_54
; %bb.53:
	s_add_co_i32 s6, ttmp9, 32
	s_mov_b32 s7, 0
	s_delay_alu instid0(SALU_CYCLE_1) | instskip(SKIP_2) | instid1(SALU_CYCLE_1)
	s_lshl_b64 s[6:7], s[6:7], 4
	s_wait_kmcnt 0x0
	s_add_nc_u64 s[6:7], s[4:5], s[6:7]
	v_dual_mov_b32 v11, 1 :: v_dual_mov_b32 v14, s7
	v_mov_b32_e32 v13, s6
	s_wait_dscnt 0x0
	;;#ASMSTART
	global_store_b128 v[13:14], v[9:12] off scope:SCOPE_DEV	
s_wait_storecnt 0x0
	;;#ASMEND
.LBB2594_54:
	s_wait_alu 0xfffe
	s_or_b32 exec_lo, exec_lo, s3
	v_xad_u32 v23, v32, -1, ttmp9
	s_mov_b32 s6, 0
	s_mov_b32 s3, exec_lo
	s_delay_alu instid0(VALU_DEP_1) | instskip(NEXT) | instid1(VALU_DEP_1)
	v_add_nc_u32_e32 v11, 32, v23
	v_lshlrev_b64_e32 v[11:12], 4, v[11:12]
	s_wait_kmcnt 0x0
	s_delay_alu instid0(VALU_DEP_1) | instskip(SKIP_1) | instid1(VALU_DEP_2)
	v_add_co_u32 v11, vcc_lo, s4, v11
	s_wait_alu 0xfffd
	v_add_co_ci_u32_e64 v12, null, s5, v12, vcc_lo
	;;#ASMSTART
	global_load_b128 v[13:16], v[11:12] off scope:SCOPE_DEV	
s_wait_loadcnt 0x0
	;;#ASMEND
	v_and_b32_e32 v16, 0xff, v15
	s_delay_alu instid0(VALU_DEP_1)
	v_cmpx_eq_u16_e32 0, v16
	s_cbranch_execz .LBB2594_57
.LBB2594_55:                            ; =>This Inner Loop Header: Depth=1
	;;#ASMSTART
	global_load_b128 v[13:16], v[11:12] off scope:SCOPE_DEV	
s_wait_loadcnt 0x0
	;;#ASMEND
	v_and_b32_e32 v16, 0xff, v15
	s_delay_alu instid0(VALU_DEP_1)
	v_cmp_ne_u16_e32 vcc_lo, 0, v16
	s_wait_alu 0xfffe
	s_or_b32 s6, vcc_lo, s6
	s_wait_alu 0xfffe
	s_and_not1_b32 exec_lo, exec_lo, s6
	s_cbranch_execnz .LBB2594_55
; %bb.56:
	s_or_b32 exec_lo, exec_lo, s6
.LBB2594_57:
	s_wait_alu 0xfffe
	s_or_b32 exec_lo, exec_lo, s3
	v_cmp_ne_u32_e32 vcc_lo, 31, v32
	v_and_b32_e32 v12, 0xff, v15
	v_lshlrev_b32_e64 v37, v32, -1
	s_mov_b32 s3, exec_lo
	s_wait_alu 0xfffd
	v_add_co_ci_u32_e64 v11, null, 0, v32, vcc_lo
	v_cmp_eq_u16_e32 vcc_lo, 2, v12
	v_mov_b32_e32 v12, v13
	s_delay_alu instid0(VALU_DEP_3)
	v_lshlrev_b32_e32 v36, 2, v11
	s_wait_alu 0xfffd
	v_and_or_b32 v11, vcc_lo, v37, 0x80000000
	ds_bpermute_b32 v24, v36, v13
	ds_bpermute_b32 v16, v36, v14
	v_ctz_i32_b32_e32 v11, v11
	s_delay_alu instid0(VALU_DEP_1)
	v_cmpx_lt_u32_e64 v32, v11
	s_cbranch_execz .LBB2594_59
; %bb.58:
	s_wait_dscnt 0x1
	v_add_co_u32 v12, vcc_lo, v13, v24
	s_wait_alu 0xfffd
	v_add_co_ci_u32_e64 v14, null, 0, v14, vcc_lo
	s_delay_alu instid0(VALU_DEP_2) | instskip(SKIP_2) | instid1(VALU_DEP_2)
	v_add_co_u32 v13, vcc_lo, 0, v12
	s_wait_dscnt 0x0
	s_wait_alu 0xfffd
	v_add_co_ci_u32_e64 v14, null, v16, v14, vcc_lo
.LBB2594_59:
	s_wait_alu 0xfffe
	s_or_b32 exec_lo, exec_lo, s3
	v_cmp_gt_u32_e32 vcc_lo, 30, v32
	v_add_nc_u32_e32 v39, 2, v32
	s_mov_b32 s3, exec_lo
	s_wait_dscnt 0x0
	s_wait_alu 0xfffd
	v_cndmask_b32_e64 v16, 0, 2, vcc_lo
	s_delay_alu instid0(VALU_DEP_1)
	v_add_lshl_u32 v38, v16, v32, 2
	ds_bpermute_b32 v24, v38, v12
	ds_bpermute_b32 v16, v38, v14
	v_cmpx_le_u32_e64 v39, v11
	s_cbranch_execz .LBB2594_61
; %bb.60:
	s_wait_dscnt 0x1
	v_add_co_u32 v12, vcc_lo, v13, v24
	s_wait_alu 0xfffd
	v_add_co_ci_u32_e64 v14, null, 0, v14, vcc_lo
	s_delay_alu instid0(VALU_DEP_2) | instskip(SKIP_2) | instid1(VALU_DEP_2)
	v_add_co_u32 v13, vcc_lo, 0, v12
	s_wait_dscnt 0x0
	s_wait_alu 0xfffd
	v_add_co_ci_u32_e64 v14, null, v16, v14, vcc_lo
.LBB2594_61:
	s_wait_alu 0xfffe
	s_or_b32 exec_lo, exec_lo, s3
	v_cmp_gt_u32_e32 vcc_lo, 28, v32
	v_add_nc_u32_e32 v41, 4, v32
	s_mov_b32 s3, exec_lo
	s_wait_dscnt 0x0
	s_wait_alu 0xfffd
	v_cndmask_b32_e64 v16, 0, 4, vcc_lo
	s_delay_alu instid0(VALU_DEP_1)
	v_add_lshl_u32 v40, v16, v32, 2
	ds_bpermute_b32 v24, v40, v12
	ds_bpermute_b32 v16, v40, v14
	v_cmpx_le_u32_e64 v41, v11
	;; [unrolled: 25-line block ×3, first 2 shown]
	s_cbranch_execz .LBB2594_65
; %bb.64:
	s_wait_dscnt 0x1
	v_add_co_u32 v12, vcc_lo, v13, v24
	s_wait_alu 0xfffd
	v_add_co_ci_u32_e64 v14, null, 0, v14, vcc_lo
	s_delay_alu instid0(VALU_DEP_2) | instskip(SKIP_2) | instid1(VALU_DEP_2)
	v_add_co_u32 v13, vcc_lo, 0, v12
	s_wait_dscnt 0x0
	s_wait_alu 0xfffd
	v_add_co_ci_u32_e64 v14, null, v16, v14, vcc_lo
.LBB2594_65:
	s_wait_alu 0xfffe
	s_or_b32 exec_lo, exec_lo, s3
	v_lshl_or_b32 v44, v32, 2, 64
	v_add_nc_u32_e32 v45, 16, v32
	s_mov_b32 s3, exec_lo
	s_wait_dscnt 0x0
	ds_bpermute_b32 v16, v44, v12
	ds_bpermute_b32 v12, v44, v14
	v_cmpx_le_u32_e64 v45, v11
	s_cbranch_execz .LBB2594_67
; %bb.66:
	s_wait_dscnt 0x1
	v_add_co_u32 v11, vcc_lo, v13, v16
	s_wait_alu 0xfffd
	v_add_co_ci_u32_e64 v14, null, 0, v14, vcc_lo
	s_delay_alu instid0(VALU_DEP_2) | instskip(SKIP_2) | instid1(VALU_DEP_2)
	v_add_co_u32 v13, vcc_lo, v11, 0
	s_wait_dscnt 0x0
	s_wait_alu 0xfffd
	v_add_co_ci_u32_e64 v14, null, v14, v12, vcc_lo
.LBB2594_67:
	s_wait_alu 0xfffe
	s_or_b32 exec_lo, exec_lo, s3
	v_mov_b32_e32 v24, 0
	s_branch .LBB2594_70
.LBB2594_68:                            ;   in Loop: Header=BB2594_70 Depth=1
	s_wait_alu 0xfffe
	s_or_b32 exec_lo, exec_lo, s3
	v_add_co_u32 v13, vcc_lo, v13, v11
	v_subrev_nc_u32_e32 v23, 32, v23
	s_wait_alu 0xfffd
	v_add_co_ci_u32_e64 v14, null, v14, v12, vcc_lo
	s_mov_b32 s3, 0
.LBB2594_69:                            ;   in Loop: Header=BB2594_70 Depth=1
	s_wait_alu 0xfffe
	s_and_b32 vcc_lo, exec_lo, s3
	s_wait_alu 0xfffe
	s_cbranch_vccnz .LBB2594_86
.LBB2594_70:                            ; =>This Loop Header: Depth=1
                                        ;     Child Loop BB2594_73 Depth 2
	v_and_b32_e32 v11, 0xff, v15
	s_mov_b32 s3, -1
	s_delay_alu instid0(VALU_DEP_1)
	v_cmp_ne_u16_e32 vcc_lo, 2, v11
	s_wait_dscnt 0x0
	v_dual_mov_b32 v11, v13 :: v_dual_mov_b32 v12, v14
                                        ; implicit-def: $vgpr13_vgpr14
	s_cmp_lg_u32 vcc_lo, exec_lo
	s_cbranch_scc1 .LBB2594_69
; %bb.71:                               ;   in Loop: Header=BB2594_70 Depth=1
	v_lshlrev_b64_e32 v[13:14], 4, v[23:24]
	s_mov_b32 s3, exec_lo
	s_delay_alu instid0(VALU_DEP_1) | instskip(SKIP_1) | instid1(VALU_DEP_2)
	v_add_co_u32 v25, vcc_lo, s4, v13
	s_wait_alu 0xfffd
	v_add_co_ci_u32_e64 v26, null, s5, v14, vcc_lo
	;;#ASMSTART
	global_load_b128 v[13:16], v[25:26] off scope:SCOPE_DEV	
s_wait_loadcnt 0x0
	;;#ASMEND
	v_and_b32_e32 v16, 0xff, v15
	s_delay_alu instid0(VALU_DEP_1)
	v_cmpx_eq_u16_e32 0, v16
	s_cbranch_execz .LBB2594_75
; %bb.72:                               ;   in Loop: Header=BB2594_70 Depth=1
	s_mov_b32 s6, 0
.LBB2594_73:                            ;   Parent Loop BB2594_70 Depth=1
                                        ; =>  This Inner Loop Header: Depth=2
	;;#ASMSTART
	global_load_b128 v[13:16], v[25:26] off scope:SCOPE_DEV	
s_wait_loadcnt 0x0
	;;#ASMEND
	v_and_b32_e32 v16, 0xff, v15
	s_delay_alu instid0(VALU_DEP_1)
	v_cmp_ne_u16_e32 vcc_lo, 0, v16
	s_wait_alu 0xfffe
	s_or_b32 s6, vcc_lo, s6
	s_wait_alu 0xfffe
	s_and_not1_b32 exec_lo, exec_lo, s6
	s_cbranch_execnz .LBB2594_73
; %bb.74:                               ;   in Loop: Header=BB2594_70 Depth=1
	s_or_b32 exec_lo, exec_lo, s6
.LBB2594_75:                            ;   in Loop: Header=BB2594_70 Depth=1
	s_wait_alu 0xfffe
	s_or_b32 exec_lo, exec_lo, s3
	v_dual_mov_b32 v25, v13 :: v_dual_and_b32 v16, 0xff, v15
	ds_bpermute_b32 v46, v36, v13
	ds_bpermute_b32 v26, v36, v14
	s_mov_b32 s3, exec_lo
	v_cmp_eq_u16_e32 vcc_lo, 2, v16
	s_wait_alu 0xfffd
	v_and_or_b32 v16, vcc_lo, v37, 0x80000000
	s_delay_alu instid0(VALU_DEP_1) | instskip(NEXT) | instid1(VALU_DEP_1)
	v_ctz_i32_b32_e32 v16, v16
	v_cmpx_lt_u32_e64 v32, v16
	s_cbranch_execz .LBB2594_77
; %bb.76:                               ;   in Loop: Header=BB2594_70 Depth=1
	s_wait_dscnt 0x1
	v_add_co_u32 v25, vcc_lo, v13, v46
	s_wait_alu 0xfffd
	v_add_co_ci_u32_e64 v14, null, 0, v14, vcc_lo
	s_delay_alu instid0(VALU_DEP_2) | instskip(SKIP_2) | instid1(VALU_DEP_2)
	v_add_co_u32 v13, vcc_lo, 0, v25
	s_wait_dscnt 0x0
	s_wait_alu 0xfffd
	v_add_co_ci_u32_e64 v14, null, v26, v14, vcc_lo
.LBB2594_77:                            ;   in Loop: Header=BB2594_70 Depth=1
	s_wait_alu 0xfffe
	s_or_b32 exec_lo, exec_lo, s3
	s_wait_dscnt 0x1
	ds_bpermute_b32 v46, v38, v25
	s_wait_dscnt 0x1
	ds_bpermute_b32 v26, v38, v14
	s_mov_b32 s3, exec_lo
	v_cmpx_le_u32_e64 v39, v16
	s_cbranch_execz .LBB2594_79
; %bb.78:                               ;   in Loop: Header=BB2594_70 Depth=1
	s_wait_dscnt 0x1
	v_add_co_u32 v25, vcc_lo, v13, v46
	s_wait_alu 0xfffd
	v_add_co_ci_u32_e64 v14, null, 0, v14, vcc_lo
	s_delay_alu instid0(VALU_DEP_2) | instskip(SKIP_2) | instid1(VALU_DEP_2)
	v_add_co_u32 v13, vcc_lo, 0, v25
	s_wait_dscnt 0x0
	s_wait_alu 0xfffd
	v_add_co_ci_u32_e64 v14, null, v26, v14, vcc_lo
.LBB2594_79:                            ;   in Loop: Header=BB2594_70 Depth=1
	s_wait_alu 0xfffe
	s_or_b32 exec_lo, exec_lo, s3
	s_wait_dscnt 0x1
	ds_bpermute_b32 v46, v40, v25
	s_wait_dscnt 0x1
	ds_bpermute_b32 v26, v40, v14
	s_mov_b32 s3, exec_lo
	v_cmpx_le_u32_e64 v41, v16
	;; [unrolled: 20-line block ×3, first 2 shown]
	s_cbranch_execz .LBB2594_83
; %bb.82:                               ;   in Loop: Header=BB2594_70 Depth=1
	s_wait_dscnt 0x1
	v_add_co_u32 v25, vcc_lo, v13, v46
	s_wait_alu 0xfffd
	v_add_co_ci_u32_e64 v14, null, 0, v14, vcc_lo
	s_delay_alu instid0(VALU_DEP_2) | instskip(SKIP_2) | instid1(VALU_DEP_2)
	v_add_co_u32 v13, vcc_lo, 0, v25
	s_wait_dscnt 0x0
	s_wait_alu 0xfffd
	v_add_co_ci_u32_e64 v14, null, v26, v14, vcc_lo
.LBB2594_83:                            ;   in Loop: Header=BB2594_70 Depth=1
	s_wait_alu 0xfffe
	s_or_b32 exec_lo, exec_lo, s3
	s_wait_dscnt 0x0
	ds_bpermute_b32 v26, v44, v25
	ds_bpermute_b32 v25, v44, v14
	s_mov_b32 s3, exec_lo
	v_cmpx_le_u32_e64 v45, v16
	s_cbranch_execz .LBB2594_68
; %bb.84:                               ;   in Loop: Header=BB2594_70 Depth=1
	s_wait_dscnt 0x1
	v_add_co_u32 v13, vcc_lo, v13, v26
	s_wait_alu 0xfffd
	v_add_co_ci_u32_e64 v14, null, 0, v14, vcc_lo
	s_delay_alu instid0(VALU_DEP_2) | instskip(SKIP_2) | instid1(VALU_DEP_2)
	v_add_co_u32 v13, vcc_lo, v13, 0
	s_wait_dscnt 0x0
	s_wait_alu 0xfffd
	v_add_co_ci_u32_e64 v14, null, v14, v25, vcc_lo
	s_branch .LBB2594_68
.LBB2594_85:
                                        ; implicit-def: $vgpr13_vgpr14
                                        ; implicit-def: $vgpr21_vgpr22
                                        ; implicit-def: $vgpr11_vgpr12
                                        ; implicit-def: $vgpr14_vgpr15
                                        ; implicit-def: $vgpr22_vgpr23
                                        ; implicit-def: $vgpr15_vgpr16
	s_and_b32 vcc_lo, exec_lo, s1
	s_wait_alu 0xfffe
	s_cbranch_vccnz .LBB2594_91
	s_branch .LBB2594_116
.LBB2594_86:
	s_and_saveexec_b32 s3, s1
	s_cbranch_execz .LBB2594_88
; %bb.87:
	s_add_co_i32 s6, ttmp9, 32
	s_mov_b32 s7, 0
	v_add_co_u32 v13, vcc_lo, v11, v9
	s_wait_alu 0xfffe
	s_lshl_b64 s[6:7], s[6:7], 4
	v_dual_mov_b32 v15, 2 :: v_dual_mov_b32 v16, 0
	s_wait_alu 0xfffe
	s_add_nc_u64 s[6:7], s[4:5], s[6:7]
	s_wait_alu 0xfffd
	v_add_co_ci_u32_e64 v14, null, v12, v10, vcc_lo
	s_wait_alu 0xfffe
	v_dual_mov_b32 v24, s7 :: v_dual_mov_b32 v23, s6
	;;#ASMSTART
	global_store_b128 v[23:24], v[13:16] off scope:SCOPE_DEV	
s_wait_storecnt 0x0
	;;#ASMEND
	ds_store_b128 v16, v[9:12] offset:10240
.LBB2594_88:
	s_wait_alu 0xfffe
	s_or_b32 exec_lo, exec_lo, s3
	v_cmp_eq_u32_e32 vcc_lo, 0, v0
	s_and_b32 exec_lo, exec_lo, vcc_lo
; %bb.89:
	v_mov_b32_e32 v9, 0
	ds_store_b64 v9, v[11:12] offset:56
.LBB2594_90:
	s_wait_alu 0xfffe
	s_or_b32 exec_lo, exec_lo, s2
	s_wait_dscnt 0x0
	v_cndmask_b32_e64 v12, v35, v21, s1
	v_cmp_ne_u32_e32 vcc_lo, 0, v0
	v_mov_b32_e32 v11, 0
	s_wait_loadcnt 0x0
	s_barrier_signal -1
	s_barrier_wait -1
	global_inv scope:SCOPE_SE
	s_wait_alu 0xfffd
	v_cndmask_b32_e32 v12, 0, v12, vcc_lo
	ds_load_b64 v[9:10], v11 offset:56
	v_cndmask_b32_e64 v13, 0, v22, s1
	s_wait_loadcnt_dscnt 0x0
	s_barrier_signal -1
	s_barrier_wait -1
	global_inv scope:SCOPE_SE
	v_cndmask_b32_e32 v13, 0, v13, vcc_lo
	v_add_co_u32 v22, vcc_lo, v9, v12
	s_wait_alu 0xfffd
	s_delay_alu instid0(VALU_DEP_2) | instskip(SKIP_4) | instid1(VALU_DEP_2)
	v_add_co_ci_u32_e64 v13, null, v10, v13, vcc_lo
	ds_load_b128 v[9:12], v11 offset:10240
	v_add_co_u32 v21, vcc_lo, v22, v31
	s_wait_alu 0xfffd
	v_add_co_ci_u32_e64 v13, null, 0, v13, vcc_lo
	v_add_co_u32 v15, vcc_lo, v21, v30
	s_wait_alu 0xfffd
	s_delay_alu instid0(VALU_DEP_2) | instskip(NEXT) | instid1(VALU_DEP_2)
	v_add_co_ci_u32_e64 v13, null, 0, v13, vcc_lo
	v_add_co_u32 v14, vcc_lo, v15, v29
	s_wait_alu 0xfffd
	s_delay_alu instid0(VALU_DEP_2) | instskip(NEXT) | instid1(VALU_DEP_2)
	v_add_co_ci_u32_e64 v16, null, 0, v13, vcc_lo
	v_add_co_u32 v13, vcc_lo, v14, v28
	s_wait_alu 0xfffd
	s_delay_alu instid0(VALU_DEP_2)
	v_add_co_ci_u32_e64 v16, null, 0, v16, vcc_lo
	s_branch .LBB2594_116
.LBB2594_91:
	s_wait_dscnt 0x0
	v_dual_mov_b32 v10, 0 :: v_dual_mov_b32 v11, v19
	v_mov_b32_dpp v12, v19 row_shr:1 row_mask:0xf bank_mask:0xf
	s_delay_alu instid0(VALU_DEP_2)
	v_mov_b32_dpp v9, v10 row_shr:1 row_mask:0xf bank_mask:0xf
	s_and_saveexec_b32 s1, s0
; %bb.92:
	s_delay_alu instid0(VALU_DEP_2) | instskip(SKIP_2) | instid1(VALU_DEP_2)
	v_add_co_u32 v11, vcc_lo, v19, v12
	s_wait_alu 0xfffd
	v_add_co_ci_u32_e64 v10, null, 0, v20, vcc_lo
	v_add_co_u32 v19, vcc_lo, 0, v11
	s_wait_alu 0xfffd
	s_delay_alu instid0(VALU_DEP_2) | instskip(NEXT) | instid1(VALU_DEP_1)
	v_add_co_ci_u32_e64 v20, null, v9, v10, vcc_lo
	v_mov_b32_e32 v10, v20
; %bb.93:
	s_wait_alu 0xfffe
	s_or_b32 exec_lo, exec_lo, s1
	v_mov_b32_dpp v9, v11 row_shr:2 row_mask:0xf bank_mask:0xf
	s_delay_alu instid0(VALU_DEP_2)
	v_mov_b32_dpp v12, v10 row_shr:2 row_mask:0xf bank_mask:0xf
	s_mov_b32 s0, exec_lo
	v_cmpx_lt_u32_e32 1, v34
; %bb.94:
	s_delay_alu instid0(VALU_DEP_3) | instskip(SKIP_2) | instid1(VALU_DEP_2)
	v_add_co_u32 v11, vcc_lo, v19, v9
	s_wait_alu 0xfffd
	v_add_co_ci_u32_e64 v10, null, 0, v20, vcc_lo
	v_add_co_u32 v9, vcc_lo, 0, v11
	s_wait_alu 0xfffd
	s_delay_alu instid0(VALU_DEP_2) | instskip(NEXT) | instid1(VALU_DEP_1)
	v_add_co_ci_u32_e64 v10, null, v12, v10, vcc_lo
	v_dual_mov_b32 v20, v10 :: v_dual_mov_b32 v19, v9
; %bb.95:
	s_wait_alu 0xfffe
	s_or_b32 exec_lo, exec_lo, s0
	v_mov_b32_dpp v9, v11 row_shr:4 row_mask:0xf bank_mask:0xf
	v_mov_b32_dpp v12, v10 row_shr:4 row_mask:0xf bank_mask:0xf
	s_mov_b32 s0, exec_lo
	v_cmpx_lt_u32_e32 3, v34
; %bb.96:
	s_delay_alu instid0(VALU_DEP_3) | instskip(SKIP_2) | instid1(VALU_DEP_2)
	v_add_co_u32 v11, vcc_lo, v19, v9
	s_wait_alu 0xfffd
	v_add_co_ci_u32_e64 v10, null, 0, v20, vcc_lo
	v_add_co_u32 v9, vcc_lo, 0, v11
	s_wait_alu 0xfffd
	s_delay_alu instid0(VALU_DEP_2) | instskip(NEXT) | instid1(VALU_DEP_1)
	v_add_co_ci_u32_e64 v10, null, v12, v10, vcc_lo
	v_dual_mov_b32 v20, v10 :: v_dual_mov_b32 v19, v9
; %bb.97:
	s_wait_alu 0xfffe
	s_or_b32 exec_lo, exec_lo, s0
	v_mov_b32_dpp v12, v11 row_shr:8 row_mask:0xf bank_mask:0xf
	v_mov_b32_dpp v9, v10 row_shr:8 row_mask:0xf bank_mask:0xf
	s_mov_b32 s0, exec_lo
	v_cmpx_lt_u32_e32 7, v34
; %bb.98:
	s_delay_alu instid0(VALU_DEP_3) | instskip(SKIP_2) | instid1(VALU_DEP_2)
	v_add_co_u32 v11, vcc_lo, v19, v12
	s_wait_alu 0xfffd
	v_add_co_ci_u32_e64 v10, null, 0, v20, vcc_lo
	v_add_co_u32 v19, vcc_lo, 0, v11
	s_wait_alu 0xfffd
	s_delay_alu instid0(VALU_DEP_2) | instskip(NEXT) | instid1(VALU_DEP_1)
	v_add_co_ci_u32_e64 v20, null, v9, v10, vcc_lo
	v_mov_b32_e32 v10, v20
; %bb.99:
	s_wait_alu 0xfffe
	s_or_b32 exec_lo, exec_lo, s0
	ds_swizzle_b32 v11, v11 offset:swizzle(BROADCAST,32,15)
	ds_swizzle_b32 v9, v10 offset:swizzle(BROADCAST,32,15)
	v_and_b32_e32 v10, 16, v32
	s_mov_b32 s0, exec_lo
	s_delay_alu instid0(VALU_DEP_1)
	v_cmpx_ne_u32_e32 0, v10
	s_cbranch_execz .LBB2594_101
; %bb.100:
	s_wait_dscnt 0x1
	v_add_co_u32 v10, vcc_lo, v19, v11
	s_wait_alu 0xfffd
	v_add_co_ci_u32_e64 v11, null, 0, v20, vcc_lo
	s_delay_alu instid0(VALU_DEP_2) | instskip(SKIP_2) | instid1(VALU_DEP_2)
	v_add_co_u32 v19, vcc_lo, v10, 0
	s_wait_dscnt 0x0
	s_wait_alu 0xfffd
	v_add_co_ci_u32_e64 v20, null, v11, v9, vcc_lo
.LBB2594_101:
	s_wait_alu 0xfffe
	s_or_b32 exec_lo, exec_lo, s0
	s_wait_dscnt 0x0
	v_or_b32_e32 v9, 31, v0
	v_lshrrev_b32_e32 v11, 5, v0
	s_mov_b32 s0, exec_lo
	s_delay_alu instid0(VALU_DEP_2)
	v_cmpx_eq_u32_e64 v0, v9
; %bb.102:
	s_delay_alu instid0(VALU_DEP_2)
	v_lshlrev_b32_e32 v9, 3, v11
	ds_store_b64 v9, v[19:20]
; %bb.103:
	s_wait_alu 0xfffe
	s_or_b32 exec_lo, exec_lo, s0
	s_delay_alu instid0(SALU_CYCLE_1)
	s_mov_b32 s0, exec_lo
	s_wait_loadcnt_dscnt 0x0
	s_barrier_signal -1
	s_barrier_wait -1
	global_inv scope:SCOPE_SE
	v_cmpx_gt_u32_e32 8, v0
	s_cbranch_execz .LBB2594_111
; %bb.104:
	v_mad_u32_u24 v9, v0, 3, v33
	s_mov_b32 s1, exec_lo
	ds_load_b64 v[9:10], v9
	s_wait_dscnt 0x0
	v_dual_mov_b32 v13, v9 :: v_dual_and_b32 v12, 7, v32
	v_mov_b32_dpp v15, v9 row_shr:1 row_mask:0xf bank_mask:0xf
	v_mov_b32_dpp v14, v10 row_shr:1 row_mask:0xf bank_mask:0xf
	s_delay_alu instid0(VALU_DEP_3)
	v_cmpx_ne_u32_e32 0, v12
; %bb.105:
	s_delay_alu instid0(VALU_DEP_3) | instskip(SKIP_2) | instid1(VALU_DEP_2)
	v_add_co_u32 v13, vcc_lo, v9, v15
	s_wait_alu 0xfffd
	v_add_co_ci_u32_e64 v10, null, 0, v10, vcc_lo
	v_add_co_u32 v9, vcc_lo, 0, v13
	s_wait_alu 0xfffd
	s_delay_alu instid0(VALU_DEP_2)
	v_add_co_ci_u32_e64 v10, null, v14, v10, vcc_lo
; %bb.106:
	s_wait_alu 0xfffe
	s_or_b32 exec_lo, exec_lo, s1
	v_mov_b32_dpp v15, v13 row_shr:2 row_mask:0xf bank_mask:0xf
	s_delay_alu instid0(VALU_DEP_2)
	v_mov_b32_dpp v14, v10 row_shr:2 row_mask:0xf bank_mask:0xf
	s_mov_b32 s1, exec_lo
	v_cmpx_lt_u32_e32 1, v12
; %bb.107:
	s_delay_alu instid0(VALU_DEP_3) | instskip(SKIP_2) | instid1(VALU_DEP_2)
	v_add_co_u32 v13, vcc_lo, v9, v15
	s_wait_alu 0xfffd
	v_add_co_ci_u32_e64 v10, null, 0, v10, vcc_lo
	v_add_co_u32 v9, vcc_lo, 0, v13
	s_wait_alu 0xfffd
	s_delay_alu instid0(VALU_DEP_2)
	v_add_co_ci_u32_e64 v10, null, v14, v10, vcc_lo
; %bb.108:
	s_wait_alu 0xfffe
	s_or_b32 exec_lo, exec_lo, s1
	v_mul_u32_u24_e32 v14, 3, v0
	v_mov_b32_dpp v15, v13 row_shr:4 row_mask:0xf bank_mask:0xf
	v_mov_b32_dpp v13, v10 row_shr:4 row_mask:0xf bank_mask:0xf
	s_mov_b32 s1, exec_lo
	v_cmpx_lt_u32_e32 3, v12
; %bb.109:
	s_delay_alu instid0(VALU_DEP_3) | instskip(SKIP_2) | instid1(VALU_DEP_2)
	v_add_co_u32 v9, vcc_lo, v9, v15
	s_wait_alu 0xfffd
	v_add_co_ci_u32_e64 v10, null, 0, v10, vcc_lo
	v_add_co_u32 v9, vcc_lo, v9, 0
	s_wait_alu 0xfffd
	s_delay_alu instid0(VALU_DEP_2)
	v_add_co_ci_u32_e64 v10, null, v10, v13, vcc_lo
; %bb.110:
	s_wait_alu 0xfffe
	s_or_b32 exec_lo, exec_lo, s1
	v_add_nc_u32_e32 v12, v33, v14
	ds_store_b64 v12, v[9:10]
.LBB2594_111:
	s_wait_alu 0xfffe
	s_or_b32 exec_lo, exec_lo, s0
	v_mov_b32_e32 v13, 0
	v_mov_b32_e32 v14, 0
	s_mov_b32 s0, exec_lo
	s_wait_loadcnt_dscnt 0x0
	s_barrier_signal -1
	s_barrier_wait -1
	global_inv scope:SCOPE_SE
	v_cmpx_lt_u32_e32 31, v0
; %bb.112:
	v_lshl_add_u32 v9, v11, 3, -8
	ds_load_b64 v[13:14], v9
; %bb.113:
	s_wait_alu 0xfffe
	s_or_b32 exec_lo, exec_lo, s0
	v_sub_co_u32 v9, vcc_lo, v32, 1
	s_wait_dscnt 0x0
	v_add_nc_u32_e32 v10, v13, v19
	v_mov_b32_e32 v12, 0
	s_delay_alu instid0(VALU_DEP_3) | instskip(SKIP_1) | instid1(VALU_DEP_1)
	v_cmp_gt_i32_e64 s0, 0, v9
	s_wait_alu 0xf1ff
	v_cndmask_b32_e64 v9, v9, v32, s0
	v_cmp_eq_u32_e64 s0, 0, v0
	s_delay_alu instid0(VALU_DEP_2)
	v_lshlrev_b32_e32 v9, 2, v9
	ds_bpermute_b32 v15, v9, v10
	ds_load_b64 v[9:10], v12 offset:56
	s_and_saveexec_b32 s1, s0
	s_cbranch_execz .LBB2594_115
; %bb.114:
	s_wait_kmcnt 0x0
	s_add_nc_u64 s[2:3], s[4:5], 0x200
	s_wait_alu 0xfffe
	v_dual_mov_b32 v11, 2 :: v_dual_mov_b32 v20, s3
	v_mov_b32_e32 v19, s2
	s_wait_dscnt 0x0
	;;#ASMSTART
	global_store_b128 v[19:20], v[9:12] off scope:SCOPE_DEV	
s_wait_storecnt 0x0
	;;#ASMEND
.LBB2594_115:
	s_wait_alu 0xfffe
	s_or_b32 exec_lo, exec_lo, s1
	s_wait_dscnt 0x1
	s_wait_alu 0xfffd
	v_dual_cndmask_b32 v11, v15, v13 :: v_dual_cndmask_b32 v12, 0, v14
	s_wait_loadcnt_dscnt 0x0
	s_barrier_signal -1
	s_barrier_wait -1
	s_delay_alu instid0(VALU_DEP_1)
	v_cndmask_b32_e64 v22, v11, 0, s0
	v_cndmask_b32_e64 v11, v12, 0, s0
	global_inv scope:SCOPE_SE
	v_add_co_u32 v21, vcc_lo, v22, v31
	s_wait_alu 0xfffd
	v_add_co_ci_u32_e64 v11, null, 0, v11, vcc_lo
	s_delay_alu instid0(VALU_DEP_2) | instskip(SKIP_1) | instid1(VALU_DEP_2)
	v_add_co_u32 v15, vcc_lo, v21, v30
	s_wait_alu 0xfffd
	v_add_co_ci_u32_e64 v11, null, 0, v11, vcc_lo
	s_delay_alu instid0(VALU_DEP_2) | instskip(SKIP_1) | instid1(VALU_DEP_2)
	v_add_co_u32 v14, vcc_lo, v15, v29
	s_wait_alu 0xfffd
	v_add_co_ci_u32_e64 v16, null, 0, v11, vcc_lo
	v_mov_b32_e32 v11, 0
	v_mov_b32_e32 v12, 0
	v_add_co_u32 v13, vcc_lo, v14, v28
	s_wait_alu 0xfffd
	v_add_co_ci_u32_e64 v16, null, 0, v16, vcc_lo
.LBB2594_116:
	s_wait_dscnt 0x0
	v_cmp_gt_u64_e32 vcc_lo, 0x101, v[9:10]
	s_cbranch_vccz .LBB2594_119
; %bb.117:
	v_cmp_eq_u32_e32 vcc_lo, 0, v0
	s_and_b32 s0, vcc_lo, s16
	s_wait_alu 0xfffe
	s_and_saveexec_b32 s1, s0
	s_cbranch_execnz .LBB2594_130
.LBB2594_118:
	s_endpgm
.LBB2594_119:
	s_mov_b32 s0, exec_lo
	v_cmpx_eq_u32_e32 1, v31
; %bb.120:
	v_sub_nc_u32_e32 v16, v22, v11
	s_delay_alu instid0(VALU_DEP_1)
	v_lshlrev_b32_e32 v16, 3, v16
	ds_store_b64 v16, v[5:6]
; %bb.121:
	s_wait_alu 0xfffe
	s_or_b32 exec_lo, exec_lo, s0
	s_delay_alu instid0(SALU_CYCLE_1)
	s_mov_b32 s0, exec_lo
	v_cmpx_eq_u32_e32 1, v30
; %bb.122:
	v_sub_nc_u32_e32 v5, v21, v11
	s_delay_alu instid0(VALU_DEP_1)
	v_lshlrev_b32_e32 v5, 3, v5
	ds_store_b64 v5, v[7:8]
; %bb.123:
	s_wait_alu 0xfffe
	s_or_b32 exec_lo, exec_lo, s0
	s_delay_alu instid0(SALU_CYCLE_1)
	;; [unrolled: 11-line block ×4, first 2 shown]
	s_mov_b32 s0, exec_lo
	v_cmpx_eq_u32_e32 1, v27
; %bb.128:
	v_sub_nc_u32_e32 v1, v13, v11
	s_delay_alu instid0(VALU_DEP_1)
	v_lshlrev_b32_e32 v1, 3, v1
	ds_store_b64 v1, v[17:18]
; %bb.129:
	s_wait_alu 0xfffe
	s_or_b32 exec_lo, exec_lo, s0
	s_wait_loadcnt_dscnt 0x0
	s_barrier_signal -1
	s_barrier_wait -1
	global_inv scope:SCOPE_SE
	v_cmp_eq_u32_e32 vcc_lo, 0, v0
	s_and_b32 s0, vcc_lo, s16
	s_wait_alu 0xfffe
	s_and_saveexec_b32 s1, s0
	s_cbranch_execz .LBB2594_118
.LBB2594_130:
	v_add_co_u32 v0, vcc_lo, v9, s10
	s_wait_alu 0xfffd
	v_add_co_ci_u32_e64 v1, null, s11, v10, vcc_lo
	v_mov_b32_e32 v2, 0
	s_delay_alu instid0(VALU_DEP_3) | instskip(SKIP_1) | instid1(VALU_DEP_3)
	v_add_co_u32 v0, vcc_lo, v0, v11
	s_wait_alu 0xfffd
	v_add_co_ci_u32_e64 v1, null, v1, v12, vcc_lo
	global_store_b64 v2, v[0:1], s[8:9]
	s_endpgm
	.section	.rodata,"a",@progbits
	.p2align	6, 0x0
	.amdhsa_kernel _ZN7rocprim17ROCPRIM_400000_NS6detail17trampoline_kernelINS0_14default_configENS1_25partition_config_selectorILNS1_17partition_subalgoE5EdNS0_10empty_typeEbEEZZNS1_14partition_implILS5_5ELb0ES3_mN6thrust23THRUST_200600_302600_NS6detail15normal_iteratorINSA_10device_ptrIdEEEEPS6_NSA_18transform_iteratorINSB_9not_fun_tI7is_trueIdEEENSC_INSD_IbEEEENSA_11use_defaultESO_EENS0_5tupleIJNSA_16discard_iteratorISO_EES6_EEENSQ_IJSG_SG_EEES6_PlJS6_EEE10hipError_tPvRmT3_T4_T5_T6_T7_T9_mT8_P12ihipStream_tbDpT10_ENKUlT_T0_E_clISt17integral_constantIbLb0EES1F_EEDaS1A_S1B_EUlS1A_E_NS1_11comp_targetILNS1_3genE10ELNS1_11target_archE1200ELNS1_3gpuE4ELNS1_3repE0EEENS1_30default_config_static_selectorELNS0_4arch9wavefront6targetE0EEEvT1_
		.amdhsa_group_segment_fixed_size 10256
		.amdhsa_private_segment_fixed_size 0
		.amdhsa_kernarg_size 128
		.amdhsa_user_sgpr_count 2
		.amdhsa_user_sgpr_dispatch_ptr 0
		.amdhsa_user_sgpr_queue_ptr 0
		.amdhsa_user_sgpr_kernarg_segment_ptr 1
		.amdhsa_user_sgpr_dispatch_id 0
		.amdhsa_user_sgpr_private_segment_size 0
		.amdhsa_wavefront_size32 1
		.amdhsa_uses_dynamic_stack 0
		.amdhsa_enable_private_segment 0
		.amdhsa_system_sgpr_workgroup_id_x 1
		.amdhsa_system_sgpr_workgroup_id_y 0
		.amdhsa_system_sgpr_workgroup_id_z 0
		.amdhsa_system_sgpr_workgroup_info 0
		.amdhsa_system_vgpr_workitem_id 0
		.amdhsa_next_free_vgpr 47
		.amdhsa_next_free_sgpr 20
		.amdhsa_reserve_vcc 1
		.amdhsa_float_round_mode_32 0
		.amdhsa_float_round_mode_16_64 0
		.amdhsa_float_denorm_mode_32 3
		.amdhsa_float_denorm_mode_16_64 3
		.amdhsa_fp16_overflow 0
		.amdhsa_workgroup_processor_mode 1
		.amdhsa_memory_ordered 1
		.amdhsa_forward_progress 1
		.amdhsa_inst_pref_size 52
		.amdhsa_round_robin_scheduling 0
		.amdhsa_exception_fp_ieee_invalid_op 0
		.amdhsa_exception_fp_denorm_src 0
		.amdhsa_exception_fp_ieee_div_zero 0
		.amdhsa_exception_fp_ieee_overflow 0
		.amdhsa_exception_fp_ieee_underflow 0
		.amdhsa_exception_fp_ieee_inexact 0
		.amdhsa_exception_int_div_zero 0
	.end_amdhsa_kernel
	.section	.text._ZN7rocprim17ROCPRIM_400000_NS6detail17trampoline_kernelINS0_14default_configENS1_25partition_config_selectorILNS1_17partition_subalgoE5EdNS0_10empty_typeEbEEZZNS1_14partition_implILS5_5ELb0ES3_mN6thrust23THRUST_200600_302600_NS6detail15normal_iteratorINSA_10device_ptrIdEEEEPS6_NSA_18transform_iteratorINSB_9not_fun_tI7is_trueIdEEENSC_INSD_IbEEEENSA_11use_defaultESO_EENS0_5tupleIJNSA_16discard_iteratorISO_EES6_EEENSQ_IJSG_SG_EEES6_PlJS6_EEE10hipError_tPvRmT3_T4_T5_T6_T7_T9_mT8_P12ihipStream_tbDpT10_ENKUlT_T0_E_clISt17integral_constantIbLb0EES1F_EEDaS1A_S1B_EUlS1A_E_NS1_11comp_targetILNS1_3genE10ELNS1_11target_archE1200ELNS1_3gpuE4ELNS1_3repE0EEENS1_30default_config_static_selectorELNS0_4arch9wavefront6targetE0EEEvT1_,"axG",@progbits,_ZN7rocprim17ROCPRIM_400000_NS6detail17trampoline_kernelINS0_14default_configENS1_25partition_config_selectorILNS1_17partition_subalgoE5EdNS0_10empty_typeEbEEZZNS1_14partition_implILS5_5ELb0ES3_mN6thrust23THRUST_200600_302600_NS6detail15normal_iteratorINSA_10device_ptrIdEEEEPS6_NSA_18transform_iteratorINSB_9not_fun_tI7is_trueIdEEENSC_INSD_IbEEEENSA_11use_defaultESO_EENS0_5tupleIJNSA_16discard_iteratorISO_EES6_EEENSQ_IJSG_SG_EEES6_PlJS6_EEE10hipError_tPvRmT3_T4_T5_T6_T7_T9_mT8_P12ihipStream_tbDpT10_ENKUlT_T0_E_clISt17integral_constantIbLb0EES1F_EEDaS1A_S1B_EUlS1A_E_NS1_11comp_targetILNS1_3genE10ELNS1_11target_archE1200ELNS1_3gpuE4ELNS1_3repE0EEENS1_30default_config_static_selectorELNS0_4arch9wavefront6targetE0EEEvT1_,comdat
.Lfunc_end2594:
	.size	_ZN7rocprim17ROCPRIM_400000_NS6detail17trampoline_kernelINS0_14default_configENS1_25partition_config_selectorILNS1_17partition_subalgoE5EdNS0_10empty_typeEbEEZZNS1_14partition_implILS5_5ELb0ES3_mN6thrust23THRUST_200600_302600_NS6detail15normal_iteratorINSA_10device_ptrIdEEEEPS6_NSA_18transform_iteratorINSB_9not_fun_tI7is_trueIdEEENSC_INSD_IbEEEENSA_11use_defaultESO_EENS0_5tupleIJNSA_16discard_iteratorISO_EES6_EEENSQ_IJSG_SG_EEES6_PlJS6_EEE10hipError_tPvRmT3_T4_T5_T6_T7_T9_mT8_P12ihipStream_tbDpT10_ENKUlT_T0_E_clISt17integral_constantIbLb0EES1F_EEDaS1A_S1B_EUlS1A_E_NS1_11comp_targetILNS1_3genE10ELNS1_11target_archE1200ELNS1_3gpuE4ELNS1_3repE0EEENS1_30default_config_static_selectorELNS0_4arch9wavefront6targetE0EEEvT1_, .Lfunc_end2594-_ZN7rocprim17ROCPRIM_400000_NS6detail17trampoline_kernelINS0_14default_configENS1_25partition_config_selectorILNS1_17partition_subalgoE5EdNS0_10empty_typeEbEEZZNS1_14partition_implILS5_5ELb0ES3_mN6thrust23THRUST_200600_302600_NS6detail15normal_iteratorINSA_10device_ptrIdEEEEPS6_NSA_18transform_iteratorINSB_9not_fun_tI7is_trueIdEEENSC_INSD_IbEEEENSA_11use_defaultESO_EENS0_5tupleIJNSA_16discard_iteratorISO_EES6_EEENSQ_IJSG_SG_EEES6_PlJS6_EEE10hipError_tPvRmT3_T4_T5_T6_T7_T9_mT8_P12ihipStream_tbDpT10_ENKUlT_T0_E_clISt17integral_constantIbLb0EES1F_EEDaS1A_S1B_EUlS1A_E_NS1_11comp_targetILNS1_3genE10ELNS1_11target_archE1200ELNS1_3gpuE4ELNS1_3repE0EEENS1_30default_config_static_selectorELNS0_4arch9wavefront6targetE0EEEvT1_
                                        ; -- End function
	.set _ZN7rocprim17ROCPRIM_400000_NS6detail17trampoline_kernelINS0_14default_configENS1_25partition_config_selectorILNS1_17partition_subalgoE5EdNS0_10empty_typeEbEEZZNS1_14partition_implILS5_5ELb0ES3_mN6thrust23THRUST_200600_302600_NS6detail15normal_iteratorINSA_10device_ptrIdEEEEPS6_NSA_18transform_iteratorINSB_9not_fun_tI7is_trueIdEEENSC_INSD_IbEEEENSA_11use_defaultESO_EENS0_5tupleIJNSA_16discard_iteratorISO_EES6_EEENSQ_IJSG_SG_EEES6_PlJS6_EEE10hipError_tPvRmT3_T4_T5_T6_T7_T9_mT8_P12ihipStream_tbDpT10_ENKUlT_T0_E_clISt17integral_constantIbLb0EES1F_EEDaS1A_S1B_EUlS1A_E_NS1_11comp_targetILNS1_3genE10ELNS1_11target_archE1200ELNS1_3gpuE4ELNS1_3repE0EEENS1_30default_config_static_selectorELNS0_4arch9wavefront6targetE0EEEvT1_.num_vgpr, 47
	.set _ZN7rocprim17ROCPRIM_400000_NS6detail17trampoline_kernelINS0_14default_configENS1_25partition_config_selectorILNS1_17partition_subalgoE5EdNS0_10empty_typeEbEEZZNS1_14partition_implILS5_5ELb0ES3_mN6thrust23THRUST_200600_302600_NS6detail15normal_iteratorINSA_10device_ptrIdEEEEPS6_NSA_18transform_iteratorINSB_9not_fun_tI7is_trueIdEEENSC_INSD_IbEEEENSA_11use_defaultESO_EENS0_5tupleIJNSA_16discard_iteratorISO_EES6_EEENSQ_IJSG_SG_EEES6_PlJS6_EEE10hipError_tPvRmT3_T4_T5_T6_T7_T9_mT8_P12ihipStream_tbDpT10_ENKUlT_T0_E_clISt17integral_constantIbLb0EES1F_EEDaS1A_S1B_EUlS1A_E_NS1_11comp_targetILNS1_3genE10ELNS1_11target_archE1200ELNS1_3gpuE4ELNS1_3repE0EEENS1_30default_config_static_selectorELNS0_4arch9wavefront6targetE0EEEvT1_.num_agpr, 0
	.set _ZN7rocprim17ROCPRIM_400000_NS6detail17trampoline_kernelINS0_14default_configENS1_25partition_config_selectorILNS1_17partition_subalgoE5EdNS0_10empty_typeEbEEZZNS1_14partition_implILS5_5ELb0ES3_mN6thrust23THRUST_200600_302600_NS6detail15normal_iteratorINSA_10device_ptrIdEEEEPS6_NSA_18transform_iteratorINSB_9not_fun_tI7is_trueIdEEENSC_INSD_IbEEEENSA_11use_defaultESO_EENS0_5tupleIJNSA_16discard_iteratorISO_EES6_EEENSQ_IJSG_SG_EEES6_PlJS6_EEE10hipError_tPvRmT3_T4_T5_T6_T7_T9_mT8_P12ihipStream_tbDpT10_ENKUlT_T0_E_clISt17integral_constantIbLb0EES1F_EEDaS1A_S1B_EUlS1A_E_NS1_11comp_targetILNS1_3genE10ELNS1_11target_archE1200ELNS1_3gpuE4ELNS1_3repE0EEENS1_30default_config_static_selectorELNS0_4arch9wavefront6targetE0EEEvT1_.numbered_sgpr, 20
	.set _ZN7rocprim17ROCPRIM_400000_NS6detail17trampoline_kernelINS0_14default_configENS1_25partition_config_selectorILNS1_17partition_subalgoE5EdNS0_10empty_typeEbEEZZNS1_14partition_implILS5_5ELb0ES3_mN6thrust23THRUST_200600_302600_NS6detail15normal_iteratorINSA_10device_ptrIdEEEEPS6_NSA_18transform_iteratorINSB_9not_fun_tI7is_trueIdEEENSC_INSD_IbEEEENSA_11use_defaultESO_EENS0_5tupleIJNSA_16discard_iteratorISO_EES6_EEENSQ_IJSG_SG_EEES6_PlJS6_EEE10hipError_tPvRmT3_T4_T5_T6_T7_T9_mT8_P12ihipStream_tbDpT10_ENKUlT_T0_E_clISt17integral_constantIbLb0EES1F_EEDaS1A_S1B_EUlS1A_E_NS1_11comp_targetILNS1_3genE10ELNS1_11target_archE1200ELNS1_3gpuE4ELNS1_3repE0EEENS1_30default_config_static_selectorELNS0_4arch9wavefront6targetE0EEEvT1_.num_named_barrier, 0
	.set _ZN7rocprim17ROCPRIM_400000_NS6detail17trampoline_kernelINS0_14default_configENS1_25partition_config_selectorILNS1_17partition_subalgoE5EdNS0_10empty_typeEbEEZZNS1_14partition_implILS5_5ELb0ES3_mN6thrust23THRUST_200600_302600_NS6detail15normal_iteratorINSA_10device_ptrIdEEEEPS6_NSA_18transform_iteratorINSB_9not_fun_tI7is_trueIdEEENSC_INSD_IbEEEENSA_11use_defaultESO_EENS0_5tupleIJNSA_16discard_iteratorISO_EES6_EEENSQ_IJSG_SG_EEES6_PlJS6_EEE10hipError_tPvRmT3_T4_T5_T6_T7_T9_mT8_P12ihipStream_tbDpT10_ENKUlT_T0_E_clISt17integral_constantIbLb0EES1F_EEDaS1A_S1B_EUlS1A_E_NS1_11comp_targetILNS1_3genE10ELNS1_11target_archE1200ELNS1_3gpuE4ELNS1_3repE0EEENS1_30default_config_static_selectorELNS0_4arch9wavefront6targetE0EEEvT1_.private_seg_size, 0
	.set _ZN7rocprim17ROCPRIM_400000_NS6detail17trampoline_kernelINS0_14default_configENS1_25partition_config_selectorILNS1_17partition_subalgoE5EdNS0_10empty_typeEbEEZZNS1_14partition_implILS5_5ELb0ES3_mN6thrust23THRUST_200600_302600_NS6detail15normal_iteratorINSA_10device_ptrIdEEEEPS6_NSA_18transform_iteratorINSB_9not_fun_tI7is_trueIdEEENSC_INSD_IbEEEENSA_11use_defaultESO_EENS0_5tupleIJNSA_16discard_iteratorISO_EES6_EEENSQ_IJSG_SG_EEES6_PlJS6_EEE10hipError_tPvRmT3_T4_T5_T6_T7_T9_mT8_P12ihipStream_tbDpT10_ENKUlT_T0_E_clISt17integral_constantIbLb0EES1F_EEDaS1A_S1B_EUlS1A_E_NS1_11comp_targetILNS1_3genE10ELNS1_11target_archE1200ELNS1_3gpuE4ELNS1_3repE0EEENS1_30default_config_static_selectorELNS0_4arch9wavefront6targetE0EEEvT1_.uses_vcc, 1
	.set _ZN7rocprim17ROCPRIM_400000_NS6detail17trampoline_kernelINS0_14default_configENS1_25partition_config_selectorILNS1_17partition_subalgoE5EdNS0_10empty_typeEbEEZZNS1_14partition_implILS5_5ELb0ES3_mN6thrust23THRUST_200600_302600_NS6detail15normal_iteratorINSA_10device_ptrIdEEEEPS6_NSA_18transform_iteratorINSB_9not_fun_tI7is_trueIdEEENSC_INSD_IbEEEENSA_11use_defaultESO_EENS0_5tupleIJNSA_16discard_iteratorISO_EES6_EEENSQ_IJSG_SG_EEES6_PlJS6_EEE10hipError_tPvRmT3_T4_T5_T6_T7_T9_mT8_P12ihipStream_tbDpT10_ENKUlT_T0_E_clISt17integral_constantIbLb0EES1F_EEDaS1A_S1B_EUlS1A_E_NS1_11comp_targetILNS1_3genE10ELNS1_11target_archE1200ELNS1_3gpuE4ELNS1_3repE0EEENS1_30default_config_static_selectorELNS0_4arch9wavefront6targetE0EEEvT1_.uses_flat_scratch, 1
	.set _ZN7rocprim17ROCPRIM_400000_NS6detail17trampoline_kernelINS0_14default_configENS1_25partition_config_selectorILNS1_17partition_subalgoE5EdNS0_10empty_typeEbEEZZNS1_14partition_implILS5_5ELb0ES3_mN6thrust23THRUST_200600_302600_NS6detail15normal_iteratorINSA_10device_ptrIdEEEEPS6_NSA_18transform_iteratorINSB_9not_fun_tI7is_trueIdEEENSC_INSD_IbEEEENSA_11use_defaultESO_EENS0_5tupleIJNSA_16discard_iteratorISO_EES6_EEENSQ_IJSG_SG_EEES6_PlJS6_EEE10hipError_tPvRmT3_T4_T5_T6_T7_T9_mT8_P12ihipStream_tbDpT10_ENKUlT_T0_E_clISt17integral_constantIbLb0EES1F_EEDaS1A_S1B_EUlS1A_E_NS1_11comp_targetILNS1_3genE10ELNS1_11target_archE1200ELNS1_3gpuE4ELNS1_3repE0EEENS1_30default_config_static_selectorELNS0_4arch9wavefront6targetE0EEEvT1_.has_dyn_sized_stack, 0
	.set _ZN7rocprim17ROCPRIM_400000_NS6detail17trampoline_kernelINS0_14default_configENS1_25partition_config_selectorILNS1_17partition_subalgoE5EdNS0_10empty_typeEbEEZZNS1_14partition_implILS5_5ELb0ES3_mN6thrust23THRUST_200600_302600_NS6detail15normal_iteratorINSA_10device_ptrIdEEEEPS6_NSA_18transform_iteratorINSB_9not_fun_tI7is_trueIdEEENSC_INSD_IbEEEENSA_11use_defaultESO_EENS0_5tupleIJNSA_16discard_iteratorISO_EES6_EEENSQ_IJSG_SG_EEES6_PlJS6_EEE10hipError_tPvRmT3_T4_T5_T6_T7_T9_mT8_P12ihipStream_tbDpT10_ENKUlT_T0_E_clISt17integral_constantIbLb0EES1F_EEDaS1A_S1B_EUlS1A_E_NS1_11comp_targetILNS1_3genE10ELNS1_11target_archE1200ELNS1_3gpuE4ELNS1_3repE0EEENS1_30default_config_static_selectorELNS0_4arch9wavefront6targetE0EEEvT1_.has_recursion, 0
	.set _ZN7rocprim17ROCPRIM_400000_NS6detail17trampoline_kernelINS0_14default_configENS1_25partition_config_selectorILNS1_17partition_subalgoE5EdNS0_10empty_typeEbEEZZNS1_14partition_implILS5_5ELb0ES3_mN6thrust23THRUST_200600_302600_NS6detail15normal_iteratorINSA_10device_ptrIdEEEEPS6_NSA_18transform_iteratorINSB_9not_fun_tI7is_trueIdEEENSC_INSD_IbEEEENSA_11use_defaultESO_EENS0_5tupleIJNSA_16discard_iteratorISO_EES6_EEENSQ_IJSG_SG_EEES6_PlJS6_EEE10hipError_tPvRmT3_T4_T5_T6_T7_T9_mT8_P12ihipStream_tbDpT10_ENKUlT_T0_E_clISt17integral_constantIbLb0EES1F_EEDaS1A_S1B_EUlS1A_E_NS1_11comp_targetILNS1_3genE10ELNS1_11target_archE1200ELNS1_3gpuE4ELNS1_3repE0EEENS1_30default_config_static_selectorELNS0_4arch9wavefront6targetE0EEEvT1_.has_indirect_call, 0
	.section	.AMDGPU.csdata,"",@progbits
; Kernel info:
; codeLenInByte = 6572
; TotalNumSgprs: 22
; NumVgprs: 47
; ScratchSize: 0
; MemoryBound: 0
; FloatMode: 240
; IeeeMode: 1
; LDSByteSize: 10256 bytes/workgroup (compile time only)
; SGPRBlocks: 0
; VGPRBlocks: 5
; NumSGPRsForWavesPerEU: 22
; NumVGPRsForWavesPerEU: 47
; Occupancy: 16
; WaveLimiterHint : 1
; COMPUTE_PGM_RSRC2:SCRATCH_EN: 0
; COMPUTE_PGM_RSRC2:USER_SGPR: 2
; COMPUTE_PGM_RSRC2:TRAP_HANDLER: 0
; COMPUTE_PGM_RSRC2:TGID_X_EN: 1
; COMPUTE_PGM_RSRC2:TGID_Y_EN: 0
; COMPUTE_PGM_RSRC2:TGID_Z_EN: 0
; COMPUTE_PGM_RSRC2:TIDIG_COMP_CNT: 0
	.section	.text._ZN7rocprim17ROCPRIM_400000_NS6detail17trampoline_kernelINS0_14default_configENS1_25partition_config_selectorILNS1_17partition_subalgoE5EdNS0_10empty_typeEbEEZZNS1_14partition_implILS5_5ELb0ES3_mN6thrust23THRUST_200600_302600_NS6detail15normal_iteratorINSA_10device_ptrIdEEEEPS6_NSA_18transform_iteratorINSB_9not_fun_tI7is_trueIdEEENSC_INSD_IbEEEENSA_11use_defaultESO_EENS0_5tupleIJNSA_16discard_iteratorISO_EES6_EEENSQ_IJSG_SG_EEES6_PlJS6_EEE10hipError_tPvRmT3_T4_T5_T6_T7_T9_mT8_P12ihipStream_tbDpT10_ENKUlT_T0_E_clISt17integral_constantIbLb0EES1F_EEDaS1A_S1B_EUlS1A_E_NS1_11comp_targetILNS1_3genE9ELNS1_11target_archE1100ELNS1_3gpuE3ELNS1_3repE0EEENS1_30default_config_static_selectorELNS0_4arch9wavefront6targetE0EEEvT1_,"axG",@progbits,_ZN7rocprim17ROCPRIM_400000_NS6detail17trampoline_kernelINS0_14default_configENS1_25partition_config_selectorILNS1_17partition_subalgoE5EdNS0_10empty_typeEbEEZZNS1_14partition_implILS5_5ELb0ES3_mN6thrust23THRUST_200600_302600_NS6detail15normal_iteratorINSA_10device_ptrIdEEEEPS6_NSA_18transform_iteratorINSB_9not_fun_tI7is_trueIdEEENSC_INSD_IbEEEENSA_11use_defaultESO_EENS0_5tupleIJNSA_16discard_iteratorISO_EES6_EEENSQ_IJSG_SG_EEES6_PlJS6_EEE10hipError_tPvRmT3_T4_T5_T6_T7_T9_mT8_P12ihipStream_tbDpT10_ENKUlT_T0_E_clISt17integral_constantIbLb0EES1F_EEDaS1A_S1B_EUlS1A_E_NS1_11comp_targetILNS1_3genE9ELNS1_11target_archE1100ELNS1_3gpuE3ELNS1_3repE0EEENS1_30default_config_static_selectorELNS0_4arch9wavefront6targetE0EEEvT1_,comdat
	.protected	_ZN7rocprim17ROCPRIM_400000_NS6detail17trampoline_kernelINS0_14default_configENS1_25partition_config_selectorILNS1_17partition_subalgoE5EdNS0_10empty_typeEbEEZZNS1_14partition_implILS5_5ELb0ES3_mN6thrust23THRUST_200600_302600_NS6detail15normal_iteratorINSA_10device_ptrIdEEEEPS6_NSA_18transform_iteratorINSB_9not_fun_tI7is_trueIdEEENSC_INSD_IbEEEENSA_11use_defaultESO_EENS0_5tupleIJNSA_16discard_iteratorISO_EES6_EEENSQ_IJSG_SG_EEES6_PlJS6_EEE10hipError_tPvRmT3_T4_T5_T6_T7_T9_mT8_P12ihipStream_tbDpT10_ENKUlT_T0_E_clISt17integral_constantIbLb0EES1F_EEDaS1A_S1B_EUlS1A_E_NS1_11comp_targetILNS1_3genE9ELNS1_11target_archE1100ELNS1_3gpuE3ELNS1_3repE0EEENS1_30default_config_static_selectorELNS0_4arch9wavefront6targetE0EEEvT1_ ; -- Begin function _ZN7rocprim17ROCPRIM_400000_NS6detail17trampoline_kernelINS0_14default_configENS1_25partition_config_selectorILNS1_17partition_subalgoE5EdNS0_10empty_typeEbEEZZNS1_14partition_implILS5_5ELb0ES3_mN6thrust23THRUST_200600_302600_NS6detail15normal_iteratorINSA_10device_ptrIdEEEEPS6_NSA_18transform_iteratorINSB_9not_fun_tI7is_trueIdEEENSC_INSD_IbEEEENSA_11use_defaultESO_EENS0_5tupleIJNSA_16discard_iteratorISO_EES6_EEENSQ_IJSG_SG_EEES6_PlJS6_EEE10hipError_tPvRmT3_T4_T5_T6_T7_T9_mT8_P12ihipStream_tbDpT10_ENKUlT_T0_E_clISt17integral_constantIbLb0EES1F_EEDaS1A_S1B_EUlS1A_E_NS1_11comp_targetILNS1_3genE9ELNS1_11target_archE1100ELNS1_3gpuE3ELNS1_3repE0EEENS1_30default_config_static_selectorELNS0_4arch9wavefront6targetE0EEEvT1_
	.globl	_ZN7rocprim17ROCPRIM_400000_NS6detail17trampoline_kernelINS0_14default_configENS1_25partition_config_selectorILNS1_17partition_subalgoE5EdNS0_10empty_typeEbEEZZNS1_14partition_implILS5_5ELb0ES3_mN6thrust23THRUST_200600_302600_NS6detail15normal_iteratorINSA_10device_ptrIdEEEEPS6_NSA_18transform_iteratorINSB_9not_fun_tI7is_trueIdEEENSC_INSD_IbEEEENSA_11use_defaultESO_EENS0_5tupleIJNSA_16discard_iteratorISO_EES6_EEENSQ_IJSG_SG_EEES6_PlJS6_EEE10hipError_tPvRmT3_T4_T5_T6_T7_T9_mT8_P12ihipStream_tbDpT10_ENKUlT_T0_E_clISt17integral_constantIbLb0EES1F_EEDaS1A_S1B_EUlS1A_E_NS1_11comp_targetILNS1_3genE9ELNS1_11target_archE1100ELNS1_3gpuE3ELNS1_3repE0EEENS1_30default_config_static_selectorELNS0_4arch9wavefront6targetE0EEEvT1_
	.p2align	8
	.type	_ZN7rocprim17ROCPRIM_400000_NS6detail17trampoline_kernelINS0_14default_configENS1_25partition_config_selectorILNS1_17partition_subalgoE5EdNS0_10empty_typeEbEEZZNS1_14partition_implILS5_5ELb0ES3_mN6thrust23THRUST_200600_302600_NS6detail15normal_iteratorINSA_10device_ptrIdEEEEPS6_NSA_18transform_iteratorINSB_9not_fun_tI7is_trueIdEEENSC_INSD_IbEEEENSA_11use_defaultESO_EENS0_5tupleIJNSA_16discard_iteratorISO_EES6_EEENSQ_IJSG_SG_EEES6_PlJS6_EEE10hipError_tPvRmT3_T4_T5_T6_T7_T9_mT8_P12ihipStream_tbDpT10_ENKUlT_T0_E_clISt17integral_constantIbLb0EES1F_EEDaS1A_S1B_EUlS1A_E_NS1_11comp_targetILNS1_3genE9ELNS1_11target_archE1100ELNS1_3gpuE3ELNS1_3repE0EEENS1_30default_config_static_selectorELNS0_4arch9wavefront6targetE0EEEvT1_,@function
_ZN7rocprim17ROCPRIM_400000_NS6detail17trampoline_kernelINS0_14default_configENS1_25partition_config_selectorILNS1_17partition_subalgoE5EdNS0_10empty_typeEbEEZZNS1_14partition_implILS5_5ELb0ES3_mN6thrust23THRUST_200600_302600_NS6detail15normal_iteratorINSA_10device_ptrIdEEEEPS6_NSA_18transform_iteratorINSB_9not_fun_tI7is_trueIdEEENSC_INSD_IbEEEENSA_11use_defaultESO_EENS0_5tupleIJNSA_16discard_iteratorISO_EES6_EEENSQ_IJSG_SG_EEES6_PlJS6_EEE10hipError_tPvRmT3_T4_T5_T6_T7_T9_mT8_P12ihipStream_tbDpT10_ENKUlT_T0_E_clISt17integral_constantIbLb0EES1F_EEDaS1A_S1B_EUlS1A_E_NS1_11comp_targetILNS1_3genE9ELNS1_11target_archE1100ELNS1_3gpuE3ELNS1_3repE0EEENS1_30default_config_static_selectorELNS0_4arch9wavefront6targetE0EEEvT1_: ; @_ZN7rocprim17ROCPRIM_400000_NS6detail17trampoline_kernelINS0_14default_configENS1_25partition_config_selectorILNS1_17partition_subalgoE5EdNS0_10empty_typeEbEEZZNS1_14partition_implILS5_5ELb0ES3_mN6thrust23THRUST_200600_302600_NS6detail15normal_iteratorINSA_10device_ptrIdEEEEPS6_NSA_18transform_iteratorINSB_9not_fun_tI7is_trueIdEEENSC_INSD_IbEEEENSA_11use_defaultESO_EENS0_5tupleIJNSA_16discard_iteratorISO_EES6_EEENSQ_IJSG_SG_EEES6_PlJS6_EEE10hipError_tPvRmT3_T4_T5_T6_T7_T9_mT8_P12ihipStream_tbDpT10_ENKUlT_T0_E_clISt17integral_constantIbLb0EES1F_EEDaS1A_S1B_EUlS1A_E_NS1_11comp_targetILNS1_3genE9ELNS1_11target_archE1100ELNS1_3gpuE3ELNS1_3repE0EEENS1_30default_config_static_selectorELNS0_4arch9wavefront6targetE0EEEvT1_
; %bb.0:
	.section	.rodata,"a",@progbits
	.p2align	6, 0x0
	.amdhsa_kernel _ZN7rocprim17ROCPRIM_400000_NS6detail17trampoline_kernelINS0_14default_configENS1_25partition_config_selectorILNS1_17partition_subalgoE5EdNS0_10empty_typeEbEEZZNS1_14partition_implILS5_5ELb0ES3_mN6thrust23THRUST_200600_302600_NS6detail15normal_iteratorINSA_10device_ptrIdEEEEPS6_NSA_18transform_iteratorINSB_9not_fun_tI7is_trueIdEEENSC_INSD_IbEEEENSA_11use_defaultESO_EENS0_5tupleIJNSA_16discard_iteratorISO_EES6_EEENSQ_IJSG_SG_EEES6_PlJS6_EEE10hipError_tPvRmT3_T4_T5_T6_T7_T9_mT8_P12ihipStream_tbDpT10_ENKUlT_T0_E_clISt17integral_constantIbLb0EES1F_EEDaS1A_S1B_EUlS1A_E_NS1_11comp_targetILNS1_3genE9ELNS1_11target_archE1100ELNS1_3gpuE3ELNS1_3repE0EEENS1_30default_config_static_selectorELNS0_4arch9wavefront6targetE0EEEvT1_
		.amdhsa_group_segment_fixed_size 0
		.amdhsa_private_segment_fixed_size 0
		.amdhsa_kernarg_size 128
		.amdhsa_user_sgpr_count 2
		.amdhsa_user_sgpr_dispatch_ptr 0
		.amdhsa_user_sgpr_queue_ptr 0
		.amdhsa_user_sgpr_kernarg_segment_ptr 1
		.amdhsa_user_sgpr_dispatch_id 0
		.amdhsa_user_sgpr_private_segment_size 0
		.amdhsa_wavefront_size32 1
		.amdhsa_uses_dynamic_stack 0
		.amdhsa_enable_private_segment 0
		.amdhsa_system_sgpr_workgroup_id_x 1
		.amdhsa_system_sgpr_workgroup_id_y 0
		.amdhsa_system_sgpr_workgroup_id_z 0
		.amdhsa_system_sgpr_workgroup_info 0
		.amdhsa_system_vgpr_workitem_id 0
		.amdhsa_next_free_vgpr 1
		.amdhsa_next_free_sgpr 1
		.amdhsa_reserve_vcc 0
		.amdhsa_float_round_mode_32 0
		.amdhsa_float_round_mode_16_64 0
		.amdhsa_float_denorm_mode_32 3
		.amdhsa_float_denorm_mode_16_64 3
		.amdhsa_fp16_overflow 0
		.amdhsa_workgroup_processor_mode 1
		.amdhsa_memory_ordered 1
		.amdhsa_forward_progress 1
		.amdhsa_inst_pref_size 0
		.amdhsa_round_robin_scheduling 0
		.amdhsa_exception_fp_ieee_invalid_op 0
		.amdhsa_exception_fp_denorm_src 0
		.amdhsa_exception_fp_ieee_div_zero 0
		.amdhsa_exception_fp_ieee_overflow 0
		.amdhsa_exception_fp_ieee_underflow 0
		.amdhsa_exception_fp_ieee_inexact 0
		.amdhsa_exception_int_div_zero 0
	.end_amdhsa_kernel
	.section	.text._ZN7rocprim17ROCPRIM_400000_NS6detail17trampoline_kernelINS0_14default_configENS1_25partition_config_selectorILNS1_17partition_subalgoE5EdNS0_10empty_typeEbEEZZNS1_14partition_implILS5_5ELb0ES3_mN6thrust23THRUST_200600_302600_NS6detail15normal_iteratorINSA_10device_ptrIdEEEEPS6_NSA_18transform_iteratorINSB_9not_fun_tI7is_trueIdEEENSC_INSD_IbEEEENSA_11use_defaultESO_EENS0_5tupleIJNSA_16discard_iteratorISO_EES6_EEENSQ_IJSG_SG_EEES6_PlJS6_EEE10hipError_tPvRmT3_T4_T5_T6_T7_T9_mT8_P12ihipStream_tbDpT10_ENKUlT_T0_E_clISt17integral_constantIbLb0EES1F_EEDaS1A_S1B_EUlS1A_E_NS1_11comp_targetILNS1_3genE9ELNS1_11target_archE1100ELNS1_3gpuE3ELNS1_3repE0EEENS1_30default_config_static_selectorELNS0_4arch9wavefront6targetE0EEEvT1_,"axG",@progbits,_ZN7rocprim17ROCPRIM_400000_NS6detail17trampoline_kernelINS0_14default_configENS1_25partition_config_selectorILNS1_17partition_subalgoE5EdNS0_10empty_typeEbEEZZNS1_14partition_implILS5_5ELb0ES3_mN6thrust23THRUST_200600_302600_NS6detail15normal_iteratorINSA_10device_ptrIdEEEEPS6_NSA_18transform_iteratorINSB_9not_fun_tI7is_trueIdEEENSC_INSD_IbEEEENSA_11use_defaultESO_EENS0_5tupleIJNSA_16discard_iteratorISO_EES6_EEENSQ_IJSG_SG_EEES6_PlJS6_EEE10hipError_tPvRmT3_T4_T5_T6_T7_T9_mT8_P12ihipStream_tbDpT10_ENKUlT_T0_E_clISt17integral_constantIbLb0EES1F_EEDaS1A_S1B_EUlS1A_E_NS1_11comp_targetILNS1_3genE9ELNS1_11target_archE1100ELNS1_3gpuE3ELNS1_3repE0EEENS1_30default_config_static_selectorELNS0_4arch9wavefront6targetE0EEEvT1_,comdat
.Lfunc_end2595:
	.size	_ZN7rocprim17ROCPRIM_400000_NS6detail17trampoline_kernelINS0_14default_configENS1_25partition_config_selectorILNS1_17partition_subalgoE5EdNS0_10empty_typeEbEEZZNS1_14partition_implILS5_5ELb0ES3_mN6thrust23THRUST_200600_302600_NS6detail15normal_iteratorINSA_10device_ptrIdEEEEPS6_NSA_18transform_iteratorINSB_9not_fun_tI7is_trueIdEEENSC_INSD_IbEEEENSA_11use_defaultESO_EENS0_5tupleIJNSA_16discard_iteratorISO_EES6_EEENSQ_IJSG_SG_EEES6_PlJS6_EEE10hipError_tPvRmT3_T4_T5_T6_T7_T9_mT8_P12ihipStream_tbDpT10_ENKUlT_T0_E_clISt17integral_constantIbLb0EES1F_EEDaS1A_S1B_EUlS1A_E_NS1_11comp_targetILNS1_3genE9ELNS1_11target_archE1100ELNS1_3gpuE3ELNS1_3repE0EEENS1_30default_config_static_selectorELNS0_4arch9wavefront6targetE0EEEvT1_, .Lfunc_end2595-_ZN7rocprim17ROCPRIM_400000_NS6detail17trampoline_kernelINS0_14default_configENS1_25partition_config_selectorILNS1_17partition_subalgoE5EdNS0_10empty_typeEbEEZZNS1_14partition_implILS5_5ELb0ES3_mN6thrust23THRUST_200600_302600_NS6detail15normal_iteratorINSA_10device_ptrIdEEEEPS6_NSA_18transform_iteratorINSB_9not_fun_tI7is_trueIdEEENSC_INSD_IbEEEENSA_11use_defaultESO_EENS0_5tupleIJNSA_16discard_iteratorISO_EES6_EEENSQ_IJSG_SG_EEES6_PlJS6_EEE10hipError_tPvRmT3_T4_T5_T6_T7_T9_mT8_P12ihipStream_tbDpT10_ENKUlT_T0_E_clISt17integral_constantIbLb0EES1F_EEDaS1A_S1B_EUlS1A_E_NS1_11comp_targetILNS1_3genE9ELNS1_11target_archE1100ELNS1_3gpuE3ELNS1_3repE0EEENS1_30default_config_static_selectorELNS0_4arch9wavefront6targetE0EEEvT1_
                                        ; -- End function
	.set _ZN7rocprim17ROCPRIM_400000_NS6detail17trampoline_kernelINS0_14default_configENS1_25partition_config_selectorILNS1_17partition_subalgoE5EdNS0_10empty_typeEbEEZZNS1_14partition_implILS5_5ELb0ES3_mN6thrust23THRUST_200600_302600_NS6detail15normal_iteratorINSA_10device_ptrIdEEEEPS6_NSA_18transform_iteratorINSB_9not_fun_tI7is_trueIdEEENSC_INSD_IbEEEENSA_11use_defaultESO_EENS0_5tupleIJNSA_16discard_iteratorISO_EES6_EEENSQ_IJSG_SG_EEES6_PlJS6_EEE10hipError_tPvRmT3_T4_T5_T6_T7_T9_mT8_P12ihipStream_tbDpT10_ENKUlT_T0_E_clISt17integral_constantIbLb0EES1F_EEDaS1A_S1B_EUlS1A_E_NS1_11comp_targetILNS1_3genE9ELNS1_11target_archE1100ELNS1_3gpuE3ELNS1_3repE0EEENS1_30default_config_static_selectorELNS0_4arch9wavefront6targetE0EEEvT1_.num_vgpr, 0
	.set _ZN7rocprim17ROCPRIM_400000_NS6detail17trampoline_kernelINS0_14default_configENS1_25partition_config_selectorILNS1_17partition_subalgoE5EdNS0_10empty_typeEbEEZZNS1_14partition_implILS5_5ELb0ES3_mN6thrust23THRUST_200600_302600_NS6detail15normal_iteratorINSA_10device_ptrIdEEEEPS6_NSA_18transform_iteratorINSB_9not_fun_tI7is_trueIdEEENSC_INSD_IbEEEENSA_11use_defaultESO_EENS0_5tupleIJNSA_16discard_iteratorISO_EES6_EEENSQ_IJSG_SG_EEES6_PlJS6_EEE10hipError_tPvRmT3_T4_T5_T6_T7_T9_mT8_P12ihipStream_tbDpT10_ENKUlT_T0_E_clISt17integral_constantIbLb0EES1F_EEDaS1A_S1B_EUlS1A_E_NS1_11comp_targetILNS1_3genE9ELNS1_11target_archE1100ELNS1_3gpuE3ELNS1_3repE0EEENS1_30default_config_static_selectorELNS0_4arch9wavefront6targetE0EEEvT1_.num_agpr, 0
	.set _ZN7rocprim17ROCPRIM_400000_NS6detail17trampoline_kernelINS0_14default_configENS1_25partition_config_selectorILNS1_17partition_subalgoE5EdNS0_10empty_typeEbEEZZNS1_14partition_implILS5_5ELb0ES3_mN6thrust23THRUST_200600_302600_NS6detail15normal_iteratorINSA_10device_ptrIdEEEEPS6_NSA_18transform_iteratorINSB_9not_fun_tI7is_trueIdEEENSC_INSD_IbEEEENSA_11use_defaultESO_EENS0_5tupleIJNSA_16discard_iteratorISO_EES6_EEENSQ_IJSG_SG_EEES6_PlJS6_EEE10hipError_tPvRmT3_T4_T5_T6_T7_T9_mT8_P12ihipStream_tbDpT10_ENKUlT_T0_E_clISt17integral_constantIbLb0EES1F_EEDaS1A_S1B_EUlS1A_E_NS1_11comp_targetILNS1_3genE9ELNS1_11target_archE1100ELNS1_3gpuE3ELNS1_3repE0EEENS1_30default_config_static_selectorELNS0_4arch9wavefront6targetE0EEEvT1_.numbered_sgpr, 0
	.set _ZN7rocprim17ROCPRIM_400000_NS6detail17trampoline_kernelINS0_14default_configENS1_25partition_config_selectorILNS1_17partition_subalgoE5EdNS0_10empty_typeEbEEZZNS1_14partition_implILS5_5ELb0ES3_mN6thrust23THRUST_200600_302600_NS6detail15normal_iteratorINSA_10device_ptrIdEEEEPS6_NSA_18transform_iteratorINSB_9not_fun_tI7is_trueIdEEENSC_INSD_IbEEEENSA_11use_defaultESO_EENS0_5tupleIJNSA_16discard_iteratorISO_EES6_EEENSQ_IJSG_SG_EEES6_PlJS6_EEE10hipError_tPvRmT3_T4_T5_T6_T7_T9_mT8_P12ihipStream_tbDpT10_ENKUlT_T0_E_clISt17integral_constantIbLb0EES1F_EEDaS1A_S1B_EUlS1A_E_NS1_11comp_targetILNS1_3genE9ELNS1_11target_archE1100ELNS1_3gpuE3ELNS1_3repE0EEENS1_30default_config_static_selectorELNS0_4arch9wavefront6targetE0EEEvT1_.num_named_barrier, 0
	.set _ZN7rocprim17ROCPRIM_400000_NS6detail17trampoline_kernelINS0_14default_configENS1_25partition_config_selectorILNS1_17partition_subalgoE5EdNS0_10empty_typeEbEEZZNS1_14partition_implILS5_5ELb0ES3_mN6thrust23THRUST_200600_302600_NS6detail15normal_iteratorINSA_10device_ptrIdEEEEPS6_NSA_18transform_iteratorINSB_9not_fun_tI7is_trueIdEEENSC_INSD_IbEEEENSA_11use_defaultESO_EENS0_5tupleIJNSA_16discard_iteratorISO_EES6_EEENSQ_IJSG_SG_EEES6_PlJS6_EEE10hipError_tPvRmT3_T4_T5_T6_T7_T9_mT8_P12ihipStream_tbDpT10_ENKUlT_T0_E_clISt17integral_constantIbLb0EES1F_EEDaS1A_S1B_EUlS1A_E_NS1_11comp_targetILNS1_3genE9ELNS1_11target_archE1100ELNS1_3gpuE3ELNS1_3repE0EEENS1_30default_config_static_selectorELNS0_4arch9wavefront6targetE0EEEvT1_.private_seg_size, 0
	.set _ZN7rocprim17ROCPRIM_400000_NS6detail17trampoline_kernelINS0_14default_configENS1_25partition_config_selectorILNS1_17partition_subalgoE5EdNS0_10empty_typeEbEEZZNS1_14partition_implILS5_5ELb0ES3_mN6thrust23THRUST_200600_302600_NS6detail15normal_iteratorINSA_10device_ptrIdEEEEPS6_NSA_18transform_iteratorINSB_9not_fun_tI7is_trueIdEEENSC_INSD_IbEEEENSA_11use_defaultESO_EENS0_5tupleIJNSA_16discard_iteratorISO_EES6_EEENSQ_IJSG_SG_EEES6_PlJS6_EEE10hipError_tPvRmT3_T4_T5_T6_T7_T9_mT8_P12ihipStream_tbDpT10_ENKUlT_T0_E_clISt17integral_constantIbLb0EES1F_EEDaS1A_S1B_EUlS1A_E_NS1_11comp_targetILNS1_3genE9ELNS1_11target_archE1100ELNS1_3gpuE3ELNS1_3repE0EEENS1_30default_config_static_selectorELNS0_4arch9wavefront6targetE0EEEvT1_.uses_vcc, 0
	.set _ZN7rocprim17ROCPRIM_400000_NS6detail17trampoline_kernelINS0_14default_configENS1_25partition_config_selectorILNS1_17partition_subalgoE5EdNS0_10empty_typeEbEEZZNS1_14partition_implILS5_5ELb0ES3_mN6thrust23THRUST_200600_302600_NS6detail15normal_iteratorINSA_10device_ptrIdEEEEPS6_NSA_18transform_iteratorINSB_9not_fun_tI7is_trueIdEEENSC_INSD_IbEEEENSA_11use_defaultESO_EENS0_5tupleIJNSA_16discard_iteratorISO_EES6_EEENSQ_IJSG_SG_EEES6_PlJS6_EEE10hipError_tPvRmT3_T4_T5_T6_T7_T9_mT8_P12ihipStream_tbDpT10_ENKUlT_T0_E_clISt17integral_constantIbLb0EES1F_EEDaS1A_S1B_EUlS1A_E_NS1_11comp_targetILNS1_3genE9ELNS1_11target_archE1100ELNS1_3gpuE3ELNS1_3repE0EEENS1_30default_config_static_selectorELNS0_4arch9wavefront6targetE0EEEvT1_.uses_flat_scratch, 0
	.set _ZN7rocprim17ROCPRIM_400000_NS6detail17trampoline_kernelINS0_14default_configENS1_25partition_config_selectorILNS1_17partition_subalgoE5EdNS0_10empty_typeEbEEZZNS1_14partition_implILS5_5ELb0ES3_mN6thrust23THRUST_200600_302600_NS6detail15normal_iteratorINSA_10device_ptrIdEEEEPS6_NSA_18transform_iteratorINSB_9not_fun_tI7is_trueIdEEENSC_INSD_IbEEEENSA_11use_defaultESO_EENS0_5tupleIJNSA_16discard_iteratorISO_EES6_EEENSQ_IJSG_SG_EEES6_PlJS6_EEE10hipError_tPvRmT3_T4_T5_T6_T7_T9_mT8_P12ihipStream_tbDpT10_ENKUlT_T0_E_clISt17integral_constantIbLb0EES1F_EEDaS1A_S1B_EUlS1A_E_NS1_11comp_targetILNS1_3genE9ELNS1_11target_archE1100ELNS1_3gpuE3ELNS1_3repE0EEENS1_30default_config_static_selectorELNS0_4arch9wavefront6targetE0EEEvT1_.has_dyn_sized_stack, 0
	.set _ZN7rocprim17ROCPRIM_400000_NS6detail17trampoline_kernelINS0_14default_configENS1_25partition_config_selectorILNS1_17partition_subalgoE5EdNS0_10empty_typeEbEEZZNS1_14partition_implILS5_5ELb0ES3_mN6thrust23THRUST_200600_302600_NS6detail15normal_iteratorINSA_10device_ptrIdEEEEPS6_NSA_18transform_iteratorINSB_9not_fun_tI7is_trueIdEEENSC_INSD_IbEEEENSA_11use_defaultESO_EENS0_5tupleIJNSA_16discard_iteratorISO_EES6_EEENSQ_IJSG_SG_EEES6_PlJS6_EEE10hipError_tPvRmT3_T4_T5_T6_T7_T9_mT8_P12ihipStream_tbDpT10_ENKUlT_T0_E_clISt17integral_constantIbLb0EES1F_EEDaS1A_S1B_EUlS1A_E_NS1_11comp_targetILNS1_3genE9ELNS1_11target_archE1100ELNS1_3gpuE3ELNS1_3repE0EEENS1_30default_config_static_selectorELNS0_4arch9wavefront6targetE0EEEvT1_.has_recursion, 0
	.set _ZN7rocprim17ROCPRIM_400000_NS6detail17trampoline_kernelINS0_14default_configENS1_25partition_config_selectorILNS1_17partition_subalgoE5EdNS0_10empty_typeEbEEZZNS1_14partition_implILS5_5ELb0ES3_mN6thrust23THRUST_200600_302600_NS6detail15normal_iteratorINSA_10device_ptrIdEEEEPS6_NSA_18transform_iteratorINSB_9not_fun_tI7is_trueIdEEENSC_INSD_IbEEEENSA_11use_defaultESO_EENS0_5tupleIJNSA_16discard_iteratorISO_EES6_EEENSQ_IJSG_SG_EEES6_PlJS6_EEE10hipError_tPvRmT3_T4_T5_T6_T7_T9_mT8_P12ihipStream_tbDpT10_ENKUlT_T0_E_clISt17integral_constantIbLb0EES1F_EEDaS1A_S1B_EUlS1A_E_NS1_11comp_targetILNS1_3genE9ELNS1_11target_archE1100ELNS1_3gpuE3ELNS1_3repE0EEENS1_30default_config_static_selectorELNS0_4arch9wavefront6targetE0EEEvT1_.has_indirect_call, 0
	.section	.AMDGPU.csdata,"",@progbits
; Kernel info:
; codeLenInByte = 0
; TotalNumSgprs: 0
; NumVgprs: 0
; ScratchSize: 0
; MemoryBound: 0
; FloatMode: 240
; IeeeMode: 1
; LDSByteSize: 0 bytes/workgroup (compile time only)
; SGPRBlocks: 0
; VGPRBlocks: 0
; NumSGPRsForWavesPerEU: 1
; NumVGPRsForWavesPerEU: 1
; Occupancy: 16
; WaveLimiterHint : 0
; COMPUTE_PGM_RSRC2:SCRATCH_EN: 0
; COMPUTE_PGM_RSRC2:USER_SGPR: 2
; COMPUTE_PGM_RSRC2:TRAP_HANDLER: 0
; COMPUTE_PGM_RSRC2:TGID_X_EN: 1
; COMPUTE_PGM_RSRC2:TGID_Y_EN: 0
; COMPUTE_PGM_RSRC2:TGID_Z_EN: 0
; COMPUTE_PGM_RSRC2:TIDIG_COMP_CNT: 0
	.section	.text._ZN7rocprim17ROCPRIM_400000_NS6detail17trampoline_kernelINS0_14default_configENS1_25partition_config_selectorILNS1_17partition_subalgoE5EdNS0_10empty_typeEbEEZZNS1_14partition_implILS5_5ELb0ES3_mN6thrust23THRUST_200600_302600_NS6detail15normal_iteratorINSA_10device_ptrIdEEEEPS6_NSA_18transform_iteratorINSB_9not_fun_tI7is_trueIdEEENSC_INSD_IbEEEENSA_11use_defaultESO_EENS0_5tupleIJNSA_16discard_iteratorISO_EES6_EEENSQ_IJSG_SG_EEES6_PlJS6_EEE10hipError_tPvRmT3_T4_T5_T6_T7_T9_mT8_P12ihipStream_tbDpT10_ENKUlT_T0_E_clISt17integral_constantIbLb0EES1F_EEDaS1A_S1B_EUlS1A_E_NS1_11comp_targetILNS1_3genE8ELNS1_11target_archE1030ELNS1_3gpuE2ELNS1_3repE0EEENS1_30default_config_static_selectorELNS0_4arch9wavefront6targetE0EEEvT1_,"axG",@progbits,_ZN7rocprim17ROCPRIM_400000_NS6detail17trampoline_kernelINS0_14default_configENS1_25partition_config_selectorILNS1_17partition_subalgoE5EdNS0_10empty_typeEbEEZZNS1_14partition_implILS5_5ELb0ES3_mN6thrust23THRUST_200600_302600_NS6detail15normal_iteratorINSA_10device_ptrIdEEEEPS6_NSA_18transform_iteratorINSB_9not_fun_tI7is_trueIdEEENSC_INSD_IbEEEENSA_11use_defaultESO_EENS0_5tupleIJNSA_16discard_iteratorISO_EES6_EEENSQ_IJSG_SG_EEES6_PlJS6_EEE10hipError_tPvRmT3_T4_T5_T6_T7_T9_mT8_P12ihipStream_tbDpT10_ENKUlT_T0_E_clISt17integral_constantIbLb0EES1F_EEDaS1A_S1B_EUlS1A_E_NS1_11comp_targetILNS1_3genE8ELNS1_11target_archE1030ELNS1_3gpuE2ELNS1_3repE0EEENS1_30default_config_static_selectorELNS0_4arch9wavefront6targetE0EEEvT1_,comdat
	.protected	_ZN7rocprim17ROCPRIM_400000_NS6detail17trampoline_kernelINS0_14default_configENS1_25partition_config_selectorILNS1_17partition_subalgoE5EdNS0_10empty_typeEbEEZZNS1_14partition_implILS5_5ELb0ES3_mN6thrust23THRUST_200600_302600_NS6detail15normal_iteratorINSA_10device_ptrIdEEEEPS6_NSA_18transform_iteratorINSB_9not_fun_tI7is_trueIdEEENSC_INSD_IbEEEENSA_11use_defaultESO_EENS0_5tupleIJNSA_16discard_iteratorISO_EES6_EEENSQ_IJSG_SG_EEES6_PlJS6_EEE10hipError_tPvRmT3_T4_T5_T6_T7_T9_mT8_P12ihipStream_tbDpT10_ENKUlT_T0_E_clISt17integral_constantIbLb0EES1F_EEDaS1A_S1B_EUlS1A_E_NS1_11comp_targetILNS1_3genE8ELNS1_11target_archE1030ELNS1_3gpuE2ELNS1_3repE0EEENS1_30default_config_static_selectorELNS0_4arch9wavefront6targetE0EEEvT1_ ; -- Begin function _ZN7rocprim17ROCPRIM_400000_NS6detail17trampoline_kernelINS0_14default_configENS1_25partition_config_selectorILNS1_17partition_subalgoE5EdNS0_10empty_typeEbEEZZNS1_14partition_implILS5_5ELb0ES3_mN6thrust23THRUST_200600_302600_NS6detail15normal_iteratorINSA_10device_ptrIdEEEEPS6_NSA_18transform_iteratorINSB_9not_fun_tI7is_trueIdEEENSC_INSD_IbEEEENSA_11use_defaultESO_EENS0_5tupleIJNSA_16discard_iteratorISO_EES6_EEENSQ_IJSG_SG_EEES6_PlJS6_EEE10hipError_tPvRmT3_T4_T5_T6_T7_T9_mT8_P12ihipStream_tbDpT10_ENKUlT_T0_E_clISt17integral_constantIbLb0EES1F_EEDaS1A_S1B_EUlS1A_E_NS1_11comp_targetILNS1_3genE8ELNS1_11target_archE1030ELNS1_3gpuE2ELNS1_3repE0EEENS1_30default_config_static_selectorELNS0_4arch9wavefront6targetE0EEEvT1_
	.globl	_ZN7rocprim17ROCPRIM_400000_NS6detail17trampoline_kernelINS0_14default_configENS1_25partition_config_selectorILNS1_17partition_subalgoE5EdNS0_10empty_typeEbEEZZNS1_14partition_implILS5_5ELb0ES3_mN6thrust23THRUST_200600_302600_NS6detail15normal_iteratorINSA_10device_ptrIdEEEEPS6_NSA_18transform_iteratorINSB_9not_fun_tI7is_trueIdEEENSC_INSD_IbEEEENSA_11use_defaultESO_EENS0_5tupleIJNSA_16discard_iteratorISO_EES6_EEENSQ_IJSG_SG_EEES6_PlJS6_EEE10hipError_tPvRmT3_T4_T5_T6_T7_T9_mT8_P12ihipStream_tbDpT10_ENKUlT_T0_E_clISt17integral_constantIbLb0EES1F_EEDaS1A_S1B_EUlS1A_E_NS1_11comp_targetILNS1_3genE8ELNS1_11target_archE1030ELNS1_3gpuE2ELNS1_3repE0EEENS1_30default_config_static_selectorELNS0_4arch9wavefront6targetE0EEEvT1_
	.p2align	8
	.type	_ZN7rocprim17ROCPRIM_400000_NS6detail17trampoline_kernelINS0_14default_configENS1_25partition_config_selectorILNS1_17partition_subalgoE5EdNS0_10empty_typeEbEEZZNS1_14partition_implILS5_5ELb0ES3_mN6thrust23THRUST_200600_302600_NS6detail15normal_iteratorINSA_10device_ptrIdEEEEPS6_NSA_18transform_iteratorINSB_9not_fun_tI7is_trueIdEEENSC_INSD_IbEEEENSA_11use_defaultESO_EENS0_5tupleIJNSA_16discard_iteratorISO_EES6_EEENSQ_IJSG_SG_EEES6_PlJS6_EEE10hipError_tPvRmT3_T4_T5_T6_T7_T9_mT8_P12ihipStream_tbDpT10_ENKUlT_T0_E_clISt17integral_constantIbLb0EES1F_EEDaS1A_S1B_EUlS1A_E_NS1_11comp_targetILNS1_3genE8ELNS1_11target_archE1030ELNS1_3gpuE2ELNS1_3repE0EEENS1_30default_config_static_selectorELNS0_4arch9wavefront6targetE0EEEvT1_,@function
_ZN7rocprim17ROCPRIM_400000_NS6detail17trampoline_kernelINS0_14default_configENS1_25partition_config_selectorILNS1_17partition_subalgoE5EdNS0_10empty_typeEbEEZZNS1_14partition_implILS5_5ELb0ES3_mN6thrust23THRUST_200600_302600_NS6detail15normal_iteratorINSA_10device_ptrIdEEEEPS6_NSA_18transform_iteratorINSB_9not_fun_tI7is_trueIdEEENSC_INSD_IbEEEENSA_11use_defaultESO_EENS0_5tupleIJNSA_16discard_iteratorISO_EES6_EEENSQ_IJSG_SG_EEES6_PlJS6_EEE10hipError_tPvRmT3_T4_T5_T6_T7_T9_mT8_P12ihipStream_tbDpT10_ENKUlT_T0_E_clISt17integral_constantIbLb0EES1F_EEDaS1A_S1B_EUlS1A_E_NS1_11comp_targetILNS1_3genE8ELNS1_11target_archE1030ELNS1_3gpuE2ELNS1_3repE0EEENS1_30default_config_static_selectorELNS0_4arch9wavefront6targetE0EEEvT1_: ; @_ZN7rocprim17ROCPRIM_400000_NS6detail17trampoline_kernelINS0_14default_configENS1_25partition_config_selectorILNS1_17partition_subalgoE5EdNS0_10empty_typeEbEEZZNS1_14partition_implILS5_5ELb0ES3_mN6thrust23THRUST_200600_302600_NS6detail15normal_iteratorINSA_10device_ptrIdEEEEPS6_NSA_18transform_iteratorINSB_9not_fun_tI7is_trueIdEEENSC_INSD_IbEEEENSA_11use_defaultESO_EENS0_5tupleIJNSA_16discard_iteratorISO_EES6_EEENSQ_IJSG_SG_EEES6_PlJS6_EEE10hipError_tPvRmT3_T4_T5_T6_T7_T9_mT8_P12ihipStream_tbDpT10_ENKUlT_T0_E_clISt17integral_constantIbLb0EES1F_EEDaS1A_S1B_EUlS1A_E_NS1_11comp_targetILNS1_3genE8ELNS1_11target_archE1030ELNS1_3gpuE2ELNS1_3repE0EEENS1_30default_config_static_selectorELNS0_4arch9wavefront6targetE0EEEvT1_
; %bb.0:
	.section	.rodata,"a",@progbits
	.p2align	6, 0x0
	.amdhsa_kernel _ZN7rocprim17ROCPRIM_400000_NS6detail17trampoline_kernelINS0_14default_configENS1_25partition_config_selectorILNS1_17partition_subalgoE5EdNS0_10empty_typeEbEEZZNS1_14partition_implILS5_5ELb0ES3_mN6thrust23THRUST_200600_302600_NS6detail15normal_iteratorINSA_10device_ptrIdEEEEPS6_NSA_18transform_iteratorINSB_9not_fun_tI7is_trueIdEEENSC_INSD_IbEEEENSA_11use_defaultESO_EENS0_5tupleIJNSA_16discard_iteratorISO_EES6_EEENSQ_IJSG_SG_EEES6_PlJS6_EEE10hipError_tPvRmT3_T4_T5_T6_T7_T9_mT8_P12ihipStream_tbDpT10_ENKUlT_T0_E_clISt17integral_constantIbLb0EES1F_EEDaS1A_S1B_EUlS1A_E_NS1_11comp_targetILNS1_3genE8ELNS1_11target_archE1030ELNS1_3gpuE2ELNS1_3repE0EEENS1_30default_config_static_selectorELNS0_4arch9wavefront6targetE0EEEvT1_
		.amdhsa_group_segment_fixed_size 0
		.amdhsa_private_segment_fixed_size 0
		.amdhsa_kernarg_size 128
		.amdhsa_user_sgpr_count 2
		.amdhsa_user_sgpr_dispatch_ptr 0
		.amdhsa_user_sgpr_queue_ptr 0
		.amdhsa_user_sgpr_kernarg_segment_ptr 1
		.amdhsa_user_sgpr_dispatch_id 0
		.amdhsa_user_sgpr_private_segment_size 0
		.amdhsa_wavefront_size32 1
		.amdhsa_uses_dynamic_stack 0
		.amdhsa_enable_private_segment 0
		.amdhsa_system_sgpr_workgroup_id_x 1
		.amdhsa_system_sgpr_workgroup_id_y 0
		.amdhsa_system_sgpr_workgroup_id_z 0
		.amdhsa_system_sgpr_workgroup_info 0
		.amdhsa_system_vgpr_workitem_id 0
		.amdhsa_next_free_vgpr 1
		.amdhsa_next_free_sgpr 1
		.amdhsa_reserve_vcc 0
		.amdhsa_float_round_mode_32 0
		.amdhsa_float_round_mode_16_64 0
		.amdhsa_float_denorm_mode_32 3
		.amdhsa_float_denorm_mode_16_64 3
		.amdhsa_fp16_overflow 0
		.amdhsa_workgroup_processor_mode 1
		.amdhsa_memory_ordered 1
		.amdhsa_forward_progress 1
		.amdhsa_inst_pref_size 0
		.amdhsa_round_robin_scheduling 0
		.amdhsa_exception_fp_ieee_invalid_op 0
		.amdhsa_exception_fp_denorm_src 0
		.amdhsa_exception_fp_ieee_div_zero 0
		.amdhsa_exception_fp_ieee_overflow 0
		.amdhsa_exception_fp_ieee_underflow 0
		.amdhsa_exception_fp_ieee_inexact 0
		.amdhsa_exception_int_div_zero 0
	.end_amdhsa_kernel
	.section	.text._ZN7rocprim17ROCPRIM_400000_NS6detail17trampoline_kernelINS0_14default_configENS1_25partition_config_selectorILNS1_17partition_subalgoE5EdNS0_10empty_typeEbEEZZNS1_14partition_implILS5_5ELb0ES3_mN6thrust23THRUST_200600_302600_NS6detail15normal_iteratorINSA_10device_ptrIdEEEEPS6_NSA_18transform_iteratorINSB_9not_fun_tI7is_trueIdEEENSC_INSD_IbEEEENSA_11use_defaultESO_EENS0_5tupleIJNSA_16discard_iteratorISO_EES6_EEENSQ_IJSG_SG_EEES6_PlJS6_EEE10hipError_tPvRmT3_T4_T5_T6_T7_T9_mT8_P12ihipStream_tbDpT10_ENKUlT_T0_E_clISt17integral_constantIbLb0EES1F_EEDaS1A_S1B_EUlS1A_E_NS1_11comp_targetILNS1_3genE8ELNS1_11target_archE1030ELNS1_3gpuE2ELNS1_3repE0EEENS1_30default_config_static_selectorELNS0_4arch9wavefront6targetE0EEEvT1_,"axG",@progbits,_ZN7rocprim17ROCPRIM_400000_NS6detail17trampoline_kernelINS0_14default_configENS1_25partition_config_selectorILNS1_17partition_subalgoE5EdNS0_10empty_typeEbEEZZNS1_14partition_implILS5_5ELb0ES3_mN6thrust23THRUST_200600_302600_NS6detail15normal_iteratorINSA_10device_ptrIdEEEEPS6_NSA_18transform_iteratorINSB_9not_fun_tI7is_trueIdEEENSC_INSD_IbEEEENSA_11use_defaultESO_EENS0_5tupleIJNSA_16discard_iteratorISO_EES6_EEENSQ_IJSG_SG_EEES6_PlJS6_EEE10hipError_tPvRmT3_T4_T5_T6_T7_T9_mT8_P12ihipStream_tbDpT10_ENKUlT_T0_E_clISt17integral_constantIbLb0EES1F_EEDaS1A_S1B_EUlS1A_E_NS1_11comp_targetILNS1_3genE8ELNS1_11target_archE1030ELNS1_3gpuE2ELNS1_3repE0EEENS1_30default_config_static_selectorELNS0_4arch9wavefront6targetE0EEEvT1_,comdat
.Lfunc_end2596:
	.size	_ZN7rocprim17ROCPRIM_400000_NS6detail17trampoline_kernelINS0_14default_configENS1_25partition_config_selectorILNS1_17partition_subalgoE5EdNS0_10empty_typeEbEEZZNS1_14partition_implILS5_5ELb0ES3_mN6thrust23THRUST_200600_302600_NS6detail15normal_iteratorINSA_10device_ptrIdEEEEPS6_NSA_18transform_iteratorINSB_9not_fun_tI7is_trueIdEEENSC_INSD_IbEEEENSA_11use_defaultESO_EENS0_5tupleIJNSA_16discard_iteratorISO_EES6_EEENSQ_IJSG_SG_EEES6_PlJS6_EEE10hipError_tPvRmT3_T4_T5_T6_T7_T9_mT8_P12ihipStream_tbDpT10_ENKUlT_T0_E_clISt17integral_constantIbLb0EES1F_EEDaS1A_S1B_EUlS1A_E_NS1_11comp_targetILNS1_3genE8ELNS1_11target_archE1030ELNS1_3gpuE2ELNS1_3repE0EEENS1_30default_config_static_selectorELNS0_4arch9wavefront6targetE0EEEvT1_, .Lfunc_end2596-_ZN7rocprim17ROCPRIM_400000_NS6detail17trampoline_kernelINS0_14default_configENS1_25partition_config_selectorILNS1_17partition_subalgoE5EdNS0_10empty_typeEbEEZZNS1_14partition_implILS5_5ELb0ES3_mN6thrust23THRUST_200600_302600_NS6detail15normal_iteratorINSA_10device_ptrIdEEEEPS6_NSA_18transform_iteratorINSB_9not_fun_tI7is_trueIdEEENSC_INSD_IbEEEENSA_11use_defaultESO_EENS0_5tupleIJNSA_16discard_iteratorISO_EES6_EEENSQ_IJSG_SG_EEES6_PlJS6_EEE10hipError_tPvRmT3_T4_T5_T6_T7_T9_mT8_P12ihipStream_tbDpT10_ENKUlT_T0_E_clISt17integral_constantIbLb0EES1F_EEDaS1A_S1B_EUlS1A_E_NS1_11comp_targetILNS1_3genE8ELNS1_11target_archE1030ELNS1_3gpuE2ELNS1_3repE0EEENS1_30default_config_static_selectorELNS0_4arch9wavefront6targetE0EEEvT1_
                                        ; -- End function
	.set _ZN7rocprim17ROCPRIM_400000_NS6detail17trampoline_kernelINS0_14default_configENS1_25partition_config_selectorILNS1_17partition_subalgoE5EdNS0_10empty_typeEbEEZZNS1_14partition_implILS5_5ELb0ES3_mN6thrust23THRUST_200600_302600_NS6detail15normal_iteratorINSA_10device_ptrIdEEEEPS6_NSA_18transform_iteratorINSB_9not_fun_tI7is_trueIdEEENSC_INSD_IbEEEENSA_11use_defaultESO_EENS0_5tupleIJNSA_16discard_iteratorISO_EES6_EEENSQ_IJSG_SG_EEES6_PlJS6_EEE10hipError_tPvRmT3_T4_T5_T6_T7_T9_mT8_P12ihipStream_tbDpT10_ENKUlT_T0_E_clISt17integral_constantIbLb0EES1F_EEDaS1A_S1B_EUlS1A_E_NS1_11comp_targetILNS1_3genE8ELNS1_11target_archE1030ELNS1_3gpuE2ELNS1_3repE0EEENS1_30default_config_static_selectorELNS0_4arch9wavefront6targetE0EEEvT1_.num_vgpr, 0
	.set _ZN7rocprim17ROCPRIM_400000_NS6detail17trampoline_kernelINS0_14default_configENS1_25partition_config_selectorILNS1_17partition_subalgoE5EdNS0_10empty_typeEbEEZZNS1_14partition_implILS5_5ELb0ES3_mN6thrust23THRUST_200600_302600_NS6detail15normal_iteratorINSA_10device_ptrIdEEEEPS6_NSA_18transform_iteratorINSB_9not_fun_tI7is_trueIdEEENSC_INSD_IbEEEENSA_11use_defaultESO_EENS0_5tupleIJNSA_16discard_iteratorISO_EES6_EEENSQ_IJSG_SG_EEES6_PlJS6_EEE10hipError_tPvRmT3_T4_T5_T6_T7_T9_mT8_P12ihipStream_tbDpT10_ENKUlT_T0_E_clISt17integral_constantIbLb0EES1F_EEDaS1A_S1B_EUlS1A_E_NS1_11comp_targetILNS1_3genE8ELNS1_11target_archE1030ELNS1_3gpuE2ELNS1_3repE0EEENS1_30default_config_static_selectorELNS0_4arch9wavefront6targetE0EEEvT1_.num_agpr, 0
	.set _ZN7rocprim17ROCPRIM_400000_NS6detail17trampoline_kernelINS0_14default_configENS1_25partition_config_selectorILNS1_17partition_subalgoE5EdNS0_10empty_typeEbEEZZNS1_14partition_implILS5_5ELb0ES3_mN6thrust23THRUST_200600_302600_NS6detail15normal_iteratorINSA_10device_ptrIdEEEEPS6_NSA_18transform_iteratorINSB_9not_fun_tI7is_trueIdEEENSC_INSD_IbEEEENSA_11use_defaultESO_EENS0_5tupleIJNSA_16discard_iteratorISO_EES6_EEENSQ_IJSG_SG_EEES6_PlJS6_EEE10hipError_tPvRmT3_T4_T5_T6_T7_T9_mT8_P12ihipStream_tbDpT10_ENKUlT_T0_E_clISt17integral_constantIbLb0EES1F_EEDaS1A_S1B_EUlS1A_E_NS1_11comp_targetILNS1_3genE8ELNS1_11target_archE1030ELNS1_3gpuE2ELNS1_3repE0EEENS1_30default_config_static_selectorELNS0_4arch9wavefront6targetE0EEEvT1_.numbered_sgpr, 0
	.set _ZN7rocprim17ROCPRIM_400000_NS6detail17trampoline_kernelINS0_14default_configENS1_25partition_config_selectorILNS1_17partition_subalgoE5EdNS0_10empty_typeEbEEZZNS1_14partition_implILS5_5ELb0ES3_mN6thrust23THRUST_200600_302600_NS6detail15normal_iteratorINSA_10device_ptrIdEEEEPS6_NSA_18transform_iteratorINSB_9not_fun_tI7is_trueIdEEENSC_INSD_IbEEEENSA_11use_defaultESO_EENS0_5tupleIJNSA_16discard_iteratorISO_EES6_EEENSQ_IJSG_SG_EEES6_PlJS6_EEE10hipError_tPvRmT3_T4_T5_T6_T7_T9_mT8_P12ihipStream_tbDpT10_ENKUlT_T0_E_clISt17integral_constantIbLb0EES1F_EEDaS1A_S1B_EUlS1A_E_NS1_11comp_targetILNS1_3genE8ELNS1_11target_archE1030ELNS1_3gpuE2ELNS1_3repE0EEENS1_30default_config_static_selectorELNS0_4arch9wavefront6targetE0EEEvT1_.num_named_barrier, 0
	.set _ZN7rocprim17ROCPRIM_400000_NS6detail17trampoline_kernelINS0_14default_configENS1_25partition_config_selectorILNS1_17partition_subalgoE5EdNS0_10empty_typeEbEEZZNS1_14partition_implILS5_5ELb0ES3_mN6thrust23THRUST_200600_302600_NS6detail15normal_iteratorINSA_10device_ptrIdEEEEPS6_NSA_18transform_iteratorINSB_9not_fun_tI7is_trueIdEEENSC_INSD_IbEEEENSA_11use_defaultESO_EENS0_5tupleIJNSA_16discard_iteratorISO_EES6_EEENSQ_IJSG_SG_EEES6_PlJS6_EEE10hipError_tPvRmT3_T4_T5_T6_T7_T9_mT8_P12ihipStream_tbDpT10_ENKUlT_T0_E_clISt17integral_constantIbLb0EES1F_EEDaS1A_S1B_EUlS1A_E_NS1_11comp_targetILNS1_3genE8ELNS1_11target_archE1030ELNS1_3gpuE2ELNS1_3repE0EEENS1_30default_config_static_selectorELNS0_4arch9wavefront6targetE0EEEvT1_.private_seg_size, 0
	.set _ZN7rocprim17ROCPRIM_400000_NS6detail17trampoline_kernelINS0_14default_configENS1_25partition_config_selectorILNS1_17partition_subalgoE5EdNS0_10empty_typeEbEEZZNS1_14partition_implILS5_5ELb0ES3_mN6thrust23THRUST_200600_302600_NS6detail15normal_iteratorINSA_10device_ptrIdEEEEPS6_NSA_18transform_iteratorINSB_9not_fun_tI7is_trueIdEEENSC_INSD_IbEEEENSA_11use_defaultESO_EENS0_5tupleIJNSA_16discard_iteratorISO_EES6_EEENSQ_IJSG_SG_EEES6_PlJS6_EEE10hipError_tPvRmT3_T4_T5_T6_T7_T9_mT8_P12ihipStream_tbDpT10_ENKUlT_T0_E_clISt17integral_constantIbLb0EES1F_EEDaS1A_S1B_EUlS1A_E_NS1_11comp_targetILNS1_3genE8ELNS1_11target_archE1030ELNS1_3gpuE2ELNS1_3repE0EEENS1_30default_config_static_selectorELNS0_4arch9wavefront6targetE0EEEvT1_.uses_vcc, 0
	.set _ZN7rocprim17ROCPRIM_400000_NS6detail17trampoline_kernelINS0_14default_configENS1_25partition_config_selectorILNS1_17partition_subalgoE5EdNS0_10empty_typeEbEEZZNS1_14partition_implILS5_5ELb0ES3_mN6thrust23THRUST_200600_302600_NS6detail15normal_iteratorINSA_10device_ptrIdEEEEPS6_NSA_18transform_iteratorINSB_9not_fun_tI7is_trueIdEEENSC_INSD_IbEEEENSA_11use_defaultESO_EENS0_5tupleIJNSA_16discard_iteratorISO_EES6_EEENSQ_IJSG_SG_EEES6_PlJS6_EEE10hipError_tPvRmT3_T4_T5_T6_T7_T9_mT8_P12ihipStream_tbDpT10_ENKUlT_T0_E_clISt17integral_constantIbLb0EES1F_EEDaS1A_S1B_EUlS1A_E_NS1_11comp_targetILNS1_3genE8ELNS1_11target_archE1030ELNS1_3gpuE2ELNS1_3repE0EEENS1_30default_config_static_selectorELNS0_4arch9wavefront6targetE0EEEvT1_.uses_flat_scratch, 0
	.set _ZN7rocprim17ROCPRIM_400000_NS6detail17trampoline_kernelINS0_14default_configENS1_25partition_config_selectorILNS1_17partition_subalgoE5EdNS0_10empty_typeEbEEZZNS1_14partition_implILS5_5ELb0ES3_mN6thrust23THRUST_200600_302600_NS6detail15normal_iteratorINSA_10device_ptrIdEEEEPS6_NSA_18transform_iteratorINSB_9not_fun_tI7is_trueIdEEENSC_INSD_IbEEEENSA_11use_defaultESO_EENS0_5tupleIJNSA_16discard_iteratorISO_EES6_EEENSQ_IJSG_SG_EEES6_PlJS6_EEE10hipError_tPvRmT3_T4_T5_T6_T7_T9_mT8_P12ihipStream_tbDpT10_ENKUlT_T0_E_clISt17integral_constantIbLb0EES1F_EEDaS1A_S1B_EUlS1A_E_NS1_11comp_targetILNS1_3genE8ELNS1_11target_archE1030ELNS1_3gpuE2ELNS1_3repE0EEENS1_30default_config_static_selectorELNS0_4arch9wavefront6targetE0EEEvT1_.has_dyn_sized_stack, 0
	.set _ZN7rocprim17ROCPRIM_400000_NS6detail17trampoline_kernelINS0_14default_configENS1_25partition_config_selectorILNS1_17partition_subalgoE5EdNS0_10empty_typeEbEEZZNS1_14partition_implILS5_5ELb0ES3_mN6thrust23THRUST_200600_302600_NS6detail15normal_iteratorINSA_10device_ptrIdEEEEPS6_NSA_18transform_iteratorINSB_9not_fun_tI7is_trueIdEEENSC_INSD_IbEEEENSA_11use_defaultESO_EENS0_5tupleIJNSA_16discard_iteratorISO_EES6_EEENSQ_IJSG_SG_EEES6_PlJS6_EEE10hipError_tPvRmT3_T4_T5_T6_T7_T9_mT8_P12ihipStream_tbDpT10_ENKUlT_T0_E_clISt17integral_constantIbLb0EES1F_EEDaS1A_S1B_EUlS1A_E_NS1_11comp_targetILNS1_3genE8ELNS1_11target_archE1030ELNS1_3gpuE2ELNS1_3repE0EEENS1_30default_config_static_selectorELNS0_4arch9wavefront6targetE0EEEvT1_.has_recursion, 0
	.set _ZN7rocprim17ROCPRIM_400000_NS6detail17trampoline_kernelINS0_14default_configENS1_25partition_config_selectorILNS1_17partition_subalgoE5EdNS0_10empty_typeEbEEZZNS1_14partition_implILS5_5ELb0ES3_mN6thrust23THRUST_200600_302600_NS6detail15normal_iteratorINSA_10device_ptrIdEEEEPS6_NSA_18transform_iteratorINSB_9not_fun_tI7is_trueIdEEENSC_INSD_IbEEEENSA_11use_defaultESO_EENS0_5tupleIJNSA_16discard_iteratorISO_EES6_EEENSQ_IJSG_SG_EEES6_PlJS6_EEE10hipError_tPvRmT3_T4_T5_T6_T7_T9_mT8_P12ihipStream_tbDpT10_ENKUlT_T0_E_clISt17integral_constantIbLb0EES1F_EEDaS1A_S1B_EUlS1A_E_NS1_11comp_targetILNS1_3genE8ELNS1_11target_archE1030ELNS1_3gpuE2ELNS1_3repE0EEENS1_30default_config_static_selectorELNS0_4arch9wavefront6targetE0EEEvT1_.has_indirect_call, 0
	.section	.AMDGPU.csdata,"",@progbits
; Kernel info:
; codeLenInByte = 0
; TotalNumSgprs: 0
; NumVgprs: 0
; ScratchSize: 0
; MemoryBound: 0
; FloatMode: 240
; IeeeMode: 1
; LDSByteSize: 0 bytes/workgroup (compile time only)
; SGPRBlocks: 0
; VGPRBlocks: 0
; NumSGPRsForWavesPerEU: 1
; NumVGPRsForWavesPerEU: 1
; Occupancy: 16
; WaveLimiterHint : 0
; COMPUTE_PGM_RSRC2:SCRATCH_EN: 0
; COMPUTE_PGM_RSRC2:USER_SGPR: 2
; COMPUTE_PGM_RSRC2:TRAP_HANDLER: 0
; COMPUTE_PGM_RSRC2:TGID_X_EN: 1
; COMPUTE_PGM_RSRC2:TGID_Y_EN: 0
; COMPUTE_PGM_RSRC2:TGID_Z_EN: 0
; COMPUTE_PGM_RSRC2:TIDIG_COMP_CNT: 0
	.section	.text._ZN7rocprim17ROCPRIM_400000_NS6detail17trampoline_kernelINS0_14default_configENS1_25partition_config_selectorILNS1_17partition_subalgoE5EdNS0_10empty_typeEbEEZZNS1_14partition_implILS5_5ELb0ES3_mN6thrust23THRUST_200600_302600_NS6detail15normal_iteratorINSA_10device_ptrIdEEEEPS6_NSA_18transform_iteratorINSB_9not_fun_tI7is_trueIdEEENSC_INSD_IbEEEENSA_11use_defaultESO_EENS0_5tupleIJNSA_16discard_iteratorISO_EES6_EEENSQ_IJSG_SG_EEES6_PlJS6_EEE10hipError_tPvRmT3_T4_T5_T6_T7_T9_mT8_P12ihipStream_tbDpT10_ENKUlT_T0_E_clISt17integral_constantIbLb1EES1F_EEDaS1A_S1B_EUlS1A_E_NS1_11comp_targetILNS1_3genE0ELNS1_11target_archE4294967295ELNS1_3gpuE0ELNS1_3repE0EEENS1_30default_config_static_selectorELNS0_4arch9wavefront6targetE0EEEvT1_,"axG",@progbits,_ZN7rocprim17ROCPRIM_400000_NS6detail17trampoline_kernelINS0_14default_configENS1_25partition_config_selectorILNS1_17partition_subalgoE5EdNS0_10empty_typeEbEEZZNS1_14partition_implILS5_5ELb0ES3_mN6thrust23THRUST_200600_302600_NS6detail15normal_iteratorINSA_10device_ptrIdEEEEPS6_NSA_18transform_iteratorINSB_9not_fun_tI7is_trueIdEEENSC_INSD_IbEEEENSA_11use_defaultESO_EENS0_5tupleIJNSA_16discard_iteratorISO_EES6_EEENSQ_IJSG_SG_EEES6_PlJS6_EEE10hipError_tPvRmT3_T4_T5_T6_T7_T9_mT8_P12ihipStream_tbDpT10_ENKUlT_T0_E_clISt17integral_constantIbLb1EES1F_EEDaS1A_S1B_EUlS1A_E_NS1_11comp_targetILNS1_3genE0ELNS1_11target_archE4294967295ELNS1_3gpuE0ELNS1_3repE0EEENS1_30default_config_static_selectorELNS0_4arch9wavefront6targetE0EEEvT1_,comdat
	.protected	_ZN7rocprim17ROCPRIM_400000_NS6detail17trampoline_kernelINS0_14default_configENS1_25partition_config_selectorILNS1_17partition_subalgoE5EdNS0_10empty_typeEbEEZZNS1_14partition_implILS5_5ELb0ES3_mN6thrust23THRUST_200600_302600_NS6detail15normal_iteratorINSA_10device_ptrIdEEEEPS6_NSA_18transform_iteratorINSB_9not_fun_tI7is_trueIdEEENSC_INSD_IbEEEENSA_11use_defaultESO_EENS0_5tupleIJNSA_16discard_iteratorISO_EES6_EEENSQ_IJSG_SG_EEES6_PlJS6_EEE10hipError_tPvRmT3_T4_T5_T6_T7_T9_mT8_P12ihipStream_tbDpT10_ENKUlT_T0_E_clISt17integral_constantIbLb1EES1F_EEDaS1A_S1B_EUlS1A_E_NS1_11comp_targetILNS1_3genE0ELNS1_11target_archE4294967295ELNS1_3gpuE0ELNS1_3repE0EEENS1_30default_config_static_selectorELNS0_4arch9wavefront6targetE0EEEvT1_ ; -- Begin function _ZN7rocprim17ROCPRIM_400000_NS6detail17trampoline_kernelINS0_14default_configENS1_25partition_config_selectorILNS1_17partition_subalgoE5EdNS0_10empty_typeEbEEZZNS1_14partition_implILS5_5ELb0ES3_mN6thrust23THRUST_200600_302600_NS6detail15normal_iteratorINSA_10device_ptrIdEEEEPS6_NSA_18transform_iteratorINSB_9not_fun_tI7is_trueIdEEENSC_INSD_IbEEEENSA_11use_defaultESO_EENS0_5tupleIJNSA_16discard_iteratorISO_EES6_EEENSQ_IJSG_SG_EEES6_PlJS6_EEE10hipError_tPvRmT3_T4_T5_T6_T7_T9_mT8_P12ihipStream_tbDpT10_ENKUlT_T0_E_clISt17integral_constantIbLb1EES1F_EEDaS1A_S1B_EUlS1A_E_NS1_11comp_targetILNS1_3genE0ELNS1_11target_archE4294967295ELNS1_3gpuE0ELNS1_3repE0EEENS1_30default_config_static_selectorELNS0_4arch9wavefront6targetE0EEEvT1_
	.globl	_ZN7rocprim17ROCPRIM_400000_NS6detail17trampoline_kernelINS0_14default_configENS1_25partition_config_selectorILNS1_17partition_subalgoE5EdNS0_10empty_typeEbEEZZNS1_14partition_implILS5_5ELb0ES3_mN6thrust23THRUST_200600_302600_NS6detail15normal_iteratorINSA_10device_ptrIdEEEEPS6_NSA_18transform_iteratorINSB_9not_fun_tI7is_trueIdEEENSC_INSD_IbEEEENSA_11use_defaultESO_EENS0_5tupleIJNSA_16discard_iteratorISO_EES6_EEENSQ_IJSG_SG_EEES6_PlJS6_EEE10hipError_tPvRmT3_T4_T5_T6_T7_T9_mT8_P12ihipStream_tbDpT10_ENKUlT_T0_E_clISt17integral_constantIbLb1EES1F_EEDaS1A_S1B_EUlS1A_E_NS1_11comp_targetILNS1_3genE0ELNS1_11target_archE4294967295ELNS1_3gpuE0ELNS1_3repE0EEENS1_30default_config_static_selectorELNS0_4arch9wavefront6targetE0EEEvT1_
	.p2align	8
	.type	_ZN7rocprim17ROCPRIM_400000_NS6detail17trampoline_kernelINS0_14default_configENS1_25partition_config_selectorILNS1_17partition_subalgoE5EdNS0_10empty_typeEbEEZZNS1_14partition_implILS5_5ELb0ES3_mN6thrust23THRUST_200600_302600_NS6detail15normal_iteratorINSA_10device_ptrIdEEEEPS6_NSA_18transform_iteratorINSB_9not_fun_tI7is_trueIdEEENSC_INSD_IbEEEENSA_11use_defaultESO_EENS0_5tupleIJNSA_16discard_iteratorISO_EES6_EEENSQ_IJSG_SG_EEES6_PlJS6_EEE10hipError_tPvRmT3_T4_T5_T6_T7_T9_mT8_P12ihipStream_tbDpT10_ENKUlT_T0_E_clISt17integral_constantIbLb1EES1F_EEDaS1A_S1B_EUlS1A_E_NS1_11comp_targetILNS1_3genE0ELNS1_11target_archE4294967295ELNS1_3gpuE0ELNS1_3repE0EEENS1_30default_config_static_selectorELNS0_4arch9wavefront6targetE0EEEvT1_,@function
_ZN7rocprim17ROCPRIM_400000_NS6detail17trampoline_kernelINS0_14default_configENS1_25partition_config_selectorILNS1_17partition_subalgoE5EdNS0_10empty_typeEbEEZZNS1_14partition_implILS5_5ELb0ES3_mN6thrust23THRUST_200600_302600_NS6detail15normal_iteratorINSA_10device_ptrIdEEEEPS6_NSA_18transform_iteratorINSB_9not_fun_tI7is_trueIdEEENSC_INSD_IbEEEENSA_11use_defaultESO_EENS0_5tupleIJNSA_16discard_iteratorISO_EES6_EEENSQ_IJSG_SG_EEES6_PlJS6_EEE10hipError_tPvRmT3_T4_T5_T6_T7_T9_mT8_P12ihipStream_tbDpT10_ENKUlT_T0_E_clISt17integral_constantIbLb1EES1F_EEDaS1A_S1B_EUlS1A_E_NS1_11comp_targetILNS1_3genE0ELNS1_11target_archE4294967295ELNS1_3gpuE0ELNS1_3repE0EEENS1_30default_config_static_selectorELNS0_4arch9wavefront6targetE0EEEvT1_: ; @_ZN7rocprim17ROCPRIM_400000_NS6detail17trampoline_kernelINS0_14default_configENS1_25partition_config_selectorILNS1_17partition_subalgoE5EdNS0_10empty_typeEbEEZZNS1_14partition_implILS5_5ELb0ES3_mN6thrust23THRUST_200600_302600_NS6detail15normal_iteratorINSA_10device_ptrIdEEEEPS6_NSA_18transform_iteratorINSB_9not_fun_tI7is_trueIdEEENSC_INSD_IbEEEENSA_11use_defaultESO_EENS0_5tupleIJNSA_16discard_iteratorISO_EES6_EEENSQ_IJSG_SG_EEES6_PlJS6_EEE10hipError_tPvRmT3_T4_T5_T6_T7_T9_mT8_P12ihipStream_tbDpT10_ENKUlT_T0_E_clISt17integral_constantIbLb1EES1F_EEDaS1A_S1B_EUlS1A_E_NS1_11comp_targetILNS1_3genE0ELNS1_11target_archE4294967295ELNS1_3gpuE0ELNS1_3repE0EEENS1_30default_config_static_selectorELNS0_4arch9wavefront6targetE0EEEvT1_
; %bb.0:
	.section	.rodata,"a",@progbits
	.p2align	6, 0x0
	.amdhsa_kernel _ZN7rocprim17ROCPRIM_400000_NS6detail17trampoline_kernelINS0_14default_configENS1_25partition_config_selectorILNS1_17partition_subalgoE5EdNS0_10empty_typeEbEEZZNS1_14partition_implILS5_5ELb0ES3_mN6thrust23THRUST_200600_302600_NS6detail15normal_iteratorINSA_10device_ptrIdEEEEPS6_NSA_18transform_iteratorINSB_9not_fun_tI7is_trueIdEEENSC_INSD_IbEEEENSA_11use_defaultESO_EENS0_5tupleIJNSA_16discard_iteratorISO_EES6_EEENSQ_IJSG_SG_EEES6_PlJS6_EEE10hipError_tPvRmT3_T4_T5_T6_T7_T9_mT8_P12ihipStream_tbDpT10_ENKUlT_T0_E_clISt17integral_constantIbLb1EES1F_EEDaS1A_S1B_EUlS1A_E_NS1_11comp_targetILNS1_3genE0ELNS1_11target_archE4294967295ELNS1_3gpuE0ELNS1_3repE0EEENS1_30default_config_static_selectorELNS0_4arch9wavefront6targetE0EEEvT1_
		.amdhsa_group_segment_fixed_size 0
		.amdhsa_private_segment_fixed_size 0
		.amdhsa_kernarg_size 144
		.amdhsa_user_sgpr_count 2
		.amdhsa_user_sgpr_dispatch_ptr 0
		.amdhsa_user_sgpr_queue_ptr 0
		.amdhsa_user_sgpr_kernarg_segment_ptr 1
		.amdhsa_user_sgpr_dispatch_id 0
		.amdhsa_user_sgpr_private_segment_size 0
		.amdhsa_wavefront_size32 1
		.amdhsa_uses_dynamic_stack 0
		.amdhsa_enable_private_segment 0
		.amdhsa_system_sgpr_workgroup_id_x 1
		.amdhsa_system_sgpr_workgroup_id_y 0
		.amdhsa_system_sgpr_workgroup_id_z 0
		.amdhsa_system_sgpr_workgroup_info 0
		.amdhsa_system_vgpr_workitem_id 0
		.amdhsa_next_free_vgpr 1
		.amdhsa_next_free_sgpr 1
		.amdhsa_reserve_vcc 0
		.amdhsa_float_round_mode_32 0
		.amdhsa_float_round_mode_16_64 0
		.amdhsa_float_denorm_mode_32 3
		.amdhsa_float_denorm_mode_16_64 3
		.amdhsa_fp16_overflow 0
		.amdhsa_workgroup_processor_mode 1
		.amdhsa_memory_ordered 1
		.amdhsa_forward_progress 1
		.amdhsa_inst_pref_size 0
		.amdhsa_round_robin_scheduling 0
		.amdhsa_exception_fp_ieee_invalid_op 0
		.amdhsa_exception_fp_denorm_src 0
		.amdhsa_exception_fp_ieee_div_zero 0
		.amdhsa_exception_fp_ieee_overflow 0
		.amdhsa_exception_fp_ieee_underflow 0
		.amdhsa_exception_fp_ieee_inexact 0
		.amdhsa_exception_int_div_zero 0
	.end_amdhsa_kernel
	.section	.text._ZN7rocprim17ROCPRIM_400000_NS6detail17trampoline_kernelINS0_14default_configENS1_25partition_config_selectorILNS1_17partition_subalgoE5EdNS0_10empty_typeEbEEZZNS1_14partition_implILS5_5ELb0ES3_mN6thrust23THRUST_200600_302600_NS6detail15normal_iteratorINSA_10device_ptrIdEEEEPS6_NSA_18transform_iteratorINSB_9not_fun_tI7is_trueIdEEENSC_INSD_IbEEEENSA_11use_defaultESO_EENS0_5tupleIJNSA_16discard_iteratorISO_EES6_EEENSQ_IJSG_SG_EEES6_PlJS6_EEE10hipError_tPvRmT3_T4_T5_T6_T7_T9_mT8_P12ihipStream_tbDpT10_ENKUlT_T0_E_clISt17integral_constantIbLb1EES1F_EEDaS1A_S1B_EUlS1A_E_NS1_11comp_targetILNS1_3genE0ELNS1_11target_archE4294967295ELNS1_3gpuE0ELNS1_3repE0EEENS1_30default_config_static_selectorELNS0_4arch9wavefront6targetE0EEEvT1_,"axG",@progbits,_ZN7rocprim17ROCPRIM_400000_NS6detail17trampoline_kernelINS0_14default_configENS1_25partition_config_selectorILNS1_17partition_subalgoE5EdNS0_10empty_typeEbEEZZNS1_14partition_implILS5_5ELb0ES3_mN6thrust23THRUST_200600_302600_NS6detail15normal_iteratorINSA_10device_ptrIdEEEEPS6_NSA_18transform_iteratorINSB_9not_fun_tI7is_trueIdEEENSC_INSD_IbEEEENSA_11use_defaultESO_EENS0_5tupleIJNSA_16discard_iteratorISO_EES6_EEENSQ_IJSG_SG_EEES6_PlJS6_EEE10hipError_tPvRmT3_T4_T5_T6_T7_T9_mT8_P12ihipStream_tbDpT10_ENKUlT_T0_E_clISt17integral_constantIbLb1EES1F_EEDaS1A_S1B_EUlS1A_E_NS1_11comp_targetILNS1_3genE0ELNS1_11target_archE4294967295ELNS1_3gpuE0ELNS1_3repE0EEENS1_30default_config_static_selectorELNS0_4arch9wavefront6targetE0EEEvT1_,comdat
.Lfunc_end2597:
	.size	_ZN7rocprim17ROCPRIM_400000_NS6detail17trampoline_kernelINS0_14default_configENS1_25partition_config_selectorILNS1_17partition_subalgoE5EdNS0_10empty_typeEbEEZZNS1_14partition_implILS5_5ELb0ES3_mN6thrust23THRUST_200600_302600_NS6detail15normal_iteratorINSA_10device_ptrIdEEEEPS6_NSA_18transform_iteratorINSB_9not_fun_tI7is_trueIdEEENSC_INSD_IbEEEENSA_11use_defaultESO_EENS0_5tupleIJNSA_16discard_iteratorISO_EES6_EEENSQ_IJSG_SG_EEES6_PlJS6_EEE10hipError_tPvRmT3_T4_T5_T6_T7_T9_mT8_P12ihipStream_tbDpT10_ENKUlT_T0_E_clISt17integral_constantIbLb1EES1F_EEDaS1A_S1B_EUlS1A_E_NS1_11comp_targetILNS1_3genE0ELNS1_11target_archE4294967295ELNS1_3gpuE0ELNS1_3repE0EEENS1_30default_config_static_selectorELNS0_4arch9wavefront6targetE0EEEvT1_, .Lfunc_end2597-_ZN7rocprim17ROCPRIM_400000_NS6detail17trampoline_kernelINS0_14default_configENS1_25partition_config_selectorILNS1_17partition_subalgoE5EdNS0_10empty_typeEbEEZZNS1_14partition_implILS5_5ELb0ES3_mN6thrust23THRUST_200600_302600_NS6detail15normal_iteratorINSA_10device_ptrIdEEEEPS6_NSA_18transform_iteratorINSB_9not_fun_tI7is_trueIdEEENSC_INSD_IbEEEENSA_11use_defaultESO_EENS0_5tupleIJNSA_16discard_iteratorISO_EES6_EEENSQ_IJSG_SG_EEES6_PlJS6_EEE10hipError_tPvRmT3_T4_T5_T6_T7_T9_mT8_P12ihipStream_tbDpT10_ENKUlT_T0_E_clISt17integral_constantIbLb1EES1F_EEDaS1A_S1B_EUlS1A_E_NS1_11comp_targetILNS1_3genE0ELNS1_11target_archE4294967295ELNS1_3gpuE0ELNS1_3repE0EEENS1_30default_config_static_selectorELNS0_4arch9wavefront6targetE0EEEvT1_
                                        ; -- End function
	.set _ZN7rocprim17ROCPRIM_400000_NS6detail17trampoline_kernelINS0_14default_configENS1_25partition_config_selectorILNS1_17partition_subalgoE5EdNS0_10empty_typeEbEEZZNS1_14partition_implILS5_5ELb0ES3_mN6thrust23THRUST_200600_302600_NS6detail15normal_iteratorINSA_10device_ptrIdEEEEPS6_NSA_18transform_iteratorINSB_9not_fun_tI7is_trueIdEEENSC_INSD_IbEEEENSA_11use_defaultESO_EENS0_5tupleIJNSA_16discard_iteratorISO_EES6_EEENSQ_IJSG_SG_EEES6_PlJS6_EEE10hipError_tPvRmT3_T4_T5_T6_T7_T9_mT8_P12ihipStream_tbDpT10_ENKUlT_T0_E_clISt17integral_constantIbLb1EES1F_EEDaS1A_S1B_EUlS1A_E_NS1_11comp_targetILNS1_3genE0ELNS1_11target_archE4294967295ELNS1_3gpuE0ELNS1_3repE0EEENS1_30default_config_static_selectorELNS0_4arch9wavefront6targetE0EEEvT1_.num_vgpr, 0
	.set _ZN7rocprim17ROCPRIM_400000_NS6detail17trampoline_kernelINS0_14default_configENS1_25partition_config_selectorILNS1_17partition_subalgoE5EdNS0_10empty_typeEbEEZZNS1_14partition_implILS5_5ELb0ES3_mN6thrust23THRUST_200600_302600_NS6detail15normal_iteratorINSA_10device_ptrIdEEEEPS6_NSA_18transform_iteratorINSB_9not_fun_tI7is_trueIdEEENSC_INSD_IbEEEENSA_11use_defaultESO_EENS0_5tupleIJNSA_16discard_iteratorISO_EES6_EEENSQ_IJSG_SG_EEES6_PlJS6_EEE10hipError_tPvRmT3_T4_T5_T6_T7_T9_mT8_P12ihipStream_tbDpT10_ENKUlT_T0_E_clISt17integral_constantIbLb1EES1F_EEDaS1A_S1B_EUlS1A_E_NS1_11comp_targetILNS1_3genE0ELNS1_11target_archE4294967295ELNS1_3gpuE0ELNS1_3repE0EEENS1_30default_config_static_selectorELNS0_4arch9wavefront6targetE0EEEvT1_.num_agpr, 0
	.set _ZN7rocprim17ROCPRIM_400000_NS6detail17trampoline_kernelINS0_14default_configENS1_25partition_config_selectorILNS1_17partition_subalgoE5EdNS0_10empty_typeEbEEZZNS1_14partition_implILS5_5ELb0ES3_mN6thrust23THRUST_200600_302600_NS6detail15normal_iteratorINSA_10device_ptrIdEEEEPS6_NSA_18transform_iteratorINSB_9not_fun_tI7is_trueIdEEENSC_INSD_IbEEEENSA_11use_defaultESO_EENS0_5tupleIJNSA_16discard_iteratorISO_EES6_EEENSQ_IJSG_SG_EEES6_PlJS6_EEE10hipError_tPvRmT3_T4_T5_T6_T7_T9_mT8_P12ihipStream_tbDpT10_ENKUlT_T0_E_clISt17integral_constantIbLb1EES1F_EEDaS1A_S1B_EUlS1A_E_NS1_11comp_targetILNS1_3genE0ELNS1_11target_archE4294967295ELNS1_3gpuE0ELNS1_3repE0EEENS1_30default_config_static_selectorELNS0_4arch9wavefront6targetE0EEEvT1_.numbered_sgpr, 0
	.set _ZN7rocprim17ROCPRIM_400000_NS6detail17trampoline_kernelINS0_14default_configENS1_25partition_config_selectorILNS1_17partition_subalgoE5EdNS0_10empty_typeEbEEZZNS1_14partition_implILS5_5ELb0ES3_mN6thrust23THRUST_200600_302600_NS6detail15normal_iteratorINSA_10device_ptrIdEEEEPS6_NSA_18transform_iteratorINSB_9not_fun_tI7is_trueIdEEENSC_INSD_IbEEEENSA_11use_defaultESO_EENS0_5tupleIJNSA_16discard_iteratorISO_EES6_EEENSQ_IJSG_SG_EEES6_PlJS6_EEE10hipError_tPvRmT3_T4_T5_T6_T7_T9_mT8_P12ihipStream_tbDpT10_ENKUlT_T0_E_clISt17integral_constantIbLb1EES1F_EEDaS1A_S1B_EUlS1A_E_NS1_11comp_targetILNS1_3genE0ELNS1_11target_archE4294967295ELNS1_3gpuE0ELNS1_3repE0EEENS1_30default_config_static_selectorELNS0_4arch9wavefront6targetE0EEEvT1_.num_named_barrier, 0
	.set _ZN7rocprim17ROCPRIM_400000_NS6detail17trampoline_kernelINS0_14default_configENS1_25partition_config_selectorILNS1_17partition_subalgoE5EdNS0_10empty_typeEbEEZZNS1_14partition_implILS5_5ELb0ES3_mN6thrust23THRUST_200600_302600_NS6detail15normal_iteratorINSA_10device_ptrIdEEEEPS6_NSA_18transform_iteratorINSB_9not_fun_tI7is_trueIdEEENSC_INSD_IbEEEENSA_11use_defaultESO_EENS0_5tupleIJNSA_16discard_iteratorISO_EES6_EEENSQ_IJSG_SG_EEES6_PlJS6_EEE10hipError_tPvRmT3_T4_T5_T6_T7_T9_mT8_P12ihipStream_tbDpT10_ENKUlT_T0_E_clISt17integral_constantIbLb1EES1F_EEDaS1A_S1B_EUlS1A_E_NS1_11comp_targetILNS1_3genE0ELNS1_11target_archE4294967295ELNS1_3gpuE0ELNS1_3repE0EEENS1_30default_config_static_selectorELNS0_4arch9wavefront6targetE0EEEvT1_.private_seg_size, 0
	.set _ZN7rocprim17ROCPRIM_400000_NS6detail17trampoline_kernelINS0_14default_configENS1_25partition_config_selectorILNS1_17partition_subalgoE5EdNS0_10empty_typeEbEEZZNS1_14partition_implILS5_5ELb0ES3_mN6thrust23THRUST_200600_302600_NS6detail15normal_iteratorINSA_10device_ptrIdEEEEPS6_NSA_18transform_iteratorINSB_9not_fun_tI7is_trueIdEEENSC_INSD_IbEEEENSA_11use_defaultESO_EENS0_5tupleIJNSA_16discard_iteratorISO_EES6_EEENSQ_IJSG_SG_EEES6_PlJS6_EEE10hipError_tPvRmT3_T4_T5_T6_T7_T9_mT8_P12ihipStream_tbDpT10_ENKUlT_T0_E_clISt17integral_constantIbLb1EES1F_EEDaS1A_S1B_EUlS1A_E_NS1_11comp_targetILNS1_3genE0ELNS1_11target_archE4294967295ELNS1_3gpuE0ELNS1_3repE0EEENS1_30default_config_static_selectorELNS0_4arch9wavefront6targetE0EEEvT1_.uses_vcc, 0
	.set _ZN7rocprim17ROCPRIM_400000_NS6detail17trampoline_kernelINS0_14default_configENS1_25partition_config_selectorILNS1_17partition_subalgoE5EdNS0_10empty_typeEbEEZZNS1_14partition_implILS5_5ELb0ES3_mN6thrust23THRUST_200600_302600_NS6detail15normal_iteratorINSA_10device_ptrIdEEEEPS6_NSA_18transform_iteratorINSB_9not_fun_tI7is_trueIdEEENSC_INSD_IbEEEENSA_11use_defaultESO_EENS0_5tupleIJNSA_16discard_iteratorISO_EES6_EEENSQ_IJSG_SG_EEES6_PlJS6_EEE10hipError_tPvRmT3_T4_T5_T6_T7_T9_mT8_P12ihipStream_tbDpT10_ENKUlT_T0_E_clISt17integral_constantIbLb1EES1F_EEDaS1A_S1B_EUlS1A_E_NS1_11comp_targetILNS1_3genE0ELNS1_11target_archE4294967295ELNS1_3gpuE0ELNS1_3repE0EEENS1_30default_config_static_selectorELNS0_4arch9wavefront6targetE0EEEvT1_.uses_flat_scratch, 0
	.set _ZN7rocprim17ROCPRIM_400000_NS6detail17trampoline_kernelINS0_14default_configENS1_25partition_config_selectorILNS1_17partition_subalgoE5EdNS0_10empty_typeEbEEZZNS1_14partition_implILS5_5ELb0ES3_mN6thrust23THRUST_200600_302600_NS6detail15normal_iteratorINSA_10device_ptrIdEEEEPS6_NSA_18transform_iteratorINSB_9not_fun_tI7is_trueIdEEENSC_INSD_IbEEEENSA_11use_defaultESO_EENS0_5tupleIJNSA_16discard_iteratorISO_EES6_EEENSQ_IJSG_SG_EEES6_PlJS6_EEE10hipError_tPvRmT3_T4_T5_T6_T7_T9_mT8_P12ihipStream_tbDpT10_ENKUlT_T0_E_clISt17integral_constantIbLb1EES1F_EEDaS1A_S1B_EUlS1A_E_NS1_11comp_targetILNS1_3genE0ELNS1_11target_archE4294967295ELNS1_3gpuE0ELNS1_3repE0EEENS1_30default_config_static_selectorELNS0_4arch9wavefront6targetE0EEEvT1_.has_dyn_sized_stack, 0
	.set _ZN7rocprim17ROCPRIM_400000_NS6detail17trampoline_kernelINS0_14default_configENS1_25partition_config_selectorILNS1_17partition_subalgoE5EdNS0_10empty_typeEbEEZZNS1_14partition_implILS5_5ELb0ES3_mN6thrust23THRUST_200600_302600_NS6detail15normal_iteratorINSA_10device_ptrIdEEEEPS6_NSA_18transform_iteratorINSB_9not_fun_tI7is_trueIdEEENSC_INSD_IbEEEENSA_11use_defaultESO_EENS0_5tupleIJNSA_16discard_iteratorISO_EES6_EEENSQ_IJSG_SG_EEES6_PlJS6_EEE10hipError_tPvRmT3_T4_T5_T6_T7_T9_mT8_P12ihipStream_tbDpT10_ENKUlT_T0_E_clISt17integral_constantIbLb1EES1F_EEDaS1A_S1B_EUlS1A_E_NS1_11comp_targetILNS1_3genE0ELNS1_11target_archE4294967295ELNS1_3gpuE0ELNS1_3repE0EEENS1_30default_config_static_selectorELNS0_4arch9wavefront6targetE0EEEvT1_.has_recursion, 0
	.set _ZN7rocprim17ROCPRIM_400000_NS6detail17trampoline_kernelINS0_14default_configENS1_25partition_config_selectorILNS1_17partition_subalgoE5EdNS0_10empty_typeEbEEZZNS1_14partition_implILS5_5ELb0ES3_mN6thrust23THRUST_200600_302600_NS6detail15normal_iteratorINSA_10device_ptrIdEEEEPS6_NSA_18transform_iteratorINSB_9not_fun_tI7is_trueIdEEENSC_INSD_IbEEEENSA_11use_defaultESO_EENS0_5tupleIJNSA_16discard_iteratorISO_EES6_EEENSQ_IJSG_SG_EEES6_PlJS6_EEE10hipError_tPvRmT3_T4_T5_T6_T7_T9_mT8_P12ihipStream_tbDpT10_ENKUlT_T0_E_clISt17integral_constantIbLb1EES1F_EEDaS1A_S1B_EUlS1A_E_NS1_11comp_targetILNS1_3genE0ELNS1_11target_archE4294967295ELNS1_3gpuE0ELNS1_3repE0EEENS1_30default_config_static_selectorELNS0_4arch9wavefront6targetE0EEEvT1_.has_indirect_call, 0
	.section	.AMDGPU.csdata,"",@progbits
; Kernel info:
; codeLenInByte = 0
; TotalNumSgprs: 0
; NumVgprs: 0
; ScratchSize: 0
; MemoryBound: 0
; FloatMode: 240
; IeeeMode: 1
; LDSByteSize: 0 bytes/workgroup (compile time only)
; SGPRBlocks: 0
; VGPRBlocks: 0
; NumSGPRsForWavesPerEU: 1
; NumVGPRsForWavesPerEU: 1
; Occupancy: 16
; WaveLimiterHint : 0
; COMPUTE_PGM_RSRC2:SCRATCH_EN: 0
; COMPUTE_PGM_RSRC2:USER_SGPR: 2
; COMPUTE_PGM_RSRC2:TRAP_HANDLER: 0
; COMPUTE_PGM_RSRC2:TGID_X_EN: 1
; COMPUTE_PGM_RSRC2:TGID_Y_EN: 0
; COMPUTE_PGM_RSRC2:TGID_Z_EN: 0
; COMPUTE_PGM_RSRC2:TIDIG_COMP_CNT: 0
	.section	.text._ZN7rocprim17ROCPRIM_400000_NS6detail17trampoline_kernelINS0_14default_configENS1_25partition_config_selectorILNS1_17partition_subalgoE5EdNS0_10empty_typeEbEEZZNS1_14partition_implILS5_5ELb0ES3_mN6thrust23THRUST_200600_302600_NS6detail15normal_iteratorINSA_10device_ptrIdEEEEPS6_NSA_18transform_iteratorINSB_9not_fun_tI7is_trueIdEEENSC_INSD_IbEEEENSA_11use_defaultESO_EENS0_5tupleIJNSA_16discard_iteratorISO_EES6_EEENSQ_IJSG_SG_EEES6_PlJS6_EEE10hipError_tPvRmT3_T4_T5_T6_T7_T9_mT8_P12ihipStream_tbDpT10_ENKUlT_T0_E_clISt17integral_constantIbLb1EES1F_EEDaS1A_S1B_EUlS1A_E_NS1_11comp_targetILNS1_3genE5ELNS1_11target_archE942ELNS1_3gpuE9ELNS1_3repE0EEENS1_30default_config_static_selectorELNS0_4arch9wavefront6targetE0EEEvT1_,"axG",@progbits,_ZN7rocprim17ROCPRIM_400000_NS6detail17trampoline_kernelINS0_14default_configENS1_25partition_config_selectorILNS1_17partition_subalgoE5EdNS0_10empty_typeEbEEZZNS1_14partition_implILS5_5ELb0ES3_mN6thrust23THRUST_200600_302600_NS6detail15normal_iteratorINSA_10device_ptrIdEEEEPS6_NSA_18transform_iteratorINSB_9not_fun_tI7is_trueIdEEENSC_INSD_IbEEEENSA_11use_defaultESO_EENS0_5tupleIJNSA_16discard_iteratorISO_EES6_EEENSQ_IJSG_SG_EEES6_PlJS6_EEE10hipError_tPvRmT3_T4_T5_T6_T7_T9_mT8_P12ihipStream_tbDpT10_ENKUlT_T0_E_clISt17integral_constantIbLb1EES1F_EEDaS1A_S1B_EUlS1A_E_NS1_11comp_targetILNS1_3genE5ELNS1_11target_archE942ELNS1_3gpuE9ELNS1_3repE0EEENS1_30default_config_static_selectorELNS0_4arch9wavefront6targetE0EEEvT1_,comdat
	.protected	_ZN7rocprim17ROCPRIM_400000_NS6detail17trampoline_kernelINS0_14default_configENS1_25partition_config_selectorILNS1_17partition_subalgoE5EdNS0_10empty_typeEbEEZZNS1_14partition_implILS5_5ELb0ES3_mN6thrust23THRUST_200600_302600_NS6detail15normal_iteratorINSA_10device_ptrIdEEEEPS6_NSA_18transform_iteratorINSB_9not_fun_tI7is_trueIdEEENSC_INSD_IbEEEENSA_11use_defaultESO_EENS0_5tupleIJNSA_16discard_iteratorISO_EES6_EEENSQ_IJSG_SG_EEES6_PlJS6_EEE10hipError_tPvRmT3_T4_T5_T6_T7_T9_mT8_P12ihipStream_tbDpT10_ENKUlT_T0_E_clISt17integral_constantIbLb1EES1F_EEDaS1A_S1B_EUlS1A_E_NS1_11comp_targetILNS1_3genE5ELNS1_11target_archE942ELNS1_3gpuE9ELNS1_3repE0EEENS1_30default_config_static_selectorELNS0_4arch9wavefront6targetE0EEEvT1_ ; -- Begin function _ZN7rocprim17ROCPRIM_400000_NS6detail17trampoline_kernelINS0_14default_configENS1_25partition_config_selectorILNS1_17partition_subalgoE5EdNS0_10empty_typeEbEEZZNS1_14partition_implILS5_5ELb0ES3_mN6thrust23THRUST_200600_302600_NS6detail15normal_iteratorINSA_10device_ptrIdEEEEPS6_NSA_18transform_iteratorINSB_9not_fun_tI7is_trueIdEEENSC_INSD_IbEEEENSA_11use_defaultESO_EENS0_5tupleIJNSA_16discard_iteratorISO_EES6_EEENSQ_IJSG_SG_EEES6_PlJS6_EEE10hipError_tPvRmT3_T4_T5_T6_T7_T9_mT8_P12ihipStream_tbDpT10_ENKUlT_T0_E_clISt17integral_constantIbLb1EES1F_EEDaS1A_S1B_EUlS1A_E_NS1_11comp_targetILNS1_3genE5ELNS1_11target_archE942ELNS1_3gpuE9ELNS1_3repE0EEENS1_30default_config_static_selectorELNS0_4arch9wavefront6targetE0EEEvT1_
	.globl	_ZN7rocprim17ROCPRIM_400000_NS6detail17trampoline_kernelINS0_14default_configENS1_25partition_config_selectorILNS1_17partition_subalgoE5EdNS0_10empty_typeEbEEZZNS1_14partition_implILS5_5ELb0ES3_mN6thrust23THRUST_200600_302600_NS6detail15normal_iteratorINSA_10device_ptrIdEEEEPS6_NSA_18transform_iteratorINSB_9not_fun_tI7is_trueIdEEENSC_INSD_IbEEEENSA_11use_defaultESO_EENS0_5tupleIJNSA_16discard_iteratorISO_EES6_EEENSQ_IJSG_SG_EEES6_PlJS6_EEE10hipError_tPvRmT3_T4_T5_T6_T7_T9_mT8_P12ihipStream_tbDpT10_ENKUlT_T0_E_clISt17integral_constantIbLb1EES1F_EEDaS1A_S1B_EUlS1A_E_NS1_11comp_targetILNS1_3genE5ELNS1_11target_archE942ELNS1_3gpuE9ELNS1_3repE0EEENS1_30default_config_static_selectorELNS0_4arch9wavefront6targetE0EEEvT1_
	.p2align	8
	.type	_ZN7rocprim17ROCPRIM_400000_NS6detail17trampoline_kernelINS0_14default_configENS1_25partition_config_selectorILNS1_17partition_subalgoE5EdNS0_10empty_typeEbEEZZNS1_14partition_implILS5_5ELb0ES3_mN6thrust23THRUST_200600_302600_NS6detail15normal_iteratorINSA_10device_ptrIdEEEEPS6_NSA_18transform_iteratorINSB_9not_fun_tI7is_trueIdEEENSC_INSD_IbEEEENSA_11use_defaultESO_EENS0_5tupleIJNSA_16discard_iteratorISO_EES6_EEENSQ_IJSG_SG_EEES6_PlJS6_EEE10hipError_tPvRmT3_T4_T5_T6_T7_T9_mT8_P12ihipStream_tbDpT10_ENKUlT_T0_E_clISt17integral_constantIbLb1EES1F_EEDaS1A_S1B_EUlS1A_E_NS1_11comp_targetILNS1_3genE5ELNS1_11target_archE942ELNS1_3gpuE9ELNS1_3repE0EEENS1_30default_config_static_selectorELNS0_4arch9wavefront6targetE0EEEvT1_,@function
_ZN7rocprim17ROCPRIM_400000_NS6detail17trampoline_kernelINS0_14default_configENS1_25partition_config_selectorILNS1_17partition_subalgoE5EdNS0_10empty_typeEbEEZZNS1_14partition_implILS5_5ELb0ES3_mN6thrust23THRUST_200600_302600_NS6detail15normal_iteratorINSA_10device_ptrIdEEEEPS6_NSA_18transform_iteratorINSB_9not_fun_tI7is_trueIdEEENSC_INSD_IbEEEENSA_11use_defaultESO_EENS0_5tupleIJNSA_16discard_iteratorISO_EES6_EEENSQ_IJSG_SG_EEES6_PlJS6_EEE10hipError_tPvRmT3_T4_T5_T6_T7_T9_mT8_P12ihipStream_tbDpT10_ENKUlT_T0_E_clISt17integral_constantIbLb1EES1F_EEDaS1A_S1B_EUlS1A_E_NS1_11comp_targetILNS1_3genE5ELNS1_11target_archE942ELNS1_3gpuE9ELNS1_3repE0EEENS1_30default_config_static_selectorELNS0_4arch9wavefront6targetE0EEEvT1_: ; @_ZN7rocprim17ROCPRIM_400000_NS6detail17trampoline_kernelINS0_14default_configENS1_25partition_config_selectorILNS1_17partition_subalgoE5EdNS0_10empty_typeEbEEZZNS1_14partition_implILS5_5ELb0ES3_mN6thrust23THRUST_200600_302600_NS6detail15normal_iteratorINSA_10device_ptrIdEEEEPS6_NSA_18transform_iteratorINSB_9not_fun_tI7is_trueIdEEENSC_INSD_IbEEEENSA_11use_defaultESO_EENS0_5tupleIJNSA_16discard_iteratorISO_EES6_EEENSQ_IJSG_SG_EEES6_PlJS6_EEE10hipError_tPvRmT3_T4_T5_T6_T7_T9_mT8_P12ihipStream_tbDpT10_ENKUlT_T0_E_clISt17integral_constantIbLb1EES1F_EEDaS1A_S1B_EUlS1A_E_NS1_11comp_targetILNS1_3genE5ELNS1_11target_archE942ELNS1_3gpuE9ELNS1_3repE0EEENS1_30default_config_static_selectorELNS0_4arch9wavefront6targetE0EEEvT1_
; %bb.0:
	.section	.rodata,"a",@progbits
	.p2align	6, 0x0
	.amdhsa_kernel _ZN7rocprim17ROCPRIM_400000_NS6detail17trampoline_kernelINS0_14default_configENS1_25partition_config_selectorILNS1_17partition_subalgoE5EdNS0_10empty_typeEbEEZZNS1_14partition_implILS5_5ELb0ES3_mN6thrust23THRUST_200600_302600_NS6detail15normal_iteratorINSA_10device_ptrIdEEEEPS6_NSA_18transform_iteratorINSB_9not_fun_tI7is_trueIdEEENSC_INSD_IbEEEENSA_11use_defaultESO_EENS0_5tupleIJNSA_16discard_iteratorISO_EES6_EEENSQ_IJSG_SG_EEES6_PlJS6_EEE10hipError_tPvRmT3_T4_T5_T6_T7_T9_mT8_P12ihipStream_tbDpT10_ENKUlT_T0_E_clISt17integral_constantIbLb1EES1F_EEDaS1A_S1B_EUlS1A_E_NS1_11comp_targetILNS1_3genE5ELNS1_11target_archE942ELNS1_3gpuE9ELNS1_3repE0EEENS1_30default_config_static_selectorELNS0_4arch9wavefront6targetE0EEEvT1_
		.amdhsa_group_segment_fixed_size 0
		.amdhsa_private_segment_fixed_size 0
		.amdhsa_kernarg_size 144
		.amdhsa_user_sgpr_count 2
		.amdhsa_user_sgpr_dispatch_ptr 0
		.amdhsa_user_sgpr_queue_ptr 0
		.amdhsa_user_sgpr_kernarg_segment_ptr 1
		.amdhsa_user_sgpr_dispatch_id 0
		.amdhsa_user_sgpr_private_segment_size 0
		.amdhsa_wavefront_size32 1
		.amdhsa_uses_dynamic_stack 0
		.amdhsa_enable_private_segment 0
		.amdhsa_system_sgpr_workgroup_id_x 1
		.amdhsa_system_sgpr_workgroup_id_y 0
		.amdhsa_system_sgpr_workgroup_id_z 0
		.amdhsa_system_sgpr_workgroup_info 0
		.amdhsa_system_vgpr_workitem_id 0
		.amdhsa_next_free_vgpr 1
		.amdhsa_next_free_sgpr 1
		.amdhsa_reserve_vcc 0
		.amdhsa_float_round_mode_32 0
		.amdhsa_float_round_mode_16_64 0
		.amdhsa_float_denorm_mode_32 3
		.amdhsa_float_denorm_mode_16_64 3
		.amdhsa_fp16_overflow 0
		.amdhsa_workgroup_processor_mode 1
		.amdhsa_memory_ordered 1
		.amdhsa_forward_progress 1
		.amdhsa_inst_pref_size 0
		.amdhsa_round_robin_scheduling 0
		.amdhsa_exception_fp_ieee_invalid_op 0
		.amdhsa_exception_fp_denorm_src 0
		.amdhsa_exception_fp_ieee_div_zero 0
		.amdhsa_exception_fp_ieee_overflow 0
		.amdhsa_exception_fp_ieee_underflow 0
		.amdhsa_exception_fp_ieee_inexact 0
		.amdhsa_exception_int_div_zero 0
	.end_amdhsa_kernel
	.section	.text._ZN7rocprim17ROCPRIM_400000_NS6detail17trampoline_kernelINS0_14default_configENS1_25partition_config_selectorILNS1_17partition_subalgoE5EdNS0_10empty_typeEbEEZZNS1_14partition_implILS5_5ELb0ES3_mN6thrust23THRUST_200600_302600_NS6detail15normal_iteratorINSA_10device_ptrIdEEEEPS6_NSA_18transform_iteratorINSB_9not_fun_tI7is_trueIdEEENSC_INSD_IbEEEENSA_11use_defaultESO_EENS0_5tupleIJNSA_16discard_iteratorISO_EES6_EEENSQ_IJSG_SG_EEES6_PlJS6_EEE10hipError_tPvRmT3_T4_T5_T6_T7_T9_mT8_P12ihipStream_tbDpT10_ENKUlT_T0_E_clISt17integral_constantIbLb1EES1F_EEDaS1A_S1B_EUlS1A_E_NS1_11comp_targetILNS1_3genE5ELNS1_11target_archE942ELNS1_3gpuE9ELNS1_3repE0EEENS1_30default_config_static_selectorELNS0_4arch9wavefront6targetE0EEEvT1_,"axG",@progbits,_ZN7rocprim17ROCPRIM_400000_NS6detail17trampoline_kernelINS0_14default_configENS1_25partition_config_selectorILNS1_17partition_subalgoE5EdNS0_10empty_typeEbEEZZNS1_14partition_implILS5_5ELb0ES3_mN6thrust23THRUST_200600_302600_NS6detail15normal_iteratorINSA_10device_ptrIdEEEEPS6_NSA_18transform_iteratorINSB_9not_fun_tI7is_trueIdEEENSC_INSD_IbEEEENSA_11use_defaultESO_EENS0_5tupleIJNSA_16discard_iteratorISO_EES6_EEENSQ_IJSG_SG_EEES6_PlJS6_EEE10hipError_tPvRmT3_T4_T5_T6_T7_T9_mT8_P12ihipStream_tbDpT10_ENKUlT_T0_E_clISt17integral_constantIbLb1EES1F_EEDaS1A_S1B_EUlS1A_E_NS1_11comp_targetILNS1_3genE5ELNS1_11target_archE942ELNS1_3gpuE9ELNS1_3repE0EEENS1_30default_config_static_selectorELNS0_4arch9wavefront6targetE0EEEvT1_,comdat
.Lfunc_end2598:
	.size	_ZN7rocprim17ROCPRIM_400000_NS6detail17trampoline_kernelINS0_14default_configENS1_25partition_config_selectorILNS1_17partition_subalgoE5EdNS0_10empty_typeEbEEZZNS1_14partition_implILS5_5ELb0ES3_mN6thrust23THRUST_200600_302600_NS6detail15normal_iteratorINSA_10device_ptrIdEEEEPS6_NSA_18transform_iteratorINSB_9not_fun_tI7is_trueIdEEENSC_INSD_IbEEEENSA_11use_defaultESO_EENS0_5tupleIJNSA_16discard_iteratorISO_EES6_EEENSQ_IJSG_SG_EEES6_PlJS6_EEE10hipError_tPvRmT3_T4_T5_T6_T7_T9_mT8_P12ihipStream_tbDpT10_ENKUlT_T0_E_clISt17integral_constantIbLb1EES1F_EEDaS1A_S1B_EUlS1A_E_NS1_11comp_targetILNS1_3genE5ELNS1_11target_archE942ELNS1_3gpuE9ELNS1_3repE0EEENS1_30default_config_static_selectorELNS0_4arch9wavefront6targetE0EEEvT1_, .Lfunc_end2598-_ZN7rocprim17ROCPRIM_400000_NS6detail17trampoline_kernelINS0_14default_configENS1_25partition_config_selectorILNS1_17partition_subalgoE5EdNS0_10empty_typeEbEEZZNS1_14partition_implILS5_5ELb0ES3_mN6thrust23THRUST_200600_302600_NS6detail15normal_iteratorINSA_10device_ptrIdEEEEPS6_NSA_18transform_iteratorINSB_9not_fun_tI7is_trueIdEEENSC_INSD_IbEEEENSA_11use_defaultESO_EENS0_5tupleIJNSA_16discard_iteratorISO_EES6_EEENSQ_IJSG_SG_EEES6_PlJS6_EEE10hipError_tPvRmT3_T4_T5_T6_T7_T9_mT8_P12ihipStream_tbDpT10_ENKUlT_T0_E_clISt17integral_constantIbLb1EES1F_EEDaS1A_S1B_EUlS1A_E_NS1_11comp_targetILNS1_3genE5ELNS1_11target_archE942ELNS1_3gpuE9ELNS1_3repE0EEENS1_30default_config_static_selectorELNS0_4arch9wavefront6targetE0EEEvT1_
                                        ; -- End function
	.set _ZN7rocprim17ROCPRIM_400000_NS6detail17trampoline_kernelINS0_14default_configENS1_25partition_config_selectorILNS1_17partition_subalgoE5EdNS0_10empty_typeEbEEZZNS1_14partition_implILS5_5ELb0ES3_mN6thrust23THRUST_200600_302600_NS6detail15normal_iteratorINSA_10device_ptrIdEEEEPS6_NSA_18transform_iteratorINSB_9not_fun_tI7is_trueIdEEENSC_INSD_IbEEEENSA_11use_defaultESO_EENS0_5tupleIJNSA_16discard_iteratorISO_EES6_EEENSQ_IJSG_SG_EEES6_PlJS6_EEE10hipError_tPvRmT3_T4_T5_T6_T7_T9_mT8_P12ihipStream_tbDpT10_ENKUlT_T0_E_clISt17integral_constantIbLb1EES1F_EEDaS1A_S1B_EUlS1A_E_NS1_11comp_targetILNS1_3genE5ELNS1_11target_archE942ELNS1_3gpuE9ELNS1_3repE0EEENS1_30default_config_static_selectorELNS0_4arch9wavefront6targetE0EEEvT1_.num_vgpr, 0
	.set _ZN7rocprim17ROCPRIM_400000_NS6detail17trampoline_kernelINS0_14default_configENS1_25partition_config_selectorILNS1_17partition_subalgoE5EdNS0_10empty_typeEbEEZZNS1_14partition_implILS5_5ELb0ES3_mN6thrust23THRUST_200600_302600_NS6detail15normal_iteratorINSA_10device_ptrIdEEEEPS6_NSA_18transform_iteratorINSB_9not_fun_tI7is_trueIdEEENSC_INSD_IbEEEENSA_11use_defaultESO_EENS0_5tupleIJNSA_16discard_iteratorISO_EES6_EEENSQ_IJSG_SG_EEES6_PlJS6_EEE10hipError_tPvRmT3_T4_T5_T6_T7_T9_mT8_P12ihipStream_tbDpT10_ENKUlT_T0_E_clISt17integral_constantIbLb1EES1F_EEDaS1A_S1B_EUlS1A_E_NS1_11comp_targetILNS1_3genE5ELNS1_11target_archE942ELNS1_3gpuE9ELNS1_3repE0EEENS1_30default_config_static_selectorELNS0_4arch9wavefront6targetE0EEEvT1_.num_agpr, 0
	.set _ZN7rocprim17ROCPRIM_400000_NS6detail17trampoline_kernelINS0_14default_configENS1_25partition_config_selectorILNS1_17partition_subalgoE5EdNS0_10empty_typeEbEEZZNS1_14partition_implILS5_5ELb0ES3_mN6thrust23THRUST_200600_302600_NS6detail15normal_iteratorINSA_10device_ptrIdEEEEPS6_NSA_18transform_iteratorINSB_9not_fun_tI7is_trueIdEEENSC_INSD_IbEEEENSA_11use_defaultESO_EENS0_5tupleIJNSA_16discard_iteratorISO_EES6_EEENSQ_IJSG_SG_EEES6_PlJS6_EEE10hipError_tPvRmT3_T4_T5_T6_T7_T9_mT8_P12ihipStream_tbDpT10_ENKUlT_T0_E_clISt17integral_constantIbLb1EES1F_EEDaS1A_S1B_EUlS1A_E_NS1_11comp_targetILNS1_3genE5ELNS1_11target_archE942ELNS1_3gpuE9ELNS1_3repE0EEENS1_30default_config_static_selectorELNS0_4arch9wavefront6targetE0EEEvT1_.numbered_sgpr, 0
	.set _ZN7rocprim17ROCPRIM_400000_NS6detail17trampoline_kernelINS0_14default_configENS1_25partition_config_selectorILNS1_17partition_subalgoE5EdNS0_10empty_typeEbEEZZNS1_14partition_implILS5_5ELb0ES3_mN6thrust23THRUST_200600_302600_NS6detail15normal_iteratorINSA_10device_ptrIdEEEEPS6_NSA_18transform_iteratorINSB_9not_fun_tI7is_trueIdEEENSC_INSD_IbEEEENSA_11use_defaultESO_EENS0_5tupleIJNSA_16discard_iteratorISO_EES6_EEENSQ_IJSG_SG_EEES6_PlJS6_EEE10hipError_tPvRmT3_T4_T5_T6_T7_T9_mT8_P12ihipStream_tbDpT10_ENKUlT_T0_E_clISt17integral_constantIbLb1EES1F_EEDaS1A_S1B_EUlS1A_E_NS1_11comp_targetILNS1_3genE5ELNS1_11target_archE942ELNS1_3gpuE9ELNS1_3repE0EEENS1_30default_config_static_selectorELNS0_4arch9wavefront6targetE0EEEvT1_.num_named_barrier, 0
	.set _ZN7rocprim17ROCPRIM_400000_NS6detail17trampoline_kernelINS0_14default_configENS1_25partition_config_selectorILNS1_17partition_subalgoE5EdNS0_10empty_typeEbEEZZNS1_14partition_implILS5_5ELb0ES3_mN6thrust23THRUST_200600_302600_NS6detail15normal_iteratorINSA_10device_ptrIdEEEEPS6_NSA_18transform_iteratorINSB_9not_fun_tI7is_trueIdEEENSC_INSD_IbEEEENSA_11use_defaultESO_EENS0_5tupleIJNSA_16discard_iteratorISO_EES6_EEENSQ_IJSG_SG_EEES6_PlJS6_EEE10hipError_tPvRmT3_T4_T5_T6_T7_T9_mT8_P12ihipStream_tbDpT10_ENKUlT_T0_E_clISt17integral_constantIbLb1EES1F_EEDaS1A_S1B_EUlS1A_E_NS1_11comp_targetILNS1_3genE5ELNS1_11target_archE942ELNS1_3gpuE9ELNS1_3repE0EEENS1_30default_config_static_selectorELNS0_4arch9wavefront6targetE0EEEvT1_.private_seg_size, 0
	.set _ZN7rocprim17ROCPRIM_400000_NS6detail17trampoline_kernelINS0_14default_configENS1_25partition_config_selectorILNS1_17partition_subalgoE5EdNS0_10empty_typeEbEEZZNS1_14partition_implILS5_5ELb0ES3_mN6thrust23THRUST_200600_302600_NS6detail15normal_iteratorINSA_10device_ptrIdEEEEPS6_NSA_18transform_iteratorINSB_9not_fun_tI7is_trueIdEEENSC_INSD_IbEEEENSA_11use_defaultESO_EENS0_5tupleIJNSA_16discard_iteratorISO_EES6_EEENSQ_IJSG_SG_EEES6_PlJS6_EEE10hipError_tPvRmT3_T4_T5_T6_T7_T9_mT8_P12ihipStream_tbDpT10_ENKUlT_T0_E_clISt17integral_constantIbLb1EES1F_EEDaS1A_S1B_EUlS1A_E_NS1_11comp_targetILNS1_3genE5ELNS1_11target_archE942ELNS1_3gpuE9ELNS1_3repE0EEENS1_30default_config_static_selectorELNS0_4arch9wavefront6targetE0EEEvT1_.uses_vcc, 0
	.set _ZN7rocprim17ROCPRIM_400000_NS6detail17trampoline_kernelINS0_14default_configENS1_25partition_config_selectorILNS1_17partition_subalgoE5EdNS0_10empty_typeEbEEZZNS1_14partition_implILS5_5ELb0ES3_mN6thrust23THRUST_200600_302600_NS6detail15normal_iteratorINSA_10device_ptrIdEEEEPS6_NSA_18transform_iteratorINSB_9not_fun_tI7is_trueIdEEENSC_INSD_IbEEEENSA_11use_defaultESO_EENS0_5tupleIJNSA_16discard_iteratorISO_EES6_EEENSQ_IJSG_SG_EEES6_PlJS6_EEE10hipError_tPvRmT3_T4_T5_T6_T7_T9_mT8_P12ihipStream_tbDpT10_ENKUlT_T0_E_clISt17integral_constantIbLb1EES1F_EEDaS1A_S1B_EUlS1A_E_NS1_11comp_targetILNS1_3genE5ELNS1_11target_archE942ELNS1_3gpuE9ELNS1_3repE0EEENS1_30default_config_static_selectorELNS0_4arch9wavefront6targetE0EEEvT1_.uses_flat_scratch, 0
	.set _ZN7rocprim17ROCPRIM_400000_NS6detail17trampoline_kernelINS0_14default_configENS1_25partition_config_selectorILNS1_17partition_subalgoE5EdNS0_10empty_typeEbEEZZNS1_14partition_implILS5_5ELb0ES3_mN6thrust23THRUST_200600_302600_NS6detail15normal_iteratorINSA_10device_ptrIdEEEEPS6_NSA_18transform_iteratorINSB_9not_fun_tI7is_trueIdEEENSC_INSD_IbEEEENSA_11use_defaultESO_EENS0_5tupleIJNSA_16discard_iteratorISO_EES6_EEENSQ_IJSG_SG_EEES6_PlJS6_EEE10hipError_tPvRmT3_T4_T5_T6_T7_T9_mT8_P12ihipStream_tbDpT10_ENKUlT_T0_E_clISt17integral_constantIbLb1EES1F_EEDaS1A_S1B_EUlS1A_E_NS1_11comp_targetILNS1_3genE5ELNS1_11target_archE942ELNS1_3gpuE9ELNS1_3repE0EEENS1_30default_config_static_selectorELNS0_4arch9wavefront6targetE0EEEvT1_.has_dyn_sized_stack, 0
	.set _ZN7rocprim17ROCPRIM_400000_NS6detail17trampoline_kernelINS0_14default_configENS1_25partition_config_selectorILNS1_17partition_subalgoE5EdNS0_10empty_typeEbEEZZNS1_14partition_implILS5_5ELb0ES3_mN6thrust23THRUST_200600_302600_NS6detail15normal_iteratorINSA_10device_ptrIdEEEEPS6_NSA_18transform_iteratorINSB_9not_fun_tI7is_trueIdEEENSC_INSD_IbEEEENSA_11use_defaultESO_EENS0_5tupleIJNSA_16discard_iteratorISO_EES6_EEENSQ_IJSG_SG_EEES6_PlJS6_EEE10hipError_tPvRmT3_T4_T5_T6_T7_T9_mT8_P12ihipStream_tbDpT10_ENKUlT_T0_E_clISt17integral_constantIbLb1EES1F_EEDaS1A_S1B_EUlS1A_E_NS1_11comp_targetILNS1_3genE5ELNS1_11target_archE942ELNS1_3gpuE9ELNS1_3repE0EEENS1_30default_config_static_selectorELNS0_4arch9wavefront6targetE0EEEvT1_.has_recursion, 0
	.set _ZN7rocprim17ROCPRIM_400000_NS6detail17trampoline_kernelINS0_14default_configENS1_25partition_config_selectorILNS1_17partition_subalgoE5EdNS0_10empty_typeEbEEZZNS1_14partition_implILS5_5ELb0ES3_mN6thrust23THRUST_200600_302600_NS6detail15normal_iteratorINSA_10device_ptrIdEEEEPS6_NSA_18transform_iteratorINSB_9not_fun_tI7is_trueIdEEENSC_INSD_IbEEEENSA_11use_defaultESO_EENS0_5tupleIJNSA_16discard_iteratorISO_EES6_EEENSQ_IJSG_SG_EEES6_PlJS6_EEE10hipError_tPvRmT3_T4_T5_T6_T7_T9_mT8_P12ihipStream_tbDpT10_ENKUlT_T0_E_clISt17integral_constantIbLb1EES1F_EEDaS1A_S1B_EUlS1A_E_NS1_11comp_targetILNS1_3genE5ELNS1_11target_archE942ELNS1_3gpuE9ELNS1_3repE0EEENS1_30default_config_static_selectorELNS0_4arch9wavefront6targetE0EEEvT1_.has_indirect_call, 0
	.section	.AMDGPU.csdata,"",@progbits
; Kernel info:
; codeLenInByte = 0
; TotalNumSgprs: 0
; NumVgprs: 0
; ScratchSize: 0
; MemoryBound: 0
; FloatMode: 240
; IeeeMode: 1
; LDSByteSize: 0 bytes/workgroup (compile time only)
; SGPRBlocks: 0
; VGPRBlocks: 0
; NumSGPRsForWavesPerEU: 1
; NumVGPRsForWavesPerEU: 1
; Occupancy: 16
; WaveLimiterHint : 0
; COMPUTE_PGM_RSRC2:SCRATCH_EN: 0
; COMPUTE_PGM_RSRC2:USER_SGPR: 2
; COMPUTE_PGM_RSRC2:TRAP_HANDLER: 0
; COMPUTE_PGM_RSRC2:TGID_X_EN: 1
; COMPUTE_PGM_RSRC2:TGID_Y_EN: 0
; COMPUTE_PGM_RSRC2:TGID_Z_EN: 0
; COMPUTE_PGM_RSRC2:TIDIG_COMP_CNT: 0
	.section	.text._ZN7rocprim17ROCPRIM_400000_NS6detail17trampoline_kernelINS0_14default_configENS1_25partition_config_selectorILNS1_17partition_subalgoE5EdNS0_10empty_typeEbEEZZNS1_14partition_implILS5_5ELb0ES3_mN6thrust23THRUST_200600_302600_NS6detail15normal_iteratorINSA_10device_ptrIdEEEEPS6_NSA_18transform_iteratorINSB_9not_fun_tI7is_trueIdEEENSC_INSD_IbEEEENSA_11use_defaultESO_EENS0_5tupleIJNSA_16discard_iteratorISO_EES6_EEENSQ_IJSG_SG_EEES6_PlJS6_EEE10hipError_tPvRmT3_T4_T5_T6_T7_T9_mT8_P12ihipStream_tbDpT10_ENKUlT_T0_E_clISt17integral_constantIbLb1EES1F_EEDaS1A_S1B_EUlS1A_E_NS1_11comp_targetILNS1_3genE4ELNS1_11target_archE910ELNS1_3gpuE8ELNS1_3repE0EEENS1_30default_config_static_selectorELNS0_4arch9wavefront6targetE0EEEvT1_,"axG",@progbits,_ZN7rocprim17ROCPRIM_400000_NS6detail17trampoline_kernelINS0_14default_configENS1_25partition_config_selectorILNS1_17partition_subalgoE5EdNS0_10empty_typeEbEEZZNS1_14partition_implILS5_5ELb0ES3_mN6thrust23THRUST_200600_302600_NS6detail15normal_iteratorINSA_10device_ptrIdEEEEPS6_NSA_18transform_iteratorINSB_9not_fun_tI7is_trueIdEEENSC_INSD_IbEEEENSA_11use_defaultESO_EENS0_5tupleIJNSA_16discard_iteratorISO_EES6_EEENSQ_IJSG_SG_EEES6_PlJS6_EEE10hipError_tPvRmT3_T4_T5_T6_T7_T9_mT8_P12ihipStream_tbDpT10_ENKUlT_T0_E_clISt17integral_constantIbLb1EES1F_EEDaS1A_S1B_EUlS1A_E_NS1_11comp_targetILNS1_3genE4ELNS1_11target_archE910ELNS1_3gpuE8ELNS1_3repE0EEENS1_30default_config_static_selectorELNS0_4arch9wavefront6targetE0EEEvT1_,comdat
	.protected	_ZN7rocprim17ROCPRIM_400000_NS6detail17trampoline_kernelINS0_14default_configENS1_25partition_config_selectorILNS1_17partition_subalgoE5EdNS0_10empty_typeEbEEZZNS1_14partition_implILS5_5ELb0ES3_mN6thrust23THRUST_200600_302600_NS6detail15normal_iteratorINSA_10device_ptrIdEEEEPS6_NSA_18transform_iteratorINSB_9not_fun_tI7is_trueIdEEENSC_INSD_IbEEEENSA_11use_defaultESO_EENS0_5tupleIJNSA_16discard_iteratorISO_EES6_EEENSQ_IJSG_SG_EEES6_PlJS6_EEE10hipError_tPvRmT3_T4_T5_T6_T7_T9_mT8_P12ihipStream_tbDpT10_ENKUlT_T0_E_clISt17integral_constantIbLb1EES1F_EEDaS1A_S1B_EUlS1A_E_NS1_11comp_targetILNS1_3genE4ELNS1_11target_archE910ELNS1_3gpuE8ELNS1_3repE0EEENS1_30default_config_static_selectorELNS0_4arch9wavefront6targetE0EEEvT1_ ; -- Begin function _ZN7rocprim17ROCPRIM_400000_NS6detail17trampoline_kernelINS0_14default_configENS1_25partition_config_selectorILNS1_17partition_subalgoE5EdNS0_10empty_typeEbEEZZNS1_14partition_implILS5_5ELb0ES3_mN6thrust23THRUST_200600_302600_NS6detail15normal_iteratorINSA_10device_ptrIdEEEEPS6_NSA_18transform_iteratorINSB_9not_fun_tI7is_trueIdEEENSC_INSD_IbEEEENSA_11use_defaultESO_EENS0_5tupleIJNSA_16discard_iteratorISO_EES6_EEENSQ_IJSG_SG_EEES6_PlJS6_EEE10hipError_tPvRmT3_T4_T5_T6_T7_T9_mT8_P12ihipStream_tbDpT10_ENKUlT_T0_E_clISt17integral_constantIbLb1EES1F_EEDaS1A_S1B_EUlS1A_E_NS1_11comp_targetILNS1_3genE4ELNS1_11target_archE910ELNS1_3gpuE8ELNS1_3repE0EEENS1_30default_config_static_selectorELNS0_4arch9wavefront6targetE0EEEvT1_
	.globl	_ZN7rocprim17ROCPRIM_400000_NS6detail17trampoline_kernelINS0_14default_configENS1_25partition_config_selectorILNS1_17partition_subalgoE5EdNS0_10empty_typeEbEEZZNS1_14partition_implILS5_5ELb0ES3_mN6thrust23THRUST_200600_302600_NS6detail15normal_iteratorINSA_10device_ptrIdEEEEPS6_NSA_18transform_iteratorINSB_9not_fun_tI7is_trueIdEEENSC_INSD_IbEEEENSA_11use_defaultESO_EENS0_5tupleIJNSA_16discard_iteratorISO_EES6_EEENSQ_IJSG_SG_EEES6_PlJS6_EEE10hipError_tPvRmT3_T4_T5_T6_T7_T9_mT8_P12ihipStream_tbDpT10_ENKUlT_T0_E_clISt17integral_constantIbLb1EES1F_EEDaS1A_S1B_EUlS1A_E_NS1_11comp_targetILNS1_3genE4ELNS1_11target_archE910ELNS1_3gpuE8ELNS1_3repE0EEENS1_30default_config_static_selectorELNS0_4arch9wavefront6targetE0EEEvT1_
	.p2align	8
	.type	_ZN7rocprim17ROCPRIM_400000_NS6detail17trampoline_kernelINS0_14default_configENS1_25partition_config_selectorILNS1_17partition_subalgoE5EdNS0_10empty_typeEbEEZZNS1_14partition_implILS5_5ELb0ES3_mN6thrust23THRUST_200600_302600_NS6detail15normal_iteratorINSA_10device_ptrIdEEEEPS6_NSA_18transform_iteratorINSB_9not_fun_tI7is_trueIdEEENSC_INSD_IbEEEENSA_11use_defaultESO_EENS0_5tupleIJNSA_16discard_iteratorISO_EES6_EEENSQ_IJSG_SG_EEES6_PlJS6_EEE10hipError_tPvRmT3_T4_T5_T6_T7_T9_mT8_P12ihipStream_tbDpT10_ENKUlT_T0_E_clISt17integral_constantIbLb1EES1F_EEDaS1A_S1B_EUlS1A_E_NS1_11comp_targetILNS1_3genE4ELNS1_11target_archE910ELNS1_3gpuE8ELNS1_3repE0EEENS1_30default_config_static_selectorELNS0_4arch9wavefront6targetE0EEEvT1_,@function
_ZN7rocprim17ROCPRIM_400000_NS6detail17trampoline_kernelINS0_14default_configENS1_25partition_config_selectorILNS1_17partition_subalgoE5EdNS0_10empty_typeEbEEZZNS1_14partition_implILS5_5ELb0ES3_mN6thrust23THRUST_200600_302600_NS6detail15normal_iteratorINSA_10device_ptrIdEEEEPS6_NSA_18transform_iteratorINSB_9not_fun_tI7is_trueIdEEENSC_INSD_IbEEEENSA_11use_defaultESO_EENS0_5tupleIJNSA_16discard_iteratorISO_EES6_EEENSQ_IJSG_SG_EEES6_PlJS6_EEE10hipError_tPvRmT3_T4_T5_T6_T7_T9_mT8_P12ihipStream_tbDpT10_ENKUlT_T0_E_clISt17integral_constantIbLb1EES1F_EEDaS1A_S1B_EUlS1A_E_NS1_11comp_targetILNS1_3genE4ELNS1_11target_archE910ELNS1_3gpuE8ELNS1_3repE0EEENS1_30default_config_static_selectorELNS0_4arch9wavefront6targetE0EEEvT1_: ; @_ZN7rocprim17ROCPRIM_400000_NS6detail17trampoline_kernelINS0_14default_configENS1_25partition_config_selectorILNS1_17partition_subalgoE5EdNS0_10empty_typeEbEEZZNS1_14partition_implILS5_5ELb0ES3_mN6thrust23THRUST_200600_302600_NS6detail15normal_iteratorINSA_10device_ptrIdEEEEPS6_NSA_18transform_iteratorINSB_9not_fun_tI7is_trueIdEEENSC_INSD_IbEEEENSA_11use_defaultESO_EENS0_5tupleIJNSA_16discard_iteratorISO_EES6_EEENSQ_IJSG_SG_EEES6_PlJS6_EEE10hipError_tPvRmT3_T4_T5_T6_T7_T9_mT8_P12ihipStream_tbDpT10_ENKUlT_T0_E_clISt17integral_constantIbLb1EES1F_EEDaS1A_S1B_EUlS1A_E_NS1_11comp_targetILNS1_3genE4ELNS1_11target_archE910ELNS1_3gpuE8ELNS1_3repE0EEENS1_30default_config_static_selectorELNS0_4arch9wavefront6targetE0EEEvT1_
; %bb.0:
	.section	.rodata,"a",@progbits
	.p2align	6, 0x0
	.amdhsa_kernel _ZN7rocprim17ROCPRIM_400000_NS6detail17trampoline_kernelINS0_14default_configENS1_25partition_config_selectorILNS1_17partition_subalgoE5EdNS0_10empty_typeEbEEZZNS1_14partition_implILS5_5ELb0ES3_mN6thrust23THRUST_200600_302600_NS6detail15normal_iteratorINSA_10device_ptrIdEEEEPS6_NSA_18transform_iteratorINSB_9not_fun_tI7is_trueIdEEENSC_INSD_IbEEEENSA_11use_defaultESO_EENS0_5tupleIJNSA_16discard_iteratorISO_EES6_EEENSQ_IJSG_SG_EEES6_PlJS6_EEE10hipError_tPvRmT3_T4_T5_T6_T7_T9_mT8_P12ihipStream_tbDpT10_ENKUlT_T0_E_clISt17integral_constantIbLb1EES1F_EEDaS1A_S1B_EUlS1A_E_NS1_11comp_targetILNS1_3genE4ELNS1_11target_archE910ELNS1_3gpuE8ELNS1_3repE0EEENS1_30default_config_static_selectorELNS0_4arch9wavefront6targetE0EEEvT1_
		.amdhsa_group_segment_fixed_size 0
		.amdhsa_private_segment_fixed_size 0
		.amdhsa_kernarg_size 144
		.amdhsa_user_sgpr_count 2
		.amdhsa_user_sgpr_dispatch_ptr 0
		.amdhsa_user_sgpr_queue_ptr 0
		.amdhsa_user_sgpr_kernarg_segment_ptr 1
		.amdhsa_user_sgpr_dispatch_id 0
		.amdhsa_user_sgpr_private_segment_size 0
		.amdhsa_wavefront_size32 1
		.amdhsa_uses_dynamic_stack 0
		.amdhsa_enable_private_segment 0
		.amdhsa_system_sgpr_workgroup_id_x 1
		.amdhsa_system_sgpr_workgroup_id_y 0
		.amdhsa_system_sgpr_workgroup_id_z 0
		.amdhsa_system_sgpr_workgroup_info 0
		.amdhsa_system_vgpr_workitem_id 0
		.amdhsa_next_free_vgpr 1
		.amdhsa_next_free_sgpr 1
		.amdhsa_reserve_vcc 0
		.amdhsa_float_round_mode_32 0
		.amdhsa_float_round_mode_16_64 0
		.amdhsa_float_denorm_mode_32 3
		.amdhsa_float_denorm_mode_16_64 3
		.amdhsa_fp16_overflow 0
		.amdhsa_workgroup_processor_mode 1
		.amdhsa_memory_ordered 1
		.amdhsa_forward_progress 1
		.amdhsa_inst_pref_size 0
		.amdhsa_round_robin_scheduling 0
		.amdhsa_exception_fp_ieee_invalid_op 0
		.amdhsa_exception_fp_denorm_src 0
		.amdhsa_exception_fp_ieee_div_zero 0
		.amdhsa_exception_fp_ieee_overflow 0
		.amdhsa_exception_fp_ieee_underflow 0
		.amdhsa_exception_fp_ieee_inexact 0
		.amdhsa_exception_int_div_zero 0
	.end_amdhsa_kernel
	.section	.text._ZN7rocprim17ROCPRIM_400000_NS6detail17trampoline_kernelINS0_14default_configENS1_25partition_config_selectorILNS1_17partition_subalgoE5EdNS0_10empty_typeEbEEZZNS1_14partition_implILS5_5ELb0ES3_mN6thrust23THRUST_200600_302600_NS6detail15normal_iteratorINSA_10device_ptrIdEEEEPS6_NSA_18transform_iteratorINSB_9not_fun_tI7is_trueIdEEENSC_INSD_IbEEEENSA_11use_defaultESO_EENS0_5tupleIJNSA_16discard_iteratorISO_EES6_EEENSQ_IJSG_SG_EEES6_PlJS6_EEE10hipError_tPvRmT3_T4_T5_T6_T7_T9_mT8_P12ihipStream_tbDpT10_ENKUlT_T0_E_clISt17integral_constantIbLb1EES1F_EEDaS1A_S1B_EUlS1A_E_NS1_11comp_targetILNS1_3genE4ELNS1_11target_archE910ELNS1_3gpuE8ELNS1_3repE0EEENS1_30default_config_static_selectorELNS0_4arch9wavefront6targetE0EEEvT1_,"axG",@progbits,_ZN7rocprim17ROCPRIM_400000_NS6detail17trampoline_kernelINS0_14default_configENS1_25partition_config_selectorILNS1_17partition_subalgoE5EdNS0_10empty_typeEbEEZZNS1_14partition_implILS5_5ELb0ES3_mN6thrust23THRUST_200600_302600_NS6detail15normal_iteratorINSA_10device_ptrIdEEEEPS6_NSA_18transform_iteratorINSB_9not_fun_tI7is_trueIdEEENSC_INSD_IbEEEENSA_11use_defaultESO_EENS0_5tupleIJNSA_16discard_iteratorISO_EES6_EEENSQ_IJSG_SG_EEES6_PlJS6_EEE10hipError_tPvRmT3_T4_T5_T6_T7_T9_mT8_P12ihipStream_tbDpT10_ENKUlT_T0_E_clISt17integral_constantIbLb1EES1F_EEDaS1A_S1B_EUlS1A_E_NS1_11comp_targetILNS1_3genE4ELNS1_11target_archE910ELNS1_3gpuE8ELNS1_3repE0EEENS1_30default_config_static_selectorELNS0_4arch9wavefront6targetE0EEEvT1_,comdat
.Lfunc_end2599:
	.size	_ZN7rocprim17ROCPRIM_400000_NS6detail17trampoline_kernelINS0_14default_configENS1_25partition_config_selectorILNS1_17partition_subalgoE5EdNS0_10empty_typeEbEEZZNS1_14partition_implILS5_5ELb0ES3_mN6thrust23THRUST_200600_302600_NS6detail15normal_iteratorINSA_10device_ptrIdEEEEPS6_NSA_18transform_iteratorINSB_9not_fun_tI7is_trueIdEEENSC_INSD_IbEEEENSA_11use_defaultESO_EENS0_5tupleIJNSA_16discard_iteratorISO_EES6_EEENSQ_IJSG_SG_EEES6_PlJS6_EEE10hipError_tPvRmT3_T4_T5_T6_T7_T9_mT8_P12ihipStream_tbDpT10_ENKUlT_T0_E_clISt17integral_constantIbLb1EES1F_EEDaS1A_S1B_EUlS1A_E_NS1_11comp_targetILNS1_3genE4ELNS1_11target_archE910ELNS1_3gpuE8ELNS1_3repE0EEENS1_30default_config_static_selectorELNS0_4arch9wavefront6targetE0EEEvT1_, .Lfunc_end2599-_ZN7rocprim17ROCPRIM_400000_NS6detail17trampoline_kernelINS0_14default_configENS1_25partition_config_selectorILNS1_17partition_subalgoE5EdNS0_10empty_typeEbEEZZNS1_14partition_implILS5_5ELb0ES3_mN6thrust23THRUST_200600_302600_NS6detail15normal_iteratorINSA_10device_ptrIdEEEEPS6_NSA_18transform_iteratorINSB_9not_fun_tI7is_trueIdEEENSC_INSD_IbEEEENSA_11use_defaultESO_EENS0_5tupleIJNSA_16discard_iteratorISO_EES6_EEENSQ_IJSG_SG_EEES6_PlJS6_EEE10hipError_tPvRmT3_T4_T5_T6_T7_T9_mT8_P12ihipStream_tbDpT10_ENKUlT_T0_E_clISt17integral_constantIbLb1EES1F_EEDaS1A_S1B_EUlS1A_E_NS1_11comp_targetILNS1_3genE4ELNS1_11target_archE910ELNS1_3gpuE8ELNS1_3repE0EEENS1_30default_config_static_selectorELNS0_4arch9wavefront6targetE0EEEvT1_
                                        ; -- End function
	.set _ZN7rocprim17ROCPRIM_400000_NS6detail17trampoline_kernelINS0_14default_configENS1_25partition_config_selectorILNS1_17partition_subalgoE5EdNS0_10empty_typeEbEEZZNS1_14partition_implILS5_5ELb0ES3_mN6thrust23THRUST_200600_302600_NS6detail15normal_iteratorINSA_10device_ptrIdEEEEPS6_NSA_18transform_iteratorINSB_9not_fun_tI7is_trueIdEEENSC_INSD_IbEEEENSA_11use_defaultESO_EENS0_5tupleIJNSA_16discard_iteratorISO_EES6_EEENSQ_IJSG_SG_EEES6_PlJS6_EEE10hipError_tPvRmT3_T4_T5_T6_T7_T9_mT8_P12ihipStream_tbDpT10_ENKUlT_T0_E_clISt17integral_constantIbLb1EES1F_EEDaS1A_S1B_EUlS1A_E_NS1_11comp_targetILNS1_3genE4ELNS1_11target_archE910ELNS1_3gpuE8ELNS1_3repE0EEENS1_30default_config_static_selectorELNS0_4arch9wavefront6targetE0EEEvT1_.num_vgpr, 0
	.set _ZN7rocprim17ROCPRIM_400000_NS6detail17trampoline_kernelINS0_14default_configENS1_25partition_config_selectorILNS1_17partition_subalgoE5EdNS0_10empty_typeEbEEZZNS1_14partition_implILS5_5ELb0ES3_mN6thrust23THRUST_200600_302600_NS6detail15normal_iteratorINSA_10device_ptrIdEEEEPS6_NSA_18transform_iteratorINSB_9not_fun_tI7is_trueIdEEENSC_INSD_IbEEEENSA_11use_defaultESO_EENS0_5tupleIJNSA_16discard_iteratorISO_EES6_EEENSQ_IJSG_SG_EEES6_PlJS6_EEE10hipError_tPvRmT3_T4_T5_T6_T7_T9_mT8_P12ihipStream_tbDpT10_ENKUlT_T0_E_clISt17integral_constantIbLb1EES1F_EEDaS1A_S1B_EUlS1A_E_NS1_11comp_targetILNS1_3genE4ELNS1_11target_archE910ELNS1_3gpuE8ELNS1_3repE0EEENS1_30default_config_static_selectorELNS0_4arch9wavefront6targetE0EEEvT1_.num_agpr, 0
	.set _ZN7rocprim17ROCPRIM_400000_NS6detail17trampoline_kernelINS0_14default_configENS1_25partition_config_selectorILNS1_17partition_subalgoE5EdNS0_10empty_typeEbEEZZNS1_14partition_implILS5_5ELb0ES3_mN6thrust23THRUST_200600_302600_NS6detail15normal_iteratorINSA_10device_ptrIdEEEEPS6_NSA_18transform_iteratorINSB_9not_fun_tI7is_trueIdEEENSC_INSD_IbEEEENSA_11use_defaultESO_EENS0_5tupleIJNSA_16discard_iteratorISO_EES6_EEENSQ_IJSG_SG_EEES6_PlJS6_EEE10hipError_tPvRmT3_T4_T5_T6_T7_T9_mT8_P12ihipStream_tbDpT10_ENKUlT_T0_E_clISt17integral_constantIbLb1EES1F_EEDaS1A_S1B_EUlS1A_E_NS1_11comp_targetILNS1_3genE4ELNS1_11target_archE910ELNS1_3gpuE8ELNS1_3repE0EEENS1_30default_config_static_selectorELNS0_4arch9wavefront6targetE0EEEvT1_.numbered_sgpr, 0
	.set _ZN7rocprim17ROCPRIM_400000_NS6detail17trampoline_kernelINS0_14default_configENS1_25partition_config_selectorILNS1_17partition_subalgoE5EdNS0_10empty_typeEbEEZZNS1_14partition_implILS5_5ELb0ES3_mN6thrust23THRUST_200600_302600_NS6detail15normal_iteratorINSA_10device_ptrIdEEEEPS6_NSA_18transform_iteratorINSB_9not_fun_tI7is_trueIdEEENSC_INSD_IbEEEENSA_11use_defaultESO_EENS0_5tupleIJNSA_16discard_iteratorISO_EES6_EEENSQ_IJSG_SG_EEES6_PlJS6_EEE10hipError_tPvRmT3_T4_T5_T6_T7_T9_mT8_P12ihipStream_tbDpT10_ENKUlT_T0_E_clISt17integral_constantIbLb1EES1F_EEDaS1A_S1B_EUlS1A_E_NS1_11comp_targetILNS1_3genE4ELNS1_11target_archE910ELNS1_3gpuE8ELNS1_3repE0EEENS1_30default_config_static_selectorELNS0_4arch9wavefront6targetE0EEEvT1_.num_named_barrier, 0
	.set _ZN7rocprim17ROCPRIM_400000_NS6detail17trampoline_kernelINS0_14default_configENS1_25partition_config_selectorILNS1_17partition_subalgoE5EdNS0_10empty_typeEbEEZZNS1_14partition_implILS5_5ELb0ES3_mN6thrust23THRUST_200600_302600_NS6detail15normal_iteratorINSA_10device_ptrIdEEEEPS6_NSA_18transform_iteratorINSB_9not_fun_tI7is_trueIdEEENSC_INSD_IbEEEENSA_11use_defaultESO_EENS0_5tupleIJNSA_16discard_iteratorISO_EES6_EEENSQ_IJSG_SG_EEES6_PlJS6_EEE10hipError_tPvRmT3_T4_T5_T6_T7_T9_mT8_P12ihipStream_tbDpT10_ENKUlT_T0_E_clISt17integral_constantIbLb1EES1F_EEDaS1A_S1B_EUlS1A_E_NS1_11comp_targetILNS1_3genE4ELNS1_11target_archE910ELNS1_3gpuE8ELNS1_3repE0EEENS1_30default_config_static_selectorELNS0_4arch9wavefront6targetE0EEEvT1_.private_seg_size, 0
	.set _ZN7rocprim17ROCPRIM_400000_NS6detail17trampoline_kernelINS0_14default_configENS1_25partition_config_selectorILNS1_17partition_subalgoE5EdNS0_10empty_typeEbEEZZNS1_14partition_implILS5_5ELb0ES3_mN6thrust23THRUST_200600_302600_NS6detail15normal_iteratorINSA_10device_ptrIdEEEEPS6_NSA_18transform_iteratorINSB_9not_fun_tI7is_trueIdEEENSC_INSD_IbEEEENSA_11use_defaultESO_EENS0_5tupleIJNSA_16discard_iteratorISO_EES6_EEENSQ_IJSG_SG_EEES6_PlJS6_EEE10hipError_tPvRmT3_T4_T5_T6_T7_T9_mT8_P12ihipStream_tbDpT10_ENKUlT_T0_E_clISt17integral_constantIbLb1EES1F_EEDaS1A_S1B_EUlS1A_E_NS1_11comp_targetILNS1_3genE4ELNS1_11target_archE910ELNS1_3gpuE8ELNS1_3repE0EEENS1_30default_config_static_selectorELNS0_4arch9wavefront6targetE0EEEvT1_.uses_vcc, 0
	.set _ZN7rocprim17ROCPRIM_400000_NS6detail17trampoline_kernelINS0_14default_configENS1_25partition_config_selectorILNS1_17partition_subalgoE5EdNS0_10empty_typeEbEEZZNS1_14partition_implILS5_5ELb0ES3_mN6thrust23THRUST_200600_302600_NS6detail15normal_iteratorINSA_10device_ptrIdEEEEPS6_NSA_18transform_iteratorINSB_9not_fun_tI7is_trueIdEEENSC_INSD_IbEEEENSA_11use_defaultESO_EENS0_5tupleIJNSA_16discard_iteratorISO_EES6_EEENSQ_IJSG_SG_EEES6_PlJS6_EEE10hipError_tPvRmT3_T4_T5_T6_T7_T9_mT8_P12ihipStream_tbDpT10_ENKUlT_T0_E_clISt17integral_constantIbLb1EES1F_EEDaS1A_S1B_EUlS1A_E_NS1_11comp_targetILNS1_3genE4ELNS1_11target_archE910ELNS1_3gpuE8ELNS1_3repE0EEENS1_30default_config_static_selectorELNS0_4arch9wavefront6targetE0EEEvT1_.uses_flat_scratch, 0
	.set _ZN7rocprim17ROCPRIM_400000_NS6detail17trampoline_kernelINS0_14default_configENS1_25partition_config_selectorILNS1_17partition_subalgoE5EdNS0_10empty_typeEbEEZZNS1_14partition_implILS5_5ELb0ES3_mN6thrust23THRUST_200600_302600_NS6detail15normal_iteratorINSA_10device_ptrIdEEEEPS6_NSA_18transform_iteratorINSB_9not_fun_tI7is_trueIdEEENSC_INSD_IbEEEENSA_11use_defaultESO_EENS0_5tupleIJNSA_16discard_iteratorISO_EES6_EEENSQ_IJSG_SG_EEES6_PlJS6_EEE10hipError_tPvRmT3_T4_T5_T6_T7_T9_mT8_P12ihipStream_tbDpT10_ENKUlT_T0_E_clISt17integral_constantIbLb1EES1F_EEDaS1A_S1B_EUlS1A_E_NS1_11comp_targetILNS1_3genE4ELNS1_11target_archE910ELNS1_3gpuE8ELNS1_3repE0EEENS1_30default_config_static_selectorELNS0_4arch9wavefront6targetE0EEEvT1_.has_dyn_sized_stack, 0
	.set _ZN7rocprim17ROCPRIM_400000_NS6detail17trampoline_kernelINS0_14default_configENS1_25partition_config_selectorILNS1_17partition_subalgoE5EdNS0_10empty_typeEbEEZZNS1_14partition_implILS5_5ELb0ES3_mN6thrust23THRUST_200600_302600_NS6detail15normal_iteratorINSA_10device_ptrIdEEEEPS6_NSA_18transform_iteratorINSB_9not_fun_tI7is_trueIdEEENSC_INSD_IbEEEENSA_11use_defaultESO_EENS0_5tupleIJNSA_16discard_iteratorISO_EES6_EEENSQ_IJSG_SG_EEES6_PlJS6_EEE10hipError_tPvRmT3_T4_T5_T6_T7_T9_mT8_P12ihipStream_tbDpT10_ENKUlT_T0_E_clISt17integral_constantIbLb1EES1F_EEDaS1A_S1B_EUlS1A_E_NS1_11comp_targetILNS1_3genE4ELNS1_11target_archE910ELNS1_3gpuE8ELNS1_3repE0EEENS1_30default_config_static_selectorELNS0_4arch9wavefront6targetE0EEEvT1_.has_recursion, 0
	.set _ZN7rocprim17ROCPRIM_400000_NS6detail17trampoline_kernelINS0_14default_configENS1_25partition_config_selectorILNS1_17partition_subalgoE5EdNS0_10empty_typeEbEEZZNS1_14partition_implILS5_5ELb0ES3_mN6thrust23THRUST_200600_302600_NS6detail15normal_iteratorINSA_10device_ptrIdEEEEPS6_NSA_18transform_iteratorINSB_9not_fun_tI7is_trueIdEEENSC_INSD_IbEEEENSA_11use_defaultESO_EENS0_5tupleIJNSA_16discard_iteratorISO_EES6_EEENSQ_IJSG_SG_EEES6_PlJS6_EEE10hipError_tPvRmT3_T4_T5_T6_T7_T9_mT8_P12ihipStream_tbDpT10_ENKUlT_T0_E_clISt17integral_constantIbLb1EES1F_EEDaS1A_S1B_EUlS1A_E_NS1_11comp_targetILNS1_3genE4ELNS1_11target_archE910ELNS1_3gpuE8ELNS1_3repE0EEENS1_30default_config_static_selectorELNS0_4arch9wavefront6targetE0EEEvT1_.has_indirect_call, 0
	.section	.AMDGPU.csdata,"",@progbits
; Kernel info:
; codeLenInByte = 0
; TotalNumSgprs: 0
; NumVgprs: 0
; ScratchSize: 0
; MemoryBound: 0
; FloatMode: 240
; IeeeMode: 1
; LDSByteSize: 0 bytes/workgroup (compile time only)
; SGPRBlocks: 0
; VGPRBlocks: 0
; NumSGPRsForWavesPerEU: 1
; NumVGPRsForWavesPerEU: 1
; Occupancy: 16
; WaveLimiterHint : 0
; COMPUTE_PGM_RSRC2:SCRATCH_EN: 0
; COMPUTE_PGM_RSRC2:USER_SGPR: 2
; COMPUTE_PGM_RSRC2:TRAP_HANDLER: 0
; COMPUTE_PGM_RSRC2:TGID_X_EN: 1
; COMPUTE_PGM_RSRC2:TGID_Y_EN: 0
; COMPUTE_PGM_RSRC2:TGID_Z_EN: 0
; COMPUTE_PGM_RSRC2:TIDIG_COMP_CNT: 0
	.section	.text._ZN7rocprim17ROCPRIM_400000_NS6detail17trampoline_kernelINS0_14default_configENS1_25partition_config_selectorILNS1_17partition_subalgoE5EdNS0_10empty_typeEbEEZZNS1_14partition_implILS5_5ELb0ES3_mN6thrust23THRUST_200600_302600_NS6detail15normal_iteratorINSA_10device_ptrIdEEEEPS6_NSA_18transform_iteratorINSB_9not_fun_tI7is_trueIdEEENSC_INSD_IbEEEENSA_11use_defaultESO_EENS0_5tupleIJNSA_16discard_iteratorISO_EES6_EEENSQ_IJSG_SG_EEES6_PlJS6_EEE10hipError_tPvRmT3_T4_T5_T6_T7_T9_mT8_P12ihipStream_tbDpT10_ENKUlT_T0_E_clISt17integral_constantIbLb1EES1F_EEDaS1A_S1B_EUlS1A_E_NS1_11comp_targetILNS1_3genE3ELNS1_11target_archE908ELNS1_3gpuE7ELNS1_3repE0EEENS1_30default_config_static_selectorELNS0_4arch9wavefront6targetE0EEEvT1_,"axG",@progbits,_ZN7rocprim17ROCPRIM_400000_NS6detail17trampoline_kernelINS0_14default_configENS1_25partition_config_selectorILNS1_17partition_subalgoE5EdNS0_10empty_typeEbEEZZNS1_14partition_implILS5_5ELb0ES3_mN6thrust23THRUST_200600_302600_NS6detail15normal_iteratorINSA_10device_ptrIdEEEEPS6_NSA_18transform_iteratorINSB_9not_fun_tI7is_trueIdEEENSC_INSD_IbEEEENSA_11use_defaultESO_EENS0_5tupleIJNSA_16discard_iteratorISO_EES6_EEENSQ_IJSG_SG_EEES6_PlJS6_EEE10hipError_tPvRmT3_T4_T5_T6_T7_T9_mT8_P12ihipStream_tbDpT10_ENKUlT_T0_E_clISt17integral_constantIbLb1EES1F_EEDaS1A_S1B_EUlS1A_E_NS1_11comp_targetILNS1_3genE3ELNS1_11target_archE908ELNS1_3gpuE7ELNS1_3repE0EEENS1_30default_config_static_selectorELNS0_4arch9wavefront6targetE0EEEvT1_,comdat
	.protected	_ZN7rocprim17ROCPRIM_400000_NS6detail17trampoline_kernelINS0_14default_configENS1_25partition_config_selectorILNS1_17partition_subalgoE5EdNS0_10empty_typeEbEEZZNS1_14partition_implILS5_5ELb0ES3_mN6thrust23THRUST_200600_302600_NS6detail15normal_iteratorINSA_10device_ptrIdEEEEPS6_NSA_18transform_iteratorINSB_9not_fun_tI7is_trueIdEEENSC_INSD_IbEEEENSA_11use_defaultESO_EENS0_5tupleIJNSA_16discard_iteratorISO_EES6_EEENSQ_IJSG_SG_EEES6_PlJS6_EEE10hipError_tPvRmT3_T4_T5_T6_T7_T9_mT8_P12ihipStream_tbDpT10_ENKUlT_T0_E_clISt17integral_constantIbLb1EES1F_EEDaS1A_S1B_EUlS1A_E_NS1_11comp_targetILNS1_3genE3ELNS1_11target_archE908ELNS1_3gpuE7ELNS1_3repE0EEENS1_30default_config_static_selectorELNS0_4arch9wavefront6targetE0EEEvT1_ ; -- Begin function _ZN7rocprim17ROCPRIM_400000_NS6detail17trampoline_kernelINS0_14default_configENS1_25partition_config_selectorILNS1_17partition_subalgoE5EdNS0_10empty_typeEbEEZZNS1_14partition_implILS5_5ELb0ES3_mN6thrust23THRUST_200600_302600_NS6detail15normal_iteratorINSA_10device_ptrIdEEEEPS6_NSA_18transform_iteratorINSB_9not_fun_tI7is_trueIdEEENSC_INSD_IbEEEENSA_11use_defaultESO_EENS0_5tupleIJNSA_16discard_iteratorISO_EES6_EEENSQ_IJSG_SG_EEES6_PlJS6_EEE10hipError_tPvRmT3_T4_T5_T6_T7_T9_mT8_P12ihipStream_tbDpT10_ENKUlT_T0_E_clISt17integral_constantIbLb1EES1F_EEDaS1A_S1B_EUlS1A_E_NS1_11comp_targetILNS1_3genE3ELNS1_11target_archE908ELNS1_3gpuE7ELNS1_3repE0EEENS1_30default_config_static_selectorELNS0_4arch9wavefront6targetE0EEEvT1_
	.globl	_ZN7rocprim17ROCPRIM_400000_NS6detail17trampoline_kernelINS0_14default_configENS1_25partition_config_selectorILNS1_17partition_subalgoE5EdNS0_10empty_typeEbEEZZNS1_14partition_implILS5_5ELb0ES3_mN6thrust23THRUST_200600_302600_NS6detail15normal_iteratorINSA_10device_ptrIdEEEEPS6_NSA_18transform_iteratorINSB_9not_fun_tI7is_trueIdEEENSC_INSD_IbEEEENSA_11use_defaultESO_EENS0_5tupleIJNSA_16discard_iteratorISO_EES6_EEENSQ_IJSG_SG_EEES6_PlJS6_EEE10hipError_tPvRmT3_T4_T5_T6_T7_T9_mT8_P12ihipStream_tbDpT10_ENKUlT_T0_E_clISt17integral_constantIbLb1EES1F_EEDaS1A_S1B_EUlS1A_E_NS1_11comp_targetILNS1_3genE3ELNS1_11target_archE908ELNS1_3gpuE7ELNS1_3repE0EEENS1_30default_config_static_selectorELNS0_4arch9wavefront6targetE0EEEvT1_
	.p2align	8
	.type	_ZN7rocprim17ROCPRIM_400000_NS6detail17trampoline_kernelINS0_14default_configENS1_25partition_config_selectorILNS1_17partition_subalgoE5EdNS0_10empty_typeEbEEZZNS1_14partition_implILS5_5ELb0ES3_mN6thrust23THRUST_200600_302600_NS6detail15normal_iteratorINSA_10device_ptrIdEEEEPS6_NSA_18transform_iteratorINSB_9not_fun_tI7is_trueIdEEENSC_INSD_IbEEEENSA_11use_defaultESO_EENS0_5tupleIJNSA_16discard_iteratorISO_EES6_EEENSQ_IJSG_SG_EEES6_PlJS6_EEE10hipError_tPvRmT3_T4_T5_T6_T7_T9_mT8_P12ihipStream_tbDpT10_ENKUlT_T0_E_clISt17integral_constantIbLb1EES1F_EEDaS1A_S1B_EUlS1A_E_NS1_11comp_targetILNS1_3genE3ELNS1_11target_archE908ELNS1_3gpuE7ELNS1_3repE0EEENS1_30default_config_static_selectorELNS0_4arch9wavefront6targetE0EEEvT1_,@function
_ZN7rocprim17ROCPRIM_400000_NS6detail17trampoline_kernelINS0_14default_configENS1_25partition_config_selectorILNS1_17partition_subalgoE5EdNS0_10empty_typeEbEEZZNS1_14partition_implILS5_5ELb0ES3_mN6thrust23THRUST_200600_302600_NS6detail15normal_iteratorINSA_10device_ptrIdEEEEPS6_NSA_18transform_iteratorINSB_9not_fun_tI7is_trueIdEEENSC_INSD_IbEEEENSA_11use_defaultESO_EENS0_5tupleIJNSA_16discard_iteratorISO_EES6_EEENSQ_IJSG_SG_EEES6_PlJS6_EEE10hipError_tPvRmT3_T4_T5_T6_T7_T9_mT8_P12ihipStream_tbDpT10_ENKUlT_T0_E_clISt17integral_constantIbLb1EES1F_EEDaS1A_S1B_EUlS1A_E_NS1_11comp_targetILNS1_3genE3ELNS1_11target_archE908ELNS1_3gpuE7ELNS1_3repE0EEENS1_30default_config_static_selectorELNS0_4arch9wavefront6targetE0EEEvT1_: ; @_ZN7rocprim17ROCPRIM_400000_NS6detail17trampoline_kernelINS0_14default_configENS1_25partition_config_selectorILNS1_17partition_subalgoE5EdNS0_10empty_typeEbEEZZNS1_14partition_implILS5_5ELb0ES3_mN6thrust23THRUST_200600_302600_NS6detail15normal_iteratorINSA_10device_ptrIdEEEEPS6_NSA_18transform_iteratorINSB_9not_fun_tI7is_trueIdEEENSC_INSD_IbEEEENSA_11use_defaultESO_EENS0_5tupleIJNSA_16discard_iteratorISO_EES6_EEENSQ_IJSG_SG_EEES6_PlJS6_EEE10hipError_tPvRmT3_T4_T5_T6_T7_T9_mT8_P12ihipStream_tbDpT10_ENKUlT_T0_E_clISt17integral_constantIbLb1EES1F_EEDaS1A_S1B_EUlS1A_E_NS1_11comp_targetILNS1_3genE3ELNS1_11target_archE908ELNS1_3gpuE7ELNS1_3repE0EEENS1_30default_config_static_selectorELNS0_4arch9wavefront6targetE0EEEvT1_
; %bb.0:
	.section	.rodata,"a",@progbits
	.p2align	6, 0x0
	.amdhsa_kernel _ZN7rocprim17ROCPRIM_400000_NS6detail17trampoline_kernelINS0_14default_configENS1_25partition_config_selectorILNS1_17partition_subalgoE5EdNS0_10empty_typeEbEEZZNS1_14partition_implILS5_5ELb0ES3_mN6thrust23THRUST_200600_302600_NS6detail15normal_iteratorINSA_10device_ptrIdEEEEPS6_NSA_18transform_iteratorINSB_9not_fun_tI7is_trueIdEEENSC_INSD_IbEEEENSA_11use_defaultESO_EENS0_5tupleIJNSA_16discard_iteratorISO_EES6_EEENSQ_IJSG_SG_EEES6_PlJS6_EEE10hipError_tPvRmT3_T4_T5_T6_T7_T9_mT8_P12ihipStream_tbDpT10_ENKUlT_T0_E_clISt17integral_constantIbLb1EES1F_EEDaS1A_S1B_EUlS1A_E_NS1_11comp_targetILNS1_3genE3ELNS1_11target_archE908ELNS1_3gpuE7ELNS1_3repE0EEENS1_30default_config_static_selectorELNS0_4arch9wavefront6targetE0EEEvT1_
		.amdhsa_group_segment_fixed_size 0
		.amdhsa_private_segment_fixed_size 0
		.amdhsa_kernarg_size 144
		.amdhsa_user_sgpr_count 2
		.amdhsa_user_sgpr_dispatch_ptr 0
		.amdhsa_user_sgpr_queue_ptr 0
		.amdhsa_user_sgpr_kernarg_segment_ptr 1
		.amdhsa_user_sgpr_dispatch_id 0
		.amdhsa_user_sgpr_private_segment_size 0
		.amdhsa_wavefront_size32 1
		.amdhsa_uses_dynamic_stack 0
		.amdhsa_enable_private_segment 0
		.amdhsa_system_sgpr_workgroup_id_x 1
		.amdhsa_system_sgpr_workgroup_id_y 0
		.amdhsa_system_sgpr_workgroup_id_z 0
		.amdhsa_system_sgpr_workgroup_info 0
		.amdhsa_system_vgpr_workitem_id 0
		.amdhsa_next_free_vgpr 1
		.amdhsa_next_free_sgpr 1
		.amdhsa_reserve_vcc 0
		.amdhsa_float_round_mode_32 0
		.amdhsa_float_round_mode_16_64 0
		.amdhsa_float_denorm_mode_32 3
		.amdhsa_float_denorm_mode_16_64 3
		.amdhsa_fp16_overflow 0
		.amdhsa_workgroup_processor_mode 1
		.amdhsa_memory_ordered 1
		.amdhsa_forward_progress 1
		.amdhsa_inst_pref_size 0
		.amdhsa_round_robin_scheduling 0
		.amdhsa_exception_fp_ieee_invalid_op 0
		.amdhsa_exception_fp_denorm_src 0
		.amdhsa_exception_fp_ieee_div_zero 0
		.amdhsa_exception_fp_ieee_overflow 0
		.amdhsa_exception_fp_ieee_underflow 0
		.amdhsa_exception_fp_ieee_inexact 0
		.amdhsa_exception_int_div_zero 0
	.end_amdhsa_kernel
	.section	.text._ZN7rocprim17ROCPRIM_400000_NS6detail17trampoline_kernelINS0_14default_configENS1_25partition_config_selectorILNS1_17partition_subalgoE5EdNS0_10empty_typeEbEEZZNS1_14partition_implILS5_5ELb0ES3_mN6thrust23THRUST_200600_302600_NS6detail15normal_iteratorINSA_10device_ptrIdEEEEPS6_NSA_18transform_iteratorINSB_9not_fun_tI7is_trueIdEEENSC_INSD_IbEEEENSA_11use_defaultESO_EENS0_5tupleIJNSA_16discard_iteratorISO_EES6_EEENSQ_IJSG_SG_EEES6_PlJS6_EEE10hipError_tPvRmT3_T4_T5_T6_T7_T9_mT8_P12ihipStream_tbDpT10_ENKUlT_T0_E_clISt17integral_constantIbLb1EES1F_EEDaS1A_S1B_EUlS1A_E_NS1_11comp_targetILNS1_3genE3ELNS1_11target_archE908ELNS1_3gpuE7ELNS1_3repE0EEENS1_30default_config_static_selectorELNS0_4arch9wavefront6targetE0EEEvT1_,"axG",@progbits,_ZN7rocprim17ROCPRIM_400000_NS6detail17trampoline_kernelINS0_14default_configENS1_25partition_config_selectorILNS1_17partition_subalgoE5EdNS0_10empty_typeEbEEZZNS1_14partition_implILS5_5ELb0ES3_mN6thrust23THRUST_200600_302600_NS6detail15normal_iteratorINSA_10device_ptrIdEEEEPS6_NSA_18transform_iteratorINSB_9not_fun_tI7is_trueIdEEENSC_INSD_IbEEEENSA_11use_defaultESO_EENS0_5tupleIJNSA_16discard_iteratorISO_EES6_EEENSQ_IJSG_SG_EEES6_PlJS6_EEE10hipError_tPvRmT3_T4_T5_T6_T7_T9_mT8_P12ihipStream_tbDpT10_ENKUlT_T0_E_clISt17integral_constantIbLb1EES1F_EEDaS1A_S1B_EUlS1A_E_NS1_11comp_targetILNS1_3genE3ELNS1_11target_archE908ELNS1_3gpuE7ELNS1_3repE0EEENS1_30default_config_static_selectorELNS0_4arch9wavefront6targetE0EEEvT1_,comdat
.Lfunc_end2600:
	.size	_ZN7rocprim17ROCPRIM_400000_NS6detail17trampoline_kernelINS0_14default_configENS1_25partition_config_selectorILNS1_17partition_subalgoE5EdNS0_10empty_typeEbEEZZNS1_14partition_implILS5_5ELb0ES3_mN6thrust23THRUST_200600_302600_NS6detail15normal_iteratorINSA_10device_ptrIdEEEEPS6_NSA_18transform_iteratorINSB_9not_fun_tI7is_trueIdEEENSC_INSD_IbEEEENSA_11use_defaultESO_EENS0_5tupleIJNSA_16discard_iteratorISO_EES6_EEENSQ_IJSG_SG_EEES6_PlJS6_EEE10hipError_tPvRmT3_T4_T5_T6_T7_T9_mT8_P12ihipStream_tbDpT10_ENKUlT_T0_E_clISt17integral_constantIbLb1EES1F_EEDaS1A_S1B_EUlS1A_E_NS1_11comp_targetILNS1_3genE3ELNS1_11target_archE908ELNS1_3gpuE7ELNS1_3repE0EEENS1_30default_config_static_selectorELNS0_4arch9wavefront6targetE0EEEvT1_, .Lfunc_end2600-_ZN7rocprim17ROCPRIM_400000_NS6detail17trampoline_kernelINS0_14default_configENS1_25partition_config_selectorILNS1_17partition_subalgoE5EdNS0_10empty_typeEbEEZZNS1_14partition_implILS5_5ELb0ES3_mN6thrust23THRUST_200600_302600_NS6detail15normal_iteratorINSA_10device_ptrIdEEEEPS6_NSA_18transform_iteratorINSB_9not_fun_tI7is_trueIdEEENSC_INSD_IbEEEENSA_11use_defaultESO_EENS0_5tupleIJNSA_16discard_iteratorISO_EES6_EEENSQ_IJSG_SG_EEES6_PlJS6_EEE10hipError_tPvRmT3_T4_T5_T6_T7_T9_mT8_P12ihipStream_tbDpT10_ENKUlT_T0_E_clISt17integral_constantIbLb1EES1F_EEDaS1A_S1B_EUlS1A_E_NS1_11comp_targetILNS1_3genE3ELNS1_11target_archE908ELNS1_3gpuE7ELNS1_3repE0EEENS1_30default_config_static_selectorELNS0_4arch9wavefront6targetE0EEEvT1_
                                        ; -- End function
	.set _ZN7rocprim17ROCPRIM_400000_NS6detail17trampoline_kernelINS0_14default_configENS1_25partition_config_selectorILNS1_17partition_subalgoE5EdNS0_10empty_typeEbEEZZNS1_14partition_implILS5_5ELb0ES3_mN6thrust23THRUST_200600_302600_NS6detail15normal_iteratorINSA_10device_ptrIdEEEEPS6_NSA_18transform_iteratorINSB_9not_fun_tI7is_trueIdEEENSC_INSD_IbEEEENSA_11use_defaultESO_EENS0_5tupleIJNSA_16discard_iteratorISO_EES6_EEENSQ_IJSG_SG_EEES6_PlJS6_EEE10hipError_tPvRmT3_T4_T5_T6_T7_T9_mT8_P12ihipStream_tbDpT10_ENKUlT_T0_E_clISt17integral_constantIbLb1EES1F_EEDaS1A_S1B_EUlS1A_E_NS1_11comp_targetILNS1_3genE3ELNS1_11target_archE908ELNS1_3gpuE7ELNS1_3repE0EEENS1_30default_config_static_selectorELNS0_4arch9wavefront6targetE0EEEvT1_.num_vgpr, 0
	.set _ZN7rocprim17ROCPRIM_400000_NS6detail17trampoline_kernelINS0_14default_configENS1_25partition_config_selectorILNS1_17partition_subalgoE5EdNS0_10empty_typeEbEEZZNS1_14partition_implILS5_5ELb0ES3_mN6thrust23THRUST_200600_302600_NS6detail15normal_iteratorINSA_10device_ptrIdEEEEPS6_NSA_18transform_iteratorINSB_9not_fun_tI7is_trueIdEEENSC_INSD_IbEEEENSA_11use_defaultESO_EENS0_5tupleIJNSA_16discard_iteratorISO_EES6_EEENSQ_IJSG_SG_EEES6_PlJS6_EEE10hipError_tPvRmT3_T4_T5_T6_T7_T9_mT8_P12ihipStream_tbDpT10_ENKUlT_T0_E_clISt17integral_constantIbLb1EES1F_EEDaS1A_S1B_EUlS1A_E_NS1_11comp_targetILNS1_3genE3ELNS1_11target_archE908ELNS1_3gpuE7ELNS1_3repE0EEENS1_30default_config_static_selectorELNS0_4arch9wavefront6targetE0EEEvT1_.num_agpr, 0
	.set _ZN7rocprim17ROCPRIM_400000_NS6detail17trampoline_kernelINS0_14default_configENS1_25partition_config_selectorILNS1_17partition_subalgoE5EdNS0_10empty_typeEbEEZZNS1_14partition_implILS5_5ELb0ES3_mN6thrust23THRUST_200600_302600_NS6detail15normal_iteratorINSA_10device_ptrIdEEEEPS6_NSA_18transform_iteratorINSB_9not_fun_tI7is_trueIdEEENSC_INSD_IbEEEENSA_11use_defaultESO_EENS0_5tupleIJNSA_16discard_iteratorISO_EES6_EEENSQ_IJSG_SG_EEES6_PlJS6_EEE10hipError_tPvRmT3_T4_T5_T6_T7_T9_mT8_P12ihipStream_tbDpT10_ENKUlT_T0_E_clISt17integral_constantIbLb1EES1F_EEDaS1A_S1B_EUlS1A_E_NS1_11comp_targetILNS1_3genE3ELNS1_11target_archE908ELNS1_3gpuE7ELNS1_3repE0EEENS1_30default_config_static_selectorELNS0_4arch9wavefront6targetE0EEEvT1_.numbered_sgpr, 0
	.set _ZN7rocprim17ROCPRIM_400000_NS6detail17trampoline_kernelINS0_14default_configENS1_25partition_config_selectorILNS1_17partition_subalgoE5EdNS0_10empty_typeEbEEZZNS1_14partition_implILS5_5ELb0ES3_mN6thrust23THRUST_200600_302600_NS6detail15normal_iteratorINSA_10device_ptrIdEEEEPS6_NSA_18transform_iteratorINSB_9not_fun_tI7is_trueIdEEENSC_INSD_IbEEEENSA_11use_defaultESO_EENS0_5tupleIJNSA_16discard_iteratorISO_EES6_EEENSQ_IJSG_SG_EEES6_PlJS6_EEE10hipError_tPvRmT3_T4_T5_T6_T7_T9_mT8_P12ihipStream_tbDpT10_ENKUlT_T0_E_clISt17integral_constantIbLb1EES1F_EEDaS1A_S1B_EUlS1A_E_NS1_11comp_targetILNS1_3genE3ELNS1_11target_archE908ELNS1_3gpuE7ELNS1_3repE0EEENS1_30default_config_static_selectorELNS0_4arch9wavefront6targetE0EEEvT1_.num_named_barrier, 0
	.set _ZN7rocprim17ROCPRIM_400000_NS6detail17trampoline_kernelINS0_14default_configENS1_25partition_config_selectorILNS1_17partition_subalgoE5EdNS0_10empty_typeEbEEZZNS1_14partition_implILS5_5ELb0ES3_mN6thrust23THRUST_200600_302600_NS6detail15normal_iteratorINSA_10device_ptrIdEEEEPS6_NSA_18transform_iteratorINSB_9not_fun_tI7is_trueIdEEENSC_INSD_IbEEEENSA_11use_defaultESO_EENS0_5tupleIJNSA_16discard_iteratorISO_EES6_EEENSQ_IJSG_SG_EEES6_PlJS6_EEE10hipError_tPvRmT3_T4_T5_T6_T7_T9_mT8_P12ihipStream_tbDpT10_ENKUlT_T0_E_clISt17integral_constantIbLb1EES1F_EEDaS1A_S1B_EUlS1A_E_NS1_11comp_targetILNS1_3genE3ELNS1_11target_archE908ELNS1_3gpuE7ELNS1_3repE0EEENS1_30default_config_static_selectorELNS0_4arch9wavefront6targetE0EEEvT1_.private_seg_size, 0
	.set _ZN7rocprim17ROCPRIM_400000_NS6detail17trampoline_kernelINS0_14default_configENS1_25partition_config_selectorILNS1_17partition_subalgoE5EdNS0_10empty_typeEbEEZZNS1_14partition_implILS5_5ELb0ES3_mN6thrust23THRUST_200600_302600_NS6detail15normal_iteratorINSA_10device_ptrIdEEEEPS6_NSA_18transform_iteratorINSB_9not_fun_tI7is_trueIdEEENSC_INSD_IbEEEENSA_11use_defaultESO_EENS0_5tupleIJNSA_16discard_iteratorISO_EES6_EEENSQ_IJSG_SG_EEES6_PlJS6_EEE10hipError_tPvRmT3_T4_T5_T6_T7_T9_mT8_P12ihipStream_tbDpT10_ENKUlT_T0_E_clISt17integral_constantIbLb1EES1F_EEDaS1A_S1B_EUlS1A_E_NS1_11comp_targetILNS1_3genE3ELNS1_11target_archE908ELNS1_3gpuE7ELNS1_3repE0EEENS1_30default_config_static_selectorELNS0_4arch9wavefront6targetE0EEEvT1_.uses_vcc, 0
	.set _ZN7rocprim17ROCPRIM_400000_NS6detail17trampoline_kernelINS0_14default_configENS1_25partition_config_selectorILNS1_17partition_subalgoE5EdNS0_10empty_typeEbEEZZNS1_14partition_implILS5_5ELb0ES3_mN6thrust23THRUST_200600_302600_NS6detail15normal_iteratorINSA_10device_ptrIdEEEEPS6_NSA_18transform_iteratorINSB_9not_fun_tI7is_trueIdEEENSC_INSD_IbEEEENSA_11use_defaultESO_EENS0_5tupleIJNSA_16discard_iteratorISO_EES6_EEENSQ_IJSG_SG_EEES6_PlJS6_EEE10hipError_tPvRmT3_T4_T5_T6_T7_T9_mT8_P12ihipStream_tbDpT10_ENKUlT_T0_E_clISt17integral_constantIbLb1EES1F_EEDaS1A_S1B_EUlS1A_E_NS1_11comp_targetILNS1_3genE3ELNS1_11target_archE908ELNS1_3gpuE7ELNS1_3repE0EEENS1_30default_config_static_selectorELNS0_4arch9wavefront6targetE0EEEvT1_.uses_flat_scratch, 0
	.set _ZN7rocprim17ROCPRIM_400000_NS6detail17trampoline_kernelINS0_14default_configENS1_25partition_config_selectorILNS1_17partition_subalgoE5EdNS0_10empty_typeEbEEZZNS1_14partition_implILS5_5ELb0ES3_mN6thrust23THRUST_200600_302600_NS6detail15normal_iteratorINSA_10device_ptrIdEEEEPS6_NSA_18transform_iteratorINSB_9not_fun_tI7is_trueIdEEENSC_INSD_IbEEEENSA_11use_defaultESO_EENS0_5tupleIJNSA_16discard_iteratorISO_EES6_EEENSQ_IJSG_SG_EEES6_PlJS6_EEE10hipError_tPvRmT3_T4_T5_T6_T7_T9_mT8_P12ihipStream_tbDpT10_ENKUlT_T0_E_clISt17integral_constantIbLb1EES1F_EEDaS1A_S1B_EUlS1A_E_NS1_11comp_targetILNS1_3genE3ELNS1_11target_archE908ELNS1_3gpuE7ELNS1_3repE0EEENS1_30default_config_static_selectorELNS0_4arch9wavefront6targetE0EEEvT1_.has_dyn_sized_stack, 0
	.set _ZN7rocprim17ROCPRIM_400000_NS6detail17trampoline_kernelINS0_14default_configENS1_25partition_config_selectorILNS1_17partition_subalgoE5EdNS0_10empty_typeEbEEZZNS1_14partition_implILS5_5ELb0ES3_mN6thrust23THRUST_200600_302600_NS6detail15normal_iteratorINSA_10device_ptrIdEEEEPS6_NSA_18transform_iteratorINSB_9not_fun_tI7is_trueIdEEENSC_INSD_IbEEEENSA_11use_defaultESO_EENS0_5tupleIJNSA_16discard_iteratorISO_EES6_EEENSQ_IJSG_SG_EEES6_PlJS6_EEE10hipError_tPvRmT3_T4_T5_T6_T7_T9_mT8_P12ihipStream_tbDpT10_ENKUlT_T0_E_clISt17integral_constantIbLb1EES1F_EEDaS1A_S1B_EUlS1A_E_NS1_11comp_targetILNS1_3genE3ELNS1_11target_archE908ELNS1_3gpuE7ELNS1_3repE0EEENS1_30default_config_static_selectorELNS0_4arch9wavefront6targetE0EEEvT1_.has_recursion, 0
	.set _ZN7rocprim17ROCPRIM_400000_NS6detail17trampoline_kernelINS0_14default_configENS1_25partition_config_selectorILNS1_17partition_subalgoE5EdNS0_10empty_typeEbEEZZNS1_14partition_implILS5_5ELb0ES3_mN6thrust23THRUST_200600_302600_NS6detail15normal_iteratorINSA_10device_ptrIdEEEEPS6_NSA_18transform_iteratorINSB_9not_fun_tI7is_trueIdEEENSC_INSD_IbEEEENSA_11use_defaultESO_EENS0_5tupleIJNSA_16discard_iteratorISO_EES6_EEENSQ_IJSG_SG_EEES6_PlJS6_EEE10hipError_tPvRmT3_T4_T5_T6_T7_T9_mT8_P12ihipStream_tbDpT10_ENKUlT_T0_E_clISt17integral_constantIbLb1EES1F_EEDaS1A_S1B_EUlS1A_E_NS1_11comp_targetILNS1_3genE3ELNS1_11target_archE908ELNS1_3gpuE7ELNS1_3repE0EEENS1_30default_config_static_selectorELNS0_4arch9wavefront6targetE0EEEvT1_.has_indirect_call, 0
	.section	.AMDGPU.csdata,"",@progbits
; Kernel info:
; codeLenInByte = 0
; TotalNumSgprs: 0
; NumVgprs: 0
; ScratchSize: 0
; MemoryBound: 0
; FloatMode: 240
; IeeeMode: 1
; LDSByteSize: 0 bytes/workgroup (compile time only)
; SGPRBlocks: 0
; VGPRBlocks: 0
; NumSGPRsForWavesPerEU: 1
; NumVGPRsForWavesPerEU: 1
; Occupancy: 16
; WaveLimiterHint : 0
; COMPUTE_PGM_RSRC2:SCRATCH_EN: 0
; COMPUTE_PGM_RSRC2:USER_SGPR: 2
; COMPUTE_PGM_RSRC2:TRAP_HANDLER: 0
; COMPUTE_PGM_RSRC2:TGID_X_EN: 1
; COMPUTE_PGM_RSRC2:TGID_Y_EN: 0
; COMPUTE_PGM_RSRC2:TGID_Z_EN: 0
; COMPUTE_PGM_RSRC2:TIDIG_COMP_CNT: 0
	.section	.text._ZN7rocprim17ROCPRIM_400000_NS6detail17trampoline_kernelINS0_14default_configENS1_25partition_config_selectorILNS1_17partition_subalgoE5EdNS0_10empty_typeEbEEZZNS1_14partition_implILS5_5ELb0ES3_mN6thrust23THRUST_200600_302600_NS6detail15normal_iteratorINSA_10device_ptrIdEEEEPS6_NSA_18transform_iteratorINSB_9not_fun_tI7is_trueIdEEENSC_INSD_IbEEEENSA_11use_defaultESO_EENS0_5tupleIJNSA_16discard_iteratorISO_EES6_EEENSQ_IJSG_SG_EEES6_PlJS6_EEE10hipError_tPvRmT3_T4_T5_T6_T7_T9_mT8_P12ihipStream_tbDpT10_ENKUlT_T0_E_clISt17integral_constantIbLb1EES1F_EEDaS1A_S1B_EUlS1A_E_NS1_11comp_targetILNS1_3genE2ELNS1_11target_archE906ELNS1_3gpuE6ELNS1_3repE0EEENS1_30default_config_static_selectorELNS0_4arch9wavefront6targetE0EEEvT1_,"axG",@progbits,_ZN7rocprim17ROCPRIM_400000_NS6detail17trampoline_kernelINS0_14default_configENS1_25partition_config_selectorILNS1_17partition_subalgoE5EdNS0_10empty_typeEbEEZZNS1_14partition_implILS5_5ELb0ES3_mN6thrust23THRUST_200600_302600_NS6detail15normal_iteratorINSA_10device_ptrIdEEEEPS6_NSA_18transform_iteratorINSB_9not_fun_tI7is_trueIdEEENSC_INSD_IbEEEENSA_11use_defaultESO_EENS0_5tupleIJNSA_16discard_iteratorISO_EES6_EEENSQ_IJSG_SG_EEES6_PlJS6_EEE10hipError_tPvRmT3_T4_T5_T6_T7_T9_mT8_P12ihipStream_tbDpT10_ENKUlT_T0_E_clISt17integral_constantIbLb1EES1F_EEDaS1A_S1B_EUlS1A_E_NS1_11comp_targetILNS1_3genE2ELNS1_11target_archE906ELNS1_3gpuE6ELNS1_3repE0EEENS1_30default_config_static_selectorELNS0_4arch9wavefront6targetE0EEEvT1_,comdat
	.protected	_ZN7rocprim17ROCPRIM_400000_NS6detail17trampoline_kernelINS0_14default_configENS1_25partition_config_selectorILNS1_17partition_subalgoE5EdNS0_10empty_typeEbEEZZNS1_14partition_implILS5_5ELb0ES3_mN6thrust23THRUST_200600_302600_NS6detail15normal_iteratorINSA_10device_ptrIdEEEEPS6_NSA_18transform_iteratorINSB_9not_fun_tI7is_trueIdEEENSC_INSD_IbEEEENSA_11use_defaultESO_EENS0_5tupleIJNSA_16discard_iteratorISO_EES6_EEENSQ_IJSG_SG_EEES6_PlJS6_EEE10hipError_tPvRmT3_T4_T5_T6_T7_T9_mT8_P12ihipStream_tbDpT10_ENKUlT_T0_E_clISt17integral_constantIbLb1EES1F_EEDaS1A_S1B_EUlS1A_E_NS1_11comp_targetILNS1_3genE2ELNS1_11target_archE906ELNS1_3gpuE6ELNS1_3repE0EEENS1_30default_config_static_selectorELNS0_4arch9wavefront6targetE0EEEvT1_ ; -- Begin function _ZN7rocprim17ROCPRIM_400000_NS6detail17trampoline_kernelINS0_14default_configENS1_25partition_config_selectorILNS1_17partition_subalgoE5EdNS0_10empty_typeEbEEZZNS1_14partition_implILS5_5ELb0ES3_mN6thrust23THRUST_200600_302600_NS6detail15normal_iteratorINSA_10device_ptrIdEEEEPS6_NSA_18transform_iteratorINSB_9not_fun_tI7is_trueIdEEENSC_INSD_IbEEEENSA_11use_defaultESO_EENS0_5tupleIJNSA_16discard_iteratorISO_EES6_EEENSQ_IJSG_SG_EEES6_PlJS6_EEE10hipError_tPvRmT3_T4_T5_T6_T7_T9_mT8_P12ihipStream_tbDpT10_ENKUlT_T0_E_clISt17integral_constantIbLb1EES1F_EEDaS1A_S1B_EUlS1A_E_NS1_11comp_targetILNS1_3genE2ELNS1_11target_archE906ELNS1_3gpuE6ELNS1_3repE0EEENS1_30default_config_static_selectorELNS0_4arch9wavefront6targetE0EEEvT1_
	.globl	_ZN7rocprim17ROCPRIM_400000_NS6detail17trampoline_kernelINS0_14default_configENS1_25partition_config_selectorILNS1_17partition_subalgoE5EdNS0_10empty_typeEbEEZZNS1_14partition_implILS5_5ELb0ES3_mN6thrust23THRUST_200600_302600_NS6detail15normal_iteratorINSA_10device_ptrIdEEEEPS6_NSA_18transform_iteratorINSB_9not_fun_tI7is_trueIdEEENSC_INSD_IbEEEENSA_11use_defaultESO_EENS0_5tupleIJNSA_16discard_iteratorISO_EES6_EEENSQ_IJSG_SG_EEES6_PlJS6_EEE10hipError_tPvRmT3_T4_T5_T6_T7_T9_mT8_P12ihipStream_tbDpT10_ENKUlT_T0_E_clISt17integral_constantIbLb1EES1F_EEDaS1A_S1B_EUlS1A_E_NS1_11comp_targetILNS1_3genE2ELNS1_11target_archE906ELNS1_3gpuE6ELNS1_3repE0EEENS1_30default_config_static_selectorELNS0_4arch9wavefront6targetE0EEEvT1_
	.p2align	8
	.type	_ZN7rocprim17ROCPRIM_400000_NS6detail17trampoline_kernelINS0_14default_configENS1_25partition_config_selectorILNS1_17partition_subalgoE5EdNS0_10empty_typeEbEEZZNS1_14partition_implILS5_5ELb0ES3_mN6thrust23THRUST_200600_302600_NS6detail15normal_iteratorINSA_10device_ptrIdEEEEPS6_NSA_18transform_iteratorINSB_9not_fun_tI7is_trueIdEEENSC_INSD_IbEEEENSA_11use_defaultESO_EENS0_5tupleIJNSA_16discard_iteratorISO_EES6_EEENSQ_IJSG_SG_EEES6_PlJS6_EEE10hipError_tPvRmT3_T4_T5_T6_T7_T9_mT8_P12ihipStream_tbDpT10_ENKUlT_T0_E_clISt17integral_constantIbLb1EES1F_EEDaS1A_S1B_EUlS1A_E_NS1_11comp_targetILNS1_3genE2ELNS1_11target_archE906ELNS1_3gpuE6ELNS1_3repE0EEENS1_30default_config_static_selectorELNS0_4arch9wavefront6targetE0EEEvT1_,@function
_ZN7rocprim17ROCPRIM_400000_NS6detail17trampoline_kernelINS0_14default_configENS1_25partition_config_selectorILNS1_17partition_subalgoE5EdNS0_10empty_typeEbEEZZNS1_14partition_implILS5_5ELb0ES3_mN6thrust23THRUST_200600_302600_NS6detail15normal_iteratorINSA_10device_ptrIdEEEEPS6_NSA_18transform_iteratorINSB_9not_fun_tI7is_trueIdEEENSC_INSD_IbEEEENSA_11use_defaultESO_EENS0_5tupleIJNSA_16discard_iteratorISO_EES6_EEENSQ_IJSG_SG_EEES6_PlJS6_EEE10hipError_tPvRmT3_T4_T5_T6_T7_T9_mT8_P12ihipStream_tbDpT10_ENKUlT_T0_E_clISt17integral_constantIbLb1EES1F_EEDaS1A_S1B_EUlS1A_E_NS1_11comp_targetILNS1_3genE2ELNS1_11target_archE906ELNS1_3gpuE6ELNS1_3repE0EEENS1_30default_config_static_selectorELNS0_4arch9wavefront6targetE0EEEvT1_: ; @_ZN7rocprim17ROCPRIM_400000_NS6detail17trampoline_kernelINS0_14default_configENS1_25partition_config_selectorILNS1_17partition_subalgoE5EdNS0_10empty_typeEbEEZZNS1_14partition_implILS5_5ELb0ES3_mN6thrust23THRUST_200600_302600_NS6detail15normal_iteratorINSA_10device_ptrIdEEEEPS6_NSA_18transform_iteratorINSB_9not_fun_tI7is_trueIdEEENSC_INSD_IbEEEENSA_11use_defaultESO_EENS0_5tupleIJNSA_16discard_iteratorISO_EES6_EEENSQ_IJSG_SG_EEES6_PlJS6_EEE10hipError_tPvRmT3_T4_T5_T6_T7_T9_mT8_P12ihipStream_tbDpT10_ENKUlT_T0_E_clISt17integral_constantIbLb1EES1F_EEDaS1A_S1B_EUlS1A_E_NS1_11comp_targetILNS1_3genE2ELNS1_11target_archE906ELNS1_3gpuE6ELNS1_3repE0EEENS1_30default_config_static_selectorELNS0_4arch9wavefront6targetE0EEEvT1_
; %bb.0:
	.section	.rodata,"a",@progbits
	.p2align	6, 0x0
	.amdhsa_kernel _ZN7rocprim17ROCPRIM_400000_NS6detail17trampoline_kernelINS0_14default_configENS1_25partition_config_selectorILNS1_17partition_subalgoE5EdNS0_10empty_typeEbEEZZNS1_14partition_implILS5_5ELb0ES3_mN6thrust23THRUST_200600_302600_NS6detail15normal_iteratorINSA_10device_ptrIdEEEEPS6_NSA_18transform_iteratorINSB_9not_fun_tI7is_trueIdEEENSC_INSD_IbEEEENSA_11use_defaultESO_EENS0_5tupleIJNSA_16discard_iteratorISO_EES6_EEENSQ_IJSG_SG_EEES6_PlJS6_EEE10hipError_tPvRmT3_T4_T5_T6_T7_T9_mT8_P12ihipStream_tbDpT10_ENKUlT_T0_E_clISt17integral_constantIbLb1EES1F_EEDaS1A_S1B_EUlS1A_E_NS1_11comp_targetILNS1_3genE2ELNS1_11target_archE906ELNS1_3gpuE6ELNS1_3repE0EEENS1_30default_config_static_selectorELNS0_4arch9wavefront6targetE0EEEvT1_
		.amdhsa_group_segment_fixed_size 0
		.amdhsa_private_segment_fixed_size 0
		.amdhsa_kernarg_size 144
		.amdhsa_user_sgpr_count 2
		.amdhsa_user_sgpr_dispatch_ptr 0
		.amdhsa_user_sgpr_queue_ptr 0
		.amdhsa_user_sgpr_kernarg_segment_ptr 1
		.amdhsa_user_sgpr_dispatch_id 0
		.amdhsa_user_sgpr_private_segment_size 0
		.amdhsa_wavefront_size32 1
		.amdhsa_uses_dynamic_stack 0
		.amdhsa_enable_private_segment 0
		.amdhsa_system_sgpr_workgroup_id_x 1
		.amdhsa_system_sgpr_workgroup_id_y 0
		.amdhsa_system_sgpr_workgroup_id_z 0
		.amdhsa_system_sgpr_workgroup_info 0
		.amdhsa_system_vgpr_workitem_id 0
		.amdhsa_next_free_vgpr 1
		.amdhsa_next_free_sgpr 1
		.amdhsa_reserve_vcc 0
		.amdhsa_float_round_mode_32 0
		.amdhsa_float_round_mode_16_64 0
		.amdhsa_float_denorm_mode_32 3
		.amdhsa_float_denorm_mode_16_64 3
		.amdhsa_fp16_overflow 0
		.amdhsa_workgroup_processor_mode 1
		.amdhsa_memory_ordered 1
		.amdhsa_forward_progress 1
		.amdhsa_inst_pref_size 0
		.amdhsa_round_robin_scheduling 0
		.amdhsa_exception_fp_ieee_invalid_op 0
		.amdhsa_exception_fp_denorm_src 0
		.amdhsa_exception_fp_ieee_div_zero 0
		.amdhsa_exception_fp_ieee_overflow 0
		.amdhsa_exception_fp_ieee_underflow 0
		.amdhsa_exception_fp_ieee_inexact 0
		.amdhsa_exception_int_div_zero 0
	.end_amdhsa_kernel
	.section	.text._ZN7rocprim17ROCPRIM_400000_NS6detail17trampoline_kernelINS0_14default_configENS1_25partition_config_selectorILNS1_17partition_subalgoE5EdNS0_10empty_typeEbEEZZNS1_14partition_implILS5_5ELb0ES3_mN6thrust23THRUST_200600_302600_NS6detail15normal_iteratorINSA_10device_ptrIdEEEEPS6_NSA_18transform_iteratorINSB_9not_fun_tI7is_trueIdEEENSC_INSD_IbEEEENSA_11use_defaultESO_EENS0_5tupleIJNSA_16discard_iteratorISO_EES6_EEENSQ_IJSG_SG_EEES6_PlJS6_EEE10hipError_tPvRmT3_T4_T5_T6_T7_T9_mT8_P12ihipStream_tbDpT10_ENKUlT_T0_E_clISt17integral_constantIbLb1EES1F_EEDaS1A_S1B_EUlS1A_E_NS1_11comp_targetILNS1_3genE2ELNS1_11target_archE906ELNS1_3gpuE6ELNS1_3repE0EEENS1_30default_config_static_selectorELNS0_4arch9wavefront6targetE0EEEvT1_,"axG",@progbits,_ZN7rocprim17ROCPRIM_400000_NS6detail17trampoline_kernelINS0_14default_configENS1_25partition_config_selectorILNS1_17partition_subalgoE5EdNS0_10empty_typeEbEEZZNS1_14partition_implILS5_5ELb0ES3_mN6thrust23THRUST_200600_302600_NS6detail15normal_iteratorINSA_10device_ptrIdEEEEPS6_NSA_18transform_iteratorINSB_9not_fun_tI7is_trueIdEEENSC_INSD_IbEEEENSA_11use_defaultESO_EENS0_5tupleIJNSA_16discard_iteratorISO_EES6_EEENSQ_IJSG_SG_EEES6_PlJS6_EEE10hipError_tPvRmT3_T4_T5_T6_T7_T9_mT8_P12ihipStream_tbDpT10_ENKUlT_T0_E_clISt17integral_constantIbLb1EES1F_EEDaS1A_S1B_EUlS1A_E_NS1_11comp_targetILNS1_3genE2ELNS1_11target_archE906ELNS1_3gpuE6ELNS1_3repE0EEENS1_30default_config_static_selectorELNS0_4arch9wavefront6targetE0EEEvT1_,comdat
.Lfunc_end2601:
	.size	_ZN7rocprim17ROCPRIM_400000_NS6detail17trampoline_kernelINS0_14default_configENS1_25partition_config_selectorILNS1_17partition_subalgoE5EdNS0_10empty_typeEbEEZZNS1_14partition_implILS5_5ELb0ES3_mN6thrust23THRUST_200600_302600_NS6detail15normal_iteratorINSA_10device_ptrIdEEEEPS6_NSA_18transform_iteratorINSB_9not_fun_tI7is_trueIdEEENSC_INSD_IbEEEENSA_11use_defaultESO_EENS0_5tupleIJNSA_16discard_iteratorISO_EES6_EEENSQ_IJSG_SG_EEES6_PlJS6_EEE10hipError_tPvRmT3_T4_T5_T6_T7_T9_mT8_P12ihipStream_tbDpT10_ENKUlT_T0_E_clISt17integral_constantIbLb1EES1F_EEDaS1A_S1B_EUlS1A_E_NS1_11comp_targetILNS1_3genE2ELNS1_11target_archE906ELNS1_3gpuE6ELNS1_3repE0EEENS1_30default_config_static_selectorELNS0_4arch9wavefront6targetE0EEEvT1_, .Lfunc_end2601-_ZN7rocprim17ROCPRIM_400000_NS6detail17trampoline_kernelINS0_14default_configENS1_25partition_config_selectorILNS1_17partition_subalgoE5EdNS0_10empty_typeEbEEZZNS1_14partition_implILS5_5ELb0ES3_mN6thrust23THRUST_200600_302600_NS6detail15normal_iteratorINSA_10device_ptrIdEEEEPS6_NSA_18transform_iteratorINSB_9not_fun_tI7is_trueIdEEENSC_INSD_IbEEEENSA_11use_defaultESO_EENS0_5tupleIJNSA_16discard_iteratorISO_EES6_EEENSQ_IJSG_SG_EEES6_PlJS6_EEE10hipError_tPvRmT3_T4_T5_T6_T7_T9_mT8_P12ihipStream_tbDpT10_ENKUlT_T0_E_clISt17integral_constantIbLb1EES1F_EEDaS1A_S1B_EUlS1A_E_NS1_11comp_targetILNS1_3genE2ELNS1_11target_archE906ELNS1_3gpuE6ELNS1_3repE0EEENS1_30default_config_static_selectorELNS0_4arch9wavefront6targetE0EEEvT1_
                                        ; -- End function
	.set _ZN7rocprim17ROCPRIM_400000_NS6detail17trampoline_kernelINS0_14default_configENS1_25partition_config_selectorILNS1_17partition_subalgoE5EdNS0_10empty_typeEbEEZZNS1_14partition_implILS5_5ELb0ES3_mN6thrust23THRUST_200600_302600_NS6detail15normal_iteratorINSA_10device_ptrIdEEEEPS6_NSA_18transform_iteratorINSB_9not_fun_tI7is_trueIdEEENSC_INSD_IbEEEENSA_11use_defaultESO_EENS0_5tupleIJNSA_16discard_iteratorISO_EES6_EEENSQ_IJSG_SG_EEES6_PlJS6_EEE10hipError_tPvRmT3_T4_T5_T6_T7_T9_mT8_P12ihipStream_tbDpT10_ENKUlT_T0_E_clISt17integral_constantIbLb1EES1F_EEDaS1A_S1B_EUlS1A_E_NS1_11comp_targetILNS1_3genE2ELNS1_11target_archE906ELNS1_3gpuE6ELNS1_3repE0EEENS1_30default_config_static_selectorELNS0_4arch9wavefront6targetE0EEEvT1_.num_vgpr, 0
	.set _ZN7rocprim17ROCPRIM_400000_NS6detail17trampoline_kernelINS0_14default_configENS1_25partition_config_selectorILNS1_17partition_subalgoE5EdNS0_10empty_typeEbEEZZNS1_14partition_implILS5_5ELb0ES3_mN6thrust23THRUST_200600_302600_NS6detail15normal_iteratorINSA_10device_ptrIdEEEEPS6_NSA_18transform_iteratorINSB_9not_fun_tI7is_trueIdEEENSC_INSD_IbEEEENSA_11use_defaultESO_EENS0_5tupleIJNSA_16discard_iteratorISO_EES6_EEENSQ_IJSG_SG_EEES6_PlJS6_EEE10hipError_tPvRmT3_T4_T5_T6_T7_T9_mT8_P12ihipStream_tbDpT10_ENKUlT_T0_E_clISt17integral_constantIbLb1EES1F_EEDaS1A_S1B_EUlS1A_E_NS1_11comp_targetILNS1_3genE2ELNS1_11target_archE906ELNS1_3gpuE6ELNS1_3repE0EEENS1_30default_config_static_selectorELNS0_4arch9wavefront6targetE0EEEvT1_.num_agpr, 0
	.set _ZN7rocprim17ROCPRIM_400000_NS6detail17trampoline_kernelINS0_14default_configENS1_25partition_config_selectorILNS1_17partition_subalgoE5EdNS0_10empty_typeEbEEZZNS1_14partition_implILS5_5ELb0ES3_mN6thrust23THRUST_200600_302600_NS6detail15normal_iteratorINSA_10device_ptrIdEEEEPS6_NSA_18transform_iteratorINSB_9not_fun_tI7is_trueIdEEENSC_INSD_IbEEEENSA_11use_defaultESO_EENS0_5tupleIJNSA_16discard_iteratorISO_EES6_EEENSQ_IJSG_SG_EEES6_PlJS6_EEE10hipError_tPvRmT3_T4_T5_T6_T7_T9_mT8_P12ihipStream_tbDpT10_ENKUlT_T0_E_clISt17integral_constantIbLb1EES1F_EEDaS1A_S1B_EUlS1A_E_NS1_11comp_targetILNS1_3genE2ELNS1_11target_archE906ELNS1_3gpuE6ELNS1_3repE0EEENS1_30default_config_static_selectorELNS0_4arch9wavefront6targetE0EEEvT1_.numbered_sgpr, 0
	.set _ZN7rocprim17ROCPRIM_400000_NS6detail17trampoline_kernelINS0_14default_configENS1_25partition_config_selectorILNS1_17partition_subalgoE5EdNS0_10empty_typeEbEEZZNS1_14partition_implILS5_5ELb0ES3_mN6thrust23THRUST_200600_302600_NS6detail15normal_iteratorINSA_10device_ptrIdEEEEPS6_NSA_18transform_iteratorINSB_9not_fun_tI7is_trueIdEEENSC_INSD_IbEEEENSA_11use_defaultESO_EENS0_5tupleIJNSA_16discard_iteratorISO_EES6_EEENSQ_IJSG_SG_EEES6_PlJS6_EEE10hipError_tPvRmT3_T4_T5_T6_T7_T9_mT8_P12ihipStream_tbDpT10_ENKUlT_T0_E_clISt17integral_constantIbLb1EES1F_EEDaS1A_S1B_EUlS1A_E_NS1_11comp_targetILNS1_3genE2ELNS1_11target_archE906ELNS1_3gpuE6ELNS1_3repE0EEENS1_30default_config_static_selectorELNS0_4arch9wavefront6targetE0EEEvT1_.num_named_barrier, 0
	.set _ZN7rocprim17ROCPRIM_400000_NS6detail17trampoline_kernelINS0_14default_configENS1_25partition_config_selectorILNS1_17partition_subalgoE5EdNS0_10empty_typeEbEEZZNS1_14partition_implILS5_5ELb0ES3_mN6thrust23THRUST_200600_302600_NS6detail15normal_iteratorINSA_10device_ptrIdEEEEPS6_NSA_18transform_iteratorINSB_9not_fun_tI7is_trueIdEEENSC_INSD_IbEEEENSA_11use_defaultESO_EENS0_5tupleIJNSA_16discard_iteratorISO_EES6_EEENSQ_IJSG_SG_EEES6_PlJS6_EEE10hipError_tPvRmT3_T4_T5_T6_T7_T9_mT8_P12ihipStream_tbDpT10_ENKUlT_T0_E_clISt17integral_constantIbLb1EES1F_EEDaS1A_S1B_EUlS1A_E_NS1_11comp_targetILNS1_3genE2ELNS1_11target_archE906ELNS1_3gpuE6ELNS1_3repE0EEENS1_30default_config_static_selectorELNS0_4arch9wavefront6targetE0EEEvT1_.private_seg_size, 0
	.set _ZN7rocprim17ROCPRIM_400000_NS6detail17trampoline_kernelINS0_14default_configENS1_25partition_config_selectorILNS1_17partition_subalgoE5EdNS0_10empty_typeEbEEZZNS1_14partition_implILS5_5ELb0ES3_mN6thrust23THRUST_200600_302600_NS6detail15normal_iteratorINSA_10device_ptrIdEEEEPS6_NSA_18transform_iteratorINSB_9not_fun_tI7is_trueIdEEENSC_INSD_IbEEEENSA_11use_defaultESO_EENS0_5tupleIJNSA_16discard_iteratorISO_EES6_EEENSQ_IJSG_SG_EEES6_PlJS6_EEE10hipError_tPvRmT3_T4_T5_T6_T7_T9_mT8_P12ihipStream_tbDpT10_ENKUlT_T0_E_clISt17integral_constantIbLb1EES1F_EEDaS1A_S1B_EUlS1A_E_NS1_11comp_targetILNS1_3genE2ELNS1_11target_archE906ELNS1_3gpuE6ELNS1_3repE0EEENS1_30default_config_static_selectorELNS0_4arch9wavefront6targetE0EEEvT1_.uses_vcc, 0
	.set _ZN7rocprim17ROCPRIM_400000_NS6detail17trampoline_kernelINS0_14default_configENS1_25partition_config_selectorILNS1_17partition_subalgoE5EdNS0_10empty_typeEbEEZZNS1_14partition_implILS5_5ELb0ES3_mN6thrust23THRUST_200600_302600_NS6detail15normal_iteratorINSA_10device_ptrIdEEEEPS6_NSA_18transform_iteratorINSB_9not_fun_tI7is_trueIdEEENSC_INSD_IbEEEENSA_11use_defaultESO_EENS0_5tupleIJNSA_16discard_iteratorISO_EES6_EEENSQ_IJSG_SG_EEES6_PlJS6_EEE10hipError_tPvRmT3_T4_T5_T6_T7_T9_mT8_P12ihipStream_tbDpT10_ENKUlT_T0_E_clISt17integral_constantIbLb1EES1F_EEDaS1A_S1B_EUlS1A_E_NS1_11comp_targetILNS1_3genE2ELNS1_11target_archE906ELNS1_3gpuE6ELNS1_3repE0EEENS1_30default_config_static_selectorELNS0_4arch9wavefront6targetE0EEEvT1_.uses_flat_scratch, 0
	.set _ZN7rocprim17ROCPRIM_400000_NS6detail17trampoline_kernelINS0_14default_configENS1_25partition_config_selectorILNS1_17partition_subalgoE5EdNS0_10empty_typeEbEEZZNS1_14partition_implILS5_5ELb0ES3_mN6thrust23THRUST_200600_302600_NS6detail15normal_iteratorINSA_10device_ptrIdEEEEPS6_NSA_18transform_iteratorINSB_9not_fun_tI7is_trueIdEEENSC_INSD_IbEEEENSA_11use_defaultESO_EENS0_5tupleIJNSA_16discard_iteratorISO_EES6_EEENSQ_IJSG_SG_EEES6_PlJS6_EEE10hipError_tPvRmT3_T4_T5_T6_T7_T9_mT8_P12ihipStream_tbDpT10_ENKUlT_T0_E_clISt17integral_constantIbLb1EES1F_EEDaS1A_S1B_EUlS1A_E_NS1_11comp_targetILNS1_3genE2ELNS1_11target_archE906ELNS1_3gpuE6ELNS1_3repE0EEENS1_30default_config_static_selectorELNS0_4arch9wavefront6targetE0EEEvT1_.has_dyn_sized_stack, 0
	.set _ZN7rocprim17ROCPRIM_400000_NS6detail17trampoline_kernelINS0_14default_configENS1_25partition_config_selectorILNS1_17partition_subalgoE5EdNS0_10empty_typeEbEEZZNS1_14partition_implILS5_5ELb0ES3_mN6thrust23THRUST_200600_302600_NS6detail15normal_iteratorINSA_10device_ptrIdEEEEPS6_NSA_18transform_iteratorINSB_9not_fun_tI7is_trueIdEEENSC_INSD_IbEEEENSA_11use_defaultESO_EENS0_5tupleIJNSA_16discard_iteratorISO_EES6_EEENSQ_IJSG_SG_EEES6_PlJS6_EEE10hipError_tPvRmT3_T4_T5_T6_T7_T9_mT8_P12ihipStream_tbDpT10_ENKUlT_T0_E_clISt17integral_constantIbLb1EES1F_EEDaS1A_S1B_EUlS1A_E_NS1_11comp_targetILNS1_3genE2ELNS1_11target_archE906ELNS1_3gpuE6ELNS1_3repE0EEENS1_30default_config_static_selectorELNS0_4arch9wavefront6targetE0EEEvT1_.has_recursion, 0
	.set _ZN7rocprim17ROCPRIM_400000_NS6detail17trampoline_kernelINS0_14default_configENS1_25partition_config_selectorILNS1_17partition_subalgoE5EdNS0_10empty_typeEbEEZZNS1_14partition_implILS5_5ELb0ES3_mN6thrust23THRUST_200600_302600_NS6detail15normal_iteratorINSA_10device_ptrIdEEEEPS6_NSA_18transform_iteratorINSB_9not_fun_tI7is_trueIdEEENSC_INSD_IbEEEENSA_11use_defaultESO_EENS0_5tupleIJNSA_16discard_iteratorISO_EES6_EEENSQ_IJSG_SG_EEES6_PlJS6_EEE10hipError_tPvRmT3_T4_T5_T6_T7_T9_mT8_P12ihipStream_tbDpT10_ENKUlT_T0_E_clISt17integral_constantIbLb1EES1F_EEDaS1A_S1B_EUlS1A_E_NS1_11comp_targetILNS1_3genE2ELNS1_11target_archE906ELNS1_3gpuE6ELNS1_3repE0EEENS1_30default_config_static_selectorELNS0_4arch9wavefront6targetE0EEEvT1_.has_indirect_call, 0
	.section	.AMDGPU.csdata,"",@progbits
; Kernel info:
; codeLenInByte = 0
; TotalNumSgprs: 0
; NumVgprs: 0
; ScratchSize: 0
; MemoryBound: 0
; FloatMode: 240
; IeeeMode: 1
; LDSByteSize: 0 bytes/workgroup (compile time only)
; SGPRBlocks: 0
; VGPRBlocks: 0
; NumSGPRsForWavesPerEU: 1
; NumVGPRsForWavesPerEU: 1
; Occupancy: 16
; WaveLimiterHint : 0
; COMPUTE_PGM_RSRC2:SCRATCH_EN: 0
; COMPUTE_PGM_RSRC2:USER_SGPR: 2
; COMPUTE_PGM_RSRC2:TRAP_HANDLER: 0
; COMPUTE_PGM_RSRC2:TGID_X_EN: 1
; COMPUTE_PGM_RSRC2:TGID_Y_EN: 0
; COMPUTE_PGM_RSRC2:TGID_Z_EN: 0
; COMPUTE_PGM_RSRC2:TIDIG_COMP_CNT: 0
	.section	.text._ZN7rocprim17ROCPRIM_400000_NS6detail17trampoline_kernelINS0_14default_configENS1_25partition_config_selectorILNS1_17partition_subalgoE5EdNS0_10empty_typeEbEEZZNS1_14partition_implILS5_5ELb0ES3_mN6thrust23THRUST_200600_302600_NS6detail15normal_iteratorINSA_10device_ptrIdEEEEPS6_NSA_18transform_iteratorINSB_9not_fun_tI7is_trueIdEEENSC_INSD_IbEEEENSA_11use_defaultESO_EENS0_5tupleIJNSA_16discard_iteratorISO_EES6_EEENSQ_IJSG_SG_EEES6_PlJS6_EEE10hipError_tPvRmT3_T4_T5_T6_T7_T9_mT8_P12ihipStream_tbDpT10_ENKUlT_T0_E_clISt17integral_constantIbLb1EES1F_EEDaS1A_S1B_EUlS1A_E_NS1_11comp_targetILNS1_3genE10ELNS1_11target_archE1200ELNS1_3gpuE4ELNS1_3repE0EEENS1_30default_config_static_selectorELNS0_4arch9wavefront6targetE0EEEvT1_,"axG",@progbits,_ZN7rocprim17ROCPRIM_400000_NS6detail17trampoline_kernelINS0_14default_configENS1_25partition_config_selectorILNS1_17partition_subalgoE5EdNS0_10empty_typeEbEEZZNS1_14partition_implILS5_5ELb0ES3_mN6thrust23THRUST_200600_302600_NS6detail15normal_iteratorINSA_10device_ptrIdEEEEPS6_NSA_18transform_iteratorINSB_9not_fun_tI7is_trueIdEEENSC_INSD_IbEEEENSA_11use_defaultESO_EENS0_5tupleIJNSA_16discard_iteratorISO_EES6_EEENSQ_IJSG_SG_EEES6_PlJS6_EEE10hipError_tPvRmT3_T4_T5_T6_T7_T9_mT8_P12ihipStream_tbDpT10_ENKUlT_T0_E_clISt17integral_constantIbLb1EES1F_EEDaS1A_S1B_EUlS1A_E_NS1_11comp_targetILNS1_3genE10ELNS1_11target_archE1200ELNS1_3gpuE4ELNS1_3repE0EEENS1_30default_config_static_selectorELNS0_4arch9wavefront6targetE0EEEvT1_,comdat
	.protected	_ZN7rocprim17ROCPRIM_400000_NS6detail17trampoline_kernelINS0_14default_configENS1_25partition_config_selectorILNS1_17partition_subalgoE5EdNS0_10empty_typeEbEEZZNS1_14partition_implILS5_5ELb0ES3_mN6thrust23THRUST_200600_302600_NS6detail15normal_iteratorINSA_10device_ptrIdEEEEPS6_NSA_18transform_iteratorINSB_9not_fun_tI7is_trueIdEEENSC_INSD_IbEEEENSA_11use_defaultESO_EENS0_5tupleIJNSA_16discard_iteratorISO_EES6_EEENSQ_IJSG_SG_EEES6_PlJS6_EEE10hipError_tPvRmT3_T4_T5_T6_T7_T9_mT8_P12ihipStream_tbDpT10_ENKUlT_T0_E_clISt17integral_constantIbLb1EES1F_EEDaS1A_S1B_EUlS1A_E_NS1_11comp_targetILNS1_3genE10ELNS1_11target_archE1200ELNS1_3gpuE4ELNS1_3repE0EEENS1_30default_config_static_selectorELNS0_4arch9wavefront6targetE0EEEvT1_ ; -- Begin function _ZN7rocprim17ROCPRIM_400000_NS6detail17trampoline_kernelINS0_14default_configENS1_25partition_config_selectorILNS1_17partition_subalgoE5EdNS0_10empty_typeEbEEZZNS1_14partition_implILS5_5ELb0ES3_mN6thrust23THRUST_200600_302600_NS6detail15normal_iteratorINSA_10device_ptrIdEEEEPS6_NSA_18transform_iteratorINSB_9not_fun_tI7is_trueIdEEENSC_INSD_IbEEEENSA_11use_defaultESO_EENS0_5tupleIJNSA_16discard_iteratorISO_EES6_EEENSQ_IJSG_SG_EEES6_PlJS6_EEE10hipError_tPvRmT3_T4_T5_T6_T7_T9_mT8_P12ihipStream_tbDpT10_ENKUlT_T0_E_clISt17integral_constantIbLb1EES1F_EEDaS1A_S1B_EUlS1A_E_NS1_11comp_targetILNS1_3genE10ELNS1_11target_archE1200ELNS1_3gpuE4ELNS1_3repE0EEENS1_30default_config_static_selectorELNS0_4arch9wavefront6targetE0EEEvT1_
	.globl	_ZN7rocprim17ROCPRIM_400000_NS6detail17trampoline_kernelINS0_14default_configENS1_25partition_config_selectorILNS1_17partition_subalgoE5EdNS0_10empty_typeEbEEZZNS1_14partition_implILS5_5ELb0ES3_mN6thrust23THRUST_200600_302600_NS6detail15normal_iteratorINSA_10device_ptrIdEEEEPS6_NSA_18transform_iteratorINSB_9not_fun_tI7is_trueIdEEENSC_INSD_IbEEEENSA_11use_defaultESO_EENS0_5tupleIJNSA_16discard_iteratorISO_EES6_EEENSQ_IJSG_SG_EEES6_PlJS6_EEE10hipError_tPvRmT3_T4_T5_T6_T7_T9_mT8_P12ihipStream_tbDpT10_ENKUlT_T0_E_clISt17integral_constantIbLb1EES1F_EEDaS1A_S1B_EUlS1A_E_NS1_11comp_targetILNS1_3genE10ELNS1_11target_archE1200ELNS1_3gpuE4ELNS1_3repE0EEENS1_30default_config_static_selectorELNS0_4arch9wavefront6targetE0EEEvT1_
	.p2align	8
	.type	_ZN7rocprim17ROCPRIM_400000_NS6detail17trampoline_kernelINS0_14default_configENS1_25partition_config_selectorILNS1_17partition_subalgoE5EdNS0_10empty_typeEbEEZZNS1_14partition_implILS5_5ELb0ES3_mN6thrust23THRUST_200600_302600_NS6detail15normal_iteratorINSA_10device_ptrIdEEEEPS6_NSA_18transform_iteratorINSB_9not_fun_tI7is_trueIdEEENSC_INSD_IbEEEENSA_11use_defaultESO_EENS0_5tupleIJNSA_16discard_iteratorISO_EES6_EEENSQ_IJSG_SG_EEES6_PlJS6_EEE10hipError_tPvRmT3_T4_T5_T6_T7_T9_mT8_P12ihipStream_tbDpT10_ENKUlT_T0_E_clISt17integral_constantIbLb1EES1F_EEDaS1A_S1B_EUlS1A_E_NS1_11comp_targetILNS1_3genE10ELNS1_11target_archE1200ELNS1_3gpuE4ELNS1_3repE0EEENS1_30default_config_static_selectorELNS0_4arch9wavefront6targetE0EEEvT1_,@function
_ZN7rocprim17ROCPRIM_400000_NS6detail17trampoline_kernelINS0_14default_configENS1_25partition_config_selectorILNS1_17partition_subalgoE5EdNS0_10empty_typeEbEEZZNS1_14partition_implILS5_5ELb0ES3_mN6thrust23THRUST_200600_302600_NS6detail15normal_iteratorINSA_10device_ptrIdEEEEPS6_NSA_18transform_iteratorINSB_9not_fun_tI7is_trueIdEEENSC_INSD_IbEEEENSA_11use_defaultESO_EENS0_5tupleIJNSA_16discard_iteratorISO_EES6_EEENSQ_IJSG_SG_EEES6_PlJS6_EEE10hipError_tPvRmT3_T4_T5_T6_T7_T9_mT8_P12ihipStream_tbDpT10_ENKUlT_T0_E_clISt17integral_constantIbLb1EES1F_EEDaS1A_S1B_EUlS1A_E_NS1_11comp_targetILNS1_3genE10ELNS1_11target_archE1200ELNS1_3gpuE4ELNS1_3repE0EEENS1_30default_config_static_selectorELNS0_4arch9wavefront6targetE0EEEvT1_: ; @_ZN7rocprim17ROCPRIM_400000_NS6detail17trampoline_kernelINS0_14default_configENS1_25partition_config_selectorILNS1_17partition_subalgoE5EdNS0_10empty_typeEbEEZZNS1_14partition_implILS5_5ELb0ES3_mN6thrust23THRUST_200600_302600_NS6detail15normal_iteratorINSA_10device_ptrIdEEEEPS6_NSA_18transform_iteratorINSB_9not_fun_tI7is_trueIdEEENSC_INSD_IbEEEENSA_11use_defaultESO_EENS0_5tupleIJNSA_16discard_iteratorISO_EES6_EEENSQ_IJSG_SG_EEES6_PlJS6_EEE10hipError_tPvRmT3_T4_T5_T6_T7_T9_mT8_P12ihipStream_tbDpT10_ENKUlT_T0_E_clISt17integral_constantIbLb1EES1F_EEDaS1A_S1B_EUlS1A_E_NS1_11comp_targetILNS1_3genE10ELNS1_11target_archE1200ELNS1_3gpuE4ELNS1_3repE0EEENS1_30default_config_static_selectorELNS0_4arch9wavefront6targetE0EEEvT1_
; %bb.0:
	s_endpgm
	.section	.rodata,"a",@progbits
	.p2align	6, 0x0
	.amdhsa_kernel _ZN7rocprim17ROCPRIM_400000_NS6detail17trampoline_kernelINS0_14default_configENS1_25partition_config_selectorILNS1_17partition_subalgoE5EdNS0_10empty_typeEbEEZZNS1_14partition_implILS5_5ELb0ES3_mN6thrust23THRUST_200600_302600_NS6detail15normal_iteratorINSA_10device_ptrIdEEEEPS6_NSA_18transform_iteratorINSB_9not_fun_tI7is_trueIdEEENSC_INSD_IbEEEENSA_11use_defaultESO_EENS0_5tupleIJNSA_16discard_iteratorISO_EES6_EEENSQ_IJSG_SG_EEES6_PlJS6_EEE10hipError_tPvRmT3_T4_T5_T6_T7_T9_mT8_P12ihipStream_tbDpT10_ENKUlT_T0_E_clISt17integral_constantIbLb1EES1F_EEDaS1A_S1B_EUlS1A_E_NS1_11comp_targetILNS1_3genE10ELNS1_11target_archE1200ELNS1_3gpuE4ELNS1_3repE0EEENS1_30default_config_static_selectorELNS0_4arch9wavefront6targetE0EEEvT1_
		.amdhsa_group_segment_fixed_size 0
		.amdhsa_private_segment_fixed_size 0
		.amdhsa_kernarg_size 144
		.amdhsa_user_sgpr_count 2
		.amdhsa_user_sgpr_dispatch_ptr 0
		.amdhsa_user_sgpr_queue_ptr 0
		.amdhsa_user_sgpr_kernarg_segment_ptr 1
		.amdhsa_user_sgpr_dispatch_id 0
		.amdhsa_user_sgpr_private_segment_size 0
		.amdhsa_wavefront_size32 1
		.amdhsa_uses_dynamic_stack 0
		.amdhsa_enable_private_segment 0
		.amdhsa_system_sgpr_workgroup_id_x 1
		.amdhsa_system_sgpr_workgroup_id_y 0
		.amdhsa_system_sgpr_workgroup_id_z 0
		.amdhsa_system_sgpr_workgroup_info 0
		.amdhsa_system_vgpr_workitem_id 0
		.amdhsa_next_free_vgpr 1
		.amdhsa_next_free_sgpr 1
		.amdhsa_reserve_vcc 0
		.amdhsa_float_round_mode_32 0
		.amdhsa_float_round_mode_16_64 0
		.amdhsa_float_denorm_mode_32 3
		.amdhsa_float_denorm_mode_16_64 3
		.amdhsa_fp16_overflow 0
		.amdhsa_workgroup_processor_mode 1
		.amdhsa_memory_ordered 1
		.amdhsa_forward_progress 1
		.amdhsa_inst_pref_size 1
		.amdhsa_round_robin_scheduling 0
		.amdhsa_exception_fp_ieee_invalid_op 0
		.amdhsa_exception_fp_denorm_src 0
		.amdhsa_exception_fp_ieee_div_zero 0
		.amdhsa_exception_fp_ieee_overflow 0
		.amdhsa_exception_fp_ieee_underflow 0
		.amdhsa_exception_fp_ieee_inexact 0
		.amdhsa_exception_int_div_zero 0
	.end_amdhsa_kernel
	.section	.text._ZN7rocprim17ROCPRIM_400000_NS6detail17trampoline_kernelINS0_14default_configENS1_25partition_config_selectorILNS1_17partition_subalgoE5EdNS0_10empty_typeEbEEZZNS1_14partition_implILS5_5ELb0ES3_mN6thrust23THRUST_200600_302600_NS6detail15normal_iteratorINSA_10device_ptrIdEEEEPS6_NSA_18transform_iteratorINSB_9not_fun_tI7is_trueIdEEENSC_INSD_IbEEEENSA_11use_defaultESO_EENS0_5tupleIJNSA_16discard_iteratorISO_EES6_EEENSQ_IJSG_SG_EEES6_PlJS6_EEE10hipError_tPvRmT3_T4_T5_T6_T7_T9_mT8_P12ihipStream_tbDpT10_ENKUlT_T0_E_clISt17integral_constantIbLb1EES1F_EEDaS1A_S1B_EUlS1A_E_NS1_11comp_targetILNS1_3genE10ELNS1_11target_archE1200ELNS1_3gpuE4ELNS1_3repE0EEENS1_30default_config_static_selectorELNS0_4arch9wavefront6targetE0EEEvT1_,"axG",@progbits,_ZN7rocprim17ROCPRIM_400000_NS6detail17trampoline_kernelINS0_14default_configENS1_25partition_config_selectorILNS1_17partition_subalgoE5EdNS0_10empty_typeEbEEZZNS1_14partition_implILS5_5ELb0ES3_mN6thrust23THRUST_200600_302600_NS6detail15normal_iteratorINSA_10device_ptrIdEEEEPS6_NSA_18transform_iteratorINSB_9not_fun_tI7is_trueIdEEENSC_INSD_IbEEEENSA_11use_defaultESO_EENS0_5tupleIJNSA_16discard_iteratorISO_EES6_EEENSQ_IJSG_SG_EEES6_PlJS6_EEE10hipError_tPvRmT3_T4_T5_T6_T7_T9_mT8_P12ihipStream_tbDpT10_ENKUlT_T0_E_clISt17integral_constantIbLb1EES1F_EEDaS1A_S1B_EUlS1A_E_NS1_11comp_targetILNS1_3genE10ELNS1_11target_archE1200ELNS1_3gpuE4ELNS1_3repE0EEENS1_30default_config_static_selectorELNS0_4arch9wavefront6targetE0EEEvT1_,comdat
.Lfunc_end2602:
	.size	_ZN7rocprim17ROCPRIM_400000_NS6detail17trampoline_kernelINS0_14default_configENS1_25partition_config_selectorILNS1_17partition_subalgoE5EdNS0_10empty_typeEbEEZZNS1_14partition_implILS5_5ELb0ES3_mN6thrust23THRUST_200600_302600_NS6detail15normal_iteratorINSA_10device_ptrIdEEEEPS6_NSA_18transform_iteratorINSB_9not_fun_tI7is_trueIdEEENSC_INSD_IbEEEENSA_11use_defaultESO_EENS0_5tupleIJNSA_16discard_iteratorISO_EES6_EEENSQ_IJSG_SG_EEES6_PlJS6_EEE10hipError_tPvRmT3_T4_T5_T6_T7_T9_mT8_P12ihipStream_tbDpT10_ENKUlT_T0_E_clISt17integral_constantIbLb1EES1F_EEDaS1A_S1B_EUlS1A_E_NS1_11comp_targetILNS1_3genE10ELNS1_11target_archE1200ELNS1_3gpuE4ELNS1_3repE0EEENS1_30default_config_static_selectorELNS0_4arch9wavefront6targetE0EEEvT1_, .Lfunc_end2602-_ZN7rocprim17ROCPRIM_400000_NS6detail17trampoline_kernelINS0_14default_configENS1_25partition_config_selectorILNS1_17partition_subalgoE5EdNS0_10empty_typeEbEEZZNS1_14partition_implILS5_5ELb0ES3_mN6thrust23THRUST_200600_302600_NS6detail15normal_iteratorINSA_10device_ptrIdEEEEPS6_NSA_18transform_iteratorINSB_9not_fun_tI7is_trueIdEEENSC_INSD_IbEEEENSA_11use_defaultESO_EENS0_5tupleIJNSA_16discard_iteratorISO_EES6_EEENSQ_IJSG_SG_EEES6_PlJS6_EEE10hipError_tPvRmT3_T4_T5_T6_T7_T9_mT8_P12ihipStream_tbDpT10_ENKUlT_T0_E_clISt17integral_constantIbLb1EES1F_EEDaS1A_S1B_EUlS1A_E_NS1_11comp_targetILNS1_3genE10ELNS1_11target_archE1200ELNS1_3gpuE4ELNS1_3repE0EEENS1_30default_config_static_selectorELNS0_4arch9wavefront6targetE0EEEvT1_
                                        ; -- End function
	.set _ZN7rocprim17ROCPRIM_400000_NS6detail17trampoline_kernelINS0_14default_configENS1_25partition_config_selectorILNS1_17partition_subalgoE5EdNS0_10empty_typeEbEEZZNS1_14partition_implILS5_5ELb0ES3_mN6thrust23THRUST_200600_302600_NS6detail15normal_iteratorINSA_10device_ptrIdEEEEPS6_NSA_18transform_iteratorINSB_9not_fun_tI7is_trueIdEEENSC_INSD_IbEEEENSA_11use_defaultESO_EENS0_5tupleIJNSA_16discard_iteratorISO_EES6_EEENSQ_IJSG_SG_EEES6_PlJS6_EEE10hipError_tPvRmT3_T4_T5_T6_T7_T9_mT8_P12ihipStream_tbDpT10_ENKUlT_T0_E_clISt17integral_constantIbLb1EES1F_EEDaS1A_S1B_EUlS1A_E_NS1_11comp_targetILNS1_3genE10ELNS1_11target_archE1200ELNS1_3gpuE4ELNS1_3repE0EEENS1_30default_config_static_selectorELNS0_4arch9wavefront6targetE0EEEvT1_.num_vgpr, 0
	.set _ZN7rocprim17ROCPRIM_400000_NS6detail17trampoline_kernelINS0_14default_configENS1_25partition_config_selectorILNS1_17partition_subalgoE5EdNS0_10empty_typeEbEEZZNS1_14partition_implILS5_5ELb0ES3_mN6thrust23THRUST_200600_302600_NS6detail15normal_iteratorINSA_10device_ptrIdEEEEPS6_NSA_18transform_iteratorINSB_9not_fun_tI7is_trueIdEEENSC_INSD_IbEEEENSA_11use_defaultESO_EENS0_5tupleIJNSA_16discard_iteratorISO_EES6_EEENSQ_IJSG_SG_EEES6_PlJS6_EEE10hipError_tPvRmT3_T4_T5_T6_T7_T9_mT8_P12ihipStream_tbDpT10_ENKUlT_T0_E_clISt17integral_constantIbLb1EES1F_EEDaS1A_S1B_EUlS1A_E_NS1_11comp_targetILNS1_3genE10ELNS1_11target_archE1200ELNS1_3gpuE4ELNS1_3repE0EEENS1_30default_config_static_selectorELNS0_4arch9wavefront6targetE0EEEvT1_.num_agpr, 0
	.set _ZN7rocprim17ROCPRIM_400000_NS6detail17trampoline_kernelINS0_14default_configENS1_25partition_config_selectorILNS1_17partition_subalgoE5EdNS0_10empty_typeEbEEZZNS1_14partition_implILS5_5ELb0ES3_mN6thrust23THRUST_200600_302600_NS6detail15normal_iteratorINSA_10device_ptrIdEEEEPS6_NSA_18transform_iteratorINSB_9not_fun_tI7is_trueIdEEENSC_INSD_IbEEEENSA_11use_defaultESO_EENS0_5tupleIJNSA_16discard_iteratorISO_EES6_EEENSQ_IJSG_SG_EEES6_PlJS6_EEE10hipError_tPvRmT3_T4_T5_T6_T7_T9_mT8_P12ihipStream_tbDpT10_ENKUlT_T0_E_clISt17integral_constantIbLb1EES1F_EEDaS1A_S1B_EUlS1A_E_NS1_11comp_targetILNS1_3genE10ELNS1_11target_archE1200ELNS1_3gpuE4ELNS1_3repE0EEENS1_30default_config_static_selectorELNS0_4arch9wavefront6targetE0EEEvT1_.numbered_sgpr, 0
	.set _ZN7rocprim17ROCPRIM_400000_NS6detail17trampoline_kernelINS0_14default_configENS1_25partition_config_selectorILNS1_17partition_subalgoE5EdNS0_10empty_typeEbEEZZNS1_14partition_implILS5_5ELb0ES3_mN6thrust23THRUST_200600_302600_NS6detail15normal_iteratorINSA_10device_ptrIdEEEEPS6_NSA_18transform_iteratorINSB_9not_fun_tI7is_trueIdEEENSC_INSD_IbEEEENSA_11use_defaultESO_EENS0_5tupleIJNSA_16discard_iteratorISO_EES6_EEENSQ_IJSG_SG_EEES6_PlJS6_EEE10hipError_tPvRmT3_T4_T5_T6_T7_T9_mT8_P12ihipStream_tbDpT10_ENKUlT_T0_E_clISt17integral_constantIbLb1EES1F_EEDaS1A_S1B_EUlS1A_E_NS1_11comp_targetILNS1_3genE10ELNS1_11target_archE1200ELNS1_3gpuE4ELNS1_3repE0EEENS1_30default_config_static_selectorELNS0_4arch9wavefront6targetE0EEEvT1_.num_named_barrier, 0
	.set _ZN7rocprim17ROCPRIM_400000_NS6detail17trampoline_kernelINS0_14default_configENS1_25partition_config_selectorILNS1_17partition_subalgoE5EdNS0_10empty_typeEbEEZZNS1_14partition_implILS5_5ELb0ES3_mN6thrust23THRUST_200600_302600_NS6detail15normal_iteratorINSA_10device_ptrIdEEEEPS6_NSA_18transform_iteratorINSB_9not_fun_tI7is_trueIdEEENSC_INSD_IbEEEENSA_11use_defaultESO_EENS0_5tupleIJNSA_16discard_iteratorISO_EES6_EEENSQ_IJSG_SG_EEES6_PlJS6_EEE10hipError_tPvRmT3_T4_T5_T6_T7_T9_mT8_P12ihipStream_tbDpT10_ENKUlT_T0_E_clISt17integral_constantIbLb1EES1F_EEDaS1A_S1B_EUlS1A_E_NS1_11comp_targetILNS1_3genE10ELNS1_11target_archE1200ELNS1_3gpuE4ELNS1_3repE0EEENS1_30default_config_static_selectorELNS0_4arch9wavefront6targetE0EEEvT1_.private_seg_size, 0
	.set _ZN7rocprim17ROCPRIM_400000_NS6detail17trampoline_kernelINS0_14default_configENS1_25partition_config_selectorILNS1_17partition_subalgoE5EdNS0_10empty_typeEbEEZZNS1_14partition_implILS5_5ELb0ES3_mN6thrust23THRUST_200600_302600_NS6detail15normal_iteratorINSA_10device_ptrIdEEEEPS6_NSA_18transform_iteratorINSB_9not_fun_tI7is_trueIdEEENSC_INSD_IbEEEENSA_11use_defaultESO_EENS0_5tupleIJNSA_16discard_iteratorISO_EES6_EEENSQ_IJSG_SG_EEES6_PlJS6_EEE10hipError_tPvRmT3_T4_T5_T6_T7_T9_mT8_P12ihipStream_tbDpT10_ENKUlT_T0_E_clISt17integral_constantIbLb1EES1F_EEDaS1A_S1B_EUlS1A_E_NS1_11comp_targetILNS1_3genE10ELNS1_11target_archE1200ELNS1_3gpuE4ELNS1_3repE0EEENS1_30default_config_static_selectorELNS0_4arch9wavefront6targetE0EEEvT1_.uses_vcc, 0
	.set _ZN7rocprim17ROCPRIM_400000_NS6detail17trampoline_kernelINS0_14default_configENS1_25partition_config_selectorILNS1_17partition_subalgoE5EdNS0_10empty_typeEbEEZZNS1_14partition_implILS5_5ELb0ES3_mN6thrust23THRUST_200600_302600_NS6detail15normal_iteratorINSA_10device_ptrIdEEEEPS6_NSA_18transform_iteratorINSB_9not_fun_tI7is_trueIdEEENSC_INSD_IbEEEENSA_11use_defaultESO_EENS0_5tupleIJNSA_16discard_iteratorISO_EES6_EEENSQ_IJSG_SG_EEES6_PlJS6_EEE10hipError_tPvRmT3_T4_T5_T6_T7_T9_mT8_P12ihipStream_tbDpT10_ENKUlT_T0_E_clISt17integral_constantIbLb1EES1F_EEDaS1A_S1B_EUlS1A_E_NS1_11comp_targetILNS1_3genE10ELNS1_11target_archE1200ELNS1_3gpuE4ELNS1_3repE0EEENS1_30default_config_static_selectorELNS0_4arch9wavefront6targetE0EEEvT1_.uses_flat_scratch, 0
	.set _ZN7rocprim17ROCPRIM_400000_NS6detail17trampoline_kernelINS0_14default_configENS1_25partition_config_selectorILNS1_17partition_subalgoE5EdNS0_10empty_typeEbEEZZNS1_14partition_implILS5_5ELb0ES3_mN6thrust23THRUST_200600_302600_NS6detail15normal_iteratorINSA_10device_ptrIdEEEEPS6_NSA_18transform_iteratorINSB_9not_fun_tI7is_trueIdEEENSC_INSD_IbEEEENSA_11use_defaultESO_EENS0_5tupleIJNSA_16discard_iteratorISO_EES6_EEENSQ_IJSG_SG_EEES6_PlJS6_EEE10hipError_tPvRmT3_T4_T5_T6_T7_T9_mT8_P12ihipStream_tbDpT10_ENKUlT_T0_E_clISt17integral_constantIbLb1EES1F_EEDaS1A_S1B_EUlS1A_E_NS1_11comp_targetILNS1_3genE10ELNS1_11target_archE1200ELNS1_3gpuE4ELNS1_3repE0EEENS1_30default_config_static_selectorELNS0_4arch9wavefront6targetE0EEEvT1_.has_dyn_sized_stack, 0
	.set _ZN7rocprim17ROCPRIM_400000_NS6detail17trampoline_kernelINS0_14default_configENS1_25partition_config_selectorILNS1_17partition_subalgoE5EdNS0_10empty_typeEbEEZZNS1_14partition_implILS5_5ELb0ES3_mN6thrust23THRUST_200600_302600_NS6detail15normal_iteratorINSA_10device_ptrIdEEEEPS6_NSA_18transform_iteratorINSB_9not_fun_tI7is_trueIdEEENSC_INSD_IbEEEENSA_11use_defaultESO_EENS0_5tupleIJNSA_16discard_iteratorISO_EES6_EEENSQ_IJSG_SG_EEES6_PlJS6_EEE10hipError_tPvRmT3_T4_T5_T6_T7_T9_mT8_P12ihipStream_tbDpT10_ENKUlT_T0_E_clISt17integral_constantIbLb1EES1F_EEDaS1A_S1B_EUlS1A_E_NS1_11comp_targetILNS1_3genE10ELNS1_11target_archE1200ELNS1_3gpuE4ELNS1_3repE0EEENS1_30default_config_static_selectorELNS0_4arch9wavefront6targetE0EEEvT1_.has_recursion, 0
	.set _ZN7rocprim17ROCPRIM_400000_NS6detail17trampoline_kernelINS0_14default_configENS1_25partition_config_selectorILNS1_17partition_subalgoE5EdNS0_10empty_typeEbEEZZNS1_14partition_implILS5_5ELb0ES3_mN6thrust23THRUST_200600_302600_NS6detail15normal_iteratorINSA_10device_ptrIdEEEEPS6_NSA_18transform_iteratorINSB_9not_fun_tI7is_trueIdEEENSC_INSD_IbEEEENSA_11use_defaultESO_EENS0_5tupleIJNSA_16discard_iteratorISO_EES6_EEENSQ_IJSG_SG_EEES6_PlJS6_EEE10hipError_tPvRmT3_T4_T5_T6_T7_T9_mT8_P12ihipStream_tbDpT10_ENKUlT_T0_E_clISt17integral_constantIbLb1EES1F_EEDaS1A_S1B_EUlS1A_E_NS1_11comp_targetILNS1_3genE10ELNS1_11target_archE1200ELNS1_3gpuE4ELNS1_3repE0EEENS1_30default_config_static_selectorELNS0_4arch9wavefront6targetE0EEEvT1_.has_indirect_call, 0
	.section	.AMDGPU.csdata,"",@progbits
; Kernel info:
; codeLenInByte = 4
; TotalNumSgprs: 0
; NumVgprs: 0
; ScratchSize: 0
; MemoryBound: 0
; FloatMode: 240
; IeeeMode: 1
; LDSByteSize: 0 bytes/workgroup (compile time only)
; SGPRBlocks: 0
; VGPRBlocks: 0
; NumSGPRsForWavesPerEU: 1
; NumVGPRsForWavesPerEU: 1
; Occupancy: 16
; WaveLimiterHint : 0
; COMPUTE_PGM_RSRC2:SCRATCH_EN: 0
; COMPUTE_PGM_RSRC2:USER_SGPR: 2
; COMPUTE_PGM_RSRC2:TRAP_HANDLER: 0
; COMPUTE_PGM_RSRC2:TGID_X_EN: 1
; COMPUTE_PGM_RSRC2:TGID_Y_EN: 0
; COMPUTE_PGM_RSRC2:TGID_Z_EN: 0
; COMPUTE_PGM_RSRC2:TIDIG_COMP_CNT: 0
	.section	.text._ZN7rocprim17ROCPRIM_400000_NS6detail17trampoline_kernelINS0_14default_configENS1_25partition_config_selectorILNS1_17partition_subalgoE5EdNS0_10empty_typeEbEEZZNS1_14partition_implILS5_5ELb0ES3_mN6thrust23THRUST_200600_302600_NS6detail15normal_iteratorINSA_10device_ptrIdEEEEPS6_NSA_18transform_iteratorINSB_9not_fun_tI7is_trueIdEEENSC_INSD_IbEEEENSA_11use_defaultESO_EENS0_5tupleIJNSA_16discard_iteratorISO_EES6_EEENSQ_IJSG_SG_EEES6_PlJS6_EEE10hipError_tPvRmT3_T4_T5_T6_T7_T9_mT8_P12ihipStream_tbDpT10_ENKUlT_T0_E_clISt17integral_constantIbLb1EES1F_EEDaS1A_S1B_EUlS1A_E_NS1_11comp_targetILNS1_3genE9ELNS1_11target_archE1100ELNS1_3gpuE3ELNS1_3repE0EEENS1_30default_config_static_selectorELNS0_4arch9wavefront6targetE0EEEvT1_,"axG",@progbits,_ZN7rocprim17ROCPRIM_400000_NS6detail17trampoline_kernelINS0_14default_configENS1_25partition_config_selectorILNS1_17partition_subalgoE5EdNS0_10empty_typeEbEEZZNS1_14partition_implILS5_5ELb0ES3_mN6thrust23THRUST_200600_302600_NS6detail15normal_iteratorINSA_10device_ptrIdEEEEPS6_NSA_18transform_iteratorINSB_9not_fun_tI7is_trueIdEEENSC_INSD_IbEEEENSA_11use_defaultESO_EENS0_5tupleIJNSA_16discard_iteratorISO_EES6_EEENSQ_IJSG_SG_EEES6_PlJS6_EEE10hipError_tPvRmT3_T4_T5_T6_T7_T9_mT8_P12ihipStream_tbDpT10_ENKUlT_T0_E_clISt17integral_constantIbLb1EES1F_EEDaS1A_S1B_EUlS1A_E_NS1_11comp_targetILNS1_3genE9ELNS1_11target_archE1100ELNS1_3gpuE3ELNS1_3repE0EEENS1_30default_config_static_selectorELNS0_4arch9wavefront6targetE0EEEvT1_,comdat
	.protected	_ZN7rocprim17ROCPRIM_400000_NS6detail17trampoline_kernelINS0_14default_configENS1_25partition_config_selectorILNS1_17partition_subalgoE5EdNS0_10empty_typeEbEEZZNS1_14partition_implILS5_5ELb0ES3_mN6thrust23THRUST_200600_302600_NS6detail15normal_iteratorINSA_10device_ptrIdEEEEPS6_NSA_18transform_iteratorINSB_9not_fun_tI7is_trueIdEEENSC_INSD_IbEEEENSA_11use_defaultESO_EENS0_5tupleIJNSA_16discard_iteratorISO_EES6_EEENSQ_IJSG_SG_EEES6_PlJS6_EEE10hipError_tPvRmT3_T4_T5_T6_T7_T9_mT8_P12ihipStream_tbDpT10_ENKUlT_T0_E_clISt17integral_constantIbLb1EES1F_EEDaS1A_S1B_EUlS1A_E_NS1_11comp_targetILNS1_3genE9ELNS1_11target_archE1100ELNS1_3gpuE3ELNS1_3repE0EEENS1_30default_config_static_selectorELNS0_4arch9wavefront6targetE0EEEvT1_ ; -- Begin function _ZN7rocprim17ROCPRIM_400000_NS6detail17trampoline_kernelINS0_14default_configENS1_25partition_config_selectorILNS1_17partition_subalgoE5EdNS0_10empty_typeEbEEZZNS1_14partition_implILS5_5ELb0ES3_mN6thrust23THRUST_200600_302600_NS6detail15normal_iteratorINSA_10device_ptrIdEEEEPS6_NSA_18transform_iteratorINSB_9not_fun_tI7is_trueIdEEENSC_INSD_IbEEEENSA_11use_defaultESO_EENS0_5tupleIJNSA_16discard_iteratorISO_EES6_EEENSQ_IJSG_SG_EEES6_PlJS6_EEE10hipError_tPvRmT3_T4_T5_T6_T7_T9_mT8_P12ihipStream_tbDpT10_ENKUlT_T0_E_clISt17integral_constantIbLb1EES1F_EEDaS1A_S1B_EUlS1A_E_NS1_11comp_targetILNS1_3genE9ELNS1_11target_archE1100ELNS1_3gpuE3ELNS1_3repE0EEENS1_30default_config_static_selectorELNS0_4arch9wavefront6targetE0EEEvT1_
	.globl	_ZN7rocprim17ROCPRIM_400000_NS6detail17trampoline_kernelINS0_14default_configENS1_25partition_config_selectorILNS1_17partition_subalgoE5EdNS0_10empty_typeEbEEZZNS1_14partition_implILS5_5ELb0ES3_mN6thrust23THRUST_200600_302600_NS6detail15normal_iteratorINSA_10device_ptrIdEEEEPS6_NSA_18transform_iteratorINSB_9not_fun_tI7is_trueIdEEENSC_INSD_IbEEEENSA_11use_defaultESO_EENS0_5tupleIJNSA_16discard_iteratorISO_EES6_EEENSQ_IJSG_SG_EEES6_PlJS6_EEE10hipError_tPvRmT3_T4_T5_T6_T7_T9_mT8_P12ihipStream_tbDpT10_ENKUlT_T0_E_clISt17integral_constantIbLb1EES1F_EEDaS1A_S1B_EUlS1A_E_NS1_11comp_targetILNS1_3genE9ELNS1_11target_archE1100ELNS1_3gpuE3ELNS1_3repE0EEENS1_30default_config_static_selectorELNS0_4arch9wavefront6targetE0EEEvT1_
	.p2align	8
	.type	_ZN7rocprim17ROCPRIM_400000_NS6detail17trampoline_kernelINS0_14default_configENS1_25partition_config_selectorILNS1_17partition_subalgoE5EdNS0_10empty_typeEbEEZZNS1_14partition_implILS5_5ELb0ES3_mN6thrust23THRUST_200600_302600_NS6detail15normal_iteratorINSA_10device_ptrIdEEEEPS6_NSA_18transform_iteratorINSB_9not_fun_tI7is_trueIdEEENSC_INSD_IbEEEENSA_11use_defaultESO_EENS0_5tupleIJNSA_16discard_iteratorISO_EES6_EEENSQ_IJSG_SG_EEES6_PlJS6_EEE10hipError_tPvRmT3_T4_T5_T6_T7_T9_mT8_P12ihipStream_tbDpT10_ENKUlT_T0_E_clISt17integral_constantIbLb1EES1F_EEDaS1A_S1B_EUlS1A_E_NS1_11comp_targetILNS1_3genE9ELNS1_11target_archE1100ELNS1_3gpuE3ELNS1_3repE0EEENS1_30default_config_static_selectorELNS0_4arch9wavefront6targetE0EEEvT1_,@function
_ZN7rocprim17ROCPRIM_400000_NS6detail17trampoline_kernelINS0_14default_configENS1_25partition_config_selectorILNS1_17partition_subalgoE5EdNS0_10empty_typeEbEEZZNS1_14partition_implILS5_5ELb0ES3_mN6thrust23THRUST_200600_302600_NS6detail15normal_iteratorINSA_10device_ptrIdEEEEPS6_NSA_18transform_iteratorINSB_9not_fun_tI7is_trueIdEEENSC_INSD_IbEEEENSA_11use_defaultESO_EENS0_5tupleIJNSA_16discard_iteratorISO_EES6_EEENSQ_IJSG_SG_EEES6_PlJS6_EEE10hipError_tPvRmT3_T4_T5_T6_T7_T9_mT8_P12ihipStream_tbDpT10_ENKUlT_T0_E_clISt17integral_constantIbLb1EES1F_EEDaS1A_S1B_EUlS1A_E_NS1_11comp_targetILNS1_3genE9ELNS1_11target_archE1100ELNS1_3gpuE3ELNS1_3repE0EEENS1_30default_config_static_selectorELNS0_4arch9wavefront6targetE0EEEvT1_: ; @_ZN7rocprim17ROCPRIM_400000_NS6detail17trampoline_kernelINS0_14default_configENS1_25partition_config_selectorILNS1_17partition_subalgoE5EdNS0_10empty_typeEbEEZZNS1_14partition_implILS5_5ELb0ES3_mN6thrust23THRUST_200600_302600_NS6detail15normal_iteratorINSA_10device_ptrIdEEEEPS6_NSA_18transform_iteratorINSB_9not_fun_tI7is_trueIdEEENSC_INSD_IbEEEENSA_11use_defaultESO_EENS0_5tupleIJNSA_16discard_iteratorISO_EES6_EEENSQ_IJSG_SG_EEES6_PlJS6_EEE10hipError_tPvRmT3_T4_T5_T6_T7_T9_mT8_P12ihipStream_tbDpT10_ENKUlT_T0_E_clISt17integral_constantIbLb1EES1F_EEDaS1A_S1B_EUlS1A_E_NS1_11comp_targetILNS1_3genE9ELNS1_11target_archE1100ELNS1_3gpuE3ELNS1_3repE0EEENS1_30default_config_static_selectorELNS0_4arch9wavefront6targetE0EEEvT1_
; %bb.0:
	.section	.rodata,"a",@progbits
	.p2align	6, 0x0
	.amdhsa_kernel _ZN7rocprim17ROCPRIM_400000_NS6detail17trampoline_kernelINS0_14default_configENS1_25partition_config_selectorILNS1_17partition_subalgoE5EdNS0_10empty_typeEbEEZZNS1_14partition_implILS5_5ELb0ES3_mN6thrust23THRUST_200600_302600_NS6detail15normal_iteratorINSA_10device_ptrIdEEEEPS6_NSA_18transform_iteratorINSB_9not_fun_tI7is_trueIdEEENSC_INSD_IbEEEENSA_11use_defaultESO_EENS0_5tupleIJNSA_16discard_iteratorISO_EES6_EEENSQ_IJSG_SG_EEES6_PlJS6_EEE10hipError_tPvRmT3_T4_T5_T6_T7_T9_mT8_P12ihipStream_tbDpT10_ENKUlT_T0_E_clISt17integral_constantIbLb1EES1F_EEDaS1A_S1B_EUlS1A_E_NS1_11comp_targetILNS1_3genE9ELNS1_11target_archE1100ELNS1_3gpuE3ELNS1_3repE0EEENS1_30default_config_static_selectorELNS0_4arch9wavefront6targetE0EEEvT1_
		.amdhsa_group_segment_fixed_size 0
		.amdhsa_private_segment_fixed_size 0
		.amdhsa_kernarg_size 144
		.amdhsa_user_sgpr_count 2
		.amdhsa_user_sgpr_dispatch_ptr 0
		.amdhsa_user_sgpr_queue_ptr 0
		.amdhsa_user_sgpr_kernarg_segment_ptr 1
		.amdhsa_user_sgpr_dispatch_id 0
		.amdhsa_user_sgpr_private_segment_size 0
		.amdhsa_wavefront_size32 1
		.amdhsa_uses_dynamic_stack 0
		.amdhsa_enable_private_segment 0
		.amdhsa_system_sgpr_workgroup_id_x 1
		.amdhsa_system_sgpr_workgroup_id_y 0
		.amdhsa_system_sgpr_workgroup_id_z 0
		.amdhsa_system_sgpr_workgroup_info 0
		.amdhsa_system_vgpr_workitem_id 0
		.amdhsa_next_free_vgpr 1
		.amdhsa_next_free_sgpr 1
		.amdhsa_reserve_vcc 0
		.amdhsa_float_round_mode_32 0
		.amdhsa_float_round_mode_16_64 0
		.amdhsa_float_denorm_mode_32 3
		.amdhsa_float_denorm_mode_16_64 3
		.amdhsa_fp16_overflow 0
		.amdhsa_workgroup_processor_mode 1
		.amdhsa_memory_ordered 1
		.amdhsa_forward_progress 1
		.amdhsa_inst_pref_size 0
		.amdhsa_round_robin_scheduling 0
		.amdhsa_exception_fp_ieee_invalid_op 0
		.amdhsa_exception_fp_denorm_src 0
		.amdhsa_exception_fp_ieee_div_zero 0
		.amdhsa_exception_fp_ieee_overflow 0
		.amdhsa_exception_fp_ieee_underflow 0
		.amdhsa_exception_fp_ieee_inexact 0
		.amdhsa_exception_int_div_zero 0
	.end_amdhsa_kernel
	.section	.text._ZN7rocprim17ROCPRIM_400000_NS6detail17trampoline_kernelINS0_14default_configENS1_25partition_config_selectorILNS1_17partition_subalgoE5EdNS0_10empty_typeEbEEZZNS1_14partition_implILS5_5ELb0ES3_mN6thrust23THRUST_200600_302600_NS6detail15normal_iteratorINSA_10device_ptrIdEEEEPS6_NSA_18transform_iteratorINSB_9not_fun_tI7is_trueIdEEENSC_INSD_IbEEEENSA_11use_defaultESO_EENS0_5tupleIJNSA_16discard_iteratorISO_EES6_EEENSQ_IJSG_SG_EEES6_PlJS6_EEE10hipError_tPvRmT3_T4_T5_T6_T7_T9_mT8_P12ihipStream_tbDpT10_ENKUlT_T0_E_clISt17integral_constantIbLb1EES1F_EEDaS1A_S1B_EUlS1A_E_NS1_11comp_targetILNS1_3genE9ELNS1_11target_archE1100ELNS1_3gpuE3ELNS1_3repE0EEENS1_30default_config_static_selectorELNS0_4arch9wavefront6targetE0EEEvT1_,"axG",@progbits,_ZN7rocprim17ROCPRIM_400000_NS6detail17trampoline_kernelINS0_14default_configENS1_25partition_config_selectorILNS1_17partition_subalgoE5EdNS0_10empty_typeEbEEZZNS1_14partition_implILS5_5ELb0ES3_mN6thrust23THRUST_200600_302600_NS6detail15normal_iteratorINSA_10device_ptrIdEEEEPS6_NSA_18transform_iteratorINSB_9not_fun_tI7is_trueIdEEENSC_INSD_IbEEEENSA_11use_defaultESO_EENS0_5tupleIJNSA_16discard_iteratorISO_EES6_EEENSQ_IJSG_SG_EEES6_PlJS6_EEE10hipError_tPvRmT3_T4_T5_T6_T7_T9_mT8_P12ihipStream_tbDpT10_ENKUlT_T0_E_clISt17integral_constantIbLb1EES1F_EEDaS1A_S1B_EUlS1A_E_NS1_11comp_targetILNS1_3genE9ELNS1_11target_archE1100ELNS1_3gpuE3ELNS1_3repE0EEENS1_30default_config_static_selectorELNS0_4arch9wavefront6targetE0EEEvT1_,comdat
.Lfunc_end2603:
	.size	_ZN7rocprim17ROCPRIM_400000_NS6detail17trampoline_kernelINS0_14default_configENS1_25partition_config_selectorILNS1_17partition_subalgoE5EdNS0_10empty_typeEbEEZZNS1_14partition_implILS5_5ELb0ES3_mN6thrust23THRUST_200600_302600_NS6detail15normal_iteratorINSA_10device_ptrIdEEEEPS6_NSA_18transform_iteratorINSB_9not_fun_tI7is_trueIdEEENSC_INSD_IbEEEENSA_11use_defaultESO_EENS0_5tupleIJNSA_16discard_iteratorISO_EES6_EEENSQ_IJSG_SG_EEES6_PlJS6_EEE10hipError_tPvRmT3_T4_T5_T6_T7_T9_mT8_P12ihipStream_tbDpT10_ENKUlT_T0_E_clISt17integral_constantIbLb1EES1F_EEDaS1A_S1B_EUlS1A_E_NS1_11comp_targetILNS1_3genE9ELNS1_11target_archE1100ELNS1_3gpuE3ELNS1_3repE0EEENS1_30default_config_static_selectorELNS0_4arch9wavefront6targetE0EEEvT1_, .Lfunc_end2603-_ZN7rocprim17ROCPRIM_400000_NS6detail17trampoline_kernelINS0_14default_configENS1_25partition_config_selectorILNS1_17partition_subalgoE5EdNS0_10empty_typeEbEEZZNS1_14partition_implILS5_5ELb0ES3_mN6thrust23THRUST_200600_302600_NS6detail15normal_iteratorINSA_10device_ptrIdEEEEPS6_NSA_18transform_iteratorINSB_9not_fun_tI7is_trueIdEEENSC_INSD_IbEEEENSA_11use_defaultESO_EENS0_5tupleIJNSA_16discard_iteratorISO_EES6_EEENSQ_IJSG_SG_EEES6_PlJS6_EEE10hipError_tPvRmT3_T4_T5_T6_T7_T9_mT8_P12ihipStream_tbDpT10_ENKUlT_T0_E_clISt17integral_constantIbLb1EES1F_EEDaS1A_S1B_EUlS1A_E_NS1_11comp_targetILNS1_3genE9ELNS1_11target_archE1100ELNS1_3gpuE3ELNS1_3repE0EEENS1_30default_config_static_selectorELNS0_4arch9wavefront6targetE0EEEvT1_
                                        ; -- End function
	.set _ZN7rocprim17ROCPRIM_400000_NS6detail17trampoline_kernelINS0_14default_configENS1_25partition_config_selectorILNS1_17partition_subalgoE5EdNS0_10empty_typeEbEEZZNS1_14partition_implILS5_5ELb0ES3_mN6thrust23THRUST_200600_302600_NS6detail15normal_iteratorINSA_10device_ptrIdEEEEPS6_NSA_18transform_iteratorINSB_9not_fun_tI7is_trueIdEEENSC_INSD_IbEEEENSA_11use_defaultESO_EENS0_5tupleIJNSA_16discard_iteratorISO_EES6_EEENSQ_IJSG_SG_EEES6_PlJS6_EEE10hipError_tPvRmT3_T4_T5_T6_T7_T9_mT8_P12ihipStream_tbDpT10_ENKUlT_T0_E_clISt17integral_constantIbLb1EES1F_EEDaS1A_S1B_EUlS1A_E_NS1_11comp_targetILNS1_3genE9ELNS1_11target_archE1100ELNS1_3gpuE3ELNS1_3repE0EEENS1_30default_config_static_selectorELNS0_4arch9wavefront6targetE0EEEvT1_.num_vgpr, 0
	.set _ZN7rocprim17ROCPRIM_400000_NS6detail17trampoline_kernelINS0_14default_configENS1_25partition_config_selectorILNS1_17partition_subalgoE5EdNS0_10empty_typeEbEEZZNS1_14partition_implILS5_5ELb0ES3_mN6thrust23THRUST_200600_302600_NS6detail15normal_iteratorINSA_10device_ptrIdEEEEPS6_NSA_18transform_iteratorINSB_9not_fun_tI7is_trueIdEEENSC_INSD_IbEEEENSA_11use_defaultESO_EENS0_5tupleIJNSA_16discard_iteratorISO_EES6_EEENSQ_IJSG_SG_EEES6_PlJS6_EEE10hipError_tPvRmT3_T4_T5_T6_T7_T9_mT8_P12ihipStream_tbDpT10_ENKUlT_T0_E_clISt17integral_constantIbLb1EES1F_EEDaS1A_S1B_EUlS1A_E_NS1_11comp_targetILNS1_3genE9ELNS1_11target_archE1100ELNS1_3gpuE3ELNS1_3repE0EEENS1_30default_config_static_selectorELNS0_4arch9wavefront6targetE0EEEvT1_.num_agpr, 0
	.set _ZN7rocprim17ROCPRIM_400000_NS6detail17trampoline_kernelINS0_14default_configENS1_25partition_config_selectorILNS1_17partition_subalgoE5EdNS0_10empty_typeEbEEZZNS1_14partition_implILS5_5ELb0ES3_mN6thrust23THRUST_200600_302600_NS6detail15normal_iteratorINSA_10device_ptrIdEEEEPS6_NSA_18transform_iteratorINSB_9not_fun_tI7is_trueIdEEENSC_INSD_IbEEEENSA_11use_defaultESO_EENS0_5tupleIJNSA_16discard_iteratorISO_EES6_EEENSQ_IJSG_SG_EEES6_PlJS6_EEE10hipError_tPvRmT3_T4_T5_T6_T7_T9_mT8_P12ihipStream_tbDpT10_ENKUlT_T0_E_clISt17integral_constantIbLb1EES1F_EEDaS1A_S1B_EUlS1A_E_NS1_11comp_targetILNS1_3genE9ELNS1_11target_archE1100ELNS1_3gpuE3ELNS1_3repE0EEENS1_30default_config_static_selectorELNS0_4arch9wavefront6targetE0EEEvT1_.numbered_sgpr, 0
	.set _ZN7rocprim17ROCPRIM_400000_NS6detail17trampoline_kernelINS0_14default_configENS1_25partition_config_selectorILNS1_17partition_subalgoE5EdNS0_10empty_typeEbEEZZNS1_14partition_implILS5_5ELb0ES3_mN6thrust23THRUST_200600_302600_NS6detail15normal_iteratorINSA_10device_ptrIdEEEEPS6_NSA_18transform_iteratorINSB_9not_fun_tI7is_trueIdEEENSC_INSD_IbEEEENSA_11use_defaultESO_EENS0_5tupleIJNSA_16discard_iteratorISO_EES6_EEENSQ_IJSG_SG_EEES6_PlJS6_EEE10hipError_tPvRmT3_T4_T5_T6_T7_T9_mT8_P12ihipStream_tbDpT10_ENKUlT_T0_E_clISt17integral_constantIbLb1EES1F_EEDaS1A_S1B_EUlS1A_E_NS1_11comp_targetILNS1_3genE9ELNS1_11target_archE1100ELNS1_3gpuE3ELNS1_3repE0EEENS1_30default_config_static_selectorELNS0_4arch9wavefront6targetE0EEEvT1_.num_named_barrier, 0
	.set _ZN7rocprim17ROCPRIM_400000_NS6detail17trampoline_kernelINS0_14default_configENS1_25partition_config_selectorILNS1_17partition_subalgoE5EdNS0_10empty_typeEbEEZZNS1_14partition_implILS5_5ELb0ES3_mN6thrust23THRUST_200600_302600_NS6detail15normal_iteratorINSA_10device_ptrIdEEEEPS6_NSA_18transform_iteratorINSB_9not_fun_tI7is_trueIdEEENSC_INSD_IbEEEENSA_11use_defaultESO_EENS0_5tupleIJNSA_16discard_iteratorISO_EES6_EEENSQ_IJSG_SG_EEES6_PlJS6_EEE10hipError_tPvRmT3_T4_T5_T6_T7_T9_mT8_P12ihipStream_tbDpT10_ENKUlT_T0_E_clISt17integral_constantIbLb1EES1F_EEDaS1A_S1B_EUlS1A_E_NS1_11comp_targetILNS1_3genE9ELNS1_11target_archE1100ELNS1_3gpuE3ELNS1_3repE0EEENS1_30default_config_static_selectorELNS0_4arch9wavefront6targetE0EEEvT1_.private_seg_size, 0
	.set _ZN7rocprim17ROCPRIM_400000_NS6detail17trampoline_kernelINS0_14default_configENS1_25partition_config_selectorILNS1_17partition_subalgoE5EdNS0_10empty_typeEbEEZZNS1_14partition_implILS5_5ELb0ES3_mN6thrust23THRUST_200600_302600_NS6detail15normal_iteratorINSA_10device_ptrIdEEEEPS6_NSA_18transform_iteratorINSB_9not_fun_tI7is_trueIdEEENSC_INSD_IbEEEENSA_11use_defaultESO_EENS0_5tupleIJNSA_16discard_iteratorISO_EES6_EEENSQ_IJSG_SG_EEES6_PlJS6_EEE10hipError_tPvRmT3_T4_T5_T6_T7_T9_mT8_P12ihipStream_tbDpT10_ENKUlT_T0_E_clISt17integral_constantIbLb1EES1F_EEDaS1A_S1B_EUlS1A_E_NS1_11comp_targetILNS1_3genE9ELNS1_11target_archE1100ELNS1_3gpuE3ELNS1_3repE0EEENS1_30default_config_static_selectorELNS0_4arch9wavefront6targetE0EEEvT1_.uses_vcc, 0
	.set _ZN7rocprim17ROCPRIM_400000_NS6detail17trampoline_kernelINS0_14default_configENS1_25partition_config_selectorILNS1_17partition_subalgoE5EdNS0_10empty_typeEbEEZZNS1_14partition_implILS5_5ELb0ES3_mN6thrust23THRUST_200600_302600_NS6detail15normal_iteratorINSA_10device_ptrIdEEEEPS6_NSA_18transform_iteratorINSB_9not_fun_tI7is_trueIdEEENSC_INSD_IbEEEENSA_11use_defaultESO_EENS0_5tupleIJNSA_16discard_iteratorISO_EES6_EEENSQ_IJSG_SG_EEES6_PlJS6_EEE10hipError_tPvRmT3_T4_T5_T6_T7_T9_mT8_P12ihipStream_tbDpT10_ENKUlT_T0_E_clISt17integral_constantIbLb1EES1F_EEDaS1A_S1B_EUlS1A_E_NS1_11comp_targetILNS1_3genE9ELNS1_11target_archE1100ELNS1_3gpuE3ELNS1_3repE0EEENS1_30default_config_static_selectorELNS0_4arch9wavefront6targetE0EEEvT1_.uses_flat_scratch, 0
	.set _ZN7rocprim17ROCPRIM_400000_NS6detail17trampoline_kernelINS0_14default_configENS1_25partition_config_selectorILNS1_17partition_subalgoE5EdNS0_10empty_typeEbEEZZNS1_14partition_implILS5_5ELb0ES3_mN6thrust23THRUST_200600_302600_NS6detail15normal_iteratorINSA_10device_ptrIdEEEEPS6_NSA_18transform_iteratorINSB_9not_fun_tI7is_trueIdEEENSC_INSD_IbEEEENSA_11use_defaultESO_EENS0_5tupleIJNSA_16discard_iteratorISO_EES6_EEENSQ_IJSG_SG_EEES6_PlJS6_EEE10hipError_tPvRmT3_T4_T5_T6_T7_T9_mT8_P12ihipStream_tbDpT10_ENKUlT_T0_E_clISt17integral_constantIbLb1EES1F_EEDaS1A_S1B_EUlS1A_E_NS1_11comp_targetILNS1_3genE9ELNS1_11target_archE1100ELNS1_3gpuE3ELNS1_3repE0EEENS1_30default_config_static_selectorELNS0_4arch9wavefront6targetE0EEEvT1_.has_dyn_sized_stack, 0
	.set _ZN7rocprim17ROCPRIM_400000_NS6detail17trampoline_kernelINS0_14default_configENS1_25partition_config_selectorILNS1_17partition_subalgoE5EdNS0_10empty_typeEbEEZZNS1_14partition_implILS5_5ELb0ES3_mN6thrust23THRUST_200600_302600_NS6detail15normal_iteratorINSA_10device_ptrIdEEEEPS6_NSA_18transform_iteratorINSB_9not_fun_tI7is_trueIdEEENSC_INSD_IbEEEENSA_11use_defaultESO_EENS0_5tupleIJNSA_16discard_iteratorISO_EES6_EEENSQ_IJSG_SG_EEES6_PlJS6_EEE10hipError_tPvRmT3_T4_T5_T6_T7_T9_mT8_P12ihipStream_tbDpT10_ENKUlT_T0_E_clISt17integral_constantIbLb1EES1F_EEDaS1A_S1B_EUlS1A_E_NS1_11comp_targetILNS1_3genE9ELNS1_11target_archE1100ELNS1_3gpuE3ELNS1_3repE0EEENS1_30default_config_static_selectorELNS0_4arch9wavefront6targetE0EEEvT1_.has_recursion, 0
	.set _ZN7rocprim17ROCPRIM_400000_NS6detail17trampoline_kernelINS0_14default_configENS1_25partition_config_selectorILNS1_17partition_subalgoE5EdNS0_10empty_typeEbEEZZNS1_14partition_implILS5_5ELb0ES3_mN6thrust23THRUST_200600_302600_NS6detail15normal_iteratorINSA_10device_ptrIdEEEEPS6_NSA_18transform_iteratorINSB_9not_fun_tI7is_trueIdEEENSC_INSD_IbEEEENSA_11use_defaultESO_EENS0_5tupleIJNSA_16discard_iteratorISO_EES6_EEENSQ_IJSG_SG_EEES6_PlJS6_EEE10hipError_tPvRmT3_T4_T5_T6_T7_T9_mT8_P12ihipStream_tbDpT10_ENKUlT_T0_E_clISt17integral_constantIbLb1EES1F_EEDaS1A_S1B_EUlS1A_E_NS1_11comp_targetILNS1_3genE9ELNS1_11target_archE1100ELNS1_3gpuE3ELNS1_3repE0EEENS1_30default_config_static_selectorELNS0_4arch9wavefront6targetE0EEEvT1_.has_indirect_call, 0
	.section	.AMDGPU.csdata,"",@progbits
; Kernel info:
; codeLenInByte = 0
; TotalNumSgprs: 0
; NumVgprs: 0
; ScratchSize: 0
; MemoryBound: 0
; FloatMode: 240
; IeeeMode: 1
; LDSByteSize: 0 bytes/workgroup (compile time only)
; SGPRBlocks: 0
; VGPRBlocks: 0
; NumSGPRsForWavesPerEU: 1
; NumVGPRsForWavesPerEU: 1
; Occupancy: 16
; WaveLimiterHint : 0
; COMPUTE_PGM_RSRC2:SCRATCH_EN: 0
; COMPUTE_PGM_RSRC2:USER_SGPR: 2
; COMPUTE_PGM_RSRC2:TRAP_HANDLER: 0
; COMPUTE_PGM_RSRC2:TGID_X_EN: 1
; COMPUTE_PGM_RSRC2:TGID_Y_EN: 0
; COMPUTE_PGM_RSRC2:TGID_Z_EN: 0
; COMPUTE_PGM_RSRC2:TIDIG_COMP_CNT: 0
	.section	.text._ZN7rocprim17ROCPRIM_400000_NS6detail17trampoline_kernelINS0_14default_configENS1_25partition_config_selectorILNS1_17partition_subalgoE5EdNS0_10empty_typeEbEEZZNS1_14partition_implILS5_5ELb0ES3_mN6thrust23THRUST_200600_302600_NS6detail15normal_iteratorINSA_10device_ptrIdEEEEPS6_NSA_18transform_iteratorINSB_9not_fun_tI7is_trueIdEEENSC_INSD_IbEEEENSA_11use_defaultESO_EENS0_5tupleIJNSA_16discard_iteratorISO_EES6_EEENSQ_IJSG_SG_EEES6_PlJS6_EEE10hipError_tPvRmT3_T4_T5_T6_T7_T9_mT8_P12ihipStream_tbDpT10_ENKUlT_T0_E_clISt17integral_constantIbLb1EES1F_EEDaS1A_S1B_EUlS1A_E_NS1_11comp_targetILNS1_3genE8ELNS1_11target_archE1030ELNS1_3gpuE2ELNS1_3repE0EEENS1_30default_config_static_selectorELNS0_4arch9wavefront6targetE0EEEvT1_,"axG",@progbits,_ZN7rocprim17ROCPRIM_400000_NS6detail17trampoline_kernelINS0_14default_configENS1_25partition_config_selectorILNS1_17partition_subalgoE5EdNS0_10empty_typeEbEEZZNS1_14partition_implILS5_5ELb0ES3_mN6thrust23THRUST_200600_302600_NS6detail15normal_iteratorINSA_10device_ptrIdEEEEPS6_NSA_18transform_iteratorINSB_9not_fun_tI7is_trueIdEEENSC_INSD_IbEEEENSA_11use_defaultESO_EENS0_5tupleIJNSA_16discard_iteratorISO_EES6_EEENSQ_IJSG_SG_EEES6_PlJS6_EEE10hipError_tPvRmT3_T4_T5_T6_T7_T9_mT8_P12ihipStream_tbDpT10_ENKUlT_T0_E_clISt17integral_constantIbLb1EES1F_EEDaS1A_S1B_EUlS1A_E_NS1_11comp_targetILNS1_3genE8ELNS1_11target_archE1030ELNS1_3gpuE2ELNS1_3repE0EEENS1_30default_config_static_selectorELNS0_4arch9wavefront6targetE0EEEvT1_,comdat
	.protected	_ZN7rocprim17ROCPRIM_400000_NS6detail17trampoline_kernelINS0_14default_configENS1_25partition_config_selectorILNS1_17partition_subalgoE5EdNS0_10empty_typeEbEEZZNS1_14partition_implILS5_5ELb0ES3_mN6thrust23THRUST_200600_302600_NS6detail15normal_iteratorINSA_10device_ptrIdEEEEPS6_NSA_18transform_iteratorINSB_9not_fun_tI7is_trueIdEEENSC_INSD_IbEEEENSA_11use_defaultESO_EENS0_5tupleIJNSA_16discard_iteratorISO_EES6_EEENSQ_IJSG_SG_EEES6_PlJS6_EEE10hipError_tPvRmT3_T4_T5_T6_T7_T9_mT8_P12ihipStream_tbDpT10_ENKUlT_T0_E_clISt17integral_constantIbLb1EES1F_EEDaS1A_S1B_EUlS1A_E_NS1_11comp_targetILNS1_3genE8ELNS1_11target_archE1030ELNS1_3gpuE2ELNS1_3repE0EEENS1_30default_config_static_selectorELNS0_4arch9wavefront6targetE0EEEvT1_ ; -- Begin function _ZN7rocprim17ROCPRIM_400000_NS6detail17trampoline_kernelINS0_14default_configENS1_25partition_config_selectorILNS1_17partition_subalgoE5EdNS0_10empty_typeEbEEZZNS1_14partition_implILS5_5ELb0ES3_mN6thrust23THRUST_200600_302600_NS6detail15normal_iteratorINSA_10device_ptrIdEEEEPS6_NSA_18transform_iteratorINSB_9not_fun_tI7is_trueIdEEENSC_INSD_IbEEEENSA_11use_defaultESO_EENS0_5tupleIJNSA_16discard_iteratorISO_EES6_EEENSQ_IJSG_SG_EEES6_PlJS6_EEE10hipError_tPvRmT3_T4_T5_T6_T7_T9_mT8_P12ihipStream_tbDpT10_ENKUlT_T0_E_clISt17integral_constantIbLb1EES1F_EEDaS1A_S1B_EUlS1A_E_NS1_11comp_targetILNS1_3genE8ELNS1_11target_archE1030ELNS1_3gpuE2ELNS1_3repE0EEENS1_30default_config_static_selectorELNS0_4arch9wavefront6targetE0EEEvT1_
	.globl	_ZN7rocprim17ROCPRIM_400000_NS6detail17trampoline_kernelINS0_14default_configENS1_25partition_config_selectorILNS1_17partition_subalgoE5EdNS0_10empty_typeEbEEZZNS1_14partition_implILS5_5ELb0ES3_mN6thrust23THRUST_200600_302600_NS6detail15normal_iteratorINSA_10device_ptrIdEEEEPS6_NSA_18transform_iteratorINSB_9not_fun_tI7is_trueIdEEENSC_INSD_IbEEEENSA_11use_defaultESO_EENS0_5tupleIJNSA_16discard_iteratorISO_EES6_EEENSQ_IJSG_SG_EEES6_PlJS6_EEE10hipError_tPvRmT3_T4_T5_T6_T7_T9_mT8_P12ihipStream_tbDpT10_ENKUlT_T0_E_clISt17integral_constantIbLb1EES1F_EEDaS1A_S1B_EUlS1A_E_NS1_11comp_targetILNS1_3genE8ELNS1_11target_archE1030ELNS1_3gpuE2ELNS1_3repE0EEENS1_30default_config_static_selectorELNS0_4arch9wavefront6targetE0EEEvT1_
	.p2align	8
	.type	_ZN7rocprim17ROCPRIM_400000_NS6detail17trampoline_kernelINS0_14default_configENS1_25partition_config_selectorILNS1_17partition_subalgoE5EdNS0_10empty_typeEbEEZZNS1_14partition_implILS5_5ELb0ES3_mN6thrust23THRUST_200600_302600_NS6detail15normal_iteratorINSA_10device_ptrIdEEEEPS6_NSA_18transform_iteratorINSB_9not_fun_tI7is_trueIdEEENSC_INSD_IbEEEENSA_11use_defaultESO_EENS0_5tupleIJNSA_16discard_iteratorISO_EES6_EEENSQ_IJSG_SG_EEES6_PlJS6_EEE10hipError_tPvRmT3_T4_T5_T6_T7_T9_mT8_P12ihipStream_tbDpT10_ENKUlT_T0_E_clISt17integral_constantIbLb1EES1F_EEDaS1A_S1B_EUlS1A_E_NS1_11comp_targetILNS1_3genE8ELNS1_11target_archE1030ELNS1_3gpuE2ELNS1_3repE0EEENS1_30default_config_static_selectorELNS0_4arch9wavefront6targetE0EEEvT1_,@function
_ZN7rocprim17ROCPRIM_400000_NS6detail17trampoline_kernelINS0_14default_configENS1_25partition_config_selectorILNS1_17partition_subalgoE5EdNS0_10empty_typeEbEEZZNS1_14partition_implILS5_5ELb0ES3_mN6thrust23THRUST_200600_302600_NS6detail15normal_iteratorINSA_10device_ptrIdEEEEPS6_NSA_18transform_iteratorINSB_9not_fun_tI7is_trueIdEEENSC_INSD_IbEEEENSA_11use_defaultESO_EENS0_5tupleIJNSA_16discard_iteratorISO_EES6_EEENSQ_IJSG_SG_EEES6_PlJS6_EEE10hipError_tPvRmT3_T4_T5_T6_T7_T9_mT8_P12ihipStream_tbDpT10_ENKUlT_T0_E_clISt17integral_constantIbLb1EES1F_EEDaS1A_S1B_EUlS1A_E_NS1_11comp_targetILNS1_3genE8ELNS1_11target_archE1030ELNS1_3gpuE2ELNS1_3repE0EEENS1_30default_config_static_selectorELNS0_4arch9wavefront6targetE0EEEvT1_: ; @_ZN7rocprim17ROCPRIM_400000_NS6detail17trampoline_kernelINS0_14default_configENS1_25partition_config_selectorILNS1_17partition_subalgoE5EdNS0_10empty_typeEbEEZZNS1_14partition_implILS5_5ELb0ES3_mN6thrust23THRUST_200600_302600_NS6detail15normal_iteratorINSA_10device_ptrIdEEEEPS6_NSA_18transform_iteratorINSB_9not_fun_tI7is_trueIdEEENSC_INSD_IbEEEENSA_11use_defaultESO_EENS0_5tupleIJNSA_16discard_iteratorISO_EES6_EEENSQ_IJSG_SG_EEES6_PlJS6_EEE10hipError_tPvRmT3_T4_T5_T6_T7_T9_mT8_P12ihipStream_tbDpT10_ENKUlT_T0_E_clISt17integral_constantIbLb1EES1F_EEDaS1A_S1B_EUlS1A_E_NS1_11comp_targetILNS1_3genE8ELNS1_11target_archE1030ELNS1_3gpuE2ELNS1_3repE0EEENS1_30default_config_static_selectorELNS0_4arch9wavefront6targetE0EEEvT1_
; %bb.0:
	.section	.rodata,"a",@progbits
	.p2align	6, 0x0
	.amdhsa_kernel _ZN7rocprim17ROCPRIM_400000_NS6detail17trampoline_kernelINS0_14default_configENS1_25partition_config_selectorILNS1_17partition_subalgoE5EdNS0_10empty_typeEbEEZZNS1_14partition_implILS5_5ELb0ES3_mN6thrust23THRUST_200600_302600_NS6detail15normal_iteratorINSA_10device_ptrIdEEEEPS6_NSA_18transform_iteratorINSB_9not_fun_tI7is_trueIdEEENSC_INSD_IbEEEENSA_11use_defaultESO_EENS0_5tupleIJNSA_16discard_iteratorISO_EES6_EEENSQ_IJSG_SG_EEES6_PlJS6_EEE10hipError_tPvRmT3_T4_T5_T6_T7_T9_mT8_P12ihipStream_tbDpT10_ENKUlT_T0_E_clISt17integral_constantIbLb1EES1F_EEDaS1A_S1B_EUlS1A_E_NS1_11comp_targetILNS1_3genE8ELNS1_11target_archE1030ELNS1_3gpuE2ELNS1_3repE0EEENS1_30default_config_static_selectorELNS0_4arch9wavefront6targetE0EEEvT1_
		.amdhsa_group_segment_fixed_size 0
		.amdhsa_private_segment_fixed_size 0
		.amdhsa_kernarg_size 144
		.amdhsa_user_sgpr_count 2
		.amdhsa_user_sgpr_dispatch_ptr 0
		.amdhsa_user_sgpr_queue_ptr 0
		.amdhsa_user_sgpr_kernarg_segment_ptr 1
		.amdhsa_user_sgpr_dispatch_id 0
		.amdhsa_user_sgpr_private_segment_size 0
		.amdhsa_wavefront_size32 1
		.amdhsa_uses_dynamic_stack 0
		.amdhsa_enable_private_segment 0
		.amdhsa_system_sgpr_workgroup_id_x 1
		.amdhsa_system_sgpr_workgroup_id_y 0
		.amdhsa_system_sgpr_workgroup_id_z 0
		.amdhsa_system_sgpr_workgroup_info 0
		.amdhsa_system_vgpr_workitem_id 0
		.amdhsa_next_free_vgpr 1
		.amdhsa_next_free_sgpr 1
		.amdhsa_reserve_vcc 0
		.amdhsa_float_round_mode_32 0
		.amdhsa_float_round_mode_16_64 0
		.amdhsa_float_denorm_mode_32 3
		.amdhsa_float_denorm_mode_16_64 3
		.amdhsa_fp16_overflow 0
		.amdhsa_workgroup_processor_mode 1
		.amdhsa_memory_ordered 1
		.amdhsa_forward_progress 1
		.amdhsa_inst_pref_size 0
		.amdhsa_round_robin_scheduling 0
		.amdhsa_exception_fp_ieee_invalid_op 0
		.amdhsa_exception_fp_denorm_src 0
		.amdhsa_exception_fp_ieee_div_zero 0
		.amdhsa_exception_fp_ieee_overflow 0
		.amdhsa_exception_fp_ieee_underflow 0
		.amdhsa_exception_fp_ieee_inexact 0
		.amdhsa_exception_int_div_zero 0
	.end_amdhsa_kernel
	.section	.text._ZN7rocprim17ROCPRIM_400000_NS6detail17trampoline_kernelINS0_14default_configENS1_25partition_config_selectorILNS1_17partition_subalgoE5EdNS0_10empty_typeEbEEZZNS1_14partition_implILS5_5ELb0ES3_mN6thrust23THRUST_200600_302600_NS6detail15normal_iteratorINSA_10device_ptrIdEEEEPS6_NSA_18transform_iteratorINSB_9not_fun_tI7is_trueIdEEENSC_INSD_IbEEEENSA_11use_defaultESO_EENS0_5tupleIJNSA_16discard_iteratorISO_EES6_EEENSQ_IJSG_SG_EEES6_PlJS6_EEE10hipError_tPvRmT3_T4_T5_T6_T7_T9_mT8_P12ihipStream_tbDpT10_ENKUlT_T0_E_clISt17integral_constantIbLb1EES1F_EEDaS1A_S1B_EUlS1A_E_NS1_11comp_targetILNS1_3genE8ELNS1_11target_archE1030ELNS1_3gpuE2ELNS1_3repE0EEENS1_30default_config_static_selectorELNS0_4arch9wavefront6targetE0EEEvT1_,"axG",@progbits,_ZN7rocprim17ROCPRIM_400000_NS6detail17trampoline_kernelINS0_14default_configENS1_25partition_config_selectorILNS1_17partition_subalgoE5EdNS0_10empty_typeEbEEZZNS1_14partition_implILS5_5ELb0ES3_mN6thrust23THRUST_200600_302600_NS6detail15normal_iteratorINSA_10device_ptrIdEEEEPS6_NSA_18transform_iteratorINSB_9not_fun_tI7is_trueIdEEENSC_INSD_IbEEEENSA_11use_defaultESO_EENS0_5tupleIJNSA_16discard_iteratorISO_EES6_EEENSQ_IJSG_SG_EEES6_PlJS6_EEE10hipError_tPvRmT3_T4_T5_T6_T7_T9_mT8_P12ihipStream_tbDpT10_ENKUlT_T0_E_clISt17integral_constantIbLb1EES1F_EEDaS1A_S1B_EUlS1A_E_NS1_11comp_targetILNS1_3genE8ELNS1_11target_archE1030ELNS1_3gpuE2ELNS1_3repE0EEENS1_30default_config_static_selectorELNS0_4arch9wavefront6targetE0EEEvT1_,comdat
.Lfunc_end2604:
	.size	_ZN7rocprim17ROCPRIM_400000_NS6detail17trampoline_kernelINS0_14default_configENS1_25partition_config_selectorILNS1_17partition_subalgoE5EdNS0_10empty_typeEbEEZZNS1_14partition_implILS5_5ELb0ES3_mN6thrust23THRUST_200600_302600_NS6detail15normal_iteratorINSA_10device_ptrIdEEEEPS6_NSA_18transform_iteratorINSB_9not_fun_tI7is_trueIdEEENSC_INSD_IbEEEENSA_11use_defaultESO_EENS0_5tupleIJNSA_16discard_iteratorISO_EES6_EEENSQ_IJSG_SG_EEES6_PlJS6_EEE10hipError_tPvRmT3_T4_T5_T6_T7_T9_mT8_P12ihipStream_tbDpT10_ENKUlT_T0_E_clISt17integral_constantIbLb1EES1F_EEDaS1A_S1B_EUlS1A_E_NS1_11comp_targetILNS1_3genE8ELNS1_11target_archE1030ELNS1_3gpuE2ELNS1_3repE0EEENS1_30default_config_static_selectorELNS0_4arch9wavefront6targetE0EEEvT1_, .Lfunc_end2604-_ZN7rocprim17ROCPRIM_400000_NS6detail17trampoline_kernelINS0_14default_configENS1_25partition_config_selectorILNS1_17partition_subalgoE5EdNS0_10empty_typeEbEEZZNS1_14partition_implILS5_5ELb0ES3_mN6thrust23THRUST_200600_302600_NS6detail15normal_iteratorINSA_10device_ptrIdEEEEPS6_NSA_18transform_iteratorINSB_9not_fun_tI7is_trueIdEEENSC_INSD_IbEEEENSA_11use_defaultESO_EENS0_5tupleIJNSA_16discard_iteratorISO_EES6_EEENSQ_IJSG_SG_EEES6_PlJS6_EEE10hipError_tPvRmT3_T4_T5_T6_T7_T9_mT8_P12ihipStream_tbDpT10_ENKUlT_T0_E_clISt17integral_constantIbLb1EES1F_EEDaS1A_S1B_EUlS1A_E_NS1_11comp_targetILNS1_3genE8ELNS1_11target_archE1030ELNS1_3gpuE2ELNS1_3repE0EEENS1_30default_config_static_selectorELNS0_4arch9wavefront6targetE0EEEvT1_
                                        ; -- End function
	.set _ZN7rocprim17ROCPRIM_400000_NS6detail17trampoline_kernelINS0_14default_configENS1_25partition_config_selectorILNS1_17partition_subalgoE5EdNS0_10empty_typeEbEEZZNS1_14partition_implILS5_5ELb0ES3_mN6thrust23THRUST_200600_302600_NS6detail15normal_iteratorINSA_10device_ptrIdEEEEPS6_NSA_18transform_iteratorINSB_9not_fun_tI7is_trueIdEEENSC_INSD_IbEEEENSA_11use_defaultESO_EENS0_5tupleIJNSA_16discard_iteratorISO_EES6_EEENSQ_IJSG_SG_EEES6_PlJS6_EEE10hipError_tPvRmT3_T4_T5_T6_T7_T9_mT8_P12ihipStream_tbDpT10_ENKUlT_T0_E_clISt17integral_constantIbLb1EES1F_EEDaS1A_S1B_EUlS1A_E_NS1_11comp_targetILNS1_3genE8ELNS1_11target_archE1030ELNS1_3gpuE2ELNS1_3repE0EEENS1_30default_config_static_selectorELNS0_4arch9wavefront6targetE0EEEvT1_.num_vgpr, 0
	.set _ZN7rocprim17ROCPRIM_400000_NS6detail17trampoline_kernelINS0_14default_configENS1_25partition_config_selectorILNS1_17partition_subalgoE5EdNS0_10empty_typeEbEEZZNS1_14partition_implILS5_5ELb0ES3_mN6thrust23THRUST_200600_302600_NS6detail15normal_iteratorINSA_10device_ptrIdEEEEPS6_NSA_18transform_iteratorINSB_9not_fun_tI7is_trueIdEEENSC_INSD_IbEEEENSA_11use_defaultESO_EENS0_5tupleIJNSA_16discard_iteratorISO_EES6_EEENSQ_IJSG_SG_EEES6_PlJS6_EEE10hipError_tPvRmT3_T4_T5_T6_T7_T9_mT8_P12ihipStream_tbDpT10_ENKUlT_T0_E_clISt17integral_constantIbLb1EES1F_EEDaS1A_S1B_EUlS1A_E_NS1_11comp_targetILNS1_3genE8ELNS1_11target_archE1030ELNS1_3gpuE2ELNS1_3repE0EEENS1_30default_config_static_selectorELNS0_4arch9wavefront6targetE0EEEvT1_.num_agpr, 0
	.set _ZN7rocprim17ROCPRIM_400000_NS6detail17trampoline_kernelINS0_14default_configENS1_25partition_config_selectorILNS1_17partition_subalgoE5EdNS0_10empty_typeEbEEZZNS1_14partition_implILS5_5ELb0ES3_mN6thrust23THRUST_200600_302600_NS6detail15normal_iteratorINSA_10device_ptrIdEEEEPS6_NSA_18transform_iteratorINSB_9not_fun_tI7is_trueIdEEENSC_INSD_IbEEEENSA_11use_defaultESO_EENS0_5tupleIJNSA_16discard_iteratorISO_EES6_EEENSQ_IJSG_SG_EEES6_PlJS6_EEE10hipError_tPvRmT3_T4_T5_T6_T7_T9_mT8_P12ihipStream_tbDpT10_ENKUlT_T0_E_clISt17integral_constantIbLb1EES1F_EEDaS1A_S1B_EUlS1A_E_NS1_11comp_targetILNS1_3genE8ELNS1_11target_archE1030ELNS1_3gpuE2ELNS1_3repE0EEENS1_30default_config_static_selectorELNS0_4arch9wavefront6targetE0EEEvT1_.numbered_sgpr, 0
	.set _ZN7rocprim17ROCPRIM_400000_NS6detail17trampoline_kernelINS0_14default_configENS1_25partition_config_selectorILNS1_17partition_subalgoE5EdNS0_10empty_typeEbEEZZNS1_14partition_implILS5_5ELb0ES3_mN6thrust23THRUST_200600_302600_NS6detail15normal_iteratorINSA_10device_ptrIdEEEEPS6_NSA_18transform_iteratorINSB_9not_fun_tI7is_trueIdEEENSC_INSD_IbEEEENSA_11use_defaultESO_EENS0_5tupleIJNSA_16discard_iteratorISO_EES6_EEENSQ_IJSG_SG_EEES6_PlJS6_EEE10hipError_tPvRmT3_T4_T5_T6_T7_T9_mT8_P12ihipStream_tbDpT10_ENKUlT_T0_E_clISt17integral_constantIbLb1EES1F_EEDaS1A_S1B_EUlS1A_E_NS1_11comp_targetILNS1_3genE8ELNS1_11target_archE1030ELNS1_3gpuE2ELNS1_3repE0EEENS1_30default_config_static_selectorELNS0_4arch9wavefront6targetE0EEEvT1_.num_named_barrier, 0
	.set _ZN7rocprim17ROCPRIM_400000_NS6detail17trampoline_kernelINS0_14default_configENS1_25partition_config_selectorILNS1_17partition_subalgoE5EdNS0_10empty_typeEbEEZZNS1_14partition_implILS5_5ELb0ES3_mN6thrust23THRUST_200600_302600_NS6detail15normal_iteratorINSA_10device_ptrIdEEEEPS6_NSA_18transform_iteratorINSB_9not_fun_tI7is_trueIdEEENSC_INSD_IbEEEENSA_11use_defaultESO_EENS0_5tupleIJNSA_16discard_iteratorISO_EES6_EEENSQ_IJSG_SG_EEES6_PlJS6_EEE10hipError_tPvRmT3_T4_T5_T6_T7_T9_mT8_P12ihipStream_tbDpT10_ENKUlT_T0_E_clISt17integral_constantIbLb1EES1F_EEDaS1A_S1B_EUlS1A_E_NS1_11comp_targetILNS1_3genE8ELNS1_11target_archE1030ELNS1_3gpuE2ELNS1_3repE0EEENS1_30default_config_static_selectorELNS0_4arch9wavefront6targetE0EEEvT1_.private_seg_size, 0
	.set _ZN7rocprim17ROCPRIM_400000_NS6detail17trampoline_kernelINS0_14default_configENS1_25partition_config_selectorILNS1_17partition_subalgoE5EdNS0_10empty_typeEbEEZZNS1_14partition_implILS5_5ELb0ES3_mN6thrust23THRUST_200600_302600_NS6detail15normal_iteratorINSA_10device_ptrIdEEEEPS6_NSA_18transform_iteratorINSB_9not_fun_tI7is_trueIdEEENSC_INSD_IbEEEENSA_11use_defaultESO_EENS0_5tupleIJNSA_16discard_iteratorISO_EES6_EEENSQ_IJSG_SG_EEES6_PlJS6_EEE10hipError_tPvRmT3_T4_T5_T6_T7_T9_mT8_P12ihipStream_tbDpT10_ENKUlT_T0_E_clISt17integral_constantIbLb1EES1F_EEDaS1A_S1B_EUlS1A_E_NS1_11comp_targetILNS1_3genE8ELNS1_11target_archE1030ELNS1_3gpuE2ELNS1_3repE0EEENS1_30default_config_static_selectorELNS0_4arch9wavefront6targetE0EEEvT1_.uses_vcc, 0
	.set _ZN7rocprim17ROCPRIM_400000_NS6detail17trampoline_kernelINS0_14default_configENS1_25partition_config_selectorILNS1_17partition_subalgoE5EdNS0_10empty_typeEbEEZZNS1_14partition_implILS5_5ELb0ES3_mN6thrust23THRUST_200600_302600_NS6detail15normal_iteratorINSA_10device_ptrIdEEEEPS6_NSA_18transform_iteratorINSB_9not_fun_tI7is_trueIdEEENSC_INSD_IbEEEENSA_11use_defaultESO_EENS0_5tupleIJNSA_16discard_iteratorISO_EES6_EEENSQ_IJSG_SG_EEES6_PlJS6_EEE10hipError_tPvRmT3_T4_T5_T6_T7_T9_mT8_P12ihipStream_tbDpT10_ENKUlT_T0_E_clISt17integral_constantIbLb1EES1F_EEDaS1A_S1B_EUlS1A_E_NS1_11comp_targetILNS1_3genE8ELNS1_11target_archE1030ELNS1_3gpuE2ELNS1_3repE0EEENS1_30default_config_static_selectorELNS0_4arch9wavefront6targetE0EEEvT1_.uses_flat_scratch, 0
	.set _ZN7rocprim17ROCPRIM_400000_NS6detail17trampoline_kernelINS0_14default_configENS1_25partition_config_selectorILNS1_17partition_subalgoE5EdNS0_10empty_typeEbEEZZNS1_14partition_implILS5_5ELb0ES3_mN6thrust23THRUST_200600_302600_NS6detail15normal_iteratorINSA_10device_ptrIdEEEEPS6_NSA_18transform_iteratorINSB_9not_fun_tI7is_trueIdEEENSC_INSD_IbEEEENSA_11use_defaultESO_EENS0_5tupleIJNSA_16discard_iteratorISO_EES6_EEENSQ_IJSG_SG_EEES6_PlJS6_EEE10hipError_tPvRmT3_T4_T5_T6_T7_T9_mT8_P12ihipStream_tbDpT10_ENKUlT_T0_E_clISt17integral_constantIbLb1EES1F_EEDaS1A_S1B_EUlS1A_E_NS1_11comp_targetILNS1_3genE8ELNS1_11target_archE1030ELNS1_3gpuE2ELNS1_3repE0EEENS1_30default_config_static_selectorELNS0_4arch9wavefront6targetE0EEEvT1_.has_dyn_sized_stack, 0
	.set _ZN7rocprim17ROCPRIM_400000_NS6detail17trampoline_kernelINS0_14default_configENS1_25partition_config_selectorILNS1_17partition_subalgoE5EdNS0_10empty_typeEbEEZZNS1_14partition_implILS5_5ELb0ES3_mN6thrust23THRUST_200600_302600_NS6detail15normal_iteratorINSA_10device_ptrIdEEEEPS6_NSA_18transform_iteratorINSB_9not_fun_tI7is_trueIdEEENSC_INSD_IbEEEENSA_11use_defaultESO_EENS0_5tupleIJNSA_16discard_iteratorISO_EES6_EEENSQ_IJSG_SG_EEES6_PlJS6_EEE10hipError_tPvRmT3_T4_T5_T6_T7_T9_mT8_P12ihipStream_tbDpT10_ENKUlT_T0_E_clISt17integral_constantIbLb1EES1F_EEDaS1A_S1B_EUlS1A_E_NS1_11comp_targetILNS1_3genE8ELNS1_11target_archE1030ELNS1_3gpuE2ELNS1_3repE0EEENS1_30default_config_static_selectorELNS0_4arch9wavefront6targetE0EEEvT1_.has_recursion, 0
	.set _ZN7rocprim17ROCPRIM_400000_NS6detail17trampoline_kernelINS0_14default_configENS1_25partition_config_selectorILNS1_17partition_subalgoE5EdNS0_10empty_typeEbEEZZNS1_14partition_implILS5_5ELb0ES3_mN6thrust23THRUST_200600_302600_NS6detail15normal_iteratorINSA_10device_ptrIdEEEEPS6_NSA_18transform_iteratorINSB_9not_fun_tI7is_trueIdEEENSC_INSD_IbEEEENSA_11use_defaultESO_EENS0_5tupleIJNSA_16discard_iteratorISO_EES6_EEENSQ_IJSG_SG_EEES6_PlJS6_EEE10hipError_tPvRmT3_T4_T5_T6_T7_T9_mT8_P12ihipStream_tbDpT10_ENKUlT_T0_E_clISt17integral_constantIbLb1EES1F_EEDaS1A_S1B_EUlS1A_E_NS1_11comp_targetILNS1_3genE8ELNS1_11target_archE1030ELNS1_3gpuE2ELNS1_3repE0EEENS1_30default_config_static_selectorELNS0_4arch9wavefront6targetE0EEEvT1_.has_indirect_call, 0
	.section	.AMDGPU.csdata,"",@progbits
; Kernel info:
; codeLenInByte = 0
; TotalNumSgprs: 0
; NumVgprs: 0
; ScratchSize: 0
; MemoryBound: 0
; FloatMode: 240
; IeeeMode: 1
; LDSByteSize: 0 bytes/workgroup (compile time only)
; SGPRBlocks: 0
; VGPRBlocks: 0
; NumSGPRsForWavesPerEU: 1
; NumVGPRsForWavesPerEU: 1
; Occupancy: 16
; WaveLimiterHint : 0
; COMPUTE_PGM_RSRC2:SCRATCH_EN: 0
; COMPUTE_PGM_RSRC2:USER_SGPR: 2
; COMPUTE_PGM_RSRC2:TRAP_HANDLER: 0
; COMPUTE_PGM_RSRC2:TGID_X_EN: 1
; COMPUTE_PGM_RSRC2:TGID_Y_EN: 0
; COMPUTE_PGM_RSRC2:TGID_Z_EN: 0
; COMPUTE_PGM_RSRC2:TIDIG_COMP_CNT: 0
	.section	.text._ZN7rocprim17ROCPRIM_400000_NS6detail17trampoline_kernelINS0_14default_configENS1_25partition_config_selectorILNS1_17partition_subalgoE5EdNS0_10empty_typeEbEEZZNS1_14partition_implILS5_5ELb0ES3_mN6thrust23THRUST_200600_302600_NS6detail15normal_iteratorINSA_10device_ptrIdEEEEPS6_NSA_18transform_iteratorINSB_9not_fun_tI7is_trueIdEEENSC_INSD_IbEEEENSA_11use_defaultESO_EENS0_5tupleIJNSA_16discard_iteratorISO_EES6_EEENSQ_IJSG_SG_EEES6_PlJS6_EEE10hipError_tPvRmT3_T4_T5_T6_T7_T9_mT8_P12ihipStream_tbDpT10_ENKUlT_T0_E_clISt17integral_constantIbLb1EES1E_IbLb0EEEEDaS1A_S1B_EUlS1A_E_NS1_11comp_targetILNS1_3genE0ELNS1_11target_archE4294967295ELNS1_3gpuE0ELNS1_3repE0EEENS1_30default_config_static_selectorELNS0_4arch9wavefront6targetE0EEEvT1_,"axG",@progbits,_ZN7rocprim17ROCPRIM_400000_NS6detail17trampoline_kernelINS0_14default_configENS1_25partition_config_selectorILNS1_17partition_subalgoE5EdNS0_10empty_typeEbEEZZNS1_14partition_implILS5_5ELb0ES3_mN6thrust23THRUST_200600_302600_NS6detail15normal_iteratorINSA_10device_ptrIdEEEEPS6_NSA_18transform_iteratorINSB_9not_fun_tI7is_trueIdEEENSC_INSD_IbEEEENSA_11use_defaultESO_EENS0_5tupleIJNSA_16discard_iteratorISO_EES6_EEENSQ_IJSG_SG_EEES6_PlJS6_EEE10hipError_tPvRmT3_T4_T5_T6_T7_T9_mT8_P12ihipStream_tbDpT10_ENKUlT_T0_E_clISt17integral_constantIbLb1EES1E_IbLb0EEEEDaS1A_S1B_EUlS1A_E_NS1_11comp_targetILNS1_3genE0ELNS1_11target_archE4294967295ELNS1_3gpuE0ELNS1_3repE0EEENS1_30default_config_static_selectorELNS0_4arch9wavefront6targetE0EEEvT1_,comdat
	.protected	_ZN7rocprim17ROCPRIM_400000_NS6detail17trampoline_kernelINS0_14default_configENS1_25partition_config_selectorILNS1_17partition_subalgoE5EdNS0_10empty_typeEbEEZZNS1_14partition_implILS5_5ELb0ES3_mN6thrust23THRUST_200600_302600_NS6detail15normal_iteratorINSA_10device_ptrIdEEEEPS6_NSA_18transform_iteratorINSB_9not_fun_tI7is_trueIdEEENSC_INSD_IbEEEENSA_11use_defaultESO_EENS0_5tupleIJNSA_16discard_iteratorISO_EES6_EEENSQ_IJSG_SG_EEES6_PlJS6_EEE10hipError_tPvRmT3_T4_T5_T6_T7_T9_mT8_P12ihipStream_tbDpT10_ENKUlT_T0_E_clISt17integral_constantIbLb1EES1E_IbLb0EEEEDaS1A_S1B_EUlS1A_E_NS1_11comp_targetILNS1_3genE0ELNS1_11target_archE4294967295ELNS1_3gpuE0ELNS1_3repE0EEENS1_30default_config_static_selectorELNS0_4arch9wavefront6targetE0EEEvT1_ ; -- Begin function _ZN7rocprim17ROCPRIM_400000_NS6detail17trampoline_kernelINS0_14default_configENS1_25partition_config_selectorILNS1_17partition_subalgoE5EdNS0_10empty_typeEbEEZZNS1_14partition_implILS5_5ELb0ES3_mN6thrust23THRUST_200600_302600_NS6detail15normal_iteratorINSA_10device_ptrIdEEEEPS6_NSA_18transform_iteratorINSB_9not_fun_tI7is_trueIdEEENSC_INSD_IbEEEENSA_11use_defaultESO_EENS0_5tupleIJNSA_16discard_iteratorISO_EES6_EEENSQ_IJSG_SG_EEES6_PlJS6_EEE10hipError_tPvRmT3_T4_T5_T6_T7_T9_mT8_P12ihipStream_tbDpT10_ENKUlT_T0_E_clISt17integral_constantIbLb1EES1E_IbLb0EEEEDaS1A_S1B_EUlS1A_E_NS1_11comp_targetILNS1_3genE0ELNS1_11target_archE4294967295ELNS1_3gpuE0ELNS1_3repE0EEENS1_30default_config_static_selectorELNS0_4arch9wavefront6targetE0EEEvT1_
	.globl	_ZN7rocprim17ROCPRIM_400000_NS6detail17trampoline_kernelINS0_14default_configENS1_25partition_config_selectorILNS1_17partition_subalgoE5EdNS0_10empty_typeEbEEZZNS1_14partition_implILS5_5ELb0ES3_mN6thrust23THRUST_200600_302600_NS6detail15normal_iteratorINSA_10device_ptrIdEEEEPS6_NSA_18transform_iteratorINSB_9not_fun_tI7is_trueIdEEENSC_INSD_IbEEEENSA_11use_defaultESO_EENS0_5tupleIJNSA_16discard_iteratorISO_EES6_EEENSQ_IJSG_SG_EEES6_PlJS6_EEE10hipError_tPvRmT3_T4_T5_T6_T7_T9_mT8_P12ihipStream_tbDpT10_ENKUlT_T0_E_clISt17integral_constantIbLb1EES1E_IbLb0EEEEDaS1A_S1B_EUlS1A_E_NS1_11comp_targetILNS1_3genE0ELNS1_11target_archE4294967295ELNS1_3gpuE0ELNS1_3repE0EEENS1_30default_config_static_selectorELNS0_4arch9wavefront6targetE0EEEvT1_
	.p2align	8
	.type	_ZN7rocprim17ROCPRIM_400000_NS6detail17trampoline_kernelINS0_14default_configENS1_25partition_config_selectorILNS1_17partition_subalgoE5EdNS0_10empty_typeEbEEZZNS1_14partition_implILS5_5ELb0ES3_mN6thrust23THRUST_200600_302600_NS6detail15normal_iteratorINSA_10device_ptrIdEEEEPS6_NSA_18transform_iteratorINSB_9not_fun_tI7is_trueIdEEENSC_INSD_IbEEEENSA_11use_defaultESO_EENS0_5tupleIJNSA_16discard_iteratorISO_EES6_EEENSQ_IJSG_SG_EEES6_PlJS6_EEE10hipError_tPvRmT3_T4_T5_T6_T7_T9_mT8_P12ihipStream_tbDpT10_ENKUlT_T0_E_clISt17integral_constantIbLb1EES1E_IbLb0EEEEDaS1A_S1B_EUlS1A_E_NS1_11comp_targetILNS1_3genE0ELNS1_11target_archE4294967295ELNS1_3gpuE0ELNS1_3repE0EEENS1_30default_config_static_selectorELNS0_4arch9wavefront6targetE0EEEvT1_,@function
_ZN7rocprim17ROCPRIM_400000_NS6detail17trampoline_kernelINS0_14default_configENS1_25partition_config_selectorILNS1_17partition_subalgoE5EdNS0_10empty_typeEbEEZZNS1_14partition_implILS5_5ELb0ES3_mN6thrust23THRUST_200600_302600_NS6detail15normal_iteratorINSA_10device_ptrIdEEEEPS6_NSA_18transform_iteratorINSB_9not_fun_tI7is_trueIdEEENSC_INSD_IbEEEENSA_11use_defaultESO_EENS0_5tupleIJNSA_16discard_iteratorISO_EES6_EEENSQ_IJSG_SG_EEES6_PlJS6_EEE10hipError_tPvRmT3_T4_T5_T6_T7_T9_mT8_P12ihipStream_tbDpT10_ENKUlT_T0_E_clISt17integral_constantIbLb1EES1E_IbLb0EEEEDaS1A_S1B_EUlS1A_E_NS1_11comp_targetILNS1_3genE0ELNS1_11target_archE4294967295ELNS1_3gpuE0ELNS1_3repE0EEENS1_30default_config_static_selectorELNS0_4arch9wavefront6targetE0EEEvT1_: ; @_ZN7rocprim17ROCPRIM_400000_NS6detail17trampoline_kernelINS0_14default_configENS1_25partition_config_selectorILNS1_17partition_subalgoE5EdNS0_10empty_typeEbEEZZNS1_14partition_implILS5_5ELb0ES3_mN6thrust23THRUST_200600_302600_NS6detail15normal_iteratorINSA_10device_ptrIdEEEEPS6_NSA_18transform_iteratorINSB_9not_fun_tI7is_trueIdEEENSC_INSD_IbEEEENSA_11use_defaultESO_EENS0_5tupleIJNSA_16discard_iteratorISO_EES6_EEENSQ_IJSG_SG_EEES6_PlJS6_EEE10hipError_tPvRmT3_T4_T5_T6_T7_T9_mT8_P12ihipStream_tbDpT10_ENKUlT_T0_E_clISt17integral_constantIbLb1EES1E_IbLb0EEEEDaS1A_S1B_EUlS1A_E_NS1_11comp_targetILNS1_3genE0ELNS1_11target_archE4294967295ELNS1_3gpuE0ELNS1_3repE0EEENS1_30default_config_static_selectorELNS0_4arch9wavefront6targetE0EEEvT1_
; %bb.0:
	.section	.rodata,"a",@progbits
	.p2align	6, 0x0
	.amdhsa_kernel _ZN7rocprim17ROCPRIM_400000_NS6detail17trampoline_kernelINS0_14default_configENS1_25partition_config_selectorILNS1_17partition_subalgoE5EdNS0_10empty_typeEbEEZZNS1_14partition_implILS5_5ELb0ES3_mN6thrust23THRUST_200600_302600_NS6detail15normal_iteratorINSA_10device_ptrIdEEEEPS6_NSA_18transform_iteratorINSB_9not_fun_tI7is_trueIdEEENSC_INSD_IbEEEENSA_11use_defaultESO_EENS0_5tupleIJNSA_16discard_iteratorISO_EES6_EEENSQ_IJSG_SG_EEES6_PlJS6_EEE10hipError_tPvRmT3_T4_T5_T6_T7_T9_mT8_P12ihipStream_tbDpT10_ENKUlT_T0_E_clISt17integral_constantIbLb1EES1E_IbLb0EEEEDaS1A_S1B_EUlS1A_E_NS1_11comp_targetILNS1_3genE0ELNS1_11target_archE4294967295ELNS1_3gpuE0ELNS1_3repE0EEENS1_30default_config_static_selectorELNS0_4arch9wavefront6targetE0EEEvT1_
		.amdhsa_group_segment_fixed_size 0
		.amdhsa_private_segment_fixed_size 0
		.amdhsa_kernarg_size 128
		.amdhsa_user_sgpr_count 2
		.amdhsa_user_sgpr_dispatch_ptr 0
		.amdhsa_user_sgpr_queue_ptr 0
		.amdhsa_user_sgpr_kernarg_segment_ptr 1
		.amdhsa_user_sgpr_dispatch_id 0
		.amdhsa_user_sgpr_private_segment_size 0
		.amdhsa_wavefront_size32 1
		.amdhsa_uses_dynamic_stack 0
		.amdhsa_enable_private_segment 0
		.amdhsa_system_sgpr_workgroup_id_x 1
		.amdhsa_system_sgpr_workgroup_id_y 0
		.amdhsa_system_sgpr_workgroup_id_z 0
		.amdhsa_system_sgpr_workgroup_info 0
		.amdhsa_system_vgpr_workitem_id 0
		.amdhsa_next_free_vgpr 1
		.amdhsa_next_free_sgpr 1
		.amdhsa_reserve_vcc 0
		.amdhsa_float_round_mode_32 0
		.amdhsa_float_round_mode_16_64 0
		.amdhsa_float_denorm_mode_32 3
		.amdhsa_float_denorm_mode_16_64 3
		.amdhsa_fp16_overflow 0
		.amdhsa_workgroup_processor_mode 1
		.amdhsa_memory_ordered 1
		.amdhsa_forward_progress 1
		.amdhsa_inst_pref_size 0
		.amdhsa_round_robin_scheduling 0
		.amdhsa_exception_fp_ieee_invalid_op 0
		.amdhsa_exception_fp_denorm_src 0
		.amdhsa_exception_fp_ieee_div_zero 0
		.amdhsa_exception_fp_ieee_overflow 0
		.amdhsa_exception_fp_ieee_underflow 0
		.amdhsa_exception_fp_ieee_inexact 0
		.amdhsa_exception_int_div_zero 0
	.end_amdhsa_kernel
	.section	.text._ZN7rocprim17ROCPRIM_400000_NS6detail17trampoline_kernelINS0_14default_configENS1_25partition_config_selectorILNS1_17partition_subalgoE5EdNS0_10empty_typeEbEEZZNS1_14partition_implILS5_5ELb0ES3_mN6thrust23THRUST_200600_302600_NS6detail15normal_iteratorINSA_10device_ptrIdEEEEPS6_NSA_18transform_iteratorINSB_9not_fun_tI7is_trueIdEEENSC_INSD_IbEEEENSA_11use_defaultESO_EENS0_5tupleIJNSA_16discard_iteratorISO_EES6_EEENSQ_IJSG_SG_EEES6_PlJS6_EEE10hipError_tPvRmT3_T4_T5_T6_T7_T9_mT8_P12ihipStream_tbDpT10_ENKUlT_T0_E_clISt17integral_constantIbLb1EES1E_IbLb0EEEEDaS1A_S1B_EUlS1A_E_NS1_11comp_targetILNS1_3genE0ELNS1_11target_archE4294967295ELNS1_3gpuE0ELNS1_3repE0EEENS1_30default_config_static_selectorELNS0_4arch9wavefront6targetE0EEEvT1_,"axG",@progbits,_ZN7rocprim17ROCPRIM_400000_NS6detail17trampoline_kernelINS0_14default_configENS1_25partition_config_selectorILNS1_17partition_subalgoE5EdNS0_10empty_typeEbEEZZNS1_14partition_implILS5_5ELb0ES3_mN6thrust23THRUST_200600_302600_NS6detail15normal_iteratorINSA_10device_ptrIdEEEEPS6_NSA_18transform_iteratorINSB_9not_fun_tI7is_trueIdEEENSC_INSD_IbEEEENSA_11use_defaultESO_EENS0_5tupleIJNSA_16discard_iteratorISO_EES6_EEENSQ_IJSG_SG_EEES6_PlJS6_EEE10hipError_tPvRmT3_T4_T5_T6_T7_T9_mT8_P12ihipStream_tbDpT10_ENKUlT_T0_E_clISt17integral_constantIbLb1EES1E_IbLb0EEEEDaS1A_S1B_EUlS1A_E_NS1_11comp_targetILNS1_3genE0ELNS1_11target_archE4294967295ELNS1_3gpuE0ELNS1_3repE0EEENS1_30default_config_static_selectorELNS0_4arch9wavefront6targetE0EEEvT1_,comdat
.Lfunc_end2605:
	.size	_ZN7rocprim17ROCPRIM_400000_NS6detail17trampoline_kernelINS0_14default_configENS1_25partition_config_selectorILNS1_17partition_subalgoE5EdNS0_10empty_typeEbEEZZNS1_14partition_implILS5_5ELb0ES3_mN6thrust23THRUST_200600_302600_NS6detail15normal_iteratorINSA_10device_ptrIdEEEEPS6_NSA_18transform_iteratorINSB_9not_fun_tI7is_trueIdEEENSC_INSD_IbEEEENSA_11use_defaultESO_EENS0_5tupleIJNSA_16discard_iteratorISO_EES6_EEENSQ_IJSG_SG_EEES6_PlJS6_EEE10hipError_tPvRmT3_T4_T5_T6_T7_T9_mT8_P12ihipStream_tbDpT10_ENKUlT_T0_E_clISt17integral_constantIbLb1EES1E_IbLb0EEEEDaS1A_S1B_EUlS1A_E_NS1_11comp_targetILNS1_3genE0ELNS1_11target_archE4294967295ELNS1_3gpuE0ELNS1_3repE0EEENS1_30default_config_static_selectorELNS0_4arch9wavefront6targetE0EEEvT1_, .Lfunc_end2605-_ZN7rocprim17ROCPRIM_400000_NS6detail17trampoline_kernelINS0_14default_configENS1_25partition_config_selectorILNS1_17partition_subalgoE5EdNS0_10empty_typeEbEEZZNS1_14partition_implILS5_5ELb0ES3_mN6thrust23THRUST_200600_302600_NS6detail15normal_iteratorINSA_10device_ptrIdEEEEPS6_NSA_18transform_iteratorINSB_9not_fun_tI7is_trueIdEEENSC_INSD_IbEEEENSA_11use_defaultESO_EENS0_5tupleIJNSA_16discard_iteratorISO_EES6_EEENSQ_IJSG_SG_EEES6_PlJS6_EEE10hipError_tPvRmT3_T4_T5_T6_T7_T9_mT8_P12ihipStream_tbDpT10_ENKUlT_T0_E_clISt17integral_constantIbLb1EES1E_IbLb0EEEEDaS1A_S1B_EUlS1A_E_NS1_11comp_targetILNS1_3genE0ELNS1_11target_archE4294967295ELNS1_3gpuE0ELNS1_3repE0EEENS1_30default_config_static_selectorELNS0_4arch9wavefront6targetE0EEEvT1_
                                        ; -- End function
	.set _ZN7rocprim17ROCPRIM_400000_NS6detail17trampoline_kernelINS0_14default_configENS1_25partition_config_selectorILNS1_17partition_subalgoE5EdNS0_10empty_typeEbEEZZNS1_14partition_implILS5_5ELb0ES3_mN6thrust23THRUST_200600_302600_NS6detail15normal_iteratorINSA_10device_ptrIdEEEEPS6_NSA_18transform_iteratorINSB_9not_fun_tI7is_trueIdEEENSC_INSD_IbEEEENSA_11use_defaultESO_EENS0_5tupleIJNSA_16discard_iteratorISO_EES6_EEENSQ_IJSG_SG_EEES6_PlJS6_EEE10hipError_tPvRmT3_T4_T5_T6_T7_T9_mT8_P12ihipStream_tbDpT10_ENKUlT_T0_E_clISt17integral_constantIbLb1EES1E_IbLb0EEEEDaS1A_S1B_EUlS1A_E_NS1_11comp_targetILNS1_3genE0ELNS1_11target_archE4294967295ELNS1_3gpuE0ELNS1_3repE0EEENS1_30default_config_static_selectorELNS0_4arch9wavefront6targetE0EEEvT1_.num_vgpr, 0
	.set _ZN7rocprim17ROCPRIM_400000_NS6detail17trampoline_kernelINS0_14default_configENS1_25partition_config_selectorILNS1_17partition_subalgoE5EdNS0_10empty_typeEbEEZZNS1_14partition_implILS5_5ELb0ES3_mN6thrust23THRUST_200600_302600_NS6detail15normal_iteratorINSA_10device_ptrIdEEEEPS6_NSA_18transform_iteratorINSB_9not_fun_tI7is_trueIdEEENSC_INSD_IbEEEENSA_11use_defaultESO_EENS0_5tupleIJNSA_16discard_iteratorISO_EES6_EEENSQ_IJSG_SG_EEES6_PlJS6_EEE10hipError_tPvRmT3_T4_T5_T6_T7_T9_mT8_P12ihipStream_tbDpT10_ENKUlT_T0_E_clISt17integral_constantIbLb1EES1E_IbLb0EEEEDaS1A_S1B_EUlS1A_E_NS1_11comp_targetILNS1_3genE0ELNS1_11target_archE4294967295ELNS1_3gpuE0ELNS1_3repE0EEENS1_30default_config_static_selectorELNS0_4arch9wavefront6targetE0EEEvT1_.num_agpr, 0
	.set _ZN7rocprim17ROCPRIM_400000_NS6detail17trampoline_kernelINS0_14default_configENS1_25partition_config_selectorILNS1_17partition_subalgoE5EdNS0_10empty_typeEbEEZZNS1_14partition_implILS5_5ELb0ES3_mN6thrust23THRUST_200600_302600_NS6detail15normal_iteratorINSA_10device_ptrIdEEEEPS6_NSA_18transform_iteratorINSB_9not_fun_tI7is_trueIdEEENSC_INSD_IbEEEENSA_11use_defaultESO_EENS0_5tupleIJNSA_16discard_iteratorISO_EES6_EEENSQ_IJSG_SG_EEES6_PlJS6_EEE10hipError_tPvRmT3_T4_T5_T6_T7_T9_mT8_P12ihipStream_tbDpT10_ENKUlT_T0_E_clISt17integral_constantIbLb1EES1E_IbLb0EEEEDaS1A_S1B_EUlS1A_E_NS1_11comp_targetILNS1_3genE0ELNS1_11target_archE4294967295ELNS1_3gpuE0ELNS1_3repE0EEENS1_30default_config_static_selectorELNS0_4arch9wavefront6targetE0EEEvT1_.numbered_sgpr, 0
	.set _ZN7rocprim17ROCPRIM_400000_NS6detail17trampoline_kernelINS0_14default_configENS1_25partition_config_selectorILNS1_17partition_subalgoE5EdNS0_10empty_typeEbEEZZNS1_14partition_implILS5_5ELb0ES3_mN6thrust23THRUST_200600_302600_NS6detail15normal_iteratorINSA_10device_ptrIdEEEEPS6_NSA_18transform_iteratorINSB_9not_fun_tI7is_trueIdEEENSC_INSD_IbEEEENSA_11use_defaultESO_EENS0_5tupleIJNSA_16discard_iteratorISO_EES6_EEENSQ_IJSG_SG_EEES6_PlJS6_EEE10hipError_tPvRmT3_T4_T5_T6_T7_T9_mT8_P12ihipStream_tbDpT10_ENKUlT_T0_E_clISt17integral_constantIbLb1EES1E_IbLb0EEEEDaS1A_S1B_EUlS1A_E_NS1_11comp_targetILNS1_3genE0ELNS1_11target_archE4294967295ELNS1_3gpuE0ELNS1_3repE0EEENS1_30default_config_static_selectorELNS0_4arch9wavefront6targetE0EEEvT1_.num_named_barrier, 0
	.set _ZN7rocprim17ROCPRIM_400000_NS6detail17trampoline_kernelINS0_14default_configENS1_25partition_config_selectorILNS1_17partition_subalgoE5EdNS0_10empty_typeEbEEZZNS1_14partition_implILS5_5ELb0ES3_mN6thrust23THRUST_200600_302600_NS6detail15normal_iteratorINSA_10device_ptrIdEEEEPS6_NSA_18transform_iteratorINSB_9not_fun_tI7is_trueIdEEENSC_INSD_IbEEEENSA_11use_defaultESO_EENS0_5tupleIJNSA_16discard_iteratorISO_EES6_EEENSQ_IJSG_SG_EEES6_PlJS6_EEE10hipError_tPvRmT3_T4_T5_T6_T7_T9_mT8_P12ihipStream_tbDpT10_ENKUlT_T0_E_clISt17integral_constantIbLb1EES1E_IbLb0EEEEDaS1A_S1B_EUlS1A_E_NS1_11comp_targetILNS1_3genE0ELNS1_11target_archE4294967295ELNS1_3gpuE0ELNS1_3repE0EEENS1_30default_config_static_selectorELNS0_4arch9wavefront6targetE0EEEvT1_.private_seg_size, 0
	.set _ZN7rocprim17ROCPRIM_400000_NS6detail17trampoline_kernelINS0_14default_configENS1_25partition_config_selectorILNS1_17partition_subalgoE5EdNS0_10empty_typeEbEEZZNS1_14partition_implILS5_5ELb0ES3_mN6thrust23THRUST_200600_302600_NS6detail15normal_iteratorINSA_10device_ptrIdEEEEPS6_NSA_18transform_iteratorINSB_9not_fun_tI7is_trueIdEEENSC_INSD_IbEEEENSA_11use_defaultESO_EENS0_5tupleIJNSA_16discard_iteratorISO_EES6_EEENSQ_IJSG_SG_EEES6_PlJS6_EEE10hipError_tPvRmT3_T4_T5_T6_T7_T9_mT8_P12ihipStream_tbDpT10_ENKUlT_T0_E_clISt17integral_constantIbLb1EES1E_IbLb0EEEEDaS1A_S1B_EUlS1A_E_NS1_11comp_targetILNS1_3genE0ELNS1_11target_archE4294967295ELNS1_3gpuE0ELNS1_3repE0EEENS1_30default_config_static_selectorELNS0_4arch9wavefront6targetE0EEEvT1_.uses_vcc, 0
	.set _ZN7rocprim17ROCPRIM_400000_NS6detail17trampoline_kernelINS0_14default_configENS1_25partition_config_selectorILNS1_17partition_subalgoE5EdNS0_10empty_typeEbEEZZNS1_14partition_implILS5_5ELb0ES3_mN6thrust23THRUST_200600_302600_NS6detail15normal_iteratorINSA_10device_ptrIdEEEEPS6_NSA_18transform_iteratorINSB_9not_fun_tI7is_trueIdEEENSC_INSD_IbEEEENSA_11use_defaultESO_EENS0_5tupleIJNSA_16discard_iteratorISO_EES6_EEENSQ_IJSG_SG_EEES6_PlJS6_EEE10hipError_tPvRmT3_T4_T5_T6_T7_T9_mT8_P12ihipStream_tbDpT10_ENKUlT_T0_E_clISt17integral_constantIbLb1EES1E_IbLb0EEEEDaS1A_S1B_EUlS1A_E_NS1_11comp_targetILNS1_3genE0ELNS1_11target_archE4294967295ELNS1_3gpuE0ELNS1_3repE0EEENS1_30default_config_static_selectorELNS0_4arch9wavefront6targetE0EEEvT1_.uses_flat_scratch, 0
	.set _ZN7rocprim17ROCPRIM_400000_NS6detail17trampoline_kernelINS0_14default_configENS1_25partition_config_selectorILNS1_17partition_subalgoE5EdNS0_10empty_typeEbEEZZNS1_14partition_implILS5_5ELb0ES3_mN6thrust23THRUST_200600_302600_NS6detail15normal_iteratorINSA_10device_ptrIdEEEEPS6_NSA_18transform_iteratorINSB_9not_fun_tI7is_trueIdEEENSC_INSD_IbEEEENSA_11use_defaultESO_EENS0_5tupleIJNSA_16discard_iteratorISO_EES6_EEENSQ_IJSG_SG_EEES6_PlJS6_EEE10hipError_tPvRmT3_T4_T5_T6_T7_T9_mT8_P12ihipStream_tbDpT10_ENKUlT_T0_E_clISt17integral_constantIbLb1EES1E_IbLb0EEEEDaS1A_S1B_EUlS1A_E_NS1_11comp_targetILNS1_3genE0ELNS1_11target_archE4294967295ELNS1_3gpuE0ELNS1_3repE0EEENS1_30default_config_static_selectorELNS0_4arch9wavefront6targetE0EEEvT1_.has_dyn_sized_stack, 0
	.set _ZN7rocprim17ROCPRIM_400000_NS6detail17trampoline_kernelINS0_14default_configENS1_25partition_config_selectorILNS1_17partition_subalgoE5EdNS0_10empty_typeEbEEZZNS1_14partition_implILS5_5ELb0ES3_mN6thrust23THRUST_200600_302600_NS6detail15normal_iteratorINSA_10device_ptrIdEEEEPS6_NSA_18transform_iteratorINSB_9not_fun_tI7is_trueIdEEENSC_INSD_IbEEEENSA_11use_defaultESO_EENS0_5tupleIJNSA_16discard_iteratorISO_EES6_EEENSQ_IJSG_SG_EEES6_PlJS6_EEE10hipError_tPvRmT3_T4_T5_T6_T7_T9_mT8_P12ihipStream_tbDpT10_ENKUlT_T0_E_clISt17integral_constantIbLb1EES1E_IbLb0EEEEDaS1A_S1B_EUlS1A_E_NS1_11comp_targetILNS1_3genE0ELNS1_11target_archE4294967295ELNS1_3gpuE0ELNS1_3repE0EEENS1_30default_config_static_selectorELNS0_4arch9wavefront6targetE0EEEvT1_.has_recursion, 0
	.set _ZN7rocprim17ROCPRIM_400000_NS6detail17trampoline_kernelINS0_14default_configENS1_25partition_config_selectorILNS1_17partition_subalgoE5EdNS0_10empty_typeEbEEZZNS1_14partition_implILS5_5ELb0ES3_mN6thrust23THRUST_200600_302600_NS6detail15normal_iteratorINSA_10device_ptrIdEEEEPS6_NSA_18transform_iteratorINSB_9not_fun_tI7is_trueIdEEENSC_INSD_IbEEEENSA_11use_defaultESO_EENS0_5tupleIJNSA_16discard_iteratorISO_EES6_EEENSQ_IJSG_SG_EEES6_PlJS6_EEE10hipError_tPvRmT3_T4_T5_T6_T7_T9_mT8_P12ihipStream_tbDpT10_ENKUlT_T0_E_clISt17integral_constantIbLb1EES1E_IbLb0EEEEDaS1A_S1B_EUlS1A_E_NS1_11comp_targetILNS1_3genE0ELNS1_11target_archE4294967295ELNS1_3gpuE0ELNS1_3repE0EEENS1_30default_config_static_selectorELNS0_4arch9wavefront6targetE0EEEvT1_.has_indirect_call, 0
	.section	.AMDGPU.csdata,"",@progbits
; Kernel info:
; codeLenInByte = 0
; TotalNumSgprs: 0
; NumVgprs: 0
; ScratchSize: 0
; MemoryBound: 0
; FloatMode: 240
; IeeeMode: 1
; LDSByteSize: 0 bytes/workgroup (compile time only)
; SGPRBlocks: 0
; VGPRBlocks: 0
; NumSGPRsForWavesPerEU: 1
; NumVGPRsForWavesPerEU: 1
; Occupancy: 16
; WaveLimiterHint : 0
; COMPUTE_PGM_RSRC2:SCRATCH_EN: 0
; COMPUTE_PGM_RSRC2:USER_SGPR: 2
; COMPUTE_PGM_RSRC2:TRAP_HANDLER: 0
; COMPUTE_PGM_RSRC2:TGID_X_EN: 1
; COMPUTE_PGM_RSRC2:TGID_Y_EN: 0
; COMPUTE_PGM_RSRC2:TGID_Z_EN: 0
; COMPUTE_PGM_RSRC2:TIDIG_COMP_CNT: 0
	.section	.text._ZN7rocprim17ROCPRIM_400000_NS6detail17trampoline_kernelINS0_14default_configENS1_25partition_config_selectorILNS1_17partition_subalgoE5EdNS0_10empty_typeEbEEZZNS1_14partition_implILS5_5ELb0ES3_mN6thrust23THRUST_200600_302600_NS6detail15normal_iteratorINSA_10device_ptrIdEEEEPS6_NSA_18transform_iteratorINSB_9not_fun_tI7is_trueIdEEENSC_INSD_IbEEEENSA_11use_defaultESO_EENS0_5tupleIJNSA_16discard_iteratorISO_EES6_EEENSQ_IJSG_SG_EEES6_PlJS6_EEE10hipError_tPvRmT3_T4_T5_T6_T7_T9_mT8_P12ihipStream_tbDpT10_ENKUlT_T0_E_clISt17integral_constantIbLb1EES1E_IbLb0EEEEDaS1A_S1B_EUlS1A_E_NS1_11comp_targetILNS1_3genE5ELNS1_11target_archE942ELNS1_3gpuE9ELNS1_3repE0EEENS1_30default_config_static_selectorELNS0_4arch9wavefront6targetE0EEEvT1_,"axG",@progbits,_ZN7rocprim17ROCPRIM_400000_NS6detail17trampoline_kernelINS0_14default_configENS1_25partition_config_selectorILNS1_17partition_subalgoE5EdNS0_10empty_typeEbEEZZNS1_14partition_implILS5_5ELb0ES3_mN6thrust23THRUST_200600_302600_NS6detail15normal_iteratorINSA_10device_ptrIdEEEEPS6_NSA_18transform_iteratorINSB_9not_fun_tI7is_trueIdEEENSC_INSD_IbEEEENSA_11use_defaultESO_EENS0_5tupleIJNSA_16discard_iteratorISO_EES6_EEENSQ_IJSG_SG_EEES6_PlJS6_EEE10hipError_tPvRmT3_T4_T5_T6_T7_T9_mT8_P12ihipStream_tbDpT10_ENKUlT_T0_E_clISt17integral_constantIbLb1EES1E_IbLb0EEEEDaS1A_S1B_EUlS1A_E_NS1_11comp_targetILNS1_3genE5ELNS1_11target_archE942ELNS1_3gpuE9ELNS1_3repE0EEENS1_30default_config_static_selectorELNS0_4arch9wavefront6targetE0EEEvT1_,comdat
	.protected	_ZN7rocprim17ROCPRIM_400000_NS6detail17trampoline_kernelINS0_14default_configENS1_25partition_config_selectorILNS1_17partition_subalgoE5EdNS0_10empty_typeEbEEZZNS1_14partition_implILS5_5ELb0ES3_mN6thrust23THRUST_200600_302600_NS6detail15normal_iteratorINSA_10device_ptrIdEEEEPS6_NSA_18transform_iteratorINSB_9not_fun_tI7is_trueIdEEENSC_INSD_IbEEEENSA_11use_defaultESO_EENS0_5tupleIJNSA_16discard_iteratorISO_EES6_EEENSQ_IJSG_SG_EEES6_PlJS6_EEE10hipError_tPvRmT3_T4_T5_T6_T7_T9_mT8_P12ihipStream_tbDpT10_ENKUlT_T0_E_clISt17integral_constantIbLb1EES1E_IbLb0EEEEDaS1A_S1B_EUlS1A_E_NS1_11comp_targetILNS1_3genE5ELNS1_11target_archE942ELNS1_3gpuE9ELNS1_3repE0EEENS1_30default_config_static_selectorELNS0_4arch9wavefront6targetE0EEEvT1_ ; -- Begin function _ZN7rocprim17ROCPRIM_400000_NS6detail17trampoline_kernelINS0_14default_configENS1_25partition_config_selectorILNS1_17partition_subalgoE5EdNS0_10empty_typeEbEEZZNS1_14partition_implILS5_5ELb0ES3_mN6thrust23THRUST_200600_302600_NS6detail15normal_iteratorINSA_10device_ptrIdEEEEPS6_NSA_18transform_iteratorINSB_9not_fun_tI7is_trueIdEEENSC_INSD_IbEEEENSA_11use_defaultESO_EENS0_5tupleIJNSA_16discard_iteratorISO_EES6_EEENSQ_IJSG_SG_EEES6_PlJS6_EEE10hipError_tPvRmT3_T4_T5_T6_T7_T9_mT8_P12ihipStream_tbDpT10_ENKUlT_T0_E_clISt17integral_constantIbLb1EES1E_IbLb0EEEEDaS1A_S1B_EUlS1A_E_NS1_11comp_targetILNS1_3genE5ELNS1_11target_archE942ELNS1_3gpuE9ELNS1_3repE0EEENS1_30default_config_static_selectorELNS0_4arch9wavefront6targetE0EEEvT1_
	.globl	_ZN7rocprim17ROCPRIM_400000_NS6detail17trampoline_kernelINS0_14default_configENS1_25partition_config_selectorILNS1_17partition_subalgoE5EdNS0_10empty_typeEbEEZZNS1_14partition_implILS5_5ELb0ES3_mN6thrust23THRUST_200600_302600_NS6detail15normal_iteratorINSA_10device_ptrIdEEEEPS6_NSA_18transform_iteratorINSB_9not_fun_tI7is_trueIdEEENSC_INSD_IbEEEENSA_11use_defaultESO_EENS0_5tupleIJNSA_16discard_iteratorISO_EES6_EEENSQ_IJSG_SG_EEES6_PlJS6_EEE10hipError_tPvRmT3_T4_T5_T6_T7_T9_mT8_P12ihipStream_tbDpT10_ENKUlT_T0_E_clISt17integral_constantIbLb1EES1E_IbLb0EEEEDaS1A_S1B_EUlS1A_E_NS1_11comp_targetILNS1_3genE5ELNS1_11target_archE942ELNS1_3gpuE9ELNS1_3repE0EEENS1_30default_config_static_selectorELNS0_4arch9wavefront6targetE0EEEvT1_
	.p2align	8
	.type	_ZN7rocprim17ROCPRIM_400000_NS6detail17trampoline_kernelINS0_14default_configENS1_25partition_config_selectorILNS1_17partition_subalgoE5EdNS0_10empty_typeEbEEZZNS1_14partition_implILS5_5ELb0ES3_mN6thrust23THRUST_200600_302600_NS6detail15normal_iteratorINSA_10device_ptrIdEEEEPS6_NSA_18transform_iteratorINSB_9not_fun_tI7is_trueIdEEENSC_INSD_IbEEEENSA_11use_defaultESO_EENS0_5tupleIJNSA_16discard_iteratorISO_EES6_EEENSQ_IJSG_SG_EEES6_PlJS6_EEE10hipError_tPvRmT3_T4_T5_T6_T7_T9_mT8_P12ihipStream_tbDpT10_ENKUlT_T0_E_clISt17integral_constantIbLb1EES1E_IbLb0EEEEDaS1A_S1B_EUlS1A_E_NS1_11comp_targetILNS1_3genE5ELNS1_11target_archE942ELNS1_3gpuE9ELNS1_3repE0EEENS1_30default_config_static_selectorELNS0_4arch9wavefront6targetE0EEEvT1_,@function
_ZN7rocprim17ROCPRIM_400000_NS6detail17trampoline_kernelINS0_14default_configENS1_25partition_config_selectorILNS1_17partition_subalgoE5EdNS0_10empty_typeEbEEZZNS1_14partition_implILS5_5ELb0ES3_mN6thrust23THRUST_200600_302600_NS6detail15normal_iteratorINSA_10device_ptrIdEEEEPS6_NSA_18transform_iteratorINSB_9not_fun_tI7is_trueIdEEENSC_INSD_IbEEEENSA_11use_defaultESO_EENS0_5tupleIJNSA_16discard_iteratorISO_EES6_EEENSQ_IJSG_SG_EEES6_PlJS6_EEE10hipError_tPvRmT3_T4_T5_T6_T7_T9_mT8_P12ihipStream_tbDpT10_ENKUlT_T0_E_clISt17integral_constantIbLb1EES1E_IbLb0EEEEDaS1A_S1B_EUlS1A_E_NS1_11comp_targetILNS1_3genE5ELNS1_11target_archE942ELNS1_3gpuE9ELNS1_3repE0EEENS1_30default_config_static_selectorELNS0_4arch9wavefront6targetE0EEEvT1_: ; @_ZN7rocprim17ROCPRIM_400000_NS6detail17trampoline_kernelINS0_14default_configENS1_25partition_config_selectorILNS1_17partition_subalgoE5EdNS0_10empty_typeEbEEZZNS1_14partition_implILS5_5ELb0ES3_mN6thrust23THRUST_200600_302600_NS6detail15normal_iteratorINSA_10device_ptrIdEEEEPS6_NSA_18transform_iteratorINSB_9not_fun_tI7is_trueIdEEENSC_INSD_IbEEEENSA_11use_defaultESO_EENS0_5tupleIJNSA_16discard_iteratorISO_EES6_EEENSQ_IJSG_SG_EEES6_PlJS6_EEE10hipError_tPvRmT3_T4_T5_T6_T7_T9_mT8_P12ihipStream_tbDpT10_ENKUlT_T0_E_clISt17integral_constantIbLb1EES1E_IbLb0EEEEDaS1A_S1B_EUlS1A_E_NS1_11comp_targetILNS1_3genE5ELNS1_11target_archE942ELNS1_3gpuE9ELNS1_3repE0EEENS1_30default_config_static_selectorELNS0_4arch9wavefront6targetE0EEEvT1_
; %bb.0:
	.section	.rodata,"a",@progbits
	.p2align	6, 0x0
	.amdhsa_kernel _ZN7rocprim17ROCPRIM_400000_NS6detail17trampoline_kernelINS0_14default_configENS1_25partition_config_selectorILNS1_17partition_subalgoE5EdNS0_10empty_typeEbEEZZNS1_14partition_implILS5_5ELb0ES3_mN6thrust23THRUST_200600_302600_NS6detail15normal_iteratorINSA_10device_ptrIdEEEEPS6_NSA_18transform_iteratorINSB_9not_fun_tI7is_trueIdEEENSC_INSD_IbEEEENSA_11use_defaultESO_EENS0_5tupleIJNSA_16discard_iteratorISO_EES6_EEENSQ_IJSG_SG_EEES6_PlJS6_EEE10hipError_tPvRmT3_T4_T5_T6_T7_T9_mT8_P12ihipStream_tbDpT10_ENKUlT_T0_E_clISt17integral_constantIbLb1EES1E_IbLb0EEEEDaS1A_S1B_EUlS1A_E_NS1_11comp_targetILNS1_3genE5ELNS1_11target_archE942ELNS1_3gpuE9ELNS1_3repE0EEENS1_30default_config_static_selectorELNS0_4arch9wavefront6targetE0EEEvT1_
		.amdhsa_group_segment_fixed_size 0
		.amdhsa_private_segment_fixed_size 0
		.amdhsa_kernarg_size 128
		.amdhsa_user_sgpr_count 2
		.amdhsa_user_sgpr_dispatch_ptr 0
		.amdhsa_user_sgpr_queue_ptr 0
		.amdhsa_user_sgpr_kernarg_segment_ptr 1
		.amdhsa_user_sgpr_dispatch_id 0
		.amdhsa_user_sgpr_private_segment_size 0
		.amdhsa_wavefront_size32 1
		.amdhsa_uses_dynamic_stack 0
		.amdhsa_enable_private_segment 0
		.amdhsa_system_sgpr_workgroup_id_x 1
		.amdhsa_system_sgpr_workgroup_id_y 0
		.amdhsa_system_sgpr_workgroup_id_z 0
		.amdhsa_system_sgpr_workgroup_info 0
		.amdhsa_system_vgpr_workitem_id 0
		.amdhsa_next_free_vgpr 1
		.amdhsa_next_free_sgpr 1
		.amdhsa_reserve_vcc 0
		.amdhsa_float_round_mode_32 0
		.amdhsa_float_round_mode_16_64 0
		.amdhsa_float_denorm_mode_32 3
		.amdhsa_float_denorm_mode_16_64 3
		.amdhsa_fp16_overflow 0
		.amdhsa_workgroup_processor_mode 1
		.amdhsa_memory_ordered 1
		.amdhsa_forward_progress 1
		.amdhsa_inst_pref_size 0
		.amdhsa_round_robin_scheduling 0
		.amdhsa_exception_fp_ieee_invalid_op 0
		.amdhsa_exception_fp_denorm_src 0
		.amdhsa_exception_fp_ieee_div_zero 0
		.amdhsa_exception_fp_ieee_overflow 0
		.amdhsa_exception_fp_ieee_underflow 0
		.amdhsa_exception_fp_ieee_inexact 0
		.amdhsa_exception_int_div_zero 0
	.end_amdhsa_kernel
	.section	.text._ZN7rocprim17ROCPRIM_400000_NS6detail17trampoline_kernelINS0_14default_configENS1_25partition_config_selectorILNS1_17partition_subalgoE5EdNS0_10empty_typeEbEEZZNS1_14partition_implILS5_5ELb0ES3_mN6thrust23THRUST_200600_302600_NS6detail15normal_iteratorINSA_10device_ptrIdEEEEPS6_NSA_18transform_iteratorINSB_9not_fun_tI7is_trueIdEEENSC_INSD_IbEEEENSA_11use_defaultESO_EENS0_5tupleIJNSA_16discard_iteratorISO_EES6_EEENSQ_IJSG_SG_EEES6_PlJS6_EEE10hipError_tPvRmT3_T4_T5_T6_T7_T9_mT8_P12ihipStream_tbDpT10_ENKUlT_T0_E_clISt17integral_constantIbLb1EES1E_IbLb0EEEEDaS1A_S1B_EUlS1A_E_NS1_11comp_targetILNS1_3genE5ELNS1_11target_archE942ELNS1_3gpuE9ELNS1_3repE0EEENS1_30default_config_static_selectorELNS0_4arch9wavefront6targetE0EEEvT1_,"axG",@progbits,_ZN7rocprim17ROCPRIM_400000_NS6detail17trampoline_kernelINS0_14default_configENS1_25partition_config_selectorILNS1_17partition_subalgoE5EdNS0_10empty_typeEbEEZZNS1_14partition_implILS5_5ELb0ES3_mN6thrust23THRUST_200600_302600_NS6detail15normal_iteratorINSA_10device_ptrIdEEEEPS6_NSA_18transform_iteratorINSB_9not_fun_tI7is_trueIdEEENSC_INSD_IbEEEENSA_11use_defaultESO_EENS0_5tupleIJNSA_16discard_iteratorISO_EES6_EEENSQ_IJSG_SG_EEES6_PlJS6_EEE10hipError_tPvRmT3_T4_T5_T6_T7_T9_mT8_P12ihipStream_tbDpT10_ENKUlT_T0_E_clISt17integral_constantIbLb1EES1E_IbLb0EEEEDaS1A_S1B_EUlS1A_E_NS1_11comp_targetILNS1_3genE5ELNS1_11target_archE942ELNS1_3gpuE9ELNS1_3repE0EEENS1_30default_config_static_selectorELNS0_4arch9wavefront6targetE0EEEvT1_,comdat
.Lfunc_end2606:
	.size	_ZN7rocprim17ROCPRIM_400000_NS6detail17trampoline_kernelINS0_14default_configENS1_25partition_config_selectorILNS1_17partition_subalgoE5EdNS0_10empty_typeEbEEZZNS1_14partition_implILS5_5ELb0ES3_mN6thrust23THRUST_200600_302600_NS6detail15normal_iteratorINSA_10device_ptrIdEEEEPS6_NSA_18transform_iteratorINSB_9not_fun_tI7is_trueIdEEENSC_INSD_IbEEEENSA_11use_defaultESO_EENS0_5tupleIJNSA_16discard_iteratorISO_EES6_EEENSQ_IJSG_SG_EEES6_PlJS6_EEE10hipError_tPvRmT3_T4_T5_T6_T7_T9_mT8_P12ihipStream_tbDpT10_ENKUlT_T0_E_clISt17integral_constantIbLb1EES1E_IbLb0EEEEDaS1A_S1B_EUlS1A_E_NS1_11comp_targetILNS1_3genE5ELNS1_11target_archE942ELNS1_3gpuE9ELNS1_3repE0EEENS1_30default_config_static_selectorELNS0_4arch9wavefront6targetE0EEEvT1_, .Lfunc_end2606-_ZN7rocprim17ROCPRIM_400000_NS6detail17trampoline_kernelINS0_14default_configENS1_25partition_config_selectorILNS1_17partition_subalgoE5EdNS0_10empty_typeEbEEZZNS1_14partition_implILS5_5ELb0ES3_mN6thrust23THRUST_200600_302600_NS6detail15normal_iteratorINSA_10device_ptrIdEEEEPS6_NSA_18transform_iteratorINSB_9not_fun_tI7is_trueIdEEENSC_INSD_IbEEEENSA_11use_defaultESO_EENS0_5tupleIJNSA_16discard_iteratorISO_EES6_EEENSQ_IJSG_SG_EEES6_PlJS6_EEE10hipError_tPvRmT3_T4_T5_T6_T7_T9_mT8_P12ihipStream_tbDpT10_ENKUlT_T0_E_clISt17integral_constantIbLb1EES1E_IbLb0EEEEDaS1A_S1B_EUlS1A_E_NS1_11comp_targetILNS1_3genE5ELNS1_11target_archE942ELNS1_3gpuE9ELNS1_3repE0EEENS1_30default_config_static_selectorELNS0_4arch9wavefront6targetE0EEEvT1_
                                        ; -- End function
	.set _ZN7rocprim17ROCPRIM_400000_NS6detail17trampoline_kernelINS0_14default_configENS1_25partition_config_selectorILNS1_17partition_subalgoE5EdNS0_10empty_typeEbEEZZNS1_14partition_implILS5_5ELb0ES3_mN6thrust23THRUST_200600_302600_NS6detail15normal_iteratorINSA_10device_ptrIdEEEEPS6_NSA_18transform_iteratorINSB_9not_fun_tI7is_trueIdEEENSC_INSD_IbEEEENSA_11use_defaultESO_EENS0_5tupleIJNSA_16discard_iteratorISO_EES6_EEENSQ_IJSG_SG_EEES6_PlJS6_EEE10hipError_tPvRmT3_T4_T5_T6_T7_T9_mT8_P12ihipStream_tbDpT10_ENKUlT_T0_E_clISt17integral_constantIbLb1EES1E_IbLb0EEEEDaS1A_S1B_EUlS1A_E_NS1_11comp_targetILNS1_3genE5ELNS1_11target_archE942ELNS1_3gpuE9ELNS1_3repE0EEENS1_30default_config_static_selectorELNS0_4arch9wavefront6targetE0EEEvT1_.num_vgpr, 0
	.set _ZN7rocprim17ROCPRIM_400000_NS6detail17trampoline_kernelINS0_14default_configENS1_25partition_config_selectorILNS1_17partition_subalgoE5EdNS0_10empty_typeEbEEZZNS1_14partition_implILS5_5ELb0ES3_mN6thrust23THRUST_200600_302600_NS6detail15normal_iteratorINSA_10device_ptrIdEEEEPS6_NSA_18transform_iteratorINSB_9not_fun_tI7is_trueIdEEENSC_INSD_IbEEEENSA_11use_defaultESO_EENS0_5tupleIJNSA_16discard_iteratorISO_EES6_EEENSQ_IJSG_SG_EEES6_PlJS6_EEE10hipError_tPvRmT3_T4_T5_T6_T7_T9_mT8_P12ihipStream_tbDpT10_ENKUlT_T0_E_clISt17integral_constantIbLb1EES1E_IbLb0EEEEDaS1A_S1B_EUlS1A_E_NS1_11comp_targetILNS1_3genE5ELNS1_11target_archE942ELNS1_3gpuE9ELNS1_3repE0EEENS1_30default_config_static_selectorELNS0_4arch9wavefront6targetE0EEEvT1_.num_agpr, 0
	.set _ZN7rocprim17ROCPRIM_400000_NS6detail17trampoline_kernelINS0_14default_configENS1_25partition_config_selectorILNS1_17partition_subalgoE5EdNS0_10empty_typeEbEEZZNS1_14partition_implILS5_5ELb0ES3_mN6thrust23THRUST_200600_302600_NS6detail15normal_iteratorINSA_10device_ptrIdEEEEPS6_NSA_18transform_iteratorINSB_9not_fun_tI7is_trueIdEEENSC_INSD_IbEEEENSA_11use_defaultESO_EENS0_5tupleIJNSA_16discard_iteratorISO_EES6_EEENSQ_IJSG_SG_EEES6_PlJS6_EEE10hipError_tPvRmT3_T4_T5_T6_T7_T9_mT8_P12ihipStream_tbDpT10_ENKUlT_T0_E_clISt17integral_constantIbLb1EES1E_IbLb0EEEEDaS1A_S1B_EUlS1A_E_NS1_11comp_targetILNS1_3genE5ELNS1_11target_archE942ELNS1_3gpuE9ELNS1_3repE0EEENS1_30default_config_static_selectorELNS0_4arch9wavefront6targetE0EEEvT1_.numbered_sgpr, 0
	.set _ZN7rocprim17ROCPRIM_400000_NS6detail17trampoline_kernelINS0_14default_configENS1_25partition_config_selectorILNS1_17partition_subalgoE5EdNS0_10empty_typeEbEEZZNS1_14partition_implILS5_5ELb0ES3_mN6thrust23THRUST_200600_302600_NS6detail15normal_iteratorINSA_10device_ptrIdEEEEPS6_NSA_18transform_iteratorINSB_9not_fun_tI7is_trueIdEEENSC_INSD_IbEEEENSA_11use_defaultESO_EENS0_5tupleIJNSA_16discard_iteratorISO_EES6_EEENSQ_IJSG_SG_EEES6_PlJS6_EEE10hipError_tPvRmT3_T4_T5_T6_T7_T9_mT8_P12ihipStream_tbDpT10_ENKUlT_T0_E_clISt17integral_constantIbLb1EES1E_IbLb0EEEEDaS1A_S1B_EUlS1A_E_NS1_11comp_targetILNS1_3genE5ELNS1_11target_archE942ELNS1_3gpuE9ELNS1_3repE0EEENS1_30default_config_static_selectorELNS0_4arch9wavefront6targetE0EEEvT1_.num_named_barrier, 0
	.set _ZN7rocprim17ROCPRIM_400000_NS6detail17trampoline_kernelINS0_14default_configENS1_25partition_config_selectorILNS1_17partition_subalgoE5EdNS0_10empty_typeEbEEZZNS1_14partition_implILS5_5ELb0ES3_mN6thrust23THRUST_200600_302600_NS6detail15normal_iteratorINSA_10device_ptrIdEEEEPS6_NSA_18transform_iteratorINSB_9not_fun_tI7is_trueIdEEENSC_INSD_IbEEEENSA_11use_defaultESO_EENS0_5tupleIJNSA_16discard_iteratorISO_EES6_EEENSQ_IJSG_SG_EEES6_PlJS6_EEE10hipError_tPvRmT3_T4_T5_T6_T7_T9_mT8_P12ihipStream_tbDpT10_ENKUlT_T0_E_clISt17integral_constantIbLb1EES1E_IbLb0EEEEDaS1A_S1B_EUlS1A_E_NS1_11comp_targetILNS1_3genE5ELNS1_11target_archE942ELNS1_3gpuE9ELNS1_3repE0EEENS1_30default_config_static_selectorELNS0_4arch9wavefront6targetE0EEEvT1_.private_seg_size, 0
	.set _ZN7rocprim17ROCPRIM_400000_NS6detail17trampoline_kernelINS0_14default_configENS1_25partition_config_selectorILNS1_17partition_subalgoE5EdNS0_10empty_typeEbEEZZNS1_14partition_implILS5_5ELb0ES3_mN6thrust23THRUST_200600_302600_NS6detail15normal_iteratorINSA_10device_ptrIdEEEEPS6_NSA_18transform_iteratorINSB_9not_fun_tI7is_trueIdEEENSC_INSD_IbEEEENSA_11use_defaultESO_EENS0_5tupleIJNSA_16discard_iteratorISO_EES6_EEENSQ_IJSG_SG_EEES6_PlJS6_EEE10hipError_tPvRmT3_T4_T5_T6_T7_T9_mT8_P12ihipStream_tbDpT10_ENKUlT_T0_E_clISt17integral_constantIbLb1EES1E_IbLb0EEEEDaS1A_S1B_EUlS1A_E_NS1_11comp_targetILNS1_3genE5ELNS1_11target_archE942ELNS1_3gpuE9ELNS1_3repE0EEENS1_30default_config_static_selectorELNS0_4arch9wavefront6targetE0EEEvT1_.uses_vcc, 0
	.set _ZN7rocprim17ROCPRIM_400000_NS6detail17trampoline_kernelINS0_14default_configENS1_25partition_config_selectorILNS1_17partition_subalgoE5EdNS0_10empty_typeEbEEZZNS1_14partition_implILS5_5ELb0ES3_mN6thrust23THRUST_200600_302600_NS6detail15normal_iteratorINSA_10device_ptrIdEEEEPS6_NSA_18transform_iteratorINSB_9not_fun_tI7is_trueIdEEENSC_INSD_IbEEEENSA_11use_defaultESO_EENS0_5tupleIJNSA_16discard_iteratorISO_EES6_EEENSQ_IJSG_SG_EEES6_PlJS6_EEE10hipError_tPvRmT3_T4_T5_T6_T7_T9_mT8_P12ihipStream_tbDpT10_ENKUlT_T0_E_clISt17integral_constantIbLb1EES1E_IbLb0EEEEDaS1A_S1B_EUlS1A_E_NS1_11comp_targetILNS1_3genE5ELNS1_11target_archE942ELNS1_3gpuE9ELNS1_3repE0EEENS1_30default_config_static_selectorELNS0_4arch9wavefront6targetE0EEEvT1_.uses_flat_scratch, 0
	.set _ZN7rocprim17ROCPRIM_400000_NS6detail17trampoline_kernelINS0_14default_configENS1_25partition_config_selectorILNS1_17partition_subalgoE5EdNS0_10empty_typeEbEEZZNS1_14partition_implILS5_5ELb0ES3_mN6thrust23THRUST_200600_302600_NS6detail15normal_iteratorINSA_10device_ptrIdEEEEPS6_NSA_18transform_iteratorINSB_9not_fun_tI7is_trueIdEEENSC_INSD_IbEEEENSA_11use_defaultESO_EENS0_5tupleIJNSA_16discard_iteratorISO_EES6_EEENSQ_IJSG_SG_EEES6_PlJS6_EEE10hipError_tPvRmT3_T4_T5_T6_T7_T9_mT8_P12ihipStream_tbDpT10_ENKUlT_T0_E_clISt17integral_constantIbLb1EES1E_IbLb0EEEEDaS1A_S1B_EUlS1A_E_NS1_11comp_targetILNS1_3genE5ELNS1_11target_archE942ELNS1_3gpuE9ELNS1_3repE0EEENS1_30default_config_static_selectorELNS0_4arch9wavefront6targetE0EEEvT1_.has_dyn_sized_stack, 0
	.set _ZN7rocprim17ROCPRIM_400000_NS6detail17trampoline_kernelINS0_14default_configENS1_25partition_config_selectorILNS1_17partition_subalgoE5EdNS0_10empty_typeEbEEZZNS1_14partition_implILS5_5ELb0ES3_mN6thrust23THRUST_200600_302600_NS6detail15normal_iteratorINSA_10device_ptrIdEEEEPS6_NSA_18transform_iteratorINSB_9not_fun_tI7is_trueIdEEENSC_INSD_IbEEEENSA_11use_defaultESO_EENS0_5tupleIJNSA_16discard_iteratorISO_EES6_EEENSQ_IJSG_SG_EEES6_PlJS6_EEE10hipError_tPvRmT3_T4_T5_T6_T7_T9_mT8_P12ihipStream_tbDpT10_ENKUlT_T0_E_clISt17integral_constantIbLb1EES1E_IbLb0EEEEDaS1A_S1B_EUlS1A_E_NS1_11comp_targetILNS1_3genE5ELNS1_11target_archE942ELNS1_3gpuE9ELNS1_3repE0EEENS1_30default_config_static_selectorELNS0_4arch9wavefront6targetE0EEEvT1_.has_recursion, 0
	.set _ZN7rocprim17ROCPRIM_400000_NS6detail17trampoline_kernelINS0_14default_configENS1_25partition_config_selectorILNS1_17partition_subalgoE5EdNS0_10empty_typeEbEEZZNS1_14partition_implILS5_5ELb0ES3_mN6thrust23THRUST_200600_302600_NS6detail15normal_iteratorINSA_10device_ptrIdEEEEPS6_NSA_18transform_iteratorINSB_9not_fun_tI7is_trueIdEEENSC_INSD_IbEEEENSA_11use_defaultESO_EENS0_5tupleIJNSA_16discard_iteratorISO_EES6_EEENSQ_IJSG_SG_EEES6_PlJS6_EEE10hipError_tPvRmT3_T4_T5_T6_T7_T9_mT8_P12ihipStream_tbDpT10_ENKUlT_T0_E_clISt17integral_constantIbLb1EES1E_IbLb0EEEEDaS1A_S1B_EUlS1A_E_NS1_11comp_targetILNS1_3genE5ELNS1_11target_archE942ELNS1_3gpuE9ELNS1_3repE0EEENS1_30default_config_static_selectorELNS0_4arch9wavefront6targetE0EEEvT1_.has_indirect_call, 0
	.section	.AMDGPU.csdata,"",@progbits
; Kernel info:
; codeLenInByte = 0
; TotalNumSgprs: 0
; NumVgprs: 0
; ScratchSize: 0
; MemoryBound: 0
; FloatMode: 240
; IeeeMode: 1
; LDSByteSize: 0 bytes/workgroup (compile time only)
; SGPRBlocks: 0
; VGPRBlocks: 0
; NumSGPRsForWavesPerEU: 1
; NumVGPRsForWavesPerEU: 1
; Occupancy: 16
; WaveLimiterHint : 0
; COMPUTE_PGM_RSRC2:SCRATCH_EN: 0
; COMPUTE_PGM_RSRC2:USER_SGPR: 2
; COMPUTE_PGM_RSRC2:TRAP_HANDLER: 0
; COMPUTE_PGM_RSRC2:TGID_X_EN: 1
; COMPUTE_PGM_RSRC2:TGID_Y_EN: 0
; COMPUTE_PGM_RSRC2:TGID_Z_EN: 0
; COMPUTE_PGM_RSRC2:TIDIG_COMP_CNT: 0
	.section	.text._ZN7rocprim17ROCPRIM_400000_NS6detail17trampoline_kernelINS0_14default_configENS1_25partition_config_selectorILNS1_17partition_subalgoE5EdNS0_10empty_typeEbEEZZNS1_14partition_implILS5_5ELb0ES3_mN6thrust23THRUST_200600_302600_NS6detail15normal_iteratorINSA_10device_ptrIdEEEEPS6_NSA_18transform_iteratorINSB_9not_fun_tI7is_trueIdEEENSC_INSD_IbEEEENSA_11use_defaultESO_EENS0_5tupleIJNSA_16discard_iteratorISO_EES6_EEENSQ_IJSG_SG_EEES6_PlJS6_EEE10hipError_tPvRmT3_T4_T5_T6_T7_T9_mT8_P12ihipStream_tbDpT10_ENKUlT_T0_E_clISt17integral_constantIbLb1EES1E_IbLb0EEEEDaS1A_S1B_EUlS1A_E_NS1_11comp_targetILNS1_3genE4ELNS1_11target_archE910ELNS1_3gpuE8ELNS1_3repE0EEENS1_30default_config_static_selectorELNS0_4arch9wavefront6targetE0EEEvT1_,"axG",@progbits,_ZN7rocprim17ROCPRIM_400000_NS6detail17trampoline_kernelINS0_14default_configENS1_25partition_config_selectorILNS1_17partition_subalgoE5EdNS0_10empty_typeEbEEZZNS1_14partition_implILS5_5ELb0ES3_mN6thrust23THRUST_200600_302600_NS6detail15normal_iteratorINSA_10device_ptrIdEEEEPS6_NSA_18transform_iteratorINSB_9not_fun_tI7is_trueIdEEENSC_INSD_IbEEEENSA_11use_defaultESO_EENS0_5tupleIJNSA_16discard_iteratorISO_EES6_EEENSQ_IJSG_SG_EEES6_PlJS6_EEE10hipError_tPvRmT3_T4_T5_T6_T7_T9_mT8_P12ihipStream_tbDpT10_ENKUlT_T0_E_clISt17integral_constantIbLb1EES1E_IbLb0EEEEDaS1A_S1B_EUlS1A_E_NS1_11comp_targetILNS1_3genE4ELNS1_11target_archE910ELNS1_3gpuE8ELNS1_3repE0EEENS1_30default_config_static_selectorELNS0_4arch9wavefront6targetE0EEEvT1_,comdat
	.protected	_ZN7rocprim17ROCPRIM_400000_NS6detail17trampoline_kernelINS0_14default_configENS1_25partition_config_selectorILNS1_17partition_subalgoE5EdNS0_10empty_typeEbEEZZNS1_14partition_implILS5_5ELb0ES3_mN6thrust23THRUST_200600_302600_NS6detail15normal_iteratorINSA_10device_ptrIdEEEEPS6_NSA_18transform_iteratorINSB_9not_fun_tI7is_trueIdEEENSC_INSD_IbEEEENSA_11use_defaultESO_EENS0_5tupleIJNSA_16discard_iteratorISO_EES6_EEENSQ_IJSG_SG_EEES6_PlJS6_EEE10hipError_tPvRmT3_T4_T5_T6_T7_T9_mT8_P12ihipStream_tbDpT10_ENKUlT_T0_E_clISt17integral_constantIbLb1EES1E_IbLb0EEEEDaS1A_S1B_EUlS1A_E_NS1_11comp_targetILNS1_3genE4ELNS1_11target_archE910ELNS1_3gpuE8ELNS1_3repE0EEENS1_30default_config_static_selectorELNS0_4arch9wavefront6targetE0EEEvT1_ ; -- Begin function _ZN7rocprim17ROCPRIM_400000_NS6detail17trampoline_kernelINS0_14default_configENS1_25partition_config_selectorILNS1_17partition_subalgoE5EdNS0_10empty_typeEbEEZZNS1_14partition_implILS5_5ELb0ES3_mN6thrust23THRUST_200600_302600_NS6detail15normal_iteratorINSA_10device_ptrIdEEEEPS6_NSA_18transform_iteratorINSB_9not_fun_tI7is_trueIdEEENSC_INSD_IbEEEENSA_11use_defaultESO_EENS0_5tupleIJNSA_16discard_iteratorISO_EES6_EEENSQ_IJSG_SG_EEES6_PlJS6_EEE10hipError_tPvRmT3_T4_T5_T6_T7_T9_mT8_P12ihipStream_tbDpT10_ENKUlT_T0_E_clISt17integral_constantIbLb1EES1E_IbLb0EEEEDaS1A_S1B_EUlS1A_E_NS1_11comp_targetILNS1_3genE4ELNS1_11target_archE910ELNS1_3gpuE8ELNS1_3repE0EEENS1_30default_config_static_selectorELNS0_4arch9wavefront6targetE0EEEvT1_
	.globl	_ZN7rocprim17ROCPRIM_400000_NS6detail17trampoline_kernelINS0_14default_configENS1_25partition_config_selectorILNS1_17partition_subalgoE5EdNS0_10empty_typeEbEEZZNS1_14partition_implILS5_5ELb0ES3_mN6thrust23THRUST_200600_302600_NS6detail15normal_iteratorINSA_10device_ptrIdEEEEPS6_NSA_18transform_iteratorINSB_9not_fun_tI7is_trueIdEEENSC_INSD_IbEEEENSA_11use_defaultESO_EENS0_5tupleIJNSA_16discard_iteratorISO_EES6_EEENSQ_IJSG_SG_EEES6_PlJS6_EEE10hipError_tPvRmT3_T4_T5_T6_T7_T9_mT8_P12ihipStream_tbDpT10_ENKUlT_T0_E_clISt17integral_constantIbLb1EES1E_IbLb0EEEEDaS1A_S1B_EUlS1A_E_NS1_11comp_targetILNS1_3genE4ELNS1_11target_archE910ELNS1_3gpuE8ELNS1_3repE0EEENS1_30default_config_static_selectorELNS0_4arch9wavefront6targetE0EEEvT1_
	.p2align	8
	.type	_ZN7rocprim17ROCPRIM_400000_NS6detail17trampoline_kernelINS0_14default_configENS1_25partition_config_selectorILNS1_17partition_subalgoE5EdNS0_10empty_typeEbEEZZNS1_14partition_implILS5_5ELb0ES3_mN6thrust23THRUST_200600_302600_NS6detail15normal_iteratorINSA_10device_ptrIdEEEEPS6_NSA_18transform_iteratorINSB_9not_fun_tI7is_trueIdEEENSC_INSD_IbEEEENSA_11use_defaultESO_EENS0_5tupleIJNSA_16discard_iteratorISO_EES6_EEENSQ_IJSG_SG_EEES6_PlJS6_EEE10hipError_tPvRmT3_T4_T5_T6_T7_T9_mT8_P12ihipStream_tbDpT10_ENKUlT_T0_E_clISt17integral_constantIbLb1EES1E_IbLb0EEEEDaS1A_S1B_EUlS1A_E_NS1_11comp_targetILNS1_3genE4ELNS1_11target_archE910ELNS1_3gpuE8ELNS1_3repE0EEENS1_30default_config_static_selectorELNS0_4arch9wavefront6targetE0EEEvT1_,@function
_ZN7rocprim17ROCPRIM_400000_NS6detail17trampoline_kernelINS0_14default_configENS1_25partition_config_selectorILNS1_17partition_subalgoE5EdNS0_10empty_typeEbEEZZNS1_14partition_implILS5_5ELb0ES3_mN6thrust23THRUST_200600_302600_NS6detail15normal_iteratorINSA_10device_ptrIdEEEEPS6_NSA_18transform_iteratorINSB_9not_fun_tI7is_trueIdEEENSC_INSD_IbEEEENSA_11use_defaultESO_EENS0_5tupleIJNSA_16discard_iteratorISO_EES6_EEENSQ_IJSG_SG_EEES6_PlJS6_EEE10hipError_tPvRmT3_T4_T5_T6_T7_T9_mT8_P12ihipStream_tbDpT10_ENKUlT_T0_E_clISt17integral_constantIbLb1EES1E_IbLb0EEEEDaS1A_S1B_EUlS1A_E_NS1_11comp_targetILNS1_3genE4ELNS1_11target_archE910ELNS1_3gpuE8ELNS1_3repE0EEENS1_30default_config_static_selectorELNS0_4arch9wavefront6targetE0EEEvT1_: ; @_ZN7rocprim17ROCPRIM_400000_NS6detail17trampoline_kernelINS0_14default_configENS1_25partition_config_selectorILNS1_17partition_subalgoE5EdNS0_10empty_typeEbEEZZNS1_14partition_implILS5_5ELb0ES3_mN6thrust23THRUST_200600_302600_NS6detail15normal_iteratorINSA_10device_ptrIdEEEEPS6_NSA_18transform_iteratorINSB_9not_fun_tI7is_trueIdEEENSC_INSD_IbEEEENSA_11use_defaultESO_EENS0_5tupleIJNSA_16discard_iteratorISO_EES6_EEENSQ_IJSG_SG_EEES6_PlJS6_EEE10hipError_tPvRmT3_T4_T5_T6_T7_T9_mT8_P12ihipStream_tbDpT10_ENKUlT_T0_E_clISt17integral_constantIbLb1EES1E_IbLb0EEEEDaS1A_S1B_EUlS1A_E_NS1_11comp_targetILNS1_3genE4ELNS1_11target_archE910ELNS1_3gpuE8ELNS1_3repE0EEENS1_30default_config_static_selectorELNS0_4arch9wavefront6targetE0EEEvT1_
; %bb.0:
	.section	.rodata,"a",@progbits
	.p2align	6, 0x0
	.amdhsa_kernel _ZN7rocprim17ROCPRIM_400000_NS6detail17trampoline_kernelINS0_14default_configENS1_25partition_config_selectorILNS1_17partition_subalgoE5EdNS0_10empty_typeEbEEZZNS1_14partition_implILS5_5ELb0ES3_mN6thrust23THRUST_200600_302600_NS6detail15normal_iteratorINSA_10device_ptrIdEEEEPS6_NSA_18transform_iteratorINSB_9not_fun_tI7is_trueIdEEENSC_INSD_IbEEEENSA_11use_defaultESO_EENS0_5tupleIJNSA_16discard_iteratorISO_EES6_EEENSQ_IJSG_SG_EEES6_PlJS6_EEE10hipError_tPvRmT3_T4_T5_T6_T7_T9_mT8_P12ihipStream_tbDpT10_ENKUlT_T0_E_clISt17integral_constantIbLb1EES1E_IbLb0EEEEDaS1A_S1B_EUlS1A_E_NS1_11comp_targetILNS1_3genE4ELNS1_11target_archE910ELNS1_3gpuE8ELNS1_3repE0EEENS1_30default_config_static_selectorELNS0_4arch9wavefront6targetE0EEEvT1_
		.amdhsa_group_segment_fixed_size 0
		.amdhsa_private_segment_fixed_size 0
		.amdhsa_kernarg_size 128
		.amdhsa_user_sgpr_count 2
		.amdhsa_user_sgpr_dispatch_ptr 0
		.amdhsa_user_sgpr_queue_ptr 0
		.amdhsa_user_sgpr_kernarg_segment_ptr 1
		.amdhsa_user_sgpr_dispatch_id 0
		.amdhsa_user_sgpr_private_segment_size 0
		.amdhsa_wavefront_size32 1
		.amdhsa_uses_dynamic_stack 0
		.amdhsa_enable_private_segment 0
		.amdhsa_system_sgpr_workgroup_id_x 1
		.amdhsa_system_sgpr_workgroup_id_y 0
		.amdhsa_system_sgpr_workgroup_id_z 0
		.amdhsa_system_sgpr_workgroup_info 0
		.amdhsa_system_vgpr_workitem_id 0
		.amdhsa_next_free_vgpr 1
		.amdhsa_next_free_sgpr 1
		.amdhsa_reserve_vcc 0
		.amdhsa_float_round_mode_32 0
		.amdhsa_float_round_mode_16_64 0
		.amdhsa_float_denorm_mode_32 3
		.amdhsa_float_denorm_mode_16_64 3
		.amdhsa_fp16_overflow 0
		.amdhsa_workgroup_processor_mode 1
		.amdhsa_memory_ordered 1
		.amdhsa_forward_progress 1
		.amdhsa_inst_pref_size 0
		.amdhsa_round_robin_scheduling 0
		.amdhsa_exception_fp_ieee_invalid_op 0
		.amdhsa_exception_fp_denorm_src 0
		.amdhsa_exception_fp_ieee_div_zero 0
		.amdhsa_exception_fp_ieee_overflow 0
		.amdhsa_exception_fp_ieee_underflow 0
		.amdhsa_exception_fp_ieee_inexact 0
		.amdhsa_exception_int_div_zero 0
	.end_amdhsa_kernel
	.section	.text._ZN7rocprim17ROCPRIM_400000_NS6detail17trampoline_kernelINS0_14default_configENS1_25partition_config_selectorILNS1_17partition_subalgoE5EdNS0_10empty_typeEbEEZZNS1_14partition_implILS5_5ELb0ES3_mN6thrust23THRUST_200600_302600_NS6detail15normal_iteratorINSA_10device_ptrIdEEEEPS6_NSA_18transform_iteratorINSB_9not_fun_tI7is_trueIdEEENSC_INSD_IbEEEENSA_11use_defaultESO_EENS0_5tupleIJNSA_16discard_iteratorISO_EES6_EEENSQ_IJSG_SG_EEES6_PlJS6_EEE10hipError_tPvRmT3_T4_T5_T6_T7_T9_mT8_P12ihipStream_tbDpT10_ENKUlT_T0_E_clISt17integral_constantIbLb1EES1E_IbLb0EEEEDaS1A_S1B_EUlS1A_E_NS1_11comp_targetILNS1_3genE4ELNS1_11target_archE910ELNS1_3gpuE8ELNS1_3repE0EEENS1_30default_config_static_selectorELNS0_4arch9wavefront6targetE0EEEvT1_,"axG",@progbits,_ZN7rocprim17ROCPRIM_400000_NS6detail17trampoline_kernelINS0_14default_configENS1_25partition_config_selectorILNS1_17partition_subalgoE5EdNS0_10empty_typeEbEEZZNS1_14partition_implILS5_5ELb0ES3_mN6thrust23THRUST_200600_302600_NS6detail15normal_iteratorINSA_10device_ptrIdEEEEPS6_NSA_18transform_iteratorINSB_9not_fun_tI7is_trueIdEEENSC_INSD_IbEEEENSA_11use_defaultESO_EENS0_5tupleIJNSA_16discard_iteratorISO_EES6_EEENSQ_IJSG_SG_EEES6_PlJS6_EEE10hipError_tPvRmT3_T4_T5_T6_T7_T9_mT8_P12ihipStream_tbDpT10_ENKUlT_T0_E_clISt17integral_constantIbLb1EES1E_IbLb0EEEEDaS1A_S1B_EUlS1A_E_NS1_11comp_targetILNS1_3genE4ELNS1_11target_archE910ELNS1_3gpuE8ELNS1_3repE0EEENS1_30default_config_static_selectorELNS0_4arch9wavefront6targetE0EEEvT1_,comdat
.Lfunc_end2607:
	.size	_ZN7rocprim17ROCPRIM_400000_NS6detail17trampoline_kernelINS0_14default_configENS1_25partition_config_selectorILNS1_17partition_subalgoE5EdNS0_10empty_typeEbEEZZNS1_14partition_implILS5_5ELb0ES3_mN6thrust23THRUST_200600_302600_NS6detail15normal_iteratorINSA_10device_ptrIdEEEEPS6_NSA_18transform_iteratorINSB_9not_fun_tI7is_trueIdEEENSC_INSD_IbEEEENSA_11use_defaultESO_EENS0_5tupleIJNSA_16discard_iteratorISO_EES6_EEENSQ_IJSG_SG_EEES6_PlJS6_EEE10hipError_tPvRmT3_T4_T5_T6_T7_T9_mT8_P12ihipStream_tbDpT10_ENKUlT_T0_E_clISt17integral_constantIbLb1EES1E_IbLb0EEEEDaS1A_S1B_EUlS1A_E_NS1_11comp_targetILNS1_3genE4ELNS1_11target_archE910ELNS1_3gpuE8ELNS1_3repE0EEENS1_30default_config_static_selectorELNS0_4arch9wavefront6targetE0EEEvT1_, .Lfunc_end2607-_ZN7rocprim17ROCPRIM_400000_NS6detail17trampoline_kernelINS0_14default_configENS1_25partition_config_selectorILNS1_17partition_subalgoE5EdNS0_10empty_typeEbEEZZNS1_14partition_implILS5_5ELb0ES3_mN6thrust23THRUST_200600_302600_NS6detail15normal_iteratorINSA_10device_ptrIdEEEEPS6_NSA_18transform_iteratorINSB_9not_fun_tI7is_trueIdEEENSC_INSD_IbEEEENSA_11use_defaultESO_EENS0_5tupleIJNSA_16discard_iteratorISO_EES6_EEENSQ_IJSG_SG_EEES6_PlJS6_EEE10hipError_tPvRmT3_T4_T5_T6_T7_T9_mT8_P12ihipStream_tbDpT10_ENKUlT_T0_E_clISt17integral_constantIbLb1EES1E_IbLb0EEEEDaS1A_S1B_EUlS1A_E_NS1_11comp_targetILNS1_3genE4ELNS1_11target_archE910ELNS1_3gpuE8ELNS1_3repE0EEENS1_30default_config_static_selectorELNS0_4arch9wavefront6targetE0EEEvT1_
                                        ; -- End function
	.set _ZN7rocprim17ROCPRIM_400000_NS6detail17trampoline_kernelINS0_14default_configENS1_25partition_config_selectorILNS1_17partition_subalgoE5EdNS0_10empty_typeEbEEZZNS1_14partition_implILS5_5ELb0ES3_mN6thrust23THRUST_200600_302600_NS6detail15normal_iteratorINSA_10device_ptrIdEEEEPS6_NSA_18transform_iteratorINSB_9not_fun_tI7is_trueIdEEENSC_INSD_IbEEEENSA_11use_defaultESO_EENS0_5tupleIJNSA_16discard_iteratorISO_EES6_EEENSQ_IJSG_SG_EEES6_PlJS6_EEE10hipError_tPvRmT3_T4_T5_T6_T7_T9_mT8_P12ihipStream_tbDpT10_ENKUlT_T0_E_clISt17integral_constantIbLb1EES1E_IbLb0EEEEDaS1A_S1B_EUlS1A_E_NS1_11comp_targetILNS1_3genE4ELNS1_11target_archE910ELNS1_3gpuE8ELNS1_3repE0EEENS1_30default_config_static_selectorELNS0_4arch9wavefront6targetE0EEEvT1_.num_vgpr, 0
	.set _ZN7rocprim17ROCPRIM_400000_NS6detail17trampoline_kernelINS0_14default_configENS1_25partition_config_selectorILNS1_17partition_subalgoE5EdNS0_10empty_typeEbEEZZNS1_14partition_implILS5_5ELb0ES3_mN6thrust23THRUST_200600_302600_NS6detail15normal_iteratorINSA_10device_ptrIdEEEEPS6_NSA_18transform_iteratorINSB_9not_fun_tI7is_trueIdEEENSC_INSD_IbEEEENSA_11use_defaultESO_EENS0_5tupleIJNSA_16discard_iteratorISO_EES6_EEENSQ_IJSG_SG_EEES6_PlJS6_EEE10hipError_tPvRmT3_T4_T5_T6_T7_T9_mT8_P12ihipStream_tbDpT10_ENKUlT_T0_E_clISt17integral_constantIbLb1EES1E_IbLb0EEEEDaS1A_S1B_EUlS1A_E_NS1_11comp_targetILNS1_3genE4ELNS1_11target_archE910ELNS1_3gpuE8ELNS1_3repE0EEENS1_30default_config_static_selectorELNS0_4arch9wavefront6targetE0EEEvT1_.num_agpr, 0
	.set _ZN7rocprim17ROCPRIM_400000_NS6detail17trampoline_kernelINS0_14default_configENS1_25partition_config_selectorILNS1_17partition_subalgoE5EdNS0_10empty_typeEbEEZZNS1_14partition_implILS5_5ELb0ES3_mN6thrust23THRUST_200600_302600_NS6detail15normal_iteratorINSA_10device_ptrIdEEEEPS6_NSA_18transform_iteratorINSB_9not_fun_tI7is_trueIdEEENSC_INSD_IbEEEENSA_11use_defaultESO_EENS0_5tupleIJNSA_16discard_iteratorISO_EES6_EEENSQ_IJSG_SG_EEES6_PlJS6_EEE10hipError_tPvRmT3_T4_T5_T6_T7_T9_mT8_P12ihipStream_tbDpT10_ENKUlT_T0_E_clISt17integral_constantIbLb1EES1E_IbLb0EEEEDaS1A_S1B_EUlS1A_E_NS1_11comp_targetILNS1_3genE4ELNS1_11target_archE910ELNS1_3gpuE8ELNS1_3repE0EEENS1_30default_config_static_selectorELNS0_4arch9wavefront6targetE0EEEvT1_.numbered_sgpr, 0
	.set _ZN7rocprim17ROCPRIM_400000_NS6detail17trampoline_kernelINS0_14default_configENS1_25partition_config_selectorILNS1_17partition_subalgoE5EdNS0_10empty_typeEbEEZZNS1_14partition_implILS5_5ELb0ES3_mN6thrust23THRUST_200600_302600_NS6detail15normal_iteratorINSA_10device_ptrIdEEEEPS6_NSA_18transform_iteratorINSB_9not_fun_tI7is_trueIdEEENSC_INSD_IbEEEENSA_11use_defaultESO_EENS0_5tupleIJNSA_16discard_iteratorISO_EES6_EEENSQ_IJSG_SG_EEES6_PlJS6_EEE10hipError_tPvRmT3_T4_T5_T6_T7_T9_mT8_P12ihipStream_tbDpT10_ENKUlT_T0_E_clISt17integral_constantIbLb1EES1E_IbLb0EEEEDaS1A_S1B_EUlS1A_E_NS1_11comp_targetILNS1_3genE4ELNS1_11target_archE910ELNS1_3gpuE8ELNS1_3repE0EEENS1_30default_config_static_selectorELNS0_4arch9wavefront6targetE0EEEvT1_.num_named_barrier, 0
	.set _ZN7rocprim17ROCPRIM_400000_NS6detail17trampoline_kernelINS0_14default_configENS1_25partition_config_selectorILNS1_17partition_subalgoE5EdNS0_10empty_typeEbEEZZNS1_14partition_implILS5_5ELb0ES3_mN6thrust23THRUST_200600_302600_NS6detail15normal_iteratorINSA_10device_ptrIdEEEEPS6_NSA_18transform_iteratorINSB_9not_fun_tI7is_trueIdEEENSC_INSD_IbEEEENSA_11use_defaultESO_EENS0_5tupleIJNSA_16discard_iteratorISO_EES6_EEENSQ_IJSG_SG_EEES6_PlJS6_EEE10hipError_tPvRmT3_T4_T5_T6_T7_T9_mT8_P12ihipStream_tbDpT10_ENKUlT_T0_E_clISt17integral_constantIbLb1EES1E_IbLb0EEEEDaS1A_S1B_EUlS1A_E_NS1_11comp_targetILNS1_3genE4ELNS1_11target_archE910ELNS1_3gpuE8ELNS1_3repE0EEENS1_30default_config_static_selectorELNS0_4arch9wavefront6targetE0EEEvT1_.private_seg_size, 0
	.set _ZN7rocprim17ROCPRIM_400000_NS6detail17trampoline_kernelINS0_14default_configENS1_25partition_config_selectorILNS1_17partition_subalgoE5EdNS0_10empty_typeEbEEZZNS1_14partition_implILS5_5ELb0ES3_mN6thrust23THRUST_200600_302600_NS6detail15normal_iteratorINSA_10device_ptrIdEEEEPS6_NSA_18transform_iteratorINSB_9not_fun_tI7is_trueIdEEENSC_INSD_IbEEEENSA_11use_defaultESO_EENS0_5tupleIJNSA_16discard_iteratorISO_EES6_EEENSQ_IJSG_SG_EEES6_PlJS6_EEE10hipError_tPvRmT3_T4_T5_T6_T7_T9_mT8_P12ihipStream_tbDpT10_ENKUlT_T0_E_clISt17integral_constantIbLb1EES1E_IbLb0EEEEDaS1A_S1B_EUlS1A_E_NS1_11comp_targetILNS1_3genE4ELNS1_11target_archE910ELNS1_3gpuE8ELNS1_3repE0EEENS1_30default_config_static_selectorELNS0_4arch9wavefront6targetE0EEEvT1_.uses_vcc, 0
	.set _ZN7rocprim17ROCPRIM_400000_NS6detail17trampoline_kernelINS0_14default_configENS1_25partition_config_selectorILNS1_17partition_subalgoE5EdNS0_10empty_typeEbEEZZNS1_14partition_implILS5_5ELb0ES3_mN6thrust23THRUST_200600_302600_NS6detail15normal_iteratorINSA_10device_ptrIdEEEEPS6_NSA_18transform_iteratorINSB_9not_fun_tI7is_trueIdEEENSC_INSD_IbEEEENSA_11use_defaultESO_EENS0_5tupleIJNSA_16discard_iteratorISO_EES6_EEENSQ_IJSG_SG_EEES6_PlJS6_EEE10hipError_tPvRmT3_T4_T5_T6_T7_T9_mT8_P12ihipStream_tbDpT10_ENKUlT_T0_E_clISt17integral_constantIbLb1EES1E_IbLb0EEEEDaS1A_S1B_EUlS1A_E_NS1_11comp_targetILNS1_3genE4ELNS1_11target_archE910ELNS1_3gpuE8ELNS1_3repE0EEENS1_30default_config_static_selectorELNS0_4arch9wavefront6targetE0EEEvT1_.uses_flat_scratch, 0
	.set _ZN7rocprim17ROCPRIM_400000_NS6detail17trampoline_kernelINS0_14default_configENS1_25partition_config_selectorILNS1_17partition_subalgoE5EdNS0_10empty_typeEbEEZZNS1_14partition_implILS5_5ELb0ES3_mN6thrust23THRUST_200600_302600_NS6detail15normal_iteratorINSA_10device_ptrIdEEEEPS6_NSA_18transform_iteratorINSB_9not_fun_tI7is_trueIdEEENSC_INSD_IbEEEENSA_11use_defaultESO_EENS0_5tupleIJNSA_16discard_iteratorISO_EES6_EEENSQ_IJSG_SG_EEES6_PlJS6_EEE10hipError_tPvRmT3_T4_T5_T6_T7_T9_mT8_P12ihipStream_tbDpT10_ENKUlT_T0_E_clISt17integral_constantIbLb1EES1E_IbLb0EEEEDaS1A_S1B_EUlS1A_E_NS1_11comp_targetILNS1_3genE4ELNS1_11target_archE910ELNS1_3gpuE8ELNS1_3repE0EEENS1_30default_config_static_selectorELNS0_4arch9wavefront6targetE0EEEvT1_.has_dyn_sized_stack, 0
	.set _ZN7rocprim17ROCPRIM_400000_NS6detail17trampoline_kernelINS0_14default_configENS1_25partition_config_selectorILNS1_17partition_subalgoE5EdNS0_10empty_typeEbEEZZNS1_14partition_implILS5_5ELb0ES3_mN6thrust23THRUST_200600_302600_NS6detail15normal_iteratorINSA_10device_ptrIdEEEEPS6_NSA_18transform_iteratorINSB_9not_fun_tI7is_trueIdEEENSC_INSD_IbEEEENSA_11use_defaultESO_EENS0_5tupleIJNSA_16discard_iteratorISO_EES6_EEENSQ_IJSG_SG_EEES6_PlJS6_EEE10hipError_tPvRmT3_T4_T5_T6_T7_T9_mT8_P12ihipStream_tbDpT10_ENKUlT_T0_E_clISt17integral_constantIbLb1EES1E_IbLb0EEEEDaS1A_S1B_EUlS1A_E_NS1_11comp_targetILNS1_3genE4ELNS1_11target_archE910ELNS1_3gpuE8ELNS1_3repE0EEENS1_30default_config_static_selectorELNS0_4arch9wavefront6targetE0EEEvT1_.has_recursion, 0
	.set _ZN7rocprim17ROCPRIM_400000_NS6detail17trampoline_kernelINS0_14default_configENS1_25partition_config_selectorILNS1_17partition_subalgoE5EdNS0_10empty_typeEbEEZZNS1_14partition_implILS5_5ELb0ES3_mN6thrust23THRUST_200600_302600_NS6detail15normal_iteratorINSA_10device_ptrIdEEEEPS6_NSA_18transform_iteratorINSB_9not_fun_tI7is_trueIdEEENSC_INSD_IbEEEENSA_11use_defaultESO_EENS0_5tupleIJNSA_16discard_iteratorISO_EES6_EEENSQ_IJSG_SG_EEES6_PlJS6_EEE10hipError_tPvRmT3_T4_T5_T6_T7_T9_mT8_P12ihipStream_tbDpT10_ENKUlT_T0_E_clISt17integral_constantIbLb1EES1E_IbLb0EEEEDaS1A_S1B_EUlS1A_E_NS1_11comp_targetILNS1_3genE4ELNS1_11target_archE910ELNS1_3gpuE8ELNS1_3repE0EEENS1_30default_config_static_selectorELNS0_4arch9wavefront6targetE0EEEvT1_.has_indirect_call, 0
	.section	.AMDGPU.csdata,"",@progbits
; Kernel info:
; codeLenInByte = 0
; TotalNumSgprs: 0
; NumVgprs: 0
; ScratchSize: 0
; MemoryBound: 0
; FloatMode: 240
; IeeeMode: 1
; LDSByteSize: 0 bytes/workgroup (compile time only)
; SGPRBlocks: 0
; VGPRBlocks: 0
; NumSGPRsForWavesPerEU: 1
; NumVGPRsForWavesPerEU: 1
; Occupancy: 16
; WaveLimiterHint : 0
; COMPUTE_PGM_RSRC2:SCRATCH_EN: 0
; COMPUTE_PGM_RSRC2:USER_SGPR: 2
; COMPUTE_PGM_RSRC2:TRAP_HANDLER: 0
; COMPUTE_PGM_RSRC2:TGID_X_EN: 1
; COMPUTE_PGM_RSRC2:TGID_Y_EN: 0
; COMPUTE_PGM_RSRC2:TGID_Z_EN: 0
; COMPUTE_PGM_RSRC2:TIDIG_COMP_CNT: 0
	.section	.text._ZN7rocprim17ROCPRIM_400000_NS6detail17trampoline_kernelINS0_14default_configENS1_25partition_config_selectorILNS1_17partition_subalgoE5EdNS0_10empty_typeEbEEZZNS1_14partition_implILS5_5ELb0ES3_mN6thrust23THRUST_200600_302600_NS6detail15normal_iteratorINSA_10device_ptrIdEEEEPS6_NSA_18transform_iteratorINSB_9not_fun_tI7is_trueIdEEENSC_INSD_IbEEEENSA_11use_defaultESO_EENS0_5tupleIJNSA_16discard_iteratorISO_EES6_EEENSQ_IJSG_SG_EEES6_PlJS6_EEE10hipError_tPvRmT3_T4_T5_T6_T7_T9_mT8_P12ihipStream_tbDpT10_ENKUlT_T0_E_clISt17integral_constantIbLb1EES1E_IbLb0EEEEDaS1A_S1B_EUlS1A_E_NS1_11comp_targetILNS1_3genE3ELNS1_11target_archE908ELNS1_3gpuE7ELNS1_3repE0EEENS1_30default_config_static_selectorELNS0_4arch9wavefront6targetE0EEEvT1_,"axG",@progbits,_ZN7rocprim17ROCPRIM_400000_NS6detail17trampoline_kernelINS0_14default_configENS1_25partition_config_selectorILNS1_17partition_subalgoE5EdNS0_10empty_typeEbEEZZNS1_14partition_implILS5_5ELb0ES3_mN6thrust23THRUST_200600_302600_NS6detail15normal_iteratorINSA_10device_ptrIdEEEEPS6_NSA_18transform_iteratorINSB_9not_fun_tI7is_trueIdEEENSC_INSD_IbEEEENSA_11use_defaultESO_EENS0_5tupleIJNSA_16discard_iteratorISO_EES6_EEENSQ_IJSG_SG_EEES6_PlJS6_EEE10hipError_tPvRmT3_T4_T5_T6_T7_T9_mT8_P12ihipStream_tbDpT10_ENKUlT_T0_E_clISt17integral_constantIbLb1EES1E_IbLb0EEEEDaS1A_S1B_EUlS1A_E_NS1_11comp_targetILNS1_3genE3ELNS1_11target_archE908ELNS1_3gpuE7ELNS1_3repE0EEENS1_30default_config_static_selectorELNS0_4arch9wavefront6targetE0EEEvT1_,comdat
	.protected	_ZN7rocprim17ROCPRIM_400000_NS6detail17trampoline_kernelINS0_14default_configENS1_25partition_config_selectorILNS1_17partition_subalgoE5EdNS0_10empty_typeEbEEZZNS1_14partition_implILS5_5ELb0ES3_mN6thrust23THRUST_200600_302600_NS6detail15normal_iteratorINSA_10device_ptrIdEEEEPS6_NSA_18transform_iteratorINSB_9not_fun_tI7is_trueIdEEENSC_INSD_IbEEEENSA_11use_defaultESO_EENS0_5tupleIJNSA_16discard_iteratorISO_EES6_EEENSQ_IJSG_SG_EEES6_PlJS6_EEE10hipError_tPvRmT3_T4_T5_T6_T7_T9_mT8_P12ihipStream_tbDpT10_ENKUlT_T0_E_clISt17integral_constantIbLb1EES1E_IbLb0EEEEDaS1A_S1B_EUlS1A_E_NS1_11comp_targetILNS1_3genE3ELNS1_11target_archE908ELNS1_3gpuE7ELNS1_3repE0EEENS1_30default_config_static_selectorELNS0_4arch9wavefront6targetE0EEEvT1_ ; -- Begin function _ZN7rocprim17ROCPRIM_400000_NS6detail17trampoline_kernelINS0_14default_configENS1_25partition_config_selectorILNS1_17partition_subalgoE5EdNS0_10empty_typeEbEEZZNS1_14partition_implILS5_5ELb0ES3_mN6thrust23THRUST_200600_302600_NS6detail15normal_iteratorINSA_10device_ptrIdEEEEPS6_NSA_18transform_iteratorINSB_9not_fun_tI7is_trueIdEEENSC_INSD_IbEEEENSA_11use_defaultESO_EENS0_5tupleIJNSA_16discard_iteratorISO_EES6_EEENSQ_IJSG_SG_EEES6_PlJS6_EEE10hipError_tPvRmT3_T4_T5_T6_T7_T9_mT8_P12ihipStream_tbDpT10_ENKUlT_T0_E_clISt17integral_constantIbLb1EES1E_IbLb0EEEEDaS1A_S1B_EUlS1A_E_NS1_11comp_targetILNS1_3genE3ELNS1_11target_archE908ELNS1_3gpuE7ELNS1_3repE0EEENS1_30default_config_static_selectorELNS0_4arch9wavefront6targetE0EEEvT1_
	.globl	_ZN7rocprim17ROCPRIM_400000_NS6detail17trampoline_kernelINS0_14default_configENS1_25partition_config_selectorILNS1_17partition_subalgoE5EdNS0_10empty_typeEbEEZZNS1_14partition_implILS5_5ELb0ES3_mN6thrust23THRUST_200600_302600_NS6detail15normal_iteratorINSA_10device_ptrIdEEEEPS6_NSA_18transform_iteratorINSB_9not_fun_tI7is_trueIdEEENSC_INSD_IbEEEENSA_11use_defaultESO_EENS0_5tupleIJNSA_16discard_iteratorISO_EES6_EEENSQ_IJSG_SG_EEES6_PlJS6_EEE10hipError_tPvRmT3_T4_T5_T6_T7_T9_mT8_P12ihipStream_tbDpT10_ENKUlT_T0_E_clISt17integral_constantIbLb1EES1E_IbLb0EEEEDaS1A_S1B_EUlS1A_E_NS1_11comp_targetILNS1_3genE3ELNS1_11target_archE908ELNS1_3gpuE7ELNS1_3repE0EEENS1_30default_config_static_selectorELNS0_4arch9wavefront6targetE0EEEvT1_
	.p2align	8
	.type	_ZN7rocprim17ROCPRIM_400000_NS6detail17trampoline_kernelINS0_14default_configENS1_25partition_config_selectorILNS1_17partition_subalgoE5EdNS0_10empty_typeEbEEZZNS1_14partition_implILS5_5ELb0ES3_mN6thrust23THRUST_200600_302600_NS6detail15normal_iteratorINSA_10device_ptrIdEEEEPS6_NSA_18transform_iteratorINSB_9not_fun_tI7is_trueIdEEENSC_INSD_IbEEEENSA_11use_defaultESO_EENS0_5tupleIJNSA_16discard_iteratorISO_EES6_EEENSQ_IJSG_SG_EEES6_PlJS6_EEE10hipError_tPvRmT3_T4_T5_T6_T7_T9_mT8_P12ihipStream_tbDpT10_ENKUlT_T0_E_clISt17integral_constantIbLb1EES1E_IbLb0EEEEDaS1A_S1B_EUlS1A_E_NS1_11comp_targetILNS1_3genE3ELNS1_11target_archE908ELNS1_3gpuE7ELNS1_3repE0EEENS1_30default_config_static_selectorELNS0_4arch9wavefront6targetE0EEEvT1_,@function
_ZN7rocprim17ROCPRIM_400000_NS6detail17trampoline_kernelINS0_14default_configENS1_25partition_config_selectorILNS1_17partition_subalgoE5EdNS0_10empty_typeEbEEZZNS1_14partition_implILS5_5ELb0ES3_mN6thrust23THRUST_200600_302600_NS6detail15normal_iteratorINSA_10device_ptrIdEEEEPS6_NSA_18transform_iteratorINSB_9not_fun_tI7is_trueIdEEENSC_INSD_IbEEEENSA_11use_defaultESO_EENS0_5tupleIJNSA_16discard_iteratorISO_EES6_EEENSQ_IJSG_SG_EEES6_PlJS6_EEE10hipError_tPvRmT3_T4_T5_T6_T7_T9_mT8_P12ihipStream_tbDpT10_ENKUlT_T0_E_clISt17integral_constantIbLb1EES1E_IbLb0EEEEDaS1A_S1B_EUlS1A_E_NS1_11comp_targetILNS1_3genE3ELNS1_11target_archE908ELNS1_3gpuE7ELNS1_3repE0EEENS1_30default_config_static_selectorELNS0_4arch9wavefront6targetE0EEEvT1_: ; @_ZN7rocprim17ROCPRIM_400000_NS6detail17trampoline_kernelINS0_14default_configENS1_25partition_config_selectorILNS1_17partition_subalgoE5EdNS0_10empty_typeEbEEZZNS1_14partition_implILS5_5ELb0ES3_mN6thrust23THRUST_200600_302600_NS6detail15normal_iteratorINSA_10device_ptrIdEEEEPS6_NSA_18transform_iteratorINSB_9not_fun_tI7is_trueIdEEENSC_INSD_IbEEEENSA_11use_defaultESO_EENS0_5tupleIJNSA_16discard_iteratorISO_EES6_EEENSQ_IJSG_SG_EEES6_PlJS6_EEE10hipError_tPvRmT3_T4_T5_T6_T7_T9_mT8_P12ihipStream_tbDpT10_ENKUlT_T0_E_clISt17integral_constantIbLb1EES1E_IbLb0EEEEDaS1A_S1B_EUlS1A_E_NS1_11comp_targetILNS1_3genE3ELNS1_11target_archE908ELNS1_3gpuE7ELNS1_3repE0EEENS1_30default_config_static_selectorELNS0_4arch9wavefront6targetE0EEEvT1_
; %bb.0:
	.section	.rodata,"a",@progbits
	.p2align	6, 0x0
	.amdhsa_kernel _ZN7rocprim17ROCPRIM_400000_NS6detail17trampoline_kernelINS0_14default_configENS1_25partition_config_selectorILNS1_17partition_subalgoE5EdNS0_10empty_typeEbEEZZNS1_14partition_implILS5_5ELb0ES3_mN6thrust23THRUST_200600_302600_NS6detail15normal_iteratorINSA_10device_ptrIdEEEEPS6_NSA_18transform_iteratorINSB_9not_fun_tI7is_trueIdEEENSC_INSD_IbEEEENSA_11use_defaultESO_EENS0_5tupleIJNSA_16discard_iteratorISO_EES6_EEENSQ_IJSG_SG_EEES6_PlJS6_EEE10hipError_tPvRmT3_T4_T5_T6_T7_T9_mT8_P12ihipStream_tbDpT10_ENKUlT_T0_E_clISt17integral_constantIbLb1EES1E_IbLb0EEEEDaS1A_S1B_EUlS1A_E_NS1_11comp_targetILNS1_3genE3ELNS1_11target_archE908ELNS1_3gpuE7ELNS1_3repE0EEENS1_30default_config_static_selectorELNS0_4arch9wavefront6targetE0EEEvT1_
		.amdhsa_group_segment_fixed_size 0
		.amdhsa_private_segment_fixed_size 0
		.amdhsa_kernarg_size 128
		.amdhsa_user_sgpr_count 2
		.amdhsa_user_sgpr_dispatch_ptr 0
		.amdhsa_user_sgpr_queue_ptr 0
		.amdhsa_user_sgpr_kernarg_segment_ptr 1
		.amdhsa_user_sgpr_dispatch_id 0
		.amdhsa_user_sgpr_private_segment_size 0
		.amdhsa_wavefront_size32 1
		.amdhsa_uses_dynamic_stack 0
		.amdhsa_enable_private_segment 0
		.amdhsa_system_sgpr_workgroup_id_x 1
		.amdhsa_system_sgpr_workgroup_id_y 0
		.amdhsa_system_sgpr_workgroup_id_z 0
		.amdhsa_system_sgpr_workgroup_info 0
		.amdhsa_system_vgpr_workitem_id 0
		.amdhsa_next_free_vgpr 1
		.amdhsa_next_free_sgpr 1
		.amdhsa_reserve_vcc 0
		.amdhsa_float_round_mode_32 0
		.amdhsa_float_round_mode_16_64 0
		.amdhsa_float_denorm_mode_32 3
		.amdhsa_float_denorm_mode_16_64 3
		.amdhsa_fp16_overflow 0
		.amdhsa_workgroup_processor_mode 1
		.amdhsa_memory_ordered 1
		.amdhsa_forward_progress 1
		.amdhsa_inst_pref_size 0
		.amdhsa_round_robin_scheduling 0
		.amdhsa_exception_fp_ieee_invalid_op 0
		.amdhsa_exception_fp_denorm_src 0
		.amdhsa_exception_fp_ieee_div_zero 0
		.amdhsa_exception_fp_ieee_overflow 0
		.amdhsa_exception_fp_ieee_underflow 0
		.amdhsa_exception_fp_ieee_inexact 0
		.amdhsa_exception_int_div_zero 0
	.end_amdhsa_kernel
	.section	.text._ZN7rocprim17ROCPRIM_400000_NS6detail17trampoline_kernelINS0_14default_configENS1_25partition_config_selectorILNS1_17partition_subalgoE5EdNS0_10empty_typeEbEEZZNS1_14partition_implILS5_5ELb0ES3_mN6thrust23THRUST_200600_302600_NS6detail15normal_iteratorINSA_10device_ptrIdEEEEPS6_NSA_18transform_iteratorINSB_9not_fun_tI7is_trueIdEEENSC_INSD_IbEEEENSA_11use_defaultESO_EENS0_5tupleIJNSA_16discard_iteratorISO_EES6_EEENSQ_IJSG_SG_EEES6_PlJS6_EEE10hipError_tPvRmT3_T4_T5_T6_T7_T9_mT8_P12ihipStream_tbDpT10_ENKUlT_T0_E_clISt17integral_constantIbLb1EES1E_IbLb0EEEEDaS1A_S1B_EUlS1A_E_NS1_11comp_targetILNS1_3genE3ELNS1_11target_archE908ELNS1_3gpuE7ELNS1_3repE0EEENS1_30default_config_static_selectorELNS0_4arch9wavefront6targetE0EEEvT1_,"axG",@progbits,_ZN7rocprim17ROCPRIM_400000_NS6detail17trampoline_kernelINS0_14default_configENS1_25partition_config_selectorILNS1_17partition_subalgoE5EdNS0_10empty_typeEbEEZZNS1_14partition_implILS5_5ELb0ES3_mN6thrust23THRUST_200600_302600_NS6detail15normal_iteratorINSA_10device_ptrIdEEEEPS6_NSA_18transform_iteratorINSB_9not_fun_tI7is_trueIdEEENSC_INSD_IbEEEENSA_11use_defaultESO_EENS0_5tupleIJNSA_16discard_iteratorISO_EES6_EEENSQ_IJSG_SG_EEES6_PlJS6_EEE10hipError_tPvRmT3_T4_T5_T6_T7_T9_mT8_P12ihipStream_tbDpT10_ENKUlT_T0_E_clISt17integral_constantIbLb1EES1E_IbLb0EEEEDaS1A_S1B_EUlS1A_E_NS1_11comp_targetILNS1_3genE3ELNS1_11target_archE908ELNS1_3gpuE7ELNS1_3repE0EEENS1_30default_config_static_selectorELNS0_4arch9wavefront6targetE0EEEvT1_,comdat
.Lfunc_end2608:
	.size	_ZN7rocprim17ROCPRIM_400000_NS6detail17trampoline_kernelINS0_14default_configENS1_25partition_config_selectorILNS1_17partition_subalgoE5EdNS0_10empty_typeEbEEZZNS1_14partition_implILS5_5ELb0ES3_mN6thrust23THRUST_200600_302600_NS6detail15normal_iteratorINSA_10device_ptrIdEEEEPS6_NSA_18transform_iteratorINSB_9not_fun_tI7is_trueIdEEENSC_INSD_IbEEEENSA_11use_defaultESO_EENS0_5tupleIJNSA_16discard_iteratorISO_EES6_EEENSQ_IJSG_SG_EEES6_PlJS6_EEE10hipError_tPvRmT3_T4_T5_T6_T7_T9_mT8_P12ihipStream_tbDpT10_ENKUlT_T0_E_clISt17integral_constantIbLb1EES1E_IbLb0EEEEDaS1A_S1B_EUlS1A_E_NS1_11comp_targetILNS1_3genE3ELNS1_11target_archE908ELNS1_3gpuE7ELNS1_3repE0EEENS1_30default_config_static_selectorELNS0_4arch9wavefront6targetE0EEEvT1_, .Lfunc_end2608-_ZN7rocprim17ROCPRIM_400000_NS6detail17trampoline_kernelINS0_14default_configENS1_25partition_config_selectorILNS1_17partition_subalgoE5EdNS0_10empty_typeEbEEZZNS1_14partition_implILS5_5ELb0ES3_mN6thrust23THRUST_200600_302600_NS6detail15normal_iteratorINSA_10device_ptrIdEEEEPS6_NSA_18transform_iteratorINSB_9not_fun_tI7is_trueIdEEENSC_INSD_IbEEEENSA_11use_defaultESO_EENS0_5tupleIJNSA_16discard_iteratorISO_EES6_EEENSQ_IJSG_SG_EEES6_PlJS6_EEE10hipError_tPvRmT3_T4_T5_T6_T7_T9_mT8_P12ihipStream_tbDpT10_ENKUlT_T0_E_clISt17integral_constantIbLb1EES1E_IbLb0EEEEDaS1A_S1B_EUlS1A_E_NS1_11comp_targetILNS1_3genE3ELNS1_11target_archE908ELNS1_3gpuE7ELNS1_3repE0EEENS1_30default_config_static_selectorELNS0_4arch9wavefront6targetE0EEEvT1_
                                        ; -- End function
	.set _ZN7rocprim17ROCPRIM_400000_NS6detail17trampoline_kernelINS0_14default_configENS1_25partition_config_selectorILNS1_17partition_subalgoE5EdNS0_10empty_typeEbEEZZNS1_14partition_implILS5_5ELb0ES3_mN6thrust23THRUST_200600_302600_NS6detail15normal_iteratorINSA_10device_ptrIdEEEEPS6_NSA_18transform_iteratorINSB_9not_fun_tI7is_trueIdEEENSC_INSD_IbEEEENSA_11use_defaultESO_EENS0_5tupleIJNSA_16discard_iteratorISO_EES6_EEENSQ_IJSG_SG_EEES6_PlJS6_EEE10hipError_tPvRmT3_T4_T5_T6_T7_T9_mT8_P12ihipStream_tbDpT10_ENKUlT_T0_E_clISt17integral_constantIbLb1EES1E_IbLb0EEEEDaS1A_S1B_EUlS1A_E_NS1_11comp_targetILNS1_3genE3ELNS1_11target_archE908ELNS1_3gpuE7ELNS1_3repE0EEENS1_30default_config_static_selectorELNS0_4arch9wavefront6targetE0EEEvT1_.num_vgpr, 0
	.set _ZN7rocprim17ROCPRIM_400000_NS6detail17trampoline_kernelINS0_14default_configENS1_25partition_config_selectorILNS1_17partition_subalgoE5EdNS0_10empty_typeEbEEZZNS1_14partition_implILS5_5ELb0ES3_mN6thrust23THRUST_200600_302600_NS6detail15normal_iteratorINSA_10device_ptrIdEEEEPS6_NSA_18transform_iteratorINSB_9not_fun_tI7is_trueIdEEENSC_INSD_IbEEEENSA_11use_defaultESO_EENS0_5tupleIJNSA_16discard_iteratorISO_EES6_EEENSQ_IJSG_SG_EEES6_PlJS6_EEE10hipError_tPvRmT3_T4_T5_T6_T7_T9_mT8_P12ihipStream_tbDpT10_ENKUlT_T0_E_clISt17integral_constantIbLb1EES1E_IbLb0EEEEDaS1A_S1B_EUlS1A_E_NS1_11comp_targetILNS1_3genE3ELNS1_11target_archE908ELNS1_3gpuE7ELNS1_3repE0EEENS1_30default_config_static_selectorELNS0_4arch9wavefront6targetE0EEEvT1_.num_agpr, 0
	.set _ZN7rocprim17ROCPRIM_400000_NS6detail17trampoline_kernelINS0_14default_configENS1_25partition_config_selectorILNS1_17partition_subalgoE5EdNS0_10empty_typeEbEEZZNS1_14partition_implILS5_5ELb0ES3_mN6thrust23THRUST_200600_302600_NS6detail15normal_iteratorINSA_10device_ptrIdEEEEPS6_NSA_18transform_iteratorINSB_9not_fun_tI7is_trueIdEEENSC_INSD_IbEEEENSA_11use_defaultESO_EENS0_5tupleIJNSA_16discard_iteratorISO_EES6_EEENSQ_IJSG_SG_EEES6_PlJS6_EEE10hipError_tPvRmT3_T4_T5_T6_T7_T9_mT8_P12ihipStream_tbDpT10_ENKUlT_T0_E_clISt17integral_constantIbLb1EES1E_IbLb0EEEEDaS1A_S1B_EUlS1A_E_NS1_11comp_targetILNS1_3genE3ELNS1_11target_archE908ELNS1_3gpuE7ELNS1_3repE0EEENS1_30default_config_static_selectorELNS0_4arch9wavefront6targetE0EEEvT1_.numbered_sgpr, 0
	.set _ZN7rocprim17ROCPRIM_400000_NS6detail17trampoline_kernelINS0_14default_configENS1_25partition_config_selectorILNS1_17partition_subalgoE5EdNS0_10empty_typeEbEEZZNS1_14partition_implILS5_5ELb0ES3_mN6thrust23THRUST_200600_302600_NS6detail15normal_iteratorINSA_10device_ptrIdEEEEPS6_NSA_18transform_iteratorINSB_9not_fun_tI7is_trueIdEEENSC_INSD_IbEEEENSA_11use_defaultESO_EENS0_5tupleIJNSA_16discard_iteratorISO_EES6_EEENSQ_IJSG_SG_EEES6_PlJS6_EEE10hipError_tPvRmT3_T4_T5_T6_T7_T9_mT8_P12ihipStream_tbDpT10_ENKUlT_T0_E_clISt17integral_constantIbLb1EES1E_IbLb0EEEEDaS1A_S1B_EUlS1A_E_NS1_11comp_targetILNS1_3genE3ELNS1_11target_archE908ELNS1_3gpuE7ELNS1_3repE0EEENS1_30default_config_static_selectorELNS0_4arch9wavefront6targetE0EEEvT1_.num_named_barrier, 0
	.set _ZN7rocprim17ROCPRIM_400000_NS6detail17trampoline_kernelINS0_14default_configENS1_25partition_config_selectorILNS1_17partition_subalgoE5EdNS0_10empty_typeEbEEZZNS1_14partition_implILS5_5ELb0ES3_mN6thrust23THRUST_200600_302600_NS6detail15normal_iteratorINSA_10device_ptrIdEEEEPS6_NSA_18transform_iteratorINSB_9not_fun_tI7is_trueIdEEENSC_INSD_IbEEEENSA_11use_defaultESO_EENS0_5tupleIJNSA_16discard_iteratorISO_EES6_EEENSQ_IJSG_SG_EEES6_PlJS6_EEE10hipError_tPvRmT3_T4_T5_T6_T7_T9_mT8_P12ihipStream_tbDpT10_ENKUlT_T0_E_clISt17integral_constantIbLb1EES1E_IbLb0EEEEDaS1A_S1B_EUlS1A_E_NS1_11comp_targetILNS1_3genE3ELNS1_11target_archE908ELNS1_3gpuE7ELNS1_3repE0EEENS1_30default_config_static_selectorELNS0_4arch9wavefront6targetE0EEEvT1_.private_seg_size, 0
	.set _ZN7rocprim17ROCPRIM_400000_NS6detail17trampoline_kernelINS0_14default_configENS1_25partition_config_selectorILNS1_17partition_subalgoE5EdNS0_10empty_typeEbEEZZNS1_14partition_implILS5_5ELb0ES3_mN6thrust23THRUST_200600_302600_NS6detail15normal_iteratorINSA_10device_ptrIdEEEEPS6_NSA_18transform_iteratorINSB_9not_fun_tI7is_trueIdEEENSC_INSD_IbEEEENSA_11use_defaultESO_EENS0_5tupleIJNSA_16discard_iteratorISO_EES6_EEENSQ_IJSG_SG_EEES6_PlJS6_EEE10hipError_tPvRmT3_T4_T5_T6_T7_T9_mT8_P12ihipStream_tbDpT10_ENKUlT_T0_E_clISt17integral_constantIbLb1EES1E_IbLb0EEEEDaS1A_S1B_EUlS1A_E_NS1_11comp_targetILNS1_3genE3ELNS1_11target_archE908ELNS1_3gpuE7ELNS1_3repE0EEENS1_30default_config_static_selectorELNS0_4arch9wavefront6targetE0EEEvT1_.uses_vcc, 0
	.set _ZN7rocprim17ROCPRIM_400000_NS6detail17trampoline_kernelINS0_14default_configENS1_25partition_config_selectorILNS1_17partition_subalgoE5EdNS0_10empty_typeEbEEZZNS1_14partition_implILS5_5ELb0ES3_mN6thrust23THRUST_200600_302600_NS6detail15normal_iteratorINSA_10device_ptrIdEEEEPS6_NSA_18transform_iteratorINSB_9not_fun_tI7is_trueIdEEENSC_INSD_IbEEEENSA_11use_defaultESO_EENS0_5tupleIJNSA_16discard_iteratorISO_EES6_EEENSQ_IJSG_SG_EEES6_PlJS6_EEE10hipError_tPvRmT3_T4_T5_T6_T7_T9_mT8_P12ihipStream_tbDpT10_ENKUlT_T0_E_clISt17integral_constantIbLb1EES1E_IbLb0EEEEDaS1A_S1B_EUlS1A_E_NS1_11comp_targetILNS1_3genE3ELNS1_11target_archE908ELNS1_3gpuE7ELNS1_3repE0EEENS1_30default_config_static_selectorELNS0_4arch9wavefront6targetE0EEEvT1_.uses_flat_scratch, 0
	.set _ZN7rocprim17ROCPRIM_400000_NS6detail17trampoline_kernelINS0_14default_configENS1_25partition_config_selectorILNS1_17partition_subalgoE5EdNS0_10empty_typeEbEEZZNS1_14partition_implILS5_5ELb0ES3_mN6thrust23THRUST_200600_302600_NS6detail15normal_iteratorINSA_10device_ptrIdEEEEPS6_NSA_18transform_iteratorINSB_9not_fun_tI7is_trueIdEEENSC_INSD_IbEEEENSA_11use_defaultESO_EENS0_5tupleIJNSA_16discard_iteratorISO_EES6_EEENSQ_IJSG_SG_EEES6_PlJS6_EEE10hipError_tPvRmT3_T4_T5_T6_T7_T9_mT8_P12ihipStream_tbDpT10_ENKUlT_T0_E_clISt17integral_constantIbLb1EES1E_IbLb0EEEEDaS1A_S1B_EUlS1A_E_NS1_11comp_targetILNS1_3genE3ELNS1_11target_archE908ELNS1_3gpuE7ELNS1_3repE0EEENS1_30default_config_static_selectorELNS0_4arch9wavefront6targetE0EEEvT1_.has_dyn_sized_stack, 0
	.set _ZN7rocprim17ROCPRIM_400000_NS6detail17trampoline_kernelINS0_14default_configENS1_25partition_config_selectorILNS1_17partition_subalgoE5EdNS0_10empty_typeEbEEZZNS1_14partition_implILS5_5ELb0ES3_mN6thrust23THRUST_200600_302600_NS6detail15normal_iteratorINSA_10device_ptrIdEEEEPS6_NSA_18transform_iteratorINSB_9not_fun_tI7is_trueIdEEENSC_INSD_IbEEEENSA_11use_defaultESO_EENS0_5tupleIJNSA_16discard_iteratorISO_EES6_EEENSQ_IJSG_SG_EEES6_PlJS6_EEE10hipError_tPvRmT3_T4_T5_T6_T7_T9_mT8_P12ihipStream_tbDpT10_ENKUlT_T0_E_clISt17integral_constantIbLb1EES1E_IbLb0EEEEDaS1A_S1B_EUlS1A_E_NS1_11comp_targetILNS1_3genE3ELNS1_11target_archE908ELNS1_3gpuE7ELNS1_3repE0EEENS1_30default_config_static_selectorELNS0_4arch9wavefront6targetE0EEEvT1_.has_recursion, 0
	.set _ZN7rocprim17ROCPRIM_400000_NS6detail17trampoline_kernelINS0_14default_configENS1_25partition_config_selectorILNS1_17partition_subalgoE5EdNS0_10empty_typeEbEEZZNS1_14partition_implILS5_5ELb0ES3_mN6thrust23THRUST_200600_302600_NS6detail15normal_iteratorINSA_10device_ptrIdEEEEPS6_NSA_18transform_iteratorINSB_9not_fun_tI7is_trueIdEEENSC_INSD_IbEEEENSA_11use_defaultESO_EENS0_5tupleIJNSA_16discard_iteratorISO_EES6_EEENSQ_IJSG_SG_EEES6_PlJS6_EEE10hipError_tPvRmT3_T4_T5_T6_T7_T9_mT8_P12ihipStream_tbDpT10_ENKUlT_T0_E_clISt17integral_constantIbLb1EES1E_IbLb0EEEEDaS1A_S1B_EUlS1A_E_NS1_11comp_targetILNS1_3genE3ELNS1_11target_archE908ELNS1_3gpuE7ELNS1_3repE0EEENS1_30default_config_static_selectorELNS0_4arch9wavefront6targetE0EEEvT1_.has_indirect_call, 0
	.section	.AMDGPU.csdata,"",@progbits
; Kernel info:
; codeLenInByte = 0
; TotalNumSgprs: 0
; NumVgprs: 0
; ScratchSize: 0
; MemoryBound: 0
; FloatMode: 240
; IeeeMode: 1
; LDSByteSize: 0 bytes/workgroup (compile time only)
; SGPRBlocks: 0
; VGPRBlocks: 0
; NumSGPRsForWavesPerEU: 1
; NumVGPRsForWavesPerEU: 1
; Occupancy: 16
; WaveLimiterHint : 0
; COMPUTE_PGM_RSRC2:SCRATCH_EN: 0
; COMPUTE_PGM_RSRC2:USER_SGPR: 2
; COMPUTE_PGM_RSRC2:TRAP_HANDLER: 0
; COMPUTE_PGM_RSRC2:TGID_X_EN: 1
; COMPUTE_PGM_RSRC2:TGID_Y_EN: 0
; COMPUTE_PGM_RSRC2:TGID_Z_EN: 0
; COMPUTE_PGM_RSRC2:TIDIG_COMP_CNT: 0
	.section	.text._ZN7rocprim17ROCPRIM_400000_NS6detail17trampoline_kernelINS0_14default_configENS1_25partition_config_selectorILNS1_17partition_subalgoE5EdNS0_10empty_typeEbEEZZNS1_14partition_implILS5_5ELb0ES3_mN6thrust23THRUST_200600_302600_NS6detail15normal_iteratorINSA_10device_ptrIdEEEEPS6_NSA_18transform_iteratorINSB_9not_fun_tI7is_trueIdEEENSC_INSD_IbEEEENSA_11use_defaultESO_EENS0_5tupleIJNSA_16discard_iteratorISO_EES6_EEENSQ_IJSG_SG_EEES6_PlJS6_EEE10hipError_tPvRmT3_T4_T5_T6_T7_T9_mT8_P12ihipStream_tbDpT10_ENKUlT_T0_E_clISt17integral_constantIbLb1EES1E_IbLb0EEEEDaS1A_S1B_EUlS1A_E_NS1_11comp_targetILNS1_3genE2ELNS1_11target_archE906ELNS1_3gpuE6ELNS1_3repE0EEENS1_30default_config_static_selectorELNS0_4arch9wavefront6targetE0EEEvT1_,"axG",@progbits,_ZN7rocprim17ROCPRIM_400000_NS6detail17trampoline_kernelINS0_14default_configENS1_25partition_config_selectorILNS1_17partition_subalgoE5EdNS0_10empty_typeEbEEZZNS1_14partition_implILS5_5ELb0ES3_mN6thrust23THRUST_200600_302600_NS6detail15normal_iteratorINSA_10device_ptrIdEEEEPS6_NSA_18transform_iteratorINSB_9not_fun_tI7is_trueIdEEENSC_INSD_IbEEEENSA_11use_defaultESO_EENS0_5tupleIJNSA_16discard_iteratorISO_EES6_EEENSQ_IJSG_SG_EEES6_PlJS6_EEE10hipError_tPvRmT3_T4_T5_T6_T7_T9_mT8_P12ihipStream_tbDpT10_ENKUlT_T0_E_clISt17integral_constantIbLb1EES1E_IbLb0EEEEDaS1A_S1B_EUlS1A_E_NS1_11comp_targetILNS1_3genE2ELNS1_11target_archE906ELNS1_3gpuE6ELNS1_3repE0EEENS1_30default_config_static_selectorELNS0_4arch9wavefront6targetE0EEEvT1_,comdat
	.protected	_ZN7rocprim17ROCPRIM_400000_NS6detail17trampoline_kernelINS0_14default_configENS1_25partition_config_selectorILNS1_17partition_subalgoE5EdNS0_10empty_typeEbEEZZNS1_14partition_implILS5_5ELb0ES3_mN6thrust23THRUST_200600_302600_NS6detail15normal_iteratorINSA_10device_ptrIdEEEEPS6_NSA_18transform_iteratorINSB_9not_fun_tI7is_trueIdEEENSC_INSD_IbEEEENSA_11use_defaultESO_EENS0_5tupleIJNSA_16discard_iteratorISO_EES6_EEENSQ_IJSG_SG_EEES6_PlJS6_EEE10hipError_tPvRmT3_T4_T5_T6_T7_T9_mT8_P12ihipStream_tbDpT10_ENKUlT_T0_E_clISt17integral_constantIbLb1EES1E_IbLb0EEEEDaS1A_S1B_EUlS1A_E_NS1_11comp_targetILNS1_3genE2ELNS1_11target_archE906ELNS1_3gpuE6ELNS1_3repE0EEENS1_30default_config_static_selectorELNS0_4arch9wavefront6targetE0EEEvT1_ ; -- Begin function _ZN7rocprim17ROCPRIM_400000_NS6detail17trampoline_kernelINS0_14default_configENS1_25partition_config_selectorILNS1_17partition_subalgoE5EdNS0_10empty_typeEbEEZZNS1_14partition_implILS5_5ELb0ES3_mN6thrust23THRUST_200600_302600_NS6detail15normal_iteratorINSA_10device_ptrIdEEEEPS6_NSA_18transform_iteratorINSB_9not_fun_tI7is_trueIdEEENSC_INSD_IbEEEENSA_11use_defaultESO_EENS0_5tupleIJNSA_16discard_iteratorISO_EES6_EEENSQ_IJSG_SG_EEES6_PlJS6_EEE10hipError_tPvRmT3_T4_T5_T6_T7_T9_mT8_P12ihipStream_tbDpT10_ENKUlT_T0_E_clISt17integral_constantIbLb1EES1E_IbLb0EEEEDaS1A_S1B_EUlS1A_E_NS1_11comp_targetILNS1_3genE2ELNS1_11target_archE906ELNS1_3gpuE6ELNS1_3repE0EEENS1_30default_config_static_selectorELNS0_4arch9wavefront6targetE0EEEvT1_
	.globl	_ZN7rocprim17ROCPRIM_400000_NS6detail17trampoline_kernelINS0_14default_configENS1_25partition_config_selectorILNS1_17partition_subalgoE5EdNS0_10empty_typeEbEEZZNS1_14partition_implILS5_5ELb0ES3_mN6thrust23THRUST_200600_302600_NS6detail15normal_iteratorINSA_10device_ptrIdEEEEPS6_NSA_18transform_iteratorINSB_9not_fun_tI7is_trueIdEEENSC_INSD_IbEEEENSA_11use_defaultESO_EENS0_5tupleIJNSA_16discard_iteratorISO_EES6_EEENSQ_IJSG_SG_EEES6_PlJS6_EEE10hipError_tPvRmT3_T4_T5_T6_T7_T9_mT8_P12ihipStream_tbDpT10_ENKUlT_T0_E_clISt17integral_constantIbLb1EES1E_IbLb0EEEEDaS1A_S1B_EUlS1A_E_NS1_11comp_targetILNS1_3genE2ELNS1_11target_archE906ELNS1_3gpuE6ELNS1_3repE0EEENS1_30default_config_static_selectorELNS0_4arch9wavefront6targetE0EEEvT1_
	.p2align	8
	.type	_ZN7rocprim17ROCPRIM_400000_NS6detail17trampoline_kernelINS0_14default_configENS1_25partition_config_selectorILNS1_17partition_subalgoE5EdNS0_10empty_typeEbEEZZNS1_14partition_implILS5_5ELb0ES3_mN6thrust23THRUST_200600_302600_NS6detail15normal_iteratorINSA_10device_ptrIdEEEEPS6_NSA_18transform_iteratorINSB_9not_fun_tI7is_trueIdEEENSC_INSD_IbEEEENSA_11use_defaultESO_EENS0_5tupleIJNSA_16discard_iteratorISO_EES6_EEENSQ_IJSG_SG_EEES6_PlJS6_EEE10hipError_tPvRmT3_T4_T5_T6_T7_T9_mT8_P12ihipStream_tbDpT10_ENKUlT_T0_E_clISt17integral_constantIbLb1EES1E_IbLb0EEEEDaS1A_S1B_EUlS1A_E_NS1_11comp_targetILNS1_3genE2ELNS1_11target_archE906ELNS1_3gpuE6ELNS1_3repE0EEENS1_30default_config_static_selectorELNS0_4arch9wavefront6targetE0EEEvT1_,@function
_ZN7rocprim17ROCPRIM_400000_NS6detail17trampoline_kernelINS0_14default_configENS1_25partition_config_selectorILNS1_17partition_subalgoE5EdNS0_10empty_typeEbEEZZNS1_14partition_implILS5_5ELb0ES3_mN6thrust23THRUST_200600_302600_NS6detail15normal_iteratorINSA_10device_ptrIdEEEEPS6_NSA_18transform_iteratorINSB_9not_fun_tI7is_trueIdEEENSC_INSD_IbEEEENSA_11use_defaultESO_EENS0_5tupleIJNSA_16discard_iteratorISO_EES6_EEENSQ_IJSG_SG_EEES6_PlJS6_EEE10hipError_tPvRmT3_T4_T5_T6_T7_T9_mT8_P12ihipStream_tbDpT10_ENKUlT_T0_E_clISt17integral_constantIbLb1EES1E_IbLb0EEEEDaS1A_S1B_EUlS1A_E_NS1_11comp_targetILNS1_3genE2ELNS1_11target_archE906ELNS1_3gpuE6ELNS1_3repE0EEENS1_30default_config_static_selectorELNS0_4arch9wavefront6targetE0EEEvT1_: ; @_ZN7rocprim17ROCPRIM_400000_NS6detail17trampoline_kernelINS0_14default_configENS1_25partition_config_selectorILNS1_17partition_subalgoE5EdNS0_10empty_typeEbEEZZNS1_14partition_implILS5_5ELb0ES3_mN6thrust23THRUST_200600_302600_NS6detail15normal_iteratorINSA_10device_ptrIdEEEEPS6_NSA_18transform_iteratorINSB_9not_fun_tI7is_trueIdEEENSC_INSD_IbEEEENSA_11use_defaultESO_EENS0_5tupleIJNSA_16discard_iteratorISO_EES6_EEENSQ_IJSG_SG_EEES6_PlJS6_EEE10hipError_tPvRmT3_T4_T5_T6_T7_T9_mT8_P12ihipStream_tbDpT10_ENKUlT_T0_E_clISt17integral_constantIbLb1EES1E_IbLb0EEEEDaS1A_S1B_EUlS1A_E_NS1_11comp_targetILNS1_3genE2ELNS1_11target_archE906ELNS1_3gpuE6ELNS1_3repE0EEENS1_30default_config_static_selectorELNS0_4arch9wavefront6targetE0EEEvT1_
; %bb.0:
	.section	.rodata,"a",@progbits
	.p2align	6, 0x0
	.amdhsa_kernel _ZN7rocprim17ROCPRIM_400000_NS6detail17trampoline_kernelINS0_14default_configENS1_25partition_config_selectorILNS1_17partition_subalgoE5EdNS0_10empty_typeEbEEZZNS1_14partition_implILS5_5ELb0ES3_mN6thrust23THRUST_200600_302600_NS6detail15normal_iteratorINSA_10device_ptrIdEEEEPS6_NSA_18transform_iteratorINSB_9not_fun_tI7is_trueIdEEENSC_INSD_IbEEEENSA_11use_defaultESO_EENS0_5tupleIJNSA_16discard_iteratorISO_EES6_EEENSQ_IJSG_SG_EEES6_PlJS6_EEE10hipError_tPvRmT3_T4_T5_T6_T7_T9_mT8_P12ihipStream_tbDpT10_ENKUlT_T0_E_clISt17integral_constantIbLb1EES1E_IbLb0EEEEDaS1A_S1B_EUlS1A_E_NS1_11comp_targetILNS1_3genE2ELNS1_11target_archE906ELNS1_3gpuE6ELNS1_3repE0EEENS1_30default_config_static_selectorELNS0_4arch9wavefront6targetE0EEEvT1_
		.amdhsa_group_segment_fixed_size 0
		.amdhsa_private_segment_fixed_size 0
		.amdhsa_kernarg_size 128
		.amdhsa_user_sgpr_count 2
		.amdhsa_user_sgpr_dispatch_ptr 0
		.amdhsa_user_sgpr_queue_ptr 0
		.amdhsa_user_sgpr_kernarg_segment_ptr 1
		.amdhsa_user_sgpr_dispatch_id 0
		.amdhsa_user_sgpr_private_segment_size 0
		.amdhsa_wavefront_size32 1
		.amdhsa_uses_dynamic_stack 0
		.amdhsa_enable_private_segment 0
		.amdhsa_system_sgpr_workgroup_id_x 1
		.amdhsa_system_sgpr_workgroup_id_y 0
		.amdhsa_system_sgpr_workgroup_id_z 0
		.amdhsa_system_sgpr_workgroup_info 0
		.amdhsa_system_vgpr_workitem_id 0
		.amdhsa_next_free_vgpr 1
		.amdhsa_next_free_sgpr 1
		.amdhsa_reserve_vcc 0
		.amdhsa_float_round_mode_32 0
		.amdhsa_float_round_mode_16_64 0
		.amdhsa_float_denorm_mode_32 3
		.amdhsa_float_denorm_mode_16_64 3
		.amdhsa_fp16_overflow 0
		.amdhsa_workgroup_processor_mode 1
		.amdhsa_memory_ordered 1
		.amdhsa_forward_progress 1
		.amdhsa_inst_pref_size 0
		.amdhsa_round_robin_scheduling 0
		.amdhsa_exception_fp_ieee_invalid_op 0
		.amdhsa_exception_fp_denorm_src 0
		.amdhsa_exception_fp_ieee_div_zero 0
		.amdhsa_exception_fp_ieee_overflow 0
		.amdhsa_exception_fp_ieee_underflow 0
		.amdhsa_exception_fp_ieee_inexact 0
		.amdhsa_exception_int_div_zero 0
	.end_amdhsa_kernel
	.section	.text._ZN7rocprim17ROCPRIM_400000_NS6detail17trampoline_kernelINS0_14default_configENS1_25partition_config_selectorILNS1_17partition_subalgoE5EdNS0_10empty_typeEbEEZZNS1_14partition_implILS5_5ELb0ES3_mN6thrust23THRUST_200600_302600_NS6detail15normal_iteratorINSA_10device_ptrIdEEEEPS6_NSA_18transform_iteratorINSB_9not_fun_tI7is_trueIdEEENSC_INSD_IbEEEENSA_11use_defaultESO_EENS0_5tupleIJNSA_16discard_iteratorISO_EES6_EEENSQ_IJSG_SG_EEES6_PlJS6_EEE10hipError_tPvRmT3_T4_T5_T6_T7_T9_mT8_P12ihipStream_tbDpT10_ENKUlT_T0_E_clISt17integral_constantIbLb1EES1E_IbLb0EEEEDaS1A_S1B_EUlS1A_E_NS1_11comp_targetILNS1_3genE2ELNS1_11target_archE906ELNS1_3gpuE6ELNS1_3repE0EEENS1_30default_config_static_selectorELNS0_4arch9wavefront6targetE0EEEvT1_,"axG",@progbits,_ZN7rocprim17ROCPRIM_400000_NS6detail17trampoline_kernelINS0_14default_configENS1_25partition_config_selectorILNS1_17partition_subalgoE5EdNS0_10empty_typeEbEEZZNS1_14partition_implILS5_5ELb0ES3_mN6thrust23THRUST_200600_302600_NS6detail15normal_iteratorINSA_10device_ptrIdEEEEPS6_NSA_18transform_iteratorINSB_9not_fun_tI7is_trueIdEEENSC_INSD_IbEEEENSA_11use_defaultESO_EENS0_5tupleIJNSA_16discard_iteratorISO_EES6_EEENSQ_IJSG_SG_EEES6_PlJS6_EEE10hipError_tPvRmT3_T4_T5_T6_T7_T9_mT8_P12ihipStream_tbDpT10_ENKUlT_T0_E_clISt17integral_constantIbLb1EES1E_IbLb0EEEEDaS1A_S1B_EUlS1A_E_NS1_11comp_targetILNS1_3genE2ELNS1_11target_archE906ELNS1_3gpuE6ELNS1_3repE0EEENS1_30default_config_static_selectorELNS0_4arch9wavefront6targetE0EEEvT1_,comdat
.Lfunc_end2609:
	.size	_ZN7rocprim17ROCPRIM_400000_NS6detail17trampoline_kernelINS0_14default_configENS1_25partition_config_selectorILNS1_17partition_subalgoE5EdNS0_10empty_typeEbEEZZNS1_14partition_implILS5_5ELb0ES3_mN6thrust23THRUST_200600_302600_NS6detail15normal_iteratorINSA_10device_ptrIdEEEEPS6_NSA_18transform_iteratorINSB_9not_fun_tI7is_trueIdEEENSC_INSD_IbEEEENSA_11use_defaultESO_EENS0_5tupleIJNSA_16discard_iteratorISO_EES6_EEENSQ_IJSG_SG_EEES6_PlJS6_EEE10hipError_tPvRmT3_T4_T5_T6_T7_T9_mT8_P12ihipStream_tbDpT10_ENKUlT_T0_E_clISt17integral_constantIbLb1EES1E_IbLb0EEEEDaS1A_S1B_EUlS1A_E_NS1_11comp_targetILNS1_3genE2ELNS1_11target_archE906ELNS1_3gpuE6ELNS1_3repE0EEENS1_30default_config_static_selectorELNS0_4arch9wavefront6targetE0EEEvT1_, .Lfunc_end2609-_ZN7rocprim17ROCPRIM_400000_NS6detail17trampoline_kernelINS0_14default_configENS1_25partition_config_selectorILNS1_17partition_subalgoE5EdNS0_10empty_typeEbEEZZNS1_14partition_implILS5_5ELb0ES3_mN6thrust23THRUST_200600_302600_NS6detail15normal_iteratorINSA_10device_ptrIdEEEEPS6_NSA_18transform_iteratorINSB_9not_fun_tI7is_trueIdEEENSC_INSD_IbEEEENSA_11use_defaultESO_EENS0_5tupleIJNSA_16discard_iteratorISO_EES6_EEENSQ_IJSG_SG_EEES6_PlJS6_EEE10hipError_tPvRmT3_T4_T5_T6_T7_T9_mT8_P12ihipStream_tbDpT10_ENKUlT_T0_E_clISt17integral_constantIbLb1EES1E_IbLb0EEEEDaS1A_S1B_EUlS1A_E_NS1_11comp_targetILNS1_3genE2ELNS1_11target_archE906ELNS1_3gpuE6ELNS1_3repE0EEENS1_30default_config_static_selectorELNS0_4arch9wavefront6targetE0EEEvT1_
                                        ; -- End function
	.set _ZN7rocprim17ROCPRIM_400000_NS6detail17trampoline_kernelINS0_14default_configENS1_25partition_config_selectorILNS1_17partition_subalgoE5EdNS0_10empty_typeEbEEZZNS1_14partition_implILS5_5ELb0ES3_mN6thrust23THRUST_200600_302600_NS6detail15normal_iteratorINSA_10device_ptrIdEEEEPS6_NSA_18transform_iteratorINSB_9not_fun_tI7is_trueIdEEENSC_INSD_IbEEEENSA_11use_defaultESO_EENS0_5tupleIJNSA_16discard_iteratorISO_EES6_EEENSQ_IJSG_SG_EEES6_PlJS6_EEE10hipError_tPvRmT3_T4_T5_T6_T7_T9_mT8_P12ihipStream_tbDpT10_ENKUlT_T0_E_clISt17integral_constantIbLb1EES1E_IbLb0EEEEDaS1A_S1B_EUlS1A_E_NS1_11comp_targetILNS1_3genE2ELNS1_11target_archE906ELNS1_3gpuE6ELNS1_3repE0EEENS1_30default_config_static_selectorELNS0_4arch9wavefront6targetE0EEEvT1_.num_vgpr, 0
	.set _ZN7rocprim17ROCPRIM_400000_NS6detail17trampoline_kernelINS0_14default_configENS1_25partition_config_selectorILNS1_17partition_subalgoE5EdNS0_10empty_typeEbEEZZNS1_14partition_implILS5_5ELb0ES3_mN6thrust23THRUST_200600_302600_NS6detail15normal_iteratorINSA_10device_ptrIdEEEEPS6_NSA_18transform_iteratorINSB_9not_fun_tI7is_trueIdEEENSC_INSD_IbEEEENSA_11use_defaultESO_EENS0_5tupleIJNSA_16discard_iteratorISO_EES6_EEENSQ_IJSG_SG_EEES6_PlJS6_EEE10hipError_tPvRmT3_T4_T5_T6_T7_T9_mT8_P12ihipStream_tbDpT10_ENKUlT_T0_E_clISt17integral_constantIbLb1EES1E_IbLb0EEEEDaS1A_S1B_EUlS1A_E_NS1_11comp_targetILNS1_3genE2ELNS1_11target_archE906ELNS1_3gpuE6ELNS1_3repE0EEENS1_30default_config_static_selectorELNS0_4arch9wavefront6targetE0EEEvT1_.num_agpr, 0
	.set _ZN7rocprim17ROCPRIM_400000_NS6detail17trampoline_kernelINS0_14default_configENS1_25partition_config_selectorILNS1_17partition_subalgoE5EdNS0_10empty_typeEbEEZZNS1_14partition_implILS5_5ELb0ES3_mN6thrust23THRUST_200600_302600_NS6detail15normal_iteratorINSA_10device_ptrIdEEEEPS6_NSA_18transform_iteratorINSB_9not_fun_tI7is_trueIdEEENSC_INSD_IbEEEENSA_11use_defaultESO_EENS0_5tupleIJNSA_16discard_iteratorISO_EES6_EEENSQ_IJSG_SG_EEES6_PlJS6_EEE10hipError_tPvRmT3_T4_T5_T6_T7_T9_mT8_P12ihipStream_tbDpT10_ENKUlT_T0_E_clISt17integral_constantIbLb1EES1E_IbLb0EEEEDaS1A_S1B_EUlS1A_E_NS1_11comp_targetILNS1_3genE2ELNS1_11target_archE906ELNS1_3gpuE6ELNS1_3repE0EEENS1_30default_config_static_selectorELNS0_4arch9wavefront6targetE0EEEvT1_.numbered_sgpr, 0
	.set _ZN7rocprim17ROCPRIM_400000_NS6detail17trampoline_kernelINS0_14default_configENS1_25partition_config_selectorILNS1_17partition_subalgoE5EdNS0_10empty_typeEbEEZZNS1_14partition_implILS5_5ELb0ES3_mN6thrust23THRUST_200600_302600_NS6detail15normal_iteratorINSA_10device_ptrIdEEEEPS6_NSA_18transform_iteratorINSB_9not_fun_tI7is_trueIdEEENSC_INSD_IbEEEENSA_11use_defaultESO_EENS0_5tupleIJNSA_16discard_iteratorISO_EES6_EEENSQ_IJSG_SG_EEES6_PlJS6_EEE10hipError_tPvRmT3_T4_T5_T6_T7_T9_mT8_P12ihipStream_tbDpT10_ENKUlT_T0_E_clISt17integral_constantIbLb1EES1E_IbLb0EEEEDaS1A_S1B_EUlS1A_E_NS1_11comp_targetILNS1_3genE2ELNS1_11target_archE906ELNS1_3gpuE6ELNS1_3repE0EEENS1_30default_config_static_selectorELNS0_4arch9wavefront6targetE0EEEvT1_.num_named_barrier, 0
	.set _ZN7rocprim17ROCPRIM_400000_NS6detail17trampoline_kernelINS0_14default_configENS1_25partition_config_selectorILNS1_17partition_subalgoE5EdNS0_10empty_typeEbEEZZNS1_14partition_implILS5_5ELb0ES3_mN6thrust23THRUST_200600_302600_NS6detail15normal_iteratorINSA_10device_ptrIdEEEEPS6_NSA_18transform_iteratorINSB_9not_fun_tI7is_trueIdEEENSC_INSD_IbEEEENSA_11use_defaultESO_EENS0_5tupleIJNSA_16discard_iteratorISO_EES6_EEENSQ_IJSG_SG_EEES6_PlJS6_EEE10hipError_tPvRmT3_T4_T5_T6_T7_T9_mT8_P12ihipStream_tbDpT10_ENKUlT_T0_E_clISt17integral_constantIbLb1EES1E_IbLb0EEEEDaS1A_S1B_EUlS1A_E_NS1_11comp_targetILNS1_3genE2ELNS1_11target_archE906ELNS1_3gpuE6ELNS1_3repE0EEENS1_30default_config_static_selectorELNS0_4arch9wavefront6targetE0EEEvT1_.private_seg_size, 0
	.set _ZN7rocprim17ROCPRIM_400000_NS6detail17trampoline_kernelINS0_14default_configENS1_25partition_config_selectorILNS1_17partition_subalgoE5EdNS0_10empty_typeEbEEZZNS1_14partition_implILS5_5ELb0ES3_mN6thrust23THRUST_200600_302600_NS6detail15normal_iteratorINSA_10device_ptrIdEEEEPS6_NSA_18transform_iteratorINSB_9not_fun_tI7is_trueIdEEENSC_INSD_IbEEEENSA_11use_defaultESO_EENS0_5tupleIJNSA_16discard_iteratorISO_EES6_EEENSQ_IJSG_SG_EEES6_PlJS6_EEE10hipError_tPvRmT3_T4_T5_T6_T7_T9_mT8_P12ihipStream_tbDpT10_ENKUlT_T0_E_clISt17integral_constantIbLb1EES1E_IbLb0EEEEDaS1A_S1B_EUlS1A_E_NS1_11comp_targetILNS1_3genE2ELNS1_11target_archE906ELNS1_3gpuE6ELNS1_3repE0EEENS1_30default_config_static_selectorELNS0_4arch9wavefront6targetE0EEEvT1_.uses_vcc, 0
	.set _ZN7rocprim17ROCPRIM_400000_NS6detail17trampoline_kernelINS0_14default_configENS1_25partition_config_selectorILNS1_17partition_subalgoE5EdNS0_10empty_typeEbEEZZNS1_14partition_implILS5_5ELb0ES3_mN6thrust23THRUST_200600_302600_NS6detail15normal_iteratorINSA_10device_ptrIdEEEEPS6_NSA_18transform_iteratorINSB_9not_fun_tI7is_trueIdEEENSC_INSD_IbEEEENSA_11use_defaultESO_EENS0_5tupleIJNSA_16discard_iteratorISO_EES6_EEENSQ_IJSG_SG_EEES6_PlJS6_EEE10hipError_tPvRmT3_T4_T5_T6_T7_T9_mT8_P12ihipStream_tbDpT10_ENKUlT_T0_E_clISt17integral_constantIbLb1EES1E_IbLb0EEEEDaS1A_S1B_EUlS1A_E_NS1_11comp_targetILNS1_3genE2ELNS1_11target_archE906ELNS1_3gpuE6ELNS1_3repE0EEENS1_30default_config_static_selectorELNS0_4arch9wavefront6targetE0EEEvT1_.uses_flat_scratch, 0
	.set _ZN7rocprim17ROCPRIM_400000_NS6detail17trampoline_kernelINS0_14default_configENS1_25partition_config_selectorILNS1_17partition_subalgoE5EdNS0_10empty_typeEbEEZZNS1_14partition_implILS5_5ELb0ES3_mN6thrust23THRUST_200600_302600_NS6detail15normal_iteratorINSA_10device_ptrIdEEEEPS6_NSA_18transform_iteratorINSB_9not_fun_tI7is_trueIdEEENSC_INSD_IbEEEENSA_11use_defaultESO_EENS0_5tupleIJNSA_16discard_iteratorISO_EES6_EEENSQ_IJSG_SG_EEES6_PlJS6_EEE10hipError_tPvRmT3_T4_T5_T6_T7_T9_mT8_P12ihipStream_tbDpT10_ENKUlT_T0_E_clISt17integral_constantIbLb1EES1E_IbLb0EEEEDaS1A_S1B_EUlS1A_E_NS1_11comp_targetILNS1_3genE2ELNS1_11target_archE906ELNS1_3gpuE6ELNS1_3repE0EEENS1_30default_config_static_selectorELNS0_4arch9wavefront6targetE0EEEvT1_.has_dyn_sized_stack, 0
	.set _ZN7rocprim17ROCPRIM_400000_NS6detail17trampoline_kernelINS0_14default_configENS1_25partition_config_selectorILNS1_17partition_subalgoE5EdNS0_10empty_typeEbEEZZNS1_14partition_implILS5_5ELb0ES3_mN6thrust23THRUST_200600_302600_NS6detail15normal_iteratorINSA_10device_ptrIdEEEEPS6_NSA_18transform_iteratorINSB_9not_fun_tI7is_trueIdEEENSC_INSD_IbEEEENSA_11use_defaultESO_EENS0_5tupleIJNSA_16discard_iteratorISO_EES6_EEENSQ_IJSG_SG_EEES6_PlJS6_EEE10hipError_tPvRmT3_T4_T5_T6_T7_T9_mT8_P12ihipStream_tbDpT10_ENKUlT_T0_E_clISt17integral_constantIbLb1EES1E_IbLb0EEEEDaS1A_S1B_EUlS1A_E_NS1_11comp_targetILNS1_3genE2ELNS1_11target_archE906ELNS1_3gpuE6ELNS1_3repE0EEENS1_30default_config_static_selectorELNS0_4arch9wavefront6targetE0EEEvT1_.has_recursion, 0
	.set _ZN7rocprim17ROCPRIM_400000_NS6detail17trampoline_kernelINS0_14default_configENS1_25partition_config_selectorILNS1_17partition_subalgoE5EdNS0_10empty_typeEbEEZZNS1_14partition_implILS5_5ELb0ES3_mN6thrust23THRUST_200600_302600_NS6detail15normal_iteratorINSA_10device_ptrIdEEEEPS6_NSA_18transform_iteratorINSB_9not_fun_tI7is_trueIdEEENSC_INSD_IbEEEENSA_11use_defaultESO_EENS0_5tupleIJNSA_16discard_iteratorISO_EES6_EEENSQ_IJSG_SG_EEES6_PlJS6_EEE10hipError_tPvRmT3_T4_T5_T6_T7_T9_mT8_P12ihipStream_tbDpT10_ENKUlT_T0_E_clISt17integral_constantIbLb1EES1E_IbLb0EEEEDaS1A_S1B_EUlS1A_E_NS1_11comp_targetILNS1_3genE2ELNS1_11target_archE906ELNS1_3gpuE6ELNS1_3repE0EEENS1_30default_config_static_selectorELNS0_4arch9wavefront6targetE0EEEvT1_.has_indirect_call, 0
	.section	.AMDGPU.csdata,"",@progbits
; Kernel info:
; codeLenInByte = 0
; TotalNumSgprs: 0
; NumVgprs: 0
; ScratchSize: 0
; MemoryBound: 0
; FloatMode: 240
; IeeeMode: 1
; LDSByteSize: 0 bytes/workgroup (compile time only)
; SGPRBlocks: 0
; VGPRBlocks: 0
; NumSGPRsForWavesPerEU: 1
; NumVGPRsForWavesPerEU: 1
; Occupancy: 16
; WaveLimiterHint : 0
; COMPUTE_PGM_RSRC2:SCRATCH_EN: 0
; COMPUTE_PGM_RSRC2:USER_SGPR: 2
; COMPUTE_PGM_RSRC2:TRAP_HANDLER: 0
; COMPUTE_PGM_RSRC2:TGID_X_EN: 1
; COMPUTE_PGM_RSRC2:TGID_Y_EN: 0
; COMPUTE_PGM_RSRC2:TGID_Z_EN: 0
; COMPUTE_PGM_RSRC2:TIDIG_COMP_CNT: 0
	.section	.text._ZN7rocprim17ROCPRIM_400000_NS6detail17trampoline_kernelINS0_14default_configENS1_25partition_config_selectorILNS1_17partition_subalgoE5EdNS0_10empty_typeEbEEZZNS1_14partition_implILS5_5ELb0ES3_mN6thrust23THRUST_200600_302600_NS6detail15normal_iteratorINSA_10device_ptrIdEEEEPS6_NSA_18transform_iteratorINSB_9not_fun_tI7is_trueIdEEENSC_INSD_IbEEEENSA_11use_defaultESO_EENS0_5tupleIJNSA_16discard_iteratorISO_EES6_EEENSQ_IJSG_SG_EEES6_PlJS6_EEE10hipError_tPvRmT3_T4_T5_T6_T7_T9_mT8_P12ihipStream_tbDpT10_ENKUlT_T0_E_clISt17integral_constantIbLb1EES1E_IbLb0EEEEDaS1A_S1B_EUlS1A_E_NS1_11comp_targetILNS1_3genE10ELNS1_11target_archE1200ELNS1_3gpuE4ELNS1_3repE0EEENS1_30default_config_static_selectorELNS0_4arch9wavefront6targetE0EEEvT1_,"axG",@progbits,_ZN7rocprim17ROCPRIM_400000_NS6detail17trampoline_kernelINS0_14default_configENS1_25partition_config_selectorILNS1_17partition_subalgoE5EdNS0_10empty_typeEbEEZZNS1_14partition_implILS5_5ELb0ES3_mN6thrust23THRUST_200600_302600_NS6detail15normal_iteratorINSA_10device_ptrIdEEEEPS6_NSA_18transform_iteratorINSB_9not_fun_tI7is_trueIdEEENSC_INSD_IbEEEENSA_11use_defaultESO_EENS0_5tupleIJNSA_16discard_iteratorISO_EES6_EEENSQ_IJSG_SG_EEES6_PlJS6_EEE10hipError_tPvRmT3_T4_T5_T6_T7_T9_mT8_P12ihipStream_tbDpT10_ENKUlT_T0_E_clISt17integral_constantIbLb1EES1E_IbLb0EEEEDaS1A_S1B_EUlS1A_E_NS1_11comp_targetILNS1_3genE10ELNS1_11target_archE1200ELNS1_3gpuE4ELNS1_3repE0EEENS1_30default_config_static_selectorELNS0_4arch9wavefront6targetE0EEEvT1_,comdat
	.protected	_ZN7rocprim17ROCPRIM_400000_NS6detail17trampoline_kernelINS0_14default_configENS1_25partition_config_selectorILNS1_17partition_subalgoE5EdNS0_10empty_typeEbEEZZNS1_14partition_implILS5_5ELb0ES3_mN6thrust23THRUST_200600_302600_NS6detail15normal_iteratorINSA_10device_ptrIdEEEEPS6_NSA_18transform_iteratorINSB_9not_fun_tI7is_trueIdEEENSC_INSD_IbEEEENSA_11use_defaultESO_EENS0_5tupleIJNSA_16discard_iteratorISO_EES6_EEENSQ_IJSG_SG_EEES6_PlJS6_EEE10hipError_tPvRmT3_T4_T5_T6_T7_T9_mT8_P12ihipStream_tbDpT10_ENKUlT_T0_E_clISt17integral_constantIbLb1EES1E_IbLb0EEEEDaS1A_S1B_EUlS1A_E_NS1_11comp_targetILNS1_3genE10ELNS1_11target_archE1200ELNS1_3gpuE4ELNS1_3repE0EEENS1_30default_config_static_selectorELNS0_4arch9wavefront6targetE0EEEvT1_ ; -- Begin function _ZN7rocprim17ROCPRIM_400000_NS6detail17trampoline_kernelINS0_14default_configENS1_25partition_config_selectorILNS1_17partition_subalgoE5EdNS0_10empty_typeEbEEZZNS1_14partition_implILS5_5ELb0ES3_mN6thrust23THRUST_200600_302600_NS6detail15normal_iteratorINSA_10device_ptrIdEEEEPS6_NSA_18transform_iteratorINSB_9not_fun_tI7is_trueIdEEENSC_INSD_IbEEEENSA_11use_defaultESO_EENS0_5tupleIJNSA_16discard_iteratorISO_EES6_EEENSQ_IJSG_SG_EEES6_PlJS6_EEE10hipError_tPvRmT3_T4_T5_T6_T7_T9_mT8_P12ihipStream_tbDpT10_ENKUlT_T0_E_clISt17integral_constantIbLb1EES1E_IbLb0EEEEDaS1A_S1B_EUlS1A_E_NS1_11comp_targetILNS1_3genE10ELNS1_11target_archE1200ELNS1_3gpuE4ELNS1_3repE0EEENS1_30default_config_static_selectorELNS0_4arch9wavefront6targetE0EEEvT1_
	.globl	_ZN7rocprim17ROCPRIM_400000_NS6detail17trampoline_kernelINS0_14default_configENS1_25partition_config_selectorILNS1_17partition_subalgoE5EdNS0_10empty_typeEbEEZZNS1_14partition_implILS5_5ELb0ES3_mN6thrust23THRUST_200600_302600_NS6detail15normal_iteratorINSA_10device_ptrIdEEEEPS6_NSA_18transform_iteratorINSB_9not_fun_tI7is_trueIdEEENSC_INSD_IbEEEENSA_11use_defaultESO_EENS0_5tupleIJNSA_16discard_iteratorISO_EES6_EEENSQ_IJSG_SG_EEES6_PlJS6_EEE10hipError_tPvRmT3_T4_T5_T6_T7_T9_mT8_P12ihipStream_tbDpT10_ENKUlT_T0_E_clISt17integral_constantIbLb1EES1E_IbLb0EEEEDaS1A_S1B_EUlS1A_E_NS1_11comp_targetILNS1_3genE10ELNS1_11target_archE1200ELNS1_3gpuE4ELNS1_3repE0EEENS1_30default_config_static_selectorELNS0_4arch9wavefront6targetE0EEEvT1_
	.p2align	8
	.type	_ZN7rocprim17ROCPRIM_400000_NS6detail17trampoline_kernelINS0_14default_configENS1_25partition_config_selectorILNS1_17partition_subalgoE5EdNS0_10empty_typeEbEEZZNS1_14partition_implILS5_5ELb0ES3_mN6thrust23THRUST_200600_302600_NS6detail15normal_iteratorINSA_10device_ptrIdEEEEPS6_NSA_18transform_iteratorINSB_9not_fun_tI7is_trueIdEEENSC_INSD_IbEEEENSA_11use_defaultESO_EENS0_5tupleIJNSA_16discard_iteratorISO_EES6_EEENSQ_IJSG_SG_EEES6_PlJS6_EEE10hipError_tPvRmT3_T4_T5_T6_T7_T9_mT8_P12ihipStream_tbDpT10_ENKUlT_T0_E_clISt17integral_constantIbLb1EES1E_IbLb0EEEEDaS1A_S1B_EUlS1A_E_NS1_11comp_targetILNS1_3genE10ELNS1_11target_archE1200ELNS1_3gpuE4ELNS1_3repE0EEENS1_30default_config_static_selectorELNS0_4arch9wavefront6targetE0EEEvT1_,@function
_ZN7rocprim17ROCPRIM_400000_NS6detail17trampoline_kernelINS0_14default_configENS1_25partition_config_selectorILNS1_17partition_subalgoE5EdNS0_10empty_typeEbEEZZNS1_14partition_implILS5_5ELb0ES3_mN6thrust23THRUST_200600_302600_NS6detail15normal_iteratorINSA_10device_ptrIdEEEEPS6_NSA_18transform_iteratorINSB_9not_fun_tI7is_trueIdEEENSC_INSD_IbEEEENSA_11use_defaultESO_EENS0_5tupleIJNSA_16discard_iteratorISO_EES6_EEENSQ_IJSG_SG_EEES6_PlJS6_EEE10hipError_tPvRmT3_T4_T5_T6_T7_T9_mT8_P12ihipStream_tbDpT10_ENKUlT_T0_E_clISt17integral_constantIbLb1EES1E_IbLb0EEEEDaS1A_S1B_EUlS1A_E_NS1_11comp_targetILNS1_3genE10ELNS1_11target_archE1200ELNS1_3gpuE4ELNS1_3repE0EEENS1_30default_config_static_selectorELNS0_4arch9wavefront6targetE0EEEvT1_: ; @_ZN7rocprim17ROCPRIM_400000_NS6detail17trampoline_kernelINS0_14default_configENS1_25partition_config_selectorILNS1_17partition_subalgoE5EdNS0_10empty_typeEbEEZZNS1_14partition_implILS5_5ELb0ES3_mN6thrust23THRUST_200600_302600_NS6detail15normal_iteratorINSA_10device_ptrIdEEEEPS6_NSA_18transform_iteratorINSB_9not_fun_tI7is_trueIdEEENSC_INSD_IbEEEENSA_11use_defaultESO_EENS0_5tupleIJNSA_16discard_iteratorISO_EES6_EEENSQ_IJSG_SG_EEES6_PlJS6_EEE10hipError_tPvRmT3_T4_T5_T6_T7_T9_mT8_P12ihipStream_tbDpT10_ENKUlT_T0_E_clISt17integral_constantIbLb1EES1E_IbLb0EEEEDaS1A_S1B_EUlS1A_E_NS1_11comp_targetILNS1_3genE10ELNS1_11target_archE1200ELNS1_3gpuE4ELNS1_3repE0EEENS1_30default_config_static_selectorELNS0_4arch9wavefront6targetE0EEEvT1_
; %bb.0:
	s_endpgm
	.section	.rodata,"a",@progbits
	.p2align	6, 0x0
	.amdhsa_kernel _ZN7rocprim17ROCPRIM_400000_NS6detail17trampoline_kernelINS0_14default_configENS1_25partition_config_selectorILNS1_17partition_subalgoE5EdNS0_10empty_typeEbEEZZNS1_14partition_implILS5_5ELb0ES3_mN6thrust23THRUST_200600_302600_NS6detail15normal_iteratorINSA_10device_ptrIdEEEEPS6_NSA_18transform_iteratorINSB_9not_fun_tI7is_trueIdEEENSC_INSD_IbEEEENSA_11use_defaultESO_EENS0_5tupleIJNSA_16discard_iteratorISO_EES6_EEENSQ_IJSG_SG_EEES6_PlJS6_EEE10hipError_tPvRmT3_T4_T5_T6_T7_T9_mT8_P12ihipStream_tbDpT10_ENKUlT_T0_E_clISt17integral_constantIbLb1EES1E_IbLb0EEEEDaS1A_S1B_EUlS1A_E_NS1_11comp_targetILNS1_3genE10ELNS1_11target_archE1200ELNS1_3gpuE4ELNS1_3repE0EEENS1_30default_config_static_selectorELNS0_4arch9wavefront6targetE0EEEvT1_
		.amdhsa_group_segment_fixed_size 0
		.amdhsa_private_segment_fixed_size 0
		.amdhsa_kernarg_size 128
		.amdhsa_user_sgpr_count 2
		.amdhsa_user_sgpr_dispatch_ptr 0
		.amdhsa_user_sgpr_queue_ptr 0
		.amdhsa_user_sgpr_kernarg_segment_ptr 1
		.amdhsa_user_sgpr_dispatch_id 0
		.amdhsa_user_sgpr_private_segment_size 0
		.amdhsa_wavefront_size32 1
		.amdhsa_uses_dynamic_stack 0
		.amdhsa_enable_private_segment 0
		.amdhsa_system_sgpr_workgroup_id_x 1
		.amdhsa_system_sgpr_workgroup_id_y 0
		.amdhsa_system_sgpr_workgroup_id_z 0
		.amdhsa_system_sgpr_workgroup_info 0
		.amdhsa_system_vgpr_workitem_id 0
		.amdhsa_next_free_vgpr 1
		.amdhsa_next_free_sgpr 1
		.amdhsa_reserve_vcc 0
		.amdhsa_float_round_mode_32 0
		.amdhsa_float_round_mode_16_64 0
		.amdhsa_float_denorm_mode_32 3
		.amdhsa_float_denorm_mode_16_64 3
		.amdhsa_fp16_overflow 0
		.amdhsa_workgroup_processor_mode 1
		.amdhsa_memory_ordered 1
		.amdhsa_forward_progress 1
		.amdhsa_inst_pref_size 1
		.amdhsa_round_robin_scheduling 0
		.amdhsa_exception_fp_ieee_invalid_op 0
		.amdhsa_exception_fp_denorm_src 0
		.amdhsa_exception_fp_ieee_div_zero 0
		.amdhsa_exception_fp_ieee_overflow 0
		.amdhsa_exception_fp_ieee_underflow 0
		.amdhsa_exception_fp_ieee_inexact 0
		.amdhsa_exception_int_div_zero 0
	.end_amdhsa_kernel
	.section	.text._ZN7rocprim17ROCPRIM_400000_NS6detail17trampoline_kernelINS0_14default_configENS1_25partition_config_selectorILNS1_17partition_subalgoE5EdNS0_10empty_typeEbEEZZNS1_14partition_implILS5_5ELb0ES3_mN6thrust23THRUST_200600_302600_NS6detail15normal_iteratorINSA_10device_ptrIdEEEEPS6_NSA_18transform_iteratorINSB_9not_fun_tI7is_trueIdEEENSC_INSD_IbEEEENSA_11use_defaultESO_EENS0_5tupleIJNSA_16discard_iteratorISO_EES6_EEENSQ_IJSG_SG_EEES6_PlJS6_EEE10hipError_tPvRmT3_T4_T5_T6_T7_T9_mT8_P12ihipStream_tbDpT10_ENKUlT_T0_E_clISt17integral_constantIbLb1EES1E_IbLb0EEEEDaS1A_S1B_EUlS1A_E_NS1_11comp_targetILNS1_3genE10ELNS1_11target_archE1200ELNS1_3gpuE4ELNS1_3repE0EEENS1_30default_config_static_selectorELNS0_4arch9wavefront6targetE0EEEvT1_,"axG",@progbits,_ZN7rocprim17ROCPRIM_400000_NS6detail17trampoline_kernelINS0_14default_configENS1_25partition_config_selectorILNS1_17partition_subalgoE5EdNS0_10empty_typeEbEEZZNS1_14partition_implILS5_5ELb0ES3_mN6thrust23THRUST_200600_302600_NS6detail15normal_iteratorINSA_10device_ptrIdEEEEPS6_NSA_18transform_iteratorINSB_9not_fun_tI7is_trueIdEEENSC_INSD_IbEEEENSA_11use_defaultESO_EENS0_5tupleIJNSA_16discard_iteratorISO_EES6_EEENSQ_IJSG_SG_EEES6_PlJS6_EEE10hipError_tPvRmT3_T4_T5_T6_T7_T9_mT8_P12ihipStream_tbDpT10_ENKUlT_T0_E_clISt17integral_constantIbLb1EES1E_IbLb0EEEEDaS1A_S1B_EUlS1A_E_NS1_11comp_targetILNS1_3genE10ELNS1_11target_archE1200ELNS1_3gpuE4ELNS1_3repE0EEENS1_30default_config_static_selectorELNS0_4arch9wavefront6targetE0EEEvT1_,comdat
.Lfunc_end2610:
	.size	_ZN7rocprim17ROCPRIM_400000_NS6detail17trampoline_kernelINS0_14default_configENS1_25partition_config_selectorILNS1_17partition_subalgoE5EdNS0_10empty_typeEbEEZZNS1_14partition_implILS5_5ELb0ES3_mN6thrust23THRUST_200600_302600_NS6detail15normal_iteratorINSA_10device_ptrIdEEEEPS6_NSA_18transform_iteratorINSB_9not_fun_tI7is_trueIdEEENSC_INSD_IbEEEENSA_11use_defaultESO_EENS0_5tupleIJNSA_16discard_iteratorISO_EES6_EEENSQ_IJSG_SG_EEES6_PlJS6_EEE10hipError_tPvRmT3_T4_T5_T6_T7_T9_mT8_P12ihipStream_tbDpT10_ENKUlT_T0_E_clISt17integral_constantIbLb1EES1E_IbLb0EEEEDaS1A_S1B_EUlS1A_E_NS1_11comp_targetILNS1_3genE10ELNS1_11target_archE1200ELNS1_3gpuE4ELNS1_3repE0EEENS1_30default_config_static_selectorELNS0_4arch9wavefront6targetE0EEEvT1_, .Lfunc_end2610-_ZN7rocprim17ROCPRIM_400000_NS6detail17trampoline_kernelINS0_14default_configENS1_25partition_config_selectorILNS1_17partition_subalgoE5EdNS0_10empty_typeEbEEZZNS1_14partition_implILS5_5ELb0ES3_mN6thrust23THRUST_200600_302600_NS6detail15normal_iteratorINSA_10device_ptrIdEEEEPS6_NSA_18transform_iteratorINSB_9not_fun_tI7is_trueIdEEENSC_INSD_IbEEEENSA_11use_defaultESO_EENS0_5tupleIJNSA_16discard_iteratorISO_EES6_EEENSQ_IJSG_SG_EEES6_PlJS6_EEE10hipError_tPvRmT3_T4_T5_T6_T7_T9_mT8_P12ihipStream_tbDpT10_ENKUlT_T0_E_clISt17integral_constantIbLb1EES1E_IbLb0EEEEDaS1A_S1B_EUlS1A_E_NS1_11comp_targetILNS1_3genE10ELNS1_11target_archE1200ELNS1_3gpuE4ELNS1_3repE0EEENS1_30default_config_static_selectorELNS0_4arch9wavefront6targetE0EEEvT1_
                                        ; -- End function
	.set _ZN7rocprim17ROCPRIM_400000_NS6detail17trampoline_kernelINS0_14default_configENS1_25partition_config_selectorILNS1_17partition_subalgoE5EdNS0_10empty_typeEbEEZZNS1_14partition_implILS5_5ELb0ES3_mN6thrust23THRUST_200600_302600_NS6detail15normal_iteratorINSA_10device_ptrIdEEEEPS6_NSA_18transform_iteratorINSB_9not_fun_tI7is_trueIdEEENSC_INSD_IbEEEENSA_11use_defaultESO_EENS0_5tupleIJNSA_16discard_iteratorISO_EES6_EEENSQ_IJSG_SG_EEES6_PlJS6_EEE10hipError_tPvRmT3_T4_T5_T6_T7_T9_mT8_P12ihipStream_tbDpT10_ENKUlT_T0_E_clISt17integral_constantIbLb1EES1E_IbLb0EEEEDaS1A_S1B_EUlS1A_E_NS1_11comp_targetILNS1_3genE10ELNS1_11target_archE1200ELNS1_3gpuE4ELNS1_3repE0EEENS1_30default_config_static_selectorELNS0_4arch9wavefront6targetE0EEEvT1_.num_vgpr, 0
	.set _ZN7rocprim17ROCPRIM_400000_NS6detail17trampoline_kernelINS0_14default_configENS1_25partition_config_selectorILNS1_17partition_subalgoE5EdNS0_10empty_typeEbEEZZNS1_14partition_implILS5_5ELb0ES3_mN6thrust23THRUST_200600_302600_NS6detail15normal_iteratorINSA_10device_ptrIdEEEEPS6_NSA_18transform_iteratorINSB_9not_fun_tI7is_trueIdEEENSC_INSD_IbEEEENSA_11use_defaultESO_EENS0_5tupleIJNSA_16discard_iteratorISO_EES6_EEENSQ_IJSG_SG_EEES6_PlJS6_EEE10hipError_tPvRmT3_T4_T5_T6_T7_T9_mT8_P12ihipStream_tbDpT10_ENKUlT_T0_E_clISt17integral_constantIbLb1EES1E_IbLb0EEEEDaS1A_S1B_EUlS1A_E_NS1_11comp_targetILNS1_3genE10ELNS1_11target_archE1200ELNS1_3gpuE4ELNS1_3repE0EEENS1_30default_config_static_selectorELNS0_4arch9wavefront6targetE0EEEvT1_.num_agpr, 0
	.set _ZN7rocprim17ROCPRIM_400000_NS6detail17trampoline_kernelINS0_14default_configENS1_25partition_config_selectorILNS1_17partition_subalgoE5EdNS0_10empty_typeEbEEZZNS1_14partition_implILS5_5ELb0ES3_mN6thrust23THRUST_200600_302600_NS6detail15normal_iteratorINSA_10device_ptrIdEEEEPS6_NSA_18transform_iteratorINSB_9not_fun_tI7is_trueIdEEENSC_INSD_IbEEEENSA_11use_defaultESO_EENS0_5tupleIJNSA_16discard_iteratorISO_EES6_EEENSQ_IJSG_SG_EEES6_PlJS6_EEE10hipError_tPvRmT3_T4_T5_T6_T7_T9_mT8_P12ihipStream_tbDpT10_ENKUlT_T0_E_clISt17integral_constantIbLb1EES1E_IbLb0EEEEDaS1A_S1B_EUlS1A_E_NS1_11comp_targetILNS1_3genE10ELNS1_11target_archE1200ELNS1_3gpuE4ELNS1_3repE0EEENS1_30default_config_static_selectorELNS0_4arch9wavefront6targetE0EEEvT1_.numbered_sgpr, 0
	.set _ZN7rocprim17ROCPRIM_400000_NS6detail17trampoline_kernelINS0_14default_configENS1_25partition_config_selectorILNS1_17partition_subalgoE5EdNS0_10empty_typeEbEEZZNS1_14partition_implILS5_5ELb0ES3_mN6thrust23THRUST_200600_302600_NS6detail15normal_iteratorINSA_10device_ptrIdEEEEPS6_NSA_18transform_iteratorINSB_9not_fun_tI7is_trueIdEEENSC_INSD_IbEEEENSA_11use_defaultESO_EENS0_5tupleIJNSA_16discard_iteratorISO_EES6_EEENSQ_IJSG_SG_EEES6_PlJS6_EEE10hipError_tPvRmT3_T4_T5_T6_T7_T9_mT8_P12ihipStream_tbDpT10_ENKUlT_T0_E_clISt17integral_constantIbLb1EES1E_IbLb0EEEEDaS1A_S1B_EUlS1A_E_NS1_11comp_targetILNS1_3genE10ELNS1_11target_archE1200ELNS1_3gpuE4ELNS1_3repE0EEENS1_30default_config_static_selectorELNS0_4arch9wavefront6targetE0EEEvT1_.num_named_barrier, 0
	.set _ZN7rocprim17ROCPRIM_400000_NS6detail17trampoline_kernelINS0_14default_configENS1_25partition_config_selectorILNS1_17partition_subalgoE5EdNS0_10empty_typeEbEEZZNS1_14partition_implILS5_5ELb0ES3_mN6thrust23THRUST_200600_302600_NS6detail15normal_iteratorINSA_10device_ptrIdEEEEPS6_NSA_18transform_iteratorINSB_9not_fun_tI7is_trueIdEEENSC_INSD_IbEEEENSA_11use_defaultESO_EENS0_5tupleIJNSA_16discard_iteratorISO_EES6_EEENSQ_IJSG_SG_EEES6_PlJS6_EEE10hipError_tPvRmT3_T4_T5_T6_T7_T9_mT8_P12ihipStream_tbDpT10_ENKUlT_T0_E_clISt17integral_constantIbLb1EES1E_IbLb0EEEEDaS1A_S1B_EUlS1A_E_NS1_11comp_targetILNS1_3genE10ELNS1_11target_archE1200ELNS1_3gpuE4ELNS1_3repE0EEENS1_30default_config_static_selectorELNS0_4arch9wavefront6targetE0EEEvT1_.private_seg_size, 0
	.set _ZN7rocprim17ROCPRIM_400000_NS6detail17trampoline_kernelINS0_14default_configENS1_25partition_config_selectorILNS1_17partition_subalgoE5EdNS0_10empty_typeEbEEZZNS1_14partition_implILS5_5ELb0ES3_mN6thrust23THRUST_200600_302600_NS6detail15normal_iteratorINSA_10device_ptrIdEEEEPS6_NSA_18transform_iteratorINSB_9not_fun_tI7is_trueIdEEENSC_INSD_IbEEEENSA_11use_defaultESO_EENS0_5tupleIJNSA_16discard_iteratorISO_EES6_EEENSQ_IJSG_SG_EEES6_PlJS6_EEE10hipError_tPvRmT3_T4_T5_T6_T7_T9_mT8_P12ihipStream_tbDpT10_ENKUlT_T0_E_clISt17integral_constantIbLb1EES1E_IbLb0EEEEDaS1A_S1B_EUlS1A_E_NS1_11comp_targetILNS1_3genE10ELNS1_11target_archE1200ELNS1_3gpuE4ELNS1_3repE0EEENS1_30default_config_static_selectorELNS0_4arch9wavefront6targetE0EEEvT1_.uses_vcc, 0
	.set _ZN7rocprim17ROCPRIM_400000_NS6detail17trampoline_kernelINS0_14default_configENS1_25partition_config_selectorILNS1_17partition_subalgoE5EdNS0_10empty_typeEbEEZZNS1_14partition_implILS5_5ELb0ES3_mN6thrust23THRUST_200600_302600_NS6detail15normal_iteratorINSA_10device_ptrIdEEEEPS6_NSA_18transform_iteratorINSB_9not_fun_tI7is_trueIdEEENSC_INSD_IbEEEENSA_11use_defaultESO_EENS0_5tupleIJNSA_16discard_iteratorISO_EES6_EEENSQ_IJSG_SG_EEES6_PlJS6_EEE10hipError_tPvRmT3_T4_T5_T6_T7_T9_mT8_P12ihipStream_tbDpT10_ENKUlT_T0_E_clISt17integral_constantIbLb1EES1E_IbLb0EEEEDaS1A_S1B_EUlS1A_E_NS1_11comp_targetILNS1_3genE10ELNS1_11target_archE1200ELNS1_3gpuE4ELNS1_3repE0EEENS1_30default_config_static_selectorELNS0_4arch9wavefront6targetE0EEEvT1_.uses_flat_scratch, 0
	.set _ZN7rocprim17ROCPRIM_400000_NS6detail17trampoline_kernelINS0_14default_configENS1_25partition_config_selectorILNS1_17partition_subalgoE5EdNS0_10empty_typeEbEEZZNS1_14partition_implILS5_5ELb0ES3_mN6thrust23THRUST_200600_302600_NS6detail15normal_iteratorINSA_10device_ptrIdEEEEPS6_NSA_18transform_iteratorINSB_9not_fun_tI7is_trueIdEEENSC_INSD_IbEEEENSA_11use_defaultESO_EENS0_5tupleIJNSA_16discard_iteratorISO_EES6_EEENSQ_IJSG_SG_EEES6_PlJS6_EEE10hipError_tPvRmT3_T4_T5_T6_T7_T9_mT8_P12ihipStream_tbDpT10_ENKUlT_T0_E_clISt17integral_constantIbLb1EES1E_IbLb0EEEEDaS1A_S1B_EUlS1A_E_NS1_11comp_targetILNS1_3genE10ELNS1_11target_archE1200ELNS1_3gpuE4ELNS1_3repE0EEENS1_30default_config_static_selectorELNS0_4arch9wavefront6targetE0EEEvT1_.has_dyn_sized_stack, 0
	.set _ZN7rocprim17ROCPRIM_400000_NS6detail17trampoline_kernelINS0_14default_configENS1_25partition_config_selectorILNS1_17partition_subalgoE5EdNS0_10empty_typeEbEEZZNS1_14partition_implILS5_5ELb0ES3_mN6thrust23THRUST_200600_302600_NS6detail15normal_iteratorINSA_10device_ptrIdEEEEPS6_NSA_18transform_iteratorINSB_9not_fun_tI7is_trueIdEEENSC_INSD_IbEEEENSA_11use_defaultESO_EENS0_5tupleIJNSA_16discard_iteratorISO_EES6_EEENSQ_IJSG_SG_EEES6_PlJS6_EEE10hipError_tPvRmT3_T4_T5_T6_T7_T9_mT8_P12ihipStream_tbDpT10_ENKUlT_T0_E_clISt17integral_constantIbLb1EES1E_IbLb0EEEEDaS1A_S1B_EUlS1A_E_NS1_11comp_targetILNS1_3genE10ELNS1_11target_archE1200ELNS1_3gpuE4ELNS1_3repE0EEENS1_30default_config_static_selectorELNS0_4arch9wavefront6targetE0EEEvT1_.has_recursion, 0
	.set _ZN7rocprim17ROCPRIM_400000_NS6detail17trampoline_kernelINS0_14default_configENS1_25partition_config_selectorILNS1_17partition_subalgoE5EdNS0_10empty_typeEbEEZZNS1_14partition_implILS5_5ELb0ES3_mN6thrust23THRUST_200600_302600_NS6detail15normal_iteratorINSA_10device_ptrIdEEEEPS6_NSA_18transform_iteratorINSB_9not_fun_tI7is_trueIdEEENSC_INSD_IbEEEENSA_11use_defaultESO_EENS0_5tupleIJNSA_16discard_iteratorISO_EES6_EEENSQ_IJSG_SG_EEES6_PlJS6_EEE10hipError_tPvRmT3_T4_T5_T6_T7_T9_mT8_P12ihipStream_tbDpT10_ENKUlT_T0_E_clISt17integral_constantIbLb1EES1E_IbLb0EEEEDaS1A_S1B_EUlS1A_E_NS1_11comp_targetILNS1_3genE10ELNS1_11target_archE1200ELNS1_3gpuE4ELNS1_3repE0EEENS1_30default_config_static_selectorELNS0_4arch9wavefront6targetE0EEEvT1_.has_indirect_call, 0
	.section	.AMDGPU.csdata,"",@progbits
; Kernel info:
; codeLenInByte = 4
; TotalNumSgprs: 0
; NumVgprs: 0
; ScratchSize: 0
; MemoryBound: 0
; FloatMode: 240
; IeeeMode: 1
; LDSByteSize: 0 bytes/workgroup (compile time only)
; SGPRBlocks: 0
; VGPRBlocks: 0
; NumSGPRsForWavesPerEU: 1
; NumVGPRsForWavesPerEU: 1
; Occupancy: 16
; WaveLimiterHint : 0
; COMPUTE_PGM_RSRC2:SCRATCH_EN: 0
; COMPUTE_PGM_RSRC2:USER_SGPR: 2
; COMPUTE_PGM_RSRC2:TRAP_HANDLER: 0
; COMPUTE_PGM_RSRC2:TGID_X_EN: 1
; COMPUTE_PGM_RSRC2:TGID_Y_EN: 0
; COMPUTE_PGM_RSRC2:TGID_Z_EN: 0
; COMPUTE_PGM_RSRC2:TIDIG_COMP_CNT: 0
	.section	.text._ZN7rocprim17ROCPRIM_400000_NS6detail17trampoline_kernelINS0_14default_configENS1_25partition_config_selectorILNS1_17partition_subalgoE5EdNS0_10empty_typeEbEEZZNS1_14partition_implILS5_5ELb0ES3_mN6thrust23THRUST_200600_302600_NS6detail15normal_iteratorINSA_10device_ptrIdEEEEPS6_NSA_18transform_iteratorINSB_9not_fun_tI7is_trueIdEEENSC_INSD_IbEEEENSA_11use_defaultESO_EENS0_5tupleIJNSA_16discard_iteratorISO_EES6_EEENSQ_IJSG_SG_EEES6_PlJS6_EEE10hipError_tPvRmT3_T4_T5_T6_T7_T9_mT8_P12ihipStream_tbDpT10_ENKUlT_T0_E_clISt17integral_constantIbLb1EES1E_IbLb0EEEEDaS1A_S1B_EUlS1A_E_NS1_11comp_targetILNS1_3genE9ELNS1_11target_archE1100ELNS1_3gpuE3ELNS1_3repE0EEENS1_30default_config_static_selectorELNS0_4arch9wavefront6targetE0EEEvT1_,"axG",@progbits,_ZN7rocprim17ROCPRIM_400000_NS6detail17trampoline_kernelINS0_14default_configENS1_25partition_config_selectorILNS1_17partition_subalgoE5EdNS0_10empty_typeEbEEZZNS1_14partition_implILS5_5ELb0ES3_mN6thrust23THRUST_200600_302600_NS6detail15normal_iteratorINSA_10device_ptrIdEEEEPS6_NSA_18transform_iteratorINSB_9not_fun_tI7is_trueIdEEENSC_INSD_IbEEEENSA_11use_defaultESO_EENS0_5tupleIJNSA_16discard_iteratorISO_EES6_EEENSQ_IJSG_SG_EEES6_PlJS6_EEE10hipError_tPvRmT3_T4_T5_T6_T7_T9_mT8_P12ihipStream_tbDpT10_ENKUlT_T0_E_clISt17integral_constantIbLb1EES1E_IbLb0EEEEDaS1A_S1B_EUlS1A_E_NS1_11comp_targetILNS1_3genE9ELNS1_11target_archE1100ELNS1_3gpuE3ELNS1_3repE0EEENS1_30default_config_static_selectorELNS0_4arch9wavefront6targetE0EEEvT1_,comdat
	.protected	_ZN7rocprim17ROCPRIM_400000_NS6detail17trampoline_kernelINS0_14default_configENS1_25partition_config_selectorILNS1_17partition_subalgoE5EdNS0_10empty_typeEbEEZZNS1_14partition_implILS5_5ELb0ES3_mN6thrust23THRUST_200600_302600_NS6detail15normal_iteratorINSA_10device_ptrIdEEEEPS6_NSA_18transform_iteratorINSB_9not_fun_tI7is_trueIdEEENSC_INSD_IbEEEENSA_11use_defaultESO_EENS0_5tupleIJNSA_16discard_iteratorISO_EES6_EEENSQ_IJSG_SG_EEES6_PlJS6_EEE10hipError_tPvRmT3_T4_T5_T6_T7_T9_mT8_P12ihipStream_tbDpT10_ENKUlT_T0_E_clISt17integral_constantIbLb1EES1E_IbLb0EEEEDaS1A_S1B_EUlS1A_E_NS1_11comp_targetILNS1_3genE9ELNS1_11target_archE1100ELNS1_3gpuE3ELNS1_3repE0EEENS1_30default_config_static_selectorELNS0_4arch9wavefront6targetE0EEEvT1_ ; -- Begin function _ZN7rocprim17ROCPRIM_400000_NS6detail17trampoline_kernelINS0_14default_configENS1_25partition_config_selectorILNS1_17partition_subalgoE5EdNS0_10empty_typeEbEEZZNS1_14partition_implILS5_5ELb0ES3_mN6thrust23THRUST_200600_302600_NS6detail15normal_iteratorINSA_10device_ptrIdEEEEPS6_NSA_18transform_iteratorINSB_9not_fun_tI7is_trueIdEEENSC_INSD_IbEEEENSA_11use_defaultESO_EENS0_5tupleIJNSA_16discard_iteratorISO_EES6_EEENSQ_IJSG_SG_EEES6_PlJS6_EEE10hipError_tPvRmT3_T4_T5_T6_T7_T9_mT8_P12ihipStream_tbDpT10_ENKUlT_T0_E_clISt17integral_constantIbLb1EES1E_IbLb0EEEEDaS1A_S1B_EUlS1A_E_NS1_11comp_targetILNS1_3genE9ELNS1_11target_archE1100ELNS1_3gpuE3ELNS1_3repE0EEENS1_30default_config_static_selectorELNS0_4arch9wavefront6targetE0EEEvT1_
	.globl	_ZN7rocprim17ROCPRIM_400000_NS6detail17trampoline_kernelINS0_14default_configENS1_25partition_config_selectorILNS1_17partition_subalgoE5EdNS0_10empty_typeEbEEZZNS1_14partition_implILS5_5ELb0ES3_mN6thrust23THRUST_200600_302600_NS6detail15normal_iteratorINSA_10device_ptrIdEEEEPS6_NSA_18transform_iteratorINSB_9not_fun_tI7is_trueIdEEENSC_INSD_IbEEEENSA_11use_defaultESO_EENS0_5tupleIJNSA_16discard_iteratorISO_EES6_EEENSQ_IJSG_SG_EEES6_PlJS6_EEE10hipError_tPvRmT3_T4_T5_T6_T7_T9_mT8_P12ihipStream_tbDpT10_ENKUlT_T0_E_clISt17integral_constantIbLb1EES1E_IbLb0EEEEDaS1A_S1B_EUlS1A_E_NS1_11comp_targetILNS1_3genE9ELNS1_11target_archE1100ELNS1_3gpuE3ELNS1_3repE0EEENS1_30default_config_static_selectorELNS0_4arch9wavefront6targetE0EEEvT1_
	.p2align	8
	.type	_ZN7rocprim17ROCPRIM_400000_NS6detail17trampoline_kernelINS0_14default_configENS1_25partition_config_selectorILNS1_17partition_subalgoE5EdNS0_10empty_typeEbEEZZNS1_14partition_implILS5_5ELb0ES3_mN6thrust23THRUST_200600_302600_NS6detail15normal_iteratorINSA_10device_ptrIdEEEEPS6_NSA_18transform_iteratorINSB_9not_fun_tI7is_trueIdEEENSC_INSD_IbEEEENSA_11use_defaultESO_EENS0_5tupleIJNSA_16discard_iteratorISO_EES6_EEENSQ_IJSG_SG_EEES6_PlJS6_EEE10hipError_tPvRmT3_T4_T5_T6_T7_T9_mT8_P12ihipStream_tbDpT10_ENKUlT_T0_E_clISt17integral_constantIbLb1EES1E_IbLb0EEEEDaS1A_S1B_EUlS1A_E_NS1_11comp_targetILNS1_3genE9ELNS1_11target_archE1100ELNS1_3gpuE3ELNS1_3repE0EEENS1_30default_config_static_selectorELNS0_4arch9wavefront6targetE0EEEvT1_,@function
_ZN7rocprim17ROCPRIM_400000_NS6detail17trampoline_kernelINS0_14default_configENS1_25partition_config_selectorILNS1_17partition_subalgoE5EdNS0_10empty_typeEbEEZZNS1_14partition_implILS5_5ELb0ES3_mN6thrust23THRUST_200600_302600_NS6detail15normal_iteratorINSA_10device_ptrIdEEEEPS6_NSA_18transform_iteratorINSB_9not_fun_tI7is_trueIdEEENSC_INSD_IbEEEENSA_11use_defaultESO_EENS0_5tupleIJNSA_16discard_iteratorISO_EES6_EEENSQ_IJSG_SG_EEES6_PlJS6_EEE10hipError_tPvRmT3_T4_T5_T6_T7_T9_mT8_P12ihipStream_tbDpT10_ENKUlT_T0_E_clISt17integral_constantIbLb1EES1E_IbLb0EEEEDaS1A_S1B_EUlS1A_E_NS1_11comp_targetILNS1_3genE9ELNS1_11target_archE1100ELNS1_3gpuE3ELNS1_3repE0EEENS1_30default_config_static_selectorELNS0_4arch9wavefront6targetE0EEEvT1_: ; @_ZN7rocprim17ROCPRIM_400000_NS6detail17trampoline_kernelINS0_14default_configENS1_25partition_config_selectorILNS1_17partition_subalgoE5EdNS0_10empty_typeEbEEZZNS1_14partition_implILS5_5ELb0ES3_mN6thrust23THRUST_200600_302600_NS6detail15normal_iteratorINSA_10device_ptrIdEEEEPS6_NSA_18transform_iteratorINSB_9not_fun_tI7is_trueIdEEENSC_INSD_IbEEEENSA_11use_defaultESO_EENS0_5tupleIJNSA_16discard_iteratorISO_EES6_EEENSQ_IJSG_SG_EEES6_PlJS6_EEE10hipError_tPvRmT3_T4_T5_T6_T7_T9_mT8_P12ihipStream_tbDpT10_ENKUlT_T0_E_clISt17integral_constantIbLb1EES1E_IbLb0EEEEDaS1A_S1B_EUlS1A_E_NS1_11comp_targetILNS1_3genE9ELNS1_11target_archE1100ELNS1_3gpuE3ELNS1_3repE0EEENS1_30default_config_static_selectorELNS0_4arch9wavefront6targetE0EEEvT1_
; %bb.0:
	.section	.rodata,"a",@progbits
	.p2align	6, 0x0
	.amdhsa_kernel _ZN7rocprim17ROCPRIM_400000_NS6detail17trampoline_kernelINS0_14default_configENS1_25partition_config_selectorILNS1_17partition_subalgoE5EdNS0_10empty_typeEbEEZZNS1_14partition_implILS5_5ELb0ES3_mN6thrust23THRUST_200600_302600_NS6detail15normal_iteratorINSA_10device_ptrIdEEEEPS6_NSA_18transform_iteratorINSB_9not_fun_tI7is_trueIdEEENSC_INSD_IbEEEENSA_11use_defaultESO_EENS0_5tupleIJNSA_16discard_iteratorISO_EES6_EEENSQ_IJSG_SG_EEES6_PlJS6_EEE10hipError_tPvRmT3_T4_T5_T6_T7_T9_mT8_P12ihipStream_tbDpT10_ENKUlT_T0_E_clISt17integral_constantIbLb1EES1E_IbLb0EEEEDaS1A_S1B_EUlS1A_E_NS1_11comp_targetILNS1_3genE9ELNS1_11target_archE1100ELNS1_3gpuE3ELNS1_3repE0EEENS1_30default_config_static_selectorELNS0_4arch9wavefront6targetE0EEEvT1_
		.amdhsa_group_segment_fixed_size 0
		.amdhsa_private_segment_fixed_size 0
		.amdhsa_kernarg_size 128
		.amdhsa_user_sgpr_count 2
		.amdhsa_user_sgpr_dispatch_ptr 0
		.amdhsa_user_sgpr_queue_ptr 0
		.amdhsa_user_sgpr_kernarg_segment_ptr 1
		.amdhsa_user_sgpr_dispatch_id 0
		.amdhsa_user_sgpr_private_segment_size 0
		.amdhsa_wavefront_size32 1
		.amdhsa_uses_dynamic_stack 0
		.amdhsa_enable_private_segment 0
		.amdhsa_system_sgpr_workgroup_id_x 1
		.amdhsa_system_sgpr_workgroup_id_y 0
		.amdhsa_system_sgpr_workgroup_id_z 0
		.amdhsa_system_sgpr_workgroup_info 0
		.amdhsa_system_vgpr_workitem_id 0
		.amdhsa_next_free_vgpr 1
		.amdhsa_next_free_sgpr 1
		.amdhsa_reserve_vcc 0
		.amdhsa_float_round_mode_32 0
		.amdhsa_float_round_mode_16_64 0
		.amdhsa_float_denorm_mode_32 3
		.amdhsa_float_denorm_mode_16_64 3
		.amdhsa_fp16_overflow 0
		.amdhsa_workgroup_processor_mode 1
		.amdhsa_memory_ordered 1
		.amdhsa_forward_progress 1
		.amdhsa_inst_pref_size 0
		.amdhsa_round_robin_scheduling 0
		.amdhsa_exception_fp_ieee_invalid_op 0
		.amdhsa_exception_fp_denorm_src 0
		.amdhsa_exception_fp_ieee_div_zero 0
		.amdhsa_exception_fp_ieee_overflow 0
		.amdhsa_exception_fp_ieee_underflow 0
		.amdhsa_exception_fp_ieee_inexact 0
		.amdhsa_exception_int_div_zero 0
	.end_amdhsa_kernel
	.section	.text._ZN7rocprim17ROCPRIM_400000_NS6detail17trampoline_kernelINS0_14default_configENS1_25partition_config_selectorILNS1_17partition_subalgoE5EdNS0_10empty_typeEbEEZZNS1_14partition_implILS5_5ELb0ES3_mN6thrust23THRUST_200600_302600_NS6detail15normal_iteratorINSA_10device_ptrIdEEEEPS6_NSA_18transform_iteratorINSB_9not_fun_tI7is_trueIdEEENSC_INSD_IbEEEENSA_11use_defaultESO_EENS0_5tupleIJNSA_16discard_iteratorISO_EES6_EEENSQ_IJSG_SG_EEES6_PlJS6_EEE10hipError_tPvRmT3_T4_T5_T6_T7_T9_mT8_P12ihipStream_tbDpT10_ENKUlT_T0_E_clISt17integral_constantIbLb1EES1E_IbLb0EEEEDaS1A_S1B_EUlS1A_E_NS1_11comp_targetILNS1_3genE9ELNS1_11target_archE1100ELNS1_3gpuE3ELNS1_3repE0EEENS1_30default_config_static_selectorELNS0_4arch9wavefront6targetE0EEEvT1_,"axG",@progbits,_ZN7rocprim17ROCPRIM_400000_NS6detail17trampoline_kernelINS0_14default_configENS1_25partition_config_selectorILNS1_17partition_subalgoE5EdNS0_10empty_typeEbEEZZNS1_14partition_implILS5_5ELb0ES3_mN6thrust23THRUST_200600_302600_NS6detail15normal_iteratorINSA_10device_ptrIdEEEEPS6_NSA_18transform_iteratorINSB_9not_fun_tI7is_trueIdEEENSC_INSD_IbEEEENSA_11use_defaultESO_EENS0_5tupleIJNSA_16discard_iteratorISO_EES6_EEENSQ_IJSG_SG_EEES6_PlJS6_EEE10hipError_tPvRmT3_T4_T5_T6_T7_T9_mT8_P12ihipStream_tbDpT10_ENKUlT_T0_E_clISt17integral_constantIbLb1EES1E_IbLb0EEEEDaS1A_S1B_EUlS1A_E_NS1_11comp_targetILNS1_3genE9ELNS1_11target_archE1100ELNS1_3gpuE3ELNS1_3repE0EEENS1_30default_config_static_selectorELNS0_4arch9wavefront6targetE0EEEvT1_,comdat
.Lfunc_end2611:
	.size	_ZN7rocprim17ROCPRIM_400000_NS6detail17trampoline_kernelINS0_14default_configENS1_25partition_config_selectorILNS1_17partition_subalgoE5EdNS0_10empty_typeEbEEZZNS1_14partition_implILS5_5ELb0ES3_mN6thrust23THRUST_200600_302600_NS6detail15normal_iteratorINSA_10device_ptrIdEEEEPS6_NSA_18transform_iteratorINSB_9not_fun_tI7is_trueIdEEENSC_INSD_IbEEEENSA_11use_defaultESO_EENS0_5tupleIJNSA_16discard_iteratorISO_EES6_EEENSQ_IJSG_SG_EEES6_PlJS6_EEE10hipError_tPvRmT3_T4_T5_T6_T7_T9_mT8_P12ihipStream_tbDpT10_ENKUlT_T0_E_clISt17integral_constantIbLb1EES1E_IbLb0EEEEDaS1A_S1B_EUlS1A_E_NS1_11comp_targetILNS1_3genE9ELNS1_11target_archE1100ELNS1_3gpuE3ELNS1_3repE0EEENS1_30default_config_static_selectorELNS0_4arch9wavefront6targetE0EEEvT1_, .Lfunc_end2611-_ZN7rocprim17ROCPRIM_400000_NS6detail17trampoline_kernelINS0_14default_configENS1_25partition_config_selectorILNS1_17partition_subalgoE5EdNS0_10empty_typeEbEEZZNS1_14partition_implILS5_5ELb0ES3_mN6thrust23THRUST_200600_302600_NS6detail15normal_iteratorINSA_10device_ptrIdEEEEPS6_NSA_18transform_iteratorINSB_9not_fun_tI7is_trueIdEEENSC_INSD_IbEEEENSA_11use_defaultESO_EENS0_5tupleIJNSA_16discard_iteratorISO_EES6_EEENSQ_IJSG_SG_EEES6_PlJS6_EEE10hipError_tPvRmT3_T4_T5_T6_T7_T9_mT8_P12ihipStream_tbDpT10_ENKUlT_T0_E_clISt17integral_constantIbLb1EES1E_IbLb0EEEEDaS1A_S1B_EUlS1A_E_NS1_11comp_targetILNS1_3genE9ELNS1_11target_archE1100ELNS1_3gpuE3ELNS1_3repE0EEENS1_30default_config_static_selectorELNS0_4arch9wavefront6targetE0EEEvT1_
                                        ; -- End function
	.set _ZN7rocprim17ROCPRIM_400000_NS6detail17trampoline_kernelINS0_14default_configENS1_25partition_config_selectorILNS1_17partition_subalgoE5EdNS0_10empty_typeEbEEZZNS1_14partition_implILS5_5ELb0ES3_mN6thrust23THRUST_200600_302600_NS6detail15normal_iteratorINSA_10device_ptrIdEEEEPS6_NSA_18transform_iteratorINSB_9not_fun_tI7is_trueIdEEENSC_INSD_IbEEEENSA_11use_defaultESO_EENS0_5tupleIJNSA_16discard_iteratorISO_EES6_EEENSQ_IJSG_SG_EEES6_PlJS6_EEE10hipError_tPvRmT3_T4_T5_T6_T7_T9_mT8_P12ihipStream_tbDpT10_ENKUlT_T0_E_clISt17integral_constantIbLb1EES1E_IbLb0EEEEDaS1A_S1B_EUlS1A_E_NS1_11comp_targetILNS1_3genE9ELNS1_11target_archE1100ELNS1_3gpuE3ELNS1_3repE0EEENS1_30default_config_static_selectorELNS0_4arch9wavefront6targetE0EEEvT1_.num_vgpr, 0
	.set _ZN7rocprim17ROCPRIM_400000_NS6detail17trampoline_kernelINS0_14default_configENS1_25partition_config_selectorILNS1_17partition_subalgoE5EdNS0_10empty_typeEbEEZZNS1_14partition_implILS5_5ELb0ES3_mN6thrust23THRUST_200600_302600_NS6detail15normal_iteratorINSA_10device_ptrIdEEEEPS6_NSA_18transform_iteratorINSB_9not_fun_tI7is_trueIdEEENSC_INSD_IbEEEENSA_11use_defaultESO_EENS0_5tupleIJNSA_16discard_iteratorISO_EES6_EEENSQ_IJSG_SG_EEES6_PlJS6_EEE10hipError_tPvRmT3_T4_T5_T6_T7_T9_mT8_P12ihipStream_tbDpT10_ENKUlT_T0_E_clISt17integral_constantIbLb1EES1E_IbLb0EEEEDaS1A_S1B_EUlS1A_E_NS1_11comp_targetILNS1_3genE9ELNS1_11target_archE1100ELNS1_3gpuE3ELNS1_3repE0EEENS1_30default_config_static_selectorELNS0_4arch9wavefront6targetE0EEEvT1_.num_agpr, 0
	.set _ZN7rocprim17ROCPRIM_400000_NS6detail17trampoline_kernelINS0_14default_configENS1_25partition_config_selectorILNS1_17partition_subalgoE5EdNS0_10empty_typeEbEEZZNS1_14partition_implILS5_5ELb0ES3_mN6thrust23THRUST_200600_302600_NS6detail15normal_iteratorINSA_10device_ptrIdEEEEPS6_NSA_18transform_iteratorINSB_9not_fun_tI7is_trueIdEEENSC_INSD_IbEEEENSA_11use_defaultESO_EENS0_5tupleIJNSA_16discard_iteratorISO_EES6_EEENSQ_IJSG_SG_EEES6_PlJS6_EEE10hipError_tPvRmT3_T4_T5_T6_T7_T9_mT8_P12ihipStream_tbDpT10_ENKUlT_T0_E_clISt17integral_constantIbLb1EES1E_IbLb0EEEEDaS1A_S1B_EUlS1A_E_NS1_11comp_targetILNS1_3genE9ELNS1_11target_archE1100ELNS1_3gpuE3ELNS1_3repE0EEENS1_30default_config_static_selectorELNS0_4arch9wavefront6targetE0EEEvT1_.numbered_sgpr, 0
	.set _ZN7rocprim17ROCPRIM_400000_NS6detail17trampoline_kernelINS0_14default_configENS1_25partition_config_selectorILNS1_17partition_subalgoE5EdNS0_10empty_typeEbEEZZNS1_14partition_implILS5_5ELb0ES3_mN6thrust23THRUST_200600_302600_NS6detail15normal_iteratorINSA_10device_ptrIdEEEEPS6_NSA_18transform_iteratorINSB_9not_fun_tI7is_trueIdEEENSC_INSD_IbEEEENSA_11use_defaultESO_EENS0_5tupleIJNSA_16discard_iteratorISO_EES6_EEENSQ_IJSG_SG_EEES6_PlJS6_EEE10hipError_tPvRmT3_T4_T5_T6_T7_T9_mT8_P12ihipStream_tbDpT10_ENKUlT_T0_E_clISt17integral_constantIbLb1EES1E_IbLb0EEEEDaS1A_S1B_EUlS1A_E_NS1_11comp_targetILNS1_3genE9ELNS1_11target_archE1100ELNS1_3gpuE3ELNS1_3repE0EEENS1_30default_config_static_selectorELNS0_4arch9wavefront6targetE0EEEvT1_.num_named_barrier, 0
	.set _ZN7rocprim17ROCPRIM_400000_NS6detail17trampoline_kernelINS0_14default_configENS1_25partition_config_selectorILNS1_17partition_subalgoE5EdNS0_10empty_typeEbEEZZNS1_14partition_implILS5_5ELb0ES3_mN6thrust23THRUST_200600_302600_NS6detail15normal_iteratorINSA_10device_ptrIdEEEEPS6_NSA_18transform_iteratorINSB_9not_fun_tI7is_trueIdEEENSC_INSD_IbEEEENSA_11use_defaultESO_EENS0_5tupleIJNSA_16discard_iteratorISO_EES6_EEENSQ_IJSG_SG_EEES6_PlJS6_EEE10hipError_tPvRmT3_T4_T5_T6_T7_T9_mT8_P12ihipStream_tbDpT10_ENKUlT_T0_E_clISt17integral_constantIbLb1EES1E_IbLb0EEEEDaS1A_S1B_EUlS1A_E_NS1_11comp_targetILNS1_3genE9ELNS1_11target_archE1100ELNS1_3gpuE3ELNS1_3repE0EEENS1_30default_config_static_selectorELNS0_4arch9wavefront6targetE0EEEvT1_.private_seg_size, 0
	.set _ZN7rocprim17ROCPRIM_400000_NS6detail17trampoline_kernelINS0_14default_configENS1_25partition_config_selectorILNS1_17partition_subalgoE5EdNS0_10empty_typeEbEEZZNS1_14partition_implILS5_5ELb0ES3_mN6thrust23THRUST_200600_302600_NS6detail15normal_iteratorINSA_10device_ptrIdEEEEPS6_NSA_18transform_iteratorINSB_9not_fun_tI7is_trueIdEEENSC_INSD_IbEEEENSA_11use_defaultESO_EENS0_5tupleIJNSA_16discard_iteratorISO_EES6_EEENSQ_IJSG_SG_EEES6_PlJS6_EEE10hipError_tPvRmT3_T4_T5_T6_T7_T9_mT8_P12ihipStream_tbDpT10_ENKUlT_T0_E_clISt17integral_constantIbLb1EES1E_IbLb0EEEEDaS1A_S1B_EUlS1A_E_NS1_11comp_targetILNS1_3genE9ELNS1_11target_archE1100ELNS1_3gpuE3ELNS1_3repE0EEENS1_30default_config_static_selectorELNS0_4arch9wavefront6targetE0EEEvT1_.uses_vcc, 0
	.set _ZN7rocprim17ROCPRIM_400000_NS6detail17trampoline_kernelINS0_14default_configENS1_25partition_config_selectorILNS1_17partition_subalgoE5EdNS0_10empty_typeEbEEZZNS1_14partition_implILS5_5ELb0ES3_mN6thrust23THRUST_200600_302600_NS6detail15normal_iteratorINSA_10device_ptrIdEEEEPS6_NSA_18transform_iteratorINSB_9not_fun_tI7is_trueIdEEENSC_INSD_IbEEEENSA_11use_defaultESO_EENS0_5tupleIJNSA_16discard_iteratorISO_EES6_EEENSQ_IJSG_SG_EEES6_PlJS6_EEE10hipError_tPvRmT3_T4_T5_T6_T7_T9_mT8_P12ihipStream_tbDpT10_ENKUlT_T0_E_clISt17integral_constantIbLb1EES1E_IbLb0EEEEDaS1A_S1B_EUlS1A_E_NS1_11comp_targetILNS1_3genE9ELNS1_11target_archE1100ELNS1_3gpuE3ELNS1_3repE0EEENS1_30default_config_static_selectorELNS0_4arch9wavefront6targetE0EEEvT1_.uses_flat_scratch, 0
	.set _ZN7rocprim17ROCPRIM_400000_NS6detail17trampoline_kernelINS0_14default_configENS1_25partition_config_selectorILNS1_17partition_subalgoE5EdNS0_10empty_typeEbEEZZNS1_14partition_implILS5_5ELb0ES3_mN6thrust23THRUST_200600_302600_NS6detail15normal_iteratorINSA_10device_ptrIdEEEEPS6_NSA_18transform_iteratorINSB_9not_fun_tI7is_trueIdEEENSC_INSD_IbEEEENSA_11use_defaultESO_EENS0_5tupleIJNSA_16discard_iteratorISO_EES6_EEENSQ_IJSG_SG_EEES6_PlJS6_EEE10hipError_tPvRmT3_T4_T5_T6_T7_T9_mT8_P12ihipStream_tbDpT10_ENKUlT_T0_E_clISt17integral_constantIbLb1EES1E_IbLb0EEEEDaS1A_S1B_EUlS1A_E_NS1_11comp_targetILNS1_3genE9ELNS1_11target_archE1100ELNS1_3gpuE3ELNS1_3repE0EEENS1_30default_config_static_selectorELNS0_4arch9wavefront6targetE0EEEvT1_.has_dyn_sized_stack, 0
	.set _ZN7rocprim17ROCPRIM_400000_NS6detail17trampoline_kernelINS0_14default_configENS1_25partition_config_selectorILNS1_17partition_subalgoE5EdNS0_10empty_typeEbEEZZNS1_14partition_implILS5_5ELb0ES3_mN6thrust23THRUST_200600_302600_NS6detail15normal_iteratorINSA_10device_ptrIdEEEEPS6_NSA_18transform_iteratorINSB_9not_fun_tI7is_trueIdEEENSC_INSD_IbEEEENSA_11use_defaultESO_EENS0_5tupleIJNSA_16discard_iteratorISO_EES6_EEENSQ_IJSG_SG_EEES6_PlJS6_EEE10hipError_tPvRmT3_T4_T5_T6_T7_T9_mT8_P12ihipStream_tbDpT10_ENKUlT_T0_E_clISt17integral_constantIbLb1EES1E_IbLb0EEEEDaS1A_S1B_EUlS1A_E_NS1_11comp_targetILNS1_3genE9ELNS1_11target_archE1100ELNS1_3gpuE3ELNS1_3repE0EEENS1_30default_config_static_selectorELNS0_4arch9wavefront6targetE0EEEvT1_.has_recursion, 0
	.set _ZN7rocprim17ROCPRIM_400000_NS6detail17trampoline_kernelINS0_14default_configENS1_25partition_config_selectorILNS1_17partition_subalgoE5EdNS0_10empty_typeEbEEZZNS1_14partition_implILS5_5ELb0ES3_mN6thrust23THRUST_200600_302600_NS6detail15normal_iteratorINSA_10device_ptrIdEEEEPS6_NSA_18transform_iteratorINSB_9not_fun_tI7is_trueIdEEENSC_INSD_IbEEEENSA_11use_defaultESO_EENS0_5tupleIJNSA_16discard_iteratorISO_EES6_EEENSQ_IJSG_SG_EEES6_PlJS6_EEE10hipError_tPvRmT3_T4_T5_T6_T7_T9_mT8_P12ihipStream_tbDpT10_ENKUlT_T0_E_clISt17integral_constantIbLb1EES1E_IbLb0EEEEDaS1A_S1B_EUlS1A_E_NS1_11comp_targetILNS1_3genE9ELNS1_11target_archE1100ELNS1_3gpuE3ELNS1_3repE0EEENS1_30default_config_static_selectorELNS0_4arch9wavefront6targetE0EEEvT1_.has_indirect_call, 0
	.section	.AMDGPU.csdata,"",@progbits
; Kernel info:
; codeLenInByte = 0
; TotalNumSgprs: 0
; NumVgprs: 0
; ScratchSize: 0
; MemoryBound: 0
; FloatMode: 240
; IeeeMode: 1
; LDSByteSize: 0 bytes/workgroup (compile time only)
; SGPRBlocks: 0
; VGPRBlocks: 0
; NumSGPRsForWavesPerEU: 1
; NumVGPRsForWavesPerEU: 1
; Occupancy: 16
; WaveLimiterHint : 0
; COMPUTE_PGM_RSRC2:SCRATCH_EN: 0
; COMPUTE_PGM_RSRC2:USER_SGPR: 2
; COMPUTE_PGM_RSRC2:TRAP_HANDLER: 0
; COMPUTE_PGM_RSRC2:TGID_X_EN: 1
; COMPUTE_PGM_RSRC2:TGID_Y_EN: 0
; COMPUTE_PGM_RSRC2:TGID_Z_EN: 0
; COMPUTE_PGM_RSRC2:TIDIG_COMP_CNT: 0
	.section	.text._ZN7rocprim17ROCPRIM_400000_NS6detail17trampoline_kernelINS0_14default_configENS1_25partition_config_selectorILNS1_17partition_subalgoE5EdNS0_10empty_typeEbEEZZNS1_14partition_implILS5_5ELb0ES3_mN6thrust23THRUST_200600_302600_NS6detail15normal_iteratorINSA_10device_ptrIdEEEEPS6_NSA_18transform_iteratorINSB_9not_fun_tI7is_trueIdEEENSC_INSD_IbEEEENSA_11use_defaultESO_EENS0_5tupleIJNSA_16discard_iteratorISO_EES6_EEENSQ_IJSG_SG_EEES6_PlJS6_EEE10hipError_tPvRmT3_T4_T5_T6_T7_T9_mT8_P12ihipStream_tbDpT10_ENKUlT_T0_E_clISt17integral_constantIbLb1EES1E_IbLb0EEEEDaS1A_S1B_EUlS1A_E_NS1_11comp_targetILNS1_3genE8ELNS1_11target_archE1030ELNS1_3gpuE2ELNS1_3repE0EEENS1_30default_config_static_selectorELNS0_4arch9wavefront6targetE0EEEvT1_,"axG",@progbits,_ZN7rocprim17ROCPRIM_400000_NS6detail17trampoline_kernelINS0_14default_configENS1_25partition_config_selectorILNS1_17partition_subalgoE5EdNS0_10empty_typeEbEEZZNS1_14partition_implILS5_5ELb0ES3_mN6thrust23THRUST_200600_302600_NS6detail15normal_iteratorINSA_10device_ptrIdEEEEPS6_NSA_18transform_iteratorINSB_9not_fun_tI7is_trueIdEEENSC_INSD_IbEEEENSA_11use_defaultESO_EENS0_5tupleIJNSA_16discard_iteratorISO_EES6_EEENSQ_IJSG_SG_EEES6_PlJS6_EEE10hipError_tPvRmT3_T4_T5_T6_T7_T9_mT8_P12ihipStream_tbDpT10_ENKUlT_T0_E_clISt17integral_constantIbLb1EES1E_IbLb0EEEEDaS1A_S1B_EUlS1A_E_NS1_11comp_targetILNS1_3genE8ELNS1_11target_archE1030ELNS1_3gpuE2ELNS1_3repE0EEENS1_30default_config_static_selectorELNS0_4arch9wavefront6targetE0EEEvT1_,comdat
	.protected	_ZN7rocprim17ROCPRIM_400000_NS6detail17trampoline_kernelINS0_14default_configENS1_25partition_config_selectorILNS1_17partition_subalgoE5EdNS0_10empty_typeEbEEZZNS1_14partition_implILS5_5ELb0ES3_mN6thrust23THRUST_200600_302600_NS6detail15normal_iteratorINSA_10device_ptrIdEEEEPS6_NSA_18transform_iteratorINSB_9not_fun_tI7is_trueIdEEENSC_INSD_IbEEEENSA_11use_defaultESO_EENS0_5tupleIJNSA_16discard_iteratorISO_EES6_EEENSQ_IJSG_SG_EEES6_PlJS6_EEE10hipError_tPvRmT3_T4_T5_T6_T7_T9_mT8_P12ihipStream_tbDpT10_ENKUlT_T0_E_clISt17integral_constantIbLb1EES1E_IbLb0EEEEDaS1A_S1B_EUlS1A_E_NS1_11comp_targetILNS1_3genE8ELNS1_11target_archE1030ELNS1_3gpuE2ELNS1_3repE0EEENS1_30default_config_static_selectorELNS0_4arch9wavefront6targetE0EEEvT1_ ; -- Begin function _ZN7rocprim17ROCPRIM_400000_NS6detail17trampoline_kernelINS0_14default_configENS1_25partition_config_selectorILNS1_17partition_subalgoE5EdNS0_10empty_typeEbEEZZNS1_14partition_implILS5_5ELb0ES3_mN6thrust23THRUST_200600_302600_NS6detail15normal_iteratorINSA_10device_ptrIdEEEEPS6_NSA_18transform_iteratorINSB_9not_fun_tI7is_trueIdEEENSC_INSD_IbEEEENSA_11use_defaultESO_EENS0_5tupleIJNSA_16discard_iteratorISO_EES6_EEENSQ_IJSG_SG_EEES6_PlJS6_EEE10hipError_tPvRmT3_T4_T5_T6_T7_T9_mT8_P12ihipStream_tbDpT10_ENKUlT_T0_E_clISt17integral_constantIbLb1EES1E_IbLb0EEEEDaS1A_S1B_EUlS1A_E_NS1_11comp_targetILNS1_3genE8ELNS1_11target_archE1030ELNS1_3gpuE2ELNS1_3repE0EEENS1_30default_config_static_selectorELNS0_4arch9wavefront6targetE0EEEvT1_
	.globl	_ZN7rocprim17ROCPRIM_400000_NS6detail17trampoline_kernelINS0_14default_configENS1_25partition_config_selectorILNS1_17partition_subalgoE5EdNS0_10empty_typeEbEEZZNS1_14partition_implILS5_5ELb0ES3_mN6thrust23THRUST_200600_302600_NS6detail15normal_iteratorINSA_10device_ptrIdEEEEPS6_NSA_18transform_iteratorINSB_9not_fun_tI7is_trueIdEEENSC_INSD_IbEEEENSA_11use_defaultESO_EENS0_5tupleIJNSA_16discard_iteratorISO_EES6_EEENSQ_IJSG_SG_EEES6_PlJS6_EEE10hipError_tPvRmT3_T4_T5_T6_T7_T9_mT8_P12ihipStream_tbDpT10_ENKUlT_T0_E_clISt17integral_constantIbLb1EES1E_IbLb0EEEEDaS1A_S1B_EUlS1A_E_NS1_11comp_targetILNS1_3genE8ELNS1_11target_archE1030ELNS1_3gpuE2ELNS1_3repE0EEENS1_30default_config_static_selectorELNS0_4arch9wavefront6targetE0EEEvT1_
	.p2align	8
	.type	_ZN7rocprim17ROCPRIM_400000_NS6detail17trampoline_kernelINS0_14default_configENS1_25partition_config_selectorILNS1_17partition_subalgoE5EdNS0_10empty_typeEbEEZZNS1_14partition_implILS5_5ELb0ES3_mN6thrust23THRUST_200600_302600_NS6detail15normal_iteratorINSA_10device_ptrIdEEEEPS6_NSA_18transform_iteratorINSB_9not_fun_tI7is_trueIdEEENSC_INSD_IbEEEENSA_11use_defaultESO_EENS0_5tupleIJNSA_16discard_iteratorISO_EES6_EEENSQ_IJSG_SG_EEES6_PlJS6_EEE10hipError_tPvRmT3_T4_T5_T6_T7_T9_mT8_P12ihipStream_tbDpT10_ENKUlT_T0_E_clISt17integral_constantIbLb1EES1E_IbLb0EEEEDaS1A_S1B_EUlS1A_E_NS1_11comp_targetILNS1_3genE8ELNS1_11target_archE1030ELNS1_3gpuE2ELNS1_3repE0EEENS1_30default_config_static_selectorELNS0_4arch9wavefront6targetE0EEEvT1_,@function
_ZN7rocprim17ROCPRIM_400000_NS6detail17trampoline_kernelINS0_14default_configENS1_25partition_config_selectorILNS1_17partition_subalgoE5EdNS0_10empty_typeEbEEZZNS1_14partition_implILS5_5ELb0ES3_mN6thrust23THRUST_200600_302600_NS6detail15normal_iteratorINSA_10device_ptrIdEEEEPS6_NSA_18transform_iteratorINSB_9not_fun_tI7is_trueIdEEENSC_INSD_IbEEEENSA_11use_defaultESO_EENS0_5tupleIJNSA_16discard_iteratorISO_EES6_EEENSQ_IJSG_SG_EEES6_PlJS6_EEE10hipError_tPvRmT3_T4_T5_T6_T7_T9_mT8_P12ihipStream_tbDpT10_ENKUlT_T0_E_clISt17integral_constantIbLb1EES1E_IbLb0EEEEDaS1A_S1B_EUlS1A_E_NS1_11comp_targetILNS1_3genE8ELNS1_11target_archE1030ELNS1_3gpuE2ELNS1_3repE0EEENS1_30default_config_static_selectorELNS0_4arch9wavefront6targetE0EEEvT1_: ; @_ZN7rocprim17ROCPRIM_400000_NS6detail17trampoline_kernelINS0_14default_configENS1_25partition_config_selectorILNS1_17partition_subalgoE5EdNS0_10empty_typeEbEEZZNS1_14partition_implILS5_5ELb0ES3_mN6thrust23THRUST_200600_302600_NS6detail15normal_iteratorINSA_10device_ptrIdEEEEPS6_NSA_18transform_iteratorINSB_9not_fun_tI7is_trueIdEEENSC_INSD_IbEEEENSA_11use_defaultESO_EENS0_5tupleIJNSA_16discard_iteratorISO_EES6_EEENSQ_IJSG_SG_EEES6_PlJS6_EEE10hipError_tPvRmT3_T4_T5_T6_T7_T9_mT8_P12ihipStream_tbDpT10_ENKUlT_T0_E_clISt17integral_constantIbLb1EES1E_IbLb0EEEEDaS1A_S1B_EUlS1A_E_NS1_11comp_targetILNS1_3genE8ELNS1_11target_archE1030ELNS1_3gpuE2ELNS1_3repE0EEENS1_30default_config_static_selectorELNS0_4arch9wavefront6targetE0EEEvT1_
; %bb.0:
	.section	.rodata,"a",@progbits
	.p2align	6, 0x0
	.amdhsa_kernel _ZN7rocprim17ROCPRIM_400000_NS6detail17trampoline_kernelINS0_14default_configENS1_25partition_config_selectorILNS1_17partition_subalgoE5EdNS0_10empty_typeEbEEZZNS1_14partition_implILS5_5ELb0ES3_mN6thrust23THRUST_200600_302600_NS6detail15normal_iteratorINSA_10device_ptrIdEEEEPS6_NSA_18transform_iteratorINSB_9not_fun_tI7is_trueIdEEENSC_INSD_IbEEEENSA_11use_defaultESO_EENS0_5tupleIJNSA_16discard_iteratorISO_EES6_EEENSQ_IJSG_SG_EEES6_PlJS6_EEE10hipError_tPvRmT3_T4_T5_T6_T7_T9_mT8_P12ihipStream_tbDpT10_ENKUlT_T0_E_clISt17integral_constantIbLb1EES1E_IbLb0EEEEDaS1A_S1B_EUlS1A_E_NS1_11comp_targetILNS1_3genE8ELNS1_11target_archE1030ELNS1_3gpuE2ELNS1_3repE0EEENS1_30default_config_static_selectorELNS0_4arch9wavefront6targetE0EEEvT1_
		.amdhsa_group_segment_fixed_size 0
		.amdhsa_private_segment_fixed_size 0
		.amdhsa_kernarg_size 128
		.amdhsa_user_sgpr_count 2
		.amdhsa_user_sgpr_dispatch_ptr 0
		.amdhsa_user_sgpr_queue_ptr 0
		.amdhsa_user_sgpr_kernarg_segment_ptr 1
		.amdhsa_user_sgpr_dispatch_id 0
		.amdhsa_user_sgpr_private_segment_size 0
		.amdhsa_wavefront_size32 1
		.amdhsa_uses_dynamic_stack 0
		.amdhsa_enable_private_segment 0
		.amdhsa_system_sgpr_workgroup_id_x 1
		.amdhsa_system_sgpr_workgroup_id_y 0
		.amdhsa_system_sgpr_workgroup_id_z 0
		.amdhsa_system_sgpr_workgroup_info 0
		.amdhsa_system_vgpr_workitem_id 0
		.amdhsa_next_free_vgpr 1
		.amdhsa_next_free_sgpr 1
		.amdhsa_reserve_vcc 0
		.amdhsa_float_round_mode_32 0
		.amdhsa_float_round_mode_16_64 0
		.amdhsa_float_denorm_mode_32 3
		.amdhsa_float_denorm_mode_16_64 3
		.amdhsa_fp16_overflow 0
		.amdhsa_workgroup_processor_mode 1
		.amdhsa_memory_ordered 1
		.amdhsa_forward_progress 1
		.amdhsa_inst_pref_size 0
		.amdhsa_round_robin_scheduling 0
		.amdhsa_exception_fp_ieee_invalid_op 0
		.amdhsa_exception_fp_denorm_src 0
		.amdhsa_exception_fp_ieee_div_zero 0
		.amdhsa_exception_fp_ieee_overflow 0
		.amdhsa_exception_fp_ieee_underflow 0
		.amdhsa_exception_fp_ieee_inexact 0
		.amdhsa_exception_int_div_zero 0
	.end_amdhsa_kernel
	.section	.text._ZN7rocprim17ROCPRIM_400000_NS6detail17trampoline_kernelINS0_14default_configENS1_25partition_config_selectorILNS1_17partition_subalgoE5EdNS0_10empty_typeEbEEZZNS1_14partition_implILS5_5ELb0ES3_mN6thrust23THRUST_200600_302600_NS6detail15normal_iteratorINSA_10device_ptrIdEEEEPS6_NSA_18transform_iteratorINSB_9not_fun_tI7is_trueIdEEENSC_INSD_IbEEEENSA_11use_defaultESO_EENS0_5tupleIJNSA_16discard_iteratorISO_EES6_EEENSQ_IJSG_SG_EEES6_PlJS6_EEE10hipError_tPvRmT3_T4_T5_T6_T7_T9_mT8_P12ihipStream_tbDpT10_ENKUlT_T0_E_clISt17integral_constantIbLb1EES1E_IbLb0EEEEDaS1A_S1B_EUlS1A_E_NS1_11comp_targetILNS1_3genE8ELNS1_11target_archE1030ELNS1_3gpuE2ELNS1_3repE0EEENS1_30default_config_static_selectorELNS0_4arch9wavefront6targetE0EEEvT1_,"axG",@progbits,_ZN7rocprim17ROCPRIM_400000_NS6detail17trampoline_kernelINS0_14default_configENS1_25partition_config_selectorILNS1_17partition_subalgoE5EdNS0_10empty_typeEbEEZZNS1_14partition_implILS5_5ELb0ES3_mN6thrust23THRUST_200600_302600_NS6detail15normal_iteratorINSA_10device_ptrIdEEEEPS6_NSA_18transform_iteratorINSB_9not_fun_tI7is_trueIdEEENSC_INSD_IbEEEENSA_11use_defaultESO_EENS0_5tupleIJNSA_16discard_iteratorISO_EES6_EEENSQ_IJSG_SG_EEES6_PlJS6_EEE10hipError_tPvRmT3_T4_T5_T6_T7_T9_mT8_P12ihipStream_tbDpT10_ENKUlT_T0_E_clISt17integral_constantIbLb1EES1E_IbLb0EEEEDaS1A_S1B_EUlS1A_E_NS1_11comp_targetILNS1_3genE8ELNS1_11target_archE1030ELNS1_3gpuE2ELNS1_3repE0EEENS1_30default_config_static_selectorELNS0_4arch9wavefront6targetE0EEEvT1_,comdat
.Lfunc_end2612:
	.size	_ZN7rocprim17ROCPRIM_400000_NS6detail17trampoline_kernelINS0_14default_configENS1_25partition_config_selectorILNS1_17partition_subalgoE5EdNS0_10empty_typeEbEEZZNS1_14partition_implILS5_5ELb0ES3_mN6thrust23THRUST_200600_302600_NS6detail15normal_iteratorINSA_10device_ptrIdEEEEPS6_NSA_18transform_iteratorINSB_9not_fun_tI7is_trueIdEEENSC_INSD_IbEEEENSA_11use_defaultESO_EENS0_5tupleIJNSA_16discard_iteratorISO_EES6_EEENSQ_IJSG_SG_EEES6_PlJS6_EEE10hipError_tPvRmT3_T4_T5_T6_T7_T9_mT8_P12ihipStream_tbDpT10_ENKUlT_T0_E_clISt17integral_constantIbLb1EES1E_IbLb0EEEEDaS1A_S1B_EUlS1A_E_NS1_11comp_targetILNS1_3genE8ELNS1_11target_archE1030ELNS1_3gpuE2ELNS1_3repE0EEENS1_30default_config_static_selectorELNS0_4arch9wavefront6targetE0EEEvT1_, .Lfunc_end2612-_ZN7rocprim17ROCPRIM_400000_NS6detail17trampoline_kernelINS0_14default_configENS1_25partition_config_selectorILNS1_17partition_subalgoE5EdNS0_10empty_typeEbEEZZNS1_14partition_implILS5_5ELb0ES3_mN6thrust23THRUST_200600_302600_NS6detail15normal_iteratorINSA_10device_ptrIdEEEEPS6_NSA_18transform_iteratorINSB_9not_fun_tI7is_trueIdEEENSC_INSD_IbEEEENSA_11use_defaultESO_EENS0_5tupleIJNSA_16discard_iteratorISO_EES6_EEENSQ_IJSG_SG_EEES6_PlJS6_EEE10hipError_tPvRmT3_T4_T5_T6_T7_T9_mT8_P12ihipStream_tbDpT10_ENKUlT_T0_E_clISt17integral_constantIbLb1EES1E_IbLb0EEEEDaS1A_S1B_EUlS1A_E_NS1_11comp_targetILNS1_3genE8ELNS1_11target_archE1030ELNS1_3gpuE2ELNS1_3repE0EEENS1_30default_config_static_selectorELNS0_4arch9wavefront6targetE0EEEvT1_
                                        ; -- End function
	.set _ZN7rocprim17ROCPRIM_400000_NS6detail17trampoline_kernelINS0_14default_configENS1_25partition_config_selectorILNS1_17partition_subalgoE5EdNS0_10empty_typeEbEEZZNS1_14partition_implILS5_5ELb0ES3_mN6thrust23THRUST_200600_302600_NS6detail15normal_iteratorINSA_10device_ptrIdEEEEPS6_NSA_18transform_iteratorINSB_9not_fun_tI7is_trueIdEEENSC_INSD_IbEEEENSA_11use_defaultESO_EENS0_5tupleIJNSA_16discard_iteratorISO_EES6_EEENSQ_IJSG_SG_EEES6_PlJS6_EEE10hipError_tPvRmT3_T4_T5_T6_T7_T9_mT8_P12ihipStream_tbDpT10_ENKUlT_T0_E_clISt17integral_constantIbLb1EES1E_IbLb0EEEEDaS1A_S1B_EUlS1A_E_NS1_11comp_targetILNS1_3genE8ELNS1_11target_archE1030ELNS1_3gpuE2ELNS1_3repE0EEENS1_30default_config_static_selectorELNS0_4arch9wavefront6targetE0EEEvT1_.num_vgpr, 0
	.set _ZN7rocprim17ROCPRIM_400000_NS6detail17trampoline_kernelINS0_14default_configENS1_25partition_config_selectorILNS1_17partition_subalgoE5EdNS0_10empty_typeEbEEZZNS1_14partition_implILS5_5ELb0ES3_mN6thrust23THRUST_200600_302600_NS6detail15normal_iteratorINSA_10device_ptrIdEEEEPS6_NSA_18transform_iteratorINSB_9not_fun_tI7is_trueIdEEENSC_INSD_IbEEEENSA_11use_defaultESO_EENS0_5tupleIJNSA_16discard_iteratorISO_EES6_EEENSQ_IJSG_SG_EEES6_PlJS6_EEE10hipError_tPvRmT3_T4_T5_T6_T7_T9_mT8_P12ihipStream_tbDpT10_ENKUlT_T0_E_clISt17integral_constantIbLb1EES1E_IbLb0EEEEDaS1A_S1B_EUlS1A_E_NS1_11comp_targetILNS1_3genE8ELNS1_11target_archE1030ELNS1_3gpuE2ELNS1_3repE0EEENS1_30default_config_static_selectorELNS0_4arch9wavefront6targetE0EEEvT1_.num_agpr, 0
	.set _ZN7rocprim17ROCPRIM_400000_NS6detail17trampoline_kernelINS0_14default_configENS1_25partition_config_selectorILNS1_17partition_subalgoE5EdNS0_10empty_typeEbEEZZNS1_14partition_implILS5_5ELb0ES3_mN6thrust23THRUST_200600_302600_NS6detail15normal_iteratorINSA_10device_ptrIdEEEEPS6_NSA_18transform_iteratorINSB_9not_fun_tI7is_trueIdEEENSC_INSD_IbEEEENSA_11use_defaultESO_EENS0_5tupleIJNSA_16discard_iteratorISO_EES6_EEENSQ_IJSG_SG_EEES6_PlJS6_EEE10hipError_tPvRmT3_T4_T5_T6_T7_T9_mT8_P12ihipStream_tbDpT10_ENKUlT_T0_E_clISt17integral_constantIbLb1EES1E_IbLb0EEEEDaS1A_S1B_EUlS1A_E_NS1_11comp_targetILNS1_3genE8ELNS1_11target_archE1030ELNS1_3gpuE2ELNS1_3repE0EEENS1_30default_config_static_selectorELNS0_4arch9wavefront6targetE0EEEvT1_.numbered_sgpr, 0
	.set _ZN7rocprim17ROCPRIM_400000_NS6detail17trampoline_kernelINS0_14default_configENS1_25partition_config_selectorILNS1_17partition_subalgoE5EdNS0_10empty_typeEbEEZZNS1_14partition_implILS5_5ELb0ES3_mN6thrust23THRUST_200600_302600_NS6detail15normal_iteratorINSA_10device_ptrIdEEEEPS6_NSA_18transform_iteratorINSB_9not_fun_tI7is_trueIdEEENSC_INSD_IbEEEENSA_11use_defaultESO_EENS0_5tupleIJNSA_16discard_iteratorISO_EES6_EEENSQ_IJSG_SG_EEES6_PlJS6_EEE10hipError_tPvRmT3_T4_T5_T6_T7_T9_mT8_P12ihipStream_tbDpT10_ENKUlT_T0_E_clISt17integral_constantIbLb1EES1E_IbLb0EEEEDaS1A_S1B_EUlS1A_E_NS1_11comp_targetILNS1_3genE8ELNS1_11target_archE1030ELNS1_3gpuE2ELNS1_3repE0EEENS1_30default_config_static_selectorELNS0_4arch9wavefront6targetE0EEEvT1_.num_named_barrier, 0
	.set _ZN7rocprim17ROCPRIM_400000_NS6detail17trampoline_kernelINS0_14default_configENS1_25partition_config_selectorILNS1_17partition_subalgoE5EdNS0_10empty_typeEbEEZZNS1_14partition_implILS5_5ELb0ES3_mN6thrust23THRUST_200600_302600_NS6detail15normal_iteratorINSA_10device_ptrIdEEEEPS6_NSA_18transform_iteratorINSB_9not_fun_tI7is_trueIdEEENSC_INSD_IbEEEENSA_11use_defaultESO_EENS0_5tupleIJNSA_16discard_iteratorISO_EES6_EEENSQ_IJSG_SG_EEES6_PlJS6_EEE10hipError_tPvRmT3_T4_T5_T6_T7_T9_mT8_P12ihipStream_tbDpT10_ENKUlT_T0_E_clISt17integral_constantIbLb1EES1E_IbLb0EEEEDaS1A_S1B_EUlS1A_E_NS1_11comp_targetILNS1_3genE8ELNS1_11target_archE1030ELNS1_3gpuE2ELNS1_3repE0EEENS1_30default_config_static_selectorELNS0_4arch9wavefront6targetE0EEEvT1_.private_seg_size, 0
	.set _ZN7rocprim17ROCPRIM_400000_NS6detail17trampoline_kernelINS0_14default_configENS1_25partition_config_selectorILNS1_17partition_subalgoE5EdNS0_10empty_typeEbEEZZNS1_14partition_implILS5_5ELb0ES3_mN6thrust23THRUST_200600_302600_NS6detail15normal_iteratorINSA_10device_ptrIdEEEEPS6_NSA_18transform_iteratorINSB_9not_fun_tI7is_trueIdEEENSC_INSD_IbEEEENSA_11use_defaultESO_EENS0_5tupleIJNSA_16discard_iteratorISO_EES6_EEENSQ_IJSG_SG_EEES6_PlJS6_EEE10hipError_tPvRmT3_T4_T5_T6_T7_T9_mT8_P12ihipStream_tbDpT10_ENKUlT_T0_E_clISt17integral_constantIbLb1EES1E_IbLb0EEEEDaS1A_S1B_EUlS1A_E_NS1_11comp_targetILNS1_3genE8ELNS1_11target_archE1030ELNS1_3gpuE2ELNS1_3repE0EEENS1_30default_config_static_selectorELNS0_4arch9wavefront6targetE0EEEvT1_.uses_vcc, 0
	.set _ZN7rocprim17ROCPRIM_400000_NS6detail17trampoline_kernelINS0_14default_configENS1_25partition_config_selectorILNS1_17partition_subalgoE5EdNS0_10empty_typeEbEEZZNS1_14partition_implILS5_5ELb0ES3_mN6thrust23THRUST_200600_302600_NS6detail15normal_iteratorINSA_10device_ptrIdEEEEPS6_NSA_18transform_iteratorINSB_9not_fun_tI7is_trueIdEEENSC_INSD_IbEEEENSA_11use_defaultESO_EENS0_5tupleIJNSA_16discard_iteratorISO_EES6_EEENSQ_IJSG_SG_EEES6_PlJS6_EEE10hipError_tPvRmT3_T4_T5_T6_T7_T9_mT8_P12ihipStream_tbDpT10_ENKUlT_T0_E_clISt17integral_constantIbLb1EES1E_IbLb0EEEEDaS1A_S1B_EUlS1A_E_NS1_11comp_targetILNS1_3genE8ELNS1_11target_archE1030ELNS1_3gpuE2ELNS1_3repE0EEENS1_30default_config_static_selectorELNS0_4arch9wavefront6targetE0EEEvT1_.uses_flat_scratch, 0
	.set _ZN7rocprim17ROCPRIM_400000_NS6detail17trampoline_kernelINS0_14default_configENS1_25partition_config_selectorILNS1_17partition_subalgoE5EdNS0_10empty_typeEbEEZZNS1_14partition_implILS5_5ELb0ES3_mN6thrust23THRUST_200600_302600_NS6detail15normal_iteratorINSA_10device_ptrIdEEEEPS6_NSA_18transform_iteratorINSB_9not_fun_tI7is_trueIdEEENSC_INSD_IbEEEENSA_11use_defaultESO_EENS0_5tupleIJNSA_16discard_iteratorISO_EES6_EEENSQ_IJSG_SG_EEES6_PlJS6_EEE10hipError_tPvRmT3_T4_T5_T6_T7_T9_mT8_P12ihipStream_tbDpT10_ENKUlT_T0_E_clISt17integral_constantIbLb1EES1E_IbLb0EEEEDaS1A_S1B_EUlS1A_E_NS1_11comp_targetILNS1_3genE8ELNS1_11target_archE1030ELNS1_3gpuE2ELNS1_3repE0EEENS1_30default_config_static_selectorELNS0_4arch9wavefront6targetE0EEEvT1_.has_dyn_sized_stack, 0
	.set _ZN7rocprim17ROCPRIM_400000_NS6detail17trampoline_kernelINS0_14default_configENS1_25partition_config_selectorILNS1_17partition_subalgoE5EdNS0_10empty_typeEbEEZZNS1_14partition_implILS5_5ELb0ES3_mN6thrust23THRUST_200600_302600_NS6detail15normal_iteratorINSA_10device_ptrIdEEEEPS6_NSA_18transform_iteratorINSB_9not_fun_tI7is_trueIdEEENSC_INSD_IbEEEENSA_11use_defaultESO_EENS0_5tupleIJNSA_16discard_iteratorISO_EES6_EEENSQ_IJSG_SG_EEES6_PlJS6_EEE10hipError_tPvRmT3_T4_T5_T6_T7_T9_mT8_P12ihipStream_tbDpT10_ENKUlT_T0_E_clISt17integral_constantIbLb1EES1E_IbLb0EEEEDaS1A_S1B_EUlS1A_E_NS1_11comp_targetILNS1_3genE8ELNS1_11target_archE1030ELNS1_3gpuE2ELNS1_3repE0EEENS1_30default_config_static_selectorELNS0_4arch9wavefront6targetE0EEEvT1_.has_recursion, 0
	.set _ZN7rocprim17ROCPRIM_400000_NS6detail17trampoline_kernelINS0_14default_configENS1_25partition_config_selectorILNS1_17partition_subalgoE5EdNS0_10empty_typeEbEEZZNS1_14partition_implILS5_5ELb0ES3_mN6thrust23THRUST_200600_302600_NS6detail15normal_iteratorINSA_10device_ptrIdEEEEPS6_NSA_18transform_iteratorINSB_9not_fun_tI7is_trueIdEEENSC_INSD_IbEEEENSA_11use_defaultESO_EENS0_5tupleIJNSA_16discard_iteratorISO_EES6_EEENSQ_IJSG_SG_EEES6_PlJS6_EEE10hipError_tPvRmT3_T4_T5_T6_T7_T9_mT8_P12ihipStream_tbDpT10_ENKUlT_T0_E_clISt17integral_constantIbLb1EES1E_IbLb0EEEEDaS1A_S1B_EUlS1A_E_NS1_11comp_targetILNS1_3genE8ELNS1_11target_archE1030ELNS1_3gpuE2ELNS1_3repE0EEENS1_30default_config_static_selectorELNS0_4arch9wavefront6targetE0EEEvT1_.has_indirect_call, 0
	.section	.AMDGPU.csdata,"",@progbits
; Kernel info:
; codeLenInByte = 0
; TotalNumSgprs: 0
; NumVgprs: 0
; ScratchSize: 0
; MemoryBound: 0
; FloatMode: 240
; IeeeMode: 1
; LDSByteSize: 0 bytes/workgroup (compile time only)
; SGPRBlocks: 0
; VGPRBlocks: 0
; NumSGPRsForWavesPerEU: 1
; NumVGPRsForWavesPerEU: 1
; Occupancy: 16
; WaveLimiterHint : 0
; COMPUTE_PGM_RSRC2:SCRATCH_EN: 0
; COMPUTE_PGM_RSRC2:USER_SGPR: 2
; COMPUTE_PGM_RSRC2:TRAP_HANDLER: 0
; COMPUTE_PGM_RSRC2:TGID_X_EN: 1
; COMPUTE_PGM_RSRC2:TGID_Y_EN: 0
; COMPUTE_PGM_RSRC2:TGID_Z_EN: 0
; COMPUTE_PGM_RSRC2:TIDIG_COMP_CNT: 0
	.section	.text._ZN7rocprim17ROCPRIM_400000_NS6detail17trampoline_kernelINS0_14default_configENS1_25partition_config_selectorILNS1_17partition_subalgoE5EdNS0_10empty_typeEbEEZZNS1_14partition_implILS5_5ELb0ES3_mN6thrust23THRUST_200600_302600_NS6detail15normal_iteratorINSA_10device_ptrIdEEEEPS6_NSA_18transform_iteratorINSB_9not_fun_tI7is_trueIdEEENSC_INSD_IbEEEENSA_11use_defaultESO_EENS0_5tupleIJNSA_16discard_iteratorISO_EES6_EEENSQ_IJSG_SG_EEES6_PlJS6_EEE10hipError_tPvRmT3_T4_T5_T6_T7_T9_mT8_P12ihipStream_tbDpT10_ENKUlT_T0_E_clISt17integral_constantIbLb0EES1E_IbLb1EEEEDaS1A_S1B_EUlS1A_E_NS1_11comp_targetILNS1_3genE0ELNS1_11target_archE4294967295ELNS1_3gpuE0ELNS1_3repE0EEENS1_30default_config_static_selectorELNS0_4arch9wavefront6targetE0EEEvT1_,"axG",@progbits,_ZN7rocprim17ROCPRIM_400000_NS6detail17trampoline_kernelINS0_14default_configENS1_25partition_config_selectorILNS1_17partition_subalgoE5EdNS0_10empty_typeEbEEZZNS1_14partition_implILS5_5ELb0ES3_mN6thrust23THRUST_200600_302600_NS6detail15normal_iteratorINSA_10device_ptrIdEEEEPS6_NSA_18transform_iteratorINSB_9not_fun_tI7is_trueIdEEENSC_INSD_IbEEEENSA_11use_defaultESO_EENS0_5tupleIJNSA_16discard_iteratorISO_EES6_EEENSQ_IJSG_SG_EEES6_PlJS6_EEE10hipError_tPvRmT3_T4_T5_T6_T7_T9_mT8_P12ihipStream_tbDpT10_ENKUlT_T0_E_clISt17integral_constantIbLb0EES1E_IbLb1EEEEDaS1A_S1B_EUlS1A_E_NS1_11comp_targetILNS1_3genE0ELNS1_11target_archE4294967295ELNS1_3gpuE0ELNS1_3repE0EEENS1_30default_config_static_selectorELNS0_4arch9wavefront6targetE0EEEvT1_,comdat
	.protected	_ZN7rocprim17ROCPRIM_400000_NS6detail17trampoline_kernelINS0_14default_configENS1_25partition_config_selectorILNS1_17partition_subalgoE5EdNS0_10empty_typeEbEEZZNS1_14partition_implILS5_5ELb0ES3_mN6thrust23THRUST_200600_302600_NS6detail15normal_iteratorINSA_10device_ptrIdEEEEPS6_NSA_18transform_iteratorINSB_9not_fun_tI7is_trueIdEEENSC_INSD_IbEEEENSA_11use_defaultESO_EENS0_5tupleIJNSA_16discard_iteratorISO_EES6_EEENSQ_IJSG_SG_EEES6_PlJS6_EEE10hipError_tPvRmT3_T4_T5_T6_T7_T9_mT8_P12ihipStream_tbDpT10_ENKUlT_T0_E_clISt17integral_constantIbLb0EES1E_IbLb1EEEEDaS1A_S1B_EUlS1A_E_NS1_11comp_targetILNS1_3genE0ELNS1_11target_archE4294967295ELNS1_3gpuE0ELNS1_3repE0EEENS1_30default_config_static_selectorELNS0_4arch9wavefront6targetE0EEEvT1_ ; -- Begin function _ZN7rocprim17ROCPRIM_400000_NS6detail17trampoline_kernelINS0_14default_configENS1_25partition_config_selectorILNS1_17partition_subalgoE5EdNS0_10empty_typeEbEEZZNS1_14partition_implILS5_5ELb0ES3_mN6thrust23THRUST_200600_302600_NS6detail15normal_iteratorINSA_10device_ptrIdEEEEPS6_NSA_18transform_iteratorINSB_9not_fun_tI7is_trueIdEEENSC_INSD_IbEEEENSA_11use_defaultESO_EENS0_5tupleIJNSA_16discard_iteratorISO_EES6_EEENSQ_IJSG_SG_EEES6_PlJS6_EEE10hipError_tPvRmT3_T4_T5_T6_T7_T9_mT8_P12ihipStream_tbDpT10_ENKUlT_T0_E_clISt17integral_constantIbLb0EES1E_IbLb1EEEEDaS1A_S1B_EUlS1A_E_NS1_11comp_targetILNS1_3genE0ELNS1_11target_archE4294967295ELNS1_3gpuE0ELNS1_3repE0EEENS1_30default_config_static_selectorELNS0_4arch9wavefront6targetE0EEEvT1_
	.globl	_ZN7rocprim17ROCPRIM_400000_NS6detail17trampoline_kernelINS0_14default_configENS1_25partition_config_selectorILNS1_17partition_subalgoE5EdNS0_10empty_typeEbEEZZNS1_14partition_implILS5_5ELb0ES3_mN6thrust23THRUST_200600_302600_NS6detail15normal_iteratorINSA_10device_ptrIdEEEEPS6_NSA_18transform_iteratorINSB_9not_fun_tI7is_trueIdEEENSC_INSD_IbEEEENSA_11use_defaultESO_EENS0_5tupleIJNSA_16discard_iteratorISO_EES6_EEENSQ_IJSG_SG_EEES6_PlJS6_EEE10hipError_tPvRmT3_T4_T5_T6_T7_T9_mT8_P12ihipStream_tbDpT10_ENKUlT_T0_E_clISt17integral_constantIbLb0EES1E_IbLb1EEEEDaS1A_S1B_EUlS1A_E_NS1_11comp_targetILNS1_3genE0ELNS1_11target_archE4294967295ELNS1_3gpuE0ELNS1_3repE0EEENS1_30default_config_static_selectorELNS0_4arch9wavefront6targetE0EEEvT1_
	.p2align	8
	.type	_ZN7rocprim17ROCPRIM_400000_NS6detail17trampoline_kernelINS0_14default_configENS1_25partition_config_selectorILNS1_17partition_subalgoE5EdNS0_10empty_typeEbEEZZNS1_14partition_implILS5_5ELb0ES3_mN6thrust23THRUST_200600_302600_NS6detail15normal_iteratorINSA_10device_ptrIdEEEEPS6_NSA_18transform_iteratorINSB_9not_fun_tI7is_trueIdEEENSC_INSD_IbEEEENSA_11use_defaultESO_EENS0_5tupleIJNSA_16discard_iteratorISO_EES6_EEENSQ_IJSG_SG_EEES6_PlJS6_EEE10hipError_tPvRmT3_T4_T5_T6_T7_T9_mT8_P12ihipStream_tbDpT10_ENKUlT_T0_E_clISt17integral_constantIbLb0EES1E_IbLb1EEEEDaS1A_S1B_EUlS1A_E_NS1_11comp_targetILNS1_3genE0ELNS1_11target_archE4294967295ELNS1_3gpuE0ELNS1_3repE0EEENS1_30default_config_static_selectorELNS0_4arch9wavefront6targetE0EEEvT1_,@function
_ZN7rocprim17ROCPRIM_400000_NS6detail17trampoline_kernelINS0_14default_configENS1_25partition_config_selectorILNS1_17partition_subalgoE5EdNS0_10empty_typeEbEEZZNS1_14partition_implILS5_5ELb0ES3_mN6thrust23THRUST_200600_302600_NS6detail15normal_iteratorINSA_10device_ptrIdEEEEPS6_NSA_18transform_iteratorINSB_9not_fun_tI7is_trueIdEEENSC_INSD_IbEEEENSA_11use_defaultESO_EENS0_5tupleIJNSA_16discard_iteratorISO_EES6_EEENSQ_IJSG_SG_EEES6_PlJS6_EEE10hipError_tPvRmT3_T4_T5_T6_T7_T9_mT8_P12ihipStream_tbDpT10_ENKUlT_T0_E_clISt17integral_constantIbLb0EES1E_IbLb1EEEEDaS1A_S1B_EUlS1A_E_NS1_11comp_targetILNS1_3genE0ELNS1_11target_archE4294967295ELNS1_3gpuE0ELNS1_3repE0EEENS1_30default_config_static_selectorELNS0_4arch9wavefront6targetE0EEEvT1_: ; @_ZN7rocprim17ROCPRIM_400000_NS6detail17trampoline_kernelINS0_14default_configENS1_25partition_config_selectorILNS1_17partition_subalgoE5EdNS0_10empty_typeEbEEZZNS1_14partition_implILS5_5ELb0ES3_mN6thrust23THRUST_200600_302600_NS6detail15normal_iteratorINSA_10device_ptrIdEEEEPS6_NSA_18transform_iteratorINSB_9not_fun_tI7is_trueIdEEENSC_INSD_IbEEEENSA_11use_defaultESO_EENS0_5tupleIJNSA_16discard_iteratorISO_EES6_EEENSQ_IJSG_SG_EEES6_PlJS6_EEE10hipError_tPvRmT3_T4_T5_T6_T7_T9_mT8_P12ihipStream_tbDpT10_ENKUlT_T0_E_clISt17integral_constantIbLb0EES1E_IbLb1EEEEDaS1A_S1B_EUlS1A_E_NS1_11comp_targetILNS1_3genE0ELNS1_11target_archE4294967295ELNS1_3gpuE0ELNS1_3repE0EEENS1_30default_config_static_selectorELNS0_4arch9wavefront6targetE0EEEvT1_
; %bb.0:
	.section	.rodata,"a",@progbits
	.p2align	6, 0x0
	.amdhsa_kernel _ZN7rocprim17ROCPRIM_400000_NS6detail17trampoline_kernelINS0_14default_configENS1_25partition_config_selectorILNS1_17partition_subalgoE5EdNS0_10empty_typeEbEEZZNS1_14partition_implILS5_5ELb0ES3_mN6thrust23THRUST_200600_302600_NS6detail15normal_iteratorINSA_10device_ptrIdEEEEPS6_NSA_18transform_iteratorINSB_9not_fun_tI7is_trueIdEEENSC_INSD_IbEEEENSA_11use_defaultESO_EENS0_5tupleIJNSA_16discard_iteratorISO_EES6_EEENSQ_IJSG_SG_EEES6_PlJS6_EEE10hipError_tPvRmT3_T4_T5_T6_T7_T9_mT8_P12ihipStream_tbDpT10_ENKUlT_T0_E_clISt17integral_constantIbLb0EES1E_IbLb1EEEEDaS1A_S1B_EUlS1A_E_NS1_11comp_targetILNS1_3genE0ELNS1_11target_archE4294967295ELNS1_3gpuE0ELNS1_3repE0EEENS1_30default_config_static_selectorELNS0_4arch9wavefront6targetE0EEEvT1_
		.amdhsa_group_segment_fixed_size 0
		.amdhsa_private_segment_fixed_size 0
		.amdhsa_kernarg_size 144
		.amdhsa_user_sgpr_count 2
		.amdhsa_user_sgpr_dispatch_ptr 0
		.amdhsa_user_sgpr_queue_ptr 0
		.amdhsa_user_sgpr_kernarg_segment_ptr 1
		.amdhsa_user_sgpr_dispatch_id 0
		.amdhsa_user_sgpr_private_segment_size 0
		.amdhsa_wavefront_size32 1
		.amdhsa_uses_dynamic_stack 0
		.amdhsa_enable_private_segment 0
		.amdhsa_system_sgpr_workgroup_id_x 1
		.amdhsa_system_sgpr_workgroup_id_y 0
		.amdhsa_system_sgpr_workgroup_id_z 0
		.amdhsa_system_sgpr_workgroup_info 0
		.amdhsa_system_vgpr_workitem_id 0
		.amdhsa_next_free_vgpr 1
		.amdhsa_next_free_sgpr 1
		.amdhsa_reserve_vcc 0
		.amdhsa_float_round_mode_32 0
		.amdhsa_float_round_mode_16_64 0
		.amdhsa_float_denorm_mode_32 3
		.amdhsa_float_denorm_mode_16_64 3
		.amdhsa_fp16_overflow 0
		.amdhsa_workgroup_processor_mode 1
		.amdhsa_memory_ordered 1
		.amdhsa_forward_progress 1
		.amdhsa_inst_pref_size 0
		.amdhsa_round_robin_scheduling 0
		.amdhsa_exception_fp_ieee_invalid_op 0
		.amdhsa_exception_fp_denorm_src 0
		.amdhsa_exception_fp_ieee_div_zero 0
		.amdhsa_exception_fp_ieee_overflow 0
		.amdhsa_exception_fp_ieee_underflow 0
		.amdhsa_exception_fp_ieee_inexact 0
		.amdhsa_exception_int_div_zero 0
	.end_amdhsa_kernel
	.section	.text._ZN7rocprim17ROCPRIM_400000_NS6detail17trampoline_kernelINS0_14default_configENS1_25partition_config_selectorILNS1_17partition_subalgoE5EdNS0_10empty_typeEbEEZZNS1_14partition_implILS5_5ELb0ES3_mN6thrust23THRUST_200600_302600_NS6detail15normal_iteratorINSA_10device_ptrIdEEEEPS6_NSA_18transform_iteratorINSB_9not_fun_tI7is_trueIdEEENSC_INSD_IbEEEENSA_11use_defaultESO_EENS0_5tupleIJNSA_16discard_iteratorISO_EES6_EEENSQ_IJSG_SG_EEES6_PlJS6_EEE10hipError_tPvRmT3_T4_T5_T6_T7_T9_mT8_P12ihipStream_tbDpT10_ENKUlT_T0_E_clISt17integral_constantIbLb0EES1E_IbLb1EEEEDaS1A_S1B_EUlS1A_E_NS1_11comp_targetILNS1_3genE0ELNS1_11target_archE4294967295ELNS1_3gpuE0ELNS1_3repE0EEENS1_30default_config_static_selectorELNS0_4arch9wavefront6targetE0EEEvT1_,"axG",@progbits,_ZN7rocprim17ROCPRIM_400000_NS6detail17trampoline_kernelINS0_14default_configENS1_25partition_config_selectorILNS1_17partition_subalgoE5EdNS0_10empty_typeEbEEZZNS1_14partition_implILS5_5ELb0ES3_mN6thrust23THRUST_200600_302600_NS6detail15normal_iteratorINSA_10device_ptrIdEEEEPS6_NSA_18transform_iteratorINSB_9not_fun_tI7is_trueIdEEENSC_INSD_IbEEEENSA_11use_defaultESO_EENS0_5tupleIJNSA_16discard_iteratorISO_EES6_EEENSQ_IJSG_SG_EEES6_PlJS6_EEE10hipError_tPvRmT3_T4_T5_T6_T7_T9_mT8_P12ihipStream_tbDpT10_ENKUlT_T0_E_clISt17integral_constantIbLb0EES1E_IbLb1EEEEDaS1A_S1B_EUlS1A_E_NS1_11comp_targetILNS1_3genE0ELNS1_11target_archE4294967295ELNS1_3gpuE0ELNS1_3repE0EEENS1_30default_config_static_selectorELNS0_4arch9wavefront6targetE0EEEvT1_,comdat
.Lfunc_end2613:
	.size	_ZN7rocprim17ROCPRIM_400000_NS6detail17trampoline_kernelINS0_14default_configENS1_25partition_config_selectorILNS1_17partition_subalgoE5EdNS0_10empty_typeEbEEZZNS1_14partition_implILS5_5ELb0ES3_mN6thrust23THRUST_200600_302600_NS6detail15normal_iteratorINSA_10device_ptrIdEEEEPS6_NSA_18transform_iteratorINSB_9not_fun_tI7is_trueIdEEENSC_INSD_IbEEEENSA_11use_defaultESO_EENS0_5tupleIJNSA_16discard_iteratorISO_EES6_EEENSQ_IJSG_SG_EEES6_PlJS6_EEE10hipError_tPvRmT3_T4_T5_T6_T7_T9_mT8_P12ihipStream_tbDpT10_ENKUlT_T0_E_clISt17integral_constantIbLb0EES1E_IbLb1EEEEDaS1A_S1B_EUlS1A_E_NS1_11comp_targetILNS1_3genE0ELNS1_11target_archE4294967295ELNS1_3gpuE0ELNS1_3repE0EEENS1_30default_config_static_selectorELNS0_4arch9wavefront6targetE0EEEvT1_, .Lfunc_end2613-_ZN7rocprim17ROCPRIM_400000_NS6detail17trampoline_kernelINS0_14default_configENS1_25partition_config_selectorILNS1_17partition_subalgoE5EdNS0_10empty_typeEbEEZZNS1_14partition_implILS5_5ELb0ES3_mN6thrust23THRUST_200600_302600_NS6detail15normal_iteratorINSA_10device_ptrIdEEEEPS6_NSA_18transform_iteratorINSB_9not_fun_tI7is_trueIdEEENSC_INSD_IbEEEENSA_11use_defaultESO_EENS0_5tupleIJNSA_16discard_iteratorISO_EES6_EEENSQ_IJSG_SG_EEES6_PlJS6_EEE10hipError_tPvRmT3_T4_T5_T6_T7_T9_mT8_P12ihipStream_tbDpT10_ENKUlT_T0_E_clISt17integral_constantIbLb0EES1E_IbLb1EEEEDaS1A_S1B_EUlS1A_E_NS1_11comp_targetILNS1_3genE0ELNS1_11target_archE4294967295ELNS1_3gpuE0ELNS1_3repE0EEENS1_30default_config_static_selectorELNS0_4arch9wavefront6targetE0EEEvT1_
                                        ; -- End function
	.set _ZN7rocprim17ROCPRIM_400000_NS6detail17trampoline_kernelINS0_14default_configENS1_25partition_config_selectorILNS1_17partition_subalgoE5EdNS0_10empty_typeEbEEZZNS1_14partition_implILS5_5ELb0ES3_mN6thrust23THRUST_200600_302600_NS6detail15normal_iteratorINSA_10device_ptrIdEEEEPS6_NSA_18transform_iteratorINSB_9not_fun_tI7is_trueIdEEENSC_INSD_IbEEEENSA_11use_defaultESO_EENS0_5tupleIJNSA_16discard_iteratorISO_EES6_EEENSQ_IJSG_SG_EEES6_PlJS6_EEE10hipError_tPvRmT3_T4_T5_T6_T7_T9_mT8_P12ihipStream_tbDpT10_ENKUlT_T0_E_clISt17integral_constantIbLb0EES1E_IbLb1EEEEDaS1A_S1B_EUlS1A_E_NS1_11comp_targetILNS1_3genE0ELNS1_11target_archE4294967295ELNS1_3gpuE0ELNS1_3repE0EEENS1_30default_config_static_selectorELNS0_4arch9wavefront6targetE0EEEvT1_.num_vgpr, 0
	.set _ZN7rocprim17ROCPRIM_400000_NS6detail17trampoline_kernelINS0_14default_configENS1_25partition_config_selectorILNS1_17partition_subalgoE5EdNS0_10empty_typeEbEEZZNS1_14partition_implILS5_5ELb0ES3_mN6thrust23THRUST_200600_302600_NS6detail15normal_iteratorINSA_10device_ptrIdEEEEPS6_NSA_18transform_iteratorINSB_9not_fun_tI7is_trueIdEEENSC_INSD_IbEEEENSA_11use_defaultESO_EENS0_5tupleIJNSA_16discard_iteratorISO_EES6_EEENSQ_IJSG_SG_EEES6_PlJS6_EEE10hipError_tPvRmT3_T4_T5_T6_T7_T9_mT8_P12ihipStream_tbDpT10_ENKUlT_T0_E_clISt17integral_constantIbLb0EES1E_IbLb1EEEEDaS1A_S1B_EUlS1A_E_NS1_11comp_targetILNS1_3genE0ELNS1_11target_archE4294967295ELNS1_3gpuE0ELNS1_3repE0EEENS1_30default_config_static_selectorELNS0_4arch9wavefront6targetE0EEEvT1_.num_agpr, 0
	.set _ZN7rocprim17ROCPRIM_400000_NS6detail17trampoline_kernelINS0_14default_configENS1_25partition_config_selectorILNS1_17partition_subalgoE5EdNS0_10empty_typeEbEEZZNS1_14partition_implILS5_5ELb0ES3_mN6thrust23THRUST_200600_302600_NS6detail15normal_iteratorINSA_10device_ptrIdEEEEPS6_NSA_18transform_iteratorINSB_9not_fun_tI7is_trueIdEEENSC_INSD_IbEEEENSA_11use_defaultESO_EENS0_5tupleIJNSA_16discard_iteratorISO_EES6_EEENSQ_IJSG_SG_EEES6_PlJS6_EEE10hipError_tPvRmT3_T4_T5_T6_T7_T9_mT8_P12ihipStream_tbDpT10_ENKUlT_T0_E_clISt17integral_constantIbLb0EES1E_IbLb1EEEEDaS1A_S1B_EUlS1A_E_NS1_11comp_targetILNS1_3genE0ELNS1_11target_archE4294967295ELNS1_3gpuE0ELNS1_3repE0EEENS1_30default_config_static_selectorELNS0_4arch9wavefront6targetE0EEEvT1_.numbered_sgpr, 0
	.set _ZN7rocprim17ROCPRIM_400000_NS6detail17trampoline_kernelINS0_14default_configENS1_25partition_config_selectorILNS1_17partition_subalgoE5EdNS0_10empty_typeEbEEZZNS1_14partition_implILS5_5ELb0ES3_mN6thrust23THRUST_200600_302600_NS6detail15normal_iteratorINSA_10device_ptrIdEEEEPS6_NSA_18transform_iteratorINSB_9not_fun_tI7is_trueIdEEENSC_INSD_IbEEEENSA_11use_defaultESO_EENS0_5tupleIJNSA_16discard_iteratorISO_EES6_EEENSQ_IJSG_SG_EEES6_PlJS6_EEE10hipError_tPvRmT3_T4_T5_T6_T7_T9_mT8_P12ihipStream_tbDpT10_ENKUlT_T0_E_clISt17integral_constantIbLb0EES1E_IbLb1EEEEDaS1A_S1B_EUlS1A_E_NS1_11comp_targetILNS1_3genE0ELNS1_11target_archE4294967295ELNS1_3gpuE0ELNS1_3repE0EEENS1_30default_config_static_selectorELNS0_4arch9wavefront6targetE0EEEvT1_.num_named_barrier, 0
	.set _ZN7rocprim17ROCPRIM_400000_NS6detail17trampoline_kernelINS0_14default_configENS1_25partition_config_selectorILNS1_17partition_subalgoE5EdNS0_10empty_typeEbEEZZNS1_14partition_implILS5_5ELb0ES3_mN6thrust23THRUST_200600_302600_NS6detail15normal_iteratorINSA_10device_ptrIdEEEEPS6_NSA_18transform_iteratorINSB_9not_fun_tI7is_trueIdEEENSC_INSD_IbEEEENSA_11use_defaultESO_EENS0_5tupleIJNSA_16discard_iteratorISO_EES6_EEENSQ_IJSG_SG_EEES6_PlJS6_EEE10hipError_tPvRmT3_T4_T5_T6_T7_T9_mT8_P12ihipStream_tbDpT10_ENKUlT_T0_E_clISt17integral_constantIbLb0EES1E_IbLb1EEEEDaS1A_S1B_EUlS1A_E_NS1_11comp_targetILNS1_3genE0ELNS1_11target_archE4294967295ELNS1_3gpuE0ELNS1_3repE0EEENS1_30default_config_static_selectorELNS0_4arch9wavefront6targetE0EEEvT1_.private_seg_size, 0
	.set _ZN7rocprim17ROCPRIM_400000_NS6detail17trampoline_kernelINS0_14default_configENS1_25partition_config_selectorILNS1_17partition_subalgoE5EdNS0_10empty_typeEbEEZZNS1_14partition_implILS5_5ELb0ES3_mN6thrust23THRUST_200600_302600_NS6detail15normal_iteratorINSA_10device_ptrIdEEEEPS6_NSA_18transform_iteratorINSB_9not_fun_tI7is_trueIdEEENSC_INSD_IbEEEENSA_11use_defaultESO_EENS0_5tupleIJNSA_16discard_iteratorISO_EES6_EEENSQ_IJSG_SG_EEES6_PlJS6_EEE10hipError_tPvRmT3_T4_T5_T6_T7_T9_mT8_P12ihipStream_tbDpT10_ENKUlT_T0_E_clISt17integral_constantIbLb0EES1E_IbLb1EEEEDaS1A_S1B_EUlS1A_E_NS1_11comp_targetILNS1_3genE0ELNS1_11target_archE4294967295ELNS1_3gpuE0ELNS1_3repE0EEENS1_30default_config_static_selectorELNS0_4arch9wavefront6targetE0EEEvT1_.uses_vcc, 0
	.set _ZN7rocprim17ROCPRIM_400000_NS6detail17trampoline_kernelINS0_14default_configENS1_25partition_config_selectorILNS1_17partition_subalgoE5EdNS0_10empty_typeEbEEZZNS1_14partition_implILS5_5ELb0ES3_mN6thrust23THRUST_200600_302600_NS6detail15normal_iteratorINSA_10device_ptrIdEEEEPS6_NSA_18transform_iteratorINSB_9not_fun_tI7is_trueIdEEENSC_INSD_IbEEEENSA_11use_defaultESO_EENS0_5tupleIJNSA_16discard_iteratorISO_EES6_EEENSQ_IJSG_SG_EEES6_PlJS6_EEE10hipError_tPvRmT3_T4_T5_T6_T7_T9_mT8_P12ihipStream_tbDpT10_ENKUlT_T0_E_clISt17integral_constantIbLb0EES1E_IbLb1EEEEDaS1A_S1B_EUlS1A_E_NS1_11comp_targetILNS1_3genE0ELNS1_11target_archE4294967295ELNS1_3gpuE0ELNS1_3repE0EEENS1_30default_config_static_selectorELNS0_4arch9wavefront6targetE0EEEvT1_.uses_flat_scratch, 0
	.set _ZN7rocprim17ROCPRIM_400000_NS6detail17trampoline_kernelINS0_14default_configENS1_25partition_config_selectorILNS1_17partition_subalgoE5EdNS0_10empty_typeEbEEZZNS1_14partition_implILS5_5ELb0ES3_mN6thrust23THRUST_200600_302600_NS6detail15normal_iteratorINSA_10device_ptrIdEEEEPS6_NSA_18transform_iteratorINSB_9not_fun_tI7is_trueIdEEENSC_INSD_IbEEEENSA_11use_defaultESO_EENS0_5tupleIJNSA_16discard_iteratorISO_EES6_EEENSQ_IJSG_SG_EEES6_PlJS6_EEE10hipError_tPvRmT3_T4_T5_T6_T7_T9_mT8_P12ihipStream_tbDpT10_ENKUlT_T0_E_clISt17integral_constantIbLb0EES1E_IbLb1EEEEDaS1A_S1B_EUlS1A_E_NS1_11comp_targetILNS1_3genE0ELNS1_11target_archE4294967295ELNS1_3gpuE0ELNS1_3repE0EEENS1_30default_config_static_selectorELNS0_4arch9wavefront6targetE0EEEvT1_.has_dyn_sized_stack, 0
	.set _ZN7rocprim17ROCPRIM_400000_NS6detail17trampoline_kernelINS0_14default_configENS1_25partition_config_selectorILNS1_17partition_subalgoE5EdNS0_10empty_typeEbEEZZNS1_14partition_implILS5_5ELb0ES3_mN6thrust23THRUST_200600_302600_NS6detail15normal_iteratorINSA_10device_ptrIdEEEEPS6_NSA_18transform_iteratorINSB_9not_fun_tI7is_trueIdEEENSC_INSD_IbEEEENSA_11use_defaultESO_EENS0_5tupleIJNSA_16discard_iteratorISO_EES6_EEENSQ_IJSG_SG_EEES6_PlJS6_EEE10hipError_tPvRmT3_T4_T5_T6_T7_T9_mT8_P12ihipStream_tbDpT10_ENKUlT_T0_E_clISt17integral_constantIbLb0EES1E_IbLb1EEEEDaS1A_S1B_EUlS1A_E_NS1_11comp_targetILNS1_3genE0ELNS1_11target_archE4294967295ELNS1_3gpuE0ELNS1_3repE0EEENS1_30default_config_static_selectorELNS0_4arch9wavefront6targetE0EEEvT1_.has_recursion, 0
	.set _ZN7rocprim17ROCPRIM_400000_NS6detail17trampoline_kernelINS0_14default_configENS1_25partition_config_selectorILNS1_17partition_subalgoE5EdNS0_10empty_typeEbEEZZNS1_14partition_implILS5_5ELb0ES3_mN6thrust23THRUST_200600_302600_NS6detail15normal_iteratorINSA_10device_ptrIdEEEEPS6_NSA_18transform_iteratorINSB_9not_fun_tI7is_trueIdEEENSC_INSD_IbEEEENSA_11use_defaultESO_EENS0_5tupleIJNSA_16discard_iteratorISO_EES6_EEENSQ_IJSG_SG_EEES6_PlJS6_EEE10hipError_tPvRmT3_T4_T5_T6_T7_T9_mT8_P12ihipStream_tbDpT10_ENKUlT_T0_E_clISt17integral_constantIbLb0EES1E_IbLb1EEEEDaS1A_S1B_EUlS1A_E_NS1_11comp_targetILNS1_3genE0ELNS1_11target_archE4294967295ELNS1_3gpuE0ELNS1_3repE0EEENS1_30default_config_static_selectorELNS0_4arch9wavefront6targetE0EEEvT1_.has_indirect_call, 0
	.section	.AMDGPU.csdata,"",@progbits
; Kernel info:
; codeLenInByte = 0
; TotalNumSgprs: 0
; NumVgprs: 0
; ScratchSize: 0
; MemoryBound: 0
; FloatMode: 240
; IeeeMode: 1
; LDSByteSize: 0 bytes/workgroup (compile time only)
; SGPRBlocks: 0
; VGPRBlocks: 0
; NumSGPRsForWavesPerEU: 1
; NumVGPRsForWavesPerEU: 1
; Occupancy: 16
; WaveLimiterHint : 0
; COMPUTE_PGM_RSRC2:SCRATCH_EN: 0
; COMPUTE_PGM_RSRC2:USER_SGPR: 2
; COMPUTE_PGM_RSRC2:TRAP_HANDLER: 0
; COMPUTE_PGM_RSRC2:TGID_X_EN: 1
; COMPUTE_PGM_RSRC2:TGID_Y_EN: 0
; COMPUTE_PGM_RSRC2:TGID_Z_EN: 0
; COMPUTE_PGM_RSRC2:TIDIG_COMP_CNT: 0
	.section	.text._ZN7rocprim17ROCPRIM_400000_NS6detail17trampoline_kernelINS0_14default_configENS1_25partition_config_selectorILNS1_17partition_subalgoE5EdNS0_10empty_typeEbEEZZNS1_14partition_implILS5_5ELb0ES3_mN6thrust23THRUST_200600_302600_NS6detail15normal_iteratorINSA_10device_ptrIdEEEEPS6_NSA_18transform_iteratorINSB_9not_fun_tI7is_trueIdEEENSC_INSD_IbEEEENSA_11use_defaultESO_EENS0_5tupleIJNSA_16discard_iteratorISO_EES6_EEENSQ_IJSG_SG_EEES6_PlJS6_EEE10hipError_tPvRmT3_T4_T5_T6_T7_T9_mT8_P12ihipStream_tbDpT10_ENKUlT_T0_E_clISt17integral_constantIbLb0EES1E_IbLb1EEEEDaS1A_S1B_EUlS1A_E_NS1_11comp_targetILNS1_3genE5ELNS1_11target_archE942ELNS1_3gpuE9ELNS1_3repE0EEENS1_30default_config_static_selectorELNS0_4arch9wavefront6targetE0EEEvT1_,"axG",@progbits,_ZN7rocprim17ROCPRIM_400000_NS6detail17trampoline_kernelINS0_14default_configENS1_25partition_config_selectorILNS1_17partition_subalgoE5EdNS0_10empty_typeEbEEZZNS1_14partition_implILS5_5ELb0ES3_mN6thrust23THRUST_200600_302600_NS6detail15normal_iteratorINSA_10device_ptrIdEEEEPS6_NSA_18transform_iteratorINSB_9not_fun_tI7is_trueIdEEENSC_INSD_IbEEEENSA_11use_defaultESO_EENS0_5tupleIJNSA_16discard_iteratorISO_EES6_EEENSQ_IJSG_SG_EEES6_PlJS6_EEE10hipError_tPvRmT3_T4_T5_T6_T7_T9_mT8_P12ihipStream_tbDpT10_ENKUlT_T0_E_clISt17integral_constantIbLb0EES1E_IbLb1EEEEDaS1A_S1B_EUlS1A_E_NS1_11comp_targetILNS1_3genE5ELNS1_11target_archE942ELNS1_3gpuE9ELNS1_3repE0EEENS1_30default_config_static_selectorELNS0_4arch9wavefront6targetE0EEEvT1_,comdat
	.protected	_ZN7rocprim17ROCPRIM_400000_NS6detail17trampoline_kernelINS0_14default_configENS1_25partition_config_selectorILNS1_17partition_subalgoE5EdNS0_10empty_typeEbEEZZNS1_14partition_implILS5_5ELb0ES3_mN6thrust23THRUST_200600_302600_NS6detail15normal_iteratorINSA_10device_ptrIdEEEEPS6_NSA_18transform_iteratorINSB_9not_fun_tI7is_trueIdEEENSC_INSD_IbEEEENSA_11use_defaultESO_EENS0_5tupleIJNSA_16discard_iteratorISO_EES6_EEENSQ_IJSG_SG_EEES6_PlJS6_EEE10hipError_tPvRmT3_T4_T5_T6_T7_T9_mT8_P12ihipStream_tbDpT10_ENKUlT_T0_E_clISt17integral_constantIbLb0EES1E_IbLb1EEEEDaS1A_S1B_EUlS1A_E_NS1_11comp_targetILNS1_3genE5ELNS1_11target_archE942ELNS1_3gpuE9ELNS1_3repE0EEENS1_30default_config_static_selectorELNS0_4arch9wavefront6targetE0EEEvT1_ ; -- Begin function _ZN7rocprim17ROCPRIM_400000_NS6detail17trampoline_kernelINS0_14default_configENS1_25partition_config_selectorILNS1_17partition_subalgoE5EdNS0_10empty_typeEbEEZZNS1_14partition_implILS5_5ELb0ES3_mN6thrust23THRUST_200600_302600_NS6detail15normal_iteratorINSA_10device_ptrIdEEEEPS6_NSA_18transform_iteratorINSB_9not_fun_tI7is_trueIdEEENSC_INSD_IbEEEENSA_11use_defaultESO_EENS0_5tupleIJNSA_16discard_iteratorISO_EES6_EEENSQ_IJSG_SG_EEES6_PlJS6_EEE10hipError_tPvRmT3_T4_T5_T6_T7_T9_mT8_P12ihipStream_tbDpT10_ENKUlT_T0_E_clISt17integral_constantIbLb0EES1E_IbLb1EEEEDaS1A_S1B_EUlS1A_E_NS1_11comp_targetILNS1_3genE5ELNS1_11target_archE942ELNS1_3gpuE9ELNS1_3repE0EEENS1_30default_config_static_selectorELNS0_4arch9wavefront6targetE0EEEvT1_
	.globl	_ZN7rocprim17ROCPRIM_400000_NS6detail17trampoline_kernelINS0_14default_configENS1_25partition_config_selectorILNS1_17partition_subalgoE5EdNS0_10empty_typeEbEEZZNS1_14partition_implILS5_5ELb0ES3_mN6thrust23THRUST_200600_302600_NS6detail15normal_iteratorINSA_10device_ptrIdEEEEPS6_NSA_18transform_iteratorINSB_9not_fun_tI7is_trueIdEEENSC_INSD_IbEEEENSA_11use_defaultESO_EENS0_5tupleIJNSA_16discard_iteratorISO_EES6_EEENSQ_IJSG_SG_EEES6_PlJS6_EEE10hipError_tPvRmT3_T4_T5_T6_T7_T9_mT8_P12ihipStream_tbDpT10_ENKUlT_T0_E_clISt17integral_constantIbLb0EES1E_IbLb1EEEEDaS1A_S1B_EUlS1A_E_NS1_11comp_targetILNS1_3genE5ELNS1_11target_archE942ELNS1_3gpuE9ELNS1_3repE0EEENS1_30default_config_static_selectorELNS0_4arch9wavefront6targetE0EEEvT1_
	.p2align	8
	.type	_ZN7rocprim17ROCPRIM_400000_NS6detail17trampoline_kernelINS0_14default_configENS1_25partition_config_selectorILNS1_17partition_subalgoE5EdNS0_10empty_typeEbEEZZNS1_14partition_implILS5_5ELb0ES3_mN6thrust23THRUST_200600_302600_NS6detail15normal_iteratorINSA_10device_ptrIdEEEEPS6_NSA_18transform_iteratorINSB_9not_fun_tI7is_trueIdEEENSC_INSD_IbEEEENSA_11use_defaultESO_EENS0_5tupleIJNSA_16discard_iteratorISO_EES6_EEENSQ_IJSG_SG_EEES6_PlJS6_EEE10hipError_tPvRmT3_T4_T5_T6_T7_T9_mT8_P12ihipStream_tbDpT10_ENKUlT_T0_E_clISt17integral_constantIbLb0EES1E_IbLb1EEEEDaS1A_S1B_EUlS1A_E_NS1_11comp_targetILNS1_3genE5ELNS1_11target_archE942ELNS1_3gpuE9ELNS1_3repE0EEENS1_30default_config_static_selectorELNS0_4arch9wavefront6targetE0EEEvT1_,@function
_ZN7rocprim17ROCPRIM_400000_NS6detail17trampoline_kernelINS0_14default_configENS1_25partition_config_selectorILNS1_17partition_subalgoE5EdNS0_10empty_typeEbEEZZNS1_14partition_implILS5_5ELb0ES3_mN6thrust23THRUST_200600_302600_NS6detail15normal_iteratorINSA_10device_ptrIdEEEEPS6_NSA_18transform_iteratorINSB_9not_fun_tI7is_trueIdEEENSC_INSD_IbEEEENSA_11use_defaultESO_EENS0_5tupleIJNSA_16discard_iteratorISO_EES6_EEENSQ_IJSG_SG_EEES6_PlJS6_EEE10hipError_tPvRmT3_T4_T5_T6_T7_T9_mT8_P12ihipStream_tbDpT10_ENKUlT_T0_E_clISt17integral_constantIbLb0EES1E_IbLb1EEEEDaS1A_S1B_EUlS1A_E_NS1_11comp_targetILNS1_3genE5ELNS1_11target_archE942ELNS1_3gpuE9ELNS1_3repE0EEENS1_30default_config_static_selectorELNS0_4arch9wavefront6targetE0EEEvT1_: ; @_ZN7rocprim17ROCPRIM_400000_NS6detail17trampoline_kernelINS0_14default_configENS1_25partition_config_selectorILNS1_17partition_subalgoE5EdNS0_10empty_typeEbEEZZNS1_14partition_implILS5_5ELb0ES3_mN6thrust23THRUST_200600_302600_NS6detail15normal_iteratorINSA_10device_ptrIdEEEEPS6_NSA_18transform_iteratorINSB_9not_fun_tI7is_trueIdEEENSC_INSD_IbEEEENSA_11use_defaultESO_EENS0_5tupleIJNSA_16discard_iteratorISO_EES6_EEENSQ_IJSG_SG_EEES6_PlJS6_EEE10hipError_tPvRmT3_T4_T5_T6_T7_T9_mT8_P12ihipStream_tbDpT10_ENKUlT_T0_E_clISt17integral_constantIbLb0EES1E_IbLb1EEEEDaS1A_S1B_EUlS1A_E_NS1_11comp_targetILNS1_3genE5ELNS1_11target_archE942ELNS1_3gpuE9ELNS1_3repE0EEENS1_30default_config_static_selectorELNS0_4arch9wavefront6targetE0EEEvT1_
; %bb.0:
	.section	.rodata,"a",@progbits
	.p2align	6, 0x0
	.amdhsa_kernel _ZN7rocprim17ROCPRIM_400000_NS6detail17trampoline_kernelINS0_14default_configENS1_25partition_config_selectorILNS1_17partition_subalgoE5EdNS0_10empty_typeEbEEZZNS1_14partition_implILS5_5ELb0ES3_mN6thrust23THRUST_200600_302600_NS6detail15normal_iteratorINSA_10device_ptrIdEEEEPS6_NSA_18transform_iteratorINSB_9not_fun_tI7is_trueIdEEENSC_INSD_IbEEEENSA_11use_defaultESO_EENS0_5tupleIJNSA_16discard_iteratorISO_EES6_EEENSQ_IJSG_SG_EEES6_PlJS6_EEE10hipError_tPvRmT3_T4_T5_T6_T7_T9_mT8_P12ihipStream_tbDpT10_ENKUlT_T0_E_clISt17integral_constantIbLb0EES1E_IbLb1EEEEDaS1A_S1B_EUlS1A_E_NS1_11comp_targetILNS1_3genE5ELNS1_11target_archE942ELNS1_3gpuE9ELNS1_3repE0EEENS1_30default_config_static_selectorELNS0_4arch9wavefront6targetE0EEEvT1_
		.amdhsa_group_segment_fixed_size 0
		.amdhsa_private_segment_fixed_size 0
		.amdhsa_kernarg_size 144
		.amdhsa_user_sgpr_count 2
		.amdhsa_user_sgpr_dispatch_ptr 0
		.amdhsa_user_sgpr_queue_ptr 0
		.amdhsa_user_sgpr_kernarg_segment_ptr 1
		.amdhsa_user_sgpr_dispatch_id 0
		.amdhsa_user_sgpr_private_segment_size 0
		.amdhsa_wavefront_size32 1
		.amdhsa_uses_dynamic_stack 0
		.amdhsa_enable_private_segment 0
		.amdhsa_system_sgpr_workgroup_id_x 1
		.amdhsa_system_sgpr_workgroup_id_y 0
		.amdhsa_system_sgpr_workgroup_id_z 0
		.amdhsa_system_sgpr_workgroup_info 0
		.amdhsa_system_vgpr_workitem_id 0
		.amdhsa_next_free_vgpr 1
		.amdhsa_next_free_sgpr 1
		.amdhsa_reserve_vcc 0
		.amdhsa_float_round_mode_32 0
		.amdhsa_float_round_mode_16_64 0
		.amdhsa_float_denorm_mode_32 3
		.amdhsa_float_denorm_mode_16_64 3
		.amdhsa_fp16_overflow 0
		.amdhsa_workgroup_processor_mode 1
		.amdhsa_memory_ordered 1
		.amdhsa_forward_progress 1
		.amdhsa_inst_pref_size 0
		.amdhsa_round_robin_scheduling 0
		.amdhsa_exception_fp_ieee_invalid_op 0
		.amdhsa_exception_fp_denorm_src 0
		.amdhsa_exception_fp_ieee_div_zero 0
		.amdhsa_exception_fp_ieee_overflow 0
		.amdhsa_exception_fp_ieee_underflow 0
		.amdhsa_exception_fp_ieee_inexact 0
		.amdhsa_exception_int_div_zero 0
	.end_amdhsa_kernel
	.section	.text._ZN7rocprim17ROCPRIM_400000_NS6detail17trampoline_kernelINS0_14default_configENS1_25partition_config_selectorILNS1_17partition_subalgoE5EdNS0_10empty_typeEbEEZZNS1_14partition_implILS5_5ELb0ES3_mN6thrust23THRUST_200600_302600_NS6detail15normal_iteratorINSA_10device_ptrIdEEEEPS6_NSA_18transform_iteratorINSB_9not_fun_tI7is_trueIdEEENSC_INSD_IbEEEENSA_11use_defaultESO_EENS0_5tupleIJNSA_16discard_iteratorISO_EES6_EEENSQ_IJSG_SG_EEES6_PlJS6_EEE10hipError_tPvRmT3_T4_T5_T6_T7_T9_mT8_P12ihipStream_tbDpT10_ENKUlT_T0_E_clISt17integral_constantIbLb0EES1E_IbLb1EEEEDaS1A_S1B_EUlS1A_E_NS1_11comp_targetILNS1_3genE5ELNS1_11target_archE942ELNS1_3gpuE9ELNS1_3repE0EEENS1_30default_config_static_selectorELNS0_4arch9wavefront6targetE0EEEvT1_,"axG",@progbits,_ZN7rocprim17ROCPRIM_400000_NS6detail17trampoline_kernelINS0_14default_configENS1_25partition_config_selectorILNS1_17partition_subalgoE5EdNS0_10empty_typeEbEEZZNS1_14partition_implILS5_5ELb0ES3_mN6thrust23THRUST_200600_302600_NS6detail15normal_iteratorINSA_10device_ptrIdEEEEPS6_NSA_18transform_iteratorINSB_9not_fun_tI7is_trueIdEEENSC_INSD_IbEEEENSA_11use_defaultESO_EENS0_5tupleIJNSA_16discard_iteratorISO_EES6_EEENSQ_IJSG_SG_EEES6_PlJS6_EEE10hipError_tPvRmT3_T4_T5_T6_T7_T9_mT8_P12ihipStream_tbDpT10_ENKUlT_T0_E_clISt17integral_constantIbLb0EES1E_IbLb1EEEEDaS1A_S1B_EUlS1A_E_NS1_11comp_targetILNS1_3genE5ELNS1_11target_archE942ELNS1_3gpuE9ELNS1_3repE0EEENS1_30default_config_static_selectorELNS0_4arch9wavefront6targetE0EEEvT1_,comdat
.Lfunc_end2614:
	.size	_ZN7rocprim17ROCPRIM_400000_NS6detail17trampoline_kernelINS0_14default_configENS1_25partition_config_selectorILNS1_17partition_subalgoE5EdNS0_10empty_typeEbEEZZNS1_14partition_implILS5_5ELb0ES3_mN6thrust23THRUST_200600_302600_NS6detail15normal_iteratorINSA_10device_ptrIdEEEEPS6_NSA_18transform_iteratorINSB_9not_fun_tI7is_trueIdEEENSC_INSD_IbEEEENSA_11use_defaultESO_EENS0_5tupleIJNSA_16discard_iteratorISO_EES6_EEENSQ_IJSG_SG_EEES6_PlJS6_EEE10hipError_tPvRmT3_T4_T5_T6_T7_T9_mT8_P12ihipStream_tbDpT10_ENKUlT_T0_E_clISt17integral_constantIbLb0EES1E_IbLb1EEEEDaS1A_S1B_EUlS1A_E_NS1_11comp_targetILNS1_3genE5ELNS1_11target_archE942ELNS1_3gpuE9ELNS1_3repE0EEENS1_30default_config_static_selectorELNS0_4arch9wavefront6targetE0EEEvT1_, .Lfunc_end2614-_ZN7rocprim17ROCPRIM_400000_NS6detail17trampoline_kernelINS0_14default_configENS1_25partition_config_selectorILNS1_17partition_subalgoE5EdNS0_10empty_typeEbEEZZNS1_14partition_implILS5_5ELb0ES3_mN6thrust23THRUST_200600_302600_NS6detail15normal_iteratorINSA_10device_ptrIdEEEEPS6_NSA_18transform_iteratorINSB_9not_fun_tI7is_trueIdEEENSC_INSD_IbEEEENSA_11use_defaultESO_EENS0_5tupleIJNSA_16discard_iteratorISO_EES6_EEENSQ_IJSG_SG_EEES6_PlJS6_EEE10hipError_tPvRmT3_T4_T5_T6_T7_T9_mT8_P12ihipStream_tbDpT10_ENKUlT_T0_E_clISt17integral_constantIbLb0EES1E_IbLb1EEEEDaS1A_S1B_EUlS1A_E_NS1_11comp_targetILNS1_3genE5ELNS1_11target_archE942ELNS1_3gpuE9ELNS1_3repE0EEENS1_30default_config_static_selectorELNS0_4arch9wavefront6targetE0EEEvT1_
                                        ; -- End function
	.set _ZN7rocprim17ROCPRIM_400000_NS6detail17trampoline_kernelINS0_14default_configENS1_25partition_config_selectorILNS1_17partition_subalgoE5EdNS0_10empty_typeEbEEZZNS1_14partition_implILS5_5ELb0ES3_mN6thrust23THRUST_200600_302600_NS6detail15normal_iteratorINSA_10device_ptrIdEEEEPS6_NSA_18transform_iteratorINSB_9not_fun_tI7is_trueIdEEENSC_INSD_IbEEEENSA_11use_defaultESO_EENS0_5tupleIJNSA_16discard_iteratorISO_EES6_EEENSQ_IJSG_SG_EEES6_PlJS6_EEE10hipError_tPvRmT3_T4_T5_T6_T7_T9_mT8_P12ihipStream_tbDpT10_ENKUlT_T0_E_clISt17integral_constantIbLb0EES1E_IbLb1EEEEDaS1A_S1B_EUlS1A_E_NS1_11comp_targetILNS1_3genE5ELNS1_11target_archE942ELNS1_3gpuE9ELNS1_3repE0EEENS1_30default_config_static_selectorELNS0_4arch9wavefront6targetE0EEEvT1_.num_vgpr, 0
	.set _ZN7rocprim17ROCPRIM_400000_NS6detail17trampoline_kernelINS0_14default_configENS1_25partition_config_selectorILNS1_17partition_subalgoE5EdNS0_10empty_typeEbEEZZNS1_14partition_implILS5_5ELb0ES3_mN6thrust23THRUST_200600_302600_NS6detail15normal_iteratorINSA_10device_ptrIdEEEEPS6_NSA_18transform_iteratorINSB_9not_fun_tI7is_trueIdEEENSC_INSD_IbEEEENSA_11use_defaultESO_EENS0_5tupleIJNSA_16discard_iteratorISO_EES6_EEENSQ_IJSG_SG_EEES6_PlJS6_EEE10hipError_tPvRmT3_T4_T5_T6_T7_T9_mT8_P12ihipStream_tbDpT10_ENKUlT_T0_E_clISt17integral_constantIbLb0EES1E_IbLb1EEEEDaS1A_S1B_EUlS1A_E_NS1_11comp_targetILNS1_3genE5ELNS1_11target_archE942ELNS1_3gpuE9ELNS1_3repE0EEENS1_30default_config_static_selectorELNS0_4arch9wavefront6targetE0EEEvT1_.num_agpr, 0
	.set _ZN7rocprim17ROCPRIM_400000_NS6detail17trampoline_kernelINS0_14default_configENS1_25partition_config_selectorILNS1_17partition_subalgoE5EdNS0_10empty_typeEbEEZZNS1_14partition_implILS5_5ELb0ES3_mN6thrust23THRUST_200600_302600_NS6detail15normal_iteratorINSA_10device_ptrIdEEEEPS6_NSA_18transform_iteratorINSB_9not_fun_tI7is_trueIdEEENSC_INSD_IbEEEENSA_11use_defaultESO_EENS0_5tupleIJNSA_16discard_iteratorISO_EES6_EEENSQ_IJSG_SG_EEES6_PlJS6_EEE10hipError_tPvRmT3_T4_T5_T6_T7_T9_mT8_P12ihipStream_tbDpT10_ENKUlT_T0_E_clISt17integral_constantIbLb0EES1E_IbLb1EEEEDaS1A_S1B_EUlS1A_E_NS1_11comp_targetILNS1_3genE5ELNS1_11target_archE942ELNS1_3gpuE9ELNS1_3repE0EEENS1_30default_config_static_selectorELNS0_4arch9wavefront6targetE0EEEvT1_.numbered_sgpr, 0
	.set _ZN7rocprim17ROCPRIM_400000_NS6detail17trampoline_kernelINS0_14default_configENS1_25partition_config_selectorILNS1_17partition_subalgoE5EdNS0_10empty_typeEbEEZZNS1_14partition_implILS5_5ELb0ES3_mN6thrust23THRUST_200600_302600_NS6detail15normal_iteratorINSA_10device_ptrIdEEEEPS6_NSA_18transform_iteratorINSB_9not_fun_tI7is_trueIdEEENSC_INSD_IbEEEENSA_11use_defaultESO_EENS0_5tupleIJNSA_16discard_iteratorISO_EES6_EEENSQ_IJSG_SG_EEES6_PlJS6_EEE10hipError_tPvRmT3_T4_T5_T6_T7_T9_mT8_P12ihipStream_tbDpT10_ENKUlT_T0_E_clISt17integral_constantIbLb0EES1E_IbLb1EEEEDaS1A_S1B_EUlS1A_E_NS1_11comp_targetILNS1_3genE5ELNS1_11target_archE942ELNS1_3gpuE9ELNS1_3repE0EEENS1_30default_config_static_selectorELNS0_4arch9wavefront6targetE0EEEvT1_.num_named_barrier, 0
	.set _ZN7rocprim17ROCPRIM_400000_NS6detail17trampoline_kernelINS0_14default_configENS1_25partition_config_selectorILNS1_17partition_subalgoE5EdNS0_10empty_typeEbEEZZNS1_14partition_implILS5_5ELb0ES3_mN6thrust23THRUST_200600_302600_NS6detail15normal_iteratorINSA_10device_ptrIdEEEEPS6_NSA_18transform_iteratorINSB_9not_fun_tI7is_trueIdEEENSC_INSD_IbEEEENSA_11use_defaultESO_EENS0_5tupleIJNSA_16discard_iteratorISO_EES6_EEENSQ_IJSG_SG_EEES6_PlJS6_EEE10hipError_tPvRmT3_T4_T5_T6_T7_T9_mT8_P12ihipStream_tbDpT10_ENKUlT_T0_E_clISt17integral_constantIbLb0EES1E_IbLb1EEEEDaS1A_S1B_EUlS1A_E_NS1_11comp_targetILNS1_3genE5ELNS1_11target_archE942ELNS1_3gpuE9ELNS1_3repE0EEENS1_30default_config_static_selectorELNS0_4arch9wavefront6targetE0EEEvT1_.private_seg_size, 0
	.set _ZN7rocprim17ROCPRIM_400000_NS6detail17trampoline_kernelINS0_14default_configENS1_25partition_config_selectorILNS1_17partition_subalgoE5EdNS0_10empty_typeEbEEZZNS1_14partition_implILS5_5ELb0ES3_mN6thrust23THRUST_200600_302600_NS6detail15normal_iteratorINSA_10device_ptrIdEEEEPS6_NSA_18transform_iteratorINSB_9not_fun_tI7is_trueIdEEENSC_INSD_IbEEEENSA_11use_defaultESO_EENS0_5tupleIJNSA_16discard_iteratorISO_EES6_EEENSQ_IJSG_SG_EEES6_PlJS6_EEE10hipError_tPvRmT3_T4_T5_T6_T7_T9_mT8_P12ihipStream_tbDpT10_ENKUlT_T0_E_clISt17integral_constantIbLb0EES1E_IbLb1EEEEDaS1A_S1B_EUlS1A_E_NS1_11comp_targetILNS1_3genE5ELNS1_11target_archE942ELNS1_3gpuE9ELNS1_3repE0EEENS1_30default_config_static_selectorELNS0_4arch9wavefront6targetE0EEEvT1_.uses_vcc, 0
	.set _ZN7rocprim17ROCPRIM_400000_NS6detail17trampoline_kernelINS0_14default_configENS1_25partition_config_selectorILNS1_17partition_subalgoE5EdNS0_10empty_typeEbEEZZNS1_14partition_implILS5_5ELb0ES3_mN6thrust23THRUST_200600_302600_NS6detail15normal_iteratorINSA_10device_ptrIdEEEEPS6_NSA_18transform_iteratorINSB_9not_fun_tI7is_trueIdEEENSC_INSD_IbEEEENSA_11use_defaultESO_EENS0_5tupleIJNSA_16discard_iteratorISO_EES6_EEENSQ_IJSG_SG_EEES6_PlJS6_EEE10hipError_tPvRmT3_T4_T5_T6_T7_T9_mT8_P12ihipStream_tbDpT10_ENKUlT_T0_E_clISt17integral_constantIbLb0EES1E_IbLb1EEEEDaS1A_S1B_EUlS1A_E_NS1_11comp_targetILNS1_3genE5ELNS1_11target_archE942ELNS1_3gpuE9ELNS1_3repE0EEENS1_30default_config_static_selectorELNS0_4arch9wavefront6targetE0EEEvT1_.uses_flat_scratch, 0
	.set _ZN7rocprim17ROCPRIM_400000_NS6detail17trampoline_kernelINS0_14default_configENS1_25partition_config_selectorILNS1_17partition_subalgoE5EdNS0_10empty_typeEbEEZZNS1_14partition_implILS5_5ELb0ES3_mN6thrust23THRUST_200600_302600_NS6detail15normal_iteratorINSA_10device_ptrIdEEEEPS6_NSA_18transform_iteratorINSB_9not_fun_tI7is_trueIdEEENSC_INSD_IbEEEENSA_11use_defaultESO_EENS0_5tupleIJNSA_16discard_iteratorISO_EES6_EEENSQ_IJSG_SG_EEES6_PlJS6_EEE10hipError_tPvRmT3_T4_T5_T6_T7_T9_mT8_P12ihipStream_tbDpT10_ENKUlT_T0_E_clISt17integral_constantIbLb0EES1E_IbLb1EEEEDaS1A_S1B_EUlS1A_E_NS1_11comp_targetILNS1_3genE5ELNS1_11target_archE942ELNS1_3gpuE9ELNS1_3repE0EEENS1_30default_config_static_selectorELNS0_4arch9wavefront6targetE0EEEvT1_.has_dyn_sized_stack, 0
	.set _ZN7rocprim17ROCPRIM_400000_NS6detail17trampoline_kernelINS0_14default_configENS1_25partition_config_selectorILNS1_17partition_subalgoE5EdNS0_10empty_typeEbEEZZNS1_14partition_implILS5_5ELb0ES3_mN6thrust23THRUST_200600_302600_NS6detail15normal_iteratorINSA_10device_ptrIdEEEEPS6_NSA_18transform_iteratorINSB_9not_fun_tI7is_trueIdEEENSC_INSD_IbEEEENSA_11use_defaultESO_EENS0_5tupleIJNSA_16discard_iteratorISO_EES6_EEENSQ_IJSG_SG_EEES6_PlJS6_EEE10hipError_tPvRmT3_T4_T5_T6_T7_T9_mT8_P12ihipStream_tbDpT10_ENKUlT_T0_E_clISt17integral_constantIbLb0EES1E_IbLb1EEEEDaS1A_S1B_EUlS1A_E_NS1_11comp_targetILNS1_3genE5ELNS1_11target_archE942ELNS1_3gpuE9ELNS1_3repE0EEENS1_30default_config_static_selectorELNS0_4arch9wavefront6targetE0EEEvT1_.has_recursion, 0
	.set _ZN7rocprim17ROCPRIM_400000_NS6detail17trampoline_kernelINS0_14default_configENS1_25partition_config_selectorILNS1_17partition_subalgoE5EdNS0_10empty_typeEbEEZZNS1_14partition_implILS5_5ELb0ES3_mN6thrust23THRUST_200600_302600_NS6detail15normal_iteratorINSA_10device_ptrIdEEEEPS6_NSA_18transform_iteratorINSB_9not_fun_tI7is_trueIdEEENSC_INSD_IbEEEENSA_11use_defaultESO_EENS0_5tupleIJNSA_16discard_iteratorISO_EES6_EEENSQ_IJSG_SG_EEES6_PlJS6_EEE10hipError_tPvRmT3_T4_T5_T6_T7_T9_mT8_P12ihipStream_tbDpT10_ENKUlT_T0_E_clISt17integral_constantIbLb0EES1E_IbLb1EEEEDaS1A_S1B_EUlS1A_E_NS1_11comp_targetILNS1_3genE5ELNS1_11target_archE942ELNS1_3gpuE9ELNS1_3repE0EEENS1_30default_config_static_selectorELNS0_4arch9wavefront6targetE0EEEvT1_.has_indirect_call, 0
	.section	.AMDGPU.csdata,"",@progbits
; Kernel info:
; codeLenInByte = 0
; TotalNumSgprs: 0
; NumVgprs: 0
; ScratchSize: 0
; MemoryBound: 0
; FloatMode: 240
; IeeeMode: 1
; LDSByteSize: 0 bytes/workgroup (compile time only)
; SGPRBlocks: 0
; VGPRBlocks: 0
; NumSGPRsForWavesPerEU: 1
; NumVGPRsForWavesPerEU: 1
; Occupancy: 16
; WaveLimiterHint : 0
; COMPUTE_PGM_RSRC2:SCRATCH_EN: 0
; COMPUTE_PGM_RSRC2:USER_SGPR: 2
; COMPUTE_PGM_RSRC2:TRAP_HANDLER: 0
; COMPUTE_PGM_RSRC2:TGID_X_EN: 1
; COMPUTE_PGM_RSRC2:TGID_Y_EN: 0
; COMPUTE_PGM_RSRC2:TGID_Z_EN: 0
; COMPUTE_PGM_RSRC2:TIDIG_COMP_CNT: 0
	.section	.text._ZN7rocprim17ROCPRIM_400000_NS6detail17trampoline_kernelINS0_14default_configENS1_25partition_config_selectorILNS1_17partition_subalgoE5EdNS0_10empty_typeEbEEZZNS1_14partition_implILS5_5ELb0ES3_mN6thrust23THRUST_200600_302600_NS6detail15normal_iteratorINSA_10device_ptrIdEEEEPS6_NSA_18transform_iteratorINSB_9not_fun_tI7is_trueIdEEENSC_INSD_IbEEEENSA_11use_defaultESO_EENS0_5tupleIJNSA_16discard_iteratorISO_EES6_EEENSQ_IJSG_SG_EEES6_PlJS6_EEE10hipError_tPvRmT3_T4_T5_T6_T7_T9_mT8_P12ihipStream_tbDpT10_ENKUlT_T0_E_clISt17integral_constantIbLb0EES1E_IbLb1EEEEDaS1A_S1B_EUlS1A_E_NS1_11comp_targetILNS1_3genE4ELNS1_11target_archE910ELNS1_3gpuE8ELNS1_3repE0EEENS1_30default_config_static_selectorELNS0_4arch9wavefront6targetE0EEEvT1_,"axG",@progbits,_ZN7rocprim17ROCPRIM_400000_NS6detail17trampoline_kernelINS0_14default_configENS1_25partition_config_selectorILNS1_17partition_subalgoE5EdNS0_10empty_typeEbEEZZNS1_14partition_implILS5_5ELb0ES3_mN6thrust23THRUST_200600_302600_NS6detail15normal_iteratorINSA_10device_ptrIdEEEEPS6_NSA_18transform_iteratorINSB_9not_fun_tI7is_trueIdEEENSC_INSD_IbEEEENSA_11use_defaultESO_EENS0_5tupleIJNSA_16discard_iteratorISO_EES6_EEENSQ_IJSG_SG_EEES6_PlJS6_EEE10hipError_tPvRmT3_T4_T5_T6_T7_T9_mT8_P12ihipStream_tbDpT10_ENKUlT_T0_E_clISt17integral_constantIbLb0EES1E_IbLb1EEEEDaS1A_S1B_EUlS1A_E_NS1_11comp_targetILNS1_3genE4ELNS1_11target_archE910ELNS1_3gpuE8ELNS1_3repE0EEENS1_30default_config_static_selectorELNS0_4arch9wavefront6targetE0EEEvT1_,comdat
	.protected	_ZN7rocprim17ROCPRIM_400000_NS6detail17trampoline_kernelINS0_14default_configENS1_25partition_config_selectorILNS1_17partition_subalgoE5EdNS0_10empty_typeEbEEZZNS1_14partition_implILS5_5ELb0ES3_mN6thrust23THRUST_200600_302600_NS6detail15normal_iteratorINSA_10device_ptrIdEEEEPS6_NSA_18transform_iteratorINSB_9not_fun_tI7is_trueIdEEENSC_INSD_IbEEEENSA_11use_defaultESO_EENS0_5tupleIJNSA_16discard_iteratorISO_EES6_EEENSQ_IJSG_SG_EEES6_PlJS6_EEE10hipError_tPvRmT3_T4_T5_T6_T7_T9_mT8_P12ihipStream_tbDpT10_ENKUlT_T0_E_clISt17integral_constantIbLb0EES1E_IbLb1EEEEDaS1A_S1B_EUlS1A_E_NS1_11comp_targetILNS1_3genE4ELNS1_11target_archE910ELNS1_3gpuE8ELNS1_3repE0EEENS1_30default_config_static_selectorELNS0_4arch9wavefront6targetE0EEEvT1_ ; -- Begin function _ZN7rocprim17ROCPRIM_400000_NS6detail17trampoline_kernelINS0_14default_configENS1_25partition_config_selectorILNS1_17partition_subalgoE5EdNS0_10empty_typeEbEEZZNS1_14partition_implILS5_5ELb0ES3_mN6thrust23THRUST_200600_302600_NS6detail15normal_iteratorINSA_10device_ptrIdEEEEPS6_NSA_18transform_iteratorINSB_9not_fun_tI7is_trueIdEEENSC_INSD_IbEEEENSA_11use_defaultESO_EENS0_5tupleIJNSA_16discard_iteratorISO_EES6_EEENSQ_IJSG_SG_EEES6_PlJS6_EEE10hipError_tPvRmT3_T4_T5_T6_T7_T9_mT8_P12ihipStream_tbDpT10_ENKUlT_T0_E_clISt17integral_constantIbLb0EES1E_IbLb1EEEEDaS1A_S1B_EUlS1A_E_NS1_11comp_targetILNS1_3genE4ELNS1_11target_archE910ELNS1_3gpuE8ELNS1_3repE0EEENS1_30default_config_static_selectorELNS0_4arch9wavefront6targetE0EEEvT1_
	.globl	_ZN7rocprim17ROCPRIM_400000_NS6detail17trampoline_kernelINS0_14default_configENS1_25partition_config_selectorILNS1_17partition_subalgoE5EdNS0_10empty_typeEbEEZZNS1_14partition_implILS5_5ELb0ES3_mN6thrust23THRUST_200600_302600_NS6detail15normal_iteratorINSA_10device_ptrIdEEEEPS6_NSA_18transform_iteratorINSB_9not_fun_tI7is_trueIdEEENSC_INSD_IbEEEENSA_11use_defaultESO_EENS0_5tupleIJNSA_16discard_iteratorISO_EES6_EEENSQ_IJSG_SG_EEES6_PlJS6_EEE10hipError_tPvRmT3_T4_T5_T6_T7_T9_mT8_P12ihipStream_tbDpT10_ENKUlT_T0_E_clISt17integral_constantIbLb0EES1E_IbLb1EEEEDaS1A_S1B_EUlS1A_E_NS1_11comp_targetILNS1_3genE4ELNS1_11target_archE910ELNS1_3gpuE8ELNS1_3repE0EEENS1_30default_config_static_selectorELNS0_4arch9wavefront6targetE0EEEvT1_
	.p2align	8
	.type	_ZN7rocprim17ROCPRIM_400000_NS6detail17trampoline_kernelINS0_14default_configENS1_25partition_config_selectorILNS1_17partition_subalgoE5EdNS0_10empty_typeEbEEZZNS1_14partition_implILS5_5ELb0ES3_mN6thrust23THRUST_200600_302600_NS6detail15normal_iteratorINSA_10device_ptrIdEEEEPS6_NSA_18transform_iteratorINSB_9not_fun_tI7is_trueIdEEENSC_INSD_IbEEEENSA_11use_defaultESO_EENS0_5tupleIJNSA_16discard_iteratorISO_EES6_EEENSQ_IJSG_SG_EEES6_PlJS6_EEE10hipError_tPvRmT3_T4_T5_T6_T7_T9_mT8_P12ihipStream_tbDpT10_ENKUlT_T0_E_clISt17integral_constantIbLb0EES1E_IbLb1EEEEDaS1A_S1B_EUlS1A_E_NS1_11comp_targetILNS1_3genE4ELNS1_11target_archE910ELNS1_3gpuE8ELNS1_3repE0EEENS1_30default_config_static_selectorELNS0_4arch9wavefront6targetE0EEEvT1_,@function
_ZN7rocprim17ROCPRIM_400000_NS6detail17trampoline_kernelINS0_14default_configENS1_25partition_config_selectorILNS1_17partition_subalgoE5EdNS0_10empty_typeEbEEZZNS1_14partition_implILS5_5ELb0ES3_mN6thrust23THRUST_200600_302600_NS6detail15normal_iteratorINSA_10device_ptrIdEEEEPS6_NSA_18transform_iteratorINSB_9not_fun_tI7is_trueIdEEENSC_INSD_IbEEEENSA_11use_defaultESO_EENS0_5tupleIJNSA_16discard_iteratorISO_EES6_EEENSQ_IJSG_SG_EEES6_PlJS6_EEE10hipError_tPvRmT3_T4_T5_T6_T7_T9_mT8_P12ihipStream_tbDpT10_ENKUlT_T0_E_clISt17integral_constantIbLb0EES1E_IbLb1EEEEDaS1A_S1B_EUlS1A_E_NS1_11comp_targetILNS1_3genE4ELNS1_11target_archE910ELNS1_3gpuE8ELNS1_3repE0EEENS1_30default_config_static_selectorELNS0_4arch9wavefront6targetE0EEEvT1_: ; @_ZN7rocprim17ROCPRIM_400000_NS6detail17trampoline_kernelINS0_14default_configENS1_25partition_config_selectorILNS1_17partition_subalgoE5EdNS0_10empty_typeEbEEZZNS1_14partition_implILS5_5ELb0ES3_mN6thrust23THRUST_200600_302600_NS6detail15normal_iteratorINSA_10device_ptrIdEEEEPS6_NSA_18transform_iteratorINSB_9not_fun_tI7is_trueIdEEENSC_INSD_IbEEEENSA_11use_defaultESO_EENS0_5tupleIJNSA_16discard_iteratorISO_EES6_EEENSQ_IJSG_SG_EEES6_PlJS6_EEE10hipError_tPvRmT3_T4_T5_T6_T7_T9_mT8_P12ihipStream_tbDpT10_ENKUlT_T0_E_clISt17integral_constantIbLb0EES1E_IbLb1EEEEDaS1A_S1B_EUlS1A_E_NS1_11comp_targetILNS1_3genE4ELNS1_11target_archE910ELNS1_3gpuE8ELNS1_3repE0EEENS1_30default_config_static_selectorELNS0_4arch9wavefront6targetE0EEEvT1_
; %bb.0:
	.section	.rodata,"a",@progbits
	.p2align	6, 0x0
	.amdhsa_kernel _ZN7rocprim17ROCPRIM_400000_NS6detail17trampoline_kernelINS0_14default_configENS1_25partition_config_selectorILNS1_17partition_subalgoE5EdNS0_10empty_typeEbEEZZNS1_14partition_implILS5_5ELb0ES3_mN6thrust23THRUST_200600_302600_NS6detail15normal_iteratorINSA_10device_ptrIdEEEEPS6_NSA_18transform_iteratorINSB_9not_fun_tI7is_trueIdEEENSC_INSD_IbEEEENSA_11use_defaultESO_EENS0_5tupleIJNSA_16discard_iteratorISO_EES6_EEENSQ_IJSG_SG_EEES6_PlJS6_EEE10hipError_tPvRmT3_T4_T5_T6_T7_T9_mT8_P12ihipStream_tbDpT10_ENKUlT_T0_E_clISt17integral_constantIbLb0EES1E_IbLb1EEEEDaS1A_S1B_EUlS1A_E_NS1_11comp_targetILNS1_3genE4ELNS1_11target_archE910ELNS1_3gpuE8ELNS1_3repE0EEENS1_30default_config_static_selectorELNS0_4arch9wavefront6targetE0EEEvT1_
		.amdhsa_group_segment_fixed_size 0
		.amdhsa_private_segment_fixed_size 0
		.amdhsa_kernarg_size 144
		.amdhsa_user_sgpr_count 2
		.amdhsa_user_sgpr_dispatch_ptr 0
		.amdhsa_user_sgpr_queue_ptr 0
		.amdhsa_user_sgpr_kernarg_segment_ptr 1
		.amdhsa_user_sgpr_dispatch_id 0
		.amdhsa_user_sgpr_private_segment_size 0
		.amdhsa_wavefront_size32 1
		.amdhsa_uses_dynamic_stack 0
		.amdhsa_enable_private_segment 0
		.amdhsa_system_sgpr_workgroup_id_x 1
		.amdhsa_system_sgpr_workgroup_id_y 0
		.amdhsa_system_sgpr_workgroup_id_z 0
		.amdhsa_system_sgpr_workgroup_info 0
		.amdhsa_system_vgpr_workitem_id 0
		.amdhsa_next_free_vgpr 1
		.amdhsa_next_free_sgpr 1
		.amdhsa_reserve_vcc 0
		.amdhsa_float_round_mode_32 0
		.amdhsa_float_round_mode_16_64 0
		.amdhsa_float_denorm_mode_32 3
		.amdhsa_float_denorm_mode_16_64 3
		.amdhsa_fp16_overflow 0
		.amdhsa_workgroup_processor_mode 1
		.amdhsa_memory_ordered 1
		.amdhsa_forward_progress 1
		.amdhsa_inst_pref_size 0
		.amdhsa_round_robin_scheduling 0
		.amdhsa_exception_fp_ieee_invalid_op 0
		.amdhsa_exception_fp_denorm_src 0
		.amdhsa_exception_fp_ieee_div_zero 0
		.amdhsa_exception_fp_ieee_overflow 0
		.amdhsa_exception_fp_ieee_underflow 0
		.amdhsa_exception_fp_ieee_inexact 0
		.amdhsa_exception_int_div_zero 0
	.end_amdhsa_kernel
	.section	.text._ZN7rocprim17ROCPRIM_400000_NS6detail17trampoline_kernelINS0_14default_configENS1_25partition_config_selectorILNS1_17partition_subalgoE5EdNS0_10empty_typeEbEEZZNS1_14partition_implILS5_5ELb0ES3_mN6thrust23THRUST_200600_302600_NS6detail15normal_iteratorINSA_10device_ptrIdEEEEPS6_NSA_18transform_iteratorINSB_9not_fun_tI7is_trueIdEEENSC_INSD_IbEEEENSA_11use_defaultESO_EENS0_5tupleIJNSA_16discard_iteratorISO_EES6_EEENSQ_IJSG_SG_EEES6_PlJS6_EEE10hipError_tPvRmT3_T4_T5_T6_T7_T9_mT8_P12ihipStream_tbDpT10_ENKUlT_T0_E_clISt17integral_constantIbLb0EES1E_IbLb1EEEEDaS1A_S1B_EUlS1A_E_NS1_11comp_targetILNS1_3genE4ELNS1_11target_archE910ELNS1_3gpuE8ELNS1_3repE0EEENS1_30default_config_static_selectorELNS0_4arch9wavefront6targetE0EEEvT1_,"axG",@progbits,_ZN7rocprim17ROCPRIM_400000_NS6detail17trampoline_kernelINS0_14default_configENS1_25partition_config_selectorILNS1_17partition_subalgoE5EdNS0_10empty_typeEbEEZZNS1_14partition_implILS5_5ELb0ES3_mN6thrust23THRUST_200600_302600_NS6detail15normal_iteratorINSA_10device_ptrIdEEEEPS6_NSA_18transform_iteratorINSB_9not_fun_tI7is_trueIdEEENSC_INSD_IbEEEENSA_11use_defaultESO_EENS0_5tupleIJNSA_16discard_iteratorISO_EES6_EEENSQ_IJSG_SG_EEES6_PlJS6_EEE10hipError_tPvRmT3_T4_T5_T6_T7_T9_mT8_P12ihipStream_tbDpT10_ENKUlT_T0_E_clISt17integral_constantIbLb0EES1E_IbLb1EEEEDaS1A_S1B_EUlS1A_E_NS1_11comp_targetILNS1_3genE4ELNS1_11target_archE910ELNS1_3gpuE8ELNS1_3repE0EEENS1_30default_config_static_selectorELNS0_4arch9wavefront6targetE0EEEvT1_,comdat
.Lfunc_end2615:
	.size	_ZN7rocprim17ROCPRIM_400000_NS6detail17trampoline_kernelINS0_14default_configENS1_25partition_config_selectorILNS1_17partition_subalgoE5EdNS0_10empty_typeEbEEZZNS1_14partition_implILS5_5ELb0ES3_mN6thrust23THRUST_200600_302600_NS6detail15normal_iteratorINSA_10device_ptrIdEEEEPS6_NSA_18transform_iteratorINSB_9not_fun_tI7is_trueIdEEENSC_INSD_IbEEEENSA_11use_defaultESO_EENS0_5tupleIJNSA_16discard_iteratorISO_EES6_EEENSQ_IJSG_SG_EEES6_PlJS6_EEE10hipError_tPvRmT3_T4_T5_T6_T7_T9_mT8_P12ihipStream_tbDpT10_ENKUlT_T0_E_clISt17integral_constantIbLb0EES1E_IbLb1EEEEDaS1A_S1B_EUlS1A_E_NS1_11comp_targetILNS1_3genE4ELNS1_11target_archE910ELNS1_3gpuE8ELNS1_3repE0EEENS1_30default_config_static_selectorELNS0_4arch9wavefront6targetE0EEEvT1_, .Lfunc_end2615-_ZN7rocprim17ROCPRIM_400000_NS6detail17trampoline_kernelINS0_14default_configENS1_25partition_config_selectorILNS1_17partition_subalgoE5EdNS0_10empty_typeEbEEZZNS1_14partition_implILS5_5ELb0ES3_mN6thrust23THRUST_200600_302600_NS6detail15normal_iteratorINSA_10device_ptrIdEEEEPS6_NSA_18transform_iteratorINSB_9not_fun_tI7is_trueIdEEENSC_INSD_IbEEEENSA_11use_defaultESO_EENS0_5tupleIJNSA_16discard_iteratorISO_EES6_EEENSQ_IJSG_SG_EEES6_PlJS6_EEE10hipError_tPvRmT3_T4_T5_T6_T7_T9_mT8_P12ihipStream_tbDpT10_ENKUlT_T0_E_clISt17integral_constantIbLb0EES1E_IbLb1EEEEDaS1A_S1B_EUlS1A_E_NS1_11comp_targetILNS1_3genE4ELNS1_11target_archE910ELNS1_3gpuE8ELNS1_3repE0EEENS1_30default_config_static_selectorELNS0_4arch9wavefront6targetE0EEEvT1_
                                        ; -- End function
	.set _ZN7rocprim17ROCPRIM_400000_NS6detail17trampoline_kernelINS0_14default_configENS1_25partition_config_selectorILNS1_17partition_subalgoE5EdNS0_10empty_typeEbEEZZNS1_14partition_implILS5_5ELb0ES3_mN6thrust23THRUST_200600_302600_NS6detail15normal_iteratorINSA_10device_ptrIdEEEEPS6_NSA_18transform_iteratorINSB_9not_fun_tI7is_trueIdEEENSC_INSD_IbEEEENSA_11use_defaultESO_EENS0_5tupleIJNSA_16discard_iteratorISO_EES6_EEENSQ_IJSG_SG_EEES6_PlJS6_EEE10hipError_tPvRmT3_T4_T5_T6_T7_T9_mT8_P12ihipStream_tbDpT10_ENKUlT_T0_E_clISt17integral_constantIbLb0EES1E_IbLb1EEEEDaS1A_S1B_EUlS1A_E_NS1_11comp_targetILNS1_3genE4ELNS1_11target_archE910ELNS1_3gpuE8ELNS1_3repE0EEENS1_30default_config_static_selectorELNS0_4arch9wavefront6targetE0EEEvT1_.num_vgpr, 0
	.set _ZN7rocprim17ROCPRIM_400000_NS6detail17trampoline_kernelINS0_14default_configENS1_25partition_config_selectorILNS1_17partition_subalgoE5EdNS0_10empty_typeEbEEZZNS1_14partition_implILS5_5ELb0ES3_mN6thrust23THRUST_200600_302600_NS6detail15normal_iteratorINSA_10device_ptrIdEEEEPS6_NSA_18transform_iteratorINSB_9not_fun_tI7is_trueIdEEENSC_INSD_IbEEEENSA_11use_defaultESO_EENS0_5tupleIJNSA_16discard_iteratorISO_EES6_EEENSQ_IJSG_SG_EEES6_PlJS6_EEE10hipError_tPvRmT3_T4_T5_T6_T7_T9_mT8_P12ihipStream_tbDpT10_ENKUlT_T0_E_clISt17integral_constantIbLb0EES1E_IbLb1EEEEDaS1A_S1B_EUlS1A_E_NS1_11comp_targetILNS1_3genE4ELNS1_11target_archE910ELNS1_3gpuE8ELNS1_3repE0EEENS1_30default_config_static_selectorELNS0_4arch9wavefront6targetE0EEEvT1_.num_agpr, 0
	.set _ZN7rocprim17ROCPRIM_400000_NS6detail17trampoline_kernelINS0_14default_configENS1_25partition_config_selectorILNS1_17partition_subalgoE5EdNS0_10empty_typeEbEEZZNS1_14partition_implILS5_5ELb0ES3_mN6thrust23THRUST_200600_302600_NS6detail15normal_iteratorINSA_10device_ptrIdEEEEPS6_NSA_18transform_iteratorINSB_9not_fun_tI7is_trueIdEEENSC_INSD_IbEEEENSA_11use_defaultESO_EENS0_5tupleIJNSA_16discard_iteratorISO_EES6_EEENSQ_IJSG_SG_EEES6_PlJS6_EEE10hipError_tPvRmT3_T4_T5_T6_T7_T9_mT8_P12ihipStream_tbDpT10_ENKUlT_T0_E_clISt17integral_constantIbLb0EES1E_IbLb1EEEEDaS1A_S1B_EUlS1A_E_NS1_11comp_targetILNS1_3genE4ELNS1_11target_archE910ELNS1_3gpuE8ELNS1_3repE0EEENS1_30default_config_static_selectorELNS0_4arch9wavefront6targetE0EEEvT1_.numbered_sgpr, 0
	.set _ZN7rocprim17ROCPRIM_400000_NS6detail17trampoline_kernelINS0_14default_configENS1_25partition_config_selectorILNS1_17partition_subalgoE5EdNS0_10empty_typeEbEEZZNS1_14partition_implILS5_5ELb0ES3_mN6thrust23THRUST_200600_302600_NS6detail15normal_iteratorINSA_10device_ptrIdEEEEPS6_NSA_18transform_iteratorINSB_9not_fun_tI7is_trueIdEEENSC_INSD_IbEEEENSA_11use_defaultESO_EENS0_5tupleIJNSA_16discard_iteratorISO_EES6_EEENSQ_IJSG_SG_EEES6_PlJS6_EEE10hipError_tPvRmT3_T4_T5_T6_T7_T9_mT8_P12ihipStream_tbDpT10_ENKUlT_T0_E_clISt17integral_constantIbLb0EES1E_IbLb1EEEEDaS1A_S1B_EUlS1A_E_NS1_11comp_targetILNS1_3genE4ELNS1_11target_archE910ELNS1_3gpuE8ELNS1_3repE0EEENS1_30default_config_static_selectorELNS0_4arch9wavefront6targetE0EEEvT1_.num_named_barrier, 0
	.set _ZN7rocprim17ROCPRIM_400000_NS6detail17trampoline_kernelINS0_14default_configENS1_25partition_config_selectorILNS1_17partition_subalgoE5EdNS0_10empty_typeEbEEZZNS1_14partition_implILS5_5ELb0ES3_mN6thrust23THRUST_200600_302600_NS6detail15normal_iteratorINSA_10device_ptrIdEEEEPS6_NSA_18transform_iteratorINSB_9not_fun_tI7is_trueIdEEENSC_INSD_IbEEEENSA_11use_defaultESO_EENS0_5tupleIJNSA_16discard_iteratorISO_EES6_EEENSQ_IJSG_SG_EEES6_PlJS6_EEE10hipError_tPvRmT3_T4_T5_T6_T7_T9_mT8_P12ihipStream_tbDpT10_ENKUlT_T0_E_clISt17integral_constantIbLb0EES1E_IbLb1EEEEDaS1A_S1B_EUlS1A_E_NS1_11comp_targetILNS1_3genE4ELNS1_11target_archE910ELNS1_3gpuE8ELNS1_3repE0EEENS1_30default_config_static_selectorELNS0_4arch9wavefront6targetE0EEEvT1_.private_seg_size, 0
	.set _ZN7rocprim17ROCPRIM_400000_NS6detail17trampoline_kernelINS0_14default_configENS1_25partition_config_selectorILNS1_17partition_subalgoE5EdNS0_10empty_typeEbEEZZNS1_14partition_implILS5_5ELb0ES3_mN6thrust23THRUST_200600_302600_NS6detail15normal_iteratorINSA_10device_ptrIdEEEEPS6_NSA_18transform_iteratorINSB_9not_fun_tI7is_trueIdEEENSC_INSD_IbEEEENSA_11use_defaultESO_EENS0_5tupleIJNSA_16discard_iteratorISO_EES6_EEENSQ_IJSG_SG_EEES6_PlJS6_EEE10hipError_tPvRmT3_T4_T5_T6_T7_T9_mT8_P12ihipStream_tbDpT10_ENKUlT_T0_E_clISt17integral_constantIbLb0EES1E_IbLb1EEEEDaS1A_S1B_EUlS1A_E_NS1_11comp_targetILNS1_3genE4ELNS1_11target_archE910ELNS1_3gpuE8ELNS1_3repE0EEENS1_30default_config_static_selectorELNS0_4arch9wavefront6targetE0EEEvT1_.uses_vcc, 0
	.set _ZN7rocprim17ROCPRIM_400000_NS6detail17trampoline_kernelINS0_14default_configENS1_25partition_config_selectorILNS1_17partition_subalgoE5EdNS0_10empty_typeEbEEZZNS1_14partition_implILS5_5ELb0ES3_mN6thrust23THRUST_200600_302600_NS6detail15normal_iteratorINSA_10device_ptrIdEEEEPS6_NSA_18transform_iteratorINSB_9not_fun_tI7is_trueIdEEENSC_INSD_IbEEEENSA_11use_defaultESO_EENS0_5tupleIJNSA_16discard_iteratorISO_EES6_EEENSQ_IJSG_SG_EEES6_PlJS6_EEE10hipError_tPvRmT3_T4_T5_T6_T7_T9_mT8_P12ihipStream_tbDpT10_ENKUlT_T0_E_clISt17integral_constantIbLb0EES1E_IbLb1EEEEDaS1A_S1B_EUlS1A_E_NS1_11comp_targetILNS1_3genE4ELNS1_11target_archE910ELNS1_3gpuE8ELNS1_3repE0EEENS1_30default_config_static_selectorELNS0_4arch9wavefront6targetE0EEEvT1_.uses_flat_scratch, 0
	.set _ZN7rocprim17ROCPRIM_400000_NS6detail17trampoline_kernelINS0_14default_configENS1_25partition_config_selectorILNS1_17partition_subalgoE5EdNS0_10empty_typeEbEEZZNS1_14partition_implILS5_5ELb0ES3_mN6thrust23THRUST_200600_302600_NS6detail15normal_iteratorINSA_10device_ptrIdEEEEPS6_NSA_18transform_iteratorINSB_9not_fun_tI7is_trueIdEEENSC_INSD_IbEEEENSA_11use_defaultESO_EENS0_5tupleIJNSA_16discard_iteratorISO_EES6_EEENSQ_IJSG_SG_EEES6_PlJS6_EEE10hipError_tPvRmT3_T4_T5_T6_T7_T9_mT8_P12ihipStream_tbDpT10_ENKUlT_T0_E_clISt17integral_constantIbLb0EES1E_IbLb1EEEEDaS1A_S1B_EUlS1A_E_NS1_11comp_targetILNS1_3genE4ELNS1_11target_archE910ELNS1_3gpuE8ELNS1_3repE0EEENS1_30default_config_static_selectorELNS0_4arch9wavefront6targetE0EEEvT1_.has_dyn_sized_stack, 0
	.set _ZN7rocprim17ROCPRIM_400000_NS6detail17trampoline_kernelINS0_14default_configENS1_25partition_config_selectorILNS1_17partition_subalgoE5EdNS0_10empty_typeEbEEZZNS1_14partition_implILS5_5ELb0ES3_mN6thrust23THRUST_200600_302600_NS6detail15normal_iteratorINSA_10device_ptrIdEEEEPS6_NSA_18transform_iteratorINSB_9not_fun_tI7is_trueIdEEENSC_INSD_IbEEEENSA_11use_defaultESO_EENS0_5tupleIJNSA_16discard_iteratorISO_EES6_EEENSQ_IJSG_SG_EEES6_PlJS6_EEE10hipError_tPvRmT3_T4_T5_T6_T7_T9_mT8_P12ihipStream_tbDpT10_ENKUlT_T0_E_clISt17integral_constantIbLb0EES1E_IbLb1EEEEDaS1A_S1B_EUlS1A_E_NS1_11comp_targetILNS1_3genE4ELNS1_11target_archE910ELNS1_3gpuE8ELNS1_3repE0EEENS1_30default_config_static_selectorELNS0_4arch9wavefront6targetE0EEEvT1_.has_recursion, 0
	.set _ZN7rocprim17ROCPRIM_400000_NS6detail17trampoline_kernelINS0_14default_configENS1_25partition_config_selectorILNS1_17partition_subalgoE5EdNS0_10empty_typeEbEEZZNS1_14partition_implILS5_5ELb0ES3_mN6thrust23THRUST_200600_302600_NS6detail15normal_iteratorINSA_10device_ptrIdEEEEPS6_NSA_18transform_iteratorINSB_9not_fun_tI7is_trueIdEEENSC_INSD_IbEEEENSA_11use_defaultESO_EENS0_5tupleIJNSA_16discard_iteratorISO_EES6_EEENSQ_IJSG_SG_EEES6_PlJS6_EEE10hipError_tPvRmT3_T4_T5_T6_T7_T9_mT8_P12ihipStream_tbDpT10_ENKUlT_T0_E_clISt17integral_constantIbLb0EES1E_IbLb1EEEEDaS1A_S1B_EUlS1A_E_NS1_11comp_targetILNS1_3genE4ELNS1_11target_archE910ELNS1_3gpuE8ELNS1_3repE0EEENS1_30default_config_static_selectorELNS0_4arch9wavefront6targetE0EEEvT1_.has_indirect_call, 0
	.section	.AMDGPU.csdata,"",@progbits
; Kernel info:
; codeLenInByte = 0
; TotalNumSgprs: 0
; NumVgprs: 0
; ScratchSize: 0
; MemoryBound: 0
; FloatMode: 240
; IeeeMode: 1
; LDSByteSize: 0 bytes/workgroup (compile time only)
; SGPRBlocks: 0
; VGPRBlocks: 0
; NumSGPRsForWavesPerEU: 1
; NumVGPRsForWavesPerEU: 1
; Occupancy: 16
; WaveLimiterHint : 0
; COMPUTE_PGM_RSRC2:SCRATCH_EN: 0
; COMPUTE_PGM_RSRC2:USER_SGPR: 2
; COMPUTE_PGM_RSRC2:TRAP_HANDLER: 0
; COMPUTE_PGM_RSRC2:TGID_X_EN: 1
; COMPUTE_PGM_RSRC2:TGID_Y_EN: 0
; COMPUTE_PGM_RSRC2:TGID_Z_EN: 0
; COMPUTE_PGM_RSRC2:TIDIG_COMP_CNT: 0
	.section	.text._ZN7rocprim17ROCPRIM_400000_NS6detail17trampoline_kernelINS0_14default_configENS1_25partition_config_selectorILNS1_17partition_subalgoE5EdNS0_10empty_typeEbEEZZNS1_14partition_implILS5_5ELb0ES3_mN6thrust23THRUST_200600_302600_NS6detail15normal_iteratorINSA_10device_ptrIdEEEEPS6_NSA_18transform_iteratorINSB_9not_fun_tI7is_trueIdEEENSC_INSD_IbEEEENSA_11use_defaultESO_EENS0_5tupleIJNSA_16discard_iteratorISO_EES6_EEENSQ_IJSG_SG_EEES6_PlJS6_EEE10hipError_tPvRmT3_T4_T5_T6_T7_T9_mT8_P12ihipStream_tbDpT10_ENKUlT_T0_E_clISt17integral_constantIbLb0EES1E_IbLb1EEEEDaS1A_S1B_EUlS1A_E_NS1_11comp_targetILNS1_3genE3ELNS1_11target_archE908ELNS1_3gpuE7ELNS1_3repE0EEENS1_30default_config_static_selectorELNS0_4arch9wavefront6targetE0EEEvT1_,"axG",@progbits,_ZN7rocprim17ROCPRIM_400000_NS6detail17trampoline_kernelINS0_14default_configENS1_25partition_config_selectorILNS1_17partition_subalgoE5EdNS0_10empty_typeEbEEZZNS1_14partition_implILS5_5ELb0ES3_mN6thrust23THRUST_200600_302600_NS6detail15normal_iteratorINSA_10device_ptrIdEEEEPS6_NSA_18transform_iteratorINSB_9not_fun_tI7is_trueIdEEENSC_INSD_IbEEEENSA_11use_defaultESO_EENS0_5tupleIJNSA_16discard_iteratorISO_EES6_EEENSQ_IJSG_SG_EEES6_PlJS6_EEE10hipError_tPvRmT3_T4_T5_T6_T7_T9_mT8_P12ihipStream_tbDpT10_ENKUlT_T0_E_clISt17integral_constantIbLb0EES1E_IbLb1EEEEDaS1A_S1B_EUlS1A_E_NS1_11comp_targetILNS1_3genE3ELNS1_11target_archE908ELNS1_3gpuE7ELNS1_3repE0EEENS1_30default_config_static_selectorELNS0_4arch9wavefront6targetE0EEEvT1_,comdat
	.protected	_ZN7rocprim17ROCPRIM_400000_NS6detail17trampoline_kernelINS0_14default_configENS1_25partition_config_selectorILNS1_17partition_subalgoE5EdNS0_10empty_typeEbEEZZNS1_14partition_implILS5_5ELb0ES3_mN6thrust23THRUST_200600_302600_NS6detail15normal_iteratorINSA_10device_ptrIdEEEEPS6_NSA_18transform_iteratorINSB_9not_fun_tI7is_trueIdEEENSC_INSD_IbEEEENSA_11use_defaultESO_EENS0_5tupleIJNSA_16discard_iteratorISO_EES6_EEENSQ_IJSG_SG_EEES6_PlJS6_EEE10hipError_tPvRmT3_T4_T5_T6_T7_T9_mT8_P12ihipStream_tbDpT10_ENKUlT_T0_E_clISt17integral_constantIbLb0EES1E_IbLb1EEEEDaS1A_S1B_EUlS1A_E_NS1_11comp_targetILNS1_3genE3ELNS1_11target_archE908ELNS1_3gpuE7ELNS1_3repE0EEENS1_30default_config_static_selectorELNS0_4arch9wavefront6targetE0EEEvT1_ ; -- Begin function _ZN7rocprim17ROCPRIM_400000_NS6detail17trampoline_kernelINS0_14default_configENS1_25partition_config_selectorILNS1_17partition_subalgoE5EdNS0_10empty_typeEbEEZZNS1_14partition_implILS5_5ELb0ES3_mN6thrust23THRUST_200600_302600_NS6detail15normal_iteratorINSA_10device_ptrIdEEEEPS6_NSA_18transform_iteratorINSB_9not_fun_tI7is_trueIdEEENSC_INSD_IbEEEENSA_11use_defaultESO_EENS0_5tupleIJNSA_16discard_iteratorISO_EES6_EEENSQ_IJSG_SG_EEES6_PlJS6_EEE10hipError_tPvRmT3_T4_T5_T6_T7_T9_mT8_P12ihipStream_tbDpT10_ENKUlT_T0_E_clISt17integral_constantIbLb0EES1E_IbLb1EEEEDaS1A_S1B_EUlS1A_E_NS1_11comp_targetILNS1_3genE3ELNS1_11target_archE908ELNS1_3gpuE7ELNS1_3repE0EEENS1_30default_config_static_selectorELNS0_4arch9wavefront6targetE0EEEvT1_
	.globl	_ZN7rocprim17ROCPRIM_400000_NS6detail17trampoline_kernelINS0_14default_configENS1_25partition_config_selectorILNS1_17partition_subalgoE5EdNS0_10empty_typeEbEEZZNS1_14partition_implILS5_5ELb0ES3_mN6thrust23THRUST_200600_302600_NS6detail15normal_iteratorINSA_10device_ptrIdEEEEPS6_NSA_18transform_iteratorINSB_9not_fun_tI7is_trueIdEEENSC_INSD_IbEEEENSA_11use_defaultESO_EENS0_5tupleIJNSA_16discard_iteratorISO_EES6_EEENSQ_IJSG_SG_EEES6_PlJS6_EEE10hipError_tPvRmT3_T4_T5_T6_T7_T9_mT8_P12ihipStream_tbDpT10_ENKUlT_T0_E_clISt17integral_constantIbLb0EES1E_IbLb1EEEEDaS1A_S1B_EUlS1A_E_NS1_11comp_targetILNS1_3genE3ELNS1_11target_archE908ELNS1_3gpuE7ELNS1_3repE0EEENS1_30default_config_static_selectorELNS0_4arch9wavefront6targetE0EEEvT1_
	.p2align	8
	.type	_ZN7rocprim17ROCPRIM_400000_NS6detail17trampoline_kernelINS0_14default_configENS1_25partition_config_selectorILNS1_17partition_subalgoE5EdNS0_10empty_typeEbEEZZNS1_14partition_implILS5_5ELb0ES3_mN6thrust23THRUST_200600_302600_NS6detail15normal_iteratorINSA_10device_ptrIdEEEEPS6_NSA_18transform_iteratorINSB_9not_fun_tI7is_trueIdEEENSC_INSD_IbEEEENSA_11use_defaultESO_EENS0_5tupleIJNSA_16discard_iteratorISO_EES6_EEENSQ_IJSG_SG_EEES6_PlJS6_EEE10hipError_tPvRmT3_T4_T5_T6_T7_T9_mT8_P12ihipStream_tbDpT10_ENKUlT_T0_E_clISt17integral_constantIbLb0EES1E_IbLb1EEEEDaS1A_S1B_EUlS1A_E_NS1_11comp_targetILNS1_3genE3ELNS1_11target_archE908ELNS1_3gpuE7ELNS1_3repE0EEENS1_30default_config_static_selectorELNS0_4arch9wavefront6targetE0EEEvT1_,@function
_ZN7rocprim17ROCPRIM_400000_NS6detail17trampoline_kernelINS0_14default_configENS1_25partition_config_selectorILNS1_17partition_subalgoE5EdNS0_10empty_typeEbEEZZNS1_14partition_implILS5_5ELb0ES3_mN6thrust23THRUST_200600_302600_NS6detail15normal_iteratorINSA_10device_ptrIdEEEEPS6_NSA_18transform_iteratorINSB_9not_fun_tI7is_trueIdEEENSC_INSD_IbEEEENSA_11use_defaultESO_EENS0_5tupleIJNSA_16discard_iteratorISO_EES6_EEENSQ_IJSG_SG_EEES6_PlJS6_EEE10hipError_tPvRmT3_T4_T5_T6_T7_T9_mT8_P12ihipStream_tbDpT10_ENKUlT_T0_E_clISt17integral_constantIbLb0EES1E_IbLb1EEEEDaS1A_S1B_EUlS1A_E_NS1_11comp_targetILNS1_3genE3ELNS1_11target_archE908ELNS1_3gpuE7ELNS1_3repE0EEENS1_30default_config_static_selectorELNS0_4arch9wavefront6targetE0EEEvT1_: ; @_ZN7rocprim17ROCPRIM_400000_NS6detail17trampoline_kernelINS0_14default_configENS1_25partition_config_selectorILNS1_17partition_subalgoE5EdNS0_10empty_typeEbEEZZNS1_14partition_implILS5_5ELb0ES3_mN6thrust23THRUST_200600_302600_NS6detail15normal_iteratorINSA_10device_ptrIdEEEEPS6_NSA_18transform_iteratorINSB_9not_fun_tI7is_trueIdEEENSC_INSD_IbEEEENSA_11use_defaultESO_EENS0_5tupleIJNSA_16discard_iteratorISO_EES6_EEENSQ_IJSG_SG_EEES6_PlJS6_EEE10hipError_tPvRmT3_T4_T5_T6_T7_T9_mT8_P12ihipStream_tbDpT10_ENKUlT_T0_E_clISt17integral_constantIbLb0EES1E_IbLb1EEEEDaS1A_S1B_EUlS1A_E_NS1_11comp_targetILNS1_3genE3ELNS1_11target_archE908ELNS1_3gpuE7ELNS1_3repE0EEENS1_30default_config_static_selectorELNS0_4arch9wavefront6targetE0EEEvT1_
; %bb.0:
	.section	.rodata,"a",@progbits
	.p2align	6, 0x0
	.amdhsa_kernel _ZN7rocprim17ROCPRIM_400000_NS6detail17trampoline_kernelINS0_14default_configENS1_25partition_config_selectorILNS1_17partition_subalgoE5EdNS0_10empty_typeEbEEZZNS1_14partition_implILS5_5ELb0ES3_mN6thrust23THRUST_200600_302600_NS6detail15normal_iteratorINSA_10device_ptrIdEEEEPS6_NSA_18transform_iteratorINSB_9not_fun_tI7is_trueIdEEENSC_INSD_IbEEEENSA_11use_defaultESO_EENS0_5tupleIJNSA_16discard_iteratorISO_EES6_EEENSQ_IJSG_SG_EEES6_PlJS6_EEE10hipError_tPvRmT3_T4_T5_T6_T7_T9_mT8_P12ihipStream_tbDpT10_ENKUlT_T0_E_clISt17integral_constantIbLb0EES1E_IbLb1EEEEDaS1A_S1B_EUlS1A_E_NS1_11comp_targetILNS1_3genE3ELNS1_11target_archE908ELNS1_3gpuE7ELNS1_3repE0EEENS1_30default_config_static_selectorELNS0_4arch9wavefront6targetE0EEEvT1_
		.amdhsa_group_segment_fixed_size 0
		.amdhsa_private_segment_fixed_size 0
		.amdhsa_kernarg_size 144
		.amdhsa_user_sgpr_count 2
		.amdhsa_user_sgpr_dispatch_ptr 0
		.amdhsa_user_sgpr_queue_ptr 0
		.amdhsa_user_sgpr_kernarg_segment_ptr 1
		.amdhsa_user_sgpr_dispatch_id 0
		.amdhsa_user_sgpr_private_segment_size 0
		.amdhsa_wavefront_size32 1
		.amdhsa_uses_dynamic_stack 0
		.amdhsa_enable_private_segment 0
		.amdhsa_system_sgpr_workgroup_id_x 1
		.amdhsa_system_sgpr_workgroup_id_y 0
		.amdhsa_system_sgpr_workgroup_id_z 0
		.amdhsa_system_sgpr_workgroup_info 0
		.amdhsa_system_vgpr_workitem_id 0
		.amdhsa_next_free_vgpr 1
		.amdhsa_next_free_sgpr 1
		.amdhsa_reserve_vcc 0
		.amdhsa_float_round_mode_32 0
		.amdhsa_float_round_mode_16_64 0
		.amdhsa_float_denorm_mode_32 3
		.amdhsa_float_denorm_mode_16_64 3
		.amdhsa_fp16_overflow 0
		.amdhsa_workgroup_processor_mode 1
		.amdhsa_memory_ordered 1
		.amdhsa_forward_progress 1
		.amdhsa_inst_pref_size 0
		.amdhsa_round_robin_scheduling 0
		.amdhsa_exception_fp_ieee_invalid_op 0
		.amdhsa_exception_fp_denorm_src 0
		.amdhsa_exception_fp_ieee_div_zero 0
		.amdhsa_exception_fp_ieee_overflow 0
		.amdhsa_exception_fp_ieee_underflow 0
		.amdhsa_exception_fp_ieee_inexact 0
		.amdhsa_exception_int_div_zero 0
	.end_amdhsa_kernel
	.section	.text._ZN7rocprim17ROCPRIM_400000_NS6detail17trampoline_kernelINS0_14default_configENS1_25partition_config_selectorILNS1_17partition_subalgoE5EdNS0_10empty_typeEbEEZZNS1_14partition_implILS5_5ELb0ES3_mN6thrust23THRUST_200600_302600_NS6detail15normal_iteratorINSA_10device_ptrIdEEEEPS6_NSA_18transform_iteratorINSB_9not_fun_tI7is_trueIdEEENSC_INSD_IbEEEENSA_11use_defaultESO_EENS0_5tupleIJNSA_16discard_iteratorISO_EES6_EEENSQ_IJSG_SG_EEES6_PlJS6_EEE10hipError_tPvRmT3_T4_T5_T6_T7_T9_mT8_P12ihipStream_tbDpT10_ENKUlT_T0_E_clISt17integral_constantIbLb0EES1E_IbLb1EEEEDaS1A_S1B_EUlS1A_E_NS1_11comp_targetILNS1_3genE3ELNS1_11target_archE908ELNS1_3gpuE7ELNS1_3repE0EEENS1_30default_config_static_selectorELNS0_4arch9wavefront6targetE0EEEvT1_,"axG",@progbits,_ZN7rocprim17ROCPRIM_400000_NS6detail17trampoline_kernelINS0_14default_configENS1_25partition_config_selectorILNS1_17partition_subalgoE5EdNS0_10empty_typeEbEEZZNS1_14partition_implILS5_5ELb0ES3_mN6thrust23THRUST_200600_302600_NS6detail15normal_iteratorINSA_10device_ptrIdEEEEPS6_NSA_18transform_iteratorINSB_9not_fun_tI7is_trueIdEEENSC_INSD_IbEEEENSA_11use_defaultESO_EENS0_5tupleIJNSA_16discard_iteratorISO_EES6_EEENSQ_IJSG_SG_EEES6_PlJS6_EEE10hipError_tPvRmT3_T4_T5_T6_T7_T9_mT8_P12ihipStream_tbDpT10_ENKUlT_T0_E_clISt17integral_constantIbLb0EES1E_IbLb1EEEEDaS1A_S1B_EUlS1A_E_NS1_11comp_targetILNS1_3genE3ELNS1_11target_archE908ELNS1_3gpuE7ELNS1_3repE0EEENS1_30default_config_static_selectorELNS0_4arch9wavefront6targetE0EEEvT1_,comdat
.Lfunc_end2616:
	.size	_ZN7rocprim17ROCPRIM_400000_NS6detail17trampoline_kernelINS0_14default_configENS1_25partition_config_selectorILNS1_17partition_subalgoE5EdNS0_10empty_typeEbEEZZNS1_14partition_implILS5_5ELb0ES3_mN6thrust23THRUST_200600_302600_NS6detail15normal_iteratorINSA_10device_ptrIdEEEEPS6_NSA_18transform_iteratorINSB_9not_fun_tI7is_trueIdEEENSC_INSD_IbEEEENSA_11use_defaultESO_EENS0_5tupleIJNSA_16discard_iteratorISO_EES6_EEENSQ_IJSG_SG_EEES6_PlJS6_EEE10hipError_tPvRmT3_T4_T5_T6_T7_T9_mT8_P12ihipStream_tbDpT10_ENKUlT_T0_E_clISt17integral_constantIbLb0EES1E_IbLb1EEEEDaS1A_S1B_EUlS1A_E_NS1_11comp_targetILNS1_3genE3ELNS1_11target_archE908ELNS1_3gpuE7ELNS1_3repE0EEENS1_30default_config_static_selectorELNS0_4arch9wavefront6targetE0EEEvT1_, .Lfunc_end2616-_ZN7rocprim17ROCPRIM_400000_NS6detail17trampoline_kernelINS0_14default_configENS1_25partition_config_selectorILNS1_17partition_subalgoE5EdNS0_10empty_typeEbEEZZNS1_14partition_implILS5_5ELb0ES3_mN6thrust23THRUST_200600_302600_NS6detail15normal_iteratorINSA_10device_ptrIdEEEEPS6_NSA_18transform_iteratorINSB_9not_fun_tI7is_trueIdEEENSC_INSD_IbEEEENSA_11use_defaultESO_EENS0_5tupleIJNSA_16discard_iteratorISO_EES6_EEENSQ_IJSG_SG_EEES6_PlJS6_EEE10hipError_tPvRmT3_T4_T5_T6_T7_T9_mT8_P12ihipStream_tbDpT10_ENKUlT_T0_E_clISt17integral_constantIbLb0EES1E_IbLb1EEEEDaS1A_S1B_EUlS1A_E_NS1_11comp_targetILNS1_3genE3ELNS1_11target_archE908ELNS1_3gpuE7ELNS1_3repE0EEENS1_30default_config_static_selectorELNS0_4arch9wavefront6targetE0EEEvT1_
                                        ; -- End function
	.set _ZN7rocprim17ROCPRIM_400000_NS6detail17trampoline_kernelINS0_14default_configENS1_25partition_config_selectorILNS1_17partition_subalgoE5EdNS0_10empty_typeEbEEZZNS1_14partition_implILS5_5ELb0ES3_mN6thrust23THRUST_200600_302600_NS6detail15normal_iteratorINSA_10device_ptrIdEEEEPS6_NSA_18transform_iteratorINSB_9not_fun_tI7is_trueIdEEENSC_INSD_IbEEEENSA_11use_defaultESO_EENS0_5tupleIJNSA_16discard_iteratorISO_EES6_EEENSQ_IJSG_SG_EEES6_PlJS6_EEE10hipError_tPvRmT3_T4_T5_T6_T7_T9_mT8_P12ihipStream_tbDpT10_ENKUlT_T0_E_clISt17integral_constantIbLb0EES1E_IbLb1EEEEDaS1A_S1B_EUlS1A_E_NS1_11comp_targetILNS1_3genE3ELNS1_11target_archE908ELNS1_3gpuE7ELNS1_3repE0EEENS1_30default_config_static_selectorELNS0_4arch9wavefront6targetE0EEEvT1_.num_vgpr, 0
	.set _ZN7rocprim17ROCPRIM_400000_NS6detail17trampoline_kernelINS0_14default_configENS1_25partition_config_selectorILNS1_17partition_subalgoE5EdNS0_10empty_typeEbEEZZNS1_14partition_implILS5_5ELb0ES3_mN6thrust23THRUST_200600_302600_NS6detail15normal_iteratorINSA_10device_ptrIdEEEEPS6_NSA_18transform_iteratorINSB_9not_fun_tI7is_trueIdEEENSC_INSD_IbEEEENSA_11use_defaultESO_EENS0_5tupleIJNSA_16discard_iteratorISO_EES6_EEENSQ_IJSG_SG_EEES6_PlJS6_EEE10hipError_tPvRmT3_T4_T5_T6_T7_T9_mT8_P12ihipStream_tbDpT10_ENKUlT_T0_E_clISt17integral_constantIbLb0EES1E_IbLb1EEEEDaS1A_S1B_EUlS1A_E_NS1_11comp_targetILNS1_3genE3ELNS1_11target_archE908ELNS1_3gpuE7ELNS1_3repE0EEENS1_30default_config_static_selectorELNS0_4arch9wavefront6targetE0EEEvT1_.num_agpr, 0
	.set _ZN7rocprim17ROCPRIM_400000_NS6detail17trampoline_kernelINS0_14default_configENS1_25partition_config_selectorILNS1_17partition_subalgoE5EdNS0_10empty_typeEbEEZZNS1_14partition_implILS5_5ELb0ES3_mN6thrust23THRUST_200600_302600_NS6detail15normal_iteratorINSA_10device_ptrIdEEEEPS6_NSA_18transform_iteratorINSB_9not_fun_tI7is_trueIdEEENSC_INSD_IbEEEENSA_11use_defaultESO_EENS0_5tupleIJNSA_16discard_iteratorISO_EES6_EEENSQ_IJSG_SG_EEES6_PlJS6_EEE10hipError_tPvRmT3_T4_T5_T6_T7_T9_mT8_P12ihipStream_tbDpT10_ENKUlT_T0_E_clISt17integral_constantIbLb0EES1E_IbLb1EEEEDaS1A_S1B_EUlS1A_E_NS1_11comp_targetILNS1_3genE3ELNS1_11target_archE908ELNS1_3gpuE7ELNS1_3repE0EEENS1_30default_config_static_selectorELNS0_4arch9wavefront6targetE0EEEvT1_.numbered_sgpr, 0
	.set _ZN7rocprim17ROCPRIM_400000_NS6detail17trampoline_kernelINS0_14default_configENS1_25partition_config_selectorILNS1_17partition_subalgoE5EdNS0_10empty_typeEbEEZZNS1_14partition_implILS5_5ELb0ES3_mN6thrust23THRUST_200600_302600_NS6detail15normal_iteratorINSA_10device_ptrIdEEEEPS6_NSA_18transform_iteratorINSB_9not_fun_tI7is_trueIdEEENSC_INSD_IbEEEENSA_11use_defaultESO_EENS0_5tupleIJNSA_16discard_iteratorISO_EES6_EEENSQ_IJSG_SG_EEES6_PlJS6_EEE10hipError_tPvRmT3_T4_T5_T6_T7_T9_mT8_P12ihipStream_tbDpT10_ENKUlT_T0_E_clISt17integral_constantIbLb0EES1E_IbLb1EEEEDaS1A_S1B_EUlS1A_E_NS1_11comp_targetILNS1_3genE3ELNS1_11target_archE908ELNS1_3gpuE7ELNS1_3repE0EEENS1_30default_config_static_selectorELNS0_4arch9wavefront6targetE0EEEvT1_.num_named_barrier, 0
	.set _ZN7rocprim17ROCPRIM_400000_NS6detail17trampoline_kernelINS0_14default_configENS1_25partition_config_selectorILNS1_17partition_subalgoE5EdNS0_10empty_typeEbEEZZNS1_14partition_implILS5_5ELb0ES3_mN6thrust23THRUST_200600_302600_NS6detail15normal_iteratorINSA_10device_ptrIdEEEEPS6_NSA_18transform_iteratorINSB_9not_fun_tI7is_trueIdEEENSC_INSD_IbEEEENSA_11use_defaultESO_EENS0_5tupleIJNSA_16discard_iteratorISO_EES6_EEENSQ_IJSG_SG_EEES6_PlJS6_EEE10hipError_tPvRmT3_T4_T5_T6_T7_T9_mT8_P12ihipStream_tbDpT10_ENKUlT_T0_E_clISt17integral_constantIbLb0EES1E_IbLb1EEEEDaS1A_S1B_EUlS1A_E_NS1_11comp_targetILNS1_3genE3ELNS1_11target_archE908ELNS1_3gpuE7ELNS1_3repE0EEENS1_30default_config_static_selectorELNS0_4arch9wavefront6targetE0EEEvT1_.private_seg_size, 0
	.set _ZN7rocprim17ROCPRIM_400000_NS6detail17trampoline_kernelINS0_14default_configENS1_25partition_config_selectorILNS1_17partition_subalgoE5EdNS0_10empty_typeEbEEZZNS1_14partition_implILS5_5ELb0ES3_mN6thrust23THRUST_200600_302600_NS6detail15normal_iteratorINSA_10device_ptrIdEEEEPS6_NSA_18transform_iteratorINSB_9not_fun_tI7is_trueIdEEENSC_INSD_IbEEEENSA_11use_defaultESO_EENS0_5tupleIJNSA_16discard_iteratorISO_EES6_EEENSQ_IJSG_SG_EEES6_PlJS6_EEE10hipError_tPvRmT3_T4_T5_T6_T7_T9_mT8_P12ihipStream_tbDpT10_ENKUlT_T0_E_clISt17integral_constantIbLb0EES1E_IbLb1EEEEDaS1A_S1B_EUlS1A_E_NS1_11comp_targetILNS1_3genE3ELNS1_11target_archE908ELNS1_3gpuE7ELNS1_3repE0EEENS1_30default_config_static_selectorELNS0_4arch9wavefront6targetE0EEEvT1_.uses_vcc, 0
	.set _ZN7rocprim17ROCPRIM_400000_NS6detail17trampoline_kernelINS0_14default_configENS1_25partition_config_selectorILNS1_17partition_subalgoE5EdNS0_10empty_typeEbEEZZNS1_14partition_implILS5_5ELb0ES3_mN6thrust23THRUST_200600_302600_NS6detail15normal_iteratorINSA_10device_ptrIdEEEEPS6_NSA_18transform_iteratorINSB_9not_fun_tI7is_trueIdEEENSC_INSD_IbEEEENSA_11use_defaultESO_EENS0_5tupleIJNSA_16discard_iteratorISO_EES6_EEENSQ_IJSG_SG_EEES6_PlJS6_EEE10hipError_tPvRmT3_T4_T5_T6_T7_T9_mT8_P12ihipStream_tbDpT10_ENKUlT_T0_E_clISt17integral_constantIbLb0EES1E_IbLb1EEEEDaS1A_S1B_EUlS1A_E_NS1_11comp_targetILNS1_3genE3ELNS1_11target_archE908ELNS1_3gpuE7ELNS1_3repE0EEENS1_30default_config_static_selectorELNS0_4arch9wavefront6targetE0EEEvT1_.uses_flat_scratch, 0
	.set _ZN7rocprim17ROCPRIM_400000_NS6detail17trampoline_kernelINS0_14default_configENS1_25partition_config_selectorILNS1_17partition_subalgoE5EdNS0_10empty_typeEbEEZZNS1_14partition_implILS5_5ELb0ES3_mN6thrust23THRUST_200600_302600_NS6detail15normal_iteratorINSA_10device_ptrIdEEEEPS6_NSA_18transform_iteratorINSB_9not_fun_tI7is_trueIdEEENSC_INSD_IbEEEENSA_11use_defaultESO_EENS0_5tupleIJNSA_16discard_iteratorISO_EES6_EEENSQ_IJSG_SG_EEES6_PlJS6_EEE10hipError_tPvRmT3_T4_T5_T6_T7_T9_mT8_P12ihipStream_tbDpT10_ENKUlT_T0_E_clISt17integral_constantIbLb0EES1E_IbLb1EEEEDaS1A_S1B_EUlS1A_E_NS1_11comp_targetILNS1_3genE3ELNS1_11target_archE908ELNS1_3gpuE7ELNS1_3repE0EEENS1_30default_config_static_selectorELNS0_4arch9wavefront6targetE0EEEvT1_.has_dyn_sized_stack, 0
	.set _ZN7rocprim17ROCPRIM_400000_NS6detail17trampoline_kernelINS0_14default_configENS1_25partition_config_selectorILNS1_17partition_subalgoE5EdNS0_10empty_typeEbEEZZNS1_14partition_implILS5_5ELb0ES3_mN6thrust23THRUST_200600_302600_NS6detail15normal_iteratorINSA_10device_ptrIdEEEEPS6_NSA_18transform_iteratorINSB_9not_fun_tI7is_trueIdEEENSC_INSD_IbEEEENSA_11use_defaultESO_EENS0_5tupleIJNSA_16discard_iteratorISO_EES6_EEENSQ_IJSG_SG_EEES6_PlJS6_EEE10hipError_tPvRmT3_T4_T5_T6_T7_T9_mT8_P12ihipStream_tbDpT10_ENKUlT_T0_E_clISt17integral_constantIbLb0EES1E_IbLb1EEEEDaS1A_S1B_EUlS1A_E_NS1_11comp_targetILNS1_3genE3ELNS1_11target_archE908ELNS1_3gpuE7ELNS1_3repE0EEENS1_30default_config_static_selectorELNS0_4arch9wavefront6targetE0EEEvT1_.has_recursion, 0
	.set _ZN7rocprim17ROCPRIM_400000_NS6detail17trampoline_kernelINS0_14default_configENS1_25partition_config_selectorILNS1_17partition_subalgoE5EdNS0_10empty_typeEbEEZZNS1_14partition_implILS5_5ELb0ES3_mN6thrust23THRUST_200600_302600_NS6detail15normal_iteratorINSA_10device_ptrIdEEEEPS6_NSA_18transform_iteratorINSB_9not_fun_tI7is_trueIdEEENSC_INSD_IbEEEENSA_11use_defaultESO_EENS0_5tupleIJNSA_16discard_iteratorISO_EES6_EEENSQ_IJSG_SG_EEES6_PlJS6_EEE10hipError_tPvRmT3_T4_T5_T6_T7_T9_mT8_P12ihipStream_tbDpT10_ENKUlT_T0_E_clISt17integral_constantIbLb0EES1E_IbLb1EEEEDaS1A_S1B_EUlS1A_E_NS1_11comp_targetILNS1_3genE3ELNS1_11target_archE908ELNS1_3gpuE7ELNS1_3repE0EEENS1_30default_config_static_selectorELNS0_4arch9wavefront6targetE0EEEvT1_.has_indirect_call, 0
	.section	.AMDGPU.csdata,"",@progbits
; Kernel info:
; codeLenInByte = 0
; TotalNumSgprs: 0
; NumVgprs: 0
; ScratchSize: 0
; MemoryBound: 0
; FloatMode: 240
; IeeeMode: 1
; LDSByteSize: 0 bytes/workgroup (compile time only)
; SGPRBlocks: 0
; VGPRBlocks: 0
; NumSGPRsForWavesPerEU: 1
; NumVGPRsForWavesPerEU: 1
; Occupancy: 16
; WaveLimiterHint : 0
; COMPUTE_PGM_RSRC2:SCRATCH_EN: 0
; COMPUTE_PGM_RSRC2:USER_SGPR: 2
; COMPUTE_PGM_RSRC2:TRAP_HANDLER: 0
; COMPUTE_PGM_RSRC2:TGID_X_EN: 1
; COMPUTE_PGM_RSRC2:TGID_Y_EN: 0
; COMPUTE_PGM_RSRC2:TGID_Z_EN: 0
; COMPUTE_PGM_RSRC2:TIDIG_COMP_CNT: 0
	.section	.text._ZN7rocprim17ROCPRIM_400000_NS6detail17trampoline_kernelINS0_14default_configENS1_25partition_config_selectorILNS1_17partition_subalgoE5EdNS0_10empty_typeEbEEZZNS1_14partition_implILS5_5ELb0ES3_mN6thrust23THRUST_200600_302600_NS6detail15normal_iteratorINSA_10device_ptrIdEEEEPS6_NSA_18transform_iteratorINSB_9not_fun_tI7is_trueIdEEENSC_INSD_IbEEEENSA_11use_defaultESO_EENS0_5tupleIJNSA_16discard_iteratorISO_EES6_EEENSQ_IJSG_SG_EEES6_PlJS6_EEE10hipError_tPvRmT3_T4_T5_T6_T7_T9_mT8_P12ihipStream_tbDpT10_ENKUlT_T0_E_clISt17integral_constantIbLb0EES1E_IbLb1EEEEDaS1A_S1B_EUlS1A_E_NS1_11comp_targetILNS1_3genE2ELNS1_11target_archE906ELNS1_3gpuE6ELNS1_3repE0EEENS1_30default_config_static_selectorELNS0_4arch9wavefront6targetE0EEEvT1_,"axG",@progbits,_ZN7rocprim17ROCPRIM_400000_NS6detail17trampoline_kernelINS0_14default_configENS1_25partition_config_selectorILNS1_17partition_subalgoE5EdNS0_10empty_typeEbEEZZNS1_14partition_implILS5_5ELb0ES3_mN6thrust23THRUST_200600_302600_NS6detail15normal_iteratorINSA_10device_ptrIdEEEEPS6_NSA_18transform_iteratorINSB_9not_fun_tI7is_trueIdEEENSC_INSD_IbEEEENSA_11use_defaultESO_EENS0_5tupleIJNSA_16discard_iteratorISO_EES6_EEENSQ_IJSG_SG_EEES6_PlJS6_EEE10hipError_tPvRmT3_T4_T5_T6_T7_T9_mT8_P12ihipStream_tbDpT10_ENKUlT_T0_E_clISt17integral_constantIbLb0EES1E_IbLb1EEEEDaS1A_S1B_EUlS1A_E_NS1_11comp_targetILNS1_3genE2ELNS1_11target_archE906ELNS1_3gpuE6ELNS1_3repE0EEENS1_30default_config_static_selectorELNS0_4arch9wavefront6targetE0EEEvT1_,comdat
	.protected	_ZN7rocprim17ROCPRIM_400000_NS6detail17trampoline_kernelINS0_14default_configENS1_25partition_config_selectorILNS1_17partition_subalgoE5EdNS0_10empty_typeEbEEZZNS1_14partition_implILS5_5ELb0ES3_mN6thrust23THRUST_200600_302600_NS6detail15normal_iteratorINSA_10device_ptrIdEEEEPS6_NSA_18transform_iteratorINSB_9not_fun_tI7is_trueIdEEENSC_INSD_IbEEEENSA_11use_defaultESO_EENS0_5tupleIJNSA_16discard_iteratorISO_EES6_EEENSQ_IJSG_SG_EEES6_PlJS6_EEE10hipError_tPvRmT3_T4_T5_T6_T7_T9_mT8_P12ihipStream_tbDpT10_ENKUlT_T0_E_clISt17integral_constantIbLb0EES1E_IbLb1EEEEDaS1A_S1B_EUlS1A_E_NS1_11comp_targetILNS1_3genE2ELNS1_11target_archE906ELNS1_3gpuE6ELNS1_3repE0EEENS1_30default_config_static_selectorELNS0_4arch9wavefront6targetE0EEEvT1_ ; -- Begin function _ZN7rocprim17ROCPRIM_400000_NS6detail17trampoline_kernelINS0_14default_configENS1_25partition_config_selectorILNS1_17partition_subalgoE5EdNS0_10empty_typeEbEEZZNS1_14partition_implILS5_5ELb0ES3_mN6thrust23THRUST_200600_302600_NS6detail15normal_iteratorINSA_10device_ptrIdEEEEPS6_NSA_18transform_iteratorINSB_9not_fun_tI7is_trueIdEEENSC_INSD_IbEEEENSA_11use_defaultESO_EENS0_5tupleIJNSA_16discard_iteratorISO_EES6_EEENSQ_IJSG_SG_EEES6_PlJS6_EEE10hipError_tPvRmT3_T4_T5_T6_T7_T9_mT8_P12ihipStream_tbDpT10_ENKUlT_T0_E_clISt17integral_constantIbLb0EES1E_IbLb1EEEEDaS1A_S1B_EUlS1A_E_NS1_11comp_targetILNS1_3genE2ELNS1_11target_archE906ELNS1_3gpuE6ELNS1_3repE0EEENS1_30default_config_static_selectorELNS0_4arch9wavefront6targetE0EEEvT1_
	.globl	_ZN7rocprim17ROCPRIM_400000_NS6detail17trampoline_kernelINS0_14default_configENS1_25partition_config_selectorILNS1_17partition_subalgoE5EdNS0_10empty_typeEbEEZZNS1_14partition_implILS5_5ELb0ES3_mN6thrust23THRUST_200600_302600_NS6detail15normal_iteratorINSA_10device_ptrIdEEEEPS6_NSA_18transform_iteratorINSB_9not_fun_tI7is_trueIdEEENSC_INSD_IbEEEENSA_11use_defaultESO_EENS0_5tupleIJNSA_16discard_iteratorISO_EES6_EEENSQ_IJSG_SG_EEES6_PlJS6_EEE10hipError_tPvRmT3_T4_T5_T6_T7_T9_mT8_P12ihipStream_tbDpT10_ENKUlT_T0_E_clISt17integral_constantIbLb0EES1E_IbLb1EEEEDaS1A_S1B_EUlS1A_E_NS1_11comp_targetILNS1_3genE2ELNS1_11target_archE906ELNS1_3gpuE6ELNS1_3repE0EEENS1_30default_config_static_selectorELNS0_4arch9wavefront6targetE0EEEvT1_
	.p2align	8
	.type	_ZN7rocprim17ROCPRIM_400000_NS6detail17trampoline_kernelINS0_14default_configENS1_25partition_config_selectorILNS1_17partition_subalgoE5EdNS0_10empty_typeEbEEZZNS1_14partition_implILS5_5ELb0ES3_mN6thrust23THRUST_200600_302600_NS6detail15normal_iteratorINSA_10device_ptrIdEEEEPS6_NSA_18transform_iteratorINSB_9not_fun_tI7is_trueIdEEENSC_INSD_IbEEEENSA_11use_defaultESO_EENS0_5tupleIJNSA_16discard_iteratorISO_EES6_EEENSQ_IJSG_SG_EEES6_PlJS6_EEE10hipError_tPvRmT3_T4_T5_T6_T7_T9_mT8_P12ihipStream_tbDpT10_ENKUlT_T0_E_clISt17integral_constantIbLb0EES1E_IbLb1EEEEDaS1A_S1B_EUlS1A_E_NS1_11comp_targetILNS1_3genE2ELNS1_11target_archE906ELNS1_3gpuE6ELNS1_3repE0EEENS1_30default_config_static_selectorELNS0_4arch9wavefront6targetE0EEEvT1_,@function
_ZN7rocprim17ROCPRIM_400000_NS6detail17trampoline_kernelINS0_14default_configENS1_25partition_config_selectorILNS1_17partition_subalgoE5EdNS0_10empty_typeEbEEZZNS1_14partition_implILS5_5ELb0ES3_mN6thrust23THRUST_200600_302600_NS6detail15normal_iteratorINSA_10device_ptrIdEEEEPS6_NSA_18transform_iteratorINSB_9not_fun_tI7is_trueIdEEENSC_INSD_IbEEEENSA_11use_defaultESO_EENS0_5tupleIJNSA_16discard_iteratorISO_EES6_EEENSQ_IJSG_SG_EEES6_PlJS6_EEE10hipError_tPvRmT3_T4_T5_T6_T7_T9_mT8_P12ihipStream_tbDpT10_ENKUlT_T0_E_clISt17integral_constantIbLb0EES1E_IbLb1EEEEDaS1A_S1B_EUlS1A_E_NS1_11comp_targetILNS1_3genE2ELNS1_11target_archE906ELNS1_3gpuE6ELNS1_3repE0EEENS1_30default_config_static_selectorELNS0_4arch9wavefront6targetE0EEEvT1_: ; @_ZN7rocprim17ROCPRIM_400000_NS6detail17trampoline_kernelINS0_14default_configENS1_25partition_config_selectorILNS1_17partition_subalgoE5EdNS0_10empty_typeEbEEZZNS1_14partition_implILS5_5ELb0ES3_mN6thrust23THRUST_200600_302600_NS6detail15normal_iteratorINSA_10device_ptrIdEEEEPS6_NSA_18transform_iteratorINSB_9not_fun_tI7is_trueIdEEENSC_INSD_IbEEEENSA_11use_defaultESO_EENS0_5tupleIJNSA_16discard_iteratorISO_EES6_EEENSQ_IJSG_SG_EEES6_PlJS6_EEE10hipError_tPvRmT3_T4_T5_T6_T7_T9_mT8_P12ihipStream_tbDpT10_ENKUlT_T0_E_clISt17integral_constantIbLb0EES1E_IbLb1EEEEDaS1A_S1B_EUlS1A_E_NS1_11comp_targetILNS1_3genE2ELNS1_11target_archE906ELNS1_3gpuE6ELNS1_3repE0EEENS1_30default_config_static_selectorELNS0_4arch9wavefront6targetE0EEEvT1_
; %bb.0:
	.section	.rodata,"a",@progbits
	.p2align	6, 0x0
	.amdhsa_kernel _ZN7rocprim17ROCPRIM_400000_NS6detail17trampoline_kernelINS0_14default_configENS1_25partition_config_selectorILNS1_17partition_subalgoE5EdNS0_10empty_typeEbEEZZNS1_14partition_implILS5_5ELb0ES3_mN6thrust23THRUST_200600_302600_NS6detail15normal_iteratorINSA_10device_ptrIdEEEEPS6_NSA_18transform_iteratorINSB_9not_fun_tI7is_trueIdEEENSC_INSD_IbEEEENSA_11use_defaultESO_EENS0_5tupleIJNSA_16discard_iteratorISO_EES6_EEENSQ_IJSG_SG_EEES6_PlJS6_EEE10hipError_tPvRmT3_T4_T5_T6_T7_T9_mT8_P12ihipStream_tbDpT10_ENKUlT_T0_E_clISt17integral_constantIbLb0EES1E_IbLb1EEEEDaS1A_S1B_EUlS1A_E_NS1_11comp_targetILNS1_3genE2ELNS1_11target_archE906ELNS1_3gpuE6ELNS1_3repE0EEENS1_30default_config_static_selectorELNS0_4arch9wavefront6targetE0EEEvT1_
		.amdhsa_group_segment_fixed_size 0
		.amdhsa_private_segment_fixed_size 0
		.amdhsa_kernarg_size 144
		.amdhsa_user_sgpr_count 2
		.amdhsa_user_sgpr_dispatch_ptr 0
		.amdhsa_user_sgpr_queue_ptr 0
		.amdhsa_user_sgpr_kernarg_segment_ptr 1
		.amdhsa_user_sgpr_dispatch_id 0
		.amdhsa_user_sgpr_private_segment_size 0
		.amdhsa_wavefront_size32 1
		.amdhsa_uses_dynamic_stack 0
		.amdhsa_enable_private_segment 0
		.amdhsa_system_sgpr_workgroup_id_x 1
		.amdhsa_system_sgpr_workgroup_id_y 0
		.amdhsa_system_sgpr_workgroup_id_z 0
		.amdhsa_system_sgpr_workgroup_info 0
		.amdhsa_system_vgpr_workitem_id 0
		.amdhsa_next_free_vgpr 1
		.amdhsa_next_free_sgpr 1
		.amdhsa_reserve_vcc 0
		.amdhsa_float_round_mode_32 0
		.amdhsa_float_round_mode_16_64 0
		.amdhsa_float_denorm_mode_32 3
		.amdhsa_float_denorm_mode_16_64 3
		.amdhsa_fp16_overflow 0
		.amdhsa_workgroup_processor_mode 1
		.amdhsa_memory_ordered 1
		.amdhsa_forward_progress 1
		.amdhsa_inst_pref_size 0
		.amdhsa_round_robin_scheduling 0
		.amdhsa_exception_fp_ieee_invalid_op 0
		.amdhsa_exception_fp_denorm_src 0
		.amdhsa_exception_fp_ieee_div_zero 0
		.amdhsa_exception_fp_ieee_overflow 0
		.amdhsa_exception_fp_ieee_underflow 0
		.amdhsa_exception_fp_ieee_inexact 0
		.amdhsa_exception_int_div_zero 0
	.end_amdhsa_kernel
	.section	.text._ZN7rocprim17ROCPRIM_400000_NS6detail17trampoline_kernelINS0_14default_configENS1_25partition_config_selectorILNS1_17partition_subalgoE5EdNS0_10empty_typeEbEEZZNS1_14partition_implILS5_5ELb0ES3_mN6thrust23THRUST_200600_302600_NS6detail15normal_iteratorINSA_10device_ptrIdEEEEPS6_NSA_18transform_iteratorINSB_9not_fun_tI7is_trueIdEEENSC_INSD_IbEEEENSA_11use_defaultESO_EENS0_5tupleIJNSA_16discard_iteratorISO_EES6_EEENSQ_IJSG_SG_EEES6_PlJS6_EEE10hipError_tPvRmT3_T4_T5_T6_T7_T9_mT8_P12ihipStream_tbDpT10_ENKUlT_T0_E_clISt17integral_constantIbLb0EES1E_IbLb1EEEEDaS1A_S1B_EUlS1A_E_NS1_11comp_targetILNS1_3genE2ELNS1_11target_archE906ELNS1_3gpuE6ELNS1_3repE0EEENS1_30default_config_static_selectorELNS0_4arch9wavefront6targetE0EEEvT1_,"axG",@progbits,_ZN7rocprim17ROCPRIM_400000_NS6detail17trampoline_kernelINS0_14default_configENS1_25partition_config_selectorILNS1_17partition_subalgoE5EdNS0_10empty_typeEbEEZZNS1_14partition_implILS5_5ELb0ES3_mN6thrust23THRUST_200600_302600_NS6detail15normal_iteratorINSA_10device_ptrIdEEEEPS6_NSA_18transform_iteratorINSB_9not_fun_tI7is_trueIdEEENSC_INSD_IbEEEENSA_11use_defaultESO_EENS0_5tupleIJNSA_16discard_iteratorISO_EES6_EEENSQ_IJSG_SG_EEES6_PlJS6_EEE10hipError_tPvRmT3_T4_T5_T6_T7_T9_mT8_P12ihipStream_tbDpT10_ENKUlT_T0_E_clISt17integral_constantIbLb0EES1E_IbLb1EEEEDaS1A_S1B_EUlS1A_E_NS1_11comp_targetILNS1_3genE2ELNS1_11target_archE906ELNS1_3gpuE6ELNS1_3repE0EEENS1_30default_config_static_selectorELNS0_4arch9wavefront6targetE0EEEvT1_,comdat
.Lfunc_end2617:
	.size	_ZN7rocprim17ROCPRIM_400000_NS6detail17trampoline_kernelINS0_14default_configENS1_25partition_config_selectorILNS1_17partition_subalgoE5EdNS0_10empty_typeEbEEZZNS1_14partition_implILS5_5ELb0ES3_mN6thrust23THRUST_200600_302600_NS6detail15normal_iteratorINSA_10device_ptrIdEEEEPS6_NSA_18transform_iteratorINSB_9not_fun_tI7is_trueIdEEENSC_INSD_IbEEEENSA_11use_defaultESO_EENS0_5tupleIJNSA_16discard_iteratorISO_EES6_EEENSQ_IJSG_SG_EEES6_PlJS6_EEE10hipError_tPvRmT3_T4_T5_T6_T7_T9_mT8_P12ihipStream_tbDpT10_ENKUlT_T0_E_clISt17integral_constantIbLb0EES1E_IbLb1EEEEDaS1A_S1B_EUlS1A_E_NS1_11comp_targetILNS1_3genE2ELNS1_11target_archE906ELNS1_3gpuE6ELNS1_3repE0EEENS1_30default_config_static_selectorELNS0_4arch9wavefront6targetE0EEEvT1_, .Lfunc_end2617-_ZN7rocprim17ROCPRIM_400000_NS6detail17trampoline_kernelINS0_14default_configENS1_25partition_config_selectorILNS1_17partition_subalgoE5EdNS0_10empty_typeEbEEZZNS1_14partition_implILS5_5ELb0ES3_mN6thrust23THRUST_200600_302600_NS6detail15normal_iteratorINSA_10device_ptrIdEEEEPS6_NSA_18transform_iteratorINSB_9not_fun_tI7is_trueIdEEENSC_INSD_IbEEEENSA_11use_defaultESO_EENS0_5tupleIJNSA_16discard_iteratorISO_EES6_EEENSQ_IJSG_SG_EEES6_PlJS6_EEE10hipError_tPvRmT3_T4_T5_T6_T7_T9_mT8_P12ihipStream_tbDpT10_ENKUlT_T0_E_clISt17integral_constantIbLb0EES1E_IbLb1EEEEDaS1A_S1B_EUlS1A_E_NS1_11comp_targetILNS1_3genE2ELNS1_11target_archE906ELNS1_3gpuE6ELNS1_3repE0EEENS1_30default_config_static_selectorELNS0_4arch9wavefront6targetE0EEEvT1_
                                        ; -- End function
	.set _ZN7rocprim17ROCPRIM_400000_NS6detail17trampoline_kernelINS0_14default_configENS1_25partition_config_selectorILNS1_17partition_subalgoE5EdNS0_10empty_typeEbEEZZNS1_14partition_implILS5_5ELb0ES3_mN6thrust23THRUST_200600_302600_NS6detail15normal_iteratorINSA_10device_ptrIdEEEEPS6_NSA_18transform_iteratorINSB_9not_fun_tI7is_trueIdEEENSC_INSD_IbEEEENSA_11use_defaultESO_EENS0_5tupleIJNSA_16discard_iteratorISO_EES6_EEENSQ_IJSG_SG_EEES6_PlJS6_EEE10hipError_tPvRmT3_T4_T5_T6_T7_T9_mT8_P12ihipStream_tbDpT10_ENKUlT_T0_E_clISt17integral_constantIbLb0EES1E_IbLb1EEEEDaS1A_S1B_EUlS1A_E_NS1_11comp_targetILNS1_3genE2ELNS1_11target_archE906ELNS1_3gpuE6ELNS1_3repE0EEENS1_30default_config_static_selectorELNS0_4arch9wavefront6targetE0EEEvT1_.num_vgpr, 0
	.set _ZN7rocprim17ROCPRIM_400000_NS6detail17trampoline_kernelINS0_14default_configENS1_25partition_config_selectorILNS1_17partition_subalgoE5EdNS0_10empty_typeEbEEZZNS1_14partition_implILS5_5ELb0ES3_mN6thrust23THRUST_200600_302600_NS6detail15normal_iteratorINSA_10device_ptrIdEEEEPS6_NSA_18transform_iteratorINSB_9not_fun_tI7is_trueIdEEENSC_INSD_IbEEEENSA_11use_defaultESO_EENS0_5tupleIJNSA_16discard_iteratorISO_EES6_EEENSQ_IJSG_SG_EEES6_PlJS6_EEE10hipError_tPvRmT3_T4_T5_T6_T7_T9_mT8_P12ihipStream_tbDpT10_ENKUlT_T0_E_clISt17integral_constantIbLb0EES1E_IbLb1EEEEDaS1A_S1B_EUlS1A_E_NS1_11comp_targetILNS1_3genE2ELNS1_11target_archE906ELNS1_3gpuE6ELNS1_3repE0EEENS1_30default_config_static_selectorELNS0_4arch9wavefront6targetE0EEEvT1_.num_agpr, 0
	.set _ZN7rocprim17ROCPRIM_400000_NS6detail17trampoline_kernelINS0_14default_configENS1_25partition_config_selectorILNS1_17partition_subalgoE5EdNS0_10empty_typeEbEEZZNS1_14partition_implILS5_5ELb0ES3_mN6thrust23THRUST_200600_302600_NS6detail15normal_iteratorINSA_10device_ptrIdEEEEPS6_NSA_18transform_iteratorINSB_9not_fun_tI7is_trueIdEEENSC_INSD_IbEEEENSA_11use_defaultESO_EENS0_5tupleIJNSA_16discard_iteratorISO_EES6_EEENSQ_IJSG_SG_EEES6_PlJS6_EEE10hipError_tPvRmT3_T4_T5_T6_T7_T9_mT8_P12ihipStream_tbDpT10_ENKUlT_T0_E_clISt17integral_constantIbLb0EES1E_IbLb1EEEEDaS1A_S1B_EUlS1A_E_NS1_11comp_targetILNS1_3genE2ELNS1_11target_archE906ELNS1_3gpuE6ELNS1_3repE0EEENS1_30default_config_static_selectorELNS0_4arch9wavefront6targetE0EEEvT1_.numbered_sgpr, 0
	.set _ZN7rocprim17ROCPRIM_400000_NS6detail17trampoline_kernelINS0_14default_configENS1_25partition_config_selectorILNS1_17partition_subalgoE5EdNS0_10empty_typeEbEEZZNS1_14partition_implILS5_5ELb0ES3_mN6thrust23THRUST_200600_302600_NS6detail15normal_iteratorINSA_10device_ptrIdEEEEPS6_NSA_18transform_iteratorINSB_9not_fun_tI7is_trueIdEEENSC_INSD_IbEEEENSA_11use_defaultESO_EENS0_5tupleIJNSA_16discard_iteratorISO_EES6_EEENSQ_IJSG_SG_EEES6_PlJS6_EEE10hipError_tPvRmT3_T4_T5_T6_T7_T9_mT8_P12ihipStream_tbDpT10_ENKUlT_T0_E_clISt17integral_constantIbLb0EES1E_IbLb1EEEEDaS1A_S1B_EUlS1A_E_NS1_11comp_targetILNS1_3genE2ELNS1_11target_archE906ELNS1_3gpuE6ELNS1_3repE0EEENS1_30default_config_static_selectorELNS0_4arch9wavefront6targetE0EEEvT1_.num_named_barrier, 0
	.set _ZN7rocprim17ROCPRIM_400000_NS6detail17trampoline_kernelINS0_14default_configENS1_25partition_config_selectorILNS1_17partition_subalgoE5EdNS0_10empty_typeEbEEZZNS1_14partition_implILS5_5ELb0ES3_mN6thrust23THRUST_200600_302600_NS6detail15normal_iteratorINSA_10device_ptrIdEEEEPS6_NSA_18transform_iteratorINSB_9not_fun_tI7is_trueIdEEENSC_INSD_IbEEEENSA_11use_defaultESO_EENS0_5tupleIJNSA_16discard_iteratorISO_EES6_EEENSQ_IJSG_SG_EEES6_PlJS6_EEE10hipError_tPvRmT3_T4_T5_T6_T7_T9_mT8_P12ihipStream_tbDpT10_ENKUlT_T0_E_clISt17integral_constantIbLb0EES1E_IbLb1EEEEDaS1A_S1B_EUlS1A_E_NS1_11comp_targetILNS1_3genE2ELNS1_11target_archE906ELNS1_3gpuE6ELNS1_3repE0EEENS1_30default_config_static_selectorELNS0_4arch9wavefront6targetE0EEEvT1_.private_seg_size, 0
	.set _ZN7rocprim17ROCPRIM_400000_NS6detail17trampoline_kernelINS0_14default_configENS1_25partition_config_selectorILNS1_17partition_subalgoE5EdNS0_10empty_typeEbEEZZNS1_14partition_implILS5_5ELb0ES3_mN6thrust23THRUST_200600_302600_NS6detail15normal_iteratorINSA_10device_ptrIdEEEEPS6_NSA_18transform_iteratorINSB_9not_fun_tI7is_trueIdEEENSC_INSD_IbEEEENSA_11use_defaultESO_EENS0_5tupleIJNSA_16discard_iteratorISO_EES6_EEENSQ_IJSG_SG_EEES6_PlJS6_EEE10hipError_tPvRmT3_T4_T5_T6_T7_T9_mT8_P12ihipStream_tbDpT10_ENKUlT_T0_E_clISt17integral_constantIbLb0EES1E_IbLb1EEEEDaS1A_S1B_EUlS1A_E_NS1_11comp_targetILNS1_3genE2ELNS1_11target_archE906ELNS1_3gpuE6ELNS1_3repE0EEENS1_30default_config_static_selectorELNS0_4arch9wavefront6targetE0EEEvT1_.uses_vcc, 0
	.set _ZN7rocprim17ROCPRIM_400000_NS6detail17trampoline_kernelINS0_14default_configENS1_25partition_config_selectorILNS1_17partition_subalgoE5EdNS0_10empty_typeEbEEZZNS1_14partition_implILS5_5ELb0ES3_mN6thrust23THRUST_200600_302600_NS6detail15normal_iteratorINSA_10device_ptrIdEEEEPS6_NSA_18transform_iteratorINSB_9not_fun_tI7is_trueIdEEENSC_INSD_IbEEEENSA_11use_defaultESO_EENS0_5tupleIJNSA_16discard_iteratorISO_EES6_EEENSQ_IJSG_SG_EEES6_PlJS6_EEE10hipError_tPvRmT3_T4_T5_T6_T7_T9_mT8_P12ihipStream_tbDpT10_ENKUlT_T0_E_clISt17integral_constantIbLb0EES1E_IbLb1EEEEDaS1A_S1B_EUlS1A_E_NS1_11comp_targetILNS1_3genE2ELNS1_11target_archE906ELNS1_3gpuE6ELNS1_3repE0EEENS1_30default_config_static_selectorELNS0_4arch9wavefront6targetE0EEEvT1_.uses_flat_scratch, 0
	.set _ZN7rocprim17ROCPRIM_400000_NS6detail17trampoline_kernelINS0_14default_configENS1_25partition_config_selectorILNS1_17partition_subalgoE5EdNS0_10empty_typeEbEEZZNS1_14partition_implILS5_5ELb0ES3_mN6thrust23THRUST_200600_302600_NS6detail15normal_iteratorINSA_10device_ptrIdEEEEPS6_NSA_18transform_iteratorINSB_9not_fun_tI7is_trueIdEEENSC_INSD_IbEEEENSA_11use_defaultESO_EENS0_5tupleIJNSA_16discard_iteratorISO_EES6_EEENSQ_IJSG_SG_EEES6_PlJS6_EEE10hipError_tPvRmT3_T4_T5_T6_T7_T9_mT8_P12ihipStream_tbDpT10_ENKUlT_T0_E_clISt17integral_constantIbLb0EES1E_IbLb1EEEEDaS1A_S1B_EUlS1A_E_NS1_11comp_targetILNS1_3genE2ELNS1_11target_archE906ELNS1_3gpuE6ELNS1_3repE0EEENS1_30default_config_static_selectorELNS0_4arch9wavefront6targetE0EEEvT1_.has_dyn_sized_stack, 0
	.set _ZN7rocprim17ROCPRIM_400000_NS6detail17trampoline_kernelINS0_14default_configENS1_25partition_config_selectorILNS1_17partition_subalgoE5EdNS0_10empty_typeEbEEZZNS1_14partition_implILS5_5ELb0ES3_mN6thrust23THRUST_200600_302600_NS6detail15normal_iteratorINSA_10device_ptrIdEEEEPS6_NSA_18transform_iteratorINSB_9not_fun_tI7is_trueIdEEENSC_INSD_IbEEEENSA_11use_defaultESO_EENS0_5tupleIJNSA_16discard_iteratorISO_EES6_EEENSQ_IJSG_SG_EEES6_PlJS6_EEE10hipError_tPvRmT3_T4_T5_T6_T7_T9_mT8_P12ihipStream_tbDpT10_ENKUlT_T0_E_clISt17integral_constantIbLb0EES1E_IbLb1EEEEDaS1A_S1B_EUlS1A_E_NS1_11comp_targetILNS1_3genE2ELNS1_11target_archE906ELNS1_3gpuE6ELNS1_3repE0EEENS1_30default_config_static_selectorELNS0_4arch9wavefront6targetE0EEEvT1_.has_recursion, 0
	.set _ZN7rocprim17ROCPRIM_400000_NS6detail17trampoline_kernelINS0_14default_configENS1_25partition_config_selectorILNS1_17partition_subalgoE5EdNS0_10empty_typeEbEEZZNS1_14partition_implILS5_5ELb0ES3_mN6thrust23THRUST_200600_302600_NS6detail15normal_iteratorINSA_10device_ptrIdEEEEPS6_NSA_18transform_iteratorINSB_9not_fun_tI7is_trueIdEEENSC_INSD_IbEEEENSA_11use_defaultESO_EENS0_5tupleIJNSA_16discard_iteratorISO_EES6_EEENSQ_IJSG_SG_EEES6_PlJS6_EEE10hipError_tPvRmT3_T4_T5_T6_T7_T9_mT8_P12ihipStream_tbDpT10_ENKUlT_T0_E_clISt17integral_constantIbLb0EES1E_IbLb1EEEEDaS1A_S1B_EUlS1A_E_NS1_11comp_targetILNS1_3genE2ELNS1_11target_archE906ELNS1_3gpuE6ELNS1_3repE0EEENS1_30default_config_static_selectorELNS0_4arch9wavefront6targetE0EEEvT1_.has_indirect_call, 0
	.section	.AMDGPU.csdata,"",@progbits
; Kernel info:
; codeLenInByte = 0
; TotalNumSgprs: 0
; NumVgprs: 0
; ScratchSize: 0
; MemoryBound: 0
; FloatMode: 240
; IeeeMode: 1
; LDSByteSize: 0 bytes/workgroup (compile time only)
; SGPRBlocks: 0
; VGPRBlocks: 0
; NumSGPRsForWavesPerEU: 1
; NumVGPRsForWavesPerEU: 1
; Occupancy: 16
; WaveLimiterHint : 0
; COMPUTE_PGM_RSRC2:SCRATCH_EN: 0
; COMPUTE_PGM_RSRC2:USER_SGPR: 2
; COMPUTE_PGM_RSRC2:TRAP_HANDLER: 0
; COMPUTE_PGM_RSRC2:TGID_X_EN: 1
; COMPUTE_PGM_RSRC2:TGID_Y_EN: 0
; COMPUTE_PGM_RSRC2:TGID_Z_EN: 0
; COMPUTE_PGM_RSRC2:TIDIG_COMP_CNT: 0
	.section	.text._ZN7rocprim17ROCPRIM_400000_NS6detail17trampoline_kernelINS0_14default_configENS1_25partition_config_selectorILNS1_17partition_subalgoE5EdNS0_10empty_typeEbEEZZNS1_14partition_implILS5_5ELb0ES3_mN6thrust23THRUST_200600_302600_NS6detail15normal_iteratorINSA_10device_ptrIdEEEEPS6_NSA_18transform_iteratorINSB_9not_fun_tI7is_trueIdEEENSC_INSD_IbEEEENSA_11use_defaultESO_EENS0_5tupleIJNSA_16discard_iteratorISO_EES6_EEENSQ_IJSG_SG_EEES6_PlJS6_EEE10hipError_tPvRmT3_T4_T5_T6_T7_T9_mT8_P12ihipStream_tbDpT10_ENKUlT_T0_E_clISt17integral_constantIbLb0EES1E_IbLb1EEEEDaS1A_S1B_EUlS1A_E_NS1_11comp_targetILNS1_3genE10ELNS1_11target_archE1200ELNS1_3gpuE4ELNS1_3repE0EEENS1_30default_config_static_selectorELNS0_4arch9wavefront6targetE0EEEvT1_,"axG",@progbits,_ZN7rocprim17ROCPRIM_400000_NS6detail17trampoline_kernelINS0_14default_configENS1_25partition_config_selectorILNS1_17partition_subalgoE5EdNS0_10empty_typeEbEEZZNS1_14partition_implILS5_5ELb0ES3_mN6thrust23THRUST_200600_302600_NS6detail15normal_iteratorINSA_10device_ptrIdEEEEPS6_NSA_18transform_iteratorINSB_9not_fun_tI7is_trueIdEEENSC_INSD_IbEEEENSA_11use_defaultESO_EENS0_5tupleIJNSA_16discard_iteratorISO_EES6_EEENSQ_IJSG_SG_EEES6_PlJS6_EEE10hipError_tPvRmT3_T4_T5_T6_T7_T9_mT8_P12ihipStream_tbDpT10_ENKUlT_T0_E_clISt17integral_constantIbLb0EES1E_IbLb1EEEEDaS1A_S1B_EUlS1A_E_NS1_11comp_targetILNS1_3genE10ELNS1_11target_archE1200ELNS1_3gpuE4ELNS1_3repE0EEENS1_30default_config_static_selectorELNS0_4arch9wavefront6targetE0EEEvT1_,comdat
	.protected	_ZN7rocprim17ROCPRIM_400000_NS6detail17trampoline_kernelINS0_14default_configENS1_25partition_config_selectorILNS1_17partition_subalgoE5EdNS0_10empty_typeEbEEZZNS1_14partition_implILS5_5ELb0ES3_mN6thrust23THRUST_200600_302600_NS6detail15normal_iteratorINSA_10device_ptrIdEEEEPS6_NSA_18transform_iteratorINSB_9not_fun_tI7is_trueIdEEENSC_INSD_IbEEEENSA_11use_defaultESO_EENS0_5tupleIJNSA_16discard_iteratorISO_EES6_EEENSQ_IJSG_SG_EEES6_PlJS6_EEE10hipError_tPvRmT3_T4_T5_T6_T7_T9_mT8_P12ihipStream_tbDpT10_ENKUlT_T0_E_clISt17integral_constantIbLb0EES1E_IbLb1EEEEDaS1A_S1B_EUlS1A_E_NS1_11comp_targetILNS1_3genE10ELNS1_11target_archE1200ELNS1_3gpuE4ELNS1_3repE0EEENS1_30default_config_static_selectorELNS0_4arch9wavefront6targetE0EEEvT1_ ; -- Begin function _ZN7rocprim17ROCPRIM_400000_NS6detail17trampoline_kernelINS0_14default_configENS1_25partition_config_selectorILNS1_17partition_subalgoE5EdNS0_10empty_typeEbEEZZNS1_14partition_implILS5_5ELb0ES3_mN6thrust23THRUST_200600_302600_NS6detail15normal_iteratorINSA_10device_ptrIdEEEEPS6_NSA_18transform_iteratorINSB_9not_fun_tI7is_trueIdEEENSC_INSD_IbEEEENSA_11use_defaultESO_EENS0_5tupleIJNSA_16discard_iteratorISO_EES6_EEENSQ_IJSG_SG_EEES6_PlJS6_EEE10hipError_tPvRmT3_T4_T5_T6_T7_T9_mT8_P12ihipStream_tbDpT10_ENKUlT_T0_E_clISt17integral_constantIbLb0EES1E_IbLb1EEEEDaS1A_S1B_EUlS1A_E_NS1_11comp_targetILNS1_3genE10ELNS1_11target_archE1200ELNS1_3gpuE4ELNS1_3repE0EEENS1_30default_config_static_selectorELNS0_4arch9wavefront6targetE0EEEvT1_
	.globl	_ZN7rocprim17ROCPRIM_400000_NS6detail17trampoline_kernelINS0_14default_configENS1_25partition_config_selectorILNS1_17partition_subalgoE5EdNS0_10empty_typeEbEEZZNS1_14partition_implILS5_5ELb0ES3_mN6thrust23THRUST_200600_302600_NS6detail15normal_iteratorINSA_10device_ptrIdEEEEPS6_NSA_18transform_iteratorINSB_9not_fun_tI7is_trueIdEEENSC_INSD_IbEEEENSA_11use_defaultESO_EENS0_5tupleIJNSA_16discard_iteratorISO_EES6_EEENSQ_IJSG_SG_EEES6_PlJS6_EEE10hipError_tPvRmT3_T4_T5_T6_T7_T9_mT8_P12ihipStream_tbDpT10_ENKUlT_T0_E_clISt17integral_constantIbLb0EES1E_IbLb1EEEEDaS1A_S1B_EUlS1A_E_NS1_11comp_targetILNS1_3genE10ELNS1_11target_archE1200ELNS1_3gpuE4ELNS1_3repE0EEENS1_30default_config_static_selectorELNS0_4arch9wavefront6targetE0EEEvT1_
	.p2align	8
	.type	_ZN7rocprim17ROCPRIM_400000_NS6detail17trampoline_kernelINS0_14default_configENS1_25partition_config_selectorILNS1_17partition_subalgoE5EdNS0_10empty_typeEbEEZZNS1_14partition_implILS5_5ELb0ES3_mN6thrust23THRUST_200600_302600_NS6detail15normal_iteratorINSA_10device_ptrIdEEEEPS6_NSA_18transform_iteratorINSB_9not_fun_tI7is_trueIdEEENSC_INSD_IbEEEENSA_11use_defaultESO_EENS0_5tupleIJNSA_16discard_iteratorISO_EES6_EEENSQ_IJSG_SG_EEES6_PlJS6_EEE10hipError_tPvRmT3_T4_T5_T6_T7_T9_mT8_P12ihipStream_tbDpT10_ENKUlT_T0_E_clISt17integral_constantIbLb0EES1E_IbLb1EEEEDaS1A_S1B_EUlS1A_E_NS1_11comp_targetILNS1_3genE10ELNS1_11target_archE1200ELNS1_3gpuE4ELNS1_3repE0EEENS1_30default_config_static_selectorELNS0_4arch9wavefront6targetE0EEEvT1_,@function
_ZN7rocprim17ROCPRIM_400000_NS6detail17trampoline_kernelINS0_14default_configENS1_25partition_config_selectorILNS1_17partition_subalgoE5EdNS0_10empty_typeEbEEZZNS1_14partition_implILS5_5ELb0ES3_mN6thrust23THRUST_200600_302600_NS6detail15normal_iteratorINSA_10device_ptrIdEEEEPS6_NSA_18transform_iteratorINSB_9not_fun_tI7is_trueIdEEENSC_INSD_IbEEEENSA_11use_defaultESO_EENS0_5tupleIJNSA_16discard_iteratorISO_EES6_EEENSQ_IJSG_SG_EEES6_PlJS6_EEE10hipError_tPvRmT3_T4_T5_T6_T7_T9_mT8_P12ihipStream_tbDpT10_ENKUlT_T0_E_clISt17integral_constantIbLb0EES1E_IbLb1EEEEDaS1A_S1B_EUlS1A_E_NS1_11comp_targetILNS1_3genE10ELNS1_11target_archE1200ELNS1_3gpuE4ELNS1_3repE0EEENS1_30default_config_static_selectorELNS0_4arch9wavefront6targetE0EEEvT1_: ; @_ZN7rocprim17ROCPRIM_400000_NS6detail17trampoline_kernelINS0_14default_configENS1_25partition_config_selectorILNS1_17partition_subalgoE5EdNS0_10empty_typeEbEEZZNS1_14partition_implILS5_5ELb0ES3_mN6thrust23THRUST_200600_302600_NS6detail15normal_iteratorINSA_10device_ptrIdEEEEPS6_NSA_18transform_iteratorINSB_9not_fun_tI7is_trueIdEEENSC_INSD_IbEEEENSA_11use_defaultESO_EENS0_5tupleIJNSA_16discard_iteratorISO_EES6_EEENSQ_IJSG_SG_EEES6_PlJS6_EEE10hipError_tPvRmT3_T4_T5_T6_T7_T9_mT8_P12ihipStream_tbDpT10_ENKUlT_T0_E_clISt17integral_constantIbLb0EES1E_IbLb1EEEEDaS1A_S1B_EUlS1A_E_NS1_11comp_targetILNS1_3genE10ELNS1_11target_archE1200ELNS1_3gpuE4ELNS1_3repE0EEENS1_30default_config_static_selectorELNS0_4arch9wavefront6targetE0EEEvT1_
; %bb.0:
	s_clause 0x2
	s_load_b64 s[16:17], s[0:1], 0x60
	s_load_b128 s[8:11], s[0:1], 0x50
	s_load_b64 s[12:13], s[0:1], 0x70
	v_cmp_eq_u32_e64 s2, 0, v0
	s_and_saveexec_b32 s3, s2
	s_cbranch_execz .LBB2618_4
; %bb.1:
	s_mov_b32 s5, exec_lo
	s_mov_b32 s4, exec_lo
	v_mbcnt_lo_u32_b32 v1, s5, 0
                                        ; implicit-def: $vgpr2
	s_delay_alu instid0(VALU_DEP_1)
	v_cmpx_eq_u32_e32 0, v1
	s_cbranch_execz .LBB2618_3
; %bb.2:
	s_load_b64 s[6:7], s[0:1], 0x80
	s_bcnt1_i32_b32 s5, s5
	s_wait_alu 0xfffe
	v_dual_mov_b32 v2, 0 :: v_dual_mov_b32 v3, s5
	s_wait_kmcnt 0x0
	global_atomic_add_u32 v2, v2, v3, s[6:7] th:TH_ATOMIC_RETURN scope:SCOPE_DEV
.LBB2618_3:
	s_or_b32 exec_lo, exec_lo, s4
	s_wait_loadcnt 0x0
	v_readfirstlane_b32 s4, v2
	s_wait_alu 0xf1ff
	s_delay_alu instid0(VALU_DEP_1)
	v_dual_mov_b32 v2, 0 :: v_dual_add_nc_u32 v1, s4, v1
	ds_store_b32 v2, v1
.LBB2618_4:
	s_or_b32 exec_lo, exec_lo, s3
	v_mov_b32_e32 v1, 0
	s_clause 0x2
	s_load_b128 s[4:7], s[0:1], 0x8
	s_load_b64 s[14:15], s[0:1], 0x20
	s_load_b32 s0, s[0:1], 0x78
	s_wait_dscnt 0x0
	s_barrier_signal -1
	s_barrier_wait -1
	global_inv scope:SCOPE_SE
	ds_load_b32 v2, v1
	s_wait_loadcnt_dscnt 0x0
	s_barrier_signal -1
	s_barrier_wait -1
	global_inv scope:SCOPE_SE
	s_wait_kmcnt 0x0
	global_load_b64 v[17:18], v1, s[10:11]
	s_lshl_b64 s[10:11], s[6:7], 3
	s_delay_alu instid0(SALU_CYCLE_1)
	s_add_nc_u64 s[10:11], s[4:5], s[10:11]
	s_mul_i32 s4, s0, 0x500
	s_mov_b32 s5, 0
	s_wait_alu 0xfffe
	s_add_co_i32 s1, s4, s6
	s_add_co_i32 s3, s0, -1
	v_readfirstlane_b32 s18, v2
	s_sub_co_i32 s19, s16, s1
	s_add_nc_u64 s[0:1], s[6:7], s[4:5]
	s_addk_co_i32 s19, 0x500
	v_cmp_gt_u64_e64 s0, s[16:17], s[0:1]
	s_cmp_eq_u32 s18, s3
	s_mul_i32 s20, s18, 0x500
	s_cselect_b32 s16, -1, 0
	s_cmp_lg_u32 s18, s3
	s_mov_b32 s4, s20
	s_cselect_b32 s1, -1, 0
	s_wait_alu 0xfffe
	s_lshl_b64 s[20:21], s[4:5], 3
	s_or_b32 s1, s0, s1
	s_mov_b32 s3, -1
	s_wait_alu 0xfffe
	s_and_b32 vcc_lo, exec_lo, s1
	s_add_nc_u64 s[10:11], s[10:11], s[20:21]
	s_cbranch_vccz .LBB2618_6
; %bb.5:
	v_lshlrev_b32_e32 v11, 3, v0
	s_mov_b32 s3, s5
	s_delay_alu instid0(VALU_DEP_1)
	v_add_co_u32 v1, s0, s10, v11
	s_wait_alu 0xf1ff
	v_add_co_ci_u32_e64 v2, null, s11, 0, s0
	s_clause 0x4
	flat_load_b64 v[3:4], v[1:2]
	flat_load_b64 v[5:6], v[1:2] offset:2048
	flat_load_b64 v[7:8], v[1:2] offset:4096
	;; [unrolled: 1-line block ×4, first 2 shown]
	s_wait_loadcnt_dscnt 0x303
	ds_store_2addr_stride64_b64 v11, v[3:4], v[5:6] offset1:4
	s_wait_loadcnt_dscnt 0x102
	ds_store_2addr_stride64_b64 v11, v[7:8], v[9:10] offset0:8 offset1:12
	s_wait_loadcnt_dscnt 0x2
	ds_store_b64 v11, v[1:2] offset:8192
	s_wait_dscnt 0x0
	s_barrier_signal -1
	s_barrier_wait -1
.LBB2618_6:
	v_cmp_gt_u32_e64 s0, s19, v0
	s_and_not1_b32 vcc_lo, exec_lo, s3
	s_cbranch_vccnz .LBB2618_18
; %bb.7:
	v_mov_b32_e32 v1, 0
	s_delay_alu instid0(VALU_DEP_1)
	v_dual_mov_b32 v2, v1 :: v_dual_mov_b32 v3, v1
	v_dual_mov_b32 v4, v1 :: v_dual_mov_b32 v5, v1
	;; [unrolled: 1-line block ×4, first 2 shown]
	v_mov_b32_e32 v10, v1
	s_and_saveexec_b32 s3, s0
	s_cbranch_execz .LBB2618_9
; %bb.8:
	v_dual_mov_b32 v5, v1 :: v_dual_lshlrev_b32 v2, 3, v0
	v_dual_mov_b32 v4, v1 :: v_dual_mov_b32 v7, v1
	v_dual_mov_b32 v6, v1 :: v_dual_mov_b32 v9, v1
	s_delay_alu instid0(VALU_DEP_3)
	v_add_co_u32 v2, s0, s10, v2
	s_wait_alu 0xf1ff
	v_add_co_ci_u32_e64 v3, null, s11, 0, s0
	v_dual_mov_b32 v8, v1 :: v_dual_mov_b32 v11, v1
	v_mov_b32_e32 v10, v1
	flat_load_b64 v[2:3], v[2:3]
	s_wait_loadcnt_dscnt 0x0
	v_mov_b32_e32 v1, v2
	v_mov_b32_e32 v2, v3
	;; [unrolled: 1-line block ×16, first 2 shown]
.LBB2618_9:
	s_or_b32 exec_lo, exec_lo, s3
	v_or_b32_e32 v11, 0x100, v0
	s_mov_b32 s0, exec_lo
	s_delay_alu instid0(VALU_DEP_1)
	v_cmpx_gt_u32_e64 s19, v11
	s_cbranch_execz .LBB2618_11
; %bb.10:
	v_lshlrev_b32_e32 v3, 3, v0
	s_delay_alu instid0(VALU_DEP_1) | instskip(NEXT) | instid1(VALU_DEP_1)
	v_add_co_u32 v3, s3, s10, v3
	v_add_co_ci_u32_e64 v4, null, s11, 0, s3
	flat_load_b64 v[3:4], v[3:4] offset:2048
.LBB2618_11:
	s_wait_alu 0xfffe
	s_or_b32 exec_lo, exec_lo, s0
	v_or_b32_e32 v11, 0x200, v0
	s_mov_b32 s0, exec_lo
	s_delay_alu instid0(VALU_DEP_1)
	v_cmpx_gt_u32_e64 s19, v11
	s_cbranch_execz .LBB2618_13
; %bb.12:
	v_lshlrev_b32_e32 v5, 3, v0
	s_delay_alu instid0(VALU_DEP_1)
	v_add_co_u32 v5, s3, s10, v5
	s_wait_alu 0xf1ff
	v_add_co_ci_u32_e64 v6, null, s11, 0, s3
	flat_load_b64 v[5:6], v[5:6] offset:4096
.LBB2618_13:
	s_wait_alu 0xfffe
	s_or_b32 exec_lo, exec_lo, s0
	v_or_b32_e32 v11, 0x300, v0
	s_mov_b32 s0, exec_lo
	s_delay_alu instid0(VALU_DEP_1)
	v_cmpx_gt_u32_e64 s19, v11
	s_cbranch_execz .LBB2618_15
; %bb.14:
	v_lshlrev_b32_e32 v7, 3, v0
	s_delay_alu instid0(VALU_DEP_1)
	v_add_co_u32 v7, s3, s10, v7
	s_wait_alu 0xf1ff
	v_add_co_ci_u32_e64 v8, null, s11, 0, s3
	flat_load_b64 v[7:8], v[7:8] offset:6144
.LBB2618_15:
	;; [unrolled: 15-line block ×3, first 2 shown]
	s_wait_alu 0xfffe
	s_or_b32 exec_lo, exec_lo, s0
	v_lshlrev_b32_e32 v11, 3, v0
	s_wait_loadcnt_dscnt 0x0
	ds_store_2addr_stride64_b64 v11, v[1:2], v[3:4] offset1:4
	ds_store_2addr_stride64_b64 v11, v[5:6], v[7:8] offset0:8 offset1:12
	ds_store_b64 v11, v[9:10] offset:8192
	s_wait_dscnt 0x0
	s_barrier_signal -1
	s_barrier_wait -1
.LBB2618_18:
	v_mul_u32_u24_e32 v1, 5, v0
	s_wait_loadcnt 0x0
	global_inv scope:SCOPE_SE
	s_add_nc_u64 s[6:7], s[14:15], s[6:7]
	s_and_b32 vcc_lo, exec_lo, s1
	s_add_nc_u64 s[6:7], s[6:7], s[4:5]
	v_lshlrev_b32_e32 v9, 3, v1
	s_mov_b32 s5, -1
	ds_load_2addr_b64 v[5:8], v9 offset1:1
	ds_load_2addr_b64 v[1:4], v9 offset0:2 offset1:3
	ds_load_b64 v[19:20], v9 offset:32
	s_wait_loadcnt_dscnt 0x0
	s_barrier_signal -1
	s_barrier_wait -1
	global_inv scope:SCOPE_SE
	s_cbranch_vccz .LBB2618_20
; %bb.19:
	s_clause 0x4
	global_load_u8 v10, v0, s[6:7]
	global_load_u8 v11, v0, s[6:7] offset:256
	global_load_u8 v12, v0, s[6:7] offset:512
	;; [unrolled: 1-line block ×4, first 2 shown]
	s_mov_b32 s5, 0
	s_wait_loadcnt 0x4
	v_and_b32_e32 v10, 1, v10
	s_wait_loadcnt 0x3
	v_and_b32_e32 v11, 1, v11
	;; [unrolled: 2-line block ×5, first 2 shown]
	v_cmp_eq_u32_e32 vcc_lo, 1, v10
	v_cmp_eq_u32_e64 s0, 1, v11
	v_cmp_eq_u32_e64 s1, 1, v12
	;; [unrolled: 1-line block ×4, first 2 shown]
	s_xor_b32 s10, vcc_lo, -1
	s_xor_b32 s0, s0, -1
	s_wait_alu 0xfffe
	v_cndmask_b32_e64 v10, 0, 1, s10
	v_cndmask_b32_e64 v11, 0, 1, s0
	s_xor_b32 s0, s1, -1
	s_wait_alu 0xfffe
	v_cndmask_b32_e64 v12, 0, 1, s0
	s_xor_b32 s0, s3, -1
	s_wait_alu 0xfffe
	;; [unrolled: 3-line block ×3, first 2 shown]
	v_cndmask_b32_e64 v14, 0, 1, s0
	ds_store_b8 v0, v10
	ds_store_b8 v0, v11 offset:256
	ds_store_b8 v0, v12 offset:512
	;; [unrolled: 1-line block ×4, first 2 shown]
	s_wait_dscnt 0x0
	s_barrier_signal -1
	s_barrier_wait -1
.LBB2618_20:
	s_wait_alu 0xfffe
	s_and_not1_b32 vcc_lo, exec_lo, s5
	s_cbranch_vccnz .LBB2618_32
; %bb.21:
	v_mov_b32_e32 v12, 0
	s_mov_b32 s1, 0
	s_mov_b32 s0, exec_lo
	s_delay_alu instid0(VALU_DEP_1)
	v_dual_mov_b32 v10, v12 :: v_dual_mov_b32 v11, v12
	v_cmpx_gt_u32_e64 s19, v0
	s_cbranch_execz .LBB2618_23
; %bb.22:
	global_load_u8 v10, v0, s[6:7]
	s_wait_loadcnt 0x0
	v_and_b32_e32 v10, 1, v10
	s_delay_alu instid0(VALU_DEP_1)
	v_cmp_eq_u32_e32 vcc_lo, 1, v10
	s_wait_alu 0xfffe
	v_mov_b32_e32 v10, s1
	s_xor_b32 s3, vcc_lo, -1
	s_wait_alu 0xfffe
	v_cndmask_b32_e64 v12, 0, 1, s3
	s_delay_alu instid0(VALU_DEP_1)
	v_mov_b32_e32 v11, v12
.LBB2618_23:
	s_wait_alu 0xfffe
	s_or_b32 exec_lo, exec_lo, s0
	v_or_b32_e32 v13, 0x100, v0
	s_mov_b32 s0, exec_lo
	s_delay_alu instid0(VALU_DEP_1)
	v_cmpx_gt_u32_e64 s19, v13
	s_cbranch_execz .LBB2618_25
; %bb.24:
	global_load_u8 v13, v0, s[6:7] offset:256
	v_lshrrev_b32_e32 v14, 16, v12
	v_and_b32_e32 v10, 0xff, v10
	s_delay_alu instid0(VALU_DEP_2) | instskip(SKIP_2) | instid1(VALU_DEP_1)
	v_and_b32_e32 v14, 0xff, v14
	s_wait_loadcnt 0x0
	v_and_b32_e32 v13, 1, v13
	v_cmp_eq_u32_e32 vcc_lo, 1, v13
	v_lshrrev_b32_e32 v13, 24, v12
	v_and_b32_e32 v12, 0xff, v12
	s_xor_b32 s1, vcc_lo, -1
	s_delay_alu instid0(VALU_DEP_2) | instskip(SKIP_2) | instid1(VALU_DEP_2)
	v_lshlrev_b16 v13, 8, v13
	s_wait_alu 0xfffe
	v_cndmask_b32_e64 v15, 0, 1, s1
	v_or_b32_e32 v13, v14, v13
	s_delay_alu instid0(VALU_DEP_2) | instskip(NEXT) | instid1(VALU_DEP_2)
	v_lshlrev_b16 v15, 8, v15
	v_lshlrev_b32_e32 v13, 16, v13
	s_delay_alu instid0(VALU_DEP_2) | instskip(NEXT) | instid1(VALU_DEP_1)
	v_or_b32_e32 v12, v12, v15
	v_and_b32_e32 v12, 0xffff, v12
	s_delay_alu instid0(VALU_DEP_1)
	v_or_b32_e32 v12, v12, v13
.LBB2618_25:
	s_wait_alu 0xfffe
	s_or_b32 exec_lo, exec_lo, s0
	v_or_b32_e32 v13, 0x200, v0
	s_mov_b32 s0, exec_lo
	s_delay_alu instid0(VALU_DEP_1)
	v_cmpx_gt_u32_e64 s19, v13
	s_cbranch_execz .LBB2618_27
; %bb.26:
	global_load_u8 v13, v0, s[6:7] offset:512
	v_lshrrev_b32_e32 v14, 24, v12
	v_perm_b32 v12, v12, v12, 0xc0c0104
	v_and_b32_e32 v10, 0xff, v10
	s_wait_loadcnt 0x0
	v_and_b32_e32 v13, 1, v13
	s_delay_alu instid0(VALU_DEP_1) | instskip(SKIP_4) | instid1(VALU_DEP_1)
	v_cmp_eq_u32_e32 vcc_lo, 1, v13
	v_lshlrev_b16 v13, 8, v14
	s_xor_b32 s1, vcc_lo, -1
	s_wait_alu 0xfffe
	v_cndmask_b32_e64 v14, 0, 1, s1
	v_or_b32_e32 v13, v14, v13
	s_delay_alu instid0(VALU_DEP_1) | instskip(NEXT) | instid1(VALU_DEP_1)
	v_lshlrev_b32_e32 v13, 16, v13
	v_or_b32_e32 v12, v12, v13
.LBB2618_27:
	s_wait_alu 0xfffe
	s_or_b32 exec_lo, exec_lo, s0
	v_or_b32_e32 v13, 0x300, v0
	s_mov_b32 s0, exec_lo
	s_delay_alu instid0(VALU_DEP_1)
	v_cmpx_gt_u32_e64 s19, v13
	s_cbranch_execz .LBB2618_29
; %bb.28:
	global_load_u8 v13, v0, s[6:7] offset:768
	v_and_b32_e32 v10, 0xff, v10
	s_wait_loadcnt 0x0
	v_and_b32_e32 v13, 1, v13
	s_delay_alu instid0(VALU_DEP_1) | instskip(SKIP_3) | instid1(VALU_DEP_2)
	v_cmp_eq_u32_e32 vcc_lo, 1, v13
	v_lshrrev_b32_e32 v13, 16, v12
	v_perm_b32 v12, v12, v12, 0xc0c0104
	s_xor_b32 s1, vcc_lo, -1
	v_and_b32_e32 v13, 0xff, v13
	s_wait_alu 0xfffe
	v_cndmask_b32_e64 v14, 0, 1, s1
	s_delay_alu instid0(VALU_DEP_1) | instskip(NEXT) | instid1(VALU_DEP_1)
	v_lshlrev_b16 v14, 8, v14
	v_or_b32_e32 v13, v13, v14
	s_delay_alu instid0(VALU_DEP_1) | instskip(NEXT) | instid1(VALU_DEP_1)
	v_lshlrev_b32_e32 v13, 16, v13
	v_or_b32_e32 v12, v12, v13
.LBB2618_29:
	s_wait_alu 0xfffe
	s_or_b32 exec_lo, exec_lo, s0
	v_or_b32_e32 v13, 0x400, v0
	s_mov_b32 s0, exec_lo
	s_delay_alu instid0(VALU_DEP_1)
	v_cmpx_gt_u32_e64 s19, v13
	s_cbranch_execz .LBB2618_31
; %bb.30:
	global_load_u8 v10, v0, s[6:7] offset:1024
	v_perm_b32 v12, v12, v12, 0x3020104
	s_wait_loadcnt 0x0
	v_and_b32_e32 v10, 1, v10
	s_delay_alu instid0(VALU_DEP_1)
	v_cmp_eq_u32_e32 vcc_lo, 1, v10
	s_xor_b32 s1, vcc_lo, -1
	s_wait_alu 0xfffe
	v_cndmask_b32_e64 v10, 0, 1, s1
.LBB2618_31:
	s_wait_alu 0xfffe
	s_or_b32 exec_lo, exec_lo, s0
	v_lshrrev_b32_e32 v13, 8, v12
	v_lshrrev_b32_e32 v14, 24, v12
	ds_store_b8 v0, v11
	ds_store_b8 v0, v13 offset:256
	ds_store_b8_d16_hi v0, v12 offset:512
	ds_store_b8 v0, v14 offset:768
	ds_store_b8 v0, v10 offset:1024
	s_wait_loadcnt_dscnt 0x0
	s_barrier_signal -1
	s_barrier_wait -1
.LBB2618_32:
	v_mad_i32_i24 v35, 0xffffffdd, v0, v9
	s_wait_loadcnt 0x0
	global_inv scope:SCOPE_SE
	v_mbcnt_lo_u32_b32 v34, -1, 0
	s_cmp_lg_u32 s18, 0
	s_mov_b32 s1, -1
	ds_load_u8 v9, v35
	ds_load_u8 v10, v35 offset:1
	ds_load_u8 v11, v35 offset:2
	;; [unrolled: 1-line block ×4, first 2 shown]
	s_wait_loadcnt_dscnt 0x0
	v_and_b32_e32 v36, 15, v34
	s_barrier_signal -1
	s_barrier_wait -1
	global_inv scope:SCOPE_SE
	v_and_b32_e32 v33, 1, v9
	v_and_b32_e32 v32, 1, v10
	v_dual_mov_b32 v10, 0 :: v_dual_and_b32 v31, 1, v11
	v_and_b32_e32 v30, 1, v12
	v_and_b32_e32 v29, 1, v13
	s_delay_alu instid0(VALU_DEP_3) | instskip(NEXT) | instid1(VALU_DEP_1)
	v_add3_u32 v9, v32, v33, v31
	v_add_co_u32 v9, s0, v9, v30
	s_wait_alu 0xf1ff
	v_add_co_ci_u32_e64 v11, null, 0, 0, s0
	v_cmp_ne_u32_e64 s0, 0, v36
	s_delay_alu instid0(VALU_DEP_3) | instskip(NEXT) | instid1(VALU_DEP_1)
	v_add_co_u32 v21, vcc_lo, v9, v29
	v_add_co_ci_u32_e64 v22, null, 0, v11, vcc_lo
	s_cbranch_scc0 .LBB2618_89
; %bb.33:
	v_mov_b32_e32 v11, v21
	v_mov_b32_dpp v9, v21 row_shr:1 row_mask:0xf bank_mask:0xf
	v_mov_b32_dpp v14, v10 row_shr:1 row_mask:0xf bank_mask:0xf
	v_dual_mov_b32 v13, v21 :: v_dual_mov_b32 v12, v22
	s_and_saveexec_b32 s1, s0
; %bb.34:
	s_delay_alu instid0(VALU_DEP_3) | instskip(SKIP_2) | instid1(VALU_DEP_2)
	v_add_co_u32 v13, vcc_lo, v21, v9
	s_wait_alu 0xfffd
	v_add_co_ci_u32_e64 v10, null, 0, v22, vcc_lo
	v_add_co_u32 v9, vcc_lo, 0, v13
	s_wait_alu 0xfffd
	s_delay_alu instid0(VALU_DEP_2) | instskip(NEXT) | instid1(VALU_DEP_1)
	v_add_co_ci_u32_e64 v10, null, v14, v10, vcc_lo
	v_dual_mov_b32 v12, v10 :: v_dual_mov_b32 v11, v9
; %bb.35:
	s_wait_alu 0xfffe
	s_or_b32 exec_lo, exec_lo, s1
	v_mov_b32_dpp v9, v13 row_shr:2 row_mask:0xf bank_mask:0xf
	v_mov_b32_dpp v14, v10 row_shr:2 row_mask:0xf bank_mask:0xf
	s_mov_b32 s1, exec_lo
	v_cmpx_lt_u32_e32 1, v36
; %bb.36:
	s_delay_alu instid0(VALU_DEP_3) | instskip(SKIP_2) | instid1(VALU_DEP_2)
	v_add_co_u32 v13, vcc_lo, v11, v9
	s_wait_alu 0xfffd
	v_add_co_ci_u32_e64 v10, null, 0, v12, vcc_lo
	v_add_co_u32 v9, vcc_lo, 0, v13
	s_wait_alu 0xfffd
	s_delay_alu instid0(VALU_DEP_2) | instskip(NEXT) | instid1(VALU_DEP_1)
	v_add_co_ci_u32_e64 v10, null, v14, v10, vcc_lo
	v_dual_mov_b32 v12, v10 :: v_dual_mov_b32 v11, v9
; %bb.37:
	s_wait_alu 0xfffe
	s_or_b32 exec_lo, exec_lo, s1
	v_mov_b32_dpp v9, v13 row_shr:4 row_mask:0xf bank_mask:0xf
	v_mov_b32_dpp v14, v10 row_shr:4 row_mask:0xf bank_mask:0xf
	s_mov_b32 s1, exec_lo
	v_cmpx_lt_u32_e32 3, v36
	;; [unrolled: 17-line block ×3, first 2 shown]
; %bb.40:
	s_delay_alu instid0(VALU_DEP_3) | instskip(SKIP_2) | instid1(VALU_DEP_2)
	v_add_co_u32 v13, vcc_lo, v11, v14
	s_wait_alu 0xfffd
	v_add_co_ci_u32_e64 v10, null, 0, v12, vcc_lo
	v_add_co_u32 v11, vcc_lo, 0, v13
	s_wait_alu 0xfffd
	s_delay_alu instid0(VALU_DEP_2) | instskip(NEXT) | instid1(VALU_DEP_1)
	v_add_co_ci_u32_e64 v12, null, v9, v10, vcc_lo
	v_mov_b32_e32 v10, v12
; %bb.41:
	s_wait_alu 0xfffe
	s_or_b32 exec_lo, exec_lo, s1
	ds_swizzle_b32 v14, v13 offset:swizzle(BROADCAST,32,15)
	ds_swizzle_b32 v9, v10 offset:swizzle(BROADCAST,32,15)
	v_and_b32_e32 v10, 16, v34
	s_mov_b32 s1, exec_lo
	s_delay_alu instid0(VALU_DEP_1)
	v_cmpx_ne_u32_e32 0, v10
	s_cbranch_execz .LBB2618_43
; %bb.42:
	s_wait_dscnt 0x1
	v_add_co_u32 v13, vcc_lo, v11, v14
	s_wait_alu 0xfffd
	v_add_co_ci_u32_e64 v10, null, 0, v12, vcc_lo
	s_delay_alu instid0(VALU_DEP_2) | instskip(SKIP_2) | instid1(VALU_DEP_2)
	v_add_co_u32 v11, vcc_lo, 0, v13
	s_wait_dscnt 0x0
	s_wait_alu 0xfffd
	v_add_co_ci_u32_e64 v12, null, v9, v10, vcc_lo
.LBB2618_43:
	s_wait_alu 0xfffe
	s_or_b32 exec_lo, exec_lo, s1
	s_wait_dscnt 0x0
	v_or_b32_e32 v9, 31, v0
	v_lshrrev_b32_e32 v14, 5, v0
	s_mov_b32 s1, exec_lo
	s_delay_alu instid0(VALU_DEP_2)
	v_cmpx_eq_u32_e64 v0, v9
; %bb.44:
	s_delay_alu instid0(VALU_DEP_2)
	v_lshlrev_b32_e32 v9, 3, v14
	ds_store_b64 v9, v[11:12]
; %bb.45:
	s_wait_alu 0xfffe
	s_or_b32 exec_lo, exec_lo, s1
	s_delay_alu instid0(SALU_CYCLE_1)
	s_mov_b32 s1, exec_lo
	s_wait_loadcnt_dscnt 0x0
	s_barrier_signal -1
	s_barrier_wait -1
	global_inv scope:SCOPE_SE
	v_cmpx_gt_u32_e32 8, v0
	s_cbranch_execz .LBB2618_53
; %bb.46:
	v_lshlrev_b32_e32 v11, 3, v0
	s_mov_b32 s3, exec_lo
	ds_load_b64 v[9:10], v11
	s_wait_dscnt 0x0
	v_dual_mov_b32 v15, v9 :: v_dual_and_b32 v12, 7, v34
	v_mov_b32_dpp v23, v9 row_shr:1 row_mask:0xf bank_mask:0xf
	v_mov_b32_dpp v16, v10 row_shr:1 row_mask:0xf bank_mask:0xf
	s_delay_alu instid0(VALU_DEP_3)
	v_cmpx_ne_u32_e32 0, v12
; %bb.47:
	s_delay_alu instid0(VALU_DEP_3) | instskip(SKIP_2) | instid1(VALU_DEP_2)
	v_add_co_u32 v15, vcc_lo, v9, v23
	s_wait_alu 0xfffd
	v_add_co_ci_u32_e64 v10, null, 0, v10, vcc_lo
	v_add_co_u32 v9, vcc_lo, 0, v15
	s_wait_alu 0xfffd
	s_delay_alu instid0(VALU_DEP_2)
	v_add_co_ci_u32_e64 v10, null, v16, v10, vcc_lo
; %bb.48:
	s_wait_alu 0xfffe
	s_or_b32 exec_lo, exec_lo, s3
	v_mov_b32_dpp v23, v15 row_shr:2 row_mask:0xf bank_mask:0xf
	s_delay_alu instid0(VALU_DEP_2)
	v_mov_b32_dpp v16, v10 row_shr:2 row_mask:0xf bank_mask:0xf
	s_mov_b32 s3, exec_lo
	v_cmpx_lt_u32_e32 1, v12
; %bb.49:
	s_delay_alu instid0(VALU_DEP_3) | instskip(SKIP_2) | instid1(VALU_DEP_2)
	v_add_co_u32 v15, vcc_lo, v9, v23
	s_wait_alu 0xfffd
	v_add_co_ci_u32_e64 v10, null, 0, v10, vcc_lo
	v_add_co_u32 v9, vcc_lo, 0, v15
	s_wait_alu 0xfffd
	s_delay_alu instid0(VALU_DEP_2)
	v_add_co_ci_u32_e64 v10, null, v16, v10, vcc_lo
; %bb.50:
	s_wait_alu 0xfffe
	s_or_b32 exec_lo, exec_lo, s3
	v_mov_b32_dpp v16, v15 row_shr:4 row_mask:0xf bank_mask:0xf
	s_delay_alu instid0(VALU_DEP_2)
	v_mov_b32_dpp v15, v10 row_shr:4 row_mask:0xf bank_mask:0xf
	s_mov_b32 s3, exec_lo
	v_cmpx_lt_u32_e32 3, v12
; %bb.51:
	s_delay_alu instid0(VALU_DEP_3) | instskip(SKIP_2) | instid1(VALU_DEP_2)
	v_add_co_u32 v9, vcc_lo, v9, v16
	s_wait_alu 0xfffd
	v_add_co_ci_u32_e64 v10, null, 0, v10, vcc_lo
	v_add_co_u32 v9, vcc_lo, v9, 0
	s_wait_alu 0xfffd
	s_delay_alu instid0(VALU_DEP_2)
	v_add_co_ci_u32_e64 v10, null, v10, v15, vcc_lo
; %bb.52:
	s_wait_alu 0xfffe
	s_or_b32 exec_lo, exec_lo, s3
	ds_store_b64 v11, v[9:10]
.LBB2618_53:
	s_wait_alu 0xfffe
	s_or_b32 exec_lo, exec_lo, s1
	s_delay_alu instid0(SALU_CYCLE_1)
	s_mov_b32 s3, exec_lo
	v_cmp_gt_u32_e32 vcc_lo, 32, v0
	s_wait_loadcnt_dscnt 0x0
	s_barrier_signal -1
	s_barrier_wait -1
	global_inv scope:SCOPE_SE
                                        ; implicit-def: $vgpr23_vgpr24
	v_cmpx_lt_u32_e32 31, v0
	s_cbranch_execz .LBB2618_55
; %bb.54:
	v_lshl_add_u32 v9, v14, 3, -8
	ds_load_b64 v[23:24], v9
	s_wait_dscnt 0x0
	v_add_nc_u32_e32 v13, v13, v23
.LBB2618_55:
	s_wait_alu 0xfffe
	s_or_b32 exec_lo, exec_lo, s3
	v_sub_co_u32 v9, s1, v34, 1
	s_delay_alu instid0(VALU_DEP_1) | instskip(SKIP_1) | instid1(VALU_DEP_1)
	v_cmp_gt_i32_e64 s3, 0, v9
	s_wait_alu 0xf1ff
	v_cndmask_b32_e64 v9, v9, v34, s3
	s_delay_alu instid0(VALU_DEP_1)
	v_lshlrev_b32_e32 v9, 2, v9
	ds_bpermute_b32 v37, v9, v13
	s_and_saveexec_b32 s3, vcc_lo
	s_cbranch_execz .LBB2618_94
; %bb.56:
	v_mov_b32_e32 v12, 0
	ds_load_b64 v[9:10], v12 offset:56
	s_and_saveexec_b32 s4, s1
	s_cbranch_execz .LBB2618_58
; %bb.57:
	s_add_co_i32 s6, s18, 32
	s_mov_b32 s7, 0
	s_delay_alu instid0(SALU_CYCLE_1) | instskip(NEXT) | instid1(SALU_CYCLE_1)
	s_lshl_b64 s[6:7], s[6:7], 4
	s_add_nc_u64 s[6:7], s[12:13], s[6:7]
	s_delay_alu instid0(SALU_CYCLE_1)
	v_dual_mov_b32 v11, 1 :: v_dual_mov_b32 v14, s7
	v_mov_b32_e32 v13, s6
	s_wait_dscnt 0x0
	;;#ASMSTART
	global_store_b128 v[13:14], v[9:12] off scope:SCOPE_DEV	
s_wait_storecnt 0x0
	;;#ASMEND
.LBB2618_58:
	s_wait_alu 0xfffe
	s_or_b32 exec_lo, exec_lo, s4
	v_xad_u32 v25, v34, -1, s18
	s_mov_b32 s5, 0
	s_mov_b32 s4, exec_lo
	s_delay_alu instid0(VALU_DEP_1) | instskip(NEXT) | instid1(VALU_DEP_1)
	v_add_nc_u32_e32 v11, 32, v25
	v_lshlrev_b64_e32 v[11:12], 4, v[11:12]
	s_delay_alu instid0(VALU_DEP_1) | instskip(SKIP_1) | instid1(VALU_DEP_2)
	v_add_co_u32 v11, vcc_lo, s12, v11
	s_wait_alu 0xfffd
	v_add_co_ci_u32_e64 v12, null, s13, v12, vcc_lo
	;;#ASMSTART
	global_load_b128 v[13:16], v[11:12] off scope:SCOPE_DEV	
s_wait_loadcnt 0x0
	;;#ASMEND
	v_and_b32_e32 v16, 0xff, v15
	s_delay_alu instid0(VALU_DEP_1)
	v_cmpx_eq_u16_e32 0, v16
	s_cbranch_execz .LBB2618_61
.LBB2618_59:                            ; =>This Inner Loop Header: Depth=1
	;;#ASMSTART
	global_load_b128 v[13:16], v[11:12] off scope:SCOPE_DEV	
s_wait_loadcnt 0x0
	;;#ASMEND
	v_and_b32_e32 v16, 0xff, v15
	s_delay_alu instid0(VALU_DEP_1)
	v_cmp_ne_u16_e32 vcc_lo, 0, v16
	s_wait_alu 0xfffe
	s_or_b32 s5, vcc_lo, s5
	s_wait_alu 0xfffe
	s_and_not1_b32 exec_lo, exec_lo, s5
	s_cbranch_execnz .LBB2618_59
; %bb.60:
	s_or_b32 exec_lo, exec_lo, s5
.LBB2618_61:
	s_wait_alu 0xfffe
	s_or_b32 exec_lo, exec_lo, s4
	v_cmp_ne_u32_e32 vcc_lo, 31, v34
	v_and_b32_e32 v12, 0xff, v15
	v_lshlrev_b32_e64 v39, v34, -1
	s_mov_b32 s4, exec_lo
	s_wait_alu 0xfffd
	v_add_co_ci_u32_e64 v11, null, 0, v34, vcc_lo
	v_cmp_eq_u16_e32 vcc_lo, 2, v12
	v_mov_b32_e32 v12, v13
	s_delay_alu instid0(VALU_DEP_3)
	v_lshlrev_b32_e32 v38, 2, v11
	s_wait_alu 0xfffd
	v_and_or_b32 v11, vcc_lo, v39, 0x80000000
	ds_bpermute_b32 v26, v38, v13
	ds_bpermute_b32 v16, v38, v14
	v_ctz_i32_b32_e32 v11, v11
	s_delay_alu instid0(VALU_DEP_1)
	v_cmpx_lt_u32_e64 v34, v11
	s_cbranch_execz .LBB2618_63
; %bb.62:
	s_wait_dscnt 0x1
	v_add_co_u32 v12, vcc_lo, v13, v26
	s_wait_alu 0xfffd
	v_add_co_ci_u32_e64 v14, null, 0, v14, vcc_lo
	s_delay_alu instid0(VALU_DEP_2) | instskip(SKIP_2) | instid1(VALU_DEP_2)
	v_add_co_u32 v13, vcc_lo, 0, v12
	s_wait_dscnt 0x0
	s_wait_alu 0xfffd
	v_add_co_ci_u32_e64 v14, null, v16, v14, vcc_lo
.LBB2618_63:
	s_wait_alu 0xfffe
	s_or_b32 exec_lo, exec_lo, s4
	v_cmp_gt_u32_e32 vcc_lo, 30, v34
	v_add_nc_u32_e32 v41, 2, v34
	s_mov_b32 s4, exec_lo
	s_wait_dscnt 0x0
	s_wait_alu 0xfffd
	v_cndmask_b32_e64 v16, 0, 2, vcc_lo
	s_delay_alu instid0(VALU_DEP_1)
	v_add_lshl_u32 v40, v16, v34, 2
	ds_bpermute_b32 v26, v40, v12
	ds_bpermute_b32 v16, v40, v14
	v_cmpx_le_u32_e64 v41, v11
	s_cbranch_execz .LBB2618_65
; %bb.64:
	s_wait_dscnt 0x1
	v_add_co_u32 v12, vcc_lo, v13, v26
	s_wait_alu 0xfffd
	v_add_co_ci_u32_e64 v14, null, 0, v14, vcc_lo
	s_delay_alu instid0(VALU_DEP_2) | instskip(SKIP_2) | instid1(VALU_DEP_2)
	v_add_co_u32 v13, vcc_lo, 0, v12
	s_wait_dscnt 0x0
	s_wait_alu 0xfffd
	v_add_co_ci_u32_e64 v14, null, v16, v14, vcc_lo
.LBB2618_65:
	s_wait_alu 0xfffe
	s_or_b32 exec_lo, exec_lo, s4
	v_cmp_gt_u32_e32 vcc_lo, 28, v34
	v_add_nc_u32_e32 v43, 4, v34
	s_mov_b32 s4, exec_lo
	s_wait_dscnt 0x0
	s_wait_alu 0xfffd
	v_cndmask_b32_e64 v16, 0, 4, vcc_lo
	s_delay_alu instid0(VALU_DEP_1)
	v_add_lshl_u32 v42, v16, v34, 2
	ds_bpermute_b32 v26, v42, v12
	ds_bpermute_b32 v16, v42, v14
	v_cmpx_le_u32_e64 v43, v11
	;; [unrolled: 25-line block ×3, first 2 shown]
	s_cbranch_execz .LBB2618_69
; %bb.68:
	s_wait_dscnt 0x1
	v_add_co_u32 v12, vcc_lo, v13, v26
	s_wait_alu 0xfffd
	v_add_co_ci_u32_e64 v14, null, 0, v14, vcc_lo
	s_delay_alu instid0(VALU_DEP_2) | instskip(SKIP_2) | instid1(VALU_DEP_2)
	v_add_co_u32 v13, vcc_lo, 0, v12
	s_wait_dscnt 0x0
	s_wait_alu 0xfffd
	v_add_co_ci_u32_e64 v14, null, v16, v14, vcc_lo
.LBB2618_69:
	s_wait_alu 0xfffe
	s_or_b32 exec_lo, exec_lo, s4
	v_lshl_or_b32 v46, v34, 2, 64
	v_add_nc_u32_e32 v47, 16, v34
	s_mov_b32 s4, exec_lo
	s_wait_dscnt 0x0
	ds_bpermute_b32 v16, v46, v12
	ds_bpermute_b32 v12, v46, v14
	v_cmpx_le_u32_e64 v47, v11
	s_cbranch_execz .LBB2618_71
; %bb.70:
	s_wait_dscnt 0x1
	v_add_co_u32 v11, vcc_lo, v13, v16
	s_wait_alu 0xfffd
	v_add_co_ci_u32_e64 v14, null, 0, v14, vcc_lo
	s_delay_alu instid0(VALU_DEP_2) | instskip(SKIP_2) | instid1(VALU_DEP_2)
	v_add_co_u32 v13, vcc_lo, v11, 0
	s_wait_dscnt 0x0
	s_wait_alu 0xfffd
	v_add_co_ci_u32_e64 v14, null, v14, v12, vcc_lo
.LBB2618_71:
	s_wait_alu 0xfffe
	s_or_b32 exec_lo, exec_lo, s4
	v_mov_b32_e32 v26, 0
	s_branch .LBB2618_74
.LBB2618_72:                            ;   in Loop: Header=BB2618_74 Depth=1
	s_wait_alu 0xfffe
	s_or_b32 exec_lo, exec_lo, s4
	v_add_co_u32 v13, vcc_lo, v13, v11
	v_subrev_nc_u32_e32 v25, 32, v25
	s_wait_alu 0xfffd
	v_add_co_ci_u32_e64 v14, null, v14, v12, vcc_lo
	s_mov_b32 s4, 0
.LBB2618_73:                            ;   in Loop: Header=BB2618_74 Depth=1
	s_wait_alu 0xfffe
	s_and_b32 vcc_lo, exec_lo, s4
	s_wait_alu 0xfffe
	s_cbranch_vccnz .LBB2618_90
.LBB2618_74:                            ; =>This Loop Header: Depth=1
                                        ;     Child Loop BB2618_77 Depth 2
	v_and_b32_e32 v11, 0xff, v15
	s_mov_b32 s4, -1
	s_delay_alu instid0(VALU_DEP_1)
	v_cmp_ne_u16_e32 vcc_lo, 2, v11
	s_wait_dscnt 0x0
	v_dual_mov_b32 v11, v13 :: v_dual_mov_b32 v12, v14
                                        ; implicit-def: $vgpr13_vgpr14
	s_cmp_lg_u32 vcc_lo, exec_lo
	s_cbranch_scc1 .LBB2618_73
; %bb.75:                               ;   in Loop: Header=BB2618_74 Depth=1
	v_lshlrev_b64_e32 v[13:14], 4, v[25:26]
	s_mov_b32 s4, exec_lo
	s_delay_alu instid0(VALU_DEP_1) | instskip(SKIP_1) | instid1(VALU_DEP_2)
	v_add_co_u32 v27, vcc_lo, s12, v13
	s_wait_alu 0xfffd
	v_add_co_ci_u32_e64 v28, null, s13, v14, vcc_lo
	;;#ASMSTART
	global_load_b128 v[13:16], v[27:28] off scope:SCOPE_DEV	
s_wait_loadcnt 0x0
	;;#ASMEND
	v_and_b32_e32 v16, 0xff, v15
	s_delay_alu instid0(VALU_DEP_1)
	v_cmpx_eq_u16_e32 0, v16
	s_cbranch_execz .LBB2618_79
; %bb.76:                               ;   in Loop: Header=BB2618_74 Depth=1
	s_mov_b32 s5, 0
.LBB2618_77:                            ;   Parent Loop BB2618_74 Depth=1
                                        ; =>  This Inner Loop Header: Depth=2
	;;#ASMSTART
	global_load_b128 v[13:16], v[27:28] off scope:SCOPE_DEV	
s_wait_loadcnt 0x0
	;;#ASMEND
	v_and_b32_e32 v16, 0xff, v15
	s_delay_alu instid0(VALU_DEP_1)
	v_cmp_ne_u16_e32 vcc_lo, 0, v16
	s_wait_alu 0xfffe
	s_or_b32 s5, vcc_lo, s5
	s_wait_alu 0xfffe
	s_and_not1_b32 exec_lo, exec_lo, s5
	s_cbranch_execnz .LBB2618_77
; %bb.78:                               ;   in Loop: Header=BB2618_74 Depth=1
	s_or_b32 exec_lo, exec_lo, s5
.LBB2618_79:                            ;   in Loop: Header=BB2618_74 Depth=1
	s_wait_alu 0xfffe
	s_or_b32 exec_lo, exec_lo, s4
	v_dual_mov_b32 v27, v13 :: v_dual_and_b32 v16, 0xff, v15
	ds_bpermute_b32 v48, v38, v13
	ds_bpermute_b32 v28, v38, v14
	s_mov_b32 s4, exec_lo
	v_cmp_eq_u16_e32 vcc_lo, 2, v16
	s_wait_alu 0xfffd
	v_and_or_b32 v16, vcc_lo, v39, 0x80000000
	s_delay_alu instid0(VALU_DEP_1) | instskip(NEXT) | instid1(VALU_DEP_1)
	v_ctz_i32_b32_e32 v16, v16
	v_cmpx_lt_u32_e64 v34, v16
	s_cbranch_execz .LBB2618_81
; %bb.80:                               ;   in Loop: Header=BB2618_74 Depth=1
	s_wait_dscnt 0x1
	v_add_co_u32 v27, vcc_lo, v13, v48
	s_wait_alu 0xfffd
	v_add_co_ci_u32_e64 v14, null, 0, v14, vcc_lo
	s_delay_alu instid0(VALU_DEP_2) | instskip(SKIP_2) | instid1(VALU_DEP_2)
	v_add_co_u32 v13, vcc_lo, 0, v27
	s_wait_dscnt 0x0
	s_wait_alu 0xfffd
	v_add_co_ci_u32_e64 v14, null, v28, v14, vcc_lo
.LBB2618_81:                            ;   in Loop: Header=BB2618_74 Depth=1
	s_wait_alu 0xfffe
	s_or_b32 exec_lo, exec_lo, s4
	s_wait_dscnt 0x1
	ds_bpermute_b32 v48, v40, v27
	s_wait_dscnt 0x1
	ds_bpermute_b32 v28, v40, v14
	s_mov_b32 s4, exec_lo
	v_cmpx_le_u32_e64 v41, v16
	s_cbranch_execz .LBB2618_83
; %bb.82:                               ;   in Loop: Header=BB2618_74 Depth=1
	s_wait_dscnt 0x1
	v_add_co_u32 v27, vcc_lo, v13, v48
	s_wait_alu 0xfffd
	v_add_co_ci_u32_e64 v14, null, 0, v14, vcc_lo
	s_delay_alu instid0(VALU_DEP_2) | instskip(SKIP_2) | instid1(VALU_DEP_2)
	v_add_co_u32 v13, vcc_lo, 0, v27
	s_wait_dscnt 0x0
	s_wait_alu 0xfffd
	v_add_co_ci_u32_e64 v14, null, v28, v14, vcc_lo
.LBB2618_83:                            ;   in Loop: Header=BB2618_74 Depth=1
	s_wait_alu 0xfffe
	s_or_b32 exec_lo, exec_lo, s4
	s_wait_dscnt 0x1
	ds_bpermute_b32 v48, v42, v27
	s_wait_dscnt 0x1
	ds_bpermute_b32 v28, v42, v14
	s_mov_b32 s4, exec_lo
	v_cmpx_le_u32_e64 v43, v16
	;; [unrolled: 20-line block ×3, first 2 shown]
	s_cbranch_execz .LBB2618_87
; %bb.86:                               ;   in Loop: Header=BB2618_74 Depth=1
	s_wait_dscnt 0x1
	v_add_co_u32 v27, vcc_lo, v13, v48
	s_wait_alu 0xfffd
	v_add_co_ci_u32_e64 v14, null, 0, v14, vcc_lo
	s_delay_alu instid0(VALU_DEP_2) | instskip(SKIP_2) | instid1(VALU_DEP_2)
	v_add_co_u32 v13, vcc_lo, 0, v27
	s_wait_dscnt 0x0
	s_wait_alu 0xfffd
	v_add_co_ci_u32_e64 v14, null, v28, v14, vcc_lo
.LBB2618_87:                            ;   in Loop: Header=BB2618_74 Depth=1
	s_wait_alu 0xfffe
	s_or_b32 exec_lo, exec_lo, s4
	s_wait_dscnt 0x0
	ds_bpermute_b32 v28, v46, v27
	ds_bpermute_b32 v27, v46, v14
	s_mov_b32 s4, exec_lo
	v_cmpx_le_u32_e64 v47, v16
	s_cbranch_execz .LBB2618_72
; %bb.88:                               ;   in Loop: Header=BB2618_74 Depth=1
	s_wait_dscnt 0x1
	v_add_co_u32 v13, vcc_lo, v13, v28
	s_wait_alu 0xfffd
	v_add_co_ci_u32_e64 v14, null, 0, v14, vcc_lo
	s_delay_alu instid0(VALU_DEP_2) | instskip(SKIP_2) | instid1(VALU_DEP_2)
	v_add_co_u32 v13, vcc_lo, v13, 0
	s_wait_dscnt 0x0
	s_wait_alu 0xfffd
	v_add_co_ci_u32_e64 v14, null, v14, v27, vcc_lo
	s_branch .LBB2618_72
.LBB2618_89:
                                        ; implicit-def: $vgpr13_vgpr14
                                        ; implicit-def: $vgpr23_vgpr24
                                        ; implicit-def: $vgpr11_vgpr12
                                        ; implicit-def: $vgpr14_vgpr15
                                        ; implicit-def: $vgpr24_vgpr25
                                        ; implicit-def: $vgpr15_vgpr16
	s_wait_alu 0xfffe
	s_and_b32 vcc_lo, exec_lo, s1
	s_wait_alu 0xfffe
	s_cbranch_vccnz .LBB2618_95
	s_branch .LBB2618_120
.LBB2618_90:
	s_and_saveexec_b32 s4, s1
	s_cbranch_execz .LBB2618_92
; %bb.91:
	s_add_co_i32 s6, s18, 32
	s_mov_b32 s7, 0
	v_add_co_u32 v13, vcc_lo, v11, v9
	s_wait_alu 0xfffe
	s_lshl_b64 s[6:7], s[6:7], 4
	v_dual_mov_b32 v15, 2 :: v_dual_mov_b32 v16, 0
	s_wait_alu 0xfffe
	s_add_nc_u64 s[6:7], s[12:13], s[6:7]
	s_wait_alu 0xfffd
	v_add_co_ci_u32_e64 v14, null, v12, v10, vcc_lo
	s_wait_alu 0xfffe
	v_dual_mov_b32 v26, s7 :: v_dual_mov_b32 v25, s6
	;;#ASMSTART
	global_store_b128 v[25:26], v[13:16] off scope:SCOPE_DEV	
s_wait_storecnt 0x0
	;;#ASMEND
	ds_store_b128 v16, v[9:12] offset:10240
.LBB2618_92:
	s_wait_alu 0xfffe
	s_or_b32 exec_lo, exec_lo, s4
	s_delay_alu instid0(SALU_CYCLE_1)
	s_and_b32 exec_lo, exec_lo, s2
; %bb.93:
	v_mov_b32_e32 v9, 0
	ds_store_b64 v9, v[11:12] offset:56
.LBB2618_94:
	s_wait_alu 0xfffe
	s_or_b32 exec_lo, exec_lo, s3
	v_mov_b32_e32 v11, 0
	s_wait_loadcnt_dscnt 0x0
	s_barrier_signal -1
	s_barrier_wait -1
	global_inv scope:SCOPE_SE
	ds_load_b64 v[9:10], v11 offset:56
	v_cndmask_b32_e64 v13, v37, v23, s1
	v_cndmask_b32_e64 v12, 0, v24, s1
	s_wait_loadcnt_dscnt 0x0
	s_barrier_signal -1
	s_barrier_wait -1
	v_cndmask_b32_e64 v13, v13, 0, s2
	v_cndmask_b32_e64 v12, v12, 0, s2
	global_inv scope:SCOPE_SE
	v_add_co_u32 v24, vcc_lo, v9, v13
	s_wait_alu 0xfffd
	v_add_co_ci_u32_e64 v13, null, v10, v12, vcc_lo
	ds_load_b128 v[9:12], v11 offset:10240
	v_add_co_u32 v23, vcc_lo, v24, v33
	s_wait_alu 0xfffd
	v_add_co_ci_u32_e64 v13, null, 0, v13, vcc_lo
	s_delay_alu instid0(VALU_DEP_2) | instskip(SKIP_1) | instid1(VALU_DEP_2)
	v_add_co_u32 v15, vcc_lo, v23, v32
	s_wait_alu 0xfffd
	v_add_co_ci_u32_e64 v13, null, 0, v13, vcc_lo
	s_delay_alu instid0(VALU_DEP_2) | instskip(SKIP_1) | instid1(VALU_DEP_2)
	;; [unrolled: 4-line block ×3, first 2 shown]
	v_add_co_u32 v13, vcc_lo, v14, v30
	s_wait_alu 0xfffd
	v_add_co_ci_u32_e64 v16, null, 0, v16, vcc_lo
	s_branch .LBB2618_120
.LBB2618_95:
	s_wait_dscnt 0x0
	v_dual_mov_b32 v10, 0 :: v_dual_mov_b32 v11, v21
	v_mov_b32_dpp v12, v21 row_shr:1 row_mask:0xf bank_mask:0xf
	s_delay_alu instid0(VALU_DEP_2)
	v_mov_b32_dpp v9, v10 row_shr:1 row_mask:0xf bank_mask:0xf
	s_and_saveexec_b32 s1, s0
; %bb.96:
	s_delay_alu instid0(VALU_DEP_2) | instskip(SKIP_2) | instid1(VALU_DEP_2)
	v_add_co_u32 v11, vcc_lo, v21, v12
	s_wait_alu 0xfffd
	v_add_co_ci_u32_e64 v10, null, 0, v22, vcc_lo
	v_add_co_u32 v21, vcc_lo, 0, v11
	s_wait_alu 0xfffd
	s_delay_alu instid0(VALU_DEP_2) | instskip(NEXT) | instid1(VALU_DEP_1)
	v_add_co_ci_u32_e64 v22, null, v9, v10, vcc_lo
	v_mov_b32_e32 v10, v22
; %bb.97:
	s_wait_alu 0xfffe
	s_or_b32 exec_lo, exec_lo, s1
	v_mov_b32_dpp v9, v11 row_shr:2 row_mask:0xf bank_mask:0xf
	s_delay_alu instid0(VALU_DEP_2)
	v_mov_b32_dpp v12, v10 row_shr:2 row_mask:0xf bank_mask:0xf
	s_mov_b32 s0, exec_lo
	v_cmpx_lt_u32_e32 1, v36
; %bb.98:
	s_delay_alu instid0(VALU_DEP_3) | instskip(SKIP_2) | instid1(VALU_DEP_2)
	v_add_co_u32 v11, vcc_lo, v21, v9
	s_wait_alu 0xfffd
	v_add_co_ci_u32_e64 v10, null, 0, v22, vcc_lo
	v_add_co_u32 v9, vcc_lo, 0, v11
	s_wait_alu 0xfffd
	s_delay_alu instid0(VALU_DEP_2) | instskip(NEXT) | instid1(VALU_DEP_1)
	v_add_co_ci_u32_e64 v10, null, v12, v10, vcc_lo
	v_dual_mov_b32 v22, v10 :: v_dual_mov_b32 v21, v9
; %bb.99:
	s_wait_alu 0xfffe
	s_or_b32 exec_lo, exec_lo, s0
	v_mov_b32_dpp v9, v11 row_shr:4 row_mask:0xf bank_mask:0xf
	v_mov_b32_dpp v12, v10 row_shr:4 row_mask:0xf bank_mask:0xf
	s_mov_b32 s0, exec_lo
	v_cmpx_lt_u32_e32 3, v36
; %bb.100:
	s_delay_alu instid0(VALU_DEP_3) | instskip(SKIP_2) | instid1(VALU_DEP_2)
	v_add_co_u32 v11, vcc_lo, v21, v9
	s_wait_alu 0xfffd
	v_add_co_ci_u32_e64 v10, null, 0, v22, vcc_lo
	v_add_co_u32 v9, vcc_lo, 0, v11
	s_wait_alu 0xfffd
	s_delay_alu instid0(VALU_DEP_2) | instskip(NEXT) | instid1(VALU_DEP_1)
	v_add_co_ci_u32_e64 v10, null, v12, v10, vcc_lo
	v_dual_mov_b32 v22, v10 :: v_dual_mov_b32 v21, v9
; %bb.101:
	s_wait_alu 0xfffe
	s_or_b32 exec_lo, exec_lo, s0
	v_mov_b32_dpp v12, v11 row_shr:8 row_mask:0xf bank_mask:0xf
	v_mov_b32_dpp v9, v10 row_shr:8 row_mask:0xf bank_mask:0xf
	s_mov_b32 s0, exec_lo
	v_cmpx_lt_u32_e32 7, v36
; %bb.102:
	s_delay_alu instid0(VALU_DEP_3) | instskip(SKIP_2) | instid1(VALU_DEP_2)
	v_add_co_u32 v11, vcc_lo, v21, v12
	s_wait_alu 0xfffd
	v_add_co_ci_u32_e64 v10, null, 0, v22, vcc_lo
	v_add_co_u32 v21, vcc_lo, 0, v11
	s_wait_alu 0xfffd
	s_delay_alu instid0(VALU_DEP_2) | instskip(NEXT) | instid1(VALU_DEP_1)
	v_add_co_ci_u32_e64 v22, null, v9, v10, vcc_lo
	v_mov_b32_e32 v10, v22
; %bb.103:
	s_wait_alu 0xfffe
	s_or_b32 exec_lo, exec_lo, s0
	ds_swizzle_b32 v11, v11 offset:swizzle(BROADCAST,32,15)
	ds_swizzle_b32 v9, v10 offset:swizzle(BROADCAST,32,15)
	v_and_b32_e32 v10, 16, v34
	s_mov_b32 s0, exec_lo
	s_delay_alu instid0(VALU_DEP_1)
	v_cmpx_ne_u32_e32 0, v10
	s_cbranch_execz .LBB2618_105
; %bb.104:
	s_wait_dscnt 0x1
	v_add_co_u32 v10, vcc_lo, v21, v11
	s_wait_alu 0xfffd
	v_add_co_ci_u32_e64 v11, null, 0, v22, vcc_lo
	s_delay_alu instid0(VALU_DEP_2) | instskip(SKIP_2) | instid1(VALU_DEP_2)
	v_add_co_u32 v21, vcc_lo, v10, 0
	s_wait_dscnt 0x0
	s_wait_alu 0xfffd
	v_add_co_ci_u32_e64 v22, null, v11, v9, vcc_lo
.LBB2618_105:
	s_wait_alu 0xfffe
	s_or_b32 exec_lo, exec_lo, s0
	s_wait_dscnt 0x0
	v_or_b32_e32 v9, 31, v0
	v_lshrrev_b32_e32 v11, 5, v0
	s_mov_b32 s0, exec_lo
	s_delay_alu instid0(VALU_DEP_2)
	v_cmpx_eq_u32_e64 v0, v9
; %bb.106:
	s_delay_alu instid0(VALU_DEP_2)
	v_lshlrev_b32_e32 v9, 3, v11
	ds_store_b64 v9, v[21:22]
; %bb.107:
	s_wait_alu 0xfffe
	s_or_b32 exec_lo, exec_lo, s0
	s_delay_alu instid0(SALU_CYCLE_1)
	s_mov_b32 s0, exec_lo
	s_wait_loadcnt_dscnt 0x0
	s_barrier_signal -1
	s_barrier_wait -1
	global_inv scope:SCOPE_SE
	v_cmpx_gt_u32_e32 8, v0
	s_cbranch_execz .LBB2618_115
; %bb.108:
	v_mad_u32_u24 v9, v0, 3, v35
	s_mov_b32 s1, exec_lo
	ds_load_b64 v[9:10], v9
	s_wait_dscnt 0x0
	v_dual_mov_b32 v13, v9 :: v_dual_and_b32 v12, 7, v34
	v_mov_b32_dpp v15, v9 row_shr:1 row_mask:0xf bank_mask:0xf
	v_mov_b32_dpp v14, v10 row_shr:1 row_mask:0xf bank_mask:0xf
	s_delay_alu instid0(VALU_DEP_3)
	v_cmpx_ne_u32_e32 0, v12
; %bb.109:
	s_delay_alu instid0(VALU_DEP_3) | instskip(SKIP_2) | instid1(VALU_DEP_2)
	v_add_co_u32 v13, vcc_lo, v9, v15
	s_wait_alu 0xfffd
	v_add_co_ci_u32_e64 v10, null, 0, v10, vcc_lo
	v_add_co_u32 v9, vcc_lo, 0, v13
	s_wait_alu 0xfffd
	s_delay_alu instid0(VALU_DEP_2)
	v_add_co_ci_u32_e64 v10, null, v14, v10, vcc_lo
; %bb.110:
	s_wait_alu 0xfffe
	s_or_b32 exec_lo, exec_lo, s1
	v_mov_b32_dpp v15, v13 row_shr:2 row_mask:0xf bank_mask:0xf
	s_delay_alu instid0(VALU_DEP_2)
	v_mov_b32_dpp v14, v10 row_shr:2 row_mask:0xf bank_mask:0xf
	s_mov_b32 s1, exec_lo
	v_cmpx_lt_u32_e32 1, v12
; %bb.111:
	s_delay_alu instid0(VALU_DEP_3) | instskip(SKIP_2) | instid1(VALU_DEP_2)
	v_add_co_u32 v13, vcc_lo, v9, v15
	s_wait_alu 0xfffd
	v_add_co_ci_u32_e64 v10, null, 0, v10, vcc_lo
	v_add_co_u32 v9, vcc_lo, 0, v13
	s_wait_alu 0xfffd
	s_delay_alu instid0(VALU_DEP_2)
	v_add_co_ci_u32_e64 v10, null, v14, v10, vcc_lo
; %bb.112:
	s_wait_alu 0xfffe
	s_or_b32 exec_lo, exec_lo, s1
	v_mul_u32_u24_e32 v14, 3, v0
	v_mov_b32_dpp v15, v13 row_shr:4 row_mask:0xf bank_mask:0xf
	v_mov_b32_dpp v13, v10 row_shr:4 row_mask:0xf bank_mask:0xf
	s_mov_b32 s1, exec_lo
	v_cmpx_lt_u32_e32 3, v12
; %bb.113:
	s_delay_alu instid0(VALU_DEP_3) | instskip(SKIP_2) | instid1(VALU_DEP_2)
	v_add_co_u32 v9, vcc_lo, v9, v15
	s_wait_alu 0xfffd
	v_add_co_ci_u32_e64 v10, null, 0, v10, vcc_lo
	v_add_co_u32 v9, vcc_lo, v9, 0
	s_wait_alu 0xfffd
	s_delay_alu instid0(VALU_DEP_2)
	v_add_co_ci_u32_e64 v10, null, v10, v13, vcc_lo
; %bb.114:
	s_wait_alu 0xfffe
	s_or_b32 exec_lo, exec_lo, s1
	v_add_nc_u32_e32 v12, v35, v14
	ds_store_b64 v12, v[9:10]
.LBB2618_115:
	s_wait_alu 0xfffe
	s_or_b32 exec_lo, exec_lo, s0
	v_mov_b32_e32 v13, 0
	v_mov_b32_e32 v14, 0
	s_mov_b32 s0, exec_lo
	s_wait_loadcnt_dscnt 0x0
	s_barrier_signal -1
	s_barrier_wait -1
	global_inv scope:SCOPE_SE
	v_cmpx_lt_u32_e32 31, v0
; %bb.116:
	v_lshl_add_u32 v0, v11, 3, -8
	ds_load_b64 v[13:14], v0
; %bb.117:
	s_wait_alu 0xfffe
	s_or_b32 exec_lo, exec_lo, s0
	v_sub_co_u32 v0, vcc_lo, v34, 1
	s_wait_dscnt 0x0
	v_dual_mov_b32 v12, 0 :: v_dual_add_nc_u32 v9, v13, v21
	s_delay_alu instid0(VALU_DEP_2) | instskip(SKIP_1) | instid1(VALU_DEP_1)
	v_cmp_gt_i32_e64 s0, 0, v0
	s_wait_alu 0xf1ff
	v_cndmask_b32_e64 v0, v0, v34, s0
	s_delay_alu instid0(VALU_DEP_1)
	v_lshlrev_b32_e32 v0, 2, v0
	ds_bpermute_b32 v0, v0, v9
	ds_load_b64 v[9:10], v12 offset:56
	s_and_saveexec_b32 s0, s2
	s_cbranch_execz .LBB2618_119
; %bb.118:
	s_add_nc_u64 s[4:5], s[12:13], 0x200
	s_wait_alu 0xfffe
	v_dual_mov_b32 v11, 2 :: v_dual_mov_b32 v16, s5
	v_mov_b32_e32 v15, s4
	s_wait_dscnt 0x0
	;;#ASMSTART
	global_store_b128 v[15:16], v[9:12] off scope:SCOPE_DEV	
s_wait_storecnt 0x0
	;;#ASMEND
.LBB2618_119:
	s_wait_alu 0xfffe
	s_or_b32 exec_lo, exec_lo, s0
	s_wait_dscnt 0x1
	s_wait_alu 0xfffd
	v_dual_cndmask_b32 v0, v0, v13 :: v_dual_cndmask_b32 v11, 0, v14
	s_wait_loadcnt_dscnt 0x0
	s_barrier_signal -1
	s_barrier_wait -1
	s_delay_alu instid0(VALU_DEP_1)
	v_cndmask_b32_e64 v24, v0, 0, s2
	v_cndmask_b32_e64 v0, v11, 0, s2
	v_mov_b32_e32 v11, 0
	v_mov_b32_e32 v12, 0
	global_inv scope:SCOPE_SE
	v_add_co_u32 v23, vcc_lo, v24, v33
	s_wait_alu 0xfffd
	v_add_co_ci_u32_e64 v0, null, 0, v0, vcc_lo
	s_delay_alu instid0(VALU_DEP_2) | instskip(SKIP_1) | instid1(VALU_DEP_2)
	v_add_co_u32 v15, vcc_lo, v23, v32
	s_wait_alu 0xfffd
	v_add_co_ci_u32_e64 v0, null, 0, v0, vcc_lo
	s_delay_alu instid0(VALU_DEP_2) | instskip(SKIP_1) | instid1(VALU_DEP_2)
	;; [unrolled: 4-line block ×3, first 2 shown]
	v_add_co_u32 v13, vcc_lo, v14, v30
	s_wait_alu 0xfffd
	v_add_co_ci_u32_e64 v0, null, 0, v0, vcc_lo
.LBB2618_120:
	s_wait_dscnt 0x0
	v_cmp_gt_u64_e32 vcc_lo, 0x101, v[9:10]
	s_cbranch_vccz .LBB2618_123
; %bb.121:
	s_and_b32 s0, s2, s16
	s_wait_alu 0xfffe
	s_and_saveexec_b32 s1, s0
	s_cbranch_execnz .LBB2618_134
.LBB2618_122:
	s_endpgm
.LBB2618_123:
	s_mov_b32 s0, exec_lo
	v_cmpx_eq_u32_e32 1, v33
; %bb.124:
	v_sub_nc_u32_e32 v0, v24, v11
	s_delay_alu instid0(VALU_DEP_1)
	v_lshlrev_b32_e32 v0, 3, v0
	ds_store_b64 v0, v[5:6]
; %bb.125:
	s_wait_alu 0xfffe
	s_or_b32 exec_lo, exec_lo, s0
	s_delay_alu instid0(SALU_CYCLE_1)
	s_mov_b32 s0, exec_lo
	v_cmpx_eq_u32_e32 1, v32
; %bb.126:
	v_sub_nc_u32_e32 v0, v23, v11
	s_delay_alu instid0(VALU_DEP_1)
	v_lshlrev_b32_e32 v0, 3, v0
	ds_store_b64 v0, v[7:8]
; %bb.127:
	s_wait_alu 0xfffe
	s_or_b32 exec_lo, exec_lo, s0
	s_delay_alu instid0(SALU_CYCLE_1)
	;; [unrolled: 11-line block ×4, first 2 shown]
	s_mov_b32 s0, exec_lo
	v_cmpx_eq_u32_e32 1, v29
; %bb.132:
	v_sub_nc_u32_e32 v0, v13, v11
	s_delay_alu instid0(VALU_DEP_1)
	v_lshlrev_b32_e32 v0, 3, v0
	ds_store_b64 v0, v[19:20]
; %bb.133:
	s_wait_alu 0xfffe
	s_or_b32 exec_lo, exec_lo, s0
	s_wait_loadcnt_dscnt 0x0
	s_barrier_signal -1
	s_barrier_wait -1
	global_inv scope:SCOPE_SE
	s_and_b32 s0, s2, s16
	s_wait_alu 0xfffe
	s_and_saveexec_b32 s1, s0
	s_cbranch_execz .LBB2618_122
.LBB2618_134:
	v_add_co_u32 v0, vcc_lo, v9, v17
	s_wait_alu 0xfffd
	v_add_co_ci_u32_e64 v1, null, v10, v18, vcc_lo
	v_mov_b32_e32 v2, 0
	s_delay_alu instid0(VALU_DEP_3) | instskip(SKIP_1) | instid1(VALU_DEP_3)
	v_add_co_u32 v0, vcc_lo, v0, v11
	s_wait_alu 0xfffd
	v_add_co_ci_u32_e64 v1, null, v1, v12, vcc_lo
	global_store_b64 v2, v[0:1], s[8:9]
	s_endpgm
	.section	.rodata,"a",@progbits
	.p2align	6, 0x0
	.amdhsa_kernel _ZN7rocprim17ROCPRIM_400000_NS6detail17trampoline_kernelINS0_14default_configENS1_25partition_config_selectorILNS1_17partition_subalgoE5EdNS0_10empty_typeEbEEZZNS1_14partition_implILS5_5ELb0ES3_mN6thrust23THRUST_200600_302600_NS6detail15normal_iteratorINSA_10device_ptrIdEEEEPS6_NSA_18transform_iteratorINSB_9not_fun_tI7is_trueIdEEENSC_INSD_IbEEEENSA_11use_defaultESO_EENS0_5tupleIJNSA_16discard_iteratorISO_EES6_EEENSQ_IJSG_SG_EEES6_PlJS6_EEE10hipError_tPvRmT3_T4_T5_T6_T7_T9_mT8_P12ihipStream_tbDpT10_ENKUlT_T0_E_clISt17integral_constantIbLb0EES1E_IbLb1EEEEDaS1A_S1B_EUlS1A_E_NS1_11comp_targetILNS1_3genE10ELNS1_11target_archE1200ELNS1_3gpuE4ELNS1_3repE0EEENS1_30default_config_static_selectorELNS0_4arch9wavefront6targetE0EEEvT1_
		.amdhsa_group_segment_fixed_size 10256
		.amdhsa_private_segment_fixed_size 0
		.amdhsa_kernarg_size 144
		.amdhsa_user_sgpr_count 2
		.amdhsa_user_sgpr_dispatch_ptr 0
		.amdhsa_user_sgpr_queue_ptr 0
		.amdhsa_user_sgpr_kernarg_segment_ptr 1
		.amdhsa_user_sgpr_dispatch_id 0
		.amdhsa_user_sgpr_private_segment_size 0
		.amdhsa_wavefront_size32 1
		.amdhsa_uses_dynamic_stack 0
		.amdhsa_enable_private_segment 0
		.amdhsa_system_sgpr_workgroup_id_x 1
		.amdhsa_system_sgpr_workgroup_id_y 0
		.amdhsa_system_sgpr_workgroup_id_z 0
		.amdhsa_system_sgpr_workgroup_info 0
		.amdhsa_system_vgpr_workitem_id 0
		.amdhsa_next_free_vgpr 49
		.amdhsa_next_free_sgpr 22
		.amdhsa_reserve_vcc 1
		.amdhsa_float_round_mode_32 0
		.amdhsa_float_round_mode_16_64 0
		.amdhsa_float_denorm_mode_32 3
		.amdhsa_float_denorm_mode_16_64 3
		.amdhsa_fp16_overflow 0
		.amdhsa_workgroup_processor_mode 1
		.amdhsa_memory_ordered 1
		.amdhsa_forward_progress 1
		.amdhsa_inst_pref_size 53
		.amdhsa_round_robin_scheduling 0
		.amdhsa_exception_fp_ieee_invalid_op 0
		.amdhsa_exception_fp_denorm_src 0
		.amdhsa_exception_fp_ieee_div_zero 0
		.amdhsa_exception_fp_ieee_overflow 0
		.amdhsa_exception_fp_ieee_underflow 0
		.amdhsa_exception_fp_ieee_inexact 0
		.amdhsa_exception_int_div_zero 0
	.end_amdhsa_kernel
	.section	.text._ZN7rocprim17ROCPRIM_400000_NS6detail17trampoline_kernelINS0_14default_configENS1_25partition_config_selectorILNS1_17partition_subalgoE5EdNS0_10empty_typeEbEEZZNS1_14partition_implILS5_5ELb0ES3_mN6thrust23THRUST_200600_302600_NS6detail15normal_iteratorINSA_10device_ptrIdEEEEPS6_NSA_18transform_iteratorINSB_9not_fun_tI7is_trueIdEEENSC_INSD_IbEEEENSA_11use_defaultESO_EENS0_5tupleIJNSA_16discard_iteratorISO_EES6_EEENSQ_IJSG_SG_EEES6_PlJS6_EEE10hipError_tPvRmT3_T4_T5_T6_T7_T9_mT8_P12ihipStream_tbDpT10_ENKUlT_T0_E_clISt17integral_constantIbLb0EES1E_IbLb1EEEEDaS1A_S1B_EUlS1A_E_NS1_11comp_targetILNS1_3genE10ELNS1_11target_archE1200ELNS1_3gpuE4ELNS1_3repE0EEENS1_30default_config_static_selectorELNS0_4arch9wavefront6targetE0EEEvT1_,"axG",@progbits,_ZN7rocprim17ROCPRIM_400000_NS6detail17trampoline_kernelINS0_14default_configENS1_25partition_config_selectorILNS1_17partition_subalgoE5EdNS0_10empty_typeEbEEZZNS1_14partition_implILS5_5ELb0ES3_mN6thrust23THRUST_200600_302600_NS6detail15normal_iteratorINSA_10device_ptrIdEEEEPS6_NSA_18transform_iteratorINSB_9not_fun_tI7is_trueIdEEENSC_INSD_IbEEEENSA_11use_defaultESO_EENS0_5tupleIJNSA_16discard_iteratorISO_EES6_EEENSQ_IJSG_SG_EEES6_PlJS6_EEE10hipError_tPvRmT3_T4_T5_T6_T7_T9_mT8_P12ihipStream_tbDpT10_ENKUlT_T0_E_clISt17integral_constantIbLb0EES1E_IbLb1EEEEDaS1A_S1B_EUlS1A_E_NS1_11comp_targetILNS1_3genE10ELNS1_11target_archE1200ELNS1_3gpuE4ELNS1_3repE0EEENS1_30default_config_static_selectorELNS0_4arch9wavefront6targetE0EEEvT1_,comdat
.Lfunc_end2618:
	.size	_ZN7rocprim17ROCPRIM_400000_NS6detail17trampoline_kernelINS0_14default_configENS1_25partition_config_selectorILNS1_17partition_subalgoE5EdNS0_10empty_typeEbEEZZNS1_14partition_implILS5_5ELb0ES3_mN6thrust23THRUST_200600_302600_NS6detail15normal_iteratorINSA_10device_ptrIdEEEEPS6_NSA_18transform_iteratorINSB_9not_fun_tI7is_trueIdEEENSC_INSD_IbEEEENSA_11use_defaultESO_EENS0_5tupleIJNSA_16discard_iteratorISO_EES6_EEENSQ_IJSG_SG_EEES6_PlJS6_EEE10hipError_tPvRmT3_T4_T5_T6_T7_T9_mT8_P12ihipStream_tbDpT10_ENKUlT_T0_E_clISt17integral_constantIbLb0EES1E_IbLb1EEEEDaS1A_S1B_EUlS1A_E_NS1_11comp_targetILNS1_3genE10ELNS1_11target_archE1200ELNS1_3gpuE4ELNS1_3repE0EEENS1_30default_config_static_selectorELNS0_4arch9wavefront6targetE0EEEvT1_, .Lfunc_end2618-_ZN7rocprim17ROCPRIM_400000_NS6detail17trampoline_kernelINS0_14default_configENS1_25partition_config_selectorILNS1_17partition_subalgoE5EdNS0_10empty_typeEbEEZZNS1_14partition_implILS5_5ELb0ES3_mN6thrust23THRUST_200600_302600_NS6detail15normal_iteratorINSA_10device_ptrIdEEEEPS6_NSA_18transform_iteratorINSB_9not_fun_tI7is_trueIdEEENSC_INSD_IbEEEENSA_11use_defaultESO_EENS0_5tupleIJNSA_16discard_iteratorISO_EES6_EEENSQ_IJSG_SG_EEES6_PlJS6_EEE10hipError_tPvRmT3_T4_T5_T6_T7_T9_mT8_P12ihipStream_tbDpT10_ENKUlT_T0_E_clISt17integral_constantIbLb0EES1E_IbLb1EEEEDaS1A_S1B_EUlS1A_E_NS1_11comp_targetILNS1_3genE10ELNS1_11target_archE1200ELNS1_3gpuE4ELNS1_3repE0EEENS1_30default_config_static_selectorELNS0_4arch9wavefront6targetE0EEEvT1_
                                        ; -- End function
	.set _ZN7rocprim17ROCPRIM_400000_NS6detail17trampoline_kernelINS0_14default_configENS1_25partition_config_selectorILNS1_17partition_subalgoE5EdNS0_10empty_typeEbEEZZNS1_14partition_implILS5_5ELb0ES3_mN6thrust23THRUST_200600_302600_NS6detail15normal_iteratorINSA_10device_ptrIdEEEEPS6_NSA_18transform_iteratorINSB_9not_fun_tI7is_trueIdEEENSC_INSD_IbEEEENSA_11use_defaultESO_EENS0_5tupleIJNSA_16discard_iteratorISO_EES6_EEENSQ_IJSG_SG_EEES6_PlJS6_EEE10hipError_tPvRmT3_T4_T5_T6_T7_T9_mT8_P12ihipStream_tbDpT10_ENKUlT_T0_E_clISt17integral_constantIbLb0EES1E_IbLb1EEEEDaS1A_S1B_EUlS1A_E_NS1_11comp_targetILNS1_3genE10ELNS1_11target_archE1200ELNS1_3gpuE4ELNS1_3repE0EEENS1_30default_config_static_selectorELNS0_4arch9wavefront6targetE0EEEvT1_.num_vgpr, 49
	.set _ZN7rocprim17ROCPRIM_400000_NS6detail17trampoline_kernelINS0_14default_configENS1_25partition_config_selectorILNS1_17partition_subalgoE5EdNS0_10empty_typeEbEEZZNS1_14partition_implILS5_5ELb0ES3_mN6thrust23THRUST_200600_302600_NS6detail15normal_iteratorINSA_10device_ptrIdEEEEPS6_NSA_18transform_iteratorINSB_9not_fun_tI7is_trueIdEEENSC_INSD_IbEEEENSA_11use_defaultESO_EENS0_5tupleIJNSA_16discard_iteratorISO_EES6_EEENSQ_IJSG_SG_EEES6_PlJS6_EEE10hipError_tPvRmT3_T4_T5_T6_T7_T9_mT8_P12ihipStream_tbDpT10_ENKUlT_T0_E_clISt17integral_constantIbLb0EES1E_IbLb1EEEEDaS1A_S1B_EUlS1A_E_NS1_11comp_targetILNS1_3genE10ELNS1_11target_archE1200ELNS1_3gpuE4ELNS1_3repE0EEENS1_30default_config_static_selectorELNS0_4arch9wavefront6targetE0EEEvT1_.num_agpr, 0
	.set _ZN7rocprim17ROCPRIM_400000_NS6detail17trampoline_kernelINS0_14default_configENS1_25partition_config_selectorILNS1_17partition_subalgoE5EdNS0_10empty_typeEbEEZZNS1_14partition_implILS5_5ELb0ES3_mN6thrust23THRUST_200600_302600_NS6detail15normal_iteratorINSA_10device_ptrIdEEEEPS6_NSA_18transform_iteratorINSB_9not_fun_tI7is_trueIdEEENSC_INSD_IbEEEENSA_11use_defaultESO_EENS0_5tupleIJNSA_16discard_iteratorISO_EES6_EEENSQ_IJSG_SG_EEES6_PlJS6_EEE10hipError_tPvRmT3_T4_T5_T6_T7_T9_mT8_P12ihipStream_tbDpT10_ENKUlT_T0_E_clISt17integral_constantIbLb0EES1E_IbLb1EEEEDaS1A_S1B_EUlS1A_E_NS1_11comp_targetILNS1_3genE10ELNS1_11target_archE1200ELNS1_3gpuE4ELNS1_3repE0EEENS1_30default_config_static_selectorELNS0_4arch9wavefront6targetE0EEEvT1_.numbered_sgpr, 22
	.set _ZN7rocprim17ROCPRIM_400000_NS6detail17trampoline_kernelINS0_14default_configENS1_25partition_config_selectorILNS1_17partition_subalgoE5EdNS0_10empty_typeEbEEZZNS1_14partition_implILS5_5ELb0ES3_mN6thrust23THRUST_200600_302600_NS6detail15normal_iteratorINSA_10device_ptrIdEEEEPS6_NSA_18transform_iteratorINSB_9not_fun_tI7is_trueIdEEENSC_INSD_IbEEEENSA_11use_defaultESO_EENS0_5tupleIJNSA_16discard_iteratorISO_EES6_EEENSQ_IJSG_SG_EEES6_PlJS6_EEE10hipError_tPvRmT3_T4_T5_T6_T7_T9_mT8_P12ihipStream_tbDpT10_ENKUlT_T0_E_clISt17integral_constantIbLb0EES1E_IbLb1EEEEDaS1A_S1B_EUlS1A_E_NS1_11comp_targetILNS1_3genE10ELNS1_11target_archE1200ELNS1_3gpuE4ELNS1_3repE0EEENS1_30default_config_static_selectorELNS0_4arch9wavefront6targetE0EEEvT1_.num_named_barrier, 0
	.set _ZN7rocprim17ROCPRIM_400000_NS6detail17trampoline_kernelINS0_14default_configENS1_25partition_config_selectorILNS1_17partition_subalgoE5EdNS0_10empty_typeEbEEZZNS1_14partition_implILS5_5ELb0ES3_mN6thrust23THRUST_200600_302600_NS6detail15normal_iteratorINSA_10device_ptrIdEEEEPS6_NSA_18transform_iteratorINSB_9not_fun_tI7is_trueIdEEENSC_INSD_IbEEEENSA_11use_defaultESO_EENS0_5tupleIJNSA_16discard_iteratorISO_EES6_EEENSQ_IJSG_SG_EEES6_PlJS6_EEE10hipError_tPvRmT3_T4_T5_T6_T7_T9_mT8_P12ihipStream_tbDpT10_ENKUlT_T0_E_clISt17integral_constantIbLb0EES1E_IbLb1EEEEDaS1A_S1B_EUlS1A_E_NS1_11comp_targetILNS1_3genE10ELNS1_11target_archE1200ELNS1_3gpuE4ELNS1_3repE0EEENS1_30default_config_static_selectorELNS0_4arch9wavefront6targetE0EEEvT1_.private_seg_size, 0
	.set _ZN7rocprim17ROCPRIM_400000_NS6detail17trampoline_kernelINS0_14default_configENS1_25partition_config_selectorILNS1_17partition_subalgoE5EdNS0_10empty_typeEbEEZZNS1_14partition_implILS5_5ELb0ES3_mN6thrust23THRUST_200600_302600_NS6detail15normal_iteratorINSA_10device_ptrIdEEEEPS6_NSA_18transform_iteratorINSB_9not_fun_tI7is_trueIdEEENSC_INSD_IbEEEENSA_11use_defaultESO_EENS0_5tupleIJNSA_16discard_iteratorISO_EES6_EEENSQ_IJSG_SG_EEES6_PlJS6_EEE10hipError_tPvRmT3_T4_T5_T6_T7_T9_mT8_P12ihipStream_tbDpT10_ENKUlT_T0_E_clISt17integral_constantIbLb0EES1E_IbLb1EEEEDaS1A_S1B_EUlS1A_E_NS1_11comp_targetILNS1_3genE10ELNS1_11target_archE1200ELNS1_3gpuE4ELNS1_3repE0EEENS1_30default_config_static_selectorELNS0_4arch9wavefront6targetE0EEEvT1_.uses_vcc, 1
	.set _ZN7rocprim17ROCPRIM_400000_NS6detail17trampoline_kernelINS0_14default_configENS1_25partition_config_selectorILNS1_17partition_subalgoE5EdNS0_10empty_typeEbEEZZNS1_14partition_implILS5_5ELb0ES3_mN6thrust23THRUST_200600_302600_NS6detail15normal_iteratorINSA_10device_ptrIdEEEEPS6_NSA_18transform_iteratorINSB_9not_fun_tI7is_trueIdEEENSC_INSD_IbEEEENSA_11use_defaultESO_EENS0_5tupleIJNSA_16discard_iteratorISO_EES6_EEENSQ_IJSG_SG_EEES6_PlJS6_EEE10hipError_tPvRmT3_T4_T5_T6_T7_T9_mT8_P12ihipStream_tbDpT10_ENKUlT_T0_E_clISt17integral_constantIbLb0EES1E_IbLb1EEEEDaS1A_S1B_EUlS1A_E_NS1_11comp_targetILNS1_3genE10ELNS1_11target_archE1200ELNS1_3gpuE4ELNS1_3repE0EEENS1_30default_config_static_selectorELNS0_4arch9wavefront6targetE0EEEvT1_.uses_flat_scratch, 1
	.set _ZN7rocprim17ROCPRIM_400000_NS6detail17trampoline_kernelINS0_14default_configENS1_25partition_config_selectorILNS1_17partition_subalgoE5EdNS0_10empty_typeEbEEZZNS1_14partition_implILS5_5ELb0ES3_mN6thrust23THRUST_200600_302600_NS6detail15normal_iteratorINSA_10device_ptrIdEEEEPS6_NSA_18transform_iteratorINSB_9not_fun_tI7is_trueIdEEENSC_INSD_IbEEEENSA_11use_defaultESO_EENS0_5tupleIJNSA_16discard_iteratorISO_EES6_EEENSQ_IJSG_SG_EEES6_PlJS6_EEE10hipError_tPvRmT3_T4_T5_T6_T7_T9_mT8_P12ihipStream_tbDpT10_ENKUlT_T0_E_clISt17integral_constantIbLb0EES1E_IbLb1EEEEDaS1A_S1B_EUlS1A_E_NS1_11comp_targetILNS1_3genE10ELNS1_11target_archE1200ELNS1_3gpuE4ELNS1_3repE0EEENS1_30default_config_static_selectorELNS0_4arch9wavefront6targetE0EEEvT1_.has_dyn_sized_stack, 0
	.set _ZN7rocprim17ROCPRIM_400000_NS6detail17trampoline_kernelINS0_14default_configENS1_25partition_config_selectorILNS1_17partition_subalgoE5EdNS0_10empty_typeEbEEZZNS1_14partition_implILS5_5ELb0ES3_mN6thrust23THRUST_200600_302600_NS6detail15normal_iteratorINSA_10device_ptrIdEEEEPS6_NSA_18transform_iteratorINSB_9not_fun_tI7is_trueIdEEENSC_INSD_IbEEEENSA_11use_defaultESO_EENS0_5tupleIJNSA_16discard_iteratorISO_EES6_EEENSQ_IJSG_SG_EEES6_PlJS6_EEE10hipError_tPvRmT3_T4_T5_T6_T7_T9_mT8_P12ihipStream_tbDpT10_ENKUlT_T0_E_clISt17integral_constantIbLb0EES1E_IbLb1EEEEDaS1A_S1B_EUlS1A_E_NS1_11comp_targetILNS1_3genE10ELNS1_11target_archE1200ELNS1_3gpuE4ELNS1_3repE0EEENS1_30default_config_static_selectorELNS0_4arch9wavefront6targetE0EEEvT1_.has_recursion, 0
	.set _ZN7rocprim17ROCPRIM_400000_NS6detail17trampoline_kernelINS0_14default_configENS1_25partition_config_selectorILNS1_17partition_subalgoE5EdNS0_10empty_typeEbEEZZNS1_14partition_implILS5_5ELb0ES3_mN6thrust23THRUST_200600_302600_NS6detail15normal_iteratorINSA_10device_ptrIdEEEEPS6_NSA_18transform_iteratorINSB_9not_fun_tI7is_trueIdEEENSC_INSD_IbEEEENSA_11use_defaultESO_EENS0_5tupleIJNSA_16discard_iteratorISO_EES6_EEENSQ_IJSG_SG_EEES6_PlJS6_EEE10hipError_tPvRmT3_T4_T5_T6_T7_T9_mT8_P12ihipStream_tbDpT10_ENKUlT_T0_E_clISt17integral_constantIbLb0EES1E_IbLb1EEEEDaS1A_S1B_EUlS1A_E_NS1_11comp_targetILNS1_3genE10ELNS1_11target_archE1200ELNS1_3gpuE4ELNS1_3repE0EEENS1_30default_config_static_selectorELNS0_4arch9wavefront6targetE0EEEvT1_.has_indirect_call, 0
	.section	.AMDGPU.csdata,"",@progbits
; Kernel info:
; codeLenInByte = 6756
; TotalNumSgprs: 24
; NumVgprs: 49
; ScratchSize: 0
; MemoryBound: 0
; FloatMode: 240
; IeeeMode: 1
; LDSByteSize: 10256 bytes/workgroup (compile time only)
; SGPRBlocks: 0
; VGPRBlocks: 6
; NumSGPRsForWavesPerEU: 24
; NumVGPRsForWavesPerEU: 49
; Occupancy: 16
; WaveLimiterHint : 1
; COMPUTE_PGM_RSRC2:SCRATCH_EN: 0
; COMPUTE_PGM_RSRC2:USER_SGPR: 2
; COMPUTE_PGM_RSRC2:TRAP_HANDLER: 0
; COMPUTE_PGM_RSRC2:TGID_X_EN: 1
; COMPUTE_PGM_RSRC2:TGID_Y_EN: 0
; COMPUTE_PGM_RSRC2:TGID_Z_EN: 0
; COMPUTE_PGM_RSRC2:TIDIG_COMP_CNT: 0
	.section	.text._ZN7rocprim17ROCPRIM_400000_NS6detail17trampoline_kernelINS0_14default_configENS1_25partition_config_selectorILNS1_17partition_subalgoE5EdNS0_10empty_typeEbEEZZNS1_14partition_implILS5_5ELb0ES3_mN6thrust23THRUST_200600_302600_NS6detail15normal_iteratorINSA_10device_ptrIdEEEEPS6_NSA_18transform_iteratorINSB_9not_fun_tI7is_trueIdEEENSC_INSD_IbEEEENSA_11use_defaultESO_EENS0_5tupleIJNSA_16discard_iteratorISO_EES6_EEENSQ_IJSG_SG_EEES6_PlJS6_EEE10hipError_tPvRmT3_T4_T5_T6_T7_T9_mT8_P12ihipStream_tbDpT10_ENKUlT_T0_E_clISt17integral_constantIbLb0EES1E_IbLb1EEEEDaS1A_S1B_EUlS1A_E_NS1_11comp_targetILNS1_3genE9ELNS1_11target_archE1100ELNS1_3gpuE3ELNS1_3repE0EEENS1_30default_config_static_selectorELNS0_4arch9wavefront6targetE0EEEvT1_,"axG",@progbits,_ZN7rocprim17ROCPRIM_400000_NS6detail17trampoline_kernelINS0_14default_configENS1_25partition_config_selectorILNS1_17partition_subalgoE5EdNS0_10empty_typeEbEEZZNS1_14partition_implILS5_5ELb0ES3_mN6thrust23THRUST_200600_302600_NS6detail15normal_iteratorINSA_10device_ptrIdEEEEPS6_NSA_18transform_iteratorINSB_9not_fun_tI7is_trueIdEEENSC_INSD_IbEEEENSA_11use_defaultESO_EENS0_5tupleIJNSA_16discard_iteratorISO_EES6_EEENSQ_IJSG_SG_EEES6_PlJS6_EEE10hipError_tPvRmT3_T4_T5_T6_T7_T9_mT8_P12ihipStream_tbDpT10_ENKUlT_T0_E_clISt17integral_constantIbLb0EES1E_IbLb1EEEEDaS1A_S1B_EUlS1A_E_NS1_11comp_targetILNS1_3genE9ELNS1_11target_archE1100ELNS1_3gpuE3ELNS1_3repE0EEENS1_30default_config_static_selectorELNS0_4arch9wavefront6targetE0EEEvT1_,comdat
	.protected	_ZN7rocprim17ROCPRIM_400000_NS6detail17trampoline_kernelINS0_14default_configENS1_25partition_config_selectorILNS1_17partition_subalgoE5EdNS0_10empty_typeEbEEZZNS1_14partition_implILS5_5ELb0ES3_mN6thrust23THRUST_200600_302600_NS6detail15normal_iteratorINSA_10device_ptrIdEEEEPS6_NSA_18transform_iteratorINSB_9not_fun_tI7is_trueIdEEENSC_INSD_IbEEEENSA_11use_defaultESO_EENS0_5tupleIJNSA_16discard_iteratorISO_EES6_EEENSQ_IJSG_SG_EEES6_PlJS6_EEE10hipError_tPvRmT3_T4_T5_T6_T7_T9_mT8_P12ihipStream_tbDpT10_ENKUlT_T0_E_clISt17integral_constantIbLb0EES1E_IbLb1EEEEDaS1A_S1B_EUlS1A_E_NS1_11comp_targetILNS1_3genE9ELNS1_11target_archE1100ELNS1_3gpuE3ELNS1_3repE0EEENS1_30default_config_static_selectorELNS0_4arch9wavefront6targetE0EEEvT1_ ; -- Begin function _ZN7rocprim17ROCPRIM_400000_NS6detail17trampoline_kernelINS0_14default_configENS1_25partition_config_selectorILNS1_17partition_subalgoE5EdNS0_10empty_typeEbEEZZNS1_14partition_implILS5_5ELb0ES3_mN6thrust23THRUST_200600_302600_NS6detail15normal_iteratorINSA_10device_ptrIdEEEEPS6_NSA_18transform_iteratorINSB_9not_fun_tI7is_trueIdEEENSC_INSD_IbEEEENSA_11use_defaultESO_EENS0_5tupleIJNSA_16discard_iteratorISO_EES6_EEENSQ_IJSG_SG_EEES6_PlJS6_EEE10hipError_tPvRmT3_T4_T5_T6_T7_T9_mT8_P12ihipStream_tbDpT10_ENKUlT_T0_E_clISt17integral_constantIbLb0EES1E_IbLb1EEEEDaS1A_S1B_EUlS1A_E_NS1_11comp_targetILNS1_3genE9ELNS1_11target_archE1100ELNS1_3gpuE3ELNS1_3repE0EEENS1_30default_config_static_selectorELNS0_4arch9wavefront6targetE0EEEvT1_
	.globl	_ZN7rocprim17ROCPRIM_400000_NS6detail17trampoline_kernelINS0_14default_configENS1_25partition_config_selectorILNS1_17partition_subalgoE5EdNS0_10empty_typeEbEEZZNS1_14partition_implILS5_5ELb0ES3_mN6thrust23THRUST_200600_302600_NS6detail15normal_iteratorINSA_10device_ptrIdEEEEPS6_NSA_18transform_iteratorINSB_9not_fun_tI7is_trueIdEEENSC_INSD_IbEEEENSA_11use_defaultESO_EENS0_5tupleIJNSA_16discard_iteratorISO_EES6_EEENSQ_IJSG_SG_EEES6_PlJS6_EEE10hipError_tPvRmT3_T4_T5_T6_T7_T9_mT8_P12ihipStream_tbDpT10_ENKUlT_T0_E_clISt17integral_constantIbLb0EES1E_IbLb1EEEEDaS1A_S1B_EUlS1A_E_NS1_11comp_targetILNS1_3genE9ELNS1_11target_archE1100ELNS1_3gpuE3ELNS1_3repE0EEENS1_30default_config_static_selectorELNS0_4arch9wavefront6targetE0EEEvT1_
	.p2align	8
	.type	_ZN7rocprim17ROCPRIM_400000_NS6detail17trampoline_kernelINS0_14default_configENS1_25partition_config_selectorILNS1_17partition_subalgoE5EdNS0_10empty_typeEbEEZZNS1_14partition_implILS5_5ELb0ES3_mN6thrust23THRUST_200600_302600_NS6detail15normal_iteratorINSA_10device_ptrIdEEEEPS6_NSA_18transform_iteratorINSB_9not_fun_tI7is_trueIdEEENSC_INSD_IbEEEENSA_11use_defaultESO_EENS0_5tupleIJNSA_16discard_iteratorISO_EES6_EEENSQ_IJSG_SG_EEES6_PlJS6_EEE10hipError_tPvRmT3_T4_T5_T6_T7_T9_mT8_P12ihipStream_tbDpT10_ENKUlT_T0_E_clISt17integral_constantIbLb0EES1E_IbLb1EEEEDaS1A_S1B_EUlS1A_E_NS1_11comp_targetILNS1_3genE9ELNS1_11target_archE1100ELNS1_3gpuE3ELNS1_3repE0EEENS1_30default_config_static_selectorELNS0_4arch9wavefront6targetE0EEEvT1_,@function
_ZN7rocprim17ROCPRIM_400000_NS6detail17trampoline_kernelINS0_14default_configENS1_25partition_config_selectorILNS1_17partition_subalgoE5EdNS0_10empty_typeEbEEZZNS1_14partition_implILS5_5ELb0ES3_mN6thrust23THRUST_200600_302600_NS6detail15normal_iteratorINSA_10device_ptrIdEEEEPS6_NSA_18transform_iteratorINSB_9not_fun_tI7is_trueIdEEENSC_INSD_IbEEEENSA_11use_defaultESO_EENS0_5tupleIJNSA_16discard_iteratorISO_EES6_EEENSQ_IJSG_SG_EEES6_PlJS6_EEE10hipError_tPvRmT3_T4_T5_T6_T7_T9_mT8_P12ihipStream_tbDpT10_ENKUlT_T0_E_clISt17integral_constantIbLb0EES1E_IbLb1EEEEDaS1A_S1B_EUlS1A_E_NS1_11comp_targetILNS1_3genE9ELNS1_11target_archE1100ELNS1_3gpuE3ELNS1_3repE0EEENS1_30default_config_static_selectorELNS0_4arch9wavefront6targetE0EEEvT1_: ; @_ZN7rocprim17ROCPRIM_400000_NS6detail17trampoline_kernelINS0_14default_configENS1_25partition_config_selectorILNS1_17partition_subalgoE5EdNS0_10empty_typeEbEEZZNS1_14partition_implILS5_5ELb0ES3_mN6thrust23THRUST_200600_302600_NS6detail15normal_iteratorINSA_10device_ptrIdEEEEPS6_NSA_18transform_iteratorINSB_9not_fun_tI7is_trueIdEEENSC_INSD_IbEEEENSA_11use_defaultESO_EENS0_5tupleIJNSA_16discard_iteratorISO_EES6_EEENSQ_IJSG_SG_EEES6_PlJS6_EEE10hipError_tPvRmT3_T4_T5_T6_T7_T9_mT8_P12ihipStream_tbDpT10_ENKUlT_T0_E_clISt17integral_constantIbLb0EES1E_IbLb1EEEEDaS1A_S1B_EUlS1A_E_NS1_11comp_targetILNS1_3genE9ELNS1_11target_archE1100ELNS1_3gpuE3ELNS1_3repE0EEENS1_30default_config_static_selectorELNS0_4arch9wavefront6targetE0EEEvT1_
; %bb.0:
	.section	.rodata,"a",@progbits
	.p2align	6, 0x0
	.amdhsa_kernel _ZN7rocprim17ROCPRIM_400000_NS6detail17trampoline_kernelINS0_14default_configENS1_25partition_config_selectorILNS1_17partition_subalgoE5EdNS0_10empty_typeEbEEZZNS1_14partition_implILS5_5ELb0ES3_mN6thrust23THRUST_200600_302600_NS6detail15normal_iteratorINSA_10device_ptrIdEEEEPS6_NSA_18transform_iteratorINSB_9not_fun_tI7is_trueIdEEENSC_INSD_IbEEEENSA_11use_defaultESO_EENS0_5tupleIJNSA_16discard_iteratorISO_EES6_EEENSQ_IJSG_SG_EEES6_PlJS6_EEE10hipError_tPvRmT3_T4_T5_T6_T7_T9_mT8_P12ihipStream_tbDpT10_ENKUlT_T0_E_clISt17integral_constantIbLb0EES1E_IbLb1EEEEDaS1A_S1B_EUlS1A_E_NS1_11comp_targetILNS1_3genE9ELNS1_11target_archE1100ELNS1_3gpuE3ELNS1_3repE0EEENS1_30default_config_static_selectorELNS0_4arch9wavefront6targetE0EEEvT1_
		.amdhsa_group_segment_fixed_size 0
		.amdhsa_private_segment_fixed_size 0
		.amdhsa_kernarg_size 144
		.amdhsa_user_sgpr_count 2
		.amdhsa_user_sgpr_dispatch_ptr 0
		.amdhsa_user_sgpr_queue_ptr 0
		.amdhsa_user_sgpr_kernarg_segment_ptr 1
		.amdhsa_user_sgpr_dispatch_id 0
		.amdhsa_user_sgpr_private_segment_size 0
		.amdhsa_wavefront_size32 1
		.amdhsa_uses_dynamic_stack 0
		.amdhsa_enable_private_segment 0
		.amdhsa_system_sgpr_workgroup_id_x 1
		.amdhsa_system_sgpr_workgroup_id_y 0
		.amdhsa_system_sgpr_workgroup_id_z 0
		.amdhsa_system_sgpr_workgroup_info 0
		.amdhsa_system_vgpr_workitem_id 0
		.amdhsa_next_free_vgpr 1
		.amdhsa_next_free_sgpr 1
		.amdhsa_reserve_vcc 0
		.amdhsa_float_round_mode_32 0
		.amdhsa_float_round_mode_16_64 0
		.amdhsa_float_denorm_mode_32 3
		.amdhsa_float_denorm_mode_16_64 3
		.amdhsa_fp16_overflow 0
		.amdhsa_workgroup_processor_mode 1
		.amdhsa_memory_ordered 1
		.amdhsa_forward_progress 1
		.amdhsa_inst_pref_size 0
		.amdhsa_round_robin_scheduling 0
		.amdhsa_exception_fp_ieee_invalid_op 0
		.amdhsa_exception_fp_denorm_src 0
		.amdhsa_exception_fp_ieee_div_zero 0
		.amdhsa_exception_fp_ieee_overflow 0
		.amdhsa_exception_fp_ieee_underflow 0
		.amdhsa_exception_fp_ieee_inexact 0
		.amdhsa_exception_int_div_zero 0
	.end_amdhsa_kernel
	.section	.text._ZN7rocprim17ROCPRIM_400000_NS6detail17trampoline_kernelINS0_14default_configENS1_25partition_config_selectorILNS1_17partition_subalgoE5EdNS0_10empty_typeEbEEZZNS1_14partition_implILS5_5ELb0ES3_mN6thrust23THRUST_200600_302600_NS6detail15normal_iteratorINSA_10device_ptrIdEEEEPS6_NSA_18transform_iteratorINSB_9not_fun_tI7is_trueIdEEENSC_INSD_IbEEEENSA_11use_defaultESO_EENS0_5tupleIJNSA_16discard_iteratorISO_EES6_EEENSQ_IJSG_SG_EEES6_PlJS6_EEE10hipError_tPvRmT3_T4_T5_T6_T7_T9_mT8_P12ihipStream_tbDpT10_ENKUlT_T0_E_clISt17integral_constantIbLb0EES1E_IbLb1EEEEDaS1A_S1B_EUlS1A_E_NS1_11comp_targetILNS1_3genE9ELNS1_11target_archE1100ELNS1_3gpuE3ELNS1_3repE0EEENS1_30default_config_static_selectorELNS0_4arch9wavefront6targetE0EEEvT1_,"axG",@progbits,_ZN7rocprim17ROCPRIM_400000_NS6detail17trampoline_kernelINS0_14default_configENS1_25partition_config_selectorILNS1_17partition_subalgoE5EdNS0_10empty_typeEbEEZZNS1_14partition_implILS5_5ELb0ES3_mN6thrust23THRUST_200600_302600_NS6detail15normal_iteratorINSA_10device_ptrIdEEEEPS6_NSA_18transform_iteratorINSB_9not_fun_tI7is_trueIdEEENSC_INSD_IbEEEENSA_11use_defaultESO_EENS0_5tupleIJNSA_16discard_iteratorISO_EES6_EEENSQ_IJSG_SG_EEES6_PlJS6_EEE10hipError_tPvRmT3_T4_T5_T6_T7_T9_mT8_P12ihipStream_tbDpT10_ENKUlT_T0_E_clISt17integral_constantIbLb0EES1E_IbLb1EEEEDaS1A_S1B_EUlS1A_E_NS1_11comp_targetILNS1_3genE9ELNS1_11target_archE1100ELNS1_3gpuE3ELNS1_3repE0EEENS1_30default_config_static_selectorELNS0_4arch9wavefront6targetE0EEEvT1_,comdat
.Lfunc_end2619:
	.size	_ZN7rocprim17ROCPRIM_400000_NS6detail17trampoline_kernelINS0_14default_configENS1_25partition_config_selectorILNS1_17partition_subalgoE5EdNS0_10empty_typeEbEEZZNS1_14partition_implILS5_5ELb0ES3_mN6thrust23THRUST_200600_302600_NS6detail15normal_iteratorINSA_10device_ptrIdEEEEPS6_NSA_18transform_iteratorINSB_9not_fun_tI7is_trueIdEEENSC_INSD_IbEEEENSA_11use_defaultESO_EENS0_5tupleIJNSA_16discard_iteratorISO_EES6_EEENSQ_IJSG_SG_EEES6_PlJS6_EEE10hipError_tPvRmT3_T4_T5_T6_T7_T9_mT8_P12ihipStream_tbDpT10_ENKUlT_T0_E_clISt17integral_constantIbLb0EES1E_IbLb1EEEEDaS1A_S1B_EUlS1A_E_NS1_11comp_targetILNS1_3genE9ELNS1_11target_archE1100ELNS1_3gpuE3ELNS1_3repE0EEENS1_30default_config_static_selectorELNS0_4arch9wavefront6targetE0EEEvT1_, .Lfunc_end2619-_ZN7rocprim17ROCPRIM_400000_NS6detail17trampoline_kernelINS0_14default_configENS1_25partition_config_selectorILNS1_17partition_subalgoE5EdNS0_10empty_typeEbEEZZNS1_14partition_implILS5_5ELb0ES3_mN6thrust23THRUST_200600_302600_NS6detail15normal_iteratorINSA_10device_ptrIdEEEEPS6_NSA_18transform_iteratorINSB_9not_fun_tI7is_trueIdEEENSC_INSD_IbEEEENSA_11use_defaultESO_EENS0_5tupleIJNSA_16discard_iteratorISO_EES6_EEENSQ_IJSG_SG_EEES6_PlJS6_EEE10hipError_tPvRmT3_T4_T5_T6_T7_T9_mT8_P12ihipStream_tbDpT10_ENKUlT_T0_E_clISt17integral_constantIbLb0EES1E_IbLb1EEEEDaS1A_S1B_EUlS1A_E_NS1_11comp_targetILNS1_3genE9ELNS1_11target_archE1100ELNS1_3gpuE3ELNS1_3repE0EEENS1_30default_config_static_selectorELNS0_4arch9wavefront6targetE0EEEvT1_
                                        ; -- End function
	.set _ZN7rocprim17ROCPRIM_400000_NS6detail17trampoline_kernelINS0_14default_configENS1_25partition_config_selectorILNS1_17partition_subalgoE5EdNS0_10empty_typeEbEEZZNS1_14partition_implILS5_5ELb0ES3_mN6thrust23THRUST_200600_302600_NS6detail15normal_iteratorINSA_10device_ptrIdEEEEPS6_NSA_18transform_iteratorINSB_9not_fun_tI7is_trueIdEEENSC_INSD_IbEEEENSA_11use_defaultESO_EENS0_5tupleIJNSA_16discard_iteratorISO_EES6_EEENSQ_IJSG_SG_EEES6_PlJS6_EEE10hipError_tPvRmT3_T4_T5_T6_T7_T9_mT8_P12ihipStream_tbDpT10_ENKUlT_T0_E_clISt17integral_constantIbLb0EES1E_IbLb1EEEEDaS1A_S1B_EUlS1A_E_NS1_11comp_targetILNS1_3genE9ELNS1_11target_archE1100ELNS1_3gpuE3ELNS1_3repE0EEENS1_30default_config_static_selectorELNS0_4arch9wavefront6targetE0EEEvT1_.num_vgpr, 0
	.set _ZN7rocprim17ROCPRIM_400000_NS6detail17trampoline_kernelINS0_14default_configENS1_25partition_config_selectorILNS1_17partition_subalgoE5EdNS0_10empty_typeEbEEZZNS1_14partition_implILS5_5ELb0ES3_mN6thrust23THRUST_200600_302600_NS6detail15normal_iteratorINSA_10device_ptrIdEEEEPS6_NSA_18transform_iteratorINSB_9not_fun_tI7is_trueIdEEENSC_INSD_IbEEEENSA_11use_defaultESO_EENS0_5tupleIJNSA_16discard_iteratorISO_EES6_EEENSQ_IJSG_SG_EEES6_PlJS6_EEE10hipError_tPvRmT3_T4_T5_T6_T7_T9_mT8_P12ihipStream_tbDpT10_ENKUlT_T0_E_clISt17integral_constantIbLb0EES1E_IbLb1EEEEDaS1A_S1B_EUlS1A_E_NS1_11comp_targetILNS1_3genE9ELNS1_11target_archE1100ELNS1_3gpuE3ELNS1_3repE0EEENS1_30default_config_static_selectorELNS0_4arch9wavefront6targetE0EEEvT1_.num_agpr, 0
	.set _ZN7rocprim17ROCPRIM_400000_NS6detail17trampoline_kernelINS0_14default_configENS1_25partition_config_selectorILNS1_17partition_subalgoE5EdNS0_10empty_typeEbEEZZNS1_14partition_implILS5_5ELb0ES3_mN6thrust23THRUST_200600_302600_NS6detail15normal_iteratorINSA_10device_ptrIdEEEEPS6_NSA_18transform_iteratorINSB_9not_fun_tI7is_trueIdEEENSC_INSD_IbEEEENSA_11use_defaultESO_EENS0_5tupleIJNSA_16discard_iteratorISO_EES6_EEENSQ_IJSG_SG_EEES6_PlJS6_EEE10hipError_tPvRmT3_T4_T5_T6_T7_T9_mT8_P12ihipStream_tbDpT10_ENKUlT_T0_E_clISt17integral_constantIbLb0EES1E_IbLb1EEEEDaS1A_S1B_EUlS1A_E_NS1_11comp_targetILNS1_3genE9ELNS1_11target_archE1100ELNS1_3gpuE3ELNS1_3repE0EEENS1_30default_config_static_selectorELNS0_4arch9wavefront6targetE0EEEvT1_.numbered_sgpr, 0
	.set _ZN7rocprim17ROCPRIM_400000_NS6detail17trampoline_kernelINS0_14default_configENS1_25partition_config_selectorILNS1_17partition_subalgoE5EdNS0_10empty_typeEbEEZZNS1_14partition_implILS5_5ELb0ES3_mN6thrust23THRUST_200600_302600_NS6detail15normal_iteratorINSA_10device_ptrIdEEEEPS6_NSA_18transform_iteratorINSB_9not_fun_tI7is_trueIdEEENSC_INSD_IbEEEENSA_11use_defaultESO_EENS0_5tupleIJNSA_16discard_iteratorISO_EES6_EEENSQ_IJSG_SG_EEES6_PlJS6_EEE10hipError_tPvRmT3_T4_T5_T6_T7_T9_mT8_P12ihipStream_tbDpT10_ENKUlT_T0_E_clISt17integral_constantIbLb0EES1E_IbLb1EEEEDaS1A_S1B_EUlS1A_E_NS1_11comp_targetILNS1_3genE9ELNS1_11target_archE1100ELNS1_3gpuE3ELNS1_3repE0EEENS1_30default_config_static_selectorELNS0_4arch9wavefront6targetE0EEEvT1_.num_named_barrier, 0
	.set _ZN7rocprim17ROCPRIM_400000_NS6detail17trampoline_kernelINS0_14default_configENS1_25partition_config_selectorILNS1_17partition_subalgoE5EdNS0_10empty_typeEbEEZZNS1_14partition_implILS5_5ELb0ES3_mN6thrust23THRUST_200600_302600_NS6detail15normal_iteratorINSA_10device_ptrIdEEEEPS6_NSA_18transform_iteratorINSB_9not_fun_tI7is_trueIdEEENSC_INSD_IbEEEENSA_11use_defaultESO_EENS0_5tupleIJNSA_16discard_iteratorISO_EES6_EEENSQ_IJSG_SG_EEES6_PlJS6_EEE10hipError_tPvRmT3_T4_T5_T6_T7_T9_mT8_P12ihipStream_tbDpT10_ENKUlT_T0_E_clISt17integral_constantIbLb0EES1E_IbLb1EEEEDaS1A_S1B_EUlS1A_E_NS1_11comp_targetILNS1_3genE9ELNS1_11target_archE1100ELNS1_3gpuE3ELNS1_3repE0EEENS1_30default_config_static_selectorELNS0_4arch9wavefront6targetE0EEEvT1_.private_seg_size, 0
	.set _ZN7rocprim17ROCPRIM_400000_NS6detail17trampoline_kernelINS0_14default_configENS1_25partition_config_selectorILNS1_17partition_subalgoE5EdNS0_10empty_typeEbEEZZNS1_14partition_implILS5_5ELb0ES3_mN6thrust23THRUST_200600_302600_NS6detail15normal_iteratorINSA_10device_ptrIdEEEEPS6_NSA_18transform_iteratorINSB_9not_fun_tI7is_trueIdEEENSC_INSD_IbEEEENSA_11use_defaultESO_EENS0_5tupleIJNSA_16discard_iteratorISO_EES6_EEENSQ_IJSG_SG_EEES6_PlJS6_EEE10hipError_tPvRmT3_T4_T5_T6_T7_T9_mT8_P12ihipStream_tbDpT10_ENKUlT_T0_E_clISt17integral_constantIbLb0EES1E_IbLb1EEEEDaS1A_S1B_EUlS1A_E_NS1_11comp_targetILNS1_3genE9ELNS1_11target_archE1100ELNS1_3gpuE3ELNS1_3repE0EEENS1_30default_config_static_selectorELNS0_4arch9wavefront6targetE0EEEvT1_.uses_vcc, 0
	.set _ZN7rocprim17ROCPRIM_400000_NS6detail17trampoline_kernelINS0_14default_configENS1_25partition_config_selectorILNS1_17partition_subalgoE5EdNS0_10empty_typeEbEEZZNS1_14partition_implILS5_5ELb0ES3_mN6thrust23THRUST_200600_302600_NS6detail15normal_iteratorINSA_10device_ptrIdEEEEPS6_NSA_18transform_iteratorINSB_9not_fun_tI7is_trueIdEEENSC_INSD_IbEEEENSA_11use_defaultESO_EENS0_5tupleIJNSA_16discard_iteratorISO_EES6_EEENSQ_IJSG_SG_EEES6_PlJS6_EEE10hipError_tPvRmT3_T4_T5_T6_T7_T9_mT8_P12ihipStream_tbDpT10_ENKUlT_T0_E_clISt17integral_constantIbLb0EES1E_IbLb1EEEEDaS1A_S1B_EUlS1A_E_NS1_11comp_targetILNS1_3genE9ELNS1_11target_archE1100ELNS1_3gpuE3ELNS1_3repE0EEENS1_30default_config_static_selectorELNS0_4arch9wavefront6targetE0EEEvT1_.uses_flat_scratch, 0
	.set _ZN7rocprim17ROCPRIM_400000_NS6detail17trampoline_kernelINS0_14default_configENS1_25partition_config_selectorILNS1_17partition_subalgoE5EdNS0_10empty_typeEbEEZZNS1_14partition_implILS5_5ELb0ES3_mN6thrust23THRUST_200600_302600_NS6detail15normal_iteratorINSA_10device_ptrIdEEEEPS6_NSA_18transform_iteratorINSB_9not_fun_tI7is_trueIdEEENSC_INSD_IbEEEENSA_11use_defaultESO_EENS0_5tupleIJNSA_16discard_iteratorISO_EES6_EEENSQ_IJSG_SG_EEES6_PlJS6_EEE10hipError_tPvRmT3_T4_T5_T6_T7_T9_mT8_P12ihipStream_tbDpT10_ENKUlT_T0_E_clISt17integral_constantIbLb0EES1E_IbLb1EEEEDaS1A_S1B_EUlS1A_E_NS1_11comp_targetILNS1_3genE9ELNS1_11target_archE1100ELNS1_3gpuE3ELNS1_3repE0EEENS1_30default_config_static_selectorELNS0_4arch9wavefront6targetE0EEEvT1_.has_dyn_sized_stack, 0
	.set _ZN7rocprim17ROCPRIM_400000_NS6detail17trampoline_kernelINS0_14default_configENS1_25partition_config_selectorILNS1_17partition_subalgoE5EdNS0_10empty_typeEbEEZZNS1_14partition_implILS5_5ELb0ES3_mN6thrust23THRUST_200600_302600_NS6detail15normal_iteratorINSA_10device_ptrIdEEEEPS6_NSA_18transform_iteratorINSB_9not_fun_tI7is_trueIdEEENSC_INSD_IbEEEENSA_11use_defaultESO_EENS0_5tupleIJNSA_16discard_iteratorISO_EES6_EEENSQ_IJSG_SG_EEES6_PlJS6_EEE10hipError_tPvRmT3_T4_T5_T6_T7_T9_mT8_P12ihipStream_tbDpT10_ENKUlT_T0_E_clISt17integral_constantIbLb0EES1E_IbLb1EEEEDaS1A_S1B_EUlS1A_E_NS1_11comp_targetILNS1_3genE9ELNS1_11target_archE1100ELNS1_3gpuE3ELNS1_3repE0EEENS1_30default_config_static_selectorELNS0_4arch9wavefront6targetE0EEEvT1_.has_recursion, 0
	.set _ZN7rocprim17ROCPRIM_400000_NS6detail17trampoline_kernelINS0_14default_configENS1_25partition_config_selectorILNS1_17partition_subalgoE5EdNS0_10empty_typeEbEEZZNS1_14partition_implILS5_5ELb0ES3_mN6thrust23THRUST_200600_302600_NS6detail15normal_iteratorINSA_10device_ptrIdEEEEPS6_NSA_18transform_iteratorINSB_9not_fun_tI7is_trueIdEEENSC_INSD_IbEEEENSA_11use_defaultESO_EENS0_5tupleIJNSA_16discard_iteratorISO_EES6_EEENSQ_IJSG_SG_EEES6_PlJS6_EEE10hipError_tPvRmT3_T4_T5_T6_T7_T9_mT8_P12ihipStream_tbDpT10_ENKUlT_T0_E_clISt17integral_constantIbLb0EES1E_IbLb1EEEEDaS1A_S1B_EUlS1A_E_NS1_11comp_targetILNS1_3genE9ELNS1_11target_archE1100ELNS1_3gpuE3ELNS1_3repE0EEENS1_30default_config_static_selectorELNS0_4arch9wavefront6targetE0EEEvT1_.has_indirect_call, 0
	.section	.AMDGPU.csdata,"",@progbits
; Kernel info:
; codeLenInByte = 0
; TotalNumSgprs: 0
; NumVgprs: 0
; ScratchSize: 0
; MemoryBound: 0
; FloatMode: 240
; IeeeMode: 1
; LDSByteSize: 0 bytes/workgroup (compile time only)
; SGPRBlocks: 0
; VGPRBlocks: 0
; NumSGPRsForWavesPerEU: 1
; NumVGPRsForWavesPerEU: 1
; Occupancy: 16
; WaveLimiterHint : 0
; COMPUTE_PGM_RSRC2:SCRATCH_EN: 0
; COMPUTE_PGM_RSRC2:USER_SGPR: 2
; COMPUTE_PGM_RSRC2:TRAP_HANDLER: 0
; COMPUTE_PGM_RSRC2:TGID_X_EN: 1
; COMPUTE_PGM_RSRC2:TGID_Y_EN: 0
; COMPUTE_PGM_RSRC2:TGID_Z_EN: 0
; COMPUTE_PGM_RSRC2:TIDIG_COMP_CNT: 0
	.section	.text._ZN7rocprim17ROCPRIM_400000_NS6detail17trampoline_kernelINS0_14default_configENS1_25partition_config_selectorILNS1_17partition_subalgoE5EdNS0_10empty_typeEbEEZZNS1_14partition_implILS5_5ELb0ES3_mN6thrust23THRUST_200600_302600_NS6detail15normal_iteratorINSA_10device_ptrIdEEEEPS6_NSA_18transform_iteratorINSB_9not_fun_tI7is_trueIdEEENSC_INSD_IbEEEENSA_11use_defaultESO_EENS0_5tupleIJNSA_16discard_iteratorISO_EES6_EEENSQ_IJSG_SG_EEES6_PlJS6_EEE10hipError_tPvRmT3_T4_T5_T6_T7_T9_mT8_P12ihipStream_tbDpT10_ENKUlT_T0_E_clISt17integral_constantIbLb0EES1E_IbLb1EEEEDaS1A_S1B_EUlS1A_E_NS1_11comp_targetILNS1_3genE8ELNS1_11target_archE1030ELNS1_3gpuE2ELNS1_3repE0EEENS1_30default_config_static_selectorELNS0_4arch9wavefront6targetE0EEEvT1_,"axG",@progbits,_ZN7rocprim17ROCPRIM_400000_NS6detail17trampoline_kernelINS0_14default_configENS1_25partition_config_selectorILNS1_17partition_subalgoE5EdNS0_10empty_typeEbEEZZNS1_14partition_implILS5_5ELb0ES3_mN6thrust23THRUST_200600_302600_NS6detail15normal_iteratorINSA_10device_ptrIdEEEEPS6_NSA_18transform_iteratorINSB_9not_fun_tI7is_trueIdEEENSC_INSD_IbEEEENSA_11use_defaultESO_EENS0_5tupleIJNSA_16discard_iteratorISO_EES6_EEENSQ_IJSG_SG_EEES6_PlJS6_EEE10hipError_tPvRmT3_T4_T5_T6_T7_T9_mT8_P12ihipStream_tbDpT10_ENKUlT_T0_E_clISt17integral_constantIbLb0EES1E_IbLb1EEEEDaS1A_S1B_EUlS1A_E_NS1_11comp_targetILNS1_3genE8ELNS1_11target_archE1030ELNS1_3gpuE2ELNS1_3repE0EEENS1_30default_config_static_selectorELNS0_4arch9wavefront6targetE0EEEvT1_,comdat
	.protected	_ZN7rocprim17ROCPRIM_400000_NS6detail17trampoline_kernelINS0_14default_configENS1_25partition_config_selectorILNS1_17partition_subalgoE5EdNS0_10empty_typeEbEEZZNS1_14partition_implILS5_5ELb0ES3_mN6thrust23THRUST_200600_302600_NS6detail15normal_iteratorINSA_10device_ptrIdEEEEPS6_NSA_18transform_iteratorINSB_9not_fun_tI7is_trueIdEEENSC_INSD_IbEEEENSA_11use_defaultESO_EENS0_5tupleIJNSA_16discard_iteratorISO_EES6_EEENSQ_IJSG_SG_EEES6_PlJS6_EEE10hipError_tPvRmT3_T4_T5_T6_T7_T9_mT8_P12ihipStream_tbDpT10_ENKUlT_T0_E_clISt17integral_constantIbLb0EES1E_IbLb1EEEEDaS1A_S1B_EUlS1A_E_NS1_11comp_targetILNS1_3genE8ELNS1_11target_archE1030ELNS1_3gpuE2ELNS1_3repE0EEENS1_30default_config_static_selectorELNS0_4arch9wavefront6targetE0EEEvT1_ ; -- Begin function _ZN7rocprim17ROCPRIM_400000_NS6detail17trampoline_kernelINS0_14default_configENS1_25partition_config_selectorILNS1_17partition_subalgoE5EdNS0_10empty_typeEbEEZZNS1_14partition_implILS5_5ELb0ES3_mN6thrust23THRUST_200600_302600_NS6detail15normal_iteratorINSA_10device_ptrIdEEEEPS6_NSA_18transform_iteratorINSB_9not_fun_tI7is_trueIdEEENSC_INSD_IbEEEENSA_11use_defaultESO_EENS0_5tupleIJNSA_16discard_iteratorISO_EES6_EEENSQ_IJSG_SG_EEES6_PlJS6_EEE10hipError_tPvRmT3_T4_T5_T6_T7_T9_mT8_P12ihipStream_tbDpT10_ENKUlT_T0_E_clISt17integral_constantIbLb0EES1E_IbLb1EEEEDaS1A_S1B_EUlS1A_E_NS1_11comp_targetILNS1_3genE8ELNS1_11target_archE1030ELNS1_3gpuE2ELNS1_3repE0EEENS1_30default_config_static_selectorELNS0_4arch9wavefront6targetE0EEEvT1_
	.globl	_ZN7rocprim17ROCPRIM_400000_NS6detail17trampoline_kernelINS0_14default_configENS1_25partition_config_selectorILNS1_17partition_subalgoE5EdNS0_10empty_typeEbEEZZNS1_14partition_implILS5_5ELb0ES3_mN6thrust23THRUST_200600_302600_NS6detail15normal_iteratorINSA_10device_ptrIdEEEEPS6_NSA_18transform_iteratorINSB_9not_fun_tI7is_trueIdEEENSC_INSD_IbEEEENSA_11use_defaultESO_EENS0_5tupleIJNSA_16discard_iteratorISO_EES6_EEENSQ_IJSG_SG_EEES6_PlJS6_EEE10hipError_tPvRmT3_T4_T5_T6_T7_T9_mT8_P12ihipStream_tbDpT10_ENKUlT_T0_E_clISt17integral_constantIbLb0EES1E_IbLb1EEEEDaS1A_S1B_EUlS1A_E_NS1_11comp_targetILNS1_3genE8ELNS1_11target_archE1030ELNS1_3gpuE2ELNS1_3repE0EEENS1_30default_config_static_selectorELNS0_4arch9wavefront6targetE0EEEvT1_
	.p2align	8
	.type	_ZN7rocprim17ROCPRIM_400000_NS6detail17trampoline_kernelINS0_14default_configENS1_25partition_config_selectorILNS1_17partition_subalgoE5EdNS0_10empty_typeEbEEZZNS1_14partition_implILS5_5ELb0ES3_mN6thrust23THRUST_200600_302600_NS6detail15normal_iteratorINSA_10device_ptrIdEEEEPS6_NSA_18transform_iteratorINSB_9not_fun_tI7is_trueIdEEENSC_INSD_IbEEEENSA_11use_defaultESO_EENS0_5tupleIJNSA_16discard_iteratorISO_EES6_EEENSQ_IJSG_SG_EEES6_PlJS6_EEE10hipError_tPvRmT3_T4_T5_T6_T7_T9_mT8_P12ihipStream_tbDpT10_ENKUlT_T0_E_clISt17integral_constantIbLb0EES1E_IbLb1EEEEDaS1A_S1B_EUlS1A_E_NS1_11comp_targetILNS1_3genE8ELNS1_11target_archE1030ELNS1_3gpuE2ELNS1_3repE0EEENS1_30default_config_static_selectorELNS0_4arch9wavefront6targetE0EEEvT1_,@function
_ZN7rocprim17ROCPRIM_400000_NS6detail17trampoline_kernelINS0_14default_configENS1_25partition_config_selectorILNS1_17partition_subalgoE5EdNS0_10empty_typeEbEEZZNS1_14partition_implILS5_5ELb0ES3_mN6thrust23THRUST_200600_302600_NS6detail15normal_iteratorINSA_10device_ptrIdEEEEPS6_NSA_18transform_iteratorINSB_9not_fun_tI7is_trueIdEEENSC_INSD_IbEEEENSA_11use_defaultESO_EENS0_5tupleIJNSA_16discard_iteratorISO_EES6_EEENSQ_IJSG_SG_EEES6_PlJS6_EEE10hipError_tPvRmT3_T4_T5_T6_T7_T9_mT8_P12ihipStream_tbDpT10_ENKUlT_T0_E_clISt17integral_constantIbLb0EES1E_IbLb1EEEEDaS1A_S1B_EUlS1A_E_NS1_11comp_targetILNS1_3genE8ELNS1_11target_archE1030ELNS1_3gpuE2ELNS1_3repE0EEENS1_30default_config_static_selectorELNS0_4arch9wavefront6targetE0EEEvT1_: ; @_ZN7rocprim17ROCPRIM_400000_NS6detail17trampoline_kernelINS0_14default_configENS1_25partition_config_selectorILNS1_17partition_subalgoE5EdNS0_10empty_typeEbEEZZNS1_14partition_implILS5_5ELb0ES3_mN6thrust23THRUST_200600_302600_NS6detail15normal_iteratorINSA_10device_ptrIdEEEEPS6_NSA_18transform_iteratorINSB_9not_fun_tI7is_trueIdEEENSC_INSD_IbEEEENSA_11use_defaultESO_EENS0_5tupleIJNSA_16discard_iteratorISO_EES6_EEENSQ_IJSG_SG_EEES6_PlJS6_EEE10hipError_tPvRmT3_T4_T5_T6_T7_T9_mT8_P12ihipStream_tbDpT10_ENKUlT_T0_E_clISt17integral_constantIbLb0EES1E_IbLb1EEEEDaS1A_S1B_EUlS1A_E_NS1_11comp_targetILNS1_3genE8ELNS1_11target_archE1030ELNS1_3gpuE2ELNS1_3repE0EEENS1_30default_config_static_selectorELNS0_4arch9wavefront6targetE0EEEvT1_
; %bb.0:
	.section	.rodata,"a",@progbits
	.p2align	6, 0x0
	.amdhsa_kernel _ZN7rocprim17ROCPRIM_400000_NS6detail17trampoline_kernelINS0_14default_configENS1_25partition_config_selectorILNS1_17partition_subalgoE5EdNS0_10empty_typeEbEEZZNS1_14partition_implILS5_5ELb0ES3_mN6thrust23THRUST_200600_302600_NS6detail15normal_iteratorINSA_10device_ptrIdEEEEPS6_NSA_18transform_iteratorINSB_9not_fun_tI7is_trueIdEEENSC_INSD_IbEEEENSA_11use_defaultESO_EENS0_5tupleIJNSA_16discard_iteratorISO_EES6_EEENSQ_IJSG_SG_EEES6_PlJS6_EEE10hipError_tPvRmT3_T4_T5_T6_T7_T9_mT8_P12ihipStream_tbDpT10_ENKUlT_T0_E_clISt17integral_constantIbLb0EES1E_IbLb1EEEEDaS1A_S1B_EUlS1A_E_NS1_11comp_targetILNS1_3genE8ELNS1_11target_archE1030ELNS1_3gpuE2ELNS1_3repE0EEENS1_30default_config_static_selectorELNS0_4arch9wavefront6targetE0EEEvT1_
		.amdhsa_group_segment_fixed_size 0
		.amdhsa_private_segment_fixed_size 0
		.amdhsa_kernarg_size 144
		.amdhsa_user_sgpr_count 2
		.amdhsa_user_sgpr_dispatch_ptr 0
		.amdhsa_user_sgpr_queue_ptr 0
		.amdhsa_user_sgpr_kernarg_segment_ptr 1
		.amdhsa_user_sgpr_dispatch_id 0
		.amdhsa_user_sgpr_private_segment_size 0
		.amdhsa_wavefront_size32 1
		.amdhsa_uses_dynamic_stack 0
		.amdhsa_enable_private_segment 0
		.amdhsa_system_sgpr_workgroup_id_x 1
		.amdhsa_system_sgpr_workgroup_id_y 0
		.amdhsa_system_sgpr_workgroup_id_z 0
		.amdhsa_system_sgpr_workgroup_info 0
		.amdhsa_system_vgpr_workitem_id 0
		.amdhsa_next_free_vgpr 1
		.amdhsa_next_free_sgpr 1
		.amdhsa_reserve_vcc 0
		.amdhsa_float_round_mode_32 0
		.amdhsa_float_round_mode_16_64 0
		.amdhsa_float_denorm_mode_32 3
		.amdhsa_float_denorm_mode_16_64 3
		.amdhsa_fp16_overflow 0
		.amdhsa_workgroup_processor_mode 1
		.amdhsa_memory_ordered 1
		.amdhsa_forward_progress 1
		.amdhsa_inst_pref_size 0
		.amdhsa_round_robin_scheduling 0
		.amdhsa_exception_fp_ieee_invalid_op 0
		.amdhsa_exception_fp_denorm_src 0
		.amdhsa_exception_fp_ieee_div_zero 0
		.amdhsa_exception_fp_ieee_overflow 0
		.amdhsa_exception_fp_ieee_underflow 0
		.amdhsa_exception_fp_ieee_inexact 0
		.amdhsa_exception_int_div_zero 0
	.end_amdhsa_kernel
	.section	.text._ZN7rocprim17ROCPRIM_400000_NS6detail17trampoline_kernelINS0_14default_configENS1_25partition_config_selectorILNS1_17partition_subalgoE5EdNS0_10empty_typeEbEEZZNS1_14partition_implILS5_5ELb0ES3_mN6thrust23THRUST_200600_302600_NS6detail15normal_iteratorINSA_10device_ptrIdEEEEPS6_NSA_18transform_iteratorINSB_9not_fun_tI7is_trueIdEEENSC_INSD_IbEEEENSA_11use_defaultESO_EENS0_5tupleIJNSA_16discard_iteratorISO_EES6_EEENSQ_IJSG_SG_EEES6_PlJS6_EEE10hipError_tPvRmT3_T4_T5_T6_T7_T9_mT8_P12ihipStream_tbDpT10_ENKUlT_T0_E_clISt17integral_constantIbLb0EES1E_IbLb1EEEEDaS1A_S1B_EUlS1A_E_NS1_11comp_targetILNS1_3genE8ELNS1_11target_archE1030ELNS1_3gpuE2ELNS1_3repE0EEENS1_30default_config_static_selectorELNS0_4arch9wavefront6targetE0EEEvT1_,"axG",@progbits,_ZN7rocprim17ROCPRIM_400000_NS6detail17trampoline_kernelINS0_14default_configENS1_25partition_config_selectorILNS1_17partition_subalgoE5EdNS0_10empty_typeEbEEZZNS1_14partition_implILS5_5ELb0ES3_mN6thrust23THRUST_200600_302600_NS6detail15normal_iteratorINSA_10device_ptrIdEEEEPS6_NSA_18transform_iteratorINSB_9not_fun_tI7is_trueIdEEENSC_INSD_IbEEEENSA_11use_defaultESO_EENS0_5tupleIJNSA_16discard_iteratorISO_EES6_EEENSQ_IJSG_SG_EEES6_PlJS6_EEE10hipError_tPvRmT3_T4_T5_T6_T7_T9_mT8_P12ihipStream_tbDpT10_ENKUlT_T0_E_clISt17integral_constantIbLb0EES1E_IbLb1EEEEDaS1A_S1B_EUlS1A_E_NS1_11comp_targetILNS1_3genE8ELNS1_11target_archE1030ELNS1_3gpuE2ELNS1_3repE0EEENS1_30default_config_static_selectorELNS0_4arch9wavefront6targetE0EEEvT1_,comdat
.Lfunc_end2620:
	.size	_ZN7rocprim17ROCPRIM_400000_NS6detail17trampoline_kernelINS0_14default_configENS1_25partition_config_selectorILNS1_17partition_subalgoE5EdNS0_10empty_typeEbEEZZNS1_14partition_implILS5_5ELb0ES3_mN6thrust23THRUST_200600_302600_NS6detail15normal_iteratorINSA_10device_ptrIdEEEEPS6_NSA_18transform_iteratorINSB_9not_fun_tI7is_trueIdEEENSC_INSD_IbEEEENSA_11use_defaultESO_EENS0_5tupleIJNSA_16discard_iteratorISO_EES6_EEENSQ_IJSG_SG_EEES6_PlJS6_EEE10hipError_tPvRmT3_T4_T5_T6_T7_T9_mT8_P12ihipStream_tbDpT10_ENKUlT_T0_E_clISt17integral_constantIbLb0EES1E_IbLb1EEEEDaS1A_S1B_EUlS1A_E_NS1_11comp_targetILNS1_3genE8ELNS1_11target_archE1030ELNS1_3gpuE2ELNS1_3repE0EEENS1_30default_config_static_selectorELNS0_4arch9wavefront6targetE0EEEvT1_, .Lfunc_end2620-_ZN7rocprim17ROCPRIM_400000_NS6detail17trampoline_kernelINS0_14default_configENS1_25partition_config_selectorILNS1_17partition_subalgoE5EdNS0_10empty_typeEbEEZZNS1_14partition_implILS5_5ELb0ES3_mN6thrust23THRUST_200600_302600_NS6detail15normal_iteratorINSA_10device_ptrIdEEEEPS6_NSA_18transform_iteratorINSB_9not_fun_tI7is_trueIdEEENSC_INSD_IbEEEENSA_11use_defaultESO_EENS0_5tupleIJNSA_16discard_iteratorISO_EES6_EEENSQ_IJSG_SG_EEES6_PlJS6_EEE10hipError_tPvRmT3_T4_T5_T6_T7_T9_mT8_P12ihipStream_tbDpT10_ENKUlT_T0_E_clISt17integral_constantIbLb0EES1E_IbLb1EEEEDaS1A_S1B_EUlS1A_E_NS1_11comp_targetILNS1_3genE8ELNS1_11target_archE1030ELNS1_3gpuE2ELNS1_3repE0EEENS1_30default_config_static_selectorELNS0_4arch9wavefront6targetE0EEEvT1_
                                        ; -- End function
	.set _ZN7rocprim17ROCPRIM_400000_NS6detail17trampoline_kernelINS0_14default_configENS1_25partition_config_selectorILNS1_17partition_subalgoE5EdNS0_10empty_typeEbEEZZNS1_14partition_implILS5_5ELb0ES3_mN6thrust23THRUST_200600_302600_NS6detail15normal_iteratorINSA_10device_ptrIdEEEEPS6_NSA_18transform_iteratorINSB_9not_fun_tI7is_trueIdEEENSC_INSD_IbEEEENSA_11use_defaultESO_EENS0_5tupleIJNSA_16discard_iteratorISO_EES6_EEENSQ_IJSG_SG_EEES6_PlJS6_EEE10hipError_tPvRmT3_T4_T5_T6_T7_T9_mT8_P12ihipStream_tbDpT10_ENKUlT_T0_E_clISt17integral_constantIbLb0EES1E_IbLb1EEEEDaS1A_S1B_EUlS1A_E_NS1_11comp_targetILNS1_3genE8ELNS1_11target_archE1030ELNS1_3gpuE2ELNS1_3repE0EEENS1_30default_config_static_selectorELNS0_4arch9wavefront6targetE0EEEvT1_.num_vgpr, 0
	.set _ZN7rocprim17ROCPRIM_400000_NS6detail17trampoline_kernelINS0_14default_configENS1_25partition_config_selectorILNS1_17partition_subalgoE5EdNS0_10empty_typeEbEEZZNS1_14partition_implILS5_5ELb0ES3_mN6thrust23THRUST_200600_302600_NS6detail15normal_iteratorINSA_10device_ptrIdEEEEPS6_NSA_18transform_iteratorINSB_9not_fun_tI7is_trueIdEEENSC_INSD_IbEEEENSA_11use_defaultESO_EENS0_5tupleIJNSA_16discard_iteratorISO_EES6_EEENSQ_IJSG_SG_EEES6_PlJS6_EEE10hipError_tPvRmT3_T4_T5_T6_T7_T9_mT8_P12ihipStream_tbDpT10_ENKUlT_T0_E_clISt17integral_constantIbLb0EES1E_IbLb1EEEEDaS1A_S1B_EUlS1A_E_NS1_11comp_targetILNS1_3genE8ELNS1_11target_archE1030ELNS1_3gpuE2ELNS1_3repE0EEENS1_30default_config_static_selectorELNS0_4arch9wavefront6targetE0EEEvT1_.num_agpr, 0
	.set _ZN7rocprim17ROCPRIM_400000_NS6detail17trampoline_kernelINS0_14default_configENS1_25partition_config_selectorILNS1_17partition_subalgoE5EdNS0_10empty_typeEbEEZZNS1_14partition_implILS5_5ELb0ES3_mN6thrust23THRUST_200600_302600_NS6detail15normal_iteratorINSA_10device_ptrIdEEEEPS6_NSA_18transform_iteratorINSB_9not_fun_tI7is_trueIdEEENSC_INSD_IbEEEENSA_11use_defaultESO_EENS0_5tupleIJNSA_16discard_iteratorISO_EES6_EEENSQ_IJSG_SG_EEES6_PlJS6_EEE10hipError_tPvRmT3_T4_T5_T6_T7_T9_mT8_P12ihipStream_tbDpT10_ENKUlT_T0_E_clISt17integral_constantIbLb0EES1E_IbLb1EEEEDaS1A_S1B_EUlS1A_E_NS1_11comp_targetILNS1_3genE8ELNS1_11target_archE1030ELNS1_3gpuE2ELNS1_3repE0EEENS1_30default_config_static_selectorELNS0_4arch9wavefront6targetE0EEEvT1_.numbered_sgpr, 0
	.set _ZN7rocprim17ROCPRIM_400000_NS6detail17trampoline_kernelINS0_14default_configENS1_25partition_config_selectorILNS1_17partition_subalgoE5EdNS0_10empty_typeEbEEZZNS1_14partition_implILS5_5ELb0ES3_mN6thrust23THRUST_200600_302600_NS6detail15normal_iteratorINSA_10device_ptrIdEEEEPS6_NSA_18transform_iteratorINSB_9not_fun_tI7is_trueIdEEENSC_INSD_IbEEEENSA_11use_defaultESO_EENS0_5tupleIJNSA_16discard_iteratorISO_EES6_EEENSQ_IJSG_SG_EEES6_PlJS6_EEE10hipError_tPvRmT3_T4_T5_T6_T7_T9_mT8_P12ihipStream_tbDpT10_ENKUlT_T0_E_clISt17integral_constantIbLb0EES1E_IbLb1EEEEDaS1A_S1B_EUlS1A_E_NS1_11comp_targetILNS1_3genE8ELNS1_11target_archE1030ELNS1_3gpuE2ELNS1_3repE0EEENS1_30default_config_static_selectorELNS0_4arch9wavefront6targetE0EEEvT1_.num_named_barrier, 0
	.set _ZN7rocprim17ROCPRIM_400000_NS6detail17trampoline_kernelINS0_14default_configENS1_25partition_config_selectorILNS1_17partition_subalgoE5EdNS0_10empty_typeEbEEZZNS1_14partition_implILS5_5ELb0ES3_mN6thrust23THRUST_200600_302600_NS6detail15normal_iteratorINSA_10device_ptrIdEEEEPS6_NSA_18transform_iteratorINSB_9not_fun_tI7is_trueIdEEENSC_INSD_IbEEEENSA_11use_defaultESO_EENS0_5tupleIJNSA_16discard_iteratorISO_EES6_EEENSQ_IJSG_SG_EEES6_PlJS6_EEE10hipError_tPvRmT3_T4_T5_T6_T7_T9_mT8_P12ihipStream_tbDpT10_ENKUlT_T0_E_clISt17integral_constantIbLb0EES1E_IbLb1EEEEDaS1A_S1B_EUlS1A_E_NS1_11comp_targetILNS1_3genE8ELNS1_11target_archE1030ELNS1_3gpuE2ELNS1_3repE0EEENS1_30default_config_static_selectorELNS0_4arch9wavefront6targetE0EEEvT1_.private_seg_size, 0
	.set _ZN7rocprim17ROCPRIM_400000_NS6detail17trampoline_kernelINS0_14default_configENS1_25partition_config_selectorILNS1_17partition_subalgoE5EdNS0_10empty_typeEbEEZZNS1_14partition_implILS5_5ELb0ES3_mN6thrust23THRUST_200600_302600_NS6detail15normal_iteratorINSA_10device_ptrIdEEEEPS6_NSA_18transform_iteratorINSB_9not_fun_tI7is_trueIdEEENSC_INSD_IbEEEENSA_11use_defaultESO_EENS0_5tupleIJNSA_16discard_iteratorISO_EES6_EEENSQ_IJSG_SG_EEES6_PlJS6_EEE10hipError_tPvRmT3_T4_T5_T6_T7_T9_mT8_P12ihipStream_tbDpT10_ENKUlT_T0_E_clISt17integral_constantIbLb0EES1E_IbLb1EEEEDaS1A_S1B_EUlS1A_E_NS1_11comp_targetILNS1_3genE8ELNS1_11target_archE1030ELNS1_3gpuE2ELNS1_3repE0EEENS1_30default_config_static_selectorELNS0_4arch9wavefront6targetE0EEEvT1_.uses_vcc, 0
	.set _ZN7rocprim17ROCPRIM_400000_NS6detail17trampoline_kernelINS0_14default_configENS1_25partition_config_selectorILNS1_17partition_subalgoE5EdNS0_10empty_typeEbEEZZNS1_14partition_implILS5_5ELb0ES3_mN6thrust23THRUST_200600_302600_NS6detail15normal_iteratorINSA_10device_ptrIdEEEEPS6_NSA_18transform_iteratorINSB_9not_fun_tI7is_trueIdEEENSC_INSD_IbEEEENSA_11use_defaultESO_EENS0_5tupleIJNSA_16discard_iteratorISO_EES6_EEENSQ_IJSG_SG_EEES6_PlJS6_EEE10hipError_tPvRmT3_T4_T5_T6_T7_T9_mT8_P12ihipStream_tbDpT10_ENKUlT_T0_E_clISt17integral_constantIbLb0EES1E_IbLb1EEEEDaS1A_S1B_EUlS1A_E_NS1_11comp_targetILNS1_3genE8ELNS1_11target_archE1030ELNS1_3gpuE2ELNS1_3repE0EEENS1_30default_config_static_selectorELNS0_4arch9wavefront6targetE0EEEvT1_.uses_flat_scratch, 0
	.set _ZN7rocprim17ROCPRIM_400000_NS6detail17trampoline_kernelINS0_14default_configENS1_25partition_config_selectorILNS1_17partition_subalgoE5EdNS0_10empty_typeEbEEZZNS1_14partition_implILS5_5ELb0ES3_mN6thrust23THRUST_200600_302600_NS6detail15normal_iteratorINSA_10device_ptrIdEEEEPS6_NSA_18transform_iteratorINSB_9not_fun_tI7is_trueIdEEENSC_INSD_IbEEEENSA_11use_defaultESO_EENS0_5tupleIJNSA_16discard_iteratorISO_EES6_EEENSQ_IJSG_SG_EEES6_PlJS6_EEE10hipError_tPvRmT3_T4_T5_T6_T7_T9_mT8_P12ihipStream_tbDpT10_ENKUlT_T0_E_clISt17integral_constantIbLb0EES1E_IbLb1EEEEDaS1A_S1B_EUlS1A_E_NS1_11comp_targetILNS1_3genE8ELNS1_11target_archE1030ELNS1_3gpuE2ELNS1_3repE0EEENS1_30default_config_static_selectorELNS0_4arch9wavefront6targetE0EEEvT1_.has_dyn_sized_stack, 0
	.set _ZN7rocprim17ROCPRIM_400000_NS6detail17trampoline_kernelINS0_14default_configENS1_25partition_config_selectorILNS1_17partition_subalgoE5EdNS0_10empty_typeEbEEZZNS1_14partition_implILS5_5ELb0ES3_mN6thrust23THRUST_200600_302600_NS6detail15normal_iteratorINSA_10device_ptrIdEEEEPS6_NSA_18transform_iteratorINSB_9not_fun_tI7is_trueIdEEENSC_INSD_IbEEEENSA_11use_defaultESO_EENS0_5tupleIJNSA_16discard_iteratorISO_EES6_EEENSQ_IJSG_SG_EEES6_PlJS6_EEE10hipError_tPvRmT3_T4_T5_T6_T7_T9_mT8_P12ihipStream_tbDpT10_ENKUlT_T0_E_clISt17integral_constantIbLb0EES1E_IbLb1EEEEDaS1A_S1B_EUlS1A_E_NS1_11comp_targetILNS1_3genE8ELNS1_11target_archE1030ELNS1_3gpuE2ELNS1_3repE0EEENS1_30default_config_static_selectorELNS0_4arch9wavefront6targetE0EEEvT1_.has_recursion, 0
	.set _ZN7rocprim17ROCPRIM_400000_NS6detail17trampoline_kernelINS0_14default_configENS1_25partition_config_selectorILNS1_17partition_subalgoE5EdNS0_10empty_typeEbEEZZNS1_14partition_implILS5_5ELb0ES3_mN6thrust23THRUST_200600_302600_NS6detail15normal_iteratorINSA_10device_ptrIdEEEEPS6_NSA_18transform_iteratorINSB_9not_fun_tI7is_trueIdEEENSC_INSD_IbEEEENSA_11use_defaultESO_EENS0_5tupleIJNSA_16discard_iteratorISO_EES6_EEENSQ_IJSG_SG_EEES6_PlJS6_EEE10hipError_tPvRmT3_T4_T5_T6_T7_T9_mT8_P12ihipStream_tbDpT10_ENKUlT_T0_E_clISt17integral_constantIbLb0EES1E_IbLb1EEEEDaS1A_S1B_EUlS1A_E_NS1_11comp_targetILNS1_3genE8ELNS1_11target_archE1030ELNS1_3gpuE2ELNS1_3repE0EEENS1_30default_config_static_selectorELNS0_4arch9wavefront6targetE0EEEvT1_.has_indirect_call, 0
	.section	.AMDGPU.csdata,"",@progbits
; Kernel info:
; codeLenInByte = 0
; TotalNumSgprs: 0
; NumVgprs: 0
; ScratchSize: 0
; MemoryBound: 0
; FloatMode: 240
; IeeeMode: 1
; LDSByteSize: 0 bytes/workgroup (compile time only)
; SGPRBlocks: 0
; VGPRBlocks: 0
; NumSGPRsForWavesPerEU: 1
; NumVGPRsForWavesPerEU: 1
; Occupancy: 16
; WaveLimiterHint : 0
; COMPUTE_PGM_RSRC2:SCRATCH_EN: 0
; COMPUTE_PGM_RSRC2:USER_SGPR: 2
; COMPUTE_PGM_RSRC2:TRAP_HANDLER: 0
; COMPUTE_PGM_RSRC2:TGID_X_EN: 1
; COMPUTE_PGM_RSRC2:TGID_Y_EN: 0
; COMPUTE_PGM_RSRC2:TGID_Z_EN: 0
; COMPUTE_PGM_RSRC2:TIDIG_COMP_CNT: 0
	.section	.text._ZN7rocprim17ROCPRIM_400000_NS6detail17trampoline_kernelINS0_14default_configENS1_25partition_config_selectorILNS1_17partition_subalgoE5EfNS0_10empty_typeEbEEZZNS1_14partition_implILS5_5ELb0ES3_mN6thrust23THRUST_200600_302600_NS6detail15normal_iteratorINSA_10device_ptrIfEEEEPS6_NSA_18transform_iteratorINSB_9not_fun_tI7is_trueIfEEENSC_INSD_IbEEEENSA_11use_defaultESO_EENS0_5tupleIJNSA_16discard_iteratorISO_EES6_EEENSQ_IJSG_SG_EEES6_PlJS6_EEE10hipError_tPvRmT3_T4_T5_T6_T7_T9_mT8_P12ihipStream_tbDpT10_ENKUlT_T0_E_clISt17integral_constantIbLb0EES1F_EEDaS1A_S1B_EUlS1A_E_NS1_11comp_targetILNS1_3genE0ELNS1_11target_archE4294967295ELNS1_3gpuE0ELNS1_3repE0EEENS1_30default_config_static_selectorELNS0_4arch9wavefront6targetE0EEEvT1_,"axG",@progbits,_ZN7rocprim17ROCPRIM_400000_NS6detail17trampoline_kernelINS0_14default_configENS1_25partition_config_selectorILNS1_17partition_subalgoE5EfNS0_10empty_typeEbEEZZNS1_14partition_implILS5_5ELb0ES3_mN6thrust23THRUST_200600_302600_NS6detail15normal_iteratorINSA_10device_ptrIfEEEEPS6_NSA_18transform_iteratorINSB_9not_fun_tI7is_trueIfEEENSC_INSD_IbEEEENSA_11use_defaultESO_EENS0_5tupleIJNSA_16discard_iteratorISO_EES6_EEENSQ_IJSG_SG_EEES6_PlJS6_EEE10hipError_tPvRmT3_T4_T5_T6_T7_T9_mT8_P12ihipStream_tbDpT10_ENKUlT_T0_E_clISt17integral_constantIbLb0EES1F_EEDaS1A_S1B_EUlS1A_E_NS1_11comp_targetILNS1_3genE0ELNS1_11target_archE4294967295ELNS1_3gpuE0ELNS1_3repE0EEENS1_30default_config_static_selectorELNS0_4arch9wavefront6targetE0EEEvT1_,comdat
	.protected	_ZN7rocprim17ROCPRIM_400000_NS6detail17trampoline_kernelINS0_14default_configENS1_25partition_config_selectorILNS1_17partition_subalgoE5EfNS0_10empty_typeEbEEZZNS1_14partition_implILS5_5ELb0ES3_mN6thrust23THRUST_200600_302600_NS6detail15normal_iteratorINSA_10device_ptrIfEEEEPS6_NSA_18transform_iteratorINSB_9not_fun_tI7is_trueIfEEENSC_INSD_IbEEEENSA_11use_defaultESO_EENS0_5tupleIJNSA_16discard_iteratorISO_EES6_EEENSQ_IJSG_SG_EEES6_PlJS6_EEE10hipError_tPvRmT3_T4_T5_T6_T7_T9_mT8_P12ihipStream_tbDpT10_ENKUlT_T0_E_clISt17integral_constantIbLb0EES1F_EEDaS1A_S1B_EUlS1A_E_NS1_11comp_targetILNS1_3genE0ELNS1_11target_archE4294967295ELNS1_3gpuE0ELNS1_3repE0EEENS1_30default_config_static_selectorELNS0_4arch9wavefront6targetE0EEEvT1_ ; -- Begin function _ZN7rocprim17ROCPRIM_400000_NS6detail17trampoline_kernelINS0_14default_configENS1_25partition_config_selectorILNS1_17partition_subalgoE5EfNS0_10empty_typeEbEEZZNS1_14partition_implILS5_5ELb0ES3_mN6thrust23THRUST_200600_302600_NS6detail15normal_iteratorINSA_10device_ptrIfEEEEPS6_NSA_18transform_iteratorINSB_9not_fun_tI7is_trueIfEEENSC_INSD_IbEEEENSA_11use_defaultESO_EENS0_5tupleIJNSA_16discard_iteratorISO_EES6_EEENSQ_IJSG_SG_EEES6_PlJS6_EEE10hipError_tPvRmT3_T4_T5_T6_T7_T9_mT8_P12ihipStream_tbDpT10_ENKUlT_T0_E_clISt17integral_constantIbLb0EES1F_EEDaS1A_S1B_EUlS1A_E_NS1_11comp_targetILNS1_3genE0ELNS1_11target_archE4294967295ELNS1_3gpuE0ELNS1_3repE0EEENS1_30default_config_static_selectorELNS0_4arch9wavefront6targetE0EEEvT1_
	.globl	_ZN7rocprim17ROCPRIM_400000_NS6detail17trampoline_kernelINS0_14default_configENS1_25partition_config_selectorILNS1_17partition_subalgoE5EfNS0_10empty_typeEbEEZZNS1_14partition_implILS5_5ELb0ES3_mN6thrust23THRUST_200600_302600_NS6detail15normal_iteratorINSA_10device_ptrIfEEEEPS6_NSA_18transform_iteratorINSB_9not_fun_tI7is_trueIfEEENSC_INSD_IbEEEENSA_11use_defaultESO_EENS0_5tupleIJNSA_16discard_iteratorISO_EES6_EEENSQ_IJSG_SG_EEES6_PlJS6_EEE10hipError_tPvRmT3_T4_T5_T6_T7_T9_mT8_P12ihipStream_tbDpT10_ENKUlT_T0_E_clISt17integral_constantIbLb0EES1F_EEDaS1A_S1B_EUlS1A_E_NS1_11comp_targetILNS1_3genE0ELNS1_11target_archE4294967295ELNS1_3gpuE0ELNS1_3repE0EEENS1_30default_config_static_selectorELNS0_4arch9wavefront6targetE0EEEvT1_
	.p2align	8
	.type	_ZN7rocprim17ROCPRIM_400000_NS6detail17trampoline_kernelINS0_14default_configENS1_25partition_config_selectorILNS1_17partition_subalgoE5EfNS0_10empty_typeEbEEZZNS1_14partition_implILS5_5ELb0ES3_mN6thrust23THRUST_200600_302600_NS6detail15normal_iteratorINSA_10device_ptrIfEEEEPS6_NSA_18transform_iteratorINSB_9not_fun_tI7is_trueIfEEENSC_INSD_IbEEEENSA_11use_defaultESO_EENS0_5tupleIJNSA_16discard_iteratorISO_EES6_EEENSQ_IJSG_SG_EEES6_PlJS6_EEE10hipError_tPvRmT3_T4_T5_T6_T7_T9_mT8_P12ihipStream_tbDpT10_ENKUlT_T0_E_clISt17integral_constantIbLb0EES1F_EEDaS1A_S1B_EUlS1A_E_NS1_11comp_targetILNS1_3genE0ELNS1_11target_archE4294967295ELNS1_3gpuE0ELNS1_3repE0EEENS1_30default_config_static_selectorELNS0_4arch9wavefront6targetE0EEEvT1_,@function
_ZN7rocprim17ROCPRIM_400000_NS6detail17trampoline_kernelINS0_14default_configENS1_25partition_config_selectorILNS1_17partition_subalgoE5EfNS0_10empty_typeEbEEZZNS1_14partition_implILS5_5ELb0ES3_mN6thrust23THRUST_200600_302600_NS6detail15normal_iteratorINSA_10device_ptrIfEEEEPS6_NSA_18transform_iteratorINSB_9not_fun_tI7is_trueIfEEENSC_INSD_IbEEEENSA_11use_defaultESO_EENS0_5tupleIJNSA_16discard_iteratorISO_EES6_EEENSQ_IJSG_SG_EEES6_PlJS6_EEE10hipError_tPvRmT3_T4_T5_T6_T7_T9_mT8_P12ihipStream_tbDpT10_ENKUlT_T0_E_clISt17integral_constantIbLb0EES1F_EEDaS1A_S1B_EUlS1A_E_NS1_11comp_targetILNS1_3genE0ELNS1_11target_archE4294967295ELNS1_3gpuE0ELNS1_3repE0EEENS1_30default_config_static_selectorELNS0_4arch9wavefront6targetE0EEEvT1_: ; @_ZN7rocprim17ROCPRIM_400000_NS6detail17trampoline_kernelINS0_14default_configENS1_25partition_config_selectorILNS1_17partition_subalgoE5EfNS0_10empty_typeEbEEZZNS1_14partition_implILS5_5ELb0ES3_mN6thrust23THRUST_200600_302600_NS6detail15normal_iteratorINSA_10device_ptrIfEEEEPS6_NSA_18transform_iteratorINSB_9not_fun_tI7is_trueIfEEENSC_INSD_IbEEEENSA_11use_defaultESO_EENS0_5tupleIJNSA_16discard_iteratorISO_EES6_EEENSQ_IJSG_SG_EEES6_PlJS6_EEE10hipError_tPvRmT3_T4_T5_T6_T7_T9_mT8_P12ihipStream_tbDpT10_ENKUlT_T0_E_clISt17integral_constantIbLb0EES1F_EEDaS1A_S1B_EUlS1A_E_NS1_11comp_targetILNS1_3genE0ELNS1_11target_archE4294967295ELNS1_3gpuE0ELNS1_3repE0EEENS1_30default_config_static_selectorELNS0_4arch9wavefront6targetE0EEEvT1_
; %bb.0:
	.section	.rodata,"a",@progbits
	.p2align	6, 0x0
	.amdhsa_kernel _ZN7rocprim17ROCPRIM_400000_NS6detail17trampoline_kernelINS0_14default_configENS1_25partition_config_selectorILNS1_17partition_subalgoE5EfNS0_10empty_typeEbEEZZNS1_14partition_implILS5_5ELb0ES3_mN6thrust23THRUST_200600_302600_NS6detail15normal_iteratorINSA_10device_ptrIfEEEEPS6_NSA_18transform_iteratorINSB_9not_fun_tI7is_trueIfEEENSC_INSD_IbEEEENSA_11use_defaultESO_EENS0_5tupleIJNSA_16discard_iteratorISO_EES6_EEENSQ_IJSG_SG_EEES6_PlJS6_EEE10hipError_tPvRmT3_T4_T5_T6_T7_T9_mT8_P12ihipStream_tbDpT10_ENKUlT_T0_E_clISt17integral_constantIbLb0EES1F_EEDaS1A_S1B_EUlS1A_E_NS1_11comp_targetILNS1_3genE0ELNS1_11target_archE4294967295ELNS1_3gpuE0ELNS1_3repE0EEENS1_30default_config_static_selectorELNS0_4arch9wavefront6targetE0EEEvT1_
		.amdhsa_group_segment_fixed_size 0
		.amdhsa_private_segment_fixed_size 0
		.amdhsa_kernarg_size 128
		.amdhsa_user_sgpr_count 2
		.amdhsa_user_sgpr_dispatch_ptr 0
		.amdhsa_user_sgpr_queue_ptr 0
		.amdhsa_user_sgpr_kernarg_segment_ptr 1
		.amdhsa_user_sgpr_dispatch_id 0
		.amdhsa_user_sgpr_private_segment_size 0
		.amdhsa_wavefront_size32 1
		.amdhsa_uses_dynamic_stack 0
		.amdhsa_enable_private_segment 0
		.amdhsa_system_sgpr_workgroup_id_x 1
		.amdhsa_system_sgpr_workgroup_id_y 0
		.amdhsa_system_sgpr_workgroup_id_z 0
		.amdhsa_system_sgpr_workgroup_info 0
		.amdhsa_system_vgpr_workitem_id 0
		.amdhsa_next_free_vgpr 1
		.amdhsa_next_free_sgpr 1
		.amdhsa_reserve_vcc 0
		.amdhsa_float_round_mode_32 0
		.amdhsa_float_round_mode_16_64 0
		.amdhsa_float_denorm_mode_32 3
		.amdhsa_float_denorm_mode_16_64 3
		.amdhsa_fp16_overflow 0
		.amdhsa_workgroup_processor_mode 1
		.amdhsa_memory_ordered 1
		.amdhsa_forward_progress 1
		.amdhsa_inst_pref_size 0
		.amdhsa_round_robin_scheduling 0
		.amdhsa_exception_fp_ieee_invalid_op 0
		.amdhsa_exception_fp_denorm_src 0
		.amdhsa_exception_fp_ieee_div_zero 0
		.amdhsa_exception_fp_ieee_overflow 0
		.amdhsa_exception_fp_ieee_underflow 0
		.amdhsa_exception_fp_ieee_inexact 0
		.amdhsa_exception_int_div_zero 0
	.end_amdhsa_kernel
	.section	.text._ZN7rocprim17ROCPRIM_400000_NS6detail17trampoline_kernelINS0_14default_configENS1_25partition_config_selectorILNS1_17partition_subalgoE5EfNS0_10empty_typeEbEEZZNS1_14partition_implILS5_5ELb0ES3_mN6thrust23THRUST_200600_302600_NS6detail15normal_iteratorINSA_10device_ptrIfEEEEPS6_NSA_18transform_iteratorINSB_9not_fun_tI7is_trueIfEEENSC_INSD_IbEEEENSA_11use_defaultESO_EENS0_5tupleIJNSA_16discard_iteratorISO_EES6_EEENSQ_IJSG_SG_EEES6_PlJS6_EEE10hipError_tPvRmT3_T4_T5_T6_T7_T9_mT8_P12ihipStream_tbDpT10_ENKUlT_T0_E_clISt17integral_constantIbLb0EES1F_EEDaS1A_S1B_EUlS1A_E_NS1_11comp_targetILNS1_3genE0ELNS1_11target_archE4294967295ELNS1_3gpuE0ELNS1_3repE0EEENS1_30default_config_static_selectorELNS0_4arch9wavefront6targetE0EEEvT1_,"axG",@progbits,_ZN7rocprim17ROCPRIM_400000_NS6detail17trampoline_kernelINS0_14default_configENS1_25partition_config_selectorILNS1_17partition_subalgoE5EfNS0_10empty_typeEbEEZZNS1_14partition_implILS5_5ELb0ES3_mN6thrust23THRUST_200600_302600_NS6detail15normal_iteratorINSA_10device_ptrIfEEEEPS6_NSA_18transform_iteratorINSB_9not_fun_tI7is_trueIfEEENSC_INSD_IbEEEENSA_11use_defaultESO_EENS0_5tupleIJNSA_16discard_iteratorISO_EES6_EEENSQ_IJSG_SG_EEES6_PlJS6_EEE10hipError_tPvRmT3_T4_T5_T6_T7_T9_mT8_P12ihipStream_tbDpT10_ENKUlT_T0_E_clISt17integral_constantIbLb0EES1F_EEDaS1A_S1B_EUlS1A_E_NS1_11comp_targetILNS1_3genE0ELNS1_11target_archE4294967295ELNS1_3gpuE0ELNS1_3repE0EEENS1_30default_config_static_selectorELNS0_4arch9wavefront6targetE0EEEvT1_,comdat
.Lfunc_end2621:
	.size	_ZN7rocprim17ROCPRIM_400000_NS6detail17trampoline_kernelINS0_14default_configENS1_25partition_config_selectorILNS1_17partition_subalgoE5EfNS0_10empty_typeEbEEZZNS1_14partition_implILS5_5ELb0ES3_mN6thrust23THRUST_200600_302600_NS6detail15normal_iteratorINSA_10device_ptrIfEEEEPS6_NSA_18transform_iteratorINSB_9not_fun_tI7is_trueIfEEENSC_INSD_IbEEEENSA_11use_defaultESO_EENS0_5tupleIJNSA_16discard_iteratorISO_EES6_EEENSQ_IJSG_SG_EEES6_PlJS6_EEE10hipError_tPvRmT3_T4_T5_T6_T7_T9_mT8_P12ihipStream_tbDpT10_ENKUlT_T0_E_clISt17integral_constantIbLb0EES1F_EEDaS1A_S1B_EUlS1A_E_NS1_11comp_targetILNS1_3genE0ELNS1_11target_archE4294967295ELNS1_3gpuE0ELNS1_3repE0EEENS1_30default_config_static_selectorELNS0_4arch9wavefront6targetE0EEEvT1_, .Lfunc_end2621-_ZN7rocprim17ROCPRIM_400000_NS6detail17trampoline_kernelINS0_14default_configENS1_25partition_config_selectorILNS1_17partition_subalgoE5EfNS0_10empty_typeEbEEZZNS1_14partition_implILS5_5ELb0ES3_mN6thrust23THRUST_200600_302600_NS6detail15normal_iteratorINSA_10device_ptrIfEEEEPS6_NSA_18transform_iteratorINSB_9not_fun_tI7is_trueIfEEENSC_INSD_IbEEEENSA_11use_defaultESO_EENS0_5tupleIJNSA_16discard_iteratorISO_EES6_EEENSQ_IJSG_SG_EEES6_PlJS6_EEE10hipError_tPvRmT3_T4_T5_T6_T7_T9_mT8_P12ihipStream_tbDpT10_ENKUlT_T0_E_clISt17integral_constantIbLb0EES1F_EEDaS1A_S1B_EUlS1A_E_NS1_11comp_targetILNS1_3genE0ELNS1_11target_archE4294967295ELNS1_3gpuE0ELNS1_3repE0EEENS1_30default_config_static_selectorELNS0_4arch9wavefront6targetE0EEEvT1_
                                        ; -- End function
	.set _ZN7rocprim17ROCPRIM_400000_NS6detail17trampoline_kernelINS0_14default_configENS1_25partition_config_selectorILNS1_17partition_subalgoE5EfNS0_10empty_typeEbEEZZNS1_14partition_implILS5_5ELb0ES3_mN6thrust23THRUST_200600_302600_NS6detail15normal_iteratorINSA_10device_ptrIfEEEEPS6_NSA_18transform_iteratorINSB_9not_fun_tI7is_trueIfEEENSC_INSD_IbEEEENSA_11use_defaultESO_EENS0_5tupleIJNSA_16discard_iteratorISO_EES6_EEENSQ_IJSG_SG_EEES6_PlJS6_EEE10hipError_tPvRmT3_T4_T5_T6_T7_T9_mT8_P12ihipStream_tbDpT10_ENKUlT_T0_E_clISt17integral_constantIbLb0EES1F_EEDaS1A_S1B_EUlS1A_E_NS1_11comp_targetILNS1_3genE0ELNS1_11target_archE4294967295ELNS1_3gpuE0ELNS1_3repE0EEENS1_30default_config_static_selectorELNS0_4arch9wavefront6targetE0EEEvT1_.num_vgpr, 0
	.set _ZN7rocprim17ROCPRIM_400000_NS6detail17trampoline_kernelINS0_14default_configENS1_25partition_config_selectorILNS1_17partition_subalgoE5EfNS0_10empty_typeEbEEZZNS1_14partition_implILS5_5ELb0ES3_mN6thrust23THRUST_200600_302600_NS6detail15normal_iteratorINSA_10device_ptrIfEEEEPS6_NSA_18transform_iteratorINSB_9not_fun_tI7is_trueIfEEENSC_INSD_IbEEEENSA_11use_defaultESO_EENS0_5tupleIJNSA_16discard_iteratorISO_EES6_EEENSQ_IJSG_SG_EEES6_PlJS6_EEE10hipError_tPvRmT3_T4_T5_T6_T7_T9_mT8_P12ihipStream_tbDpT10_ENKUlT_T0_E_clISt17integral_constantIbLb0EES1F_EEDaS1A_S1B_EUlS1A_E_NS1_11comp_targetILNS1_3genE0ELNS1_11target_archE4294967295ELNS1_3gpuE0ELNS1_3repE0EEENS1_30default_config_static_selectorELNS0_4arch9wavefront6targetE0EEEvT1_.num_agpr, 0
	.set _ZN7rocprim17ROCPRIM_400000_NS6detail17trampoline_kernelINS0_14default_configENS1_25partition_config_selectorILNS1_17partition_subalgoE5EfNS0_10empty_typeEbEEZZNS1_14partition_implILS5_5ELb0ES3_mN6thrust23THRUST_200600_302600_NS6detail15normal_iteratorINSA_10device_ptrIfEEEEPS6_NSA_18transform_iteratorINSB_9not_fun_tI7is_trueIfEEENSC_INSD_IbEEEENSA_11use_defaultESO_EENS0_5tupleIJNSA_16discard_iteratorISO_EES6_EEENSQ_IJSG_SG_EEES6_PlJS6_EEE10hipError_tPvRmT3_T4_T5_T6_T7_T9_mT8_P12ihipStream_tbDpT10_ENKUlT_T0_E_clISt17integral_constantIbLb0EES1F_EEDaS1A_S1B_EUlS1A_E_NS1_11comp_targetILNS1_3genE0ELNS1_11target_archE4294967295ELNS1_3gpuE0ELNS1_3repE0EEENS1_30default_config_static_selectorELNS0_4arch9wavefront6targetE0EEEvT1_.numbered_sgpr, 0
	.set _ZN7rocprim17ROCPRIM_400000_NS6detail17trampoline_kernelINS0_14default_configENS1_25partition_config_selectorILNS1_17partition_subalgoE5EfNS0_10empty_typeEbEEZZNS1_14partition_implILS5_5ELb0ES3_mN6thrust23THRUST_200600_302600_NS6detail15normal_iteratorINSA_10device_ptrIfEEEEPS6_NSA_18transform_iteratorINSB_9not_fun_tI7is_trueIfEEENSC_INSD_IbEEEENSA_11use_defaultESO_EENS0_5tupleIJNSA_16discard_iteratorISO_EES6_EEENSQ_IJSG_SG_EEES6_PlJS6_EEE10hipError_tPvRmT3_T4_T5_T6_T7_T9_mT8_P12ihipStream_tbDpT10_ENKUlT_T0_E_clISt17integral_constantIbLb0EES1F_EEDaS1A_S1B_EUlS1A_E_NS1_11comp_targetILNS1_3genE0ELNS1_11target_archE4294967295ELNS1_3gpuE0ELNS1_3repE0EEENS1_30default_config_static_selectorELNS0_4arch9wavefront6targetE0EEEvT1_.num_named_barrier, 0
	.set _ZN7rocprim17ROCPRIM_400000_NS6detail17trampoline_kernelINS0_14default_configENS1_25partition_config_selectorILNS1_17partition_subalgoE5EfNS0_10empty_typeEbEEZZNS1_14partition_implILS5_5ELb0ES3_mN6thrust23THRUST_200600_302600_NS6detail15normal_iteratorINSA_10device_ptrIfEEEEPS6_NSA_18transform_iteratorINSB_9not_fun_tI7is_trueIfEEENSC_INSD_IbEEEENSA_11use_defaultESO_EENS0_5tupleIJNSA_16discard_iteratorISO_EES6_EEENSQ_IJSG_SG_EEES6_PlJS6_EEE10hipError_tPvRmT3_T4_T5_T6_T7_T9_mT8_P12ihipStream_tbDpT10_ENKUlT_T0_E_clISt17integral_constantIbLb0EES1F_EEDaS1A_S1B_EUlS1A_E_NS1_11comp_targetILNS1_3genE0ELNS1_11target_archE4294967295ELNS1_3gpuE0ELNS1_3repE0EEENS1_30default_config_static_selectorELNS0_4arch9wavefront6targetE0EEEvT1_.private_seg_size, 0
	.set _ZN7rocprim17ROCPRIM_400000_NS6detail17trampoline_kernelINS0_14default_configENS1_25partition_config_selectorILNS1_17partition_subalgoE5EfNS0_10empty_typeEbEEZZNS1_14partition_implILS5_5ELb0ES3_mN6thrust23THRUST_200600_302600_NS6detail15normal_iteratorINSA_10device_ptrIfEEEEPS6_NSA_18transform_iteratorINSB_9not_fun_tI7is_trueIfEEENSC_INSD_IbEEEENSA_11use_defaultESO_EENS0_5tupleIJNSA_16discard_iteratorISO_EES6_EEENSQ_IJSG_SG_EEES6_PlJS6_EEE10hipError_tPvRmT3_T4_T5_T6_T7_T9_mT8_P12ihipStream_tbDpT10_ENKUlT_T0_E_clISt17integral_constantIbLb0EES1F_EEDaS1A_S1B_EUlS1A_E_NS1_11comp_targetILNS1_3genE0ELNS1_11target_archE4294967295ELNS1_3gpuE0ELNS1_3repE0EEENS1_30default_config_static_selectorELNS0_4arch9wavefront6targetE0EEEvT1_.uses_vcc, 0
	.set _ZN7rocprim17ROCPRIM_400000_NS6detail17trampoline_kernelINS0_14default_configENS1_25partition_config_selectorILNS1_17partition_subalgoE5EfNS0_10empty_typeEbEEZZNS1_14partition_implILS5_5ELb0ES3_mN6thrust23THRUST_200600_302600_NS6detail15normal_iteratorINSA_10device_ptrIfEEEEPS6_NSA_18transform_iteratorINSB_9not_fun_tI7is_trueIfEEENSC_INSD_IbEEEENSA_11use_defaultESO_EENS0_5tupleIJNSA_16discard_iteratorISO_EES6_EEENSQ_IJSG_SG_EEES6_PlJS6_EEE10hipError_tPvRmT3_T4_T5_T6_T7_T9_mT8_P12ihipStream_tbDpT10_ENKUlT_T0_E_clISt17integral_constantIbLb0EES1F_EEDaS1A_S1B_EUlS1A_E_NS1_11comp_targetILNS1_3genE0ELNS1_11target_archE4294967295ELNS1_3gpuE0ELNS1_3repE0EEENS1_30default_config_static_selectorELNS0_4arch9wavefront6targetE0EEEvT1_.uses_flat_scratch, 0
	.set _ZN7rocprim17ROCPRIM_400000_NS6detail17trampoline_kernelINS0_14default_configENS1_25partition_config_selectorILNS1_17partition_subalgoE5EfNS0_10empty_typeEbEEZZNS1_14partition_implILS5_5ELb0ES3_mN6thrust23THRUST_200600_302600_NS6detail15normal_iteratorINSA_10device_ptrIfEEEEPS6_NSA_18transform_iteratorINSB_9not_fun_tI7is_trueIfEEENSC_INSD_IbEEEENSA_11use_defaultESO_EENS0_5tupleIJNSA_16discard_iteratorISO_EES6_EEENSQ_IJSG_SG_EEES6_PlJS6_EEE10hipError_tPvRmT3_T4_T5_T6_T7_T9_mT8_P12ihipStream_tbDpT10_ENKUlT_T0_E_clISt17integral_constantIbLb0EES1F_EEDaS1A_S1B_EUlS1A_E_NS1_11comp_targetILNS1_3genE0ELNS1_11target_archE4294967295ELNS1_3gpuE0ELNS1_3repE0EEENS1_30default_config_static_selectorELNS0_4arch9wavefront6targetE0EEEvT1_.has_dyn_sized_stack, 0
	.set _ZN7rocprim17ROCPRIM_400000_NS6detail17trampoline_kernelINS0_14default_configENS1_25partition_config_selectorILNS1_17partition_subalgoE5EfNS0_10empty_typeEbEEZZNS1_14partition_implILS5_5ELb0ES3_mN6thrust23THRUST_200600_302600_NS6detail15normal_iteratorINSA_10device_ptrIfEEEEPS6_NSA_18transform_iteratorINSB_9not_fun_tI7is_trueIfEEENSC_INSD_IbEEEENSA_11use_defaultESO_EENS0_5tupleIJNSA_16discard_iteratorISO_EES6_EEENSQ_IJSG_SG_EEES6_PlJS6_EEE10hipError_tPvRmT3_T4_T5_T6_T7_T9_mT8_P12ihipStream_tbDpT10_ENKUlT_T0_E_clISt17integral_constantIbLb0EES1F_EEDaS1A_S1B_EUlS1A_E_NS1_11comp_targetILNS1_3genE0ELNS1_11target_archE4294967295ELNS1_3gpuE0ELNS1_3repE0EEENS1_30default_config_static_selectorELNS0_4arch9wavefront6targetE0EEEvT1_.has_recursion, 0
	.set _ZN7rocprim17ROCPRIM_400000_NS6detail17trampoline_kernelINS0_14default_configENS1_25partition_config_selectorILNS1_17partition_subalgoE5EfNS0_10empty_typeEbEEZZNS1_14partition_implILS5_5ELb0ES3_mN6thrust23THRUST_200600_302600_NS6detail15normal_iteratorINSA_10device_ptrIfEEEEPS6_NSA_18transform_iteratorINSB_9not_fun_tI7is_trueIfEEENSC_INSD_IbEEEENSA_11use_defaultESO_EENS0_5tupleIJNSA_16discard_iteratorISO_EES6_EEENSQ_IJSG_SG_EEES6_PlJS6_EEE10hipError_tPvRmT3_T4_T5_T6_T7_T9_mT8_P12ihipStream_tbDpT10_ENKUlT_T0_E_clISt17integral_constantIbLb0EES1F_EEDaS1A_S1B_EUlS1A_E_NS1_11comp_targetILNS1_3genE0ELNS1_11target_archE4294967295ELNS1_3gpuE0ELNS1_3repE0EEENS1_30default_config_static_selectorELNS0_4arch9wavefront6targetE0EEEvT1_.has_indirect_call, 0
	.section	.AMDGPU.csdata,"",@progbits
; Kernel info:
; codeLenInByte = 0
; TotalNumSgprs: 0
; NumVgprs: 0
; ScratchSize: 0
; MemoryBound: 0
; FloatMode: 240
; IeeeMode: 1
; LDSByteSize: 0 bytes/workgroup (compile time only)
; SGPRBlocks: 0
; VGPRBlocks: 0
; NumSGPRsForWavesPerEU: 1
; NumVGPRsForWavesPerEU: 1
; Occupancy: 16
; WaveLimiterHint : 0
; COMPUTE_PGM_RSRC2:SCRATCH_EN: 0
; COMPUTE_PGM_RSRC2:USER_SGPR: 2
; COMPUTE_PGM_RSRC2:TRAP_HANDLER: 0
; COMPUTE_PGM_RSRC2:TGID_X_EN: 1
; COMPUTE_PGM_RSRC2:TGID_Y_EN: 0
; COMPUTE_PGM_RSRC2:TGID_Z_EN: 0
; COMPUTE_PGM_RSRC2:TIDIG_COMP_CNT: 0
	.section	.text._ZN7rocprim17ROCPRIM_400000_NS6detail17trampoline_kernelINS0_14default_configENS1_25partition_config_selectorILNS1_17partition_subalgoE5EfNS0_10empty_typeEbEEZZNS1_14partition_implILS5_5ELb0ES3_mN6thrust23THRUST_200600_302600_NS6detail15normal_iteratorINSA_10device_ptrIfEEEEPS6_NSA_18transform_iteratorINSB_9not_fun_tI7is_trueIfEEENSC_INSD_IbEEEENSA_11use_defaultESO_EENS0_5tupleIJNSA_16discard_iteratorISO_EES6_EEENSQ_IJSG_SG_EEES6_PlJS6_EEE10hipError_tPvRmT3_T4_T5_T6_T7_T9_mT8_P12ihipStream_tbDpT10_ENKUlT_T0_E_clISt17integral_constantIbLb0EES1F_EEDaS1A_S1B_EUlS1A_E_NS1_11comp_targetILNS1_3genE5ELNS1_11target_archE942ELNS1_3gpuE9ELNS1_3repE0EEENS1_30default_config_static_selectorELNS0_4arch9wavefront6targetE0EEEvT1_,"axG",@progbits,_ZN7rocprim17ROCPRIM_400000_NS6detail17trampoline_kernelINS0_14default_configENS1_25partition_config_selectorILNS1_17partition_subalgoE5EfNS0_10empty_typeEbEEZZNS1_14partition_implILS5_5ELb0ES3_mN6thrust23THRUST_200600_302600_NS6detail15normal_iteratorINSA_10device_ptrIfEEEEPS6_NSA_18transform_iteratorINSB_9not_fun_tI7is_trueIfEEENSC_INSD_IbEEEENSA_11use_defaultESO_EENS0_5tupleIJNSA_16discard_iteratorISO_EES6_EEENSQ_IJSG_SG_EEES6_PlJS6_EEE10hipError_tPvRmT3_T4_T5_T6_T7_T9_mT8_P12ihipStream_tbDpT10_ENKUlT_T0_E_clISt17integral_constantIbLb0EES1F_EEDaS1A_S1B_EUlS1A_E_NS1_11comp_targetILNS1_3genE5ELNS1_11target_archE942ELNS1_3gpuE9ELNS1_3repE0EEENS1_30default_config_static_selectorELNS0_4arch9wavefront6targetE0EEEvT1_,comdat
	.protected	_ZN7rocprim17ROCPRIM_400000_NS6detail17trampoline_kernelINS0_14default_configENS1_25partition_config_selectorILNS1_17partition_subalgoE5EfNS0_10empty_typeEbEEZZNS1_14partition_implILS5_5ELb0ES3_mN6thrust23THRUST_200600_302600_NS6detail15normal_iteratorINSA_10device_ptrIfEEEEPS6_NSA_18transform_iteratorINSB_9not_fun_tI7is_trueIfEEENSC_INSD_IbEEEENSA_11use_defaultESO_EENS0_5tupleIJNSA_16discard_iteratorISO_EES6_EEENSQ_IJSG_SG_EEES6_PlJS6_EEE10hipError_tPvRmT3_T4_T5_T6_T7_T9_mT8_P12ihipStream_tbDpT10_ENKUlT_T0_E_clISt17integral_constantIbLb0EES1F_EEDaS1A_S1B_EUlS1A_E_NS1_11comp_targetILNS1_3genE5ELNS1_11target_archE942ELNS1_3gpuE9ELNS1_3repE0EEENS1_30default_config_static_selectorELNS0_4arch9wavefront6targetE0EEEvT1_ ; -- Begin function _ZN7rocprim17ROCPRIM_400000_NS6detail17trampoline_kernelINS0_14default_configENS1_25partition_config_selectorILNS1_17partition_subalgoE5EfNS0_10empty_typeEbEEZZNS1_14partition_implILS5_5ELb0ES3_mN6thrust23THRUST_200600_302600_NS6detail15normal_iteratorINSA_10device_ptrIfEEEEPS6_NSA_18transform_iteratorINSB_9not_fun_tI7is_trueIfEEENSC_INSD_IbEEEENSA_11use_defaultESO_EENS0_5tupleIJNSA_16discard_iteratorISO_EES6_EEENSQ_IJSG_SG_EEES6_PlJS6_EEE10hipError_tPvRmT3_T4_T5_T6_T7_T9_mT8_P12ihipStream_tbDpT10_ENKUlT_T0_E_clISt17integral_constantIbLb0EES1F_EEDaS1A_S1B_EUlS1A_E_NS1_11comp_targetILNS1_3genE5ELNS1_11target_archE942ELNS1_3gpuE9ELNS1_3repE0EEENS1_30default_config_static_selectorELNS0_4arch9wavefront6targetE0EEEvT1_
	.globl	_ZN7rocprim17ROCPRIM_400000_NS6detail17trampoline_kernelINS0_14default_configENS1_25partition_config_selectorILNS1_17partition_subalgoE5EfNS0_10empty_typeEbEEZZNS1_14partition_implILS5_5ELb0ES3_mN6thrust23THRUST_200600_302600_NS6detail15normal_iteratorINSA_10device_ptrIfEEEEPS6_NSA_18transform_iteratorINSB_9not_fun_tI7is_trueIfEEENSC_INSD_IbEEEENSA_11use_defaultESO_EENS0_5tupleIJNSA_16discard_iteratorISO_EES6_EEENSQ_IJSG_SG_EEES6_PlJS6_EEE10hipError_tPvRmT3_T4_T5_T6_T7_T9_mT8_P12ihipStream_tbDpT10_ENKUlT_T0_E_clISt17integral_constantIbLb0EES1F_EEDaS1A_S1B_EUlS1A_E_NS1_11comp_targetILNS1_3genE5ELNS1_11target_archE942ELNS1_3gpuE9ELNS1_3repE0EEENS1_30default_config_static_selectorELNS0_4arch9wavefront6targetE0EEEvT1_
	.p2align	8
	.type	_ZN7rocprim17ROCPRIM_400000_NS6detail17trampoline_kernelINS0_14default_configENS1_25partition_config_selectorILNS1_17partition_subalgoE5EfNS0_10empty_typeEbEEZZNS1_14partition_implILS5_5ELb0ES3_mN6thrust23THRUST_200600_302600_NS6detail15normal_iteratorINSA_10device_ptrIfEEEEPS6_NSA_18transform_iteratorINSB_9not_fun_tI7is_trueIfEEENSC_INSD_IbEEEENSA_11use_defaultESO_EENS0_5tupleIJNSA_16discard_iteratorISO_EES6_EEENSQ_IJSG_SG_EEES6_PlJS6_EEE10hipError_tPvRmT3_T4_T5_T6_T7_T9_mT8_P12ihipStream_tbDpT10_ENKUlT_T0_E_clISt17integral_constantIbLb0EES1F_EEDaS1A_S1B_EUlS1A_E_NS1_11comp_targetILNS1_3genE5ELNS1_11target_archE942ELNS1_3gpuE9ELNS1_3repE0EEENS1_30default_config_static_selectorELNS0_4arch9wavefront6targetE0EEEvT1_,@function
_ZN7rocprim17ROCPRIM_400000_NS6detail17trampoline_kernelINS0_14default_configENS1_25partition_config_selectorILNS1_17partition_subalgoE5EfNS0_10empty_typeEbEEZZNS1_14partition_implILS5_5ELb0ES3_mN6thrust23THRUST_200600_302600_NS6detail15normal_iteratorINSA_10device_ptrIfEEEEPS6_NSA_18transform_iteratorINSB_9not_fun_tI7is_trueIfEEENSC_INSD_IbEEEENSA_11use_defaultESO_EENS0_5tupleIJNSA_16discard_iteratorISO_EES6_EEENSQ_IJSG_SG_EEES6_PlJS6_EEE10hipError_tPvRmT3_T4_T5_T6_T7_T9_mT8_P12ihipStream_tbDpT10_ENKUlT_T0_E_clISt17integral_constantIbLb0EES1F_EEDaS1A_S1B_EUlS1A_E_NS1_11comp_targetILNS1_3genE5ELNS1_11target_archE942ELNS1_3gpuE9ELNS1_3repE0EEENS1_30default_config_static_selectorELNS0_4arch9wavefront6targetE0EEEvT1_: ; @_ZN7rocprim17ROCPRIM_400000_NS6detail17trampoline_kernelINS0_14default_configENS1_25partition_config_selectorILNS1_17partition_subalgoE5EfNS0_10empty_typeEbEEZZNS1_14partition_implILS5_5ELb0ES3_mN6thrust23THRUST_200600_302600_NS6detail15normal_iteratorINSA_10device_ptrIfEEEEPS6_NSA_18transform_iteratorINSB_9not_fun_tI7is_trueIfEEENSC_INSD_IbEEEENSA_11use_defaultESO_EENS0_5tupleIJNSA_16discard_iteratorISO_EES6_EEENSQ_IJSG_SG_EEES6_PlJS6_EEE10hipError_tPvRmT3_T4_T5_T6_T7_T9_mT8_P12ihipStream_tbDpT10_ENKUlT_T0_E_clISt17integral_constantIbLb0EES1F_EEDaS1A_S1B_EUlS1A_E_NS1_11comp_targetILNS1_3genE5ELNS1_11target_archE942ELNS1_3gpuE9ELNS1_3repE0EEENS1_30default_config_static_selectorELNS0_4arch9wavefront6targetE0EEEvT1_
; %bb.0:
	.section	.rodata,"a",@progbits
	.p2align	6, 0x0
	.amdhsa_kernel _ZN7rocprim17ROCPRIM_400000_NS6detail17trampoline_kernelINS0_14default_configENS1_25partition_config_selectorILNS1_17partition_subalgoE5EfNS0_10empty_typeEbEEZZNS1_14partition_implILS5_5ELb0ES3_mN6thrust23THRUST_200600_302600_NS6detail15normal_iteratorINSA_10device_ptrIfEEEEPS6_NSA_18transform_iteratorINSB_9not_fun_tI7is_trueIfEEENSC_INSD_IbEEEENSA_11use_defaultESO_EENS0_5tupleIJNSA_16discard_iteratorISO_EES6_EEENSQ_IJSG_SG_EEES6_PlJS6_EEE10hipError_tPvRmT3_T4_T5_T6_T7_T9_mT8_P12ihipStream_tbDpT10_ENKUlT_T0_E_clISt17integral_constantIbLb0EES1F_EEDaS1A_S1B_EUlS1A_E_NS1_11comp_targetILNS1_3genE5ELNS1_11target_archE942ELNS1_3gpuE9ELNS1_3repE0EEENS1_30default_config_static_selectorELNS0_4arch9wavefront6targetE0EEEvT1_
		.amdhsa_group_segment_fixed_size 0
		.amdhsa_private_segment_fixed_size 0
		.amdhsa_kernarg_size 128
		.amdhsa_user_sgpr_count 2
		.amdhsa_user_sgpr_dispatch_ptr 0
		.amdhsa_user_sgpr_queue_ptr 0
		.amdhsa_user_sgpr_kernarg_segment_ptr 1
		.amdhsa_user_sgpr_dispatch_id 0
		.amdhsa_user_sgpr_private_segment_size 0
		.amdhsa_wavefront_size32 1
		.amdhsa_uses_dynamic_stack 0
		.amdhsa_enable_private_segment 0
		.amdhsa_system_sgpr_workgroup_id_x 1
		.amdhsa_system_sgpr_workgroup_id_y 0
		.amdhsa_system_sgpr_workgroup_id_z 0
		.amdhsa_system_sgpr_workgroup_info 0
		.amdhsa_system_vgpr_workitem_id 0
		.amdhsa_next_free_vgpr 1
		.amdhsa_next_free_sgpr 1
		.amdhsa_reserve_vcc 0
		.amdhsa_float_round_mode_32 0
		.amdhsa_float_round_mode_16_64 0
		.amdhsa_float_denorm_mode_32 3
		.amdhsa_float_denorm_mode_16_64 3
		.amdhsa_fp16_overflow 0
		.amdhsa_workgroup_processor_mode 1
		.amdhsa_memory_ordered 1
		.amdhsa_forward_progress 1
		.amdhsa_inst_pref_size 0
		.amdhsa_round_robin_scheduling 0
		.amdhsa_exception_fp_ieee_invalid_op 0
		.amdhsa_exception_fp_denorm_src 0
		.amdhsa_exception_fp_ieee_div_zero 0
		.amdhsa_exception_fp_ieee_overflow 0
		.amdhsa_exception_fp_ieee_underflow 0
		.amdhsa_exception_fp_ieee_inexact 0
		.amdhsa_exception_int_div_zero 0
	.end_amdhsa_kernel
	.section	.text._ZN7rocprim17ROCPRIM_400000_NS6detail17trampoline_kernelINS0_14default_configENS1_25partition_config_selectorILNS1_17partition_subalgoE5EfNS0_10empty_typeEbEEZZNS1_14partition_implILS5_5ELb0ES3_mN6thrust23THRUST_200600_302600_NS6detail15normal_iteratorINSA_10device_ptrIfEEEEPS6_NSA_18transform_iteratorINSB_9not_fun_tI7is_trueIfEEENSC_INSD_IbEEEENSA_11use_defaultESO_EENS0_5tupleIJNSA_16discard_iteratorISO_EES6_EEENSQ_IJSG_SG_EEES6_PlJS6_EEE10hipError_tPvRmT3_T4_T5_T6_T7_T9_mT8_P12ihipStream_tbDpT10_ENKUlT_T0_E_clISt17integral_constantIbLb0EES1F_EEDaS1A_S1B_EUlS1A_E_NS1_11comp_targetILNS1_3genE5ELNS1_11target_archE942ELNS1_3gpuE9ELNS1_3repE0EEENS1_30default_config_static_selectorELNS0_4arch9wavefront6targetE0EEEvT1_,"axG",@progbits,_ZN7rocprim17ROCPRIM_400000_NS6detail17trampoline_kernelINS0_14default_configENS1_25partition_config_selectorILNS1_17partition_subalgoE5EfNS0_10empty_typeEbEEZZNS1_14partition_implILS5_5ELb0ES3_mN6thrust23THRUST_200600_302600_NS6detail15normal_iteratorINSA_10device_ptrIfEEEEPS6_NSA_18transform_iteratorINSB_9not_fun_tI7is_trueIfEEENSC_INSD_IbEEEENSA_11use_defaultESO_EENS0_5tupleIJNSA_16discard_iteratorISO_EES6_EEENSQ_IJSG_SG_EEES6_PlJS6_EEE10hipError_tPvRmT3_T4_T5_T6_T7_T9_mT8_P12ihipStream_tbDpT10_ENKUlT_T0_E_clISt17integral_constantIbLb0EES1F_EEDaS1A_S1B_EUlS1A_E_NS1_11comp_targetILNS1_3genE5ELNS1_11target_archE942ELNS1_3gpuE9ELNS1_3repE0EEENS1_30default_config_static_selectorELNS0_4arch9wavefront6targetE0EEEvT1_,comdat
.Lfunc_end2622:
	.size	_ZN7rocprim17ROCPRIM_400000_NS6detail17trampoline_kernelINS0_14default_configENS1_25partition_config_selectorILNS1_17partition_subalgoE5EfNS0_10empty_typeEbEEZZNS1_14partition_implILS5_5ELb0ES3_mN6thrust23THRUST_200600_302600_NS6detail15normal_iteratorINSA_10device_ptrIfEEEEPS6_NSA_18transform_iteratorINSB_9not_fun_tI7is_trueIfEEENSC_INSD_IbEEEENSA_11use_defaultESO_EENS0_5tupleIJNSA_16discard_iteratorISO_EES6_EEENSQ_IJSG_SG_EEES6_PlJS6_EEE10hipError_tPvRmT3_T4_T5_T6_T7_T9_mT8_P12ihipStream_tbDpT10_ENKUlT_T0_E_clISt17integral_constantIbLb0EES1F_EEDaS1A_S1B_EUlS1A_E_NS1_11comp_targetILNS1_3genE5ELNS1_11target_archE942ELNS1_3gpuE9ELNS1_3repE0EEENS1_30default_config_static_selectorELNS0_4arch9wavefront6targetE0EEEvT1_, .Lfunc_end2622-_ZN7rocprim17ROCPRIM_400000_NS6detail17trampoline_kernelINS0_14default_configENS1_25partition_config_selectorILNS1_17partition_subalgoE5EfNS0_10empty_typeEbEEZZNS1_14partition_implILS5_5ELb0ES3_mN6thrust23THRUST_200600_302600_NS6detail15normal_iteratorINSA_10device_ptrIfEEEEPS6_NSA_18transform_iteratorINSB_9not_fun_tI7is_trueIfEEENSC_INSD_IbEEEENSA_11use_defaultESO_EENS0_5tupleIJNSA_16discard_iteratorISO_EES6_EEENSQ_IJSG_SG_EEES6_PlJS6_EEE10hipError_tPvRmT3_T4_T5_T6_T7_T9_mT8_P12ihipStream_tbDpT10_ENKUlT_T0_E_clISt17integral_constantIbLb0EES1F_EEDaS1A_S1B_EUlS1A_E_NS1_11comp_targetILNS1_3genE5ELNS1_11target_archE942ELNS1_3gpuE9ELNS1_3repE0EEENS1_30default_config_static_selectorELNS0_4arch9wavefront6targetE0EEEvT1_
                                        ; -- End function
	.set _ZN7rocprim17ROCPRIM_400000_NS6detail17trampoline_kernelINS0_14default_configENS1_25partition_config_selectorILNS1_17partition_subalgoE5EfNS0_10empty_typeEbEEZZNS1_14partition_implILS5_5ELb0ES3_mN6thrust23THRUST_200600_302600_NS6detail15normal_iteratorINSA_10device_ptrIfEEEEPS6_NSA_18transform_iteratorINSB_9not_fun_tI7is_trueIfEEENSC_INSD_IbEEEENSA_11use_defaultESO_EENS0_5tupleIJNSA_16discard_iteratorISO_EES6_EEENSQ_IJSG_SG_EEES6_PlJS6_EEE10hipError_tPvRmT3_T4_T5_T6_T7_T9_mT8_P12ihipStream_tbDpT10_ENKUlT_T0_E_clISt17integral_constantIbLb0EES1F_EEDaS1A_S1B_EUlS1A_E_NS1_11comp_targetILNS1_3genE5ELNS1_11target_archE942ELNS1_3gpuE9ELNS1_3repE0EEENS1_30default_config_static_selectorELNS0_4arch9wavefront6targetE0EEEvT1_.num_vgpr, 0
	.set _ZN7rocprim17ROCPRIM_400000_NS6detail17trampoline_kernelINS0_14default_configENS1_25partition_config_selectorILNS1_17partition_subalgoE5EfNS0_10empty_typeEbEEZZNS1_14partition_implILS5_5ELb0ES3_mN6thrust23THRUST_200600_302600_NS6detail15normal_iteratorINSA_10device_ptrIfEEEEPS6_NSA_18transform_iteratorINSB_9not_fun_tI7is_trueIfEEENSC_INSD_IbEEEENSA_11use_defaultESO_EENS0_5tupleIJNSA_16discard_iteratorISO_EES6_EEENSQ_IJSG_SG_EEES6_PlJS6_EEE10hipError_tPvRmT3_T4_T5_T6_T7_T9_mT8_P12ihipStream_tbDpT10_ENKUlT_T0_E_clISt17integral_constantIbLb0EES1F_EEDaS1A_S1B_EUlS1A_E_NS1_11comp_targetILNS1_3genE5ELNS1_11target_archE942ELNS1_3gpuE9ELNS1_3repE0EEENS1_30default_config_static_selectorELNS0_4arch9wavefront6targetE0EEEvT1_.num_agpr, 0
	.set _ZN7rocprim17ROCPRIM_400000_NS6detail17trampoline_kernelINS0_14default_configENS1_25partition_config_selectorILNS1_17partition_subalgoE5EfNS0_10empty_typeEbEEZZNS1_14partition_implILS5_5ELb0ES3_mN6thrust23THRUST_200600_302600_NS6detail15normal_iteratorINSA_10device_ptrIfEEEEPS6_NSA_18transform_iteratorINSB_9not_fun_tI7is_trueIfEEENSC_INSD_IbEEEENSA_11use_defaultESO_EENS0_5tupleIJNSA_16discard_iteratorISO_EES6_EEENSQ_IJSG_SG_EEES6_PlJS6_EEE10hipError_tPvRmT3_T4_T5_T6_T7_T9_mT8_P12ihipStream_tbDpT10_ENKUlT_T0_E_clISt17integral_constantIbLb0EES1F_EEDaS1A_S1B_EUlS1A_E_NS1_11comp_targetILNS1_3genE5ELNS1_11target_archE942ELNS1_3gpuE9ELNS1_3repE0EEENS1_30default_config_static_selectorELNS0_4arch9wavefront6targetE0EEEvT1_.numbered_sgpr, 0
	.set _ZN7rocprim17ROCPRIM_400000_NS6detail17trampoline_kernelINS0_14default_configENS1_25partition_config_selectorILNS1_17partition_subalgoE5EfNS0_10empty_typeEbEEZZNS1_14partition_implILS5_5ELb0ES3_mN6thrust23THRUST_200600_302600_NS6detail15normal_iteratorINSA_10device_ptrIfEEEEPS6_NSA_18transform_iteratorINSB_9not_fun_tI7is_trueIfEEENSC_INSD_IbEEEENSA_11use_defaultESO_EENS0_5tupleIJNSA_16discard_iteratorISO_EES6_EEENSQ_IJSG_SG_EEES6_PlJS6_EEE10hipError_tPvRmT3_T4_T5_T6_T7_T9_mT8_P12ihipStream_tbDpT10_ENKUlT_T0_E_clISt17integral_constantIbLb0EES1F_EEDaS1A_S1B_EUlS1A_E_NS1_11comp_targetILNS1_3genE5ELNS1_11target_archE942ELNS1_3gpuE9ELNS1_3repE0EEENS1_30default_config_static_selectorELNS0_4arch9wavefront6targetE0EEEvT1_.num_named_barrier, 0
	.set _ZN7rocprim17ROCPRIM_400000_NS6detail17trampoline_kernelINS0_14default_configENS1_25partition_config_selectorILNS1_17partition_subalgoE5EfNS0_10empty_typeEbEEZZNS1_14partition_implILS5_5ELb0ES3_mN6thrust23THRUST_200600_302600_NS6detail15normal_iteratorINSA_10device_ptrIfEEEEPS6_NSA_18transform_iteratorINSB_9not_fun_tI7is_trueIfEEENSC_INSD_IbEEEENSA_11use_defaultESO_EENS0_5tupleIJNSA_16discard_iteratorISO_EES6_EEENSQ_IJSG_SG_EEES6_PlJS6_EEE10hipError_tPvRmT3_T4_T5_T6_T7_T9_mT8_P12ihipStream_tbDpT10_ENKUlT_T0_E_clISt17integral_constantIbLb0EES1F_EEDaS1A_S1B_EUlS1A_E_NS1_11comp_targetILNS1_3genE5ELNS1_11target_archE942ELNS1_3gpuE9ELNS1_3repE0EEENS1_30default_config_static_selectorELNS0_4arch9wavefront6targetE0EEEvT1_.private_seg_size, 0
	.set _ZN7rocprim17ROCPRIM_400000_NS6detail17trampoline_kernelINS0_14default_configENS1_25partition_config_selectorILNS1_17partition_subalgoE5EfNS0_10empty_typeEbEEZZNS1_14partition_implILS5_5ELb0ES3_mN6thrust23THRUST_200600_302600_NS6detail15normal_iteratorINSA_10device_ptrIfEEEEPS6_NSA_18transform_iteratorINSB_9not_fun_tI7is_trueIfEEENSC_INSD_IbEEEENSA_11use_defaultESO_EENS0_5tupleIJNSA_16discard_iteratorISO_EES6_EEENSQ_IJSG_SG_EEES6_PlJS6_EEE10hipError_tPvRmT3_T4_T5_T6_T7_T9_mT8_P12ihipStream_tbDpT10_ENKUlT_T0_E_clISt17integral_constantIbLb0EES1F_EEDaS1A_S1B_EUlS1A_E_NS1_11comp_targetILNS1_3genE5ELNS1_11target_archE942ELNS1_3gpuE9ELNS1_3repE0EEENS1_30default_config_static_selectorELNS0_4arch9wavefront6targetE0EEEvT1_.uses_vcc, 0
	.set _ZN7rocprim17ROCPRIM_400000_NS6detail17trampoline_kernelINS0_14default_configENS1_25partition_config_selectorILNS1_17partition_subalgoE5EfNS0_10empty_typeEbEEZZNS1_14partition_implILS5_5ELb0ES3_mN6thrust23THRUST_200600_302600_NS6detail15normal_iteratorINSA_10device_ptrIfEEEEPS6_NSA_18transform_iteratorINSB_9not_fun_tI7is_trueIfEEENSC_INSD_IbEEEENSA_11use_defaultESO_EENS0_5tupleIJNSA_16discard_iteratorISO_EES6_EEENSQ_IJSG_SG_EEES6_PlJS6_EEE10hipError_tPvRmT3_T4_T5_T6_T7_T9_mT8_P12ihipStream_tbDpT10_ENKUlT_T0_E_clISt17integral_constantIbLb0EES1F_EEDaS1A_S1B_EUlS1A_E_NS1_11comp_targetILNS1_3genE5ELNS1_11target_archE942ELNS1_3gpuE9ELNS1_3repE0EEENS1_30default_config_static_selectorELNS0_4arch9wavefront6targetE0EEEvT1_.uses_flat_scratch, 0
	.set _ZN7rocprim17ROCPRIM_400000_NS6detail17trampoline_kernelINS0_14default_configENS1_25partition_config_selectorILNS1_17partition_subalgoE5EfNS0_10empty_typeEbEEZZNS1_14partition_implILS5_5ELb0ES3_mN6thrust23THRUST_200600_302600_NS6detail15normal_iteratorINSA_10device_ptrIfEEEEPS6_NSA_18transform_iteratorINSB_9not_fun_tI7is_trueIfEEENSC_INSD_IbEEEENSA_11use_defaultESO_EENS0_5tupleIJNSA_16discard_iteratorISO_EES6_EEENSQ_IJSG_SG_EEES6_PlJS6_EEE10hipError_tPvRmT3_T4_T5_T6_T7_T9_mT8_P12ihipStream_tbDpT10_ENKUlT_T0_E_clISt17integral_constantIbLb0EES1F_EEDaS1A_S1B_EUlS1A_E_NS1_11comp_targetILNS1_3genE5ELNS1_11target_archE942ELNS1_3gpuE9ELNS1_3repE0EEENS1_30default_config_static_selectorELNS0_4arch9wavefront6targetE0EEEvT1_.has_dyn_sized_stack, 0
	.set _ZN7rocprim17ROCPRIM_400000_NS6detail17trampoline_kernelINS0_14default_configENS1_25partition_config_selectorILNS1_17partition_subalgoE5EfNS0_10empty_typeEbEEZZNS1_14partition_implILS5_5ELb0ES3_mN6thrust23THRUST_200600_302600_NS6detail15normal_iteratorINSA_10device_ptrIfEEEEPS6_NSA_18transform_iteratorINSB_9not_fun_tI7is_trueIfEEENSC_INSD_IbEEEENSA_11use_defaultESO_EENS0_5tupleIJNSA_16discard_iteratorISO_EES6_EEENSQ_IJSG_SG_EEES6_PlJS6_EEE10hipError_tPvRmT3_T4_T5_T6_T7_T9_mT8_P12ihipStream_tbDpT10_ENKUlT_T0_E_clISt17integral_constantIbLb0EES1F_EEDaS1A_S1B_EUlS1A_E_NS1_11comp_targetILNS1_3genE5ELNS1_11target_archE942ELNS1_3gpuE9ELNS1_3repE0EEENS1_30default_config_static_selectorELNS0_4arch9wavefront6targetE0EEEvT1_.has_recursion, 0
	.set _ZN7rocprim17ROCPRIM_400000_NS6detail17trampoline_kernelINS0_14default_configENS1_25partition_config_selectorILNS1_17partition_subalgoE5EfNS0_10empty_typeEbEEZZNS1_14partition_implILS5_5ELb0ES3_mN6thrust23THRUST_200600_302600_NS6detail15normal_iteratorINSA_10device_ptrIfEEEEPS6_NSA_18transform_iteratorINSB_9not_fun_tI7is_trueIfEEENSC_INSD_IbEEEENSA_11use_defaultESO_EENS0_5tupleIJNSA_16discard_iteratorISO_EES6_EEENSQ_IJSG_SG_EEES6_PlJS6_EEE10hipError_tPvRmT3_T4_T5_T6_T7_T9_mT8_P12ihipStream_tbDpT10_ENKUlT_T0_E_clISt17integral_constantIbLb0EES1F_EEDaS1A_S1B_EUlS1A_E_NS1_11comp_targetILNS1_3genE5ELNS1_11target_archE942ELNS1_3gpuE9ELNS1_3repE0EEENS1_30default_config_static_selectorELNS0_4arch9wavefront6targetE0EEEvT1_.has_indirect_call, 0
	.section	.AMDGPU.csdata,"",@progbits
; Kernel info:
; codeLenInByte = 0
; TotalNumSgprs: 0
; NumVgprs: 0
; ScratchSize: 0
; MemoryBound: 0
; FloatMode: 240
; IeeeMode: 1
; LDSByteSize: 0 bytes/workgroup (compile time only)
; SGPRBlocks: 0
; VGPRBlocks: 0
; NumSGPRsForWavesPerEU: 1
; NumVGPRsForWavesPerEU: 1
; Occupancy: 16
; WaveLimiterHint : 0
; COMPUTE_PGM_RSRC2:SCRATCH_EN: 0
; COMPUTE_PGM_RSRC2:USER_SGPR: 2
; COMPUTE_PGM_RSRC2:TRAP_HANDLER: 0
; COMPUTE_PGM_RSRC2:TGID_X_EN: 1
; COMPUTE_PGM_RSRC2:TGID_Y_EN: 0
; COMPUTE_PGM_RSRC2:TGID_Z_EN: 0
; COMPUTE_PGM_RSRC2:TIDIG_COMP_CNT: 0
	.section	.text._ZN7rocprim17ROCPRIM_400000_NS6detail17trampoline_kernelINS0_14default_configENS1_25partition_config_selectorILNS1_17partition_subalgoE5EfNS0_10empty_typeEbEEZZNS1_14partition_implILS5_5ELb0ES3_mN6thrust23THRUST_200600_302600_NS6detail15normal_iteratorINSA_10device_ptrIfEEEEPS6_NSA_18transform_iteratorINSB_9not_fun_tI7is_trueIfEEENSC_INSD_IbEEEENSA_11use_defaultESO_EENS0_5tupleIJNSA_16discard_iteratorISO_EES6_EEENSQ_IJSG_SG_EEES6_PlJS6_EEE10hipError_tPvRmT3_T4_T5_T6_T7_T9_mT8_P12ihipStream_tbDpT10_ENKUlT_T0_E_clISt17integral_constantIbLb0EES1F_EEDaS1A_S1B_EUlS1A_E_NS1_11comp_targetILNS1_3genE4ELNS1_11target_archE910ELNS1_3gpuE8ELNS1_3repE0EEENS1_30default_config_static_selectorELNS0_4arch9wavefront6targetE0EEEvT1_,"axG",@progbits,_ZN7rocprim17ROCPRIM_400000_NS6detail17trampoline_kernelINS0_14default_configENS1_25partition_config_selectorILNS1_17partition_subalgoE5EfNS0_10empty_typeEbEEZZNS1_14partition_implILS5_5ELb0ES3_mN6thrust23THRUST_200600_302600_NS6detail15normal_iteratorINSA_10device_ptrIfEEEEPS6_NSA_18transform_iteratorINSB_9not_fun_tI7is_trueIfEEENSC_INSD_IbEEEENSA_11use_defaultESO_EENS0_5tupleIJNSA_16discard_iteratorISO_EES6_EEENSQ_IJSG_SG_EEES6_PlJS6_EEE10hipError_tPvRmT3_T4_T5_T6_T7_T9_mT8_P12ihipStream_tbDpT10_ENKUlT_T0_E_clISt17integral_constantIbLb0EES1F_EEDaS1A_S1B_EUlS1A_E_NS1_11comp_targetILNS1_3genE4ELNS1_11target_archE910ELNS1_3gpuE8ELNS1_3repE0EEENS1_30default_config_static_selectorELNS0_4arch9wavefront6targetE0EEEvT1_,comdat
	.protected	_ZN7rocprim17ROCPRIM_400000_NS6detail17trampoline_kernelINS0_14default_configENS1_25partition_config_selectorILNS1_17partition_subalgoE5EfNS0_10empty_typeEbEEZZNS1_14partition_implILS5_5ELb0ES3_mN6thrust23THRUST_200600_302600_NS6detail15normal_iteratorINSA_10device_ptrIfEEEEPS6_NSA_18transform_iteratorINSB_9not_fun_tI7is_trueIfEEENSC_INSD_IbEEEENSA_11use_defaultESO_EENS0_5tupleIJNSA_16discard_iteratorISO_EES6_EEENSQ_IJSG_SG_EEES6_PlJS6_EEE10hipError_tPvRmT3_T4_T5_T6_T7_T9_mT8_P12ihipStream_tbDpT10_ENKUlT_T0_E_clISt17integral_constantIbLb0EES1F_EEDaS1A_S1B_EUlS1A_E_NS1_11comp_targetILNS1_3genE4ELNS1_11target_archE910ELNS1_3gpuE8ELNS1_3repE0EEENS1_30default_config_static_selectorELNS0_4arch9wavefront6targetE0EEEvT1_ ; -- Begin function _ZN7rocprim17ROCPRIM_400000_NS6detail17trampoline_kernelINS0_14default_configENS1_25partition_config_selectorILNS1_17partition_subalgoE5EfNS0_10empty_typeEbEEZZNS1_14partition_implILS5_5ELb0ES3_mN6thrust23THRUST_200600_302600_NS6detail15normal_iteratorINSA_10device_ptrIfEEEEPS6_NSA_18transform_iteratorINSB_9not_fun_tI7is_trueIfEEENSC_INSD_IbEEEENSA_11use_defaultESO_EENS0_5tupleIJNSA_16discard_iteratorISO_EES6_EEENSQ_IJSG_SG_EEES6_PlJS6_EEE10hipError_tPvRmT3_T4_T5_T6_T7_T9_mT8_P12ihipStream_tbDpT10_ENKUlT_T0_E_clISt17integral_constantIbLb0EES1F_EEDaS1A_S1B_EUlS1A_E_NS1_11comp_targetILNS1_3genE4ELNS1_11target_archE910ELNS1_3gpuE8ELNS1_3repE0EEENS1_30default_config_static_selectorELNS0_4arch9wavefront6targetE0EEEvT1_
	.globl	_ZN7rocprim17ROCPRIM_400000_NS6detail17trampoline_kernelINS0_14default_configENS1_25partition_config_selectorILNS1_17partition_subalgoE5EfNS0_10empty_typeEbEEZZNS1_14partition_implILS5_5ELb0ES3_mN6thrust23THRUST_200600_302600_NS6detail15normal_iteratorINSA_10device_ptrIfEEEEPS6_NSA_18transform_iteratorINSB_9not_fun_tI7is_trueIfEEENSC_INSD_IbEEEENSA_11use_defaultESO_EENS0_5tupleIJNSA_16discard_iteratorISO_EES6_EEENSQ_IJSG_SG_EEES6_PlJS6_EEE10hipError_tPvRmT3_T4_T5_T6_T7_T9_mT8_P12ihipStream_tbDpT10_ENKUlT_T0_E_clISt17integral_constantIbLb0EES1F_EEDaS1A_S1B_EUlS1A_E_NS1_11comp_targetILNS1_3genE4ELNS1_11target_archE910ELNS1_3gpuE8ELNS1_3repE0EEENS1_30default_config_static_selectorELNS0_4arch9wavefront6targetE0EEEvT1_
	.p2align	8
	.type	_ZN7rocprim17ROCPRIM_400000_NS6detail17trampoline_kernelINS0_14default_configENS1_25partition_config_selectorILNS1_17partition_subalgoE5EfNS0_10empty_typeEbEEZZNS1_14partition_implILS5_5ELb0ES3_mN6thrust23THRUST_200600_302600_NS6detail15normal_iteratorINSA_10device_ptrIfEEEEPS6_NSA_18transform_iteratorINSB_9not_fun_tI7is_trueIfEEENSC_INSD_IbEEEENSA_11use_defaultESO_EENS0_5tupleIJNSA_16discard_iteratorISO_EES6_EEENSQ_IJSG_SG_EEES6_PlJS6_EEE10hipError_tPvRmT3_T4_T5_T6_T7_T9_mT8_P12ihipStream_tbDpT10_ENKUlT_T0_E_clISt17integral_constantIbLb0EES1F_EEDaS1A_S1B_EUlS1A_E_NS1_11comp_targetILNS1_3genE4ELNS1_11target_archE910ELNS1_3gpuE8ELNS1_3repE0EEENS1_30default_config_static_selectorELNS0_4arch9wavefront6targetE0EEEvT1_,@function
_ZN7rocprim17ROCPRIM_400000_NS6detail17trampoline_kernelINS0_14default_configENS1_25partition_config_selectorILNS1_17partition_subalgoE5EfNS0_10empty_typeEbEEZZNS1_14partition_implILS5_5ELb0ES3_mN6thrust23THRUST_200600_302600_NS6detail15normal_iteratorINSA_10device_ptrIfEEEEPS6_NSA_18transform_iteratorINSB_9not_fun_tI7is_trueIfEEENSC_INSD_IbEEEENSA_11use_defaultESO_EENS0_5tupleIJNSA_16discard_iteratorISO_EES6_EEENSQ_IJSG_SG_EEES6_PlJS6_EEE10hipError_tPvRmT3_T4_T5_T6_T7_T9_mT8_P12ihipStream_tbDpT10_ENKUlT_T0_E_clISt17integral_constantIbLb0EES1F_EEDaS1A_S1B_EUlS1A_E_NS1_11comp_targetILNS1_3genE4ELNS1_11target_archE910ELNS1_3gpuE8ELNS1_3repE0EEENS1_30default_config_static_selectorELNS0_4arch9wavefront6targetE0EEEvT1_: ; @_ZN7rocprim17ROCPRIM_400000_NS6detail17trampoline_kernelINS0_14default_configENS1_25partition_config_selectorILNS1_17partition_subalgoE5EfNS0_10empty_typeEbEEZZNS1_14partition_implILS5_5ELb0ES3_mN6thrust23THRUST_200600_302600_NS6detail15normal_iteratorINSA_10device_ptrIfEEEEPS6_NSA_18transform_iteratorINSB_9not_fun_tI7is_trueIfEEENSC_INSD_IbEEEENSA_11use_defaultESO_EENS0_5tupleIJNSA_16discard_iteratorISO_EES6_EEENSQ_IJSG_SG_EEES6_PlJS6_EEE10hipError_tPvRmT3_T4_T5_T6_T7_T9_mT8_P12ihipStream_tbDpT10_ENKUlT_T0_E_clISt17integral_constantIbLb0EES1F_EEDaS1A_S1B_EUlS1A_E_NS1_11comp_targetILNS1_3genE4ELNS1_11target_archE910ELNS1_3gpuE8ELNS1_3repE0EEENS1_30default_config_static_selectorELNS0_4arch9wavefront6targetE0EEEvT1_
; %bb.0:
	.section	.rodata,"a",@progbits
	.p2align	6, 0x0
	.amdhsa_kernel _ZN7rocprim17ROCPRIM_400000_NS6detail17trampoline_kernelINS0_14default_configENS1_25partition_config_selectorILNS1_17partition_subalgoE5EfNS0_10empty_typeEbEEZZNS1_14partition_implILS5_5ELb0ES3_mN6thrust23THRUST_200600_302600_NS6detail15normal_iteratorINSA_10device_ptrIfEEEEPS6_NSA_18transform_iteratorINSB_9not_fun_tI7is_trueIfEEENSC_INSD_IbEEEENSA_11use_defaultESO_EENS0_5tupleIJNSA_16discard_iteratorISO_EES6_EEENSQ_IJSG_SG_EEES6_PlJS6_EEE10hipError_tPvRmT3_T4_T5_T6_T7_T9_mT8_P12ihipStream_tbDpT10_ENKUlT_T0_E_clISt17integral_constantIbLb0EES1F_EEDaS1A_S1B_EUlS1A_E_NS1_11comp_targetILNS1_3genE4ELNS1_11target_archE910ELNS1_3gpuE8ELNS1_3repE0EEENS1_30default_config_static_selectorELNS0_4arch9wavefront6targetE0EEEvT1_
		.amdhsa_group_segment_fixed_size 0
		.amdhsa_private_segment_fixed_size 0
		.amdhsa_kernarg_size 128
		.amdhsa_user_sgpr_count 2
		.amdhsa_user_sgpr_dispatch_ptr 0
		.amdhsa_user_sgpr_queue_ptr 0
		.amdhsa_user_sgpr_kernarg_segment_ptr 1
		.amdhsa_user_sgpr_dispatch_id 0
		.amdhsa_user_sgpr_private_segment_size 0
		.amdhsa_wavefront_size32 1
		.amdhsa_uses_dynamic_stack 0
		.amdhsa_enable_private_segment 0
		.amdhsa_system_sgpr_workgroup_id_x 1
		.amdhsa_system_sgpr_workgroup_id_y 0
		.amdhsa_system_sgpr_workgroup_id_z 0
		.amdhsa_system_sgpr_workgroup_info 0
		.amdhsa_system_vgpr_workitem_id 0
		.amdhsa_next_free_vgpr 1
		.amdhsa_next_free_sgpr 1
		.amdhsa_reserve_vcc 0
		.amdhsa_float_round_mode_32 0
		.amdhsa_float_round_mode_16_64 0
		.amdhsa_float_denorm_mode_32 3
		.amdhsa_float_denorm_mode_16_64 3
		.amdhsa_fp16_overflow 0
		.amdhsa_workgroup_processor_mode 1
		.amdhsa_memory_ordered 1
		.amdhsa_forward_progress 1
		.amdhsa_inst_pref_size 0
		.amdhsa_round_robin_scheduling 0
		.amdhsa_exception_fp_ieee_invalid_op 0
		.amdhsa_exception_fp_denorm_src 0
		.amdhsa_exception_fp_ieee_div_zero 0
		.amdhsa_exception_fp_ieee_overflow 0
		.amdhsa_exception_fp_ieee_underflow 0
		.amdhsa_exception_fp_ieee_inexact 0
		.amdhsa_exception_int_div_zero 0
	.end_amdhsa_kernel
	.section	.text._ZN7rocprim17ROCPRIM_400000_NS6detail17trampoline_kernelINS0_14default_configENS1_25partition_config_selectorILNS1_17partition_subalgoE5EfNS0_10empty_typeEbEEZZNS1_14partition_implILS5_5ELb0ES3_mN6thrust23THRUST_200600_302600_NS6detail15normal_iteratorINSA_10device_ptrIfEEEEPS6_NSA_18transform_iteratorINSB_9not_fun_tI7is_trueIfEEENSC_INSD_IbEEEENSA_11use_defaultESO_EENS0_5tupleIJNSA_16discard_iteratorISO_EES6_EEENSQ_IJSG_SG_EEES6_PlJS6_EEE10hipError_tPvRmT3_T4_T5_T6_T7_T9_mT8_P12ihipStream_tbDpT10_ENKUlT_T0_E_clISt17integral_constantIbLb0EES1F_EEDaS1A_S1B_EUlS1A_E_NS1_11comp_targetILNS1_3genE4ELNS1_11target_archE910ELNS1_3gpuE8ELNS1_3repE0EEENS1_30default_config_static_selectorELNS0_4arch9wavefront6targetE0EEEvT1_,"axG",@progbits,_ZN7rocprim17ROCPRIM_400000_NS6detail17trampoline_kernelINS0_14default_configENS1_25partition_config_selectorILNS1_17partition_subalgoE5EfNS0_10empty_typeEbEEZZNS1_14partition_implILS5_5ELb0ES3_mN6thrust23THRUST_200600_302600_NS6detail15normal_iteratorINSA_10device_ptrIfEEEEPS6_NSA_18transform_iteratorINSB_9not_fun_tI7is_trueIfEEENSC_INSD_IbEEEENSA_11use_defaultESO_EENS0_5tupleIJNSA_16discard_iteratorISO_EES6_EEENSQ_IJSG_SG_EEES6_PlJS6_EEE10hipError_tPvRmT3_T4_T5_T6_T7_T9_mT8_P12ihipStream_tbDpT10_ENKUlT_T0_E_clISt17integral_constantIbLb0EES1F_EEDaS1A_S1B_EUlS1A_E_NS1_11comp_targetILNS1_3genE4ELNS1_11target_archE910ELNS1_3gpuE8ELNS1_3repE0EEENS1_30default_config_static_selectorELNS0_4arch9wavefront6targetE0EEEvT1_,comdat
.Lfunc_end2623:
	.size	_ZN7rocprim17ROCPRIM_400000_NS6detail17trampoline_kernelINS0_14default_configENS1_25partition_config_selectorILNS1_17partition_subalgoE5EfNS0_10empty_typeEbEEZZNS1_14partition_implILS5_5ELb0ES3_mN6thrust23THRUST_200600_302600_NS6detail15normal_iteratorINSA_10device_ptrIfEEEEPS6_NSA_18transform_iteratorINSB_9not_fun_tI7is_trueIfEEENSC_INSD_IbEEEENSA_11use_defaultESO_EENS0_5tupleIJNSA_16discard_iteratorISO_EES6_EEENSQ_IJSG_SG_EEES6_PlJS6_EEE10hipError_tPvRmT3_T4_T5_T6_T7_T9_mT8_P12ihipStream_tbDpT10_ENKUlT_T0_E_clISt17integral_constantIbLb0EES1F_EEDaS1A_S1B_EUlS1A_E_NS1_11comp_targetILNS1_3genE4ELNS1_11target_archE910ELNS1_3gpuE8ELNS1_3repE0EEENS1_30default_config_static_selectorELNS0_4arch9wavefront6targetE0EEEvT1_, .Lfunc_end2623-_ZN7rocprim17ROCPRIM_400000_NS6detail17trampoline_kernelINS0_14default_configENS1_25partition_config_selectorILNS1_17partition_subalgoE5EfNS0_10empty_typeEbEEZZNS1_14partition_implILS5_5ELb0ES3_mN6thrust23THRUST_200600_302600_NS6detail15normal_iteratorINSA_10device_ptrIfEEEEPS6_NSA_18transform_iteratorINSB_9not_fun_tI7is_trueIfEEENSC_INSD_IbEEEENSA_11use_defaultESO_EENS0_5tupleIJNSA_16discard_iteratorISO_EES6_EEENSQ_IJSG_SG_EEES6_PlJS6_EEE10hipError_tPvRmT3_T4_T5_T6_T7_T9_mT8_P12ihipStream_tbDpT10_ENKUlT_T0_E_clISt17integral_constantIbLb0EES1F_EEDaS1A_S1B_EUlS1A_E_NS1_11comp_targetILNS1_3genE4ELNS1_11target_archE910ELNS1_3gpuE8ELNS1_3repE0EEENS1_30default_config_static_selectorELNS0_4arch9wavefront6targetE0EEEvT1_
                                        ; -- End function
	.set _ZN7rocprim17ROCPRIM_400000_NS6detail17trampoline_kernelINS0_14default_configENS1_25partition_config_selectorILNS1_17partition_subalgoE5EfNS0_10empty_typeEbEEZZNS1_14partition_implILS5_5ELb0ES3_mN6thrust23THRUST_200600_302600_NS6detail15normal_iteratorINSA_10device_ptrIfEEEEPS6_NSA_18transform_iteratorINSB_9not_fun_tI7is_trueIfEEENSC_INSD_IbEEEENSA_11use_defaultESO_EENS0_5tupleIJNSA_16discard_iteratorISO_EES6_EEENSQ_IJSG_SG_EEES6_PlJS6_EEE10hipError_tPvRmT3_T4_T5_T6_T7_T9_mT8_P12ihipStream_tbDpT10_ENKUlT_T0_E_clISt17integral_constantIbLb0EES1F_EEDaS1A_S1B_EUlS1A_E_NS1_11comp_targetILNS1_3genE4ELNS1_11target_archE910ELNS1_3gpuE8ELNS1_3repE0EEENS1_30default_config_static_selectorELNS0_4arch9wavefront6targetE0EEEvT1_.num_vgpr, 0
	.set _ZN7rocprim17ROCPRIM_400000_NS6detail17trampoline_kernelINS0_14default_configENS1_25partition_config_selectorILNS1_17partition_subalgoE5EfNS0_10empty_typeEbEEZZNS1_14partition_implILS5_5ELb0ES3_mN6thrust23THRUST_200600_302600_NS6detail15normal_iteratorINSA_10device_ptrIfEEEEPS6_NSA_18transform_iteratorINSB_9not_fun_tI7is_trueIfEEENSC_INSD_IbEEEENSA_11use_defaultESO_EENS0_5tupleIJNSA_16discard_iteratorISO_EES6_EEENSQ_IJSG_SG_EEES6_PlJS6_EEE10hipError_tPvRmT3_T4_T5_T6_T7_T9_mT8_P12ihipStream_tbDpT10_ENKUlT_T0_E_clISt17integral_constantIbLb0EES1F_EEDaS1A_S1B_EUlS1A_E_NS1_11comp_targetILNS1_3genE4ELNS1_11target_archE910ELNS1_3gpuE8ELNS1_3repE0EEENS1_30default_config_static_selectorELNS0_4arch9wavefront6targetE0EEEvT1_.num_agpr, 0
	.set _ZN7rocprim17ROCPRIM_400000_NS6detail17trampoline_kernelINS0_14default_configENS1_25partition_config_selectorILNS1_17partition_subalgoE5EfNS0_10empty_typeEbEEZZNS1_14partition_implILS5_5ELb0ES3_mN6thrust23THRUST_200600_302600_NS6detail15normal_iteratorINSA_10device_ptrIfEEEEPS6_NSA_18transform_iteratorINSB_9not_fun_tI7is_trueIfEEENSC_INSD_IbEEEENSA_11use_defaultESO_EENS0_5tupleIJNSA_16discard_iteratorISO_EES6_EEENSQ_IJSG_SG_EEES6_PlJS6_EEE10hipError_tPvRmT3_T4_T5_T6_T7_T9_mT8_P12ihipStream_tbDpT10_ENKUlT_T0_E_clISt17integral_constantIbLb0EES1F_EEDaS1A_S1B_EUlS1A_E_NS1_11comp_targetILNS1_3genE4ELNS1_11target_archE910ELNS1_3gpuE8ELNS1_3repE0EEENS1_30default_config_static_selectorELNS0_4arch9wavefront6targetE0EEEvT1_.numbered_sgpr, 0
	.set _ZN7rocprim17ROCPRIM_400000_NS6detail17trampoline_kernelINS0_14default_configENS1_25partition_config_selectorILNS1_17partition_subalgoE5EfNS0_10empty_typeEbEEZZNS1_14partition_implILS5_5ELb0ES3_mN6thrust23THRUST_200600_302600_NS6detail15normal_iteratorINSA_10device_ptrIfEEEEPS6_NSA_18transform_iteratorINSB_9not_fun_tI7is_trueIfEEENSC_INSD_IbEEEENSA_11use_defaultESO_EENS0_5tupleIJNSA_16discard_iteratorISO_EES6_EEENSQ_IJSG_SG_EEES6_PlJS6_EEE10hipError_tPvRmT3_T4_T5_T6_T7_T9_mT8_P12ihipStream_tbDpT10_ENKUlT_T0_E_clISt17integral_constantIbLb0EES1F_EEDaS1A_S1B_EUlS1A_E_NS1_11comp_targetILNS1_3genE4ELNS1_11target_archE910ELNS1_3gpuE8ELNS1_3repE0EEENS1_30default_config_static_selectorELNS0_4arch9wavefront6targetE0EEEvT1_.num_named_barrier, 0
	.set _ZN7rocprim17ROCPRIM_400000_NS6detail17trampoline_kernelINS0_14default_configENS1_25partition_config_selectorILNS1_17partition_subalgoE5EfNS0_10empty_typeEbEEZZNS1_14partition_implILS5_5ELb0ES3_mN6thrust23THRUST_200600_302600_NS6detail15normal_iteratorINSA_10device_ptrIfEEEEPS6_NSA_18transform_iteratorINSB_9not_fun_tI7is_trueIfEEENSC_INSD_IbEEEENSA_11use_defaultESO_EENS0_5tupleIJNSA_16discard_iteratorISO_EES6_EEENSQ_IJSG_SG_EEES6_PlJS6_EEE10hipError_tPvRmT3_T4_T5_T6_T7_T9_mT8_P12ihipStream_tbDpT10_ENKUlT_T0_E_clISt17integral_constantIbLb0EES1F_EEDaS1A_S1B_EUlS1A_E_NS1_11comp_targetILNS1_3genE4ELNS1_11target_archE910ELNS1_3gpuE8ELNS1_3repE0EEENS1_30default_config_static_selectorELNS0_4arch9wavefront6targetE0EEEvT1_.private_seg_size, 0
	.set _ZN7rocprim17ROCPRIM_400000_NS6detail17trampoline_kernelINS0_14default_configENS1_25partition_config_selectorILNS1_17partition_subalgoE5EfNS0_10empty_typeEbEEZZNS1_14partition_implILS5_5ELb0ES3_mN6thrust23THRUST_200600_302600_NS6detail15normal_iteratorINSA_10device_ptrIfEEEEPS6_NSA_18transform_iteratorINSB_9not_fun_tI7is_trueIfEEENSC_INSD_IbEEEENSA_11use_defaultESO_EENS0_5tupleIJNSA_16discard_iteratorISO_EES6_EEENSQ_IJSG_SG_EEES6_PlJS6_EEE10hipError_tPvRmT3_T4_T5_T6_T7_T9_mT8_P12ihipStream_tbDpT10_ENKUlT_T0_E_clISt17integral_constantIbLb0EES1F_EEDaS1A_S1B_EUlS1A_E_NS1_11comp_targetILNS1_3genE4ELNS1_11target_archE910ELNS1_3gpuE8ELNS1_3repE0EEENS1_30default_config_static_selectorELNS0_4arch9wavefront6targetE0EEEvT1_.uses_vcc, 0
	.set _ZN7rocprim17ROCPRIM_400000_NS6detail17trampoline_kernelINS0_14default_configENS1_25partition_config_selectorILNS1_17partition_subalgoE5EfNS0_10empty_typeEbEEZZNS1_14partition_implILS5_5ELb0ES3_mN6thrust23THRUST_200600_302600_NS6detail15normal_iteratorINSA_10device_ptrIfEEEEPS6_NSA_18transform_iteratorINSB_9not_fun_tI7is_trueIfEEENSC_INSD_IbEEEENSA_11use_defaultESO_EENS0_5tupleIJNSA_16discard_iteratorISO_EES6_EEENSQ_IJSG_SG_EEES6_PlJS6_EEE10hipError_tPvRmT3_T4_T5_T6_T7_T9_mT8_P12ihipStream_tbDpT10_ENKUlT_T0_E_clISt17integral_constantIbLb0EES1F_EEDaS1A_S1B_EUlS1A_E_NS1_11comp_targetILNS1_3genE4ELNS1_11target_archE910ELNS1_3gpuE8ELNS1_3repE0EEENS1_30default_config_static_selectorELNS0_4arch9wavefront6targetE0EEEvT1_.uses_flat_scratch, 0
	.set _ZN7rocprim17ROCPRIM_400000_NS6detail17trampoline_kernelINS0_14default_configENS1_25partition_config_selectorILNS1_17partition_subalgoE5EfNS0_10empty_typeEbEEZZNS1_14partition_implILS5_5ELb0ES3_mN6thrust23THRUST_200600_302600_NS6detail15normal_iteratorINSA_10device_ptrIfEEEEPS6_NSA_18transform_iteratorINSB_9not_fun_tI7is_trueIfEEENSC_INSD_IbEEEENSA_11use_defaultESO_EENS0_5tupleIJNSA_16discard_iteratorISO_EES6_EEENSQ_IJSG_SG_EEES6_PlJS6_EEE10hipError_tPvRmT3_T4_T5_T6_T7_T9_mT8_P12ihipStream_tbDpT10_ENKUlT_T0_E_clISt17integral_constantIbLb0EES1F_EEDaS1A_S1B_EUlS1A_E_NS1_11comp_targetILNS1_3genE4ELNS1_11target_archE910ELNS1_3gpuE8ELNS1_3repE0EEENS1_30default_config_static_selectorELNS0_4arch9wavefront6targetE0EEEvT1_.has_dyn_sized_stack, 0
	.set _ZN7rocprim17ROCPRIM_400000_NS6detail17trampoline_kernelINS0_14default_configENS1_25partition_config_selectorILNS1_17partition_subalgoE5EfNS0_10empty_typeEbEEZZNS1_14partition_implILS5_5ELb0ES3_mN6thrust23THRUST_200600_302600_NS6detail15normal_iteratorINSA_10device_ptrIfEEEEPS6_NSA_18transform_iteratorINSB_9not_fun_tI7is_trueIfEEENSC_INSD_IbEEEENSA_11use_defaultESO_EENS0_5tupleIJNSA_16discard_iteratorISO_EES6_EEENSQ_IJSG_SG_EEES6_PlJS6_EEE10hipError_tPvRmT3_T4_T5_T6_T7_T9_mT8_P12ihipStream_tbDpT10_ENKUlT_T0_E_clISt17integral_constantIbLb0EES1F_EEDaS1A_S1B_EUlS1A_E_NS1_11comp_targetILNS1_3genE4ELNS1_11target_archE910ELNS1_3gpuE8ELNS1_3repE0EEENS1_30default_config_static_selectorELNS0_4arch9wavefront6targetE0EEEvT1_.has_recursion, 0
	.set _ZN7rocprim17ROCPRIM_400000_NS6detail17trampoline_kernelINS0_14default_configENS1_25partition_config_selectorILNS1_17partition_subalgoE5EfNS0_10empty_typeEbEEZZNS1_14partition_implILS5_5ELb0ES3_mN6thrust23THRUST_200600_302600_NS6detail15normal_iteratorINSA_10device_ptrIfEEEEPS6_NSA_18transform_iteratorINSB_9not_fun_tI7is_trueIfEEENSC_INSD_IbEEEENSA_11use_defaultESO_EENS0_5tupleIJNSA_16discard_iteratorISO_EES6_EEENSQ_IJSG_SG_EEES6_PlJS6_EEE10hipError_tPvRmT3_T4_T5_T6_T7_T9_mT8_P12ihipStream_tbDpT10_ENKUlT_T0_E_clISt17integral_constantIbLb0EES1F_EEDaS1A_S1B_EUlS1A_E_NS1_11comp_targetILNS1_3genE4ELNS1_11target_archE910ELNS1_3gpuE8ELNS1_3repE0EEENS1_30default_config_static_selectorELNS0_4arch9wavefront6targetE0EEEvT1_.has_indirect_call, 0
	.section	.AMDGPU.csdata,"",@progbits
; Kernel info:
; codeLenInByte = 0
; TotalNumSgprs: 0
; NumVgprs: 0
; ScratchSize: 0
; MemoryBound: 0
; FloatMode: 240
; IeeeMode: 1
; LDSByteSize: 0 bytes/workgroup (compile time only)
; SGPRBlocks: 0
; VGPRBlocks: 0
; NumSGPRsForWavesPerEU: 1
; NumVGPRsForWavesPerEU: 1
; Occupancy: 16
; WaveLimiterHint : 0
; COMPUTE_PGM_RSRC2:SCRATCH_EN: 0
; COMPUTE_PGM_RSRC2:USER_SGPR: 2
; COMPUTE_PGM_RSRC2:TRAP_HANDLER: 0
; COMPUTE_PGM_RSRC2:TGID_X_EN: 1
; COMPUTE_PGM_RSRC2:TGID_Y_EN: 0
; COMPUTE_PGM_RSRC2:TGID_Z_EN: 0
; COMPUTE_PGM_RSRC2:TIDIG_COMP_CNT: 0
	.section	.text._ZN7rocprim17ROCPRIM_400000_NS6detail17trampoline_kernelINS0_14default_configENS1_25partition_config_selectorILNS1_17partition_subalgoE5EfNS0_10empty_typeEbEEZZNS1_14partition_implILS5_5ELb0ES3_mN6thrust23THRUST_200600_302600_NS6detail15normal_iteratorINSA_10device_ptrIfEEEEPS6_NSA_18transform_iteratorINSB_9not_fun_tI7is_trueIfEEENSC_INSD_IbEEEENSA_11use_defaultESO_EENS0_5tupleIJNSA_16discard_iteratorISO_EES6_EEENSQ_IJSG_SG_EEES6_PlJS6_EEE10hipError_tPvRmT3_T4_T5_T6_T7_T9_mT8_P12ihipStream_tbDpT10_ENKUlT_T0_E_clISt17integral_constantIbLb0EES1F_EEDaS1A_S1B_EUlS1A_E_NS1_11comp_targetILNS1_3genE3ELNS1_11target_archE908ELNS1_3gpuE7ELNS1_3repE0EEENS1_30default_config_static_selectorELNS0_4arch9wavefront6targetE0EEEvT1_,"axG",@progbits,_ZN7rocprim17ROCPRIM_400000_NS6detail17trampoline_kernelINS0_14default_configENS1_25partition_config_selectorILNS1_17partition_subalgoE5EfNS0_10empty_typeEbEEZZNS1_14partition_implILS5_5ELb0ES3_mN6thrust23THRUST_200600_302600_NS6detail15normal_iteratorINSA_10device_ptrIfEEEEPS6_NSA_18transform_iteratorINSB_9not_fun_tI7is_trueIfEEENSC_INSD_IbEEEENSA_11use_defaultESO_EENS0_5tupleIJNSA_16discard_iteratorISO_EES6_EEENSQ_IJSG_SG_EEES6_PlJS6_EEE10hipError_tPvRmT3_T4_T5_T6_T7_T9_mT8_P12ihipStream_tbDpT10_ENKUlT_T0_E_clISt17integral_constantIbLb0EES1F_EEDaS1A_S1B_EUlS1A_E_NS1_11comp_targetILNS1_3genE3ELNS1_11target_archE908ELNS1_3gpuE7ELNS1_3repE0EEENS1_30default_config_static_selectorELNS0_4arch9wavefront6targetE0EEEvT1_,comdat
	.protected	_ZN7rocprim17ROCPRIM_400000_NS6detail17trampoline_kernelINS0_14default_configENS1_25partition_config_selectorILNS1_17partition_subalgoE5EfNS0_10empty_typeEbEEZZNS1_14partition_implILS5_5ELb0ES3_mN6thrust23THRUST_200600_302600_NS6detail15normal_iteratorINSA_10device_ptrIfEEEEPS6_NSA_18transform_iteratorINSB_9not_fun_tI7is_trueIfEEENSC_INSD_IbEEEENSA_11use_defaultESO_EENS0_5tupleIJNSA_16discard_iteratorISO_EES6_EEENSQ_IJSG_SG_EEES6_PlJS6_EEE10hipError_tPvRmT3_T4_T5_T6_T7_T9_mT8_P12ihipStream_tbDpT10_ENKUlT_T0_E_clISt17integral_constantIbLb0EES1F_EEDaS1A_S1B_EUlS1A_E_NS1_11comp_targetILNS1_3genE3ELNS1_11target_archE908ELNS1_3gpuE7ELNS1_3repE0EEENS1_30default_config_static_selectorELNS0_4arch9wavefront6targetE0EEEvT1_ ; -- Begin function _ZN7rocprim17ROCPRIM_400000_NS6detail17trampoline_kernelINS0_14default_configENS1_25partition_config_selectorILNS1_17partition_subalgoE5EfNS0_10empty_typeEbEEZZNS1_14partition_implILS5_5ELb0ES3_mN6thrust23THRUST_200600_302600_NS6detail15normal_iteratorINSA_10device_ptrIfEEEEPS6_NSA_18transform_iteratorINSB_9not_fun_tI7is_trueIfEEENSC_INSD_IbEEEENSA_11use_defaultESO_EENS0_5tupleIJNSA_16discard_iteratorISO_EES6_EEENSQ_IJSG_SG_EEES6_PlJS6_EEE10hipError_tPvRmT3_T4_T5_T6_T7_T9_mT8_P12ihipStream_tbDpT10_ENKUlT_T0_E_clISt17integral_constantIbLb0EES1F_EEDaS1A_S1B_EUlS1A_E_NS1_11comp_targetILNS1_3genE3ELNS1_11target_archE908ELNS1_3gpuE7ELNS1_3repE0EEENS1_30default_config_static_selectorELNS0_4arch9wavefront6targetE0EEEvT1_
	.globl	_ZN7rocprim17ROCPRIM_400000_NS6detail17trampoline_kernelINS0_14default_configENS1_25partition_config_selectorILNS1_17partition_subalgoE5EfNS0_10empty_typeEbEEZZNS1_14partition_implILS5_5ELb0ES3_mN6thrust23THRUST_200600_302600_NS6detail15normal_iteratorINSA_10device_ptrIfEEEEPS6_NSA_18transform_iteratorINSB_9not_fun_tI7is_trueIfEEENSC_INSD_IbEEEENSA_11use_defaultESO_EENS0_5tupleIJNSA_16discard_iteratorISO_EES6_EEENSQ_IJSG_SG_EEES6_PlJS6_EEE10hipError_tPvRmT3_T4_T5_T6_T7_T9_mT8_P12ihipStream_tbDpT10_ENKUlT_T0_E_clISt17integral_constantIbLb0EES1F_EEDaS1A_S1B_EUlS1A_E_NS1_11comp_targetILNS1_3genE3ELNS1_11target_archE908ELNS1_3gpuE7ELNS1_3repE0EEENS1_30default_config_static_selectorELNS0_4arch9wavefront6targetE0EEEvT1_
	.p2align	8
	.type	_ZN7rocprim17ROCPRIM_400000_NS6detail17trampoline_kernelINS0_14default_configENS1_25partition_config_selectorILNS1_17partition_subalgoE5EfNS0_10empty_typeEbEEZZNS1_14partition_implILS5_5ELb0ES3_mN6thrust23THRUST_200600_302600_NS6detail15normal_iteratorINSA_10device_ptrIfEEEEPS6_NSA_18transform_iteratorINSB_9not_fun_tI7is_trueIfEEENSC_INSD_IbEEEENSA_11use_defaultESO_EENS0_5tupleIJNSA_16discard_iteratorISO_EES6_EEENSQ_IJSG_SG_EEES6_PlJS6_EEE10hipError_tPvRmT3_T4_T5_T6_T7_T9_mT8_P12ihipStream_tbDpT10_ENKUlT_T0_E_clISt17integral_constantIbLb0EES1F_EEDaS1A_S1B_EUlS1A_E_NS1_11comp_targetILNS1_3genE3ELNS1_11target_archE908ELNS1_3gpuE7ELNS1_3repE0EEENS1_30default_config_static_selectorELNS0_4arch9wavefront6targetE0EEEvT1_,@function
_ZN7rocprim17ROCPRIM_400000_NS6detail17trampoline_kernelINS0_14default_configENS1_25partition_config_selectorILNS1_17partition_subalgoE5EfNS0_10empty_typeEbEEZZNS1_14partition_implILS5_5ELb0ES3_mN6thrust23THRUST_200600_302600_NS6detail15normal_iteratorINSA_10device_ptrIfEEEEPS6_NSA_18transform_iteratorINSB_9not_fun_tI7is_trueIfEEENSC_INSD_IbEEEENSA_11use_defaultESO_EENS0_5tupleIJNSA_16discard_iteratorISO_EES6_EEENSQ_IJSG_SG_EEES6_PlJS6_EEE10hipError_tPvRmT3_T4_T5_T6_T7_T9_mT8_P12ihipStream_tbDpT10_ENKUlT_T0_E_clISt17integral_constantIbLb0EES1F_EEDaS1A_S1B_EUlS1A_E_NS1_11comp_targetILNS1_3genE3ELNS1_11target_archE908ELNS1_3gpuE7ELNS1_3repE0EEENS1_30default_config_static_selectorELNS0_4arch9wavefront6targetE0EEEvT1_: ; @_ZN7rocprim17ROCPRIM_400000_NS6detail17trampoline_kernelINS0_14default_configENS1_25partition_config_selectorILNS1_17partition_subalgoE5EfNS0_10empty_typeEbEEZZNS1_14partition_implILS5_5ELb0ES3_mN6thrust23THRUST_200600_302600_NS6detail15normal_iteratorINSA_10device_ptrIfEEEEPS6_NSA_18transform_iteratorINSB_9not_fun_tI7is_trueIfEEENSC_INSD_IbEEEENSA_11use_defaultESO_EENS0_5tupleIJNSA_16discard_iteratorISO_EES6_EEENSQ_IJSG_SG_EEES6_PlJS6_EEE10hipError_tPvRmT3_T4_T5_T6_T7_T9_mT8_P12ihipStream_tbDpT10_ENKUlT_T0_E_clISt17integral_constantIbLb0EES1F_EEDaS1A_S1B_EUlS1A_E_NS1_11comp_targetILNS1_3genE3ELNS1_11target_archE908ELNS1_3gpuE7ELNS1_3repE0EEENS1_30default_config_static_selectorELNS0_4arch9wavefront6targetE0EEEvT1_
; %bb.0:
	.section	.rodata,"a",@progbits
	.p2align	6, 0x0
	.amdhsa_kernel _ZN7rocprim17ROCPRIM_400000_NS6detail17trampoline_kernelINS0_14default_configENS1_25partition_config_selectorILNS1_17partition_subalgoE5EfNS0_10empty_typeEbEEZZNS1_14partition_implILS5_5ELb0ES3_mN6thrust23THRUST_200600_302600_NS6detail15normal_iteratorINSA_10device_ptrIfEEEEPS6_NSA_18transform_iteratorINSB_9not_fun_tI7is_trueIfEEENSC_INSD_IbEEEENSA_11use_defaultESO_EENS0_5tupleIJNSA_16discard_iteratorISO_EES6_EEENSQ_IJSG_SG_EEES6_PlJS6_EEE10hipError_tPvRmT3_T4_T5_T6_T7_T9_mT8_P12ihipStream_tbDpT10_ENKUlT_T0_E_clISt17integral_constantIbLb0EES1F_EEDaS1A_S1B_EUlS1A_E_NS1_11comp_targetILNS1_3genE3ELNS1_11target_archE908ELNS1_3gpuE7ELNS1_3repE0EEENS1_30default_config_static_selectorELNS0_4arch9wavefront6targetE0EEEvT1_
		.amdhsa_group_segment_fixed_size 0
		.amdhsa_private_segment_fixed_size 0
		.amdhsa_kernarg_size 128
		.amdhsa_user_sgpr_count 2
		.amdhsa_user_sgpr_dispatch_ptr 0
		.amdhsa_user_sgpr_queue_ptr 0
		.amdhsa_user_sgpr_kernarg_segment_ptr 1
		.amdhsa_user_sgpr_dispatch_id 0
		.amdhsa_user_sgpr_private_segment_size 0
		.amdhsa_wavefront_size32 1
		.amdhsa_uses_dynamic_stack 0
		.amdhsa_enable_private_segment 0
		.amdhsa_system_sgpr_workgroup_id_x 1
		.amdhsa_system_sgpr_workgroup_id_y 0
		.amdhsa_system_sgpr_workgroup_id_z 0
		.amdhsa_system_sgpr_workgroup_info 0
		.amdhsa_system_vgpr_workitem_id 0
		.amdhsa_next_free_vgpr 1
		.amdhsa_next_free_sgpr 1
		.amdhsa_reserve_vcc 0
		.amdhsa_float_round_mode_32 0
		.amdhsa_float_round_mode_16_64 0
		.amdhsa_float_denorm_mode_32 3
		.amdhsa_float_denorm_mode_16_64 3
		.amdhsa_fp16_overflow 0
		.amdhsa_workgroup_processor_mode 1
		.amdhsa_memory_ordered 1
		.amdhsa_forward_progress 1
		.amdhsa_inst_pref_size 0
		.amdhsa_round_robin_scheduling 0
		.amdhsa_exception_fp_ieee_invalid_op 0
		.amdhsa_exception_fp_denorm_src 0
		.amdhsa_exception_fp_ieee_div_zero 0
		.amdhsa_exception_fp_ieee_overflow 0
		.amdhsa_exception_fp_ieee_underflow 0
		.amdhsa_exception_fp_ieee_inexact 0
		.amdhsa_exception_int_div_zero 0
	.end_amdhsa_kernel
	.section	.text._ZN7rocprim17ROCPRIM_400000_NS6detail17trampoline_kernelINS0_14default_configENS1_25partition_config_selectorILNS1_17partition_subalgoE5EfNS0_10empty_typeEbEEZZNS1_14partition_implILS5_5ELb0ES3_mN6thrust23THRUST_200600_302600_NS6detail15normal_iteratorINSA_10device_ptrIfEEEEPS6_NSA_18transform_iteratorINSB_9not_fun_tI7is_trueIfEEENSC_INSD_IbEEEENSA_11use_defaultESO_EENS0_5tupleIJNSA_16discard_iteratorISO_EES6_EEENSQ_IJSG_SG_EEES6_PlJS6_EEE10hipError_tPvRmT3_T4_T5_T6_T7_T9_mT8_P12ihipStream_tbDpT10_ENKUlT_T0_E_clISt17integral_constantIbLb0EES1F_EEDaS1A_S1B_EUlS1A_E_NS1_11comp_targetILNS1_3genE3ELNS1_11target_archE908ELNS1_3gpuE7ELNS1_3repE0EEENS1_30default_config_static_selectorELNS0_4arch9wavefront6targetE0EEEvT1_,"axG",@progbits,_ZN7rocprim17ROCPRIM_400000_NS6detail17trampoline_kernelINS0_14default_configENS1_25partition_config_selectorILNS1_17partition_subalgoE5EfNS0_10empty_typeEbEEZZNS1_14partition_implILS5_5ELb0ES3_mN6thrust23THRUST_200600_302600_NS6detail15normal_iteratorINSA_10device_ptrIfEEEEPS6_NSA_18transform_iteratorINSB_9not_fun_tI7is_trueIfEEENSC_INSD_IbEEEENSA_11use_defaultESO_EENS0_5tupleIJNSA_16discard_iteratorISO_EES6_EEENSQ_IJSG_SG_EEES6_PlJS6_EEE10hipError_tPvRmT3_T4_T5_T6_T7_T9_mT8_P12ihipStream_tbDpT10_ENKUlT_T0_E_clISt17integral_constantIbLb0EES1F_EEDaS1A_S1B_EUlS1A_E_NS1_11comp_targetILNS1_3genE3ELNS1_11target_archE908ELNS1_3gpuE7ELNS1_3repE0EEENS1_30default_config_static_selectorELNS0_4arch9wavefront6targetE0EEEvT1_,comdat
.Lfunc_end2624:
	.size	_ZN7rocprim17ROCPRIM_400000_NS6detail17trampoline_kernelINS0_14default_configENS1_25partition_config_selectorILNS1_17partition_subalgoE5EfNS0_10empty_typeEbEEZZNS1_14partition_implILS5_5ELb0ES3_mN6thrust23THRUST_200600_302600_NS6detail15normal_iteratorINSA_10device_ptrIfEEEEPS6_NSA_18transform_iteratorINSB_9not_fun_tI7is_trueIfEEENSC_INSD_IbEEEENSA_11use_defaultESO_EENS0_5tupleIJNSA_16discard_iteratorISO_EES6_EEENSQ_IJSG_SG_EEES6_PlJS6_EEE10hipError_tPvRmT3_T4_T5_T6_T7_T9_mT8_P12ihipStream_tbDpT10_ENKUlT_T0_E_clISt17integral_constantIbLb0EES1F_EEDaS1A_S1B_EUlS1A_E_NS1_11comp_targetILNS1_3genE3ELNS1_11target_archE908ELNS1_3gpuE7ELNS1_3repE0EEENS1_30default_config_static_selectorELNS0_4arch9wavefront6targetE0EEEvT1_, .Lfunc_end2624-_ZN7rocprim17ROCPRIM_400000_NS6detail17trampoline_kernelINS0_14default_configENS1_25partition_config_selectorILNS1_17partition_subalgoE5EfNS0_10empty_typeEbEEZZNS1_14partition_implILS5_5ELb0ES3_mN6thrust23THRUST_200600_302600_NS6detail15normal_iteratorINSA_10device_ptrIfEEEEPS6_NSA_18transform_iteratorINSB_9not_fun_tI7is_trueIfEEENSC_INSD_IbEEEENSA_11use_defaultESO_EENS0_5tupleIJNSA_16discard_iteratorISO_EES6_EEENSQ_IJSG_SG_EEES6_PlJS6_EEE10hipError_tPvRmT3_T4_T5_T6_T7_T9_mT8_P12ihipStream_tbDpT10_ENKUlT_T0_E_clISt17integral_constantIbLb0EES1F_EEDaS1A_S1B_EUlS1A_E_NS1_11comp_targetILNS1_3genE3ELNS1_11target_archE908ELNS1_3gpuE7ELNS1_3repE0EEENS1_30default_config_static_selectorELNS0_4arch9wavefront6targetE0EEEvT1_
                                        ; -- End function
	.set _ZN7rocprim17ROCPRIM_400000_NS6detail17trampoline_kernelINS0_14default_configENS1_25partition_config_selectorILNS1_17partition_subalgoE5EfNS0_10empty_typeEbEEZZNS1_14partition_implILS5_5ELb0ES3_mN6thrust23THRUST_200600_302600_NS6detail15normal_iteratorINSA_10device_ptrIfEEEEPS6_NSA_18transform_iteratorINSB_9not_fun_tI7is_trueIfEEENSC_INSD_IbEEEENSA_11use_defaultESO_EENS0_5tupleIJNSA_16discard_iteratorISO_EES6_EEENSQ_IJSG_SG_EEES6_PlJS6_EEE10hipError_tPvRmT3_T4_T5_T6_T7_T9_mT8_P12ihipStream_tbDpT10_ENKUlT_T0_E_clISt17integral_constantIbLb0EES1F_EEDaS1A_S1B_EUlS1A_E_NS1_11comp_targetILNS1_3genE3ELNS1_11target_archE908ELNS1_3gpuE7ELNS1_3repE0EEENS1_30default_config_static_selectorELNS0_4arch9wavefront6targetE0EEEvT1_.num_vgpr, 0
	.set _ZN7rocprim17ROCPRIM_400000_NS6detail17trampoline_kernelINS0_14default_configENS1_25partition_config_selectorILNS1_17partition_subalgoE5EfNS0_10empty_typeEbEEZZNS1_14partition_implILS5_5ELb0ES3_mN6thrust23THRUST_200600_302600_NS6detail15normal_iteratorINSA_10device_ptrIfEEEEPS6_NSA_18transform_iteratorINSB_9not_fun_tI7is_trueIfEEENSC_INSD_IbEEEENSA_11use_defaultESO_EENS0_5tupleIJNSA_16discard_iteratorISO_EES6_EEENSQ_IJSG_SG_EEES6_PlJS6_EEE10hipError_tPvRmT3_T4_T5_T6_T7_T9_mT8_P12ihipStream_tbDpT10_ENKUlT_T0_E_clISt17integral_constantIbLb0EES1F_EEDaS1A_S1B_EUlS1A_E_NS1_11comp_targetILNS1_3genE3ELNS1_11target_archE908ELNS1_3gpuE7ELNS1_3repE0EEENS1_30default_config_static_selectorELNS0_4arch9wavefront6targetE0EEEvT1_.num_agpr, 0
	.set _ZN7rocprim17ROCPRIM_400000_NS6detail17trampoline_kernelINS0_14default_configENS1_25partition_config_selectorILNS1_17partition_subalgoE5EfNS0_10empty_typeEbEEZZNS1_14partition_implILS5_5ELb0ES3_mN6thrust23THRUST_200600_302600_NS6detail15normal_iteratorINSA_10device_ptrIfEEEEPS6_NSA_18transform_iteratorINSB_9not_fun_tI7is_trueIfEEENSC_INSD_IbEEEENSA_11use_defaultESO_EENS0_5tupleIJNSA_16discard_iteratorISO_EES6_EEENSQ_IJSG_SG_EEES6_PlJS6_EEE10hipError_tPvRmT3_T4_T5_T6_T7_T9_mT8_P12ihipStream_tbDpT10_ENKUlT_T0_E_clISt17integral_constantIbLb0EES1F_EEDaS1A_S1B_EUlS1A_E_NS1_11comp_targetILNS1_3genE3ELNS1_11target_archE908ELNS1_3gpuE7ELNS1_3repE0EEENS1_30default_config_static_selectorELNS0_4arch9wavefront6targetE0EEEvT1_.numbered_sgpr, 0
	.set _ZN7rocprim17ROCPRIM_400000_NS6detail17trampoline_kernelINS0_14default_configENS1_25partition_config_selectorILNS1_17partition_subalgoE5EfNS0_10empty_typeEbEEZZNS1_14partition_implILS5_5ELb0ES3_mN6thrust23THRUST_200600_302600_NS6detail15normal_iteratorINSA_10device_ptrIfEEEEPS6_NSA_18transform_iteratorINSB_9not_fun_tI7is_trueIfEEENSC_INSD_IbEEEENSA_11use_defaultESO_EENS0_5tupleIJNSA_16discard_iteratorISO_EES6_EEENSQ_IJSG_SG_EEES6_PlJS6_EEE10hipError_tPvRmT3_T4_T5_T6_T7_T9_mT8_P12ihipStream_tbDpT10_ENKUlT_T0_E_clISt17integral_constantIbLb0EES1F_EEDaS1A_S1B_EUlS1A_E_NS1_11comp_targetILNS1_3genE3ELNS1_11target_archE908ELNS1_3gpuE7ELNS1_3repE0EEENS1_30default_config_static_selectorELNS0_4arch9wavefront6targetE0EEEvT1_.num_named_barrier, 0
	.set _ZN7rocprim17ROCPRIM_400000_NS6detail17trampoline_kernelINS0_14default_configENS1_25partition_config_selectorILNS1_17partition_subalgoE5EfNS0_10empty_typeEbEEZZNS1_14partition_implILS5_5ELb0ES3_mN6thrust23THRUST_200600_302600_NS6detail15normal_iteratorINSA_10device_ptrIfEEEEPS6_NSA_18transform_iteratorINSB_9not_fun_tI7is_trueIfEEENSC_INSD_IbEEEENSA_11use_defaultESO_EENS0_5tupleIJNSA_16discard_iteratorISO_EES6_EEENSQ_IJSG_SG_EEES6_PlJS6_EEE10hipError_tPvRmT3_T4_T5_T6_T7_T9_mT8_P12ihipStream_tbDpT10_ENKUlT_T0_E_clISt17integral_constantIbLb0EES1F_EEDaS1A_S1B_EUlS1A_E_NS1_11comp_targetILNS1_3genE3ELNS1_11target_archE908ELNS1_3gpuE7ELNS1_3repE0EEENS1_30default_config_static_selectorELNS0_4arch9wavefront6targetE0EEEvT1_.private_seg_size, 0
	.set _ZN7rocprim17ROCPRIM_400000_NS6detail17trampoline_kernelINS0_14default_configENS1_25partition_config_selectorILNS1_17partition_subalgoE5EfNS0_10empty_typeEbEEZZNS1_14partition_implILS5_5ELb0ES3_mN6thrust23THRUST_200600_302600_NS6detail15normal_iteratorINSA_10device_ptrIfEEEEPS6_NSA_18transform_iteratorINSB_9not_fun_tI7is_trueIfEEENSC_INSD_IbEEEENSA_11use_defaultESO_EENS0_5tupleIJNSA_16discard_iteratorISO_EES6_EEENSQ_IJSG_SG_EEES6_PlJS6_EEE10hipError_tPvRmT3_T4_T5_T6_T7_T9_mT8_P12ihipStream_tbDpT10_ENKUlT_T0_E_clISt17integral_constantIbLb0EES1F_EEDaS1A_S1B_EUlS1A_E_NS1_11comp_targetILNS1_3genE3ELNS1_11target_archE908ELNS1_3gpuE7ELNS1_3repE0EEENS1_30default_config_static_selectorELNS0_4arch9wavefront6targetE0EEEvT1_.uses_vcc, 0
	.set _ZN7rocprim17ROCPRIM_400000_NS6detail17trampoline_kernelINS0_14default_configENS1_25partition_config_selectorILNS1_17partition_subalgoE5EfNS0_10empty_typeEbEEZZNS1_14partition_implILS5_5ELb0ES3_mN6thrust23THRUST_200600_302600_NS6detail15normal_iteratorINSA_10device_ptrIfEEEEPS6_NSA_18transform_iteratorINSB_9not_fun_tI7is_trueIfEEENSC_INSD_IbEEEENSA_11use_defaultESO_EENS0_5tupleIJNSA_16discard_iteratorISO_EES6_EEENSQ_IJSG_SG_EEES6_PlJS6_EEE10hipError_tPvRmT3_T4_T5_T6_T7_T9_mT8_P12ihipStream_tbDpT10_ENKUlT_T0_E_clISt17integral_constantIbLb0EES1F_EEDaS1A_S1B_EUlS1A_E_NS1_11comp_targetILNS1_3genE3ELNS1_11target_archE908ELNS1_3gpuE7ELNS1_3repE0EEENS1_30default_config_static_selectorELNS0_4arch9wavefront6targetE0EEEvT1_.uses_flat_scratch, 0
	.set _ZN7rocprim17ROCPRIM_400000_NS6detail17trampoline_kernelINS0_14default_configENS1_25partition_config_selectorILNS1_17partition_subalgoE5EfNS0_10empty_typeEbEEZZNS1_14partition_implILS5_5ELb0ES3_mN6thrust23THRUST_200600_302600_NS6detail15normal_iteratorINSA_10device_ptrIfEEEEPS6_NSA_18transform_iteratorINSB_9not_fun_tI7is_trueIfEEENSC_INSD_IbEEEENSA_11use_defaultESO_EENS0_5tupleIJNSA_16discard_iteratorISO_EES6_EEENSQ_IJSG_SG_EEES6_PlJS6_EEE10hipError_tPvRmT3_T4_T5_T6_T7_T9_mT8_P12ihipStream_tbDpT10_ENKUlT_T0_E_clISt17integral_constantIbLb0EES1F_EEDaS1A_S1B_EUlS1A_E_NS1_11comp_targetILNS1_3genE3ELNS1_11target_archE908ELNS1_3gpuE7ELNS1_3repE0EEENS1_30default_config_static_selectorELNS0_4arch9wavefront6targetE0EEEvT1_.has_dyn_sized_stack, 0
	.set _ZN7rocprim17ROCPRIM_400000_NS6detail17trampoline_kernelINS0_14default_configENS1_25partition_config_selectorILNS1_17partition_subalgoE5EfNS0_10empty_typeEbEEZZNS1_14partition_implILS5_5ELb0ES3_mN6thrust23THRUST_200600_302600_NS6detail15normal_iteratorINSA_10device_ptrIfEEEEPS6_NSA_18transform_iteratorINSB_9not_fun_tI7is_trueIfEEENSC_INSD_IbEEEENSA_11use_defaultESO_EENS0_5tupleIJNSA_16discard_iteratorISO_EES6_EEENSQ_IJSG_SG_EEES6_PlJS6_EEE10hipError_tPvRmT3_T4_T5_T6_T7_T9_mT8_P12ihipStream_tbDpT10_ENKUlT_T0_E_clISt17integral_constantIbLb0EES1F_EEDaS1A_S1B_EUlS1A_E_NS1_11comp_targetILNS1_3genE3ELNS1_11target_archE908ELNS1_3gpuE7ELNS1_3repE0EEENS1_30default_config_static_selectorELNS0_4arch9wavefront6targetE0EEEvT1_.has_recursion, 0
	.set _ZN7rocprim17ROCPRIM_400000_NS6detail17trampoline_kernelINS0_14default_configENS1_25partition_config_selectorILNS1_17partition_subalgoE5EfNS0_10empty_typeEbEEZZNS1_14partition_implILS5_5ELb0ES3_mN6thrust23THRUST_200600_302600_NS6detail15normal_iteratorINSA_10device_ptrIfEEEEPS6_NSA_18transform_iteratorINSB_9not_fun_tI7is_trueIfEEENSC_INSD_IbEEEENSA_11use_defaultESO_EENS0_5tupleIJNSA_16discard_iteratorISO_EES6_EEENSQ_IJSG_SG_EEES6_PlJS6_EEE10hipError_tPvRmT3_T4_T5_T6_T7_T9_mT8_P12ihipStream_tbDpT10_ENKUlT_T0_E_clISt17integral_constantIbLb0EES1F_EEDaS1A_S1B_EUlS1A_E_NS1_11comp_targetILNS1_3genE3ELNS1_11target_archE908ELNS1_3gpuE7ELNS1_3repE0EEENS1_30default_config_static_selectorELNS0_4arch9wavefront6targetE0EEEvT1_.has_indirect_call, 0
	.section	.AMDGPU.csdata,"",@progbits
; Kernel info:
; codeLenInByte = 0
; TotalNumSgprs: 0
; NumVgprs: 0
; ScratchSize: 0
; MemoryBound: 0
; FloatMode: 240
; IeeeMode: 1
; LDSByteSize: 0 bytes/workgroup (compile time only)
; SGPRBlocks: 0
; VGPRBlocks: 0
; NumSGPRsForWavesPerEU: 1
; NumVGPRsForWavesPerEU: 1
; Occupancy: 16
; WaveLimiterHint : 0
; COMPUTE_PGM_RSRC2:SCRATCH_EN: 0
; COMPUTE_PGM_RSRC2:USER_SGPR: 2
; COMPUTE_PGM_RSRC2:TRAP_HANDLER: 0
; COMPUTE_PGM_RSRC2:TGID_X_EN: 1
; COMPUTE_PGM_RSRC2:TGID_Y_EN: 0
; COMPUTE_PGM_RSRC2:TGID_Z_EN: 0
; COMPUTE_PGM_RSRC2:TIDIG_COMP_CNT: 0
	.section	.text._ZN7rocprim17ROCPRIM_400000_NS6detail17trampoline_kernelINS0_14default_configENS1_25partition_config_selectorILNS1_17partition_subalgoE5EfNS0_10empty_typeEbEEZZNS1_14partition_implILS5_5ELb0ES3_mN6thrust23THRUST_200600_302600_NS6detail15normal_iteratorINSA_10device_ptrIfEEEEPS6_NSA_18transform_iteratorINSB_9not_fun_tI7is_trueIfEEENSC_INSD_IbEEEENSA_11use_defaultESO_EENS0_5tupleIJNSA_16discard_iteratorISO_EES6_EEENSQ_IJSG_SG_EEES6_PlJS6_EEE10hipError_tPvRmT3_T4_T5_T6_T7_T9_mT8_P12ihipStream_tbDpT10_ENKUlT_T0_E_clISt17integral_constantIbLb0EES1F_EEDaS1A_S1B_EUlS1A_E_NS1_11comp_targetILNS1_3genE2ELNS1_11target_archE906ELNS1_3gpuE6ELNS1_3repE0EEENS1_30default_config_static_selectorELNS0_4arch9wavefront6targetE0EEEvT1_,"axG",@progbits,_ZN7rocprim17ROCPRIM_400000_NS6detail17trampoline_kernelINS0_14default_configENS1_25partition_config_selectorILNS1_17partition_subalgoE5EfNS0_10empty_typeEbEEZZNS1_14partition_implILS5_5ELb0ES3_mN6thrust23THRUST_200600_302600_NS6detail15normal_iteratorINSA_10device_ptrIfEEEEPS6_NSA_18transform_iteratorINSB_9not_fun_tI7is_trueIfEEENSC_INSD_IbEEEENSA_11use_defaultESO_EENS0_5tupleIJNSA_16discard_iteratorISO_EES6_EEENSQ_IJSG_SG_EEES6_PlJS6_EEE10hipError_tPvRmT3_T4_T5_T6_T7_T9_mT8_P12ihipStream_tbDpT10_ENKUlT_T0_E_clISt17integral_constantIbLb0EES1F_EEDaS1A_S1B_EUlS1A_E_NS1_11comp_targetILNS1_3genE2ELNS1_11target_archE906ELNS1_3gpuE6ELNS1_3repE0EEENS1_30default_config_static_selectorELNS0_4arch9wavefront6targetE0EEEvT1_,comdat
	.protected	_ZN7rocprim17ROCPRIM_400000_NS6detail17trampoline_kernelINS0_14default_configENS1_25partition_config_selectorILNS1_17partition_subalgoE5EfNS0_10empty_typeEbEEZZNS1_14partition_implILS5_5ELb0ES3_mN6thrust23THRUST_200600_302600_NS6detail15normal_iteratorINSA_10device_ptrIfEEEEPS6_NSA_18transform_iteratorINSB_9not_fun_tI7is_trueIfEEENSC_INSD_IbEEEENSA_11use_defaultESO_EENS0_5tupleIJNSA_16discard_iteratorISO_EES6_EEENSQ_IJSG_SG_EEES6_PlJS6_EEE10hipError_tPvRmT3_T4_T5_T6_T7_T9_mT8_P12ihipStream_tbDpT10_ENKUlT_T0_E_clISt17integral_constantIbLb0EES1F_EEDaS1A_S1B_EUlS1A_E_NS1_11comp_targetILNS1_3genE2ELNS1_11target_archE906ELNS1_3gpuE6ELNS1_3repE0EEENS1_30default_config_static_selectorELNS0_4arch9wavefront6targetE0EEEvT1_ ; -- Begin function _ZN7rocprim17ROCPRIM_400000_NS6detail17trampoline_kernelINS0_14default_configENS1_25partition_config_selectorILNS1_17partition_subalgoE5EfNS0_10empty_typeEbEEZZNS1_14partition_implILS5_5ELb0ES3_mN6thrust23THRUST_200600_302600_NS6detail15normal_iteratorINSA_10device_ptrIfEEEEPS6_NSA_18transform_iteratorINSB_9not_fun_tI7is_trueIfEEENSC_INSD_IbEEEENSA_11use_defaultESO_EENS0_5tupleIJNSA_16discard_iteratorISO_EES6_EEENSQ_IJSG_SG_EEES6_PlJS6_EEE10hipError_tPvRmT3_T4_T5_T6_T7_T9_mT8_P12ihipStream_tbDpT10_ENKUlT_T0_E_clISt17integral_constantIbLb0EES1F_EEDaS1A_S1B_EUlS1A_E_NS1_11comp_targetILNS1_3genE2ELNS1_11target_archE906ELNS1_3gpuE6ELNS1_3repE0EEENS1_30default_config_static_selectorELNS0_4arch9wavefront6targetE0EEEvT1_
	.globl	_ZN7rocprim17ROCPRIM_400000_NS6detail17trampoline_kernelINS0_14default_configENS1_25partition_config_selectorILNS1_17partition_subalgoE5EfNS0_10empty_typeEbEEZZNS1_14partition_implILS5_5ELb0ES3_mN6thrust23THRUST_200600_302600_NS6detail15normal_iteratorINSA_10device_ptrIfEEEEPS6_NSA_18transform_iteratorINSB_9not_fun_tI7is_trueIfEEENSC_INSD_IbEEEENSA_11use_defaultESO_EENS0_5tupleIJNSA_16discard_iteratorISO_EES6_EEENSQ_IJSG_SG_EEES6_PlJS6_EEE10hipError_tPvRmT3_T4_T5_T6_T7_T9_mT8_P12ihipStream_tbDpT10_ENKUlT_T0_E_clISt17integral_constantIbLb0EES1F_EEDaS1A_S1B_EUlS1A_E_NS1_11comp_targetILNS1_3genE2ELNS1_11target_archE906ELNS1_3gpuE6ELNS1_3repE0EEENS1_30default_config_static_selectorELNS0_4arch9wavefront6targetE0EEEvT1_
	.p2align	8
	.type	_ZN7rocprim17ROCPRIM_400000_NS6detail17trampoline_kernelINS0_14default_configENS1_25partition_config_selectorILNS1_17partition_subalgoE5EfNS0_10empty_typeEbEEZZNS1_14partition_implILS5_5ELb0ES3_mN6thrust23THRUST_200600_302600_NS6detail15normal_iteratorINSA_10device_ptrIfEEEEPS6_NSA_18transform_iteratorINSB_9not_fun_tI7is_trueIfEEENSC_INSD_IbEEEENSA_11use_defaultESO_EENS0_5tupleIJNSA_16discard_iteratorISO_EES6_EEENSQ_IJSG_SG_EEES6_PlJS6_EEE10hipError_tPvRmT3_T4_T5_T6_T7_T9_mT8_P12ihipStream_tbDpT10_ENKUlT_T0_E_clISt17integral_constantIbLb0EES1F_EEDaS1A_S1B_EUlS1A_E_NS1_11comp_targetILNS1_3genE2ELNS1_11target_archE906ELNS1_3gpuE6ELNS1_3repE0EEENS1_30default_config_static_selectorELNS0_4arch9wavefront6targetE0EEEvT1_,@function
_ZN7rocprim17ROCPRIM_400000_NS6detail17trampoline_kernelINS0_14default_configENS1_25partition_config_selectorILNS1_17partition_subalgoE5EfNS0_10empty_typeEbEEZZNS1_14partition_implILS5_5ELb0ES3_mN6thrust23THRUST_200600_302600_NS6detail15normal_iteratorINSA_10device_ptrIfEEEEPS6_NSA_18transform_iteratorINSB_9not_fun_tI7is_trueIfEEENSC_INSD_IbEEEENSA_11use_defaultESO_EENS0_5tupleIJNSA_16discard_iteratorISO_EES6_EEENSQ_IJSG_SG_EEES6_PlJS6_EEE10hipError_tPvRmT3_T4_T5_T6_T7_T9_mT8_P12ihipStream_tbDpT10_ENKUlT_T0_E_clISt17integral_constantIbLb0EES1F_EEDaS1A_S1B_EUlS1A_E_NS1_11comp_targetILNS1_3genE2ELNS1_11target_archE906ELNS1_3gpuE6ELNS1_3repE0EEENS1_30default_config_static_selectorELNS0_4arch9wavefront6targetE0EEEvT1_: ; @_ZN7rocprim17ROCPRIM_400000_NS6detail17trampoline_kernelINS0_14default_configENS1_25partition_config_selectorILNS1_17partition_subalgoE5EfNS0_10empty_typeEbEEZZNS1_14partition_implILS5_5ELb0ES3_mN6thrust23THRUST_200600_302600_NS6detail15normal_iteratorINSA_10device_ptrIfEEEEPS6_NSA_18transform_iteratorINSB_9not_fun_tI7is_trueIfEEENSC_INSD_IbEEEENSA_11use_defaultESO_EENS0_5tupleIJNSA_16discard_iteratorISO_EES6_EEENSQ_IJSG_SG_EEES6_PlJS6_EEE10hipError_tPvRmT3_T4_T5_T6_T7_T9_mT8_P12ihipStream_tbDpT10_ENKUlT_T0_E_clISt17integral_constantIbLb0EES1F_EEDaS1A_S1B_EUlS1A_E_NS1_11comp_targetILNS1_3genE2ELNS1_11target_archE906ELNS1_3gpuE6ELNS1_3repE0EEENS1_30default_config_static_selectorELNS0_4arch9wavefront6targetE0EEEvT1_
; %bb.0:
	.section	.rodata,"a",@progbits
	.p2align	6, 0x0
	.amdhsa_kernel _ZN7rocprim17ROCPRIM_400000_NS6detail17trampoline_kernelINS0_14default_configENS1_25partition_config_selectorILNS1_17partition_subalgoE5EfNS0_10empty_typeEbEEZZNS1_14partition_implILS5_5ELb0ES3_mN6thrust23THRUST_200600_302600_NS6detail15normal_iteratorINSA_10device_ptrIfEEEEPS6_NSA_18transform_iteratorINSB_9not_fun_tI7is_trueIfEEENSC_INSD_IbEEEENSA_11use_defaultESO_EENS0_5tupleIJNSA_16discard_iteratorISO_EES6_EEENSQ_IJSG_SG_EEES6_PlJS6_EEE10hipError_tPvRmT3_T4_T5_T6_T7_T9_mT8_P12ihipStream_tbDpT10_ENKUlT_T0_E_clISt17integral_constantIbLb0EES1F_EEDaS1A_S1B_EUlS1A_E_NS1_11comp_targetILNS1_3genE2ELNS1_11target_archE906ELNS1_3gpuE6ELNS1_3repE0EEENS1_30default_config_static_selectorELNS0_4arch9wavefront6targetE0EEEvT1_
		.amdhsa_group_segment_fixed_size 0
		.amdhsa_private_segment_fixed_size 0
		.amdhsa_kernarg_size 128
		.amdhsa_user_sgpr_count 2
		.amdhsa_user_sgpr_dispatch_ptr 0
		.amdhsa_user_sgpr_queue_ptr 0
		.amdhsa_user_sgpr_kernarg_segment_ptr 1
		.amdhsa_user_sgpr_dispatch_id 0
		.amdhsa_user_sgpr_private_segment_size 0
		.amdhsa_wavefront_size32 1
		.amdhsa_uses_dynamic_stack 0
		.amdhsa_enable_private_segment 0
		.amdhsa_system_sgpr_workgroup_id_x 1
		.amdhsa_system_sgpr_workgroup_id_y 0
		.amdhsa_system_sgpr_workgroup_id_z 0
		.amdhsa_system_sgpr_workgroup_info 0
		.amdhsa_system_vgpr_workitem_id 0
		.amdhsa_next_free_vgpr 1
		.amdhsa_next_free_sgpr 1
		.amdhsa_reserve_vcc 0
		.amdhsa_float_round_mode_32 0
		.amdhsa_float_round_mode_16_64 0
		.amdhsa_float_denorm_mode_32 3
		.amdhsa_float_denorm_mode_16_64 3
		.amdhsa_fp16_overflow 0
		.amdhsa_workgroup_processor_mode 1
		.amdhsa_memory_ordered 1
		.amdhsa_forward_progress 1
		.amdhsa_inst_pref_size 0
		.amdhsa_round_robin_scheduling 0
		.amdhsa_exception_fp_ieee_invalid_op 0
		.amdhsa_exception_fp_denorm_src 0
		.amdhsa_exception_fp_ieee_div_zero 0
		.amdhsa_exception_fp_ieee_overflow 0
		.amdhsa_exception_fp_ieee_underflow 0
		.amdhsa_exception_fp_ieee_inexact 0
		.amdhsa_exception_int_div_zero 0
	.end_amdhsa_kernel
	.section	.text._ZN7rocprim17ROCPRIM_400000_NS6detail17trampoline_kernelINS0_14default_configENS1_25partition_config_selectorILNS1_17partition_subalgoE5EfNS0_10empty_typeEbEEZZNS1_14partition_implILS5_5ELb0ES3_mN6thrust23THRUST_200600_302600_NS6detail15normal_iteratorINSA_10device_ptrIfEEEEPS6_NSA_18transform_iteratorINSB_9not_fun_tI7is_trueIfEEENSC_INSD_IbEEEENSA_11use_defaultESO_EENS0_5tupleIJNSA_16discard_iteratorISO_EES6_EEENSQ_IJSG_SG_EEES6_PlJS6_EEE10hipError_tPvRmT3_T4_T5_T6_T7_T9_mT8_P12ihipStream_tbDpT10_ENKUlT_T0_E_clISt17integral_constantIbLb0EES1F_EEDaS1A_S1B_EUlS1A_E_NS1_11comp_targetILNS1_3genE2ELNS1_11target_archE906ELNS1_3gpuE6ELNS1_3repE0EEENS1_30default_config_static_selectorELNS0_4arch9wavefront6targetE0EEEvT1_,"axG",@progbits,_ZN7rocprim17ROCPRIM_400000_NS6detail17trampoline_kernelINS0_14default_configENS1_25partition_config_selectorILNS1_17partition_subalgoE5EfNS0_10empty_typeEbEEZZNS1_14partition_implILS5_5ELb0ES3_mN6thrust23THRUST_200600_302600_NS6detail15normal_iteratorINSA_10device_ptrIfEEEEPS6_NSA_18transform_iteratorINSB_9not_fun_tI7is_trueIfEEENSC_INSD_IbEEEENSA_11use_defaultESO_EENS0_5tupleIJNSA_16discard_iteratorISO_EES6_EEENSQ_IJSG_SG_EEES6_PlJS6_EEE10hipError_tPvRmT3_T4_T5_T6_T7_T9_mT8_P12ihipStream_tbDpT10_ENKUlT_T0_E_clISt17integral_constantIbLb0EES1F_EEDaS1A_S1B_EUlS1A_E_NS1_11comp_targetILNS1_3genE2ELNS1_11target_archE906ELNS1_3gpuE6ELNS1_3repE0EEENS1_30default_config_static_selectorELNS0_4arch9wavefront6targetE0EEEvT1_,comdat
.Lfunc_end2625:
	.size	_ZN7rocprim17ROCPRIM_400000_NS6detail17trampoline_kernelINS0_14default_configENS1_25partition_config_selectorILNS1_17partition_subalgoE5EfNS0_10empty_typeEbEEZZNS1_14partition_implILS5_5ELb0ES3_mN6thrust23THRUST_200600_302600_NS6detail15normal_iteratorINSA_10device_ptrIfEEEEPS6_NSA_18transform_iteratorINSB_9not_fun_tI7is_trueIfEEENSC_INSD_IbEEEENSA_11use_defaultESO_EENS0_5tupleIJNSA_16discard_iteratorISO_EES6_EEENSQ_IJSG_SG_EEES6_PlJS6_EEE10hipError_tPvRmT3_T4_T5_T6_T7_T9_mT8_P12ihipStream_tbDpT10_ENKUlT_T0_E_clISt17integral_constantIbLb0EES1F_EEDaS1A_S1B_EUlS1A_E_NS1_11comp_targetILNS1_3genE2ELNS1_11target_archE906ELNS1_3gpuE6ELNS1_3repE0EEENS1_30default_config_static_selectorELNS0_4arch9wavefront6targetE0EEEvT1_, .Lfunc_end2625-_ZN7rocprim17ROCPRIM_400000_NS6detail17trampoline_kernelINS0_14default_configENS1_25partition_config_selectorILNS1_17partition_subalgoE5EfNS0_10empty_typeEbEEZZNS1_14partition_implILS5_5ELb0ES3_mN6thrust23THRUST_200600_302600_NS6detail15normal_iteratorINSA_10device_ptrIfEEEEPS6_NSA_18transform_iteratorINSB_9not_fun_tI7is_trueIfEEENSC_INSD_IbEEEENSA_11use_defaultESO_EENS0_5tupleIJNSA_16discard_iteratorISO_EES6_EEENSQ_IJSG_SG_EEES6_PlJS6_EEE10hipError_tPvRmT3_T4_T5_T6_T7_T9_mT8_P12ihipStream_tbDpT10_ENKUlT_T0_E_clISt17integral_constantIbLb0EES1F_EEDaS1A_S1B_EUlS1A_E_NS1_11comp_targetILNS1_3genE2ELNS1_11target_archE906ELNS1_3gpuE6ELNS1_3repE0EEENS1_30default_config_static_selectorELNS0_4arch9wavefront6targetE0EEEvT1_
                                        ; -- End function
	.set _ZN7rocprim17ROCPRIM_400000_NS6detail17trampoline_kernelINS0_14default_configENS1_25partition_config_selectorILNS1_17partition_subalgoE5EfNS0_10empty_typeEbEEZZNS1_14partition_implILS5_5ELb0ES3_mN6thrust23THRUST_200600_302600_NS6detail15normal_iteratorINSA_10device_ptrIfEEEEPS6_NSA_18transform_iteratorINSB_9not_fun_tI7is_trueIfEEENSC_INSD_IbEEEENSA_11use_defaultESO_EENS0_5tupleIJNSA_16discard_iteratorISO_EES6_EEENSQ_IJSG_SG_EEES6_PlJS6_EEE10hipError_tPvRmT3_T4_T5_T6_T7_T9_mT8_P12ihipStream_tbDpT10_ENKUlT_T0_E_clISt17integral_constantIbLb0EES1F_EEDaS1A_S1B_EUlS1A_E_NS1_11comp_targetILNS1_3genE2ELNS1_11target_archE906ELNS1_3gpuE6ELNS1_3repE0EEENS1_30default_config_static_selectorELNS0_4arch9wavefront6targetE0EEEvT1_.num_vgpr, 0
	.set _ZN7rocprim17ROCPRIM_400000_NS6detail17trampoline_kernelINS0_14default_configENS1_25partition_config_selectorILNS1_17partition_subalgoE5EfNS0_10empty_typeEbEEZZNS1_14partition_implILS5_5ELb0ES3_mN6thrust23THRUST_200600_302600_NS6detail15normal_iteratorINSA_10device_ptrIfEEEEPS6_NSA_18transform_iteratorINSB_9not_fun_tI7is_trueIfEEENSC_INSD_IbEEEENSA_11use_defaultESO_EENS0_5tupleIJNSA_16discard_iteratorISO_EES6_EEENSQ_IJSG_SG_EEES6_PlJS6_EEE10hipError_tPvRmT3_T4_T5_T6_T7_T9_mT8_P12ihipStream_tbDpT10_ENKUlT_T0_E_clISt17integral_constantIbLb0EES1F_EEDaS1A_S1B_EUlS1A_E_NS1_11comp_targetILNS1_3genE2ELNS1_11target_archE906ELNS1_3gpuE6ELNS1_3repE0EEENS1_30default_config_static_selectorELNS0_4arch9wavefront6targetE0EEEvT1_.num_agpr, 0
	.set _ZN7rocprim17ROCPRIM_400000_NS6detail17trampoline_kernelINS0_14default_configENS1_25partition_config_selectorILNS1_17partition_subalgoE5EfNS0_10empty_typeEbEEZZNS1_14partition_implILS5_5ELb0ES3_mN6thrust23THRUST_200600_302600_NS6detail15normal_iteratorINSA_10device_ptrIfEEEEPS6_NSA_18transform_iteratorINSB_9not_fun_tI7is_trueIfEEENSC_INSD_IbEEEENSA_11use_defaultESO_EENS0_5tupleIJNSA_16discard_iteratorISO_EES6_EEENSQ_IJSG_SG_EEES6_PlJS6_EEE10hipError_tPvRmT3_T4_T5_T6_T7_T9_mT8_P12ihipStream_tbDpT10_ENKUlT_T0_E_clISt17integral_constantIbLb0EES1F_EEDaS1A_S1B_EUlS1A_E_NS1_11comp_targetILNS1_3genE2ELNS1_11target_archE906ELNS1_3gpuE6ELNS1_3repE0EEENS1_30default_config_static_selectorELNS0_4arch9wavefront6targetE0EEEvT1_.numbered_sgpr, 0
	.set _ZN7rocprim17ROCPRIM_400000_NS6detail17trampoline_kernelINS0_14default_configENS1_25partition_config_selectorILNS1_17partition_subalgoE5EfNS0_10empty_typeEbEEZZNS1_14partition_implILS5_5ELb0ES3_mN6thrust23THRUST_200600_302600_NS6detail15normal_iteratorINSA_10device_ptrIfEEEEPS6_NSA_18transform_iteratorINSB_9not_fun_tI7is_trueIfEEENSC_INSD_IbEEEENSA_11use_defaultESO_EENS0_5tupleIJNSA_16discard_iteratorISO_EES6_EEENSQ_IJSG_SG_EEES6_PlJS6_EEE10hipError_tPvRmT3_T4_T5_T6_T7_T9_mT8_P12ihipStream_tbDpT10_ENKUlT_T0_E_clISt17integral_constantIbLb0EES1F_EEDaS1A_S1B_EUlS1A_E_NS1_11comp_targetILNS1_3genE2ELNS1_11target_archE906ELNS1_3gpuE6ELNS1_3repE0EEENS1_30default_config_static_selectorELNS0_4arch9wavefront6targetE0EEEvT1_.num_named_barrier, 0
	.set _ZN7rocprim17ROCPRIM_400000_NS6detail17trampoline_kernelINS0_14default_configENS1_25partition_config_selectorILNS1_17partition_subalgoE5EfNS0_10empty_typeEbEEZZNS1_14partition_implILS5_5ELb0ES3_mN6thrust23THRUST_200600_302600_NS6detail15normal_iteratorINSA_10device_ptrIfEEEEPS6_NSA_18transform_iteratorINSB_9not_fun_tI7is_trueIfEEENSC_INSD_IbEEEENSA_11use_defaultESO_EENS0_5tupleIJNSA_16discard_iteratorISO_EES6_EEENSQ_IJSG_SG_EEES6_PlJS6_EEE10hipError_tPvRmT3_T4_T5_T6_T7_T9_mT8_P12ihipStream_tbDpT10_ENKUlT_T0_E_clISt17integral_constantIbLb0EES1F_EEDaS1A_S1B_EUlS1A_E_NS1_11comp_targetILNS1_3genE2ELNS1_11target_archE906ELNS1_3gpuE6ELNS1_3repE0EEENS1_30default_config_static_selectorELNS0_4arch9wavefront6targetE0EEEvT1_.private_seg_size, 0
	.set _ZN7rocprim17ROCPRIM_400000_NS6detail17trampoline_kernelINS0_14default_configENS1_25partition_config_selectorILNS1_17partition_subalgoE5EfNS0_10empty_typeEbEEZZNS1_14partition_implILS5_5ELb0ES3_mN6thrust23THRUST_200600_302600_NS6detail15normal_iteratorINSA_10device_ptrIfEEEEPS6_NSA_18transform_iteratorINSB_9not_fun_tI7is_trueIfEEENSC_INSD_IbEEEENSA_11use_defaultESO_EENS0_5tupleIJNSA_16discard_iteratorISO_EES6_EEENSQ_IJSG_SG_EEES6_PlJS6_EEE10hipError_tPvRmT3_T4_T5_T6_T7_T9_mT8_P12ihipStream_tbDpT10_ENKUlT_T0_E_clISt17integral_constantIbLb0EES1F_EEDaS1A_S1B_EUlS1A_E_NS1_11comp_targetILNS1_3genE2ELNS1_11target_archE906ELNS1_3gpuE6ELNS1_3repE0EEENS1_30default_config_static_selectorELNS0_4arch9wavefront6targetE0EEEvT1_.uses_vcc, 0
	.set _ZN7rocprim17ROCPRIM_400000_NS6detail17trampoline_kernelINS0_14default_configENS1_25partition_config_selectorILNS1_17partition_subalgoE5EfNS0_10empty_typeEbEEZZNS1_14partition_implILS5_5ELb0ES3_mN6thrust23THRUST_200600_302600_NS6detail15normal_iteratorINSA_10device_ptrIfEEEEPS6_NSA_18transform_iteratorINSB_9not_fun_tI7is_trueIfEEENSC_INSD_IbEEEENSA_11use_defaultESO_EENS0_5tupleIJNSA_16discard_iteratorISO_EES6_EEENSQ_IJSG_SG_EEES6_PlJS6_EEE10hipError_tPvRmT3_T4_T5_T6_T7_T9_mT8_P12ihipStream_tbDpT10_ENKUlT_T0_E_clISt17integral_constantIbLb0EES1F_EEDaS1A_S1B_EUlS1A_E_NS1_11comp_targetILNS1_3genE2ELNS1_11target_archE906ELNS1_3gpuE6ELNS1_3repE0EEENS1_30default_config_static_selectorELNS0_4arch9wavefront6targetE0EEEvT1_.uses_flat_scratch, 0
	.set _ZN7rocprim17ROCPRIM_400000_NS6detail17trampoline_kernelINS0_14default_configENS1_25partition_config_selectorILNS1_17partition_subalgoE5EfNS0_10empty_typeEbEEZZNS1_14partition_implILS5_5ELb0ES3_mN6thrust23THRUST_200600_302600_NS6detail15normal_iteratorINSA_10device_ptrIfEEEEPS6_NSA_18transform_iteratorINSB_9not_fun_tI7is_trueIfEEENSC_INSD_IbEEEENSA_11use_defaultESO_EENS0_5tupleIJNSA_16discard_iteratorISO_EES6_EEENSQ_IJSG_SG_EEES6_PlJS6_EEE10hipError_tPvRmT3_T4_T5_T6_T7_T9_mT8_P12ihipStream_tbDpT10_ENKUlT_T0_E_clISt17integral_constantIbLb0EES1F_EEDaS1A_S1B_EUlS1A_E_NS1_11comp_targetILNS1_3genE2ELNS1_11target_archE906ELNS1_3gpuE6ELNS1_3repE0EEENS1_30default_config_static_selectorELNS0_4arch9wavefront6targetE0EEEvT1_.has_dyn_sized_stack, 0
	.set _ZN7rocprim17ROCPRIM_400000_NS6detail17trampoline_kernelINS0_14default_configENS1_25partition_config_selectorILNS1_17partition_subalgoE5EfNS0_10empty_typeEbEEZZNS1_14partition_implILS5_5ELb0ES3_mN6thrust23THRUST_200600_302600_NS6detail15normal_iteratorINSA_10device_ptrIfEEEEPS6_NSA_18transform_iteratorINSB_9not_fun_tI7is_trueIfEEENSC_INSD_IbEEEENSA_11use_defaultESO_EENS0_5tupleIJNSA_16discard_iteratorISO_EES6_EEENSQ_IJSG_SG_EEES6_PlJS6_EEE10hipError_tPvRmT3_T4_T5_T6_T7_T9_mT8_P12ihipStream_tbDpT10_ENKUlT_T0_E_clISt17integral_constantIbLb0EES1F_EEDaS1A_S1B_EUlS1A_E_NS1_11comp_targetILNS1_3genE2ELNS1_11target_archE906ELNS1_3gpuE6ELNS1_3repE0EEENS1_30default_config_static_selectorELNS0_4arch9wavefront6targetE0EEEvT1_.has_recursion, 0
	.set _ZN7rocprim17ROCPRIM_400000_NS6detail17trampoline_kernelINS0_14default_configENS1_25partition_config_selectorILNS1_17partition_subalgoE5EfNS0_10empty_typeEbEEZZNS1_14partition_implILS5_5ELb0ES3_mN6thrust23THRUST_200600_302600_NS6detail15normal_iteratorINSA_10device_ptrIfEEEEPS6_NSA_18transform_iteratorINSB_9not_fun_tI7is_trueIfEEENSC_INSD_IbEEEENSA_11use_defaultESO_EENS0_5tupleIJNSA_16discard_iteratorISO_EES6_EEENSQ_IJSG_SG_EEES6_PlJS6_EEE10hipError_tPvRmT3_T4_T5_T6_T7_T9_mT8_P12ihipStream_tbDpT10_ENKUlT_T0_E_clISt17integral_constantIbLb0EES1F_EEDaS1A_S1B_EUlS1A_E_NS1_11comp_targetILNS1_3genE2ELNS1_11target_archE906ELNS1_3gpuE6ELNS1_3repE0EEENS1_30default_config_static_selectorELNS0_4arch9wavefront6targetE0EEEvT1_.has_indirect_call, 0
	.section	.AMDGPU.csdata,"",@progbits
; Kernel info:
; codeLenInByte = 0
; TotalNumSgprs: 0
; NumVgprs: 0
; ScratchSize: 0
; MemoryBound: 0
; FloatMode: 240
; IeeeMode: 1
; LDSByteSize: 0 bytes/workgroup (compile time only)
; SGPRBlocks: 0
; VGPRBlocks: 0
; NumSGPRsForWavesPerEU: 1
; NumVGPRsForWavesPerEU: 1
; Occupancy: 16
; WaveLimiterHint : 0
; COMPUTE_PGM_RSRC2:SCRATCH_EN: 0
; COMPUTE_PGM_RSRC2:USER_SGPR: 2
; COMPUTE_PGM_RSRC2:TRAP_HANDLER: 0
; COMPUTE_PGM_RSRC2:TGID_X_EN: 1
; COMPUTE_PGM_RSRC2:TGID_Y_EN: 0
; COMPUTE_PGM_RSRC2:TGID_Z_EN: 0
; COMPUTE_PGM_RSRC2:TIDIG_COMP_CNT: 0
	.section	.text._ZN7rocprim17ROCPRIM_400000_NS6detail17trampoline_kernelINS0_14default_configENS1_25partition_config_selectorILNS1_17partition_subalgoE5EfNS0_10empty_typeEbEEZZNS1_14partition_implILS5_5ELb0ES3_mN6thrust23THRUST_200600_302600_NS6detail15normal_iteratorINSA_10device_ptrIfEEEEPS6_NSA_18transform_iteratorINSB_9not_fun_tI7is_trueIfEEENSC_INSD_IbEEEENSA_11use_defaultESO_EENS0_5tupleIJNSA_16discard_iteratorISO_EES6_EEENSQ_IJSG_SG_EEES6_PlJS6_EEE10hipError_tPvRmT3_T4_T5_T6_T7_T9_mT8_P12ihipStream_tbDpT10_ENKUlT_T0_E_clISt17integral_constantIbLb0EES1F_EEDaS1A_S1B_EUlS1A_E_NS1_11comp_targetILNS1_3genE10ELNS1_11target_archE1200ELNS1_3gpuE4ELNS1_3repE0EEENS1_30default_config_static_selectorELNS0_4arch9wavefront6targetE0EEEvT1_,"axG",@progbits,_ZN7rocprim17ROCPRIM_400000_NS6detail17trampoline_kernelINS0_14default_configENS1_25partition_config_selectorILNS1_17partition_subalgoE5EfNS0_10empty_typeEbEEZZNS1_14partition_implILS5_5ELb0ES3_mN6thrust23THRUST_200600_302600_NS6detail15normal_iteratorINSA_10device_ptrIfEEEEPS6_NSA_18transform_iteratorINSB_9not_fun_tI7is_trueIfEEENSC_INSD_IbEEEENSA_11use_defaultESO_EENS0_5tupleIJNSA_16discard_iteratorISO_EES6_EEENSQ_IJSG_SG_EEES6_PlJS6_EEE10hipError_tPvRmT3_T4_T5_T6_T7_T9_mT8_P12ihipStream_tbDpT10_ENKUlT_T0_E_clISt17integral_constantIbLb0EES1F_EEDaS1A_S1B_EUlS1A_E_NS1_11comp_targetILNS1_3genE10ELNS1_11target_archE1200ELNS1_3gpuE4ELNS1_3repE0EEENS1_30default_config_static_selectorELNS0_4arch9wavefront6targetE0EEEvT1_,comdat
	.protected	_ZN7rocprim17ROCPRIM_400000_NS6detail17trampoline_kernelINS0_14default_configENS1_25partition_config_selectorILNS1_17partition_subalgoE5EfNS0_10empty_typeEbEEZZNS1_14partition_implILS5_5ELb0ES3_mN6thrust23THRUST_200600_302600_NS6detail15normal_iteratorINSA_10device_ptrIfEEEEPS6_NSA_18transform_iteratorINSB_9not_fun_tI7is_trueIfEEENSC_INSD_IbEEEENSA_11use_defaultESO_EENS0_5tupleIJNSA_16discard_iteratorISO_EES6_EEENSQ_IJSG_SG_EEES6_PlJS6_EEE10hipError_tPvRmT3_T4_T5_T6_T7_T9_mT8_P12ihipStream_tbDpT10_ENKUlT_T0_E_clISt17integral_constantIbLb0EES1F_EEDaS1A_S1B_EUlS1A_E_NS1_11comp_targetILNS1_3genE10ELNS1_11target_archE1200ELNS1_3gpuE4ELNS1_3repE0EEENS1_30default_config_static_selectorELNS0_4arch9wavefront6targetE0EEEvT1_ ; -- Begin function _ZN7rocprim17ROCPRIM_400000_NS6detail17trampoline_kernelINS0_14default_configENS1_25partition_config_selectorILNS1_17partition_subalgoE5EfNS0_10empty_typeEbEEZZNS1_14partition_implILS5_5ELb0ES3_mN6thrust23THRUST_200600_302600_NS6detail15normal_iteratorINSA_10device_ptrIfEEEEPS6_NSA_18transform_iteratorINSB_9not_fun_tI7is_trueIfEEENSC_INSD_IbEEEENSA_11use_defaultESO_EENS0_5tupleIJNSA_16discard_iteratorISO_EES6_EEENSQ_IJSG_SG_EEES6_PlJS6_EEE10hipError_tPvRmT3_T4_T5_T6_T7_T9_mT8_P12ihipStream_tbDpT10_ENKUlT_T0_E_clISt17integral_constantIbLb0EES1F_EEDaS1A_S1B_EUlS1A_E_NS1_11comp_targetILNS1_3genE10ELNS1_11target_archE1200ELNS1_3gpuE4ELNS1_3repE0EEENS1_30default_config_static_selectorELNS0_4arch9wavefront6targetE0EEEvT1_
	.globl	_ZN7rocprim17ROCPRIM_400000_NS6detail17trampoline_kernelINS0_14default_configENS1_25partition_config_selectorILNS1_17partition_subalgoE5EfNS0_10empty_typeEbEEZZNS1_14partition_implILS5_5ELb0ES3_mN6thrust23THRUST_200600_302600_NS6detail15normal_iteratorINSA_10device_ptrIfEEEEPS6_NSA_18transform_iteratorINSB_9not_fun_tI7is_trueIfEEENSC_INSD_IbEEEENSA_11use_defaultESO_EENS0_5tupleIJNSA_16discard_iteratorISO_EES6_EEENSQ_IJSG_SG_EEES6_PlJS6_EEE10hipError_tPvRmT3_T4_T5_T6_T7_T9_mT8_P12ihipStream_tbDpT10_ENKUlT_T0_E_clISt17integral_constantIbLb0EES1F_EEDaS1A_S1B_EUlS1A_E_NS1_11comp_targetILNS1_3genE10ELNS1_11target_archE1200ELNS1_3gpuE4ELNS1_3repE0EEENS1_30default_config_static_selectorELNS0_4arch9wavefront6targetE0EEEvT1_
	.p2align	8
	.type	_ZN7rocprim17ROCPRIM_400000_NS6detail17trampoline_kernelINS0_14default_configENS1_25partition_config_selectorILNS1_17partition_subalgoE5EfNS0_10empty_typeEbEEZZNS1_14partition_implILS5_5ELb0ES3_mN6thrust23THRUST_200600_302600_NS6detail15normal_iteratorINSA_10device_ptrIfEEEEPS6_NSA_18transform_iteratorINSB_9not_fun_tI7is_trueIfEEENSC_INSD_IbEEEENSA_11use_defaultESO_EENS0_5tupleIJNSA_16discard_iteratorISO_EES6_EEENSQ_IJSG_SG_EEES6_PlJS6_EEE10hipError_tPvRmT3_T4_T5_T6_T7_T9_mT8_P12ihipStream_tbDpT10_ENKUlT_T0_E_clISt17integral_constantIbLb0EES1F_EEDaS1A_S1B_EUlS1A_E_NS1_11comp_targetILNS1_3genE10ELNS1_11target_archE1200ELNS1_3gpuE4ELNS1_3repE0EEENS1_30default_config_static_selectorELNS0_4arch9wavefront6targetE0EEEvT1_,@function
_ZN7rocprim17ROCPRIM_400000_NS6detail17trampoline_kernelINS0_14default_configENS1_25partition_config_selectorILNS1_17partition_subalgoE5EfNS0_10empty_typeEbEEZZNS1_14partition_implILS5_5ELb0ES3_mN6thrust23THRUST_200600_302600_NS6detail15normal_iteratorINSA_10device_ptrIfEEEEPS6_NSA_18transform_iteratorINSB_9not_fun_tI7is_trueIfEEENSC_INSD_IbEEEENSA_11use_defaultESO_EENS0_5tupleIJNSA_16discard_iteratorISO_EES6_EEENSQ_IJSG_SG_EEES6_PlJS6_EEE10hipError_tPvRmT3_T4_T5_T6_T7_T9_mT8_P12ihipStream_tbDpT10_ENKUlT_T0_E_clISt17integral_constantIbLb0EES1F_EEDaS1A_S1B_EUlS1A_E_NS1_11comp_targetILNS1_3genE10ELNS1_11target_archE1200ELNS1_3gpuE4ELNS1_3repE0EEENS1_30default_config_static_selectorELNS0_4arch9wavefront6targetE0EEEvT1_: ; @_ZN7rocprim17ROCPRIM_400000_NS6detail17trampoline_kernelINS0_14default_configENS1_25partition_config_selectorILNS1_17partition_subalgoE5EfNS0_10empty_typeEbEEZZNS1_14partition_implILS5_5ELb0ES3_mN6thrust23THRUST_200600_302600_NS6detail15normal_iteratorINSA_10device_ptrIfEEEEPS6_NSA_18transform_iteratorINSB_9not_fun_tI7is_trueIfEEENSC_INSD_IbEEEENSA_11use_defaultESO_EENS0_5tupleIJNSA_16discard_iteratorISO_EES6_EEENSQ_IJSG_SG_EEES6_PlJS6_EEE10hipError_tPvRmT3_T4_T5_T6_T7_T9_mT8_P12ihipStream_tbDpT10_ENKUlT_T0_E_clISt17integral_constantIbLb0EES1F_EEDaS1A_S1B_EUlS1A_E_NS1_11comp_targetILNS1_3genE10ELNS1_11target_archE1200ELNS1_3gpuE4ELNS1_3repE0EEENS1_30default_config_static_selectorELNS0_4arch9wavefront6targetE0EEEvT1_
; %bb.0:
	s_clause 0x3
	s_load_b128 s[4:7], s[0:1], 0x8
	s_load_b32 s16, s[0:1], 0x78
	s_load_b128 s[8:11], s[0:1], 0x50
	s_load_b64 s[2:3], s[0:1], 0x60
	s_mov_b32 s13, 0
	s_mul_i32 s19, ttmp9, 0xa80
	v_lshlrev_b32_e32 v8, 2, v0
	s_mov_b32 s18, -1
	s_wait_kmcnt 0x0
	s_lshl_b64 s[14:15], s[6:7], 2
	s_mul_i32 s12, s16, 0xa80
	s_load_b64 s[10:11], s[10:11], 0x0
	s_add_co_i32 s17, s12, s6
	s_add_co_i32 s22, s16, -1
	s_sub_co_i32 s17, s2, s17
	s_add_nc_u64 s[20:21], s[6:7], s[12:13]
	s_addk_co_i32 s17, 0xa80
	s_cmp_eq_u32 ttmp9, s22
	v_cmp_gt_u64_e64 s2, s[2:3], s[20:21]
	s_cselect_b32 s16, -1, 0
	s_cmp_lg_u32 ttmp9, s22
	s_mov_b32 s12, s19
	s_cselect_b32 s3, -1, 0
	s_add_nc_u64 s[4:5], s[4:5], s[14:15]
	s_wait_alu 0xfffe
	s_or_b32 s3, s3, s2
	s_lshl_b64 s[14:15], s[12:13], 2
	s_wait_alu 0xfffe
	s_and_b32 vcc_lo, exec_lo, s3
	s_add_nc_u64 s[4:5], s[4:5], s[14:15]
	s_cbranch_vccz .LBB2626_2
; %bb.1:
	v_add_co_u32 v1, s2, s4, v8
	s_wait_alu 0xf1ff
	v_add_co_ci_u32_e64 v2, null, s5, 0, s2
	s_mov_b32 s18, s13
	s_clause 0x6
	flat_load_b32 v3, v[1:2]
	flat_load_b32 v4, v[1:2] offset:1536
	flat_load_b32 v5, v[1:2] offset:3072
	;; [unrolled: 1-line block ×6, first 2 shown]
	s_wait_loadcnt_dscnt 0x505
	ds_store_2addr_stride64_b32 v8, v3, v4 offset1:6
	s_wait_loadcnt_dscnt 0x304
	ds_store_2addr_stride64_b32 v8, v5, v6 offset0:12 offset1:18
	s_wait_loadcnt_dscnt 0x103
	ds_store_2addr_stride64_b32 v8, v7, v9 offset0:24 offset1:30
	s_wait_loadcnt_dscnt 0x3
	ds_store_b32 v8, v1 offset:9216
	s_wait_dscnt 0x0
	s_barrier_signal -1
	s_barrier_wait -1
.LBB2626_2:
	s_load_b64 s[14:15], s[0:1], 0x20
	v_cmp_gt_u32_e64 s2, s17, v0
	s_and_not1_b32 vcc_lo, exec_lo, s18
	s_cbranch_vccnz .LBB2626_18
; %bb.3:
	v_mov_b32_e32 v1, 0
	s_delay_alu instid0(VALU_DEP_1)
	v_dual_mov_b32 v2, v1 :: v_dual_mov_b32 v3, v1
	v_dual_mov_b32 v4, v1 :: v_dual_mov_b32 v5, v1
	;; [unrolled: 1-line block ×3, first 2 shown]
	s_and_saveexec_b32 s18, s2
	s_cbranch_execz .LBB2626_5
; %bb.4:
	v_add_co_u32 v2, s2, s4, v8
	s_wait_alu 0xf1ff
	v_add_co_ci_u32_e64 v3, null, s5, 0, s2
	v_dual_mov_b32 v10, v1 :: v_dual_mov_b32 v11, v1
	v_dual_mov_b32 v12, v1 :: v_dual_mov_b32 v13, v1
	flat_load_b32 v9, v[2:3]
	v_dual_mov_b32 v14, v1 :: v_dual_mov_b32 v15, v1
	s_wait_loadcnt_dscnt 0x0
	v_dual_mov_b32 v1, v9 :: v_dual_mov_b32 v2, v10
	v_dual_mov_b32 v3, v11 :: v_dual_mov_b32 v4, v12
	s_delay_alu instid0(VALU_DEP_3)
	v_dual_mov_b32 v5, v13 :: v_dual_mov_b32 v6, v14
	v_mov_b32_e32 v7, v15
.LBB2626_5:
	s_or_b32 exec_lo, exec_lo, s18
	v_add_nc_u32_e32 v9, 0x180, v0
	s_mov_b32 s2, exec_lo
	s_delay_alu instid0(VALU_DEP_1)
	v_cmpx_gt_u32_e64 s17, v9
	s_cbranch_execz .LBB2626_7
; %bb.6:
	v_add_co_u32 v9, s18, s4, v8
	s_delay_alu instid0(VALU_DEP_1)
	v_add_co_ci_u32_e64 v10, null, s5, 0, s18
	flat_load_b32 v2, v[9:10] offset:1536
.LBB2626_7:
	s_wait_alu 0xfffe
	s_or_b32 exec_lo, exec_lo, s2
	v_add_nc_u32_e32 v9, 0x300, v0
	s_mov_b32 s2, exec_lo
	s_delay_alu instid0(VALU_DEP_1)
	v_cmpx_gt_u32_e64 s17, v9
	s_cbranch_execz .LBB2626_9
; %bb.8:
	v_add_co_u32 v9, s18, s4, v8
	s_wait_alu 0xf1ff
	v_add_co_ci_u32_e64 v10, null, s5, 0, s18
	flat_load_b32 v3, v[9:10] offset:3072
.LBB2626_9:
	s_wait_alu 0xfffe
	s_or_b32 exec_lo, exec_lo, s2
	v_add_nc_u32_e32 v9, 0x480, v0
	s_mov_b32 s2, exec_lo
	s_delay_alu instid0(VALU_DEP_1)
	v_cmpx_gt_u32_e64 s17, v9
	s_cbranch_execz .LBB2626_11
; %bb.10:
	v_add_co_u32 v9, s18, s4, v8
	s_wait_alu 0xf1ff
	v_add_co_ci_u32_e64 v10, null, s5, 0, s18
	flat_load_b32 v4, v[9:10] offset:4608
.LBB2626_11:
	s_wait_alu 0xfffe
	s_or_b32 exec_lo, exec_lo, s2
	v_or_b32_e32 v9, 0x600, v0
	s_mov_b32 s2, exec_lo
	s_delay_alu instid0(VALU_DEP_1)
	v_cmpx_gt_u32_e64 s17, v9
	s_cbranch_execz .LBB2626_13
; %bb.12:
	v_add_co_u32 v9, s18, s4, v8
	s_wait_alu 0xf1ff
	v_add_co_ci_u32_e64 v10, null, s5, 0, s18
	flat_load_b32 v5, v[9:10] offset:6144
.LBB2626_13:
	s_wait_alu 0xfffe
	s_or_b32 exec_lo, exec_lo, s2
	v_add_nc_u32_e32 v9, 0x780, v0
	s_mov_b32 s2, exec_lo
	s_delay_alu instid0(VALU_DEP_1)
	v_cmpx_gt_u32_e64 s17, v9
	s_cbranch_execz .LBB2626_15
; %bb.14:
	v_add_co_u32 v9, s18, s4, v8
	s_wait_alu 0xf1ff
	v_add_co_ci_u32_e64 v10, null, s5, 0, s18
	flat_load_b32 v6, v[9:10] offset:7680
.LBB2626_15:
	s_wait_alu 0xfffe
	s_or_b32 exec_lo, exec_lo, s2
	v_add_nc_u32_e32 v9, 0x900, v0
	s_mov_b32 s2, exec_lo
	s_delay_alu instid0(VALU_DEP_1)
	v_cmpx_gt_u32_e64 s17, v9
	s_cbranch_execz .LBB2626_17
; %bb.16:
	v_add_co_u32 v9, s4, s4, v8
	s_wait_alu 0xf1ff
	v_add_co_ci_u32_e64 v10, null, s5, 0, s4
	flat_load_b32 v7, v[9:10] offset:9216
.LBB2626_17:
	s_wait_alu 0xfffe
	s_or_b32 exec_lo, exec_lo, s2
	s_wait_loadcnt_dscnt 0x0
	ds_store_2addr_stride64_b32 v8, v1, v2 offset1:6
	ds_store_2addr_stride64_b32 v8, v3, v4 offset0:12 offset1:18
	ds_store_2addr_stride64_b32 v8, v5, v6 offset0:24 offset1:30
	ds_store_b32 v8, v7 offset:9216
	s_wait_dscnt 0x0
	s_barrier_signal -1
	s_barrier_wait -1
.LBB2626_18:
	v_mul_u32_u24_e32 v1, 7, v0
	global_inv scope:SCOPE_SE
	s_wait_kmcnt 0x0
	s_add_nc_u64 s[4:5], s[14:15], s[6:7]
	s_and_b32 vcc_lo, exec_lo, s3
	s_wait_alu 0xfffe
	s_add_nc_u64 s[12:13], s[4:5], s[12:13]
	v_lshlrev_b32_e32 v1, 2, v1
	s_mov_b32 s14, -1
	ds_load_2addr_b32 v[13:14], v1 offset1:1
	ds_load_2addr_b32 v[11:12], v1 offset0:2 offset1:3
	ds_load_2addr_b32 v[9:10], v1 offset0:4 offset1:5
	ds_load_b32 v23, v1 offset:24
	s_wait_loadcnt_dscnt 0x0
	s_barrier_signal -1
	s_barrier_wait -1
	global_inv scope:SCOPE_SE
	s_cbranch_vccz .LBB2626_20
; %bb.19:
	s_clause 0x6
	global_load_u8 v2, v0, s[12:13]
	global_load_u8 v3, v0, s[12:13] offset:384
	global_load_u8 v4, v0, s[12:13] offset:768
	global_load_u8 v5, v0, s[12:13] offset:1152
	global_load_u8 v6, v0, s[12:13] offset:1536
	global_load_u8 v7, v0, s[12:13] offset:1920
	global_load_u8 v8, v0, s[12:13] offset:2304
	s_mov_b32 s14, 0
	s_wait_loadcnt 0x6
	v_and_b32_e32 v2, 1, v2
	s_wait_loadcnt 0x5
	v_and_b32_e32 v3, 1, v3
	;; [unrolled: 2-line block ×6, first 2 shown]
	v_cmp_eq_u32_e64 s2, 1, v3
	v_cmp_eq_u32_e64 s3, 1, v4
	;; [unrolled: 1-line block ×3, first 2 shown]
	s_wait_loadcnt 0x0
	v_and_b32_e32 v8, 1, v8
	v_cmp_eq_u32_e32 vcc_lo, 1, v2
	s_xor_b32 s2, s2, -1
	v_cmp_eq_u32_e64 s5, 1, v6
	s_wait_alu 0xfffe
	v_cndmask_b32_e64 v3, 0, 1, s2
	s_xor_b32 s2, s3, -1
	v_cmp_eq_u32_e64 s6, 1, v7
	s_wait_alu 0xfffe
	v_cndmask_b32_e64 v4, 0, 1, s2
	s_xor_b32 s2, s4, -1
	v_cmp_eq_u32_e64 s7, 1, v8
	s_xor_b32 s15, vcc_lo, -1
	s_wait_alu 0xfffe
	v_cndmask_b32_e64 v5, 0, 1, s2
	s_xor_b32 s2, s5, -1
	v_cndmask_b32_e64 v2, 0, 1, s15
	s_wait_alu 0xfffe
	v_cndmask_b32_e64 v6, 0, 1, s2
	s_xor_b32 s2, s6, -1
	s_wait_alu 0xfffe
	v_cndmask_b32_e64 v7, 0, 1, s2
	s_xor_b32 s2, s7, -1
	s_wait_alu 0xfffe
	v_cndmask_b32_e64 v8, 0, 1, s2
	ds_store_b8 v0, v2
	ds_store_b8 v0, v3 offset:384
	ds_store_b8 v0, v4 offset:768
	;; [unrolled: 1-line block ×6, first 2 shown]
	s_wait_dscnt 0x0
	s_barrier_signal -1
	s_barrier_wait -1
.LBB2626_20:
	s_and_not1_b32 vcc_lo, exec_lo, s14
	s_cbranch_vccnz .LBB2626_36
; %bb.21:
	v_mov_b32_e32 v4, 0
	s_mov_b32 s3, 0
	s_mov_b32 s2, exec_lo
	s_delay_alu instid0(VALU_DEP_1)
	v_dual_mov_b32 v3, v4 :: v_dual_mov_b32 v2, v4
	v_cmpx_gt_u32_e64 s17, v0
	s_cbranch_execz .LBB2626_23
; %bb.22:
	global_load_u8 v2, v0, s[12:13]
	s_wait_loadcnt 0x0
	s_wait_alu 0xfffe
	v_dual_mov_b32 v3, s3 :: v_dual_and_b32 v2, 1, v2
	s_delay_alu instid0(VALU_DEP_1) | instskip(SKIP_3) | instid1(VALU_DEP_1)
	v_cmp_eq_u32_e32 vcc_lo, 1, v2
	s_xor_b32 s4, vcc_lo, -1
	s_wait_alu 0xfffe
	v_cndmask_b32_e64 v4, 0, 1, s4
	v_mov_b32_e32 v2, v4
.LBB2626_23:
	s_wait_alu 0xfffe
	s_or_b32 exec_lo, exec_lo, s2
	v_add_nc_u32_e32 v5, 0x180, v0
	s_mov_b32 s2, exec_lo
	s_delay_alu instid0(VALU_DEP_1)
	v_cmpx_gt_u32_e64 s17, v5
	s_cbranch_execz .LBB2626_25
; %bb.24:
	global_load_u8 v5, v0, s[12:13] offset:384
	v_lshrrev_b32_e32 v6, 24, v4
	v_lshrrev_b32_e32 v8, 8, v3
	v_and_b32_e32 v15, 0xff, v3
	v_bfe_u32 v3, v3, 16, 8
	s_delay_alu instid0(VALU_DEP_4) | instskip(NEXT) | instid1(VALU_DEP_4)
	v_lshlrev_b16 v6, 8, v6
	v_lshlrev_b16 v8, 8, v8
	s_wait_loadcnt 0x0
	v_and_b32_e32 v5, 1, v5
	s_delay_alu instid0(VALU_DEP_1) | instskip(SKIP_3) | instid1(VALU_DEP_1)
	v_cmp_eq_u32_e32 vcc_lo, 1, v5
	v_and_b32_e32 v5, 0xff, v4
	v_lshrrev_b32_e32 v4, 16, v4
	s_xor_b32 s3, vcc_lo, -1
	v_and_b32_e32 v4, 0xff, v4
	s_wait_alu 0xfffe
	v_cndmask_b32_e64 v7, 0, 1, s3
	s_delay_alu instid0(VALU_DEP_2) | instskip(NEXT) | instid1(VALU_DEP_2)
	v_or_b32_e32 v4, v4, v6
	v_lshlrev_b16 v7, 8, v7
	v_or_b32_e32 v6, v15, v8
	s_delay_alu instid0(VALU_DEP_3) | instskip(NEXT) | instid1(VALU_DEP_3)
	v_lshlrev_b32_e32 v4, 16, v4
	v_or_b32_e32 v5, v5, v7
	s_delay_alu instid0(VALU_DEP_3) | instskip(NEXT) | instid1(VALU_DEP_2)
	v_and_b32_e32 v6, 0xffff, v6
	v_and_b32_e32 v5, 0xffff, v5
	s_delay_alu instid0(VALU_DEP_2) | instskip(NEXT) | instid1(VALU_DEP_2)
	v_lshl_or_b32 v3, v3, 16, v6
	v_or_b32_e32 v4, v5, v4
.LBB2626_25:
	s_wait_alu 0xfffe
	s_or_b32 exec_lo, exec_lo, s2
	v_add_nc_u32_e32 v5, 0x300, v0
	s_mov_b32 s2, exec_lo
	s_delay_alu instid0(VALU_DEP_1)
	v_cmpx_gt_u32_e64 s17, v5
	s_cbranch_execz .LBB2626_27
; %bb.26:
	global_load_u8 v5, v0, s[12:13] offset:768
	v_lshrrev_b32_e32 v6, 8, v3
	v_lshrrev_b32_e32 v7, 24, v4
	v_perm_b32 v4, v4, v4, 0xc0c0104
	s_delay_alu instid0(VALU_DEP_3) | instskip(NEXT) | instid1(VALU_DEP_3)
	v_lshlrev_b16 v6, 8, v6
	v_lshlrev_b16 v7, 8, v7
	s_wait_loadcnt 0x0
	v_and_b32_e32 v5, 1, v5
	s_delay_alu instid0(VALU_DEP_1) | instskip(SKIP_3) | instid1(VALU_DEP_2)
	v_cmp_eq_u32_e32 vcc_lo, 1, v5
	v_and_b32_e32 v5, 0xff, v3
	v_bfe_u32 v3, v3, 16, 8
	s_xor_b32 s3, vcc_lo, -1
	v_or_b32_e32 v5, v5, v6
	s_wait_alu 0xfffe
	v_cndmask_b32_e64 v8, 0, 1, s3
	s_delay_alu instid0(VALU_DEP_2) | instskip(NEXT) | instid1(VALU_DEP_2)
	v_and_b32_e32 v5, 0xffff, v5
	v_or_b32_e32 v6, v8, v7
	s_delay_alu instid0(VALU_DEP_2) | instskip(NEXT) | instid1(VALU_DEP_2)
	v_lshl_or_b32 v3, v3, 16, v5
	v_lshlrev_b32_e32 v6, 16, v6
	s_delay_alu instid0(VALU_DEP_1)
	v_or_b32_e32 v4, v4, v6
.LBB2626_27:
	s_wait_alu 0xfffe
	s_or_b32 exec_lo, exec_lo, s2
	v_add_nc_u32_e32 v5, 0x480, v0
	s_mov_b32 s2, exec_lo
	s_delay_alu instid0(VALU_DEP_1)
	v_cmpx_gt_u32_e64 s17, v5
	s_cbranch_execz .LBB2626_29
; %bb.28:
	global_load_u8 v5, v0, s[12:13] offset:1152
	v_lshrrev_b32_e32 v6, 16, v4
	v_and_b32_e32 v8, 0xff, v3
	v_perm_b32 v4, v4, v4, 0xc0c0104
	s_delay_alu instid0(VALU_DEP_3) | instskip(SKIP_2) | instid1(VALU_DEP_1)
	v_and_b32_e32 v6, 0xff, v6
	s_wait_loadcnt 0x0
	v_and_b32_e32 v5, 1, v5
	v_cmp_eq_u32_e32 vcc_lo, 1, v5
	v_lshrrev_b32_e32 v5, 8, v3
	v_bfe_u32 v3, v3, 16, 8
	s_xor_b32 s3, vcc_lo, -1
	s_delay_alu instid0(VALU_DEP_2) | instskip(SKIP_2) | instid1(VALU_DEP_2)
	v_lshlrev_b16 v5, 8, v5
	s_wait_alu 0xfffe
	v_cndmask_b32_e64 v7, 0, 1, s3
	v_or_b32_e32 v5, v8, v5
	s_delay_alu instid0(VALU_DEP_2) | instskip(NEXT) | instid1(VALU_DEP_2)
	v_lshlrev_b16 v7, 8, v7
	v_and_b32_e32 v5, 0xffff, v5
	s_delay_alu instid0(VALU_DEP_2) | instskip(NEXT) | instid1(VALU_DEP_2)
	v_or_b32_e32 v6, v6, v7
	v_lshl_or_b32 v3, v3, 16, v5
	s_delay_alu instid0(VALU_DEP_2) | instskip(NEXT) | instid1(VALU_DEP_1)
	v_lshlrev_b32_e32 v6, 16, v6
	v_or_b32_e32 v4, v4, v6
.LBB2626_29:
	s_wait_alu 0xfffe
	s_or_b32 exec_lo, exec_lo, s2
	v_or_b32_e32 v5, 0x600, v0
	s_mov_b32 s2, exec_lo
	s_delay_alu instid0(VALU_DEP_1)
	v_cmpx_gt_u32_e64 s17, v5
	s_cbranch_execz .LBB2626_31
; %bb.30:
	global_load_u8 v5, v0, s[12:13] offset:1536
	v_lshrrev_b32_e32 v6, 8, v3
	v_bfe_u32 v3, v3, 16, 8
	v_perm_b32 v4, v4, v4, 0x3020104
	s_wait_loadcnt 0x0
	v_and_b32_e32 v5, 1, v5
	s_delay_alu instid0(VALU_DEP_1) | instskip(SKIP_4) | instid1(VALU_DEP_1)
	v_cmp_eq_u32_e32 vcc_lo, 1, v5
	v_lshlrev_b16 v5, 8, v6
	s_xor_b32 s3, vcc_lo, -1
	s_wait_alu 0xfffe
	v_cndmask_b32_e64 v6, 0, 1, s3
	v_or_b32_e32 v5, v6, v5
	s_delay_alu instid0(VALU_DEP_1) | instskip(NEXT) | instid1(VALU_DEP_1)
	v_and_b32_e32 v5, 0xffff, v5
	v_lshl_or_b32 v3, v3, 16, v5
.LBB2626_31:
	s_wait_alu 0xfffe
	s_or_b32 exec_lo, exec_lo, s2
	v_add_nc_u32_e32 v5, 0x780, v0
	s_mov_b32 s2, exec_lo
	s_delay_alu instid0(VALU_DEP_1)
	v_cmpx_gt_u32_e64 s17, v5
	s_cbranch_execz .LBB2626_33
; %bb.32:
	global_load_u8 v5, v0, s[12:13] offset:1920
	v_and_b32_e32 v6, 0xff, v3
	v_bfe_u32 v3, v3, 16, 8
	v_perm_b32 v4, v4, v4, 0x3020104
	s_wait_loadcnt 0x0
	v_and_b32_e32 v5, 1, v5
	s_delay_alu instid0(VALU_DEP_1) | instskip(SKIP_3) | instid1(VALU_DEP_1)
	v_cmp_eq_u32_e32 vcc_lo, 1, v5
	s_xor_b32 s3, vcc_lo, -1
	s_wait_alu 0xfffe
	v_cndmask_b32_e64 v5, 0, 1, s3
	v_lshlrev_b16 v5, 8, v5
	s_delay_alu instid0(VALU_DEP_1) | instskip(NEXT) | instid1(VALU_DEP_1)
	v_or_b32_e32 v5, v6, v5
	v_and_b32_e32 v5, 0xffff, v5
	s_delay_alu instid0(VALU_DEP_1)
	v_lshl_or_b32 v3, v3, 16, v5
.LBB2626_33:
	s_wait_alu 0xfffe
	s_or_b32 exec_lo, exec_lo, s2
	v_add_nc_u32_e32 v5, 0x900, v0
	s_mov_b32 s2, exec_lo
	s_delay_alu instid0(VALU_DEP_1)
	v_cmpx_gt_u32_e64 s17, v5
	s_cbranch_execz .LBB2626_35
; %bb.34:
	global_load_u8 v5, v0, s[12:13] offset:2304
	v_lshrrev_b32_e32 v6, 8, v3
	v_and_b32_e32 v3, 0xff, v3
	v_perm_b32 v4, v4, v4, 0x3020104
	s_delay_alu instid0(VALU_DEP_3) | instskip(NEXT) | instid1(VALU_DEP_1)
	v_lshlrev_b16 v6, 8, v6
	v_or_b32_e32 v3, v3, v6
	s_delay_alu instid0(VALU_DEP_1) | instskip(SKIP_2) | instid1(VALU_DEP_1)
	v_and_b32_e32 v3, 0xffff, v3
	s_wait_loadcnt 0x0
	v_and_b32_e32 v5, 1, v5
	v_cmp_eq_u32_e32 vcc_lo, 1, v5
	s_xor_b32 s3, vcc_lo, -1
	s_wait_alu 0xfffe
	v_cndmask_b32_e64 v5, 0, 1, s3
	s_delay_alu instid0(VALU_DEP_1)
	v_lshl_or_b32 v3, v5, 16, v3
.LBB2626_35:
	s_wait_alu 0xfffe
	s_or_b32 exec_lo, exec_lo, s2
	v_lshrrev_b32_e32 v5, 8, v4
	v_lshrrev_b32_e32 v6, 24, v4
	;; [unrolled: 1-line block ×3, first 2 shown]
	ds_store_b8 v0, v2
	ds_store_b8 v0, v5 offset:384
	ds_store_b8_d16_hi v0, v4 offset:768
	ds_store_b8 v0, v6 offset:1152
	ds_store_b8 v0, v3 offset:1536
	;; [unrolled: 1-line block ×3, first 2 shown]
	ds_store_b8_d16_hi v0, v3 offset:2304
	s_wait_loadcnt_dscnt 0x0
	s_barrier_signal -1
	s_barrier_wait -1
.LBB2626_36:
	v_mad_i32_i24 v32, 0xffffffeb, v0, v1
	s_wait_loadcnt 0x0
	global_inv scope:SCOPE_SE
	s_load_b64 s[4:5], s[0:1], 0x70
	v_mbcnt_lo_u32_b32 v31, -1, 0
	s_cmp_lg_u32 ttmp9, 0
	ds_load_u8 v1, v32
	ds_load_u8 v2, v32 offset:1
	ds_load_u8 v3, v32 offset:2
	;; [unrolled: 1-line block ×6, first 2 shown]
	s_mov_b32 s1, -1
	s_wait_loadcnt_dscnt 0x0
	v_and_b32_e32 v33, 15, v31
	s_barrier_signal -1
	s_barrier_wait -1
	global_inv scope:SCOPE_SE
	v_and_b32_e32 v30, 1, v1
	v_dual_mov_b32 v2, 0 :: v_dual_and_b32 v29, 1, v2
	v_and_b32_e32 v27, 1, v3
	v_and_b32_e32 v26, 1, v4
	;; [unrolled: 1-line block ×5, first 2 shown]
	v_add3_u32 v1, v29, v30, v27
	s_delay_alu instid0(VALU_DEP_1) | instskip(NEXT) | instid1(VALU_DEP_1)
	v_add_co_u32 v1, s0, v1, v26
	v_add_co_ci_u32_e64 v3, null, 0, 0, s0
	v_cmp_ne_u32_e64 s0, 0, v33
	s_delay_alu instid0(VALU_DEP_3) | instskip(NEXT) | instid1(VALU_DEP_1)
	v_add_co_u32 v1, vcc_lo, v1, v28
	v_add_co_ci_u32_e64 v3, null, 0, v3, vcc_lo
	s_delay_alu instid0(VALU_DEP_2) | instskip(SKIP_1) | instid1(VALU_DEP_2)
	v_add_co_u32 v1, vcc_lo, v1, v25
	s_wait_alu 0xfffd
	v_add_co_ci_u32_e64 v3, null, 0, v3, vcc_lo
	s_delay_alu instid0(VALU_DEP_2) | instskip(SKIP_1) | instid1(VALU_DEP_2)
	v_add_co_u32 v15, vcc_lo, v1, v24
	s_wait_alu 0xfffd
	v_add_co_ci_u32_e64 v16, null, 0, v3, vcc_lo
	s_cbranch_scc0 .LBB2626_95
; %bb.37:
	v_mov_b32_e32 v3, v15
	v_mov_b32_dpp v1, v15 row_shr:1 row_mask:0xf bank_mask:0xf
	v_mov_b32_dpp v6, v2 row_shr:1 row_mask:0xf bank_mask:0xf
	v_dual_mov_b32 v5, v15 :: v_dual_mov_b32 v4, v16
	s_and_saveexec_b32 s1, s0
; %bb.38:
	s_delay_alu instid0(VALU_DEP_3) | instskip(SKIP_2) | instid1(VALU_DEP_2)
	v_add_co_u32 v5, vcc_lo, v15, v1
	s_wait_alu 0xfffd
	v_add_co_ci_u32_e64 v2, null, 0, v16, vcc_lo
	v_add_co_u32 v1, vcc_lo, 0, v5
	s_wait_alu 0xfffd
	s_delay_alu instid0(VALU_DEP_2) | instskip(NEXT) | instid1(VALU_DEP_1)
	v_add_co_ci_u32_e64 v2, null, v6, v2, vcc_lo
	v_dual_mov_b32 v4, v2 :: v_dual_mov_b32 v3, v1
; %bb.39:
	s_wait_alu 0xfffe
	s_or_b32 exec_lo, exec_lo, s1
	v_mov_b32_dpp v1, v5 row_shr:2 row_mask:0xf bank_mask:0xf
	v_mov_b32_dpp v6, v2 row_shr:2 row_mask:0xf bank_mask:0xf
	v_cmp_lt_u32_e32 vcc_lo, 1, v33
	s_and_saveexec_b32 s2, vcc_lo
; %bb.40:
	s_delay_alu instid0(VALU_DEP_3) | instskip(SKIP_2) | instid1(VALU_DEP_2)
	v_add_co_u32 v5, s1, v3, v1
	s_wait_alu 0xf1ff
	v_add_co_ci_u32_e64 v2, null, 0, v4, s1
	v_add_co_u32 v1, s1, 0, v5
	s_wait_alu 0xf1ff
	s_delay_alu instid0(VALU_DEP_2) | instskip(NEXT) | instid1(VALU_DEP_1)
	v_add_co_ci_u32_e64 v2, null, v6, v2, s1
	v_dual_mov_b32 v4, v2 :: v_dual_mov_b32 v3, v1
; %bb.41:
	s_wait_alu 0xfffe
	s_or_b32 exec_lo, exec_lo, s2
	v_mov_b32_dpp v1, v5 row_shr:4 row_mask:0xf bank_mask:0xf
	v_mov_b32_dpp v6, v2 row_shr:4 row_mask:0xf bank_mask:0xf
	v_cmp_lt_u32_e64 s1, 3, v33
	s_and_saveexec_b32 s3, s1
; %bb.42:
	v_add_co_u32 v5, s2, v3, v1
	s_wait_alu 0xf1ff
	v_add_co_ci_u32_e64 v2, null, 0, v4, s2
	s_delay_alu instid0(VALU_DEP_2) | instskip(SKIP_1) | instid1(VALU_DEP_2)
	v_add_co_u32 v1, s2, 0, v5
	s_wait_alu 0xf1ff
	v_add_co_ci_u32_e64 v2, null, v6, v2, s2
	s_delay_alu instid0(VALU_DEP_1)
	v_dual_mov_b32 v4, v2 :: v_dual_mov_b32 v3, v1
; %bb.43:
	s_wait_alu 0xfffe
	s_or_b32 exec_lo, exec_lo, s3
	v_mov_b32_dpp v6, v5 row_shr:8 row_mask:0xf bank_mask:0xf
	v_mov_b32_dpp v1, v2 row_shr:8 row_mask:0xf bank_mask:0xf
	v_cmp_lt_u32_e64 s2, 7, v33
	s_and_saveexec_b32 s6, s2
; %bb.44:
	v_add_co_u32 v5, s3, v3, v6
	s_wait_alu 0xf1ff
	v_add_co_ci_u32_e64 v2, null, 0, v4, s3
	s_delay_alu instid0(VALU_DEP_2) | instskip(SKIP_1) | instid1(VALU_DEP_2)
	v_add_co_u32 v3, s3, 0, v5
	s_wait_alu 0xf1ff
	v_add_co_ci_u32_e64 v4, null, v1, v2, s3
	s_delay_alu instid0(VALU_DEP_1)
	v_mov_b32_e32 v2, v4
; %bb.45:
	s_or_b32 exec_lo, exec_lo, s6
	ds_swizzle_b32 v6, v5 offset:swizzle(BROADCAST,32,15)
	ds_swizzle_b32 v1, v2 offset:swizzle(BROADCAST,32,15)
	v_and_b32_e32 v2, 16, v31
	s_mov_b32 s6, exec_lo
	s_delay_alu instid0(VALU_DEP_1)
	v_cmpx_ne_u32_e32 0, v2
	s_cbranch_execz .LBB2626_47
; %bb.46:
	s_wait_dscnt 0x1
	v_add_co_u32 v5, s3, v3, v6
	s_wait_alu 0xf1ff
	v_add_co_ci_u32_e64 v2, null, 0, v4, s3
	s_delay_alu instid0(VALU_DEP_2) | instskip(SKIP_2) | instid1(VALU_DEP_2)
	v_add_co_u32 v3, s3, 0, v5
	s_wait_dscnt 0x0
	s_wait_alu 0xf1ff
	v_add_co_ci_u32_e64 v4, null, v1, v2, s3
.LBB2626_47:
	s_or_b32 exec_lo, exec_lo, s6
	s_wait_dscnt 0x0
	v_and_b32_e32 v1, 0x1e0, v0
	v_lshrrev_b32_e32 v6, 5, v0
	s_mov_b32 s6, exec_lo
	s_delay_alu instid0(VALU_DEP_2) | instskip(NEXT) | instid1(VALU_DEP_1)
	v_min_u32_e32 v1, 0x160, v1
	v_or_b32_e32 v1, 31, v1
	s_delay_alu instid0(VALU_DEP_1)
	v_cmpx_eq_u32_e64 v0, v1
; %bb.48:
	v_lshlrev_b32_e32 v1, 3, v6
	ds_store_b64 v1, v[3:4]
; %bb.49:
	s_or_b32 exec_lo, exec_lo, s6
	s_delay_alu instid0(SALU_CYCLE_1)
	s_mov_b32 s6, exec_lo
	s_wait_loadcnt_dscnt 0x0
	s_barrier_signal -1
	s_barrier_wait -1
	global_inv scope:SCOPE_SE
	v_cmpx_gt_u32_e32 12, v0
	s_cbranch_execz .LBB2626_59
; %bb.50:
	v_lshlrev_b32_e32 v3, 3, v0
	ds_load_b64 v[1:2], v3
	s_wait_dscnt 0x0
	v_mov_b32_dpp v8, v1 row_shr:1 row_mask:0xf bank_mask:0xf
	v_mov_b32_dpp v7, v2 row_shr:1 row_mask:0xf bank_mask:0xf
	v_mov_b32_e32 v4, v1
	s_and_saveexec_b32 s7, s0
; %bb.51:
	s_delay_alu instid0(VALU_DEP_3) | instskip(SKIP_2) | instid1(VALU_DEP_2)
	v_add_co_u32 v4, s3, v1, v8
	s_wait_alu 0xf1ff
	v_add_co_ci_u32_e64 v2, null, 0, v2, s3
	v_add_co_u32 v1, s3, 0, v4
	s_wait_alu 0xf1ff
	s_delay_alu instid0(VALU_DEP_2)
	v_add_co_ci_u32_e64 v2, null, v7, v2, s3
; %bb.52:
	s_or_b32 exec_lo, exec_lo, s7
	v_mov_b32_dpp v8, v4 row_shr:2 row_mask:0xf bank_mask:0xf
	s_delay_alu instid0(VALU_DEP_2)
	v_mov_b32_dpp v7, v2 row_shr:2 row_mask:0xf bank_mask:0xf
	s_and_saveexec_b32 s3, vcc_lo
; %bb.53:
	s_delay_alu instid0(VALU_DEP_2) | instskip(SKIP_2) | instid1(VALU_DEP_2)
	v_add_co_u32 v4, vcc_lo, v1, v8
	s_wait_alu 0xfffd
	v_add_co_ci_u32_e64 v2, null, 0, v2, vcc_lo
	v_add_co_u32 v1, vcc_lo, 0, v4
	s_wait_alu 0xfffd
	s_delay_alu instid0(VALU_DEP_2)
	v_add_co_ci_u32_e64 v2, null, v7, v2, vcc_lo
; %bb.54:
	s_wait_alu 0xfffe
	s_or_b32 exec_lo, exec_lo, s3
	v_mov_b32_dpp v8, v4 row_shr:4 row_mask:0xf bank_mask:0xf
	s_delay_alu instid0(VALU_DEP_2)
	v_mov_b32_dpp v7, v2 row_shr:4 row_mask:0xf bank_mask:0xf
	s_and_saveexec_b32 s3, s1
; %bb.55:
	s_delay_alu instid0(VALU_DEP_2) | instskip(SKIP_2) | instid1(VALU_DEP_2)
	v_add_co_u32 v4, vcc_lo, v1, v8
	s_wait_alu 0xfffd
	v_add_co_ci_u32_e64 v2, null, 0, v2, vcc_lo
	v_add_co_u32 v1, vcc_lo, 0, v4
	s_wait_alu 0xfffd
	s_delay_alu instid0(VALU_DEP_2)
	v_add_co_ci_u32_e64 v2, null, v7, v2, vcc_lo
; %bb.56:
	s_wait_alu 0xfffe
	s_or_b32 exec_lo, exec_lo, s3
	v_mov_b32_dpp v7, v4 row_shr:8 row_mask:0xf bank_mask:0xf
	s_delay_alu instid0(VALU_DEP_2)
	v_mov_b32_dpp v4, v2 row_shr:8 row_mask:0xf bank_mask:0xf
	s_and_saveexec_b32 s1, s2
; %bb.57:
	s_delay_alu instid0(VALU_DEP_2) | instskip(SKIP_2) | instid1(VALU_DEP_2)
	v_add_co_u32 v1, vcc_lo, v1, v7
	s_wait_alu 0xfffd
	v_add_co_ci_u32_e64 v2, null, 0, v2, vcc_lo
	v_add_co_u32 v1, vcc_lo, v1, 0
	s_wait_alu 0xfffd
	s_delay_alu instid0(VALU_DEP_2)
	v_add_co_ci_u32_e64 v2, null, v2, v4, vcc_lo
; %bb.58:
	s_wait_alu 0xfffe
	s_or_b32 exec_lo, exec_lo, s1
	ds_store_b64 v3, v[1:2]
.LBB2626_59:
	s_or_b32 exec_lo, exec_lo, s6
	s_delay_alu instid0(SALU_CYCLE_1)
	s_mov_b32 s2, exec_lo
	v_cmp_gt_u32_e32 vcc_lo, 32, v0
	s_wait_loadcnt_dscnt 0x0
	s_barrier_signal -1
	s_barrier_wait -1
	global_inv scope:SCOPE_SE
                                        ; implicit-def: $vgpr17_vgpr18
	v_cmpx_lt_u32_e32 31, v0
	s_cbranch_execz .LBB2626_61
; %bb.60:
	v_lshl_add_u32 v1, v6, 3, -8
	ds_load_b64 v[17:18], v1
	s_wait_dscnt 0x0
	v_add_nc_u32_e32 v5, v5, v17
.LBB2626_61:
	s_wait_alu 0xfffe
	s_or_b32 exec_lo, exec_lo, s2
	v_sub_co_u32 v1, s1, v31, 1
	s_delay_alu instid0(VALU_DEP_1) | instskip(SKIP_1) | instid1(VALU_DEP_1)
	v_cmp_gt_i32_e64 s2, 0, v1
	s_wait_alu 0xf1ff
	v_cndmask_b32_e64 v1, v1, v31, s2
	s_delay_alu instid0(VALU_DEP_1)
	v_lshlrev_b32_e32 v1, 2, v1
	ds_bpermute_b32 v34, v1, v5
	s_and_saveexec_b32 s2, vcc_lo
	s_cbranch_execz .LBB2626_100
; %bb.62:
	v_mov_b32_e32 v4, 0
	ds_load_b64 v[1:2], v4 offset:88
	s_and_saveexec_b32 s3, s1
	s_cbranch_execz .LBB2626_64
; %bb.63:
	s_add_co_i32 s6, ttmp9, 32
	s_mov_b32 s7, 0
	s_delay_alu instid0(SALU_CYCLE_1)
	s_lshl_b64 s[6:7], s[6:7], 4
	s_wait_kmcnt 0x0
	s_add_nc_u64 s[6:7], s[4:5], s[6:7]
	v_mov_b32_e32 v3, 1
	v_dual_mov_b32 v5, s6 :: v_dual_mov_b32 v6, s7
	s_wait_dscnt 0x0
	;;#ASMSTART
	global_store_b128 v[5:6], v[1:4] off scope:SCOPE_DEV	
s_wait_storecnt 0x0
	;;#ASMEND
.LBB2626_64:
	s_wait_alu 0xfffe
	s_or_b32 exec_lo, exec_lo, s3
	v_xad_u32 v19, v31, -1, ttmp9
	s_mov_b32 s6, 0
	s_mov_b32 s3, exec_lo
	s_delay_alu instid0(VALU_DEP_1) | instskip(NEXT) | instid1(VALU_DEP_1)
	v_add_nc_u32_e32 v3, 32, v19
	v_lshlrev_b64_e32 v[3:4], 4, v[3:4]
	s_wait_kmcnt 0x0
	s_delay_alu instid0(VALU_DEP_1) | instskip(SKIP_1) | instid1(VALU_DEP_2)
	v_add_co_u32 v3, vcc_lo, s4, v3
	s_wait_alu 0xfffd
	v_add_co_ci_u32_e64 v4, null, s5, v4, vcc_lo
	;;#ASMSTART
	global_load_b128 v[5:8], v[3:4] off scope:SCOPE_DEV	
s_wait_loadcnt 0x0
	;;#ASMEND
	v_and_b32_e32 v8, 0xff, v7
	s_delay_alu instid0(VALU_DEP_1)
	v_cmpx_eq_u16_e32 0, v8
	s_cbranch_execz .LBB2626_67
.LBB2626_65:                            ; =>This Inner Loop Header: Depth=1
	;;#ASMSTART
	global_load_b128 v[5:8], v[3:4] off scope:SCOPE_DEV	
s_wait_loadcnt 0x0
	;;#ASMEND
	v_and_b32_e32 v8, 0xff, v7
	s_delay_alu instid0(VALU_DEP_1)
	v_cmp_ne_u16_e32 vcc_lo, 0, v8
	s_wait_alu 0xfffe
	s_or_b32 s6, vcc_lo, s6
	s_wait_alu 0xfffe
	s_and_not1_b32 exec_lo, exec_lo, s6
	s_cbranch_execnz .LBB2626_65
; %bb.66:
	s_or_b32 exec_lo, exec_lo, s6
.LBB2626_67:
	s_wait_alu 0xfffe
	s_or_b32 exec_lo, exec_lo, s3
	v_cmp_ne_u32_e32 vcc_lo, 31, v31
	v_and_b32_e32 v4, 0xff, v7
	v_lshlrev_b32_e64 v36, v31, -1
	s_mov_b32 s3, exec_lo
	s_wait_alu 0xfffd
	v_add_co_ci_u32_e64 v3, null, 0, v31, vcc_lo
	v_cmp_eq_u16_e32 vcc_lo, 2, v4
	s_delay_alu instid0(VALU_DEP_2)
	v_dual_mov_b32 v4, v5 :: v_dual_lshlrev_b32 v35, 2, v3
	s_wait_alu 0xfffd
	v_and_or_b32 v3, vcc_lo, v36, 0x80000000
	ds_bpermute_b32 v20, v35, v5
	ds_bpermute_b32 v8, v35, v6
	v_ctz_i32_b32_e32 v3, v3
	s_delay_alu instid0(VALU_DEP_1)
	v_cmpx_lt_u32_e64 v31, v3
	s_cbranch_execz .LBB2626_69
; %bb.68:
	s_wait_dscnt 0x1
	v_add_co_u32 v4, vcc_lo, v5, v20
	s_wait_alu 0xfffd
	v_add_co_ci_u32_e64 v6, null, 0, v6, vcc_lo
	s_delay_alu instid0(VALU_DEP_2) | instskip(SKIP_2) | instid1(VALU_DEP_2)
	v_add_co_u32 v5, vcc_lo, 0, v4
	s_wait_dscnt 0x0
	s_wait_alu 0xfffd
	v_add_co_ci_u32_e64 v6, null, v8, v6, vcc_lo
.LBB2626_69:
	s_wait_alu 0xfffe
	s_or_b32 exec_lo, exec_lo, s3
	v_cmp_gt_u32_e32 vcc_lo, 30, v31
	v_add_nc_u32_e32 v38, 2, v31
	s_mov_b32 s3, exec_lo
	s_wait_dscnt 0x0
	s_wait_alu 0xfffd
	v_cndmask_b32_e64 v8, 0, 2, vcc_lo
	s_delay_alu instid0(VALU_DEP_1)
	v_add_lshl_u32 v37, v8, v31, 2
	ds_bpermute_b32 v20, v37, v4
	ds_bpermute_b32 v8, v37, v6
	v_cmpx_le_u32_e64 v38, v3
	s_cbranch_execz .LBB2626_71
; %bb.70:
	s_wait_dscnt 0x1
	v_add_co_u32 v4, vcc_lo, v5, v20
	s_wait_alu 0xfffd
	v_add_co_ci_u32_e64 v6, null, 0, v6, vcc_lo
	s_delay_alu instid0(VALU_DEP_2) | instskip(SKIP_2) | instid1(VALU_DEP_2)
	v_add_co_u32 v5, vcc_lo, 0, v4
	s_wait_dscnt 0x0
	s_wait_alu 0xfffd
	v_add_co_ci_u32_e64 v6, null, v8, v6, vcc_lo
.LBB2626_71:
	s_wait_alu 0xfffe
	s_or_b32 exec_lo, exec_lo, s3
	v_cmp_gt_u32_e32 vcc_lo, 28, v31
	v_add_nc_u32_e32 v40, 4, v31
	s_mov_b32 s3, exec_lo
	s_wait_dscnt 0x0
	s_wait_alu 0xfffd
	v_cndmask_b32_e64 v8, 0, 4, vcc_lo
	s_delay_alu instid0(VALU_DEP_1)
	v_add_lshl_u32 v39, v8, v31, 2
	ds_bpermute_b32 v20, v39, v4
	ds_bpermute_b32 v8, v39, v6
	v_cmpx_le_u32_e64 v40, v3
	;; [unrolled: 25-line block ×3, first 2 shown]
	s_cbranch_execz .LBB2626_75
; %bb.74:
	s_wait_dscnt 0x1
	v_add_co_u32 v4, vcc_lo, v5, v20
	s_wait_alu 0xfffd
	v_add_co_ci_u32_e64 v6, null, 0, v6, vcc_lo
	s_delay_alu instid0(VALU_DEP_2) | instskip(SKIP_2) | instid1(VALU_DEP_2)
	v_add_co_u32 v5, vcc_lo, 0, v4
	s_wait_dscnt 0x0
	s_wait_alu 0xfffd
	v_add_co_ci_u32_e64 v6, null, v8, v6, vcc_lo
.LBB2626_75:
	s_wait_alu 0xfffe
	s_or_b32 exec_lo, exec_lo, s3
	v_lshl_or_b32 v43, v31, 2, 64
	v_add_nc_u32_e32 v44, 16, v31
	s_mov_b32 s3, exec_lo
	s_wait_dscnt 0x0
	ds_bpermute_b32 v8, v43, v4
	ds_bpermute_b32 v4, v43, v6
	v_cmpx_le_u32_e64 v44, v3
	s_cbranch_execz .LBB2626_77
; %bb.76:
	s_wait_dscnt 0x1
	v_add_co_u32 v3, vcc_lo, v5, v8
	s_wait_alu 0xfffd
	v_add_co_ci_u32_e64 v6, null, 0, v6, vcc_lo
	s_delay_alu instid0(VALU_DEP_2) | instskip(SKIP_2) | instid1(VALU_DEP_2)
	v_add_co_u32 v5, vcc_lo, v3, 0
	s_wait_dscnt 0x0
	s_wait_alu 0xfffd
	v_add_co_ci_u32_e64 v6, null, v6, v4, vcc_lo
.LBB2626_77:
	s_wait_alu 0xfffe
	s_or_b32 exec_lo, exec_lo, s3
	v_mov_b32_e32 v20, 0
	s_branch .LBB2626_80
.LBB2626_78:                            ;   in Loop: Header=BB2626_80 Depth=1
	s_wait_alu 0xfffe
	s_or_b32 exec_lo, exec_lo, s3
	v_add_co_u32 v5, vcc_lo, v5, v3
	v_subrev_nc_u32_e32 v19, 32, v19
	s_wait_alu 0xfffd
	v_add_co_ci_u32_e64 v6, null, v6, v4, vcc_lo
	s_mov_b32 s3, 0
.LBB2626_79:                            ;   in Loop: Header=BB2626_80 Depth=1
	s_wait_alu 0xfffe
	s_and_b32 vcc_lo, exec_lo, s3
	s_wait_alu 0xfffe
	s_cbranch_vccnz .LBB2626_96
.LBB2626_80:                            ; =>This Loop Header: Depth=1
                                        ;     Child Loop BB2626_83 Depth 2
	v_and_b32_e32 v3, 0xff, v7
	s_mov_b32 s3, -1
	s_delay_alu instid0(VALU_DEP_1)
	v_cmp_ne_u16_e32 vcc_lo, 2, v3
	s_wait_dscnt 0x0
	v_dual_mov_b32 v3, v5 :: v_dual_mov_b32 v4, v6
                                        ; implicit-def: $vgpr5_vgpr6
	s_cmp_lg_u32 vcc_lo, exec_lo
	s_cbranch_scc1 .LBB2626_79
; %bb.81:                               ;   in Loop: Header=BB2626_80 Depth=1
	v_lshlrev_b64_e32 v[5:6], 4, v[19:20]
	s_mov_b32 s3, exec_lo
	s_delay_alu instid0(VALU_DEP_1) | instskip(SKIP_1) | instid1(VALU_DEP_2)
	v_add_co_u32 v21, vcc_lo, s4, v5
	s_wait_alu 0xfffd
	v_add_co_ci_u32_e64 v22, null, s5, v6, vcc_lo
	;;#ASMSTART
	global_load_b128 v[5:8], v[21:22] off scope:SCOPE_DEV	
s_wait_loadcnt 0x0
	;;#ASMEND
	v_and_b32_e32 v8, 0xff, v7
	s_delay_alu instid0(VALU_DEP_1)
	v_cmpx_eq_u16_e32 0, v8
	s_cbranch_execz .LBB2626_85
; %bb.82:                               ;   in Loop: Header=BB2626_80 Depth=1
	s_mov_b32 s6, 0
.LBB2626_83:                            ;   Parent Loop BB2626_80 Depth=1
                                        ; =>  This Inner Loop Header: Depth=2
	;;#ASMSTART
	global_load_b128 v[5:8], v[21:22] off scope:SCOPE_DEV	
s_wait_loadcnt 0x0
	;;#ASMEND
	v_and_b32_e32 v8, 0xff, v7
	s_delay_alu instid0(VALU_DEP_1)
	v_cmp_ne_u16_e32 vcc_lo, 0, v8
	s_wait_alu 0xfffe
	s_or_b32 s6, vcc_lo, s6
	s_wait_alu 0xfffe
	s_and_not1_b32 exec_lo, exec_lo, s6
	s_cbranch_execnz .LBB2626_83
; %bb.84:                               ;   in Loop: Header=BB2626_80 Depth=1
	s_or_b32 exec_lo, exec_lo, s6
.LBB2626_85:                            ;   in Loop: Header=BB2626_80 Depth=1
	s_wait_alu 0xfffe
	s_or_b32 exec_lo, exec_lo, s3
	v_dual_mov_b32 v21, v5 :: v_dual_and_b32 v8, 0xff, v7
	ds_bpermute_b32 v45, v35, v5
	ds_bpermute_b32 v22, v35, v6
	s_mov_b32 s3, exec_lo
	v_cmp_eq_u16_e32 vcc_lo, 2, v8
	s_wait_alu 0xfffd
	v_and_or_b32 v8, vcc_lo, v36, 0x80000000
	s_delay_alu instid0(VALU_DEP_1) | instskip(NEXT) | instid1(VALU_DEP_1)
	v_ctz_i32_b32_e32 v8, v8
	v_cmpx_lt_u32_e64 v31, v8
	s_cbranch_execz .LBB2626_87
; %bb.86:                               ;   in Loop: Header=BB2626_80 Depth=1
	s_wait_dscnt 0x1
	v_add_co_u32 v21, vcc_lo, v5, v45
	s_wait_alu 0xfffd
	v_add_co_ci_u32_e64 v6, null, 0, v6, vcc_lo
	s_delay_alu instid0(VALU_DEP_2) | instskip(SKIP_2) | instid1(VALU_DEP_2)
	v_add_co_u32 v5, vcc_lo, 0, v21
	s_wait_dscnt 0x0
	s_wait_alu 0xfffd
	v_add_co_ci_u32_e64 v6, null, v22, v6, vcc_lo
.LBB2626_87:                            ;   in Loop: Header=BB2626_80 Depth=1
	s_wait_alu 0xfffe
	s_or_b32 exec_lo, exec_lo, s3
	s_wait_dscnt 0x1
	ds_bpermute_b32 v45, v37, v21
	s_wait_dscnt 0x1
	ds_bpermute_b32 v22, v37, v6
	s_mov_b32 s3, exec_lo
	v_cmpx_le_u32_e64 v38, v8
	s_cbranch_execz .LBB2626_89
; %bb.88:                               ;   in Loop: Header=BB2626_80 Depth=1
	s_wait_dscnt 0x1
	v_add_co_u32 v21, vcc_lo, v5, v45
	s_wait_alu 0xfffd
	v_add_co_ci_u32_e64 v6, null, 0, v6, vcc_lo
	s_delay_alu instid0(VALU_DEP_2) | instskip(SKIP_2) | instid1(VALU_DEP_2)
	v_add_co_u32 v5, vcc_lo, 0, v21
	s_wait_dscnt 0x0
	s_wait_alu 0xfffd
	v_add_co_ci_u32_e64 v6, null, v22, v6, vcc_lo
.LBB2626_89:                            ;   in Loop: Header=BB2626_80 Depth=1
	s_wait_alu 0xfffe
	s_or_b32 exec_lo, exec_lo, s3
	s_wait_dscnt 0x1
	ds_bpermute_b32 v45, v39, v21
	s_wait_dscnt 0x1
	ds_bpermute_b32 v22, v39, v6
	s_mov_b32 s3, exec_lo
	v_cmpx_le_u32_e64 v40, v8
	;; [unrolled: 20-line block ×3, first 2 shown]
	s_cbranch_execz .LBB2626_93
; %bb.92:                               ;   in Loop: Header=BB2626_80 Depth=1
	s_wait_dscnt 0x1
	v_add_co_u32 v21, vcc_lo, v5, v45
	s_wait_alu 0xfffd
	v_add_co_ci_u32_e64 v6, null, 0, v6, vcc_lo
	s_delay_alu instid0(VALU_DEP_2) | instskip(SKIP_2) | instid1(VALU_DEP_2)
	v_add_co_u32 v5, vcc_lo, 0, v21
	s_wait_dscnt 0x0
	s_wait_alu 0xfffd
	v_add_co_ci_u32_e64 v6, null, v22, v6, vcc_lo
.LBB2626_93:                            ;   in Loop: Header=BB2626_80 Depth=1
	s_wait_alu 0xfffe
	s_or_b32 exec_lo, exec_lo, s3
	s_wait_dscnt 0x0
	ds_bpermute_b32 v22, v43, v21
	ds_bpermute_b32 v21, v43, v6
	s_mov_b32 s3, exec_lo
	v_cmpx_le_u32_e64 v44, v8
	s_cbranch_execz .LBB2626_78
; %bb.94:                               ;   in Loop: Header=BB2626_80 Depth=1
	s_wait_dscnt 0x1
	v_add_co_u32 v5, vcc_lo, v5, v22
	s_wait_alu 0xfffd
	v_add_co_ci_u32_e64 v6, null, 0, v6, vcc_lo
	s_delay_alu instid0(VALU_DEP_2) | instskip(SKIP_2) | instid1(VALU_DEP_2)
	v_add_co_u32 v5, vcc_lo, v5, 0
	s_wait_dscnt 0x0
	s_wait_alu 0xfffd
	v_add_co_ci_u32_e64 v6, null, v6, v21, vcc_lo
	s_branch .LBB2626_78
.LBB2626_95:
                                        ; implicit-def: $vgpr17_vgpr18
                                        ; implicit-def: $vgpr5_vgpr6
                                        ; implicit-def: $vgpr3_vgpr4
                                        ; implicit-def: $vgpr18_vgpr19
                                        ; implicit-def: $vgpr6_vgpr7
                                        ; implicit-def: $vgpr19_vgpr20
                                        ; implicit-def: $vgpr7_vgpr8
                                        ; implicit-def: $vgpr20_vgpr21
	s_and_b32 vcc_lo, exec_lo, s1
	s_wait_alu 0xfffe
	s_cbranch_vccnz .LBB2626_101
	s_branch .LBB2626_128
.LBB2626_96:
	s_and_saveexec_b32 s3, s1
	s_cbranch_execz .LBB2626_98
; %bb.97:
	s_add_co_i32 s6, ttmp9, 32
	s_mov_b32 s7, 0
	v_add_co_u32 v5, vcc_lo, v3, v1
	s_wait_alu 0xfffe
	s_lshl_b64 s[6:7], s[6:7], 4
	v_dual_mov_b32 v7, 2 :: v_dual_mov_b32 v8, 0
	s_wait_alu 0xfffe
	s_add_nc_u64 s[6:7], s[4:5], s[6:7]
	s_wait_alu 0xfffd
	v_add_co_ci_u32_e64 v6, null, v4, v2, vcc_lo
	s_wait_alu 0xfffe
	v_dual_mov_b32 v20, s7 :: v_dual_mov_b32 v19, s6
	;;#ASMSTART
	global_store_b128 v[19:20], v[5:8] off scope:SCOPE_DEV	
s_wait_storecnt 0x0
	;;#ASMEND
	ds_store_b128 v8, v[1:4] offset:10752
.LBB2626_98:
	s_wait_alu 0xfffe
	s_or_b32 exec_lo, exec_lo, s3
	v_cmp_eq_u32_e32 vcc_lo, 0, v0
	s_and_b32 exec_lo, exec_lo, vcc_lo
; %bb.99:
	v_mov_b32_e32 v1, 0
	ds_store_b64 v1, v[3:4] offset:88
.LBB2626_100:
	s_wait_alu 0xfffe
	s_or_b32 exec_lo, exec_lo, s2
	s_wait_dscnt 0x0
	v_cndmask_b32_e64 v4, v34, v17, s1
	v_cmp_ne_u32_e32 vcc_lo, 0, v0
	v_mov_b32_e32 v3, 0
	s_wait_loadcnt 0x0
	s_barrier_signal -1
	s_barrier_wait -1
	global_inv scope:SCOPE_SE
	s_wait_alu 0xfffd
	v_cndmask_b32_e32 v4, 0, v4, vcc_lo
	ds_load_b64 v[1:2], v3 offset:88
	v_cndmask_b32_e64 v5, 0, v18, s1
	s_wait_loadcnt_dscnt 0x0
	s_barrier_signal -1
	s_barrier_wait -1
	global_inv scope:SCOPE_SE
	v_cndmask_b32_e32 v5, 0, v5, vcc_lo
	v_add_co_u32 v20, vcc_lo, v1, v4
	s_wait_alu 0xfffd
	s_delay_alu instid0(VALU_DEP_2) | instskip(NEXT) | instid1(VALU_DEP_2)
	v_add_co_ci_u32_e64 v1, null, v2, v5, vcc_lo
	v_add_co_u32 v19, vcc_lo, v20, v30
	s_wait_alu 0xfffd
	s_delay_alu instid0(VALU_DEP_2) | instskip(NEXT) | instid1(VALU_DEP_2)
	v_add_co_ci_u32_e64 v1, null, 0, v1, vcc_lo
	v_add_co_u32 v18, vcc_lo, v19, v29
	s_wait_alu 0xfffd
	s_delay_alu instid0(VALU_DEP_2) | instskip(SKIP_4) | instid1(VALU_DEP_2)
	v_add_co_ci_u32_e64 v5, null, 0, v1, vcc_lo
	ds_load_b128 v[1:4], v3 offset:10752
	v_add_co_u32 v17, vcc_lo, v18, v27
	s_wait_alu 0xfffd
	v_add_co_ci_u32_e64 v5, null, 0, v5, vcc_lo
	v_add_co_u32 v7, vcc_lo, v17, v26
	s_wait_alu 0xfffd
	s_delay_alu instid0(VALU_DEP_2) | instskip(NEXT) | instid1(VALU_DEP_2)
	v_add_co_ci_u32_e64 v5, null, 0, v5, vcc_lo
	v_add_co_u32 v6, vcc_lo, v7, v28
	s_wait_alu 0xfffd
	s_delay_alu instid0(VALU_DEP_2) | instskip(NEXT) | instid1(VALU_DEP_2)
	v_add_co_ci_u32_e64 v8, null, 0, v5, vcc_lo
	v_add_co_u32 v5, vcc_lo, v6, v25
	s_wait_alu 0xfffd
	s_delay_alu instid0(VALU_DEP_2)
	v_add_co_ci_u32_e64 v8, null, 0, v8, vcc_lo
	s_branch .LBB2626_128
.LBB2626_101:
	s_wait_dscnt 0x0
	v_dual_mov_b32 v2, 0 :: v_dual_mov_b32 v3, v15
	v_mov_b32_dpp v4, v15 row_shr:1 row_mask:0xf bank_mask:0xf
	s_delay_alu instid0(VALU_DEP_2)
	v_mov_b32_dpp v1, v2 row_shr:1 row_mask:0xf bank_mask:0xf
	s_and_saveexec_b32 s1, s0
; %bb.102:
	s_delay_alu instid0(VALU_DEP_2) | instskip(SKIP_2) | instid1(VALU_DEP_2)
	v_add_co_u32 v3, vcc_lo, v15, v4
	s_wait_alu 0xfffd
	v_add_co_ci_u32_e64 v2, null, 0, v16, vcc_lo
	v_add_co_u32 v15, vcc_lo, 0, v3
	s_wait_alu 0xfffd
	s_delay_alu instid0(VALU_DEP_2) | instskip(NEXT) | instid1(VALU_DEP_1)
	v_add_co_ci_u32_e64 v16, null, v1, v2, vcc_lo
	v_mov_b32_e32 v2, v16
; %bb.103:
	s_wait_alu 0xfffe
	s_or_b32 exec_lo, exec_lo, s1
	v_mov_b32_dpp v1, v3 row_shr:2 row_mask:0xf bank_mask:0xf
	s_delay_alu instid0(VALU_DEP_2)
	v_mov_b32_dpp v4, v2 row_shr:2 row_mask:0xf bank_mask:0xf
	v_cmp_lt_u32_e32 vcc_lo, 1, v33
	s_and_saveexec_b32 s2, vcc_lo
; %bb.104:
	s_delay_alu instid0(VALU_DEP_3) | instskip(SKIP_2) | instid1(VALU_DEP_2)
	v_add_co_u32 v3, s1, v15, v1
	s_wait_alu 0xf1ff
	v_add_co_ci_u32_e64 v2, null, 0, v16, s1
	v_add_co_u32 v1, s1, 0, v3
	s_wait_alu 0xf1ff
	s_delay_alu instid0(VALU_DEP_2) | instskip(NEXT) | instid1(VALU_DEP_1)
	v_add_co_ci_u32_e64 v2, null, v4, v2, s1
	v_dual_mov_b32 v16, v2 :: v_dual_mov_b32 v15, v1
; %bb.105:
	s_wait_alu 0xfffe
	s_or_b32 exec_lo, exec_lo, s2
	v_mov_b32_dpp v1, v3 row_shr:4 row_mask:0xf bank_mask:0xf
	v_mov_b32_dpp v4, v2 row_shr:4 row_mask:0xf bank_mask:0xf
	v_cmp_lt_u32_e64 s1, 3, v33
	s_and_saveexec_b32 s3, s1
; %bb.106:
	v_add_co_u32 v3, s2, v15, v1
	s_wait_alu 0xf1ff
	v_add_co_ci_u32_e64 v2, null, 0, v16, s2
	s_delay_alu instid0(VALU_DEP_2) | instskip(SKIP_1) | instid1(VALU_DEP_2)
	v_add_co_u32 v1, s2, 0, v3
	s_wait_alu 0xf1ff
	v_add_co_ci_u32_e64 v2, null, v4, v2, s2
	s_delay_alu instid0(VALU_DEP_1)
	v_dual_mov_b32 v16, v2 :: v_dual_mov_b32 v15, v1
; %bb.107:
	s_wait_alu 0xfffe
	s_or_b32 exec_lo, exec_lo, s3
	v_mov_b32_dpp v4, v3 row_shr:8 row_mask:0xf bank_mask:0xf
	v_mov_b32_dpp v1, v2 row_shr:8 row_mask:0xf bank_mask:0xf
	v_cmp_lt_u32_e64 s2, 7, v33
	s_and_saveexec_b32 s6, s2
; %bb.108:
	v_add_co_u32 v3, s3, v15, v4
	s_wait_alu 0xf1ff
	v_add_co_ci_u32_e64 v2, null, 0, v16, s3
	s_delay_alu instid0(VALU_DEP_2) | instskip(SKIP_1) | instid1(VALU_DEP_2)
	v_add_co_u32 v15, s3, 0, v3
	s_wait_alu 0xf1ff
	v_add_co_ci_u32_e64 v16, null, v1, v2, s3
	s_delay_alu instid0(VALU_DEP_1)
	v_mov_b32_e32 v2, v16
; %bb.109:
	s_or_b32 exec_lo, exec_lo, s6
	ds_swizzle_b32 v3, v3 offset:swizzle(BROADCAST,32,15)
	ds_swizzle_b32 v1, v2 offset:swizzle(BROADCAST,32,15)
	v_and_b32_e32 v2, 16, v31
	s_mov_b32 s6, exec_lo
	s_delay_alu instid0(VALU_DEP_1)
	v_cmpx_ne_u32_e32 0, v2
	s_cbranch_execz .LBB2626_111
; %bb.110:
	s_wait_dscnt 0x1
	v_add_co_u32 v2, s3, v15, v3
	s_wait_alu 0xf1ff
	v_add_co_ci_u32_e64 v3, null, 0, v16, s3
	s_delay_alu instid0(VALU_DEP_2) | instskip(SKIP_2) | instid1(VALU_DEP_2)
	v_add_co_u32 v15, s3, v2, 0
	s_wait_dscnt 0x0
	s_wait_alu 0xf1ff
	v_add_co_ci_u32_e64 v16, null, v3, v1, s3
.LBB2626_111:
	s_or_b32 exec_lo, exec_lo, s6
	s_wait_dscnt 0x0
	v_and_b32_e32 v1, 0x1e0, v0
	v_lshrrev_b32_e32 v3, 5, v0
	s_mov_b32 s6, exec_lo
	s_delay_alu instid0(VALU_DEP_2) | instskip(NEXT) | instid1(VALU_DEP_1)
	v_min_u32_e32 v1, 0x160, v1
	v_or_b32_e32 v1, 31, v1
	s_delay_alu instid0(VALU_DEP_1)
	v_cmpx_eq_u32_e64 v0, v1
; %bb.112:
	v_lshlrev_b32_e32 v1, 3, v3
	ds_store_b64 v1, v[15:16]
; %bb.113:
	s_or_b32 exec_lo, exec_lo, s6
	s_delay_alu instid0(SALU_CYCLE_1)
	s_mov_b32 s6, exec_lo
	s_wait_loadcnt_dscnt 0x0
	s_barrier_signal -1
	s_barrier_wait -1
	global_inv scope:SCOPE_SE
	v_cmpx_gt_u32_e32 12, v0
	s_cbranch_execz .LBB2626_123
; %bb.114:
	v_add_nc_u32_e32 v4, v32, v0
	ds_load_b64 v[1:2], v4
	s_wait_dscnt 0x0
	v_mov_b32_dpp v7, v1 row_shr:1 row_mask:0xf bank_mask:0xf
	v_mov_b32_dpp v6, v2 row_shr:1 row_mask:0xf bank_mask:0xf
	v_mov_b32_e32 v5, v1
	s_and_saveexec_b32 s3, s0
; %bb.115:
	s_delay_alu instid0(VALU_DEP_3) | instskip(SKIP_2) | instid1(VALU_DEP_2)
	v_add_co_u32 v5, s0, v1, v7
	s_wait_alu 0xf1ff
	v_add_co_ci_u32_e64 v2, null, 0, v2, s0
	v_add_co_u32 v1, s0, 0, v5
	s_wait_alu 0xf1ff
	s_delay_alu instid0(VALU_DEP_2)
	v_add_co_ci_u32_e64 v2, null, v6, v2, s0
; %bb.116:
	s_wait_alu 0xfffe
	s_or_b32 exec_lo, exec_lo, s3
	v_mov_b32_dpp v7, v5 row_shr:2 row_mask:0xf bank_mask:0xf
	s_delay_alu instid0(VALU_DEP_2)
	v_mov_b32_dpp v6, v2 row_shr:2 row_mask:0xf bank_mask:0xf
	s_and_saveexec_b32 s0, vcc_lo
; %bb.117:
	s_delay_alu instid0(VALU_DEP_2) | instskip(SKIP_2) | instid1(VALU_DEP_2)
	v_add_co_u32 v5, vcc_lo, v1, v7
	s_wait_alu 0xfffd
	v_add_co_ci_u32_e64 v2, null, 0, v2, vcc_lo
	v_add_co_u32 v1, vcc_lo, 0, v5
	s_wait_alu 0xfffd
	s_delay_alu instid0(VALU_DEP_2)
	v_add_co_ci_u32_e64 v2, null, v6, v2, vcc_lo
; %bb.118:
	s_wait_alu 0xfffe
	s_or_b32 exec_lo, exec_lo, s0
	v_mov_b32_dpp v7, v5 row_shr:4 row_mask:0xf bank_mask:0xf
	s_delay_alu instid0(VALU_DEP_2)
	v_mov_b32_dpp v6, v2 row_shr:4 row_mask:0xf bank_mask:0xf
	s_and_saveexec_b32 s0, s1
; %bb.119:
	s_delay_alu instid0(VALU_DEP_2) | instskip(SKIP_2) | instid1(VALU_DEP_2)
	v_add_co_u32 v5, vcc_lo, v1, v7
	s_wait_alu 0xfffd
	v_add_co_ci_u32_e64 v2, null, 0, v2, vcc_lo
	v_add_co_u32 v1, vcc_lo, 0, v5
	s_wait_alu 0xfffd
	s_delay_alu instid0(VALU_DEP_2)
	v_add_co_ci_u32_e64 v2, null, v6, v2, vcc_lo
; %bb.120:
	s_wait_alu 0xfffe
	s_or_b32 exec_lo, exec_lo, s0
	v_mov_b32_dpp v6, v5 row_shr:8 row_mask:0xf bank_mask:0xf
	s_delay_alu instid0(VALU_DEP_2)
	v_mov_b32_dpp v5, v2 row_shr:8 row_mask:0xf bank_mask:0xf
	s_and_saveexec_b32 s0, s2
; %bb.121:
	s_delay_alu instid0(VALU_DEP_2) | instskip(SKIP_2) | instid1(VALU_DEP_2)
	v_add_co_u32 v1, vcc_lo, v1, v6
	s_wait_alu 0xfffd
	v_add_co_ci_u32_e64 v2, null, 0, v2, vcc_lo
	v_add_co_u32 v1, vcc_lo, v1, 0
	s_wait_alu 0xfffd
	s_delay_alu instid0(VALU_DEP_2)
	v_add_co_ci_u32_e64 v2, null, v2, v5, vcc_lo
; %bb.122:
	s_wait_alu 0xfffe
	s_or_b32 exec_lo, exec_lo, s0
	ds_store_b64 v4, v[1:2]
.LBB2626_123:
	s_or_b32 exec_lo, exec_lo, s6
	v_mov_b32_e32 v5, 0
	v_mov_b32_e32 v6, 0
	s_mov_b32 s0, exec_lo
	s_wait_loadcnt_dscnt 0x0
	s_barrier_signal -1
	s_barrier_wait -1
	global_inv scope:SCOPE_SE
	v_cmpx_lt_u32_e32 31, v0
; %bb.124:
	v_lshl_add_u32 v1, v3, 3, -8
	ds_load_b64 v[5:6], v1
; %bb.125:
	s_wait_alu 0xfffe
	s_or_b32 exec_lo, exec_lo, s0
	v_sub_co_u32 v1, vcc_lo, v31, 1
	s_wait_dscnt 0x0
	v_add_nc_u32_e32 v2, v5, v15
	v_mov_b32_e32 v4, 0
	s_delay_alu instid0(VALU_DEP_3) | instskip(SKIP_1) | instid1(VALU_DEP_1)
	v_cmp_gt_i32_e64 s0, 0, v1
	s_wait_alu 0xf1ff
	v_cndmask_b32_e64 v1, v1, v31, s0
	v_cmp_eq_u32_e64 s0, 0, v0
	s_delay_alu instid0(VALU_DEP_2)
	v_lshlrev_b32_e32 v1, 2, v1
	ds_bpermute_b32 v7, v1, v2
	ds_load_b64 v[1:2], v4 offset:88
	s_and_saveexec_b32 s1, s0
	s_cbranch_execz .LBB2626_127
; %bb.126:
	s_wait_kmcnt 0x0
	s_add_nc_u64 s[2:3], s[4:5], 0x200
	s_wait_alu 0xfffe
	v_dual_mov_b32 v3, 2 :: v_dual_mov_b32 v16, s3
	v_mov_b32_e32 v15, s2
	s_wait_dscnt 0x0
	;;#ASMSTART
	global_store_b128 v[15:16], v[1:4] off scope:SCOPE_DEV	
s_wait_storecnt 0x0
	;;#ASMEND
.LBB2626_127:
	s_wait_alu 0xfffe
	s_or_b32 exec_lo, exec_lo, s1
	s_wait_dscnt 0x1
	s_wait_alu 0xfffd
	v_dual_cndmask_b32 v3, v7, v5 :: v_dual_cndmask_b32 v4, 0, v6
	s_wait_loadcnt_dscnt 0x0
	s_barrier_signal -1
	s_barrier_wait -1
	s_delay_alu instid0(VALU_DEP_1)
	v_cndmask_b32_e64 v20, v3, 0, s0
	v_cndmask_b32_e64 v3, v4, 0, s0
	global_inv scope:SCOPE_SE
	v_add_co_u32 v19, vcc_lo, v20, v30
	s_wait_alu 0xfffd
	v_add_co_ci_u32_e64 v3, null, 0, v3, vcc_lo
	s_delay_alu instid0(VALU_DEP_2) | instskip(SKIP_1) | instid1(VALU_DEP_2)
	v_add_co_u32 v18, vcc_lo, v19, v29
	s_wait_alu 0xfffd
	v_add_co_ci_u32_e64 v3, null, 0, v3, vcc_lo
	s_delay_alu instid0(VALU_DEP_2) | instskip(SKIP_1) | instid1(VALU_DEP_2)
	;; [unrolled: 4-line block ×4, first 2 shown]
	v_add_co_u32 v6, vcc_lo, v7, v28
	s_wait_alu 0xfffd
	v_add_co_ci_u32_e64 v8, null, 0, v3, vcc_lo
	v_mov_b32_e32 v3, 0
	v_mov_b32_e32 v4, 0
	v_add_co_u32 v5, vcc_lo, v6, v25
	s_wait_alu 0xfffd
	v_add_co_ci_u32_e64 v8, null, 0, v8, vcc_lo
.LBB2626_128:
	s_wait_dscnt 0x0
	v_cmp_gt_u64_e32 vcc_lo, 0x181, v[1:2]
	s_cbranch_vccz .LBB2626_131
; %bb.129:
	v_cmp_eq_u32_e32 vcc_lo, 0, v0
	s_and_b32 s0, vcc_lo, s16
	s_wait_alu 0xfffe
	s_and_saveexec_b32 s1, s0
	s_cbranch_execnz .LBB2626_146
.LBB2626_130:
	s_endpgm
.LBB2626_131:
	s_mov_b32 s0, exec_lo
	v_cmpx_eq_u32_e32 1, v30
; %bb.132:
	v_sub_nc_u32_e32 v8, v20, v3
	s_delay_alu instid0(VALU_DEP_1)
	v_lshlrev_b32_e32 v8, 2, v8
	ds_store_b32 v8, v13
; %bb.133:
	s_wait_alu 0xfffe
	s_or_b32 exec_lo, exec_lo, s0
	s_delay_alu instid0(SALU_CYCLE_1)
	s_mov_b32 s0, exec_lo
	v_cmpx_eq_u32_e32 1, v29
; %bb.134:
	v_sub_nc_u32_e32 v8, v19, v3
	s_delay_alu instid0(VALU_DEP_1)
	v_lshlrev_b32_e32 v8, 2, v8
	ds_store_b32 v8, v14
; %bb.135:
	s_wait_alu 0xfffe
	s_or_b32 exec_lo, exec_lo, s0
	s_delay_alu instid0(SALU_CYCLE_1)
	;; [unrolled: 11-line block ×6, first 2 shown]
	s_mov_b32 s0, exec_lo
	v_cmpx_eq_u32_e32 1, v24
; %bb.144:
	v_sub_nc_u32_e32 v5, v5, v3
	s_delay_alu instid0(VALU_DEP_1)
	v_lshlrev_b32_e32 v5, 2, v5
	ds_store_b32 v5, v23
; %bb.145:
	s_wait_alu 0xfffe
	s_or_b32 exec_lo, exec_lo, s0
	s_wait_loadcnt_dscnt 0x0
	s_barrier_signal -1
	s_barrier_wait -1
	global_inv scope:SCOPE_SE
	v_cmp_eq_u32_e32 vcc_lo, 0, v0
	s_and_b32 s0, vcc_lo, s16
	s_wait_alu 0xfffe
	s_and_saveexec_b32 s1, s0
	s_cbranch_execz .LBB2626_130
.LBB2626_146:
	v_add_co_u32 v0, vcc_lo, v1, s10
	s_wait_alu 0xfffd
	v_add_co_ci_u32_e64 v1, null, s11, v2, vcc_lo
	v_mov_b32_e32 v2, 0
	s_delay_alu instid0(VALU_DEP_3) | instskip(SKIP_1) | instid1(VALU_DEP_3)
	v_add_co_u32 v0, vcc_lo, v0, v3
	s_wait_alu 0xfffd
	v_add_co_ci_u32_e64 v1, null, v1, v4, vcc_lo
	global_store_b64 v2, v[0:1], s[8:9]
	s_endpgm
	.section	.rodata,"a",@progbits
	.p2align	6, 0x0
	.amdhsa_kernel _ZN7rocprim17ROCPRIM_400000_NS6detail17trampoline_kernelINS0_14default_configENS1_25partition_config_selectorILNS1_17partition_subalgoE5EfNS0_10empty_typeEbEEZZNS1_14partition_implILS5_5ELb0ES3_mN6thrust23THRUST_200600_302600_NS6detail15normal_iteratorINSA_10device_ptrIfEEEEPS6_NSA_18transform_iteratorINSB_9not_fun_tI7is_trueIfEEENSC_INSD_IbEEEENSA_11use_defaultESO_EENS0_5tupleIJNSA_16discard_iteratorISO_EES6_EEENSQ_IJSG_SG_EEES6_PlJS6_EEE10hipError_tPvRmT3_T4_T5_T6_T7_T9_mT8_P12ihipStream_tbDpT10_ENKUlT_T0_E_clISt17integral_constantIbLb0EES1F_EEDaS1A_S1B_EUlS1A_E_NS1_11comp_targetILNS1_3genE10ELNS1_11target_archE1200ELNS1_3gpuE4ELNS1_3repE0EEENS1_30default_config_static_selectorELNS0_4arch9wavefront6targetE0EEEvT1_
		.amdhsa_group_segment_fixed_size 10768
		.amdhsa_private_segment_fixed_size 0
		.amdhsa_kernarg_size 128
		.amdhsa_user_sgpr_count 2
		.amdhsa_user_sgpr_dispatch_ptr 0
		.amdhsa_user_sgpr_queue_ptr 0
		.amdhsa_user_sgpr_kernarg_segment_ptr 1
		.amdhsa_user_sgpr_dispatch_id 0
		.amdhsa_user_sgpr_private_segment_size 0
		.amdhsa_wavefront_size32 1
		.amdhsa_uses_dynamic_stack 0
		.amdhsa_enable_private_segment 0
		.amdhsa_system_sgpr_workgroup_id_x 1
		.amdhsa_system_sgpr_workgroup_id_y 0
		.amdhsa_system_sgpr_workgroup_id_z 0
		.amdhsa_system_sgpr_workgroup_info 0
		.amdhsa_system_vgpr_workitem_id 0
		.amdhsa_next_free_vgpr 46
		.amdhsa_next_free_sgpr 23
		.amdhsa_reserve_vcc 1
		.amdhsa_float_round_mode_32 0
		.amdhsa_float_round_mode_16_64 0
		.amdhsa_float_denorm_mode_32 3
		.amdhsa_float_denorm_mode_16_64 3
		.amdhsa_fp16_overflow 0
		.amdhsa_workgroup_processor_mode 1
		.amdhsa_memory_ordered 1
		.amdhsa_forward_progress 1
		.amdhsa_inst_pref_size 60
		.amdhsa_round_robin_scheduling 0
		.amdhsa_exception_fp_ieee_invalid_op 0
		.amdhsa_exception_fp_denorm_src 0
		.amdhsa_exception_fp_ieee_div_zero 0
		.amdhsa_exception_fp_ieee_overflow 0
		.amdhsa_exception_fp_ieee_underflow 0
		.amdhsa_exception_fp_ieee_inexact 0
		.amdhsa_exception_int_div_zero 0
	.end_amdhsa_kernel
	.section	.text._ZN7rocprim17ROCPRIM_400000_NS6detail17trampoline_kernelINS0_14default_configENS1_25partition_config_selectorILNS1_17partition_subalgoE5EfNS0_10empty_typeEbEEZZNS1_14partition_implILS5_5ELb0ES3_mN6thrust23THRUST_200600_302600_NS6detail15normal_iteratorINSA_10device_ptrIfEEEEPS6_NSA_18transform_iteratorINSB_9not_fun_tI7is_trueIfEEENSC_INSD_IbEEEENSA_11use_defaultESO_EENS0_5tupleIJNSA_16discard_iteratorISO_EES6_EEENSQ_IJSG_SG_EEES6_PlJS6_EEE10hipError_tPvRmT3_T4_T5_T6_T7_T9_mT8_P12ihipStream_tbDpT10_ENKUlT_T0_E_clISt17integral_constantIbLb0EES1F_EEDaS1A_S1B_EUlS1A_E_NS1_11comp_targetILNS1_3genE10ELNS1_11target_archE1200ELNS1_3gpuE4ELNS1_3repE0EEENS1_30default_config_static_selectorELNS0_4arch9wavefront6targetE0EEEvT1_,"axG",@progbits,_ZN7rocprim17ROCPRIM_400000_NS6detail17trampoline_kernelINS0_14default_configENS1_25partition_config_selectorILNS1_17partition_subalgoE5EfNS0_10empty_typeEbEEZZNS1_14partition_implILS5_5ELb0ES3_mN6thrust23THRUST_200600_302600_NS6detail15normal_iteratorINSA_10device_ptrIfEEEEPS6_NSA_18transform_iteratorINSB_9not_fun_tI7is_trueIfEEENSC_INSD_IbEEEENSA_11use_defaultESO_EENS0_5tupleIJNSA_16discard_iteratorISO_EES6_EEENSQ_IJSG_SG_EEES6_PlJS6_EEE10hipError_tPvRmT3_T4_T5_T6_T7_T9_mT8_P12ihipStream_tbDpT10_ENKUlT_T0_E_clISt17integral_constantIbLb0EES1F_EEDaS1A_S1B_EUlS1A_E_NS1_11comp_targetILNS1_3genE10ELNS1_11target_archE1200ELNS1_3gpuE4ELNS1_3repE0EEENS1_30default_config_static_selectorELNS0_4arch9wavefront6targetE0EEEvT1_,comdat
.Lfunc_end2626:
	.size	_ZN7rocprim17ROCPRIM_400000_NS6detail17trampoline_kernelINS0_14default_configENS1_25partition_config_selectorILNS1_17partition_subalgoE5EfNS0_10empty_typeEbEEZZNS1_14partition_implILS5_5ELb0ES3_mN6thrust23THRUST_200600_302600_NS6detail15normal_iteratorINSA_10device_ptrIfEEEEPS6_NSA_18transform_iteratorINSB_9not_fun_tI7is_trueIfEEENSC_INSD_IbEEEENSA_11use_defaultESO_EENS0_5tupleIJNSA_16discard_iteratorISO_EES6_EEENSQ_IJSG_SG_EEES6_PlJS6_EEE10hipError_tPvRmT3_T4_T5_T6_T7_T9_mT8_P12ihipStream_tbDpT10_ENKUlT_T0_E_clISt17integral_constantIbLb0EES1F_EEDaS1A_S1B_EUlS1A_E_NS1_11comp_targetILNS1_3genE10ELNS1_11target_archE1200ELNS1_3gpuE4ELNS1_3repE0EEENS1_30default_config_static_selectorELNS0_4arch9wavefront6targetE0EEEvT1_, .Lfunc_end2626-_ZN7rocprim17ROCPRIM_400000_NS6detail17trampoline_kernelINS0_14default_configENS1_25partition_config_selectorILNS1_17partition_subalgoE5EfNS0_10empty_typeEbEEZZNS1_14partition_implILS5_5ELb0ES3_mN6thrust23THRUST_200600_302600_NS6detail15normal_iteratorINSA_10device_ptrIfEEEEPS6_NSA_18transform_iteratorINSB_9not_fun_tI7is_trueIfEEENSC_INSD_IbEEEENSA_11use_defaultESO_EENS0_5tupleIJNSA_16discard_iteratorISO_EES6_EEENSQ_IJSG_SG_EEES6_PlJS6_EEE10hipError_tPvRmT3_T4_T5_T6_T7_T9_mT8_P12ihipStream_tbDpT10_ENKUlT_T0_E_clISt17integral_constantIbLb0EES1F_EEDaS1A_S1B_EUlS1A_E_NS1_11comp_targetILNS1_3genE10ELNS1_11target_archE1200ELNS1_3gpuE4ELNS1_3repE0EEENS1_30default_config_static_selectorELNS0_4arch9wavefront6targetE0EEEvT1_
                                        ; -- End function
	.set _ZN7rocprim17ROCPRIM_400000_NS6detail17trampoline_kernelINS0_14default_configENS1_25partition_config_selectorILNS1_17partition_subalgoE5EfNS0_10empty_typeEbEEZZNS1_14partition_implILS5_5ELb0ES3_mN6thrust23THRUST_200600_302600_NS6detail15normal_iteratorINSA_10device_ptrIfEEEEPS6_NSA_18transform_iteratorINSB_9not_fun_tI7is_trueIfEEENSC_INSD_IbEEEENSA_11use_defaultESO_EENS0_5tupleIJNSA_16discard_iteratorISO_EES6_EEENSQ_IJSG_SG_EEES6_PlJS6_EEE10hipError_tPvRmT3_T4_T5_T6_T7_T9_mT8_P12ihipStream_tbDpT10_ENKUlT_T0_E_clISt17integral_constantIbLb0EES1F_EEDaS1A_S1B_EUlS1A_E_NS1_11comp_targetILNS1_3genE10ELNS1_11target_archE1200ELNS1_3gpuE4ELNS1_3repE0EEENS1_30default_config_static_selectorELNS0_4arch9wavefront6targetE0EEEvT1_.num_vgpr, 46
	.set _ZN7rocprim17ROCPRIM_400000_NS6detail17trampoline_kernelINS0_14default_configENS1_25partition_config_selectorILNS1_17partition_subalgoE5EfNS0_10empty_typeEbEEZZNS1_14partition_implILS5_5ELb0ES3_mN6thrust23THRUST_200600_302600_NS6detail15normal_iteratorINSA_10device_ptrIfEEEEPS6_NSA_18transform_iteratorINSB_9not_fun_tI7is_trueIfEEENSC_INSD_IbEEEENSA_11use_defaultESO_EENS0_5tupleIJNSA_16discard_iteratorISO_EES6_EEENSQ_IJSG_SG_EEES6_PlJS6_EEE10hipError_tPvRmT3_T4_T5_T6_T7_T9_mT8_P12ihipStream_tbDpT10_ENKUlT_T0_E_clISt17integral_constantIbLb0EES1F_EEDaS1A_S1B_EUlS1A_E_NS1_11comp_targetILNS1_3genE10ELNS1_11target_archE1200ELNS1_3gpuE4ELNS1_3repE0EEENS1_30default_config_static_selectorELNS0_4arch9wavefront6targetE0EEEvT1_.num_agpr, 0
	.set _ZN7rocprim17ROCPRIM_400000_NS6detail17trampoline_kernelINS0_14default_configENS1_25partition_config_selectorILNS1_17partition_subalgoE5EfNS0_10empty_typeEbEEZZNS1_14partition_implILS5_5ELb0ES3_mN6thrust23THRUST_200600_302600_NS6detail15normal_iteratorINSA_10device_ptrIfEEEEPS6_NSA_18transform_iteratorINSB_9not_fun_tI7is_trueIfEEENSC_INSD_IbEEEENSA_11use_defaultESO_EENS0_5tupleIJNSA_16discard_iteratorISO_EES6_EEENSQ_IJSG_SG_EEES6_PlJS6_EEE10hipError_tPvRmT3_T4_T5_T6_T7_T9_mT8_P12ihipStream_tbDpT10_ENKUlT_T0_E_clISt17integral_constantIbLb0EES1F_EEDaS1A_S1B_EUlS1A_E_NS1_11comp_targetILNS1_3genE10ELNS1_11target_archE1200ELNS1_3gpuE4ELNS1_3repE0EEENS1_30default_config_static_selectorELNS0_4arch9wavefront6targetE0EEEvT1_.numbered_sgpr, 23
	.set _ZN7rocprim17ROCPRIM_400000_NS6detail17trampoline_kernelINS0_14default_configENS1_25partition_config_selectorILNS1_17partition_subalgoE5EfNS0_10empty_typeEbEEZZNS1_14partition_implILS5_5ELb0ES3_mN6thrust23THRUST_200600_302600_NS6detail15normal_iteratorINSA_10device_ptrIfEEEEPS6_NSA_18transform_iteratorINSB_9not_fun_tI7is_trueIfEEENSC_INSD_IbEEEENSA_11use_defaultESO_EENS0_5tupleIJNSA_16discard_iteratorISO_EES6_EEENSQ_IJSG_SG_EEES6_PlJS6_EEE10hipError_tPvRmT3_T4_T5_T6_T7_T9_mT8_P12ihipStream_tbDpT10_ENKUlT_T0_E_clISt17integral_constantIbLb0EES1F_EEDaS1A_S1B_EUlS1A_E_NS1_11comp_targetILNS1_3genE10ELNS1_11target_archE1200ELNS1_3gpuE4ELNS1_3repE0EEENS1_30default_config_static_selectorELNS0_4arch9wavefront6targetE0EEEvT1_.num_named_barrier, 0
	.set _ZN7rocprim17ROCPRIM_400000_NS6detail17trampoline_kernelINS0_14default_configENS1_25partition_config_selectorILNS1_17partition_subalgoE5EfNS0_10empty_typeEbEEZZNS1_14partition_implILS5_5ELb0ES3_mN6thrust23THRUST_200600_302600_NS6detail15normal_iteratorINSA_10device_ptrIfEEEEPS6_NSA_18transform_iteratorINSB_9not_fun_tI7is_trueIfEEENSC_INSD_IbEEEENSA_11use_defaultESO_EENS0_5tupleIJNSA_16discard_iteratorISO_EES6_EEENSQ_IJSG_SG_EEES6_PlJS6_EEE10hipError_tPvRmT3_T4_T5_T6_T7_T9_mT8_P12ihipStream_tbDpT10_ENKUlT_T0_E_clISt17integral_constantIbLb0EES1F_EEDaS1A_S1B_EUlS1A_E_NS1_11comp_targetILNS1_3genE10ELNS1_11target_archE1200ELNS1_3gpuE4ELNS1_3repE0EEENS1_30default_config_static_selectorELNS0_4arch9wavefront6targetE0EEEvT1_.private_seg_size, 0
	.set _ZN7rocprim17ROCPRIM_400000_NS6detail17trampoline_kernelINS0_14default_configENS1_25partition_config_selectorILNS1_17partition_subalgoE5EfNS0_10empty_typeEbEEZZNS1_14partition_implILS5_5ELb0ES3_mN6thrust23THRUST_200600_302600_NS6detail15normal_iteratorINSA_10device_ptrIfEEEEPS6_NSA_18transform_iteratorINSB_9not_fun_tI7is_trueIfEEENSC_INSD_IbEEEENSA_11use_defaultESO_EENS0_5tupleIJNSA_16discard_iteratorISO_EES6_EEENSQ_IJSG_SG_EEES6_PlJS6_EEE10hipError_tPvRmT3_T4_T5_T6_T7_T9_mT8_P12ihipStream_tbDpT10_ENKUlT_T0_E_clISt17integral_constantIbLb0EES1F_EEDaS1A_S1B_EUlS1A_E_NS1_11comp_targetILNS1_3genE10ELNS1_11target_archE1200ELNS1_3gpuE4ELNS1_3repE0EEENS1_30default_config_static_selectorELNS0_4arch9wavefront6targetE0EEEvT1_.uses_vcc, 1
	.set _ZN7rocprim17ROCPRIM_400000_NS6detail17trampoline_kernelINS0_14default_configENS1_25partition_config_selectorILNS1_17partition_subalgoE5EfNS0_10empty_typeEbEEZZNS1_14partition_implILS5_5ELb0ES3_mN6thrust23THRUST_200600_302600_NS6detail15normal_iteratorINSA_10device_ptrIfEEEEPS6_NSA_18transform_iteratorINSB_9not_fun_tI7is_trueIfEEENSC_INSD_IbEEEENSA_11use_defaultESO_EENS0_5tupleIJNSA_16discard_iteratorISO_EES6_EEENSQ_IJSG_SG_EEES6_PlJS6_EEE10hipError_tPvRmT3_T4_T5_T6_T7_T9_mT8_P12ihipStream_tbDpT10_ENKUlT_T0_E_clISt17integral_constantIbLb0EES1F_EEDaS1A_S1B_EUlS1A_E_NS1_11comp_targetILNS1_3genE10ELNS1_11target_archE1200ELNS1_3gpuE4ELNS1_3repE0EEENS1_30default_config_static_selectorELNS0_4arch9wavefront6targetE0EEEvT1_.uses_flat_scratch, 1
	.set _ZN7rocprim17ROCPRIM_400000_NS6detail17trampoline_kernelINS0_14default_configENS1_25partition_config_selectorILNS1_17partition_subalgoE5EfNS0_10empty_typeEbEEZZNS1_14partition_implILS5_5ELb0ES3_mN6thrust23THRUST_200600_302600_NS6detail15normal_iteratorINSA_10device_ptrIfEEEEPS6_NSA_18transform_iteratorINSB_9not_fun_tI7is_trueIfEEENSC_INSD_IbEEEENSA_11use_defaultESO_EENS0_5tupleIJNSA_16discard_iteratorISO_EES6_EEENSQ_IJSG_SG_EEES6_PlJS6_EEE10hipError_tPvRmT3_T4_T5_T6_T7_T9_mT8_P12ihipStream_tbDpT10_ENKUlT_T0_E_clISt17integral_constantIbLb0EES1F_EEDaS1A_S1B_EUlS1A_E_NS1_11comp_targetILNS1_3genE10ELNS1_11target_archE1200ELNS1_3gpuE4ELNS1_3repE0EEENS1_30default_config_static_selectorELNS0_4arch9wavefront6targetE0EEEvT1_.has_dyn_sized_stack, 0
	.set _ZN7rocprim17ROCPRIM_400000_NS6detail17trampoline_kernelINS0_14default_configENS1_25partition_config_selectorILNS1_17partition_subalgoE5EfNS0_10empty_typeEbEEZZNS1_14partition_implILS5_5ELb0ES3_mN6thrust23THRUST_200600_302600_NS6detail15normal_iteratorINSA_10device_ptrIfEEEEPS6_NSA_18transform_iteratorINSB_9not_fun_tI7is_trueIfEEENSC_INSD_IbEEEENSA_11use_defaultESO_EENS0_5tupleIJNSA_16discard_iteratorISO_EES6_EEENSQ_IJSG_SG_EEES6_PlJS6_EEE10hipError_tPvRmT3_T4_T5_T6_T7_T9_mT8_P12ihipStream_tbDpT10_ENKUlT_T0_E_clISt17integral_constantIbLb0EES1F_EEDaS1A_S1B_EUlS1A_E_NS1_11comp_targetILNS1_3genE10ELNS1_11target_archE1200ELNS1_3gpuE4ELNS1_3repE0EEENS1_30default_config_static_selectorELNS0_4arch9wavefront6targetE0EEEvT1_.has_recursion, 0
	.set _ZN7rocprim17ROCPRIM_400000_NS6detail17trampoline_kernelINS0_14default_configENS1_25partition_config_selectorILNS1_17partition_subalgoE5EfNS0_10empty_typeEbEEZZNS1_14partition_implILS5_5ELb0ES3_mN6thrust23THRUST_200600_302600_NS6detail15normal_iteratorINSA_10device_ptrIfEEEEPS6_NSA_18transform_iteratorINSB_9not_fun_tI7is_trueIfEEENSC_INSD_IbEEEENSA_11use_defaultESO_EENS0_5tupleIJNSA_16discard_iteratorISO_EES6_EEENSQ_IJSG_SG_EEES6_PlJS6_EEE10hipError_tPvRmT3_T4_T5_T6_T7_T9_mT8_P12ihipStream_tbDpT10_ENKUlT_T0_E_clISt17integral_constantIbLb0EES1F_EEDaS1A_S1B_EUlS1A_E_NS1_11comp_targetILNS1_3genE10ELNS1_11target_archE1200ELNS1_3gpuE4ELNS1_3repE0EEENS1_30default_config_static_selectorELNS0_4arch9wavefront6targetE0EEEvT1_.has_indirect_call, 0
	.section	.AMDGPU.csdata,"",@progbits
; Kernel info:
; codeLenInByte = 7628
; TotalNumSgprs: 25
; NumVgprs: 46
; ScratchSize: 0
; MemoryBound: 0
; FloatMode: 240
; IeeeMode: 1
; LDSByteSize: 10768 bytes/workgroup (compile time only)
; SGPRBlocks: 0
; VGPRBlocks: 5
; NumSGPRsForWavesPerEU: 25
; NumVGPRsForWavesPerEU: 46
; Occupancy: 15
; WaveLimiterHint : 1
; COMPUTE_PGM_RSRC2:SCRATCH_EN: 0
; COMPUTE_PGM_RSRC2:USER_SGPR: 2
; COMPUTE_PGM_RSRC2:TRAP_HANDLER: 0
; COMPUTE_PGM_RSRC2:TGID_X_EN: 1
; COMPUTE_PGM_RSRC2:TGID_Y_EN: 0
; COMPUTE_PGM_RSRC2:TGID_Z_EN: 0
; COMPUTE_PGM_RSRC2:TIDIG_COMP_CNT: 0
	.section	.text._ZN7rocprim17ROCPRIM_400000_NS6detail17trampoline_kernelINS0_14default_configENS1_25partition_config_selectorILNS1_17partition_subalgoE5EfNS0_10empty_typeEbEEZZNS1_14partition_implILS5_5ELb0ES3_mN6thrust23THRUST_200600_302600_NS6detail15normal_iteratorINSA_10device_ptrIfEEEEPS6_NSA_18transform_iteratorINSB_9not_fun_tI7is_trueIfEEENSC_INSD_IbEEEENSA_11use_defaultESO_EENS0_5tupleIJNSA_16discard_iteratorISO_EES6_EEENSQ_IJSG_SG_EEES6_PlJS6_EEE10hipError_tPvRmT3_T4_T5_T6_T7_T9_mT8_P12ihipStream_tbDpT10_ENKUlT_T0_E_clISt17integral_constantIbLb0EES1F_EEDaS1A_S1B_EUlS1A_E_NS1_11comp_targetILNS1_3genE9ELNS1_11target_archE1100ELNS1_3gpuE3ELNS1_3repE0EEENS1_30default_config_static_selectorELNS0_4arch9wavefront6targetE0EEEvT1_,"axG",@progbits,_ZN7rocprim17ROCPRIM_400000_NS6detail17trampoline_kernelINS0_14default_configENS1_25partition_config_selectorILNS1_17partition_subalgoE5EfNS0_10empty_typeEbEEZZNS1_14partition_implILS5_5ELb0ES3_mN6thrust23THRUST_200600_302600_NS6detail15normal_iteratorINSA_10device_ptrIfEEEEPS6_NSA_18transform_iteratorINSB_9not_fun_tI7is_trueIfEEENSC_INSD_IbEEEENSA_11use_defaultESO_EENS0_5tupleIJNSA_16discard_iteratorISO_EES6_EEENSQ_IJSG_SG_EEES6_PlJS6_EEE10hipError_tPvRmT3_T4_T5_T6_T7_T9_mT8_P12ihipStream_tbDpT10_ENKUlT_T0_E_clISt17integral_constantIbLb0EES1F_EEDaS1A_S1B_EUlS1A_E_NS1_11comp_targetILNS1_3genE9ELNS1_11target_archE1100ELNS1_3gpuE3ELNS1_3repE0EEENS1_30default_config_static_selectorELNS0_4arch9wavefront6targetE0EEEvT1_,comdat
	.protected	_ZN7rocprim17ROCPRIM_400000_NS6detail17trampoline_kernelINS0_14default_configENS1_25partition_config_selectorILNS1_17partition_subalgoE5EfNS0_10empty_typeEbEEZZNS1_14partition_implILS5_5ELb0ES3_mN6thrust23THRUST_200600_302600_NS6detail15normal_iteratorINSA_10device_ptrIfEEEEPS6_NSA_18transform_iteratorINSB_9not_fun_tI7is_trueIfEEENSC_INSD_IbEEEENSA_11use_defaultESO_EENS0_5tupleIJNSA_16discard_iteratorISO_EES6_EEENSQ_IJSG_SG_EEES6_PlJS6_EEE10hipError_tPvRmT3_T4_T5_T6_T7_T9_mT8_P12ihipStream_tbDpT10_ENKUlT_T0_E_clISt17integral_constantIbLb0EES1F_EEDaS1A_S1B_EUlS1A_E_NS1_11comp_targetILNS1_3genE9ELNS1_11target_archE1100ELNS1_3gpuE3ELNS1_3repE0EEENS1_30default_config_static_selectorELNS0_4arch9wavefront6targetE0EEEvT1_ ; -- Begin function _ZN7rocprim17ROCPRIM_400000_NS6detail17trampoline_kernelINS0_14default_configENS1_25partition_config_selectorILNS1_17partition_subalgoE5EfNS0_10empty_typeEbEEZZNS1_14partition_implILS5_5ELb0ES3_mN6thrust23THRUST_200600_302600_NS6detail15normal_iteratorINSA_10device_ptrIfEEEEPS6_NSA_18transform_iteratorINSB_9not_fun_tI7is_trueIfEEENSC_INSD_IbEEEENSA_11use_defaultESO_EENS0_5tupleIJNSA_16discard_iteratorISO_EES6_EEENSQ_IJSG_SG_EEES6_PlJS6_EEE10hipError_tPvRmT3_T4_T5_T6_T7_T9_mT8_P12ihipStream_tbDpT10_ENKUlT_T0_E_clISt17integral_constantIbLb0EES1F_EEDaS1A_S1B_EUlS1A_E_NS1_11comp_targetILNS1_3genE9ELNS1_11target_archE1100ELNS1_3gpuE3ELNS1_3repE0EEENS1_30default_config_static_selectorELNS0_4arch9wavefront6targetE0EEEvT1_
	.globl	_ZN7rocprim17ROCPRIM_400000_NS6detail17trampoline_kernelINS0_14default_configENS1_25partition_config_selectorILNS1_17partition_subalgoE5EfNS0_10empty_typeEbEEZZNS1_14partition_implILS5_5ELb0ES3_mN6thrust23THRUST_200600_302600_NS6detail15normal_iteratorINSA_10device_ptrIfEEEEPS6_NSA_18transform_iteratorINSB_9not_fun_tI7is_trueIfEEENSC_INSD_IbEEEENSA_11use_defaultESO_EENS0_5tupleIJNSA_16discard_iteratorISO_EES6_EEENSQ_IJSG_SG_EEES6_PlJS6_EEE10hipError_tPvRmT3_T4_T5_T6_T7_T9_mT8_P12ihipStream_tbDpT10_ENKUlT_T0_E_clISt17integral_constantIbLb0EES1F_EEDaS1A_S1B_EUlS1A_E_NS1_11comp_targetILNS1_3genE9ELNS1_11target_archE1100ELNS1_3gpuE3ELNS1_3repE0EEENS1_30default_config_static_selectorELNS0_4arch9wavefront6targetE0EEEvT1_
	.p2align	8
	.type	_ZN7rocprim17ROCPRIM_400000_NS6detail17trampoline_kernelINS0_14default_configENS1_25partition_config_selectorILNS1_17partition_subalgoE5EfNS0_10empty_typeEbEEZZNS1_14partition_implILS5_5ELb0ES3_mN6thrust23THRUST_200600_302600_NS6detail15normal_iteratorINSA_10device_ptrIfEEEEPS6_NSA_18transform_iteratorINSB_9not_fun_tI7is_trueIfEEENSC_INSD_IbEEEENSA_11use_defaultESO_EENS0_5tupleIJNSA_16discard_iteratorISO_EES6_EEENSQ_IJSG_SG_EEES6_PlJS6_EEE10hipError_tPvRmT3_T4_T5_T6_T7_T9_mT8_P12ihipStream_tbDpT10_ENKUlT_T0_E_clISt17integral_constantIbLb0EES1F_EEDaS1A_S1B_EUlS1A_E_NS1_11comp_targetILNS1_3genE9ELNS1_11target_archE1100ELNS1_3gpuE3ELNS1_3repE0EEENS1_30default_config_static_selectorELNS0_4arch9wavefront6targetE0EEEvT1_,@function
_ZN7rocprim17ROCPRIM_400000_NS6detail17trampoline_kernelINS0_14default_configENS1_25partition_config_selectorILNS1_17partition_subalgoE5EfNS0_10empty_typeEbEEZZNS1_14partition_implILS5_5ELb0ES3_mN6thrust23THRUST_200600_302600_NS6detail15normal_iteratorINSA_10device_ptrIfEEEEPS6_NSA_18transform_iteratorINSB_9not_fun_tI7is_trueIfEEENSC_INSD_IbEEEENSA_11use_defaultESO_EENS0_5tupleIJNSA_16discard_iteratorISO_EES6_EEENSQ_IJSG_SG_EEES6_PlJS6_EEE10hipError_tPvRmT3_T4_T5_T6_T7_T9_mT8_P12ihipStream_tbDpT10_ENKUlT_T0_E_clISt17integral_constantIbLb0EES1F_EEDaS1A_S1B_EUlS1A_E_NS1_11comp_targetILNS1_3genE9ELNS1_11target_archE1100ELNS1_3gpuE3ELNS1_3repE0EEENS1_30default_config_static_selectorELNS0_4arch9wavefront6targetE0EEEvT1_: ; @_ZN7rocprim17ROCPRIM_400000_NS6detail17trampoline_kernelINS0_14default_configENS1_25partition_config_selectorILNS1_17partition_subalgoE5EfNS0_10empty_typeEbEEZZNS1_14partition_implILS5_5ELb0ES3_mN6thrust23THRUST_200600_302600_NS6detail15normal_iteratorINSA_10device_ptrIfEEEEPS6_NSA_18transform_iteratorINSB_9not_fun_tI7is_trueIfEEENSC_INSD_IbEEEENSA_11use_defaultESO_EENS0_5tupleIJNSA_16discard_iteratorISO_EES6_EEENSQ_IJSG_SG_EEES6_PlJS6_EEE10hipError_tPvRmT3_T4_T5_T6_T7_T9_mT8_P12ihipStream_tbDpT10_ENKUlT_T0_E_clISt17integral_constantIbLb0EES1F_EEDaS1A_S1B_EUlS1A_E_NS1_11comp_targetILNS1_3genE9ELNS1_11target_archE1100ELNS1_3gpuE3ELNS1_3repE0EEENS1_30default_config_static_selectorELNS0_4arch9wavefront6targetE0EEEvT1_
; %bb.0:
	.section	.rodata,"a",@progbits
	.p2align	6, 0x0
	.amdhsa_kernel _ZN7rocprim17ROCPRIM_400000_NS6detail17trampoline_kernelINS0_14default_configENS1_25partition_config_selectorILNS1_17partition_subalgoE5EfNS0_10empty_typeEbEEZZNS1_14partition_implILS5_5ELb0ES3_mN6thrust23THRUST_200600_302600_NS6detail15normal_iteratorINSA_10device_ptrIfEEEEPS6_NSA_18transform_iteratorINSB_9not_fun_tI7is_trueIfEEENSC_INSD_IbEEEENSA_11use_defaultESO_EENS0_5tupleIJNSA_16discard_iteratorISO_EES6_EEENSQ_IJSG_SG_EEES6_PlJS6_EEE10hipError_tPvRmT3_T4_T5_T6_T7_T9_mT8_P12ihipStream_tbDpT10_ENKUlT_T0_E_clISt17integral_constantIbLb0EES1F_EEDaS1A_S1B_EUlS1A_E_NS1_11comp_targetILNS1_3genE9ELNS1_11target_archE1100ELNS1_3gpuE3ELNS1_3repE0EEENS1_30default_config_static_selectorELNS0_4arch9wavefront6targetE0EEEvT1_
		.amdhsa_group_segment_fixed_size 0
		.amdhsa_private_segment_fixed_size 0
		.amdhsa_kernarg_size 128
		.amdhsa_user_sgpr_count 2
		.amdhsa_user_sgpr_dispatch_ptr 0
		.amdhsa_user_sgpr_queue_ptr 0
		.amdhsa_user_sgpr_kernarg_segment_ptr 1
		.amdhsa_user_sgpr_dispatch_id 0
		.amdhsa_user_sgpr_private_segment_size 0
		.amdhsa_wavefront_size32 1
		.amdhsa_uses_dynamic_stack 0
		.amdhsa_enable_private_segment 0
		.amdhsa_system_sgpr_workgroup_id_x 1
		.amdhsa_system_sgpr_workgroup_id_y 0
		.amdhsa_system_sgpr_workgroup_id_z 0
		.amdhsa_system_sgpr_workgroup_info 0
		.amdhsa_system_vgpr_workitem_id 0
		.amdhsa_next_free_vgpr 1
		.amdhsa_next_free_sgpr 1
		.amdhsa_reserve_vcc 0
		.amdhsa_float_round_mode_32 0
		.amdhsa_float_round_mode_16_64 0
		.amdhsa_float_denorm_mode_32 3
		.amdhsa_float_denorm_mode_16_64 3
		.amdhsa_fp16_overflow 0
		.amdhsa_workgroup_processor_mode 1
		.amdhsa_memory_ordered 1
		.amdhsa_forward_progress 1
		.amdhsa_inst_pref_size 0
		.amdhsa_round_robin_scheduling 0
		.amdhsa_exception_fp_ieee_invalid_op 0
		.amdhsa_exception_fp_denorm_src 0
		.amdhsa_exception_fp_ieee_div_zero 0
		.amdhsa_exception_fp_ieee_overflow 0
		.amdhsa_exception_fp_ieee_underflow 0
		.amdhsa_exception_fp_ieee_inexact 0
		.amdhsa_exception_int_div_zero 0
	.end_amdhsa_kernel
	.section	.text._ZN7rocprim17ROCPRIM_400000_NS6detail17trampoline_kernelINS0_14default_configENS1_25partition_config_selectorILNS1_17partition_subalgoE5EfNS0_10empty_typeEbEEZZNS1_14partition_implILS5_5ELb0ES3_mN6thrust23THRUST_200600_302600_NS6detail15normal_iteratorINSA_10device_ptrIfEEEEPS6_NSA_18transform_iteratorINSB_9not_fun_tI7is_trueIfEEENSC_INSD_IbEEEENSA_11use_defaultESO_EENS0_5tupleIJNSA_16discard_iteratorISO_EES6_EEENSQ_IJSG_SG_EEES6_PlJS6_EEE10hipError_tPvRmT3_T4_T5_T6_T7_T9_mT8_P12ihipStream_tbDpT10_ENKUlT_T0_E_clISt17integral_constantIbLb0EES1F_EEDaS1A_S1B_EUlS1A_E_NS1_11comp_targetILNS1_3genE9ELNS1_11target_archE1100ELNS1_3gpuE3ELNS1_3repE0EEENS1_30default_config_static_selectorELNS0_4arch9wavefront6targetE0EEEvT1_,"axG",@progbits,_ZN7rocprim17ROCPRIM_400000_NS6detail17trampoline_kernelINS0_14default_configENS1_25partition_config_selectorILNS1_17partition_subalgoE5EfNS0_10empty_typeEbEEZZNS1_14partition_implILS5_5ELb0ES3_mN6thrust23THRUST_200600_302600_NS6detail15normal_iteratorINSA_10device_ptrIfEEEEPS6_NSA_18transform_iteratorINSB_9not_fun_tI7is_trueIfEEENSC_INSD_IbEEEENSA_11use_defaultESO_EENS0_5tupleIJNSA_16discard_iteratorISO_EES6_EEENSQ_IJSG_SG_EEES6_PlJS6_EEE10hipError_tPvRmT3_T4_T5_T6_T7_T9_mT8_P12ihipStream_tbDpT10_ENKUlT_T0_E_clISt17integral_constantIbLb0EES1F_EEDaS1A_S1B_EUlS1A_E_NS1_11comp_targetILNS1_3genE9ELNS1_11target_archE1100ELNS1_3gpuE3ELNS1_3repE0EEENS1_30default_config_static_selectorELNS0_4arch9wavefront6targetE0EEEvT1_,comdat
.Lfunc_end2627:
	.size	_ZN7rocprim17ROCPRIM_400000_NS6detail17trampoline_kernelINS0_14default_configENS1_25partition_config_selectorILNS1_17partition_subalgoE5EfNS0_10empty_typeEbEEZZNS1_14partition_implILS5_5ELb0ES3_mN6thrust23THRUST_200600_302600_NS6detail15normal_iteratorINSA_10device_ptrIfEEEEPS6_NSA_18transform_iteratorINSB_9not_fun_tI7is_trueIfEEENSC_INSD_IbEEEENSA_11use_defaultESO_EENS0_5tupleIJNSA_16discard_iteratorISO_EES6_EEENSQ_IJSG_SG_EEES6_PlJS6_EEE10hipError_tPvRmT3_T4_T5_T6_T7_T9_mT8_P12ihipStream_tbDpT10_ENKUlT_T0_E_clISt17integral_constantIbLb0EES1F_EEDaS1A_S1B_EUlS1A_E_NS1_11comp_targetILNS1_3genE9ELNS1_11target_archE1100ELNS1_3gpuE3ELNS1_3repE0EEENS1_30default_config_static_selectorELNS0_4arch9wavefront6targetE0EEEvT1_, .Lfunc_end2627-_ZN7rocprim17ROCPRIM_400000_NS6detail17trampoline_kernelINS0_14default_configENS1_25partition_config_selectorILNS1_17partition_subalgoE5EfNS0_10empty_typeEbEEZZNS1_14partition_implILS5_5ELb0ES3_mN6thrust23THRUST_200600_302600_NS6detail15normal_iteratorINSA_10device_ptrIfEEEEPS6_NSA_18transform_iteratorINSB_9not_fun_tI7is_trueIfEEENSC_INSD_IbEEEENSA_11use_defaultESO_EENS0_5tupleIJNSA_16discard_iteratorISO_EES6_EEENSQ_IJSG_SG_EEES6_PlJS6_EEE10hipError_tPvRmT3_T4_T5_T6_T7_T9_mT8_P12ihipStream_tbDpT10_ENKUlT_T0_E_clISt17integral_constantIbLb0EES1F_EEDaS1A_S1B_EUlS1A_E_NS1_11comp_targetILNS1_3genE9ELNS1_11target_archE1100ELNS1_3gpuE3ELNS1_3repE0EEENS1_30default_config_static_selectorELNS0_4arch9wavefront6targetE0EEEvT1_
                                        ; -- End function
	.set _ZN7rocprim17ROCPRIM_400000_NS6detail17trampoline_kernelINS0_14default_configENS1_25partition_config_selectorILNS1_17partition_subalgoE5EfNS0_10empty_typeEbEEZZNS1_14partition_implILS5_5ELb0ES3_mN6thrust23THRUST_200600_302600_NS6detail15normal_iteratorINSA_10device_ptrIfEEEEPS6_NSA_18transform_iteratorINSB_9not_fun_tI7is_trueIfEEENSC_INSD_IbEEEENSA_11use_defaultESO_EENS0_5tupleIJNSA_16discard_iteratorISO_EES6_EEENSQ_IJSG_SG_EEES6_PlJS6_EEE10hipError_tPvRmT3_T4_T5_T6_T7_T9_mT8_P12ihipStream_tbDpT10_ENKUlT_T0_E_clISt17integral_constantIbLb0EES1F_EEDaS1A_S1B_EUlS1A_E_NS1_11comp_targetILNS1_3genE9ELNS1_11target_archE1100ELNS1_3gpuE3ELNS1_3repE0EEENS1_30default_config_static_selectorELNS0_4arch9wavefront6targetE0EEEvT1_.num_vgpr, 0
	.set _ZN7rocprim17ROCPRIM_400000_NS6detail17trampoline_kernelINS0_14default_configENS1_25partition_config_selectorILNS1_17partition_subalgoE5EfNS0_10empty_typeEbEEZZNS1_14partition_implILS5_5ELb0ES3_mN6thrust23THRUST_200600_302600_NS6detail15normal_iteratorINSA_10device_ptrIfEEEEPS6_NSA_18transform_iteratorINSB_9not_fun_tI7is_trueIfEEENSC_INSD_IbEEEENSA_11use_defaultESO_EENS0_5tupleIJNSA_16discard_iteratorISO_EES6_EEENSQ_IJSG_SG_EEES6_PlJS6_EEE10hipError_tPvRmT3_T4_T5_T6_T7_T9_mT8_P12ihipStream_tbDpT10_ENKUlT_T0_E_clISt17integral_constantIbLb0EES1F_EEDaS1A_S1B_EUlS1A_E_NS1_11comp_targetILNS1_3genE9ELNS1_11target_archE1100ELNS1_3gpuE3ELNS1_3repE0EEENS1_30default_config_static_selectorELNS0_4arch9wavefront6targetE0EEEvT1_.num_agpr, 0
	.set _ZN7rocprim17ROCPRIM_400000_NS6detail17trampoline_kernelINS0_14default_configENS1_25partition_config_selectorILNS1_17partition_subalgoE5EfNS0_10empty_typeEbEEZZNS1_14partition_implILS5_5ELb0ES3_mN6thrust23THRUST_200600_302600_NS6detail15normal_iteratorINSA_10device_ptrIfEEEEPS6_NSA_18transform_iteratorINSB_9not_fun_tI7is_trueIfEEENSC_INSD_IbEEEENSA_11use_defaultESO_EENS0_5tupleIJNSA_16discard_iteratorISO_EES6_EEENSQ_IJSG_SG_EEES6_PlJS6_EEE10hipError_tPvRmT3_T4_T5_T6_T7_T9_mT8_P12ihipStream_tbDpT10_ENKUlT_T0_E_clISt17integral_constantIbLb0EES1F_EEDaS1A_S1B_EUlS1A_E_NS1_11comp_targetILNS1_3genE9ELNS1_11target_archE1100ELNS1_3gpuE3ELNS1_3repE0EEENS1_30default_config_static_selectorELNS0_4arch9wavefront6targetE0EEEvT1_.numbered_sgpr, 0
	.set _ZN7rocprim17ROCPRIM_400000_NS6detail17trampoline_kernelINS0_14default_configENS1_25partition_config_selectorILNS1_17partition_subalgoE5EfNS0_10empty_typeEbEEZZNS1_14partition_implILS5_5ELb0ES3_mN6thrust23THRUST_200600_302600_NS6detail15normal_iteratorINSA_10device_ptrIfEEEEPS6_NSA_18transform_iteratorINSB_9not_fun_tI7is_trueIfEEENSC_INSD_IbEEEENSA_11use_defaultESO_EENS0_5tupleIJNSA_16discard_iteratorISO_EES6_EEENSQ_IJSG_SG_EEES6_PlJS6_EEE10hipError_tPvRmT3_T4_T5_T6_T7_T9_mT8_P12ihipStream_tbDpT10_ENKUlT_T0_E_clISt17integral_constantIbLb0EES1F_EEDaS1A_S1B_EUlS1A_E_NS1_11comp_targetILNS1_3genE9ELNS1_11target_archE1100ELNS1_3gpuE3ELNS1_3repE0EEENS1_30default_config_static_selectorELNS0_4arch9wavefront6targetE0EEEvT1_.num_named_barrier, 0
	.set _ZN7rocprim17ROCPRIM_400000_NS6detail17trampoline_kernelINS0_14default_configENS1_25partition_config_selectorILNS1_17partition_subalgoE5EfNS0_10empty_typeEbEEZZNS1_14partition_implILS5_5ELb0ES3_mN6thrust23THRUST_200600_302600_NS6detail15normal_iteratorINSA_10device_ptrIfEEEEPS6_NSA_18transform_iteratorINSB_9not_fun_tI7is_trueIfEEENSC_INSD_IbEEEENSA_11use_defaultESO_EENS0_5tupleIJNSA_16discard_iteratorISO_EES6_EEENSQ_IJSG_SG_EEES6_PlJS6_EEE10hipError_tPvRmT3_T4_T5_T6_T7_T9_mT8_P12ihipStream_tbDpT10_ENKUlT_T0_E_clISt17integral_constantIbLb0EES1F_EEDaS1A_S1B_EUlS1A_E_NS1_11comp_targetILNS1_3genE9ELNS1_11target_archE1100ELNS1_3gpuE3ELNS1_3repE0EEENS1_30default_config_static_selectorELNS0_4arch9wavefront6targetE0EEEvT1_.private_seg_size, 0
	.set _ZN7rocprim17ROCPRIM_400000_NS6detail17trampoline_kernelINS0_14default_configENS1_25partition_config_selectorILNS1_17partition_subalgoE5EfNS0_10empty_typeEbEEZZNS1_14partition_implILS5_5ELb0ES3_mN6thrust23THRUST_200600_302600_NS6detail15normal_iteratorINSA_10device_ptrIfEEEEPS6_NSA_18transform_iteratorINSB_9not_fun_tI7is_trueIfEEENSC_INSD_IbEEEENSA_11use_defaultESO_EENS0_5tupleIJNSA_16discard_iteratorISO_EES6_EEENSQ_IJSG_SG_EEES6_PlJS6_EEE10hipError_tPvRmT3_T4_T5_T6_T7_T9_mT8_P12ihipStream_tbDpT10_ENKUlT_T0_E_clISt17integral_constantIbLb0EES1F_EEDaS1A_S1B_EUlS1A_E_NS1_11comp_targetILNS1_3genE9ELNS1_11target_archE1100ELNS1_3gpuE3ELNS1_3repE0EEENS1_30default_config_static_selectorELNS0_4arch9wavefront6targetE0EEEvT1_.uses_vcc, 0
	.set _ZN7rocprim17ROCPRIM_400000_NS6detail17trampoline_kernelINS0_14default_configENS1_25partition_config_selectorILNS1_17partition_subalgoE5EfNS0_10empty_typeEbEEZZNS1_14partition_implILS5_5ELb0ES3_mN6thrust23THRUST_200600_302600_NS6detail15normal_iteratorINSA_10device_ptrIfEEEEPS6_NSA_18transform_iteratorINSB_9not_fun_tI7is_trueIfEEENSC_INSD_IbEEEENSA_11use_defaultESO_EENS0_5tupleIJNSA_16discard_iteratorISO_EES6_EEENSQ_IJSG_SG_EEES6_PlJS6_EEE10hipError_tPvRmT3_T4_T5_T6_T7_T9_mT8_P12ihipStream_tbDpT10_ENKUlT_T0_E_clISt17integral_constantIbLb0EES1F_EEDaS1A_S1B_EUlS1A_E_NS1_11comp_targetILNS1_3genE9ELNS1_11target_archE1100ELNS1_3gpuE3ELNS1_3repE0EEENS1_30default_config_static_selectorELNS0_4arch9wavefront6targetE0EEEvT1_.uses_flat_scratch, 0
	.set _ZN7rocprim17ROCPRIM_400000_NS6detail17trampoline_kernelINS0_14default_configENS1_25partition_config_selectorILNS1_17partition_subalgoE5EfNS0_10empty_typeEbEEZZNS1_14partition_implILS5_5ELb0ES3_mN6thrust23THRUST_200600_302600_NS6detail15normal_iteratorINSA_10device_ptrIfEEEEPS6_NSA_18transform_iteratorINSB_9not_fun_tI7is_trueIfEEENSC_INSD_IbEEEENSA_11use_defaultESO_EENS0_5tupleIJNSA_16discard_iteratorISO_EES6_EEENSQ_IJSG_SG_EEES6_PlJS6_EEE10hipError_tPvRmT3_T4_T5_T6_T7_T9_mT8_P12ihipStream_tbDpT10_ENKUlT_T0_E_clISt17integral_constantIbLb0EES1F_EEDaS1A_S1B_EUlS1A_E_NS1_11comp_targetILNS1_3genE9ELNS1_11target_archE1100ELNS1_3gpuE3ELNS1_3repE0EEENS1_30default_config_static_selectorELNS0_4arch9wavefront6targetE0EEEvT1_.has_dyn_sized_stack, 0
	.set _ZN7rocprim17ROCPRIM_400000_NS6detail17trampoline_kernelINS0_14default_configENS1_25partition_config_selectorILNS1_17partition_subalgoE5EfNS0_10empty_typeEbEEZZNS1_14partition_implILS5_5ELb0ES3_mN6thrust23THRUST_200600_302600_NS6detail15normal_iteratorINSA_10device_ptrIfEEEEPS6_NSA_18transform_iteratorINSB_9not_fun_tI7is_trueIfEEENSC_INSD_IbEEEENSA_11use_defaultESO_EENS0_5tupleIJNSA_16discard_iteratorISO_EES6_EEENSQ_IJSG_SG_EEES6_PlJS6_EEE10hipError_tPvRmT3_T4_T5_T6_T7_T9_mT8_P12ihipStream_tbDpT10_ENKUlT_T0_E_clISt17integral_constantIbLb0EES1F_EEDaS1A_S1B_EUlS1A_E_NS1_11comp_targetILNS1_3genE9ELNS1_11target_archE1100ELNS1_3gpuE3ELNS1_3repE0EEENS1_30default_config_static_selectorELNS0_4arch9wavefront6targetE0EEEvT1_.has_recursion, 0
	.set _ZN7rocprim17ROCPRIM_400000_NS6detail17trampoline_kernelINS0_14default_configENS1_25partition_config_selectorILNS1_17partition_subalgoE5EfNS0_10empty_typeEbEEZZNS1_14partition_implILS5_5ELb0ES3_mN6thrust23THRUST_200600_302600_NS6detail15normal_iteratorINSA_10device_ptrIfEEEEPS6_NSA_18transform_iteratorINSB_9not_fun_tI7is_trueIfEEENSC_INSD_IbEEEENSA_11use_defaultESO_EENS0_5tupleIJNSA_16discard_iteratorISO_EES6_EEENSQ_IJSG_SG_EEES6_PlJS6_EEE10hipError_tPvRmT3_T4_T5_T6_T7_T9_mT8_P12ihipStream_tbDpT10_ENKUlT_T0_E_clISt17integral_constantIbLb0EES1F_EEDaS1A_S1B_EUlS1A_E_NS1_11comp_targetILNS1_3genE9ELNS1_11target_archE1100ELNS1_3gpuE3ELNS1_3repE0EEENS1_30default_config_static_selectorELNS0_4arch9wavefront6targetE0EEEvT1_.has_indirect_call, 0
	.section	.AMDGPU.csdata,"",@progbits
; Kernel info:
; codeLenInByte = 0
; TotalNumSgprs: 0
; NumVgprs: 0
; ScratchSize: 0
; MemoryBound: 0
; FloatMode: 240
; IeeeMode: 1
; LDSByteSize: 0 bytes/workgroup (compile time only)
; SGPRBlocks: 0
; VGPRBlocks: 0
; NumSGPRsForWavesPerEU: 1
; NumVGPRsForWavesPerEU: 1
; Occupancy: 16
; WaveLimiterHint : 0
; COMPUTE_PGM_RSRC2:SCRATCH_EN: 0
; COMPUTE_PGM_RSRC2:USER_SGPR: 2
; COMPUTE_PGM_RSRC2:TRAP_HANDLER: 0
; COMPUTE_PGM_RSRC2:TGID_X_EN: 1
; COMPUTE_PGM_RSRC2:TGID_Y_EN: 0
; COMPUTE_PGM_RSRC2:TGID_Z_EN: 0
; COMPUTE_PGM_RSRC2:TIDIG_COMP_CNT: 0
	.section	.text._ZN7rocprim17ROCPRIM_400000_NS6detail17trampoline_kernelINS0_14default_configENS1_25partition_config_selectorILNS1_17partition_subalgoE5EfNS0_10empty_typeEbEEZZNS1_14partition_implILS5_5ELb0ES3_mN6thrust23THRUST_200600_302600_NS6detail15normal_iteratorINSA_10device_ptrIfEEEEPS6_NSA_18transform_iteratorINSB_9not_fun_tI7is_trueIfEEENSC_INSD_IbEEEENSA_11use_defaultESO_EENS0_5tupleIJNSA_16discard_iteratorISO_EES6_EEENSQ_IJSG_SG_EEES6_PlJS6_EEE10hipError_tPvRmT3_T4_T5_T6_T7_T9_mT8_P12ihipStream_tbDpT10_ENKUlT_T0_E_clISt17integral_constantIbLb0EES1F_EEDaS1A_S1B_EUlS1A_E_NS1_11comp_targetILNS1_3genE8ELNS1_11target_archE1030ELNS1_3gpuE2ELNS1_3repE0EEENS1_30default_config_static_selectorELNS0_4arch9wavefront6targetE0EEEvT1_,"axG",@progbits,_ZN7rocprim17ROCPRIM_400000_NS6detail17trampoline_kernelINS0_14default_configENS1_25partition_config_selectorILNS1_17partition_subalgoE5EfNS0_10empty_typeEbEEZZNS1_14partition_implILS5_5ELb0ES3_mN6thrust23THRUST_200600_302600_NS6detail15normal_iteratorINSA_10device_ptrIfEEEEPS6_NSA_18transform_iteratorINSB_9not_fun_tI7is_trueIfEEENSC_INSD_IbEEEENSA_11use_defaultESO_EENS0_5tupleIJNSA_16discard_iteratorISO_EES6_EEENSQ_IJSG_SG_EEES6_PlJS6_EEE10hipError_tPvRmT3_T4_T5_T6_T7_T9_mT8_P12ihipStream_tbDpT10_ENKUlT_T0_E_clISt17integral_constantIbLb0EES1F_EEDaS1A_S1B_EUlS1A_E_NS1_11comp_targetILNS1_3genE8ELNS1_11target_archE1030ELNS1_3gpuE2ELNS1_3repE0EEENS1_30default_config_static_selectorELNS0_4arch9wavefront6targetE0EEEvT1_,comdat
	.protected	_ZN7rocprim17ROCPRIM_400000_NS6detail17trampoline_kernelINS0_14default_configENS1_25partition_config_selectorILNS1_17partition_subalgoE5EfNS0_10empty_typeEbEEZZNS1_14partition_implILS5_5ELb0ES3_mN6thrust23THRUST_200600_302600_NS6detail15normal_iteratorINSA_10device_ptrIfEEEEPS6_NSA_18transform_iteratorINSB_9not_fun_tI7is_trueIfEEENSC_INSD_IbEEEENSA_11use_defaultESO_EENS0_5tupleIJNSA_16discard_iteratorISO_EES6_EEENSQ_IJSG_SG_EEES6_PlJS6_EEE10hipError_tPvRmT3_T4_T5_T6_T7_T9_mT8_P12ihipStream_tbDpT10_ENKUlT_T0_E_clISt17integral_constantIbLb0EES1F_EEDaS1A_S1B_EUlS1A_E_NS1_11comp_targetILNS1_3genE8ELNS1_11target_archE1030ELNS1_3gpuE2ELNS1_3repE0EEENS1_30default_config_static_selectorELNS0_4arch9wavefront6targetE0EEEvT1_ ; -- Begin function _ZN7rocprim17ROCPRIM_400000_NS6detail17trampoline_kernelINS0_14default_configENS1_25partition_config_selectorILNS1_17partition_subalgoE5EfNS0_10empty_typeEbEEZZNS1_14partition_implILS5_5ELb0ES3_mN6thrust23THRUST_200600_302600_NS6detail15normal_iteratorINSA_10device_ptrIfEEEEPS6_NSA_18transform_iteratorINSB_9not_fun_tI7is_trueIfEEENSC_INSD_IbEEEENSA_11use_defaultESO_EENS0_5tupleIJNSA_16discard_iteratorISO_EES6_EEENSQ_IJSG_SG_EEES6_PlJS6_EEE10hipError_tPvRmT3_T4_T5_T6_T7_T9_mT8_P12ihipStream_tbDpT10_ENKUlT_T0_E_clISt17integral_constantIbLb0EES1F_EEDaS1A_S1B_EUlS1A_E_NS1_11comp_targetILNS1_3genE8ELNS1_11target_archE1030ELNS1_3gpuE2ELNS1_3repE0EEENS1_30default_config_static_selectorELNS0_4arch9wavefront6targetE0EEEvT1_
	.globl	_ZN7rocprim17ROCPRIM_400000_NS6detail17trampoline_kernelINS0_14default_configENS1_25partition_config_selectorILNS1_17partition_subalgoE5EfNS0_10empty_typeEbEEZZNS1_14partition_implILS5_5ELb0ES3_mN6thrust23THRUST_200600_302600_NS6detail15normal_iteratorINSA_10device_ptrIfEEEEPS6_NSA_18transform_iteratorINSB_9not_fun_tI7is_trueIfEEENSC_INSD_IbEEEENSA_11use_defaultESO_EENS0_5tupleIJNSA_16discard_iteratorISO_EES6_EEENSQ_IJSG_SG_EEES6_PlJS6_EEE10hipError_tPvRmT3_T4_T5_T6_T7_T9_mT8_P12ihipStream_tbDpT10_ENKUlT_T0_E_clISt17integral_constantIbLb0EES1F_EEDaS1A_S1B_EUlS1A_E_NS1_11comp_targetILNS1_3genE8ELNS1_11target_archE1030ELNS1_3gpuE2ELNS1_3repE0EEENS1_30default_config_static_selectorELNS0_4arch9wavefront6targetE0EEEvT1_
	.p2align	8
	.type	_ZN7rocprim17ROCPRIM_400000_NS6detail17trampoline_kernelINS0_14default_configENS1_25partition_config_selectorILNS1_17partition_subalgoE5EfNS0_10empty_typeEbEEZZNS1_14partition_implILS5_5ELb0ES3_mN6thrust23THRUST_200600_302600_NS6detail15normal_iteratorINSA_10device_ptrIfEEEEPS6_NSA_18transform_iteratorINSB_9not_fun_tI7is_trueIfEEENSC_INSD_IbEEEENSA_11use_defaultESO_EENS0_5tupleIJNSA_16discard_iteratorISO_EES6_EEENSQ_IJSG_SG_EEES6_PlJS6_EEE10hipError_tPvRmT3_T4_T5_T6_T7_T9_mT8_P12ihipStream_tbDpT10_ENKUlT_T0_E_clISt17integral_constantIbLb0EES1F_EEDaS1A_S1B_EUlS1A_E_NS1_11comp_targetILNS1_3genE8ELNS1_11target_archE1030ELNS1_3gpuE2ELNS1_3repE0EEENS1_30default_config_static_selectorELNS0_4arch9wavefront6targetE0EEEvT1_,@function
_ZN7rocprim17ROCPRIM_400000_NS6detail17trampoline_kernelINS0_14default_configENS1_25partition_config_selectorILNS1_17partition_subalgoE5EfNS0_10empty_typeEbEEZZNS1_14partition_implILS5_5ELb0ES3_mN6thrust23THRUST_200600_302600_NS6detail15normal_iteratorINSA_10device_ptrIfEEEEPS6_NSA_18transform_iteratorINSB_9not_fun_tI7is_trueIfEEENSC_INSD_IbEEEENSA_11use_defaultESO_EENS0_5tupleIJNSA_16discard_iteratorISO_EES6_EEENSQ_IJSG_SG_EEES6_PlJS6_EEE10hipError_tPvRmT3_T4_T5_T6_T7_T9_mT8_P12ihipStream_tbDpT10_ENKUlT_T0_E_clISt17integral_constantIbLb0EES1F_EEDaS1A_S1B_EUlS1A_E_NS1_11comp_targetILNS1_3genE8ELNS1_11target_archE1030ELNS1_3gpuE2ELNS1_3repE0EEENS1_30default_config_static_selectorELNS0_4arch9wavefront6targetE0EEEvT1_: ; @_ZN7rocprim17ROCPRIM_400000_NS6detail17trampoline_kernelINS0_14default_configENS1_25partition_config_selectorILNS1_17partition_subalgoE5EfNS0_10empty_typeEbEEZZNS1_14partition_implILS5_5ELb0ES3_mN6thrust23THRUST_200600_302600_NS6detail15normal_iteratorINSA_10device_ptrIfEEEEPS6_NSA_18transform_iteratorINSB_9not_fun_tI7is_trueIfEEENSC_INSD_IbEEEENSA_11use_defaultESO_EENS0_5tupleIJNSA_16discard_iteratorISO_EES6_EEENSQ_IJSG_SG_EEES6_PlJS6_EEE10hipError_tPvRmT3_T4_T5_T6_T7_T9_mT8_P12ihipStream_tbDpT10_ENKUlT_T0_E_clISt17integral_constantIbLb0EES1F_EEDaS1A_S1B_EUlS1A_E_NS1_11comp_targetILNS1_3genE8ELNS1_11target_archE1030ELNS1_3gpuE2ELNS1_3repE0EEENS1_30default_config_static_selectorELNS0_4arch9wavefront6targetE0EEEvT1_
; %bb.0:
	.section	.rodata,"a",@progbits
	.p2align	6, 0x0
	.amdhsa_kernel _ZN7rocprim17ROCPRIM_400000_NS6detail17trampoline_kernelINS0_14default_configENS1_25partition_config_selectorILNS1_17partition_subalgoE5EfNS0_10empty_typeEbEEZZNS1_14partition_implILS5_5ELb0ES3_mN6thrust23THRUST_200600_302600_NS6detail15normal_iteratorINSA_10device_ptrIfEEEEPS6_NSA_18transform_iteratorINSB_9not_fun_tI7is_trueIfEEENSC_INSD_IbEEEENSA_11use_defaultESO_EENS0_5tupleIJNSA_16discard_iteratorISO_EES6_EEENSQ_IJSG_SG_EEES6_PlJS6_EEE10hipError_tPvRmT3_T4_T5_T6_T7_T9_mT8_P12ihipStream_tbDpT10_ENKUlT_T0_E_clISt17integral_constantIbLb0EES1F_EEDaS1A_S1B_EUlS1A_E_NS1_11comp_targetILNS1_3genE8ELNS1_11target_archE1030ELNS1_3gpuE2ELNS1_3repE0EEENS1_30default_config_static_selectorELNS0_4arch9wavefront6targetE0EEEvT1_
		.amdhsa_group_segment_fixed_size 0
		.amdhsa_private_segment_fixed_size 0
		.amdhsa_kernarg_size 128
		.amdhsa_user_sgpr_count 2
		.amdhsa_user_sgpr_dispatch_ptr 0
		.amdhsa_user_sgpr_queue_ptr 0
		.amdhsa_user_sgpr_kernarg_segment_ptr 1
		.amdhsa_user_sgpr_dispatch_id 0
		.amdhsa_user_sgpr_private_segment_size 0
		.amdhsa_wavefront_size32 1
		.amdhsa_uses_dynamic_stack 0
		.amdhsa_enable_private_segment 0
		.amdhsa_system_sgpr_workgroup_id_x 1
		.amdhsa_system_sgpr_workgroup_id_y 0
		.amdhsa_system_sgpr_workgroup_id_z 0
		.amdhsa_system_sgpr_workgroup_info 0
		.amdhsa_system_vgpr_workitem_id 0
		.amdhsa_next_free_vgpr 1
		.amdhsa_next_free_sgpr 1
		.amdhsa_reserve_vcc 0
		.amdhsa_float_round_mode_32 0
		.amdhsa_float_round_mode_16_64 0
		.amdhsa_float_denorm_mode_32 3
		.amdhsa_float_denorm_mode_16_64 3
		.amdhsa_fp16_overflow 0
		.amdhsa_workgroup_processor_mode 1
		.amdhsa_memory_ordered 1
		.amdhsa_forward_progress 1
		.amdhsa_inst_pref_size 0
		.amdhsa_round_robin_scheduling 0
		.amdhsa_exception_fp_ieee_invalid_op 0
		.amdhsa_exception_fp_denorm_src 0
		.amdhsa_exception_fp_ieee_div_zero 0
		.amdhsa_exception_fp_ieee_overflow 0
		.amdhsa_exception_fp_ieee_underflow 0
		.amdhsa_exception_fp_ieee_inexact 0
		.amdhsa_exception_int_div_zero 0
	.end_amdhsa_kernel
	.section	.text._ZN7rocprim17ROCPRIM_400000_NS6detail17trampoline_kernelINS0_14default_configENS1_25partition_config_selectorILNS1_17partition_subalgoE5EfNS0_10empty_typeEbEEZZNS1_14partition_implILS5_5ELb0ES3_mN6thrust23THRUST_200600_302600_NS6detail15normal_iteratorINSA_10device_ptrIfEEEEPS6_NSA_18transform_iteratorINSB_9not_fun_tI7is_trueIfEEENSC_INSD_IbEEEENSA_11use_defaultESO_EENS0_5tupleIJNSA_16discard_iteratorISO_EES6_EEENSQ_IJSG_SG_EEES6_PlJS6_EEE10hipError_tPvRmT3_T4_T5_T6_T7_T9_mT8_P12ihipStream_tbDpT10_ENKUlT_T0_E_clISt17integral_constantIbLb0EES1F_EEDaS1A_S1B_EUlS1A_E_NS1_11comp_targetILNS1_3genE8ELNS1_11target_archE1030ELNS1_3gpuE2ELNS1_3repE0EEENS1_30default_config_static_selectorELNS0_4arch9wavefront6targetE0EEEvT1_,"axG",@progbits,_ZN7rocprim17ROCPRIM_400000_NS6detail17trampoline_kernelINS0_14default_configENS1_25partition_config_selectorILNS1_17partition_subalgoE5EfNS0_10empty_typeEbEEZZNS1_14partition_implILS5_5ELb0ES3_mN6thrust23THRUST_200600_302600_NS6detail15normal_iteratorINSA_10device_ptrIfEEEEPS6_NSA_18transform_iteratorINSB_9not_fun_tI7is_trueIfEEENSC_INSD_IbEEEENSA_11use_defaultESO_EENS0_5tupleIJNSA_16discard_iteratorISO_EES6_EEENSQ_IJSG_SG_EEES6_PlJS6_EEE10hipError_tPvRmT3_T4_T5_T6_T7_T9_mT8_P12ihipStream_tbDpT10_ENKUlT_T0_E_clISt17integral_constantIbLb0EES1F_EEDaS1A_S1B_EUlS1A_E_NS1_11comp_targetILNS1_3genE8ELNS1_11target_archE1030ELNS1_3gpuE2ELNS1_3repE0EEENS1_30default_config_static_selectorELNS0_4arch9wavefront6targetE0EEEvT1_,comdat
.Lfunc_end2628:
	.size	_ZN7rocprim17ROCPRIM_400000_NS6detail17trampoline_kernelINS0_14default_configENS1_25partition_config_selectorILNS1_17partition_subalgoE5EfNS0_10empty_typeEbEEZZNS1_14partition_implILS5_5ELb0ES3_mN6thrust23THRUST_200600_302600_NS6detail15normal_iteratorINSA_10device_ptrIfEEEEPS6_NSA_18transform_iteratorINSB_9not_fun_tI7is_trueIfEEENSC_INSD_IbEEEENSA_11use_defaultESO_EENS0_5tupleIJNSA_16discard_iteratorISO_EES6_EEENSQ_IJSG_SG_EEES6_PlJS6_EEE10hipError_tPvRmT3_T4_T5_T6_T7_T9_mT8_P12ihipStream_tbDpT10_ENKUlT_T0_E_clISt17integral_constantIbLb0EES1F_EEDaS1A_S1B_EUlS1A_E_NS1_11comp_targetILNS1_3genE8ELNS1_11target_archE1030ELNS1_3gpuE2ELNS1_3repE0EEENS1_30default_config_static_selectorELNS0_4arch9wavefront6targetE0EEEvT1_, .Lfunc_end2628-_ZN7rocprim17ROCPRIM_400000_NS6detail17trampoline_kernelINS0_14default_configENS1_25partition_config_selectorILNS1_17partition_subalgoE5EfNS0_10empty_typeEbEEZZNS1_14partition_implILS5_5ELb0ES3_mN6thrust23THRUST_200600_302600_NS6detail15normal_iteratorINSA_10device_ptrIfEEEEPS6_NSA_18transform_iteratorINSB_9not_fun_tI7is_trueIfEEENSC_INSD_IbEEEENSA_11use_defaultESO_EENS0_5tupleIJNSA_16discard_iteratorISO_EES6_EEENSQ_IJSG_SG_EEES6_PlJS6_EEE10hipError_tPvRmT3_T4_T5_T6_T7_T9_mT8_P12ihipStream_tbDpT10_ENKUlT_T0_E_clISt17integral_constantIbLb0EES1F_EEDaS1A_S1B_EUlS1A_E_NS1_11comp_targetILNS1_3genE8ELNS1_11target_archE1030ELNS1_3gpuE2ELNS1_3repE0EEENS1_30default_config_static_selectorELNS0_4arch9wavefront6targetE0EEEvT1_
                                        ; -- End function
	.set _ZN7rocprim17ROCPRIM_400000_NS6detail17trampoline_kernelINS0_14default_configENS1_25partition_config_selectorILNS1_17partition_subalgoE5EfNS0_10empty_typeEbEEZZNS1_14partition_implILS5_5ELb0ES3_mN6thrust23THRUST_200600_302600_NS6detail15normal_iteratorINSA_10device_ptrIfEEEEPS6_NSA_18transform_iteratorINSB_9not_fun_tI7is_trueIfEEENSC_INSD_IbEEEENSA_11use_defaultESO_EENS0_5tupleIJNSA_16discard_iteratorISO_EES6_EEENSQ_IJSG_SG_EEES6_PlJS6_EEE10hipError_tPvRmT3_T4_T5_T6_T7_T9_mT8_P12ihipStream_tbDpT10_ENKUlT_T0_E_clISt17integral_constantIbLb0EES1F_EEDaS1A_S1B_EUlS1A_E_NS1_11comp_targetILNS1_3genE8ELNS1_11target_archE1030ELNS1_3gpuE2ELNS1_3repE0EEENS1_30default_config_static_selectorELNS0_4arch9wavefront6targetE0EEEvT1_.num_vgpr, 0
	.set _ZN7rocprim17ROCPRIM_400000_NS6detail17trampoline_kernelINS0_14default_configENS1_25partition_config_selectorILNS1_17partition_subalgoE5EfNS0_10empty_typeEbEEZZNS1_14partition_implILS5_5ELb0ES3_mN6thrust23THRUST_200600_302600_NS6detail15normal_iteratorINSA_10device_ptrIfEEEEPS6_NSA_18transform_iteratorINSB_9not_fun_tI7is_trueIfEEENSC_INSD_IbEEEENSA_11use_defaultESO_EENS0_5tupleIJNSA_16discard_iteratorISO_EES6_EEENSQ_IJSG_SG_EEES6_PlJS6_EEE10hipError_tPvRmT3_T4_T5_T6_T7_T9_mT8_P12ihipStream_tbDpT10_ENKUlT_T0_E_clISt17integral_constantIbLb0EES1F_EEDaS1A_S1B_EUlS1A_E_NS1_11comp_targetILNS1_3genE8ELNS1_11target_archE1030ELNS1_3gpuE2ELNS1_3repE0EEENS1_30default_config_static_selectorELNS0_4arch9wavefront6targetE0EEEvT1_.num_agpr, 0
	.set _ZN7rocprim17ROCPRIM_400000_NS6detail17trampoline_kernelINS0_14default_configENS1_25partition_config_selectorILNS1_17partition_subalgoE5EfNS0_10empty_typeEbEEZZNS1_14partition_implILS5_5ELb0ES3_mN6thrust23THRUST_200600_302600_NS6detail15normal_iteratorINSA_10device_ptrIfEEEEPS6_NSA_18transform_iteratorINSB_9not_fun_tI7is_trueIfEEENSC_INSD_IbEEEENSA_11use_defaultESO_EENS0_5tupleIJNSA_16discard_iteratorISO_EES6_EEENSQ_IJSG_SG_EEES6_PlJS6_EEE10hipError_tPvRmT3_T4_T5_T6_T7_T9_mT8_P12ihipStream_tbDpT10_ENKUlT_T0_E_clISt17integral_constantIbLb0EES1F_EEDaS1A_S1B_EUlS1A_E_NS1_11comp_targetILNS1_3genE8ELNS1_11target_archE1030ELNS1_3gpuE2ELNS1_3repE0EEENS1_30default_config_static_selectorELNS0_4arch9wavefront6targetE0EEEvT1_.numbered_sgpr, 0
	.set _ZN7rocprim17ROCPRIM_400000_NS6detail17trampoline_kernelINS0_14default_configENS1_25partition_config_selectorILNS1_17partition_subalgoE5EfNS0_10empty_typeEbEEZZNS1_14partition_implILS5_5ELb0ES3_mN6thrust23THRUST_200600_302600_NS6detail15normal_iteratorINSA_10device_ptrIfEEEEPS6_NSA_18transform_iteratorINSB_9not_fun_tI7is_trueIfEEENSC_INSD_IbEEEENSA_11use_defaultESO_EENS0_5tupleIJNSA_16discard_iteratorISO_EES6_EEENSQ_IJSG_SG_EEES6_PlJS6_EEE10hipError_tPvRmT3_T4_T5_T6_T7_T9_mT8_P12ihipStream_tbDpT10_ENKUlT_T0_E_clISt17integral_constantIbLb0EES1F_EEDaS1A_S1B_EUlS1A_E_NS1_11comp_targetILNS1_3genE8ELNS1_11target_archE1030ELNS1_3gpuE2ELNS1_3repE0EEENS1_30default_config_static_selectorELNS0_4arch9wavefront6targetE0EEEvT1_.num_named_barrier, 0
	.set _ZN7rocprim17ROCPRIM_400000_NS6detail17trampoline_kernelINS0_14default_configENS1_25partition_config_selectorILNS1_17partition_subalgoE5EfNS0_10empty_typeEbEEZZNS1_14partition_implILS5_5ELb0ES3_mN6thrust23THRUST_200600_302600_NS6detail15normal_iteratorINSA_10device_ptrIfEEEEPS6_NSA_18transform_iteratorINSB_9not_fun_tI7is_trueIfEEENSC_INSD_IbEEEENSA_11use_defaultESO_EENS0_5tupleIJNSA_16discard_iteratorISO_EES6_EEENSQ_IJSG_SG_EEES6_PlJS6_EEE10hipError_tPvRmT3_T4_T5_T6_T7_T9_mT8_P12ihipStream_tbDpT10_ENKUlT_T0_E_clISt17integral_constantIbLb0EES1F_EEDaS1A_S1B_EUlS1A_E_NS1_11comp_targetILNS1_3genE8ELNS1_11target_archE1030ELNS1_3gpuE2ELNS1_3repE0EEENS1_30default_config_static_selectorELNS0_4arch9wavefront6targetE0EEEvT1_.private_seg_size, 0
	.set _ZN7rocprim17ROCPRIM_400000_NS6detail17trampoline_kernelINS0_14default_configENS1_25partition_config_selectorILNS1_17partition_subalgoE5EfNS0_10empty_typeEbEEZZNS1_14partition_implILS5_5ELb0ES3_mN6thrust23THRUST_200600_302600_NS6detail15normal_iteratorINSA_10device_ptrIfEEEEPS6_NSA_18transform_iteratorINSB_9not_fun_tI7is_trueIfEEENSC_INSD_IbEEEENSA_11use_defaultESO_EENS0_5tupleIJNSA_16discard_iteratorISO_EES6_EEENSQ_IJSG_SG_EEES6_PlJS6_EEE10hipError_tPvRmT3_T4_T5_T6_T7_T9_mT8_P12ihipStream_tbDpT10_ENKUlT_T0_E_clISt17integral_constantIbLb0EES1F_EEDaS1A_S1B_EUlS1A_E_NS1_11comp_targetILNS1_3genE8ELNS1_11target_archE1030ELNS1_3gpuE2ELNS1_3repE0EEENS1_30default_config_static_selectorELNS0_4arch9wavefront6targetE0EEEvT1_.uses_vcc, 0
	.set _ZN7rocprim17ROCPRIM_400000_NS6detail17trampoline_kernelINS0_14default_configENS1_25partition_config_selectorILNS1_17partition_subalgoE5EfNS0_10empty_typeEbEEZZNS1_14partition_implILS5_5ELb0ES3_mN6thrust23THRUST_200600_302600_NS6detail15normal_iteratorINSA_10device_ptrIfEEEEPS6_NSA_18transform_iteratorINSB_9not_fun_tI7is_trueIfEEENSC_INSD_IbEEEENSA_11use_defaultESO_EENS0_5tupleIJNSA_16discard_iteratorISO_EES6_EEENSQ_IJSG_SG_EEES6_PlJS6_EEE10hipError_tPvRmT3_T4_T5_T6_T7_T9_mT8_P12ihipStream_tbDpT10_ENKUlT_T0_E_clISt17integral_constantIbLb0EES1F_EEDaS1A_S1B_EUlS1A_E_NS1_11comp_targetILNS1_3genE8ELNS1_11target_archE1030ELNS1_3gpuE2ELNS1_3repE0EEENS1_30default_config_static_selectorELNS0_4arch9wavefront6targetE0EEEvT1_.uses_flat_scratch, 0
	.set _ZN7rocprim17ROCPRIM_400000_NS6detail17trampoline_kernelINS0_14default_configENS1_25partition_config_selectorILNS1_17partition_subalgoE5EfNS0_10empty_typeEbEEZZNS1_14partition_implILS5_5ELb0ES3_mN6thrust23THRUST_200600_302600_NS6detail15normal_iteratorINSA_10device_ptrIfEEEEPS6_NSA_18transform_iteratorINSB_9not_fun_tI7is_trueIfEEENSC_INSD_IbEEEENSA_11use_defaultESO_EENS0_5tupleIJNSA_16discard_iteratorISO_EES6_EEENSQ_IJSG_SG_EEES6_PlJS6_EEE10hipError_tPvRmT3_T4_T5_T6_T7_T9_mT8_P12ihipStream_tbDpT10_ENKUlT_T0_E_clISt17integral_constantIbLb0EES1F_EEDaS1A_S1B_EUlS1A_E_NS1_11comp_targetILNS1_3genE8ELNS1_11target_archE1030ELNS1_3gpuE2ELNS1_3repE0EEENS1_30default_config_static_selectorELNS0_4arch9wavefront6targetE0EEEvT1_.has_dyn_sized_stack, 0
	.set _ZN7rocprim17ROCPRIM_400000_NS6detail17trampoline_kernelINS0_14default_configENS1_25partition_config_selectorILNS1_17partition_subalgoE5EfNS0_10empty_typeEbEEZZNS1_14partition_implILS5_5ELb0ES3_mN6thrust23THRUST_200600_302600_NS6detail15normal_iteratorINSA_10device_ptrIfEEEEPS6_NSA_18transform_iteratorINSB_9not_fun_tI7is_trueIfEEENSC_INSD_IbEEEENSA_11use_defaultESO_EENS0_5tupleIJNSA_16discard_iteratorISO_EES6_EEENSQ_IJSG_SG_EEES6_PlJS6_EEE10hipError_tPvRmT3_T4_T5_T6_T7_T9_mT8_P12ihipStream_tbDpT10_ENKUlT_T0_E_clISt17integral_constantIbLb0EES1F_EEDaS1A_S1B_EUlS1A_E_NS1_11comp_targetILNS1_3genE8ELNS1_11target_archE1030ELNS1_3gpuE2ELNS1_3repE0EEENS1_30default_config_static_selectorELNS0_4arch9wavefront6targetE0EEEvT1_.has_recursion, 0
	.set _ZN7rocprim17ROCPRIM_400000_NS6detail17trampoline_kernelINS0_14default_configENS1_25partition_config_selectorILNS1_17partition_subalgoE5EfNS0_10empty_typeEbEEZZNS1_14partition_implILS5_5ELb0ES3_mN6thrust23THRUST_200600_302600_NS6detail15normal_iteratorINSA_10device_ptrIfEEEEPS6_NSA_18transform_iteratorINSB_9not_fun_tI7is_trueIfEEENSC_INSD_IbEEEENSA_11use_defaultESO_EENS0_5tupleIJNSA_16discard_iteratorISO_EES6_EEENSQ_IJSG_SG_EEES6_PlJS6_EEE10hipError_tPvRmT3_T4_T5_T6_T7_T9_mT8_P12ihipStream_tbDpT10_ENKUlT_T0_E_clISt17integral_constantIbLb0EES1F_EEDaS1A_S1B_EUlS1A_E_NS1_11comp_targetILNS1_3genE8ELNS1_11target_archE1030ELNS1_3gpuE2ELNS1_3repE0EEENS1_30default_config_static_selectorELNS0_4arch9wavefront6targetE0EEEvT1_.has_indirect_call, 0
	.section	.AMDGPU.csdata,"",@progbits
; Kernel info:
; codeLenInByte = 0
; TotalNumSgprs: 0
; NumVgprs: 0
; ScratchSize: 0
; MemoryBound: 0
; FloatMode: 240
; IeeeMode: 1
; LDSByteSize: 0 bytes/workgroup (compile time only)
; SGPRBlocks: 0
; VGPRBlocks: 0
; NumSGPRsForWavesPerEU: 1
; NumVGPRsForWavesPerEU: 1
; Occupancy: 16
; WaveLimiterHint : 0
; COMPUTE_PGM_RSRC2:SCRATCH_EN: 0
; COMPUTE_PGM_RSRC2:USER_SGPR: 2
; COMPUTE_PGM_RSRC2:TRAP_HANDLER: 0
; COMPUTE_PGM_RSRC2:TGID_X_EN: 1
; COMPUTE_PGM_RSRC2:TGID_Y_EN: 0
; COMPUTE_PGM_RSRC2:TGID_Z_EN: 0
; COMPUTE_PGM_RSRC2:TIDIG_COMP_CNT: 0
	.section	.text._ZN7rocprim17ROCPRIM_400000_NS6detail17trampoline_kernelINS0_14default_configENS1_25partition_config_selectorILNS1_17partition_subalgoE5EfNS0_10empty_typeEbEEZZNS1_14partition_implILS5_5ELb0ES3_mN6thrust23THRUST_200600_302600_NS6detail15normal_iteratorINSA_10device_ptrIfEEEEPS6_NSA_18transform_iteratorINSB_9not_fun_tI7is_trueIfEEENSC_INSD_IbEEEENSA_11use_defaultESO_EENS0_5tupleIJNSA_16discard_iteratorISO_EES6_EEENSQ_IJSG_SG_EEES6_PlJS6_EEE10hipError_tPvRmT3_T4_T5_T6_T7_T9_mT8_P12ihipStream_tbDpT10_ENKUlT_T0_E_clISt17integral_constantIbLb1EES1F_EEDaS1A_S1B_EUlS1A_E_NS1_11comp_targetILNS1_3genE0ELNS1_11target_archE4294967295ELNS1_3gpuE0ELNS1_3repE0EEENS1_30default_config_static_selectorELNS0_4arch9wavefront6targetE0EEEvT1_,"axG",@progbits,_ZN7rocprim17ROCPRIM_400000_NS6detail17trampoline_kernelINS0_14default_configENS1_25partition_config_selectorILNS1_17partition_subalgoE5EfNS0_10empty_typeEbEEZZNS1_14partition_implILS5_5ELb0ES3_mN6thrust23THRUST_200600_302600_NS6detail15normal_iteratorINSA_10device_ptrIfEEEEPS6_NSA_18transform_iteratorINSB_9not_fun_tI7is_trueIfEEENSC_INSD_IbEEEENSA_11use_defaultESO_EENS0_5tupleIJNSA_16discard_iteratorISO_EES6_EEENSQ_IJSG_SG_EEES6_PlJS6_EEE10hipError_tPvRmT3_T4_T5_T6_T7_T9_mT8_P12ihipStream_tbDpT10_ENKUlT_T0_E_clISt17integral_constantIbLb1EES1F_EEDaS1A_S1B_EUlS1A_E_NS1_11comp_targetILNS1_3genE0ELNS1_11target_archE4294967295ELNS1_3gpuE0ELNS1_3repE0EEENS1_30default_config_static_selectorELNS0_4arch9wavefront6targetE0EEEvT1_,comdat
	.protected	_ZN7rocprim17ROCPRIM_400000_NS6detail17trampoline_kernelINS0_14default_configENS1_25partition_config_selectorILNS1_17partition_subalgoE5EfNS0_10empty_typeEbEEZZNS1_14partition_implILS5_5ELb0ES3_mN6thrust23THRUST_200600_302600_NS6detail15normal_iteratorINSA_10device_ptrIfEEEEPS6_NSA_18transform_iteratorINSB_9not_fun_tI7is_trueIfEEENSC_INSD_IbEEEENSA_11use_defaultESO_EENS0_5tupleIJNSA_16discard_iteratorISO_EES6_EEENSQ_IJSG_SG_EEES6_PlJS6_EEE10hipError_tPvRmT3_T4_T5_T6_T7_T9_mT8_P12ihipStream_tbDpT10_ENKUlT_T0_E_clISt17integral_constantIbLb1EES1F_EEDaS1A_S1B_EUlS1A_E_NS1_11comp_targetILNS1_3genE0ELNS1_11target_archE4294967295ELNS1_3gpuE0ELNS1_3repE0EEENS1_30default_config_static_selectorELNS0_4arch9wavefront6targetE0EEEvT1_ ; -- Begin function _ZN7rocprim17ROCPRIM_400000_NS6detail17trampoline_kernelINS0_14default_configENS1_25partition_config_selectorILNS1_17partition_subalgoE5EfNS0_10empty_typeEbEEZZNS1_14partition_implILS5_5ELb0ES3_mN6thrust23THRUST_200600_302600_NS6detail15normal_iteratorINSA_10device_ptrIfEEEEPS6_NSA_18transform_iteratorINSB_9not_fun_tI7is_trueIfEEENSC_INSD_IbEEEENSA_11use_defaultESO_EENS0_5tupleIJNSA_16discard_iteratorISO_EES6_EEENSQ_IJSG_SG_EEES6_PlJS6_EEE10hipError_tPvRmT3_T4_T5_T6_T7_T9_mT8_P12ihipStream_tbDpT10_ENKUlT_T0_E_clISt17integral_constantIbLb1EES1F_EEDaS1A_S1B_EUlS1A_E_NS1_11comp_targetILNS1_3genE0ELNS1_11target_archE4294967295ELNS1_3gpuE0ELNS1_3repE0EEENS1_30default_config_static_selectorELNS0_4arch9wavefront6targetE0EEEvT1_
	.globl	_ZN7rocprim17ROCPRIM_400000_NS6detail17trampoline_kernelINS0_14default_configENS1_25partition_config_selectorILNS1_17partition_subalgoE5EfNS0_10empty_typeEbEEZZNS1_14partition_implILS5_5ELb0ES3_mN6thrust23THRUST_200600_302600_NS6detail15normal_iteratorINSA_10device_ptrIfEEEEPS6_NSA_18transform_iteratorINSB_9not_fun_tI7is_trueIfEEENSC_INSD_IbEEEENSA_11use_defaultESO_EENS0_5tupleIJNSA_16discard_iteratorISO_EES6_EEENSQ_IJSG_SG_EEES6_PlJS6_EEE10hipError_tPvRmT3_T4_T5_T6_T7_T9_mT8_P12ihipStream_tbDpT10_ENKUlT_T0_E_clISt17integral_constantIbLb1EES1F_EEDaS1A_S1B_EUlS1A_E_NS1_11comp_targetILNS1_3genE0ELNS1_11target_archE4294967295ELNS1_3gpuE0ELNS1_3repE0EEENS1_30default_config_static_selectorELNS0_4arch9wavefront6targetE0EEEvT1_
	.p2align	8
	.type	_ZN7rocprim17ROCPRIM_400000_NS6detail17trampoline_kernelINS0_14default_configENS1_25partition_config_selectorILNS1_17partition_subalgoE5EfNS0_10empty_typeEbEEZZNS1_14partition_implILS5_5ELb0ES3_mN6thrust23THRUST_200600_302600_NS6detail15normal_iteratorINSA_10device_ptrIfEEEEPS6_NSA_18transform_iteratorINSB_9not_fun_tI7is_trueIfEEENSC_INSD_IbEEEENSA_11use_defaultESO_EENS0_5tupleIJNSA_16discard_iteratorISO_EES6_EEENSQ_IJSG_SG_EEES6_PlJS6_EEE10hipError_tPvRmT3_T4_T5_T6_T7_T9_mT8_P12ihipStream_tbDpT10_ENKUlT_T0_E_clISt17integral_constantIbLb1EES1F_EEDaS1A_S1B_EUlS1A_E_NS1_11comp_targetILNS1_3genE0ELNS1_11target_archE4294967295ELNS1_3gpuE0ELNS1_3repE0EEENS1_30default_config_static_selectorELNS0_4arch9wavefront6targetE0EEEvT1_,@function
_ZN7rocprim17ROCPRIM_400000_NS6detail17trampoline_kernelINS0_14default_configENS1_25partition_config_selectorILNS1_17partition_subalgoE5EfNS0_10empty_typeEbEEZZNS1_14partition_implILS5_5ELb0ES3_mN6thrust23THRUST_200600_302600_NS6detail15normal_iteratorINSA_10device_ptrIfEEEEPS6_NSA_18transform_iteratorINSB_9not_fun_tI7is_trueIfEEENSC_INSD_IbEEEENSA_11use_defaultESO_EENS0_5tupleIJNSA_16discard_iteratorISO_EES6_EEENSQ_IJSG_SG_EEES6_PlJS6_EEE10hipError_tPvRmT3_T4_T5_T6_T7_T9_mT8_P12ihipStream_tbDpT10_ENKUlT_T0_E_clISt17integral_constantIbLb1EES1F_EEDaS1A_S1B_EUlS1A_E_NS1_11comp_targetILNS1_3genE0ELNS1_11target_archE4294967295ELNS1_3gpuE0ELNS1_3repE0EEENS1_30default_config_static_selectorELNS0_4arch9wavefront6targetE0EEEvT1_: ; @_ZN7rocprim17ROCPRIM_400000_NS6detail17trampoline_kernelINS0_14default_configENS1_25partition_config_selectorILNS1_17partition_subalgoE5EfNS0_10empty_typeEbEEZZNS1_14partition_implILS5_5ELb0ES3_mN6thrust23THRUST_200600_302600_NS6detail15normal_iteratorINSA_10device_ptrIfEEEEPS6_NSA_18transform_iteratorINSB_9not_fun_tI7is_trueIfEEENSC_INSD_IbEEEENSA_11use_defaultESO_EENS0_5tupleIJNSA_16discard_iteratorISO_EES6_EEENSQ_IJSG_SG_EEES6_PlJS6_EEE10hipError_tPvRmT3_T4_T5_T6_T7_T9_mT8_P12ihipStream_tbDpT10_ENKUlT_T0_E_clISt17integral_constantIbLb1EES1F_EEDaS1A_S1B_EUlS1A_E_NS1_11comp_targetILNS1_3genE0ELNS1_11target_archE4294967295ELNS1_3gpuE0ELNS1_3repE0EEENS1_30default_config_static_selectorELNS0_4arch9wavefront6targetE0EEEvT1_
; %bb.0:
	.section	.rodata,"a",@progbits
	.p2align	6, 0x0
	.amdhsa_kernel _ZN7rocprim17ROCPRIM_400000_NS6detail17trampoline_kernelINS0_14default_configENS1_25partition_config_selectorILNS1_17partition_subalgoE5EfNS0_10empty_typeEbEEZZNS1_14partition_implILS5_5ELb0ES3_mN6thrust23THRUST_200600_302600_NS6detail15normal_iteratorINSA_10device_ptrIfEEEEPS6_NSA_18transform_iteratorINSB_9not_fun_tI7is_trueIfEEENSC_INSD_IbEEEENSA_11use_defaultESO_EENS0_5tupleIJNSA_16discard_iteratorISO_EES6_EEENSQ_IJSG_SG_EEES6_PlJS6_EEE10hipError_tPvRmT3_T4_T5_T6_T7_T9_mT8_P12ihipStream_tbDpT10_ENKUlT_T0_E_clISt17integral_constantIbLb1EES1F_EEDaS1A_S1B_EUlS1A_E_NS1_11comp_targetILNS1_3genE0ELNS1_11target_archE4294967295ELNS1_3gpuE0ELNS1_3repE0EEENS1_30default_config_static_selectorELNS0_4arch9wavefront6targetE0EEEvT1_
		.amdhsa_group_segment_fixed_size 0
		.amdhsa_private_segment_fixed_size 0
		.amdhsa_kernarg_size 144
		.amdhsa_user_sgpr_count 2
		.amdhsa_user_sgpr_dispatch_ptr 0
		.amdhsa_user_sgpr_queue_ptr 0
		.amdhsa_user_sgpr_kernarg_segment_ptr 1
		.amdhsa_user_sgpr_dispatch_id 0
		.amdhsa_user_sgpr_private_segment_size 0
		.amdhsa_wavefront_size32 1
		.amdhsa_uses_dynamic_stack 0
		.amdhsa_enable_private_segment 0
		.amdhsa_system_sgpr_workgroup_id_x 1
		.amdhsa_system_sgpr_workgroup_id_y 0
		.amdhsa_system_sgpr_workgroup_id_z 0
		.amdhsa_system_sgpr_workgroup_info 0
		.amdhsa_system_vgpr_workitem_id 0
		.amdhsa_next_free_vgpr 1
		.amdhsa_next_free_sgpr 1
		.amdhsa_reserve_vcc 0
		.amdhsa_float_round_mode_32 0
		.amdhsa_float_round_mode_16_64 0
		.amdhsa_float_denorm_mode_32 3
		.amdhsa_float_denorm_mode_16_64 3
		.amdhsa_fp16_overflow 0
		.amdhsa_workgroup_processor_mode 1
		.amdhsa_memory_ordered 1
		.amdhsa_forward_progress 1
		.amdhsa_inst_pref_size 0
		.amdhsa_round_robin_scheduling 0
		.amdhsa_exception_fp_ieee_invalid_op 0
		.amdhsa_exception_fp_denorm_src 0
		.amdhsa_exception_fp_ieee_div_zero 0
		.amdhsa_exception_fp_ieee_overflow 0
		.amdhsa_exception_fp_ieee_underflow 0
		.amdhsa_exception_fp_ieee_inexact 0
		.amdhsa_exception_int_div_zero 0
	.end_amdhsa_kernel
	.section	.text._ZN7rocprim17ROCPRIM_400000_NS6detail17trampoline_kernelINS0_14default_configENS1_25partition_config_selectorILNS1_17partition_subalgoE5EfNS0_10empty_typeEbEEZZNS1_14partition_implILS5_5ELb0ES3_mN6thrust23THRUST_200600_302600_NS6detail15normal_iteratorINSA_10device_ptrIfEEEEPS6_NSA_18transform_iteratorINSB_9not_fun_tI7is_trueIfEEENSC_INSD_IbEEEENSA_11use_defaultESO_EENS0_5tupleIJNSA_16discard_iteratorISO_EES6_EEENSQ_IJSG_SG_EEES6_PlJS6_EEE10hipError_tPvRmT3_T4_T5_T6_T7_T9_mT8_P12ihipStream_tbDpT10_ENKUlT_T0_E_clISt17integral_constantIbLb1EES1F_EEDaS1A_S1B_EUlS1A_E_NS1_11comp_targetILNS1_3genE0ELNS1_11target_archE4294967295ELNS1_3gpuE0ELNS1_3repE0EEENS1_30default_config_static_selectorELNS0_4arch9wavefront6targetE0EEEvT1_,"axG",@progbits,_ZN7rocprim17ROCPRIM_400000_NS6detail17trampoline_kernelINS0_14default_configENS1_25partition_config_selectorILNS1_17partition_subalgoE5EfNS0_10empty_typeEbEEZZNS1_14partition_implILS5_5ELb0ES3_mN6thrust23THRUST_200600_302600_NS6detail15normal_iteratorINSA_10device_ptrIfEEEEPS6_NSA_18transform_iteratorINSB_9not_fun_tI7is_trueIfEEENSC_INSD_IbEEEENSA_11use_defaultESO_EENS0_5tupleIJNSA_16discard_iteratorISO_EES6_EEENSQ_IJSG_SG_EEES6_PlJS6_EEE10hipError_tPvRmT3_T4_T5_T6_T7_T9_mT8_P12ihipStream_tbDpT10_ENKUlT_T0_E_clISt17integral_constantIbLb1EES1F_EEDaS1A_S1B_EUlS1A_E_NS1_11comp_targetILNS1_3genE0ELNS1_11target_archE4294967295ELNS1_3gpuE0ELNS1_3repE0EEENS1_30default_config_static_selectorELNS0_4arch9wavefront6targetE0EEEvT1_,comdat
.Lfunc_end2629:
	.size	_ZN7rocprim17ROCPRIM_400000_NS6detail17trampoline_kernelINS0_14default_configENS1_25partition_config_selectorILNS1_17partition_subalgoE5EfNS0_10empty_typeEbEEZZNS1_14partition_implILS5_5ELb0ES3_mN6thrust23THRUST_200600_302600_NS6detail15normal_iteratorINSA_10device_ptrIfEEEEPS6_NSA_18transform_iteratorINSB_9not_fun_tI7is_trueIfEEENSC_INSD_IbEEEENSA_11use_defaultESO_EENS0_5tupleIJNSA_16discard_iteratorISO_EES6_EEENSQ_IJSG_SG_EEES6_PlJS6_EEE10hipError_tPvRmT3_T4_T5_T6_T7_T9_mT8_P12ihipStream_tbDpT10_ENKUlT_T0_E_clISt17integral_constantIbLb1EES1F_EEDaS1A_S1B_EUlS1A_E_NS1_11comp_targetILNS1_3genE0ELNS1_11target_archE4294967295ELNS1_3gpuE0ELNS1_3repE0EEENS1_30default_config_static_selectorELNS0_4arch9wavefront6targetE0EEEvT1_, .Lfunc_end2629-_ZN7rocprim17ROCPRIM_400000_NS6detail17trampoline_kernelINS0_14default_configENS1_25partition_config_selectorILNS1_17partition_subalgoE5EfNS0_10empty_typeEbEEZZNS1_14partition_implILS5_5ELb0ES3_mN6thrust23THRUST_200600_302600_NS6detail15normal_iteratorINSA_10device_ptrIfEEEEPS6_NSA_18transform_iteratorINSB_9not_fun_tI7is_trueIfEEENSC_INSD_IbEEEENSA_11use_defaultESO_EENS0_5tupleIJNSA_16discard_iteratorISO_EES6_EEENSQ_IJSG_SG_EEES6_PlJS6_EEE10hipError_tPvRmT3_T4_T5_T6_T7_T9_mT8_P12ihipStream_tbDpT10_ENKUlT_T0_E_clISt17integral_constantIbLb1EES1F_EEDaS1A_S1B_EUlS1A_E_NS1_11comp_targetILNS1_3genE0ELNS1_11target_archE4294967295ELNS1_3gpuE0ELNS1_3repE0EEENS1_30default_config_static_selectorELNS0_4arch9wavefront6targetE0EEEvT1_
                                        ; -- End function
	.set _ZN7rocprim17ROCPRIM_400000_NS6detail17trampoline_kernelINS0_14default_configENS1_25partition_config_selectorILNS1_17partition_subalgoE5EfNS0_10empty_typeEbEEZZNS1_14partition_implILS5_5ELb0ES3_mN6thrust23THRUST_200600_302600_NS6detail15normal_iteratorINSA_10device_ptrIfEEEEPS6_NSA_18transform_iteratorINSB_9not_fun_tI7is_trueIfEEENSC_INSD_IbEEEENSA_11use_defaultESO_EENS0_5tupleIJNSA_16discard_iteratorISO_EES6_EEENSQ_IJSG_SG_EEES6_PlJS6_EEE10hipError_tPvRmT3_T4_T5_T6_T7_T9_mT8_P12ihipStream_tbDpT10_ENKUlT_T0_E_clISt17integral_constantIbLb1EES1F_EEDaS1A_S1B_EUlS1A_E_NS1_11comp_targetILNS1_3genE0ELNS1_11target_archE4294967295ELNS1_3gpuE0ELNS1_3repE0EEENS1_30default_config_static_selectorELNS0_4arch9wavefront6targetE0EEEvT1_.num_vgpr, 0
	.set _ZN7rocprim17ROCPRIM_400000_NS6detail17trampoline_kernelINS0_14default_configENS1_25partition_config_selectorILNS1_17partition_subalgoE5EfNS0_10empty_typeEbEEZZNS1_14partition_implILS5_5ELb0ES3_mN6thrust23THRUST_200600_302600_NS6detail15normal_iteratorINSA_10device_ptrIfEEEEPS6_NSA_18transform_iteratorINSB_9not_fun_tI7is_trueIfEEENSC_INSD_IbEEEENSA_11use_defaultESO_EENS0_5tupleIJNSA_16discard_iteratorISO_EES6_EEENSQ_IJSG_SG_EEES6_PlJS6_EEE10hipError_tPvRmT3_T4_T5_T6_T7_T9_mT8_P12ihipStream_tbDpT10_ENKUlT_T0_E_clISt17integral_constantIbLb1EES1F_EEDaS1A_S1B_EUlS1A_E_NS1_11comp_targetILNS1_3genE0ELNS1_11target_archE4294967295ELNS1_3gpuE0ELNS1_3repE0EEENS1_30default_config_static_selectorELNS0_4arch9wavefront6targetE0EEEvT1_.num_agpr, 0
	.set _ZN7rocprim17ROCPRIM_400000_NS6detail17trampoline_kernelINS0_14default_configENS1_25partition_config_selectorILNS1_17partition_subalgoE5EfNS0_10empty_typeEbEEZZNS1_14partition_implILS5_5ELb0ES3_mN6thrust23THRUST_200600_302600_NS6detail15normal_iteratorINSA_10device_ptrIfEEEEPS6_NSA_18transform_iteratorINSB_9not_fun_tI7is_trueIfEEENSC_INSD_IbEEEENSA_11use_defaultESO_EENS0_5tupleIJNSA_16discard_iteratorISO_EES6_EEENSQ_IJSG_SG_EEES6_PlJS6_EEE10hipError_tPvRmT3_T4_T5_T6_T7_T9_mT8_P12ihipStream_tbDpT10_ENKUlT_T0_E_clISt17integral_constantIbLb1EES1F_EEDaS1A_S1B_EUlS1A_E_NS1_11comp_targetILNS1_3genE0ELNS1_11target_archE4294967295ELNS1_3gpuE0ELNS1_3repE0EEENS1_30default_config_static_selectorELNS0_4arch9wavefront6targetE0EEEvT1_.numbered_sgpr, 0
	.set _ZN7rocprim17ROCPRIM_400000_NS6detail17trampoline_kernelINS0_14default_configENS1_25partition_config_selectorILNS1_17partition_subalgoE5EfNS0_10empty_typeEbEEZZNS1_14partition_implILS5_5ELb0ES3_mN6thrust23THRUST_200600_302600_NS6detail15normal_iteratorINSA_10device_ptrIfEEEEPS6_NSA_18transform_iteratorINSB_9not_fun_tI7is_trueIfEEENSC_INSD_IbEEEENSA_11use_defaultESO_EENS0_5tupleIJNSA_16discard_iteratorISO_EES6_EEENSQ_IJSG_SG_EEES6_PlJS6_EEE10hipError_tPvRmT3_T4_T5_T6_T7_T9_mT8_P12ihipStream_tbDpT10_ENKUlT_T0_E_clISt17integral_constantIbLb1EES1F_EEDaS1A_S1B_EUlS1A_E_NS1_11comp_targetILNS1_3genE0ELNS1_11target_archE4294967295ELNS1_3gpuE0ELNS1_3repE0EEENS1_30default_config_static_selectorELNS0_4arch9wavefront6targetE0EEEvT1_.num_named_barrier, 0
	.set _ZN7rocprim17ROCPRIM_400000_NS6detail17trampoline_kernelINS0_14default_configENS1_25partition_config_selectorILNS1_17partition_subalgoE5EfNS0_10empty_typeEbEEZZNS1_14partition_implILS5_5ELb0ES3_mN6thrust23THRUST_200600_302600_NS6detail15normal_iteratorINSA_10device_ptrIfEEEEPS6_NSA_18transform_iteratorINSB_9not_fun_tI7is_trueIfEEENSC_INSD_IbEEEENSA_11use_defaultESO_EENS0_5tupleIJNSA_16discard_iteratorISO_EES6_EEENSQ_IJSG_SG_EEES6_PlJS6_EEE10hipError_tPvRmT3_T4_T5_T6_T7_T9_mT8_P12ihipStream_tbDpT10_ENKUlT_T0_E_clISt17integral_constantIbLb1EES1F_EEDaS1A_S1B_EUlS1A_E_NS1_11comp_targetILNS1_3genE0ELNS1_11target_archE4294967295ELNS1_3gpuE0ELNS1_3repE0EEENS1_30default_config_static_selectorELNS0_4arch9wavefront6targetE0EEEvT1_.private_seg_size, 0
	.set _ZN7rocprim17ROCPRIM_400000_NS6detail17trampoline_kernelINS0_14default_configENS1_25partition_config_selectorILNS1_17partition_subalgoE5EfNS0_10empty_typeEbEEZZNS1_14partition_implILS5_5ELb0ES3_mN6thrust23THRUST_200600_302600_NS6detail15normal_iteratorINSA_10device_ptrIfEEEEPS6_NSA_18transform_iteratorINSB_9not_fun_tI7is_trueIfEEENSC_INSD_IbEEEENSA_11use_defaultESO_EENS0_5tupleIJNSA_16discard_iteratorISO_EES6_EEENSQ_IJSG_SG_EEES6_PlJS6_EEE10hipError_tPvRmT3_T4_T5_T6_T7_T9_mT8_P12ihipStream_tbDpT10_ENKUlT_T0_E_clISt17integral_constantIbLb1EES1F_EEDaS1A_S1B_EUlS1A_E_NS1_11comp_targetILNS1_3genE0ELNS1_11target_archE4294967295ELNS1_3gpuE0ELNS1_3repE0EEENS1_30default_config_static_selectorELNS0_4arch9wavefront6targetE0EEEvT1_.uses_vcc, 0
	.set _ZN7rocprim17ROCPRIM_400000_NS6detail17trampoline_kernelINS0_14default_configENS1_25partition_config_selectorILNS1_17partition_subalgoE5EfNS0_10empty_typeEbEEZZNS1_14partition_implILS5_5ELb0ES3_mN6thrust23THRUST_200600_302600_NS6detail15normal_iteratorINSA_10device_ptrIfEEEEPS6_NSA_18transform_iteratorINSB_9not_fun_tI7is_trueIfEEENSC_INSD_IbEEEENSA_11use_defaultESO_EENS0_5tupleIJNSA_16discard_iteratorISO_EES6_EEENSQ_IJSG_SG_EEES6_PlJS6_EEE10hipError_tPvRmT3_T4_T5_T6_T7_T9_mT8_P12ihipStream_tbDpT10_ENKUlT_T0_E_clISt17integral_constantIbLb1EES1F_EEDaS1A_S1B_EUlS1A_E_NS1_11comp_targetILNS1_3genE0ELNS1_11target_archE4294967295ELNS1_3gpuE0ELNS1_3repE0EEENS1_30default_config_static_selectorELNS0_4arch9wavefront6targetE0EEEvT1_.uses_flat_scratch, 0
	.set _ZN7rocprim17ROCPRIM_400000_NS6detail17trampoline_kernelINS0_14default_configENS1_25partition_config_selectorILNS1_17partition_subalgoE5EfNS0_10empty_typeEbEEZZNS1_14partition_implILS5_5ELb0ES3_mN6thrust23THRUST_200600_302600_NS6detail15normal_iteratorINSA_10device_ptrIfEEEEPS6_NSA_18transform_iteratorINSB_9not_fun_tI7is_trueIfEEENSC_INSD_IbEEEENSA_11use_defaultESO_EENS0_5tupleIJNSA_16discard_iteratorISO_EES6_EEENSQ_IJSG_SG_EEES6_PlJS6_EEE10hipError_tPvRmT3_T4_T5_T6_T7_T9_mT8_P12ihipStream_tbDpT10_ENKUlT_T0_E_clISt17integral_constantIbLb1EES1F_EEDaS1A_S1B_EUlS1A_E_NS1_11comp_targetILNS1_3genE0ELNS1_11target_archE4294967295ELNS1_3gpuE0ELNS1_3repE0EEENS1_30default_config_static_selectorELNS0_4arch9wavefront6targetE0EEEvT1_.has_dyn_sized_stack, 0
	.set _ZN7rocprim17ROCPRIM_400000_NS6detail17trampoline_kernelINS0_14default_configENS1_25partition_config_selectorILNS1_17partition_subalgoE5EfNS0_10empty_typeEbEEZZNS1_14partition_implILS5_5ELb0ES3_mN6thrust23THRUST_200600_302600_NS6detail15normal_iteratorINSA_10device_ptrIfEEEEPS6_NSA_18transform_iteratorINSB_9not_fun_tI7is_trueIfEEENSC_INSD_IbEEEENSA_11use_defaultESO_EENS0_5tupleIJNSA_16discard_iteratorISO_EES6_EEENSQ_IJSG_SG_EEES6_PlJS6_EEE10hipError_tPvRmT3_T4_T5_T6_T7_T9_mT8_P12ihipStream_tbDpT10_ENKUlT_T0_E_clISt17integral_constantIbLb1EES1F_EEDaS1A_S1B_EUlS1A_E_NS1_11comp_targetILNS1_3genE0ELNS1_11target_archE4294967295ELNS1_3gpuE0ELNS1_3repE0EEENS1_30default_config_static_selectorELNS0_4arch9wavefront6targetE0EEEvT1_.has_recursion, 0
	.set _ZN7rocprim17ROCPRIM_400000_NS6detail17trampoline_kernelINS0_14default_configENS1_25partition_config_selectorILNS1_17partition_subalgoE5EfNS0_10empty_typeEbEEZZNS1_14partition_implILS5_5ELb0ES3_mN6thrust23THRUST_200600_302600_NS6detail15normal_iteratorINSA_10device_ptrIfEEEEPS6_NSA_18transform_iteratorINSB_9not_fun_tI7is_trueIfEEENSC_INSD_IbEEEENSA_11use_defaultESO_EENS0_5tupleIJNSA_16discard_iteratorISO_EES6_EEENSQ_IJSG_SG_EEES6_PlJS6_EEE10hipError_tPvRmT3_T4_T5_T6_T7_T9_mT8_P12ihipStream_tbDpT10_ENKUlT_T0_E_clISt17integral_constantIbLb1EES1F_EEDaS1A_S1B_EUlS1A_E_NS1_11comp_targetILNS1_3genE0ELNS1_11target_archE4294967295ELNS1_3gpuE0ELNS1_3repE0EEENS1_30default_config_static_selectorELNS0_4arch9wavefront6targetE0EEEvT1_.has_indirect_call, 0
	.section	.AMDGPU.csdata,"",@progbits
; Kernel info:
; codeLenInByte = 0
; TotalNumSgprs: 0
; NumVgprs: 0
; ScratchSize: 0
; MemoryBound: 0
; FloatMode: 240
; IeeeMode: 1
; LDSByteSize: 0 bytes/workgroup (compile time only)
; SGPRBlocks: 0
; VGPRBlocks: 0
; NumSGPRsForWavesPerEU: 1
; NumVGPRsForWavesPerEU: 1
; Occupancy: 16
; WaveLimiterHint : 0
; COMPUTE_PGM_RSRC2:SCRATCH_EN: 0
; COMPUTE_PGM_RSRC2:USER_SGPR: 2
; COMPUTE_PGM_RSRC2:TRAP_HANDLER: 0
; COMPUTE_PGM_RSRC2:TGID_X_EN: 1
; COMPUTE_PGM_RSRC2:TGID_Y_EN: 0
; COMPUTE_PGM_RSRC2:TGID_Z_EN: 0
; COMPUTE_PGM_RSRC2:TIDIG_COMP_CNT: 0
	.section	.text._ZN7rocprim17ROCPRIM_400000_NS6detail17trampoline_kernelINS0_14default_configENS1_25partition_config_selectorILNS1_17partition_subalgoE5EfNS0_10empty_typeEbEEZZNS1_14partition_implILS5_5ELb0ES3_mN6thrust23THRUST_200600_302600_NS6detail15normal_iteratorINSA_10device_ptrIfEEEEPS6_NSA_18transform_iteratorINSB_9not_fun_tI7is_trueIfEEENSC_INSD_IbEEEENSA_11use_defaultESO_EENS0_5tupleIJNSA_16discard_iteratorISO_EES6_EEENSQ_IJSG_SG_EEES6_PlJS6_EEE10hipError_tPvRmT3_T4_T5_T6_T7_T9_mT8_P12ihipStream_tbDpT10_ENKUlT_T0_E_clISt17integral_constantIbLb1EES1F_EEDaS1A_S1B_EUlS1A_E_NS1_11comp_targetILNS1_3genE5ELNS1_11target_archE942ELNS1_3gpuE9ELNS1_3repE0EEENS1_30default_config_static_selectorELNS0_4arch9wavefront6targetE0EEEvT1_,"axG",@progbits,_ZN7rocprim17ROCPRIM_400000_NS6detail17trampoline_kernelINS0_14default_configENS1_25partition_config_selectorILNS1_17partition_subalgoE5EfNS0_10empty_typeEbEEZZNS1_14partition_implILS5_5ELb0ES3_mN6thrust23THRUST_200600_302600_NS6detail15normal_iteratorINSA_10device_ptrIfEEEEPS6_NSA_18transform_iteratorINSB_9not_fun_tI7is_trueIfEEENSC_INSD_IbEEEENSA_11use_defaultESO_EENS0_5tupleIJNSA_16discard_iteratorISO_EES6_EEENSQ_IJSG_SG_EEES6_PlJS6_EEE10hipError_tPvRmT3_T4_T5_T6_T7_T9_mT8_P12ihipStream_tbDpT10_ENKUlT_T0_E_clISt17integral_constantIbLb1EES1F_EEDaS1A_S1B_EUlS1A_E_NS1_11comp_targetILNS1_3genE5ELNS1_11target_archE942ELNS1_3gpuE9ELNS1_3repE0EEENS1_30default_config_static_selectorELNS0_4arch9wavefront6targetE0EEEvT1_,comdat
	.protected	_ZN7rocprim17ROCPRIM_400000_NS6detail17trampoline_kernelINS0_14default_configENS1_25partition_config_selectorILNS1_17partition_subalgoE5EfNS0_10empty_typeEbEEZZNS1_14partition_implILS5_5ELb0ES3_mN6thrust23THRUST_200600_302600_NS6detail15normal_iteratorINSA_10device_ptrIfEEEEPS6_NSA_18transform_iteratorINSB_9not_fun_tI7is_trueIfEEENSC_INSD_IbEEEENSA_11use_defaultESO_EENS0_5tupleIJNSA_16discard_iteratorISO_EES6_EEENSQ_IJSG_SG_EEES6_PlJS6_EEE10hipError_tPvRmT3_T4_T5_T6_T7_T9_mT8_P12ihipStream_tbDpT10_ENKUlT_T0_E_clISt17integral_constantIbLb1EES1F_EEDaS1A_S1B_EUlS1A_E_NS1_11comp_targetILNS1_3genE5ELNS1_11target_archE942ELNS1_3gpuE9ELNS1_3repE0EEENS1_30default_config_static_selectorELNS0_4arch9wavefront6targetE0EEEvT1_ ; -- Begin function _ZN7rocprim17ROCPRIM_400000_NS6detail17trampoline_kernelINS0_14default_configENS1_25partition_config_selectorILNS1_17partition_subalgoE5EfNS0_10empty_typeEbEEZZNS1_14partition_implILS5_5ELb0ES3_mN6thrust23THRUST_200600_302600_NS6detail15normal_iteratorINSA_10device_ptrIfEEEEPS6_NSA_18transform_iteratorINSB_9not_fun_tI7is_trueIfEEENSC_INSD_IbEEEENSA_11use_defaultESO_EENS0_5tupleIJNSA_16discard_iteratorISO_EES6_EEENSQ_IJSG_SG_EEES6_PlJS6_EEE10hipError_tPvRmT3_T4_T5_T6_T7_T9_mT8_P12ihipStream_tbDpT10_ENKUlT_T0_E_clISt17integral_constantIbLb1EES1F_EEDaS1A_S1B_EUlS1A_E_NS1_11comp_targetILNS1_3genE5ELNS1_11target_archE942ELNS1_3gpuE9ELNS1_3repE0EEENS1_30default_config_static_selectorELNS0_4arch9wavefront6targetE0EEEvT1_
	.globl	_ZN7rocprim17ROCPRIM_400000_NS6detail17trampoline_kernelINS0_14default_configENS1_25partition_config_selectorILNS1_17partition_subalgoE5EfNS0_10empty_typeEbEEZZNS1_14partition_implILS5_5ELb0ES3_mN6thrust23THRUST_200600_302600_NS6detail15normal_iteratorINSA_10device_ptrIfEEEEPS6_NSA_18transform_iteratorINSB_9not_fun_tI7is_trueIfEEENSC_INSD_IbEEEENSA_11use_defaultESO_EENS0_5tupleIJNSA_16discard_iteratorISO_EES6_EEENSQ_IJSG_SG_EEES6_PlJS6_EEE10hipError_tPvRmT3_T4_T5_T6_T7_T9_mT8_P12ihipStream_tbDpT10_ENKUlT_T0_E_clISt17integral_constantIbLb1EES1F_EEDaS1A_S1B_EUlS1A_E_NS1_11comp_targetILNS1_3genE5ELNS1_11target_archE942ELNS1_3gpuE9ELNS1_3repE0EEENS1_30default_config_static_selectorELNS0_4arch9wavefront6targetE0EEEvT1_
	.p2align	8
	.type	_ZN7rocprim17ROCPRIM_400000_NS6detail17trampoline_kernelINS0_14default_configENS1_25partition_config_selectorILNS1_17partition_subalgoE5EfNS0_10empty_typeEbEEZZNS1_14partition_implILS5_5ELb0ES3_mN6thrust23THRUST_200600_302600_NS6detail15normal_iteratorINSA_10device_ptrIfEEEEPS6_NSA_18transform_iteratorINSB_9not_fun_tI7is_trueIfEEENSC_INSD_IbEEEENSA_11use_defaultESO_EENS0_5tupleIJNSA_16discard_iteratorISO_EES6_EEENSQ_IJSG_SG_EEES6_PlJS6_EEE10hipError_tPvRmT3_T4_T5_T6_T7_T9_mT8_P12ihipStream_tbDpT10_ENKUlT_T0_E_clISt17integral_constantIbLb1EES1F_EEDaS1A_S1B_EUlS1A_E_NS1_11comp_targetILNS1_3genE5ELNS1_11target_archE942ELNS1_3gpuE9ELNS1_3repE0EEENS1_30default_config_static_selectorELNS0_4arch9wavefront6targetE0EEEvT1_,@function
_ZN7rocprim17ROCPRIM_400000_NS6detail17trampoline_kernelINS0_14default_configENS1_25partition_config_selectorILNS1_17partition_subalgoE5EfNS0_10empty_typeEbEEZZNS1_14partition_implILS5_5ELb0ES3_mN6thrust23THRUST_200600_302600_NS6detail15normal_iteratorINSA_10device_ptrIfEEEEPS6_NSA_18transform_iteratorINSB_9not_fun_tI7is_trueIfEEENSC_INSD_IbEEEENSA_11use_defaultESO_EENS0_5tupleIJNSA_16discard_iteratorISO_EES6_EEENSQ_IJSG_SG_EEES6_PlJS6_EEE10hipError_tPvRmT3_T4_T5_T6_T7_T9_mT8_P12ihipStream_tbDpT10_ENKUlT_T0_E_clISt17integral_constantIbLb1EES1F_EEDaS1A_S1B_EUlS1A_E_NS1_11comp_targetILNS1_3genE5ELNS1_11target_archE942ELNS1_3gpuE9ELNS1_3repE0EEENS1_30default_config_static_selectorELNS0_4arch9wavefront6targetE0EEEvT1_: ; @_ZN7rocprim17ROCPRIM_400000_NS6detail17trampoline_kernelINS0_14default_configENS1_25partition_config_selectorILNS1_17partition_subalgoE5EfNS0_10empty_typeEbEEZZNS1_14partition_implILS5_5ELb0ES3_mN6thrust23THRUST_200600_302600_NS6detail15normal_iteratorINSA_10device_ptrIfEEEEPS6_NSA_18transform_iteratorINSB_9not_fun_tI7is_trueIfEEENSC_INSD_IbEEEENSA_11use_defaultESO_EENS0_5tupleIJNSA_16discard_iteratorISO_EES6_EEENSQ_IJSG_SG_EEES6_PlJS6_EEE10hipError_tPvRmT3_T4_T5_T6_T7_T9_mT8_P12ihipStream_tbDpT10_ENKUlT_T0_E_clISt17integral_constantIbLb1EES1F_EEDaS1A_S1B_EUlS1A_E_NS1_11comp_targetILNS1_3genE5ELNS1_11target_archE942ELNS1_3gpuE9ELNS1_3repE0EEENS1_30default_config_static_selectorELNS0_4arch9wavefront6targetE0EEEvT1_
; %bb.0:
	.section	.rodata,"a",@progbits
	.p2align	6, 0x0
	.amdhsa_kernel _ZN7rocprim17ROCPRIM_400000_NS6detail17trampoline_kernelINS0_14default_configENS1_25partition_config_selectorILNS1_17partition_subalgoE5EfNS0_10empty_typeEbEEZZNS1_14partition_implILS5_5ELb0ES3_mN6thrust23THRUST_200600_302600_NS6detail15normal_iteratorINSA_10device_ptrIfEEEEPS6_NSA_18transform_iteratorINSB_9not_fun_tI7is_trueIfEEENSC_INSD_IbEEEENSA_11use_defaultESO_EENS0_5tupleIJNSA_16discard_iteratorISO_EES6_EEENSQ_IJSG_SG_EEES6_PlJS6_EEE10hipError_tPvRmT3_T4_T5_T6_T7_T9_mT8_P12ihipStream_tbDpT10_ENKUlT_T0_E_clISt17integral_constantIbLb1EES1F_EEDaS1A_S1B_EUlS1A_E_NS1_11comp_targetILNS1_3genE5ELNS1_11target_archE942ELNS1_3gpuE9ELNS1_3repE0EEENS1_30default_config_static_selectorELNS0_4arch9wavefront6targetE0EEEvT1_
		.amdhsa_group_segment_fixed_size 0
		.amdhsa_private_segment_fixed_size 0
		.amdhsa_kernarg_size 144
		.amdhsa_user_sgpr_count 2
		.amdhsa_user_sgpr_dispatch_ptr 0
		.amdhsa_user_sgpr_queue_ptr 0
		.amdhsa_user_sgpr_kernarg_segment_ptr 1
		.amdhsa_user_sgpr_dispatch_id 0
		.amdhsa_user_sgpr_private_segment_size 0
		.amdhsa_wavefront_size32 1
		.amdhsa_uses_dynamic_stack 0
		.amdhsa_enable_private_segment 0
		.amdhsa_system_sgpr_workgroup_id_x 1
		.amdhsa_system_sgpr_workgroup_id_y 0
		.amdhsa_system_sgpr_workgroup_id_z 0
		.amdhsa_system_sgpr_workgroup_info 0
		.amdhsa_system_vgpr_workitem_id 0
		.amdhsa_next_free_vgpr 1
		.amdhsa_next_free_sgpr 1
		.amdhsa_reserve_vcc 0
		.amdhsa_float_round_mode_32 0
		.amdhsa_float_round_mode_16_64 0
		.amdhsa_float_denorm_mode_32 3
		.amdhsa_float_denorm_mode_16_64 3
		.amdhsa_fp16_overflow 0
		.amdhsa_workgroup_processor_mode 1
		.amdhsa_memory_ordered 1
		.amdhsa_forward_progress 1
		.amdhsa_inst_pref_size 0
		.amdhsa_round_robin_scheduling 0
		.amdhsa_exception_fp_ieee_invalid_op 0
		.amdhsa_exception_fp_denorm_src 0
		.amdhsa_exception_fp_ieee_div_zero 0
		.amdhsa_exception_fp_ieee_overflow 0
		.amdhsa_exception_fp_ieee_underflow 0
		.amdhsa_exception_fp_ieee_inexact 0
		.amdhsa_exception_int_div_zero 0
	.end_amdhsa_kernel
	.section	.text._ZN7rocprim17ROCPRIM_400000_NS6detail17trampoline_kernelINS0_14default_configENS1_25partition_config_selectorILNS1_17partition_subalgoE5EfNS0_10empty_typeEbEEZZNS1_14partition_implILS5_5ELb0ES3_mN6thrust23THRUST_200600_302600_NS6detail15normal_iteratorINSA_10device_ptrIfEEEEPS6_NSA_18transform_iteratorINSB_9not_fun_tI7is_trueIfEEENSC_INSD_IbEEEENSA_11use_defaultESO_EENS0_5tupleIJNSA_16discard_iteratorISO_EES6_EEENSQ_IJSG_SG_EEES6_PlJS6_EEE10hipError_tPvRmT3_T4_T5_T6_T7_T9_mT8_P12ihipStream_tbDpT10_ENKUlT_T0_E_clISt17integral_constantIbLb1EES1F_EEDaS1A_S1B_EUlS1A_E_NS1_11comp_targetILNS1_3genE5ELNS1_11target_archE942ELNS1_3gpuE9ELNS1_3repE0EEENS1_30default_config_static_selectorELNS0_4arch9wavefront6targetE0EEEvT1_,"axG",@progbits,_ZN7rocprim17ROCPRIM_400000_NS6detail17trampoline_kernelINS0_14default_configENS1_25partition_config_selectorILNS1_17partition_subalgoE5EfNS0_10empty_typeEbEEZZNS1_14partition_implILS5_5ELb0ES3_mN6thrust23THRUST_200600_302600_NS6detail15normal_iteratorINSA_10device_ptrIfEEEEPS6_NSA_18transform_iteratorINSB_9not_fun_tI7is_trueIfEEENSC_INSD_IbEEEENSA_11use_defaultESO_EENS0_5tupleIJNSA_16discard_iteratorISO_EES6_EEENSQ_IJSG_SG_EEES6_PlJS6_EEE10hipError_tPvRmT3_T4_T5_T6_T7_T9_mT8_P12ihipStream_tbDpT10_ENKUlT_T0_E_clISt17integral_constantIbLb1EES1F_EEDaS1A_S1B_EUlS1A_E_NS1_11comp_targetILNS1_3genE5ELNS1_11target_archE942ELNS1_3gpuE9ELNS1_3repE0EEENS1_30default_config_static_selectorELNS0_4arch9wavefront6targetE0EEEvT1_,comdat
.Lfunc_end2630:
	.size	_ZN7rocprim17ROCPRIM_400000_NS6detail17trampoline_kernelINS0_14default_configENS1_25partition_config_selectorILNS1_17partition_subalgoE5EfNS0_10empty_typeEbEEZZNS1_14partition_implILS5_5ELb0ES3_mN6thrust23THRUST_200600_302600_NS6detail15normal_iteratorINSA_10device_ptrIfEEEEPS6_NSA_18transform_iteratorINSB_9not_fun_tI7is_trueIfEEENSC_INSD_IbEEEENSA_11use_defaultESO_EENS0_5tupleIJNSA_16discard_iteratorISO_EES6_EEENSQ_IJSG_SG_EEES6_PlJS6_EEE10hipError_tPvRmT3_T4_T5_T6_T7_T9_mT8_P12ihipStream_tbDpT10_ENKUlT_T0_E_clISt17integral_constantIbLb1EES1F_EEDaS1A_S1B_EUlS1A_E_NS1_11comp_targetILNS1_3genE5ELNS1_11target_archE942ELNS1_3gpuE9ELNS1_3repE0EEENS1_30default_config_static_selectorELNS0_4arch9wavefront6targetE0EEEvT1_, .Lfunc_end2630-_ZN7rocprim17ROCPRIM_400000_NS6detail17trampoline_kernelINS0_14default_configENS1_25partition_config_selectorILNS1_17partition_subalgoE5EfNS0_10empty_typeEbEEZZNS1_14partition_implILS5_5ELb0ES3_mN6thrust23THRUST_200600_302600_NS6detail15normal_iteratorINSA_10device_ptrIfEEEEPS6_NSA_18transform_iteratorINSB_9not_fun_tI7is_trueIfEEENSC_INSD_IbEEEENSA_11use_defaultESO_EENS0_5tupleIJNSA_16discard_iteratorISO_EES6_EEENSQ_IJSG_SG_EEES6_PlJS6_EEE10hipError_tPvRmT3_T4_T5_T6_T7_T9_mT8_P12ihipStream_tbDpT10_ENKUlT_T0_E_clISt17integral_constantIbLb1EES1F_EEDaS1A_S1B_EUlS1A_E_NS1_11comp_targetILNS1_3genE5ELNS1_11target_archE942ELNS1_3gpuE9ELNS1_3repE0EEENS1_30default_config_static_selectorELNS0_4arch9wavefront6targetE0EEEvT1_
                                        ; -- End function
	.set _ZN7rocprim17ROCPRIM_400000_NS6detail17trampoline_kernelINS0_14default_configENS1_25partition_config_selectorILNS1_17partition_subalgoE5EfNS0_10empty_typeEbEEZZNS1_14partition_implILS5_5ELb0ES3_mN6thrust23THRUST_200600_302600_NS6detail15normal_iteratorINSA_10device_ptrIfEEEEPS6_NSA_18transform_iteratorINSB_9not_fun_tI7is_trueIfEEENSC_INSD_IbEEEENSA_11use_defaultESO_EENS0_5tupleIJNSA_16discard_iteratorISO_EES6_EEENSQ_IJSG_SG_EEES6_PlJS6_EEE10hipError_tPvRmT3_T4_T5_T6_T7_T9_mT8_P12ihipStream_tbDpT10_ENKUlT_T0_E_clISt17integral_constantIbLb1EES1F_EEDaS1A_S1B_EUlS1A_E_NS1_11comp_targetILNS1_3genE5ELNS1_11target_archE942ELNS1_3gpuE9ELNS1_3repE0EEENS1_30default_config_static_selectorELNS0_4arch9wavefront6targetE0EEEvT1_.num_vgpr, 0
	.set _ZN7rocprim17ROCPRIM_400000_NS6detail17trampoline_kernelINS0_14default_configENS1_25partition_config_selectorILNS1_17partition_subalgoE5EfNS0_10empty_typeEbEEZZNS1_14partition_implILS5_5ELb0ES3_mN6thrust23THRUST_200600_302600_NS6detail15normal_iteratorINSA_10device_ptrIfEEEEPS6_NSA_18transform_iteratorINSB_9not_fun_tI7is_trueIfEEENSC_INSD_IbEEEENSA_11use_defaultESO_EENS0_5tupleIJNSA_16discard_iteratorISO_EES6_EEENSQ_IJSG_SG_EEES6_PlJS6_EEE10hipError_tPvRmT3_T4_T5_T6_T7_T9_mT8_P12ihipStream_tbDpT10_ENKUlT_T0_E_clISt17integral_constantIbLb1EES1F_EEDaS1A_S1B_EUlS1A_E_NS1_11comp_targetILNS1_3genE5ELNS1_11target_archE942ELNS1_3gpuE9ELNS1_3repE0EEENS1_30default_config_static_selectorELNS0_4arch9wavefront6targetE0EEEvT1_.num_agpr, 0
	.set _ZN7rocprim17ROCPRIM_400000_NS6detail17trampoline_kernelINS0_14default_configENS1_25partition_config_selectorILNS1_17partition_subalgoE5EfNS0_10empty_typeEbEEZZNS1_14partition_implILS5_5ELb0ES3_mN6thrust23THRUST_200600_302600_NS6detail15normal_iteratorINSA_10device_ptrIfEEEEPS6_NSA_18transform_iteratorINSB_9not_fun_tI7is_trueIfEEENSC_INSD_IbEEEENSA_11use_defaultESO_EENS0_5tupleIJNSA_16discard_iteratorISO_EES6_EEENSQ_IJSG_SG_EEES6_PlJS6_EEE10hipError_tPvRmT3_T4_T5_T6_T7_T9_mT8_P12ihipStream_tbDpT10_ENKUlT_T0_E_clISt17integral_constantIbLb1EES1F_EEDaS1A_S1B_EUlS1A_E_NS1_11comp_targetILNS1_3genE5ELNS1_11target_archE942ELNS1_3gpuE9ELNS1_3repE0EEENS1_30default_config_static_selectorELNS0_4arch9wavefront6targetE0EEEvT1_.numbered_sgpr, 0
	.set _ZN7rocprim17ROCPRIM_400000_NS6detail17trampoline_kernelINS0_14default_configENS1_25partition_config_selectorILNS1_17partition_subalgoE5EfNS0_10empty_typeEbEEZZNS1_14partition_implILS5_5ELb0ES3_mN6thrust23THRUST_200600_302600_NS6detail15normal_iteratorINSA_10device_ptrIfEEEEPS6_NSA_18transform_iteratorINSB_9not_fun_tI7is_trueIfEEENSC_INSD_IbEEEENSA_11use_defaultESO_EENS0_5tupleIJNSA_16discard_iteratorISO_EES6_EEENSQ_IJSG_SG_EEES6_PlJS6_EEE10hipError_tPvRmT3_T4_T5_T6_T7_T9_mT8_P12ihipStream_tbDpT10_ENKUlT_T0_E_clISt17integral_constantIbLb1EES1F_EEDaS1A_S1B_EUlS1A_E_NS1_11comp_targetILNS1_3genE5ELNS1_11target_archE942ELNS1_3gpuE9ELNS1_3repE0EEENS1_30default_config_static_selectorELNS0_4arch9wavefront6targetE0EEEvT1_.num_named_barrier, 0
	.set _ZN7rocprim17ROCPRIM_400000_NS6detail17trampoline_kernelINS0_14default_configENS1_25partition_config_selectorILNS1_17partition_subalgoE5EfNS0_10empty_typeEbEEZZNS1_14partition_implILS5_5ELb0ES3_mN6thrust23THRUST_200600_302600_NS6detail15normal_iteratorINSA_10device_ptrIfEEEEPS6_NSA_18transform_iteratorINSB_9not_fun_tI7is_trueIfEEENSC_INSD_IbEEEENSA_11use_defaultESO_EENS0_5tupleIJNSA_16discard_iteratorISO_EES6_EEENSQ_IJSG_SG_EEES6_PlJS6_EEE10hipError_tPvRmT3_T4_T5_T6_T7_T9_mT8_P12ihipStream_tbDpT10_ENKUlT_T0_E_clISt17integral_constantIbLb1EES1F_EEDaS1A_S1B_EUlS1A_E_NS1_11comp_targetILNS1_3genE5ELNS1_11target_archE942ELNS1_3gpuE9ELNS1_3repE0EEENS1_30default_config_static_selectorELNS0_4arch9wavefront6targetE0EEEvT1_.private_seg_size, 0
	.set _ZN7rocprim17ROCPRIM_400000_NS6detail17trampoline_kernelINS0_14default_configENS1_25partition_config_selectorILNS1_17partition_subalgoE5EfNS0_10empty_typeEbEEZZNS1_14partition_implILS5_5ELb0ES3_mN6thrust23THRUST_200600_302600_NS6detail15normal_iteratorINSA_10device_ptrIfEEEEPS6_NSA_18transform_iteratorINSB_9not_fun_tI7is_trueIfEEENSC_INSD_IbEEEENSA_11use_defaultESO_EENS0_5tupleIJNSA_16discard_iteratorISO_EES6_EEENSQ_IJSG_SG_EEES6_PlJS6_EEE10hipError_tPvRmT3_T4_T5_T6_T7_T9_mT8_P12ihipStream_tbDpT10_ENKUlT_T0_E_clISt17integral_constantIbLb1EES1F_EEDaS1A_S1B_EUlS1A_E_NS1_11comp_targetILNS1_3genE5ELNS1_11target_archE942ELNS1_3gpuE9ELNS1_3repE0EEENS1_30default_config_static_selectorELNS0_4arch9wavefront6targetE0EEEvT1_.uses_vcc, 0
	.set _ZN7rocprim17ROCPRIM_400000_NS6detail17trampoline_kernelINS0_14default_configENS1_25partition_config_selectorILNS1_17partition_subalgoE5EfNS0_10empty_typeEbEEZZNS1_14partition_implILS5_5ELb0ES3_mN6thrust23THRUST_200600_302600_NS6detail15normal_iteratorINSA_10device_ptrIfEEEEPS6_NSA_18transform_iteratorINSB_9not_fun_tI7is_trueIfEEENSC_INSD_IbEEEENSA_11use_defaultESO_EENS0_5tupleIJNSA_16discard_iteratorISO_EES6_EEENSQ_IJSG_SG_EEES6_PlJS6_EEE10hipError_tPvRmT3_T4_T5_T6_T7_T9_mT8_P12ihipStream_tbDpT10_ENKUlT_T0_E_clISt17integral_constantIbLb1EES1F_EEDaS1A_S1B_EUlS1A_E_NS1_11comp_targetILNS1_3genE5ELNS1_11target_archE942ELNS1_3gpuE9ELNS1_3repE0EEENS1_30default_config_static_selectorELNS0_4arch9wavefront6targetE0EEEvT1_.uses_flat_scratch, 0
	.set _ZN7rocprim17ROCPRIM_400000_NS6detail17trampoline_kernelINS0_14default_configENS1_25partition_config_selectorILNS1_17partition_subalgoE5EfNS0_10empty_typeEbEEZZNS1_14partition_implILS5_5ELb0ES3_mN6thrust23THRUST_200600_302600_NS6detail15normal_iteratorINSA_10device_ptrIfEEEEPS6_NSA_18transform_iteratorINSB_9not_fun_tI7is_trueIfEEENSC_INSD_IbEEEENSA_11use_defaultESO_EENS0_5tupleIJNSA_16discard_iteratorISO_EES6_EEENSQ_IJSG_SG_EEES6_PlJS6_EEE10hipError_tPvRmT3_T4_T5_T6_T7_T9_mT8_P12ihipStream_tbDpT10_ENKUlT_T0_E_clISt17integral_constantIbLb1EES1F_EEDaS1A_S1B_EUlS1A_E_NS1_11comp_targetILNS1_3genE5ELNS1_11target_archE942ELNS1_3gpuE9ELNS1_3repE0EEENS1_30default_config_static_selectorELNS0_4arch9wavefront6targetE0EEEvT1_.has_dyn_sized_stack, 0
	.set _ZN7rocprim17ROCPRIM_400000_NS6detail17trampoline_kernelINS0_14default_configENS1_25partition_config_selectorILNS1_17partition_subalgoE5EfNS0_10empty_typeEbEEZZNS1_14partition_implILS5_5ELb0ES3_mN6thrust23THRUST_200600_302600_NS6detail15normal_iteratorINSA_10device_ptrIfEEEEPS6_NSA_18transform_iteratorINSB_9not_fun_tI7is_trueIfEEENSC_INSD_IbEEEENSA_11use_defaultESO_EENS0_5tupleIJNSA_16discard_iteratorISO_EES6_EEENSQ_IJSG_SG_EEES6_PlJS6_EEE10hipError_tPvRmT3_T4_T5_T6_T7_T9_mT8_P12ihipStream_tbDpT10_ENKUlT_T0_E_clISt17integral_constantIbLb1EES1F_EEDaS1A_S1B_EUlS1A_E_NS1_11comp_targetILNS1_3genE5ELNS1_11target_archE942ELNS1_3gpuE9ELNS1_3repE0EEENS1_30default_config_static_selectorELNS0_4arch9wavefront6targetE0EEEvT1_.has_recursion, 0
	.set _ZN7rocprim17ROCPRIM_400000_NS6detail17trampoline_kernelINS0_14default_configENS1_25partition_config_selectorILNS1_17partition_subalgoE5EfNS0_10empty_typeEbEEZZNS1_14partition_implILS5_5ELb0ES3_mN6thrust23THRUST_200600_302600_NS6detail15normal_iteratorINSA_10device_ptrIfEEEEPS6_NSA_18transform_iteratorINSB_9not_fun_tI7is_trueIfEEENSC_INSD_IbEEEENSA_11use_defaultESO_EENS0_5tupleIJNSA_16discard_iteratorISO_EES6_EEENSQ_IJSG_SG_EEES6_PlJS6_EEE10hipError_tPvRmT3_T4_T5_T6_T7_T9_mT8_P12ihipStream_tbDpT10_ENKUlT_T0_E_clISt17integral_constantIbLb1EES1F_EEDaS1A_S1B_EUlS1A_E_NS1_11comp_targetILNS1_3genE5ELNS1_11target_archE942ELNS1_3gpuE9ELNS1_3repE0EEENS1_30default_config_static_selectorELNS0_4arch9wavefront6targetE0EEEvT1_.has_indirect_call, 0
	.section	.AMDGPU.csdata,"",@progbits
; Kernel info:
; codeLenInByte = 0
; TotalNumSgprs: 0
; NumVgprs: 0
; ScratchSize: 0
; MemoryBound: 0
; FloatMode: 240
; IeeeMode: 1
; LDSByteSize: 0 bytes/workgroup (compile time only)
; SGPRBlocks: 0
; VGPRBlocks: 0
; NumSGPRsForWavesPerEU: 1
; NumVGPRsForWavesPerEU: 1
; Occupancy: 16
; WaveLimiterHint : 0
; COMPUTE_PGM_RSRC2:SCRATCH_EN: 0
; COMPUTE_PGM_RSRC2:USER_SGPR: 2
; COMPUTE_PGM_RSRC2:TRAP_HANDLER: 0
; COMPUTE_PGM_RSRC2:TGID_X_EN: 1
; COMPUTE_PGM_RSRC2:TGID_Y_EN: 0
; COMPUTE_PGM_RSRC2:TGID_Z_EN: 0
; COMPUTE_PGM_RSRC2:TIDIG_COMP_CNT: 0
	.section	.text._ZN7rocprim17ROCPRIM_400000_NS6detail17trampoline_kernelINS0_14default_configENS1_25partition_config_selectorILNS1_17partition_subalgoE5EfNS0_10empty_typeEbEEZZNS1_14partition_implILS5_5ELb0ES3_mN6thrust23THRUST_200600_302600_NS6detail15normal_iteratorINSA_10device_ptrIfEEEEPS6_NSA_18transform_iteratorINSB_9not_fun_tI7is_trueIfEEENSC_INSD_IbEEEENSA_11use_defaultESO_EENS0_5tupleIJNSA_16discard_iteratorISO_EES6_EEENSQ_IJSG_SG_EEES6_PlJS6_EEE10hipError_tPvRmT3_T4_T5_T6_T7_T9_mT8_P12ihipStream_tbDpT10_ENKUlT_T0_E_clISt17integral_constantIbLb1EES1F_EEDaS1A_S1B_EUlS1A_E_NS1_11comp_targetILNS1_3genE4ELNS1_11target_archE910ELNS1_3gpuE8ELNS1_3repE0EEENS1_30default_config_static_selectorELNS0_4arch9wavefront6targetE0EEEvT1_,"axG",@progbits,_ZN7rocprim17ROCPRIM_400000_NS6detail17trampoline_kernelINS0_14default_configENS1_25partition_config_selectorILNS1_17partition_subalgoE5EfNS0_10empty_typeEbEEZZNS1_14partition_implILS5_5ELb0ES3_mN6thrust23THRUST_200600_302600_NS6detail15normal_iteratorINSA_10device_ptrIfEEEEPS6_NSA_18transform_iteratorINSB_9not_fun_tI7is_trueIfEEENSC_INSD_IbEEEENSA_11use_defaultESO_EENS0_5tupleIJNSA_16discard_iteratorISO_EES6_EEENSQ_IJSG_SG_EEES6_PlJS6_EEE10hipError_tPvRmT3_T4_T5_T6_T7_T9_mT8_P12ihipStream_tbDpT10_ENKUlT_T0_E_clISt17integral_constantIbLb1EES1F_EEDaS1A_S1B_EUlS1A_E_NS1_11comp_targetILNS1_3genE4ELNS1_11target_archE910ELNS1_3gpuE8ELNS1_3repE0EEENS1_30default_config_static_selectorELNS0_4arch9wavefront6targetE0EEEvT1_,comdat
	.protected	_ZN7rocprim17ROCPRIM_400000_NS6detail17trampoline_kernelINS0_14default_configENS1_25partition_config_selectorILNS1_17partition_subalgoE5EfNS0_10empty_typeEbEEZZNS1_14partition_implILS5_5ELb0ES3_mN6thrust23THRUST_200600_302600_NS6detail15normal_iteratorINSA_10device_ptrIfEEEEPS6_NSA_18transform_iteratorINSB_9not_fun_tI7is_trueIfEEENSC_INSD_IbEEEENSA_11use_defaultESO_EENS0_5tupleIJNSA_16discard_iteratorISO_EES6_EEENSQ_IJSG_SG_EEES6_PlJS6_EEE10hipError_tPvRmT3_T4_T5_T6_T7_T9_mT8_P12ihipStream_tbDpT10_ENKUlT_T0_E_clISt17integral_constantIbLb1EES1F_EEDaS1A_S1B_EUlS1A_E_NS1_11comp_targetILNS1_3genE4ELNS1_11target_archE910ELNS1_3gpuE8ELNS1_3repE0EEENS1_30default_config_static_selectorELNS0_4arch9wavefront6targetE0EEEvT1_ ; -- Begin function _ZN7rocprim17ROCPRIM_400000_NS6detail17trampoline_kernelINS0_14default_configENS1_25partition_config_selectorILNS1_17partition_subalgoE5EfNS0_10empty_typeEbEEZZNS1_14partition_implILS5_5ELb0ES3_mN6thrust23THRUST_200600_302600_NS6detail15normal_iteratorINSA_10device_ptrIfEEEEPS6_NSA_18transform_iteratorINSB_9not_fun_tI7is_trueIfEEENSC_INSD_IbEEEENSA_11use_defaultESO_EENS0_5tupleIJNSA_16discard_iteratorISO_EES6_EEENSQ_IJSG_SG_EEES6_PlJS6_EEE10hipError_tPvRmT3_T4_T5_T6_T7_T9_mT8_P12ihipStream_tbDpT10_ENKUlT_T0_E_clISt17integral_constantIbLb1EES1F_EEDaS1A_S1B_EUlS1A_E_NS1_11comp_targetILNS1_3genE4ELNS1_11target_archE910ELNS1_3gpuE8ELNS1_3repE0EEENS1_30default_config_static_selectorELNS0_4arch9wavefront6targetE0EEEvT1_
	.globl	_ZN7rocprim17ROCPRIM_400000_NS6detail17trampoline_kernelINS0_14default_configENS1_25partition_config_selectorILNS1_17partition_subalgoE5EfNS0_10empty_typeEbEEZZNS1_14partition_implILS5_5ELb0ES3_mN6thrust23THRUST_200600_302600_NS6detail15normal_iteratorINSA_10device_ptrIfEEEEPS6_NSA_18transform_iteratorINSB_9not_fun_tI7is_trueIfEEENSC_INSD_IbEEEENSA_11use_defaultESO_EENS0_5tupleIJNSA_16discard_iteratorISO_EES6_EEENSQ_IJSG_SG_EEES6_PlJS6_EEE10hipError_tPvRmT3_T4_T5_T6_T7_T9_mT8_P12ihipStream_tbDpT10_ENKUlT_T0_E_clISt17integral_constantIbLb1EES1F_EEDaS1A_S1B_EUlS1A_E_NS1_11comp_targetILNS1_3genE4ELNS1_11target_archE910ELNS1_3gpuE8ELNS1_3repE0EEENS1_30default_config_static_selectorELNS0_4arch9wavefront6targetE0EEEvT1_
	.p2align	8
	.type	_ZN7rocprim17ROCPRIM_400000_NS6detail17trampoline_kernelINS0_14default_configENS1_25partition_config_selectorILNS1_17partition_subalgoE5EfNS0_10empty_typeEbEEZZNS1_14partition_implILS5_5ELb0ES3_mN6thrust23THRUST_200600_302600_NS6detail15normal_iteratorINSA_10device_ptrIfEEEEPS6_NSA_18transform_iteratorINSB_9not_fun_tI7is_trueIfEEENSC_INSD_IbEEEENSA_11use_defaultESO_EENS0_5tupleIJNSA_16discard_iteratorISO_EES6_EEENSQ_IJSG_SG_EEES6_PlJS6_EEE10hipError_tPvRmT3_T4_T5_T6_T7_T9_mT8_P12ihipStream_tbDpT10_ENKUlT_T0_E_clISt17integral_constantIbLb1EES1F_EEDaS1A_S1B_EUlS1A_E_NS1_11comp_targetILNS1_3genE4ELNS1_11target_archE910ELNS1_3gpuE8ELNS1_3repE0EEENS1_30default_config_static_selectorELNS0_4arch9wavefront6targetE0EEEvT1_,@function
_ZN7rocprim17ROCPRIM_400000_NS6detail17trampoline_kernelINS0_14default_configENS1_25partition_config_selectorILNS1_17partition_subalgoE5EfNS0_10empty_typeEbEEZZNS1_14partition_implILS5_5ELb0ES3_mN6thrust23THRUST_200600_302600_NS6detail15normal_iteratorINSA_10device_ptrIfEEEEPS6_NSA_18transform_iteratorINSB_9not_fun_tI7is_trueIfEEENSC_INSD_IbEEEENSA_11use_defaultESO_EENS0_5tupleIJNSA_16discard_iteratorISO_EES6_EEENSQ_IJSG_SG_EEES6_PlJS6_EEE10hipError_tPvRmT3_T4_T5_T6_T7_T9_mT8_P12ihipStream_tbDpT10_ENKUlT_T0_E_clISt17integral_constantIbLb1EES1F_EEDaS1A_S1B_EUlS1A_E_NS1_11comp_targetILNS1_3genE4ELNS1_11target_archE910ELNS1_3gpuE8ELNS1_3repE0EEENS1_30default_config_static_selectorELNS0_4arch9wavefront6targetE0EEEvT1_: ; @_ZN7rocprim17ROCPRIM_400000_NS6detail17trampoline_kernelINS0_14default_configENS1_25partition_config_selectorILNS1_17partition_subalgoE5EfNS0_10empty_typeEbEEZZNS1_14partition_implILS5_5ELb0ES3_mN6thrust23THRUST_200600_302600_NS6detail15normal_iteratorINSA_10device_ptrIfEEEEPS6_NSA_18transform_iteratorINSB_9not_fun_tI7is_trueIfEEENSC_INSD_IbEEEENSA_11use_defaultESO_EENS0_5tupleIJNSA_16discard_iteratorISO_EES6_EEENSQ_IJSG_SG_EEES6_PlJS6_EEE10hipError_tPvRmT3_T4_T5_T6_T7_T9_mT8_P12ihipStream_tbDpT10_ENKUlT_T0_E_clISt17integral_constantIbLb1EES1F_EEDaS1A_S1B_EUlS1A_E_NS1_11comp_targetILNS1_3genE4ELNS1_11target_archE910ELNS1_3gpuE8ELNS1_3repE0EEENS1_30default_config_static_selectorELNS0_4arch9wavefront6targetE0EEEvT1_
; %bb.0:
	.section	.rodata,"a",@progbits
	.p2align	6, 0x0
	.amdhsa_kernel _ZN7rocprim17ROCPRIM_400000_NS6detail17trampoline_kernelINS0_14default_configENS1_25partition_config_selectorILNS1_17partition_subalgoE5EfNS0_10empty_typeEbEEZZNS1_14partition_implILS5_5ELb0ES3_mN6thrust23THRUST_200600_302600_NS6detail15normal_iteratorINSA_10device_ptrIfEEEEPS6_NSA_18transform_iteratorINSB_9not_fun_tI7is_trueIfEEENSC_INSD_IbEEEENSA_11use_defaultESO_EENS0_5tupleIJNSA_16discard_iteratorISO_EES6_EEENSQ_IJSG_SG_EEES6_PlJS6_EEE10hipError_tPvRmT3_T4_T5_T6_T7_T9_mT8_P12ihipStream_tbDpT10_ENKUlT_T0_E_clISt17integral_constantIbLb1EES1F_EEDaS1A_S1B_EUlS1A_E_NS1_11comp_targetILNS1_3genE4ELNS1_11target_archE910ELNS1_3gpuE8ELNS1_3repE0EEENS1_30default_config_static_selectorELNS0_4arch9wavefront6targetE0EEEvT1_
		.amdhsa_group_segment_fixed_size 0
		.amdhsa_private_segment_fixed_size 0
		.amdhsa_kernarg_size 144
		.amdhsa_user_sgpr_count 2
		.amdhsa_user_sgpr_dispatch_ptr 0
		.amdhsa_user_sgpr_queue_ptr 0
		.amdhsa_user_sgpr_kernarg_segment_ptr 1
		.amdhsa_user_sgpr_dispatch_id 0
		.amdhsa_user_sgpr_private_segment_size 0
		.amdhsa_wavefront_size32 1
		.amdhsa_uses_dynamic_stack 0
		.amdhsa_enable_private_segment 0
		.amdhsa_system_sgpr_workgroup_id_x 1
		.amdhsa_system_sgpr_workgroup_id_y 0
		.amdhsa_system_sgpr_workgroup_id_z 0
		.amdhsa_system_sgpr_workgroup_info 0
		.amdhsa_system_vgpr_workitem_id 0
		.amdhsa_next_free_vgpr 1
		.amdhsa_next_free_sgpr 1
		.amdhsa_reserve_vcc 0
		.amdhsa_float_round_mode_32 0
		.amdhsa_float_round_mode_16_64 0
		.amdhsa_float_denorm_mode_32 3
		.amdhsa_float_denorm_mode_16_64 3
		.amdhsa_fp16_overflow 0
		.amdhsa_workgroup_processor_mode 1
		.amdhsa_memory_ordered 1
		.amdhsa_forward_progress 1
		.amdhsa_inst_pref_size 0
		.amdhsa_round_robin_scheduling 0
		.amdhsa_exception_fp_ieee_invalid_op 0
		.amdhsa_exception_fp_denorm_src 0
		.amdhsa_exception_fp_ieee_div_zero 0
		.amdhsa_exception_fp_ieee_overflow 0
		.amdhsa_exception_fp_ieee_underflow 0
		.amdhsa_exception_fp_ieee_inexact 0
		.amdhsa_exception_int_div_zero 0
	.end_amdhsa_kernel
	.section	.text._ZN7rocprim17ROCPRIM_400000_NS6detail17trampoline_kernelINS0_14default_configENS1_25partition_config_selectorILNS1_17partition_subalgoE5EfNS0_10empty_typeEbEEZZNS1_14partition_implILS5_5ELb0ES3_mN6thrust23THRUST_200600_302600_NS6detail15normal_iteratorINSA_10device_ptrIfEEEEPS6_NSA_18transform_iteratorINSB_9not_fun_tI7is_trueIfEEENSC_INSD_IbEEEENSA_11use_defaultESO_EENS0_5tupleIJNSA_16discard_iteratorISO_EES6_EEENSQ_IJSG_SG_EEES6_PlJS6_EEE10hipError_tPvRmT3_T4_T5_T6_T7_T9_mT8_P12ihipStream_tbDpT10_ENKUlT_T0_E_clISt17integral_constantIbLb1EES1F_EEDaS1A_S1B_EUlS1A_E_NS1_11comp_targetILNS1_3genE4ELNS1_11target_archE910ELNS1_3gpuE8ELNS1_3repE0EEENS1_30default_config_static_selectorELNS0_4arch9wavefront6targetE0EEEvT1_,"axG",@progbits,_ZN7rocprim17ROCPRIM_400000_NS6detail17trampoline_kernelINS0_14default_configENS1_25partition_config_selectorILNS1_17partition_subalgoE5EfNS0_10empty_typeEbEEZZNS1_14partition_implILS5_5ELb0ES3_mN6thrust23THRUST_200600_302600_NS6detail15normal_iteratorINSA_10device_ptrIfEEEEPS6_NSA_18transform_iteratorINSB_9not_fun_tI7is_trueIfEEENSC_INSD_IbEEEENSA_11use_defaultESO_EENS0_5tupleIJNSA_16discard_iteratorISO_EES6_EEENSQ_IJSG_SG_EEES6_PlJS6_EEE10hipError_tPvRmT3_T4_T5_T6_T7_T9_mT8_P12ihipStream_tbDpT10_ENKUlT_T0_E_clISt17integral_constantIbLb1EES1F_EEDaS1A_S1B_EUlS1A_E_NS1_11comp_targetILNS1_3genE4ELNS1_11target_archE910ELNS1_3gpuE8ELNS1_3repE0EEENS1_30default_config_static_selectorELNS0_4arch9wavefront6targetE0EEEvT1_,comdat
.Lfunc_end2631:
	.size	_ZN7rocprim17ROCPRIM_400000_NS6detail17trampoline_kernelINS0_14default_configENS1_25partition_config_selectorILNS1_17partition_subalgoE5EfNS0_10empty_typeEbEEZZNS1_14partition_implILS5_5ELb0ES3_mN6thrust23THRUST_200600_302600_NS6detail15normal_iteratorINSA_10device_ptrIfEEEEPS6_NSA_18transform_iteratorINSB_9not_fun_tI7is_trueIfEEENSC_INSD_IbEEEENSA_11use_defaultESO_EENS0_5tupleIJNSA_16discard_iteratorISO_EES6_EEENSQ_IJSG_SG_EEES6_PlJS6_EEE10hipError_tPvRmT3_T4_T5_T6_T7_T9_mT8_P12ihipStream_tbDpT10_ENKUlT_T0_E_clISt17integral_constantIbLb1EES1F_EEDaS1A_S1B_EUlS1A_E_NS1_11comp_targetILNS1_3genE4ELNS1_11target_archE910ELNS1_3gpuE8ELNS1_3repE0EEENS1_30default_config_static_selectorELNS0_4arch9wavefront6targetE0EEEvT1_, .Lfunc_end2631-_ZN7rocprim17ROCPRIM_400000_NS6detail17trampoline_kernelINS0_14default_configENS1_25partition_config_selectorILNS1_17partition_subalgoE5EfNS0_10empty_typeEbEEZZNS1_14partition_implILS5_5ELb0ES3_mN6thrust23THRUST_200600_302600_NS6detail15normal_iteratorINSA_10device_ptrIfEEEEPS6_NSA_18transform_iteratorINSB_9not_fun_tI7is_trueIfEEENSC_INSD_IbEEEENSA_11use_defaultESO_EENS0_5tupleIJNSA_16discard_iteratorISO_EES6_EEENSQ_IJSG_SG_EEES6_PlJS6_EEE10hipError_tPvRmT3_T4_T5_T6_T7_T9_mT8_P12ihipStream_tbDpT10_ENKUlT_T0_E_clISt17integral_constantIbLb1EES1F_EEDaS1A_S1B_EUlS1A_E_NS1_11comp_targetILNS1_3genE4ELNS1_11target_archE910ELNS1_3gpuE8ELNS1_3repE0EEENS1_30default_config_static_selectorELNS0_4arch9wavefront6targetE0EEEvT1_
                                        ; -- End function
	.set _ZN7rocprim17ROCPRIM_400000_NS6detail17trampoline_kernelINS0_14default_configENS1_25partition_config_selectorILNS1_17partition_subalgoE5EfNS0_10empty_typeEbEEZZNS1_14partition_implILS5_5ELb0ES3_mN6thrust23THRUST_200600_302600_NS6detail15normal_iteratorINSA_10device_ptrIfEEEEPS6_NSA_18transform_iteratorINSB_9not_fun_tI7is_trueIfEEENSC_INSD_IbEEEENSA_11use_defaultESO_EENS0_5tupleIJNSA_16discard_iteratorISO_EES6_EEENSQ_IJSG_SG_EEES6_PlJS6_EEE10hipError_tPvRmT3_T4_T5_T6_T7_T9_mT8_P12ihipStream_tbDpT10_ENKUlT_T0_E_clISt17integral_constantIbLb1EES1F_EEDaS1A_S1B_EUlS1A_E_NS1_11comp_targetILNS1_3genE4ELNS1_11target_archE910ELNS1_3gpuE8ELNS1_3repE0EEENS1_30default_config_static_selectorELNS0_4arch9wavefront6targetE0EEEvT1_.num_vgpr, 0
	.set _ZN7rocprim17ROCPRIM_400000_NS6detail17trampoline_kernelINS0_14default_configENS1_25partition_config_selectorILNS1_17partition_subalgoE5EfNS0_10empty_typeEbEEZZNS1_14partition_implILS5_5ELb0ES3_mN6thrust23THRUST_200600_302600_NS6detail15normal_iteratorINSA_10device_ptrIfEEEEPS6_NSA_18transform_iteratorINSB_9not_fun_tI7is_trueIfEEENSC_INSD_IbEEEENSA_11use_defaultESO_EENS0_5tupleIJNSA_16discard_iteratorISO_EES6_EEENSQ_IJSG_SG_EEES6_PlJS6_EEE10hipError_tPvRmT3_T4_T5_T6_T7_T9_mT8_P12ihipStream_tbDpT10_ENKUlT_T0_E_clISt17integral_constantIbLb1EES1F_EEDaS1A_S1B_EUlS1A_E_NS1_11comp_targetILNS1_3genE4ELNS1_11target_archE910ELNS1_3gpuE8ELNS1_3repE0EEENS1_30default_config_static_selectorELNS0_4arch9wavefront6targetE0EEEvT1_.num_agpr, 0
	.set _ZN7rocprim17ROCPRIM_400000_NS6detail17trampoline_kernelINS0_14default_configENS1_25partition_config_selectorILNS1_17partition_subalgoE5EfNS0_10empty_typeEbEEZZNS1_14partition_implILS5_5ELb0ES3_mN6thrust23THRUST_200600_302600_NS6detail15normal_iteratorINSA_10device_ptrIfEEEEPS6_NSA_18transform_iteratorINSB_9not_fun_tI7is_trueIfEEENSC_INSD_IbEEEENSA_11use_defaultESO_EENS0_5tupleIJNSA_16discard_iteratorISO_EES6_EEENSQ_IJSG_SG_EEES6_PlJS6_EEE10hipError_tPvRmT3_T4_T5_T6_T7_T9_mT8_P12ihipStream_tbDpT10_ENKUlT_T0_E_clISt17integral_constantIbLb1EES1F_EEDaS1A_S1B_EUlS1A_E_NS1_11comp_targetILNS1_3genE4ELNS1_11target_archE910ELNS1_3gpuE8ELNS1_3repE0EEENS1_30default_config_static_selectorELNS0_4arch9wavefront6targetE0EEEvT1_.numbered_sgpr, 0
	.set _ZN7rocprim17ROCPRIM_400000_NS6detail17trampoline_kernelINS0_14default_configENS1_25partition_config_selectorILNS1_17partition_subalgoE5EfNS0_10empty_typeEbEEZZNS1_14partition_implILS5_5ELb0ES3_mN6thrust23THRUST_200600_302600_NS6detail15normal_iteratorINSA_10device_ptrIfEEEEPS6_NSA_18transform_iteratorINSB_9not_fun_tI7is_trueIfEEENSC_INSD_IbEEEENSA_11use_defaultESO_EENS0_5tupleIJNSA_16discard_iteratorISO_EES6_EEENSQ_IJSG_SG_EEES6_PlJS6_EEE10hipError_tPvRmT3_T4_T5_T6_T7_T9_mT8_P12ihipStream_tbDpT10_ENKUlT_T0_E_clISt17integral_constantIbLb1EES1F_EEDaS1A_S1B_EUlS1A_E_NS1_11comp_targetILNS1_3genE4ELNS1_11target_archE910ELNS1_3gpuE8ELNS1_3repE0EEENS1_30default_config_static_selectorELNS0_4arch9wavefront6targetE0EEEvT1_.num_named_barrier, 0
	.set _ZN7rocprim17ROCPRIM_400000_NS6detail17trampoline_kernelINS0_14default_configENS1_25partition_config_selectorILNS1_17partition_subalgoE5EfNS0_10empty_typeEbEEZZNS1_14partition_implILS5_5ELb0ES3_mN6thrust23THRUST_200600_302600_NS6detail15normal_iteratorINSA_10device_ptrIfEEEEPS6_NSA_18transform_iteratorINSB_9not_fun_tI7is_trueIfEEENSC_INSD_IbEEEENSA_11use_defaultESO_EENS0_5tupleIJNSA_16discard_iteratorISO_EES6_EEENSQ_IJSG_SG_EEES6_PlJS6_EEE10hipError_tPvRmT3_T4_T5_T6_T7_T9_mT8_P12ihipStream_tbDpT10_ENKUlT_T0_E_clISt17integral_constantIbLb1EES1F_EEDaS1A_S1B_EUlS1A_E_NS1_11comp_targetILNS1_3genE4ELNS1_11target_archE910ELNS1_3gpuE8ELNS1_3repE0EEENS1_30default_config_static_selectorELNS0_4arch9wavefront6targetE0EEEvT1_.private_seg_size, 0
	.set _ZN7rocprim17ROCPRIM_400000_NS6detail17trampoline_kernelINS0_14default_configENS1_25partition_config_selectorILNS1_17partition_subalgoE5EfNS0_10empty_typeEbEEZZNS1_14partition_implILS5_5ELb0ES3_mN6thrust23THRUST_200600_302600_NS6detail15normal_iteratorINSA_10device_ptrIfEEEEPS6_NSA_18transform_iteratorINSB_9not_fun_tI7is_trueIfEEENSC_INSD_IbEEEENSA_11use_defaultESO_EENS0_5tupleIJNSA_16discard_iteratorISO_EES6_EEENSQ_IJSG_SG_EEES6_PlJS6_EEE10hipError_tPvRmT3_T4_T5_T6_T7_T9_mT8_P12ihipStream_tbDpT10_ENKUlT_T0_E_clISt17integral_constantIbLb1EES1F_EEDaS1A_S1B_EUlS1A_E_NS1_11comp_targetILNS1_3genE4ELNS1_11target_archE910ELNS1_3gpuE8ELNS1_3repE0EEENS1_30default_config_static_selectorELNS0_4arch9wavefront6targetE0EEEvT1_.uses_vcc, 0
	.set _ZN7rocprim17ROCPRIM_400000_NS6detail17trampoline_kernelINS0_14default_configENS1_25partition_config_selectorILNS1_17partition_subalgoE5EfNS0_10empty_typeEbEEZZNS1_14partition_implILS5_5ELb0ES3_mN6thrust23THRUST_200600_302600_NS6detail15normal_iteratorINSA_10device_ptrIfEEEEPS6_NSA_18transform_iteratorINSB_9not_fun_tI7is_trueIfEEENSC_INSD_IbEEEENSA_11use_defaultESO_EENS0_5tupleIJNSA_16discard_iteratorISO_EES6_EEENSQ_IJSG_SG_EEES6_PlJS6_EEE10hipError_tPvRmT3_T4_T5_T6_T7_T9_mT8_P12ihipStream_tbDpT10_ENKUlT_T0_E_clISt17integral_constantIbLb1EES1F_EEDaS1A_S1B_EUlS1A_E_NS1_11comp_targetILNS1_3genE4ELNS1_11target_archE910ELNS1_3gpuE8ELNS1_3repE0EEENS1_30default_config_static_selectorELNS0_4arch9wavefront6targetE0EEEvT1_.uses_flat_scratch, 0
	.set _ZN7rocprim17ROCPRIM_400000_NS6detail17trampoline_kernelINS0_14default_configENS1_25partition_config_selectorILNS1_17partition_subalgoE5EfNS0_10empty_typeEbEEZZNS1_14partition_implILS5_5ELb0ES3_mN6thrust23THRUST_200600_302600_NS6detail15normal_iteratorINSA_10device_ptrIfEEEEPS6_NSA_18transform_iteratorINSB_9not_fun_tI7is_trueIfEEENSC_INSD_IbEEEENSA_11use_defaultESO_EENS0_5tupleIJNSA_16discard_iteratorISO_EES6_EEENSQ_IJSG_SG_EEES6_PlJS6_EEE10hipError_tPvRmT3_T4_T5_T6_T7_T9_mT8_P12ihipStream_tbDpT10_ENKUlT_T0_E_clISt17integral_constantIbLb1EES1F_EEDaS1A_S1B_EUlS1A_E_NS1_11comp_targetILNS1_3genE4ELNS1_11target_archE910ELNS1_3gpuE8ELNS1_3repE0EEENS1_30default_config_static_selectorELNS0_4arch9wavefront6targetE0EEEvT1_.has_dyn_sized_stack, 0
	.set _ZN7rocprim17ROCPRIM_400000_NS6detail17trampoline_kernelINS0_14default_configENS1_25partition_config_selectorILNS1_17partition_subalgoE5EfNS0_10empty_typeEbEEZZNS1_14partition_implILS5_5ELb0ES3_mN6thrust23THRUST_200600_302600_NS6detail15normal_iteratorINSA_10device_ptrIfEEEEPS6_NSA_18transform_iteratorINSB_9not_fun_tI7is_trueIfEEENSC_INSD_IbEEEENSA_11use_defaultESO_EENS0_5tupleIJNSA_16discard_iteratorISO_EES6_EEENSQ_IJSG_SG_EEES6_PlJS6_EEE10hipError_tPvRmT3_T4_T5_T6_T7_T9_mT8_P12ihipStream_tbDpT10_ENKUlT_T0_E_clISt17integral_constantIbLb1EES1F_EEDaS1A_S1B_EUlS1A_E_NS1_11comp_targetILNS1_3genE4ELNS1_11target_archE910ELNS1_3gpuE8ELNS1_3repE0EEENS1_30default_config_static_selectorELNS0_4arch9wavefront6targetE0EEEvT1_.has_recursion, 0
	.set _ZN7rocprim17ROCPRIM_400000_NS6detail17trampoline_kernelINS0_14default_configENS1_25partition_config_selectorILNS1_17partition_subalgoE5EfNS0_10empty_typeEbEEZZNS1_14partition_implILS5_5ELb0ES3_mN6thrust23THRUST_200600_302600_NS6detail15normal_iteratorINSA_10device_ptrIfEEEEPS6_NSA_18transform_iteratorINSB_9not_fun_tI7is_trueIfEEENSC_INSD_IbEEEENSA_11use_defaultESO_EENS0_5tupleIJNSA_16discard_iteratorISO_EES6_EEENSQ_IJSG_SG_EEES6_PlJS6_EEE10hipError_tPvRmT3_T4_T5_T6_T7_T9_mT8_P12ihipStream_tbDpT10_ENKUlT_T0_E_clISt17integral_constantIbLb1EES1F_EEDaS1A_S1B_EUlS1A_E_NS1_11comp_targetILNS1_3genE4ELNS1_11target_archE910ELNS1_3gpuE8ELNS1_3repE0EEENS1_30default_config_static_selectorELNS0_4arch9wavefront6targetE0EEEvT1_.has_indirect_call, 0
	.section	.AMDGPU.csdata,"",@progbits
; Kernel info:
; codeLenInByte = 0
; TotalNumSgprs: 0
; NumVgprs: 0
; ScratchSize: 0
; MemoryBound: 0
; FloatMode: 240
; IeeeMode: 1
; LDSByteSize: 0 bytes/workgroup (compile time only)
; SGPRBlocks: 0
; VGPRBlocks: 0
; NumSGPRsForWavesPerEU: 1
; NumVGPRsForWavesPerEU: 1
; Occupancy: 16
; WaveLimiterHint : 0
; COMPUTE_PGM_RSRC2:SCRATCH_EN: 0
; COMPUTE_PGM_RSRC2:USER_SGPR: 2
; COMPUTE_PGM_RSRC2:TRAP_HANDLER: 0
; COMPUTE_PGM_RSRC2:TGID_X_EN: 1
; COMPUTE_PGM_RSRC2:TGID_Y_EN: 0
; COMPUTE_PGM_RSRC2:TGID_Z_EN: 0
; COMPUTE_PGM_RSRC2:TIDIG_COMP_CNT: 0
	.section	.text._ZN7rocprim17ROCPRIM_400000_NS6detail17trampoline_kernelINS0_14default_configENS1_25partition_config_selectorILNS1_17partition_subalgoE5EfNS0_10empty_typeEbEEZZNS1_14partition_implILS5_5ELb0ES3_mN6thrust23THRUST_200600_302600_NS6detail15normal_iteratorINSA_10device_ptrIfEEEEPS6_NSA_18transform_iteratorINSB_9not_fun_tI7is_trueIfEEENSC_INSD_IbEEEENSA_11use_defaultESO_EENS0_5tupleIJNSA_16discard_iteratorISO_EES6_EEENSQ_IJSG_SG_EEES6_PlJS6_EEE10hipError_tPvRmT3_T4_T5_T6_T7_T9_mT8_P12ihipStream_tbDpT10_ENKUlT_T0_E_clISt17integral_constantIbLb1EES1F_EEDaS1A_S1B_EUlS1A_E_NS1_11comp_targetILNS1_3genE3ELNS1_11target_archE908ELNS1_3gpuE7ELNS1_3repE0EEENS1_30default_config_static_selectorELNS0_4arch9wavefront6targetE0EEEvT1_,"axG",@progbits,_ZN7rocprim17ROCPRIM_400000_NS6detail17trampoline_kernelINS0_14default_configENS1_25partition_config_selectorILNS1_17partition_subalgoE5EfNS0_10empty_typeEbEEZZNS1_14partition_implILS5_5ELb0ES3_mN6thrust23THRUST_200600_302600_NS6detail15normal_iteratorINSA_10device_ptrIfEEEEPS6_NSA_18transform_iteratorINSB_9not_fun_tI7is_trueIfEEENSC_INSD_IbEEEENSA_11use_defaultESO_EENS0_5tupleIJNSA_16discard_iteratorISO_EES6_EEENSQ_IJSG_SG_EEES6_PlJS6_EEE10hipError_tPvRmT3_T4_T5_T6_T7_T9_mT8_P12ihipStream_tbDpT10_ENKUlT_T0_E_clISt17integral_constantIbLb1EES1F_EEDaS1A_S1B_EUlS1A_E_NS1_11comp_targetILNS1_3genE3ELNS1_11target_archE908ELNS1_3gpuE7ELNS1_3repE0EEENS1_30default_config_static_selectorELNS0_4arch9wavefront6targetE0EEEvT1_,comdat
	.protected	_ZN7rocprim17ROCPRIM_400000_NS6detail17trampoline_kernelINS0_14default_configENS1_25partition_config_selectorILNS1_17partition_subalgoE5EfNS0_10empty_typeEbEEZZNS1_14partition_implILS5_5ELb0ES3_mN6thrust23THRUST_200600_302600_NS6detail15normal_iteratorINSA_10device_ptrIfEEEEPS6_NSA_18transform_iteratorINSB_9not_fun_tI7is_trueIfEEENSC_INSD_IbEEEENSA_11use_defaultESO_EENS0_5tupleIJNSA_16discard_iteratorISO_EES6_EEENSQ_IJSG_SG_EEES6_PlJS6_EEE10hipError_tPvRmT3_T4_T5_T6_T7_T9_mT8_P12ihipStream_tbDpT10_ENKUlT_T0_E_clISt17integral_constantIbLb1EES1F_EEDaS1A_S1B_EUlS1A_E_NS1_11comp_targetILNS1_3genE3ELNS1_11target_archE908ELNS1_3gpuE7ELNS1_3repE0EEENS1_30default_config_static_selectorELNS0_4arch9wavefront6targetE0EEEvT1_ ; -- Begin function _ZN7rocprim17ROCPRIM_400000_NS6detail17trampoline_kernelINS0_14default_configENS1_25partition_config_selectorILNS1_17partition_subalgoE5EfNS0_10empty_typeEbEEZZNS1_14partition_implILS5_5ELb0ES3_mN6thrust23THRUST_200600_302600_NS6detail15normal_iteratorINSA_10device_ptrIfEEEEPS6_NSA_18transform_iteratorINSB_9not_fun_tI7is_trueIfEEENSC_INSD_IbEEEENSA_11use_defaultESO_EENS0_5tupleIJNSA_16discard_iteratorISO_EES6_EEENSQ_IJSG_SG_EEES6_PlJS6_EEE10hipError_tPvRmT3_T4_T5_T6_T7_T9_mT8_P12ihipStream_tbDpT10_ENKUlT_T0_E_clISt17integral_constantIbLb1EES1F_EEDaS1A_S1B_EUlS1A_E_NS1_11comp_targetILNS1_3genE3ELNS1_11target_archE908ELNS1_3gpuE7ELNS1_3repE0EEENS1_30default_config_static_selectorELNS0_4arch9wavefront6targetE0EEEvT1_
	.globl	_ZN7rocprim17ROCPRIM_400000_NS6detail17trampoline_kernelINS0_14default_configENS1_25partition_config_selectorILNS1_17partition_subalgoE5EfNS0_10empty_typeEbEEZZNS1_14partition_implILS5_5ELb0ES3_mN6thrust23THRUST_200600_302600_NS6detail15normal_iteratorINSA_10device_ptrIfEEEEPS6_NSA_18transform_iteratorINSB_9not_fun_tI7is_trueIfEEENSC_INSD_IbEEEENSA_11use_defaultESO_EENS0_5tupleIJNSA_16discard_iteratorISO_EES6_EEENSQ_IJSG_SG_EEES6_PlJS6_EEE10hipError_tPvRmT3_T4_T5_T6_T7_T9_mT8_P12ihipStream_tbDpT10_ENKUlT_T0_E_clISt17integral_constantIbLb1EES1F_EEDaS1A_S1B_EUlS1A_E_NS1_11comp_targetILNS1_3genE3ELNS1_11target_archE908ELNS1_3gpuE7ELNS1_3repE0EEENS1_30default_config_static_selectorELNS0_4arch9wavefront6targetE0EEEvT1_
	.p2align	8
	.type	_ZN7rocprim17ROCPRIM_400000_NS6detail17trampoline_kernelINS0_14default_configENS1_25partition_config_selectorILNS1_17partition_subalgoE5EfNS0_10empty_typeEbEEZZNS1_14partition_implILS5_5ELb0ES3_mN6thrust23THRUST_200600_302600_NS6detail15normal_iteratorINSA_10device_ptrIfEEEEPS6_NSA_18transform_iteratorINSB_9not_fun_tI7is_trueIfEEENSC_INSD_IbEEEENSA_11use_defaultESO_EENS0_5tupleIJNSA_16discard_iteratorISO_EES6_EEENSQ_IJSG_SG_EEES6_PlJS6_EEE10hipError_tPvRmT3_T4_T5_T6_T7_T9_mT8_P12ihipStream_tbDpT10_ENKUlT_T0_E_clISt17integral_constantIbLb1EES1F_EEDaS1A_S1B_EUlS1A_E_NS1_11comp_targetILNS1_3genE3ELNS1_11target_archE908ELNS1_3gpuE7ELNS1_3repE0EEENS1_30default_config_static_selectorELNS0_4arch9wavefront6targetE0EEEvT1_,@function
_ZN7rocprim17ROCPRIM_400000_NS6detail17trampoline_kernelINS0_14default_configENS1_25partition_config_selectorILNS1_17partition_subalgoE5EfNS0_10empty_typeEbEEZZNS1_14partition_implILS5_5ELb0ES3_mN6thrust23THRUST_200600_302600_NS6detail15normal_iteratorINSA_10device_ptrIfEEEEPS6_NSA_18transform_iteratorINSB_9not_fun_tI7is_trueIfEEENSC_INSD_IbEEEENSA_11use_defaultESO_EENS0_5tupleIJNSA_16discard_iteratorISO_EES6_EEENSQ_IJSG_SG_EEES6_PlJS6_EEE10hipError_tPvRmT3_T4_T5_T6_T7_T9_mT8_P12ihipStream_tbDpT10_ENKUlT_T0_E_clISt17integral_constantIbLb1EES1F_EEDaS1A_S1B_EUlS1A_E_NS1_11comp_targetILNS1_3genE3ELNS1_11target_archE908ELNS1_3gpuE7ELNS1_3repE0EEENS1_30default_config_static_selectorELNS0_4arch9wavefront6targetE0EEEvT1_: ; @_ZN7rocprim17ROCPRIM_400000_NS6detail17trampoline_kernelINS0_14default_configENS1_25partition_config_selectorILNS1_17partition_subalgoE5EfNS0_10empty_typeEbEEZZNS1_14partition_implILS5_5ELb0ES3_mN6thrust23THRUST_200600_302600_NS6detail15normal_iteratorINSA_10device_ptrIfEEEEPS6_NSA_18transform_iteratorINSB_9not_fun_tI7is_trueIfEEENSC_INSD_IbEEEENSA_11use_defaultESO_EENS0_5tupleIJNSA_16discard_iteratorISO_EES6_EEENSQ_IJSG_SG_EEES6_PlJS6_EEE10hipError_tPvRmT3_T4_T5_T6_T7_T9_mT8_P12ihipStream_tbDpT10_ENKUlT_T0_E_clISt17integral_constantIbLb1EES1F_EEDaS1A_S1B_EUlS1A_E_NS1_11comp_targetILNS1_3genE3ELNS1_11target_archE908ELNS1_3gpuE7ELNS1_3repE0EEENS1_30default_config_static_selectorELNS0_4arch9wavefront6targetE0EEEvT1_
; %bb.0:
	.section	.rodata,"a",@progbits
	.p2align	6, 0x0
	.amdhsa_kernel _ZN7rocprim17ROCPRIM_400000_NS6detail17trampoline_kernelINS0_14default_configENS1_25partition_config_selectorILNS1_17partition_subalgoE5EfNS0_10empty_typeEbEEZZNS1_14partition_implILS5_5ELb0ES3_mN6thrust23THRUST_200600_302600_NS6detail15normal_iteratorINSA_10device_ptrIfEEEEPS6_NSA_18transform_iteratorINSB_9not_fun_tI7is_trueIfEEENSC_INSD_IbEEEENSA_11use_defaultESO_EENS0_5tupleIJNSA_16discard_iteratorISO_EES6_EEENSQ_IJSG_SG_EEES6_PlJS6_EEE10hipError_tPvRmT3_T4_T5_T6_T7_T9_mT8_P12ihipStream_tbDpT10_ENKUlT_T0_E_clISt17integral_constantIbLb1EES1F_EEDaS1A_S1B_EUlS1A_E_NS1_11comp_targetILNS1_3genE3ELNS1_11target_archE908ELNS1_3gpuE7ELNS1_3repE0EEENS1_30default_config_static_selectorELNS0_4arch9wavefront6targetE0EEEvT1_
		.amdhsa_group_segment_fixed_size 0
		.amdhsa_private_segment_fixed_size 0
		.amdhsa_kernarg_size 144
		.amdhsa_user_sgpr_count 2
		.amdhsa_user_sgpr_dispatch_ptr 0
		.amdhsa_user_sgpr_queue_ptr 0
		.amdhsa_user_sgpr_kernarg_segment_ptr 1
		.amdhsa_user_sgpr_dispatch_id 0
		.amdhsa_user_sgpr_private_segment_size 0
		.amdhsa_wavefront_size32 1
		.amdhsa_uses_dynamic_stack 0
		.amdhsa_enable_private_segment 0
		.amdhsa_system_sgpr_workgroup_id_x 1
		.amdhsa_system_sgpr_workgroup_id_y 0
		.amdhsa_system_sgpr_workgroup_id_z 0
		.amdhsa_system_sgpr_workgroup_info 0
		.amdhsa_system_vgpr_workitem_id 0
		.amdhsa_next_free_vgpr 1
		.amdhsa_next_free_sgpr 1
		.amdhsa_reserve_vcc 0
		.amdhsa_float_round_mode_32 0
		.amdhsa_float_round_mode_16_64 0
		.amdhsa_float_denorm_mode_32 3
		.amdhsa_float_denorm_mode_16_64 3
		.amdhsa_fp16_overflow 0
		.amdhsa_workgroup_processor_mode 1
		.amdhsa_memory_ordered 1
		.amdhsa_forward_progress 1
		.amdhsa_inst_pref_size 0
		.amdhsa_round_robin_scheduling 0
		.amdhsa_exception_fp_ieee_invalid_op 0
		.amdhsa_exception_fp_denorm_src 0
		.amdhsa_exception_fp_ieee_div_zero 0
		.amdhsa_exception_fp_ieee_overflow 0
		.amdhsa_exception_fp_ieee_underflow 0
		.amdhsa_exception_fp_ieee_inexact 0
		.amdhsa_exception_int_div_zero 0
	.end_amdhsa_kernel
	.section	.text._ZN7rocprim17ROCPRIM_400000_NS6detail17trampoline_kernelINS0_14default_configENS1_25partition_config_selectorILNS1_17partition_subalgoE5EfNS0_10empty_typeEbEEZZNS1_14partition_implILS5_5ELb0ES3_mN6thrust23THRUST_200600_302600_NS6detail15normal_iteratorINSA_10device_ptrIfEEEEPS6_NSA_18transform_iteratorINSB_9not_fun_tI7is_trueIfEEENSC_INSD_IbEEEENSA_11use_defaultESO_EENS0_5tupleIJNSA_16discard_iteratorISO_EES6_EEENSQ_IJSG_SG_EEES6_PlJS6_EEE10hipError_tPvRmT3_T4_T5_T6_T7_T9_mT8_P12ihipStream_tbDpT10_ENKUlT_T0_E_clISt17integral_constantIbLb1EES1F_EEDaS1A_S1B_EUlS1A_E_NS1_11comp_targetILNS1_3genE3ELNS1_11target_archE908ELNS1_3gpuE7ELNS1_3repE0EEENS1_30default_config_static_selectorELNS0_4arch9wavefront6targetE0EEEvT1_,"axG",@progbits,_ZN7rocprim17ROCPRIM_400000_NS6detail17trampoline_kernelINS0_14default_configENS1_25partition_config_selectorILNS1_17partition_subalgoE5EfNS0_10empty_typeEbEEZZNS1_14partition_implILS5_5ELb0ES3_mN6thrust23THRUST_200600_302600_NS6detail15normal_iteratorINSA_10device_ptrIfEEEEPS6_NSA_18transform_iteratorINSB_9not_fun_tI7is_trueIfEEENSC_INSD_IbEEEENSA_11use_defaultESO_EENS0_5tupleIJNSA_16discard_iteratorISO_EES6_EEENSQ_IJSG_SG_EEES6_PlJS6_EEE10hipError_tPvRmT3_T4_T5_T6_T7_T9_mT8_P12ihipStream_tbDpT10_ENKUlT_T0_E_clISt17integral_constantIbLb1EES1F_EEDaS1A_S1B_EUlS1A_E_NS1_11comp_targetILNS1_3genE3ELNS1_11target_archE908ELNS1_3gpuE7ELNS1_3repE0EEENS1_30default_config_static_selectorELNS0_4arch9wavefront6targetE0EEEvT1_,comdat
.Lfunc_end2632:
	.size	_ZN7rocprim17ROCPRIM_400000_NS6detail17trampoline_kernelINS0_14default_configENS1_25partition_config_selectorILNS1_17partition_subalgoE5EfNS0_10empty_typeEbEEZZNS1_14partition_implILS5_5ELb0ES3_mN6thrust23THRUST_200600_302600_NS6detail15normal_iteratorINSA_10device_ptrIfEEEEPS6_NSA_18transform_iteratorINSB_9not_fun_tI7is_trueIfEEENSC_INSD_IbEEEENSA_11use_defaultESO_EENS0_5tupleIJNSA_16discard_iteratorISO_EES6_EEENSQ_IJSG_SG_EEES6_PlJS6_EEE10hipError_tPvRmT3_T4_T5_T6_T7_T9_mT8_P12ihipStream_tbDpT10_ENKUlT_T0_E_clISt17integral_constantIbLb1EES1F_EEDaS1A_S1B_EUlS1A_E_NS1_11comp_targetILNS1_3genE3ELNS1_11target_archE908ELNS1_3gpuE7ELNS1_3repE0EEENS1_30default_config_static_selectorELNS0_4arch9wavefront6targetE0EEEvT1_, .Lfunc_end2632-_ZN7rocprim17ROCPRIM_400000_NS6detail17trampoline_kernelINS0_14default_configENS1_25partition_config_selectorILNS1_17partition_subalgoE5EfNS0_10empty_typeEbEEZZNS1_14partition_implILS5_5ELb0ES3_mN6thrust23THRUST_200600_302600_NS6detail15normal_iteratorINSA_10device_ptrIfEEEEPS6_NSA_18transform_iteratorINSB_9not_fun_tI7is_trueIfEEENSC_INSD_IbEEEENSA_11use_defaultESO_EENS0_5tupleIJNSA_16discard_iteratorISO_EES6_EEENSQ_IJSG_SG_EEES6_PlJS6_EEE10hipError_tPvRmT3_T4_T5_T6_T7_T9_mT8_P12ihipStream_tbDpT10_ENKUlT_T0_E_clISt17integral_constantIbLb1EES1F_EEDaS1A_S1B_EUlS1A_E_NS1_11comp_targetILNS1_3genE3ELNS1_11target_archE908ELNS1_3gpuE7ELNS1_3repE0EEENS1_30default_config_static_selectorELNS0_4arch9wavefront6targetE0EEEvT1_
                                        ; -- End function
	.set _ZN7rocprim17ROCPRIM_400000_NS6detail17trampoline_kernelINS0_14default_configENS1_25partition_config_selectorILNS1_17partition_subalgoE5EfNS0_10empty_typeEbEEZZNS1_14partition_implILS5_5ELb0ES3_mN6thrust23THRUST_200600_302600_NS6detail15normal_iteratorINSA_10device_ptrIfEEEEPS6_NSA_18transform_iteratorINSB_9not_fun_tI7is_trueIfEEENSC_INSD_IbEEEENSA_11use_defaultESO_EENS0_5tupleIJNSA_16discard_iteratorISO_EES6_EEENSQ_IJSG_SG_EEES6_PlJS6_EEE10hipError_tPvRmT3_T4_T5_T6_T7_T9_mT8_P12ihipStream_tbDpT10_ENKUlT_T0_E_clISt17integral_constantIbLb1EES1F_EEDaS1A_S1B_EUlS1A_E_NS1_11comp_targetILNS1_3genE3ELNS1_11target_archE908ELNS1_3gpuE7ELNS1_3repE0EEENS1_30default_config_static_selectorELNS0_4arch9wavefront6targetE0EEEvT1_.num_vgpr, 0
	.set _ZN7rocprim17ROCPRIM_400000_NS6detail17trampoline_kernelINS0_14default_configENS1_25partition_config_selectorILNS1_17partition_subalgoE5EfNS0_10empty_typeEbEEZZNS1_14partition_implILS5_5ELb0ES3_mN6thrust23THRUST_200600_302600_NS6detail15normal_iteratorINSA_10device_ptrIfEEEEPS6_NSA_18transform_iteratorINSB_9not_fun_tI7is_trueIfEEENSC_INSD_IbEEEENSA_11use_defaultESO_EENS0_5tupleIJNSA_16discard_iteratorISO_EES6_EEENSQ_IJSG_SG_EEES6_PlJS6_EEE10hipError_tPvRmT3_T4_T5_T6_T7_T9_mT8_P12ihipStream_tbDpT10_ENKUlT_T0_E_clISt17integral_constantIbLb1EES1F_EEDaS1A_S1B_EUlS1A_E_NS1_11comp_targetILNS1_3genE3ELNS1_11target_archE908ELNS1_3gpuE7ELNS1_3repE0EEENS1_30default_config_static_selectorELNS0_4arch9wavefront6targetE0EEEvT1_.num_agpr, 0
	.set _ZN7rocprim17ROCPRIM_400000_NS6detail17trampoline_kernelINS0_14default_configENS1_25partition_config_selectorILNS1_17partition_subalgoE5EfNS0_10empty_typeEbEEZZNS1_14partition_implILS5_5ELb0ES3_mN6thrust23THRUST_200600_302600_NS6detail15normal_iteratorINSA_10device_ptrIfEEEEPS6_NSA_18transform_iteratorINSB_9not_fun_tI7is_trueIfEEENSC_INSD_IbEEEENSA_11use_defaultESO_EENS0_5tupleIJNSA_16discard_iteratorISO_EES6_EEENSQ_IJSG_SG_EEES6_PlJS6_EEE10hipError_tPvRmT3_T4_T5_T6_T7_T9_mT8_P12ihipStream_tbDpT10_ENKUlT_T0_E_clISt17integral_constantIbLb1EES1F_EEDaS1A_S1B_EUlS1A_E_NS1_11comp_targetILNS1_3genE3ELNS1_11target_archE908ELNS1_3gpuE7ELNS1_3repE0EEENS1_30default_config_static_selectorELNS0_4arch9wavefront6targetE0EEEvT1_.numbered_sgpr, 0
	.set _ZN7rocprim17ROCPRIM_400000_NS6detail17trampoline_kernelINS0_14default_configENS1_25partition_config_selectorILNS1_17partition_subalgoE5EfNS0_10empty_typeEbEEZZNS1_14partition_implILS5_5ELb0ES3_mN6thrust23THRUST_200600_302600_NS6detail15normal_iteratorINSA_10device_ptrIfEEEEPS6_NSA_18transform_iteratorINSB_9not_fun_tI7is_trueIfEEENSC_INSD_IbEEEENSA_11use_defaultESO_EENS0_5tupleIJNSA_16discard_iteratorISO_EES6_EEENSQ_IJSG_SG_EEES6_PlJS6_EEE10hipError_tPvRmT3_T4_T5_T6_T7_T9_mT8_P12ihipStream_tbDpT10_ENKUlT_T0_E_clISt17integral_constantIbLb1EES1F_EEDaS1A_S1B_EUlS1A_E_NS1_11comp_targetILNS1_3genE3ELNS1_11target_archE908ELNS1_3gpuE7ELNS1_3repE0EEENS1_30default_config_static_selectorELNS0_4arch9wavefront6targetE0EEEvT1_.num_named_barrier, 0
	.set _ZN7rocprim17ROCPRIM_400000_NS6detail17trampoline_kernelINS0_14default_configENS1_25partition_config_selectorILNS1_17partition_subalgoE5EfNS0_10empty_typeEbEEZZNS1_14partition_implILS5_5ELb0ES3_mN6thrust23THRUST_200600_302600_NS6detail15normal_iteratorINSA_10device_ptrIfEEEEPS6_NSA_18transform_iteratorINSB_9not_fun_tI7is_trueIfEEENSC_INSD_IbEEEENSA_11use_defaultESO_EENS0_5tupleIJNSA_16discard_iteratorISO_EES6_EEENSQ_IJSG_SG_EEES6_PlJS6_EEE10hipError_tPvRmT3_T4_T5_T6_T7_T9_mT8_P12ihipStream_tbDpT10_ENKUlT_T0_E_clISt17integral_constantIbLb1EES1F_EEDaS1A_S1B_EUlS1A_E_NS1_11comp_targetILNS1_3genE3ELNS1_11target_archE908ELNS1_3gpuE7ELNS1_3repE0EEENS1_30default_config_static_selectorELNS0_4arch9wavefront6targetE0EEEvT1_.private_seg_size, 0
	.set _ZN7rocprim17ROCPRIM_400000_NS6detail17trampoline_kernelINS0_14default_configENS1_25partition_config_selectorILNS1_17partition_subalgoE5EfNS0_10empty_typeEbEEZZNS1_14partition_implILS5_5ELb0ES3_mN6thrust23THRUST_200600_302600_NS6detail15normal_iteratorINSA_10device_ptrIfEEEEPS6_NSA_18transform_iteratorINSB_9not_fun_tI7is_trueIfEEENSC_INSD_IbEEEENSA_11use_defaultESO_EENS0_5tupleIJNSA_16discard_iteratorISO_EES6_EEENSQ_IJSG_SG_EEES6_PlJS6_EEE10hipError_tPvRmT3_T4_T5_T6_T7_T9_mT8_P12ihipStream_tbDpT10_ENKUlT_T0_E_clISt17integral_constantIbLb1EES1F_EEDaS1A_S1B_EUlS1A_E_NS1_11comp_targetILNS1_3genE3ELNS1_11target_archE908ELNS1_3gpuE7ELNS1_3repE0EEENS1_30default_config_static_selectorELNS0_4arch9wavefront6targetE0EEEvT1_.uses_vcc, 0
	.set _ZN7rocprim17ROCPRIM_400000_NS6detail17trampoline_kernelINS0_14default_configENS1_25partition_config_selectorILNS1_17partition_subalgoE5EfNS0_10empty_typeEbEEZZNS1_14partition_implILS5_5ELb0ES3_mN6thrust23THRUST_200600_302600_NS6detail15normal_iteratorINSA_10device_ptrIfEEEEPS6_NSA_18transform_iteratorINSB_9not_fun_tI7is_trueIfEEENSC_INSD_IbEEEENSA_11use_defaultESO_EENS0_5tupleIJNSA_16discard_iteratorISO_EES6_EEENSQ_IJSG_SG_EEES6_PlJS6_EEE10hipError_tPvRmT3_T4_T5_T6_T7_T9_mT8_P12ihipStream_tbDpT10_ENKUlT_T0_E_clISt17integral_constantIbLb1EES1F_EEDaS1A_S1B_EUlS1A_E_NS1_11comp_targetILNS1_3genE3ELNS1_11target_archE908ELNS1_3gpuE7ELNS1_3repE0EEENS1_30default_config_static_selectorELNS0_4arch9wavefront6targetE0EEEvT1_.uses_flat_scratch, 0
	.set _ZN7rocprim17ROCPRIM_400000_NS6detail17trampoline_kernelINS0_14default_configENS1_25partition_config_selectorILNS1_17partition_subalgoE5EfNS0_10empty_typeEbEEZZNS1_14partition_implILS5_5ELb0ES3_mN6thrust23THRUST_200600_302600_NS6detail15normal_iteratorINSA_10device_ptrIfEEEEPS6_NSA_18transform_iteratorINSB_9not_fun_tI7is_trueIfEEENSC_INSD_IbEEEENSA_11use_defaultESO_EENS0_5tupleIJNSA_16discard_iteratorISO_EES6_EEENSQ_IJSG_SG_EEES6_PlJS6_EEE10hipError_tPvRmT3_T4_T5_T6_T7_T9_mT8_P12ihipStream_tbDpT10_ENKUlT_T0_E_clISt17integral_constantIbLb1EES1F_EEDaS1A_S1B_EUlS1A_E_NS1_11comp_targetILNS1_3genE3ELNS1_11target_archE908ELNS1_3gpuE7ELNS1_3repE0EEENS1_30default_config_static_selectorELNS0_4arch9wavefront6targetE0EEEvT1_.has_dyn_sized_stack, 0
	.set _ZN7rocprim17ROCPRIM_400000_NS6detail17trampoline_kernelINS0_14default_configENS1_25partition_config_selectorILNS1_17partition_subalgoE5EfNS0_10empty_typeEbEEZZNS1_14partition_implILS5_5ELb0ES3_mN6thrust23THRUST_200600_302600_NS6detail15normal_iteratorINSA_10device_ptrIfEEEEPS6_NSA_18transform_iteratorINSB_9not_fun_tI7is_trueIfEEENSC_INSD_IbEEEENSA_11use_defaultESO_EENS0_5tupleIJNSA_16discard_iteratorISO_EES6_EEENSQ_IJSG_SG_EEES6_PlJS6_EEE10hipError_tPvRmT3_T4_T5_T6_T7_T9_mT8_P12ihipStream_tbDpT10_ENKUlT_T0_E_clISt17integral_constantIbLb1EES1F_EEDaS1A_S1B_EUlS1A_E_NS1_11comp_targetILNS1_3genE3ELNS1_11target_archE908ELNS1_3gpuE7ELNS1_3repE0EEENS1_30default_config_static_selectorELNS0_4arch9wavefront6targetE0EEEvT1_.has_recursion, 0
	.set _ZN7rocprim17ROCPRIM_400000_NS6detail17trampoline_kernelINS0_14default_configENS1_25partition_config_selectorILNS1_17partition_subalgoE5EfNS0_10empty_typeEbEEZZNS1_14partition_implILS5_5ELb0ES3_mN6thrust23THRUST_200600_302600_NS6detail15normal_iteratorINSA_10device_ptrIfEEEEPS6_NSA_18transform_iteratorINSB_9not_fun_tI7is_trueIfEEENSC_INSD_IbEEEENSA_11use_defaultESO_EENS0_5tupleIJNSA_16discard_iteratorISO_EES6_EEENSQ_IJSG_SG_EEES6_PlJS6_EEE10hipError_tPvRmT3_T4_T5_T6_T7_T9_mT8_P12ihipStream_tbDpT10_ENKUlT_T0_E_clISt17integral_constantIbLb1EES1F_EEDaS1A_S1B_EUlS1A_E_NS1_11comp_targetILNS1_3genE3ELNS1_11target_archE908ELNS1_3gpuE7ELNS1_3repE0EEENS1_30default_config_static_selectorELNS0_4arch9wavefront6targetE0EEEvT1_.has_indirect_call, 0
	.section	.AMDGPU.csdata,"",@progbits
; Kernel info:
; codeLenInByte = 0
; TotalNumSgprs: 0
; NumVgprs: 0
; ScratchSize: 0
; MemoryBound: 0
; FloatMode: 240
; IeeeMode: 1
; LDSByteSize: 0 bytes/workgroup (compile time only)
; SGPRBlocks: 0
; VGPRBlocks: 0
; NumSGPRsForWavesPerEU: 1
; NumVGPRsForWavesPerEU: 1
; Occupancy: 16
; WaveLimiterHint : 0
; COMPUTE_PGM_RSRC2:SCRATCH_EN: 0
; COMPUTE_PGM_RSRC2:USER_SGPR: 2
; COMPUTE_PGM_RSRC2:TRAP_HANDLER: 0
; COMPUTE_PGM_RSRC2:TGID_X_EN: 1
; COMPUTE_PGM_RSRC2:TGID_Y_EN: 0
; COMPUTE_PGM_RSRC2:TGID_Z_EN: 0
; COMPUTE_PGM_RSRC2:TIDIG_COMP_CNT: 0
	.section	.text._ZN7rocprim17ROCPRIM_400000_NS6detail17trampoline_kernelINS0_14default_configENS1_25partition_config_selectorILNS1_17partition_subalgoE5EfNS0_10empty_typeEbEEZZNS1_14partition_implILS5_5ELb0ES3_mN6thrust23THRUST_200600_302600_NS6detail15normal_iteratorINSA_10device_ptrIfEEEEPS6_NSA_18transform_iteratorINSB_9not_fun_tI7is_trueIfEEENSC_INSD_IbEEEENSA_11use_defaultESO_EENS0_5tupleIJNSA_16discard_iteratorISO_EES6_EEENSQ_IJSG_SG_EEES6_PlJS6_EEE10hipError_tPvRmT3_T4_T5_T6_T7_T9_mT8_P12ihipStream_tbDpT10_ENKUlT_T0_E_clISt17integral_constantIbLb1EES1F_EEDaS1A_S1B_EUlS1A_E_NS1_11comp_targetILNS1_3genE2ELNS1_11target_archE906ELNS1_3gpuE6ELNS1_3repE0EEENS1_30default_config_static_selectorELNS0_4arch9wavefront6targetE0EEEvT1_,"axG",@progbits,_ZN7rocprim17ROCPRIM_400000_NS6detail17trampoline_kernelINS0_14default_configENS1_25partition_config_selectorILNS1_17partition_subalgoE5EfNS0_10empty_typeEbEEZZNS1_14partition_implILS5_5ELb0ES3_mN6thrust23THRUST_200600_302600_NS6detail15normal_iteratorINSA_10device_ptrIfEEEEPS6_NSA_18transform_iteratorINSB_9not_fun_tI7is_trueIfEEENSC_INSD_IbEEEENSA_11use_defaultESO_EENS0_5tupleIJNSA_16discard_iteratorISO_EES6_EEENSQ_IJSG_SG_EEES6_PlJS6_EEE10hipError_tPvRmT3_T4_T5_T6_T7_T9_mT8_P12ihipStream_tbDpT10_ENKUlT_T0_E_clISt17integral_constantIbLb1EES1F_EEDaS1A_S1B_EUlS1A_E_NS1_11comp_targetILNS1_3genE2ELNS1_11target_archE906ELNS1_3gpuE6ELNS1_3repE0EEENS1_30default_config_static_selectorELNS0_4arch9wavefront6targetE0EEEvT1_,comdat
	.protected	_ZN7rocprim17ROCPRIM_400000_NS6detail17trampoline_kernelINS0_14default_configENS1_25partition_config_selectorILNS1_17partition_subalgoE5EfNS0_10empty_typeEbEEZZNS1_14partition_implILS5_5ELb0ES3_mN6thrust23THRUST_200600_302600_NS6detail15normal_iteratorINSA_10device_ptrIfEEEEPS6_NSA_18transform_iteratorINSB_9not_fun_tI7is_trueIfEEENSC_INSD_IbEEEENSA_11use_defaultESO_EENS0_5tupleIJNSA_16discard_iteratorISO_EES6_EEENSQ_IJSG_SG_EEES6_PlJS6_EEE10hipError_tPvRmT3_T4_T5_T6_T7_T9_mT8_P12ihipStream_tbDpT10_ENKUlT_T0_E_clISt17integral_constantIbLb1EES1F_EEDaS1A_S1B_EUlS1A_E_NS1_11comp_targetILNS1_3genE2ELNS1_11target_archE906ELNS1_3gpuE6ELNS1_3repE0EEENS1_30default_config_static_selectorELNS0_4arch9wavefront6targetE0EEEvT1_ ; -- Begin function _ZN7rocprim17ROCPRIM_400000_NS6detail17trampoline_kernelINS0_14default_configENS1_25partition_config_selectorILNS1_17partition_subalgoE5EfNS0_10empty_typeEbEEZZNS1_14partition_implILS5_5ELb0ES3_mN6thrust23THRUST_200600_302600_NS6detail15normal_iteratorINSA_10device_ptrIfEEEEPS6_NSA_18transform_iteratorINSB_9not_fun_tI7is_trueIfEEENSC_INSD_IbEEEENSA_11use_defaultESO_EENS0_5tupleIJNSA_16discard_iteratorISO_EES6_EEENSQ_IJSG_SG_EEES6_PlJS6_EEE10hipError_tPvRmT3_T4_T5_T6_T7_T9_mT8_P12ihipStream_tbDpT10_ENKUlT_T0_E_clISt17integral_constantIbLb1EES1F_EEDaS1A_S1B_EUlS1A_E_NS1_11comp_targetILNS1_3genE2ELNS1_11target_archE906ELNS1_3gpuE6ELNS1_3repE0EEENS1_30default_config_static_selectorELNS0_4arch9wavefront6targetE0EEEvT1_
	.globl	_ZN7rocprim17ROCPRIM_400000_NS6detail17trampoline_kernelINS0_14default_configENS1_25partition_config_selectorILNS1_17partition_subalgoE5EfNS0_10empty_typeEbEEZZNS1_14partition_implILS5_5ELb0ES3_mN6thrust23THRUST_200600_302600_NS6detail15normal_iteratorINSA_10device_ptrIfEEEEPS6_NSA_18transform_iteratorINSB_9not_fun_tI7is_trueIfEEENSC_INSD_IbEEEENSA_11use_defaultESO_EENS0_5tupleIJNSA_16discard_iteratorISO_EES6_EEENSQ_IJSG_SG_EEES6_PlJS6_EEE10hipError_tPvRmT3_T4_T5_T6_T7_T9_mT8_P12ihipStream_tbDpT10_ENKUlT_T0_E_clISt17integral_constantIbLb1EES1F_EEDaS1A_S1B_EUlS1A_E_NS1_11comp_targetILNS1_3genE2ELNS1_11target_archE906ELNS1_3gpuE6ELNS1_3repE0EEENS1_30default_config_static_selectorELNS0_4arch9wavefront6targetE0EEEvT1_
	.p2align	8
	.type	_ZN7rocprim17ROCPRIM_400000_NS6detail17trampoline_kernelINS0_14default_configENS1_25partition_config_selectorILNS1_17partition_subalgoE5EfNS0_10empty_typeEbEEZZNS1_14partition_implILS5_5ELb0ES3_mN6thrust23THRUST_200600_302600_NS6detail15normal_iteratorINSA_10device_ptrIfEEEEPS6_NSA_18transform_iteratorINSB_9not_fun_tI7is_trueIfEEENSC_INSD_IbEEEENSA_11use_defaultESO_EENS0_5tupleIJNSA_16discard_iteratorISO_EES6_EEENSQ_IJSG_SG_EEES6_PlJS6_EEE10hipError_tPvRmT3_T4_T5_T6_T7_T9_mT8_P12ihipStream_tbDpT10_ENKUlT_T0_E_clISt17integral_constantIbLb1EES1F_EEDaS1A_S1B_EUlS1A_E_NS1_11comp_targetILNS1_3genE2ELNS1_11target_archE906ELNS1_3gpuE6ELNS1_3repE0EEENS1_30default_config_static_selectorELNS0_4arch9wavefront6targetE0EEEvT1_,@function
_ZN7rocprim17ROCPRIM_400000_NS6detail17trampoline_kernelINS0_14default_configENS1_25partition_config_selectorILNS1_17partition_subalgoE5EfNS0_10empty_typeEbEEZZNS1_14partition_implILS5_5ELb0ES3_mN6thrust23THRUST_200600_302600_NS6detail15normal_iteratorINSA_10device_ptrIfEEEEPS6_NSA_18transform_iteratorINSB_9not_fun_tI7is_trueIfEEENSC_INSD_IbEEEENSA_11use_defaultESO_EENS0_5tupleIJNSA_16discard_iteratorISO_EES6_EEENSQ_IJSG_SG_EEES6_PlJS6_EEE10hipError_tPvRmT3_T4_T5_T6_T7_T9_mT8_P12ihipStream_tbDpT10_ENKUlT_T0_E_clISt17integral_constantIbLb1EES1F_EEDaS1A_S1B_EUlS1A_E_NS1_11comp_targetILNS1_3genE2ELNS1_11target_archE906ELNS1_3gpuE6ELNS1_3repE0EEENS1_30default_config_static_selectorELNS0_4arch9wavefront6targetE0EEEvT1_: ; @_ZN7rocprim17ROCPRIM_400000_NS6detail17trampoline_kernelINS0_14default_configENS1_25partition_config_selectorILNS1_17partition_subalgoE5EfNS0_10empty_typeEbEEZZNS1_14partition_implILS5_5ELb0ES3_mN6thrust23THRUST_200600_302600_NS6detail15normal_iteratorINSA_10device_ptrIfEEEEPS6_NSA_18transform_iteratorINSB_9not_fun_tI7is_trueIfEEENSC_INSD_IbEEEENSA_11use_defaultESO_EENS0_5tupleIJNSA_16discard_iteratorISO_EES6_EEENSQ_IJSG_SG_EEES6_PlJS6_EEE10hipError_tPvRmT3_T4_T5_T6_T7_T9_mT8_P12ihipStream_tbDpT10_ENKUlT_T0_E_clISt17integral_constantIbLb1EES1F_EEDaS1A_S1B_EUlS1A_E_NS1_11comp_targetILNS1_3genE2ELNS1_11target_archE906ELNS1_3gpuE6ELNS1_3repE0EEENS1_30default_config_static_selectorELNS0_4arch9wavefront6targetE0EEEvT1_
; %bb.0:
	.section	.rodata,"a",@progbits
	.p2align	6, 0x0
	.amdhsa_kernel _ZN7rocprim17ROCPRIM_400000_NS6detail17trampoline_kernelINS0_14default_configENS1_25partition_config_selectorILNS1_17partition_subalgoE5EfNS0_10empty_typeEbEEZZNS1_14partition_implILS5_5ELb0ES3_mN6thrust23THRUST_200600_302600_NS6detail15normal_iteratorINSA_10device_ptrIfEEEEPS6_NSA_18transform_iteratorINSB_9not_fun_tI7is_trueIfEEENSC_INSD_IbEEEENSA_11use_defaultESO_EENS0_5tupleIJNSA_16discard_iteratorISO_EES6_EEENSQ_IJSG_SG_EEES6_PlJS6_EEE10hipError_tPvRmT3_T4_T5_T6_T7_T9_mT8_P12ihipStream_tbDpT10_ENKUlT_T0_E_clISt17integral_constantIbLb1EES1F_EEDaS1A_S1B_EUlS1A_E_NS1_11comp_targetILNS1_3genE2ELNS1_11target_archE906ELNS1_3gpuE6ELNS1_3repE0EEENS1_30default_config_static_selectorELNS0_4arch9wavefront6targetE0EEEvT1_
		.amdhsa_group_segment_fixed_size 0
		.amdhsa_private_segment_fixed_size 0
		.amdhsa_kernarg_size 144
		.amdhsa_user_sgpr_count 2
		.amdhsa_user_sgpr_dispatch_ptr 0
		.amdhsa_user_sgpr_queue_ptr 0
		.amdhsa_user_sgpr_kernarg_segment_ptr 1
		.amdhsa_user_sgpr_dispatch_id 0
		.amdhsa_user_sgpr_private_segment_size 0
		.amdhsa_wavefront_size32 1
		.amdhsa_uses_dynamic_stack 0
		.amdhsa_enable_private_segment 0
		.amdhsa_system_sgpr_workgroup_id_x 1
		.amdhsa_system_sgpr_workgroup_id_y 0
		.amdhsa_system_sgpr_workgroup_id_z 0
		.amdhsa_system_sgpr_workgroup_info 0
		.amdhsa_system_vgpr_workitem_id 0
		.amdhsa_next_free_vgpr 1
		.amdhsa_next_free_sgpr 1
		.amdhsa_reserve_vcc 0
		.amdhsa_float_round_mode_32 0
		.amdhsa_float_round_mode_16_64 0
		.amdhsa_float_denorm_mode_32 3
		.amdhsa_float_denorm_mode_16_64 3
		.amdhsa_fp16_overflow 0
		.amdhsa_workgroup_processor_mode 1
		.amdhsa_memory_ordered 1
		.amdhsa_forward_progress 1
		.amdhsa_inst_pref_size 0
		.amdhsa_round_robin_scheduling 0
		.amdhsa_exception_fp_ieee_invalid_op 0
		.amdhsa_exception_fp_denorm_src 0
		.amdhsa_exception_fp_ieee_div_zero 0
		.amdhsa_exception_fp_ieee_overflow 0
		.amdhsa_exception_fp_ieee_underflow 0
		.amdhsa_exception_fp_ieee_inexact 0
		.amdhsa_exception_int_div_zero 0
	.end_amdhsa_kernel
	.section	.text._ZN7rocprim17ROCPRIM_400000_NS6detail17trampoline_kernelINS0_14default_configENS1_25partition_config_selectorILNS1_17partition_subalgoE5EfNS0_10empty_typeEbEEZZNS1_14partition_implILS5_5ELb0ES3_mN6thrust23THRUST_200600_302600_NS6detail15normal_iteratorINSA_10device_ptrIfEEEEPS6_NSA_18transform_iteratorINSB_9not_fun_tI7is_trueIfEEENSC_INSD_IbEEEENSA_11use_defaultESO_EENS0_5tupleIJNSA_16discard_iteratorISO_EES6_EEENSQ_IJSG_SG_EEES6_PlJS6_EEE10hipError_tPvRmT3_T4_T5_T6_T7_T9_mT8_P12ihipStream_tbDpT10_ENKUlT_T0_E_clISt17integral_constantIbLb1EES1F_EEDaS1A_S1B_EUlS1A_E_NS1_11comp_targetILNS1_3genE2ELNS1_11target_archE906ELNS1_3gpuE6ELNS1_3repE0EEENS1_30default_config_static_selectorELNS0_4arch9wavefront6targetE0EEEvT1_,"axG",@progbits,_ZN7rocprim17ROCPRIM_400000_NS6detail17trampoline_kernelINS0_14default_configENS1_25partition_config_selectorILNS1_17partition_subalgoE5EfNS0_10empty_typeEbEEZZNS1_14partition_implILS5_5ELb0ES3_mN6thrust23THRUST_200600_302600_NS6detail15normal_iteratorINSA_10device_ptrIfEEEEPS6_NSA_18transform_iteratorINSB_9not_fun_tI7is_trueIfEEENSC_INSD_IbEEEENSA_11use_defaultESO_EENS0_5tupleIJNSA_16discard_iteratorISO_EES6_EEENSQ_IJSG_SG_EEES6_PlJS6_EEE10hipError_tPvRmT3_T4_T5_T6_T7_T9_mT8_P12ihipStream_tbDpT10_ENKUlT_T0_E_clISt17integral_constantIbLb1EES1F_EEDaS1A_S1B_EUlS1A_E_NS1_11comp_targetILNS1_3genE2ELNS1_11target_archE906ELNS1_3gpuE6ELNS1_3repE0EEENS1_30default_config_static_selectorELNS0_4arch9wavefront6targetE0EEEvT1_,comdat
.Lfunc_end2633:
	.size	_ZN7rocprim17ROCPRIM_400000_NS6detail17trampoline_kernelINS0_14default_configENS1_25partition_config_selectorILNS1_17partition_subalgoE5EfNS0_10empty_typeEbEEZZNS1_14partition_implILS5_5ELb0ES3_mN6thrust23THRUST_200600_302600_NS6detail15normal_iteratorINSA_10device_ptrIfEEEEPS6_NSA_18transform_iteratorINSB_9not_fun_tI7is_trueIfEEENSC_INSD_IbEEEENSA_11use_defaultESO_EENS0_5tupleIJNSA_16discard_iteratorISO_EES6_EEENSQ_IJSG_SG_EEES6_PlJS6_EEE10hipError_tPvRmT3_T4_T5_T6_T7_T9_mT8_P12ihipStream_tbDpT10_ENKUlT_T0_E_clISt17integral_constantIbLb1EES1F_EEDaS1A_S1B_EUlS1A_E_NS1_11comp_targetILNS1_3genE2ELNS1_11target_archE906ELNS1_3gpuE6ELNS1_3repE0EEENS1_30default_config_static_selectorELNS0_4arch9wavefront6targetE0EEEvT1_, .Lfunc_end2633-_ZN7rocprim17ROCPRIM_400000_NS6detail17trampoline_kernelINS0_14default_configENS1_25partition_config_selectorILNS1_17partition_subalgoE5EfNS0_10empty_typeEbEEZZNS1_14partition_implILS5_5ELb0ES3_mN6thrust23THRUST_200600_302600_NS6detail15normal_iteratorINSA_10device_ptrIfEEEEPS6_NSA_18transform_iteratorINSB_9not_fun_tI7is_trueIfEEENSC_INSD_IbEEEENSA_11use_defaultESO_EENS0_5tupleIJNSA_16discard_iteratorISO_EES6_EEENSQ_IJSG_SG_EEES6_PlJS6_EEE10hipError_tPvRmT3_T4_T5_T6_T7_T9_mT8_P12ihipStream_tbDpT10_ENKUlT_T0_E_clISt17integral_constantIbLb1EES1F_EEDaS1A_S1B_EUlS1A_E_NS1_11comp_targetILNS1_3genE2ELNS1_11target_archE906ELNS1_3gpuE6ELNS1_3repE0EEENS1_30default_config_static_selectorELNS0_4arch9wavefront6targetE0EEEvT1_
                                        ; -- End function
	.set _ZN7rocprim17ROCPRIM_400000_NS6detail17trampoline_kernelINS0_14default_configENS1_25partition_config_selectorILNS1_17partition_subalgoE5EfNS0_10empty_typeEbEEZZNS1_14partition_implILS5_5ELb0ES3_mN6thrust23THRUST_200600_302600_NS6detail15normal_iteratorINSA_10device_ptrIfEEEEPS6_NSA_18transform_iteratorINSB_9not_fun_tI7is_trueIfEEENSC_INSD_IbEEEENSA_11use_defaultESO_EENS0_5tupleIJNSA_16discard_iteratorISO_EES6_EEENSQ_IJSG_SG_EEES6_PlJS6_EEE10hipError_tPvRmT3_T4_T5_T6_T7_T9_mT8_P12ihipStream_tbDpT10_ENKUlT_T0_E_clISt17integral_constantIbLb1EES1F_EEDaS1A_S1B_EUlS1A_E_NS1_11comp_targetILNS1_3genE2ELNS1_11target_archE906ELNS1_3gpuE6ELNS1_3repE0EEENS1_30default_config_static_selectorELNS0_4arch9wavefront6targetE0EEEvT1_.num_vgpr, 0
	.set _ZN7rocprim17ROCPRIM_400000_NS6detail17trampoline_kernelINS0_14default_configENS1_25partition_config_selectorILNS1_17partition_subalgoE5EfNS0_10empty_typeEbEEZZNS1_14partition_implILS5_5ELb0ES3_mN6thrust23THRUST_200600_302600_NS6detail15normal_iteratorINSA_10device_ptrIfEEEEPS6_NSA_18transform_iteratorINSB_9not_fun_tI7is_trueIfEEENSC_INSD_IbEEEENSA_11use_defaultESO_EENS0_5tupleIJNSA_16discard_iteratorISO_EES6_EEENSQ_IJSG_SG_EEES6_PlJS6_EEE10hipError_tPvRmT3_T4_T5_T6_T7_T9_mT8_P12ihipStream_tbDpT10_ENKUlT_T0_E_clISt17integral_constantIbLb1EES1F_EEDaS1A_S1B_EUlS1A_E_NS1_11comp_targetILNS1_3genE2ELNS1_11target_archE906ELNS1_3gpuE6ELNS1_3repE0EEENS1_30default_config_static_selectorELNS0_4arch9wavefront6targetE0EEEvT1_.num_agpr, 0
	.set _ZN7rocprim17ROCPRIM_400000_NS6detail17trampoline_kernelINS0_14default_configENS1_25partition_config_selectorILNS1_17partition_subalgoE5EfNS0_10empty_typeEbEEZZNS1_14partition_implILS5_5ELb0ES3_mN6thrust23THRUST_200600_302600_NS6detail15normal_iteratorINSA_10device_ptrIfEEEEPS6_NSA_18transform_iteratorINSB_9not_fun_tI7is_trueIfEEENSC_INSD_IbEEEENSA_11use_defaultESO_EENS0_5tupleIJNSA_16discard_iteratorISO_EES6_EEENSQ_IJSG_SG_EEES6_PlJS6_EEE10hipError_tPvRmT3_T4_T5_T6_T7_T9_mT8_P12ihipStream_tbDpT10_ENKUlT_T0_E_clISt17integral_constantIbLb1EES1F_EEDaS1A_S1B_EUlS1A_E_NS1_11comp_targetILNS1_3genE2ELNS1_11target_archE906ELNS1_3gpuE6ELNS1_3repE0EEENS1_30default_config_static_selectorELNS0_4arch9wavefront6targetE0EEEvT1_.numbered_sgpr, 0
	.set _ZN7rocprim17ROCPRIM_400000_NS6detail17trampoline_kernelINS0_14default_configENS1_25partition_config_selectorILNS1_17partition_subalgoE5EfNS0_10empty_typeEbEEZZNS1_14partition_implILS5_5ELb0ES3_mN6thrust23THRUST_200600_302600_NS6detail15normal_iteratorINSA_10device_ptrIfEEEEPS6_NSA_18transform_iteratorINSB_9not_fun_tI7is_trueIfEEENSC_INSD_IbEEEENSA_11use_defaultESO_EENS0_5tupleIJNSA_16discard_iteratorISO_EES6_EEENSQ_IJSG_SG_EEES6_PlJS6_EEE10hipError_tPvRmT3_T4_T5_T6_T7_T9_mT8_P12ihipStream_tbDpT10_ENKUlT_T0_E_clISt17integral_constantIbLb1EES1F_EEDaS1A_S1B_EUlS1A_E_NS1_11comp_targetILNS1_3genE2ELNS1_11target_archE906ELNS1_3gpuE6ELNS1_3repE0EEENS1_30default_config_static_selectorELNS0_4arch9wavefront6targetE0EEEvT1_.num_named_barrier, 0
	.set _ZN7rocprim17ROCPRIM_400000_NS6detail17trampoline_kernelINS0_14default_configENS1_25partition_config_selectorILNS1_17partition_subalgoE5EfNS0_10empty_typeEbEEZZNS1_14partition_implILS5_5ELb0ES3_mN6thrust23THRUST_200600_302600_NS6detail15normal_iteratorINSA_10device_ptrIfEEEEPS6_NSA_18transform_iteratorINSB_9not_fun_tI7is_trueIfEEENSC_INSD_IbEEEENSA_11use_defaultESO_EENS0_5tupleIJNSA_16discard_iteratorISO_EES6_EEENSQ_IJSG_SG_EEES6_PlJS6_EEE10hipError_tPvRmT3_T4_T5_T6_T7_T9_mT8_P12ihipStream_tbDpT10_ENKUlT_T0_E_clISt17integral_constantIbLb1EES1F_EEDaS1A_S1B_EUlS1A_E_NS1_11comp_targetILNS1_3genE2ELNS1_11target_archE906ELNS1_3gpuE6ELNS1_3repE0EEENS1_30default_config_static_selectorELNS0_4arch9wavefront6targetE0EEEvT1_.private_seg_size, 0
	.set _ZN7rocprim17ROCPRIM_400000_NS6detail17trampoline_kernelINS0_14default_configENS1_25partition_config_selectorILNS1_17partition_subalgoE5EfNS0_10empty_typeEbEEZZNS1_14partition_implILS5_5ELb0ES3_mN6thrust23THRUST_200600_302600_NS6detail15normal_iteratorINSA_10device_ptrIfEEEEPS6_NSA_18transform_iteratorINSB_9not_fun_tI7is_trueIfEEENSC_INSD_IbEEEENSA_11use_defaultESO_EENS0_5tupleIJNSA_16discard_iteratorISO_EES6_EEENSQ_IJSG_SG_EEES6_PlJS6_EEE10hipError_tPvRmT3_T4_T5_T6_T7_T9_mT8_P12ihipStream_tbDpT10_ENKUlT_T0_E_clISt17integral_constantIbLb1EES1F_EEDaS1A_S1B_EUlS1A_E_NS1_11comp_targetILNS1_3genE2ELNS1_11target_archE906ELNS1_3gpuE6ELNS1_3repE0EEENS1_30default_config_static_selectorELNS0_4arch9wavefront6targetE0EEEvT1_.uses_vcc, 0
	.set _ZN7rocprim17ROCPRIM_400000_NS6detail17trampoline_kernelINS0_14default_configENS1_25partition_config_selectorILNS1_17partition_subalgoE5EfNS0_10empty_typeEbEEZZNS1_14partition_implILS5_5ELb0ES3_mN6thrust23THRUST_200600_302600_NS6detail15normal_iteratorINSA_10device_ptrIfEEEEPS6_NSA_18transform_iteratorINSB_9not_fun_tI7is_trueIfEEENSC_INSD_IbEEEENSA_11use_defaultESO_EENS0_5tupleIJNSA_16discard_iteratorISO_EES6_EEENSQ_IJSG_SG_EEES6_PlJS6_EEE10hipError_tPvRmT3_T4_T5_T6_T7_T9_mT8_P12ihipStream_tbDpT10_ENKUlT_T0_E_clISt17integral_constantIbLb1EES1F_EEDaS1A_S1B_EUlS1A_E_NS1_11comp_targetILNS1_3genE2ELNS1_11target_archE906ELNS1_3gpuE6ELNS1_3repE0EEENS1_30default_config_static_selectorELNS0_4arch9wavefront6targetE0EEEvT1_.uses_flat_scratch, 0
	.set _ZN7rocprim17ROCPRIM_400000_NS6detail17trampoline_kernelINS0_14default_configENS1_25partition_config_selectorILNS1_17partition_subalgoE5EfNS0_10empty_typeEbEEZZNS1_14partition_implILS5_5ELb0ES3_mN6thrust23THRUST_200600_302600_NS6detail15normal_iteratorINSA_10device_ptrIfEEEEPS6_NSA_18transform_iteratorINSB_9not_fun_tI7is_trueIfEEENSC_INSD_IbEEEENSA_11use_defaultESO_EENS0_5tupleIJNSA_16discard_iteratorISO_EES6_EEENSQ_IJSG_SG_EEES6_PlJS6_EEE10hipError_tPvRmT3_T4_T5_T6_T7_T9_mT8_P12ihipStream_tbDpT10_ENKUlT_T0_E_clISt17integral_constantIbLb1EES1F_EEDaS1A_S1B_EUlS1A_E_NS1_11comp_targetILNS1_3genE2ELNS1_11target_archE906ELNS1_3gpuE6ELNS1_3repE0EEENS1_30default_config_static_selectorELNS0_4arch9wavefront6targetE0EEEvT1_.has_dyn_sized_stack, 0
	.set _ZN7rocprim17ROCPRIM_400000_NS6detail17trampoline_kernelINS0_14default_configENS1_25partition_config_selectorILNS1_17partition_subalgoE5EfNS0_10empty_typeEbEEZZNS1_14partition_implILS5_5ELb0ES3_mN6thrust23THRUST_200600_302600_NS6detail15normal_iteratorINSA_10device_ptrIfEEEEPS6_NSA_18transform_iteratorINSB_9not_fun_tI7is_trueIfEEENSC_INSD_IbEEEENSA_11use_defaultESO_EENS0_5tupleIJNSA_16discard_iteratorISO_EES6_EEENSQ_IJSG_SG_EEES6_PlJS6_EEE10hipError_tPvRmT3_T4_T5_T6_T7_T9_mT8_P12ihipStream_tbDpT10_ENKUlT_T0_E_clISt17integral_constantIbLb1EES1F_EEDaS1A_S1B_EUlS1A_E_NS1_11comp_targetILNS1_3genE2ELNS1_11target_archE906ELNS1_3gpuE6ELNS1_3repE0EEENS1_30default_config_static_selectorELNS0_4arch9wavefront6targetE0EEEvT1_.has_recursion, 0
	.set _ZN7rocprim17ROCPRIM_400000_NS6detail17trampoline_kernelINS0_14default_configENS1_25partition_config_selectorILNS1_17partition_subalgoE5EfNS0_10empty_typeEbEEZZNS1_14partition_implILS5_5ELb0ES3_mN6thrust23THRUST_200600_302600_NS6detail15normal_iteratorINSA_10device_ptrIfEEEEPS6_NSA_18transform_iteratorINSB_9not_fun_tI7is_trueIfEEENSC_INSD_IbEEEENSA_11use_defaultESO_EENS0_5tupleIJNSA_16discard_iteratorISO_EES6_EEENSQ_IJSG_SG_EEES6_PlJS6_EEE10hipError_tPvRmT3_T4_T5_T6_T7_T9_mT8_P12ihipStream_tbDpT10_ENKUlT_T0_E_clISt17integral_constantIbLb1EES1F_EEDaS1A_S1B_EUlS1A_E_NS1_11comp_targetILNS1_3genE2ELNS1_11target_archE906ELNS1_3gpuE6ELNS1_3repE0EEENS1_30default_config_static_selectorELNS0_4arch9wavefront6targetE0EEEvT1_.has_indirect_call, 0
	.section	.AMDGPU.csdata,"",@progbits
; Kernel info:
; codeLenInByte = 0
; TotalNumSgprs: 0
; NumVgprs: 0
; ScratchSize: 0
; MemoryBound: 0
; FloatMode: 240
; IeeeMode: 1
; LDSByteSize: 0 bytes/workgroup (compile time only)
; SGPRBlocks: 0
; VGPRBlocks: 0
; NumSGPRsForWavesPerEU: 1
; NumVGPRsForWavesPerEU: 1
; Occupancy: 16
; WaveLimiterHint : 0
; COMPUTE_PGM_RSRC2:SCRATCH_EN: 0
; COMPUTE_PGM_RSRC2:USER_SGPR: 2
; COMPUTE_PGM_RSRC2:TRAP_HANDLER: 0
; COMPUTE_PGM_RSRC2:TGID_X_EN: 1
; COMPUTE_PGM_RSRC2:TGID_Y_EN: 0
; COMPUTE_PGM_RSRC2:TGID_Z_EN: 0
; COMPUTE_PGM_RSRC2:TIDIG_COMP_CNT: 0
	.section	.text._ZN7rocprim17ROCPRIM_400000_NS6detail17trampoline_kernelINS0_14default_configENS1_25partition_config_selectorILNS1_17partition_subalgoE5EfNS0_10empty_typeEbEEZZNS1_14partition_implILS5_5ELb0ES3_mN6thrust23THRUST_200600_302600_NS6detail15normal_iteratorINSA_10device_ptrIfEEEEPS6_NSA_18transform_iteratorINSB_9not_fun_tI7is_trueIfEEENSC_INSD_IbEEEENSA_11use_defaultESO_EENS0_5tupleIJNSA_16discard_iteratorISO_EES6_EEENSQ_IJSG_SG_EEES6_PlJS6_EEE10hipError_tPvRmT3_T4_T5_T6_T7_T9_mT8_P12ihipStream_tbDpT10_ENKUlT_T0_E_clISt17integral_constantIbLb1EES1F_EEDaS1A_S1B_EUlS1A_E_NS1_11comp_targetILNS1_3genE10ELNS1_11target_archE1200ELNS1_3gpuE4ELNS1_3repE0EEENS1_30default_config_static_selectorELNS0_4arch9wavefront6targetE0EEEvT1_,"axG",@progbits,_ZN7rocprim17ROCPRIM_400000_NS6detail17trampoline_kernelINS0_14default_configENS1_25partition_config_selectorILNS1_17partition_subalgoE5EfNS0_10empty_typeEbEEZZNS1_14partition_implILS5_5ELb0ES3_mN6thrust23THRUST_200600_302600_NS6detail15normal_iteratorINSA_10device_ptrIfEEEEPS6_NSA_18transform_iteratorINSB_9not_fun_tI7is_trueIfEEENSC_INSD_IbEEEENSA_11use_defaultESO_EENS0_5tupleIJNSA_16discard_iteratorISO_EES6_EEENSQ_IJSG_SG_EEES6_PlJS6_EEE10hipError_tPvRmT3_T4_T5_T6_T7_T9_mT8_P12ihipStream_tbDpT10_ENKUlT_T0_E_clISt17integral_constantIbLb1EES1F_EEDaS1A_S1B_EUlS1A_E_NS1_11comp_targetILNS1_3genE10ELNS1_11target_archE1200ELNS1_3gpuE4ELNS1_3repE0EEENS1_30default_config_static_selectorELNS0_4arch9wavefront6targetE0EEEvT1_,comdat
	.protected	_ZN7rocprim17ROCPRIM_400000_NS6detail17trampoline_kernelINS0_14default_configENS1_25partition_config_selectorILNS1_17partition_subalgoE5EfNS0_10empty_typeEbEEZZNS1_14partition_implILS5_5ELb0ES3_mN6thrust23THRUST_200600_302600_NS6detail15normal_iteratorINSA_10device_ptrIfEEEEPS6_NSA_18transform_iteratorINSB_9not_fun_tI7is_trueIfEEENSC_INSD_IbEEEENSA_11use_defaultESO_EENS0_5tupleIJNSA_16discard_iteratorISO_EES6_EEENSQ_IJSG_SG_EEES6_PlJS6_EEE10hipError_tPvRmT3_T4_T5_T6_T7_T9_mT8_P12ihipStream_tbDpT10_ENKUlT_T0_E_clISt17integral_constantIbLb1EES1F_EEDaS1A_S1B_EUlS1A_E_NS1_11comp_targetILNS1_3genE10ELNS1_11target_archE1200ELNS1_3gpuE4ELNS1_3repE0EEENS1_30default_config_static_selectorELNS0_4arch9wavefront6targetE0EEEvT1_ ; -- Begin function _ZN7rocprim17ROCPRIM_400000_NS6detail17trampoline_kernelINS0_14default_configENS1_25partition_config_selectorILNS1_17partition_subalgoE5EfNS0_10empty_typeEbEEZZNS1_14partition_implILS5_5ELb0ES3_mN6thrust23THRUST_200600_302600_NS6detail15normal_iteratorINSA_10device_ptrIfEEEEPS6_NSA_18transform_iteratorINSB_9not_fun_tI7is_trueIfEEENSC_INSD_IbEEEENSA_11use_defaultESO_EENS0_5tupleIJNSA_16discard_iteratorISO_EES6_EEENSQ_IJSG_SG_EEES6_PlJS6_EEE10hipError_tPvRmT3_T4_T5_T6_T7_T9_mT8_P12ihipStream_tbDpT10_ENKUlT_T0_E_clISt17integral_constantIbLb1EES1F_EEDaS1A_S1B_EUlS1A_E_NS1_11comp_targetILNS1_3genE10ELNS1_11target_archE1200ELNS1_3gpuE4ELNS1_3repE0EEENS1_30default_config_static_selectorELNS0_4arch9wavefront6targetE0EEEvT1_
	.globl	_ZN7rocprim17ROCPRIM_400000_NS6detail17trampoline_kernelINS0_14default_configENS1_25partition_config_selectorILNS1_17partition_subalgoE5EfNS0_10empty_typeEbEEZZNS1_14partition_implILS5_5ELb0ES3_mN6thrust23THRUST_200600_302600_NS6detail15normal_iteratorINSA_10device_ptrIfEEEEPS6_NSA_18transform_iteratorINSB_9not_fun_tI7is_trueIfEEENSC_INSD_IbEEEENSA_11use_defaultESO_EENS0_5tupleIJNSA_16discard_iteratorISO_EES6_EEENSQ_IJSG_SG_EEES6_PlJS6_EEE10hipError_tPvRmT3_T4_T5_T6_T7_T9_mT8_P12ihipStream_tbDpT10_ENKUlT_T0_E_clISt17integral_constantIbLb1EES1F_EEDaS1A_S1B_EUlS1A_E_NS1_11comp_targetILNS1_3genE10ELNS1_11target_archE1200ELNS1_3gpuE4ELNS1_3repE0EEENS1_30default_config_static_selectorELNS0_4arch9wavefront6targetE0EEEvT1_
	.p2align	8
	.type	_ZN7rocprim17ROCPRIM_400000_NS6detail17trampoline_kernelINS0_14default_configENS1_25partition_config_selectorILNS1_17partition_subalgoE5EfNS0_10empty_typeEbEEZZNS1_14partition_implILS5_5ELb0ES3_mN6thrust23THRUST_200600_302600_NS6detail15normal_iteratorINSA_10device_ptrIfEEEEPS6_NSA_18transform_iteratorINSB_9not_fun_tI7is_trueIfEEENSC_INSD_IbEEEENSA_11use_defaultESO_EENS0_5tupleIJNSA_16discard_iteratorISO_EES6_EEENSQ_IJSG_SG_EEES6_PlJS6_EEE10hipError_tPvRmT3_T4_T5_T6_T7_T9_mT8_P12ihipStream_tbDpT10_ENKUlT_T0_E_clISt17integral_constantIbLb1EES1F_EEDaS1A_S1B_EUlS1A_E_NS1_11comp_targetILNS1_3genE10ELNS1_11target_archE1200ELNS1_3gpuE4ELNS1_3repE0EEENS1_30default_config_static_selectorELNS0_4arch9wavefront6targetE0EEEvT1_,@function
_ZN7rocprim17ROCPRIM_400000_NS6detail17trampoline_kernelINS0_14default_configENS1_25partition_config_selectorILNS1_17partition_subalgoE5EfNS0_10empty_typeEbEEZZNS1_14partition_implILS5_5ELb0ES3_mN6thrust23THRUST_200600_302600_NS6detail15normal_iteratorINSA_10device_ptrIfEEEEPS6_NSA_18transform_iteratorINSB_9not_fun_tI7is_trueIfEEENSC_INSD_IbEEEENSA_11use_defaultESO_EENS0_5tupleIJNSA_16discard_iteratorISO_EES6_EEENSQ_IJSG_SG_EEES6_PlJS6_EEE10hipError_tPvRmT3_T4_T5_T6_T7_T9_mT8_P12ihipStream_tbDpT10_ENKUlT_T0_E_clISt17integral_constantIbLb1EES1F_EEDaS1A_S1B_EUlS1A_E_NS1_11comp_targetILNS1_3genE10ELNS1_11target_archE1200ELNS1_3gpuE4ELNS1_3repE0EEENS1_30default_config_static_selectorELNS0_4arch9wavefront6targetE0EEEvT1_: ; @_ZN7rocprim17ROCPRIM_400000_NS6detail17trampoline_kernelINS0_14default_configENS1_25partition_config_selectorILNS1_17partition_subalgoE5EfNS0_10empty_typeEbEEZZNS1_14partition_implILS5_5ELb0ES3_mN6thrust23THRUST_200600_302600_NS6detail15normal_iteratorINSA_10device_ptrIfEEEEPS6_NSA_18transform_iteratorINSB_9not_fun_tI7is_trueIfEEENSC_INSD_IbEEEENSA_11use_defaultESO_EENS0_5tupleIJNSA_16discard_iteratorISO_EES6_EEENSQ_IJSG_SG_EEES6_PlJS6_EEE10hipError_tPvRmT3_T4_T5_T6_T7_T9_mT8_P12ihipStream_tbDpT10_ENKUlT_T0_E_clISt17integral_constantIbLb1EES1F_EEDaS1A_S1B_EUlS1A_E_NS1_11comp_targetILNS1_3genE10ELNS1_11target_archE1200ELNS1_3gpuE4ELNS1_3repE0EEENS1_30default_config_static_selectorELNS0_4arch9wavefront6targetE0EEEvT1_
; %bb.0:
	s_endpgm
	.section	.rodata,"a",@progbits
	.p2align	6, 0x0
	.amdhsa_kernel _ZN7rocprim17ROCPRIM_400000_NS6detail17trampoline_kernelINS0_14default_configENS1_25partition_config_selectorILNS1_17partition_subalgoE5EfNS0_10empty_typeEbEEZZNS1_14partition_implILS5_5ELb0ES3_mN6thrust23THRUST_200600_302600_NS6detail15normal_iteratorINSA_10device_ptrIfEEEEPS6_NSA_18transform_iteratorINSB_9not_fun_tI7is_trueIfEEENSC_INSD_IbEEEENSA_11use_defaultESO_EENS0_5tupleIJNSA_16discard_iteratorISO_EES6_EEENSQ_IJSG_SG_EEES6_PlJS6_EEE10hipError_tPvRmT3_T4_T5_T6_T7_T9_mT8_P12ihipStream_tbDpT10_ENKUlT_T0_E_clISt17integral_constantIbLb1EES1F_EEDaS1A_S1B_EUlS1A_E_NS1_11comp_targetILNS1_3genE10ELNS1_11target_archE1200ELNS1_3gpuE4ELNS1_3repE0EEENS1_30default_config_static_selectorELNS0_4arch9wavefront6targetE0EEEvT1_
		.amdhsa_group_segment_fixed_size 0
		.amdhsa_private_segment_fixed_size 0
		.amdhsa_kernarg_size 144
		.amdhsa_user_sgpr_count 2
		.amdhsa_user_sgpr_dispatch_ptr 0
		.amdhsa_user_sgpr_queue_ptr 0
		.amdhsa_user_sgpr_kernarg_segment_ptr 1
		.amdhsa_user_sgpr_dispatch_id 0
		.amdhsa_user_sgpr_private_segment_size 0
		.amdhsa_wavefront_size32 1
		.amdhsa_uses_dynamic_stack 0
		.amdhsa_enable_private_segment 0
		.amdhsa_system_sgpr_workgroup_id_x 1
		.amdhsa_system_sgpr_workgroup_id_y 0
		.amdhsa_system_sgpr_workgroup_id_z 0
		.amdhsa_system_sgpr_workgroup_info 0
		.amdhsa_system_vgpr_workitem_id 0
		.amdhsa_next_free_vgpr 1
		.amdhsa_next_free_sgpr 1
		.amdhsa_reserve_vcc 0
		.amdhsa_float_round_mode_32 0
		.amdhsa_float_round_mode_16_64 0
		.amdhsa_float_denorm_mode_32 3
		.amdhsa_float_denorm_mode_16_64 3
		.amdhsa_fp16_overflow 0
		.amdhsa_workgroup_processor_mode 1
		.amdhsa_memory_ordered 1
		.amdhsa_forward_progress 1
		.amdhsa_inst_pref_size 1
		.amdhsa_round_robin_scheduling 0
		.amdhsa_exception_fp_ieee_invalid_op 0
		.amdhsa_exception_fp_denorm_src 0
		.amdhsa_exception_fp_ieee_div_zero 0
		.amdhsa_exception_fp_ieee_overflow 0
		.amdhsa_exception_fp_ieee_underflow 0
		.amdhsa_exception_fp_ieee_inexact 0
		.amdhsa_exception_int_div_zero 0
	.end_amdhsa_kernel
	.section	.text._ZN7rocprim17ROCPRIM_400000_NS6detail17trampoline_kernelINS0_14default_configENS1_25partition_config_selectorILNS1_17partition_subalgoE5EfNS0_10empty_typeEbEEZZNS1_14partition_implILS5_5ELb0ES3_mN6thrust23THRUST_200600_302600_NS6detail15normal_iteratorINSA_10device_ptrIfEEEEPS6_NSA_18transform_iteratorINSB_9not_fun_tI7is_trueIfEEENSC_INSD_IbEEEENSA_11use_defaultESO_EENS0_5tupleIJNSA_16discard_iteratorISO_EES6_EEENSQ_IJSG_SG_EEES6_PlJS6_EEE10hipError_tPvRmT3_T4_T5_T6_T7_T9_mT8_P12ihipStream_tbDpT10_ENKUlT_T0_E_clISt17integral_constantIbLb1EES1F_EEDaS1A_S1B_EUlS1A_E_NS1_11comp_targetILNS1_3genE10ELNS1_11target_archE1200ELNS1_3gpuE4ELNS1_3repE0EEENS1_30default_config_static_selectorELNS0_4arch9wavefront6targetE0EEEvT1_,"axG",@progbits,_ZN7rocprim17ROCPRIM_400000_NS6detail17trampoline_kernelINS0_14default_configENS1_25partition_config_selectorILNS1_17partition_subalgoE5EfNS0_10empty_typeEbEEZZNS1_14partition_implILS5_5ELb0ES3_mN6thrust23THRUST_200600_302600_NS6detail15normal_iteratorINSA_10device_ptrIfEEEEPS6_NSA_18transform_iteratorINSB_9not_fun_tI7is_trueIfEEENSC_INSD_IbEEEENSA_11use_defaultESO_EENS0_5tupleIJNSA_16discard_iteratorISO_EES6_EEENSQ_IJSG_SG_EEES6_PlJS6_EEE10hipError_tPvRmT3_T4_T5_T6_T7_T9_mT8_P12ihipStream_tbDpT10_ENKUlT_T0_E_clISt17integral_constantIbLb1EES1F_EEDaS1A_S1B_EUlS1A_E_NS1_11comp_targetILNS1_3genE10ELNS1_11target_archE1200ELNS1_3gpuE4ELNS1_3repE0EEENS1_30default_config_static_selectorELNS0_4arch9wavefront6targetE0EEEvT1_,comdat
.Lfunc_end2634:
	.size	_ZN7rocprim17ROCPRIM_400000_NS6detail17trampoline_kernelINS0_14default_configENS1_25partition_config_selectorILNS1_17partition_subalgoE5EfNS0_10empty_typeEbEEZZNS1_14partition_implILS5_5ELb0ES3_mN6thrust23THRUST_200600_302600_NS6detail15normal_iteratorINSA_10device_ptrIfEEEEPS6_NSA_18transform_iteratorINSB_9not_fun_tI7is_trueIfEEENSC_INSD_IbEEEENSA_11use_defaultESO_EENS0_5tupleIJNSA_16discard_iteratorISO_EES6_EEENSQ_IJSG_SG_EEES6_PlJS6_EEE10hipError_tPvRmT3_T4_T5_T6_T7_T9_mT8_P12ihipStream_tbDpT10_ENKUlT_T0_E_clISt17integral_constantIbLb1EES1F_EEDaS1A_S1B_EUlS1A_E_NS1_11comp_targetILNS1_3genE10ELNS1_11target_archE1200ELNS1_3gpuE4ELNS1_3repE0EEENS1_30default_config_static_selectorELNS0_4arch9wavefront6targetE0EEEvT1_, .Lfunc_end2634-_ZN7rocprim17ROCPRIM_400000_NS6detail17trampoline_kernelINS0_14default_configENS1_25partition_config_selectorILNS1_17partition_subalgoE5EfNS0_10empty_typeEbEEZZNS1_14partition_implILS5_5ELb0ES3_mN6thrust23THRUST_200600_302600_NS6detail15normal_iteratorINSA_10device_ptrIfEEEEPS6_NSA_18transform_iteratorINSB_9not_fun_tI7is_trueIfEEENSC_INSD_IbEEEENSA_11use_defaultESO_EENS0_5tupleIJNSA_16discard_iteratorISO_EES6_EEENSQ_IJSG_SG_EEES6_PlJS6_EEE10hipError_tPvRmT3_T4_T5_T6_T7_T9_mT8_P12ihipStream_tbDpT10_ENKUlT_T0_E_clISt17integral_constantIbLb1EES1F_EEDaS1A_S1B_EUlS1A_E_NS1_11comp_targetILNS1_3genE10ELNS1_11target_archE1200ELNS1_3gpuE4ELNS1_3repE0EEENS1_30default_config_static_selectorELNS0_4arch9wavefront6targetE0EEEvT1_
                                        ; -- End function
	.set _ZN7rocprim17ROCPRIM_400000_NS6detail17trampoline_kernelINS0_14default_configENS1_25partition_config_selectorILNS1_17partition_subalgoE5EfNS0_10empty_typeEbEEZZNS1_14partition_implILS5_5ELb0ES3_mN6thrust23THRUST_200600_302600_NS6detail15normal_iteratorINSA_10device_ptrIfEEEEPS6_NSA_18transform_iteratorINSB_9not_fun_tI7is_trueIfEEENSC_INSD_IbEEEENSA_11use_defaultESO_EENS0_5tupleIJNSA_16discard_iteratorISO_EES6_EEENSQ_IJSG_SG_EEES6_PlJS6_EEE10hipError_tPvRmT3_T4_T5_T6_T7_T9_mT8_P12ihipStream_tbDpT10_ENKUlT_T0_E_clISt17integral_constantIbLb1EES1F_EEDaS1A_S1B_EUlS1A_E_NS1_11comp_targetILNS1_3genE10ELNS1_11target_archE1200ELNS1_3gpuE4ELNS1_3repE0EEENS1_30default_config_static_selectorELNS0_4arch9wavefront6targetE0EEEvT1_.num_vgpr, 0
	.set _ZN7rocprim17ROCPRIM_400000_NS6detail17trampoline_kernelINS0_14default_configENS1_25partition_config_selectorILNS1_17partition_subalgoE5EfNS0_10empty_typeEbEEZZNS1_14partition_implILS5_5ELb0ES3_mN6thrust23THRUST_200600_302600_NS6detail15normal_iteratorINSA_10device_ptrIfEEEEPS6_NSA_18transform_iteratorINSB_9not_fun_tI7is_trueIfEEENSC_INSD_IbEEEENSA_11use_defaultESO_EENS0_5tupleIJNSA_16discard_iteratorISO_EES6_EEENSQ_IJSG_SG_EEES6_PlJS6_EEE10hipError_tPvRmT3_T4_T5_T6_T7_T9_mT8_P12ihipStream_tbDpT10_ENKUlT_T0_E_clISt17integral_constantIbLb1EES1F_EEDaS1A_S1B_EUlS1A_E_NS1_11comp_targetILNS1_3genE10ELNS1_11target_archE1200ELNS1_3gpuE4ELNS1_3repE0EEENS1_30default_config_static_selectorELNS0_4arch9wavefront6targetE0EEEvT1_.num_agpr, 0
	.set _ZN7rocprim17ROCPRIM_400000_NS6detail17trampoline_kernelINS0_14default_configENS1_25partition_config_selectorILNS1_17partition_subalgoE5EfNS0_10empty_typeEbEEZZNS1_14partition_implILS5_5ELb0ES3_mN6thrust23THRUST_200600_302600_NS6detail15normal_iteratorINSA_10device_ptrIfEEEEPS6_NSA_18transform_iteratorINSB_9not_fun_tI7is_trueIfEEENSC_INSD_IbEEEENSA_11use_defaultESO_EENS0_5tupleIJNSA_16discard_iteratorISO_EES6_EEENSQ_IJSG_SG_EEES6_PlJS6_EEE10hipError_tPvRmT3_T4_T5_T6_T7_T9_mT8_P12ihipStream_tbDpT10_ENKUlT_T0_E_clISt17integral_constantIbLb1EES1F_EEDaS1A_S1B_EUlS1A_E_NS1_11comp_targetILNS1_3genE10ELNS1_11target_archE1200ELNS1_3gpuE4ELNS1_3repE0EEENS1_30default_config_static_selectorELNS0_4arch9wavefront6targetE0EEEvT1_.numbered_sgpr, 0
	.set _ZN7rocprim17ROCPRIM_400000_NS6detail17trampoline_kernelINS0_14default_configENS1_25partition_config_selectorILNS1_17partition_subalgoE5EfNS0_10empty_typeEbEEZZNS1_14partition_implILS5_5ELb0ES3_mN6thrust23THRUST_200600_302600_NS6detail15normal_iteratorINSA_10device_ptrIfEEEEPS6_NSA_18transform_iteratorINSB_9not_fun_tI7is_trueIfEEENSC_INSD_IbEEEENSA_11use_defaultESO_EENS0_5tupleIJNSA_16discard_iteratorISO_EES6_EEENSQ_IJSG_SG_EEES6_PlJS6_EEE10hipError_tPvRmT3_T4_T5_T6_T7_T9_mT8_P12ihipStream_tbDpT10_ENKUlT_T0_E_clISt17integral_constantIbLb1EES1F_EEDaS1A_S1B_EUlS1A_E_NS1_11comp_targetILNS1_3genE10ELNS1_11target_archE1200ELNS1_3gpuE4ELNS1_3repE0EEENS1_30default_config_static_selectorELNS0_4arch9wavefront6targetE0EEEvT1_.num_named_barrier, 0
	.set _ZN7rocprim17ROCPRIM_400000_NS6detail17trampoline_kernelINS0_14default_configENS1_25partition_config_selectorILNS1_17partition_subalgoE5EfNS0_10empty_typeEbEEZZNS1_14partition_implILS5_5ELb0ES3_mN6thrust23THRUST_200600_302600_NS6detail15normal_iteratorINSA_10device_ptrIfEEEEPS6_NSA_18transform_iteratorINSB_9not_fun_tI7is_trueIfEEENSC_INSD_IbEEEENSA_11use_defaultESO_EENS0_5tupleIJNSA_16discard_iteratorISO_EES6_EEENSQ_IJSG_SG_EEES6_PlJS6_EEE10hipError_tPvRmT3_T4_T5_T6_T7_T9_mT8_P12ihipStream_tbDpT10_ENKUlT_T0_E_clISt17integral_constantIbLb1EES1F_EEDaS1A_S1B_EUlS1A_E_NS1_11comp_targetILNS1_3genE10ELNS1_11target_archE1200ELNS1_3gpuE4ELNS1_3repE0EEENS1_30default_config_static_selectorELNS0_4arch9wavefront6targetE0EEEvT1_.private_seg_size, 0
	.set _ZN7rocprim17ROCPRIM_400000_NS6detail17trampoline_kernelINS0_14default_configENS1_25partition_config_selectorILNS1_17partition_subalgoE5EfNS0_10empty_typeEbEEZZNS1_14partition_implILS5_5ELb0ES3_mN6thrust23THRUST_200600_302600_NS6detail15normal_iteratorINSA_10device_ptrIfEEEEPS6_NSA_18transform_iteratorINSB_9not_fun_tI7is_trueIfEEENSC_INSD_IbEEEENSA_11use_defaultESO_EENS0_5tupleIJNSA_16discard_iteratorISO_EES6_EEENSQ_IJSG_SG_EEES6_PlJS6_EEE10hipError_tPvRmT3_T4_T5_T6_T7_T9_mT8_P12ihipStream_tbDpT10_ENKUlT_T0_E_clISt17integral_constantIbLb1EES1F_EEDaS1A_S1B_EUlS1A_E_NS1_11comp_targetILNS1_3genE10ELNS1_11target_archE1200ELNS1_3gpuE4ELNS1_3repE0EEENS1_30default_config_static_selectorELNS0_4arch9wavefront6targetE0EEEvT1_.uses_vcc, 0
	.set _ZN7rocprim17ROCPRIM_400000_NS6detail17trampoline_kernelINS0_14default_configENS1_25partition_config_selectorILNS1_17partition_subalgoE5EfNS0_10empty_typeEbEEZZNS1_14partition_implILS5_5ELb0ES3_mN6thrust23THRUST_200600_302600_NS6detail15normal_iteratorINSA_10device_ptrIfEEEEPS6_NSA_18transform_iteratorINSB_9not_fun_tI7is_trueIfEEENSC_INSD_IbEEEENSA_11use_defaultESO_EENS0_5tupleIJNSA_16discard_iteratorISO_EES6_EEENSQ_IJSG_SG_EEES6_PlJS6_EEE10hipError_tPvRmT3_T4_T5_T6_T7_T9_mT8_P12ihipStream_tbDpT10_ENKUlT_T0_E_clISt17integral_constantIbLb1EES1F_EEDaS1A_S1B_EUlS1A_E_NS1_11comp_targetILNS1_3genE10ELNS1_11target_archE1200ELNS1_3gpuE4ELNS1_3repE0EEENS1_30default_config_static_selectorELNS0_4arch9wavefront6targetE0EEEvT1_.uses_flat_scratch, 0
	.set _ZN7rocprim17ROCPRIM_400000_NS6detail17trampoline_kernelINS0_14default_configENS1_25partition_config_selectorILNS1_17partition_subalgoE5EfNS0_10empty_typeEbEEZZNS1_14partition_implILS5_5ELb0ES3_mN6thrust23THRUST_200600_302600_NS6detail15normal_iteratorINSA_10device_ptrIfEEEEPS6_NSA_18transform_iteratorINSB_9not_fun_tI7is_trueIfEEENSC_INSD_IbEEEENSA_11use_defaultESO_EENS0_5tupleIJNSA_16discard_iteratorISO_EES6_EEENSQ_IJSG_SG_EEES6_PlJS6_EEE10hipError_tPvRmT3_T4_T5_T6_T7_T9_mT8_P12ihipStream_tbDpT10_ENKUlT_T0_E_clISt17integral_constantIbLb1EES1F_EEDaS1A_S1B_EUlS1A_E_NS1_11comp_targetILNS1_3genE10ELNS1_11target_archE1200ELNS1_3gpuE4ELNS1_3repE0EEENS1_30default_config_static_selectorELNS0_4arch9wavefront6targetE0EEEvT1_.has_dyn_sized_stack, 0
	.set _ZN7rocprim17ROCPRIM_400000_NS6detail17trampoline_kernelINS0_14default_configENS1_25partition_config_selectorILNS1_17partition_subalgoE5EfNS0_10empty_typeEbEEZZNS1_14partition_implILS5_5ELb0ES3_mN6thrust23THRUST_200600_302600_NS6detail15normal_iteratorINSA_10device_ptrIfEEEEPS6_NSA_18transform_iteratorINSB_9not_fun_tI7is_trueIfEEENSC_INSD_IbEEEENSA_11use_defaultESO_EENS0_5tupleIJNSA_16discard_iteratorISO_EES6_EEENSQ_IJSG_SG_EEES6_PlJS6_EEE10hipError_tPvRmT3_T4_T5_T6_T7_T9_mT8_P12ihipStream_tbDpT10_ENKUlT_T0_E_clISt17integral_constantIbLb1EES1F_EEDaS1A_S1B_EUlS1A_E_NS1_11comp_targetILNS1_3genE10ELNS1_11target_archE1200ELNS1_3gpuE4ELNS1_3repE0EEENS1_30default_config_static_selectorELNS0_4arch9wavefront6targetE0EEEvT1_.has_recursion, 0
	.set _ZN7rocprim17ROCPRIM_400000_NS6detail17trampoline_kernelINS0_14default_configENS1_25partition_config_selectorILNS1_17partition_subalgoE5EfNS0_10empty_typeEbEEZZNS1_14partition_implILS5_5ELb0ES3_mN6thrust23THRUST_200600_302600_NS6detail15normal_iteratorINSA_10device_ptrIfEEEEPS6_NSA_18transform_iteratorINSB_9not_fun_tI7is_trueIfEEENSC_INSD_IbEEEENSA_11use_defaultESO_EENS0_5tupleIJNSA_16discard_iteratorISO_EES6_EEENSQ_IJSG_SG_EEES6_PlJS6_EEE10hipError_tPvRmT3_T4_T5_T6_T7_T9_mT8_P12ihipStream_tbDpT10_ENKUlT_T0_E_clISt17integral_constantIbLb1EES1F_EEDaS1A_S1B_EUlS1A_E_NS1_11comp_targetILNS1_3genE10ELNS1_11target_archE1200ELNS1_3gpuE4ELNS1_3repE0EEENS1_30default_config_static_selectorELNS0_4arch9wavefront6targetE0EEEvT1_.has_indirect_call, 0
	.section	.AMDGPU.csdata,"",@progbits
; Kernel info:
; codeLenInByte = 4
; TotalNumSgprs: 0
; NumVgprs: 0
; ScratchSize: 0
; MemoryBound: 0
; FloatMode: 240
; IeeeMode: 1
; LDSByteSize: 0 bytes/workgroup (compile time only)
; SGPRBlocks: 0
; VGPRBlocks: 0
; NumSGPRsForWavesPerEU: 1
; NumVGPRsForWavesPerEU: 1
; Occupancy: 16
; WaveLimiterHint : 0
; COMPUTE_PGM_RSRC2:SCRATCH_EN: 0
; COMPUTE_PGM_RSRC2:USER_SGPR: 2
; COMPUTE_PGM_RSRC2:TRAP_HANDLER: 0
; COMPUTE_PGM_RSRC2:TGID_X_EN: 1
; COMPUTE_PGM_RSRC2:TGID_Y_EN: 0
; COMPUTE_PGM_RSRC2:TGID_Z_EN: 0
; COMPUTE_PGM_RSRC2:TIDIG_COMP_CNT: 0
	.section	.text._ZN7rocprim17ROCPRIM_400000_NS6detail17trampoline_kernelINS0_14default_configENS1_25partition_config_selectorILNS1_17partition_subalgoE5EfNS0_10empty_typeEbEEZZNS1_14partition_implILS5_5ELb0ES3_mN6thrust23THRUST_200600_302600_NS6detail15normal_iteratorINSA_10device_ptrIfEEEEPS6_NSA_18transform_iteratorINSB_9not_fun_tI7is_trueIfEEENSC_INSD_IbEEEENSA_11use_defaultESO_EENS0_5tupleIJNSA_16discard_iteratorISO_EES6_EEENSQ_IJSG_SG_EEES6_PlJS6_EEE10hipError_tPvRmT3_T4_T5_T6_T7_T9_mT8_P12ihipStream_tbDpT10_ENKUlT_T0_E_clISt17integral_constantIbLb1EES1F_EEDaS1A_S1B_EUlS1A_E_NS1_11comp_targetILNS1_3genE9ELNS1_11target_archE1100ELNS1_3gpuE3ELNS1_3repE0EEENS1_30default_config_static_selectorELNS0_4arch9wavefront6targetE0EEEvT1_,"axG",@progbits,_ZN7rocprim17ROCPRIM_400000_NS6detail17trampoline_kernelINS0_14default_configENS1_25partition_config_selectorILNS1_17partition_subalgoE5EfNS0_10empty_typeEbEEZZNS1_14partition_implILS5_5ELb0ES3_mN6thrust23THRUST_200600_302600_NS6detail15normal_iteratorINSA_10device_ptrIfEEEEPS6_NSA_18transform_iteratorINSB_9not_fun_tI7is_trueIfEEENSC_INSD_IbEEEENSA_11use_defaultESO_EENS0_5tupleIJNSA_16discard_iteratorISO_EES6_EEENSQ_IJSG_SG_EEES6_PlJS6_EEE10hipError_tPvRmT3_T4_T5_T6_T7_T9_mT8_P12ihipStream_tbDpT10_ENKUlT_T0_E_clISt17integral_constantIbLb1EES1F_EEDaS1A_S1B_EUlS1A_E_NS1_11comp_targetILNS1_3genE9ELNS1_11target_archE1100ELNS1_3gpuE3ELNS1_3repE0EEENS1_30default_config_static_selectorELNS0_4arch9wavefront6targetE0EEEvT1_,comdat
	.protected	_ZN7rocprim17ROCPRIM_400000_NS6detail17trampoline_kernelINS0_14default_configENS1_25partition_config_selectorILNS1_17partition_subalgoE5EfNS0_10empty_typeEbEEZZNS1_14partition_implILS5_5ELb0ES3_mN6thrust23THRUST_200600_302600_NS6detail15normal_iteratorINSA_10device_ptrIfEEEEPS6_NSA_18transform_iteratorINSB_9not_fun_tI7is_trueIfEEENSC_INSD_IbEEEENSA_11use_defaultESO_EENS0_5tupleIJNSA_16discard_iteratorISO_EES6_EEENSQ_IJSG_SG_EEES6_PlJS6_EEE10hipError_tPvRmT3_T4_T5_T6_T7_T9_mT8_P12ihipStream_tbDpT10_ENKUlT_T0_E_clISt17integral_constantIbLb1EES1F_EEDaS1A_S1B_EUlS1A_E_NS1_11comp_targetILNS1_3genE9ELNS1_11target_archE1100ELNS1_3gpuE3ELNS1_3repE0EEENS1_30default_config_static_selectorELNS0_4arch9wavefront6targetE0EEEvT1_ ; -- Begin function _ZN7rocprim17ROCPRIM_400000_NS6detail17trampoline_kernelINS0_14default_configENS1_25partition_config_selectorILNS1_17partition_subalgoE5EfNS0_10empty_typeEbEEZZNS1_14partition_implILS5_5ELb0ES3_mN6thrust23THRUST_200600_302600_NS6detail15normal_iteratorINSA_10device_ptrIfEEEEPS6_NSA_18transform_iteratorINSB_9not_fun_tI7is_trueIfEEENSC_INSD_IbEEEENSA_11use_defaultESO_EENS0_5tupleIJNSA_16discard_iteratorISO_EES6_EEENSQ_IJSG_SG_EEES6_PlJS6_EEE10hipError_tPvRmT3_T4_T5_T6_T7_T9_mT8_P12ihipStream_tbDpT10_ENKUlT_T0_E_clISt17integral_constantIbLb1EES1F_EEDaS1A_S1B_EUlS1A_E_NS1_11comp_targetILNS1_3genE9ELNS1_11target_archE1100ELNS1_3gpuE3ELNS1_3repE0EEENS1_30default_config_static_selectorELNS0_4arch9wavefront6targetE0EEEvT1_
	.globl	_ZN7rocprim17ROCPRIM_400000_NS6detail17trampoline_kernelINS0_14default_configENS1_25partition_config_selectorILNS1_17partition_subalgoE5EfNS0_10empty_typeEbEEZZNS1_14partition_implILS5_5ELb0ES3_mN6thrust23THRUST_200600_302600_NS6detail15normal_iteratorINSA_10device_ptrIfEEEEPS6_NSA_18transform_iteratorINSB_9not_fun_tI7is_trueIfEEENSC_INSD_IbEEEENSA_11use_defaultESO_EENS0_5tupleIJNSA_16discard_iteratorISO_EES6_EEENSQ_IJSG_SG_EEES6_PlJS6_EEE10hipError_tPvRmT3_T4_T5_T6_T7_T9_mT8_P12ihipStream_tbDpT10_ENKUlT_T0_E_clISt17integral_constantIbLb1EES1F_EEDaS1A_S1B_EUlS1A_E_NS1_11comp_targetILNS1_3genE9ELNS1_11target_archE1100ELNS1_3gpuE3ELNS1_3repE0EEENS1_30default_config_static_selectorELNS0_4arch9wavefront6targetE0EEEvT1_
	.p2align	8
	.type	_ZN7rocprim17ROCPRIM_400000_NS6detail17trampoline_kernelINS0_14default_configENS1_25partition_config_selectorILNS1_17partition_subalgoE5EfNS0_10empty_typeEbEEZZNS1_14partition_implILS5_5ELb0ES3_mN6thrust23THRUST_200600_302600_NS6detail15normal_iteratorINSA_10device_ptrIfEEEEPS6_NSA_18transform_iteratorINSB_9not_fun_tI7is_trueIfEEENSC_INSD_IbEEEENSA_11use_defaultESO_EENS0_5tupleIJNSA_16discard_iteratorISO_EES6_EEENSQ_IJSG_SG_EEES6_PlJS6_EEE10hipError_tPvRmT3_T4_T5_T6_T7_T9_mT8_P12ihipStream_tbDpT10_ENKUlT_T0_E_clISt17integral_constantIbLb1EES1F_EEDaS1A_S1B_EUlS1A_E_NS1_11comp_targetILNS1_3genE9ELNS1_11target_archE1100ELNS1_3gpuE3ELNS1_3repE0EEENS1_30default_config_static_selectorELNS0_4arch9wavefront6targetE0EEEvT1_,@function
_ZN7rocprim17ROCPRIM_400000_NS6detail17trampoline_kernelINS0_14default_configENS1_25partition_config_selectorILNS1_17partition_subalgoE5EfNS0_10empty_typeEbEEZZNS1_14partition_implILS5_5ELb0ES3_mN6thrust23THRUST_200600_302600_NS6detail15normal_iteratorINSA_10device_ptrIfEEEEPS6_NSA_18transform_iteratorINSB_9not_fun_tI7is_trueIfEEENSC_INSD_IbEEEENSA_11use_defaultESO_EENS0_5tupleIJNSA_16discard_iteratorISO_EES6_EEENSQ_IJSG_SG_EEES6_PlJS6_EEE10hipError_tPvRmT3_T4_T5_T6_T7_T9_mT8_P12ihipStream_tbDpT10_ENKUlT_T0_E_clISt17integral_constantIbLb1EES1F_EEDaS1A_S1B_EUlS1A_E_NS1_11comp_targetILNS1_3genE9ELNS1_11target_archE1100ELNS1_3gpuE3ELNS1_3repE0EEENS1_30default_config_static_selectorELNS0_4arch9wavefront6targetE0EEEvT1_: ; @_ZN7rocprim17ROCPRIM_400000_NS6detail17trampoline_kernelINS0_14default_configENS1_25partition_config_selectorILNS1_17partition_subalgoE5EfNS0_10empty_typeEbEEZZNS1_14partition_implILS5_5ELb0ES3_mN6thrust23THRUST_200600_302600_NS6detail15normal_iteratorINSA_10device_ptrIfEEEEPS6_NSA_18transform_iteratorINSB_9not_fun_tI7is_trueIfEEENSC_INSD_IbEEEENSA_11use_defaultESO_EENS0_5tupleIJNSA_16discard_iteratorISO_EES6_EEENSQ_IJSG_SG_EEES6_PlJS6_EEE10hipError_tPvRmT3_T4_T5_T6_T7_T9_mT8_P12ihipStream_tbDpT10_ENKUlT_T0_E_clISt17integral_constantIbLb1EES1F_EEDaS1A_S1B_EUlS1A_E_NS1_11comp_targetILNS1_3genE9ELNS1_11target_archE1100ELNS1_3gpuE3ELNS1_3repE0EEENS1_30default_config_static_selectorELNS0_4arch9wavefront6targetE0EEEvT1_
; %bb.0:
	.section	.rodata,"a",@progbits
	.p2align	6, 0x0
	.amdhsa_kernel _ZN7rocprim17ROCPRIM_400000_NS6detail17trampoline_kernelINS0_14default_configENS1_25partition_config_selectorILNS1_17partition_subalgoE5EfNS0_10empty_typeEbEEZZNS1_14partition_implILS5_5ELb0ES3_mN6thrust23THRUST_200600_302600_NS6detail15normal_iteratorINSA_10device_ptrIfEEEEPS6_NSA_18transform_iteratorINSB_9not_fun_tI7is_trueIfEEENSC_INSD_IbEEEENSA_11use_defaultESO_EENS0_5tupleIJNSA_16discard_iteratorISO_EES6_EEENSQ_IJSG_SG_EEES6_PlJS6_EEE10hipError_tPvRmT3_T4_T5_T6_T7_T9_mT8_P12ihipStream_tbDpT10_ENKUlT_T0_E_clISt17integral_constantIbLb1EES1F_EEDaS1A_S1B_EUlS1A_E_NS1_11comp_targetILNS1_3genE9ELNS1_11target_archE1100ELNS1_3gpuE3ELNS1_3repE0EEENS1_30default_config_static_selectorELNS0_4arch9wavefront6targetE0EEEvT1_
		.amdhsa_group_segment_fixed_size 0
		.amdhsa_private_segment_fixed_size 0
		.amdhsa_kernarg_size 144
		.amdhsa_user_sgpr_count 2
		.amdhsa_user_sgpr_dispatch_ptr 0
		.amdhsa_user_sgpr_queue_ptr 0
		.amdhsa_user_sgpr_kernarg_segment_ptr 1
		.amdhsa_user_sgpr_dispatch_id 0
		.amdhsa_user_sgpr_private_segment_size 0
		.amdhsa_wavefront_size32 1
		.amdhsa_uses_dynamic_stack 0
		.amdhsa_enable_private_segment 0
		.amdhsa_system_sgpr_workgroup_id_x 1
		.amdhsa_system_sgpr_workgroup_id_y 0
		.amdhsa_system_sgpr_workgroup_id_z 0
		.amdhsa_system_sgpr_workgroup_info 0
		.amdhsa_system_vgpr_workitem_id 0
		.amdhsa_next_free_vgpr 1
		.amdhsa_next_free_sgpr 1
		.amdhsa_reserve_vcc 0
		.amdhsa_float_round_mode_32 0
		.amdhsa_float_round_mode_16_64 0
		.amdhsa_float_denorm_mode_32 3
		.amdhsa_float_denorm_mode_16_64 3
		.amdhsa_fp16_overflow 0
		.amdhsa_workgroup_processor_mode 1
		.amdhsa_memory_ordered 1
		.amdhsa_forward_progress 1
		.amdhsa_inst_pref_size 0
		.amdhsa_round_robin_scheduling 0
		.amdhsa_exception_fp_ieee_invalid_op 0
		.amdhsa_exception_fp_denorm_src 0
		.amdhsa_exception_fp_ieee_div_zero 0
		.amdhsa_exception_fp_ieee_overflow 0
		.amdhsa_exception_fp_ieee_underflow 0
		.amdhsa_exception_fp_ieee_inexact 0
		.amdhsa_exception_int_div_zero 0
	.end_amdhsa_kernel
	.section	.text._ZN7rocprim17ROCPRIM_400000_NS6detail17trampoline_kernelINS0_14default_configENS1_25partition_config_selectorILNS1_17partition_subalgoE5EfNS0_10empty_typeEbEEZZNS1_14partition_implILS5_5ELb0ES3_mN6thrust23THRUST_200600_302600_NS6detail15normal_iteratorINSA_10device_ptrIfEEEEPS6_NSA_18transform_iteratorINSB_9not_fun_tI7is_trueIfEEENSC_INSD_IbEEEENSA_11use_defaultESO_EENS0_5tupleIJNSA_16discard_iteratorISO_EES6_EEENSQ_IJSG_SG_EEES6_PlJS6_EEE10hipError_tPvRmT3_T4_T5_T6_T7_T9_mT8_P12ihipStream_tbDpT10_ENKUlT_T0_E_clISt17integral_constantIbLb1EES1F_EEDaS1A_S1B_EUlS1A_E_NS1_11comp_targetILNS1_3genE9ELNS1_11target_archE1100ELNS1_3gpuE3ELNS1_3repE0EEENS1_30default_config_static_selectorELNS0_4arch9wavefront6targetE0EEEvT1_,"axG",@progbits,_ZN7rocprim17ROCPRIM_400000_NS6detail17trampoline_kernelINS0_14default_configENS1_25partition_config_selectorILNS1_17partition_subalgoE5EfNS0_10empty_typeEbEEZZNS1_14partition_implILS5_5ELb0ES3_mN6thrust23THRUST_200600_302600_NS6detail15normal_iteratorINSA_10device_ptrIfEEEEPS6_NSA_18transform_iteratorINSB_9not_fun_tI7is_trueIfEEENSC_INSD_IbEEEENSA_11use_defaultESO_EENS0_5tupleIJNSA_16discard_iteratorISO_EES6_EEENSQ_IJSG_SG_EEES6_PlJS6_EEE10hipError_tPvRmT3_T4_T5_T6_T7_T9_mT8_P12ihipStream_tbDpT10_ENKUlT_T0_E_clISt17integral_constantIbLb1EES1F_EEDaS1A_S1B_EUlS1A_E_NS1_11comp_targetILNS1_3genE9ELNS1_11target_archE1100ELNS1_3gpuE3ELNS1_3repE0EEENS1_30default_config_static_selectorELNS0_4arch9wavefront6targetE0EEEvT1_,comdat
.Lfunc_end2635:
	.size	_ZN7rocprim17ROCPRIM_400000_NS6detail17trampoline_kernelINS0_14default_configENS1_25partition_config_selectorILNS1_17partition_subalgoE5EfNS0_10empty_typeEbEEZZNS1_14partition_implILS5_5ELb0ES3_mN6thrust23THRUST_200600_302600_NS6detail15normal_iteratorINSA_10device_ptrIfEEEEPS6_NSA_18transform_iteratorINSB_9not_fun_tI7is_trueIfEEENSC_INSD_IbEEEENSA_11use_defaultESO_EENS0_5tupleIJNSA_16discard_iteratorISO_EES6_EEENSQ_IJSG_SG_EEES6_PlJS6_EEE10hipError_tPvRmT3_T4_T5_T6_T7_T9_mT8_P12ihipStream_tbDpT10_ENKUlT_T0_E_clISt17integral_constantIbLb1EES1F_EEDaS1A_S1B_EUlS1A_E_NS1_11comp_targetILNS1_3genE9ELNS1_11target_archE1100ELNS1_3gpuE3ELNS1_3repE0EEENS1_30default_config_static_selectorELNS0_4arch9wavefront6targetE0EEEvT1_, .Lfunc_end2635-_ZN7rocprim17ROCPRIM_400000_NS6detail17trampoline_kernelINS0_14default_configENS1_25partition_config_selectorILNS1_17partition_subalgoE5EfNS0_10empty_typeEbEEZZNS1_14partition_implILS5_5ELb0ES3_mN6thrust23THRUST_200600_302600_NS6detail15normal_iteratorINSA_10device_ptrIfEEEEPS6_NSA_18transform_iteratorINSB_9not_fun_tI7is_trueIfEEENSC_INSD_IbEEEENSA_11use_defaultESO_EENS0_5tupleIJNSA_16discard_iteratorISO_EES6_EEENSQ_IJSG_SG_EEES6_PlJS6_EEE10hipError_tPvRmT3_T4_T5_T6_T7_T9_mT8_P12ihipStream_tbDpT10_ENKUlT_T0_E_clISt17integral_constantIbLb1EES1F_EEDaS1A_S1B_EUlS1A_E_NS1_11comp_targetILNS1_3genE9ELNS1_11target_archE1100ELNS1_3gpuE3ELNS1_3repE0EEENS1_30default_config_static_selectorELNS0_4arch9wavefront6targetE0EEEvT1_
                                        ; -- End function
	.set _ZN7rocprim17ROCPRIM_400000_NS6detail17trampoline_kernelINS0_14default_configENS1_25partition_config_selectorILNS1_17partition_subalgoE5EfNS0_10empty_typeEbEEZZNS1_14partition_implILS5_5ELb0ES3_mN6thrust23THRUST_200600_302600_NS6detail15normal_iteratorINSA_10device_ptrIfEEEEPS6_NSA_18transform_iteratorINSB_9not_fun_tI7is_trueIfEEENSC_INSD_IbEEEENSA_11use_defaultESO_EENS0_5tupleIJNSA_16discard_iteratorISO_EES6_EEENSQ_IJSG_SG_EEES6_PlJS6_EEE10hipError_tPvRmT3_T4_T5_T6_T7_T9_mT8_P12ihipStream_tbDpT10_ENKUlT_T0_E_clISt17integral_constantIbLb1EES1F_EEDaS1A_S1B_EUlS1A_E_NS1_11comp_targetILNS1_3genE9ELNS1_11target_archE1100ELNS1_3gpuE3ELNS1_3repE0EEENS1_30default_config_static_selectorELNS0_4arch9wavefront6targetE0EEEvT1_.num_vgpr, 0
	.set _ZN7rocprim17ROCPRIM_400000_NS6detail17trampoline_kernelINS0_14default_configENS1_25partition_config_selectorILNS1_17partition_subalgoE5EfNS0_10empty_typeEbEEZZNS1_14partition_implILS5_5ELb0ES3_mN6thrust23THRUST_200600_302600_NS6detail15normal_iteratorINSA_10device_ptrIfEEEEPS6_NSA_18transform_iteratorINSB_9not_fun_tI7is_trueIfEEENSC_INSD_IbEEEENSA_11use_defaultESO_EENS0_5tupleIJNSA_16discard_iteratorISO_EES6_EEENSQ_IJSG_SG_EEES6_PlJS6_EEE10hipError_tPvRmT3_T4_T5_T6_T7_T9_mT8_P12ihipStream_tbDpT10_ENKUlT_T0_E_clISt17integral_constantIbLb1EES1F_EEDaS1A_S1B_EUlS1A_E_NS1_11comp_targetILNS1_3genE9ELNS1_11target_archE1100ELNS1_3gpuE3ELNS1_3repE0EEENS1_30default_config_static_selectorELNS0_4arch9wavefront6targetE0EEEvT1_.num_agpr, 0
	.set _ZN7rocprim17ROCPRIM_400000_NS6detail17trampoline_kernelINS0_14default_configENS1_25partition_config_selectorILNS1_17partition_subalgoE5EfNS0_10empty_typeEbEEZZNS1_14partition_implILS5_5ELb0ES3_mN6thrust23THRUST_200600_302600_NS6detail15normal_iteratorINSA_10device_ptrIfEEEEPS6_NSA_18transform_iteratorINSB_9not_fun_tI7is_trueIfEEENSC_INSD_IbEEEENSA_11use_defaultESO_EENS0_5tupleIJNSA_16discard_iteratorISO_EES6_EEENSQ_IJSG_SG_EEES6_PlJS6_EEE10hipError_tPvRmT3_T4_T5_T6_T7_T9_mT8_P12ihipStream_tbDpT10_ENKUlT_T0_E_clISt17integral_constantIbLb1EES1F_EEDaS1A_S1B_EUlS1A_E_NS1_11comp_targetILNS1_3genE9ELNS1_11target_archE1100ELNS1_3gpuE3ELNS1_3repE0EEENS1_30default_config_static_selectorELNS0_4arch9wavefront6targetE0EEEvT1_.numbered_sgpr, 0
	.set _ZN7rocprim17ROCPRIM_400000_NS6detail17trampoline_kernelINS0_14default_configENS1_25partition_config_selectorILNS1_17partition_subalgoE5EfNS0_10empty_typeEbEEZZNS1_14partition_implILS5_5ELb0ES3_mN6thrust23THRUST_200600_302600_NS6detail15normal_iteratorINSA_10device_ptrIfEEEEPS6_NSA_18transform_iteratorINSB_9not_fun_tI7is_trueIfEEENSC_INSD_IbEEEENSA_11use_defaultESO_EENS0_5tupleIJNSA_16discard_iteratorISO_EES6_EEENSQ_IJSG_SG_EEES6_PlJS6_EEE10hipError_tPvRmT3_T4_T5_T6_T7_T9_mT8_P12ihipStream_tbDpT10_ENKUlT_T0_E_clISt17integral_constantIbLb1EES1F_EEDaS1A_S1B_EUlS1A_E_NS1_11comp_targetILNS1_3genE9ELNS1_11target_archE1100ELNS1_3gpuE3ELNS1_3repE0EEENS1_30default_config_static_selectorELNS0_4arch9wavefront6targetE0EEEvT1_.num_named_barrier, 0
	.set _ZN7rocprim17ROCPRIM_400000_NS6detail17trampoline_kernelINS0_14default_configENS1_25partition_config_selectorILNS1_17partition_subalgoE5EfNS0_10empty_typeEbEEZZNS1_14partition_implILS5_5ELb0ES3_mN6thrust23THRUST_200600_302600_NS6detail15normal_iteratorINSA_10device_ptrIfEEEEPS6_NSA_18transform_iteratorINSB_9not_fun_tI7is_trueIfEEENSC_INSD_IbEEEENSA_11use_defaultESO_EENS0_5tupleIJNSA_16discard_iteratorISO_EES6_EEENSQ_IJSG_SG_EEES6_PlJS6_EEE10hipError_tPvRmT3_T4_T5_T6_T7_T9_mT8_P12ihipStream_tbDpT10_ENKUlT_T0_E_clISt17integral_constantIbLb1EES1F_EEDaS1A_S1B_EUlS1A_E_NS1_11comp_targetILNS1_3genE9ELNS1_11target_archE1100ELNS1_3gpuE3ELNS1_3repE0EEENS1_30default_config_static_selectorELNS0_4arch9wavefront6targetE0EEEvT1_.private_seg_size, 0
	.set _ZN7rocprim17ROCPRIM_400000_NS6detail17trampoline_kernelINS0_14default_configENS1_25partition_config_selectorILNS1_17partition_subalgoE5EfNS0_10empty_typeEbEEZZNS1_14partition_implILS5_5ELb0ES3_mN6thrust23THRUST_200600_302600_NS6detail15normal_iteratorINSA_10device_ptrIfEEEEPS6_NSA_18transform_iteratorINSB_9not_fun_tI7is_trueIfEEENSC_INSD_IbEEEENSA_11use_defaultESO_EENS0_5tupleIJNSA_16discard_iteratorISO_EES6_EEENSQ_IJSG_SG_EEES6_PlJS6_EEE10hipError_tPvRmT3_T4_T5_T6_T7_T9_mT8_P12ihipStream_tbDpT10_ENKUlT_T0_E_clISt17integral_constantIbLb1EES1F_EEDaS1A_S1B_EUlS1A_E_NS1_11comp_targetILNS1_3genE9ELNS1_11target_archE1100ELNS1_3gpuE3ELNS1_3repE0EEENS1_30default_config_static_selectorELNS0_4arch9wavefront6targetE0EEEvT1_.uses_vcc, 0
	.set _ZN7rocprim17ROCPRIM_400000_NS6detail17trampoline_kernelINS0_14default_configENS1_25partition_config_selectorILNS1_17partition_subalgoE5EfNS0_10empty_typeEbEEZZNS1_14partition_implILS5_5ELb0ES3_mN6thrust23THRUST_200600_302600_NS6detail15normal_iteratorINSA_10device_ptrIfEEEEPS6_NSA_18transform_iteratorINSB_9not_fun_tI7is_trueIfEEENSC_INSD_IbEEEENSA_11use_defaultESO_EENS0_5tupleIJNSA_16discard_iteratorISO_EES6_EEENSQ_IJSG_SG_EEES6_PlJS6_EEE10hipError_tPvRmT3_T4_T5_T6_T7_T9_mT8_P12ihipStream_tbDpT10_ENKUlT_T0_E_clISt17integral_constantIbLb1EES1F_EEDaS1A_S1B_EUlS1A_E_NS1_11comp_targetILNS1_3genE9ELNS1_11target_archE1100ELNS1_3gpuE3ELNS1_3repE0EEENS1_30default_config_static_selectorELNS0_4arch9wavefront6targetE0EEEvT1_.uses_flat_scratch, 0
	.set _ZN7rocprim17ROCPRIM_400000_NS6detail17trampoline_kernelINS0_14default_configENS1_25partition_config_selectorILNS1_17partition_subalgoE5EfNS0_10empty_typeEbEEZZNS1_14partition_implILS5_5ELb0ES3_mN6thrust23THRUST_200600_302600_NS6detail15normal_iteratorINSA_10device_ptrIfEEEEPS6_NSA_18transform_iteratorINSB_9not_fun_tI7is_trueIfEEENSC_INSD_IbEEEENSA_11use_defaultESO_EENS0_5tupleIJNSA_16discard_iteratorISO_EES6_EEENSQ_IJSG_SG_EEES6_PlJS6_EEE10hipError_tPvRmT3_T4_T5_T6_T7_T9_mT8_P12ihipStream_tbDpT10_ENKUlT_T0_E_clISt17integral_constantIbLb1EES1F_EEDaS1A_S1B_EUlS1A_E_NS1_11comp_targetILNS1_3genE9ELNS1_11target_archE1100ELNS1_3gpuE3ELNS1_3repE0EEENS1_30default_config_static_selectorELNS0_4arch9wavefront6targetE0EEEvT1_.has_dyn_sized_stack, 0
	.set _ZN7rocprim17ROCPRIM_400000_NS6detail17trampoline_kernelINS0_14default_configENS1_25partition_config_selectorILNS1_17partition_subalgoE5EfNS0_10empty_typeEbEEZZNS1_14partition_implILS5_5ELb0ES3_mN6thrust23THRUST_200600_302600_NS6detail15normal_iteratorINSA_10device_ptrIfEEEEPS6_NSA_18transform_iteratorINSB_9not_fun_tI7is_trueIfEEENSC_INSD_IbEEEENSA_11use_defaultESO_EENS0_5tupleIJNSA_16discard_iteratorISO_EES6_EEENSQ_IJSG_SG_EEES6_PlJS6_EEE10hipError_tPvRmT3_T4_T5_T6_T7_T9_mT8_P12ihipStream_tbDpT10_ENKUlT_T0_E_clISt17integral_constantIbLb1EES1F_EEDaS1A_S1B_EUlS1A_E_NS1_11comp_targetILNS1_3genE9ELNS1_11target_archE1100ELNS1_3gpuE3ELNS1_3repE0EEENS1_30default_config_static_selectorELNS0_4arch9wavefront6targetE0EEEvT1_.has_recursion, 0
	.set _ZN7rocprim17ROCPRIM_400000_NS6detail17trampoline_kernelINS0_14default_configENS1_25partition_config_selectorILNS1_17partition_subalgoE5EfNS0_10empty_typeEbEEZZNS1_14partition_implILS5_5ELb0ES3_mN6thrust23THRUST_200600_302600_NS6detail15normal_iteratorINSA_10device_ptrIfEEEEPS6_NSA_18transform_iteratorINSB_9not_fun_tI7is_trueIfEEENSC_INSD_IbEEEENSA_11use_defaultESO_EENS0_5tupleIJNSA_16discard_iteratorISO_EES6_EEENSQ_IJSG_SG_EEES6_PlJS6_EEE10hipError_tPvRmT3_T4_T5_T6_T7_T9_mT8_P12ihipStream_tbDpT10_ENKUlT_T0_E_clISt17integral_constantIbLb1EES1F_EEDaS1A_S1B_EUlS1A_E_NS1_11comp_targetILNS1_3genE9ELNS1_11target_archE1100ELNS1_3gpuE3ELNS1_3repE0EEENS1_30default_config_static_selectorELNS0_4arch9wavefront6targetE0EEEvT1_.has_indirect_call, 0
	.section	.AMDGPU.csdata,"",@progbits
; Kernel info:
; codeLenInByte = 0
; TotalNumSgprs: 0
; NumVgprs: 0
; ScratchSize: 0
; MemoryBound: 0
; FloatMode: 240
; IeeeMode: 1
; LDSByteSize: 0 bytes/workgroup (compile time only)
; SGPRBlocks: 0
; VGPRBlocks: 0
; NumSGPRsForWavesPerEU: 1
; NumVGPRsForWavesPerEU: 1
; Occupancy: 16
; WaveLimiterHint : 0
; COMPUTE_PGM_RSRC2:SCRATCH_EN: 0
; COMPUTE_PGM_RSRC2:USER_SGPR: 2
; COMPUTE_PGM_RSRC2:TRAP_HANDLER: 0
; COMPUTE_PGM_RSRC2:TGID_X_EN: 1
; COMPUTE_PGM_RSRC2:TGID_Y_EN: 0
; COMPUTE_PGM_RSRC2:TGID_Z_EN: 0
; COMPUTE_PGM_RSRC2:TIDIG_COMP_CNT: 0
	.section	.text._ZN7rocprim17ROCPRIM_400000_NS6detail17trampoline_kernelINS0_14default_configENS1_25partition_config_selectorILNS1_17partition_subalgoE5EfNS0_10empty_typeEbEEZZNS1_14partition_implILS5_5ELb0ES3_mN6thrust23THRUST_200600_302600_NS6detail15normal_iteratorINSA_10device_ptrIfEEEEPS6_NSA_18transform_iteratorINSB_9not_fun_tI7is_trueIfEEENSC_INSD_IbEEEENSA_11use_defaultESO_EENS0_5tupleIJNSA_16discard_iteratorISO_EES6_EEENSQ_IJSG_SG_EEES6_PlJS6_EEE10hipError_tPvRmT3_T4_T5_T6_T7_T9_mT8_P12ihipStream_tbDpT10_ENKUlT_T0_E_clISt17integral_constantIbLb1EES1F_EEDaS1A_S1B_EUlS1A_E_NS1_11comp_targetILNS1_3genE8ELNS1_11target_archE1030ELNS1_3gpuE2ELNS1_3repE0EEENS1_30default_config_static_selectorELNS0_4arch9wavefront6targetE0EEEvT1_,"axG",@progbits,_ZN7rocprim17ROCPRIM_400000_NS6detail17trampoline_kernelINS0_14default_configENS1_25partition_config_selectorILNS1_17partition_subalgoE5EfNS0_10empty_typeEbEEZZNS1_14partition_implILS5_5ELb0ES3_mN6thrust23THRUST_200600_302600_NS6detail15normal_iteratorINSA_10device_ptrIfEEEEPS6_NSA_18transform_iteratorINSB_9not_fun_tI7is_trueIfEEENSC_INSD_IbEEEENSA_11use_defaultESO_EENS0_5tupleIJNSA_16discard_iteratorISO_EES6_EEENSQ_IJSG_SG_EEES6_PlJS6_EEE10hipError_tPvRmT3_T4_T5_T6_T7_T9_mT8_P12ihipStream_tbDpT10_ENKUlT_T0_E_clISt17integral_constantIbLb1EES1F_EEDaS1A_S1B_EUlS1A_E_NS1_11comp_targetILNS1_3genE8ELNS1_11target_archE1030ELNS1_3gpuE2ELNS1_3repE0EEENS1_30default_config_static_selectorELNS0_4arch9wavefront6targetE0EEEvT1_,comdat
	.protected	_ZN7rocprim17ROCPRIM_400000_NS6detail17trampoline_kernelINS0_14default_configENS1_25partition_config_selectorILNS1_17partition_subalgoE5EfNS0_10empty_typeEbEEZZNS1_14partition_implILS5_5ELb0ES3_mN6thrust23THRUST_200600_302600_NS6detail15normal_iteratorINSA_10device_ptrIfEEEEPS6_NSA_18transform_iteratorINSB_9not_fun_tI7is_trueIfEEENSC_INSD_IbEEEENSA_11use_defaultESO_EENS0_5tupleIJNSA_16discard_iteratorISO_EES6_EEENSQ_IJSG_SG_EEES6_PlJS6_EEE10hipError_tPvRmT3_T4_T5_T6_T7_T9_mT8_P12ihipStream_tbDpT10_ENKUlT_T0_E_clISt17integral_constantIbLb1EES1F_EEDaS1A_S1B_EUlS1A_E_NS1_11comp_targetILNS1_3genE8ELNS1_11target_archE1030ELNS1_3gpuE2ELNS1_3repE0EEENS1_30default_config_static_selectorELNS0_4arch9wavefront6targetE0EEEvT1_ ; -- Begin function _ZN7rocprim17ROCPRIM_400000_NS6detail17trampoline_kernelINS0_14default_configENS1_25partition_config_selectorILNS1_17partition_subalgoE5EfNS0_10empty_typeEbEEZZNS1_14partition_implILS5_5ELb0ES3_mN6thrust23THRUST_200600_302600_NS6detail15normal_iteratorINSA_10device_ptrIfEEEEPS6_NSA_18transform_iteratorINSB_9not_fun_tI7is_trueIfEEENSC_INSD_IbEEEENSA_11use_defaultESO_EENS0_5tupleIJNSA_16discard_iteratorISO_EES6_EEENSQ_IJSG_SG_EEES6_PlJS6_EEE10hipError_tPvRmT3_T4_T5_T6_T7_T9_mT8_P12ihipStream_tbDpT10_ENKUlT_T0_E_clISt17integral_constantIbLb1EES1F_EEDaS1A_S1B_EUlS1A_E_NS1_11comp_targetILNS1_3genE8ELNS1_11target_archE1030ELNS1_3gpuE2ELNS1_3repE0EEENS1_30default_config_static_selectorELNS0_4arch9wavefront6targetE0EEEvT1_
	.globl	_ZN7rocprim17ROCPRIM_400000_NS6detail17trampoline_kernelINS0_14default_configENS1_25partition_config_selectorILNS1_17partition_subalgoE5EfNS0_10empty_typeEbEEZZNS1_14partition_implILS5_5ELb0ES3_mN6thrust23THRUST_200600_302600_NS6detail15normal_iteratorINSA_10device_ptrIfEEEEPS6_NSA_18transform_iteratorINSB_9not_fun_tI7is_trueIfEEENSC_INSD_IbEEEENSA_11use_defaultESO_EENS0_5tupleIJNSA_16discard_iteratorISO_EES6_EEENSQ_IJSG_SG_EEES6_PlJS6_EEE10hipError_tPvRmT3_T4_T5_T6_T7_T9_mT8_P12ihipStream_tbDpT10_ENKUlT_T0_E_clISt17integral_constantIbLb1EES1F_EEDaS1A_S1B_EUlS1A_E_NS1_11comp_targetILNS1_3genE8ELNS1_11target_archE1030ELNS1_3gpuE2ELNS1_3repE0EEENS1_30default_config_static_selectorELNS0_4arch9wavefront6targetE0EEEvT1_
	.p2align	8
	.type	_ZN7rocprim17ROCPRIM_400000_NS6detail17trampoline_kernelINS0_14default_configENS1_25partition_config_selectorILNS1_17partition_subalgoE5EfNS0_10empty_typeEbEEZZNS1_14partition_implILS5_5ELb0ES3_mN6thrust23THRUST_200600_302600_NS6detail15normal_iteratorINSA_10device_ptrIfEEEEPS6_NSA_18transform_iteratorINSB_9not_fun_tI7is_trueIfEEENSC_INSD_IbEEEENSA_11use_defaultESO_EENS0_5tupleIJNSA_16discard_iteratorISO_EES6_EEENSQ_IJSG_SG_EEES6_PlJS6_EEE10hipError_tPvRmT3_T4_T5_T6_T7_T9_mT8_P12ihipStream_tbDpT10_ENKUlT_T0_E_clISt17integral_constantIbLb1EES1F_EEDaS1A_S1B_EUlS1A_E_NS1_11comp_targetILNS1_3genE8ELNS1_11target_archE1030ELNS1_3gpuE2ELNS1_3repE0EEENS1_30default_config_static_selectorELNS0_4arch9wavefront6targetE0EEEvT1_,@function
_ZN7rocprim17ROCPRIM_400000_NS6detail17trampoline_kernelINS0_14default_configENS1_25partition_config_selectorILNS1_17partition_subalgoE5EfNS0_10empty_typeEbEEZZNS1_14partition_implILS5_5ELb0ES3_mN6thrust23THRUST_200600_302600_NS6detail15normal_iteratorINSA_10device_ptrIfEEEEPS6_NSA_18transform_iteratorINSB_9not_fun_tI7is_trueIfEEENSC_INSD_IbEEEENSA_11use_defaultESO_EENS0_5tupleIJNSA_16discard_iteratorISO_EES6_EEENSQ_IJSG_SG_EEES6_PlJS6_EEE10hipError_tPvRmT3_T4_T5_T6_T7_T9_mT8_P12ihipStream_tbDpT10_ENKUlT_T0_E_clISt17integral_constantIbLb1EES1F_EEDaS1A_S1B_EUlS1A_E_NS1_11comp_targetILNS1_3genE8ELNS1_11target_archE1030ELNS1_3gpuE2ELNS1_3repE0EEENS1_30default_config_static_selectorELNS0_4arch9wavefront6targetE0EEEvT1_: ; @_ZN7rocprim17ROCPRIM_400000_NS6detail17trampoline_kernelINS0_14default_configENS1_25partition_config_selectorILNS1_17partition_subalgoE5EfNS0_10empty_typeEbEEZZNS1_14partition_implILS5_5ELb0ES3_mN6thrust23THRUST_200600_302600_NS6detail15normal_iteratorINSA_10device_ptrIfEEEEPS6_NSA_18transform_iteratorINSB_9not_fun_tI7is_trueIfEEENSC_INSD_IbEEEENSA_11use_defaultESO_EENS0_5tupleIJNSA_16discard_iteratorISO_EES6_EEENSQ_IJSG_SG_EEES6_PlJS6_EEE10hipError_tPvRmT3_T4_T5_T6_T7_T9_mT8_P12ihipStream_tbDpT10_ENKUlT_T0_E_clISt17integral_constantIbLb1EES1F_EEDaS1A_S1B_EUlS1A_E_NS1_11comp_targetILNS1_3genE8ELNS1_11target_archE1030ELNS1_3gpuE2ELNS1_3repE0EEENS1_30default_config_static_selectorELNS0_4arch9wavefront6targetE0EEEvT1_
; %bb.0:
	.section	.rodata,"a",@progbits
	.p2align	6, 0x0
	.amdhsa_kernel _ZN7rocprim17ROCPRIM_400000_NS6detail17trampoline_kernelINS0_14default_configENS1_25partition_config_selectorILNS1_17partition_subalgoE5EfNS0_10empty_typeEbEEZZNS1_14partition_implILS5_5ELb0ES3_mN6thrust23THRUST_200600_302600_NS6detail15normal_iteratorINSA_10device_ptrIfEEEEPS6_NSA_18transform_iteratorINSB_9not_fun_tI7is_trueIfEEENSC_INSD_IbEEEENSA_11use_defaultESO_EENS0_5tupleIJNSA_16discard_iteratorISO_EES6_EEENSQ_IJSG_SG_EEES6_PlJS6_EEE10hipError_tPvRmT3_T4_T5_T6_T7_T9_mT8_P12ihipStream_tbDpT10_ENKUlT_T0_E_clISt17integral_constantIbLb1EES1F_EEDaS1A_S1B_EUlS1A_E_NS1_11comp_targetILNS1_3genE8ELNS1_11target_archE1030ELNS1_3gpuE2ELNS1_3repE0EEENS1_30default_config_static_selectorELNS0_4arch9wavefront6targetE0EEEvT1_
		.amdhsa_group_segment_fixed_size 0
		.amdhsa_private_segment_fixed_size 0
		.amdhsa_kernarg_size 144
		.amdhsa_user_sgpr_count 2
		.amdhsa_user_sgpr_dispatch_ptr 0
		.amdhsa_user_sgpr_queue_ptr 0
		.amdhsa_user_sgpr_kernarg_segment_ptr 1
		.amdhsa_user_sgpr_dispatch_id 0
		.amdhsa_user_sgpr_private_segment_size 0
		.amdhsa_wavefront_size32 1
		.amdhsa_uses_dynamic_stack 0
		.amdhsa_enable_private_segment 0
		.amdhsa_system_sgpr_workgroup_id_x 1
		.amdhsa_system_sgpr_workgroup_id_y 0
		.amdhsa_system_sgpr_workgroup_id_z 0
		.amdhsa_system_sgpr_workgroup_info 0
		.amdhsa_system_vgpr_workitem_id 0
		.amdhsa_next_free_vgpr 1
		.amdhsa_next_free_sgpr 1
		.amdhsa_reserve_vcc 0
		.amdhsa_float_round_mode_32 0
		.amdhsa_float_round_mode_16_64 0
		.amdhsa_float_denorm_mode_32 3
		.amdhsa_float_denorm_mode_16_64 3
		.amdhsa_fp16_overflow 0
		.amdhsa_workgroup_processor_mode 1
		.amdhsa_memory_ordered 1
		.amdhsa_forward_progress 1
		.amdhsa_inst_pref_size 0
		.amdhsa_round_robin_scheduling 0
		.amdhsa_exception_fp_ieee_invalid_op 0
		.amdhsa_exception_fp_denorm_src 0
		.amdhsa_exception_fp_ieee_div_zero 0
		.amdhsa_exception_fp_ieee_overflow 0
		.amdhsa_exception_fp_ieee_underflow 0
		.amdhsa_exception_fp_ieee_inexact 0
		.amdhsa_exception_int_div_zero 0
	.end_amdhsa_kernel
	.section	.text._ZN7rocprim17ROCPRIM_400000_NS6detail17trampoline_kernelINS0_14default_configENS1_25partition_config_selectorILNS1_17partition_subalgoE5EfNS0_10empty_typeEbEEZZNS1_14partition_implILS5_5ELb0ES3_mN6thrust23THRUST_200600_302600_NS6detail15normal_iteratorINSA_10device_ptrIfEEEEPS6_NSA_18transform_iteratorINSB_9not_fun_tI7is_trueIfEEENSC_INSD_IbEEEENSA_11use_defaultESO_EENS0_5tupleIJNSA_16discard_iteratorISO_EES6_EEENSQ_IJSG_SG_EEES6_PlJS6_EEE10hipError_tPvRmT3_T4_T5_T6_T7_T9_mT8_P12ihipStream_tbDpT10_ENKUlT_T0_E_clISt17integral_constantIbLb1EES1F_EEDaS1A_S1B_EUlS1A_E_NS1_11comp_targetILNS1_3genE8ELNS1_11target_archE1030ELNS1_3gpuE2ELNS1_3repE0EEENS1_30default_config_static_selectorELNS0_4arch9wavefront6targetE0EEEvT1_,"axG",@progbits,_ZN7rocprim17ROCPRIM_400000_NS6detail17trampoline_kernelINS0_14default_configENS1_25partition_config_selectorILNS1_17partition_subalgoE5EfNS0_10empty_typeEbEEZZNS1_14partition_implILS5_5ELb0ES3_mN6thrust23THRUST_200600_302600_NS6detail15normal_iteratorINSA_10device_ptrIfEEEEPS6_NSA_18transform_iteratorINSB_9not_fun_tI7is_trueIfEEENSC_INSD_IbEEEENSA_11use_defaultESO_EENS0_5tupleIJNSA_16discard_iteratorISO_EES6_EEENSQ_IJSG_SG_EEES6_PlJS6_EEE10hipError_tPvRmT3_T4_T5_T6_T7_T9_mT8_P12ihipStream_tbDpT10_ENKUlT_T0_E_clISt17integral_constantIbLb1EES1F_EEDaS1A_S1B_EUlS1A_E_NS1_11comp_targetILNS1_3genE8ELNS1_11target_archE1030ELNS1_3gpuE2ELNS1_3repE0EEENS1_30default_config_static_selectorELNS0_4arch9wavefront6targetE0EEEvT1_,comdat
.Lfunc_end2636:
	.size	_ZN7rocprim17ROCPRIM_400000_NS6detail17trampoline_kernelINS0_14default_configENS1_25partition_config_selectorILNS1_17partition_subalgoE5EfNS0_10empty_typeEbEEZZNS1_14partition_implILS5_5ELb0ES3_mN6thrust23THRUST_200600_302600_NS6detail15normal_iteratorINSA_10device_ptrIfEEEEPS6_NSA_18transform_iteratorINSB_9not_fun_tI7is_trueIfEEENSC_INSD_IbEEEENSA_11use_defaultESO_EENS0_5tupleIJNSA_16discard_iteratorISO_EES6_EEENSQ_IJSG_SG_EEES6_PlJS6_EEE10hipError_tPvRmT3_T4_T5_T6_T7_T9_mT8_P12ihipStream_tbDpT10_ENKUlT_T0_E_clISt17integral_constantIbLb1EES1F_EEDaS1A_S1B_EUlS1A_E_NS1_11comp_targetILNS1_3genE8ELNS1_11target_archE1030ELNS1_3gpuE2ELNS1_3repE0EEENS1_30default_config_static_selectorELNS0_4arch9wavefront6targetE0EEEvT1_, .Lfunc_end2636-_ZN7rocprim17ROCPRIM_400000_NS6detail17trampoline_kernelINS0_14default_configENS1_25partition_config_selectorILNS1_17partition_subalgoE5EfNS0_10empty_typeEbEEZZNS1_14partition_implILS5_5ELb0ES3_mN6thrust23THRUST_200600_302600_NS6detail15normal_iteratorINSA_10device_ptrIfEEEEPS6_NSA_18transform_iteratorINSB_9not_fun_tI7is_trueIfEEENSC_INSD_IbEEEENSA_11use_defaultESO_EENS0_5tupleIJNSA_16discard_iteratorISO_EES6_EEENSQ_IJSG_SG_EEES6_PlJS6_EEE10hipError_tPvRmT3_T4_T5_T6_T7_T9_mT8_P12ihipStream_tbDpT10_ENKUlT_T0_E_clISt17integral_constantIbLb1EES1F_EEDaS1A_S1B_EUlS1A_E_NS1_11comp_targetILNS1_3genE8ELNS1_11target_archE1030ELNS1_3gpuE2ELNS1_3repE0EEENS1_30default_config_static_selectorELNS0_4arch9wavefront6targetE0EEEvT1_
                                        ; -- End function
	.set _ZN7rocprim17ROCPRIM_400000_NS6detail17trampoline_kernelINS0_14default_configENS1_25partition_config_selectorILNS1_17partition_subalgoE5EfNS0_10empty_typeEbEEZZNS1_14partition_implILS5_5ELb0ES3_mN6thrust23THRUST_200600_302600_NS6detail15normal_iteratorINSA_10device_ptrIfEEEEPS6_NSA_18transform_iteratorINSB_9not_fun_tI7is_trueIfEEENSC_INSD_IbEEEENSA_11use_defaultESO_EENS0_5tupleIJNSA_16discard_iteratorISO_EES6_EEENSQ_IJSG_SG_EEES6_PlJS6_EEE10hipError_tPvRmT3_T4_T5_T6_T7_T9_mT8_P12ihipStream_tbDpT10_ENKUlT_T0_E_clISt17integral_constantIbLb1EES1F_EEDaS1A_S1B_EUlS1A_E_NS1_11comp_targetILNS1_3genE8ELNS1_11target_archE1030ELNS1_3gpuE2ELNS1_3repE0EEENS1_30default_config_static_selectorELNS0_4arch9wavefront6targetE0EEEvT1_.num_vgpr, 0
	.set _ZN7rocprim17ROCPRIM_400000_NS6detail17trampoline_kernelINS0_14default_configENS1_25partition_config_selectorILNS1_17partition_subalgoE5EfNS0_10empty_typeEbEEZZNS1_14partition_implILS5_5ELb0ES3_mN6thrust23THRUST_200600_302600_NS6detail15normal_iteratorINSA_10device_ptrIfEEEEPS6_NSA_18transform_iteratorINSB_9not_fun_tI7is_trueIfEEENSC_INSD_IbEEEENSA_11use_defaultESO_EENS0_5tupleIJNSA_16discard_iteratorISO_EES6_EEENSQ_IJSG_SG_EEES6_PlJS6_EEE10hipError_tPvRmT3_T4_T5_T6_T7_T9_mT8_P12ihipStream_tbDpT10_ENKUlT_T0_E_clISt17integral_constantIbLb1EES1F_EEDaS1A_S1B_EUlS1A_E_NS1_11comp_targetILNS1_3genE8ELNS1_11target_archE1030ELNS1_3gpuE2ELNS1_3repE0EEENS1_30default_config_static_selectorELNS0_4arch9wavefront6targetE0EEEvT1_.num_agpr, 0
	.set _ZN7rocprim17ROCPRIM_400000_NS6detail17trampoline_kernelINS0_14default_configENS1_25partition_config_selectorILNS1_17partition_subalgoE5EfNS0_10empty_typeEbEEZZNS1_14partition_implILS5_5ELb0ES3_mN6thrust23THRUST_200600_302600_NS6detail15normal_iteratorINSA_10device_ptrIfEEEEPS6_NSA_18transform_iteratorINSB_9not_fun_tI7is_trueIfEEENSC_INSD_IbEEEENSA_11use_defaultESO_EENS0_5tupleIJNSA_16discard_iteratorISO_EES6_EEENSQ_IJSG_SG_EEES6_PlJS6_EEE10hipError_tPvRmT3_T4_T5_T6_T7_T9_mT8_P12ihipStream_tbDpT10_ENKUlT_T0_E_clISt17integral_constantIbLb1EES1F_EEDaS1A_S1B_EUlS1A_E_NS1_11comp_targetILNS1_3genE8ELNS1_11target_archE1030ELNS1_3gpuE2ELNS1_3repE0EEENS1_30default_config_static_selectorELNS0_4arch9wavefront6targetE0EEEvT1_.numbered_sgpr, 0
	.set _ZN7rocprim17ROCPRIM_400000_NS6detail17trampoline_kernelINS0_14default_configENS1_25partition_config_selectorILNS1_17partition_subalgoE5EfNS0_10empty_typeEbEEZZNS1_14partition_implILS5_5ELb0ES3_mN6thrust23THRUST_200600_302600_NS6detail15normal_iteratorINSA_10device_ptrIfEEEEPS6_NSA_18transform_iteratorINSB_9not_fun_tI7is_trueIfEEENSC_INSD_IbEEEENSA_11use_defaultESO_EENS0_5tupleIJNSA_16discard_iteratorISO_EES6_EEENSQ_IJSG_SG_EEES6_PlJS6_EEE10hipError_tPvRmT3_T4_T5_T6_T7_T9_mT8_P12ihipStream_tbDpT10_ENKUlT_T0_E_clISt17integral_constantIbLb1EES1F_EEDaS1A_S1B_EUlS1A_E_NS1_11comp_targetILNS1_3genE8ELNS1_11target_archE1030ELNS1_3gpuE2ELNS1_3repE0EEENS1_30default_config_static_selectorELNS0_4arch9wavefront6targetE0EEEvT1_.num_named_barrier, 0
	.set _ZN7rocprim17ROCPRIM_400000_NS6detail17trampoline_kernelINS0_14default_configENS1_25partition_config_selectorILNS1_17partition_subalgoE5EfNS0_10empty_typeEbEEZZNS1_14partition_implILS5_5ELb0ES3_mN6thrust23THRUST_200600_302600_NS6detail15normal_iteratorINSA_10device_ptrIfEEEEPS6_NSA_18transform_iteratorINSB_9not_fun_tI7is_trueIfEEENSC_INSD_IbEEEENSA_11use_defaultESO_EENS0_5tupleIJNSA_16discard_iteratorISO_EES6_EEENSQ_IJSG_SG_EEES6_PlJS6_EEE10hipError_tPvRmT3_T4_T5_T6_T7_T9_mT8_P12ihipStream_tbDpT10_ENKUlT_T0_E_clISt17integral_constantIbLb1EES1F_EEDaS1A_S1B_EUlS1A_E_NS1_11comp_targetILNS1_3genE8ELNS1_11target_archE1030ELNS1_3gpuE2ELNS1_3repE0EEENS1_30default_config_static_selectorELNS0_4arch9wavefront6targetE0EEEvT1_.private_seg_size, 0
	.set _ZN7rocprim17ROCPRIM_400000_NS6detail17trampoline_kernelINS0_14default_configENS1_25partition_config_selectorILNS1_17partition_subalgoE5EfNS0_10empty_typeEbEEZZNS1_14partition_implILS5_5ELb0ES3_mN6thrust23THRUST_200600_302600_NS6detail15normal_iteratorINSA_10device_ptrIfEEEEPS6_NSA_18transform_iteratorINSB_9not_fun_tI7is_trueIfEEENSC_INSD_IbEEEENSA_11use_defaultESO_EENS0_5tupleIJNSA_16discard_iteratorISO_EES6_EEENSQ_IJSG_SG_EEES6_PlJS6_EEE10hipError_tPvRmT3_T4_T5_T6_T7_T9_mT8_P12ihipStream_tbDpT10_ENKUlT_T0_E_clISt17integral_constantIbLb1EES1F_EEDaS1A_S1B_EUlS1A_E_NS1_11comp_targetILNS1_3genE8ELNS1_11target_archE1030ELNS1_3gpuE2ELNS1_3repE0EEENS1_30default_config_static_selectorELNS0_4arch9wavefront6targetE0EEEvT1_.uses_vcc, 0
	.set _ZN7rocprim17ROCPRIM_400000_NS6detail17trampoline_kernelINS0_14default_configENS1_25partition_config_selectorILNS1_17partition_subalgoE5EfNS0_10empty_typeEbEEZZNS1_14partition_implILS5_5ELb0ES3_mN6thrust23THRUST_200600_302600_NS6detail15normal_iteratorINSA_10device_ptrIfEEEEPS6_NSA_18transform_iteratorINSB_9not_fun_tI7is_trueIfEEENSC_INSD_IbEEEENSA_11use_defaultESO_EENS0_5tupleIJNSA_16discard_iteratorISO_EES6_EEENSQ_IJSG_SG_EEES6_PlJS6_EEE10hipError_tPvRmT3_T4_T5_T6_T7_T9_mT8_P12ihipStream_tbDpT10_ENKUlT_T0_E_clISt17integral_constantIbLb1EES1F_EEDaS1A_S1B_EUlS1A_E_NS1_11comp_targetILNS1_3genE8ELNS1_11target_archE1030ELNS1_3gpuE2ELNS1_3repE0EEENS1_30default_config_static_selectorELNS0_4arch9wavefront6targetE0EEEvT1_.uses_flat_scratch, 0
	.set _ZN7rocprim17ROCPRIM_400000_NS6detail17trampoline_kernelINS0_14default_configENS1_25partition_config_selectorILNS1_17partition_subalgoE5EfNS0_10empty_typeEbEEZZNS1_14partition_implILS5_5ELb0ES3_mN6thrust23THRUST_200600_302600_NS6detail15normal_iteratorINSA_10device_ptrIfEEEEPS6_NSA_18transform_iteratorINSB_9not_fun_tI7is_trueIfEEENSC_INSD_IbEEEENSA_11use_defaultESO_EENS0_5tupleIJNSA_16discard_iteratorISO_EES6_EEENSQ_IJSG_SG_EEES6_PlJS6_EEE10hipError_tPvRmT3_T4_T5_T6_T7_T9_mT8_P12ihipStream_tbDpT10_ENKUlT_T0_E_clISt17integral_constantIbLb1EES1F_EEDaS1A_S1B_EUlS1A_E_NS1_11comp_targetILNS1_3genE8ELNS1_11target_archE1030ELNS1_3gpuE2ELNS1_3repE0EEENS1_30default_config_static_selectorELNS0_4arch9wavefront6targetE0EEEvT1_.has_dyn_sized_stack, 0
	.set _ZN7rocprim17ROCPRIM_400000_NS6detail17trampoline_kernelINS0_14default_configENS1_25partition_config_selectorILNS1_17partition_subalgoE5EfNS0_10empty_typeEbEEZZNS1_14partition_implILS5_5ELb0ES3_mN6thrust23THRUST_200600_302600_NS6detail15normal_iteratorINSA_10device_ptrIfEEEEPS6_NSA_18transform_iteratorINSB_9not_fun_tI7is_trueIfEEENSC_INSD_IbEEEENSA_11use_defaultESO_EENS0_5tupleIJNSA_16discard_iteratorISO_EES6_EEENSQ_IJSG_SG_EEES6_PlJS6_EEE10hipError_tPvRmT3_T4_T5_T6_T7_T9_mT8_P12ihipStream_tbDpT10_ENKUlT_T0_E_clISt17integral_constantIbLb1EES1F_EEDaS1A_S1B_EUlS1A_E_NS1_11comp_targetILNS1_3genE8ELNS1_11target_archE1030ELNS1_3gpuE2ELNS1_3repE0EEENS1_30default_config_static_selectorELNS0_4arch9wavefront6targetE0EEEvT1_.has_recursion, 0
	.set _ZN7rocprim17ROCPRIM_400000_NS6detail17trampoline_kernelINS0_14default_configENS1_25partition_config_selectorILNS1_17partition_subalgoE5EfNS0_10empty_typeEbEEZZNS1_14partition_implILS5_5ELb0ES3_mN6thrust23THRUST_200600_302600_NS6detail15normal_iteratorINSA_10device_ptrIfEEEEPS6_NSA_18transform_iteratorINSB_9not_fun_tI7is_trueIfEEENSC_INSD_IbEEEENSA_11use_defaultESO_EENS0_5tupleIJNSA_16discard_iteratorISO_EES6_EEENSQ_IJSG_SG_EEES6_PlJS6_EEE10hipError_tPvRmT3_T4_T5_T6_T7_T9_mT8_P12ihipStream_tbDpT10_ENKUlT_T0_E_clISt17integral_constantIbLb1EES1F_EEDaS1A_S1B_EUlS1A_E_NS1_11comp_targetILNS1_3genE8ELNS1_11target_archE1030ELNS1_3gpuE2ELNS1_3repE0EEENS1_30default_config_static_selectorELNS0_4arch9wavefront6targetE0EEEvT1_.has_indirect_call, 0
	.section	.AMDGPU.csdata,"",@progbits
; Kernel info:
; codeLenInByte = 0
; TotalNumSgprs: 0
; NumVgprs: 0
; ScratchSize: 0
; MemoryBound: 0
; FloatMode: 240
; IeeeMode: 1
; LDSByteSize: 0 bytes/workgroup (compile time only)
; SGPRBlocks: 0
; VGPRBlocks: 0
; NumSGPRsForWavesPerEU: 1
; NumVGPRsForWavesPerEU: 1
; Occupancy: 16
; WaveLimiterHint : 0
; COMPUTE_PGM_RSRC2:SCRATCH_EN: 0
; COMPUTE_PGM_RSRC2:USER_SGPR: 2
; COMPUTE_PGM_RSRC2:TRAP_HANDLER: 0
; COMPUTE_PGM_RSRC2:TGID_X_EN: 1
; COMPUTE_PGM_RSRC2:TGID_Y_EN: 0
; COMPUTE_PGM_RSRC2:TGID_Z_EN: 0
; COMPUTE_PGM_RSRC2:TIDIG_COMP_CNT: 0
	.section	.text._ZN7rocprim17ROCPRIM_400000_NS6detail17trampoline_kernelINS0_14default_configENS1_25partition_config_selectorILNS1_17partition_subalgoE5EfNS0_10empty_typeEbEEZZNS1_14partition_implILS5_5ELb0ES3_mN6thrust23THRUST_200600_302600_NS6detail15normal_iteratorINSA_10device_ptrIfEEEEPS6_NSA_18transform_iteratorINSB_9not_fun_tI7is_trueIfEEENSC_INSD_IbEEEENSA_11use_defaultESO_EENS0_5tupleIJNSA_16discard_iteratorISO_EES6_EEENSQ_IJSG_SG_EEES6_PlJS6_EEE10hipError_tPvRmT3_T4_T5_T6_T7_T9_mT8_P12ihipStream_tbDpT10_ENKUlT_T0_E_clISt17integral_constantIbLb1EES1E_IbLb0EEEEDaS1A_S1B_EUlS1A_E_NS1_11comp_targetILNS1_3genE0ELNS1_11target_archE4294967295ELNS1_3gpuE0ELNS1_3repE0EEENS1_30default_config_static_selectorELNS0_4arch9wavefront6targetE0EEEvT1_,"axG",@progbits,_ZN7rocprim17ROCPRIM_400000_NS6detail17trampoline_kernelINS0_14default_configENS1_25partition_config_selectorILNS1_17partition_subalgoE5EfNS0_10empty_typeEbEEZZNS1_14partition_implILS5_5ELb0ES3_mN6thrust23THRUST_200600_302600_NS6detail15normal_iteratorINSA_10device_ptrIfEEEEPS6_NSA_18transform_iteratorINSB_9not_fun_tI7is_trueIfEEENSC_INSD_IbEEEENSA_11use_defaultESO_EENS0_5tupleIJNSA_16discard_iteratorISO_EES6_EEENSQ_IJSG_SG_EEES6_PlJS6_EEE10hipError_tPvRmT3_T4_T5_T6_T7_T9_mT8_P12ihipStream_tbDpT10_ENKUlT_T0_E_clISt17integral_constantIbLb1EES1E_IbLb0EEEEDaS1A_S1B_EUlS1A_E_NS1_11comp_targetILNS1_3genE0ELNS1_11target_archE4294967295ELNS1_3gpuE0ELNS1_3repE0EEENS1_30default_config_static_selectorELNS0_4arch9wavefront6targetE0EEEvT1_,comdat
	.protected	_ZN7rocprim17ROCPRIM_400000_NS6detail17trampoline_kernelINS0_14default_configENS1_25partition_config_selectorILNS1_17partition_subalgoE5EfNS0_10empty_typeEbEEZZNS1_14partition_implILS5_5ELb0ES3_mN6thrust23THRUST_200600_302600_NS6detail15normal_iteratorINSA_10device_ptrIfEEEEPS6_NSA_18transform_iteratorINSB_9not_fun_tI7is_trueIfEEENSC_INSD_IbEEEENSA_11use_defaultESO_EENS0_5tupleIJNSA_16discard_iteratorISO_EES6_EEENSQ_IJSG_SG_EEES6_PlJS6_EEE10hipError_tPvRmT3_T4_T5_T6_T7_T9_mT8_P12ihipStream_tbDpT10_ENKUlT_T0_E_clISt17integral_constantIbLb1EES1E_IbLb0EEEEDaS1A_S1B_EUlS1A_E_NS1_11comp_targetILNS1_3genE0ELNS1_11target_archE4294967295ELNS1_3gpuE0ELNS1_3repE0EEENS1_30default_config_static_selectorELNS0_4arch9wavefront6targetE0EEEvT1_ ; -- Begin function _ZN7rocprim17ROCPRIM_400000_NS6detail17trampoline_kernelINS0_14default_configENS1_25partition_config_selectorILNS1_17partition_subalgoE5EfNS0_10empty_typeEbEEZZNS1_14partition_implILS5_5ELb0ES3_mN6thrust23THRUST_200600_302600_NS6detail15normal_iteratorINSA_10device_ptrIfEEEEPS6_NSA_18transform_iteratorINSB_9not_fun_tI7is_trueIfEEENSC_INSD_IbEEEENSA_11use_defaultESO_EENS0_5tupleIJNSA_16discard_iteratorISO_EES6_EEENSQ_IJSG_SG_EEES6_PlJS6_EEE10hipError_tPvRmT3_T4_T5_T6_T7_T9_mT8_P12ihipStream_tbDpT10_ENKUlT_T0_E_clISt17integral_constantIbLb1EES1E_IbLb0EEEEDaS1A_S1B_EUlS1A_E_NS1_11comp_targetILNS1_3genE0ELNS1_11target_archE4294967295ELNS1_3gpuE0ELNS1_3repE0EEENS1_30default_config_static_selectorELNS0_4arch9wavefront6targetE0EEEvT1_
	.globl	_ZN7rocprim17ROCPRIM_400000_NS6detail17trampoline_kernelINS0_14default_configENS1_25partition_config_selectorILNS1_17partition_subalgoE5EfNS0_10empty_typeEbEEZZNS1_14partition_implILS5_5ELb0ES3_mN6thrust23THRUST_200600_302600_NS6detail15normal_iteratorINSA_10device_ptrIfEEEEPS6_NSA_18transform_iteratorINSB_9not_fun_tI7is_trueIfEEENSC_INSD_IbEEEENSA_11use_defaultESO_EENS0_5tupleIJNSA_16discard_iteratorISO_EES6_EEENSQ_IJSG_SG_EEES6_PlJS6_EEE10hipError_tPvRmT3_T4_T5_T6_T7_T9_mT8_P12ihipStream_tbDpT10_ENKUlT_T0_E_clISt17integral_constantIbLb1EES1E_IbLb0EEEEDaS1A_S1B_EUlS1A_E_NS1_11comp_targetILNS1_3genE0ELNS1_11target_archE4294967295ELNS1_3gpuE0ELNS1_3repE0EEENS1_30default_config_static_selectorELNS0_4arch9wavefront6targetE0EEEvT1_
	.p2align	8
	.type	_ZN7rocprim17ROCPRIM_400000_NS6detail17trampoline_kernelINS0_14default_configENS1_25partition_config_selectorILNS1_17partition_subalgoE5EfNS0_10empty_typeEbEEZZNS1_14partition_implILS5_5ELb0ES3_mN6thrust23THRUST_200600_302600_NS6detail15normal_iteratorINSA_10device_ptrIfEEEEPS6_NSA_18transform_iteratorINSB_9not_fun_tI7is_trueIfEEENSC_INSD_IbEEEENSA_11use_defaultESO_EENS0_5tupleIJNSA_16discard_iteratorISO_EES6_EEENSQ_IJSG_SG_EEES6_PlJS6_EEE10hipError_tPvRmT3_T4_T5_T6_T7_T9_mT8_P12ihipStream_tbDpT10_ENKUlT_T0_E_clISt17integral_constantIbLb1EES1E_IbLb0EEEEDaS1A_S1B_EUlS1A_E_NS1_11comp_targetILNS1_3genE0ELNS1_11target_archE4294967295ELNS1_3gpuE0ELNS1_3repE0EEENS1_30default_config_static_selectorELNS0_4arch9wavefront6targetE0EEEvT1_,@function
_ZN7rocprim17ROCPRIM_400000_NS6detail17trampoline_kernelINS0_14default_configENS1_25partition_config_selectorILNS1_17partition_subalgoE5EfNS0_10empty_typeEbEEZZNS1_14partition_implILS5_5ELb0ES3_mN6thrust23THRUST_200600_302600_NS6detail15normal_iteratorINSA_10device_ptrIfEEEEPS6_NSA_18transform_iteratorINSB_9not_fun_tI7is_trueIfEEENSC_INSD_IbEEEENSA_11use_defaultESO_EENS0_5tupleIJNSA_16discard_iteratorISO_EES6_EEENSQ_IJSG_SG_EEES6_PlJS6_EEE10hipError_tPvRmT3_T4_T5_T6_T7_T9_mT8_P12ihipStream_tbDpT10_ENKUlT_T0_E_clISt17integral_constantIbLb1EES1E_IbLb0EEEEDaS1A_S1B_EUlS1A_E_NS1_11comp_targetILNS1_3genE0ELNS1_11target_archE4294967295ELNS1_3gpuE0ELNS1_3repE0EEENS1_30default_config_static_selectorELNS0_4arch9wavefront6targetE0EEEvT1_: ; @_ZN7rocprim17ROCPRIM_400000_NS6detail17trampoline_kernelINS0_14default_configENS1_25partition_config_selectorILNS1_17partition_subalgoE5EfNS0_10empty_typeEbEEZZNS1_14partition_implILS5_5ELb0ES3_mN6thrust23THRUST_200600_302600_NS6detail15normal_iteratorINSA_10device_ptrIfEEEEPS6_NSA_18transform_iteratorINSB_9not_fun_tI7is_trueIfEEENSC_INSD_IbEEEENSA_11use_defaultESO_EENS0_5tupleIJNSA_16discard_iteratorISO_EES6_EEENSQ_IJSG_SG_EEES6_PlJS6_EEE10hipError_tPvRmT3_T4_T5_T6_T7_T9_mT8_P12ihipStream_tbDpT10_ENKUlT_T0_E_clISt17integral_constantIbLb1EES1E_IbLb0EEEEDaS1A_S1B_EUlS1A_E_NS1_11comp_targetILNS1_3genE0ELNS1_11target_archE4294967295ELNS1_3gpuE0ELNS1_3repE0EEENS1_30default_config_static_selectorELNS0_4arch9wavefront6targetE0EEEvT1_
; %bb.0:
	.section	.rodata,"a",@progbits
	.p2align	6, 0x0
	.amdhsa_kernel _ZN7rocprim17ROCPRIM_400000_NS6detail17trampoline_kernelINS0_14default_configENS1_25partition_config_selectorILNS1_17partition_subalgoE5EfNS0_10empty_typeEbEEZZNS1_14partition_implILS5_5ELb0ES3_mN6thrust23THRUST_200600_302600_NS6detail15normal_iteratorINSA_10device_ptrIfEEEEPS6_NSA_18transform_iteratorINSB_9not_fun_tI7is_trueIfEEENSC_INSD_IbEEEENSA_11use_defaultESO_EENS0_5tupleIJNSA_16discard_iteratorISO_EES6_EEENSQ_IJSG_SG_EEES6_PlJS6_EEE10hipError_tPvRmT3_T4_T5_T6_T7_T9_mT8_P12ihipStream_tbDpT10_ENKUlT_T0_E_clISt17integral_constantIbLb1EES1E_IbLb0EEEEDaS1A_S1B_EUlS1A_E_NS1_11comp_targetILNS1_3genE0ELNS1_11target_archE4294967295ELNS1_3gpuE0ELNS1_3repE0EEENS1_30default_config_static_selectorELNS0_4arch9wavefront6targetE0EEEvT1_
		.amdhsa_group_segment_fixed_size 0
		.amdhsa_private_segment_fixed_size 0
		.amdhsa_kernarg_size 128
		.amdhsa_user_sgpr_count 2
		.amdhsa_user_sgpr_dispatch_ptr 0
		.amdhsa_user_sgpr_queue_ptr 0
		.amdhsa_user_sgpr_kernarg_segment_ptr 1
		.amdhsa_user_sgpr_dispatch_id 0
		.amdhsa_user_sgpr_private_segment_size 0
		.amdhsa_wavefront_size32 1
		.amdhsa_uses_dynamic_stack 0
		.amdhsa_enable_private_segment 0
		.amdhsa_system_sgpr_workgroup_id_x 1
		.amdhsa_system_sgpr_workgroup_id_y 0
		.amdhsa_system_sgpr_workgroup_id_z 0
		.amdhsa_system_sgpr_workgroup_info 0
		.amdhsa_system_vgpr_workitem_id 0
		.amdhsa_next_free_vgpr 1
		.amdhsa_next_free_sgpr 1
		.amdhsa_reserve_vcc 0
		.amdhsa_float_round_mode_32 0
		.amdhsa_float_round_mode_16_64 0
		.amdhsa_float_denorm_mode_32 3
		.amdhsa_float_denorm_mode_16_64 3
		.amdhsa_fp16_overflow 0
		.amdhsa_workgroup_processor_mode 1
		.amdhsa_memory_ordered 1
		.amdhsa_forward_progress 1
		.amdhsa_inst_pref_size 0
		.amdhsa_round_robin_scheduling 0
		.amdhsa_exception_fp_ieee_invalid_op 0
		.amdhsa_exception_fp_denorm_src 0
		.amdhsa_exception_fp_ieee_div_zero 0
		.amdhsa_exception_fp_ieee_overflow 0
		.amdhsa_exception_fp_ieee_underflow 0
		.amdhsa_exception_fp_ieee_inexact 0
		.amdhsa_exception_int_div_zero 0
	.end_amdhsa_kernel
	.section	.text._ZN7rocprim17ROCPRIM_400000_NS6detail17trampoline_kernelINS0_14default_configENS1_25partition_config_selectorILNS1_17partition_subalgoE5EfNS0_10empty_typeEbEEZZNS1_14partition_implILS5_5ELb0ES3_mN6thrust23THRUST_200600_302600_NS6detail15normal_iteratorINSA_10device_ptrIfEEEEPS6_NSA_18transform_iteratorINSB_9not_fun_tI7is_trueIfEEENSC_INSD_IbEEEENSA_11use_defaultESO_EENS0_5tupleIJNSA_16discard_iteratorISO_EES6_EEENSQ_IJSG_SG_EEES6_PlJS6_EEE10hipError_tPvRmT3_T4_T5_T6_T7_T9_mT8_P12ihipStream_tbDpT10_ENKUlT_T0_E_clISt17integral_constantIbLb1EES1E_IbLb0EEEEDaS1A_S1B_EUlS1A_E_NS1_11comp_targetILNS1_3genE0ELNS1_11target_archE4294967295ELNS1_3gpuE0ELNS1_3repE0EEENS1_30default_config_static_selectorELNS0_4arch9wavefront6targetE0EEEvT1_,"axG",@progbits,_ZN7rocprim17ROCPRIM_400000_NS6detail17trampoline_kernelINS0_14default_configENS1_25partition_config_selectorILNS1_17partition_subalgoE5EfNS0_10empty_typeEbEEZZNS1_14partition_implILS5_5ELb0ES3_mN6thrust23THRUST_200600_302600_NS6detail15normal_iteratorINSA_10device_ptrIfEEEEPS6_NSA_18transform_iteratorINSB_9not_fun_tI7is_trueIfEEENSC_INSD_IbEEEENSA_11use_defaultESO_EENS0_5tupleIJNSA_16discard_iteratorISO_EES6_EEENSQ_IJSG_SG_EEES6_PlJS6_EEE10hipError_tPvRmT3_T4_T5_T6_T7_T9_mT8_P12ihipStream_tbDpT10_ENKUlT_T0_E_clISt17integral_constantIbLb1EES1E_IbLb0EEEEDaS1A_S1B_EUlS1A_E_NS1_11comp_targetILNS1_3genE0ELNS1_11target_archE4294967295ELNS1_3gpuE0ELNS1_3repE0EEENS1_30default_config_static_selectorELNS0_4arch9wavefront6targetE0EEEvT1_,comdat
.Lfunc_end2637:
	.size	_ZN7rocprim17ROCPRIM_400000_NS6detail17trampoline_kernelINS0_14default_configENS1_25partition_config_selectorILNS1_17partition_subalgoE5EfNS0_10empty_typeEbEEZZNS1_14partition_implILS5_5ELb0ES3_mN6thrust23THRUST_200600_302600_NS6detail15normal_iteratorINSA_10device_ptrIfEEEEPS6_NSA_18transform_iteratorINSB_9not_fun_tI7is_trueIfEEENSC_INSD_IbEEEENSA_11use_defaultESO_EENS0_5tupleIJNSA_16discard_iteratorISO_EES6_EEENSQ_IJSG_SG_EEES6_PlJS6_EEE10hipError_tPvRmT3_T4_T5_T6_T7_T9_mT8_P12ihipStream_tbDpT10_ENKUlT_T0_E_clISt17integral_constantIbLb1EES1E_IbLb0EEEEDaS1A_S1B_EUlS1A_E_NS1_11comp_targetILNS1_3genE0ELNS1_11target_archE4294967295ELNS1_3gpuE0ELNS1_3repE0EEENS1_30default_config_static_selectorELNS0_4arch9wavefront6targetE0EEEvT1_, .Lfunc_end2637-_ZN7rocprim17ROCPRIM_400000_NS6detail17trampoline_kernelINS0_14default_configENS1_25partition_config_selectorILNS1_17partition_subalgoE5EfNS0_10empty_typeEbEEZZNS1_14partition_implILS5_5ELb0ES3_mN6thrust23THRUST_200600_302600_NS6detail15normal_iteratorINSA_10device_ptrIfEEEEPS6_NSA_18transform_iteratorINSB_9not_fun_tI7is_trueIfEEENSC_INSD_IbEEEENSA_11use_defaultESO_EENS0_5tupleIJNSA_16discard_iteratorISO_EES6_EEENSQ_IJSG_SG_EEES6_PlJS6_EEE10hipError_tPvRmT3_T4_T5_T6_T7_T9_mT8_P12ihipStream_tbDpT10_ENKUlT_T0_E_clISt17integral_constantIbLb1EES1E_IbLb0EEEEDaS1A_S1B_EUlS1A_E_NS1_11comp_targetILNS1_3genE0ELNS1_11target_archE4294967295ELNS1_3gpuE0ELNS1_3repE0EEENS1_30default_config_static_selectorELNS0_4arch9wavefront6targetE0EEEvT1_
                                        ; -- End function
	.set _ZN7rocprim17ROCPRIM_400000_NS6detail17trampoline_kernelINS0_14default_configENS1_25partition_config_selectorILNS1_17partition_subalgoE5EfNS0_10empty_typeEbEEZZNS1_14partition_implILS5_5ELb0ES3_mN6thrust23THRUST_200600_302600_NS6detail15normal_iteratorINSA_10device_ptrIfEEEEPS6_NSA_18transform_iteratorINSB_9not_fun_tI7is_trueIfEEENSC_INSD_IbEEEENSA_11use_defaultESO_EENS0_5tupleIJNSA_16discard_iteratorISO_EES6_EEENSQ_IJSG_SG_EEES6_PlJS6_EEE10hipError_tPvRmT3_T4_T5_T6_T7_T9_mT8_P12ihipStream_tbDpT10_ENKUlT_T0_E_clISt17integral_constantIbLb1EES1E_IbLb0EEEEDaS1A_S1B_EUlS1A_E_NS1_11comp_targetILNS1_3genE0ELNS1_11target_archE4294967295ELNS1_3gpuE0ELNS1_3repE0EEENS1_30default_config_static_selectorELNS0_4arch9wavefront6targetE0EEEvT1_.num_vgpr, 0
	.set _ZN7rocprim17ROCPRIM_400000_NS6detail17trampoline_kernelINS0_14default_configENS1_25partition_config_selectorILNS1_17partition_subalgoE5EfNS0_10empty_typeEbEEZZNS1_14partition_implILS5_5ELb0ES3_mN6thrust23THRUST_200600_302600_NS6detail15normal_iteratorINSA_10device_ptrIfEEEEPS6_NSA_18transform_iteratorINSB_9not_fun_tI7is_trueIfEEENSC_INSD_IbEEEENSA_11use_defaultESO_EENS0_5tupleIJNSA_16discard_iteratorISO_EES6_EEENSQ_IJSG_SG_EEES6_PlJS6_EEE10hipError_tPvRmT3_T4_T5_T6_T7_T9_mT8_P12ihipStream_tbDpT10_ENKUlT_T0_E_clISt17integral_constantIbLb1EES1E_IbLb0EEEEDaS1A_S1B_EUlS1A_E_NS1_11comp_targetILNS1_3genE0ELNS1_11target_archE4294967295ELNS1_3gpuE0ELNS1_3repE0EEENS1_30default_config_static_selectorELNS0_4arch9wavefront6targetE0EEEvT1_.num_agpr, 0
	.set _ZN7rocprim17ROCPRIM_400000_NS6detail17trampoline_kernelINS0_14default_configENS1_25partition_config_selectorILNS1_17partition_subalgoE5EfNS0_10empty_typeEbEEZZNS1_14partition_implILS5_5ELb0ES3_mN6thrust23THRUST_200600_302600_NS6detail15normal_iteratorINSA_10device_ptrIfEEEEPS6_NSA_18transform_iteratorINSB_9not_fun_tI7is_trueIfEEENSC_INSD_IbEEEENSA_11use_defaultESO_EENS0_5tupleIJNSA_16discard_iteratorISO_EES6_EEENSQ_IJSG_SG_EEES6_PlJS6_EEE10hipError_tPvRmT3_T4_T5_T6_T7_T9_mT8_P12ihipStream_tbDpT10_ENKUlT_T0_E_clISt17integral_constantIbLb1EES1E_IbLb0EEEEDaS1A_S1B_EUlS1A_E_NS1_11comp_targetILNS1_3genE0ELNS1_11target_archE4294967295ELNS1_3gpuE0ELNS1_3repE0EEENS1_30default_config_static_selectorELNS0_4arch9wavefront6targetE0EEEvT1_.numbered_sgpr, 0
	.set _ZN7rocprim17ROCPRIM_400000_NS6detail17trampoline_kernelINS0_14default_configENS1_25partition_config_selectorILNS1_17partition_subalgoE5EfNS0_10empty_typeEbEEZZNS1_14partition_implILS5_5ELb0ES3_mN6thrust23THRUST_200600_302600_NS6detail15normal_iteratorINSA_10device_ptrIfEEEEPS6_NSA_18transform_iteratorINSB_9not_fun_tI7is_trueIfEEENSC_INSD_IbEEEENSA_11use_defaultESO_EENS0_5tupleIJNSA_16discard_iteratorISO_EES6_EEENSQ_IJSG_SG_EEES6_PlJS6_EEE10hipError_tPvRmT3_T4_T5_T6_T7_T9_mT8_P12ihipStream_tbDpT10_ENKUlT_T0_E_clISt17integral_constantIbLb1EES1E_IbLb0EEEEDaS1A_S1B_EUlS1A_E_NS1_11comp_targetILNS1_3genE0ELNS1_11target_archE4294967295ELNS1_3gpuE0ELNS1_3repE0EEENS1_30default_config_static_selectorELNS0_4arch9wavefront6targetE0EEEvT1_.num_named_barrier, 0
	.set _ZN7rocprim17ROCPRIM_400000_NS6detail17trampoline_kernelINS0_14default_configENS1_25partition_config_selectorILNS1_17partition_subalgoE5EfNS0_10empty_typeEbEEZZNS1_14partition_implILS5_5ELb0ES3_mN6thrust23THRUST_200600_302600_NS6detail15normal_iteratorINSA_10device_ptrIfEEEEPS6_NSA_18transform_iteratorINSB_9not_fun_tI7is_trueIfEEENSC_INSD_IbEEEENSA_11use_defaultESO_EENS0_5tupleIJNSA_16discard_iteratorISO_EES6_EEENSQ_IJSG_SG_EEES6_PlJS6_EEE10hipError_tPvRmT3_T4_T5_T6_T7_T9_mT8_P12ihipStream_tbDpT10_ENKUlT_T0_E_clISt17integral_constantIbLb1EES1E_IbLb0EEEEDaS1A_S1B_EUlS1A_E_NS1_11comp_targetILNS1_3genE0ELNS1_11target_archE4294967295ELNS1_3gpuE0ELNS1_3repE0EEENS1_30default_config_static_selectorELNS0_4arch9wavefront6targetE0EEEvT1_.private_seg_size, 0
	.set _ZN7rocprim17ROCPRIM_400000_NS6detail17trampoline_kernelINS0_14default_configENS1_25partition_config_selectorILNS1_17partition_subalgoE5EfNS0_10empty_typeEbEEZZNS1_14partition_implILS5_5ELb0ES3_mN6thrust23THRUST_200600_302600_NS6detail15normal_iteratorINSA_10device_ptrIfEEEEPS6_NSA_18transform_iteratorINSB_9not_fun_tI7is_trueIfEEENSC_INSD_IbEEEENSA_11use_defaultESO_EENS0_5tupleIJNSA_16discard_iteratorISO_EES6_EEENSQ_IJSG_SG_EEES6_PlJS6_EEE10hipError_tPvRmT3_T4_T5_T6_T7_T9_mT8_P12ihipStream_tbDpT10_ENKUlT_T0_E_clISt17integral_constantIbLb1EES1E_IbLb0EEEEDaS1A_S1B_EUlS1A_E_NS1_11comp_targetILNS1_3genE0ELNS1_11target_archE4294967295ELNS1_3gpuE0ELNS1_3repE0EEENS1_30default_config_static_selectorELNS0_4arch9wavefront6targetE0EEEvT1_.uses_vcc, 0
	.set _ZN7rocprim17ROCPRIM_400000_NS6detail17trampoline_kernelINS0_14default_configENS1_25partition_config_selectorILNS1_17partition_subalgoE5EfNS0_10empty_typeEbEEZZNS1_14partition_implILS5_5ELb0ES3_mN6thrust23THRUST_200600_302600_NS6detail15normal_iteratorINSA_10device_ptrIfEEEEPS6_NSA_18transform_iteratorINSB_9not_fun_tI7is_trueIfEEENSC_INSD_IbEEEENSA_11use_defaultESO_EENS0_5tupleIJNSA_16discard_iteratorISO_EES6_EEENSQ_IJSG_SG_EEES6_PlJS6_EEE10hipError_tPvRmT3_T4_T5_T6_T7_T9_mT8_P12ihipStream_tbDpT10_ENKUlT_T0_E_clISt17integral_constantIbLb1EES1E_IbLb0EEEEDaS1A_S1B_EUlS1A_E_NS1_11comp_targetILNS1_3genE0ELNS1_11target_archE4294967295ELNS1_3gpuE0ELNS1_3repE0EEENS1_30default_config_static_selectorELNS0_4arch9wavefront6targetE0EEEvT1_.uses_flat_scratch, 0
	.set _ZN7rocprim17ROCPRIM_400000_NS6detail17trampoline_kernelINS0_14default_configENS1_25partition_config_selectorILNS1_17partition_subalgoE5EfNS0_10empty_typeEbEEZZNS1_14partition_implILS5_5ELb0ES3_mN6thrust23THRUST_200600_302600_NS6detail15normal_iteratorINSA_10device_ptrIfEEEEPS6_NSA_18transform_iteratorINSB_9not_fun_tI7is_trueIfEEENSC_INSD_IbEEEENSA_11use_defaultESO_EENS0_5tupleIJNSA_16discard_iteratorISO_EES6_EEENSQ_IJSG_SG_EEES6_PlJS6_EEE10hipError_tPvRmT3_T4_T5_T6_T7_T9_mT8_P12ihipStream_tbDpT10_ENKUlT_T0_E_clISt17integral_constantIbLb1EES1E_IbLb0EEEEDaS1A_S1B_EUlS1A_E_NS1_11comp_targetILNS1_3genE0ELNS1_11target_archE4294967295ELNS1_3gpuE0ELNS1_3repE0EEENS1_30default_config_static_selectorELNS0_4arch9wavefront6targetE0EEEvT1_.has_dyn_sized_stack, 0
	.set _ZN7rocprim17ROCPRIM_400000_NS6detail17trampoline_kernelINS0_14default_configENS1_25partition_config_selectorILNS1_17partition_subalgoE5EfNS0_10empty_typeEbEEZZNS1_14partition_implILS5_5ELb0ES3_mN6thrust23THRUST_200600_302600_NS6detail15normal_iteratorINSA_10device_ptrIfEEEEPS6_NSA_18transform_iteratorINSB_9not_fun_tI7is_trueIfEEENSC_INSD_IbEEEENSA_11use_defaultESO_EENS0_5tupleIJNSA_16discard_iteratorISO_EES6_EEENSQ_IJSG_SG_EEES6_PlJS6_EEE10hipError_tPvRmT3_T4_T5_T6_T7_T9_mT8_P12ihipStream_tbDpT10_ENKUlT_T0_E_clISt17integral_constantIbLb1EES1E_IbLb0EEEEDaS1A_S1B_EUlS1A_E_NS1_11comp_targetILNS1_3genE0ELNS1_11target_archE4294967295ELNS1_3gpuE0ELNS1_3repE0EEENS1_30default_config_static_selectorELNS0_4arch9wavefront6targetE0EEEvT1_.has_recursion, 0
	.set _ZN7rocprim17ROCPRIM_400000_NS6detail17trampoline_kernelINS0_14default_configENS1_25partition_config_selectorILNS1_17partition_subalgoE5EfNS0_10empty_typeEbEEZZNS1_14partition_implILS5_5ELb0ES3_mN6thrust23THRUST_200600_302600_NS6detail15normal_iteratorINSA_10device_ptrIfEEEEPS6_NSA_18transform_iteratorINSB_9not_fun_tI7is_trueIfEEENSC_INSD_IbEEEENSA_11use_defaultESO_EENS0_5tupleIJNSA_16discard_iteratorISO_EES6_EEENSQ_IJSG_SG_EEES6_PlJS6_EEE10hipError_tPvRmT3_T4_T5_T6_T7_T9_mT8_P12ihipStream_tbDpT10_ENKUlT_T0_E_clISt17integral_constantIbLb1EES1E_IbLb0EEEEDaS1A_S1B_EUlS1A_E_NS1_11comp_targetILNS1_3genE0ELNS1_11target_archE4294967295ELNS1_3gpuE0ELNS1_3repE0EEENS1_30default_config_static_selectorELNS0_4arch9wavefront6targetE0EEEvT1_.has_indirect_call, 0
	.section	.AMDGPU.csdata,"",@progbits
; Kernel info:
; codeLenInByte = 0
; TotalNumSgprs: 0
; NumVgprs: 0
; ScratchSize: 0
; MemoryBound: 0
; FloatMode: 240
; IeeeMode: 1
; LDSByteSize: 0 bytes/workgroup (compile time only)
; SGPRBlocks: 0
; VGPRBlocks: 0
; NumSGPRsForWavesPerEU: 1
; NumVGPRsForWavesPerEU: 1
; Occupancy: 16
; WaveLimiterHint : 0
; COMPUTE_PGM_RSRC2:SCRATCH_EN: 0
; COMPUTE_PGM_RSRC2:USER_SGPR: 2
; COMPUTE_PGM_RSRC2:TRAP_HANDLER: 0
; COMPUTE_PGM_RSRC2:TGID_X_EN: 1
; COMPUTE_PGM_RSRC2:TGID_Y_EN: 0
; COMPUTE_PGM_RSRC2:TGID_Z_EN: 0
; COMPUTE_PGM_RSRC2:TIDIG_COMP_CNT: 0
	.section	.text._ZN7rocprim17ROCPRIM_400000_NS6detail17trampoline_kernelINS0_14default_configENS1_25partition_config_selectorILNS1_17partition_subalgoE5EfNS0_10empty_typeEbEEZZNS1_14partition_implILS5_5ELb0ES3_mN6thrust23THRUST_200600_302600_NS6detail15normal_iteratorINSA_10device_ptrIfEEEEPS6_NSA_18transform_iteratorINSB_9not_fun_tI7is_trueIfEEENSC_INSD_IbEEEENSA_11use_defaultESO_EENS0_5tupleIJNSA_16discard_iteratorISO_EES6_EEENSQ_IJSG_SG_EEES6_PlJS6_EEE10hipError_tPvRmT3_T4_T5_T6_T7_T9_mT8_P12ihipStream_tbDpT10_ENKUlT_T0_E_clISt17integral_constantIbLb1EES1E_IbLb0EEEEDaS1A_S1B_EUlS1A_E_NS1_11comp_targetILNS1_3genE5ELNS1_11target_archE942ELNS1_3gpuE9ELNS1_3repE0EEENS1_30default_config_static_selectorELNS0_4arch9wavefront6targetE0EEEvT1_,"axG",@progbits,_ZN7rocprim17ROCPRIM_400000_NS6detail17trampoline_kernelINS0_14default_configENS1_25partition_config_selectorILNS1_17partition_subalgoE5EfNS0_10empty_typeEbEEZZNS1_14partition_implILS5_5ELb0ES3_mN6thrust23THRUST_200600_302600_NS6detail15normal_iteratorINSA_10device_ptrIfEEEEPS6_NSA_18transform_iteratorINSB_9not_fun_tI7is_trueIfEEENSC_INSD_IbEEEENSA_11use_defaultESO_EENS0_5tupleIJNSA_16discard_iteratorISO_EES6_EEENSQ_IJSG_SG_EEES6_PlJS6_EEE10hipError_tPvRmT3_T4_T5_T6_T7_T9_mT8_P12ihipStream_tbDpT10_ENKUlT_T0_E_clISt17integral_constantIbLb1EES1E_IbLb0EEEEDaS1A_S1B_EUlS1A_E_NS1_11comp_targetILNS1_3genE5ELNS1_11target_archE942ELNS1_3gpuE9ELNS1_3repE0EEENS1_30default_config_static_selectorELNS0_4arch9wavefront6targetE0EEEvT1_,comdat
	.protected	_ZN7rocprim17ROCPRIM_400000_NS6detail17trampoline_kernelINS0_14default_configENS1_25partition_config_selectorILNS1_17partition_subalgoE5EfNS0_10empty_typeEbEEZZNS1_14partition_implILS5_5ELb0ES3_mN6thrust23THRUST_200600_302600_NS6detail15normal_iteratorINSA_10device_ptrIfEEEEPS6_NSA_18transform_iteratorINSB_9not_fun_tI7is_trueIfEEENSC_INSD_IbEEEENSA_11use_defaultESO_EENS0_5tupleIJNSA_16discard_iteratorISO_EES6_EEENSQ_IJSG_SG_EEES6_PlJS6_EEE10hipError_tPvRmT3_T4_T5_T6_T7_T9_mT8_P12ihipStream_tbDpT10_ENKUlT_T0_E_clISt17integral_constantIbLb1EES1E_IbLb0EEEEDaS1A_S1B_EUlS1A_E_NS1_11comp_targetILNS1_3genE5ELNS1_11target_archE942ELNS1_3gpuE9ELNS1_3repE0EEENS1_30default_config_static_selectorELNS0_4arch9wavefront6targetE0EEEvT1_ ; -- Begin function _ZN7rocprim17ROCPRIM_400000_NS6detail17trampoline_kernelINS0_14default_configENS1_25partition_config_selectorILNS1_17partition_subalgoE5EfNS0_10empty_typeEbEEZZNS1_14partition_implILS5_5ELb0ES3_mN6thrust23THRUST_200600_302600_NS6detail15normal_iteratorINSA_10device_ptrIfEEEEPS6_NSA_18transform_iteratorINSB_9not_fun_tI7is_trueIfEEENSC_INSD_IbEEEENSA_11use_defaultESO_EENS0_5tupleIJNSA_16discard_iteratorISO_EES6_EEENSQ_IJSG_SG_EEES6_PlJS6_EEE10hipError_tPvRmT3_T4_T5_T6_T7_T9_mT8_P12ihipStream_tbDpT10_ENKUlT_T0_E_clISt17integral_constantIbLb1EES1E_IbLb0EEEEDaS1A_S1B_EUlS1A_E_NS1_11comp_targetILNS1_3genE5ELNS1_11target_archE942ELNS1_3gpuE9ELNS1_3repE0EEENS1_30default_config_static_selectorELNS0_4arch9wavefront6targetE0EEEvT1_
	.globl	_ZN7rocprim17ROCPRIM_400000_NS6detail17trampoline_kernelINS0_14default_configENS1_25partition_config_selectorILNS1_17partition_subalgoE5EfNS0_10empty_typeEbEEZZNS1_14partition_implILS5_5ELb0ES3_mN6thrust23THRUST_200600_302600_NS6detail15normal_iteratorINSA_10device_ptrIfEEEEPS6_NSA_18transform_iteratorINSB_9not_fun_tI7is_trueIfEEENSC_INSD_IbEEEENSA_11use_defaultESO_EENS0_5tupleIJNSA_16discard_iteratorISO_EES6_EEENSQ_IJSG_SG_EEES6_PlJS6_EEE10hipError_tPvRmT3_T4_T5_T6_T7_T9_mT8_P12ihipStream_tbDpT10_ENKUlT_T0_E_clISt17integral_constantIbLb1EES1E_IbLb0EEEEDaS1A_S1B_EUlS1A_E_NS1_11comp_targetILNS1_3genE5ELNS1_11target_archE942ELNS1_3gpuE9ELNS1_3repE0EEENS1_30default_config_static_selectorELNS0_4arch9wavefront6targetE0EEEvT1_
	.p2align	8
	.type	_ZN7rocprim17ROCPRIM_400000_NS6detail17trampoline_kernelINS0_14default_configENS1_25partition_config_selectorILNS1_17partition_subalgoE5EfNS0_10empty_typeEbEEZZNS1_14partition_implILS5_5ELb0ES3_mN6thrust23THRUST_200600_302600_NS6detail15normal_iteratorINSA_10device_ptrIfEEEEPS6_NSA_18transform_iteratorINSB_9not_fun_tI7is_trueIfEEENSC_INSD_IbEEEENSA_11use_defaultESO_EENS0_5tupleIJNSA_16discard_iteratorISO_EES6_EEENSQ_IJSG_SG_EEES6_PlJS6_EEE10hipError_tPvRmT3_T4_T5_T6_T7_T9_mT8_P12ihipStream_tbDpT10_ENKUlT_T0_E_clISt17integral_constantIbLb1EES1E_IbLb0EEEEDaS1A_S1B_EUlS1A_E_NS1_11comp_targetILNS1_3genE5ELNS1_11target_archE942ELNS1_3gpuE9ELNS1_3repE0EEENS1_30default_config_static_selectorELNS0_4arch9wavefront6targetE0EEEvT1_,@function
_ZN7rocprim17ROCPRIM_400000_NS6detail17trampoline_kernelINS0_14default_configENS1_25partition_config_selectorILNS1_17partition_subalgoE5EfNS0_10empty_typeEbEEZZNS1_14partition_implILS5_5ELb0ES3_mN6thrust23THRUST_200600_302600_NS6detail15normal_iteratorINSA_10device_ptrIfEEEEPS6_NSA_18transform_iteratorINSB_9not_fun_tI7is_trueIfEEENSC_INSD_IbEEEENSA_11use_defaultESO_EENS0_5tupleIJNSA_16discard_iteratorISO_EES6_EEENSQ_IJSG_SG_EEES6_PlJS6_EEE10hipError_tPvRmT3_T4_T5_T6_T7_T9_mT8_P12ihipStream_tbDpT10_ENKUlT_T0_E_clISt17integral_constantIbLb1EES1E_IbLb0EEEEDaS1A_S1B_EUlS1A_E_NS1_11comp_targetILNS1_3genE5ELNS1_11target_archE942ELNS1_3gpuE9ELNS1_3repE0EEENS1_30default_config_static_selectorELNS0_4arch9wavefront6targetE0EEEvT1_: ; @_ZN7rocprim17ROCPRIM_400000_NS6detail17trampoline_kernelINS0_14default_configENS1_25partition_config_selectorILNS1_17partition_subalgoE5EfNS0_10empty_typeEbEEZZNS1_14partition_implILS5_5ELb0ES3_mN6thrust23THRUST_200600_302600_NS6detail15normal_iteratorINSA_10device_ptrIfEEEEPS6_NSA_18transform_iteratorINSB_9not_fun_tI7is_trueIfEEENSC_INSD_IbEEEENSA_11use_defaultESO_EENS0_5tupleIJNSA_16discard_iteratorISO_EES6_EEENSQ_IJSG_SG_EEES6_PlJS6_EEE10hipError_tPvRmT3_T4_T5_T6_T7_T9_mT8_P12ihipStream_tbDpT10_ENKUlT_T0_E_clISt17integral_constantIbLb1EES1E_IbLb0EEEEDaS1A_S1B_EUlS1A_E_NS1_11comp_targetILNS1_3genE5ELNS1_11target_archE942ELNS1_3gpuE9ELNS1_3repE0EEENS1_30default_config_static_selectorELNS0_4arch9wavefront6targetE0EEEvT1_
; %bb.0:
	.section	.rodata,"a",@progbits
	.p2align	6, 0x0
	.amdhsa_kernel _ZN7rocprim17ROCPRIM_400000_NS6detail17trampoline_kernelINS0_14default_configENS1_25partition_config_selectorILNS1_17partition_subalgoE5EfNS0_10empty_typeEbEEZZNS1_14partition_implILS5_5ELb0ES3_mN6thrust23THRUST_200600_302600_NS6detail15normal_iteratorINSA_10device_ptrIfEEEEPS6_NSA_18transform_iteratorINSB_9not_fun_tI7is_trueIfEEENSC_INSD_IbEEEENSA_11use_defaultESO_EENS0_5tupleIJNSA_16discard_iteratorISO_EES6_EEENSQ_IJSG_SG_EEES6_PlJS6_EEE10hipError_tPvRmT3_T4_T5_T6_T7_T9_mT8_P12ihipStream_tbDpT10_ENKUlT_T0_E_clISt17integral_constantIbLb1EES1E_IbLb0EEEEDaS1A_S1B_EUlS1A_E_NS1_11comp_targetILNS1_3genE5ELNS1_11target_archE942ELNS1_3gpuE9ELNS1_3repE0EEENS1_30default_config_static_selectorELNS0_4arch9wavefront6targetE0EEEvT1_
		.amdhsa_group_segment_fixed_size 0
		.amdhsa_private_segment_fixed_size 0
		.amdhsa_kernarg_size 128
		.amdhsa_user_sgpr_count 2
		.amdhsa_user_sgpr_dispatch_ptr 0
		.amdhsa_user_sgpr_queue_ptr 0
		.amdhsa_user_sgpr_kernarg_segment_ptr 1
		.amdhsa_user_sgpr_dispatch_id 0
		.amdhsa_user_sgpr_private_segment_size 0
		.amdhsa_wavefront_size32 1
		.amdhsa_uses_dynamic_stack 0
		.amdhsa_enable_private_segment 0
		.amdhsa_system_sgpr_workgroup_id_x 1
		.amdhsa_system_sgpr_workgroup_id_y 0
		.amdhsa_system_sgpr_workgroup_id_z 0
		.amdhsa_system_sgpr_workgroup_info 0
		.amdhsa_system_vgpr_workitem_id 0
		.amdhsa_next_free_vgpr 1
		.amdhsa_next_free_sgpr 1
		.amdhsa_reserve_vcc 0
		.amdhsa_float_round_mode_32 0
		.amdhsa_float_round_mode_16_64 0
		.amdhsa_float_denorm_mode_32 3
		.amdhsa_float_denorm_mode_16_64 3
		.amdhsa_fp16_overflow 0
		.amdhsa_workgroup_processor_mode 1
		.amdhsa_memory_ordered 1
		.amdhsa_forward_progress 1
		.amdhsa_inst_pref_size 0
		.amdhsa_round_robin_scheduling 0
		.amdhsa_exception_fp_ieee_invalid_op 0
		.amdhsa_exception_fp_denorm_src 0
		.amdhsa_exception_fp_ieee_div_zero 0
		.amdhsa_exception_fp_ieee_overflow 0
		.amdhsa_exception_fp_ieee_underflow 0
		.amdhsa_exception_fp_ieee_inexact 0
		.amdhsa_exception_int_div_zero 0
	.end_amdhsa_kernel
	.section	.text._ZN7rocprim17ROCPRIM_400000_NS6detail17trampoline_kernelINS0_14default_configENS1_25partition_config_selectorILNS1_17partition_subalgoE5EfNS0_10empty_typeEbEEZZNS1_14partition_implILS5_5ELb0ES3_mN6thrust23THRUST_200600_302600_NS6detail15normal_iteratorINSA_10device_ptrIfEEEEPS6_NSA_18transform_iteratorINSB_9not_fun_tI7is_trueIfEEENSC_INSD_IbEEEENSA_11use_defaultESO_EENS0_5tupleIJNSA_16discard_iteratorISO_EES6_EEENSQ_IJSG_SG_EEES6_PlJS6_EEE10hipError_tPvRmT3_T4_T5_T6_T7_T9_mT8_P12ihipStream_tbDpT10_ENKUlT_T0_E_clISt17integral_constantIbLb1EES1E_IbLb0EEEEDaS1A_S1B_EUlS1A_E_NS1_11comp_targetILNS1_3genE5ELNS1_11target_archE942ELNS1_3gpuE9ELNS1_3repE0EEENS1_30default_config_static_selectorELNS0_4arch9wavefront6targetE0EEEvT1_,"axG",@progbits,_ZN7rocprim17ROCPRIM_400000_NS6detail17trampoline_kernelINS0_14default_configENS1_25partition_config_selectorILNS1_17partition_subalgoE5EfNS0_10empty_typeEbEEZZNS1_14partition_implILS5_5ELb0ES3_mN6thrust23THRUST_200600_302600_NS6detail15normal_iteratorINSA_10device_ptrIfEEEEPS6_NSA_18transform_iteratorINSB_9not_fun_tI7is_trueIfEEENSC_INSD_IbEEEENSA_11use_defaultESO_EENS0_5tupleIJNSA_16discard_iteratorISO_EES6_EEENSQ_IJSG_SG_EEES6_PlJS6_EEE10hipError_tPvRmT3_T4_T5_T6_T7_T9_mT8_P12ihipStream_tbDpT10_ENKUlT_T0_E_clISt17integral_constantIbLb1EES1E_IbLb0EEEEDaS1A_S1B_EUlS1A_E_NS1_11comp_targetILNS1_3genE5ELNS1_11target_archE942ELNS1_3gpuE9ELNS1_3repE0EEENS1_30default_config_static_selectorELNS0_4arch9wavefront6targetE0EEEvT1_,comdat
.Lfunc_end2638:
	.size	_ZN7rocprim17ROCPRIM_400000_NS6detail17trampoline_kernelINS0_14default_configENS1_25partition_config_selectorILNS1_17partition_subalgoE5EfNS0_10empty_typeEbEEZZNS1_14partition_implILS5_5ELb0ES3_mN6thrust23THRUST_200600_302600_NS6detail15normal_iteratorINSA_10device_ptrIfEEEEPS6_NSA_18transform_iteratorINSB_9not_fun_tI7is_trueIfEEENSC_INSD_IbEEEENSA_11use_defaultESO_EENS0_5tupleIJNSA_16discard_iteratorISO_EES6_EEENSQ_IJSG_SG_EEES6_PlJS6_EEE10hipError_tPvRmT3_T4_T5_T6_T7_T9_mT8_P12ihipStream_tbDpT10_ENKUlT_T0_E_clISt17integral_constantIbLb1EES1E_IbLb0EEEEDaS1A_S1B_EUlS1A_E_NS1_11comp_targetILNS1_3genE5ELNS1_11target_archE942ELNS1_3gpuE9ELNS1_3repE0EEENS1_30default_config_static_selectorELNS0_4arch9wavefront6targetE0EEEvT1_, .Lfunc_end2638-_ZN7rocprim17ROCPRIM_400000_NS6detail17trampoline_kernelINS0_14default_configENS1_25partition_config_selectorILNS1_17partition_subalgoE5EfNS0_10empty_typeEbEEZZNS1_14partition_implILS5_5ELb0ES3_mN6thrust23THRUST_200600_302600_NS6detail15normal_iteratorINSA_10device_ptrIfEEEEPS6_NSA_18transform_iteratorINSB_9not_fun_tI7is_trueIfEEENSC_INSD_IbEEEENSA_11use_defaultESO_EENS0_5tupleIJNSA_16discard_iteratorISO_EES6_EEENSQ_IJSG_SG_EEES6_PlJS6_EEE10hipError_tPvRmT3_T4_T5_T6_T7_T9_mT8_P12ihipStream_tbDpT10_ENKUlT_T0_E_clISt17integral_constantIbLb1EES1E_IbLb0EEEEDaS1A_S1B_EUlS1A_E_NS1_11comp_targetILNS1_3genE5ELNS1_11target_archE942ELNS1_3gpuE9ELNS1_3repE0EEENS1_30default_config_static_selectorELNS0_4arch9wavefront6targetE0EEEvT1_
                                        ; -- End function
	.set _ZN7rocprim17ROCPRIM_400000_NS6detail17trampoline_kernelINS0_14default_configENS1_25partition_config_selectorILNS1_17partition_subalgoE5EfNS0_10empty_typeEbEEZZNS1_14partition_implILS5_5ELb0ES3_mN6thrust23THRUST_200600_302600_NS6detail15normal_iteratorINSA_10device_ptrIfEEEEPS6_NSA_18transform_iteratorINSB_9not_fun_tI7is_trueIfEEENSC_INSD_IbEEEENSA_11use_defaultESO_EENS0_5tupleIJNSA_16discard_iteratorISO_EES6_EEENSQ_IJSG_SG_EEES6_PlJS6_EEE10hipError_tPvRmT3_T4_T5_T6_T7_T9_mT8_P12ihipStream_tbDpT10_ENKUlT_T0_E_clISt17integral_constantIbLb1EES1E_IbLb0EEEEDaS1A_S1B_EUlS1A_E_NS1_11comp_targetILNS1_3genE5ELNS1_11target_archE942ELNS1_3gpuE9ELNS1_3repE0EEENS1_30default_config_static_selectorELNS0_4arch9wavefront6targetE0EEEvT1_.num_vgpr, 0
	.set _ZN7rocprim17ROCPRIM_400000_NS6detail17trampoline_kernelINS0_14default_configENS1_25partition_config_selectorILNS1_17partition_subalgoE5EfNS0_10empty_typeEbEEZZNS1_14partition_implILS5_5ELb0ES3_mN6thrust23THRUST_200600_302600_NS6detail15normal_iteratorINSA_10device_ptrIfEEEEPS6_NSA_18transform_iteratorINSB_9not_fun_tI7is_trueIfEEENSC_INSD_IbEEEENSA_11use_defaultESO_EENS0_5tupleIJNSA_16discard_iteratorISO_EES6_EEENSQ_IJSG_SG_EEES6_PlJS6_EEE10hipError_tPvRmT3_T4_T5_T6_T7_T9_mT8_P12ihipStream_tbDpT10_ENKUlT_T0_E_clISt17integral_constantIbLb1EES1E_IbLb0EEEEDaS1A_S1B_EUlS1A_E_NS1_11comp_targetILNS1_3genE5ELNS1_11target_archE942ELNS1_3gpuE9ELNS1_3repE0EEENS1_30default_config_static_selectorELNS0_4arch9wavefront6targetE0EEEvT1_.num_agpr, 0
	.set _ZN7rocprim17ROCPRIM_400000_NS6detail17trampoline_kernelINS0_14default_configENS1_25partition_config_selectorILNS1_17partition_subalgoE5EfNS0_10empty_typeEbEEZZNS1_14partition_implILS5_5ELb0ES3_mN6thrust23THRUST_200600_302600_NS6detail15normal_iteratorINSA_10device_ptrIfEEEEPS6_NSA_18transform_iteratorINSB_9not_fun_tI7is_trueIfEEENSC_INSD_IbEEEENSA_11use_defaultESO_EENS0_5tupleIJNSA_16discard_iteratorISO_EES6_EEENSQ_IJSG_SG_EEES6_PlJS6_EEE10hipError_tPvRmT3_T4_T5_T6_T7_T9_mT8_P12ihipStream_tbDpT10_ENKUlT_T0_E_clISt17integral_constantIbLb1EES1E_IbLb0EEEEDaS1A_S1B_EUlS1A_E_NS1_11comp_targetILNS1_3genE5ELNS1_11target_archE942ELNS1_3gpuE9ELNS1_3repE0EEENS1_30default_config_static_selectorELNS0_4arch9wavefront6targetE0EEEvT1_.numbered_sgpr, 0
	.set _ZN7rocprim17ROCPRIM_400000_NS6detail17trampoline_kernelINS0_14default_configENS1_25partition_config_selectorILNS1_17partition_subalgoE5EfNS0_10empty_typeEbEEZZNS1_14partition_implILS5_5ELb0ES3_mN6thrust23THRUST_200600_302600_NS6detail15normal_iteratorINSA_10device_ptrIfEEEEPS6_NSA_18transform_iteratorINSB_9not_fun_tI7is_trueIfEEENSC_INSD_IbEEEENSA_11use_defaultESO_EENS0_5tupleIJNSA_16discard_iteratorISO_EES6_EEENSQ_IJSG_SG_EEES6_PlJS6_EEE10hipError_tPvRmT3_T4_T5_T6_T7_T9_mT8_P12ihipStream_tbDpT10_ENKUlT_T0_E_clISt17integral_constantIbLb1EES1E_IbLb0EEEEDaS1A_S1B_EUlS1A_E_NS1_11comp_targetILNS1_3genE5ELNS1_11target_archE942ELNS1_3gpuE9ELNS1_3repE0EEENS1_30default_config_static_selectorELNS0_4arch9wavefront6targetE0EEEvT1_.num_named_barrier, 0
	.set _ZN7rocprim17ROCPRIM_400000_NS6detail17trampoline_kernelINS0_14default_configENS1_25partition_config_selectorILNS1_17partition_subalgoE5EfNS0_10empty_typeEbEEZZNS1_14partition_implILS5_5ELb0ES3_mN6thrust23THRUST_200600_302600_NS6detail15normal_iteratorINSA_10device_ptrIfEEEEPS6_NSA_18transform_iteratorINSB_9not_fun_tI7is_trueIfEEENSC_INSD_IbEEEENSA_11use_defaultESO_EENS0_5tupleIJNSA_16discard_iteratorISO_EES6_EEENSQ_IJSG_SG_EEES6_PlJS6_EEE10hipError_tPvRmT3_T4_T5_T6_T7_T9_mT8_P12ihipStream_tbDpT10_ENKUlT_T0_E_clISt17integral_constantIbLb1EES1E_IbLb0EEEEDaS1A_S1B_EUlS1A_E_NS1_11comp_targetILNS1_3genE5ELNS1_11target_archE942ELNS1_3gpuE9ELNS1_3repE0EEENS1_30default_config_static_selectorELNS0_4arch9wavefront6targetE0EEEvT1_.private_seg_size, 0
	.set _ZN7rocprim17ROCPRIM_400000_NS6detail17trampoline_kernelINS0_14default_configENS1_25partition_config_selectorILNS1_17partition_subalgoE5EfNS0_10empty_typeEbEEZZNS1_14partition_implILS5_5ELb0ES3_mN6thrust23THRUST_200600_302600_NS6detail15normal_iteratorINSA_10device_ptrIfEEEEPS6_NSA_18transform_iteratorINSB_9not_fun_tI7is_trueIfEEENSC_INSD_IbEEEENSA_11use_defaultESO_EENS0_5tupleIJNSA_16discard_iteratorISO_EES6_EEENSQ_IJSG_SG_EEES6_PlJS6_EEE10hipError_tPvRmT3_T4_T5_T6_T7_T9_mT8_P12ihipStream_tbDpT10_ENKUlT_T0_E_clISt17integral_constantIbLb1EES1E_IbLb0EEEEDaS1A_S1B_EUlS1A_E_NS1_11comp_targetILNS1_3genE5ELNS1_11target_archE942ELNS1_3gpuE9ELNS1_3repE0EEENS1_30default_config_static_selectorELNS0_4arch9wavefront6targetE0EEEvT1_.uses_vcc, 0
	.set _ZN7rocprim17ROCPRIM_400000_NS6detail17trampoline_kernelINS0_14default_configENS1_25partition_config_selectorILNS1_17partition_subalgoE5EfNS0_10empty_typeEbEEZZNS1_14partition_implILS5_5ELb0ES3_mN6thrust23THRUST_200600_302600_NS6detail15normal_iteratorINSA_10device_ptrIfEEEEPS6_NSA_18transform_iteratorINSB_9not_fun_tI7is_trueIfEEENSC_INSD_IbEEEENSA_11use_defaultESO_EENS0_5tupleIJNSA_16discard_iteratorISO_EES6_EEENSQ_IJSG_SG_EEES6_PlJS6_EEE10hipError_tPvRmT3_T4_T5_T6_T7_T9_mT8_P12ihipStream_tbDpT10_ENKUlT_T0_E_clISt17integral_constantIbLb1EES1E_IbLb0EEEEDaS1A_S1B_EUlS1A_E_NS1_11comp_targetILNS1_3genE5ELNS1_11target_archE942ELNS1_3gpuE9ELNS1_3repE0EEENS1_30default_config_static_selectorELNS0_4arch9wavefront6targetE0EEEvT1_.uses_flat_scratch, 0
	.set _ZN7rocprim17ROCPRIM_400000_NS6detail17trampoline_kernelINS0_14default_configENS1_25partition_config_selectorILNS1_17partition_subalgoE5EfNS0_10empty_typeEbEEZZNS1_14partition_implILS5_5ELb0ES3_mN6thrust23THRUST_200600_302600_NS6detail15normal_iteratorINSA_10device_ptrIfEEEEPS6_NSA_18transform_iteratorINSB_9not_fun_tI7is_trueIfEEENSC_INSD_IbEEEENSA_11use_defaultESO_EENS0_5tupleIJNSA_16discard_iteratorISO_EES6_EEENSQ_IJSG_SG_EEES6_PlJS6_EEE10hipError_tPvRmT3_T4_T5_T6_T7_T9_mT8_P12ihipStream_tbDpT10_ENKUlT_T0_E_clISt17integral_constantIbLb1EES1E_IbLb0EEEEDaS1A_S1B_EUlS1A_E_NS1_11comp_targetILNS1_3genE5ELNS1_11target_archE942ELNS1_3gpuE9ELNS1_3repE0EEENS1_30default_config_static_selectorELNS0_4arch9wavefront6targetE0EEEvT1_.has_dyn_sized_stack, 0
	.set _ZN7rocprim17ROCPRIM_400000_NS6detail17trampoline_kernelINS0_14default_configENS1_25partition_config_selectorILNS1_17partition_subalgoE5EfNS0_10empty_typeEbEEZZNS1_14partition_implILS5_5ELb0ES3_mN6thrust23THRUST_200600_302600_NS6detail15normal_iteratorINSA_10device_ptrIfEEEEPS6_NSA_18transform_iteratorINSB_9not_fun_tI7is_trueIfEEENSC_INSD_IbEEEENSA_11use_defaultESO_EENS0_5tupleIJNSA_16discard_iteratorISO_EES6_EEENSQ_IJSG_SG_EEES6_PlJS6_EEE10hipError_tPvRmT3_T4_T5_T6_T7_T9_mT8_P12ihipStream_tbDpT10_ENKUlT_T0_E_clISt17integral_constantIbLb1EES1E_IbLb0EEEEDaS1A_S1B_EUlS1A_E_NS1_11comp_targetILNS1_3genE5ELNS1_11target_archE942ELNS1_3gpuE9ELNS1_3repE0EEENS1_30default_config_static_selectorELNS0_4arch9wavefront6targetE0EEEvT1_.has_recursion, 0
	.set _ZN7rocprim17ROCPRIM_400000_NS6detail17trampoline_kernelINS0_14default_configENS1_25partition_config_selectorILNS1_17partition_subalgoE5EfNS0_10empty_typeEbEEZZNS1_14partition_implILS5_5ELb0ES3_mN6thrust23THRUST_200600_302600_NS6detail15normal_iteratorINSA_10device_ptrIfEEEEPS6_NSA_18transform_iteratorINSB_9not_fun_tI7is_trueIfEEENSC_INSD_IbEEEENSA_11use_defaultESO_EENS0_5tupleIJNSA_16discard_iteratorISO_EES6_EEENSQ_IJSG_SG_EEES6_PlJS6_EEE10hipError_tPvRmT3_T4_T5_T6_T7_T9_mT8_P12ihipStream_tbDpT10_ENKUlT_T0_E_clISt17integral_constantIbLb1EES1E_IbLb0EEEEDaS1A_S1B_EUlS1A_E_NS1_11comp_targetILNS1_3genE5ELNS1_11target_archE942ELNS1_3gpuE9ELNS1_3repE0EEENS1_30default_config_static_selectorELNS0_4arch9wavefront6targetE0EEEvT1_.has_indirect_call, 0
	.section	.AMDGPU.csdata,"",@progbits
; Kernel info:
; codeLenInByte = 0
; TotalNumSgprs: 0
; NumVgprs: 0
; ScratchSize: 0
; MemoryBound: 0
; FloatMode: 240
; IeeeMode: 1
; LDSByteSize: 0 bytes/workgroup (compile time only)
; SGPRBlocks: 0
; VGPRBlocks: 0
; NumSGPRsForWavesPerEU: 1
; NumVGPRsForWavesPerEU: 1
; Occupancy: 16
; WaveLimiterHint : 0
; COMPUTE_PGM_RSRC2:SCRATCH_EN: 0
; COMPUTE_PGM_RSRC2:USER_SGPR: 2
; COMPUTE_PGM_RSRC2:TRAP_HANDLER: 0
; COMPUTE_PGM_RSRC2:TGID_X_EN: 1
; COMPUTE_PGM_RSRC2:TGID_Y_EN: 0
; COMPUTE_PGM_RSRC2:TGID_Z_EN: 0
; COMPUTE_PGM_RSRC2:TIDIG_COMP_CNT: 0
	.section	.text._ZN7rocprim17ROCPRIM_400000_NS6detail17trampoline_kernelINS0_14default_configENS1_25partition_config_selectorILNS1_17partition_subalgoE5EfNS0_10empty_typeEbEEZZNS1_14partition_implILS5_5ELb0ES3_mN6thrust23THRUST_200600_302600_NS6detail15normal_iteratorINSA_10device_ptrIfEEEEPS6_NSA_18transform_iteratorINSB_9not_fun_tI7is_trueIfEEENSC_INSD_IbEEEENSA_11use_defaultESO_EENS0_5tupleIJNSA_16discard_iteratorISO_EES6_EEENSQ_IJSG_SG_EEES6_PlJS6_EEE10hipError_tPvRmT3_T4_T5_T6_T7_T9_mT8_P12ihipStream_tbDpT10_ENKUlT_T0_E_clISt17integral_constantIbLb1EES1E_IbLb0EEEEDaS1A_S1B_EUlS1A_E_NS1_11comp_targetILNS1_3genE4ELNS1_11target_archE910ELNS1_3gpuE8ELNS1_3repE0EEENS1_30default_config_static_selectorELNS0_4arch9wavefront6targetE0EEEvT1_,"axG",@progbits,_ZN7rocprim17ROCPRIM_400000_NS6detail17trampoline_kernelINS0_14default_configENS1_25partition_config_selectorILNS1_17partition_subalgoE5EfNS0_10empty_typeEbEEZZNS1_14partition_implILS5_5ELb0ES3_mN6thrust23THRUST_200600_302600_NS6detail15normal_iteratorINSA_10device_ptrIfEEEEPS6_NSA_18transform_iteratorINSB_9not_fun_tI7is_trueIfEEENSC_INSD_IbEEEENSA_11use_defaultESO_EENS0_5tupleIJNSA_16discard_iteratorISO_EES6_EEENSQ_IJSG_SG_EEES6_PlJS6_EEE10hipError_tPvRmT3_T4_T5_T6_T7_T9_mT8_P12ihipStream_tbDpT10_ENKUlT_T0_E_clISt17integral_constantIbLb1EES1E_IbLb0EEEEDaS1A_S1B_EUlS1A_E_NS1_11comp_targetILNS1_3genE4ELNS1_11target_archE910ELNS1_3gpuE8ELNS1_3repE0EEENS1_30default_config_static_selectorELNS0_4arch9wavefront6targetE0EEEvT1_,comdat
	.protected	_ZN7rocprim17ROCPRIM_400000_NS6detail17trampoline_kernelINS0_14default_configENS1_25partition_config_selectorILNS1_17partition_subalgoE5EfNS0_10empty_typeEbEEZZNS1_14partition_implILS5_5ELb0ES3_mN6thrust23THRUST_200600_302600_NS6detail15normal_iteratorINSA_10device_ptrIfEEEEPS6_NSA_18transform_iteratorINSB_9not_fun_tI7is_trueIfEEENSC_INSD_IbEEEENSA_11use_defaultESO_EENS0_5tupleIJNSA_16discard_iteratorISO_EES6_EEENSQ_IJSG_SG_EEES6_PlJS6_EEE10hipError_tPvRmT3_T4_T5_T6_T7_T9_mT8_P12ihipStream_tbDpT10_ENKUlT_T0_E_clISt17integral_constantIbLb1EES1E_IbLb0EEEEDaS1A_S1B_EUlS1A_E_NS1_11comp_targetILNS1_3genE4ELNS1_11target_archE910ELNS1_3gpuE8ELNS1_3repE0EEENS1_30default_config_static_selectorELNS0_4arch9wavefront6targetE0EEEvT1_ ; -- Begin function _ZN7rocprim17ROCPRIM_400000_NS6detail17trampoline_kernelINS0_14default_configENS1_25partition_config_selectorILNS1_17partition_subalgoE5EfNS0_10empty_typeEbEEZZNS1_14partition_implILS5_5ELb0ES3_mN6thrust23THRUST_200600_302600_NS6detail15normal_iteratorINSA_10device_ptrIfEEEEPS6_NSA_18transform_iteratorINSB_9not_fun_tI7is_trueIfEEENSC_INSD_IbEEEENSA_11use_defaultESO_EENS0_5tupleIJNSA_16discard_iteratorISO_EES6_EEENSQ_IJSG_SG_EEES6_PlJS6_EEE10hipError_tPvRmT3_T4_T5_T6_T7_T9_mT8_P12ihipStream_tbDpT10_ENKUlT_T0_E_clISt17integral_constantIbLb1EES1E_IbLb0EEEEDaS1A_S1B_EUlS1A_E_NS1_11comp_targetILNS1_3genE4ELNS1_11target_archE910ELNS1_3gpuE8ELNS1_3repE0EEENS1_30default_config_static_selectorELNS0_4arch9wavefront6targetE0EEEvT1_
	.globl	_ZN7rocprim17ROCPRIM_400000_NS6detail17trampoline_kernelINS0_14default_configENS1_25partition_config_selectorILNS1_17partition_subalgoE5EfNS0_10empty_typeEbEEZZNS1_14partition_implILS5_5ELb0ES3_mN6thrust23THRUST_200600_302600_NS6detail15normal_iteratorINSA_10device_ptrIfEEEEPS6_NSA_18transform_iteratorINSB_9not_fun_tI7is_trueIfEEENSC_INSD_IbEEEENSA_11use_defaultESO_EENS0_5tupleIJNSA_16discard_iteratorISO_EES6_EEENSQ_IJSG_SG_EEES6_PlJS6_EEE10hipError_tPvRmT3_T4_T5_T6_T7_T9_mT8_P12ihipStream_tbDpT10_ENKUlT_T0_E_clISt17integral_constantIbLb1EES1E_IbLb0EEEEDaS1A_S1B_EUlS1A_E_NS1_11comp_targetILNS1_3genE4ELNS1_11target_archE910ELNS1_3gpuE8ELNS1_3repE0EEENS1_30default_config_static_selectorELNS0_4arch9wavefront6targetE0EEEvT1_
	.p2align	8
	.type	_ZN7rocprim17ROCPRIM_400000_NS6detail17trampoline_kernelINS0_14default_configENS1_25partition_config_selectorILNS1_17partition_subalgoE5EfNS0_10empty_typeEbEEZZNS1_14partition_implILS5_5ELb0ES3_mN6thrust23THRUST_200600_302600_NS6detail15normal_iteratorINSA_10device_ptrIfEEEEPS6_NSA_18transform_iteratorINSB_9not_fun_tI7is_trueIfEEENSC_INSD_IbEEEENSA_11use_defaultESO_EENS0_5tupleIJNSA_16discard_iteratorISO_EES6_EEENSQ_IJSG_SG_EEES6_PlJS6_EEE10hipError_tPvRmT3_T4_T5_T6_T7_T9_mT8_P12ihipStream_tbDpT10_ENKUlT_T0_E_clISt17integral_constantIbLb1EES1E_IbLb0EEEEDaS1A_S1B_EUlS1A_E_NS1_11comp_targetILNS1_3genE4ELNS1_11target_archE910ELNS1_3gpuE8ELNS1_3repE0EEENS1_30default_config_static_selectorELNS0_4arch9wavefront6targetE0EEEvT1_,@function
_ZN7rocprim17ROCPRIM_400000_NS6detail17trampoline_kernelINS0_14default_configENS1_25partition_config_selectorILNS1_17partition_subalgoE5EfNS0_10empty_typeEbEEZZNS1_14partition_implILS5_5ELb0ES3_mN6thrust23THRUST_200600_302600_NS6detail15normal_iteratorINSA_10device_ptrIfEEEEPS6_NSA_18transform_iteratorINSB_9not_fun_tI7is_trueIfEEENSC_INSD_IbEEEENSA_11use_defaultESO_EENS0_5tupleIJNSA_16discard_iteratorISO_EES6_EEENSQ_IJSG_SG_EEES6_PlJS6_EEE10hipError_tPvRmT3_T4_T5_T6_T7_T9_mT8_P12ihipStream_tbDpT10_ENKUlT_T0_E_clISt17integral_constantIbLb1EES1E_IbLb0EEEEDaS1A_S1B_EUlS1A_E_NS1_11comp_targetILNS1_3genE4ELNS1_11target_archE910ELNS1_3gpuE8ELNS1_3repE0EEENS1_30default_config_static_selectorELNS0_4arch9wavefront6targetE0EEEvT1_: ; @_ZN7rocprim17ROCPRIM_400000_NS6detail17trampoline_kernelINS0_14default_configENS1_25partition_config_selectorILNS1_17partition_subalgoE5EfNS0_10empty_typeEbEEZZNS1_14partition_implILS5_5ELb0ES3_mN6thrust23THRUST_200600_302600_NS6detail15normal_iteratorINSA_10device_ptrIfEEEEPS6_NSA_18transform_iteratorINSB_9not_fun_tI7is_trueIfEEENSC_INSD_IbEEEENSA_11use_defaultESO_EENS0_5tupleIJNSA_16discard_iteratorISO_EES6_EEENSQ_IJSG_SG_EEES6_PlJS6_EEE10hipError_tPvRmT3_T4_T5_T6_T7_T9_mT8_P12ihipStream_tbDpT10_ENKUlT_T0_E_clISt17integral_constantIbLb1EES1E_IbLb0EEEEDaS1A_S1B_EUlS1A_E_NS1_11comp_targetILNS1_3genE4ELNS1_11target_archE910ELNS1_3gpuE8ELNS1_3repE0EEENS1_30default_config_static_selectorELNS0_4arch9wavefront6targetE0EEEvT1_
; %bb.0:
	.section	.rodata,"a",@progbits
	.p2align	6, 0x0
	.amdhsa_kernel _ZN7rocprim17ROCPRIM_400000_NS6detail17trampoline_kernelINS0_14default_configENS1_25partition_config_selectorILNS1_17partition_subalgoE5EfNS0_10empty_typeEbEEZZNS1_14partition_implILS5_5ELb0ES3_mN6thrust23THRUST_200600_302600_NS6detail15normal_iteratorINSA_10device_ptrIfEEEEPS6_NSA_18transform_iteratorINSB_9not_fun_tI7is_trueIfEEENSC_INSD_IbEEEENSA_11use_defaultESO_EENS0_5tupleIJNSA_16discard_iteratorISO_EES6_EEENSQ_IJSG_SG_EEES6_PlJS6_EEE10hipError_tPvRmT3_T4_T5_T6_T7_T9_mT8_P12ihipStream_tbDpT10_ENKUlT_T0_E_clISt17integral_constantIbLb1EES1E_IbLb0EEEEDaS1A_S1B_EUlS1A_E_NS1_11comp_targetILNS1_3genE4ELNS1_11target_archE910ELNS1_3gpuE8ELNS1_3repE0EEENS1_30default_config_static_selectorELNS0_4arch9wavefront6targetE0EEEvT1_
		.amdhsa_group_segment_fixed_size 0
		.amdhsa_private_segment_fixed_size 0
		.amdhsa_kernarg_size 128
		.amdhsa_user_sgpr_count 2
		.amdhsa_user_sgpr_dispatch_ptr 0
		.amdhsa_user_sgpr_queue_ptr 0
		.amdhsa_user_sgpr_kernarg_segment_ptr 1
		.amdhsa_user_sgpr_dispatch_id 0
		.amdhsa_user_sgpr_private_segment_size 0
		.amdhsa_wavefront_size32 1
		.amdhsa_uses_dynamic_stack 0
		.amdhsa_enable_private_segment 0
		.amdhsa_system_sgpr_workgroup_id_x 1
		.amdhsa_system_sgpr_workgroup_id_y 0
		.amdhsa_system_sgpr_workgroup_id_z 0
		.amdhsa_system_sgpr_workgroup_info 0
		.amdhsa_system_vgpr_workitem_id 0
		.amdhsa_next_free_vgpr 1
		.amdhsa_next_free_sgpr 1
		.amdhsa_reserve_vcc 0
		.amdhsa_float_round_mode_32 0
		.amdhsa_float_round_mode_16_64 0
		.amdhsa_float_denorm_mode_32 3
		.amdhsa_float_denorm_mode_16_64 3
		.amdhsa_fp16_overflow 0
		.amdhsa_workgroup_processor_mode 1
		.amdhsa_memory_ordered 1
		.amdhsa_forward_progress 1
		.amdhsa_inst_pref_size 0
		.amdhsa_round_robin_scheduling 0
		.amdhsa_exception_fp_ieee_invalid_op 0
		.amdhsa_exception_fp_denorm_src 0
		.amdhsa_exception_fp_ieee_div_zero 0
		.amdhsa_exception_fp_ieee_overflow 0
		.amdhsa_exception_fp_ieee_underflow 0
		.amdhsa_exception_fp_ieee_inexact 0
		.amdhsa_exception_int_div_zero 0
	.end_amdhsa_kernel
	.section	.text._ZN7rocprim17ROCPRIM_400000_NS6detail17trampoline_kernelINS0_14default_configENS1_25partition_config_selectorILNS1_17partition_subalgoE5EfNS0_10empty_typeEbEEZZNS1_14partition_implILS5_5ELb0ES3_mN6thrust23THRUST_200600_302600_NS6detail15normal_iteratorINSA_10device_ptrIfEEEEPS6_NSA_18transform_iteratorINSB_9not_fun_tI7is_trueIfEEENSC_INSD_IbEEEENSA_11use_defaultESO_EENS0_5tupleIJNSA_16discard_iteratorISO_EES6_EEENSQ_IJSG_SG_EEES6_PlJS6_EEE10hipError_tPvRmT3_T4_T5_T6_T7_T9_mT8_P12ihipStream_tbDpT10_ENKUlT_T0_E_clISt17integral_constantIbLb1EES1E_IbLb0EEEEDaS1A_S1B_EUlS1A_E_NS1_11comp_targetILNS1_3genE4ELNS1_11target_archE910ELNS1_3gpuE8ELNS1_3repE0EEENS1_30default_config_static_selectorELNS0_4arch9wavefront6targetE0EEEvT1_,"axG",@progbits,_ZN7rocprim17ROCPRIM_400000_NS6detail17trampoline_kernelINS0_14default_configENS1_25partition_config_selectorILNS1_17partition_subalgoE5EfNS0_10empty_typeEbEEZZNS1_14partition_implILS5_5ELb0ES3_mN6thrust23THRUST_200600_302600_NS6detail15normal_iteratorINSA_10device_ptrIfEEEEPS6_NSA_18transform_iteratorINSB_9not_fun_tI7is_trueIfEEENSC_INSD_IbEEEENSA_11use_defaultESO_EENS0_5tupleIJNSA_16discard_iteratorISO_EES6_EEENSQ_IJSG_SG_EEES6_PlJS6_EEE10hipError_tPvRmT3_T4_T5_T6_T7_T9_mT8_P12ihipStream_tbDpT10_ENKUlT_T0_E_clISt17integral_constantIbLb1EES1E_IbLb0EEEEDaS1A_S1B_EUlS1A_E_NS1_11comp_targetILNS1_3genE4ELNS1_11target_archE910ELNS1_3gpuE8ELNS1_3repE0EEENS1_30default_config_static_selectorELNS0_4arch9wavefront6targetE0EEEvT1_,comdat
.Lfunc_end2639:
	.size	_ZN7rocprim17ROCPRIM_400000_NS6detail17trampoline_kernelINS0_14default_configENS1_25partition_config_selectorILNS1_17partition_subalgoE5EfNS0_10empty_typeEbEEZZNS1_14partition_implILS5_5ELb0ES3_mN6thrust23THRUST_200600_302600_NS6detail15normal_iteratorINSA_10device_ptrIfEEEEPS6_NSA_18transform_iteratorINSB_9not_fun_tI7is_trueIfEEENSC_INSD_IbEEEENSA_11use_defaultESO_EENS0_5tupleIJNSA_16discard_iteratorISO_EES6_EEENSQ_IJSG_SG_EEES6_PlJS6_EEE10hipError_tPvRmT3_T4_T5_T6_T7_T9_mT8_P12ihipStream_tbDpT10_ENKUlT_T0_E_clISt17integral_constantIbLb1EES1E_IbLb0EEEEDaS1A_S1B_EUlS1A_E_NS1_11comp_targetILNS1_3genE4ELNS1_11target_archE910ELNS1_3gpuE8ELNS1_3repE0EEENS1_30default_config_static_selectorELNS0_4arch9wavefront6targetE0EEEvT1_, .Lfunc_end2639-_ZN7rocprim17ROCPRIM_400000_NS6detail17trampoline_kernelINS0_14default_configENS1_25partition_config_selectorILNS1_17partition_subalgoE5EfNS0_10empty_typeEbEEZZNS1_14partition_implILS5_5ELb0ES3_mN6thrust23THRUST_200600_302600_NS6detail15normal_iteratorINSA_10device_ptrIfEEEEPS6_NSA_18transform_iteratorINSB_9not_fun_tI7is_trueIfEEENSC_INSD_IbEEEENSA_11use_defaultESO_EENS0_5tupleIJNSA_16discard_iteratorISO_EES6_EEENSQ_IJSG_SG_EEES6_PlJS6_EEE10hipError_tPvRmT3_T4_T5_T6_T7_T9_mT8_P12ihipStream_tbDpT10_ENKUlT_T0_E_clISt17integral_constantIbLb1EES1E_IbLb0EEEEDaS1A_S1B_EUlS1A_E_NS1_11comp_targetILNS1_3genE4ELNS1_11target_archE910ELNS1_3gpuE8ELNS1_3repE0EEENS1_30default_config_static_selectorELNS0_4arch9wavefront6targetE0EEEvT1_
                                        ; -- End function
	.set _ZN7rocprim17ROCPRIM_400000_NS6detail17trampoline_kernelINS0_14default_configENS1_25partition_config_selectorILNS1_17partition_subalgoE5EfNS0_10empty_typeEbEEZZNS1_14partition_implILS5_5ELb0ES3_mN6thrust23THRUST_200600_302600_NS6detail15normal_iteratorINSA_10device_ptrIfEEEEPS6_NSA_18transform_iteratorINSB_9not_fun_tI7is_trueIfEEENSC_INSD_IbEEEENSA_11use_defaultESO_EENS0_5tupleIJNSA_16discard_iteratorISO_EES6_EEENSQ_IJSG_SG_EEES6_PlJS6_EEE10hipError_tPvRmT3_T4_T5_T6_T7_T9_mT8_P12ihipStream_tbDpT10_ENKUlT_T0_E_clISt17integral_constantIbLb1EES1E_IbLb0EEEEDaS1A_S1B_EUlS1A_E_NS1_11comp_targetILNS1_3genE4ELNS1_11target_archE910ELNS1_3gpuE8ELNS1_3repE0EEENS1_30default_config_static_selectorELNS0_4arch9wavefront6targetE0EEEvT1_.num_vgpr, 0
	.set _ZN7rocprim17ROCPRIM_400000_NS6detail17trampoline_kernelINS0_14default_configENS1_25partition_config_selectorILNS1_17partition_subalgoE5EfNS0_10empty_typeEbEEZZNS1_14partition_implILS5_5ELb0ES3_mN6thrust23THRUST_200600_302600_NS6detail15normal_iteratorINSA_10device_ptrIfEEEEPS6_NSA_18transform_iteratorINSB_9not_fun_tI7is_trueIfEEENSC_INSD_IbEEEENSA_11use_defaultESO_EENS0_5tupleIJNSA_16discard_iteratorISO_EES6_EEENSQ_IJSG_SG_EEES6_PlJS6_EEE10hipError_tPvRmT3_T4_T5_T6_T7_T9_mT8_P12ihipStream_tbDpT10_ENKUlT_T0_E_clISt17integral_constantIbLb1EES1E_IbLb0EEEEDaS1A_S1B_EUlS1A_E_NS1_11comp_targetILNS1_3genE4ELNS1_11target_archE910ELNS1_3gpuE8ELNS1_3repE0EEENS1_30default_config_static_selectorELNS0_4arch9wavefront6targetE0EEEvT1_.num_agpr, 0
	.set _ZN7rocprim17ROCPRIM_400000_NS6detail17trampoline_kernelINS0_14default_configENS1_25partition_config_selectorILNS1_17partition_subalgoE5EfNS0_10empty_typeEbEEZZNS1_14partition_implILS5_5ELb0ES3_mN6thrust23THRUST_200600_302600_NS6detail15normal_iteratorINSA_10device_ptrIfEEEEPS6_NSA_18transform_iteratorINSB_9not_fun_tI7is_trueIfEEENSC_INSD_IbEEEENSA_11use_defaultESO_EENS0_5tupleIJNSA_16discard_iteratorISO_EES6_EEENSQ_IJSG_SG_EEES6_PlJS6_EEE10hipError_tPvRmT3_T4_T5_T6_T7_T9_mT8_P12ihipStream_tbDpT10_ENKUlT_T0_E_clISt17integral_constantIbLb1EES1E_IbLb0EEEEDaS1A_S1B_EUlS1A_E_NS1_11comp_targetILNS1_3genE4ELNS1_11target_archE910ELNS1_3gpuE8ELNS1_3repE0EEENS1_30default_config_static_selectorELNS0_4arch9wavefront6targetE0EEEvT1_.numbered_sgpr, 0
	.set _ZN7rocprim17ROCPRIM_400000_NS6detail17trampoline_kernelINS0_14default_configENS1_25partition_config_selectorILNS1_17partition_subalgoE5EfNS0_10empty_typeEbEEZZNS1_14partition_implILS5_5ELb0ES3_mN6thrust23THRUST_200600_302600_NS6detail15normal_iteratorINSA_10device_ptrIfEEEEPS6_NSA_18transform_iteratorINSB_9not_fun_tI7is_trueIfEEENSC_INSD_IbEEEENSA_11use_defaultESO_EENS0_5tupleIJNSA_16discard_iteratorISO_EES6_EEENSQ_IJSG_SG_EEES6_PlJS6_EEE10hipError_tPvRmT3_T4_T5_T6_T7_T9_mT8_P12ihipStream_tbDpT10_ENKUlT_T0_E_clISt17integral_constantIbLb1EES1E_IbLb0EEEEDaS1A_S1B_EUlS1A_E_NS1_11comp_targetILNS1_3genE4ELNS1_11target_archE910ELNS1_3gpuE8ELNS1_3repE0EEENS1_30default_config_static_selectorELNS0_4arch9wavefront6targetE0EEEvT1_.num_named_barrier, 0
	.set _ZN7rocprim17ROCPRIM_400000_NS6detail17trampoline_kernelINS0_14default_configENS1_25partition_config_selectorILNS1_17partition_subalgoE5EfNS0_10empty_typeEbEEZZNS1_14partition_implILS5_5ELb0ES3_mN6thrust23THRUST_200600_302600_NS6detail15normal_iteratorINSA_10device_ptrIfEEEEPS6_NSA_18transform_iteratorINSB_9not_fun_tI7is_trueIfEEENSC_INSD_IbEEEENSA_11use_defaultESO_EENS0_5tupleIJNSA_16discard_iteratorISO_EES6_EEENSQ_IJSG_SG_EEES6_PlJS6_EEE10hipError_tPvRmT3_T4_T5_T6_T7_T9_mT8_P12ihipStream_tbDpT10_ENKUlT_T0_E_clISt17integral_constantIbLb1EES1E_IbLb0EEEEDaS1A_S1B_EUlS1A_E_NS1_11comp_targetILNS1_3genE4ELNS1_11target_archE910ELNS1_3gpuE8ELNS1_3repE0EEENS1_30default_config_static_selectorELNS0_4arch9wavefront6targetE0EEEvT1_.private_seg_size, 0
	.set _ZN7rocprim17ROCPRIM_400000_NS6detail17trampoline_kernelINS0_14default_configENS1_25partition_config_selectorILNS1_17partition_subalgoE5EfNS0_10empty_typeEbEEZZNS1_14partition_implILS5_5ELb0ES3_mN6thrust23THRUST_200600_302600_NS6detail15normal_iteratorINSA_10device_ptrIfEEEEPS6_NSA_18transform_iteratorINSB_9not_fun_tI7is_trueIfEEENSC_INSD_IbEEEENSA_11use_defaultESO_EENS0_5tupleIJNSA_16discard_iteratorISO_EES6_EEENSQ_IJSG_SG_EEES6_PlJS6_EEE10hipError_tPvRmT3_T4_T5_T6_T7_T9_mT8_P12ihipStream_tbDpT10_ENKUlT_T0_E_clISt17integral_constantIbLb1EES1E_IbLb0EEEEDaS1A_S1B_EUlS1A_E_NS1_11comp_targetILNS1_3genE4ELNS1_11target_archE910ELNS1_3gpuE8ELNS1_3repE0EEENS1_30default_config_static_selectorELNS0_4arch9wavefront6targetE0EEEvT1_.uses_vcc, 0
	.set _ZN7rocprim17ROCPRIM_400000_NS6detail17trampoline_kernelINS0_14default_configENS1_25partition_config_selectorILNS1_17partition_subalgoE5EfNS0_10empty_typeEbEEZZNS1_14partition_implILS5_5ELb0ES3_mN6thrust23THRUST_200600_302600_NS6detail15normal_iteratorINSA_10device_ptrIfEEEEPS6_NSA_18transform_iteratorINSB_9not_fun_tI7is_trueIfEEENSC_INSD_IbEEEENSA_11use_defaultESO_EENS0_5tupleIJNSA_16discard_iteratorISO_EES6_EEENSQ_IJSG_SG_EEES6_PlJS6_EEE10hipError_tPvRmT3_T4_T5_T6_T7_T9_mT8_P12ihipStream_tbDpT10_ENKUlT_T0_E_clISt17integral_constantIbLb1EES1E_IbLb0EEEEDaS1A_S1B_EUlS1A_E_NS1_11comp_targetILNS1_3genE4ELNS1_11target_archE910ELNS1_3gpuE8ELNS1_3repE0EEENS1_30default_config_static_selectorELNS0_4arch9wavefront6targetE0EEEvT1_.uses_flat_scratch, 0
	.set _ZN7rocprim17ROCPRIM_400000_NS6detail17trampoline_kernelINS0_14default_configENS1_25partition_config_selectorILNS1_17partition_subalgoE5EfNS0_10empty_typeEbEEZZNS1_14partition_implILS5_5ELb0ES3_mN6thrust23THRUST_200600_302600_NS6detail15normal_iteratorINSA_10device_ptrIfEEEEPS6_NSA_18transform_iteratorINSB_9not_fun_tI7is_trueIfEEENSC_INSD_IbEEEENSA_11use_defaultESO_EENS0_5tupleIJNSA_16discard_iteratorISO_EES6_EEENSQ_IJSG_SG_EEES6_PlJS6_EEE10hipError_tPvRmT3_T4_T5_T6_T7_T9_mT8_P12ihipStream_tbDpT10_ENKUlT_T0_E_clISt17integral_constantIbLb1EES1E_IbLb0EEEEDaS1A_S1B_EUlS1A_E_NS1_11comp_targetILNS1_3genE4ELNS1_11target_archE910ELNS1_3gpuE8ELNS1_3repE0EEENS1_30default_config_static_selectorELNS0_4arch9wavefront6targetE0EEEvT1_.has_dyn_sized_stack, 0
	.set _ZN7rocprim17ROCPRIM_400000_NS6detail17trampoline_kernelINS0_14default_configENS1_25partition_config_selectorILNS1_17partition_subalgoE5EfNS0_10empty_typeEbEEZZNS1_14partition_implILS5_5ELb0ES3_mN6thrust23THRUST_200600_302600_NS6detail15normal_iteratorINSA_10device_ptrIfEEEEPS6_NSA_18transform_iteratorINSB_9not_fun_tI7is_trueIfEEENSC_INSD_IbEEEENSA_11use_defaultESO_EENS0_5tupleIJNSA_16discard_iteratorISO_EES6_EEENSQ_IJSG_SG_EEES6_PlJS6_EEE10hipError_tPvRmT3_T4_T5_T6_T7_T9_mT8_P12ihipStream_tbDpT10_ENKUlT_T0_E_clISt17integral_constantIbLb1EES1E_IbLb0EEEEDaS1A_S1B_EUlS1A_E_NS1_11comp_targetILNS1_3genE4ELNS1_11target_archE910ELNS1_3gpuE8ELNS1_3repE0EEENS1_30default_config_static_selectorELNS0_4arch9wavefront6targetE0EEEvT1_.has_recursion, 0
	.set _ZN7rocprim17ROCPRIM_400000_NS6detail17trampoline_kernelINS0_14default_configENS1_25partition_config_selectorILNS1_17partition_subalgoE5EfNS0_10empty_typeEbEEZZNS1_14partition_implILS5_5ELb0ES3_mN6thrust23THRUST_200600_302600_NS6detail15normal_iteratorINSA_10device_ptrIfEEEEPS6_NSA_18transform_iteratorINSB_9not_fun_tI7is_trueIfEEENSC_INSD_IbEEEENSA_11use_defaultESO_EENS0_5tupleIJNSA_16discard_iteratorISO_EES6_EEENSQ_IJSG_SG_EEES6_PlJS6_EEE10hipError_tPvRmT3_T4_T5_T6_T7_T9_mT8_P12ihipStream_tbDpT10_ENKUlT_T0_E_clISt17integral_constantIbLb1EES1E_IbLb0EEEEDaS1A_S1B_EUlS1A_E_NS1_11comp_targetILNS1_3genE4ELNS1_11target_archE910ELNS1_3gpuE8ELNS1_3repE0EEENS1_30default_config_static_selectorELNS0_4arch9wavefront6targetE0EEEvT1_.has_indirect_call, 0
	.section	.AMDGPU.csdata,"",@progbits
; Kernel info:
; codeLenInByte = 0
; TotalNumSgprs: 0
; NumVgprs: 0
; ScratchSize: 0
; MemoryBound: 0
; FloatMode: 240
; IeeeMode: 1
; LDSByteSize: 0 bytes/workgroup (compile time only)
; SGPRBlocks: 0
; VGPRBlocks: 0
; NumSGPRsForWavesPerEU: 1
; NumVGPRsForWavesPerEU: 1
; Occupancy: 16
; WaveLimiterHint : 0
; COMPUTE_PGM_RSRC2:SCRATCH_EN: 0
; COMPUTE_PGM_RSRC2:USER_SGPR: 2
; COMPUTE_PGM_RSRC2:TRAP_HANDLER: 0
; COMPUTE_PGM_RSRC2:TGID_X_EN: 1
; COMPUTE_PGM_RSRC2:TGID_Y_EN: 0
; COMPUTE_PGM_RSRC2:TGID_Z_EN: 0
; COMPUTE_PGM_RSRC2:TIDIG_COMP_CNT: 0
	.section	.text._ZN7rocprim17ROCPRIM_400000_NS6detail17trampoline_kernelINS0_14default_configENS1_25partition_config_selectorILNS1_17partition_subalgoE5EfNS0_10empty_typeEbEEZZNS1_14partition_implILS5_5ELb0ES3_mN6thrust23THRUST_200600_302600_NS6detail15normal_iteratorINSA_10device_ptrIfEEEEPS6_NSA_18transform_iteratorINSB_9not_fun_tI7is_trueIfEEENSC_INSD_IbEEEENSA_11use_defaultESO_EENS0_5tupleIJNSA_16discard_iteratorISO_EES6_EEENSQ_IJSG_SG_EEES6_PlJS6_EEE10hipError_tPvRmT3_T4_T5_T6_T7_T9_mT8_P12ihipStream_tbDpT10_ENKUlT_T0_E_clISt17integral_constantIbLb1EES1E_IbLb0EEEEDaS1A_S1B_EUlS1A_E_NS1_11comp_targetILNS1_3genE3ELNS1_11target_archE908ELNS1_3gpuE7ELNS1_3repE0EEENS1_30default_config_static_selectorELNS0_4arch9wavefront6targetE0EEEvT1_,"axG",@progbits,_ZN7rocprim17ROCPRIM_400000_NS6detail17trampoline_kernelINS0_14default_configENS1_25partition_config_selectorILNS1_17partition_subalgoE5EfNS0_10empty_typeEbEEZZNS1_14partition_implILS5_5ELb0ES3_mN6thrust23THRUST_200600_302600_NS6detail15normal_iteratorINSA_10device_ptrIfEEEEPS6_NSA_18transform_iteratorINSB_9not_fun_tI7is_trueIfEEENSC_INSD_IbEEEENSA_11use_defaultESO_EENS0_5tupleIJNSA_16discard_iteratorISO_EES6_EEENSQ_IJSG_SG_EEES6_PlJS6_EEE10hipError_tPvRmT3_T4_T5_T6_T7_T9_mT8_P12ihipStream_tbDpT10_ENKUlT_T0_E_clISt17integral_constantIbLb1EES1E_IbLb0EEEEDaS1A_S1B_EUlS1A_E_NS1_11comp_targetILNS1_3genE3ELNS1_11target_archE908ELNS1_3gpuE7ELNS1_3repE0EEENS1_30default_config_static_selectorELNS0_4arch9wavefront6targetE0EEEvT1_,comdat
	.protected	_ZN7rocprim17ROCPRIM_400000_NS6detail17trampoline_kernelINS0_14default_configENS1_25partition_config_selectorILNS1_17partition_subalgoE5EfNS0_10empty_typeEbEEZZNS1_14partition_implILS5_5ELb0ES3_mN6thrust23THRUST_200600_302600_NS6detail15normal_iteratorINSA_10device_ptrIfEEEEPS6_NSA_18transform_iteratorINSB_9not_fun_tI7is_trueIfEEENSC_INSD_IbEEEENSA_11use_defaultESO_EENS0_5tupleIJNSA_16discard_iteratorISO_EES6_EEENSQ_IJSG_SG_EEES6_PlJS6_EEE10hipError_tPvRmT3_T4_T5_T6_T7_T9_mT8_P12ihipStream_tbDpT10_ENKUlT_T0_E_clISt17integral_constantIbLb1EES1E_IbLb0EEEEDaS1A_S1B_EUlS1A_E_NS1_11comp_targetILNS1_3genE3ELNS1_11target_archE908ELNS1_3gpuE7ELNS1_3repE0EEENS1_30default_config_static_selectorELNS0_4arch9wavefront6targetE0EEEvT1_ ; -- Begin function _ZN7rocprim17ROCPRIM_400000_NS6detail17trampoline_kernelINS0_14default_configENS1_25partition_config_selectorILNS1_17partition_subalgoE5EfNS0_10empty_typeEbEEZZNS1_14partition_implILS5_5ELb0ES3_mN6thrust23THRUST_200600_302600_NS6detail15normal_iteratorINSA_10device_ptrIfEEEEPS6_NSA_18transform_iteratorINSB_9not_fun_tI7is_trueIfEEENSC_INSD_IbEEEENSA_11use_defaultESO_EENS0_5tupleIJNSA_16discard_iteratorISO_EES6_EEENSQ_IJSG_SG_EEES6_PlJS6_EEE10hipError_tPvRmT3_T4_T5_T6_T7_T9_mT8_P12ihipStream_tbDpT10_ENKUlT_T0_E_clISt17integral_constantIbLb1EES1E_IbLb0EEEEDaS1A_S1B_EUlS1A_E_NS1_11comp_targetILNS1_3genE3ELNS1_11target_archE908ELNS1_3gpuE7ELNS1_3repE0EEENS1_30default_config_static_selectorELNS0_4arch9wavefront6targetE0EEEvT1_
	.globl	_ZN7rocprim17ROCPRIM_400000_NS6detail17trampoline_kernelINS0_14default_configENS1_25partition_config_selectorILNS1_17partition_subalgoE5EfNS0_10empty_typeEbEEZZNS1_14partition_implILS5_5ELb0ES3_mN6thrust23THRUST_200600_302600_NS6detail15normal_iteratorINSA_10device_ptrIfEEEEPS6_NSA_18transform_iteratorINSB_9not_fun_tI7is_trueIfEEENSC_INSD_IbEEEENSA_11use_defaultESO_EENS0_5tupleIJNSA_16discard_iteratorISO_EES6_EEENSQ_IJSG_SG_EEES6_PlJS6_EEE10hipError_tPvRmT3_T4_T5_T6_T7_T9_mT8_P12ihipStream_tbDpT10_ENKUlT_T0_E_clISt17integral_constantIbLb1EES1E_IbLb0EEEEDaS1A_S1B_EUlS1A_E_NS1_11comp_targetILNS1_3genE3ELNS1_11target_archE908ELNS1_3gpuE7ELNS1_3repE0EEENS1_30default_config_static_selectorELNS0_4arch9wavefront6targetE0EEEvT1_
	.p2align	8
	.type	_ZN7rocprim17ROCPRIM_400000_NS6detail17trampoline_kernelINS0_14default_configENS1_25partition_config_selectorILNS1_17partition_subalgoE5EfNS0_10empty_typeEbEEZZNS1_14partition_implILS5_5ELb0ES3_mN6thrust23THRUST_200600_302600_NS6detail15normal_iteratorINSA_10device_ptrIfEEEEPS6_NSA_18transform_iteratorINSB_9not_fun_tI7is_trueIfEEENSC_INSD_IbEEEENSA_11use_defaultESO_EENS0_5tupleIJNSA_16discard_iteratorISO_EES6_EEENSQ_IJSG_SG_EEES6_PlJS6_EEE10hipError_tPvRmT3_T4_T5_T6_T7_T9_mT8_P12ihipStream_tbDpT10_ENKUlT_T0_E_clISt17integral_constantIbLb1EES1E_IbLb0EEEEDaS1A_S1B_EUlS1A_E_NS1_11comp_targetILNS1_3genE3ELNS1_11target_archE908ELNS1_3gpuE7ELNS1_3repE0EEENS1_30default_config_static_selectorELNS0_4arch9wavefront6targetE0EEEvT1_,@function
_ZN7rocprim17ROCPRIM_400000_NS6detail17trampoline_kernelINS0_14default_configENS1_25partition_config_selectorILNS1_17partition_subalgoE5EfNS0_10empty_typeEbEEZZNS1_14partition_implILS5_5ELb0ES3_mN6thrust23THRUST_200600_302600_NS6detail15normal_iteratorINSA_10device_ptrIfEEEEPS6_NSA_18transform_iteratorINSB_9not_fun_tI7is_trueIfEEENSC_INSD_IbEEEENSA_11use_defaultESO_EENS0_5tupleIJNSA_16discard_iteratorISO_EES6_EEENSQ_IJSG_SG_EEES6_PlJS6_EEE10hipError_tPvRmT3_T4_T5_T6_T7_T9_mT8_P12ihipStream_tbDpT10_ENKUlT_T0_E_clISt17integral_constantIbLb1EES1E_IbLb0EEEEDaS1A_S1B_EUlS1A_E_NS1_11comp_targetILNS1_3genE3ELNS1_11target_archE908ELNS1_3gpuE7ELNS1_3repE0EEENS1_30default_config_static_selectorELNS0_4arch9wavefront6targetE0EEEvT1_: ; @_ZN7rocprim17ROCPRIM_400000_NS6detail17trampoline_kernelINS0_14default_configENS1_25partition_config_selectorILNS1_17partition_subalgoE5EfNS0_10empty_typeEbEEZZNS1_14partition_implILS5_5ELb0ES3_mN6thrust23THRUST_200600_302600_NS6detail15normal_iteratorINSA_10device_ptrIfEEEEPS6_NSA_18transform_iteratorINSB_9not_fun_tI7is_trueIfEEENSC_INSD_IbEEEENSA_11use_defaultESO_EENS0_5tupleIJNSA_16discard_iteratorISO_EES6_EEENSQ_IJSG_SG_EEES6_PlJS6_EEE10hipError_tPvRmT3_T4_T5_T6_T7_T9_mT8_P12ihipStream_tbDpT10_ENKUlT_T0_E_clISt17integral_constantIbLb1EES1E_IbLb0EEEEDaS1A_S1B_EUlS1A_E_NS1_11comp_targetILNS1_3genE3ELNS1_11target_archE908ELNS1_3gpuE7ELNS1_3repE0EEENS1_30default_config_static_selectorELNS0_4arch9wavefront6targetE0EEEvT1_
; %bb.0:
	.section	.rodata,"a",@progbits
	.p2align	6, 0x0
	.amdhsa_kernel _ZN7rocprim17ROCPRIM_400000_NS6detail17trampoline_kernelINS0_14default_configENS1_25partition_config_selectorILNS1_17partition_subalgoE5EfNS0_10empty_typeEbEEZZNS1_14partition_implILS5_5ELb0ES3_mN6thrust23THRUST_200600_302600_NS6detail15normal_iteratorINSA_10device_ptrIfEEEEPS6_NSA_18transform_iteratorINSB_9not_fun_tI7is_trueIfEEENSC_INSD_IbEEEENSA_11use_defaultESO_EENS0_5tupleIJNSA_16discard_iteratorISO_EES6_EEENSQ_IJSG_SG_EEES6_PlJS6_EEE10hipError_tPvRmT3_T4_T5_T6_T7_T9_mT8_P12ihipStream_tbDpT10_ENKUlT_T0_E_clISt17integral_constantIbLb1EES1E_IbLb0EEEEDaS1A_S1B_EUlS1A_E_NS1_11comp_targetILNS1_3genE3ELNS1_11target_archE908ELNS1_3gpuE7ELNS1_3repE0EEENS1_30default_config_static_selectorELNS0_4arch9wavefront6targetE0EEEvT1_
		.amdhsa_group_segment_fixed_size 0
		.amdhsa_private_segment_fixed_size 0
		.amdhsa_kernarg_size 128
		.amdhsa_user_sgpr_count 2
		.amdhsa_user_sgpr_dispatch_ptr 0
		.amdhsa_user_sgpr_queue_ptr 0
		.amdhsa_user_sgpr_kernarg_segment_ptr 1
		.amdhsa_user_sgpr_dispatch_id 0
		.amdhsa_user_sgpr_private_segment_size 0
		.amdhsa_wavefront_size32 1
		.amdhsa_uses_dynamic_stack 0
		.amdhsa_enable_private_segment 0
		.amdhsa_system_sgpr_workgroup_id_x 1
		.amdhsa_system_sgpr_workgroup_id_y 0
		.amdhsa_system_sgpr_workgroup_id_z 0
		.amdhsa_system_sgpr_workgroup_info 0
		.amdhsa_system_vgpr_workitem_id 0
		.amdhsa_next_free_vgpr 1
		.amdhsa_next_free_sgpr 1
		.amdhsa_reserve_vcc 0
		.amdhsa_float_round_mode_32 0
		.amdhsa_float_round_mode_16_64 0
		.amdhsa_float_denorm_mode_32 3
		.amdhsa_float_denorm_mode_16_64 3
		.amdhsa_fp16_overflow 0
		.amdhsa_workgroup_processor_mode 1
		.amdhsa_memory_ordered 1
		.amdhsa_forward_progress 1
		.amdhsa_inst_pref_size 0
		.amdhsa_round_robin_scheduling 0
		.amdhsa_exception_fp_ieee_invalid_op 0
		.amdhsa_exception_fp_denorm_src 0
		.amdhsa_exception_fp_ieee_div_zero 0
		.amdhsa_exception_fp_ieee_overflow 0
		.amdhsa_exception_fp_ieee_underflow 0
		.amdhsa_exception_fp_ieee_inexact 0
		.amdhsa_exception_int_div_zero 0
	.end_amdhsa_kernel
	.section	.text._ZN7rocprim17ROCPRIM_400000_NS6detail17trampoline_kernelINS0_14default_configENS1_25partition_config_selectorILNS1_17partition_subalgoE5EfNS0_10empty_typeEbEEZZNS1_14partition_implILS5_5ELb0ES3_mN6thrust23THRUST_200600_302600_NS6detail15normal_iteratorINSA_10device_ptrIfEEEEPS6_NSA_18transform_iteratorINSB_9not_fun_tI7is_trueIfEEENSC_INSD_IbEEEENSA_11use_defaultESO_EENS0_5tupleIJNSA_16discard_iteratorISO_EES6_EEENSQ_IJSG_SG_EEES6_PlJS6_EEE10hipError_tPvRmT3_T4_T5_T6_T7_T9_mT8_P12ihipStream_tbDpT10_ENKUlT_T0_E_clISt17integral_constantIbLb1EES1E_IbLb0EEEEDaS1A_S1B_EUlS1A_E_NS1_11comp_targetILNS1_3genE3ELNS1_11target_archE908ELNS1_3gpuE7ELNS1_3repE0EEENS1_30default_config_static_selectorELNS0_4arch9wavefront6targetE0EEEvT1_,"axG",@progbits,_ZN7rocprim17ROCPRIM_400000_NS6detail17trampoline_kernelINS0_14default_configENS1_25partition_config_selectorILNS1_17partition_subalgoE5EfNS0_10empty_typeEbEEZZNS1_14partition_implILS5_5ELb0ES3_mN6thrust23THRUST_200600_302600_NS6detail15normal_iteratorINSA_10device_ptrIfEEEEPS6_NSA_18transform_iteratorINSB_9not_fun_tI7is_trueIfEEENSC_INSD_IbEEEENSA_11use_defaultESO_EENS0_5tupleIJNSA_16discard_iteratorISO_EES6_EEENSQ_IJSG_SG_EEES6_PlJS6_EEE10hipError_tPvRmT3_T4_T5_T6_T7_T9_mT8_P12ihipStream_tbDpT10_ENKUlT_T0_E_clISt17integral_constantIbLb1EES1E_IbLb0EEEEDaS1A_S1B_EUlS1A_E_NS1_11comp_targetILNS1_3genE3ELNS1_11target_archE908ELNS1_3gpuE7ELNS1_3repE0EEENS1_30default_config_static_selectorELNS0_4arch9wavefront6targetE0EEEvT1_,comdat
.Lfunc_end2640:
	.size	_ZN7rocprim17ROCPRIM_400000_NS6detail17trampoline_kernelINS0_14default_configENS1_25partition_config_selectorILNS1_17partition_subalgoE5EfNS0_10empty_typeEbEEZZNS1_14partition_implILS5_5ELb0ES3_mN6thrust23THRUST_200600_302600_NS6detail15normal_iteratorINSA_10device_ptrIfEEEEPS6_NSA_18transform_iteratorINSB_9not_fun_tI7is_trueIfEEENSC_INSD_IbEEEENSA_11use_defaultESO_EENS0_5tupleIJNSA_16discard_iteratorISO_EES6_EEENSQ_IJSG_SG_EEES6_PlJS6_EEE10hipError_tPvRmT3_T4_T5_T6_T7_T9_mT8_P12ihipStream_tbDpT10_ENKUlT_T0_E_clISt17integral_constantIbLb1EES1E_IbLb0EEEEDaS1A_S1B_EUlS1A_E_NS1_11comp_targetILNS1_3genE3ELNS1_11target_archE908ELNS1_3gpuE7ELNS1_3repE0EEENS1_30default_config_static_selectorELNS0_4arch9wavefront6targetE0EEEvT1_, .Lfunc_end2640-_ZN7rocprim17ROCPRIM_400000_NS6detail17trampoline_kernelINS0_14default_configENS1_25partition_config_selectorILNS1_17partition_subalgoE5EfNS0_10empty_typeEbEEZZNS1_14partition_implILS5_5ELb0ES3_mN6thrust23THRUST_200600_302600_NS6detail15normal_iteratorINSA_10device_ptrIfEEEEPS6_NSA_18transform_iteratorINSB_9not_fun_tI7is_trueIfEEENSC_INSD_IbEEEENSA_11use_defaultESO_EENS0_5tupleIJNSA_16discard_iteratorISO_EES6_EEENSQ_IJSG_SG_EEES6_PlJS6_EEE10hipError_tPvRmT3_T4_T5_T6_T7_T9_mT8_P12ihipStream_tbDpT10_ENKUlT_T0_E_clISt17integral_constantIbLb1EES1E_IbLb0EEEEDaS1A_S1B_EUlS1A_E_NS1_11comp_targetILNS1_3genE3ELNS1_11target_archE908ELNS1_3gpuE7ELNS1_3repE0EEENS1_30default_config_static_selectorELNS0_4arch9wavefront6targetE0EEEvT1_
                                        ; -- End function
	.set _ZN7rocprim17ROCPRIM_400000_NS6detail17trampoline_kernelINS0_14default_configENS1_25partition_config_selectorILNS1_17partition_subalgoE5EfNS0_10empty_typeEbEEZZNS1_14partition_implILS5_5ELb0ES3_mN6thrust23THRUST_200600_302600_NS6detail15normal_iteratorINSA_10device_ptrIfEEEEPS6_NSA_18transform_iteratorINSB_9not_fun_tI7is_trueIfEEENSC_INSD_IbEEEENSA_11use_defaultESO_EENS0_5tupleIJNSA_16discard_iteratorISO_EES6_EEENSQ_IJSG_SG_EEES6_PlJS6_EEE10hipError_tPvRmT3_T4_T5_T6_T7_T9_mT8_P12ihipStream_tbDpT10_ENKUlT_T0_E_clISt17integral_constantIbLb1EES1E_IbLb0EEEEDaS1A_S1B_EUlS1A_E_NS1_11comp_targetILNS1_3genE3ELNS1_11target_archE908ELNS1_3gpuE7ELNS1_3repE0EEENS1_30default_config_static_selectorELNS0_4arch9wavefront6targetE0EEEvT1_.num_vgpr, 0
	.set _ZN7rocprim17ROCPRIM_400000_NS6detail17trampoline_kernelINS0_14default_configENS1_25partition_config_selectorILNS1_17partition_subalgoE5EfNS0_10empty_typeEbEEZZNS1_14partition_implILS5_5ELb0ES3_mN6thrust23THRUST_200600_302600_NS6detail15normal_iteratorINSA_10device_ptrIfEEEEPS6_NSA_18transform_iteratorINSB_9not_fun_tI7is_trueIfEEENSC_INSD_IbEEEENSA_11use_defaultESO_EENS0_5tupleIJNSA_16discard_iteratorISO_EES6_EEENSQ_IJSG_SG_EEES6_PlJS6_EEE10hipError_tPvRmT3_T4_T5_T6_T7_T9_mT8_P12ihipStream_tbDpT10_ENKUlT_T0_E_clISt17integral_constantIbLb1EES1E_IbLb0EEEEDaS1A_S1B_EUlS1A_E_NS1_11comp_targetILNS1_3genE3ELNS1_11target_archE908ELNS1_3gpuE7ELNS1_3repE0EEENS1_30default_config_static_selectorELNS0_4arch9wavefront6targetE0EEEvT1_.num_agpr, 0
	.set _ZN7rocprim17ROCPRIM_400000_NS6detail17trampoline_kernelINS0_14default_configENS1_25partition_config_selectorILNS1_17partition_subalgoE5EfNS0_10empty_typeEbEEZZNS1_14partition_implILS5_5ELb0ES3_mN6thrust23THRUST_200600_302600_NS6detail15normal_iteratorINSA_10device_ptrIfEEEEPS6_NSA_18transform_iteratorINSB_9not_fun_tI7is_trueIfEEENSC_INSD_IbEEEENSA_11use_defaultESO_EENS0_5tupleIJNSA_16discard_iteratorISO_EES6_EEENSQ_IJSG_SG_EEES6_PlJS6_EEE10hipError_tPvRmT3_T4_T5_T6_T7_T9_mT8_P12ihipStream_tbDpT10_ENKUlT_T0_E_clISt17integral_constantIbLb1EES1E_IbLb0EEEEDaS1A_S1B_EUlS1A_E_NS1_11comp_targetILNS1_3genE3ELNS1_11target_archE908ELNS1_3gpuE7ELNS1_3repE0EEENS1_30default_config_static_selectorELNS0_4arch9wavefront6targetE0EEEvT1_.numbered_sgpr, 0
	.set _ZN7rocprim17ROCPRIM_400000_NS6detail17trampoline_kernelINS0_14default_configENS1_25partition_config_selectorILNS1_17partition_subalgoE5EfNS0_10empty_typeEbEEZZNS1_14partition_implILS5_5ELb0ES3_mN6thrust23THRUST_200600_302600_NS6detail15normal_iteratorINSA_10device_ptrIfEEEEPS6_NSA_18transform_iteratorINSB_9not_fun_tI7is_trueIfEEENSC_INSD_IbEEEENSA_11use_defaultESO_EENS0_5tupleIJNSA_16discard_iteratorISO_EES6_EEENSQ_IJSG_SG_EEES6_PlJS6_EEE10hipError_tPvRmT3_T4_T5_T6_T7_T9_mT8_P12ihipStream_tbDpT10_ENKUlT_T0_E_clISt17integral_constantIbLb1EES1E_IbLb0EEEEDaS1A_S1B_EUlS1A_E_NS1_11comp_targetILNS1_3genE3ELNS1_11target_archE908ELNS1_3gpuE7ELNS1_3repE0EEENS1_30default_config_static_selectorELNS0_4arch9wavefront6targetE0EEEvT1_.num_named_barrier, 0
	.set _ZN7rocprim17ROCPRIM_400000_NS6detail17trampoline_kernelINS0_14default_configENS1_25partition_config_selectorILNS1_17partition_subalgoE5EfNS0_10empty_typeEbEEZZNS1_14partition_implILS5_5ELb0ES3_mN6thrust23THRUST_200600_302600_NS6detail15normal_iteratorINSA_10device_ptrIfEEEEPS6_NSA_18transform_iteratorINSB_9not_fun_tI7is_trueIfEEENSC_INSD_IbEEEENSA_11use_defaultESO_EENS0_5tupleIJNSA_16discard_iteratorISO_EES6_EEENSQ_IJSG_SG_EEES6_PlJS6_EEE10hipError_tPvRmT3_T4_T5_T6_T7_T9_mT8_P12ihipStream_tbDpT10_ENKUlT_T0_E_clISt17integral_constantIbLb1EES1E_IbLb0EEEEDaS1A_S1B_EUlS1A_E_NS1_11comp_targetILNS1_3genE3ELNS1_11target_archE908ELNS1_3gpuE7ELNS1_3repE0EEENS1_30default_config_static_selectorELNS0_4arch9wavefront6targetE0EEEvT1_.private_seg_size, 0
	.set _ZN7rocprim17ROCPRIM_400000_NS6detail17trampoline_kernelINS0_14default_configENS1_25partition_config_selectorILNS1_17partition_subalgoE5EfNS0_10empty_typeEbEEZZNS1_14partition_implILS5_5ELb0ES3_mN6thrust23THRUST_200600_302600_NS6detail15normal_iteratorINSA_10device_ptrIfEEEEPS6_NSA_18transform_iteratorINSB_9not_fun_tI7is_trueIfEEENSC_INSD_IbEEEENSA_11use_defaultESO_EENS0_5tupleIJNSA_16discard_iteratorISO_EES6_EEENSQ_IJSG_SG_EEES6_PlJS6_EEE10hipError_tPvRmT3_T4_T5_T6_T7_T9_mT8_P12ihipStream_tbDpT10_ENKUlT_T0_E_clISt17integral_constantIbLb1EES1E_IbLb0EEEEDaS1A_S1B_EUlS1A_E_NS1_11comp_targetILNS1_3genE3ELNS1_11target_archE908ELNS1_3gpuE7ELNS1_3repE0EEENS1_30default_config_static_selectorELNS0_4arch9wavefront6targetE0EEEvT1_.uses_vcc, 0
	.set _ZN7rocprim17ROCPRIM_400000_NS6detail17trampoline_kernelINS0_14default_configENS1_25partition_config_selectorILNS1_17partition_subalgoE5EfNS0_10empty_typeEbEEZZNS1_14partition_implILS5_5ELb0ES3_mN6thrust23THRUST_200600_302600_NS6detail15normal_iteratorINSA_10device_ptrIfEEEEPS6_NSA_18transform_iteratorINSB_9not_fun_tI7is_trueIfEEENSC_INSD_IbEEEENSA_11use_defaultESO_EENS0_5tupleIJNSA_16discard_iteratorISO_EES6_EEENSQ_IJSG_SG_EEES6_PlJS6_EEE10hipError_tPvRmT3_T4_T5_T6_T7_T9_mT8_P12ihipStream_tbDpT10_ENKUlT_T0_E_clISt17integral_constantIbLb1EES1E_IbLb0EEEEDaS1A_S1B_EUlS1A_E_NS1_11comp_targetILNS1_3genE3ELNS1_11target_archE908ELNS1_3gpuE7ELNS1_3repE0EEENS1_30default_config_static_selectorELNS0_4arch9wavefront6targetE0EEEvT1_.uses_flat_scratch, 0
	.set _ZN7rocprim17ROCPRIM_400000_NS6detail17trampoline_kernelINS0_14default_configENS1_25partition_config_selectorILNS1_17partition_subalgoE5EfNS0_10empty_typeEbEEZZNS1_14partition_implILS5_5ELb0ES3_mN6thrust23THRUST_200600_302600_NS6detail15normal_iteratorINSA_10device_ptrIfEEEEPS6_NSA_18transform_iteratorINSB_9not_fun_tI7is_trueIfEEENSC_INSD_IbEEEENSA_11use_defaultESO_EENS0_5tupleIJNSA_16discard_iteratorISO_EES6_EEENSQ_IJSG_SG_EEES6_PlJS6_EEE10hipError_tPvRmT3_T4_T5_T6_T7_T9_mT8_P12ihipStream_tbDpT10_ENKUlT_T0_E_clISt17integral_constantIbLb1EES1E_IbLb0EEEEDaS1A_S1B_EUlS1A_E_NS1_11comp_targetILNS1_3genE3ELNS1_11target_archE908ELNS1_3gpuE7ELNS1_3repE0EEENS1_30default_config_static_selectorELNS0_4arch9wavefront6targetE0EEEvT1_.has_dyn_sized_stack, 0
	.set _ZN7rocprim17ROCPRIM_400000_NS6detail17trampoline_kernelINS0_14default_configENS1_25partition_config_selectorILNS1_17partition_subalgoE5EfNS0_10empty_typeEbEEZZNS1_14partition_implILS5_5ELb0ES3_mN6thrust23THRUST_200600_302600_NS6detail15normal_iteratorINSA_10device_ptrIfEEEEPS6_NSA_18transform_iteratorINSB_9not_fun_tI7is_trueIfEEENSC_INSD_IbEEEENSA_11use_defaultESO_EENS0_5tupleIJNSA_16discard_iteratorISO_EES6_EEENSQ_IJSG_SG_EEES6_PlJS6_EEE10hipError_tPvRmT3_T4_T5_T6_T7_T9_mT8_P12ihipStream_tbDpT10_ENKUlT_T0_E_clISt17integral_constantIbLb1EES1E_IbLb0EEEEDaS1A_S1B_EUlS1A_E_NS1_11comp_targetILNS1_3genE3ELNS1_11target_archE908ELNS1_3gpuE7ELNS1_3repE0EEENS1_30default_config_static_selectorELNS0_4arch9wavefront6targetE0EEEvT1_.has_recursion, 0
	.set _ZN7rocprim17ROCPRIM_400000_NS6detail17trampoline_kernelINS0_14default_configENS1_25partition_config_selectorILNS1_17partition_subalgoE5EfNS0_10empty_typeEbEEZZNS1_14partition_implILS5_5ELb0ES3_mN6thrust23THRUST_200600_302600_NS6detail15normal_iteratorINSA_10device_ptrIfEEEEPS6_NSA_18transform_iteratorINSB_9not_fun_tI7is_trueIfEEENSC_INSD_IbEEEENSA_11use_defaultESO_EENS0_5tupleIJNSA_16discard_iteratorISO_EES6_EEENSQ_IJSG_SG_EEES6_PlJS6_EEE10hipError_tPvRmT3_T4_T5_T6_T7_T9_mT8_P12ihipStream_tbDpT10_ENKUlT_T0_E_clISt17integral_constantIbLb1EES1E_IbLb0EEEEDaS1A_S1B_EUlS1A_E_NS1_11comp_targetILNS1_3genE3ELNS1_11target_archE908ELNS1_3gpuE7ELNS1_3repE0EEENS1_30default_config_static_selectorELNS0_4arch9wavefront6targetE0EEEvT1_.has_indirect_call, 0
	.section	.AMDGPU.csdata,"",@progbits
; Kernel info:
; codeLenInByte = 0
; TotalNumSgprs: 0
; NumVgprs: 0
; ScratchSize: 0
; MemoryBound: 0
; FloatMode: 240
; IeeeMode: 1
; LDSByteSize: 0 bytes/workgroup (compile time only)
; SGPRBlocks: 0
; VGPRBlocks: 0
; NumSGPRsForWavesPerEU: 1
; NumVGPRsForWavesPerEU: 1
; Occupancy: 16
; WaveLimiterHint : 0
; COMPUTE_PGM_RSRC2:SCRATCH_EN: 0
; COMPUTE_PGM_RSRC2:USER_SGPR: 2
; COMPUTE_PGM_RSRC2:TRAP_HANDLER: 0
; COMPUTE_PGM_RSRC2:TGID_X_EN: 1
; COMPUTE_PGM_RSRC2:TGID_Y_EN: 0
; COMPUTE_PGM_RSRC2:TGID_Z_EN: 0
; COMPUTE_PGM_RSRC2:TIDIG_COMP_CNT: 0
	.section	.text._ZN7rocprim17ROCPRIM_400000_NS6detail17trampoline_kernelINS0_14default_configENS1_25partition_config_selectorILNS1_17partition_subalgoE5EfNS0_10empty_typeEbEEZZNS1_14partition_implILS5_5ELb0ES3_mN6thrust23THRUST_200600_302600_NS6detail15normal_iteratorINSA_10device_ptrIfEEEEPS6_NSA_18transform_iteratorINSB_9not_fun_tI7is_trueIfEEENSC_INSD_IbEEEENSA_11use_defaultESO_EENS0_5tupleIJNSA_16discard_iteratorISO_EES6_EEENSQ_IJSG_SG_EEES6_PlJS6_EEE10hipError_tPvRmT3_T4_T5_T6_T7_T9_mT8_P12ihipStream_tbDpT10_ENKUlT_T0_E_clISt17integral_constantIbLb1EES1E_IbLb0EEEEDaS1A_S1B_EUlS1A_E_NS1_11comp_targetILNS1_3genE2ELNS1_11target_archE906ELNS1_3gpuE6ELNS1_3repE0EEENS1_30default_config_static_selectorELNS0_4arch9wavefront6targetE0EEEvT1_,"axG",@progbits,_ZN7rocprim17ROCPRIM_400000_NS6detail17trampoline_kernelINS0_14default_configENS1_25partition_config_selectorILNS1_17partition_subalgoE5EfNS0_10empty_typeEbEEZZNS1_14partition_implILS5_5ELb0ES3_mN6thrust23THRUST_200600_302600_NS6detail15normal_iteratorINSA_10device_ptrIfEEEEPS6_NSA_18transform_iteratorINSB_9not_fun_tI7is_trueIfEEENSC_INSD_IbEEEENSA_11use_defaultESO_EENS0_5tupleIJNSA_16discard_iteratorISO_EES6_EEENSQ_IJSG_SG_EEES6_PlJS6_EEE10hipError_tPvRmT3_T4_T5_T6_T7_T9_mT8_P12ihipStream_tbDpT10_ENKUlT_T0_E_clISt17integral_constantIbLb1EES1E_IbLb0EEEEDaS1A_S1B_EUlS1A_E_NS1_11comp_targetILNS1_3genE2ELNS1_11target_archE906ELNS1_3gpuE6ELNS1_3repE0EEENS1_30default_config_static_selectorELNS0_4arch9wavefront6targetE0EEEvT1_,comdat
	.protected	_ZN7rocprim17ROCPRIM_400000_NS6detail17trampoline_kernelINS0_14default_configENS1_25partition_config_selectorILNS1_17partition_subalgoE5EfNS0_10empty_typeEbEEZZNS1_14partition_implILS5_5ELb0ES3_mN6thrust23THRUST_200600_302600_NS6detail15normal_iteratorINSA_10device_ptrIfEEEEPS6_NSA_18transform_iteratorINSB_9not_fun_tI7is_trueIfEEENSC_INSD_IbEEEENSA_11use_defaultESO_EENS0_5tupleIJNSA_16discard_iteratorISO_EES6_EEENSQ_IJSG_SG_EEES6_PlJS6_EEE10hipError_tPvRmT3_T4_T5_T6_T7_T9_mT8_P12ihipStream_tbDpT10_ENKUlT_T0_E_clISt17integral_constantIbLb1EES1E_IbLb0EEEEDaS1A_S1B_EUlS1A_E_NS1_11comp_targetILNS1_3genE2ELNS1_11target_archE906ELNS1_3gpuE6ELNS1_3repE0EEENS1_30default_config_static_selectorELNS0_4arch9wavefront6targetE0EEEvT1_ ; -- Begin function _ZN7rocprim17ROCPRIM_400000_NS6detail17trampoline_kernelINS0_14default_configENS1_25partition_config_selectorILNS1_17partition_subalgoE5EfNS0_10empty_typeEbEEZZNS1_14partition_implILS5_5ELb0ES3_mN6thrust23THRUST_200600_302600_NS6detail15normal_iteratorINSA_10device_ptrIfEEEEPS6_NSA_18transform_iteratorINSB_9not_fun_tI7is_trueIfEEENSC_INSD_IbEEEENSA_11use_defaultESO_EENS0_5tupleIJNSA_16discard_iteratorISO_EES6_EEENSQ_IJSG_SG_EEES6_PlJS6_EEE10hipError_tPvRmT3_T4_T5_T6_T7_T9_mT8_P12ihipStream_tbDpT10_ENKUlT_T0_E_clISt17integral_constantIbLb1EES1E_IbLb0EEEEDaS1A_S1B_EUlS1A_E_NS1_11comp_targetILNS1_3genE2ELNS1_11target_archE906ELNS1_3gpuE6ELNS1_3repE0EEENS1_30default_config_static_selectorELNS0_4arch9wavefront6targetE0EEEvT1_
	.globl	_ZN7rocprim17ROCPRIM_400000_NS6detail17trampoline_kernelINS0_14default_configENS1_25partition_config_selectorILNS1_17partition_subalgoE5EfNS0_10empty_typeEbEEZZNS1_14partition_implILS5_5ELb0ES3_mN6thrust23THRUST_200600_302600_NS6detail15normal_iteratorINSA_10device_ptrIfEEEEPS6_NSA_18transform_iteratorINSB_9not_fun_tI7is_trueIfEEENSC_INSD_IbEEEENSA_11use_defaultESO_EENS0_5tupleIJNSA_16discard_iteratorISO_EES6_EEENSQ_IJSG_SG_EEES6_PlJS6_EEE10hipError_tPvRmT3_T4_T5_T6_T7_T9_mT8_P12ihipStream_tbDpT10_ENKUlT_T0_E_clISt17integral_constantIbLb1EES1E_IbLb0EEEEDaS1A_S1B_EUlS1A_E_NS1_11comp_targetILNS1_3genE2ELNS1_11target_archE906ELNS1_3gpuE6ELNS1_3repE0EEENS1_30default_config_static_selectorELNS0_4arch9wavefront6targetE0EEEvT1_
	.p2align	8
	.type	_ZN7rocprim17ROCPRIM_400000_NS6detail17trampoline_kernelINS0_14default_configENS1_25partition_config_selectorILNS1_17partition_subalgoE5EfNS0_10empty_typeEbEEZZNS1_14partition_implILS5_5ELb0ES3_mN6thrust23THRUST_200600_302600_NS6detail15normal_iteratorINSA_10device_ptrIfEEEEPS6_NSA_18transform_iteratorINSB_9not_fun_tI7is_trueIfEEENSC_INSD_IbEEEENSA_11use_defaultESO_EENS0_5tupleIJNSA_16discard_iteratorISO_EES6_EEENSQ_IJSG_SG_EEES6_PlJS6_EEE10hipError_tPvRmT3_T4_T5_T6_T7_T9_mT8_P12ihipStream_tbDpT10_ENKUlT_T0_E_clISt17integral_constantIbLb1EES1E_IbLb0EEEEDaS1A_S1B_EUlS1A_E_NS1_11comp_targetILNS1_3genE2ELNS1_11target_archE906ELNS1_3gpuE6ELNS1_3repE0EEENS1_30default_config_static_selectorELNS0_4arch9wavefront6targetE0EEEvT1_,@function
_ZN7rocprim17ROCPRIM_400000_NS6detail17trampoline_kernelINS0_14default_configENS1_25partition_config_selectorILNS1_17partition_subalgoE5EfNS0_10empty_typeEbEEZZNS1_14partition_implILS5_5ELb0ES3_mN6thrust23THRUST_200600_302600_NS6detail15normal_iteratorINSA_10device_ptrIfEEEEPS6_NSA_18transform_iteratorINSB_9not_fun_tI7is_trueIfEEENSC_INSD_IbEEEENSA_11use_defaultESO_EENS0_5tupleIJNSA_16discard_iteratorISO_EES6_EEENSQ_IJSG_SG_EEES6_PlJS6_EEE10hipError_tPvRmT3_T4_T5_T6_T7_T9_mT8_P12ihipStream_tbDpT10_ENKUlT_T0_E_clISt17integral_constantIbLb1EES1E_IbLb0EEEEDaS1A_S1B_EUlS1A_E_NS1_11comp_targetILNS1_3genE2ELNS1_11target_archE906ELNS1_3gpuE6ELNS1_3repE0EEENS1_30default_config_static_selectorELNS0_4arch9wavefront6targetE0EEEvT1_: ; @_ZN7rocprim17ROCPRIM_400000_NS6detail17trampoline_kernelINS0_14default_configENS1_25partition_config_selectorILNS1_17partition_subalgoE5EfNS0_10empty_typeEbEEZZNS1_14partition_implILS5_5ELb0ES3_mN6thrust23THRUST_200600_302600_NS6detail15normal_iteratorINSA_10device_ptrIfEEEEPS6_NSA_18transform_iteratorINSB_9not_fun_tI7is_trueIfEEENSC_INSD_IbEEEENSA_11use_defaultESO_EENS0_5tupleIJNSA_16discard_iteratorISO_EES6_EEENSQ_IJSG_SG_EEES6_PlJS6_EEE10hipError_tPvRmT3_T4_T5_T6_T7_T9_mT8_P12ihipStream_tbDpT10_ENKUlT_T0_E_clISt17integral_constantIbLb1EES1E_IbLb0EEEEDaS1A_S1B_EUlS1A_E_NS1_11comp_targetILNS1_3genE2ELNS1_11target_archE906ELNS1_3gpuE6ELNS1_3repE0EEENS1_30default_config_static_selectorELNS0_4arch9wavefront6targetE0EEEvT1_
; %bb.0:
	.section	.rodata,"a",@progbits
	.p2align	6, 0x0
	.amdhsa_kernel _ZN7rocprim17ROCPRIM_400000_NS6detail17trampoline_kernelINS0_14default_configENS1_25partition_config_selectorILNS1_17partition_subalgoE5EfNS0_10empty_typeEbEEZZNS1_14partition_implILS5_5ELb0ES3_mN6thrust23THRUST_200600_302600_NS6detail15normal_iteratorINSA_10device_ptrIfEEEEPS6_NSA_18transform_iteratorINSB_9not_fun_tI7is_trueIfEEENSC_INSD_IbEEEENSA_11use_defaultESO_EENS0_5tupleIJNSA_16discard_iteratorISO_EES6_EEENSQ_IJSG_SG_EEES6_PlJS6_EEE10hipError_tPvRmT3_T4_T5_T6_T7_T9_mT8_P12ihipStream_tbDpT10_ENKUlT_T0_E_clISt17integral_constantIbLb1EES1E_IbLb0EEEEDaS1A_S1B_EUlS1A_E_NS1_11comp_targetILNS1_3genE2ELNS1_11target_archE906ELNS1_3gpuE6ELNS1_3repE0EEENS1_30default_config_static_selectorELNS0_4arch9wavefront6targetE0EEEvT1_
		.amdhsa_group_segment_fixed_size 0
		.amdhsa_private_segment_fixed_size 0
		.amdhsa_kernarg_size 128
		.amdhsa_user_sgpr_count 2
		.amdhsa_user_sgpr_dispatch_ptr 0
		.amdhsa_user_sgpr_queue_ptr 0
		.amdhsa_user_sgpr_kernarg_segment_ptr 1
		.amdhsa_user_sgpr_dispatch_id 0
		.amdhsa_user_sgpr_private_segment_size 0
		.amdhsa_wavefront_size32 1
		.amdhsa_uses_dynamic_stack 0
		.amdhsa_enable_private_segment 0
		.amdhsa_system_sgpr_workgroup_id_x 1
		.amdhsa_system_sgpr_workgroup_id_y 0
		.amdhsa_system_sgpr_workgroup_id_z 0
		.amdhsa_system_sgpr_workgroup_info 0
		.amdhsa_system_vgpr_workitem_id 0
		.amdhsa_next_free_vgpr 1
		.amdhsa_next_free_sgpr 1
		.amdhsa_reserve_vcc 0
		.amdhsa_float_round_mode_32 0
		.amdhsa_float_round_mode_16_64 0
		.amdhsa_float_denorm_mode_32 3
		.amdhsa_float_denorm_mode_16_64 3
		.amdhsa_fp16_overflow 0
		.amdhsa_workgroup_processor_mode 1
		.amdhsa_memory_ordered 1
		.amdhsa_forward_progress 1
		.amdhsa_inst_pref_size 0
		.amdhsa_round_robin_scheduling 0
		.amdhsa_exception_fp_ieee_invalid_op 0
		.amdhsa_exception_fp_denorm_src 0
		.amdhsa_exception_fp_ieee_div_zero 0
		.amdhsa_exception_fp_ieee_overflow 0
		.amdhsa_exception_fp_ieee_underflow 0
		.amdhsa_exception_fp_ieee_inexact 0
		.amdhsa_exception_int_div_zero 0
	.end_amdhsa_kernel
	.section	.text._ZN7rocprim17ROCPRIM_400000_NS6detail17trampoline_kernelINS0_14default_configENS1_25partition_config_selectorILNS1_17partition_subalgoE5EfNS0_10empty_typeEbEEZZNS1_14partition_implILS5_5ELb0ES3_mN6thrust23THRUST_200600_302600_NS6detail15normal_iteratorINSA_10device_ptrIfEEEEPS6_NSA_18transform_iteratorINSB_9not_fun_tI7is_trueIfEEENSC_INSD_IbEEEENSA_11use_defaultESO_EENS0_5tupleIJNSA_16discard_iteratorISO_EES6_EEENSQ_IJSG_SG_EEES6_PlJS6_EEE10hipError_tPvRmT3_T4_T5_T6_T7_T9_mT8_P12ihipStream_tbDpT10_ENKUlT_T0_E_clISt17integral_constantIbLb1EES1E_IbLb0EEEEDaS1A_S1B_EUlS1A_E_NS1_11comp_targetILNS1_3genE2ELNS1_11target_archE906ELNS1_3gpuE6ELNS1_3repE0EEENS1_30default_config_static_selectorELNS0_4arch9wavefront6targetE0EEEvT1_,"axG",@progbits,_ZN7rocprim17ROCPRIM_400000_NS6detail17trampoline_kernelINS0_14default_configENS1_25partition_config_selectorILNS1_17partition_subalgoE5EfNS0_10empty_typeEbEEZZNS1_14partition_implILS5_5ELb0ES3_mN6thrust23THRUST_200600_302600_NS6detail15normal_iteratorINSA_10device_ptrIfEEEEPS6_NSA_18transform_iteratorINSB_9not_fun_tI7is_trueIfEEENSC_INSD_IbEEEENSA_11use_defaultESO_EENS0_5tupleIJNSA_16discard_iteratorISO_EES6_EEENSQ_IJSG_SG_EEES6_PlJS6_EEE10hipError_tPvRmT3_T4_T5_T6_T7_T9_mT8_P12ihipStream_tbDpT10_ENKUlT_T0_E_clISt17integral_constantIbLb1EES1E_IbLb0EEEEDaS1A_S1B_EUlS1A_E_NS1_11comp_targetILNS1_3genE2ELNS1_11target_archE906ELNS1_3gpuE6ELNS1_3repE0EEENS1_30default_config_static_selectorELNS0_4arch9wavefront6targetE0EEEvT1_,comdat
.Lfunc_end2641:
	.size	_ZN7rocprim17ROCPRIM_400000_NS6detail17trampoline_kernelINS0_14default_configENS1_25partition_config_selectorILNS1_17partition_subalgoE5EfNS0_10empty_typeEbEEZZNS1_14partition_implILS5_5ELb0ES3_mN6thrust23THRUST_200600_302600_NS6detail15normal_iteratorINSA_10device_ptrIfEEEEPS6_NSA_18transform_iteratorINSB_9not_fun_tI7is_trueIfEEENSC_INSD_IbEEEENSA_11use_defaultESO_EENS0_5tupleIJNSA_16discard_iteratorISO_EES6_EEENSQ_IJSG_SG_EEES6_PlJS6_EEE10hipError_tPvRmT3_T4_T5_T6_T7_T9_mT8_P12ihipStream_tbDpT10_ENKUlT_T0_E_clISt17integral_constantIbLb1EES1E_IbLb0EEEEDaS1A_S1B_EUlS1A_E_NS1_11comp_targetILNS1_3genE2ELNS1_11target_archE906ELNS1_3gpuE6ELNS1_3repE0EEENS1_30default_config_static_selectorELNS0_4arch9wavefront6targetE0EEEvT1_, .Lfunc_end2641-_ZN7rocprim17ROCPRIM_400000_NS6detail17trampoline_kernelINS0_14default_configENS1_25partition_config_selectorILNS1_17partition_subalgoE5EfNS0_10empty_typeEbEEZZNS1_14partition_implILS5_5ELb0ES3_mN6thrust23THRUST_200600_302600_NS6detail15normal_iteratorINSA_10device_ptrIfEEEEPS6_NSA_18transform_iteratorINSB_9not_fun_tI7is_trueIfEEENSC_INSD_IbEEEENSA_11use_defaultESO_EENS0_5tupleIJNSA_16discard_iteratorISO_EES6_EEENSQ_IJSG_SG_EEES6_PlJS6_EEE10hipError_tPvRmT3_T4_T5_T6_T7_T9_mT8_P12ihipStream_tbDpT10_ENKUlT_T0_E_clISt17integral_constantIbLb1EES1E_IbLb0EEEEDaS1A_S1B_EUlS1A_E_NS1_11comp_targetILNS1_3genE2ELNS1_11target_archE906ELNS1_3gpuE6ELNS1_3repE0EEENS1_30default_config_static_selectorELNS0_4arch9wavefront6targetE0EEEvT1_
                                        ; -- End function
	.set _ZN7rocprim17ROCPRIM_400000_NS6detail17trampoline_kernelINS0_14default_configENS1_25partition_config_selectorILNS1_17partition_subalgoE5EfNS0_10empty_typeEbEEZZNS1_14partition_implILS5_5ELb0ES3_mN6thrust23THRUST_200600_302600_NS6detail15normal_iteratorINSA_10device_ptrIfEEEEPS6_NSA_18transform_iteratorINSB_9not_fun_tI7is_trueIfEEENSC_INSD_IbEEEENSA_11use_defaultESO_EENS0_5tupleIJNSA_16discard_iteratorISO_EES6_EEENSQ_IJSG_SG_EEES6_PlJS6_EEE10hipError_tPvRmT3_T4_T5_T6_T7_T9_mT8_P12ihipStream_tbDpT10_ENKUlT_T0_E_clISt17integral_constantIbLb1EES1E_IbLb0EEEEDaS1A_S1B_EUlS1A_E_NS1_11comp_targetILNS1_3genE2ELNS1_11target_archE906ELNS1_3gpuE6ELNS1_3repE0EEENS1_30default_config_static_selectorELNS0_4arch9wavefront6targetE0EEEvT1_.num_vgpr, 0
	.set _ZN7rocprim17ROCPRIM_400000_NS6detail17trampoline_kernelINS0_14default_configENS1_25partition_config_selectorILNS1_17partition_subalgoE5EfNS0_10empty_typeEbEEZZNS1_14partition_implILS5_5ELb0ES3_mN6thrust23THRUST_200600_302600_NS6detail15normal_iteratorINSA_10device_ptrIfEEEEPS6_NSA_18transform_iteratorINSB_9not_fun_tI7is_trueIfEEENSC_INSD_IbEEEENSA_11use_defaultESO_EENS0_5tupleIJNSA_16discard_iteratorISO_EES6_EEENSQ_IJSG_SG_EEES6_PlJS6_EEE10hipError_tPvRmT3_T4_T5_T6_T7_T9_mT8_P12ihipStream_tbDpT10_ENKUlT_T0_E_clISt17integral_constantIbLb1EES1E_IbLb0EEEEDaS1A_S1B_EUlS1A_E_NS1_11comp_targetILNS1_3genE2ELNS1_11target_archE906ELNS1_3gpuE6ELNS1_3repE0EEENS1_30default_config_static_selectorELNS0_4arch9wavefront6targetE0EEEvT1_.num_agpr, 0
	.set _ZN7rocprim17ROCPRIM_400000_NS6detail17trampoline_kernelINS0_14default_configENS1_25partition_config_selectorILNS1_17partition_subalgoE5EfNS0_10empty_typeEbEEZZNS1_14partition_implILS5_5ELb0ES3_mN6thrust23THRUST_200600_302600_NS6detail15normal_iteratorINSA_10device_ptrIfEEEEPS6_NSA_18transform_iteratorINSB_9not_fun_tI7is_trueIfEEENSC_INSD_IbEEEENSA_11use_defaultESO_EENS0_5tupleIJNSA_16discard_iteratorISO_EES6_EEENSQ_IJSG_SG_EEES6_PlJS6_EEE10hipError_tPvRmT3_T4_T5_T6_T7_T9_mT8_P12ihipStream_tbDpT10_ENKUlT_T0_E_clISt17integral_constantIbLb1EES1E_IbLb0EEEEDaS1A_S1B_EUlS1A_E_NS1_11comp_targetILNS1_3genE2ELNS1_11target_archE906ELNS1_3gpuE6ELNS1_3repE0EEENS1_30default_config_static_selectorELNS0_4arch9wavefront6targetE0EEEvT1_.numbered_sgpr, 0
	.set _ZN7rocprim17ROCPRIM_400000_NS6detail17trampoline_kernelINS0_14default_configENS1_25partition_config_selectorILNS1_17partition_subalgoE5EfNS0_10empty_typeEbEEZZNS1_14partition_implILS5_5ELb0ES3_mN6thrust23THRUST_200600_302600_NS6detail15normal_iteratorINSA_10device_ptrIfEEEEPS6_NSA_18transform_iteratorINSB_9not_fun_tI7is_trueIfEEENSC_INSD_IbEEEENSA_11use_defaultESO_EENS0_5tupleIJNSA_16discard_iteratorISO_EES6_EEENSQ_IJSG_SG_EEES6_PlJS6_EEE10hipError_tPvRmT3_T4_T5_T6_T7_T9_mT8_P12ihipStream_tbDpT10_ENKUlT_T0_E_clISt17integral_constantIbLb1EES1E_IbLb0EEEEDaS1A_S1B_EUlS1A_E_NS1_11comp_targetILNS1_3genE2ELNS1_11target_archE906ELNS1_3gpuE6ELNS1_3repE0EEENS1_30default_config_static_selectorELNS0_4arch9wavefront6targetE0EEEvT1_.num_named_barrier, 0
	.set _ZN7rocprim17ROCPRIM_400000_NS6detail17trampoline_kernelINS0_14default_configENS1_25partition_config_selectorILNS1_17partition_subalgoE5EfNS0_10empty_typeEbEEZZNS1_14partition_implILS5_5ELb0ES3_mN6thrust23THRUST_200600_302600_NS6detail15normal_iteratorINSA_10device_ptrIfEEEEPS6_NSA_18transform_iteratorINSB_9not_fun_tI7is_trueIfEEENSC_INSD_IbEEEENSA_11use_defaultESO_EENS0_5tupleIJNSA_16discard_iteratorISO_EES6_EEENSQ_IJSG_SG_EEES6_PlJS6_EEE10hipError_tPvRmT3_T4_T5_T6_T7_T9_mT8_P12ihipStream_tbDpT10_ENKUlT_T0_E_clISt17integral_constantIbLb1EES1E_IbLb0EEEEDaS1A_S1B_EUlS1A_E_NS1_11comp_targetILNS1_3genE2ELNS1_11target_archE906ELNS1_3gpuE6ELNS1_3repE0EEENS1_30default_config_static_selectorELNS0_4arch9wavefront6targetE0EEEvT1_.private_seg_size, 0
	.set _ZN7rocprim17ROCPRIM_400000_NS6detail17trampoline_kernelINS0_14default_configENS1_25partition_config_selectorILNS1_17partition_subalgoE5EfNS0_10empty_typeEbEEZZNS1_14partition_implILS5_5ELb0ES3_mN6thrust23THRUST_200600_302600_NS6detail15normal_iteratorINSA_10device_ptrIfEEEEPS6_NSA_18transform_iteratorINSB_9not_fun_tI7is_trueIfEEENSC_INSD_IbEEEENSA_11use_defaultESO_EENS0_5tupleIJNSA_16discard_iteratorISO_EES6_EEENSQ_IJSG_SG_EEES6_PlJS6_EEE10hipError_tPvRmT3_T4_T5_T6_T7_T9_mT8_P12ihipStream_tbDpT10_ENKUlT_T0_E_clISt17integral_constantIbLb1EES1E_IbLb0EEEEDaS1A_S1B_EUlS1A_E_NS1_11comp_targetILNS1_3genE2ELNS1_11target_archE906ELNS1_3gpuE6ELNS1_3repE0EEENS1_30default_config_static_selectorELNS0_4arch9wavefront6targetE0EEEvT1_.uses_vcc, 0
	.set _ZN7rocprim17ROCPRIM_400000_NS6detail17trampoline_kernelINS0_14default_configENS1_25partition_config_selectorILNS1_17partition_subalgoE5EfNS0_10empty_typeEbEEZZNS1_14partition_implILS5_5ELb0ES3_mN6thrust23THRUST_200600_302600_NS6detail15normal_iteratorINSA_10device_ptrIfEEEEPS6_NSA_18transform_iteratorINSB_9not_fun_tI7is_trueIfEEENSC_INSD_IbEEEENSA_11use_defaultESO_EENS0_5tupleIJNSA_16discard_iteratorISO_EES6_EEENSQ_IJSG_SG_EEES6_PlJS6_EEE10hipError_tPvRmT3_T4_T5_T6_T7_T9_mT8_P12ihipStream_tbDpT10_ENKUlT_T0_E_clISt17integral_constantIbLb1EES1E_IbLb0EEEEDaS1A_S1B_EUlS1A_E_NS1_11comp_targetILNS1_3genE2ELNS1_11target_archE906ELNS1_3gpuE6ELNS1_3repE0EEENS1_30default_config_static_selectorELNS0_4arch9wavefront6targetE0EEEvT1_.uses_flat_scratch, 0
	.set _ZN7rocprim17ROCPRIM_400000_NS6detail17trampoline_kernelINS0_14default_configENS1_25partition_config_selectorILNS1_17partition_subalgoE5EfNS0_10empty_typeEbEEZZNS1_14partition_implILS5_5ELb0ES3_mN6thrust23THRUST_200600_302600_NS6detail15normal_iteratorINSA_10device_ptrIfEEEEPS6_NSA_18transform_iteratorINSB_9not_fun_tI7is_trueIfEEENSC_INSD_IbEEEENSA_11use_defaultESO_EENS0_5tupleIJNSA_16discard_iteratorISO_EES6_EEENSQ_IJSG_SG_EEES6_PlJS6_EEE10hipError_tPvRmT3_T4_T5_T6_T7_T9_mT8_P12ihipStream_tbDpT10_ENKUlT_T0_E_clISt17integral_constantIbLb1EES1E_IbLb0EEEEDaS1A_S1B_EUlS1A_E_NS1_11comp_targetILNS1_3genE2ELNS1_11target_archE906ELNS1_3gpuE6ELNS1_3repE0EEENS1_30default_config_static_selectorELNS0_4arch9wavefront6targetE0EEEvT1_.has_dyn_sized_stack, 0
	.set _ZN7rocprim17ROCPRIM_400000_NS6detail17trampoline_kernelINS0_14default_configENS1_25partition_config_selectorILNS1_17partition_subalgoE5EfNS0_10empty_typeEbEEZZNS1_14partition_implILS5_5ELb0ES3_mN6thrust23THRUST_200600_302600_NS6detail15normal_iteratorINSA_10device_ptrIfEEEEPS6_NSA_18transform_iteratorINSB_9not_fun_tI7is_trueIfEEENSC_INSD_IbEEEENSA_11use_defaultESO_EENS0_5tupleIJNSA_16discard_iteratorISO_EES6_EEENSQ_IJSG_SG_EEES6_PlJS6_EEE10hipError_tPvRmT3_T4_T5_T6_T7_T9_mT8_P12ihipStream_tbDpT10_ENKUlT_T0_E_clISt17integral_constantIbLb1EES1E_IbLb0EEEEDaS1A_S1B_EUlS1A_E_NS1_11comp_targetILNS1_3genE2ELNS1_11target_archE906ELNS1_3gpuE6ELNS1_3repE0EEENS1_30default_config_static_selectorELNS0_4arch9wavefront6targetE0EEEvT1_.has_recursion, 0
	.set _ZN7rocprim17ROCPRIM_400000_NS6detail17trampoline_kernelINS0_14default_configENS1_25partition_config_selectorILNS1_17partition_subalgoE5EfNS0_10empty_typeEbEEZZNS1_14partition_implILS5_5ELb0ES3_mN6thrust23THRUST_200600_302600_NS6detail15normal_iteratorINSA_10device_ptrIfEEEEPS6_NSA_18transform_iteratorINSB_9not_fun_tI7is_trueIfEEENSC_INSD_IbEEEENSA_11use_defaultESO_EENS0_5tupleIJNSA_16discard_iteratorISO_EES6_EEENSQ_IJSG_SG_EEES6_PlJS6_EEE10hipError_tPvRmT3_T4_T5_T6_T7_T9_mT8_P12ihipStream_tbDpT10_ENKUlT_T0_E_clISt17integral_constantIbLb1EES1E_IbLb0EEEEDaS1A_S1B_EUlS1A_E_NS1_11comp_targetILNS1_3genE2ELNS1_11target_archE906ELNS1_3gpuE6ELNS1_3repE0EEENS1_30default_config_static_selectorELNS0_4arch9wavefront6targetE0EEEvT1_.has_indirect_call, 0
	.section	.AMDGPU.csdata,"",@progbits
; Kernel info:
; codeLenInByte = 0
; TotalNumSgprs: 0
; NumVgprs: 0
; ScratchSize: 0
; MemoryBound: 0
; FloatMode: 240
; IeeeMode: 1
; LDSByteSize: 0 bytes/workgroup (compile time only)
; SGPRBlocks: 0
; VGPRBlocks: 0
; NumSGPRsForWavesPerEU: 1
; NumVGPRsForWavesPerEU: 1
; Occupancy: 16
; WaveLimiterHint : 0
; COMPUTE_PGM_RSRC2:SCRATCH_EN: 0
; COMPUTE_PGM_RSRC2:USER_SGPR: 2
; COMPUTE_PGM_RSRC2:TRAP_HANDLER: 0
; COMPUTE_PGM_RSRC2:TGID_X_EN: 1
; COMPUTE_PGM_RSRC2:TGID_Y_EN: 0
; COMPUTE_PGM_RSRC2:TGID_Z_EN: 0
; COMPUTE_PGM_RSRC2:TIDIG_COMP_CNT: 0
	.section	.text._ZN7rocprim17ROCPRIM_400000_NS6detail17trampoline_kernelINS0_14default_configENS1_25partition_config_selectorILNS1_17partition_subalgoE5EfNS0_10empty_typeEbEEZZNS1_14partition_implILS5_5ELb0ES3_mN6thrust23THRUST_200600_302600_NS6detail15normal_iteratorINSA_10device_ptrIfEEEEPS6_NSA_18transform_iteratorINSB_9not_fun_tI7is_trueIfEEENSC_INSD_IbEEEENSA_11use_defaultESO_EENS0_5tupleIJNSA_16discard_iteratorISO_EES6_EEENSQ_IJSG_SG_EEES6_PlJS6_EEE10hipError_tPvRmT3_T4_T5_T6_T7_T9_mT8_P12ihipStream_tbDpT10_ENKUlT_T0_E_clISt17integral_constantIbLb1EES1E_IbLb0EEEEDaS1A_S1B_EUlS1A_E_NS1_11comp_targetILNS1_3genE10ELNS1_11target_archE1200ELNS1_3gpuE4ELNS1_3repE0EEENS1_30default_config_static_selectorELNS0_4arch9wavefront6targetE0EEEvT1_,"axG",@progbits,_ZN7rocprim17ROCPRIM_400000_NS6detail17trampoline_kernelINS0_14default_configENS1_25partition_config_selectorILNS1_17partition_subalgoE5EfNS0_10empty_typeEbEEZZNS1_14partition_implILS5_5ELb0ES3_mN6thrust23THRUST_200600_302600_NS6detail15normal_iteratorINSA_10device_ptrIfEEEEPS6_NSA_18transform_iteratorINSB_9not_fun_tI7is_trueIfEEENSC_INSD_IbEEEENSA_11use_defaultESO_EENS0_5tupleIJNSA_16discard_iteratorISO_EES6_EEENSQ_IJSG_SG_EEES6_PlJS6_EEE10hipError_tPvRmT3_T4_T5_T6_T7_T9_mT8_P12ihipStream_tbDpT10_ENKUlT_T0_E_clISt17integral_constantIbLb1EES1E_IbLb0EEEEDaS1A_S1B_EUlS1A_E_NS1_11comp_targetILNS1_3genE10ELNS1_11target_archE1200ELNS1_3gpuE4ELNS1_3repE0EEENS1_30default_config_static_selectorELNS0_4arch9wavefront6targetE0EEEvT1_,comdat
	.protected	_ZN7rocprim17ROCPRIM_400000_NS6detail17trampoline_kernelINS0_14default_configENS1_25partition_config_selectorILNS1_17partition_subalgoE5EfNS0_10empty_typeEbEEZZNS1_14partition_implILS5_5ELb0ES3_mN6thrust23THRUST_200600_302600_NS6detail15normal_iteratorINSA_10device_ptrIfEEEEPS6_NSA_18transform_iteratorINSB_9not_fun_tI7is_trueIfEEENSC_INSD_IbEEEENSA_11use_defaultESO_EENS0_5tupleIJNSA_16discard_iteratorISO_EES6_EEENSQ_IJSG_SG_EEES6_PlJS6_EEE10hipError_tPvRmT3_T4_T5_T6_T7_T9_mT8_P12ihipStream_tbDpT10_ENKUlT_T0_E_clISt17integral_constantIbLb1EES1E_IbLb0EEEEDaS1A_S1B_EUlS1A_E_NS1_11comp_targetILNS1_3genE10ELNS1_11target_archE1200ELNS1_3gpuE4ELNS1_3repE0EEENS1_30default_config_static_selectorELNS0_4arch9wavefront6targetE0EEEvT1_ ; -- Begin function _ZN7rocprim17ROCPRIM_400000_NS6detail17trampoline_kernelINS0_14default_configENS1_25partition_config_selectorILNS1_17partition_subalgoE5EfNS0_10empty_typeEbEEZZNS1_14partition_implILS5_5ELb0ES3_mN6thrust23THRUST_200600_302600_NS6detail15normal_iteratorINSA_10device_ptrIfEEEEPS6_NSA_18transform_iteratorINSB_9not_fun_tI7is_trueIfEEENSC_INSD_IbEEEENSA_11use_defaultESO_EENS0_5tupleIJNSA_16discard_iteratorISO_EES6_EEENSQ_IJSG_SG_EEES6_PlJS6_EEE10hipError_tPvRmT3_T4_T5_T6_T7_T9_mT8_P12ihipStream_tbDpT10_ENKUlT_T0_E_clISt17integral_constantIbLb1EES1E_IbLb0EEEEDaS1A_S1B_EUlS1A_E_NS1_11comp_targetILNS1_3genE10ELNS1_11target_archE1200ELNS1_3gpuE4ELNS1_3repE0EEENS1_30default_config_static_selectorELNS0_4arch9wavefront6targetE0EEEvT1_
	.globl	_ZN7rocprim17ROCPRIM_400000_NS6detail17trampoline_kernelINS0_14default_configENS1_25partition_config_selectorILNS1_17partition_subalgoE5EfNS0_10empty_typeEbEEZZNS1_14partition_implILS5_5ELb0ES3_mN6thrust23THRUST_200600_302600_NS6detail15normal_iteratorINSA_10device_ptrIfEEEEPS6_NSA_18transform_iteratorINSB_9not_fun_tI7is_trueIfEEENSC_INSD_IbEEEENSA_11use_defaultESO_EENS0_5tupleIJNSA_16discard_iteratorISO_EES6_EEENSQ_IJSG_SG_EEES6_PlJS6_EEE10hipError_tPvRmT3_T4_T5_T6_T7_T9_mT8_P12ihipStream_tbDpT10_ENKUlT_T0_E_clISt17integral_constantIbLb1EES1E_IbLb0EEEEDaS1A_S1B_EUlS1A_E_NS1_11comp_targetILNS1_3genE10ELNS1_11target_archE1200ELNS1_3gpuE4ELNS1_3repE0EEENS1_30default_config_static_selectorELNS0_4arch9wavefront6targetE0EEEvT1_
	.p2align	8
	.type	_ZN7rocprim17ROCPRIM_400000_NS6detail17trampoline_kernelINS0_14default_configENS1_25partition_config_selectorILNS1_17partition_subalgoE5EfNS0_10empty_typeEbEEZZNS1_14partition_implILS5_5ELb0ES3_mN6thrust23THRUST_200600_302600_NS6detail15normal_iteratorINSA_10device_ptrIfEEEEPS6_NSA_18transform_iteratorINSB_9not_fun_tI7is_trueIfEEENSC_INSD_IbEEEENSA_11use_defaultESO_EENS0_5tupleIJNSA_16discard_iteratorISO_EES6_EEENSQ_IJSG_SG_EEES6_PlJS6_EEE10hipError_tPvRmT3_T4_T5_T6_T7_T9_mT8_P12ihipStream_tbDpT10_ENKUlT_T0_E_clISt17integral_constantIbLb1EES1E_IbLb0EEEEDaS1A_S1B_EUlS1A_E_NS1_11comp_targetILNS1_3genE10ELNS1_11target_archE1200ELNS1_3gpuE4ELNS1_3repE0EEENS1_30default_config_static_selectorELNS0_4arch9wavefront6targetE0EEEvT1_,@function
_ZN7rocprim17ROCPRIM_400000_NS6detail17trampoline_kernelINS0_14default_configENS1_25partition_config_selectorILNS1_17partition_subalgoE5EfNS0_10empty_typeEbEEZZNS1_14partition_implILS5_5ELb0ES3_mN6thrust23THRUST_200600_302600_NS6detail15normal_iteratorINSA_10device_ptrIfEEEEPS6_NSA_18transform_iteratorINSB_9not_fun_tI7is_trueIfEEENSC_INSD_IbEEEENSA_11use_defaultESO_EENS0_5tupleIJNSA_16discard_iteratorISO_EES6_EEENSQ_IJSG_SG_EEES6_PlJS6_EEE10hipError_tPvRmT3_T4_T5_T6_T7_T9_mT8_P12ihipStream_tbDpT10_ENKUlT_T0_E_clISt17integral_constantIbLb1EES1E_IbLb0EEEEDaS1A_S1B_EUlS1A_E_NS1_11comp_targetILNS1_3genE10ELNS1_11target_archE1200ELNS1_3gpuE4ELNS1_3repE0EEENS1_30default_config_static_selectorELNS0_4arch9wavefront6targetE0EEEvT1_: ; @_ZN7rocprim17ROCPRIM_400000_NS6detail17trampoline_kernelINS0_14default_configENS1_25partition_config_selectorILNS1_17partition_subalgoE5EfNS0_10empty_typeEbEEZZNS1_14partition_implILS5_5ELb0ES3_mN6thrust23THRUST_200600_302600_NS6detail15normal_iteratorINSA_10device_ptrIfEEEEPS6_NSA_18transform_iteratorINSB_9not_fun_tI7is_trueIfEEENSC_INSD_IbEEEENSA_11use_defaultESO_EENS0_5tupleIJNSA_16discard_iteratorISO_EES6_EEENSQ_IJSG_SG_EEES6_PlJS6_EEE10hipError_tPvRmT3_T4_T5_T6_T7_T9_mT8_P12ihipStream_tbDpT10_ENKUlT_T0_E_clISt17integral_constantIbLb1EES1E_IbLb0EEEEDaS1A_S1B_EUlS1A_E_NS1_11comp_targetILNS1_3genE10ELNS1_11target_archE1200ELNS1_3gpuE4ELNS1_3repE0EEENS1_30default_config_static_selectorELNS0_4arch9wavefront6targetE0EEEvT1_
; %bb.0:
	s_endpgm
	.section	.rodata,"a",@progbits
	.p2align	6, 0x0
	.amdhsa_kernel _ZN7rocprim17ROCPRIM_400000_NS6detail17trampoline_kernelINS0_14default_configENS1_25partition_config_selectorILNS1_17partition_subalgoE5EfNS0_10empty_typeEbEEZZNS1_14partition_implILS5_5ELb0ES3_mN6thrust23THRUST_200600_302600_NS6detail15normal_iteratorINSA_10device_ptrIfEEEEPS6_NSA_18transform_iteratorINSB_9not_fun_tI7is_trueIfEEENSC_INSD_IbEEEENSA_11use_defaultESO_EENS0_5tupleIJNSA_16discard_iteratorISO_EES6_EEENSQ_IJSG_SG_EEES6_PlJS6_EEE10hipError_tPvRmT3_T4_T5_T6_T7_T9_mT8_P12ihipStream_tbDpT10_ENKUlT_T0_E_clISt17integral_constantIbLb1EES1E_IbLb0EEEEDaS1A_S1B_EUlS1A_E_NS1_11comp_targetILNS1_3genE10ELNS1_11target_archE1200ELNS1_3gpuE4ELNS1_3repE0EEENS1_30default_config_static_selectorELNS0_4arch9wavefront6targetE0EEEvT1_
		.amdhsa_group_segment_fixed_size 0
		.amdhsa_private_segment_fixed_size 0
		.amdhsa_kernarg_size 128
		.amdhsa_user_sgpr_count 2
		.amdhsa_user_sgpr_dispatch_ptr 0
		.amdhsa_user_sgpr_queue_ptr 0
		.amdhsa_user_sgpr_kernarg_segment_ptr 1
		.amdhsa_user_sgpr_dispatch_id 0
		.amdhsa_user_sgpr_private_segment_size 0
		.amdhsa_wavefront_size32 1
		.amdhsa_uses_dynamic_stack 0
		.amdhsa_enable_private_segment 0
		.amdhsa_system_sgpr_workgroup_id_x 1
		.amdhsa_system_sgpr_workgroup_id_y 0
		.amdhsa_system_sgpr_workgroup_id_z 0
		.amdhsa_system_sgpr_workgroup_info 0
		.amdhsa_system_vgpr_workitem_id 0
		.amdhsa_next_free_vgpr 1
		.amdhsa_next_free_sgpr 1
		.amdhsa_reserve_vcc 0
		.amdhsa_float_round_mode_32 0
		.amdhsa_float_round_mode_16_64 0
		.amdhsa_float_denorm_mode_32 3
		.amdhsa_float_denorm_mode_16_64 3
		.amdhsa_fp16_overflow 0
		.amdhsa_workgroup_processor_mode 1
		.amdhsa_memory_ordered 1
		.amdhsa_forward_progress 1
		.amdhsa_inst_pref_size 1
		.amdhsa_round_robin_scheduling 0
		.amdhsa_exception_fp_ieee_invalid_op 0
		.amdhsa_exception_fp_denorm_src 0
		.amdhsa_exception_fp_ieee_div_zero 0
		.amdhsa_exception_fp_ieee_overflow 0
		.amdhsa_exception_fp_ieee_underflow 0
		.amdhsa_exception_fp_ieee_inexact 0
		.amdhsa_exception_int_div_zero 0
	.end_amdhsa_kernel
	.section	.text._ZN7rocprim17ROCPRIM_400000_NS6detail17trampoline_kernelINS0_14default_configENS1_25partition_config_selectorILNS1_17partition_subalgoE5EfNS0_10empty_typeEbEEZZNS1_14partition_implILS5_5ELb0ES3_mN6thrust23THRUST_200600_302600_NS6detail15normal_iteratorINSA_10device_ptrIfEEEEPS6_NSA_18transform_iteratorINSB_9not_fun_tI7is_trueIfEEENSC_INSD_IbEEEENSA_11use_defaultESO_EENS0_5tupleIJNSA_16discard_iteratorISO_EES6_EEENSQ_IJSG_SG_EEES6_PlJS6_EEE10hipError_tPvRmT3_T4_T5_T6_T7_T9_mT8_P12ihipStream_tbDpT10_ENKUlT_T0_E_clISt17integral_constantIbLb1EES1E_IbLb0EEEEDaS1A_S1B_EUlS1A_E_NS1_11comp_targetILNS1_3genE10ELNS1_11target_archE1200ELNS1_3gpuE4ELNS1_3repE0EEENS1_30default_config_static_selectorELNS0_4arch9wavefront6targetE0EEEvT1_,"axG",@progbits,_ZN7rocprim17ROCPRIM_400000_NS6detail17trampoline_kernelINS0_14default_configENS1_25partition_config_selectorILNS1_17partition_subalgoE5EfNS0_10empty_typeEbEEZZNS1_14partition_implILS5_5ELb0ES3_mN6thrust23THRUST_200600_302600_NS6detail15normal_iteratorINSA_10device_ptrIfEEEEPS6_NSA_18transform_iteratorINSB_9not_fun_tI7is_trueIfEEENSC_INSD_IbEEEENSA_11use_defaultESO_EENS0_5tupleIJNSA_16discard_iteratorISO_EES6_EEENSQ_IJSG_SG_EEES6_PlJS6_EEE10hipError_tPvRmT3_T4_T5_T6_T7_T9_mT8_P12ihipStream_tbDpT10_ENKUlT_T0_E_clISt17integral_constantIbLb1EES1E_IbLb0EEEEDaS1A_S1B_EUlS1A_E_NS1_11comp_targetILNS1_3genE10ELNS1_11target_archE1200ELNS1_3gpuE4ELNS1_3repE0EEENS1_30default_config_static_selectorELNS0_4arch9wavefront6targetE0EEEvT1_,comdat
.Lfunc_end2642:
	.size	_ZN7rocprim17ROCPRIM_400000_NS6detail17trampoline_kernelINS0_14default_configENS1_25partition_config_selectorILNS1_17partition_subalgoE5EfNS0_10empty_typeEbEEZZNS1_14partition_implILS5_5ELb0ES3_mN6thrust23THRUST_200600_302600_NS6detail15normal_iteratorINSA_10device_ptrIfEEEEPS6_NSA_18transform_iteratorINSB_9not_fun_tI7is_trueIfEEENSC_INSD_IbEEEENSA_11use_defaultESO_EENS0_5tupleIJNSA_16discard_iteratorISO_EES6_EEENSQ_IJSG_SG_EEES6_PlJS6_EEE10hipError_tPvRmT3_T4_T5_T6_T7_T9_mT8_P12ihipStream_tbDpT10_ENKUlT_T0_E_clISt17integral_constantIbLb1EES1E_IbLb0EEEEDaS1A_S1B_EUlS1A_E_NS1_11comp_targetILNS1_3genE10ELNS1_11target_archE1200ELNS1_3gpuE4ELNS1_3repE0EEENS1_30default_config_static_selectorELNS0_4arch9wavefront6targetE0EEEvT1_, .Lfunc_end2642-_ZN7rocprim17ROCPRIM_400000_NS6detail17trampoline_kernelINS0_14default_configENS1_25partition_config_selectorILNS1_17partition_subalgoE5EfNS0_10empty_typeEbEEZZNS1_14partition_implILS5_5ELb0ES3_mN6thrust23THRUST_200600_302600_NS6detail15normal_iteratorINSA_10device_ptrIfEEEEPS6_NSA_18transform_iteratorINSB_9not_fun_tI7is_trueIfEEENSC_INSD_IbEEEENSA_11use_defaultESO_EENS0_5tupleIJNSA_16discard_iteratorISO_EES6_EEENSQ_IJSG_SG_EEES6_PlJS6_EEE10hipError_tPvRmT3_T4_T5_T6_T7_T9_mT8_P12ihipStream_tbDpT10_ENKUlT_T0_E_clISt17integral_constantIbLb1EES1E_IbLb0EEEEDaS1A_S1B_EUlS1A_E_NS1_11comp_targetILNS1_3genE10ELNS1_11target_archE1200ELNS1_3gpuE4ELNS1_3repE0EEENS1_30default_config_static_selectorELNS0_4arch9wavefront6targetE0EEEvT1_
                                        ; -- End function
	.set _ZN7rocprim17ROCPRIM_400000_NS6detail17trampoline_kernelINS0_14default_configENS1_25partition_config_selectorILNS1_17partition_subalgoE5EfNS0_10empty_typeEbEEZZNS1_14partition_implILS5_5ELb0ES3_mN6thrust23THRUST_200600_302600_NS6detail15normal_iteratorINSA_10device_ptrIfEEEEPS6_NSA_18transform_iteratorINSB_9not_fun_tI7is_trueIfEEENSC_INSD_IbEEEENSA_11use_defaultESO_EENS0_5tupleIJNSA_16discard_iteratorISO_EES6_EEENSQ_IJSG_SG_EEES6_PlJS6_EEE10hipError_tPvRmT3_T4_T5_T6_T7_T9_mT8_P12ihipStream_tbDpT10_ENKUlT_T0_E_clISt17integral_constantIbLb1EES1E_IbLb0EEEEDaS1A_S1B_EUlS1A_E_NS1_11comp_targetILNS1_3genE10ELNS1_11target_archE1200ELNS1_3gpuE4ELNS1_3repE0EEENS1_30default_config_static_selectorELNS0_4arch9wavefront6targetE0EEEvT1_.num_vgpr, 0
	.set _ZN7rocprim17ROCPRIM_400000_NS6detail17trampoline_kernelINS0_14default_configENS1_25partition_config_selectorILNS1_17partition_subalgoE5EfNS0_10empty_typeEbEEZZNS1_14partition_implILS5_5ELb0ES3_mN6thrust23THRUST_200600_302600_NS6detail15normal_iteratorINSA_10device_ptrIfEEEEPS6_NSA_18transform_iteratorINSB_9not_fun_tI7is_trueIfEEENSC_INSD_IbEEEENSA_11use_defaultESO_EENS0_5tupleIJNSA_16discard_iteratorISO_EES6_EEENSQ_IJSG_SG_EEES6_PlJS6_EEE10hipError_tPvRmT3_T4_T5_T6_T7_T9_mT8_P12ihipStream_tbDpT10_ENKUlT_T0_E_clISt17integral_constantIbLb1EES1E_IbLb0EEEEDaS1A_S1B_EUlS1A_E_NS1_11comp_targetILNS1_3genE10ELNS1_11target_archE1200ELNS1_3gpuE4ELNS1_3repE0EEENS1_30default_config_static_selectorELNS0_4arch9wavefront6targetE0EEEvT1_.num_agpr, 0
	.set _ZN7rocprim17ROCPRIM_400000_NS6detail17trampoline_kernelINS0_14default_configENS1_25partition_config_selectorILNS1_17partition_subalgoE5EfNS0_10empty_typeEbEEZZNS1_14partition_implILS5_5ELb0ES3_mN6thrust23THRUST_200600_302600_NS6detail15normal_iteratorINSA_10device_ptrIfEEEEPS6_NSA_18transform_iteratorINSB_9not_fun_tI7is_trueIfEEENSC_INSD_IbEEEENSA_11use_defaultESO_EENS0_5tupleIJNSA_16discard_iteratorISO_EES6_EEENSQ_IJSG_SG_EEES6_PlJS6_EEE10hipError_tPvRmT3_T4_T5_T6_T7_T9_mT8_P12ihipStream_tbDpT10_ENKUlT_T0_E_clISt17integral_constantIbLb1EES1E_IbLb0EEEEDaS1A_S1B_EUlS1A_E_NS1_11comp_targetILNS1_3genE10ELNS1_11target_archE1200ELNS1_3gpuE4ELNS1_3repE0EEENS1_30default_config_static_selectorELNS0_4arch9wavefront6targetE0EEEvT1_.numbered_sgpr, 0
	.set _ZN7rocprim17ROCPRIM_400000_NS6detail17trampoline_kernelINS0_14default_configENS1_25partition_config_selectorILNS1_17partition_subalgoE5EfNS0_10empty_typeEbEEZZNS1_14partition_implILS5_5ELb0ES3_mN6thrust23THRUST_200600_302600_NS6detail15normal_iteratorINSA_10device_ptrIfEEEEPS6_NSA_18transform_iteratorINSB_9not_fun_tI7is_trueIfEEENSC_INSD_IbEEEENSA_11use_defaultESO_EENS0_5tupleIJNSA_16discard_iteratorISO_EES6_EEENSQ_IJSG_SG_EEES6_PlJS6_EEE10hipError_tPvRmT3_T4_T5_T6_T7_T9_mT8_P12ihipStream_tbDpT10_ENKUlT_T0_E_clISt17integral_constantIbLb1EES1E_IbLb0EEEEDaS1A_S1B_EUlS1A_E_NS1_11comp_targetILNS1_3genE10ELNS1_11target_archE1200ELNS1_3gpuE4ELNS1_3repE0EEENS1_30default_config_static_selectorELNS0_4arch9wavefront6targetE0EEEvT1_.num_named_barrier, 0
	.set _ZN7rocprim17ROCPRIM_400000_NS6detail17trampoline_kernelINS0_14default_configENS1_25partition_config_selectorILNS1_17partition_subalgoE5EfNS0_10empty_typeEbEEZZNS1_14partition_implILS5_5ELb0ES3_mN6thrust23THRUST_200600_302600_NS6detail15normal_iteratorINSA_10device_ptrIfEEEEPS6_NSA_18transform_iteratorINSB_9not_fun_tI7is_trueIfEEENSC_INSD_IbEEEENSA_11use_defaultESO_EENS0_5tupleIJNSA_16discard_iteratorISO_EES6_EEENSQ_IJSG_SG_EEES6_PlJS6_EEE10hipError_tPvRmT3_T4_T5_T6_T7_T9_mT8_P12ihipStream_tbDpT10_ENKUlT_T0_E_clISt17integral_constantIbLb1EES1E_IbLb0EEEEDaS1A_S1B_EUlS1A_E_NS1_11comp_targetILNS1_3genE10ELNS1_11target_archE1200ELNS1_3gpuE4ELNS1_3repE0EEENS1_30default_config_static_selectorELNS0_4arch9wavefront6targetE0EEEvT1_.private_seg_size, 0
	.set _ZN7rocprim17ROCPRIM_400000_NS6detail17trampoline_kernelINS0_14default_configENS1_25partition_config_selectorILNS1_17partition_subalgoE5EfNS0_10empty_typeEbEEZZNS1_14partition_implILS5_5ELb0ES3_mN6thrust23THRUST_200600_302600_NS6detail15normal_iteratorINSA_10device_ptrIfEEEEPS6_NSA_18transform_iteratorINSB_9not_fun_tI7is_trueIfEEENSC_INSD_IbEEEENSA_11use_defaultESO_EENS0_5tupleIJNSA_16discard_iteratorISO_EES6_EEENSQ_IJSG_SG_EEES6_PlJS6_EEE10hipError_tPvRmT3_T4_T5_T6_T7_T9_mT8_P12ihipStream_tbDpT10_ENKUlT_T0_E_clISt17integral_constantIbLb1EES1E_IbLb0EEEEDaS1A_S1B_EUlS1A_E_NS1_11comp_targetILNS1_3genE10ELNS1_11target_archE1200ELNS1_3gpuE4ELNS1_3repE0EEENS1_30default_config_static_selectorELNS0_4arch9wavefront6targetE0EEEvT1_.uses_vcc, 0
	.set _ZN7rocprim17ROCPRIM_400000_NS6detail17trampoline_kernelINS0_14default_configENS1_25partition_config_selectorILNS1_17partition_subalgoE5EfNS0_10empty_typeEbEEZZNS1_14partition_implILS5_5ELb0ES3_mN6thrust23THRUST_200600_302600_NS6detail15normal_iteratorINSA_10device_ptrIfEEEEPS6_NSA_18transform_iteratorINSB_9not_fun_tI7is_trueIfEEENSC_INSD_IbEEEENSA_11use_defaultESO_EENS0_5tupleIJNSA_16discard_iteratorISO_EES6_EEENSQ_IJSG_SG_EEES6_PlJS6_EEE10hipError_tPvRmT3_T4_T5_T6_T7_T9_mT8_P12ihipStream_tbDpT10_ENKUlT_T0_E_clISt17integral_constantIbLb1EES1E_IbLb0EEEEDaS1A_S1B_EUlS1A_E_NS1_11comp_targetILNS1_3genE10ELNS1_11target_archE1200ELNS1_3gpuE4ELNS1_3repE0EEENS1_30default_config_static_selectorELNS0_4arch9wavefront6targetE0EEEvT1_.uses_flat_scratch, 0
	.set _ZN7rocprim17ROCPRIM_400000_NS6detail17trampoline_kernelINS0_14default_configENS1_25partition_config_selectorILNS1_17partition_subalgoE5EfNS0_10empty_typeEbEEZZNS1_14partition_implILS5_5ELb0ES3_mN6thrust23THRUST_200600_302600_NS6detail15normal_iteratorINSA_10device_ptrIfEEEEPS6_NSA_18transform_iteratorINSB_9not_fun_tI7is_trueIfEEENSC_INSD_IbEEEENSA_11use_defaultESO_EENS0_5tupleIJNSA_16discard_iteratorISO_EES6_EEENSQ_IJSG_SG_EEES6_PlJS6_EEE10hipError_tPvRmT3_T4_T5_T6_T7_T9_mT8_P12ihipStream_tbDpT10_ENKUlT_T0_E_clISt17integral_constantIbLb1EES1E_IbLb0EEEEDaS1A_S1B_EUlS1A_E_NS1_11comp_targetILNS1_3genE10ELNS1_11target_archE1200ELNS1_3gpuE4ELNS1_3repE0EEENS1_30default_config_static_selectorELNS0_4arch9wavefront6targetE0EEEvT1_.has_dyn_sized_stack, 0
	.set _ZN7rocprim17ROCPRIM_400000_NS6detail17trampoline_kernelINS0_14default_configENS1_25partition_config_selectorILNS1_17partition_subalgoE5EfNS0_10empty_typeEbEEZZNS1_14partition_implILS5_5ELb0ES3_mN6thrust23THRUST_200600_302600_NS6detail15normal_iteratorINSA_10device_ptrIfEEEEPS6_NSA_18transform_iteratorINSB_9not_fun_tI7is_trueIfEEENSC_INSD_IbEEEENSA_11use_defaultESO_EENS0_5tupleIJNSA_16discard_iteratorISO_EES6_EEENSQ_IJSG_SG_EEES6_PlJS6_EEE10hipError_tPvRmT3_T4_T5_T6_T7_T9_mT8_P12ihipStream_tbDpT10_ENKUlT_T0_E_clISt17integral_constantIbLb1EES1E_IbLb0EEEEDaS1A_S1B_EUlS1A_E_NS1_11comp_targetILNS1_3genE10ELNS1_11target_archE1200ELNS1_3gpuE4ELNS1_3repE0EEENS1_30default_config_static_selectorELNS0_4arch9wavefront6targetE0EEEvT1_.has_recursion, 0
	.set _ZN7rocprim17ROCPRIM_400000_NS6detail17trampoline_kernelINS0_14default_configENS1_25partition_config_selectorILNS1_17partition_subalgoE5EfNS0_10empty_typeEbEEZZNS1_14partition_implILS5_5ELb0ES3_mN6thrust23THRUST_200600_302600_NS6detail15normal_iteratorINSA_10device_ptrIfEEEEPS6_NSA_18transform_iteratorINSB_9not_fun_tI7is_trueIfEEENSC_INSD_IbEEEENSA_11use_defaultESO_EENS0_5tupleIJNSA_16discard_iteratorISO_EES6_EEENSQ_IJSG_SG_EEES6_PlJS6_EEE10hipError_tPvRmT3_T4_T5_T6_T7_T9_mT8_P12ihipStream_tbDpT10_ENKUlT_T0_E_clISt17integral_constantIbLb1EES1E_IbLb0EEEEDaS1A_S1B_EUlS1A_E_NS1_11comp_targetILNS1_3genE10ELNS1_11target_archE1200ELNS1_3gpuE4ELNS1_3repE0EEENS1_30default_config_static_selectorELNS0_4arch9wavefront6targetE0EEEvT1_.has_indirect_call, 0
	.section	.AMDGPU.csdata,"",@progbits
; Kernel info:
; codeLenInByte = 4
; TotalNumSgprs: 0
; NumVgprs: 0
; ScratchSize: 0
; MemoryBound: 0
; FloatMode: 240
; IeeeMode: 1
; LDSByteSize: 0 bytes/workgroup (compile time only)
; SGPRBlocks: 0
; VGPRBlocks: 0
; NumSGPRsForWavesPerEU: 1
; NumVGPRsForWavesPerEU: 1
; Occupancy: 16
; WaveLimiterHint : 0
; COMPUTE_PGM_RSRC2:SCRATCH_EN: 0
; COMPUTE_PGM_RSRC2:USER_SGPR: 2
; COMPUTE_PGM_RSRC2:TRAP_HANDLER: 0
; COMPUTE_PGM_RSRC2:TGID_X_EN: 1
; COMPUTE_PGM_RSRC2:TGID_Y_EN: 0
; COMPUTE_PGM_RSRC2:TGID_Z_EN: 0
; COMPUTE_PGM_RSRC2:TIDIG_COMP_CNT: 0
	.section	.text._ZN7rocprim17ROCPRIM_400000_NS6detail17trampoline_kernelINS0_14default_configENS1_25partition_config_selectorILNS1_17partition_subalgoE5EfNS0_10empty_typeEbEEZZNS1_14partition_implILS5_5ELb0ES3_mN6thrust23THRUST_200600_302600_NS6detail15normal_iteratorINSA_10device_ptrIfEEEEPS6_NSA_18transform_iteratorINSB_9not_fun_tI7is_trueIfEEENSC_INSD_IbEEEENSA_11use_defaultESO_EENS0_5tupleIJNSA_16discard_iteratorISO_EES6_EEENSQ_IJSG_SG_EEES6_PlJS6_EEE10hipError_tPvRmT3_T4_T5_T6_T7_T9_mT8_P12ihipStream_tbDpT10_ENKUlT_T0_E_clISt17integral_constantIbLb1EES1E_IbLb0EEEEDaS1A_S1B_EUlS1A_E_NS1_11comp_targetILNS1_3genE9ELNS1_11target_archE1100ELNS1_3gpuE3ELNS1_3repE0EEENS1_30default_config_static_selectorELNS0_4arch9wavefront6targetE0EEEvT1_,"axG",@progbits,_ZN7rocprim17ROCPRIM_400000_NS6detail17trampoline_kernelINS0_14default_configENS1_25partition_config_selectorILNS1_17partition_subalgoE5EfNS0_10empty_typeEbEEZZNS1_14partition_implILS5_5ELb0ES3_mN6thrust23THRUST_200600_302600_NS6detail15normal_iteratorINSA_10device_ptrIfEEEEPS6_NSA_18transform_iteratorINSB_9not_fun_tI7is_trueIfEEENSC_INSD_IbEEEENSA_11use_defaultESO_EENS0_5tupleIJNSA_16discard_iteratorISO_EES6_EEENSQ_IJSG_SG_EEES6_PlJS6_EEE10hipError_tPvRmT3_T4_T5_T6_T7_T9_mT8_P12ihipStream_tbDpT10_ENKUlT_T0_E_clISt17integral_constantIbLb1EES1E_IbLb0EEEEDaS1A_S1B_EUlS1A_E_NS1_11comp_targetILNS1_3genE9ELNS1_11target_archE1100ELNS1_3gpuE3ELNS1_3repE0EEENS1_30default_config_static_selectorELNS0_4arch9wavefront6targetE0EEEvT1_,comdat
	.protected	_ZN7rocprim17ROCPRIM_400000_NS6detail17trampoline_kernelINS0_14default_configENS1_25partition_config_selectorILNS1_17partition_subalgoE5EfNS0_10empty_typeEbEEZZNS1_14partition_implILS5_5ELb0ES3_mN6thrust23THRUST_200600_302600_NS6detail15normal_iteratorINSA_10device_ptrIfEEEEPS6_NSA_18transform_iteratorINSB_9not_fun_tI7is_trueIfEEENSC_INSD_IbEEEENSA_11use_defaultESO_EENS0_5tupleIJNSA_16discard_iteratorISO_EES6_EEENSQ_IJSG_SG_EEES6_PlJS6_EEE10hipError_tPvRmT3_T4_T5_T6_T7_T9_mT8_P12ihipStream_tbDpT10_ENKUlT_T0_E_clISt17integral_constantIbLb1EES1E_IbLb0EEEEDaS1A_S1B_EUlS1A_E_NS1_11comp_targetILNS1_3genE9ELNS1_11target_archE1100ELNS1_3gpuE3ELNS1_3repE0EEENS1_30default_config_static_selectorELNS0_4arch9wavefront6targetE0EEEvT1_ ; -- Begin function _ZN7rocprim17ROCPRIM_400000_NS6detail17trampoline_kernelINS0_14default_configENS1_25partition_config_selectorILNS1_17partition_subalgoE5EfNS0_10empty_typeEbEEZZNS1_14partition_implILS5_5ELb0ES3_mN6thrust23THRUST_200600_302600_NS6detail15normal_iteratorINSA_10device_ptrIfEEEEPS6_NSA_18transform_iteratorINSB_9not_fun_tI7is_trueIfEEENSC_INSD_IbEEEENSA_11use_defaultESO_EENS0_5tupleIJNSA_16discard_iteratorISO_EES6_EEENSQ_IJSG_SG_EEES6_PlJS6_EEE10hipError_tPvRmT3_T4_T5_T6_T7_T9_mT8_P12ihipStream_tbDpT10_ENKUlT_T0_E_clISt17integral_constantIbLb1EES1E_IbLb0EEEEDaS1A_S1B_EUlS1A_E_NS1_11comp_targetILNS1_3genE9ELNS1_11target_archE1100ELNS1_3gpuE3ELNS1_3repE0EEENS1_30default_config_static_selectorELNS0_4arch9wavefront6targetE0EEEvT1_
	.globl	_ZN7rocprim17ROCPRIM_400000_NS6detail17trampoline_kernelINS0_14default_configENS1_25partition_config_selectorILNS1_17partition_subalgoE5EfNS0_10empty_typeEbEEZZNS1_14partition_implILS5_5ELb0ES3_mN6thrust23THRUST_200600_302600_NS6detail15normal_iteratorINSA_10device_ptrIfEEEEPS6_NSA_18transform_iteratorINSB_9not_fun_tI7is_trueIfEEENSC_INSD_IbEEEENSA_11use_defaultESO_EENS0_5tupleIJNSA_16discard_iteratorISO_EES6_EEENSQ_IJSG_SG_EEES6_PlJS6_EEE10hipError_tPvRmT3_T4_T5_T6_T7_T9_mT8_P12ihipStream_tbDpT10_ENKUlT_T0_E_clISt17integral_constantIbLb1EES1E_IbLb0EEEEDaS1A_S1B_EUlS1A_E_NS1_11comp_targetILNS1_3genE9ELNS1_11target_archE1100ELNS1_3gpuE3ELNS1_3repE0EEENS1_30default_config_static_selectorELNS0_4arch9wavefront6targetE0EEEvT1_
	.p2align	8
	.type	_ZN7rocprim17ROCPRIM_400000_NS6detail17trampoline_kernelINS0_14default_configENS1_25partition_config_selectorILNS1_17partition_subalgoE5EfNS0_10empty_typeEbEEZZNS1_14partition_implILS5_5ELb0ES3_mN6thrust23THRUST_200600_302600_NS6detail15normal_iteratorINSA_10device_ptrIfEEEEPS6_NSA_18transform_iteratorINSB_9not_fun_tI7is_trueIfEEENSC_INSD_IbEEEENSA_11use_defaultESO_EENS0_5tupleIJNSA_16discard_iteratorISO_EES6_EEENSQ_IJSG_SG_EEES6_PlJS6_EEE10hipError_tPvRmT3_T4_T5_T6_T7_T9_mT8_P12ihipStream_tbDpT10_ENKUlT_T0_E_clISt17integral_constantIbLb1EES1E_IbLb0EEEEDaS1A_S1B_EUlS1A_E_NS1_11comp_targetILNS1_3genE9ELNS1_11target_archE1100ELNS1_3gpuE3ELNS1_3repE0EEENS1_30default_config_static_selectorELNS0_4arch9wavefront6targetE0EEEvT1_,@function
_ZN7rocprim17ROCPRIM_400000_NS6detail17trampoline_kernelINS0_14default_configENS1_25partition_config_selectorILNS1_17partition_subalgoE5EfNS0_10empty_typeEbEEZZNS1_14partition_implILS5_5ELb0ES3_mN6thrust23THRUST_200600_302600_NS6detail15normal_iteratorINSA_10device_ptrIfEEEEPS6_NSA_18transform_iteratorINSB_9not_fun_tI7is_trueIfEEENSC_INSD_IbEEEENSA_11use_defaultESO_EENS0_5tupleIJNSA_16discard_iteratorISO_EES6_EEENSQ_IJSG_SG_EEES6_PlJS6_EEE10hipError_tPvRmT3_T4_T5_T6_T7_T9_mT8_P12ihipStream_tbDpT10_ENKUlT_T0_E_clISt17integral_constantIbLb1EES1E_IbLb0EEEEDaS1A_S1B_EUlS1A_E_NS1_11comp_targetILNS1_3genE9ELNS1_11target_archE1100ELNS1_3gpuE3ELNS1_3repE0EEENS1_30default_config_static_selectorELNS0_4arch9wavefront6targetE0EEEvT1_: ; @_ZN7rocprim17ROCPRIM_400000_NS6detail17trampoline_kernelINS0_14default_configENS1_25partition_config_selectorILNS1_17partition_subalgoE5EfNS0_10empty_typeEbEEZZNS1_14partition_implILS5_5ELb0ES3_mN6thrust23THRUST_200600_302600_NS6detail15normal_iteratorINSA_10device_ptrIfEEEEPS6_NSA_18transform_iteratorINSB_9not_fun_tI7is_trueIfEEENSC_INSD_IbEEEENSA_11use_defaultESO_EENS0_5tupleIJNSA_16discard_iteratorISO_EES6_EEENSQ_IJSG_SG_EEES6_PlJS6_EEE10hipError_tPvRmT3_T4_T5_T6_T7_T9_mT8_P12ihipStream_tbDpT10_ENKUlT_T0_E_clISt17integral_constantIbLb1EES1E_IbLb0EEEEDaS1A_S1B_EUlS1A_E_NS1_11comp_targetILNS1_3genE9ELNS1_11target_archE1100ELNS1_3gpuE3ELNS1_3repE0EEENS1_30default_config_static_selectorELNS0_4arch9wavefront6targetE0EEEvT1_
; %bb.0:
	.section	.rodata,"a",@progbits
	.p2align	6, 0x0
	.amdhsa_kernel _ZN7rocprim17ROCPRIM_400000_NS6detail17trampoline_kernelINS0_14default_configENS1_25partition_config_selectorILNS1_17partition_subalgoE5EfNS0_10empty_typeEbEEZZNS1_14partition_implILS5_5ELb0ES3_mN6thrust23THRUST_200600_302600_NS6detail15normal_iteratorINSA_10device_ptrIfEEEEPS6_NSA_18transform_iteratorINSB_9not_fun_tI7is_trueIfEEENSC_INSD_IbEEEENSA_11use_defaultESO_EENS0_5tupleIJNSA_16discard_iteratorISO_EES6_EEENSQ_IJSG_SG_EEES6_PlJS6_EEE10hipError_tPvRmT3_T4_T5_T6_T7_T9_mT8_P12ihipStream_tbDpT10_ENKUlT_T0_E_clISt17integral_constantIbLb1EES1E_IbLb0EEEEDaS1A_S1B_EUlS1A_E_NS1_11comp_targetILNS1_3genE9ELNS1_11target_archE1100ELNS1_3gpuE3ELNS1_3repE0EEENS1_30default_config_static_selectorELNS0_4arch9wavefront6targetE0EEEvT1_
		.amdhsa_group_segment_fixed_size 0
		.amdhsa_private_segment_fixed_size 0
		.amdhsa_kernarg_size 128
		.amdhsa_user_sgpr_count 2
		.amdhsa_user_sgpr_dispatch_ptr 0
		.amdhsa_user_sgpr_queue_ptr 0
		.amdhsa_user_sgpr_kernarg_segment_ptr 1
		.amdhsa_user_sgpr_dispatch_id 0
		.amdhsa_user_sgpr_private_segment_size 0
		.amdhsa_wavefront_size32 1
		.amdhsa_uses_dynamic_stack 0
		.amdhsa_enable_private_segment 0
		.amdhsa_system_sgpr_workgroup_id_x 1
		.amdhsa_system_sgpr_workgroup_id_y 0
		.amdhsa_system_sgpr_workgroup_id_z 0
		.amdhsa_system_sgpr_workgroup_info 0
		.amdhsa_system_vgpr_workitem_id 0
		.amdhsa_next_free_vgpr 1
		.amdhsa_next_free_sgpr 1
		.amdhsa_reserve_vcc 0
		.amdhsa_float_round_mode_32 0
		.amdhsa_float_round_mode_16_64 0
		.amdhsa_float_denorm_mode_32 3
		.amdhsa_float_denorm_mode_16_64 3
		.amdhsa_fp16_overflow 0
		.amdhsa_workgroup_processor_mode 1
		.amdhsa_memory_ordered 1
		.amdhsa_forward_progress 1
		.amdhsa_inst_pref_size 0
		.amdhsa_round_robin_scheduling 0
		.amdhsa_exception_fp_ieee_invalid_op 0
		.amdhsa_exception_fp_denorm_src 0
		.amdhsa_exception_fp_ieee_div_zero 0
		.amdhsa_exception_fp_ieee_overflow 0
		.amdhsa_exception_fp_ieee_underflow 0
		.amdhsa_exception_fp_ieee_inexact 0
		.amdhsa_exception_int_div_zero 0
	.end_amdhsa_kernel
	.section	.text._ZN7rocprim17ROCPRIM_400000_NS6detail17trampoline_kernelINS0_14default_configENS1_25partition_config_selectorILNS1_17partition_subalgoE5EfNS0_10empty_typeEbEEZZNS1_14partition_implILS5_5ELb0ES3_mN6thrust23THRUST_200600_302600_NS6detail15normal_iteratorINSA_10device_ptrIfEEEEPS6_NSA_18transform_iteratorINSB_9not_fun_tI7is_trueIfEEENSC_INSD_IbEEEENSA_11use_defaultESO_EENS0_5tupleIJNSA_16discard_iteratorISO_EES6_EEENSQ_IJSG_SG_EEES6_PlJS6_EEE10hipError_tPvRmT3_T4_T5_T6_T7_T9_mT8_P12ihipStream_tbDpT10_ENKUlT_T0_E_clISt17integral_constantIbLb1EES1E_IbLb0EEEEDaS1A_S1B_EUlS1A_E_NS1_11comp_targetILNS1_3genE9ELNS1_11target_archE1100ELNS1_3gpuE3ELNS1_3repE0EEENS1_30default_config_static_selectorELNS0_4arch9wavefront6targetE0EEEvT1_,"axG",@progbits,_ZN7rocprim17ROCPRIM_400000_NS6detail17trampoline_kernelINS0_14default_configENS1_25partition_config_selectorILNS1_17partition_subalgoE5EfNS0_10empty_typeEbEEZZNS1_14partition_implILS5_5ELb0ES3_mN6thrust23THRUST_200600_302600_NS6detail15normal_iteratorINSA_10device_ptrIfEEEEPS6_NSA_18transform_iteratorINSB_9not_fun_tI7is_trueIfEEENSC_INSD_IbEEEENSA_11use_defaultESO_EENS0_5tupleIJNSA_16discard_iteratorISO_EES6_EEENSQ_IJSG_SG_EEES6_PlJS6_EEE10hipError_tPvRmT3_T4_T5_T6_T7_T9_mT8_P12ihipStream_tbDpT10_ENKUlT_T0_E_clISt17integral_constantIbLb1EES1E_IbLb0EEEEDaS1A_S1B_EUlS1A_E_NS1_11comp_targetILNS1_3genE9ELNS1_11target_archE1100ELNS1_3gpuE3ELNS1_3repE0EEENS1_30default_config_static_selectorELNS0_4arch9wavefront6targetE0EEEvT1_,comdat
.Lfunc_end2643:
	.size	_ZN7rocprim17ROCPRIM_400000_NS6detail17trampoline_kernelINS0_14default_configENS1_25partition_config_selectorILNS1_17partition_subalgoE5EfNS0_10empty_typeEbEEZZNS1_14partition_implILS5_5ELb0ES3_mN6thrust23THRUST_200600_302600_NS6detail15normal_iteratorINSA_10device_ptrIfEEEEPS6_NSA_18transform_iteratorINSB_9not_fun_tI7is_trueIfEEENSC_INSD_IbEEEENSA_11use_defaultESO_EENS0_5tupleIJNSA_16discard_iteratorISO_EES6_EEENSQ_IJSG_SG_EEES6_PlJS6_EEE10hipError_tPvRmT3_T4_T5_T6_T7_T9_mT8_P12ihipStream_tbDpT10_ENKUlT_T0_E_clISt17integral_constantIbLb1EES1E_IbLb0EEEEDaS1A_S1B_EUlS1A_E_NS1_11comp_targetILNS1_3genE9ELNS1_11target_archE1100ELNS1_3gpuE3ELNS1_3repE0EEENS1_30default_config_static_selectorELNS0_4arch9wavefront6targetE0EEEvT1_, .Lfunc_end2643-_ZN7rocprim17ROCPRIM_400000_NS6detail17trampoline_kernelINS0_14default_configENS1_25partition_config_selectorILNS1_17partition_subalgoE5EfNS0_10empty_typeEbEEZZNS1_14partition_implILS5_5ELb0ES3_mN6thrust23THRUST_200600_302600_NS6detail15normal_iteratorINSA_10device_ptrIfEEEEPS6_NSA_18transform_iteratorINSB_9not_fun_tI7is_trueIfEEENSC_INSD_IbEEEENSA_11use_defaultESO_EENS0_5tupleIJNSA_16discard_iteratorISO_EES6_EEENSQ_IJSG_SG_EEES6_PlJS6_EEE10hipError_tPvRmT3_T4_T5_T6_T7_T9_mT8_P12ihipStream_tbDpT10_ENKUlT_T0_E_clISt17integral_constantIbLb1EES1E_IbLb0EEEEDaS1A_S1B_EUlS1A_E_NS1_11comp_targetILNS1_3genE9ELNS1_11target_archE1100ELNS1_3gpuE3ELNS1_3repE0EEENS1_30default_config_static_selectorELNS0_4arch9wavefront6targetE0EEEvT1_
                                        ; -- End function
	.set _ZN7rocprim17ROCPRIM_400000_NS6detail17trampoline_kernelINS0_14default_configENS1_25partition_config_selectorILNS1_17partition_subalgoE5EfNS0_10empty_typeEbEEZZNS1_14partition_implILS5_5ELb0ES3_mN6thrust23THRUST_200600_302600_NS6detail15normal_iteratorINSA_10device_ptrIfEEEEPS6_NSA_18transform_iteratorINSB_9not_fun_tI7is_trueIfEEENSC_INSD_IbEEEENSA_11use_defaultESO_EENS0_5tupleIJNSA_16discard_iteratorISO_EES6_EEENSQ_IJSG_SG_EEES6_PlJS6_EEE10hipError_tPvRmT3_T4_T5_T6_T7_T9_mT8_P12ihipStream_tbDpT10_ENKUlT_T0_E_clISt17integral_constantIbLb1EES1E_IbLb0EEEEDaS1A_S1B_EUlS1A_E_NS1_11comp_targetILNS1_3genE9ELNS1_11target_archE1100ELNS1_3gpuE3ELNS1_3repE0EEENS1_30default_config_static_selectorELNS0_4arch9wavefront6targetE0EEEvT1_.num_vgpr, 0
	.set _ZN7rocprim17ROCPRIM_400000_NS6detail17trampoline_kernelINS0_14default_configENS1_25partition_config_selectorILNS1_17partition_subalgoE5EfNS0_10empty_typeEbEEZZNS1_14partition_implILS5_5ELb0ES3_mN6thrust23THRUST_200600_302600_NS6detail15normal_iteratorINSA_10device_ptrIfEEEEPS6_NSA_18transform_iteratorINSB_9not_fun_tI7is_trueIfEEENSC_INSD_IbEEEENSA_11use_defaultESO_EENS0_5tupleIJNSA_16discard_iteratorISO_EES6_EEENSQ_IJSG_SG_EEES6_PlJS6_EEE10hipError_tPvRmT3_T4_T5_T6_T7_T9_mT8_P12ihipStream_tbDpT10_ENKUlT_T0_E_clISt17integral_constantIbLb1EES1E_IbLb0EEEEDaS1A_S1B_EUlS1A_E_NS1_11comp_targetILNS1_3genE9ELNS1_11target_archE1100ELNS1_3gpuE3ELNS1_3repE0EEENS1_30default_config_static_selectorELNS0_4arch9wavefront6targetE0EEEvT1_.num_agpr, 0
	.set _ZN7rocprim17ROCPRIM_400000_NS6detail17trampoline_kernelINS0_14default_configENS1_25partition_config_selectorILNS1_17partition_subalgoE5EfNS0_10empty_typeEbEEZZNS1_14partition_implILS5_5ELb0ES3_mN6thrust23THRUST_200600_302600_NS6detail15normal_iteratorINSA_10device_ptrIfEEEEPS6_NSA_18transform_iteratorINSB_9not_fun_tI7is_trueIfEEENSC_INSD_IbEEEENSA_11use_defaultESO_EENS0_5tupleIJNSA_16discard_iteratorISO_EES6_EEENSQ_IJSG_SG_EEES6_PlJS6_EEE10hipError_tPvRmT3_T4_T5_T6_T7_T9_mT8_P12ihipStream_tbDpT10_ENKUlT_T0_E_clISt17integral_constantIbLb1EES1E_IbLb0EEEEDaS1A_S1B_EUlS1A_E_NS1_11comp_targetILNS1_3genE9ELNS1_11target_archE1100ELNS1_3gpuE3ELNS1_3repE0EEENS1_30default_config_static_selectorELNS0_4arch9wavefront6targetE0EEEvT1_.numbered_sgpr, 0
	.set _ZN7rocprim17ROCPRIM_400000_NS6detail17trampoline_kernelINS0_14default_configENS1_25partition_config_selectorILNS1_17partition_subalgoE5EfNS0_10empty_typeEbEEZZNS1_14partition_implILS5_5ELb0ES3_mN6thrust23THRUST_200600_302600_NS6detail15normal_iteratorINSA_10device_ptrIfEEEEPS6_NSA_18transform_iteratorINSB_9not_fun_tI7is_trueIfEEENSC_INSD_IbEEEENSA_11use_defaultESO_EENS0_5tupleIJNSA_16discard_iteratorISO_EES6_EEENSQ_IJSG_SG_EEES6_PlJS6_EEE10hipError_tPvRmT3_T4_T5_T6_T7_T9_mT8_P12ihipStream_tbDpT10_ENKUlT_T0_E_clISt17integral_constantIbLb1EES1E_IbLb0EEEEDaS1A_S1B_EUlS1A_E_NS1_11comp_targetILNS1_3genE9ELNS1_11target_archE1100ELNS1_3gpuE3ELNS1_3repE0EEENS1_30default_config_static_selectorELNS0_4arch9wavefront6targetE0EEEvT1_.num_named_barrier, 0
	.set _ZN7rocprim17ROCPRIM_400000_NS6detail17trampoline_kernelINS0_14default_configENS1_25partition_config_selectorILNS1_17partition_subalgoE5EfNS0_10empty_typeEbEEZZNS1_14partition_implILS5_5ELb0ES3_mN6thrust23THRUST_200600_302600_NS6detail15normal_iteratorINSA_10device_ptrIfEEEEPS6_NSA_18transform_iteratorINSB_9not_fun_tI7is_trueIfEEENSC_INSD_IbEEEENSA_11use_defaultESO_EENS0_5tupleIJNSA_16discard_iteratorISO_EES6_EEENSQ_IJSG_SG_EEES6_PlJS6_EEE10hipError_tPvRmT3_T4_T5_T6_T7_T9_mT8_P12ihipStream_tbDpT10_ENKUlT_T0_E_clISt17integral_constantIbLb1EES1E_IbLb0EEEEDaS1A_S1B_EUlS1A_E_NS1_11comp_targetILNS1_3genE9ELNS1_11target_archE1100ELNS1_3gpuE3ELNS1_3repE0EEENS1_30default_config_static_selectorELNS0_4arch9wavefront6targetE0EEEvT1_.private_seg_size, 0
	.set _ZN7rocprim17ROCPRIM_400000_NS6detail17trampoline_kernelINS0_14default_configENS1_25partition_config_selectorILNS1_17partition_subalgoE5EfNS0_10empty_typeEbEEZZNS1_14partition_implILS5_5ELb0ES3_mN6thrust23THRUST_200600_302600_NS6detail15normal_iteratorINSA_10device_ptrIfEEEEPS6_NSA_18transform_iteratorINSB_9not_fun_tI7is_trueIfEEENSC_INSD_IbEEEENSA_11use_defaultESO_EENS0_5tupleIJNSA_16discard_iteratorISO_EES6_EEENSQ_IJSG_SG_EEES6_PlJS6_EEE10hipError_tPvRmT3_T4_T5_T6_T7_T9_mT8_P12ihipStream_tbDpT10_ENKUlT_T0_E_clISt17integral_constantIbLb1EES1E_IbLb0EEEEDaS1A_S1B_EUlS1A_E_NS1_11comp_targetILNS1_3genE9ELNS1_11target_archE1100ELNS1_3gpuE3ELNS1_3repE0EEENS1_30default_config_static_selectorELNS0_4arch9wavefront6targetE0EEEvT1_.uses_vcc, 0
	.set _ZN7rocprim17ROCPRIM_400000_NS6detail17trampoline_kernelINS0_14default_configENS1_25partition_config_selectorILNS1_17partition_subalgoE5EfNS0_10empty_typeEbEEZZNS1_14partition_implILS5_5ELb0ES3_mN6thrust23THRUST_200600_302600_NS6detail15normal_iteratorINSA_10device_ptrIfEEEEPS6_NSA_18transform_iteratorINSB_9not_fun_tI7is_trueIfEEENSC_INSD_IbEEEENSA_11use_defaultESO_EENS0_5tupleIJNSA_16discard_iteratorISO_EES6_EEENSQ_IJSG_SG_EEES6_PlJS6_EEE10hipError_tPvRmT3_T4_T5_T6_T7_T9_mT8_P12ihipStream_tbDpT10_ENKUlT_T0_E_clISt17integral_constantIbLb1EES1E_IbLb0EEEEDaS1A_S1B_EUlS1A_E_NS1_11comp_targetILNS1_3genE9ELNS1_11target_archE1100ELNS1_3gpuE3ELNS1_3repE0EEENS1_30default_config_static_selectorELNS0_4arch9wavefront6targetE0EEEvT1_.uses_flat_scratch, 0
	.set _ZN7rocprim17ROCPRIM_400000_NS6detail17trampoline_kernelINS0_14default_configENS1_25partition_config_selectorILNS1_17partition_subalgoE5EfNS0_10empty_typeEbEEZZNS1_14partition_implILS5_5ELb0ES3_mN6thrust23THRUST_200600_302600_NS6detail15normal_iteratorINSA_10device_ptrIfEEEEPS6_NSA_18transform_iteratorINSB_9not_fun_tI7is_trueIfEEENSC_INSD_IbEEEENSA_11use_defaultESO_EENS0_5tupleIJNSA_16discard_iteratorISO_EES6_EEENSQ_IJSG_SG_EEES6_PlJS6_EEE10hipError_tPvRmT3_T4_T5_T6_T7_T9_mT8_P12ihipStream_tbDpT10_ENKUlT_T0_E_clISt17integral_constantIbLb1EES1E_IbLb0EEEEDaS1A_S1B_EUlS1A_E_NS1_11comp_targetILNS1_3genE9ELNS1_11target_archE1100ELNS1_3gpuE3ELNS1_3repE0EEENS1_30default_config_static_selectorELNS0_4arch9wavefront6targetE0EEEvT1_.has_dyn_sized_stack, 0
	.set _ZN7rocprim17ROCPRIM_400000_NS6detail17trampoline_kernelINS0_14default_configENS1_25partition_config_selectorILNS1_17partition_subalgoE5EfNS0_10empty_typeEbEEZZNS1_14partition_implILS5_5ELb0ES3_mN6thrust23THRUST_200600_302600_NS6detail15normal_iteratorINSA_10device_ptrIfEEEEPS6_NSA_18transform_iteratorINSB_9not_fun_tI7is_trueIfEEENSC_INSD_IbEEEENSA_11use_defaultESO_EENS0_5tupleIJNSA_16discard_iteratorISO_EES6_EEENSQ_IJSG_SG_EEES6_PlJS6_EEE10hipError_tPvRmT3_T4_T5_T6_T7_T9_mT8_P12ihipStream_tbDpT10_ENKUlT_T0_E_clISt17integral_constantIbLb1EES1E_IbLb0EEEEDaS1A_S1B_EUlS1A_E_NS1_11comp_targetILNS1_3genE9ELNS1_11target_archE1100ELNS1_3gpuE3ELNS1_3repE0EEENS1_30default_config_static_selectorELNS0_4arch9wavefront6targetE0EEEvT1_.has_recursion, 0
	.set _ZN7rocprim17ROCPRIM_400000_NS6detail17trampoline_kernelINS0_14default_configENS1_25partition_config_selectorILNS1_17partition_subalgoE5EfNS0_10empty_typeEbEEZZNS1_14partition_implILS5_5ELb0ES3_mN6thrust23THRUST_200600_302600_NS6detail15normal_iteratorINSA_10device_ptrIfEEEEPS6_NSA_18transform_iteratorINSB_9not_fun_tI7is_trueIfEEENSC_INSD_IbEEEENSA_11use_defaultESO_EENS0_5tupleIJNSA_16discard_iteratorISO_EES6_EEENSQ_IJSG_SG_EEES6_PlJS6_EEE10hipError_tPvRmT3_T4_T5_T6_T7_T9_mT8_P12ihipStream_tbDpT10_ENKUlT_T0_E_clISt17integral_constantIbLb1EES1E_IbLb0EEEEDaS1A_S1B_EUlS1A_E_NS1_11comp_targetILNS1_3genE9ELNS1_11target_archE1100ELNS1_3gpuE3ELNS1_3repE0EEENS1_30default_config_static_selectorELNS0_4arch9wavefront6targetE0EEEvT1_.has_indirect_call, 0
	.section	.AMDGPU.csdata,"",@progbits
; Kernel info:
; codeLenInByte = 0
; TotalNumSgprs: 0
; NumVgprs: 0
; ScratchSize: 0
; MemoryBound: 0
; FloatMode: 240
; IeeeMode: 1
; LDSByteSize: 0 bytes/workgroup (compile time only)
; SGPRBlocks: 0
; VGPRBlocks: 0
; NumSGPRsForWavesPerEU: 1
; NumVGPRsForWavesPerEU: 1
; Occupancy: 16
; WaveLimiterHint : 0
; COMPUTE_PGM_RSRC2:SCRATCH_EN: 0
; COMPUTE_PGM_RSRC2:USER_SGPR: 2
; COMPUTE_PGM_RSRC2:TRAP_HANDLER: 0
; COMPUTE_PGM_RSRC2:TGID_X_EN: 1
; COMPUTE_PGM_RSRC2:TGID_Y_EN: 0
; COMPUTE_PGM_RSRC2:TGID_Z_EN: 0
; COMPUTE_PGM_RSRC2:TIDIG_COMP_CNT: 0
	.section	.text._ZN7rocprim17ROCPRIM_400000_NS6detail17trampoline_kernelINS0_14default_configENS1_25partition_config_selectorILNS1_17partition_subalgoE5EfNS0_10empty_typeEbEEZZNS1_14partition_implILS5_5ELb0ES3_mN6thrust23THRUST_200600_302600_NS6detail15normal_iteratorINSA_10device_ptrIfEEEEPS6_NSA_18transform_iteratorINSB_9not_fun_tI7is_trueIfEEENSC_INSD_IbEEEENSA_11use_defaultESO_EENS0_5tupleIJNSA_16discard_iteratorISO_EES6_EEENSQ_IJSG_SG_EEES6_PlJS6_EEE10hipError_tPvRmT3_T4_T5_T6_T7_T9_mT8_P12ihipStream_tbDpT10_ENKUlT_T0_E_clISt17integral_constantIbLb1EES1E_IbLb0EEEEDaS1A_S1B_EUlS1A_E_NS1_11comp_targetILNS1_3genE8ELNS1_11target_archE1030ELNS1_3gpuE2ELNS1_3repE0EEENS1_30default_config_static_selectorELNS0_4arch9wavefront6targetE0EEEvT1_,"axG",@progbits,_ZN7rocprim17ROCPRIM_400000_NS6detail17trampoline_kernelINS0_14default_configENS1_25partition_config_selectorILNS1_17partition_subalgoE5EfNS0_10empty_typeEbEEZZNS1_14partition_implILS5_5ELb0ES3_mN6thrust23THRUST_200600_302600_NS6detail15normal_iteratorINSA_10device_ptrIfEEEEPS6_NSA_18transform_iteratorINSB_9not_fun_tI7is_trueIfEEENSC_INSD_IbEEEENSA_11use_defaultESO_EENS0_5tupleIJNSA_16discard_iteratorISO_EES6_EEENSQ_IJSG_SG_EEES6_PlJS6_EEE10hipError_tPvRmT3_T4_T5_T6_T7_T9_mT8_P12ihipStream_tbDpT10_ENKUlT_T0_E_clISt17integral_constantIbLb1EES1E_IbLb0EEEEDaS1A_S1B_EUlS1A_E_NS1_11comp_targetILNS1_3genE8ELNS1_11target_archE1030ELNS1_3gpuE2ELNS1_3repE0EEENS1_30default_config_static_selectorELNS0_4arch9wavefront6targetE0EEEvT1_,comdat
	.protected	_ZN7rocprim17ROCPRIM_400000_NS6detail17trampoline_kernelINS0_14default_configENS1_25partition_config_selectorILNS1_17partition_subalgoE5EfNS0_10empty_typeEbEEZZNS1_14partition_implILS5_5ELb0ES3_mN6thrust23THRUST_200600_302600_NS6detail15normal_iteratorINSA_10device_ptrIfEEEEPS6_NSA_18transform_iteratorINSB_9not_fun_tI7is_trueIfEEENSC_INSD_IbEEEENSA_11use_defaultESO_EENS0_5tupleIJNSA_16discard_iteratorISO_EES6_EEENSQ_IJSG_SG_EEES6_PlJS6_EEE10hipError_tPvRmT3_T4_T5_T6_T7_T9_mT8_P12ihipStream_tbDpT10_ENKUlT_T0_E_clISt17integral_constantIbLb1EES1E_IbLb0EEEEDaS1A_S1B_EUlS1A_E_NS1_11comp_targetILNS1_3genE8ELNS1_11target_archE1030ELNS1_3gpuE2ELNS1_3repE0EEENS1_30default_config_static_selectorELNS0_4arch9wavefront6targetE0EEEvT1_ ; -- Begin function _ZN7rocprim17ROCPRIM_400000_NS6detail17trampoline_kernelINS0_14default_configENS1_25partition_config_selectorILNS1_17partition_subalgoE5EfNS0_10empty_typeEbEEZZNS1_14partition_implILS5_5ELb0ES3_mN6thrust23THRUST_200600_302600_NS6detail15normal_iteratorINSA_10device_ptrIfEEEEPS6_NSA_18transform_iteratorINSB_9not_fun_tI7is_trueIfEEENSC_INSD_IbEEEENSA_11use_defaultESO_EENS0_5tupleIJNSA_16discard_iteratorISO_EES6_EEENSQ_IJSG_SG_EEES6_PlJS6_EEE10hipError_tPvRmT3_T4_T5_T6_T7_T9_mT8_P12ihipStream_tbDpT10_ENKUlT_T0_E_clISt17integral_constantIbLb1EES1E_IbLb0EEEEDaS1A_S1B_EUlS1A_E_NS1_11comp_targetILNS1_3genE8ELNS1_11target_archE1030ELNS1_3gpuE2ELNS1_3repE0EEENS1_30default_config_static_selectorELNS0_4arch9wavefront6targetE0EEEvT1_
	.globl	_ZN7rocprim17ROCPRIM_400000_NS6detail17trampoline_kernelINS0_14default_configENS1_25partition_config_selectorILNS1_17partition_subalgoE5EfNS0_10empty_typeEbEEZZNS1_14partition_implILS5_5ELb0ES3_mN6thrust23THRUST_200600_302600_NS6detail15normal_iteratorINSA_10device_ptrIfEEEEPS6_NSA_18transform_iteratorINSB_9not_fun_tI7is_trueIfEEENSC_INSD_IbEEEENSA_11use_defaultESO_EENS0_5tupleIJNSA_16discard_iteratorISO_EES6_EEENSQ_IJSG_SG_EEES6_PlJS6_EEE10hipError_tPvRmT3_T4_T5_T6_T7_T9_mT8_P12ihipStream_tbDpT10_ENKUlT_T0_E_clISt17integral_constantIbLb1EES1E_IbLb0EEEEDaS1A_S1B_EUlS1A_E_NS1_11comp_targetILNS1_3genE8ELNS1_11target_archE1030ELNS1_3gpuE2ELNS1_3repE0EEENS1_30default_config_static_selectorELNS0_4arch9wavefront6targetE0EEEvT1_
	.p2align	8
	.type	_ZN7rocprim17ROCPRIM_400000_NS6detail17trampoline_kernelINS0_14default_configENS1_25partition_config_selectorILNS1_17partition_subalgoE5EfNS0_10empty_typeEbEEZZNS1_14partition_implILS5_5ELb0ES3_mN6thrust23THRUST_200600_302600_NS6detail15normal_iteratorINSA_10device_ptrIfEEEEPS6_NSA_18transform_iteratorINSB_9not_fun_tI7is_trueIfEEENSC_INSD_IbEEEENSA_11use_defaultESO_EENS0_5tupleIJNSA_16discard_iteratorISO_EES6_EEENSQ_IJSG_SG_EEES6_PlJS6_EEE10hipError_tPvRmT3_T4_T5_T6_T7_T9_mT8_P12ihipStream_tbDpT10_ENKUlT_T0_E_clISt17integral_constantIbLb1EES1E_IbLb0EEEEDaS1A_S1B_EUlS1A_E_NS1_11comp_targetILNS1_3genE8ELNS1_11target_archE1030ELNS1_3gpuE2ELNS1_3repE0EEENS1_30default_config_static_selectorELNS0_4arch9wavefront6targetE0EEEvT1_,@function
_ZN7rocprim17ROCPRIM_400000_NS6detail17trampoline_kernelINS0_14default_configENS1_25partition_config_selectorILNS1_17partition_subalgoE5EfNS0_10empty_typeEbEEZZNS1_14partition_implILS5_5ELb0ES3_mN6thrust23THRUST_200600_302600_NS6detail15normal_iteratorINSA_10device_ptrIfEEEEPS6_NSA_18transform_iteratorINSB_9not_fun_tI7is_trueIfEEENSC_INSD_IbEEEENSA_11use_defaultESO_EENS0_5tupleIJNSA_16discard_iteratorISO_EES6_EEENSQ_IJSG_SG_EEES6_PlJS6_EEE10hipError_tPvRmT3_T4_T5_T6_T7_T9_mT8_P12ihipStream_tbDpT10_ENKUlT_T0_E_clISt17integral_constantIbLb1EES1E_IbLb0EEEEDaS1A_S1B_EUlS1A_E_NS1_11comp_targetILNS1_3genE8ELNS1_11target_archE1030ELNS1_3gpuE2ELNS1_3repE0EEENS1_30default_config_static_selectorELNS0_4arch9wavefront6targetE0EEEvT1_: ; @_ZN7rocprim17ROCPRIM_400000_NS6detail17trampoline_kernelINS0_14default_configENS1_25partition_config_selectorILNS1_17partition_subalgoE5EfNS0_10empty_typeEbEEZZNS1_14partition_implILS5_5ELb0ES3_mN6thrust23THRUST_200600_302600_NS6detail15normal_iteratorINSA_10device_ptrIfEEEEPS6_NSA_18transform_iteratorINSB_9not_fun_tI7is_trueIfEEENSC_INSD_IbEEEENSA_11use_defaultESO_EENS0_5tupleIJNSA_16discard_iteratorISO_EES6_EEENSQ_IJSG_SG_EEES6_PlJS6_EEE10hipError_tPvRmT3_T4_T5_T6_T7_T9_mT8_P12ihipStream_tbDpT10_ENKUlT_T0_E_clISt17integral_constantIbLb1EES1E_IbLb0EEEEDaS1A_S1B_EUlS1A_E_NS1_11comp_targetILNS1_3genE8ELNS1_11target_archE1030ELNS1_3gpuE2ELNS1_3repE0EEENS1_30default_config_static_selectorELNS0_4arch9wavefront6targetE0EEEvT1_
; %bb.0:
	.section	.rodata,"a",@progbits
	.p2align	6, 0x0
	.amdhsa_kernel _ZN7rocprim17ROCPRIM_400000_NS6detail17trampoline_kernelINS0_14default_configENS1_25partition_config_selectorILNS1_17partition_subalgoE5EfNS0_10empty_typeEbEEZZNS1_14partition_implILS5_5ELb0ES3_mN6thrust23THRUST_200600_302600_NS6detail15normal_iteratorINSA_10device_ptrIfEEEEPS6_NSA_18transform_iteratorINSB_9not_fun_tI7is_trueIfEEENSC_INSD_IbEEEENSA_11use_defaultESO_EENS0_5tupleIJNSA_16discard_iteratorISO_EES6_EEENSQ_IJSG_SG_EEES6_PlJS6_EEE10hipError_tPvRmT3_T4_T5_T6_T7_T9_mT8_P12ihipStream_tbDpT10_ENKUlT_T0_E_clISt17integral_constantIbLb1EES1E_IbLb0EEEEDaS1A_S1B_EUlS1A_E_NS1_11comp_targetILNS1_3genE8ELNS1_11target_archE1030ELNS1_3gpuE2ELNS1_3repE0EEENS1_30default_config_static_selectorELNS0_4arch9wavefront6targetE0EEEvT1_
		.amdhsa_group_segment_fixed_size 0
		.amdhsa_private_segment_fixed_size 0
		.amdhsa_kernarg_size 128
		.amdhsa_user_sgpr_count 2
		.amdhsa_user_sgpr_dispatch_ptr 0
		.amdhsa_user_sgpr_queue_ptr 0
		.amdhsa_user_sgpr_kernarg_segment_ptr 1
		.amdhsa_user_sgpr_dispatch_id 0
		.amdhsa_user_sgpr_private_segment_size 0
		.amdhsa_wavefront_size32 1
		.amdhsa_uses_dynamic_stack 0
		.amdhsa_enable_private_segment 0
		.amdhsa_system_sgpr_workgroup_id_x 1
		.amdhsa_system_sgpr_workgroup_id_y 0
		.amdhsa_system_sgpr_workgroup_id_z 0
		.amdhsa_system_sgpr_workgroup_info 0
		.amdhsa_system_vgpr_workitem_id 0
		.amdhsa_next_free_vgpr 1
		.amdhsa_next_free_sgpr 1
		.amdhsa_reserve_vcc 0
		.amdhsa_float_round_mode_32 0
		.amdhsa_float_round_mode_16_64 0
		.amdhsa_float_denorm_mode_32 3
		.amdhsa_float_denorm_mode_16_64 3
		.amdhsa_fp16_overflow 0
		.amdhsa_workgroup_processor_mode 1
		.amdhsa_memory_ordered 1
		.amdhsa_forward_progress 1
		.amdhsa_inst_pref_size 0
		.amdhsa_round_robin_scheduling 0
		.amdhsa_exception_fp_ieee_invalid_op 0
		.amdhsa_exception_fp_denorm_src 0
		.amdhsa_exception_fp_ieee_div_zero 0
		.amdhsa_exception_fp_ieee_overflow 0
		.amdhsa_exception_fp_ieee_underflow 0
		.amdhsa_exception_fp_ieee_inexact 0
		.amdhsa_exception_int_div_zero 0
	.end_amdhsa_kernel
	.section	.text._ZN7rocprim17ROCPRIM_400000_NS6detail17trampoline_kernelINS0_14default_configENS1_25partition_config_selectorILNS1_17partition_subalgoE5EfNS0_10empty_typeEbEEZZNS1_14partition_implILS5_5ELb0ES3_mN6thrust23THRUST_200600_302600_NS6detail15normal_iteratorINSA_10device_ptrIfEEEEPS6_NSA_18transform_iteratorINSB_9not_fun_tI7is_trueIfEEENSC_INSD_IbEEEENSA_11use_defaultESO_EENS0_5tupleIJNSA_16discard_iteratorISO_EES6_EEENSQ_IJSG_SG_EEES6_PlJS6_EEE10hipError_tPvRmT3_T4_T5_T6_T7_T9_mT8_P12ihipStream_tbDpT10_ENKUlT_T0_E_clISt17integral_constantIbLb1EES1E_IbLb0EEEEDaS1A_S1B_EUlS1A_E_NS1_11comp_targetILNS1_3genE8ELNS1_11target_archE1030ELNS1_3gpuE2ELNS1_3repE0EEENS1_30default_config_static_selectorELNS0_4arch9wavefront6targetE0EEEvT1_,"axG",@progbits,_ZN7rocprim17ROCPRIM_400000_NS6detail17trampoline_kernelINS0_14default_configENS1_25partition_config_selectorILNS1_17partition_subalgoE5EfNS0_10empty_typeEbEEZZNS1_14partition_implILS5_5ELb0ES3_mN6thrust23THRUST_200600_302600_NS6detail15normal_iteratorINSA_10device_ptrIfEEEEPS6_NSA_18transform_iteratorINSB_9not_fun_tI7is_trueIfEEENSC_INSD_IbEEEENSA_11use_defaultESO_EENS0_5tupleIJNSA_16discard_iteratorISO_EES6_EEENSQ_IJSG_SG_EEES6_PlJS6_EEE10hipError_tPvRmT3_T4_T5_T6_T7_T9_mT8_P12ihipStream_tbDpT10_ENKUlT_T0_E_clISt17integral_constantIbLb1EES1E_IbLb0EEEEDaS1A_S1B_EUlS1A_E_NS1_11comp_targetILNS1_3genE8ELNS1_11target_archE1030ELNS1_3gpuE2ELNS1_3repE0EEENS1_30default_config_static_selectorELNS0_4arch9wavefront6targetE0EEEvT1_,comdat
.Lfunc_end2644:
	.size	_ZN7rocprim17ROCPRIM_400000_NS6detail17trampoline_kernelINS0_14default_configENS1_25partition_config_selectorILNS1_17partition_subalgoE5EfNS0_10empty_typeEbEEZZNS1_14partition_implILS5_5ELb0ES3_mN6thrust23THRUST_200600_302600_NS6detail15normal_iteratorINSA_10device_ptrIfEEEEPS6_NSA_18transform_iteratorINSB_9not_fun_tI7is_trueIfEEENSC_INSD_IbEEEENSA_11use_defaultESO_EENS0_5tupleIJNSA_16discard_iteratorISO_EES6_EEENSQ_IJSG_SG_EEES6_PlJS6_EEE10hipError_tPvRmT3_T4_T5_T6_T7_T9_mT8_P12ihipStream_tbDpT10_ENKUlT_T0_E_clISt17integral_constantIbLb1EES1E_IbLb0EEEEDaS1A_S1B_EUlS1A_E_NS1_11comp_targetILNS1_3genE8ELNS1_11target_archE1030ELNS1_3gpuE2ELNS1_3repE0EEENS1_30default_config_static_selectorELNS0_4arch9wavefront6targetE0EEEvT1_, .Lfunc_end2644-_ZN7rocprim17ROCPRIM_400000_NS6detail17trampoline_kernelINS0_14default_configENS1_25partition_config_selectorILNS1_17partition_subalgoE5EfNS0_10empty_typeEbEEZZNS1_14partition_implILS5_5ELb0ES3_mN6thrust23THRUST_200600_302600_NS6detail15normal_iteratorINSA_10device_ptrIfEEEEPS6_NSA_18transform_iteratorINSB_9not_fun_tI7is_trueIfEEENSC_INSD_IbEEEENSA_11use_defaultESO_EENS0_5tupleIJNSA_16discard_iteratorISO_EES6_EEENSQ_IJSG_SG_EEES6_PlJS6_EEE10hipError_tPvRmT3_T4_T5_T6_T7_T9_mT8_P12ihipStream_tbDpT10_ENKUlT_T0_E_clISt17integral_constantIbLb1EES1E_IbLb0EEEEDaS1A_S1B_EUlS1A_E_NS1_11comp_targetILNS1_3genE8ELNS1_11target_archE1030ELNS1_3gpuE2ELNS1_3repE0EEENS1_30default_config_static_selectorELNS0_4arch9wavefront6targetE0EEEvT1_
                                        ; -- End function
	.set _ZN7rocprim17ROCPRIM_400000_NS6detail17trampoline_kernelINS0_14default_configENS1_25partition_config_selectorILNS1_17partition_subalgoE5EfNS0_10empty_typeEbEEZZNS1_14partition_implILS5_5ELb0ES3_mN6thrust23THRUST_200600_302600_NS6detail15normal_iteratorINSA_10device_ptrIfEEEEPS6_NSA_18transform_iteratorINSB_9not_fun_tI7is_trueIfEEENSC_INSD_IbEEEENSA_11use_defaultESO_EENS0_5tupleIJNSA_16discard_iteratorISO_EES6_EEENSQ_IJSG_SG_EEES6_PlJS6_EEE10hipError_tPvRmT3_T4_T5_T6_T7_T9_mT8_P12ihipStream_tbDpT10_ENKUlT_T0_E_clISt17integral_constantIbLb1EES1E_IbLb0EEEEDaS1A_S1B_EUlS1A_E_NS1_11comp_targetILNS1_3genE8ELNS1_11target_archE1030ELNS1_3gpuE2ELNS1_3repE0EEENS1_30default_config_static_selectorELNS0_4arch9wavefront6targetE0EEEvT1_.num_vgpr, 0
	.set _ZN7rocprim17ROCPRIM_400000_NS6detail17trampoline_kernelINS0_14default_configENS1_25partition_config_selectorILNS1_17partition_subalgoE5EfNS0_10empty_typeEbEEZZNS1_14partition_implILS5_5ELb0ES3_mN6thrust23THRUST_200600_302600_NS6detail15normal_iteratorINSA_10device_ptrIfEEEEPS6_NSA_18transform_iteratorINSB_9not_fun_tI7is_trueIfEEENSC_INSD_IbEEEENSA_11use_defaultESO_EENS0_5tupleIJNSA_16discard_iteratorISO_EES6_EEENSQ_IJSG_SG_EEES6_PlJS6_EEE10hipError_tPvRmT3_T4_T5_T6_T7_T9_mT8_P12ihipStream_tbDpT10_ENKUlT_T0_E_clISt17integral_constantIbLb1EES1E_IbLb0EEEEDaS1A_S1B_EUlS1A_E_NS1_11comp_targetILNS1_3genE8ELNS1_11target_archE1030ELNS1_3gpuE2ELNS1_3repE0EEENS1_30default_config_static_selectorELNS0_4arch9wavefront6targetE0EEEvT1_.num_agpr, 0
	.set _ZN7rocprim17ROCPRIM_400000_NS6detail17trampoline_kernelINS0_14default_configENS1_25partition_config_selectorILNS1_17partition_subalgoE5EfNS0_10empty_typeEbEEZZNS1_14partition_implILS5_5ELb0ES3_mN6thrust23THRUST_200600_302600_NS6detail15normal_iteratorINSA_10device_ptrIfEEEEPS6_NSA_18transform_iteratorINSB_9not_fun_tI7is_trueIfEEENSC_INSD_IbEEEENSA_11use_defaultESO_EENS0_5tupleIJNSA_16discard_iteratorISO_EES6_EEENSQ_IJSG_SG_EEES6_PlJS6_EEE10hipError_tPvRmT3_T4_T5_T6_T7_T9_mT8_P12ihipStream_tbDpT10_ENKUlT_T0_E_clISt17integral_constantIbLb1EES1E_IbLb0EEEEDaS1A_S1B_EUlS1A_E_NS1_11comp_targetILNS1_3genE8ELNS1_11target_archE1030ELNS1_3gpuE2ELNS1_3repE0EEENS1_30default_config_static_selectorELNS0_4arch9wavefront6targetE0EEEvT1_.numbered_sgpr, 0
	.set _ZN7rocprim17ROCPRIM_400000_NS6detail17trampoline_kernelINS0_14default_configENS1_25partition_config_selectorILNS1_17partition_subalgoE5EfNS0_10empty_typeEbEEZZNS1_14partition_implILS5_5ELb0ES3_mN6thrust23THRUST_200600_302600_NS6detail15normal_iteratorINSA_10device_ptrIfEEEEPS6_NSA_18transform_iteratorINSB_9not_fun_tI7is_trueIfEEENSC_INSD_IbEEEENSA_11use_defaultESO_EENS0_5tupleIJNSA_16discard_iteratorISO_EES6_EEENSQ_IJSG_SG_EEES6_PlJS6_EEE10hipError_tPvRmT3_T4_T5_T6_T7_T9_mT8_P12ihipStream_tbDpT10_ENKUlT_T0_E_clISt17integral_constantIbLb1EES1E_IbLb0EEEEDaS1A_S1B_EUlS1A_E_NS1_11comp_targetILNS1_3genE8ELNS1_11target_archE1030ELNS1_3gpuE2ELNS1_3repE0EEENS1_30default_config_static_selectorELNS0_4arch9wavefront6targetE0EEEvT1_.num_named_barrier, 0
	.set _ZN7rocprim17ROCPRIM_400000_NS6detail17trampoline_kernelINS0_14default_configENS1_25partition_config_selectorILNS1_17partition_subalgoE5EfNS0_10empty_typeEbEEZZNS1_14partition_implILS5_5ELb0ES3_mN6thrust23THRUST_200600_302600_NS6detail15normal_iteratorINSA_10device_ptrIfEEEEPS6_NSA_18transform_iteratorINSB_9not_fun_tI7is_trueIfEEENSC_INSD_IbEEEENSA_11use_defaultESO_EENS0_5tupleIJNSA_16discard_iteratorISO_EES6_EEENSQ_IJSG_SG_EEES6_PlJS6_EEE10hipError_tPvRmT3_T4_T5_T6_T7_T9_mT8_P12ihipStream_tbDpT10_ENKUlT_T0_E_clISt17integral_constantIbLb1EES1E_IbLb0EEEEDaS1A_S1B_EUlS1A_E_NS1_11comp_targetILNS1_3genE8ELNS1_11target_archE1030ELNS1_3gpuE2ELNS1_3repE0EEENS1_30default_config_static_selectorELNS0_4arch9wavefront6targetE0EEEvT1_.private_seg_size, 0
	.set _ZN7rocprim17ROCPRIM_400000_NS6detail17trampoline_kernelINS0_14default_configENS1_25partition_config_selectorILNS1_17partition_subalgoE5EfNS0_10empty_typeEbEEZZNS1_14partition_implILS5_5ELb0ES3_mN6thrust23THRUST_200600_302600_NS6detail15normal_iteratorINSA_10device_ptrIfEEEEPS6_NSA_18transform_iteratorINSB_9not_fun_tI7is_trueIfEEENSC_INSD_IbEEEENSA_11use_defaultESO_EENS0_5tupleIJNSA_16discard_iteratorISO_EES6_EEENSQ_IJSG_SG_EEES6_PlJS6_EEE10hipError_tPvRmT3_T4_T5_T6_T7_T9_mT8_P12ihipStream_tbDpT10_ENKUlT_T0_E_clISt17integral_constantIbLb1EES1E_IbLb0EEEEDaS1A_S1B_EUlS1A_E_NS1_11comp_targetILNS1_3genE8ELNS1_11target_archE1030ELNS1_3gpuE2ELNS1_3repE0EEENS1_30default_config_static_selectorELNS0_4arch9wavefront6targetE0EEEvT1_.uses_vcc, 0
	.set _ZN7rocprim17ROCPRIM_400000_NS6detail17trampoline_kernelINS0_14default_configENS1_25partition_config_selectorILNS1_17partition_subalgoE5EfNS0_10empty_typeEbEEZZNS1_14partition_implILS5_5ELb0ES3_mN6thrust23THRUST_200600_302600_NS6detail15normal_iteratorINSA_10device_ptrIfEEEEPS6_NSA_18transform_iteratorINSB_9not_fun_tI7is_trueIfEEENSC_INSD_IbEEEENSA_11use_defaultESO_EENS0_5tupleIJNSA_16discard_iteratorISO_EES6_EEENSQ_IJSG_SG_EEES6_PlJS6_EEE10hipError_tPvRmT3_T4_T5_T6_T7_T9_mT8_P12ihipStream_tbDpT10_ENKUlT_T0_E_clISt17integral_constantIbLb1EES1E_IbLb0EEEEDaS1A_S1B_EUlS1A_E_NS1_11comp_targetILNS1_3genE8ELNS1_11target_archE1030ELNS1_3gpuE2ELNS1_3repE0EEENS1_30default_config_static_selectorELNS0_4arch9wavefront6targetE0EEEvT1_.uses_flat_scratch, 0
	.set _ZN7rocprim17ROCPRIM_400000_NS6detail17trampoline_kernelINS0_14default_configENS1_25partition_config_selectorILNS1_17partition_subalgoE5EfNS0_10empty_typeEbEEZZNS1_14partition_implILS5_5ELb0ES3_mN6thrust23THRUST_200600_302600_NS6detail15normal_iteratorINSA_10device_ptrIfEEEEPS6_NSA_18transform_iteratorINSB_9not_fun_tI7is_trueIfEEENSC_INSD_IbEEEENSA_11use_defaultESO_EENS0_5tupleIJNSA_16discard_iteratorISO_EES6_EEENSQ_IJSG_SG_EEES6_PlJS6_EEE10hipError_tPvRmT3_T4_T5_T6_T7_T9_mT8_P12ihipStream_tbDpT10_ENKUlT_T0_E_clISt17integral_constantIbLb1EES1E_IbLb0EEEEDaS1A_S1B_EUlS1A_E_NS1_11comp_targetILNS1_3genE8ELNS1_11target_archE1030ELNS1_3gpuE2ELNS1_3repE0EEENS1_30default_config_static_selectorELNS0_4arch9wavefront6targetE0EEEvT1_.has_dyn_sized_stack, 0
	.set _ZN7rocprim17ROCPRIM_400000_NS6detail17trampoline_kernelINS0_14default_configENS1_25partition_config_selectorILNS1_17partition_subalgoE5EfNS0_10empty_typeEbEEZZNS1_14partition_implILS5_5ELb0ES3_mN6thrust23THRUST_200600_302600_NS6detail15normal_iteratorINSA_10device_ptrIfEEEEPS6_NSA_18transform_iteratorINSB_9not_fun_tI7is_trueIfEEENSC_INSD_IbEEEENSA_11use_defaultESO_EENS0_5tupleIJNSA_16discard_iteratorISO_EES6_EEENSQ_IJSG_SG_EEES6_PlJS6_EEE10hipError_tPvRmT3_T4_T5_T6_T7_T9_mT8_P12ihipStream_tbDpT10_ENKUlT_T0_E_clISt17integral_constantIbLb1EES1E_IbLb0EEEEDaS1A_S1B_EUlS1A_E_NS1_11comp_targetILNS1_3genE8ELNS1_11target_archE1030ELNS1_3gpuE2ELNS1_3repE0EEENS1_30default_config_static_selectorELNS0_4arch9wavefront6targetE0EEEvT1_.has_recursion, 0
	.set _ZN7rocprim17ROCPRIM_400000_NS6detail17trampoline_kernelINS0_14default_configENS1_25partition_config_selectorILNS1_17partition_subalgoE5EfNS0_10empty_typeEbEEZZNS1_14partition_implILS5_5ELb0ES3_mN6thrust23THRUST_200600_302600_NS6detail15normal_iteratorINSA_10device_ptrIfEEEEPS6_NSA_18transform_iteratorINSB_9not_fun_tI7is_trueIfEEENSC_INSD_IbEEEENSA_11use_defaultESO_EENS0_5tupleIJNSA_16discard_iteratorISO_EES6_EEENSQ_IJSG_SG_EEES6_PlJS6_EEE10hipError_tPvRmT3_T4_T5_T6_T7_T9_mT8_P12ihipStream_tbDpT10_ENKUlT_T0_E_clISt17integral_constantIbLb1EES1E_IbLb0EEEEDaS1A_S1B_EUlS1A_E_NS1_11comp_targetILNS1_3genE8ELNS1_11target_archE1030ELNS1_3gpuE2ELNS1_3repE0EEENS1_30default_config_static_selectorELNS0_4arch9wavefront6targetE0EEEvT1_.has_indirect_call, 0
	.section	.AMDGPU.csdata,"",@progbits
; Kernel info:
; codeLenInByte = 0
; TotalNumSgprs: 0
; NumVgprs: 0
; ScratchSize: 0
; MemoryBound: 0
; FloatMode: 240
; IeeeMode: 1
; LDSByteSize: 0 bytes/workgroup (compile time only)
; SGPRBlocks: 0
; VGPRBlocks: 0
; NumSGPRsForWavesPerEU: 1
; NumVGPRsForWavesPerEU: 1
; Occupancy: 16
; WaveLimiterHint : 0
; COMPUTE_PGM_RSRC2:SCRATCH_EN: 0
; COMPUTE_PGM_RSRC2:USER_SGPR: 2
; COMPUTE_PGM_RSRC2:TRAP_HANDLER: 0
; COMPUTE_PGM_RSRC2:TGID_X_EN: 1
; COMPUTE_PGM_RSRC2:TGID_Y_EN: 0
; COMPUTE_PGM_RSRC2:TGID_Z_EN: 0
; COMPUTE_PGM_RSRC2:TIDIG_COMP_CNT: 0
	.section	.text._ZN7rocprim17ROCPRIM_400000_NS6detail17trampoline_kernelINS0_14default_configENS1_25partition_config_selectorILNS1_17partition_subalgoE5EfNS0_10empty_typeEbEEZZNS1_14partition_implILS5_5ELb0ES3_mN6thrust23THRUST_200600_302600_NS6detail15normal_iteratorINSA_10device_ptrIfEEEEPS6_NSA_18transform_iteratorINSB_9not_fun_tI7is_trueIfEEENSC_INSD_IbEEEENSA_11use_defaultESO_EENS0_5tupleIJNSA_16discard_iteratorISO_EES6_EEENSQ_IJSG_SG_EEES6_PlJS6_EEE10hipError_tPvRmT3_T4_T5_T6_T7_T9_mT8_P12ihipStream_tbDpT10_ENKUlT_T0_E_clISt17integral_constantIbLb0EES1E_IbLb1EEEEDaS1A_S1B_EUlS1A_E_NS1_11comp_targetILNS1_3genE0ELNS1_11target_archE4294967295ELNS1_3gpuE0ELNS1_3repE0EEENS1_30default_config_static_selectorELNS0_4arch9wavefront6targetE0EEEvT1_,"axG",@progbits,_ZN7rocprim17ROCPRIM_400000_NS6detail17trampoline_kernelINS0_14default_configENS1_25partition_config_selectorILNS1_17partition_subalgoE5EfNS0_10empty_typeEbEEZZNS1_14partition_implILS5_5ELb0ES3_mN6thrust23THRUST_200600_302600_NS6detail15normal_iteratorINSA_10device_ptrIfEEEEPS6_NSA_18transform_iteratorINSB_9not_fun_tI7is_trueIfEEENSC_INSD_IbEEEENSA_11use_defaultESO_EENS0_5tupleIJNSA_16discard_iteratorISO_EES6_EEENSQ_IJSG_SG_EEES6_PlJS6_EEE10hipError_tPvRmT3_T4_T5_T6_T7_T9_mT8_P12ihipStream_tbDpT10_ENKUlT_T0_E_clISt17integral_constantIbLb0EES1E_IbLb1EEEEDaS1A_S1B_EUlS1A_E_NS1_11comp_targetILNS1_3genE0ELNS1_11target_archE4294967295ELNS1_3gpuE0ELNS1_3repE0EEENS1_30default_config_static_selectorELNS0_4arch9wavefront6targetE0EEEvT1_,comdat
	.protected	_ZN7rocprim17ROCPRIM_400000_NS6detail17trampoline_kernelINS0_14default_configENS1_25partition_config_selectorILNS1_17partition_subalgoE5EfNS0_10empty_typeEbEEZZNS1_14partition_implILS5_5ELb0ES3_mN6thrust23THRUST_200600_302600_NS6detail15normal_iteratorINSA_10device_ptrIfEEEEPS6_NSA_18transform_iteratorINSB_9not_fun_tI7is_trueIfEEENSC_INSD_IbEEEENSA_11use_defaultESO_EENS0_5tupleIJNSA_16discard_iteratorISO_EES6_EEENSQ_IJSG_SG_EEES6_PlJS6_EEE10hipError_tPvRmT3_T4_T5_T6_T7_T9_mT8_P12ihipStream_tbDpT10_ENKUlT_T0_E_clISt17integral_constantIbLb0EES1E_IbLb1EEEEDaS1A_S1B_EUlS1A_E_NS1_11comp_targetILNS1_3genE0ELNS1_11target_archE4294967295ELNS1_3gpuE0ELNS1_3repE0EEENS1_30default_config_static_selectorELNS0_4arch9wavefront6targetE0EEEvT1_ ; -- Begin function _ZN7rocprim17ROCPRIM_400000_NS6detail17trampoline_kernelINS0_14default_configENS1_25partition_config_selectorILNS1_17partition_subalgoE5EfNS0_10empty_typeEbEEZZNS1_14partition_implILS5_5ELb0ES3_mN6thrust23THRUST_200600_302600_NS6detail15normal_iteratorINSA_10device_ptrIfEEEEPS6_NSA_18transform_iteratorINSB_9not_fun_tI7is_trueIfEEENSC_INSD_IbEEEENSA_11use_defaultESO_EENS0_5tupleIJNSA_16discard_iteratorISO_EES6_EEENSQ_IJSG_SG_EEES6_PlJS6_EEE10hipError_tPvRmT3_T4_T5_T6_T7_T9_mT8_P12ihipStream_tbDpT10_ENKUlT_T0_E_clISt17integral_constantIbLb0EES1E_IbLb1EEEEDaS1A_S1B_EUlS1A_E_NS1_11comp_targetILNS1_3genE0ELNS1_11target_archE4294967295ELNS1_3gpuE0ELNS1_3repE0EEENS1_30default_config_static_selectorELNS0_4arch9wavefront6targetE0EEEvT1_
	.globl	_ZN7rocprim17ROCPRIM_400000_NS6detail17trampoline_kernelINS0_14default_configENS1_25partition_config_selectorILNS1_17partition_subalgoE5EfNS0_10empty_typeEbEEZZNS1_14partition_implILS5_5ELb0ES3_mN6thrust23THRUST_200600_302600_NS6detail15normal_iteratorINSA_10device_ptrIfEEEEPS6_NSA_18transform_iteratorINSB_9not_fun_tI7is_trueIfEEENSC_INSD_IbEEEENSA_11use_defaultESO_EENS0_5tupleIJNSA_16discard_iteratorISO_EES6_EEENSQ_IJSG_SG_EEES6_PlJS6_EEE10hipError_tPvRmT3_T4_T5_T6_T7_T9_mT8_P12ihipStream_tbDpT10_ENKUlT_T0_E_clISt17integral_constantIbLb0EES1E_IbLb1EEEEDaS1A_S1B_EUlS1A_E_NS1_11comp_targetILNS1_3genE0ELNS1_11target_archE4294967295ELNS1_3gpuE0ELNS1_3repE0EEENS1_30default_config_static_selectorELNS0_4arch9wavefront6targetE0EEEvT1_
	.p2align	8
	.type	_ZN7rocprim17ROCPRIM_400000_NS6detail17trampoline_kernelINS0_14default_configENS1_25partition_config_selectorILNS1_17partition_subalgoE5EfNS0_10empty_typeEbEEZZNS1_14partition_implILS5_5ELb0ES3_mN6thrust23THRUST_200600_302600_NS6detail15normal_iteratorINSA_10device_ptrIfEEEEPS6_NSA_18transform_iteratorINSB_9not_fun_tI7is_trueIfEEENSC_INSD_IbEEEENSA_11use_defaultESO_EENS0_5tupleIJNSA_16discard_iteratorISO_EES6_EEENSQ_IJSG_SG_EEES6_PlJS6_EEE10hipError_tPvRmT3_T4_T5_T6_T7_T9_mT8_P12ihipStream_tbDpT10_ENKUlT_T0_E_clISt17integral_constantIbLb0EES1E_IbLb1EEEEDaS1A_S1B_EUlS1A_E_NS1_11comp_targetILNS1_3genE0ELNS1_11target_archE4294967295ELNS1_3gpuE0ELNS1_3repE0EEENS1_30default_config_static_selectorELNS0_4arch9wavefront6targetE0EEEvT1_,@function
_ZN7rocprim17ROCPRIM_400000_NS6detail17trampoline_kernelINS0_14default_configENS1_25partition_config_selectorILNS1_17partition_subalgoE5EfNS0_10empty_typeEbEEZZNS1_14partition_implILS5_5ELb0ES3_mN6thrust23THRUST_200600_302600_NS6detail15normal_iteratorINSA_10device_ptrIfEEEEPS6_NSA_18transform_iteratorINSB_9not_fun_tI7is_trueIfEEENSC_INSD_IbEEEENSA_11use_defaultESO_EENS0_5tupleIJNSA_16discard_iteratorISO_EES6_EEENSQ_IJSG_SG_EEES6_PlJS6_EEE10hipError_tPvRmT3_T4_T5_T6_T7_T9_mT8_P12ihipStream_tbDpT10_ENKUlT_T0_E_clISt17integral_constantIbLb0EES1E_IbLb1EEEEDaS1A_S1B_EUlS1A_E_NS1_11comp_targetILNS1_3genE0ELNS1_11target_archE4294967295ELNS1_3gpuE0ELNS1_3repE0EEENS1_30default_config_static_selectorELNS0_4arch9wavefront6targetE0EEEvT1_: ; @_ZN7rocprim17ROCPRIM_400000_NS6detail17trampoline_kernelINS0_14default_configENS1_25partition_config_selectorILNS1_17partition_subalgoE5EfNS0_10empty_typeEbEEZZNS1_14partition_implILS5_5ELb0ES3_mN6thrust23THRUST_200600_302600_NS6detail15normal_iteratorINSA_10device_ptrIfEEEEPS6_NSA_18transform_iteratorINSB_9not_fun_tI7is_trueIfEEENSC_INSD_IbEEEENSA_11use_defaultESO_EENS0_5tupleIJNSA_16discard_iteratorISO_EES6_EEENSQ_IJSG_SG_EEES6_PlJS6_EEE10hipError_tPvRmT3_T4_T5_T6_T7_T9_mT8_P12ihipStream_tbDpT10_ENKUlT_T0_E_clISt17integral_constantIbLb0EES1E_IbLb1EEEEDaS1A_S1B_EUlS1A_E_NS1_11comp_targetILNS1_3genE0ELNS1_11target_archE4294967295ELNS1_3gpuE0ELNS1_3repE0EEENS1_30default_config_static_selectorELNS0_4arch9wavefront6targetE0EEEvT1_
; %bb.0:
	.section	.rodata,"a",@progbits
	.p2align	6, 0x0
	.amdhsa_kernel _ZN7rocprim17ROCPRIM_400000_NS6detail17trampoline_kernelINS0_14default_configENS1_25partition_config_selectorILNS1_17partition_subalgoE5EfNS0_10empty_typeEbEEZZNS1_14partition_implILS5_5ELb0ES3_mN6thrust23THRUST_200600_302600_NS6detail15normal_iteratorINSA_10device_ptrIfEEEEPS6_NSA_18transform_iteratorINSB_9not_fun_tI7is_trueIfEEENSC_INSD_IbEEEENSA_11use_defaultESO_EENS0_5tupleIJNSA_16discard_iteratorISO_EES6_EEENSQ_IJSG_SG_EEES6_PlJS6_EEE10hipError_tPvRmT3_T4_T5_T6_T7_T9_mT8_P12ihipStream_tbDpT10_ENKUlT_T0_E_clISt17integral_constantIbLb0EES1E_IbLb1EEEEDaS1A_S1B_EUlS1A_E_NS1_11comp_targetILNS1_3genE0ELNS1_11target_archE4294967295ELNS1_3gpuE0ELNS1_3repE0EEENS1_30default_config_static_selectorELNS0_4arch9wavefront6targetE0EEEvT1_
		.amdhsa_group_segment_fixed_size 0
		.amdhsa_private_segment_fixed_size 0
		.amdhsa_kernarg_size 144
		.amdhsa_user_sgpr_count 2
		.amdhsa_user_sgpr_dispatch_ptr 0
		.amdhsa_user_sgpr_queue_ptr 0
		.amdhsa_user_sgpr_kernarg_segment_ptr 1
		.amdhsa_user_sgpr_dispatch_id 0
		.amdhsa_user_sgpr_private_segment_size 0
		.amdhsa_wavefront_size32 1
		.amdhsa_uses_dynamic_stack 0
		.amdhsa_enable_private_segment 0
		.amdhsa_system_sgpr_workgroup_id_x 1
		.amdhsa_system_sgpr_workgroup_id_y 0
		.amdhsa_system_sgpr_workgroup_id_z 0
		.amdhsa_system_sgpr_workgroup_info 0
		.amdhsa_system_vgpr_workitem_id 0
		.amdhsa_next_free_vgpr 1
		.amdhsa_next_free_sgpr 1
		.amdhsa_reserve_vcc 0
		.amdhsa_float_round_mode_32 0
		.amdhsa_float_round_mode_16_64 0
		.amdhsa_float_denorm_mode_32 3
		.amdhsa_float_denorm_mode_16_64 3
		.amdhsa_fp16_overflow 0
		.amdhsa_workgroup_processor_mode 1
		.amdhsa_memory_ordered 1
		.amdhsa_forward_progress 1
		.amdhsa_inst_pref_size 0
		.amdhsa_round_robin_scheduling 0
		.amdhsa_exception_fp_ieee_invalid_op 0
		.amdhsa_exception_fp_denorm_src 0
		.amdhsa_exception_fp_ieee_div_zero 0
		.amdhsa_exception_fp_ieee_overflow 0
		.amdhsa_exception_fp_ieee_underflow 0
		.amdhsa_exception_fp_ieee_inexact 0
		.amdhsa_exception_int_div_zero 0
	.end_amdhsa_kernel
	.section	.text._ZN7rocprim17ROCPRIM_400000_NS6detail17trampoline_kernelINS0_14default_configENS1_25partition_config_selectorILNS1_17partition_subalgoE5EfNS0_10empty_typeEbEEZZNS1_14partition_implILS5_5ELb0ES3_mN6thrust23THRUST_200600_302600_NS6detail15normal_iteratorINSA_10device_ptrIfEEEEPS6_NSA_18transform_iteratorINSB_9not_fun_tI7is_trueIfEEENSC_INSD_IbEEEENSA_11use_defaultESO_EENS0_5tupleIJNSA_16discard_iteratorISO_EES6_EEENSQ_IJSG_SG_EEES6_PlJS6_EEE10hipError_tPvRmT3_T4_T5_T6_T7_T9_mT8_P12ihipStream_tbDpT10_ENKUlT_T0_E_clISt17integral_constantIbLb0EES1E_IbLb1EEEEDaS1A_S1B_EUlS1A_E_NS1_11comp_targetILNS1_3genE0ELNS1_11target_archE4294967295ELNS1_3gpuE0ELNS1_3repE0EEENS1_30default_config_static_selectorELNS0_4arch9wavefront6targetE0EEEvT1_,"axG",@progbits,_ZN7rocprim17ROCPRIM_400000_NS6detail17trampoline_kernelINS0_14default_configENS1_25partition_config_selectorILNS1_17partition_subalgoE5EfNS0_10empty_typeEbEEZZNS1_14partition_implILS5_5ELb0ES3_mN6thrust23THRUST_200600_302600_NS6detail15normal_iteratorINSA_10device_ptrIfEEEEPS6_NSA_18transform_iteratorINSB_9not_fun_tI7is_trueIfEEENSC_INSD_IbEEEENSA_11use_defaultESO_EENS0_5tupleIJNSA_16discard_iteratorISO_EES6_EEENSQ_IJSG_SG_EEES6_PlJS6_EEE10hipError_tPvRmT3_T4_T5_T6_T7_T9_mT8_P12ihipStream_tbDpT10_ENKUlT_T0_E_clISt17integral_constantIbLb0EES1E_IbLb1EEEEDaS1A_S1B_EUlS1A_E_NS1_11comp_targetILNS1_3genE0ELNS1_11target_archE4294967295ELNS1_3gpuE0ELNS1_3repE0EEENS1_30default_config_static_selectorELNS0_4arch9wavefront6targetE0EEEvT1_,comdat
.Lfunc_end2645:
	.size	_ZN7rocprim17ROCPRIM_400000_NS6detail17trampoline_kernelINS0_14default_configENS1_25partition_config_selectorILNS1_17partition_subalgoE5EfNS0_10empty_typeEbEEZZNS1_14partition_implILS5_5ELb0ES3_mN6thrust23THRUST_200600_302600_NS6detail15normal_iteratorINSA_10device_ptrIfEEEEPS6_NSA_18transform_iteratorINSB_9not_fun_tI7is_trueIfEEENSC_INSD_IbEEEENSA_11use_defaultESO_EENS0_5tupleIJNSA_16discard_iteratorISO_EES6_EEENSQ_IJSG_SG_EEES6_PlJS6_EEE10hipError_tPvRmT3_T4_T5_T6_T7_T9_mT8_P12ihipStream_tbDpT10_ENKUlT_T0_E_clISt17integral_constantIbLb0EES1E_IbLb1EEEEDaS1A_S1B_EUlS1A_E_NS1_11comp_targetILNS1_3genE0ELNS1_11target_archE4294967295ELNS1_3gpuE0ELNS1_3repE0EEENS1_30default_config_static_selectorELNS0_4arch9wavefront6targetE0EEEvT1_, .Lfunc_end2645-_ZN7rocprim17ROCPRIM_400000_NS6detail17trampoline_kernelINS0_14default_configENS1_25partition_config_selectorILNS1_17partition_subalgoE5EfNS0_10empty_typeEbEEZZNS1_14partition_implILS5_5ELb0ES3_mN6thrust23THRUST_200600_302600_NS6detail15normal_iteratorINSA_10device_ptrIfEEEEPS6_NSA_18transform_iteratorINSB_9not_fun_tI7is_trueIfEEENSC_INSD_IbEEEENSA_11use_defaultESO_EENS0_5tupleIJNSA_16discard_iteratorISO_EES6_EEENSQ_IJSG_SG_EEES6_PlJS6_EEE10hipError_tPvRmT3_T4_T5_T6_T7_T9_mT8_P12ihipStream_tbDpT10_ENKUlT_T0_E_clISt17integral_constantIbLb0EES1E_IbLb1EEEEDaS1A_S1B_EUlS1A_E_NS1_11comp_targetILNS1_3genE0ELNS1_11target_archE4294967295ELNS1_3gpuE0ELNS1_3repE0EEENS1_30default_config_static_selectorELNS0_4arch9wavefront6targetE0EEEvT1_
                                        ; -- End function
	.set _ZN7rocprim17ROCPRIM_400000_NS6detail17trampoline_kernelINS0_14default_configENS1_25partition_config_selectorILNS1_17partition_subalgoE5EfNS0_10empty_typeEbEEZZNS1_14partition_implILS5_5ELb0ES3_mN6thrust23THRUST_200600_302600_NS6detail15normal_iteratorINSA_10device_ptrIfEEEEPS6_NSA_18transform_iteratorINSB_9not_fun_tI7is_trueIfEEENSC_INSD_IbEEEENSA_11use_defaultESO_EENS0_5tupleIJNSA_16discard_iteratorISO_EES6_EEENSQ_IJSG_SG_EEES6_PlJS6_EEE10hipError_tPvRmT3_T4_T5_T6_T7_T9_mT8_P12ihipStream_tbDpT10_ENKUlT_T0_E_clISt17integral_constantIbLb0EES1E_IbLb1EEEEDaS1A_S1B_EUlS1A_E_NS1_11comp_targetILNS1_3genE0ELNS1_11target_archE4294967295ELNS1_3gpuE0ELNS1_3repE0EEENS1_30default_config_static_selectorELNS0_4arch9wavefront6targetE0EEEvT1_.num_vgpr, 0
	.set _ZN7rocprim17ROCPRIM_400000_NS6detail17trampoline_kernelINS0_14default_configENS1_25partition_config_selectorILNS1_17partition_subalgoE5EfNS0_10empty_typeEbEEZZNS1_14partition_implILS5_5ELb0ES3_mN6thrust23THRUST_200600_302600_NS6detail15normal_iteratorINSA_10device_ptrIfEEEEPS6_NSA_18transform_iteratorINSB_9not_fun_tI7is_trueIfEEENSC_INSD_IbEEEENSA_11use_defaultESO_EENS0_5tupleIJNSA_16discard_iteratorISO_EES6_EEENSQ_IJSG_SG_EEES6_PlJS6_EEE10hipError_tPvRmT3_T4_T5_T6_T7_T9_mT8_P12ihipStream_tbDpT10_ENKUlT_T0_E_clISt17integral_constantIbLb0EES1E_IbLb1EEEEDaS1A_S1B_EUlS1A_E_NS1_11comp_targetILNS1_3genE0ELNS1_11target_archE4294967295ELNS1_3gpuE0ELNS1_3repE0EEENS1_30default_config_static_selectorELNS0_4arch9wavefront6targetE0EEEvT1_.num_agpr, 0
	.set _ZN7rocprim17ROCPRIM_400000_NS6detail17trampoline_kernelINS0_14default_configENS1_25partition_config_selectorILNS1_17partition_subalgoE5EfNS0_10empty_typeEbEEZZNS1_14partition_implILS5_5ELb0ES3_mN6thrust23THRUST_200600_302600_NS6detail15normal_iteratorINSA_10device_ptrIfEEEEPS6_NSA_18transform_iteratorINSB_9not_fun_tI7is_trueIfEEENSC_INSD_IbEEEENSA_11use_defaultESO_EENS0_5tupleIJNSA_16discard_iteratorISO_EES6_EEENSQ_IJSG_SG_EEES6_PlJS6_EEE10hipError_tPvRmT3_T4_T5_T6_T7_T9_mT8_P12ihipStream_tbDpT10_ENKUlT_T0_E_clISt17integral_constantIbLb0EES1E_IbLb1EEEEDaS1A_S1B_EUlS1A_E_NS1_11comp_targetILNS1_3genE0ELNS1_11target_archE4294967295ELNS1_3gpuE0ELNS1_3repE0EEENS1_30default_config_static_selectorELNS0_4arch9wavefront6targetE0EEEvT1_.numbered_sgpr, 0
	.set _ZN7rocprim17ROCPRIM_400000_NS6detail17trampoline_kernelINS0_14default_configENS1_25partition_config_selectorILNS1_17partition_subalgoE5EfNS0_10empty_typeEbEEZZNS1_14partition_implILS5_5ELb0ES3_mN6thrust23THRUST_200600_302600_NS6detail15normal_iteratorINSA_10device_ptrIfEEEEPS6_NSA_18transform_iteratorINSB_9not_fun_tI7is_trueIfEEENSC_INSD_IbEEEENSA_11use_defaultESO_EENS0_5tupleIJNSA_16discard_iteratorISO_EES6_EEENSQ_IJSG_SG_EEES6_PlJS6_EEE10hipError_tPvRmT3_T4_T5_T6_T7_T9_mT8_P12ihipStream_tbDpT10_ENKUlT_T0_E_clISt17integral_constantIbLb0EES1E_IbLb1EEEEDaS1A_S1B_EUlS1A_E_NS1_11comp_targetILNS1_3genE0ELNS1_11target_archE4294967295ELNS1_3gpuE0ELNS1_3repE0EEENS1_30default_config_static_selectorELNS0_4arch9wavefront6targetE0EEEvT1_.num_named_barrier, 0
	.set _ZN7rocprim17ROCPRIM_400000_NS6detail17trampoline_kernelINS0_14default_configENS1_25partition_config_selectorILNS1_17partition_subalgoE5EfNS0_10empty_typeEbEEZZNS1_14partition_implILS5_5ELb0ES3_mN6thrust23THRUST_200600_302600_NS6detail15normal_iteratorINSA_10device_ptrIfEEEEPS6_NSA_18transform_iteratorINSB_9not_fun_tI7is_trueIfEEENSC_INSD_IbEEEENSA_11use_defaultESO_EENS0_5tupleIJNSA_16discard_iteratorISO_EES6_EEENSQ_IJSG_SG_EEES6_PlJS6_EEE10hipError_tPvRmT3_T4_T5_T6_T7_T9_mT8_P12ihipStream_tbDpT10_ENKUlT_T0_E_clISt17integral_constantIbLb0EES1E_IbLb1EEEEDaS1A_S1B_EUlS1A_E_NS1_11comp_targetILNS1_3genE0ELNS1_11target_archE4294967295ELNS1_3gpuE0ELNS1_3repE0EEENS1_30default_config_static_selectorELNS0_4arch9wavefront6targetE0EEEvT1_.private_seg_size, 0
	.set _ZN7rocprim17ROCPRIM_400000_NS6detail17trampoline_kernelINS0_14default_configENS1_25partition_config_selectorILNS1_17partition_subalgoE5EfNS0_10empty_typeEbEEZZNS1_14partition_implILS5_5ELb0ES3_mN6thrust23THRUST_200600_302600_NS6detail15normal_iteratorINSA_10device_ptrIfEEEEPS6_NSA_18transform_iteratorINSB_9not_fun_tI7is_trueIfEEENSC_INSD_IbEEEENSA_11use_defaultESO_EENS0_5tupleIJNSA_16discard_iteratorISO_EES6_EEENSQ_IJSG_SG_EEES6_PlJS6_EEE10hipError_tPvRmT3_T4_T5_T6_T7_T9_mT8_P12ihipStream_tbDpT10_ENKUlT_T0_E_clISt17integral_constantIbLb0EES1E_IbLb1EEEEDaS1A_S1B_EUlS1A_E_NS1_11comp_targetILNS1_3genE0ELNS1_11target_archE4294967295ELNS1_3gpuE0ELNS1_3repE0EEENS1_30default_config_static_selectorELNS0_4arch9wavefront6targetE0EEEvT1_.uses_vcc, 0
	.set _ZN7rocprim17ROCPRIM_400000_NS6detail17trampoline_kernelINS0_14default_configENS1_25partition_config_selectorILNS1_17partition_subalgoE5EfNS0_10empty_typeEbEEZZNS1_14partition_implILS5_5ELb0ES3_mN6thrust23THRUST_200600_302600_NS6detail15normal_iteratorINSA_10device_ptrIfEEEEPS6_NSA_18transform_iteratorINSB_9not_fun_tI7is_trueIfEEENSC_INSD_IbEEEENSA_11use_defaultESO_EENS0_5tupleIJNSA_16discard_iteratorISO_EES6_EEENSQ_IJSG_SG_EEES6_PlJS6_EEE10hipError_tPvRmT3_T4_T5_T6_T7_T9_mT8_P12ihipStream_tbDpT10_ENKUlT_T0_E_clISt17integral_constantIbLb0EES1E_IbLb1EEEEDaS1A_S1B_EUlS1A_E_NS1_11comp_targetILNS1_3genE0ELNS1_11target_archE4294967295ELNS1_3gpuE0ELNS1_3repE0EEENS1_30default_config_static_selectorELNS0_4arch9wavefront6targetE0EEEvT1_.uses_flat_scratch, 0
	.set _ZN7rocprim17ROCPRIM_400000_NS6detail17trampoline_kernelINS0_14default_configENS1_25partition_config_selectorILNS1_17partition_subalgoE5EfNS0_10empty_typeEbEEZZNS1_14partition_implILS5_5ELb0ES3_mN6thrust23THRUST_200600_302600_NS6detail15normal_iteratorINSA_10device_ptrIfEEEEPS6_NSA_18transform_iteratorINSB_9not_fun_tI7is_trueIfEEENSC_INSD_IbEEEENSA_11use_defaultESO_EENS0_5tupleIJNSA_16discard_iteratorISO_EES6_EEENSQ_IJSG_SG_EEES6_PlJS6_EEE10hipError_tPvRmT3_T4_T5_T6_T7_T9_mT8_P12ihipStream_tbDpT10_ENKUlT_T0_E_clISt17integral_constantIbLb0EES1E_IbLb1EEEEDaS1A_S1B_EUlS1A_E_NS1_11comp_targetILNS1_3genE0ELNS1_11target_archE4294967295ELNS1_3gpuE0ELNS1_3repE0EEENS1_30default_config_static_selectorELNS0_4arch9wavefront6targetE0EEEvT1_.has_dyn_sized_stack, 0
	.set _ZN7rocprim17ROCPRIM_400000_NS6detail17trampoline_kernelINS0_14default_configENS1_25partition_config_selectorILNS1_17partition_subalgoE5EfNS0_10empty_typeEbEEZZNS1_14partition_implILS5_5ELb0ES3_mN6thrust23THRUST_200600_302600_NS6detail15normal_iteratorINSA_10device_ptrIfEEEEPS6_NSA_18transform_iteratorINSB_9not_fun_tI7is_trueIfEEENSC_INSD_IbEEEENSA_11use_defaultESO_EENS0_5tupleIJNSA_16discard_iteratorISO_EES6_EEENSQ_IJSG_SG_EEES6_PlJS6_EEE10hipError_tPvRmT3_T4_T5_T6_T7_T9_mT8_P12ihipStream_tbDpT10_ENKUlT_T0_E_clISt17integral_constantIbLb0EES1E_IbLb1EEEEDaS1A_S1B_EUlS1A_E_NS1_11comp_targetILNS1_3genE0ELNS1_11target_archE4294967295ELNS1_3gpuE0ELNS1_3repE0EEENS1_30default_config_static_selectorELNS0_4arch9wavefront6targetE0EEEvT1_.has_recursion, 0
	.set _ZN7rocprim17ROCPRIM_400000_NS6detail17trampoline_kernelINS0_14default_configENS1_25partition_config_selectorILNS1_17partition_subalgoE5EfNS0_10empty_typeEbEEZZNS1_14partition_implILS5_5ELb0ES3_mN6thrust23THRUST_200600_302600_NS6detail15normal_iteratorINSA_10device_ptrIfEEEEPS6_NSA_18transform_iteratorINSB_9not_fun_tI7is_trueIfEEENSC_INSD_IbEEEENSA_11use_defaultESO_EENS0_5tupleIJNSA_16discard_iteratorISO_EES6_EEENSQ_IJSG_SG_EEES6_PlJS6_EEE10hipError_tPvRmT3_T4_T5_T6_T7_T9_mT8_P12ihipStream_tbDpT10_ENKUlT_T0_E_clISt17integral_constantIbLb0EES1E_IbLb1EEEEDaS1A_S1B_EUlS1A_E_NS1_11comp_targetILNS1_3genE0ELNS1_11target_archE4294967295ELNS1_3gpuE0ELNS1_3repE0EEENS1_30default_config_static_selectorELNS0_4arch9wavefront6targetE0EEEvT1_.has_indirect_call, 0
	.section	.AMDGPU.csdata,"",@progbits
; Kernel info:
; codeLenInByte = 0
; TotalNumSgprs: 0
; NumVgprs: 0
; ScratchSize: 0
; MemoryBound: 0
; FloatMode: 240
; IeeeMode: 1
; LDSByteSize: 0 bytes/workgroup (compile time only)
; SGPRBlocks: 0
; VGPRBlocks: 0
; NumSGPRsForWavesPerEU: 1
; NumVGPRsForWavesPerEU: 1
; Occupancy: 16
; WaveLimiterHint : 0
; COMPUTE_PGM_RSRC2:SCRATCH_EN: 0
; COMPUTE_PGM_RSRC2:USER_SGPR: 2
; COMPUTE_PGM_RSRC2:TRAP_HANDLER: 0
; COMPUTE_PGM_RSRC2:TGID_X_EN: 1
; COMPUTE_PGM_RSRC2:TGID_Y_EN: 0
; COMPUTE_PGM_RSRC2:TGID_Z_EN: 0
; COMPUTE_PGM_RSRC2:TIDIG_COMP_CNT: 0
	.section	.text._ZN7rocprim17ROCPRIM_400000_NS6detail17trampoline_kernelINS0_14default_configENS1_25partition_config_selectorILNS1_17partition_subalgoE5EfNS0_10empty_typeEbEEZZNS1_14partition_implILS5_5ELb0ES3_mN6thrust23THRUST_200600_302600_NS6detail15normal_iteratorINSA_10device_ptrIfEEEEPS6_NSA_18transform_iteratorINSB_9not_fun_tI7is_trueIfEEENSC_INSD_IbEEEENSA_11use_defaultESO_EENS0_5tupleIJNSA_16discard_iteratorISO_EES6_EEENSQ_IJSG_SG_EEES6_PlJS6_EEE10hipError_tPvRmT3_T4_T5_T6_T7_T9_mT8_P12ihipStream_tbDpT10_ENKUlT_T0_E_clISt17integral_constantIbLb0EES1E_IbLb1EEEEDaS1A_S1B_EUlS1A_E_NS1_11comp_targetILNS1_3genE5ELNS1_11target_archE942ELNS1_3gpuE9ELNS1_3repE0EEENS1_30default_config_static_selectorELNS0_4arch9wavefront6targetE0EEEvT1_,"axG",@progbits,_ZN7rocprim17ROCPRIM_400000_NS6detail17trampoline_kernelINS0_14default_configENS1_25partition_config_selectorILNS1_17partition_subalgoE5EfNS0_10empty_typeEbEEZZNS1_14partition_implILS5_5ELb0ES3_mN6thrust23THRUST_200600_302600_NS6detail15normal_iteratorINSA_10device_ptrIfEEEEPS6_NSA_18transform_iteratorINSB_9not_fun_tI7is_trueIfEEENSC_INSD_IbEEEENSA_11use_defaultESO_EENS0_5tupleIJNSA_16discard_iteratorISO_EES6_EEENSQ_IJSG_SG_EEES6_PlJS6_EEE10hipError_tPvRmT3_T4_T5_T6_T7_T9_mT8_P12ihipStream_tbDpT10_ENKUlT_T0_E_clISt17integral_constantIbLb0EES1E_IbLb1EEEEDaS1A_S1B_EUlS1A_E_NS1_11comp_targetILNS1_3genE5ELNS1_11target_archE942ELNS1_3gpuE9ELNS1_3repE0EEENS1_30default_config_static_selectorELNS0_4arch9wavefront6targetE0EEEvT1_,comdat
	.protected	_ZN7rocprim17ROCPRIM_400000_NS6detail17trampoline_kernelINS0_14default_configENS1_25partition_config_selectorILNS1_17partition_subalgoE5EfNS0_10empty_typeEbEEZZNS1_14partition_implILS5_5ELb0ES3_mN6thrust23THRUST_200600_302600_NS6detail15normal_iteratorINSA_10device_ptrIfEEEEPS6_NSA_18transform_iteratorINSB_9not_fun_tI7is_trueIfEEENSC_INSD_IbEEEENSA_11use_defaultESO_EENS0_5tupleIJNSA_16discard_iteratorISO_EES6_EEENSQ_IJSG_SG_EEES6_PlJS6_EEE10hipError_tPvRmT3_T4_T5_T6_T7_T9_mT8_P12ihipStream_tbDpT10_ENKUlT_T0_E_clISt17integral_constantIbLb0EES1E_IbLb1EEEEDaS1A_S1B_EUlS1A_E_NS1_11comp_targetILNS1_3genE5ELNS1_11target_archE942ELNS1_3gpuE9ELNS1_3repE0EEENS1_30default_config_static_selectorELNS0_4arch9wavefront6targetE0EEEvT1_ ; -- Begin function _ZN7rocprim17ROCPRIM_400000_NS6detail17trampoline_kernelINS0_14default_configENS1_25partition_config_selectorILNS1_17partition_subalgoE5EfNS0_10empty_typeEbEEZZNS1_14partition_implILS5_5ELb0ES3_mN6thrust23THRUST_200600_302600_NS6detail15normal_iteratorINSA_10device_ptrIfEEEEPS6_NSA_18transform_iteratorINSB_9not_fun_tI7is_trueIfEEENSC_INSD_IbEEEENSA_11use_defaultESO_EENS0_5tupleIJNSA_16discard_iteratorISO_EES6_EEENSQ_IJSG_SG_EEES6_PlJS6_EEE10hipError_tPvRmT3_T4_T5_T6_T7_T9_mT8_P12ihipStream_tbDpT10_ENKUlT_T0_E_clISt17integral_constantIbLb0EES1E_IbLb1EEEEDaS1A_S1B_EUlS1A_E_NS1_11comp_targetILNS1_3genE5ELNS1_11target_archE942ELNS1_3gpuE9ELNS1_3repE0EEENS1_30default_config_static_selectorELNS0_4arch9wavefront6targetE0EEEvT1_
	.globl	_ZN7rocprim17ROCPRIM_400000_NS6detail17trampoline_kernelINS0_14default_configENS1_25partition_config_selectorILNS1_17partition_subalgoE5EfNS0_10empty_typeEbEEZZNS1_14partition_implILS5_5ELb0ES3_mN6thrust23THRUST_200600_302600_NS6detail15normal_iteratorINSA_10device_ptrIfEEEEPS6_NSA_18transform_iteratorINSB_9not_fun_tI7is_trueIfEEENSC_INSD_IbEEEENSA_11use_defaultESO_EENS0_5tupleIJNSA_16discard_iteratorISO_EES6_EEENSQ_IJSG_SG_EEES6_PlJS6_EEE10hipError_tPvRmT3_T4_T5_T6_T7_T9_mT8_P12ihipStream_tbDpT10_ENKUlT_T0_E_clISt17integral_constantIbLb0EES1E_IbLb1EEEEDaS1A_S1B_EUlS1A_E_NS1_11comp_targetILNS1_3genE5ELNS1_11target_archE942ELNS1_3gpuE9ELNS1_3repE0EEENS1_30default_config_static_selectorELNS0_4arch9wavefront6targetE0EEEvT1_
	.p2align	8
	.type	_ZN7rocprim17ROCPRIM_400000_NS6detail17trampoline_kernelINS0_14default_configENS1_25partition_config_selectorILNS1_17partition_subalgoE5EfNS0_10empty_typeEbEEZZNS1_14partition_implILS5_5ELb0ES3_mN6thrust23THRUST_200600_302600_NS6detail15normal_iteratorINSA_10device_ptrIfEEEEPS6_NSA_18transform_iteratorINSB_9not_fun_tI7is_trueIfEEENSC_INSD_IbEEEENSA_11use_defaultESO_EENS0_5tupleIJNSA_16discard_iteratorISO_EES6_EEENSQ_IJSG_SG_EEES6_PlJS6_EEE10hipError_tPvRmT3_T4_T5_T6_T7_T9_mT8_P12ihipStream_tbDpT10_ENKUlT_T0_E_clISt17integral_constantIbLb0EES1E_IbLb1EEEEDaS1A_S1B_EUlS1A_E_NS1_11comp_targetILNS1_3genE5ELNS1_11target_archE942ELNS1_3gpuE9ELNS1_3repE0EEENS1_30default_config_static_selectorELNS0_4arch9wavefront6targetE0EEEvT1_,@function
_ZN7rocprim17ROCPRIM_400000_NS6detail17trampoline_kernelINS0_14default_configENS1_25partition_config_selectorILNS1_17partition_subalgoE5EfNS0_10empty_typeEbEEZZNS1_14partition_implILS5_5ELb0ES3_mN6thrust23THRUST_200600_302600_NS6detail15normal_iteratorINSA_10device_ptrIfEEEEPS6_NSA_18transform_iteratorINSB_9not_fun_tI7is_trueIfEEENSC_INSD_IbEEEENSA_11use_defaultESO_EENS0_5tupleIJNSA_16discard_iteratorISO_EES6_EEENSQ_IJSG_SG_EEES6_PlJS6_EEE10hipError_tPvRmT3_T4_T5_T6_T7_T9_mT8_P12ihipStream_tbDpT10_ENKUlT_T0_E_clISt17integral_constantIbLb0EES1E_IbLb1EEEEDaS1A_S1B_EUlS1A_E_NS1_11comp_targetILNS1_3genE5ELNS1_11target_archE942ELNS1_3gpuE9ELNS1_3repE0EEENS1_30default_config_static_selectorELNS0_4arch9wavefront6targetE0EEEvT1_: ; @_ZN7rocprim17ROCPRIM_400000_NS6detail17trampoline_kernelINS0_14default_configENS1_25partition_config_selectorILNS1_17partition_subalgoE5EfNS0_10empty_typeEbEEZZNS1_14partition_implILS5_5ELb0ES3_mN6thrust23THRUST_200600_302600_NS6detail15normal_iteratorINSA_10device_ptrIfEEEEPS6_NSA_18transform_iteratorINSB_9not_fun_tI7is_trueIfEEENSC_INSD_IbEEEENSA_11use_defaultESO_EENS0_5tupleIJNSA_16discard_iteratorISO_EES6_EEENSQ_IJSG_SG_EEES6_PlJS6_EEE10hipError_tPvRmT3_T4_T5_T6_T7_T9_mT8_P12ihipStream_tbDpT10_ENKUlT_T0_E_clISt17integral_constantIbLb0EES1E_IbLb1EEEEDaS1A_S1B_EUlS1A_E_NS1_11comp_targetILNS1_3genE5ELNS1_11target_archE942ELNS1_3gpuE9ELNS1_3repE0EEENS1_30default_config_static_selectorELNS0_4arch9wavefront6targetE0EEEvT1_
; %bb.0:
	.section	.rodata,"a",@progbits
	.p2align	6, 0x0
	.amdhsa_kernel _ZN7rocprim17ROCPRIM_400000_NS6detail17trampoline_kernelINS0_14default_configENS1_25partition_config_selectorILNS1_17partition_subalgoE5EfNS0_10empty_typeEbEEZZNS1_14partition_implILS5_5ELb0ES3_mN6thrust23THRUST_200600_302600_NS6detail15normal_iteratorINSA_10device_ptrIfEEEEPS6_NSA_18transform_iteratorINSB_9not_fun_tI7is_trueIfEEENSC_INSD_IbEEEENSA_11use_defaultESO_EENS0_5tupleIJNSA_16discard_iteratorISO_EES6_EEENSQ_IJSG_SG_EEES6_PlJS6_EEE10hipError_tPvRmT3_T4_T5_T6_T7_T9_mT8_P12ihipStream_tbDpT10_ENKUlT_T0_E_clISt17integral_constantIbLb0EES1E_IbLb1EEEEDaS1A_S1B_EUlS1A_E_NS1_11comp_targetILNS1_3genE5ELNS1_11target_archE942ELNS1_3gpuE9ELNS1_3repE0EEENS1_30default_config_static_selectorELNS0_4arch9wavefront6targetE0EEEvT1_
		.amdhsa_group_segment_fixed_size 0
		.amdhsa_private_segment_fixed_size 0
		.amdhsa_kernarg_size 144
		.amdhsa_user_sgpr_count 2
		.amdhsa_user_sgpr_dispatch_ptr 0
		.amdhsa_user_sgpr_queue_ptr 0
		.amdhsa_user_sgpr_kernarg_segment_ptr 1
		.amdhsa_user_sgpr_dispatch_id 0
		.amdhsa_user_sgpr_private_segment_size 0
		.amdhsa_wavefront_size32 1
		.amdhsa_uses_dynamic_stack 0
		.amdhsa_enable_private_segment 0
		.amdhsa_system_sgpr_workgroup_id_x 1
		.amdhsa_system_sgpr_workgroup_id_y 0
		.amdhsa_system_sgpr_workgroup_id_z 0
		.amdhsa_system_sgpr_workgroup_info 0
		.amdhsa_system_vgpr_workitem_id 0
		.amdhsa_next_free_vgpr 1
		.amdhsa_next_free_sgpr 1
		.amdhsa_reserve_vcc 0
		.amdhsa_float_round_mode_32 0
		.amdhsa_float_round_mode_16_64 0
		.amdhsa_float_denorm_mode_32 3
		.amdhsa_float_denorm_mode_16_64 3
		.amdhsa_fp16_overflow 0
		.amdhsa_workgroup_processor_mode 1
		.amdhsa_memory_ordered 1
		.amdhsa_forward_progress 1
		.amdhsa_inst_pref_size 0
		.amdhsa_round_robin_scheduling 0
		.amdhsa_exception_fp_ieee_invalid_op 0
		.amdhsa_exception_fp_denorm_src 0
		.amdhsa_exception_fp_ieee_div_zero 0
		.amdhsa_exception_fp_ieee_overflow 0
		.amdhsa_exception_fp_ieee_underflow 0
		.amdhsa_exception_fp_ieee_inexact 0
		.amdhsa_exception_int_div_zero 0
	.end_amdhsa_kernel
	.section	.text._ZN7rocprim17ROCPRIM_400000_NS6detail17trampoline_kernelINS0_14default_configENS1_25partition_config_selectorILNS1_17partition_subalgoE5EfNS0_10empty_typeEbEEZZNS1_14partition_implILS5_5ELb0ES3_mN6thrust23THRUST_200600_302600_NS6detail15normal_iteratorINSA_10device_ptrIfEEEEPS6_NSA_18transform_iteratorINSB_9not_fun_tI7is_trueIfEEENSC_INSD_IbEEEENSA_11use_defaultESO_EENS0_5tupleIJNSA_16discard_iteratorISO_EES6_EEENSQ_IJSG_SG_EEES6_PlJS6_EEE10hipError_tPvRmT3_T4_T5_T6_T7_T9_mT8_P12ihipStream_tbDpT10_ENKUlT_T0_E_clISt17integral_constantIbLb0EES1E_IbLb1EEEEDaS1A_S1B_EUlS1A_E_NS1_11comp_targetILNS1_3genE5ELNS1_11target_archE942ELNS1_3gpuE9ELNS1_3repE0EEENS1_30default_config_static_selectorELNS0_4arch9wavefront6targetE0EEEvT1_,"axG",@progbits,_ZN7rocprim17ROCPRIM_400000_NS6detail17trampoline_kernelINS0_14default_configENS1_25partition_config_selectorILNS1_17partition_subalgoE5EfNS0_10empty_typeEbEEZZNS1_14partition_implILS5_5ELb0ES3_mN6thrust23THRUST_200600_302600_NS6detail15normal_iteratorINSA_10device_ptrIfEEEEPS6_NSA_18transform_iteratorINSB_9not_fun_tI7is_trueIfEEENSC_INSD_IbEEEENSA_11use_defaultESO_EENS0_5tupleIJNSA_16discard_iteratorISO_EES6_EEENSQ_IJSG_SG_EEES6_PlJS6_EEE10hipError_tPvRmT3_T4_T5_T6_T7_T9_mT8_P12ihipStream_tbDpT10_ENKUlT_T0_E_clISt17integral_constantIbLb0EES1E_IbLb1EEEEDaS1A_S1B_EUlS1A_E_NS1_11comp_targetILNS1_3genE5ELNS1_11target_archE942ELNS1_3gpuE9ELNS1_3repE0EEENS1_30default_config_static_selectorELNS0_4arch9wavefront6targetE0EEEvT1_,comdat
.Lfunc_end2646:
	.size	_ZN7rocprim17ROCPRIM_400000_NS6detail17trampoline_kernelINS0_14default_configENS1_25partition_config_selectorILNS1_17partition_subalgoE5EfNS0_10empty_typeEbEEZZNS1_14partition_implILS5_5ELb0ES3_mN6thrust23THRUST_200600_302600_NS6detail15normal_iteratorINSA_10device_ptrIfEEEEPS6_NSA_18transform_iteratorINSB_9not_fun_tI7is_trueIfEEENSC_INSD_IbEEEENSA_11use_defaultESO_EENS0_5tupleIJNSA_16discard_iteratorISO_EES6_EEENSQ_IJSG_SG_EEES6_PlJS6_EEE10hipError_tPvRmT3_T4_T5_T6_T7_T9_mT8_P12ihipStream_tbDpT10_ENKUlT_T0_E_clISt17integral_constantIbLb0EES1E_IbLb1EEEEDaS1A_S1B_EUlS1A_E_NS1_11comp_targetILNS1_3genE5ELNS1_11target_archE942ELNS1_3gpuE9ELNS1_3repE0EEENS1_30default_config_static_selectorELNS0_4arch9wavefront6targetE0EEEvT1_, .Lfunc_end2646-_ZN7rocprim17ROCPRIM_400000_NS6detail17trampoline_kernelINS0_14default_configENS1_25partition_config_selectorILNS1_17partition_subalgoE5EfNS0_10empty_typeEbEEZZNS1_14partition_implILS5_5ELb0ES3_mN6thrust23THRUST_200600_302600_NS6detail15normal_iteratorINSA_10device_ptrIfEEEEPS6_NSA_18transform_iteratorINSB_9not_fun_tI7is_trueIfEEENSC_INSD_IbEEEENSA_11use_defaultESO_EENS0_5tupleIJNSA_16discard_iteratorISO_EES6_EEENSQ_IJSG_SG_EEES6_PlJS6_EEE10hipError_tPvRmT3_T4_T5_T6_T7_T9_mT8_P12ihipStream_tbDpT10_ENKUlT_T0_E_clISt17integral_constantIbLb0EES1E_IbLb1EEEEDaS1A_S1B_EUlS1A_E_NS1_11comp_targetILNS1_3genE5ELNS1_11target_archE942ELNS1_3gpuE9ELNS1_3repE0EEENS1_30default_config_static_selectorELNS0_4arch9wavefront6targetE0EEEvT1_
                                        ; -- End function
	.set _ZN7rocprim17ROCPRIM_400000_NS6detail17trampoline_kernelINS0_14default_configENS1_25partition_config_selectorILNS1_17partition_subalgoE5EfNS0_10empty_typeEbEEZZNS1_14partition_implILS5_5ELb0ES3_mN6thrust23THRUST_200600_302600_NS6detail15normal_iteratorINSA_10device_ptrIfEEEEPS6_NSA_18transform_iteratorINSB_9not_fun_tI7is_trueIfEEENSC_INSD_IbEEEENSA_11use_defaultESO_EENS0_5tupleIJNSA_16discard_iteratorISO_EES6_EEENSQ_IJSG_SG_EEES6_PlJS6_EEE10hipError_tPvRmT3_T4_T5_T6_T7_T9_mT8_P12ihipStream_tbDpT10_ENKUlT_T0_E_clISt17integral_constantIbLb0EES1E_IbLb1EEEEDaS1A_S1B_EUlS1A_E_NS1_11comp_targetILNS1_3genE5ELNS1_11target_archE942ELNS1_3gpuE9ELNS1_3repE0EEENS1_30default_config_static_selectorELNS0_4arch9wavefront6targetE0EEEvT1_.num_vgpr, 0
	.set _ZN7rocprim17ROCPRIM_400000_NS6detail17trampoline_kernelINS0_14default_configENS1_25partition_config_selectorILNS1_17partition_subalgoE5EfNS0_10empty_typeEbEEZZNS1_14partition_implILS5_5ELb0ES3_mN6thrust23THRUST_200600_302600_NS6detail15normal_iteratorINSA_10device_ptrIfEEEEPS6_NSA_18transform_iteratorINSB_9not_fun_tI7is_trueIfEEENSC_INSD_IbEEEENSA_11use_defaultESO_EENS0_5tupleIJNSA_16discard_iteratorISO_EES6_EEENSQ_IJSG_SG_EEES6_PlJS6_EEE10hipError_tPvRmT3_T4_T5_T6_T7_T9_mT8_P12ihipStream_tbDpT10_ENKUlT_T0_E_clISt17integral_constantIbLb0EES1E_IbLb1EEEEDaS1A_S1B_EUlS1A_E_NS1_11comp_targetILNS1_3genE5ELNS1_11target_archE942ELNS1_3gpuE9ELNS1_3repE0EEENS1_30default_config_static_selectorELNS0_4arch9wavefront6targetE0EEEvT1_.num_agpr, 0
	.set _ZN7rocprim17ROCPRIM_400000_NS6detail17trampoline_kernelINS0_14default_configENS1_25partition_config_selectorILNS1_17partition_subalgoE5EfNS0_10empty_typeEbEEZZNS1_14partition_implILS5_5ELb0ES3_mN6thrust23THRUST_200600_302600_NS6detail15normal_iteratorINSA_10device_ptrIfEEEEPS6_NSA_18transform_iteratorINSB_9not_fun_tI7is_trueIfEEENSC_INSD_IbEEEENSA_11use_defaultESO_EENS0_5tupleIJNSA_16discard_iteratorISO_EES6_EEENSQ_IJSG_SG_EEES6_PlJS6_EEE10hipError_tPvRmT3_T4_T5_T6_T7_T9_mT8_P12ihipStream_tbDpT10_ENKUlT_T0_E_clISt17integral_constantIbLb0EES1E_IbLb1EEEEDaS1A_S1B_EUlS1A_E_NS1_11comp_targetILNS1_3genE5ELNS1_11target_archE942ELNS1_3gpuE9ELNS1_3repE0EEENS1_30default_config_static_selectorELNS0_4arch9wavefront6targetE0EEEvT1_.numbered_sgpr, 0
	.set _ZN7rocprim17ROCPRIM_400000_NS6detail17trampoline_kernelINS0_14default_configENS1_25partition_config_selectorILNS1_17partition_subalgoE5EfNS0_10empty_typeEbEEZZNS1_14partition_implILS5_5ELb0ES3_mN6thrust23THRUST_200600_302600_NS6detail15normal_iteratorINSA_10device_ptrIfEEEEPS6_NSA_18transform_iteratorINSB_9not_fun_tI7is_trueIfEEENSC_INSD_IbEEEENSA_11use_defaultESO_EENS0_5tupleIJNSA_16discard_iteratorISO_EES6_EEENSQ_IJSG_SG_EEES6_PlJS6_EEE10hipError_tPvRmT3_T4_T5_T6_T7_T9_mT8_P12ihipStream_tbDpT10_ENKUlT_T0_E_clISt17integral_constantIbLb0EES1E_IbLb1EEEEDaS1A_S1B_EUlS1A_E_NS1_11comp_targetILNS1_3genE5ELNS1_11target_archE942ELNS1_3gpuE9ELNS1_3repE0EEENS1_30default_config_static_selectorELNS0_4arch9wavefront6targetE0EEEvT1_.num_named_barrier, 0
	.set _ZN7rocprim17ROCPRIM_400000_NS6detail17trampoline_kernelINS0_14default_configENS1_25partition_config_selectorILNS1_17partition_subalgoE5EfNS0_10empty_typeEbEEZZNS1_14partition_implILS5_5ELb0ES3_mN6thrust23THRUST_200600_302600_NS6detail15normal_iteratorINSA_10device_ptrIfEEEEPS6_NSA_18transform_iteratorINSB_9not_fun_tI7is_trueIfEEENSC_INSD_IbEEEENSA_11use_defaultESO_EENS0_5tupleIJNSA_16discard_iteratorISO_EES6_EEENSQ_IJSG_SG_EEES6_PlJS6_EEE10hipError_tPvRmT3_T4_T5_T6_T7_T9_mT8_P12ihipStream_tbDpT10_ENKUlT_T0_E_clISt17integral_constantIbLb0EES1E_IbLb1EEEEDaS1A_S1B_EUlS1A_E_NS1_11comp_targetILNS1_3genE5ELNS1_11target_archE942ELNS1_3gpuE9ELNS1_3repE0EEENS1_30default_config_static_selectorELNS0_4arch9wavefront6targetE0EEEvT1_.private_seg_size, 0
	.set _ZN7rocprim17ROCPRIM_400000_NS6detail17trampoline_kernelINS0_14default_configENS1_25partition_config_selectorILNS1_17partition_subalgoE5EfNS0_10empty_typeEbEEZZNS1_14partition_implILS5_5ELb0ES3_mN6thrust23THRUST_200600_302600_NS6detail15normal_iteratorINSA_10device_ptrIfEEEEPS6_NSA_18transform_iteratorINSB_9not_fun_tI7is_trueIfEEENSC_INSD_IbEEEENSA_11use_defaultESO_EENS0_5tupleIJNSA_16discard_iteratorISO_EES6_EEENSQ_IJSG_SG_EEES6_PlJS6_EEE10hipError_tPvRmT3_T4_T5_T6_T7_T9_mT8_P12ihipStream_tbDpT10_ENKUlT_T0_E_clISt17integral_constantIbLb0EES1E_IbLb1EEEEDaS1A_S1B_EUlS1A_E_NS1_11comp_targetILNS1_3genE5ELNS1_11target_archE942ELNS1_3gpuE9ELNS1_3repE0EEENS1_30default_config_static_selectorELNS0_4arch9wavefront6targetE0EEEvT1_.uses_vcc, 0
	.set _ZN7rocprim17ROCPRIM_400000_NS6detail17trampoline_kernelINS0_14default_configENS1_25partition_config_selectorILNS1_17partition_subalgoE5EfNS0_10empty_typeEbEEZZNS1_14partition_implILS5_5ELb0ES3_mN6thrust23THRUST_200600_302600_NS6detail15normal_iteratorINSA_10device_ptrIfEEEEPS6_NSA_18transform_iteratorINSB_9not_fun_tI7is_trueIfEEENSC_INSD_IbEEEENSA_11use_defaultESO_EENS0_5tupleIJNSA_16discard_iteratorISO_EES6_EEENSQ_IJSG_SG_EEES6_PlJS6_EEE10hipError_tPvRmT3_T4_T5_T6_T7_T9_mT8_P12ihipStream_tbDpT10_ENKUlT_T0_E_clISt17integral_constantIbLb0EES1E_IbLb1EEEEDaS1A_S1B_EUlS1A_E_NS1_11comp_targetILNS1_3genE5ELNS1_11target_archE942ELNS1_3gpuE9ELNS1_3repE0EEENS1_30default_config_static_selectorELNS0_4arch9wavefront6targetE0EEEvT1_.uses_flat_scratch, 0
	.set _ZN7rocprim17ROCPRIM_400000_NS6detail17trampoline_kernelINS0_14default_configENS1_25partition_config_selectorILNS1_17partition_subalgoE5EfNS0_10empty_typeEbEEZZNS1_14partition_implILS5_5ELb0ES3_mN6thrust23THRUST_200600_302600_NS6detail15normal_iteratorINSA_10device_ptrIfEEEEPS6_NSA_18transform_iteratorINSB_9not_fun_tI7is_trueIfEEENSC_INSD_IbEEEENSA_11use_defaultESO_EENS0_5tupleIJNSA_16discard_iteratorISO_EES6_EEENSQ_IJSG_SG_EEES6_PlJS6_EEE10hipError_tPvRmT3_T4_T5_T6_T7_T9_mT8_P12ihipStream_tbDpT10_ENKUlT_T0_E_clISt17integral_constantIbLb0EES1E_IbLb1EEEEDaS1A_S1B_EUlS1A_E_NS1_11comp_targetILNS1_3genE5ELNS1_11target_archE942ELNS1_3gpuE9ELNS1_3repE0EEENS1_30default_config_static_selectorELNS0_4arch9wavefront6targetE0EEEvT1_.has_dyn_sized_stack, 0
	.set _ZN7rocprim17ROCPRIM_400000_NS6detail17trampoline_kernelINS0_14default_configENS1_25partition_config_selectorILNS1_17partition_subalgoE5EfNS0_10empty_typeEbEEZZNS1_14partition_implILS5_5ELb0ES3_mN6thrust23THRUST_200600_302600_NS6detail15normal_iteratorINSA_10device_ptrIfEEEEPS6_NSA_18transform_iteratorINSB_9not_fun_tI7is_trueIfEEENSC_INSD_IbEEEENSA_11use_defaultESO_EENS0_5tupleIJNSA_16discard_iteratorISO_EES6_EEENSQ_IJSG_SG_EEES6_PlJS6_EEE10hipError_tPvRmT3_T4_T5_T6_T7_T9_mT8_P12ihipStream_tbDpT10_ENKUlT_T0_E_clISt17integral_constantIbLb0EES1E_IbLb1EEEEDaS1A_S1B_EUlS1A_E_NS1_11comp_targetILNS1_3genE5ELNS1_11target_archE942ELNS1_3gpuE9ELNS1_3repE0EEENS1_30default_config_static_selectorELNS0_4arch9wavefront6targetE0EEEvT1_.has_recursion, 0
	.set _ZN7rocprim17ROCPRIM_400000_NS6detail17trampoline_kernelINS0_14default_configENS1_25partition_config_selectorILNS1_17partition_subalgoE5EfNS0_10empty_typeEbEEZZNS1_14partition_implILS5_5ELb0ES3_mN6thrust23THRUST_200600_302600_NS6detail15normal_iteratorINSA_10device_ptrIfEEEEPS6_NSA_18transform_iteratorINSB_9not_fun_tI7is_trueIfEEENSC_INSD_IbEEEENSA_11use_defaultESO_EENS0_5tupleIJNSA_16discard_iteratorISO_EES6_EEENSQ_IJSG_SG_EEES6_PlJS6_EEE10hipError_tPvRmT3_T4_T5_T6_T7_T9_mT8_P12ihipStream_tbDpT10_ENKUlT_T0_E_clISt17integral_constantIbLb0EES1E_IbLb1EEEEDaS1A_S1B_EUlS1A_E_NS1_11comp_targetILNS1_3genE5ELNS1_11target_archE942ELNS1_3gpuE9ELNS1_3repE0EEENS1_30default_config_static_selectorELNS0_4arch9wavefront6targetE0EEEvT1_.has_indirect_call, 0
	.section	.AMDGPU.csdata,"",@progbits
; Kernel info:
; codeLenInByte = 0
; TotalNumSgprs: 0
; NumVgprs: 0
; ScratchSize: 0
; MemoryBound: 0
; FloatMode: 240
; IeeeMode: 1
; LDSByteSize: 0 bytes/workgroup (compile time only)
; SGPRBlocks: 0
; VGPRBlocks: 0
; NumSGPRsForWavesPerEU: 1
; NumVGPRsForWavesPerEU: 1
; Occupancy: 16
; WaveLimiterHint : 0
; COMPUTE_PGM_RSRC2:SCRATCH_EN: 0
; COMPUTE_PGM_RSRC2:USER_SGPR: 2
; COMPUTE_PGM_RSRC2:TRAP_HANDLER: 0
; COMPUTE_PGM_RSRC2:TGID_X_EN: 1
; COMPUTE_PGM_RSRC2:TGID_Y_EN: 0
; COMPUTE_PGM_RSRC2:TGID_Z_EN: 0
; COMPUTE_PGM_RSRC2:TIDIG_COMP_CNT: 0
	.section	.text._ZN7rocprim17ROCPRIM_400000_NS6detail17trampoline_kernelINS0_14default_configENS1_25partition_config_selectorILNS1_17partition_subalgoE5EfNS0_10empty_typeEbEEZZNS1_14partition_implILS5_5ELb0ES3_mN6thrust23THRUST_200600_302600_NS6detail15normal_iteratorINSA_10device_ptrIfEEEEPS6_NSA_18transform_iteratorINSB_9not_fun_tI7is_trueIfEEENSC_INSD_IbEEEENSA_11use_defaultESO_EENS0_5tupleIJNSA_16discard_iteratorISO_EES6_EEENSQ_IJSG_SG_EEES6_PlJS6_EEE10hipError_tPvRmT3_T4_T5_T6_T7_T9_mT8_P12ihipStream_tbDpT10_ENKUlT_T0_E_clISt17integral_constantIbLb0EES1E_IbLb1EEEEDaS1A_S1B_EUlS1A_E_NS1_11comp_targetILNS1_3genE4ELNS1_11target_archE910ELNS1_3gpuE8ELNS1_3repE0EEENS1_30default_config_static_selectorELNS0_4arch9wavefront6targetE0EEEvT1_,"axG",@progbits,_ZN7rocprim17ROCPRIM_400000_NS6detail17trampoline_kernelINS0_14default_configENS1_25partition_config_selectorILNS1_17partition_subalgoE5EfNS0_10empty_typeEbEEZZNS1_14partition_implILS5_5ELb0ES3_mN6thrust23THRUST_200600_302600_NS6detail15normal_iteratorINSA_10device_ptrIfEEEEPS6_NSA_18transform_iteratorINSB_9not_fun_tI7is_trueIfEEENSC_INSD_IbEEEENSA_11use_defaultESO_EENS0_5tupleIJNSA_16discard_iteratorISO_EES6_EEENSQ_IJSG_SG_EEES6_PlJS6_EEE10hipError_tPvRmT3_T4_T5_T6_T7_T9_mT8_P12ihipStream_tbDpT10_ENKUlT_T0_E_clISt17integral_constantIbLb0EES1E_IbLb1EEEEDaS1A_S1B_EUlS1A_E_NS1_11comp_targetILNS1_3genE4ELNS1_11target_archE910ELNS1_3gpuE8ELNS1_3repE0EEENS1_30default_config_static_selectorELNS0_4arch9wavefront6targetE0EEEvT1_,comdat
	.protected	_ZN7rocprim17ROCPRIM_400000_NS6detail17trampoline_kernelINS0_14default_configENS1_25partition_config_selectorILNS1_17partition_subalgoE5EfNS0_10empty_typeEbEEZZNS1_14partition_implILS5_5ELb0ES3_mN6thrust23THRUST_200600_302600_NS6detail15normal_iteratorINSA_10device_ptrIfEEEEPS6_NSA_18transform_iteratorINSB_9not_fun_tI7is_trueIfEEENSC_INSD_IbEEEENSA_11use_defaultESO_EENS0_5tupleIJNSA_16discard_iteratorISO_EES6_EEENSQ_IJSG_SG_EEES6_PlJS6_EEE10hipError_tPvRmT3_T4_T5_T6_T7_T9_mT8_P12ihipStream_tbDpT10_ENKUlT_T0_E_clISt17integral_constantIbLb0EES1E_IbLb1EEEEDaS1A_S1B_EUlS1A_E_NS1_11comp_targetILNS1_3genE4ELNS1_11target_archE910ELNS1_3gpuE8ELNS1_3repE0EEENS1_30default_config_static_selectorELNS0_4arch9wavefront6targetE0EEEvT1_ ; -- Begin function _ZN7rocprim17ROCPRIM_400000_NS6detail17trampoline_kernelINS0_14default_configENS1_25partition_config_selectorILNS1_17partition_subalgoE5EfNS0_10empty_typeEbEEZZNS1_14partition_implILS5_5ELb0ES3_mN6thrust23THRUST_200600_302600_NS6detail15normal_iteratorINSA_10device_ptrIfEEEEPS6_NSA_18transform_iteratorINSB_9not_fun_tI7is_trueIfEEENSC_INSD_IbEEEENSA_11use_defaultESO_EENS0_5tupleIJNSA_16discard_iteratorISO_EES6_EEENSQ_IJSG_SG_EEES6_PlJS6_EEE10hipError_tPvRmT3_T4_T5_T6_T7_T9_mT8_P12ihipStream_tbDpT10_ENKUlT_T0_E_clISt17integral_constantIbLb0EES1E_IbLb1EEEEDaS1A_S1B_EUlS1A_E_NS1_11comp_targetILNS1_3genE4ELNS1_11target_archE910ELNS1_3gpuE8ELNS1_3repE0EEENS1_30default_config_static_selectorELNS0_4arch9wavefront6targetE0EEEvT1_
	.globl	_ZN7rocprim17ROCPRIM_400000_NS6detail17trampoline_kernelINS0_14default_configENS1_25partition_config_selectorILNS1_17partition_subalgoE5EfNS0_10empty_typeEbEEZZNS1_14partition_implILS5_5ELb0ES3_mN6thrust23THRUST_200600_302600_NS6detail15normal_iteratorINSA_10device_ptrIfEEEEPS6_NSA_18transform_iteratorINSB_9not_fun_tI7is_trueIfEEENSC_INSD_IbEEEENSA_11use_defaultESO_EENS0_5tupleIJNSA_16discard_iteratorISO_EES6_EEENSQ_IJSG_SG_EEES6_PlJS6_EEE10hipError_tPvRmT3_T4_T5_T6_T7_T9_mT8_P12ihipStream_tbDpT10_ENKUlT_T0_E_clISt17integral_constantIbLb0EES1E_IbLb1EEEEDaS1A_S1B_EUlS1A_E_NS1_11comp_targetILNS1_3genE4ELNS1_11target_archE910ELNS1_3gpuE8ELNS1_3repE0EEENS1_30default_config_static_selectorELNS0_4arch9wavefront6targetE0EEEvT1_
	.p2align	8
	.type	_ZN7rocprim17ROCPRIM_400000_NS6detail17trampoline_kernelINS0_14default_configENS1_25partition_config_selectorILNS1_17partition_subalgoE5EfNS0_10empty_typeEbEEZZNS1_14partition_implILS5_5ELb0ES3_mN6thrust23THRUST_200600_302600_NS6detail15normal_iteratorINSA_10device_ptrIfEEEEPS6_NSA_18transform_iteratorINSB_9not_fun_tI7is_trueIfEEENSC_INSD_IbEEEENSA_11use_defaultESO_EENS0_5tupleIJNSA_16discard_iteratorISO_EES6_EEENSQ_IJSG_SG_EEES6_PlJS6_EEE10hipError_tPvRmT3_T4_T5_T6_T7_T9_mT8_P12ihipStream_tbDpT10_ENKUlT_T0_E_clISt17integral_constantIbLb0EES1E_IbLb1EEEEDaS1A_S1B_EUlS1A_E_NS1_11comp_targetILNS1_3genE4ELNS1_11target_archE910ELNS1_3gpuE8ELNS1_3repE0EEENS1_30default_config_static_selectorELNS0_4arch9wavefront6targetE0EEEvT1_,@function
_ZN7rocprim17ROCPRIM_400000_NS6detail17trampoline_kernelINS0_14default_configENS1_25partition_config_selectorILNS1_17partition_subalgoE5EfNS0_10empty_typeEbEEZZNS1_14partition_implILS5_5ELb0ES3_mN6thrust23THRUST_200600_302600_NS6detail15normal_iteratorINSA_10device_ptrIfEEEEPS6_NSA_18transform_iteratorINSB_9not_fun_tI7is_trueIfEEENSC_INSD_IbEEEENSA_11use_defaultESO_EENS0_5tupleIJNSA_16discard_iteratorISO_EES6_EEENSQ_IJSG_SG_EEES6_PlJS6_EEE10hipError_tPvRmT3_T4_T5_T6_T7_T9_mT8_P12ihipStream_tbDpT10_ENKUlT_T0_E_clISt17integral_constantIbLb0EES1E_IbLb1EEEEDaS1A_S1B_EUlS1A_E_NS1_11comp_targetILNS1_3genE4ELNS1_11target_archE910ELNS1_3gpuE8ELNS1_3repE0EEENS1_30default_config_static_selectorELNS0_4arch9wavefront6targetE0EEEvT1_: ; @_ZN7rocprim17ROCPRIM_400000_NS6detail17trampoline_kernelINS0_14default_configENS1_25partition_config_selectorILNS1_17partition_subalgoE5EfNS0_10empty_typeEbEEZZNS1_14partition_implILS5_5ELb0ES3_mN6thrust23THRUST_200600_302600_NS6detail15normal_iteratorINSA_10device_ptrIfEEEEPS6_NSA_18transform_iteratorINSB_9not_fun_tI7is_trueIfEEENSC_INSD_IbEEEENSA_11use_defaultESO_EENS0_5tupleIJNSA_16discard_iteratorISO_EES6_EEENSQ_IJSG_SG_EEES6_PlJS6_EEE10hipError_tPvRmT3_T4_T5_T6_T7_T9_mT8_P12ihipStream_tbDpT10_ENKUlT_T0_E_clISt17integral_constantIbLb0EES1E_IbLb1EEEEDaS1A_S1B_EUlS1A_E_NS1_11comp_targetILNS1_3genE4ELNS1_11target_archE910ELNS1_3gpuE8ELNS1_3repE0EEENS1_30default_config_static_selectorELNS0_4arch9wavefront6targetE0EEEvT1_
; %bb.0:
	.section	.rodata,"a",@progbits
	.p2align	6, 0x0
	.amdhsa_kernel _ZN7rocprim17ROCPRIM_400000_NS6detail17trampoline_kernelINS0_14default_configENS1_25partition_config_selectorILNS1_17partition_subalgoE5EfNS0_10empty_typeEbEEZZNS1_14partition_implILS5_5ELb0ES3_mN6thrust23THRUST_200600_302600_NS6detail15normal_iteratorINSA_10device_ptrIfEEEEPS6_NSA_18transform_iteratorINSB_9not_fun_tI7is_trueIfEEENSC_INSD_IbEEEENSA_11use_defaultESO_EENS0_5tupleIJNSA_16discard_iteratorISO_EES6_EEENSQ_IJSG_SG_EEES6_PlJS6_EEE10hipError_tPvRmT3_T4_T5_T6_T7_T9_mT8_P12ihipStream_tbDpT10_ENKUlT_T0_E_clISt17integral_constantIbLb0EES1E_IbLb1EEEEDaS1A_S1B_EUlS1A_E_NS1_11comp_targetILNS1_3genE4ELNS1_11target_archE910ELNS1_3gpuE8ELNS1_3repE0EEENS1_30default_config_static_selectorELNS0_4arch9wavefront6targetE0EEEvT1_
		.amdhsa_group_segment_fixed_size 0
		.amdhsa_private_segment_fixed_size 0
		.amdhsa_kernarg_size 144
		.amdhsa_user_sgpr_count 2
		.amdhsa_user_sgpr_dispatch_ptr 0
		.amdhsa_user_sgpr_queue_ptr 0
		.amdhsa_user_sgpr_kernarg_segment_ptr 1
		.amdhsa_user_sgpr_dispatch_id 0
		.amdhsa_user_sgpr_private_segment_size 0
		.amdhsa_wavefront_size32 1
		.amdhsa_uses_dynamic_stack 0
		.amdhsa_enable_private_segment 0
		.amdhsa_system_sgpr_workgroup_id_x 1
		.amdhsa_system_sgpr_workgroup_id_y 0
		.amdhsa_system_sgpr_workgroup_id_z 0
		.amdhsa_system_sgpr_workgroup_info 0
		.amdhsa_system_vgpr_workitem_id 0
		.amdhsa_next_free_vgpr 1
		.amdhsa_next_free_sgpr 1
		.amdhsa_reserve_vcc 0
		.amdhsa_float_round_mode_32 0
		.amdhsa_float_round_mode_16_64 0
		.amdhsa_float_denorm_mode_32 3
		.amdhsa_float_denorm_mode_16_64 3
		.amdhsa_fp16_overflow 0
		.amdhsa_workgroup_processor_mode 1
		.amdhsa_memory_ordered 1
		.amdhsa_forward_progress 1
		.amdhsa_inst_pref_size 0
		.amdhsa_round_robin_scheduling 0
		.amdhsa_exception_fp_ieee_invalid_op 0
		.amdhsa_exception_fp_denorm_src 0
		.amdhsa_exception_fp_ieee_div_zero 0
		.amdhsa_exception_fp_ieee_overflow 0
		.amdhsa_exception_fp_ieee_underflow 0
		.amdhsa_exception_fp_ieee_inexact 0
		.amdhsa_exception_int_div_zero 0
	.end_amdhsa_kernel
	.section	.text._ZN7rocprim17ROCPRIM_400000_NS6detail17trampoline_kernelINS0_14default_configENS1_25partition_config_selectorILNS1_17partition_subalgoE5EfNS0_10empty_typeEbEEZZNS1_14partition_implILS5_5ELb0ES3_mN6thrust23THRUST_200600_302600_NS6detail15normal_iteratorINSA_10device_ptrIfEEEEPS6_NSA_18transform_iteratorINSB_9not_fun_tI7is_trueIfEEENSC_INSD_IbEEEENSA_11use_defaultESO_EENS0_5tupleIJNSA_16discard_iteratorISO_EES6_EEENSQ_IJSG_SG_EEES6_PlJS6_EEE10hipError_tPvRmT3_T4_T5_T6_T7_T9_mT8_P12ihipStream_tbDpT10_ENKUlT_T0_E_clISt17integral_constantIbLb0EES1E_IbLb1EEEEDaS1A_S1B_EUlS1A_E_NS1_11comp_targetILNS1_3genE4ELNS1_11target_archE910ELNS1_3gpuE8ELNS1_3repE0EEENS1_30default_config_static_selectorELNS0_4arch9wavefront6targetE0EEEvT1_,"axG",@progbits,_ZN7rocprim17ROCPRIM_400000_NS6detail17trampoline_kernelINS0_14default_configENS1_25partition_config_selectorILNS1_17partition_subalgoE5EfNS0_10empty_typeEbEEZZNS1_14partition_implILS5_5ELb0ES3_mN6thrust23THRUST_200600_302600_NS6detail15normal_iteratorINSA_10device_ptrIfEEEEPS6_NSA_18transform_iteratorINSB_9not_fun_tI7is_trueIfEEENSC_INSD_IbEEEENSA_11use_defaultESO_EENS0_5tupleIJNSA_16discard_iteratorISO_EES6_EEENSQ_IJSG_SG_EEES6_PlJS6_EEE10hipError_tPvRmT3_T4_T5_T6_T7_T9_mT8_P12ihipStream_tbDpT10_ENKUlT_T0_E_clISt17integral_constantIbLb0EES1E_IbLb1EEEEDaS1A_S1B_EUlS1A_E_NS1_11comp_targetILNS1_3genE4ELNS1_11target_archE910ELNS1_3gpuE8ELNS1_3repE0EEENS1_30default_config_static_selectorELNS0_4arch9wavefront6targetE0EEEvT1_,comdat
.Lfunc_end2647:
	.size	_ZN7rocprim17ROCPRIM_400000_NS6detail17trampoline_kernelINS0_14default_configENS1_25partition_config_selectorILNS1_17partition_subalgoE5EfNS0_10empty_typeEbEEZZNS1_14partition_implILS5_5ELb0ES3_mN6thrust23THRUST_200600_302600_NS6detail15normal_iteratorINSA_10device_ptrIfEEEEPS6_NSA_18transform_iteratorINSB_9not_fun_tI7is_trueIfEEENSC_INSD_IbEEEENSA_11use_defaultESO_EENS0_5tupleIJNSA_16discard_iteratorISO_EES6_EEENSQ_IJSG_SG_EEES6_PlJS6_EEE10hipError_tPvRmT3_T4_T5_T6_T7_T9_mT8_P12ihipStream_tbDpT10_ENKUlT_T0_E_clISt17integral_constantIbLb0EES1E_IbLb1EEEEDaS1A_S1B_EUlS1A_E_NS1_11comp_targetILNS1_3genE4ELNS1_11target_archE910ELNS1_3gpuE8ELNS1_3repE0EEENS1_30default_config_static_selectorELNS0_4arch9wavefront6targetE0EEEvT1_, .Lfunc_end2647-_ZN7rocprim17ROCPRIM_400000_NS6detail17trampoline_kernelINS0_14default_configENS1_25partition_config_selectorILNS1_17partition_subalgoE5EfNS0_10empty_typeEbEEZZNS1_14partition_implILS5_5ELb0ES3_mN6thrust23THRUST_200600_302600_NS6detail15normal_iteratorINSA_10device_ptrIfEEEEPS6_NSA_18transform_iteratorINSB_9not_fun_tI7is_trueIfEEENSC_INSD_IbEEEENSA_11use_defaultESO_EENS0_5tupleIJNSA_16discard_iteratorISO_EES6_EEENSQ_IJSG_SG_EEES6_PlJS6_EEE10hipError_tPvRmT3_T4_T5_T6_T7_T9_mT8_P12ihipStream_tbDpT10_ENKUlT_T0_E_clISt17integral_constantIbLb0EES1E_IbLb1EEEEDaS1A_S1B_EUlS1A_E_NS1_11comp_targetILNS1_3genE4ELNS1_11target_archE910ELNS1_3gpuE8ELNS1_3repE0EEENS1_30default_config_static_selectorELNS0_4arch9wavefront6targetE0EEEvT1_
                                        ; -- End function
	.set _ZN7rocprim17ROCPRIM_400000_NS6detail17trampoline_kernelINS0_14default_configENS1_25partition_config_selectorILNS1_17partition_subalgoE5EfNS0_10empty_typeEbEEZZNS1_14partition_implILS5_5ELb0ES3_mN6thrust23THRUST_200600_302600_NS6detail15normal_iteratorINSA_10device_ptrIfEEEEPS6_NSA_18transform_iteratorINSB_9not_fun_tI7is_trueIfEEENSC_INSD_IbEEEENSA_11use_defaultESO_EENS0_5tupleIJNSA_16discard_iteratorISO_EES6_EEENSQ_IJSG_SG_EEES6_PlJS6_EEE10hipError_tPvRmT3_T4_T5_T6_T7_T9_mT8_P12ihipStream_tbDpT10_ENKUlT_T0_E_clISt17integral_constantIbLb0EES1E_IbLb1EEEEDaS1A_S1B_EUlS1A_E_NS1_11comp_targetILNS1_3genE4ELNS1_11target_archE910ELNS1_3gpuE8ELNS1_3repE0EEENS1_30default_config_static_selectorELNS0_4arch9wavefront6targetE0EEEvT1_.num_vgpr, 0
	.set _ZN7rocprim17ROCPRIM_400000_NS6detail17trampoline_kernelINS0_14default_configENS1_25partition_config_selectorILNS1_17partition_subalgoE5EfNS0_10empty_typeEbEEZZNS1_14partition_implILS5_5ELb0ES3_mN6thrust23THRUST_200600_302600_NS6detail15normal_iteratorINSA_10device_ptrIfEEEEPS6_NSA_18transform_iteratorINSB_9not_fun_tI7is_trueIfEEENSC_INSD_IbEEEENSA_11use_defaultESO_EENS0_5tupleIJNSA_16discard_iteratorISO_EES6_EEENSQ_IJSG_SG_EEES6_PlJS6_EEE10hipError_tPvRmT3_T4_T5_T6_T7_T9_mT8_P12ihipStream_tbDpT10_ENKUlT_T0_E_clISt17integral_constantIbLb0EES1E_IbLb1EEEEDaS1A_S1B_EUlS1A_E_NS1_11comp_targetILNS1_3genE4ELNS1_11target_archE910ELNS1_3gpuE8ELNS1_3repE0EEENS1_30default_config_static_selectorELNS0_4arch9wavefront6targetE0EEEvT1_.num_agpr, 0
	.set _ZN7rocprim17ROCPRIM_400000_NS6detail17trampoline_kernelINS0_14default_configENS1_25partition_config_selectorILNS1_17partition_subalgoE5EfNS0_10empty_typeEbEEZZNS1_14partition_implILS5_5ELb0ES3_mN6thrust23THRUST_200600_302600_NS6detail15normal_iteratorINSA_10device_ptrIfEEEEPS6_NSA_18transform_iteratorINSB_9not_fun_tI7is_trueIfEEENSC_INSD_IbEEEENSA_11use_defaultESO_EENS0_5tupleIJNSA_16discard_iteratorISO_EES6_EEENSQ_IJSG_SG_EEES6_PlJS6_EEE10hipError_tPvRmT3_T4_T5_T6_T7_T9_mT8_P12ihipStream_tbDpT10_ENKUlT_T0_E_clISt17integral_constantIbLb0EES1E_IbLb1EEEEDaS1A_S1B_EUlS1A_E_NS1_11comp_targetILNS1_3genE4ELNS1_11target_archE910ELNS1_3gpuE8ELNS1_3repE0EEENS1_30default_config_static_selectorELNS0_4arch9wavefront6targetE0EEEvT1_.numbered_sgpr, 0
	.set _ZN7rocprim17ROCPRIM_400000_NS6detail17trampoline_kernelINS0_14default_configENS1_25partition_config_selectorILNS1_17partition_subalgoE5EfNS0_10empty_typeEbEEZZNS1_14partition_implILS5_5ELb0ES3_mN6thrust23THRUST_200600_302600_NS6detail15normal_iteratorINSA_10device_ptrIfEEEEPS6_NSA_18transform_iteratorINSB_9not_fun_tI7is_trueIfEEENSC_INSD_IbEEEENSA_11use_defaultESO_EENS0_5tupleIJNSA_16discard_iteratorISO_EES6_EEENSQ_IJSG_SG_EEES6_PlJS6_EEE10hipError_tPvRmT3_T4_T5_T6_T7_T9_mT8_P12ihipStream_tbDpT10_ENKUlT_T0_E_clISt17integral_constantIbLb0EES1E_IbLb1EEEEDaS1A_S1B_EUlS1A_E_NS1_11comp_targetILNS1_3genE4ELNS1_11target_archE910ELNS1_3gpuE8ELNS1_3repE0EEENS1_30default_config_static_selectorELNS0_4arch9wavefront6targetE0EEEvT1_.num_named_barrier, 0
	.set _ZN7rocprim17ROCPRIM_400000_NS6detail17trampoline_kernelINS0_14default_configENS1_25partition_config_selectorILNS1_17partition_subalgoE5EfNS0_10empty_typeEbEEZZNS1_14partition_implILS5_5ELb0ES3_mN6thrust23THRUST_200600_302600_NS6detail15normal_iteratorINSA_10device_ptrIfEEEEPS6_NSA_18transform_iteratorINSB_9not_fun_tI7is_trueIfEEENSC_INSD_IbEEEENSA_11use_defaultESO_EENS0_5tupleIJNSA_16discard_iteratorISO_EES6_EEENSQ_IJSG_SG_EEES6_PlJS6_EEE10hipError_tPvRmT3_T4_T5_T6_T7_T9_mT8_P12ihipStream_tbDpT10_ENKUlT_T0_E_clISt17integral_constantIbLb0EES1E_IbLb1EEEEDaS1A_S1B_EUlS1A_E_NS1_11comp_targetILNS1_3genE4ELNS1_11target_archE910ELNS1_3gpuE8ELNS1_3repE0EEENS1_30default_config_static_selectorELNS0_4arch9wavefront6targetE0EEEvT1_.private_seg_size, 0
	.set _ZN7rocprim17ROCPRIM_400000_NS6detail17trampoline_kernelINS0_14default_configENS1_25partition_config_selectorILNS1_17partition_subalgoE5EfNS0_10empty_typeEbEEZZNS1_14partition_implILS5_5ELb0ES3_mN6thrust23THRUST_200600_302600_NS6detail15normal_iteratorINSA_10device_ptrIfEEEEPS6_NSA_18transform_iteratorINSB_9not_fun_tI7is_trueIfEEENSC_INSD_IbEEEENSA_11use_defaultESO_EENS0_5tupleIJNSA_16discard_iteratorISO_EES6_EEENSQ_IJSG_SG_EEES6_PlJS6_EEE10hipError_tPvRmT3_T4_T5_T6_T7_T9_mT8_P12ihipStream_tbDpT10_ENKUlT_T0_E_clISt17integral_constantIbLb0EES1E_IbLb1EEEEDaS1A_S1B_EUlS1A_E_NS1_11comp_targetILNS1_3genE4ELNS1_11target_archE910ELNS1_3gpuE8ELNS1_3repE0EEENS1_30default_config_static_selectorELNS0_4arch9wavefront6targetE0EEEvT1_.uses_vcc, 0
	.set _ZN7rocprim17ROCPRIM_400000_NS6detail17trampoline_kernelINS0_14default_configENS1_25partition_config_selectorILNS1_17partition_subalgoE5EfNS0_10empty_typeEbEEZZNS1_14partition_implILS5_5ELb0ES3_mN6thrust23THRUST_200600_302600_NS6detail15normal_iteratorINSA_10device_ptrIfEEEEPS6_NSA_18transform_iteratorINSB_9not_fun_tI7is_trueIfEEENSC_INSD_IbEEEENSA_11use_defaultESO_EENS0_5tupleIJNSA_16discard_iteratorISO_EES6_EEENSQ_IJSG_SG_EEES6_PlJS6_EEE10hipError_tPvRmT3_T4_T5_T6_T7_T9_mT8_P12ihipStream_tbDpT10_ENKUlT_T0_E_clISt17integral_constantIbLb0EES1E_IbLb1EEEEDaS1A_S1B_EUlS1A_E_NS1_11comp_targetILNS1_3genE4ELNS1_11target_archE910ELNS1_3gpuE8ELNS1_3repE0EEENS1_30default_config_static_selectorELNS0_4arch9wavefront6targetE0EEEvT1_.uses_flat_scratch, 0
	.set _ZN7rocprim17ROCPRIM_400000_NS6detail17trampoline_kernelINS0_14default_configENS1_25partition_config_selectorILNS1_17partition_subalgoE5EfNS0_10empty_typeEbEEZZNS1_14partition_implILS5_5ELb0ES3_mN6thrust23THRUST_200600_302600_NS6detail15normal_iteratorINSA_10device_ptrIfEEEEPS6_NSA_18transform_iteratorINSB_9not_fun_tI7is_trueIfEEENSC_INSD_IbEEEENSA_11use_defaultESO_EENS0_5tupleIJNSA_16discard_iteratorISO_EES6_EEENSQ_IJSG_SG_EEES6_PlJS6_EEE10hipError_tPvRmT3_T4_T5_T6_T7_T9_mT8_P12ihipStream_tbDpT10_ENKUlT_T0_E_clISt17integral_constantIbLb0EES1E_IbLb1EEEEDaS1A_S1B_EUlS1A_E_NS1_11comp_targetILNS1_3genE4ELNS1_11target_archE910ELNS1_3gpuE8ELNS1_3repE0EEENS1_30default_config_static_selectorELNS0_4arch9wavefront6targetE0EEEvT1_.has_dyn_sized_stack, 0
	.set _ZN7rocprim17ROCPRIM_400000_NS6detail17trampoline_kernelINS0_14default_configENS1_25partition_config_selectorILNS1_17partition_subalgoE5EfNS0_10empty_typeEbEEZZNS1_14partition_implILS5_5ELb0ES3_mN6thrust23THRUST_200600_302600_NS6detail15normal_iteratorINSA_10device_ptrIfEEEEPS6_NSA_18transform_iteratorINSB_9not_fun_tI7is_trueIfEEENSC_INSD_IbEEEENSA_11use_defaultESO_EENS0_5tupleIJNSA_16discard_iteratorISO_EES6_EEENSQ_IJSG_SG_EEES6_PlJS6_EEE10hipError_tPvRmT3_T4_T5_T6_T7_T9_mT8_P12ihipStream_tbDpT10_ENKUlT_T0_E_clISt17integral_constantIbLb0EES1E_IbLb1EEEEDaS1A_S1B_EUlS1A_E_NS1_11comp_targetILNS1_3genE4ELNS1_11target_archE910ELNS1_3gpuE8ELNS1_3repE0EEENS1_30default_config_static_selectorELNS0_4arch9wavefront6targetE0EEEvT1_.has_recursion, 0
	.set _ZN7rocprim17ROCPRIM_400000_NS6detail17trampoline_kernelINS0_14default_configENS1_25partition_config_selectorILNS1_17partition_subalgoE5EfNS0_10empty_typeEbEEZZNS1_14partition_implILS5_5ELb0ES3_mN6thrust23THRUST_200600_302600_NS6detail15normal_iteratorINSA_10device_ptrIfEEEEPS6_NSA_18transform_iteratorINSB_9not_fun_tI7is_trueIfEEENSC_INSD_IbEEEENSA_11use_defaultESO_EENS0_5tupleIJNSA_16discard_iteratorISO_EES6_EEENSQ_IJSG_SG_EEES6_PlJS6_EEE10hipError_tPvRmT3_T4_T5_T6_T7_T9_mT8_P12ihipStream_tbDpT10_ENKUlT_T0_E_clISt17integral_constantIbLb0EES1E_IbLb1EEEEDaS1A_S1B_EUlS1A_E_NS1_11comp_targetILNS1_3genE4ELNS1_11target_archE910ELNS1_3gpuE8ELNS1_3repE0EEENS1_30default_config_static_selectorELNS0_4arch9wavefront6targetE0EEEvT1_.has_indirect_call, 0
	.section	.AMDGPU.csdata,"",@progbits
; Kernel info:
; codeLenInByte = 0
; TotalNumSgprs: 0
; NumVgprs: 0
; ScratchSize: 0
; MemoryBound: 0
; FloatMode: 240
; IeeeMode: 1
; LDSByteSize: 0 bytes/workgroup (compile time only)
; SGPRBlocks: 0
; VGPRBlocks: 0
; NumSGPRsForWavesPerEU: 1
; NumVGPRsForWavesPerEU: 1
; Occupancy: 16
; WaveLimiterHint : 0
; COMPUTE_PGM_RSRC2:SCRATCH_EN: 0
; COMPUTE_PGM_RSRC2:USER_SGPR: 2
; COMPUTE_PGM_RSRC2:TRAP_HANDLER: 0
; COMPUTE_PGM_RSRC2:TGID_X_EN: 1
; COMPUTE_PGM_RSRC2:TGID_Y_EN: 0
; COMPUTE_PGM_RSRC2:TGID_Z_EN: 0
; COMPUTE_PGM_RSRC2:TIDIG_COMP_CNT: 0
	.section	.text._ZN7rocprim17ROCPRIM_400000_NS6detail17trampoline_kernelINS0_14default_configENS1_25partition_config_selectorILNS1_17partition_subalgoE5EfNS0_10empty_typeEbEEZZNS1_14partition_implILS5_5ELb0ES3_mN6thrust23THRUST_200600_302600_NS6detail15normal_iteratorINSA_10device_ptrIfEEEEPS6_NSA_18transform_iteratorINSB_9not_fun_tI7is_trueIfEEENSC_INSD_IbEEEENSA_11use_defaultESO_EENS0_5tupleIJNSA_16discard_iteratorISO_EES6_EEENSQ_IJSG_SG_EEES6_PlJS6_EEE10hipError_tPvRmT3_T4_T5_T6_T7_T9_mT8_P12ihipStream_tbDpT10_ENKUlT_T0_E_clISt17integral_constantIbLb0EES1E_IbLb1EEEEDaS1A_S1B_EUlS1A_E_NS1_11comp_targetILNS1_3genE3ELNS1_11target_archE908ELNS1_3gpuE7ELNS1_3repE0EEENS1_30default_config_static_selectorELNS0_4arch9wavefront6targetE0EEEvT1_,"axG",@progbits,_ZN7rocprim17ROCPRIM_400000_NS6detail17trampoline_kernelINS0_14default_configENS1_25partition_config_selectorILNS1_17partition_subalgoE5EfNS0_10empty_typeEbEEZZNS1_14partition_implILS5_5ELb0ES3_mN6thrust23THRUST_200600_302600_NS6detail15normal_iteratorINSA_10device_ptrIfEEEEPS6_NSA_18transform_iteratorINSB_9not_fun_tI7is_trueIfEEENSC_INSD_IbEEEENSA_11use_defaultESO_EENS0_5tupleIJNSA_16discard_iteratorISO_EES6_EEENSQ_IJSG_SG_EEES6_PlJS6_EEE10hipError_tPvRmT3_T4_T5_T6_T7_T9_mT8_P12ihipStream_tbDpT10_ENKUlT_T0_E_clISt17integral_constantIbLb0EES1E_IbLb1EEEEDaS1A_S1B_EUlS1A_E_NS1_11comp_targetILNS1_3genE3ELNS1_11target_archE908ELNS1_3gpuE7ELNS1_3repE0EEENS1_30default_config_static_selectorELNS0_4arch9wavefront6targetE0EEEvT1_,comdat
	.protected	_ZN7rocprim17ROCPRIM_400000_NS6detail17trampoline_kernelINS0_14default_configENS1_25partition_config_selectorILNS1_17partition_subalgoE5EfNS0_10empty_typeEbEEZZNS1_14partition_implILS5_5ELb0ES3_mN6thrust23THRUST_200600_302600_NS6detail15normal_iteratorINSA_10device_ptrIfEEEEPS6_NSA_18transform_iteratorINSB_9not_fun_tI7is_trueIfEEENSC_INSD_IbEEEENSA_11use_defaultESO_EENS0_5tupleIJNSA_16discard_iteratorISO_EES6_EEENSQ_IJSG_SG_EEES6_PlJS6_EEE10hipError_tPvRmT3_T4_T5_T6_T7_T9_mT8_P12ihipStream_tbDpT10_ENKUlT_T0_E_clISt17integral_constantIbLb0EES1E_IbLb1EEEEDaS1A_S1B_EUlS1A_E_NS1_11comp_targetILNS1_3genE3ELNS1_11target_archE908ELNS1_3gpuE7ELNS1_3repE0EEENS1_30default_config_static_selectorELNS0_4arch9wavefront6targetE0EEEvT1_ ; -- Begin function _ZN7rocprim17ROCPRIM_400000_NS6detail17trampoline_kernelINS0_14default_configENS1_25partition_config_selectorILNS1_17partition_subalgoE5EfNS0_10empty_typeEbEEZZNS1_14partition_implILS5_5ELb0ES3_mN6thrust23THRUST_200600_302600_NS6detail15normal_iteratorINSA_10device_ptrIfEEEEPS6_NSA_18transform_iteratorINSB_9not_fun_tI7is_trueIfEEENSC_INSD_IbEEEENSA_11use_defaultESO_EENS0_5tupleIJNSA_16discard_iteratorISO_EES6_EEENSQ_IJSG_SG_EEES6_PlJS6_EEE10hipError_tPvRmT3_T4_T5_T6_T7_T9_mT8_P12ihipStream_tbDpT10_ENKUlT_T0_E_clISt17integral_constantIbLb0EES1E_IbLb1EEEEDaS1A_S1B_EUlS1A_E_NS1_11comp_targetILNS1_3genE3ELNS1_11target_archE908ELNS1_3gpuE7ELNS1_3repE0EEENS1_30default_config_static_selectorELNS0_4arch9wavefront6targetE0EEEvT1_
	.globl	_ZN7rocprim17ROCPRIM_400000_NS6detail17trampoline_kernelINS0_14default_configENS1_25partition_config_selectorILNS1_17partition_subalgoE5EfNS0_10empty_typeEbEEZZNS1_14partition_implILS5_5ELb0ES3_mN6thrust23THRUST_200600_302600_NS6detail15normal_iteratorINSA_10device_ptrIfEEEEPS6_NSA_18transform_iteratorINSB_9not_fun_tI7is_trueIfEEENSC_INSD_IbEEEENSA_11use_defaultESO_EENS0_5tupleIJNSA_16discard_iteratorISO_EES6_EEENSQ_IJSG_SG_EEES6_PlJS6_EEE10hipError_tPvRmT3_T4_T5_T6_T7_T9_mT8_P12ihipStream_tbDpT10_ENKUlT_T0_E_clISt17integral_constantIbLb0EES1E_IbLb1EEEEDaS1A_S1B_EUlS1A_E_NS1_11comp_targetILNS1_3genE3ELNS1_11target_archE908ELNS1_3gpuE7ELNS1_3repE0EEENS1_30default_config_static_selectorELNS0_4arch9wavefront6targetE0EEEvT1_
	.p2align	8
	.type	_ZN7rocprim17ROCPRIM_400000_NS6detail17trampoline_kernelINS0_14default_configENS1_25partition_config_selectorILNS1_17partition_subalgoE5EfNS0_10empty_typeEbEEZZNS1_14partition_implILS5_5ELb0ES3_mN6thrust23THRUST_200600_302600_NS6detail15normal_iteratorINSA_10device_ptrIfEEEEPS6_NSA_18transform_iteratorINSB_9not_fun_tI7is_trueIfEEENSC_INSD_IbEEEENSA_11use_defaultESO_EENS0_5tupleIJNSA_16discard_iteratorISO_EES6_EEENSQ_IJSG_SG_EEES6_PlJS6_EEE10hipError_tPvRmT3_T4_T5_T6_T7_T9_mT8_P12ihipStream_tbDpT10_ENKUlT_T0_E_clISt17integral_constantIbLb0EES1E_IbLb1EEEEDaS1A_S1B_EUlS1A_E_NS1_11comp_targetILNS1_3genE3ELNS1_11target_archE908ELNS1_3gpuE7ELNS1_3repE0EEENS1_30default_config_static_selectorELNS0_4arch9wavefront6targetE0EEEvT1_,@function
_ZN7rocprim17ROCPRIM_400000_NS6detail17trampoline_kernelINS0_14default_configENS1_25partition_config_selectorILNS1_17partition_subalgoE5EfNS0_10empty_typeEbEEZZNS1_14partition_implILS5_5ELb0ES3_mN6thrust23THRUST_200600_302600_NS6detail15normal_iteratorINSA_10device_ptrIfEEEEPS6_NSA_18transform_iteratorINSB_9not_fun_tI7is_trueIfEEENSC_INSD_IbEEEENSA_11use_defaultESO_EENS0_5tupleIJNSA_16discard_iteratorISO_EES6_EEENSQ_IJSG_SG_EEES6_PlJS6_EEE10hipError_tPvRmT3_T4_T5_T6_T7_T9_mT8_P12ihipStream_tbDpT10_ENKUlT_T0_E_clISt17integral_constantIbLb0EES1E_IbLb1EEEEDaS1A_S1B_EUlS1A_E_NS1_11comp_targetILNS1_3genE3ELNS1_11target_archE908ELNS1_3gpuE7ELNS1_3repE0EEENS1_30default_config_static_selectorELNS0_4arch9wavefront6targetE0EEEvT1_: ; @_ZN7rocprim17ROCPRIM_400000_NS6detail17trampoline_kernelINS0_14default_configENS1_25partition_config_selectorILNS1_17partition_subalgoE5EfNS0_10empty_typeEbEEZZNS1_14partition_implILS5_5ELb0ES3_mN6thrust23THRUST_200600_302600_NS6detail15normal_iteratorINSA_10device_ptrIfEEEEPS6_NSA_18transform_iteratorINSB_9not_fun_tI7is_trueIfEEENSC_INSD_IbEEEENSA_11use_defaultESO_EENS0_5tupleIJNSA_16discard_iteratorISO_EES6_EEENSQ_IJSG_SG_EEES6_PlJS6_EEE10hipError_tPvRmT3_T4_T5_T6_T7_T9_mT8_P12ihipStream_tbDpT10_ENKUlT_T0_E_clISt17integral_constantIbLb0EES1E_IbLb1EEEEDaS1A_S1B_EUlS1A_E_NS1_11comp_targetILNS1_3genE3ELNS1_11target_archE908ELNS1_3gpuE7ELNS1_3repE0EEENS1_30default_config_static_selectorELNS0_4arch9wavefront6targetE0EEEvT1_
; %bb.0:
	.section	.rodata,"a",@progbits
	.p2align	6, 0x0
	.amdhsa_kernel _ZN7rocprim17ROCPRIM_400000_NS6detail17trampoline_kernelINS0_14default_configENS1_25partition_config_selectorILNS1_17partition_subalgoE5EfNS0_10empty_typeEbEEZZNS1_14partition_implILS5_5ELb0ES3_mN6thrust23THRUST_200600_302600_NS6detail15normal_iteratorINSA_10device_ptrIfEEEEPS6_NSA_18transform_iteratorINSB_9not_fun_tI7is_trueIfEEENSC_INSD_IbEEEENSA_11use_defaultESO_EENS0_5tupleIJNSA_16discard_iteratorISO_EES6_EEENSQ_IJSG_SG_EEES6_PlJS6_EEE10hipError_tPvRmT3_T4_T5_T6_T7_T9_mT8_P12ihipStream_tbDpT10_ENKUlT_T0_E_clISt17integral_constantIbLb0EES1E_IbLb1EEEEDaS1A_S1B_EUlS1A_E_NS1_11comp_targetILNS1_3genE3ELNS1_11target_archE908ELNS1_3gpuE7ELNS1_3repE0EEENS1_30default_config_static_selectorELNS0_4arch9wavefront6targetE0EEEvT1_
		.amdhsa_group_segment_fixed_size 0
		.amdhsa_private_segment_fixed_size 0
		.amdhsa_kernarg_size 144
		.amdhsa_user_sgpr_count 2
		.amdhsa_user_sgpr_dispatch_ptr 0
		.amdhsa_user_sgpr_queue_ptr 0
		.amdhsa_user_sgpr_kernarg_segment_ptr 1
		.amdhsa_user_sgpr_dispatch_id 0
		.amdhsa_user_sgpr_private_segment_size 0
		.amdhsa_wavefront_size32 1
		.amdhsa_uses_dynamic_stack 0
		.amdhsa_enable_private_segment 0
		.amdhsa_system_sgpr_workgroup_id_x 1
		.amdhsa_system_sgpr_workgroup_id_y 0
		.amdhsa_system_sgpr_workgroup_id_z 0
		.amdhsa_system_sgpr_workgroup_info 0
		.amdhsa_system_vgpr_workitem_id 0
		.amdhsa_next_free_vgpr 1
		.amdhsa_next_free_sgpr 1
		.amdhsa_reserve_vcc 0
		.amdhsa_float_round_mode_32 0
		.amdhsa_float_round_mode_16_64 0
		.amdhsa_float_denorm_mode_32 3
		.amdhsa_float_denorm_mode_16_64 3
		.amdhsa_fp16_overflow 0
		.amdhsa_workgroup_processor_mode 1
		.amdhsa_memory_ordered 1
		.amdhsa_forward_progress 1
		.amdhsa_inst_pref_size 0
		.amdhsa_round_robin_scheduling 0
		.amdhsa_exception_fp_ieee_invalid_op 0
		.amdhsa_exception_fp_denorm_src 0
		.amdhsa_exception_fp_ieee_div_zero 0
		.amdhsa_exception_fp_ieee_overflow 0
		.amdhsa_exception_fp_ieee_underflow 0
		.amdhsa_exception_fp_ieee_inexact 0
		.amdhsa_exception_int_div_zero 0
	.end_amdhsa_kernel
	.section	.text._ZN7rocprim17ROCPRIM_400000_NS6detail17trampoline_kernelINS0_14default_configENS1_25partition_config_selectorILNS1_17partition_subalgoE5EfNS0_10empty_typeEbEEZZNS1_14partition_implILS5_5ELb0ES3_mN6thrust23THRUST_200600_302600_NS6detail15normal_iteratorINSA_10device_ptrIfEEEEPS6_NSA_18transform_iteratorINSB_9not_fun_tI7is_trueIfEEENSC_INSD_IbEEEENSA_11use_defaultESO_EENS0_5tupleIJNSA_16discard_iteratorISO_EES6_EEENSQ_IJSG_SG_EEES6_PlJS6_EEE10hipError_tPvRmT3_T4_T5_T6_T7_T9_mT8_P12ihipStream_tbDpT10_ENKUlT_T0_E_clISt17integral_constantIbLb0EES1E_IbLb1EEEEDaS1A_S1B_EUlS1A_E_NS1_11comp_targetILNS1_3genE3ELNS1_11target_archE908ELNS1_3gpuE7ELNS1_3repE0EEENS1_30default_config_static_selectorELNS0_4arch9wavefront6targetE0EEEvT1_,"axG",@progbits,_ZN7rocprim17ROCPRIM_400000_NS6detail17trampoline_kernelINS0_14default_configENS1_25partition_config_selectorILNS1_17partition_subalgoE5EfNS0_10empty_typeEbEEZZNS1_14partition_implILS5_5ELb0ES3_mN6thrust23THRUST_200600_302600_NS6detail15normal_iteratorINSA_10device_ptrIfEEEEPS6_NSA_18transform_iteratorINSB_9not_fun_tI7is_trueIfEEENSC_INSD_IbEEEENSA_11use_defaultESO_EENS0_5tupleIJNSA_16discard_iteratorISO_EES6_EEENSQ_IJSG_SG_EEES6_PlJS6_EEE10hipError_tPvRmT3_T4_T5_T6_T7_T9_mT8_P12ihipStream_tbDpT10_ENKUlT_T0_E_clISt17integral_constantIbLb0EES1E_IbLb1EEEEDaS1A_S1B_EUlS1A_E_NS1_11comp_targetILNS1_3genE3ELNS1_11target_archE908ELNS1_3gpuE7ELNS1_3repE0EEENS1_30default_config_static_selectorELNS0_4arch9wavefront6targetE0EEEvT1_,comdat
.Lfunc_end2648:
	.size	_ZN7rocprim17ROCPRIM_400000_NS6detail17trampoline_kernelINS0_14default_configENS1_25partition_config_selectorILNS1_17partition_subalgoE5EfNS0_10empty_typeEbEEZZNS1_14partition_implILS5_5ELb0ES3_mN6thrust23THRUST_200600_302600_NS6detail15normal_iteratorINSA_10device_ptrIfEEEEPS6_NSA_18transform_iteratorINSB_9not_fun_tI7is_trueIfEEENSC_INSD_IbEEEENSA_11use_defaultESO_EENS0_5tupleIJNSA_16discard_iteratorISO_EES6_EEENSQ_IJSG_SG_EEES6_PlJS6_EEE10hipError_tPvRmT3_T4_T5_T6_T7_T9_mT8_P12ihipStream_tbDpT10_ENKUlT_T0_E_clISt17integral_constantIbLb0EES1E_IbLb1EEEEDaS1A_S1B_EUlS1A_E_NS1_11comp_targetILNS1_3genE3ELNS1_11target_archE908ELNS1_3gpuE7ELNS1_3repE0EEENS1_30default_config_static_selectorELNS0_4arch9wavefront6targetE0EEEvT1_, .Lfunc_end2648-_ZN7rocprim17ROCPRIM_400000_NS6detail17trampoline_kernelINS0_14default_configENS1_25partition_config_selectorILNS1_17partition_subalgoE5EfNS0_10empty_typeEbEEZZNS1_14partition_implILS5_5ELb0ES3_mN6thrust23THRUST_200600_302600_NS6detail15normal_iteratorINSA_10device_ptrIfEEEEPS6_NSA_18transform_iteratorINSB_9not_fun_tI7is_trueIfEEENSC_INSD_IbEEEENSA_11use_defaultESO_EENS0_5tupleIJNSA_16discard_iteratorISO_EES6_EEENSQ_IJSG_SG_EEES6_PlJS6_EEE10hipError_tPvRmT3_T4_T5_T6_T7_T9_mT8_P12ihipStream_tbDpT10_ENKUlT_T0_E_clISt17integral_constantIbLb0EES1E_IbLb1EEEEDaS1A_S1B_EUlS1A_E_NS1_11comp_targetILNS1_3genE3ELNS1_11target_archE908ELNS1_3gpuE7ELNS1_3repE0EEENS1_30default_config_static_selectorELNS0_4arch9wavefront6targetE0EEEvT1_
                                        ; -- End function
	.set _ZN7rocprim17ROCPRIM_400000_NS6detail17trampoline_kernelINS0_14default_configENS1_25partition_config_selectorILNS1_17partition_subalgoE5EfNS0_10empty_typeEbEEZZNS1_14partition_implILS5_5ELb0ES3_mN6thrust23THRUST_200600_302600_NS6detail15normal_iteratorINSA_10device_ptrIfEEEEPS6_NSA_18transform_iteratorINSB_9not_fun_tI7is_trueIfEEENSC_INSD_IbEEEENSA_11use_defaultESO_EENS0_5tupleIJNSA_16discard_iteratorISO_EES6_EEENSQ_IJSG_SG_EEES6_PlJS6_EEE10hipError_tPvRmT3_T4_T5_T6_T7_T9_mT8_P12ihipStream_tbDpT10_ENKUlT_T0_E_clISt17integral_constantIbLb0EES1E_IbLb1EEEEDaS1A_S1B_EUlS1A_E_NS1_11comp_targetILNS1_3genE3ELNS1_11target_archE908ELNS1_3gpuE7ELNS1_3repE0EEENS1_30default_config_static_selectorELNS0_4arch9wavefront6targetE0EEEvT1_.num_vgpr, 0
	.set _ZN7rocprim17ROCPRIM_400000_NS6detail17trampoline_kernelINS0_14default_configENS1_25partition_config_selectorILNS1_17partition_subalgoE5EfNS0_10empty_typeEbEEZZNS1_14partition_implILS5_5ELb0ES3_mN6thrust23THRUST_200600_302600_NS6detail15normal_iteratorINSA_10device_ptrIfEEEEPS6_NSA_18transform_iteratorINSB_9not_fun_tI7is_trueIfEEENSC_INSD_IbEEEENSA_11use_defaultESO_EENS0_5tupleIJNSA_16discard_iteratorISO_EES6_EEENSQ_IJSG_SG_EEES6_PlJS6_EEE10hipError_tPvRmT3_T4_T5_T6_T7_T9_mT8_P12ihipStream_tbDpT10_ENKUlT_T0_E_clISt17integral_constantIbLb0EES1E_IbLb1EEEEDaS1A_S1B_EUlS1A_E_NS1_11comp_targetILNS1_3genE3ELNS1_11target_archE908ELNS1_3gpuE7ELNS1_3repE0EEENS1_30default_config_static_selectorELNS0_4arch9wavefront6targetE0EEEvT1_.num_agpr, 0
	.set _ZN7rocprim17ROCPRIM_400000_NS6detail17trampoline_kernelINS0_14default_configENS1_25partition_config_selectorILNS1_17partition_subalgoE5EfNS0_10empty_typeEbEEZZNS1_14partition_implILS5_5ELb0ES3_mN6thrust23THRUST_200600_302600_NS6detail15normal_iteratorINSA_10device_ptrIfEEEEPS6_NSA_18transform_iteratorINSB_9not_fun_tI7is_trueIfEEENSC_INSD_IbEEEENSA_11use_defaultESO_EENS0_5tupleIJNSA_16discard_iteratorISO_EES6_EEENSQ_IJSG_SG_EEES6_PlJS6_EEE10hipError_tPvRmT3_T4_T5_T6_T7_T9_mT8_P12ihipStream_tbDpT10_ENKUlT_T0_E_clISt17integral_constantIbLb0EES1E_IbLb1EEEEDaS1A_S1B_EUlS1A_E_NS1_11comp_targetILNS1_3genE3ELNS1_11target_archE908ELNS1_3gpuE7ELNS1_3repE0EEENS1_30default_config_static_selectorELNS0_4arch9wavefront6targetE0EEEvT1_.numbered_sgpr, 0
	.set _ZN7rocprim17ROCPRIM_400000_NS6detail17trampoline_kernelINS0_14default_configENS1_25partition_config_selectorILNS1_17partition_subalgoE5EfNS0_10empty_typeEbEEZZNS1_14partition_implILS5_5ELb0ES3_mN6thrust23THRUST_200600_302600_NS6detail15normal_iteratorINSA_10device_ptrIfEEEEPS6_NSA_18transform_iteratorINSB_9not_fun_tI7is_trueIfEEENSC_INSD_IbEEEENSA_11use_defaultESO_EENS0_5tupleIJNSA_16discard_iteratorISO_EES6_EEENSQ_IJSG_SG_EEES6_PlJS6_EEE10hipError_tPvRmT3_T4_T5_T6_T7_T9_mT8_P12ihipStream_tbDpT10_ENKUlT_T0_E_clISt17integral_constantIbLb0EES1E_IbLb1EEEEDaS1A_S1B_EUlS1A_E_NS1_11comp_targetILNS1_3genE3ELNS1_11target_archE908ELNS1_3gpuE7ELNS1_3repE0EEENS1_30default_config_static_selectorELNS0_4arch9wavefront6targetE0EEEvT1_.num_named_barrier, 0
	.set _ZN7rocprim17ROCPRIM_400000_NS6detail17trampoline_kernelINS0_14default_configENS1_25partition_config_selectorILNS1_17partition_subalgoE5EfNS0_10empty_typeEbEEZZNS1_14partition_implILS5_5ELb0ES3_mN6thrust23THRUST_200600_302600_NS6detail15normal_iteratorINSA_10device_ptrIfEEEEPS6_NSA_18transform_iteratorINSB_9not_fun_tI7is_trueIfEEENSC_INSD_IbEEEENSA_11use_defaultESO_EENS0_5tupleIJNSA_16discard_iteratorISO_EES6_EEENSQ_IJSG_SG_EEES6_PlJS6_EEE10hipError_tPvRmT3_T4_T5_T6_T7_T9_mT8_P12ihipStream_tbDpT10_ENKUlT_T0_E_clISt17integral_constantIbLb0EES1E_IbLb1EEEEDaS1A_S1B_EUlS1A_E_NS1_11comp_targetILNS1_3genE3ELNS1_11target_archE908ELNS1_3gpuE7ELNS1_3repE0EEENS1_30default_config_static_selectorELNS0_4arch9wavefront6targetE0EEEvT1_.private_seg_size, 0
	.set _ZN7rocprim17ROCPRIM_400000_NS6detail17trampoline_kernelINS0_14default_configENS1_25partition_config_selectorILNS1_17partition_subalgoE5EfNS0_10empty_typeEbEEZZNS1_14partition_implILS5_5ELb0ES3_mN6thrust23THRUST_200600_302600_NS6detail15normal_iteratorINSA_10device_ptrIfEEEEPS6_NSA_18transform_iteratorINSB_9not_fun_tI7is_trueIfEEENSC_INSD_IbEEEENSA_11use_defaultESO_EENS0_5tupleIJNSA_16discard_iteratorISO_EES6_EEENSQ_IJSG_SG_EEES6_PlJS6_EEE10hipError_tPvRmT3_T4_T5_T6_T7_T9_mT8_P12ihipStream_tbDpT10_ENKUlT_T0_E_clISt17integral_constantIbLb0EES1E_IbLb1EEEEDaS1A_S1B_EUlS1A_E_NS1_11comp_targetILNS1_3genE3ELNS1_11target_archE908ELNS1_3gpuE7ELNS1_3repE0EEENS1_30default_config_static_selectorELNS0_4arch9wavefront6targetE0EEEvT1_.uses_vcc, 0
	.set _ZN7rocprim17ROCPRIM_400000_NS6detail17trampoline_kernelINS0_14default_configENS1_25partition_config_selectorILNS1_17partition_subalgoE5EfNS0_10empty_typeEbEEZZNS1_14partition_implILS5_5ELb0ES3_mN6thrust23THRUST_200600_302600_NS6detail15normal_iteratorINSA_10device_ptrIfEEEEPS6_NSA_18transform_iteratorINSB_9not_fun_tI7is_trueIfEEENSC_INSD_IbEEEENSA_11use_defaultESO_EENS0_5tupleIJNSA_16discard_iteratorISO_EES6_EEENSQ_IJSG_SG_EEES6_PlJS6_EEE10hipError_tPvRmT3_T4_T5_T6_T7_T9_mT8_P12ihipStream_tbDpT10_ENKUlT_T0_E_clISt17integral_constantIbLb0EES1E_IbLb1EEEEDaS1A_S1B_EUlS1A_E_NS1_11comp_targetILNS1_3genE3ELNS1_11target_archE908ELNS1_3gpuE7ELNS1_3repE0EEENS1_30default_config_static_selectorELNS0_4arch9wavefront6targetE0EEEvT1_.uses_flat_scratch, 0
	.set _ZN7rocprim17ROCPRIM_400000_NS6detail17trampoline_kernelINS0_14default_configENS1_25partition_config_selectorILNS1_17partition_subalgoE5EfNS0_10empty_typeEbEEZZNS1_14partition_implILS5_5ELb0ES3_mN6thrust23THRUST_200600_302600_NS6detail15normal_iteratorINSA_10device_ptrIfEEEEPS6_NSA_18transform_iteratorINSB_9not_fun_tI7is_trueIfEEENSC_INSD_IbEEEENSA_11use_defaultESO_EENS0_5tupleIJNSA_16discard_iteratorISO_EES6_EEENSQ_IJSG_SG_EEES6_PlJS6_EEE10hipError_tPvRmT3_T4_T5_T6_T7_T9_mT8_P12ihipStream_tbDpT10_ENKUlT_T0_E_clISt17integral_constantIbLb0EES1E_IbLb1EEEEDaS1A_S1B_EUlS1A_E_NS1_11comp_targetILNS1_3genE3ELNS1_11target_archE908ELNS1_3gpuE7ELNS1_3repE0EEENS1_30default_config_static_selectorELNS0_4arch9wavefront6targetE0EEEvT1_.has_dyn_sized_stack, 0
	.set _ZN7rocprim17ROCPRIM_400000_NS6detail17trampoline_kernelINS0_14default_configENS1_25partition_config_selectorILNS1_17partition_subalgoE5EfNS0_10empty_typeEbEEZZNS1_14partition_implILS5_5ELb0ES3_mN6thrust23THRUST_200600_302600_NS6detail15normal_iteratorINSA_10device_ptrIfEEEEPS6_NSA_18transform_iteratorINSB_9not_fun_tI7is_trueIfEEENSC_INSD_IbEEEENSA_11use_defaultESO_EENS0_5tupleIJNSA_16discard_iteratorISO_EES6_EEENSQ_IJSG_SG_EEES6_PlJS6_EEE10hipError_tPvRmT3_T4_T5_T6_T7_T9_mT8_P12ihipStream_tbDpT10_ENKUlT_T0_E_clISt17integral_constantIbLb0EES1E_IbLb1EEEEDaS1A_S1B_EUlS1A_E_NS1_11comp_targetILNS1_3genE3ELNS1_11target_archE908ELNS1_3gpuE7ELNS1_3repE0EEENS1_30default_config_static_selectorELNS0_4arch9wavefront6targetE0EEEvT1_.has_recursion, 0
	.set _ZN7rocprim17ROCPRIM_400000_NS6detail17trampoline_kernelINS0_14default_configENS1_25partition_config_selectorILNS1_17partition_subalgoE5EfNS0_10empty_typeEbEEZZNS1_14partition_implILS5_5ELb0ES3_mN6thrust23THRUST_200600_302600_NS6detail15normal_iteratorINSA_10device_ptrIfEEEEPS6_NSA_18transform_iteratorINSB_9not_fun_tI7is_trueIfEEENSC_INSD_IbEEEENSA_11use_defaultESO_EENS0_5tupleIJNSA_16discard_iteratorISO_EES6_EEENSQ_IJSG_SG_EEES6_PlJS6_EEE10hipError_tPvRmT3_T4_T5_T6_T7_T9_mT8_P12ihipStream_tbDpT10_ENKUlT_T0_E_clISt17integral_constantIbLb0EES1E_IbLb1EEEEDaS1A_S1B_EUlS1A_E_NS1_11comp_targetILNS1_3genE3ELNS1_11target_archE908ELNS1_3gpuE7ELNS1_3repE0EEENS1_30default_config_static_selectorELNS0_4arch9wavefront6targetE0EEEvT1_.has_indirect_call, 0
	.section	.AMDGPU.csdata,"",@progbits
; Kernel info:
; codeLenInByte = 0
; TotalNumSgprs: 0
; NumVgprs: 0
; ScratchSize: 0
; MemoryBound: 0
; FloatMode: 240
; IeeeMode: 1
; LDSByteSize: 0 bytes/workgroup (compile time only)
; SGPRBlocks: 0
; VGPRBlocks: 0
; NumSGPRsForWavesPerEU: 1
; NumVGPRsForWavesPerEU: 1
; Occupancy: 16
; WaveLimiterHint : 0
; COMPUTE_PGM_RSRC2:SCRATCH_EN: 0
; COMPUTE_PGM_RSRC2:USER_SGPR: 2
; COMPUTE_PGM_RSRC2:TRAP_HANDLER: 0
; COMPUTE_PGM_RSRC2:TGID_X_EN: 1
; COMPUTE_PGM_RSRC2:TGID_Y_EN: 0
; COMPUTE_PGM_RSRC2:TGID_Z_EN: 0
; COMPUTE_PGM_RSRC2:TIDIG_COMP_CNT: 0
	.section	.text._ZN7rocprim17ROCPRIM_400000_NS6detail17trampoline_kernelINS0_14default_configENS1_25partition_config_selectorILNS1_17partition_subalgoE5EfNS0_10empty_typeEbEEZZNS1_14partition_implILS5_5ELb0ES3_mN6thrust23THRUST_200600_302600_NS6detail15normal_iteratorINSA_10device_ptrIfEEEEPS6_NSA_18transform_iteratorINSB_9not_fun_tI7is_trueIfEEENSC_INSD_IbEEEENSA_11use_defaultESO_EENS0_5tupleIJNSA_16discard_iteratorISO_EES6_EEENSQ_IJSG_SG_EEES6_PlJS6_EEE10hipError_tPvRmT3_T4_T5_T6_T7_T9_mT8_P12ihipStream_tbDpT10_ENKUlT_T0_E_clISt17integral_constantIbLb0EES1E_IbLb1EEEEDaS1A_S1B_EUlS1A_E_NS1_11comp_targetILNS1_3genE2ELNS1_11target_archE906ELNS1_3gpuE6ELNS1_3repE0EEENS1_30default_config_static_selectorELNS0_4arch9wavefront6targetE0EEEvT1_,"axG",@progbits,_ZN7rocprim17ROCPRIM_400000_NS6detail17trampoline_kernelINS0_14default_configENS1_25partition_config_selectorILNS1_17partition_subalgoE5EfNS0_10empty_typeEbEEZZNS1_14partition_implILS5_5ELb0ES3_mN6thrust23THRUST_200600_302600_NS6detail15normal_iteratorINSA_10device_ptrIfEEEEPS6_NSA_18transform_iteratorINSB_9not_fun_tI7is_trueIfEEENSC_INSD_IbEEEENSA_11use_defaultESO_EENS0_5tupleIJNSA_16discard_iteratorISO_EES6_EEENSQ_IJSG_SG_EEES6_PlJS6_EEE10hipError_tPvRmT3_T4_T5_T6_T7_T9_mT8_P12ihipStream_tbDpT10_ENKUlT_T0_E_clISt17integral_constantIbLb0EES1E_IbLb1EEEEDaS1A_S1B_EUlS1A_E_NS1_11comp_targetILNS1_3genE2ELNS1_11target_archE906ELNS1_3gpuE6ELNS1_3repE0EEENS1_30default_config_static_selectorELNS0_4arch9wavefront6targetE0EEEvT1_,comdat
	.protected	_ZN7rocprim17ROCPRIM_400000_NS6detail17trampoline_kernelINS0_14default_configENS1_25partition_config_selectorILNS1_17partition_subalgoE5EfNS0_10empty_typeEbEEZZNS1_14partition_implILS5_5ELb0ES3_mN6thrust23THRUST_200600_302600_NS6detail15normal_iteratorINSA_10device_ptrIfEEEEPS6_NSA_18transform_iteratorINSB_9not_fun_tI7is_trueIfEEENSC_INSD_IbEEEENSA_11use_defaultESO_EENS0_5tupleIJNSA_16discard_iteratorISO_EES6_EEENSQ_IJSG_SG_EEES6_PlJS6_EEE10hipError_tPvRmT3_T4_T5_T6_T7_T9_mT8_P12ihipStream_tbDpT10_ENKUlT_T0_E_clISt17integral_constantIbLb0EES1E_IbLb1EEEEDaS1A_S1B_EUlS1A_E_NS1_11comp_targetILNS1_3genE2ELNS1_11target_archE906ELNS1_3gpuE6ELNS1_3repE0EEENS1_30default_config_static_selectorELNS0_4arch9wavefront6targetE0EEEvT1_ ; -- Begin function _ZN7rocprim17ROCPRIM_400000_NS6detail17trampoline_kernelINS0_14default_configENS1_25partition_config_selectorILNS1_17partition_subalgoE5EfNS0_10empty_typeEbEEZZNS1_14partition_implILS5_5ELb0ES3_mN6thrust23THRUST_200600_302600_NS6detail15normal_iteratorINSA_10device_ptrIfEEEEPS6_NSA_18transform_iteratorINSB_9not_fun_tI7is_trueIfEEENSC_INSD_IbEEEENSA_11use_defaultESO_EENS0_5tupleIJNSA_16discard_iteratorISO_EES6_EEENSQ_IJSG_SG_EEES6_PlJS6_EEE10hipError_tPvRmT3_T4_T5_T6_T7_T9_mT8_P12ihipStream_tbDpT10_ENKUlT_T0_E_clISt17integral_constantIbLb0EES1E_IbLb1EEEEDaS1A_S1B_EUlS1A_E_NS1_11comp_targetILNS1_3genE2ELNS1_11target_archE906ELNS1_3gpuE6ELNS1_3repE0EEENS1_30default_config_static_selectorELNS0_4arch9wavefront6targetE0EEEvT1_
	.globl	_ZN7rocprim17ROCPRIM_400000_NS6detail17trampoline_kernelINS0_14default_configENS1_25partition_config_selectorILNS1_17partition_subalgoE5EfNS0_10empty_typeEbEEZZNS1_14partition_implILS5_5ELb0ES3_mN6thrust23THRUST_200600_302600_NS6detail15normal_iteratorINSA_10device_ptrIfEEEEPS6_NSA_18transform_iteratorINSB_9not_fun_tI7is_trueIfEEENSC_INSD_IbEEEENSA_11use_defaultESO_EENS0_5tupleIJNSA_16discard_iteratorISO_EES6_EEENSQ_IJSG_SG_EEES6_PlJS6_EEE10hipError_tPvRmT3_T4_T5_T6_T7_T9_mT8_P12ihipStream_tbDpT10_ENKUlT_T0_E_clISt17integral_constantIbLb0EES1E_IbLb1EEEEDaS1A_S1B_EUlS1A_E_NS1_11comp_targetILNS1_3genE2ELNS1_11target_archE906ELNS1_3gpuE6ELNS1_3repE0EEENS1_30default_config_static_selectorELNS0_4arch9wavefront6targetE0EEEvT1_
	.p2align	8
	.type	_ZN7rocprim17ROCPRIM_400000_NS6detail17trampoline_kernelINS0_14default_configENS1_25partition_config_selectorILNS1_17partition_subalgoE5EfNS0_10empty_typeEbEEZZNS1_14partition_implILS5_5ELb0ES3_mN6thrust23THRUST_200600_302600_NS6detail15normal_iteratorINSA_10device_ptrIfEEEEPS6_NSA_18transform_iteratorINSB_9not_fun_tI7is_trueIfEEENSC_INSD_IbEEEENSA_11use_defaultESO_EENS0_5tupleIJNSA_16discard_iteratorISO_EES6_EEENSQ_IJSG_SG_EEES6_PlJS6_EEE10hipError_tPvRmT3_T4_T5_T6_T7_T9_mT8_P12ihipStream_tbDpT10_ENKUlT_T0_E_clISt17integral_constantIbLb0EES1E_IbLb1EEEEDaS1A_S1B_EUlS1A_E_NS1_11comp_targetILNS1_3genE2ELNS1_11target_archE906ELNS1_3gpuE6ELNS1_3repE0EEENS1_30default_config_static_selectorELNS0_4arch9wavefront6targetE0EEEvT1_,@function
_ZN7rocprim17ROCPRIM_400000_NS6detail17trampoline_kernelINS0_14default_configENS1_25partition_config_selectorILNS1_17partition_subalgoE5EfNS0_10empty_typeEbEEZZNS1_14partition_implILS5_5ELb0ES3_mN6thrust23THRUST_200600_302600_NS6detail15normal_iteratorINSA_10device_ptrIfEEEEPS6_NSA_18transform_iteratorINSB_9not_fun_tI7is_trueIfEEENSC_INSD_IbEEEENSA_11use_defaultESO_EENS0_5tupleIJNSA_16discard_iteratorISO_EES6_EEENSQ_IJSG_SG_EEES6_PlJS6_EEE10hipError_tPvRmT3_T4_T5_T6_T7_T9_mT8_P12ihipStream_tbDpT10_ENKUlT_T0_E_clISt17integral_constantIbLb0EES1E_IbLb1EEEEDaS1A_S1B_EUlS1A_E_NS1_11comp_targetILNS1_3genE2ELNS1_11target_archE906ELNS1_3gpuE6ELNS1_3repE0EEENS1_30default_config_static_selectorELNS0_4arch9wavefront6targetE0EEEvT1_: ; @_ZN7rocprim17ROCPRIM_400000_NS6detail17trampoline_kernelINS0_14default_configENS1_25partition_config_selectorILNS1_17partition_subalgoE5EfNS0_10empty_typeEbEEZZNS1_14partition_implILS5_5ELb0ES3_mN6thrust23THRUST_200600_302600_NS6detail15normal_iteratorINSA_10device_ptrIfEEEEPS6_NSA_18transform_iteratorINSB_9not_fun_tI7is_trueIfEEENSC_INSD_IbEEEENSA_11use_defaultESO_EENS0_5tupleIJNSA_16discard_iteratorISO_EES6_EEENSQ_IJSG_SG_EEES6_PlJS6_EEE10hipError_tPvRmT3_T4_T5_T6_T7_T9_mT8_P12ihipStream_tbDpT10_ENKUlT_T0_E_clISt17integral_constantIbLb0EES1E_IbLb1EEEEDaS1A_S1B_EUlS1A_E_NS1_11comp_targetILNS1_3genE2ELNS1_11target_archE906ELNS1_3gpuE6ELNS1_3repE0EEENS1_30default_config_static_selectorELNS0_4arch9wavefront6targetE0EEEvT1_
; %bb.0:
	.section	.rodata,"a",@progbits
	.p2align	6, 0x0
	.amdhsa_kernel _ZN7rocprim17ROCPRIM_400000_NS6detail17trampoline_kernelINS0_14default_configENS1_25partition_config_selectorILNS1_17partition_subalgoE5EfNS0_10empty_typeEbEEZZNS1_14partition_implILS5_5ELb0ES3_mN6thrust23THRUST_200600_302600_NS6detail15normal_iteratorINSA_10device_ptrIfEEEEPS6_NSA_18transform_iteratorINSB_9not_fun_tI7is_trueIfEEENSC_INSD_IbEEEENSA_11use_defaultESO_EENS0_5tupleIJNSA_16discard_iteratorISO_EES6_EEENSQ_IJSG_SG_EEES6_PlJS6_EEE10hipError_tPvRmT3_T4_T5_T6_T7_T9_mT8_P12ihipStream_tbDpT10_ENKUlT_T0_E_clISt17integral_constantIbLb0EES1E_IbLb1EEEEDaS1A_S1B_EUlS1A_E_NS1_11comp_targetILNS1_3genE2ELNS1_11target_archE906ELNS1_3gpuE6ELNS1_3repE0EEENS1_30default_config_static_selectorELNS0_4arch9wavefront6targetE0EEEvT1_
		.amdhsa_group_segment_fixed_size 0
		.amdhsa_private_segment_fixed_size 0
		.amdhsa_kernarg_size 144
		.amdhsa_user_sgpr_count 2
		.amdhsa_user_sgpr_dispatch_ptr 0
		.amdhsa_user_sgpr_queue_ptr 0
		.amdhsa_user_sgpr_kernarg_segment_ptr 1
		.amdhsa_user_sgpr_dispatch_id 0
		.amdhsa_user_sgpr_private_segment_size 0
		.amdhsa_wavefront_size32 1
		.amdhsa_uses_dynamic_stack 0
		.amdhsa_enable_private_segment 0
		.amdhsa_system_sgpr_workgroup_id_x 1
		.amdhsa_system_sgpr_workgroup_id_y 0
		.amdhsa_system_sgpr_workgroup_id_z 0
		.amdhsa_system_sgpr_workgroup_info 0
		.amdhsa_system_vgpr_workitem_id 0
		.amdhsa_next_free_vgpr 1
		.amdhsa_next_free_sgpr 1
		.amdhsa_reserve_vcc 0
		.amdhsa_float_round_mode_32 0
		.amdhsa_float_round_mode_16_64 0
		.amdhsa_float_denorm_mode_32 3
		.amdhsa_float_denorm_mode_16_64 3
		.amdhsa_fp16_overflow 0
		.amdhsa_workgroup_processor_mode 1
		.amdhsa_memory_ordered 1
		.amdhsa_forward_progress 1
		.amdhsa_inst_pref_size 0
		.amdhsa_round_robin_scheduling 0
		.amdhsa_exception_fp_ieee_invalid_op 0
		.amdhsa_exception_fp_denorm_src 0
		.amdhsa_exception_fp_ieee_div_zero 0
		.amdhsa_exception_fp_ieee_overflow 0
		.amdhsa_exception_fp_ieee_underflow 0
		.amdhsa_exception_fp_ieee_inexact 0
		.amdhsa_exception_int_div_zero 0
	.end_amdhsa_kernel
	.section	.text._ZN7rocprim17ROCPRIM_400000_NS6detail17trampoline_kernelINS0_14default_configENS1_25partition_config_selectorILNS1_17partition_subalgoE5EfNS0_10empty_typeEbEEZZNS1_14partition_implILS5_5ELb0ES3_mN6thrust23THRUST_200600_302600_NS6detail15normal_iteratorINSA_10device_ptrIfEEEEPS6_NSA_18transform_iteratorINSB_9not_fun_tI7is_trueIfEEENSC_INSD_IbEEEENSA_11use_defaultESO_EENS0_5tupleIJNSA_16discard_iteratorISO_EES6_EEENSQ_IJSG_SG_EEES6_PlJS6_EEE10hipError_tPvRmT3_T4_T5_T6_T7_T9_mT8_P12ihipStream_tbDpT10_ENKUlT_T0_E_clISt17integral_constantIbLb0EES1E_IbLb1EEEEDaS1A_S1B_EUlS1A_E_NS1_11comp_targetILNS1_3genE2ELNS1_11target_archE906ELNS1_3gpuE6ELNS1_3repE0EEENS1_30default_config_static_selectorELNS0_4arch9wavefront6targetE0EEEvT1_,"axG",@progbits,_ZN7rocprim17ROCPRIM_400000_NS6detail17trampoline_kernelINS0_14default_configENS1_25partition_config_selectorILNS1_17partition_subalgoE5EfNS0_10empty_typeEbEEZZNS1_14partition_implILS5_5ELb0ES3_mN6thrust23THRUST_200600_302600_NS6detail15normal_iteratorINSA_10device_ptrIfEEEEPS6_NSA_18transform_iteratorINSB_9not_fun_tI7is_trueIfEEENSC_INSD_IbEEEENSA_11use_defaultESO_EENS0_5tupleIJNSA_16discard_iteratorISO_EES6_EEENSQ_IJSG_SG_EEES6_PlJS6_EEE10hipError_tPvRmT3_T4_T5_T6_T7_T9_mT8_P12ihipStream_tbDpT10_ENKUlT_T0_E_clISt17integral_constantIbLb0EES1E_IbLb1EEEEDaS1A_S1B_EUlS1A_E_NS1_11comp_targetILNS1_3genE2ELNS1_11target_archE906ELNS1_3gpuE6ELNS1_3repE0EEENS1_30default_config_static_selectorELNS0_4arch9wavefront6targetE0EEEvT1_,comdat
.Lfunc_end2649:
	.size	_ZN7rocprim17ROCPRIM_400000_NS6detail17trampoline_kernelINS0_14default_configENS1_25partition_config_selectorILNS1_17partition_subalgoE5EfNS0_10empty_typeEbEEZZNS1_14partition_implILS5_5ELb0ES3_mN6thrust23THRUST_200600_302600_NS6detail15normal_iteratorINSA_10device_ptrIfEEEEPS6_NSA_18transform_iteratorINSB_9not_fun_tI7is_trueIfEEENSC_INSD_IbEEEENSA_11use_defaultESO_EENS0_5tupleIJNSA_16discard_iteratorISO_EES6_EEENSQ_IJSG_SG_EEES6_PlJS6_EEE10hipError_tPvRmT3_T4_T5_T6_T7_T9_mT8_P12ihipStream_tbDpT10_ENKUlT_T0_E_clISt17integral_constantIbLb0EES1E_IbLb1EEEEDaS1A_S1B_EUlS1A_E_NS1_11comp_targetILNS1_3genE2ELNS1_11target_archE906ELNS1_3gpuE6ELNS1_3repE0EEENS1_30default_config_static_selectorELNS0_4arch9wavefront6targetE0EEEvT1_, .Lfunc_end2649-_ZN7rocprim17ROCPRIM_400000_NS6detail17trampoline_kernelINS0_14default_configENS1_25partition_config_selectorILNS1_17partition_subalgoE5EfNS0_10empty_typeEbEEZZNS1_14partition_implILS5_5ELb0ES3_mN6thrust23THRUST_200600_302600_NS6detail15normal_iteratorINSA_10device_ptrIfEEEEPS6_NSA_18transform_iteratorINSB_9not_fun_tI7is_trueIfEEENSC_INSD_IbEEEENSA_11use_defaultESO_EENS0_5tupleIJNSA_16discard_iteratorISO_EES6_EEENSQ_IJSG_SG_EEES6_PlJS6_EEE10hipError_tPvRmT3_T4_T5_T6_T7_T9_mT8_P12ihipStream_tbDpT10_ENKUlT_T0_E_clISt17integral_constantIbLb0EES1E_IbLb1EEEEDaS1A_S1B_EUlS1A_E_NS1_11comp_targetILNS1_3genE2ELNS1_11target_archE906ELNS1_3gpuE6ELNS1_3repE0EEENS1_30default_config_static_selectorELNS0_4arch9wavefront6targetE0EEEvT1_
                                        ; -- End function
	.set _ZN7rocprim17ROCPRIM_400000_NS6detail17trampoline_kernelINS0_14default_configENS1_25partition_config_selectorILNS1_17partition_subalgoE5EfNS0_10empty_typeEbEEZZNS1_14partition_implILS5_5ELb0ES3_mN6thrust23THRUST_200600_302600_NS6detail15normal_iteratorINSA_10device_ptrIfEEEEPS6_NSA_18transform_iteratorINSB_9not_fun_tI7is_trueIfEEENSC_INSD_IbEEEENSA_11use_defaultESO_EENS0_5tupleIJNSA_16discard_iteratorISO_EES6_EEENSQ_IJSG_SG_EEES6_PlJS6_EEE10hipError_tPvRmT3_T4_T5_T6_T7_T9_mT8_P12ihipStream_tbDpT10_ENKUlT_T0_E_clISt17integral_constantIbLb0EES1E_IbLb1EEEEDaS1A_S1B_EUlS1A_E_NS1_11comp_targetILNS1_3genE2ELNS1_11target_archE906ELNS1_3gpuE6ELNS1_3repE0EEENS1_30default_config_static_selectorELNS0_4arch9wavefront6targetE0EEEvT1_.num_vgpr, 0
	.set _ZN7rocprim17ROCPRIM_400000_NS6detail17trampoline_kernelINS0_14default_configENS1_25partition_config_selectorILNS1_17partition_subalgoE5EfNS0_10empty_typeEbEEZZNS1_14partition_implILS5_5ELb0ES3_mN6thrust23THRUST_200600_302600_NS6detail15normal_iteratorINSA_10device_ptrIfEEEEPS6_NSA_18transform_iteratorINSB_9not_fun_tI7is_trueIfEEENSC_INSD_IbEEEENSA_11use_defaultESO_EENS0_5tupleIJNSA_16discard_iteratorISO_EES6_EEENSQ_IJSG_SG_EEES6_PlJS6_EEE10hipError_tPvRmT3_T4_T5_T6_T7_T9_mT8_P12ihipStream_tbDpT10_ENKUlT_T0_E_clISt17integral_constantIbLb0EES1E_IbLb1EEEEDaS1A_S1B_EUlS1A_E_NS1_11comp_targetILNS1_3genE2ELNS1_11target_archE906ELNS1_3gpuE6ELNS1_3repE0EEENS1_30default_config_static_selectorELNS0_4arch9wavefront6targetE0EEEvT1_.num_agpr, 0
	.set _ZN7rocprim17ROCPRIM_400000_NS6detail17trampoline_kernelINS0_14default_configENS1_25partition_config_selectorILNS1_17partition_subalgoE5EfNS0_10empty_typeEbEEZZNS1_14partition_implILS5_5ELb0ES3_mN6thrust23THRUST_200600_302600_NS6detail15normal_iteratorINSA_10device_ptrIfEEEEPS6_NSA_18transform_iteratorINSB_9not_fun_tI7is_trueIfEEENSC_INSD_IbEEEENSA_11use_defaultESO_EENS0_5tupleIJNSA_16discard_iteratorISO_EES6_EEENSQ_IJSG_SG_EEES6_PlJS6_EEE10hipError_tPvRmT3_T4_T5_T6_T7_T9_mT8_P12ihipStream_tbDpT10_ENKUlT_T0_E_clISt17integral_constantIbLb0EES1E_IbLb1EEEEDaS1A_S1B_EUlS1A_E_NS1_11comp_targetILNS1_3genE2ELNS1_11target_archE906ELNS1_3gpuE6ELNS1_3repE0EEENS1_30default_config_static_selectorELNS0_4arch9wavefront6targetE0EEEvT1_.numbered_sgpr, 0
	.set _ZN7rocprim17ROCPRIM_400000_NS6detail17trampoline_kernelINS0_14default_configENS1_25partition_config_selectorILNS1_17partition_subalgoE5EfNS0_10empty_typeEbEEZZNS1_14partition_implILS5_5ELb0ES3_mN6thrust23THRUST_200600_302600_NS6detail15normal_iteratorINSA_10device_ptrIfEEEEPS6_NSA_18transform_iteratorINSB_9not_fun_tI7is_trueIfEEENSC_INSD_IbEEEENSA_11use_defaultESO_EENS0_5tupleIJNSA_16discard_iteratorISO_EES6_EEENSQ_IJSG_SG_EEES6_PlJS6_EEE10hipError_tPvRmT3_T4_T5_T6_T7_T9_mT8_P12ihipStream_tbDpT10_ENKUlT_T0_E_clISt17integral_constantIbLb0EES1E_IbLb1EEEEDaS1A_S1B_EUlS1A_E_NS1_11comp_targetILNS1_3genE2ELNS1_11target_archE906ELNS1_3gpuE6ELNS1_3repE0EEENS1_30default_config_static_selectorELNS0_4arch9wavefront6targetE0EEEvT1_.num_named_barrier, 0
	.set _ZN7rocprim17ROCPRIM_400000_NS6detail17trampoline_kernelINS0_14default_configENS1_25partition_config_selectorILNS1_17partition_subalgoE5EfNS0_10empty_typeEbEEZZNS1_14partition_implILS5_5ELb0ES3_mN6thrust23THRUST_200600_302600_NS6detail15normal_iteratorINSA_10device_ptrIfEEEEPS6_NSA_18transform_iteratorINSB_9not_fun_tI7is_trueIfEEENSC_INSD_IbEEEENSA_11use_defaultESO_EENS0_5tupleIJNSA_16discard_iteratorISO_EES6_EEENSQ_IJSG_SG_EEES6_PlJS6_EEE10hipError_tPvRmT3_T4_T5_T6_T7_T9_mT8_P12ihipStream_tbDpT10_ENKUlT_T0_E_clISt17integral_constantIbLb0EES1E_IbLb1EEEEDaS1A_S1B_EUlS1A_E_NS1_11comp_targetILNS1_3genE2ELNS1_11target_archE906ELNS1_3gpuE6ELNS1_3repE0EEENS1_30default_config_static_selectorELNS0_4arch9wavefront6targetE0EEEvT1_.private_seg_size, 0
	.set _ZN7rocprim17ROCPRIM_400000_NS6detail17trampoline_kernelINS0_14default_configENS1_25partition_config_selectorILNS1_17partition_subalgoE5EfNS0_10empty_typeEbEEZZNS1_14partition_implILS5_5ELb0ES3_mN6thrust23THRUST_200600_302600_NS6detail15normal_iteratorINSA_10device_ptrIfEEEEPS6_NSA_18transform_iteratorINSB_9not_fun_tI7is_trueIfEEENSC_INSD_IbEEEENSA_11use_defaultESO_EENS0_5tupleIJNSA_16discard_iteratorISO_EES6_EEENSQ_IJSG_SG_EEES6_PlJS6_EEE10hipError_tPvRmT3_T4_T5_T6_T7_T9_mT8_P12ihipStream_tbDpT10_ENKUlT_T0_E_clISt17integral_constantIbLb0EES1E_IbLb1EEEEDaS1A_S1B_EUlS1A_E_NS1_11comp_targetILNS1_3genE2ELNS1_11target_archE906ELNS1_3gpuE6ELNS1_3repE0EEENS1_30default_config_static_selectorELNS0_4arch9wavefront6targetE0EEEvT1_.uses_vcc, 0
	.set _ZN7rocprim17ROCPRIM_400000_NS6detail17trampoline_kernelINS0_14default_configENS1_25partition_config_selectorILNS1_17partition_subalgoE5EfNS0_10empty_typeEbEEZZNS1_14partition_implILS5_5ELb0ES3_mN6thrust23THRUST_200600_302600_NS6detail15normal_iteratorINSA_10device_ptrIfEEEEPS6_NSA_18transform_iteratorINSB_9not_fun_tI7is_trueIfEEENSC_INSD_IbEEEENSA_11use_defaultESO_EENS0_5tupleIJNSA_16discard_iteratorISO_EES6_EEENSQ_IJSG_SG_EEES6_PlJS6_EEE10hipError_tPvRmT3_T4_T5_T6_T7_T9_mT8_P12ihipStream_tbDpT10_ENKUlT_T0_E_clISt17integral_constantIbLb0EES1E_IbLb1EEEEDaS1A_S1B_EUlS1A_E_NS1_11comp_targetILNS1_3genE2ELNS1_11target_archE906ELNS1_3gpuE6ELNS1_3repE0EEENS1_30default_config_static_selectorELNS0_4arch9wavefront6targetE0EEEvT1_.uses_flat_scratch, 0
	.set _ZN7rocprim17ROCPRIM_400000_NS6detail17trampoline_kernelINS0_14default_configENS1_25partition_config_selectorILNS1_17partition_subalgoE5EfNS0_10empty_typeEbEEZZNS1_14partition_implILS5_5ELb0ES3_mN6thrust23THRUST_200600_302600_NS6detail15normal_iteratorINSA_10device_ptrIfEEEEPS6_NSA_18transform_iteratorINSB_9not_fun_tI7is_trueIfEEENSC_INSD_IbEEEENSA_11use_defaultESO_EENS0_5tupleIJNSA_16discard_iteratorISO_EES6_EEENSQ_IJSG_SG_EEES6_PlJS6_EEE10hipError_tPvRmT3_T4_T5_T6_T7_T9_mT8_P12ihipStream_tbDpT10_ENKUlT_T0_E_clISt17integral_constantIbLb0EES1E_IbLb1EEEEDaS1A_S1B_EUlS1A_E_NS1_11comp_targetILNS1_3genE2ELNS1_11target_archE906ELNS1_3gpuE6ELNS1_3repE0EEENS1_30default_config_static_selectorELNS0_4arch9wavefront6targetE0EEEvT1_.has_dyn_sized_stack, 0
	.set _ZN7rocprim17ROCPRIM_400000_NS6detail17trampoline_kernelINS0_14default_configENS1_25partition_config_selectorILNS1_17partition_subalgoE5EfNS0_10empty_typeEbEEZZNS1_14partition_implILS5_5ELb0ES3_mN6thrust23THRUST_200600_302600_NS6detail15normal_iteratorINSA_10device_ptrIfEEEEPS6_NSA_18transform_iteratorINSB_9not_fun_tI7is_trueIfEEENSC_INSD_IbEEEENSA_11use_defaultESO_EENS0_5tupleIJNSA_16discard_iteratorISO_EES6_EEENSQ_IJSG_SG_EEES6_PlJS6_EEE10hipError_tPvRmT3_T4_T5_T6_T7_T9_mT8_P12ihipStream_tbDpT10_ENKUlT_T0_E_clISt17integral_constantIbLb0EES1E_IbLb1EEEEDaS1A_S1B_EUlS1A_E_NS1_11comp_targetILNS1_3genE2ELNS1_11target_archE906ELNS1_3gpuE6ELNS1_3repE0EEENS1_30default_config_static_selectorELNS0_4arch9wavefront6targetE0EEEvT1_.has_recursion, 0
	.set _ZN7rocprim17ROCPRIM_400000_NS6detail17trampoline_kernelINS0_14default_configENS1_25partition_config_selectorILNS1_17partition_subalgoE5EfNS0_10empty_typeEbEEZZNS1_14partition_implILS5_5ELb0ES3_mN6thrust23THRUST_200600_302600_NS6detail15normal_iteratorINSA_10device_ptrIfEEEEPS6_NSA_18transform_iteratorINSB_9not_fun_tI7is_trueIfEEENSC_INSD_IbEEEENSA_11use_defaultESO_EENS0_5tupleIJNSA_16discard_iteratorISO_EES6_EEENSQ_IJSG_SG_EEES6_PlJS6_EEE10hipError_tPvRmT3_T4_T5_T6_T7_T9_mT8_P12ihipStream_tbDpT10_ENKUlT_T0_E_clISt17integral_constantIbLb0EES1E_IbLb1EEEEDaS1A_S1B_EUlS1A_E_NS1_11comp_targetILNS1_3genE2ELNS1_11target_archE906ELNS1_3gpuE6ELNS1_3repE0EEENS1_30default_config_static_selectorELNS0_4arch9wavefront6targetE0EEEvT1_.has_indirect_call, 0
	.section	.AMDGPU.csdata,"",@progbits
; Kernel info:
; codeLenInByte = 0
; TotalNumSgprs: 0
; NumVgprs: 0
; ScratchSize: 0
; MemoryBound: 0
; FloatMode: 240
; IeeeMode: 1
; LDSByteSize: 0 bytes/workgroup (compile time only)
; SGPRBlocks: 0
; VGPRBlocks: 0
; NumSGPRsForWavesPerEU: 1
; NumVGPRsForWavesPerEU: 1
; Occupancy: 16
; WaveLimiterHint : 0
; COMPUTE_PGM_RSRC2:SCRATCH_EN: 0
; COMPUTE_PGM_RSRC2:USER_SGPR: 2
; COMPUTE_PGM_RSRC2:TRAP_HANDLER: 0
; COMPUTE_PGM_RSRC2:TGID_X_EN: 1
; COMPUTE_PGM_RSRC2:TGID_Y_EN: 0
; COMPUTE_PGM_RSRC2:TGID_Z_EN: 0
; COMPUTE_PGM_RSRC2:TIDIG_COMP_CNT: 0
	.section	.text._ZN7rocprim17ROCPRIM_400000_NS6detail17trampoline_kernelINS0_14default_configENS1_25partition_config_selectorILNS1_17partition_subalgoE5EfNS0_10empty_typeEbEEZZNS1_14partition_implILS5_5ELb0ES3_mN6thrust23THRUST_200600_302600_NS6detail15normal_iteratorINSA_10device_ptrIfEEEEPS6_NSA_18transform_iteratorINSB_9not_fun_tI7is_trueIfEEENSC_INSD_IbEEEENSA_11use_defaultESO_EENS0_5tupleIJNSA_16discard_iteratorISO_EES6_EEENSQ_IJSG_SG_EEES6_PlJS6_EEE10hipError_tPvRmT3_T4_T5_T6_T7_T9_mT8_P12ihipStream_tbDpT10_ENKUlT_T0_E_clISt17integral_constantIbLb0EES1E_IbLb1EEEEDaS1A_S1B_EUlS1A_E_NS1_11comp_targetILNS1_3genE10ELNS1_11target_archE1200ELNS1_3gpuE4ELNS1_3repE0EEENS1_30default_config_static_selectorELNS0_4arch9wavefront6targetE0EEEvT1_,"axG",@progbits,_ZN7rocprim17ROCPRIM_400000_NS6detail17trampoline_kernelINS0_14default_configENS1_25partition_config_selectorILNS1_17partition_subalgoE5EfNS0_10empty_typeEbEEZZNS1_14partition_implILS5_5ELb0ES3_mN6thrust23THRUST_200600_302600_NS6detail15normal_iteratorINSA_10device_ptrIfEEEEPS6_NSA_18transform_iteratorINSB_9not_fun_tI7is_trueIfEEENSC_INSD_IbEEEENSA_11use_defaultESO_EENS0_5tupleIJNSA_16discard_iteratorISO_EES6_EEENSQ_IJSG_SG_EEES6_PlJS6_EEE10hipError_tPvRmT3_T4_T5_T6_T7_T9_mT8_P12ihipStream_tbDpT10_ENKUlT_T0_E_clISt17integral_constantIbLb0EES1E_IbLb1EEEEDaS1A_S1B_EUlS1A_E_NS1_11comp_targetILNS1_3genE10ELNS1_11target_archE1200ELNS1_3gpuE4ELNS1_3repE0EEENS1_30default_config_static_selectorELNS0_4arch9wavefront6targetE0EEEvT1_,comdat
	.protected	_ZN7rocprim17ROCPRIM_400000_NS6detail17trampoline_kernelINS0_14default_configENS1_25partition_config_selectorILNS1_17partition_subalgoE5EfNS0_10empty_typeEbEEZZNS1_14partition_implILS5_5ELb0ES3_mN6thrust23THRUST_200600_302600_NS6detail15normal_iteratorINSA_10device_ptrIfEEEEPS6_NSA_18transform_iteratorINSB_9not_fun_tI7is_trueIfEEENSC_INSD_IbEEEENSA_11use_defaultESO_EENS0_5tupleIJNSA_16discard_iteratorISO_EES6_EEENSQ_IJSG_SG_EEES6_PlJS6_EEE10hipError_tPvRmT3_T4_T5_T6_T7_T9_mT8_P12ihipStream_tbDpT10_ENKUlT_T0_E_clISt17integral_constantIbLb0EES1E_IbLb1EEEEDaS1A_S1B_EUlS1A_E_NS1_11comp_targetILNS1_3genE10ELNS1_11target_archE1200ELNS1_3gpuE4ELNS1_3repE0EEENS1_30default_config_static_selectorELNS0_4arch9wavefront6targetE0EEEvT1_ ; -- Begin function _ZN7rocprim17ROCPRIM_400000_NS6detail17trampoline_kernelINS0_14default_configENS1_25partition_config_selectorILNS1_17partition_subalgoE5EfNS0_10empty_typeEbEEZZNS1_14partition_implILS5_5ELb0ES3_mN6thrust23THRUST_200600_302600_NS6detail15normal_iteratorINSA_10device_ptrIfEEEEPS6_NSA_18transform_iteratorINSB_9not_fun_tI7is_trueIfEEENSC_INSD_IbEEEENSA_11use_defaultESO_EENS0_5tupleIJNSA_16discard_iteratorISO_EES6_EEENSQ_IJSG_SG_EEES6_PlJS6_EEE10hipError_tPvRmT3_T4_T5_T6_T7_T9_mT8_P12ihipStream_tbDpT10_ENKUlT_T0_E_clISt17integral_constantIbLb0EES1E_IbLb1EEEEDaS1A_S1B_EUlS1A_E_NS1_11comp_targetILNS1_3genE10ELNS1_11target_archE1200ELNS1_3gpuE4ELNS1_3repE0EEENS1_30default_config_static_selectorELNS0_4arch9wavefront6targetE0EEEvT1_
	.globl	_ZN7rocprim17ROCPRIM_400000_NS6detail17trampoline_kernelINS0_14default_configENS1_25partition_config_selectorILNS1_17partition_subalgoE5EfNS0_10empty_typeEbEEZZNS1_14partition_implILS5_5ELb0ES3_mN6thrust23THRUST_200600_302600_NS6detail15normal_iteratorINSA_10device_ptrIfEEEEPS6_NSA_18transform_iteratorINSB_9not_fun_tI7is_trueIfEEENSC_INSD_IbEEEENSA_11use_defaultESO_EENS0_5tupleIJNSA_16discard_iteratorISO_EES6_EEENSQ_IJSG_SG_EEES6_PlJS6_EEE10hipError_tPvRmT3_T4_T5_T6_T7_T9_mT8_P12ihipStream_tbDpT10_ENKUlT_T0_E_clISt17integral_constantIbLb0EES1E_IbLb1EEEEDaS1A_S1B_EUlS1A_E_NS1_11comp_targetILNS1_3genE10ELNS1_11target_archE1200ELNS1_3gpuE4ELNS1_3repE0EEENS1_30default_config_static_selectorELNS0_4arch9wavefront6targetE0EEEvT1_
	.p2align	8
	.type	_ZN7rocprim17ROCPRIM_400000_NS6detail17trampoline_kernelINS0_14default_configENS1_25partition_config_selectorILNS1_17partition_subalgoE5EfNS0_10empty_typeEbEEZZNS1_14partition_implILS5_5ELb0ES3_mN6thrust23THRUST_200600_302600_NS6detail15normal_iteratorINSA_10device_ptrIfEEEEPS6_NSA_18transform_iteratorINSB_9not_fun_tI7is_trueIfEEENSC_INSD_IbEEEENSA_11use_defaultESO_EENS0_5tupleIJNSA_16discard_iteratorISO_EES6_EEENSQ_IJSG_SG_EEES6_PlJS6_EEE10hipError_tPvRmT3_T4_T5_T6_T7_T9_mT8_P12ihipStream_tbDpT10_ENKUlT_T0_E_clISt17integral_constantIbLb0EES1E_IbLb1EEEEDaS1A_S1B_EUlS1A_E_NS1_11comp_targetILNS1_3genE10ELNS1_11target_archE1200ELNS1_3gpuE4ELNS1_3repE0EEENS1_30default_config_static_selectorELNS0_4arch9wavefront6targetE0EEEvT1_,@function
_ZN7rocprim17ROCPRIM_400000_NS6detail17trampoline_kernelINS0_14default_configENS1_25partition_config_selectorILNS1_17partition_subalgoE5EfNS0_10empty_typeEbEEZZNS1_14partition_implILS5_5ELb0ES3_mN6thrust23THRUST_200600_302600_NS6detail15normal_iteratorINSA_10device_ptrIfEEEEPS6_NSA_18transform_iteratorINSB_9not_fun_tI7is_trueIfEEENSC_INSD_IbEEEENSA_11use_defaultESO_EENS0_5tupleIJNSA_16discard_iteratorISO_EES6_EEENSQ_IJSG_SG_EEES6_PlJS6_EEE10hipError_tPvRmT3_T4_T5_T6_T7_T9_mT8_P12ihipStream_tbDpT10_ENKUlT_T0_E_clISt17integral_constantIbLb0EES1E_IbLb1EEEEDaS1A_S1B_EUlS1A_E_NS1_11comp_targetILNS1_3genE10ELNS1_11target_archE1200ELNS1_3gpuE4ELNS1_3repE0EEENS1_30default_config_static_selectorELNS0_4arch9wavefront6targetE0EEEvT1_: ; @_ZN7rocprim17ROCPRIM_400000_NS6detail17trampoline_kernelINS0_14default_configENS1_25partition_config_selectorILNS1_17partition_subalgoE5EfNS0_10empty_typeEbEEZZNS1_14partition_implILS5_5ELb0ES3_mN6thrust23THRUST_200600_302600_NS6detail15normal_iteratorINSA_10device_ptrIfEEEEPS6_NSA_18transform_iteratorINSB_9not_fun_tI7is_trueIfEEENSC_INSD_IbEEEENSA_11use_defaultESO_EENS0_5tupleIJNSA_16discard_iteratorISO_EES6_EEENSQ_IJSG_SG_EEES6_PlJS6_EEE10hipError_tPvRmT3_T4_T5_T6_T7_T9_mT8_P12ihipStream_tbDpT10_ENKUlT_T0_E_clISt17integral_constantIbLb0EES1E_IbLb1EEEEDaS1A_S1B_EUlS1A_E_NS1_11comp_targetILNS1_3genE10ELNS1_11target_archE1200ELNS1_3gpuE4ELNS1_3repE0EEENS1_30default_config_static_selectorELNS0_4arch9wavefront6targetE0EEEvT1_
; %bb.0:
	s_clause 0x2
	s_load_b64 s[16:17], s[0:1], 0x60
	s_load_b128 s[8:11], s[0:1], 0x50
	s_load_b64 s[12:13], s[0:1], 0x70
	v_cmp_eq_u32_e64 s2, 0, v0
	s_and_saveexec_b32 s3, s2
	s_cbranch_execz .LBB2650_4
; %bb.1:
	s_mov_b32 s5, exec_lo
	s_mov_b32 s4, exec_lo
	v_mbcnt_lo_u32_b32 v1, s5, 0
                                        ; implicit-def: $vgpr2
	s_delay_alu instid0(VALU_DEP_1)
	v_cmpx_eq_u32_e32 0, v1
	s_cbranch_execz .LBB2650_3
; %bb.2:
	s_load_b64 s[6:7], s[0:1], 0x80
	s_bcnt1_i32_b32 s5, s5
	s_wait_alu 0xfffe
	v_dual_mov_b32 v2, 0 :: v_dual_mov_b32 v3, s5
	s_wait_kmcnt 0x0
	global_atomic_add_u32 v2, v2, v3, s[6:7] th:TH_ATOMIC_RETURN scope:SCOPE_DEV
.LBB2650_3:
	s_or_b32 exec_lo, exec_lo, s4
	s_wait_loadcnt 0x0
	v_readfirstlane_b32 s4, v2
	s_wait_alu 0xf1ff
	s_delay_alu instid0(VALU_DEP_1)
	v_dual_mov_b32 v2, 0 :: v_dual_add_nc_u32 v1, s4, v1
	ds_store_b32 v2, v1
.LBB2650_4:
	s_or_b32 exec_lo, exec_lo, s3
	v_dual_mov_b32 v1, 0 :: v_dual_lshlrev_b32 v8, 2, v0
	s_clause 0x2
	s_load_b128 s[4:7], s[0:1], 0x8
	s_load_b64 s[14:15], s[0:1], 0x20
	s_load_b32 s0, s[0:1], 0x78
	s_wait_dscnt 0x0
	s_barrier_signal -1
	s_barrier_wait -1
	global_inv scope:SCOPE_SE
	ds_load_b32 v2, v1
	s_wait_loadcnt_dscnt 0x0
	s_barrier_signal -1
	s_barrier_wait -1
	global_inv scope:SCOPE_SE
	s_wait_kmcnt 0x0
	global_load_b64 v[9:10], v1, s[10:11]
	s_lshl_b64 s[10:11], s[6:7], 2
	s_delay_alu instid0(SALU_CYCLE_1)
	s_add_nc_u64 s[10:11], s[4:5], s[10:11]
	s_mul_i32 s4, s0, 0xa80
	s_mov_b32 s5, 0
	s_wait_alu 0xfffe
	s_add_co_i32 s1, s4, s6
	s_add_co_i32 s3, s0, -1
	v_readfirstlane_b32 s18, v2
	s_sub_co_i32 s19, s16, s1
	s_add_nc_u64 s[0:1], s[6:7], s[4:5]
	s_addk_co_i32 s19, 0xa80
	v_cmp_gt_u64_e64 s0, s[16:17], s[0:1]
	s_cmp_eq_u32 s18, s3
	s_mul_i32 s20, s18, 0xa80
	s_cselect_b32 s16, -1, 0
	s_cmp_lg_u32 s18, s3
	s_mov_b32 s4, s20
	s_cselect_b32 s1, -1, 0
	s_wait_alu 0xfffe
	s_lshl_b64 s[20:21], s[4:5], 2
	s_or_b32 s1, s0, s1
	s_mov_b32 s3, -1
	s_wait_alu 0xfffe
	s_and_b32 vcc_lo, exec_lo, s1
	s_add_nc_u64 s[10:11], s[10:11], s[20:21]
	s_cbranch_vccz .LBB2650_6
; %bb.5:
	v_add_co_u32 v1, s0, s10, v8
	s_wait_alu 0xf1ff
	v_add_co_ci_u32_e64 v2, null, s11, 0, s0
	s_mov_b32 s3, s5
	s_clause 0x6
	flat_load_b32 v3, v[1:2]
	flat_load_b32 v4, v[1:2] offset:1536
	flat_load_b32 v5, v[1:2] offset:3072
	;; [unrolled: 1-line block ×6, first 2 shown]
	s_wait_loadcnt_dscnt 0x505
	ds_store_2addr_stride64_b32 v8, v3, v4 offset1:6
	s_wait_loadcnt_dscnt 0x304
	ds_store_2addr_stride64_b32 v8, v5, v6 offset0:12 offset1:18
	s_wait_loadcnt_dscnt 0x103
	ds_store_2addr_stride64_b32 v8, v7, v11 offset0:24 offset1:30
	s_wait_loadcnt_dscnt 0x3
	ds_store_b32 v8, v1 offset:9216
	s_wait_dscnt 0x0
	s_barrier_signal -1
	s_barrier_wait -1
.LBB2650_6:
	v_cmp_gt_u32_e64 s0, s19, v0
	s_and_not1_b32 vcc_lo, exec_lo, s3
	s_cbranch_vccnz .LBB2650_22
; %bb.7:
	v_mov_b32_e32 v1, 0
	s_delay_alu instid0(VALU_DEP_1)
	v_dual_mov_b32 v2, v1 :: v_dual_mov_b32 v3, v1
	v_dual_mov_b32 v4, v1 :: v_dual_mov_b32 v5, v1
	;; [unrolled: 1-line block ×3, first 2 shown]
	s_and_saveexec_b32 s3, s0
	s_cbranch_execz .LBB2650_9
; %bb.8:
	v_add_co_u32 v2, s0, s10, v8
	s_wait_alu 0xf1ff
	v_add_co_ci_u32_e64 v3, null, s11, 0, s0
	v_dual_mov_b32 v12, v1 :: v_dual_mov_b32 v13, v1
	v_dual_mov_b32 v14, v1 :: v_dual_mov_b32 v15, v1
	flat_load_b32 v11, v[2:3]
	v_dual_mov_b32 v16, v1 :: v_dual_mov_b32 v17, v1
	s_wait_loadcnt_dscnt 0x0
	v_dual_mov_b32 v1, v11 :: v_dual_mov_b32 v2, v12
	v_dual_mov_b32 v3, v13 :: v_dual_mov_b32 v4, v14
	s_delay_alu instid0(VALU_DEP_3)
	v_dual_mov_b32 v5, v15 :: v_dual_mov_b32 v6, v16
	v_mov_b32_e32 v7, v17
.LBB2650_9:
	s_or_b32 exec_lo, exec_lo, s3
	v_add_nc_u32_e32 v11, 0x180, v0
	s_mov_b32 s0, exec_lo
	s_delay_alu instid0(VALU_DEP_1)
	v_cmpx_gt_u32_e64 s19, v11
	s_cbranch_execz .LBB2650_11
; %bb.10:
	v_add_co_u32 v11, s3, s10, v8
	s_delay_alu instid0(VALU_DEP_1)
	v_add_co_ci_u32_e64 v12, null, s11, 0, s3
	flat_load_b32 v2, v[11:12] offset:1536
.LBB2650_11:
	s_wait_alu 0xfffe
	s_or_b32 exec_lo, exec_lo, s0
	v_add_nc_u32_e32 v11, 0x300, v0
	s_mov_b32 s0, exec_lo
	s_delay_alu instid0(VALU_DEP_1)
	v_cmpx_gt_u32_e64 s19, v11
	s_cbranch_execz .LBB2650_13
; %bb.12:
	v_add_co_u32 v11, s3, s10, v8
	s_wait_alu 0xf1ff
	v_add_co_ci_u32_e64 v12, null, s11, 0, s3
	flat_load_b32 v3, v[11:12] offset:3072
.LBB2650_13:
	s_wait_alu 0xfffe
	s_or_b32 exec_lo, exec_lo, s0
	v_add_nc_u32_e32 v11, 0x480, v0
	s_mov_b32 s0, exec_lo
	s_delay_alu instid0(VALU_DEP_1)
	v_cmpx_gt_u32_e64 s19, v11
	s_cbranch_execz .LBB2650_15
; %bb.14:
	v_add_co_u32 v11, s3, s10, v8
	s_wait_alu 0xf1ff
	v_add_co_ci_u32_e64 v12, null, s11, 0, s3
	flat_load_b32 v4, v[11:12] offset:4608
.LBB2650_15:
	s_wait_alu 0xfffe
	s_or_b32 exec_lo, exec_lo, s0
	v_or_b32_e32 v11, 0x600, v0
	s_mov_b32 s0, exec_lo
	s_delay_alu instid0(VALU_DEP_1)
	v_cmpx_gt_u32_e64 s19, v11
	s_cbranch_execz .LBB2650_17
; %bb.16:
	v_add_co_u32 v11, s3, s10, v8
	s_wait_alu 0xf1ff
	v_add_co_ci_u32_e64 v12, null, s11, 0, s3
	flat_load_b32 v5, v[11:12] offset:6144
.LBB2650_17:
	s_wait_alu 0xfffe
	s_or_b32 exec_lo, exec_lo, s0
	v_add_nc_u32_e32 v11, 0x780, v0
	s_mov_b32 s0, exec_lo
	s_delay_alu instid0(VALU_DEP_1)
	v_cmpx_gt_u32_e64 s19, v11
	s_cbranch_execz .LBB2650_19
; %bb.18:
	v_add_co_u32 v11, s3, s10, v8
	s_wait_alu 0xf1ff
	v_add_co_ci_u32_e64 v12, null, s11, 0, s3
	flat_load_b32 v6, v[11:12] offset:7680
.LBB2650_19:
	s_wait_alu 0xfffe
	s_or_b32 exec_lo, exec_lo, s0
	v_add_nc_u32_e32 v11, 0x900, v0
	s_mov_b32 s0, exec_lo
	s_delay_alu instid0(VALU_DEP_1)
	v_cmpx_gt_u32_e64 s19, v11
	s_cbranch_execz .LBB2650_21
; %bb.20:
	v_add_co_u32 v11, s3, s10, v8
	s_wait_alu 0xf1ff
	v_add_co_ci_u32_e64 v12, null, s11, 0, s3
	flat_load_b32 v7, v[11:12] offset:9216
.LBB2650_21:
	s_wait_alu 0xfffe
	s_or_b32 exec_lo, exec_lo, s0
	s_wait_loadcnt_dscnt 0x0
	ds_store_2addr_stride64_b32 v8, v1, v2 offset1:6
	ds_store_2addr_stride64_b32 v8, v3, v4 offset0:12 offset1:18
	ds_store_2addr_stride64_b32 v8, v5, v6 offset0:24 offset1:30
	ds_store_b32 v8, v7 offset:9216
	s_wait_dscnt 0x0
	s_barrier_signal -1
	s_barrier_wait -1
.LBB2650_22:
	v_mul_u32_u24_e32 v1, 7, v0
	s_wait_loadcnt 0x0
	global_inv scope:SCOPE_SE
	s_add_nc_u64 s[6:7], s[14:15], s[6:7]
	s_and_b32 vcc_lo, exec_lo, s1
	s_add_nc_u64 s[10:11], s[6:7], s[4:5]
	v_lshlrev_b32_e32 v1, 2, v1
	s_mov_b32 s7, -1
	ds_load_2addr_b32 v[15:16], v1 offset1:1
	ds_load_2addr_b32 v[13:14], v1 offset0:2 offset1:3
	ds_load_2addr_b32 v[11:12], v1 offset0:4 offset1:5
	ds_load_b32 v25, v1 offset:24
	s_wait_loadcnt_dscnt 0x0
	s_barrier_signal -1
	s_barrier_wait -1
	global_inv scope:SCOPE_SE
	s_cbranch_vccz .LBB2650_24
; %bb.23:
	s_clause 0x6
	global_load_u8 v2, v0, s[10:11]
	global_load_u8 v3, v0, s[10:11] offset:384
	global_load_u8 v4, v0, s[10:11] offset:768
	;; [unrolled: 1-line block ×6, first 2 shown]
	s_mov_b32 s7, 0
	s_wait_loadcnt 0x6
	v_and_b32_e32 v2, 1, v2
	s_wait_loadcnt 0x5
	v_and_b32_e32 v3, 1, v3
	;; [unrolled: 2-line block ×6, first 2 shown]
	v_cmp_eq_u32_e64 s0, 1, v3
	v_cmp_eq_u32_e64 s1, 1, v4
	;; [unrolled: 1-line block ×3, first 2 shown]
	s_wait_loadcnt 0x0
	v_and_b32_e32 v8, 1, v8
	v_cmp_eq_u32_e32 vcc_lo, 1, v2
	s_xor_b32 s0, s0, -1
	v_cmp_eq_u32_e64 s4, 1, v6
	s_wait_alu 0xfffe
	v_cndmask_b32_e64 v3, 0, 1, s0
	s_xor_b32 s0, s1, -1
	v_cmp_eq_u32_e64 s5, 1, v7
	s_wait_alu 0xfffe
	v_cndmask_b32_e64 v4, 0, 1, s0
	s_xor_b32 s0, s3, -1
	v_cmp_eq_u32_e64 s6, 1, v8
	s_xor_b32 s14, vcc_lo, -1
	s_wait_alu 0xfffe
	v_cndmask_b32_e64 v5, 0, 1, s0
	s_xor_b32 s0, s4, -1
	v_cndmask_b32_e64 v2, 0, 1, s14
	s_wait_alu 0xfffe
	v_cndmask_b32_e64 v6, 0, 1, s0
	s_xor_b32 s0, s5, -1
	s_wait_alu 0xfffe
	v_cndmask_b32_e64 v7, 0, 1, s0
	s_xor_b32 s0, s6, -1
	s_wait_alu 0xfffe
	v_cndmask_b32_e64 v8, 0, 1, s0
	ds_store_b8 v0, v2
	ds_store_b8 v0, v3 offset:384
	ds_store_b8 v0, v4 offset:768
	;; [unrolled: 1-line block ×6, first 2 shown]
	s_wait_dscnt 0x0
	s_barrier_signal -1
	s_barrier_wait -1
.LBB2650_24:
	s_and_not1_b32 vcc_lo, exec_lo, s7
	s_cbranch_vccnz .LBB2650_40
; %bb.25:
	v_mov_b32_e32 v4, 0
	s_mov_b32 s1, 0
	s_mov_b32 s0, exec_lo
	s_delay_alu instid0(VALU_DEP_1)
	v_dual_mov_b32 v3, v4 :: v_dual_mov_b32 v2, v4
	v_cmpx_gt_u32_e64 s19, v0
	s_cbranch_execz .LBB2650_27
; %bb.26:
	global_load_u8 v2, v0, s[10:11]
	s_wait_loadcnt 0x0
	s_wait_alu 0xfffe
	v_dual_mov_b32 v3, s1 :: v_dual_and_b32 v2, 1, v2
	s_delay_alu instid0(VALU_DEP_1) | instskip(SKIP_3) | instid1(VALU_DEP_1)
	v_cmp_eq_u32_e32 vcc_lo, 1, v2
	s_xor_b32 s3, vcc_lo, -1
	s_wait_alu 0xfffe
	v_cndmask_b32_e64 v4, 0, 1, s3
	v_mov_b32_e32 v2, v4
.LBB2650_27:
	s_wait_alu 0xfffe
	s_or_b32 exec_lo, exec_lo, s0
	v_add_nc_u32_e32 v5, 0x180, v0
	s_mov_b32 s0, exec_lo
	s_delay_alu instid0(VALU_DEP_1)
	v_cmpx_gt_u32_e64 s19, v5
	s_cbranch_execz .LBB2650_29
; %bb.28:
	global_load_u8 v5, v0, s[10:11] offset:384
	v_lshrrev_b32_e32 v6, 24, v4
	v_lshrrev_b32_e32 v8, 8, v3
	v_and_b32_e32 v17, 0xff, v3
	v_bfe_u32 v3, v3, 16, 8
	s_delay_alu instid0(VALU_DEP_4) | instskip(NEXT) | instid1(VALU_DEP_4)
	v_lshlrev_b16 v6, 8, v6
	v_lshlrev_b16 v8, 8, v8
	s_wait_loadcnt 0x0
	v_and_b32_e32 v5, 1, v5
	s_delay_alu instid0(VALU_DEP_1) | instskip(SKIP_3) | instid1(VALU_DEP_1)
	v_cmp_eq_u32_e32 vcc_lo, 1, v5
	v_and_b32_e32 v5, 0xff, v4
	v_lshrrev_b32_e32 v4, 16, v4
	s_xor_b32 s1, vcc_lo, -1
	v_and_b32_e32 v4, 0xff, v4
	s_wait_alu 0xfffe
	v_cndmask_b32_e64 v7, 0, 1, s1
	s_delay_alu instid0(VALU_DEP_2) | instskip(NEXT) | instid1(VALU_DEP_2)
	v_or_b32_e32 v4, v4, v6
	v_lshlrev_b16 v7, 8, v7
	v_or_b32_e32 v6, v17, v8
	s_delay_alu instid0(VALU_DEP_3) | instskip(NEXT) | instid1(VALU_DEP_3)
	v_lshlrev_b32_e32 v4, 16, v4
	v_or_b32_e32 v5, v5, v7
	s_delay_alu instid0(VALU_DEP_3) | instskip(NEXT) | instid1(VALU_DEP_2)
	v_and_b32_e32 v6, 0xffff, v6
	v_and_b32_e32 v5, 0xffff, v5
	s_delay_alu instid0(VALU_DEP_2) | instskip(NEXT) | instid1(VALU_DEP_2)
	v_lshl_or_b32 v3, v3, 16, v6
	v_or_b32_e32 v4, v5, v4
.LBB2650_29:
	s_wait_alu 0xfffe
	s_or_b32 exec_lo, exec_lo, s0
	v_add_nc_u32_e32 v5, 0x300, v0
	s_mov_b32 s0, exec_lo
	s_delay_alu instid0(VALU_DEP_1)
	v_cmpx_gt_u32_e64 s19, v5
	s_cbranch_execz .LBB2650_31
; %bb.30:
	global_load_u8 v5, v0, s[10:11] offset:768
	v_lshrrev_b32_e32 v6, 8, v3
	v_lshrrev_b32_e32 v7, 24, v4
	v_perm_b32 v4, v4, v4, 0xc0c0104
	s_delay_alu instid0(VALU_DEP_3) | instskip(NEXT) | instid1(VALU_DEP_3)
	v_lshlrev_b16 v6, 8, v6
	v_lshlrev_b16 v7, 8, v7
	s_wait_loadcnt 0x0
	v_and_b32_e32 v5, 1, v5
	s_delay_alu instid0(VALU_DEP_1) | instskip(SKIP_3) | instid1(VALU_DEP_2)
	v_cmp_eq_u32_e32 vcc_lo, 1, v5
	v_and_b32_e32 v5, 0xff, v3
	v_bfe_u32 v3, v3, 16, 8
	s_xor_b32 s1, vcc_lo, -1
	v_or_b32_e32 v5, v5, v6
	s_wait_alu 0xfffe
	v_cndmask_b32_e64 v8, 0, 1, s1
	s_delay_alu instid0(VALU_DEP_2) | instskip(NEXT) | instid1(VALU_DEP_2)
	v_and_b32_e32 v5, 0xffff, v5
	v_or_b32_e32 v6, v8, v7
	s_delay_alu instid0(VALU_DEP_2) | instskip(NEXT) | instid1(VALU_DEP_2)
	v_lshl_or_b32 v3, v3, 16, v5
	v_lshlrev_b32_e32 v6, 16, v6
	s_delay_alu instid0(VALU_DEP_1)
	v_or_b32_e32 v4, v4, v6
.LBB2650_31:
	s_wait_alu 0xfffe
	s_or_b32 exec_lo, exec_lo, s0
	v_add_nc_u32_e32 v5, 0x480, v0
	s_mov_b32 s0, exec_lo
	s_delay_alu instid0(VALU_DEP_1)
	v_cmpx_gt_u32_e64 s19, v5
	s_cbranch_execz .LBB2650_33
; %bb.32:
	global_load_u8 v5, v0, s[10:11] offset:1152
	v_lshrrev_b32_e32 v6, 16, v4
	v_and_b32_e32 v8, 0xff, v3
	v_perm_b32 v4, v4, v4, 0xc0c0104
	s_delay_alu instid0(VALU_DEP_3) | instskip(SKIP_2) | instid1(VALU_DEP_1)
	v_and_b32_e32 v6, 0xff, v6
	s_wait_loadcnt 0x0
	v_and_b32_e32 v5, 1, v5
	v_cmp_eq_u32_e32 vcc_lo, 1, v5
	v_lshrrev_b32_e32 v5, 8, v3
	v_bfe_u32 v3, v3, 16, 8
	s_xor_b32 s1, vcc_lo, -1
	s_delay_alu instid0(VALU_DEP_2) | instskip(SKIP_2) | instid1(VALU_DEP_2)
	v_lshlrev_b16 v5, 8, v5
	s_wait_alu 0xfffe
	v_cndmask_b32_e64 v7, 0, 1, s1
	v_or_b32_e32 v5, v8, v5
	s_delay_alu instid0(VALU_DEP_2) | instskip(NEXT) | instid1(VALU_DEP_2)
	v_lshlrev_b16 v7, 8, v7
	v_and_b32_e32 v5, 0xffff, v5
	s_delay_alu instid0(VALU_DEP_2) | instskip(NEXT) | instid1(VALU_DEP_2)
	v_or_b32_e32 v6, v6, v7
	v_lshl_or_b32 v3, v3, 16, v5
	s_delay_alu instid0(VALU_DEP_2) | instskip(NEXT) | instid1(VALU_DEP_1)
	v_lshlrev_b32_e32 v6, 16, v6
	v_or_b32_e32 v4, v4, v6
.LBB2650_33:
	s_wait_alu 0xfffe
	s_or_b32 exec_lo, exec_lo, s0
	v_or_b32_e32 v5, 0x600, v0
	s_mov_b32 s0, exec_lo
	s_delay_alu instid0(VALU_DEP_1)
	v_cmpx_gt_u32_e64 s19, v5
	s_cbranch_execz .LBB2650_35
; %bb.34:
	global_load_u8 v5, v0, s[10:11] offset:1536
	v_lshrrev_b32_e32 v6, 8, v3
	v_bfe_u32 v3, v3, 16, 8
	v_perm_b32 v4, v4, v4, 0x3020104
	s_wait_loadcnt 0x0
	v_and_b32_e32 v5, 1, v5
	s_delay_alu instid0(VALU_DEP_1) | instskip(SKIP_4) | instid1(VALU_DEP_1)
	v_cmp_eq_u32_e32 vcc_lo, 1, v5
	v_lshlrev_b16 v5, 8, v6
	s_xor_b32 s1, vcc_lo, -1
	s_wait_alu 0xfffe
	v_cndmask_b32_e64 v6, 0, 1, s1
	v_or_b32_e32 v5, v6, v5
	s_delay_alu instid0(VALU_DEP_1) | instskip(NEXT) | instid1(VALU_DEP_1)
	v_and_b32_e32 v5, 0xffff, v5
	v_lshl_or_b32 v3, v3, 16, v5
.LBB2650_35:
	s_wait_alu 0xfffe
	s_or_b32 exec_lo, exec_lo, s0
	v_add_nc_u32_e32 v5, 0x780, v0
	s_mov_b32 s0, exec_lo
	s_delay_alu instid0(VALU_DEP_1)
	v_cmpx_gt_u32_e64 s19, v5
	s_cbranch_execz .LBB2650_37
; %bb.36:
	global_load_u8 v5, v0, s[10:11] offset:1920
	v_and_b32_e32 v6, 0xff, v3
	v_bfe_u32 v3, v3, 16, 8
	v_perm_b32 v4, v4, v4, 0x3020104
	s_wait_loadcnt 0x0
	v_and_b32_e32 v5, 1, v5
	s_delay_alu instid0(VALU_DEP_1) | instskip(SKIP_3) | instid1(VALU_DEP_1)
	v_cmp_eq_u32_e32 vcc_lo, 1, v5
	s_xor_b32 s1, vcc_lo, -1
	s_wait_alu 0xfffe
	v_cndmask_b32_e64 v5, 0, 1, s1
	v_lshlrev_b16 v5, 8, v5
	s_delay_alu instid0(VALU_DEP_1) | instskip(NEXT) | instid1(VALU_DEP_1)
	v_or_b32_e32 v5, v6, v5
	v_and_b32_e32 v5, 0xffff, v5
	s_delay_alu instid0(VALU_DEP_1)
	v_lshl_or_b32 v3, v3, 16, v5
.LBB2650_37:
	s_wait_alu 0xfffe
	s_or_b32 exec_lo, exec_lo, s0
	v_add_nc_u32_e32 v5, 0x900, v0
	s_mov_b32 s0, exec_lo
	s_delay_alu instid0(VALU_DEP_1)
	v_cmpx_gt_u32_e64 s19, v5
	s_cbranch_execz .LBB2650_39
; %bb.38:
	global_load_u8 v5, v0, s[10:11] offset:2304
	v_lshrrev_b32_e32 v6, 8, v3
	v_and_b32_e32 v3, 0xff, v3
	v_perm_b32 v4, v4, v4, 0x3020104
	s_delay_alu instid0(VALU_DEP_3) | instskip(NEXT) | instid1(VALU_DEP_1)
	v_lshlrev_b16 v6, 8, v6
	v_or_b32_e32 v3, v3, v6
	s_delay_alu instid0(VALU_DEP_1) | instskip(SKIP_2) | instid1(VALU_DEP_1)
	v_and_b32_e32 v3, 0xffff, v3
	s_wait_loadcnt 0x0
	v_and_b32_e32 v5, 1, v5
	v_cmp_eq_u32_e32 vcc_lo, 1, v5
	s_xor_b32 s1, vcc_lo, -1
	s_wait_alu 0xfffe
	v_cndmask_b32_e64 v5, 0, 1, s1
	s_delay_alu instid0(VALU_DEP_1)
	v_lshl_or_b32 v3, v5, 16, v3
.LBB2650_39:
	s_wait_alu 0xfffe
	s_or_b32 exec_lo, exec_lo, s0
	v_lshrrev_b32_e32 v5, 8, v4
	v_lshrrev_b32_e32 v6, 24, v4
	;; [unrolled: 1-line block ×3, first 2 shown]
	ds_store_b8 v0, v2
	ds_store_b8 v0, v5 offset:384
	ds_store_b8_d16_hi v0, v4 offset:768
	ds_store_b8 v0, v6 offset:1152
	ds_store_b8 v0, v3 offset:1536
	;; [unrolled: 1-line block ×3, first 2 shown]
	ds_store_b8_d16_hi v0, v3 offset:2304
	s_wait_loadcnt_dscnt 0x0
	s_barrier_signal -1
	s_barrier_wait -1
.LBB2650_40:
	v_mad_i32_i24 v34, 0xffffffeb, v0, v1
	s_wait_loadcnt 0x0
	global_inv scope:SCOPE_SE
	v_mbcnt_lo_u32_b32 v33, -1, 0
	s_cmp_lg_u32 s18, 0
	s_mov_b32 s1, -1
	ds_load_u8 v1, v34
	ds_load_u8 v2, v34 offset:1
	ds_load_u8 v3, v34 offset:2
	ds_load_u8 v4, v34 offset:3
	ds_load_u8 v5, v34 offset:4
	ds_load_u8 v6, v34 offset:5
	ds_load_u8 v7, v34 offset:6
	s_wait_loadcnt_dscnt 0x0
	v_and_b32_e32 v35, 15, v33
	s_barrier_signal -1
	s_barrier_wait -1
	global_inv scope:SCOPE_SE
	v_and_b32_e32 v32, 1, v1
	v_dual_mov_b32 v2, 0 :: v_dual_and_b32 v31, 1, v2
	v_and_b32_e32 v29, 1, v3
	v_and_b32_e32 v28, 1, v4
	;; [unrolled: 1-line block ×5, first 2 shown]
	v_add3_u32 v1, v31, v32, v29
	s_delay_alu instid0(VALU_DEP_1) | instskip(SKIP_3) | instid1(VALU_DEP_3)
	v_add_co_u32 v1, s0, v1, v28
	s_wait_alu 0xf1ff
	v_add_co_ci_u32_e64 v3, null, 0, 0, s0
	v_cmp_ne_u32_e64 s0, 0, v35
	v_add_co_u32 v1, vcc_lo, v1, v30
	s_delay_alu instid0(VALU_DEP_1) | instskip(NEXT) | instid1(VALU_DEP_2)
	v_add_co_ci_u32_e64 v3, null, 0, v3, vcc_lo
	v_add_co_u32 v1, vcc_lo, v1, v27
	s_wait_alu 0xfffd
	s_delay_alu instid0(VALU_DEP_2) | instskip(NEXT) | instid1(VALU_DEP_2)
	v_add_co_ci_u32_e64 v3, null, 0, v3, vcc_lo
	v_add_co_u32 v17, vcc_lo, v1, v26
	s_wait_alu 0xfffd
	s_delay_alu instid0(VALU_DEP_2)
	v_add_co_ci_u32_e64 v18, null, 0, v3, vcc_lo
	s_cbranch_scc0 .LBB2650_99
; %bb.41:
	v_mov_b32_e32 v3, v17
	v_mov_b32_dpp v1, v17 row_shr:1 row_mask:0xf bank_mask:0xf
	v_mov_b32_dpp v6, v2 row_shr:1 row_mask:0xf bank_mask:0xf
	v_dual_mov_b32 v5, v17 :: v_dual_mov_b32 v4, v18
	s_and_saveexec_b32 s1, s0
; %bb.42:
	s_delay_alu instid0(VALU_DEP_3) | instskip(SKIP_2) | instid1(VALU_DEP_2)
	v_add_co_u32 v5, vcc_lo, v17, v1
	s_wait_alu 0xfffd
	v_add_co_ci_u32_e64 v2, null, 0, v18, vcc_lo
	v_add_co_u32 v1, vcc_lo, 0, v5
	s_wait_alu 0xfffd
	s_delay_alu instid0(VALU_DEP_2) | instskip(NEXT) | instid1(VALU_DEP_1)
	v_add_co_ci_u32_e64 v2, null, v6, v2, vcc_lo
	v_dual_mov_b32 v4, v2 :: v_dual_mov_b32 v3, v1
; %bb.43:
	s_wait_alu 0xfffe
	s_or_b32 exec_lo, exec_lo, s1
	v_mov_b32_dpp v1, v5 row_shr:2 row_mask:0xf bank_mask:0xf
	v_mov_b32_dpp v6, v2 row_shr:2 row_mask:0xf bank_mask:0xf
	v_cmp_lt_u32_e32 vcc_lo, 1, v35
	s_and_saveexec_b32 s3, vcc_lo
; %bb.44:
	s_delay_alu instid0(VALU_DEP_3) | instskip(SKIP_2) | instid1(VALU_DEP_2)
	v_add_co_u32 v5, s1, v3, v1
	s_wait_alu 0xf1ff
	v_add_co_ci_u32_e64 v2, null, 0, v4, s1
	v_add_co_u32 v1, s1, 0, v5
	s_wait_alu 0xf1ff
	s_delay_alu instid0(VALU_DEP_2) | instskip(NEXT) | instid1(VALU_DEP_1)
	v_add_co_ci_u32_e64 v2, null, v6, v2, s1
	v_dual_mov_b32 v4, v2 :: v_dual_mov_b32 v3, v1
; %bb.45:
	s_wait_alu 0xfffe
	s_or_b32 exec_lo, exec_lo, s3
	v_mov_b32_dpp v1, v5 row_shr:4 row_mask:0xf bank_mask:0xf
	v_mov_b32_dpp v6, v2 row_shr:4 row_mask:0xf bank_mask:0xf
	v_cmp_lt_u32_e64 s1, 3, v35
	s_and_saveexec_b32 s4, s1
; %bb.46:
	v_add_co_u32 v5, s3, v3, v1
	s_wait_alu 0xf1ff
	v_add_co_ci_u32_e64 v2, null, 0, v4, s3
	s_delay_alu instid0(VALU_DEP_2) | instskip(SKIP_1) | instid1(VALU_DEP_2)
	v_add_co_u32 v1, s3, 0, v5
	s_wait_alu 0xf1ff
	v_add_co_ci_u32_e64 v2, null, v6, v2, s3
	s_delay_alu instid0(VALU_DEP_1)
	v_dual_mov_b32 v4, v2 :: v_dual_mov_b32 v3, v1
; %bb.47:
	s_wait_alu 0xfffe
	s_or_b32 exec_lo, exec_lo, s4
	v_mov_b32_dpp v6, v5 row_shr:8 row_mask:0xf bank_mask:0xf
	v_mov_b32_dpp v1, v2 row_shr:8 row_mask:0xf bank_mask:0xf
	v_cmp_lt_u32_e64 s3, 7, v35
	s_and_saveexec_b32 s5, s3
; %bb.48:
	v_add_co_u32 v5, s4, v3, v6
	s_wait_alu 0xf1ff
	v_add_co_ci_u32_e64 v2, null, 0, v4, s4
	s_delay_alu instid0(VALU_DEP_2) | instskip(SKIP_1) | instid1(VALU_DEP_2)
	v_add_co_u32 v3, s4, 0, v5
	s_wait_alu 0xf1ff
	v_add_co_ci_u32_e64 v4, null, v1, v2, s4
	s_delay_alu instid0(VALU_DEP_1)
	v_mov_b32_e32 v2, v4
; %bb.49:
	s_wait_alu 0xfffe
	s_or_b32 exec_lo, exec_lo, s5
	ds_swizzle_b32 v6, v5 offset:swizzle(BROADCAST,32,15)
	ds_swizzle_b32 v1, v2 offset:swizzle(BROADCAST,32,15)
	v_and_b32_e32 v2, 16, v33
	s_mov_b32 s5, exec_lo
	s_delay_alu instid0(VALU_DEP_1)
	v_cmpx_ne_u32_e32 0, v2
	s_cbranch_execz .LBB2650_51
; %bb.50:
	s_wait_dscnt 0x1
	v_add_co_u32 v5, s4, v3, v6
	s_wait_alu 0xf1ff
	v_add_co_ci_u32_e64 v2, null, 0, v4, s4
	s_delay_alu instid0(VALU_DEP_2) | instskip(SKIP_2) | instid1(VALU_DEP_2)
	v_add_co_u32 v3, s4, 0, v5
	s_wait_dscnt 0x0
	s_wait_alu 0xf1ff
	v_add_co_ci_u32_e64 v4, null, v1, v2, s4
.LBB2650_51:
	s_wait_alu 0xfffe
	s_or_b32 exec_lo, exec_lo, s5
	s_wait_dscnt 0x0
	v_and_b32_e32 v1, 0x1e0, v0
	v_lshrrev_b32_e32 v6, 5, v0
	s_mov_b32 s5, exec_lo
	s_delay_alu instid0(VALU_DEP_2) | instskip(NEXT) | instid1(VALU_DEP_1)
	v_min_u32_e32 v1, 0x160, v1
	v_or_b32_e32 v1, 31, v1
	s_delay_alu instid0(VALU_DEP_1)
	v_cmpx_eq_u32_e64 v0, v1
; %bb.52:
	v_lshlrev_b32_e32 v1, 3, v6
	ds_store_b64 v1, v[3:4]
; %bb.53:
	s_wait_alu 0xfffe
	s_or_b32 exec_lo, exec_lo, s5
	s_delay_alu instid0(SALU_CYCLE_1)
	s_mov_b32 s5, exec_lo
	s_wait_loadcnt_dscnt 0x0
	s_barrier_signal -1
	s_barrier_wait -1
	global_inv scope:SCOPE_SE
	v_cmpx_gt_u32_e32 12, v0
	s_cbranch_execz .LBB2650_63
; %bb.54:
	v_lshlrev_b32_e32 v3, 3, v0
	ds_load_b64 v[1:2], v3
	s_wait_dscnt 0x0
	v_mov_b32_dpp v8, v1 row_shr:1 row_mask:0xf bank_mask:0xf
	v_mov_b32_dpp v7, v2 row_shr:1 row_mask:0xf bank_mask:0xf
	v_mov_b32_e32 v4, v1
	s_and_saveexec_b32 s6, s0
; %bb.55:
	s_delay_alu instid0(VALU_DEP_3) | instskip(SKIP_2) | instid1(VALU_DEP_2)
	v_add_co_u32 v4, s4, v1, v8
	s_wait_alu 0xf1ff
	v_add_co_ci_u32_e64 v2, null, 0, v2, s4
	v_add_co_u32 v1, s4, 0, v4
	s_wait_alu 0xf1ff
	s_delay_alu instid0(VALU_DEP_2)
	v_add_co_ci_u32_e64 v2, null, v7, v2, s4
; %bb.56:
	s_or_b32 exec_lo, exec_lo, s6
	v_mov_b32_dpp v8, v4 row_shr:2 row_mask:0xf bank_mask:0xf
	s_delay_alu instid0(VALU_DEP_2)
	v_mov_b32_dpp v7, v2 row_shr:2 row_mask:0xf bank_mask:0xf
	s_and_saveexec_b32 s4, vcc_lo
; %bb.57:
	s_delay_alu instid0(VALU_DEP_2) | instskip(SKIP_2) | instid1(VALU_DEP_2)
	v_add_co_u32 v4, vcc_lo, v1, v8
	s_wait_alu 0xfffd
	v_add_co_ci_u32_e64 v2, null, 0, v2, vcc_lo
	v_add_co_u32 v1, vcc_lo, 0, v4
	s_wait_alu 0xfffd
	s_delay_alu instid0(VALU_DEP_2)
	v_add_co_ci_u32_e64 v2, null, v7, v2, vcc_lo
; %bb.58:
	s_wait_alu 0xfffe
	s_or_b32 exec_lo, exec_lo, s4
	v_mov_b32_dpp v8, v4 row_shr:4 row_mask:0xf bank_mask:0xf
	s_delay_alu instid0(VALU_DEP_2)
	v_mov_b32_dpp v7, v2 row_shr:4 row_mask:0xf bank_mask:0xf
	s_and_saveexec_b32 s4, s1
; %bb.59:
	s_delay_alu instid0(VALU_DEP_2) | instskip(SKIP_2) | instid1(VALU_DEP_2)
	v_add_co_u32 v4, vcc_lo, v1, v8
	s_wait_alu 0xfffd
	v_add_co_ci_u32_e64 v2, null, 0, v2, vcc_lo
	v_add_co_u32 v1, vcc_lo, 0, v4
	s_wait_alu 0xfffd
	s_delay_alu instid0(VALU_DEP_2)
	v_add_co_ci_u32_e64 v2, null, v7, v2, vcc_lo
; %bb.60:
	s_wait_alu 0xfffe
	s_or_b32 exec_lo, exec_lo, s4
	v_mov_b32_dpp v7, v4 row_shr:8 row_mask:0xf bank_mask:0xf
	s_delay_alu instid0(VALU_DEP_2)
	v_mov_b32_dpp v4, v2 row_shr:8 row_mask:0xf bank_mask:0xf
	s_and_saveexec_b32 s1, s3
; %bb.61:
	s_delay_alu instid0(VALU_DEP_2) | instskip(SKIP_2) | instid1(VALU_DEP_2)
	v_add_co_u32 v1, vcc_lo, v1, v7
	s_wait_alu 0xfffd
	v_add_co_ci_u32_e64 v2, null, 0, v2, vcc_lo
	v_add_co_u32 v1, vcc_lo, v1, 0
	s_wait_alu 0xfffd
	s_delay_alu instid0(VALU_DEP_2)
	v_add_co_ci_u32_e64 v2, null, v2, v4, vcc_lo
; %bb.62:
	s_wait_alu 0xfffe
	s_or_b32 exec_lo, exec_lo, s1
	ds_store_b64 v3, v[1:2]
.LBB2650_63:
	s_wait_alu 0xfffe
	s_or_b32 exec_lo, exec_lo, s5
	s_delay_alu instid0(SALU_CYCLE_1)
	s_mov_b32 s3, exec_lo
	v_cmp_gt_u32_e32 vcc_lo, 32, v0
	s_wait_loadcnt_dscnt 0x0
	s_barrier_signal -1
	s_barrier_wait -1
	global_inv scope:SCOPE_SE
                                        ; implicit-def: $vgpr19_vgpr20
	v_cmpx_lt_u32_e32 31, v0
	s_cbranch_execz .LBB2650_65
; %bb.64:
	v_lshl_add_u32 v1, v6, 3, -8
	ds_load_b64 v[19:20], v1
	s_wait_dscnt 0x0
	v_add_nc_u32_e32 v5, v5, v19
.LBB2650_65:
	s_wait_alu 0xfffe
	s_or_b32 exec_lo, exec_lo, s3
	v_sub_co_u32 v1, s1, v33, 1
	s_delay_alu instid0(VALU_DEP_1) | instskip(SKIP_1) | instid1(VALU_DEP_1)
	v_cmp_gt_i32_e64 s3, 0, v1
	s_wait_alu 0xf1ff
	v_cndmask_b32_e64 v1, v1, v33, s3
	s_delay_alu instid0(VALU_DEP_1)
	v_lshlrev_b32_e32 v1, 2, v1
	ds_bpermute_b32 v36, v1, v5
	s_and_saveexec_b32 s3, vcc_lo
	s_cbranch_execz .LBB2650_104
; %bb.66:
	v_mov_b32_e32 v4, 0
	ds_load_b64 v[1:2], v4 offset:88
	s_and_saveexec_b32 s4, s1
	s_cbranch_execz .LBB2650_68
; %bb.67:
	s_add_co_i32 s6, s18, 32
	s_mov_b32 s7, 0
	s_delay_alu instid0(SALU_CYCLE_1) | instskip(NEXT) | instid1(SALU_CYCLE_1)
	s_lshl_b64 s[6:7], s[6:7], 4
	s_add_nc_u64 s[6:7], s[12:13], s[6:7]
	v_mov_b32_e32 v3, 1
	v_dual_mov_b32 v5, s6 :: v_dual_mov_b32 v6, s7
	s_wait_dscnt 0x0
	;;#ASMSTART
	global_store_b128 v[5:6], v[1:4] off scope:SCOPE_DEV	
s_wait_storecnt 0x0
	;;#ASMEND
.LBB2650_68:
	s_wait_alu 0xfffe
	s_or_b32 exec_lo, exec_lo, s4
	v_xad_u32 v21, v33, -1, s18
	s_mov_b32 s5, 0
	s_mov_b32 s4, exec_lo
	s_delay_alu instid0(VALU_DEP_1) | instskip(NEXT) | instid1(VALU_DEP_1)
	v_add_nc_u32_e32 v3, 32, v21
	v_lshlrev_b64_e32 v[3:4], 4, v[3:4]
	s_delay_alu instid0(VALU_DEP_1) | instskip(SKIP_1) | instid1(VALU_DEP_2)
	v_add_co_u32 v3, vcc_lo, s12, v3
	s_wait_alu 0xfffd
	v_add_co_ci_u32_e64 v4, null, s13, v4, vcc_lo
	;;#ASMSTART
	global_load_b128 v[5:8], v[3:4] off scope:SCOPE_DEV	
s_wait_loadcnt 0x0
	;;#ASMEND
	v_and_b32_e32 v8, 0xff, v7
	s_delay_alu instid0(VALU_DEP_1)
	v_cmpx_eq_u16_e32 0, v8
	s_cbranch_execz .LBB2650_71
.LBB2650_69:                            ; =>This Inner Loop Header: Depth=1
	;;#ASMSTART
	global_load_b128 v[5:8], v[3:4] off scope:SCOPE_DEV	
s_wait_loadcnt 0x0
	;;#ASMEND
	v_and_b32_e32 v8, 0xff, v7
	s_delay_alu instid0(VALU_DEP_1)
	v_cmp_ne_u16_e32 vcc_lo, 0, v8
	s_wait_alu 0xfffe
	s_or_b32 s5, vcc_lo, s5
	s_wait_alu 0xfffe
	s_and_not1_b32 exec_lo, exec_lo, s5
	s_cbranch_execnz .LBB2650_69
; %bb.70:
	s_or_b32 exec_lo, exec_lo, s5
.LBB2650_71:
	s_wait_alu 0xfffe
	s_or_b32 exec_lo, exec_lo, s4
	v_cmp_ne_u32_e32 vcc_lo, 31, v33
	v_and_b32_e32 v4, 0xff, v7
	v_lshlrev_b32_e64 v38, v33, -1
	s_mov_b32 s4, exec_lo
	s_wait_alu 0xfffd
	v_add_co_ci_u32_e64 v3, null, 0, v33, vcc_lo
	v_cmp_eq_u16_e32 vcc_lo, 2, v4
	s_delay_alu instid0(VALU_DEP_2)
	v_dual_mov_b32 v4, v5 :: v_dual_lshlrev_b32 v37, 2, v3
	s_wait_alu 0xfffd
	v_and_or_b32 v3, vcc_lo, v38, 0x80000000
	ds_bpermute_b32 v22, v37, v5
	ds_bpermute_b32 v8, v37, v6
	v_ctz_i32_b32_e32 v3, v3
	s_delay_alu instid0(VALU_DEP_1)
	v_cmpx_lt_u32_e64 v33, v3
	s_cbranch_execz .LBB2650_73
; %bb.72:
	s_wait_dscnt 0x1
	v_add_co_u32 v4, vcc_lo, v5, v22
	s_wait_alu 0xfffd
	v_add_co_ci_u32_e64 v6, null, 0, v6, vcc_lo
	s_delay_alu instid0(VALU_DEP_2) | instskip(SKIP_2) | instid1(VALU_DEP_2)
	v_add_co_u32 v5, vcc_lo, 0, v4
	s_wait_dscnt 0x0
	s_wait_alu 0xfffd
	v_add_co_ci_u32_e64 v6, null, v8, v6, vcc_lo
.LBB2650_73:
	s_wait_alu 0xfffe
	s_or_b32 exec_lo, exec_lo, s4
	v_cmp_gt_u32_e32 vcc_lo, 30, v33
	v_add_nc_u32_e32 v40, 2, v33
	s_mov_b32 s4, exec_lo
	s_wait_dscnt 0x0
	s_wait_alu 0xfffd
	v_cndmask_b32_e64 v8, 0, 2, vcc_lo
	s_delay_alu instid0(VALU_DEP_1)
	v_add_lshl_u32 v39, v8, v33, 2
	ds_bpermute_b32 v22, v39, v4
	ds_bpermute_b32 v8, v39, v6
	v_cmpx_le_u32_e64 v40, v3
	s_cbranch_execz .LBB2650_75
; %bb.74:
	s_wait_dscnt 0x1
	v_add_co_u32 v4, vcc_lo, v5, v22
	s_wait_alu 0xfffd
	v_add_co_ci_u32_e64 v6, null, 0, v6, vcc_lo
	s_delay_alu instid0(VALU_DEP_2) | instskip(SKIP_2) | instid1(VALU_DEP_2)
	v_add_co_u32 v5, vcc_lo, 0, v4
	s_wait_dscnt 0x0
	s_wait_alu 0xfffd
	v_add_co_ci_u32_e64 v6, null, v8, v6, vcc_lo
.LBB2650_75:
	s_wait_alu 0xfffe
	s_or_b32 exec_lo, exec_lo, s4
	v_cmp_gt_u32_e32 vcc_lo, 28, v33
	v_add_nc_u32_e32 v42, 4, v33
	s_mov_b32 s4, exec_lo
	s_wait_dscnt 0x0
	s_wait_alu 0xfffd
	v_cndmask_b32_e64 v8, 0, 4, vcc_lo
	s_delay_alu instid0(VALU_DEP_1)
	v_add_lshl_u32 v41, v8, v33, 2
	ds_bpermute_b32 v22, v41, v4
	ds_bpermute_b32 v8, v41, v6
	v_cmpx_le_u32_e64 v42, v3
	;; [unrolled: 25-line block ×3, first 2 shown]
	s_cbranch_execz .LBB2650_79
; %bb.78:
	s_wait_dscnt 0x1
	v_add_co_u32 v4, vcc_lo, v5, v22
	s_wait_alu 0xfffd
	v_add_co_ci_u32_e64 v6, null, 0, v6, vcc_lo
	s_delay_alu instid0(VALU_DEP_2) | instskip(SKIP_2) | instid1(VALU_DEP_2)
	v_add_co_u32 v5, vcc_lo, 0, v4
	s_wait_dscnt 0x0
	s_wait_alu 0xfffd
	v_add_co_ci_u32_e64 v6, null, v8, v6, vcc_lo
.LBB2650_79:
	s_wait_alu 0xfffe
	s_or_b32 exec_lo, exec_lo, s4
	v_lshl_or_b32 v45, v33, 2, 64
	v_add_nc_u32_e32 v46, 16, v33
	s_mov_b32 s4, exec_lo
	s_wait_dscnt 0x0
	ds_bpermute_b32 v8, v45, v4
	ds_bpermute_b32 v4, v45, v6
	v_cmpx_le_u32_e64 v46, v3
	s_cbranch_execz .LBB2650_81
; %bb.80:
	s_wait_dscnt 0x1
	v_add_co_u32 v3, vcc_lo, v5, v8
	s_wait_alu 0xfffd
	v_add_co_ci_u32_e64 v6, null, 0, v6, vcc_lo
	s_delay_alu instid0(VALU_DEP_2) | instskip(SKIP_2) | instid1(VALU_DEP_2)
	v_add_co_u32 v5, vcc_lo, v3, 0
	s_wait_dscnt 0x0
	s_wait_alu 0xfffd
	v_add_co_ci_u32_e64 v6, null, v6, v4, vcc_lo
.LBB2650_81:
	s_wait_alu 0xfffe
	s_or_b32 exec_lo, exec_lo, s4
	v_mov_b32_e32 v22, 0
	s_branch .LBB2650_84
.LBB2650_82:                            ;   in Loop: Header=BB2650_84 Depth=1
	s_wait_alu 0xfffe
	s_or_b32 exec_lo, exec_lo, s4
	v_add_co_u32 v5, vcc_lo, v5, v3
	v_subrev_nc_u32_e32 v21, 32, v21
	s_wait_alu 0xfffd
	v_add_co_ci_u32_e64 v6, null, v6, v4, vcc_lo
	s_mov_b32 s4, 0
.LBB2650_83:                            ;   in Loop: Header=BB2650_84 Depth=1
	s_wait_alu 0xfffe
	s_and_b32 vcc_lo, exec_lo, s4
	s_wait_alu 0xfffe
	s_cbranch_vccnz .LBB2650_100
.LBB2650_84:                            ; =>This Loop Header: Depth=1
                                        ;     Child Loop BB2650_87 Depth 2
	v_and_b32_e32 v3, 0xff, v7
	s_mov_b32 s4, -1
	s_delay_alu instid0(VALU_DEP_1)
	v_cmp_ne_u16_e32 vcc_lo, 2, v3
	s_wait_dscnt 0x0
	v_dual_mov_b32 v3, v5 :: v_dual_mov_b32 v4, v6
                                        ; implicit-def: $vgpr5_vgpr6
	s_cmp_lg_u32 vcc_lo, exec_lo
	s_cbranch_scc1 .LBB2650_83
; %bb.85:                               ;   in Loop: Header=BB2650_84 Depth=1
	v_lshlrev_b64_e32 v[5:6], 4, v[21:22]
	s_mov_b32 s4, exec_lo
	s_delay_alu instid0(VALU_DEP_1) | instskip(SKIP_1) | instid1(VALU_DEP_2)
	v_add_co_u32 v23, vcc_lo, s12, v5
	s_wait_alu 0xfffd
	v_add_co_ci_u32_e64 v24, null, s13, v6, vcc_lo
	;;#ASMSTART
	global_load_b128 v[5:8], v[23:24] off scope:SCOPE_DEV	
s_wait_loadcnt 0x0
	;;#ASMEND
	v_and_b32_e32 v8, 0xff, v7
	s_delay_alu instid0(VALU_DEP_1)
	v_cmpx_eq_u16_e32 0, v8
	s_cbranch_execz .LBB2650_89
; %bb.86:                               ;   in Loop: Header=BB2650_84 Depth=1
	s_mov_b32 s5, 0
.LBB2650_87:                            ;   Parent Loop BB2650_84 Depth=1
                                        ; =>  This Inner Loop Header: Depth=2
	;;#ASMSTART
	global_load_b128 v[5:8], v[23:24] off scope:SCOPE_DEV	
s_wait_loadcnt 0x0
	;;#ASMEND
	v_and_b32_e32 v8, 0xff, v7
	s_delay_alu instid0(VALU_DEP_1)
	v_cmp_ne_u16_e32 vcc_lo, 0, v8
	s_wait_alu 0xfffe
	s_or_b32 s5, vcc_lo, s5
	s_wait_alu 0xfffe
	s_and_not1_b32 exec_lo, exec_lo, s5
	s_cbranch_execnz .LBB2650_87
; %bb.88:                               ;   in Loop: Header=BB2650_84 Depth=1
	s_or_b32 exec_lo, exec_lo, s5
.LBB2650_89:                            ;   in Loop: Header=BB2650_84 Depth=1
	s_wait_alu 0xfffe
	s_or_b32 exec_lo, exec_lo, s4
	v_dual_mov_b32 v23, v5 :: v_dual_and_b32 v8, 0xff, v7
	ds_bpermute_b32 v47, v37, v5
	ds_bpermute_b32 v24, v37, v6
	s_mov_b32 s4, exec_lo
	v_cmp_eq_u16_e32 vcc_lo, 2, v8
	s_wait_alu 0xfffd
	v_and_or_b32 v8, vcc_lo, v38, 0x80000000
	s_delay_alu instid0(VALU_DEP_1) | instskip(NEXT) | instid1(VALU_DEP_1)
	v_ctz_i32_b32_e32 v8, v8
	v_cmpx_lt_u32_e64 v33, v8
	s_cbranch_execz .LBB2650_91
; %bb.90:                               ;   in Loop: Header=BB2650_84 Depth=1
	s_wait_dscnt 0x1
	v_add_co_u32 v23, vcc_lo, v5, v47
	s_wait_alu 0xfffd
	v_add_co_ci_u32_e64 v6, null, 0, v6, vcc_lo
	s_delay_alu instid0(VALU_DEP_2) | instskip(SKIP_2) | instid1(VALU_DEP_2)
	v_add_co_u32 v5, vcc_lo, 0, v23
	s_wait_dscnt 0x0
	s_wait_alu 0xfffd
	v_add_co_ci_u32_e64 v6, null, v24, v6, vcc_lo
.LBB2650_91:                            ;   in Loop: Header=BB2650_84 Depth=1
	s_wait_alu 0xfffe
	s_or_b32 exec_lo, exec_lo, s4
	s_wait_dscnt 0x1
	ds_bpermute_b32 v47, v39, v23
	s_wait_dscnt 0x1
	ds_bpermute_b32 v24, v39, v6
	s_mov_b32 s4, exec_lo
	v_cmpx_le_u32_e64 v40, v8
	s_cbranch_execz .LBB2650_93
; %bb.92:                               ;   in Loop: Header=BB2650_84 Depth=1
	s_wait_dscnt 0x1
	v_add_co_u32 v23, vcc_lo, v5, v47
	s_wait_alu 0xfffd
	v_add_co_ci_u32_e64 v6, null, 0, v6, vcc_lo
	s_delay_alu instid0(VALU_DEP_2) | instskip(SKIP_2) | instid1(VALU_DEP_2)
	v_add_co_u32 v5, vcc_lo, 0, v23
	s_wait_dscnt 0x0
	s_wait_alu 0xfffd
	v_add_co_ci_u32_e64 v6, null, v24, v6, vcc_lo
.LBB2650_93:                            ;   in Loop: Header=BB2650_84 Depth=1
	s_wait_alu 0xfffe
	s_or_b32 exec_lo, exec_lo, s4
	s_wait_dscnt 0x1
	ds_bpermute_b32 v47, v41, v23
	s_wait_dscnt 0x1
	ds_bpermute_b32 v24, v41, v6
	s_mov_b32 s4, exec_lo
	v_cmpx_le_u32_e64 v42, v8
	;; [unrolled: 20-line block ×3, first 2 shown]
	s_cbranch_execz .LBB2650_97
; %bb.96:                               ;   in Loop: Header=BB2650_84 Depth=1
	s_wait_dscnt 0x1
	v_add_co_u32 v23, vcc_lo, v5, v47
	s_wait_alu 0xfffd
	v_add_co_ci_u32_e64 v6, null, 0, v6, vcc_lo
	s_delay_alu instid0(VALU_DEP_2) | instskip(SKIP_2) | instid1(VALU_DEP_2)
	v_add_co_u32 v5, vcc_lo, 0, v23
	s_wait_dscnt 0x0
	s_wait_alu 0xfffd
	v_add_co_ci_u32_e64 v6, null, v24, v6, vcc_lo
.LBB2650_97:                            ;   in Loop: Header=BB2650_84 Depth=1
	s_wait_alu 0xfffe
	s_or_b32 exec_lo, exec_lo, s4
	s_wait_dscnt 0x0
	ds_bpermute_b32 v24, v45, v23
	ds_bpermute_b32 v23, v45, v6
	s_mov_b32 s4, exec_lo
	v_cmpx_le_u32_e64 v46, v8
	s_cbranch_execz .LBB2650_82
; %bb.98:                               ;   in Loop: Header=BB2650_84 Depth=1
	s_wait_dscnt 0x1
	v_add_co_u32 v5, vcc_lo, v5, v24
	s_wait_alu 0xfffd
	v_add_co_ci_u32_e64 v6, null, 0, v6, vcc_lo
	s_delay_alu instid0(VALU_DEP_2) | instskip(SKIP_2) | instid1(VALU_DEP_2)
	v_add_co_u32 v5, vcc_lo, v5, 0
	s_wait_dscnt 0x0
	s_wait_alu 0xfffd
	v_add_co_ci_u32_e64 v6, null, v6, v23, vcc_lo
	s_branch .LBB2650_82
.LBB2650_99:
                                        ; implicit-def: $vgpr19_vgpr20
                                        ; implicit-def: $vgpr5_vgpr6
                                        ; implicit-def: $vgpr3_vgpr4
                                        ; implicit-def: $vgpr20_vgpr21
                                        ; implicit-def: $vgpr6_vgpr7
                                        ; implicit-def: $vgpr21_vgpr22
                                        ; implicit-def: $vgpr7_vgpr8
                                        ; implicit-def: $vgpr22_vgpr23
	s_wait_alu 0xfffe
	s_and_b32 vcc_lo, exec_lo, s1
	s_wait_alu 0xfffe
	s_cbranch_vccnz .LBB2650_105
	s_branch .LBB2650_132
.LBB2650_100:
	s_and_saveexec_b32 s4, s1
	s_cbranch_execz .LBB2650_102
; %bb.101:
	s_add_co_i32 s6, s18, 32
	s_mov_b32 s7, 0
	v_add_co_u32 v5, vcc_lo, v3, v1
	s_wait_alu 0xfffe
	s_lshl_b64 s[6:7], s[6:7], 4
	v_dual_mov_b32 v7, 2 :: v_dual_mov_b32 v8, 0
	s_wait_alu 0xfffe
	s_add_nc_u64 s[6:7], s[12:13], s[6:7]
	s_wait_alu 0xfffd
	v_add_co_ci_u32_e64 v6, null, v4, v2, vcc_lo
	s_wait_alu 0xfffe
	v_dual_mov_b32 v22, s7 :: v_dual_mov_b32 v21, s6
	;;#ASMSTART
	global_store_b128 v[21:22], v[5:8] off scope:SCOPE_DEV	
s_wait_storecnt 0x0
	;;#ASMEND
	ds_store_b128 v8, v[1:4] offset:10752
.LBB2650_102:
	s_wait_alu 0xfffe
	s_or_b32 exec_lo, exec_lo, s4
	s_delay_alu instid0(SALU_CYCLE_1)
	s_and_b32 exec_lo, exec_lo, s2
; %bb.103:
	v_mov_b32_e32 v1, 0
	ds_store_b64 v1, v[3:4] offset:88
.LBB2650_104:
	s_wait_alu 0xfffe
	s_or_b32 exec_lo, exec_lo, s3
	v_mov_b32_e32 v3, 0
	s_wait_loadcnt_dscnt 0x0
	s_barrier_signal -1
	s_barrier_wait -1
	global_inv scope:SCOPE_SE
	ds_load_b64 v[1:2], v3 offset:88
	v_cndmask_b32_e64 v4, v36, v19, s1
	v_cndmask_b32_e64 v5, 0, v20, s1
	s_wait_loadcnt_dscnt 0x0
	s_barrier_signal -1
	s_barrier_wait -1
	v_cndmask_b32_e64 v4, v4, 0, s2
	v_cndmask_b32_e64 v5, v5, 0, s2
	global_inv scope:SCOPE_SE
	v_add_co_u32 v22, vcc_lo, v1, v4
	s_wait_alu 0xfffd
	v_add_co_ci_u32_e64 v1, null, v2, v5, vcc_lo
	s_delay_alu instid0(VALU_DEP_2) | instskip(SKIP_1) | instid1(VALU_DEP_2)
	v_add_co_u32 v21, vcc_lo, v22, v32
	s_wait_alu 0xfffd
	v_add_co_ci_u32_e64 v1, null, 0, v1, vcc_lo
	s_delay_alu instid0(VALU_DEP_2) | instskip(SKIP_1) | instid1(VALU_DEP_2)
	v_add_co_u32 v20, vcc_lo, v21, v31
	s_wait_alu 0xfffd
	v_add_co_ci_u32_e64 v5, null, 0, v1, vcc_lo
	ds_load_b128 v[1:4], v3 offset:10752
	v_add_co_u32 v19, vcc_lo, v20, v29
	s_wait_alu 0xfffd
	v_add_co_ci_u32_e64 v5, null, 0, v5, vcc_lo
	s_delay_alu instid0(VALU_DEP_2) | instskip(SKIP_1) | instid1(VALU_DEP_2)
	v_add_co_u32 v7, vcc_lo, v19, v28
	s_wait_alu 0xfffd
	v_add_co_ci_u32_e64 v5, null, 0, v5, vcc_lo
	s_delay_alu instid0(VALU_DEP_2) | instskip(SKIP_1) | instid1(VALU_DEP_2)
	;; [unrolled: 4-line block ×3, first 2 shown]
	v_add_co_u32 v5, vcc_lo, v6, v27
	s_wait_alu 0xfffd
	v_add_co_ci_u32_e64 v8, null, 0, v8, vcc_lo
	s_branch .LBB2650_132
.LBB2650_105:
	s_wait_dscnt 0x0
	v_dual_mov_b32 v2, 0 :: v_dual_mov_b32 v3, v17
	v_mov_b32_dpp v4, v17 row_shr:1 row_mask:0xf bank_mask:0xf
	s_delay_alu instid0(VALU_DEP_2)
	v_mov_b32_dpp v1, v2 row_shr:1 row_mask:0xf bank_mask:0xf
	s_and_saveexec_b32 s1, s0
; %bb.106:
	s_delay_alu instid0(VALU_DEP_2) | instskip(SKIP_2) | instid1(VALU_DEP_2)
	v_add_co_u32 v3, vcc_lo, v17, v4
	s_wait_alu 0xfffd
	v_add_co_ci_u32_e64 v2, null, 0, v18, vcc_lo
	v_add_co_u32 v17, vcc_lo, 0, v3
	s_wait_alu 0xfffd
	s_delay_alu instid0(VALU_DEP_2) | instskip(NEXT) | instid1(VALU_DEP_1)
	v_add_co_ci_u32_e64 v18, null, v1, v2, vcc_lo
	v_mov_b32_e32 v2, v18
; %bb.107:
	s_wait_alu 0xfffe
	s_or_b32 exec_lo, exec_lo, s1
	v_mov_b32_dpp v1, v3 row_shr:2 row_mask:0xf bank_mask:0xf
	s_delay_alu instid0(VALU_DEP_2)
	v_mov_b32_dpp v4, v2 row_shr:2 row_mask:0xf bank_mask:0xf
	v_cmp_lt_u32_e32 vcc_lo, 1, v35
	s_and_saveexec_b32 s3, vcc_lo
; %bb.108:
	s_delay_alu instid0(VALU_DEP_3) | instskip(SKIP_2) | instid1(VALU_DEP_2)
	v_add_co_u32 v3, s1, v17, v1
	s_wait_alu 0xf1ff
	v_add_co_ci_u32_e64 v2, null, 0, v18, s1
	v_add_co_u32 v1, s1, 0, v3
	s_wait_alu 0xf1ff
	s_delay_alu instid0(VALU_DEP_2) | instskip(NEXT) | instid1(VALU_DEP_1)
	v_add_co_ci_u32_e64 v2, null, v4, v2, s1
	v_dual_mov_b32 v18, v2 :: v_dual_mov_b32 v17, v1
; %bb.109:
	s_wait_alu 0xfffe
	s_or_b32 exec_lo, exec_lo, s3
	v_mov_b32_dpp v1, v3 row_shr:4 row_mask:0xf bank_mask:0xf
	v_mov_b32_dpp v4, v2 row_shr:4 row_mask:0xf bank_mask:0xf
	v_cmp_lt_u32_e64 s1, 3, v35
	s_and_saveexec_b32 s4, s1
; %bb.110:
	v_add_co_u32 v3, s3, v17, v1
	s_wait_alu 0xf1ff
	v_add_co_ci_u32_e64 v2, null, 0, v18, s3
	s_delay_alu instid0(VALU_DEP_2) | instskip(SKIP_1) | instid1(VALU_DEP_2)
	v_add_co_u32 v1, s3, 0, v3
	s_wait_alu 0xf1ff
	v_add_co_ci_u32_e64 v2, null, v4, v2, s3
	s_delay_alu instid0(VALU_DEP_1)
	v_dual_mov_b32 v18, v2 :: v_dual_mov_b32 v17, v1
; %bb.111:
	s_wait_alu 0xfffe
	s_or_b32 exec_lo, exec_lo, s4
	v_mov_b32_dpp v4, v3 row_shr:8 row_mask:0xf bank_mask:0xf
	v_mov_b32_dpp v1, v2 row_shr:8 row_mask:0xf bank_mask:0xf
	v_cmp_lt_u32_e64 s3, 7, v35
	s_and_saveexec_b32 s5, s3
; %bb.112:
	v_add_co_u32 v3, s4, v17, v4
	s_wait_alu 0xf1ff
	v_add_co_ci_u32_e64 v2, null, 0, v18, s4
	s_delay_alu instid0(VALU_DEP_2) | instskip(SKIP_1) | instid1(VALU_DEP_2)
	v_add_co_u32 v17, s4, 0, v3
	s_wait_alu 0xf1ff
	v_add_co_ci_u32_e64 v18, null, v1, v2, s4
	s_delay_alu instid0(VALU_DEP_1)
	v_mov_b32_e32 v2, v18
; %bb.113:
	s_wait_alu 0xfffe
	s_or_b32 exec_lo, exec_lo, s5
	ds_swizzle_b32 v3, v3 offset:swizzle(BROADCAST,32,15)
	ds_swizzle_b32 v1, v2 offset:swizzle(BROADCAST,32,15)
	v_and_b32_e32 v2, 16, v33
	s_mov_b32 s5, exec_lo
	s_delay_alu instid0(VALU_DEP_1)
	v_cmpx_ne_u32_e32 0, v2
	s_cbranch_execz .LBB2650_115
; %bb.114:
	s_wait_dscnt 0x1
	v_add_co_u32 v2, s4, v17, v3
	s_wait_alu 0xf1ff
	v_add_co_ci_u32_e64 v3, null, 0, v18, s4
	s_delay_alu instid0(VALU_DEP_2) | instskip(SKIP_2) | instid1(VALU_DEP_2)
	v_add_co_u32 v17, s4, v2, 0
	s_wait_dscnt 0x0
	s_wait_alu 0xf1ff
	v_add_co_ci_u32_e64 v18, null, v3, v1, s4
.LBB2650_115:
	s_wait_alu 0xfffe
	s_or_b32 exec_lo, exec_lo, s5
	s_wait_dscnt 0x0
	v_and_b32_e32 v1, 0x1e0, v0
	v_lshrrev_b32_e32 v3, 5, v0
	s_mov_b32 s5, exec_lo
	s_delay_alu instid0(VALU_DEP_2) | instskip(NEXT) | instid1(VALU_DEP_1)
	v_min_u32_e32 v1, 0x160, v1
	v_or_b32_e32 v1, 31, v1
	s_delay_alu instid0(VALU_DEP_1)
	v_cmpx_eq_u32_e64 v0, v1
; %bb.116:
	v_lshlrev_b32_e32 v1, 3, v3
	ds_store_b64 v1, v[17:18]
; %bb.117:
	s_wait_alu 0xfffe
	s_or_b32 exec_lo, exec_lo, s5
	s_delay_alu instid0(SALU_CYCLE_1)
	s_mov_b32 s5, exec_lo
	s_wait_loadcnt_dscnt 0x0
	s_barrier_signal -1
	s_barrier_wait -1
	global_inv scope:SCOPE_SE
	v_cmpx_gt_u32_e32 12, v0
	s_cbranch_execz .LBB2650_127
; %bb.118:
	v_add_nc_u32_e32 v4, v34, v0
	ds_load_b64 v[1:2], v4
	s_wait_dscnt 0x0
	v_mov_b32_dpp v7, v1 row_shr:1 row_mask:0xf bank_mask:0xf
	v_mov_b32_dpp v6, v2 row_shr:1 row_mask:0xf bank_mask:0xf
	v_mov_b32_e32 v5, v1
	s_and_saveexec_b32 s4, s0
; %bb.119:
	s_delay_alu instid0(VALU_DEP_3) | instskip(SKIP_2) | instid1(VALU_DEP_2)
	v_add_co_u32 v5, s0, v1, v7
	s_wait_alu 0xf1ff
	v_add_co_ci_u32_e64 v2, null, 0, v2, s0
	v_add_co_u32 v1, s0, 0, v5
	s_wait_alu 0xf1ff
	s_delay_alu instid0(VALU_DEP_2)
	v_add_co_ci_u32_e64 v2, null, v6, v2, s0
; %bb.120:
	s_wait_alu 0xfffe
	s_or_b32 exec_lo, exec_lo, s4
	v_mov_b32_dpp v7, v5 row_shr:2 row_mask:0xf bank_mask:0xf
	s_delay_alu instid0(VALU_DEP_2)
	v_mov_b32_dpp v6, v2 row_shr:2 row_mask:0xf bank_mask:0xf
	s_and_saveexec_b32 s0, vcc_lo
; %bb.121:
	s_delay_alu instid0(VALU_DEP_2) | instskip(SKIP_2) | instid1(VALU_DEP_2)
	v_add_co_u32 v5, vcc_lo, v1, v7
	s_wait_alu 0xfffd
	v_add_co_ci_u32_e64 v2, null, 0, v2, vcc_lo
	v_add_co_u32 v1, vcc_lo, 0, v5
	s_wait_alu 0xfffd
	s_delay_alu instid0(VALU_DEP_2)
	v_add_co_ci_u32_e64 v2, null, v6, v2, vcc_lo
; %bb.122:
	s_wait_alu 0xfffe
	s_or_b32 exec_lo, exec_lo, s0
	v_mov_b32_dpp v7, v5 row_shr:4 row_mask:0xf bank_mask:0xf
	s_delay_alu instid0(VALU_DEP_2)
	v_mov_b32_dpp v6, v2 row_shr:4 row_mask:0xf bank_mask:0xf
	s_and_saveexec_b32 s0, s1
; %bb.123:
	s_delay_alu instid0(VALU_DEP_2) | instskip(SKIP_2) | instid1(VALU_DEP_2)
	v_add_co_u32 v5, vcc_lo, v1, v7
	s_wait_alu 0xfffd
	v_add_co_ci_u32_e64 v2, null, 0, v2, vcc_lo
	v_add_co_u32 v1, vcc_lo, 0, v5
	s_wait_alu 0xfffd
	s_delay_alu instid0(VALU_DEP_2)
	v_add_co_ci_u32_e64 v2, null, v6, v2, vcc_lo
; %bb.124:
	s_wait_alu 0xfffe
	s_or_b32 exec_lo, exec_lo, s0
	v_mov_b32_dpp v6, v5 row_shr:8 row_mask:0xf bank_mask:0xf
	s_delay_alu instid0(VALU_DEP_2)
	v_mov_b32_dpp v5, v2 row_shr:8 row_mask:0xf bank_mask:0xf
	s_and_saveexec_b32 s0, s3
; %bb.125:
	s_delay_alu instid0(VALU_DEP_2) | instskip(SKIP_2) | instid1(VALU_DEP_2)
	v_add_co_u32 v1, vcc_lo, v1, v6
	s_wait_alu 0xfffd
	v_add_co_ci_u32_e64 v2, null, 0, v2, vcc_lo
	v_add_co_u32 v1, vcc_lo, v1, 0
	s_wait_alu 0xfffd
	s_delay_alu instid0(VALU_DEP_2)
	v_add_co_ci_u32_e64 v2, null, v2, v5, vcc_lo
; %bb.126:
	s_wait_alu 0xfffe
	s_or_b32 exec_lo, exec_lo, s0
	ds_store_b64 v4, v[1:2]
.LBB2650_127:
	s_wait_alu 0xfffe
	s_or_b32 exec_lo, exec_lo, s5
	v_mov_b32_e32 v5, 0
	v_mov_b32_e32 v6, 0
	s_mov_b32 s0, exec_lo
	s_wait_loadcnt_dscnt 0x0
	s_barrier_signal -1
	s_barrier_wait -1
	global_inv scope:SCOPE_SE
	v_cmpx_lt_u32_e32 31, v0
; %bb.128:
	v_lshl_add_u32 v0, v3, 3, -8
	ds_load_b64 v[5:6], v0
; %bb.129:
	s_wait_alu 0xfffe
	s_or_b32 exec_lo, exec_lo, s0
	v_sub_co_u32 v0, vcc_lo, v33, 1
	s_wait_dscnt 0x0
	v_dual_mov_b32 v4, 0 :: v_dual_add_nc_u32 v1, v5, v17
	s_delay_alu instid0(VALU_DEP_2) | instskip(SKIP_1) | instid1(VALU_DEP_1)
	v_cmp_gt_i32_e64 s0, 0, v0
	s_wait_alu 0xf1ff
	v_cndmask_b32_e64 v0, v0, v33, s0
	s_delay_alu instid0(VALU_DEP_1)
	v_lshlrev_b32_e32 v0, 2, v0
	ds_bpermute_b32 v0, v0, v1
	ds_load_b64 v[1:2], v4 offset:88
	s_and_saveexec_b32 s0, s2
	s_cbranch_execz .LBB2650_131
; %bb.130:
	s_add_nc_u64 s[4:5], s[12:13], 0x200
	s_wait_alu 0xfffe
	v_dual_mov_b32 v3, 2 :: v_dual_mov_b32 v8, s5
	v_mov_b32_e32 v7, s4
	s_wait_dscnt 0x0
	;;#ASMSTART
	global_store_b128 v[7:8], v[1:4] off scope:SCOPE_DEV	
s_wait_storecnt 0x0
	;;#ASMEND
.LBB2650_131:
	s_wait_alu 0xfffe
	s_or_b32 exec_lo, exec_lo, s0
	s_wait_dscnt 0x1
	s_wait_alu 0xfffd
	v_dual_cndmask_b32 v0, v0, v5 :: v_dual_cndmask_b32 v3, 0, v6
	s_wait_loadcnt_dscnt 0x0
	s_barrier_signal -1
	s_barrier_wait -1
	s_delay_alu instid0(VALU_DEP_1)
	v_cndmask_b32_e64 v22, v0, 0, s2
	v_cndmask_b32_e64 v0, v3, 0, s2
	v_mov_b32_e32 v3, 0
	v_mov_b32_e32 v4, 0
	global_inv scope:SCOPE_SE
	v_add_co_u32 v21, vcc_lo, v22, v32
	s_wait_alu 0xfffd
	v_add_co_ci_u32_e64 v0, null, 0, v0, vcc_lo
	s_delay_alu instid0(VALU_DEP_2) | instskip(SKIP_1) | instid1(VALU_DEP_2)
	v_add_co_u32 v20, vcc_lo, v21, v31
	s_wait_alu 0xfffd
	v_add_co_ci_u32_e64 v0, null, 0, v0, vcc_lo
	s_delay_alu instid0(VALU_DEP_2) | instskip(SKIP_1) | instid1(VALU_DEP_2)
	;; [unrolled: 4-line block ×5, first 2 shown]
	v_add_co_u32 v5, vcc_lo, v6, v27
	s_wait_alu 0xfffd
	v_add_co_ci_u32_e64 v0, null, 0, v0, vcc_lo
.LBB2650_132:
	s_wait_dscnt 0x0
	v_cmp_gt_u64_e32 vcc_lo, 0x181, v[1:2]
	s_cbranch_vccz .LBB2650_135
; %bb.133:
	s_and_b32 s0, s2, s16
	s_wait_alu 0xfffe
	s_and_saveexec_b32 s1, s0
	s_cbranch_execnz .LBB2650_150
.LBB2650_134:
	s_endpgm
.LBB2650_135:
	s_mov_b32 s0, exec_lo
	v_cmpx_eq_u32_e32 1, v32
; %bb.136:
	v_sub_nc_u32_e32 v0, v22, v3
	s_delay_alu instid0(VALU_DEP_1)
	v_lshlrev_b32_e32 v0, 2, v0
	ds_store_b32 v0, v15
; %bb.137:
	s_wait_alu 0xfffe
	s_or_b32 exec_lo, exec_lo, s0
	s_delay_alu instid0(SALU_CYCLE_1)
	s_mov_b32 s0, exec_lo
	v_cmpx_eq_u32_e32 1, v31
; %bb.138:
	v_sub_nc_u32_e32 v0, v21, v3
	s_delay_alu instid0(VALU_DEP_1)
	v_lshlrev_b32_e32 v0, 2, v0
	ds_store_b32 v0, v16
; %bb.139:
	s_wait_alu 0xfffe
	s_or_b32 exec_lo, exec_lo, s0
	s_delay_alu instid0(SALU_CYCLE_1)
	;; [unrolled: 11-line block ×6, first 2 shown]
	s_mov_b32 s0, exec_lo
	v_cmpx_eq_u32_e32 1, v26
; %bb.148:
	v_sub_nc_u32_e32 v0, v5, v3
	s_delay_alu instid0(VALU_DEP_1)
	v_lshlrev_b32_e32 v0, 2, v0
	ds_store_b32 v0, v25
; %bb.149:
	s_wait_alu 0xfffe
	s_or_b32 exec_lo, exec_lo, s0
	s_wait_loadcnt_dscnt 0x0
	s_barrier_signal -1
	s_barrier_wait -1
	global_inv scope:SCOPE_SE
	s_and_b32 s0, s2, s16
	s_wait_alu 0xfffe
	s_and_saveexec_b32 s1, s0
	s_cbranch_execz .LBB2650_134
.LBB2650_150:
	v_add_co_u32 v0, vcc_lo, v1, v9
	s_wait_alu 0xfffd
	v_add_co_ci_u32_e64 v1, null, v2, v10, vcc_lo
	v_mov_b32_e32 v2, 0
	s_delay_alu instid0(VALU_DEP_3) | instskip(SKIP_1) | instid1(VALU_DEP_3)
	v_add_co_u32 v0, vcc_lo, v0, v3
	s_wait_alu 0xfffd
	v_add_co_ci_u32_e64 v1, null, v1, v4, vcc_lo
	global_store_b64 v2, v[0:1], s[8:9]
	s_endpgm
	.section	.rodata,"a",@progbits
	.p2align	6, 0x0
	.amdhsa_kernel _ZN7rocprim17ROCPRIM_400000_NS6detail17trampoline_kernelINS0_14default_configENS1_25partition_config_selectorILNS1_17partition_subalgoE5EfNS0_10empty_typeEbEEZZNS1_14partition_implILS5_5ELb0ES3_mN6thrust23THRUST_200600_302600_NS6detail15normal_iteratorINSA_10device_ptrIfEEEEPS6_NSA_18transform_iteratorINSB_9not_fun_tI7is_trueIfEEENSC_INSD_IbEEEENSA_11use_defaultESO_EENS0_5tupleIJNSA_16discard_iteratorISO_EES6_EEENSQ_IJSG_SG_EEES6_PlJS6_EEE10hipError_tPvRmT3_T4_T5_T6_T7_T9_mT8_P12ihipStream_tbDpT10_ENKUlT_T0_E_clISt17integral_constantIbLb0EES1E_IbLb1EEEEDaS1A_S1B_EUlS1A_E_NS1_11comp_targetILNS1_3genE10ELNS1_11target_archE1200ELNS1_3gpuE4ELNS1_3repE0EEENS1_30default_config_static_selectorELNS0_4arch9wavefront6targetE0EEEvT1_
		.amdhsa_group_segment_fixed_size 10768
		.amdhsa_private_segment_fixed_size 0
		.amdhsa_kernarg_size 144
		.amdhsa_user_sgpr_count 2
		.amdhsa_user_sgpr_dispatch_ptr 0
		.amdhsa_user_sgpr_queue_ptr 0
		.amdhsa_user_sgpr_kernarg_segment_ptr 1
		.amdhsa_user_sgpr_dispatch_id 0
		.amdhsa_user_sgpr_private_segment_size 0
		.amdhsa_wavefront_size32 1
		.amdhsa_uses_dynamic_stack 0
		.amdhsa_enable_private_segment 0
		.amdhsa_system_sgpr_workgroup_id_x 1
		.amdhsa_system_sgpr_workgroup_id_y 0
		.amdhsa_system_sgpr_workgroup_id_z 0
		.amdhsa_system_sgpr_workgroup_info 0
		.amdhsa_system_vgpr_workitem_id 0
		.amdhsa_next_free_vgpr 48
		.amdhsa_next_free_sgpr 22
		.amdhsa_reserve_vcc 1
		.amdhsa_float_round_mode_32 0
		.amdhsa_float_round_mode_16_64 0
		.amdhsa_float_denorm_mode_32 3
		.amdhsa_float_denorm_mode_16_64 3
		.amdhsa_fp16_overflow 0
		.amdhsa_workgroup_processor_mode 1
		.amdhsa_memory_ordered 1
		.amdhsa_forward_progress 1
		.amdhsa_inst_pref_size 62
		.amdhsa_round_robin_scheduling 0
		.amdhsa_exception_fp_ieee_invalid_op 0
		.amdhsa_exception_fp_denorm_src 0
		.amdhsa_exception_fp_ieee_div_zero 0
		.amdhsa_exception_fp_ieee_overflow 0
		.amdhsa_exception_fp_ieee_underflow 0
		.amdhsa_exception_fp_ieee_inexact 0
		.amdhsa_exception_int_div_zero 0
	.end_amdhsa_kernel
	.section	.text._ZN7rocprim17ROCPRIM_400000_NS6detail17trampoline_kernelINS0_14default_configENS1_25partition_config_selectorILNS1_17partition_subalgoE5EfNS0_10empty_typeEbEEZZNS1_14partition_implILS5_5ELb0ES3_mN6thrust23THRUST_200600_302600_NS6detail15normal_iteratorINSA_10device_ptrIfEEEEPS6_NSA_18transform_iteratorINSB_9not_fun_tI7is_trueIfEEENSC_INSD_IbEEEENSA_11use_defaultESO_EENS0_5tupleIJNSA_16discard_iteratorISO_EES6_EEENSQ_IJSG_SG_EEES6_PlJS6_EEE10hipError_tPvRmT3_T4_T5_T6_T7_T9_mT8_P12ihipStream_tbDpT10_ENKUlT_T0_E_clISt17integral_constantIbLb0EES1E_IbLb1EEEEDaS1A_S1B_EUlS1A_E_NS1_11comp_targetILNS1_3genE10ELNS1_11target_archE1200ELNS1_3gpuE4ELNS1_3repE0EEENS1_30default_config_static_selectorELNS0_4arch9wavefront6targetE0EEEvT1_,"axG",@progbits,_ZN7rocprim17ROCPRIM_400000_NS6detail17trampoline_kernelINS0_14default_configENS1_25partition_config_selectorILNS1_17partition_subalgoE5EfNS0_10empty_typeEbEEZZNS1_14partition_implILS5_5ELb0ES3_mN6thrust23THRUST_200600_302600_NS6detail15normal_iteratorINSA_10device_ptrIfEEEEPS6_NSA_18transform_iteratorINSB_9not_fun_tI7is_trueIfEEENSC_INSD_IbEEEENSA_11use_defaultESO_EENS0_5tupleIJNSA_16discard_iteratorISO_EES6_EEENSQ_IJSG_SG_EEES6_PlJS6_EEE10hipError_tPvRmT3_T4_T5_T6_T7_T9_mT8_P12ihipStream_tbDpT10_ENKUlT_T0_E_clISt17integral_constantIbLb0EES1E_IbLb1EEEEDaS1A_S1B_EUlS1A_E_NS1_11comp_targetILNS1_3genE10ELNS1_11target_archE1200ELNS1_3gpuE4ELNS1_3repE0EEENS1_30default_config_static_selectorELNS0_4arch9wavefront6targetE0EEEvT1_,comdat
.Lfunc_end2650:
	.size	_ZN7rocprim17ROCPRIM_400000_NS6detail17trampoline_kernelINS0_14default_configENS1_25partition_config_selectorILNS1_17partition_subalgoE5EfNS0_10empty_typeEbEEZZNS1_14partition_implILS5_5ELb0ES3_mN6thrust23THRUST_200600_302600_NS6detail15normal_iteratorINSA_10device_ptrIfEEEEPS6_NSA_18transform_iteratorINSB_9not_fun_tI7is_trueIfEEENSC_INSD_IbEEEENSA_11use_defaultESO_EENS0_5tupleIJNSA_16discard_iteratorISO_EES6_EEENSQ_IJSG_SG_EEES6_PlJS6_EEE10hipError_tPvRmT3_T4_T5_T6_T7_T9_mT8_P12ihipStream_tbDpT10_ENKUlT_T0_E_clISt17integral_constantIbLb0EES1E_IbLb1EEEEDaS1A_S1B_EUlS1A_E_NS1_11comp_targetILNS1_3genE10ELNS1_11target_archE1200ELNS1_3gpuE4ELNS1_3repE0EEENS1_30default_config_static_selectorELNS0_4arch9wavefront6targetE0EEEvT1_, .Lfunc_end2650-_ZN7rocprim17ROCPRIM_400000_NS6detail17trampoline_kernelINS0_14default_configENS1_25partition_config_selectorILNS1_17partition_subalgoE5EfNS0_10empty_typeEbEEZZNS1_14partition_implILS5_5ELb0ES3_mN6thrust23THRUST_200600_302600_NS6detail15normal_iteratorINSA_10device_ptrIfEEEEPS6_NSA_18transform_iteratorINSB_9not_fun_tI7is_trueIfEEENSC_INSD_IbEEEENSA_11use_defaultESO_EENS0_5tupleIJNSA_16discard_iteratorISO_EES6_EEENSQ_IJSG_SG_EEES6_PlJS6_EEE10hipError_tPvRmT3_T4_T5_T6_T7_T9_mT8_P12ihipStream_tbDpT10_ENKUlT_T0_E_clISt17integral_constantIbLb0EES1E_IbLb1EEEEDaS1A_S1B_EUlS1A_E_NS1_11comp_targetILNS1_3genE10ELNS1_11target_archE1200ELNS1_3gpuE4ELNS1_3repE0EEENS1_30default_config_static_selectorELNS0_4arch9wavefront6targetE0EEEvT1_
                                        ; -- End function
	.set _ZN7rocprim17ROCPRIM_400000_NS6detail17trampoline_kernelINS0_14default_configENS1_25partition_config_selectorILNS1_17partition_subalgoE5EfNS0_10empty_typeEbEEZZNS1_14partition_implILS5_5ELb0ES3_mN6thrust23THRUST_200600_302600_NS6detail15normal_iteratorINSA_10device_ptrIfEEEEPS6_NSA_18transform_iteratorINSB_9not_fun_tI7is_trueIfEEENSC_INSD_IbEEEENSA_11use_defaultESO_EENS0_5tupleIJNSA_16discard_iteratorISO_EES6_EEENSQ_IJSG_SG_EEES6_PlJS6_EEE10hipError_tPvRmT3_T4_T5_T6_T7_T9_mT8_P12ihipStream_tbDpT10_ENKUlT_T0_E_clISt17integral_constantIbLb0EES1E_IbLb1EEEEDaS1A_S1B_EUlS1A_E_NS1_11comp_targetILNS1_3genE10ELNS1_11target_archE1200ELNS1_3gpuE4ELNS1_3repE0EEENS1_30default_config_static_selectorELNS0_4arch9wavefront6targetE0EEEvT1_.num_vgpr, 48
	.set _ZN7rocprim17ROCPRIM_400000_NS6detail17trampoline_kernelINS0_14default_configENS1_25partition_config_selectorILNS1_17partition_subalgoE5EfNS0_10empty_typeEbEEZZNS1_14partition_implILS5_5ELb0ES3_mN6thrust23THRUST_200600_302600_NS6detail15normal_iteratorINSA_10device_ptrIfEEEEPS6_NSA_18transform_iteratorINSB_9not_fun_tI7is_trueIfEEENSC_INSD_IbEEEENSA_11use_defaultESO_EENS0_5tupleIJNSA_16discard_iteratorISO_EES6_EEENSQ_IJSG_SG_EEES6_PlJS6_EEE10hipError_tPvRmT3_T4_T5_T6_T7_T9_mT8_P12ihipStream_tbDpT10_ENKUlT_T0_E_clISt17integral_constantIbLb0EES1E_IbLb1EEEEDaS1A_S1B_EUlS1A_E_NS1_11comp_targetILNS1_3genE10ELNS1_11target_archE1200ELNS1_3gpuE4ELNS1_3repE0EEENS1_30default_config_static_selectorELNS0_4arch9wavefront6targetE0EEEvT1_.num_agpr, 0
	.set _ZN7rocprim17ROCPRIM_400000_NS6detail17trampoline_kernelINS0_14default_configENS1_25partition_config_selectorILNS1_17partition_subalgoE5EfNS0_10empty_typeEbEEZZNS1_14partition_implILS5_5ELb0ES3_mN6thrust23THRUST_200600_302600_NS6detail15normal_iteratorINSA_10device_ptrIfEEEEPS6_NSA_18transform_iteratorINSB_9not_fun_tI7is_trueIfEEENSC_INSD_IbEEEENSA_11use_defaultESO_EENS0_5tupleIJNSA_16discard_iteratorISO_EES6_EEENSQ_IJSG_SG_EEES6_PlJS6_EEE10hipError_tPvRmT3_T4_T5_T6_T7_T9_mT8_P12ihipStream_tbDpT10_ENKUlT_T0_E_clISt17integral_constantIbLb0EES1E_IbLb1EEEEDaS1A_S1B_EUlS1A_E_NS1_11comp_targetILNS1_3genE10ELNS1_11target_archE1200ELNS1_3gpuE4ELNS1_3repE0EEENS1_30default_config_static_selectorELNS0_4arch9wavefront6targetE0EEEvT1_.numbered_sgpr, 22
	.set _ZN7rocprim17ROCPRIM_400000_NS6detail17trampoline_kernelINS0_14default_configENS1_25partition_config_selectorILNS1_17partition_subalgoE5EfNS0_10empty_typeEbEEZZNS1_14partition_implILS5_5ELb0ES3_mN6thrust23THRUST_200600_302600_NS6detail15normal_iteratorINSA_10device_ptrIfEEEEPS6_NSA_18transform_iteratorINSB_9not_fun_tI7is_trueIfEEENSC_INSD_IbEEEENSA_11use_defaultESO_EENS0_5tupleIJNSA_16discard_iteratorISO_EES6_EEENSQ_IJSG_SG_EEES6_PlJS6_EEE10hipError_tPvRmT3_T4_T5_T6_T7_T9_mT8_P12ihipStream_tbDpT10_ENKUlT_T0_E_clISt17integral_constantIbLb0EES1E_IbLb1EEEEDaS1A_S1B_EUlS1A_E_NS1_11comp_targetILNS1_3genE10ELNS1_11target_archE1200ELNS1_3gpuE4ELNS1_3repE0EEENS1_30default_config_static_selectorELNS0_4arch9wavefront6targetE0EEEvT1_.num_named_barrier, 0
	.set _ZN7rocprim17ROCPRIM_400000_NS6detail17trampoline_kernelINS0_14default_configENS1_25partition_config_selectorILNS1_17partition_subalgoE5EfNS0_10empty_typeEbEEZZNS1_14partition_implILS5_5ELb0ES3_mN6thrust23THRUST_200600_302600_NS6detail15normal_iteratorINSA_10device_ptrIfEEEEPS6_NSA_18transform_iteratorINSB_9not_fun_tI7is_trueIfEEENSC_INSD_IbEEEENSA_11use_defaultESO_EENS0_5tupleIJNSA_16discard_iteratorISO_EES6_EEENSQ_IJSG_SG_EEES6_PlJS6_EEE10hipError_tPvRmT3_T4_T5_T6_T7_T9_mT8_P12ihipStream_tbDpT10_ENKUlT_T0_E_clISt17integral_constantIbLb0EES1E_IbLb1EEEEDaS1A_S1B_EUlS1A_E_NS1_11comp_targetILNS1_3genE10ELNS1_11target_archE1200ELNS1_3gpuE4ELNS1_3repE0EEENS1_30default_config_static_selectorELNS0_4arch9wavefront6targetE0EEEvT1_.private_seg_size, 0
	.set _ZN7rocprim17ROCPRIM_400000_NS6detail17trampoline_kernelINS0_14default_configENS1_25partition_config_selectorILNS1_17partition_subalgoE5EfNS0_10empty_typeEbEEZZNS1_14partition_implILS5_5ELb0ES3_mN6thrust23THRUST_200600_302600_NS6detail15normal_iteratorINSA_10device_ptrIfEEEEPS6_NSA_18transform_iteratorINSB_9not_fun_tI7is_trueIfEEENSC_INSD_IbEEEENSA_11use_defaultESO_EENS0_5tupleIJNSA_16discard_iteratorISO_EES6_EEENSQ_IJSG_SG_EEES6_PlJS6_EEE10hipError_tPvRmT3_T4_T5_T6_T7_T9_mT8_P12ihipStream_tbDpT10_ENKUlT_T0_E_clISt17integral_constantIbLb0EES1E_IbLb1EEEEDaS1A_S1B_EUlS1A_E_NS1_11comp_targetILNS1_3genE10ELNS1_11target_archE1200ELNS1_3gpuE4ELNS1_3repE0EEENS1_30default_config_static_selectorELNS0_4arch9wavefront6targetE0EEEvT1_.uses_vcc, 1
	.set _ZN7rocprim17ROCPRIM_400000_NS6detail17trampoline_kernelINS0_14default_configENS1_25partition_config_selectorILNS1_17partition_subalgoE5EfNS0_10empty_typeEbEEZZNS1_14partition_implILS5_5ELb0ES3_mN6thrust23THRUST_200600_302600_NS6detail15normal_iteratorINSA_10device_ptrIfEEEEPS6_NSA_18transform_iteratorINSB_9not_fun_tI7is_trueIfEEENSC_INSD_IbEEEENSA_11use_defaultESO_EENS0_5tupleIJNSA_16discard_iteratorISO_EES6_EEENSQ_IJSG_SG_EEES6_PlJS6_EEE10hipError_tPvRmT3_T4_T5_T6_T7_T9_mT8_P12ihipStream_tbDpT10_ENKUlT_T0_E_clISt17integral_constantIbLb0EES1E_IbLb1EEEEDaS1A_S1B_EUlS1A_E_NS1_11comp_targetILNS1_3genE10ELNS1_11target_archE1200ELNS1_3gpuE4ELNS1_3repE0EEENS1_30default_config_static_selectorELNS0_4arch9wavefront6targetE0EEEvT1_.uses_flat_scratch, 1
	.set _ZN7rocprim17ROCPRIM_400000_NS6detail17trampoline_kernelINS0_14default_configENS1_25partition_config_selectorILNS1_17partition_subalgoE5EfNS0_10empty_typeEbEEZZNS1_14partition_implILS5_5ELb0ES3_mN6thrust23THRUST_200600_302600_NS6detail15normal_iteratorINSA_10device_ptrIfEEEEPS6_NSA_18transform_iteratorINSB_9not_fun_tI7is_trueIfEEENSC_INSD_IbEEEENSA_11use_defaultESO_EENS0_5tupleIJNSA_16discard_iteratorISO_EES6_EEENSQ_IJSG_SG_EEES6_PlJS6_EEE10hipError_tPvRmT3_T4_T5_T6_T7_T9_mT8_P12ihipStream_tbDpT10_ENKUlT_T0_E_clISt17integral_constantIbLb0EES1E_IbLb1EEEEDaS1A_S1B_EUlS1A_E_NS1_11comp_targetILNS1_3genE10ELNS1_11target_archE1200ELNS1_3gpuE4ELNS1_3repE0EEENS1_30default_config_static_selectorELNS0_4arch9wavefront6targetE0EEEvT1_.has_dyn_sized_stack, 0
	.set _ZN7rocprim17ROCPRIM_400000_NS6detail17trampoline_kernelINS0_14default_configENS1_25partition_config_selectorILNS1_17partition_subalgoE5EfNS0_10empty_typeEbEEZZNS1_14partition_implILS5_5ELb0ES3_mN6thrust23THRUST_200600_302600_NS6detail15normal_iteratorINSA_10device_ptrIfEEEEPS6_NSA_18transform_iteratorINSB_9not_fun_tI7is_trueIfEEENSC_INSD_IbEEEENSA_11use_defaultESO_EENS0_5tupleIJNSA_16discard_iteratorISO_EES6_EEENSQ_IJSG_SG_EEES6_PlJS6_EEE10hipError_tPvRmT3_T4_T5_T6_T7_T9_mT8_P12ihipStream_tbDpT10_ENKUlT_T0_E_clISt17integral_constantIbLb0EES1E_IbLb1EEEEDaS1A_S1B_EUlS1A_E_NS1_11comp_targetILNS1_3genE10ELNS1_11target_archE1200ELNS1_3gpuE4ELNS1_3repE0EEENS1_30default_config_static_selectorELNS0_4arch9wavefront6targetE0EEEvT1_.has_recursion, 0
	.set _ZN7rocprim17ROCPRIM_400000_NS6detail17trampoline_kernelINS0_14default_configENS1_25partition_config_selectorILNS1_17partition_subalgoE5EfNS0_10empty_typeEbEEZZNS1_14partition_implILS5_5ELb0ES3_mN6thrust23THRUST_200600_302600_NS6detail15normal_iteratorINSA_10device_ptrIfEEEEPS6_NSA_18transform_iteratorINSB_9not_fun_tI7is_trueIfEEENSC_INSD_IbEEEENSA_11use_defaultESO_EENS0_5tupleIJNSA_16discard_iteratorISO_EES6_EEENSQ_IJSG_SG_EEES6_PlJS6_EEE10hipError_tPvRmT3_T4_T5_T6_T7_T9_mT8_P12ihipStream_tbDpT10_ENKUlT_T0_E_clISt17integral_constantIbLb0EES1E_IbLb1EEEEDaS1A_S1B_EUlS1A_E_NS1_11comp_targetILNS1_3genE10ELNS1_11target_archE1200ELNS1_3gpuE4ELNS1_3repE0EEENS1_30default_config_static_selectorELNS0_4arch9wavefront6targetE0EEEvT1_.has_indirect_call, 0
	.section	.AMDGPU.csdata,"",@progbits
; Kernel info:
; codeLenInByte = 7836
; TotalNumSgprs: 24
; NumVgprs: 48
; ScratchSize: 0
; MemoryBound: 0
; FloatMode: 240
; IeeeMode: 1
; LDSByteSize: 10768 bytes/workgroup (compile time only)
; SGPRBlocks: 0
; VGPRBlocks: 5
; NumSGPRsForWavesPerEU: 24
; NumVGPRsForWavesPerEU: 48
; Occupancy: 15
; WaveLimiterHint : 1
; COMPUTE_PGM_RSRC2:SCRATCH_EN: 0
; COMPUTE_PGM_RSRC2:USER_SGPR: 2
; COMPUTE_PGM_RSRC2:TRAP_HANDLER: 0
; COMPUTE_PGM_RSRC2:TGID_X_EN: 1
; COMPUTE_PGM_RSRC2:TGID_Y_EN: 0
; COMPUTE_PGM_RSRC2:TGID_Z_EN: 0
; COMPUTE_PGM_RSRC2:TIDIG_COMP_CNT: 0
	.section	.text._ZN7rocprim17ROCPRIM_400000_NS6detail17trampoline_kernelINS0_14default_configENS1_25partition_config_selectorILNS1_17partition_subalgoE5EfNS0_10empty_typeEbEEZZNS1_14partition_implILS5_5ELb0ES3_mN6thrust23THRUST_200600_302600_NS6detail15normal_iteratorINSA_10device_ptrIfEEEEPS6_NSA_18transform_iteratorINSB_9not_fun_tI7is_trueIfEEENSC_INSD_IbEEEENSA_11use_defaultESO_EENS0_5tupleIJNSA_16discard_iteratorISO_EES6_EEENSQ_IJSG_SG_EEES6_PlJS6_EEE10hipError_tPvRmT3_T4_T5_T6_T7_T9_mT8_P12ihipStream_tbDpT10_ENKUlT_T0_E_clISt17integral_constantIbLb0EES1E_IbLb1EEEEDaS1A_S1B_EUlS1A_E_NS1_11comp_targetILNS1_3genE9ELNS1_11target_archE1100ELNS1_3gpuE3ELNS1_3repE0EEENS1_30default_config_static_selectorELNS0_4arch9wavefront6targetE0EEEvT1_,"axG",@progbits,_ZN7rocprim17ROCPRIM_400000_NS6detail17trampoline_kernelINS0_14default_configENS1_25partition_config_selectorILNS1_17partition_subalgoE5EfNS0_10empty_typeEbEEZZNS1_14partition_implILS5_5ELb0ES3_mN6thrust23THRUST_200600_302600_NS6detail15normal_iteratorINSA_10device_ptrIfEEEEPS6_NSA_18transform_iteratorINSB_9not_fun_tI7is_trueIfEEENSC_INSD_IbEEEENSA_11use_defaultESO_EENS0_5tupleIJNSA_16discard_iteratorISO_EES6_EEENSQ_IJSG_SG_EEES6_PlJS6_EEE10hipError_tPvRmT3_T4_T5_T6_T7_T9_mT8_P12ihipStream_tbDpT10_ENKUlT_T0_E_clISt17integral_constantIbLb0EES1E_IbLb1EEEEDaS1A_S1B_EUlS1A_E_NS1_11comp_targetILNS1_3genE9ELNS1_11target_archE1100ELNS1_3gpuE3ELNS1_3repE0EEENS1_30default_config_static_selectorELNS0_4arch9wavefront6targetE0EEEvT1_,comdat
	.protected	_ZN7rocprim17ROCPRIM_400000_NS6detail17trampoline_kernelINS0_14default_configENS1_25partition_config_selectorILNS1_17partition_subalgoE5EfNS0_10empty_typeEbEEZZNS1_14partition_implILS5_5ELb0ES3_mN6thrust23THRUST_200600_302600_NS6detail15normal_iteratorINSA_10device_ptrIfEEEEPS6_NSA_18transform_iteratorINSB_9not_fun_tI7is_trueIfEEENSC_INSD_IbEEEENSA_11use_defaultESO_EENS0_5tupleIJNSA_16discard_iteratorISO_EES6_EEENSQ_IJSG_SG_EEES6_PlJS6_EEE10hipError_tPvRmT3_T4_T5_T6_T7_T9_mT8_P12ihipStream_tbDpT10_ENKUlT_T0_E_clISt17integral_constantIbLb0EES1E_IbLb1EEEEDaS1A_S1B_EUlS1A_E_NS1_11comp_targetILNS1_3genE9ELNS1_11target_archE1100ELNS1_3gpuE3ELNS1_3repE0EEENS1_30default_config_static_selectorELNS0_4arch9wavefront6targetE0EEEvT1_ ; -- Begin function _ZN7rocprim17ROCPRIM_400000_NS6detail17trampoline_kernelINS0_14default_configENS1_25partition_config_selectorILNS1_17partition_subalgoE5EfNS0_10empty_typeEbEEZZNS1_14partition_implILS5_5ELb0ES3_mN6thrust23THRUST_200600_302600_NS6detail15normal_iteratorINSA_10device_ptrIfEEEEPS6_NSA_18transform_iteratorINSB_9not_fun_tI7is_trueIfEEENSC_INSD_IbEEEENSA_11use_defaultESO_EENS0_5tupleIJNSA_16discard_iteratorISO_EES6_EEENSQ_IJSG_SG_EEES6_PlJS6_EEE10hipError_tPvRmT3_T4_T5_T6_T7_T9_mT8_P12ihipStream_tbDpT10_ENKUlT_T0_E_clISt17integral_constantIbLb0EES1E_IbLb1EEEEDaS1A_S1B_EUlS1A_E_NS1_11comp_targetILNS1_3genE9ELNS1_11target_archE1100ELNS1_3gpuE3ELNS1_3repE0EEENS1_30default_config_static_selectorELNS0_4arch9wavefront6targetE0EEEvT1_
	.globl	_ZN7rocprim17ROCPRIM_400000_NS6detail17trampoline_kernelINS0_14default_configENS1_25partition_config_selectorILNS1_17partition_subalgoE5EfNS0_10empty_typeEbEEZZNS1_14partition_implILS5_5ELb0ES3_mN6thrust23THRUST_200600_302600_NS6detail15normal_iteratorINSA_10device_ptrIfEEEEPS6_NSA_18transform_iteratorINSB_9not_fun_tI7is_trueIfEEENSC_INSD_IbEEEENSA_11use_defaultESO_EENS0_5tupleIJNSA_16discard_iteratorISO_EES6_EEENSQ_IJSG_SG_EEES6_PlJS6_EEE10hipError_tPvRmT3_T4_T5_T6_T7_T9_mT8_P12ihipStream_tbDpT10_ENKUlT_T0_E_clISt17integral_constantIbLb0EES1E_IbLb1EEEEDaS1A_S1B_EUlS1A_E_NS1_11comp_targetILNS1_3genE9ELNS1_11target_archE1100ELNS1_3gpuE3ELNS1_3repE0EEENS1_30default_config_static_selectorELNS0_4arch9wavefront6targetE0EEEvT1_
	.p2align	8
	.type	_ZN7rocprim17ROCPRIM_400000_NS6detail17trampoline_kernelINS0_14default_configENS1_25partition_config_selectorILNS1_17partition_subalgoE5EfNS0_10empty_typeEbEEZZNS1_14partition_implILS5_5ELb0ES3_mN6thrust23THRUST_200600_302600_NS6detail15normal_iteratorINSA_10device_ptrIfEEEEPS6_NSA_18transform_iteratorINSB_9not_fun_tI7is_trueIfEEENSC_INSD_IbEEEENSA_11use_defaultESO_EENS0_5tupleIJNSA_16discard_iteratorISO_EES6_EEENSQ_IJSG_SG_EEES6_PlJS6_EEE10hipError_tPvRmT3_T4_T5_T6_T7_T9_mT8_P12ihipStream_tbDpT10_ENKUlT_T0_E_clISt17integral_constantIbLb0EES1E_IbLb1EEEEDaS1A_S1B_EUlS1A_E_NS1_11comp_targetILNS1_3genE9ELNS1_11target_archE1100ELNS1_3gpuE3ELNS1_3repE0EEENS1_30default_config_static_selectorELNS0_4arch9wavefront6targetE0EEEvT1_,@function
_ZN7rocprim17ROCPRIM_400000_NS6detail17trampoline_kernelINS0_14default_configENS1_25partition_config_selectorILNS1_17partition_subalgoE5EfNS0_10empty_typeEbEEZZNS1_14partition_implILS5_5ELb0ES3_mN6thrust23THRUST_200600_302600_NS6detail15normal_iteratorINSA_10device_ptrIfEEEEPS6_NSA_18transform_iteratorINSB_9not_fun_tI7is_trueIfEEENSC_INSD_IbEEEENSA_11use_defaultESO_EENS0_5tupleIJNSA_16discard_iteratorISO_EES6_EEENSQ_IJSG_SG_EEES6_PlJS6_EEE10hipError_tPvRmT3_T4_T5_T6_T7_T9_mT8_P12ihipStream_tbDpT10_ENKUlT_T0_E_clISt17integral_constantIbLb0EES1E_IbLb1EEEEDaS1A_S1B_EUlS1A_E_NS1_11comp_targetILNS1_3genE9ELNS1_11target_archE1100ELNS1_3gpuE3ELNS1_3repE0EEENS1_30default_config_static_selectorELNS0_4arch9wavefront6targetE0EEEvT1_: ; @_ZN7rocprim17ROCPRIM_400000_NS6detail17trampoline_kernelINS0_14default_configENS1_25partition_config_selectorILNS1_17partition_subalgoE5EfNS0_10empty_typeEbEEZZNS1_14partition_implILS5_5ELb0ES3_mN6thrust23THRUST_200600_302600_NS6detail15normal_iteratorINSA_10device_ptrIfEEEEPS6_NSA_18transform_iteratorINSB_9not_fun_tI7is_trueIfEEENSC_INSD_IbEEEENSA_11use_defaultESO_EENS0_5tupleIJNSA_16discard_iteratorISO_EES6_EEENSQ_IJSG_SG_EEES6_PlJS6_EEE10hipError_tPvRmT3_T4_T5_T6_T7_T9_mT8_P12ihipStream_tbDpT10_ENKUlT_T0_E_clISt17integral_constantIbLb0EES1E_IbLb1EEEEDaS1A_S1B_EUlS1A_E_NS1_11comp_targetILNS1_3genE9ELNS1_11target_archE1100ELNS1_3gpuE3ELNS1_3repE0EEENS1_30default_config_static_selectorELNS0_4arch9wavefront6targetE0EEEvT1_
; %bb.0:
	.section	.rodata,"a",@progbits
	.p2align	6, 0x0
	.amdhsa_kernel _ZN7rocprim17ROCPRIM_400000_NS6detail17trampoline_kernelINS0_14default_configENS1_25partition_config_selectorILNS1_17partition_subalgoE5EfNS0_10empty_typeEbEEZZNS1_14partition_implILS5_5ELb0ES3_mN6thrust23THRUST_200600_302600_NS6detail15normal_iteratorINSA_10device_ptrIfEEEEPS6_NSA_18transform_iteratorINSB_9not_fun_tI7is_trueIfEEENSC_INSD_IbEEEENSA_11use_defaultESO_EENS0_5tupleIJNSA_16discard_iteratorISO_EES6_EEENSQ_IJSG_SG_EEES6_PlJS6_EEE10hipError_tPvRmT3_T4_T5_T6_T7_T9_mT8_P12ihipStream_tbDpT10_ENKUlT_T0_E_clISt17integral_constantIbLb0EES1E_IbLb1EEEEDaS1A_S1B_EUlS1A_E_NS1_11comp_targetILNS1_3genE9ELNS1_11target_archE1100ELNS1_3gpuE3ELNS1_3repE0EEENS1_30default_config_static_selectorELNS0_4arch9wavefront6targetE0EEEvT1_
		.amdhsa_group_segment_fixed_size 0
		.amdhsa_private_segment_fixed_size 0
		.amdhsa_kernarg_size 144
		.amdhsa_user_sgpr_count 2
		.amdhsa_user_sgpr_dispatch_ptr 0
		.amdhsa_user_sgpr_queue_ptr 0
		.amdhsa_user_sgpr_kernarg_segment_ptr 1
		.amdhsa_user_sgpr_dispatch_id 0
		.amdhsa_user_sgpr_private_segment_size 0
		.amdhsa_wavefront_size32 1
		.amdhsa_uses_dynamic_stack 0
		.amdhsa_enable_private_segment 0
		.amdhsa_system_sgpr_workgroup_id_x 1
		.amdhsa_system_sgpr_workgroup_id_y 0
		.amdhsa_system_sgpr_workgroup_id_z 0
		.amdhsa_system_sgpr_workgroup_info 0
		.amdhsa_system_vgpr_workitem_id 0
		.amdhsa_next_free_vgpr 1
		.amdhsa_next_free_sgpr 1
		.amdhsa_reserve_vcc 0
		.amdhsa_float_round_mode_32 0
		.amdhsa_float_round_mode_16_64 0
		.amdhsa_float_denorm_mode_32 3
		.amdhsa_float_denorm_mode_16_64 3
		.amdhsa_fp16_overflow 0
		.amdhsa_workgroup_processor_mode 1
		.amdhsa_memory_ordered 1
		.amdhsa_forward_progress 1
		.amdhsa_inst_pref_size 0
		.amdhsa_round_robin_scheduling 0
		.amdhsa_exception_fp_ieee_invalid_op 0
		.amdhsa_exception_fp_denorm_src 0
		.amdhsa_exception_fp_ieee_div_zero 0
		.amdhsa_exception_fp_ieee_overflow 0
		.amdhsa_exception_fp_ieee_underflow 0
		.amdhsa_exception_fp_ieee_inexact 0
		.amdhsa_exception_int_div_zero 0
	.end_amdhsa_kernel
	.section	.text._ZN7rocprim17ROCPRIM_400000_NS6detail17trampoline_kernelINS0_14default_configENS1_25partition_config_selectorILNS1_17partition_subalgoE5EfNS0_10empty_typeEbEEZZNS1_14partition_implILS5_5ELb0ES3_mN6thrust23THRUST_200600_302600_NS6detail15normal_iteratorINSA_10device_ptrIfEEEEPS6_NSA_18transform_iteratorINSB_9not_fun_tI7is_trueIfEEENSC_INSD_IbEEEENSA_11use_defaultESO_EENS0_5tupleIJNSA_16discard_iteratorISO_EES6_EEENSQ_IJSG_SG_EEES6_PlJS6_EEE10hipError_tPvRmT3_T4_T5_T6_T7_T9_mT8_P12ihipStream_tbDpT10_ENKUlT_T0_E_clISt17integral_constantIbLb0EES1E_IbLb1EEEEDaS1A_S1B_EUlS1A_E_NS1_11comp_targetILNS1_3genE9ELNS1_11target_archE1100ELNS1_3gpuE3ELNS1_3repE0EEENS1_30default_config_static_selectorELNS0_4arch9wavefront6targetE0EEEvT1_,"axG",@progbits,_ZN7rocprim17ROCPRIM_400000_NS6detail17trampoline_kernelINS0_14default_configENS1_25partition_config_selectorILNS1_17partition_subalgoE5EfNS0_10empty_typeEbEEZZNS1_14partition_implILS5_5ELb0ES3_mN6thrust23THRUST_200600_302600_NS6detail15normal_iteratorINSA_10device_ptrIfEEEEPS6_NSA_18transform_iteratorINSB_9not_fun_tI7is_trueIfEEENSC_INSD_IbEEEENSA_11use_defaultESO_EENS0_5tupleIJNSA_16discard_iteratorISO_EES6_EEENSQ_IJSG_SG_EEES6_PlJS6_EEE10hipError_tPvRmT3_T4_T5_T6_T7_T9_mT8_P12ihipStream_tbDpT10_ENKUlT_T0_E_clISt17integral_constantIbLb0EES1E_IbLb1EEEEDaS1A_S1B_EUlS1A_E_NS1_11comp_targetILNS1_3genE9ELNS1_11target_archE1100ELNS1_3gpuE3ELNS1_3repE0EEENS1_30default_config_static_selectorELNS0_4arch9wavefront6targetE0EEEvT1_,comdat
.Lfunc_end2651:
	.size	_ZN7rocprim17ROCPRIM_400000_NS6detail17trampoline_kernelINS0_14default_configENS1_25partition_config_selectorILNS1_17partition_subalgoE5EfNS0_10empty_typeEbEEZZNS1_14partition_implILS5_5ELb0ES3_mN6thrust23THRUST_200600_302600_NS6detail15normal_iteratorINSA_10device_ptrIfEEEEPS6_NSA_18transform_iteratorINSB_9not_fun_tI7is_trueIfEEENSC_INSD_IbEEEENSA_11use_defaultESO_EENS0_5tupleIJNSA_16discard_iteratorISO_EES6_EEENSQ_IJSG_SG_EEES6_PlJS6_EEE10hipError_tPvRmT3_T4_T5_T6_T7_T9_mT8_P12ihipStream_tbDpT10_ENKUlT_T0_E_clISt17integral_constantIbLb0EES1E_IbLb1EEEEDaS1A_S1B_EUlS1A_E_NS1_11comp_targetILNS1_3genE9ELNS1_11target_archE1100ELNS1_3gpuE3ELNS1_3repE0EEENS1_30default_config_static_selectorELNS0_4arch9wavefront6targetE0EEEvT1_, .Lfunc_end2651-_ZN7rocprim17ROCPRIM_400000_NS6detail17trampoline_kernelINS0_14default_configENS1_25partition_config_selectorILNS1_17partition_subalgoE5EfNS0_10empty_typeEbEEZZNS1_14partition_implILS5_5ELb0ES3_mN6thrust23THRUST_200600_302600_NS6detail15normal_iteratorINSA_10device_ptrIfEEEEPS6_NSA_18transform_iteratorINSB_9not_fun_tI7is_trueIfEEENSC_INSD_IbEEEENSA_11use_defaultESO_EENS0_5tupleIJNSA_16discard_iteratorISO_EES6_EEENSQ_IJSG_SG_EEES6_PlJS6_EEE10hipError_tPvRmT3_T4_T5_T6_T7_T9_mT8_P12ihipStream_tbDpT10_ENKUlT_T0_E_clISt17integral_constantIbLb0EES1E_IbLb1EEEEDaS1A_S1B_EUlS1A_E_NS1_11comp_targetILNS1_3genE9ELNS1_11target_archE1100ELNS1_3gpuE3ELNS1_3repE0EEENS1_30default_config_static_selectorELNS0_4arch9wavefront6targetE0EEEvT1_
                                        ; -- End function
	.set _ZN7rocprim17ROCPRIM_400000_NS6detail17trampoline_kernelINS0_14default_configENS1_25partition_config_selectorILNS1_17partition_subalgoE5EfNS0_10empty_typeEbEEZZNS1_14partition_implILS5_5ELb0ES3_mN6thrust23THRUST_200600_302600_NS6detail15normal_iteratorINSA_10device_ptrIfEEEEPS6_NSA_18transform_iteratorINSB_9not_fun_tI7is_trueIfEEENSC_INSD_IbEEEENSA_11use_defaultESO_EENS0_5tupleIJNSA_16discard_iteratorISO_EES6_EEENSQ_IJSG_SG_EEES6_PlJS6_EEE10hipError_tPvRmT3_T4_T5_T6_T7_T9_mT8_P12ihipStream_tbDpT10_ENKUlT_T0_E_clISt17integral_constantIbLb0EES1E_IbLb1EEEEDaS1A_S1B_EUlS1A_E_NS1_11comp_targetILNS1_3genE9ELNS1_11target_archE1100ELNS1_3gpuE3ELNS1_3repE0EEENS1_30default_config_static_selectorELNS0_4arch9wavefront6targetE0EEEvT1_.num_vgpr, 0
	.set _ZN7rocprim17ROCPRIM_400000_NS6detail17trampoline_kernelINS0_14default_configENS1_25partition_config_selectorILNS1_17partition_subalgoE5EfNS0_10empty_typeEbEEZZNS1_14partition_implILS5_5ELb0ES3_mN6thrust23THRUST_200600_302600_NS6detail15normal_iteratorINSA_10device_ptrIfEEEEPS6_NSA_18transform_iteratorINSB_9not_fun_tI7is_trueIfEEENSC_INSD_IbEEEENSA_11use_defaultESO_EENS0_5tupleIJNSA_16discard_iteratorISO_EES6_EEENSQ_IJSG_SG_EEES6_PlJS6_EEE10hipError_tPvRmT3_T4_T5_T6_T7_T9_mT8_P12ihipStream_tbDpT10_ENKUlT_T0_E_clISt17integral_constantIbLb0EES1E_IbLb1EEEEDaS1A_S1B_EUlS1A_E_NS1_11comp_targetILNS1_3genE9ELNS1_11target_archE1100ELNS1_3gpuE3ELNS1_3repE0EEENS1_30default_config_static_selectorELNS0_4arch9wavefront6targetE0EEEvT1_.num_agpr, 0
	.set _ZN7rocprim17ROCPRIM_400000_NS6detail17trampoline_kernelINS0_14default_configENS1_25partition_config_selectorILNS1_17partition_subalgoE5EfNS0_10empty_typeEbEEZZNS1_14partition_implILS5_5ELb0ES3_mN6thrust23THRUST_200600_302600_NS6detail15normal_iteratorINSA_10device_ptrIfEEEEPS6_NSA_18transform_iteratorINSB_9not_fun_tI7is_trueIfEEENSC_INSD_IbEEEENSA_11use_defaultESO_EENS0_5tupleIJNSA_16discard_iteratorISO_EES6_EEENSQ_IJSG_SG_EEES6_PlJS6_EEE10hipError_tPvRmT3_T4_T5_T6_T7_T9_mT8_P12ihipStream_tbDpT10_ENKUlT_T0_E_clISt17integral_constantIbLb0EES1E_IbLb1EEEEDaS1A_S1B_EUlS1A_E_NS1_11comp_targetILNS1_3genE9ELNS1_11target_archE1100ELNS1_3gpuE3ELNS1_3repE0EEENS1_30default_config_static_selectorELNS0_4arch9wavefront6targetE0EEEvT1_.numbered_sgpr, 0
	.set _ZN7rocprim17ROCPRIM_400000_NS6detail17trampoline_kernelINS0_14default_configENS1_25partition_config_selectorILNS1_17partition_subalgoE5EfNS0_10empty_typeEbEEZZNS1_14partition_implILS5_5ELb0ES3_mN6thrust23THRUST_200600_302600_NS6detail15normal_iteratorINSA_10device_ptrIfEEEEPS6_NSA_18transform_iteratorINSB_9not_fun_tI7is_trueIfEEENSC_INSD_IbEEEENSA_11use_defaultESO_EENS0_5tupleIJNSA_16discard_iteratorISO_EES6_EEENSQ_IJSG_SG_EEES6_PlJS6_EEE10hipError_tPvRmT3_T4_T5_T6_T7_T9_mT8_P12ihipStream_tbDpT10_ENKUlT_T0_E_clISt17integral_constantIbLb0EES1E_IbLb1EEEEDaS1A_S1B_EUlS1A_E_NS1_11comp_targetILNS1_3genE9ELNS1_11target_archE1100ELNS1_3gpuE3ELNS1_3repE0EEENS1_30default_config_static_selectorELNS0_4arch9wavefront6targetE0EEEvT1_.num_named_barrier, 0
	.set _ZN7rocprim17ROCPRIM_400000_NS6detail17trampoline_kernelINS0_14default_configENS1_25partition_config_selectorILNS1_17partition_subalgoE5EfNS0_10empty_typeEbEEZZNS1_14partition_implILS5_5ELb0ES3_mN6thrust23THRUST_200600_302600_NS6detail15normal_iteratorINSA_10device_ptrIfEEEEPS6_NSA_18transform_iteratorINSB_9not_fun_tI7is_trueIfEEENSC_INSD_IbEEEENSA_11use_defaultESO_EENS0_5tupleIJNSA_16discard_iteratorISO_EES6_EEENSQ_IJSG_SG_EEES6_PlJS6_EEE10hipError_tPvRmT3_T4_T5_T6_T7_T9_mT8_P12ihipStream_tbDpT10_ENKUlT_T0_E_clISt17integral_constantIbLb0EES1E_IbLb1EEEEDaS1A_S1B_EUlS1A_E_NS1_11comp_targetILNS1_3genE9ELNS1_11target_archE1100ELNS1_3gpuE3ELNS1_3repE0EEENS1_30default_config_static_selectorELNS0_4arch9wavefront6targetE0EEEvT1_.private_seg_size, 0
	.set _ZN7rocprim17ROCPRIM_400000_NS6detail17trampoline_kernelINS0_14default_configENS1_25partition_config_selectorILNS1_17partition_subalgoE5EfNS0_10empty_typeEbEEZZNS1_14partition_implILS5_5ELb0ES3_mN6thrust23THRUST_200600_302600_NS6detail15normal_iteratorINSA_10device_ptrIfEEEEPS6_NSA_18transform_iteratorINSB_9not_fun_tI7is_trueIfEEENSC_INSD_IbEEEENSA_11use_defaultESO_EENS0_5tupleIJNSA_16discard_iteratorISO_EES6_EEENSQ_IJSG_SG_EEES6_PlJS6_EEE10hipError_tPvRmT3_T4_T5_T6_T7_T9_mT8_P12ihipStream_tbDpT10_ENKUlT_T0_E_clISt17integral_constantIbLb0EES1E_IbLb1EEEEDaS1A_S1B_EUlS1A_E_NS1_11comp_targetILNS1_3genE9ELNS1_11target_archE1100ELNS1_3gpuE3ELNS1_3repE0EEENS1_30default_config_static_selectorELNS0_4arch9wavefront6targetE0EEEvT1_.uses_vcc, 0
	.set _ZN7rocprim17ROCPRIM_400000_NS6detail17trampoline_kernelINS0_14default_configENS1_25partition_config_selectorILNS1_17partition_subalgoE5EfNS0_10empty_typeEbEEZZNS1_14partition_implILS5_5ELb0ES3_mN6thrust23THRUST_200600_302600_NS6detail15normal_iteratorINSA_10device_ptrIfEEEEPS6_NSA_18transform_iteratorINSB_9not_fun_tI7is_trueIfEEENSC_INSD_IbEEEENSA_11use_defaultESO_EENS0_5tupleIJNSA_16discard_iteratorISO_EES6_EEENSQ_IJSG_SG_EEES6_PlJS6_EEE10hipError_tPvRmT3_T4_T5_T6_T7_T9_mT8_P12ihipStream_tbDpT10_ENKUlT_T0_E_clISt17integral_constantIbLb0EES1E_IbLb1EEEEDaS1A_S1B_EUlS1A_E_NS1_11comp_targetILNS1_3genE9ELNS1_11target_archE1100ELNS1_3gpuE3ELNS1_3repE0EEENS1_30default_config_static_selectorELNS0_4arch9wavefront6targetE0EEEvT1_.uses_flat_scratch, 0
	.set _ZN7rocprim17ROCPRIM_400000_NS6detail17trampoline_kernelINS0_14default_configENS1_25partition_config_selectorILNS1_17partition_subalgoE5EfNS0_10empty_typeEbEEZZNS1_14partition_implILS5_5ELb0ES3_mN6thrust23THRUST_200600_302600_NS6detail15normal_iteratorINSA_10device_ptrIfEEEEPS6_NSA_18transform_iteratorINSB_9not_fun_tI7is_trueIfEEENSC_INSD_IbEEEENSA_11use_defaultESO_EENS0_5tupleIJNSA_16discard_iteratorISO_EES6_EEENSQ_IJSG_SG_EEES6_PlJS6_EEE10hipError_tPvRmT3_T4_T5_T6_T7_T9_mT8_P12ihipStream_tbDpT10_ENKUlT_T0_E_clISt17integral_constantIbLb0EES1E_IbLb1EEEEDaS1A_S1B_EUlS1A_E_NS1_11comp_targetILNS1_3genE9ELNS1_11target_archE1100ELNS1_3gpuE3ELNS1_3repE0EEENS1_30default_config_static_selectorELNS0_4arch9wavefront6targetE0EEEvT1_.has_dyn_sized_stack, 0
	.set _ZN7rocprim17ROCPRIM_400000_NS6detail17trampoline_kernelINS0_14default_configENS1_25partition_config_selectorILNS1_17partition_subalgoE5EfNS0_10empty_typeEbEEZZNS1_14partition_implILS5_5ELb0ES3_mN6thrust23THRUST_200600_302600_NS6detail15normal_iteratorINSA_10device_ptrIfEEEEPS6_NSA_18transform_iteratorINSB_9not_fun_tI7is_trueIfEEENSC_INSD_IbEEEENSA_11use_defaultESO_EENS0_5tupleIJNSA_16discard_iteratorISO_EES6_EEENSQ_IJSG_SG_EEES6_PlJS6_EEE10hipError_tPvRmT3_T4_T5_T6_T7_T9_mT8_P12ihipStream_tbDpT10_ENKUlT_T0_E_clISt17integral_constantIbLb0EES1E_IbLb1EEEEDaS1A_S1B_EUlS1A_E_NS1_11comp_targetILNS1_3genE9ELNS1_11target_archE1100ELNS1_3gpuE3ELNS1_3repE0EEENS1_30default_config_static_selectorELNS0_4arch9wavefront6targetE0EEEvT1_.has_recursion, 0
	.set _ZN7rocprim17ROCPRIM_400000_NS6detail17trampoline_kernelINS0_14default_configENS1_25partition_config_selectorILNS1_17partition_subalgoE5EfNS0_10empty_typeEbEEZZNS1_14partition_implILS5_5ELb0ES3_mN6thrust23THRUST_200600_302600_NS6detail15normal_iteratorINSA_10device_ptrIfEEEEPS6_NSA_18transform_iteratorINSB_9not_fun_tI7is_trueIfEEENSC_INSD_IbEEEENSA_11use_defaultESO_EENS0_5tupleIJNSA_16discard_iteratorISO_EES6_EEENSQ_IJSG_SG_EEES6_PlJS6_EEE10hipError_tPvRmT3_T4_T5_T6_T7_T9_mT8_P12ihipStream_tbDpT10_ENKUlT_T0_E_clISt17integral_constantIbLb0EES1E_IbLb1EEEEDaS1A_S1B_EUlS1A_E_NS1_11comp_targetILNS1_3genE9ELNS1_11target_archE1100ELNS1_3gpuE3ELNS1_3repE0EEENS1_30default_config_static_selectorELNS0_4arch9wavefront6targetE0EEEvT1_.has_indirect_call, 0
	.section	.AMDGPU.csdata,"",@progbits
; Kernel info:
; codeLenInByte = 0
; TotalNumSgprs: 0
; NumVgprs: 0
; ScratchSize: 0
; MemoryBound: 0
; FloatMode: 240
; IeeeMode: 1
; LDSByteSize: 0 bytes/workgroup (compile time only)
; SGPRBlocks: 0
; VGPRBlocks: 0
; NumSGPRsForWavesPerEU: 1
; NumVGPRsForWavesPerEU: 1
; Occupancy: 16
; WaveLimiterHint : 0
; COMPUTE_PGM_RSRC2:SCRATCH_EN: 0
; COMPUTE_PGM_RSRC2:USER_SGPR: 2
; COMPUTE_PGM_RSRC2:TRAP_HANDLER: 0
; COMPUTE_PGM_RSRC2:TGID_X_EN: 1
; COMPUTE_PGM_RSRC2:TGID_Y_EN: 0
; COMPUTE_PGM_RSRC2:TGID_Z_EN: 0
; COMPUTE_PGM_RSRC2:TIDIG_COMP_CNT: 0
	.section	.text._ZN7rocprim17ROCPRIM_400000_NS6detail17trampoline_kernelINS0_14default_configENS1_25partition_config_selectorILNS1_17partition_subalgoE5EfNS0_10empty_typeEbEEZZNS1_14partition_implILS5_5ELb0ES3_mN6thrust23THRUST_200600_302600_NS6detail15normal_iteratorINSA_10device_ptrIfEEEEPS6_NSA_18transform_iteratorINSB_9not_fun_tI7is_trueIfEEENSC_INSD_IbEEEENSA_11use_defaultESO_EENS0_5tupleIJNSA_16discard_iteratorISO_EES6_EEENSQ_IJSG_SG_EEES6_PlJS6_EEE10hipError_tPvRmT3_T4_T5_T6_T7_T9_mT8_P12ihipStream_tbDpT10_ENKUlT_T0_E_clISt17integral_constantIbLb0EES1E_IbLb1EEEEDaS1A_S1B_EUlS1A_E_NS1_11comp_targetILNS1_3genE8ELNS1_11target_archE1030ELNS1_3gpuE2ELNS1_3repE0EEENS1_30default_config_static_selectorELNS0_4arch9wavefront6targetE0EEEvT1_,"axG",@progbits,_ZN7rocprim17ROCPRIM_400000_NS6detail17trampoline_kernelINS0_14default_configENS1_25partition_config_selectorILNS1_17partition_subalgoE5EfNS0_10empty_typeEbEEZZNS1_14partition_implILS5_5ELb0ES3_mN6thrust23THRUST_200600_302600_NS6detail15normal_iteratorINSA_10device_ptrIfEEEEPS6_NSA_18transform_iteratorINSB_9not_fun_tI7is_trueIfEEENSC_INSD_IbEEEENSA_11use_defaultESO_EENS0_5tupleIJNSA_16discard_iteratorISO_EES6_EEENSQ_IJSG_SG_EEES6_PlJS6_EEE10hipError_tPvRmT3_T4_T5_T6_T7_T9_mT8_P12ihipStream_tbDpT10_ENKUlT_T0_E_clISt17integral_constantIbLb0EES1E_IbLb1EEEEDaS1A_S1B_EUlS1A_E_NS1_11comp_targetILNS1_3genE8ELNS1_11target_archE1030ELNS1_3gpuE2ELNS1_3repE0EEENS1_30default_config_static_selectorELNS0_4arch9wavefront6targetE0EEEvT1_,comdat
	.protected	_ZN7rocprim17ROCPRIM_400000_NS6detail17trampoline_kernelINS0_14default_configENS1_25partition_config_selectorILNS1_17partition_subalgoE5EfNS0_10empty_typeEbEEZZNS1_14partition_implILS5_5ELb0ES3_mN6thrust23THRUST_200600_302600_NS6detail15normal_iteratorINSA_10device_ptrIfEEEEPS6_NSA_18transform_iteratorINSB_9not_fun_tI7is_trueIfEEENSC_INSD_IbEEEENSA_11use_defaultESO_EENS0_5tupleIJNSA_16discard_iteratorISO_EES6_EEENSQ_IJSG_SG_EEES6_PlJS6_EEE10hipError_tPvRmT3_T4_T5_T6_T7_T9_mT8_P12ihipStream_tbDpT10_ENKUlT_T0_E_clISt17integral_constantIbLb0EES1E_IbLb1EEEEDaS1A_S1B_EUlS1A_E_NS1_11comp_targetILNS1_3genE8ELNS1_11target_archE1030ELNS1_3gpuE2ELNS1_3repE0EEENS1_30default_config_static_selectorELNS0_4arch9wavefront6targetE0EEEvT1_ ; -- Begin function _ZN7rocprim17ROCPRIM_400000_NS6detail17trampoline_kernelINS0_14default_configENS1_25partition_config_selectorILNS1_17partition_subalgoE5EfNS0_10empty_typeEbEEZZNS1_14partition_implILS5_5ELb0ES3_mN6thrust23THRUST_200600_302600_NS6detail15normal_iteratorINSA_10device_ptrIfEEEEPS6_NSA_18transform_iteratorINSB_9not_fun_tI7is_trueIfEEENSC_INSD_IbEEEENSA_11use_defaultESO_EENS0_5tupleIJNSA_16discard_iteratorISO_EES6_EEENSQ_IJSG_SG_EEES6_PlJS6_EEE10hipError_tPvRmT3_T4_T5_T6_T7_T9_mT8_P12ihipStream_tbDpT10_ENKUlT_T0_E_clISt17integral_constantIbLb0EES1E_IbLb1EEEEDaS1A_S1B_EUlS1A_E_NS1_11comp_targetILNS1_3genE8ELNS1_11target_archE1030ELNS1_3gpuE2ELNS1_3repE0EEENS1_30default_config_static_selectorELNS0_4arch9wavefront6targetE0EEEvT1_
	.globl	_ZN7rocprim17ROCPRIM_400000_NS6detail17trampoline_kernelINS0_14default_configENS1_25partition_config_selectorILNS1_17partition_subalgoE5EfNS0_10empty_typeEbEEZZNS1_14partition_implILS5_5ELb0ES3_mN6thrust23THRUST_200600_302600_NS6detail15normal_iteratorINSA_10device_ptrIfEEEEPS6_NSA_18transform_iteratorINSB_9not_fun_tI7is_trueIfEEENSC_INSD_IbEEEENSA_11use_defaultESO_EENS0_5tupleIJNSA_16discard_iteratorISO_EES6_EEENSQ_IJSG_SG_EEES6_PlJS6_EEE10hipError_tPvRmT3_T4_T5_T6_T7_T9_mT8_P12ihipStream_tbDpT10_ENKUlT_T0_E_clISt17integral_constantIbLb0EES1E_IbLb1EEEEDaS1A_S1B_EUlS1A_E_NS1_11comp_targetILNS1_3genE8ELNS1_11target_archE1030ELNS1_3gpuE2ELNS1_3repE0EEENS1_30default_config_static_selectorELNS0_4arch9wavefront6targetE0EEEvT1_
	.p2align	8
	.type	_ZN7rocprim17ROCPRIM_400000_NS6detail17trampoline_kernelINS0_14default_configENS1_25partition_config_selectorILNS1_17partition_subalgoE5EfNS0_10empty_typeEbEEZZNS1_14partition_implILS5_5ELb0ES3_mN6thrust23THRUST_200600_302600_NS6detail15normal_iteratorINSA_10device_ptrIfEEEEPS6_NSA_18transform_iteratorINSB_9not_fun_tI7is_trueIfEEENSC_INSD_IbEEEENSA_11use_defaultESO_EENS0_5tupleIJNSA_16discard_iteratorISO_EES6_EEENSQ_IJSG_SG_EEES6_PlJS6_EEE10hipError_tPvRmT3_T4_T5_T6_T7_T9_mT8_P12ihipStream_tbDpT10_ENKUlT_T0_E_clISt17integral_constantIbLb0EES1E_IbLb1EEEEDaS1A_S1B_EUlS1A_E_NS1_11comp_targetILNS1_3genE8ELNS1_11target_archE1030ELNS1_3gpuE2ELNS1_3repE0EEENS1_30default_config_static_selectorELNS0_4arch9wavefront6targetE0EEEvT1_,@function
_ZN7rocprim17ROCPRIM_400000_NS6detail17trampoline_kernelINS0_14default_configENS1_25partition_config_selectorILNS1_17partition_subalgoE5EfNS0_10empty_typeEbEEZZNS1_14partition_implILS5_5ELb0ES3_mN6thrust23THRUST_200600_302600_NS6detail15normal_iteratorINSA_10device_ptrIfEEEEPS6_NSA_18transform_iteratorINSB_9not_fun_tI7is_trueIfEEENSC_INSD_IbEEEENSA_11use_defaultESO_EENS0_5tupleIJNSA_16discard_iteratorISO_EES6_EEENSQ_IJSG_SG_EEES6_PlJS6_EEE10hipError_tPvRmT3_T4_T5_T6_T7_T9_mT8_P12ihipStream_tbDpT10_ENKUlT_T0_E_clISt17integral_constantIbLb0EES1E_IbLb1EEEEDaS1A_S1B_EUlS1A_E_NS1_11comp_targetILNS1_3genE8ELNS1_11target_archE1030ELNS1_3gpuE2ELNS1_3repE0EEENS1_30default_config_static_selectorELNS0_4arch9wavefront6targetE0EEEvT1_: ; @_ZN7rocprim17ROCPRIM_400000_NS6detail17trampoline_kernelINS0_14default_configENS1_25partition_config_selectorILNS1_17partition_subalgoE5EfNS0_10empty_typeEbEEZZNS1_14partition_implILS5_5ELb0ES3_mN6thrust23THRUST_200600_302600_NS6detail15normal_iteratorINSA_10device_ptrIfEEEEPS6_NSA_18transform_iteratorINSB_9not_fun_tI7is_trueIfEEENSC_INSD_IbEEEENSA_11use_defaultESO_EENS0_5tupleIJNSA_16discard_iteratorISO_EES6_EEENSQ_IJSG_SG_EEES6_PlJS6_EEE10hipError_tPvRmT3_T4_T5_T6_T7_T9_mT8_P12ihipStream_tbDpT10_ENKUlT_T0_E_clISt17integral_constantIbLb0EES1E_IbLb1EEEEDaS1A_S1B_EUlS1A_E_NS1_11comp_targetILNS1_3genE8ELNS1_11target_archE1030ELNS1_3gpuE2ELNS1_3repE0EEENS1_30default_config_static_selectorELNS0_4arch9wavefront6targetE0EEEvT1_
; %bb.0:
	.section	.rodata,"a",@progbits
	.p2align	6, 0x0
	.amdhsa_kernel _ZN7rocprim17ROCPRIM_400000_NS6detail17trampoline_kernelINS0_14default_configENS1_25partition_config_selectorILNS1_17partition_subalgoE5EfNS0_10empty_typeEbEEZZNS1_14partition_implILS5_5ELb0ES3_mN6thrust23THRUST_200600_302600_NS6detail15normal_iteratorINSA_10device_ptrIfEEEEPS6_NSA_18transform_iteratorINSB_9not_fun_tI7is_trueIfEEENSC_INSD_IbEEEENSA_11use_defaultESO_EENS0_5tupleIJNSA_16discard_iteratorISO_EES6_EEENSQ_IJSG_SG_EEES6_PlJS6_EEE10hipError_tPvRmT3_T4_T5_T6_T7_T9_mT8_P12ihipStream_tbDpT10_ENKUlT_T0_E_clISt17integral_constantIbLb0EES1E_IbLb1EEEEDaS1A_S1B_EUlS1A_E_NS1_11comp_targetILNS1_3genE8ELNS1_11target_archE1030ELNS1_3gpuE2ELNS1_3repE0EEENS1_30default_config_static_selectorELNS0_4arch9wavefront6targetE0EEEvT1_
		.amdhsa_group_segment_fixed_size 0
		.amdhsa_private_segment_fixed_size 0
		.amdhsa_kernarg_size 144
		.amdhsa_user_sgpr_count 2
		.amdhsa_user_sgpr_dispatch_ptr 0
		.amdhsa_user_sgpr_queue_ptr 0
		.amdhsa_user_sgpr_kernarg_segment_ptr 1
		.amdhsa_user_sgpr_dispatch_id 0
		.amdhsa_user_sgpr_private_segment_size 0
		.amdhsa_wavefront_size32 1
		.amdhsa_uses_dynamic_stack 0
		.amdhsa_enable_private_segment 0
		.amdhsa_system_sgpr_workgroup_id_x 1
		.amdhsa_system_sgpr_workgroup_id_y 0
		.amdhsa_system_sgpr_workgroup_id_z 0
		.amdhsa_system_sgpr_workgroup_info 0
		.amdhsa_system_vgpr_workitem_id 0
		.amdhsa_next_free_vgpr 1
		.amdhsa_next_free_sgpr 1
		.amdhsa_reserve_vcc 0
		.amdhsa_float_round_mode_32 0
		.amdhsa_float_round_mode_16_64 0
		.amdhsa_float_denorm_mode_32 3
		.amdhsa_float_denorm_mode_16_64 3
		.amdhsa_fp16_overflow 0
		.amdhsa_workgroup_processor_mode 1
		.amdhsa_memory_ordered 1
		.amdhsa_forward_progress 1
		.amdhsa_inst_pref_size 0
		.amdhsa_round_robin_scheduling 0
		.amdhsa_exception_fp_ieee_invalid_op 0
		.amdhsa_exception_fp_denorm_src 0
		.amdhsa_exception_fp_ieee_div_zero 0
		.amdhsa_exception_fp_ieee_overflow 0
		.amdhsa_exception_fp_ieee_underflow 0
		.amdhsa_exception_fp_ieee_inexact 0
		.amdhsa_exception_int_div_zero 0
	.end_amdhsa_kernel
	.section	.text._ZN7rocprim17ROCPRIM_400000_NS6detail17trampoline_kernelINS0_14default_configENS1_25partition_config_selectorILNS1_17partition_subalgoE5EfNS0_10empty_typeEbEEZZNS1_14partition_implILS5_5ELb0ES3_mN6thrust23THRUST_200600_302600_NS6detail15normal_iteratorINSA_10device_ptrIfEEEEPS6_NSA_18transform_iteratorINSB_9not_fun_tI7is_trueIfEEENSC_INSD_IbEEEENSA_11use_defaultESO_EENS0_5tupleIJNSA_16discard_iteratorISO_EES6_EEENSQ_IJSG_SG_EEES6_PlJS6_EEE10hipError_tPvRmT3_T4_T5_T6_T7_T9_mT8_P12ihipStream_tbDpT10_ENKUlT_T0_E_clISt17integral_constantIbLb0EES1E_IbLb1EEEEDaS1A_S1B_EUlS1A_E_NS1_11comp_targetILNS1_3genE8ELNS1_11target_archE1030ELNS1_3gpuE2ELNS1_3repE0EEENS1_30default_config_static_selectorELNS0_4arch9wavefront6targetE0EEEvT1_,"axG",@progbits,_ZN7rocprim17ROCPRIM_400000_NS6detail17trampoline_kernelINS0_14default_configENS1_25partition_config_selectorILNS1_17partition_subalgoE5EfNS0_10empty_typeEbEEZZNS1_14partition_implILS5_5ELb0ES3_mN6thrust23THRUST_200600_302600_NS6detail15normal_iteratorINSA_10device_ptrIfEEEEPS6_NSA_18transform_iteratorINSB_9not_fun_tI7is_trueIfEEENSC_INSD_IbEEEENSA_11use_defaultESO_EENS0_5tupleIJNSA_16discard_iteratorISO_EES6_EEENSQ_IJSG_SG_EEES6_PlJS6_EEE10hipError_tPvRmT3_T4_T5_T6_T7_T9_mT8_P12ihipStream_tbDpT10_ENKUlT_T0_E_clISt17integral_constantIbLb0EES1E_IbLb1EEEEDaS1A_S1B_EUlS1A_E_NS1_11comp_targetILNS1_3genE8ELNS1_11target_archE1030ELNS1_3gpuE2ELNS1_3repE0EEENS1_30default_config_static_selectorELNS0_4arch9wavefront6targetE0EEEvT1_,comdat
.Lfunc_end2652:
	.size	_ZN7rocprim17ROCPRIM_400000_NS6detail17trampoline_kernelINS0_14default_configENS1_25partition_config_selectorILNS1_17partition_subalgoE5EfNS0_10empty_typeEbEEZZNS1_14partition_implILS5_5ELb0ES3_mN6thrust23THRUST_200600_302600_NS6detail15normal_iteratorINSA_10device_ptrIfEEEEPS6_NSA_18transform_iteratorINSB_9not_fun_tI7is_trueIfEEENSC_INSD_IbEEEENSA_11use_defaultESO_EENS0_5tupleIJNSA_16discard_iteratorISO_EES6_EEENSQ_IJSG_SG_EEES6_PlJS6_EEE10hipError_tPvRmT3_T4_T5_T6_T7_T9_mT8_P12ihipStream_tbDpT10_ENKUlT_T0_E_clISt17integral_constantIbLb0EES1E_IbLb1EEEEDaS1A_S1B_EUlS1A_E_NS1_11comp_targetILNS1_3genE8ELNS1_11target_archE1030ELNS1_3gpuE2ELNS1_3repE0EEENS1_30default_config_static_selectorELNS0_4arch9wavefront6targetE0EEEvT1_, .Lfunc_end2652-_ZN7rocprim17ROCPRIM_400000_NS6detail17trampoline_kernelINS0_14default_configENS1_25partition_config_selectorILNS1_17partition_subalgoE5EfNS0_10empty_typeEbEEZZNS1_14partition_implILS5_5ELb0ES3_mN6thrust23THRUST_200600_302600_NS6detail15normal_iteratorINSA_10device_ptrIfEEEEPS6_NSA_18transform_iteratorINSB_9not_fun_tI7is_trueIfEEENSC_INSD_IbEEEENSA_11use_defaultESO_EENS0_5tupleIJNSA_16discard_iteratorISO_EES6_EEENSQ_IJSG_SG_EEES6_PlJS6_EEE10hipError_tPvRmT3_T4_T5_T6_T7_T9_mT8_P12ihipStream_tbDpT10_ENKUlT_T0_E_clISt17integral_constantIbLb0EES1E_IbLb1EEEEDaS1A_S1B_EUlS1A_E_NS1_11comp_targetILNS1_3genE8ELNS1_11target_archE1030ELNS1_3gpuE2ELNS1_3repE0EEENS1_30default_config_static_selectorELNS0_4arch9wavefront6targetE0EEEvT1_
                                        ; -- End function
	.set _ZN7rocprim17ROCPRIM_400000_NS6detail17trampoline_kernelINS0_14default_configENS1_25partition_config_selectorILNS1_17partition_subalgoE5EfNS0_10empty_typeEbEEZZNS1_14partition_implILS5_5ELb0ES3_mN6thrust23THRUST_200600_302600_NS6detail15normal_iteratorINSA_10device_ptrIfEEEEPS6_NSA_18transform_iteratorINSB_9not_fun_tI7is_trueIfEEENSC_INSD_IbEEEENSA_11use_defaultESO_EENS0_5tupleIJNSA_16discard_iteratorISO_EES6_EEENSQ_IJSG_SG_EEES6_PlJS6_EEE10hipError_tPvRmT3_T4_T5_T6_T7_T9_mT8_P12ihipStream_tbDpT10_ENKUlT_T0_E_clISt17integral_constantIbLb0EES1E_IbLb1EEEEDaS1A_S1B_EUlS1A_E_NS1_11comp_targetILNS1_3genE8ELNS1_11target_archE1030ELNS1_3gpuE2ELNS1_3repE0EEENS1_30default_config_static_selectorELNS0_4arch9wavefront6targetE0EEEvT1_.num_vgpr, 0
	.set _ZN7rocprim17ROCPRIM_400000_NS6detail17trampoline_kernelINS0_14default_configENS1_25partition_config_selectorILNS1_17partition_subalgoE5EfNS0_10empty_typeEbEEZZNS1_14partition_implILS5_5ELb0ES3_mN6thrust23THRUST_200600_302600_NS6detail15normal_iteratorINSA_10device_ptrIfEEEEPS6_NSA_18transform_iteratorINSB_9not_fun_tI7is_trueIfEEENSC_INSD_IbEEEENSA_11use_defaultESO_EENS0_5tupleIJNSA_16discard_iteratorISO_EES6_EEENSQ_IJSG_SG_EEES6_PlJS6_EEE10hipError_tPvRmT3_T4_T5_T6_T7_T9_mT8_P12ihipStream_tbDpT10_ENKUlT_T0_E_clISt17integral_constantIbLb0EES1E_IbLb1EEEEDaS1A_S1B_EUlS1A_E_NS1_11comp_targetILNS1_3genE8ELNS1_11target_archE1030ELNS1_3gpuE2ELNS1_3repE0EEENS1_30default_config_static_selectorELNS0_4arch9wavefront6targetE0EEEvT1_.num_agpr, 0
	.set _ZN7rocprim17ROCPRIM_400000_NS6detail17trampoline_kernelINS0_14default_configENS1_25partition_config_selectorILNS1_17partition_subalgoE5EfNS0_10empty_typeEbEEZZNS1_14partition_implILS5_5ELb0ES3_mN6thrust23THRUST_200600_302600_NS6detail15normal_iteratorINSA_10device_ptrIfEEEEPS6_NSA_18transform_iteratorINSB_9not_fun_tI7is_trueIfEEENSC_INSD_IbEEEENSA_11use_defaultESO_EENS0_5tupleIJNSA_16discard_iteratorISO_EES6_EEENSQ_IJSG_SG_EEES6_PlJS6_EEE10hipError_tPvRmT3_T4_T5_T6_T7_T9_mT8_P12ihipStream_tbDpT10_ENKUlT_T0_E_clISt17integral_constantIbLb0EES1E_IbLb1EEEEDaS1A_S1B_EUlS1A_E_NS1_11comp_targetILNS1_3genE8ELNS1_11target_archE1030ELNS1_3gpuE2ELNS1_3repE0EEENS1_30default_config_static_selectorELNS0_4arch9wavefront6targetE0EEEvT1_.numbered_sgpr, 0
	.set _ZN7rocprim17ROCPRIM_400000_NS6detail17trampoline_kernelINS0_14default_configENS1_25partition_config_selectorILNS1_17partition_subalgoE5EfNS0_10empty_typeEbEEZZNS1_14partition_implILS5_5ELb0ES3_mN6thrust23THRUST_200600_302600_NS6detail15normal_iteratorINSA_10device_ptrIfEEEEPS6_NSA_18transform_iteratorINSB_9not_fun_tI7is_trueIfEEENSC_INSD_IbEEEENSA_11use_defaultESO_EENS0_5tupleIJNSA_16discard_iteratorISO_EES6_EEENSQ_IJSG_SG_EEES6_PlJS6_EEE10hipError_tPvRmT3_T4_T5_T6_T7_T9_mT8_P12ihipStream_tbDpT10_ENKUlT_T0_E_clISt17integral_constantIbLb0EES1E_IbLb1EEEEDaS1A_S1B_EUlS1A_E_NS1_11comp_targetILNS1_3genE8ELNS1_11target_archE1030ELNS1_3gpuE2ELNS1_3repE0EEENS1_30default_config_static_selectorELNS0_4arch9wavefront6targetE0EEEvT1_.num_named_barrier, 0
	.set _ZN7rocprim17ROCPRIM_400000_NS6detail17trampoline_kernelINS0_14default_configENS1_25partition_config_selectorILNS1_17partition_subalgoE5EfNS0_10empty_typeEbEEZZNS1_14partition_implILS5_5ELb0ES3_mN6thrust23THRUST_200600_302600_NS6detail15normal_iteratorINSA_10device_ptrIfEEEEPS6_NSA_18transform_iteratorINSB_9not_fun_tI7is_trueIfEEENSC_INSD_IbEEEENSA_11use_defaultESO_EENS0_5tupleIJNSA_16discard_iteratorISO_EES6_EEENSQ_IJSG_SG_EEES6_PlJS6_EEE10hipError_tPvRmT3_T4_T5_T6_T7_T9_mT8_P12ihipStream_tbDpT10_ENKUlT_T0_E_clISt17integral_constantIbLb0EES1E_IbLb1EEEEDaS1A_S1B_EUlS1A_E_NS1_11comp_targetILNS1_3genE8ELNS1_11target_archE1030ELNS1_3gpuE2ELNS1_3repE0EEENS1_30default_config_static_selectorELNS0_4arch9wavefront6targetE0EEEvT1_.private_seg_size, 0
	.set _ZN7rocprim17ROCPRIM_400000_NS6detail17trampoline_kernelINS0_14default_configENS1_25partition_config_selectorILNS1_17partition_subalgoE5EfNS0_10empty_typeEbEEZZNS1_14partition_implILS5_5ELb0ES3_mN6thrust23THRUST_200600_302600_NS6detail15normal_iteratorINSA_10device_ptrIfEEEEPS6_NSA_18transform_iteratorINSB_9not_fun_tI7is_trueIfEEENSC_INSD_IbEEEENSA_11use_defaultESO_EENS0_5tupleIJNSA_16discard_iteratorISO_EES6_EEENSQ_IJSG_SG_EEES6_PlJS6_EEE10hipError_tPvRmT3_T4_T5_T6_T7_T9_mT8_P12ihipStream_tbDpT10_ENKUlT_T0_E_clISt17integral_constantIbLb0EES1E_IbLb1EEEEDaS1A_S1B_EUlS1A_E_NS1_11comp_targetILNS1_3genE8ELNS1_11target_archE1030ELNS1_3gpuE2ELNS1_3repE0EEENS1_30default_config_static_selectorELNS0_4arch9wavefront6targetE0EEEvT1_.uses_vcc, 0
	.set _ZN7rocprim17ROCPRIM_400000_NS6detail17trampoline_kernelINS0_14default_configENS1_25partition_config_selectorILNS1_17partition_subalgoE5EfNS0_10empty_typeEbEEZZNS1_14partition_implILS5_5ELb0ES3_mN6thrust23THRUST_200600_302600_NS6detail15normal_iteratorINSA_10device_ptrIfEEEEPS6_NSA_18transform_iteratorINSB_9not_fun_tI7is_trueIfEEENSC_INSD_IbEEEENSA_11use_defaultESO_EENS0_5tupleIJNSA_16discard_iteratorISO_EES6_EEENSQ_IJSG_SG_EEES6_PlJS6_EEE10hipError_tPvRmT3_T4_T5_T6_T7_T9_mT8_P12ihipStream_tbDpT10_ENKUlT_T0_E_clISt17integral_constantIbLb0EES1E_IbLb1EEEEDaS1A_S1B_EUlS1A_E_NS1_11comp_targetILNS1_3genE8ELNS1_11target_archE1030ELNS1_3gpuE2ELNS1_3repE0EEENS1_30default_config_static_selectorELNS0_4arch9wavefront6targetE0EEEvT1_.uses_flat_scratch, 0
	.set _ZN7rocprim17ROCPRIM_400000_NS6detail17trampoline_kernelINS0_14default_configENS1_25partition_config_selectorILNS1_17partition_subalgoE5EfNS0_10empty_typeEbEEZZNS1_14partition_implILS5_5ELb0ES3_mN6thrust23THRUST_200600_302600_NS6detail15normal_iteratorINSA_10device_ptrIfEEEEPS6_NSA_18transform_iteratorINSB_9not_fun_tI7is_trueIfEEENSC_INSD_IbEEEENSA_11use_defaultESO_EENS0_5tupleIJNSA_16discard_iteratorISO_EES6_EEENSQ_IJSG_SG_EEES6_PlJS6_EEE10hipError_tPvRmT3_T4_T5_T6_T7_T9_mT8_P12ihipStream_tbDpT10_ENKUlT_T0_E_clISt17integral_constantIbLb0EES1E_IbLb1EEEEDaS1A_S1B_EUlS1A_E_NS1_11comp_targetILNS1_3genE8ELNS1_11target_archE1030ELNS1_3gpuE2ELNS1_3repE0EEENS1_30default_config_static_selectorELNS0_4arch9wavefront6targetE0EEEvT1_.has_dyn_sized_stack, 0
	.set _ZN7rocprim17ROCPRIM_400000_NS6detail17trampoline_kernelINS0_14default_configENS1_25partition_config_selectorILNS1_17partition_subalgoE5EfNS0_10empty_typeEbEEZZNS1_14partition_implILS5_5ELb0ES3_mN6thrust23THRUST_200600_302600_NS6detail15normal_iteratorINSA_10device_ptrIfEEEEPS6_NSA_18transform_iteratorINSB_9not_fun_tI7is_trueIfEEENSC_INSD_IbEEEENSA_11use_defaultESO_EENS0_5tupleIJNSA_16discard_iteratorISO_EES6_EEENSQ_IJSG_SG_EEES6_PlJS6_EEE10hipError_tPvRmT3_T4_T5_T6_T7_T9_mT8_P12ihipStream_tbDpT10_ENKUlT_T0_E_clISt17integral_constantIbLb0EES1E_IbLb1EEEEDaS1A_S1B_EUlS1A_E_NS1_11comp_targetILNS1_3genE8ELNS1_11target_archE1030ELNS1_3gpuE2ELNS1_3repE0EEENS1_30default_config_static_selectorELNS0_4arch9wavefront6targetE0EEEvT1_.has_recursion, 0
	.set _ZN7rocprim17ROCPRIM_400000_NS6detail17trampoline_kernelINS0_14default_configENS1_25partition_config_selectorILNS1_17partition_subalgoE5EfNS0_10empty_typeEbEEZZNS1_14partition_implILS5_5ELb0ES3_mN6thrust23THRUST_200600_302600_NS6detail15normal_iteratorINSA_10device_ptrIfEEEEPS6_NSA_18transform_iteratorINSB_9not_fun_tI7is_trueIfEEENSC_INSD_IbEEEENSA_11use_defaultESO_EENS0_5tupleIJNSA_16discard_iteratorISO_EES6_EEENSQ_IJSG_SG_EEES6_PlJS6_EEE10hipError_tPvRmT3_T4_T5_T6_T7_T9_mT8_P12ihipStream_tbDpT10_ENKUlT_T0_E_clISt17integral_constantIbLb0EES1E_IbLb1EEEEDaS1A_S1B_EUlS1A_E_NS1_11comp_targetILNS1_3genE8ELNS1_11target_archE1030ELNS1_3gpuE2ELNS1_3repE0EEENS1_30default_config_static_selectorELNS0_4arch9wavefront6targetE0EEEvT1_.has_indirect_call, 0
	.section	.AMDGPU.csdata,"",@progbits
; Kernel info:
; codeLenInByte = 0
; TotalNumSgprs: 0
; NumVgprs: 0
; ScratchSize: 0
; MemoryBound: 0
; FloatMode: 240
; IeeeMode: 1
; LDSByteSize: 0 bytes/workgroup (compile time only)
; SGPRBlocks: 0
; VGPRBlocks: 0
; NumSGPRsForWavesPerEU: 1
; NumVGPRsForWavesPerEU: 1
; Occupancy: 16
; WaveLimiterHint : 0
; COMPUTE_PGM_RSRC2:SCRATCH_EN: 0
; COMPUTE_PGM_RSRC2:USER_SGPR: 2
; COMPUTE_PGM_RSRC2:TRAP_HANDLER: 0
; COMPUTE_PGM_RSRC2:TGID_X_EN: 1
; COMPUTE_PGM_RSRC2:TGID_Y_EN: 0
; COMPUTE_PGM_RSRC2:TGID_Z_EN: 0
; COMPUTE_PGM_RSRC2:TIDIG_COMP_CNT: 0
	.section	.text._ZN7rocprim17ROCPRIM_400000_NS6detail17trampoline_kernelINS0_14default_configENS1_25partition_config_selectorILNS1_17partition_subalgoE5EyNS0_10empty_typeEbEEZZNS1_14partition_implILS5_5ELb0ES3_mN6thrust23THRUST_200600_302600_NS6detail15normal_iteratorINSA_10device_ptrIyEEEEPS6_NSA_18transform_iteratorINSB_9not_fun_tI7is_trueIyEEENSC_INSD_IbEEEENSA_11use_defaultESO_EENS0_5tupleIJNSA_16discard_iteratorISO_EES6_EEENSQ_IJSG_SG_EEES6_PlJS6_EEE10hipError_tPvRmT3_T4_T5_T6_T7_T9_mT8_P12ihipStream_tbDpT10_ENKUlT_T0_E_clISt17integral_constantIbLb0EES1F_EEDaS1A_S1B_EUlS1A_E_NS1_11comp_targetILNS1_3genE0ELNS1_11target_archE4294967295ELNS1_3gpuE0ELNS1_3repE0EEENS1_30default_config_static_selectorELNS0_4arch9wavefront6targetE0EEEvT1_,"axG",@progbits,_ZN7rocprim17ROCPRIM_400000_NS6detail17trampoline_kernelINS0_14default_configENS1_25partition_config_selectorILNS1_17partition_subalgoE5EyNS0_10empty_typeEbEEZZNS1_14partition_implILS5_5ELb0ES3_mN6thrust23THRUST_200600_302600_NS6detail15normal_iteratorINSA_10device_ptrIyEEEEPS6_NSA_18transform_iteratorINSB_9not_fun_tI7is_trueIyEEENSC_INSD_IbEEEENSA_11use_defaultESO_EENS0_5tupleIJNSA_16discard_iteratorISO_EES6_EEENSQ_IJSG_SG_EEES6_PlJS6_EEE10hipError_tPvRmT3_T4_T5_T6_T7_T9_mT8_P12ihipStream_tbDpT10_ENKUlT_T0_E_clISt17integral_constantIbLb0EES1F_EEDaS1A_S1B_EUlS1A_E_NS1_11comp_targetILNS1_3genE0ELNS1_11target_archE4294967295ELNS1_3gpuE0ELNS1_3repE0EEENS1_30default_config_static_selectorELNS0_4arch9wavefront6targetE0EEEvT1_,comdat
	.protected	_ZN7rocprim17ROCPRIM_400000_NS6detail17trampoline_kernelINS0_14default_configENS1_25partition_config_selectorILNS1_17partition_subalgoE5EyNS0_10empty_typeEbEEZZNS1_14partition_implILS5_5ELb0ES3_mN6thrust23THRUST_200600_302600_NS6detail15normal_iteratorINSA_10device_ptrIyEEEEPS6_NSA_18transform_iteratorINSB_9not_fun_tI7is_trueIyEEENSC_INSD_IbEEEENSA_11use_defaultESO_EENS0_5tupleIJNSA_16discard_iteratorISO_EES6_EEENSQ_IJSG_SG_EEES6_PlJS6_EEE10hipError_tPvRmT3_T4_T5_T6_T7_T9_mT8_P12ihipStream_tbDpT10_ENKUlT_T0_E_clISt17integral_constantIbLb0EES1F_EEDaS1A_S1B_EUlS1A_E_NS1_11comp_targetILNS1_3genE0ELNS1_11target_archE4294967295ELNS1_3gpuE0ELNS1_3repE0EEENS1_30default_config_static_selectorELNS0_4arch9wavefront6targetE0EEEvT1_ ; -- Begin function _ZN7rocprim17ROCPRIM_400000_NS6detail17trampoline_kernelINS0_14default_configENS1_25partition_config_selectorILNS1_17partition_subalgoE5EyNS0_10empty_typeEbEEZZNS1_14partition_implILS5_5ELb0ES3_mN6thrust23THRUST_200600_302600_NS6detail15normal_iteratorINSA_10device_ptrIyEEEEPS6_NSA_18transform_iteratorINSB_9not_fun_tI7is_trueIyEEENSC_INSD_IbEEEENSA_11use_defaultESO_EENS0_5tupleIJNSA_16discard_iteratorISO_EES6_EEENSQ_IJSG_SG_EEES6_PlJS6_EEE10hipError_tPvRmT3_T4_T5_T6_T7_T9_mT8_P12ihipStream_tbDpT10_ENKUlT_T0_E_clISt17integral_constantIbLb0EES1F_EEDaS1A_S1B_EUlS1A_E_NS1_11comp_targetILNS1_3genE0ELNS1_11target_archE4294967295ELNS1_3gpuE0ELNS1_3repE0EEENS1_30default_config_static_selectorELNS0_4arch9wavefront6targetE0EEEvT1_
	.globl	_ZN7rocprim17ROCPRIM_400000_NS6detail17trampoline_kernelINS0_14default_configENS1_25partition_config_selectorILNS1_17partition_subalgoE5EyNS0_10empty_typeEbEEZZNS1_14partition_implILS5_5ELb0ES3_mN6thrust23THRUST_200600_302600_NS6detail15normal_iteratorINSA_10device_ptrIyEEEEPS6_NSA_18transform_iteratorINSB_9not_fun_tI7is_trueIyEEENSC_INSD_IbEEEENSA_11use_defaultESO_EENS0_5tupleIJNSA_16discard_iteratorISO_EES6_EEENSQ_IJSG_SG_EEES6_PlJS6_EEE10hipError_tPvRmT3_T4_T5_T6_T7_T9_mT8_P12ihipStream_tbDpT10_ENKUlT_T0_E_clISt17integral_constantIbLb0EES1F_EEDaS1A_S1B_EUlS1A_E_NS1_11comp_targetILNS1_3genE0ELNS1_11target_archE4294967295ELNS1_3gpuE0ELNS1_3repE0EEENS1_30default_config_static_selectorELNS0_4arch9wavefront6targetE0EEEvT1_
	.p2align	8
	.type	_ZN7rocprim17ROCPRIM_400000_NS6detail17trampoline_kernelINS0_14default_configENS1_25partition_config_selectorILNS1_17partition_subalgoE5EyNS0_10empty_typeEbEEZZNS1_14partition_implILS5_5ELb0ES3_mN6thrust23THRUST_200600_302600_NS6detail15normal_iteratorINSA_10device_ptrIyEEEEPS6_NSA_18transform_iteratorINSB_9not_fun_tI7is_trueIyEEENSC_INSD_IbEEEENSA_11use_defaultESO_EENS0_5tupleIJNSA_16discard_iteratorISO_EES6_EEENSQ_IJSG_SG_EEES6_PlJS6_EEE10hipError_tPvRmT3_T4_T5_T6_T7_T9_mT8_P12ihipStream_tbDpT10_ENKUlT_T0_E_clISt17integral_constantIbLb0EES1F_EEDaS1A_S1B_EUlS1A_E_NS1_11comp_targetILNS1_3genE0ELNS1_11target_archE4294967295ELNS1_3gpuE0ELNS1_3repE0EEENS1_30default_config_static_selectorELNS0_4arch9wavefront6targetE0EEEvT1_,@function
_ZN7rocprim17ROCPRIM_400000_NS6detail17trampoline_kernelINS0_14default_configENS1_25partition_config_selectorILNS1_17partition_subalgoE5EyNS0_10empty_typeEbEEZZNS1_14partition_implILS5_5ELb0ES3_mN6thrust23THRUST_200600_302600_NS6detail15normal_iteratorINSA_10device_ptrIyEEEEPS6_NSA_18transform_iteratorINSB_9not_fun_tI7is_trueIyEEENSC_INSD_IbEEEENSA_11use_defaultESO_EENS0_5tupleIJNSA_16discard_iteratorISO_EES6_EEENSQ_IJSG_SG_EEES6_PlJS6_EEE10hipError_tPvRmT3_T4_T5_T6_T7_T9_mT8_P12ihipStream_tbDpT10_ENKUlT_T0_E_clISt17integral_constantIbLb0EES1F_EEDaS1A_S1B_EUlS1A_E_NS1_11comp_targetILNS1_3genE0ELNS1_11target_archE4294967295ELNS1_3gpuE0ELNS1_3repE0EEENS1_30default_config_static_selectorELNS0_4arch9wavefront6targetE0EEEvT1_: ; @_ZN7rocprim17ROCPRIM_400000_NS6detail17trampoline_kernelINS0_14default_configENS1_25partition_config_selectorILNS1_17partition_subalgoE5EyNS0_10empty_typeEbEEZZNS1_14partition_implILS5_5ELb0ES3_mN6thrust23THRUST_200600_302600_NS6detail15normal_iteratorINSA_10device_ptrIyEEEEPS6_NSA_18transform_iteratorINSB_9not_fun_tI7is_trueIyEEENSC_INSD_IbEEEENSA_11use_defaultESO_EENS0_5tupleIJNSA_16discard_iteratorISO_EES6_EEENSQ_IJSG_SG_EEES6_PlJS6_EEE10hipError_tPvRmT3_T4_T5_T6_T7_T9_mT8_P12ihipStream_tbDpT10_ENKUlT_T0_E_clISt17integral_constantIbLb0EES1F_EEDaS1A_S1B_EUlS1A_E_NS1_11comp_targetILNS1_3genE0ELNS1_11target_archE4294967295ELNS1_3gpuE0ELNS1_3repE0EEENS1_30default_config_static_selectorELNS0_4arch9wavefront6targetE0EEEvT1_
; %bb.0:
	.section	.rodata,"a",@progbits
	.p2align	6, 0x0
	.amdhsa_kernel _ZN7rocprim17ROCPRIM_400000_NS6detail17trampoline_kernelINS0_14default_configENS1_25partition_config_selectorILNS1_17partition_subalgoE5EyNS0_10empty_typeEbEEZZNS1_14partition_implILS5_5ELb0ES3_mN6thrust23THRUST_200600_302600_NS6detail15normal_iteratorINSA_10device_ptrIyEEEEPS6_NSA_18transform_iteratorINSB_9not_fun_tI7is_trueIyEEENSC_INSD_IbEEEENSA_11use_defaultESO_EENS0_5tupleIJNSA_16discard_iteratorISO_EES6_EEENSQ_IJSG_SG_EEES6_PlJS6_EEE10hipError_tPvRmT3_T4_T5_T6_T7_T9_mT8_P12ihipStream_tbDpT10_ENKUlT_T0_E_clISt17integral_constantIbLb0EES1F_EEDaS1A_S1B_EUlS1A_E_NS1_11comp_targetILNS1_3genE0ELNS1_11target_archE4294967295ELNS1_3gpuE0ELNS1_3repE0EEENS1_30default_config_static_selectorELNS0_4arch9wavefront6targetE0EEEvT1_
		.amdhsa_group_segment_fixed_size 0
		.amdhsa_private_segment_fixed_size 0
		.amdhsa_kernarg_size 128
		.amdhsa_user_sgpr_count 2
		.amdhsa_user_sgpr_dispatch_ptr 0
		.amdhsa_user_sgpr_queue_ptr 0
		.amdhsa_user_sgpr_kernarg_segment_ptr 1
		.amdhsa_user_sgpr_dispatch_id 0
		.amdhsa_user_sgpr_private_segment_size 0
		.amdhsa_wavefront_size32 1
		.amdhsa_uses_dynamic_stack 0
		.amdhsa_enable_private_segment 0
		.amdhsa_system_sgpr_workgroup_id_x 1
		.amdhsa_system_sgpr_workgroup_id_y 0
		.amdhsa_system_sgpr_workgroup_id_z 0
		.amdhsa_system_sgpr_workgroup_info 0
		.amdhsa_system_vgpr_workitem_id 0
		.amdhsa_next_free_vgpr 1
		.amdhsa_next_free_sgpr 1
		.amdhsa_reserve_vcc 0
		.amdhsa_float_round_mode_32 0
		.amdhsa_float_round_mode_16_64 0
		.amdhsa_float_denorm_mode_32 3
		.amdhsa_float_denorm_mode_16_64 3
		.amdhsa_fp16_overflow 0
		.amdhsa_workgroup_processor_mode 1
		.amdhsa_memory_ordered 1
		.amdhsa_forward_progress 1
		.amdhsa_inst_pref_size 0
		.amdhsa_round_robin_scheduling 0
		.amdhsa_exception_fp_ieee_invalid_op 0
		.amdhsa_exception_fp_denorm_src 0
		.amdhsa_exception_fp_ieee_div_zero 0
		.amdhsa_exception_fp_ieee_overflow 0
		.amdhsa_exception_fp_ieee_underflow 0
		.amdhsa_exception_fp_ieee_inexact 0
		.amdhsa_exception_int_div_zero 0
	.end_amdhsa_kernel
	.section	.text._ZN7rocprim17ROCPRIM_400000_NS6detail17trampoline_kernelINS0_14default_configENS1_25partition_config_selectorILNS1_17partition_subalgoE5EyNS0_10empty_typeEbEEZZNS1_14partition_implILS5_5ELb0ES3_mN6thrust23THRUST_200600_302600_NS6detail15normal_iteratorINSA_10device_ptrIyEEEEPS6_NSA_18transform_iteratorINSB_9not_fun_tI7is_trueIyEEENSC_INSD_IbEEEENSA_11use_defaultESO_EENS0_5tupleIJNSA_16discard_iteratorISO_EES6_EEENSQ_IJSG_SG_EEES6_PlJS6_EEE10hipError_tPvRmT3_T4_T5_T6_T7_T9_mT8_P12ihipStream_tbDpT10_ENKUlT_T0_E_clISt17integral_constantIbLb0EES1F_EEDaS1A_S1B_EUlS1A_E_NS1_11comp_targetILNS1_3genE0ELNS1_11target_archE4294967295ELNS1_3gpuE0ELNS1_3repE0EEENS1_30default_config_static_selectorELNS0_4arch9wavefront6targetE0EEEvT1_,"axG",@progbits,_ZN7rocprim17ROCPRIM_400000_NS6detail17trampoline_kernelINS0_14default_configENS1_25partition_config_selectorILNS1_17partition_subalgoE5EyNS0_10empty_typeEbEEZZNS1_14partition_implILS5_5ELb0ES3_mN6thrust23THRUST_200600_302600_NS6detail15normal_iteratorINSA_10device_ptrIyEEEEPS6_NSA_18transform_iteratorINSB_9not_fun_tI7is_trueIyEEENSC_INSD_IbEEEENSA_11use_defaultESO_EENS0_5tupleIJNSA_16discard_iteratorISO_EES6_EEENSQ_IJSG_SG_EEES6_PlJS6_EEE10hipError_tPvRmT3_T4_T5_T6_T7_T9_mT8_P12ihipStream_tbDpT10_ENKUlT_T0_E_clISt17integral_constantIbLb0EES1F_EEDaS1A_S1B_EUlS1A_E_NS1_11comp_targetILNS1_3genE0ELNS1_11target_archE4294967295ELNS1_3gpuE0ELNS1_3repE0EEENS1_30default_config_static_selectorELNS0_4arch9wavefront6targetE0EEEvT1_,comdat
.Lfunc_end2653:
	.size	_ZN7rocprim17ROCPRIM_400000_NS6detail17trampoline_kernelINS0_14default_configENS1_25partition_config_selectorILNS1_17partition_subalgoE5EyNS0_10empty_typeEbEEZZNS1_14partition_implILS5_5ELb0ES3_mN6thrust23THRUST_200600_302600_NS6detail15normal_iteratorINSA_10device_ptrIyEEEEPS6_NSA_18transform_iteratorINSB_9not_fun_tI7is_trueIyEEENSC_INSD_IbEEEENSA_11use_defaultESO_EENS0_5tupleIJNSA_16discard_iteratorISO_EES6_EEENSQ_IJSG_SG_EEES6_PlJS6_EEE10hipError_tPvRmT3_T4_T5_T6_T7_T9_mT8_P12ihipStream_tbDpT10_ENKUlT_T0_E_clISt17integral_constantIbLb0EES1F_EEDaS1A_S1B_EUlS1A_E_NS1_11comp_targetILNS1_3genE0ELNS1_11target_archE4294967295ELNS1_3gpuE0ELNS1_3repE0EEENS1_30default_config_static_selectorELNS0_4arch9wavefront6targetE0EEEvT1_, .Lfunc_end2653-_ZN7rocprim17ROCPRIM_400000_NS6detail17trampoline_kernelINS0_14default_configENS1_25partition_config_selectorILNS1_17partition_subalgoE5EyNS0_10empty_typeEbEEZZNS1_14partition_implILS5_5ELb0ES3_mN6thrust23THRUST_200600_302600_NS6detail15normal_iteratorINSA_10device_ptrIyEEEEPS6_NSA_18transform_iteratorINSB_9not_fun_tI7is_trueIyEEENSC_INSD_IbEEEENSA_11use_defaultESO_EENS0_5tupleIJNSA_16discard_iteratorISO_EES6_EEENSQ_IJSG_SG_EEES6_PlJS6_EEE10hipError_tPvRmT3_T4_T5_T6_T7_T9_mT8_P12ihipStream_tbDpT10_ENKUlT_T0_E_clISt17integral_constantIbLb0EES1F_EEDaS1A_S1B_EUlS1A_E_NS1_11comp_targetILNS1_3genE0ELNS1_11target_archE4294967295ELNS1_3gpuE0ELNS1_3repE0EEENS1_30default_config_static_selectorELNS0_4arch9wavefront6targetE0EEEvT1_
                                        ; -- End function
	.set _ZN7rocprim17ROCPRIM_400000_NS6detail17trampoline_kernelINS0_14default_configENS1_25partition_config_selectorILNS1_17partition_subalgoE5EyNS0_10empty_typeEbEEZZNS1_14partition_implILS5_5ELb0ES3_mN6thrust23THRUST_200600_302600_NS6detail15normal_iteratorINSA_10device_ptrIyEEEEPS6_NSA_18transform_iteratorINSB_9not_fun_tI7is_trueIyEEENSC_INSD_IbEEEENSA_11use_defaultESO_EENS0_5tupleIJNSA_16discard_iteratorISO_EES6_EEENSQ_IJSG_SG_EEES6_PlJS6_EEE10hipError_tPvRmT3_T4_T5_T6_T7_T9_mT8_P12ihipStream_tbDpT10_ENKUlT_T0_E_clISt17integral_constantIbLb0EES1F_EEDaS1A_S1B_EUlS1A_E_NS1_11comp_targetILNS1_3genE0ELNS1_11target_archE4294967295ELNS1_3gpuE0ELNS1_3repE0EEENS1_30default_config_static_selectorELNS0_4arch9wavefront6targetE0EEEvT1_.num_vgpr, 0
	.set _ZN7rocprim17ROCPRIM_400000_NS6detail17trampoline_kernelINS0_14default_configENS1_25partition_config_selectorILNS1_17partition_subalgoE5EyNS0_10empty_typeEbEEZZNS1_14partition_implILS5_5ELb0ES3_mN6thrust23THRUST_200600_302600_NS6detail15normal_iteratorINSA_10device_ptrIyEEEEPS6_NSA_18transform_iteratorINSB_9not_fun_tI7is_trueIyEEENSC_INSD_IbEEEENSA_11use_defaultESO_EENS0_5tupleIJNSA_16discard_iteratorISO_EES6_EEENSQ_IJSG_SG_EEES6_PlJS6_EEE10hipError_tPvRmT3_T4_T5_T6_T7_T9_mT8_P12ihipStream_tbDpT10_ENKUlT_T0_E_clISt17integral_constantIbLb0EES1F_EEDaS1A_S1B_EUlS1A_E_NS1_11comp_targetILNS1_3genE0ELNS1_11target_archE4294967295ELNS1_3gpuE0ELNS1_3repE0EEENS1_30default_config_static_selectorELNS0_4arch9wavefront6targetE0EEEvT1_.num_agpr, 0
	.set _ZN7rocprim17ROCPRIM_400000_NS6detail17trampoline_kernelINS0_14default_configENS1_25partition_config_selectorILNS1_17partition_subalgoE5EyNS0_10empty_typeEbEEZZNS1_14partition_implILS5_5ELb0ES3_mN6thrust23THRUST_200600_302600_NS6detail15normal_iteratorINSA_10device_ptrIyEEEEPS6_NSA_18transform_iteratorINSB_9not_fun_tI7is_trueIyEEENSC_INSD_IbEEEENSA_11use_defaultESO_EENS0_5tupleIJNSA_16discard_iteratorISO_EES6_EEENSQ_IJSG_SG_EEES6_PlJS6_EEE10hipError_tPvRmT3_T4_T5_T6_T7_T9_mT8_P12ihipStream_tbDpT10_ENKUlT_T0_E_clISt17integral_constantIbLb0EES1F_EEDaS1A_S1B_EUlS1A_E_NS1_11comp_targetILNS1_3genE0ELNS1_11target_archE4294967295ELNS1_3gpuE0ELNS1_3repE0EEENS1_30default_config_static_selectorELNS0_4arch9wavefront6targetE0EEEvT1_.numbered_sgpr, 0
	.set _ZN7rocprim17ROCPRIM_400000_NS6detail17trampoline_kernelINS0_14default_configENS1_25partition_config_selectorILNS1_17partition_subalgoE5EyNS0_10empty_typeEbEEZZNS1_14partition_implILS5_5ELb0ES3_mN6thrust23THRUST_200600_302600_NS6detail15normal_iteratorINSA_10device_ptrIyEEEEPS6_NSA_18transform_iteratorINSB_9not_fun_tI7is_trueIyEEENSC_INSD_IbEEEENSA_11use_defaultESO_EENS0_5tupleIJNSA_16discard_iteratorISO_EES6_EEENSQ_IJSG_SG_EEES6_PlJS6_EEE10hipError_tPvRmT3_T4_T5_T6_T7_T9_mT8_P12ihipStream_tbDpT10_ENKUlT_T0_E_clISt17integral_constantIbLb0EES1F_EEDaS1A_S1B_EUlS1A_E_NS1_11comp_targetILNS1_3genE0ELNS1_11target_archE4294967295ELNS1_3gpuE0ELNS1_3repE0EEENS1_30default_config_static_selectorELNS0_4arch9wavefront6targetE0EEEvT1_.num_named_barrier, 0
	.set _ZN7rocprim17ROCPRIM_400000_NS6detail17trampoline_kernelINS0_14default_configENS1_25partition_config_selectorILNS1_17partition_subalgoE5EyNS0_10empty_typeEbEEZZNS1_14partition_implILS5_5ELb0ES3_mN6thrust23THRUST_200600_302600_NS6detail15normal_iteratorINSA_10device_ptrIyEEEEPS6_NSA_18transform_iteratorINSB_9not_fun_tI7is_trueIyEEENSC_INSD_IbEEEENSA_11use_defaultESO_EENS0_5tupleIJNSA_16discard_iteratorISO_EES6_EEENSQ_IJSG_SG_EEES6_PlJS6_EEE10hipError_tPvRmT3_T4_T5_T6_T7_T9_mT8_P12ihipStream_tbDpT10_ENKUlT_T0_E_clISt17integral_constantIbLb0EES1F_EEDaS1A_S1B_EUlS1A_E_NS1_11comp_targetILNS1_3genE0ELNS1_11target_archE4294967295ELNS1_3gpuE0ELNS1_3repE0EEENS1_30default_config_static_selectorELNS0_4arch9wavefront6targetE0EEEvT1_.private_seg_size, 0
	.set _ZN7rocprim17ROCPRIM_400000_NS6detail17trampoline_kernelINS0_14default_configENS1_25partition_config_selectorILNS1_17partition_subalgoE5EyNS0_10empty_typeEbEEZZNS1_14partition_implILS5_5ELb0ES3_mN6thrust23THRUST_200600_302600_NS6detail15normal_iteratorINSA_10device_ptrIyEEEEPS6_NSA_18transform_iteratorINSB_9not_fun_tI7is_trueIyEEENSC_INSD_IbEEEENSA_11use_defaultESO_EENS0_5tupleIJNSA_16discard_iteratorISO_EES6_EEENSQ_IJSG_SG_EEES6_PlJS6_EEE10hipError_tPvRmT3_T4_T5_T6_T7_T9_mT8_P12ihipStream_tbDpT10_ENKUlT_T0_E_clISt17integral_constantIbLb0EES1F_EEDaS1A_S1B_EUlS1A_E_NS1_11comp_targetILNS1_3genE0ELNS1_11target_archE4294967295ELNS1_3gpuE0ELNS1_3repE0EEENS1_30default_config_static_selectorELNS0_4arch9wavefront6targetE0EEEvT1_.uses_vcc, 0
	.set _ZN7rocprim17ROCPRIM_400000_NS6detail17trampoline_kernelINS0_14default_configENS1_25partition_config_selectorILNS1_17partition_subalgoE5EyNS0_10empty_typeEbEEZZNS1_14partition_implILS5_5ELb0ES3_mN6thrust23THRUST_200600_302600_NS6detail15normal_iteratorINSA_10device_ptrIyEEEEPS6_NSA_18transform_iteratorINSB_9not_fun_tI7is_trueIyEEENSC_INSD_IbEEEENSA_11use_defaultESO_EENS0_5tupleIJNSA_16discard_iteratorISO_EES6_EEENSQ_IJSG_SG_EEES6_PlJS6_EEE10hipError_tPvRmT3_T4_T5_T6_T7_T9_mT8_P12ihipStream_tbDpT10_ENKUlT_T0_E_clISt17integral_constantIbLb0EES1F_EEDaS1A_S1B_EUlS1A_E_NS1_11comp_targetILNS1_3genE0ELNS1_11target_archE4294967295ELNS1_3gpuE0ELNS1_3repE0EEENS1_30default_config_static_selectorELNS0_4arch9wavefront6targetE0EEEvT1_.uses_flat_scratch, 0
	.set _ZN7rocprim17ROCPRIM_400000_NS6detail17trampoline_kernelINS0_14default_configENS1_25partition_config_selectorILNS1_17partition_subalgoE5EyNS0_10empty_typeEbEEZZNS1_14partition_implILS5_5ELb0ES3_mN6thrust23THRUST_200600_302600_NS6detail15normal_iteratorINSA_10device_ptrIyEEEEPS6_NSA_18transform_iteratorINSB_9not_fun_tI7is_trueIyEEENSC_INSD_IbEEEENSA_11use_defaultESO_EENS0_5tupleIJNSA_16discard_iteratorISO_EES6_EEENSQ_IJSG_SG_EEES6_PlJS6_EEE10hipError_tPvRmT3_T4_T5_T6_T7_T9_mT8_P12ihipStream_tbDpT10_ENKUlT_T0_E_clISt17integral_constantIbLb0EES1F_EEDaS1A_S1B_EUlS1A_E_NS1_11comp_targetILNS1_3genE0ELNS1_11target_archE4294967295ELNS1_3gpuE0ELNS1_3repE0EEENS1_30default_config_static_selectorELNS0_4arch9wavefront6targetE0EEEvT1_.has_dyn_sized_stack, 0
	.set _ZN7rocprim17ROCPRIM_400000_NS6detail17trampoline_kernelINS0_14default_configENS1_25partition_config_selectorILNS1_17partition_subalgoE5EyNS0_10empty_typeEbEEZZNS1_14partition_implILS5_5ELb0ES3_mN6thrust23THRUST_200600_302600_NS6detail15normal_iteratorINSA_10device_ptrIyEEEEPS6_NSA_18transform_iteratorINSB_9not_fun_tI7is_trueIyEEENSC_INSD_IbEEEENSA_11use_defaultESO_EENS0_5tupleIJNSA_16discard_iteratorISO_EES6_EEENSQ_IJSG_SG_EEES6_PlJS6_EEE10hipError_tPvRmT3_T4_T5_T6_T7_T9_mT8_P12ihipStream_tbDpT10_ENKUlT_T0_E_clISt17integral_constantIbLb0EES1F_EEDaS1A_S1B_EUlS1A_E_NS1_11comp_targetILNS1_3genE0ELNS1_11target_archE4294967295ELNS1_3gpuE0ELNS1_3repE0EEENS1_30default_config_static_selectorELNS0_4arch9wavefront6targetE0EEEvT1_.has_recursion, 0
	.set _ZN7rocprim17ROCPRIM_400000_NS6detail17trampoline_kernelINS0_14default_configENS1_25partition_config_selectorILNS1_17partition_subalgoE5EyNS0_10empty_typeEbEEZZNS1_14partition_implILS5_5ELb0ES3_mN6thrust23THRUST_200600_302600_NS6detail15normal_iteratorINSA_10device_ptrIyEEEEPS6_NSA_18transform_iteratorINSB_9not_fun_tI7is_trueIyEEENSC_INSD_IbEEEENSA_11use_defaultESO_EENS0_5tupleIJNSA_16discard_iteratorISO_EES6_EEENSQ_IJSG_SG_EEES6_PlJS6_EEE10hipError_tPvRmT3_T4_T5_T6_T7_T9_mT8_P12ihipStream_tbDpT10_ENKUlT_T0_E_clISt17integral_constantIbLb0EES1F_EEDaS1A_S1B_EUlS1A_E_NS1_11comp_targetILNS1_3genE0ELNS1_11target_archE4294967295ELNS1_3gpuE0ELNS1_3repE0EEENS1_30default_config_static_selectorELNS0_4arch9wavefront6targetE0EEEvT1_.has_indirect_call, 0
	.section	.AMDGPU.csdata,"",@progbits
; Kernel info:
; codeLenInByte = 0
; TotalNumSgprs: 0
; NumVgprs: 0
; ScratchSize: 0
; MemoryBound: 0
; FloatMode: 240
; IeeeMode: 1
; LDSByteSize: 0 bytes/workgroup (compile time only)
; SGPRBlocks: 0
; VGPRBlocks: 0
; NumSGPRsForWavesPerEU: 1
; NumVGPRsForWavesPerEU: 1
; Occupancy: 16
; WaveLimiterHint : 0
; COMPUTE_PGM_RSRC2:SCRATCH_EN: 0
; COMPUTE_PGM_RSRC2:USER_SGPR: 2
; COMPUTE_PGM_RSRC2:TRAP_HANDLER: 0
; COMPUTE_PGM_RSRC2:TGID_X_EN: 1
; COMPUTE_PGM_RSRC2:TGID_Y_EN: 0
; COMPUTE_PGM_RSRC2:TGID_Z_EN: 0
; COMPUTE_PGM_RSRC2:TIDIG_COMP_CNT: 0
	.section	.text._ZN7rocprim17ROCPRIM_400000_NS6detail17trampoline_kernelINS0_14default_configENS1_25partition_config_selectorILNS1_17partition_subalgoE5EyNS0_10empty_typeEbEEZZNS1_14partition_implILS5_5ELb0ES3_mN6thrust23THRUST_200600_302600_NS6detail15normal_iteratorINSA_10device_ptrIyEEEEPS6_NSA_18transform_iteratorINSB_9not_fun_tI7is_trueIyEEENSC_INSD_IbEEEENSA_11use_defaultESO_EENS0_5tupleIJNSA_16discard_iteratorISO_EES6_EEENSQ_IJSG_SG_EEES6_PlJS6_EEE10hipError_tPvRmT3_T4_T5_T6_T7_T9_mT8_P12ihipStream_tbDpT10_ENKUlT_T0_E_clISt17integral_constantIbLb0EES1F_EEDaS1A_S1B_EUlS1A_E_NS1_11comp_targetILNS1_3genE5ELNS1_11target_archE942ELNS1_3gpuE9ELNS1_3repE0EEENS1_30default_config_static_selectorELNS0_4arch9wavefront6targetE0EEEvT1_,"axG",@progbits,_ZN7rocprim17ROCPRIM_400000_NS6detail17trampoline_kernelINS0_14default_configENS1_25partition_config_selectorILNS1_17partition_subalgoE5EyNS0_10empty_typeEbEEZZNS1_14partition_implILS5_5ELb0ES3_mN6thrust23THRUST_200600_302600_NS6detail15normal_iteratorINSA_10device_ptrIyEEEEPS6_NSA_18transform_iteratorINSB_9not_fun_tI7is_trueIyEEENSC_INSD_IbEEEENSA_11use_defaultESO_EENS0_5tupleIJNSA_16discard_iteratorISO_EES6_EEENSQ_IJSG_SG_EEES6_PlJS6_EEE10hipError_tPvRmT3_T4_T5_T6_T7_T9_mT8_P12ihipStream_tbDpT10_ENKUlT_T0_E_clISt17integral_constantIbLb0EES1F_EEDaS1A_S1B_EUlS1A_E_NS1_11comp_targetILNS1_3genE5ELNS1_11target_archE942ELNS1_3gpuE9ELNS1_3repE0EEENS1_30default_config_static_selectorELNS0_4arch9wavefront6targetE0EEEvT1_,comdat
	.protected	_ZN7rocprim17ROCPRIM_400000_NS6detail17trampoline_kernelINS0_14default_configENS1_25partition_config_selectorILNS1_17partition_subalgoE5EyNS0_10empty_typeEbEEZZNS1_14partition_implILS5_5ELb0ES3_mN6thrust23THRUST_200600_302600_NS6detail15normal_iteratorINSA_10device_ptrIyEEEEPS6_NSA_18transform_iteratorINSB_9not_fun_tI7is_trueIyEEENSC_INSD_IbEEEENSA_11use_defaultESO_EENS0_5tupleIJNSA_16discard_iteratorISO_EES6_EEENSQ_IJSG_SG_EEES6_PlJS6_EEE10hipError_tPvRmT3_T4_T5_T6_T7_T9_mT8_P12ihipStream_tbDpT10_ENKUlT_T0_E_clISt17integral_constantIbLb0EES1F_EEDaS1A_S1B_EUlS1A_E_NS1_11comp_targetILNS1_3genE5ELNS1_11target_archE942ELNS1_3gpuE9ELNS1_3repE0EEENS1_30default_config_static_selectorELNS0_4arch9wavefront6targetE0EEEvT1_ ; -- Begin function _ZN7rocprim17ROCPRIM_400000_NS6detail17trampoline_kernelINS0_14default_configENS1_25partition_config_selectorILNS1_17partition_subalgoE5EyNS0_10empty_typeEbEEZZNS1_14partition_implILS5_5ELb0ES3_mN6thrust23THRUST_200600_302600_NS6detail15normal_iteratorINSA_10device_ptrIyEEEEPS6_NSA_18transform_iteratorINSB_9not_fun_tI7is_trueIyEEENSC_INSD_IbEEEENSA_11use_defaultESO_EENS0_5tupleIJNSA_16discard_iteratorISO_EES6_EEENSQ_IJSG_SG_EEES6_PlJS6_EEE10hipError_tPvRmT3_T4_T5_T6_T7_T9_mT8_P12ihipStream_tbDpT10_ENKUlT_T0_E_clISt17integral_constantIbLb0EES1F_EEDaS1A_S1B_EUlS1A_E_NS1_11comp_targetILNS1_3genE5ELNS1_11target_archE942ELNS1_3gpuE9ELNS1_3repE0EEENS1_30default_config_static_selectorELNS0_4arch9wavefront6targetE0EEEvT1_
	.globl	_ZN7rocprim17ROCPRIM_400000_NS6detail17trampoline_kernelINS0_14default_configENS1_25partition_config_selectorILNS1_17partition_subalgoE5EyNS0_10empty_typeEbEEZZNS1_14partition_implILS5_5ELb0ES3_mN6thrust23THRUST_200600_302600_NS6detail15normal_iteratorINSA_10device_ptrIyEEEEPS6_NSA_18transform_iteratorINSB_9not_fun_tI7is_trueIyEEENSC_INSD_IbEEEENSA_11use_defaultESO_EENS0_5tupleIJNSA_16discard_iteratorISO_EES6_EEENSQ_IJSG_SG_EEES6_PlJS6_EEE10hipError_tPvRmT3_T4_T5_T6_T7_T9_mT8_P12ihipStream_tbDpT10_ENKUlT_T0_E_clISt17integral_constantIbLb0EES1F_EEDaS1A_S1B_EUlS1A_E_NS1_11comp_targetILNS1_3genE5ELNS1_11target_archE942ELNS1_3gpuE9ELNS1_3repE0EEENS1_30default_config_static_selectorELNS0_4arch9wavefront6targetE0EEEvT1_
	.p2align	8
	.type	_ZN7rocprim17ROCPRIM_400000_NS6detail17trampoline_kernelINS0_14default_configENS1_25partition_config_selectorILNS1_17partition_subalgoE5EyNS0_10empty_typeEbEEZZNS1_14partition_implILS5_5ELb0ES3_mN6thrust23THRUST_200600_302600_NS6detail15normal_iteratorINSA_10device_ptrIyEEEEPS6_NSA_18transform_iteratorINSB_9not_fun_tI7is_trueIyEEENSC_INSD_IbEEEENSA_11use_defaultESO_EENS0_5tupleIJNSA_16discard_iteratorISO_EES6_EEENSQ_IJSG_SG_EEES6_PlJS6_EEE10hipError_tPvRmT3_T4_T5_T6_T7_T9_mT8_P12ihipStream_tbDpT10_ENKUlT_T0_E_clISt17integral_constantIbLb0EES1F_EEDaS1A_S1B_EUlS1A_E_NS1_11comp_targetILNS1_3genE5ELNS1_11target_archE942ELNS1_3gpuE9ELNS1_3repE0EEENS1_30default_config_static_selectorELNS0_4arch9wavefront6targetE0EEEvT1_,@function
_ZN7rocprim17ROCPRIM_400000_NS6detail17trampoline_kernelINS0_14default_configENS1_25partition_config_selectorILNS1_17partition_subalgoE5EyNS0_10empty_typeEbEEZZNS1_14partition_implILS5_5ELb0ES3_mN6thrust23THRUST_200600_302600_NS6detail15normal_iteratorINSA_10device_ptrIyEEEEPS6_NSA_18transform_iteratorINSB_9not_fun_tI7is_trueIyEEENSC_INSD_IbEEEENSA_11use_defaultESO_EENS0_5tupleIJNSA_16discard_iteratorISO_EES6_EEENSQ_IJSG_SG_EEES6_PlJS6_EEE10hipError_tPvRmT3_T4_T5_T6_T7_T9_mT8_P12ihipStream_tbDpT10_ENKUlT_T0_E_clISt17integral_constantIbLb0EES1F_EEDaS1A_S1B_EUlS1A_E_NS1_11comp_targetILNS1_3genE5ELNS1_11target_archE942ELNS1_3gpuE9ELNS1_3repE0EEENS1_30default_config_static_selectorELNS0_4arch9wavefront6targetE0EEEvT1_: ; @_ZN7rocprim17ROCPRIM_400000_NS6detail17trampoline_kernelINS0_14default_configENS1_25partition_config_selectorILNS1_17partition_subalgoE5EyNS0_10empty_typeEbEEZZNS1_14partition_implILS5_5ELb0ES3_mN6thrust23THRUST_200600_302600_NS6detail15normal_iteratorINSA_10device_ptrIyEEEEPS6_NSA_18transform_iteratorINSB_9not_fun_tI7is_trueIyEEENSC_INSD_IbEEEENSA_11use_defaultESO_EENS0_5tupleIJNSA_16discard_iteratorISO_EES6_EEENSQ_IJSG_SG_EEES6_PlJS6_EEE10hipError_tPvRmT3_T4_T5_T6_T7_T9_mT8_P12ihipStream_tbDpT10_ENKUlT_T0_E_clISt17integral_constantIbLb0EES1F_EEDaS1A_S1B_EUlS1A_E_NS1_11comp_targetILNS1_3genE5ELNS1_11target_archE942ELNS1_3gpuE9ELNS1_3repE0EEENS1_30default_config_static_selectorELNS0_4arch9wavefront6targetE0EEEvT1_
; %bb.0:
	.section	.rodata,"a",@progbits
	.p2align	6, 0x0
	.amdhsa_kernel _ZN7rocprim17ROCPRIM_400000_NS6detail17trampoline_kernelINS0_14default_configENS1_25partition_config_selectorILNS1_17partition_subalgoE5EyNS0_10empty_typeEbEEZZNS1_14partition_implILS5_5ELb0ES3_mN6thrust23THRUST_200600_302600_NS6detail15normal_iteratorINSA_10device_ptrIyEEEEPS6_NSA_18transform_iteratorINSB_9not_fun_tI7is_trueIyEEENSC_INSD_IbEEEENSA_11use_defaultESO_EENS0_5tupleIJNSA_16discard_iteratorISO_EES6_EEENSQ_IJSG_SG_EEES6_PlJS6_EEE10hipError_tPvRmT3_T4_T5_T6_T7_T9_mT8_P12ihipStream_tbDpT10_ENKUlT_T0_E_clISt17integral_constantIbLb0EES1F_EEDaS1A_S1B_EUlS1A_E_NS1_11comp_targetILNS1_3genE5ELNS1_11target_archE942ELNS1_3gpuE9ELNS1_3repE0EEENS1_30default_config_static_selectorELNS0_4arch9wavefront6targetE0EEEvT1_
		.amdhsa_group_segment_fixed_size 0
		.amdhsa_private_segment_fixed_size 0
		.amdhsa_kernarg_size 128
		.amdhsa_user_sgpr_count 2
		.amdhsa_user_sgpr_dispatch_ptr 0
		.amdhsa_user_sgpr_queue_ptr 0
		.amdhsa_user_sgpr_kernarg_segment_ptr 1
		.amdhsa_user_sgpr_dispatch_id 0
		.amdhsa_user_sgpr_private_segment_size 0
		.amdhsa_wavefront_size32 1
		.amdhsa_uses_dynamic_stack 0
		.amdhsa_enable_private_segment 0
		.amdhsa_system_sgpr_workgroup_id_x 1
		.amdhsa_system_sgpr_workgroup_id_y 0
		.amdhsa_system_sgpr_workgroup_id_z 0
		.amdhsa_system_sgpr_workgroup_info 0
		.amdhsa_system_vgpr_workitem_id 0
		.amdhsa_next_free_vgpr 1
		.amdhsa_next_free_sgpr 1
		.amdhsa_reserve_vcc 0
		.amdhsa_float_round_mode_32 0
		.amdhsa_float_round_mode_16_64 0
		.amdhsa_float_denorm_mode_32 3
		.amdhsa_float_denorm_mode_16_64 3
		.amdhsa_fp16_overflow 0
		.amdhsa_workgroup_processor_mode 1
		.amdhsa_memory_ordered 1
		.amdhsa_forward_progress 1
		.amdhsa_inst_pref_size 0
		.amdhsa_round_robin_scheduling 0
		.amdhsa_exception_fp_ieee_invalid_op 0
		.amdhsa_exception_fp_denorm_src 0
		.amdhsa_exception_fp_ieee_div_zero 0
		.amdhsa_exception_fp_ieee_overflow 0
		.amdhsa_exception_fp_ieee_underflow 0
		.amdhsa_exception_fp_ieee_inexact 0
		.amdhsa_exception_int_div_zero 0
	.end_amdhsa_kernel
	.section	.text._ZN7rocprim17ROCPRIM_400000_NS6detail17trampoline_kernelINS0_14default_configENS1_25partition_config_selectorILNS1_17partition_subalgoE5EyNS0_10empty_typeEbEEZZNS1_14partition_implILS5_5ELb0ES3_mN6thrust23THRUST_200600_302600_NS6detail15normal_iteratorINSA_10device_ptrIyEEEEPS6_NSA_18transform_iteratorINSB_9not_fun_tI7is_trueIyEEENSC_INSD_IbEEEENSA_11use_defaultESO_EENS0_5tupleIJNSA_16discard_iteratorISO_EES6_EEENSQ_IJSG_SG_EEES6_PlJS6_EEE10hipError_tPvRmT3_T4_T5_T6_T7_T9_mT8_P12ihipStream_tbDpT10_ENKUlT_T0_E_clISt17integral_constantIbLb0EES1F_EEDaS1A_S1B_EUlS1A_E_NS1_11comp_targetILNS1_3genE5ELNS1_11target_archE942ELNS1_3gpuE9ELNS1_3repE0EEENS1_30default_config_static_selectorELNS0_4arch9wavefront6targetE0EEEvT1_,"axG",@progbits,_ZN7rocprim17ROCPRIM_400000_NS6detail17trampoline_kernelINS0_14default_configENS1_25partition_config_selectorILNS1_17partition_subalgoE5EyNS0_10empty_typeEbEEZZNS1_14partition_implILS5_5ELb0ES3_mN6thrust23THRUST_200600_302600_NS6detail15normal_iteratorINSA_10device_ptrIyEEEEPS6_NSA_18transform_iteratorINSB_9not_fun_tI7is_trueIyEEENSC_INSD_IbEEEENSA_11use_defaultESO_EENS0_5tupleIJNSA_16discard_iteratorISO_EES6_EEENSQ_IJSG_SG_EEES6_PlJS6_EEE10hipError_tPvRmT3_T4_T5_T6_T7_T9_mT8_P12ihipStream_tbDpT10_ENKUlT_T0_E_clISt17integral_constantIbLb0EES1F_EEDaS1A_S1B_EUlS1A_E_NS1_11comp_targetILNS1_3genE5ELNS1_11target_archE942ELNS1_3gpuE9ELNS1_3repE0EEENS1_30default_config_static_selectorELNS0_4arch9wavefront6targetE0EEEvT1_,comdat
.Lfunc_end2654:
	.size	_ZN7rocprim17ROCPRIM_400000_NS6detail17trampoline_kernelINS0_14default_configENS1_25partition_config_selectorILNS1_17partition_subalgoE5EyNS0_10empty_typeEbEEZZNS1_14partition_implILS5_5ELb0ES3_mN6thrust23THRUST_200600_302600_NS6detail15normal_iteratorINSA_10device_ptrIyEEEEPS6_NSA_18transform_iteratorINSB_9not_fun_tI7is_trueIyEEENSC_INSD_IbEEEENSA_11use_defaultESO_EENS0_5tupleIJNSA_16discard_iteratorISO_EES6_EEENSQ_IJSG_SG_EEES6_PlJS6_EEE10hipError_tPvRmT3_T4_T5_T6_T7_T9_mT8_P12ihipStream_tbDpT10_ENKUlT_T0_E_clISt17integral_constantIbLb0EES1F_EEDaS1A_S1B_EUlS1A_E_NS1_11comp_targetILNS1_3genE5ELNS1_11target_archE942ELNS1_3gpuE9ELNS1_3repE0EEENS1_30default_config_static_selectorELNS0_4arch9wavefront6targetE0EEEvT1_, .Lfunc_end2654-_ZN7rocprim17ROCPRIM_400000_NS6detail17trampoline_kernelINS0_14default_configENS1_25partition_config_selectorILNS1_17partition_subalgoE5EyNS0_10empty_typeEbEEZZNS1_14partition_implILS5_5ELb0ES3_mN6thrust23THRUST_200600_302600_NS6detail15normal_iteratorINSA_10device_ptrIyEEEEPS6_NSA_18transform_iteratorINSB_9not_fun_tI7is_trueIyEEENSC_INSD_IbEEEENSA_11use_defaultESO_EENS0_5tupleIJNSA_16discard_iteratorISO_EES6_EEENSQ_IJSG_SG_EEES6_PlJS6_EEE10hipError_tPvRmT3_T4_T5_T6_T7_T9_mT8_P12ihipStream_tbDpT10_ENKUlT_T0_E_clISt17integral_constantIbLb0EES1F_EEDaS1A_S1B_EUlS1A_E_NS1_11comp_targetILNS1_3genE5ELNS1_11target_archE942ELNS1_3gpuE9ELNS1_3repE0EEENS1_30default_config_static_selectorELNS0_4arch9wavefront6targetE0EEEvT1_
                                        ; -- End function
	.set _ZN7rocprim17ROCPRIM_400000_NS6detail17trampoline_kernelINS0_14default_configENS1_25partition_config_selectorILNS1_17partition_subalgoE5EyNS0_10empty_typeEbEEZZNS1_14partition_implILS5_5ELb0ES3_mN6thrust23THRUST_200600_302600_NS6detail15normal_iteratorINSA_10device_ptrIyEEEEPS6_NSA_18transform_iteratorINSB_9not_fun_tI7is_trueIyEEENSC_INSD_IbEEEENSA_11use_defaultESO_EENS0_5tupleIJNSA_16discard_iteratorISO_EES6_EEENSQ_IJSG_SG_EEES6_PlJS6_EEE10hipError_tPvRmT3_T4_T5_T6_T7_T9_mT8_P12ihipStream_tbDpT10_ENKUlT_T0_E_clISt17integral_constantIbLb0EES1F_EEDaS1A_S1B_EUlS1A_E_NS1_11comp_targetILNS1_3genE5ELNS1_11target_archE942ELNS1_3gpuE9ELNS1_3repE0EEENS1_30default_config_static_selectorELNS0_4arch9wavefront6targetE0EEEvT1_.num_vgpr, 0
	.set _ZN7rocprim17ROCPRIM_400000_NS6detail17trampoline_kernelINS0_14default_configENS1_25partition_config_selectorILNS1_17partition_subalgoE5EyNS0_10empty_typeEbEEZZNS1_14partition_implILS5_5ELb0ES3_mN6thrust23THRUST_200600_302600_NS6detail15normal_iteratorINSA_10device_ptrIyEEEEPS6_NSA_18transform_iteratorINSB_9not_fun_tI7is_trueIyEEENSC_INSD_IbEEEENSA_11use_defaultESO_EENS0_5tupleIJNSA_16discard_iteratorISO_EES6_EEENSQ_IJSG_SG_EEES6_PlJS6_EEE10hipError_tPvRmT3_T4_T5_T6_T7_T9_mT8_P12ihipStream_tbDpT10_ENKUlT_T0_E_clISt17integral_constantIbLb0EES1F_EEDaS1A_S1B_EUlS1A_E_NS1_11comp_targetILNS1_3genE5ELNS1_11target_archE942ELNS1_3gpuE9ELNS1_3repE0EEENS1_30default_config_static_selectorELNS0_4arch9wavefront6targetE0EEEvT1_.num_agpr, 0
	.set _ZN7rocprim17ROCPRIM_400000_NS6detail17trampoline_kernelINS0_14default_configENS1_25partition_config_selectorILNS1_17partition_subalgoE5EyNS0_10empty_typeEbEEZZNS1_14partition_implILS5_5ELb0ES3_mN6thrust23THRUST_200600_302600_NS6detail15normal_iteratorINSA_10device_ptrIyEEEEPS6_NSA_18transform_iteratorINSB_9not_fun_tI7is_trueIyEEENSC_INSD_IbEEEENSA_11use_defaultESO_EENS0_5tupleIJNSA_16discard_iteratorISO_EES6_EEENSQ_IJSG_SG_EEES6_PlJS6_EEE10hipError_tPvRmT3_T4_T5_T6_T7_T9_mT8_P12ihipStream_tbDpT10_ENKUlT_T0_E_clISt17integral_constantIbLb0EES1F_EEDaS1A_S1B_EUlS1A_E_NS1_11comp_targetILNS1_3genE5ELNS1_11target_archE942ELNS1_3gpuE9ELNS1_3repE0EEENS1_30default_config_static_selectorELNS0_4arch9wavefront6targetE0EEEvT1_.numbered_sgpr, 0
	.set _ZN7rocprim17ROCPRIM_400000_NS6detail17trampoline_kernelINS0_14default_configENS1_25partition_config_selectorILNS1_17partition_subalgoE5EyNS0_10empty_typeEbEEZZNS1_14partition_implILS5_5ELb0ES3_mN6thrust23THRUST_200600_302600_NS6detail15normal_iteratorINSA_10device_ptrIyEEEEPS6_NSA_18transform_iteratorINSB_9not_fun_tI7is_trueIyEEENSC_INSD_IbEEEENSA_11use_defaultESO_EENS0_5tupleIJNSA_16discard_iteratorISO_EES6_EEENSQ_IJSG_SG_EEES6_PlJS6_EEE10hipError_tPvRmT3_T4_T5_T6_T7_T9_mT8_P12ihipStream_tbDpT10_ENKUlT_T0_E_clISt17integral_constantIbLb0EES1F_EEDaS1A_S1B_EUlS1A_E_NS1_11comp_targetILNS1_3genE5ELNS1_11target_archE942ELNS1_3gpuE9ELNS1_3repE0EEENS1_30default_config_static_selectorELNS0_4arch9wavefront6targetE0EEEvT1_.num_named_barrier, 0
	.set _ZN7rocprim17ROCPRIM_400000_NS6detail17trampoline_kernelINS0_14default_configENS1_25partition_config_selectorILNS1_17partition_subalgoE5EyNS0_10empty_typeEbEEZZNS1_14partition_implILS5_5ELb0ES3_mN6thrust23THRUST_200600_302600_NS6detail15normal_iteratorINSA_10device_ptrIyEEEEPS6_NSA_18transform_iteratorINSB_9not_fun_tI7is_trueIyEEENSC_INSD_IbEEEENSA_11use_defaultESO_EENS0_5tupleIJNSA_16discard_iteratorISO_EES6_EEENSQ_IJSG_SG_EEES6_PlJS6_EEE10hipError_tPvRmT3_T4_T5_T6_T7_T9_mT8_P12ihipStream_tbDpT10_ENKUlT_T0_E_clISt17integral_constantIbLb0EES1F_EEDaS1A_S1B_EUlS1A_E_NS1_11comp_targetILNS1_3genE5ELNS1_11target_archE942ELNS1_3gpuE9ELNS1_3repE0EEENS1_30default_config_static_selectorELNS0_4arch9wavefront6targetE0EEEvT1_.private_seg_size, 0
	.set _ZN7rocprim17ROCPRIM_400000_NS6detail17trampoline_kernelINS0_14default_configENS1_25partition_config_selectorILNS1_17partition_subalgoE5EyNS0_10empty_typeEbEEZZNS1_14partition_implILS5_5ELb0ES3_mN6thrust23THRUST_200600_302600_NS6detail15normal_iteratorINSA_10device_ptrIyEEEEPS6_NSA_18transform_iteratorINSB_9not_fun_tI7is_trueIyEEENSC_INSD_IbEEEENSA_11use_defaultESO_EENS0_5tupleIJNSA_16discard_iteratorISO_EES6_EEENSQ_IJSG_SG_EEES6_PlJS6_EEE10hipError_tPvRmT3_T4_T5_T6_T7_T9_mT8_P12ihipStream_tbDpT10_ENKUlT_T0_E_clISt17integral_constantIbLb0EES1F_EEDaS1A_S1B_EUlS1A_E_NS1_11comp_targetILNS1_3genE5ELNS1_11target_archE942ELNS1_3gpuE9ELNS1_3repE0EEENS1_30default_config_static_selectorELNS0_4arch9wavefront6targetE0EEEvT1_.uses_vcc, 0
	.set _ZN7rocprim17ROCPRIM_400000_NS6detail17trampoline_kernelINS0_14default_configENS1_25partition_config_selectorILNS1_17partition_subalgoE5EyNS0_10empty_typeEbEEZZNS1_14partition_implILS5_5ELb0ES3_mN6thrust23THRUST_200600_302600_NS6detail15normal_iteratorINSA_10device_ptrIyEEEEPS6_NSA_18transform_iteratorINSB_9not_fun_tI7is_trueIyEEENSC_INSD_IbEEEENSA_11use_defaultESO_EENS0_5tupleIJNSA_16discard_iteratorISO_EES6_EEENSQ_IJSG_SG_EEES6_PlJS6_EEE10hipError_tPvRmT3_T4_T5_T6_T7_T9_mT8_P12ihipStream_tbDpT10_ENKUlT_T0_E_clISt17integral_constantIbLb0EES1F_EEDaS1A_S1B_EUlS1A_E_NS1_11comp_targetILNS1_3genE5ELNS1_11target_archE942ELNS1_3gpuE9ELNS1_3repE0EEENS1_30default_config_static_selectorELNS0_4arch9wavefront6targetE0EEEvT1_.uses_flat_scratch, 0
	.set _ZN7rocprim17ROCPRIM_400000_NS6detail17trampoline_kernelINS0_14default_configENS1_25partition_config_selectorILNS1_17partition_subalgoE5EyNS0_10empty_typeEbEEZZNS1_14partition_implILS5_5ELb0ES3_mN6thrust23THRUST_200600_302600_NS6detail15normal_iteratorINSA_10device_ptrIyEEEEPS6_NSA_18transform_iteratorINSB_9not_fun_tI7is_trueIyEEENSC_INSD_IbEEEENSA_11use_defaultESO_EENS0_5tupleIJNSA_16discard_iteratorISO_EES6_EEENSQ_IJSG_SG_EEES6_PlJS6_EEE10hipError_tPvRmT3_T4_T5_T6_T7_T9_mT8_P12ihipStream_tbDpT10_ENKUlT_T0_E_clISt17integral_constantIbLb0EES1F_EEDaS1A_S1B_EUlS1A_E_NS1_11comp_targetILNS1_3genE5ELNS1_11target_archE942ELNS1_3gpuE9ELNS1_3repE0EEENS1_30default_config_static_selectorELNS0_4arch9wavefront6targetE0EEEvT1_.has_dyn_sized_stack, 0
	.set _ZN7rocprim17ROCPRIM_400000_NS6detail17trampoline_kernelINS0_14default_configENS1_25partition_config_selectorILNS1_17partition_subalgoE5EyNS0_10empty_typeEbEEZZNS1_14partition_implILS5_5ELb0ES3_mN6thrust23THRUST_200600_302600_NS6detail15normal_iteratorINSA_10device_ptrIyEEEEPS6_NSA_18transform_iteratorINSB_9not_fun_tI7is_trueIyEEENSC_INSD_IbEEEENSA_11use_defaultESO_EENS0_5tupleIJNSA_16discard_iteratorISO_EES6_EEENSQ_IJSG_SG_EEES6_PlJS6_EEE10hipError_tPvRmT3_T4_T5_T6_T7_T9_mT8_P12ihipStream_tbDpT10_ENKUlT_T0_E_clISt17integral_constantIbLb0EES1F_EEDaS1A_S1B_EUlS1A_E_NS1_11comp_targetILNS1_3genE5ELNS1_11target_archE942ELNS1_3gpuE9ELNS1_3repE0EEENS1_30default_config_static_selectorELNS0_4arch9wavefront6targetE0EEEvT1_.has_recursion, 0
	.set _ZN7rocprim17ROCPRIM_400000_NS6detail17trampoline_kernelINS0_14default_configENS1_25partition_config_selectorILNS1_17partition_subalgoE5EyNS0_10empty_typeEbEEZZNS1_14partition_implILS5_5ELb0ES3_mN6thrust23THRUST_200600_302600_NS6detail15normal_iteratorINSA_10device_ptrIyEEEEPS6_NSA_18transform_iteratorINSB_9not_fun_tI7is_trueIyEEENSC_INSD_IbEEEENSA_11use_defaultESO_EENS0_5tupleIJNSA_16discard_iteratorISO_EES6_EEENSQ_IJSG_SG_EEES6_PlJS6_EEE10hipError_tPvRmT3_T4_T5_T6_T7_T9_mT8_P12ihipStream_tbDpT10_ENKUlT_T0_E_clISt17integral_constantIbLb0EES1F_EEDaS1A_S1B_EUlS1A_E_NS1_11comp_targetILNS1_3genE5ELNS1_11target_archE942ELNS1_3gpuE9ELNS1_3repE0EEENS1_30default_config_static_selectorELNS0_4arch9wavefront6targetE0EEEvT1_.has_indirect_call, 0
	.section	.AMDGPU.csdata,"",@progbits
; Kernel info:
; codeLenInByte = 0
; TotalNumSgprs: 0
; NumVgprs: 0
; ScratchSize: 0
; MemoryBound: 0
; FloatMode: 240
; IeeeMode: 1
; LDSByteSize: 0 bytes/workgroup (compile time only)
; SGPRBlocks: 0
; VGPRBlocks: 0
; NumSGPRsForWavesPerEU: 1
; NumVGPRsForWavesPerEU: 1
; Occupancy: 16
; WaveLimiterHint : 0
; COMPUTE_PGM_RSRC2:SCRATCH_EN: 0
; COMPUTE_PGM_RSRC2:USER_SGPR: 2
; COMPUTE_PGM_RSRC2:TRAP_HANDLER: 0
; COMPUTE_PGM_RSRC2:TGID_X_EN: 1
; COMPUTE_PGM_RSRC2:TGID_Y_EN: 0
; COMPUTE_PGM_RSRC2:TGID_Z_EN: 0
; COMPUTE_PGM_RSRC2:TIDIG_COMP_CNT: 0
	.section	.text._ZN7rocprim17ROCPRIM_400000_NS6detail17trampoline_kernelINS0_14default_configENS1_25partition_config_selectorILNS1_17partition_subalgoE5EyNS0_10empty_typeEbEEZZNS1_14partition_implILS5_5ELb0ES3_mN6thrust23THRUST_200600_302600_NS6detail15normal_iteratorINSA_10device_ptrIyEEEEPS6_NSA_18transform_iteratorINSB_9not_fun_tI7is_trueIyEEENSC_INSD_IbEEEENSA_11use_defaultESO_EENS0_5tupleIJNSA_16discard_iteratorISO_EES6_EEENSQ_IJSG_SG_EEES6_PlJS6_EEE10hipError_tPvRmT3_T4_T5_T6_T7_T9_mT8_P12ihipStream_tbDpT10_ENKUlT_T0_E_clISt17integral_constantIbLb0EES1F_EEDaS1A_S1B_EUlS1A_E_NS1_11comp_targetILNS1_3genE4ELNS1_11target_archE910ELNS1_3gpuE8ELNS1_3repE0EEENS1_30default_config_static_selectorELNS0_4arch9wavefront6targetE0EEEvT1_,"axG",@progbits,_ZN7rocprim17ROCPRIM_400000_NS6detail17trampoline_kernelINS0_14default_configENS1_25partition_config_selectorILNS1_17partition_subalgoE5EyNS0_10empty_typeEbEEZZNS1_14partition_implILS5_5ELb0ES3_mN6thrust23THRUST_200600_302600_NS6detail15normal_iteratorINSA_10device_ptrIyEEEEPS6_NSA_18transform_iteratorINSB_9not_fun_tI7is_trueIyEEENSC_INSD_IbEEEENSA_11use_defaultESO_EENS0_5tupleIJNSA_16discard_iteratorISO_EES6_EEENSQ_IJSG_SG_EEES6_PlJS6_EEE10hipError_tPvRmT3_T4_T5_T6_T7_T9_mT8_P12ihipStream_tbDpT10_ENKUlT_T0_E_clISt17integral_constantIbLb0EES1F_EEDaS1A_S1B_EUlS1A_E_NS1_11comp_targetILNS1_3genE4ELNS1_11target_archE910ELNS1_3gpuE8ELNS1_3repE0EEENS1_30default_config_static_selectorELNS0_4arch9wavefront6targetE0EEEvT1_,comdat
	.protected	_ZN7rocprim17ROCPRIM_400000_NS6detail17trampoline_kernelINS0_14default_configENS1_25partition_config_selectorILNS1_17partition_subalgoE5EyNS0_10empty_typeEbEEZZNS1_14partition_implILS5_5ELb0ES3_mN6thrust23THRUST_200600_302600_NS6detail15normal_iteratorINSA_10device_ptrIyEEEEPS6_NSA_18transform_iteratorINSB_9not_fun_tI7is_trueIyEEENSC_INSD_IbEEEENSA_11use_defaultESO_EENS0_5tupleIJNSA_16discard_iteratorISO_EES6_EEENSQ_IJSG_SG_EEES6_PlJS6_EEE10hipError_tPvRmT3_T4_T5_T6_T7_T9_mT8_P12ihipStream_tbDpT10_ENKUlT_T0_E_clISt17integral_constantIbLb0EES1F_EEDaS1A_S1B_EUlS1A_E_NS1_11comp_targetILNS1_3genE4ELNS1_11target_archE910ELNS1_3gpuE8ELNS1_3repE0EEENS1_30default_config_static_selectorELNS0_4arch9wavefront6targetE0EEEvT1_ ; -- Begin function _ZN7rocprim17ROCPRIM_400000_NS6detail17trampoline_kernelINS0_14default_configENS1_25partition_config_selectorILNS1_17partition_subalgoE5EyNS0_10empty_typeEbEEZZNS1_14partition_implILS5_5ELb0ES3_mN6thrust23THRUST_200600_302600_NS6detail15normal_iteratorINSA_10device_ptrIyEEEEPS6_NSA_18transform_iteratorINSB_9not_fun_tI7is_trueIyEEENSC_INSD_IbEEEENSA_11use_defaultESO_EENS0_5tupleIJNSA_16discard_iteratorISO_EES6_EEENSQ_IJSG_SG_EEES6_PlJS6_EEE10hipError_tPvRmT3_T4_T5_T6_T7_T9_mT8_P12ihipStream_tbDpT10_ENKUlT_T0_E_clISt17integral_constantIbLb0EES1F_EEDaS1A_S1B_EUlS1A_E_NS1_11comp_targetILNS1_3genE4ELNS1_11target_archE910ELNS1_3gpuE8ELNS1_3repE0EEENS1_30default_config_static_selectorELNS0_4arch9wavefront6targetE0EEEvT1_
	.globl	_ZN7rocprim17ROCPRIM_400000_NS6detail17trampoline_kernelINS0_14default_configENS1_25partition_config_selectorILNS1_17partition_subalgoE5EyNS0_10empty_typeEbEEZZNS1_14partition_implILS5_5ELb0ES3_mN6thrust23THRUST_200600_302600_NS6detail15normal_iteratorINSA_10device_ptrIyEEEEPS6_NSA_18transform_iteratorINSB_9not_fun_tI7is_trueIyEEENSC_INSD_IbEEEENSA_11use_defaultESO_EENS0_5tupleIJNSA_16discard_iteratorISO_EES6_EEENSQ_IJSG_SG_EEES6_PlJS6_EEE10hipError_tPvRmT3_T4_T5_T6_T7_T9_mT8_P12ihipStream_tbDpT10_ENKUlT_T0_E_clISt17integral_constantIbLb0EES1F_EEDaS1A_S1B_EUlS1A_E_NS1_11comp_targetILNS1_3genE4ELNS1_11target_archE910ELNS1_3gpuE8ELNS1_3repE0EEENS1_30default_config_static_selectorELNS0_4arch9wavefront6targetE0EEEvT1_
	.p2align	8
	.type	_ZN7rocprim17ROCPRIM_400000_NS6detail17trampoline_kernelINS0_14default_configENS1_25partition_config_selectorILNS1_17partition_subalgoE5EyNS0_10empty_typeEbEEZZNS1_14partition_implILS5_5ELb0ES3_mN6thrust23THRUST_200600_302600_NS6detail15normal_iteratorINSA_10device_ptrIyEEEEPS6_NSA_18transform_iteratorINSB_9not_fun_tI7is_trueIyEEENSC_INSD_IbEEEENSA_11use_defaultESO_EENS0_5tupleIJNSA_16discard_iteratorISO_EES6_EEENSQ_IJSG_SG_EEES6_PlJS6_EEE10hipError_tPvRmT3_T4_T5_T6_T7_T9_mT8_P12ihipStream_tbDpT10_ENKUlT_T0_E_clISt17integral_constantIbLb0EES1F_EEDaS1A_S1B_EUlS1A_E_NS1_11comp_targetILNS1_3genE4ELNS1_11target_archE910ELNS1_3gpuE8ELNS1_3repE0EEENS1_30default_config_static_selectorELNS0_4arch9wavefront6targetE0EEEvT1_,@function
_ZN7rocprim17ROCPRIM_400000_NS6detail17trampoline_kernelINS0_14default_configENS1_25partition_config_selectorILNS1_17partition_subalgoE5EyNS0_10empty_typeEbEEZZNS1_14partition_implILS5_5ELb0ES3_mN6thrust23THRUST_200600_302600_NS6detail15normal_iteratorINSA_10device_ptrIyEEEEPS6_NSA_18transform_iteratorINSB_9not_fun_tI7is_trueIyEEENSC_INSD_IbEEEENSA_11use_defaultESO_EENS0_5tupleIJNSA_16discard_iteratorISO_EES6_EEENSQ_IJSG_SG_EEES6_PlJS6_EEE10hipError_tPvRmT3_T4_T5_T6_T7_T9_mT8_P12ihipStream_tbDpT10_ENKUlT_T0_E_clISt17integral_constantIbLb0EES1F_EEDaS1A_S1B_EUlS1A_E_NS1_11comp_targetILNS1_3genE4ELNS1_11target_archE910ELNS1_3gpuE8ELNS1_3repE0EEENS1_30default_config_static_selectorELNS0_4arch9wavefront6targetE0EEEvT1_: ; @_ZN7rocprim17ROCPRIM_400000_NS6detail17trampoline_kernelINS0_14default_configENS1_25partition_config_selectorILNS1_17partition_subalgoE5EyNS0_10empty_typeEbEEZZNS1_14partition_implILS5_5ELb0ES3_mN6thrust23THRUST_200600_302600_NS6detail15normal_iteratorINSA_10device_ptrIyEEEEPS6_NSA_18transform_iteratorINSB_9not_fun_tI7is_trueIyEEENSC_INSD_IbEEEENSA_11use_defaultESO_EENS0_5tupleIJNSA_16discard_iteratorISO_EES6_EEENSQ_IJSG_SG_EEES6_PlJS6_EEE10hipError_tPvRmT3_T4_T5_T6_T7_T9_mT8_P12ihipStream_tbDpT10_ENKUlT_T0_E_clISt17integral_constantIbLb0EES1F_EEDaS1A_S1B_EUlS1A_E_NS1_11comp_targetILNS1_3genE4ELNS1_11target_archE910ELNS1_3gpuE8ELNS1_3repE0EEENS1_30default_config_static_selectorELNS0_4arch9wavefront6targetE0EEEvT1_
; %bb.0:
	.section	.rodata,"a",@progbits
	.p2align	6, 0x0
	.amdhsa_kernel _ZN7rocprim17ROCPRIM_400000_NS6detail17trampoline_kernelINS0_14default_configENS1_25partition_config_selectorILNS1_17partition_subalgoE5EyNS0_10empty_typeEbEEZZNS1_14partition_implILS5_5ELb0ES3_mN6thrust23THRUST_200600_302600_NS6detail15normal_iteratorINSA_10device_ptrIyEEEEPS6_NSA_18transform_iteratorINSB_9not_fun_tI7is_trueIyEEENSC_INSD_IbEEEENSA_11use_defaultESO_EENS0_5tupleIJNSA_16discard_iteratorISO_EES6_EEENSQ_IJSG_SG_EEES6_PlJS6_EEE10hipError_tPvRmT3_T4_T5_T6_T7_T9_mT8_P12ihipStream_tbDpT10_ENKUlT_T0_E_clISt17integral_constantIbLb0EES1F_EEDaS1A_S1B_EUlS1A_E_NS1_11comp_targetILNS1_3genE4ELNS1_11target_archE910ELNS1_3gpuE8ELNS1_3repE0EEENS1_30default_config_static_selectorELNS0_4arch9wavefront6targetE0EEEvT1_
		.amdhsa_group_segment_fixed_size 0
		.amdhsa_private_segment_fixed_size 0
		.amdhsa_kernarg_size 128
		.amdhsa_user_sgpr_count 2
		.amdhsa_user_sgpr_dispatch_ptr 0
		.amdhsa_user_sgpr_queue_ptr 0
		.amdhsa_user_sgpr_kernarg_segment_ptr 1
		.amdhsa_user_sgpr_dispatch_id 0
		.amdhsa_user_sgpr_private_segment_size 0
		.amdhsa_wavefront_size32 1
		.amdhsa_uses_dynamic_stack 0
		.amdhsa_enable_private_segment 0
		.amdhsa_system_sgpr_workgroup_id_x 1
		.amdhsa_system_sgpr_workgroup_id_y 0
		.amdhsa_system_sgpr_workgroup_id_z 0
		.amdhsa_system_sgpr_workgroup_info 0
		.amdhsa_system_vgpr_workitem_id 0
		.amdhsa_next_free_vgpr 1
		.amdhsa_next_free_sgpr 1
		.amdhsa_reserve_vcc 0
		.amdhsa_float_round_mode_32 0
		.amdhsa_float_round_mode_16_64 0
		.amdhsa_float_denorm_mode_32 3
		.amdhsa_float_denorm_mode_16_64 3
		.amdhsa_fp16_overflow 0
		.amdhsa_workgroup_processor_mode 1
		.amdhsa_memory_ordered 1
		.amdhsa_forward_progress 1
		.amdhsa_inst_pref_size 0
		.amdhsa_round_robin_scheduling 0
		.amdhsa_exception_fp_ieee_invalid_op 0
		.amdhsa_exception_fp_denorm_src 0
		.amdhsa_exception_fp_ieee_div_zero 0
		.amdhsa_exception_fp_ieee_overflow 0
		.amdhsa_exception_fp_ieee_underflow 0
		.amdhsa_exception_fp_ieee_inexact 0
		.amdhsa_exception_int_div_zero 0
	.end_amdhsa_kernel
	.section	.text._ZN7rocprim17ROCPRIM_400000_NS6detail17trampoline_kernelINS0_14default_configENS1_25partition_config_selectorILNS1_17partition_subalgoE5EyNS0_10empty_typeEbEEZZNS1_14partition_implILS5_5ELb0ES3_mN6thrust23THRUST_200600_302600_NS6detail15normal_iteratorINSA_10device_ptrIyEEEEPS6_NSA_18transform_iteratorINSB_9not_fun_tI7is_trueIyEEENSC_INSD_IbEEEENSA_11use_defaultESO_EENS0_5tupleIJNSA_16discard_iteratorISO_EES6_EEENSQ_IJSG_SG_EEES6_PlJS6_EEE10hipError_tPvRmT3_T4_T5_T6_T7_T9_mT8_P12ihipStream_tbDpT10_ENKUlT_T0_E_clISt17integral_constantIbLb0EES1F_EEDaS1A_S1B_EUlS1A_E_NS1_11comp_targetILNS1_3genE4ELNS1_11target_archE910ELNS1_3gpuE8ELNS1_3repE0EEENS1_30default_config_static_selectorELNS0_4arch9wavefront6targetE0EEEvT1_,"axG",@progbits,_ZN7rocprim17ROCPRIM_400000_NS6detail17trampoline_kernelINS0_14default_configENS1_25partition_config_selectorILNS1_17partition_subalgoE5EyNS0_10empty_typeEbEEZZNS1_14partition_implILS5_5ELb0ES3_mN6thrust23THRUST_200600_302600_NS6detail15normal_iteratorINSA_10device_ptrIyEEEEPS6_NSA_18transform_iteratorINSB_9not_fun_tI7is_trueIyEEENSC_INSD_IbEEEENSA_11use_defaultESO_EENS0_5tupleIJNSA_16discard_iteratorISO_EES6_EEENSQ_IJSG_SG_EEES6_PlJS6_EEE10hipError_tPvRmT3_T4_T5_T6_T7_T9_mT8_P12ihipStream_tbDpT10_ENKUlT_T0_E_clISt17integral_constantIbLb0EES1F_EEDaS1A_S1B_EUlS1A_E_NS1_11comp_targetILNS1_3genE4ELNS1_11target_archE910ELNS1_3gpuE8ELNS1_3repE0EEENS1_30default_config_static_selectorELNS0_4arch9wavefront6targetE0EEEvT1_,comdat
.Lfunc_end2655:
	.size	_ZN7rocprim17ROCPRIM_400000_NS6detail17trampoline_kernelINS0_14default_configENS1_25partition_config_selectorILNS1_17partition_subalgoE5EyNS0_10empty_typeEbEEZZNS1_14partition_implILS5_5ELb0ES3_mN6thrust23THRUST_200600_302600_NS6detail15normal_iteratorINSA_10device_ptrIyEEEEPS6_NSA_18transform_iteratorINSB_9not_fun_tI7is_trueIyEEENSC_INSD_IbEEEENSA_11use_defaultESO_EENS0_5tupleIJNSA_16discard_iteratorISO_EES6_EEENSQ_IJSG_SG_EEES6_PlJS6_EEE10hipError_tPvRmT3_T4_T5_T6_T7_T9_mT8_P12ihipStream_tbDpT10_ENKUlT_T0_E_clISt17integral_constantIbLb0EES1F_EEDaS1A_S1B_EUlS1A_E_NS1_11comp_targetILNS1_3genE4ELNS1_11target_archE910ELNS1_3gpuE8ELNS1_3repE0EEENS1_30default_config_static_selectorELNS0_4arch9wavefront6targetE0EEEvT1_, .Lfunc_end2655-_ZN7rocprim17ROCPRIM_400000_NS6detail17trampoline_kernelINS0_14default_configENS1_25partition_config_selectorILNS1_17partition_subalgoE5EyNS0_10empty_typeEbEEZZNS1_14partition_implILS5_5ELb0ES3_mN6thrust23THRUST_200600_302600_NS6detail15normal_iteratorINSA_10device_ptrIyEEEEPS6_NSA_18transform_iteratorINSB_9not_fun_tI7is_trueIyEEENSC_INSD_IbEEEENSA_11use_defaultESO_EENS0_5tupleIJNSA_16discard_iteratorISO_EES6_EEENSQ_IJSG_SG_EEES6_PlJS6_EEE10hipError_tPvRmT3_T4_T5_T6_T7_T9_mT8_P12ihipStream_tbDpT10_ENKUlT_T0_E_clISt17integral_constantIbLb0EES1F_EEDaS1A_S1B_EUlS1A_E_NS1_11comp_targetILNS1_3genE4ELNS1_11target_archE910ELNS1_3gpuE8ELNS1_3repE0EEENS1_30default_config_static_selectorELNS0_4arch9wavefront6targetE0EEEvT1_
                                        ; -- End function
	.set _ZN7rocprim17ROCPRIM_400000_NS6detail17trampoline_kernelINS0_14default_configENS1_25partition_config_selectorILNS1_17partition_subalgoE5EyNS0_10empty_typeEbEEZZNS1_14partition_implILS5_5ELb0ES3_mN6thrust23THRUST_200600_302600_NS6detail15normal_iteratorINSA_10device_ptrIyEEEEPS6_NSA_18transform_iteratorINSB_9not_fun_tI7is_trueIyEEENSC_INSD_IbEEEENSA_11use_defaultESO_EENS0_5tupleIJNSA_16discard_iteratorISO_EES6_EEENSQ_IJSG_SG_EEES6_PlJS6_EEE10hipError_tPvRmT3_T4_T5_T6_T7_T9_mT8_P12ihipStream_tbDpT10_ENKUlT_T0_E_clISt17integral_constantIbLb0EES1F_EEDaS1A_S1B_EUlS1A_E_NS1_11comp_targetILNS1_3genE4ELNS1_11target_archE910ELNS1_3gpuE8ELNS1_3repE0EEENS1_30default_config_static_selectorELNS0_4arch9wavefront6targetE0EEEvT1_.num_vgpr, 0
	.set _ZN7rocprim17ROCPRIM_400000_NS6detail17trampoline_kernelINS0_14default_configENS1_25partition_config_selectorILNS1_17partition_subalgoE5EyNS0_10empty_typeEbEEZZNS1_14partition_implILS5_5ELb0ES3_mN6thrust23THRUST_200600_302600_NS6detail15normal_iteratorINSA_10device_ptrIyEEEEPS6_NSA_18transform_iteratorINSB_9not_fun_tI7is_trueIyEEENSC_INSD_IbEEEENSA_11use_defaultESO_EENS0_5tupleIJNSA_16discard_iteratorISO_EES6_EEENSQ_IJSG_SG_EEES6_PlJS6_EEE10hipError_tPvRmT3_T4_T5_T6_T7_T9_mT8_P12ihipStream_tbDpT10_ENKUlT_T0_E_clISt17integral_constantIbLb0EES1F_EEDaS1A_S1B_EUlS1A_E_NS1_11comp_targetILNS1_3genE4ELNS1_11target_archE910ELNS1_3gpuE8ELNS1_3repE0EEENS1_30default_config_static_selectorELNS0_4arch9wavefront6targetE0EEEvT1_.num_agpr, 0
	.set _ZN7rocprim17ROCPRIM_400000_NS6detail17trampoline_kernelINS0_14default_configENS1_25partition_config_selectorILNS1_17partition_subalgoE5EyNS0_10empty_typeEbEEZZNS1_14partition_implILS5_5ELb0ES3_mN6thrust23THRUST_200600_302600_NS6detail15normal_iteratorINSA_10device_ptrIyEEEEPS6_NSA_18transform_iteratorINSB_9not_fun_tI7is_trueIyEEENSC_INSD_IbEEEENSA_11use_defaultESO_EENS0_5tupleIJNSA_16discard_iteratorISO_EES6_EEENSQ_IJSG_SG_EEES6_PlJS6_EEE10hipError_tPvRmT3_T4_T5_T6_T7_T9_mT8_P12ihipStream_tbDpT10_ENKUlT_T0_E_clISt17integral_constantIbLb0EES1F_EEDaS1A_S1B_EUlS1A_E_NS1_11comp_targetILNS1_3genE4ELNS1_11target_archE910ELNS1_3gpuE8ELNS1_3repE0EEENS1_30default_config_static_selectorELNS0_4arch9wavefront6targetE0EEEvT1_.numbered_sgpr, 0
	.set _ZN7rocprim17ROCPRIM_400000_NS6detail17trampoline_kernelINS0_14default_configENS1_25partition_config_selectorILNS1_17partition_subalgoE5EyNS0_10empty_typeEbEEZZNS1_14partition_implILS5_5ELb0ES3_mN6thrust23THRUST_200600_302600_NS6detail15normal_iteratorINSA_10device_ptrIyEEEEPS6_NSA_18transform_iteratorINSB_9not_fun_tI7is_trueIyEEENSC_INSD_IbEEEENSA_11use_defaultESO_EENS0_5tupleIJNSA_16discard_iteratorISO_EES6_EEENSQ_IJSG_SG_EEES6_PlJS6_EEE10hipError_tPvRmT3_T4_T5_T6_T7_T9_mT8_P12ihipStream_tbDpT10_ENKUlT_T0_E_clISt17integral_constantIbLb0EES1F_EEDaS1A_S1B_EUlS1A_E_NS1_11comp_targetILNS1_3genE4ELNS1_11target_archE910ELNS1_3gpuE8ELNS1_3repE0EEENS1_30default_config_static_selectorELNS0_4arch9wavefront6targetE0EEEvT1_.num_named_barrier, 0
	.set _ZN7rocprim17ROCPRIM_400000_NS6detail17trampoline_kernelINS0_14default_configENS1_25partition_config_selectorILNS1_17partition_subalgoE5EyNS0_10empty_typeEbEEZZNS1_14partition_implILS5_5ELb0ES3_mN6thrust23THRUST_200600_302600_NS6detail15normal_iteratorINSA_10device_ptrIyEEEEPS6_NSA_18transform_iteratorINSB_9not_fun_tI7is_trueIyEEENSC_INSD_IbEEEENSA_11use_defaultESO_EENS0_5tupleIJNSA_16discard_iteratorISO_EES6_EEENSQ_IJSG_SG_EEES6_PlJS6_EEE10hipError_tPvRmT3_T4_T5_T6_T7_T9_mT8_P12ihipStream_tbDpT10_ENKUlT_T0_E_clISt17integral_constantIbLb0EES1F_EEDaS1A_S1B_EUlS1A_E_NS1_11comp_targetILNS1_3genE4ELNS1_11target_archE910ELNS1_3gpuE8ELNS1_3repE0EEENS1_30default_config_static_selectorELNS0_4arch9wavefront6targetE0EEEvT1_.private_seg_size, 0
	.set _ZN7rocprim17ROCPRIM_400000_NS6detail17trampoline_kernelINS0_14default_configENS1_25partition_config_selectorILNS1_17partition_subalgoE5EyNS0_10empty_typeEbEEZZNS1_14partition_implILS5_5ELb0ES3_mN6thrust23THRUST_200600_302600_NS6detail15normal_iteratorINSA_10device_ptrIyEEEEPS6_NSA_18transform_iteratorINSB_9not_fun_tI7is_trueIyEEENSC_INSD_IbEEEENSA_11use_defaultESO_EENS0_5tupleIJNSA_16discard_iteratorISO_EES6_EEENSQ_IJSG_SG_EEES6_PlJS6_EEE10hipError_tPvRmT3_T4_T5_T6_T7_T9_mT8_P12ihipStream_tbDpT10_ENKUlT_T0_E_clISt17integral_constantIbLb0EES1F_EEDaS1A_S1B_EUlS1A_E_NS1_11comp_targetILNS1_3genE4ELNS1_11target_archE910ELNS1_3gpuE8ELNS1_3repE0EEENS1_30default_config_static_selectorELNS0_4arch9wavefront6targetE0EEEvT1_.uses_vcc, 0
	.set _ZN7rocprim17ROCPRIM_400000_NS6detail17trampoline_kernelINS0_14default_configENS1_25partition_config_selectorILNS1_17partition_subalgoE5EyNS0_10empty_typeEbEEZZNS1_14partition_implILS5_5ELb0ES3_mN6thrust23THRUST_200600_302600_NS6detail15normal_iteratorINSA_10device_ptrIyEEEEPS6_NSA_18transform_iteratorINSB_9not_fun_tI7is_trueIyEEENSC_INSD_IbEEEENSA_11use_defaultESO_EENS0_5tupleIJNSA_16discard_iteratorISO_EES6_EEENSQ_IJSG_SG_EEES6_PlJS6_EEE10hipError_tPvRmT3_T4_T5_T6_T7_T9_mT8_P12ihipStream_tbDpT10_ENKUlT_T0_E_clISt17integral_constantIbLb0EES1F_EEDaS1A_S1B_EUlS1A_E_NS1_11comp_targetILNS1_3genE4ELNS1_11target_archE910ELNS1_3gpuE8ELNS1_3repE0EEENS1_30default_config_static_selectorELNS0_4arch9wavefront6targetE0EEEvT1_.uses_flat_scratch, 0
	.set _ZN7rocprim17ROCPRIM_400000_NS6detail17trampoline_kernelINS0_14default_configENS1_25partition_config_selectorILNS1_17partition_subalgoE5EyNS0_10empty_typeEbEEZZNS1_14partition_implILS5_5ELb0ES3_mN6thrust23THRUST_200600_302600_NS6detail15normal_iteratorINSA_10device_ptrIyEEEEPS6_NSA_18transform_iteratorINSB_9not_fun_tI7is_trueIyEEENSC_INSD_IbEEEENSA_11use_defaultESO_EENS0_5tupleIJNSA_16discard_iteratorISO_EES6_EEENSQ_IJSG_SG_EEES6_PlJS6_EEE10hipError_tPvRmT3_T4_T5_T6_T7_T9_mT8_P12ihipStream_tbDpT10_ENKUlT_T0_E_clISt17integral_constantIbLb0EES1F_EEDaS1A_S1B_EUlS1A_E_NS1_11comp_targetILNS1_3genE4ELNS1_11target_archE910ELNS1_3gpuE8ELNS1_3repE0EEENS1_30default_config_static_selectorELNS0_4arch9wavefront6targetE0EEEvT1_.has_dyn_sized_stack, 0
	.set _ZN7rocprim17ROCPRIM_400000_NS6detail17trampoline_kernelINS0_14default_configENS1_25partition_config_selectorILNS1_17partition_subalgoE5EyNS0_10empty_typeEbEEZZNS1_14partition_implILS5_5ELb0ES3_mN6thrust23THRUST_200600_302600_NS6detail15normal_iteratorINSA_10device_ptrIyEEEEPS6_NSA_18transform_iteratorINSB_9not_fun_tI7is_trueIyEEENSC_INSD_IbEEEENSA_11use_defaultESO_EENS0_5tupleIJNSA_16discard_iteratorISO_EES6_EEENSQ_IJSG_SG_EEES6_PlJS6_EEE10hipError_tPvRmT3_T4_T5_T6_T7_T9_mT8_P12ihipStream_tbDpT10_ENKUlT_T0_E_clISt17integral_constantIbLb0EES1F_EEDaS1A_S1B_EUlS1A_E_NS1_11comp_targetILNS1_3genE4ELNS1_11target_archE910ELNS1_3gpuE8ELNS1_3repE0EEENS1_30default_config_static_selectorELNS0_4arch9wavefront6targetE0EEEvT1_.has_recursion, 0
	.set _ZN7rocprim17ROCPRIM_400000_NS6detail17trampoline_kernelINS0_14default_configENS1_25partition_config_selectorILNS1_17partition_subalgoE5EyNS0_10empty_typeEbEEZZNS1_14partition_implILS5_5ELb0ES3_mN6thrust23THRUST_200600_302600_NS6detail15normal_iteratorINSA_10device_ptrIyEEEEPS6_NSA_18transform_iteratorINSB_9not_fun_tI7is_trueIyEEENSC_INSD_IbEEEENSA_11use_defaultESO_EENS0_5tupleIJNSA_16discard_iteratorISO_EES6_EEENSQ_IJSG_SG_EEES6_PlJS6_EEE10hipError_tPvRmT3_T4_T5_T6_T7_T9_mT8_P12ihipStream_tbDpT10_ENKUlT_T0_E_clISt17integral_constantIbLb0EES1F_EEDaS1A_S1B_EUlS1A_E_NS1_11comp_targetILNS1_3genE4ELNS1_11target_archE910ELNS1_3gpuE8ELNS1_3repE0EEENS1_30default_config_static_selectorELNS0_4arch9wavefront6targetE0EEEvT1_.has_indirect_call, 0
	.section	.AMDGPU.csdata,"",@progbits
; Kernel info:
; codeLenInByte = 0
; TotalNumSgprs: 0
; NumVgprs: 0
; ScratchSize: 0
; MemoryBound: 0
; FloatMode: 240
; IeeeMode: 1
; LDSByteSize: 0 bytes/workgroup (compile time only)
; SGPRBlocks: 0
; VGPRBlocks: 0
; NumSGPRsForWavesPerEU: 1
; NumVGPRsForWavesPerEU: 1
; Occupancy: 16
; WaveLimiterHint : 0
; COMPUTE_PGM_RSRC2:SCRATCH_EN: 0
; COMPUTE_PGM_RSRC2:USER_SGPR: 2
; COMPUTE_PGM_RSRC2:TRAP_HANDLER: 0
; COMPUTE_PGM_RSRC2:TGID_X_EN: 1
; COMPUTE_PGM_RSRC2:TGID_Y_EN: 0
; COMPUTE_PGM_RSRC2:TGID_Z_EN: 0
; COMPUTE_PGM_RSRC2:TIDIG_COMP_CNT: 0
	.section	.text._ZN7rocprim17ROCPRIM_400000_NS6detail17trampoline_kernelINS0_14default_configENS1_25partition_config_selectorILNS1_17partition_subalgoE5EyNS0_10empty_typeEbEEZZNS1_14partition_implILS5_5ELb0ES3_mN6thrust23THRUST_200600_302600_NS6detail15normal_iteratorINSA_10device_ptrIyEEEEPS6_NSA_18transform_iteratorINSB_9not_fun_tI7is_trueIyEEENSC_INSD_IbEEEENSA_11use_defaultESO_EENS0_5tupleIJNSA_16discard_iteratorISO_EES6_EEENSQ_IJSG_SG_EEES6_PlJS6_EEE10hipError_tPvRmT3_T4_T5_T6_T7_T9_mT8_P12ihipStream_tbDpT10_ENKUlT_T0_E_clISt17integral_constantIbLb0EES1F_EEDaS1A_S1B_EUlS1A_E_NS1_11comp_targetILNS1_3genE3ELNS1_11target_archE908ELNS1_3gpuE7ELNS1_3repE0EEENS1_30default_config_static_selectorELNS0_4arch9wavefront6targetE0EEEvT1_,"axG",@progbits,_ZN7rocprim17ROCPRIM_400000_NS6detail17trampoline_kernelINS0_14default_configENS1_25partition_config_selectorILNS1_17partition_subalgoE5EyNS0_10empty_typeEbEEZZNS1_14partition_implILS5_5ELb0ES3_mN6thrust23THRUST_200600_302600_NS6detail15normal_iteratorINSA_10device_ptrIyEEEEPS6_NSA_18transform_iteratorINSB_9not_fun_tI7is_trueIyEEENSC_INSD_IbEEEENSA_11use_defaultESO_EENS0_5tupleIJNSA_16discard_iteratorISO_EES6_EEENSQ_IJSG_SG_EEES6_PlJS6_EEE10hipError_tPvRmT3_T4_T5_T6_T7_T9_mT8_P12ihipStream_tbDpT10_ENKUlT_T0_E_clISt17integral_constantIbLb0EES1F_EEDaS1A_S1B_EUlS1A_E_NS1_11comp_targetILNS1_3genE3ELNS1_11target_archE908ELNS1_3gpuE7ELNS1_3repE0EEENS1_30default_config_static_selectorELNS0_4arch9wavefront6targetE0EEEvT1_,comdat
	.protected	_ZN7rocprim17ROCPRIM_400000_NS6detail17trampoline_kernelINS0_14default_configENS1_25partition_config_selectorILNS1_17partition_subalgoE5EyNS0_10empty_typeEbEEZZNS1_14partition_implILS5_5ELb0ES3_mN6thrust23THRUST_200600_302600_NS6detail15normal_iteratorINSA_10device_ptrIyEEEEPS6_NSA_18transform_iteratorINSB_9not_fun_tI7is_trueIyEEENSC_INSD_IbEEEENSA_11use_defaultESO_EENS0_5tupleIJNSA_16discard_iteratorISO_EES6_EEENSQ_IJSG_SG_EEES6_PlJS6_EEE10hipError_tPvRmT3_T4_T5_T6_T7_T9_mT8_P12ihipStream_tbDpT10_ENKUlT_T0_E_clISt17integral_constantIbLb0EES1F_EEDaS1A_S1B_EUlS1A_E_NS1_11comp_targetILNS1_3genE3ELNS1_11target_archE908ELNS1_3gpuE7ELNS1_3repE0EEENS1_30default_config_static_selectorELNS0_4arch9wavefront6targetE0EEEvT1_ ; -- Begin function _ZN7rocprim17ROCPRIM_400000_NS6detail17trampoline_kernelINS0_14default_configENS1_25partition_config_selectorILNS1_17partition_subalgoE5EyNS0_10empty_typeEbEEZZNS1_14partition_implILS5_5ELb0ES3_mN6thrust23THRUST_200600_302600_NS6detail15normal_iteratorINSA_10device_ptrIyEEEEPS6_NSA_18transform_iteratorINSB_9not_fun_tI7is_trueIyEEENSC_INSD_IbEEEENSA_11use_defaultESO_EENS0_5tupleIJNSA_16discard_iteratorISO_EES6_EEENSQ_IJSG_SG_EEES6_PlJS6_EEE10hipError_tPvRmT3_T4_T5_T6_T7_T9_mT8_P12ihipStream_tbDpT10_ENKUlT_T0_E_clISt17integral_constantIbLb0EES1F_EEDaS1A_S1B_EUlS1A_E_NS1_11comp_targetILNS1_3genE3ELNS1_11target_archE908ELNS1_3gpuE7ELNS1_3repE0EEENS1_30default_config_static_selectorELNS0_4arch9wavefront6targetE0EEEvT1_
	.globl	_ZN7rocprim17ROCPRIM_400000_NS6detail17trampoline_kernelINS0_14default_configENS1_25partition_config_selectorILNS1_17partition_subalgoE5EyNS0_10empty_typeEbEEZZNS1_14partition_implILS5_5ELb0ES3_mN6thrust23THRUST_200600_302600_NS6detail15normal_iteratorINSA_10device_ptrIyEEEEPS6_NSA_18transform_iteratorINSB_9not_fun_tI7is_trueIyEEENSC_INSD_IbEEEENSA_11use_defaultESO_EENS0_5tupleIJNSA_16discard_iteratorISO_EES6_EEENSQ_IJSG_SG_EEES6_PlJS6_EEE10hipError_tPvRmT3_T4_T5_T6_T7_T9_mT8_P12ihipStream_tbDpT10_ENKUlT_T0_E_clISt17integral_constantIbLb0EES1F_EEDaS1A_S1B_EUlS1A_E_NS1_11comp_targetILNS1_3genE3ELNS1_11target_archE908ELNS1_3gpuE7ELNS1_3repE0EEENS1_30default_config_static_selectorELNS0_4arch9wavefront6targetE0EEEvT1_
	.p2align	8
	.type	_ZN7rocprim17ROCPRIM_400000_NS6detail17trampoline_kernelINS0_14default_configENS1_25partition_config_selectorILNS1_17partition_subalgoE5EyNS0_10empty_typeEbEEZZNS1_14partition_implILS5_5ELb0ES3_mN6thrust23THRUST_200600_302600_NS6detail15normal_iteratorINSA_10device_ptrIyEEEEPS6_NSA_18transform_iteratorINSB_9not_fun_tI7is_trueIyEEENSC_INSD_IbEEEENSA_11use_defaultESO_EENS0_5tupleIJNSA_16discard_iteratorISO_EES6_EEENSQ_IJSG_SG_EEES6_PlJS6_EEE10hipError_tPvRmT3_T4_T5_T6_T7_T9_mT8_P12ihipStream_tbDpT10_ENKUlT_T0_E_clISt17integral_constantIbLb0EES1F_EEDaS1A_S1B_EUlS1A_E_NS1_11comp_targetILNS1_3genE3ELNS1_11target_archE908ELNS1_3gpuE7ELNS1_3repE0EEENS1_30default_config_static_selectorELNS0_4arch9wavefront6targetE0EEEvT1_,@function
_ZN7rocprim17ROCPRIM_400000_NS6detail17trampoline_kernelINS0_14default_configENS1_25partition_config_selectorILNS1_17partition_subalgoE5EyNS0_10empty_typeEbEEZZNS1_14partition_implILS5_5ELb0ES3_mN6thrust23THRUST_200600_302600_NS6detail15normal_iteratorINSA_10device_ptrIyEEEEPS6_NSA_18transform_iteratorINSB_9not_fun_tI7is_trueIyEEENSC_INSD_IbEEEENSA_11use_defaultESO_EENS0_5tupleIJNSA_16discard_iteratorISO_EES6_EEENSQ_IJSG_SG_EEES6_PlJS6_EEE10hipError_tPvRmT3_T4_T5_T6_T7_T9_mT8_P12ihipStream_tbDpT10_ENKUlT_T0_E_clISt17integral_constantIbLb0EES1F_EEDaS1A_S1B_EUlS1A_E_NS1_11comp_targetILNS1_3genE3ELNS1_11target_archE908ELNS1_3gpuE7ELNS1_3repE0EEENS1_30default_config_static_selectorELNS0_4arch9wavefront6targetE0EEEvT1_: ; @_ZN7rocprim17ROCPRIM_400000_NS6detail17trampoline_kernelINS0_14default_configENS1_25partition_config_selectorILNS1_17partition_subalgoE5EyNS0_10empty_typeEbEEZZNS1_14partition_implILS5_5ELb0ES3_mN6thrust23THRUST_200600_302600_NS6detail15normal_iteratorINSA_10device_ptrIyEEEEPS6_NSA_18transform_iteratorINSB_9not_fun_tI7is_trueIyEEENSC_INSD_IbEEEENSA_11use_defaultESO_EENS0_5tupleIJNSA_16discard_iteratorISO_EES6_EEENSQ_IJSG_SG_EEES6_PlJS6_EEE10hipError_tPvRmT3_T4_T5_T6_T7_T9_mT8_P12ihipStream_tbDpT10_ENKUlT_T0_E_clISt17integral_constantIbLb0EES1F_EEDaS1A_S1B_EUlS1A_E_NS1_11comp_targetILNS1_3genE3ELNS1_11target_archE908ELNS1_3gpuE7ELNS1_3repE0EEENS1_30default_config_static_selectorELNS0_4arch9wavefront6targetE0EEEvT1_
; %bb.0:
	.section	.rodata,"a",@progbits
	.p2align	6, 0x0
	.amdhsa_kernel _ZN7rocprim17ROCPRIM_400000_NS6detail17trampoline_kernelINS0_14default_configENS1_25partition_config_selectorILNS1_17partition_subalgoE5EyNS0_10empty_typeEbEEZZNS1_14partition_implILS5_5ELb0ES3_mN6thrust23THRUST_200600_302600_NS6detail15normal_iteratorINSA_10device_ptrIyEEEEPS6_NSA_18transform_iteratorINSB_9not_fun_tI7is_trueIyEEENSC_INSD_IbEEEENSA_11use_defaultESO_EENS0_5tupleIJNSA_16discard_iteratorISO_EES6_EEENSQ_IJSG_SG_EEES6_PlJS6_EEE10hipError_tPvRmT3_T4_T5_T6_T7_T9_mT8_P12ihipStream_tbDpT10_ENKUlT_T0_E_clISt17integral_constantIbLb0EES1F_EEDaS1A_S1B_EUlS1A_E_NS1_11comp_targetILNS1_3genE3ELNS1_11target_archE908ELNS1_3gpuE7ELNS1_3repE0EEENS1_30default_config_static_selectorELNS0_4arch9wavefront6targetE0EEEvT1_
		.amdhsa_group_segment_fixed_size 0
		.amdhsa_private_segment_fixed_size 0
		.amdhsa_kernarg_size 128
		.amdhsa_user_sgpr_count 2
		.amdhsa_user_sgpr_dispatch_ptr 0
		.amdhsa_user_sgpr_queue_ptr 0
		.amdhsa_user_sgpr_kernarg_segment_ptr 1
		.amdhsa_user_sgpr_dispatch_id 0
		.amdhsa_user_sgpr_private_segment_size 0
		.amdhsa_wavefront_size32 1
		.amdhsa_uses_dynamic_stack 0
		.amdhsa_enable_private_segment 0
		.amdhsa_system_sgpr_workgroup_id_x 1
		.amdhsa_system_sgpr_workgroup_id_y 0
		.amdhsa_system_sgpr_workgroup_id_z 0
		.amdhsa_system_sgpr_workgroup_info 0
		.amdhsa_system_vgpr_workitem_id 0
		.amdhsa_next_free_vgpr 1
		.amdhsa_next_free_sgpr 1
		.amdhsa_reserve_vcc 0
		.amdhsa_float_round_mode_32 0
		.amdhsa_float_round_mode_16_64 0
		.amdhsa_float_denorm_mode_32 3
		.amdhsa_float_denorm_mode_16_64 3
		.amdhsa_fp16_overflow 0
		.amdhsa_workgroup_processor_mode 1
		.amdhsa_memory_ordered 1
		.amdhsa_forward_progress 1
		.amdhsa_inst_pref_size 0
		.amdhsa_round_robin_scheduling 0
		.amdhsa_exception_fp_ieee_invalid_op 0
		.amdhsa_exception_fp_denorm_src 0
		.amdhsa_exception_fp_ieee_div_zero 0
		.amdhsa_exception_fp_ieee_overflow 0
		.amdhsa_exception_fp_ieee_underflow 0
		.amdhsa_exception_fp_ieee_inexact 0
		.amdhsa_exception_int_div_zero 0
	.end_amdhsa_kernel
	.section	.text._ZN7rocprim17ROCPRIM_400000_NS6detail17trampoline_kernelINS0_14default_configENS1_25partition_config_selectorILNS1_17partition_subalgoE5EyNS0_10empty_typeEbEEZZNS1_14partition_implILS5_5ELb0ES3_mN6thrust23THRUST_200600_302600_NS6detail15normal_iteratorINSA_10device_ptrIyEEEEPS6_NSA_18transform_iteratorINSB_9not_fun_tI7is_trueIyEEENSC_INSD_IbEEEENSA_11use_defaultESO_EENS0_5tupleIJNSA_16discard_iteratorISO_EES6_EEENSQ_IJSG_SG_EEES6_PlJS6_EEE10hipError_tPvRmT3_T4_T5_T6_T7_T9_mT8_P12ihipStream_tbDpT10_ENKUlT_T0_E_clISt17integral_constantIbLb0EES1F_EEDaS1A_S1B_EUlS1A_E_NS1_11comp_targetILNS1_3genE3ELNS1_11target_archE908ELNS1_3gpuE7ELNS1_3repE0EEENS1_30default_config_static_selectorELNS0_4arch9wavefront6targetE0EEEvT1_,"axG",@progbits,_ZN7rocprim17ROCPRIM_400000_NS6detail17trampoline_kernelINS0_14default_configENS1_25partition_config_selectorILNS1_17partition_subalgoE5EyNS0_10empty_typeEbEEZZNS1_14partition_implILS5_5ELb0ES3_mN6thrust23THRUST_200600_302600_NS6detail15normal_iteratorINSA_10device_ptrIyEEEEPS6_NSA_18transform_iteratorINSB_9not_fun_tI7is_trueIyEEENSC_INSD_IbEEEENSA_11use_defaultESO_EENS0_5tupleIJNSA_16discard_iteratorISO_EES6_EEENSQ_IJSG_SG_EEES6_PlJS6_EEE10hipError_tPvRmT3_T4_T5_T6_T7_T9_mT8_P12ihipStream_tbDpT10_ENKUlT_T0_E_clISt17integral_constantIbLb0EES1F_EEDaS1A_S1B_EUlS1A_E_NS1_11comp_targetILNS1_3genE3ELNS1_11target_archE908ELNS1_3gpuE7ELNS1_3repE0EEENS1_30default_config_static_selectorELNS0_4arch9wavefront6targetE0EEEvT1_,comdat
.Lfunc_end2656:
	.size	_ZN7rocprim17ROCPRIM_400000_NS6detail17trampoline_kernelINS0_14default_configENS1_25partition_config_selectorILNS1_17partition_subalgoE5EyNS0_10empty_typeEbEEZZNS1_14partition_implILS5_5ELb0ES3_mN6thrust23THRUST_200600_302600_NS6detail15normal_iteratorINSA_10device_ptrIyEEEEPS6_NSA_18transform_iteratorINSB_9not_fun_tI7is_trueIyEEENSC_INSD_IbEEEENSA_11use_defaultESO_EENS0_5tupleIJNSA_16discard_iteratorISO_EES6_EEENSQ_IJSG_SG_EEES6_PlJS6_EEE10hipError_tPvRmT3_T4_T5_T6_T7_T9_mT8_P12ihipStream_tbDpT10_ENKUlT_T0_E_clISt17integral_constantIbLb0EES1F_EEDaS1A_S1B_EUlS1A_E_NS1_11comp_targetILNS1_3genE3ELNS1_11target_archE908ELNS1_3gpuE7ELNS1_3repE0EEENS1_30default_config_static_selectorELNS0_4arch9wavefront6targetE0EEEvT1_, .Lfunc_end2656-_ZN7rocprim17ROCPRIM_400000_NS6detail17trampoline_kernelINS0_14default_configENS1_25partition_config_selectorILNS1_17partition_subalgoE5EyNS0_10empty_typeEbEEZZNS1_14partition_implILS5_5ELb0ES3_mN6thrust23THRUST_200600_302600_NS6detail15normal_iteratorINSA_10device_ptrIyEEEEPS6_NSA_18transform_iteratorINSB_9not_fun_tI7is_trueIyEEENSC_INSD_IbEEEENSA_11use_defaultESO_EENS0_5tupleIJNSA_16discard_iteratorISO_EES6_EEENSQ_IJSG_SG_EEES6_PlJS6_EEE10hipError_tPvRmT3_T4_T5_T6_T7_T9_mT8_P12ihipStream_tbDpT10_ENKUlT_T0_E_clISt17integral_constantIbLb0EES1F_EEDaS1A_S1B_EUlS1A_E_NS1_11comp_targetILNS1_3genE3ELNS1_11target_archE908ELNS1_3gpuE7ELNS1_3repE0EEENS1_30default_config_static_selectorELNS0_4arch9wavefront6targetE0EEEvT1_
                                        ; -- End function
	.set _ZN7rocprim17ROCPRIM_400000_NS6detail17trampoline_kernelINS0_14default_configENS1_25partition_config_selectorILNS1_17partition_subalgoE5EyNS0_10empty_typeEbEEZZNS1_14partition_implILS5_5ELb0ES3_mN6thrust23THRUST_200600_302600_NS6detail15normal_iteratorINSA_10device_ptrIyEEEEPS6_NSA_18transform_iteratorINSB_9not_fun_tI7is_trueIyEEENSC_INSD_IbEEEENSA_11use_defaultESO_EENS0_5tupleIJNSA_16discard_iteratorISO_EES6_EEENSQ_IJSG_SG_EEES6_PlJS6_EEE10hipError_tPvRmT3_T4_T5_T6_T7_T9_mT8_P12ihipStream_tbDpT10_ENKUlT_T0_E_clISt17integral_constantIbLb0EES1F_EEDaS1A_S1B_EUlS1A_E_NS1_11comp_targetILNS1_3genE3ELNS1_11target_archE908ELNS1_3gpuE7ELNS1_3repE0EEENS1_30default_config_static_selectorELNS0_4arch9wavefront6targetE0EEEvT1_.num_vgpr, 0
	.set _ZN7rocprim17ROCPRIM_400000_NS6detail17trampoline_kernelINS0_14default_configENS1_25partition_config_selectorILNS1_17partition_subalgoE5EyNS0_10empty_typeEbEEZZNS1_14partition_implILS5_5ELb0ES3_mN6thrust23THRUST_200600_302600_NS6detail15normal_iteratorINSA_10device_ptrIyEEEEPS6_NSA_18transform_iteratorINSB_9not_fun_tI7is_trueIyEEENSC_INSD_IbEEEENSA_11use_defaultESO_EENS0_5tupleIJNSA_16discard_iteratorISO_EES6_EEENSQ_IJSG_SG_EEES6_PlJS6_EEE10hipError_tPvRmT3_T4_T5_T6_T7_T9_mT8_P12ihipStream_tbDpT10_ENKUlT_T0_E_clISt17integral_constantIbLb0EES1F_EEDaS1A_S1B_EUlS1A_E_NS1_11comp_targetILNS1_3genE3ELNS1_11target_archE908ELNS1_3gpuE7ELNS1_3repE0EEENS1_30default_config_static_selectorELNS0_4arch9wavefront6targetE0EEEvT1_.num_agpr, 0
	.set _ZN7rocprim17ROCPRIM_400000_NS6detail17trampoline_kernelINS0_14default_configENS1_25partition_config_selectorILNS1_17partition_subalgoE5EyNS0_10empty_typeEbEEZZNS1_14partition_implILS5_5ELb0ES3_mN6thrust23THRUST_200600_302600_NS6detail15normal_iteratorINSA_10device_ptrIyEEEEPS6_NSA_18transform_iteratorINSB_9not_fun_tI7is_trueIyEEENSC_INSD_IbEEEENSA_11use_defaultESO_EENS0_5tupleIJNSA_16discard_iteratorISO_EES6_EEENSQ_IJSG_SG_EEES6_PlJS6_EEE10hipError_tPvRmT3_T4_T5_T6_T7_T9_mT8_P12ihipStream_tbDpT10_ENKUlT_T0_E_clISt17integral_constantIbLb0EES1F_EEDaS1A_S1B_EUlS1A_E_NS1_11comp_targetILNS1_3genE3ELNS1_11target_archE908ELNS1_3gpuE7ELNS1_3repE0EEENS1_30default_config_static_selectorELNS0_4arch9wavefront6targetE0EEEvT1_.numbered_sgpr, 0
	.set _ZN7rocprim17ROCPRIM_400000_NS6detail17trampoline_kernelINS0_14default_configENS1_25partition_config_selectorILNS1_17partition_subalgoE5EyNS0_10empty_typeEbEEZZNS1_14partition_implILS5_5ELb0ES3_mN6thrust23THRUST_200600_302600_NS6detail15normal_iteratorINSA_10device_ptrIyEEEEPS6_NSA_18transform_iteratorINSB_9not_fun_tI7is_trueIyEEENSC_INSD_IbEEEENSA_11use_defaultESO_EENS0_5tupleIJNSA_16discard_iteratorISO_EES6_EEENSQ_IJSG_SG_EEES6_PlJS6_EEE10hipError_tPvRmT3_T4_T5_T6_T7_T9_mT8_P12ihipStream_tbDpT10_ENKUlT_T0_E_clISt17integral_constantIbLb0EES1F_EEDaS1A_S1B_EUlS1A_E_NS1_11comp_targetILNS1_3genE3ELNS1_11target_archE908ELNS1_3gpuE7ELNS1_3repE0EEENS1_30default_config_static_selectorELNS0_4arch9wavefront6targetE0EEEvT1_.num_named_barrier, 0
	.set _ZN7rocprim17ROCPRIM_400000_NS6detail17trampoline_kernelINS0_14default_configENS1_25partition_config_selectorILNS1_17partition_subalgoE5EyNS0_10empty_typeEbEEZZNS1_14partition_implILS5_5ELb0ES3_mN6thrust23THRUST_200600_302600_NS6detail15normal_iteratorINSA_10device_ptrIyEEEEPS6_NSA_18transform_iteratorINSB_9not_fun_tI7is_trueIyEEENSC_INSD_IbEEEENSA_11use_defaultESO_EENS0_5tupleIJNSA_16discard_iteratorISO_EES6_EEENSQ_IJSG_SG_EEES6_PlJS6_EEE10hipError_tPvRmT3_T4_T5_T6_T7_T9_mT8_P12ihipStream_tbDpT10_ENKUlT_T0_E_clISt17integral_constantIbLb0EES1F_EEDaS1A_S1B_EUlS1A_E_NS1_11comp_targetILNS1_3genE3ELNS1_11target_archE908ELNS1_3gpuE7ELNS1_3repE0EEENS1_30default_config_static_selectorELNS0_4arch9wavefront6targetE0EEEvT1_.private_seg_size, 0
	.set _ZN7rocprim17ROCPRIM_400000_NS6detail17trampoline_kernelINS0_14default_configENS1_25partition_config_selectorILNS1_17partition_subalgoE5EyNS0_10empty_typeEbEEZZNS1_14partition_implILS5_5ELb0ES3_mN6thrust23THRUST_200600_302600_NS6detail15normal_iteratorINSA_10device_ptrIyEEEEPS6_NSA_18transform_iteratorINSB_9not_fun_tI7is_trueIyEEENSC_INSD_IbEEEENSA_11use_defaultESO_EENS0_5tupleIJNSA_16discard_iteratorISO_EES6_EEENSQ_IJSG_SG_EEES6_PlJS6_EEE10hipError_tPvRmT3_T4_T5_T6_T7_T9_mT8_P12ihipStream_tbDpT10_ENKUlT_T0_E_clISt17integral_constantIbLb0EES1F_EEDaS1A_S1B_EUlS1A_E_NS1_11comp_targetILNS1_3genE3ELNS1_11target_archE908ELNS1_3gpuE7ELNS1_3repE0EEENS1_30default_config_static_selectorELNS0_4arch9wavefront6targetE0EEEvT1_.uses_vcc, 0
	.set _ZN7rocprim17ROCPRIM_400000_NS6detail17trampoline_kernelINS0_14default_configENS1_25partition_config_selectorILNS1_17partition_subalgoE5EyNS0_10empty_typeEbEEZZNS1_14partition_implILS5_5ELb0ES3_mN6thrust23THRUST_200600_302600_NS6detail15normal_iteratorINSA_10device_ptrIyEEEEPS6_NSA_18transform_iteratorINSB_9not_fun_tI7is_trueIyEEENSC_INSD_IbEEEENSA_11use_defaultESO_EENS0_5tupleIJNSA_16discard_iteratorISO_EES6_EEENSQ_IJSG_SG_EEES6_PlJS6_EEE10hipError_tPvRmT3_T4_T5_T6_T7_T9_mT8_P12ihipStream_tbDpT10_ENKUlT_T0_E_clISt17integral_constantIbLb0EES1F_EEDaS1A_S1B_EUlS1A_E_NS1_11comp_targetILNS1_3genE3ELNS1_11target_archE908ELNS1_3gpuE7ELNS1_3repE0EEENS1_30default_config_static_selectorELNS0_4arch9wavefront6targetE0EEEvT1_.uses_flat_scratch, 0
	.set _ZN7rocprim17ROCPRIM_400000_NS6detail17trampoline_kernelINS0_14default_configENS1_25partition_config_selectorILNS1_17partition_subalgoE5EyNS0_10empty_typeEbEEZZNS1_14partition_implILS5_5ELb0ES3_mN6thrust23THRUST_200600_302600_NS6detail15normal_iteratorINSA_10device_ptrIyEEEEPS6_NSA_18transform_iteratorINSB_9not_fun_tI7is_trueIyEEENSC_INSD_IbEEEENSA_11use_defaultESO_EENS0_5tupleIJNSA_16discard_iteratorISO_EES6_EEENSQ_IJSG_SG_EEES6_PlJS6_EEE10hipError_tPvRmT3_T4_T5_T6_T7_T9_mT8_P12ihipStream_tbDpT10_ENKUlT_T0_E_clISt17integral_constantIbLb0EES1F_EEDaS1A_S1B_EUlS1A_E_NS1_11comp_targetILNS1_3genE3ELNS1_11target_archE908ELNS1_3gpuE7ELNS1_3repE0EEENS1_30default_config_static_selectorELNS0_4arch9wavefront6targetE0EEEvT1_.has_dyn_sized_stack, 0
	.set _ZN7rocprim17ROCPRIM_400000_NS6detail17trampoline_kernelINS0_14default_configENS1_25partition_config_selectorILNS1_17partition_subalgoE5EyNS0_10empty_typeEbEEZZNS1_14partition_implILS5_5ELb0ES3_mN6thrust23THRUST_200600_302600_NS6detail15normal_iteratorINSA_10device_ptrIyEEEEPS6_NSA_18transform_iteratorINSB_9not_fun_tI7is_trueIyEEENSC_INSD_IbEEEENSA_11use_defaultESO_EENS0_5tupleIJNSA_16discard_iteratorISO_EES6_EEENSQ_IJSG_SG_EEES6_PlJS6_EEE10hipError_tPvRmT3_T4_T5_T6_T7_T9_mT8_P12ihipStream_tbDpT10_ENKUlT_T0_E_clISt17integral_constantIbLb0EES1F_EEDaS1A_S1B_EUlS1A_E_NS1_11comp_targetILNS1_3genE3ELNS1_11target_archE908ELNS1_3gpuE7ELNS1_3repE0EEENS1_30default_config_static_selectorELNS0_4arch9wavefront6targetE0EEEvT1_.has_recursion, 0
	.set _ZN7rocprim17ROCPRIM_400000_NS6detail17trampoline_kernelINS0_14default_configENS1_25partition_config_selectorILNS1_17partition_subalgoE5EyNS0_10empty_typeEbEEZZNS1_14partition_implILS5_5ELb0ES3_mN6thrust23THRUST_200600_302600_NS6detail15normal_iteratorINSA_10device_ptrIyEEEEPS6_NSA_18transform_iteratorINSB_9not_fun_tI7is_trueIyEEENSC_INSD_IbEEEENSA_11use_defaultESO_EENS0_5tupleIJNSA_16discard_iteratorISO_EES6_EEENSQ_IJSG_SG_EEES6_PlJS6_EEE10hipError_tPvRmT3_T4_T5_T6_T7_T9_mT8_P12ihipStream_tbDpT10_ENKUlT_T0_E_clISt17integral_constantIbLb0EES1F_EEDaS1A_S1B_EUlS1A_E_NS1_11comp_targetILNS1_3genE3ELNS1_11target_archE908ELNS1_3gpuE7ELNS1_3repE0EEENS1_30default_config_static_selectorELNS0_4arch9wavefront6targetE0EEEvT1_.has_indirect_call, 0
	.section	.AMDGPU.csdata,"",@progbits
; Kernel info:
; codeLenInByte = 0
; TotalNumSgprs: 0
; NumVgprs: 0
; ScratchSize: 0
; MemoryBound: 0
; FloatMode: 240
; IeeeMode: 1
; LDSByteSize: 0 bytes/workgroup (compile time only)
; SGPRBlocks: 0
; VGPRBlocks: 0
; NumSGPRsForWavesPerEU: 1
; NumVGPRsForWavesPerEU: 1
; Occupancy: 16
; WaveLimiterHint : 0
; COMPUTE_PGM_RSRC2:SCRATCH_EN: 0
; COMPUTE_PGM_RSRC2:USER_SGPR: 2
; COMPUTE_PGM_RSRC2:TRAP_HANDLER: 0
; COMPUTE_PGM_RSRC2:TGID_X_EN: 1
; COMPUTE_PGM_RSRC2:TGID_Y_EN: 0
; COMPUTE_PGM_RSRC2:TGID_Z_EN: 0
; COMPUTE_PGM_RSRC2:TIDIG_COMP_CNT: 0
	.section	.text._ZN7rocprim17ROCPRIM_400000_NS6detail17trampoline_kernelINS0_14default_configENS1_25partition_config_selectorILNS1_17partition_subalgoE5EyNS0_10empty_typeEbEEZZNS1_14partition_implILS5_5ELb0ES3_mN6thrust23THRUST_200600_302600_NS6detail15normal_iteratorINSA_10device_ptrIyEEEEPS6_NSA_18transform_iteratorINSB_9not_fun_tI7is_trueIyEEENSC_INSD_IbEEEENSA_11use_defaultESO_EENS0_5tupleIJNSA_16discard_iteratorISO_EES6_EEENSQ_IJSG_SG_EEES6_PlJS6_EEE10hipError_tPvRmT3_T4_T5_T6_T7_T9_mT8_P12ihipStream_tbDpT10_ENKUlT_T0_E_clISt17integral_constantIbLb0EES1F_EEDaS1A_S1B_EUlS1A_E_NS1_11comp_targetILNS1_3genE2ELNS1_11target_archE906ELNS1_3gpuE6ELNS1_3repE0EEENS1_30default_config_static_selectorELNS0_4arch9wavefront6targetE0EEEvT1_,"axG",@progbits,_ZN7rocprim17ROCPRIM_400000_NS6detail17trampoline_kernelINS0_14default_configENS1_25partition_config_selectorILNS1_17partition_subalgoE5EyNS0_10empty_typeEbEEZZNS1_14partition_implILS5_5ELb0ES3_mN6thrust23THRUST_200600_302600_NS6detail15normal_iteratorINSA_10device_ptrIyEEEEPS6_NSA_18transform_iteratorINSB_9not_fun_tI7is_trueIyEEENSC_INSD_IbEEEENSA_11use_defaultESO_EENS0_5tupleIJNSA_16discard_iteratorISO_EES6_EEENSQ_IJSG_SG_EEES6_PlJS6_EEE10hipError_tPvRmT3_T4_T5_T6_T7_T9_mT8_P12ihipStream_tbDpT10_ENKUlT_T0_E_clISt17integral_constantIbLb0EES1F_EEDaS1A_S1B_EUlS1A_E_NS1_11comp_targetILNS1_3genE2ELNS1_11target_archE906ELNS1_3gpuE6ELNS1_3repE0EEENS1_30default_config_static_selectorELNS0_4arch9wavefront6targetE0EEEvT1_,comdat
	.protected	_ZN7rocprim17ROCPRIM_400000_NS6detail17trampoline_kernelINS0_14default_configENS1_25partition_config_selectorILNS1_17partition_subalgoE5EyNS0_10empty_typeEbEEZZNS1_14partition_implILS5_5ELb0ES3_mN6thrust23THRUST_200600_302600_NS6detail15normal_iteratorINSA_10device_ptrIyEEEEPS6_NSA_18transform_iteratorINSB_9not_fun_tI7is_trueIyEEENSC_INSD_IbEEEENSA_11use_defaultESO_EENS0_5tupleIJNSA_16discard_iteratorISO_EES6_EEENSQ_IJSG_SG_EEES6_PlJS6_EEE10hipError_tPvRmT3_T4_T5_T6_T7_T9_mT8_P12ihipStream_tbDpT10_ENKUlT_T0_E_clISt17integral_constantIbLb0EES1F_EEDaS1A_S1B_EUlS1A_E_NS1_11comp_targetILNS1_3genE2ELNS1_11target_archE906ELNS1_3gpuE6ELNS1_3repE0EEENS1_30default_config_static_selectorELNS0_4arch9wavefront6targetE0EEEvT1_ ; -- Begin function _ZN7rocprim17ROCPRIM_400000_NS6detail17trampoline_kernelINS0_14default_configENS1_25partition_config_selectorILNS1_17partition_subalgoE5EyNS0_10empty_typeEbEEZZNS1_14partition_implILS5_5ELb0ES3_mN6thrust23THRUST_200600_302600_NS6detail15normal_iteratorINSA_10device_ptrIyEEEEPS6_NSA_18transform_iteratorINSB_9not_fun_tI7is_trueIyEEENSC_INSD_IbEEEENSA_11use_defaultESO_EENS0_5tupleIJNSA_16discard_iteratorISO_EES6_EEENSQ_IJSG_SG_EEES6_PlJS6_EEE10hipError_tPvRmT3_T4_T5_T6_T7_T9_mT8_P12ihipStream_tbDpT10_ENKUlT_T0_E_clISt17integral_constantIbLb0EES1F_EEDaS1A_S1B_EUlS1A_E_NS1_11comp_targetILNS1_3genE2ELNS1_11target_archE906ELNS1_3gpuE6ELNS1_3repE0EEENS1_30default_config_static_selectorELNS0_4arch9wavefront6targetE0EEEvT1_
	.globl	_ZN7rocprim17ROCPRIM_400000_NS6detail17trampoline_kernelINS0_14default_configENS1_25partition_config_selectorILNS1_17partition_subalgoE5EyNS0_10empty_typeEbEEZZNS1_14partition_implILS5_5ELb0ES3_mN6thrust23THRUST_200600_302600_NS6detail15normal_iteratorINSA_10device_ptrIyEEEEPS6_NSA_18transform_iteratorINSB_9not_fun_tI7is_trueIyEEENSC_INSD_IbEEEENSA_11use_defaultESO_EENS0_5tupleIJNSA_16discard_iteratorISO_EES6_EEENSQ_IJSG_SG_EEES6_PlJS6_EEE10hipError_tPvRmT3_T4_T5_T6_T7_T9_mT8_P12ihipStream_tbDpT10_ENKUlT_T0_E_clISt17integral_constantIbLb0EES1F_EEDaS1A_S1B_EUlS1A_E_NS1_11comp_targetILNS1_3genE2ELNS1_11target_archE906ELNS1_3gpuE6ELNS1_3repE0EEENS1_30default_config_static_selectorELNS0_4arch9wavefront6targetE0EEEvT1_
	.p2align	8
	.type	_ZN7rocprim17ROCPRIM_400000_NS6detail17trampoline_kernelINS0_14default_configENS1_25partition_config_selectorILNS1_17partition_subalgoE5EyNS0_10empty_typeEbEEZZNS1_14partition_implILS5_5ELb0ES3_mN6thrust23THRUST_200600_302600_NS6detail15normal_iteratorINSA_10device_ptrIyEEEEPS6_NSA_18transform_iteratorINSB_9not_fun_tI7is_trueIyEEENSC_INSD_IbEEEENSA_11use_defaultESO_EENS0_5tupleIJNSA_16discard_iteratorISO_EES6_EEENSQ_IJSG_SG_EEES6_PlJS6_EEE10hipError_tPvRmT3_T4_T5_T6_T7_T9_mT8_P12ihipStream_tbDpT10_ENKUlT_T0_E_clISt17integral_constantIbLb0EES1F_EEDaS1A_S1B_EUlS1A_E_NS1_11comp_targetILNS1_3genE2ELNS1_11target_archE906ELNS1_3gpuE6ELNS1_3repE0EEENS1_30default_config_static_selectorELNS0_4arch9wavefront6targetE0EEEvT1_,@function
_ZN7rocprim17ROCPRIM_400000_NS6detail17trampoline_kernelINS0_14default_configENS1_25partition_config_selectorILNS1_17partition_subalgoE5EyNS0_10empty_typeEbEEZZNS1_14partition_implILS5_5ELb0ES3_mN6thrust23THRUST_200600_302600_NS6detail15normal_iteratorINSA_10device_ptrIyEEEEPS6_NSA_18transform_iteratorINSB_9not_fun_tI7is_trueIyEEENSC_INSD_IbEEEENSA_11use_defaultESO_EENS0_5tupleIJNSA_16discard_iteratorISO_EES6_EEENSQ_IJSG_SG_EEES6_PlJS6_EEE10hipError_tPvRmT3_T4_T5_T6_T7_T9_mT8_P12ihipStream_tbDpT10_ENKUlT_T0_E_clISt17integral_constantIbLb0EES1F_EEDaS1A_S1B_EUlS1A_E_NS1_11comp_targetILNS1_3genE2ELNS1_11target_archE906ELNS1_3gpuE6ELNS1_3repE0EEENS1_30default_config_static_selectorELNS0_4arch9wavefront6targetE0EEEvT1_: ; @_ZN7rocprim17ROCPRIM_400000_NS6detail17trampoline_kernelINS0_14default_configENS1_25partition_config_selectorILNS1_17partition_subalgoE5EyNS0_10empty_typeEbEEZZNS1_14partition_implILS5_5ELb0ES3_mN6thrust23THRUST_200600_302600_NS6detail15normal_iteratorINSA_10device_ptrIyEEEEPS6_NSA_18transform_iteratorINSB_9not_fun_tI7is_trueIyEEENSC_INSD_IbEEEENSA_11use_defaultESO_EENS0_5tupleIJNSA_16discard_iteratorISO_EES6_EEENSQ_IJSG_SG_EEES6_PlJS6_EEE10hipError_tPvRmT3_T4_T5_T6_T7_T9_mT8_P12ihipStream_tbDpT10_ENKUlT_T0_E_clISt17integral_constantIbLb0EES1F_EEDaS1A_S1B_EUlS1A_E_NS1_11comp_targetILNS1_3genE2ELNS1_11target_archE906ELNS1_3gpuE6ELNS1_3repE0EEENS1_30default_config_static_selectorELNS0_4arch9wavefront6targetE0EEEvT1_
; %bb.0:
	.section	.rodata,"a",@progbits
	.p2align	6, 0x0
	.amdhsa_kernel _ZN7rocprim17ROCPRIM_400000_NS6detail17trampoline_kernelINS0_14default_configENS1_25partition_config_selectorILNS1_17partition_subalgoE5EyNS0_10empty_typeEbEEZZNS1_14partition_implILS5_5ELb0ES3_mN6thrust23THRUST_200600_302600_NS6detail15normal_iteratorINSA_10device_ptrIyEEEEPS6_NSA_18transform_iteratorINSB_9not_fun_tI7is_trueIyEEENSC_INSD_IbEEEENSA_11use_defaultESO_EENS0_5tupleIJNSA_16discard_iteratorISO_EES6_EEENSQ_IJSG_SG_EEES6_PlJS6_EEE10hipError_tPvRmT3_T4_T5_T6_T7_T9_mT8_P12ihipStream_tbDpT10_ENKUlT_T0_E_clISt17integral_constantIbLb0EES1F_EEDaS1A_S1B_EUlS1A_E_NS1_11comp_targetILNS1_3genE2ELNS1_11target_archE906ELNS1_3gpuE6ELNS1_3repE0EEENS1_30default_config_static_selectorELNS0_4arch9wavefront6targetE0EEEvT1_
		.amdhsa_group_segment_fixed_size 0
		.amdhsa_private_segment_fixed_size 0
		.amdhsa_kernarg_size 128
		.amdhsa_user_sgpr_count 2
		.amdhsa_user_sgpr_dispatch_ptr 0
		.amdhsa_user_sgpr_queue_ptr 0
		.amdhsa_user_sgpr_kernarg_segment_ptr 1
		.amdhsa_user_sgpr_dispatch_id 0
		.amdhsa_user_sgpr_private_segment_size 0
		.amdhsa_wavefront_size32 1
		.amdhsa_uses_dynamic_stack 0
		.amdhsa_enable_private_segment 0
		.amdhsa_system_sgpr_workgroup_id_x 1
		.amdhsa_system_sgpr_workgroup_id_y 0
		.amdhsa_system_sgpr_workgroup_id_z 0
		.amdhsa_system_sgpr_workgroup_info 0
		.amdhsa_system_vgpr_workitem_id 0
		.amdhsa_next_free_vgpr 1
		.amdhsa_next_free_sgpr 1
		.amdhsa_reserve_vcc 0
		.amdhsa_float_round_mode_32 0
		.amdhsa_float_round_mode_16_64 0
		.amdhsa_float_denorm_mode_32 3
		.amdhsa_float_denorm_mode_16_64 3
		.amdhsa_fp16_overflow 0
		.amdhsa_workgroup_processor_mode 1
		.amdhsa_memory_ordered 1
		.amdhsa_forward_progress 1
		.amdhsa_inst_pref_size 0
		.amdhsa_round_robin_scheduling 0
		.amdhsa_exception_fp_ieee_invalid_op 0
		.amdhsa_exception_fp_denorm_src 0
		.amdhsa_exception_fp_ieee_div_zero 0
		.amdhsa_exception_fp_ieee_overflow 0
		.amdhsa_exception_fp_ieee_underflow 0
		.amdhsa_exception_fp_ieee_inexact 0
		.amdhsa_exception_int_div_zero 0
	.end_amdhsa_kernel
	.section	.text._ZN7rocprim17ROCPRIM_400000_NS6detail17trampoline_kernelINS0_14default_configENS1_25partition_config_selectorILNS1_17partition_subalgoE5EyNS0_10empty_typeEbEEZZNS1_14partition_implILS5_5ELb0ES3_mN6thrust23THRUST_200600_302600_NS6detail15normal_iteratorINSA_10device_ptrIyEEEEPS6_NSA_18transform_iteratorINSB_9not_fun_tI7is_trueIyEEENSC_INSD_IbEEEENSA_11use_defaultESO_EENS0_5tupleIJNSA_16discard_iteratorISO_EES6_EEENSQ_IJSG_SG_EEES6_PlJS6_EEE10hipError_tPvRmT3_T4_T5_T6_T7_T9_mT8_P12ihipStream_tbDpT10_ENKUlT_T0_E_clISt17integral_constantIbLb0EES1F_EEDaS1A_S1B_EUlS1A_E_NS1_11comp_targetILNS1_3genE2ELNS1_11target_archE906ELNS1_3gpuE6ELNS1_3repE0EEENS1_30default_config_static_selectorELNS0_4arch9wavefront6targetE0EEEvT1_,"axG",@progbits,_ZN7rocprim17ROCPRIM_400000_NS6detail17trampoline_kernelINS0_14default_configENS1_25partition_config_selectorILNS1_17partition_subalgoE5EyNS0_10empty_typeEbEEZZNS1_14partition_implILS5_5ELb0ES3_mN6thrust23THRUST_200600_302600_NS6detail15normal_iteratorINSA_10device_ptrIyEEEEPS6_NSA_18transform_iteratorINSB_9not_fun_tI7is_trueIyEEENSC_INSD_IbEEEENSA_11use_defaultESO_EENS0_5tupleIJNSA_16discard_iteratorISO_EES6_EEENSQ_IJSG_SG_EEES6_PlJS6_EEE10hipError_tPvRmT3_T4_T5_T6_T7_T9_mT8_P12ihipStream_tbDpT10_ENKUlT_T0_E_clISt17integral_constantIbLb0EES1F_EEDaS1A_S1B_EUlS1A_E_NS1_11comp_targetILNS1_3genE2ELNS1_11target_archE906ELNS1_3gpuE6ELNS1_3repE0EEENS1_30default_config_static_selectorELNS0_4arch9wavefront6targetE0EEEvT1_,comdat
.Lfunc_end2657:
	.size	_ZN7rocprim17ROCPRIM_400000_NS6detail17trampoline_kernelINS0_14default_configENS1_25partition_config_selectorILNS1_17partition_subalgoE5EyNS0_10empty_typeEbEEZZNS1_14partition_implILS5_5ELb0ES3_mN6thrust23THRUST_200600_302600_NS6detail15normal_iteratorINSA_10device_ptrIyEEEEPS6_NSA_18transform_iteratorINSB_9not_fun_tI7is_trueIyEEENSC_INSD_IbEEEENSA_11use_defaultESO_EENS0_5tupleIJNSA_16discard_iteratorISO_EES6_EEENSQ_IJSG_SG_EEES6_PlJS6_EEE10hipError_tPvRmT3_T4_T5_T6_T7_T9_mT8_P12ihipStream_tbDpT10_ENKUlT_T0_E_clISt17integral_constantIbLb0EES1F_EEDaS1A_S1B_EUlS1A_E_NS1_11comp_targetILNS1_3genE2ELNS1_11target_archE906ELNS1_3gpuE6ELNS1_3repE0EEENS1_30default_config_static_selectorELNS0_4arch9wavefront6targetE0EEEvT1_, .Lfunc_end2657-_ZN7rocprim17ROCPRIM_400000_NS6detail17trampoline_kernelINS0_14default_configENS1_25partition_config_selectorILNS1_17partition_subalgoE5EyNS0_10empty_typeEbEEZZNS1_14partition_implILS5_5ELb0ES3_mN6thrust23THRUST_200600_302600_NS6detail15normal_iteratorINSA_10device_ptrIyEEEEPS6_NSA_18transform_iteratorINSB_9not_fun_tI7is_trueIyEEENSC_INSD_IbEEEENSA_11use_defaultESO_EENS0_5tupleIJNSA_16discard_iteratorISO_EES6_EEENSQ_IJSG_SG_EEES6_PlJS6_EEE10hipError_tPvRmT3_T4_T5_T6_T7_T9_mT8_P12ihipStream_tbDpT10_ENKUlT_T0_E_clISt17integral_constantIbLb0EES1F_EEDaS1A_S1B_EUlS1A_E_NS1_11comp_targetILNS1_3genE2ELNS1_11target_archE906ELNS1_3gpuE6ELNS1_3repE0EEENS1_30default_config_static_selectorELNS0_4arch9wavefront6targetE0EEEvT1_
                                        ; -- End function
	.set _ZN7rocprim17ROCPRIM_400000_NS6detail17trampoline_kernelINS0_14default_configENS1_25partition_config_selectorILNS1_17partition_subalgoE5EyNS0_10empty_typeEbEEZZNS1_14partition_implILS5_5ELb0ES3_mN6thrust23THRUST_200600_302600_NS6detail15normal_iteratorINSA_10device_ptrIyEEEEPS6_NSA_18transform_iteratorINSB_9not_fun_tI7is_trueIyEEENSC_INSD_IbEEEENSA_11use_defaultESO_EENS0_5tupleIJNSA_16discard_iteratorISO_EES6_EEENSQ_IJSG_SG_EEES6_PlJS6_EEE10hipError_tPvRmT3_T4_T5_T6_T7_T9_mT8_P12ihipStream_tbDpT10_ENKUlT_T0_E_clISt17integral_constantIbLb0EES1F_EEDaS1A_S1B_EUlS1A_E_NS1_11comp_targetILNS1_3genE2ELNS1_11target_archE906ELNS1_3gpuE6ELNS1_3repE0EEENS1_30default_config_static_selectorELNS0_4arch9wavefront6targetE0EEEvT1_.num_vgpr, 0
	.set _ZN7rocprim17ROCPRIM_400000_NS6detail17trampoline_kernelINS0_14default_configENS1_25partition_config_selectorILNS1_17partition_subalgoE5EyNS0_10empty_typeEbEEZZNS1_14partition_implILS5_5ELb0ES3_mN6thrust23THRUST_200600_302600_NS6detail15normal_iteratorINSA_10device_ptrIyEEEEPS6_NSA_18transform_iteratorINSB_9not_fun_tI7is_trueIyEEENSC_INSD_IbEEEENSA_11use_defaultESO_EENS0_5tupleIJNSA_16discard_iteratorISO_EES6_EEENSQ_IJSG_SG_EEES6_PlJS6_EEE10hipError_tPvRmT3_T4_T5_T6_T7_T9_mT8_P12ihipStream_tbDpT10_ENKUlT_T0_E_clISt17integral_constantIbLb0EES1F_EEDaS1A_S1B_EUlS1A_E_NS1_11comp_targetILNS1_3genE2ELNS1_11target_archE906ELNS1_3gpuE6ELNS1_3repE0EEENS1_30default_config_static_selectorELNS0_4arch9wavefront6targetE0EEEvT1_.num_agpr, 0
	.set _ZN7rocprim17ROCPRIM_400000_NS6detail17trampoline_kernelINS0_14default_configENS1_25partition_config_selectorILNS1_17partition_subalgoE5EyNS0_10empty_typeEbEEZZNS1_14partition_implILS5_5ELb0ES3_mN6thrust23THRUST_200600_302600_NS6detail15normal_iteratorINSA_10device_ptrIyEEEEPS6_NSA_18transform_iteratorINSB_9not_fun_tI7is_trueIyEEENSC_INSD_IbEEEENSA_11use_defaultESO_EENS0_5tupleIJNSA_16discard_iteratorISO_EES6_EEENSQ_IJSG_SG_EEES6_PlJS6_EEE10hipError_tPvRmT3_T4_T5_T6_T7_T9_mT8_P12ihipStream_tbDpT10_ENKUlT_T0_E_clISt17integral_constantIbLb0EES1F_EEDaS1A_S1B_EUlS1A_E_NS1_11comp_targetILNS1_3genE2ELNS1_11target_archE906ELNS1_3gpuE6ELNS1_3repE0EEENS1_30default_config_static_selectorELNS0_4arch9wavefront6targetE0EEEvT1_.numbered_sgpr, 0
	.set _ZN7rocprim17ROCPRIM_400000_NS6detail17trampoline_kernelINS0_14default_configENS1_25partition_config_selectorILNS1_17partition_subalgoE5EyNS0_10empty_typeEbEEZZNS1_14partition_implILS5_5ELb0ES3_mN6thrust23THRUST_200600_302600_NS6detail15normal_iteratorINSA_10device_ptrIyEEEEPS6_NSA_18transform_iteratorINSB_9not_fun_tI7is_trueIyEEENSC_INSD_IbEEEENSA_11use_defaultESO_EENS0_5tupleIJNSA_16discard_iteratorISO_EES6_EEENSQ_IJSG_SG_EEES6_PlJS6_EEE10hipError_tPvRmT3_T4_T5_T6_T7_T9_mT8_P12ihipStream_tbDpT10_ENKUlT_T0_E_clISt17integral_constantIbLb0EES1F_EEDaS1A_S1B_EUlS1A_E_NS1_11comp_targetILNS1_3genE2ELNS1_11target_archE906ELNS1_3gpuE6ELNS1_3repE0EEENS1_30default_config_static_selectorELNS0_4arch9wavefront6targetE0EEEvT1_.num_named_barrier, 0
	.set _ZN7rocprim17ROCPRIM_400000_NS6detail17trampoline_kernelINS0_14default_configENS1_25partition_config_selectorILNS1_17partition_subalgoE5EyNS0_10empty_typeEbEEZZNS1_14partition_implILS5_5ELb0ES3_mN6thrust23THRUST_200600_302600_NS6detail15normal_iteratorINSA_10device_ptrIyEEEEPS6_NSA_18transform_iteratorINSB_9not_fun_tI7is_trueIyEEENSC_INSD_IbEEEENSA_11use_defaultESO_EENS0_5tupleIJNSA_16discard_iteratorISO_EES6_EEENSQ_IJSG_SG_EEES6_PlJS6_EEE10hipError_tPvRmT3_T4_T5_T6_T7_T9_mT8_P12ihipStream_tbDpT10_ENKUlT_T0_E_clISt17integral_constantIbLb0EES1F_EEDaS1A_S1B_EUlS1A_E_NS1_11comp_targetILNS1_3genE2ELNS1_11target_archE906ELNS1_3gpuE6ELNS1_3repE0EEENS1_30default_config_static_selectorELNS0_4arch9wavefront6targetE0EEEvT1_.private_seg_size, 0
	.set _ZN7rocprim17ROCPRIM_400000_NS6detail17trampoline_kernelINS0_14default_configENS1_25partition_config_selectorILNS1_17partition_subalgoE5EyNS0_10empty_typeEbEEZZNS1_14partition_implILS5_5ELb0ES3_mN6thrust23THRUST_200600_302600_NS6detail15normal_iteratorINSA_10device_ptrIyEEEEPS6_NSA_18transform_iteratorINSB_9not_fun_tI7is_trueIyEEENSC_INSD_IbEEEENSA_11use_defaultESO_EENS0_5tupleIJNSA_16discard_iteratorISO_EES6_EEENSQ_IJSG_SG_EEES6_PlJS6_EEE10hipError_tPvRmT3_T4_T5_T6_T7_T9_mT8_P12ihipStream_tbDpT10_ENKUlT_T0_E_clISt17integral_constantIbLb0EES1F_EEDaS1A_S1B_EUlS1A_E_NS1_11comp_targetILNS1_3genE2ELNS1_11target_archE906ELNS1_3gpuE6ELNS1_3repE0EEENS1_30default_config_static_selectorELNS0_4arch9wavefront6targetE0EEEvT1_.uses_vcc, 0
	.set _ZN7rocprim17ROCPRIM_400000_NS6detail17trampoline_kernelINS0_14default_configENS1_25partition_config_selectorILNS1_17partition_subalgoE5EyNS0_10empty_typeEbEEZZNS1_14partition_implILS5_5ELb0ES3_mN6thrust23THRUST_200600_302600_NS6detail15normal_iteratorINSA_10device_ptrIyEEEEPS6_NSA_18transform_iteratorINSB_9not_fun_tI7is_trueIyEEENSC_INSD_IbEEEENSA_11use_defaultESO_EENS0_5tupleIJNSA_16discard_iteratorISO_EES6_EEENSQ_IJSG_SG_EEES6_PlJS6_EEE10hipError_tPvRmT3_T4_T5_T6_T7_T9_mT8_P12ihipStream_tbDpT10_ENKUlT_T0_E_clISt17integral_constantIbLb0EES1F_EEDaS1A_S1B_EUlS1A_E_NS1_11comp_targetILNS1_3genE2ELNS1_11target_archE906ELNS1_3gpuE6ELNS1_3repE0EEENS1_30default_config_static_selectorELNS0_4arch9wavefront6targetE0EEEvT1_.uses_flat_scratch, 0
	.set _ZN7rocprim17ROCPRIM_400000_NS6detail17trampoline_kernelINS0_14default_configENS1_25partition_config_selectorILNS1_17partition_subalgoE5EyNS0_10empty_typeEbEEZZNS1_14partition_implILS5_5ELb0ES3_mN6thrust23THRUST_200600_302600_NS6detail15normal_iteratorINSA_10device_ptrIyEEEEPS6_NSA_18transform_iteratorINSB_9not_fun_tI7is_trueIyEEENSC_INSD_IbEEEENSA_11use_defaultESO_EENS0_5tupleIJNSA_16discard_iteratorISO_EES6_EEENSQ_IJSG_SG_EEES6_PlJS6_EEE10hipError_tPvRmT3_T4_T5_T6_T7_T9_mT8_P12ihipStream_tbDpT10_ENKUlT_T0_E_clISt17integral_constantIbLb0EES1F_EEDaS1A_S1B_EUlS1A_E_NS1_11comp_targetILNS1_3genE2ELNS1_11target_archE906ELNS1_3gpuE6ELNS1_3repE0EEENS1_30default_config_static_selectorELNS0_4arch9wavefront6targetE0EEEvT1_.has_dyn_sized_stack, 0
	.set _ZN7rocprim17ROCPRIM_400000_NS6detail17trampoline_kernelINS0_14default_configENS1_25partition_config_selectorILNS1_17partition_subalgoE5EyNS0_10empty_typeEbEEZZNS1_14partition_implILS5_5ELb0ES3_mN6thrust23THRUST_200600_302600_NS6detail15normal_iteratorINSA_10device_ptrIyEEEEPS6_NSA_18transform_iteratorINSB_9not_fun_tI7is_trueIyEEENSC_INSD_IbEEEENSA_11use_defaultESO_EENS0_5tupleIJNSA_16discard_iteratorISO_EES6_EEENSQ_IJSG_SG_EEES6_PlJS6_EEE10hipError_tPvRmT3_T4_T5_T6_T7_T9_mT8_P12ihipStream_tbDpT10_ENKUlT_T0_E_clISt17integral_constantIbLb0EES1F_EEDaS1A_S1B_EUlS1A_E_NS1_11comp_targetILNS1_3genE2ELNS1_11target_archE906ELNS1_3gpuE6ELNS1_3repE0EEENS1_30default_config_static_selectorELNS0_4arch9wavefront6targetE0EEEvT1_.has_recursion, 0
	.set _ZN7rocprim17ROCPRIM_400000_NS6detail17trampoline_kernelINS0_14default_configENS1_25partition_config_selectorILNS1_17partition_subalgoE5EyNS0_10empty_typeEbEEZZNS1_14partition_implILS5_5ELb0ES3_mN6thrust23THRUST_200600_302600_NS6detail15normal_iteratorINSA_10device_ptrIyEEEEPS6_NSA_18transform_iteratorINSB_9not_fun_tI7is_trueIyEEENSC_INSD_IbEEEENSA_11use_defaultESO_EENS0_5tupleIJNSA_16discard_iteratorISO_EES6_EEENSQ_IJSG_SG_EEES6_PlJS6_EEE10hipError_tPvRmT3_T4_T5_T6_T7_T9_mT8_P12ihipStream_tbDpT10_ENKUlT_T0_E_clISt17integral_constantIbLb0EES1F_EEDaS1A_S1B_EUlS1A_E_NS1_11comp_targetILNS1_3genE2ELNS1_11target_archE906ELNS1_3gpuE6ELNS1_3repE0EEENS1_30default_config_static_selectorELNS0_4arch9wavefront6targetE0EEEvT1_.has_indirect_call, 0
	.section	.AMDGPU.csdata,"",@progbits
; Kernel info:
; codeLenInByte = 0
; TotalNumSgprs: 0
; NumVgprs: 0
; ScratchSize: 0
; MemoryBound: 0
; FloatMode: 240
; IeeeMode: 1
; LDSByteSize: 0 bytes/workgroup (compile time only)
; SGPRBlocks: 0
; VGPRBlocks: 0
; NumSGPRsForWavesPerEU: 1
; NumVGPRsForWavesPerEU: 1
; Occupancy: 16
; WaveLimiterHint : 0
; COMPUTE_PGM_RSRC2:SCRATCH_EN: 0
; COMPUTE_PGM_RSRC2:USER_SGPR: 2
; COMPUTE_PGM_RSRC2:TRAP_HANDLER: 0
; COMPUTE_PGM_RSRC2:TGID_X_EN: 1
; COMPUTE_PGM_RSRC2:TGID_Y_EN: 0
; COMPUTE_PGM_RSRC2:TGID_Z_EN: 0
; COMPUTE_PGM_RSRC2:TIDIG_COMP_CNT: 0
	.section	.text._ZN7rocprim17ROCPRIM_400000_NS6detail17trampoline_kernelINS0_14default_configENS1_25partition_config_selectorILNS1_17partition_subalgoE5EyNS0_10empty_typeEbEEZZNS1_14partition_implILS5_5ELb0ES3_mN6thrust23THRUST_200600_302600_NS6detail15normal_iteratorINSA_10device_ptrIyEEEEPS6_NSA_18transform_iteratorINSB_9not_fun_tI7is_trueIyEEENSC_INSD_IbEEEENSA_11use_defaultESO_EENS0_5tupleIJNSA_16discard_iteratorISO_EES6_EEENSQ_IJSG_SG_EEES6_PlJS6_EEE10hipError_tPvRmT3_T4_T5_T6_T7_T9_mT8_P12ihipStream_tbDpT10_ENKUlT_T0_E_clISt17integral_constantIbLb0EES1F_EEDaS1A_S1B_EUlS1A_E_NS1_11comp_targetILNS1_3genE10ELNS1_11target_archE1200ELNS1_3gpuE4ELNS1_3repE0EEENS1_30default_config_static_selectorELNS0_4arch9wavefront6targetE0EEEvT1_,"axG",@progbits,_ZN7rocprim17ROCPRIM_400000_NS6detail17trampoline_kernelINS0_14default_configENS1_25partition_config_selectorILNS1_17partition_subalgoE5EyNS0_10empty_typeEbEEZZNS1_14partition_implILS5_5ELb0ES3_mN6thrust23THRUST_200600_302600_NS6detail15normal_iteratorINSA_10device_ptrIyEEEEPS6_NSA_18transform_iteratorINSB_9not_fun_tI7is_trueIyEEENSC_INSD_IbEEEENSA_11use_defaultESO_EENS0_5tupleIJNSA_16discard_iteratorISO_EES6_EEENSQ_IJSG_SG_EEES6_PlJS6_EEE10hipError_tPvRmT3_T4_T5_T6_T7_T9_mT8_P12ihipStream_tbDpT10_ENKUlT_T0_E_clISt17integral_constantIbLb0EES1F_EEDaS1A_S1B_EUlS1A_E_NS1_11comp_targetILNS1_3genE10ELNS1_11target_archE1200ELNS1_3gpuE4ELNS1_3repE0EEENS1_30default_config_static_selectorELNS0_4arch9wavefront6targetE0EEEvT1_,comdat
	.protected	_ZN7rocprim17ROCPRIM_400000_NS6detail17trampoline_kernelINS0_14default_configENS1_25partition_config_selectorILNS1_17partition_subalgoE5EyNS0_10empty_typeEbEEZZNS1_14partition_implILS5_5ELb0ES3_mN6thrust23THRUST_200600_302600_NS6detail15normal_iteratorINSA_10device_ptrIyEEEEPS6_NSA_18transform_iteratorINSB_9not_fun_tI7is_trueIyEEENSC_INSD_IbEEEENSA_11use_defaultESO_EENS0_5tupleIJNSA_16discard_iteratorISO_EES6_EEENSQ_IJSG_SG_EEES6_PlJS6_EEE10hipError_tPvRmT3_T4_T5_T6_T7_T9_mT8_P12ihipStream_tbDpT10_ENKUlT_T0_E_clISt17integral_constantIbLb0EES1F_EEDaS1A_S1B_EUlS1A_E_NS1_11comp_targetILNS1_3genE10ELNS1_11target_archE1200ELNS1_3gpuE4ELNS1_3repE0EEENS1_30default_config_static_selectorELNS0_4arch9wavefront6targetE0EEEvT1_ ; -- Begin function _ZN7rocprim17ROCPRIM_400000_NS6detail17trampoline_kernelINS0_14default_configENS1_25partition_config_selectorILNS1_17partition_subalgoE5EyNS0_10empty_typeEbEEZZNS1_14partition_implILS5_5ELb0ES3_mN6thrust23THRUST_200600_302600_NS6detail15normal_iteratorINSA_10device_ptrIyEEEEPS6_NSA_18transform_iteratorINSB_9not_fun_tI7is_trueIyEEENSC_INSD_IbEEEENSA_11use_defaultESO_EENS0_5tupleIJNSA_16discard_iteratorISO_EES6_EEENSQ_IJSG_SG_EEES6_PlJS6_EEE10hipError_tPvRmT3_T4_T5_T6_T7_T9_mT8_P12ihipStream_tbDpT10_ENKUlT_T0_E_clISt17integral_constantIbLb0EES1F_EEDaS1A_S1B_EUlS1A_E_NS1_11comp_targetILNS1_3genE10ELNS1_11target_archE1200ELNS1_3gpuE4ELNS1_3repE0EEENS1_30default_config_static_selectorELNS0_4arch9wavefront6targetE0EEEvT1_
	.globl	_ZN7rocprim17ROCPRIM_400000_NS6detail17trampoline_kernelINS0_14default_configENS1_25partition_config_selectorILNS1_17partition_subalgoE5EyNS0_10empty_typeEbEEZZNS1_14partition_implILS5_5ELb0ES3_mN6thrust23THRUST_200600_302600_NS6detail15normal_iteratorINSA_10device_ptrIyEEEEPS6_NSA_18transform_iteratorINSB_9not_fun_tI7is_trueIyEEENSC_INSD_IbEEEENSA_11use_defaultESO_EENS0_5tupleIJNSA_16discard_iteratorISO_EES6_EEENSQ_IJSG_SG_EEES6_PlJS6_EEE10hipError_tPvRmT3_T4_T5_T6_T7_T9_mT8_P12ihipStream_tbDpT10_ENKUlT_T0_E_clISt17integral_constantIbLb0EES1F_EEDaS1A_S1B_EUlS1A_E_NS1_11comp_targetILNS1_3genE10ELNS1_11target_archE1200ELNS1_3gpuE4ELNS1_3repE0EEENS1_30default_config_static_selectorELNS0_4arch9wavefront6targetE0EEEvT1_
	.p2align	8
	.type	_ZN7rocprim17ROCPRIM_400000_NS6detail17trampoline_kernelINS0_14default_configENS1_25partition_config_selectorILNS1_17partition_subalgoE5EyNS0_10empty_typeEbEEZZNS1_14partition_implILS5_5ELb0ES3_mN6thrust23THRUST_200600_302600_NS6detail15normal_iteratorINSA_10device_ptrIyEEEEPS6_NSA_18transform_iteratorINSB_9not_fun_tI7is_trueIyEEENSC_INSD_IbEEEENSA_11use_defaultESO_EENS0_5tupleIJNSA_16discard_iteratorISO_EES6_EEENSQ_IJSG_SG_EEES6_PlJS6_EEE10hipError_tPvRmT3_T4_T5_T6_T7_T9_mT8_P12ihipStream_tbDpT10_ENKUlT_T0_E_clISt17integral_constantIbLb0EES1F_EEDaS1A_S1B_EUlS1A_E_NS1_11comp_targetILNS1_3genE10ELNS1_11target_archE1200ELNS1_3gpuE4ELNS1_3repE0EEENS1_30default_config_static_selectorELNS0_4arch9wavefront6targetE0EEEvT1_,@function
_ZN7rocprim17ROCPRIM_400000_NS6detail17trampoline_kernelINS0_14default_configENS1_25partition_config_selectorILNS1_17partition_subalgoE5EyNS0_10empty_typeEbEEZZNS1_14partition_implILS5_5ELb0ES3_mN6thrust23THRUST_200600_302600_NS6detail15normal_iteratorINSA_10device_ptrIyEEEEPS6_NSA_18transform_iteratorINSB_9not_fun_tI7is_trueIyEEENSC_INSD_IbEEEENSA_11use_defaultESO_EENS0_5tupleIJNSA_16discard_iteratorISO_EES6_EEENSQ_IJSG_SG_EEES6_PlJS6_EEE10hipError_tPvRmT3_T4_T5_T6_T7_T9_mT8_P12ihipStream_tbDpT10_ENKUlT_T0_E_clISt17integral_constantIbLb0EES1F_EEDaS1A_S1B_EUlS1A_E_NS1_11comp_targetILNS1_3genE10ELNS1_11target_archE1200ELNS1_3gpuE4ELNS1_3repE0EEENS1_30default_config_static_selectorELNS0_4arch9wavefront6targetE0EEEvT1_: ; @_ZN7rocprim17ROCPRIM_400000_NS6detail17trampoline_kernelINS0_14default_configENS1_25partition_config_selectorILNS1_17partition_subalgoE5EyNS0_10empty_typeEbEEZZNS1_14partition_implILS5_5ELb0ES3_mN6thrust23THRUST_200600_302600_NS6detail15normal_iteratorINSA_10device_ptrIyEEEEPS6_NSA_18transform_iteratorINSB_9not_fun_tI7is_trueIyEEENSC_INSD_IbEEEENSA_11use_defaultESO_EENS0_5tupleIJNSA_16discard_iteratorISO_EES6_EEENSQ_IJSG_SG_EEES6_PlJS6_EEE10hipError_tPvRmT3_T4_T5_T6_T7_T9_mT8_P12ihipStream_tbDpT10_ENKUlT_T0_E_clISt17integral_constantIbLb0EES1F_EEDaS1A_S1B_EUlS1A_E_NS1_11comp_targetILNS1_3genE10ELNS1_11target_archE1200ELNS1_3gpuE4ELNS1_3repE0EEENS1_30default_config_static_selectorELNS0_4arch9wavefront6targetE0EEEvT1_
; %bb.0:
	s_clause 0x3
	s_load_b128 s[8:11], s[0:1], 0x8
	s_load_b32 s2, s[0:1], 0x78
	s_load_b128 s[4:7], s[0:1], 0x50
	s_load_b64 s[14:15], s[0:1], 0x60
	s_mov_b32 s13, 0
	s_lshl_b32 s22, ttmp9, 10
	v_lshrrev_b32_e32 v12, 2, v0
	v_or_b32_e32 v10, 0x100, v0
	v_or_b32_e32 v9, 0x200, v0
	;; [unrolled: 1-line block ×3, first 2 shown]
	s_mov_b32 s3, -1
	s_wait_kmcnt 0x0
	s_lshl_b64 s[18:19], s[10:11], 3
	s_add_co_i32 s23, s2, -1
	s_load_b64 s[6:7], s[6:7], 0x0
	s_lshl_b32 s16, s23, 10
	s_lshl_b32 s12, s2, 10
	s_add_co_i32 s2, s10, s16
	s_add_nc_u64 s[20:21], s[10:11], s[12:13]
	s_sub_co_i32 s17, s14, s2
	s_cmp_eq_u32 ttmp9, s23
	v_cmp_gt_u64_e64 s2, s[14:15], s[20:21]
	s_cselect_b32 s16, -1, 0
	s_cmp_lg_u32 ttmp9, s23
	s_mov_b32 s12, s22
	s_cselect_b32 s14, -1, 0
	s_add_nc_u64 s[8:9], s[8:9], s[18:19]
	s_wait_alu 0xfffe
	s_or_b32 s18, s14, s2
	s_lshl_b64 s[14:15], s[12:13], 3
	s_and_b32 vcc_lo, exec_lo, s18
	s_wait_alu 0xfffe
	s_add_nc_u64 s[14:15], s[8:9], s[14:15]
	s_cbranch_vccz .LBB2658_2
; %bb.1:
	v_lshlrev_b32_e32 v13, 3, v0
	v_lshrrev_b32_e32 v14, 2, v10
	v_lshrrev_b32_e32 v15, 2, v9
	;; [unrolled: 1-line block ×3, first 2 shown]
	v_and_b32_e32 v17, 56, v12
	s_wait_alu 0xfffe
	v_add_co_u32 v1, s2, s14, v13
	s_delay_alu instid0(VALU_DEP_1)
	v_add_co_ci_u32_e64 v2, null, s15, 0, s2
	v_and_b32_e32 v14, 0x78, v14
	v_and_b32_e32 v15, 0xb8, v15
	;; [unrolled: 1-line block ×3, first 2 shown]
	s_clause 0x3
	flat_load_b64 v[3:4], v[1:2]
	flat_load_b64 v[5:6], v[1:2] offset:2048
	flat_load_b64 v[7:8], v[1:2] offset:4096
	;; [unrolled: 1-line block ×3, first 2 shown]
	v_add_nc_u32_e32 v17, v17, v13
	v_add_nc_u32_e32 v14, v14, v13
	;; [unrolled: 1-line block ×4, first 2 shown]
	s_mov_b32 s3, s13
	s_wait_loadcnt_dscnt 0x303
	ds_store_b64 v17, v[3:4]
	s_wait_loadcnt_dscnt 0x203
	ds_store_b64 v14, v[5:6] offset:2048
	s_wait_loadcnt_dscnt 0x103
	ds_store_b64 v15, v[7:8] offset:4096
	;; [unrolled: 2-line block ×3, first 2 shown]
	s_wait_dscnt 0x0
	s_barrier_signal -1
	s_barrier_wait -1
.LBB2658_2:
	s_load_b64 s[8:9], s[0:1], 0x20
	v_cmp_gt_u32_e64 s2, s17, v0
	s_and_not1_b32 vcc_lo, exec_lo, s3
	s_cbranch_vccnz .LBB2658_9
; %bb.3:
	v_mov_b32_e32 v1, 0
	s_delay_alu instid0(VALU_DEP_1)
	v_dual_mov_b32 v2, v1 :: v_dual_mov_b32 v3, v1
	v_dual_mov_b32 v4, v1 :: v_dual_mov_b32 v5, v1
	;; [unrolled: 1-line block ×3, first 2 shown]
	v_mov_b32_e32 v8, v1
	s_and_saveexec_b32 s3, s2
	s_cbranch_execnz .LBB2658_119
; %bb.4:
	s_wait_alu 0xfffe
	s_or_b32 exec_lo, exec_lo, s3
	s_delay_alu instid0(SALU_CYCLE_1)
	s_mov_b32 s2, exec_lo
	v_cmpx_gt_u32_e64 s17, v10
	s_cbranch_execnz .LBB2658_120
.LBB2658_5:
	s_wait_alu 0xfffe
	s_or_b32 exec_lo, exec_lo, s2
	s_delay_alu instid0(SALU_CYCLE_1)
	s_mov_b32 s2, exec_lo
	v_cmpx_gt_u32_e64 s17, v9
	s_cbranch_execnz .LBB2658_121
.LBB2658_6:
	s_wait_alu 0xfffe
	s_or_b32 exec_lo, exec_lo, s2
	s_delay_alu instid0(SALU_CYCLE_1)
	s_mov_b32 s2, exec_lo
	v_cmpx_gt_u32_e64 s17, v11
	s_cbranch_execz .LBB2658_8
.LBB2658_7:
	v_lshlrev_b32_e32 v7, 3, v0
	s_delay_alu instid0(VALU_DEP_1)
	v_add_co_u32 v7, s3, s14, v7
	s_wait_alu 0xf1ff
	v_add_co_ci_u32_e64 v8, null, s15, 0, s3
	flat_load_b64 v[7:8], v[7:8] offset:6144
.LBB2658_8:
	s_wait_alu 0xfffe
	s_or_b32 exec_lo, exec_lo, s2
	v_lshrrev_b32_e32 v13, 2, v10
	v_lshrrev_b32_e32 v14, 2, v9
	;; [unrolled: 1-line block ×3, first 2 shown]
	v_and_b32_e32 v12, 56, v12
	v_lshlrev_b32_e32 v16, 3, v0
	v_and_b32_e32 v13, 0x78, v13
	v_and_b32_e32 v14, 0xf8, v14
	;; [unrolled: 1-line block ×3, first 2 shown]
	s_delay_alu instid0(VALU_DEP_4) | instskip(NEXT) | instid1(VALU_DEP_4)
	v_add_nc_u32_e32 v12, v12, v16
	v_add_nc_u32_e32 v13, v13, v16
	s_delay_alu instid0(VALU_DEP_4) | instskip(NEXT) | instid1(VALU_DEP_4)
	v_add_nc_u32_e32 v14, v14, v16
	v_add_nc_u32_e32 v15, v15, v16
	ds_store_b64 v12, v[1:2]
	s_wait_loadcnt_dscnt 0x1
	ds_store_b64 v13, v[3:4] offset:2048
	ds_store_b64 v14, v[5:6] offset:4096
	;; [unrolled: 1-line block ×3, first 2 shown]
	s_wait_dscnt 0x0
	s_barrier_signal -1
	s_barrier_wait -1
.LBB2658_9:
	v_and_b32_e32 v1, 0xf8, v0
	global_inv scope:SCOPE_SE
	v_lshrrev_b32_e32 v25, 5, v0
	s_wait_kmcnt 0x0
	s_add_nc_u64 s[2:3], s[8:9], s[10:11]
	s_and_b32 vcc_lo, exec_lo, s18
	v_lshl_add_u32 v1, v0, 5, v1
	s_wait_alu 0xfffe
	s_add_nc_u64 s[2:3], s[2:3], s[12:13]
	s_mov_b32 s8, -1
	ds_load_2addr_b64 v[5:8], v1 offset1:1
	ds_load_2addr_b64 v[1:4], v1 offset0:2 offset1:3
	s_wait_loadcnt_dscnt 0x0
	s_barrier_signal -1
	s_barrier_wait -1
	global_inv scope:SCOPE_SE
	s_cbranch_vccz .LBB2658_11
; %bb.10:
	s_clause 0x3
	global_load_u8 v12, v0, s[2:3]
	global_load_u8 v13, v0, s[2:3] offset:256
	global_load_u8 v14, v0, s[2:3] offset:512
	global_load_u8 v15, v0, s[2:3] offset:768
	v_lshrrev_b32_e32 v16, 5, v10
	v_lshrrev_b32_e32 v17, 5, v9
	;; [unrolled: 1-line block ×3, first 2 shown]
	v_and_b32_e32 v19, 4, v25
	s_mov_b32 s8, 0
	v_and_b32_e32 v16, 12, v16
	v_and_b32_e32 v17, 20, v17
	;; [unrolled: 1-line block ×3, first 2 shown]
	v_add_nc_u32_e32 v19, v19, v0
	s_delay_alu instid0(VALU_DEP_4) | instskip(NEXT) | instid1(VALU_DEP_4)
	v_add_nc_u32_e32 v16, v16, v0
	v_add_nc_u32_e32 v17, v17, v0
	s_delay_alu instid0(VALU_DEP_4)
	v_add_nc_u32_e32 v18, v18, v0
	s_wait_loadcnt 0x3
	v_xor_b32_e32 v12, 1, v12
	s_wait_loadcnt 0x2
	v_xor_b32_e32 v13, 1, v13
	;; [unrolled: 2-line block ×4, first 2 shown]
	ds_store_b8 v19, v12
	ds_store_b8 v16, v13 offset:256
	ds_store_b8 v17, v14 offset:512
	;; [unrolled: 1-line block ×3, first 2 shown]
	s_wait_dscnt 0x0
	s_barrier_signal -1
	s_barrier_wait -1
.LBB2658_11:
	v_lshlrev_b32_e32 v12, 2, v0
	v_lshrrev_b32_e32 v13, 3, v0
	s_and_not1_b32 vcc_lo, exec_lo, s8
	s_cbranch_vccnz .LBB2658_18
; %bb.12:
	v_dual_mov_b32 v14, 0 :: v_dual_mov_b32 v15, 0
	s_mov_b32 s8, exec_lo
	v_cmpx_gt_u32_e64 s17, v0
	s_cbranch_execnz .LBB2658_122
; %bb.13:
	s_or_b32 exec_lo, exec_lo, s8
	s_delay_alu instid0(SALU_CYCLE_1)
	s_mov_b32 s8, exec_lo
	v_cmpx_gt_u32_e64 s17, v10
	s_cbranch_execnz .LBB2658_123
.LBB2658_14:
	s_or_b32 exec_lo, exec_lo, s8
	s_delay_alu instid0(SALU_CYCLE_1)
	s_mov_b32 s8, exec_lo
	v_cmpx_gt_u32_e64 s17, v9
	s_cbranch_execnz .LBB2658_124
.LBB2658_15:
	s_or_b32 exec_lo, exec_lo, s8
	s_delay_alu instid0(SALU_CYCLE_1)
	s_mov_b32 s8, exec_lo
	v_cmpx_gt_u32_e64 s17, v11
	s_cbranch_execz .LBB2658_17
.LBB2658_16:
	global_load_u8 v16, v0, s[2:3] offset:768
	v_lshrrev_b32_e32 v17, 16, v15
	s_wait_loadcnt 0x0
	v_xor_b32_e32 v16, 1, v16
	s_delay_alu instid0(VALU_DEP_1) | instskip(NEXT) | instid1(VALU_DEP_1)
	v_lshlrev_b16 v16, 8, v16
	v_or_b32_e32 v16, v17, v16
	s_delay_alu instid0(VALU_DEP_1) | instskip(NEXT) | instid1(VALU_DEP_1)
	v_lshlrev_b32_e32 v16, 16, v16
	v_and_or_b32 v15, 0xffff, v15, v16
.LBB2658_17:
	s_or_b32 exec_lo, exec_lo, s8
	v_lshrrev_b32_e32 v10, 5, v10
	v_lshrrev_b32_e32 v9, 5, v9
	;; [unrolled: 1-line block ×3, first 2 shown]
	v_and_b32_e32 v16, 4, v25
	v_lshrrev_b32_e32 v17, 8, v15
	v_and_b32_e32 v10, 12, v10
	v_and_b32_e32 v9, 28, v9
	;; [unrolled: 1-line block ×3, first 2 shown]
	v_add_nc_u32_e32 v16, v16, v0
	v_lshrrev_b32_e32 v18, 24, v15
	v_add_nc_u32_e32 v10, v10, v0
	v_add_nc_u32_e32 v9, v9, v0
	;; [unrolled: 1-line block ×3, first 2 shown]
	ds_store_b8 v16, v14
	ds_store_b8 v10, v17 offset:256
	ds_store_b8_d16_hi v9, v15 offset:512
	ds_store_b8 v11, v18 offset:768
	s_wait_loadcnt_dscnt 0x0
	s_barrier_signal -1
	s_barrier_wait -1
.LBB2658_18:
	s_delay_alu instid0(VALU_DEP_1)
	v_and_b32_e32 v9, 28, v13
	s_wait_loadcnt 0x0
	global_inv scope:SCOPE_SE
	s_load_b64 s[8:9], s[0:1], 0x70
	v_mbcnt_lo_u32_b32 v31, -1, 0
	s_cmp_lg_u32 ttmp9, 0
	v_add_nc_u32_e32 v9, v9, v12
	s_mov_b32 s1, -1
	s_delay_alu instid0(VALU_DEP_2)
	v_dual_mov_b32 v11, 0 :: v_dual_and_b32 v32, 15, v31
	ds_load_b32 v27, v9
	s_wait_loadcnt_dscnt 0x0
	s_barrier_signal -1
	s_barrier_wait -1
	global_inv scope:SCOPE_SE
	v_and_b32_e32 v30, 0xff, v27
	v_bfe_u32 v29, v27, 8, 8
	v_bfe_u32 v28, v27, 16, 8
	v_lshrrev_b32_e32 v26, 24, v27
	s_delay_alu instid0(VALU_DEP_2) | instskip(NEXT) | instid1(VALU_DEP_1)
	v_add3_u32 v9, v29, v30, v28
	v_add_co_u32 v17, s0, v9, v26
	s_delay_alu instid0(VALU_DEP_1)
	v_add_co_ci_u32_e64 v18, null, 0, 0, s0
	v_cmp_ne_u32_e64 s0, 0, v32
	s_cbranch_scc0 .LBB2658_75
; %bb.19:
	v_dual_mov_b32 v12, v17 :: v_dual_mov_b32 v9, v17
	v_mov_b32_dpp v14, v17 row_shr:1 row_mask:0xf bank_mask:0xf
	v_mov_b32_dpp v13, v11 row_shr:1 row_mask:0xf bank_mask:0xf
	v_mov_b32_e32 v10, v18
	s_and_saveexec_b32 s1, s0
; %bb.20:
	s_delay_alu instid0(VALU_DEP_3) | instskip(NEXT) | instid1(VALU_DEP_1)
	v_add_co_u32 v12, vcc_lo, v17, v14
	v_add_co_ci_u32_e64 v9, null, 0, v18, vcc_lo
	s_delay_alu instid0(VALU_DEP_2) | instskip(SKIP_1) | instid1(VALU_DEP_2)
	v_add_co_u32 v10, vcc_lo, 0, v12
	s_wait_alu 0xfffd
	v_add_co_ci_u32_e64 v11, null, v13, v9, vcc_lo
	s_delay_alu instid0(VALU_DEP_2) | instskip(NEXT) | instid1(VALU_DEP_2)
	v_mov_b32_e32 v9, v10
	v_mov_b32_e32 v10, v11
; %bb.21:
	s_wait_alu 0xfffe
	s_or_b32 exec_lo, exec_lo, s1
	v_mov_b32_dpp v14, v12 row_shr:2 row_mask:0xf bank_mask:0xf
	v_mov_b32_dpp v13, v11 row_shr:2 row_mask:0xf bank_mask:0xf
	s_mov_b32 s1, exec_lo
	v_cmpx_lt_u32_e32 1, v32
; %bb.22:
	s_delay_alu instid0(VALU_DEP_3) | instskip(SKIP_2) | instid1(VALU_DEP_2)
	v_add_co_u32 v12, vcc_lo, v9, v14
	s_wait_alu 0xfffd
	v_add_co_ci_u32_e64 v9, null, 0, v10, vcc_lo
	v_add_co_u32 v10, vcc_lo, 0, v12
	s_wait_alu 0xfffd
	s_delay_alu instid0(VALU_DEP_2) | instskip(NEXT) | instid1(VALU_DEP_2)
	v_add_co_ci_u32_e64 v11, null, v13, v9, vcc_lo
	v_mov_b32_e32 v9, v10
	s_delay_alu instid0(VALU_DEP_2)
	v_mov_b32_e32 v10, v11
; %bb.23:
	s_wait_alu 0xfffe
	s_or_b32 exec_lo, exec_lo, s1
	v_mov_b32_dpp v14, v12 row_shr:4 row_mask:0xf bank_mask:0xf
	v_mov_b32_dpp v13, v11 row_shr:4 row_mask:0xf bank_mask:0xf
	s_mov_b32 s1, exec_lo
	v_cmpx_lt_u32_e32 3, v32
; %bb.24:
	s_delay_alu instid0(VALU_DEP_3) | instskip(SKIP_2) | instid1(VALU_DEP_2)
	v_add_co_u32 v12, vcc_lo, v9, v14
	s_wait_alu 0xfffd
	v_add_co_ci_u32_e64 v9, null, 0, v10, vcc_lo
	v_add_co_u32 v10, vcc_lo, 0, v12
	s_wait_alu 0xfffd
	s_delay_alu instid0(VALU_DEP_2) | instskip(NEXT) | instid1(VALU_DEP_2)
	v_add_co_ci_u32_e64 v11, null, v13, v9, vcc_lo
	v_mov_b32_e32 v9, v10
	s_delay_alu instid0(VALU_DEP_2)
	v_mov_b32_e32 v10, v11
; %bb.25:
	s_wait_alu 0xfffe
	s_or_b32 exec_lo, exec_lo, s1
	v_mov_b32_dpp v14, v12 row_shr:8 row_mask:0xf bank_mask:0xf
	v_mov_b32_dpp v13, v11 row_shr:8 row_mask:0xf bank_mask:0xf
	s_mov_b32 s1, exec_lo
	v_cmpx_lt_u32_e32 7, v32
; %bb.26:
	s_delay_alu instid0(VALU_DEP_3) | instskip(SKIP_2) | instid1(VALU_DEP_2)
	v_add_co_u32 v12, vcc_lo, v9, v14
	s_wait_alu 0xfffd
	v_add_co_ci_u32_e64 v10, null, 0, v10, vcc_lo
	v_add_co_u32 v9, vcc_lo, 0, v12
	s_wait_alu 0xfffd
	s_delay_alu instid0(VALU_DEP_2) | instskip(NEXT) | instid1(VALU_DEP_1)
	v_add_co_ci_u32_e64 v10, null, v13, v10, vcc_lo
	v_mov_b32_e32 v11, v10
; %bb.27:
	s_wait_alu 0xfffe
	s_or_b32 exec_lo, exec_lo, s1
	ds_swizzle_b32 v13, v12 offset:swizzle(BROADCAST,32,15)
	ds_swizzle_b32 v11, v11 offset:swizzle(BROADCAST,32,15)
	v_and_b32_e32 v14, 16, v31
	s_mov_b32 s1, exec_lo
	s_delay_alu instid0(VALU_DEP_1)
	v_cmpx_ne_u32_e32 0, v14
	s_cbranch_execz .LBB2658_29
; %bb.28:
	s_wait_dscnt 0x1
	v_add_co_u32 v12, vcc_lo, v9, v13
	s_wait_alu 0xfffd
	v_add_co_ci_u32_e64 v10, null, 0, v10, vcc_lo
	s_delay_alu instid0(VALU_DEP_2) | instskip(SKIP_2) | instid1(VALU_DEP_2)
	v_add_co_u32 v9, vcc_lo, 0, v12
	s_wait_dscnt 0x0
	s_wait_alu 0xfffd
	v_add_co_ci_u32_e64 v10, null, v11, v10, vcc_lo
.LBB2658_29:
	s_wait_alu 0xfffe
	s_or_b32 exec_lo, exec_lo, s1
	s_wait_dscnt 0x0
	v_or_b32_e32 v11, 31, v0
	s_mov_b32 s1, exec_lo
	s_delay_alu instid0(VALU_DEP_1)
	v_cmpx_eq_u32_e64 v0, v11
; %bb.30:
	v_lshlrev_b32_e32 v11, 3, v25
	ds_store_b64 v11, v[9:10]
; %bb.31:
	s_wait_alu 0xfffe
	s_or_b32 exec_lo, exec_lo, s1
	s_delay_alu instid0(SALU_CYCLE_1)
	s_mov_b32 s1, exec_lo
	s_wait_loadcnt_dscnt 0x0
	s_barrier_signal -1
	s_barrier_wait -1
	global_inv scope:SCOPE_SE
	v_cmpx_gt_u32_e32 8, v0
	s_cbranch_execz .LBB2658_39
; %bb.32:
	v_lshlrev_b32_e32 v11, 3, v0
	v_and_b32_e32 v13, 7, v31
	s_mov_b32 s2, exec_lo
	ds_load_b64 v[9:10], v11
	s_wait_dscnt 0x0
	v_mov_b32_dpp v16, v9 row_shr:1 row_mask:0xf bank_mask:0xf
	v_mov_b32_dpp v15, v10 row_shr:1 row_mask:0xf bank_mask:0xf
	v_mov_b32_e32 v14, v9
	v_cmpx_ne_u32_e32 0, v13
; %bb.33:
	s_delay_alu instid0(VALU_DEP_4) | instskip(SKIP_2) | instid1(VALU_DEP_2)
	v_add_co_u32 v14, vcc_lo, v9, v16
	s_wait_alu 0xfffd
	v_add_co_ci_u32_e64 v10, null, 0, v10, vcc_lo
	v_add_co_u32 v9, vcc_lo, 0, v14
	s_wait_alu 0xfffd
	s_delay_alu instid0(VALU_DEP_2)
	v_add_co_ci_u32_e64 v10, null, v15, v10, vcc_lo
; %bb.34:
	s_wait_alu 0xfffe
	s_or_b32 exec_lo, exec_lo, s2
	v_mov_b32_dpp v16, v14 row_shr:2 row_mask:0xf bank_mask:0xf
	s_delay_alu instid0(VALU_DEP_2)
	v_mov_b32_dpp v15, v10 row_shr:2 row_mask:0xf bank_mask:0xf
	s_mov_b32 s2, exec_lo
	v_cmpx_lt_u32_e32 1, v13
; %bb.35:
	s_delay_alu instid0(VALU_DEP_3) | instskip(SKIP_2) | instid1(VALU_DEP_2)
	v_add_co_u32 v14, vcc_lo, v9, v16
	s_wait_alu 0xfffd
	v_add_co_ci_u32_e64 v10, null, 0, v10, vcc_lo
	v_add_co_u32 v9, vcc_lo, 0, v14
	s_wait_alu 0xfffd
	s_delay_alu instid0(VALU_DEP_2)
	v_add_co_ci_u32_e64 v10, null, v15, v10, vcc_lo
; %bb.36:
	s_wait_alu 0xfffe
	s_or_b32 exec_lo, exec_lo, s2
	v_mov_b32_dpp v15, v14 row_shr:4 row_mask:0xf bank_mask:0xf
	s_delay_alu instid0(VALU_DEP_2)
	v_mov_b32_dpp v14, v10 row_shr:4 row_mask:0xf bank_mask:0xf
	s_mov_b32 s2, exec_lo
	v_cmpx_lt_u32_e32 3, v13
; %bb.37:
	s_delay_alu instid0(VALU_DEP_3) | instskip(SKIP_2) | instid1(VALU_DEP_2)
	v_add_co_u32 v9, vcc_lo, v9, v15
	s_wait_alu 0xfffd
	v_add_co_ci_u32_e64 v10, null, 0, v10, vcc_lo
	v_add_co_u32 v9, vcc_lo, v9, 0
	s_wait_alu 0xfffd
	s_delay_alu instid0(VALU_DEP_2)
	v_add_co_ci_u32_e64 v10, null, v10, v14, vcc_lo
; %bb.38:
	s_wait_alu 0xfffe
	s_or_b32 exec_lo, exec_lo, s2
	ds_store_b64 v11, v[9:10]
.LBB2658_39:
	s_wait_alu 0xfffe
	s_or_b32 exec_lo, exec_lo, s1
	s_delay_alu instid0(SALU_CYCLE_1)
	s_mov_b32 s2, exec_lo
	v_cmp_gt_u32_e32 vcc_lo, 32, v0
	s_wait_loadcnt_dscnt 0x0
	s_barrier_signal -1
	s_barrier_wait -1
	global_inv scope:SCOPE_SE
                                        ; implicit-def: $vgpr19_vgpr20
	v_cmpx_lt_u32_e32 31, v0
	s_cbranch_execz .LBB2658_41
; %bb.40:
	v_lshl_add_u32 v9, v25, 3, -8
	ds_load_b64 v[19:20], v9
	s_wait_dscnt 0x0
	v_add_nc_u32_e32 v12, v12, v19
.LBB2658_41:
	s_wait_alu 0xfffe
	s_or_b32 exec_lo, exec_lo, s2
	v_sub_co_u32 v9, s1, v31, 1
	s_delay_alu instid0(VALU_DEP_1) | instskip(SKIP_1) | instid1(VALU_DEP_1)
	v_cmp_gt_i32_e64 s2, 0, v9
	s_wait_alu 0xf1ff
	v_cndmask_b32_e64 v9, v9, v31, s2
	s_delay_alu instid0(VALU_DEP_1)
	v_lshlrev_b32_e32 v9, 2, v9
	ds_bpermute_b32 v33, v9, v12
	s_and_saveexec_b32 s2, vcc_lo
	s_cbranch_execz .LBB2658_80
; %bb.42:
	v_mov_b32_e32 v12, 0
	ds_load_b64 v[9:10], v12 offset:56
	s_and_saveexec_b32 s3, s1
	s_cbranch_execz .LBB2658_44
; %bb.43:
	s_add_co_i32 s10, ttmp9, 32
	s_mov_b32 s11, 0
	s_delay_alu instid0(SALU_CYCLE_1) | instskip(SKIP_2) | instid1(SALU_CYCLE_1)
	s_lshl_b64 s[10:11], s[10:11], 4
	s_wait_kmcnt 0x0
	s_add_nc_u64 s[10:11], s[8:9], s[10:11]
	v_dual_mov_b32 v11, 1 :: v_dual_mov_b32 v14, s11
	v_mov_b32_e32 v13, s10
	s_wait_dscnt 0x0
	;;#ASMSTART
	global_store_b128 v[13:14], v[9:12] off scope:SCOPE_DEV	
s_wait_storecnt 0x0
	;;#ASMEND
.LBB2658_44:
	s_wait_alu 0xfffe
	s_or_b32 exec_lo, exec_lo, s3
	v_xad_u32 v21, v31, -1, ttmp9
	s_mov_b32 s10, 0
	s_mov_b32 s3, exec_lo
	s_delay_alu instid0(VALU_DEP_1) | instskip(NEXT) | instid1(VALU_DEP_1)
	v_add_nc_u32_e32 v11, 32, v21
	v_lshlrev_b64_e32 v[11:12], 4, v[11:12]
	s_wait_kmcnt 0x0
	s_delay_alu instid0(VALU_DEP_1) | instskip(SKIP_1) | instid1(VALU_DEP_2)
	v_add_co_u32 v11, vcc_lo, s8, v11
	s_wait_alu 0xfffd
	v_add_co_ci_u32_e64 v12, null, s9, v12, vcc_lo
	;;#ASMSTART
	global_load_b128 v[13:16], v[11:12] off scope:SCOPE_DEV	
s_wait_loadcnt 0x0
	;;#ASMEND
	v_and_b32_e32 v16, 0xff, v15
	s_delay_alu instid0(VALU_DEP_1)
	v_cmpx_eq_u16_e32 0, v16
	s_cbranch_execz .LBB2658_47
.LBB2658_45:                            ; =>This Inner Loop Header: Depth=1
	;;#ASMSTART
	global_load_b128 v[13:16], v[11:12] off scope:SCOPE_DEV	
s_wait_loadcnt 0x0
	;;#ASMEND
	v_and_b32_e32 v16, 0xff, v15
	s_delay_alu instid0(VALU_DEP_1)
	v_cmp_ne_u16_e32 vcc_lo, 0, v16
	s_wait_alu 0xfffe
	s_or_b32 s10, vcc_lo, s10
	s_wait_alu 0xfffe
	s_and_not1_b32 exec_lo, exec_lo, s10
	s_cbranch_execnz .LBB2658_45
; %bb.46:
	s_or_b32 exec_lo, exec_lo, s10
.LBB2658_47:
	s_wait_alu 0xfffe
	s_or_b32 exec_lo, exec_lo, s3
	v_cmp_ne_u32_e32 vcc_lo, 31, v31
	v_and_b32_e32 v12, 0xff, v15
	v_lshlrev_b32_e64 v35, v31, -1
	s_mov_b32 s3, exec_lo
	s_wait_alu 0xfffd
	v_add_co_ci_u32_e64 v11, null, 0, v31, vcc_lo
	v_cmp_eq_u16_e32 vcc_lo, 2, v12
	v_mov_b32_e32 v12, v13
	s_delay_alu instid0(VALU_DEP_3)
	v_lshlrev_b32_e32 v34, 2, v11
	s_wait_alu 0xfffd
	v_and_or_b32 v11, vcc_lo, v35, 0x80000000
	ds_bpermute_b32 v22, v34, v13
	ds_bpermute_b32 v16, v34, v14
	v_ctz_i32_b32_e32 v11, v11
	s_delay_alu instid0(VALU_DEP_1)
	v_cmpx_lt_u32_e64 v31, v11
	s_cbranch_execz .LBB2658_49
; %bb.48:
	s_wait_dscnt 0x1
	v_add_co_u32 v12, vcc_lo, v13, v22
	s_wait_alu 0xfffd
	v_add_co_ci_u32_e64 v14, null, 0, v14, vcc_lo
	s_delay_alu instid0(VALU_DEP_2) | instskip(SKIP_2) | instid1(VALU_DEP_2)
	v_add_co_u32 v13, vcc_lo, 0, v12
	s_wait_dscnt 0x0
	s_wait_alu 0xfffd
	v_add_co_ci_u32_e64 v14, null, v16, v14, vcc_lo
.LBB2658_49:
	s_wait_alu 0xfffe
	s_or_b32 exec_lo, exec_lo, s3
	v_cmp_gt_u32_e32 vcc_lo, 30, v31
	v_add_nc_u32_e32 v37, 2, v31
	s_mov_b32 s3, exec_lo
	s_wait_dscnt 0x0
	s_wait_alu 0xfffd
	v_cndmask_b32_e64 v16, 0, 2, vcc_lo
	s_delay_alu instid0(VALU_DEP_1)
	v_add_lshl_u32 v36, v16, v31, 2
	ds_bpermute_b32 v22, v36, v12
	ds_bpermute_b32 v16, v36, v14
	v_cmpx_le_u32_e64 v37, v11
	s_cbranch_execz .LBB2658_51
; %bb.50:
	s_wait_dscnt 0x1
	v_add_co_u32 v12, vcc_lo, v13, v22
	s_wait_alu 0xfffd
	v_add_co_ci_u32_e64 v14, null, 0, v14, vcc_lo
	s_delay_alu instid0(VALU_DEP_2) | instskip(SKIP_2) | instid1(VALU_DEP_2)
	v_add_co_u32 v13, vcc_lo, 0, v12
	s_wait_dscnt 0x0
	s_wait_alu 0xfffd
	v_add_co_ci_u32_e64 v14, null, v16, v14, vcc_lo
.LBB2658_51:
	s_wait_alu 0xfffe
	s_or_b32 exec_lo, exec_lo, s3
	v_cmp_gt_u32_e32 vcc_lo, 28, v31
	v_add_nc_u32_e32 v39, 4, v31
	s_mov_b32 s3, exec_lo
	s_wait_dscnt 0x0
	s_wait_alu 0xfffd
	v_cndmask_b32_e64 v16, 0, 4, vcc_lo
	s_delay_alu instid0(VALU_DEP_1)
	v_add_lshl_u32 v38, v16, v31, 2
	ds_bpermute_b32 v22, v38, v12
	ds_bpermute_b32 v16, v38, v14
	v_cmpx_le_u32_e64 v39, v11
	;; [unrolled: 25-line block ×3, first 2 shown]
	s_cbranch_execz .LBB2658_55
; %bb.54:
	s_wait_dscnt 0x1
	v_add_co_u32 v12, vcc_lo, v13, v22
	s_wait_alu 0xfffd
	v_add_co_ci_u32_e64 v14, null, 0, v14, vcc_lo
	s_delay_alu instid0(VALU_DEP_2) | instskip(SKIP_2) | instid1(VALU_DEP_2)
	v_add_co_u32 v13, vcc_lo, 0, v12
	s_wait_dscnt 0x0
	s_wait_alu 0xfffd
	v_add_co_ci_u32_e64 v14, null, v16, v14, vcc_lo
.LBB2658_55:
	s_wait_alu 0xfffe
	s_or_b32 exec_lo, exec_lo, s3
	v_lshl_or_b32 v42, v31, 2, 64
	v_add_nc_u32_e32 v43, 16, v31
	s_mov_b32 s3, exec_lo
	s_wait_dscnt 0x0
	ds_bpermute_b32 v16, v42, v12
	ds_bpermute_b32 v12, v42, v14
	v_cmpx_le_u32_e64 v43, v11
	s_cbranch_execz .LBB2658_57
; %bb.56:
	s_wait_dscnt 0x1
	v_add_co_u32 v11, vcc_lo, v13, v16
	s_wait_alu 0xfffd
	v_add_co_ci_u32_e64 v14, null, 0, v14, vcc_lo
	s_delay_alu instid0(VALU_DEP_2) | instskip(SKIP_2) | instid1(VALU_DEP_2)
	v_add_co_u32 v13, vcc_lo, v11, 0
	s_wait_dscnt 0x0
	s_wait_alu 0xfffd
	v_add_co_ci_u32_e64 v14, null, v14, v12, vcc_lo
.LBB2658_57:
	s_wait_alu 0xfffe
	s_or_b32 exec_lo, exec_lo, s3
	v_mov_b32_e32 v22, 0
	s_branch .LBB2658_60
.LBB2658_58:                            ;   in Loop: Header=BB2658_60 Depth=1
	s_wait_alu 0xfffe
	s_or_b32 exec_lo, exec_lo, s3
	v_add_co_u32 v13, vcc_lo, v13, v11
	v_subrev_nc_u32_e32 v21, 32, v21
	s_wait_alu 0xfffd
	v_add_co_ci_u32_e64 v14, null, v14, v12, vcc_lo
	s_mov_b32 s3, 0
.LBB2658_59:                            ;   in Loop: Header=BB2658_60 Depth=1
	s_wait_alu 0xfffe
	s_and_b32 vcc_lo, exec_lo, s3
	s_wait_alu 0xfffe
	s_cbranch_vccnz .LBB2658_76
.LBB2658_60:                            ; =>This Loop Header: Depth=1
                                        ;     Child Loop BB2658_63 Depth 2
	v_and_b32_e32 v11, 0xff, v15
	s_mov_b32 s3, -1
	s_delay_alu instid0(VALU_DEP_1)
	v_cmp_ne_u16_e32 vcc_lo, 2, v11
	s_wait_dscnt 0x0
	v_dual_mov_b32 v11, v13 :: v_dual_mov_b32 v12, v14
                                        ; implicit-def: $vgpr13_vgpr14
	s_cmp_lg_u32 vcc_lo, exec_lo
	s_cbranch_scc1 .LBB2658_59
; %bb.61:                               ;   in Loop: Header=BB2658_60 Depth=1
	v_lshlrev_b64_e32 v[13:14], 4, v[21:22]
	s_mov_b32 s3, exec_lo
	s_delay_alu instid0(VALU_DEP_1) | instskip(SKIP_1) | instid1(VALU_DEP_2)
	v_add_co_u32 v23, vcc_lo, s8, v13
	s_wait_alu 0xfffd
	v_add_co_ci_u32_e64 v24, null, s9, v14, vcc_lo
	;;#ASMSTART
	global_load_b128 v[13:16], v[23:24] off scope:SCOPE_DEV	
s_wait_loadcnt 0x0
	;;#ASMEND
	v_and_b32_e32 v16, 0xff, v15
	s_delay_alu instid0(VALU_DEP_1)
	v_cmpx_eq_u16_e32 0, v16
	s_cbranch_execz .LBB2658_65
; %bb.62:                               ;   in Loop: Header=BB2658_60 Depth=1
	s_mov_b32 s10, 0
.LBB2658_63:                            ;   Parent Loop BB2658_60 Depth=1
                                        ; =>  This Inner Loop Header: Depth=2
	;;#ASMSTART
	global_load_b128 v[13:16], v[23:24] off scope:SCOPE_DEV	
s_wait_loadcnt 0x0
	;;#ASMEND
	v_and_b32_e32 v16, 0xff, v15
	s_delay_alu instid0(VALU_DEP_1)
	v_cmp_ne_u16_e32 vcc_lo, 0, v16
	s_wait_alu 0xfffe
	s_or_b32 s10, vcc_lo, s10
	s_wait_alu 0xfffe
	s_and_not1_b32 exec_lo, exec_lo, s10
	s_cbranch_execnz .LBB2658_63
; %bb.64:                               ;   in Loop: Header=BB2658_60 Depth=1
	s_or_b32 exec_lo, exec_lo, s10
.LBB2658_65:                            ;   in Loop: Header=BB2658_60 Depth=1
	s_wait_alu 0xfffe
	s_or_b32 exec_lo, exec_lo, s3
	v_dual_mov_b32 v23, v13 :: v_dual_and_b32 v16, 0xff, v15
	ds_bpermute_b32 v44, v34, v13
	ds_bpermute_b32 v24, v34, v14
	s_mov_b32 s3, exec_lo
	v_cmp_eq_u16_e32 vcc_lo, 2, v16
	s_wait_alu 0xfffd
	v_and_or_b32 v16, vcc_lo, v35, 0x80000000
	s_delay_alu instid0(VALU_DEP_1) | instskip(NEXT) | instid1(VALU_DEP_1)
	v_ctz_i32_b32_e32 v16, v16
	v_cmpx_lt_u32_e64 v31, v16
	s_cbranch_execz .LBB2658_67
; %bb.66:                               ;   in Loop: Header=BB2658_60 Depth=1
	s_wait_dscnt 0x1
	v_add_co_u32 v23, vcc_lo, v13, v44
	s_wait_alu 0xfffd
	v_add_co_ci_u32_e64 v14, null, 0, v14, vcc_lo
	s_delay_alu instid0(VALU_DEP_2) | instskip(SKIP_2) | instid1(VALU_DEP_2)
	v_add_co_u32 v13, vcc_lo, 0, v23
	s_wait_dscnt 0x0
	s_wait_alu 0xfffd
	v_add_co_ci_u32_e64 v14, null, v24, v14, vcc_lo
.LBB2658_67:                            ;   in Loop: Header=BB2658_60 Depth=1
	s_wait_alu 0xfffe
	s_or_b32 exec_lo, exec_lo, s3
	s_wait_dscnt 0x1
	ds_bpermute_b32 v44, v36, v23
	s_wait_dscnt 0x1
	ds_bpermute_b32 v24, v36, v14
	s_mov_b32 s3, exec_lo
	v_cmpx_le_u32_e64 v37, v16
	s_cbranch_execz .LBB2658_69
; %bb.68:                               ;   in Loop: Header=BB2658_60 Depth=1
	s_wait_dscnt 0x1
	v_add_co_u32 v23, vcc_lo, v13, v44
	s_wait_alu 0xfffd
	v_add_co_ci_u32_e64 v14, null, 0, v14, vcc_lo
	s_delay_alu instid0(VALU_DEP_2) | instskip(SKIP_2) | instid1(VALU_DEP_2)
	v_add_co_u32 v13, vcc_lo, 0, v23
	s_wait_dscnt 0x0
	s_wait_alu 0xfffd
	v_add_co_ci_u32_e64 v14, null, v24, v14, vcc_lo
.LBB2658_69:                            ;   in Loop: Header=BB2658_60 Depth=1
	s_wait_alu 0xfffe
	s_or_b32 exec_lo, exec_lo, s3
	s_wait_dscnt 0x1
	ds_bpermute_b32 v44, v38, v23
	s_wait_dscnt 0x1
	ds_bpermute_b32 v24, v38, v14
	s_mov_b32 s3, exec_lo
	v_cmpx_le_u32_e64 v39, v16
	;; [unrolled: 20-line block ×3, first 2 shown]
	s_cbranch_execz .LBB2658_73
; %bb.72:                               ;   in Loop: Header=BB2658_60 Depth=1
	s_wait_dscnt 0x1
	v_add_co_u32 v23, vcc_lo, v13, v44
	s_wait_alu 0xfffd
	v_add_co_ci_u32_e64 v14, null, 0, v14, vcc_lo
	s_delay_alu instid0(VALU_DEP_2) | instskip(SKIP_2) | instid1(VALU_DEP_2)
	v_add_co_u32 v13, vcc_lo, 0, v23
	s_wait_dscnt 0x0
	s_wait_alu 0xfffd
	v_add_co_ci_u32_e64 v14, null, v24, v14, vcc_lo
.LBB2658_73:                            ;   in Loop: Header=BB2658_60 Depth=1
	s_wait_alu 0xfffe
	s_or_b32 exec_lo, exec_lo, s3
	s_wait_dscnt 0x0
	ds_bpermute_b32 v24, v42, v23
	ds_bpermute_b32 v23, v42, v14
	s_mov_b32 s3, exec_lo
	v_cmpx_le_u32_e64 v43, v16
	s_cbranch_execz .LBB2658_58
; %bb.74:                               ;   in Loop: Header=BB2658_60 Depth=1
	s_wait_dscnt 0x1
	v_add_co_u32 v13, vcc_lo, v13, v24
	s_wait_alu 0xfffd
	v_add_co_ci_u32_e64 v14, null, 0, v14, vcc_lo
	s_delay_alu instid0(VALU_DEP_2) | instskip(SKIP_2) | instid1(VALU_DEP_2)
	v_add_co_u32 v13, vcc_lo, v13, 0
	s_wait_dscnt 0x0
	s_wait_alu 0xfffd
	v_add_co_ci_u32_e64 v14, null, v14, v23, vcc_lo
	s_branch .LBB2658_58
.LBB2658_75:
                                        ; implicit-def: $vgpr13_vgpr14
                                        ; implicit-def: $vgpr19_vgpr20
                                        ; implicit-def: $vgpr11_vgpr12
                                        ; implicit-def: $vgpr14_vgpr15
                                        ; implicit-def: $vgpr15_vgpr16
	s_and_b32 vcc_lo, exec_lo, s1
	s_cbranch_vccnz .LBB2658_81
	s_branch .LBB2658_106
.LBB2658_76:
	s_and_saveexec_b32 s3, s1
	s_cbranch_execz .LBB2658_78
; %bb.77:
	s_add_co_i32 s10, ttmp9, 32
	s_mov_b32 s11, 0
	v_add_co_u32 v13, vcc_lo, v11, v9
	s_wait_alu 0xfffe
	s_lshl_b64 s[10:11], s[10:11], 4
	v_dual_mov_b32 v15, 2 :: v_dual_mov_b32 v16, 0
	s_wait_alu 0xfffe
	s_add_nc_u64 s[10:11], s[8:9], s[10:11]
	s_wait_alu 0xfffd
	v_add_co_ci_u32_e64 v14, null, v12, v10, vcc_lo
	s_wait_alu 0xfffe
	v_dual_mov_b32 v22, s11 :: v_dual_mov_b32 v21, s10
	;;#ASMSTART
	global_store_b128 v[21:22], v[13:16] off scope:SCOPE_DEV	
s_wait_storecnt 0x0
	;;#ASMEND
	ds_store_b128 v16, v[9:12] offset:8448
.LBB2658_78:
	s_wait_alu 0xfffe
	s_or_b32 exec_lo, exec_lo, s3
	v_cmp_eq_u32_e32 vcc_lo, 0, v0
	s_and_b32 exec_lo, exec_lo, vcc_lo
; %bb.79:
	v_mov_b32_e32 v9, 0
	ds_store_b64 v9, v[11:12] offset:56
.LBB2658_80:
	s_wait_alu 0xfffe
	s_or_b32 exec_lo, exec_lo, s2
	s_wait_dscnt 0x0
	v_cndmask_b32_e64 v10, v33, v19, s1
	v_cmp_ne_u32_e32 vcc_lo, 0, v0
	v_mov_b32_e32 v9, 0
	s_wait_loadcnt 0x0
	s_barrier_signal -1
	s_barrier_wait -1
	global_inv scope:SCOPE_SE
	s_wait_alu 0xfffd
	v_cndmask_b32_e32 v16, 0, v10, vcc_lo
	ds_load_b64 v[13:14], v9 offset:56
	v_cndmask_b32_e64 v11, 0, v20, s1
	s_wait_loadcnt_dscnt 0x0
	s_barrier_signal -1
	s_barrier_wait -1
	global_inv scope:SCOPE_SE
	v_cndmask_b32_e32 v15, 0, v11, vcc_lo
	ds_load_b128 v[9:12], v9 offset:8448
	v_add_co_u32 v19, vcc_lo, v13, v16
	s_wait_alu 0xfffd
	v_add_co_ci_u32_e64 v13, null, v14, v15, vcc_lo
	s_delay_alu instid0(VALU_DEP_2) | instskip(SKIP_1) | instid1(VALU_DEP_2)
	v_add_co_u32 v15, vcc_lo, v19, v30
	s_wait_alu 0xfffd
	v_add_co_ci_u32_e64 v13, null, 0, v13, vcc_lo
	s_delay_alu instid0(VALU_DEP_2) | instskip(SKIP_1) | instid1(VALU_DEP_2)
	;; [unrolled: 4-line block ×3, first 2 shown]
	v_add_co_u32 v13, vcc_lo, v14, v28
	s_wait_alu 0xfffd
	v_add_co_ci_u32_e64 v16, null, 0, v16, vcc_lo
	s_branch .LBB2658_106
.LBB2658_81:
	s_wait_dscnt 0x0
	v_dual_mov_b32 v10, 0 :: v_dual_mov_b32 v11, v17
	v_mov_b32_dpp v12, v17 row_shr:1 row_mask:0xf bank_mask:0xf
	s_delay_alu instid0(VALU_DEP_2)
	v_mov_b32_dpp v9, v10 row_shr:1 row_mask:0xf bank_mask:0xf
	s_and_saveexec_b32 s1, s0
; %bb.82:
	s_delay_alu instid0(VALU_DEP_2) | instskip(NEXT) | instid1(VALU_DEP_1)
	v_add_co_u32 v11, vcc_lo, v17, v12
	v_add_co_ci_u32_e64 v10, null, 0, v18, vcc_lo
	s_delay_alu instid0(VALU_DEP_2) | instskip(SKIP_1) | instid1(VALU_DEP_2)
	v_add_co_u32 v17, vcc_lo, 0, v11
	s_wait_alu 0xfffd
	v_add_co_ci_u32_e64 v18, null, v9, v10, vcc_lo
	s_delay_alu instid0(VALU_DEP_1)
	v_mov_b32_e32 v10, v18
; %bb.83:
	s_wait_alu 0xfffe
	s_or_b32 exec_lo, exec_lo, s1
	v_mov_b32_dpp v9, v11 row_shr:2 row_mask:0xf bank_mask:0xf
	s_delay_alu instid0(VALU_DEP_2)
	v_mov_b32_dpp v12, v10 row_shr:2 row_mask:0xf bank_mask:0xf
	s_mov_b32 s0, exec_lo
	v_cmpx_lt_u32_e32 1, v32
; %bb.84:
	s_delay_alu instid0(VALU_DEP_3) | instskip(SKIP_2) | instid1(VALU_DEP_2)
	v_add_co_u32 v11, vcc_lo, v17, v9
	s_wait_alu 0xfffd
	v_add_co_ci_u32_e64 v10, null, 0, v18, vcc_lo
	v_add_co_u32 v9, vcc_lo, 0, v11
	s_wait_alu 0xfffd
	s_delay_alu instid0(VALU_DEP_2) | instskip(NEXT) | instid1(VALU_DEP_1)
	v_add_co_ci_u32_e64 v10, null, v12, v10, vcc_lo
	v_dual_mov_b32 v18, v10 :: v_dual_mov_b32 v17, v9
; %bb.85:
	s_wait_alu 0xfffe
	s_or_b32 exec_lo, exec_lo, s0
	v_mov_b32_dpp v9, v11 row_shr:4 row_mask:0xf bank_mask:0xf
	v_mov_b32_dpp v12, v10 row_shr:4 row_mask:0xf bank_mask:0xf
	s_mov_b32 s0, exec_lo
	v_cmpx_lt_u32_e32 3, v32
; %bb.86:
	s_delay_alu instid0(VALU_DEP_3) | instskip(SKIP_2) | instid1(VALU_DEP_2)
	v_add_co_u32 v11, vcc_lo, v17, v9
	s_wait_alu 0xfffd
	v_add_co_ci_u32_e64 v10, null, 0, v18, vcc_lo
	v_add_co_u32 v9, vcc_lo, 0, v11
	s_wait_alu 0xfffd
	s_delay_alu instid0(VALU_DEP_2) | instskip(NEXT) | instid1(VALU_DEP_1)
	v_add_co_ci_u32_e64 v10, null, v12, v10, vcc_lo
	v_dual_mov_b32 v18, v10 :: v_dual_mov_b32 v17, v9
; %bb.87:
	s_wait_alu 0xfffe
	s_or_b32 exec_lo, exec_lo, s0
	v_mov_b32_dpp v12, v11 row_shr:8 row_mask:0xf bank_mask:0xf
	v_mov_b32_dpp v9, v10 row_shr:8 row_mask:0xf bank_mask:0xf
	s_mov_b32 s0, exec_lo
	v_cmpx_lt_u32_e32 7, v32
; %bb.88:
	s_delay_alu instid0(VALU_DEP_3) | instskip(SKIP_2) | instid1(VALU_DEP_2)
	v_add_co_u32 v11, vcc_lo, v17, v12
	s_wait_alu 0xfffd
	v_add_co_ci_u32_e64 v10, null, 0, v18, vcc_lo
	v_add_co_u32 v17, vcc_lo, 0, v11
	s_wait_alu 0xfffd
	s_delay_alu instid0(VALU_DEP_2) | instskip(NEXT) | instid1(VALU_DEP_1)
	v_add_co_ci_u32_e64 v18, null, v9, v10, vcc_lo
	v_mov_b32_e32 v10, v18
; %bb.89:
	s_wait_alu 0xfffe
	s_or_b32 exec_lo, exec_lo, s0
	ds_swizzle_b32 v11, v11 offset:swizzle(BROADCAST,32,15)
	ds_swizzle_b32 v9, v10 offset:swizzle(BROADCAST,32,15)
	v_and_b32_e32 v10, 16, v31
	s_mov_b32 s0, exec_lo
	s_delay_alu instid0(VALU_DEP_1)
	v_cmpx_ne_u32_e32 0, v10
	s_cbranch_execz .LBB2658_91
; %bb.90:
	s_wait_dscnt 0x1
	v_add_co_u32 v10, vcc_lo, v17, v11
	s_wait_alu 0xfffd
	v_add_co_ci_u32_e64 v11, null, 0, v18, vcc_lo
	s_delay_alu instid0(VALU_DEP_2) | instskip(SKIP_2) | instid1(VALU_DEP_2)
	v_add_co_u32 v17, vcc_lo, v10, 0
	s_wait_dscnt 0x0
	s_wait_alu 0xfffd
	v_add_co_ci_u32_e64 v18, null, v11, v9, vcc_lo
.LBB2658_91:
	s_wait_alu 0xfffe
	s_or_b32 exec_lo, exec_lo, s0
	s_wait_dscnt 0x0
	v_or_b32_e32 v9, 31, v0
	s_mov_b32 s0, exec_lo
	s_delay_alu instid0(VALU_DEP_1)
	v_cmpx_eq_u32_e64 v0, v9
; %bb.92:
	v_lshlrev_b32_e32 v9, 3, v25
	ds_store_b64 v9, v[17:18]
; %bb.93:
	s_wait_alu 0xfffe
	s_or_b32 exec_lo, exec_lo, s0
	s_delay_alu instid0(SALU_CYCLE_1)
	s_mov_b32 s0, exec_lo
	s_wait_loadcnt_dscnt 0x0
	s_barrier_signal -1
	s_barrier_wait -1
	global_inv scope:SCOPE_SE
	v_cmpx_gt_u32_e32 8, v0
	s_cbranch_execz .LBB2658_101
; %bb.94:
	v_lshlrev_b32_e32 v11, 3, v0
	s_mov_b32 s1, exec_lo
	ds_load_b64 v[9:10], v11
	s_wait_dscnt 0x0
	v_dual_mov_b32 v13, v9 :: v_dual_and_b32 v12, 7, v31
	v_mov_b32_dpp v15, v9 row_shr:1 row_mask:0xf bank_mask:0xf
	v_mov_b32_dpp v14, v10 row_shr:1 row_mask:0xf bank_mask:0xf
	s_delay_alu instid0(VALU_DEP_3)
	v_cmpx_ne_u32_e32 0, v12
; %bb.95:
	s_delay_alu instid0(VALU_DEP_3) | instskip(SKIP_2) | instid1(VALU_DEP_2)
	v_add_co_u32 v13, vcc_lo, v9, v15
	s_wait_alu 0xfffd
	v_add_co_ci_u32_e64 v10, null, 0, v10, vcc_lo
	v_add_co_u32 v9, vcc_lo, 0, v13
	s_wait_alu 0xfffd
	s_delay_alu instid0(VALU_DEP_2)
	v_add_co_ci_u32_e64 v10, null, v14, v10, vcc_lo
; %bb.96:
	s_wait_alu 0xfffe
	s_or_b32 exec_lo, exec_lo, s1
	v_mov_b32_dpp v15, v13 row_shr:2 row_mask:0xf bank_mask:0xf
	s_delay_alu instid0(VALU_DEP_2)
	v_mov_b32_dpp v14, v10 row_shr:2 row_mask:0xf bank_mask:0xf
	s_mov_b32 s1, exec_lo
	v_cmpx_lt_u32_e32 1, v12
; %bb.97:
	s_delay_alu instid0(VALU_DEP_3) | instskip(SKIP_2) | instid1(VALU_DEP_2)
	v_add_co_u32 v13, vcc_lo, v9, v15
	s_wait_alu 0xfffd
	v_add_co_ci_u32_e64 v10, null, 0, v10, vcc_lo
	v_add_co_u32 v9, vcc_lo, 0, v13
	s_wait_alu 0xfffd
	s_delay_alu instid0(VALU_DEP_2)
	v_add_co_ci_u32_e64 v10, null, v14, v10, vcc_lo
; %bb.98:
	s_wait_alu 0xfffe
	s_or_b32 exec_lo, exec_lo, s1
	v_mov_b32_dpp v14, v13 row_shr:4 row_mask:0xf bank_mask:0xf
	s_delay_alu instid0(VALU_DEP_2)
	v_mov_b32_dpp v13, v10 row_shr:4 row_mask:0xf bank_mask:0xf
	s_mov_b32 s1, exec_lo
	v_cmpx_lt_u32_e32 3, v12
; %bb.99:
	s_delay_alu instid0(VALU_DEP_3) | instskip(SKIP_2) | instid1(VALU_DEP_2)
	v_add_co_u32 v9, vcc_lo, v9, v14
	s_wait_alu 0xfffd
	v_add_co_ci_u32_e64 v10, null, 0, v10, vcc_lo
	v_add_co_u32 v9, vcc_lo, v9, 0
	s_wait_alu 0xfffd
	s_delay_alu instid0(VALU_DEP_2)
	v_add_co_ci_u32_e64 v10, null, v10, v13, vcc_lo
; %bb.100:
	s_wait_alu 0xfffe
	s_or_b32 exec_lo, exec_lo, s1
	ds_store_b64 v11, v[9:10]
.LBB2658_101:
	s_wait_alu 0xfffe
	s_or_b32 exec_lo, exec_lo, s0
	v_mov_b32_e32 v13, 0
	v_mov_b32_e32 v14, 0
	s_mov_b32 s0, exec_lo
	s_wait_loadcnt_dscnt 0x0
	s_barrier_signal -1
	s_barrier_wait -1
	global_inv scope:SCOPE_SE
	v_cmpx_lt_u32_e32 31, v0
; %bb.102:
	v_lshl_add_u32 v9, v25, 3, -8
	ds_load_b64 v[13:14], v9
; %bb.103:
	s_wait_alu 0xfffe
	s_or_b32 exec_lo, exec_lo, s0
	v_sub_co_u32 v9, vcc_lo, v31, 1
	s_wait_dscnt 0x0
	v_add_nc_u32_e32 v10, v13, v17
	v_mov_b32_e32 v12, 0
	s_delay_alu instid0(VALU_DEP_3) | instskip(SKIP_1) | instid1(VALU_DEP_1)
	v_cmp_gt_i32_e64 s0, 0, v9
	s_wait_alu 0xf1ff
	v_cndmask_b32_e64 v9, v9, v31, s0
	v_cmp_eq_u32_e64 s0, 0, v0
	s_delay_alu instid0(VALU_DEP_2)
	v_lshlrev_b32_e32 v9, 2, v9
	ds_bpermute_b32 v15, v9, v10
	ds_load_b64 v[9:10], v12 offset:56
	s_and_saveexec_b32 s1, s0
	s_cbranch_execz .LBB2658_105
; %bb.104:
	s_wait_kmcnt 0x0
	s_add_nc_u64 s[2:3], s[8:9], 0x200
	v_mov_b32_e32 v11, 2
	s_wait_alu 0xfffe
	v_dual_mov_b32 v17, s3 :: v_dual_mov_b32 v16, s2
	s_wait_dscnt 0x0
	;;#ASMSTART
	global_store_b128 v[16:17], v[9:12] off scope:SCOPE_DEV	
s_wait_storecnt 0x0
	;;#ASMEND
.LBB2658_105:
	s_wait_alu 0xfffe
	s_or_b32 exec_lo, exec_lo, s1
	s_wait_dscnt 0x1
	s_wait_alu 0xfffd
	v_dual_cndmask_b32 v11, v15, v13 :: v_dual_cndmask_b32 v12, 0, v14
	s_wait_loadcnt_dscnt 0x0
	s_barrier_signal -1
	s_barrier_wait -1
	s_delay_alu instid0(VALU_DEP_1)
	v_cndmask_b32_e64 v19, v11, 0, s0
	v_cndmask_b32_e64 v11, v12, 0, s0
	global_inv scope:SCOPE_SE
	v_add_co_u32 v15, vcc_lo, v19, v30
	s_wait_alu 0xfffd
	v_add_co_ci_u32_e64 v11, null, 0, v11, vcc_lo
	s_delay_alu instid0(VALU_DEP_2) | instskip(SKIP_1) | instid1(VALU_DEP_2)
	v_add_co_u32 v14, vcc_lo, v15, v29
	s_wait_alu 0xfffd
	v_add_co_ci_u32_e64 v16, null, 0, v11, vcc_lo
	v_mov_b32_e32 v11, 0
	v_mov_b32_e32 v12, 0
	v_add_co_u32 v13, vcc_lo, v14, v28
	s_wait_alu 0xfffd
	v_add_co_ci_u32_e64 v16, null, 0, v16, vcc_lo
.LBB2658_106:
	s_wait_dscnt 0x0
	v_cmp_gt_u64_e32 vcc_lo, 0x101, v[9:10]
	v_lshrrev_b32_e32 v16, 16, v27
	v_lshrrev_b32_e32 v17, 8, v27
	s_cbranch_vccz .LBB2658_109
; %bb.107:
	v_cmp_eq_u32_e32 vcc_lo, 0, v0
	s_and_b32 s0, vcc_lo, s16
	s_wait_alu 0xfffe
	s_and_saveexec_b32 s1, s0
	s_cbranch_execnz .LBB2658_118
.LBB2658_108:
	s_endpgm
.LBB2658_109:
	v_and_b32_e32 v18, 1, v27
	s_mov_b32 s0, exec_lo
	s_delay_alu instid0(VALU_DEP_1)
	v_cmpx_eq_u32_e32 1, v18
; %bb.110:
	v_sub_nc_u32_e32 v18, v19, v11
	s_delay_alu instid0(VALU_DEP_1)
	v_lshlrev_b32_e32 v18, 3, v18
	ds_store_b64 v18, v[5:6]
; %bb.111:
	s_wait_alu 0xfffe
	s_or_b32 exec_lo, exec_lo, s0
	v_and_b32_e32 v5, 1, v17
	s_mov_b32 s0, exec_lo
	s_delay_alu instid0(VALU_DEP_1)
	v_cmpx_eq_u32_e32 1, v5
; %bb.112:
	v_sub_nc_u32_e32 v5, v15, v11
	s_delay_alu instid0(VALU_DEP_1)
	v_lshlrev_b32_e32 v5, 3, v5
	ds_store_b64 v5, v[7:8]
; %bb.113:
	s_wait_alu 0xfffe
	s_or_b32 exec_lo, exec_lo, s0
	;; [unrolled: 12-line block ×4, first 2 shown]
	s_wait_loadcnt_dscnt 0x0
	s_barrier_signal -1
	s_barrier_wait -1
	global_inv scope:SCOPE_SE
	v_cmp_eq_u32_e32 vcc_lo, 0, v0
	s_and_b32 s0, vcc_lo, s16
	s_wait_alu 0xfffe
	s_and_saveexec_b32 s1, s0
	s_cbranch_execz .LBB2658_108
.LBB2658_118:
	v_add_co_u32 v0, vcc_lo, v9, s6
	s_wait_alu 0xfffd
	v_add_co_ci_u32_e64 v1, null, s7, v10, vcc_lo
	v_mov_b32_e32 v2, 0
	s_delay_alu instid0(VALU_DEP_3) | instskip(SKIP_1) | instid1(VALU_DEP_3)
	v_add_co_u32 v0, vcc_lo, v0, v11
	s_wait_alu 0xfffd
	v_add_co_ci_u32_e64 v1, null, v1, v12, vcc_lo
	global_store_b64 v2, v[0:1], s[4:5]
	s_endpgm
.LBB2658_119:
	v_dual_mov_b32 v15, v1 :: v_dual_lshlrev_b32 v2, 3, v0
	v_dual_mov_b32 v16, v1 :: v_dual_mov_b32 v17, v1
	v_dual_mov_b32 v18, v1 :: v_dual_mov_b32 v19, v1
	s_delay_alu instid0(VALU_DEP_3)
	v_add_co_u32 v2, s2, s14, v2
	s_wait_alu 0xf1ff
	v_add_co_ci_u32_e64 v3, null, s15, 0, s2
	v_mov_b32_e32 v20, v1
	flat_load_b64 v[13:14], v[2:3]
	s_wait_loadcnt_dscnt 0x0
	v_dual_mov_b32 v1, v13 :: v_dual_mov_b32 v2, v14
	v_dual_mov_b32 v3, v15 :: v_dual_mov_b32 v4, v16
	;; [unrolled: 1-line block ×4, first 2 shown]
	s_wait_alu 0xfffe
	s_or_b32 exec_lo, exec_lo, s3
	s_delay_alu instid0(SALU_CYCLE_1)
	s_mov_b32 s2, exec_lo
	v_cmpx_gt_u32_e64 s17, v10
	s_cbranch_execz .LBB2658_5
.LBB2658_120:
	v_lshlrev_b32_e32 v3, 3, v0
	s_delay_alu instid0(VALU_DEP_1)
	v_add_co_u32 v3, s3, s14, v3
	s_wait_alu 0xf1ff
	v_add_co_ci_u32_e64 v4, null, s15, 0, s3
	flat_load_b64 v[3:4], v[3:4] offset:2048
	s_wait_alu 0xfffe
	s_or_b32 exec_lo, exec_lo, s2
	s_delay_alu instid0(SALU_CYCLE_1)
	s_mov_b32 s2, exec_lo
	v_cmpx_gt_u32_e64 s17, v9
	s_cbranch_execz .LBB2658_6
.LBB2658_121:
	v_lshlrev_b32_e32 v5, 3, v0
	s_delay_alu instid0(VALU_DEP_1)
	v_add_co_u32 v5, s3, s14, v5
	s_wait_alu 0xf1ff
	v_add_co_ci_u32_e64 v6, null, s15, 0, s3
	flat_load_b64 v[5:6], v[5:6] offset:4096
	s_wait_alu 0xfffe
	s_or_b32 exec_lo, exec_lo, s2
	s_delay_alu instid0(SALU_CYCLE_1)
	s_mov_b32 s2, exec_lo
	v_cmpx_gt_u32_e64 s17, v11
	s_cbranch_execnz .LBB2658_7
	s_branch .LBB2658_8
.LBB2658_122:
	global_load_u8 v14, v0, s[2:3]
	s_wait_loadcnt 0x0
	v_xor_b32_e32 v14, 1, v14
	s_delay_alu instid0(VALU_DEP_1) | instskip(NEXT) | instid1(VALU_DEP_1)
	v_and_b32_e32 v15, 1, v14
	v_and_b32_e32 v15, 0xffff, v15
	s_or_b32 exec_lo, exec_lo, s8
	s_delay_alu instid0(SALU_CYCLE_1)
	s_mov_b32 s8, exec_lo
	v_cmpx_gt_u32_e64 s17, v10
	s_cbranch_execz .LBB2658_14
.LBB2658_123:
	global_load_u8 v16, v0, s[2:3] offset:256
	s_wait_loadcnt 0x0
	v_xor_b32_e32 v16, 1, v16
	s_delay_alu instid0(VALU_DEP_1) | instskip(NEXT) | instid1(VALU_DEP_1)
	v_lshlrev_b16 v16, 8, v16
	v_or_b32_e32 v15, v15, v16
	s_delay_alu instid0(VALU_DEP_1) | instskip(SKIP_1) | instid1(SALU_CYCLE_1)
	v_and_b32_e32 v15, 0xffff, v15
	s_or_b32 exec_lo, exec_lo, s8
	s_mov_b32 s8, exec_lo
	v_cmpx_gt_u32_e64 s17, v9
	s_cbranch_execz .LBB2658_15
.LBB2658_124:
	global_load_u8 v16, v0, s[2:3] offset:512
	s_wait_loadcnt 0x0
	v_xor_b32_e32 v16, 1, v16
	s_delay_alu instid0(VALU_DEP_1) | instskip(NEXT) | instid1(VALU_DEP_1)
	v_lshlrev_b32_e32 v16, 16, v16
	v_or_b32_e32 v15, v15, v16
	s_or_b32 exec_lo, exec_lo, s8
	s_delay_alu instid0(SALU_CYCLE_1)
	s_mov_b32 s8, exec_lo
	v_cmpx_gt_u32_e64 s17, v11
	s_cbranch_execnz .LBB2658_16
	s_branch .LBB2658_17
	.section	.rodata,"a",@progbits
	.p2align	6, 0x0
	.amdhsa_kernel _ZN7rocprim17ROCPRIM_400000_NS6detail17trampoline_kernelINS0_14default_configENS1_25partition_config_selectorILNS1_17partition_subalgoE5EyNS0_10empty_typeEbEEZZNS1_14partition_implILS5_5ELb0ES3_mN6thrust23THRUST_200600_302600_NS6detail15normal_iteratorINSA_10device_ptrIyEEEEPS6_NSA_18transform_iteratorINSB_9not_fun_tI7is_trueIyEEENSC_INSD_IbEEEENSA_11use_defaultESO_EENS0_5tupleIJNSA_16discard_iteratorISO_EES6_EEENSQ_IJSG_SG_EEES6_PlJS6_EEE10hipError_tPvRmT3_T4_T5_T6_T7_T9_mT8_P12ihipStream_tbDpT10_ENKUlT_T0_E_clISt17integral_constantIbLb0EES1F_EEDaS1A_S1B_EUlS1A_E_NS1_11comp_targetILNS1_3genE10ELNS1_11target_archE1200ELNS1_3gpuE4ELNS1_3repE0EEENS1_30default_config_static_selectorELNS0_4arch9wavefront6targetE0EEEvT1_
		.amdhsa_group_segment_fixed_size 8464
		.amdhsa_private_segment_fixed_size 0
		.amdhsa_kernarg_size 128
		.amdhsa_user_sgpr_count 2
		.amdhsa_user_sgpr_dispatch_ptr 0
		.amdhsa_user_sgpr_queue_ptr 0
		.amdhsa_user_sgpr_kernarg_segment_ptr 1
		.amdhsa_user_sgpr_dispatch_id 0
		.amdhsa_user_sgpr_private_segment_size 0
		.amdhsa_wavefront_size32 1
		.amdhsa_uses_dynamic_stack 0
		.amdhsa_enable_private_segment 0
		.amdhsa_system_sgpr_workgroup_id_x 1
		.amdhsa_system_sgpr_workgroup_id_y 0
		.amdhsa_system_sgpr_workgroup_id_z 0
		.amdhsa_system_sgpr_workgroup_info 0
		.amdhsa_system_vgpr_workitem_id 0
		.amdhsa_next_free_vgpr 45
		.amdhsa_next_free_sgpr 24
		.amdhsa_reserve_vcc 1
		.amdhsa_float_round_mode_32 0
		.amdhsa_float_round_mode_16_64 0
		.amdhsa_float_denorm_mode_32 3
		.amdhsa_float_denorm_mode_16_64 3
		.amdhsa_fp16_overflow 0
		.amdhsa_workgroup_processor_mode 1
		.amdhsa_memory_ordered 1
		.amdhsa_forward_progress 1
		.amdhsa_inst_pref_size 49
		.amdhsa_round_robin_scheduling 0
		.amdhsa_exception_fp_ieee_invalid_op 0
		.amdhsa_exception_fp_denorm_src 0
		.amdhsa_exception_fp_ieee_div_zero 0
		.amdhsa_exception_fp_ieee_overflow 0
		.amdhsa_exception_fp_ieee_underflow 0
		.amdhsa_exception_fp_ieee_inexact 0
		.amdhsa_exception_int_div_zero 0
	.end_amdhsa_kernel
	.section	.text._ZN7rocprim17ROCPRIM_400000_NS6detail17trampoline_kernelINS0_14default_configENS1_25partition_config_selectorILNS1_17partition_subalgoE5EyNS0_10empty_typeEbEEZZNS1_14partition_implILS5_5ELb0ES3_mN6thrust23THRUST_200600_302600_NS6detail15normal_iteratorINSA_10device_ptrIyEEEEPS6_NSA_18transform_iteratorINSB_9not_fun_tI7is_trueIyEEENSC_INSD_IbEEEENSA_11use_defaultESO_EENS0_5tupleIJNSA_16discard_iteratorISO_EES6_EEENSQ_IJSG_SG_EEES6_PlJS6_EEE10hipError_tPvRmT3_T4_T5_T6_T7_T9_mT8_P12ihipStream_tbDpT10_ENKUlT_T0_E_clISt17integral_constantIbLb0EES1F_EEDaS1A_S1B_EUlS1A_E_NS1_11comp_targetILNS1_3genE10ELNS1_11target_archE1200ELNS1_3gpuE4ELNS1_3repE0EEENS1_30default_config_static_selectorELNS0_4arch9wavefront6targetE0EEEvT1_,"axG",@progbits,_ZN7rocprim17ROCPRIM_400000_NS6detail17trampoline_kernelINS0_14default_configENS1_25partition_config_selectorILNS1_17partition_subalgoE5EyNS0_10empty_typeEbEEZZNS1_14partition_implILS5_5ELb0ES3_mN6thrust23THRUST_200600_302600_NS6detail15normal_iteratorINSA_10device_ptrIyEEEEPS6_NSA_18transform_iteratorINSB_9not_fun_tI7is_trueIyEEENSC_INSD_IbEEEENSA_11use_defaultESO_EENS0_5tupleIJNSA_16discard_iteratorISO_EES6_EEENSQ_IJSG_SG_EEES6_PlJS6_EEE10hipError_tPvRmT3_T4_T5_T6_T7_T9_mT8_P12ihipStream_tbDpT10_ENKUlT_T0_E_clISt17integral_constantIbLb0EES1F_EEDaS1A_S1B_EUlS1A_E_NS1_11comp_targetILNS1_3genE10ELNS1_11target_archE1200ELNS1_3gpuE4ELNS1_3repE0EEENS1_30default_config_static_selectorELNS0_4arch9wavefront6targetE0EEEvT1_,comdat
.Lfunc_end2658:
	.size	_ZN7rocprim17ROCPRIM_400000_NS6detail17trampoline_kernelINS0_14default_configENS1_25partition_config_selectorILNS1_17partition_subalgoE5EyNS0_10empty_typeEbEEZZNS1_14partition_implILS5_5ELb0ES3_mN6thrust23THRUST_200600_302600_NS6detail15normal_iteratorINSA_10device_ptrIyEEEEPS6_NSA_18transform_iteratorINSB_9not_fun_tI7is_trueIyEEENSC_INSD_IbEEEENSA_11use_defaultESO_EENS0_5tupleIJNSA_16discard_iteratorISO_EES6_EEENSQ_IJSG_SG_EEES6_PlJS6_EEE10hipError_tPvRmT3_T4_T5_T6_T7_T9_mT8_P12ihipStream_tbDpT10_ENKUlT_T0_E_clISt17integral_constantIbLb0EES1F_EEDaS1A_S1B_EUlS1A_E_NS1_11comp_targetILNS1_3genE10ELNS1_11target_archE1200ELNS1_3gpuE4ELNS1_3repE0EEENS1_30default_config_static_selectorELNS0_4arch9wavefront6targetE0EEEvT1_, .Lfunc_end2658-_ZN7rocprim17ROCPRIM_400000_NS6detail17trampoline_kernelINS0_14default_configENS1_25partition_config_selectorILNS1_17partition_subalgoE5EyNS0_10empty_typeEbEEZZNS1_14partition_implILS5_5ELb0ES3_mN6thrust23THRUST_200600_302600_NS6detail15normal_iteratorINSA_10device_ptrIyEEEEPS6_NSA_18transform_iteratorINSB_9not_fun_tI7is_trueIyEEENSC_INSD_IbEEEENSA_11use_defaultESO_EENS0_5tupleIJNSA_16discard_iteratorISO_EES6_EEENSQ_IJSG_SG_EEES6_PlJS6_EEE10hipError_tPvRmT3_T4_T5_T6_T7_T9_mT8_P12ihipStream_tbDpT10_ENKUlT_T0_E_clISt17integral_constantIbLb0EES1F_EEDaS1A_S1B_EUlS1A_E_NS1_11comp_targetILNS1_3genE10ELNS1_11target_archE1200ELNS1_3gpuE4ELNS1_3repE0EEENS1_30default_config_static_selectorELNS0_4arch9wavefront6targetE0EEEvT1_
                                        ; -- End function
	.set _ZN7rocprim17ROCPRIM_400000_NS6detail17trampoline_kernelINS0_14default_configENS1_25partition_config_selectorILNS1_17partition_subalgoE5EyNS0_10empty_typeEbEEZZNS1_14partition_implILS5_5ELb0ES3_mN6thrust23THRUST_200600_302600_NS6detail15normal_iteratorINSA_10device_ptrIyEEEEPS6_NSA_18transform_iteratorINSB_9not_fun_tI7is_trueIyEEENSC_INSD_IbEEEENSA_11use_defaultESO_EENS0_5tupleIJNSA_16discard_iteratorISO_EES6_EEENSQ_IJSG_SG_EEES6_PlJS6_EEE10hipError_tPvRmT3_T4_T5_T6_T7_T9_mT8_P12ihipStream_tbDpT10_ENKUlT_T0_E_clISt17integral_constantIbLb0EES1F_EEDaS1A_S1B_EUlS1A_E_NS1_11comp_targetILNS1_3genE10ELNS1_11target_archE1200ELNS1_3gpuE4ELNS1_3repE0EEENS1_30default_config_static_selectorELNS0_4arch9wavefront6targetE0EEEvT1_.num_vgpr, 45
	.set _ZN7rocprim17ROCPRIM_400000_NS6detail17trampoline_kernelINS0_14default_configENS1_25partition_config_selectorILNS1_17partition_subalgoE5EyNS0_10empty_typeEbEEZZNS1_14partition_implILS5_5ELb0ES3_mN6thrust23THRUST_200600_302600_NS6detail15normal_iteratorINSA_10device_ptrIyEEEEPS6_NSA_18transform_iteratorINSB_9not_fun_tI7is_trueIyEEENSC_INSD_IbEEEENSA_11use_defaultESO_EENS0_5tupleIJNSA_16discard_iteratorISO_EES6_EEENSQ_IJSG_SG_EEES6_PlJS6_EEE10hipError_tPvRmT3_T4_T5_T6_T7_T9_mT8_P12ihipStream_tbDpT10_ENKUlT_T0_E_clISt17integral_constantIbLb0EES1F_EEDaS1A_S1B_EUlS1A_E_NS1_11comp_targetILNS1_3genE10ELNS1_11target_archE1200ELNS1_3gpuE4ELNS1_3repE0EEENS1_30default_config_static_selectorELNS0_4arch9wavefront6targetE0EEEvT1_.num_agpr, 0
	.set _ZN7rocprim17ROCPRIM_400000_NS6detail17trampoline_kernelINS0_14default_configENS1_25partition_config_selectorILNS1_17partition_subalgoE5EyNS0_10empty_typeEbEEZZNS1_14partition_implILS5_5ELb0ES3_mN6thrust23THRUST_200600_302600_NS6detail15normal_iteratorINSA_10device_ptrIyEEEEPS6_NSA_18transform_iteratorINSB_9not_fun_tI7is_trueIyEEENSC_INSD_IbEEEENSA_11use_defaultESO_EENS0_5tupleIJNSA_16discard_iteratorISO_EES6_EEENSQ_IJSG_SG_EEES6_PlJS6_EEE10hipError_tPvRmT3_T4_T5_T6_T7_T9_mT8_P12ihipStream_tbDpT10_ENKUlT_T0_E_clISt17integral_constantIbLb0EES1F_EEDaS1A_S1B_EUlS1A_E_NS1_11comp_targetILNS1_3genE10ELNS1_11target_archE1200ELNS1_3gpuE4ELNS1_3repE0EEENS1_30default_config_static_selectorELNS0_4arch9wavefront6targetE0EEEvT1_.numbered_sgpr, 24
	.set _ZN7rocprim17ROCPRIM_400000_NS6detail17trampoline_kernelINS0_14default_configENS1_25partition_config_selectorILNS1_17partition_subalgoE5EyNS0_10empty_typeEbEEZZNS1_14partition_implILS5_5ELb0ES3_mN6thrust23THRUST_200600_302600_NS6detail15normal_iteratorINSA_10device_ptrIyEEEEPS6_NSA_18transform_iteratorINSB_9not_fun_tI7is_trueIyEEENSC_INSD_IbEEEENSA_11use_defaultESO_EENS0_5tupleIJNSA_16discard_iteratorISO_EES6_EEENSQ_IJSG_SG_EEES6_PlJS6_EEE10hipError_tPvRmT3_T4_T5_T6_T7_T9_mT8_P12ihipStream_tbDpT10_ENKUlT_T0_E_clISt17integral_constantIbLb0EES1F_EEDaS1A_S1B_EUlS1A_E_NS1_11comp_targetILNS1_3genE10ELNS1_11target_archE1200ELNS1_3gpuE4ELNS1_3repE0EEENS1_30default_config_static_selectorELNS0_4arch9wavefront6targetE0EEEvT1_.num_named_barrier, 0
	.set _ZN7rocprim17ROCPRIM_400000_NS6detail17trampoline_kernelINS0_14default_configENS1_25partition_config_selectorILNS1_17partition_subalgoE5EyNS0_10empty_typeEbEEZZNS1_14partition_implILS5_5ELb0ES3_mN6thrust23THRUST_200600_302600_NS6detail15normal_iteratorINSA_10device_ptrIyEEEEPS6_NSA_18transform_iteratorINSB_9not_fun_tI7is_trueIyEEENSC_INSD_IbEEEENSA_11use_defaultESO_EENS0_5tupleIJNSA_16discard_iteratorISO_EES6_EEENSQ_IJSG_SG_EEES6_PlJS6_EEE10hipError_tPvRmT3_T4_T5_T6_T7_T9_mT8_P12ihipStream_tbDpT10_ENKUlT_T0_E_clISt17integral_constantIbLb0EES1F_EEDaS1A_S1B_EUlS1A_E_NS1_11comp_targetILNS1_3genE10ELNS1_11target_archE1200ELNS1_3gpuE4ELNS1_3repE0EEENS1_30default_config_static_selectorELNS0_4arch9wavefront6targetE0EEEvT1_.private_seg_size, 0
	.set _ZN7rocprim17ROCPRIM_400000_NS6detail17trampoline_kernelINS0_14default_configENS1_25partition_config_selectorILNS1_17partition_subalgoE5EyNS0_10empty_typeEbEEZZNS1_14partition_implILS5_5ELb0ES3_mN6thrust23THRUST_200600_302600_NS6detail15normal_iteratorINSA_10device_ptrIyEEEEPS6_NSA_18transform_iteratorINSB_9not_fun_tI7is_trueIyEEENSC_INSD_IbEEEENSA_11use_defaultESO_EENS0_5tupleIJNSA_16discard_iteratorISO_EES6_EEENSQ_IJSG_SG_EEES6_PlJS6_EEE10hipError_tPvRmT3_T4_T5_T6_T7_T9_mT8_P12ihipStream_tbDpT10_ENKUlT_T0_E_clISt17integral_constantIbLb0EES1F_EEDaS1A_S1B_EUlS1A_E_NS1_11comp_targetILNS1_3genE10ELNS1_11target_archE1200ELNS1_3gpuE4ELNS1_3repE0EEENS1_30default_config_static_selectorELNS0_4arch9wavefront6targetE0EEEvT1_.uses_vcc, 1
	.set _ZN7rocprim17ROCPRIM_400000_NS6detail17trampoline_kernelINS0_14default_configENS1_25partition_config_selectorILNS1_17partition_subalgoE5EyNS0_10empty_typeEbEEZZNS1_14partition_implILS5_5ELb0ES3_mN6thrust23THRUST_200600_302600_NS6detail15normal_iteratorINSA_10device_ptrIyEEEEPS6_NSA_18transform_iteratorINSB_9not_fun_tI7is_trueIyEEENSC_INSD_IbEEEENSA_11use_defaultESO_EENS0_5tupleIJNSA_16discard_iteratorISO_EES6_EEENSQ_IJSG_SG_EEES6_PlJS6_EEE10hipError_tPvRmT3_T4_T5_T6_T7_T9_mT8_P12ihipStream_tbDpT10_ENKUlT_T0_E_clISt17integral_constantIbLb0EES1F_EEDaS1A_S1B_EUlS1A_E_NS1_11comp_targetILNS1_3genE10ELNS1_11target_archE1200ELNS1_3gpuE4ELNS1_3repE0EEENS1_30default_config_static_selectorELNS0_4arch9wavefront6targetE0EEEvT1_.uses_flat_scratch, 1
	.set _ZN7rocprim17ROCPRIM_400000_NS6detail17trampoline_kernelINS0_14default_configENS1_25partition_config_selectorILNS1_17partition_subalgoE5EyNS0_10empty_typeEbEEZZNS1_14partition_implILS5_5ELb0ES3_mN6thrust23THRUST_200600_302600_NS6detail15normal_iteratorINSA_10device_ptrIyEEEEPS6_NSA_18transform_iteratorINSB_9not_fun_tI7is_trueIyEEENSC_INSD_IbEEEENSA_11use_defaultESO_EENS0_5tupleIJNSA_16discard_iteratorISO_EES6_EEENSQ_IJSG_SG_EEES6_PlJS6_EEE10hipError_tPvRmT3_T4_T5_T6_T7_T9_mT8_P12ihipStream_tbDpT10_ENKUlT_T0_E_clISt17integral_constantIbLb0EES1F_EEDaS1A_S1B_EUlS1A_E_NS1_11comp_targetILNS1_3genE10ELNS1_11target_archE1200ELNS1_3gpuE4ELNS1_3repE0EEENS1_30default_config_static_selectorELNS0_4arch9wavefront6targetE0EEEvT1_.has_dyn_sized_stack, 0
	.set _ZN7rocprim17ROCPRIM_400000_NS6detail17trampoline_kernelINS0_14default_configENS1_25partition_config_selectorILNS1_17partition_subalgoE5EyNS0_10empty_typeEbEEZZNS1_14partition_implILS5_5ELb0ES3_mN6thrust23THRUST_200600_302600_NS6detail15normal_iteratorINSA_10device_ptrIyEEEEPS6_NSA_18transform_iteratorINSB_9not_fun_tI7is_trueIyEEENSC_INSD_IbEEEENSA_11use_defaultESO_EENS0_5tupleIJNSA_16discard_iteratorISO_EES6_EEENSQ_IJSG_SG_EEES6_PlJS6_EEE10hipError_tPvRmT3_T4_T5_T6_T7_T9_mT8_P12ihipStream_tbDpT10_ENKUlT_T0_E_clISt17integral_constantIbLb0EES1F_EEDaS1A_S1B_EUlS1A_E_NS1_11comp_targetILNS1_3genE10ELNS1_11target_archE1200ELNS1_3gpuE4ELNS1_3repE0EEENS1_30default_config_static_selectorELNS0_4arch9wavefront6targetE0EEEvT1_.has_recursion, 0
	.set _ZN7rocprim17ROCPRIM_400000_NS6detail17trampoline_kernelINS0_14default_configENS1_25partition_config_selectorILNS1_17partition_subalgoE5EyNS0_10empty_typeEbEEZZNS1_14partition_implILS5_5ELb0ES3_mN6thrust23THRUST_200600_302600_NS6detail15normal_iteratorINSA_10device_ptrIyEEEEPS6_NSA_18transform_iteratorINSB_9not_fun_tI7is_trueIyEEENSC_INSD_IbEEEENSA_11use_defaultESO_EENS0_5tupleIJNSA_16discard_iteratorISO_EES6_EEENSQ_IJSG_SG_EEES6_PlJS6_EEE10hipError_tPvRmT3_T4_T5_T6_T7_T9_mT8_P12ihipStream_tbDpT10_ENKUlT_T0_E_clISt17integral_constantIbLb0EES1F_EEDaS1A_S1B_EUlS1A_E_NS1_11comp_targetILNS1_3genE10ELNS1_11target_archE1200ELNS1_3gpuE4ELNS1_3repE0EEENS1_30default_config_static_selectorELNS0_4arch9wavefront6targetE0EEEvT1_.has_indirect_call, 0
	.section	.AMDGPU.csdata,"",@progbits
; Kernel info:
; codeLenInByte = 6224
; TotalNumSgprs: 26
; NumVgprs: 45
; ScratchSize: 0
; MemoryBound: 0
; FloatMode: 240
; IeeeMode: 1
; LDSByteSize: 8464 bytes/workgroup (compile time only)
; SGPRBlocks: 0
; VGPRBlocks: 5
; NumSGPRsForWavesPerEU: 26
; NumVGPRsForWavesPerEU: 45
; Occupancy: 16
; WaveLimiterHint : 1
; COMPUTE_PGM_RSRC2:SCRATCH_EN: 0
; COMPUTE_PGM_RSRC2:USER_SGPR: 2
; COMPUTE_PGM_RSRC2:TRAP_HANDLER: 0
; COMPUTE_PGM_RSRC2:TGID_X_EN: 1
; COMPUTE_PGM_RSRC2:TGID_Y_EN: 0
; COMPUTE_PGM_RSRC2:TGID_Z_EN: 0
; COMPUTE_PGM_RSRC2:TIDIG_COMP_CNT: 0
	.section	.text._ZN7rocprim17ROCPRIM_400000_NS6detail17trampoline_kernelINS0_14default_configENS1_25partition_config_selectorILNS1_17partition_subalgoE5EyNS0_10empty_typeEbEEZZNS1_14partition_implILS5_5ELb0ES3_mN6thrust23THRUST_200600_302600_NS6detail15normal_iteratorINSA_10device_ptrIyEEEEPS6_NSA_18transform_iteratorINSB_9not_fun_tI7is_trueIyEEENSC_INSD_IbEEEENSA_11use_defaultESO_EENS0_5tupleIJNSA_16discard_iteratorISO_EES6_EEENSQ_IJSG_SG_EEES6_PlJS6_EEE10hipError_tPvRmT3_T4_T5_T6_T7_T9_mT8_P12ihipStream_tbDpT10_ENKUlT_T0_E_clISt17integral_constantIbLb0EES1F_EEDaS1A_S1B_EUlS1A_E_NS1_11comp_targetILNS1_3genE9ELNS1_11target_archE1100ELNS1_3gpuE3ELNS1_3repE0EEENS1_30default_config_static_selectorELNS0_4arch9wavefront6targetE0EEEvT1_,"axG",@progbits,_ZN7rocprim17ROCPRIM_400000_NS6detail17trampoline_kernelINS0_14default_configENS1_25partition_config_selectorILNS1_17partition_subalgoE5EyNS0_10empty_typeEbEEZZNS1_14partition_implILS5_5ELb0ES3_mN6thrust23THRUST_200600_302600_NS6detail15normal_iteratorINSA_10device_ptrIyEEEEPS6_NSA_18transform_iteratorINSB_9not_fun_tI7is_trueIyEEENSC_INSD_IbEEEENSA_11use_defaultESO_EENS0_5tupleIJNSA_16discard_iteratorISO_EES6_EEENSQ_IJSG_SG_EEES6_PlJS6_EEE10hipError_tPvRmT3_T4_T5_T6_T7_T9_mT8_P12ihipStream_tbDpT10_ENKUlT_T0_E_clISt17integral_constantIbLb0EES1F_EEDaS1A_S1B_EUlS1A_E_NS1_11comp_targetILNS1_3genE9ELNS1_11target_archE1100ELNS1_3gpuE3ELNS1_3repE0EEENS1_30default_config_static_selectorELNS0_4arch9wavefront6targetE0EEEvT1_,comdat
	.protected	_ZN7rocprim17ROCPRIM_400000_NS6detail17trampoline_kernelINS0_14default_configENS1_25partition_config_selectorILNS1_17partition_subalgoE5EyNS0_10empty_typeEbEEZZNS1_14partition_implILS5_5ELb0ES3_mN6thrust23THRUST_200600_302600_NS6detail15normal_iteratorINSA_10device_ptrIyEEEEPS6_NSA_18transform_iteratorINSB_9not_fun_tI7is_trueIyEEENSC_INSD_IbEEEENSA_11use_defaultESO_EENS0_5tupleIJNSA_16discard_iteratorISO_EES6_EEENSQ_IJSG_SG_EEES6_PlJS6_EEE10hipError_tPvRmT3_T4_T5_T6_T7_T9_mT8_P12ihipStream_tbDpT10_ENKUlT_T0_E_clISt17integral_constantIbLb0EES1F_EEDaS1A_S1B_EUlS1A_E_NS1_11comp_targetILNS1_3genE9ELNS1_11target_archE1100ELNS1_3gpuE3ELNS1_3repE0EEENS1_30default_config_static_selectorELNS0_4arch9wavefront6targetE0EEEvT1_ ; -- Begin function _ZN7rocprim17ROCPRIM_400000_NS6detail17trampoline_kernelINS0_14default_configENS1_25partition_config_selectorILNS1_17partition_subalgoE5EyNS0_10empty_typeEbEEZZNS1_14partition_implILS5_5ELb0ES3_mN6thrust23THRUST_200600_302600_NS6detail15normal_iteratorINSA_10device_ptrIyEEEEPS6_NSA_18transform_iteratorINSB_9not_fun_tI7is_trueIyEEENSC_INSD_IbEEEENSA_11use_defaultESO_EENS0_5tupleIJNSA_16discard_iteratorISO_EES6_EEENSQ_IJSG_SG_EEES6_PlJS6_EEE10hipError_tPvRmT3_T4_T5_T6_T7_T9_mT8_P12ihipStream_tbDpT10_ENKUlT_T0_E_clISt17integral_constantIbLb0EES1F_EEDaS1A_S1B_EUlS1A_E_NS1_11comp_targetILNS1_3genE9ELNS1_11target_archE1100ELNS1_3gpuE3ELNS1_3repE0EEENS1_30default_config_static_selectorELNS0_4arch9wavefront6targetE0EEEvT1_
	.globl	_ZN7rocprim17ROCPRIM_400000_NS6detail17trampoline_kernelINS0_14default_configENS1_25partition_config_selectorILNS1_17partition_subalgoE5EyNS0_10empty_typeEbEEZZNS1_14partition_implILS5_5ELb0ES3_mN6thrust23THRUST_200600_302600_NS6detail15normal_iteratorINSA_10device_ptrIyEEEEPS6_NSA_18transform_iteratorINSB_9not_fun_tI7is_trueIyEEENSC_INSD_IbEEEENSA_11use_defaultESO_EENS0_5tupleIJNSA_16discard_iteratorISO_EES6_EEENSQ_IJSG_SG_EEES6_PlJS6_EEE10hipError_tPvRmT3_T4_T5_T6_T7_T9_mT8_P12ihipStream_tbDpT10_ENKUlT_T0_E_clISt17integral_constantIbLb0EES1F_EEDaS1A_S1B_EUlS1A_E_NS1_11comp_targetILNS1_3genE9ELNS1_11target_archE1100ELNS1_3gpuE3ELNS1_3repE0EEENS1_30default_config_static_selectorELNS0_4arch9wavefront6targetE0EEEvT1_
	.p2align	8
	.type	_ZN7rocprim17ROCPRIM_400000_NS6detail17trampoline_kernelINS0_14default_configENS1_25partition_config_selectorILNS1_17partition_subalgoE5EyNS0_10empty_typeEbEEZZNS1_14partition_implILS5_5ELb0ES3_mN6thrust23THRUST_200600_302600_NS6detail15normal_iteratorINSA_10device_ptrIyEEEEPS6_NSA_18transform_iteratorINSB_9not_fun_tI7is_trueIyEEENSC_INSD_IbEEEENSA_11use_defaultESO_EENS0_5tupleIJNSA_16discard_iteratorISO_EES6_EEENSQ_IJSG_SG_EEES6_PlJS6_EEE10hipError_tPvRmT3_T4_T5_T6_T7_T9_mT8_P12ihipStream_tbDpT10_ENKUlT_T0_E_clISt17integral_constantIbLb0EES1F_EEDaS1A_S1B_EUlS1A_E_NS1_11comp_targetILNS1_3genE9ELNS1_11target_archE1100ELNS1_3gpuE3ELNS1_3repE0EEENS1_30default_config_static_selectorELNS0_4arch9wavefront6targetE0EEEvT1_,@function
_ZN7rocprim17ROCPRIM_400000_NS6detail17trampoline_kernelINS0_14default_configENS1_25partition_config_selectorILNS1_17partition_subalgoE5EyNS0_10empty_typeEbEEZZNS1_14partition_implILS5_5ELb0ES3_mN6thrust23THRUST_200600_302600_NS6detail15normal_iteratorINSA_10device_ptrIyEEEEPS6_NSA_18transform_iteratorINSB_9not_fun_tI7is_trueIyEEENSC_INSD_IbEEEENSA_11use_defaultESO_EENS0_5tupleIJNSA_16discard_iteratorISO_EES6_EEENSQ_IJSG_SG_EEES6_PlJS6_EEE10hipError_tPvRmT3_T4_T5_T6_T7_T9_mT8_P12ihipStream_tbDpT10_ENKUlT_T0_E_clISt17integral_constantIbLb0EES1F_EEDaS1A_S1B_EUlS1A_E_NS1_11comp_targetILNS1_3genE9ELNS1_11target_archE1100ELNS1_3gpuE3ELNS1_3repE0EEENS1_30default_config_static_selectorELNS0_4arch9wavefront6targetE0EEEvT1_: ; @_ZN7rocprim17ROCPRIM_400000_NS6detail17trampoline_kernelINS0_14default_configENS1_25partition_config_selectorILNS1_17partition_subalgoE5EyNS0_10empty_typeEbEEZZNS1_14partition_implILS5_5ELb0ES3_mN6thrust23THRUST_200600_302600_NS6detail15normal_iteratorINSA_10device_ptrIyEEEEPS6_NSA_18transform_iteratorINSB_9not_fun_tI7is_trueIyEEENSC_INSD_IbEEEENSA_11use_defaultESO_EENS0_5tupleIJNSA_16discard_iteratorISO_EES6_EEENSQ_IJSG_SG_EEES6_PlJS6_EEE10hipError_tPvRmT3_T4_T5_T6_T7_T9_mT8_P12ihipStream_tbDpT10_ENKUlT_T0_E_clISt17integral_constantIbLb0EES1F_EEDaS1A_S1B_EUlS1A_E_NS1_11comp_targetILNS1_3genE9ELNS1_11target_archE1100ELNS1_3gpuE3ELNS1_3repE0EEENS1_30default_config_static_selectorELNS0_4arch9wavefront6targetE0EEEvT1_
; %bb.0:
	.section	.rodata,"a",@progbits
	.p2align	6, 0x0
	.amdhsa_kernel _ZN7rocprim17ROCPRIM_400000_NS6detail17trampoline_kernelINS0_14default_configENS1_25partition_config_selectorILNS1_17partition_subalgoE5EyNS0_10empty_typeEbEEZZNS1_14partition_implILS5_5ELb0ES3_mN6thrust23THRUST_200600_302600_NS6detail15normal_iteratorINSA_10device_ptrIyEEEEPS6_NSA_18transform_iteratorINSB_9not_fun_tI7is_trueIyEEENSC_INSD_IbEEEENSA_11use_defaultESO_EENS0_5tupleIJNSA_16discard_iteratorISO_EES6_EEENSQ_IJSG_SG_EEES6_PlJS6_EEE10hipError_tPvRmT3_T4_T5_T6_T7_T9_mT8_P12ihipStream_tbDpT10_ENKUlT_T0_E_clISt17integral_constantIbLb0EES1F_EEDaS1A_S1B_EUlS1A_E_NS1_11comp_targetILNS1_3genE9ELNS1_11target_archE1100ELNS1_3gpuE3ELNS1_3repE0EEENS1_30default_config_static_selectorELNS0_4arch9wavefront6targetE0EEEvT1_
		.amdhsa_group_segment_fixed_size 0
		.amdhsa_private_segment_fixed_size 0
		.amdhsa_kernarg_size 128
		.amdhsa_user_sgpr_count 2
		.amdhsa_user_sgpr_dispatch_ptr 0
		.amdhsa_user_sgpr_queue_ptr 0
		.amdhsa_user_sgpr_kernarg_segment_ptr 1
		.amdhsa_user_sgpr_dispatch_id 0
		.amdhsa_user_sgpr_private_segment_size 0
		.amdhsa_wavefront_size32 1
		.amdhsa_uses_dynamic_stack 0
		.amdhsa_enable_private_segment 0
		.amdhsa_system_sgpr_workgroup_id_x 1
		.amdhsa_system_sgpr_workgroup_id_y 0
		.amdhsa_system_sgpr_workgroup_id_z 0
		.amdhsa_system_sgpr_workgroup_info 0
		.amdhsa_system_vgpr_workitem_id 0
		.amdhsa_next_free_vgpr 1
		.amdhsa_next_free_sgpr 1
		.amdhsa_reserve_vcc 0
		.amdhsa_float_round_mode_32 0
		.amdhsa_float_round_mode_16_64 0
		.amdhsa_float_denorm_mode_32 3
		.amdhsa_float_denorm_mode_16_64 3
		.amdhsa_fp16_overflow 0
		.amdhsa_workgroup_processor_mode 1
		.amdhsa_memory_ordered 1
		.amdhsa_forward_progress 1
		.amdhsa_inst_pref_size 0
		.amdhsa_round_robin_scheduling 0
		.amdhsa_exception_fp_ieee_invalid_op 0
		.amdhsa_exception_fp_denorm_src 0
		.amdhsa_exception_fp_ieee_div_zero 0
		.amdhsa_exception_fp_ieee_overflow 0
		.amdhsa_exception_fp_ieee_underflow 0
		.amdhsa_exception_fp_ieee_inexact 0
		.amdhsa_exception_int_div_zero 0
	.end_amdhsa_kernel
	.section	.text._ZN7rocprim17ROCPRIM_400000_NS6detail17trampoline_kernelINS0_14default_configENS1_25partition_config_selectorILNS1_17partition_subalgoE5EyNS0_10empty_typeEbEEZZNS1_14partition_implILS5_5ELb0ES3_mN6thrust23THRUST_200600_302600_NS6detail15normal_iteratorINSA_10device_ptrIyEEEEPS6_NSA_18transform_iteratorINSB_9not_fun_tI7is_trueIyEEENSC_INSD_IbEEEENSA_11use_defaultESO_EENS0_5tupleIJNSA_16discard_iteratorISO_EES6_EEENSQ_IJSG_SG_EEES6_PlJS6_EEE10hipError_tPvRmT3_T4_T5_T6_T7_T9_mT8_P12ihipStream_tbDpT10_ENKUlT_T0_E_clISt17integral_constantIbLb0EES1F_EEDaS1A_S1B_EUlS1A_E_NS1_11comp_targetILNS1_3genE9ELNS1_11target_archE1100ELNS1_3gpuE3ELNS1_3repE0EEENS1_30default_config_static_selectorELNS0_4arch9wavefront6targetE0EEEvT1_,"axG",@progbits,_ZN7rocprim17ROCPRIM_400000_NS6detail17trampoline_kernelINS0_14default_configENS1_25partition_config_selectorILNS1_17partition_subalgoE5EyNS0_10empty_typeEbEEZZNS1_14partition_implILS5_5ELb0ES3_mN6thrust23THRUST_200600_302600_NS6detail15normal_iteratorINSA_10device_ptrIyEEEEPS6_NSA_18transform_iteratorINSB_9not_fun_tI7is_trueIyEEENSC_INSD_IbEEEENSA_11use_defaultESO_EENS0_5tupleIJNSA_16discard_iteratorISO_EES6_EEENSQ_IJSG_SG_EEES6_PlJS6_EEE10hipError_tPvRmT3_T4_T5_T6_T7_T9_mT8_P12ihipStream_tbDpT10_ENKUlT_T0_E_clISt17integral_constantIbLb0EES1F_EEDaS1A_S1B_EUlS1A_E_NS1_11comp_targetILNS1_3genE9ELNS1_11target_archE1100ELNS1_3gpuE3ELNS1_3repE0EEENS1_30default_config_static_selectorELNS0_4arch9wavefront6targetE0EEEvT1_,comdat
.Lfunc_end2659:
	.size	_ZN7rocprim17ROCPRIM_400000_NS6detail17trampoline_kernelINS0_14default_configENS1_25partition_config_selectorILNS1_17partition_subalgoE5EyNS0_10empty_typeEbEEZZNS1_14partition_implILS5_5ELb0ES3_mN6thrust23THRUST_200600_302600_NS6detail15normal_iteratorINSA_10device_ptrIyEEEEPS6_NSA_18transform_iteratorINSB_9not_fun_tI7is_trueIyEEENSC_INSD_IbEEEENSA_11use_defaultESO_EENS0_5tupleIJNSA_16discard_iteratorISO_EES6_EEENSQ_IJSG_SG_EEES6_PlJS6_EEE10hipError_tPvRmT3_T4_T5_T6_T7_T9_mT8_P12ihipStream_tbDpT10_ENKUlT_T0_E_clISt17integral_constantIbLb0EES1F_EEDaS1A_S1B_EUlS1A_E_NS1_11comp_targetILNS1_3genE9ELNS1_11target_archE1100ELNS1_3gpuE3ELNS1_3repE0EEENS1_30default_config_static_selectorELNS0_4arch9wavefront6targetE0EEEvT1_, .Lfunc_end2659-_ZN7rocprim17ROCPRIM_400000_NS6detail17trampoline_kernelINS0_14default_configENS1_25partition_config_selectorILNS1_17partition_subalgoE5EyNS0_10empty_typeEbEEZZNS1_14partition_implILS5_5ELb0ES3_mN6thrust23THRUST_200600_302600_NS6detail15normal_iteratorINSA_10device_ptrIyEEEEPS6_NSA_18transform_iteratorINSB_9not_fun_tI7is_trueIyEEENSC_INSD_IbEEEENSA_11use_defaultESO_EENS0_5tupleIJNSA_16discard_iteratorISO_EES6_EEENSQ_IJSG_SG_EEES6_PlJS6_EEE10hipError_tPvRmT3_T4_T5_T6_T7_T9_mT8_P12ihipStream_tbDpT10_ENKUlT_T0_E_clISt17integral_constantIbLb0EES1F_EEDaS1A_S1B_EUlS1A_E_NS1_11comp_targetILNS1_3genE9ELNS1_11target_archE1100ELNS1_3gpuE3ELNS1_3repE0EEENS1_30default_config_static_selectorELNS0_4arch9wavefront6targetE0EEEvT1_
                                        ; -- End function
	.set _ZN7rocprim17ROCPRIM_400000_NS6detail17trampoline_kernelINS0_14default_configENS1_25partition_config_selectorILNS1_17partition_subalgoE5EyNS0_10empty_typeEbEEZZNS1_14partition_implILS5_5ELb0ES3_mN6thrust23THRUST_200600_302600_NS6detail15normal_iteratorINSA_10device_ptrIyEEEEPS6_NSA_18transform_iteratorINSB_9not_fun_tI7is_trueIyEEENSC_INSD_IbEEEENSA_11use_defaultESO_EENS0_5tupleIJNSA_16discard_iteratorISO_EES6_EEENSQ_IJSG_SG_EEES6_PlJS6_EEE10hipError_tPvRmT3_T4_T5_T6_T7_T9_mT8_P12ihipStream_tbDpT10_ENKUlT_T0_E_clISt17integral_constantIbLb0EES1F_EEDaS1A_S1B_EUlS1A_E_NS1_11comp_targetILNS1_3genE9ELNS1_11target_archE1100ELNS1_3gpuE3ELNS1_3repE0EEENS1_30default_config_static_selectorELNS0_4arch9wavefront6targetE0EEEvT1_.num_vgpr, 0
	.set _ZN7rocprim17ROCPRIM_400000_NS6detail17trampoline_kernelINS0_14default_configENS1_25partition_config_selectorILNS1_17partition_subalgoE5EyNS0_10empty_typeEbEEZZNS1_14partition_implILS5_5ELb0ES3_mN6thrust23THRUST_200600_302600_NS6detail15normal_iteratorINSA_10device_ptrIyEEEEPS6_NSA_18transform_iteratorINSB_9not_fun_tI7is_trueIyEEENSC_INSD_IbEEEENSA_11use_defaultESO_EENS0_5tupleIJNSA_16discard_iteratorISO_EES6_EEENSQ_IJSG_SG_EEES6_PlJS6_EEE10hipError_tPvRmT3_T4_T5_T6_T7_T9_mT8_P12ihipStream_tbDpT10_ENKUlT_T0_E_clISt17integral_constantIbLb0EES1F_EEDaS1A_S1B_EUlS1A_E_NS1_11comp_targetILNS1_3genE9ELNS1_11target_archE1100ELNS1_3gpuE3ELNS1_3repE0EEENS1_30default_config_static_selectorELNS0_4arch9wavefront6targetE0EEEvT1_.num_agpr, 0
	.set _ZN7rocprim17ROCPRIM_400000_NS6detail17trampoline_kernelINS0_14default_configENS1_25partition_config_selectorILNS1_17partition_subalgoE5EyNS0_10empty_typeEbEEZZNS1_14partition_implILS5_5ELb0ES3_mN6thrust23THRUST_200600_302600_NS6detail15normal_iteratorINSA_10device_ptrIyEEEEPS6_NSA_18transform_iteratorINSB_9not_fun_tI7is_trueIyEEENSC_INSD_IbEEEENSA_11use_defaultESO_EENS0_5tupleIJNSA_16discard_iteratorISO_EES6_EEENSQ_IJSG_SG_EEES6_PlJS6_EEE10hipError_tPvRmT3_T4_T5_T6_T7_T9_mT8_P12ihipStream_tbDpT10_ENKUlT_T0_E_clISt17integral_constantIbLb0EES1F_EEDaS1A_S1B_EUlS1A_E_NS1_11comp_targetILNS1_3genE9ELNS1_11target_archE1100ELNS1_3gpuE3ELNS1_3repE0EEENS1_30default_config_static_selectorELNS0_4arch9wavefront6targetE0EEEvT1_.numbered_sgpr, 0
	.set _ZN7rocprim17ROCPRIM_400000_NS6detail17trampoline_kernelINS0_14default_configENS1_25partition_config_selectorILNS1_17partition_subalgoE5EyNS0_10empty_typeEbEEZZNS1_14partition_implILS5_5ELb0ES3_mN6thrust23THRUST_200600_302600_NS6detail15normal_iteratorINSA_10device_ptrIyEEEEPS6_NSA_18transform_iteratorINSB_9not_fun_tI7is_trueIyEEENSC_INSD_IbEEEENSA_11use_defaultESO_EENS0_5tupleIJNSA_16discard_iteratorISO_EES6_EEENSQ_IJSG_SG_EEES6_PlJS6_EEE10hipError_tPvRmT3_T4_T5_T6_T7_T9_mT8_P12ihipStream_tbDpT10_ENKUlT_T0_E_clISt17integral_constantIbLb0EES1F_EEDaS1A_S1B_EUlS1A_E_NS1_11comp_targetILNS1_3genE9ELNS1_11target_archE1100ELNS1_3gpuE3ELNS1_3repE0EEENS1_30default_config_static_selectorELNS0_4arch9wavefront6targetE0EEEvT1_.num_named_barrier, 0
	.set _ZN7rocprim17ROCPRIM_400000_NS6detail17trampoline_kernelINS0_14default_configENS1_25partition_config_selectorILNS1_17partition_subalgoE5EyNS0_10empty_typeEbEEZZNS1_14partition_implILS5_5ELb0ES3_mN6thrust23THRUST_200600_302600_NS6detail15normal_iteratorINSA_10device_ptrIyEEEEPS6_NSA_18transform_iteratorINSB_9not_fun_tI7is_trueIyEEENSC_INSD_IbEEEENSA_11use_defaultESO_EENS0_5tupleIJNSA_16discard_iteratorISO_EES6_EEENSQ_IJSG_SG_EEES6_PlJS6_EEE10hipError_tPvRmT3_T4_T5_T6_T7_T9_mT8_P12ihipStream_tbDpT10_ENKUlT_T0_E_clISt17integral_constantIbLb0EES1F_EEDaS1A_S1B_EUlS1A_E_NS1_11comp_targetILNS1_3genE9ELNS1_11target_archE1100ELNS1_3gpuE3ELNS1_3repE0EEENS1_30default_config_static_selectorELNS0_4arch9wavefront6targetE0EEEvT1_.private_seg_size, 0
	.set _ZN7rocprim17ROCPRIM_400000_NS6detail17trampoline_kernelINS0_14default_configENS1_25partition_config_selectorILNS1_17partition_subalgoE5EyNS0_10empty_typeEbEEZZNS1_14partition_implILS5_5ELb0ES3_mN6thrust23THRUST_200600_302600_NS6detail15normal_iteratorINSA_10device_ptrIyEEEEPS6_NSA_18transform_iteratorINSB_9not_fun_tI7is_trueIyEEENSC_INSD_IbEEEENSA_11use_defaultESO_EENS0_5tupleIJNSA_16discard_iteratorISO_EES6_EEENSQ_IJSG_SG_EEES6_PlJS6_EEE10hipError_tPvRmT3_T4_T5_T6_T7_T9_mT8_P12ihipStream_tbDpT10_ENKUlT_T0_E_clISt17integral_constantIbLb0EES1F_EEDaS1A_S1B_EUlS1A_E_NS1_11comp_targetILNS1_3genE9ELNS1_11target_archE1100ELNS1_3gpuE3ELNS1_3repE0EEENS1_30default_config_static_selectorELNS0_4arch9wavefront6targetE0EEEvT1_.uses_vcc, 0
	.set _ZN7rocprim17ROCPRIM_400000_NS6detail17trampoline_kernelINS0_14default_configENS1_25partition_config_selectorILNS1_17partition_subalgoE5EyNS0_10empty_typeEbEEZZNS1_14partition_implILS5_5ELb0ES3_mN6thrust23THRUST_200600_302600_NS6detail15normal_iteratorINSA_10device_ptrIyEEEEPS6_NSA_18transform_iteratorINSB_9not_fun_tI7is_trueIyEEENSC_INSD_IbEEEENSA_11use_defaultESO_EENS0_5tupleIJNSA_16discard_iteratorISO_EES6_EEENSQ_IJSG_SG_EEES6_PlJS6_EEE10hipError_tPvRmT3_T4_T5_T6_T7_T9_mT8_P12ihipStream_tbDpT10_ENKUlT_T0_E_clISt17integral_constantIbLb0EES1F_EEDaS1A_S1B_EUlS1A_E_NS1_11comp_targetILNS1_3genE9ELNS1_11target_archE1100ELNS1_3gpuE3ELNS1_3repE0EEENS1_30default_config_static_selectorELNS0_4arch9wavefront6targetE0EEEvT1_.uses_flat_scratch, 0
	.set _ZN7rocprim17ROCPRIM_400000_NS6detail17trampoline_kernelINS0_14default_configENS1_25partition_config_selectorILNS1_17partition_subalgoE5EyNS0_10empty_typeEbEEZZNS1_14partition_implILS5_5ELb0ES3_mN6thrust23THRUST_200600_302600_NS6detail15normal_iteratorINSA_10device_ptrIyEEEEPS6_NSA_18transform_iteratorINSB_9not_fun_tI7is_trueIyEEENSC_INSD_IbEEEENSA_11use_defaultESO_EENS0_5tupleIJNSA_16discard_iteratorISO_EES6_EEENSQ_IJSG_SG_EEES6_PlJS6_EEE10hipError_tPvRmT3_T4_T5_T6_T7_T9_mT8_P12ihipStream_tbDpT10_ENKUlT_T0_E_clISt17integral_constantIbLb0EES1F_EEDaS1A_S1B_EUlS1A_E_NS1_11comp_targetILNS1_3genE9ELNS1_11target_archE1100ELNS1_3gpuE3ELNS1_3repE0EEENS1_30default_config_static_selectorELNS0_4arch9wavefront6targetE0EEEvT1_.has_dyn_sized_stack, 0
	.set _ZN7rocprim17ROCPRIM_400000_NS6detail17trampoline_kernelINS0_14default_configENS1_25partition_config_selectorILNS1_17partition_subalgoE5EyNS0_10empty_typeEbEEZZNS1_14partition_implILS5_5ELb0ES3_mN6thrust23THRUST_200600_302600_NS6detail15normal_iteratorINSA_10device_ptrIyEEEEPS6_NSA_18transform_iteratorINSB_9not_fun_tI7is_trueIyEEENSC_INSD_IbEEEENSA_11use_defaultESO_EENS0_5tupleIJNSA_16discard_iteratorISO_EES6_EEENSQ_IJSG_SG_EEES6_PlJS6_EEE10hipError_tPvRmT3_T4_T5_T6_T7_T9_mT8_P12ihipStream_tbDpT10_ENKUlT_T0_E_clISt17integral_constantIbLb0EES1F_EEDaS1A_S1B_EUlS1A_E_NS1_11comp_targetILNS1_3genE9ELNS1_11target_archE1100ELNS1_3gpuE3ELNS1_3repE0EEENS1_30default_config_static_selectorELNS0_4arch9wavefront6targetE0EEEvT1_.has_recursion, 0
	.set _ZN7rocprim17ROCPRIM_400000_NS6detail17trampoline_kernelINS0_14default_configENS1_25partition_config_selectorILNS1_17partition_subalgoE5EyNS0_10empty_typeEbEEZZNS1_14partition_implILS5_5ELb0ES3_mN6thrust23THRUST_200600_302600_NS6detail15normal_iteratorINSA_10device_ptrIyEEEEPS6_NSA_18transform_iteratorINSB_9not_fun_tI7is_trueIyEEENSC_INSD_IbEEEENSA_11use_defaultESO_EENS0_5tupleIJNSA_16discard_iteratorISO_EES6_EEENSQ_IJSG_SG_EEES6_PlJS6_EEE10hipError_tPvRmT3_T4_T5_T6_T7_T9_mT8_P12ihipStream_tbDpT10_ENKUlT_T0_E_clISt17integral_constantIbLb0EES1F_EEDaS1A_S1B_EUlS1A_E_NS1_11comp_targetILNS1_3genE9ELNS1_11target_archE1100ELNS1_3gpuE3ELNS1_3repE0EEENS1_30default_config_static_selectorELNS0_4arch9wavefront6targetE0EEEvT1_.has_indirect_call, 0
	.section	.AMDGPU.csdata,"",@progbits
; Kernel info:
; codeLenInByte = 0
; TotalNumSgprs: 0
; NumVgprs: 0
; ScratchSize: 0
; MemoryBound: 0
; FloatMode: 240
; IeeeMode: 1
; LDSByteSize: 0 bytes/workgroup (compile time only)
; SGPRBlocks: 0
; VGPRBlocks: 0
; NumSGPRsForWavesPerEU: 1
; NumVGPRsForWavesPerEU: 1
; Occupancy: 16
; WaveLimiterHint : 0
; COMPUTE_PGM_RSRC2:SCRATCH_EN: 0
; COMPUTE_PGM_RSRC2:USER_SGPR: 2
; COMPUTE_PGM_RSRC2:TRAP_HANDLER: 0
; COMPUTE_PGM_RSRC2:TGID_X_EN: 1
; COMPUTE_PGM_RSRC2:TGID_Y_EN: 0
; COMPUTE_PGM_RSRC2:TGID_Z_EN: 0
; COMPUTE_PGM_RSRC2:TIDIG_COMP_CNT: 0
	.section	.text._ZN7rocprim17ROCPRIM_400000_NS6detail17trampoline_kernelINS0_14default_configENS1_25partition_config_selectorILNS1_17partition_subalgoE5EyNS0_10empty_typeEbEEZZNS1_14partition_implILS5_5ELb0ES3_mN6thrust23THRUST_200600_302600_NS6detail15normal_iteratorINSA_10device_ptrIyEEEEPS6_NSA_18transform_iteratorINSB_9not_fun_tI7is_trueIyEEENSC_INSD_IbEEEENSA_11use_defaultESO_EENS0_5tupleIJNSA_16discard_iteratorISO_EES6_EEENSQ_IJSG_SG_EEES6_PlJS6_EEE10hipError_tPvRmT3_T4_T5_T6_T7_T9_mT8_P12ihipStream_tbDpT10_ENKUlT_T0_E_clISt17integral_constantIbLb0EES1F_EEDaS1A_S1B_EUlS1A_E_NS1_11comp_targetILNS1_3genE8ELNS1_11target_archE1030ELNS1_3gpuE2ELNS1_3repE0EEENS1_30default_config_static_selectorELNS0_4arch9wavefront6targetE0EEEvT1_,"axG",@progbits,_ZN7rocprim17ROCPRIM_400000_NS6detail17trampoline_kernelINS0_14default_configENS1_25partition_config_selectorILNS1_17partition_subalgoE5EyNS0_10empty_typeEbEEZZNS1_14partition_implILS5_5ELb0ES3_mN6thrust23THRUST_200600_302600_NS6detail15normal_iteratorINSA_10device_ptrIyEEEEPS6_NSA_18transform_iteratorINSB_9not_fun_tI7is_trueIyEEENSC_INSD_IbEEEENSA_11use_defaultESO_EENS0_5tupleIJNSA_16discard_iteratorISO_EES6_EEENSQ_IJSG_SG_EEES6_PlJS6_EEE10hipError_tPvRmT3_T4_T5_T6_T7_T9_mT8_P12ihipStream_tbDpT10_ENKUlT_T0_E_clISt17integral_constantIbLb0EES1F_EEDaS1A_S1B_EUlS1A_E_NS1_11comp_targetILNS1_3genE8ELNS1_11target_archE1030ELNS1_3gpuE2ELNS1_3repE0EEENS1_30default_config_static_selectorELNS0_4arch9wavefront6targetE0EEEvT1_,comdat
	.protected	_ZN7rocprim17ROCPRIM_400000_NS6detail17trampoline_kernelINS0_14default_configENS1_25partition_config_selectorILNS1_17partition_subalgoE5EyNS0_10empty_typeEbEEZZNS1_14partition_implILS5_5ELb0ES3_mN6thrust23THRUST_200600_302600_NS6detail15normal_iteratorINSA_10device_ptrIyEEEEPS6_NSA_18transform_iteratorINSB_9not_fun_tI7is_trueIyEEENSC_INSD_IbEEEENSA_11use_defaultESO_EENS0_5tupleIJNSA_16discard_iteratorISO_EES6_EEENSQ_IJSG_SG_EEES6_PlJS6_EEE10hipError_tPvRmT3_T4_T5_T6_T7_T9_mT8_P12ihipStream_tbDpT10_ENKUlT_T0_E_clISt17integral_constantIbLb0EES1F_EEDaS1A_S1B_EUlS1A_E_NS1_11comp_targetILNS1_3genE8ELNS1_11target_archE1030ELNS1_3gpuE2ELNS1_3repE0EEENS1_30default_config_static_selectorELNS0_4arch9wavefront6targetE0EEEvT1_ ; -- Begin function _ZN7rocprim17ROCPRIM_400000_NS6detail17trampoline_kernelINS0_14default_configENS1_25partition_config_selectorILNS1_17partition_subalgoE5EyNS0_10empty_typeEbEEZZNS1_14partition_implILS5_5ELb0ES3_mN6thrust23THRUST_200600_302600_NS6detail15normal_iteratorINSA_10device_ptrIyEEEEPS6_NSA_18transform_iteratorINSB_9not_fun_tI7is_trueIyEEENSC_INSD_IbEEEENSA_11use_defaultESO_EENS0_5tupleIJNSA_16discard_iteratorISO_EES6_EEENSQ_IJSG_SG_EEES6_PlJS6_EEE10hipError_tPvRmT3_T4_T5_T6_T7_T9_mT8_P12ihipStream_tbDpT10_ENKUlT_T0_E_clISt17integral_constantIbLb0EES1F_EEDaS1A_S1B_EUlS1A_E_NS1_11comp_targetILNS1_3genE8ELNS1_11target_archE1030ELNS1_3gpuE2ELNS1_3repE0EEENS1_30default_config_static_selectorELNS0_4arch9wavefront6targetE0EEEvT1_
	.globl	_ZN7rocprim17ROCPRIM_400000_NS6detail17trampoline_kernelINS0_14default_configENS1_25partition_config_selectorILNS1_17partition_subalgoE5EyNS0_10empty_typeEbEEZZNS1_14partition_implILS5_5ELb0ES3_mN6thrust23THRUST_200600_302600_NS6detail15normal_iteratorINSA_10device_ptrIyEEEEPS6_NSA_18transform_iteratorINSB_9not_fun_tI7is_trueIyEEENSC_INSD_IbEEEENSA_11use_defaultESO_EENS0_5tupleIJNSA_16discard_iteratorISO_EES6_EEENSQ_IJSG_SG_EEES6_PlJS6_EEE10hipError_tPvRmT3_T4_T5_T6_T7_T9_mT8_P12ihipStream_tbDpT10_ENKUlT_T0_E_clISt17integral_constantIbLb0EES1F_EEDaS1A_S1B_EUlS1A_E_NS1_11comp_targetILNS1_3genE8ELNS1_11target_archE1030ELNS1_3gpuE2ELNS1_3repE0EEENS1_30default_config_static_selectorELNS0_4arch9wavefront6targetE0EEEvT1_
	.p2align	8
	.type	_ZN7rocprim17ROCPRIM_400000_NS6detail17trampoline_kernelINS0_14default_configENS1_25partition_config_selectorILNS1_17partition_subalgoE5EyNS0_10empty_typeEbEEZZNS1_14partition_implILS5_5ELb0ES3_mN6thrust23THRUST_200600_302600_NS6detail15normal_iteratorINSA_10device_ptrIyEEEEPS6_NSA_18transform_iteratorINSB_9not_fun_tI7is_trueIyEEENSC_INSD_IbEEEENSA_11use_defaultESO_EENS0_5tupleIJNSA_16discard_iteratorISO_EES6_EEENSQ_IJSG_SG_EEES6_PlJS6_EEE10hipError_tPvRmT3_T4_T5_T6_T7_T9_mT8_P12ihipStream_tbDpT10_ENKUlT_T0_E_clISt17integral_constantIbLb0EES1F_EEDaS1A_S1B_EUlS1A_E_NS1_11comp_targetILNS1_3genE8ELNS1_11target_archE1030ELNS1_3gpuE2ELNS1_3repE0EEENS1_30default_config_static_selectorELNS0_4arch9wavefront6targetE0EEEvT1_,@function
_ZN7rocprim17ROCPRIM_400000_NS6detail17trampoline_kernelINS0_14default_configENS1_25partition_config_selectorILNS1_17partition_subalgoE5EyNS0_10empty_typeEbEEZZNS1_14partition_implILS5_5ELb0ES3_mN6thrust23THRUST_200600_302600_NS6detail15normal_iteratorINSA_10device_ptrIyEEEEPS6_NSA_18transform_iteratorINSB_9not_fun_tI7is_trueIyEEENSC_INSD_IbEEEENSA_11use_defaultESO_EENS0_5tupleIJNSA_16discard_iteratorISO_EES6_EEENSQ_IJSG_SG_EEES6_PlJS6_EEE10hipError_tPvRmT3_T4_T5_T6_T7_T9_mT8_P12ihipStream_tbDpT10_ENKUlT_T0_E_clISt17integral_constantIbLb0EES1F_EEDaS1A_S1B_EUlS1A_E_NS1_11comp_targetILNS1_3genE8ELNS1_11target_archE1030ELNS1_3gpuE2ELNS1_3repE0EEENS1_30default_config_static_selectorELNS0_4arch9wavefront6targetE0EEEvT1_: ; @_ZN7rocprim17ROCPRIM_400000_NS6detail17trampoline_kernelINS0_14default_configENS1_25partition_config_selectorILNS1_17partition_subalgoE5EyNS0_10empty_typeEbEEZZNS1_14partition_implILS5_5ELb0ES3_mN6thrust23THRUST_200600_302600_NS6detail15normal_iteratorINSA_10device_ptrIyEEEEPS6_NSA_18transform_iteratorINSB_9not_fun_tI7is_trueIyEEENSC_INSD_IbEEEENSA_11use_defaultESO_EENS0_5tupleIJNSA_16discard_iteratorISO_EES6_EEENSQ_IJSG_SG_EEES6_PlJS6_EEE10hipError_tPvRmT3_T4_T5_T6_T7_T9_mT8_P12ihipStream_tbDpT10_ENKUlT_T0_E_clISt17integral_constantIbLb0EES1F_EEDaS1A_S1B_EUlS1A_E_NS1_11comp_targetILNS1_3genE8ELNS1_11target_archE1030ELNS1_3gpuE2ELNS1_3repE0EEENS1_30default_config_static_selectorELNS0_4arch9wavefront6targetE0EEEvT1_
; %bb.0:
	.section	.rodata,"a",@progbits
	.p2align	6, 0x0
	.amdhsa_kernel _ZN7rocprim17ROCPRIM_400000_NS6detail17trampoline_kernelINS0_14default_configENS1_25partition_config_selectorILNS1_17partition_subalgoE5EyNS0_10empty_typeEbEEZZNS1_14partition_implILS5_5ELb0ES3_mN6thrust23THRUST_200600_302600_NS6detail15normal_iteratorINSA_10device_ptrIyEEEEPS6_NSA_18transform_iteratorINSB_9not_fun_tI7is_trueIyEEENSC_INSD_IbEEEENSA_11use_defaultESO_EENS0_5tupleIJNSA_16discard_iteratorISO_EES6_EEENSQ_IJSG_SG_EEES6_PlJS6_EEE10hipError_tPvRmT3_T4_T5_T6_T7_T9_mT8_P12ihipStream_tbDpT10_ENKUlT_T0_E_clISt17integral_constantIbLb0EES1F_EEDaS1A_S1B_EUlS1A_E_NS1_11comp_targetILNS1_3genE8ELNS1_11target_archE1030ELNS1_3gpuE2ELNS1_3repE0EEENS1_30default_config_static_selectorELNS0_4arch9wavefront6targetE0EEEvT1_
		.amdhsa_group_segment_fixed_size 0
		.amdhsa_private_segment_fixed_size 0
		.amdhsa_kernarg_size 128
		.amdhsa_user_sgpr_count 2
		.amdhsa_user_sgpr_dispatch_ptr 0
		.amdhsa_user_sgpr_queue_ptr 0
		.amdhsa_user_sgpr_kernarg_segment_ptr 1
		.amdhsa_user_sgpr_dispatch_id 0
		.amdhsa_user_sgpr_private_segment_size 0
		.amdhsa_wavefront_size32 1
		.amdhsa_uses_dynamic_stack 0
		.amdhsa_enable_private_segment 0
		.amdhsa_system_sgpr_workgroup_id_x 1
		.amdhsa_system_sgpr_workgroup_id_y 0
		.amdhsa_system_sgpr_workgroup_id_z 0
		.amdhsa_system_sgpr_workgroup_info 0
		.amdhsa_system_vgpr_workitem_id 0
		.amdhsa_next_free_vgpr 1
		.amdhsa_next_free_sgpr 1
		.amdhsa_reserve_vcc 0
		.amdhsa_float_round_mode_32 0
		.amdhsa_float_round_mode_16_64 0
		.amdhsa_float_denorm_mode_32 3
		.amdhsa_float_denorm_mode_16_64 3
		.amdhsa_fp16_overflow 0
		.amdhsa_workgroup_processor_mode 1
		.amdhsa_memory_ordered 1
		.amdhsa_forward_progress 1
		.amdhsa_inst_pref_size 0
		.amdhsa_round_robin_scheduling 0
		.amdhsa_exception_fp_ieee_invalid_op 0
		.amdhsa_exception_fp_denorm_src 0
		.amdhsa_exception_fp_ieee_div_zero 0
		.amdhsa_exception_fp_ieee_overflow 0
		.amdhsa_exception_fp_ieee_underflow 0
		.amdhsa_exception_fp_ieee_inexact 0
		.amdhsa_exception_int_div_zero 0
	.end_amdhsa_kernel
	.section	.text._ZN7rocprim17ROCPRIM_400000_NS6detail17trampoline_kernelINS0_14default_configENS1_25partition_config_selectorILNS1_17partition_subalgoE5EyNS0_10empty_typeEbEEZZNS1_14partition_implILS5_5ELb0ES3_mN6thrust23THRUST_200600_302600_NS6detail15normal_iteratorINSA_10device_ptrIyEEEEPS6_NSA_18transform_iteratorINSB_9not_fun_tI7is_trueIyEEENSC_INSD_IbEEEENSA_11use_defaultESO_EENS0_5tupleIJNSA_16discard_iteratorISO_EES6_EEENSQ_IJSG_SG_EEES6_PlJS6_EEE10hipError_tPvRmT3_T4_T5_T6_T7_T9_mT8_P12ihipStream_tbDpT10_ENKUlT_T0_E_clISt17integral_constantIbLb0EES1F_EEDaS1A_S1B_EUlS1A_E_NS1_11comp_targetILNS1_3genE8ELNS1_11target_archE1030ELNS1_3gpuE2ELNS1_3repE0EEENS1_30default_config_static_selectorELNS0_4arch9wavefront6targetE0EEEvT1_,"axG",@progbits,_ZN7rocprim17ROCPRIM_400000_NS6detail17trampoline_kernelINS0_14default_configENS1_25partition_config_selectorILNS1_17partition_subalgoE5EyNS0_10empty_typeEbEEZZNS1_14partition_implILS5_5ELb0ES3_mN6thrust23THRUST_200600_302600_NS6detail15normal_iteratorINSA_10device_ptrIyEEEEPS6_NSA_18transform_iteratorINSB_9not_fun_tI7is_trueIyEEENSC_INSD_IbEEEENSA_11use_defaultESO_EENS0_5tupleIJNSA_16discard_iteratorISO_EES6_EEENSQ_IJSG_SG_EEES6_PlJS6_EEE10hipError_tPvRmT3_T4_T5_T6_T7_T9_mT8_P12ihipStream_tbDpT10_ENKUlT_T0_E_clISt17integral_constantIbLb0EES1F_EEDaS1A_S1B_EUlS1A_E_NS1_11comp_targetILNS1_3genE8ELNS1_11target_archE1030ELNS1_3gpuE2ELNS1_3repE0EEENS1_30default_config_static_selectorELNS0_4arch9wavefront6targetE0EEEvT1_,comdat
.Lfunc_end2660:
	.size	_ZN7rocprim17ROCPRIM_400000_NS6detail17trampoline_kernelINS0_14default_configENS1_25partition_config_selectorILNS1_17partition_subalgoE5EyNS0_10empty_typeEbEEZZNS1_14partition_implILS5_5ELb0ES3_mN6thrust23THRUST_200600_302600_NS6detail15normal_iteratorINSA_10device_ptrIyEEEEPS6_NSA_18transform_iteratorINSB_9not_fun_tI7is_trueIyEEENSC_INSD_IbEEEENSA_11use_defaultESO_EENS0_5tupleIJNSA_16discard_iteratorISO_EES6_EEENSQ_IJSG_SG_EEES6_PlJS6_EEE10hipError_tPvRmT3_T4_T5_T6_T7_T9_mT8_P12ihipStream_tbDpT10_ENKUlT_T0_E_clISt17integral_constantIbLb0EES1F_EEDaS1A_S1B_EUlS1A_E_NS1_11comp_targetILNS1_3genE8ELNS1_11target_archE1030ELNS1_3gpuE2ELNS1_3repE0EEENS1_30default_config_static_selectorELNS0_4arch9wavefront6targetE0EEEvT1_, .Lfunc_end2660-_ZN7rocprim17ROCPRIM_400000_NS6detail17trampoline_kernelINS0_14default_configENS1_25partition_config_selectorILNS1_17partition_subalgoE5EyNS0_10empty_typeEbEEZZNS1_14partition_implILS5_5ELb0ES3_mN6thrust23THRUST_200600_302600_NS6detail15normal_iteratorINSA_10device_ptrIyEEEEPS6_NSA_18transform_iteratorINSB_9not_fun_tI7is_trueIyEEENSC_INSD_IbEEEENSA_11use_defaultESO_EENS0_5tupleIJNSA_16discard_iteratorISO_EES6_EEENSQ_IJSG_SG_EEES6_PlJS6_EEE10hipError_tPvRmT3_T4_T5_T6_T7_T9_mT8_P12ihipStream_tbDpT10_ENKUlT_T0_E_clISt17integral_constantIbLb0EES1F_EEDaS1A_S1B_EUlS1A_E_NS1_11comp_targetILNS1_3genE8ELNS1_11target_archE1030ELNS1_3gpuE2ELNS1_3repE0EEENS1_30default_config_static_selectorELNS0_4arch9wavefront6targetE0EEEvT1_
                                        ; -- End function
	.set _ZN7rocprim17ROCPRIM_400000_NS6detail17trampoline_kernelINS0_14default_configENS1_25partition_config_selectorILNS1_17partition_subalgoE5EyNS0_10empty_typeEbEEZZNS1_14partition_implILS5_5ELb0ES3_mN6thrust23THRUST_200600_302600_NS6detail15normal_iteratorINSA_10device_ptrIyEEEEPS6_NSA_18transform_iteratorINSB_9not_fun_tI7is_trueIyEEENSC_INSD_IbEEEENSA_11use_defaultESO_EENS0_5tupleIJNSA_16discard_iteratorISO_EES6_EEENSQ_IJSG_SG_EEES6_PlJS6_EEE10hipError_tPvRmT3_T4_T5_T6_T7_T9_mT8_P12ihipStream_tbDpT10_ENKUlT_T0_E_clISt17integral_constantIbLb0EES1F_EEDaS1A_S1B_EUlS1A_E_NS1_11comp_targetILNS1_3genE8ELNS1_11target_archE1030ELNS1_3gpuE2ELNS1_3repE0EEENS1_30default_config_static_selectorELNS0_4arch9wavefront6targetE0EEEvT1_.num_vgpr, 0
	.set _ZN7rocprim17ROCPRIM_400000_NS6detail17trampoline_kernelINS0_14default_configENS1_25partition_config_selectorILNS1_17partition_subalgoE5EyNS0_10empty_typeEbEEZZNS1_14partition_implILS5_5ELb0ES3_mN6thrust23THRUST_200600_302600_NS6detail15normal_iteratorINSA_10device_ptrIyEEEEPS6_NSA_18transform_iteratorINSB_9not_fun_tI7is_trueIyEEENSC_INSD_IbEEEENSA_11use_defaultESO_EENS0_5tupleIJNSA_16discard_iteratorISO_EES6_EEENSQ_IJSG_SG_EEES6_PlJS6_EEE10hipError_tPvRmT3_T4_T5_T6_T7_T9_mT8_P12ihipStream_tbDpT10_ENKUlT_T0_E_clISt17integral_constantIbLb0EES1F_EEDaS1A_S1B_EUlS1A_E_NS1_11comp_targetILNS1_3genE8ELNS1_11target_archE1030ELNS1_3gpuE2ELNS1_3repE0EEENS1_30default_config_static_selectorELNS0_4arch9wavefront6targetE0EEEvT1_.num_agpr, 0
	.set _ZN7rocprim17ROCPRIM_400000_NS6detail17trampoline_kernelINS0_14default_configENS1_25partition_config_selectorILNS1_17partition_subalgoE5EyNS0_10empty_typeEbEEZZNS1_14partition_implILS5_5ELb0ES3_mN6thrust23THRUST_200600_302600_NS6detail15normal_iteratorINSA_10device_ptrIyEEEEPS6_NSA_18transform_iteratorINSB_9not_fun_tI7is_trueIyEEENSC_INSD_IbEEEENSA_11use_defaultESO_EENS0_5tupleIJNSA_16discard_iteratorISO_EES6_EEENSQ_IJSG_SG_EEES6_PlJS6_EEE10hipError_tPvRmT3_T4_T5_T6_T7_T9_mT8_P12ihipStream_tbDpT10_ENKUlT_T0_E_clISt17integral_constantIbLb0EES1F_EEDaS1A_S1B_EUlS1A_E_NS1_11comp_targetILNS1_3genE8ELNS1_11target_archE1030ELNS1_3gpuE2ELNS1_3repE0EEENS1_30default_config_static_selectorELNS0_4arch9wavefront6targetE0EEEvT1_.numbered_sgpr, 0
	.set _ZN7rocprim17ROCPRIM_400000_NS6detail17trampoline_kernelINS0_14default_configENS1_25partition_config_selectorILNS1_17partition_subalgoE5EyNS0_10empty_typeEbEEZZNS1_14partition_implILS5_5ELb0ES3_mN6thrust23THRUST_200600_302600_NS6detail15normal_iteratorINSA_10device_ptrIyEEEEPS6_NSA_18transform_iteratorINSB_9not_fun_tI7is_trueIyEEENSC_INSD_IbEEEENSA_11use_defaultESO_EENS0_5tupleIJNSA_16discard_iteratorISO_EES6_EEENSQ_IJSG_SG_EEES6_PlJS6_EEE10hipError_tPvRmT3_T4_T5_T6_T7_T9_mT8_P12ihipStream_tbDpT10_ENKUlT_T0_E_clISt17integral_constantIbLb0EES1F_EEDaS1A_S1B_EUlS1A_E_NS1_11comp_targetILNS1_3genE8ELNS1_11target_archE1030ELNS1_3gpuE2ELNS1_3repE0EEENS1_30default_config_static_selectorELNS0_4arch9wavefront6targetE0EEEvT1_.num_named_barrier, 0
	.set _ZN7rocprim17ROCPRIM_400000_NS6detail17trampoline_kernelINS0_14default_configENS1_25partition_config_selectorILNS1_17partition_subalgoE5EyNS0_10empty_typeEbEEZZNS1_14partition_implILS5_5ELb0ES3_mN6thrust23THRUST_200600_302600_NS6detail15normal_iteratorINSA_10device_ptrIyEEEEPS6_NSA_18transform_iteratorINSB_9not_fun_tI7is_trueIyEEENSC_INSD_IbEEEENSA_11use_defaultESO_EENS0_5tupleIJNSA_16discard_iteratorISO_EES6_EEENSQ_IJSG_SG_EEES6_PlJS6_EEE10hipError_tPvRmT3_T4_T5_T6_T7_T9_mT8_P12ihipStream_tbDpT10_ENKUlT_T0_E_clISt17integral_constantIbLb0EES1F_EEDaS1A_S1B_EUlS1A_E_NS1_11comp_targetILNS1_3genE8ELNS1_11target_archE1030ELNS1_3gpuE2ELNS1_3repE0EEENS1_30default_config_static_selectorELNS0_4arch9wavefront6targetE0EEEvT1_.private_seg_size, 0
	.set _ZN7rocprim17ROCPRIM_400000_NS6detail17trampoline_kernelINS0_14default_configENS1_25partition_config_selectorILNS1_17partition_subalgoE5EyNS0_10empty_typeEbEEZZNS1_14partition_implILS5_5ELb0ES3_mN6thrust23THRUST_200600_302600_NS6detail15normal_iteratorINSA_10device_ptrIyEEEEPS6_NSA_18transform_iteratorINSB_9not_fun_tI7is_trueIyEEENSC_INSD_IbEEEENSA_11use_defaultESO_EENS0_5tupleIJNSA_16discard_iteratorISO_EES6_EEENSQ_IJSG_SG_EEES6_PlJS6_EEE10hipError_tPvRmT3_T4_T5_T6_T7_T9_mT8_P12ihipStream_tbDpT10_ENKUlT_T0_E_clISt17integral_constantIbLb0EES1F_EEDaS1A_S1B_EUlS1A_E_NS1_11comp_targetILNS1_3genE8ELNS1_11target_archE1030ELNS1_3gpuE2ELNS1_3repE0EEENS1_30default_config_static_selectorELNS0_4arch9wavefront6targetE0EEEvT1_.uses_vcc, 0
	.set _ZN7rocprim17ROCPRIM_400000_NS6detail17trampoline_kernelINS0_14default_configENS1_25partition_config_selectorILNS1_17partition_subalgoE5EyNS0_10empty_typeEbEEZZNS1_14partition_implILS5_5ELb0ES3_mN6thrust23THRUST_200600_302600_NS6detail15normal_iteratorINSA_10device_ptrIyEEEEPS6_NSA_18transform_iteratorINSB_9not_fun_tI7is_trueIyEEENSC_INSD_IbEEEENSA_11use_defaultESO_EENS0_5tupleIJNSA_16discard_iteratorISO_EES6_EEENSQ_IJSG_SG_EEES6_PlJS6_EEE10hipError_tPvRmT3_T4_T5_T6_T7_T9_mT8_P12ihipStream_tbDpT10_ENKUlT_T0_E_clISt17integral_constantIbLb0EES1F_EEDaS1A_S1B_EUlS1A_E_NS1_11comp_targetILNS1_3genE8ELNS1_11target_archE1030ELNS1_3gpuE2ELNS1_3repE0EEENS1_30default_config_static_selectorELNS0_4arch9wavefront6targetE0EEEvT1_.uses_flat_scratch, 0
	.set _ZN7rocprim17ROCPRIM_400000_NS6detail17trampoline_kernelINS0_14default_configENS1_25partition_config_selectorILNS1_17partition_subalgoE5EyNS0_10empty_typeEbEEZZNS1_14partition_implILS5_5ELb0ES3_mN6thrust23THRUST_200600_302600_NS6detail15normal_iteratorINSA_10device_ptrIyEEEEPS6_NSA_18transform_iteratorINSB_9not_fun_tI7is_trueIyEEENSC_INSD_IbEEEENSA_11use_defaultESO_EENS0_5tupleIJNSA_16discard_iteratorISO_EES6_EEENSQ_IJSG_SG_EEES6_PlJS6_EEE10hipError_tPvRmT3_T4_T5_T6_T7_T9_mT8_P12ihipStream_tbDpT10_ENKUlT_T0_E_clISt17integral_constantIbLb0EES1F_EEDaS1A_S1B_EUlS1A_E_NS1_11comp_targetILNS1_3genE8ELNS1_11target_archE1030ELNS1_3gpuE2ELNS1_3repE0EEENS1_30default_config_static_selectorELNS0_4arch9wavefront6targetE0EEEvT1_.has_dyn_sized_stack, 0
	.set _ZN7rocprim17ROCPRIM_400000_NS6detail17trampoline_kernelINS0_14default_configENS1_25partition_config_selectorILNS1_17partition_subalgoE5EyNS0_10empty_typeEbEEZZNS1_14partition_implILS5_5ELb0ES3_mN6thrust23THRUST_200600_302600_NS6detail15normal_iteratorINSA_10device_ptrIyEEEEPS6_NSA_18transform_iteratorINSB_9not_fun_tI7is_trueIyEEENSC_INSD_IbEEEENSA_11use_defaultESO_EENS0_5tupleIJNSA_16discard_iteratorISO_EES6_EEENSQ_IJSG_SG_EEES6_PlJS6_EEE10hipError_tPvRmT3_T4_T5_T6_T7_T9_mT8_P12ihipStream_tbDpT10_ENKUlT_T0_E_clISt17integral_constantIbLb0EES1F_EEDaS1A_S1B_EUlS1A_E_NS1_11comp_targetILNS1_3genE8ELNS1_11target_archE1030ELNS1_3gpuE2ELNS1_3repE0EEENS1_30default_config_static_selectorELNS0_4arch9wavefront6targetE0EEEvT1_.has_recursion, 0
	.set _ZN7rocprim17ROCPRIM_400000_NS6detail17trampoline_kernelINS0_14default_configENS1_25partition_config_selectorILNS1_17partition_subalgoE5EyNS0_10empty_typeEbEEZZNS1_14partition_implILS5_5ELb0ES3_mN6thrust23THRUST_200600_302600_NS6detail15normal_iteratorINSA_10device_ptrIyEEEEPS6_NSA_18transform_iteratorINSB_9not_fun_tI7is_trueIyEEENSC_INSD_IbEEEENSA_11use_defaultESO_EENS0_5tupleIJNSA_16discard_iteratorISO_EES6_EEENSQ_IJSG_SG_EEES6_PlJS6_EEE10hipError_tPvRmT3_T4_T5_T6_T7_T9_mT8_P12ihipStream_tbDpT10_ENKUlT_T0_E_clISt17integral_constantIbLb0EES1F_EEDaS1A_S1B_EUlS1A_E_NS1_11comp_targetILNS1_3genE8ELNS1_11target_archE1030ELNS1_3gpuE2ELNS1_3repE0EEENS1_30default_config_static_selectorELNS0_4arch9wavefront6targetE0EEEvT1_.has_indirect_call, 0
	.section	.AMDGPU.csdata,"",@progbits
; Kernel info:
; codeLenInByte = 0
; TotalNumSgprs: 0
; NumVgprs: 0
; ScratchSize: 0
; MemoryBound: 0
; FloatMode: 240
; IeeeMode: 1
; LDSByteSize: 0 bytes/workgroup (compile time only)
; SGPRBlocks: 0
; VGPRBlocks: 0
; NumSGPRsForWavesPerEU: 1
; NumVGPRsForWavesPerEU: 1
; Occupancy: 16
; WaveLimiterHint : 0
; COMPUTE_PGM_RSRC2:SCRATCH_EN: 0
; COMPUTE_PGM_RSRC2:USER_SGPR: 2
; COMPUTE_PGM_RSRC2:TRAP_HANDLER: 0
; COMPUTE_PGM_RSRC2:TGID_X_EN: 1
; COMPUTE_PGM_RSRC2:TGID_Y_EN: 0
; COMPUTE_PGM_RSRC2:TGID_Z_EN: 0
; COMPUTE_PGM_RSRC2:TIDIG_COMP_CNT: 0
	.section	.text._ZN7rocprim17ROCPRIM_400000_NS6detail17trampoline_kernelINS0_14default_configENS1_25partition_config_selectorILNS1_17partition_subalgoE5EyNS0_10empty_typeEbEEZZNS1_14partition_implILS5_5ELb0ES3_mN6thrust23THRUST_200600_302600_NS6detail15normal_iteratorINSA_10device_ptrIyEEEEPS6_NSA_18transform_iteratorINSB_9not_fun_tI7is_trueIyEEENSC_INSD_IbEEEENSA_11use_defaultESO_EENS0_5tupleIJNSA_16discard_iteratorISO_EES6_EEENSQ_IJSG_SG_EEES6_PlJS6_EEE10hipError_tPvRmT3_T4_T5_T6_T7_T9_mT8_P12ihipStream_tbDpT10_ENKUlT_T0_E_clISt17integral_constantIbLb1EES1F_EEDaS1A_S1B_EUlS1A_E_NS1_11comp_targetILNS1_3genE0ELNS1_11target_archE4294967295ELNS1_3gpuE0ELNS1_3repE0EEENS1_30default_config_static_selectorELNS0_4arch9wavefront6targetE0EEEvT1_,"axG",@progbits,_ZN7rocprim17ROCPRIM_400000_NS6detail17trampoline_kernelINS0_14default_configENS1_25partition_config_selectorILNS1_17partition_subalgoE5EyNS0_10empty_typeEbEEZZNS1_14partition_implILS5_5ELb0ES3_mN6thrust23THRUST_200600_302600_NS6detail15normal_iteratorINSA_10device_ptrIyEEEEPS6_NSA_18transform_iteratorINSB_9not_fun_tI7is_trueIyEEENSC_INSD_IbEEEENSA_11use_defaultESO_EENS0_5tupleIJNSA_16discard_iteratorISO_EES6_EEENSQ_IJSG_SG_EEES6_PlJS6_EEE10hipError_tPvRmT3_T4_T5_T6_T7_T9_mT8_P12ihipStream_tbDpT10_ENKUlT_T0_E_clISt17integral_constantIbLb1EES1F_EEDaS1A_S1B_EUlS1A_E_NS1_11comp_targetILNS1_3genE0ELNS1_11target_archE4294967295ELNS1_3gpuE0ELNS1_3repE0EEENS1_30default_config_static_selectorELNS0_4arch9wavefront6targetE0EEEvT1_,comdat
	.protected	_ZN7rocprim17ROCPRIM_400000_NS6detail17trampoline_kernelINS0_14default_configENS1_25partition_config_selectorILNS1_17partition_subalgoE5EyNS0_10empty_typeEbEEZZNS1_14partition_implILS5_5ELb0ES3_mN6thrust23THRUST_200600_302600_NS6detail15normal_iteratorINSA_10device_ptrIyEEEEPS6_NSA_18transform_iteratorINSB_9not_fun_tI7is_trueIyEEENSC_INSD_IbEEEENSA_11use_defaultESO_EENS0_5tupleIJNSA_16discard_iteratorISO_EES6_EEENSQ_IJSG_SG_EEES6_PlJS6_EEE10hipError_tPvRmT3_T4_T5_T6_T7_T9_mT8_P12ihipStream_tbDpT10_ENKUlT_T0_E_clISt17integral_constantIbLb1EES1F_EEDaS1A_S1B_EUlS1A_E_NS1_11comp_targetILNS1_3genE0ELNS1_11target_archE4294967295ELNS1_3gpuE0ELNS1_3repE0EEENS1_30default_config_static_selectorELNS0_4arch9wavefront6targetE0EEEvT1_ ; -- Begin function _ZN7rocprim17ROCPRIM_400000_NS6detail17trampoline_kernelINS0_14default_configENS1_25partition_config_selectorILNS1_17partition_subalgoE5EyNS0_10empty_typeEbEEZZNS1_14partition_implILS5_5ELb0ES3_mN6thrust23THRUST_200600_302600_NS6detail15normal_iteratorINSA_10device_ptrIyEEEEPS6_NSA_18transform_iteratorINSB_9not_fun_tI7is_trueIyEEENSC_INSD_IbEEEENSA_11use_defaultESO_EENS0_5tupleIJNSA_16discard_iteratorISO_EES6_EEENSQ_IJSG_SG_EEES6_PlJS6_EEE10hipError_tPvRmT3_T4_T5_T6_T7_T9_mT8_P12ihipStream_tbDpT10_ENKUlT_T0_E_clISt17integral_constantIbLb1EES1F_EEDaS1A_S1B_EUlS1A_E_NS1_11comp_targetILNS1_3genE0ELNS1_11target_archE4294967295ELNS1_3gpuE0ELNS1_3repE0EEENS1_30default_config_static_selectorELNS0_4arch9wavefront6targetE0EEEvT1_
	.globl	_ZN7rocprim17ROCPRIM_400000_NS6detail17trampoline_kernelINS0_14default_configENS1_25partition_config_selectorILNS1_17partition_subalgoE5EyNS0_10empty_typeEbEEZZNS1_14partition_implILS5_5ELb0ES3_mN6thrust23THRUST_200600_302600_NS6detail15normal_iteratorINSA_10device_ptrIyEEEEPS6_NSA_18transform_iteratorINSB_9not_fun_tI7is_trueIyEEENSC_INSD_IbEEEENSA_11use_defaultESO_EENS0_5tupleIJNSA_16discard_iteratorISO_EES6_EEENSQ_IJSG_SG_EEES6_PlJS6_EEE10hipError_tPvRmT3_T4_T5_T6_T7_T9_mT8_P12ihipStream_tbDpT10_ENKUlT_T0_E_clISt17integral_constantIbLb1EES1F_EEDaS1A_S1B_EUlS1A_E_NS1_11comp_targetILNS1_3genE0ELNS1_11target_archE4294967295ELNS1_3gpuE0ELNS1_3repE0EEENS1_30default_config_static_selectorELNS0_4arch9wavefront6targetE0EEEvT1_
	.p2align	8
	.type	_ZN7rocprim17ROCPRIM_400000_NS6detail17trampoline_kernelINS0_14default_configENS1_25partition_config_selectorILNS1_17partition_subalgoE5EyNS0_10empty_typeEbEEZZNS1_14partition_implILS5_5ELb0ES3_mN6thrust23THRUST_200600_302600_NS6detail15normal_iteratorINSA_10device_ptrIyEEEEPS6_NSA_18transform_iteratorINSB_9not_fun_tI7is_trueIyEEENSC_INSD_IbEEEENSA_11use_defaultESO_EENS0_5tupleIJNSA_16discard_iteratorISO_EES6_EEENSQ_IJSG_SG_EEES6_PlJS6_EEE10hipError_tPvRmT3_T4_T5_T6_T7_T9_mT8_P12ihipStream_tbDpT10_ENKUlT_T0_E_clISt17integral_constantIbLb1EES1F_EEDaS1A_S1B_EUlS1A_E_NS1_11comp_targetILNS1_3genE0ELNS1_11target_archE4294967295ELNS1_3gpuE0ELNS1_3repE0EEENS1_30default_config_static_selectorELNS0_4arch9wavefront6targetE0EEEvT1_,@function
_ZN7rocprim17ROCPRIM_400000_NS6detail17trampoline_kernelINS0_14default_configENS1_25partition_config_selectorILNS1_17partition_subalgoE5EyNS0_10empty_typeEbEEZZNS1_14partition_implILS5_5ELb0ES3_mN6thrust23THRUST_200600_302600_NS6detail15normal_iteratorINSA_10device_ptrIyEEEEPS6_NSA_18transform_iteratorINSB_9not_fun_tI7is_trueIyEEENSC_INSD_IbEEEENSA_11use_defaultESO_EENS0_5tupleIJNSA_16discard_iteratorISO_EES6_EEENSQ_IJSG_SG_EEES6_PlJS6_EEE10hipError_tPvRmT3_T4_T5_T6_T7_T9_mT8_P12ihipStream_tbDpT10_ENKUlT_T0_E_clISt17integral_constantIbLb1EES1F_EEDaS1A_S1B_EUlS1A_E_NS1_11comp_targetILNS1_3genE0ELNS1_11target_archE4294967295ELNS1_3gpuE0ELNS1_3repE0EEENS1_30default_config_static_selectorELNS0_4arch9wavefront6targetE0EEEvT1_: ; @_ZN7rocprim17ROCPRIM_400000_NS6detail17trampoline_kernelINS0_14default_configENS1_25partition_config_selectorILNS1_17partition_subalgoE5EyNS0_10empty_typeEbEEZZNS1_14partition_implILS5_5ELb0ES3_mN6thrust23THRUST_200600_302600_NS6detail15normal_iteratorINSA_10device_ptrIyEEEEPS6_NSA_18transform_iteratorINSB_9not_fun_tI7is_trueIyEEENSC_INSD_IbEEEENSA_11use_defaultESO_EENS0_5tupleIJNSA_16discard_iteratorISO_EES6_EEENSQ_IJSG_SG_EEES6_PlJS6_EEE10hipError_tPvRmT3_T4_T5_T6_T7_T9_mT8_P12ihipStream_tbDpT10_ENKUlT_T0_E_clISt17integral_constantIbLb1EES1F_EEDaS1A_S1B_EUlS1A_E_NS1_11comp_targetILNS1_3genE0ELNS1_11target_archE4294967295ELNS1_3gpuE0ELNS1_3repE0EEENS1_30default_config_static_selectorELNS0_4arch9wavefront6targetE0EEEvT1_
; %bb.0:
	.section	.rodata,"a",@progbits
	.p2align	6, 0x0
	.amdhsa_kernel _ZN7rocprim17ROCPRIM_400000_NS6detail17trampoline_kernelINS0_14default_configENS1_25partition_config_selectorILNS1_17partition_subalgoE5EyNS0_10empty_typeEbEEZZNS1_14partition_implILS5_5ELb0ES3_mN6thrust23THRUST_200600_302600_NS6detail15normal_iteratorINSA_10device_ptrIyEEEEPS6_NSA_18transform_iteratorINSB_9not_fun_tI7is_trueIyEEENSC_INSD_IbEEEENSA_11use_defaultESO_EENS0_5tupleIJNSA_16discard_iteratorISO_EES6_EEENSQ_IJSG_SG_EEES6_PlJS6_EEE10hipError_tPvRmT3_T4_T5_T6_T7_T9_mT8_P12ihipStream_tbDpT10_ENKUlT_T0_E_clISt17integral_constantIbLb1EES1F_EEDaS1A_S1B_EUlS1A_E_NS1_11comp_targetILNS1_3genE0ELNS1_11target_archE4294967295ELNS1_3gpuE0ELNS1_3repE0EEENS1_30default_config_static_selectorELNS0_4arch9wavefront6targetE0EEEvT1_
		.amdhsa_group_segment_fixed_size 0
		.amdhsa_private_segment_fixed_size 0
		.amdhsa_kernarg_size 144
		.amdhsa_user_sgpr_count 2
		.amdhsa_user_sgpr_dispatch_ptr 0
		.amdhsa_user_sgpr_queue_ptr 0
		.amdhsa_user_sgpr_kernarg_segment_ptr 1
		.amdhsa_user_sgpr_dispatch_id 0
		.amdhsa_user_sgpr_private_segment_size 0
		.amdhsa_wavefront_size32 1
		.amdhsa_uses_dynamic_stack 0
		.amdhsa_enable_private_segment 0
		.amdhsa_system_sgpr_workgroup_id_x 1
		.amdhsa_system_sgpr_workgroup_id_y 0
		.amdhsa_system_sgpr_workgroup_id_z 0
		.amdhsa_system_sgpr_workgroup_info 0
		.amdhsa_system_vgpr_workitem_id 0
		.amdhsa_next_free_vgpr 1
		.amdhsa_next_free_sgpr 1
		.amdhsa_reserve_vcc 0
		.amdhsa_float_round_mode_32 0
		.amdhsa_float_round_mode_16_64 0
		.amdhsa_float_denorm_mode_32 3
		.amdhsa_float_denorm_mode_16_64 3
		.amdhsa_fp16_overflow 0
		.amdhsa_workgroup_processor_mode 1
		.amdhsa_memory_ordered 1
		.amdhsa_forward_progress 1
		.amdhsa_inst_pref_size 0
		.amdhsa_round_robin_scheduling 0
		.amdhsa_exception_fp_ieee_invalid_op 0
		.amdhsa_exception_fp_denorm_src 0
		.amdhsa_exception_fp_ieee_div_zero 0
		.amdhsa_exception_fp_ieee_overflow 0
		.amdhsa_exception_fp_ieee_underflow 0
		.amdhsa_exception_fp_ieee_inexact 0
		.amdhsa_exception_int_div_zero 0
	.end_amdhsa_kernel
	.section	.text._ZN7rocprim17ROCPRIM_400000_NS6detail17trampoline_kernelINS0_14default_configENS1_25partition_config_selectorILNS1_17partition_subalgoE5EyNS0_10empty_typeEbEEZZNS1_14partition_implILS5_5ELb0ES3_mN6thrust23THRUST_200600_302600_NS6detail15normal_iteratorINSA_10device_ptrIyEEEEPS6_NSA_18transform_iteratorINSB_9not_fun_tI7is_trueIyEEENSC_INSD_IbEEEENSA_11use_defaultESO_EENS0_5tupleIJNSA_16discard_iteratorISO_EES6_EEENSQ_IJSG_SG_EEES6_PlJS6_EEE10hipError_tPvRmT3_T4_T5_T6_T7_T9_mT8_P12ihipStream_tbDpT10_ENKUlT_T0_E_clISt17integral_constantIbLb1EES1F_EEDaS1A_S1B_EUlS1A_E_NS1_11comp_targetILNS1_3genE0ELNS1_11target_archE4294967295ELNS1_3gpuE0ELNS1_3repE0EEENS1_30default_config_static_selectorELNS0_4arch9wavefront6targetE0EEEvT1_,"axG",@progbits,_ZN7rocprim17ROCPRIM_400000_NS6detail17trampoline_kernelINS0_14default_configENS1_25partition_config_selectorILNS1_17partition_subalgoE5EyNS0_10empty_typeEbEEZZNS1_14partition_implILS5_5ELb0ES3_mN6thrust23THRUST_200600_302600_NS6detail15normal_iteratorINSA_10device_ptrIyEEEEPS6_NSA_18transform_iteratorINSB_9not_fun_tI7is_trueIyEEENSC_INSD_IbEEEENSA_11use_defaultESO_EENS0_5tupleIJNSA_16discard_iteratorISO_EES6_EEENSQ_IJSG_SG_EEES6_PlJS6_EEE10hipError_tPvRmT3_T4_T5_T6_T7_T9_mT8_P12ihipStream_tbDpT10_ENKUlT_T0_E_clISt17integral_constantIbLb1EES1F_EEDaS1A_S1B_EUlS1A_E_NS1_11comp_targetILNS1_3genE0ELNS1_11target_archE4294967295ELNS1_3gpuE0ELNS1_3repE0EEENS1_30default_config_static_selectorELNS0_4arch9wavefront6targetE0EEEvT1_,comdat
.Lfunc_end2661:
	.size	_ZN7rocprim17ROCPRIM_400000_NS6detail17trampoline_kernelINS0_14default_configENS1_25partition_config_selectorILNS1_17partition_subalgoE5EyNS0_10empty_typeEbEEZZNS1_14partition_implILS5_5ELb0ES3_mN6thrust23THRUST_200600_302600_NS6detail15normal_iteratorINSA_10device_ptrIyEEEEPS6_NSA_18transform_iteratorINSB_9not_fun_tI7is_trueIyEEENSC_INSD_IbEEEENSA_11use_defaultESO_EENS0_5tupleIJNSA_16discard_iteratorISO_EES6_EEENSQ_IJSG_SG_EEES6_PlJS6_EEE10hipError_tPvRmT3_T4_T5_T6_T7_T9_mT8_P12ihipStream_tbDpT10_ENKUlT_T0_E_clISt17integral_constantIbLb1EES1F_EEDaS1A_S1B_EUlS1A_E_NS1_11comp_targetILNS1_3genE0ELNS1_11target_archE4294967295ELNS1_3gpuE0ELNS1_3repE0EEENS1_30default_config_static_selectorELNS0_4arch9wavefront6targetE0EEEvT1_, .Lfunc_end2661-_ZN7rocprim17ROCPRIM_400000_NS6detail17trampoline_kernelINS0_14default_configENS1_25partition_config_selectorILNS1_17partition_subalgoE5EyNS0_10empty_typeEbEEZZNS1_14partition_implILS5_5ELb0ES3_mN6thrust23THRUST_200600_302600_NS6detail15normal_iteratorINSA_10device_ptrIyEEEEPS6_NSA_18transform_iteratorINSB_9not_fun_tI7is_trueIyEEENSC_INSD_IbEEEENSA_11use_defaultESO_EENS0_5tupleIJNSA_16discard_iteratorISO_EES6_EEENSQ_IJSG_SG_EEES6_PlJS6_EEE10hipError_tPvRmT3_T4_T5_T6_T7_T9_mT8_P12ihipStream_tbDpT10_ENKUlT_T0_E_clISt17integral_constantIbLb1EES1F_EEDaS1A_S1B_EUlS1A_E_NS1_11comp_targetILNS1_3genE0ELNS1_11target_archE4294967295ELNS1_3gpuE0ELNS1_3repE0EEENS1_30default_config_static_selectorELNS0_4arch9wavefront6targetE0EEEvT1_
                                        ; -- End function
	.set _ZN7rocprim17ROCPRIM_400000_NS6detail17trampoline_kernelINS0_14default_configENS1_25partition_config_selectorILNS1_17partition_subalgoE5EyNS0_10empty_typeEbEEZZNS1_14partition_implILS5_5ELb0ES3_mN6thrust23THRUST_200600_302600_NS6detail15normal_iteratorINSA_10device_ptrIyEEEEPS6_NSA_18transform_iteratorINSB_9not_fun_tI7is_trueIyEEENSC_INSD_IbEEEENSA_11use_defaultESO_EENS0_5tupleIJNSA_16discard_iteratorISO_EES6_EEENSQ_IJSG_SG_EEES6_PlJS6_EEE10hipError_tPvRmT3_T4_T5_T6_T7_T9_mT8_P12ihipStream_tbDpT10_ENKUlT_T0_E_clISt17integral_constantIbLb1EES1F_EEDaS1A_S1B_EUlS1A_E_NS1_11comp_targetILNS1_3genE0ELNS1_11target_archE4294967295ELNS1_3gpuE0ELNS1_3repE0EEENS1_30default_config_static_selectorELNS0_4arch9wavefront6targetE0EEEvT1_.num_vgpr, 0
	.set _ZN7rocprim17ROCPRIM_400000_NS6detail17trampoline_kernelINS0_14default_configENS1_25partition_config_selectorILNS1_17partition_subalgoE5EyNS0_10empty_typeEbEEZZNS1_14partition_implILS5_5ELb0ES3_mN6thrust23THRUST_200600_302600_NS6detail15normal_iteratorINSA_10device_ptrIyEEEEPS6_NSA_18transform_iteratorINSB_9not_fun_tI7is_trueIyEEENSC_INSD_IbEEEENSA_11use_defaultESO_EENS0_5tupleIJNSA_16discard_iteratorISO_EES6_EEENSQ_IJSG_SG_EEES6_PlJS6_EEE10hipError_tPvRmT3_T4_T5_T6_T7_T9_mT8_P12ihipStream_tbDpT10_ENKUlT_T0_E_clISt17integral_constantIbLb1EES1F_EEDaS1A_S1B_EUlS1A_E_NS1_11comp_targetILNS1_3genE0ELNS1_11target_archE4294967295ELNS1_3gpuE0ELNS1_3repE0EEENS1_30default_config_static_selectorELNS0_4arch9wavefront6targetE0EEEvT1_.num_agpr, 0
	.set _ZN7rocprim17ROCPRIM_400000_NS6detail17trampoline_kernelINS0_14default_configENS1_25partition_config_selectorILNS1_17partition_subalgoE5EyNS0_10empty_typeEbEEZZNS1_14partition_implILS5_5ELb0ES3_mN6thrust23THRUST_200600_302600_NS6detail15normal_iteratorINSA_10device_ptrIyEEEEPS6_NSA_18transform_iteratorINSB_9not_fun_tI7is_trueIyEEENSC_INSD_IbEEEENSA_11use_defaultESO_EENS0_5tupleIJNSA_16discard_iteratorISO_EES6_EEENSQ_IJSG_SG_EEES6_PlJS6_EEE10hipError_tPvRmT3_T4_T5_T6_T7_T9_mT8_P12ihipStream_tbDpT10_ENKUlT_T0_E_clISt17integral_constantIbLb1EES1F_EEDaS1A_S1B_EUlS1A_E_NS1_11comp_targetILNS1_3genE0ELNS1_11target_archE4294967295ELNS1_3gpuE0ELNS1_3repE0EEENS1_30default_config_static_selectorELNS0_4arch9wavefront6targetE0EEEvT1_.numbered_sgpr, 0
	.set _ZN7rocprim17ROCPRIM_400000_NS6detail17trampoline_kernelINS0_14default_configENS1_25partition_config_selectorILNS1_17partition_subalgoE5EyNS0_10empty_typeEbEEZZNS1_14partition_implILS5_5ELb0ES3_mN6thrust23THRUST_200600_302600_NS6detail15normal_iteratorINSA_10device_ptrIyEEEEPS6_NSA_18transform_iteratorINSB_9not_fun_tI7is_trueIyEEENSC_INSD_IbEEEENSA_11use_defaultESO_EENS0_5tupleIJNSA_16discard_iteratorISO_EES6_EEENSQ_IJSG_SG_EEES6_PlJS6_EEE10hipError_tPvRmT3_T4_T5_T6_T7_T9_mT8_P12ihipStream_tbDpT10_ENKUlT_T0_E_clISt17integral_constantIbLb1EES1F_EEDaS1A_S1B_EUlS1A_E_NS1_11comp_targetILNS1_3genE0ELNS1_11target_archE4294967295ELNS1_3gpuE0ELNS1_3repE0EEENS1_30default_config_static_selectorELNS0_4arch9wavefront6targetE0EEEvT1_.num_named_barrier, 0
	.set _ZN7rocprim17ROCPRIM_400000_NS6detail17trampoline_kernelINS0_14default_configENS1_25partition_config_selectorILNS1_17partition_subalgoE5EyNS0_10empty_typeEbEEZZNS1_14partition_implILS5_5ELb0ES3_mN6thrust23THRUST_200600_302600_NS6detail15normal_iteratorINSA_10device_ptrIyEEEEPS6_NSA_18transform_iteratorINSB_9not_fun_tI7is_trueIyEEENSC_INSD_IbEEEENSA_11use_defaultESO_EENS0_5tupleIJNSA_16discard_iteratorISO_EES6_EEENSQ_IJSG_SG_EEES6_PlJS6_EEE10hipError_tPvRmT3_T4_T5_T6_T7_T9_mT8_P12ihipStream_tbDpT10_ENKUlT_T0_E_clISt17integral_constantIbLb1EES1F_EEDaS1A_S1B_EUlS1A_E_NS1_11comp_targetILNS1_3genE0ELNS1_11target_archE4294967295ELNS1_3gpuE0ELNS1_3repE0EEENS1_30default_config_static_selectorELNS0_4arch9wavefront6targetE0EEEvT1_.private_seg_size, 0
	.set _ZN7rocprim17ROCPRIM_400000_NS6detail17trampoline_kernelINS0_14default_configENS1_25partition_config_selectorILNS1_17partition_subalgoE5EyNS0_10empty_typeEbEEZZNS1_14partition_implILS5_5ELb0ES3_mN6thrust23THRUST_200600_302600_NS6detail15normal_iteratorINSA_10device_ptrIyEEEEPS6_NSA_18transform_iteratorINSB_9not_fun_tI7is_trueIyEEENSC_INSD_IbEEEENSA_11use_defaultESO_EENS0_5tupleIJNSA_16discard_iteratorISO_EES6_EEENSQ_IJSG_SG_EEES6_PlJS6_EEE10hipError_tPvRmT3_T4_T5_T6_T7_T9_mT8_P12ihipStream_tbDpT10_ENKUlT_T0_E_clISt17integral_constantIbLb1EES1F_EEDaS1A_S1B_EUlS1A_E_NS1_11comp_targetILNS1_3genE0ELNS1_11target_archE4294967295ELNS1_3gpuE0ELNS1_3repE0EEENS1_30default_config_static_selectorELNS0_4arch9wavefront6targetE0EEEvT1_.uses_vcc, 0
	.set _ZN7rocprim17ROCPRIM_400000_NS6detail17trampoline_kernelINS0_14default_configENS1_25partition_config_selectorILNS1_17partition_subalgoE5EyNS0_10empty_typeEbEEZZNS1_14partition_implILS5_5ELb0ES3_mN6thrust23THRUST_200600_302600_NS6detail15normal_iteratorINSA_10device_ptrIyEEEEPS6_NSA_18transform_iteratorINSB_9not_fun_tI7is_trueIyEEENSC_INSD_IbEEEENSA_11use_defaultESO_EENS0_5tupleIJNSA_16discard_iteratorISO_EES6_EEENSQ_IJSG_SG_EEES6_PlJS6_EEE10hipError_tPvRmT3_T4_T5_T6_T7_T9_mT8_P12ihipStream_tbDpT10_ENKUlT_T0_E_clISt17integral_constantIbLb1EES1F_EEDaS1A_S1B_EUlS1A_E_NS1_11comp_targetILNS1_3genE0ELNS1_11target_archE4294967295ELNS1_3gpuE0ELNS1_3repE0EEENS1_30default_config_static_selectorELNS0_4arch9wavefront6targetE0EEEvT1_.uses_flat_scratch, 0
	.set _ZN7rocprim17ROCPRIM_400000_NS6detail17trampoline_kernelINS0_14default_configENS1_25partition_config_selectorILNS1_17partition_subalgoE5EyNS0_10empty_typeEbEEZZNS1_14partition_implILS5_5ELb0ES3_mN6thrust23THRUST_200600_302600_NS6detail15normal_iteratorINSA_10device_ptrIyEEEEPS6_NSA_18transform_iteratorINSB_9not_fun_tI7is_trueIyEEENSC_INSD_IbEEEENSA_11use_defaultESO_EENS0_5tupleIJNSA_16discard_iteratorISO_EES6_EEENSQ_IJSG_SG_EEES6_PlJS6_EEE10hipError_tPvRmT3_T4_T5_T6_T7_T9_mT8_P12ihipStream_tbDpT10_ENKUlT_T0_E_clISt17integral_constantIbLb1EES1F_EEDaS1A_S1B_EUlS1A_E_NS1_11comp_targetILNS1_3genE0ELNS1_11target_archE4294967295ELNS1_3gpuE0ELNS1_3repE0EEENS1_30default_config_static_selectorELNS0_4arch9wavefront6targetE0EEEvT1_.has_dyn_sized_stack, 0
	.set _ZN7rocprim17ROCPRIM_400000_NS6detail17trampoline_kernelINS0_14default_configENS1_25partition_config_selectorILNS1_17partition_subalgoE5EyNS0_10empty_typeEbEEZZNS1_14partition_implILS5_5ELb0ES3_mN6thrust23THRUST_200600_302600_NS6detail15normal_iteratorINSA_10device_ptrIyEEEEPS6_NSA_18transform_iteratorINSB_9not_fun_tI7is_trueIyEEENSC_INSD_IbEEEENSA_11use_defaultESO_EENS0_5tupleIJNSA_16discard_iteratorISO_EES6_EEENSQ_IJSG_SG_EEES6_PlJS6_EEE10hipError_tPvRmT3_T4_T5_T6_T7_T9_mT8_P12ihipStream_tbDpT10_ENKUlT_T0_E_clISt17integral_constantIbLb1EES1F_EEDaS1A_S1B_EUlS1A_E_NS1_11comp_targetILNS1_3genE0ELNS1_11target_archE4294967295ELNS1_3gpuE0ELNS1_3repE0EEENS1_30default_config_static_selectorELNS0_4arch9wavefront6targetE0EEEvT1_.has_recursion, 0
	.set _ZN7rocprim17ROCPRIM_400000_NS6detail17trampoline_kernelINS0_14default_configENS1_25partition_config_selectorILNS1_17partition_subalgoE5EyNS0_10empty_typeEbEEZZNS1_14partition_implILS5_5ELb0ES3_mN6thrust23THRUST_200600_302600_NS6detail15normal_iteratorINSA_10device_ptrIyEEEEPS6_NSA_18transform_iteratorINSB_9not_fun_tI7is_trueIyEEENSC_INSD_IbEEEENSA_11use_defaultESO_EENS0_5tupleIJNSA_16discard_iteratorISO_EES6_EEENSQ_IJSG_SG_EEES6_PlJS6_EEE10hipError_tPvRmT3_T4_T5_T6_T7_T9_mT8_P12ihipStream_tbDpT10_ENKUlT_T0_E_clISt17integral_constantIbLb1EES1F_EEDaS1A_S1B_EUlS1A_E_NS1_11comp_targetILNS1_3genE0ELNS1_11target_archE4294967295ELNS1_3gpuE0ELNS1_3repE0EEENS1_30default_config_static_selectorELNS0_4arch9wavefront6targetE0EEEvT1_.has_indirect_call, 0
	.section	.AMDGPU.csdata,"",@progbits
; Kernel info:
; codeLenInByte = 0
; TotalNumSgprs: 0
; NumVgprs: 0
; ScratchSize: 0
; MemoryBound: 0
; FloatMode: 240
; IeeeMode: 1
; LDSByteSize: 0 bytes/workgroup (compile time only)
; SGPRBlocks: 0
; VGPRBlocks: 0
; NumSGPRsForWavesPerEU: 1
; NumVGPRsForWavesPerEU: 1
; Occupancy: 16
; WaveLimiterHint : 0
; COMPUTE_PGM_RSRC2:SCRATCH_EN: 0
; COMPUTE_PGM_RSRC2:USER_SGPR: 2
; COMPUTE_PGM_RSRC2:TRAP_HANDLER: 0
; COMPUTE_PGM_RSRC2:TGID_X_EN: 1
; COMPUTE_PGM_RSRC2:TGID_Y_EN: 0
; COMPUTE_PGM_RSRC2:TGID_Z_EN: 0
; COMPUTE_PGM_RSRC2:TIDIG_COMP_CNT: 0
	.section	.text._ZN7rocprim17ROCPRIM_400000_NS6detail17trampoline_kernelINS0_14default_configENS1_25partition_config_selectorILNS1_17partition_subalgoE5EyNS0_10empty_typeEbEEZZNS1_14partition_implILS5_5ELb0ES3_mN6thrust23THRUST_200600_302600_NS6detail15normal_iteratorINSA_10device_ptrIyEEEEPS6_NSA_18transform_iteratorINSB_9not_fun_tI7is_trueIyEEENSC_INSD_IbEEEENSA_11use_defaultESO_EENS0_5tupleIJNSA_16discard_iteratorISO_EES6_EEENSQ_IJSG_SG_EEES6_PlJS6_EEE10hipError_tPvRmT3_T4_T5_T6_T7_T9_mT8_P12ihipStream_tbDpT10_ENKUlT_T0_E_clISt17integral_constantIbLb1EES1F_EEDaS1A_S1B_EUlS1A_E_NS1_11comp_targetILNS1_3genE5ELNS1_11target_archE942ELNS1_3gpuE9ELNS1_3repE0EEENS1_30default_config_static_selectorELNS0_4arch9wavefront6targetE0EEEvT1_,"axG",@progbits,_ZN7rocprim17ROCPRIM_400000_NS6detail17trampoline_kernelINS0_14default_configENS1_25partition_config_selectorILNS1_17partition_subalgoE5EyNS0_10empty_typeEbEEZZNS1_14partition_implILS5_5ELb0ES3_mN6thrust23THRUST_200600_302600_NS6detail15normal_iteratorINSA_10device_ptrIyEEEEPS6_NSA_18transform_iteratorINSB_9not_fun_tI7is_trueIyEEENSC_INSD_IbEEEENSA_11use_defaultESO_EENS0_5tupleIJNSA_16discard_iteratorISO_EES6_EEENSQ_IJSG_SG_EEES6_PlJS6_EEE10hipError_tPvRmT3_T4_T5_T6_T7_T9_mT8_P12ihipStream_tbDpT10_ENKUlT_T0_E_clISt17integral_constantIbLb1EES1F_EEDaS1A_S1B_EUlS1A_E_NS1_11comp_targetILNS1_3genE5ELNS1_11target_archE942ELNS1_3gpuE9ELNS1_3repE0EEENS1_30default_config_static_selectorELNS0_4arch9wavefront6targetE0EEEvT1_,comdat
	.protected	_ZN7rocprim17ROCPRIM_400000_NS6detail17trampoline_kernelINS0_14default_configENS1_25partition_config_selectorILNS1_17partition_subalgoE5EyNS0_10empty_typeEbEEZZNS1_14partition_implILS5_5ELb0ES3_mN6thrust23THRUST_200600_302600_NS6detail15normal_iteratorINSA_10device_ptrIyEEEEPS6_NSA_18transform_iteratorINSB_9not_fun_tI7is_trueIyEEENSC_INSD_IbEEEENSA_11use_defaultESO_EENS0_5tupleIJNSA_16discard_iteratorISO_EES6_EEENSQ_IJSG_SG_EEES6_PlJS6_EEE10hipError_tPvRmT3_T4_T5_T6_T7_T9_mT8_P12ihipStream_tbDpT10_ENKUlT_T0_E_clISt17integral_constantIbLb1EES1F_EEDaS1A_S1B_EUlS1A_E_NS1_11comp_targetILNS1_3genE5ELNS1_11target_archE942ELNS1_3gpuE9ELNS1_3repE0EEENS1_30default_config_static_selectorELNS0_4arch9wavefront6targetE0EEEvT1_ ; -- Begin function _ZN7rocprim17ROCPRIM_400000_NS6detail17trampoline_kernelINS0_14default_configENS1_25partition_config_selectorILNS1_17partition_subalgoE5EyNS0_10empty_typeEbEEZZNS1_14partition_implILS5_5ELb0ES3_mN6thrust23THRUST_200600_302600_NS6detail15normal_iteratorINSA_10device_ptrIyEEEEPS6_NSA_18transform_iteratorINSB_9not_fun_tI7is_trueIyEEENSC_INSD_IbEEEENSA_11use_defaultESO_EENS0_5tupleIJNSA_16discard_iteratorISO_EES6_EEENSQ_IJSG_SG_EEES6_PlJS6_EEE10hipError_tPvRmT3_T4_T5_T6_T7_T9_mT8_P12ihipStream_tbDpT10_ENKUlT_T0_E_clISt17integral_constantIbLb1EES1F_EEDaS1A_S1B_EUlS1A_E_NS1_11comp_targetILNS1_3genE5ELNS1_11target_archE942ELNS1_3gpuE9ELNS1_3repE0EEENS1_30default_config_static_selectorELNS0_4arch9wavefront6targetE0EEEvT1_
	.globl	_ZN7rocprim17ROCPRIM_400000_NS6detail17trampoline_kernelINS0_14default_configENS1_25partition_config_selectorILNS1_17partition_subalgoE5EyNS0_10empty_typeEbEEZZNS1_14partition_implILS5_5ELb0ES3_mN6thrust23THRUST_200600_302600_NS6detail15normal_iteratorINSA_10device_ptrIyEEEEPS6_NSA_18transform_iteratorINSB_9not_fun_tI7is_trueIyEEENSC_INSD_IbEEEENSA_11use_defaultESO_EENS0_5tupleIJNSA_16discard_iteratorISO_EES6_EEENSQ_IJSG_SG_EEES6_PlJS6_EEE10hipError_tPvRmT3_T4_T5_T6_T7_T9_mT8_P12ihipStream_tbDpT10_ENKUlT_T0_E_clISt17integral_constantIbLb1EES1F_EEDaS1A_S1B_EUlS1A_E_NS1_11comp_targetILNS1_3genE5ELNS1_11target_archE942ELNS1_3gpuE9ELNS1_3repE0EEENS1_30default_config_static_selectorELNS0_4arch9wavefront6targetE0EEEvT1_
	.p2align	8
	.type	_ZN7rocprim17ROCPRIM_400000_NS6detail17trampoline_kernelINS0_14default_configENS1_25partition_config_selectorILNS1_17partition_subalgoE5EyNS0_10empty_typeEbEEZZNS1_14partition_implILS5_5ELb0ES3_mN6thrust23THRUST_200600_302600_NS6detail15normal_iteratorINSA_10device_ptrIyEEEEPS6_NSA_18transform_iteratorINSB_9not_fun_tI7is_trueIyEEENSC_INSD_IbEEEENSA_11use_defaultESO_EENS0_5tupleIJNSA_16discard_iteratorISO_EES6_EEENSQ_IJSG_SG_EEES6_PlJS6_EEE10hipError_tPvRmT3_T4_T5_T6_T7_T9_mT8_P12ihipStream_tbDpT10_ENKUlT_T0_E_clISt17integral_constantIbLb1EES1F_EEDaS1A_S1B_EUlS1A_E_NS1_11comp_targetILNS1_3genE5ELNS1_11target_archE942ELNS1_3gpuE9ELNS1_3repE0EEENS1_30default_config_static_selectorELNS0_4arch9wavefront6targetE0EEEvT1_,@function
_ZN7rocprim17ROCPRIM_400000_NS6detail17trampoline_kernelINS0_14default_configENS1_25partition_config_selectorILNS1_17partition_subalgoE5EyNS0_10empty_typeEbEEZZNS1_14partition_implILS5_5ELb0ES3_mN6thrust23THRUST_200600_302600_NS6detail15normal_iteratorINSA_10device_ptrIyEEEEPS6_NSA_18transform_iteratorINSB_9not_fun_tI7is_trueIyEEENSC_INSD_IbEEEENSA_11use_defaultESO_EENS0_5tupleIJNSA_16discard_iteratorISO_EES6_EEENSQ_IJSG_SG_EEES6_PlJS6_EEE10hipError_tPvRmT3_T4_T5_T6_T7_T9_mT8_P12ihipStream_tbDpT10_ENKUlT_T0_E_clISt17integral_constantIbLb1EES1F_EEDaS1A_S1B_EUlS1A_E_NS1_11comp_targetILNS1_3genE5ELNS1_11target_archE942ELNS1_3gpuE9ELNS1_3repE0EEENS1_30default_config_static_selectorELNS0_4arch9wavefront6targetE0EEEvT1_: ; @_ZN7rocprim17ROCPRIM_400000_NS6detail17trampoline_kernelINS0_14default_configENS1_25partition_config_selectorILNS1_17partition_subalgoE5EyNS0_10empty_typeEbEEZZNS1_14partition_implILS5_5ELb0ES3_mN6thrust23THRUST_200600_302600_NS6detail15normal_iteratorINSA_10device_ptrIyEEEEPS6_NSA_18transform_iteratorINSB_9not_fun_tI7is_trueIyEEENSC_INSD_IbEEEENSA_11use_defaultESO_EENS0_5tupleIJNSA_16discard_iteratorISO_EES6_EEENSQ_IJSG_SG_EEES6_PlJS6_EEE10hipError_tPvRmT3_T4_T5_T6_T7_T9_mT8_P12ihipStream_tbDpT10_ENKUlT_T0_E_clISt17integral_constantIbLb1EES1F_EEDaS1A_S1B_EUlS1A_E_NS1_11comp_targetILNS1_3genE5ELNS1_11target_archE942ELNS1_3gpuE9ELNS1_3repE0EEENS1_30default_config_static_selectorELNS0_4arch9wavefront6targetE0EEEvT1_
; %bb.0:
	.section	.rodata,"a",@progbits
	.p2align	6, 0x0
	.amdhsa_kernel _ZN7rocprim17ROCPRIM_400000_NS6detail17trampoline_kernelINS0_14default_configENS1_25partition_config_selectorILNS1_17partition_subalgoE5EyNS0_10empty_typeEbEEZZNS1_14partition_implILS5_5ELb0ES3_mN6thrust23THRUST_200600_302600_NS6detail15normal_iteratorINSA_10device_ptrIyEEEEPS6_NSA_18transform_iteratorINSB_9not_fun_tI7is_trueIyEEENSC_INSD_IbEEEENSA_11use_defaultESO_EENS0_5tupleIJNSA_16discard_iteratorISO_EES6_EEENSQ_IJSG_SG_EEES6_PlJS6_EEE10hipError_tPvRmT3_T4_T5_T6_T7_T9_mT8_P12ihipStream_tbDpT10_ENKUlT_T0_E_clISt17integral_constantIbLb1EES1F_EEDaS1A_S1B_EUlS1A_E_NS1_11comp_targetILNS1_3genE5ELNS1_11target_archE942ELNS1_3gpuE9ELNS1_3repE0EEENS1_30default_config_static_selectorELNS0_4arch9wavefront6targetE0EEEvT1_
		.amdhsa_group_segment_fixed_size 0
		.amdhsa_private_segment_fixed_size 0
		.amdhsa_kernarg_size 144
		.amdhsa_user_sgpr_count 2
		.amdhsa_user_sgpr_dispatch_ptr 0
		.amdhsa_user_sgpr_queue_ptr 0
		.amdhsa_user_sgpr_kernarg_segment_ptr 1
		.amdhsa_user_sgpr_dispatch_id 0
		.amdhsa_user_sgpr_private_segment_size 0
		.amdhsa_wavefront_size32 1
		.amdhsa_uses_dynamic_stack 0
		.amdhsa_enable_private_segment 0
		.amdhsa_system_sgpr_workgroup_id_x 1
		.amdhsa_system_sgpr_workgroup_id_y 0
		.amdhsa_system_sgpr_workgroup_id_z 0
		.amdhsa_system_sgpr_workgroup_info 0
		.amdhsa_system_vgpr_workitem_id 0
		.amdhsa_next_free_vgpr 1
		.amdhsa_next_free_sgpr 1
		.amdhsa_reserve_vcc 0
		.amdhsa_float_round_mode_32 0
		.amdhsa_float_round_mode_16_64 0
		.amdhsa_float_denorm_mode_32 3
		.amdhsa_float_denorm_mode_16_64 3
		.amdhsa_fp16_overflow 0
		.amdhsa_workgroup_processor_mode 1
		.amdhsa_memory_ordered 1
		.amdhsa_forward_progress 1
		.amdhsa_inst_pref_size 0
		.amdhsa_round_robin_scheduling 0
		.amdhsa_exception_fp_ieee_invalid_op 0
		.amdhsa_exception_fp_denorm_src 0
		.amdhsa_exception_fp_ieee_div_zero 0
		.amdhsa_exception_fp_ieee_overflow 0
		.amdhsa_exception_fp_ieee_underflow 0
		.amdhsa_exception_fp_ieee_inexact 0
		.amdhsa_exception_int_div_zero 0
	.end_amdhsa_kernel
	.section	.text._ZN7rocprim17ROCPRIM_400000_NS6detail17trampoline_kernelINS0_14default_configENS1_25partition_config_selectorILNS1_17partition_subalgoE5EyNS0_10empty_typeEbEEZZNS1_14partition_implILS5_5ELb0ES3_mN6thrust23THRUST_200600_302600_NS6detail15normal_iteratorINSA_10device_ptrIyEEEEPS6_NSA_18transform_iteratorINSB_9not_fun_tI7is_trueIyEEENSC_INSD_IbEEEENSA_11use_defaultESO_EENS0_5tupleIJNSA_16discard_iteratorISO_EES6_EEENSQ_IJSG_SG_EEES6_PlJS6_EEE10hipError_tPvRmT3_T4_T5_T6_T7_T9_mT8_P12ihipStream_tbDpT10_ENKUlT_T0_E_clISt17integral_constantIbLb1EES1F_EEDaS1A_S1B_EUlS1A_E_NS1_11comp_targetILNS1_3genE5ELNS1_11target_archE942ELNS1_3gpuE9ELNS1_3repE0EEENS1_30default_config_static_selectorELNS0_4arch9wavefront6targetE0EEEvT1_,"axG",@progbits,_ZN7rocprim17ROCPRIM_400000_NS6detail17trampoline_kernelINS0_14default_configENS1_25partition_config_selectorILNS1_17partition_subalgoE5EyNS0_10empty_typeEbEEZZNS1_14partition_implILS5_5ELb0ES3_mN6thrust23THRUST_200600_302600_NS6detail15normal_iteratorINSA_10device_ptrIyEEEEPS6_NSA_18transform_iteratorINSB_9not_fun_tI7is_trueIyEEENSC_INSD_IbEEEENSA_11use_defaultESO_EENS0_5tupleIJNSA_16discard_iteratorISO_EES6_EEENSQ_IJSG_SG_EEES6_PlJS6_EEE10hipError_tPvRmT3_T4_T5_T6_T7_T9_mT8_P12ihipStream_tbDpT10_ENKUlT_T0_E_clISt17integral_constantIbLb1EES1F_EEDaS1A_S1B_EUlS1A_E_NS1_11comp_targetILNS1_3genE5ELNS1_11target_archE942ELNS1_3gpuE9ELNS1_3repE0EEENS1_30default_config_static_selectorELNS0_4arch9wavefront6targetE0EEEvT1_,comdat
.Lfunc_end2662:
	.size	_ZN7rocprim17ROCPRIM_400000_NS6detail17trampoline_kernelINS0_14default_configENS1_25partition_config_selectorILNS1_17partition_subalgoE5EyNS0_10empty_typeEbEEZZNS1_14partition_implILS5_5ELb0ES3_mN6thrust23THRUST_200600_302600_NS6detail15normal_iteratorINSA_10device_ptrIyEEEEPS6_NSA_18transform_iteratorINSB_9not_fun_tI7is_trueIyEEENSC_INSD_IbEEEENSA_11use_defaultESO_EENS0_5tupleIJNSA_16discard_iteratorISO_EES6_EEENSQ_IJSG_SG_EEES6_PlJS6_EEE10hipError_tPvRmT3_T4_T5_T6_T7_T9_mT8_P12ihipStream_tbDpT10_ENKUlT_T0_E_clISt17integral_constantIbLb1EES1F_EEDaS1A_S1B_EUlS1A_E_NS1_11comp_targetILNS1_3genE5ELNS1_11target_archE942ELNS1_3gpuE9ELNS1_3repE0EEENS1_30default_config_static_selectorELNS0_4arch9wavefront6targetE0EEEvT1_, .Lfunc_end2662-_ZN7rocprim17ROCPRIM_400000_NS6detail17trampoline_kernelINS0_14default_configENS1_25partition_config_selectorILNS1_17partition_subalgoE5EyNS0_10empty_typeEbEEZZNS1_14partition_implILS5_5ELb0ES3_mN6thrust23THRUST_200600_302600_NS6detail15normal_iteratorINSA_10device_ptrIyEEEEPS6_NSA_18transform_iteratorINSB_9not_fun_tI7is_trueIyEEENSC_INSD_IbEEEENSA_11use_defaultESO_EENS0_5tupleIJNSA_16discard_iteratorISO_EES6_EEENSQ_IJSG_SG_EEES6_PlJS6_EEE10hipError_tPvRmT3_T4_T5_T6_T7_T9_mT8_P12ihipStream_tbDpT10_ENKUlT_T0_E_clISt17integral_constantIbLb1EES1F_EEDaS1A_S1B_EUlS1A_E_NS1_11comp_targetILNS1_3genE5ELNS1_11target_archE942ELNS1_3gpuE9ELNS1_3repE0EEENS1_30default_config_static_selectorELNS0_4arch9wavefront6targetE0EEEvT1_
                                        ; -- End function
	.set _ZN7rocprim17ROCPRIM_400000_NS6detail17trampoline_kernelINS0_14default_configENS1_25partition_config_selectorILNS1_17partition_subalgoE5EyNS0_10empty_typeEbEEZZNS1_14partition_implILS5_5ELb0ES3_mN6thrust23THRUST_200600_302600_NS6detail15normal_iteratorINSA_10device_ptrIyEEEEPS6_NSA_18transform_iteratorINSB_9not_fun_tI7is_trueIyEEENSC_INSD_IbEEEENSA_11use_defaultESO_EENS0_5tupleIJNSA_16discard_iteratorISO_EES6_EEENSQ_IJSG_SG_EEES6_PlJS6_EEE10hipError_tPvRmT3_T4_T5_T6_T7_T9_mT8_P12ihipStream_tbDpT10_ENKUlT_T0_E_clISt17integral_constantIbLb1EES1F_EEDaS1A_S1B_EUlS1A_E_NS1_11comp_targetILNS1_3genE5ELNS1_11target_archE942ELNS1_3gpuE9ELNS1_3repE0EEENS1_30default_config_static_selectorELNS0_4arch9wavefront6targetE0EEEvT1_.num_vgpr, 0
	.set _ZN7rocprim17ROCPRIM_400000_NS6detail17trampoline_kernelINS0_14default_configENS1_25partition_config_selectorILNS1_17partition_subalgoE5EyNS0_10empty_typeEbEEZZNS1_14partition_implILS5_5ELb0ES3_mN6thrust23THRUST_200600_302600_NS6detail15normal_iteratorINSA_10device_ptrIyEEEEPS6_NSA_18transform_iteratorINSB_9not_fun_tI7is_trueIyEEENSC_INSD_IbEEEENSA_11use_defaultESO_EENS0_5tupleIJNSA_16discard_iteratorISO_EES6_EEENSQ_IJSG_SG_EEES6_PlJS6_EEE10hipError_tPvRmT3_T4_T5_T6_T7_T9_mT8_P12ihipStream_tbDpT10_ENKUlT_T0_E_clISt17integral_constantIbLb1EES1F_EEDaS1A_S1B_EUlS1A_E_NS1_11comp_targetILNS1_3genE5ELNS1_11target_archE942ELNS1_3gpuE9ELNS1_3repE0EEENS1_30default_config_static_selectorELNS0_4arch9wavefront6targetE0EEEvT1_.num_agpr, 0
	.set _ZN7rocprim17ROCPRIM_400000_NS6detail17trampoline_kernelINS0_14default_configENS1_25partition_config_selectorILNS1_17partition_subalgoE5EyNS0_10empty_typeEbEEZZNS1_14partition_implILS5_5ELb0ES3_mN6thrust23THRUST_200600_302600_NS6detail15normal_iteratorINSA_10device_ptrIyEEEEPS6_NSA_18transform_iteratorINSB_9not_fun_tI7is_trueIyEEENSC_INSD_IbEEEENSA_11use_defaultESO_EENS0_5tupleIJNSA_16discard_iteratorISO_EES6_EEENSQ_IJSG_SG_EEES6_PlJS6_EEE10hipError_tPvRmT3_T4_T5_T6_T7_T9_mT8_P12ihipStream_tbDpT10_ENKUlT_T0_E_clISt17integral_constantIbLb1EES1F_EEDaS1A_S1B_EUlS1A_E_NS1_11comp_targetILNS1_3genE5ELNS1_11target_archE942ELNS1_3gpuE9ELNS1_3repE0EEENS1_30default_config_static_selectorELNS0_4arch9wavefront6targetE0EEEvT1_.numbered_sgpr, 0
	.set _ZN7rocprim17ROCPRIM_400000_NS6detail17trampoline_kernelINS0_14default_configENS1_25partition_config_selectorILNS1_17partition_subalgoE5EyNS0_10empty_typeEbEEZZNS1_14partition_implILS5_5ELb0ES3_mN6thrust23THRUST_200600_302600_NS6detail15normal_iteratorINSA_10device_ptrIyEEEEPS6_NSA_18transform_iteratorINSB_9not_fun_tI7is_trueIyEEENSC_INSD_IbEEEENSA_11use_defaultESO_EENS0_5tupleIJNSA_16discard_iteratorISO_EES6_EEENSQ_IJSG_SG_EEES6_PlJS6_EEE10hipError_tPvRmT3_T4_T5_T6_T7_T9_mT8_P12ihipStream_tbDpT10_ENKUlT_T0_E_clISt17integral_constantIbLb1EES1F_EEDaS1A_S1B_EUlS1A_E_NS1_11comp_targetILNS1_3genE5ELNS1_11target_archE942ELNS1_3gpuE9ELNS1_3repE0EEENS1_30default_config_static_selectorELNS0_4arch9wavefront6targetE0EEEvT1_.num_named_barrier, 0
	.set _ZN7rocprim17ROCPRIM_400000_NS6detail17trampoline_kernelINS0_14default_configENS1_25partition_config_selectorILNS1_17partition_subalgoE5EyNS0_10empty_typeEbEEZZNS1_14partition_implILS5_5ELb0ES3_mN6thrust23THRUST_200600_302600_NS6detail15normal_iteratorINSA_10device_ptrIyEEEEPS6_NSA_18transform_iteratorINSB_9not_fun_tI7is_trueIyEEENSC_INSD_IbEEEENSA_11use_defaultESO_EENS0_5tupleIJNSA_16discard_iteratorISO_EES6_EEENSQ_IJSG_SG_EEES6_PlJS6_EEE10hipError_tPvRmT3_T4_T5_T6_T7_T9_mT8_P12ihipStream_tbDpT10_ENKUlT_T0_E_clISt17integral_constantIbLb1EES1F_EEDaS1A_S1B_EUlS1A_E_NS1_11comp_targetILNS1_3genE5ELNS1_11target_archE942ELNS1_3gpuE9ELNS1_3repE0EEENS1_30default_config_static_selectorELNS0_4arch9wavefront6targetE0EEEvT1_.private_seg_size, 0
	.set _ZN7rocprim17ROCPRIM_400000_NS6detail17trampoline_kernelINS0_14default_configENS1_25partition_config_selectorILNS1_17partition_subalgoE5EyNS0_10empty_typeEbEEZZNS1_14partition_implILS5_5ELb0ES3_mN6thrust23THRUST_200600_302600_NS6detail15normal_iteratorINSA_10device_ptrIyEEEEPS6_NSA_18transform_iteratorINSB_9not_fun_tI7is_trueIyEEENSC_INSD_IbEEEENSA_11use_defaultESO_EENS0_5tupleIJNSA_16discard_iteratorISO_EES6_EEENSQ_IJSG_SG_EEES6_PlJS6_EEE10hipError_tPvRmT3_T4_T5_T6_T7_T9_mT8_P12ihipStream_tbDpT10_ENKUlT_T0_E_clISt17integral_constantIbLb1EES1F_EEDaS1A_S1B_EUlS1A_E_NS1_11comp_targetILNS1_3genE5ELNS1_11target_archE942ELNS1_3gpuE9ELNS1_3repE0EEENS1_30default_config_static_selectorELNS0_4arch9wavefront6targetE0EEEvT1_.uses_vcc, 0
	.set _ZN7rocprim17ROCPRIM_400000_NS6detail17trampoline_kernelINS0_14default_configENS1_25partition_config_selectorILNS1_17partition_subalgoE5EyNS0_10empty_typeEbEEZZNS1_14partition_implILS5_5ELb0ES3_mN6thrust23THRUST_200600_302600_NS6detail15normal_iteratorINSA_10device_ptrIyEEEEPS6_NSA_18transform_iteratorINSB_9not_fun_tI7is_trueIyEEENSC_INSD_IbEEEENSA_11use_defaultESO_EENS0_5tupleIJNSA_16discard_iteratorISO_EES6_EEENSQ_IJSG_SG_EEES6_PlJS6_EEE10hipError_tPvRmT3_T4_T5_T6_T7_T9_mT8_P12ihipStream_tbDpT10_ENKUlT_T0_E_clISt17integral_constantIbLb1EES1F_EEDaS1A_S1B_EUlS1A_E_NS1_11comp_targetILNS1_3genE5ELNS1_11target_archE942ELNS1_3gpuE9ELNS1_3repE0EEENS1_30default_config_static_selectorELNS0_4arch9wavefront6targetE0EEEvT1_.uses_flat_scratch, 0
	.set _ZN7rocprim17ROCPRIM_400000_NS6detail17trampoline_kernelINS0_14default_configENS1_25partition_config_selectorILNS1_17partition_subalgoE5EyNS0_10empty_typeEbEEZZNS1_14partition_implILS5_5ELb0ES3_mN6thrust23THRUST_200600_302600_NS6detail15normal_iteratorINSA_10device_ptrIyEEEEPS6_NSA_18transform_iteratorINSB_9not_fun_tI7is_trueIyEEENSC_INSD_IbEEEENSA_11use_defaultESO_EENS0_5tupleIJNSA_16discard_iteratorISO_EES6_EEENSQ_IJSG_SG_EEES6_PlJS6_EEE10hipError_tPvRmT3_T4_T5_T6_T7_T9_mT8_P12ihipStream_tbDpT10_ENKUlT_T0_E_clISt17integral_constantIbLb1EES1F_EEDaS1A_S1B_EUlS1A_E_NS1_11comp_targetILNS1_3genE5ELNS1_11target_archE942ELNS1_3gpuE9ELNS1_3repE0EEENS1_30default_config_static_selectorELNS0_4arch9wavefront6targetE0EEEvT1_.has_dyn_sized_stack, 0
	.set _ZN7rocprim17ROCPRIM_400000_NS6detail17trampoline_kernelINS0_14default_configENS1_25partition_config_selectorILNS1_17partition_subalgoE5EyNS0_10empty_typeEbEEZZNS1_14partition_implILS5_5ELb0ES3_mN6thrust23THRUST_200600_302600_NS6detail15normal_iteratorINSA_10device_ptrIyEEEEPS6_NSA_18transform_iteratorINSB_9not_fun_tI7is_trueIyEEENSC_INSD_IbEEEENSA_11use_defaultESO_EENS0_5tupleIJNSA_16discard_iteratorISO_EES6_EEENSQ_IJSG_SG_EEES6_PlJS6_EEE10hipError_tPvRmT3_T4_T5_T6_T7_T9_mT8_P12ihipStream_tbDpT10_ENKUlT_T0_E_clISt17integral_constantIbLb1EES1F_EEDaS1A_S1B_EUlS1A_E_NS1_11comp_targetILNS1_3genE5ELNS1_11target_archE942ELNS1_3gpuE9ELNS1_3repE0EEENS1_30default_config_static_selectorELNS0_4arch9wavefront6targetE0EEEvT1_.has_recursion, 0
	.set _ZN7rocprim17ROCPRIM_400000_NS6detail17trampoline_kernelINS0_14default_configENS1_25partition_config_selectorILNS1_17partition_subalgoE5EyNS0_10empty_typeEbEEZZNS1_14partition_implILS5_5ELb0ES3_mN6thrust23THRUST_200600_302600_NS6detail15normal_iteratorINSA_10device_ptrIyEEEEPS6_NSA_18transform_iteratorINSB_9not_fun_tI7is_trueIyEEENSC_INSD_IbEEEENSA_11use_defaultESO_EENS0_5tupleIJNSA_16discard_iteratorISO_EES6_EEENSQ_IJSG_SG_EEES6_PlJS6_EEE10hipError_tPvRmT3_T4_T5_T6_T7_T9_mT8_P12ihipStream_tbDpT10_ENKUlT_T0_E_clISt17integral_constantIbLb1EES1F_EEDaS1A_S1B_EUlS1A_E_NS1_11comp_targetILNS1_3genE5ELNS1_11target_archE942ELNS1_3gpuE9ELNS1_3repE0EEENS1_30default_config_static_selectorELNS0_4arch9wavefront6targetE0EEEvT1_.has_indirect_call, 0
	.section	.AMDGPU.csdata,"",@progbits
; Kernel info:
; codeLenInByte = 0
; TotalNumSgprs: 0
; NumVgprs: 0
; ScratchSize: 0
; MemoryBound: 0
; FloatMode: 240
; IeeeMode: 1
; LDSByteSize: 0 bytes/workgroup (compile time only)
; SGPRBlocks: 0
; VGPRBlocks: 0
; NumSGPRsForWavesPerEU: 1
; NumVGPRsForWavesPerEU: 1
; Occupancy: 16
; WaveLimiterHint : 0
; COMPUTE_PGM_RSRC2:SCRATCH_EN: 0
; COMPUTE_PGM_RSRC2:USER_SGPR: 2
; COMPUTE_PGM_RSRC2:TRAP_HANDLER: 0
; COMPUTE_PGM_RSRC2:TGID_X_EN: 1
; COMPUTE_PGM_RSRC2:TGID_Y_EN: 0
; COMPUTE_PGM_RSRC2:TGID_Z_EN: 0
; COMPUTE_PGM_RSRC2:TIDIG_COMP_CNT: 0
	.section	.text._ZN7rocprim17ROCPRIM_400000_NS6detail17trampoline_kernelINS0_14default_configENS1_25partition_config_selectorILNS1_17partition_subalgoE5EyNS0_10empty_typeEbEEZZNS1_14partition_implILS5_5ELb0ES3_mN6thrust23THRUST_200600_302600_NS6detail15normal_iteratorINSA_10device_ptrIyEEEEPS6_NSA_18transform_iteratorINSB_9not_fun_tI7is_trueIyEEENSC_INSD_IbEEEENSA_11use_defaultESO_EENS0_5tupleIJNSA_16discard_iteratorISO_EES6_EEENSQ_IJSG_SG_EEES6_PlJS6_EEE10hipError_tPvRmT3_T4_T5_T6_T7_T9_mT8_P12ihipStream_tbDpT10_ENKUlT_T0_E_clISt17integral_constantIbLb1EES1F_EEDaS1A_S1B_EUlS1A_E_NS1_11comp_targetILNS1_3genE4ELNS1_11target_archE910ELNS1_3gpuE8ELNS1_3repE0EEENS1_30default_config_static_selectorELNS0_4arch9wavefront6targetE0EEEvT1_,"axG",@progbits,_ZN7rocprim17ROCPRIM_400000_NS6detail17trampoline_kernelINS0_14default_configENS1_25partition_config_selectorILNS1_17partition_subalgoE5EyNS0_10empty_typeEbEEZZNS1_14partition_implILS5_5ELb0ES3_mN6thrust23THRUST_200600_302600_NS6detail15normal_iteratorINSA_10device_ptrIyEEEEPS6_NSA_18transform_iteratorINSB_9not_fun_tI7is_trueIyEEENSC_INSD_IbEEEENSA_11use_defaultESO_EENS0_5tupleIJNSA_16discard_iteratorISO_EES6_EEENSQ_IJSG_SG_EEES6_PlJS6_EEE10hipError_tPvRmT3_T4_T5_T6_T7_T9_mT8_P12ihipStream_tbDpT10_ENKUlT_T0_E_clISt17integral_constantIbLb1EES1F_EEDaS1A_S1B_EUlS1A_E_NS1_11comp_targetILNS1_3genE4ELNS1_11target_archE910ELNS1_3gpuE8ELNS1_3repE0EEENS1_30default_config_static_selectorELNS0_4arch9wavefront6targetE0EEEvT1_,comdat
	.protected	_ZN7rocprim17ROCPRIM_400000_NS6detail17trampoline_kernelINS0_14default_configENS1_25partition_config_selectorILNS1_17partition_subalgoE5EyNS0_10empty_typeEbEEZZNS1_14partition_implILS5_5ELb0ES3_mN6thrust23THRUST_200600_302600_NS6detail15normal_iteratorINSA_10device_ptrIyEEEEPS6_NSA_18transform_iteratorINSB_9not_fun_tI7is_trueIyEEENSC_INSD_IbEEEENSA_11use_defaultESO_EENS0_5tupleIJNSA_16discard_iteratorISO_EES6_EEENSQ_IJSG_SG_EEES6_PlJS6_EEE10hipError_tPvRmT3_T4_T5_T6_T7_T9_mT8_P12ihipStream_tbDpT10_ENKUlT_T0_E_clISt17integral_constantIbLb1EES1F_EEDaS1A_S1B_EUlS1A_E_NS1_11comp_targetILNS1_3genE4ELNS1_11target_archE910ELNS1_3gpuE8ELNS1_3repE0EEENS1_30default_config_static_selectorELNS0_4arch9wavefront6targetE0EEEvT1_ ; -- Begin function _ZN7rocprim17ROCPRIM_400000_NS6detail17trampoline_kernelINS0_14default_configENS1_25partition_config_selectorILNS1_17partition_subalgoE5EyNS0_10empty_typeEbEEZZNS1_14partition_implILS5_5ELb0ES3_mN6thrust23THRUST_200600_302600_NS6detail15normal_iteratorINSA_10device_ptrIyEEEEPS6_NSA_18transform_iteratorINSB_9not_fun_tI7is_trueIyEEENSC_INSD_IbEEEENSA_11use_defaultESO_EENS0_5tupleIJNSA_16discard_iteratorISO_EES6_EEENSQ_IJSG_SG_EEES6_PlJS6_EEE10hipError_tPvRmT3_T4_T5_T6_T7_T9_mT8_P12ihipStream_tbDpT10_ENKUlT_T0_E_clISt17integral_constantIbLb1EES1F_EEDaS1A_S1B_EUlS1A_E_NS1_11comp_targetILNS1_3genE4ELNS1_11target_archE910ELNS1_3gpuE8ELNS1_3repE0EEENS1_30default_config_static_selectorELNS0_4arch9wavefront6targetE0EEEvT1_
	.globl	_ZN7rocprim17ROCPRIM_400000_NS6detail17trampoline_kernelINS0_14default_configENS1_25partition_config_selectorILNS1_17partition_subalgoE5EyNS0_10empty_typeEbEEZZNS1_14partition_implILS5_5ELb0ES3_mN6thrust23THRUST_200600_302600_NS6detail15normal_iteratorINSA_10device_ptrIyEEEEPS6_NSA_18transform_iteratorINSB_9not_fun_tI7is_trueIyEEENSC_INSD_IbEEEENSA_11use_defaultESO_EENS0_5tupleIJNSA_16discard_iteratorISO_EES6_EEENSQ_IJSG_SG_EEES6_PlJS6_EEE10hipError_tPvRmT3_T4_T5_T6_T7_T9_mT8_P12ihipStream_tbDpT10_ENKUlT_T0_E_clISt17integral_constantIbLb1EES1F_EEDaS1A_S1B_EUlS1A_E_NS1_11comp_targetILNS1_3genE4ELNS1_11target_archE910ELNS1_3gpuE8ELNS1_3repE0EEENS1_30default_config_static_selectorELNS0_4arch9wavefront6targetE0EEEvT1_
	.p2align	8
	.type	_ZN7rocprim17ROCPRIM_400000_NS6detail17trampoline_kernelINS0_14default_configENS1_25partition_config_selectorILNS1_17partition_subalgoE5EyNS0_10empty_typeEbEEZZNS1_14partition_implILS5_5ELb0ES3_mN6thrust23THRUST_200600_302600_NS6detail15normal_iteratorINSA_10device_ptrIyEEEEPS6_NSA_18transform_iteratorINSB_9not_fun_tI7is_trueIyEEENSC_INSD_IbEEEENSA_11use_defaultESO_EENS0_5tupleIJNSA_16discard_iteratorISO_EES6_EEENSQ_IJSG_SG_EEES6_PlJS6_EEE10hipError_tPvRmT3_T4_T5_T6_T7_T9_mT8_P12ihipStream_tbDpT10_ENKUlT_T0_E_clISt17integral_constantIbLb1EES1F_EEDaS1A_S1B_EUlS1A_E_NS1_11comp_targetILNS1_3genE4ELNS1_11target_archE910ELNS1_3gpuE8ELNS1_3repE0EEENS1_30default_config_static_selectorELNS0_4arch9wavefront6targetE0EEEvT1_,@function
_ZN7rocprim17ROCPRIM_400000_NS6detail17trampoline_kernelINS0_14default_configENS1_25partition_config_selectorILNS1_17partition_subalgoE5EyNS0_10empty_typeEbEEZZNS1_14partition_implILS5_5ELb0ES3_mN6thrust23THRUST_200600_302600_NS6detail15normal_iteratorINSA_10device_ptrIyEEEEPS6_NSA_18transform_iteratorINSB_9not_fun_tI7is_trueIyEEENSC_INSD_IbEEEENSA_11use_defaultESO_EENS0_5tupleIJNSA_16discard_iteratorISO_EES6_EEENSQ_IJSG_SG_EEES6_PlJS6_EEE10hipError_tPvRmT3_T4_T5_T6_T7_T9_mT8_P12ihipStream_tbDpT10_ENKUlT_T0_E_clISt17integral_constantIbLb1EES1F_EEDaS1A_S1B_EUlS1A_E_NS1_11comp_targetILNS1_3genE4ELNS1_11target_archE910ELNS1_3gpuE8ELNS1_3repE0EEENS1_30default_config_static_selectorELNS0_4arch9wavefront6targetE0EEEvT1_: ; @_ZN7rocprim17ROCPRIM_400000_NS6detail17trampoline_kernelINS0_14default_configENS1_25partition_config_selectorILNS1_17partition_subalgoE5EyNS0_10empty_typeEbEEZZNS1_14partition_implILS5_5ELb0ES3_mN6thrust23THRUST_200600_302600_NS6detail15normal_iteratorINSA_10device_ptrIyEEEEPS6_NSA_18transform_iteratorINSB_9not_fun_tI7is_trueIyEEENSC_INSD_IbEEEENSA_11use_defaultESO_EENS0_5tupleIJNSA_16discard_iteratorISO_EES6_EEENSQ_IJSG_SG_EEES6_PlJS6_EEE10hipError_tPvRmT3_T4_T5_T6_T7_T9_mT8_P12ihipStream_tbDpT10_ENKUlT_T0_E_clISt17integral_constantIbLb1EES1F_EEDaS1A_S1B_EUlS1A_E_NS1_11comp_targetILNS1_3genE4ELNS1_11target_archE910ELNS1_3gpuE8ELNS1_3repE0EEENS1_30default_config_static_selectorELNS0_4arch9wavefront6targetE0EEEvT1_
; %bb.0:
	.section	.rodata,"a",@progbits
	.p2align	6, 0x0
	.amdhsa_kernel _ZN7rocprim17ROCPRIM_400000_NS6detail17trampoline_kernelINS0_14default_configENS1_25partition_config_selectorILNS1_17partition_subalgoE5EyNS0_10empty_typeEbEEZZNS1_14partition_implILS5_5ELb0ES3_mN6thrust23THRUST_200600_302600_NS6detail15normal_iteratorINSA_10device_ptrIyEEEEPS6_NSA_18transform_iteratorINSB_9not_fun_tI7is_trueIyEEENSC_INSD_IbEEEENSA_11use_defaultESO_EENS0_5tupleIJNSA_16discard_iteratorISO_EES6_EEENSQ_IJSG_SG_EEES6_PlJS6_EEE10hipError_tPvRmT3_T4_T5_T6_T7_T9_mT8_P12ihipStream_tbDpT10_ENKUlT_T0_E_clISt17integral_constantIbLb1EES1F_EEDaS1A_S1B_EUlS1A_E_NS1_11comp_targetILNS1_3genE4ELNS1_11target_archE910ELNS1_3gpuE8ELNS1_3repE0EEENS1_30default_config_static_selectorELNS0_4arch9wavefront6targetE0EEEvT1_
		.amdhsa_group_segment_fixed_size 0
		.amdhsa_private_segment_fixed_size 0
		.amdhsa_kernarg_size 144
		.amdhsa_user_sgpr_count 2
		.amdhsa_user_sgpr_dispatch_ptr 0
		.amdhsa_user_sgpr_queue_ptr 0
		.amdhsa_user_sgpr_kernarg_segment_ptr 1
		.amdhsa_user_sgpr_dispatch_id 0
		.amdhsa_user_sgpr_private_segment_size 0
		.amdhsa_wavefront_size32 1
		.amdhsa_uses_dynamic_stack 0
		.amdhsa_enable_private_segment 0
		.amdhsa_system_sgpr_workgroup_id_x 1
		.amdhsa_system_sgpr_workgroup_id_y 0
		.amdhsa_system_sgpr_workgroup_id_z 0
		.amdhsa_system_sgpr_workgroup_info 0
		.amdhsa_system_vgpr_workitem_id 0
		.amdhsa_next_free_vgpr 1
		.amdhsa_next_free_sgpr 1
		.amdhsa_reserve_vcc 0
		.amdhsa_float_round_mode_32 0
		.amdhsa_float_round_mode_16_64 0
		.amdhsa_float_denorm_mode_32 3
		.amdhsa_float_denorm_mode_16_64 3
		.amdhsa_fp16_overflow 0
		.amdhsa_workgroup_processor_mode 1
		.amdhsa_memory_ordered 1
		.amdhsa_forward_progress 1
		.amdhsa_inst_pref_size 0
		.amdhsa_round_robin_scheduling 0
		.amdhsa_exception_fp_ieee_invalid_op 0
		.amdhsa_exception_fp_denorm_src 0
		.amdhsa_exception_fp_ieee_div_zero 0
		.amdhsa_exception_fp_ieee_overflow 0
		.amdhsa_exception_fp_ieee_underflow 0
		.amdhsa_exception_fp_ieee_inexact 0
		.amdhsa_exception_int_div_zero 0
	.end_amdhsa_kernel
	.section	.text._ZN7rocprim17ROCPRIM_400000_NS6detail17trampoline_kernelINS0_14default_configENS1_25partition_config_selectorILNS1_17partition_subalgoE5EyNS0_10empty_typeEbEEZZNS1_14partition_implILS5_5ELb0ES3_mN6thrust23THRUST_200600_302600_NS6detail15normal_iteratorINSA_10device_ptrIyEEEEPS6_NSA_18transform_iteratorINSB_9not_fun_tI7is_trueIyEEENSC_INSD_IbEEEENSA_11use_defaultESO_EENS0_5tupleIJNSA_16discard_iteratorISO_EES6_EEENSQ_IJSG_SG_EEES6_PlJS6_EEE10hipError_tPvRmT3_T4_T5_T6_T7_T9_mT8_P12ihipStream_tbDpT10_ENKUlT_T0_E_clISt17integral_constantIbLb1EES1F_EEDaS1A_S1B_EUlS1A_E_NS1_11comp_targetILNS1_3genE4ELNS1_11target_archE910ELNS1_3gpuE8ELNS1_3repE0EEENS1_30default_config_static_selectorELNS0_4arch9wavefront6targetE0EEEvT1_,"axG",@progbits,_ZN7rocprim17ROCPRIM_400000_NS6detail17trampoline_kernelINS0_14default_configENS1_25partition_config_selectorILNS1_17partition_subalgoE5EyNS0_10empty_typeEbEEZZNS1_14partition_implILS5_5ELb0ES3_mN6thrust23THRUST_200600_302600_NS6detail15normal_iteratorINSA_10device_ptrIyEEEEPS6_NSA_18transform_iteratorINSB_9not_fun_tI7is_trueIyEEENSC_INSD_IbEEEENSA_11use_defaultESO_EENS0_5tupleIJNSA_16discard_iteratorISO_EES6_EEENSQ_IJSG_SG_EEES6_PlJS6_EEE10hipError_tPvRmT3_T4_T5_T6_T7_T9_mT8_P12ihipStream_tbDpT10_ENKUlT_T0_E_clISt17integral_constantIbLb1EES1F_EEDaS1A_S1B_EUlS1A_E_NS1_11comp_targetILNS1_3genE4ELNS1_11target_archE910ELNS1_3gpuE8ELNS1_3repE0EEENS1_30default_config_static_selectorELNS0_4arch9wavefront6targetE0EEEvT1_,comdat
.Lfunc_end2663:
	.size	_ZN7rocprim17ROCPRIM_400000_NS6detail17trampoline_kernelINS0_14default_configENS1_25partition_config_selectorILNS1_17partition_subalgoE5EyNS0_10empty_typeEbEEZZNS1_14partition_implILS5_5ELb0ES3_mN6thrust23THRUST_200600_302600_NS6detail15normal_iteratorINSA_10device_ptrIyEEEEPS6_NSA_18transform_iteratorINSB_9not_fun_tI7is_trueIyEEENSC_INSD_IbEEEENSA_11use_defaultESO_EENS0_5tupleIJNSA_16discard_iteratorISO_EES6_EEENSQ_IJSG_SG_EEES6_PlJS6_EEE10hipError_tPvRmT3_T4_T5_T6_T7_T9_mT8_P12ihipStream_tbDpT10_ENKUlT_T0_E_clISt17integral_constantIbLb1EES1F_EEDaS1A_S1B_EUlS1A_E_NS1_11comp_targetILNS1_3genE4ELNS1_11target_archE910ELNS1_3gpuE8ELNS1_3repE0EEENS1_30default_config_static_selectorELNS0_4arch9wavefront6targetE0EEEvT1_, .Lfunc_end2663-_ZN7rocprim17ROCPRIM_400000_NS6detail17trampoline_kernelINS0_14default_configENS1_25partition_config_selectorILNS1_17partition_subalgoE5EyNS0_10empty_typeEbEEZZNS1_14partition_implILS5_5ELb0ES3_mN6thrust23THRUST_200600_302600_NS6detail15normal_iteratorINSA_10device_ptrIyEEEEPS6_NSA_18transform_iteratorINSB_9not_fun_tI7is_trueIyEEENSC_INSD_IbEEEENSA_11use_defaultESO_EENS0_5tupleIJNSA_16discard_iteratorISO_EES6_EEENSQ_IJSG_SG_EEES6_PlJS6_EEE10hipError_tPvRmT3_T4_T5_T6_T7_T9_mT8_P12ihipStream_tbDpT10_ENKUlT_T0_E_clISt17integral_constantIbLb1EES1F_EEDaS1A_S1B_EUlS1A_E_NS1_11comp_targetILNS1_3genE4ELNS1_11target_archE910ELNS1_3gpuE8ELNS1_3repE0EEENS1_30default_config_static_selectorELNS0_4arch9wavefront6targetE0EEEvT1_
                                        ; -- End function
	.set _ZN7rocprim17ROCPRIM_400000_NS6detail17trampoline_kernelINS0_14default_configENS1_25partition_config_selectorILNS1_17partition_subalgoE5EyNS0_10empty_typeEbEEZZNS1_14partition_implILS5_5ELb0ES3_mN6thrust23THRUST_200600_302600_NS6detail15normal_iteratorINSA_10device_ptrIyEEEEPS6_NSA_18transform_iteratorINSB_9not_fun_tI7is_trueIyEEENSC_INSD_IbEEEENSA_11use_defaultESO_EENS0_5tupleIJNSA_16discard_iteratorISO_EES6_EEENSQ_IJSG_SG_EEES6_PlJS6_EEE10hipError_tPvRmT3_T4_T5_T6_T7_T9_mT8_P12ihipStream_tbDpT10_ENKUlT_T0_E_clISt17integral_constantIbLb1EES1F_EEDaS1A_S1B_EUlS1A_E_NS1_11comp_targetILNS1_3genE4ELNS1_11target_archE910ELNS1_3gpuE8ELNS1_3repE0EEENS1_30default_config_static_selectorELNS0_4arch9wavefront6targetE0EEEvT1_.num_vgpr, 0
	.set _ZN7rocprim17ROCPRIM_400000_NS6detail17trampoline_kernelINS0_14default_configENS1_25partition_config_selectorILNS1_17partition_subalgoE5EyNS0_10empty_typeEbEEZZNS1_14partition_implILS5_5ELb0ES3_mN6thrust23THRUST_200600_302600_NS6detail15normal_iteratorINSA_10device_ptrIyEEEEPS6_NSA_18transform_iteratorINSB_9not_fun_tI7is_trueIyEEENSC_INSD_IbEEEENSA_11use_defaultESO_EENS0_5tupleIJNSA_16discard_iteratorISO_EES6_EEENSQ_IJSG_SG_EEES6_PlJS6_EEE10hipError_tPvRmT3_T4_T5_T6_T7_T9_mT8_P12ihipStream_tbDpT10_ENKUlT_T0_E_clISt17integral_constantIbLb1EES1F_EEDaS1A_S1B_EUlS1A_E_NS1_11comp_targetILNS1_3genE4ELNS1_11target_archE910ELNS1_3gpuE8ELNS1_3repE0EEENS1_30default_config_static_selectorELNS0_4arch9wavefront6targetE0EEEvT1_.num_agpr, 0
	.set _ZN7rocprim17ROCPRIM_400000_NS6detail17trampoline_kernelINS0_14default_configENS1_25partition_config_selectorILNS1_17partition_subalgoE5EyNS0_10empty_typeEbEEZZNS1_14partition_implILS5_5ELb0ES3_mN6thrust23THRUST_200600_302600_NS6detail15normal_iteratorINSA_10device_ptrIyEEEEPS6_NSA_18transform_iteratorINSB_9not_fun_tI7is_trueIyEEENSC_INSD_IbEEEENSA_11use_defaultESO_EENS0_5tupleIJNSA_16discard_iteratorISO_EES6_EEENSQ_IJSG_SG_EEES6_PlJS6_EEE10hipError_tPvRmT3_T4_T5_T6_T7_T9_mT8_P12ihipStream_tbDpT10_ENKUlT_T0_E_clISt17integral_constantIbLb1EES1F_EEDaS1A_S1B_EUlS1A_E_NS1_11comp_targetILNS1_3genE4ELNS1_11target_archE910ELNS1_3gpuE8ELNS1_3repE0EEENS1_30default_config_static_selectorELNS0_4arch9wavefront6targetE0EEEvT1_.numbered_sgpr, 0
	.set _ZN7rocprim17ROCPRIM_400000_NS6detail17trampoline_kernelINS0_14default_configENS1_25partition_config_selectorILNS1_17partition_subalgoE5EyNS0_10empty_typeEbEEZZNS1_14partition_implILS5_5ELb0ES3_mN6thrust23THRUST_200600_302600_NS6detail15normal_iteratorINSA_10device_ptrIyEEEEPS6_NSA_18transform_iteratorINSB_9not_fun_tI7is_trueIyEEENSC_INSD_IbEEEENSA_11use_defaultESO_EENS0_5tupleIJNSA_16discard_iteratorISO_EES6_EEENSQ_IJSG_SG_EEES6_PlJS6_EEE10hipError_tPvRmT3_T4_T5_T6_T7_T9_mT8_P12ihipStream_tbDpT10_ENKUlT_T0_E_clISt17integral_constantIbLb1EES1F_EEDaS1A_S1B_EUlS1A_E_NS1_11comp_targetILNS1_3genE4ELNS1_11target_archE910ELNS1_3gpuE8ELNS1_3repE0EEENS1_30default_config_static_selectorELNS0_4arch9wavefront6targetE0EEEvT1_.num_named_barrier, 0
	.set _ZN7rocprim17ROCPRIM_400000_NS6detail17trampoline_kernelINS0_14default_configENS1_25partition_config_selectorILNS1_17partition_subalgoE5EyNS0_10empty_typeEbEEZZNS1_14partition_implILS5_5ELb0ES3_mN6thrust23THRUST_200600_302600_NS6detail15normal_iteratorINSA_10device_ptrIyEEEEPS6_NSA_18transform_iteratorINSB_9not_fun_tI7is_trueIyEEENSC_INSD_IbEEEENSA_11use_defaultESO_EENS0_5tupleIJNSA_16discard_iteratorISO_EES6_EEENSQ_IJSG_SG_EEES6_PlJS6_EEE10hipError_tPvRmT3_T4_T5_T6_T7_T9_mT8_P12ihipStream_tbDpT10_ENKUlT_T0_E_clISt17integral_constantIbLb1EES1F_EEDaS1A_S1B_EUlS1A_E_NS1_11comp_targetILNS1_3genE4ELNS1_11target_archE910ELNS1_3gpuE8ELNS1_3repE0EEENS1_30default_config_static_selectorELNS0_4arch9wavefront6targetE0EEEvT1_.private_seg_size, 0
	.set _ZN7rocprim17ROCPRIM_400000_NS6detail17trampoline_kernelINS0_14default_configENS1_25partition_config_selectorILNS1_17partition_subalgoE5EyNS0_10empty_typeEbEEZZNS1_14partition_implILS5_5ELb0ES3_mN6thrust23THRUST_200600_302600_NS6detail15normal_iteratorINSA_10device_ptrIyEEEEPS6_NSA_18transform_iteratorINSB_9not_fun_tI7is_trueIyEEENSC_INSD_IbEEEENSA_11use_defaultESO_EENS0_5tupleIJNSA_16discard_iteratorISO_EES6_EEENSQ_IJSG_SG_EEES6_PlJS6_EEE10hipError_tPvRmT3_T4_T5_T6_T7_T9_mT8_P12ihipStream_tbDpT10_ENKUlT_T0_E_clISt17integral_constantIbLb1EES1F_EEDaS1A_S1B_EUlS1A_E_NS1_11comp_targetILNS1_3genE4ELNS1_11target_archE910ELNS1_3gpuE8ELNS1_3repE0EEENS1_30default_config_static_selectorELNS0_4arch9wavefront6targetE0EEEvT1_.uses_vcc, 0
	.set _ZN7rocprim17ROCPRIM_400000_NS6detail17trampoline_kernelINS0_14default_configENS1_25partition_config_selectorILNS1_17partition_subalgoE5EyNS0_10empty_typeEbEEZZNS1_14partition_implILS5_5ELb0ES3_mN6thrust23THRUST_200600_302600_NS6detail15normal_iteratorINSA_10device_ptrIyEEEEPS6_NSA_18transform_iteratorINSB_9not_fun_tI7is_trueIyEEENSC_INSD_IbEEEENSA_11use_defaultESO_EENS0_5tupleIJNSA_16discard_iteratorISO_EES6_EEENSQ_IJSG_SG_EEES6_PlJS6_EEE10hipError_tPvRmT3_T4_T5_T6_T7_T9_mT8_P12ihipStream_tbDpT10_ENKUlT_T0_E_clISt17integral_constantIbLb1EES1F_EEDaS1A_S1B_EUlS1A_E_NS1_11comp_targetILNS1_3genE4ELNS1_11target_archE910ELNS1_3gpuE8ELNS1_3repE0EEENS1_30default_config_static_selectorELNS0_4arch9wavefront6targetE0EEEvT1_.uses_flat_scratch, 0
	.set _ZN7rocprim17ROCPRIM_400000_NS6detail17trampoline_kernelINS0_14default_configENS1_25partition_config_selectorILNS1_17partition_subalgoE5EyNS0_10empty_typeEbEEZZNS1_14partition_implILS5_5ELb0ES3_mN6thrust23THRUST_200600_302600_NS6detail15normal_iteratorINSA_10device_ptrIyEEEEPS6_NSA_18transform_iteratorINSB_9not_fun_tI7is_trueIyEEENSC_INSD_IbEEEENSA_11use_defaultESO_EENS0_5tupleIJNSA_16discard_iteratorISO_EES6_EEENSQ_IJSG_SG_EEES6_PlJS6_EEE10hipError_tPvRmT3_T4_T5_T6_T7_T9_mT8_P12ihipStream_tbDpT10_ENKUlT_T0_E_clISt17integral_constantIbLb1EES1F_EEDaS1A_S1B_EUlS1A_E_NS1_11comp_targetILNS1_3genE4ELNS1_11target_archE910ELNS1_3gpuE8ELNS1_3repE0EEENS1_30default_config_static_selectorELNS0_4arch9wavefront6targetE0EEEvT1_.has_dyn_sized_stack, 0
	.set _ZN7rocprim17ROCPRIM_400000_NS6detail17trampoline_kernelINS0_14default_configENS1_25partition_config_selectorILNS1_17partition_subalgoE5EyNS0_10empty_typeEbEEZZNS1_14partition_implILS5_5ELb0ES3_mN6thrust23THRUST_200600_302600_NS6detail15normal_iteratorINSA_10device_ptrIyEEEEPS6_NSA_18transform_iteratorINSB_9not_fun_tI7is_trueIyEEENSC_INSD_IbEEEENSA_11use_defaultESO_EENS0_5tupleIJNSA_16discard_iteratorISO_EES6_EEENSQ_IJSG_SG_EEES6_PlJS6_EEE10hipError_tPvRmT3_T4_T5_T6_T7_T9_mT8_P12ihipStream_tbDpT10_ENKUlT_T0_E_clISt17integral_constantIbLb1EES1F_EEDaS1A_S1B_EUlS1A_E_NS1_11comp_targetILNS1_3genE4ELNS1_11target_archE910ELNS1_3gpuE8ELNS1_3repE0EEENS1_30default_config_static_selectorELNS0_4arch9wavefront6targetE0EEEvT1_.has_recursion, 0
	.set _ZN7rocprim17ROCPRIM_400000_NS6detail17trampoline_kernelINS0_14default_configENS1_25partition_config_selectorILNS1_17partition_subalgoE5EyNS0_10empty_typeEbEEZZNS1_14partition_implILS5_5ELb0ES3_mN6thrust23THRUST_200600_302600_NS6detail15normal_iteratorINSA_10device_ptrIyEEEEPS6_NSA_18transform_iteratorINSB_9not_fun_tI7is_trueIyEEENSC_INSD_IbEEEENSA_11use_defaultESO_EENS0_5tupleIJNSA_16discard_iteratorISO_EES6_EEENSQ_IJSG_SG_EEES6_PlJS6_EEE10hipError_tPvRmT3_T4_T5_T6_T7_T9_mT8_P12ihipStream_tbDpT10_ENKUlT_T0_E_clISt17integral_constantIbLb1EES1F_EEDaS1A_S1B_EUlS1A_E_NS1_11comp_targetILNS1_3genE4ELNS1_11target_archE910ELNS1_3gpuE8ELNS1_3repE0EEENS1_30default_config_static_selectorELNS0_4arch9wavefront6targetE0EEEvT1_.has_indirect_call, 0
	.section	.AMDGPU.csdata,"",@progbits
; Kernel info:
; codeLenInByte = 0
; TotalNumSgprs: 0
; NumVgprs: 0
; ScratchSize: 0
; MemoryBound: 0
; FloatMode: 240
; IeeeMode: 1
; LDSByteSize: 0 bytes/workgroup (compile time only)
; SGPRBlocks: 0
; VGPRBlocks: 0
; NumSGPRsForWavesPerEU: 1
; NumVGPRsForWavesPerEU: 1
; Occupancy: 16
; WaveLimiterHint : 0
; COMPUTE_PGM_RSRC2:SCRATCH_EN: 0
; COMPUTE_PGM_RSRC2:USER_SGPR: 2
; COMPUTE_PGM_RSRC2:TRAP_HANDLER: 0
; COMPUTE_PGM_RSRC2:TGID_X_EN: 1
; COMPUTE_PGM_RSRC2:TGID_Y_EN: 0
; COMPUTE_PGM_RSRC2:TGID_Z_EN: 0
; COMPUTE_PGM_RSRC2:TIDIG_COMP_CNT: 0
	.section	.text._ZN7rocprim17ROCPRIM_400000_NS6detail17trampoline_kernelINS0_14default_configENS1_25partition_config_selectorILNS1_17partition_subalgoE5EyNS0_10empty_typeEbEEZZNS1_14partition_implILS5_5ELb0ES3_mN6thrust23THRUST_200600_302600_NS6detail15normal_iteratorINSA_10device_ptrIyEEEEPS6_NSA_18transform_iteratorINSB_9not_fun_tI7is_trueIyEEENSC_INSD_IbEEEENSA_11use_defaultESO_EENS0_5tupleIJNSA_16discard_iteratorISO_EES6_EEENSQ_IJSG_SG_EEES6_PlJS6_EEE10hipError_tPvRmT3_T4_T5_T6_T7_T9_mT8_P12ihipStream_tbDpT10_ENKUlT_T0_E_clISt17integral_constantIbLb1EES1F_EEDaS1A_S1B_EUlS1A_E_NS1_11comp_targetILNS1_3genE3ELNS1_11target_archE908ELNS1_3gpuE7ELNS1_3repE0EEENS1_30default_config_static_selectorELNS0_4arch9wavefront6targetE0EEEvT1_,"axG",@progbits,_ZN7rocprim17ROCPRIM_400000_NS6detail17trampoline_kernelINS0_14default_configENS1_25partition_config_selectorILNS1_17partition_subalgoE5EyNS0_10empty_typeEbEEZZNS1_14partition_implILS5_5ELb0ES3_mN6thrust23THRUST_200600_302600_NS6detail15normal_iteratorINSA_10device_ptrIyEEEEPS6_NSA_18transform_iteratorINSB_9not_fun_tI7is_trueIyEEENSC_INSD_IbEEEENSA_11use_defaultESO_EENS0_5tupleIJNSA_16discard_iteratorISO_EES6_EEENSQ_IJSG_SG_EEES6_PlJS6_EEE10hipError_tPvRmT3_T4_T5_T6_T7_T9_mT8_P12ihipStream_tbDpT10_ENKUlT_T0_E_clISt17integral_constantIbLb1EES1F_EEDaS1A_S1B_EUlS1A_E_NS1_11comp_targetILNS1_3genE3ELNS1_11target_archE908ELNS1_3gpuE7ELNS1_3repE0EEENS1_30default_config_static_selectorELNS0_4arch9wavefront6targetE0EEEvT1_,comdat
	.protected	_ZN7rocprim17ROCPRIM_400000_NS6detail17trampoline_kernelINS0_14default_configENS1_25partition_config_selectorILNS1_17partition_subalgoE5EyNS0_10empty_typeEbEEZZNS1_14partition_implILS5_5ELb0ES3_mN6thrust23THRUST_200600_302600_NS6detail15normal_iteratorINSA_10device_ptrIyEEEEPS6_NSA_18transform_iteratorINSB_9not_fun_tI7is_trueIyEEENSC_INSD_IbEEEENSA_11use_defaultESO_EENS0_5tupleIJNSA_16discard_iteratorISO_EES6_EEENSQ_IJSG_SG_EEES6_PlJS6_EEE10hipError_tPvRmT3_T4_T5_T6_T7_T9_mT8_P12ihipStream_tbDpT10_ENKUlT_T0_E_clISt17integral_constantIbLb1EES1F_EEDaS1A_S1B_EUlS1A_E_NS1_11comp_targetILNS1_3genE3ELNS1_11target_archE908ELNS1_3gpuE7ELNS1_3repE0EEENS1_30default_config_static_selectorELNS0_4arch9wavefront6targetE0EEEvT1_ ; -- Begin function _ZN7rocprim17ROCPRIM_400000_NS6detail17trampoline_kernelINS0_14default_configENS1_25partition_config_selectorILNS1_17partition_subalgoE5EyNS0_10empty_typeEbEEZZNS1_14partition_implILS5_5ELb0ES3_mN6thrust23THRUST_200600_302600_NS6detail15normal_iteratorINSA_10device_ptrIyEEEEPS6_NSA_18transform_iteratorINSB_9not_fun_tI7is_trueIyEEENSC_INSD_IbEEEENSA_11use_defaultESO_EENS0_5tupleIJNSA_16discard_iteratorISO_EES6_EEENSQ_IJSG_SG_EEES6_PlJS6_EEE10hipError_tPvRmT3_T4_T5_T6_T7_T9_mT8_P12ihipStream_tbDpT10_ENKUlT_T0_E_clISt17integral_constantIbLb1EES1F_EEDaS1A_S1B_EUlS1A_E_NS1_11comp_targetILNS1_3genE3ELNS1_11target_archE908ELNS1_3gpuE7ELNS1_3repE0EEENS1_30default_config_static_selectorELNS0_4arch9wavefront6targetE0EEEvT1_
	.globl	_ZN7rocprim17ROCPRIM_400000_NS6detail17trampoline_kernelINS0_14default_configENS1_25partition_config_selectorILNS1_17partition_subalgoE5EyNS0_10empty_typeEbEEZZNS1_14partition_implILS5_5ELb0ES3_mN6thrust23THRUST_200600_302600_NS6detail15normal_iteratorINSA_10device_ptrIyEEEEPS6_NSA_18transform_iteratorINSB_9not_fun_tI7is_trueIyEEENSC_INSD_IbEEEENSA_11use_defaultESO_EENS0_5tupleIJNSA_16discard_iteratorISO_EES6_EEENSQ_IJSG_SG_EEES6_PlJS6_EEE10hipError_tPvRmT3_T4_T5_T6_T7_T9_mT8_P12ihipStream_tbDpT10_ENKUlT_T0_E_clISt17integral_constantIbLb1EES1F_EEDaS1A_S1B_EUlS1A_E_NS1_11comp_targetILNS1_3genE3ELNS1_11target_archE908ELNS1_3gpuE7ELNS1_3repE0EEENS1_30default_config_static_selectorELNS0_4arch9wavefront6targetE0EEEvT1_
	.p2align	8
	.type	_ZN7rocprim17ROCPRIM_400000_NS6detail17trampoline_kernelINS0_14default_configENS1_25partition_config_selectorILNS1_17partition_subalgoE5EyNS0_10empty_typeEbEEZZNS1_14partition_implILS5_5ELb0ES3_mN6thrust23THRUST_200600_302600_NS6detail15normal_iteratorINSA_10device_ptrIyEEEEPS6_NSA_18transform_iteratorINSB_9not_fun_tI7is_trueIyEEENSC_INSD_IbEEEENSA_11use_defaultESO_EENS0_5tupleIJNSA_16discard_iteratorISO_EES6_EEENSQ_IJSG_SG_EEES6_PlJS6_EEE10hipError_tPvRmT3_T4_T5_T6_T7_T9_mT8_P12ihipStream_tbDpT10_ENKUlT_T0_E_clISt17integral_constantIbLb1EES1F_EEDaS1A_S1B_EUlS1A_E_NS1_11comp_targetILNS1_3genE3ELNS1_11target_archE908ELNS1_3gpuE7ELNS1_3repE0EEENS1_30default_config_static_selectorELNS0_4arch9wavefront6targetE0EEEvT1_,@function
_ZN7rocprim17ROCPRIM_400000_NS6detail17trampoline_kernelINS0_14default_configENS1_25partition_config_selectorILNS1_17partition_subalgoE5EyNS0_10empty_typeEbEEZZNS1_14partition_implILS5_5ELb0ES3_mN6thrust23THRUST_200600_302600_NS6detail15normal_iteratorINSA_10device_ptrIyEEEEPS6_NSA_18transform_iteratorINSB_9not_fun_tI7is_trueIyEEENSC_INSD_IbEEEENSA_11use_defaultESO_EENS0_5tupleIJNSA_16discard_iteratorISO_EES6_EEENSQ_IJSG_SG_EEES6_PlJS6_EEE10hipError_tPvRmT3_T4_T5_T6_T7_T9_mT8_P12ihipStream_tbDpT10_ENKUlT_T0_E_clISt17integral_constantIbLb1EES1F_EEDaS1A_S1B_EUlS1A_E_NS1_11comp_targetILNS1_3genE3ELNS1_11target_archE908ELNS1_3gpuE7ELNS1_3repE0EEENS1_30default_config_static_selectorELNS0_4arch9wavefront6targetE0EEEvT1_: ; @_ZN7rocprim17ROCPRIM_400000_NS6detail17trampoline_kernelINS0_14default_configENS1_25partition_config_selectorILNS1_17partition_subalgoE5EyNS0_10empty_typeEbEEZZNS1_14partition_implILS5_5ELb0ES3_mN6thrust23THRUST_200600_302600_NS6detail15normal_iteratorINSA_10device_ptrIyEEEEPS6_NSA_18transform_iteratorINSB_9not_fun_tI7is_trueIyEEENSC_INSD_IbEEEENSA_11use_defaultESO_EENS0_5tupleIJNSA_16discard_iteratorISO_EES6_EEENSQ_IJSG_SG_EEES6_PlJS6_EEE10hipError_tPvRmT3_T4_T5_T6_T7_T9_mT8_P12ihipStream_tbDpT10_ENKUlT_T0_E_clISt17integral_constantIbLb1EES1F_EEDaS1A_S1B_EUlS1A_E_NS1_11comp_targetILNS1_3genE3ELNS1_11target_archE908ELNS1_3gpuE7ELNS1_3repE0EEENS1_30default_config_static_selectorELNS0_4arch9wavefront6targetE0EEEvT1_
; %bb.0:
	.section	.rodata,"a",@progbits
	.p2align	6, 0x0
	.amdhsa_kernel _ZN7rocprim17ROCPRIM_400000_NS6detail17trampoline_kernelINS0_14default_configENS1_25partition_config_selectorILNS1_17partition_subalgoE5EyNS0_10empty_typeEbEEZZNS1_14partition_implILS5_5ELb0ES3_mN6thrust23THRUST_200600_302600_NS6detail15normal_iteratorINSA_10device_ptrIyEEEEPS6_NSA_18transform_iteratorINSB_9not_fun_tI7is_trueIyEEENSC_INSD_IbEEEENSA_11use_defaultESO_EENS0_5tupleIJNSA_16discard_iteratorISO_EES6_EEENSQ_IJSG_SG_EEES6_PlJS6_EEE10hipError_tPvRmT3_T4_T5_T6_T7_T9_mT8_P12ihipStream_tbDpT10_ENKUlT_T0_E_clISt17integral_constantIbLb1EES1F_EEDaS1A_S1B_EUlS1A_E_NS1_11comp_targetILNS1_3genE3ELNS1_11target_archE908ELNS1_3gpuE7ELNS1_3repE0EEENS1_30default_config_static_selectorELNS0_4arch9wavefront6targetE0EEEvT1_
		.amdhsa_group_segment_fixed_size 0
		.amdhsa_private_segment_fixed_size 0
		.amdhsa_kernarg_size 144
		.amdhsa_user_sgpr_count 2
		.amdhsa_user_sgpr_dispatch_ptr 0
		.amdhsa_user_sgpr_queue_ptr 0
		.amdhsa_user_sgpr_kernarg_segment_ptr 1
		.amdhsa_user_sgpr_dispatch_id 0
		.amdhsa_user_sgpr_private_segment_size 0
		.amdhsa_wavefront_size32 1
		.amdhsa_uses_dynamic_stack 0
		.amdhsa_enable_private_segment 0
		.amdhsa_system_sgpr_workgroup_id_x 1
		.amdhsa_system_sgpr_workgroup_id_y 0
		.amdhsa_system_sgpr_workgroup_id_z 0
		.amdhsa_system_sgpr_workgroup_info 0
		.amdhsa_system_vgpr_workitem_id 0
		.amdhsa_next_free_vgpr 1
		.amdhsa_next_free_sgpr 1
		.amdhsa_reserve_vcc 0
		.amdhsa_float_round_mode_32 0
		.amdhsa_float_round_mode_16_64 0
		.amdhsa_float_denorm_mode_32 3
		.amdhsa_float_denorm_mode_16_64 3
		.amdhsa_fp16_overflow 0
		.amdhsa_workgroup_processor_mode 1
		.amdhsa_memory_ordered 1
		.amdhsa_forward_progress 1
		.amdhsa_inst_pref_size 0
		.amdhsa_round_robin_scheduling 0
		.amdhsa_exception_fp_ieee_invalid_op 0
		.amdhsa_exception_fp_denorm_src 0
		.amdhsa_exception_fp_ieee_div_zero 0
		.amdhsa_exception_fp_ieee_overflow 0
		.amdhsa_exception_fp_ieee_underflow 0
		.amdhsa_exception_fp_ieee_inexact 0
		.amdhsa_exception_int_div_zero 0
	.end_amdhsa_kernel
	.section	.text._ZN7rocprim17ROCPRIM_400000_NS6detail17trampoline_kernelINS0_14default_configENS1_25partition_config_selectorILNS1_17partition_subalgoE5EyNS0_10empty_typeEbEEZZNS1_14partition_implILS5_5ELb0ES3_mN6thrust23THRUST_200600_302600_NS6detail15normal_iteratorINSA_10device_ptrIyEEEEPS6_NSA_18transform_iteratorINSB_9not_fun_tI7is_trueIyEEENSC_INSD_IbEEEENSA_11use_defaultESO_EENS0_5tupleIJNSA_16discard_iteratorISO_EES6_EEENSQ_IJSG_SG_EEES6_PlJS6_EEE10hipError_tPvRmT3_T4_T5_T6_T7_T9_mT8_P12ihipStream_tbDpT10_ENKUlT_T0_E_clISt17integral_constantIbLb1EES1F_EEDaS1A_S1B_EUlS1A_E_NS1_11comp_targetILNS1_3genE3ELNS1_11target_archE908ELNS1_3gpuE7ELNS1_3repE0EEENS1_30default_config_static_selectorELNS0_4arch9wavefront6targetE0EEEvT1_,"axG",@progbits,_ZN7rocprim17ROCPRIM_400000_NS6detail17trampoline_kernelINS0_14default_configENS1_25partition_config_selectorILNS1_17partition_subalgoE5EyNS0_10empty_typeEbEEZZNS1_14partition_implILS5_5ELb0ES3_mN6thrust23THRUST_200600_302600_NS6detail15normal_iteratorINSA_10device_ptrIyEEEEPS6_NSA_18transform_iteratorINSB_9not_fun_tI7is_trueIyEEENSC_INSD_IbEEEENSA_11use_defaultESO_EENS0_5tupleIJNSA_16discard_iteratorISO_EES6_EEENSQ_IJSG_SG_EEES6_PlJS6_EEE10hipError_tPvRmT3_T4_T5_T6_T7_T9_mT8_P12ihipStream_tbDpT10_ENKUlT_T0_E_clISt17integral_constantIbLb1EES1F_EEDaS1A_S1B_EUlS1A_E_NS1_11comp_targetILNS1_3genE3ELNS1_11target_archE908ELNS1_3gpuE7ELNS1_3repE0EEENS1_30default_config_static_selectorELNS0_4arch9wavefront6targetE0EEEvT1_,comdat
.Lfunc_end2664:
	.size	_ZN7rocprim17ROCPRIM_400000_NS6detail17trampoline_kernelINS0_14default_configENS1_25partition_config_selectorILNS1_17partition_subalgoE5EyNS0_10empty_typeEbEEZZNS1_14partition_implILS5_5ELb0ES3_mN6thrust23THRUST_200600_302600_NS6detail15normal_iteratorINSA_10device_ptrIyEEEEPS6_NSA_18transform_iteratorINSB_9not_fun_tI7is_trueIyEEENSC_INSD_IbEEEENSA_11use_defaultESO_EENS0_5tupleIJNSA_16discard_iteratorISO_EES6_EEENSQ_IJSG_SG_EEES6_PlJS6_EEE10hipError_tPvRmT3_T4_T5_T6_T7_T9_mT8_P12ihipStream_tbDpT10_ENKUlT_T0_E_clISt17integral_constantIbLb1EES1F_EEDaS1A_S1B_EUlS1A_E_NS1_11comp_targetILNS1_3genE3ELNS1_11target_archE908ELNS1_3gpuE7ELNS1_3repE0EEENS1_30default_config_static_selectorELNS0_4arch9wavefront6targetE0EEEvT1_, .Lfunc_end2664-_ZN7rocprim17ROCPRIM_400000_NS6detail17trampoline_kernelINS0_14default_configENS1_25partition_config_selectorILNS1_17partition_subalgoE5EyNS0_10empty_typeEbEEZZNS1_14partition_implILS5_5ELb0ES3_mN6thrust23THRUST_200600_302600_NS6detail15normal_iteratorINSA_10device_ptrIyEEEEPS6_NSA_18transform_iteratorINSB_9not_fun_tI7is_trueIyEEENSC_INSD_IbEEEENSA_11use_defaultESO_EENS0_5tupleIJNSA_16discard_iteratorISO_EES6_EEENSQ_IJSG_SG_EEES6_PlJS6_EEE10hipError_tPvRmT3_T4_T5_T6_T7_T9_mT8_P12ihipStream_tbDpT10_ENKUlT_T0_E_clISt17integral_constantIbLb1EES1F_EEDaS1A_S1B_EUlS1A_E_NS1_11comp_targetILNS1_3genE3ELNS1_11target_archE908ELNS1_3gpuE7ELNS1_3repE0EEENS1_30default_config_static_selectorELNS0_4arch9wavefront6targetE0EEEvT1_
                                        ; -- End function
	.set _ZN7rocprim17ROCPRIM_400000_NS6detail17trampoline_kernelINS0_14default_configENS1_25partition_config_selectorILNS1_17partition_subalgoE5EyNS0_10empty_typeEbEEZZNS1_14partition_implILS5_5ELb0ES3_mN6thrust23THRUST_200600_302600_NS6detail15normal_iteratorINSA_10device_ptrIyEEEEPS6_NSA_18transform_iteratorINSB_9not_fun_tI7is_trueIyEEENSC_INSD_IbEEEENSA_11use_defaultESO_EENS0_5tupleIJNSA_16discard_iteratorISO_EES6_EEENSQ_IJSG_SG_EEES6_PlJS6_EEE10hipError_tPvRmT3_T4_T5_T6_T7_T9_mT8_P12ihipStream_tbDpT10_ENKUlT_T0_E_clISt17integral_constantIbLb1EES1F_EEDaS1A_S1B_EUlS1A_E_NS1_11comp_targetILNS1_3genE3ELNS1_11target_archE908ELNS1_3gpuE7ELNS1_3repE0EEENS1_30default_config_static_selectorELNS0_4arch9wavefront6targetE0EEEvT1_.num_vgpr, 0
	.set _ZN7rocprim17ROCPRIM_400000_NS6detail17trampoline_kernelINS0_14default_configENS1_25partition_config_selectorILNS1_17partition_subalgoE5EyNS0_10empty_typeEbEEZZNS1_14partition_implILS5_5ELb0ES3_mN6thrust23THRUST_200600_302600_NS6detail15normal_iteratorINSA_10device_ptrIyEEEEPS6_NSA_18transform_iteratorINSB_9not_fun_tI7is_trueIyEEENSC_INSD_IbEEEENSA_11use_defaultESO_EENS0_5tupleIJNSA_16discard_iteratorISO_EES6_EEENSQ_IJSG_SG_EEES6_PlJS6_EEE10hipError_tPvRmT3_T4_T5_T6_T7_T9_mT8_P12ihipStream_tbDpT10_ENKUlT_T0_E_clISt17integral_constantIbLb1EES1F_EEDaS1A_S1B_EUlS1A_E_NS1_11comp_targetILNS1_3genE3ELNS1_11target_archE908ELNS1_3gpuE7ELNS1_3repE0EEENS1_30default_config_static_selectorELNS0_4arch9wavefront6targetE0EEEvT1_.num_agpr, 0
	.set _ZN7rocprim17ROCPRIM_400000_NS6detail17trampoline_kernelINS0_14default_configENS1_25partition_config_selectorILNS1_17partition_subalgoE5EyNS0_10empty_typeEbEEZZNS1_14partition_implILS5_5ELb0ES3_mN6thrust23THRUST_200600_302600_NS6detail15normal_iteratorINSA_10device_ptrIyEEEEPS6_NSA_18transform_iteratorINSB_9not_fun_tI7is_trueIyEEENSC_INSD_IbEEEENSA_11use_defaultESO_EENS0_5tupleIJNSA_16discard_iteratorISO_EES6_EEENSQ_IJSG_SG_EEES6_PlJS6_EEE10hipError_tPvRmT3_T4_T5_T6_T7_T9_mT8_P12ihipStream_tbDpT10_ENKUlT_T0_E_clISt17integral_constantIbLb1EES1F_EEDaS1A_S1B_EUlS1A_E_NS1_11comp_targetILNS1_3genE3ELNS1_11target_archE908ELNS1_3gpuE7ELNS1_3repE0EEENS1_30default_config_static_selectorELNS0_4arch9wavefront6targetE0EEEvT1_.numbered_sgpr, 0
	.set _ZN7rocprim17ROCPRIM_400000_NS6detail17trampoline_kernelINS0_14default_configENS1_25partition_config_selectorILNS1_17partition_subalgoE5EyNS0_10empty_typeEbEEZZNS1_14partition_implILS5_5ELb0ES3_mN6thrust23THRUST_200600_302600_NS6detail15normal_iteratorINSA_10device_ptrIyEEEEPS6_NSA_18transform_iteratorINSB_9not_fun_tI7is_trueIyEEENSC_INSD_IbEEEENSA_11use_defaultESO_EENS0_5tupleIJNSA_16discard_iteratorISO_EES6_EEENSQ_IJSG_SG_EEES6_PlJS6_EEE10hipError_tPvRmT3_T4_T5_T6_T7_T9_mT8_P12ihipStream_tbDpT10_ENKUlT_T0_E_clISt17integral_constantIbLb1EES1F_EEDaS1A_S1B_EUlS1A_E_NS1_11comp_targetILNS1_3genE3ELNS1_11target_archE908ELNS1_3gpuE7ELNS1_3repE0EEENS1_30default_config_static_selectorELNS0_4arch9wavefront6targetE0EEEvT1_.num_named_barrier, 0
	.set _ZN7rocprim17ROCPRIM_400000_NS6detail17trampoline_kernelINS0_14default_configENS1_25partition_config_selectorILNS1_17partition_subalgoE5EyNS0_10empty_typeEbEEZZNS1_14partition_implILS5_5ELb0ES3_mN6thrust23THRUST_200600_302600_NS6detail15normal_iteratorINSA_10device_ptrIyEEEEPS6_NSA_18transform_iteratorINSB_9not_fun_tI7is_trueIyEEENSC_INSD_IbEEEENSA_11use_defaultESO_EENS0_5tupleIJNSA_16discard_iteratorISO_EES6_EEENSQ_IJSG_SG_EEES6_PlJS6_EEE10hipError_tPvRmT3_T4_T5_T6_T7_T9_mT8_P12ihipStream_tbDpT10_ENKUlT_T0_E_clISt17integral_constantIbLb1EES1F_EEDaS1A_S1B_EUlS1A_E_NS1_11comp_targetILNS1_3genE3ELNS1_11target_archE908ELNS1_3gpuE7ELNS1_3repE0EEENS1_30default_config_static_selectorELNS0_4arch9wavefront6targetE0EEEvT1_.private_seg_size, 0
	.set _ZN7rocprim17ROCPRIM_400000_NS6detail17trampoline_kernelINS0_14default_configENS1_25partition_config_selectorILNS1_17partition_subalgoE5EyNS0_10empty_typeEbEEZZNS1_14partition_implILS5_5ELb0ES3_mN6thrust23THRUST_200600_302600_NS6detail15normal_iteratorINSA_10device_ptrIyEEEEPS6_NSA_18transform_iteratorINSB_9not_fun_tI7is_trueIyEEENSC_INSD_IbEEEENSA_11use_defaultESO_EENS0_5tupleIJNSA_16discard_iteratorISO_EES6_EEENSQ_IJSG_SG_EEES6_PlJS6_EEE10hipError_tPvRmT3_T4_T5_T6_T7_T9_mT8_P12ihipStream_tbDpT10_ENKUlT_T0_E_clISt17integral_constantIbLb1EES1F_EEDaS1A_S1B_EUlS1A_E_NS1_11comp_targetILNS1_3genE3ELNS1_11target_archE908ELNS1_3gpuE7ELNS1_3repE0EEENS1_30default_config_static_selectorELNS0_4arch9wavefront6targetE0EEEvT1_.uses_vcc, 0
	.set _ZN7rocprim17ROCPRIM_400000_NS6detail17trampoline_kernelINS0_14default_configENS1_25partition_config_selectorILNS1_17partition_subalgoE5EyNS0_10empty_typeEbEEZZNS1_14partition_implILS5_5ELb0ES3_mN6thrust23THRUST_200600_302600_NS6detail15normal_iteratorINSA_10device_ptrIyEEEEPS6_NSA_18transform_iteratorINSB_9not_fun_tI7is_trueIyEEENSC_INSD_IbEEEENSA_11use_defaultESO_EENS0_5tupleIJNSA_16discard_iteratorISO_EES6_EEENSQ_IJSG_SG_EEES6_PlJS6_EEE10hipError_tPvRmT3_T4_T5_T6_T7_T9_mT8_P12ihipStream_tbDpT10_ENKUlT_T0_E_clISt17integral_constantIbLb1EES1F_EEDaS1A_S1B_EUlS1A_E_NS1_11comp_targetILNS1_3genE3ELNS1_11target_archE908ELNS1_3gpuE7ELNS1_3repE0EEENS1_30default_config_static_selectorELNS0_4arch9wavefront6targetE0EEEvT1_.uses_flat_scratch, 0
	.set _ZN7rocprim17ROCPRIM_400000_NS6detail17trampoline_kernelINS0_14default_configENS1_25partition_config_selectorILNS1_17partition_subalgoE5EyNS0_10empty_typeEbEEZZNS1_14partition_implILS5_5ELb0ES3_mN6thrust23THRUST_200600_302600_NS6detail15normal_iteratorINSA_10device_ptrIyEEEEPS6_NSA_18transform_iteratorINSB_9not_fun_tI7is_trueIyEEENSC_INSD_IbEEEENSA_11use_defaultESO_EENS0_5tupleIJNSA_16discard_iteratorISO_EES6_EEENSQ_IJSG_SG_EEES6_PlJS6_EEE10hipError_tPvRmT3_T4_T5_T6_T7_T9_mT8_P12ihipStream_tbDpT10_ENKUlT_T0_E_clISt17integral_constantIbLb1EES1F_EEDaS1A_S1B_EUlS1A_E_NS1_11comp_targetILNS1_3genE3ELNS1_11target_archE908ELNS1_3gpuE7ELNS1_3repE0EEENS1_30default_config_static_selectorELNS0_4arch9wavefront6targetE0EEEvT1_.has_dyn_sized_stack, 0
	.set _ZN7rocprim17ROCPRIM_400000_NS6detail17trampoline_kernelINS0_14default_configENS1_25partition_config_selectorILNS1_17partition_subalgoE5EyNS0_10empty_typeEbEEZZNS1_14partition_implILS5_5ELb0ES3_mN6thrust23THRUST_200600_302600_NS6detail15normal_iteratorINSA_10device_ptrIyEEEEPS6_NSA_18transform_iteratorINSB_9not_fun_tI7is_trueIyEEENSC_INSD_IbEEEENSA_11use_defaultESO_EENS0_5tupleIJNSA_16discard_iteratorISO_EES6_EEENSQ_IJSG_SG_EEES6_PlJS6_EEE10hipError_tPvRmT3_T4_T5_T6_T7_T9_mT8_P12ihipStream_tbDpT10_ENKUlT_T0_E_clISt17integral_constantIbLb1EES1F_EEDaS1A_S1B_EUlS1A_E_NS1_11comp_targetILNS1_3genE3ELNS1_11target_archE908ELNS1_3gpuE7ELNS1_3repE0EEENS1_30default_config_static_selectorELNS0_4arch9wavefront6targetE0EEEvT1_.has_recursion, 0
	.set _ZN7rocprim17ROCPRIM_400000_NS6detail17trampoline_kernelINS0_14default_configENS1_25partition_config_selectorILNS1_17partition_subalgoE5EyNS0_10empty_typeEbEEZZNS1_14partition_implILS5_5ELb0ES3_mN6thrust23THRUST_200600_302600_NS6detail15normal_iteratorINSA_10device_ptrIyEEEEPS6_NSA_18transform_iteratorINSB_9not_fun_tI7is_trueIyEEENSC_INSD_IbEEEENSA_11use_defaultESO_EENS0_5tupleIJNSA_16discard_iteratorISO_EES6_EEENSQ_IJSG_SG_EEES6_PlJS6_EEE10hipError_tPvRmT3_T4_T5_T6_T7_T9_mT8_P12ihipStream_tbDpT10_ENKUlT_T0_E_clISt17integral_constantIbLb1EES1F_EEDaS1A_S1B_EUlS1A_E_NS1_11comp_targetILNS1_3genE3ELNS1_11target_archE908ELNS1_3gpuE7ELNS1_3repE0EEENS1_30default_config_static_selectorELNS0_4arch9wavefront6targetE0EEEvT1_.has_indirect_call, 0
	.section	.AMDGPU.csdata,"",@progbits
; Kernel info:
; codeLenInByte = 0
; TotalNumSgprs: 0
; NumVgprs: 0
; ScratchSize: 0
; MemoryBound: 0
; FloatMode: 240
; IeeeMode: 1
; LDSByteSize: 0 bytes/workgroup (compile time only)
; SGPRBlocks: 0
; VGPRBlocks: 0
; NumSGPRsForWavesPerEU: 1
; NumVGPRsForWavesPerEU: 1
; Occupancy: 16
; WaveLimiterHint : 0
; COMPUTE_PGM_RSRC2:SCRATCH_EN: 0
; COMPUTE_PGM_RSRC2:USER_SGPR: 2
; COMPUTE_PGM_RSRC2:TRAP_HANDLER: 0
; COMPUTE_PGM_RSRC2:TGID_X_EN: 1
; COMPUTE_PGM_RSRC2:TGID_Y_EN: 0
; COMPUTE_PGM_RSRC2:TGID_Z_EN: 0
; COMPUTE_PGM_RSRC2:TIDIG_COMP_CNT: 0
	.section	.text._ZN7rocprim17ROCPRIM_400000_NS6detail17trampoline_kernelINS0_14default_configENS1_25partition_config_selectorILNS1_17partition_subalgoE5EyNS0_10empty_typeEbEEZZNS1_14partition_implILS5_5ELb0ES3_mN6thrust23THRUST_200600_302600_NS6detail15normal_iteratorINSA_10device_ptrIyEEEEPS6_NSA_18transform_iteratorINSB_9not_fun_tI7is_trueIyEEENSC_INSD_IbEEEENSA_11use_defaultESO_EENS0_5tupleIJNSA_16discard_iteratorISO_EES6_EEENSQ_IJSG_SG_EEES6_PlJS6_EEE10hipError_tPvRmT3_T4_T5_T6_T7_T9_mT8_P12ihipStream_tbDpT10_ENKUlT_T0_E_clISt17integral_constantIbLb1EES1F_EEDaS1A_S1B_EUlS1A_E_NS1_11comp_targetILNS1_3genE2ELNS1_11target_archE906ELNS1_3gpuE6ELNS1_3repE0EEENS1_30default_config_static_selectorELNS0_4arch9wavefront6targetE0EEEvT1_,"axG",@progbits,_ZN7rocprim17ROCPRIM_400000_NS6detail17trampoline_kernelINS0_14default_configENS1_25partition_config_selectorILNS1_17partition_subalgoE5EyNS0_10empty_typeEbEEZZNS1_14partition_implILS5_5ELb0ES3_mN6thrust23THRUST_200600_302600_NS6detail15normal_iteratorINSA_10device_ptrIyEEEEPS6_NSA_18transform_iteratorINSB_9not_fun_tI7is_trueIyEEENSC_INSD_IbEEEENSA_11use_defaultESO_EENS0_5tupleIJNSA_16discard_iteratorISO_EES6_EEENSQ_IJSG_SG_EEES6_PlJS6_EEE10hipError_tPvRmT3_T4_T5_T6_T7_T9_mT8_P12ihipStream_tbDpT10_ENKUlT_T0_E_clISt17integral_constantIbLb1EES1F_EEDaS1A_S1B_EUlS1A_E_NS1_11comp_targetILNS1_3genE2ELNS1_11target_archE906ELNS1_3gpuE6ELNS1_3repE0EEENS1_30default_config_static_selectorELNS0_4arch9wavefront6targetE0EEEvT1_,comdat
	.protected	_ZN7rocprim17ROCPRIM_400000_NS6detail17trampoline_kernelINS0_14default_configENS1_25partition_config_selectorILNS1_17partition_subalgoE5EyNS0_10empty_typeEbEEZZNS1_14partition_implILS5_5ELb0ES3_mN6thrust23THRUST_200600_302600_NS6detail15normal_iteratorINSA_10device_ptrIyEEEEPS6_NSA_18transform_iteratorINSB_9not_fun_tI7is_trueIyEEENSC_INSD_IbEEEENSA_11use_defaultESO_EENS0_5tupleIJNSA_16discard_iteratorISO_EES6_EEENSQ_IJSG_SG_EEES6_PlJS6_EEE10hipError_tPvRmT3_T4_T5_T6_T7_T9_mT8_P12ihipStream_tbDpT10_ENKUlT_T0_E_clISt17integral_constantIbLb1EES1F_EEDaS1A_S1B_EUlS1A_E_NS1_11comp_targetILNS1_3genE2ELNS1_11target_archE906ELNS1_3gpuE6ELNS1_3repE0EEENS1_30default_config_static_selectorELNS0_4arch9wavefront6targetE0EEEvT1_ ; -- Begin function _ZN7rocprim17ROCPRIM_400000_NS6detail17trampoline_kernelINS0_14default_configENS1_25partition_config_selectorILNS1_17partition_subalgoE5EyNS0_10empty_typeEbEEZZNS1_14partition_implILS5_5ELb0ES3_mN6thrust23THRUST_200600_302600_NS6detail15normal_iteratorINSA_10device_ptrIyEEEEPS6_NSA_18transform_iteratorINSB_9not_fun_tI7is_trueIyEEENSC_INSD_IbEEEENSA_11use_defaultESO_EENS0_5tupleIJNSA_16discard_iteratorISO_EES6_EEENSQ_IJSG_SG_EEES6_PlJS6_EEE10hipError_tPvRmT3_T4_T5_T6_T7_T9_mT8_P12ihipStream_tbDpT10_ENKUlT_T0_E_clISt17integral_constantIbLb1EES1F_EEDaS1A_S1B_EUlS1A_E_NS1_11comp_targetILNS1_3genE2ELNS1_11target_archE906ELNS1_3gpuE6ELNS1_3repE0EEENS1_30default_config_static_selectorELNS0_4arch9wavefront6targetE0EEEvT1_
	.globl	_ZN7rocprim17ROCPRIM_400000_NS6detail17trampoline_kernelINS0_14default_configENS1_25partition_config_selectorILNS1_17partition_subalgoE5EyNS0_10empty_typeEbEEZZNS1_14partition_implILS5_5ELb0ES3_mN6thrust23THRUST_200600_302600_NS6detail15normal_iteratorINSA_10device_ptrIyEEEEPS6_NSA_18transform_iteratorINSB_9not_fun_tI7is_trueIyEEENSC_INSD_IbEEEENSA_11use_defaultESO_EENS0_5tupleIJNSA_16discard_iteratorISO_EES6_EEENSQ_IJSG_SG_EEES6_PlJS6_EEE10hipError_tPvRmT3_T4_T5_T6_T7_T9_mT8_P12ihipStream_tbDpT10_ENKUlT_T0_E_clISt17integral_constantIbLb1EES1F_EEDaS1A_S1B_EUlS1A_E_NS1_11comp_targetILNS1_3genE2ELNS1_11target_archE906ELNS1_3gpuE6ELNS1_3repE0EEENS1_30default_config_static_selectorELNS0_4arch9wavefront6targetE0EEEvT1_
	.p2align	8
	.type	_ZN7rocprim17ROCPRIM_400000_NS6detail17trampoline_kernelINS0_14default_configENS1_25partition_config_selectorILNS1_17partition_subalgoE5EyNS0_10empty_typeEbEEZZNS1_14partition_implILS5_5ELb0ES3_mN6thrust23THRUST_200600_302600_NS6detail15normal_iteratorINSA_10device_ptrIyEEEEPS6_NSA_18transform_iteratorINSB_9not_fun_tI7is_trueIyEEENSC_INSD_IbEEEENSA_11use_defaultESO_EENS0_5tupleIJNSA_16discard_iteratorISO_EES6_EEENSQ_IJSG_SG_EEES6_PlJS6_EEE10hipError_tPvRmT3_T4_T5_T6_T7_T9_mT8_P12ihipStream_tbDpT10_ENKUlT_T0_E_clISt17integral_constantIbLb1EES1F_EEDaS1A_S1B_EUlS1A_E_NS1_11comp_targetILNS1_3genE2ELNS1_11target_archE906ELNS1_3gpuE6ELNS1_3repE0EEENS1_30default_config_static_selectorELNS0_4arch9wavefront6targetE0EEEvT1_,@function
_ZN7rocprim17ROCPRIM_400000_NS6detail17trampoline_kernelINS0_14default_configENS1_25partition_config_selectorILNS1_17partition_subalgoE5EyNS0_10empty_typeEbEEZZNS1_14partition_implILS5_5ELb0ES3_mN6thrust23THRUST_200600_302600_NS6detail15normal_iteratorINSA_10device_ptrIyEEEEPS6_NSA_18transform_iteratorINSB_9not_fun_tI7is_trueIyEEENSC_INSD_IbEEEENSA_11use_defaultESO_EENS0_5tupleIJNSA_16discard_iteratorISO_EES6_EEENSQ_IJSG_SG_EEES6_PlJS6_EEE10hipError_tPvRmT3_T4_T5_T6_T7_T9_mT8_P12ihipStream_tbDpT10_ENKUlT_T0_E_clISt17integral_constantIbLb1EES1F_EEDaS1A_S1B_EUlS1A_E_NS1_11comp_targetILNS1_3genE2ELNS1_11target_archE906ELNS1_3gpuE6ELNS1_3repE0EEENS1_30default_config_static_selectorELNS0_4arch9wavefront6targetE0EEEvT1_: ; @_ZN7rocprim17ROCPRIM_400000_NS6detail17trampoline_kernelINS0_14default_configENS1_25partition_config_selectorILNS1_17partition_subalgoE5EyNS0_10empty_typeEbEEZZNS1_14partition_implILS5_5ELb0ES3_mN6thrust23THRUST_200600_302600_NS6detail15normal_iteratorINSA_10device_ptrIyEEEEPS6_NSA_18transform_iteratorINSB_9not_fun_tI7is_trueIyEEENSC_INSD_IbEEEENSA_11use_defaultESO_EENS0_5tupleIJNSA_16discard_iteratorISO_EES6_EEENSQ_IJSG_SG_EEES6_PlJS6_EEE10hipError_tPvRmT3_T4_T5_T6_T7_T9_mT8_P12ihipStream_tbDpT10_ENKUlT_T0_E_clISt17integral_constantIbLb1EES1F_EEDaS1A_S1B_EUlS1A_E_NS1_11comp_targetILNS1_3genE2ELNS1_11target_archE906ELNS1_3gpuE6ELNS1_3repE0EEENS1_30default_config_static_selectorELNS0_4arch9wavefront6targetE0EEEvT1_
; %bb.0:
	.section	.rodata,"a",@progbits
	.p2align	6, 0x0
	.amdhsa_kernel _ZN7rocprim17ROCPRIM_400000_NS6detail17trampoline_kernelINS0_14default_configENS1_25partition_config_selectorILNS1_17partition_subalgoE5EyNS0_10empty_typeEbEEZZNS1_14partition_implILS5_5ELb0ES3_mN6thrust23THRUST_200600_302600_NS6detail15normal_iteratorINSA_10device_ptrIyEEEEPS6_NSA_18transform_iteratorINSB_9not_fun_tI7is_trueIyEEENSC_INSD_IbEEEENSA_11use_defaultESO_EENS0_5tupleIJNSA_16discard_iteratorISO_EES6_EEENSQ_IJSG_SG_EEES6_PlJS6_EEE10hipError_tPvRmT3_T4_T5_T6_T7_T9_mT8_P12ihipStream_tbDpT10_ENKUlT_T0_E_clISt17integral_constantIbLb1EES1F_EEDaS1A_S1B_EUlS1A_E_NS1_11comp_targetILNS1_3genE2ELNS1_11target_archE906ELNS1_3gpuE6ELNS1_3repE0EEENS1_30default_config_static_selectorELNS0_4arch9wavefront6targetE0EEEvT1_
		.amdhsa_group_segment_fixed_size 0
		.amdhsa_private_segment_fixed_size 0
		.amdhsa_kernarg_size 144
		.amdhsa_user_sgpr_count 2
		.amdhsa_user_sgpr_dispatch_ptr 0
		.amdhsa_user_sgpr_queue_ptr 0
		.amdhsa_user_sgpr_kernarg_segment_ptr 1
		.amdhsa_user_sgpr_dispatch_id 0
		.amdhsa_user_sgpr_private_segment_size 0
		.amdhsa_wavefront_size32 1
		.amdhsa_uses_dynamic_stack 0
		.amdhsa_enable_private_segment 0
		.amdhsa_system_sgpr_workgroup_id_x 1
		.amdhsa_system_sgpr_workgroup_id_y 0
		.amdhsa_system_sgpr_workgroup_id_z 0
		.amdhsa_system_sgpr_workgroup_info 0
		.amdhsa_system_vgpr_workitem_id 0
		.amdhsa_next_free_vgpr 1
		.amdhsa_next_free_sgpr 1
		.amdhsa_reserve_vcc 0
		.amdhsa_float_round_mode_32 0
		.amdhsa_float_round_mode_16_64 0
		.amdhsa_float_denorm_mode_32 3
		.amdhsa_float_denorm_mode_16_64 3
		.amdhsa_fp16_overflow 0
		.amdhsa_workgroup_processor_mode 1
		.amdhsa_memory_ordered 1
		.amdhsa_forward_progress 1
		.amdhsa_inst_pref_size 0
		.amdhsa_round_robin_scheduling 0
		.amdhsa_exception_fp_ieee_invalid_op 0
		.amdhsa_exception_fp_denorm_src 0
		.amdhsa_exception_fp_ieee_div_zero 0
		.amdhsa_exception_fp_ieee_overflow 0
		.amdhsa_exception_fp_ieee_underflow 0
		.amdhsa_exception_fp_ieee_inexact 0
		.amdhsa_exception_int_div_zero 0
	.end_amdhsa_kernel
	.section	.text._ZN7rocprim17ROCPRIM_400000_NS6detail17trampoline_kernelINS0_14default_configENS1_25partition_config_selectorILNS1_17partition_subalgoE5EyNS0_10empty_typeEbEEZZNS1_14partition_implILS5_5ELb0ES3_mN6thrust23THRUST_200600_302600_NS6detail15normal_iteratorINSA_10device_ptrIyEEEEPS6_NSA_18transform_iteratorINSB_9not_fun_tI7is_trueIyEEENSC_INSD_IbEEEENSA_11use_defaultESO_EENS0_5tupleIJNSA_16discard_iteratorISO_EES6_EEENSQ_IJSG_SG_EEES6_PlJS6_EEE10hipError_tPvRmT3_T4_T5_T6_T7_T9_mT8_P12ihipStream_tbDpT10_ENKUlT_T0_E_clISt17integral_constantIbLb1EES1F_EEDaS1A_S1B_EUlS1A_E_NS1_11comp_targetILNS1_3genE2ELNS1_11target_archE906ELNS1_3gpuE6ELNS1_3repE0EEENS1_30default_config_static_selectorELNS0_4arch9wavefront6targetE0EEEvT1_,"axG",@progbits,_ZN7rocprim17ROCPRIM_400000_NS6detail17trampoline_kernelINS0_14default_configENS1_25partition_config_selectorILNS1_17partition_subalgoE5EyNS0_10empty_typeEbEEZZNS1_14partition_implILS5_5ELb0ES3_mN6thrust23THRUST_200600_302600_NS6detail15normal_iteratorINSA_10device_ptrIyEEEEPS6_NSA_18transform_iteratorINSB_9not_fun_tI7is_trueIyEEENSC_INSD_IbEEEENSA_11use_defaultESO_EENS0_5tupleIJNSA_16discard_iteratorISO_EES6_EEENSQ_IJSG_SG_EEES6_PlJS6_EEE10hipError_tPvRmT3_T4_T5_T6_T7_T9_mT8_P12ihipStream_tbDpT10_ENKUlT_T0_E_clISt17integral_constantIbLb1EES1F_EEDaS1A_S1B_EUlS1A_E_NS1_11comp_targetILNS1_3genE2ELNS1_11target_archE906ELNS1_3gpuE6ELNS1_3repE0EEENS1_30default_config_static_selectorELNS0_4arch9wavefront6targetE0EEEvT1_,comdat
.Lfunc_end2665:
	.size	_ZN7rocprim17ROCPRIM_400000_NS6detail17trampoline_kernelINS0_14default_configENS1_25partition_config_selectorILNS1_17partition_subalgoE5EyNS0_10empty_typeEbEEZZNS1_14partition_implILS5_5ELb0ES3_mN6thrust23THRUST_200600_302600_NS6detail15normal_iteratorINSA_10device_ptrIyEEEEPS6_NSA_18transform_iteratorINSB_9not_fun_tI7is_trueIyEEENSC_INSD_IbEEEENSA_11use_defaultESO_EENS0_5tupleIJNSA_16discard_iteratorISO_EES6_EEENSQ_IJSG_SG_EEES6_PlJS6_EEE10hipError_tPvRmT3_T4_T5_T6_T7_T9_mT8_P12ihipStream_tbDpT10_ENKUlT_T0_E_clISt17integral_constantIbLb1EES1F_EEDaS1A_S1B_EUlS1A_E_NS1_11comp_targetILNS1_3genE2ELNS1_11target_archE906ELNS1_3gpuE6ELNS1_3repE0EEENS1_30default_config_static_selectorELNS0_4arch9wavefront6targetE0EEEvT1_, .Lfunc_end2665-_ZN7rocprim17ROCPRIM_400000_NS6detail17trampoline_kernelINS0_14default_configENS1_25partition_config_selectorILNS1_17partition_subalgoE5EyNS0_10empty_typeEbEEZZNS1_14partition_implILS5_5ELb0ES3_mN6thrust23THRUST_200600_302600_NS6detail15normal_iteratorINSA_10device_ptrIyEEEEPS6_NSA_18transform_iteratorINSB_9not_fun_tI7is_trueIyEEENSC_INSD_IbEEEENSA_11use_defaultESO_EENS0_5tupleIJNSA_16discard_iteratorISO_EES6_EEENSQ_IJSG_SG_EEES6_PlJS6_EEE10hipError_tPvRmT3_T4_T5_T6_T7_T9_mT8_P12ihipStream_tbDpT10_ENKUlT_T0_E_clISt17integral_constantIbLb1EES1F_EEDaS1A_S1B_EUlS1A_E_NS1_11comp_targetILNS1_3genE2ELNS1_11target_archE906ELNS1_3gpuE6ELNS1_3repE0EEENS1_30default_config_static_selectorELNS0_4arch9wavefront6targetE0EEEvT1_
                                        ; -- End function
	.set _ZN7rocprim17ROCPRIM_400000_NS6detail17trampoline_kernelINS0_14default_configENS1_25partition_config_selectorILNS1_17partition_subalgoE5EyNS0_10empty_typeEbEEZZNS1_14partition_implILS5_5ELb0ES3_mN6thrust23THRUST_200600_302600_NS6detail15normal_iteratorINSA_10device_ptrIyEEEEPS6_NSA_18transform_iteratorINSB_9not_fun_tI7is_trueIyEEENSC_INSD_IbEEEENSA_11use_defaultESO_EENS0_5tupleIJNSA_16discard_iteratorISO_EES6_EEENSQ_IJSG_SG_EEES6_PlJS6_EEE10hipError_tPvRmT3_T4_T5_T6_T7_T9_mT8_P12ihipStream_tbDpT10_ENKUlT_T0_E_clISt17integral_constantIbLb1EES1F_EEDaS1A_S1B_EUlS1A_E_NS1_11comp_targetILNS1_3genE2ELNS1_11target_archE906ELNS1_3gpuE6ELNS1_3repE0EEENS1_30default_config_static_selectorELNS0_4arch9wavefront6targetE0EEEvT1_.num_vgpr, 0
	.set _ZN7rocprim17ROCPRIM_400000_NS6detail17trampoline_kernelINS0_14default_configENS1_25partition_config_selectorILNS1_17partition_subalgoE5EyNS0_10empty_typeEbEEZZNS1_14partition_implILS5_5ELb0ES3_mN6thrust23THRUST_200600_302600_NS6detail15normal_iteratorINSA_10device_ptrIyEEEEPS6_NSA_18transform_iteratorINSB_9not_fun_tI7is_trueIyEEENSC_INSD_IbEEEENSA_11use_defaultESO_EENS0_5tupleIJNSA_16discard_iteratorISO_EES6_EEENSQ_IJSG_SG_EEES6_PlJS6_EEE10hipError_tPvRmT3_T4_T5_T6_T7_T9_mT8_P12ihipStream_tbDpT10_ENKUlT_T0_E_clISt17integral_constantIbLb1EES1F_EEDaS1A_S1B_EUlS1A_E_NS1_11comp_targetILNS1_3genE2ELNS1_11target_archE906ELNS1_3gpuE6ELNS1_3repE0EEENS1_30default_config_static_selectorELNS0_4arch9wavefront6targetE0EEEvT1_.num_agpr, 0
	.set _ZN7rocprim17ROCPRIM_400000_NS6detail17trampoline_kernelINS0_14default_configENS1_25partition_config_selectorILNS1_17partition_subalgoE5EyNS0_10empty_typeEbEEZZNS1_14partition_implILS5_5ELb0ES3_mN6thrust23THRUST_200600_302600_NS6detail15normal_iteratorINSA_10device_ptrIyEEEEPS6_NSA_18transform_iteratorINSB_9not_fun_tI7is_trueIyEEENSC_INSD_IbEEEENSA_11use_defaultESO_EENS0_5tupleIJNSA_16discard_iteratorISO_EES6_EEENSQ_IJSG_SG_EEES6_PlJS6_EEE10hipError_tPvRmT3_T4_T5_T6_T7_T9_mT8_P12ihipStream_tbDpT10_ENKUlT_T0_E_clISt17integral_constantIbLb1EES1F_EEDaS1A_S1B_EUlS1A_E_NS1_11comp_targetILNS1_3genE2ELNS1_11target_archE906ELNS1_3gpuE6ELNS1_3repE0EEENS1_30default_config_static_selectorELNS0_4arch9wavefront6targetE0EEEvT1_.numbered_sgpr, 0
	.set _ZN7rocprim17ROCPRIM_400000_NS6detail17trampoline_kernelINS0_14default_configENS1_25partition_config_selectorILNS1_17partition_subalgoE5EyNS0_10empty_typeEbEEZZNS1_14partition_implILS5_5ELb0ES3_mN6thrust23THRUST_200600_302600_NS6detail15normal_iteratorINSA_10device_ptrIyEEEEPS6_NSA_18transform_iteratorINSB_9not_fun_tI7is_trueIyEEENSC_INSD_IbEEEENSA_11use_defaultESO_EENS0_5tupleIJNSA_16discard_iteratorISO_EES6_EEENSQ_IJSG_SG_EEES6_PlJS6_EEE10hipError_tPvRmT3_T4_T5_T6_T7_T9_mT8_P12ihipStream_tbDpT10_ENKUlT_T0_E_clISt17integral_constantIbLb1EES1F_EEDaS1A_S1B_EUlS1A_E_NS1_11comp_targetILNS1_3genE2ELNS1_11target_archE906ELNS1_3gpuE6ELNS1_3repE0EEENS1_30default_config_static_selectorELNS0_4arch9wavefront6targetE0EEEvT1_.num_named_barrier, 0
	.set _ZN7rocprim17ROCPRIM_400000_NS6detail17trampoline_kernelINS0_14default_configENS1_25partition_config_selectorILNS1_17partition_subalgoE5EyNS0_10empty_typeEbEEZZNS1_14partition_implILS5_5ELb0ES3_mN6thrust23THRUST_200600_302600_NS6detail15normal_iteratorINSA_10device_ptrIyEEEEPS6_NSA_18transform_iteratorINSB_9not_fun_tI7is_trueIyEEENSC_INSD_IbEEEENSA_11use_defaultESO_EENS0_5tupleIJNSA_16discard_iteratorISO_EES6_EEENSQ_IJSG_SG_EEES6_PlJS6_EEE10hipError_tPvRmT3_T4_T5_T6_T7_T9_mT8_P12ihipStream_tbDpT10_ENKUlT_T0_E_clISt17integral_constantIbLb1EES1F_EEDaS1A_S1B_EUlS1A_E_NS1_11comp_targetILNS1_3genE2ELNS1_11target_archE906ELNS1_3gpuE6ELNS1_3repE0EEENS1_30default_config_static_selectorELNS0_4arch9wavefront6targetE0EEEvT1_.private_seg_size, 0
	.set _ZN7rocprim17ROCPRIM_400000_NS6detail17trampoline_kernelINS0_14default_configENS1_25partition_config_selectorILNS1_17partition_subalgoE5EyNS0_10empty_typeEbEEZZNS1_14partition_implILS5_5ELb0ES3_mN6thrust23THRUST_200600_302600_NS6detail15normal_iteratorINSA_10device_ptrIyEEEEPS6_NSA_18transform_iteratorINSB_9not_fun_tI7is_trueIyEEENSC_INSD_IbEEEENSA_11use_defaultESO_EENS0_5tupleIJNSA_16discard_iteratorISO_EES6_EEENSQ_IJSG_SG_EEES6_PlJS6_EEE10hipError_tPvRmT3_T4_T5_T6_T7_T9_mT8_P12ihipStream_tbDpT10_ENKUlT_T0_E_clISt17integral_constantIbLb1EES1F_EEDaS1A_S1B_EUlS1A_E_NS1_11comp_targetILNS1_3genE2ELNS1_11target_archE906ELNS1_3gpuE6ELNS1_3repE0EEENS1_30default_config_static_selectorELNS0_4arch9wavefront6targetE0EEEvT1_.uses_vcc, 0
	.set _ZN7rocprim17ROCPRIM_400000_NS6detail17trampoline_kernelINS0_14default_configENS1_25partition_config_selectorILNS1_17partition_subalgoE5EyNS0_10empty_typeEbEEZZNS1_14partition_implILS5_5ELb0ES3_mN6thrust23THRUST_200600_302600_NS6detail15normal_iteratorINSA_10device_ptrIyEEEEPS6_NSA_18transform_iteratorINSB_9not_fun_tI7is_trueIyEEENSC_INSD_IbEEEENSA_11use_defaultESO_EENS0_5tupleIJNSA_16discard_iteratorISO_EES6_EEENSQ_IJSG_SG_EEES6_PlJS6_EEE10hipError_tPvRmT3_T4_T5_T6_T7_T9_mT8_P12ihipStream_tbDpT10_ENKUlT_T0_E_clISt17integral_constantIbLb1EES1F_EEDaS1A_S1B_EUlS1A_E_NS1_11comp_targetILNS1_3genE2ELNS1_11target_archE906ELNS1_3gpuE6ELNS1_3repE0EEENS1_30default_config_static_selectorELNS0_4arch9wavefront6targetE0EEEvT1_.uses_flat_scratch, 0
	.set _ZN7rocprim17ROCPRIM_400000_NS6detail17trampoline_kernelINS0_14default_configENS1_25partition_config_selectorILNS1_17partition_subalgoE5EyNS0_10empty_typeEbEEZZNS1_14partition_implILS5_5ELb0ES3_mN6thrust23THRUST_200600_302600_NS6detail15normal_iteratorINSA_10device_ptrIyEEEEPS6_NSA_18transform_iteratorINSB_9not_fun_tI7is_trueIyEEENSC_INSD_IbEEEENSA_11use_defaultESO_EENS0_5tupleIJNSA_16discard_iteratorISO_EES6_EEENSQ_IJSG_SG_EEES6_PlJS6_EEE10hipError_tPvRmT3_T4_T5_T6_T7_T9_mT8_P12ihipStream_tbDpT10_ENKUlT_T0_E_clISt17integral_constantIbLb1EES1F_EEDaS1A_S1B_EUlS1A_E_NS1_11comp_targetILNS1_3genE2ELNS1_11target_archE906ELNS1_3gpuE6ELNS1_3repE0EEENS1_30default_config_static_selectorELNS0_4arch9wavefront6targetE0EEEvT1_.has_dyn_sized_stack, 0
	.set _ZN7rocprim17ROCPRIM_400000_NS6detail17trampoline_kernelINS0_14default_configENS1_25partition_config_selectorILNS1_17partition_subalgoE5EyNS0_10empty_typeEbEEZZNS1_14partition_implILS5_5ELb0ES3_mN6thrust23THRUST_200600_302600_NS6detail15normal_iteratorINSA_10device_ptrIyEEEEPS6_NSA_18transform_iteratorINSB_9not_fun_tI7is_trueIyEEENSC_INSD_IbEEEENSA_11use_defaultESO_EENS0_5tupleIJNSA_16discard_iteratorISO_EES6_EEENSQ_IJSG_SG_EEES6_PlJS6_EEE10hipError_tPvRmT3_T4_T5_T6_T7_T9_mT8_P12ihipStream_tbDpT10_ENKUlT_T0_E_clISt17integral_constantIbLb1EES1F_EEDaS1A_S1B_EUlS1A_E_NS1_11comp_targetILNS1_3genE2ELNS1_11target_archE906ELNS1_3gpuE6ELNS1_3repE0EEENS1_30default_config_static_selectorELNS0_4arch9wavefront6targetE0EEEvT1_.has_recursion, 0
	.set _ZN7rocprim17ROCPRIM_400000_NS6detail17trampoline_kernelINS0_14default_configENS1_25partition_config_selectorILNS1_17partition_subalgoE5EyNS0_10empty_typeEbEEZZNS1_14partition_implILS5_5ELb0ES3_mN6thrust23THRUST_200600_302600_NS6detail15normal_iteratorINSA_10device_ptrIyEEEEPS6_NSA_18transform_iteratorINSB_9not_fun_tI7is_trueIyEEENSC_INSD_IbEEEENSA_11use_defaultESO_EENS0_5tupleIJNSA_16discard_iteratorISO_EES6_EEENSQ_IJSG_SG_EEES6_PlJS6_EEE10hipError_tPvRmT3_T4_T5_T6_T7_T9_mT8_P12ihipStream_tbDpT10_ENKUlT_T0_E_clISt17integral_constantIbLb1EES1F_EEDaS1A_S1B_EUlS1A_E_NS1_11comp_targetILNS1_3genE2ELNS1_11target_archE906ELNS1_3gpuE6ELNS1_3repE0EEENS1_30default_config_static_selectorELNS0_4arch9wavefront6targetE0EEEvT1_.has_indirect_call, 0
	.section	.AMDGPU.csdata,"",@progbits
; Kernel info:
; codeLenInByte = 0
; TotalNumSgprs: 0
; NumVgprs: 0
; ScratchSize: 0
; MemoryBound: 0
; FloatMode: 240
; IeeeMode: 1
; LDSByteSize: 0 bytes/workgroup (compile time only)
; SGPRBlocks: 0
; VGPRBlocks: 0
; NumSGPRsForWavesPerEU: 1
; NumVGPRsForWavesPerEU: 1
; Occupancy: 16
; WaveLimiterHint : 0
; COMPUTE_PGM_RSRC2:SCRATCH_EN: 0
; COMPUTE_PGM_RSRC2:USER_SGPR: 2
; COMPUTE_PGM_RSRC2:TRAP_HANDLER: 0
; COMPUTE_PGM_RSRC2:TGID_X_EN: 1
; COMPUTE_PGM_RSRC2:TGID_Y_EN: 0
; COMPUTE_PGM_RSRC2:TGID_Z_EN: 0
; COMPUTE_PGM_RSRC2:TIDIG_COMP_CNT: 0
	.section	.text._ZN7rocprim17ROCPRIM_400000_NS6detail17trampoline_kernelINS0_14default_configENS1_25partition_config_selectorILNS1_17partition_subalgoE5EyNS0_10empty_typeEbEEZZNS1_14partition_implILS5_5ELb0ES3_mN6thrust23THRUST_200600_302600_NS6detail15normal_iteratorINSA_10device_ptrIyEEEEPS6_NSA_18transform_iteratorINSB_9not_fun_tI7is_trueIyEEENSC_INSD_IbEEEENSA_11use_defaultESO_EENS0_5tupleIJNSA_16discard_iteratorISO_EES6_EEENSQ_IJSG_SG_EEES6_PlJS6_EEE10hipError_tPvRmT3_T4_T5_T6_T7_T9_mT8_P12ihipStream_tbDpT10_ENKUlT_T0_E_clISt17integral_constantIbLb1EES1F_EEDaS1A_S1B_EUlS1A_E_NS1_11comp_targetILNS1_3genE10ELNS1_11target_archE1200ELNS1_3gpuE4ELNS1_3repE0EEENS1_30default_config_static_selectorELNS0_4arch9wavefront6targetE0EEEvT1_,"axG",@progbits,_ZN7rocprim17ROCPRIM_400000_NS6detail17trampoline_kernelINS0_14default_configENS1_25partition_config_selectorILNS1_17partition_subalgoE5EyNS0_10empty_typeEbEEZZNS1_14partition_implILS5_5ELb0ES3_mN6thrust23THRUST_200600_302600_NS6detail15normal_iteratorINSA_10device_ptrIyEEEEPS6_NSA_18transform_iteratorINSB_9not_fun_tI7is_trueIyEEENSC_INSD_IbEEEENSA_11use_defaultESO_EENS0_5tupleIJNSA_16discard_iteratorISO_EES6_EEENSQ_IJSG_SG_EEES6_PlJS6_EEE10hipError_tPvRmT3_T4_T5_T6_T7_T9_mT8_P12ihipStream_tbDpT10_ENKUlT_T0_E_clISt17integral_constantIbLb1EES1F_EEDaS1A_S1B_EUlS1A_E_NS1_11comp_targetILNS1_3genE10ELNS1_11target_archE1200ELNS1_3gpuE4ELNS1_3repE0EEENS1_30default_config_static_selectorELNS0_4arch9wavefront6targetE0EEEvT1_,comdat
	.protected	_ZN7rocprim17ROCPRIM_400000_NS6detail17trampoline_kernelINS0_14default_configENS1_25partition_config_selectorILNS1_17partition_subalgoE5EyNS0_10empty_typeEbEEZZNS1_14partition_implILS5_5ELb0ES3_mN6thrust23THRUST_200600_302600_NS6detail15normal_iteratorINSA_10device_ptrIyEEEEPS6_NSA_18transform_iteratorINSB_9not_fun_tI7is_trueIyEEENSC_INSD_IbEEEENSA_11use_defaultESO_EENS0_5tupleIJNSA_16discard_iteratorISO_EES6_EEENSQ_IJSG_SG_EEES6_PlJS6_EEE10hipError_tPvRmT3_T4_T5_T6_T7_T9_mT8_P12ihipStream_tbDpT10_ENKUlT_T0_E_clISt17integral_constantIbLb1EES1F_EEDaS1A_S1B_EUlS1A_E_NS1_11comp_targetILNS1_3genE10ELNS1_11target_archE1200ELNS1_3gpuE4ELNS1_3repE0EEENS1_30default_config_static_selectorELNS0_4arch9wavefront6targetE0EEEvT1_ ; -- Begin function _ZN7rocprim17ROCPRIM_400000_NS6detail17trampoline_kernelINS0_14default_configENS1_25partition_config_selectorILNS1_17partition_subalgoE5EyNS0_10empty_typeEbEEZZNS1_14partition_implILS5_5ELb0ES3_mN6thrust23THRUST_200600_302600_NS6detail15normal_iteratorINSA_10device_ptrIyEEEEPS6_NSA_18transform_iteratorINSB_9not_fun_tI7is_trueIyEEENSC_INSD_IbEEEENSA_11use_defaultESO_EENS0_5tupleIJNSA_16discard_iteratorISO_EES6_EEENSQ_IJSG_SG_EEES6_PlJS6_EEE10hipError_tPvRmT3_T4_T5_T6_T7_T9_mT8_P12ihipStream_tbDpT10_ENKUlT_T0_E_clISt17integral_constantIbLb1EES1F_EEDaS1A_S1B_EUlS1A_E_NS1_11comp_targetILNS1_3genE10ELNS1_11target_archE1200ELNS1_3gpuE4ELNS1_3repE0EEENS1_30default_config_static_selectorELNS0_4arch9wavefront6targetE0EEEvT1_
	.globl	_ZN7rocprim17ROCPRIM_400000_NS6detail17trampoline_kernelINS0_14default_configENS1_25partition_config_selectorILNS1_17partition_subalgoE5EyNS0_10empty_typeEbEEZZNS1_14partition_implILS5_5ELb0ES3_mN6thrust23THRUST_200600_302600_NS6detail15normal_iteratorINSA_10device_ptrIyEEEEPS6_NSA_18transform_iteratorINSB_9not_fun_tI7is_trueIyEEENSC_INSD_IbEEEENSA_11use_defaultESO_EENS0_5tupleIJNSA_16discard_iteratorISO_EES6_EEENSQ_IJSG_SG_EEES6_PlJS6_EEE10hipError_tPvRmT3_T4_T5_T6_T7_T9_mT8_P12ihipStream_tbDpT10_ENKUlT_T0_E_clISt17integral_constantIbLb1EES1F_EEDaS1A_S1B_EUlS1A_E_NS1_11comp_targetILNS1_3genE10ELNS1_11target_archE1200ELNS1_3gpuE4ELNS1_3repE0EEENS1_30default_config_static_selectorELNS0_4arch9wavefront6targetE0EEEvT1_
	.p2align	8
	.type	_ZN7rocprim17ROCPRIM_400000_NS6detail17trampoline_kernelINS0_14default_configENS1_25partition_config_selectorILNS1_17partition_subalgoE5EyNS0_10empty_typeEbEEZZNS1_14partition_implILS5_5ELb0ES3_mN6thrust23THRUST_200600_302600_NS6detail15normal_iteratorINSA_10device_ptrIyEEEEPS6_NSA_18transform_iteratorINSB_9not_fun_tI7is_trueIyEEENSC_INSD_IbEEEENSA_11use_defaultESO_EENS0_5tupleIJNSA_16discard_iteratorISO_EES6_EEENSQ_IJSG_SG_EEES6_PlJS6_EEE10hipError_tPvRmT3_T4_T5_T6_T7_T9_mT8_P12ihipStream_tbDpT10_ENKUlT_T0_E_clISt17integral_constantIbLb1EES1F_EEDaS1A_S1B_EUlS1A_E_NS1_11comp_targetILNS1_3genE10ELNS1_11target_archE1200ELNS1_3gpuE4ELNS1_3repE0EEENS1_30default_config_static_selectorELNS0_4arch9wavefront6targetE0EEEvT1_,@function
_ZN7rocprim17ROCPRIM_400000_NS6detail17trampoline_kernelINS0_14default_configENS1_25partition_config_selectorILNS1_17partition_subalgoE5EyNS0_10empty_typeEbEEZZNS1_14partition_implILS5_5ELb0ES3_mN6thrust23THRUST_200600_302600_NS6detail15normal_iteratorINSA_10device_ptrIyEEEEPS6_NSA_18transform_iteratorINSB_9not_fun_tI7is_trueIyEEENSC_INSD_IbEEEENSA_11use_defaultESO_EENS0_5tupleIJNSA_16discard_iteratorISO_EES6_EEENSQ_IJSG_SG_EEES6_PlJS6_EEE10hipError_tPvRmT3_T4_T5_T6_T7_T9_mT8_P12ihipStream_tbDpT10_ENKUlT_T0_E_clISt17integral_constantIbLb1EES1F_EEDaS1A_S1B_EUlS1A_E_NS1_11comp_targetILNS1_3genE10ELNS1_11target_archE1200ELNS1_3gpuE4ELNS1_3repE0EEENS1_30default_config_static_selectorELNS0_4arch9wavefront6targetE0EEEvT1_: ; @_ZN7rocprim17ROCPRIM_400000_NS6detail17trampoline_kernelINS0_14default_configENS1_25partition_config_selectorILNS1_17partition_subalgoE5EyNS0_10empty_typeEbEEZZNS1_14partition_implILS5_5ELb0ES3_mN6thrust23THRUST_200600_302600_NS6detail15normal_iteratorINSA_10device_ptrIyEEEEPS6_NSA_18transform_iteratorINSB_9not_fun_tI7is_trueIyEEENSC_INSD_IbEEEENSA_11use_defaultESO_EENS0_5tupleIJNSA_16discard_iteratorISO_EES6_EEENSQ_IJSG_SG_EEES6_PlJS6_EEE10hipError_tPvRmT3_T4_T5_T6_T7_T9_mT8_P12ihipStream_tbDpT10_ENKUlT_T0_E_clISt17integral_constantIbLb1EES1F_EEDaS1A_S1B_EUlS1A_E_NS1_11comp_targetILNS1_3genE10ELNS1_11target_archE1200ELNS1_3gpuE4ELNS1_3repE0EEENS1_30default_config_static_selectorELNS0_4arch9wavefront6targetE0EEEvT1_
; %bb.0:
	s_endpgm
	.section	.rodata,"a",@progbits
	.p2align	6, 0x0
	.amdhsa_kernel _ZN7rocprim17ROCPRIM_400000_NS6detail17trampoline_kernelINS0_14default_configENS1_25partition_config_selectorILNS1_17partition_subalgoE5EyNS0_10empty_typeEbEEZZNS1_14partition_implILS5_5ELb0ES3_mN6thrust23THRUST_200600_302600_NS6detail15normal_iteratorINSA_10device_ptrIyEEEEPS6_NSA_18transform_iteratorINSB_9not_fun_tI7is_trueIyEEENSC_INSD_IbEEEENSA_11use_defaultESO_EENS0_5tupleIJNSA_16discard_iteratorISO_EES6_EEENSQ_IJSG_SG_EEES6_PlJS6_EEE10hipError_tPvRmT3_T4_T5_T6_T7_T9_mT8_P12ihipStream_tbDpT10_ENKUlT_T0_E_clISt17integral_constantIbLb1EES1F_EEDaS1A_S1B_EUlS1A_E_NS1_11comp_targetILNS1_3genE10ELNS1_11target_archE1200ELNS1_3gpuE4ELNS1_3repE0EEENS1_30default_config_static_selectorELNS0_4arch9wavefront6targetE0EEEvT1_
		.amdhsa_group_segment_fixed_size 0
		.amdhsa_private_segment_fixed_size 0
		.amdhsa_kernarg_size 144
		.amdhsa_user_sgpr_count 2
		.amdhsa_user_sgpr_dispatch_ptr 0
		.amdhsa_user_sgpr_queue_ptr 0
		.amdhsa_user_sgpr_kernarg_segment_ptr 1
		.amdhsa_user_sgpr_dispatch_id 0
		.amdhsa_user_sgpr_private_segment_size 0
		.amdhsa_wavefront_size32 1
		.amdhsa_uses_dynamic_stack 0
		.amdhsa_enable_private_segment 0
		.amdhsa_system_sgpr_workgroup_id_x 1
		.amdhsa_system_sgpr_workgroup_id_y 0
		.amdhsa_system_sgpr_workgroup_id_z 0
		.amdhsa_system_sgpr_workgroup_info 0
		.amdhsa_system_vgpr_workitem_id 0
		.amdhsa_next_free_vgpr 1
		.amdhsa_next_free_sgpr 1
		.amdhsa_reserve_vcc 0
		.amdhsa_float_round_mode_32 0
		.amdhsa_float_round_mode_16_64 0
		.amdhsa_float_denorm_mode_32 3
		.amdhsa_float_denorm_mode_16_64 3
		.amdhsa_fp16_overflow 0
		.amdhsa_workgroup_processor_mode 1
		.amdhsa_memory_ordered 1
		.amdhsa_forward_progress 1
		.amdhsa_inst_pref_size 1
		.amdhsa_round_robin_scheduling 0
		.amdhsa_exception_fp_ieee_invalid_op 0
		.amdhsa_exception_fp_denorm_src 0
		.amdhsa_exception_fp_ieee_div_zero 0
		.amdhsa_exception_fp_ieee_overflow 0
		.amdhsa_exception_fp_ieee_underflow 0
		.amdhsa_exception_fp_ieee_inexact 0
		.amdhsa_exception_int_div_zero 0
	.end_amdhsa_kernel
	.section	.text._ZN7rocprim17ROCPRIM_400000_NS6detail17trampoline_kernelINS0_14default_configENS1_25partition_config_selectorILNS1_17partition_subalgoE5EyNS0_10empty_typeEbEEZZNS1_14partition_implILS5_5ELb0ES3_mN6thrust23THRUST_200600_302600_NS6detail15normal_iteratorINSA_10device_ptrIyEEEEPS6_NSA_18transform_iteratorINSB_9not_fun_tI7is_trueIyEEENSC_INSD_IbEEEENSA_11use_defaultESO_EENS0_5tupleIJNSA_16discard_iteratorISO_EES6_EEENSQ_IJSG_SG_EEES6_PlJS6_EEE10hipError_tPvRmT3_T4_T5_T6_T7_T9_mT8_P12ihipStream_tbDpT10_ENKUlT_T0_E_clISt17integral_constantIbLb1EES1F_EEDaS1A_S1B_EUlS1A_E_NS1_11comp_targetILNS1_3genE10ELNS1_11target_archE1200ELNS1_3gpuE4ELNS1_3repE0EEENS1_30default_config_static_selectorELNS0_4arch9wavefront6targetE0EEEvT1_,"axG",@progbits,_ZN7rocprim17ROCPRIM_400000_NS6detail17trampoline_kernelINS0_14default_configENS1_25partition_config_selectorILNS1_17partition_subalgoE5EyNS0_10empty_typeEbEEZZNS1_14partition_implILS5_5ELb0ES3_mN6thrust23THRUST_200600_302600_NS6detail15normal_iteratorINSA_10device_ptrIyEEEEPS6_NSA_18transform_iteratorINSB_9not_fun_tI7is_trueIyEEENSC_INSD_IbEEEENSA_11use_defaultESO_EENS0_5tupleIJNSA_16discard_iteratorISO_EES6_EEENSQ_IJSG_SG_EEES6_PlJS6_EEE10hipError_tPvRmT3_T4_T5_T6_T7_T9_mT8_P12ihipStream_tbDpT10_ENKUlT_T0_E_clISt17integral_constantIbLb1EES1F_EEDaS1A_S1B_EUlS1A_E_NS1_11comp_targetILNS1_3genE10ELNS1_11target_archE1200ELNS1_3gpuE4ELNS1_3repE0EEENS1_30default_config_static_selectorELNS0_4arch9wavefront6targetE0EEEvT1_,comdat
.Lfunc_end2666:
	.size	_ZN7rocprim17ROCPRIM_400000_NS6detail17trampoline_kernelINS0_14default_configENS1_25partition_config_selectorILNS1_17partition_subalgoE5EyNS0_10empty_typeEbEEZZNS1_14partition_implILS5_5ELb0ES3_mN6thrust23THRUST_200600_302600_NS6detail15normal_iteratorINSA_10device_ptrIyEEEEPS6_NSA_18transform_iteratorINSB_9not_fun_tI7is_trueIyEEENSC_INSD_IbEEEENSA_11use_defaultESO_EENS0_5tupleIJNSA_16discard_iteratorISO_EES6_EEENSQ_IJSG_SG_EEES6_PlJS6_EEE10hipError_tPvRmT3_T4_T5_T6_T7_T9_mT8_P12ihipStream_tbDpT10_ENKUlT_T0_E_clISt17integral_constantIbLb1EES1F_EEDaS1A_S1B_EUlS1A_E_NS1_11comp_targetILNS1_3genE10ELNS1_11target_archE1200ELNS1_3gpuE4ELNS1_3repE0EEENS1_30default_config_static_selectorELNS0_4arch9wavefront6targetE0EEEvT1_, .Lfunc_end2666-_ZN7rocprim17ROCPRIM_400000_NS6detail17trampoline_kernelINS0_14default_configENS1_25partition_config_selectorILNS1_17partition_subalgoE5EyNS0_10empty_typeEbEEZZNS1_14partition_implILS5_5ELb0ES3_mN6thrust23THRUST_200600_302600_NS6detail15normal_iteratorINSA_10device_ptrIyEEEEPS6_NSA_18transform_iteratorINSB_9not_fun_tI7is_trueIyEEENSC_INSD_IbEEEENSA_11use_defaultESO_EENS0_5tupleIJNSA_16discard_iteratorISO_EES6_EEENSQ_IJSG_SG_EEES6_PlJS6_EEE10hipError_tPvRmT3_T4_T5_T6_T7_T9_mT8_P12ihipStream_tbDpT10_ENKUlT_T0_E_clISt17integral_constantIbLb1EES1F_EEDaS1A_S1B_EUlS1A_E_NS1_11comp_targetILNS1_3genE10ELNS1_11target_archE1200ELNS1_3gpuE4ELNS1_3repE0EEENS1_30default_config_static_selectorELNS0_4arch9wavefront6targetE0EEEvT1_
                                        ; -- End function
	.set _ZN7rocprim17ROCPRIM_400000_NS6detail17trampoline_kernelINS0_14default_configENS1_25partition_config_selectorILNS1_17partition_subalgoE5EyNS0_10empty_typeEbEEZZNS1_14partition_implILS5_5ELb0ES3_mN6thrust23THRUST_200600_302600_NS6detail15normal_iteratorINSA_10device_ptrIyEEEEPS6_NSA_18transform_iteratorINSB_9not_fun_tI7is_trueIyEEENSC_INSD_IbEEEENSA_11use_defaultESO_EENS0_5tupleIJNSA_16discard_iteratorISO_EES6_EEENSQ_IJSG_SG_EEES6_PlJS6_EEE10hipError_tPvRmT3_T4_T5_T6_T7_T9_mT8_P12ihipStream_tbDpT10_ENKUlT_T0_E_clISt17integral_constantIbLb1EES1F_EEDaS1A_S1B_EUlS1A_E_NS1_11comp_targetILNS1_3genE10ELNS1_11target_archE1200ELNS1_3gpuE4ELNS1_3repE0EEENS1_30default_config_static_selectorELNS0_4arch9wavefront6targetE0EEEvT1_.num_vgpr, 0
	.set _ZN7rocprim17ROCPRIM_400000_NS6detail17trampoline_kernelINS0_14default_configENS1_25partition_config_selectorILNS1_17partition_subalgoE5EyNS0_10empty_typeEbEEZZNS1_14partition_implILS5_5ELb0ES3_mN6thrust23THRUST_200600_302600_NS6detail15normal_iteratorINSA_10device_ptrIyEEEEPS6_NSA_18transform_iteratorINSB_9not_fun_tI7is_trueIyEEENSC_INSD_IbEEEENSA_11use_defaultESO_EENS0_5tupleIJNSA_16discard_iteratorISO_EES6_EEENSQ_IJSG_SG_EEES6_PlJS6_EEE10hipError_tPvRmT3_T4_T5_T6_T7_T9_mT8_P12ihipStream_tbDpT10_ENKUlT_T0_E_clISt17integral_constantIbLb1EES1F_EEDaS1A_S1B_EUlS1A_E_NS1_11comp_targetILNS1_3genE10ELNS1_11target_archE1200ELNS1_3gpuE4ELNS1_3repE0EEENS1_30default_config_static_selectorELNS0_4arch9wavefront6targetE0EEEvT1_.num_agpr, 0
	.set _ZN7rocprim17ROCPRIM_400000_NS6detail17trampoline_kernelINS0_14default_configENS1_25partition_config_selectorILNS1_17partition_subalgoE5EyNS0_10empty_typeEbEEZZNS1_14partition_implILS5_5ELb0ES3_mN6thrust23THRUST_200600_302600_NS6detail15normal_iteratorINSA_10device_ptrIyEEEEPS6_NSA_18transform_iteratorINSB_9not_fun_tI7is_trueIyEEENSC_INSD_IbEEEENSA_11use_defaultESO_EENS0_5tupleIJNSA_16discard_iteratorISO_EES6_EEENSQ_IJSG_SG_EEES6_PlJS6_EEE10hipError_tPvRmT3_T4_T5_T6_T7_T9_mT8_P12ihipStream_tbDpT10_ENKUlT_T0_E_clISt17integral_constantIbLb1EES1F_EEDaS1A_S1B_EUlS1A_E_NS1_11comp_targetILNS1_3genE10ELNS1_11target_archE1200ELNS1_3gpuE4ELNS1_3repE0EEENS1_30default_config_static_selectorELNS0_4arch9wavefront6targetE0EEEvT1_.numbered_sgpr, 0
	.set _ZN7rocprim17ROCPRIM_400000_NS6detail17trampoline_kernelINS0_14default_configENS1_25partition_config_selectorILNS1_17partition_subalgoE5EyNS0_10empty_typeEbEEZZNS1_14partition_implILS5_5ELb0ES3_mN6thrust23THRUST_200600_302600_NS6detail15normal_iteratorINSA_10device_ptrIyEEEEPS6_NSA_18transform_iteratorINSB_9not_fun_tI7is_trueIyEEENSC_INSD_IbEEEENSA_11use_defaultESO_EENS0_5tupleIJNSA_16discard_iteratorISO_EES6_EEENSQ_IJSG_SG_EEES6_PlJS6_EEE10hipError_tPvRmT3_T4_T5_T6_T7_T9_mT8_P12ihipStream_tbDpT10_ENKUlT_T0_E_clISt17integral_constantIbLb1EES1F_EEDaS1A_S1B_EUlS1A_E_NS1_11comp_targetILNS1_3genE10ELNS1_11target_archE1200ELNS1_3gpuE4ELNS1_3repE0EEENS1_30default_config_static_selectorELNS0_4arch9wavefront6targetE0EEEvT1_.num_named_barrier, 0
	.set _ZN7rocprim17ROCPRIM_400000_NS6detail17trampoline_kernelINS0_14default_configENS1_25partition_config_selectorILNS1_17partition_subalgoE5EyNS0_10empty_typeEbEEZZNS1_14partition_implILS5_5ELb0ES3_mN6thrust23THRUST_200600_302600_NS6detail15normal_iteratorINSA_10device_ptrIyEEEEPS6_NSA_18transform_iteratorINSB_9not_fun_tI7is_trueIyEEENSC_INSD_IbEEEENSA_11use_defaultESO_EENS0_5tupleIJNSA_16discard_iteratorISO_EES6_EEENSQ_IJSG_SG_EEES6_PlJS6_EEE10hipError_tPvRmT3_T4_T5_T6_T7_T9_mT8_P12ihipStream_tbDpT10_ENKUlT_T0_E_clISt17integral_constantIbLb1EES1F_EEDaS1A_S1B_EUlS1A_E_NS1_11comp_targetILNS1_3genE10ELNS1_11target_archE1200ELNS1_3gpuE4ELNS1_3repE0EEENS1_30default_config_static_selectorELNS0_4arch9wavefront6targetE0EEEvT1_.private_seg_size, 0
	.set _ZN7rocprim17ROCPRIM_400000_NS6detail17trampoline_kernelINS0_14default_configENS1_25partition_config_selectorILNS1_17partition_subalgoE5EyNS0_10empty_typeEbEEZZNS1_14partition_implILS5_5ELb0ES3_mN6thrust23THRUST_200600_302600_NS6detail15normal_iteratorINSA_10device_ptrIyEEEEPS6_NSA_18transform_iteratorINSB_9not_fun_tI7is_trueIyEEENSC_INSD_IbEEEENSA_11use_defaultESO_EENS0_5tupleIJNSA_16discard_iteratorISO_EES6_EEENSQ_IJSG_SG_EEES6_PlJS6_EEE10hipError_tPvRmT3_T4_T5_T6_T7_T9_mT8_P12ihipStream_tbDpT10_ENKUlT_T0_E_clISt17integral_constantIbLb1EES1F_EEDaS1A_S1B_EUlS1A_E_NS1_11comp_targetILNS1_3genE10ELNS1_11target_archE1200ELNS1_3gpuE4ELNS1_3repE0EEENS1_30default_config_static_selectorELNS0_4arch9wavefront6targetE0EEEvT1_.uses_vcc, 0
	.set _ZN7rocprim17ROCPRIM_400000_NS6detail17trampoline_kernelINS0_14default_configENS1_25partition_config_selectorILNS1_17partition_subalgoE5EyNS0_10empty_typeEbEEZZNS1_14partition_implILS5_5ELb0ES3_mN6thrust23THRUST_200600_302600_NS6detail15normal_iteratorINSA_10device_ptrIyEEEEPS6_NSA_18transform_iteratorINSB_9not_fun_tI7is_trueIyEEENSC_INSD_IbEEEENSA_11use_defaultESO_EENS0_5tupleIJNSA_16discard_iteratorISO_EES6_EEENSQ_IJSG_SG_EEES6_PlJS6_EEE10hipError_tPvRmT3_T4_T5_T6_T7_T9_mT8_P12ihipStream_tbDpT10_ENKUlT_T0_E_clISt17integral_constantIbLb1EES1F_EEDaS1A_S1B_EUlS1A_E_NS1_11comp_targetILNS1_3genE10ELNS1_11target_archE1200ELNS1_3gpuE4ELNS1_3repE0EEENS1_30default_config_static_selectorELNS0_4arch9wavefront6targetE0EEEvT1_.uses_flat_scratch, 0
	.set _ZN7rocprim17ROCPRIM_400000_NS6detail17trampoline_kernelINS0_14default_configENS1_25partition_config_selectorILNS1_17partition_subalgoE5EyNS0_10empty_typeEbEEZZNS1_14partition_implILS5_5ELb0ES3_mN6thrust23THRUST_200600_302600_NS6detail15normal_iteratorINSA_10device_ptrIyEEEEPS6_NSA_18transform_iteratorINSB_9not_fun_tI7is_trueIyEEENSC_INSD_IbEEEENSA_11use_defaultESO_EENS0_5tupleIJNSA_16discard_iteratorISO_EES6_EEENSQ_IJSG_SG_EEES6_PlJS6_EEE10hipError_tPvRmT3_T4_T5_T6_T7_T9_mT8_P12ihipStream_tbDpT10_ENKUlT_T0_E_clISt17integral_constantIbLb1EES1F_EEDaS1A_S1B_EUlS1A_E_NS1_11comp_targetILNS1_3genE10ELNS1_11target_archE1200ELNS1_3gpuE4ELNS1_3repE0EEENS1_30default_config_static_selectorELNS0_4arch9wavefront6targetE0EEEvT1_.has_dyn_sized_stack, 0
	.set _ZN7rocprim17ROCPRIM_400000_NS6detail17trampoline_kernelINS0_14default_configENS1_25partition_config_selectorILNS1_17partition_subalgoE5EyNS0_10empty_typeEbEEZZNS1_14partition_implILS5_5ELb0ES3_mN6thrust23THRUST_200600_302600_NS6detail15normal_iteratorINSA_10device_ptrIyEEEEPS6_NSA_18transform_iteratorINSB_9not_fun_tI7is_trueIyEEENSC_INSD_IbEEEENSA_11use_defaultESO_EENS0_5tupleIJNSA_16discard_iteratorISO_EES6_EEENSQ_IJSG_SG_EEES6_PlJS6_EEE10hipError_tPvRmT3_T4_T5_T6_T7_T9_mT8_P12ihipStream_tbDpT10_ENKUlT_T0_E_clISt17integral_constantIbLb1EES1F_EEDaS1A_S1B_EUlS1A_E_NS1_11comp_targetILNS1_3genE10ELNS1_11target_archE1200ELNS1_3gpuE4ELNS1_3repE0EEENS1_30default_config_static_selectorELNS0_4arch9wavefront6targetE0EEEvT1_.has_recursion, 0
	.set _ZN7rocprim17ROCPRIM_400000_NS6detail17trampoline_kernelINS0_14default_configENS1_25partition_config_selectorILNS1_17partition_subalgoE5EyNS0_10empty_typeEbEEZZNS1_14partition_implILS5_5ELb0ES3_mN6thrust23THRUST_200600_302600_NS6detail15normal_iteratorINSA_10device_ptrIyEEEEPS6_NSA_18transform_iteratorINSB_9not_fun_tI7is_trueIyEEENSC_INSD_IbEEEENSA_11use_defaultESO_EENS0_5tupleIJNSA_16discard_iteratorISO_EES6_EEENSQ_IJSG_SG_EEES6_PlJS6_EEE10hipError_tPvRmT3_T4_T5_T6_T7_T9_mT8_P12ihipStream_tbDpT10_ENKUlT_T0_E_clISt17integral_constantIbLb1EES1F_EEDaS1A_S1B_EUlS1A_E_NS1_11comp_targetILNS1_3genE10ELNS1_11target_archE1200ELNS1_3gpuE4ELNS1_3repE0EEENS1_30default_config_static_selectorELNS0_4arch9wavefront6targetE0EEEvT1_.has_indirect_call, 0
	.section	.AMDGPU.csdata,"",@progbits
; Kernel info:
; codeLenInByte = 4
; TotalNumSgprs: 0
; NumVgprs: 0
; ScratchSize: 0
; MemoryBound: 0
; FloatMode: 240
; IeeeMode: 1
; LDSByteSize: 0 bytes/workgroup (compile time only)
; SGPRBlocks: 0
; VGPRBlocks: 0
; NumSGPRsForWavesPerEU: 1
; NumVGPRsForWavesPerEU: 1
; Occupancy: 16
; WaveLimiterHint : 0
; COMPUTE_PGM_RSRC2:SCRATCH_EN: 0
; COMPUTE_PGM_RSRC2:USER_SGPR: 2
; COMPUTE_PGM_RSRC2:TRAP_HANDLER: 0
; COMPUTE_PGM_RSRC2:TGID_X_EN: 1
; COMPUTE_PGM_RSRC2:TGID_Y_EN: 0
; COMPUTE_PGM_RSRC2:TGID_Z_EN: 0
; COMPUTE_PGM_RSRC2:TIDIG_COMP_CNT: 0
	.section	.text._ZN7rocprim17ROCPRIM_400000_NS6detail17trampoline_kernelINS0_14default_configENS1_25partition_config_selectorILNS1_17partition_subalgoE5EyNS0_10empty_typeEbEEZZNS1_14partition_implILS5_5ELb0ES3_mN6thrust23THRUST_200600_302600_NS6detail15normal_iteratorINSA_10device_ptrIyEEEEPS6_NSA_18transform_iteratorINSB_9not_fun_tI7is_trueIyEEENSC_INSD_IbEEEENSA_11use_defaultESO_EENS0_5tupleIJNSA_16discard_iteratorISO_EES6_EEENSQ_IJSG_SG_EEES6_PlJS6_EEE10hipError_tPvRmT3_T4_T5_T6_T7_T9_mT8_P12ihipStream_tbDpT10_ENKUlT_T0_E_clISt17integral_constantIbLb1EES1F_EEDaS1A_S1B_EUlS1A_E_NS1_11comp_targetILNS1_3genE9ELNS1_11target_archE1100ELNS1_3gpuE3ELNS1_3repE0EEENS1_30default_config_static_selectorELNS0_4arch9wavefront6targetE0EEEvT1_,"axG",@progbits,_ZN7rocprim17ROCPRIM_400000_NS6detail17trampoline_kernelINS0_14default_configENS1_25partition_config_selectorILNS1_17partition_subalgoE5EyNS0_10empty_typeEbEEZZNS1_14partition_implILS5_5ELb0ES3_mN6thrust23THRUST_200600_302600_NS6detail15normal_iteratorINSA_10device_ptrIyEEEEPS6_NSA_18transform_iteratorINSB_9not_fun_tI7is_trueIyEEENSC_INSD_IbEEEENSA_11use_defaultESO_EENS0_5tupleIJNSA_16discard_iteratorISO_EES6_EEENSQ_IJSG_SG_EEES6_PlJS6_EEE10hipError_tPvRmT3_T4_T5_T6_T7_T9_mT8_P12ihipStream_tbDpT10_ENKUlT_T0_E_clISt17integral_constantIbLb1EES1F_EEDaS1A_S1B_EUlS1A_E_NS1_11comp_targetILNS1_3genE9ELNS1_11target_archE1100ELNS1_3gpuE3ELNS1_3repE0EEENS1_30default_config_static_selectorELNS0_4arch9wavefront6targetE0EEEvT1_,comdat
	.protected	_ZN7rocprim17ROCPRIM_400000_NS6detail17trampoline_kernelINS0_14default_configENS1_25partition_config_selectorILNS1_17partition_subalgoE5EyNS0_10empty_typeEbEEZZNS1_14partition_implILS5_5ELb0ES3_mN6thrust23THRUST_200600_302600_NS6detail15normal_iteratorINSA_10device_ptrIyEEEEPS6_NSA_18transform_iteratorINSB_9not_fun_tI7is_trueIyEEENSC_INSD_IbEEEENSA_11use_defaultESO_EENS0_5tupleIJNSA_16discard_iteratorISO_EES6_EEENSQ_IJSG_SG_EEES6_PlJS6_EEE10hipError_tPvRmT3_T4_T5_T6_T7_T9_mT8_P12ihipStream_tbDpT10_ENKUlT_T0_E_clISt17integral_constantIbLb1EES1F_EEDaS1A_S1B_EUlS1A_E_NS1_11comp_targetILNS1_3genE9ELNS1_11target_archE1100ELNS1_3gpuE3ELNS1_3repE0EEENS1_30default_config_static_selectorELNS0_4arch9wavefront6targetE0EEEvT1_ ; -- Begin function _ZN7rocprim17ROCPRIM_400000_NS6detail17trampoline_kernelINS0_14default_configENS1_25partition_config_selectorILNS1_17partition_subalgoE5EyNS0_10empty_typeEbEEZZNS1_14partition_implILS5_5ELb0ES3_mN6thrust23THRUST_200600_302600_NS6detail15normal_iteratorINSA_10device_ptrIyEEEEPS6_NSA_18transform_iteratorINSB_9not_fun_tI7is_trueIyEEENSC_INSD_IbEEEENSA_11use_defaultESO_EENS0_5tupleIJNSA_16discard_iteratorISO_EES6_EEENSQ_IJSG_SG_EEES6_PlJS6_EEE10hipError_tPvRmT3_T4_T5_T6_T7_T9_mT8_P12ihipStream_tbDpT10_ENKUlT_T0_E_clISt17integral_constantIbLb1EES1F_EEDaS1A_S1B_EUlS1A_E_NS1_11comp_targetILNS1_3genE9ELNS1_11target_archE1100ELNS1_3gpuE3ELNS1_3repE0EEENS1_30default_config_static_selectorELNS0_4arch9wavefront6targetE0EEEvT1_
	.globl	_ZN7rocprim17ROCPRIM_400000_NS6detail17trampoline_kernelINS0_14default_configENS1_25partition_config_selectorILNS1_17partition_subalgoE5EyNS0_10empty_typeEbEEZZNS1_14partition_implILS5_5ELb0ES3_mN6thrust23THRUST_200600_302600_NS6detail15normal_iteratorINSA_10device_ptrIyEEEEPS6_NSA_18transform_iteratorINSB_9not_fun_tI7is_trueIyEEENSC_INSD_IbEEEENSA_11use_defaultESO_EENS0_5tupleIJNSA_16discard_iteratorISO_EES6_EEENSQ_IJSG_SG_EEES6_PlJS6_EEE10hipError_tPvRmT3_T4_T5_T6_T7_T9_mT8_P12ihipStream_tbDpT10_ENKUlT_T0_E_clISt17integral_constantIbLb1EES1F_EEDaS1A_S1B_EUlS1A_E_NS1_11comp_targetILNS1_3genE9ELNS1_11target_archE1100ELNS1_3gpuE3ELNS1_3repE0EEENS1_30default_config_static_selectorELNS0_4arch9wavefront6targetE0EEEvT1_
	.p2align	8
	.type	_ZN7rocprim17ROCPRIM_400000_NS6detail17trampoline_kernelINS0_14default_configENS1_25partition_config_selectorILNS1_17partition_subalgoE5EyNS0_10empty_typeEbEEZZNS1_14partition_implILS5_5ELb0ES3_mN6thrust23THRUST_200600_302600_NS6detail15normal_iteratorINSA_10device_ptrIyEEEEPS6_NSA_18transform_iteratorINSB_9not_fun_tI7is_trueIyEEENSC_INSD_IbEEEENSA_11use_defaultESO_EENS0_5tupleIJNSA_16discard_iteratorISO_EES6_EEENSQ_IJSG_SG_EEES6_PlJS6_EEE10hipError_tPvRmT3_T4_T5_T6_T7_T9_mT8_P12ihipStream_tbDpT10_ENKUlT_T0_E_clISt17integral_constantIbLb1EES1F_EEDaS1A_S1B_EUlS1A_E_NS1_11comp_targetILNS1_3genE9ELNS1_11target_archE1100ELNS1_3gpuE3ELNS1_3repE0EEENS1_30default_config_static_selectorELNS0_4arch9wavefront6targetE0EEEvT1_,@function
_ZN7rocprim17ROCPRIM_400000_NS6detail17trampoline_kernelINS0_14default_configENS1_25partition_config_selectorILNS1_17partition_subalgoE5EyNS0_10empty_typeEbEEZZNS1_14partition_implILS5_5ELb0ES3_mN6thrust23THRUST_200600_302600_NS6detail15normal_iteratorINSA_10device_ptrIyEEEEPS6_NSA_18transform_iteratorINSB_9not_fun_tI7is_trueIyEEENSC_INSD_IbEEEENSA_11use_defaultESO_EENS0_5tupleIJNSA_16discard_iteratorISO_EES6_EEENSQ_IJSG_SG_EEES6_PlJS6_EEE10hipError_tPvRmT3_T4_T5_T6_T7_T9_mT8_P12ihipStream_tbDpT10_ENKUlT_T0_E_clISt17integral_constantIbLb1EES1F_EEDaS1A_S1B_EUlS1A_E_NS1_11comp_targetILNS1_3genE9ELNS1_11target_archE1100ELNS1_3gpuE3ELNS1_3repE0EEENS1_30default_config_static_selectorELNS0_4arch9wavefront6targetE0EEEvT1_: ; @_ZN7rocprim17ROCPRIM_400000_NS6detail17trampoline_kernelINS0_14default_configENS1_25partition_config_selectorILNS1_17partition_subalgoE5EyNS0_10empty_typeEbEEZZNS1_14partition_implILS5_5ELb0ES3_mN6thrust23THRUST_200600_302600_NS6detail15normal_iteratorINSA_10device_ptrIyEEEEPS6_NSA_18transform_iteratorINSB_9not_fun_tI7is_trueIyEEENSC_INSD_IbEEEENSA_11use_defaultESO_EENS0_5tupleIJNSA_16discard_iteratorISO_EES6_EEENSQ_IJSG_SG_EEES6_PlJS6_EEE10hipError_tPvRmT3_T4_T5_T6_T7_T9_mT8_P12ihipStream_tbDpT10_ENKUlT_T0_E_clISt17integral_constantIbLb1EES1F_EEDaS1A_S1B_EUlS1A_E_NS1_11comp_targetILNS1_3genE9ELNS1_11target_archE1100ELNS1_3gpuE3ELNS1_3repE0EEENS1_30default_config_static_selectorELNS0_4arch9wavefront6targetE0EEEvT1_
; %bb.0:
	.section	.rodata,"a",@progbits
	.p2align	6, 0x0
	.amdhsa_kernel _ZN7rocprim17ROCPRIM_400000_NS6detail17trampoline_kernelINS0_14default_configENS1_25partition_config_selectorILNS1_17partition_subalgoE5EyNS0_10empty_typeEbEEZZNS1_14partition_implILS5_5ELb0ES3_mN6thrust23THRUST_200600_302600_NS6detail15normal_iteratorINSA_10device_ptrIyEEEEPS6_NSA_18transform_iteratorINSB_9not_fun_tI7is_trueIyEEENSC_INSD_IbEEEENSA_11use_defaultESO_EENS0_5tupleIJNSA_16discard_iteratorISO_EES6_EEENSQ_IJSG_SG_EEES6_PlJS6_EEE10hipError_tPvRmT3_T4_T5_T6_T7_T9_mT8_P12ihipStream_tbDpT10_ENKUlT_T0_E_clISt17integral_constantIbLb1EES1F_EEDaS1A_S1B_EUlS1A_E_NS1_11comp_targetILNS1_3genE9ELNS1_11target_archE1100ELNS1_3gpuE3ELNS1_3repE0EEENS1_30default_config_static_selectorELNS0_4arch9wavefront6targetE0EEEvT1_
		.amdhsa_group_segment_fixed_size 0
		.amdhsa_private_segment_fixed_size 0
		.amdhsa_kernarg_size 144
		.amdhsa_user_sgpr_count 2
		.amdhsa_user_sgpr_dispatch_ptr 0
		.amdhsa_user_sgpr_queue_ptr 0
		.amdhsa_user_sgpr_kernarg_segment_ptr 1
		.amdhsa_user_sgpr_dispatch_id 0
		.amdhsa_user_sgpr_private_segment_size 0
		.amdhsa_wavefront_size32 1
		.amdhsa_uses_dynamic_stack 0
		.amdhsa_enable_private_segment 0
		.amdhsa_system_sgpr_workgroup_id_x 1
		.amdhsa_system_sgpr_workgroup_id_y 0
		.amdhsa_system_sgpr_workgroup_id_z 0
		.amdhsa_system_sgpr_workgroup_info 0
		.amdhsa_system_vgpr_workitem_id 0
		.amdhsa_next_free_vgpr 1
		.amdhsa_next_free_sgpr 1
		.amdhsa_reserve_vcc 0
		.amdhsa_float_round_mode_32 0
		.amdhsa_float_round_mode_16_64 0
		.amdhsa_float_denorm_mode_32 3
		.amdhsa_float_denorm_mode_16_64 3
		.amdhsa_fp16_overflow 0
		.amdhsa_workgroup_processor_mode 1
		.amdhsa_memory_ordered 1
		.amdhsa_forward_progress 1
		.amdhsa_inst_pref_size 0
		.amdhsa_round_robin_scheduling 0
		.amdhsa_exception_fp_ieee_invalid_op 0
		.amdhsa_exception_fp_denorm_src 0
		.amdhsa_exception_fp_ieee_div_zero 0
		.amdhsa_exception_fp_ieee_overflow 0
		.amdhsa_exception_fp_ieee_underflow 0
		.amdhsa_exception_fp_ieee_inexact 0
		.amdhsa_exception_int_div_zero 0
	.end_amdhsa_kernel
	.section	.text._ZN7rocprim17ROCPRIM_400000_NS6detail17trampoline_kernelINS0_14default_configENS1_25partition_config_selectorILNS1_17partition_subalgoE5EyNS0_10empty_typeEbEEZZNS1_14partition_implILS5_5ELb0ES3_mN6thrust23THRUST_200600_302600_NS6detail15normal_iteratorINSA_10device_ptrIyEEEEPS6_NSA_18transform_iteratorINSB_9not_fun_tI7is_trueIyEEENSC_INSD_IbEEEENSA_11use_defaultESO_EENS0_5tupleIJNSA_16discard_iteratorISO_EES6_EEENSQ_IJSG_SG_EEES6_PlJS6_EEE10hipError_tPvRmT3_T4_T5_T6_T7_T9_mT8_P12ihipStream_tbDpT10_ENKUlT_T0_E_clISt17integral_constantIbLb1EES1F_EEDaS1A_S1B_EUlS1A_E_NS1_11comp_targetILNS1_3genE9ELNS1_11target_archE1100ELNS1_3gpuE3ELNS1_3repE0EEENS1_30default_config_static_selectorELNS0_4arch9wavefront6targetE0EEEvT1_,"axG",@progbits,_ZN7rocprim17ROCPRIM_400000_NS6detail17trampoline_kernelINS0_14default_configENS1_25partition_config_selectorILNS1_17partition_subalgoE5EyNS0_10empty_typeEbEEZZNS1_14partition_implILS5_5ELb0ES3_mN6thrust23THRUST_200600_302600_NS6detail15normal_iteratorINSA_10device_ptrIyEEEEPS6_NSA_18transform_iteratorINSB_9not_fun_tI7is_trueIyEEENSC_INSD_IbEEEENSA_11use_defaultESO_EENS0_5tupleIJNSA_16discard_iteratorISO_EES6_EEENSQ_IJSG_SG_EEES6_PlJS6_EEE10hipError_tPvRmT3_T4_T5_T6_T7_T9_mT8_P12ihipStream_tbDpT10_ENKUlT_T0_E_clISt17integral_constantIbLb1EES1F_EEDaS1A_S1B_EUlS1A_E_NS1_11comp_targetILNS1_3genE9ELNS1_11target_archE1100ELNS1_3gpuE3ELNS1_3repE0EEENS1_30default_config_static_selectorELNS0_4arch9wavefront6targetE0EEEvT1_,comdat
.Lfunc_end2667:
	.size	_ZN7rocprim17ROCPRIM_400000_NS6detail17trampoline_kernelINS0_14default_configENS1_25partition_config_selectorILNS1_17partition_subalgoE5EyNS0_10empty_typeEbEEZZNS1_14partition_implILS5_5ELb0ES3_mN6thrust23THRUST_200600_302600_NS6detail15normal_iteratorINSA_10device_ptrIyEEEEPS6_NSA_18transform_iteratorINSB_9not_fun_tI7is_trueIyEEENSC_INSD_IbEEEENSA_11use_defaultESO_EENS0_5tupleIJNSA_16discard_iteratorISO_EES6_EEENSQ_IJSG_SG_EEES6_PlJS6_EEE10hipError_tPvRmT3_T4_T5_T6_T7_T9_mT8_P12ihipStream_tbDpT10_ENKUlT_T0_E_clISt17integral_constantIbLb1EES1F_EEDaS1A_S1B_EUlS1A_E_NS1_11comp_targetILNS1_3genE9ELNS1_11target_archE1100ELNS1_3gpuE3ELNS1_3repE0EEENS1_30default_config_static_selectorELNS0_4arch9wavefront6targetE0EEEvT1_, .Lfunc_end2667-_ZN7rocprim17ROCPRIM_400000_NS6detail17trampoline_kernelINS0_14default_configENS1_25partition_config_selectorILNS1_17partition_subalgoE5EyNS0_10empty_typeEbEEZZNS1_14partition_implILS5_5ELb0ES3_mN6thrust23THRUST_200600_302600_NS6detail15normal_iteratorINSA_10device_ptrIyEEEEPS6_NSA_18transform_iteratorINSB_9not_fun_tI7is_trueIyEEENSC_INSD_IbEEEENSA_11use_defaultESO_EENS0_5tupleIJNSA_16discard_iteratorISO_EES6_EEENSQ_IJSG_SG_EEES6_PlJS6_EEE10hipError_tPvRmT3_T4_T5_T6_T7_T9_mT8_P12ihipStream_tbDpT10_ENKUlT_T0_E_clISt17integral_constantIbLb1EES1F_EEDaS1A_S1B_EUlS1A_E_NS1_11comp_targetILNS1_3genE9ELNS1_11target_archE1100ELNS1_3gpuE3ELNS1_3repE0EEENS1_30default_config_static_selectorELNS0_4arch9wavefront6targetE0EEEvT1_
                                        ; -- End function
	.set _ZN7rocprim17ROCPRIM_400000_NS6detail17trampoline_kernelINS0_14default_configENS1_25partition_config_selectorILNS1_17partition_subalgoE5EyNS0_10empty_typeEbEEZZNS1_14partition_implILS5_5ELb0ES3_mN6thrust23THRUST_200600_302600_NS6detail15normal_iteratorINSA_10device_ptrIyEEEEPS6_NSA_18transform_iteratorINSB_9not_fun_tI7is_trueIyEEENSC_INSD_IbEEEENSA_11use_defaultESO_EENS0_5tupleIJNSA_16discard_iteratorISO_EES6_EEENSQ_IJSG_SG_EEES6_PlJS6_EEE10hipError_tPvRmT3_T4_T5_T6_T7_T9_mT8_P12ihipStream_tbDpT10_ENKUlT_T0_E_clISt17integral_constantIbLb1EES1F_EEDaS1A_S1B_EUlS1A_E_NS1_11comp_targetILNS1_3genE9ELNS1_11target_archE1100ELNS1_3gpuE3ELNS1_3repE0EEENS1_30default_config_static_selectorELNS0_4arch9wavefront6targetE0EEEvT1_.num_vgpr, 0
	.set _ZN7rocprim17ROCPRIM_400000_NS6detail17trampoline_kernelINS0_14default_configENS1_25partition_config_selectorILNS1_17partition_subalgoE5EyNS0_10empty_typeEbEEZZNS1_14partition_implILS5_5ELb0ES3_mN6thrust23THRUST_200600_302600_NS6detail15normal_iteratorINSA_10device_ptrIyEEEEPS6_NSA_18transform_iteratorINSB_9not_fun_tI7is_trueIyEEENSC_INSD_IbEEEENSA_11use_defaultESO_EENS0_5tupleIJNSA_16discard_iteratorISO_EES6_EEENSQ_IJSG_SG_EEES6_PlJS6_EEE10hipError_tPvRmT3_T4_T5_T6_T7_T9_mT8_P12ihipStream_tbDpT10_ENKUlT_T0_E_clISt17integral_constantIbLb1EES1F_EEDaS1A_S1B_EUlS1A_E_NS1_11comp_targetILNS1_3genE9ELNS1_11target_archE1100ELNS1_3gpuE3ELNS1_3repE0EEENS1_30default_config_static_selectorELNS0_4arch9wavefront6targetE0EEEvT1_.num_agpr, 0
	.set _ZN7rocprim17ROCPRIM_400000_NS6detail17trampoline_kernelINS0_14default_configENS1_25partition_config_selectorILNS1_17partition_subalgoE5EyNS0_10empty_typeEbEEZZNS1_14partition_implILS5_5ELb0ES3_mN6thrust23THRUST_200600_302600_NS6detail15normal_iteratorINSA_10device_ptrIyEEEEPS6_NSA_18transform_iteratorINSB_9not_fun_tI7is_trueIyEEENSC_INSD_IbEEEENSA_11use_defaultESO_EENS0_5tupleIJNSA_16discard_iteratorISO_EES6_EEENSQ_IJSG_SG_EEES6_PlJS6_EEE10hipError_tPvRmT3_T4_T5_T6_T7_T9_mT8_P12ihipStream_tbDpT10_ENKUlT_T0_E_clISt17integral_constantIbLb1EES1F_EEDaS1A_S1B_EUlS1A_E_NS1_11comp_targetILNS1_3genE9ELNS1_11target_archE1100ELNS1_3gpuE3ELNS1_3repE0EEENS1_30default_config_static_selectorELNS0_4arch9wavefront6targetE0EEEvT1_.numbered_sgpr, 0
	.set _ZN7rocprim17ROCPRIM_400000_NS6detail17trampoline_kernelINS0_14default_configENS1_25partition_config_selectorILNS1_17partition_subalgoE5EyNS0_10empty_typeEbEEZZNS1_14partition_implILS5_5ELb0ES3_mN6thrust23THRUST_200600_302600_NS6detail15normal_iteratorINSA_10device_ptrIyEEEEPS6_NSA_18transform_iteratorINSB_9not_fun_tI7is_trueIyEEENSC_INSD_IbEEEENSA_11use_defaultESO_EENS0_5tupleIJNSA_16discard_iteratorISO_EES6_EEENSQ_IJSG_SG_EEES6_PlJS6_EEE10hipError_tPvRmT3_T4_T5_T6_T7_T9_mT8_P12ihipStream_tbDpT10_ENKUlT_T0_E_clISt17integral_constantIbLb1EES1F_EEDaS1A_S1B_EUlS1A_E_NS1_11comp_targetILNS1_3genE9ELNS1_11target_archE1100ELNS1_3gpuE3ELNS1_3repE0EEENS1_30default_config_static_selectorELNS0_4arch9wavefront6targetE0EEEvT1_.num_named_barrier, 0
	.set _ZN7rocprim17ROCPRIM_400000_NS6detail17trampoline_kernelINS0_14default_configENS1_25partition_config_selectorILNS1_17partition_subalgoE5EyNS0_10empty_typeEbEEZZNS1_14partition_implILS5_5ELb0ES3_mN6thrust23THRUST_200600_302600_NS6detail15normal_iteratorINSA_10device_ptrIyEEEEPS6_NSA_18transform_iteratorINSB_9not_fun_tI7is_trueIyEEENSC_INSD_IbEEEENSA_11use_defaultESO_EENS0_5tupleIJNSA_16discard_iteratorISO_EES6_EEENSQ_IJSG_SG_EEES6_PlJS6_EEE10hipError_tPvRmT3_T4_T5_T6_T7_T9_mT8_P12ihipStream_tbDpT10_ENKUlT_T0_E_clISt17integral_constantIbLb1EES1F_EEDaS1A_S1B_EUlS1A_E_NS1_11comp_targetILNS1_3genE9ELNS1_11target_archE1100ELNS1_3gpuE3ELNS1_3repE0EEENS1_30default_config_static_selectorELNS0_4arch9wavefront6targetE0EEEvT1_.private_seg_size, 0
	.set _ZN7rocprim17ROCPRIM_400000_NS6detail17trampoline_kernelINS0_14default_configENS1_25partition_config_selectorILNS1_17partition_subalgoE5EyNS0_10empty_typeEbEEZZNS1_14partition_implILS5_5ELb0ES3_mN6thrust23THRUST_200600_302600_NS6detail15normal_iteratorINSA_10device_ptrIyEEEEPS6_NSA_18transform_iteratorINSB_9not_fun_tI7is_trueIyEEENSC_INSD_IbEEEENSA_11use_defaultESO_EENS0_5tupleIJNSA_16discard_iteratorISO_EES6_EEENSQ_IJSG_SG_EEES6_PlJS6_EEE10hipError_tPvRmT3_T4_T5_T6_T7_T9_mT8_P12ihipStream_tbDpT10_ENKUlT_T0_E_clISt17integral_constantIbLb1EES1F_EEDaS1A_S1B_EUlS1A_E_NS1_11comp_targetILNS1_3genE9ELNS1_11target_archE1100ELNS1_3gpuE3ELNS1_3repE0EEENS1_30default_config_static_selectorELNS0_4arch9wavefront6targetE0EEEvT1_.uses_vcc, 0
	.set _ZN7rocprim17ROCPRIM_400000_NS6detail17trampoline_kernelINS0_14default_configENS1_25partition_config_selectorILNS1_17partition_subalgoE5EyNS0_10empty_typeEbEEZZNS1_14partition_implILS5_5ELb0ES3_mN6thrust23THRUST_200600_302600_NS6detail15normal_iteratorINSA_10device_ptrIyEEEEPS6_NSA_18transform_iteratorINSB_9not_fun_tI7is_trueIyEEENSC_INSD_IbEEEENSA_11use_defaultESO_EENS0_5tupleIJNSA_16discard_iteratorISO_EES6_EEENSQ_IJSG_SG_EEES6_PlJS6_EEE10hipError_tPvRmT3_T4_T5_T6_T7_T9_mT8_P12ihipStream_tbDpT10_ENKUlT_T0_E_clISt17integral_constantIbLb1EES1F_EEDaS1A_S1B_EUlS1A_E_NS1_11comp_targetILNS1_3genE9ELNS1_11target_archE1100ELNS1_3gpuE3ELNS1_3repE0EEENS1_30default_config_static_selectorELNS0_4arch9wavefront6targetE0EEEvT1_.uses_flat_scratch, 0
	.set _ZN7rocprim17ROCPRIM_400000_NS6detail17trampoline_kernelINS0_14default_configENS1_25partition_config_selectorILNS1_17partition_subalgoE5EyNS0_10empty_typeEbEEZZNS1_14partition_implILS5_5ELb0ES3_mN6thrust23THRUST_200600_302600_NS6detail15normal_iteratorINSA_10device_ptrIyEEEEPS6_NSA_18transform_iteratorINSB_9not_fun_tI7is_trueIyEEENSC_INSD_IbEEEENSA_11use_defaultESO_EENS0_5tupleIJNSA_16discard_iteratorISO_EES6_EEENSQ_IJSG_SG_EEES6_PlJS6_EEE10hipError_tPvRmT3_T4_T5_T6_T7_T9_mT8_P12ihipStream_tbDpT10_ENKUlT_T0_E_clISt17integral_constantIbLb1EES1F_EEDaS1A_S1B_EUlS1A_E_NS1_11comp_targetILNS1_3genE9ELNS1_11target_archE1100ELNS1_3gpuE3ELNS1_3repE0EEENS1_30default_config_static_selectorELNS0_4arch9wavefront6targetE0EEEvT1_.has_dyn_sized_stack, 0
	.set _ZN7rocprim17ROCPRIM_400000_NS6detail17trampoline_kernelINS0_14default_configENS1_25partition_config_selectorILNS1_17partition_subalgoE5EyNS0_10empty_typeEbEEZZNS1_14partition_implILS5_5ELb0ES3_mN6thrust23THRUST_200600_302600_NS6detail15normal_iteratorINSA_10device_ptrIyEEEEPS6_NSA_18transform_iteratorINSB_9not_fun_tI7is_trueIyEEENSC_INSD_IbEEEENSA_11use_defaultESO_EENS0_5tupleIJNSA_16discard_iteratorISO_EES6_EEENSQ_IJSG_SG_EEES6_PlJS6_EEE10hipError_tPvRmT3_T4_T5_T6_T7_T9_mT8_P12ihipStream_tbDpT10_ENKUlT_T0_E_clISt17integral_constantIbLb1EES1F_EEDaS1A_S1B_EUlS1A_E_NS1_11comp_targetILNS1_3genE9ELNS1_11target_archE1100ELNS1_3gpuE3ELNS1_3repE0EEENS1_30default_config_static_selectorELNS0_4arch9wavefront6targetE0EEEvT1_.has_recursion, 0
	.set _ZN7rocprim17ROCPRIM_400000_NS6detail17trampoline_kernelINS0_14default_configENS1_25partition_config_selectorILNS1_17partition_subalgoE5EyNS0_10empty_typeEbEEZZNS1_14partition_implILS5_5ELb0ES3_mN6thrust23THRUST_200600_302600_NS6detail15normal_iteratorINSA_10device_ptrIyEEEEPS6_NSA_18transform_iteratorINSB_9not_fun_tI7is_trueIyEEENSC_INSD_IbEEEENSA_11use_defaultESO_EENS0_5tupleIJNSA_16discard_iteratorISO_EES6_EEENSQ_IJSG_SG_EEES6_PlJS6_EEE10hipError_tPvRmT3_T4_T5_T6_T7_T9_mT8_P12ihipStream_tbDpT10_ENKUlT_T0_E_clISt17integral_constantIbLb1EES1F_EEDaS1A_S1B_EUlS1A_E_NS1_11comp_targetILNS1_3genE9ELNS1_11target_archE1100ELNS1_3gpuE3ELNS1_3repE0EEENS1_30default_config_static_selectorELNS0_4arch9wavefront6targetE0EEEvT1_.has_indirect_call, 0
	.section	.AMDGPU.csdata,"",@progbits
; Kernel info:
; codeLenInByte = 0
; TotalNumSgprs: 0
; NumVgprs: 0
; ScratchSize: 0
; MemoryBound: 0
; FloatMode: 240
; IeeeMode: 1
; LDSByteSize: 0 bytes/workgroup (compile time only)
; SGPRBlocks: 0
; VGPRBlocks: 0
; NumSGPRsForWavesPerEU: 1
; NumVGPRsForWavesPerEU: 1
; Occupancy: 16
; WaveLimiterHint : 0
; COMPUTE_PGM_RSRC2:SCRATCH_EN: 0
; COMPUTE_PGM_RSRC2:USER_SGPR: 2
; COMPUTE_PGM_RSRC2:TRAP_HANDLER: 0
; COMPUTE_PGM_RSRC2:TGID_X_EN: 1
; COMPUTE_PGM_RSRC2:TGID_Y_EN: 0
; COMPUTE_PGM_RSRC2:TGID_Z_EN: 0
; COMPUTE_PGM_RSRC2:TIDIG_COMP_CNT: 0
	.section	.text._ZN7rocprim17ROCPRIM_400000_NS6detail17trampoline_kernelINS0_14default_configENS1_25partition_config_selectorILNS1_17partition_subalgoE5EyNS0_10empty_typeEbEEZZNS1_14partition_implILS5_5ELb0ES3_mN6thrust23THRUST_200600_302600_NS6detail15normal_iteratorINSA_10device_ptrIyEEEEPS6_NSA_18transform_iteratorINSB_9not_fun_tI7is_trueIyEEENSC_INSD_IbEEEENSA_11use_defaultESO_EENS0_5tupleIJNSA_16discard_iteratorISO_EES6_EEENSQ_IJSG_SG_EEES6_PlJS6_EEE10hipError_tPvRmT3_T4_T5_T6_T7_T9_mT8_P12ihipStream_tbDpT10_ENKUlT_T0_E_clISt17integral_constantIbLb1EES1F_EEDaS1A_S1B_EUlS1A_E_NS1_11comp_targetILNS1_3genE8ELNS1_11target_archE1030ELNS1_3gpuE2ELNS1_3repE0EEENS1_30default_config_static_selectorELNS0_4arch9wavefront6targetE0EEEvT1_,"axG",@progbits,_ZN7rocprim17ROCPRIM_400000_NS6detail17trampoline_kernelINS0_14default_configENS1_25partition_config_selectorILNS1_17partition_subalgoE5EyNS0_10empty_typeEbEEZZNS1_14partition_implILS5_5ELb0ES3_mN6thrust23THRUST_200600_302600_NS6detail15normal_iteratorINSA_10device_ptrIyEEEEPS6_NSA_18transform_iteratorINSB_9not_fun_tI7is_trueIyEEENSC_INSD_IbEEEENSA_11use_defaultESO_EENS0_5tupleIJNSA_16discard_iteratorISO_EES6_EEENSQ_IJSG_SG_EEES6_PlJS6_EEE10hipError_tPvRmT3_T4_T5_T6_T7_T9_mT8_P12ihipStream_tbDpT10_ENKUlT_T0_E_clISt17integral_constantIbLb1EES1F_EEDaS1A_S1B_EUlS1A_E_NS1_11comp_targetILNS1_3genE8ELNS1_11target_archE1030ELNS1_3gpuE2ELNS1_3repE0EEENS1_30default_config_static_selectorELNS0_4arch9wavefront6targetE0EEEvT1_,comdat
	.protected	_ZN7rocprim17ROCPRIM_400000_NS6detail17trampoline_kernelINS0_14default_configENS1_25partition_config_selectorILNS1_17partition_subalgoE5EyNS0_10empty_typeEbEEZZNS1_14partition_implILS5_5ELb0ES3_mN6thrust23THRUST_200600_302600_NS6detail15normal_iteratorINSA_10device_ptrIyEEEEPS6_NSA_18transform_iteratorINSB_9not_fun_tI7is_trueIyEEENSC_INSD_IbEEEENSA_11use_defaultESO_EENS0_5tupleIJNSA_16discard_iteratorISO_EES6_EEENSQ_IJSG_SG_EEES6_PlJS6_EEE10hipError_tPvRmT3_T4_T5_T6_T7_T9_mT8_P12ihipStream_tbDpT10_ENKUlT_T0_E_clISt17integral_constantIbLb1EES1F_EEDaS1A_S1B_EUlS1A_E_NS1_11comp_targetILNS1_3genE8ELNS1_11target_archE1030ELNS1_3gpuE2ELNS1_3repE0EEENS1_30default_config_static_selectorELNS0_4arch9wavefront6targetE0EEEvT1_ ; -- Begin function _ZN7rocprim17ROCPRIM_400000_NS6detail17trampoline_kernelINS0_14default_configENS1_25partition_config_selectorILNS1_17partition_subalgoE5EyNS0_10empty_typeEbEEZZNS1_14partition_implILS5_5ELb0ES3_mN6thrust23THRUST_200600_302600_NS6detail15normal_iteratorINSA_10device_ptrIyEEEEPS6_NSA_18transform_iteratorINSB_9not_fun_tI7is_trueIyEEENSC_INSD_IbEEEENSA_11use_defaultESO_EENS0_5tupleIJNSA_16discard_iteratorISO_EES6_EEENSQ_IJSG_SG_EEES6_PlJS6_EEE10hipError_tPvRmT3_T4_T5_T6_T7_T9_mT8_P12ihipStream_tbDpT10_ENKUlT_T0_E_clISt17integral_constantIbLb1EES1F_EEDaS1A_S1B_EUlS1A_E_NS1_11comp_targetILNS1_3genE8ELNS1_11target_archE1030ELNS1_3gpuE2ELNS1_3repE0EEENS1_30default_config_static_selectorELNS0_4arch9wavefront6targetE0EEEvT1_
	.globl	_ZN7rocprim17ROCPRIM_400000_NS6detail17trampoline_kernelINS0_14default_configENS1_25partition_config_selectorILNS1_17partition_subalgoE5EyNS0_10empty_typeEbEEZZNS1_14partition_implILS5_5ELb0ES3_mN6thrust23THRUST_200600_302600_NS6detail15normal_iteratorINSA_10device_ptrIyEEEEPS6_NSA_18transform_iteratorINSB_9not_fun_tI7is_trueIyEEENSC_INSD_IbEEEENSA_11use_defaultESO_EENS0_5tupleIJNSA_16discard_iteratorISO_EES6_EEENSQ_IJSG_SG_EEES6_PlJS6_EEE10hipError_tPvRmT3_T4_T5_T6_T7_T9_mT8_P12ihipStream_tbDpT10_ENKUlT_T0_E_clISt17integral_constantIbLb1EES1F_EEDaS1A_S1B_EUlS1A_E_NS1_11comp_targetILNS1_3genE8ELNS1_11target_archE1030ELNS1_3gpuE2ELNS1_3repE0EEENS1_30default_config_static_selectorELNS0_4arch9wavefront6targetE0EEEvT1_
	.p2align	8
	.type	_ZN7rocprim17ROCPRIM_400000_NS6detail17trampoline_kernelINS0_14default_configENS1_25partition_config_selectorILNS1_17partition_subalgoE5EyNS0_10empty_typeEbEEZZNS1_14partition_implILS5_5ELb0ES3_mN6thrust23THRUST_200600_302600_NS6detail15normal_iteratorINSA_10device_ptrIyEEEEPS6_NSA_18transform_iteratorINSB_9not_fun_tI7is_trueIyEEENSC_INSD_IbEEEENSA_11use_defaultESO_EENS0_5tupleIJNSA_16discard_iteratorISO_EES6_EEENSQ_IJSG_SG_EEES6_PlJS6_EEE10hipError_tPvRmT3_T4_T5_T6_T7_T9_mT8_P12ihipStream_tbDpT10_ENKUlT_T0_E_clISt17integral_constantIbLb1EES1F_EEDaS1A_S1B_EUlS1A_E_NS1_11comp_targetILNS1_3genE8ELNS1_11target_archE1030ELNS1_3gpuE2ELNS1_3repE0EEENS1_30default_config_static_selectorELNS0_4arch9wavefront6targetE0EEEvT1_,@function
_ZN7rocprim17ROCPRIM_400000_NS6detail17trampoline_kernelINS0_14default_configENS1_25partition_config_selectorILNS1_17partition_subalgoE5EyNS0_10empty_typeEbEEZZNS1_14partition_implILS5_5ELb0ES3_mN6thrust23THRUST_200600_302600_NS6detail15normal_iteratorINSA_10device_ptrIyEEEEPS6_NSA_18transform_iteratorINSB_9not_fun_tI7is_trueIyEEENSC_INSD_IbEEEENSA_11use_defaultESO_EENS0_5tupleIJNSA_16discard_iteratorISO_EES6_EEENSQ_IJSG_SG_EEES6_PlJS6_EEE10hipError_tPvRmT3_T4_T5_T6_T7_T9_mT8_P12ihipStream_tbDpT10_ENKUlT_T0_E_clISt17integral_constantIbLb1EES1F_EEDaS1A_S1B_EUlS1A_E_NS1_11comp_targetILNS1_3genE8ELNS1_11target_archE1030ELNS1_3gpuE2ELNS1_3repE0EEENS1_30default_config_static_selectorELNS0_4arch9wavefront6targetE0EEEvT1_: ; @_ZN7rocprim17ROCPRIM_400000_NS6detail17trampoline_kernelINS0_14default_configENS1_25partition_config_selectorILNS1_17partition_subalgoE5EyNS0_10empty_typeEbEEZZNS1_14partition_implILS5_5ELb0ES3_mN6thrust23THRUST_200600_302600_NS6detail15normal_iteratorINSA_10device_ptrIyEEEEPS6_NSA_18transform_iteratorINSB_9not_fun_tI7is_trueIyEEENSC_INSD_IbEEEENSA_11use_defaultESO_EENS0_5tupleIJNSA_16discard_iteratorISO_EES6_EEENSQ_IJSG_SG_EEES6_PlJS6_EEE10hipError_tPvRmT3_T4_T5_T6_T7_T9_mT8_P12ihipStream_tbDpT10_ENKUlT_T0_E_clISt17integral_constantIbLb1EES1F_EEDaS1A_S1B_EUlS1A_E_NS1_11comp_targetILNS1_3genE8ELNS1_11target_archE1030ELNS1_3gpuE2ELNS1_3repE0EEENS1_30default_config_static_selectorELNS0_4arch9wavefront6targetE0EEEvT1_
; %bb.0:
	.section	.rodata,"a",@progbits
	.p2align	6, 0x0
	.amdhsa_kernel _ZN7rocprim17ROCPRIM_400000_NS6detail17trampoline_kernelINS0_14default_configENS1_25partition_config_selectorILNS1_17partition_subalgoE5EyNS0_10empty_typeEbEEZZNS1_14partition_implILS5_5ELb0ES3_mN6thrust23THRUST_200600_302600_NS6detail15normal_iteratorINSA_10device_ptrIyEEEEPS6_NSA_18transform_iteratorINSB_9not_fun_tI7is_trueIyEEENSC_INSD_IbEEEENSA_11use_defaultESO_EENS0_5tupleIJNSA_16discard_iteratorISO_EES6_EEENSQ_IJSG_SG_EEES6_PlJS6_EEE10hipError_tPvRmT3_T4_T5_T6_T7_T9_mT8_P12ihipStream_tbDpT10_ENKUlT_T0_E_clISt17integral_constantIbLb1EES1F_EEDaS1A_S1B_EUlS1A_E_NS1_11comp_targetILNS1_3genE8ELNS1_11target_archE1030ELNS1_3gpuE2ELNS1_3repE0EEENS1_30default_config_static_selectorELNS0_4arch9wavefront6targetE0EEEvT1_
		.amdhsa_group_segment_fixed_size 0
		.amdhsa_private_segment_fixed_size 0
		.amdhsa_kernarg_size 144
		.amdhsa_user_sgpr_count 2
		.amdhsa_user_sgpr_dispatch_ptr 0
		.amdhsa_user_sgpr_queue_ptr 0
		.amdhsa_user_sgpr_kernarg_segment_ptr 1
		.amdhsa_user_sgpr_dispatch_id 0
		.amdhsa_user_sgpr_private_segment_size 0
		.amdhsa_wavefront_size32 1
		.amdhsa_uses_dynamic_stack 0
		.amdhsa_enable_private_segment 0
		.amdhsa_system_sgpr_workgroup_id_x 1
		.amdhsa_system_sgpr_workgroup_id_y 0
		.amdhsa_system_sgpr_workgroup_id_z 0
		.amdhsa_system_sgpr_workgroup_info 0
		.amdhsa_system_vgpr_workitem_id 0
		.amdhsa_next_free_vgpr 1
		.amdhsa_next_free_sgpr 1
		.amdhsa_reserve_vcc 0
		.amdhsa_float_round_mode_32 0
		.amdhsa_float_round_mode_16_64 0
		.amdhsa_float_denorm_mode_32 3
		.amdhsa_float_denorm_mode_16_64 3
		.amdhsa_fp16_overflow 0
		.amdhsa_workgroup_processor_mode 1
		.amdhsa_memory_ordered 1
		.amdhsa_forward_progress 1
		.amdhsa_inst_pref_size 0
		.amdhsa_round_robin_scheduling 0
		.amdhsa_exception_fp_ieee_invalid_op 0
		.amdhsa_exception_fp_denorm_src 0
		.amdhsa_exception_fp_ieee_div_zero 0
		.amdhsa_exception_fp_ieee_overflow 0
		.amdhsa_exception_fp_ieee_underflow 0
		.amdhsa_exception_fp_ieee_inexact 0
		.amdhsa_exception_int_div_zero 0
	.end_amdhsa_kernel
	.section	.text._ZN7rocprim17ROCPRIM_400000_NS6detail17trampoline_kernelINS0_14default_configENS1_25partition_config_selectorILNS1_17partition_subalgoE5EyNS0_10empty_typeEbEEZZNS1_14partition_implILS5_5ELb0ES3_mN6thrust23THRUST_200600_302600_NS6detail15normal_iteratorINSA_10device_ptrIyEEEEPS6_NSA_18transform_iteratorINSB_9not_fun_tI7is_trueIyEEENSC_INSD_IbEEEENSA_11use_defaultESO_EENS0_5tupleIJNSA_16discard_iteratorISO_EES6_EEENSQ_IJSG_SG_EEES6_PlJS6_EEE10hipError_tPvRmT3_T4_T5_T6_T7_T9_mT8_P12ihipStream_tbDpT10_ENKUlT_T0_E_clISt17integral_constantIbLb1EES1F_EEDaS1A_S1B_EUlS1A_E_NS1_11comp_targetILNS1_3genE8ELNS1_11target_archE1030ELNS1_3gpuE2ELNS1_3repE0EEENS1_30default_config_static_selectorELNS0_4arch9wavefront6targetE0EEEvT1_,"axG",@progbits,_ZN7rocprim17ROCPRIM_400000_NS6detail17trampoline_kernelINS0_14default_configENS1_25partition_config_selectorILNS1_17partition_subalgoE5EyNS0_10empty_typeEbEEZZNS1_14partition_implILS5_5ELb0ES3_mN6thrust23THRUST_200600_302600_NS6detail15normal_iteratorINSA_10device_ptrIyEEEEPS6_NSA_18transform_iteratorINSB_9not_fun_tI7is_trueIyEEENSC_INSD_IbEEEENSA_11use_defaultESO_EENS0_5tupleIJNSA_16discard_iteratorISO_EES6_EEENSQ_IJSG_SG_EEES6_PlJS6_EEE10hipError_tPvRmT3_T4_T5_T6_T7_T9_mT8_P12ihipStream_tbDpT10_ENKUlT_T0_E_clISt17integral_constantIbLb1EES1F_EEDaS1A_S1B_EUlS1A_E_NS1_11comp_targetILNS1_3genE8ELNS1_11target_archE1030ELNS1_3gpuE2ELNS1_3repE0EEENS1_30default_config_static_selectorELNS0_4arch9wavefront6targetE0EEEvT1_,comdat
.Lfunc_end2668:
	.size	_ZN7rocprim17ROCPRIM_400000_NS6detail17trampoline_kernelINS0_14default_configENS1_25partition_config_selectorILNS1_17partition_subalgoE5EyNS0_10empty_typeEbEEZZNS1_14partition_implILS5_5ELb0ES3_mN6thrust23THRUST_200600_302600_NS6detail15normal_iteratorINSA_10device_ptrIyEEEEPS6_NSA_18transform_iteratorINSB_9not_fun_tI7is_trueIyEEENSC_INSD_IbEEEENSA_11use_defaultESO_EENS0_5tupleIJNSA_16discard_iteratorISO_EES6_EEENSQ_IJSG_SG_EEES6_PlJS6_EEE10hipError_tPvRmT3_T4_T5_T6_T7_T9_mT8_P12ihipStream_tbDpT10_ENKUlT_T0_E_clISt17integral_constantIbLb1EES1F_EEDaS1A_S1B_EUlS1A_E_NS1_11comp_targetILNS1_3genE8ELNS1_11target_archE1030ELNS1_3gpuE2ELNS1_3repE0EEENS1_30default_config_static_selectorELNS0_4arch9wavefront6targetE0EEEvT1_, .Lfunc_end2668-_ZN7rocprim17ROCPRIM_400000_NS6detail17trampoline_kernelINS0_14default_configENS1_25partition_config_selectorILNS1_17partition_subalgoE5EyNS0_10empty_typeEbEEZZNS1_14partition_implILS5_5ELb0ES3_mN6thrust23THRUST_200600_302600_NS6detail15normal_iteratorINSA_10device_ptrIyEEEEPS6_NSA_18transform_iteratorINSB_9not_fun_tI7is_trueIyEEENSC_INSD_IbEEEENSA_11use_defaultESO_EENS0_5tupleIJNSA_16discard_iteratorISO_EES6_EEENSQ_IJSG_SG_EEES6_PlJS6_EEE10hipError_tPvRmT3_T4_T5_T6_T7_T9_mT8_P12ihipStream_tbDpT10_ENKUlT_T0_E_clISt17integral_constantIbLb1EES1F_EEDaS1A_S1B_EUlS1A_E_NS1_11comp_targetILNS1_3genE8ELNS1_11target_archE1030ELNS1_3gpuE2ELNS1_3repE0EEENS1_30default_config_static_selectorELNS0_4arch9wavefront6targetE0EEEvT1_
                                        ; -- End function
	.set _ZN7rocprim17ROCPRIM_400000_NS6detail17trampoline_kernelINS0_14default_configENS1_25partition_config_selectorILNS1_17partition_subalgoE5EyNS0_10empty_typeEbEEZZNS1_14partition_implILS5_5ELb0ES3_mN6thrust23THRUST_200600_302600_NS6detail15normal_iteratorINSA_10device_ptrIyEEEEPS6_NSA_18transform_iteratorINSB_9not_fun_tI7is_trueIyEEENSC_INSD_IbEEEENSA_11use_defaultESO_EENS0_5tupleIJNSA_16discard_iteratorISO_EES6_EEENSQ_IJSG_SG_EEES6_PlJS6_EEE10hipError_tPvRmT3_T4_T5_T6_T7_T9_mT8_P12ihipStream_tbDpT10_ENKUlT_T0_E_clISt17integral_constantIbLb1EES1F_EEDaS1A_S1B_EUlS1A_E_NS1_11comp_targetILNS1_3genE8ELNS1_11target_archE1030ELNS1_3gpuE2ELNS1_3repE0EEENS1_30default_config_static_selectorELNS0_4arch9wavefront6targetE0EEEvT1_.num_vgpr, 0
	.set _ZN7rocprim17ROCPRIM_400000_NS6detail17trampoline_kernelINS0_14default_configENS1_25partition_config_selectorILNS1_17partition_subalgoE5EyNS0_10empty_typeEbEEZZNS1_14partition_implILS5_5ELb0ES3_mN6thrust23THRUST_200600_302600_NS6detail15normal_iteratorINSA_10device_ptrIyEEEEPS6_NSA_18transform_iteratorINSB_9not_fun_tI7is_trueIyEEENSC_INSD_IbEEEENSA_11use_defaultESO_EENS0_5tupleIJNSA_16discard_iteratorISO_EES6_EEENSQ_IJSG_SG_EEES6_PlJS6_EEE10hipError_tPvRmT3_T4_T5_T6_T7_T9_mT8_P12ihipStream_tbDpT10_ENKUlT_T0_E_clISt17integral_constantIbLb1EES1F_EEDaS1A_S1B_EUlS1A_E_NS1_11comp_targetILNS1_3genE8ELNS1_11target_archE1030ELNS1_3gpuE2ELNS1_3repE0EEENS1_30default_config_static_selectorELNS0_4arch9wavefront6targetE0EEEvT1_.num_agpr, 0
	.set _ZN7rocprim17ROCPRIM_400000_NS6detail17trampoline_kernelINS0_14default_configENS1_25partition_config_selectorILNS1_17partition_subalgoE5EyNS0_10empty_typeEbEEZZNS1_14partition_implILS5_5ELb0ES3_mN6thrust23THRUST_200600_302600_NS6detail15normal_iteratorINSA_10device_ptrIyEEEEPS6_NSA_18transform_iteratorINSB_9not_fun_tI7is_trueIyEEENSC_INSD_IbEEEENSA_11use_defaultESO_EENS0_5tupleIJNSA_16discard_iteratorISO_EES6_EEENSQ_IJSG_SG_EEES6_PlJS6_EEE10hipError_tPvRmT3_T4_T5_T6_T7_T9_mT8_P12ihipStream_tbDpT10_ENKUlT_T0_E_clISt17integral_constantIbLb1EES1F_EEDaS1A_S1B_EUlS1A_E_NS1_11comp_targetILNS1_3genE8ELNS1_11target_archE1030ELNS1_3gpuE2ELNS1_3repE0EEENS1_30default_config_static_selectorELNS0_4arch9wavefront6targetE0EEEvT1_.numbered_sgpr, 0
	.set _ZN7rocprim17ROCPRIM_400000_NS6detail17trampoline_kernelINS0_14default_configENS1_25partition_config_selectorILNS1_17partition_subalgoE5EyNS0_10empty_typeEbEEZZNS1_14partition_implILS5_5ELb0ES3_mN6thrust23THRUST_200600_302600_NS6detail15normal_iteratorINSA_10device_ptrIyEEEEPS6_NSA_18transform_iteratorINSB_9not_fun_tI7is_trueIyEEENSC_INSD_IbEEEENSA_11use_defaultESO_EENS0_5tupleIJNSA_16discard_iteratorISO_EES6_EEENSQ_IJSG_SG_EEES6_PlJS6_EEE10hipError_tPvRmT3_T4_T5_T6_T7_T9_mT8_P12ihipStream_tbDpT10_ENKUlT_T0_E_clISt17integral_constantIbLb1EES1F_EEDaS1A_S1B_EUlS1A_E_NS1_11comp_targetILNS1_3genE8ELNS1_11target_archE1030ELNS1_3gpuE2ELNS1_3repE0EEENS1_30default_config_static_selectorELNS0_4arch9wavefront6targetE0EEEvT1_.num_named_barrier, 0
	.set _ZN7rocprim17ROCPRIM_400000_NS6detail17trampoline_kernelINS0_14default_configENS1_25partition_config_selectorILNS1_17partition_subalgoE5EyNS0_10empty_typeEbEEZZNS1_14partition_implILS5_5ELb0ES3_mN6thrust23THRUST_200600_302600_NS6detail15normal_iteratorINSA_10device_ptrIyEEEEPS6_NSA_18transform_iteratorINSB_9not_fun_tI7is_trueIyEEENSC_INSD_IbEEEENSA_11use_defaultESO_EENS0_5tupleIJNSA_16discard_iteratorISO_EES6_EEENSQ_IJSG_SG_EEES6_PlJS6_EEE10hipError_tPvRmT3_T4_T5_T6_T7_T9_mT8_P12ihipStream_tbDpT10_ENKUlT_T0_E_clISt17integral_constantIbLb1EES1F_EEDaS1A_S1B_EUlS1A_E_NS1_11comp_targetILNS1_3genE8ELNS1_11target_archE1030ELNS1_3gpuE2ELNS1_3repE0EEENS1_30default_config_static_selectorELNS0_4arch9wavefront6targetE0EEEvT1_.private_seg_size, 0
	.set _ZN7rocprim17ROCPRIM_400000_NS6detail17trampoline_kernelINS0_14default_configENS1_25partition_config_selectorILNS1_17partition_subalgoE5EyNS0_10empty_typeEbEEZZNS1_14partition_implILS5_5ELb0ES3_mN6thrust23THRUST_200600_302600_NS6detail15normal_iteratorINSA_10device_ptrIyEEEEPS6_NSA_18transform_iteratorINSB_9not_fun_tI7is_trueIyEEENSC_INSD_IbEEEENSA_11use_defaultESO_EENS0_5tupleIJNSA_16discard_iteratorISO_EES6_EEENSQ_IJSG_SG_EEES6_PlJS6_EEE10hipError_tPvRmT3_T4_T5_T6_T7_T9_mT8_P12ihipStream_tbDpT10_ENKUlT_T0_E_clISt17integral_constantIbLb1EES1F_EEDaS1A_S1B_EUlS1A_E_NS1_11comp_targetILNS1_3genE8ELNS1_11target_archE1030ELNS1_3gpuE2ELNS1_3repE0EEENS1_30default_config_static_selectorELNS0_4arch9wavefront6targetE0EEEvT1_.uses_vcc, 0
	.set _ZN7rocprim17ROCPRIM_400000_NS6detail17trampoline_kernelINS0_14default_configENS1_25partition_config_selectorILNS1_17partition_subalgoE5EyNS0_10empty_typeEbEEZZNS1_14partition_implILS5_5ELb0ES3_mN6thrust23THRUST_200600_302600_NS6detail15normal_iteratorINSA_10device_ptrIyEEEEPS6_NSA_18transform_iteratorINSB_9not_fun_tI7is_trueIyEEENSC_INSD_IbEEEENSA_11use_defaultESO_EENS0_5tupleIJNSA_16discard_iteratorISO_EES6_EEENSQ_IJSG_SG_EEES6_PlJS6_EEE10hipError_tPvRmT3_T4_T5_T6_T7_T9_mT8_P12ihipStream_tbDpT10_ENKUlT_T0_E_clISt17integral_constantIbLb1EES1F_EEDaS1A_S1B_EUlS1A_E_NS1_11comp_targetILNS1_3genE8ELNS1_11target_archE1030ELNS1_3gpuE2ELNS1_3repE0EEENS1_30default_config_static_selectorELNS0_4arch9wavefront6targetE0EEEvT1_.uses_flat_scratch, 0
	.set _ZN7rocprim17ROCPRIM_400000_NS6detail17trampoline_kernelINS0_14default_configENS1_25partition_config_selectorILNS1_17partition_subalgoE5EyNS0_10empty_typeEbEEZZNS1_14partition_implILS5_5ELb0ES3_mN6thrust23THRUST_200600_302600_NS6detail15normal_iteratorINSA_10device_ptrIyEEEEPS6_NSA_18transform_iteratorINSB_9not_fun_tI7is_trueIyEEENSC_INSD_IbEEEENSA_11use_defaultESO_EENS0_5tupleIJNSA_16discard_iteratorISO_EES6_EEENSQ_IJSG_SG_EEES6_PlJS6_EEE10hipError_tPvRmT3_T4_T5_T6_T7_T9_mT8_P12ihipStream_tbDpT10_ENKUlT_T0_E_clISt17integral_constantIbLb1EES1F_EEDaS1A_S1B_EUlS1A_E_NS1_11comp_targetILNS1_3genE8ELNS1_11target_archE1030ELNS1_3gpuE2ELNS1_3repE0EEENS1_30default_config_static_selectorELNS0_4arch9wavefront6targetE0EEEvT1_.has_dyn_sized_stack, 0
	.set _ZN7rocprim17ROCPRIM_400000_NS6detail17trampoline_kernelINS0_14default_configENS1_25partition_config_selectorILNS1_17partition_subalgoE5EyNS0_10empty_typeEbEEZZNS1_14partition_implILS5_5ELb0ES3_mN6thrust23THRUST_200600_302600_NS6detail15normal_iteratorINSA_10device_ptrIyEEEEPS6_NSA_18transform_iteratorINSB_9not_fun_tI7is_trueIyEEENSC_INSD_IbEEEENSA_11use_defaultESO_EENS0_5tupleIJNSA_16discard_iteratorISO_EES6_EEENSQ_IJSG_SG_EEES6_PlJS6_EEE10hipError_tPvRmT3_T4_T5_T6_T7_T9_mT8_P12ihipStream_tbDpT10_ENKUlT_T0_E_clISt17integral_constantIbLb1EES1F_EEDaS1A_S1B_EUlS1A_E_NS1_11comp_targetILNS1_3genE8ELNS1_11target_archE1030ELNS1_3gpuE2ELNS1_3repE0EEENS1_30default_config_static_selectorELNS0_4arch9wavefront6targetE0EEEvT1_.has_recursion, 0
	.set _ZN7rocprim17ROCPRIM_400000_NS6detail17trampoline_kernelINS0_14default_configENS1_25partition_config_selectorILNS1_17partition_subalgoE5EyNS0_10empty_typeEbEEZZNS1_14partition_implILS5_5ELb0ES3_mN6thrust23THRUST_200600_302600_NS6detail15normal_iteratorINSA_10device_ptrIyEEEEPS6_NSA_18transform_iteratorINSB_9not_fun_tI7is_trueIyEEENSC_INSD_IbEEEENSA_11use_defaultESO_EENS0_5tupleIJNSA_16discard_iteratorISO_EES6_EEENSQ_IJSG_SG_EEES6_PlJS6_EEE10hipError_tPvRmT3_T4_T5_T6_T7_T9_mT8_P12ihipStream_tbDpT10_ENKUlT_T0_E_clISt17integral_constantIbLb1EES1F_EEDaS1A_S1B_EUlS1A_E_NS1_11comp_targetILNS1_3genE8ELNS1_11target_archE1030ELNS1_3gpuE2ELNS1_3repE0EEENS1_30default_config_static_selectorELNS0_4arch9wavefront6targetE0EEEvT1_.has_indirect_call, 0
	.section	.AMDGPU.csdata,"",@progbits
; Kernel info:
; codeLenInByte = 0
; TotalNumSgprs: 0
; NumVgprs: 0
; ScratchSize: 0
; MemoryBound: 0
; FloatMode: 240
; IeeeMode: 1
; LDSByteSize: 0 bytes/workgroup (compile time only)
; SGPRBlocks: 0
; VGPRBlocks: 0
; NumSGPRsForWavesPerEU: 1
; NumVGPRsForWavesPerEU: 1
; Occupancy: 16
; WaveLimiterHint : 0
; COMPUTE_PGM_RSRC2:SCRATCH_EN: 0
; COMPUTE_PGM_RSRC2:USER_SGPR: 2
; COMPUTE_PGM_RSRC2:TRAP_HANDLER: 0
; COMPUTE_PGM_RSRC2:TGID_X_EN: 1
; COMPUTE_PGM_RSRC2:TGID_Y_EN: 0
; COMPUTE_PGM_RSRC2:TGID_Z_EN: 0
; COMPUTE_PGM_RSRC2:TIDIG_COMP_CNT: 0
	.section	.text._ZN7rocprim17ROCPRIM_400000_NS6detail17trampoline_kernelINS0_14default_configENS1_25partition_config_selectorILNS1_17partition_subalgoE5EyNS0_10empty_typeEbEEZZNS1_14partition_implILS5_5ELb0ES3_mN6thrust23THRUST_200600_302600_NS6detail15normal_iteratorINSA_10device_ptrIyEEEEPS6_NSA_18transform_iteratorINSB_9not_fun_tI7is_trueIyEEENSC_INSD_IbEEEENSA_11use_defaultESO_EENS0_5tupleIJNSA_16discard_iteratorISO_EES6_EEENSQ_IJSG_SG_EEES6_PlJS6_EEE10hipError_tPvRmT3_T4_T5_T6_T7_T9_mT8_P12ihipStream_tbDpT10_ENKUlT_T0_E_clISt17integral_constantIbLb1EES1E_IbLb0EEEEDaS1A_S1B_EUlS1A_E_NS1_11comp_targetILNS1_3genE0ELNS1_11target_archE4294967295ELNS1_3gpuE0ELNS1_3repE0EEENS1_30default_config_static_selectorELNS0_4arch9wavefront6targetE0EEEvT1_,"axG",@progbits,_ZN7rocprim17ROCPRIM_400000_NS6detail17trampoline_kernelINS0_14default_configENS1_25partition_config_selectorILNS1_17partition_subalgoE5EyNS0_10empty_typeEbEEZZNS1_14partition_implILS5_5ELb0ES3_mN6thrust23THRUST_200600_302600_NS6detail15normal_iteratorINSA_10device_ptrIyEEEEPS6_NSA_18transform_iteratorINSB_9not_fun_tI7is_trueIyEEENSC_INSD_IbEEEENSA_11use_defaultESO_EENS0_5tupleIJNSA_16discard_iteratorISO_EES6_EEENSQ_IJSG_SG_EEES6_PlJS6_EEE10hipError_tPvRmT3_T4_T5_T6_T7_T9_mT8_P12ihipStream_tbDpT10_ENKUlT_T0_E_clISt17integral_constantIbLb1EES1E_IbLb0EEEEDaS1A_S1B_EUlS1A_E_NS1_11comp_targetILNS1_3genE0ELNS1_11target_archE4294967295ELNS1_3gpuE0ELNS1_3repE0EEENS1_30default_config_static_selectorELNS0_4arch9wavefront6targetE0EEEvT1_,comdat
	.protected	_ZN7rocprim17ROCPRIM_400000_NS6detail17trampoline_kernelINS0_14default_configENS1_25partition_config_selectorILNS1_17partition_subalgoE5EyNS0_10empty_typeEbEEZZNS1_14partition_implILS5_5ELb0ES3_mN6thrust23THRUST_200600_302600_NS6detail15normal_iteratorINSA_10device_ptrIyEEEEPS6_NSA_18transform_iteratorINSB_9not_fun_tI7is_trueIyEEENSC_INSD_IbEEEENSA_11use_defaultESO_EENS0_5tupleIJNSA_16discard_iteratorISO_EES6_EEENSQ_IJSG_SG_EEES6_PlJS6_EEE10hipError_tPvRmT3_T4_T5_T6_T7_T9_mT8_P12ihipStream_tbDpT10_ENKUlT_T0_E_clISt17integral_constantIbLb1EES1E_IbLb0EEEEDaS1A_S1B_EUlS1A_E_NS1_11comp_targetILNS1_3genE0ELNS1_11target_archE4294967295ELNS1_3gpuE0ELNS1_3repE0EEENS1_30default_config_static_selectorELNS0_4arch9wavefront6targetE0EEEvT1_ ; -- Begin function _ZN7rocprim17ROCPRIM_400000_NS6detail17trampoline_kernelINS0_14default_configENS1_25partition_config_selectorILNS1_17partition_subalgoE5EyNS0_10empty_typeEbEEZZNS1_14partition_implILS5_5ELb0ES3_mN6thrust23THRUST_200600_302600_NS6detail15normal_iteratorINSA_10device_ptrIyEEEEPS6_NSA_18transform_iteratorINSB_9not_fun_tI7is_trueIyEEENSC_INSD_IbEEEENSA_11use_defaultESO_EENS0_5tupleIJNSA_16discard_iteratorISO_EES6_EEENSQ_IJSG_SG_EEES6_PlJS6_EEE10hipError_tPvRmT3_T4_T5_T6_T7_T9_mT8_P12ihipStream_tbDpT10_ENKUlT_T0_E_clISt17integral_constantIbLb1EES1E_IbLb0EEEEDaS1A_S1B_EUlS1A_E_NS1_11comp_targetILNS1_3genE0ELNS1_11target_archE4294967295ELNS1_3gpuE0ELNS1_3repE0EEENS1_30default_config_static_selectorELNS0_4arch9wavefront6targetE0EEEvT1_
	.globl	_ZN7rocprim17ROCPRIM_400000_NS6detail17trampoline_kernelINS0_14default_configENS1_25partition_config_selectorILNS1_17partition_subalgoE5EyNS0_10empty_typeEbEEZZNS1_14partition_implILS5_5ELb0ES3_mN6thrust23THRUST_200600_302600_NS6detail15normal_iteratorINSA_10device_ptrIyEEEEPS6_NSA_18transform_iteratorINSB_9not_fun_tI7is_trueIyEEENSC_INSD_IbEEEENSA_11use_defaultESO_EENS0_5tupleIJNSA_16discard_iteratorISO_EES6_EEENSQ_IJSG_SG_EEES6_PlJS6_EEE10hipError_tPvRmT3_T4_T5_T6_T7_T9_mT8_P12ihipStream_tbDpT10_ENKUlT_T0_E_clISt17integral_constantIbLb1EES1E_IbLb0EEEEDaS1A_S1B_EUlS1A_E_NS1_11comp_targetILNS1_3genE0ELNS1_11target_archE4294967295ELNS1_3gpuE0ELNS1_3repE0EEENS1_30default_config_static_selectorELNS0_4arch9wavefront6targetE0EEEvT1_
	.p2align	8
	.type	_ZN7rocprim17ROCPRIM_400000_NS6detail17trampoline_kernelINS0_14default_configENS1_25partition_config_selectorILNS1_17partition_subalgoE5EyNS0_10empty_typeEbEEZZNS1_14partition_implILS5_5ELb0ES3_mN6thrust23THRUST_200600_302600_NS6detail15normal_iteratorINSA_10device_ptrIyEEEEPS6_NSA_18transform_iteratorINSB_9not_fun_tI7is_trueIyEEENSC_INSD_IbEEEENSA_11use_defaultESO_EENS0_5tupleIJNSA_16discard_iteratorISO_EES6_EEENSQ_IJSG_SG_EEES6_PlJS6_EEE10hipError_tPvRmT3_T4_T5_T6_T7_T9_mT8_P12ihipStream_tbDpT10_ENKUlT_T0_E_clISt17integral_constantIbLb1EES1E_IbLb0EEEEDaS1A_S1B_EUlS1A_E_NS1_11comp_targetILNS1_3genE0ELNS1_11target_archE4294967295ELNS1_3gpuE0ELNS1_3repE0EEENS1_30default_config_static_selectorELNS0_4arch9wavefront6targetE0EEEvT1_,@function
_ZN7rocprim17ROCPRIM_400000_NS6detail17trampoline_kernelINS0_14default_configENS1_25partition_config_selectorILNS1_17partition_subalgoE5EyNS0_10empty_typeEbEEZZNS1_14partition_implILS5_5ELb0ES3_mN6thrust23THRUST_200600_302600_NS6detail15normal_iteratorINSA_10device_ptrIyEEEEPS6_NSA_18transform_iteratorINSB_9not_fun_tI7is_trueIyEEENSC_INSD_IbEEEENSA_11use_defaultESO_EENS0_5tupleIJNSA_16discard_iteratorISO_EES6_EEENSQ_IJSG_SG_EEES6_PlJS6_EEE10hipError_tPvRmT3_T4_T5_T6_T7_T9_mT8_P12ihipStream_tbDpT10_ENKUlT_T0_E_clISt17integral_constantIbLb1EES1E_IbLb0EEEEDaS1A_S1B_EUlS1A_E_NS1_11comp_targetILNS1_3genE0ELNS1_11target_archE4294967295ELNS1_3gpuE0ELNS1_3repE0EEENS1_30default_config_static_selectorELNS0_4arch9wavefront6targetE0EEEvT1_: ; @_ZN7rocprim17ROCPRIM_400000_NS6detail17trampoline_kernelINS0_14default_configENS1_25partition_config_selectorILNS1_17partition_subalgoE5EyNS0_10empty_typeEbEEZZNS1_14partition_implILS5_5ELb0ES3_mN6thrust23THRUST_200600_302600_NS6detail15normal_iteratorINSA_10device_ptrIyEEEEPS6_NSA_18transform_iteratorINSB_9not_fun_tI7is_trueIyEEENSC_INSD_IbEEEENSA_11use_defaultESO_EENS0_5tupleIJNSA_16discard_iteratorISO_EES6_EEENSQ_IJSG_SG_EEES6_PlJS6_EEE10hipError_tPvRmT3_T4_T5_T6_T7_T9_mT8_P12ihipStream_tbDpT10_ENKUlT_T0_E_clISt17integral_constantIbLb1EES1E_IbLb0EEEEDaS1A_S1B_EUlS1A_E_NS1_11comp_targetILNS1_3genE0ELNS1_11target_archE4294967295ELNS1_3gpuE0ELNS1_3repE0EEENS1_30default_config_static_selectorELNS0_4arch9wavefront6targetE0EEEvT1_
; %bb.0:
	.section	.rodata,"a",@progbits
	.p2align	6, 0x0
	.amdhsa_kernel _ZN7rocprim17ROCPRIM_400000_NS6detail17trampoline_kernelINS0_14default_configENS1_25partition_config_selectorILNS1_17partition_subalgoE5EyNS0_10empty_typeEbEEZZNS1_14partition_implILS5_5ELb0ES3_mN6thrust23THRUST_200600_302600_NS6detail15normal_iteratorINSA_10device_ptrIyEEEEPS6_NSA_18transform_iteratorINSB_9not_fun_tI7is_trueIyEEENSC_INSD_IbEEEENSA_11use_defaultESO_EENS0_5tupleIJNSA_16discard_iteratorISO_EES6_EEENSQ_IJSG_SG_EEES6_PlJS6_EEE10hipError_tPvRmT3_T4_T5_T6_T7_T9_mT8_P12ihipStream_tbDpT10_ENKUlT_T0_E_clISt17integral_constantIbLb1EES1E_IbLb0EEEEDaS1A_S1B_EUlS1A_E_NS1_11comp_targetILNS1_3genE0ELNS1_11target_archE4294967295ELNS1_3gpuE0ELNS1_3repE0EEENS1_30default_config_static_selectorELNS0_4arch9wavefront6targetE0EEEvT1_
		.amdhsa_group_segment_fixed_size 0
		.amdhsa_private_segment_fixed_size 0
		.amdhsa_kernarg_size 128
		.amdhsa_user_sgpr_count 2
		.amdhsa_user_sgpr_dispatch_ptr 0
		.amdhsa_user_sgpr_queue_ptr 0
		.amdhsa_user_sgpr_kernarg_segment_ptr 1
		.amdhsa_user_sgpr_dispatch_id 0
		.amdhsa_user_sgpr_private_segment_size 0
		.amdhsa_wavefront_size32 1
		.amdhsa_uses_dynamic_stack 0
		.amdhsa_enable_private_segment 0
		.amdhsa_system_sgpr_workgroup_id_x 1
		.amdhsa_system_sgpr_workgroup_id_y 0
		.amdhsa_system_sgpr_workgroup_id_z 0
		.amdhsa_system_sgpr_workgroup_info 0
		.amdhsa_system_vgpr_workitem_id 0
		.amdhsa_next_free_vgpr 1
		.amdhsa_next_free_sgpr 1
		.amdhsa_reserve_vcc 0
		.amdhsa_float_round_mode_32 0
		.amdhsa_float_round_mode_16_64 0
		.amdhsa_float_denorm_mode_32 3
		.amdhsa_float_denorm_mode_16_64 3
		.amdhsa_fp16_overflow 0
		.amdhsa_workgroup_processor_mode 1
		.amdhsa_memory_ordered 1
		.amdhsa_forward_progress 1
		.amdhsa_inst_pref_size 0
		.amdhsa_round_robin_scheduling 0
		.amdhsa_exception_fp_ieee_invalid_op 0
		.amdhsa_exception_fp_denorm_src 0
		.amdhsa_exception_fp_ieee_div_zero 0
		.amdhsa_exception_fp_ieee_overflow 0
		.amdhsa_exception_fp_ieee_underflow 0
		.amdhsa_exception_fp_ieee_inexact 0
		.amdhsa_exception_int_div_zero 0
	.end_amdhsa_kernel
	.section	.text._ZN7rocprim17ROCPRIM_400000_NS6detail17trampoline_kernelINS0_14default_configENS1_25partition_config_selectorILNS1_17partition_subalgoE5EyNS0_10empty_typeEbEEZZNS1_14partition_implILS5_5ELb0ES3_mN6thrust23THRUST_200600_302600_NS6detail15normal_iteratorINSA_10device_ptrIyEEEEPS6_NSA_18transform_iteratorINSB_9not_fun_tI7is_trueIyEEENSC_INSD_IbEEEENSA_11use_defaultESO_EENS0_5tupleIJNSA_16discard_iteratorISO_EES6_EEENSQ_IJSG_SG_EEES6_PlJS6_EEE10hipError_tPvRmT3_T4_T5_T6_T7_T9_mT8_P12ihipStream_tbDpT10_ENKUlT_T0_E_clISt17integral_constantIbLb1EES1E_IbLb0EEEEDaS1A_S1B_EUlS1A_E_NS1_11comp_targetILNS1_3genE0ELNS1_11target_archE4294967295ELNS1_3gpuE0ELNS1_3repE0EEENS1_30default_config_static_selectorELNS0_4arch9wavefront6targetE0EEEvT1_,"axG",@progbits,_ZN7rocprim17ROCPRIM_400000_NS6detail17trampoline_kernelINS0_14default_configENS1_25partition_config_selectorILNS1_17partition_subalgoE5EyNS0_10empty_typeEbEEZZNS1_14partition_implILS5_5ELb0ES3_mN6thrust23THRUST_200600_302600_NS6detail15normal_iteratorINSA_10device_ptrIyEEEEPS6_NSA_18transform_iteratorINSB_9not_fun_tI7is_trueIyEEENSC_INSD_IbEEEENSA_11use_defaultESO_EENS0_5tupleIJNSA_16discard_iteratorISO_EES6_EEENSQ_IJSG_SG_EEES6_PlJS6_EEE10hipError_tPvRmT3_T4_T5_T6_T7_T9_mT8_P12ihipStream_tbDpT10_ENKUlT_T0_E_clISt17integral_constantIbLb1EES1E_IbLb0EEEEDaS1A_S1B_EUlS1A_E_NS1_11comp_targetILNS1_3genE0ELNS1_11target_archE4294967295ELNS1_3gpuE0ELNS1_3repE0EEENS1_30default_config_static_selectorELNS0_4arch9wavefront6targetE0EEEvT1_,comdat
.Lfunc_end2669:
	.size	_ZN7rocprim17ROCPRIM_400000_NS6detail17trampoline_kernelINS0_14default_configENS1_25partition_config_selectorILNS1_17partition_subalgoE5EyNS0_10empty_typeEbEEZZNS1_14partition_implILS5_5ELb0ES3_mN6thrust23THRUST_200600_302600_NS6detail15normal_iteratorINSA_10device_ptrIyEEEEPS6_NSA_18transform_iteratorINSB_9not_fun_tI7is_trueIyEEENSC_INSD_IbEEEENSA_11use_defaultESO_EENS0_5tupleIJNSA_16discard_iteratorISO_EES6_EEENSQ_IJSG_SG_EEES6_PlJS6_EEE10hipError_tPvRmT3_T4_T5_T6_T7_T9_mT8_P12ihipStream_tbDpT10_ENKUlT_T0_E_clISt17integral_constantIbLb1EES1E_IbLb0EEEEDaS1A_S1B_EUlS1A_E_NS1_11comp_targetILNS1_3genE0ELNS1_11target_archE4294967295ELNS1_3gpuE0ELNS1_3repE0EEENS1_30default_config_static_selectorELNS0_4arch9wavefront6targetE0EEEvT1_, .Lfunc_end2669-_ZN7rocprim17ROCPRIM_400000_NS6detail17trampoline_kernelINS0_14default_configENS1_25partition_config_selectorILNS1_17partition_subalgoE5EyNS0_10empty_typeEbEEZZNS1_14partition_implILS5_5ELb0ES3_mN6thrust23THRUST_200600_302600_NS6detail15normal_iteratorINSA_10device_ptrIyEEEEPS6_NSA_18transform_iteratorINSB_9not_fun_tI7is_trueIyEEENSC_INSD_IbEEEENSA_11use_defaultESO_EENS0_5tupleIJNSA_16discard_iteratorISO_EES6_EEENSQ_IJSG_SG_EEES6_PlJS6_EEE10hipError_tPvRmT3_T4_T5_T6_T7_T9_mT8_P12ihipStream_tbDpT10_ENKUlT_T0_E_clISt17integral_constantIbLb1EES1E_IbLb0EEEEDaS1A_S1B_EUlS1A_E_NS1_11comp_targetILNS1_3genE0ELNS1_11target_archE4294967295ELNS1_3gpuE0ELNS1_3repE0EEENS1_30default_config_static_selectorELNS0_4arch9wavefront6targetE0EEEvT1_
                                        ; -- End function
	.set _ZN7rocprim17ROCPRIM_400000_NS6detail17trampoline_kernelINS0_14default_configENS1_25partition_config_selectorILNS1_17partition_subalgoE5EyNS0_10empty_typeEbEEZZNS1_14partition_implILS5_5ELb0ES3_mN6thrust23THRUST_200600_302600_NS6detail15normal_iteratorINSA_10device_ptrIyEEEEPS6_NSA_18transform_iteratorINSB_9not_fun_tI7is_trueIyEEENSC_INSD_IbEEEENSA_11use_defaultESO_EENS0_5tupleIJNSA_16discard_iteratorISO_EES6_EEENSQ_IJSG_SG_EEES6_PlJS6_EEE10hipError_tPvRmT3_T4_T5_T6_T7_T9_mT8_P12ihipStream_tbDpT10_ENKUlT_T0_E_clISt17integral_constantIbLb1EES1E_IbLb0EEEEDaS1A_S1B_EUlS1A_E_NS1_11comp_targetILNS1_3genE0ELNS1_11target_archE4294967295ELNS1_3gpuE0ELNS1_3repE0EEENS1_30default_config_static_selectorELNS0_4arch9wavefront6targetE0EEEvT1_.num_vgpr, 0
	.set _ZN7rocprim17ROCPRIM_400000_NS6detail17trampoline_kernelINS0_14default_configENS1_25partition_config_selectorILNS1_17partition_subalgoE5EyNS0_10empty_typeEbEEZZNS1_14partition_implILS5_5ELb0ES3_mN6thrust23THRUST_200600_302600_NS6detail15normal_iteratorINSA_10device_ptrIyEEEEPS6_NSA_18transform_iteratorINSB_9not_fun_tI7is_trueIyEEENSC_INSD_IbEEEENSA_11use_defaultESO_EENS0_5tupleIJNSA_16discard_iteratorISO_EES6_EEENSQ_IJSG_SG_EEES6_PlJS6_EEE10hipError_tPvRmT3_T4_T5_T6_T7_T9_mT8_P12ihipStream_tbDpT10_ENKUlT_T0_E_clISt17integral_constantIbLb1EES1E_IbLb0EEEEDaS1A_S1B_EUlS1A_E_NS1_11comp_targetILNS1_3genE0ELNS1_11target_archE4294967295ELNS1_3gpuE0ELNS1_3repE0EEENS1_30default_config_static_selectorELNS0_4arch9wavefront6targetE0EEEvT1_.num_agpr, 0
	.set _ZN7rocprim17ROCPRIM_400000_NS6detail17trampoline_kernelINS0_14default_configENS1_25partition_config_selectorILNS1_17partition_subalgoE5EyNS0_10empty_typeEbEEZZNS1_14partition_implILS5_5ELb0ES3_mN6thrust23THRUST_200600_302600_NS6detail15normal_iteratorINSA_10device_ptrIyEEEEPS6_NSA_18transform_iteratorINSB_9not_fun_tI7is_trueIyEEENSC_INSD_IbEEEENSA_11use_defaultESO_EENS0_5tupleIJNSA_16discard_iteratorISO_EES6_EEENSQ_IJSG_SG_EEES6_PlJS6_EEE10hipError_tPvRmT3_T4_T5_T6_T7_T9_mT8_P12ihipStream_tbDpT10_ENKUlT_T0_E_clISt17integral_constantIbLb1EES1E_IbLb0EEEEDaS1A_S1B_EUlS1A_E_NS1_11comp_targetILNS1_3genE0ELNS1_11target_archE4294967295ELNS1_3gpuE0ELNS1_3repE0EEENS1_30default_config_static_selectorELNS0_4arch9wavefront6targetE0EEEvT1_.numbered_sgpr, 0
	.set _ZN7rocprim17ROCPRIM_400000_NS6detail17trampoline_kernelINS0_14default_configENS1_25partition_config_selectorILNS1_17partition_subalgoE5EyNS0_10empty_typeEbEEZZNS1_14partition_implILS5_5ELb0ES3_mN6thrust23THRUST_200600_302600_NS6detail15normal_iteratorINSA_10device_ptrIyEEEEPS6_NSA_18transform_iteratorINSB_9not_fun_tI7is_trueIyEEENSC_INSD_IbEEEENSA_11use_defaultESO_EENS0_5tupleIJNSA_16discard_iteratorISO_EES6_EEENSQ_IJSG_SG_EEES6_PlJS6_EEE10hipError_tPvRmT3_T4_T5_T6_T7_T9_mT8_P12ihipStream_tbDpT10_ENKUlT_T0_E_clISt17integral_constantIbLb1EES1E_IbLb0EEEEDaS1A_S1B_EUlS1A_E_NS1_11comp_targetILNS1_3genE0ELNS1_11target_archE4294967295ELNS1_3gpuE0ELNS1_3repE0EEENS1_30default_config_static_selectorELNS0_4arch9wavefront6targetE0EEEvT1_.num_named_barrier, 0
	.set _ZN7rocprim17ROCPRIM_400000_NS6detail17trampoline_kernelINS0_14default_configENS1_25partition_config_selectorILNS1_17partition_subalgoE5EyNS0_10empty_typeEbEEZZNS1_14partition_implILS5_5ELb0ES3_mN6thrust23THRUST_200600_302600_NS6detail15normal_iteratorINSA_10device_ptrIyEEEEPS6_NSA_18transform_iteratorINSB_9not_fun_tI7is_trueIyEEENSC_INSD_IbEEEENSA_11use_defaultESO_EENS0_5tupleIJNSA_16discard_iteratorISO_EES6_EEENSQ_IJSG_SG_EEES6_PlJS6_EEE10hipError_tPvRmT3_T4_T5_T6_T7_T9_mT8_P12ihipStream_tbDpT10_ENKUlT_T0_E_clISt17integral_constantIbLb1EES1E_IbLb0EEEEDaS1A_S1B_EUlS1A_E_NS1_11comp_targetILNS1_3genE0ELNS1_11target_archE4294967295ELNS1_3gpuE0ELNS1_3repE0EEENS1_30default_config_static_selectorELNS0_4arch9wavefront6targetE0EEEvT1_.private_seg_size, 0
	.set _ZN7rocprim17ROCPRIM_400000_NS6detail17trampoline_kernelINS0_14default_configENS1_25partition_config_selectorILNS1_17partition_subalgoE5EyNS0_10empty_typeEbEEZZNS1_14partition_implILS5_5ELb0ES3_mN6thrust23THRUST_200600_302600_NS6detail15normal_iteratorINSA_10device_ptrIyEEEEPS6_NSA_18transform_iteratorINSB_9not_fun_tI7is_trueIyEEENSC_INSD_IbEEEENSA_11use_defaultESO_EENS0_5tupleIJNSA_16discard_iteratorISO_EES6_EEENSQ_IJSG_SG_EEES6_PlJS6_EEE10hipError_tPvRmT3_T4_T5_T6_T7_T9_mT8_P12ihipStream_tbDpT10_ENKUlT_T0_E_clISt17integral_constantIbLb1EES1E_IbLb0EEEEDaS1A_S1B_EUlS1A_E_NS1_11comp_targetILNS1_3genE0ELNS1_11target_archE4294967295ELNS1_3gpuE0ELNS1_3repE0EEENS1_30default_config_static_selectorELNS0_4arch9wavefront6targetE0EEEvT1_.uses_vcc, 0
	.set _ZN7rocprim17ROCPRIM_400000_NS6detail17trampoline_kernelINS0_14default_configENS1_25partition_config_selectorILNS1_17partition_subalgoE5EyNS0_10empty_typeEbEEZZNS1_14partition_implILS5_5ELb0ES3_mN6thrust23THRUST_200600_302600_NS6detail15normal_iteratorINSA_10device_ptrIyEEEEPS6_NSA_18transform_iteratorINSB_9not_fun_tI7is_trueIyEEENSC_INSD_IbEEEENSA_11use_defaultESO_EENS0_5tupleIJNSA_16discard_iteratorISO_EES6_EEENSQ_IJSG_SG_EEES6_PlJS6_EEE10hipError_tPvRmT3_T4_T5_T6_T7_T9_mT8_P12ihipStream_tbDpT10_ENKUlT_T0_E_clISt17integral_constantIbLb1EES1E_IbLb0EEEEDaS1A_S1B_EUlS1A_E_NS1_11comp_targetILNS1_3genE0ELNS1_11target_archE4294967295ELNS1_3gpuE0ELNS1_3repE0EEENS1_30default_config_static_selectorELNS0_4arch9wavefront6targetE0EEEvT1_.uses_flat_scratch, 0
	.set _ZN7rocprim17ROCPRIM_400000_NS6detail17trampoline_kernelINS0_14default_configENS1_25partition_config_selectorILNS1_17partition_subalgoE5EyNS0_10empty_typeEbEEZZNS1_14partition_implILS5_5ELb0ES3_mN6thrust23THRUST_200600_302600_NS6detail15normal_iteratorINSA_10device_ptrIyEEEEPS6_NSA_18transform_iteratorINSB_9not_fun_tI7is_trueIyEEENSC_INSD_IbEEEENSA_11use_defaultESO_EENS0_5tupleIJNSA_16discard_iteratorISO_EES6_EEENSQ_IJSG_SG_EEES6_PlJS6_EEE10hipError_tPvRmT3_T4_T5_T6_T7_T9_mT8_P12ihipStream_tbDpT10_ENKUlT_T0_E_clISt17integral_constantIbLb1EES1E_IbLb0EEEEDaS1A_S1B_EUlS1A_E_NS1_11comp_targetILNS1_3genE0ELNS1_11target_archE4294967295ELNS1_3gpuE0ELNS1_3repE0EEENS1_30default_config_static_selectorELNS0_4arch9wavefront6targetE0EEEvT1_.has_dyn_sized_stack, 0
	.set _ZN7rocprim17ROCPRIM_400000_NS6detail17trampoline_kernelINS0_14default_configENS1_25partition_config_selectorILNS1_17partition_subalgoE5EyNS0_10empty_typeEbEEZZNS1_14partition_implILS5_5ELb0ES3_mN6thrust23THRUST_200600_302600_NS6detail15normal_iteratorINSA_10device_ptrIyEEEEPS6_NSA_18transform_iteratorINSB_9not_fun_tI7is_trueIyEEENSC_INSD_IbEEEENSA_11use_defaultESO_EENS0_5tupleIJNSA_16discard_iteratorISO_EES6_EEENSQ_IJSG_SG_EEES6_PlJS6_EEE10hipError_tPvRmT3_T4_T5_T6_T7_T9_mT8_P12ihipStream_tbDpT10_ENKUlT_T0_E_clISt17integral_constantIbLb1EES1E_IbLb0EEEEDaS1A_S1B_EUlS1A_E_NS1_11comp_targetILNS1_3genE0ELNS1_11target_archE4294967295ELNS1_3gpuE0ELNS1_3repE0EEENS1_30default_config_static_selectorELNS0_4arch9wavefront6targetE0EEEvT1_.has_recursion, 0
	.set _ZN7rocprim17ROCPRIM_400000_NS6detail17trampoline_kernelINS0_14default_configENS1_25partition_config_selectorILNS1_17partition_subalgoE5EyNS0_10empty_typeEbEEZZNS1_14partition_implILS5_5ELb0ES3_mN6thrust23THRUST_200600_302600_NS6detail15normal_iteratorINSA_10device_ptrIyEEEEPS6_NSA_18transform_iteratorINSB_9not_fun_tI7is_trueIyEEENSC_INSD_IbEEEENSA_11use_defaultESO_EENS0_5tupleIJNSA_16discard_iteratorISO_EES6_EEENSQ_IJSG_SG_EEES6_PlJS6_EEE10hipError_tPvRmT3_T4_T5_T6_T7_T9_mT8_P12ihipStream_tbDpT10_ENKUlT_T0_E_clISt17integral_constantIbLb1EES1E_IbLb0EEEEDaS1A_S1B_EUlS1A_E_NS1_11comp_targetILNS1_3genE0ELNS1_11target_archE4294967295ELNS1_3gpuE0ELNS1_3repE0EEENS1_30default_config_static_selectorELNS0_4arch9wavefront6targetE0EEEvT1_.has_indirect_call, 0
	.section	.AMDGPU.csdata,"",@progbits
; Kernel info:
; codeLenInByte = 0
; TotalNumSgprs: 0
; NumVgprs: 0
; ScratchSize: 0
; MemoryBound: 0
; FloatMode: 240
; IeeeMode: 1
; LDSByteSize: 0 bytes/workgroup (compile time only)
; SGPRBlocks: 0
; VGPRBlocks: 0
; NumSGPRsForWavesPerEU: 1
; NumVGPRsForWavesPerEU: 1
; Occupancy: 16
; WaveLimiterHint : 0
; COMPUTE_PGM_RSRC2:SCRATCH_EN: 0
; COMPUTE_PGM_RSRC2:USER_SGPR: 2
; COMPUTE_PGM_RSRC2:TRAP_HANDLER: 0
; COMPUTE_PGM_RSRC2:TGID_X_EN: 1
; COMPUTE_PGM_RSRC2:TGID_Y_EN: 0
; COMPUTE_PGM_RSRC2:TGID_Z_EN: 0
; COMPUTE_PGM_RSRC2:TIDIG_COMP_CNT: 0
	.section	.text._ZN7rocprim17ROCPRIM_400000_NS6detail17trampoline_kernelINS0_14default_configENS1_25partition_config_selectorILNS1_17partition_subalgoE5EyNS0_10empty_typeEbEEZZNS1_14partition_implILS5_5ELb0ES3_mN6thrust23THRUST_200600_302600_NS6detail15normal_iteratorINSA_10device_ptrIyEEEEPS6_NSA_18transform_iteratorINSB_9not_fun_tI7is_trueIyEEENSC_INSD_IbEEEENSA_11use_defaultESO_EENS0_5tupleIJNSA_16discard_iteratorISO_EES6_EEENSQ_IJSG_SG_EEES6_PlJS6_EEE10hipError_tPvRmT3_T4_T5_T6_T7_T9_mT8_P12ihipStream_tbDpT10_ENKUlT_T0_E_clISt17integral_constantIbLb1EES1E_IbLb0EEEEDaS1A_S1B_EUlS1A_E_NS1_11comp_targetILNS1_3genE5ELNS1_11target_archE942ELNS1_3gpuE9ELNS1_3repE0EEENS1_30default_config_static_selectorELNS0_4arch9wavefront6targetE0EEEvT1_,"axG",@progbits,_ZN7rocprim17ROCPRIM_400000_NS6detail17trampoline_kernelINS0_14default_configENS1_25partition_config_selectorILNS1_17partition_subalgoE5EyNS0_10empty_typeEbEEZZNS1_14partition_implILS5_5ELb0ES3_mN6thrust23THRUST_200600_302600_NS6detail15normal_iteratorINSA_10device_ptrIyEEEEPS6_NSA_18transform_iteratorINSB_9not_fun_tI7is_trueIyEEENSC_INSD_IbEEEENSA_11use_defaultESO_EENS0_5tupleIJNSA_16discard_iteratorISO_EES6_EEENSQ_IJSG_SG_EEES6_PlJS6_EEE10hipError_tPvRmT3_T4_T5_T6_T7_T9_mT8_P12ihipStream_tbDpT10_ENKUlT_T0_E_clISt17integral_constantIbLb1EES1E_IbLb0EEEEDaS1A_S1B_EUlS1A_E_NS1_11comp_targetILNS1_3genE5ELNS1_11target_archE942ELNS1_3gpuE9ELNS1_3repE0EEENS1_30default_config_static_selectorELNS0_4arch9wavefront6targetE0EEEvT1_,comdat
	.protected	_ZN7rocprim17ROCPRIM_400000_NS6detail17trampoline_kernelINS0_14default_configENS1_25partition_config_selectorILNS1_17partition_subalgoE5EyNS0_10empty_typeEbEEZZNS1_14partition_implILS5_5ELb0ES3_mN6thrust23THRUST_200600_302600_NS6detail15normal_iteratorINSA_10device_ptrIyEEEEPS6_NSA_18transform_iteratorINSB_9not_fun_tI7is_trueIyEEENSC_INSD_IbEEEENSA_11use_defaultESO_EENS0_5tupleIJNSA_16discard_iteratorISO_EES6_EEENSQ_IJSG_SG_EEES6_PlJS6_EEE10hipError_tPvRmT3_T4_T5_T6_T7_T9_mT8_P12ihipStream_tbDpT10_ENKUlT_T0_E_clISt17integral_constantIbLb1EES1E_IbLb0EEEEDaS1A_S1B_EUlS1A_E_NS1_11comp_targetILNS1_3genE5ELNS1_11target_archE942ELNS1_3gpuE9ELNS1_3repE0EEENS1_30default_config_static_selectorELNS0_4arch9wavefront6targetE0EEEvT1_ ; -- Begin function _ZN7rocprim17ROCPRIM_400000_NS6detail17trampoline_kernelINS0_14default_configENS1_25partition_config_selectorILNS1_17partition_subalgoE5EyNS0_10empty_typeEbEEZZNS1_14partition_implILS5_5ELb0ES3_mN6thrust23THRUST_200600_302600_NS6detail15normal_iteratorINSA_10device_ptrIyEEEEPS6_NSA_18transform_iteratorINSB_9not_fun_tI7is_trueIyEEENSC_INSD_IbEEEENSA_11use_defaultESO_EENS0_5tupleIJNSA_16discard_iteratorISO_EES6_EEENSQ_IJSG_SG_EEES6_PlJS6_EEE10hipError_tPvRmT3_T4_T5_T6_T7_T9_mT8_P12ihipStream_tbDpT10_ENKUlT_T0_E_clISt17integral_constantIbLb1EES1E_IbLb0EEEEDaS1A_S1B_EUlS1A_E_NS1_11comp_targetILNS1_3genE5ELNS1_11target_archE942ELNS1_3gpuE9ELNS1_3repE0EEENS1_30default_config_static_selectorELNS0_4arch9wavefront6targetE0EEEvT1_
	.globl	_ZN7rocprim17ROCPRIM_400000_NS6detail17trampoline_kernelINS0_14default_configENS1_25partition_config_selectorILNS1_17partition_subalgoE5EyNS0_10empty_typeEbEEZZNS1_14partition_implILS5_5ELb0ES3_mN6thrust23THRUST_200600_302600_NS6detail15normal_iteratorINSA_10device_ptrIyEEEEPS6_NSA_18transform_iteratorINSB_9not_fun_tI7is_trueIyEEENSC_INSD_IbEEEENSA_11use_defaultESO_EENS0_5tupleIJNSA_16discard_iteratorISO_EES6_EEENSQ_IJSG_SG_EEES6_PlJS6_EEE10hipError_tPvRmT3_T4_T5_T6_T7_T9_mT8_P12ihipStream_tbDpT10_ENKUlT_T0_E_clISt17integral_constantIbLb1EES1E_IbLb0EEEEDaS1A_S1B_EUlS1A_E_NS1_11comp_targetILNS1_3genE5ELNS1_11target_archE942ELNS1_3gpuE9ELNS1_3repE0EEENS1_30default_config_static_selectorELNS0_4arch9wavefront6targetE0EEEvT1_
	.p2align	8
	.type	_ZN7rocprim17ROCPRIM_400000_NS6detail17trampoline_kernelINS0_14default_configENS1_25partition_config_selectorILNS1_17partition_subalgoE5EyNS0_10empty_typeEbEEZZNS1_14partition_implILS5_5ELb0ES3_mN6thrust23THRUST_200600_302600_NS6detail15normal_iteratorINSA_10device_ptrIyEEEEPS6_NSA_18transform_iteratorINSB_9not_fun_tI7is_trueIyEEENSC_INSD_IbEEEENSA_11use_defaultESO_EENS0_5tupleIJNSA_16discard_iteratorISO_EES6_EEENSQ_IJSG_SG_EEES6_PlJS6_EEE10hipError_tPvRmT3_T4_T5_T6_T7_T9_mT8_P12ihipStream_tbDpT10_ENKUlT_T0_E_clISt17integral_constantIbLb1EES1E_IbLb0EEEEDaS1A_S1B_EUlS1A_E_NS1_11comp_targetILNS1_3genE5ELNS1_11target_archE942ELNS1_3gpuE9ELNS1_3repE0EEENS1_30default_config_static_selectorELNS0_4arch9wavefront6targetE0EEEvT1_,@function
_ZN7rocprim17ROCPRIM_400000_NS6detail17trampoline_kernelINS0_14default_configENS1_25partition_config_selectorILNS1_17partition_subalgoE5EyNS0_10empty_typeEbEEZZNS1_14partition_implILS5_5ELb0ES3_mN6thrust23THRUST_200600_302600_NS6detail15normal_iteratorINSA_10device_ptrIyEEEEPS6_NSA_18transform_iteratorINSB_9not_fun_tI7is_trueIyEEENSC_INSD_IbEEEENSA_11use_defaultESO_EENS0_5tupleIJNSA_16discard_iteratorISO_EES6_EEENSQ_IJSG_SG_EEES6_PlJS6_EEE10hipError_tPvRmT3_T4_T5_T6_T7_T9_mT8_P12ihipStream_tbDpT10_ENKUlT_T0_E_clISt17integral_constantIbLb1EES1E_IbLb0EEEEDaS1A_S1B_EUlS1A_E_NS1_11comp_targetILNS1_3genE5ELNS1_11target_archE942ELNS1_3gpuE9ELNS1_3repE0EEENS1_30default_config_static_selectorELNS0_4arch9wavefront6targetE0EEEvT1_: ; @_ZN7rocprim17ROCPRIM_400000_NS6detail17trampoline_kernelINS0_14default_configENS1_25partition_config_selectorILNS1_17partition_subalgoE5EyNS0_10empty_typeEbEEZZNS1_14partition_implILS5_5ELb0ES3_mN6thrust23THRUST_200600_302600_NS6detail15normal_iteratorINSA_10device_ptrIyEEEEPS6_NSA_18transform_iteratorINSB_9not_fun_tI7is_trueIyEEENSC_INSD_IbEEEENSA_11use_defaultESO_EENS0_5tupleIJNSA_16discard_iteratorISO_EES6_EEENSQ_IJSG_SG_EEES6_PlJS6_EEE10hipError_tPvRmT3_T4_T5_T6_T7_T9_mT8_P12ihipStream_tbDpT10_ENKUlT_T0_E_clISt17integral_constantIbLb1EES1E_IbLb0EEEEDaS1A_S1B_EUlS1A_E_NS1_11comp_targetILNS1_3genE5ELNS1_11target_archE942ELNS1_3gpuE9ELNS1_3repE0EEENS1_30default_config_static_selectorELNS0_4arch9wavefront6targetE0EEEvT1_
; %bb.0:
	.section	.rodata,"a",@progbits
	.p2align	6, 0x0
	.amdhsa_kernel _ZN7rocprim17ROCPRIM_400000_NS6detail17trampoline_kernelINS0_14default_configENS1_25partition_config_selectorILNS1_17partition_subalgoE5EyNS0_10empty_typeEbEEZZNS1_14partition_implILS5_5ELb0ES3_mN6thrust23THRUST_200600_302600_NS6detail15normal_iteratorINSA_10device_ptrIyEEEEPS6_NSA_18transform_iteratorINSB_9not_fun_tI7is_trueIyEEENSC_INSD_IbEEEENSA_11use_defaultESO_EENS0_5tupleIJNSA_16discard_iteratorISO_EES6_EEENSQ_IJSG_SG_EEES6_PlJS6_EEE10hipError_tPvRmT3_T4_T5_T6_T7_T9_mT8_P12ihipStream_tbDpT10_ENKUlT_T0_E_clISt17integral_constantIbLb1EES1E_IbLb0EEEEDaS1A_S1B_EUlS1A_E_NS1_11comp_targetILNS1_3genE5ELNS1_11target_archE942ELNS1_3gpuE9ELNS1_3repE0EEENS1_30default_config_static_selectorELNS0_4arch9wavefront6targetE0EEEvT1_
		.amdhsa_group_segment_fixed_size 0
		.amdhsa_private_segment_fixed_size 0
		.amdhsa_kernarg_size 128
		.amdhsa_user_sgpr_count 2
		.amdhsa_user_sgpr_dispatch_ptr 0
		.amdhsa_user_sgpr_queue_ptr 0
		.amdhsa_user_sgpr_kernarg_segment_ptr 1
		.amdhsa_user_sgpr_dispatch_id 0
		.amdhsa_user_sgpr_private_segment_size 0
		.amdhsa_wavefront_size32 1
		.amdhsa_uses_dynamic_stack 0
		.amdhsa_enable_private_segment 0
		.amdhsa_system_sgpr_workgroup_id_x 1
		.amdhsa_system_sgpr_workgroup_id_y 0
		.amdhsa_system_sgpr_workgroup_id_z 0
		.amdhsa_system_sgpr_workgroup_info 0
		.amdhsa_system_vgpr_workitem_id 0
		.amdhsa_next_free_vgpr 1
		.amdhsa_next_free_sgpr 1
		.amdhsa_reserve_vcc 0
		.amdhsa_float_round_mode_32 0
		.amdhsa_float_round_mode_16_64 0
		.amdhsa_float_denorm_mode_32 3
		.amdhsa_float_denorm_mode_16_64 3
		.amdhsa_fp16_overflow 0
		.amdhsa_workgroup_processor_mode 1
		.amdhsa_memory_ordered 1
		.amdhsa_forward_progress 1
		.amdhsa_inst_pref_size 0
		.amdhsa_round_robin_scheduling 0
		.amdhsa_exception_fp_ieee_invalid_op 0
		.amdhsa_exception_fp_denorm_src 0
		.amdhsa_exception_fp_ieee_div_zero 0
		.amdhsa_exception_fp_ieee_overflow 0
		.amdhsa_exception_fp_ieee_underflow 0
		.amdhsa_exception_fp_ieee_inexact 0
		.amdhsa_exception_int_div_zero 0
	.end_amdhsa_kernel
	.section	.text._ZN7rocprim17ROCPRIM_400000_NS6detail17trampoline_kernelINS0_14default_configENS1_25partition_config_selectorILNS1_17partition_subalgoE5EyNS0_10empty_typeEbEEZZNS1_14partition_implILS5_5ELb0ES3_mN6thrust23THRUST_200600_302600_NS6detail15normal_iteratorINSA_10device_ptrIyEEEEPS6_NSA_18transform_iteratorINSB_9not_fun_tI7is_trueIyEEENSC_INSD_IbEEEENSA_11use_defaultESO_EENS0_5tupleIJNSA_16discard_iteratorISO_EES6_EEENSQ_IJSG_SG_EEES6_PlJS6_EEE10hipError_tPvRmT3_T4_T5_T6_T7_T9_mT8_P12ihipStream_tbDpT10_ENKUlT_T0_E_clISt17integral_constantIbLb1EES1E_IbLb0EEEEDaS1A_S1B_EUlS1A_E_NS1_11comp_targetILNS1_3genE5ELNS1_11target_archE942ELNS1_3gpuE9ELNS1_3repE0EEENS1_30default_config_static_selectorELNS0_4arch9wavefront6targetE0EEEvT1_,"axG",@progbits,_ZN7rocprim17ROCPRIM_400000_NS6detail17trampoline_kernelINS0_14default_configENS1_25partition_config_selectorILNS1_17partition_subalgoE5EyNS0_10empty_typeEbEEZZNS1_14partition_implILS5_5ELb0ES3_mN6thrust23THRUST_200600_302600_NS6detail15normal_iteratorINSA_10device_ptrIyEEEEPS6_NSA_18transform_iteratorINSB_9not_fun_tI7is_trueIyEEENSC_INSD_IbEEEENSA_11use_defaultESO_EENS0_5tupleIJNSA_16discard_iteratorISO_EES6_EEENSQ_IJSG_SG_EEES6_PlJS6_EEE10hipError_tPvRmT3_T4_T5_T6_T7_T9_mT8_P12ihipStream_tbDpT10_ENKUlT_T0_E_clISt17integral_constantIbLb1EES1E_IbLb0EEEEDaS1A_S1B_EUlS1A_E_NS1_11comp_targetILNS1_3genE5ELNS1_11target_archE942ELNS1_3gpuE9ELNS1_3repE0EEENS1_30default_config_static_selectorELNS0_4arch9wavefront6targetE0EEEvT1_,comdat
.Lfunc_end2670:
	.size	_ZN7rocprim17ROCPRIM_400000_NS6detail17trampoline_kernelINS0_14default_configENS1_25partition_config_selectorILNS1_17partition_subalgoE5EyNS0_10empty_typeEbEEZZNS1_14partition_implILS5_5ELb0ES3_mN6thrust23THRUST_200600_302600_NS6detail15normal_iteratorINSA_10device_ptrIyEEEEPS6_NSA_18transform_iteratorINSB_9not_fun_tI7is_trueIyEEENSC_INSD_IbEEEENSA_11use_defaultESO_EENS0_5tupleIJNSA_16discard_iteratorISO_EES6_EEENSQ_IJSG_SG_EEES6_PlJS6_EEE10hipError_tPvRmT3_T4_T5_T6_T7_T9_mT8_P12ihipStream_tbDpT10_ENKUlT_T0_E_clISt17integral_constantIbLb1EES1E_IbLb0EEEEDaS1A_S1B_EUlS1A_E_NS1_11comp_targetILNS1_3genE5ELNS1_11target_archE942ELNS1_3gpuE9ELNS1_3repE0EEENS1_30default_config_static_selectorELNS0_4arch9wavefront6targetE0EEEvT1_, .Lfunc_end2670-_ZN7rocprim17ROCPRIM_400000_NS6detail17trampoline_kernelINS0_14default_configENS1_25partition_config_selectorILNS1_17partition_subalgoE5EyNS0_10empty_typeEbEEZZNS1_14partition_implILS5_5ELb0ES3_mN6thrust23THRUST_200600_302600_NS6detail15normal_iteratorINSA_10device_ptrIyEEEEPS6_NSA_18transform_iteratorINSB_9not_fun_tI7is_trueIyEEENSC_INSD_IbEEEENSA_11use_defaultESO_EENS0_5tupleIJNSA_16discard_iteratorISO_EES6_EEENSQ_IJSG_SG_EEES6_PlJS6_EEE10hipError_tPvRmT3_T4_T5_T6_T7_T9_mT8_P12ihipStream_tbDpT10_ENKUlT_T0_E_clISt17integral_constantIbLb1EES1E_IbLb0EEEEDaS1A_S1B_EUlS1A_E_NS1_11comp_targetILNS1_3genE5ELNS1_11target_archE942ELNS1_3gpuE9ELNS1_3repE0EEENS1_30default_config_static_selectorELNS0_4arch9wavefront6targetE0EEEvT1_
                                        ; -- End function
	.set _ZN7rocprim17ROCPRIM_400000_NS6detail17trampoline_kernelINS0_14default_configENS1_25partition_config_selectorILNS1_17partition_subalgoE5EyNS0_10empty_typeEbEEZZNS1_14partition_implILS5_5ELb0ES3_mN6thrust23THRUST_200600_302600_NS6detail15normal_iteratorINSA_10device_ptrIyEEEEPS6_NSA_18transform_iteratorINSB_9not_fun_tI7is_trueIyEEENSC_INSD_IbEEEENSA_11use_defaultESO_EENS0_5tupleIJNSA_16discard_iteratorISO_EES6_EEENSQ_IJSG_SG_EEES6_PlJS6_EEE10hipError_tPvRmT3_T4_T5_T6_T7_T9_mT8_P12ihipStream_tbDpT10_ENKUlT_T0_E_clISt17integral_constantIbLb1EES1E_IbLb0EEEEDaS1A_S1B_EUlS1A_E_NS1_11comp_targetILNS1_3genE5ELNS1_11target_archE942ELNS1_3gpuE9ELNS1_3repE0EEENS1_30default_config_static_selectorELNS0_4arch9wavefront6targetE0EEEvT1_.num_vgpr, 0
	.set _ZN7rocprim17ROCPRIM_400000_NS6detail17trampoline_kernelINS0_14default_configENS1_25partition_config_selectorILNS1_17partition_subalgoE5EyNS0_10empty_typeEbEEZZNS1_14partition_implILS5_5ELb0ES3_mN6thrust23THRUST_200600_302600_NS6detail15normal_iteratorINSA_10device_ptrIyEEEEPS6_NSA_18transform_iteratorINSB_9not_fun_tI7is_trueIyEEENSC_INSD_IbEEEENSA_11use_defaultESO_EENS0_5tupleIJNSA_16discard_iteratorISO_EES6_EEENSQ_IJSG_SG_EEES6_PlJS6_EEE10hipError_tPvRmT3_T4_T5_T6_T7_T9_mT8_P12ihipStream_tbDpT10_ENKUlT_T0_E_clISt17integral_constantIbLb1EES1E_IbLb0EEEEDaS1A_S1B_EUlS1A_E_NS1_11comp_targetILNS1_3genE5ELNS1_11target_archE942ELNS1_3gpuE9ELNS1_3repE0EEENS1_30default_config_static_selectorELNS0_4arch9wavefront6targetE0EEEvT1_.num_agpr, 0
	.set _ZN7rocprim17ROCPRIM_400000_NS6detail17trampoline_kernelINS0_14default_configENS1_25partition_config_selectorILNS1_17partition_subalgoE5EyNS0_10empty_typeEbEEZZNS1_14partition_implILS5_5ELb0ES3_mN6thrust23THRUST_200600_302600_NS6detail15normal_iteratorINSA_10device_ptrIyEEEEPS6_NSA_18transform_iteratorINSB_9not_fun_tI7is_trueIyEEENSC_INSD_IbEEEENSA_11use_defaultESO_EENS0_5tupleIJNSA_16discard_iteratorISO_EES6_EEENSQ_IJSG_SG_EEES6_PlJS6_EEE10hipError_tPvRmT3_T4_T5_T6_T7_T9_mT8_P12ihipStream_tbDpT10_ENKUlT_T0_E_clISt17integral_constantIbLb1EES1E_IbLb0EEEEDaS1A_S1B_EUlS1A_E_NS1_11comp_targetILNS1_3genE5ELNS1_11target_archE942ELNS1_3gpuE9ELNS1_3repE0EEENS1_30default_config_static_selectorELNS0_4arch9wavefront6targetE0EEEvT1_.numbered_sgpr, 0
	.set _ZN7rocprim17ROCPRIM_400000_NS6detail17trampoline_kernelINS0_14default_configENS1_25partition_config_selectorILNS1_17partition_subalgoE5EyNS0_10empty_typeEbEEZZNS1_14partition_implILS5_5ELb0ES3_mN6thrust23THRUST_200600_302600_NS6detail15normal_iteratorINSA_10device_ptrIyEEEEPS6_NSA_18transform_iteratorINSB_9not_fun_tI7is_trueIyEEENSC_INSD_IbEEEENSA_11use_defaultESO_EENS0_5tupleIJNSA_16discard_iteratorISO_EES6_EEENSQ_IJSG_SG_EEES6_PlJS6_EEE10hipError_tPvRmT3_T4_T5_T6_T7_T9_mT8_P12ihipStream_tbDpT10_ENKUlT_T0_E_clISt17integral_constantIbLb1EES1E_IbLb0EEEEDaS1A_S1B_EUlS1A_E_NS1_11comp_targetILNS1_3genE5ELNS1_11target_archE942ELNS1_3gpuE9ELNS1_3repE0EEENS1_30default_config_static_selectorELNS0_4arch9wavefront6targetE0EEEvT1_.num_named_barrier, 0
	.set _ZN7rocprim17ROCPRIM_400000_NS6detail17trampoline_kernelINS0_14default_configENS1_25partition_config_selectorILNS1_17partition_subalgoE5EyNS0_10empty_typeEbEEZZNS1_14partition_implILS5_5ELb0ES3_mN6thrust23THRUST_200600_302600_NS6detail15normal_iteratorINSA_10device_ptrIyEEEEPS6_NSA_18transform_iteratorINSB_9not_fun_tI7is_trueIyEEENSC_INSD_IbEEEENSA_11use_defaultESO_EENS0_5tupleIJNSA_16discard_iteratorISO_EES6_EEENSQ_IJSG_SG_EEES6_PlJS6_EEE10hipError_tPvRmT3_T4_T5_T6_T7_T9_mT8_P12ihipStream_tbDpT10_ENKUlT_T0_E_clISt17integral_constantIbLb1EES1E_IbLb0EEEEDaS1A_S1B_EUlS1A_E_NS1_11comp_targetILNS1_3genE5ELNS1_11target_archE942ELNS1_3gpuE9ELNS1_3repE0EEENS1_30default_config_static_selectorELNS0_4arch9wavefront6targetE0EEEvT1_.private_seg_size, 0
	.set _ZN7rocprim17ROCPRIM_400000_NS6detail17trampoline_kernelINS0_14default_configENS1_25partition_config_selectorILNS1_17partition_subalgoE5EyNS0_10empty_typeEbEEZZNS1_14partition_implILS5_5ELb0ES3_mN6thrust23THRUST_200600_302600_NS6detail15normal_iteratorINSA_10device_ptrIyEEEEPS6_NSA_18transform_iteratorINSB_9not_fun_tI7is_trueIyEEENSC_INSD_IbEEEENSA_11use_defaultESO_EENS0_5tupleIJNSA_16discard_iteratorISO_EES6_EEENSQ_IJSG_SG_EEES6_PlJS6_EEE10hipError_tPvRmT3_T4_T5_T6_T7_T9_mT8_P12ihipStream_tbDpT10_ENKUlT_T0_E_clISt17integral_constantIbLb1EES1E_IbLb0EEEEDaS1A_S1B_EUlS1A_E_NS1_11comp_targetILNS1_3genE5ELNS1_11target_archE942ELNS1_3gpuE9ELNS1_3repE0EEENS1_30default_config_static_selectorELNS0_4arch9wavefront6targetE0EEEvT1_.uses_vcc, 0
	.set _ZN7rocprim17ROCPRIM_400000_NS6detail17trampoline_kernelINS0_14default_configENS1_25partition_config_selectorILNS1_17partition_subalgoE5EyNS0_10empty_typeEbEEZZNS1_14partition_implILS5_5ELb0ES3_mN6thrust23THRUST_200600_302600_NS6detail15normal_iteratorINSA_10device_ptrIyEEEEPS6_NSA_18transform_iteratorINSB_9not_fun_tI7is_trueIyEEENSC_INSD_IbEEEENSA_11use_defaultESO_EENS0_5tupleIJNSA_16discard_iteratorISO_EES6_EEENSQ_IJSG_SG_EEES6_PlJS6_EEE10hipError_tPvRmT3_T4_T5_T6_T7_T9_mT8_P12ihipStream_tbDpT10_ENKUlT_T0_E_clISt17integral_constantIbLb1EES1E_IbLb0EEEEDaS1A_S1B_EUlS1A_E_NS1_11comp_targetILNS1_3genE5ELNS1_11target_archE942ELNS1_3gpuE9ELNS1_3repE0EEENS1_30default_config_static_selectorELNS0_4arch9wavefront6targetE0EEEvT1_.uses_flat_scratch, 0
	.set _ZN7rocprim17ROCPRIM_400000_NS6detail17trampoline_kernelINS0_14default_configENS1_25partition_config_selectorILNS1_17partition_subalgoE5EyNS0_10empty_typeEbEEZZNS1_14partition_implILS5_5ELb0ES3_mN6thrust23THRUST_200600_302600_NS6detail15normal_iteratorINSA_10device_ptrIyEEEEPS6_NSA_18transform_iteratorINSB_9not_fun_tI7is_trueIyEEENSC_INSD_IbEEEENSA_11use_defaultESO_EENS0_5tupleIJNSA_16discard_iteratorISO_EES6_EEENSQ_IJSG_SG_EEES6_PlJS6_EEE10hipError_tPvRmT3_T4_T5_T6_T7_T9_mT8_P12ihipStream_tbDpT10_ENKUlT_T0_E_clISt17integral_constantIbLb1EES1E_IbLb0EEEEDaS1A_S1B_EUlS1A_E_NS1_11comp_targetILNS1_3genE5ELNS1_11target_archE942ELNS1_3gpuE9ELNS1_3repE0EEENS1_30default_config_static_selectorELNS0_4arch9wavefront6targetE0EEEvT1_.has_dyn_sized_stack, 0
	.set _ZN7rocprim17ROCPRIM_400000_NS6detail17trampoline_kernelINS0_14default_configENS1_25partition_config_selectorILNS1_17partition_subalgoE5EyNS0_10empty_typeEbEEZZNS1_14partition_implILS5_5ELb0ES3_mN6thrust23THRUST_200600_302600_NS6detail15normal_iteratorINSA_10device_ptrIyEEEEPS6_NSA_18transform_iteratorINSB_9not_fun_tI7is_trueIyEEENSC_INSD_IbEEEENSA_11use_defaultESO_EENS0_5tupleIJNSA_16discard_iteratorISO_EES6_EEENSQ_IJSG_SG_EEES6_PlJS6_EEE10hipError_tPvRmT3_T4_T5_T6_T7_T9_mT8_P12ihipStream_tbDpT10_ENKUlT_T0_E_clISt17integral_constantIbLb1EES1E_IbLb0EEEEDaS1A_S1B_EUlS1A_E_NS1_11comp_targetILNS1_3genE5ELNS1_11target_archE942ELNS1_3gpuE9ELNS1_3repE0EEENS1_30default_config_static_selectorELNS0_4arch9wavefront6targetE0EEEvT1_.has_recursion, 0
	.set _ZN7rocprim17ROCPRIM_400000_NS6detail17trampoline_kernelINS0_14default_configENS1_25partition_config_selectorILNS1_17partition_subalgoE5EyNS0_10empty_typeEbEEZZNS1_14partition_implILS5_5ELb0ES3_mN6thrust23THRUST_200600_302600_NS6detail15normal_iteratorINSA_10device_ptrIyEEEEPS6_NSA_18transform_iteratorINSB_9not_fun_tI7is_trueIyEEENSC_INSD_IbEEEENSA_11use_defaultESO_EENS0_5tupleIJNSA_16discard_iteratorISO_EES6_EEENSQ_IJSG_SG_EEES6_PlJS6_EEE10hipError_tPvRmT3_T4_T5_T6_T7_T9_mT8_P12ihipStream_tbDpT10_ENKUlT_T0_E_clISt17integral_constantIbLb1EES1E_IbLb0EEEEDaS1A_S1B_EUlS1A_E_NS1_11comp_targetILNS1_3genE5ELNS1_11target_archE942ELNS1_3gpuE9ELNS1_3repE0EEENS1_30default_config_static_selectorELNS0_4arch9wavefront6targetE0EEEvT1_.has_indirect_call, 0
	.section	.AMDGPU.csdata,"",@progbits
; Kernel info:
; codeLenInByte = 0
; TotalNumSgprs: 0
; NumVgprs: 0
; ScratchSize: 0
; MemoryBound: 0
; FloatMode: 240
; IeeeMode: 1
; LDSByteSize: 0 bytes/workgroup (compile time only)
; SGPRBlocks: 0
; VGPRBlocks: 0
; NumSGPRsForWavesPerEU: 1
; NumVGPRsForWavesPerEU: 1
; Occupancy: 16
; WaveLimiterHint : 0
; COMPUTE_PGM_RSRC2:SCRATCH_EN: 0
; COMPUTE_PGM_RSRC2:USER_SGPR: 2
; COMPUTE_PGM_RSRC2:TRAP_HANDLER: 0
; COMPUTE_PGM_RSRC2:TGID_X_EN: 1
; COMPUTE_PGM_RSRC2:TGID_Y_EN: 0
; COMPUTE_PGM_RSRC2:TGID_Z_EN: 0
; COMPUTE_PGM_RSRC2:TIDIG_COMP_CNT: 0
	.section	.text._ZN7rocprim17ROCPRIM_400000_NS6detail17trampoline_kernelINS0_14default_configENS1_25partition_config_selectorILNS1_17partition_subalgoE5EyNS0_10empty_typeEbEEZZNS1_14partition_implILS5_5ELb0ES3_mN6thrust23THRUST_200600_302600_NS6detail15normal_iteratorINSA_10device_ptrIyEEEEPS6_NSA_18transform_iteratorINSB_9not_fun_tI7is_trueIyEEENSC_INSD_IbEEEENSA_11use_defaultESO_EENS0_5tupleIJNSA_16discard_iteratorISO_EES6_EEENSQ_IJSG_SG_EEES6_PlJS6_EEE10hipError_tPvRmT3_T4_T5_T6_T7_T9_mT8_P12ihipStream_tbDpT10_ENKUlT_T0_E_clISt17integral_constantIbLb1EES1E_IbLb0EEEEDaS1A_S1B_EUlS1A_E_NS1_11comp_targetILNS1_3genE4ELNS1_11target_archE910ELNS1_3gpuE8ELNS1_3repE0EEENS1_30default_config_static_selectorELNS0_4arch9wavefront6targetE0EEEvT1_,"axG",@progbits,_ZN7rocprim17ROCPRIM_400000_NS6detail17trampoline_kernelINS0_14default_configENS1_25partition_config_selectorILNS1_17partition_subalgoE5EyNS0_10empty_typeEbEEZZNS1_14partition_implILS5_5ELb0ES3_mN6thrust23THRUST_200600_302600_NS6detail15normal_iteratorINSA_10device_ptrIyEEEEPS6_NSA_18transform_iteratorINSB_9not_fun_tI7is_trueIyEEENSC_INSD_IbEEEENSA_11use_defaultESO_EENS0_5tupleIJNSA_16discard_iteratorISO_EES6_EEENSQ_IJSG_SG_EEES6_PlJS6_EEE10hipError_tPvRmT3_T4_T5_T6_T7_T9_mT8_P12ihipStream_tbDpT10_ENKUlT_T0_E_clISt17integral_constantIbLb1EES1E_IbLb0EEEEDaS1A_S1B_EUlS1A_E_NS1_11comp_targetILNS1_3genE4ELNS1_11target_archE910ELNS1_3gpuE8ELNS1_3repE0EEENS1_30default_config_static_selectorELNS0_4arch9wavefront6targetE0EEEvT1_,comdat
	.protected	_ZN7rocprim17ROCPRIM_400000_NS6detail17trampoline_kernelINS0_14default_configENS1_25partition_config_selectorILNS1_17partition_subalgoE5EyNS0_10empty_typeEbEEZZNS1_14partition_implILS5_5ELb0ES3_mN6thrust23THRUST_200600_302600_NS6detail15normal_iteratorINSA_10device_ptrIyEEEEPS6_NSA_18transform_iteratorINSB_9not_fun_tI7is_trueIyEEENSC_INSD_IbEEEENSA_11use_defaultESO_EENS0_5tupleIJNSA_16discard_iteratorISO_EES6_EEENSQ_IJSG_SG_EEES6_PlJS6_EEE10hipError_tPvRmT3_T4_T5_T6_T7_T9_mT8_P12ihipStream_tbDpT10_ENKUlT_T0_E_clISt17integral_constantIbLb1EES1E_IbLb0EEEEDaS1A_S1B_EUlS1A_E_NS1_11comp_targetILNS1_3genE4ELNS1_11target_archE910ELNS1_3gpuE8ELNS1_3repE0EEENS1_30default_config_static_selectorELNS0_4arch9wavefront6targetE0EEEvT1_ ; -- Begin function _ZN7rocprim17ROCPRIM_400000_NS6detail17trampoline_kernelINS0_14default_configENS1_25partition_config_selectorILNS1_17partition_subalgoE5EyNS0_10empty_typeEbEEZZNS1_14partition_implILS5_5ELb0ES3_mN6thrust23THRUST_200600_302600_NS6detail15normal_iteratorINSA_10device_ptrIyEEEEPS6_NSA_18transform_iteratorINSB_9not_fun_tI7is_trueIyEEENSC_INSD_IbEEEENSA_11use_defaultESO_EENS0_5tupleIJNSA_16discard_iteratorISO_EES6_EEENSQ_IJSG_SG_EEES6_PlJS6_EEE10hipError_tPvRmT3_T4_T5_T6_T7_T9_mT8_P12ihipStream_tbDpT10_ENKUlT_T0_E_clISt17integral_constantIbLb1EES1E_IbLb0EEEEDaS1A_S1B_EUlS1A_E_NS1_11comp_targetILNS1_3genE4ELNS1_11target_archE910ELNS1_3gpuE8ELNS1_3repE0EEENS1_30default_config_static_selectorELNS0_4arch9wavefront6targetE0EEEvT1_
	.globl	_ZN7rocprim17ROCPRIM_400000_NS6detail17trampoline_kernelINS0_14default_configENS1_25partition_config_selectorILNS1_17partition_subalgoE5EyNS0_10empty_typeEbEEZZNS1_14partition_implILS5_5ELb0ES3_mN6thrust23THRUST_200600_302600_NS6detail15normal_iteratorINSA_10device_ptrIyEEEEPS6_NSA_18transform_iteratorINSB_9not_fun_tI7is_trueIyEEENSC_INSD_IbEEEENSA_11use_defaultESO_EENS0_5tupleIJNSA_16discard_iteratorISO_EES6_EEENSQ_IJSG_SG_EEES6_PlJS6_EEE10hipError_tPvRmT3_T4_T5_T6_T7_T9_mT8_P12ihipStream_tbDpT10_ENKUlT_T0_E_clISt17integral_constantIbLb1EES1E_IbLb0EEEEDaS1A_S1B_EUlS1A_E_NS1_11comp_targetILNS1_3genE4ELNS1_11target_archE910ELNS1_3gpuE8ELNS1_3repE0EEENS1_30default_config_static_selectorELNS0_4arch9wavefront6targetE0EEEvT1_
	.p2align	8
	.type	_ZN7rocprim17ROCPRIM_400000_NS6detail17trampoline_kernelINS0_14default_configENS1_25partition_config_selectorILNS1_17partition_subalgoE5EyNS0_10empty_typeEbEEZZNS1_14partition_implILS5_5ELb0ES3_mN6thrust23THRUST_200600_302600_NS6detail15normal_iteratorINSA_10device_ptrIyEEEEPS6_NSA_18transform_iteratorINSB_9not_fun_tI7is_trueIyEEENSC_INSD_IbEEEENSA_11use_defaultESO_EENS0_5tupleIJNSA_16discard_iteratorISO_EES6_EEENSQ_IJSG_SG_EEES6_PlJS6_EEE10hipError_tPvRmT3_T4_T5_T6_T7_T9_mT8_P12ihipStream_tbDpT10_ENKUlT_T0_E_clISt17integral_constantIbLb1EES1E_IbLb0EEEEDaS1A_S1B_EUlS1A_E_NS1_11comp_targetILNS1_3genE4ELNS1_11target_archE910ELNS1_3gpuE8ELNS1_3repE0EEENS1_30default_config_static_selectorELNS0_4arch9wavefront6targetE0EEEvT1_,@function
_ZN7rocprim17ROCPRIM_400000_NS6detail17trampoline_kernelINS0_14default_configENS1_25partition_config_selectorILNS1_17partition_subalgoE5EyNS0_10empty_typeEbEEZZNS1_14partition_implILS5_5ELb0ES3_mN6thrust23THRUST_200600_302600_NS6detail15normal_iteratorINSA_10device_ptrIyEEEEPS6_NSA_18transform_iteratorINSB_9not_fun_tI7is_trueIyEEENSC_INSD_IbEEEENSA_11use_defaultESO_EENS0_5tupleIJNSA_16discard_iteratorISO_EES6_EEENSQ_IJSG_SG_EEES6_PlJS6_EEE10hipError_tPvRmT3_T4_T5_T6_T7_T9_mT8_P12ihipStream_tbDpT10_ENKUlT_T0_E_clISt17integral_constantIbLb1EES1E_IbLb0EEEEDaS1A_S1B_EUlS1A_E_NS1_11comp_targetILNS1_3genE4ELNS1_11target_archE910ELNS1_3gpuE8ELNS1_3repE0EEENS1_30default_config_static_selectorELNS0_4arch9wavefront6targetE0EEEvT1_: ; @_ZN7rocprim17ROCPRIM_400000_NS6detail17trampoline_kernelINS0_14default_configENS1_25partition_config_selectorILNS1_17partition_subalgoE5EyNS0_10empty_typeEbEEZZNS1_14partition_implILS5_5ELb0ES3_mN6thrust23THRUST_200600_302600_NS6detail15normal_iteratorINSA_10device_ptrIyEEEEPS6_NSA_18transform_iteratorINSB_9not_fun_tI7is_trueIyEEENSC_INSD_IbEEEENSA_11use_defaultESO_EENS0_5tupleIJNSA_16discard_iteratorISO_EES6_EEENSQ_IJSG_SG_EEES6_PlJS6_EEE10hipError_tPvRmT3_T4_T5_T6_T7_T9_mT8_P12ihipStream_tbDpT10_ENKUlT_T0_E_clISt17integral_constantIbLb1EES1E_IbLb0EEEEDaS1A_S1B_EUlS1A_E_NS1_11comp_targetILNS1_3genE4ELNS1_11target_archE910ELNS1_3gpuE8ELNS1_3repE0EEENS1_30default_config_static_selectorELNS0_4arch9wavefront6targetE0EEEvT1_
; %bb.0:
	.section	.rodata,"a",@progbits
	.p2align	6, 0x0
	.amdhsa_kernel _ZN7rocprim17ROCPRIM_400000_NS6detail17trampoline_kernelINS0_14default_configENS1_25partition_config_selectorILNS1_17partition_subalgoE5EyNS0_10empty_typeEbEEZZNS1_14partition_implILS5_5ELb0ES3_mN6thrust23THRUST_200600_302600_NS6detail15normal_iteratorINSA_10device_ptrIyEEEEPS6_NSA_18transform_iteratorINSB_9not_fun_tI7is_trueIyEEENSC_INSD_IbEEEENSA_11use_defaultESO_EENS0_5tupleIJNSA_16discard_iteratorISO_EES6_EEENSQ_IJSG_SG_EEES6_PlJS6_EEE10hipError_tPvRmT3_T4_T5_T6_T7_T9_mT8_P12ihipStream_tbDpT10_ENKUlT_T0_E_clISt17integral_constantIbLb1EES1E_IbLb0EEEEDaS1A_S1B_EUlS1A_E_NS1_11comp_targetILNS1_3genE4ELNS1_11target_archE910ELNS1_3gpuE8ELNS1_3repE0EEENS1_30default_config_static_selectorELNS0_4arch9wavefront6targetE0EEEvT1_
		.amdhsa_group_segment_fixed_size 0
		.amdhsa_private_segment_fixed_size 0
		.amdhsa_kernarg_size 128
		.amdhsa_user_sgpr_count 2
		.amdhsa_user_sgpr_dispatch_ptr 0
		.amdhsa_user_sgpr_queue_ptr 0
		.amdhsa_user_sgpr_kernarg_segment_ptr 1
		.amdhsa_user_sgpr_dispatch_id 0
		.amdhsa_user_sgpr_private_segment_size 0
		.amdhsa_wavefront_size32 1
		.amdhsa_uses_dynamic_stack 0
		.amdhsa_enable_private_segment 0
		.amdhsa_system_sgpr_workgroup_id_x 1
		.amdhsa_system_sgpr_workgroup_id_y 0
		.amdhsa_system_sgpr_workgroup_id_z 0
		.amdhsa_system_sgpr_workgroup_info 0
		.amdhsa_system_vgpr_workitem_id 0
		.amdhsa_next_free_vgpr 1
		.amdhsa_next_free_sgpr 1
		.amdhsa_reserve_vcc 0
		.amdhsa_float_round_mode_32 0
		.amdhsa_float_round_mode_16_64 0
		.amdhsa_float_denorm_mode_32 3
		.amdhsa_float_denorm_mode_16_64 3
		.amdhsa_fp16_overflow 0
		.amdhsa_workgroup_processor_mode 1
		.amdhsa_memory_ordered 1
		.amdhsa_forward_progress 1
		.amdhsa_inst_pref_size 0
		.amdhsa_round_robin_scheduling 0
		.amdhsa_exception_fp_ieee_invalid_op 0
		.amdhsa_exception_fp_denorm_src 0
		.amdhsa_exception_fp_ieee_div_zero 0
		.amdhsa_exception_fp_ieee_overflow 0
		.amdhsa_exception_fp_ieee_underflow 0
		.amdhsa_exception_fp_ieee_inexact 0
		.amdhsa_exception_int_div_zero 0
	.end_amdhsa_kernel
	.section	.text._ZN7rocprim17ROCPRIM_400000_NS6detail17trampoline_kernelINS0_14default_configENS1_25partition_config_selectorILNS1_17partition_subalgoE5EyNS0_10empty_typeEbEEZZNS1_14partition_implILS5_5ELb0ES3_mN6thrust23THRUST_200600_302600_NS6detail15normal_iteratorINSA_10device_ptrIyEEEEPS6_NSA_18transform_iteratorINSB_9not_fun_tI7is_trueIyEEENSC_INSD_IbEEEENSA_11use_defaultESO_EENS0_5tupleIJNSA_16discard_iteratorISO_EES6_EEENSQ_IJSG_SG_EEES6_PlJS6_EEE10hipError_tPvRmT3_T4_T5_T6_T7_T9_mT8_P12ihipStream_tbDpT10_ENKUlT_T0_E_clISt17integral_constantIbLb1EES1E_IbLb0EEEEDaS1A_S1B_EUlS1A_E_NS1_11comp_targetILNS1_3genE4ELNS1_11target_archE910ELNS1_3gpuE8ELNS1_3repE0EEENS1_30default_config_static_selectorELNS0_4arch9wavefront6targetE0EEEvT1_,"axG",@progbits,_ZN7rocprim17ROCPRIM_400000_NS6detail17trampoline_kernelINS0_14default_configENS1_25partition_config_selectorILNS1_17partition_subalgoE5EyNS0_10empty_typeEbEEZZNS1_14partition_implILS5_5ELb0ES3_mN6thrust23THRUST_200600_302600_NS6detail15normal_iteratorINSA_10device_ptrIyEEEEPS6_NSA_18transform_iteratorINSB_9not_fun_tI7is_trueIyEEENSC_INSD_IbEEEENSA_11use_defaultESO_EENS0_5tupleIJNSA_16discard_iteratorISO_EES6_EEENSQ_IJSG_SG_EEES6_PlJS6_EEE10hipError_tPvRmT3_T4_T5_T6_T7_T9_mT8_P12ihipStream_tbDpT10_ENKUlT_T0_E_clISt17integral_constantIbLb1EES1E_IbLb0EEEEDaS1A_S1B_EUlS1A_E_NS1_11comp_targetILNS1_3genE4ELNS1_11target_archE910ELNS1_3gpuE8ELNS1_3repE0EEENS1_30default_config_static_selectorELNS0_4arch9wavefront6targetE0EEEvT1_,comdat
.Lfunc_end2671:
	.size	_ZN7rocprim17ROCPRIM_400000_NS6detail17trampoline_kernelINS0_14default_configENS1_25partition_config_selectorILNS1_17partition_subalgoE5EyNS0_10empty_typeEbEEZZNS1_14partition_implILS5_5ELb0ES3_mN6thrust23THRUST_200600_302600_NS6detail15normal_iteratorINSA_10device_ptrIyEEEEPS6_NSA_18transform_iteratorINSB_9not_fun_tI7is_trueIyEEENSC_INSD_IbEEEENSA_11use_defaultESO_EENS0_5tupleIJNSA_16discard_iteratorISO_EES6_EEENSQ_IJSG_SG_EEES6_PlJS6_EEE10hipError_tPvRmT3_T4_T5_T6_T7_T9_mT8_P12ihipStream_tbDpT10_ENKUlT_T0_E_clISt17integral_constantIbLb1EES1E_IbLb0EEEEDaS1A_S1B_EUlS1A_E_NS1_11comp_targetILNS1_3genE4ELNS1_11target_archE910ELNS1_3gpuE8ELNS1_3repE0EEENS1_30default_config_static_selectorELNS0_4arch9wavefront6targetE0EEEvT1_, .Lfunc_end2671-_ZN7rocprim17ROCPRIM_400000_NS6detail17trampoline_kernelINS0_14default_configENS1_25partition_config_selectorILNS1_17partition_subalgoE5EyNS0_10empty_typeEbEEZZNS1_14partition_implILS5_5ELb0ES3_mN6thrust23THRUST_200600_302600_NS6detail15normal_iteratorINSA_10device_ptrIyEEEEPS6_NSA_18transform_iteratorINSB_9not_fun_tI7is_trueIyEEENSC_INSD_IbEEEENSA_11use_defaultESO_EENS0_5tupleIJNSA_16discard_iteratorISO_EES6_EEENSQ_IJSG_SG_EEES6_PlJS6_EEE10hipError_tPvRmT3_T4_T5_T6_T7_T9_mT8_P12ihipStream_tbDpT10_ENKUlT_T0_E_clISt17integral_constantIbLb1EES1E_IbLb0EEEEDaS1A_S1B_EUlS1A_E_NS1_11comp_targetILNS1_3genE4ELNS1_11target_archE910ELNS1_3gpuE8ELNS1_3repE0EEENS1_30default_config_static_selectorELNS0_4arch9wavefront6targetE0EEEvT1_
                                        ; -- End function
	.set _ZN7rocprim17ROCPRIM_400000_NS6detail17trampoline_kernelINS0_14default_configENS1_25partition_config_selectorILNS1_17partition_subalgoE5EyNS0_10empty_typeEbEEZZNS1_14partition_implILS5_5ELb0ES3_mN6thrust23THRUST_200600_302600_NS6detail15normal_iteratorINSA_10device_ptrIyEEEEPS6_NSA_18transform_iteratorINSB_9not_fun_tI7is_trueIyEEENSC_INSD_IbEEEENSA_11use_defaultESO_EENS0_5tupleIJNSA_16discard_iteratorISO_EES6_EEENSQ_IJSG_SG_EEES6_PlJS6_EEE10hipError_tPvRmT3_T4_T5_T6_T7_T9_mT8_P12ihipStream_tbDpT10_ENKUlT_T0_E_clISt17integral_constantIbLb1EES1E_IbLb0EEEEDaS1A_S1B_EUlS1A_E_NS1_11comp_targetILNS1_3genE4ELNS1_11target_archE910ELNS1_3gpuE8ELNS1_3repE0EEENS1_30default_config_static_selectorELNS0_4arch9wavefront6targetE0EEEvT1_.num_vgpr, 0
	.set _ZN7rocprim17ROCPRIM_400000_NS6detail17trampoline_kernelINS0_14default_configENS1_25partition_config_selectorILNS1_17partition_subalgoE5EyNS0_10empty_typeEbEEZZNS1_14partition_implILS5_5ELb0ES3_mN6thrust23THRUST_200600_302600_NS6detail15normal_iteratorINSA_10device_ptrIyEEEEPS6_NSA_18transform_iteratorINSB_9not_fun_tI7is_trueIyEEENSC_INSD_IbEEEENSA_11use_defaultESO_EENS0_5tupleIJNSA_16discard_iteratorISO_EES6_EEENSQ_IJSG_SG_EEES6_PlJS6_EEE10hipError_tPvRmT3_T4_T5_T6_T7_T9_mT8_P12ihipStream_tbDpT10_ENKUlT_T0_E_clISt17integral_constantIbLb1EES1E_IbLb0EEEEDaS1A_S1B_EUlS1A_E_NS1_11comp_targetILNS1_3genE4ELNS1_11target_archE910ELNS1_3gpuE8ELNS1_3repE0EEENS1_30default_config_static_selectorELNS0_4arch9wavefront6targetE0EEEvT1_.num_agpr, 0
	.set _ZN7rocprim17ROCPRIM_400000_NS6detail17trampoline_kernelINS0_14default_configENS1_25partition_config_selectorILNS1_17partition_subalgoE5EyNS0_10empty_typeEbEEZZNS1_14partition_implILS5_5ELb0ES3_mN6thrust23THRUST_200600_302600_NS6detail15normal_iteratorINSA_10device_ptrIyEEEEPS6_NSA_18transform_iteratorINSB_9not_fun_tI7is_trueIyEEENSC_INSD_IbEEEENSA_11use_defaultESO_EENS0_5tupleIJNSA_16discard_iteratorISO_EES6_EEENSQ_IJSG_SG_EEES6_PlJS6_EEE10hipError_tPvRmT3_T4_T5_T6_T7_T9_mT8_P12ihipStream_tbDpT10_ENKUlT_T0_E_clISt17integral_constantIbLb1EES1E_IbLb0EEEEDaS1A_S1B_EUlS1A_E_NS1_11comp_targetILNS1_3genE4ELNS1_11target_archE910ELNS1_3gpuE8ELNS1_3repE0EEENS1_30default_config_static_selectorELNS0_4arch9wavefront6targetE0EEEvT1_.numbered_sgpr, 0
	.set _ZN7rocprim17ROCPRIM_400000_NS6detail17trampoline_kernelINS0_14default_configENS1_25partition_config_selectorILNS1_17partition_subalgoE5EyNS0_10empty_typeEbEEZZNS1_14partition_implILS5_5ELb0ES3_mN6thrust23THRUST_200600_302600_NS6detail15normal_iteratorINSA_10device_ptrIyEEEEPS6_NSA_18transform_iteratorINSB_9not_fun_tI7is_trueIyEEENSC_INSD_IbEEEENSA_11use_defaultESO_EENS0_5tupleIJNSA_16discard_iteratorISO_EES6_EEENSQ_IJSG_SG_EEES6_PlJS6_EEE10hipError_tPvRmT3_T4_T5_T6_T7_T9_mT8_P12ihipStream_tbDpT10_ENKUlT_T0_E_clISt17integral_constantIbLb1EES1E_IbLb0EEEEDaS1A_S1B_EUlS1A_E_NS1_11comp_targetILNS1_3genE4ELNS1_11target_archE910ELNS1_3gpuE8ELNS1_3repE0EEENS1_30default_config_static_selectorELNS0_4arch9wavefront6targetE0EEEvT1_.num_named_barrier, 0
	.set _ZN7rocprim17ROCPRIM_400000_NS6detail17trampoline_kernelINS0_14default_configENS1_25partition_config_selectorILNS1_17partition_subalgoE5EyNS0_10empty_typeEbEEZZNS1_14partition_implILS5_5ELb0ES3_mN6thrust23THRUST_200600_302600_NS6detail15normal_iteratorINSA_10device_ptrIyEEEEPS6_NSA_18transform_iteratorINSB_9not_fun_tI7is_trueIyEEENSC_INSD_IbEEEENSA_11use_defaultESO_EENS0_5tupleIJNSA_16discard_iteratorISO_EES6_EEENSQ_IJSG_SG_EEES6_PlJS6_EEE10hipError_tPvRmT3_T4_T5_T6_T7_T9_mT8_P12ihipStream_tbDpT10_ENKUlT_T0_E_clISt17integral_constantIbLb1EES1E_IbLb0EEEEDaS1A_S1B_EUlS1A_E_NS1_11comp_targetILNS1_3genE4ELNS1_11target_archE910ELNS1_3gpuE8ELNS1_3repE0EEENS1_30default_config_static_selectorELNS0_4arch9wavefront6targetE0EEEvT1_.private_seg_size, 0
	.set _ZN7rocprim17ROCPRIM_400000_NS6detail17trampoline_kernelINS0_14default_configENS1_25partition_config_selectorILNS1_17partition_subalgoE5EyNS0_10empty_typeEbEEZZNS1_14partition_implILS5_5ELb0ES3_mN6thrust23THRUST_200600_302600_NS6detail15normal_iteratorINSA_10device_ptrIyEEEEPS6_NSA_18transform_iteratorINSB_9not_fun_tI7is_trueIyEEENSC_INSD_IbEEEENSA_11use_defaultESO_EENS0_5tupleIJNSA_16discard_iteratorISO_EES6_EEENSQ_IJSG_SG_EEES6_PlJS6_EEE10hipError_tPvRmT3_T4_T5_T6_T7_T9_mT8_P12ihipStream_tbDpT10_ENKUlT_T0_E_clISt17integral_constantIbLb1EES1E_IbLb0EEEEDaS1A_S1B_EUlS1A_E_NS1_11comp_targetILNS1_3genE4ELNS1_11target_archE910ELNS1_3gpuE8ELNS1_3repE0EEENS1_30default_config_static_selectorELNS0_4arch9wavefront6targetE0EEEvT1_.uses_vcc, 0
	.set _ZN7rocprim17ROCPRIM_400000_NS6detail17trampoline_kernelINS0_14default_configENS1_25partition_config_selectorILNS1_17partition_subalgoE5EyNS0_10empty_typeEbEEZZNS1_14partition_implILS5_5ELb0ES3_mN6thrust23THRUST_200600_302600_NS6detail15normal_iteratorINSA_10device_ptrIyEEEEPS6_NSA_18transform_iteratorINSB_9not_fun_tI7is_trueIyEEENSC_INSD_IbEEEENSA_11use_defaultESO_EENS0_5tupleIJNSA_16discard_iteratorISO_EES6_EEENSQ_IJSG_SG_EEES6_PlJS6_EEE10hipError_tPvRmT3_T4_T5_T6_T7_T9_mT8_P12ihipStream_tbDpT10_ENKUlT_T0_E_clISt17integral_constantIbLb1EES1E_IbLb0EEEEDaS1A_S1B_EUlS1A_E_NS1_11comp_targetILNS1_3genE4ELNS1_11target_archE910ELNS1_3gpuE8ELNS1_3repE0EEENS1_30default_config_static_selectorELNS0_4arch9wavefront6targetE0EEEvT1_.uses_flat_scratch, 0
	.set _ZN7rocprim17ROCPRIM_400000_NS6detail17trampoline_kernelINS0_14default_configENS1_25partition_config_selectorILNS1_17partition_subalgoE5EyNS0_10empty_typeEbEEZZNS1_14partition_implILS5_5ELb0ES3_mN6thrust23THRUST_200600_302600_NS6detail15normal_iteratorINSA_10device_ptrIyEEEEPS6_NSA_18transform_iteratorINSB_9not_fun_tI7is_trueIyEEENSC_INSD_IbEEEENSA_11use_defaultESO_EENS0_5tupleIJNSA_16discard_iteratorISO_EES6_EEENSQ_IJSG_SG_EEES6_PlJS6_EEE10hipError_tPvRmT3_T4_T5_T6_T7_T9_mT8_P12ihipStream_tbDpT10_ENKUlT_T0_E_clISt17integral_constantIbLb1EES1E_IbLb0EEEEDaS1A_S1B_EUlS1A_E_NS1_11comp_targetILNS1_3genE4ELNS1_11target_archE910ELNS1_3gpuE8ELNS1_3repE0EEENS1_30default_config_static_selectorELNS0_4arch9wavefront6targetE0EEEvT1_.has_dyn_sized_stack, 0
	.set _ZN7rocprim17ROCPRIM_400000_NS6detail17trampoline_kernelINS0_14default_configENS1_25partition_config_selectorILNS1_17partition_subalgoE5EyNS0_10empty_typeEbEEZZNS1_14partition_implILS5_5ELb0ES3_mN6thrust23THRUST_200600_302600_NS6detail15normal_iteratorINSA_10device_ptrIyEEEEPS6_NSA_18transform_iteratorINSB_9not_fun_tI7is_trueIyEEENSC_INSD_IbEEEENSA_11use_defaultESO_EENS0_5tupleIJNSA_16discard_iteratorISO_EES6_EEENSQ_IJSG_SG_EEES6_PlJS6_EEE10hipError_tPvRmT3_T4_T5_T6_T7_T9_mT8_P12ihipStream_tbDpT10_ENKUlT_T0_E_clISt17integral_constantIbLb1EES1E_IbLb0EEEEDaS1A_S1B_EUlS1A_E_NS1_11comp_targetILNS1_3genE4ELNS1_11target_archE910ELNS1_3gpuE8ELNS1_3repE0EEENS1_30default_config_static_selectorELNS0_4arch9wavefront6targetE0EEEvT1_.has_recursion, 0
	.set _ZN7rocprim17ROCPRIM_400000_NS6detail17trampoline_kernelINS0_14default_configENS1_25partition_config_selectorILNS1_17partition_subalgoE5EyNS0_10empty_typeEbEEZZNS1_14partition_implILS5_5ELb0ES3_mN6thrust23THRUST_200600_302600_NS6detail15normal_iteratorINSA_10device_ptrIyEEEEPS6_NSA_18transform_iteratorINSB_9not_fun_tI7is_trueIyEEENSC_INSD_IbEEEENSA_11use_defaultESO_EENS0_5tupleIJNSA_16discard_iteratorISO_EES6_EEENSQ_IJSG_SG_EEES6_PlJS6_EEE10hipError_tPvRmT3_T4_T5_T6_T7_T9_mT8_P12ihipStream_tbDpT10_ENKUlT_T0_E_clISt17integral_constantIbLb1EES1E_IbLb0EEEEDaS1A_S1B_EUlS1A_E_NS1_11comp_targetILNS1_3genE4ELNS1_11target_archE910ELNS1_3gpuE8ELNS1_3repE0EEENS1_30default_config_static_selectorELNS0_4arch9wavefront6targetE0EEEvT1_.has_indirect_call, 0
	.section	.AMDGPU.csdata,"",@progbits
; Kernel info:
; codeLenInByte = 0
; TotalNumSgprs: 0
; NumVgprs: 0
; ScratchSize: 0
; MemoryBound: 0
; FloatMode: 240
; IeeeMode: 1
; LDSByteSize: 0 bytes/workgroup (compile time only)
; SGPRBlocks: 0
; VGPRBlocks: 0
; NumSGPRsForWavesPerEU: 1
; NumVGPRsForWavesPerEU: 1
; Occupancy: 16
; WaveLimiterHint : 0
; COMPUTE_PGM_RSRC2:SCRATCH_EN: 0
; COMPUTE_PGM_RSRC2:USER_SGPR: 2
; COMPUTE_PGM_RSRC2:TRAP_HANDLER: 0
; COMPUTE_PGM_RSRC2:TGID_X_EN: 1
; COMPUTE_PGM_RSRC2:TGID_Y_EN: 0
; COMPUTE_PGM_RSRC2:TGID_Z_EN: 0
; COMPUTE_PGM_RSRC2:TIDIG_COMP_CNT: 0
	.section	.text._ZN7rocprim17ROCPRIM_400000_NS6detail17trampoline_kernelINS0_14default_configENS1_25partition_config_selectorILNS1_17partition_subalgoE5EyNS0_10empty_typeEbEEZZNS1_14partition_implILS5_5ELb0ES3_mN6thrust23THRUST_200600_302600_NS6detail15normal_iteratorINSA_10device_ptrIyEEEEPS6_NSA_18transform_iteratorINSB_9not_fun_tI7is_trueIyEEENSC_INSD_IbEEEENSA_11use_defaultESO_EENS0_5tupleIJNSA_16discard_iteratorISO_EES6_EEENSQ_IJSG_SG_EEES6_PlJS6_EEE10hipError_tPvRmT3_T4_T5_T6_T7_T9_mT8_P12ihipStream_tbDpT10_ENKUlT_T0_E_clISt17integral_constantIbLb1EES1E_IbLb0EEEEDaS1A_S1B_EUlS1A_E_NS1_11comp_targetILNS1_3genE3ELNS1_11target_archE908ELNS1_3gpuE7ELNS1_3repE0EEENS1_30default_config_static_selectorELNS0_4arch9wavefront6targetE0EEEvT1_,"axG",@progbits,_ZN7rocprim17ROCPRIM_400000_NS6detail17trampoline_kernelINS0_14default_configENS1_25partition_config_selectorILNS1_17partition_subalgoE5EyNS0_10empty_typeEbEEZZNS1_14partition_implILS5_5ELb0ES3_mN6thrust23THRUST_200600_302600_NS6detail15normal_iteratorINSA_10device_ptrIyEEEEPS6_NSA_18transform_iteratorINSB_9not_fun_tI7is_trueIyEEENSC_INSD_IbEEEENSA_11use_defaultESO_EENS0_5tupleIJNSA_16discard_iteratorISO_EES6_EEENSQ_IJSG_SG_EEES6_PlJS6_EEE10hipError_tPvRmT3_T4_T5_T6_T7_T9_mT8_P12ihipStream_tbDpT10_ENKUlT_T0_E_clISt17integral_constantIbLb1EES1E_IbLb0EEEEDaS1A_S1B_EUlS1A_E_NS1_11comp_targetILNS1_3genE3ELNS1_11target_archE908ELNS1_3gpuE7ELNS1_3repE0EEENS1_30default_config_static_selectorELNS0_4arch9wavefront6targetE0EEEvT1_,comdat
	.protected	_ZN7rocprim17ROCPRIM_400000_NS6detail17trampoline_kernelINS0_14default_configENS1_25partition_config_selectorILNS1_17partition_subalgoE5EyNS0_10empty_typeEbEEZZNS1_14partition_implILS5_5ELb0ES3_mN6thrust23THRUST_200600_302600_NS6detail15normal_iteratorINSA_10device_ptrIyEEEEPS6_NSA_18transform_iteratorINSB_9not_fun_tI7is_trueIyEEENSC_INSD_IbEEEENSA_11use_defaultESO_EENS0_5tupleIJNSA_16discard_iteratorISO_EES6_EEENSQ_IJSG_SG_EEES6_PlJS6_EEE10hipError_tPvRmT3_T4_T5_T6_T7_T9_mT8_P12ihipStream_tbDpT10_ENKUlT_T0_E_clISt17integral_constantIbLb1EES1E_IbLb0EEEEDaS1A_S1B_EUlS1A_E_NS1_11comp_targetILNS1_3genE3ELNS1_11target_archE908ELNS1_3gpuE7ELNS1_3repE0EEENS1_30default_config_static_selectorELNS0_4arch9wavefront6targetE0EEEvT1_ ; -- Begin function _ZN7rocprim17ROCPRIM_400000_NS6detail17trampoline_kernelINS0_14default_configENS1_25partition_config_selectorILNS1_17partition_subalgoE5EyNS0_10empty_typeEbEEZZNS1_14partition_implILS5_5ELb0ES3_mN6thrust23THRUST_200600_302600_NS6detail15normal_iteratorINSA_10device_ptrIyEEEEPS6_NSA_18transform_iteratorINSB_9not_fun_tI7is_trueIyEEENSC_INSD_IbEEEENSA_11use_defaultESO_EENS0_5tupleIJNSA_16discard_iteratorISO_EES6_EEENSQ_IJSG_SG_EEES6_PlJS6_EEE10hipError_tPvRmT3_T4_T5_T6_T7_T9_mT8_P12ihipStream_tbDpT10_ENKUlT_T0_E_clISt17integral_constantIbLb1EES1E_IbLb0EEEEDaS1A_S1B_EUlS1A_E_NS1_11comp_targetILNS1_3genE3ELNS1_11target_archE908ELNS1_3gpuE7ELNS1_3repE0EEENS1_30default_config_static_selectorELNS0_4arch9wavefront6targetE0EEEvT1_
	.globl	_ZN7rocprim17ROCPRIM_400000_NS6detail17trampoline_kernelINS0_14default_configENS1_25partition_config_selectorILNS1_17partition_subalgoE5EyNS0_10empty_typeEbEEZZNS1_14partition_implILS5_5ELb0ES3_mN6thrust23THRUST_200600_302600_NS6detail15normal_iteratorINSA_10device_ptrIyEEEEPS6_NSA_18transform_iteratorINSB_9not_fun_tI7is_trueIyEEENSC_INSD_IbEEEENSA_11use_defaultESO_EENS0_5tupleIJNSA_16discard_iteratorISO_EES6_EEENSQ_IJSG_SG_EEES6_PlJS6_EEE10hipError_tPvRmT3_T4_T5_T6_T7_T9_mT8_P12ihipStream_tbDpT10_ENKUlT_T0_E_clISt17integral_constantIbLb1EES1E_IbLb0EEEEDaS1A_S1B_EUlS1A_E_NS1_11comp_targetILNS1_3genE3ELNS1_11target_archE908ELNS1_3gpuE7ELNS1_3repE0EEENS1_30default_config_static_selectorELNS0_4arch9wavefront6targetE0EEEvT1_
	.p2align	8
	.type	_ZN7rocprim17ROCPRIM_400000_NS6detail17trampoline_kernelINS0_14default_configENS1_25partition_config_selectorILNS1_17partition_subalgoE5EyNS0_10empty_typeEbEEZZNS1_14partition_implILS5_5ELb0ES3_mN6thrust23THRUST_200600_302600_NS6detail15normal_iteratorINSA_10device_ptrIyEEEEPS6_NSA_18transform_iteratorINSB_9not_fun_tI7is_trueIyEEENSC_INSD_IbEEEENSA_11use_defaultESO_EENS0_5tupleIJNSA_16discard_iteratorISO_EES6_EEENSQ_IJSG_SG_EEES6_PlJS6_EEE10hipError_tPvRmT3_T4_T5_T6_T7_T9_mT8_P12ihipStream_tbDpT10_ENKUlT_T0_E_clISt17integral_constantIbLb1EES1E_IbLb0EEEEDaS1A_S1B_EUlS1A_E_NS1_11comp_targetILNS1_3genE3ELNS1_11target_archE908ELNS1_3gpuE7ELNS1_3repE0EEENS1_30default_config_static_selectorELNS0_4arch9wavefront6targetE0EEEvT1_,@function
_ZN7rocprim17ROCPRIM_400000_NS6detail17trampoline_kernelINS0_14default_configENS1_25partition_config_selectorILNS1_17partition_subalgoE5EyNS0_10empty_typeEbEEZZNS1_14partition_implILS5_5ELb0ES3_mN6thrust23THRUST_200600_302600_NS6detail15normal_iteratorINSA_10device_ptrIyEEEEPS6_NSA_18transform_iteratorINSB_9not_fun_tI7is_trueIyEEENSC_INSD_IbEEEENSA_11use_defaultESO_EENS0_5tupleIJNSA_16discard_iteratorISO_EES6_EEENSQ_IJSG_SG_EEES6_PlJS6_EEE10hipError_tPvRmT3_T4_T5_T6_T7_T9_mT8_P12ihipStream_tbDpT10_ENKUlT_T0_E_clISt17integral_constantIbLb1EES1E_IbLb0EEEEDaS1A_S1B_EUlS1A_E_NS1_11comp_targetILNS1_3genE3ELNS1_11target_archE908ELNS1_3gpuE7ELNS1_3repE0EEENS1_30default_config_static_selectorELNS0_4arch9wavefront6targetE0EEEvT1_: ; @_ZN7rocprim17ROCPRIM_400000_NS6detail17trampoline_kernelINS0_14default_configENS1_25partition_config_selectorILNS1_17partition_subalgoE5EyNS0_10empty_typeEbEEZZNS1_14partition_implILS5_5ELb0ES3_mN6thrust23THRUST_200600_302600_NS6detail15normal_iteratorINSA_10device_ptrIyEEEEPS6_NSA_18transform_iteratorINSB_9not_fun_tI7is_trueIyEEENSC_INSD_IbEEEENSA_11use_defaultESO_EENS0_5tupleIJNSA_16discard_iteratorISO_EES6_EEENSQ_IJSG_SG_EEES6_PlJS6_EEE10hipError_tPvRmT3_T4_T5_T6_T7_T9_mT8_P12ihipStream_tbDpT10_ENKUlT_T0_E_clISt17integral_constantIbLb1EES1E_IbLb0EEEEDaS1A_S1B_EUlS1A_E_NS1_11comp_targetILNS1_3genE3ELNS1_11target_archE908ELNS1_3gpuE7ELNS1_3repE0EEENS1_30default_config_static_selectorELNS0_4arch9wavefront6targetE0EEEvT1_
; %bb.0:
	.section	.rodata,"a",@progbits
	.p2align	6, 0x0
	.amdhsa_kernel _ZN7rocprim17ROCPRIM_400000_NS6detail17trampoline_kernelINS0_14default_configENS1_25partition_config_selectorILNS1_17partition_subalgoE5EyNS0_10empty_typeEbEEZZNS1_14partition_implILS5_5ELb0ES3_mN6thrust23THRUST_200600_302600_NS6detail15normal_iteratorINSA_10device_ptrIyEEEEPS6_NSA_18transform_iteratorINSB_9not_fun_tI7is_trueIyEEENSC_INSD_IbEEEENSA_11use_defaultESO_EENS0_5tupleIJNSA_16discard_iteratorISO_EES6_EEENSQ_IJSG_SG_EEES6_PlJS6_EEE10hipError_tPvRmT3_T4_T5_T6_T7_T9_mT8_P12ihipStream_tbDpT10_ENKUlT_T0_E_clISt17integral_constantIbLb1EES1E_IbLb0EEEEDaS1A_S1B_EUlS1A_E_NS1_11comp_targetILNS1_3genE3ELNS1_11target_archE908ELNS1_3gpuE7ELNS1_3repE0EEENS1_30default_config_static_selectorELNS0_4arch9wavefront6targetE0EEEvT1_
		.amdhsa_group_segment_fixed_size 0
		.amdhsa_private_segment_fixed_size 0
		.amdhsa_kernarg_size 128
		.amdhsa_user_sgpr_count 2
		.amdhsa_user_sgpr_dispatch_ptr 0
		.amdhsa_user_sgpr_queue_ptr 0
		.amdhsa_user_sgpr_kernarg_segment_ptr 1
		.amdhsa_user_sgpr_dispatch_id 0
		.amdhsa_user_sgpr_private_segment_size 0
		.amdhsa_wavefront_size32 1
		.amdhsa_uses_dynamic_stack 0
		.amdhsa_enable_private_segment 0
		.amdhsa_system_sgpr_workgroup_id_x 1
		.amdhsa_system_sgpr_workgroup_id_y 0
		.amdhsa_system_sgpr_workgroup_id_z 0
		.amdhsa_system_sgpr_workgroup_info 0
		.amdhsa_system_vgpr_workitem_id 0
		.amdhsa_next_free_vgpr 1
		.amdhsa_next_free_sgpr 1
		.amdhsa_reserve_vcc 0
		.amdhsa_float_round_mode_32 0
		.amdhsa_float_round_mode_16_64 0
		.amdhsa_float_denorm_mode_32 3
		.amdhsa_float_denorm_mode_16_64 3
		.amdhsa_fp16_overflow 0
		.amdhsa_workgroup_processor_mode 1
		.amdhsa_memory_ordered 1
		.amdhsa_forward_progress 1
		.amdhsa_inst_pref_size 0
		.amdhsa_round_robin_scheduling 0
		.amdhsa_exception_fp_ieee_invalid_op 0
		.amdhsa_exception_fp_denorm_src 0
		.amdhsa_exception_fp_ieee_div_zero 0
		.amdhsa_exception_fp_ieee_overflow 0
		.amdhsa_exception_fp_ieee_underflow 0
		.amdhsa_exception_fp_ieee_inexact 0
		.amdhsa_exception_int_div_zero 0
	.end_amdhsa_kernel
	.section	.text._ZN7rocprim17ROCPRIM_400000_NS6detail17trampoline_kernelINS0_14default_configENS1_25partition_config_selectorILNS1_17partition_subalgoE5EyNS0_10empty_typeEbEEZZNS1_14partition_implILS5_5ELb0ES3_mN6thrust23THRUST_200600_302600_NS6detail15normal_iteratorINSA_10device_ptrIyEEEEPS6_NSA_18transform_iteratorINSB_9not_fun_tI7is_trueIyEEENSC_INSD_IbEEEENSA_11use_defaultESO_EENS0_5tupleIJNSA_16discard_iteratorISO_EES6_EEENSQ_IJSG_SG_EEES6_PlJS6_EEE10hipError_tPvRmT3_T4_T5_T6_T7_T9_mT8_P12ihipStream_tbDpT10_ENKUlT_T0_E_clISt17integral_constantIbLb1EES1E_IbLb0EEEEDaS1A_S1B_EUlS1A_E_NS1_11comp_targetILNS1_3genE3ELNS1_11target_archE908ELNS1_3gpuE7ELNS1_3repE0EEENS1_30default_config_static_selectorELNS0_4arch9wavefront6targetE0EEEvT1_,"axG",@progbits,_ZN7rocprim17ROCPRIM_400000_NS6detail17trampoline_kernelINS0_14default_configENS1_25partition_config_selectorILNS1_17partition_subalgoE5EyNS0_10empty_typeEbEEZZNS1_14partition_implILS5_5ELb0ES3_mN6thrust23THRUST_200600_302600_NS6detail15normal_iteratorINSA_10device_ptrIyEEEEPS6_NSA_18transform_iteratorINSB_9not_fun_tI7is_trueIyEEENSC_INSD_IbEEEENSA_11use_defaultESO_EENS0_5tupleIJNSA_16discard_iteratorISO_EES6_EEENSQ_IJSG_SG_EEES6_PlJS6_EEE10hipError_tPvRmT3_T4_T5_T6_T7_T9_mT8_P12ihipStream_tbDpT10_ENKUlT_T0_E_clISt17integral_constantIbLb1EES1E_IbLb0EEEEDaS1A_S1B_EUlS1A_E_NS1_11comp_targetILNS1_3genE3ELNS1_11target_archE908ELNS1_3gpuE7ELNS1_3repE0EEENS1_30default_config_static_selectorELNS0_4arch9wavefront6targetE0EEEvT1_,comdat
.Lfunc_end2672:
	.size	_ZN7rocprim17ROCPRIM_400000_NS6detail17trampoline_kernelINS0_14default_configENS1_25partition_config_selectorILNS1_17partition_subalgoE5EyNS0_10empty_typeEbEEZZNS1_14partition_implILS5_5ELb0ES3_mN6thrust23THRUST_200600_302600_NS6detail15normal_iteratorINSA_10device_ptrIyEEEEPS6_NSA_18transform_iteratorINSB_9not_fun_tI7is_trueIyEEENSC_INSD_IbEEEENSA_11use_defaultESO_EENS0_5tupleIJNSA_16discard_iteratorISO_EES6_EEENSQ_IJSG_SG_EEES6_PlJS6_EEE10hipError_tPvRmT3_T4_T5_T6_T7_T9_mT8_P12ihipStream_tbDpT10_ENKUlT_T0_E_clISt17integral_constantIbLb1EES1E_IbLb0EEEEDaS1A_S1B_EUlS1A_E_NS1_11comp_targetILNS1_3genE3ELNS1_11target_archE908ELNS1_3gpuE7ELNS1_3repE0EEENS1_30default_config_static_selectorELNS0_4arch9wavefront6targetE0EEEvT1_, .Lfunc_end2672-_ZN7rocprim17ROCPRIM_400000_NS6detail17trampoline_kernelINS0_14default_configENS1_25partition_config_selectorILNS1_17partition_subalgoE5EyNS0_10empty_typeEbEEZZNS1_14partition_implILS5_5ELb0ES3_mN6thrust23THRUST_200600_302600_NS6detail15normal_iteratorINSA_10device_ptrIyEEEEPS6_NSA_18transform_iteratorINSB_9not_fun_tI7is_trueIyEEENSC_INSD_IbEEEENSA_11use_defaultESO_EENS0_5tupleIJNSA_16discard_iteratorISO_EES6_EEENSQ_IJSG_SG_EEES6_PlJS6_EEE10hipError_tPvRmT3_T4_T5_T6_T7_T9_mT8_P12ihipStream_tbDpT10_ENKUlT_T0_E_clISt17integral_constantIbLb1EES1E_IbLb0EEEEDaS1A_S1B_EUlS1A_E_NS1_11comp_targetILNS1_3genE3ELNS1_11target_archE908ELNS1_3gpuE7ELNS1_3repE0EEENS1_30default_config_static_selectorELNS0_4arch9wavefront6targetE0EEEvT1_
                                        ; -- End function
	.set _ZN7rocprim17ROCPRIM_400000_NS6detail17trampoline_kernelINS0_14default_configENS1_25partition_config_selectorILNS1_17partition_subalgoE5EyNS0_10empty_typeEbEEZZNS1_14partition_implILS5_5ELb0ES3_mN6thrust23THRUST_200600_302600_NS6detail15normal_iteratorINSA_10device_ptrIyEEEEPS6_NSA_18transform_iteratorINSB_9not_fun_tI7is_trueIyEEENSC_INSD_IbEEEENSA_11use_defaultESO_EENS0_5tupleIJNSA_16discard_iteratorISO_EES6_EEENSQ_IJSG_SG_EEES6_PlJS6_EEE10hipError_tPvRmT3_T4_T5_T6_T7_T9_mT8_P12ihipStream_tbDpT10_ENKUlT_T0_E_clISt17integral_constantIbLb1EES1E_IbLb0EEEEDaS1A_S1B_EUlS1A_E_NS1_11comp_targetILNS1_3genE3ELNS1_11target_archE908ELNS1_3gpuE7ELNS1_3repE0EEENS1_30default_config_static_selectorELNS0_4arch9wavefront6targetE0EEEvT1_.num_vgpr, 0
	.set _ZN7rocprim17ROCPRIM_400000_NS6detail17trampoline_kernelINS0_14default_configENS1_25partition_config_selectorILNS1_17partition_subalgoE5EyNS0_10empty_typeEbEEZZNS1_14partition_implILS5_5ELb0ES3_mN6thrust23THRUST_200600_302600_NS6detail15normal_iteratorINSA_10device_ptrIyEEEEPS6_NSA_18transform_iteratorINSB_9not_fun_tI7is_trueIyEEENSC_INSD_IbEEEENSA_11use_defaultESO_EENS0_5tupleIJNSA_16discard_iteratorISO_EES6_EEENSQ_IJSG_SG_EEES6_PlJS6_EEE10hipError_tPvRmT3_T4_T5_T6_T7_T9_mT8_P12ihipStream_tbDpT10_ENKUlT_T0_E_clISt17integral_constantIbLb1EES1E_IbLb0EEEEDaS1A_S1B_EUlS1A_E_NS1_11comp_targetILNS1_3genE3ELNS1_11target_archE908ELNS1_3gpuE7ELNS1_3repE0EEENS1_30default_config_static_selectorELNS0_4arch9wavefront6targetE0EEEvT1_.num_agpr, 0
	.set _ZN7rocprim17ROCPRIM_400000_NS6detail17trampoline_kernelINS0_14default_configENS1_25partition_config_selectorILNS1_17partition_subalgoE5EyNS0_10empty_typeEbEEZZNS1_14partition_implILS5_5ELb0ES3_mN6thrust23THRUST_200600_302600_NS6detail15normal_iteratorINSA_10device_ptrIyEEEEPS6_NSA_18transform_iteratorINSB_9not_fun_tI7is_trueIyEEENSC_INSD_IbEEEENSA_11use_defaultESO_EENS0_5tupleIJNSA_16discard_iteratorISO_EES6_EEENSQ_IJSG_SG_EEES6_PlJS6_EEE10hipError_tPvRmT3_T4_T5_T6_T7_T9_mT8_P12ihipStream_tbDpT10_ENKUlT_T0_E_clISt17integral_constantIbLb1EES1E_IbLb0EEEEDaS1A_S1B_EUlS1A_E_NS1_11comp_targetILNS1_3genE3ELNS1_11target_archE908ELNS1_3gpuE7ELNS1_3repE0EEENS1_30default_config_static_selectorELNS0_4arch9wavefront6targetE0EEEvT1_.numbered_sgpr, 0
	.set _ZN7rocprim17ROCPRIM_400000_NS6detail17trampoline_kernelINS0_14default_configENS1_25partition_config_selectorILNS1_17partition_subalgoE5EyNS0_10empty_typeEbEEZZNS1_14partition_implILS5_5ELb0ES3_mN6thrust23THRUST_200600_302600_NS6detail15normal_iteratorINSA_10device_ptrIyEEEEPS6_NSA_18transform_iteratorINSB_9not_fun_tI7is_trueIyEEENSC_INSD_IbEEEENSA_11use_defaultESO_EENS0_5tupleIJNSA_16discard_iteratorISO_EES6_EEENSQ_IJSG_SG_EEES6_PlJS6_EEE10hipError_tPvRmT3_T4_T5_T6_T7_T9_mT8_P12ihipStream_tbDpT10_ENKUlT_T0_E_clISt17integral_constantIbLb1EES1E_IbLb0EEEEDaS1A_S1B_EUlS1A_E_NS1_11comp_targetILNS1_3genE3ELNS1_11target_archE908ELNS1_3gpuE7ELNS1_3repE0EEENS1_30default_config_static_selectorELNS0_4arch9wavefront6targetE0EEEvT1_.num_named_barrier, 0
	.set _ZN7rocprim17ROCPRIM_400000_NS6detail17trampoline_kernelINS0_14default_configENS1_25partition_config_selectorILNS1_17partition_subalgoE5EyNS0_10empty_typeEbEEZZNS1_14partition_implILS5_5ELb0ES3_mN6thrust23THRUST_200600_302600_NS6detail15normal_iteratorINSA_10device_ptrIyEEEEPS6_NSA_18transform_iteratorINSB_9not_fun_tI7is_trueIyEEENSC_INSD_IbEEEENSA_11use_defaultESO_EENS0_5tupleIJNSA_16discard_iteratorISO_EES6_EEENSQ_IJSG_SG_EEES6_PlJS6_EEE10hipError_tPvRmT3_T4_T5_T6_T7_T9_mT8_P12ihipStream_tbDpT10_ENKUlT_T0_E_clISt17integral_constantIbLb1EES1E_IbLb0EEEEDaS1A_S1B_EUlS1A_E_NS1_11comp_targetILNS1_3genE3ELNS1_11target_archE908ELNS1_3gpuE7ELNS1_3repE0EEENS1_30default_config_static_selectorELNS0_4arch9wavefront6targetE0EEEvT1_.private_seg_size, 0
	.set _ZN7rocprim17ROCPRIM_400000_NS6detail17trampoline_kernelINS0_14default_configENS1_25partition_config_selectorILNS1_17partition_subalgoE5EyNS0_10empty_typeEbEEZZNS1_14partition_implILS5_5ELb0ES3_mN6thrust23THRUST_200600_302600_NS6detail15normal_iteratorINSA_10device_ptrIyEEEEPS6_NSA_18transform_iteratorINSB_9not_fun_tI7is_trueIyEEENSC_INSD_IbEEEENSA_11use_defaultESO_EENS0_5tupleIJNSA_16discard_iteratorISO_EES6_EEENSQ_IJSG_SG_EEES6_PlJS6_EEE10hipError_tPvRmT3_T4_T5_T6_T7_T9_mT8_P12ihipStream_tbDpT10_ENKUlT_T0_E_clISt17integral_constantIbLb1EES1E_IbLb0EEEEDaS1A_S1B_EUlS1A_E_NS1_11comp_targetILNS1_3genE3ELNS1_11target_archE908ELNS1_3gpuE7ELNS1_3repE0EEENS1_30default_config_static_selectorELNS0_4arch9wavefront6targetE0EEEvT1_.uses_vcc, 0
	.set _ZN7rocprim17ROCPRIM_400000_NS6detail17trampoline_kernelINS0_14default_configENS1_25partition_config_selectorILNS1_17partition_subalgoE5EyNS0_10empty_typeEbEEZZNS1_14partition_implILS5_5ELb0ES3_mN6thrust23THRUST_200600_302600_NS6detail15normal_iteratorINSA_10device_ptrIyEEEEPS6_NSA_18transform_iteratorINSB_9not_fun_tI7is_trueIyEEENSC_INSD_IbEEEENSA_11use_defaultESO_EENS0_5tupleIJNSA_16discard_iteratorISO_EES6_EEENSQ_IJSG_SG_EEES6_PlJS6_EEE10hipError_tPvRmT3_T4_T5_T6_T7_T9_mT8_P12ihipStream_tbDpT10_ENKUlT_T0_E_clISt17integral_constantIbLb1EES1E_IbLb0EEEEDaS1A_S1B_EUlS1A_E_NS1_11comp_targetILNS1_3genE3ELNS1_11target_archE908ELNS1_3gpuE7ELNS1_3repE0EEENS1_30default_config_static_selectorELNS0_4arch9wavefront6targetE0EEEvT1_.uses_flat_scratch, 0
	.set _ZN7rocprim17ROCPRIM_400000_NS6detail17trampoline_kernelINS0_14default_configENS1_25partition_config_selectorILNS1_17partition_subalgoE5EyNS0_10empty_typeEbEEZZNS1_14partition_implILS5_5ELb0ES3_mN6thrust23THRUST_200600_302600_NS6detail15normal_iteratorINSA_10device_ptrIyEEEEPS6_NSA_18transform_iteratorINSB_9not_fun_tI7is_trueIyEEENSC_INSD_IbEEEENSA_11use_defaultESO_EENS0_5tupleIJNSA_16discard_iteratorISO_EES6_EEENSQ_IJSG_SG_EEES6_PlJS6_EEE10hipError_tPvRmT3_T4_T5_T6_T7_T9_mT8_P12ihipStream_tbDpT10_ENKUlT_T0_E_clISt17integral_constantIbLb1EES1E_IbLb0EEEEDaS1A_S1B_EUlS1A_E_NS1_11comp_targetILNS1_3genE3ELNS1_11target_archE908ELNS1_3gpuE7ELNS1_3repE0EEENS1_30default_config_static_selectorELNS0_4arch9wavefront6targetE0EEEvT1_.has_dyn_sized_stack, 0
	.set _ZN7rocprim17ROCPRIM_400000_NS6detail17trampoline_kernelINS0_14default_configENS1_25partition_config_selectorILNS1_17partition_subalgoE5EyNS0_10empty_typeEbEEZZNS1_14partition_implILS5_5ELb0ES3_mN6thrust23THRUST_200600_302600_NS6detail15normal_iteratorINSA_10device_ptrIyEEEEPS6_NSA_18transform_iteratorINSB_9not_fun_tI7is_trueIyEEENSC_INSD_IbEEEENSA_11use_defaultESO_EENS0_5tupleIJNSA_16discard_iteratorISO_EES6_EEENSQ_IJSG_SG_EEES6_PlJS6_EEE10hipError_tPvRmT3_T4_T5_T6_T7_T9_mT8_P12ihipStream_tbDpT10_ENKUlT_T0_E_clISt17integral_constantIbLb1EES1E_IbLb0EEEEDaS1A_S1B_EUlS1A_E_NS1_11comp_targetILNS1_3genE3ELNS1_11target_archE908ELNS1_3gpuE7ELNS1_3repE0EEENS1_30default_config_static_selectorELNS0_4arch9wavefront6targetE0EEEvT1_.has_recursion, 0
	.set _ZN7rocprim17ROCPRIM_400000_NS6detail17trampoline_kernelINS0_14default_configENS1_25partition_config_selectorILNS1_17partition_subalgoE5EyNS0_10empty_typeEbEEZZNS1_14partition_implILS5_5ELb0ES3_mN6thrust23THRUST_200600_302600_NS6detail15normal_iteratorINSA_10device_ptrIyEEEEPS6_NSA_18transform_iteratorINSB_9not_fun_tI7is_trueIyEEENSC_INSD_IbEEEENSA_11use_defaultESO_EENS0_5tupleIJNSA_16discard_iteratorISO_EES6_EEENSQ_IJSG_SG_EEES6_PlJS6_EEE10hipError_tPvRmT3_T4_T5_T6_T7_T9_mT8_P12ihipStream_tbDpT10_ENKUlT_T0_E_clISt17integral_constantIbLb1EES1E_IbLb0EEEEDaS1A_S1B_EUlS1A_E_NS1_11comp_targetILNS1_3genE3ELNS1_11target_archE908ELNS1_3gpuE7ELNS1_3repE0EEENS1_30default_config_static_selectorELNS0_4arch9wavefront6targetE0EEEvT1_.has_indirect_call, 0
	.section	.AMDGPU.csdata,"",@progbits
; Kernel info:
; codeLenInByte = 0
; TotalNumSgprs: 0
; NumVgprs: 0
; ScratchSize: 0
; MemoryBound: 0
; FloatMode: 240
; IeeeMode: 1
; LDSByteSize: 0 bytes/workgroup (compile time only)
; SGPRBlocks: 0
; VGPRBlocks: 0
; NumSGPRsForWavesPerEU: 1
; NumVGPRsForWavesPerEU: 1
; Occupancy: 16
; WaveLimiterHint : 0
; COMPUTE_PGM_RSRC2:SCRATCH_EN: 0
; COMPUTE_PGM_RSRC2:USER_SGPR: 2
; COMPUTE_PGM_RSRC2:TRAP_HANDLER: 0
; COMPUTE_PGM_RSRC2:TGID_X_EN: 1
; COMPUTE_PGM_RSRC2:TGID_Y_EN: 0
; COMPUTE_PGM_RSRC2:TGID_Z_EN: 0
; COMPUTE_PGM_RSRC2:TIDIG_COMP_CNT: 0
	.section	.text._ZN7rocprim17ROCPRIM_400000_NS6detail17trampoline_kernelINS0_14default_configENS1_25partition_config_selectorILNS1_17partition_subalgoE5EyNS0_10empty_typeEbEEZZNS1_14partition_implILS5_5ELb0ES3_mN6thrust23THRUST_200600_302600_NS6detail15normal_iteratorINSA_10device_ptrIyEEEEPS6_NSA_18transform_iteratorINSB_9not_fun_tI7is_trueIyEEENSC_INSD_IbEEEENSA_11use_defaultESO_EENS0_5tupleIJNSA_16discard_iteratorISO_EES6_EEENSQ_IJSG_SG_EEES6_PlJS6_EEE10hipError_tPvRmT3_T4_T5_T6_T7_T9_mT8_P12ihipStream_tbDpT10_ENKUlT_T0_E_clISt17integral_constantIbLb1EES1E_IbLb0EEEEDaS1A_S1B_EUlS1A_E_NS1_11comp_targetILNS1_3genE2ELNS1_11target_archE906ELNS1_3gpuE6ELNS1_3repE0EEENS1_30default_config_static_selectorELNS0_4arch9wavefront6targetE0EEEvT1_,"axG",@progbits,_ZN7rocprim17ROCPRIM_400000_NS6detail17trampoline_kernelINS0_14default_configENS1_25partition_config_selectorILNS1_17partition_subalgoE5EyNS0_10empty_typeEbEEZZNS1_14partition_implILS5_5ELb0ES3_mN6thrust23THRUST_200600_302600_NS6detail15normal_iteratorINSA_10device_ptrIyEEEEPS6_NSA_18transform_iteratorINSB_9not_fun_tI7is_trueIyEEENSC_INSD_IbEEEENSA_11use_defaultESO_EENS0_5tupleIJNSA_16discard_iteratorISO_EES6_EEENSQ_IJSG_SG_EEES6_PlJS6_EEE10hipError_tPvRmT3_T4_T5_T6_T7_T9_mT8_P12ihipStream_tbDpT10_ENKUlT_T0_E_clISt17integral_constantIbLb1EES1E_IbLb0EEEEDaS1A_S1B_EUlS1A_E_NS1_11comp_targetILNS1_3genE2ELNS1_11target_archE906ELNS1_3gpuE6ELNS1_3repE0EEENS1_30default_config_static_selectorELNS0_4arch9wavefront6targetE0EEEvT1_,comdat
	.protected	_ZN7rocprim17ROCPRIM_400000_NS6detail17trampoline_kernelINS0_14default_configENS1_25partition_config_selectorILNS1_17partition_subalgoE5EyNS0_10empty_typeEbEEZZNS1_14partition_implILS5_5ELb0ES3_mN6thrust23THRUST_200600_302600_NS6detail15normal_iteratorINSA_10device_ptrIyEEEEPS6_NSA_18transform_iteratorINSB_9not_fun_tI7is_trueIyEEENSC_INSD_IbEEEENSA_11use_defaultESO_EENS0_5tupleIJNSA_16discard_iteratorISO_EES6_EEENSQ_IJSG_SG_EEES6_PlJS6_EEE10hipError_tPvRmT3_T4_T5_T6_T7_T9_mT8_P12ihipStream_tbDpT10_ENKUlT_T0_E_clISt17integral_constantIbLb1EES1E_IbLb0EEEEDaS1A_S1B_EUlS1A_E_NS1_11comp_targetILNS1_3genE2ELNS1_11target_archE906ELNS1_3gpuE6ELNS1_3repE0EEENS1_30default_config_static_selectorELNS0_4arch9wavefront6targetE0EEEvT1_ ; -- Begin function _ZN7rocprim17ROCPRIM_400000_NS6detail17trampoline_kernelINS0_14default_configENS1_25partition_config_selectorILNS1_17partition_subalgoE5EyNS0_10empty_typeEbEEZZNS1_14partition_implILS5_5ELb0ES3_mN6thrust23THRUST_200600_302600_NS6detail15normal_iteratorINSA_10device_ptrIyEEEEPS6_NSA_18transform_iteratorINSB_9not_fun_tI7is_trueIyEEENSC_INSD_IbEEEENSA_11use_defaultESO_EENS0_5tupleIJNSA_16discard_iteratorISO_EES6_EEENSQ_IJSG_SG_EEES6_PlJS6_EEE10hipError_tPvRmT3_T4_T5_T6_T7_T9_mT8_P12ihipStream_tbDpT10_ENKUlT_T0_E_clISt17integral_constantIbLb1EES1E_IbLb0EEEEDaS1A_S1B_EUlS1A_E_NS1_11comp_targetILNS1_3genE2ELNS1_11target_archE906ELNS1_3gpuE6ELNS1_3repE0EEENS1_30default_config_static_selectorELNS0_4arch9wavefront6targetE0EEEvT1_
	.globl	_ZN7rocprim17ROCPRIM_400000_NS6detail17trampoline_kernelINS0_14default_configENS1_25partition_config_selectorILNS1_17partition_subalgoE5EyNS0_10empty_typeEbEEZZNS1_14partition_implILS5_5ELb0ES3_mN6thrust23THRUST_200600_302600_NS6detail15normal_iteratorINSA_10device_ptrIyEEEEPS6_NSA_18transform_iteratorINSB_9not_fun_tI7is_trueIyEEENSC_INSD_IbEEEENSA_11use_defaultESO_EENS0_5tupleIJNSA_16discard_iteratorISO_EES6_EEENSQ_IJSG_SG_EEES6_PlJS6_EEE10hipError_tPvRmT3_T4_T5_T6_T7_T9_mT8_P12ihipStream_tbDpT10_ENKUlT_T0_E_clISt17integral_constantIbLb1EES1E_IbLb0EEEEDaS1A_S1B_EUlS1A_E_NS1_11comp_targetILNS1_3genE2ELNS1_11target_archE906ELNS1_3gpuE6ELNS1_3repE0EEENS1_30default_config_static_selectorELNS0_4arch9wavefront6targetE0EEEvT1_
	.p2align	8
	.type	_ZN7rocprim17ROCPRIM_400000_NS6detail17trampoline_kernelINS0_14default_configENS1_25partition_config_selectorILNS1_17partition_subalgoE5EyNS0_10empty_typeEbEEZZNS1_14partition_implILS5_5ELb0ES3_mN6thrust23THRUST_200600_302600_NS6detail15normal_iteratorINSA_10device_ptrIyEEEEPS6_NSA_18transform_iteratorINSB_9not_fun_tI7is_trueIyEEENSC_INSD_IbEEEENSA_11use_defaultESO_EENS0_5tupleIJNSA_16discard_iteratorISO_EES6_EEENSQ_IJSG_SG_EEES6_PlJS6_EEE10hipError_tPvRmT3_T4_T5_T6_T7_T9_mT8_P12ihipStream_tbDpT10_ENKUlT_T0_E_clISt17integral_constantIbLb1EES1E_IbLb0EEEEDaS1A_S1B_EUlS1A_E_NS1_11comp_targetILNS1_3genE2ELNS1_11target_archE906ELNS1_3gpuE6ELNS1_3repE0EEENS1_30default_config_static_selectorELNS0_4arch9wavefront6targetE0EEEvT1_,@function
_ZN7rocprim17ROCPRIM_400000_NS6detail17trampoline_kernelINS0_14default_configENS1_25partition_config_selectorILNS1_17partition_subalgoE5EyNS0_10empty_typeEbEEZZNS1_14partition_implILS5_5ELb0ES3_mN6thrust23THRUST_200600_302600_NS6detail15normal_iteratorINSA_10device_ptrIyEEEEPS6_NSA_18transform_iteratorINSB_9not_fun_tI7is_trueIyEEENSC_INSD_IbEEEENSA_11use_defaultESO_EENS0_5tupleIJNSA_16discard_iteratorISO_EES6_EEENSQ_IJSG_SG_EEES6_PlJS6_EEE10hipError_tPvRmT3_T4_T5_T6_T7_T9_mT8_P12ihipStream_tbDpT10_ENKUlT_T0_E_clISt17integral_constantIbLb1EES1E_IbLb0EEEEDaS1A_S1B_EUlS1A_E_NS1_11comp_targetILNS1_3genE2ELNS1_11target_archE906ELNS1_3gpuE6ELNS1_3repE0EEENS1_30default_config_static_selectorELNS0_4arch9wavefront6targetE0EEEvT1_: ; @_ZN7rocprim17ROCPRIM_400000_NS6detail17trampoline_kernelINS0_14default_configENS1_25partition_config_selectorILNS1_17partition_subalgoE5EyNS0_10empty_typeEbEEZZNS1_14partition_implILS5_5ELb0ES3_mN6thrust23THRUST_200600_302600_NS6detail15normal_iteratorINSA_10device_ptrIyEEEEPS6_NSA_18transform_iteratorINSB_9not_fun_tI7is_trueIyEEENSC_INSD_IbEEEENSA_11use_defaultESO_EENS0_5tupleIJNSA_16discard_iteratorISO_EES6_EEENSQ_IJSG_SG_EEES6_PlJS6_EEE10hipError_tPvRmT3_T4_T5_T6_T7_T9_mT8_P12ihipStream_tbDpT10_ENKUlT_T0_E_clISt17integral_constantIbLb1EES1E_IbLb0EEEEDaS1A_S1B_EUlS1A_E_NS1_11comp_targetILNS1_3genE2ELNS1_11target_archE906ELNS1_3gpuE6ELNS1_3repE0EEENS1_30default_config_static_selectorELNS0_4arch9wavefront6targetE0EEEvT1_
; %bb.0:
	.section	.rodata,"a",@progbits
	.p2align	6, 0x0
	.amdhsa_kernel _ZN7rocprim17ROCPRIM_400000_NS6detail17trampoline_kernelINS0_14default_configENS1_25partition_config_selectorILNS1_17partition_subalgoE5EyNS0_10empty_typeEbEEZZNS1_14partition_implILS5_5ELb0ES3_mN6thrust23THRUST_200600_302600_NS6detail15normal_iteratorINSA_10device_ptrIyEEEEPS6_NSA_18transform_iteratorINSB_9not_fun_tI7is_trueIyEEENSC_INSD_IbEEEENSA_11use_defaultESO_EENS0_5tupleIJNSA_16discard_iteratorISO_EES6_EEENSQ_IJSG_SG_EEES6_PlJS6_EEE10hipError_tPvRmT3_T4_T5_T6_T7_T9_mT8_P12ihipStream_tbDpT10_ENKUlT_T0_E_clISt17integral_constantIbLb1EES1E_IbLb0EEEEDaS1A_S1B_EUlS1A_E_NS1_11comp_targetILNS1_3genE2ELNS1_11target_archE906ELNS1_3gpuE6ELNS1_3repE0EEENS1_30default_config_static_selectorELNS0_4arch9wavefront6targetE0EEEvT1_
		.amdhsa_group_segment_fixed_size 0
		.amdhsa_private_segment_fixed_size 0
		.amdhsa_kernarg_size 128
		.amdhsa_user_sgpr_count 2
		.amdhsa_user_sgpr_dispatch_ptr 0
		.amdhsa_user_sgpr_queue_ptr 0
		.amdhsa_user_sgpr_kernarg_segment_ptr 1
		.amdhsa_user_sgpr_dispatch_id 0
		.amdhsa_user_sgpr_private_segment_size 0
		.amdhsa_wavefront_size32 1
		.amdhsa_uses_dynamic_stack 0
		.amdhsa_enable_private_segment 0
		.amdhsa_system_sgpr_workgroup_id_x 1
		.amdhsa_system_sgpr_workgroup_id_y 0
		.amdhsa_system_sgpr_workgroup_id_z 0
		.amdhsa_system_sgpr_workgroup_info 0
		.amdhsa_system_vgpr_workitem_id 0
		.amdhsa_next_free_vgpr 1
		.amdhsa_next_free_sgpr 1
		.amdhsa_reserve_vcc 0
		.amdhsa_float_round_mode_32 0
		.amdhsa_float_round_mode_16_64 0
		.amdhsa_float_denorm_mode_32 3
		.amdhsa_float_denorm_mode_16_64 3
		.amdhsa_fp16_overflow 0
		.amdhsa_workgroup_processor_mode 1
		.amdhsa_memory_ordered 1
		.amdhsa_forward_progress 1
		.amdhsa_inst_pref_size 0
		.amdhsa_round_robin_scheduling 0
		.amdhsa_exception_fp_ieee_invalid_op 0
		.amdhsa_exception_fp_denorm_src 0
		.amdhsa_exception_fp_ieee_div_zero 0
		.amdhsa_exception_fp_ieee_overflow 0
		.amdhsa_exception_fp_ieee_underflow 0
		.amdhsa_exception_fp_ieee_inexact 0
		.amdhsa_exception_int_div_zero 0
	.end_amdhsa_kernel
	.section	.text._ZN7rocprim17ROCPRIM_400000_NS6detail17trampoline_kernelINS0_14default_configENS1_25partition_config_selectorILNS1_17partition_subalgoE5EyNS0_10empty_typeEbEEZZNS1_14partition_implILS5_5ELb0ES3_mN6thrust23THRUST_200600_302600_NS6detail15normal_iteratorINSA_10device_ptrIyEEEEPS6_NSA_18transform_iteratorINSB_9not_fun_tI7is_trueIyEEENSC_INSD_IbEEEENSA_11use_defaultESO_EENS0_5tupleIJNSA_16discard_iteratorISO_EES6_EEENSQ_IJSG_SG_EEES6_PlJS6_EEE10hipError_tPvRmT3_T4_T5_T6_T7_T9_mT8_P12ihipStream_tbDpT10_ENKUlT_T0_E_clISt17integral_constantIbLb1EES1E_IbLb0EEEEDaS1A_S1B_EUlS1A_E_NS1_11comp_targetILNS1_3genE2ELNS1_11target_archE906ELNS1_3gpuE6ELNS1_3repE0EEENS1_30default_config_static_selectorELNS0_4arch9wavefront6targetE0EEEvT1_,"axG",@progbits,_ZN7rocprim17ROCPRIM_400000_NS6detail17trampoline_kernelINS0_14default_configENS1_25partition_config_selectorILNS1_17partition_subalgoE5EyNS0_10empty_typeEbEEZZNS1_14partition_implILS5_5ELb0ES3_mN6thrust23THRUST_200600_302600_NS6detail15normal_iteratorINSA_10device_ptrIyEEEEPS6_NSA_18transform_iteratorINSB_9not_fun_tI7is_trueIyEEENSC_INSD_IbEEEENSA_11use_defaultESO_EENS0_5tupleIJNSA_16discard_iteratorISO_EES6_EEENSQ_IJSG_SG_EEES6_PlJS6_EEE10hipError_tPvRmT3_T4_T5_T6_T7_T9_mT8_P12ihipStream_tbDpT10_ENKUlT_T0_E_clISt17integral_constantIbLb1EES1E_IbLb0EEEEDaS1A_S1B_EUlS1A_E_NS1_11comp_targetILNS1_3genE2ELNS1_11target_archE906ELNS1_3gpuE6ELNS1_3repE0EEENS1_30default_config_static_selectorELNS0_4arch9wavefront6targetE0EEEvT1_,comdat
.Lfunc_end2673:
	.size	_ZN7rocprim17ROCPRIM_400000_NS6detail17trampoline_kernelINS0_14default_configENS1_25partition_config_selectorILNS1_17partition_subalgoE5EyNS0_10empty_typeEbEEZZNS1_14partition_implILS5_5ELb0ES3_mN6thrust23THRUST_200600_302600_NS6detail15normal_iteratorINSA_10device_ptrIyEEEEPS6_NSA_18transform_iteratorINSB_9not_fun_tI7is_trueIyEEENSC_INSD_IbEEEENSA_11use_defaultESO_EENS0_5tupleIJNSA_16discard_iteratorISO_EES6_EEENSQ_IJSG_SG_EEES6_PlJS6_EEE10hipError_tPvRmT3_T4_T5_T6_T7_T9_mT8_P12ihipStream_tbDpT10_ENKUlT_T0_E_clISt17integral_constantIbLb1EES1E_IbLb0EEEEDaS1A_S1B_EUlS1A_E_NS1_11comp_targetILNS1_3genE2ELNS1_11target_archE906ELNS1_3gpuE6ELNS1_3repE0EEENS1_30default_config_static_selectorELNS0_4arch9wavefront6targetE0EEEvT1_, .Lfunc_end2673-_ZN7rocprim17ROCPRIM_400000_NS6detail17trampoline_kernelINS0_14default_configENS1_25partition_config_selectorILNS1_17partition_subalgoE5EyNS0_10empty_typeEbEEZZNS1_14partition_implILS5_5ELb0ES3_mN6thrust23THRUST_200600_302600_NS6detail15normal_iteratorINSA_10device_ptrIyEEEEPS6_NSA_18transform_iteratorINSB_9not_fun_tI7is_trueIyEEENSC_INSD_IbEEEENSA_11use_defaultESO_EENS0_5tupleIJNSA_16discard_iteratorISO_EES6_EEENSQ_IJSG_SG_EEES6_PlJS6_EEE10hipError_tPvRmT3_T4_T5_T6_T7_T9_mT8_P12ihipStream_tbDpT10_ENKUlT_T0_E_clISt17integral_constantIbLb1EES1E_IbLb0EEEEDaS1A_S1B_EUlS1A_E_NS1_11comp_targetILNS1_3genE2ELNS1_11target_archE906ELNS1_3gpuE6ELNS1_3repE0EEENS1_30default_config_static_selectorELNS0_4arch9wavefront6targetE0EEEvT1_
                                        ; -- End function
	.set _ZN7rocprim17ROCPRIM_400000_NS6detail17trampoline_kernelINS0_14default_configENS1_25partition_config_selectorILNS1_17partition_subalgoE5EyNS0_10empty_typeEbEEZZNS1_14partition_implILS5_5ELb0ES3_mN6thrust23THRUST_200600_302600_NS6detail15normal_iteratorINSA_10device_ptrIyEEEEPS6_NSA_18transform_iteratorINSB_9not_fun_tI7is_trueIyEEENSC_INSD_IbEEEENSA_11use_defaultESO_EENS0_5tupleIJNSA_16discard_iteratorISO_EES6_EEENSQ_IJSG_SG_EEES6_PlJS6_EEE10hipError_tPvRmT3_T4_T5_T6_T7_T9_mT8_P12ihipStream_tbDpT10_ENKUlT_T0_E_clISt17integral_constantIbLb1EES1E_IbLb0EEEEDaS1A_S1B_EUlS1A_E_NS1_11comp_targetILNS1_3genE2ELNS1_11target_archE906ELNS1_3gpuE6ELNS1_3repE0EEENS1_30default_config_static_selectorELNS0_4arch9wavefront6targetE0EEEvT1_.num_vgpr, 0
	.set _ZN7rocprim17ROCPRIM_400000_NS6detail17trampoline_kernelINS0_14default_configENS1_25partition_config_selectorILNS1_17partition_subalgoE5EyNS0_10empty_typeEbEEZZNS1_14partition_implILS5_5ELb0ES3_mN6thrust23THRUST_200600_302600_NS6detail15normal_iteratorINSA_10device_ptrIyEEEEPS6_NSA_18transform_iteratorINSB_9not_fun_tI7is_trueIyEEENSC_INSD_IbEEEENSA_11use_defaultESO_EENS0_5tupleIJNSA_16discard_iteratorISO_EES6_EEENSQ_IJSG_SG_EEES6_PlJS6_EEE10hipError_tPvRmT3_T4_T5_T6_T7_T9_mT8_P12ihipStream_tbDpT10_ENKUlT_T0_E_clISt17integral_constantIbLb1EES1E_IbLb0EEEEDaS1A_S1B_EUlS1A_E_NS1_11comp_targetILNS1_3genE2ELNS1_11target_archE906ELNS1_3gpuE6ELNS1_3repE0EEENS1_30default_config_static_selectorELNS0_4arch9wavefront6targetE0EEEvT1_.num_agpr, 0
	.set _ZN7rocprim17ROCPRIM_400000_NS6detail17trampoline_kernelINS0_14default_configENS1_25partition_config_selectorILNS1_17partition_subalgoE5EyNS0_10empty_typeEbEEZZNS1_14partition_implILS5_5ELb0ES3_mN6thrust23THRUST_200600_302600_NS6detail15normal_iteratorINSA_10device_ptrIyEEEEPS6_NSA_18transform_iteratorINSB_9not_fun_tI7is_trueIyEEENSC_INSD_IbEEEENSA_11use_defaultESO_EENS0_5tupleIJNSA_16discard_iteratorISO_EES6_EEENSQ_IJSG_SG_EEES6_PlJS6_EEE10hipError_tPvRmT3_T4_T5_T6_T7_T9_mT8_P12ihipStream_tbDpT10_ENKUlT_T0_E_clISt17integral_constantIbLb1EES1E_IbLb0EEEEDaS1A_S1B_EUlS1A_E_NS1_11comp_targetILNS1_3genE2ELNS1_11target_archE906ELNS1_3gpuE6ELNS1_3repE0EEENS1_30default_config_static_selectorELNS0_4arch9wavefront6targetE0EEEvT1_.numbered_sgpr, 0
	.set _ZN7rocprim17ROCPRIM_400000_NS6detail17trampoline_kernelINS0_14default_configENS1_25partition_config_selectorILNS1_17partition_subalgoE5EyNS0_10empty_typeEbEEZZNS1_14partition_implILS5_5ELb0ES3_mN6thrust23THRUST_200600_302600_NS6detail15normal_iteratorINSA_10device_ptrIyEEEEPS6_NSA_18transform_iteratorINSB_9not_fun_tI7is_trueIyEEENSC_INSD_IbEEEENSA_11use_defaultESO_EENS0_5tupleIJNSA_16discard_iteratorISO_EES6_EEENSQ_IJSG_SG_EEES6_PlJS6_EEE10hipError_tPvRmT3_T4_T5_T6_T7_T9_mT8_P12ihipStream_tbDpT10_ENKUlT_T0_E_clISt17integral_constantIbLb1EES1E_IbLb0EEEEDaS1A_S1B_EUlS1A_E_NS1_11comp_targetILNS1_3genE2ELNS1_11target_archE906ELNS1_3gpuE6ELNS1_3repE0EEENS1_30default_config_static_selectorELNS0_4arch9wavefront6targetE0EEEvT1_.num_named_barrier, 0
	.set _ZN7rocprim17ROCPRIM_400000_NS6detail17trampoline_kernelINS0_14default_configENS1_25partition_config_selectorILNS1_17partition_subalgoE5EyNS0_10empty_typeEbEEZZNS1_14partition_implILS5_5ELb0ES3_mN6thrust23THRUST_200600_302600_NS6detail15normal_iteratorINSA_10device_ptrIyEEEEPS6_NSA_18transform_iteratorINSB_9not_fun_tI7is_trueIyEEENSC_INSD_IbEEEENSA_11use_defaultESO_EENS0_5tupleIJNSA_16discard_iteratorISO_EES6_EEENSQ_IJSG_SG_EEES6_PlJS6_EEE10hipError_tPvRmT3_T4_T5_T6_T7_T9_mT8_P12ihipStream_tbDpT10_ENKUlT_T0_E_clISt17integral_constantIbLb1EES1E_IbLb0EEEEDaS1A_S1B_EUlS1A_E_NS1_11comp_targetILNS1_3genE2ELNS1_11target_archE906ELNS1_3gpuE6ELNS1_3repE0EEENS1_30default_config_static_selectorELNS0_4arch9wavefront6targetE0EEEvT1_.private_seg_size, 0
	.set _ZN7rocprim17ROCPRIM_400000_NS6detail17trampoline_kernelINS0_14default_configENS1_25partition_config_selectorILNS1_17partition_subalgoE5EyNS0_10empty_typeEbEEZZNS1_14partition_implILS5_5ELb0ES3_mN6thrust23THRUST_200600_302600_NS6detail15normal_iteratorINSA_10device_ptrIyEEEEPS6_NSA_18transform_iteratorINSB_9not_fun_tI7is_trueIyEEENSC_INSD_IbEEEENSA_11use_defaultESO_EENS0_5tupleIJNSA_16discard_iteratorISO_EES6_EEENSQ_IJSG_SG_EEES6_PlJS6_EEE10hipError_tPvRmT3_T4_T5_T6_T7_T9_mT8_P12ihipStream_tbDpT10_ENKUlT_T0_E_clISt17integral_constantIbLb1EES1E_IbLb0EEEEDaS1A_S1B_EUlS1A_E_NS1_11comp_targetILNS1_3genE2ELNS1_11target_archE906ELNS1_3gpuE6ELNS1_3repE0EEENS1_30default_config_static_selectorELNS0_4arch9wavefront6targetE0EEEvT1_.uses_vcc, 0
	.set _ZN7rocprim17ROCPRIM_400000_NS6detail17trampoline_kernelINS0_14default_configENS1_25partition_config_selectorILNS1_17partition_subalgoE5EyNS0_10empty_typeEbEEZZNS1_14partition_implILS5_5ELb0ES3_mN6thrust23THRUST_200600_302600_NS6detail15normal_iteratorINSA_10device_ptrIyEEEEPS6_NSA_18transform_iteratorINSB_9not_fun_tI7is_trueIyEEENSC_INSD_IbEEEENSA_11use_defaultESO_EENS0_5tupleIJNSA_16discard_iteratorISO_EES6_EEENSQ_IJSG_SG_EEES6_PlJS6_EEE10hipError_tPvRmT3_T4_T5_T6_T7_T9_mT8_P12ihipStream_tbDpT10_ENKUlT_T0_E_clISt17integral_constantIbLb1EES1E_IbLb0EEEEDaS1A_S1B_EUlS1A_E_NS1_11comp_targetILNS1_3genE2ELNS1_11target_archE906ELNS1_3gpuE6ELNS1_3repE0EEENS1_30default_config_static_selectorELNS0_4arch9wavefront6targetE0EEEvT1_.uses_flat_scratch, 0
	.set _ZN7rocprim17ROCPRIM_400000_NS6detail17trampoline_kernelINS0_14default_configENS1_25partition_config_selectorILNS1_17partition_subalgoE5EyNS0_10empty_typeEbEEZZNS1_14partition_implILS5_5ELb0ES3_mN6thrust23THRUST_200600_302600_NS6detail15normal_iteratorINSA_10device_ptrIyEEEEPS6_NSA_18transform_iteratorINSB_9not_fun_tI7is_trueIyEEENSC_INSD_IbEEEENSA_11use_defaultESO_EENS0_5tupleIJNSA_16discard_iteratorISO_EES6_EEENSQ_IJSG_SG_EEES6_PlJS6_EEE10hipError_tPvRmT3_T4_T5_T6_T7_T9_mT8_P12ihipStream_tbDpT10_ENKUlT_T0_E_clISt17integral_constantIbLb1EES1E_IbLb0EEEEDaS1A_S1B_EUlS1A_E_NS1_11comp_targetILNS1_3genE2ELNS1_11target_archE906ELNS1_3gpuE6ELNS1_3repE0EEENS1_30default_config_static_selectorELNS0_4arch9wavefront6targetE0EEEvT1_.has_dyn_sized_stack, 0
	.set _ZN7rocprim17ROCPRIM_400000_NS6detail17trampoline_kernelINS0_14default_configENS1_25partition_config_selectorILNS1_17partition_subalgoE5EyNS0_10empty_typeEbEEZZNS1_14partition_implILS5_5ELb0ES3_mN6thrust23THRUST_200600_302600_NS6detail15normal_iteratorINSA_10device_ptrIyEEEEPS6_NSA_18transform_iteratorINSB_9not_fun_tI7is_trueIyEEENSC_INSD_IbEEEENSA_11use_defaultESO_EENS0_5tupleIJNSA_16discard_iteratorISO_EES6_EEENSQ_IJSG_SG_EEES6_PlJS6_EEE10hipError_tPvRmT3_T4_T5_T6_T7_T9_mT8_P12ihipStream_tbDpT10_ENKUlT_T0_E_clISt17integral_constantIbLb1EES1E_IbLb0EEEEDaS1A_S1B_EUlS1A_E_NS1_11comp_targetILNS1_3genE2ELNS1_11target_archE906ELNS1_3gpuE6ELNS1_3repE0EEENS1_30default_config_static_selectorELNS0_4arch9wavefront6targetE0EEEvT1_.has_recursion, 0
	.set _ZN7rocprim17ROCPRIM_400000_NS6detail17trampoline_kernelINS0_14default_configENS1_25partition_config_selectorILNS1_17partition_subalgoE5EyNS0_10empty_typeEbEEZZNS1_14partition_implILS5_5ELb0ES3_mN6thrust23THRUST_200600_302600_NS6detail15normal_iteratorINSA_10device_ptrIyEEEEPS6_NSA_18transform_iteratorINSB_9not_fun_tI7is_trueIyEEENSC_INSD_IbEEEENSA_11use_defaultESO_EENS0_5tupleIJNSA_16discard_iteratorISO_EES6_EEENSQ_IJSG_SG_EEES6_PlJS6_EEE10hipError_tPvRmT3_T4_T5_T6_T7_T9_mT8_P12ihipStream_tbDpT10_ENKUlT_T0_E_clISt17integral_constantIbLb1EES1E_IbLb0EEEEDaS1A_S1B_EUlS1A_E_NS1_11comp_targetILNS1_3genE2ELNS1_11target_archE906ELNS1_3gpuE6ELNS1_3repE0EEENS1_30default_config_static_selectorELNS0_4arch9wavefront6targetE0EEEvT1_.has_indirect_call, 0
	.section	.AMDGPU.csdata,"",@progbits
; Kernel info:
; codeLenInByte = 0
; TotalNumSgprs: 0
; NumVgprs: 0
; ScratchSize: 0
; MemoryBound: 0
; FloatMode: 240
; IeeeMode: 1
; LDSByteSize: 0 bytes/workgroup (compile time only)
; SGPRBlocks: 0
; VGPRBlocks: 0
; NumSGPRsForWavesPerEU: 1
; NumVGPRsForWavesPerEU: 1
; Occupancy: 16
; WaveLimiterHint : 0
; COMPUTE_PGM_RSRC2:SCRATCH_EN: 0
; COMPUTE_PGM_RSRC2:USER_SGPR: 2
; COMPUTE_PGM_RSRC2:TRAP_HANDLER: 0
; COMPUTE_PGM_RSRC2:TGID_X_EN: 1
; COMPUTE_PGM_RSRC2:TGID_Y_EN: 0
; COMPUTE_PGM_RSRC2:TGID_Z_EN: 0
; COMPUTE_PGM_RSRC2:TIDIG_COMP_CNT: 0
	.section	.text._ZN7rocprim17ROCPRIM_400000_NS6detail17trampoline_kernelINS0_14default_configENS1_25partition_config_selectorILNS1_17partition_subalgoE5EyNS0_10empty_typeEbEEZZNS1_14partition_implILS5_5ELb0ES3_mN6thrust23THRUST_200600_302600_NS6detail15normal_iteratorINSA_10device_ptrIyEEEEPS6_NSA_18transform_iteratorINSB_9not_fun_tI7is_trueIyEEENSC_INSD_IbEEEENSA_11use_defaultESO_EENS0_5tupleIJNSA_16discard_iteratorISO_EES6_EEENSQ_IJSG_SG_EEES6_PlJS6_EEE10hipError_tPvRmT3_T4_T5_T6_T7_T9_mT8_P12ihipStream_tbDpT10_ENKUlT_T0_E_clISt17integral_constantIbLb1EES1E_IbLb0EEEEDaS1A_S1B_EUlS1A_E_NS1_11comp_targetILNS1_3genE10ELNS1_11target_archE1200ELNS1_3gpuE4ELNS1_3repE0EEENS1_30default_config_static_selectorELNS0_4arch9wavefront6targetE0EEEvT1_,"axG",@progbits,_ZN7rocprim17ROCPRIM_400000_NS6detail17trampoline_kernelINS0_14default_configENS1_25partition_config_selectorILNS1_17partition_subalgoE5EyNS0_10empty_typeEbEEZZNS1_14partition_implILS5_5ELb0ES3_mN6thrust23THRUST_200600_302600_NS6detail15normal_iteratorINSA_10device_ptrIyEEEEPS6_NSA_18transform_iteratorINSB_9not_fun_tI7is_trueIyEEENSC_INSD_IbEEEENSA_11use_defaultESO_EENS0_5tupleIJNSA_16discard_iteratorISO_EES6_EEENSQ_IJSG_SG_EEES6_PlJS6_EEE10hipError_tPvRmT3_T4_T5_T6_T7_T9_mT8_P12ihipStream_tbDpT10_ENKUlT_T0_E_clISt17integral_constantIbLb1EES1E_IbLb0EEEEDaS1A_S1B_EUlS1A_E_NS1_11comp_targetILNS1_3genE10ELNS1_11target_archE1200ELNS1_3gpuE4ELNS1_3repE0EEENS1_30default_config_static_selectorELNS0_4arch9wavefront6targetE0EEEvT1_,comdat
	.protected	_ZN7rocprim17ROCPRIM_400000_NS6detail17trampoline_kernelINS0_14default_configENS1_25partition_config_selectorILNS1_17partition_subalgoE5EyNS0_10empty_typeEbEEZZNS1_14partition_implILS5_5ELb0ES3_mN6thrust23THRUST_200600_302600_NS6detail15normal_iteratorINSA_10device_ptrIyEEEEPS6_NSA_18transform_iteratorINSB_9not_fun_tI7is_trueIyEEENSC_INSD_IbEEEENSA_11use_defaultESO_EENS0_5tupleIJNSA_16discard_iteratorISO_EES6_EEENSQ_IJSG_SG_EEES6_PlJS6_EEE10hipError_tPvRmT3_T4_T5_T6_T7_T9_mT8_P12ihipStream_tbDpT10_ENKUlT_T0_E_clISt17integral_constantIbLb1EES1E_IbLb0EEEEDaS1A_S1B_EUlS1A_E_NS1_11comp_targetILNS1_3genE10ELNS1_11target_archE1200ELNS1_3gpuE4ELNS1_3repE0EEENS1_30default_config_static_selectorELNS0_4arch9wavefront6targetE0EEEvT1_ ; -- Begin function _ZN7rocprim17ROCPRIM_400000_NS6detail17trampoline_kernelINS0_14default_configENS1_25partition_config_selectorILNS1_17partition_subalgoE5EyNS0_10empty_typeEbEEZZNS1_14partition_implILS5_5ELb0ES3_mN6thrust23THRUST_200600_302600_NS6detail15normal_iteratorINSA_10device_ptrIyEEEEPS6_NSA_18transform_iteratorINSB_9not_fun_tI7is_trueIyEEENSC_INSD_IbEEEENSA_11use_defaultESO_EENS0_5tupleIJNSA_16discard_iteratorISO_EES6_EEENSQ_IJSG_SG_EEES6_PlJS6_EEE10hipError_tPvRmT3_T4_T5_T6_T7_T9_mT8_P12ihipStream_tbDpT10_ENKUlT_T0_E_clISt17integral_constantIbLb1EES1E_IbLb0EEEEDaS1A_S1B_EUlS1A_E_NS1_11comp_targetILNS1_3genE10ELNS1_11target_archE1200ELNS1_3gpuE4ELNS1_3repE0EEENS1_30default_config_static_selectorELNS0_4arch9wavefront6targetE0EEEvT1_
	.globl	_ZN7rocprim17ROCPRIM_400000_NS6detail17trampoline_kernelINS0_14default_configENS1_25partition_config_selectorILNS1_17partition_subalgoE5EyNS0_10empty_typeEbEEZZNS1_14partition_implILS5_5ELb0ES3_mN6thrust23THRUST_200600_302600_NS6detail15normal_iteratorINSA_10device_ptrIyEEEEPS6_NSA_18transform_iteratorINSB_9not_fun_tI7is_trueIyEEENSC_INSD_IbEEEENSA_11use_defaultESO_EENS0_5tupleIJNSA_16discard_iteratorISO_EES6_EEENSQ_IJSG_SG_EEES6_PlJS6_EEE10hipError_tPvRmT3_T4_T5_T6_T7_T9_mT8_P12ihipStream_tbDpT10_ENKUlT_T0_E_clISt17integral_constantIbLb1EES1E_IbLb0EEEEDaS1A_S1B_EUlS1A_E_NS1_11comp_targetILNS1_3genE10ELNS1_11target_archE1200ELNS1_3gpuE4ELNS1_3repE0EEENS1_30default_config_static_selectorELNS0_4arch9wavefront6targetE0EEEvT1_
	.p2align	8
	.type	_ZN7rocprim17ROCPRIM_400000_NS6detail17trampoline_kernelINS0_14default_configENS1_25partition_config_selectorILNS1_17partition_subalgoE5EyNS0_10empty_typeEbEEZZNS1_14partition_implILS5_5ELb0ES3_mN6thrust23THRUST_200600_302600_NS6detail15normal_iteratorINSA_10device_ptrIyEEEEPS6_NSA_18transform_iteratorINSB_9not_fun_tI7is_trueIyEEENSC_INSD_IbEEEENSA_11use_defaultESO_EENS0_5tupleIJNSA_16discard_iteratorISO_EES6_EEENSQ_IJSG_SG_EEES6_PlJS6_EEE10hipError_tPvRmT3_T4_T5_T6_T7_T9_mT8_P12ihipStream_tbDpT10_ENKUlT_T0_E_clISt17integral_constantIbLb1EES1E_IbLb0EEEEDaS1A_S1B_EUlS1A_E_NS1_11comp_targetILNS1_3genE10ELNS1_11target_archE1200ELNS1_3gpuE4ELNS1_3repE0EEENS1_30default_config_static_selectorELNS0_4arch9wavefront6targetE0EEEvT1_,@function
_ZN7rocprim17ROCPRIM_400000_NS6detail17trampoline_kernelINS0_14default_configENS1_25partition_config_selectorILNS1_17partition_subalgoE5EyNS0_10empty_typeEbEEZZNS1_14partition_implILS5_5ELb0ES3_mN6thrust23THRUST_200600_302600_NS6detail15normal_iteratorINSA_10device_ptrIyEEEEPS6_NSA_18transform_iteratorINSB_9not_fun_tI7is_trueIyEEENSC_INSD_IbEEEENSA_11use_defaultESO_EENS0_5tupleIJNSA_16discard_iteratorISO_EES6_EEENSQ_IJSG_SG_EEES6_PlJS6_EEE10hipError_tPvRmT3_T4_T5_T6_T7_T9_mT8_P12ihipStream_tbDpT10_ENKUlT_T0_E_clISt17integral_constantIbLb1EES1E_IbLb0EEEEDaS1A_S1B_EUlS1A_E_NS1_11comp_targetILNS1_3genE10ELNS1_11target_archE1200ELNS1_3gpuE4ELNS1_3repE0EEENS1_30default_config_static_selectorELNS0_4arch9wavefront6targetE0EEEvT1_: ; @_ZN7rocprim17ROCPRIM_400000_NS6detail17trampoline_kernelINS0_14default_configENS1_25partition_config_selectorILNS1_17partition_subalgoE5EyNS0_10empty_typeEbEEZZNS1_14partition_implILS5_5ELb0ES3_mN6thrust23THRUST_200600_302600_NS6detail15normal_iteratorINSA_10device_ptrIyEEEEPS6_NSA_18transform_iteratorINSB_9not_fun_tI7is_trueIyEEENSC_INSD_IbEEEENSA_11use_defaultESO_EENS0_5tupleIJNSA_16discard_iteratorISO_EES6_EEENSQ_IJSG_SG_EEES6_PlJS6_EEE10hipError_tPvRmT3_T4_T5_T6_T7_T9_mT8_P12ihipStream_tbDpT10_ENKUlT_T0_E_clISt17integral_constantIbLb1EES1E_IbLb0EEEEDaS1A_S1B_EUlS1A_E_NS1_11comp_targetILNS1_3genE10ELNS1_11target_archE1200ELNS1_3gpuE4ELNS1_3repE0EEENS1_30default_config_static_selectorELNS0_4arch9wavefront6targetE0EEEvT1_
; %bb.0:
	s_endpgm
	.section	.rodata,"a",@progbits
	.p2align	6, 0x0
	.amdhsa_kernel _ZN7rocprim17ROCPRIM_400000_NS6detail17trampoline_kernelINS0_14default_configENS1_25partition_config_selectorILNS1_17partition_subalgoE5EyNS0_10empty_typeEbEEZZNS1_14partition_implILS5_5ELb0ES3_mN6thrust23THRUST_200600_302600_NS6detail15normal_iteratorINSA_10device_ptrIyEEEEPS6_NSA_18transform_iteratorINSB_9not_fun_tI7is_trueIyEEENSC_INSD_IbEEEENSA_11use_defaultESO_EENS0_5tupleIJNSA_16discard_iteratorISO_EES6_EEENSQ_IJSG_SG_EEES6_PlJS6_EEE10hipError_tPvRmT3_T4_T5_T6_T7_T9_mT8_P12ihipStream_tbDpT10_ENKUlT_T0_E_clISt17integral_constantIbLb1EES1E_IbLb0EEEEDaS1A_S1B_EUlS1A_E_NS1_11comp_targetILNS1_3genE10ELNS1_11target_archE1200ELNS1_3gpuE4ELNS1_3repE0EEENS1_30default_config_static_selectorELNS0_4arch9wavefront6targetE0EEEvT1_
		.amdhsa_group_segment_fixed_size 0
		.amdhsa_private_segment_fixed_size 0
		.amdhsa_kernarg_size 128
		.amdhsa_user_sgpr_count 2
		.amdhsa_user_sgpr_dispatch_ptr 0
		.amdhsa_user_sgpr_queue_ptr 0
		.amdhsa_user_sgpr_kernarg_segment_ptr 1
		.amdhsa_user_sgpr_dispatch_id 0
		.amdhsa_user_sgpr_private_segment_size 0
		.amdhsa_wavefront_size32 1
		.amdhsa_uses_dynamic_stack 0
		.amdhsa_enable_private_segment 0
		.amdhsa_system_sgpr_workgroup_id_x 1
		.amdhsa_system_sgpr_workgroup_id_y 0
		.amdhsa_system_sgpr_workgroup_id_z 0
		.amdhsa_system_sgpr_workgroup_info 0
		.amdhsa_system_vgpr_workitem_id 0
		.amdhsa_next_free_vgpr 1
		.amdhsa_next_free_sgpr 1
		.amdhsa_reserve_vcc 0
		.amdhsa_float_round_mode_32 0
		.amdhsa_float_round_mode_16_64 0
		.amdhsa_float_denorm_mode_32 3
		.amdhsa_float_denorm_mode_16_64 3
		.amdhsa_fp16_overflow 0
		.amdhsa_workgroup_processor_mode 1
		.amdhsa_memory_ordered 1
		.amdhsa_forward_progress 1
		.amdhsa_inst_pref_size 1
		.amdhsa_round_robin_scheduling 0
		.amdhsa_exception_fp_ieee_invalid_op 0
		.amdhsa_exception_fp_denorm_src 0
		.amdhsa_exception_fp_ieee_div_zero 0
		.amdhsa_exception_fp_ieee_overflow 0
		.amdhsa_exception_fp_ieee_underflow 0
		.amdhsa_exception_fp_ieee_inexact 0
		.amdhsa_exception_int_div_zero 0
	.end_amdhsa_kernel
	.section	.text._ZN7rocprim17ROCPRIM_400000_NS6detail17trampoline_kernelINS0_14default_configENS1_25partition_config_selectorILNS1_17partition_subalgoE5EyNS0_10empty_typeEbEEZZNS1_14partition_implILS5_5ELb0ES3_mN6thrust23THRUST_200600_302600_NS6detail15normal_iteratorINSA_10device_ptrIyEEEEPS6_NSA_18transform_iteratorINSB_9not_fun_tI7is_trueIyEEENSC_INSD_IbEEEENSA_11use_defaultESO_EENS0_5tupleIJNSA_16discard_iteratorISO_EES6_EEENSQ_IJSG_SG_EEES6_PlJS6_EEE10hipError_tPvRmT3_T4_T5_T6_T7_T9_mT8_P12ihipStream_tbDpT10_ENKUlT_T0_E_clISt17integral_constantIbLb1EES1E_IbLb0EEEEDaS1A_S1B_EUlS1A_E_NS1_11comp_targetILNS1_3genE10ELNS1_11target_archE1200ELNS1_3gpuE4ELNS1_3repE0EEENS1_30default_config_static_selectorELNS0_4arch9wavefront6targetE0EEEvT1_,"axG",@progbits,_ZN7rocprim17ROCPRIM_400000_NS6detail17trampoline_kernelINS0_14default_configENS1_25partition_config_selectorILNS1_17partition_subalgoE5EyNS0_10empty_typeEbEEZZNS1_14partition_implILS5_5ELb0ES3_mN6thrust23THRUST_200600_302600_NS6detail15normal_iteratorINSA_10device_ptrIyEEEEPS6_NSA_18transform_iteratorINSB_9not_fun_tI7is_trueIyEEENSC_INSD_IbEEEENSA_11use_defaultESO_EENS0_5tupleIJNSA_16discard_iteratorISO_EES6_EEENSQ_IJSG_SG_EEES6_PlJS6_EEE10hipError_tPvRmT3_T4_T5_T6_T7_T9_mT8_P12ihipStream_tbDpT10_ENKUlT_T0_E_clISt17integral_constantIbLb1EES1E_IbLb0EEEEDaS1A_S1B_EUlS1A_E_NS1_11comp_targetILNS1_3genE10ELNS1_11target_archE1200ELNS1_3gpuE4ELNS1_3repE0EEENS1_30default_config_static_selectorELNS0_4arch9wavefront6targetE0EEEvT1_,comdat
.Lfunc_end2674:
	.size	_ZN7rocprim17ROCPRIM_400000_NS6detail17trampoline_kernelINS0_14default_configENS1_25partition_config_selectorILNS1_17partition_subalgoE5EyNS0_10empty_typeEbEEZZNS1_14partition_implILS5_5ELb0ES3_mN6thrust23THRUST_200600_302600_NS6detail15normal_iteratorINSA_10device_ptrIyEEEEPS6_NSA_18transform_iteratorINSB_9not_fun_tI7is_trueIyEEENSC_INSD_IbEEEENSA_11use_defaultESO_EENS0_5tupleIJNSA_16discard_iteratorISO_EES6_EEENSQ_IJSG_SG_EEES6_PlJS6_EEE10hipError_tPvRmT3_T4_T5_T6_T7_T9_mT8_P12ihipStream_tbDpT10_ENKUlT_T0_E_clISt17integral_constantIbLb1EES1E_IbLb0EEEEDaS1A_S1B_EUlS1A_E_NS1_11comp_targetILNS1_3genE10ELNS1_11target_archE1200ELNS1_3gpuE4ELNS1_3repE0EEENS1_30default_config_static_selectorELNS0_4arch9wavefront6targetE0EEEvT1_, .Lfunc_end2674-_ZN7rocprim17ROCPRIM_400000_NS6detail17trampoline_kernelINS0_14default_configENS1_25partition_config_selectorILNS1_17partition_subalgoE5EyNS0_10empty_typeEbEEZZNS1_14partition_implILS5_5ELb0ES3_mN6thrust23THRUST_200600_302600_NS6detail15normal_iteratorINSA_10device_ptrIyEEEEPS6_NSA_18transform_iteratorINSB_9not_fun_tI7is_trueIyEEENSC_INSD_IbEEEENSA_11use_defaultESO_EENS0_5tupleIJNSA_16discard_iteratorISO_EES6_EEENSQ_IJSG_SG_EEES6_PlJS6_EEE10hipError_tPvRmT3_T4_T5_T6_T7_T9_mT8_P12ihipStream_tbDpT10_ENKUlT_T0_E_clISt17integral_constantIbLb1EES1E_IbLb0EEEEDaS1A_S1B_EUlS1A_E_NS1_11comp_targetILNS1_3genE10ELNS1_11target_archE1200ELNS1_3gpuE4ELNS1_3repE0EEENS1_30default_config_static_selectorELNS0_4arch9wavefront6targetE0EEEvT1_
                                        ; -- End function
	.set _ZN7rocprim17ROCPRIM_400000_NS6detail17trampoline_kernelINS0_14default_configENS1_25partition_config_selectorILNS1_17partition_subalgoE5EyNS0_10empty_typeEbEEZZNS1_14partition_implILS5_5ELb0ES3_mN6thrust23THRUST_200600_302600_NS6detail15normal_iteratorINSA_10device_ptrIyEEEEPS6_NSA_18transform_iteratorINSB_9not_fun_tI7is_trueIyEEENSC_INSD_IbEEEENSA_11use_defaultESO_EENS0_5tupleIJNSA_16discard_iteratorISO_EES6_EEENSQ_IJSG_SG_EEES6_PlJS6_EEE10hipError_tPvRmT3_T4_T5_T6_T7_T9_mT8_P12ihipStream_tbDpT10_ENKUlT_T0_E_clISt17integral_constantIbLb1EES1E_IbLb0EEEEDaS1A_S1B_EUlS1A_E_NS1_11comp_targetILNS1_3genE10ELNS1_11target_archE1200ELNS1_3gpuE4ELNS1_3repE0EEENS1_30default_config_static_selectorELNS0_4arch9wavefront6targetE0EEEvT1_.num_vgpr, 0
	.set _ZN7rocprim17ROCPRIM_400000_NS6detail17trampoline_kernelINS0_14default_configENS1_25partition_config_selectorILNS1_17partition_subalgoE5EyNS0_10empty_typeEbEEZZNS1_14partition_implILS5_5ELb0ES3_mN6thrust23THRUST_200600_302600_NS6detail15normal_iteratorINSA_10device_ptrIyEEEEPS6_NSA_18transform_iteratorINSB_9not_fun_tI7is_trueIyEEENSC_INSD_IbEEEENSA_11use_defaultESO_EENS0_5tupleIJNSA_16discard_iteratorISO_EES6_EEENSQ_IJSG_SG_EEES6_PlJS6_EEE10hipError_tPvRmT3_T4_T5_T6_T7_T9_mT8_P12ihipStream_tbDpT10_ENKUlT_T0_E_clISt17integral_constantIbLb1EES1E_IbLb0EEEEDaS1A_S1B_EUlS1A_E_NS1_11comp_targetILNS1_3genE10ELNS1_11target_archE1200ELNS1_3gpuE4ELNS1_3repE0EEENS1_30default_config_static_selectorELNS0_4arch9wavefront6targetE0EEEvT1_.num_agpr, 0
	.set _ZN7rocprim17ROCPRIM_400000_NS6detail17trampoline_kernelINS0_14default_configENS1_25partition_config_selectorILNS1_17partition_subalgoE5EyNS0_10empty_typeEbEEZZNS1_14partition_implILS5_5ELb0ES3_mN6thrust23THRUST_200600_302600_NS6detail15normal_iteratorINSA_10device_ptrIyEEEEPS6_NSA_18transform_iteratorINSB_9not_fun_tI7is_trueIyEEENSC_INSD_IbEEEENSA_11use_defaultESO_EENS0_5tupleIJNSA_16discard_iteratorISO_EES6_EEENSQ_IJSG_SG_EEES6_PlJS6_EEE10hipError_tPvRmT3_T4_T5_T6_T7_T9_mT8_P12ihipStream_tbDpT10_ENKUlT_T0_E_clISt17integral_constantIbLb1EES1E_IbLb0EEEEDaS1A_S1B_EUlS1A_E_NS1_11comp_targetILNS1_3genE10ELNS1_11target_archE1200ELNS1_3gpuE4ELNS1_3repE0EEENS1_30default_config_static_selectorELNS0_4arch9wavefront6targetE0EEEvT1_.numbered_sgpr, 0
	.set _ZN7rocprim17ROCPRIM_400000_NS6detail17trampoline_kernelINS0_14default_configENS1_25partition_config_selectorILNS1_17partition_subalgoE5EyNS0_10empty_typeEbEEZZNS1_14partition_implILS5_5ELb0ES3_mN6thrust23THRUST_200600_302600_NS6detail15normal_iteratorINSA_10device_ptrIyEEEEPS6_NSA_18transform_iteratorINSB_9not_fun_tI7is_trueIyEEENSC_INSD_IbEEEENSA_11use_defaultESO_EENS0_5tupleIJNSA_16discard_iteratorISO_EES6_EEENSQ_IJSG_SG_EEES6_PlJS6_EEE10hipError_tPvRmT3_T4_T5_T6_T7_T9_mT8_P12ihipStream_tbDpT10_ENKUlT_T0_E_clISt17integral_constantIbLb1EES1E_IbLb0EEEEDaS1A_S1B_EUlS1A_E_NS1_11comp_targetILNS1_3genE10ELNS1_11target_archE1200ELNS1_3gpuE4ELNS1_3repE0EEENS1_30default_config_static_selectorELNS0_4arch9wavefront6targetE0EEEvT1_.num_named_barrier, 0
	.set _ZN7rocprim17ROCPRIM_400000_NS6detail17trampoline_kernelINS0_14default_configENS1_25partition_config_selectorILNS1_17partition_subalgoE5EyNS0_10empty_typeEbEEZZNS1_14partition_implILS5_5ELb0ES3_mN6thrust23THRUST_200600_302600_NS6detail15normal_iteratorINSA_10device_ptrIyEEEEPS6_NSA_18transform_iteratorINSB_9not_fun_tI7is_trueIyEEENSC_INSD_IbEEEENSA_11use_defaultESO_EENS0_5tupleIJNSA_16discard_iteratorISO_EES6_EEENSQ_IJSG_SG_EEES6_PlJS6_EEE10hipError_tPvRmT3_T4_T5_T6_T7_T9_mT8_P12ihipStream_tbDpT10_ENKUlT_T0_E_clISt17integral_constantIbLb1EES1E_IbLb0EEEEDaS1A_S1B_EUlS1A_E_NS1_11comp_targetILNS1_3genE10ELNS1_11target_archE1200ELNS1_3gpuE4ELNS1_3repE0EEENS1_30default_config_static_selectorELNS0_4arch9wavefront6targetE0EEEvT1_.private_seg_size, 0
	.set _ZN7rocprim17ROCPRIM_400000_NS6detail17trampoline_kernelINS0_14default_configENS1_25partition_config_selectorILNS1_17partition_subalgoE5EyNS0_10empty_typeEbEEZZNS1_14partition_implILS5_5ELb0ES3_mN6thrust23THRUST_200600_302600_NS6detail15normal_iteratorINSA_10device_ptrIyEEEEPS6_NSA_18transform_iteratorINSB_9not_fun_tI7is_trueIyEEENSC_INSD_IbEEEENSA_11use_defaultESO_EENS0_5tupleIJNSA_16discard_iteratorISO_EES6_EEENSQ_IJSG_SG_EEES6_PlJS6_EEE10hipError_tPvRmT3_T4_T5_T6_T7_T9_mT8_P12ihipStream_tbDpT10_ENKUlT_T0_E_clISt17integral_constantIbLb1EES1E_IbLb0EEEEDaS1A_S1B_EUlS1A_E_NS1_11comp_targetILNS1_3genE10ELNS1_11target_archE1200ELNS1_3gpuE4ELNS1_3repE0EEENS1_30default_config_static_selectorELNS0_4arch9wavefront6targetE0EEEvT1_.uses_vcc, 0
	.set _ZN7rocprim17ROCPRIM_400000_NS6detail17trampoline_kernelINS0_14default_configENS1_25partition_config_selectorILNS1_17partition_subalgoE5EyNS0_10empty_typeEbEEZZNS1_14partition_implILS5_5ELb0ES3_mN6thrust23THRUST_200600_302600_NS6detail15normal_iteratorINSA_10device_ptrIyEEEEPS6_NSA_18transform_iteratorINSB_9not_fun_tI7is_trueIyEEENSC_INSD_IbEEEENSA_11use_defaultESO_EENS0_5tupleIJNSA_16discard_iteratorISO_EES6_EEENSQ_IJSG_SG_EEES6_PlJS6_EEE10hipError_tPvRmT3_T4_T5_T6_T7_T9_mT8_P12ihipStream_tbDpT10_ENKUlT_T0_E_clISt17integral_constantIbLb1EES1E_IbLb0EEEEDaS1A_S1B_EUlS1A_E_NS1_11comp_targetILNS1_3genE10ELNS1_11target_archE1200ELNS1_3gpuE4ELNS1_3repE0EEENS1_30default_config_static_selectorELNS0_4arch9wavefront6targetE0EEEvT1_.uses_flat_scratch, 0
	.set _ZN7rocprim17ROCPRIM_400000_NS6detail17trampoline_kernelINS0_14default_configENS1_25partition_config_selectorILNS1_17partition_subalgoE5EyNS0_10empty_typeEbEEZZNS1_14partition_implILS5_5ELb0ES3_mN6thrust23THRUST_200600_302600_NS6detail15normal_iteratorINSA_10device_ptrIyEEEEPS6_NSA_18transform_iteratorINSB_9not_fun_tI7is_trueIyEEENSC_INSD_IbEEEENSA_11use_defaultESO_EENS0_5tupleIJNSA_16discard_iteratorISO_EES6_EEENSQ_IJSG_SG_EEES6_PlJS6_EEE10hipError_tPvRmT3_T4_T5_T6_T7_T9_mT8_P12ihipStream_tbDpT10_ENKUlT_T0_E_clISt17integral_constantIbLb1EES1E_IbLb0EEEEDaS1A_S1B_EUlS1A_E_NS1_11comp_targetILNS1_3genE10ELNS1_11target_archE1200ELNS1_3gpuE4ELNS1_3repE0EEENS1_30default_config_static_selectorELNS0_4arch9wavefront6targetE0EEEvT1_.has_dyn_sized_stack, 0
	.set _ZN7rocprim17ROCPRIM_400000_NS6detail17trampoline_kernelINS0_14default_configENS1_25partition_config_selectorILNS1_17partition_subalgoE5EyNS0_10empty_typeEbEEZZNS1_14partition_implILS5_5ELb0ES3_mN6thrust23THRUST_200600_302600_NS6detail15normal_iteratorINSA_10device_ptrIyEEEEPS6_NSA_18transform_iteratorINSB_9not_fun_tI7is_trueIyEEENSC_INSD_IbEEEENSA_11use_defaultESO_EENS0_5tupleIJNSA_16discard_iteratorISO_EES6_EEENSQ_IJSG_SG_EEES6_PlJS6_EEE10hipError_tPvRmT3_T4_T5_T6_T7_T9_mT8_P12ihipStream_tbDpT10_ENKUlT_T0_E_clISt17integral_constantIbLb1EES1E_IbLb0EEEEDaS1A_S1B_EUlS1A_E_NS1_11comp_targetILNS1_3genE10ELNS1_11target_archE1200ELNS1_3gpuE4ELNS1_3repE0EEENS1_30default_config_static_selectorELNS0_4arch9wavefront6targetE0EEEvT1_.has_recursion, 0
	.set _ZN7rocprim17ROCPRIM_400000_NS6detail17trampoline_kernelINS0_14default_configENS1_25partition_config_selectorILNS1_17partition_subalgoE5EyNS0_10empty_typeEbEEZZNS1_14partition_implILS5_5ELb0ES3_mN6thrust23THRUST_200600_302600_NS6detail15normal_iteratorINSA_10device_ptrIyEEEEPS6_NSA_18transform_iteratorINSB_9not_fun_tI7is_trueIyEEENSC_INSD_IbEEEENSA_11use_defaultESO_EENS0_5tupleIJNSA_16discard_iteratorISO_EES6_EEENSQ_IJSG_SG_EEES6_PlJS6_EEE10hipError_tPvRmT3_T4_T5_T6_T7_T9_mT8_P12ihipStream_tbDpT10_ENKUlT_T0_E_clISt17integral_constantIbLb1EES1E_IbLb0EEEEDaS1A_S1B_EUlS1A_E_NS1_11comp_targetILNS1_3genE10ELNS1_11target_archE1200ELNS1_3gpuE4ELNS1_3repE0EEENS1_30default_config_static_selectorELNS0_4arch9wavefront6targetE0EEEvT1_.has_indirect_call, 0
	.section	.AMDGPU.csdata,"",@progbits
; Kernel info:
; codeLenInByte = 4
; TotalNumSgprs: 0
; NumVgprs: 0
; ScratchSize: 0
; MemoryBound: 0
; FloatMode: 240
; IeeeMode: 1
; LDSByteSize: 0 bytes/workgroup (compile time only)
; SGPRBlocks: 0
; VGPRBlocks: 0
; NumSGPRsForWavesPerEU: 1
; NumVGPRsForWavesPerEU: 1
; Occupancy: 16
; WaveLimiterHint : 0
; COMPUTE_PGM_RSRC2:SCRATCH_EN: 0
; COMPUTE_PGM_RSRC2:USER_SGPR: 2
; COMPUTE_PGM_RSRC2:TRAP_HANDLER: 0
; COMPUTE_PGM_RSRC2:TGID_X_EN: 1
; COMPUTE_PGM_RSRC2:TGID_Y_EN: 0
; COMPUTE_PGM_RSRC2:TGID_Z_EN: 0
; COMPUTE_PGM_RSRC2:TIDIG_COMP_CNT: 0
	.section	.text._ZN7rocprim17ROCPRIM_400000_NS6detail17trampoline_kernelINS0_14default_configENS1_25partition_config_selectorILNS1_17partition_subalgoE5EyNS0_10empty_typeEbEEZZNS1_14partition_implILS5_5ELb0ES3_mN6thrust23THRUST_200600_302600_NS6detail15normal_iteratorINSA_10device_ptrIyEEEEPS6_NSA_18transform_iteratorINSB_9not_fun_tI7is_trueIyEEENSC_INSD_IbEEEENSA_11use_defaultESO_EENS0_5tupleIJNSA_16discard_iteratorISO_EES6_EEENSQ_IJSG_SG_EEES6_PlJS6_EEE10hipError_tPvRmT3_T4_T5_T6_T7_T9_mT8_P12ihipStream_tbDpT10_ENKUlT_T0_E_clISt17integral_constantIbLb1EES1E_IbLb0EEEEDaS1A_S1B_EUlS1A_E_NS1_11comp_targetILNS1_3genE9ELNS1_11target_archE1100ELNS1_3gpuE3ELNS1_3repE0EEENS1_30default_config_static_selectorELNS0_4arch9wavefront6targetE0EEEvT1_,"axG",@progbits,_ZN7rocprim17ROCPRIM_400000_NS6detail17trampoline_kernelINS0_14default_configENS1_25partition_config_selectorILNS1_17partition_subalgoE5EyNS0_10empty_typeEbEEZZNS1_14partition_implILS5_5ELb0ES3_mN6thrust23THRUST_200600_302600_NS6detail15normal_iteratorINSA_10device_ptrIyEEEEPS6_NSA_18transform_iteratorINSB_9not_fun_tI7is_trueIyEEENSC_INSD_IbEEEENSA_11use_defaultESO_EENS0_5tupleIJNSA_16discard_iteratorISO_EES6_EEENSQ_IJSG_SG_EEES6_PlJS6_EEE10hipError_tPvRmT3_T4_T5_T6_T7_T9_mT8_P12ihipStream_tbDpT10_ENKUlT_T0_E_clISt17integral_constantIbLb1EES1E_IbLb0EEEEDaS1A_S1B_EUlS1A_E_NS1_11comp_targetILNS1_3genE9ELNS1_11target_archE1100ELNS1_3gpuE3ELNS1_3repE0EEENS1_30default_config_static_selectorELNS0_4arch9wavefront6targetE0EEEvT1_,comdat
	.protected	_ZN7rocprim17ROCPRIM_400000_NS6detail17trampoline_kernelINS0_14default_configENS1_25partition_config_selectorILNS1_17partition_subalgoE5EyNS0_10empty_typeEbEEZZNS1_14partition_implILS5_5ELb0ES3_mN6thrust23THRUST_200600_302600_NS6detail15normal_iteratorINSA_10device_ptrIyEEEEPS6_NSA_18transform_iteratorINSB_9not_fun_tI7is_trueIyEEENSC_INSD_IbEEEENSA_11use_defaultESO_EENS0_5tupleIJNSA_16discard_iteratorISO_EES6_EEENSQ_IJSG_SG_EEES6_PlJS6_EEE10hipError_tPvRmT3_T4_T5_T6_T7_T9_mT8_P12ihipStream_tbDpT10_ENKUlT_T0_E_clISt17integral_constantIbLb1EES1E_IbLb0EEEEDaS1A_S1B_EUlS1A_E_NS1_11comp_targetILNS1_3genE9ELNS1_11target_archE1100ELNS1_3gpuE3ELNS1_3repE0EEENS1_30default_config_static_selectorELNS0_4arch9wavefront6targetE0EEEvT1_ ; -- Begin function _ZN7rocprim17ROCPRIM_400000_NS6detail17trampoline_kernelINS0_14default_configENS1_25partition_config_selectorILNS1_17partition_subalgoE5EyNS0_10empty_typeEbEEZZNS1_14partition_implILS5_5ELb0ES3_mN6thrust23THRUST_200600_302600_NS6detail15normal_iteratorINSA_10device_ptrIyEEEEPS6_NSA_18transform_iteratorINSB_9not_fun_tI7is_trueIyEEENSC_INSD_IbEEEENSA_11use_defaultESO_EENS0_5tupleIJNSA_16discard_iteratorISO_EES6_EEENSQ_IJSG_SG_EEES6_PlJS6_EEE10hipError_tPvRmT3_T4_T5_T6_T7_T9_mT8_P12ihipStream_tbDpT10_ENKUlT_T0_E_clISt17integral_constantIbLb1EES1E_IbLb0EEEEDaS1A_S1B_EUlS1A_E_NS1_11comp_targetILNS1_3genE9ELNS1_11target_archE1100ELNS1_3gpuE3ELNS1_3repE0EEENS1_30default_config_static_selectorELNS0_4arch9wavefront6targetE0EEEvT1_
	.globl	_ZN7rocprim17ROCPRIM_400000_NS6detail17trampoline_kernelINS0_14default_configENS1_25partition_config_selectorILNS1_17partition_subalgoE5EyNS0_10empty_typeEbEEZZNS1_14partition_implILS5_5ELb0ES3_mN6thrust23THRUST_200600_302600_NS6detail15normal_iteratorINSA_10device_ptrIyEEEEPS6_NSA_18transform_iteratorINSB_9not_fun_tI7is_trueIyEEENSC_INSD_IbEEEENSA_11use_defaultESO_EENS0_5tupleIJNSA_16discard_iteratorISO_EES6_EEENSQ_IJSG_SG_EEES6_PlJS6_EEE10hipError_tPvRmT3_T4_T5_T6_T7_T9_mT8_P12ihipStream_tbDpT10_ENKUlT_T0_E_clISt17integral_constantIbLb1EES1E_IbLb0EEEEDaS1A_S1B_EUlS1A_E_NS1_11comp_targetILNS1_3genE9ELNS1_11target_archE1100ELNS1_3gpuE3ELNS1_3repE0EEENS1_30default_config_static_selectorELNS0_4arch9wavefront6targetE0EEEvT1_
	.p2align	8
	.type	_ZN7rocprim17ROCPRIM_400000_NS6detail17trampoline_kernelINS0_14default_configENS1_25partition_config_selectorILNS1_17partition_subalgoE5EyNS0_10empty_typeEbEEZZNS1_14partition_implILS5_5ELb0ES3_mN6thrust23THRUST_200600_302600_NS6detail15normal_iteratorINSA_10device_ptrIyEEEEPS6_NSA_18transform_iteratorINSB_9not_fun_tI7is_trueIyEEENSC_INSD_IbEEEENSA_11use_defaultESO_EENS0_5tupleIJNSA_16discard_iteratorISO_EES6_EEENSQ_IJSG_SG_EEES6_PlJS6_EEE10hipError_tPvRmT3_T4_T5_T6_T7_T9_mT8_P12ihipStream_tbDpT10_ENKUlT_T0_E_clISt17integral_constantIbLb1EES1E_IbLb0EEEEDaS1A_S1B_EUlS1A_E_NS1_11comp_targetILNS1_3genE9ELNS1_11target_archE1100ELNS1_3gpuE3ELNS1_3repE0EEENS1_30default_config_static_selectorELNS0_4arch9wavefront6targetE0EEEvT1_,@function
_ZN7rocprim17ROCPRIM_400000_NS6detail17trampoline_kernelINS0_14default_configENS1_25partition_config_selectorILNS1_17partition_subalgoE5EyNS0_10empty_typeEbEEZZNS1_14partition_implILS5_5ELb0ES3_mN6thrust23THRUST_200600_302600_NS6detail15normal_iteratorINSA_10device_ptrIyEEEEPS6_NSA_18transform_iteratorINSB_9not_fun_tI7is_trueIyEEENSC_INSD_IbEEEENSA_11use_defaultESO_EENS0_5tupleIJNSA_16discard_iteratorISO_EES6_EEENSQ_IJSG_SG_EEES6_PlJS6_EEE10hipError_tPvRmT3_T4_T5_T6_T7_T9_mT8_P12ihipStream_tbDpT10_ENKUlT_T0_E_clISt17integral_constantIbLb1EES1E_IbLb0EEEEDaS1A_S1B_EUlS1A_E_NS1_11comp_targetILNS1_3genE9ELNS1_11target_archE1100ELNS1_3gpuE3ELNS1_3repE0EEENS1_30default_config_static_selectorELNS0_4arch9wavefront6targetE0EEEvT1_: ; @_ZN7rocprim17ROCPRIM_400000_NS6detail17trampoline_kernelINS0_14default_configENS1_25partition_config_selectorILNS1_17partition_subalgoE5EyNS0_10empty_typeEbEEZZNS1_14partition_implILS5_5ELb0ES3_mN6thrust23THRUST_200600_302600_NS6detail15normal_iteratorINSA_10device_ptrIyEEEEPS6_NSA_18transform_iteratorINSB_9not_fun_tI7is_trueIyEEENSC_INSD_IbEEEENSA_11use_defaultESO_EENS0_5tupleIJNSA_16discard_iteratorISO_EES6_EEENSQ_IJSG_SG_EEES6_PlJS6_EEE10hipError_tPvRmT3_T4_T5_T6_T7_T9_mT8_P12ihipStream_tbDpT10_ENKUlT_T0_E_clISt17integral_constantIbLb1EES1E_IbLb0EEEEDaS1A_S1B_EUlS1A_E_NS1_11comp_targetILNS1_3genE9ELNS1_11target_archE1100ELNS1_3gpuE3ELNS1_3repE0EEENS1_30default_config_static_selectorELNS0_4arch9wavefront6targetE0EEEvT1_
; %bb.0:
	.section	.rodata,"a",@progbits
	.p2align	6, 0x0
	.amdhsa_kernel _ZN7rocprim17ROCPRIM_400000_NS6detail17trampoline_kernelINS0_14default_configENS1_25partition_config_selectorILNS1_17partition_subalgoE5EyNS0_10empty_typeEbEEZZNS1_14partition_implILS5_5ELb0ES3_mN6thrust23THRUST_200600_302600_NS6detail15normal_iteratorINSA_10device_ptrIyEEEEPS6_NSA_18transform_iteratorINSB_9not_fun_tI7is_trueIyEEENSC_INSD_IbEEEENSA_11use_defaultESO_EENS0_5tupleIJNSA_16discard_iteratorISO_EES6_EEENSQ_IJSG_SG_EEES6_PlJS6_EEE10hipError_tPvRmT3_T4_T5_T6_T7_T9_mT8_P12ihipStream_tbDpT10_ENKUlT_T0_E_clISt17integral_constantIbLb1EES1E_IbLb0EEEEDaS1A_S1B_EUlS1A_E_NS1_11comp_targetILNS1_3genE9ELNS1_11target_archE1100ELNS1_3gpuE3ELNS1_3repE0EEENS1_30default_config_static_selectorELNS0_4arch9wavefront6targetE0EEEvT1_
		.amdhsa_group_segment_fixed_size 0
		.amdhsa_private_segment_fixed_size 0
		.amdhsa_kernarg_size 128
		.amdhsa_user_sgpr_count 2
		.amdhsa_user_sgpr_dispatch_ptr 0
		.amdhsa_user_sgpr_queue_ptr 0
		.amdhsa_user_sgpr_kernarg_segment_ptr 1
		.amdhsa_user_sgpr_dispatch_id 0
		.amdhsa_user_sgpr_private_segment_size 0
		.amdhsa_wavefront_size32 1
		.amdhsa_uses_dynamic_stack 0
		.amdhsa_enable_private_segment 0
		.amdhsa_system_sgpr_workgroup_id_x 1
		.amdhsa_system_sgpr_workgroup_id_y 0
		.amdhsa_system_sgpr_workgroup_id_z 0
		.amdhsa_system_sgpr_workgroup_info 0
		.amdhsa_system_vgpr_workitem_id 0
		.amdhsa_next_free_vgpr 1
		.amdhsa_next_free_sgpr 1
		.amdhsa_reserve_vcc 0
		.amdhsa_float_round_mode_32 0
		.amdhsa_float_round_mode_16_64 0
		.amdhsa_float_denorm_mode_32 3
		.amdhsa_float_denorm_mode_16_64 3
		.amdhsa_fp16_overflow 0
		.amdhsa_workgroup_processor_mode 1
		.amdhsa_memory_ordered 1
		.amdhsa_forward_progress 1
		.amdhsa_inst_pref_size 0
		.amdhsa_round_robin_scheduling 0
		.amdhsa_exception_fp_ieee_invalid_op 0
		.amdhsa_exception_fp_denorm_src 0
		.amdhsa_exception_fp_ieee_div_zero 0
		.amdhsa_exception_fp_ieee_overflow 0
		.amdhsa_exception_fp_ieee_underflow 0
		.amdhsa_exception_fp_ieee_inexact 0
		.amdhsa_exception_int_div_zero 0
	.end_amdhsa_kernel
	.section	.text._ZN7rocprim17ROCPRIM_400000_NS6detail17trampoline_kernelINS0_14default_configENS1_25partition_config_selectorILNS1_17partition_subalgoE5EyNS0_10empty_typeEbEEZZNS1_14partition_implILS5_5ELb0ES3_mN6thrust23THRUST_200600_302600_NS6detail15normal_iteratorINSA_10device_ptrIyEEEEPS6_NSA_18transform_iteratorINSB_9not_fun_tI7is_trueIyEEENSC_INSD_IbEEEENSA_11use_defaultESO_EENS0_5tupleIJNSA_16discard_iteratorISO_EES6_EEENSQ_IJSG_SG_EEES6_PlJS6_EEE10hipError_tPvRmT3_T4_T5_T6_T7_T9_mT8_P12ihipStream_tbDpT10_ENKUlT_T0_E_clISt17integral_constantIbLb1EES1E_IbLb0EEEEDaS1A_S1B_EUlS1A_E_NS1_11comp_targetILNS1_3genE9ELNS1_11target_archE1100ELNS1_3gpuE3ELNS1_3repE0EEENS1_30default_config_static_selectorELNS0_4arch9wavefront6targetE0EEEvT1_,"axG",@progbits,_ZN7rocprim17ROCPRIM_400000_NS6detail17trampoline_kernelINS0_14default_configENS1_25partition_config_selectorILNS1_17partition_subalgoE5EyNS0_10empty_typeEbEEZZNS1_14partition_implILS5_5ELb0ES3_mN6thrust23THRUST_200600_302600_NS6detail15normal_iteratorINSA_10device_ptrIyEEEEPS6_NSA_18transform_iteratorINSB_9not_fun_tI7is_trueIyEEENSC_INSD_IbEEEENSA_11use_defaultESO_EENS0_5tupleIJNSA_16discard_iteratorISO_EES6_EEENSQ_IJSG_SG_EEES6_PlJS6_EEE10hipError_tPvRmT3_T4_T5_T6_T7_T9_mT8_P12ihipStream_tbDpT10_ENKUlT_T0_E_clISt17integral_constantIbLb1EES1E_IbLb0EEEEDaS1A_S1B_EUlS1A_E_NS1_11comp_targetILNS1_3genE9ELNS1_11target_archE1100ELNS1_3gpuE3ELNS1_3repE0EEENS1_30default_config_static_selectorELNS0_4arch9wavefront6targetE0EEEvT1_,comdat
.Lfunc_end2675:
	.size	_ZN7rocprim17ROCPRIM_400000_NS6detail17trampoline_kernelINS0_14default_configENS1_25partition_config_selectorILNS1_17partition_subalgoE5EyNS0_10empty_typeEbEEZZNS1_14partition_implILS5_5ELb0ES3_mN6thrust23THRUST_200600_302600_NS6detail15normal_iteratorINSA_10device_ptrIyEEEEPS6_NSA_18transform_iteratorINSB_9not_fun_tI7is_trueIyEEENSC_INSD_IbEEEENSA_11use_defaultESO_EENS0_5tupleIJNSA_16discard_iteratorISO_EES6_EEENSQ_IJSG_SG_EEES6_PlJS6_EEE10hipError_tPvRmT3_T4_T5_T6_T7_T9_mT8_P12ihipStream_tbDpT10_ENKUlT_T0_E_clISt17integral_constantIbLb1EES1E_IbLb0EEEEDaS1A_S1B_EUlS1A_E_NS1_11comp_targetILNS1_3genE9ELNS1_11target_archE1100ELNS1_3gpuE3ELNS1_3repE0EEENS1_30default_config_static_selectorELNS0_4arch9wavefront6targetE0EEEvT1_, .Lfunc_end2675-_ZN7rocprim17ROCPRIM_400000_NS6detail17trampoline_kernelINS0_14default_configENS1_25partition_config_selectorILNS1_17partition_subalgoE5EyNS0_10empty_typeEbEEZZNS1_14partition_implILS5_5ELb0ES3_mN6thrust23THRUST_200600_302600_NS6detail15normal_iteratorINSA_10device_ptrIyEEEEPS6_NSA_18transform_iteratorINSB_9not_fun_tI7is_trueIyEEENSC_INSD_IbEEEENSA_11use_defaultESO_EENS0_5tupleIJNSA_16discard_iteratorISO_EES6_EEENSQ_IJSG_SG_EEES6_PlJS6_EEE10hipError_tPvRmT3_T4_T5_T6_T7_T9_mT8_P12ihipStream_tbDpT10_ENKUlT_T0_E_clISt17integral_constantIbLb1EES1E_IbLb0EEEEDaS1A_S1B_EUlS1A_E_NS1_11comp_targetILNS1_3genE9ELNS1_11target_archE1100ELNS1_3gpuE3ELNS1_3repE0EEENS1_30default_config_static_selectorELNS0_4arch9wavefront6targetE0EEEvT1_
                                        ; -- End function
	.set _ZN7rocprim17ROCPRIM_400000_NS6detail17trampoline_kernelINS0_14default_configENS1_25partition_config_selectorILNS1_17partition_subalgoE5EyNS0_10empty_typeEbEEZZNS1_14partition_implILS5_5ELb0ES3_mN6thrust23THRUST_200600_302600_NS6detail15normal_iteratorINSA_10device_ptrIyEEEEPS6_NSA_18transform_iteratorINSB_9not_fun_tI7is_trueIyEEENSC_INSD_IbEEEENSA_11use_defaultESO_EENS0_5tupleIJNSA_16discard_iteratorISO_EES6_EEENSQ_IJSG_SG_EEES6_PlJS6_EEE10hipError_tPvRmT3_T4_T5_T6_T7_T9_mT8_P12ihipStream_tbDpT10_ENKUlT_T0_E_clISt17integral_constantIbLb1EES1E_IbLb0EEEEDaS1A_S1B_EUlS1A_E_NS1_11comp_targetILNS1_3genE9ELNS1_11target_archE1100ELNS1_3gpuE3ELNS1_3repE0EEENS1_30default_config_static_selectorELNS0_4arch9wavefront6targetE0EEEvT1_.num_vgpr, 0
	.set _ZN7rocprim17ROCPRIM_400000_NS6detail17trampoline_kernelINS0_14default_configENS1_25partition_config_selectorILNS1_17partition_subalgoE5EyNS0_10empty_typeEbEEZZNS1_14partition_implILS5_5ELb0ES3_mN6thrust23THRUST_200600_302600_NS6detail15normal_iteratorINSA_10device_ptrIyEEEEPS6_NSA_18transform_iteratorINSB_9not_fun_tI7is_trueIyEEENSC_INSD_IbEEEENSA_11use_defaultESO_EENS0_5tupleIJNSA_16discard_iteratorISO_EES6_EEENSQ_IJSG_SG_EEES6_PlJS6_EEE10hipError_tPvRmT3_T4_T5_T6_T7_T9_mT8_P12ihipStream_tbDpT10_ENKUlT_T0_E_clISt17integral_constantIbLb1EES1E_IbLb0EEEEDaS1A_S1B_EUlS1A_E_NS1_11comp_targetILNS1_3genE9ELNS1_11target_archE1100ELNS1_3gpuE3ELNS1_3repE0EEENS1_30default_config_static_selectorELNS0_4arch9wavefront6targetE0EEEvT1_.num_agpr, 0
	.set _ZN7rocprim17ROCPRIM_400000_NS6detail17trampoline_kernelINS0_14default_configENS1_25partition_config_selectorILNS1_17partition_subalgoE5EyNS0_10empty_typeEbEEZZNS1_14partition_implILS5_5ELb0ES3_mN6thrust23THRUST_200600_302600_NS6detail15normal_iteratorINSA_10device_ptrIyEEEEPS6_NSA_18transform_iteratorINSB_9not_fun_tI7is_trueIyEEENSC_INSD_IbEEEENSA_11use_defaultESO_EENS0_5tupleIJNSA_16discard_iteratorISO_EES6_EEENSQ_IJSG_SG_EEES6_PlJS6_EEE10hipError_tPvRmT3_T4_T5_T6_T7_T9_mT8_P12ihipStream_tbDpT10_ENKUlT_T0_E_clISt17integral_constantIbLb1EES1E_IbLb0EEEEDaS1A_S1B_EUlS1A_E_NS1_11comp_targetILNS1_3genE9ELNS1_11target_archE1100ELNS1_3gpuE3ELNS1_3repE0EEENS1_30default_config_static_selectorELNS0_4arch9wavefront6targetE0EEEvT1_.numbered_sgpr, 0
	.set _ZN7rocprim17ROCPRIM_400000_NS6detail17trampoline_kernelINS0_14default_configENS1_25partition_config_selectorILNS1_17partition_subalgoE5EyNS0_10empty_typeEbEEZZNS1_14partition_implILS5_5ELb0ES3_mN6thrust23THRUST_200600_302600_NS6detail15normal_iteratorINSA_10device_ptrIyEEEEPS6_NSA_18transform_iteratorINSB_9not_fun_tI7is_trueIyEEENSC_INSD_IbEEEENSA_11use_defaultESO_EENS0_5tupleIJNSA_16discard_iteratorISO_EES6_EEENSQ_IJSG_SG_EEES6_PlJS6_EEE10hipError_tPvRmT3_T4_T5_T6_T7_T9_mT8_P12ihipStream_tbDpT10_ENKUlT_T0_E_clISt17integral_constantIbLb1EES1E_IbLb0EEEEDaS1A_S1B_EUlS1A_E_NS1_11comp_targetILNS1_3genE9ELNS1_11target_archE1100ELNS1_3gpuE3ELNS1_3repE0EEENS1_30default_config_static_selectorELNS0_4arch9wavefront6targetE0EEEvT1_.num_named_barrier, 0
	.set _ZN7rocprim17ROCPRIM_400000_NS6detail17trampoline_kernelINS0_14default_configENS1_25partition_config_selectorILNS1_17partition_subalgoE5EyNS0_10empty_typeEbEEZZNS1_14partition_implILS5_5ELb0ES3_mN6thrust23THRUST_200600_302600_NS6detail15normal_iteratorINSA_10device_ptrIyEEEEPS6_NSA_18transform_iteratorINSB_9not_fun_tI7is_trueIyEEENSC_INSD_IbEEEENSA_11use_defaultESO_EENS0_5tupleIJNSA_16discard_iteratorISO_EES6_EEENSQ_IJSG_SG_EEES6_PlJS6_EEE10hipError_tPvRmT3_T4_T5_T6_T7_T9_mT8_P12ihipStream_tbDpT10_ENKUlT_T0_E_clISt17integral_constantIbLb1EES1E_IbLb0EEEEDaS1A_S1B_EUlS1A_E_NS1_11comp_targetILNS1_3genE9ELNS1_11target_archE1100ELNS1_3gpuE3ELNS1_3repE0EEENS1_30default_config_static_selectorELNS0_4arch9wavefront6targetE0EEEvT1_.private_seg_size, 0
	.set _ZN7rocprim17ROCPRIM_400000_NS6detail17trampoline_kernelINS0_14default_configENS1_25partition_config_selectorILNS1_17partition_subalgoE5EyNS0_10empty_typeEbEEZZNS1_14partition_implILS5_5ELb0ES3_mN6thrust23THRUST_200600_302600_NS6detail15normal_iteratorINSA_10device_ptrIyEEEEPS6_NSA_18transform_iteratorINSB_9not_fun_tI7is_trueIyEEENSC_INSD_IbEEEENSA_11use_defaultESO_EENS0_5tupleIJNSA_16discard_iteratorISO_EES6_EEENSQ_IJSG_SG_EEES6_PlJS6_EEE10hipError_tPvRmT3_T4_T5_T6_T7_T9_mT8_P12ihipStream_tbDpT10_ENKUlT_T0_E_clISt17integral_constantIbLb1EES1E_IbLb0EEEEDaS1A_S1B_EUlS1A_E_NS1_11comp_targetILNS1_3genE9ELNS1_11target_archE1100ELNS1_3gpuE3ELNS1_3repE0EEENS1_30default_config_static_selectorELNS0_4arch9wavefront6targetE0EEEvT1_.uses_vcc, 0
	.set _ZN7rocprim17ROCPRIM_400000_NS6detail17trampoline_kernelINS0_14default_configENS1_25partition_config_selectorILNS1_17partition_subalgoE5EyNS0_10empty_typeEbEEZZNS1_14partition_implILS5_5ELb0ES3_mN6thrust23THRUST_200600_302600_NS6detail15normal_iteratorINSA_10device_ptrIyEEEEPS6_NSA_18transform_iteratorINSB_9not_fun_tI7is_trueIyEEENSC_INSD_IbEEEENSA_11use_defaultESO_EENS0_5tupleIJNSA_16discard_iteratorISO_EES6_EEENSQ_IJSG_SG_EEES6_PlJS6_EEE10hipError_tPvRmT3_T4_T5_T6_T7_T9_mT8_P12ihipStream_tbDpT10_ENKUlT_T0_E_clISt17integral_constantIbLb1EES1E_IbLb0EEEEDaS1A_S1B_EUlS1A_E_NS1_11comp_targetILNS1_3genE9ELNS1_11target_archE1100ELNS1_3gpuE3ELNS1_3repE0EEENS1_30default_config_static_selectorELNS0_4arch9wavefront6targetE0EEEvT1_.uses_flat_scratch, 0
	.set _ZN7rocprim17ROCPRIM_400000_NS6detail17trampoline_kernelINS0_14default_configENS1_25partition_config_selectorILNS1_17partition_subalgoE5EyNS0_10empty_typeEbEEZZNS1_14partition_implILS5_5ELb0ES3_mN6thrust23THRUST_200600_302600_NS6detail15normal_iteratorINSA_10device_ptrIyEEEEPS6_NSA_18transform_iteratorINSB_9not_fun_tI7is_trueIyEEENSC_INSD_IbEEEENSA_11use_defaultESO_EENS0_5tupleIJNSA_16discard_iteratorISO_EES6_EEENSQ_IJSG_SG_EEES6_PlJS6_EEE10hipError_tPvRmT3_T4_T5_T6_T7_T9_mT8_P12ihipStream_tbDpT10_ENKUlT_T0_E_clISt17integral_constantIbLb1EES1E_IbLb0EEEEDaS1A_S1B_EUlS1A_E_NS1_11comp_targetILNS1_3genE9ELNS1_11target_archE1100ELNS1_3gpuE3ELNS1_3repE0EEENS1_30default_config_static_selectorELNS0_4arch9wavefront6targetE0EEEvT1_.has_dyn_sized_stack, 0
	.set _ZN7rocprim17ROCPRIM_400000_NS6detail17trampoline_kernelINS0_14default_configENS1_25partition_config_selectorILNS1_17partition_subalgoE5EyNS0_10empty_typeEbEEZZNS1_14partition_implILS5_5ELb0ES3_mN6thrust23THRUST_200600_302600_NS6detail15normal_iteratorINSA_10device_ptrIyEEEEPS6_NSA_18transform_iteratorINSB_9not_fun_tI7is_trueIyEEENSC_INSD_IbEEEENSA_11use_defaultESO_EENS0_5tupleIJNSA_16discard_iteratorISO_EES6_EEENSQ_IJSG_SG_EEES6_PlJS6_EEE10hipError_tPvRmT3_T4_T5_T6_T7_T9_mT8_P12ihipStream_tbDpT10_ENKUlT_T0_E_clISt17integral_constantIbLb1EES1E_IbLb0EEEEDaS1A_S1B_EUlS1A_E_NS1_11comp_targetILNS1_3genE9ELNS1_11target_archE1100ELNS1_3gpuE3ELNS1_3repE0EEENS1_30default_config_static_selectorELNS0_4arch9wavefront6targetE0EEEvT1_.has_recursion, 0
	.set _ZN7rocprim17ROCPRIM_400000_NS6detail17trampoline_kernelINS0_14default_configENS1_25partition_config_selectorILNS1_17partition_subalgoE5EyNS0_10empty_typeEbEEZZNS1_14partition_implILS5_5ELb0ES3_mN6thrust23THRUST_200600_302600_NS6detail15normal_iteratorINSA_10device_ptrIyEEEEPS6_NSA_18transform_iteratorINSB_9not_fun_tI7is_trueIyEEENSC_INSD_IbEEEENSA_11use_defaultESO_EENS0_5tupleIJNSA_16discard_iteratorISO_EES6_EEENSQ_IJSG_SG_EEES6_PlJS6_EEE10hipError_tPvRmT3_T4_T5_T6_T7_T9_mT8_P12ihipStream_tbDpT10_ENKUlT_T0_E_clISt17integral_constantIbLb1EES1E_IbLb0EEEEDaS1A_S1B_EUlS1A_E_NS1_11comp_targetILNS1_3genE9ELNS1_11target_archE1100ELNS1_3gpuE3ELNS1_3repE0EEENS1_30default_config_static_selectorELNS0_4arch9wavefront6targetE0EEEvT1_.has_indirect_call, 0
	.section	.AMDGPU.csdata,"",@progbits
; Kernel info:
; codeLenInByte = 0
; TotalNumSgprs: 0
; NumVgprs: 0
; ScratchSize: 0
; MemoryBound: 0
; FloatMode: 240
; IeeeMode: 1
; LDSByteSize: 0 bytes/workgroup (compile time only)
; SGPRBlocks: 0
; VGPRBlocks: 0
; NumSGPRsForWavesPerEU: 1
; NumVGPRsForWavesPerEU: 1
; Occupancy: 16
; WaveLimiterHint : 0
; COMPUTE_PGM_RSRC2:SCRATCH_EN: 0
; COMPUTE_PGM_RSRC2:USER_SGPR: 2
; COMPUTE_PGM_RSRC2:TRAP_HANDLER: 0
; COMPUTE_PGM_RSRC2:TGID_X_EN: 1
; COMPUTE_PGM_RSRC2:TGID_Y_EN: 0
; COMPUTE_PGM_RSRC2:TGID_Z_EN: 0
; COMPUTE_PGM_RSRC2:TIDIG_COMP_CNT: 0
	.section	.text._ZN7rocprim17ROCPRIM_400000_NS6detail17trampoline_kernelINS0_14default_configENS1_25partition_config_selectorILNS1_17partition_subalgoE5EyNS0_10empty_typeEbEEZZNS1_14partition_implILS5_5ELb0ES3_mN6thrust23THRUST_200600_302600_NS6detail15normal_iteratorINSA_10device_ptrIyEEEEPS6_NSA_18transform_iteratorINSB_9not_fun_tI7is_trueIyEEENSC_INSD_IbEEEENSA_11use_defaultESO_EENS0_5tupleIJNSA_16discard_iteratorISO_EES6_EEENSQ_IJSG_SG_EEES6_PlJS6_EEE10hipError_tPvRmT3_T4_T5_T6_T7_T9_mT8_P12ihipStream_tbDpT10_ENKUlT_T0_E_clISt17integral_constantIbLb1EES1E_IbLb0EEEEDaS1A_S1B_EUlS1A_E_NS1_11comp_targetILNS1_3genE8ELNS1_11target_archE1030ELNS1_3gpuE2ELNS1_3repE0EEENS1_30default_config_static_selectorELNS0_4arch9wavefront6targetE0EEEvT1_,"axG",@progbits,_ZN7rocprim17ROCPRIM_400000_NS6detail17trampoline_kernelINS0_14default_configENS1_25partition_config_selectorILNS1_17partition_subalgoE5EyNS0_10empty_typeEbEEZZNS1_14partition_implILS5_5ELb0ES3_mN6thrust23THRUST_200600_302600_NS6detail15normal_iteratorINSA_10device_ptrIyEEEEPS6_NSA_18transform_iteratorINSB_9not_fun_tI7is_trueIyEEENSC_INSD_IbEEEENSA_11use_defaultESO_EENS0_5tupleIJNSA_16discard_iteratorISO_EES6_EEENSQ_IJSG_SG_EEES6_PlJS6_EEE10hipError_tPvRmT3_T4_T5_T6_T7_T9_mT8_P12ihipStream_tbDpT10_ENKUlT_T0_E_clISt17integral_constantIbLb1EES1E_IbLb0EEEEDaS1A_S1B_EUlS1A_E_NS1_11comp_targetILNS1_3genE8ELNS1_11target_archE1030ELNS1_3gpuE2ELNS1_3repE0EEENS1_30default_config_static_selectorELNS0_4arch9wavefront6targetE0EEEvT1_,comdat
	.protected	_ZN7rocprim17ROCPRIM_400000_NS6detail17trampoline_kernelINS0_14default_configENS1_25partition_config_selectorILNS1_17partition_subalgoE5EyNS0_10empty_typeEbEEZZNS1_14partition_implILS5_5ELb0ES3_mN6thrust23THRUST_200600_302600_NS6detail15normal_iteratorINSA_10device_ptrIyEEEEPS6_NSA_18transform_iteratorINSB_9not_fun_tI7is_trueIyEEENSC_INSD_IbEEEENSA_11use_defaultESO_EENS0_5tupleIJNSA_16discard_iteratorISO_EES6_EEENSQ_IJSG_SG_EEES6_PlJS6_EEE10hipError_tPvRmT3_T4_T5_T6_T7_T9_mT8_P12ihipStream_tbDpT10_ENKUlT_T0_E_clISt17integral_constantIbLb1EES1E_IbLb0EEEEDaS1A_S1B_EUlS1A_E_NS1_11comp_targetILNS1_3genE8ELNS1_11target_archE1030ELNS1_3gpuE2ELNS1_3repE0EEENS1_30default_config_static_selectorELNS0_4arch9wavefront6targetE0EEEvT1_ ; -- Begin function _ZN7rocprim17ROCPRIM_400000_NS6detail17trampoline_kernelINS0_14default_configENS1_25partition_config_selectorILNS1_17partition_subalgoE5EyNS0_10empty_typeEbEEZZNS1_14partition_implILS5_5ELb0ES3_mN6thrust23THRUST_200600_302600_NS6detail15normal_iteratorINSA_10device_ptrIyEEEEPS6_NSA_18transform_iteratorINSB_9not_fun_tI7is_trueIyEEENSC_INSD_IbEEEENSA_11use_defaultESO_EENS0_5tupleIJNSA_16discard_iteratorISO_EES6_EEENSQ_IJSG_SG_EEES6_PlJS6_EEE10hipError_tPvRmT3_T4_T5_T6_T7_T9_mT8_P12ihipStream_tbDpT10_ENKUlT_T0_E_clISt17integral_constantIbLb1EES1E_IbLb0EEEEDaS1A_S1B_EUlS1A_E_NS1_11comp_targetILNS1_3genE8ELNS1_11target_archE1030ELNS1_3gpuE2ELNS1_3repE0EEENS1_30default_config_static_selectorELNS0_4arch9wavefront6targetE0EEEvT1_
	.globl	_ZN7rocprim17ROCPRIM_400000_NS6detail17trampoline_kernelINS0_14default_configENS1_25partition_config_selectorILNS1_17partition_subalgoE5EyNS0_10empty_typeEbEEZZNS1_14partition_implILS5_5ELb0ES3_mN6thrust23THRUST_200600_302600_NS6detail15normal_iteratorINSA_10device_ptrIyEEEEPS6_NSA_18transform_iteratorINSB_9not_fun_tI7is_trueIyEEENSC_INSD_IbEEEENSA_11use_defaultESO_EENS0_5tupleIJNSA_16discard_iteratorISO_EES6_EEENSQ_IJSG_SG_EEES6_PlJS6_EEE10hipError_tPvRmT3_T4_T5_T6_T7_T9_mT8_P12ihipStream_tbDpT10_ENKUlT_T0_E_clISt17integral_constantIbLb1EES1E_IbLb0EEEEDaS1A_S1B_EUlS1A_E_NS1_11comp_targetILNS1_3genE8ELNS1_11target_archE1030ELNS1_3gpuE2ELNS1_3repE0EEENS1_30default_config_static_selectorELNS0_4arch9wavefront6targetE0EEEvT1_
	.p2align	8
	.type	_ZN7rocprim17ROCPRIM_400000_NS6detail17trampoline_kernelINS0_14default_configENS1_25partition_config_selectorILNS1_17partition_subalgoE5EyNS0_10empty_typeEbEEZZNS1_14partition_implILS5_5ELb0ES3_mN6thrust23THRUST_200600_302600_NS6detail15normal_iteratorINSA_10device_ptrIyEEEEPS6_NSA_18transform_iteratorINSB_9not_fun_tI7is_trueIyEEENSC_INSD_IbEEEENSA_11use_defaultESO_EENS0_5tupleIJNSA_16discard_iteratorISO_EES6_EEENSQ_IJSG_SG_EEES6_PlJS6_EEE10hipError_tPvRmT3_T4_T5_T6_T7_T9_mT8_P12ihipStream_tbDpT10_ENKUlT_T0_E_clISt17integral_constantIbLb1EES1E_IbLb0EEEEDaS1A_S1B_EUlS1A_E_NS1_11comp_targetILNS1_3genE8ELNS1_11target_archE1030ELNS1_3gpuE2ELNS1_3repE0EEENS1_30default_config_static_selectorELNS0_4arch9wavefront6targetE0EEEvT1_,@function
_ZN7rocprim17ROCPRIM_400000_NS6detail17trampoline_kernelINS0_14default_configENS1_25partition_config_selectorILNS1_17partition_subalgoE5EyNS0_10empty_typeEbEEZZNS1_14partition_implILS5_5ELb0ES3_mN6thrust23THRUST_200600_302600_NS6detail15normal_iteratorINSA_10device_ptrIyEEEEPS6_NSA_18transform_iteratorINSB_9not_fun_tI7is_trueIyEEENSC_INSD_IbEEEENSA_11use_defaultESO_EENS0_5tupleIJNSA_16discard_iteratorISO_EES6_EEENSQ_IJSG_SG_EEES6_PlJS6_EEE10hipError_tPvRmT3_T4_T5_T6_T7_T9_mT8_P12ihipStream_tbDpT10_ENKUlT_T0_E_clISt17integral_constantIbLb1EES1E_IbLb0EEEEDaS1A_S1B_EUlS1A_E_NS1_11comp_targetILNS1_3genE8ELNS1_11target_archE1030ELNS1_3gpuE2ELNS1_3repE0EEENS1_30default_config_static_selectorELNS0_4arch9wavefront6targetE0EEEvT1_: ; @_ZN7rocprim17ROCPRIM_400000_NS6detail17trampoline_kernelINS0_14default_configENS1_25partition_config_selectorILNS1_17partition_subalgoE5EyNS0_10empty_typeEbEEZZNS1_14partition_implILS5_5ELb0ES3_mN6thrust23THRUST_200600_302600_NS6detail15normal_iteratorINSA_10device_ptrIyEEEEPS6_NSA_18transform_iteratorINSB_9not_fun_tI7is_trueIyEEENSC_INSD_IbEEEENSA_11use_defaultESO_EENS0_5tupleIJNSA_16discard_iteratorISO_EES6_EEENSQ_IJSG_SG_EEES6_PlJS6_EEE10hipError_tPvRmT3_T4_T5_T6_T7_T9_mT8_P12ihipStream_tbDpT10_ENKUlT_T0_E_clISt17integral_constantIbLb1EES1E_IbLb0EEEEDaS1A_S1B_EUlS1A_E_NS1_11comp_targetILNS1_3genE8ELNS1_11target_archE1030ELNS1_3gpuE2ELNS1_3repE0EEENS1_30default_config_static_selectorELNS0_4arch9wavefront6targetE0EEEvT1_
; %bb.0:
	.section	.rodata,"a",@progbits
	.p2align	6, 0x0
	.amdhsa_kernel _ZN7rocprim17ROCPRIM_400000_NS6detail17trampoline_kernelINS0_14default_configENS1_25partition_config_selectorILNS1_17partition_subalgoE5EyNS0_10empty_typeEbEEZZNS1_14partition_implILS5_5ELb0ES3_mN6thrust23THRUST_200600_302600_NS6detail15normal_iteratorINSA_10device_ptrIyEEEEPS6_NSA_18transform_iteratorINSB_9not_fun_tI7is_trueIyEEENSC_INSD_IbEEEENSA_11use_defaultESO_EENS0_5tupleIJNSA_16discard_iteratorISO_EES6_EEENSQ_IJSG_SG_EEES6_PlJS6_EEE10hipError_tPvRmT3_T4_T5_T6_T7_T9_mT8_P12ihipStream_tbDpT10_ENKUlT_T0_E_clISt17integral_constantIbLb1EES1E_IbLb0EEEEDaS1A_S1B_EUlS1A_E_NS1_11comp_targetILNS1_3genE8ELNS1_11target_archE1030ELNS1_3gpuE2ELNS1_3repE0EEENS1_30default_config_static_selectorELNS0_4arch9wavefront6targetE0EEEvT1_
		.amdhsa_group_segment_fixed_size 0
		.amdhsa_private_segment_fixed_size 0
		.amdhsa_kernarg_size 128
		.amdhsa_user_sgpr_count 2
		.amdhsa_user_sgpr_dispatch_ptr 0
		.amdhsa_user_sgpr_queue_ptr 0
		.amdhsa_user_sgpr_kernarg_segment_ptr 1
		.amdhsa_user_sgpr_dispatch_id 0
		.amdhsa_user_sgpr_private_segment_size 0
		.amdhsa_wavefront_size32 1
		.amdhsa_uses_dynamic_stack 0
		.amdhsa_enable_private_segment 0
		.amdhsa_system_sgpr_workgroup_id_x 1
		.amdhsa_system_sgpr_workgroup_id_y 0
		.amdhsa_system_sgpr_workgroup_id_z 0
		.amdhsa_system_sgpr_workgroup_info 0
		.amdhsa_system_vgpr_workitem_id 0
		.amdhsa_next_free_vgpr 1
		.amdhsa_next_free_sgpr 1
		.amdhsa_reserve_vcc 0
		.amdhsa_float_round_mode_32 0
		.amdhsa_float_round_mode_16_64 0
		.amdhsa_float_denorm_mode_32 3
		.amdhsa_float_denorm_mode_16_64 3
		.amdhsa_fp16_overflow 0
		.amdhsa_workgroup_processor_mode 1
		.amdhsa_memory_ordered 1
		.amdhsa_forward_progress 1
		.amdhsa_inst_pref_size 0
		.amdhsa_round_robin_scheduling 0
		.amdhsa_exception_fp_ieee_invalid_op 0
		.amdhsa_exception_fp_denorm_src 0
		.amdhsa_exception_fp_ieee_div_zero 0
		.amdhsa_exception_fp_ieee_overflow 0
		.amdhsa_exception_fp_ieee_underflow 0
		.amdhsa_exception_fp_ieee_inexact 0
		.amdhsa_exception_int_div_zero 0
	.end_amdhsa_kernel
	.section	.text._ZN7rocprim17ROCPRIM_400000_NS6detail17trampoline_kernelINS0_14default_configENS1_25partition_config_selectorILNS1_17partition_subalgoE5EyNS0_10empty_typeEbEEZZNS1_14partition_implILS5_5ELb0ES3_mN6thrust23THRUST_200600_302600_NS6detail15normal_iteratorINSA_10device_ptrIyEEEEPS6_NSA_18transform_iteratorINSB_9not_fun_tI7is_trueIyEEENSC_INSD_IbEEEENSA_11use_defaultESO_EENS0_5tupleIJNSA_16discard_iteratorISO_EES6_EEENSQ_IJSG_SG_EEES6_PlJS6_EEE10hipError_tPvRmT3_T4_T5_T6_T7_T9_mT8_P12ihipStream_tbDpT10_ENKUlT_T0_E_clISt17integral_constantIbLb1EES1E_IbLb0EEEEDaS1A_S1B_EUlS1A_E_NS1_11comp_targetILNS1_3genE8ELNS1_11target_archE1030ELNS1_3gpuE2ELNS1_3repE0EEENS1_30default_config_static_selectorELNS0_4arch9wavefront6targetE0EEEvT1_,"axG",@progbits,_ZN7rocprim17ROCPRIM_400000_NS6detail17trampoline_kernelINS0_14default_configENS1_25partition_config_selectorILNS1_17partition_subalgoE5EyNS0_10empty_typeEbEEZZNS1_14partition_implILS5_5ELb0ES3_mN6thrust23THRUST_200600_302600_NS6detail15normal_iteratorINSA_10device_ptrIyEEEEPS6_NSA_18transform_iteratorINSB_9not_fun_tI7is_trueIyEEENSC_INSD_IbEEEENSA_11use_defaultESO_EENS0_5tupleIJNSA_16discard_iteratorISO_EES6_EEENSQ_IJSG_SG_EEES6_PlJS6_EEE10hipError_tPvRmT3_T4_T5_T6_T7_T9_mT8_P12ihipStream_tbDpT10_ENKUlT_T0_E_clISt17integral_constantIbLb1EES1E_IbLb0EEEEDaS1A_S1B_EUlS1A_E_NS1_11comp_targetILNS1_3genE8ELNS1_11target_archE1030ELNS1_3gpuE2ELNS1_3repE0EEENS1_30default_config_static_selectorELNS0_4arch9wavefront6targetE0EEEvT1_,comdat
.Lfunc_end2676:
	.size	_ZN7rocprim17ROCPRIM_400000_NS6detail17trampoline_kernelINS0_14default_configENS1_25partition_config_selectorILNS1_17partition_subalgoE5EyNS0_10empty_typeEbEEZZNS1_14partition_implILS5_5ELb0ES3_mN6thrust23THRUST_200600_302600_NS6detail15normal_iteratorINSA_10device_ptrIyEEEEPS6_NSA_18transform_iteratorINSB_9not_fun_tI7is_trueIyEEENSC_INSD_IbEEEENSA_11use_defaultESO_EENS0_5tupleIJNSA_16discard_iteratorISO_EES6_EEENSQ_IJSG_SG_EEES6_PlJS6_EEE10hipError_tPvRmT3_T4_T5_T6_T7_T9_mT8_P12ihipStream_tbDpT10_ENKUlT_T0_E_clISt17integral_constantIbLb1EES1E_IbLb0EEEEDaS1A_S1B_EUlS1A_E_NS1_11comp_targetILNS1_3genE8ELNS1_11target_archE1030ELNS1_3gpuE2ELNS1_3repE0EEENS1_30default_config_static_selectorELNS0_4arch9wavefront6targetE0EEEvT1_, .Lfunc_end2676-_ZN7rocprim17ROCPRIM_400000_NS6detail17trampoline_kernelINS0_14default_configENS1_25partition_config_selectorILNS1_17partition_subalgoE5EyNS0_10empty_typeEbEEZZNS1_14partition_implILS5_5ELb0ES3_mN6thrust23THRUST_200600_302600_NS6detail15normal_iteratorINSA_10device_ptrIyEEEEPS6_NSA_18transform_iteratorINSB_9not_fun_tI7is_trueIyEEENSC_INSD_IbEEEENSA_11use_defaultESO_EENS0_5tupleIJNSA_16discard_iteratorISO_EES6_EEENSQ_IJSG_SG_EEES6_PlJS6_EEE10hipError_tPvRmT3_T4_T5_T6_T7_T9_mT8_P12ihipStream_tbDpT10_ENKUlT_T0_E_clISt17integral_constantIbLb1EES1E_IbLb0EEEEDaS1A_S1B_EUlS1A_E_NS1_11comp_targetILNS1_3genE8ELNS1_11target_archE1030ELNS1_3gpuE2ELNS1_3repE0EEENS1_30default_config_static_selectorELNS0_4arch9wavefront6targetE0EEEvT1_
                                        ; -- End function
	.set _ZN7rocprim17ROCPRIM_400000_NS6detail17trampoline_kernelINS0_14default_configENS1_25partition_config_selectorILNS1_17partition_subalgoE5EyNS0_10empty_typeEbEEZZNS1_14partition_implILS5_5ELb0ES3_mN6thrust23THRUST_200600_302600_NS6detail15normal_iteratorINSA_10device_ptrIyEEEEPS6_NSA_18transform_iteratorINSB_9not_fun_tI7is_trueIyEEENSC_INSD_IbEEEENSA_11use_defaultESO_EENS0_5tupleIJNSA_16discard_iteratorISO_EES6_EEENSQ_IJSG_SG_EEES6_PlJS6_EEE10hipError_tPvRmT3_T4_T5_T6_T7_T9_mT8_P12ihipStream_tbDpT10_ENKUlT_T0_E_clISt17integral_constantIbLb1EES1E_IbLb0EEEEDaS1A_S1B_EUlS1A_E_NS1_11comp_targetILNS1_3genE8ELNS1_11target_archE1030ELNS1_3gpuE2ELNS1_3repE0EEENS1_30default_config_static_selectorELNS0_4arch9wavefront6targetE0EEEvT1_.num_vgpr, 0
	.set _ZN7rocprim17ROCPRIM_400000_NS6detail17trampoline_kernelINS0_14default_configENS1_25partition_config_selectorILNS1_17partition_subalgoE5EyNS0_10empty_typeEbEEZZNS1_14partition_implILS5_5ELb0ES3_mN6thrust23THRUST_200600_302600_NS6detail15normal_iteratorINSA_10device_ptrIyEEEEPS6_NSA_18transform_iteratorINSB_9not_fun_tI7is_trueIyEEENSC_INSD_IbEEEENSA_11use_defaultESO_EENS0_5tupleIJNSA_16discard_iteratorISO_EES6_EEENSQ_IJSG_SG_EEES6_PlJS6_EEE10hipError_tPvRmT3_T4_T5_T6_T7_T9_mT8_P12ihipStream_tbDpT10_ENKUlT_T0_E_clISt17integral_constantIbLb1EES1E_IbLb0EEEEDaS1A_S1B_EUlS1A_E_NS1_11comp_targetILNS1_3genE8ELNS1_11target_archE1030ELNS1_3gpuE2ELNS1_3repE0EEENS1_30default_config_static_selectorELNS0_4arch9wavefront6targetE0EEEvT1_.num_agpr, 0
	.set _ZN7rocprim17ROCPRIM_400000_NS6detail17trampoline_kernelINS0_14default_configENS1_25partition_config_selectorILNS1_17partition_subalgoE5EyNS0_10empty_typeEbEEZZNS1_14partition_implILS5_5ELb0ES3_mN6thrust23THRUST_200600_302600_NS6detail15normal_iteratorINSA_10device_ptrIyEEEEPS6_NSA_18transform_iteratorINSB_9not_fun_tI7is_trueIyEEENSC_INSD_IbEEEENSA_11use_defaultESO_EENS0_5tupleIJNSA_16discard_iteratorISO_EES6_EEENSQ_IJSG_SG_EEES6_PlJS6_EEE10hipError_tPvRmT3_T4_T5_T6_T7_T9_mT8_P12ihipStream_tbDpT10_ENKUlT_T0_E_clISt17integral_constantIbLb1EES1E_IbLb0EEEEDaS1A_S1B_EUlS1A_E_NS1_11comp_targetILNS1_3genE8ELNS1_11target_archE1030ELNS1_3gpuE2ELNS1_3repE0EEENS1_30default_config_static_selectorELNS0_4arch9wavefront6targetE0EEEvT1_.numbered_sgpr, 0
	.set _ZN7rocprim17ROCPRIM_400000_NS6detail17trampoline_kernelINS0_14default_configENS1_25partition_config_selectorILNS1_17partition_subalgoE5EyNS0_10empty_typeEbEEZZNS1_14partition_implILS5_5ELb0ES3_mN6thrust23THRUST_200600_302600_NS6detail15normal_iteratorINSA_10device_ptrIyEEEEPS6_NSA_18transform_iteratorINSB_9not_fun_tI7is_trueIyEEENSC_INSD_IbEEEENSA_11use_defaultESO_EENS0_5tupleIJNSA_16discard_iteratorISO_EES6_EEENSQ_IJSG_SG_EEES6_PlJS6_EEE10hipError_tPvRmT3_T4_T5_T6_T7_T9_mT8_P12ihipStream_tbDpT10_ENKUlT_T0_E_clISt17integral_constantIbLb1EES1E_IbLb0EEEEDaS1A_S1B_EUlS1A_E_NS1_11comp_targetILNS1_3genE8ELNS1_11target_archE1030ELNS1_3gpuE2ELNS1_3repE0EEENS1_30default_config_static_selectorELNS0_4arch9wavefront6targetE0EEEvT1_.num_named_barrier, 0
	.set _ZN7rocprim17ROCPRIM_400000_NS6detail17trampoline_kernelINS0_14default_configENS1_25partition_config_selectorILNS1_17partition_subalgoE5EyNS0_10empty_typeEbEEZZNS1_14partition_implILS5_5ELb0ES3_mN6thrust23THRUST_200600_302600_NS6detail15normal_iteratorINSA_10device_ptrIyEEEEPS6_NSA_18transform_iteratorINSB_9not_fun_tI7is_trueIyEEENSC_INSD_IbEEEENSA_11use_defaultESO_EENS0_5tupleIJNSA_16discard_iteratorISO_EES6_EEENSQ_IJSG_SG_EEES6_PlJS6_EEE10hipError_tPvRmT3_T4_T5_T6_T7_T9_mT8_P12ihipStream_tbDpT10_ENKUlT_T0_E_clISt17integral_constantIbLb1EES1E_IbLb0EEEEDaS1A_S1B_EUlS1A_E_NS1_11comp_targetILNS1_3genE8ELNS1_11target_archE1030ELNS1_3gpuE2ELNS1_3repE0EEENS1_30default_config_static_selectorELNS0_4arch9wavefront6targetE0EEEvT1_.private_seg_size, 0
	.set _ZN7rocprim17ROCPRIM_400000_NS6detail17trampoline_kernelINS0_14default_configENS1_25partition_config_selectorILNS1_17partition_subalgoE5EyNS0_10empty_typeEbEEZZNS1_14partition_implILS5_5ELb0ES3_mN6thrust23THRUST_200600_302600_NS6detail15normal_iteratorINSA_10device_ptrIyEEEEPS6_NSA_18transform_iteratorINSB_9not_fun_tI7is_trueIyEEENSC_INSD_IbEEEENSA_11use_defaultESO_EENS0_5tupleIJNSA_16discard_iteratorISO_EES6_EEENSQ_IJSG_SG_EEES6_PlJS6_EEE10hipError_tPvRmT3_T4_T5_T6_T7_T9_mT8_P12ihipStream_tbDpT10_ENKUlT_T0_E_clISt17integral_constantIbLb1EES1E_IbLb0EEEEDaS1A_S1B_EUlS1A_E_NS1_11comp_targetILNS1_3genE8ELNS1_11target_archE1030ELNS1_3gpuE2ELNS1_3repE0EEENS1_30default_config_static_selectorELNS0_4arch9wavefront6targetE0EEEvT1_.uses_vcc, 0
	.set _ZN7rocprim17ROCPRIM_400000_NS6detail17trampoline_kernelINS0_14default_configENS1_25partition_config_selectorILNS1_17partition_subalgoE5EyNS0_10empty_typeEbEEZZNS1_14partition_implILS5_5ELb0ES3_mN6thrust23THRUST_200600_302600_NS6detail15normal_iteratorINSA_10device_ptrIyEEEEPS6_NSA_18transform_iteratorINSB_9not_fun_tI7is_trueIyEEENSC_INSD_IbEEEENSA_11use_defaultESO_EENS0_5tupleIJNSA_16discard_iteratorISO_EES6_EEENSQ_IJSG_SG_EEES6_PlJS6_EEE10hipError_tPvRmT3_T4_T5_T6_T7_T9_mT8_P12ihipStream_tbDpT10_ENKUlT_T0_E_clISt17integral_constantIbLb1EES1E_IbLb0EEEEDaS1A_S1B_EUlS1A_E_NS1_11comp_targetILNS1_3genE8ELNS1_11target_archE1030ELNS1_3gpuE2ELNS1_3repE0EEENS1_30default_config_static_selectorELNS0_4arch9wavefront6targetE0EEEvT1_.uses_flat_scratch, 0
	.set _ZN7rocprim17ROCPRIM_400000_NS6detail17trampoline_kernelINS0_14default_configENS1_25partition_config_selectorILNS1_17partition_subalgoE5EyNS0_10empty_typeEbEEZZNS1_14partition_implILS5_5ELb0ES3_mN6thrust23THRUST_200600_302600_NS6detail15normal_iteratorINSA_10device_ptrIyEEEEPS6_NSA_18transform_iteratorINSB_9not_fun_tI7is_trueIyEEENSC_INSD_IbEEEENSA_11use_defaultESO_EENS0_5tupleIJNSA_16discard_iteratorISO_EES6_EEENSQ_IJSG_SG_EEES6_PlJS6_EEE10hipError_tPvRmT3_T4_T5_T6_T7_T9_mT8_P12ihipStream_tbDpT10_ENKUlT_T0_E_clISt17integral_constantIbLb1EES1E_IbLb0EEEEDaS1A_S1B_EUlS1A_E_NS1_11comp_targetILNS1_3genE8ELNS1_11target_archE1030ELNS1_3gpuE2ELNS1_3repE0EEENS1_30default_config_static_selectorELNS0_4arch9wavefront6targetE0EEEvT1_.has_dyn_sized_stack, 0
	.set _ZN7rocprim17ROCPRIM_400000_NS6detail17trampoline_kernelINS0_14default_configENS1_25partition_config_selectorILNS1_17partition_subalgoE5EyNS0_10empty_typeEbEEZZNS1_14partition_implILS5_5ELb0ES3_mN6thrust23THRUST_200600_302600_NS6detail15normal_iteratorINSA_10device_ptrIyEEEEPS6_NSA_18transform_iteratorINSB_9not_fun_tI7is_trueIyEEENSC_INSD_IbEEEENSA_11use_defaultESO_EENS0_5tupleIJNSA_16discard_iteratorISO_EES6_EEENSQ_IJSG_SG_EEES6_PlJS6_EEE10hipError_tPvRmT3_T4_T5_T6_T7_T9_mT8_P12ihipStream_tbDpT10_ENKUlT_T0_E_clISt17integral_constantIbLb1EES1E_IbLb0EEEEDaS1A_S1B_EUlS1A_E_NS1_11comp_targetILNS1_3genE8ELNS1_11target_archE1030ELNS1_3gpuE2ELNS1_3repE0EEENS1_30default_config_static_selectorELNS0_4arch9wavefront6targetE0EEEvT1_.has_recursion, 0
	.set _ZN7rocprim17ROCPRIM_400000_NS6detail17trampoline_kernelINS0_14default_configENS1_25partition_config_selectorILNS1_17partition_subalgoE5EyNS0_10empty_typeEbEEZZNS1_14partition_implILS5_5ELb0ES3_mN6thrust23THRUST_200600_302600_NS6detail15normal_iteratorINSA_10device_ptrIyEEEEPS6_NSA_18transform_iteratorINSB_9not_fun_tI7is_trueIyEEENSC_INSD_IbEEEENSA_11use_defaultESO_EENS0_5tupleIJNSA_16discard_iteratorISO_EES6_EEENSQ_IJSG_SG_EEES6_PlJS6_EEE10hipError_tPvRmT3_T4_T5_T6_T7_T9_mT8_P12ihipStream_tbDpT10_ENKUlT_T0_E_clISt17integral_constantIbLb1EES1E_IbLb0EEEEDaS1A_S1B_EUlS1A_E_NS1_11comp_targetILNS1_3genE8ELNS1_11target_archE1030ELNS1_3gpuE2ELNS1_3repE0EEENS1_30default_config_static_selectorELNS0_4arch9wavefront6targetE0EEEvT1_.has_indirect_call, 0
	.section	.AMDGPU.csdata,"",@progbits
; Kernel info:
; codeLenInByte = 0
; TotalNumSgprs: 0
; NumVgprs: 0
; ScratchSize: 0
; MemoryBound: 0
; FloatMode: 240
; IeeeMode: 1
; LDSByteSize: 0 bytes/workgroup (compile time only)
; SGPRBlocks: 0
; VGPRBlocks: 0
; NumSGPRsForWavesPerEU: 1
; NumVGPRsForWavesPerEU: 1
; Occupancy: 16
; WaveLimiterHint : 0
; COMPUTE_PGM_RSRC2:SCRATCH_EN: 0
; COMPUTE_PGM_RSRC2:USER_SGPR: 2
; COMPUTE_PGM_RSRC2:TRAP_HANDLER: 0
; COMPUTE_PGM_RSRC2:TGID_X_EN: 1
; COMPUTE_PGM_RSRC2:TGID_Y_EN: 0
; COMPUTE_PGM_RSRC2:TGID_Z_EN: 0
; COMPUTE_PGM_RSRC2:TIDIG_COMP_CNT: 0
	.section	.text._ZN7rocprim17ROCPRIM_400000_NS6detail17trampoline_kernelINS0_14default_configENS1_25partition_config_selectorILNS1_17partition_subalgoE5EyNS0_10empty_typeEbEEZZNS1_14partition_implILS5_5ELb0ES3_mN6thrust23THRUST_200600_302600_NS6detail15normal_iteratorINSA_10device_ptrIyEEEEPS6_NSA_18transform_iteratorINSB_9not_fun_tI7is_trueIyEEENSC_INSD_IbEEEENSA_11use_defaultESO_EENS0_5tupleIJNSA_16discard_iteratorISO_EES6_EEENSQ_IJSG_SG_EEES6_PlJS6_EEE10hipError_tPvRmT3_T4_T5_T6_T7_T9_mT8_P12ihipStream_tbDpT10_ENKUlT_T0_E_clISt17integral_constantIbLb0EES1E_IbLb1EEEEDaS1A_S1B_EUlS1A_E_NS1_11comp_targetILNS1_3genE0ELNS1_11target_archE4294967295ELNS1_3gpuE0ELNS1_3repE0EEENS1_30default_config_static_selectorELNS0_4arch9wavefront6targetE0EEEvT1_,"axG",@progbits,_ZN7rocprim17ROCPRIM_400000_NS6detail17trampoline_kernelINS0_14default_configENS1_25partition_config_selectorILNS1_17partition_subalgoE5EyNS0_10empty_typeEbEEZZNS1_14partition_implILS5_5ELb0ES3_mN6thrust23THRUST_200600_302600_NS6detail15normal_iteratorINSA_10device_ptrIyEEEEPS6_NSA_18transform_iteratorINSB_9not_fun_tI7is_trueIyEEENSC_INSD_IbEEEENSA_11use_defaultESO_EENS0_5tupleIJNSA_16discard_iteratorISO_EES6_EEENSQ_IJSG_SG_EEES6_PlJS6_EEE10hipError_tPvRmT3_T4_T5_T6_T7_T9_mT8_P12ihipStream_tbDpT10_ENKUlT_T0_E_clISt17integral_constantIbLb0EES1E_IbLb1EEEEDaS1A_S1B_EUlS1A_E_NS1_11comp_targetILNS1_3genE0ELNS1_11target_archE4294967295ELNS1_3gpuE0ELNS1_3repE0EEENS1_30default_config_static_selectorELNS0_4arch9wavefront6targetE0EEEvT1_,comdat
	.protected	_ZN7rocprim17ROCPRIM_400000_NS6detail17trampoline_kernelINS0_14default_configENS1_25partition_config_selectorILNS1_17partition_subalgoE5EyNS0_10empty_typeEbEEZZNS1_14partition_implILS5_5ELb0ES3_mN6thrust23THRUST_200600_302600_NS6detail15normal_iteratorINSA_10device_ptrIyEEEEPS6_NSA_18transform_iteratorINSB_9not_fun_tI7is_trueIyEEENSC_INSD_IbEEEENSA_11use_defaultESO_EENS0_5tupleIJNSA_16discard_iteratorISO_EES6_EEENSQ_IJSG_SG_EEES6_PlJS6_EEE10hipError_tPvRmT3_T4_T5_T6_T7_T9_mT8_P12ihipStream_tbDpT10_ENKUlT_T0_E_clISt17integral_constantIbLb0EES1E_IbLb1EEEEDaS1A_S1B_EUlS1A_E_NS1_11comp_targetILNS1_3genE0ELNS1_11target_archE4294967295ELNS1_3gpuE0ELNS1_3repE0EEENS1_30default_config_static_selectorELNS0_4arch9wavefront6targetE0EEEvT1_ ; -- Begin function _ZN7rocprim17ROCPRIM_400000_NS6detail17trampoline_kernelINS0_14default_configENS1_25partition_config_selectorILNS1_17partition_subalgoE5EyNS0_10empty_typeEbEEZZNS1_14partition_implILS5_5ELb0ES3_mN6thrust23THRUST_200600_302600_NS6detail15normal_iteratorINSA_10device_ptrIyEEEEPS6_NSA_18transform_iteratorINSB_9not_fun_tI7is_trueIyEEENSC_INSD_IbEEEENSA_11use_defaultESO_EENS0_5tupleIJNSA_16discard_iteratorISO_EES6_EEENSQ_IJSG_SG_EEES6_PlJS6_EEE10hipError_tPvRmT3_T4_T5_T6_T7_T9_mT8_P12ihipStream_tbDpT10_ENKUlT_T0_E_clISt17integral_constantIbLb0EES1E_IbLb1EEEEDaS1A_S1B_EUlS1A_E_NS1_11comp_targetILNS1_3genE0ELNS1_11target_archE4294967295ELNS1_3gpuE0ELNS1_3repE0EEENS1_30default_config_static_selectorELNS0_4arch9wavefront6targetE0EEEvT1_
	.globl	_ZN7rocprim17ROCPRIM_400000_NS6detail17trampoline_kernelINS0_14default_configENS1_25partition_config_selectorILNS1_17partition_subalgoE5EyNS0_10empty_typeEbEEZZNS1_14partition_implILS5_5ELb0ES3_mN6thrust23THRUST_200600_302600_NS6detail15normal_iteratorINSA_10device_ptrIyEEEEPS6_NSA_18transform_iteratorINSB_9not_fun_tI7is_trueIyEEENSC_INSD_IbEEEENSA_11use_defaultESO_EENS0_5tupleIJNSA_16discard_iteratorISO_EES6_EEENSQ_IJSG_SG_EEES6_PlJS6_EEE10hipError_tPvRmT3_T4_T5_T6_T7_T9_mT8_P12ihipStream_tbDpT10_ENKUlT_T0_E_clISt17integral_constantIbLb0EES1E_IbLb1EEEEDaS1A_S1B_EUlS1A_E_NS1_11comp_targetILNS1_3genE0ELNS1_11target_archE4294967295ELNS1_3gpuE0ELNS1_3repE0EEENS1_30default_config_static_selectorELNS0_4arch9wavefront6targetE0EEEvT1_
	.p2align	8
	.type	_ZN7rocprim17ROCPRIM_400000_NS6detail17trampoline_kernelINS0_14default_configENS1_25partition_config_selectorILNS1_17partition_subalgoE5EyNS0_10empty_typeEbEEZZNS1_14partition_implILS5_5ELb0ES3_mN6thrust23THRUST_200600_302600_NS6detail15normal_iteratorINSA_10device_ptrIyEEEEPS6_NSA_18transform_iteratorINSB_9not_fun_tI7is_trueIyEEENSC_INSD_IbEEEENSA_11use_defaultESO_EENS0_5tupleIJNSA_16discard_iteratorISO_EES6_EEENSQ_IJSG_SG_EEES6_PlJS6_EEE10hipError_tPvRmT3_T4_T5_T6_T7_T9_mT8_P12ihipStream_tbDpT10_ENKUlT_T0_E_clISt17integral_constantIbLb0EES1E_IbLb1EEEEDaS1A_S1B_EUlS1A_E_NS1_11comp_targetILNS1_3genE0ELNS1_11target_archE4294967295ELNS1_3gpuE0ELNS1_3repE0EEENS1_30default_config_static_selectorELNS0_4arch9wavefront6targetE0EEEvT1_,@function
_ZN7rocprim17ROCPRIM_400000_NS6detail17trampoline_kernelINS0_14default_configENS1_25partition_config_selectorILNS1_17partition_subalgoE5EyNS0_10empty_typeEbEEZZNS1_14partition_implILS5_5ELb0ES3_mN6thrust23THRUST_200600_302600_NS6detail15normal_iteratorINSA_10device_ptrIyEEEEPS6_NSA_18transform_iteratorINSB_9not_fun_tI7is_trueIyEEENSC_INSD_IbEEEENSA_11use_defaultESO_EENS0_5tupleIJNSA_16discard_iteratorISO_EES6_EEENSQ_IJSG_SG_EEES6_PlJS6_EEE10hipError_tPvRmT3_T4_T5_T6_T7_T9_mT8_P12ihipStream_tbDpT10_ENKUlT_T0_E_clISt17integral_constantIbLb0EES1E_IbLb1EEEEDaS1A_S1B_EUlS1A_E_NS1_11comp_targetILNS1_3genE0ELNS1_11target_archE4294967295ELNS1_3gpuE0ELNS1_3repE0EEENS1_30default_config_static_selectorELNS0_4arch9wavefront6targetE0EEEvT1_: ; @_ZN7rocprim17ROCPRIM_400000_NS6detail17trampoline_kernelINS0_14default_configENS1_25partition_config_selectorILNS1_17partition_subalgoE5EyNS0_10empty_typeEbEEZZNS1_14partition_implILS5_5ELb0ES3_mN6thrust23THRUST_200600_302600_NS6detail15normal_iteratorINSA_10device_ptrIyEEEEPS6_NSA_18transform_iteratorINSB_9not_fun_tI7is_trueIyEEENSC_INSD_IbEEEENSA_11use_defaultESO_EENS0_5tupleIJNSA_16discard_iteratorISO_EES6_EEENSQ_IJSG_SG_EEES6_PlJS6_EEE10hipError_tPvRmT3_T4_T5_T6_T7_T9_mT8_P12ihipStream_tbDpT10_ENKUlT_T0_E_clISt17integral_constantIbLb0EES1E_IbLb1EEEEDaS1A_S1B_EUlS1A_E_NS1_11comp_targetILNS1_3genE0ELNS1_11target_archE4294967295ELNS1_3gpuE0ELNS1_3repE0EEENS1_30default_config_static_selectorELNS0_4arch9wavefront6targetE0EEEvT1_
; %bb.0:
	.section	.rodata,"a",@progbits
	.p2align	6, 0x0
	.amdhsa_kernel _ZN7rocprim17ROCPRIM_400000_NS6detail17trampoline_kernelINS0_14default_configENS1_25partition_config_selectorILNS1_17partition_subalgoE5EyNS0_10empty_typeEbEEZZNS1_14partition_implILS5_5ELb0ES3_mN6thrust23THRUST_200600_302600_NS6detail15normal_iteratorINSA_10device_ptrIyEEEEPS6_NSA_18transform_iteratorINSB_9not_fun_tI7is_trueIyEEENSC_INSD_IbEEEENSA_11use_defaultESO_EENS0_5tupleIJNSA_16discard_iteratorISO_EES6_EEENSQ_IJSG_SG_EEES6_PlJS6_EEE10hipError_tPvRmT3_T4_T5_T6_T7_T9_mT8_P12ihipStream_tbDpT10_ENKUlT_T0_E_clISt17integral_constantIbLb0EES1E_IbLb1EEEEDaS1A_S1B_EUlS1A_E_NS1_11comp_targetILNS1_3genE0ELNS1_11target_archE4294967295ELNS1_3gpuE0ELNS1_3repE0EEENS1_30default_config_static_selectorELNS0_4arch9wavefront6targetE0EEEvT1_
		.amdhsa_group_segment_fixed_size 0
		.amdhsa_private_segment_fixed_size 0
		.amdhsa_kernarg_size 144
		.amdhsa_user_sgpr_count 2
		.amdhsa_user_sgpr_dispatch_ptr 0
		.amdhsa_user_sgpr_queue_ptr 0
		.amdhsa_user_sgpr_kernarg_segment_ptr 1
		.amdhsa_user_sgpr_dispatch_id 0
		.amdhsa_user_sgpr_private_segment_size 0
		.amdhsa_wavefront_size32 1
		.amdhsa_uses_dynamic_stack 0
		.amdhsa_enable_private_segment 0
		.amdhsa_system_sgpr_workgroup_id_x 1
		.amdhsa_system_sgpr_workgroup_id_y 0
		.amdhsa_system_sgpr_workgroup_id_z 0
		.amdhsa_system_sgpr_workgroup_info 0
		.amdhsa_system_vgpr_workitem_id 0
		.amdhsa_next_free_vgpr 1
		.amdhsa_next_free_sgpr 1
		.amdhsa_reserve_vcc 0
		.amdhsa_float_round_mode_32 0
		.amdhsa_float_round_mode_16_64 0
		.amdhsa_float_denorm_mode_32 3
		.amdhsa_float_denorm_mode_16_64 3
		.amdhsa_fp16_overflow 0
		.amdhsa_workgroup_processor_mode 1
		.amdhsa_memory_ordered 1
		.amdhsa_forward_progress 1
		.amdhsa_inst_pref_size 0
		.amdhsa_round_robin_scheduling 0
		.amdhsa_exception_fp_ieee_invalid_op 0
		.amdhsa_exception_fp_denorm_src 0
		.amdhsa_exception_fp_ieee_div_zero 0
		.amdhsa_exception_fp_ieee_overflow 0
		.amdhsa_exception_fp_ieee_underflow 0
		.amdhsa_exception_fp_ieee_inexact 0
		.amdhsa_exception_int_div_zero 0
	.end_amdhsa_kernel
	.section	.text._ZN7rocprim17ROCPRIM_400000_NS6detail17trampoline_kernelINS0_14default_configENS1_25partition_config_selectorILNS1_17partition_subalgoE5EyNS0_10empty_typeEbEEZZNS1_14partition_implILS5_5ELb0ES3_mN6thrust23THRUST_200600_302600_NS6detail15normal_iteratorINSA_10device_ptrIyEEEEPS6_NSA_18transform_iteratorINSB_9not_fun_tI7is_trueIyEEENSC_INSD_IbEEEENSA_11use_defaultESO_EENS0_5tupleIJNSA_16discard_iteratorISO_EES6_EEENSQ_IJSG_SG_EEES6_PlJS6_EEE10hipError_tPvRmT3_T4_T5_T6_T7_T9_mT8_P12ihipStream_tbDpT10_ENKUlT_T0_E_clISt17integral_constantIbLb0EES1E_IbLb1EEEEDaS1A_S1B_EUlS1A_E_NS1_11comp_targetILNS1_3genE0ELNS1_11target_archE4294967295ELNS1_3gpuE0ELNS1_3repE0EEENS1_30default_config_static_selectorELNS0_4arch9wavefront6targetE0EEEvT1_,"axG",@progbits,_ZN7rocprim17ROCPRIM_400000_NS6detail17trampoline_kernelINS0_14default_configENS1_25partition_config_selectorILNS1_17partition_subalgoE5EyNS0_10empty_typeEbEEZZNS1_14partition_implILS5_5ELb0ES3_mN6thrust23THRUST_200600_302600_NS6detail15normal_iteratorINSA_10device_ptrIyEEEEPS6_NSA_18transform_iteratorINSB_9not_fun_tI7is_trueIyEEENSC_INSD_IbEEEENSA_11use_defaultESO_EENS0_5tupleIJNSA_16discard_iteratorISO_EES6_EEENSQ_IJSG_SG_EEES6_PlJS6_EEE10hipError_tPvRmT3_T4_T5_T6_T7_T9_mT8_P12ihipStream_tbDpT10_ENKUlT_T0_E_clISt17integral_constantIbLb0EES1E_IbLb1EEEEDaS1A_S1B_EUlS1A_E_NS1_11comp_targetILNS1_3genE0ELNS1_11target_archE4294967295ELNS1_3gpuE0ELNS1_3repE0EEENS1_30default_config_static_selectorELNS0_4arch9wavefront6targetE0EEEvT1_,comdat
.Lfunc_end2677:
	.size	_ZN7rocprim17ROCPRIM_400000_NS6detail17trampoline_kernelINS0_14default_configENS1_25partition_config_selectorILNS1_17partition_subalgoE5EyNS0_10empty_typeEbEEZZNS1_14partition_implILS5_5ELb0ES3_mN6thrust23THRUST_200600_302600_NS6detail15normal_iteratorINSA_10device_ptrIyEEEEPS6_NSA_18transform_iteratorINSB_9not_fun_tI7is_trueIyEEENSC_INSD_IbEEEENSA_11use_defaultESO_EENS0_5tupleIJNSA_16discard_iteratorISO_EES6_EEENSQ_IJSG_SG_EEES6_PlJS6_EEE10hipError_tPvRmT3_T4_T5_T6_T7_T9_mT8_P12ihipStream_tbDpT10_ENKUlT_T0_E_clISt17integral_constantIbLb0EES1E_IbLb1EEEEDaS1A_S1B_EUlS1A_E_NS1_11comp_targetILNS1_3genE0ELNS1_11target_archE4294967295ELNS1_3gpuE0ELNS1_3repE0EEENS1_30default_config_static_selectorELNS0_4arch9wavefront6targetE0EEEvT1_, .Lfunc_end2677-_ZN7rocprim17ROCPRIM_400000_NS6detail17trampoline_kernelINS0_14default_configENS1_25partition_config_selectorILNS1_17partition_subalgoE5EyNS0_10empty_typeEbEEZZNS1_14partition_implILS5_5ELb0ES3_mN6thrust23THRUST_200600_302600_NS6detail15normal_iteratorINSA_10device_ptrIyEEEEPS6_NSA_18transform_iteratorINSB_9not_fun_tI7is_trueIyEEENSC_INSD_IbEEEENSA_11use_defaultESO_EENS0_5tupleIJNSA_16discard_iteratorISO_EES6_EEENSQ_IJSG_SG_EEES6_PlJS6_EEE10hipError_tPvRmT3_T4_T5_T6_T7_T9_mT8_P12ihipStream_tbDpT10_ENKUlT_T0_E_clISt17integral_constantIbLb0EES1E_IbLb1EEEEDaS1A_S1B_EUlS1A_E_NS1_11comp_targetILNS1_3genE0ELNS1_11target_archE4294967295ELNS1_3gpuE0ELNS1_3repE0EEENS1_30default_config_static_selectorELNS0_4arch9wavefront6targetE0EEEvT1_
                                        ; -- End function
	.set _ZN7rocprim17ROCPRIM_400000_NS6detail17trampoline_kernelINS0_14default_configENS1_25partition_config_selectorILNS1_17partition_subalgoE5EyNS0_10empty_typeEbEEZZNS1_14partition_implILS5_5ELb0ES3_mN6thrust23THRUST_200600_302600_NS6detail15normal_iteratorINSA_10device_ptrIyEEEEPS6_NSA_18transform_iteratorINSB_9not_fun_tI7is_trueIyEEENSC_INSD_IbEEEENSA_11use_defaultESO_EENS0_5tupleIJNSA_16discard_iteratorISO_EES6_EEENSQ_IJSG_SG_EEES6_PlJS6_EEE10hipError_tPvRmT3_T4_T5_T6_T7_T9_mT8_P12ihipStream_tbDpT10_ENKUlT_T0_E_clISt17integral_constantIbLb0EES1E_IbLb1EEEEDaS1A_S1B_EUlS1A_E_NS1_11comp_targetILNS1_3genE0ELNS1_11target_archE4294967295ELNS1_3gpuE0ELNS1_3repE0EEENS1_30default_config_static_selectorELNS0_4arch9wavefront6targetE0EEEvT1_.num_vgpr, 0
	.set _ZN7rocprim17ROCPRIM_400000_NS6detail17trampoline_kernelINS0_14default_configENS1_25partition_config_selectorILNS1_17partition_subalgoE5EyNS0_10empty_typeEbEEZZNS1_14partition_implILS5_5ELb0ES3_mN6thrust23THRUST_200600_302600_NS6detail15normal_iteratorINSA_10device_ptrIyEEEEPS6_NSA_18transform_iteratorINSB_9not_fun_tI7is_trueIyEEENSC_INSD_IbEEEENSA_11use_defaultESO_EENS0_5tupleIJNSA_16discard_iteratorISO_EES6_EEENSQ_IJSG_SG_EEES6_PlJS6_EEE10hipError_tPvRmT3_T4_T5_T6_T7_T9_mT8_P12ihipStream_tbDpT10_ENKUlT_T0_E_clISt17integral_constantIbLb0EES1E_IbLb1EEEEDaS1A_S1B_EUlS1A_E_NS1_11comp_targetILNS1_3genE0ELNS1_11target_archE4294967295ELNS1_3gpuE0ELNS1_3repE0EEENS1_30default_config_static_selectorELNS0_4arch9wavefront6targetE0EEEvT1_.num_agpr, 0
	.set _ZN7rocprim17ROCPRIM_400000_NS6detail17trampoline_kernelINS0_14default_configENS1_25partition_config_selectorILNS1_17partition_subalgoE5EyNS0_10empty_typeEbEEZZNS1_14partition_implILS5_5ELb0ES3_mN6thrust23THRUST_200600_302600_NS6detail15normal_iteratorINSA_10device_ptrIyEEEEPS6_NSA_18transform_iteratorINSB_9not_fun_tI7is_trueIyEEENSC_INSD_IbEEEENSA_11use_defaultESO_EENS0_5tupleIJNSA_16discard_iteratorISO_EES6_EEENSQ_IJSG_SG_EEES6_PlJS6_EEE10hipError_tPvRmT3_T4_T5_T6_T7_T9_mT8_P12ihipStream_tbDpT10_ENKUlT_T0_E_clISt17integral_constantIbLb0EES1E_IbLb1EEEEDaS1A_S1B_EUlS1A_E_NS1_11comp_targetILNS1_3genE0ELNS1_11target_archE4294967295ELNS1_3gpuE0ELNS1_3repE0EEENS1_30default_config_static_selectorELNS0_4arch9wavefront6targetE0EEEvT1_.numbered_sgpr, 0
	.set _ZN7rocprim17ROCPRIM_400000_NS6detail17trampoline_kernelINS0_14default_configENS1_25partition_config_selectorILNS1_17partition_subalgoE5EyNS0_10empty_typeEbEEZZNS1_14partition_implILS5_5ELb0ES3_mN6thrust23THRUST_200600_302600_NS6detail15normal_iteratorINSA_10device_ptrIyEEEEPS6_NSA_18transform_iteratorINSB_9not_fun_tI7is_trueIyEEENSC_INSD_IbEEEENSA_11use_defaultESO_EENS0_5tupleIJNSA_16discard_iteratorISO_EES6_EEENSQ_IJSG_SG_EEES6_PlJS6_EEE10hipError_tPvRmT3_T4_T5_T6_T7_T9_mT8_P12ihipStream_tbDpT10_ENKUlT_T0_E_clISt17integral_constantIbLb0EES1E_IbLb1EEEEDaS1A_S1B_EUlS1A_E_NS1_11comp_targetILNS1_3genE0ELNS1_11target_archE4294967295ELNS1_3gpuE0ELNS1_3repE0EEENS1_30default_config_static_selectorELNS0_4arch9wavefront6targetE0EEEvT1_.num_named_barrier, 0
	.set _ZN7rocprim17ROCPRIM_400000_NS6detail17trampoline_kernelINS0_14default_configENS1_25partition_config_selectorILNS1_17partition_subalgoE5EyNS0_10empty_typeEbEEZZNS1_14partition_implILS5_5ELb0ES3_mN6thrust23THRUST_200600_302600_NS6detail15normal_iteratorINSA_10device_ptrIyEEEEPS6_NSA_18transform_iteratorINSB_9not_fun_tI7is_trueIyEEENSC_INSD_IbEEEENSA_11use_defaultESO_EENS0_5tupleIJNSA_16discard_iteratorISO_EES6_EEENSQ_IJSG_SG_EEES6_PlJS6_EEE10hipError_tPvRmT3_T4_T5_T6_T7_T9_mT8_P12ihipStream_tbDpT10_ENKUlT_T0_E_clISt17integral_constantIbLb0EES1E_IbLb1EEEEDaS1A_S1B_EUlS1A_E_NS1_11comp_targetILNS1_3genE0ELNS1_11target_archE4294967295ELNS1_3gpuE0ELNS1_3repE0EEENS1_30default_config_static_selectorELNS0_4arch9wavefront6targetE0EEEvT1_.private_seg_size, 0
	.set _ZN7rocprim17ROCPRIM_400000_NS6detail17trampoline_kernelINS0_14default_configENS1_25partition_config_selectorILNS1_17partition_subalgoE5EyNS0_10empty_typeEbEEZZNS1_14partition_implILS5_5ELb0ES3_mN6thrust23THRUST_200600_302600_NS6detail15normal_iteratorINSA_10device_ptrIyEEEEPS6_NSA_18transform_iteratorINSB_9not_fun_tI7is_trueIyEEENSC_INSD_IbEEEENSA_11use_defaultESO_EENS0_5tupleIJNSA_16discard_iteratorISO_EES6_EEENSQ_IJSG_SG_EEES6_PlJS6_EEE10hipError_tPvRmT3_T4_T5_T6_T7_T9_mT8_P12ihipStream_tbDpT10_ENKUlT_T0_E_clISt17integral_constantIbLb0EES1E_IbLb1EEEEDaS1A_S1B_EUlS1A_E_NS1_11comp_targetILNS1_3genE0ELNS1_11target_archE4294967295ELNS1_3gpuE0ELNS1_3repE0EEENS1_30default_config_static_selectorELNS0_4arch9wavefront6targetE0EEEvT1_.uses_vcc, 0
	.set _ZN7rocprim17ROCPRIM_400000_NS6detail17trampoline_kernelINS0_14default_configENS1_25partition_config_selectorILNS1_17partition_subalgoE5EyNS0_10empty_typeEbEEZZNS1_14partition_implILS5_5ELb0ES3_mN6thrust23THRUST_200600_302600_NS6detail15normal_iteratorINSA_10device_ptrIyEEEEPS6_NSA_18transform_iteratorINSB_9not_fun_tI7is_trueIyEEENSC_INSD_IbEEEENSA_11use_defaultESO_EENS0_5tupleIJNSA_16discard_iteratorISO_EES6_EEENSQ_IJSG_SG_EEES6_PlJS6_EEE10hipError_tPvRmT3_T4_T5_T6_T7_T9_mT8_P12ihipStream_tbDpT10_ENKUlT_T0_E_clISt17integral_constantIbLb0EES1E_IbLb1EEEEDaS1A_S1B_EUlS1A_E_NS1_11comp_targetILNS1_3genE0ELNS1_11target_archE4294967295ELNS1_3gpuE0ELNS1_3repE0EEENS1_30default_config_static_selectorELNS0_4arch9wavefront6targetE0EEEvT1_.uses_flat_scratch, 0
	.set _ZN7rocprim17ROCPRIM_400000_NS6detail17trampoline_kernelINS0_14default_configENS1_25partition_config_selectorILNS1_17partition_subalgoE5EyNS0_10empty_typeEbEEZZNS1_14partition_implILS5_5ELb0ES3_mN6thrust23THRUST_200600_302600_NS6detail15normal_iteratorINSA_10device_ptrIyEEEEPS6_NSA_18transform_iteratorINSB_9not_fun_tI7is_trueIyEEENSC_INSD_IbEEEENSA_11use_defaultESO_EENS0_5tupleIJNSA_16discard_iteratorISO_EES6_EEENSQ_IJSG_SG_EEES6_PlJS6_EEE10hipError_tPvRmT3_T4_T5_T6_T7_T9_mT8_P12ihipStream_tbDpT10_ENKUlT_T0_E_clISt17integral_constantIbLb0EES1E_IbLb1EEEEDaS1A_S1B_EUlS1A_E_NS1_11comp_targetILNS1_3genE0ELNS1_11target_archE4294967295ELNS1_3gpuE0ELNS1_3repE0EEENS1_30default_config_static_selectorELNS0_4arch9wavefront6targetE0EEEvT1_.has_dyn_sized_stack, 0
	.set _ZN7rocprim17ROCPRIM_400000_NS6detail17trampoline_kernelINS0_14default_configENS1_25partition_config_selectorILNS1_17partition_subalgoE5EyNS0_10empty_typeEbEEZZNS1_14partition_implILS5_5ELb0ES3_mN6thrust23THRUST_200600_302600_NS6detail15normal_iteratorINSA_10device_ptrIyEEEEPS6_NSA_18transform_iteratorINSB_9not_fun_tI7is_trueIyEEENSC_INSD_IbEEEENSA_11use_defaultESO_EENS0_5tupleIJNSA_16discard_iteratorISO_EES6_EEENSQ_IJSG_SG_EEES6_PlJS6_EEE10hipError_tPvRmT3_T4_T5_T6_T7_T9_mT8_P12ihipStream_tbDpT10_ENKUlT_T0_E_clISt17integral_constantIbLb0EES1E_IbLb1EEEEDaS1A_S1B_EUlS1A_E_NS1_11comp_targetILNS1_3genE0ELNS1_11target_archE4294967295ELNS1_3gpuE0ELNS1_3repE0EEENS1_30default_config_static_selectorELNS0_4arch9wavefront6targetE0EEEvT1_.has_recursion, 0
	.set _ZN7rocprim17ROCPRIM_400000_NS6detail17trampoline_kernelINS0_14default_configENS1_25partition_config_selectorILNS1_17partition_subalgoE5EyNS0_10empty_typeEbEEZZNS1_14partition_implILS5_5ELb0ES3_mN6thrust23THRUST_200600_302600_NS6detail15normal_iteratorINSA_10device_ptrIyEEEEPS6_NSA_18transform_iteratorINSB_9not_fun_tI7is_trueIyEEENSC_INSD_IbEEEENSA_11use_defaultESO_EENS0_5tupleIJNSA_16discard_iteratorISO_EES6_EEENSQ_IJSG_SG_EEES6_PlJS6_EEE10hipError_tPvRmT3_T4_T5_T6_T7_T9_mT8_P12ihipStream_tbDpT10_ENKUlT_T0_E_clISt17integral_constantIbLb0EES1E_IbLb1EEEEDaS1A_S1B_EUlS1A_E_NS1_11comp_targetILNS1_3genE0ELNS1_11target_archE4294967295ELNS1_3gpuE0ELNS1_3repE0EEENS1_30default_config_static_selectorELNS0_4arch9wavefront6targetE0EEEvT1_.has_indirect_call, 0
	.section	.AMDGPU.csdata,"",@progbits
; Kernel info:
; codeLenInByte = 0
; TotalNumSgprs: 0
; NumVgprs: 0
; ScratchSize: 0
; MemoryBound: 0
; FloatMode: 240
; IeeeMode: 1
; LDSByteSize: 0 bytes/workgroup (compile time only)
; SGPRBlocks: 0
; VGPRBlocks: 0
; NumSGPRsForWavesPerEU: 1
; NumVGPRsForWavesPerEU: 1
; Occupancy: 16
; WaveLimiterHint : 0
; COMPUTE_PGM_RSRC2:SCRATCH_EN: 0
; COMPUTE_PGM_RSRC2:USER_SGPR: 2
; COMPUTE_PGM_RSRC2:TRAP_HANDLER: 0
; COMPUTE_PGM_RSRC2:TGID_X_EN: 1
; COMPUTE_PGM_RSRC2:TGID_Y_EN: 0
; COMPUTE_PGM_RSRC2:TGID_Z_EN: 0
; COMPUTE_PGM_RSRC2:TIDIG_COMP_CNT: 0
	.section	.text._ZN7rocprim17ROCPRIM_400000_NS6detail17trampoline_kernelINS0_14default_configENS1_25partition_config_selectorILNS1_17partition_subalgoE5EyNS0_10empty_typeEbEEZZNS1_14partition_implILS5_5ELb0ES3_mN6thrust23THRUST_200600_302600_NS6detail15normal_iteratorINSA_10device_ptrIyEEEEPS6_NSA_18transform_iteratorINSB_9not_fun_tI7is_trueIyEEENSC_INSD_IbEEEENSA_11use_defaultESO_EENS0_5tupleIJNSA_16discard_iteratorISO_EES6_EEENSQ_IJSG_SG_EEES6_PlJS6_EEE10hipError_tPvRmT3_T4_T5_T6_T7_T9_mT8_P12ihipStream_tbDpT10_ENKUlT_T0_E_clISt17integral_constantIbLb0EES1E_IbLb1EEEEDaS1A_S1B_EUlS1A_E_NS1_11comp_targetILNS1_3genE5ELNS1_11target_archE942ELNS1_3gpuE9ELNS1_3repE0EEENS1_30default_config_static_selectorELNS0_4arch9wavefront6targetE0EEEvT1_,"axG",@progbits,_ZN7rocprim17ROCPRIM_400000_NS6detail17trampoline_kernelINS0_14default_configENS1_25partition_config_selectorILNS1_17partition_subalgoE5EyNS0_10empty_typeEbEEZZNS1_14partition_implILS5_5ELb0ES3_mN6thrust23THRUST_200600_302600_NS6detail15normal_iteratorINSA_10device_ptrIyEEEEPS6_NSA_18transform_iteratorINSB_9not_fun_tI7is_trueIyEEENSC_INSD_IbEEEENSA_11use_defaultESO_EENS0_5tupleIJNSA_16discard_iteratorISO_EES6_EEENSQ_IJSG_SG_EEES6_PlJS6_EEE10hipError_tPvRmT3_T4_T5_T6_T7_T9_mT8_P12ihipStream_tbDpT10_ENKUlT_T0_E_clISt17integral_constantIbLb0EES1E_IbLb1EEEEDaS1A_S1B_EUlS1A_E_NS1_11comp_targetILNS1_3genE5ELNS1_11target_archE942ELNS1_3gpuE9ELNS1_3repE0EEENS1_30default_config_static_selectorELNS0_4arch9wavefront6targetE0EEEvT1_,comdat
	.protected	_ZN7rocprim17ROCPRIM_400000_NS6detail17trampoline_kernelINS0_14default_configENS1_25partition_config_selectorILNS1_17partition_subalgoE5EyNS0_10empty_typeEbEEZZNS1_14partition_implILS5_5ELb0ES3_mN6thrust23THRUST_200600_302600_NS6detail15normal_iteratorINSA_10device_ptrIyEEEEPS6_NSA_18transform_iteratorINSB_9not_fun_tI7is_trueIyEEENSC_INSD_IbEEEENSA_11use_defaultESO_EENS0_5tupleIJNSA_16discard_iteratorISO_EES6_EEENSQ_IJSG_SG_EEES6_PlJS6_EEE10hipError_tPvRmT3_T4_T5_T6_T7_T9_mT8_P12ihipStream_tbDpT10_ENKUlT_T0_E_clISt17integral_constantIbLb0EES1E_IbLb1EEEEDaS1A_S1B_EUlS1A_E_NS1_11comp_targetILNS1_3genE5ELNS1_11target_archE942ELNS1_3gpuE9ELNS1_3repE0EEENS1_30default_config_static_selectorELNS0_4arch9wavefront6targetE0EEEvT1_ ; -- Begin function _ZN7rocprim17ROCPRIM_400000_NS6detail17trampoline_kernelINS0_14default_configENS1_25partition_config_selectorILNS1_17partition_subalgoE5EyNS0_10empty_typeEbEEZZNS1_14partition_implILS5_5ELb0ES3_mN6thrust23THRUST_200600_302600_NS6detail15normal_iteratorINSA_10device_ptrIyEEEEPS6_NSA_18transform_iteratorINSB_9not_fun_tI7is_trueIyEEENSC_INSD_IbEEEENSA_11use_defaultESO_EENS0_5tupleIJNSA_16discard_iteratorISO_EES6_EEENSQ_IJSG_SG_EEES6_PlJS6_EEE10hipError_tPvRmT3_T4_T5_T6_T7_T9_mT8_P12ihipStream_tbDpT10_ENKUlT_T0_E_clISt17integral_constantIbLb0EES1E_IbLb1EEEEDaS1A_S1B_EUlS1A_E_NS1_11comp_targetILNS1_3genE5ELNS1_11target_archE942ELNS1_3gpuE9ELNS1_3repE0EEENS1_30default_config_static_selectorELNS0_4arch9wavefront6targetE0EEEvT1_
	.globl	_ZN7rocprim17ROCPRIM_400000_NS6detail17trampoline_kernelINS0_14default_configENS1_25partition_config_selectorILNS1_17partition_subalgoE5EyNS0_10empty_typeEbEEZZNS1_14partition_implILS5_5ELb0ES3_mN6thrust23THRUST_200600_302600_NS6detail15normal_iteratorINSA_10device_ptrIyEEEEPS6_NSA_18transform_iteratorINSB_9not_fun_tI7is_trueIyEEENSC_INSD_IbEEEENSA_11use_defaultESO_EENS0_5tupleIJNSA_16discard_iteratorISO_EES6_EEENSQ_IJSG_SG_EEES6_PlJS6_EEE10hipError_tPvRmT3_T4_T5_T6_T7_T9_mT8_P12ihipStream_tbDpT10_ENKUlT_T0_E_clISt17integral_constantIbLb0EES1E_IbLb1EEEEDaS1A_S1B_EUlS1A_E_NS1_11comp_targetILNS1_3genE5ELNS1_11target_archE942ELNS1_3gpuE9ELNS1_3repE0EEENS1_30default_config_static_selectorELNS0_4arch9wavefront6targetE0EEEvT1_
	.p2align	8
	.type	_ZN7rocprim17ROCPRIM_400000_NS6detail17trampoline_kernelINS0_14default_configENS1_25partition_config_selectorILNS1_17partition_subalgoE5EyNS0_10empty_typeEbEEZZNS1_14partition_implILS5_5ELb0ES3_mN6thrust23THRUST_200600_302600_NS6detail15normal_iteratorINSA_10device_ptrIyEEEEPS6_NSA_18transform_iteratorINSB_9not_fun_tI7is_trueIyEEENSC_INSD_IbEEEENSA_11use_defaultESO_EENS0_5tupleIJNSA_16discard_iteratorISO_EES6_EEENSQ_IJSG_SG_EEES6_PlJS6_EEE10hipError_tPvRmT3_T4_T5_T6_T7_T9_mT8_P12ihipStream_tbDpT10_ENKUlT_T0_E_clISt17integral_constantIbLb0EES1E_IbLb1EEEEDaS1A_S1B_EUlS1A_E_NS1_11comp_targetILNS1_3genE5ELNS1_11target_archE942ELNS1_3gpuE9ELNS1_3repE0EEENS1_30default_config_static_selectorELNS0_4arch9wavefront6targetE0EEEvT1_,@function
_ZN7rocprim17ROCPRIM_400000_NS6detail17trampoline_kernelINS0_14default_configENS1_25partition_config_selectorILNS1_17partition_subalgoE5EyNS0_10empty_typeEbEEZZNS1_14partition_implILS5_5ELb0ES3_mN6thrust23THRUST_200600_302600_NS6detail15normal_iteratorINSA_10device_ptrIyEEEEPS6_NSA_18transform_iteratorINSB_9not_fun_tI7is_trueIyEEENSC_INSD_IbEEEENSA_11use_defaultESO_EENS0_5tupleIJNSA_16discard_iteratorISO_EES6_EEENSQ_IJSG_SG_EEES6_PlJS6_EEE10hipError_tPvRmT3_T4_T5_T6_T7_T9_mT8_P12ihipStream_tbDpT10_ENKUlT_T0_E_clISt17integral_constantIbLb0EES1E_IbLb1EEEEDaS1A_S1B_EUlS1A_E_NS1_11comp_targetILNS1_3genE5ELNS1_11target_archE942ELNS1_3gpuE9ELNS1_3repE0EEENS1_30default_config_static_selectorELNS0_4arch9wavefront6targetE0EEEvT1_: ; @_ZN7rocprim17ROCPRIM_400000_NS6detail17trampoline_kernelINS0_14default_configENS1_25partition_config_selectorILNS1_17partition_subalgoE5EyNS0_10empty_typeEbEEZZNS1_14partition_implILS5_5ELb0ES3_mN6thrust23THRUST_200600_302600_NS6detail15normal_iteratorINSA_10device_ptrIyEEEEPS6_NSA_18transform_iteratorINSB_9not_fun_tI7is_trueIyEEENSC_INSD_IbEEEENSA_11use_defaultESO_EENS0_5tupleIJNSA_16discard_iteratorISO_EES6_EEENSQ_IJSG_SG_EEES6_PlJS6_EEE10hipError_tPvRmT3_T4_T5_T6_T7_T9_mT8_P12ihipStream_tbDpT10_ENKUlT_T0_E_clISt17integral_constantIbLb0EES1E_IbLb1EEEEDaS1A_S1B_EUlS1A_E_NS1_11comp_targetILNS1_3genE5ELNS1_11target_archE942ELNS1_3gpuE9ELNS1_3repE0EEENS1_30default_config_static_selectorELNS0_4arch9wavefront6targetE0EEEvT1_
; %bb.0:
	.section	.rodata,"a",@progbits
	.p2align	6, 0x0
	.amdhsa_kernel _ZN7rocprim17ROCPRIM_400000_NS6detail17trampoline_kernelINS0_14default_configENS1_25partition_config_selectorILNS1_17partition_subalgoE5EyNS0_10empty_typeEbEEZZNS1_14partition_implILS5_5ELb0ES3_mN6thrust23THRUST_200600_302600_NS6detail15normal_iteratorINSA_10device_ptrIyEEEEPS6_NSA_18transform_iteratorINSB_9not_fun_tI7is_trueIyEEENSC_INSD_IbEEEENSA_11use_defaultESO_EENS0_5tupleIJNSA_16discard_iteratorISO_EES6_EEENSQ_IJSG_SG_EEES6_PlJS6_EEE10hipError_tPvRmT3_T4_T5_T6_T7_T9_mT8_P12ihipStream_tbDpT10_ENKUlT_T0_E_clISt17integral_constantIbLb0EES1E_IbLb1EEEEDaS1A_S1B_EUlS1A_E_NS1_11comp_targetILNS1_3genE5ELNS1_11target_archE942ELNS1_3gpuE9ELNS1_3repE0EEENS1_30default_config_static_selectorELNS0_4arch9wavefront6targetE0EEEvT1_
		.amdhsa_group_segment_fixed_size 0
		.amdhsa_private_segment_fixed_size 0
		.amdhsa_kernarg_size 144
		.amdhsa_user_sgpr_count 2
		.amdhsa_user_sgpr_dispatch_ptr 0
		.amdhsa_user_sgpr_queue_ptr 0
		.amdhsa_user_sgpr_kernarg_segment_ptr 1
		.amdhsa_user_sgpr_dispatch_id 0
		.amdhsa_user_sgpr_private_segment_size 0
		.amdhsa_wavefront_size32 1
		.amdhsa_uses_dynamic_stack 0
		.amdhsa_enable_private_segment 0
		.amdhsa_system_sgpr_workgroup_id_x 1
		.amdhsa_system_sgpr_workgroup_id_y 0
		.amdhsa_system_sgpr_workgroup_id_z 0
		.amdhsa_system_sgpr_workgroup_info 0
		.amdhsa_system_vgpr_workitem_id 0
		.amdhsa_next_free_vgpr 1
		.amdhsa_next_free_sgpr 1
		.amdhsa_reserve_vcc 0
		.amdhsa_float_round_mode_32 0
		.amdhsa_float_round_mode_16_64 0
		.amdhsa_float_denorm_mode_32 3
		.amdhsa_float_denorm_mode_16_64 3
		.amdhsa_fp16_overflow 0
		.amdhsa_workgroup_processor_mode 1
		.amdhsa_memory_ordered 1
		.amdhsa_forward_progress 1
		.amdhsa_inst_pref_size 0
		.amdhsa_round_robin_scheduling 0
		.amdhsa_exception_fp_ieee_invalid_op 0
		.amdhsa_exception_fp_denorm_src 0
		.amdhsa_exception_fp_ieee_div_zero 0
		.amdhsa_exception_fp_ieee_overflow 0
		.amdhsa_exception_fp_ieee_underflow 0
		.amdhsa_exception_fp_ieee_inexact 0
		.amdhsa_exception_int_div_zero 0
	.end_amdhsa_kernel
	.section	.text._ZN7rocprim17ROCPRIM_400000_NS6detail17trampoline_kernelINS0_14default_configENS1_25partition_config_selectorILNS1_17partition_subalgoE5EyNS0_10empty_typeEbEEZZNS1_14partition_implILS5_5ELb0ES3_mN6thrust23THRUST_200600_302600_NS6detail15normal_iteratorINSA_10device_ptrIyEEEEPS6_NSA_18transform_iteratorINSB_9not_fun_tI7is_trueIyEEENSC_INSD_IbEEEENSA_11use_defaultESO_EENS0_5tupleIJNSA_16discard_iteratorISO_EES6_EEENSQ_IJSG_SG_EEES6_PlJS6_EEE10hipError_tPvRmT3_T4_T5_T6_T7_T9_mT8_P12ihipStream_tbDpT10_ENKUlT_T0_E_clISt17integral_constantIbLb0EES1E_IbLb1EEEEDaS1A_S1B_EUlS1A_E_NS1_11comp_targetILNS1_3genE5ELNS1_11target_archE942ELNS1_3gpuE9ELNS1_3repE0EEENS1_30default_config_static_selectorELNS0_4arch9wavefront6targetE0EEEvT1_,"axG",@progbits,_ZN7rocprim17ROCPRIM_400000_NS6detail17trampoline_kernelINS0_14default_configENS1_25partition_config_selectorILNS1_17partition_subalgoE5EyNS0_10empty_typeEbEEZZNS1_14partition_implILS5_5ELb0ES3_mN6thrust23THRUST_200600_302600_NS6detail15normal_iteratorINSA_10device_ptrIyEEEEPS6_NSA_18transform_iteratorINSB_9not_fun_tI7is_trueIyEEENSC_INSD_IbEEEENSA_11use_defaultESO_EENS0_5tupleIJNSA_16discard_iteratorISO_EES6_EEENSQ_IJSG_SG_EEES6_PlJS6_EEE10hipError_tPvRmT3_T4_T5_T6_T7_T9_mT8_P12ihipStream_tbDpT10_ENKUlT_T0_E_clISt17integral_constantIbLb0EES1E_IbLb1EEEEDaS1A_S1B_EUlS1A_E_NS1_11comp_targetILNS1_3genE5ELNS1_11target_archE942ELNS1_3gpuE9ELNS1_3repE0EEENS1_30default_config_static_selectorELNS0_4arch9wavefront6targetE0EEEvT1_,comdat
.Lfunc_end2678:
	.size	_ZN7rocprim17ROCPRIM_400000_NS6detail17trampoline_kernelINS0_14default_configENS1_25partition_config_selectorILNS1_17partition_subalgoE5EyNS0_10empty_typeEbEEZZNS1_14partition_implILS5_5ELb0ES3_mN6thrust23THRUST_200600_302600_NS6detail15normal_iteratorINSA_10device_ptrIyEEEEPS6_NSA_18transform_iteratorINSB_9not_fun_tI7is_trueIyEEENSC_INSD_IbEEEENSA_11use_defaultESO_EENS0_5tupleIJNSA_16discard_iteratorISO_EES6_EEENSQ_IJSG_SG_EEES6_PlJS6_EEE10hipError_tPvRmT3_T4_T5_T6_T7_T9_mT8_P12ihipStream_tbDpT10_ENKUlT_T0_E_clISt17integral_constantIbLb0EES1E_IbLb1EEEEDaS1A_S1B_EUlS1A_E_NS1_11comp_targetILNS1_3genE5ELNS1_11target_archE942ELNS1_3gpuE9ELNS1_3repE0EEENS1_30default_config_static_selectorELNS0_4arch9wavefront6targetE0EEEvT1_, .Lfunc_end2678-_ZN7rocprim17ROCPRIM_400000_NS6detail17trampoline_kernelINS0_14default_configENS1_25partition_config_selectorILNS1_17partition_subalgoE5EyNS0_10empty_typeEbEEZZNS1_14partition_implILS5_5ELb0ES3_mN6thrust23THRUST_200600_302600_NS6detail15normal_iteratorINSA_10device_ptrIyEEEEPS6_NSA_18transform_iteratorINSB_9not_fun_tI7is_trueIyEEENSC_INSD_IbEEEENSA_11use_defaultESO_EENS0_5tupleIJNSA_16discard_iteratorISO_EES6_EEENSQ_IJSG_SG_EEES6_PlJS6_EEE10hipError_tPvRmT3_T4_T5_T6_T7_T9_mT8_P12ihipStream_tbDpT10_ENKUlT_T0_E_clISt17integral_constantIbLb0EES1E_IbLb1EEEEDaS1A_S1B_EUlS1A_E_NS1_11comp_targetILNS1_3genE5ELNS1_11target_archE942ELNS1_3gpuE9ELNS1_3repE0EEENS1_30default_config_static_selectorELNS0_4arch9wavefront6targetE0EEEvT1_
                                        ; -- End function
	.set _ZN7rocprim17ROCPRIM_400000_NS6detail17trampoline_kernelINS0_14default_configENS1_25partition_config_selectorILNS1_17partition_subalgoE5EyNS0_10empty_typeEbEEZZNS1_14partition_implILS5_5ELb0ES3_mN6thrust23THRUST_200600_302600_NS6detail15normal_iteratorINSA_10device_ptrIyEEEEPS6_NSA_18transform_iteratorINSB_9not_fun_tI7is_trueIyEEENSC_INSD_IbEEEENSA_11use_defaultESO_EENS0_5tupleIJNSA_16discard_iteratorISO_EES6_EEENSQ_IJSG_SG_EEES6_PlJS6_EEE10hipError_tPvRmT3_T4_T5_T6_T7_T9_mT8_P12ihipStream_tbDpT10_ENKUlT_T0_E_clISt17integral_constantIbLb0EES1E_IbLb1EEEEDaS1A_S1B_EUlS1A_E_NS1_11comp_targetILNS1_3genE5ELNS1_11target_archE942ELNS1_3gpuE9ELNS1_3repE0EEENS1_30default_config_static_selectorELNS0_4arch9wavefront6targetE0EEEvT1_.num_vgpr, 0
	.set _ZN7rocprim17ROCPRIM_400000_NS6detail17trampoline_kernelINS0_14default_configENS1_25partition_config_selectorILNS1_17partition_subalgoE5EyNS0_10empty_typeEbEEZZNS1_14partition_implILS5_5ELb0ES3_mN6thrust23THRUST_200600_302600_NS6detail15normal_iteratorINSA_10device_ptrIyEEEEPS6_NSA_18transform_iteratorINSB_9not_fun_tI7is_trueIyEEENSC_INSD_IbEEEENSA_11use_defaultESO_EENS0_5tupleIJNSA_16discard_iteratorISO_EES6_EEENSQ_IJSG_SG_EEES6_PlJS6_EEE10hipError_tPvRmT3_T4_T5_T6_T7_T9_mT8_P12ihipStream_tbDpT10_ENKUlT_T0_E_clISt17integral_constantIbLb0EES1E_IbLb1EEEEDaS1A_S1B_EUlS1A_E_NS1_11comp_targetILNS1_3genE5ELNS1_11target_archE942ELNS1_3gpuE9ELNS1_3repE0EEENS1_30default_config_static_selectorELNS0_4arch9wavefront6targetE0EEEvT1_.num_agpr, 0
	.set _ZN7rocprim17ROCPRIM_400000_NS6detail17trampoline_kernelINS0_14default_configENS1_25partition_config_selectorILNS1_17partition_subalgoE5EyNS0_10empty_typeEbEEZZNS1_14partition_implILS5_5ELb0ES3_mN6thrust23THRUST_200600_302600_NS6detail15normal_iteratorINSA_10device_ptrIyEEEEPS6_NSA_18transform_iteratorINSB_9not_fun_tI7is_trueIyEEENSC_INSD_IbEEEENSA_11use_defaultESO_EENS0_5tupleIJNSA_16discard_iteratorISO_EES6_EEENSQ_IJSG_SG_EEES6_PlJS6_EEE10hipError_tPvRmT3_T4_T5_T6_T7_T9_mT8_P12ihipStream_tbDpT10_ENKUlT_T0_E_clISt17integral_constantIbLb0EES1E_IbLb1EEEEDaS1A_S1B_EUlS1A_E_NS1_11comp_targetILNS1_3genE5ELNS1_11target_archE942ELNS1_3gpuE9ELNS1_3repE0EEENS1_30default_config_static_selectorELNS0_4arch9wavefront6targetE0EEEvT1_.numbered_sgpr, 0
	.set _ZN7rocprim17ROCPRIM_400000_NS6detail17trampoline_kernelINS0_14default_configENS1_25partition_config_selectorILNS1_17partition_subalgoE5EyNS0_10empty_typeEbEEZZNS1_14partition_implILS5_5ELb0ES3_mN6thrust23THRUST_200600_302600_NS6detail15normal_iteratorINSA_10device_ptrIyEEEEPS6_NSA_18transform_iteratorINSB_9not_fun_tI7is_trueIyEEENSC_INSD_IbEEEENSA_11use_defaultESO_EENS0_5tupleIJNSA_16discard_iteratorISO_EES6_EEENSQ_IJSG_SG_EEES6_PlJS6_EEE10hipError_tPvRmT3_T4_T5_T6_T7_T9_mT8_P12ihipStream_tbDpT10_ENKUlT_T0_E_clISt17integral_constantIbLb0EES1E_IbLb1EEEEDaS1A_S1B_EUlS1A_E_NS1_11comp_targetILNS1_3genE5ELNS1_11target_archE942ELNS1_3gpuE9ELNS1_3repE0EEENS1_30default_config_static_selectorELNS0_4arch9wavefront6targetE0EEEvT1_.num_named_barrier, 0
	.set _ZN7rocprim17ROCPRIM_400000_NS6detail17trampoline_kernelINS0_14default_configENS1_25partition_config_selectorILNS1_17partition_subalgoE5EyNS0_10empty_typeEbEEZZNS1_14partition_implILS5_5ELb0ES3_mN6thrust23THRUST_200600_302600_NS6detail15normal_iteratorINSA_10device_ptrIyEEEEPS6_NSA_18transform_iteratorINSB_9not_fun_tI7is_trueIyEEENSC_INSD_IbEEEENSA_11use_defaultESO_EENS0_5tupleIJNSA_16discard_iteratorISO_EES6_EEENSQ_IJSG_SG_EEES6_PlJS6_EEE10hipError_tPvRmT3_T4_T5_T6_T7_T9_mT8_P12ihipStream_tbDpT10_ENKUlT_T0_E_clISt17integral_constantIbLb0EES1E_IbLb1EEEEDaS1A_S1B_EUlS1A_E_NS1_11comp_targetILNS1_3genE5ELNS1_11target_archE942ELNS1_3gpuE9ELNS1_3repE0EEENS1_30default_config_static_selectorELNS0_4arch9wavefront6targetE0EEEvT1_.private_seg_size, 0
	.set _ZN7rocprim17ROCPRIM_400000_NS6detail17trampoline_kernelINS0_14default_configENS1_25partition_config_selectorILNS1_17partition_subalgoE5EyNS0_10empty_typeEbEEZZNS1_14partition_implILS5_5ELb0ES3_mN6thrust23THRUST_200600_302600_NS6detail15normal_iteratorINSA_10device_ptrIyEEEEPS6_NSA_18transform_iteratorINSB_9not_fun_tI7is_trueIyEEENSC_INSD_IbEEEENSA_11use_defaultESO_EENS0_5tupleIJNSA_16discard_iteratorISO_EES6_EEENSQ_IJSG_SG_EEES6_PlJS6_EEE10hipError_tPvRmT3_T4_T5_T6_T7_T9_mT8_P12ihipStream_tbDpT10_ENKUlT_T0_E_clISt17integral_constantIbLb0EES1E_IbLb1EEEEDaS1A_S1B_EUlS1A_E_NS1_11comp_targetILNS1_3genE5ELNS1_11target_archE942ELNS1_3gpuE9ELNS1_3repE0EEENS1_30default_config_static_selectorELNS0_4arch9wavefront6targetE0EEEvT1_.uses_vcc, 0
	.set _ZN7rocprim17ROCPRIM_400000_NS6detail17trampoline_kernelINS0_14default_configENS1_25partition_config_selectorILNS1_17partition_subalgoE5EyNS0_10empty_typeEbEEZZNS1_14partition_implILS5_5ELb0ES3_mN6thrust23THRUST_200600_302600_NS6detail15normal_iteratorINSA_10device_ptrIyEEEEPS6_NSA_18transform_iteratorINSB_9not_fun_tI7is_trueIyEEENSC_INSD_IbEEEENSA_11use_defaultESO_EENS0_5tupleIJNSA_16discard_iteratorISO_EES6_EEENSQ_IJSG_SG_EEES6_PlJS6_EEE10hipError_tPvRmT3_T4_T5_T6_T7_T9_mT8_P12ihipStream_tbDpT10_ENKUlT_T0_E_clISt17integral_constantIbLb0EES1E_IbLb1EEEEDaS1A_S1B_EUlS1A_E_NS1_11comp_targetILNS1_3genE5ELNS1_11target_archE942ELNS1_3gpuE9ELNS1_3repE0EEENS1_30default_config_static_selectorELNS0_4arch9wavefront6targetE0EEEvT1_.uses_flat_scratch, 0
	.set _ZN7rocprim17ROCPRIM_400000_NS6detail17trampoline_kernelINS0_14default_configENS1_25partition_config_selectorILNS1_17partition_subalgoE5EyNS0_10empty_typeEbEEZZNS1_14partition_implILS5_5ELb0ES3_mN6thrust23THRUST_200600_302600_NS6detail15normal_iteratorINSA_10device_ptrIyEEEEPS6_NSA_18transform_iteratorINSB_9not_fun_tI7is_trueIyEEENSC_INSD_IbEEEENSA_11use_defaultESO_EENS0_5tupleIJNSA_16discard_iteratorISO_EES6_EEENSQ_IJSG_SG_EEES6_PlJS6_EEE10hipError_tPvRmT3_T4_T5_T6_T7_T9_mT8_P12ihipStream_tbDpT10_ENKUlT_T0_E_clISt17integral_constantIbLb0EES1E_IbLb1EEEEDaS1A_S1B_EUlS1A_E_NS1_11comp_targetILNS1_3genE5ELNS1_11target_archE942ELNS1_3gpuE9ELNS1_3repE0EEENS1_30default_config_static_selectorELNS0_4arch9wavefront6targetE0EEEvT1_.has_dyn_sized_stack, 0
	.set _ZN7rocprim17ROCPRIM_400000_NS6detail17trampoline_kernelINS0_14default_configENS1_25partition_config_selectorILNS1_17partition_subalgoE5EyNS0_10empty_typeEbEEZZNS1_14partition_implILS5_5ELb0ES3_mN6thrust23THRUST_200600_302600_NS6detail15normal_iteratorINSA_10device_ptrIyEEEEPS6_NSA_18transform_iteratorINSB_9not_fun_tI7is_trueIyEEENSC_INSD_IbEEEENSA_11use_defaultESO_EENS0_5tupleIJNSA_16discard_iteratorISO_EES6_EEENSQ_IJSG_SG_EEES6_PlJS6_EEE10hipError_tPvRmT3_T4_T5_T6_T7_T9_mT8_P12ihipStream_tbDpT10_ENKUlT_T0_E_clISt17integral_constantIbLb0EES1E_IbLb1EEEEDaS1A_S1B_EUlS1A_E_NS1_11comp_targetILNS1_3genE5ELNS1_11target_archE942ELNS1_3gpuE9ELNS1_3repE0EEENS1_30default_config_static_selectorELNS0_4arch9wavefront6targetE0EEEvT1_.has_recursion, 0
	.set _ZN7rocprim17ROCPRIM_400000_NS6detail17trampoline_kernelINS0_14default_configENS1_25partition_config_selectorILNS1_17partition_subalgoE5EyNS0_10empty_typeEbEEZZNS1_14partition_implILS5_5ELb0ES3_mN6thrust23THRUST_200600_302600_NS6detail15normal_iteratorINSA_10device_ptrIyEEEEPS6_NSA_18transform_iteratorINSB_9not_fun_tI7is_trueIyEEENSC_INSD_IbEEEENSA_11use_defaultESO_EENS0_5tupleIJNSA_16discard_iteratorISO_EES6_EEENSQ_IJSG_SG_EEES6_PlJS6_EEE10hipError_tPvRmT3_T4_T5_T6_T7_T9_mT8_P12ihipStream_tbDpT10_ENKUlT_T0_E_clISt17integral_constantIbLb0EES1E_IbLb1EEEEDaS1A_S1B_EUlS1A_E_NS1_11comp_targetILNS1_3genE5ELNS1_11target_archE942ELNS1_3gpuE9ELNS1_3repE0EEENS1_30default_config_static_selectorELNS0_4arch9wavefront6targetE0EEEvT1_.has_indirect_call, 0
	.section	.AMDGPU.csdata,"",@progbits
; Kernel info:
; codeLenInByte = 0
; TotalNumSgprs: 0
; NumVgprs: 0
; ScratchSize: 0
; MemoryBound: 0
; FloatMode: 240
; IeeeMode: 1
; LDSByteSize: 0 bytes/workgroup (compile time only)
; SGPRBlocks: 0
; VGPRBlocks: 0
; NumSGPRsForWavesPerEU: 1
; NumVGPRsForWavesPerEU: 1
; Occupancy: 16
; WaveLimiterHint : 0
; COMPUTE_PGM_RSRC2:SCRATCH_EN: 0
; COMPUTE_PGM_RSRC2:USER_SGPR: 2
; COMPUTE_PGM_RSRC2:TRAP_HANDLER: 0
; COMPUTE_PGM_RSRC2:TGID_X_EN: 1
; COMPUTE_PGM_RSRC2:TGID_Y_EN: 0
; COMPUTE_PGM_RSRC2:TGID_Z_EN: 0
; COMPUTE_PGM_RSRC2:TIDIG_COMP_CNT: 0
	.section	.text._ZN7rocprim17ROCPRIM_400000_NS6detail17trampoline_kernelINS0_14default_configENS1_25partition_config_selectorILNS1_17partition_subalgoE5EyNS0_10empty_typeEbEEZZNS1_14partition_implILS5_5ELb0ES3_mN6thrust23THRUST_200600_302600_NS6detail15normal_iteratorINSA_10device_ptrIyEEEEPS6_NSA_18transform_iteratorINSB_9not_fun_tI7is_trueIyEEENSC_INSD_IbEEEENSA_11use_defaultESO_EENS0_5tupleIJNSA_16discard_iteratorISO_EES6_EEENSQ_IJSG_SG_EEES6_PlJS6_EEE10hipError_tPvRmT3_T4_T5_T6_T7_T9_mT8_P12ihipStream_tbDpT10_ENKUlT_T0_E_clISt17integral_constantIbLb0EES1E_IbLb1EEEEDaS1A_S1B_EUlS1A_E_NS1_11comp_targetILNS1_3genE4ELNS1_11target_archE910ELNS1_3gpuE8ELNS1_3repE0EEENS1_30default_config_static_selectorELNS0_4arch9wavefront6targetE0EEEvT1_,"axG",@progbits,_ZN7rocprim17ROCPRIM_400000_NS6detail17trampoline_kernelINS0_14default_configENS1_25partition_config_selectorILNS1_17partition_subalgoE5EyNS0_10empty_typeEbEEZZNS1_14partition_implILS5_5ELb0ES3_mN6thrust23THRUST_200600_302600_NS6detail15normal_iteratorINSA_10device_ptrIyEEEEPS6_NSA_18transform_iteratorINSB_9not_fun_tI7is_trueIyEEENSC_INSD_IbEEEENSA_11use_defaultESO_EENS0_5tupleIJNSA_16discard_iteratorISO_EES6_EEENSQ_IJSG_SG_EEES6_PlJS6_EEE10hipError_tPvRmT3_T4_T5_T6_T7_T9_mT8_P12ihipStream_tbDpT10_ENKUlT_T0_E_clISt17integral_constantIbLb0EES1E_IbLb1EEEEDaS1A_S1B_EUlS1A_E_NS1_11comp_targetILNS1_3genE4ELNS1_11target_archE910ELNS1_3gpuE8ELNS1_3repE0EEENS1_30default_config_static_selectorELNS0_4arch9wavefront6targetE0EEEvT1_,comdat
	.protected	_ZN7rocprim17ROCPRIM_400000_NS6detail17trampoline_kernelINS0_14default_configENS1_25partition_config_selectorILNS1_17partition_subalgoE5EyNS0_10empty_typeEbEEZZNS1_14partition_implILS5_5ELb0ES3_mN6thrust23THRUST_200600_302600_NS6detail15normal_iteratorINSA_10device_ptrIyEEEEPS6_NSA_18transform_iteratorINSB_9not_fun_tI7is_trueIyEEENSC_INSD_IbEEEENSA_11use_defaultESO_EENS0_5tupleIJNSA_16discard_iteratorISO_EES6_EEENSQ_IJSG_SG_EEES6_PlJS6_EEE10hipError_tPvRmT3_T4_T5_T6_T7_T9_mT8_P12ihipStream_tbDpT10_ENKUlT_T0_E_clISt17integral_constantIbLb0EES1E_IbLb1EEEEDaS1A_S1B_EUlS1A_E_NS1_11comp_targetILNS1_3genE4ELNS1_11target_archE910ELNS1_3gpuE8ELNS1_3repE0EEENS1_30default_config_static_selectorELNS0_4arch9wavefront6targetE0EEEvT1_ ; -- Begin function _ZN7rocprim17ROCPRIM_400000_NS6detail17trampoline_kernelINS0_14default_configENS1_25partition_config_selectorILNS1_17partition_subalgoE5EyNS0_10empty_typeEbEEZZNS1_14partition_implILS5_5ELb0ES3_mN6thrust23THRUST_200600_302600_NS6detail15normal_iteratorINSA_10device_ptrIyEEEEPS6_NSA_18transform_iteratorINSB_9not_fun_tI7is_trueIyEEENSC_INSD_IbEEEENSA_11use_defaultESO_EENS0_5tupleIJNSA_16discard_iteratorISO_EES6_EEENSQ_IJSG_SG_EEES6_PlJS6_EEE10hipError_tPvRmT3_T4_T5_T6_T7_T9_mT8_P12ihipStream_tbDpT10_ENKUlT_T0_E_clISt17integral_constantIbLb0EES1E_IbLb1EEEEDaS1A_S1B_EUlS1A_E_NS1_11comp_targetILNS1_3genE4ELNS1_11target_archE910ELNS1_3gpuE8ELNS1_3repE0EEENS1_30default_config_static_selectorELNS0_4arch9wavefront6targetE0EEEvT1_
	.globl	_ZN7rocprim17ROCPRIM_400000_NS6detail17trampoline_kernelINS0_14default_configENS1_25partition_config_selectorILNS1_17partition_subalgoE5EyNS0_10empty_typeEbEEZZNS1_14partition_implILS5_5ELb0ES3_mN6thrust23THRUST_200600_302600_NS6detail15normal_iteratorINSA_10device_ptrIyEEEEPS6_NSA_18transform_iteratorINSB_9not_fun_tI7is_trueIyEEENSC_INSD_IbEEEENSA_11use_defaultESO_EENS0_5tupleIJNSA_16discard_iteratorISO_EES6_EEENSQ_IJSG_SG_EEES6_PlJS6_EEE10hipError_tPvRmT3_T4_T5_T6_T7_T9_mT8_P12ihipStream_tbDpT10_ENKUlT_T0_E_clISt17integral_constantIbLb0EES1E_IbLb1EEEEDaS1A_S1B_EUlS1A_E_NS1_11comp_targetILNS1_3genE4ELNS1_11target_archE910ELNS1_3gpuE8ELNS1_3repE0EEENS1_30default_config_static_selectorELNS0_4arch9wavefront6targetE0EEEvT1_
	.p2align	8
	.type	_ZN7rocprim17ROCPRIM_400000_NS6detail17trampoline_kernelINS0_14default_configENS1_25partition_config_selectorILNS1_17partition_subalgoE5EyNS0_10empty_typeEbEEZZNS1_14partition_implILS5_5ELb0ES3_mN6thrust23THRUST_200600_302600_NS6detail15normal_iteratorINSA_10device_ptrIyEEEEPS6_NSA_18transform_iteratorINSB_9not_fun_tI7is_trueIyEEENSC_INSD_IbEEEENSA_11use_defaultESO_EENS0_5tupleIJNSA_16discard_iteratorISO_EES6_EEENSQ_IJSG_SG_EEES6_PlJS6_EEE10hipError_tPvRmT3_T4_T5_T6_T7_T9_mT8_P12ihipStream_tbDpT10_ENKUlT_T0_E_clISt17integral_constantIbLb0EES1E_IbLb1EEEEDaS1A_S1B_EUlS1A_E_NS1_11comp_targetILNS1_3genE4ELNS1_11target_archE910ELNS1_3gpuE8ELNS1_3repE0EEENS1_30default_config_static_selectorELNS0_4arch9wavefront6targetE0EEEvT1_,@function
_ZN7rocprim17ROCPRIM_400000_NS6detail17trampoline_kernelINS0_14default_configENS1_25partition_config_selectorILNS1_17partition_subalgoE5EyNS0_10empty_typeEbEEZZNS1_14partition_implILS5_5ELb0ES3_mN6thrust23THRUST_200600_302600_NS6detail15normal_iteratorINSA_10device_ptrIyEEEEPS6_NSA_18transform_iteratorINSB_9not_fun_tI7is_trueIyEEENSC_INSD_IbEEEENSA_11use_defaultESO_EENS0_5tupleIJNSA_16discard_iteratorISO_EES6_EEENSQ_IJSG_SG_EEES6_PlJS6_EEE10hipError_tPvRmT3_T4_T5_T6_T7_T9_mT8_P12ihipStream_tbDpT10_ENKUlT_T0_E_clISt17integral_constantIbLb0EES1E_IbLb1EEEEDaS1A_S1B_EUlS1A_E_NS1_11comp_targetILNS1_3genE4ELNS1_11target_archE910ELNS1_3gpuE8ELNS1_3repE0EEENS1_30default_config_static_selectorELNS0_4arch9wavefront6targetE0EEEvT1_: ; @_ZN7rocprim17ROCPRIM_400000_NS6detail17trampoline_kernelINS0_14default_configENS1_25partition_config_selectorILNS1_17partition_subalgoE5EyNS0_10empty_typeEbEEZZNS1_14partition_implILS5_5ELb0ES3_mN6thrust23THRUST_200600_302600_NS6detail15normal_iteratorINSA_10device_ptrIyEEEEPS6_NSA_18transform_iteratorINSB_9not_fun_tI7is_trueIyEEENSC_INSD_IbEEEENSA_11use_defaultESO_EENS0_5tupleIJNSA_16discard_iteratorISO_EES6_EEENSQ_IJSG_SG_EEES6_PlJS6_EEE10hipError_tPvRmT3_T4_T5_T6_T7_T9_mT8_P12ihipStream_tbDpT10_ENKUlT_T0_E_clISt17integral_constantIbLb0EES1E_IbLb1EEEEDaS1A_S1B_EUlS1A_E_NS1_11comp_targetILNS1_3genE4ELNS1_11target_archE910ELNS1_3gpuE8ELNS1_3repE0EEENS1_30default_config_static_selectorELNS0_4arch9wavefront6targetE0EEEvT1_
; %bb.0:
	.section	.rodata,"a",@progbits
	.p2align	6, 0x0
	.amdhsa_kernel _ZN7rocprim17ROCPRIM_400000_NS6detail17trampoline_kernelINS0_14default_configENS1_25partition_config_selectorILNS1_17partition_subalgoE5EyNS0_10empty_typeEbEEZZNS1_14partition_implILS5_5ELb0ES3_mN6thrust23THRUST_200600_302600_NS6detail15normal_iteratorINSA_10device_ptrIyEEEEPS6_NSA_18transform_iteratorINSB_9not_fun_tI7is_trueIyEEENSC_INSD_IbEEEENSA_11use_defaultESO_EENS0_5tupleIJNSA_16discard_iteratorISO_EES6_EEENSQ_IJSG_SG_EEES6_PlJS6_EEE10hipError_tPvRmT3_T4_T5_T6_T7_T9_mT8_P12ihipStream_tbDpT10_ENKUlT_T0_E_clISt17integral_constantIbLb0EES1E_IbLb1EEEEDaS1A_S1B_EUlS1A_E_NS1_11comp_targetILNS1_3genE4ELNS1_11target_archE910ELNS1_3gpuE8ELNS1_3repE0EEENS1_30default_config_static_selectorELNS0_4arch9wavefront6targetE0EEEvT1_
		.amdhsa_group_segment_fixed_size 0
		.amdhsa_private_segment_fixed_size 0
		.amdhsa_kernarg_size 144
		.amdhsa_user_sgpr_count 2
		.amdhsa_user_sgpr_dispatch_ptr 0
		.amdhsa_user_sgpr_queue_ptr 0
		.amdhsa_user_sgpr_kernarg_segment_ptr 1
		.amdhsa_user_sgpr_dispatch_id 0
		.amdhsa_user_sgpr_private_segment_size 0
		.amdhsa_wavefront_size32 1
		.amdhsa_uses_dynamic_stack 0
		.amdhsa_enable_private_segment 0
		.amdhsa_system_sgpr_workgroup_id_x 1
		.amdhsa_system_sgpr_workgroup_id_y 0
		.amdhsa_system_sgpr_workgroup_id_z 0
		.amdhsa_system_sgpr_workgroup_info 0
		.amdhsa_system_vgpr_workitem_id 0
		.amdhsa_next_free_vgpr 1
		.amdhsa_next_free_sgpr 1
		.amdhsa_reserve_vcc 0
		.amdhsa_float_round_mode_32 0
		.amdhsa_float_round_mode_16_64 0
		.amdhsa_float_denorm_mode_32 3
		.amdhsa_float_denorm_mode_16_64 3
		.amdhsa_fp16_overflow 0
		.amdhsa_workgroup_processor_mode 1
		.amdhsa_memory_ordered 1
		.amdhsa_forward_progress 1
		.amdhsa_inst_pref_size 0
		.amdhsa_round_robin_scheduling 0
		.amdhsa_exception_fp_ieee_invalid_op 0
		.amdhsa_exception_fp_denorm_src 0
		.amdhsa_exception_fp_ieee_div_zero 0
		.amdhsa_exception_fp_ieee_overflow 0
		.amdhsa_exception_fp_ieee_underflow 0
		.amdhsa_exception_fp_ieee_inexact 0
		.amdhsa_exception_int_div_zero 0
	.end_amdhsa_kernel
	.section	.text._ZN7rocprim17ROCPRIM_400000_NS6detail17trampoline_kernelINS0_14default_configENS1_25partition_config_selectorILNS1_17partition_subalgoE5EyNS0_10empty_typeEbEEZZNS1_14partition_implILS5_5ELb0ES3_mN6thrust23THRUST_200600_302600_NS6detail15normal_iteratorINSA_10device_ptrIyEEEEPS6_NSA_18transform_iteratorINSB_9not_fun_tI7is_trueIyEEENSC_INSD_IbEEEENSA_11use_defaultESO_EENS0_5tupleIJNSA_16discard_iteratorISO_EES6_EEENSQ_IJSG_SG_EEES6_PlJS6_EEE10hipError_tPvRmT3_T4_T5_T6_T7_T9_mT8_P12ihipStream_tbDpT10_ENKUlT_T0_E_clISt17integral_constantIbLb0EES1E_IbLb1EEEEDaS1A_S1B_EUlS1A_E_NS1_11comp_targetILNS1_3genE4ELNS1_11target_archE910ELNS1_3gpuE8ELNS1_3repE0EEENS1_30default_config_static_selectorELNS0_4arch9wavefront6targetE0EEEvT1_,"axG",@progbits,_ZN7rocprim17ROCPRIM_400000_NS6detail17trampoline_kernelINS0_14default_configENS1_25partition_config_selectorILNS1_17partition_subalgoE5EyNS0_10empty_typeEbEEZZNS1_14partition_implILS5_5ELb0ES3_mN6thrust23THRUST_200600_302600_NS6detail15normal_iteratorINSA_10device_ptrIyEEEEPS6_NSA_18transform_iteratorINSB_9not_fun_tI7is_trueIyEEENSC_INSD_IbEEEENSA_11use_defaultESO_EENS0_5tupleIJNSA_16discard_iteratorISO_EES6_EEENSQ_IJSG_SG_EEES6_PlJS6_EEE10hipError_tPvRmT3_T4_T5_T6_T7_T9_mT8_P12ihipStream_tbDpT10_ENKUlT_T0_E_clISt17integral_constantIbLb0EES1E_IbLb1EEEEDaS1A_S1B_EUlS1A_E_NS1_11comp_targetILNS1_3genE4ELNS1_11target_archE910ELNS1_3gpuE8ELNS1_3repE0EEENS1_30default_config_static_selectorELNS0_4arch9wavefront6targetE0EEEvT1_,comdat
.Lfunc_end2679:
	.size	_ZN7rocprim17ROCPRIM_400000_NS6detail17trampoline_kernelINS0_14default_configENS1_25partition_config_selectorILNS1_17partition_subalgoE5EyNS0_10empty_typeEbEEZZNS1_14partition_implILS5_5ELb0ES3_mN6thrust23THRUST_200600_302600_NS6detail15normal_iteratorINSA_10device_ptrIyEEEEPS6_NSA_18transform_iteratorINSB_9not_fun_tI7is_trueIyEEENSC_INSD_IbEEEENSA_11use_defaultESO_EENS0_5tupleIJNSA_16discard_iteratorISO_EES6_EEENSQ_IJSG_SG_EEES6_PlJS6_EEE10hipError_tPvRmT3_T4_T5_T6_T7_T9_mT8_P12ihipStream_tbDpT10_ENKUlT_T0_E_clISt17integral_constantIbLb0EES1E_IbLb1EEEEDaS1A_S1B_EUlS1A_E_NS1_11comp_targetILNS1_3genE4ELNS1_11target_archE910ELNS1_3gpuE8ELNS1_3repE0EEENS1_30default_config_static_selectorELNS0_4arch9wavefront6targetE0EEEvT1_, .Lfunc_end2679-_ZN7rocprim17ROCPRIM_400000_NS6detail17trampoline_kernelINS0_14default_configENS1_25partition_config_selectorILNS1_17partition_subalgoE5EyNS0_10empty_typeEbEEZZNS1_14partition_implILS5_5ELb0ES3_mN6thrust23THRUST_200600_302600_NS6detail15normal_iteratorINSA_10device_ptrIyEEEEPS6_NSA_18transform_iteratorINSB_9not_fun_tI7is_trueIyEEENSC_INSD_IbEEEENSA_11use_defaultESO_EENS0_5tupleIJNSA_16discard_iteratorISO_EES6_EEENSQ_IJSG_SG_EEES6_PlJS6_EEE10hipError_tPvRmT3_T4_T5_T6_T7_T9_mT8_P12ihipStream_tbDpT10_ENKUlT_T0_E_clISt17integral_constantIbLb0EES1E_IbLb1EEEEDaS1A_S1B_EUlS1A_E_NS1_11comp_targetILNS1_3genE4ELNS1_11target_archE910ELNS1_3gpuE8ELNS1_3repE0EEENS1_30default_config_static_selectorELNS0_4arch9wavefront6targetE0EEEvT1_
                                        ; -- End function
	.set _ZN7rocprim17ROCPRIM_400000_NS6detail17trampoline_kernelINS0_14default_configENS1_25partition_config_selectorILNS1_17partition_subalgoE5EyNS0_10empty_typeEbEEZZNS1_14partition_implILS5_5ELb0ES3_mN6thrust23THRUST_200600_302600_NS6detail15normal_iteratorINSA_10device_ptrIyEEEEPS6_NSA_18transform_iteratorINSB_9not_fun_tI7is_trueIyEEENSC_INSD_IbEEEENSA_11use_defaultESO_EENS0_5tupleIJNSA_16discard_iteratorISO_EES6_EEENSQ_IJSG_SG_EEES6_PlJS6_EEE10hipError_tPvRmT3_T4_T5_T6_T7_T9_mT8_P12ihipStream_tbDpT10_ENKUlT_T0_E_clISt17integral_constantIbLb0EES1E_IbLb1EEEEDaS1A_S1B_EUlS1A_E_NS1_11comp_targetILNS1_3genE4ELNS1_11target_archE910ELNS1_3gpuE8ELNS1_3repE0EEENS1_30default_config_static_selectorELNS0_4arch9wavefront6targetE0EEEvT1_.num_vgpr, 0
	.set _ZN7rocprim17ROCPRIM_400000_NS6detail17trampoline_kernelINS0_14default_configENS1_25partition_config_selectorILNS1_17partition_subalgoE5EyNS0_10empty_typeEbEEZZNS1_14partition_implILS5_5ELb0ES3_mN6thrust23THRUST_200600_302600_NS6detail15normal_iteratorINSA_10device_ptrIyEEEEPS6_NSA_18transform_iteratorINSB_9not_fun_tI7is_trueIyEEENSC_INSD_IbEEEENSA_11use_defaultESO_EENS0_5tupleIJNSA_16discard_iteratorISO_EES6_EEENSQ_IJSG_SG_EEES6_PlJS6_EEE10hipError_tPvRmT3_T4_T5_T6_T7_T9_mT8_P12ihipStream_tbDpT10_ENKUlT_T0_E_clISt17integral_constantIbLb0EES1E_IbLb1EEEEDaS1A_S1B_EUlS1A_E_NS1_11comp_targetILNS1_3genE4ELNS1_11target_archE910ELNS1_3gpuE8ELNS1_3repE0EEENS1_30default_config_static_selectorELNS0_4arch9wavefront6targetE0EEEvT1_.num_agpr, 0
	.set _ZN7rocprim17ROCPRIM_400000_NS6detail17trampoline_kernelINS0_14default_configENS1_25partition_config_selectorILNS1_17partition_subalgoE5EyNS0_10empty_typeEbEEZZNS1_14partition_implILS5_5ELb0ES3_mN6thrust23THRUST_200600_302600_NS6detail15normal_iteratorINSA_10device_ptrIyEEEEPS6_NSA_18transform_iteratorINSB_9not_fun_tI7is_trueIyEEENSC_INSD_IbEEEENSA_11use_defaultESO_EENS0_5tupleIJNSA_16discard_iteratorISO_EES6_EEENSQ_IJSG_SG_EEES6_PlJS6_EEE10hipError_tPvRmT3_T4_T5_T6_T7_T9_mT8_P12ihipStream_tbDpT10_ENKUlT_T0_E_clISt17integral_constantIbLb0EES1E_IbLb1EEEEDaS1A_S1B_EUlS1A_E_NS1_11comp_targetILNS1_3genE4ELNS1_11target_archE910ELNS1_3gpuE8ELNS1_3repE0EEENS1_30default_config_static_selectorELNS0_4arch9wavefront6targetE0EEEvT1_.numbered_sgpr, 0
	.set _ZN7rocprim17ROCPRIM_400000_NS6detail17trampoline_kernelINS0_14default_configENS1_25partition_config_selectorILNS1_17partition_subalgoE5EyNS0_10empty_typeEbEEZZNS1_14partition_implILS5_5ELb0ES3_mN6thrust23THRUST_200600_302600_NS6detail15normal_iteratorINSA_10device_ptrIyEEEEPS6_NSA_18transform_iteratorINSB_9not_fun_tI7is_trueIyEEENSC_INSD_IbEEEENSA_11use_defaultESO_EENS0_5tupleIJNSA_16discard_iteratorISO_EES6_EEENSQ_IJSG_SG_EEES6_PlJS6_EEE10hipError_tPvRmT3_T4_T5_T6_T7_T9_mT8_P12ihipStream_tbDpT10_ENKUlT_T0_E_clISt17integral_constantIbLb0EES1E_IbLb1EEEEDaS1A_S1B_EUlS1A_E_NS1_11comp_targetILNS1_3genE4ELNS1_11target_archE910ELNS1_3gpuE8ELNS1_3repE0EEENS1_30default_config_static_selectorELNS0_4arch9wavefront6targetE0EEEvT1_.num_named_barrier, 0
	.set _ZN7rocprim17ROCPRIM_400000_NS6detail17trampoline_kernelINS0_14default_configENS1_25partition_config_selectorILNS1_17partition_subalgoE5EyNS0_10empty_typeEbEEZZNS1_14partition_implILS5_5ELb0ES3_mN6thrust23THRUST_200600_302600_NS6detail15normal_iteratorINSA_10device_ptrIyEEEEPS6_NSA_18transform_iteratorINSB_9not_fun_tI7is_trueIyEEENSC_INSD_IbEEEENSA_11use_defaultESO_EENS0_5tupleIJNSA_16discard_iteratorISO_EES6_EEENSQ_IJSG_SG_EEES6_PlJS6_EEE10hipError_tPvRmT3_T4_T5_T6_T7_T9_mT8_P12ihipStream_tbDpT10_ENKUlT_T0_E_clISt17integral_constantIbLb0EES1E_IbLb1EEEEDaS1A_S1B_EUlS1A_E_NS1_11comp_targetILNS1_3genE4ELNS1_11target_archE910ELNS1_3gpuE8ELNS1_3repE0EEENS1_30default_config_static_selectorELNS0_4arch9wavefront6targetE0EEEvT1_.private_seg_size, 0
	.set _ZN7rocprim17ROCPRIM_400000_NS6detail17trampoline_kernelINS0_14default_configENS1_25partition_config_selectorILNS1_17partition_subalgoE5EyNS0_10empty_typeEbEEZZNS1_14partition_implILS5_5ELb0ES3_mN6thrust23THRUST_200600_302600_NS6detail15normal_iteratorINSA_10device_ptrIyEEEEPS6_NSA_18transform_iteratorINSB_9not_fun_tI7is_trueIyEEENSC_INSD_IbEEEENSA_11use_defaultESO_EENS0_5tupleIJNSA_16discard_iteratorISO_EES6_EEENSQ_IJSG_SG_EEES6_PlJS6_EEE10hipError_tPvRmT3_T4_T5_T6_T7_T9_mT8_P12ihipStream_tbDpT10_ENKUlT_T0_E_clISt17integral_constantIbLb0EES1E_IbLb1EEEEDaS1A_S1B_EUlS1A_E_NS1_11comp_targetILNS1_3genE4ELNS1_11target_archE910ELNS1_3gpuE8ELNS1_3repE0EEENS1_30default_config_static_selectorELNS0_4arch9wavefront6targetE0EEEvT1_.uses_vcc, 0
	.set _ZN7rocprim17ROCPRIM_400000_NS6detail17trampoline_kernelINS0_14default_configENS1_25partition_config_selectorILNS1_17partition_subalgoE5EyNS0_10empty_typeEbEEZZNS1_14partition_implILS5_5ELb0ES3_mN6thrust23THRUST_200600_302600_NS6detail15normal_iteratorINSA_10device_ptrIyEEEEPS6_NSA_18transform_iteratorINSB_9not_fun_tI7is_trueIyEEENSC_INSD_IbEEEENSA_11use_defaultESO_EENS0_5tupleIJNSA_16discard_iteratorISO_EES6_EEENSQ_IJSG_SG_EEES6_PlJS6_EEE10hipError_tPvRmT3_T4_T5_T6_T7_T9_mT8_P12ihipStream_tbDpT10_ENKUlT_T0_E_clISt17integral_constantIbLb0EES1E_IbLb1EEEEDaS1A_S1B_EUlS1A_E_NS1_11comp_targetILNS1_3genE4ELNS1_11target_archE910ELNS1_3gpuE8ELNS1_3repE0EEENS1_30default_config_static_selectorELNS0_4arch9wavefront6targetE0EEEvT1_.uses_flat_scratch, 0
	.set _ZN7rocprim17ROCPRIM_400000_NS6detail17trampoline_kernelINS0_14default_configENS1_25partition_config_selectorILNS1_17partition_subalgoE5EyNS0_10empty_typeEbEEZZNS1_14partition_implILS5_5ELb0ES3_mN6thrust23THRUST_200600_302600_NS6detail15normal_iteratorINSA_10device_ptrIyEEEEPS6_NSA_18transform_iteratorINSB_9not_fun_tI7is_trueIyEEENSC_INSD_IbEEEENSA_11use_defaultESO_EENS0_5tupleIJNSA_16discard_iteratorISO_EES6_EEENSQ_IJSG_SG_EEES6_PlJS6_EEE10hipError_tPvRmT3_T4_T5_T6_T7_T9_mT8_P12ihipStream_tbDpT10_ENKUlT_T0_E_clISt17integral_constantIbLb0EES1E_IbLb1EEEEDaS1A_S1B_EUlS1A_E_NS1_11comp_targetILNS1_3genE4ELNS1_11target_archE910ELNS1_3gpuE8ELNS1_3repE0EEENS1_30default_config_static_selectorELNS0_4arch9wavefront6targetE0EEEvT1_.has_dyn_sized_stack, 0
	.set _ZN7rocprim17ROCPRIM_400000_NS6detail17trampoline_kernelINS0_14default_configENS1_25partition_config_selectorILNS1_17partition_subalgoE5EyNS0_10empty_typeEbEEZZNS1_14partition_implILS5_5ELb0ES3_mN6thrust23THRUST_200600_302600_NS6detail15normal_iteratorINSA_10device_ptrIyEEEEPS6_NSA_18transform_iteratorINSB_9not_fun_tI7is_trueIyEEENSC_INSD_IbEEEENSA_11use_defaultESO_EENS0_5tupleIJNSA_16discard_iteratorISO_EES6_EEENSQ_IJSG_SG_EEES6_PlJS6_EEE10hipError_tPvRmT3_T4_T5_T6_T7_T9_mT8_P12ihipStream_tbDpT10_ENKUlT_T0_E_clISt17integral_constantIbLb0EES1E_IbLb1EEEEDaS1A_S1B_EUlS1A_E_NS1_11comp_targetILNS1_3genE4ELNS1_11target_archE910ELNS1_3gpuE8ELNS1_3repE0EEENS1_30default_config_static_selectorELNS0_4arch9wavefront6targetE0EEEvT1_.has_recursion, 0
	.set _ZN7rocprim17ROCPRIM_400000_NS6detail17trampoline_kernelINS0_14default_configENS1_25partition_config_selectorILNS1_17partition_subalgoE5EyNS0_10empty_typeEbEEZZNS1_14partition_implILS5_5ELb0ES3_mN6thrust23THRUST_200600_302600_NS6detail15normal_iteratorINSA_10device_ptrIyEEEEPS6_NSA_18transform_iteratorINSB_9not_fun_tI7is_trueIyEEENSC_INSD_IbEEEENSA_11use_defaultESO_EENS0_5tupleIJNSA_16discard_iteratorISO_EES6_EEENSQ_IJSG_SG_EEES6_PlJS6_EEE10hipError_tPvRmT3_T4_T5_T6_T7_T9_mT8_P12ihipStream_tbDpT10_ENKUlT_T0_E_clISt17integral_constantIbLb0EES1E_IbLb1EEEEDaS1A_S1B_EUlS1A_E_NS1_11comp_targetILNS1_3genE4ELNS1_11target_archE910ELNS1_3gpuE8ELNS1_3repE0EEENS1_30default_config_static_selectorELNS0_4arch9wavefront6targetE0EEEvT1_.has_indirect_call, 0
	.section	.AMDGPU.csdata,"",@progbits
; Kernel info:
; codeLenInByte = 0
; TotalNumSgprs: 0
; NumVgprs: 0
; ScratchSize: 0
; MemoryBound: 0
; FloatMode: 240
; IeeeMode: 1
; LDSByteSize: 0 bytes/workgroup (compile time only)
; SGPRBlocks: 0
; VGPRBlocks: 0
; NumSGPRsForWavesPerEU: 1
; NumVGPRsForWavesPerEU: 1
; Occupancy: 16
; WaveLimiterHint : 0
; COMPUTE_PGM_RSRC2:SCRATCH_EN: 0
; COMPUTE_PGM_RSRC2:USER_SGPR: 2
; COMPUTE_PGM_RSRC2:TRAP_HANDLER: 0
; COMPUTE_PGM_RSRC2:TGID_X_EN: 1
; COMPUTE_PGM_RSRC2:TGID_Y_EN: 0
; COMPUTE_PGM_RSRC2:TGID_Z_EN: 0
; COMPUTE_PGM_RSRC2:TIDIG_COMP_CNT: 0
	.section	.text._ZN7rocprim17ROCPRIM_400000_NS6detail17trampoline_kernelINS0_14default_configENS1_25partition_config_selectorILNS1_17partition_subalgoE5EyNS0_10empty_typeEbEEZZNS1_14partition_implILS5_5ELb0ES3_mN6thrust23THRUST_200600_302600_NS6detail15normal_iteratorINSA_10device_ptrIyEEEEPS6_NSA_18transform_iteratorINSB_9not_fun_tI7is_trueIyEEENSC_INSD_IbEEEENSA_11use_defaultESO_EENS0_5tupleIJNSA_16discard_iteratorISO_EES6_EEENSQ_IJSG_SG_EEES6_PlJS6_EEE10hipError_tPvRmT3_T4_T5_T6_T7_T9_mT8_P12ihipStream_tbDpT10_ENKUlT_T0_E_clISt17integral_constantIbLb0EES1E_IbLb1EEEEDaS1A_S1B_EUlS1A_E_NS1_11comp_targetILNS1_3genE3ELNS1_11target_archE908ELNS1_3gpuE7ELNS1_3repE0EEENS1_30default_config_static_selectorELNS0_4arch9wavefront6targetE0EEEvT1_,"axG",@progbits,_ZN7rocprim17ROCPRIM_400000_NS6detail17trampoline_kernelINS0_14default_configENS1_25partition_config_selectorILNS1_17partition_subalgoE5EyNS0_10empty_typeEbEEZZNS1_14partition_implILS5_5ELb0ES3_mN6thrust23THRUST_200600_302600_NS6detail15normal_iteratorINSA_10device_ptrIyEEEEPS6_NSA_18transform_iteratorINSB_9not_fun_tI7is_trueIyEEENSC_INSD_IbEEEENSA_11use_defaultESO_EENS0_5tupleIJNSA_16discard_iteratorISO_EES6_EEENSQ_IJSG_SG_EEES6_PlJS6_EEE10hipError_tPvRmT3_T4_T5_T6_T7_T9_mT8_P12ihipStream_tbDpT10_ENKUlT_T0_E_clISt17integral_constantIbLb0EES1E_IbLb1EEEEDaS1A_S1B_EUlS1A_E_NS1_11comp_targetILNS1_3genE3ELNS1_11target_archE908ELNS1_3gpuE7ELNS1_3repE0EEENS1_30default_config_static_selectorELNS0_4arch9wavefront6targetE0EEEvT1_,comdat
	.protected	_ZN7rocprim17ROCPRIM_400000_NS6detail17trampoline_kernelINS0_14default_configENS1_25partition_config_selectorILNS1_17partition_subalgoE5EyNS0_10empty_typeEbEEZZNS1_14partition_implILS5_5ELb0ES3_mN6thrust23THRUST_200600_302600_NS6detail15normal_iteratorINSA_10device_ptrIyEEEEPS6_NSA_18transform_iteratorINSB_9not_fun_tI7is_trueIyEEENSC_INSD_IbEEEENSA_11use_defaultESO_EENS0_5tupleIJNSA_16discard_iteratorISO_EES6_EEENSQ_IJSG_SG_EEES6_PlJS6_EEE10hipError_tPvRmT3_T4_T5_T6_T7_T9_mT8_P12ihipStream_tbDpT10_ENKUlT_T0_E_clISt17integral_constantIbLb0EES1E_IbLb1EEEEDaS1A_S1B_EUlS1A_E_NS1_11comp_targetILNS1_3genE3ELNS1_11target_archE908ELNS1_3gpuE7ELNS1_3repE0EEENS1_30default_config_static_selectorELNS0_4arch9wavefront6targetE0EEEvT1_ ; -- Begin function _ZN7rocprim17ROCPRIM_400000_NS6detail17trampoline_kernelINS0_14default_configENS1_25partition_config_selectorILNS1_17partition_subalgoE5EyNS0_10empty_typeEbEEZZNS1_14partition_implILS5_5ELb0ES3_mN6thrust23THRUST_200600_302600_NS6detail15normal_iteratorINSA_10device_ptrIyEEEEPS6_NSA_18transform_iteratorINSB_9not_fun_tI7is_trueIyEEENSC_INSD_IbEEEENSA_11use_defaultESO_EENS0_5tupleIJNSA_16discard_iteratorISO_EES6_EEENSQ_IJSG_SG_EEES6_PlJS6_EEE10hipError_tPvRmT3_T4_T5_T6_T7_T9_mT8_P12ihipStream_tbDpT10_ENKUlT_T0_E_clISt17integral_constantIbLb0EES1E_IbLb1EEEEDaS1A_S1B_EUlS1A_E_NS1_11comp_targetILNS1_3genE3ELNS1_11target_archE908ELNS1_3gpuE7ELNS1_3repE0EEENS1_30default_config_static_selectorELNS0_4arch9wavefront6targetE0EEEvT1_
	.globl	_ZN7rocprim17ROCPRIM_400000_NS6detail17trampoline_kernelINS0_14default_configENS1_25partition_config_selectorILNS1_17partition_subalgoE5EyNS0_10empty_typeEbEEZZNS1_14partition_implILS5_5ELb0ES3_mN6thrust23THRUST_200600_302600_NS6detail15normal_iteratorINSA_10device_ptrIyEEEEPS6_NSA_18transform_iteratorINSB_9not_fun_tI7is_trueIyEEENSC_INSD_IbEEEENSA_11use_defaultESO_EENS0_5tupleIJNSA_16discard_iteratorISO_EES6_EEENSQ_IJSG_SG_EEES6_PlJS6_EEE10hipError_tPvRmT3_T4_T5_T6_T7_T9_mT8_P12ihipStream_tbDpT10_ENKUlT_T0_E_clISt17integral_constantIbLb0EES1E_IbLb1EEEEDaS1A_S1B_EUlS1A_E_NS1_11comp_targetILNS1_3genE3ELNS1_11target_archE908ELNS1_3gpuE7ELNS1_3repE0EEENS1_30default_config_static_selectorELNS0_4arch9wavefront6targetE0EEEvT1_
	.p2align	8
	.type	_ZN7rocprim17ROCPRIM_400000_NS6detail17trampoline_kernelINS0_14default_configENS1_25partition_config_selectorILNS1_17partition_subalgoE5EyNS0_10empty_typeEbEEZZNS1_14partition_implILS5_5ELb0ES3_mN6thrust23THRUST_200600_302600_NS6detail15normal_iteratorINSA_10device_ptrIyEEEEPS6_NSA_18transform_iteratorINSB_9not_fun_tI7is_trueIyEEENSC_INSD_IbEEEENSA_11use_defaultESO_EENS0_5tupleIJNSA_16discard_iteratorISO_EES6_EEENSQ_IJSG_SG_EEES6_PlJS6_EEE10hipError_tPvRmT3_T4_T5_T6_T7_T9_mT8_P12ihipStream_tbDpT10_ENKUlT_T0_E_clISt17integral_constantIbLb0EES1E_IbLb1EEEEDaS1A_S1B_EUlS1A_E_NS1_11comp_targetILNS1_3genE3ELNS1_11target_archE908ELNS1_3gpuE7ELNS1_3repE0EEENS1_30default_config_static_selectorELNS0_4arch9wavefront6targetE0EEEvT1_,@function
_ZN7rocprim17ROCPRIM_400000_NS6detail17trampoline_kernelINS0_14default_configENS1_25partition_config_selectorILNS1_17partition_subalgoE5EyNS0_10empty_typeEbEEZZNS1_14partition_implILS5_5ELb0ES3_mN6thrust23THRUST_200600_302600_NS6detail15normal_iteratorINSA_10device_ptrIyEEEEPS6_NSA_18transform_iteratorINSB_9not_fun_tI7is_trueIyEEENSC_INSD_IbEEEENSA_11use_defaultESO_EENS0_5tupleIJNSA_16discard_iteratorISO_EES6_EEENSQ_IJSG_SG_EEES6_PlJS6_EEE10hipError_tPvRmT3_T4_T5_T6_T7_T9_mT8_P12ihipStream_tbDpT10_ENKUlT_T0_E_clISt17integral_constantIbLb0EES1E_IbLb1EEEEDaS1A_S1B_EUlS1A_E_NS1_11comp_targetILNS1_3genE3ELNS1_11target_archE908ELNS1_3gpuE7ELNS1_3repE0EEENS1_30default_config_static_selectorELNS0_4arch9wavefront6targetE0EEEvT1_: ; @_ZN7rocprim17ROCPRIM_400000_NS6detail17trampoline_kernelINS0_14default_configENS1_25partition_config_selectorILNS1_17partition_subalgoE5EyNS0_10empty_typeEbEEZZNS1_14partition_implILS5_5ELb0ES3_mN6thrust23THRUST_200600_302600_NS6detail15normal_iteratorINSA_10device_ptrIyEEEEPS6_NSA_18transform_iteratorINSB_9not_fun_tI7is_trueIyEEENSC_INSD_IbEEEENSA_11use_defaultESO_EENS0_5tupleIJNSA_16discard_iteratorISO_EES6_EEENSQ_IJSG_SG_EEES6_PlJS6_EEE10hipError_tPvRmT3_T4_T5_T6_T7_T9_mT8_P12ihipStream_tbDpT10_ENKUlT_T0_E_clISt17integral_constantIbLb0EES1E_IbLb1EEEEDaS1A_S1B_EUlS1A_E_NS1_11comp_targetILNS1_3genE3ELNS1_11target_archE908ELNS1_3gpuE7ELNS1_3repE0EEENS1_30default_config_static_selectorELNS0_4arch9wavefront6targetE0EEEvT1_
; %bb.0:
	.section	.rodata,"a",@progbits
	.p2align	6, 0x0
	.amdhsa_kernel _ZN7rocprim17ROCPRIM_400000_NS6detail17trampoline_kernelINS0_14default_configENS1_25partition_config_selectorILNS1_17partition_subalgoE5EyNS0_10empty_typeEbEEZZNS1_14partition_implILS5_5ELb0ES3_mN6thrust23THRUST_200600_302600_NS6detail15normal_iteratorINSA_10device_ptrIyEEEEPS6_NSA_18transform_iteratorINSB_9not_fun_tI7is_trueIyEEENSC_INSD_IbEEEENSA_11use_defaultESO_EENS0_5tupleIJNSA_16discard_iteratorISO_EES6_EEENSQ_IJSG_SG_EEES6_PlJS6_EEE10hipError_tPvRmT3_T4_T5_T6_T7_T9_mT8_P12ihipStream_tbDpT10_ENKUlT_T0_E_clISt17integral_constantIbLb0EES1E_IbLb1EEEEDaS1A_S1B_EUlS1A_E_NS1_11comp_targetILNS1_3genE3ELNS1_11target_archE908ELNS1_3gpuE7ELNS1_3repE0EEENS1_30default_config_static_selectorELNS0_4arch9wavefront6targetE0EEEvT1_
		.amdhsa_group_segment_fixed_size 0
		.amdhsa_private_segment_fixed_size 0
		.amdhsa_kernarg_size 144
		.amdhsa_user_sgpr_count 2
		.amdhsa_user_sgpr_dispatch_ptr 0
		.amdhsa_user_sgpr_queue_ptr 0
		.amdhsa_user_sgpr_kernarg_segment_ptr 1
		.amdhsa_user_sgpr_dispatch_id 0
		.amdhsa_user_sgpr_private_segment_size 0
		.amdhsa_wavefront_size32 1
		.amdhsa_uses_dynamic_stack 0
		.amdhsa_enable_private_segment 0
		.amdhsa_system_sgpr_workgroup_id_x 1
		.amdhsa_system_sgpr_workgroup_id_y 0
		.amdhsa_system_sgpr_workgroup_id_z 0
		.amdhsa_system_sgpr_workgroup_info 0
		.amdhsa_system_vgpr_workitem_id 0
		.amdhsa_next_free_vgpr 1
		.amdhsa_next_free_sgpr 1
		.amdhsa_reserve_vcc 0
		.amdhsa_float_round_mode_32 0
		.amdhsa_float_round_mode_16_64 0
		.amdhsa_float_denorm_mode_32 3
		.amdhsa_float_denorm_mode_16_64 3
		.amdhsa_fp16_overflow 0
		.amdhsa_workgroup_processor_mode 1
		.amdhsa_memory_ordered 1
		.amdhsa_forward_progress 1
		.amdhsa_inst_pref_size 0
		.amdhsa_round_robin_scheduling 0
		.amdhsa_exception_fp_ieee_invalid_op 0
		.amdhsa_exception_fp_denorm_src 0
		.amdhsa_exception_fp_ieee_div_zero 0
		.amdhsa_exception_fp_ieee_overflow 0
		.amdhsa_exception_fp_ieee_underflow 0
		.amdhsa_exception_fp_ieee_inexact 0
		.amdhsa_exception_int_div_zero 0
	.end_amdhsa_kernel
	.section	.text._ZN7rocprim17ROCPRIM_400000_NS6detail17trampoline_kernelINS0_14default_configENS1_25partition_config_selectorILNS1_17partition_subalgoE5EyNS0_10empty_typeEbEEZZNS1_14partition_implILS5_5ELb0ES3_mN6thrust23THRUST_200600_302600_NS6detail15normal_iteratorINSA_10device_ptrIyEEEEPS6_NSA_18transform_iteratorINSB_9not_fun_tI7is_trueIyEEENSC_INSD_IbEEEENSA_11use_defaultESO_EENS0_5tupleIJNSA_16discard_iteratorISO_EES6_EEENSQ_IJSG_SG_EEES6_PlJS6_EEE10hipError_tPvRmT3_T4_T5_T6_T7_T9_mT8_P12ihipStream_tbDpT10_ENKUlT_T0_E_clISt17integral_constantIbLb0EES1E_IbLb1EEEEDaS1A_S1B_EUlS1A_E_NS1_11comp_targetILNS1_3genE3ELNS1_11target_archE908ELNS1_3gpuE7ELNS1_3repE0EEENS1_30default_config_static_selectorELNS0_4arch9wavefront6targetE0EEEvT1_,"axG",@progbits,_ZN7rocprim17ROCPRIM_400000_NS6detail17trampoline_kernelINS0_14default_configENS1_25partition_config_selectorILNS1_17partition_subalgoE5EyNS0_10empty_typeEbEEZZNS1_14partition_implILS5_5ELb0ES3_mN6thrust23THRUST_200600_302600_NS6detail15normal_iteratorINSA_10device_ptrIyEEEEPS6_NSA_18transform_iteratorINSB_9not_fun_tI7is_trueIyEEENSC_INSD_IbEEEENSA_11use_defaultESO_EENS0_5tupleIJNSA_16discard_iteratorISO_EES6_EEENSQ_IJSG_SG_EEES6_PlJS6_EEE10hipError_tPvRmT3_T4_T5_T6_T7_T9_mT8_P12ihipStream_tbDpT10_ENKUlT_T0_E_clISt17integral_constantIbLb0EES1E_IbLb1EEEEDaS1A_S1B_EUlS1A_E_NS1_11comp_targetILNS1_3genE3ELNS1_11target_archE908ELNS1_3gpuE7ELNS1_3repE0EEENS1_30default_config_static_selectorELNS0_4arch9wavefront6targetE0EEEvT1_,comdat
.Lfunc_end2680:
	.size	_ZN7rocprim17ROCPRIM_400000_NS6detail17trampoline_kernelINS0_14default_configENS1_25partition_config_selectorILNS1_17partition_subalgoE5EyNS0_10empty_typeEbEEZZNS1_14partition_implILS5_5ELb0ES3_mN6thrust23THRUST_200600_302600_NS6detail15normal_iteratorINSA_10device_ptrIyEEEEPS6_NSA_18transform_iteratorINSB_9not_fun_tI7is_trueIyEEENSC_INSD_IbEEEENSA_11use_defaultESO_EENS0_5tupleIJNSA_16discard_iteratorISO_EES6_EEENSQ_IJSG_SG_EEES6_PlJS6_EEE10hipError_tPvRmT3_T4_T5_T6_T7_T9_mT8_P12ihipStream_tbDpT10_ENKUlT_T0_E_clISt17integral_constantIbLb0EES1E_IbLb1EEEEDaS1A_S1B_EUlS1A_E_NS1_11comp_targetILNS1_3genE3ELNS1_11target_archE908ELNS1_3gpuE7ELNS1_3repE0EEENS1_30default_config_static_selectorELNS0_4arch9wavefront6targetE0EEEvT1_, .Lfunc_end2680-_ZN7rocprim17ROCPRIM_400000_NS6detail17trampoline_kernelINS0_14default_configENS1_25partition_config_selectorILNS1_17partition_subalgoE5EyNS0_10empty_typeEbEEZZNS1_14partition_implILS5_5ELb0ES3_mN6thrust23THRUST_200600_302600_NS6detail15normal_iteratorINSA_10device_ptrIyEEEEPS6_NSA_18transform_iteratorINSB_9not_fun_tI7is_trueIyEEENSC_INSD_IbEEEENSA_11use_defaultESO_EENS0_5tupleIJNSA_16discard_iteratorISO_EES6_EEENSQ_IJSG_SG_EEES6_PlJS6_EEE10hipError_tPvRmT3_T4_T5_T6_T7_T9_mT8_P12ihipStream_tbDpT10_ENKUlT_T0_E_clISt17integral_constantIbLb0EES1E_IbLb1EEEEDaS1A_S1B_EUlS1A_E_NS1_11comp_targetILNS1_3genE3ELNS1_11target_archE908ELNS1_3gpuE7ELNS1_3repE0EEENS1_30default_config_static_selectorELNS0_4arch9wavefront6targetE0EEEvT1_
                                        ; -- End function
	.set _ZN7rocprim17ROCPRIM_400000_NS6detail17trampoline_kernelINS0_14default_configENS1_25partition_config_selectorILNS1_17partition_subalgoE5EyNS0_10empty_typeEbEEZZNS1_14partition_implILS5_5ELb0ES3_mN6thrust23THRUST_200600_302600_NS6detail15normal_iteratorINSA_10device_ptrIyEEEEPS6_NSA_18transform_iteratorINSB_9not_fun_tI7is_trueIyEEENSC_INSD_IbEEEENSA_11use_defaultESO_EENS0_5tupleIJNSA_16discard_iteratorISO_EES6_EEENSQ_IJSG_SG_EEES6_PlJS6_EEE10hipError_tPvRmT3_T4_T5_T6_T7_T9_mT8_P12ihipStream_tbDpT10_ENKUlT_T0_E_clISt17integral_constantIbLb0EES1E_IbLb1EEEEDaS1A_S1B_EUlS1A_E_NS1_11comp_targetILNS1_3genE3ELNS1_11target_archE908ELNS1_3gpuE7ELNS1_3repE0EEENS1_30default_config_static_selectorELNS0_4arch9wavefront6targetE0EEEvT1_.num_vgpr, 0
	.set _ZN7rocprim17ROCPRIM_400000_NS6detail17trampoline_kernelINS0_14default_configENS1_25partition_config_selectorILNS1_17partition_subalgoE5EyNS0_10empty_typeEbEEZZNS1_14partition_implILS5_5ELb0ES3_mN6thrust23THRUST_200600_302600_NS6detail15normal_iteratorINSA_10device_ptrIyEEEEPS6_NSA_18transform_iteratorINSB_9not_fun_tI7is_trueIyEEENSC_INSD_IbEEEENSA_11use_defaultESO_EENS0_5tupleIJNSA_16discard_iteratorISO_EES6_EEENSQ_IJSG_SG_EEES6_PlJS6_EEE10hipError_tPvRmT3_T4_T5_T6_T7_T9_mT8_P12ihipStream_tbDpT10_ENKUlT_T0_E_clISt17integral_constantIbLb0EES1E_IbLb1EEEEDaS1A_S1B_EUlS1A_E_NS1_11comp_targetILNS1_3genE3ELNS1_11target_archE908ELNS1_3gpuE7ELNS1_3repE0EEENS1_30default_config_static_selectorELNS0_4arch9wavefront6targetE0EEEvT1_.num_agpr, 0
	.set _ZN7rocprim17ROCPRIM_400000_NS6detail17trampoline_kernelINS0_14default_configENS1_25partition_config_selectorILNS1_17partition_subalgoE5EyNS0_10empty_typeEbEEZZNS1_14partition_implILS5_5ELb0ES3_mN6thrust23THRUST_200600_302600_NS6detail15normal_iteratorINSA_10device_ptrIyEEEEPS6_NSA_18transform_iteratorINSB_9not_fun_tI7is_trueIyEEENSC_INSD_IbEEEENSA_11use_defaultESO_EENS0_5tupleIJNSA_16discard_iteratorISO_EES6_EEENSQ_IJSG_SG_EEES6_PlJS6_EEE10hipError_tPvRmT3_T4_T5_T6_T7_T9_mT8_P12ihipStream_tbDpT10_ENKUlT_T0_E_clISt17integral_constantIbLb0EES1E_IbLb1EEEEDaS1A_S1B_EUlS1A_E_NS1_11comp_targetILNS1_3genE3ELNS1_11target_archE908ELNS1_3gpuE7ELNS1_3repE0EEENS1_30default_config_static_selectorELNS0_4arch9wavefront6targetE0EEEvT1_.numbered_sgpr, 0
	.set _ZN7rocprim17ROCPRIM_400000_NS6detail17trampoline_kernelINS0_14default_configENS1_25partition_config_selectorILNS1_17partition_subalgoE5EyNS0_10empty_typeEbEEZZNS1_14partition_implILS5_5ELb0ES3_mN6thrust23THRUST_200600_302600_NS6detail15normal_iteratorINSA_10device_ptrIyEEEEPS6_NSA_18transform_iteratorINSB_9not_fun_tI7is_trueIyEEENSC_INSD_IbEEEENSA_11use_defaultESO_EENS0_5tupleIJNSA_16discard_iteratorISO_EES6_EEENSQ_IJSG_SG_EEES6_PlJS6_EEE10hipError_tPvRmT3_T4_T5_T6_T7_T9_mT8_P12ihipStream_tbDpT10_ENKUlT_T0_E_clISt17integral_constantIbLb0EES1E_IbLb1EEEEDaS1A_S1B_EUlS1A_E_NS1_11comp_targetILNS1_3genE3ELNS1_11target_archE908ELNS1_3gpuE7ELNS1_3repE0EEENS1_30default_config_static_selectorELNS0_4arch9wavefront6targetE0EEEvT1_.num_named_barrier, 0
	.set _ZN7rocprim17ROCPRIM_400000_NS6detail17trampoline_kernelINS0_14default_configENS1_25partition_config_selectorILNS1_17partition_subalgoE5EyNS0_10empty_typeEbEEZZNS1_14partition_implILS5_5ELb0ES3_mN6thrust23THRUST_200600_302600_NS6detail15normal_iteratorINSA_10device_ptrIyEEEEPS6_NSA_18transform_iteratorINSB_9not_fun_tI7is_trueIyEEENSC_INSD_IbEEEENSA_11use_defaultESO_EENS0_5tupleIJNSA_16discard_iteratorISO_EES6_EEENSQ_IJSG_SG_EEES6_PlJS6_EEE10hipError_tPvRmT3_T4_T5_T6_T7_T9_mT8_P12ihipStream_tbDpT10_ENKUlT_T0_E_clISt17integral_constantIbLb0EES1E_IbLb1EEEEDaS1A_S1B_EUlS1A_E_NS1_11comp_targetILNS1_3genE3ELNS1_11target_archE908ELNS1_3gpuE7ELNS1_3repE0EEENS1_30default_config_static_selectorELNS0_4arch9wavefront6targetE0EEEvT1_.private_seg_size, 0
	.set _ZN7rocprim17ROCPRIM_400000_NS6detail17trampoline_kernelINS0_14default_configENS1_25partition_config_selectorILNS1_17partition_subalgoE5EyNS0_10empty_typeEbEEZZNS1_14partition_implILS5_5ELb0ES3_mN6thrust23THRUST_200600_302600_NS6detail15normal_iteratorINSA_10device_ptrIyEEEEPS6_NSA_18transform_iteratorINSB_9not_fun_tI7is_trueIyEEENSC_INSD_IbEEEENSA_11use_defaultESO_EENS0_5tupleIJNSA_16discard_iteratorISO_EES6_EEENSQ_IJSG_SG_EEES6_PlJS6_EEE10hipError_tPvRmT3_T4_T5_T6_T7_T9_mT8_P12ihipStream_tbDpT10_ENKUlT_T0_E_clISt17integral_constantIbLb0EES1E_IbLb1EEEEDaS1A_S1B_EUlS1A_E_NS1_11comp_targetILNS1_3genE3ELNS1_11target_archE908ELNS1_3gpuE7ELNS1_3repE0EEENS1_30default_config_static_selectorELNS0_4arch9wavefront6targetE0EEEvT1_.uses_vcc, 0
	.set _ZN7rocprim17ROCPRIM_400000_NS6detail17trampoline_kernelINS0_14default_configENS1_25partition_config_selectorILNS1_17partition_subalgoE5EyNS0_10empty_typeEbEEZZNS1_14partition_implILS5_5ELb0ES3_mN6thrust23THRUST_200600_302600_NS6detail15normal_iteratorINSA_10device_ptrIyEEEEPS6_NSA_18transform_iteratorINSB_9not_fun_tI7is_trueIyEEENSC_INSD_IbEEEENSA_11use_defaultESO_EENS0_5tupleIJNSA_16discard_iteratorISO_EES6_EEENSQ_IJSG_SG_EEES6_PlJS6_EEE10hipError_tPvRmT3_T4_T5_T6_T7_T9_mT8_P12ihipStream_tbDpT10_ENKUlT_T0_E_clISt17integral_constantIbLb0EES1E_IbLb1EEEEDaS1A_S1B_EUlS1A_E_NS1_11comp_targetILNS1_3genE3ELNS1_11target_archE908ELNS1_3gpuE7ELNS1_3repE0EEENS1_30default_config_static_selectorELNS0_4arch9wavefront6targetE0EEEvT1_.uses_flat_scratch, 0
	.set _ZN7rocprim17ROCPRIM_400000_NS6detail17trampoline_kernelINS0_14default_configENS1_25partition_config_selectorILNS1_17partition_subalgoE5EyNS0_10empty_typeEbEEZZNS1_14partition_implILS5_5ELb0ES3_mN6thrust23THRUST_200600_302600_NS6detail15normal_iteratorINSA_10device_ptrIyEEEEPS6_NSA_18transform_iteratorINSB_9not_fun_tI7is_trueIyEEENSC_INSD_IbEEEENSA_11use_defaultESO_EENS0_5tupleIJNSA_16discard_iteratorISO_EES6_EEENSQ_IJSG_SG_EEES6_PlJS6_EEE10hipError_tPvRmT3_T4_T5_T6_T7_T9_mT8_P12ihipStream_tbDpT10_ENKUlT_T0_E_clISt17integral_constantIbLb0EES1E_IbLb1EEEEDaS1A_S1B_EUlS1A_E_NS1_11comp_targetILNS1_3genE3ELNS1_11target_archE908ELNS1_3gpuE7ELNS1_3repE0EEENS1_30default_config_static_selectorELNS0_4arch9wavefront6targetE0EEEvT1_.has_dyn_sized_stack, 0
	.set _ZN7rocprim17ROCPRIM_400000_NS6detail17trampoline_kernelINS0_14default_configENS1_25partition_config_selectorILNS1_17partition_subalgoE5EyNS0_10empty_typeEbEEZZNS1_14partition_implILS5_5ELb0ES3_mN6thrust23THRUST_200600_302600_NS6detail15normal_iteratorINSA_10device_ptrIyEEEEPS6_NSA_18transform_iteratorINSB_9not_fun_tI7is_trueIyEEENSC_INSD_IbEEEENSA_11use_defaultESO_EENS0_5tupleIJNSA_16discard_iteratorISO_EES6_EEENSQ_IJSG_SG_EEES6_PlJS6_EEE10hipError_tPvRmT3_T4_T5_T6_T7_T9_mT8_P12ihipStream_tbDpT10_ENKUlT_T0_E_clISt17integral_constantIbLb0EES1E_IbLb1EEEEDaS1A_S1B_EUlS1A_E_NS1_11comp_targetILNS1_3genE3ELNS1_11target_archE908ELNS1_3gpuE7ELNS1_3repE0EEENS1_30default_config_static_selectorELNS0_4arch9wavefront6targetE0EEEvT1_.has_recursion, 0
	.set _ZN7rocprim17ROCPRIM_400000_NS6detail17trampoline_kernelINS0_14default_configENS1_25partition_config_selectorILNS1_17partition_subalgoE5EyNS0_10empty_typeEbEEZZNS1_14partition_implILS5_5ELb0ES3_mN6thrust23THRUST_200600_302600_NS6detail15normal_iteratorINSA_10device_ptrIyEEEEPS6_NSA_18transform_iteratorINSB_9not_fun_tI7is_trueIyEEENSC_INSD_IbEEEENSA_11use_defaultESO_EENS0_5tupleIJNSA_16discard_iteratorISO_EES6_EEENSQ_IJSG_SG_EEES6_PlJS6_EEE10hipError_tPvRmT3_T4_T5_T6_T7_T9_mT8_P12ihipStream_tbDpT10_ENKUlT_T0_E_clISt17integral_constantIbLb0EES1E_IbLb1EEEEDaS1A_S1B_EUlS1A_E_NS1_11comp_targetILNS1_3genE3ELNS1_11target_archE908ELNS1_3gpuE7ELNS1_3repE0EEENS1_30default_config_static_selectorELNS0_4arch9wavefront6targetE0EEEvT1_.has_indirect_call, 0
	.section	.AMDGPU.csdata,"",@progbits
; Kernel info:
; codeLenInByte = 0
; TotalNumSgprs: 0
; NumVgprs: 0
; ScratchSize: 0
; MemoryBound: 0
; FloatMode: 240
; IeeeMode: 1
; LDSByteSize: 0 bytes/workgroup (compile time only)
; SGPRBlocks: 0
; VGPRBlocks: 0
; NumSGPRsForWavesPerEU: 1
; NumVGPRsForWavesPerEU: 1
; Occupancy: 16
; WaveLimiterHint : 0
; COMPUTE_PGM_RSRC2:SCRATCH_EN: 0
; COMPUTE_PGM_RSRC2:USER_SGPR: 2
; COMPUTE_PGM_RSRC2:TRAP_HANDLER: 0
; COMPUTE_PGM_RSRC2:TGID_X_EN: 1
; COMPUTE_PGM_RSRC2:TGID_Y_EN: 0
; COMPUTE_PGM_RSRC2:TGID_Z_EN: 0
; COMPUTE_PGM_RSRC2:TIDIG_COMP_CNT: 0
	.section	.text._ZN7rocprim17ROCPRIM_400000_NS6detail17trampoline_kernelINS0_14default_configENS1_25partition_config_selectorILNS1_17partition_subalgoE5EyNS0_10empty_typeEbEEZZNS1_14partition_implILS5_5ELb0ES3_mN6thrust23THRUST_200600_302600_NS6detail15normal_iteratorINSA_10device_ptrIyEEEEPS6_NSA_18transform_iteratorINSB_9not_fun_tI7is_trueIyEEENSC_INSD_IbEEEENSA_11use_defaultESO_EENS0_5tupleIJNSA_16discard_iteratorISO_EES6_EEENSQ_IJSG_SG_EEES6_PlJS6_EEE10hipError_tPvRmT3_T4_T5_T6_T7_T9_mT8_P12ihipStream_tbDpT10_ENKUlT_T0_E_clISt17integral_constantIbLb0EES1E_IbLb1EEEEDaS1A_S1B_EUlS1A_E_NS1_11comp_targetILNS1_3genE2ELNS1_11target_archE906ELNS1_3gpuE6ELNS1_3repE0EEENS1_30default_config_static_selectorELNS0_4arch9wavefront6targetE0EEEvT1_,"axG",@progbits,_ZN7rocprim17ROCPRIM_400000_NS6detail17trampoline_kernelINS0_14default_configENS1_25partition_config_selectorILNS1_17partition_subalgoE5EyNS0_10empty_typeEbEEZZNS1_14partition_implILS5_5ELb0ES3_mN6thrust23THRUST_200600_302600_NS6detail15normal_iteratorINSA_10device_ptrIyEEEEPS6_NSA_18transform_iteratorINSB_9not_fun_tI7is_trueIyEEENSC_INSD_IbEEEENSA_11use_defaultESO_EENS0_5tupleIJNSA_16discard_iteratorISO_EES6_EEENSQ_IJSG_SG_EEES6_PlJS6_EEE10hipError_tPvRmT3_T4_T5_T6_T7_T9_mT8_P12ihipStream_tbDpT10_ENKUlT_T0_E_clISt17integral_constantIbLb0EES1E_IbLb1EEEEDaS1A_S1B_EUlS1A_E_NS1_11comp_targetILNS1_3genE2ELNS1_11target_archE906ELNS1_3gpuE6ELNS1_3repE0EEENS1_30default_config_static_selectorELNS0_4arch9wavefront6targetE0EEEvT1_,comdat
	.protected	_ZN7rocprim17ROCPRIM_400000_NS6detail17trampoline_kernelINS0_14default_configENS1_25partition_config_selectorILNS1_17partition_subalgoE5EyNS0_10empty_typeEbEEZZNS1_14partition_implILS5_5ELb0ES3_mN6thrust23THRUST_200600_302600_NS6detail15normal_iteratorINSA_10device_ptrIyEEEEPS6_NSA_18transform_iteratorINSB_9not_fun_tI7is_trueIyEEENSC_INSD_IbEEEENSA_11use_defaultESO_EENS0_5tupleIJNSA_16discard_iteratorISO_EES6_EEENSQ_IJSG_SG_EEES6_PlJS6_EEE10hipError_tPvRmT3_T4_T5_T6_T7_T9_mT8_P12ihipStream_tbDpT10_ENKUlT_T0_E_clISt17integral_constantIbLb0EES1E_IbLb1EEEEDaS1A_S1B_EUlS1A_E_NS1_11comp_targetILNS1_3genE2ELNS1_11target_archE906ELNS1_3gpuE6ELNS1_3repE0EEENS1_30default_config_static_selectorELNS0_4arch9wavefront6targetE0EEEvT1_ ; -- Begin function _ZN7rocprim17ROCPRIM_400000_NS6detail17trampoline_kernelINS0_14default_configENS1_25partition_config_selectorILNS1_17partition_subalgoE5EyNS0_10empty_typeEbEEZZNS1_14partition_implILS5_5ELb0ES3_mN6thrust23THRUST_200600_302600_NS6detail15normal_iteratorINSA_10device_ptrIyEEEEPS6_NSA_18transform_iteratorINSB_9not_fun_tI7is_trueIyEEENSC_INSD_IbEEEENSA_11use_defaultESO_EENS0_5tupleIJNSA_16discard_iteratorISO_EES6_EEENSQ_IJSG_SG_EEES6_PlJS6_EEE10hipError_tPvRmT3_T4_T5_T6_T7_T9_mT8_P12ihipStream_tbDpT10_ENKUlT_T0_E_clISt17integral_constantIbLb0EES1E_IbLb1EEEEDaS1A_S1B_EUlS1A_E_NS1_11comp_targetILNS1_3genE2ELNS1_11target_archE906ELNS1_3gpuE6ELNS1_3repE0EEENS1_30default_config_static_selectorELNS0_4arch9wavefront6targetE0EEEvT1_
	.globl	_ZN7rocprim17ROCPRIM_400000_NS6detail17trampoline_kernelINS0_14default_configENS1_25partition_config_selectorILNS1_17partition_subalgoE5EyNS0_10empty_typeEbEEZZNS1_14partition_implILS5_5ELb0ES3_mN6thrust23THRUST_200600_302600_NS6detail15normal_iteratorINSA_10device_ptrIyEEEEPS6_NSA_18transform_iteratorINSB_9not_fun_tI7is_trueIyEEENSC_INSD_IbEEEENSA_11use_defaultESO_EENS0_5tupleIJNSA_16discard_iteratorISO_EES6_EEENSQ_IJSG_SG_EEES6_PlJS6_EEE10hipError_tPvRmT3_T4_T5_T6_T7_T9_mT8_P12ihipStream_tbDpT10_ENKUlT_T0_E_clISt17integral_constantIbLb0EES1E_IbLb1EEEEDaS1A_S1B_EUlS1A_E_NS1_11comp_targetILNS1_3genE2ELNS1_11target_archE906ELNS1_3gpuE6ELNS1_3repE0EEENS1_30default_config_static_selectorELNS0_4arch9wavefront6targetE0EEEvT1_
	.p2align	8
	.type	_ZN7rocprim17ROCPRIM_400000_NS6detail17trampoline_kernelINS0_14default_configENS1_25partition_config_selectorILNS1_17partition_subalgoE5EyNS0_10empty_typeEbEEZZNS1_14partition_implILS5_5ELb0ES3_mN6thrust23THRUST_200600_302600_NS6detail15normal_iteratorINSA_10device_ptrIyEEEEPS6_NSA_18transform_iteratorINSB_9not_fun_tI7is_trueIyEEENSC_INSD_IbEEEENSA_11use_defaultESO_EENS0_5tupleIJNSA_16discard_iteratorISO_EES6_EEENSQ_IJSG_SG_EEES6_PlJS6_EEE10hipError_tPvRmT3_T4_T5_T6_T7_T9_mT8_P12ihipStream_tbDpT10_ENKUlT_T0_E_clISt17integral_constantIbLb0EES1E_IbLb1EEEEDaS1A_S1B_EUlS1A_E_NS1_11comp_targetILNS1_3genE2ELNS1_11target_archE906ELNS1_3gpuE6ELNS1_3repE0EEENS1_30default_config_static_selectorELNS0_4arch9wavefront6targetE0EEEvT1_,@function
_ZN7rocprim17ROCPRIM_400000_NS6detail17trampoline_kernelINS0_14default_configENS1_25partition_config_selectorILNS1_17partition_subalgoE5EyNS0_10empty_typeEbEEZZNS1_14partition_implILS5_5ELb0ES3_mN6thrust23THRUST_200600_302600_NS6detail15normal_iteratorINSA_10device_ptrIyEEEEPS6_NSA_18transform_iteratorINSB_9not_fun_tI7is_trueIyEEENSC_INSD_IbEEEENSA_11use_defaultESO_EENS0_5tupleIJNSA_16discard_iteratorISO_EES6_EEENSQ_IJSG_SG_EEES6_PlJS6_EEE10hipError_tPvRmT3_T4_T5_T6_T7_T9_mT8_P12ihipStream_tbDpT10_ENKUlT_T0_E_clISt17integral_constantIbLb0EES1E_IbLb1EEEEDaS1A_S1B_EUlS1A_E_NS1_11comp_targetILNS1_3genE2ELNS1_11target_archE906ELNS1_3gpuE6ELNS1_3repE0EEENS1_30default_config_static_selectorELNS0_4arch9wavefront6targetE0EEEvT1_: ; @_ZN7rocprim17ROCPRIM_400000_NS6detail17trampoline_kernelINS0_14default_configENS1_25partition_config_selectorILNS1_17partition_subalgoE5EyNS0_10empty_typeEbEEZZNS1_14partition_implILS5_5ELb0ES3_mN6thrust23THRUST_200600_302600_NS6detail15normal_iteratorINSA_10device_ptrIyEEEEPS6_NSA_18transform_iteratorINSB_9not_fun_tI7is_trueIyEEENSC_INSD_IbEEEENSA_11use_defaultESO_EENS0_5tupleIJNSA_16discard_iteratorISO_EES6_EEENSQ_IJSG_SG_EEES6_PlJS6_EEE10hipError_tPvRmT3_T4_T5_T6_T7_T9_mT8_P12ihipStream_tbDpT10_ENKUlT_T0_E_clISt17integral_constantIbLb0EES1E_IbLb1EEEEDaS1A_S1B_EUlS1A_E_NS1_11comp_targetILNS1_3genE2ELNS1_11target_archE906ELNS1_3gpuE6ELNS1_3repE0EEENS1_30default_config_static_selectorELNS0_4arch9wavefront6targetE0EEEvT1_
; %bb.0:
	.section	.rodata,"a",@progbits
	.p2align	6, 0x0
	.amdhsa_kernel _ZN7rocprim17ROCPRIM_400000_NS6detail17trampoline_kernelINS0_14default_configENS1_25partition_config_selectorILNS1_17partition_subalgoE5EyNS0_10empty_typeEbEEZZNS1_14partition_implILS5_5ELb0ES3_mN6thrust23THRUST_200600_302600_NS6detail15normal_iteratorINSA_10device_ptrIyEEEEPS6_NSA_18transform_iteratorINSB_9not_fun_tI7is_trueIyEEENSC_INSD_IbEEEENSA_11use_defaultESO_EENS0_5tupleIJNSA_16discard_iteratorISO_EES6_EEENSQ_IJSG_SG_EEES6_PlJS6_EEE10hipError_tPvRmT3_T4_T5_T6_T7_T9_mT8_P12ihipStream_tbDpT10_ENKUlT_T0_E_clISt17integral_constantIbLb0EES1E_IbLb1EEEEDaS1A_S1B_EUlS1A_E_NS1_11comp_targetILNS1_3genE2ELNS1_11target_archE906ELNS1_3gpuE6ELNS1_3repE0EEENS1_30default_config_static_selectorELNS0_4arch9wavefront6targetE0EEEvT1_
		.amdhsa_group_segment_fixed_size 0
		.amdhsa_private_segment_fixed_size 0
		.amdhsa_kernarg_size 144
		.amdhsa_user_sgpr_count 2
		.amdhsa_user_sgpr_dispatch_ptr 0
		.amdhsa_user_sgpr_queue_ptr 0
		.amdhsa_user_sgpr_kernarg_segment_ptr 1
		.amdhsa_user_sgpr_dispatch_id 0
		.amdhsa_user_sgpr_private_segment_size 0
		.amdhsa_wavefront_size32 1
		.amdhsa_uses_dynamic_stack 0
		.amdhsa_enable_private_segment 0
		.amdhsa_system_sgpr_workgroup_id_x 1
		.amdhsa_system_sgpr_workgroup_id_y 0
		.amdhsa_system_sgpr_workgroup_id_z 0
		.amdhsa_system_sgpr_workgroup_info 0
		.amdhsa_system_vgpr_workitem_id 0
		.amdhsa_next_free_vgpr 1
		.amdhsa_next_free_sgpr 1
		.amdhsa_reserve_vcc 0
		.amdhsa_float_round_mode_32 0
		.amdhsa_float_round_mode_16_64 0
		.amdhsa_float_denorm_mode_32 3
		.amdhsa_float_denorm_mode_16_64 3
		.amdhsa_fp16_overflow 0
		.amdhsa_workgroup_processor_mode 1
		.amdhsa_memory_ordered 1
		.amdhsa_forward_progress 1
		.amdhsa_inst_pref_size 0
		.amdhsa_round_robin_scheduling 0
		.amdhsa_exception_fp_ieee_invalid_op 0
		.amdhsa_exception_fp_denorm_src 0
		.amdhsa_exception_fp_ieee_div_zero 0
		.amdhsa_exception_fp_ieee_overflow 0
		.amdhsa_exception_fp_ieee_underflow 0
		.amdhsa_exception_fp_ieee_inexact 0
		.amdhsa_exception_int_div_zero 0
	.end_amdhsa_kernel
	.section	.text._ZN7rocprim17ROCPRIM_400000_NS6detail17trampoline_kernelINS0_14default_configENS1_25partition_config_selectorILNS1_17partition_subalgoE5EyNS0_10empty_typeEbEEZZNS1_14partition_implILS5_5ELb0ES3_mN6thrust23THRUST_200600_302600_NS6detail15normal_iteratorINSA_10device_ptrIyEEEEPS6_NSA_18transform_iteratorINSB_9not_fun_tI7is_trueIyEEENSC_INSD_IbEEEENSA_11use_defaultESO_EENS0_5tupleIJNSA_16discard_iteratorISO_EES6_EEENSQ_IJSG_SG_EEES6_PlJS6_EEE10hipError_tPvRmT3_T4_T5_T6_T7_T9_mT8_P12ihipStream_tbDpT10_ENKUlT_T0_E_clISt17integral_constantIbLb0EES1E_IbLb1EEEEDaS1A_S1B_EUlS1A_E_NS1_11comp_targetILNS1_3genE2ELNS1_11target_archE906ELNS1_3gpuE6ELNS1_3repE0EEENS1_30default_config_static_selectorELNS0_4arch9wavefront6targetE0EEEvT1_,"axG",@progbits,_ZN7rocprim17ROCPRIM_400000_NS6detail17trampoline_kernelINS0_14default_configENS1_25partition_config_selectorILNS1_17partition_subalgoE5EyNS0_10empty_typeEbEEZZNS1_14partition_implILS5_5ELb0ES3_mN6thrust23THRUST_200600_302600_NS6detail15normal_iteratorINSA_10device_ptrIyEEEEPS6_NSA_18transform_iteratorINSB_9not_fun_tI7is_trueIyEEENSC_INSD_IbEEEENSA_11use_defaultESO_EENS0_5tupleIJNSA_16discard_iteratorISO_EES6_EEENSQ_IJSG_SG_EEES6_PlJS6_EEE10hipError_tPvRmT3_T4_T5_T6_T7_T9_mT8_P12ihipStream_tbDpT10_ENKUlT_T0_E_clISt17integral_constantIbLb0EES1E_IbLb1EEEEDaS1A_S1B_EUlS1A_E_NS1_11comp_targetILNS1_3genE2ELNS1_11target_archE906ELNS1_3gpuE6ELNS1_3repE0EEENS1_30default_config_static_selectorELNS0_4arch9wavefront6targetE0EEEvT1_,comdat
.Lfunc_end2681:
	.size	_ZN7rocprim17ROCPRIM_400000_NS6detail17trampoline_kernelINS0_14default_configENS1_25partition_config_selectorILNS1_17partition_subalgoE5EyNS0_10empty_typeEbEEZZNS1_14partition_implILS5_5ELb0ES3_mN6thrust23THRUST_200600_302600_NS6detail15normal_iteratorINSA_10device_ptrIyEEEEPS6_NSA_18transform_iteratorINSB_9not_fun_tI7is_trueIyEEENSC_INSD_IbEEEENSA_11use_defaultESO_EENS0_5tupleIJNSA_16discard_iteratorISO_EES6_EEENSQ_IJSG_SG_EEES6_PlJS6_EEE10hipError_tPvRmT3_T4_T5_T6_T7_T9_mT8_P12ihipStream_tbDpT10_ENKUlT_T0_E_clISt17integral_constantIbLb0EES1E_IbLb1EEEEDaS1A_S1B_EUlS1A_E_NS1_11comp_targetILNS1_3genE2ELNS1_11target_archE906ELNS1_3gpuE6ELNS1_3repE0EEENS1_30default_config_static_selectorELNS0_4arch9wavefront6targetE0EEEvT1_, .Lfunc_end2681-_ZN7rocprim17ROCPRIM_400000_NS6detail17trampoline_kernelINS0_14default_configENS1_25partition_config_selectorILNS1_17partition_subalgoE5EyNS0_10empty_typeEbEEZZNS1_14partition_implILS5_5ELb0ES3_mN6thrust23THRUST_200600_302600_NS6detail15normal_iteratorINSA_10device_ptrIyEEEEPS6_NSA_18transform_iteratorINSB_9not_fun_tI7is_trueIyEEENSC_INSD_IbEEEENSA_11use_defaultESO_EENS0_5tupleIJNSA_16discard_iteratorISO_EES6_EEENSQ_IJSG_SG_EEES6_PlJS6_EEE10hipError_tPvRmT3_T4_T5_T6_T7_T9_mT8_P12ihipStream_tbDpT10_ENKUlT_T0_E_clISt17integral_constantIbLb0EES1E_IbLb1EEEEDaS1A_S1B_EUlS1A_E_NS1_11comp_targetILNS1_3genE2ELNS1_11target_archE906ELNS1_3gpuE6ELNS1_3repE0EEENS1_30default_config_static_selectorELNS0_4arch9wavefront6targetE0EEEvT1_
                                        ; -- End function
	.set _ZN7rocprim17ROCPRIM_400000_NS6detail17trampoline_kernelINS0_14default_configENS1_25partition_config_selectorILNS1_17partition_subalgoE5EyNS0_10empty_typeEbEEZZNS1_14partition_implILS5_5ELb0ES3_mN6thrust23THRUST_200600_302600_NS6detail15normal_iteratorINSA_10device_ptrIyEEEEPS6_NSA_18transform_iteratorINSB_9not_fun_tI7is_trueIyEEENSC_INSD_IbEEEENSA_11use_defaultESO_EENS0_5tupleIJNSA_16discard_iteratorISO_EES6_EEENSQ_IJSG_SG_EEES6_PlJS6_EEE10hipError_tPvRmT3_T4_T5_T6_T7_T9_mT8_P12ihipStream_tbDpT10_ENKUlT_T0_E_clISt17integral_constantIbLb0EES1E_IbLb1EEEEDaS1A_S1B_EUlS1A_E_NS1_11comp_targetILNS1_3genE2ELNS1_11target_archE906ELNS1_3gpuE6ELNS1_3repE0EEENS1_30default_config_static_selectorELNS0_4arch9wavefront6targetE0EEEvT1_.num_vgpr, 0
	.set _ZN7rocprim17ROCPRIM_400000_NS6detail17trampoline_kernelINS0_14default_configENS1_25partition_config_selectorILNS1_17partition_subalgoE5EyNS0_10empty_typeEbEEZZNS1_14partition_implILS5_5ELb0ES3_mN6thrust23THRUST_200600_302600_NS6detail15normal_iteratorINSA_10device_ptrIyEEEEPS6_NSA_18transform_iteratorINSB_9not_fun_tI7is_trueIyEEENSC_INSD_IbEEEENSA_11use_defaultESO_EENS0_5tupleIJNSA_16discard_iteratorISO_EES6_EEENSQ_IJSG_SG_EEES6_PlJS6_EEE10hipError_tPvRmT3_T4_T5_T6_T7_T9_mT8_P12ihipStream_tbDpT10_ENKUlT_T0_E_clISt17integral_constantIbLb0EES1E_IbLb1EEEEDaS1A_S1B_EUlS1A_E_NS1_11comp_targetILNS1_3genE2ELNS1_11target_archE906ELNS1_3gpuE6ELNS1_3repE0EEENS1_30default_config_static_selectorELNS0_4arch9wavefront6targetE0EEEvT1_.num_agpr, 0
	.set _ZN7rocprim17ROCPRIM_400000_NS6detail17trampoline_kernelINS0_14default_configENS1_25partition_config_selectorILNS1_17partition_subalgoE5EyNS0_10empty_typeEbEEZZNS1_14partition_implILS5_5ELb0ES3_mN6thrust23THRUST_200600_302600_NS6detail15normal_iteratorINSA_10device_ptrIyEEEEPS6_NSA_18transform_iteratorINSB_9not_fun_tI7is_trueIyEEENSC_INSD_IbEEEENSA_11use_defaultESO_EENS0_5tupleIJNSA_16discard_iteratorISO_EES6_EEENSQ_IJSG_SG_EEES6_PlJS6_EEE10hipError_tPvRmT3_T4_T5_T6_T7_T9_mT8_P12ihipStream_tbDpT10_ENKUlT_T0_E_clISt17integral_constantIbLb0EES1E_IbLb1EEEEDaS1A_S1B_EUlS1A_E_NS1_11comp_targetILNS1_3genE2ELNS1_11target_archE906ELNS1_3gpuE6ELNS1_3repE0EEENS1_30default_config_static_selectorELNS0_4arch9wavefront6targetE0EEEvT1_.numbered_sgpr, 0
	.set _ZN7rocprim17ROCPRIM_400000_NS6detail17trampoline_kernelINS0_14default_configENS1_25partition_config_selectorILNS1_17partition_subalgoE5EyNS0_10empty_typeEbEEZZNS1_14partition_implILS5_5ELb0ES3_mN6thrust23THRUST_200600_302600_NS6detail15normal_iteratorINSA_10device_ptrIyEEEEPS6_NSA_18transform_iteratorINSB_9not_fun_tI7is_trueIyEEENSC_INSD_IbEEEENSA_11use_defaultESO_EENS0_5tupleIJNSA_16discard_iteratorISO_EES6_EEENSQ_IJSG_SG_EEES6_PlJS6_EEE10hipError_tPvRmT3_T4_T5_T6_T7_T9_mT8_P12ihipStream_tbDpT10_ENKUlT_T0_E_clISt17integral_constantIbLb0EES1E_IbLb1EEEEDaS1A_S1B_EUlS1A_E_NS1_11comp_targetILNS1_3genE2ELNS1_11target_archE906ELNS1_3gpuE6ELNS1_3repE0EEENS1_30default_config_static_selectorELNS0_4arch9wavefront6targetE0EEEvT1_.num_named_barrier, 0
	.set _ZN7rocprim17ROCPRIM_400000_NS6detail17trampoline_kernelINS0_14default_configENS1_25partition_config_selectorILNS1_17partition_subalgoE5EyNS0_10empty_typeEbEEZZNS1_14partition_implILS5_5ELb0ES3_mN6thrust23THRUST_200600_302600_NS6detail15normal_iteratorINSA_10device_ptrIyEEEEPS6_NSA_18transform_iteratorINSB_9not_fun_tI7is_trueIyEEENSC_INSD_IbEEEENSA_11use_defaultESO_EENS0_5tupleIJNSA_16discard_iteratorISO_EES6_EEENSQ_IJSG_SG_EEES6_PlJS6_EEE10hipError_tPvRmT3_T4_T5_T6_T7_T9_mT8_P12ihipStream_tbDpT10_ENKUlT_T0_E_clISt17integral_constantIbLb0EES1E_IbLb1EEEEDaS1A_S1B_EUlS1A_E_NS1_11comp_targetILNS1_3genE2ELNS1_11target_archE906ELNS1_3gpuE6ELNS1_3repE0EEENS1_30default_config_static_selectorELNS0_4arch9wavefront6targetE0EEEvT1_.private_seg_size, 0
	.set _ZN7rocprim17ROCPRIM_400000_NS6detail17trampoline_kernelINS0_14default_configENS1_25partition_config_selectorILNS1_17partition_subalgoE5EyNS0_10empty_typeEbEEZZNS1_14partition_implILS5_5ELb0ES3_mN6thrust23THRUST_200600_302600_NS6detail15normal_iteratorINSA_10device_ptrIyEEEEPS6_NSA_18transform_iteratorINSB_9not_fun_tI7is_trueIyEEENSC_INSD_IbEEEENSA_11use_defaultESO_EENS0_5tupleIJNSA_16discard_iteratorISO_EES6_EEENSQ_IJSG_SG_EEES6_PlJS6_EEE10hipError_tPvRmT3_T4_T5_T6_T7_T9_mT8_P12ihipStream_tbDpT10_ENKUlT_T0_E_clISt17integral_constantIbLb0EES1E_IbLb1EEEEDaS1A_S1B_EUlS1A_E_NS1_11comp_targetILNS1_3genE2ELNS1_11target_archE906ELNS1_3gpuE6ELNS1_3repE0EEENS1_30default_config_static_selectorELNS0_4arch9wavefront6targetE0EEEvT1_.uses_vcc, 0
	.set _ZN7rocprim17ROCPRIM_400000_NS6detail17trampoline_kernelINS0_14default_configENS1_25partition_config_selectorILNS1_17partition_subalgoE5EyNS0_10empty_typeEbEEZZNS1_14partition_implILS5_5ELb0ES3_mN6thrust23THRUST_200600_302600_NS6detail15normal_iteratorINSA_10device_ptrIyEEEEPS6_NSA_18transform_iteratorINSB_9not_fun_tI7is_trueIyEEENSC_INSD_IbEEEENSA_11use_defaultESO_EENS0_5tupleIJNSA_16discard_iteratorISO_EES6_EEENSQ_IJSG_SG_EEES6_PlJS6_EEE10hipError_tPvRmT3_T4_T5_T6_T7_T9_mT8_P12ihipStream_tbDpT10_ENKUlT_T0_E_clISt17integral_constantIbLb0EES1E_IbLb1EEEEDaS1A_S1B_EUlS1A_E_NS1_11comp_targetILNS1_3genE2ELNS1_11target_archE906ELNS1_3gpuE6ELNS1_3repE0EEENS1_30default_config_static_selectorELNS0_4arch9wavefront6targetE0EEEvT1_.uses_flat_scratch, 0
	.set _ZN7rocprim17ROCPRIM_400000_NS6detail17trampoline_kernelINS0_14default_configENS1_25partition_config_selectorILNS1_17partition_subalgoE5EyNS0_10empty_typeEbEEZZNS1_14partition_implILS5_5ELb0ES3_mN6thrust23THRUST_200600_302600_NS6detail15normal_iteratorINSA_10device_ptrIyEEEEPS6_NSA_18transform_iteratorINSB_9not_fun_tI7is_trueIyEEENSC_INSD_IbEEEENSA_11use_defaultESO_EENS0_5tupleIJNSA_16discard_iteratorISO_EES6_EEENSQ_IJSG_SG_EEES6_PlJS6_EEE10hipError_tPvRmT3_T4_T5_T6_T7_T9_mT8_P12ihipStream_tbDpT10_ENKUlT_T0_E_clISt17integral_constantIbLb0EES1E_IbLb1EEEEDaS1A_S1B_EUlS1A_E_NS1_11comp_targetILNS1_3genE2ELNS1_11target_archE906ELNS1_3gpuE6ELNS1_3repE0EEENS1_30default_config_static_selectorELNS0_4arch9wavefront6targetE0EEEvT1_.has_dyn_sized_stack, 0
	.set _ZN7rocprim17ROCPRIM_400000_NS6detail17trampoline_kernelINS0_14default_configENS1_25partition_config_selectorILNS1_17partition_subalgoE5EyNS0_10empty_typeEbEEZZNS1_14partition_implILS5_5ELb0ES3_mN6thrust23THRUST_200600_302600_NS6detail15normal_iteratorINSA_10device_ptrIyEEEEPS6_NSA_18transform_iteratorINSB_9not_fun_tI7is_trueIyEEENSC_INSD_IbEEEENSA_11use_defaultESO_EENS0_5tupleIJNSA_16discard_iteratorISO_EES6_EEENSQ_IJSG_SG_EEES6_PlJS6_EEE10hipError_tPvRmT3_T4_T5_T6_T7_T9_mT8_P12ihipStream_tbDpT10_ENKUlT_T0_E_clISt17integral_constantIbLb0EES1E_IbLb1EEEEDaS1A_S1B_EUlS1A_E_NS1_11comp_targetILNS1_3genE2ELNS1_11target_archE906ELNS1_3gpuE6ELNS1_3repE0EEENS1_30default_config_static_selectorELNS0_4arch9wavefront6targetE0EEEvT1_.has_recursion, 0
	.set _ZN7rocprim17ROCPRIM_400000_NS6detail17trampoline_kernelINS0_14default_configENS1_25partition_config_selectorILNS1_17partition_subalgoE5EyNS0_10empty_typeEbEEZZNS1_14partition_implILS5_5ELb0ES3_mN6thrust23THRUST_200600_302600_NS6detail15normal_iteratorINSA_10device_ptrIyEEEEPS6_NSA_18transform_iteratorINSB_9not_fun_tI7is_trueIyEEENSC_INSD_IbEEEENSA_11use_defaultESO_EENS0_5tupleIJNSA_16discard_iteratorISO_EES6_EEENSQ_IJSG_SG_EEES6_PlJS6_EEE10hipError_tPvRmT3_T4_T5_T6_T7_T9_mT8_P12ihipStream_tbDpT10_ENKUlT_T0_E_clISt17integral_constantIbLb0EES1E_IbLb1EEEEDaS1A_S1B_EUlS1A_E_NS1_11comp_targetILNS1_3genE2ELNS1_11target_archE906ELNS1_3gpuE6ELNS1_3repE0EEENS1_30default_config_static_selectorELNS0_4arch9wavefront6targetE0EEEvT1_.has_indirect_call, 0
	.section	.AMDGPU.csdata,"",@progbits
; Kernel info:
; codeLenInByte = 0
; TotalNumSgprs: 0
; NumVgprs: 0
; ScratchSize: 0
; MemoryBound: 0
; FloatMode: 240
; IeeeMode: 1
; LDSByteSize: 0 bytes/workgroup (compile time only)
; SGPRBlocks: 0
; VGPRBlocks: 0
; NumSGPRsForWavesPerEU: 1
; NumVGPRsForWavesPerEU: 1
; Occupancy: 16
; WaveLimiterHint : 0
; COMPUTE_PGM_RSRC2:SCRATCH_EN: 0
; COMPUTE_PGM_RSRC2:USER_SGPR: 2
; COMPUTE_PGM_RSRC2:TRAP_HANDLER: 0
; COMPUTE_PGM_RSRC2:TGID_X_EN: 1
; COMPUTE_PGM_RSRC2:TGID_Y_EN: 0
; COMPUTE_PGM_RSRC2:TGID_Z_EN: 0
; COMPUTE_PGM_RSRC2:TIDIG_COMP_CNT: 0
	.section	.text._ZN7rocprim17ROCPRIM_400000_NS6detail17trampoline_kernelINS0_14default_configENS1_25partition_config_selectorILNS1_17partition_subalgoE5EyNS0_10empty_typeEbEEZZNS1_14partition_implILS5_5ELb0ES3_mN6thrust23THRUST_200600_302600_NS6detail15normal_iteratorINSA_10device_ptrIyEEEEPS6_NSA_18transform_iteratorINSB_9not_fun_tI7is_trueIyEEENSC_INSD_IbEEEENSA_11use_defaultESO_EENS0_5tupleIJNSA_16discard_iteratorISO_EES6_EEENSQ_IJSG_SG_EEES6_PlJS6_EEE10hipError_tPvRmT3_T4_T5_T6_T7_T9_mT8_P12ihipStream_tbDpT10_ENKUlT_T0_E_clISt17integral_constantIbLb0EES1E_IbLb1EEEEDaS1A_S1B_EUlS1A_E_NS1_11comp_targetILNS1_3genE10ELNS1_11target_archE1200ELNS1_3gpuE4ELNS1_3repE0EEENS1_30default_config_static_selectorELNS0_4arch9wavefront6targetE0EEEvT1_,"axG",@progbits,_ZN7rocprim17ROCPRIM_400000_NS6detail17trampoline_kernelINS0_14default_configENS1_25partition_config_selectorILNS1_17partition_subalgoE5EyNS0_10empty_typeEbEEZZNS1_14partition_implILS5_5ELb0ES3_mN6thrust23THRUST_200600_302600_NS6detail15normal_iteratorINSA_10device_ptrIyEEEEPS6_NSA_18transform_iteratorINSB_9not_fun_tI7is_trueIyEEENSC_INSD_IbEEEENSA_11use_defaultESO_EENS0_5tupleIJNSA_16discard_iteratorISO_EES6_EEENSQ_IJSG_SG_EEES6_PlJS6_EEE10hipError_tPvRmT3_T4_T5_T6_T7_T9_mT8_P12ihipStream_tbDpT10_ENKUlT_T0_E_clISt17integral_constantIbLb0EES1E_IbLb1EEEEDaS1A_S1B_EUlS1A_E_NS1_11comp_targetILNS1_3genE10ELNS1_11target_archE1200ELNS1_3gpuE4ELNS1_3repE0EEENS1_30default_config_static_selectorELNS0_4arch9wavefront6targetE0EEEvT1_,comdat
	.protected	_ZN7rocprim17ROCPRIM_400000_NS6detail17trampoline_kernelINS0_14default_configENS1_25partition_config_selectorILNS1_17partition_subalgoE5EyNS0_10empty_typeEbEEZZNS1_14partition_implILS5_5ELb0ES3_mN6thrust23THRUST_200600_302600_NS6detail15normal_iteratorINSA_10device_ptrIyEEEEPS6_NSA_18transform_iteratorINSB_9not_fun_tI7is_trueIyEEENSC_INSD_IbEEEENSA_11use_defaultESO_EENS0_5tupleIJNSA_16discard_iteratorISO_EES6_EEENSQ_IJSG_SG_EEES6_PlJS6_EEE10hipError_tPvRmT3_T4_T5_T6_T7_T9_mT8_P12ihipStream_tbDpT10_ENKUlT_T0_E_clISt17integral_constantIbLb0EES1E_IbLb1EEEEDaS1A_S1B_EUlS1A_E_NS1_11comp_targetILNS1_3genE10ELNS1_11target_archE1200ELNS1_3gpuE4ELNS1_3repE0EEENS1_30default_config_static_selectorELNS0_4arch9wavefront6targetE0EEEvT1_ ; -- Begin function _ZN7rocprim17ROCPRIM_400000_NS6detail17trampoline_kernelINS0_14default_configENS1_25partition_config_selectorILNS1_17partition_subalgoE5EyNS0_10empty_typeEbEEZZNS1_14partition_implILS5_5ELb0ES3_mN6thrust23THRUST_200600_302600_NS6detail15normal_iteratorINSA_10device_ptrIyEEEEPS6_NSA_18transform_iteratorINSB_9not_fun_tI7is_trueIyEEENSC_INSD_IbEEEENSA_11use_defaultESO_EENS0_5tupleIJNSA_16discard_iteratorISO_EES6_EEENSQ_IJSG_SG_EEES6_PlJS6_EEE10hipError_tPvRmT3_T4_T5_T6_T7_T9_mT8_P12ihipStream_tbDpT10_ENKUlT_T0_E_clISt17integral_constantIbLb0EES1E_IbLb1EEEEDaS1A_S1B_EUlS1A_E_NS1_11comp_targetILNS1_3genE10ELNS1_11target_archE1200ELNS1_3gpuE4ELNS1_3repE0EEENS1_30default_config_static_selectorELNS0_4arch9wavefront6targetE0EEEvT1_
	.globl	_ZN7rocprim17ROCPRIM_400000_NS6detail17trampoline_kernelINS0_14default_configENS1_25partition_config_selectorILNS1_17partition_subalgoE5EyNS0_10empty_typeEbEEZZNS1_14partition_implILS5_5ELb0ES3_mN6thrust23THRUST_200600_302600_NS6detail15normal_iteratorINSA_10device_ptrIyEEEEPS6_NSA_18transform_iteratorINSB_9not_fun_tI7is_trueIyEEENSC_INSD_IbEEEENSA_11use_defaultESO_EENS0_5tupleIJNSA_16discard_iteratorISO_EES6_EEENSQ_IJSG_SG_EEES6_PlJS6_EEE10hipError_tPvRmT3_T4_T5_T6_T7_T9_mT8_P12ihipStream_tbDpT10_ENKUlT_T0_E_clISt17integral_constantIbLb0EES1E_IbLb1EEEEDaS1A_S1B_EUlS1A_E_NS1_11comp_targetILNS1_3genE10ELNS1_11target_archE1200ELNS1_3gpuE4ELNS1_3repE0EEENS1_30default_config_static_selectorELNS0_4arch9wavefront6targetE0EEEvT1_
	.p2align	8
	.type	_ZN7rocprim17ROCPRIM_400000_NS6detail17trampoline_kernelINS0_14default_configENS1_25partition_config_selectorILNS1_17partition_subalgoE5EyNS0_10empty_typeEbEEZZNS1_14partition_implILS5_5ELb0ES3_mN6thrust23THRUST_200600_302600_NS6detail15normal_iteratorINSA_10device_ptrIyEEEEPS6_NSA_18transform_iteratorINSB_9not_fun_tI7is_trueIyEEENSC_INSD_IbEEEENSA_11use_defaultESO_EENS0_5tupleIJNSA_16discard_iteratorISO_EES6_EEENSQ_IJSG_SG_EEES6_PlJS6_EEE10hipError_tPvRmT3_T4_T5_T6_T7_T9_mT8_P12ihipStream_tbDpT10_ENKUlT_T0_E_clISt17integral_constantIbLb0EES1E_IbLb1EEEEDaS1A_S1B_EUlS1A_E_NS1_11comp_targetILNS1_3genE10ELNS1_11target_archE1200ELNS1_3gpuE4ELNS1_3repE0EEENS1_30default_config_static_selectorELNS0_4arch9wavefront6targetE0EEEvT1_,@function
_ZN7rocprim17ROCPRIM_400000_NS6detail17trampoline_kernelINS0_14default_configENS1_25partition_config_selectorILNS1_17partition_subalgoE5EyNS0_10empty_typeEbEEZZNS1_14partition_implILS5_5ELb0ES3_mN6thrust23THRUST_200600_302600_NS6detail15normal_iteratorINSA_10device_ptrIyEEEEPS6_NSA_18transform_iteratorINSB_9not_fun_tI7is_trueIyEEENSC_INSD_IbEEEENSA_11use_defaultESO_EENS0_5tupleIJNSA_16discard_iteratorISO_EES6_EEENSQ_IJSG_SG_EEES6_PlJS6_EEE10hipError_tPvRmT3_T4_T5_T6_T7_T9_mT8_P12ihipStream_tbDpT10_ENKUlT_T0_E_clISt17integral_constantIbLb0EES1E_IbLb1EEEEDaS1A_S1B_EUlS1A_E_NS1_11comp_targetILNS1_3genE10ELNS1_11target_archE1200ELNS1_3gpuE4ELNS1_3repE0EEENS1_30default_config_static_selectorELNS0_4arch9wavefront6targetE0EEEvT1_: ; @_ZN7rocprim17ROCPRIM_400000_NS6detail17trampoline_kernelINS0_14default_configENS1_25partition_config_selectorILNS1_17partition_subalgoE5EyNS0_10empty_typeEbEEZZNS1_14partition_implILS5_5ELb0ES3_mN6thrust23THRUST_200600_302600_NS6detail15normal_iteratorINSA_10device_ptrIyEEEEPS6_NSA_18transform_iteratorINSB_9not_fun_tI7is_trueIyEEENSC_INSD_IbEEEENSA_11use_defaultESO_EENS0_5tupleIJNSA_16discard_iteratorISO_EES6_EEENSQ_IJSG_SG_EEES6_PlJS6_EEE10hipError_tPvRmT3_T4_T5_T6_T7_T9_mT8_P12ihipStream_tbDpT10_ENKUlT_T0_E_clISt17integral_constantIbLb0EES1E_IbLb1EEEEDaS1A_S1B_EUlS1A_E_NS1_11comp_targetILNS1_3genE10ELNS1_11target_archE1200ELNS1_3gpuE4ELNS1_3repE0EEENS1_30default_config_static_selectorELNS0_4arch9wavefront6targetE0EEEvT1_
; %bb.0:
	s_clause 0x2
	s_load_b64 s[16:17], s[0:1], 0x60
	s_load_b128 s[4:7], s[0:1], 0x50
	s_load_b64 s[12:13], s[0:1], 0x70
	v_cmp_eq_u32_e64 s2, 0, v0
	s_and_saveexec_b32 s3, s2
	s_cbranch_execz .LBB2682_4
; %bb.1:
	s_mov_b32 s9, exec_lo
	s_mov_b32 s8, exec_lo
	v_mbcnt_lo_u32_b32 v1, s9, 0
                                        ; implicit-def: $vgpr2
	s_delay_alu instid0(VALU_DEP_1)
	v_cmpx_eq_u32_e32 0, v1
	s_cbranch_execz .LBB2682_3
; %bb.2:
	s_load_b64 s[10:11], s[0:1], 0x80
	s_bcnt1_i32_b32 s9, s9
	s_wait_alu 0xfffe
	v_dual_mov_b32 v2, 0 :: v_dual_mov_b32 v3, s9
	s_wait_kmcnt 0x0
	global_atomic_add_u32 v2, v2, v3, s[10:11] th:TH_ATOMIC_RETURN scope:SCOPE_DEV
.LBB2682_3:
	s_or_b32 exec_lo, exec_lo, s8
	s_wait_loadcnt 0x0
	v_readfirstlane_b32 s8, v2
	s_wait_alu 0xf1ff
	s_delay_alu instid0(VALU_DEP_1)
	v_dual_mov_b32 v2, 0 :: v_dual_add_nc_u32 v1, s8, v1
	ds_store_b32 v2, v1
.LBB2682_4:
	s_or_b32 exec_lo, exec_lo, s3
	v_mov_b32_e32 v1, 0
	s_clause 0x2
	s_load_b128 s[8:11], s[0:1], 0x8
	s_load_b64 s[14:15], s[0:1], 0x20
	s_load_b32 s0, s[0:1], 0x78
	s_wait_dscnt 0x0
	s_barrier_signal -1
	s_barrier_wait -1
	global_inv scope:SCOPE_SE
	ds_load_b32 v2, v1
	s_wait_loadcnt_dscnt 0x0
	s_barrier_signal -1
	s_barrier_wait -1
	global_inv scope:SCOPE_SE
	s_wait_kmcnt 0x0
	global_load_b64 v[17:18], v1, s[6:7]
	v_lshrrev_b32_e32 v12, 2, v0
	v_or_b32_e32 v11, 0x100, v0
	v_or_b32_e32 v10, 0x200, v0
	;; [unrolled: 1-line block ×3, first 2 shown]
	s_lshl_b64 s[6:7], s[10:11], 3
	s_add_co_i32 s19, s0, -1
	s_add_nc_u64 s[8:9], s[8:9], s[6:7]
	s_lshl_b32 s1, s19, 10
	s_lshl_b32 s6, s0, 10
	s_add_co_i32 s1, s10, s1
	v_readfirstlane_b32 s18, v2
	s_mov_b32 s7, 0
	s_sub_co_i32 s3, s16, s1
	s_add_nc_u64 s[0:1], s[10:11], s[6:7]
	s_lshl_b32 s20, s18, 10
	s_cmp_eq_u32 s18, s19
	v_cmp_gt_u64_e64 s0, s[16:17], s[0:1]
	s_cselect_b32 s16, -1, 0
	s_cmp_lg_u32 s18, s19
	s_mov_b32 s6, s20
	s_cselect_b32 s17, -1, 0
	s_lshl_b64 s[20:21], s[6:7], 3
	s_wait_alu 0xfffe
	s_or_b32 s17, s0, s17
	s_mov_b32 s1, -1
	s_wait_alu 0xfffe
	s_and_b32 vcc_lo, exec_lo, s17
	s_add_nc_u64 s[8:9], s[8:9], s[20:21]
	s_cbranch_vccz .LBB2682_6
; %bb.5:
	v_lshlrev_b32_e32 v13, 3, v0
	v_lshrrev_b32_e32 v14, 2, v11
	v_lshrrev_b32_e32 v15, 2, v10
	;; [unrolled: 1-line block ×3, first 2 shown]
	v_and_b32_e32 v19, 56, v12
	s_wait_alu 0xfffe
	v_add_co_u32 v1, s0, s8, v13
	s_wait_alu 0xf1ff
	v_add_co_ci_u32_e64 v2, null, s9, 0, s0
	v_and_b32_e32 v14, 0x78, v14
	v_and_b32_e32 v15, 0xb8, v15
	;; [unrolled: 1-line block ×3, first 2 shown]
	s_clause 0x3
	flat_load_b64 v[3:4], v[1:2]
	flat_load_b64 v[5:6], v[1:2] offset:2048
	flat_load_b64 v[7:8], v[1:2] offset:4096
	;; [unrolled: 1-line block ×3, first 2 shown]
	v_add_nc_u32_e32 v19, v19, v13
	v_add_nc_u32_e32 v14, v14, v13
	;; [unrolled: 1-line block ×4, first 2 shown]
	s_mov_b32 s1, s7
	s_wait_loadcnt_dscnt 0x303
	ds_store_b64 v19, v[3:4]
	s_wait_loadcnt_dscnt 0x203
	ds_store_b64 v14, v[5:6] offset:2048
	s_wait_loadcnt_dscnt 0x103
	ds_store_b64 v15, v[7:8] offset:4096
	;; [unrolled: 2-line block ×3, first 2 shown]
	s_wait_dscnt 0x0
	s_barrier_signal -1
	s_barrier_wait -1
.LBB2682_6:
	v_cmp_gt_u32_e64 s0, s3, v0
	s_wait_alu 0xfffe
	s_and_not1_b32 vcc_lo, exec_lo, s1
	s_cbranch_vccnz .LBB2682_13
; %bb.7:
	v_mov_b32_e32 v1, 0
	s_delay_alu instid0(VALU_DEP_1)
	v_dual_mov_b32 v2, v1 :: v_dual_mov_b32 v3, v1
	v_dual_mov_b32 v4, v1 :: v_dual_mov_b32 v5, v1
	;; [unrolled: 1-line block ×3, first 2 shown]
	v_mov_b32_e32 v8, v1
	s_and_saveexec_b32 s1, s0
	s_cbranch_execnz .LBB2682_123
; %bb.8:
	s_wait_alu 0xfffe
	s_or_b32 exec_lo, exec_lo, s1
	s_delay_alu instid0(SALU_CYCLE_1)
	s_mov_b32 s0, exec_lo
	v_cmpx_gt_u32_e64 s3, v11
	s_cbranch_execnz .LBB2682_124
.LBB2682_9:
	s_wait_alu 0xfffe
	s_or_b32 exec_lo, exec_lo, s0
	s_delay_alu instid0(SALU_CYCLE_1)
	s_mov_b32 s0, exec_lo
	v_cmpx_gt_u32_e64 s3, v10
	s_cbranch_execnz .LBB2682_125
.LBB2682_10:
	s_wait_alu 0xfffe
	s_or_b32 exec_lo, exec_lo, s0
	s_delay_alu instid0(SALU_CYCLE_1)
	s_mov_b32 s0, exec_lo
	v_cmpx_gt_u32_e64 s3, v9
	s_cbranch_execz .LBB2682_12
.LBB2682_11:
	v_lshlrev_b32_e32 v7, 3, v0
	s_delay_alu instid0(VALU_DEP_1)
	v_add_co_u32 v7, s1, s8, v7
	s_wait_alu 0xf1ff
	v_add_co_ci_u32_e64 v8, null, s9, 0, s1
	flat_load_b64 v[7:8], v[7:8] offset:6144
.LBB2682_12:
	s_wait_alu 0xfffe
	s_or_b32 exec_lo, exec_lo, s0
	v_lshrrev_b32_e32 v13, 2, v11
	v_lshrrev_b32_e32 v14, 2, v10
	;; [unrolled: 1-line block ×3, first 2 shown]
	v_and_b32_e32 v12, 56, v12
	v_lshlrev_b32_e32 v16, 3, v0
	v_and_b32_e32 v13, 0x78, v13
	v_and_b32_e32 v14, 0xf8, v14
	v_and_b32_e32 v15, 0xf8, v15
	s_delay_alu instid0(VALU_DEP_4) | instskip(NEXT) | instid1(VALU_DEP_4)
	v_add_nc_u32_e32 v12, v12, v16
	v_add_nc_u32_e32 v13, v13, v16
	s_delay_alu instid0(VALU_DEP_4) | instskip(NEXT) | instid1(VALU_DEP_4)
	v_add_nc_u32_e32 v14, v14, v16
	v_add_nc_u32_e32 v15, v15, v16
	ds_store_b64 v12, v[1:2]
	s_wait_loadcnt_dscnt 0x1
	ds_store_b64 v13, v[3:4] offset:2048
	ds_store_b64 v14, v[5:6] offset:4096
	;; [unrolled: 1-line block ×3, first 2 shown]
	s_wait_dscnt 0x0
	s_barrier_signal -1
	s_barrier_wait -1
.LBB2682_13:
	v_and_b32_e32 v1, 0xf8, v0
	s_wait_loadcnt 0x0
	global_inv scope:SCOPE_SE
	v_lshrrev_b32_e32 v27, 5, v0
	s_add_nc_u64 s[0:1], s[14:15], s[10:11]
	s_and_b32 vcc_lo, exec_lo, s17
	v_lshl_add_u32 v1, v0, 5, v1
	s_wait_alu 0xfffe
	s_add_nc_u64 s[0:1], s[0:1], s[6:7]
	s_mov_b32 s6, -1
	ds_load_2addr_b64 v[5:8], v1 offset1:1
	ds_load_2addr_b64 v[1:4], v1 offset0:2 offset1:3
	s_wait_loadcnt_dscnt 0x0
	s_barrier_signal -1
	s_barrier_wait -1
	global_inv scope:SCOPE_SE
	s_cbranch_vccz .LBB2682_15
; %bb.14:
	s_clause 0x3
	global_load_u8 v12, v0, s[0:1]
	global_load_u8 v13, v0, s[0:1] offset:256
	global_load_u8 v14, v0, s[0:1] offset:512
	;; [unrolled: 1-line block ×3, first 2 shown]
	v_lshrrev_b32_e32 v16, 5, v11
	v_lshrrev_b32_e32 v19, 5, v10
	;; [unrolled: 1-line block ×3, first 2 shown]
	v_and_b32_e32 v21, 4, v27
	s_mov_b32 s6, 0
	v_and_b32_e32 v16, 12, v16
	v_and_b32_e32 v19, 20, v19
	;; [unrolled: 1-line block ×3, first 2 shown]
	v_add_nc_u32_e32 v21, v21, v0
	s_delay_alu instid0(VALU_DEP_4) | instskip(NEXT) | instid1(VALU_DEP_4)
	v_add_nc_u32_e32 v16, v16, v0
	v_add_nc_u32_e32 v19, v19, v0
	s_delay_alu instid0(VALU_DEP_4)
	v_add_nc_u32_e32 v20, v20, v0
	s_wait_loadcnt 0x3
	v_xor_b32_e32 v12, 1, v12
	s_wait_loadcnt 0x2
	v_xor_b32_e32 v13, 1, v13
	;; [unrolled: 2-line block ×4, first 2 shown]
	ds_store_b8 v21, v12
	ds_store_b8 v16, v13 offset:256
	ds_store_b8 v19, v14 offset:512
	ds_store_b8 v20, v15 offset:768
	s_wait_dscnt 0x0
	s_barrier_signal -1
	s_barrier_wait -1
.LBB2682_15:
	v_lshlrev_b32_e32 v12, 2, v0
	v_lshrrev_b32_e32 v13, 3, v0
	s_and_not1_b32 vcc_lo, exec_lo, s6
	s_cbranch_vccnz .LBB2682_22
; %bb.16:
	v_dual_mov_b32 v14, 0 :: v_dual_mov_b32 v15, 0
	s_mov_b32 s6, exec_lo
	v_cmpx_gt_u32_e64 s3, v0
	s_cbranch_execnz .LBB2682_126
; %bb.17:
	s_or_b32 exec_lo, exec_lo, s6
	s_delay_alu instid0(SALU_CYCLE_1)
	s_mov_b32 s6, exec_lo
	v_cmpx_gt_u32_e64 s3, v11
	s_cbranch_execnz .LBB2682_127
.LBB2682_18:
	s_or_b32 exec_lo, exec_lo, s6
	s_delay_alu instid0(SALU_CYCLE_1)
	s_mov_b32 s6, exec_lo
	v_cmpx_gt_u32_e64 s3, v10
	s_cbranch_execnz .LBB2682_128
.LBB2682_19:
	s_or_b32 exec_lo, exec_lo, s6
	v_cmp_gt_u32_e32 vcc_lo, s3, v9
	s_and_saveexec_b32 s3, vcc_lo
	s_cbranch_execz .LBB2682_21
.LBB2682_20:
	global_load_u8 v16, v0, s[0:1] offset:768
	v_lshrrev_b32_e32 v19, 16, v15
	s_wait_loadcnt 0x0
	v_xor_b32_e32 v16, 1, v16
	s_delay_alu instid0(VALU_DEP_1) | instskip(NEXT) | instid1(VALU_DEP_1)
	v_lshlrev_b16 v16, 8, v16
	v_or_b32_e32 v16, v19, v16
	s_delay_alu instid0(VALU_DEP_1) | instskip(NEXT) | instid1(VALU_DEP_1)
	v_lshlrev_b32_e32 v16, 16, v16
	v_and_or_b32 v15, 0xffff, v15, v16
.LBB2682_21:
	s_wait_alu 0xfffe
	s_or_b32 exec_lo, exec_lo, s3
	v_lshrrev_b32_e32 v11, 5, v11
	v_lshrrev_b32_e32 v10, 5, v10
	;; [unrolled: 1-line block ×3, first 2 shown]
	v_and_b32_e32 v16, 4, v27
	v_lshrrev_b32_e32 v19, 8, v15
	v_and_b32_e32 v11, 12, v11
	v_and_b32_e32 v10, 28, v10
	;; [unrolled: 1-line block ×3, first 2 shown]
	v_add_nc_u32_e32 v16, v16, v0
	v_lshrrev_b32_e32 v20, 24, v15
	v_add_nc_u32_e32 v11, v11, v0
	v_add_nc_u32_e32 v10, v10, v0
	;; [unrolled: 1-line block ×3, first 2 shown]
	ds_store_b8 v16, v14
	ds_store_b8 v11, v19 offset:256
	ds_store_b8_d16_hi v10, v15 offset:512
	ds_store_b8 v9, v20 offset:768
	s_wait_loadcnt_dscnt 0x0
	s_barrier_signal -1
	s_barrier_wait -1
.LBB2682_22:
	s_delay_alu instid0(VALU_DEP_1)
	v_and_b32_e32 v9, 28, v13
	s_wait_loadcnt 0x0
	global_inv scope:SCOPE_SE
	v_mbcnt_lo_u32_b32 v33, -1, 0
	s_cmp_lg_u32 s18, 0
	s_mov_b32 s1, -1
	v_add_nc_u32_e32 v9, v9, v12
	s_delay_alu instid0(VALU_DEP_2)
	v_dual_mov_b32 v11, 0 :: v_dual_and_b32 v34, 15, v33
	ds_load_b32 v29, v9
	s_wait_loadcnt_dscnt 0x0
	s_barrier_signal -1
	s_barrier_wait -1
	global_inv scope:SCOPE_SE
	v_and_b32_e32 v32, 0xff, v29
	v_bfe_u32 v31, v29, 8, 8
	v_bfe_u32 v30, v29, 16, 8
	v_lshrrev_b32_e32 v28, 24, v29
	s_delay_alu instid0(VALU_DEP_2) | instskip(NEXT) | instid1(VALU_DEP_1)
	v_add3_u32 v9, v31, v32, v30
	v_add_co_u32 v19, s0, v9, v28
	s_wait_alu 0xf1fe
	v_add_co_ci_u32_e64 v20, null, 0, 0, s0
	v_cmp_ne_u32_e64 s0, 0, v34
	s_cbranch_scc0 .LBB2682_79
; %bb.23:
	v_dual_mov_b32 v12, v19 :: v_dual_mov_b32 v9, v19
	v_mov_b32_dpp v14, v19 row_shr:1 row_mask:0xf bank_mask:0xf
	v_mov_b32_dpp v13, v11 row_shr:1 row_mask:0xf bank_mask:0xf
	v_mov_b32_e32 v10, v20
	s_and_saveexec_b32 s1, s0
; %bb.24:
	s_delay_alu instid0(VALU_DEP_3) | instskip(NEXT) | instid1(VALU_DEP_1)
	v_add_co_u32 v12, vcc_lo, v19, v14
	v_add_co_ci_u32_e64 v9, null, 0, v20, vcc_lo
	s_delay_alu instid0(VALU_DEP_2) | instskip(SKIP_1) | instid1(VALU_DEP_2)
	v_add_co_u32 v10, vcc_lo, 0, v12
	s_wait_alu 0xfffd
	v_add_co_ci_u32_e64 v11, null, v13, v9, vcc_lo
	s_delay_alu instid0(VALU_DEP_2) | instskip(NEXT) | instid1(VALU_DEP_2)
	v_mov_b32_e32 v9, v10
	v_mov_b32_e32 v10, v11
; %bb.25:
	s_wait_alu 0xfffe
	s_or_b32 exec_lo, exec_lo, s1
	v_mov_b32_dpp v14, v12 row_shr:2 row_mask:0xf bank_mask:0xf
	v_mov_b32_dpp v13, v11 row_shr:2 row_mask:0xf bank_mask:0xf
	s_mov_b32 s1, exec_lo
	v_cmpx_lt_u32_e32 1, v34
; %bb.26:
	s_delay_alu instid0(VALU_DEP_3) | instskip(SKIP_2) | instid1(VALU_DEP_2)
	v_add_co_u32 v12, vcc_lo, v9, v14
	s_wait_alu 0xfffd
	v_add_co_ci_u32_e64 v9, null, 0, v10, vcc_lo
	v_add_co_u32 v10, vcc_lo, 0, v12
	s_wait_alu 0xfffd
	s_delay_alu instid0(VALU_DEP_2) | instskip(NEXT) | instid1(VALU_DEP_2)
	v_add_co_ci_u32_e64 v11, null, v13, v9, vcc_lo
	v_mov_b32_e32 v9, v10
	s_delay_alu instid0(VALU_DEP_2)
	v_mov_b32_e32 v10, v11
; %bb.27:
	s_wait_alu 0xfffe
	s_or_b32 exec_lo, exec_lo, s1
	v_mov_b32_dpp v14, v12 row_shr:4 row_mask:0xf bank_mask:0xf
	v_mov_b32_dpp v13, v11 row_shr:4 row_mask:0xf bank_mask:0xf
	s_mov_b32 s1, exec_lo
	v_cmpx_lt_u32_e32 3, v34
; %bb.28:
	s_delay_alu instid0(VALU_DEP_3) | instskip(SKIP_2) | instid1(VALU_DEP_2)
	v_add_co_u32 v12, vcc_lo, v9, v14
	s_wait_alu 0xfffd
	v_add_co_ci_u32_e64 v9, null, 0, v10, vcc_lo
	v_add_co_u32 v10, vcc_lo, 0, v12
	s_wait_alu 0xfffd
	s_delay_alu instid0(VALU_DEP_2) | instskip(NEXT) | instid1(VALU_DEP_2)
	v_add_co_ci_u32_e64 v11, null, v13, v9, vcc_lo
	v_mov_b32_e32 v9, v10
	s_delay_alu instid0(VALU_DEP_2)
	v_mov_b32_e32 v10, v11
; %bb.29:
	s_wait_alu 0xfffe
	s_or_b32 exec_lo, exec_lo, s1
	v_mov_b32_dpp v14, v12 row_shr:8 row_mask:0xf bank_mask:0xf
	v_mov_b32_dpp v13, v11 row_shr:8 row_mask:0xf bank_mask:0xf
	s_mov_b32 s1, exec_lo
	v_cmpx_lt_u32_e32 7, v34
; %bb.30:
	s_delay_alu instid0(VALU_DEP_3) | instskip(SKIP_2) | instid1(VALU_DEP_2)
	v_add_co_u32 v12, vcc_lo, v9, v14
	s_wait_alu 0xfffd
	v_add_co_ci_u32_e64 v10, null, 0, v10, vcc_lo
	v_add_co_u32 v9, vcc_lo, 0, v12
	s_wait_alu 0xfffd
	s_delay_alu instid0(VALU_DEP_2) | instskip(NEXT) | instid1(VALU_DEP_1)
	v_add_co_ci_u32_e64 v10, null, v13, v10, vcc_lo
	v_mov_b32_e32 v11, v10
; %bb.31:
	s_wait_alu 0xfffe
	s_or_b32 exec_lo, exec_lo, s1
	ds_swizzle_b32 v13, v12 offset:swizzle(BROADCAST,32,15)
	ds_swizzle_b32 v11, v11 offset:swizzle(BROADCAST,32,15)
	v_and_b32_e32 v14, 16, v33
	s_mov_b32 s1, exec_lo
	s_delay_alu instid0(VALU_DEP_1)
	v_cmpx_ne_u32_e32 0, v14
	s_cbranch_execz .LBB2682_33
; %bb.32:
	s_wait_dscnt 0x1
	v_add_co_u32 v12, vcc_lo, v9, v13
	s_wait_alu 0xfffd
	v_add_co_ci_u32_e64 v10, null, 0, v10, vcc_lo
	s_delay_alu instid0(VALU_DEP_2) | instskip(SKIP_2) | instid1(VALU_DEP_2)
	v_add_co_u32 v9, vcc_lo, 0, v12
	s_wait_dscnt 0x0
	s_wait_alu 0xfffd
	v_add_co_ci_u32_e64 v10, null, v11, v10, vcc_lo
.LBB2682_33:
	s_wait_alu 0xfffe
	s_or_b32 exec_lo, exec_lo, s1
	s_wait_dscnt 0x0
	v_or_b32_e32 v11, 31, v0
	s_mov_b32 s1, exec_lo
	s_delay_alu instid0(VALU_DEP_1)
	v_cmpx_eq_u32_e64 v0, v11
; %bb.34:
	v_lshlrev_b32_e32 v11, 3, v27
	ds_store_b64 v11, v[9:10]
; %bb.35:
	s_wait_alu 0xfffe
	s_or_b32 exec_lo, exec_lo, s1
	s_delay_alu instid0(SALU_CYCLE_1)
	s_mov_b32 s1, exec_lo
	s_wait_loadcnt_dscnt 0x0
	s_barrier_signal -1
	s_barrier_wait -1
	global_inv scope:SCOPE_SE
	v_cmpx_gt_u32_e32 8, v0
	s_cbranch_execz .LBB2682_43
; %bb.36:
	v_lshlrev_b32_e32 v11, 3, v0
	v_and_b32_e32 v13, 7, v33
	s_mov_b32 s3, exec_lo
	ds_load_b64 v[9:10], v11
	s_wait_dscnt 0x0
	v_mov_b32_dpp v16, v9 row_shr:1 row_mask:0xf bank_mask:0xf
	v_mov_b32_dpp v15, v10 row_shr:1 row_mask:0xf bank_mask:0xf
	v_mov_b32_e32 v14, v9
	v_cmpx_ne_u32_e32 0, v13
; %bb.37:
	s_delay_alu instid0(VALU_DEP_4) | instskip(SKIP_2) | instid1(VALU_DEP_2)
	v_add_co_u32 v14, vcc_lo, v9, v16
	s_wait_alu 0xfffd
	v_add_co_ci_u32_e64 v10, null, 0, v10, vcc_lo
	v_add_co_u32 v9, vcc_lo, 0, v14
	s_wait_alu 0xfffd
	s_delay_alu instid0(VALU_DEP_2)
	v_add_co_ci_u32_e64 v10, null, v15, v10, vcc_lo
; %bb.38:
	s_wait_alu 0xfffe
	s_or_b32 exec_lo, exec_lo, s3
	v_mov_b32_dpp v16, v14 row_shr:2 row_mask:0xf bank_mask:0xf
	s_delay_alu instid0(VALU_DEP_2)
	v_mov_b32_dpp v15, v10 row_shr:2 row_mask:0xf bank_mask:0xf
	s_mov_b32 s3, exec_lo
	v_cmpx_lt_u32_e32 1, v13
; %bb.39:
	s_delay_alu instid0(VALU_DEP_3) | instskip(SKIP_2) | instid1(VALU_DEP_2)
	v_add_co_u32 v14, vcc_lo, v9, v16
	s_wait_alu 0xfffd
	v_add_co_ci_u32_e64 v10, null, 0, v10, vcc_lo
	v_add_co_u32 v9, vcc_lo, 0, v14
	s_wait_alu 0xfffd
	s_delay_alu instid0(VALU_DEP_2)
	v_add_co_ci_u32_e64 v10, null, v15, v10, vcc_lo
; %bb.40:
	s_wait_alu 0xfffe
	s_or_b32 exec_lo, exec_lo, s3
	v_mov_b32_dpp v15, v14 row_shr:4 row_mask:0xf bank_mask:0xf
	s_delay_alu instid0(VALU_DEP_2)
	v_mov_b32_dpp v14, v10 row_shr:4 row_mask:0xf bank_mask:0xf
	s_mov_b32 s3, exec_lo
	v_cmpx_lt_u32_e32 3, v13
; %bb.41:
	s_delay_alu instid0(VALU_DEP_3) | instskip(SKIP_2) | instid1(VALU_DEP_2)
	v_add_co_u32 v9, vcc_lo, v9, v15
	s_wait_alu 0xfffd
	v_add_co_ci_u32_e64 v10, null, 0, v10, vcc_lo
	v_add_co_u32 v9, vcc_lo, v9, 0
	s_wait_alu 0xfffd
	s_delay_alu instid0(VALU_DEP_2)
	v_add_co_ci_u32_e64 v10, null, v10, v14, vcc_lo
; %bb.42:
	s_wait_alu 0xfffe
	s_or_b32 exec_lo, exec_lo, s3
	ds_store_b64 v11, v[9:10]
.LBB2682_43:
	s_wait_alu 0xfffe
	s_or_b32 exec_lo, exec_lo, s1
	s_delay_alu instid0(SALU_CYCLE_1)
	s_mov_b32 s3, exec_lo
	v_cmp_gt_u32_e32 vcc_lo, 32, v0
	s_wait_loadcnt_dscnt 0x0
	s_barrier_signal -1
	s_barrier_wait -1
	global_inv scope:SCOPE_SE
                                        ; implicit-def: $vgpr21_vgpr22
	v_cmpx_lt_u32_e32 31, v0
	s_cbranch_execz .LBB2682_45
; %bb.44:
	v_lshl_add_u32 v9, v27, 3, -8
	ds_load_b64 v[21:22], v9
	s_wait_dscnt 0x0
	v_add_nc_u32_e32 v12, v12, v21
.LBB2682_45:
	s_wait_alu 0xfffe
	s_or_b32 exec_lo, exec_lo, s3
	v_sub_co_u32 v9, s1, v33, 1
	s_delay_alu instid0(VALU_DEP_1) | instskip(SKIP_1) | instid1(VALU_DEP_1)
	v_cmp_gt_i32_e64 s3, 0, v9
	s_wait_alu 0xf1ff
	v_cndmask_b32_e64 v9, v9, v33, s3
	s_delay_alu instid0(VALU_DEP_1)
	v_lshlrev_b32_e32 v9, 2, v9
	ds_bpermute_b32 v35, v9, v12
	s_and_saveexec_b32 s3, vcc_lo
	s_cbranch_execz .LBB2682_84
; %bb.46:
	v_mov_b32_e32 v12, 0
	ds_load_b64 v[9:10], v12 offset:56
	s_and_saveexec_b32 s6, s1
	s_cbranch_execz .LBB2682_48
; %bb.47:
	s_add_co_i32 s8, s18, 32
	s_mov_b32 s9, 0
	s_wait_alu 0xfffe
	s_lshl_b64 s[8:9], s[8:9], 4
	s_wait_alu 0xfffe
	s_add_nc_u64 s[8:9], s[12:13], s[8:9]
	s_wait_alu 0xfffe
	v_dual_mov_b32 v11, 1 :: v_dual_mov_b32 v14, s9
	v_mov_b32_e32 v13, s8
	s_wait_dscnt 0x0
	;;#ASMSTART
	global_store_b128 v[13:14], v[9:12] off scope:SCOPE_DEV	
s_wait_storecnt 0x0
	;;#ASMEND
.LBB2682_48:
	s_or_b32 exec_lo, exec_lo, s6
	v_xad_u32 v23, v33, -1, s18
	s_mov_b32 s6, exec_lo
	s_delay_alu instid0(VALU_DEP_1) | instskip(NEXT) | instid1(VALU_DEP_1)
	v_add_nc_u32_e32 v11, 32, v23
	v_lshlrev_b64_e32 v[11:12], 4, v[11:12]
	s_delay_alu instid0(VALU_DEP_1) | instskip(SKIP_1) | instid1(VALU_DEP_2)
	v_add_co_u32 v11, vcc_lo, s12, v11
	s_wait_alu 0xfffd
	v_add_co_ci_u32_e64 v12, null, s13, v12, vcc_lo
	;;#ASMSTART
	global_load_b128 v[13:16], v[11:12] off scope:SCOPE_DEV	
s_wait_loadcnt 0x0
	;;#ASMEND
	v_and_b32_e32 v16, 0xff, v15
	s_delay_alu instid0(VALU_DEP_1)
	v_cmpx_eq_u16_e32 0, v16
	s_cbranch_execz .LBB2682_51
.LBB2682_49:                            ; =>This Inner Loop Header: Depth=1
	;;#ASMSTART
	global_load_b128 v[13:16], v[11:12] off scope:SCOPE_DEV	
s_wait_loadcnt 0x0
	;;#ASMEND
	v_and_b32_e32 v16, 0xff, v15
	s_delay_alu instid0(VALU_DEP_1) | instskip(SKIP_1) | instid1(SALU_CYCLE_1)
	v_cmp_ne_u16_e32 vcc_lo, 0, v16
	s_or_b32 s7, vcc_lo, s7
	s_and_not1_b32 exec_lo, exec_lo, s7
	s_cbranch_execnz .LBB2682_49
; %bb.50:
	s_or_b32 exec_lo, exec_lo, s7
.LBB2682_51:
	s_delay_alu instid0(SALU_CYCLE_1)
	s_or_b32 exec_lo, exec_lo, s6
	v_cmp_ne_u32_e32 vcc_lo, 31, v33
	v_and_b32_e32 v12, 0xff, v15
	v_lshlrev_b32_e64 v37, v33, -1
	s_mov_b32 s6, exec_lo
	s_wait_alu 0xfffd
	v_add_co_ci_u32_e64 v11, null, 0, v33, vcc_lo
	v_cmp_eq_u16_e32 vcc_lo, 2, v12
	v_mov_b32_e32 v12, v13
	s_delay_alu instid0(VALU_DEP_3)
	v_lshlrev_b32_e32 v36, 2, v11
	s_wait_alu 0xfffd
	v_and_or_b32 v11, vcc_lo, v37, 0x80000000
	ds_bpermute_b32 v24, v36, v13
	ds_bpermute_b32 v16, v36, v14
	v_ctz_i32_b32_e32 v11, v11
	s_delay_alu instid0(VALU_DEP_1)
	v_cmpx_lt_u32_e64 v33, v11
	s_cbranch_execz .LBB2682_53
; %bb.52:
	s_wait_dscnt 0x1
	v_add_co_u32 v12, vcc_lo, v13, v24
	s_wait_alu 0xfffd
	v_add_co_ci_u32_e64 v14, null, 0, v14, vcc_lo
	s_delay_alu instid0(VALU_DEP_2) | instskip(SKIP_2) | instid1(VALU_DEP_2)
	v_add_co_u32 v13, vcc_lo, 0, v12
	s_wait_dscnt 0x0
	s_wait_alu 0xfffd
	v_add_co_ci_u32_e64 v14, null, v16, v14, vcc_lo
.LBB2682_53:
	s_or_b32 exec_lo, exec_lo, s6
	v_cmp_gt_u32_e32 vcc_lo, 30, v33
	v_add_nc_u32_e32 v39, 2, v33
	s_mov_b32 s6, exec_lo
	s_wait_dscnt 0x0
	s_wait_alu 0xfffd
	v_cndmask_b32_e64 v16, 0, 2, vcc_lo
	s_delay_alu instid0(VALU_DEP_1)
	v_add_lshl_u32 v38, v16, v33, 2
	ds_bpermute_b32 v24, v38, v12
	ds_bpermute_b32 v16, v38, v14
	v_cmpx_le_u32_e64 v39, v11
	s_cbranch_execz .LBB2682_55
; %bb.54:
	s_wait_dscnt 0x1
	v_add_co_u32 v12, vcc_lo, v13, v24
	s_wait_alu 0xfffd
	v_add_co_ci_u32_e64 v14, null, 0, v14, vcc_lo
	s_delay_alu instid0(VALU_DEP_2) | instskip(SKIP_2) | instid1(VALU_DEP_2)
	v_add_co_u32 v13, vcc_lo, 0, v12
	s_wait_dscnt 0x0
	s_wait_alu 0xfffd
	v_add_co_ci_u32_e64 v14, null, v16, v14, vcc_lo
.LBB2682_55:
	s_or_b32 exec_lo, exec_lo, s6
	v_cmp_gt_u32_e32 vcc_lo, 28, v33
	v_add_nc_u32_e32 v41, 4, v33
	s_mov_b32 s6, exec_lo
	s_wait_dscnt 0x0
	s_wait_alu 0xfffd
	v_cndmask_b32_e64 v16, 0, 4, vcc_lo
	s_delay_alu instid0(VALU_DEP_1)
	v_add_lshl_u32 v40, v16, v33, 2
	ds_bpermute_b32 v24, v40, v12
	ds_bpermute_b32 v16, v40, v14
	v_cmpx_le_u32_e64 v41, v11
	;; [unrolled: 24-line block ×3, first 2 shown]
	s_cbranch_execz .LBB2682_59
; %bb.58:
	s_wait_dscnt 0x1
	v_add_co_u32 v12, vcc_lo, v13, v24
	s_wait_alu 0xfffd
	v_add_co_ci_u32_e64 v14, null, 0, v14, vcc_lo
	s_delay_alu instid0(VALU_DEP_2) | instskip(SKIP_2) | instid1(VALU_DEP_2)
	v_add_co_u32 v13, vcc_lo, 0, v12
	s_wait_dscnt 0x0
	s_wait_alu 0xfffd
	v_add_co_ci_u32_e64 v14, null, v16, v14, vcc_lo
.LBB2682_59:
	s_or_b32 exec_lo, exec_lo, s6
	v_lshl_or_b32 v44, v33, 2, 64
	v_add_nc_u32_e32 v45, 16, v33
	s_mov_b32 s6, exec_lo
	s_wait_dscnt 0x0
	ds_bpermute_b32 v16, v44, v12
	ds_bpermute_b32 v12, v44, v14
	v_cmpx_le_u32_e64 v45, v11
	s_cbranch_execz .LBB2682_61
; %bb.60:
	s_wait_dscnt 0x1
	v_add_co_u32 v11, vcc_lo, v13, v16
	s_wait_alu 0xfffd
	v_add_co_ci_u32_e64 v14, null, 0, v14, vcc_lo
	s_delay_alu instid0(VALU_DEP_2) | instskip(SKIP_2) | instid1(VALU_DEP_2)
	v_add_co_u32 v13, vcc_lo, v11, 0
	s_wait_dscnt 0x0
	s_wait_alu 0xfffd
	v_add_co_ci_u32_e64 v14, null, v14, v12, vcc_lo
.LBB2682_61:
	s_or_b32 exec_lo, exec_lo, s6
	v_mov_b32_e32 v24, 0
	s_branch .LBB2682_64
.LBB2682_62:                            ;   in Loop: Header=BB2682_64 Depth=1
	s_or_b32 exec_lo, exec_lo, s6
	v_add_co_u32 v13, vcc_lo, v13, v11
	v_subrev_nc_u32_e32 v23, 32, v23
	s_wait_alu 0xfffd
	v_add_co_ci_u32_e64 v14, null, v14, v12, vcc_lo
	s_mov_b32 s6, 0
.LBB2682_63:                            ;   in Loop: Header=BB2682_64 Depth=1
	s_delay_alu instid0(SALU_CYCLE_1)
	s_and_b32 vcc_lo, exec_lo, s6
	s_wait_alu 0xfffe
	s_cbranch_vccnz .LBB2682_80
.LBB2682_64:                            ; =>This Loop Header: Depth=1
                                        ;     Child Loop BB2682_67 Depth 2
	v_and_b32_e32 v11, 0xff, v15
	s_mov_b32 s6, -1
	s_delay_alu instid0(VALU_DEP_1)
	v_cmp_ne_u16_e32 vcc_lo, 2, v11
	s_wait_dscnt 0x0
	v_dual_mov_b32 v11, v13 :: v_dual_mov_b32 v12, v14
                                        ; implicit-def: $vgpr13_vgpr14
	s_cmp_lg_u32 vcc_lo, exec_lo
	s_cbranch_scc1 .LBB2682_63
; %bb.65:                               ;   in Loop: Header=BB2682_64 Depth=1
	v_lshlrev_b64_e32 v[13:14], 4, v[23:24]
	s_mov_b32 s6, exec_lo
	s_delay_alu instid0(VALU_DEP_1) | instskip(SKIP_1) | instid1(VALU_DEP_2)
	v_add_co_u32 v25, vcc_lo, s12, v13
	s_wait_alu 0xfffd
	v_add_co_ci_u32_e64 v26, null, s13, v14, vcc_lo
	;;#ASMSTART
	global_load_b128 v[13:16], v[25:26] off scope:SCOPE_DEV	
s_wait_loadcnt 0x0
	;;#ASMEND
	v_and_b32_e32 v16, 0xff, v15
	s_delay_alu instid0(VALU_DEP_1)
	v_cmpx_eq_u16_e32 0, v16
	s_cbranch_execz .LBB2682_69
; %bb.66:                               ;   in Loop: Header=BB2682_64 Depth=1
	s_mov_b32 s7, 0
.LBB2682_67:                            ;   Parent Loop BB2682_64 Depth=1
                                        ; =>  This Inner Loop Header: Depth=2
	;;#ASMSTART
	global_load_b128 v[13:16], v[25:26] off scope:SCOPE_DEV	
s_wait_loadcnt 0x0
	;;#ASMEND
	v_and_b32_e32 v16, 0xff, v15
	s_delay_alu instid0(VALU_DEP_1) | instskip(SKIP_1) | instid1(SALU_CYCLE_1)
	v_cmp_ne_u16_e32 vcc_lo, 0, v16
	s_or_b32 s7, vcc_lo, s7
	s_and_not1_b32 exec_lo, exec_lo, s7
	s_cbranch_execnz .LBB2682_67
; %bb.68:                               ;   in Loop: Header=BB2682_64 Depth=1
	s_or_b32 exec_lo, exec_lo, s7
.LBB2682_69:                            ;   in Loop: Header=BB2682_64 Depth=1
	s_delay_alu instid0(SALU_CYCLE_1)
	s_or_b32 exec_lo, exec_lo, s6
	v_dual_mov_b32 v25, v13 :: v_dual_and_b32 v16, 0xff, v15
	ds_bpermute_b32 v46, v36, v13
	ds_bpermute_b32 v26, v36, v14
	s_mov_b32 s6, exec_lo
	v_cmp_eq_u16_e32 vcc_lo, 2, v16
	s_wait_alu 0xfffd
	v_and_or_b32 v16, vcc_lo, v37, 0x80000000
	s_delay_alu instid0(VALU_DEP_1) | instskip(NEXT) | instid1(VALU_DEP_1)
	v_ctz_i32_b32_e32 v16, v16
	v_cmpx_lt_u32_e64 v33, v16
	s_cbranch_execz .LBB2682_71
; %bb.70:                               ;   in Loop: Header=BB2682_64 Depth=1
	s_wait_dscnt 0x1
	v_add_co_u32 v25, vcc_lo, v13, v46
	s_wait_alu 0xfffd
	v_add_co_ci_u32_e64 v14, null, 0, v14, vcc_lo
	s_delay_alu instid0(VALU_DEP_2) | instskip(SKIP_2) | instid1(VALU_DEP_2)
	v_add_co_u32 v13, vcc_lo, 0, v25
	s_wait_dscnt 0x0
	s_wait_alu 0xfffd
	v_add_co_ci_u32_e64 v14, null, v26, v14, vcc_lo
.LBB2682_71:                            ;   in Loop: Header=BB2682_64 Depth=1
	s_or_b32 exec_lo, exec_lo, s6
	s_wait_dscnt 0x1
	ds_bpermute_b32 v46, v38, v25
	s_wait_dscnt 0x1
	ds_bpermute_b32 v26, v38, v14
	s_mov_b32 s6, exec_lo
	v_cmpx_le_u32_e64 v39, v16
	s_cbranch_execz .LBB2682_73
; %bb.72:                               ;   in Loop: Header=BB2682_64 Depth=1
	s_wait_dscnt 0x1
	v_add_co_u32 v25, vcc_lo, v13, v46
	s_wait_alu 0xfffd
	v_add_co_ci_u32_e64 v14, null, 0, v14, vcc_lo
	s_delay_alu instid0(VALU_DEP_2) | instskip(SKIP_2) | instid1(VALU_DEP_2)
	v_add_co_u32 v13, vcc_lo, 0, v25
	s_wait_dscnt 0x0
	s_wait_alu 0xfffd
	v_add_co_ci_u32_e64 v14, null, v26, v14, vcc_lo
.LBB2682_73:                            ;   in Loop: Header=BB2682_64 Depth=1
	s_or_b32 exec_lo, exec_lo, s6
	s_wait_dscnt 0x1
	ds_bpermute_b32 v46, v40, v25
	s_wait_dscnt 0x1
	ds_bpermute_b32 v26, v40, v14
	s_mov_b32 s6, exec_lo
	v_cmpx_le_u32_e64 v41, v16
	;; [unrolled: 19-line block ×3, first 2 shown]
	s_cbranch_execz .LBB2682_77
; %bb.76:                               ;   in Loop: Header=BB2682_64 Depth=1
	s_wait_dscnt 0x1
	v_add_co_u32 v25, vcc_lo, v13, v46
	s_wait_alu 0xfffd
	v_add_co_ci_u32_e64 v14, null, 0, v14, vcc_lo
	s_delay_alu instid0(VALU_DEP_2) | instskip(SKIP_2) | instid1(VALU_DEP_2)
	v_add_co_u32 v13, vcc_lo, 0, v25
	s_wait_dscnt 0x0
	s_wait_alu 0xfffd
	v_add_co_ci_u32_e64 v14, null, v26, v14, vcc_lo
.LBB2682_77:                            ;   in Loop: Header=BB2682_64 Depth=1
	s_or_b32 exec_lo, exec_lo, s6
	s_wait_dscnt 0x0
	ds_bpermute_b32 v26, v44, v25
	ds_bpermute_b32 v25, v44, v14
	s_mov_b32 s6, exec_lo
	v_cmpx_le_u32_e64 v45, v16
	s_cbranch_execz .LBB2682_62
; %bb.78:                               ;   in Loop: Header=BB2682_64 Depth=1
	s_wait_dscnt 0x1
	v_add_co_u32 v13, vcc_lo, v13, v26
	s_wait_alu 0xfffd
	v_add_co_ci_u32_e64 v14, null, 0, v14, vcc_lo
	s_delay_alu instid0(VALU_DEP_2) | instskip(SKIP_2) | instid1(VALU_DEP_2)
	v_add_co_u32 v13, vcc_lo, v13, 0
	s_wait_dscnt 0x0
	s_wait_alu 0xfffd
	v_add_co_ci_u32_e64 v14, null, v14, v25, vcc_lo
	s_branch .LBB2682_62
.LBB2682_79:
                                        ; implicit-def: $vgpr13_vgpr14
                                        ; implicit-def: $vgpr21_vgpr22
                                        ; implicit-def: $vgpr11_vgpr12
                                        ; implicit-def: $vgpr14_vgpr15
                                        ; implicit-def: $vgpr15_vgpr16
	s_and_b32 vcc_lo, exec_lo, s1
	s_cbranch_vccnz .LBB2682_85
	s_branch .LBB2682_110
.LBB2682_80:
	s_and_saveexec_b32 s6, s1
	s_cbranch_execz .LBB2682_82
; %bb.81:
	s_add_co_i32 s8, s18, 32
	s_mov_b32 s9, 0
	v_add_co_u32 v13, vcc_lo, v11, v9
	s_wait_alu 0xfffe
	s_lshl_b64 s[8:9], s[8:9], 4
	v_dual_mov_b32 v15, 2 :: v_dual_mov_b32 v16, 0
	s_wait_alu 0xfffe
	s_add_nc_u64 s[8:9], s[12:13], s[8:9]
	s_wait_alu 0xfffd
	v_add_co_ci_u32_e64 v14, null, v12, v10, vcc_lo
	s_wait_alu 0xfffe
	v_dual_mov_b32 v24, s9 :: v_dual_mov_b32 v23, s8
	;;#ASMSTART
	global_store_b128 v[23:24], v[13:16] off scope:SCOPE_DEV	
s_wait_storecnt 0x0
	;;#ASMEND
	ds_store_b128 v16, v[9:12] offset:8448
.LBB2682_82:
	s_or_b32 exec_lo, exec_lo, s6
	s_delay_alu instid0(SALU_CYCLE_1)
	s_and_b32 exec_lo, exec_lo, s2
; %bb.83:
	v_mov_b32_e32 v9, 0
	ds_store_b64 v9, v[11:12] offset:56
.LBB2682_84:
	s_wait_alu 0xfffe
	s_or_b32 exec_lo, exec_lo, s3
	v_mov_b32_e32 v9, 0
	s_wait_loadcnt_dscnt 0x0
	s_barrier_signal -1
	s_barrier_wait -1
	global_inv scope:SCOPE_SE
	ds_load_b64 v[13:14], v9 offset:56
	v_cndmask_b32_e64 v11, v35, v21, s1
	v_cndmask_b32_e64 v10, 0, v22, s1
	s_wait_loadcnt_dscnt 0x0
	s_barrier_signal -1
	s_barrier_wait -1
	v_cndmask_b32_e64 v16, v11, 0, s2
	v_cndmask_b32_e64 v15, v10, 0, s2
	global_inv scope:SCOPE_SE
	ds_load_b128 v[9:12], v9 offset:8448
	v_add_co_u32 v21, vcc_lo, v13, v16
	s_wait_alu 0xfffd
	v_add_co_ci_u32_e64 v13, null, v14, v15, vcc_lo
	s_delay_alu instid0(VALU_DEP_2) | instskip(SKIP_1) | instid1(VALU_DEP_2)
	v_add_co_u32 v15, vcc_lo, v21, v32
	s_wait_alu 0xfffd
	v_add_co_ci_u32_e64 v13, null, 0, v13, vcc_lo
	s_delay_alu instid0(VALU_DEP_2) | instskip(SKIP_1) | instid1(VALU_DEP_2)
	;; [unrolled: 4-line block ×3, first 2 shown]
	v_add_co_u32 v13, vcc_lo, v14, v30
	s_wait_alu 0xfffd
	v_add_co_ci_u32_e64 v16, null, 0, v16, vcc_lo
	s_branch .LBB2682_110
.LBB2682_85:
	s_wait_dscnt 0x0
	v_dual_mov_b32 v10, 0 :: v_dual_mov_b32 v11, v19
	v_mov_b32_dpp v12, v19 row_shr:1 row_mask:0xf bank_mask:0xf
	s_delay_alu instid0(VALU_DEP_2)
	v_mov_b32_dpp v9, v10 row_shr:1 row_mask:0xf bank_mask:0xf
	s_and_saveexec_b32 s1, s0
; %bb.86:
	s_delay_alu instid0(VALU_DEP_2) | instskip(NEXT) | instid1(VALU_DEP_1)
	v_add_co_u32 v11, vcc_lo, v19, v12
	v_add_co_ci_u32_e64 v10, null, 0, v20, vcc_lo
	s_delay_alu instid0(VALU_DEP_2) | instskip(SKIP_1) | instid1(VALU_DEP_2)
	v_add_co_u32 v19, vcc_lo, 0, v11
	s_wait_alu 0xfffd
	v_add_co_ci_u32_e64 v20, null, v9, v10, vcc_lo
	s_delay_alu instid0(VALU_DEP_1)
	v_mov_b32_e32 v10, v20
; %bb.87:
	s_wait_alu 0xfffe
	s_or_b32 exec_lo, exec_lo, s1
	v_mov_b32_dpp v9, v11 row_shr:2 row_mask:0xf bank_mask:0xf
	s_delay_alu instid0(VALU_DEP_2)
	v_mov_b32_dpp v12, v10 row_shr:2 row_mask:0xf bank_mask:0xf
	s_mov_b32 s0, exec_lo
	v_cmpx_lt_u32_e32 1, v34
; %bb.88:
	s_delay_alu instid0(VALU_DEP_3) | instskip(SKIP_2) | instid1(VALU_DEP_2)
	v_add_co_u32 v11, vcc_lo, v19, v9
	s_wait_alu 0xfffd
	v_add_co_ci_u32_e64 v10, null, 0, v20, vcc_lo
	v_add_co_u32 v9, vcc_lo, 0, v11
	s_wait_alu 0xfffd
	s_delay_alu instid0(VALU_DEP_2) | instskip(NEXT) | instid1(VALU_DEP_1)
	v_add_co_ci_u32_e64 v10, null, v12, v10, vcc_lo
	v_dual_mov_b32 v20, v10 :: v_dual_mov_b32 v19, v9
; %bb.89:
	s_wait_alu 0xfffe
	s_or_b32 exec_lo, exec_lo, s0
	v_mov_b32_dpp v9, v11 row_shr:4 row_mask:0xf bank_mask:0xf
	v_mov_b32_dpp v12, v10 row_shr:4 row_mask:0xf bank_mask:0xf
	s_mov_b32 s0, exec_lo
	v_cmpx_lt_u32_e32 3, v34
; %bb.90:
	s_delay_alu instid0(VALU_DEP_3) | instskip(SKIP_2) | instid1(VALU_DEP_2)
	v_add_co_u32 v11, vcc_lo, v19, v9
	s_wait_alu 0xfffd
	v_add_co_ci_u32_e64 v10, null, 0, v20, vcc_lo
	v_add_co_u32 v9, vcc_lo, 0, v11
	s_wait_alu 0xfffd
	s_delay_alu instid0(VALU_DEP_2) | instskip(NEXT) | instid1(VALU_DEP_1)
	v_add_co_ci_u32_e64 v10, null, v12, v10, vcc_lo
	v_dual_mov_b32 v20, v10 :: v_dual_mov_b32 v19, v9
; %bb.91:
	s_wait_alu 0xfffe
	s_or_b32 exec_lo, exec_lo, s0
	v_mov_b32_dpp v12, v11 row_shr:8 row_mask:0xf bank_mask:0xf
	v_mov_b32_dpp v9, v10 row_shr:8 row_mask:0xf bank_mask:0xf
	s_mov_b32 s0, exec_lo
	v_cmpx_lt_u32_e32 7, v34
; %bb.92:
	s_delay_alu instid0(VALU_DEP_3) | instskip(SKIP_2) | instid1(VALU_DEP_2)
	v_add_co_u32 v11, vcc_lo, v19, v12
	s_wait_alu 0xfffd
	v_add_co_ci_u32_e64 v10, null, 0, v20, vcc_lo
	v_add_co_u32 v19, vcc_lo, 0, v11
	s_wait_alu 0xfffd
	s_delay_alu instid0(VALU_DEP_2) | instskip(NEXT) | instid1(VALU_DEP_1)
	v_add_co_ci_u32_e64 v20, null, v9, v10, vcc_lo
	v_mov_b32_e32 v10, v20
; %bb.93:
	s_wait_alu 0xfffe
	s_or_b32 exec_lo, exec_lo, s0
	ds_swizzle_b32 v11, v11 offset:swizzle(BROADCAST,32,15)
	ds_swizzle_b32 v9, v10 offset:swizzle(BROADCAST,32,15)
	v_and_b32_e32 v10, 16, v33
	s_mov_b32 s0, exec_lo
	s_delay_alu instid0(VALU_DEP_1)
	v_cmpx_ne_u32_e32 0, v10
	s_cbranch_execz .LBB2682_95
; %bb.94:
	s_wait_dscnt 0x1
	v_add_co_u32 v10, vcc_lo, v19, v11
	s_wait_alu 0xfffd
	v_add_co_ci_u32_e64 v11, null, 0, v20, vcc_lo
	s_delay_alu instid0(VALU_DEP_2) | instskip(SKIP_2) | instid1(VALU_DEP_2)
	v_add_co_u32 v19, vcc_lo, v10, 0
	s_wait_dscnt 0x0
	s_wait_alu 0xfffd
	v_add_co_ci_u32_e64 v20, null, v11, v9, vcc_lo
.LBB2682_95:
	s_wait_alu 0xfffe
	s_or_b32 exec_lo, exec_lo, s0
	s_wait_dscnt 0x0
	v_or_b32_e32 v9, 31, v0
	s_mov_b32 s0, exec_lo
	s_delay_alu instid0(VALU_DEP_1)
	v_cmpx_eq_u32_e64 v0, v9
; %bb.96:
	v_lshlrev_b32_e32 v9, 3, v27
	ds_store_b64 v9, v[19:20]
; %bb.97:
	s_wait_alu 0xfffe
	s_or_b32 exec_lo, exec_lo, s0
	s_delay_alu instid0(SALU_CYCLE_1)
	s_mov_b32 s0, exec_lo
	s_wait_loadcnt_dscnt 0x0
	s_barrier_signal -1
	s_barrier_wait -1
	global_inv scope:SCOPE_SE
	v_cmpx_gt_u32_e32 8, v0
	s_cbranch_execz .LBB2682_105
; %bb.98:
	v_lshlrev_b32_e32 v11, 3, v0
	s_mov_b32 s1, exec_lo
	ds_load_b64 v[9:10], v11
	s_wait_dscnt 0x0
	v_dual_mov_b32 v13, v9 :: v_dual_and_b32 v12, 7, v33
	v_mov_b32_dpp v15, v9 row_shr:1 row_mask:0xf bank_mask:0xf
	v_mov_b32_dpp v14, v10 row_shr:1 row_mask:0xf bank_mask:0xf
	s_delay_alu instid0(VALU_DEP_3)
	v_cmpx_ne_u32_e32 0, v12
; %bb.99:
	s_delay_alu instid0(VALU_DEP_3) | instskip(SKIP_2) | instid1(VALU_DEP_2)
	v_add_co_u32 v13, vcc_lo, v9, v15
	s_wait_alu 0xfffd
	v_add_co_ci_u32_e64 v10, null, 0, v10, vcc_lo
	v_add_co_u32 v9, vcc_lo, 0, v13
	s_wait_alu 0xfffd
	s_delay_alu instid0(VALU_DEP_2)
	v_add_co_ci_u32_e64 v10, null, v14, v10, vcc_lo
; %bb.100:
	s_wait_alu 0xfffe
	s_or_b32 exec_lo, exec_lo, s1
	v_mov_b32_dpp v15, v13 row_shr:2 row_mask:0xf bank_mask:0xf
	s_delay_alu instid0(VALU_DEP_2)
	v_mov_b32_dpp v14, v10 row_shr:2 row_mask:0xf bank_mask:0xf
	s_mov_b32 s1, exec_lo
	v_cmpx_lt_u32_e32 1, v12
; %bb.101:
	s_delay_alu instid0(VALU_DEP_3) | instskip(SKIP_2) | instid1(VALU_DEP_2)
	v_add_co_u32 v13, vcc_lo, v9, v15
	s_wait_alu 0xfffd
	v_add_co_ci_u32_e64 v10, null, 0, v10, vcc_lo
	v_add_co_u32 v9, vcc_lo, 0, v13
	s_wait_alu 0xfffd
	s_delay_alu instid0(VALU_DEP_2)
	v_add_co_ci_u32_e64 v10, null, v14, v10, vcc_lo
; %bb.102:
	s_wait_alu 0xfffe
	s_or_b32 exec_lo, exec_lo, s1
	v_mov_b32_dpp v14, v13 row_shr:4 row_mask:0xf bank_mask:0xf
	s_delay_alu instid0(VALU_DEP_2)
	v_mov_b32_dpp v13, v10 row_shr:4 row_mask:0xf bank_mask:0xf
	s_mov_b32 s1, exec_lo
	v_cmpx_lt_u32_e32 3, v12
; %bb.103:
	s_delay_alu instid0(VALU_DEP_3) | instskip(SKIP_2) | instid1(VALU_DEP_2)
	v_add_co_u32 v9, vcc_lo, v9, v14
	s_wait_alu 0xfffd
	v_add_co_ci_u32_e64 v10, null, 0, v10, vcc_lo
	v_add_co_u32 v9, vcc_lo, v9, 0
	s_wait_alu 0xfffd
	s_delay_alu instid0(VALU_DEP_2)
	v_add_co_ci_u32_e64 v10, null, v10, v13, vcc_lo
; %bb.104:
	s_wait_alu 0xfffe
	s_or_b32 exec_lo, exec_lo, s1
	ds_store_b64 v11, v[9:10]
.LBB2682_105:
	s_wait_alu 0xfffe
	s_or_b32 exec_lo, exec_lo, s0
	v_mov_b32_e32 v13, 0
	v_mov_b32_e32 v14, 0
	s_mov_b32 s0, exec_lo
	s_wait_loadcnt_dscnt 0x0
	s_barrier_signal -1
	s_barrier_wait -1
	global_inv scope:SCOPE_SE
	v_cmpx_lt_u32_e32 31, v0
; %bb.106:
	v_lshl_add_u32 v0, v27, 3, -8
	ds_load_b64 v[13:14], v0
; %bb.107:
	s_wait_alu 0xfffe
	s_or_b32 exec_lo, exec_lo, s0
	v_sub_co_u32 v0, vcc_lo, v33, 1
	s_wait_dscnt 0x0
	v_dual_mov_b32 v12, 0 :: v_dual_add_nc_u32 v9, v13, v19
	s_delay_alu instid0(VALU_DEP_2) | instskip(SKIP_1) | instid1(VALU_DEP_1)
	v_cmp_gt_i32_e64 s0, 0, v0
	s_wait_alu 0xf1ff
	v_cndmask_b32_e64 v0, v0, v33, s0
	s_delay_alu instid0(VALU_DEP_1)
	v_lshlrev_b32_e32 v0, 2, v0
	ds_bpermute_b32 v0, v0, v9
	ds_load_b64 v[9:10], v12 offset:56
	s_and_saveexec_b32 s0, s2
	s_cbranch_execz .LBB2682_109
; %bb.108:
	s_add_nc_u64 s[6:7], s[12:13], 0x200
	s_delay_alu instid0(SALU_CYCLE_1)
	v_dual_mov_b32 v11, 2 :: v_dual_mov_b32 v16, s7
	v_mov_b32_e32 v15, s6
	s_wait_dscnt 0x0
	;;#ASMSTART
	global_store_b128 v[15:16], v[9:12] off scope:SCOPE_DEV	
s_wait_storecnt 0x0
	;;#ASMEND
.LBB2682_109:
	s_wait_alu 0xfffe
	s_or_b32 exec_lo, exec_lo, s0
	s_wait_dscnt 0x1
	s_wait_alu 0xfffd
	v_dual_cndmask_b32 v0, v0, v13 :: v_dual_cndmask_b32 v11, 0, v14
	s_wait_loadcnt_dscnt 0x0
	s_barrier_signal -1
	s_barrier_wait -1
	s_delay_alu instid0(VALU_DEP_1)
	v_cndmask_b32_e64 v21, v0, 0, s2
	v_cndmask_b32_e64 v0, v11, 0, s2
	v_mov_b32_e32 v11, 0
	v_mov_b32_e32 v12, 0
	global_inv scope:SCOPE_SE
	v_add_co_u32 v15, vcc_lo, v21, v32
	s_wait_alu 0xfffd
	v_add_co_ci_u32_e64 v0, null, 0, v0, vcc_lo
	s_delay_alu instid0(VALU_DEP_2) | instskip(SKIP_1) | instid1(VALU_DEP_2)
	v_add_co_u32 v14, vcc_lo, v15, v31
	s_wait_alu 0xfffd
	v_add_co_ci_u32_e64 v0, null, 0, v0, vcc_lo
	s_delay_alu instid0(VALU_DEP_2) | instskip(SKIP_1) | instid1(VALU_DEP_2)
	v_add_co_u32 v13, vcc_lo, v14, v30
	s_wait_alu 0xfffd
	v_add_co_ci_u32_e64 v0, null, 0, v0, vcc_lo
.LBB2682_110:
	s_wait_dscnt 0x0
	v_cmp_gt_u64_e32 vcc_lo, 0x101, v[9:10]
	v_lshrrev_b32_e32 v0, 16, v29
	v_lshrrev_b32_e32 v16, 8, v29
	s_cbranch_vccz .LBB2682_113
; %bb.111:
	s_and_b32 s0, s2, s16
	s_wait_alu 0xfffe
	s_and_saveexec_b32 s1, s0
	s_cbranch_execnz .LBB2682_122
.LBB2682_112:
	s_endpgm
.LBB2682_113:
	v_and_b32_e32 v19, 1, v29
	s_mov_b32 s0, exec_lo
	s_delay_alu instid0(VALU_DEP_1)
	v_cmpx_eq_u32_e32 1, v19
; %bb.114:
	v_sub_nc_u32_e32 v19, v21, v11
	s_delay_alu instid0(VALU_DEP_1)
	v_lshlrev_b32_e32 v19, 3, v19
	ds_store_b64 v19, v[5:6]
; %bb.115:
	s_wait_alu 0xfffe
	s_or_b32 exec_lo, exec_lo, s0
	v_and_b32_e32 v5, 1, v16
	s_mov_b32 s0, exec_lo
	s_delay_alu instid0(VALU_DEP_1)
	v_cmpx_eq_u32_e32 1, v5
; %bb.116:
	v_sub_nc_u32_e32 v5, v15, v11
	s_delay_alu instid0(VALU_DEP_1)
	v_lshlrev_b32_e32 v5, 3, v5
	ds_store_b64 v5, v[7:8]
; %bb.117:
	s_wait_alu 0xfffe
	s_or_b32 exec_lo, exec_lo, s0
	v_and_b32_e32 v0, 1, v0
	s_mov_b32 s0, exec_lo
	s_delay_alu instid0(VALU_DEP_1)
	v_cmpx_eq_u32_e32 1, v0
; %bb.118:
	v_sub_nc_u32_e32 v0, v14, v11
	s_delay_alu instid0(VALU_DEP_1)
	v_lshlrev_b32_e32 v0, 3, v0
	ds_store_b64 v0, v[1:2]
; %bb.119:
	s_wait_alu 0xfffe
	s_or_b32 exec_lo, exec_lo, s0
	v_and_b32_e32 v0, 1, v28
	s_mov_b32 s0, exec_lo
	s_delay_alu instid0(VALU_DEP_1)
	v_cmpx_eq_u32_e32 1, v0
; %bb.120:
	v_sub_nc_u32_e32 v0, v13, v11
	s_delay_alu instid0(VALU_DEP_1)
	v_lshlrev_b32_e32 v0, 3, v0
	ds_store_b64 v0, v[3:4]
; %bb.121:
	s_wait_alu 0xfffe
	s_or_b32 exec_lo, exec_lo, s0
	s_wait_loadcnt_dscnt 0x0
	s_barrier_signal -1
	s_barrier_wait -1
	global_inv scope:SCOPE_SE
	s_and_b32 s0, s2, s16
	s_wait_alu 0xfffe
	s_and_saveexec_b32 s1, s0
	s_cbranch_execz .LBB2682_112
.LBB2682_122:
	v_add_co_u32 v0, vcc_lo, v9, v17
	s_wait_alu 0xfffd
	v_add_co_ci_u32_e64 v1, null, v10, v18, vcc_lo
	v_mov_b32_e32 v2, 0
	s_delay_alu instid0(VALU_DEP_3) | instskip(SKIP_1) | instid1(VALU_DEP_3)
	v_add_co_u32 v0, vcc_lo, v0, v11
	s_wait_alu 0xfffd
	v_add_co_ci_u32_e64 v1, null, v1, v12, vcc_lo
	global_store_b64 v2, v[0:1], s[4:5]
	s_endpgm
.LBB2682_123:
	v_dual_mov_b32 v21, v1 :: v_dual_lshlrev_b32 v2, 3, v0
	v_dual_mov_b32 v22, v1 :: v_dual_mov_b32 v23, v1
	v_dual_mov_b32 v24, v1 :: v_dual_mov_b32 v25, v1
	s_delay_alu instid0(VALU_DEP_3)
	v_add_co_u32 v2, s0, s8, v2
	s_wait_alu 0xf1ff
	v_add_co_ci_u32_e64 v3, null, s9, 0, s0
	v_mov_b32_e32 v26, v1
	flat_load_b64 v[19:20], v[2:3]
	s_wait_loadcnt_dscnt 0x0
	v_dual_mov_b32 v1, v19 :: v_dual_mov_b32 v2, v20
	v_dual_mov_b32 v3, v21 :: v_dual_mov_b32 v4, v22
	;; [unrolled: 1-line block ×4, first 2 shown]
	s_wait_alu 0xfffe
	s_or_b32 exec_lo, exec_lo, s1
	s_delay_alu instid0(SALU_CYCLE_1)
	s_mov_b32 s0, exec_lo
	v_cmpx_gt_u32_e64 s3, v11
	s_cbranch_execz .LBB2682_9
.LBB2682_124:
	v_lshlrev_b32_e32 v3, 3, v0
	s_delay_alu instid0(VALU_DEP_1)
	v_add_co_u32 v3, s1, s8, v3
	s_wait_alu 0xf1ff
	v_add_co_ci_u32_e64 v4, null, s9, 0, s1
	flat_load_b64 v[3:4], v[3:4] offset:2048
	s_wait_alu 0xfffe
	s_or_b32 exec_lo, exec_lo, s0
	s_delay_alu instid0(SALU_CYCLE_1)
	s_mov_b32 s0, exec_lo
	v_cmpx_gt_u32_e64 s3, v10
	s_cbranch_execz .LBB2682_10
.LBB2682_125:
	v_lshlrev_b32_e32 v5, 3, v0
	s_delay_alu instid0(VALU_DEP_1)
	v_add_co_u32 v5, s1, s8, v5
	s_wait_alu 0xf1ff
	v_add_co_ci_u32_e64 v6, null, s9, 0, s1
	flat_load_b64 v[5:6], v[5:6] offset:4096
	s_wait_alu 0xfffe
	s_or_b32 exec_lo, exec_lo, s0
	s_delay_alu instid0(SALU_CYCLE_1)
	s_mov_b32 s0, exec_lo
	v_cmpx_gt_u32_e64 s3, v9
	s_cbranch_execnz .LBB2682_11
	s_branch .LBB2682_12
.LBB2682_126:
	global_load_u8 v14, v0, s[0:1]
	s_wait_loadcnt 0x0
	v_xor_b32_e32 v14, 1, v14
	s_delay_alu instid0(VALU_DEP_1) | instskip(NEXT) | instid1(VALU_DEP_1)
	v_and_b32_e32 v15, 1, v14
	v_and_b32_e32 v15, 0xffff, v15
	s_or_b32 exec_lo, exec_lo, s6
	s_delay_alu instid0(SALU_CYCLE_1)
	s_mov_b32 s6, exec_lo
	v_cmpx_gt_u32_e64 s3, v11
	s_cbranch_execz .LBB2682_18
.LBB2682_127:
	global_load_u8 v16, v0, s[0:1] offset:256
	s_wait_loadcnt 0x0
	v_xor_b32_e32 v16, 1, v16
	s_delay_alu instid0(VALU_DEP_1) | instskip(NEXT) | instid1(VALU_DEP_1)
	v_lshlrev_b16 v16, 8, v16
	v_or_b32_e32 v15, v15, v16
	s_delay_alu instid0(VALU_DEP_1) | instskip(SKIP_1) | instid1(SALU_CYCLE_1)
	v_and_b32_e32 v15, 0xffff, v15
	s_or_b32 exec_lo, exec_lo, s6
	s_mov_b32 s6, exec_lo
	v_cmpx_gt_u32_e64 s3, v10
	s_cbranch_execz .LBB2682_19
.LBB2682_128:
	global_load_u8 v16, v0, s[0:1] offset:512
	s_wait_loadcnt 0x0
	v_xor_b32_e32 v16, 1, v16
	s_delay_alu instid0(VALU_DEP_1) | instskip(NEXT) | instid1(VALU_DEP_1)
	v_lshlrev_b32_e32 v16, 16, v16
	v_or_b32_e32 v15, v15, v16
	s_or_b32 exec_lo, exec_lo, s6
	v_cmp_gt_u32_e32 vcc_lo, s3, v9
	s_and_saveexec_b32 s3, vcc_lo
	s_cbranch_execnz .LBB2682_20
	s_branch .LBB2682_21
	.section	.rodata,"a",@progbits
	.p2align	6, 0x0
	.amdhsa_kernel _ZN7rocprim17ROCPRIM_400000_NS6detail17trampoline_kernelINS0_14default_configENS1_25partition_config_selectorILNS1_17partition_subalgoE5EyNS0_10empty_typeEbEEZZNS1_14partition_implILS5_5ELb0ES3_mN6thrust23THRUST_200600_302600_NS6detail15normal_iteratorINSA_10device_ptrIyEEEEPS6_NSA_18transform_iteratorINSB_9not_fun_tI7is_trueIyEEENSC_INSD_IbEEEENSA_11use_defaultESO_EENS0_5tupleIJNSA_16discard_iteratorISO_EES6_EEENSQ_IJSG_SG_EEES6_PlJS6_EEE10hipError_tPvRmT3_T4_T5_T6_T7_T9_mT8_P12ihipStream_tbDpT10_ENKUlT_T0_E_clISt17integral_constantIbLb0EES1E_IbLb1EEEEDaS1A_S1B_EUlS1A_E_NS1_11comp_targetILNS1_3genE10ELNS1_11target_archE1200ELNS1_3gpuE4ELNS1_3repE0EEENS1_30default_config_static_selectorELNS0_4arch9wavefront6targetE0EEEvT1_
		.amdhsa_group_segment_fixed_size 8464
		.amdhsa_private_segment_fixed_size 0
		.amdhsa_kernarg_size 144
		.amdhsa_user_sgpr_count 2
		.amdhsa_user_sgpr_dispatch_ptr 0
		.amdhsa_user_sgpr_queue_ptr 0
		.amdhsa_user_sgpr_kernarg_segment_ptr 1
		.amdhsa_user_sgpr_dispatch_id 0
		.amdhsa_user_sgpr_private_segment_size 0
		.amdhsa_wavefront_size32 1
		.amdhsa_uses_dynamic_stack 0
		.amdhsa_enable_private_segment 0
		.amdhsa_system_sgpr_workgroup_id_x 1
		.amdhsa_system_sgpr_workgroup_id_y 0
		.amdhsa_system_sgpr_workgroup_id_z 0
		.amdhsa_system_sgpr_workgroup_info 0
		.amdhsa_system_vgpr_workitem_id 0
		.amdhsa_next_free_vgpr 47
		.amdhsa_next_free_sgpr 22
		.amdhsa_reserve_vcc 1
		.amdhsa_float_round_mode_32 0
		.amdhsa_float_round_mode_16_64 0
		.amdhsa_float_denorm_mode_32 3
		.amdhsa_float_denorm_mode_16_64 3
		.amdhsa_fp16_overflow 0
		.amdhsa_workgroup_processor_mode 1
		.amdhsa_memory_ordered 1
		.amdhsa_forward_progress 1
		.amdhsa_inst_pref_size 50
		.amdhsa_round_robin_scheduling 0
		.amdhsa_exception_fp_ieee_invalid_op 0
		.amdhsa_exception_fp_denorm_src 0
		.amdhsa_exception_fp_ieee_div_zero 0
		.amdhsa_exception_fp_ieee_overflow 0
		.amdhsa_exception_fp_ieee_underflow 0
		.amdhsa_exception_fp_ieee_inexact 0
		.amdhsa_exception_int_div_zero 0
	.end_amdhsa_kernel
	.section	.text._ZN7rocprim17ROCPRIM_400000_NS6detail17trampoline_kernelINS0_14default_configENS1_25partition_config_selectorILNS1_17partition_subalgoE5EyNS0_10empty_typeEbEEZZNS1_14partition_implILS5_5ELb0ES3_mN6thrust23THRUST_200600_302600_NS6detail15normal_iteratorINSA_10device_ptrIyEEEEPS6_NSA_18transform_iteratorINSB_9not_fun_tI7is_trueIyEEENSC_INSD_IbEEEENSA_11use_defaultESO_EENS0_5tupleIJNSA_16discard_iteratorISO_EES6_EEENSQ_IJSG_SG_EEES6_PlJS6_EEE10hipError_tPvRmT3_T4_T5_T6_T7_T9_mT8_P12ihipStream_tbDpT10_ENKUlT_T0_E_clISt17integral_constantIbLb0EES1E_IbLb1EEEEDaS1A_S1B_EUlS1A_E_NS1_11comp_targetILNS1_3genE10ELNS1_11target_archE1200ELNS1_3gpuE4ELNS1_3repE0EEENS1_30default_config_static_selectorELNS0_4arch9wavefront6targetE0EEEvT1_,"axG",@progbits,_ZN7rocprim17ROCPRIM_400000_NS6detail17trampoline_kernelINS0_14default_configENS1_25partition_config_selectorILNS1_17partition_subalgoE5EyNS0_10empty_typeEbEEZZNS1_14partition_implILS5_5ELb0ES3_mN6thrust23THRUST_200600_302600_NS6detail15normal_iteratorINSA_10device_ptrIyEEEEPS6_NSA_18transform_iteratorINSB_9not_fun_tI7is_trueIyEEENSC_INSD_IbEEEENSA_11use_defaultESO_EENS0_5tupleIJNSA_16discard_iteratorISO_EES6_EEENSQ_IJSG_SG_EEES6_PlJS6_EEE10hipError_tPvRmT3_T4_T5_T6_T7_T9_mT8_P12ihipStream_tbDpT10_ENKUlT_T0_E_clISt17integral_constantIbLb0EES1E_IbLb1EEEEDaS1A_S1B_EUlS1A_E_NS1_11comp_targetILNS1_3genE10ELNS1_11target_archE1200ELNS1_3gpuE4ELNS1_3repE0EEENS1_30default_config_static_selectorELNS0_4arch9wavefront6targetE0EEEvT1_,comdat
.Lfunc_end2682:
	.size	_ZN7rocprim17ROCPRIM_400000_NS6detail17trampoline_kernelINS0_14default_configENS1_25partition_config_selectorILNS1_17partition_subalgoE5EyNS0_10empty_typeEbEEZZNS1_14partition_implILS5_5ELb0ES3_mN6thrust23THRUST_200600_302600_NS6detail15normal_iteratorINSA_10device_ptrIyEEEEPS6_NSA_18transform_iteratorINSB_9not_fun_tI7is_trueIyEEENSC_INSD_IbEEEENSA_11use_defaultESO_EENS0_5tupleIJNSA_16discard_iteratorISO_EES6_EEENSQ_IJSG_SG_EEES6_PlJS6_EEE10hipError_tPvRmT3_T4_T5_T6_T7_T9_mT8_P12ihipStream_tbDpT10_ENKUlT_T0_E_clISt17integral_constantIbLb0EES1E_IbLb1EEEEDaS1A_S1B_EUlS1A_E_NS1_11comp_targetILNS1_3genE10ELNS1_11target_archE1200ELNS1_3gpuE4ELNS1_3repE0EEENS1_30default_config_static_selectorELNS0_4arch9wavefront6targetE0EEEvT1_, .Lfunc_end2682-_ZN7rocprim17ROCPRIM_400000_NS6detail17trampoline_kernelINS0_14default_configENS1_25partition_config_selectorILNS1_17partition_subalgoE5EyNS0_10empty_typeEbEEZZNS1_14partition_implILS5_5ELb0ES3_mN6thrust23THRUST_200600_302600_NS6detail15normal_iteratorINSA_10device_ptrIyEEEEPS6_NSA_18transform_iteratorINSB_9not_fun_tI7is_trueIyEEENSC_INSD_IbEEEENSA_11use_defaultESO_EENS0_5tupleIJNSA_16discard_iteratorISO_EES6_EEENSQ_IJSG_SG_EEES6_PlJS6_EEE10hipError_tPvRmT3_T4_T5_T6_T7_T9_mT8_P12ihipStream_tbDpT10_ENKUlT_T0_E_clISt17integral_constantIbLb0EES1E_IbLb1EEEEDaS1A_S1B_EUlS1A_E_NS1_11comp_targetILNS1_3genE10ELNS1_11target_archE1200ELNS1_3gpuE4ELNS1_3repE0EEENS1_30default_config_static_selectorELNS0_4arch9wavefront6targetE0EEEvT1_
                                        ; -- End function
	.set _ZN7rocprim17ROCPRIM_400000_NS6detail17trampoline_kernelINS0_14default_configENS1_25partition_config_selectorILNS1_17partition_subalgoE5EyNS0_10empty_typeEbEEZZNS1_14partition_implILS5_5ELb0ES3_mN6thrust23THRUST_200600_302600_NS6detail15normal_iteratorINSA_10device_ptrIyEEEEPS6_NSA_18transform_iteratorINSB_9not_fun_tI7is_trueIyEEENSC_INSD_IbEEEENSA_11use_defaultESO_EENS0_5tupleIJNSA_16discard_iteratorISO_EES6_EEENSQ_IJSG_SG_EEES6_PlJS6_EEE10hipError_tPvRmT3_T4_T5_T6_T7_T9_mT8_P12ihipStream_tbDpT10_ENKUlT_T0_E_clISt17integral_constantIbLb0EES1E_IbLb1EEEEDaS1A_S1B_EUlS1A_E_NS1_11comp_targetILNS1_3genE10ELNS1_11target_archE1200ELNS1_3gpuE4ELNS1_3repE0EEENS1_30default_config_static_selectorELNS0_4arch9wavefront6targetE0EEEvT1_.num_vgpr, 47
	.set _ZN7rocprim17ROCPRIM_400000_NS6detail17trampoline_kernelINS0_14default_configENS1_25partition_config_selectorILNS1_17partition_subalgoE5EyNS0_10empty_typeEbEEZZNS1_14partition_implILS5_5ELb0ES3_mN6thrust23THRUST_200600_302600_NS6detail15normal_iteratorINSA_10device_ptrIyEEEEPS6_NSA_18transform_iteratorINSB_9not_fun_tI7is_trueIyEEENSC_INSD_IbEEEENSA_11use_defaultESO_EENS0_5tupleIJNSA_16discard_iteratorISO_EES6_EEENSQ_IJSG_SG_EEES6_PlJS6_EEE10hipError_tPvRmT3_T4_T5_T6_T7_T9_mT8_P12ihipStream_tbDpT10_ENKUlT_T0_E_clISt17integral_constantIbLb0EES1E_IbLb1EEEEDaS1A_S1B_EUlS1A_E_NS1_11comp_targetILNS1_3genE10ELNS1_11target_archE1200ELNS1_3gpuE4ELNS1_3repE0EEENS1_30default_config_static_selectorELNS0_4arch9wavefront6targetE0EEEvT1_.num_agpr, 0
	.set _ZN7rocprim17ROCPRIM_400000_NS6detail17trampoline_kernelINS0_14default_configENS1_25partition_config_selectorILNS1_17partition_subalgoE5EyNS0_10empty_typeEbEEZZNS1_14partition_implILS5_5ELb0ES3_mN6thrust23THRUST_200600_302600_NS6detail15normal_iteratorINSA_10device_ptrIyEEEEPS6_NSA_18transform_iteratorINSB_9not_fun_tI7is_trueIyEEENSC_INSD_IbEEEENSA_11use_defaultESO_EENS0_5tupleIJNSA_16discard_iteratorISO_EES6_EEENSQ_IJSG_SG_EEES6_PlJS6_EEE10hipError_tPvRmT3_T4_T5_T6_T7_T9_mT8_P12ihipStream_tbDpT10_ENKUlT_T0_E_clISt17integral_constantIbLb0EES1E_IbLb1EEEEDaS1A_S1B_EUlS1A_E_NS1_11comp_targetILNS1_3genE10ELNS1_11target_archE1200ELNS1_3gpuE4ELNS1_3repE0EEENS1_30default_config_static_selectorELNS0_4arch9wavefront6targetE0EEEvT1_.numbered_sgpr, 22
	.set _ZN7rocprim17ROCPRIM_400000_NS6detail17trampoline_kernelINS0_14default_configENS1_25partition_config_selectorILNS1_17partition_subalgoE5EyNS0_10empty_typeEbEEZZNS1_14partition_implILS5_5ELb0ES3_mN6thrust23THRUST_200600_302600_NS6detail15normal_iteratorINSA_10device_ptrIyEEEEPS6_NSA_18transform_iteratorINSB_9not_fun_tI7is_trueIyEEENSC_INSD_IbEEEENSA_11use_defaultESO_EENS0_5tupleIJNSA_16discard_iteratorISO_EES6_EEENSQ_IJSG_SG_EEES6_PlJS6_EEE10hipError_tPvRmT3_T4_T5_T6_T7_T9_mT8_P12ihipStream_tbDpT10_ENKUlT_T0_E_clISt17integral_constantIbLb0EES1E_IbLb1EEEEDaS1A_S1B_EUlS1A_E_NS1_11comp_targetILNS1_3genE10ELNS1_11target_archE1200ELNS1_3gpuE4ELNS1_3repE0EEENS1_30default_config_static_selectorELNS0_4arch9wavefront6targetE0EEEvT1_.num_named_barrier, 0
	.set _ZN7rocprim17ROCPRIM_400000_NS6detail17trampoline_kernelINS0_14default_configENS1_25partition_config_selectorILNS1_17partition_subalgoE5EyNS0_10empty_typeEbEEZZNS1_14partition_implILS5_5ELb0ES3_mN6thrust23THRUST_200600_302600_NS6detail15normal_iteratorINSA_10device_ptrIyEEEEPS6_NSA_18transform_iteratorINSB_9not_fun_tI7is_trueIyEEENSC_INSD_IbEEEENSA_11use_defaultESO_EENS0_5tupleIJNSA_16discard_iteratorISO_EES6_EEENSQ_IJSG_SG_EEES6_PlJS6_EEE10hipError_tPvRmT3_T4_T5_T6_T7_T9_mT8_P12ihipStream_tbDpT10_ENKUlT_T0_E_clISt17integral_constantIbLb0EES1E_IbLb1EEEEDaS1A_S1B_EUlS1A_E_NS1_11comp_targetILNS1_3genE10ELNS1_11target_archE1200ELNS1_3gpuE4ELNS1_3repE0EEENS1_30default_config_static_selectorELNS0_4arch9wavefront6targetE0EEEvT1_.private_seg_size, 0
	.set _ZN7rocprim17ROCPRIM_400000_NS6detail17trampoline_kernelINS0_14default_configENS1_25partition_config_selectorILNS1_17partition_subalgoE5EyNS0_10empty_typeEbEEZZNS1_14partition_implILS5_5ELb0ES3_mN6thrust23THRUST_200600_302600_NS6detail15normal_iteratorINSA_10device_ptrIyEEEEPS6_NSA_18transform_iteratorINSB_9not_fun_tI7is_trueIyEEENSC_INSD_IbEEEENSA_11use_defaultESO_EENS0_5tupleIJNSA_16discard_iteratorISO_EES6_EEENSQ_IJSG_SG_EEES6_PlJS6_EEE10hipError_tPvRmT3_T4_T5_T6_T7_T9_mT8_P12ihipStream_tbDpT10_ENKUlT_T0_E_clISt17integral_constantIbLb0EES1E_IbLb1EEEEDaS1A_S1B_EUlS1A_E_NS1_11comp_targetILNS1_3genE10ELNS1_11target_archE1200ELNS1_3gpuE4ELNS1_3repE0EEENS1_30default_config_static_selectorELNS0_4arch9wavefront6targetE0EEEvT1_.uses_vcc, 1
	.set _ZN7rocprim17ROCPRIM_400000_NS6detail17trampoline_kernelINS0_14default_configENS1_25partition_config_selectorILNS1_17partition_subalgoE5EyNS0_10empty_typeEbEEZZNS1_14partition_implILS5_5ELb0ES3_mN6thrust23THRUST_200600_302600_NS6detail15normal_iteratorINSA_10device_ptrIyEEEEPS6_NSA_18transform_iteratorINSB_9not_fun_tI7is_trueIyEEENSC_INSD_IbEEEENSA_11use_defaultESO_EENS0_5tupleIJNSA_16discard_iteratorISO_EES6_EEENSQ_IJSG_SG_EEES6_PlJS6_EEE10hipError_tPvRmT3_T4_T5_T6_T7_T9_mT8_P12ihipStream_tbDpT10_ENKUlT_T0_E_clISt17integral_constantIbLb0EES1E_IbLb1EEEEDaS1A_S1B_EUlS1A_E_NS1_11comp_targetILNS1_3genE10ELNS1_11target_archE1200ELNS1_3gpuE4ELNS1_3repE0EEENS1_30default_config_static_selectorELNS0_4arch9wavefront6targetE0EEEvT1_.uses_flat_scratch, 1
	.set _ZN7rocprim17ROCPRIM_400000_NS6detail17trampoline_kernelINS0_14default_configENS1_25partition_config_selectorILNS1_17partition_subalgoE5EyNS0_10empty_typeEbEEZZNS1_14partition_implILS5_5ELb0ES3_mN6thrust23THRUST_200600_302600_NS6detail15normal_iteratorINSA_10device_ptrIyEEEEPS6_NSA_18transform_iteratorINSB_9not_fun_tI7is_trueIyEEENSC_INSD_IbEEEENSA_11use_defaultESO_EENS0_5tupleIJNSA_16discard_iteratorISO_EES6_EEENSQ_IJSG_SG_EEES6_PlJS6_EEE10hipError_tPvRmT3_T4_T5_T6_T7_T9_mT8_P12ihipStream_tbDpT10_ENKUlT_T0_E_clISt17integral_constantIbLb0EES1E_IbLb1EEEEDaS1A_S1B_EUlS1A_E_NS1_11comp_targetILNS1_3genE10ELNS1_11target_archE1200ELNS1_3gpuE4ELNS1_3repE0EEENS1_30default_config_static_selectorELNS0_4arch9wavefront6targetE0EEEvT1_.has_dyn_sized_stack, 0
	.set _ZN7rocprim17ROCPRIM_400000_NS6detail17trampoline_kernelINS0_14default_configENS1_25partition_config_selectorILNS1_17partition_subalgoE5EyNS0_10empty_typeEbEEZZNS1_14partition_implILS5_5ELb0ES3_mN6thrust23THRUST_200600_302600_NS6detail15normal_iteratorINSA_10device_ptrIyEEEEPS6_NSA_18transform_iteratorINSB_9not_fun_tI7is_trueIyEEENSC_INSD_IbEEEENSA_11use_defaultESO_EENS0_5tupleIJNSA_16discard_iteratorISO_EES6_EEENSQ_IJSG_SG_EEES6_PlJS6_EEE10hipError_tPvRmT3_T4_T5_T6_T7_T9_mT8_P12ihipStream_tbDpT10_ENKUlT_T0_E_clISt17integral_constantIbLb0EES1E_IbLb1EEEEDaS1A_S1B_EUlS1A_E_NS1_11comp_targetILNS1_3genE10ELNS1_11target_archE1200ELNS1_3gpuE4ELNS1_3repE0EEENS1_30default_config_static_selectorELNS0_4arch9wavefront6targetE0EEEvT1_.has_recursion, 0
	.set _ZN7rocprim17ROCPRIM_400000_NS6detail17trampoline_kernelINS0_14default_configENS1_25partition_config_selectorILNS1_17partition_subalgoE5EyNS0_10empty_typeEbEEZZNS1_14partition_implILS5_5ELb0ES3_mN6thrust23THRUST_200600_302600_NS6detail15normal_iteratorINSA_10device_ptrIyEEEEPS6_NSA_18transform_iteratorINSB_9not_fun_tI7is_trueIyEEENSC_INSD_IbEEEENSA_11use_defaultESO_EENS0_5tupleIJNSA_16discard_iteratorISO_EES6_EEENSQ_IJSG_SG_EEES6_PlJS6_EEE10hipError_tPvRmT3_T4_T5_T6_T7_T9_mT8_P12ihipStream_tbDpT10_ENKUlT_T0_E_clISt17integral_constantIbLb0EES1E_IbLb1EEEEDaS1A_S1B_EUlS1A_E_NS1_11comp_targetILNS1_3genE10ELNS1_11target_archE1200ELNS1_3gpuE4ELNS1_3repE0EEENS1_30default_config_static_selectorELNS0_4arch9wavefront6targetE0EEEvT1_.has_indirect_call, 0
	.section	.AMDGPU.csdata,"",@progbits
; Kernel info:
; codeLenInByte = 6324
; TotalNumSgprs: 24
; NumVgprs: 47
; ScratchSize: 0
; MemoryBound: 0
; FloatMode: 240
; IeeeMode: 1
; LDSByteSize: 8464 bytes/workgroup (compile time only)
; SGPRBlocks: 0
; VGPRBlocks: 5
; NumSGPRsForWavesPerEU: 24
; NumVGPRsForWavesPerEU: 47
; Occupancy: 16
; WaveLimiterHint : 1
; COMPUTE_PGM_RSRC2:SCRATCH_EN: 0
; COMPUTE_PGM_RSRC2:USER_SGPR: 2
; COMPUTE_PGM_RSRC2:TRAP_HANDLER: 0
; COMPUTE_PGM_RSRC2:TGID_X_EN: 1
; COMPUTE_PGM_RSRC2:TGID_Y_EN: 0
; COMPUTE_PGM_RSRC2:TGID_Z_EN: 0
; COMPUTE_PGM_RSRC2:TIDIG_COMP_CNT: 0
	.section	.text._ZN7rocprim17ROCPRIM_400000_NS6detail17trampoline_kernelINS0_14default_configENS1_25partition_config_selectorILNS1_17partition_subalgoE5EyNS0_10empty_typeEbEEZZNS1_14partition_implILS5_5ELb0ES3_mN6thrust23THRUST_200600_302600_NS6detail15normal_iteratorINSA_10device_ptrIyEEEEPS6_NSA_18transform_iteratorINSB_9not_fun_tI7is_trueIyEEENSC_INSD_IbEEEENSA_11use_defaultESO_EENS0_5tupleIJNSA_16discard_iteratorISO_EES6_EEENSQ_IJSG_SG_EEES6_PlJS6_EEE10hipError_tPvRmT3_T4_T5_T6_T7_T9_mT8_P12ihipStream_tbDpT10_ENKUlT_T0_E_clISt17integral_constantIbLb0EES1E_IbLb1EEEEDaS1A_S1B_EUlS1A_E_NS1_11comp_targetILNS1_3genE9ELNS1_11target_archE1100ELNS1_3gpuE3ELNS1_3repE0EEENS1_30default_config_static_selectorELNS0_4arch9wavefront6targetE0EEEvT1_,"axG",@progbits,_ZN7rocprim17ROCPRIM_400000_NS6detail17trampoline_kernelINS0_14default_configENS1_25partition_config_selectorILNS1_17partition_subalgoE5EyNS0_10empty_typeEbEEZZNS1_14partition_implILS5_5ELb0ES3_mN6thrust23THRUST_200600_302600_NS6detail15normal_iteratorINSA_10device_ptrIyEEEEPS6_NSA_18transform_iteratorINSB_9not_fun_tI7is_trueIyEEENSC_INSD_IbEEEENSA_11use_defaultESO_EENS0_5tupleIJNSA_16discard_iteratorISO_EES6_EEENSQ_IJSG_SG_EEES6_PlJS6_EEE10hipError_tPvRmT3_T4_T5_T6_T7_T9_mT8_P12ihipStream_tbDpT10_ENKUlT_T0_E_clISt17integral_constantIbLb0EES1E_IbLb1EEEEDaS1A_S1B_EUlS1A_E_NS1_11comp_targetILNS1_3genE9ELNS1_11target_archE1100ELNS1_3gpuE3ELNS1_3repE0EEENS1_30default_config_static_selectorELNS0_4arch9wavefront6targetE0EEEvT1_,comdat
	.protected	_ZN7rocprim17ROCPRIM_400000_NS6detail17trampoline_kernelINS0_14default_configENS1_25partition_config_selectorILNS1_17partition_subalgoE5EyNS0_10empty_typeEbEEZZNS1_14partition_implILS5_5ELb0ES3_mN6thrust23THRUST_200600_302600_NS6detail15normal_iteratorINSA_10device_ptrIyEEEEPS6_NSA_18transform_iteratorINSB_9not_fun_tI7is_trueIyEEENSC_INSD_IbEEEENSA_11use_defaultESO_EENS0_5tupleIJNSA_16discard_iteratorISO_EES6_EEENSQ_IJSG_SG_EEES6_PlJS6_EEE10hipError_tPvRmT3_T4_T5_T6_T7_T9_mT8_P12ihipStream_tbDpT10_ENKUlT_T0_E_clISt17integral_constantIbLb0EES1E_IbLb1EEEEDaS1A_S1B_EUlS1A_E_NS1_11comp_targetILNS1_3genE9ELNS1_11target_archE1100ELNS1_3gpuE3ELNS1_3repE0EEENS1_30default_config_static_selectorELNS0_4arch9wavefront6targetE0EEEvT1_ ; -- Begin function _ZN7rocprim17ROCPRIM_400000_NS6detail17trampoline_kernelINS0_14default_configENS1_25partition_config_selectorILNS1_17partition_subalgoE5EyNS0_10empty_typeEbEEZZNS1_14partition_implILS5_5ELb0ES3_mN6thrust23THRUST_200600_302600_NS6detail15normal_iteratorINSA_10device_ptrIyEEEEPS6_NSA_18transform_iteratorINSB_9not_fun_tI7is_trueIyEEENSC_INSD_IbEEEENSA_11use_defaultESO_EENS0_5tupleIJNSA_16discard_iteratorISO_EES6_EEENSQ_IJSG_SG_EEES6_PlJS6_EEE10hipError_tPvRmT3_T4_T5_T6_T7_T9_mT8_P12ihipStream_tbDpT10_ENKUlT_T0_E_clISt17integral_constantIbLb0EES1E_IbLb1EEEEDaS1A_S1B_EUlS1A_E_NS1_11comp_targetILNS1_3genE9ELNS1_11target_archE1100ELNS1_3gpuE3ELNS1_3repE0EEENS1_30default_config_static_selectorELNS0_4arch9wavefront6targetE0EEEvT1_
	.globl	_ZN7rocprim17ROCPRIM_400000_NS6detail17trampoline_kernelINS0_14default_configENS1_25partition_config_selectorILNS1_17partition_subalgoE5EyNS0_10empty_typeEbEEZZNS1_14partition_implILS5_5ELb0ES3_mN6thrust23THRUST_200600_302600_NS6detail15normal_iteratorINSA_10device_ptrIyEEEEPS6_NSA_18transform_iteratorINSB_9not_fun_tI7is_trueIyEEENSC_INSD_IbEEEENSA_11use_defaultESO_EENS0_5tupleIJNSA_16discard_iteratorISO_EES6_EEENSQ_IJSG_SG_EEES6_PlJS6_EEE10hipError_tPvRmT3_T4_T5_T6_T7_T9_mT8_P12ihipStream_tbDpT10_ENKUlT_T0_E_clISt17integral_constantIbLb0EES1E_IbLb1EEEEDaS1A_S1B_EUlS1A_E_NS1_11comp_targetILNS1_3genE9ELNS1_11target_archE1100ELNS1_3gpuE3ELNS1_3repE0EEENS1_30default_config_static_selectorELNS0_4arch9wavefront6targetE0EEEvT1_
	.p2align	8
	.type	_ZN7rocprim17ROCPRIM_400000_NS6detail17trampoline_kernelINS0_14default_configENS1_25partition_config_selectorILNS1_17partition_subalgoE5EyNS0_10empty_typeEbEEZZNS1_14partition_implILS5_5ELb0ES3_mN6thrust23THRUST_200600_302600_NS6detail15normal_iteratorINSA_10device_ptrIyEEEEPS6_NSA_18transform_iteratorINSB_9not_fun_tI7is_trueIyEEENSC_INSD_IbEEEENSA_11use_defaultESO_EENS0_5tupleIJNSA_16discard_iteratorISO_EES6_EEENSQ_IJSG_SG_EEES6_PlJS6_EEE10hipError_tPvRmT3_T4_T5_T6_T7_T9_mT8_P12ihipStream_tbDpT10_ENKUlT_T0_E_clISt17integral_constantIbLb0EES1E_IbLb1EEEEDaS1A_S1B_EUlS1A_E_NS1_11comp_targetILNS1_3genE9ELNS1_11target_archE1100ELNS1_3gpuE3ELNS1_3repE0EEENS1_30default_config_static_selectorELNS0_4arch9wavefront6targetE0EEEvT1_,@function
_ZN7rocprim17ROCPRIM_400000_NS6detail17trampoline_kernelINS0_14default_configENS1_25partition_config_selectorILNS1_17partition_subalgoE5EyNS0_10empty_typeEbEEZZNS1_14partition_implILS5_5ELb0ES3_mN6thrust23THRUST_200600_302600_NS6detail15normal_iteratorINSA_10device_ptrIyEEEEPS6_NSA_18transform_iteratorINSB_9not_fun_tI7is_trueIyEEENSC_INSD_IbEEEENSA_11use_defaultESO_EENS0_5tupleIJNSA_16discard_iteratorISO_EES6_EEENSQ_IJSG_SG_EEES6_PlJS6_EEE10hipError_tPvRmT3_T4_T5_T6_T7_T9_mT8_P12ihipStream_tbDpT10_ENKUlT_T0_E_clISt17integral_constantIbLb0EES1E_IbLb1EEEEDaS1A_S1B_EUlS1A_E_NS1_11comp_targetILNS1_3genE9ELNS1_11target_archE1100ELNS1_3gpuE3ELNS1_3repE0EEENS1_30default_config_static_selectorELNS0_4arch9wavefront6targetE0EEEvT1_: ; @_ZN7rocprim17ROCPRIM_400000_NS6detail17trampoline_kernelINS0_14default_configENS1_25partition_config_selectorILNS1_17partition_subalgoE5EyNS0_10empty_typeEbEEZZNS1_14partition_implILS5_5ELb0ES3_mN6thrust23THRUST_200600_302600_NS6detail15normal_iteratorINSA_10device_ptrIyEEEEPS6_NSA_18transform_iteratorINSB_9not_fun_tI7is_trueIyEEENSC_INSD_IbEEEENSA_11use_defaultESO_EENS0_5tupleIJNSA_16discard_iteratorISO_EES6_EEENSQ_IJSG_SG_EEES6_PlJS6_EEE10hipError_tPvRmT3_T4_T5_T6_T7_T9_mT8_P12ihipStream_tbDpT10_ENKUlT_T0_E_clISt17integral_constantIbLb0EES1E_IbLb1EEEEDaS1A_S1B_EUlS1A_E_NS1_11comp_targetILNS1_3genE9ELNS1_11target_archE1100ELNS1_3gpuE3ELNS1_3repE0EEENS1_30default_config_static_selectorELNS0_4arch9wavefront6targetE0EEEvT1_
; %bb.0:
	.section	.rodata,"a",@progbits
	.p2align	6, 0x0
	.amdhsa_kernel _ZN7rocprim17ROCPRIM_400000_NS6detail17trampoline_kernelINS0_14default_configENS1_25partition_config_selectorILNS1_17partition_subalgoE5EyNS0_10empty_typeEbEEZZNS1_14partition_implILS5_5ELb0ES3_mN6thrust23THRUST_200600_302600_NS6detail15normal_iteratorINSA_10device_ptrIyEEEEPS6_NSA_18transform_iteratorINSB_9not_fun_tI7is_trueIyEEENSC_INSD_IbEEEENSA_11use_defaultESO_EENS0_5tupleIJNSA_16discard_iteratorISO_EES6_EEENSQ_IJSG_SG_EEES6_PlJS6_EEE10hipError_tPvRmT3_T4_T5_T6_T7_T9_mT8_P12ihipStream_tbDpT10_ENKUlT_T0_E_clISt17integral_constantIbLb0EES1E_IbLb1EEEEDaS1A_S1B_EUlS1A_E_NS1_11comp_targetILNS1_3genE9ELNS1_11target_archE1100ELNS1_3gpuE3ELNS1_3repE0EEENS1_30default_config_static_selectorELNS0_4arch9wavefront6targetE0EEEvT1_
		.amdhsa_group_segment_fixed_size 0
		.amdhsa_private_segment_fixed_size 0
		.amdhsa_kernarg_size 144
		.amdhsa_user_sgpr_count 2
		.amdhsa_user_sgpr_dispatch_ptr 0
		.amdhsa_user_sgpr_queue_ptr 0
		.amdhsa_user_sgpr_kernarg_segment_ptr 1
		.amdhsa_user_sgpr_dispatch_id 0
		.amdhsa_user_sgpr_private_segment_size 0
		.amdhsa_wavefront_size32 1
		.amdhsa_uses_dynamic_stack 0
		.amdhsa_enable_private_segment 0
		.amdhsa_system_sgpr_workgroup_id_x 1
		.amdhsa_system_sgpr_workgroup_id_y 0
		.amdhsa_system_sgpr_workgroup_id_z 0
		.amdhsa_system_sgpr_workgroup_info 0
		.amdhsa_system_vgpr_workitem_id 0
		.amdhsa_next_free_vgpr 1
		.amdhsa_next_free_sgpr 1
		.amdhsa_reserve_vcc 0
		.amdhsa_float_round_mode_32 0
		.amdhsa_float_round_mode_16_64 0
		.amdhsa_float_denorm_mode_32 3
		.amdhsa_float_denorm_mode_16_64 3
		.amdhsa_fp16_overflow 0
		.amdhsa_workgroup_processor_mode 1
		.amdhsa_memory_ordered 1
		.amdhsa_forward_progress 1
		.amdhsa_inst_pref_size 0
		.amdhsa_round_robin_scheduling 0
		.amdhsa_exception_fp_ieee_invalid_op 0
		.amdhsa_exception_fp_denorm_src 0
		.amdhsa_exception_fp_ieee_div_zero 0
		.amdhsa_exception_fp_ieee_overflow 0
		.amdhsa_exception_fp_ieee_underflow 0
		.amdhsa_exception_fp_ieee_inexact 0
		.amdhsa_exception_int_div_zero 0
	.end_amdhsa_kernel
	.section	.text._ZN7rocprim17ROCPRIM_400000_NS6detail17trampoline_kernelINS0_14default_configENS1_25partition_config_selectorILNS1_17partition_subalgoE5EyNS0_10empty_typeEbEEZZNS1_14partition_implILS5_5ELb0ES3_mN6thrust23THRUST_200600_302600_NS6detail15normal_iteratorINSA_10device_ptrIyEEEEPS6_NSA_18transform_iteratorINSB_9not_fun_tI7is_trueIyEEENSC_INSD_IbEEEENSA_11use_defaultESO_EENS0_5tupleIJNSA_16discard_iteratorISO_EES6_EEENSQ_IJSG_SG_EEES6_PlJS6_EEE10hipError_tPvRmT3_T4_T5_T6_T7_T9_mT8_P12ihipStream_tbDpT10_ENKUlT_T0_E_clISt17integral_constantIbLb0EES1E_IbLb1EEEEDaS1A_S1B_EUlS1A_E_NS1_11comp_targetILNS1_3genE9ELNS1_11target_archE1100ELNS1_3gpuE3ELNS1_3repE0EEENS1_30default_config_static_selectorELNS0_4arch9wavefront6targetE0EEEvT1_,"axG",@progbits,_ZN7rocprim17ROCPRIM_400000_NS6detail17trampoline_kernelINS0_14default_configENS1_25partition_config_selectorILNS1_17partition_subalgoE5EyNS0_10empty_typeEbEEZZNS1_14partition_implILS5_5ELb0ES3_mN6thrust23THRUST_200600_302600_NS6detail15normal_iteratorINSA_10device_ptrIyEEEEPS6_NSA_18transform_iteratorINSB_9not_fun_tI7is_trueIyEEENSC_INSD_IbEEEENSA_11use_defaultESO_EENS0_5tupleIJNSA_16discard_iteratorISO_EES6_EEENSQ_IJSG_SG_EEES6_PlJS6_EEE10hipError_tPvRmT3_T4_T5_T6_T7_T9_mT8_P12ihipStream_tbDpT10_ENKUlT_T0_E_clISt17integral_constantIbLb0EES1E_IbLb1EEEEDaS1A_S1B_EUlS1A_E_NS1_11comp_targetILNS1_3genE9ELNS1_11target_archE1100ELNS1_3gpuE3ELNS1_3repE0EEENS1_30default_config_static_selectorELNS0_4arch9wavefront6targetE0EEEvT1_,comdat
.Lfunc_end2683:
	.size	_ZN7rocprim17ROCPRIM_400000_NS6detail17trampoline_kernelINS0_14default_configENS1_25partition_config_selectorILNS1_17partition_subalgoE5EyNS0_10empty_typeEbEEZZNS1_14partition_implILS5_5ELb0ES3_mN6thrust23THRUST_200600_302600_NS6detail15normal_iteratorINSA_10device_ptrIyEEEEPS6_NSA_18transform_iteratorINSB_9not_fun_tI7is_trueIyEEENSC_INSD_IbEEEENSA_11use_defaultESO_EENS0_5tupleIJNSA_16discard_iteratorISO_EES6_EEENSQ_IJSG_SG_EEES6_PlJS6_EEE10hipError_tPvRmT3_T4_T5_T6_T7_T9_mT8_P12ihipStream_tbDpT10_ENKUlT_T0_E_clISt17integral_constantIbLb0EES1E_IbLb1EEEEDaS1A_S1B_EUlS1A_E_NS1_11comp_targetILNS1_3genE9ELNS1_11target_archE1100ELNS1_3gpuE3ELNS1_3repE0EEENS1_30default_config_static_selectorELNS0_4arch9wavefront6targetE0EEEvT1_, .Lfunc_end2683-_ZN7rocprim17ROCPRIM_400000_NS6detail17trampoline_kernelINS0_14default_configENS1_25partition_config_selectorILNS1_17partition_subalgoE5EyNS0_10empty_typeEbEEZZNS1_14partition_implILS5_5ELb0ES3_mN6thrust23THRUST_200600_302600_NS6detail15normal_iteratorINSA_10device_ptrIyEEEEPS6_NSA_18transform_iteratorINSB_9not_fun_tI7is_trueIyEEENSC_INSD_IbEEEENSA_11use_defaultESO_EENS0_5tupleIJNSA_16discard_iteratorISO_EES6_EEENSQ_IJSG_SG_EEES6_PlJS6_EEE10hipError_tPvRmT3_T4_T5_T6_T7_T9_mT8_P12ihipStream_tbDpT10_ENKUlT_T0_E_clISt17integral_constantIbLb0EES1E_IbLb1EEEEDaS1A_S1B_EUlS1A_E_NS1_11comp_targetILNS1_3genE9ELNS1_11target_archE1100ELNS1_3gpuE3ELNS1_3repE0EEENS1_30default_config_static_selectorELNS0_4arch9wavefront6targetE0EEEvT1_
                                        ; -- End function
	.set _ZN7rocprim17ROCPRIM_400000_NS6detail17trampoline_kernelINS0_14default_configENS1_25partition_config_selectorILNS1_17partition_subalgoE5EyNS0_10empty_typeEbEEZZNS1_14partition_implILS5_5ELb0ES3_mN6thrust23THRUST_200600_302600_NS6detail15normal_iteratorINSA_10device_ptrIyEEEEPS6_NSA_18transform_iteratorINSB_9not_fun_tI7is_trueIyEEENSC_INSD_IbEEEENSA_11use_defaultESO_EENS0_5tupleIJNSA_16discard_iteratorISO_EES6_EEENSQ_IJSG_SG_EEES6_PlJS6_EEE10hipError_tPvRmT3_T4_T5_T6_T7_T9_mT8_P12ihipStream_tbDpT10_ENKUlT_T0_E_clISt17integral_constantIbLb0EES1E_IbLb1EEEEDaS1A_S1B_EUlS1A_E_NS1_11comp_targetILNS1_3genE9ELNS1_11target_archE1100ELNS1_3gpuE3ELNS1_3repE0EEENS1_30default_config_static_selectorELNS0_4arch9wavefront6targetE0EEEvT1_.num_vgpr, 0
	.set _ZN7rocprim17ROCPRIM_400000_NS6detail17trampoline_kernelINS0_14default_configENS1_25partition_config_selectorILNS1_17partition_subalgoE5EyNS0_10empty_typeEbEEZZNS1_14partition_implILS5_5ELb0ES3_mN6thrust23THRUST_200600_302600_NS6detail15normal_iteratorINSA_10device_ptrIyEEEEPS6_NSA_18transform_iteratorINSB_9not_fun_tI7is_trueIyEEENSC_INSD_IbEEEENSA_11use_defaultESO_EENS0_5tupleIJNSA_16discard_iteratorISO_EES6_EEENSQ_IJSG_SG_EEES6_PlJS6_EEE10hipError_tPvRmT3_T4_T5_T6_T7_T9_mT8_P12ihipStream_tbDpT10_ENKUlT_T0_E_clISt17integral_constantIbLb0EES1E_IbLb1EEEEDaS1A_S1B_EUlS1A_E_NS1_11comp_targetILNS1_3genE9ELNS1_11target_archE1100ELNS1_3gpuE3ELNS1_3repE0EEENS1_30default_config_static_selectorELNS0_4arch9wavefront6targetE0EEEvT1_.num_agpr, 0
	.set _ZN7rocprim17ROCPRIM_400000_NS6detail17trampoline_kernelINS0_14default_configENS1_25partition_config_selectorILNS1_17partition_subalgoE5EyNS0_10empty_typeEbEEZZNS1_14partition_implILS5_5ELb0ES3_mN6thrust23THRUST_200600_302600_NS6detail15normal_iteratorINSA_10device_ptrIyEEEEPS6_NSA_18transform_iteratorINSB_9not_fun_tI7is_trueIyEEENSC_INSD_IbEEEENSA_11use_defaultESO_EENS0_5tupleIJNSA_16discard_iteratorISO_EES6_EEENSQ_IJSG_SG_EEES6_PlJS6_EEE10hipError_tPvRmT3_T4_T5_T6_T7_T9_mT8_P12ihipStream_tbDpT10_ENKUlT_T0_E_clISt17integral_constantIbLb0EES1E_IbLb1EEEEDaS1A_S1B_EUlS1A_E_NS1_11comp_targetILNS1_3genE9ELNS1_11target_archE1100ELNS1_3gpuE3ELNS1_3repE0EEENS1_30default_config_static_selectorELNS0_4arch9wavefront6targetE0EEEvT1_.numbered_sgpr, 0
	.set _ZN7rocprim17ROCPRIM_400000_NS6detail17trampoline_kernelINS0_14default_configENS1_25partition_config_selectorILNS1_17partition_subalgoE5EyNS0_10empty_typeEbEEZZNS1_14partition_implILS5_5ELb0ES3_mN6thrust23THRUST_200600_302600_NS6detail15normal_iteratorINSA_10device_ptrIyEEEEPS6_NSA_18transform_iteratorINSB_9not_fun_tI7is_trueIyEEENSC_INSD_IbEEEENSA_11use_defaultESO_EENS0_5tupleIJNSA_16discard_iteratorISO_EES6_EEENSQ_IJSG_SG_EEES6_PlJS6_EEE10hipError_tPvRmT3_T4_T5_T6_T7_T9_mT8_P12ihipStream_tbDpT10_ENKUlT_T0_E_clISt17integral_constantIbLb0EES1E_IbLb1EEEEDaS1A_S1B_EUlS1A_E_NS1_11comp_targetILNS1_3genE9ELNS1_11target_archE1100ELNS1_3gpuE3ELNS1_3repE0EEENS1_30default_config_static_selectorELNS0_4arch9wavefront6targetE0EEEvT1_.num_named_barrier, 0
	.set _ZN7rocprim17ROCPRIM_400000_NS6detail17trampoline_kernelINS0_14default_configENS1_25partition_config_selectorILNS1_17partition_subalgoE5EyNS0_10empty_typeEbEEZZNS1_14partition_implILS5_5ELb0ES3_mN6thrust23THRUST_200600_302600_NS6detail15normal_iteratorINSA_10device_ptrIyEEEEPS6_NSA_18transform_iteratorINSB_9not_fun_tI7is_trueIyEEENSC_INSD_IbEEEENSA_11use_defaultESO_EENS0_5tupleIJNSA_16discard_iteratorISO_EES6_EEENSQ_IJSG_SG_EEES6_PlJS6_EEE10hipError_tPvRmT3_T4_T5_T6_T7_T9_mT8_P12ihipStream_tbDpT10_ENKUlT_T0_E_clISt17integral_constantIbLb0EES1E_IbLb1EEEEDaS1A_S1B_EUlS1A_E_NS1_11comp_targetILNS1_3genE9ELNS1_11target_archE1100ELNS1_3gpuE3ELNS1_3repE0EEENS1_30default_config_static_selectorELNS0_4arch9wavefront6targetE0EEEvT1_.private_seg_size, 0
	.set _ZN7rocprim17ROCPRIM_400000_NS6detail17trampoline_kernelINS0_14default_configENS1_25partition_config_selectorILNS1_17partition_subalgoE5EyNS0_10empty_typeEbEEZZNS1_14partition_implILS5_5ELb0ES3_mN6thrust23THRUST_200600_302600_NS6detail15normal_iteratorINSA_10device_ptrIyEEEEPS6_NSA_18transform_iteratorINSB_9not_fun_tI7is_trueIyEEENSC_INSD_IbEEEENSA_11use_defaultESO_EENS0_5tupleIJNSA_16discard_iteratorISO_EES6_EEENSQ_IJSG_SG_EEES6_PlJS6_EEE10hipError_tPvRmT3_T4_T5_T6_T7_T9_mT8_P12ihipStream_tbDpT10_ENKUlT_T0_E_clISt17integral_constantIbLb0EES1E_IbLb1EEEEDaS1A_S1B_EUlS1A_E_NS1_11comp_targetILNS1_3genE9ELNS1_11target_archE1100ELNS1_3gpuE3ELNS1_3repE0EEENS1_30default_config_static_selectorELNS0_4arch9wavefront6targetE0EEEvT1_.uses_vcc, 0
	.set _ZN7rocprim17ROCPRIM_400000_NS6detail17trampoline_kernelINS0_14default_configENS1_25partition_config_selectorILNS1_17partition_subalgoE5EyNS0_10empty_typeEbEEZZNS1_14partition_implILS5_5ELb0ES3_mN6thrust23THRUST_200600_302600_NS6detail15normal_iteratorINSA_10device_ptrIyEEEEPS6_NSA_18transform_iteratorINSB_9not_fun_tI7is_trueIyEEENSC_INSD_IbEEEENSA_11use_defaultESO_EENS0_5tupleIJNSA_16discard_iteratorISO_EES6_EEENSQ_IJSG_SG_EEES6_PlJS6_EEE10hipError_tPvRmT3_T4_T5_T6_T7_T9_mT8_P12ihipStream_tbDpT10_ENKUlT_T0_E_clISt17integral_constantIbLb0EES1E_IbLb1EEEEDaS1A_S1B_EUlS1A_E_NS1_11comp_targetILNS1_3genE9ELNS1_11target_archE1100ELNS1_3gpuE3ELNS1_3repE0EEENS1_30default_config_static_selectorELNS0_4arch9wavefront6targetE0EEEvT1_.uses_flat_scratch, 0
	.set _ZN7rocprim17ROCPRIM_400000_NS6detail17trampoline_kernelINS0_14default_configENS1_25partition_config_selectorILNS1_17partition_subalgoE5EyNS0_10empty_typeEbEEZZNS1_14partition_implILS5_5ELb0ES3_mN6thrust23THRUST_200600_302600_NS6detail15normal_iteratorINSA_10device_ptrIyEEEEPS6_NSA_18transform_iteratorINSB_9not_fun_tI7is_trueIyEEENSC_INSD_IbEEEENSA_11use_defaultESO_EENS0_5tupleIJNSA_16discard_iteratorISO_EES6_EEENSQ_IJSG_SG_EEES6_PlJS6_EEE10hipError_tPvRmT3_T4_T5_T6_T7_T9_mT8_P12ihipStream_tbDpT10_ENKUlT_T0_E_clISt17integral_constantIbLb0EES1E_IbLb1EEEEDaS1A_S1B_EUlS1A_E_NS1_11comp_targetILNS1_3genE9ELNS1_11target_archE1100ELNS1_3gpuE3ELNS1_3repE0EEENS1_30default_config_static_selectorELNS0_4arch9wavefront6targetE0EEEvT1_.has_dyn_sized_stack, 0
	.set _ZN7rocprim17ROCPRIM_400000_NS6detail17trampoline_kernelINS0_14default_configENS1_25partition_config_selectorILNS1_17partition_subalgoE5EyNS0_10empty_typeEbEEZZNS1_14partition_implILS5_5ELb0ES3_mN6thrust23THRUST_200600_302600_NS6detail15normal_iteratorINSA_10device_ptrIyEEEEPS6_NSA_18transform_iteratorINSB_9not_fun_tI7is_trueIyEEENSC_INSD_IbEEEENSA_11use_defaultESO_EENS0_5tupleIJNSA_16discard_iteratorISO_EES6_EEENSQ_IJSG_SG_EEES6_PlJS6_EEE10hipError_tPvRmT3_T4_T5_T6_T7_T9_mT8_P12ihipStream_tbDpT10_ENKUlT_T0_E_clISt17integral_constantIbLb0EES1E_IbLb1EEEEDaS1A_S1B_EUlS1A_E_NS1_11comp_targetILNS1_3genE9ELNS1_11target_archE1100ELNS1_3gpuE3ELNS1_3repE0EEENS1_30default_config_static_selectorELNS0_4arch9wavefront6targetE0EEEvT1_.has_recursion, 0
	.set _ZN7rocprim17ROCPRIM_400000_NS6detail17trampoline_kernelINS0_14default_configENS1_25partition_config_selectorILNS1_17partition_subalgoE5EyNS0_10empty_typeEbEEZZNS1_14partition_implILS5_5ELb0ES3_mN6thrust23THRUST_200600_302600_NS6detail15normal_iteratorINSA_10device_ptrIyEEEEPS6_NSA_18transform_iteratorINSB_9not_fun_tI7is_trueIyEEENSC_INSD_IbEEEENSA_11use_defaultESO_EENS0_5tupleIJNSA_16discard_iteratorISO_EES6_EEENSQ_IJSG_SG_EEES6_PlJS6_EEE10hipError_tPvRmT3_T4_T5_T6_T7_T9_mT8_P12ihipStream_tbDpT10_ENKUlT_T0_E_clISt17integral_constantIbLb0EES1E_IbLb1EEEEDaS1A_S1B_EUlS1A_E_NS1_11comp_targetILNS1_3genE9ELNS1_11target_archE1100ELNS1_3gpuE3ELNS1_3repE0EEENS1_30default_config_static_selectorELNS0_4arch9wavefront6targetE0EEEvT1_.has_indirect_call, 0
	.section	.AMDGPU.csdata,"",@progbits
; Kernel info:
; codeLenInByte = 0
; TotalNumSgprs: 0
; NumVgprs: 0
; ScratchSize: 0
; MemoryBound: 0
; FloatMode: 240
; IeeeMode: 1
; LDSByteSize: 0 bytes/workgroup (compile time only)
; SGPRBlocks: 0
; VGPRBlocks: 0
; NumSGPRsForWavesPerEU: 1
; NumVGPRsForWavesPerEU: 1
; Occupancy: 16
; WaveLimiterHint : 0
; COMPUTE_PGM_RSRC2:SCRATCH_EN: 0
; COMPUTE_PGM_RSRC2:USER_SGPR: 2
; COMPUTE_PGM_RSRC2:TRAP_HANDLER: 0
; COMPUTE_PGM_RSRC2:TGID_X_EN: 1
; COMPUTE_PGM_RSRC2:TGID_Y_EN: 0
; COMPUTE_PGM_RSRC2:TGID_Z_EN: 0
; COMPUTE_PGM_RSRC2:TIDIG_COMP_CNT: 0
	.section	.text._ZN7rocprim17ROCPRIM_400000_NS6detail17trampoline_kernelINS0_14default_configENS1_25partition_config_selectorILNS1_17partition_subalgoE5EyNS0_10empty_typeEbEEZZNS1_14partition_implILS5_5ELb0ES3_mN6thrust23THRUST_200600_302600_NS6detail15normal_iteratorINSA_10device_ptrIyEEEEPS6_NSA_18transform_iteratorINSB_9not_fun_tI7is_trueIyEEENSC_INSD_IbEEEENSA_11use_defaultESO_EENS0_5tupleIJNSA_16discard_iteratorISO_EES6_EEENSQ_IJSG_SG_EEES6_PlJS6_EEE10hipError_tPvRmT3_T4_T5_T6_T7_T9_mT8_P12ihipStream_tbDpT10_ENKUlT_T0_E_clISt17integral_constantIbLb0EES1E_IbLb1EEEEDaS1A_S1B_EUlS1A_E_NS1_11comp_targetILNS1_3genE8ELNS1_11target_archE1030ELNS1_3gpuE2ELNS1_3repE0EEENS1_30default_config_static_selectorELNS0_4arch9wavefront6targetE0EEEvT1_,"axG",@progbits,_ZN7rocprim17ROCPRIM_400000_NS6detail17trampoline_kernelINS0_14default_configENS1_25partition_config_selectorILNS1_17partition_subalgoE5EyNS0_10empty_typeEbEEZZNS1_14partition_implILS5_5ELb0ES3_mN6thrust23THRUST_200600_302600_NS6detail15normal_iteratorINSA_10device_ptrIyEEEEPS6_NSA_18transform_iteratorINSB_9not_fun_tI7is_trueIyEEENSC_INSD_IbEEEENSA_11use_defaultESO_EENS0_5tupleIJNSA_16discard_iteratorISO_EES6_EEENSQ_IJSG_SG_EEES6_PlJS6_EEE10hipError_tPvRmT3_T4_T5_T6_T7_T9_mT8_P12ihipStream_tbDpT10_ENKUlT_T0_E_clISt17integral_constantIbLb0EES1E_IbLb1EEEEDaS1A_S1B_EUlS1A_E_NS1_11comp_targetILNS1_3genE8ELNS1_11target_archE1030ELNS1_3gpuE2ELNS1_3repE0EEENS1_30default_config_static_selectorELNS0_4arch9wavefront6targetE0EEEvT1_,comdat
	.protected	_ZN7rocprim17ROCPRIM_400000_NS6detail17trampoline_kernelINS0_14default_configENS1_25partition_config_selectorILNS1_17partition_subalgoE5EyNS0_10empty_typeEbEEZZNS1_14partition_implILS5_5ELb0ES3_mN6thrust23THRUST_200600_302600_NS6detail15normal_iteratorINSA_10device_ptrIyEEEEPS6_NSA_18transform_iteratorINSB_9not_fun_tI7is_trueIyEEENSC_INSD_IbEEEENSA_11use_defaultESO_EENS0_5tupleIJNSA_16discard_iteratorISO_EES6_EEENSQ_IJSG_SG_EEES6_PlJS6_EEE10hipError_tPvRmT3_T4_T5_T6_T7_T9_mT8_P12ihipStream_tbDpT10_ENKUlT_T0_E_clISt17integral_constantIbLb0EES1E_IbLb1EEEEDaS1A_S1B_EUlS1A_E_NS1_11comp_targetILNS1_3genE8ELNS1_11target_archE1030ELNS1_3gpuE2ELNS1_3repE0EEENS1_30default_config_static_selectorELNS0_4arch9wavefront6targetE0EEEvT1_ ; -- Begin function _ZN7rocprim17ROCPRIM_400000_NS6detail17trampoline_kernelINS0_14default_configENS1_25partition_config_selectorILNS1_17partition_subalgoE5EyNS0_10empty_typeEbEEZZNS1_14partition_implILS5_5ELb0ES3_mN6thrust23THRUST_200600_302600_NS6detail15normal_iteratorINSA_10device_ptrIyEEEEPS6_NSA_18transform_iteratorINSB_9not_fun_tI7is_trueIyEEENSC_INSD_IbEEEENSA_11use_defaultESO_EENS0_5tupleIJNSA_16discard_iteratorISO_EES6_EEENSQ_IJSG_SG_EEES6_PlJS6_EEE10hipError_tPvRmT3_T4_T5_T6_T7_T9_mT8_P12ihipStream_tbDpT10_ENKUlT_T0_E_clISt17integral_constantIbLb0EES1E_IbLb1EEEEDaS1A_S1B_EUlS1A_E_NS1_11comp_targetILNS1_3genE8ELNS1_11target_archE1030ELNS1_3gpuE2ELNS1_3repE0EEENS1_30default_config_static_selectorELNS0_4arch9wavefront6targetE0EEEvT1_
	.globl	_ZN7rocprim17ROCPRIM_400000_NS6detail17trampoline_kernelINS0_14default_configENS1_25partition_config_selectorILNS1_17partition_subalgoE5EyNS0_10empty_typeEbEEZZNS1_14partition_implILS5_5ELb0ES3_mN6thrust23THRUST_200600_302600_NS6detail15normal_iteratorINSA_10device_ptrIyEEEEPS6_NSA_18transform_iteratorINSB_9not_fun_tI7is_trueIyEEENSC_INSD_IbEEEENSA_11use_defaultESO_EENS0_5tupleIJNSA_16discard_iteratorISO_EES6_EEENSQ_IJSG_SG_EEES6_PlJS6_EEE10hipError_tPvRmT3_T4_T5_T6_T7_T9_mT8_P12ihipStream_tbDpT10_ENKUlT_T0_E_clISt17integral_constantIbLb0EES1E_IbLb1EEEEDaS1A_S1B_EUlS1A_E_NS1_11comp_targetILNS1_3genE8ELNS1_11target_archE1030ELNS1_3gpuE2ELNS1_3repE0EEENS1_30default_config_static_selectorELNS0_4arch9wavefront6targetE0EEEvT1_
	.p2align	8
	.type	_ZN7rocprim17ROCPRIM_400000_NS6detail17trampoline_kernelINS0_14default_configENS1_25partition_config_selectorILNS1_17partition_subalgoE5EyNS0_10empty_typeEbEEZZNS1_14partition_implILS5_5ELb0ES3_mN6thrust23THRUST_200600_302600_NS6detail15normal_iteratorINSA_10device_ptrIyEEEEPS6_NSA_18transform_iteratorINSB_9not_fun_tI7is_trueIyEEENSC_INSD_IbEEEENSA_11use_defaultESO_EENS0_5tupleIJNSA_16discard_iteratorISO_EES6_EEENSQ_IJSG_SG_EEES6_PlJS6_EEE10hipError_tPvRmT3_T4_T5_T6_T7_T9_mT8_P12ihipStream_tbDpT10_ENKUlT_T0_E_clISt17integral_constantIbLb0EES1E_IbLb1EEEEDaS1A_S1B_EUlS1A_E_NS1_11comp_targetILNS1_3genE8ELNS1_11target_archE1030ELNS1_3gpuE2ELNS1_3repE0EEENS1_30default_config_static_selectorELNS0_4arch9wavefront6targetE0EEEvT1_,@function
_ZN7rocprim17ROCPRIM_400000_NS6detail17trampoline_kernelINS0_14default_configENS1_25partition_config_selectorILNS1_17partition_subalgoE5EyNS0_10empty_typeEbEEZZNS1_14partition_implILS5_5ELb0ES3_mN6thrust23THRUST_200600_302600_NS6detail15normal_iteratorINSA_10device_ptrIyEEEEPS6_NSA_18transform_iteratorINSB_9not_fun_tI7is_trueIyEEENSC_INSD_IbEEEENSA_11use_defaultESO_EENS0_5tupleIJNSA_16discard_iteratorISO_EES6_EEENSQ_IJSG_SG_EEES6_PlJS6_EEE10hipError_tPvRmT3_T4_T5_T6_T7_T9_mT8_P12ihipStream_tbDpT10_ENKUlT_T0_E_clISt17integral_constantIbLb0EES1E_IbLb1EEEEDaS1A_S1B_EUlS1A_E_NS1_11comp_targetILNS1_3genE8ELNS1_11target_archE1030ELNS1_3gpuE2ELNS1_3repE0EEENS1_30default_config_static_selectorELNS0_4arch9wavefront6targetE0EEEvT1_: ; @_ZN7rocprim17ROCPRIM_400000_NS6detail17trampoline_kernelINS0_14default_configENS1_25partition_config_selectorILNS1_17partition_subalgoE5EyNS0_10empty_typeEbEEZZNS1_14partition_implILS5_5ELb0ES3_mN6thrust23THRUST_200600_302600_NS6detail15normal_iteratorINSA_10device_ptrIyEEEEPS6_NSA_18transform_iteratorINSB_9not_fun_tI7is_trueIyEEENSC_INSD_IbEEEENSA_11use_defaultESO_EENS0_5tupleIJNSA_16discard_iteratorISO_EES6_EEENSQ_IJSG_SG_EEES6_PlJS6_EEE10hipError_tPvRmT3_T4_T5_T6_T7_T9_mT8_P12ihipStream_tbDpT10_ENKUlT_T0_E_clISt17integral_constantIbLb0EES1E_IbLb1EEEEDaS1A_S1B_EUlS1A_E_NS1_11comp_targetILNS1_3genE8ELNS1_11target_archE1030ELNS1_3gpuE2ELNS1_3repE0EEENS1_30default_config_static_selectorELNS0_4arch9wavefront6targetE0EEEvT1_
; %bb.0:
	.section	.rodata,"a",@progbits
	.p2align	6, 0x0
	.amdhsa_kernel _ZN7rocprim17ROCPRIM_400000_NS6detail17trampoline_kernelINS0_14default_configENS1_25partition_config_selectorILNS1_17partition_subalgoE5EyNS0_10empty_typeEbEEZZNS1_14partition_implILS5_5ELb0ES3_mN6thrust23THRUST_200600_302600_NS6detail15normal_iteratorINSA_10device_ptrIyEEEEPS6_NSA_18transform_iteratorINSB_9not_fun_tI7is_trueIyEEENSC_INSD_IbEEEENSA_11use_defaultESO_EENS0_5tupleIJNSA_16discard_iteratorISO_EES6_EEENSQ_IJSG_SG_EEES6_PlJS6_EEE10hipError_tPvRmT3_T4_T5_T6_T7_T9_mT8_P12ihipStream_tbDpT10_ENKUlT_T0_E_clISt17integral_constantIbLb0EES1E_IbLb1EEEEDaS1A_S1B_EUlS1A_E_NS1_11comp_targetILNS1_3genE8ELNS1_11target_archE1030ELNS1_3gpuE2ELNS1_3repE0EEENS1_30default_config_static_selectorELNS0_4arch9wavefront6targetE0EEEvT1_
		.amdhsa_group_segment_fixed_size 0
		.amdhsa_private_segment_fixed_size 0
		.amdhsa_kernarg_size 144
		.amdhsa_user_sgpr_count 2
		.amdhsa_user_sgpr_dispatch_ptr 0
		.amdhsa_user_sgpr_queue_ptr 0
		.amdhsa_user_sgpr_kernarg_segment_ptr 1
		.amdhsa_user_sgpr_dispatch_id 0
		.amdhsa_user_sgpr_private_segment_size 0
		.amdhsa_wavefront_size32 1
		.amdhsa_uses_dynamic_stack 0
		.amdhsa_enable_private_segment 0
		.amdhsa_system_sgpr_workgroup_id_x 1
		.amdhsa_system_sgpr_workgroup_id_y 0
		.amdhsa_system_sgpr_workgroup_id_z 0
		.amdhsa_system_sgpr_workgroup_info 0
		.amdhsa_system_vgpr_workitem_id 0
		.amdhsa_next_free_vgpr 1
		.amdhsa_next_free_sgpr 1
		.amdhsa_reserve_vcc 0
		.amdhsa_float_round_mode_32 0
		.amdhsa_float_round_mode_16_64 0
		.amdhsa_float_denorm_mode_32 3
		.amdhsa_float_denorm_mode_16_64 3
		.amdhsa_fp16_overflow 0
		.amdhsa_workgroup_processor_mode 1
		.amdhsa_memory_ordered 1
		.amdhsa_forward_progress 1
		.amdhsa_inst_pref_size 0
		.amdhsa_round_robin_scheduling 0
		.amdhsa_exception_fp_ieee_invalid_op 0
		.amdhsa_exception_fp_denorm_src 0
		.amdhsa_exception_fp_ieee_div_zero 0
		.amdhsa_exception_fp_ieee_overflow 0
		.amdhsa_exception_fp_ieee_underflow 0
		.amdhsa_exception_fp_ieee_inexact 0
		.amdhsa_exception_int_div_zero 0
	.end_amdhsa_kernel
	.section	.text._ZN7rocprim17ROCPRIM_400000_NS6detail17trampoline_kernelINS0_14default_configENS1_25partition_config_selectorILNS1_17partition_subalgoE5EyNS0_10empty_typeEbEEZZNS1_14partition_implILS5_5ELb0ES3_mN6thrust23THRUST_200600_302600_NS6detail15normal_iteratorINSA_10device_ptrIyEEEEPS6_NSA_18transform_iteratorINSB_9not_fun_tI7is_trueIyEEENSC_INSD_IbEEEENSA_11use_defaultESO_EENS0_5tupleIJNSA_16discard_iteratorISO_EES6_EEENSQ_IJSG_SG_EEES6_PlJS6_EEE10hipError_tPvRmT3_T4_T5_T6_T7_T9_mT8_P12ihipStream_tbDpT10_ENKUlT_T0_E_clISt17integral_constantIbLb0EES1E_IbLb1EEEEDaS1A_S1B_EUlS1A_E_NS1_11comp_targetILNS1_3genE8ELNS1_11target_archE1030ELNS1_3gpuE2ELNS1_3repE0EEENS1_30default_config_static_selectorELNS0_4arch9wavefront6targetE0EEEvT1_,"axG",@progbits,_ZN7rocprim17ROCPRIM_400000_NS6detail17trampoline_kernelINS0_14default_configENS1_25partition_config_selectorILNS1_17partition_subalgoE5EyNS0_10empty_typeEbEEZZNS1_14partition_implILS5_5ELb0ES3_mN6thrust23THRUST_200600_302600_NS6detail15normal_iteratorINSA_10device_ptrIyEEEEPS6_NSA_18transform_iteratorINSB_9not_fun_tI7is_trueIyEEENSC_INSD_IbEEEENSA_11use_defaultESO_EENS0_5tupleIJNSA_16discard_iteratorISO_EES6_EEENSQ_IJSG_SG_EEES6_PlJS6_EEE10hipError_tPvRmT3_T4_T5_T6_T7_T9_mT8_P12ihipStream_tbDpT10_ENKUlT_T0_E_clISt17integral_constantIbLb0EES1E_IbLb1EEEEDaS1A_S1B_EUlS1A_E_NS1_11comp_targetILNS1_3genE8ELNS1_11target_archE1030ELNS1_3gpuE2ELNS1_3repE0EEENS1_30default_config_static_selectorELNS0_4arch9wavefront6targetE0EEEvT1_,comdat
.Lfunc_end2684:
	.size	_ZN7rocprim17ROCPRIM_400000_NS6detail17trampoline_kernelINS0_14default_configENS1_25partition_config_selectorILNS1_17partition_subalgoE5EyNS0_10empty_typeEbEEZZNS1_14partition_implILS5_5ELb0ES3_mN6thrust23THRUST_200600_302600_NS6detail15normal_iteratorINSA_10device_ptrIyEEEEPS6_NSA_18transform_iteratorINSB_9not_fun_tI7is_trueIyEEENSC_INSD_IbEEEENSA_11use_defaultESO_EENS0_5tupleIJNSA_16discard_iteratorISO_EES6_EEENSQ_IJSG_SG_EEES6_PlJS6_EEE10hipError_tPvRmT3_T4_T5_T6_T7_T9_mT8_P12ihipStream_tbDpT10_ENKUlT_T0_E_clISt17integral_constantIbLb0EES1E_IbLb1EEEEDaS1A_S1B_EUlS1A_E_NS1_11comp_targetILNS1_3genE8ELNS1_11target_archE1030ELNS1_3gpuE2ELNS1_3repE0EEENS1_30default_config_static_selectorELNS0_4arch9wavefront6targetE0EEEvT1_, .Lfunc_end2684-_ZN7rocprim17ROCPRIM_400000_NS6detail17trampoline_kernelINS0_14default_configENS1_25partition_config_selectorILNS1_17partition_subalgoE5EyNS0_10empty_typeEbEEZZNS1_14partition_implILS5_5ELb0ES3_mN6thrust23THRUST_200600_302600_NS6detail15normal_iteratorINSA_10device_ptrIyEEEEPS6_NSA_18transform_iteratorINSB_9not_fun_tI7is_trueIyEEENSC_INSD_IbEEEENSA_11use_defaultESO_EENS0_5tupleIJNSA_16discard_iteratorISO_EES6_EEENSQ_IJSG_SG_EEES6_PlJS6_EEE10hipError_tPvRmT3_T4_T5_T6_T7_T9_mT8_P12ihipStream_tbDpT10_ENKUlT_T0_E_clISt17integral_constantIbLb0EES1E_IbLb1EEEEDaS1A_S1B_EUlS1A_E_NS1_11comp_targetILNS1_3genE8ELNS1_11target_archE1030ELNS1_3gpuE2ELNS1_3repE0EEENS1_30default_config_static_selectorELNS0_4arch9wavefront6targetE0EEEvT1_
                                        ; -- End function
	.set _ZN7rocprim17ROCPRIM_400000_NS6detail17trampoline_kernelINS0_14default_configENS1_25partition_config_selectorILNS1_17partition_subalgoE5EyNS0_10empty_typeEbEEZZNS1_14partition_implILS5_5ELb0ES3_mN6thrust23THRUST_200600_302600_NS6detail15normal_iteratorINSA_10device_ptrIyEEEEPS6_NSA_18transform_iteratorINSB_9not_fun_tI7is_trueIyEEENSC_INSD_IbEEEENSA_11use_defaultESO_EENS0_5tupleIJNSA_16discard_iteratorISO_EES6_EEENSQ_IJSG_SG_EEES6_PlJS6_EEE10hipError_tPvRmT3_T4_T5_T6_T7_T9_mT8_P12ihipStream_tbDpT10_ENKUlT_T0_E_clISt17integral_constantIbLb0EES1E_IbLb1EEEEDaS1A_S1B_EUlS1A_E_NS1_11comp_targetILNS1_3genE8ELNS1_11target_archE1030ELNS1_3gpuE2ELNS1_3repE0EEENS1_30default_config_static_selectorELNS0_4arch9wavefront6targetE0EEEvT1_.num_vgpr, 0
	.set _ZN7rocprim17ROCPRIM_400000_NS6detail17trampoline_kernelINS0_14default_configENS1_25partition_config_selectorILNS1_17partition_subalgoE5EyNS0_10empty_typeEbEEZZNS1_14partition_implILS5_5ELb0ES3_mN6thrust23THRUST_200600_302600_NS6detail15normal_iteratorINSA_10device_ptrIyEEEEPS6_NSA_18transform_iteratorINSB_9not_fun_tI7is_trueIyEEENSC_INSD_IbEEEENSA_11use_defaultESO_EENS0_5tupleIJNSA_16discard_iteratorISO_EES6_EEENSQ_IJSG_SG_EEES6_PlJS6_EEE10hipError_tPvRmT3_T4_T5_T6_T7_T9_mT8_P12ihipStream_tbDpT10_ENKUlT_T0_E_clISt17integral_constantIbLb0EES1E_IbLb1EEEEDaS1A_S1B_EUlS1A_E_NS1_11comp_targetILNS1_3genE8ELNS1_11target_archE1030ELNS1_3gpuE2ELNS1_3repE0EEENS1_30default_config_static_selectorELNS0_4arch9wavefront6targetE0EEEvT1_.num_agpr, 0
	.set _ZN7rocprim17ROCPRIM_400000_NS6detail17trampoline_kernelINS0_14default_configENS1_25partition_config_selectorILNS1_17partition_subalgoE5EyNS0_10empty_typeEbEEZZNS1_14partition_implILS5_5ELb0ES3_mN6thrust23THRUST_200600_302600_NS6detail15normal_iteratorINSA_10device_ptrIyEEEEPS6_NSA_18transform_iteratorINSB_9not_fun_tI7is_trueIyEEENSC_INSD_IbEEEENSA_11use_defaultESO_EENS0_5tupleIJNSA_16discard_iteratorISO_EES6_EEENSQ_IJSG_SG_EEES6_PlJS6_EEE10hipError_tPvRmT3_T4_T5_T6_T7_T9_mT8_P12ihipStream_tbDpT10_ENKUlT_T0_E_clISt17integral_constantIbLb0EES1E_IbLb1EEEEDaS1A_S1B_EUlS1A_E_NS1_11comp_targetILNS1_3genE8ELNS1_11target_archE1030ELNS1_3gpuE2ELNS1_3repE0EEENS1_30default_config_static_selectorELNS0_4arch9wavefront6targetE0EEEvT1_.numbered_sgpr, 0
	.set _ZN7rocprim17ROCPRIM_400000_NS6detail17trampoline_kernelINS0_14default_configENS1_25partition_config_selectorILNS1_17partition_subalgoE5EyNS0_10empty_typeEbEEZZNS1_14partition_implILS5_5ELb0ES3_mN6thrust23THRUST_200600_302600_NS6detail15normal_iteratorINSA_10device_ptrIyEEEEPS6_NSA_18transform_iteratorINSB_9not_fun_tI7is_trueIyEEENSC_INSD_IbEEEENSA_11use_defaultESO_EENS0_5tupleIJNSA_16discard_iteratorISO_EES6_EEENSQ_IJSG_SG_EEES6_PlJS6_EEE10hipError_tPvRmT3_T4_T5_T6_T7_T9_mT8_P12ihipStream_tbDpT10_ENKUlT_T0_E_clISt17integral_constantIbLb0EES1E_IbLb1EEEEDaS1A_S1B_EUlS1A_E_NS1_11comp_targetILNS1_3genE8ELNS1_11target_archE1030ELNS1_3gpuE2ELNS1_3repE0EEENS1_30default_config_static_selectorELNS0_4arch9wavefront6targetE0EEEvT1_.num_named_barrier, 0
	.set _ZN7rocprim17ROCPRIM_400000_NS6detail17trampoline_kernelINS0_14default_configENS1_25partition_config_selectorILNS1_17partition_subalgoE5EyNS0_10empty_typeEbEEZZNS1_14partition_implILS5_5ELb0ES3_mN6thrust23THRUST_200600_302600_NS6detail15normal_iteratorINSA_10device_ptrIyEEEEPS6_NSA_18transform_iteratorINSB_9not_fun_tI7is_trueIyEEENSC_INSD_IbEEEENSA_11use_defaultESO_EENS0_5tupleIJNSA_16discard_iteratorISO_EES6_EEENSQ_IJSG_SG_EEES6_PlJS6_EEE10hipError_tPvRmT3_T4_T5_T6_T7_T9_mT8_P12ihipStream_tbDpT10_ENKUlT_T0_E_clISt17integral_constantIbLb0EES1E_IbLb1EEEEDaS1A_S1B_EUlS1A_E_NS1_11comp_targetILNS1_3genE8ELNS1_11target_archE1030ELNS1_3gpuE2ELNS1_3repE0EEENS1_30default_config_static_selectorELNS0_4arch9wavefront6targetE0EEEvT1_.private_seg_size, 0
	.set _ZN7rocprim17ROCPRIM_400000_NS6detail17trampoline_kernelINS0_14default_configENS1_25partition_config_selectorILNS1_17partition_subalgoE5EyNS0_10empty_typeEbEEZZNS1_14partition_implILS5_5ELb0ES3_mN6thrust23THRUST_200600_302600_NS6detail15normal_iteratorINSA_10device_ptrIyEEEEPS6_NSA_18transform_iteratorINSB_9not_fun_tI7is_trueIyEEENSC_INSD_IbEEEENSA_11use_defaultESO_EENS0_5tupleIJNSA_16discard_iteratorISO_EES6_EEENSQ_IJSG_SG_EEES6_PlJS6_EEE10hipError_tPvRmT3_T4_T5_T6_T7_T9_mT8_P12ihipStream_tbDpT10_ENKUlT_T0_E_clISt17integral_constantIbLb0EES1E_IbLb1EEEEDaS1A_S1B_EUlS1A_E_NS1_11comp_targetILNS1_3genE8ELNS1_11target_archE1030ELNS1_3gpuE2ELNS1_3repE0EEENS1_30default_config_static_selectorELNS0_4arch9wavefront6targetE0EEEvT1_.uses_vcc, 0
	.set _ZN7rocprim17ROCPRIM_400000_NS6detail17trampoline_kernelINS0_14default_configENS1_25partition_config_selectorILNS1_17partition_subalgoE5EyNS0_10empty_typeEbEEZZNS1_14partition_implILS5_5ELb0ES3_mN6thrust23THRUST_200600_302600_NS6detail15normal_iteratorINSA_10device_ptrIyEEEEPS6_NSA_18transform_iteratorINSB_9not_fun_tI7is_trueIyEEENSC_INSD_IbEEEENSA_11use_defaultESO_EENS0_5tupleIJNSA_16discard_iteratorISO_EES6_EEENSQ_IJSG_SG_EEES6_PlJS6_EEE10hipError_tPvRmT3_T4_T5_T6_T7_T9_mT8_P12ihipStream_tbDpT10_ENKUlT_T0_E_clISt17integral_constantIbLb0EES1E_IbLb1EEEEDaS1A_S1B_EUlS1A_E_NS1_11comp_targetILNS1_3genE8ELNS1_11target_archE1030ELNS1_3gpuE2ELNS1_3repE0EEENS1_30default_config_static_selectorELNS0_4arch9wavefront6targetE0EEEvT1_.uses_flat_scratch, 0
	.set _ZN7rocprim17ROCPRIM_400000_NS6detail17trampoline_kernelINS0_14default_configENS1_25partition_config_selectorILNS1_17partition_subalgoE5EyNS0_10empty_typeEbEEZZNS1_14partition_implILS5_5ELb0ES3_mN6thrust23THRUST_200600_302600_NS6detail15normal_iteratorINSA_10device_ptrIyEEEEPS6_NSA_18transform_iteratorINSB_9not_fun_tI7is_trueIyEEENSC_INSD_IbEEEENSA_11use_defaultESO_EENS0_5tupleIJNSA_16discard_iteratorISO_EES6_EEENSQ_IJSG_SG_EEES6_PlJS6_EEE10hipError_tPvRmT3_T4_T5_T6_T7_T9_mT8_P12ihipStream_tbDpT10_ENKUlT_T0_E_clISt17integral_constantIbLb0EES1E_IbLb1EEEEDaS1A_S1B_EUlS1A_E_NS1_11comp_targetILNS1_3genE8ELNS1_11target_archE1030ELNS1_3gpuE2ELNS1_3repE0EEENS1_30default_config_static_selectorELNS0_4arch9wavefront6targetE0EEEvT1_.has_dyn_sized_stack, 0
	.set _ZN7rocprim17ROCPRIM_400000_NS6detail17trampoline_kernelINS0_14default_configENS1_25partition_config_selectorILNS1_17partition_subalgoE5EyNS0_10empty_typeEbEEZZNS1_14partition_implILS5_5ELb0ES3_mN6thrust23THRUST_200600_302600_NS6detail15normal_iteratorINSA_10device_ptrIyEEEEPS6_NSA_18transform_iteratorINSB_9not_fun_tI7is_trueIyEEENSC_INSD_IbEEEENSA_11use_defaultESO_EENS0_5tupleIJNSA_16discard_iteratorISO_EES6_EEENSQ_IJSG_SG_EEES6_PlJS6_EEE10hipError_tPvRmT3_T4_T5_T6_T7_T9_mT8_P12ihipStream_tbDpT10_ENKUlT_T0_E_clISt17integral_constantIbLb0EES1E_IbLb1EEEEDaS1A_S1B_EUlS1A_E_NS1_11comp_targetILNS1_3genE8ELNS1_11target_archE1030ELNS1_3gpuE2ELNS1_3repE0EEENS1_30default_config_static_selectorELNS0_4arch9wavefront6targetE0EEEvT1_.has_recursion, 0
	.set _ZN7rocprim17ROCPRIM_400000_NS6detail17trampoline_kernelINS0_14default_configENS1_25partition_config_selectorILNS1_17partition_subalgoE5EyNS0_10empty_typeEbEEZZNS1_14partition_implILS5_5ELb0ES3_mN6thrust23THRUST_200600_302600_NS6detail15normal_iteratorINSA_10device_ptrIyEEEEPS6_NSA_18transform_iteratorINSB_9not_fun_tI7is_trueIyEEENSC_INSD_IbEEEENSA_11use_defaultESO_EENS0_5tupleIJNSA_16discard_iteratorISO_EES6_EEENSQ_IJSG_SG_EEES6_PlJS6_EEE10hipError_tPvRmT3_T4_T5_T6_T7_T9_mT8_P12ihipStream_tbDpT10_ENKUlT_T0_E_clISt17integral_constantIbLb0EES1E_IbLb1EEEEDaS1A_S1B_EUlS1A_E_NS1_11comp_targetILNS1_3genE8ELNS1_11target_archE1030ELNS1_3gpuE2ELNS1_3repE0EEENS1_30default_config_static_selectorELNS0_4arch9wavefront6targetE0EEEvT1_.has_indirect_call, 0
	.section	.AMDGPU.csdata,"",@progbits
; Kernel info:
; codeLenInByte = 0
; TotalNumSgprs: 0
; NumVgprs: 0
; ScratchSize: 0
; MemoryBound: 0
; FloatMode: 240
; IeeeMode: 1
; LDSByteSize: 0 bytes/workgroup (compile time only)
; SGPRBlocks: 0
; VGPRBlocks: 0
; NumSGPRsForWavesPerEU: 1
; NumVGPRsForWavesPerEU: 1
; Occupancy: 16
; WaveLimiterHint : 0
; COMPUTE_PGM_RSRC2:SCRATCH_EN: 0
; COMPUTE_PGM_RSRC2:USER_SGPR: 2
; COMPUTE_PGM_RSRC2:TRAP_HANDLER: 0
; COMPUTE_PGM_RSRC2:TGID_X_EN: 1
; COMPUTE_PGM_RSRC2:TGID_Y_EN: 0
; COMPUTE_PGM_RSRC2:TGID_Z_EN: 0
; COMPUTE_PGM_RSRC2:TIDIG_COMP_CNT: 0
	.section	.text._ZN7rocprim17ROCPRIM_400000_NS6detail17trampoline_kernelINS0_14default_configENS1_25partition_config_selectorILNS1_17partition_subalgoE5EjNS0_10empty_typeEbEEZZNS1_14partition_implILS5_5ELb0ES3_mN6thrust23THRUST_200600_302600_NS6detail15normal_iteratorINSA_10device_ptrIjEEEEPS6_NSA_18transform_iteratorINSB_9not_fun_tI7is_trueIjEEENSC_INSD_IbEEEENSA_11use_defaultESO_EENS0_5tupleIJNSA_16discard_iteratorISO_EES6_EEENSQ_IJSG_SG_EEES6_PlJS6_EEE10hipError_tPvRmT3_T4_T5_T6_T7_T9_mT8_P12ihipStream_tbDpT10_ENKUlT_T0_E_clISt17integral_constantIbLb0EES1F_EEDaS1A_S1B_EUlS1A_E_NS1_11comp_targetILNS1_3genE0ELNS1_11target_archE4294967295ELNS1_3gpuE0ELNS1_3repE0EEENS1_30default_config_static_selectorELNS0_4arch9wavefront6targetE0EEEvT1_,"axG",@progbits,_ZN7rocprim17ROCPRIM_400000_NS6detail17trampoline_kernelINS0_14default_configENS1_25partition_config_selectorILNS1_17partition_subalgoE5EjNS0_10empty_typeEbEEZZNS1_14partition_implILS5_5ELb0ES3_mN6thrust23THRUST_200600_302600_NS6detail15normal_iteratorINSA_10device_ptrIjEEEEPS6_NSA_18transform_iteratorINSB_9not_fun_tI7is_trueIjEEENSC_INSD_IbEEEENSA_11use_defaultESO_EENS0_5tupleIJNSA_16discard_iteratorISO_EES6_EEENSQ_IJSG_SG_EEES6_PlJS6_EEE10hipError_tPvRmT3_T4_T5_T6_T7_T9_mT8_P12ihipStream_tbDpT10_ENKUlT_T0_E_clISt17integral_constantIbLb0EES1F_EEDaS1A_S1B_EUlS1A_E_NS1_11comp_targetILNS1_3genE0ELNS1_11target_archE4294967295ELNS1_3gpuE0ELNS1_3repE0EEENS1_30default_config_static_selectorELNS0_4arch9wavefront6targetE0EEEvT1_,comdat
	.protected	_ZN7rocprim17ROCPRIM_400000_NS6detail17trampoline_kernelINS0_14default_configENS1_25partition_config_selectorILNS1_17partition_subalgoE5EjNS0_10empty_typeEbEEZZNS1_14partition_implILS5_5ELb0ES3_mN6thrust23THRUST_200600_302600_NS6detail15normal_iteratorINSA_10device_ptrIjEEEEPS6_NSA_18transform_iteratorINSB_9not_fun_tI7is_trueIjEEENSC_INSD_IbEEEENSA_11use_defaultESO_EENS0_5tupleIJNSA_16discard_iteratorISO_EES6_EEENSQ_IJSG_SG_EEES6_PlJS6_EEE10hipError_tPvRmT3_T4_T5_T6_T7_T9_mT8_P12ihipStream_tbDpT10_ENKUlT_T0_E_clISt17integral_constantIbLb0EES1F_EEDaS1A_S1B_EUlS1A_E_NS1_11comp_targetILNS1_3genE0ELNS1_11target_archE4294967295ELNS1_3gpuE0ELNS1_3repE0EEENS1_30default_config_static_selectorELNS0_4arch9wavefront6targetE0EEEvT1_ ; -- Begin function _ZN7rocprim17ROCPRIM_400000_NS6detail17trampoline_kernelINS0_14default_configENS1_25partition_config_selectorILNS1_17partition_subalgoE5EjNS0_10empty_typeEbEEZZNS1_14partition_implILS5_5ELb0ES3_mN6thrust23THRUST_200600_302600_NS6detail15normal_iteratorINSA_10device_ptrIjEEEEPS6_NSA_18transform_iteratorINSB_9not_fun_tI7is_trueIjEEENSC_INSD_IbEEEENSA_11use_defaultESO_EENS0_5tupleIJNSA_16discard_iteratorISO_EES6_EEENSQ_IJSG_SG_EEES6_PlJS6_EEE10hipError_tPvRmT3_T4_T5_T6_T7_T9_mT8_P12ihipStream_tbDpT10_ENKUlT_T0_E_clISt17integral_constantIbLb0EES1F_EEDaS1A_S1B_EUlS1A_E_NS1_11comp_targetILNS1_3genE0ELNS1_11target_archE4294967295ELNS1_3gpuE0ELNS1_3repE0EEENS1_30default_config_static_selectorELNS0_4arch9wavefront6targetE0EEEvT1_
	.globl	_ZN7rocprim17ROCPRIM_400000_NS6detail17trampoline_kernelINS0_14default_configENS1_25partition_config_selectorILNS1_17partition_subalgoE5EjNS0_10empty_typeEbEEZZNS1_14partition_implILS5_5ELb0ES3_mN6thrust23THRUST_200600_302600_NS6detail15normal_iteratorINSA_10device_ptrIjEEEEPS6_NSA_18transform_iteratorINSB_9not_fun_tI7is_trueIjEEENSC_INSD_IbEEEENSA_11use_defaultESO_EENS0_5tupleIJNSA_16discard_iteratorISO_EES6_EEENSQ_IJSG_SG_EEES6_PlJS6_EEE10hipError_tPvRmT3_T4_T5_T6_T7_T9_mT8_P12ihipStream_tbDpT10_ENKUlT_T0_E_clISt17integral_constantIbLb0EES1F_EEDaS1A_S1B_EUlS1A_E_NS1_11comp_targetILNS1_3genE0ELNS1_11target_archE4294967295ELNS1_3gpuE0ELNS1_3repE0EEENS1_30default_config_static_selectorELNS0_4arch9wavefront6targetE0EEEvT1_
	.p2align	8
	.type	_ZN7rocprim17ROCPRIM_400000_NS6detail17trampoline_kernelINS0_14default_configENS1_25partition_config_selectorILNS1_17partition_subalgoE5EjNS0_10empty_typeEbEEZZNS1_14partition_implILS5_5ELb0ES3_mN6thrust23THRUST_200600_302600_NS6detail15normal_iteratorINSA_10device_ptrIjEEEEPS6_NSA_18transform_iteratorINSB_9not_fun_tI7is_trueIjEEENSC_INSD_IbEEEENSA_11use_defaultESO_EENS0_5tupleIJNSA_16discard_iteratorISO_EES6_EEENSQ_IJSG_SG_EEES6_PlJS6_EEE10hipError_tPvRmT3_T4_T5_T6_T7_T9_mT8_P12ihipStream_tbDpT10_ENKUlT_T0_E_clISt17integral_constantIbLb0EES1F_EEDaS1A_S1B_EUlS1A_E_NS1_11comp_targetILNS1_3genE0ELNS1_11target_archE4294967295ELNS1_3gpuE0ELNS1_3repE0EEENS1_30default_config_static_selectorELNS0_4arch9wavefront6targetE0EEEvT1_,@function
_ZN7rocprim17ROCPRIM_400000_NS6detail17trampoline_kernelINS0_14default_configENS1_25partition_config_selectorILNS1_17partition_subalgoE5EjNS0_10empty_typeEbEEZZNS1_14partition_implILS5_5ELb0ES3_mN6thrust23THRUST_200600_302600_NS6detail15normal_iteratorINSA_10device_ptrIjEEEEPS6_NSA_18transform_iteratorINSB_9not_fun_tI7is_trueIjEEENSC_INSD_IbEEEENSA_11use_defaultESO_EENS0_5tupleIJNSA_16discard_iteratorISO_EES6_EEENSQ_IJSG_SG_EEES6_PlJS6_EEE10hipError_tPvRmT3_T4_T5_T6_T7_T9_mT8_P12ihipStream_tbDpT10_ENKUlT_T0_E_clISt17integral_constantIbLb0EES1F_EEDaS1A_S1B_EUlS1A_E_NS1_11comp_targetILNS1_3genE0ELNS1_11target_archE4294967295ELNS1_3gpuE0ELNS1_3repE0EEENS1_30default_config_static_selectorELNS0_4arch9wavefront6targetE0EEEvT1_: ; @_ZN7rocprim17ROCPRIM_400000_NS6detail17trampoline_kernelINS0_14default_configENS1_25partition_config_selectorILNS1_17partition_subalgoE5EjNS0_10empty_typeEbEEZZNS1_14partition_implILS5_5ELb0ES3_mN6thrust23THRUST_200600_302600_NS6detail15normal_iteratorINSA_10device_ptrIjEEEEPS6_NSA_18transform_iteratorINSB_9not_fun_tI7is_trueIjEEENSC_INSD_IbEEEENSA_11use_defaultESO_EENS0_5tupleIJNSA_16discard_iteratorISO_EES6_EEENSQ_IJSG_SG_EEES6_PlJS6_EEE10hipError_tPvRmT3_T4_T5_T6_T7_T9_mT8_P12ihipStream_tbDpT10_ENKUlT_T0_E_clISt17integral_constantIbLb0EES1F_EEDaS1A_S1B_EUlS1A_E_NS1_11comp_targetILNS1_3genE0ELNS1_11target_archE4294967295ELNS1_3gpuE0ELNS1_3repE0EEENS1_30default_config_static_selectorELNS0_4arch9wavefront6targetE0EEEvT1_
; %bb.0:
	.section	.rodata,"a",@progbits
	.p2align	6, 0x0
	.amdhsa_kernel _ZN7rocprim17ROCPRIM_400000_NS6detail17trampoline_kernelINS0_14default_configENS1_25partition_config_selectorILNS1_17partition_subalgoE5EjNS0_10empty_typeEbEEZZNS1_14partition_implILS5_5ELb0ES3_mN6thrust23THRUST_200600_302600_NS6detail15normal_iteratorINSA_10device_ptrIjEEEEPS6_NSA_18transform_iteratorINSB_9not_fun_tI7is_trueIjEEENSC_INSD_IbEEEENSA_11use_defaultESO_EENS0_5tupleIJNSA_16discard_iteratorISO_EES6_EEENSQ_IJSG_SG_EEES6_PlJS6_EEE10hipError_tPvRmT3_T4_T5_T6_T7_T9_mT8_P12ihipStream_tbDpT10_ENKUlT_T0_E_clISt17integral_constantIbLb0EES1F_EEDaS1A_S1B_EUlS1A_E_NS1_11comp_targetILNS1_3genE0ELNS1_11target_archE4294967295ELNS1_3gpuE0ELNS1_3repE0EEENS1_30default_config_static_selectorELNS0_4arch9wavefront6targetE0EEEvT1_
		.amdhsa_group_segment_fixed_size 0
		.amdhsa_private_segment_fixed_size 0
		.amdhsa_kernarg_size 128
		.amdhsa_user_sgpr_count 2
		.amdhsa_user_sgpr_dispatch_ptr 0
		.amdhsa_user_sgpr_queue_ptr 0
		.amdhsa_user_sgpr_kernarg_segment_ptr 1
		.amdhsa_user_sgpr_dispatch_id 0
		.amdhsa_user_sgpr_private_segment_size 0
		.amdhsa_wavefront_size32 1
		.amdhsa_uses_dynamic_stack 0
		.amdhsa_enable_private_segment 0
		.amdhsa_system_sgpr_workgroup_id_x 1
		.amdhsa_system_sgpr_workgroup_id_y 0
		.amdhsa_system_sgpr_workgroup_id_z 0
		.amdhsa_system_sgpr_workgroup_info 0
		.amdhsa_system_vgpr_workitem_id 0
		.amdhsa_next_free_vgpr 1
		.amdhsa_next_free_sgpr 1
		.amdhsa_reserve_vcc 0
		.amdhsa_float_round_mode_32 0
		.amdhsa_float_round_mode_16_64 0
		.amdhsa_float_denorm_mode_32 3
		.amdhsa_float_denorm_mode_16_64 3
		.amdhsa_fp16_overflow 0
		.amdhsa_workgroup_processor_mode 1
		.amdhsa_memory_ordered 1
		.amdhsa_forward_progress 1
		.amdhsa_inst_pref_size 0
		.amdhsa_round_robin_scheduling 0
		.amdhsa_exception_fp_ieee_invalid_op 0
		.amdhsa_exception_fp_denorm_src 0
		.amdhsa_exception_fp_ieee_div_zero 0
		.amdhsa_exception_fp_ieee_overflow 0
		.amdhsa_exception_fp_ieee_underflow 0
		.amdhsa_exception_fp_ieee_inexact 0
		.amdhsa_exception_int_div_zero 0
	.end_amdhsa_kernel
	.section	.text._ZN7rocprim17ROCPRIM_400000_NS6detail17trampoline_kernelINS0_14default_configENS1_25partition_config_selectorILNS1_17partition_subalgoE5EjNS0_10empty_typeEbEEZZNS1_14partition_implILS5_5ELb0ES3_mN6thrust23THRUST_200600_302600_NS6detail15normal_iteratorINSA_10device_ptrIjEEEEPS6_NSA_18transform_iteratorINSB_9not_fun_tI7is_trueIjEEENSC_INSD_IbEEEENSA_11use_defaultESO_EENS0_5tupleIJNSA_16discard_iteratorISO_EES6_EEENSQ_IJSG_SG_EEES6_PlJS6_EEE10hipError_tPvRmT3_T4_T5_T6_T7_T9_mT8_P12ihipStream_tbDpT10_ENKUlT_T0_E_clISt17integral_constantIbLb0EES1F_EEDaS1A_S1B_EUlS1A_E_NS1_11comp_targetILNS1_3genE0ELNS1_11target_archE4294967295ELNS1_3gpuE0ELNS1_3repE0EEENS1_30default_config_static_selectorELNS0_4arch9wavefront6targetE0EEEvT1_,"axG",@progbits,_ZN7rocprim17ROCPRIM_400000_NS6detail17trampoline_kernelINS0_14default_configENS1_25partition_config_selectorILNS1_17partition_subalgoE5EjNS0_10empty_typeEbEEZZNS1_14partition_implILS5_5ELb0ES3_mN6thrust23THRUST_200600_302600_NS6detail15normal_iteratorINSA_10device_ptrIjEEEEPS6_NSA_18transform_iteratorINSB_9not_fun_tI7is_trueIjEEENSC_INSD_IbEEEENSA_11use_defaultESO_EENS0_5tupleIJNSA_16discard_iteratorISO_EES6_EEENSQ_IJSG_SG_EEES6_PlJS6_EEE10hipError_tPvRmT3_T4_T5_T6_T7_T9_mT8_P12ihipStream_tbDpT10_ENKUlT_T0_E_clISt17integral_constantIbLb0EES1F_EEDaS1A_S1B_EUlS1A_E_NS1_11comp_targetILNS1_3genE0ELNS1_11target_archE4294967295ELNS1_3gpuE0ELNS1_3repE0EEENS1_30default_config_static_selectorELNS0_4arch9wavefront6targetE0EEEvT1_,comdat
.Lfunc_end2685:
	.size	_ZN7rocprim17ROCPRIM_400000_NS6detail17trampoline_kernelINS0_14default_configENS1_25partition_config_selectorILNS1_17partition_subalgoE5EjNS0_10empty_typeEbEEZZNS1_14partition_implILS5_5ELb0ES3_mN6thrust23THRUST_200600_302600_NS6detail15normal_iteratorINSA_10device_ptrIjEEEEPS6_NSA_18transform_iteratorINSB_9not_fun_tI7is_trueIjEEENSC_INSD_IbEEEENSA_11use_defaultESO_EENS0_5tupleIJNSA_16discard_iteratorISO_EES6_EEENSQ_IJSG_SG_EEES6_PlJS6_EEE10hipError_tPvRmT3_T4_T5_T6_T7_T9_mT8_P12ihipStream_tbDpT10_ENKUlT_T0_E_clISt17integral_constantIbLb0EES1F_EEDaS1A_S1B_EUlS1A_E_NS1_11comp_targetILNS1_3genE0ELNS1_11target_archE4294967295ELNS1_3gpuE0ELNS1_3repE0EEENS1_30default_config_static_selectorELNS0_4arch9wavefront6targetE0EEEvT1_, .Lfunc_end2685-_ZN7rocprim17ROCPRIM_400000_NS6detail17trampoline_kernelINS0_14default_configENS1_25partition_config_selectorILNS1_17partition_subalgoE5EjNS0_10empty_typeEbEEZZNS1_14partition_implILS5_5ELb0ES3_mN6thrust23THRUST_200600_302600_NS6detail15normal_iteratorINSA_10device_ptrIjEEEEPS6_NSA_18transform_iteratorINSB_9not_fun_tI7is_trueIjEEENSC_INSD_IbEEEENSA_11use_defaultESO_EENS0_5tupleIJNSA_16discard_iteratorISO_EES6_EEENSQ_IJSG_SG_EEES6_PlJS6_EEE10hipError_tPvRmT3_T4_T5_T6_T7_T9_mT8_P12ihipStream_tbDpT10_ENKUlT_T0_E_clISt17integral_constantIbLb0EES1F_EEDaS1A_S1B_EUlS1A_E_NS1_11comp_targetILNS1_3genE0ELNS1_11target_archE4294967295ELNS1_3gpuE0ELNS1_3repE0EEENS1_30default_config_static_selectorELNS0_4arch9wavefront6targetE0EEEvT1_
                                        ; -- End function
	.set _ZN7rocprim17ROCPRIM_400000_NS6detail17trampoline_kernelINS0_14default_configENS1_25partition_config_selectorILNS1_17partition_subalgoE5EjNS0_10empty_typeEbEEZZNS1_14partition_implILS5_5ELb0ES3_mN6thrust23THRUST_200600_302600_NS6detail15normal_iteratorINSA_10device_ptrIjEEEEPS6_NSA_18transform_iteratorINSB_9not_fun_tI7is_trueIjEEENSC_INSD_IbEEEENSA_11use_defaultESO_EENS0_5tupleIJNSA_16discard_iteratorISO_EES6_EEENSQ_IJSG_SG_EEES6_PlJS6_EEE10hipError_tPvRmT3_T4_T5_T6_T7_T9_mT8_P12ihipStream_tbDpT10_ENKUlT_T0_E_clISt17integral_constantIbLb0EES1F_EEDaS1A_S1B_EUlS1A_E_NS1_11comp_targetILNS1_3genE0ELNS1_11target_archE4294967295ELNS1_3gpuE0ELNS1_3repE0EEENS1_30default_config_static_selectorELNS0_4arch9wavefront6targetE0EEEvT1_.num_vgpr, 0
	.set _ZN7rocprim17ROCPRIM_400000_NS6detail17trampoline_kernelINS0_14default_configENS1_25partition_config_selectorILNS1_17partition_subalgoE5EjNS0_10empty_typeEbEEZZNS1_14partition_implILS5_5ELb0ES3_mN6thrust23THRUST_200600_302600_NS6detail15normal_iteratorINSA_10device_ptrIjEEEEPS6_NSA_18transform_iteratorINSB_9not_fun_tI7is_trueIjEEENSC_INSD_IbEEEENSA_11use_defaultESO_EENS0_5tupleIJNSA_16discard_iteratorISO_EES6_EEENSQ_IJSG_SG_EEES6_PlJS6_EEE10hipError_tPvRmT3_T4_T5_T6_T7_T9_mT8_P12ihipStream_tbDpT10_ENKUlT_T0_E_clISt17integral_constantIbLb0EES1F_EEDaS1A_S1B_EUlS1A_E_NS1_11comp_targetILNS1_3genE0ELNS1_11target_archE4294967295ELNS1_3gpuE0ELNS1_3repE0EEENS1_30default_config_static_selectorELNS0_4arch9wavefront6targetE0EEEvT1_.num_agpr, 0
	.set _ZN7rocprim17ROCPRIM_400000_NS6detail17trampoline_kernelINS0_14default_configENS1_25partition_config_selectorILNS1_17partition_subalgoE5EjNS0_10empty_typeEbEEZZNS1_14partition_implILS5_5ELb0ES3_mN6thrust23THRUST_200600_302600_NS6detail15normal_iteratorINSA_10device_ptrIjEEEEPS6_NSA_18transform_iteratorINSB_9not_fun_tI7is_trueIjEEENSC_INSD_IbEEEENSA_11use_defaultESO_EENS0_5tupleIJNSA_16discard_iteratorISO_EES6_EEENSQ_IJSG_SG_EEES6_PlJS6_EEE10hipError_tPvRmT3_T4_T5_T6_T7_T9_mT8_P12ihipStream_tbDpT10_ENKUlT_T0_E_clISt17integral_constantIbLb0EES1F_EEDaS1A_S1B_EUlS1A_E_NS1_11comp_targetILNS1_3genE0ELNS1_11target_archE4294967295ELNS1_3gpuE0ELNS1_3repE0EEENS1_30default_config_static_selectorELNS0_4arch9wavefront6targetE0EEEvT1_.numbered_sgpr, 0
	.set _ZN7rocprim17ROCPRIM_400000_NS6detail17trampoline_kernelINS0_14default_configENS1_25partition_config_selectorILNS1_17partition_subalgoE5EjNS0_10empty_typeEbEEZZNS1_14partition_implILS5_5ELb0ES3_mN6thrust23THRUST_200600_302600_NS6detail15normal_iteratorINSA_10device_ptrIjEEEEPS6_NSA_18transform_iteratorINSB_9not_fun_tI7is_trueIjEEENSC_INSD_IbEEEENSA_11use_defaultESO_EENS0_5tupleIJNSA_16discard_iteratorISO_EES6_EEENSQ_IJSG_SG_EEES6_PlJS6_EEE10hipError_tPvRmT3_T4_T5_T6_T7_T9_mT8_P12ihipStream_tbDpT10_ENKUlT_T0_E_clISt17integral_constantIbLb0EES1F_EEDaS1A_S1B_EUlS1A_E_NS1_11comp_targetILNS1_3genE0ELNS1_11target_archE4294967295ELNS1_3gpuE0ELNS1_3repE0EEENS1_30default_config_static_selectorELNS0_4arch9wavefront6targetE0EEEvT1_.num_named_barrier, 0
	.set _ZN7rocprim17ROCPRIM_400000_NS6detail17trampoline_kernelINS0_14default_configENS1_25partition_config_selectorILNS1_17partition_subalgoE5EjNS0_10empty_typeEbEEZZNS1_14partition_implILS5_5ELb0ES3_mN6thrust23THRUST_200600_302600_NS6detail15normal_iteratorINSA_10device_ptrIjEEEEPS6_NSA_18transform_iteratorINSB_9not_fun_tI7is_trueIjEEENSC_INSD_IbEEEENSA_11use_defaultESO_EENS0_5tupleIJNSA_16discard_iteratorISO_EES6_EEENSQ_IJSG_SG_EEES6_PlJS6_EEE10hipError_tPvRmT3_T4_T5_T6_T7_T9_mT8_P12ihipStream_tbDpT10_ENKUlT_T0_E_clISt17integral_constantIbLb0EES1F_EEDaS1A_S1B_EUlS1A_E_NS1_11comp_targetILNS1_3genE0ELNS1_11target_archE4294967295ELNS1_3gpuE0ELNS1_3repE0EEENS1_30default_config_static_selectorELNS0_4arch9wavefront6targetE0EEEvT1_.private_seg_size, 0
	.set _ZN7rocprim17ROCPRIM_400000_NS6detail17trampoline_kernelINS0_14default_configENS1_25partition_config_selectorILNS1_17partition_subalgoE5EjNS0_10empty_typeEbEEZZNS1_14partition_implILS5_5ELb0ES3_mN6thrust23THRUST_200600_302600_NS6detail15normal_iteratorINSA_10device_ptrIjEEEEPS6_NSA_18transform_iteratorINSB_9not_fun_tI7is_trueIjEEENSC_INSD_IbEEEENSA_11use_defaultESO_EENS0_5tupleIJNSA_16discard_iteratorISO_EES6_EEENSQ_IJSG_SG_EEES6_PlJS6_EEE10hipError_tPvRmT3_T4_T5_T6_T7_T9_mT8_P12ihipStream_tbDpT10_ENKUlT_T0_E_clISt17integral_constantIbLb0EES1F_EEDaS1A_S1B_EUlS1A_E_NS1_11comp_targetILNS1_3genE0ELNS1_11target_archE4294967295ELNS1_3gpuE0ELNS1_3repE0EEENS1_30default_config_static_selectorELNS0_4arch9wavefront6targetE0EEEvT1_.uses_vcc, 0
	.set _ZN7rocprim17ROCPRIM_400000_NS6detail17trampoline_kernelINS0_14default_configENS1_25partition_config_selectorILNS1_17partition_subalgoE5EjNS0_10empty_typeEbEEZZNS1_14partition_implILS5_5ELb0ES3_mN6thrust23THRUST_200600_302600_NS6detail15normal_iteratorINSA_10device_ptrIjEEEEPS6_NSA_18transform_iteratorINSB_9not_fun_tI7is_trueIjEEENSC_INSD_IbEEEENSA_11use_defaultESO_EENS0_5tupleIJNSA_16discard_iteratorISO_EES6_EEENSQ_IJSG_SG_EEES6_PlJS6_EEE10hipError_tPvRmT3_T4_T5_T6_T7_T9_mT8_P12ihipStream_tbDpT10_ENKUlT_T0_E_clISt17integral_constantIbLb0EES1F_EEDaS1A_S1B_EUlS1A_E_NS1_11comp_targetILNS1_3genE0ELNS1_11target_archE4294967295ELNS1_3gpuE0ELNS1_3repE0EEENS1_30default_config_static_selectorELNS0_4arch9wavefront6targetE0EEEvT1_.uses_flat_scratch, 0
	.set _ZN7rocprim17ROCPRIM_400000_NS6detail17trampoline_kernelINS0_14default_configENS1_25partition_config_selectorILNS1_17partition_subalgoE5EjNS0_10empty_typeEbEEZZNS1_14partition_implILS5_5ELb0ES3_mN6thrust23THRUST_200600_302600_NS6detail15normal_iteratorINSA_10device_ptrIjEEEEPS6_NSA_18transform_iteratorINSB_9not_fun_tI7is_trueIjEEENSC_INSD_IbEEEENSA_11use_defaultESO_EENS0_5tupleIJNSA_16discard_iteratorISO_EES6_EEENSQ_IJSG_SG_EEES6_PlJS6_EEE10hipError_tPvRmT3_T4_T5_T6_T7_T9_mT8_P12ihipStream_tbDpT10_ENKUlT_T0_E_clISt17integral_constantIbLb0EES1F_EEDaS1A_S1B_EUlS1A_E_NS1_11comp_targetILNS1_3genE0ELNS1_11target_archE4294967295ELNS1_3gpuE0ELNS1_3repE0EEENS1_30default_config_static_selectorELNS0_4arch9wavefront6targetE0EEEvT1_.has_dyn_sized_stack, 0
	.set _ZN7rocprim17ROCPRIM_400000_NS6detail17trampoline_kernelINS0_14default_configENS1_25partition_config_selectorILNS1_17partition_subalgoE5EjNS0_10empty_typeEbEEZZNS1_14partition_implILS5_5ELb0ES3_mN6thrust23THRUST_200600_302600_NS6detail15normal_iteratorINSA_10device_ptrIjEEEEPS6_NSA_18transform_iteratorINSB_9not_fun_tI7is_trueIjEEENSC_INSD_IbEEEENSA_11use_defaultESO_EENS0_5tupleIJNSA_16discard_iteratorISO_EES6_EEENSQ_IJSG_SG_EEES6_PlJS6_EEE10hipError_tPvRmT3_T4_T5_T6_T7_T9_mT8_P12ihipStream_tbDpT10_ENKUlT_T0_E_clISt17integral_constantIbLb0EES1F_EEDaS1A_S1B_EUlS1A_E_NS1_11comp_targetILNS1_3genE0ELNS1_11target_archE4294967295ELNS1_3gpuE0ELNS1_3repE0EEENS1_30default_config_static_selectorELNS0_4arch9wavefront6targetE0EEEvT1_.has_recursion, 0
	.set _ZN7rocprim17ROCPRIM_400000_NS6detail17trampoline_kernelINS0_14default_configENS1_25partition_config_selectorILNS1_17partition_subalgoE5EjNS0_10empty_typeEbEEZZNS1_14partition_implILS5_5ELb0ES3_mN6thrust23THRUST_200600_302600_NS6detail15normal_iteratorINSA_10device_ptrIjEEEEPS6_NSA_18transform_iteratorINSB_9not_fun_tI7is_trueIjEEENSC_INSD_IbEEEENSA_11use_defaultESO_EENS0_5tupleIJNSA_16discard_iteratorISO_EES6_EEENSQ_IJSG_SG_EEES6_PlJS6_EEE10hipError_tPvRmT3_T4_T5_T6_T7_T9_mT8_P12ihipStream_tbDpT10_ENKUlT_T0_E_clISt17integral_constantIbLb0EES1F_EEDaS1A_S1B_EUlS1A_E_NS1_11comp_targetILNS1_3genE0ELNS1_11target_archE4294967295ELNS1_3gpuE0ELNS1_3repE0EEENS1_30default_config_static_selectorELNS0_4arch9wavefront6targetE0EEEvT1_.has_indirect_call, 0
	.section	.AMDGPU.csdata,"",@progbits
; Kernel info:
; codeLenInByte = 0
; TotalNumSgprs: 0
; NumVgprs: 0
; ScratchSize: 0
; MemoryBound: 0
; FloatMode: 240
; IeeeMode: 1
; LDSByteSize: 0 bytes/workgroup (compile time only)
; SGPRBlocks: 0
; VGPRBlocks: 0
; NumSGPRsForWavesPerEU: 1
; NumVGPRsForWavesPerEU: 1
; Occupancy: 16
; WaveLimiterHint : 0
; COMPUTE_PGM_RSRC2:SCRATCH_EN: 0
; COMPUTE_PGM_RSRC2:USER_SGPR: 2
; COMPUTE_PGM_RSRC2:TRAP_HANDLER: 0
; COMPUTE_PGM_RSRC2:TGID_X_EN: 1
; COMPUTE_PGM_RSRC2:TGID_Y_EN: 0
; COMPUTE_PGM_RSRC2:TGID_Z_EN: 0
; COMPUTE_PGM_RSRC2:TIDIG_COMP_CNT: 0
	.section	.text._ZN7rocprim17ROCPRIM_400000_NS6detail17trampoline_kernelINS0_14default_configENS1_25partition_config_selectorILNS1_17partition_subalgoE5EjNS0_10empty_typeEbEEZZNS1_14partition_implILS5_5ELb0ES3_mN6thrust23THRUST_200600_302600_NS6detail15normal_iteratorINSA_10device_ptrIjEEEEPS6_NSA_18transform_iteratorINSB_9not_fun_tI7is_trueIjEEENSC_INSD_IbEEEENSA_11use_defaultESO_EENS0_5tupleIJNSA_16discard_iteratorISO_EES6_EEENSQ_IJSG_SG_EEES6_PlJS6_EEE10hipError_tPvRmT3_T4_T5_T6_T7_T9_mT8_P12ihipStream_tbDpT10_ENKUlT_T0_E_clISt17integral_constantIbLb0EES1F_EEDaS1A_S1B_EUlS1A_E_NS1_11comp_targetILNS1_3genE5ELNS1_11target_archE942ELNS1_3gpuE9ELNS1_3repE0EEENS1_30default_config_static_selectorELNS0_4arch9wavefront6targetE0EEEvT1_,"axG",@progbits,_ZN7rocprim17ROCPRIM_400000_NS6detail17trampoline_kernelINS0_14default_configENS1_25partition_config_selectorILNS1_17partition_subalgoE5EjNS0_10empty_typeEbEEZZNS1_14partition_implILS5_5ELb0ES3_mN6thrust23THRUST_200600_302600_NS6detail15normal_iteratorINSA_10device_ptrIjEEEEPS6_NSA_18transform_iteratorINSB_9not_fun_tI7is_trueIjEEENSC_INSD_IbEEEENSA_11use_defaultESO_EENS0_5tupleIJNSA_16discard_iteratorISO_EES6_EEENSQ_IJSG_SG_EEES6_PlJS6_EEE10hipError_tPvRmT3_T4_T5_T6_T7_T9_mT8_P12ihipStream_tbDpT10_ENKUlT_T0_E_clISt17integral_constantIbLb0EES1F_EEDaS1A_S1B_EUlS1A_E_NS1_11comp_targetILNS1_3genE5ELNS1_11target_archE942ELNS1_3gpuE9ELNS1_3repE0EEENS1_30default_config_static_selectorELNS0_4arch9wavefront6targetE0EEEvT1_,comdat
	.protected	_ZN7rocprim17ROCPRIM_400000_NS6detail17trampoline_kernelINS0_14default_configENS1_25partition_config_selectorILNS1_17partition_subalgoE5EjNS0_10empty_typeEbEEZZNS1_14partition_implILS5_5ELb0ES3_mN6thrust23THRUST_200600_302600_NS6detail15normal_iteratorINSA_10device_ptrIjEEEEPS6_NSA_18transform_iteratorINSB_9not_fun_tI7is_trueIjEEENSC_INSD_IbEEEENSA_11use_defaultESO_EENS0_5tupleIJNSA_16discard_iteratorISO_EES6_EEENSQ_IJSG_SG_EEES6_PlJS6_EEE10hipError_tPvRmT3_T4_T5_T6_T7_T9_mT8_P12ihipStream_tbDpT10_ENKUlT_T0_E_clISt17integral_constantIbLb0EES1F_EEDaS1A_S1B_EUlS1A_E_NS1_11comp_targetILNS1_3genE5ELNS1_11target_archE942ELNS1_3gpuE9ELNS1_3repE0EEENS1_30default_config_static_selectorELNS0_4arch9wavefront6targetE0EEEvT1_ ; -- Begin function _ZN7rocprim17ROCPRIM_400000_NS6detail17trampoline_kernelINS0_14default_configENS1_25partition_config_selectorILNS1_17partition_subalgoE5EjNS0_10empty_typeEbEEZZNS1_14partition_implILS5_5ELb0ES3_mN6thrust23THRUST_200600_302600_NS6detail15normal_iteratorINSA_10device_ptrIjEEEEPS6_NSA_18transform_iteratorINSB_9not_fun_tI7is_trueIjEEENSC_INSD_IbEEEENSA_11use_defaultESO_EENS0_5tupleIJNSA_16discard_iteratorISO_EES6_EEENSQ_IJSG_SG_EEES6_PlJS6_EEE10hipError_tPvRmT3_T4_T5_T6_T7_T9_mT8_P12ihipStream_tbDpT10_ENKUlT_T0_E_clISt17integral_constantIbLb0EES1F_EEDaS1A_S1B_EUlS1A_E_NS1_11comp_targetILNS1_3genE5ELNS1_11target_archE942ELNS1_3gpuE9ELNS1_3repE0EEENS1_30default_config_static_selectorELNS0_4arch9wavefront6targetE0EEEvT1_
	.globl	_ZN7rocprim17ROCPRIM_400000_NS6detail17trampoline_kernelINS0_14default_configENS1_25partition_config_selectorILNS1_17partition_subalgoE5EjNS0_10empty_typeEbEEZZNS1_14partition_implILS5_5ELb0ES3_mN6thrust23THRUST_200600_302600_NS6detail15normal_iteratorINSA_10device_ptrIjEEEEPS6_NSA_18transform_iteratorINSB_9not_fun_tI7is_trueIjEEENSC_INSD_IbEEEENSA_11use_defaultESO_EENS0_5tupleIJNSA_16discard_iteratorISO_EES6_EEENSQ_IJSG_SG_EEES6_PlJS6_EEE10hipError_tPvRmT3_T4_T5_T6_T7_T9_mT8_P12ihipStream_tbDpT10_ENKUlT_T0_E_clISt17integral_constantIbLb0EES1F_EEDaS1A_S1B_EUlS1A_E_NS1_11comp_targetILNS1_3genE5ELNS1_11target_archE942ELNS1_3gpuE9ELNS1_3repE0EEENS1_30default_config_static_selectorELNS0_4arch9wavefront6targetE0EEEvT1_
	.p2align	8
	.type	_ZN7rocprim17ROCPRIM_400000_NS6detail17trampoline_kernelINS0_14default_configENS1_25partition_config_selectorILNS1_17partition_subalgoE5EjNS0_10empty_typeEbEEZZNS1_14partition_implILS5_5ELb0ES3_mN6thrust23THRUST_200600_302600_NS6detail15normal_iteratorINSA_10device_ptrIjEEEEPS6_NSA_18transform_iteratorINSB_9not_fun_tI7is_trueIjEEENSC_INSD_IbEEEENSA_11use_defaultESO_EENS0_5tupleIJNSA_16discard_iteratorISO_EES6_EEENSQ_IJSG_SG_EEES6_PlJS6_EEE10hipError_tPvRmT3_T4_T5_T6_T7_T9_mT8_P12ihipStream_tbDpT10_ENKUlT_T0_E_clISt17integral_constantIbLb0EES1F_EEDaS1A_S1B_EUlS1A_E_NS1_11comp_targetILNS1_3genE5ELNS1_11target_archE942ELNS1_3gpuE9ELNS1_3repE0EEENS1_30default_config_static_selectorELNS0_4arch9wavefront6targetE0EEEvT1_,@function
_ZN7rocprim17ROCPRIM_400000_NS6detail17trampoline_kernelINS0_14default_configENS1_25partition_config_selectorILNS1_17partition_subalgoE5EjNS0_10empty_typeEbEEZZNS1_14partition_implILS5_5ELb0ES3_mN6thrust23THRUST_200600_302600_NS6detail15normal_iteratorINSA_10device_ptrIjEEEEPS6_NSA_18transform_iteratorINSB_9not_fun_tI7is_trueIjEEENSC_INSD_IbEEEENSA_11use_defaultESO_EENS0_5tupleIJNSA_16discard_iteratorISO_EES6_EEENSQ_IJSG_SG_EEES6_PlJS6_EEE10hipError_tPvRmT3_T4_T5_T6_T7_T9_mT8_P12ihipStream_tbDpT10_ENKUlT_T0_E_clISt17integral_constantIbLb0EES1F_EEDaS1A_S1B_EUlS1A_E_NS1_11comp_targetILNS1_3genE5ELNS1_11target_archE942ELNS1_3gpuE9ELNS1_3repE0EEENS1_30default_config_static_selectorELNS0_4arch9wavefront6targetE0EEEvT1_: ; @_ZN7rocprim17ROCPRIM_400000_NS6detail17trampoline_kernelINS0_14default_configENS1_25partition_config_selectorILNS1_17partition_subalgoE5EjNS0_10empty_typeEbEEZZNS1_14partition_implILS5_5ELb0ES3_mN6thrust23THRUST_200600_302600_NS6detail15normal_iteratorINSA_10device_ptrIjEEEEPS6_NSA_18transform_iteratorINSB_9not_fun_tI7is_trueIjEEENSC_INSD_IbEEEENSA_11use_defaultESO_EENS0_5tupleIJNSA_16discard_iteratorISO_EES6_EEENSQ_IJSG_SG_EEES6_PlJS6_EEE10hipError_tPvRmT3_T4_T5_T6_T7_T9_mT8_P12ihipStream_tbDpT10_ENKUlT_T0_E_clISt17integral_constantIbLb0EES1F_EEDaS1A_S1B_EUlS1A_E_NS1_11comp_targetILNS1_3genE5ELNS1_11target_archE942ELNS1_3gpuE9ELNS1_3repE0EEENS1_30default_config_static_selectorELNS0_4arch9wavefront6targetE0EEEvT1_
; %bb.0:
	.section	.rodata,"a",@progbits
	.p2align	6, 0x0
	.amdhsa_kernel _ZN7rocprim17ROCPRIM_400000_NS6detail17trampoline_kernelINS0_14default_configENS1_25partition_config_selectorILNS1_17partition_subalgoE5EjNS0_10empty_typeEbEEZZNS1_14partition_implILS5_5ELb0ES3_mN6thrust23THRUST_200600_302600_NS6detail15normal_iteratorINSA_10device_ptrIjEEEEPS6_NSA_18transform_iteratorINSB_9not_fun_tI7is_trueIjEEENSC_INSD_IbEEEENSA_11use_defaultESO_EENS0_5tupleIJNSA_16discard_iteratorISO_EES6_EEENSQ_IJSG_SG_EEES6_PlJS6_EEE10hipError_tPvRmT3_T4_T5_T6_T7_T9_mT8_P12ihipStream_tbDpT10_ENKUlT_T0_E_clISt17integral_constantIbLb0EES1F_EEDaS1A_S1B_EUlS1A_E_NS1_11comp_targetILNS1_3genE5ELNS1_11target_archE942ELNS1_3gpuE9ELNS1_3repE0EEENS1_30default_config_static_selectorELNS0_4arch9wavefront6targetE0EEEvT1_
		.amdhsa_group_segment_fixed_size 0
		.amdhsa_private_segment_fixed_size 0
		.amdhsa_kernarg_size 128
		.amdhsa_user_sgpr_count 2
		.amdhsa_user_sgpr_dispatch_ptr 0
		.amdhsa_user_sgpr_queue_ptr 0
		.amdhsa_user_sgpr_kernarg_segment_ptr 1
		.amdhsa_user_sgpr_dispatch_id 0
		.amdhsa_user_sgpr_private_segment_size 0
		.amdhsa_wavefront_size32 1
		.amdhsa_uses_dynamic_stack 0
		.amdhsa_enable_private_segment 0
		.amdhsa_system_sgpr_workgroup_id_x 1
		.amdhsa_system_sgpr_workgroup_id_y 0
		.amdhsa_system_sgpr_workgroup_id_z 0
		.amdhsa_system_sgpr_workgroup_info 0
		.amdhsa_system_vgpr_workitem_id 0
		.amdhsa_next_free_vgpr 1
		.amdhsa_next_free_sgpr 1
		.amdhsa_reserve_vcc 0
		.amdhsa_float_round_mode_32 0
		.amdhsa_float_round_mode_16_64 0
		.amdhsa_float_denorm_mode_32 3
		.amdhsa_float_denorm_mode_16_64 3
		.amdhsa_fp16_overflow 0
		.amdhsa_workgroup_processor_mode 1
		.amdhsa_memory_ordered 1
		.amdhsa_forward_progress 1
		.amdhsa_inst_pref_size 0
		.amdhsa_round_robin_scheduling 0
		.amdhsa_exception_fp_ieee_invalid_op 0
		.amdhsa_exception_fp_denorm_src 0
		.amdhsa_exception_fp_ieee_div_zero 0
		.amdhsa_exception_fp_ieee_overflow 0
		.amdhsa_exception_fp_ieee_underflow 0
		.amdhsa_exception_fp_ieee_inexact 0
		.amdhsa_exception_int_div_zero 0
	.end_amdhsa_kernel
	.section	.text._ZN7rocprim17ROCPRIM_400000_NS6detail17trampoline_kernelINS0_14default_configENS1_25partition_config_selectorILNS1_17partition_subalgoE5EjNS0_10empty_typeEbEEZZNS1_14partition_implILS5_5ELb0ES3_mN6thrust23THRUST_200600_302600_NS6detail15normal_iteratorINSA_10device_ptrIjEEEEPS6_NSA_18transform_iteratorINSB_9not_fun_tI7is_trueIjEEENSC_INSD_IbEEEENSA_11use_defaultESO_EENS0_5tupleIJNSA_16discard_iteratorISO_EES6_EEENSQ_IJSG_SG_EEES6_PlJS6_EEE10hipError_tPvRmT3_T4_T5_T6_T7_T9_mT8_P12ihipStream_tbDpT10_ENKUlT_T0_E_clISt17integral_constantIbLb0EES1F_EEDaS1A_S1B_EUlS1A_E_NS1_11comp_targetILNS1_3genE5ELNS1_11target_archE942ELNS1_3gpuE9ELNS1_3repE0EEENS1_30default_config_static_selectorELNS0_4arch9wavefront6targetE0EEEvT1_,"axG",@progbits,_ZN7rocprim17ROCPRIM_400000_NS6detail17trampoline_kernelINS0_14default_configENS1_25partition_config_selectorILNS1_17partition_subalgoE5EjNS0_10empty_typeEbEEZZNS1_14partition_implILS5_5ELb0ES3_mN6thrust23THRUST_200600_302600_NS6detail15normal_iteratorINSA_10device_ptrIjEEEEPS6_NSA_18transform_iteratorINSB_9not_fun_tI7is_trueIjEEENSC_INSD_IbEEEENSA_11use_defaultESO_EENS0_5tupleIJNSA_16discard_iteratorISO_EES6_EEENSQ_IJSG_SG_EEES6_PlJS6_EEE10hipError_tPvRmT3_T4_T5_T6_T7_T9_mT8_P12ihipStream_tbDpT10_ENKUlT_T0_E_clISt17integral_constantIbLb0EES1F_EEDaS1A_S1B_EUlS1A_E_NS1_11comp_targetILNS1_3genE5ELNS1_11target_archE942ELNS1_3gpuE9ELNS1_3repE0EEENS1_30default_config_static_selectorELNS0_4arch9wavefront6targetE0EEEvT1_,comdat
.Lfunc_end2686:
	.size	_ZN7rocprim17ROCPRIM_400000_NS6detail17trampoline_kernelINS0_14default_configENS1_25partition_config_selectorILNS1_17partition_subalgoE5EjNS0_10empty_typeEbEEZZNS1_14partition_implILS5_5ELb0ES3_mN6thrust23THRUST_200600_302600_NS6detail15normal_iteratorINSA_10device_ptrIjEEEEPS6_NSA_18transform_iteratorINSB_9not_fun_tI7is_trueIjEEENSC_INSD_IbEEEENSA_11use_defaultESO_EENS0_5tupleIJNSA_16discard_iteratorISO_EES6_EEENSQ_IJSG_SG_EEES6_PlJS6_EEE10hipError_tPvRmT3_T4_T5_T6_T7_T9_mT8_P12ihipStream_tbDpT10_ENKUlT_T0_E_clISt17integral_constantIbLb0EES1F_EEDaS1A_S1B_EUlS1A_E_NS1_11comp_targetILNS1_3genE5ELNS1_11target_archE942ELNS1_3gpuE9ELNS1_3repE0EEENS1_30default_config_static_selectorELNS0_4arch9wavefront6targetE0EEEvT1_, .Lfunc_end2686-_ZN7rocprim17ROCPRIM_400000_NS6detail17trampoline_kernelINS0_14default_configENS1_25partition_config_selectorILNS1_17partition_subalgoE5EjNS0_10empty_typeEbEEZZNS1_14partition_implILS5_5ELb0ES3_mN6thrust23THRUST_200600_302600_NS6detail15normal_iteratorINSA_10device_ptrIjEEEEPS6_NSA_18transform_iteratorINSB_9not_fun_tI7is_trueIjEEENSC_INSD_IbEEEENSA_11use_defaultESO_EENS0_5tupleIJNSA_16discard_iteratorISO_EES6_EEENSQ_IJSG_SG_EEES6_PlJS6_EEE10hipError_tPvRmT3_T4_T5_T6_T7_T9_mT8_P12ihipStream_tbDpT10_ENKUlT_T0_E_clISt17integral_constantIbLb0EES1F_EEDaS1A_S1B_EUlS1A_E_NS1_11comp_targetILNS1_3genE5ELNS1_11target_archE942ELNS1_3gpuE9ELNS1_3repE0EEENS1_30default_config_static_selectorELNS0_4arch9wavefront6targetE0EEEvT1_
                                        ; -- End function
	.set _ZN7rocprim17ROCPRIM_400000_NS6detail17trampoline_kernelINS0_14default_configENS1_25partition_config_selectorILNS1_17partition_subalgoE5EjNS0_10empty_typeEbEEZZNS1_14partition_implILS5_5ELb0ES3_mN6thrust23THRUST_200600_302600_NS6detail15normal_iteratorINSA_10device_ptrIjEEEEPS6_NSA_18transform_iteratorINSB_9not_fun_tI7is_trueIjEEENSC_INSD_IbEEEENSA_11use_defaultESO_EENS0_5tupleIJNSA_16discard_iteratorISO_EES6_EEENSQ_IJSG_SG_EEES6_PlJS6_EEE10hipError_tPvRmT3_T4_T5_T6_T7_T9_mT8_P12ihipStream_tbDpT10_ENKUlT_T0_E_clISt17integral_constantIbLb0EES1F_EEDaS1A_S1B_EUlS1A_E_NS1_11comp_targetILNS1_3genE5ELNS1_11target_archE942ELNS1_3gpuE9ELNS1_3repE0EEENS1_30default_config_static_selectorELNS0_4arch9wavefront6targetE0EEEvT1_.num_vgpr, 0
	.set _ZN7rocprim17ROCPRIM_400000_NS6detail17trampoline_kernelINS0_14default_configENS1_25partition_config_selectorILNS1_17partition_subalgoE5EjNS0_10empty_typeEbEEZZNS1_14partition_implILS5_5ELb0ES3_mN6thrust23THRUST_200600_302600_NS6detail15normal_iteratorINSA_10device_ptrIjEEEEPS6_NSA_18transform_iteratorINSB_9not_fun_tI7is_trueIjEEENSC_INSD_IbEEEENSA_11use_defaultESO_EENS0_5tupleIJNSA_16discard_iteratorISO_EES6_EEENSQ_IJSG_SG_EEES6_PlJS6_EEE10hipError_tPvRmT3_T4_T5_T6_T7_T9_mT8_P12ihipStream_tbDpT10_ENKUlT_T0_E_clISt17integral_constantIbLb0EES1F_EEDaS1A_S1B_EUlS1A_E_NS1_11comp_targetILNS1_3genE5ELNS1_11target_archE942ELNS1_3gpuE9ELNS1_3repE0EEENS1_30default_config_static_selectorELNS0_4arch9wavefront6targetE0EEEvT1_.num_agpr, 0
	.set _ZN7rocprim17ROCPRIM_400000_NS6detail17trampoline_kernelINS0_14default_configENS1_25partition_config_selectorILNS1_17partition_subalgoE5EjNS0_10empty_typeEbEEZZNS1_14partition_implILS5_5ELb0ES3_mN6thrust23THRUST_200600_302600_NS6detail15normal_iteratorINSA_10device_ptrIjEEEEPS6_NSA_18transform_iteratorINSB_9not_fun_tI7is_trueIjEEENSC_INSD_IbEEEENSA_11use_defaultESO_EENS0_5tupleIJNSA_16discard_iteratorISO_EES6_EEENSQ_IJSG_SG_EEES6_PlJS6_EEE10hipError_tPvRmT3_T4_T5_T6_T7_T9_mT8_P12ihipStream_tbDpT10_ENKUlT_T0_E_clISt17integral_constantIbLb0EES1F_EEDaS1A_S1B_EUlS1A_E_NS1_11comp_targetILNS1_3genE5ELNS1_11target_archE942ELNS1_3gpuE9ELNS1_3repE0EEENS1_30default_config_static_selectorELNS0_4arch9wavefront6targetE0EEEvT1_.numbered_sgpr, 0
	.set _ZN7rocprim17ROCPRIM_400000_NS6detail17trampoline_kernelINS0_14default_configENS1_25partition_config_selectorILNS1_17partition_subalgoE5EjNS0_10empty_typeEbEEZZNS1_14partition_implILS5_5ELb0ES3_mN6thrust23THRUST_200600_302600_NS6detail15normal_iteratorINSA_10device_ptrIjEEEEPS6_NSA_18transform_iteratorINSB_9not_fun_tI7is_trueIjEEENSC_INSD_IbEEEENSA_11use_defaultESO_EENS0_5tupleIJNSA_16discard_iteratorISO_EES6_EEENSQ_IJSG_SG_EEES6_PlJS6_EEE10hipError_tPvRmT3_T4_T5_T6_T7_T9_mT8_P12ihipStream_tbDpT10_ENKUlT_T0_E_clISt17integral_constantIbLb0EES1F_EEDaS1A_S1B_EUlS1A_E_NS1_11comp_targetILNS1_3genE5ELNS1_11target_archE942ELNS1_3gpuE9ELNS1_3repE0EEENS1_30default_config_static_selectorELNS0_4arch9wavefront6targetE0EEEvT1_.num_named_barrier, 0
	.set _ZN7rocprim17ROCPRIM_400000_NS6detail17trampoline_kernelINS0_14default_configENS1_25partition_config_selectorILNS1_17partition_subalgoE5EjNS0_10empty_typeEbEEZZNS1_14partition_implILS5_5ELb0ES3_mN6thrust23THRUST_200600_302600_NS6detail15normal_iteratorINSA_10device_ptrIjEEEEPS6_NSA_18transform_iteratorINSB_9not_fun_tI7is_trueIjEEENSC_INSD_IbEEEENSA_11use_defaultESO_EENS0_5tupleIJNSA_16discard_iteratorISO_EES6_EEENSQ_IJSG_SG_EEES6_PlJS6_EEE10hipError_tPvRmT3_T4_T5_T6_T7_T9_mT8_P12ihipStream_tbDpT10_ENKUlT_T0_E_clISt17integral_constantIbLb0EES1F_EEDaS1A_S1B_EUlS1A_E_NS1_11comp_targetILNS1_3genE5ELNS1_11target_archE942ELNS1_3gpuE9ELNS1_3repE0EEENS1_30default_config_static_selectorELNS0_4arch9wavefront6targetE0EEEvT1_.private_seg_size, 0
	.set _ZN7rocprim17ROCPRIM_400000_NS6detail17trampoline_kernelINS0_14default_configENS1_25partition_config_selectorILNS1_17partition_subalgoE5EjNS0_10empty_typeEbEEZZNS1_14partition_implILS5_5ELb0ES3_mN6thrust23THRUST_200600_302600_NS6detail15normal_iteratorINSA_10device_ptrIjEEEEPS6_NSA_18transform_iteratorINSB_9not_fun_tI7is_trueIjEEENSC_INSD_IbEEEENSA_11use_defaultESO_EENS0_5tupleIJNSA_16discard_iteratorISO_EES6_EEENSQ_IJSG_SG_EEES6_PlJS6_EEE10hipError_tPvRmT3_T4_T5_T6_T7_T9_mT8_P12ihipStream_tbDpT10_ENKUlT_T0_E_clISt17integral_constantIbLb0EES1F_EEDaS1A_S1B_EUlS1A_E_NS1_11comp_targetILNS1_3genE5ELNS1_11target_archE942ELNS1_3gpuE9ELNS1_3repE0EEENS1_30default_config_static_selectorELNS0_4arch9wavefront6targetE0EEEvT1_.uses_vcc, 0
	.set _ZN7rocprim17ROCPRIM_400000_NS6detail17trampoline_kernelINS0_14default_configENS1_25partition_config_selectorILNS1_17partition_subalgoE5EjNS0_10empty_typeEbEEZZNS1_14partition_implILS5_5ELb0ES3_mN6thrust23THRUST_200600_302600_NS6detail15normal_iteratorINSA_10device_ptrIjEEEEPS6_NSA_18transform_iteratorINSB_9not_fun_tI7is_trueIjEEENSC_INSD_IbEEEENSA_11use_defaultESO_EENS0_5tupleIJNSA_16discard_iteratorISO_EES6_EEENSQ_IJSG_SG_EEES6_PlJS6_EEE10hipError_tPvRmT3_T4_T5_T6_T7_T9_mT8_P12ihipStream_tbDpT10_ENKUlT_T0_E_clISt17integral_constantIbLb0EES1F_EEDaS1A_S1B_EUlS1A_E_NS1_11comp_targetILNS1_3genE5ELNS1_11target_archE942ELNS1_3gpuE9ELNS1_3repE0EEENS1_30default_config_static_selectorELNS0_4arch9wavefront6targetE0EEEvT1_.uses_flat_scratch, 0
	.set _ZN7rocprim17ROCPRIM_400000_NS6detail17trampoline_kernelINS0_14default_configENS1_25partition_config_selectorILNS1_17partition_subalgoE5EjNS0_10empty_typeEbEEZZNS1_14partition_implILS5_5ELb0ES3_mN6thrust23THRUST_200600_302600_NS6detail15normal_iteratorINSA_10device_ptrIjEEEEPS6_NSA_18transform_iteratorINSB_9not_fun_tI7is_trueIjEEENSC_INSD_IbEEEENSA_11use_defaultESO_EENS0_5tupleIJNSA_16discard_iteratorISO_EES6_EEENSQ_IJSG_SG_EEES6_PlJS6_EEE10hipError_tPvRmT3_T4_T5_T6_T7_T9_mT8_P12ihipStream_tbDpT10_ENKUlT_T0_E_clISt17integral_constantIbLb0EES1F_EEDaS1A_S1B_EUlS1A_E_NS1_11comp_targetILNS1_3genE5ELNS1_11target_archE942ELNS1_3gpuE9ELNS1_3repE0EEENS1_30default_config_static_selectorELNS0_4arch9wavefront6targetE0EEEvT1_.has_dyn_sized_stack, 0
	.set _ZN7rocprim17ROCPRIM_400000_NS6detail17trampoline_kernelINS0_14default_configENS1_25partition_config_selectorILNS1_17partition_subalgoE5EjNS0_10empty_typeEbEEZZNS1_14partition_implILS5_5ELb0ES3_mN6thrust23THRUST_200600_302600_NS6detail15normal_iteratorINSA_10device_ptrIjEEEEPS6_NSA_18transform_iteratorINSB_9not_fun_tI7is_trueIjEEENSC_INSD_IbEEEENSA_11use_defaultESO_EENS0_5tupleIJNSA_16discard_iteratorISO_EES6_EEENSQ_IJSG_SG_EEES6_PlJS6_EEE10hipError_tPvRmT3_T4_T5_T6_T7_T9_mT8_P12ihipStream_tbDpT10_ENKUlT_T0_E_clISt17integral_constantIbLb0EES1F_EEDaS1A_S1B_EUlS1A_E_NS1_11comp_targetILNS1_3genE5ELNS1_11target_archE942ELNS1_3gpuE9ELNS1_3repE0EEENS1_30default_config_static_selectorELNS0_4arch9wavefront6targetE0EEEvT1_.has_recursion, 0
	.set _ZN7rocprim17ROCPRIM_400000_NS6detail17trampoline_kernelINS0_14default_configENS1_25partition_config_selectorILNS1_17partition_subalgoE5EjNS0_10empty_typeEbEEZZNS1_14partition_implILS5_5ELb0ES3_mN6thrust23THRUST_200600_302600_NS6detail15normal_iteratorINSA_10device_ptrIjEEEEPS6_NSA_18transform_iteratorINSB_9not_fun_tI7is_trueIjEEENSC_INSD_IbEEEENSA_11use_defaultESO_EENS0_5tupleIJNSA_16discard_iteratorISO_EES6_EEENSQ_IJSG_SG_EEES6_PlJS6_EEE10hipError_tPvRmT3_T4_T5_T6_T7_T9_mT8_P12ihipStream_tbDpT10_ENKUlT_T0_E_clISt17integral_constantIbLb0EES1F_EEDaS1A_S1B_EUlS1A_E_NS1_11comp_targetILNS1_3genE5ELNS1_11target_archE942ELNS1_3gpuE9ELNS1_3repE0EEENS1_30default_config_static_selectorELNS0_4arch9wavefront6targetE0EEEvT1_.has_indirect_call, 0
	.section	.AMDGPU.csdata,"",@progbits
; Kernel info:
; codeLenInByte = 0
; TotalNumSgprs: 0
; NumVgprs: 0
; ScratchSize: 0
; MemoryBound: 0
; FloatMode: 240
; IeeeMode: 1
; LDSByteSize: 0 bytes/workgroup (compile time only)
; SGPRBlocks: 0
; VGPRBlocks: 0
; NumSGPRsForWavesPerEU: 1
; NumVGPRsForWavesPerEU: 1
; Occupancy: 16
; WaveLimiterHint : 0
; COMPUTE_PGM_RSRC2:SCRATCH_EN: 0
; COMPUTE_PGM_RSRC2:USER_SGPR: 2
; COMPUTE_PGM_RSRC2:TRAP_HANDLER: 0
; COMPUTE_PGM_RSRC2:TGID_X_EN: 1
; COMPUTE_PGM_RSRC2:TGID_Y_EN: 0
; COMPUTE_PGM_RSRC2:TGID_Z_EN: 0
; COMPUTE_PGM_RSRC2:TIDIG_COMP_CNT: 0
	.section	.text._ZN7rocprim17ROCPRIM_400000_NS6detail17trampoline_kernelINS0_14default_configENS1_25partition_config_selectorILNS1_17partition_subalgoE5EjNS0_10empty_typeEbEEZZNS1_14partition_implILS5_5ELb0ES3_mN6thrust23THRUST_200600_302600_NS6detail15normal_iteratorINSA_10device_ptrIjEEEEPS6_NSA_18transform_iteratorINSB_9not_fun_tI7is_trueIjEEENSC_INSD_IbEEEENSA_11use_defaultESO_EENS0_5tupleIJNSA_16discard_iteratorISO_EES6_EEENSQ_IJSG_SG_EEES6_PlJS6_EEE10hipError_tPvRmT3_T4_T5_T6_T7_T9_mT8_P12ihipStream_tbDpT10_ENKUlT_T0_E_clISt17integral_constantIbLb0EES1F_EEDaS1A_S1B_EUlS1A_E_NS1_11comp_targetILNS1_3genE4ELNS1_11target_archE910ELNS1_3gpuE8ELNS1_3repE0EEENS1_30default_config_static_selectorELNS0_4arch9wavefront6targetE0EEEvT1_,"axG",@progbits,_ZN7rocprim17ROCPRIM_400000_NS6detail17trampoline_kernelINS0_14default_configENS1_25partition_config_selectorILNS1_17partition_subalgoE5EjNS0_10empty_typeEbEEZZNS1_14partition_implILS5_5ELb0ES3_mN6thrust23THRUST_200600_302600_NS6detail15normal_iteratorINSA_10device_ptrIjEEEEPS6_NSA_18transform_iteratorINSB_9not_fun_tI7is_trueIjEEENSC_INSD_IbEEEENSA_11use_defaultESO_EENS0_5tupleIJNSA_16discard_iteratorISO_EES6_EEENSQ_IJSG_SG_EEES6_PlJS6_EEE10hipError_tPvRmT3_T4_T5_T6_T7_T9_mT8_P12ihipStream_tbDpT10_ENKUlT_T0_E_clISt17integral_constantIbLb0EES1F_EEDaS1A_S1B_EUlS1A_E_NS1_11comp_targetILNS1_3genE4ELNS1_11target_archE910ELNS1_3gpuE8ELNS1_3repE0EEENS1_30default_config_static_selectorELNS0_4arch9wavefront6targetE0EEEvT1_,comdat
	.protected	_ZN7rocprim17ROCPRIM_400000_NS6detail17trampoline_kernelINS0_14default_configENS1_25partition_config_selectorILNS1_17partition_subalgoE5EjNS0_10empty_typeEbEEZZNS1_14partition_implILS5_5ELb0ES3_mN6thrust23THRUST_200600_302600_NS6detail15normal_iteratorINSA_10device_ptrIjEEEEPS6_NSA_18transform_iteratorINSB_9not_fun_tI7is_trueIjEEENSC_INSD_IbEEEENSA_11use_defaultESO_EENS0_5tupleIJNSA_16discard_iteratorISO_EES6_EEENSQ_IJSG_SG_EEES6_PlJS6_EEE10hipError_tPvRmT3_T4_T5_T6_T7_T9_mT8_P12ihipStream_tbDpT10_ENKUlT_T0_E_clISt17integral_constantIbLb0EES1F_EEDaS1A_S1B_EUlS1A_E_NS1_11comp_targetILNS1_3genE4ELNS1_11target_archE910ELNS1_3gpuE8ELNS1_3repE0EEENS1_30default_config_static_selectorELNS0_4arch9wavefront6targetE0EEEvT1_ ; -- Begin function _ZN7rocprim17ROCPRIM_400000_NS6detail17trampoline_kernelINS0_14default_configENS1_25partition_config_selectorILNS1_17partition_subalgoE5EjNS0_10empty_typeEbEEZZNS1_14partition_implILS5_5ELb0ES3_mN6thrust23THRUST_200600_302600_NS6detail15normal_iteratorINSA_10device_ptrIjEEEEPS6_NSA_18transform_iteratorINSB_9not_fun_tI7is_trueIjEEENSC_INSD_IbEEEENSA_11use_defaultESO_EENS0_5tupleIJNSA_16discard_iteratorISO_EES6_EEENSQ_IJSG_SG_EEES6_PlJS6_EEE10hipError_tPvRmT3_T4_T5_T6_T7_T9_mT8_P12ihipStream_tbDpT10_ENKUlT_T0_E_clISt17integral_constantIbLb0EES1F_EEDaS1A_S1B_EUlS1A_E_NS1_11comp_targetILNS1_3genE4ELNS1_11target_archE910ELNS1_3gpuE8ELNS1_3repE0EEENS1_30default_config_static_selectorELNS0_4arch9wavefront6targetE0EEEvT1_
	.globl	_ZN7rocprim17ROCPRIM_400000_NS6detail17trampoline_kernelINS0_14default_configENS1_25partition_config_selectorILNS1_17partition_subalgoE5EjNS0_10empty_typeEbEEZZNS1_14partition_implILS5_5ELb0ES3_mN6thrust23THRUST_200600_302600_NS6detail15normal_iteratorINSA_10device_ptrIjEEEEPS6_NSA_18transform_iteratorINSB_9not_fun_tI7is_trueIjEEENSC_INSD_IbEEEENSA_11use_defaultESO_EENS0_5tupleIJNSA_16discard_iteratorISO_EES6_EEENSQ_IJSG_SG_EEES6_PlJS6_EEE10hipError_tPvRmT3_T4_T5_T6_T7_T9_mT8_P12ihipStream_tbDpT10_ENKUlT_T0_E_clISt17integral_constantIbLb0EES1F_EEDaS1A_S1B_EUlS1A_E_NS1_11comp_targetILNS1_3genE4ELNS1_11target_archE910ELNS1_3gpuE8ELNS1_3repE0EEENS1_30default_config_static_selectorELNS0_4arch9wavefront6targetE0EEEvT1_
	.p2align	8
	.type	_ZN7rocprim17ROCPRIM_400000_NS6detail17trampoline_kernelINS0_14default_configENS1_25partition_config_selectorILNS1_17partition_subalgoE5EjNS0_10empty_typeEbEEZZNS1_14partition_implILS5_5ELb0ES3_mN6thrust23THRUST_200600_302600_NS6detail15normal_iteratorINSA_10device_ptrIjEEEEPS6_NSA_18transform_iteratorINSB_9not_fun_tI7is_trueIjEEENSC_INSD_IbEEEENSA_11use_defaultESO_EENS0_5tupleIJNSA_16discard_iteratorISO_EES6_EEENSQ_IJSG_SG_EEES6_PlJS6_EEE10hipError_tPvRmT3_T4_T5_T6_T7_T9_mT8_P12ihipStream_tbDpT10_ENKUlT_T0_E_clISt17integral_constantIbLb0EES1F_EEDaS1A_S1B_EUlS1A_E_NS1_11comp_targetILNS1_3genE4ELNS1_11target_archE910ELNS1_3gpuE8ELNS1_3repE0EEENS1_30default_config_static_selectorELNS0_4arch9wavefront6targetE0EEEvT1_,@function
_ZN7rocprim17ROCPRIM_400000_NS6detail17trampoline_kernelINS0_14default_configENS1_25partition_config_selectorILNS1_17partition_subalgoE5EjNS0_10empty_typeEbEEZZNS1_14partition_implILS5_5ELb0ES3_mN6thrust23THRUST_200600_302600_NS6detail15normal_iteratorINSA_10device_ptrIjEEEEPS6_NSA_18transform_iteratorINSB_9not_fun_tI7is_trueIjEEENSC_INSD_IbEEEENSA_11use_defaultESO_EENS0_5tupleIJNSA_16discard_iteratorISO_EES6_EEENSQ_IJSG_SG_EEES6_PlJS6_EEE10hipError_tPvRmT3_T4_T5_T6_T7_T9_mT8_P12ihipStream_tbDpT10_ENKUlT_T0_E_clISt17integral_constantIbLb0EES1F_EEDaS1A_S1B_EUlS1A_E_NS1_11comp_targetILNS1_3genE4ELNS1_11target_archE910ELNS1_3gpuE8ELNS1_3repE0EEENS1_30default_config_static_selectorELNS0_4arch9wavefront6targetE0EEEvT1_: ; @_ZN7rocprim17ROCPRIM_400000_NS6detail17trampoline_kernelINS0_14default_configENS1_25partition_config_selectorILNS1_17partition_subalgoE5EjNS0_10empty_typeEbEEZZNS1_14partition_implILS5_5ELb0ES3_mN6thrust23THRUST_200600_302600_NS6detail15normal_iteratorINSA_10device_ptrIjEEEEPS6_NSA_18transform_iteratorINSB_9not_fun_tI7is_trueIjEEENSC_INSD_IbEEEENSA_11use_defaultESO_EENS0_5tupleIJNSA_16discard_iteratorISO_EES6_EEENSQ_IJSG_SG_EEES6_PlJS6_EEE10hipError_tPvRmT3_T4_T5_T6_T7_T9_mT8_P12ihipStream_tbDpT10_ENKUlT_T0_E_clISt17integral_constantIbLb0EES1F_EEDaS1A_S1B_EUlS1A_E_NS1_11comp_targetILNS1_3genE4ELNS1_11target_archE910ELNS1_3gpuE8ELNS1_3repE0EEENS1_30default_config_static_selectorELNS0_4arch9wavefront6targetE0EEEvT1_
; %bb.0:
	.section	.rodata,"a",@progbits
	.p2align	6, 0x0
	.amdhsa_kernel _ZN7rocprim17ROCPRIM_400000_NS6detail17trampoline_kernelINS0_14default_configENS1_25partition_config_selectorILNS1_17partition_subalgoE5EjNS0_10empty_typeEbEEZZNS1_14partition_implILS5_5ELb0ES3_mN6thrust23THRUST_200600_302600_NS6detail15normal_iteratorINSA_10device_ptrIjEEEEPS6_NSA_18transform_iteratorINSB_9not_fun_tI7is_trueIjEEENSC_INSD_IbEEEENSA_11use_defaultESO_EENS0_5tupleIJNSA_16discard_iteratorISO_EES6_EEENSQ_IJSG_SG_EEES6_PlJS6_EEE10hipError_tPvRmT3_T4_T5_T6_T7_T9_mT8_P12ihipStream_tbDpT10_ENKUlT_T0_E_clISt17integral_constantIbLb0EES1F_EEDaS1A_S1B_EUlS1A_E_NS1_11comp_targetILNS1_3genE4ELNS1_11target_archE910ELNS1_3gpuE8ELNS1_3repE0EEENS1_30default_config_static_selectorELNS0_4arch9wavefront6targetE0EEEvT1_
		.amdhsa_group_segment_fixed_size 0
		.amdhsa_private_segment_fixed_size 0
		.amdhsa_kernarg_size 128
		.amdhsa_user_sgpr_count 2
		.amdhsa_user_sgpr_dispatch_ptr 0
		.amdhsa_user_sgpr_queue_ptr 0
		.amdhsa_user_sgpr_kernarg_segment_ptr 1
		.amdhsa_user_sgpr_dispatch_id 0
		.amdhsa_user_sgpr_private_segment_size 0
		.amdhsa_wavefront_size32 1
		.amdhsa_uses_dynamic_stack 0
		.amdhsa_enable_private_segment 0
		.amdhsa_system_sgpr_workgroup_id_x 1
		.amdhsa_system_sgpr_workgroup_id_y 0
		.amdhsa_system_sgpr_workgroup_id_z 0
		.amdhsa_system_sgpr_workgroup_info 0
		.amdhsa_system_vgpr_workitem_id 0
		.amdhsa_next_free_vgpr 1
		.amdhsa_next_free_sgpr 1
		.amdhsa_reserve_vcc 0
		.amdhsa_float_round_mode_32 0
		.amdhsa_float_round_mode_16_64 0
		.amdhsa_float_denorm_mode_32 3
		.amdhsa_float_denorm_mode_16_64 3
		.amdhsa_fp16_overflow 0
		.amdhsa_workgroup_processor_mode 1
		.amdhsa_memory_ordered 1
		.amdhsa_forward_progress 1
		.amdhsa_inst_pref_size 0
		.amdhsa_round_robin_scheduling 0
		.amdhsa_exception_fp_ieee_invalid_op 0
		.amdhsa_exception_fp_denorm_src 0
		.amdhsa_exception_fp_ieee_div_zero 0
		.amdhsa_exception_fp_ieee_overflow 0
		.amdhsa_exception_fp_ieee_underflow 0
		.amdhsa_exception_fp_ieee_inexact 0
		.amdhsa_exception_int_div_zero 0
	.end_amdhsa_kernel
	.section	.text._ZN7rocprim17ROCPRIM_400000_NS6detail17trampoline_kernelINS0_14default_configENS1_25partition_config_selectorILNS1_17partition_subalgoE5EjNS0_10empty_typeEbEEZZNS1_14partition_implILS5_5ELb0ES3_mN6thrust23THRUST_200600_302600_NS6detail15normal_iteratorINSA_10device_ptrIjEEEEPS6_NSA_18transform_iteratorINSB_9not_fun_tI7is_trueIjEEENSC_INSD_IbEEEENSA_11use_defaultESO_EENS0_5tupleIJNSA_16discard_iteratorISO_EES6_EEENSQ_IJSG_SG_EEES6_PlJS6_EEE10hipError_tPvRmT3_T4_T5_T6_T7_T9_mT8_P12ihipStream_tbDpT10_ENKUlT_T0_E_clISt17integral_constantIbLb0EES1F_EEDaS1A_S1B_EUlS1A_E_NS1_11comp_targetILNS1_3genE4ELNS1_11target_archE910ELNS1_3gpuE8ELNS1_3repE0EEENS1_30default_config_static_selectorELNS0_4arch9wavefront6targetE0EEEvT1_,"axG",@progbits,_ZN7rocprim17ROCPRIM_400000_NS6detail17trampoline_kernelINS0_14default_configENS1_25partition_config_selectorILNS1_17partition_subalgoE5EjNS0_10empty_typeEbEEZZNS1_14partition_implILS5_5ELb0ES3_mN6thrust23THRUST_200600_302600_NS6detail15normal_iteratorINSA_10device_ptrIjEEEEPS6_NSA_18transform_iteratorINSB_9not_fun_tI7is_trueIjEEENSC_INSD_IbEEEENSA_11use_defaultESO_EENS0_5tupleIJNSA_16discard_iteratorISO_EES6_EEENSQ_IJSG_SG_EEES6_PlJS6_EEE10hipError_tPvRmT3_T4_T5_T6_T7_T9_mT8_P12ihipStream_tbDpT10_ENKUlT_T0_E_clISt17integral_constantIbLb0EES1F_EEDaS1A_S1B_EUlS1A_E_NS1_11comp_targetILNS1_3genE4ELNS1_11target_archE910ELNS1_3gpuE8ELNS1_3repE0EEENS1_30default_config_static_selectorELNS0_4arch9wavefront6targetE0EEEvT1_,comdat
.Lfunc_end2687:
	.size	_ZN7rocprim17ROCPRIM_400000_NS6detail17trampoline_kernelINS0_14default_configENS1_25partition_config_selectorILNS1_17partition_subalgoE5EjNS0_10empty_typeEbEEZZNS1_14partition_implILS5_5ELb0ES3_mN6thrust23THRUST_200600_302600_NS6detail15normal_iteratorINSA_10device_ptrIjEEEEPS6_NSA_18transform_iteratorINSB_9not_fun_tI7is_trueIjEEENSC_INSD_IbEEEENSA_11use_defaultESO_EENS0_5tupleIJNSA_16discard_iteratorISO_EES6_EEENSQ_IJSG_SG_EEES6_PlJS6_EEE10hipError_tPvRmT3_T4_T5_T6_T7_T9_mT8_P12ihipStream_tbDpT10_ENKUlT_T0_E_clISt17integral_constantIbLb0EES1F_EEDaS1A_S1B_EUlS1A_E_NS1_11comp_targetILNS1_3genE4ELNS1_11target_archE910ELNS1_3gpuE8ELNS1_3repE0EEENS1_30default_config_static_selectorELNS0_4arch9wavefront6targetE0EEEvT1_, .Lfunc_end2687-_ZN7rocprim17ROCPRIM_400000_NS6detail17trampoline_kernelINS0_14default_configENS1_25partition_config_selectorILNS1_17partition_subalgoE5EjNS0_10empty_typeEbEEZZNS1_14partition_implILS5_5ELb0ES3_mN6thrust23THRUST_200600_302600_NS6detail15normal_iteratorINSA_10device_ptrIjEEEEPS6_NSA_18transform_iteratorINSB_9not_fun_tI7is_trueIjEEENSC_INSD_IbEEEENSA_11use_defaultESO_EENS0_5tupleIJNSA_16discard_iteratorISO_EES6_EEENSQ_IJSG_SG_EEES6_PlJS6_EEE10hipError_tPvRmT3_T4_T5_T6_T7_T9_mT8_P12ihipStream_tbDpT10_ENKUlT_T0_E_clISt17integral_constantIbLb0EES1F_EEDaS1A_S1B_EUlS1A_E_NS1_11comp_targetILNS1_3genE4ELNS1_11target_archE910ELNS1_3gpuE8ELNS1_3repE0EEENS1_30default_config_static_selectorELNS0_4arch9wavefront6targetE0EEEvT1_
                                        ; -- End function
	.set _ZN7rocprim17ROCPRIM_400000_NS6detail17trampoline_kernelINS0_14default_configENS1_25partition_config_selectorILNS1_17partition_subalgoE5EjNS0_10empty_typeEbEEZZNS1_14partition_implILS5_5ELb0ES3_mN6thrust23THRUST_200600_302600_NS6detail15normal_iteratorINSA_10device_ptrIjEEEEPS6_NSA_18transform_iteratorINSB_9not_fun_tI7is_trueIjEEENSC_INSD_IbEEEENSA_11use_defaultESO_EENS0_5tupleIJNSA_16discard_iteratorISO_EES6_EEENSQ_IJSG_SG_EEES6_PlJS6_EEE10hipError_tPvRmT3_T4_T5_T6_T7_T9_mT8_P12ihipStream_tbDpT10_ENKUlT_T0_E_clISt17integral_constantIbLb0EES1F_EEDaS1A_S1B_EUlS1A_E_NS1_11comp_targetILNS1_3genE4ELNS1_11target_archE910ELNS1_3gpuE8ELNS1_3repE0EEENS1_30default_config_static_selectorELNS0_4arch9wavefront6targetE0EEEvT1_.num_vgpr, 0
	.set _ZN7rocprim17ROCPRIM_400000_NS6detail17trampoline_kernelINS0_14default_configENS1_25partition_config_selectorILNS1_17partition_subalgoE5EjNS0_10empty_typeEbEEZZNS1_14partition_implILS5_5ELb0ES3_mN6thrust23THRUST_200600_302600_NS6detail15normal_iteratorINSA_10device_ptrIjEEEEPS6_NSA_18transform_iteratorINSB_9not_fun_tI7is_trueIjEEENSC_INSD_IbEEEENSA_11use_defaultESO_EENS0_5tupleIJNSA_16discard_iteratorISO_EES6_EEENSQ_IJSG_SG_EEES6_PlJS6_EEE10hipError_tPvRmT3_T4_T5_T6_T7_T9_mT8_P12ihipStream_tbDpT10_ENKUlT_T0_E_clISt17integral_constantIbLb0EES1F_EEDaS1A_S1B_EUlS1A_E_NS1_11comp_targetILNS1_3genE4ELNS1_11target_archE910ELNS1_3gpuE8ELNS1_3repE0EEENS1_30default_config_static_selectorELNS0_4arch9wavefront6targetE0EEEvT1_.num_agpr, 0
	.set _ZN7rocprim17ROCPRIM_400000_NS6detail17trampoline_kernelINS0_14default_configENS1_25partition_config_selectorILNS1_17partition_subalgoE5EjNS0_10empty_typeEbEEZZNS1_14partition_implILS5_5ELb0ES3_mN6thrust23THRUST_200600_302600_NS6detail15normal_iteratorINSA_10device_ptrIjEEEEPS6_NSA_18transform_iteratorINSB_9not_fun_tI7is_trueIjEEENSC_INSD_IbEEEENSA_11use_defaultESO_EENS0_5tupleIJNSA_16discard_iteratorISO_EES6_EEENSQ_IJSG_SG_EEES6_PlJS6_EEE10hipError_tPvRmT3_T4_T5_T6_T7_T9_mT8_P12ihipStream_tbDpT10_ENKUlT_T0_E_clISt17integral_constantIbLb0EES1F_EEDaS1A_S1B_EUlS1A_E_NS1_11comp_targetILNS1_3genE4ELNS1_11target_archE910ELNS1_3gpuE8ELNS1_3repE0EEENS1_30default_config_static_selectorELNS0_4arch9wavefront6targetE0EEEvT1_.numbered_sgpr, 0
	.set _ZN7rocprim17ROCPRIM_400000_NS6detail17trampoline_kernelINS0_14default_configENS1_25partition_config_selectorILNS1_17partition_subalgoE5EjNS0_10empty_typeEbEEZZNS1_14partition_implILS5_5ELb0ES3_mN6thrust23THRUST_200600_302600_NS6detail15normal_iteratorINSA_10device_ptrIjEEEEPS6_NSA_18transform_iteratorINSB_9not_fun_tI7is_trueIjEEENSC_INSD_IbEEEENSA_11use_defaultESO_EENS0_5tupleIJNSA_16discard_iteratorISO_EES6_EEENSQ_IJSG_SG_EEES6_PlJS6_EEE10hipError_tPvRmT3_T4_T5_T6_T7_T9_mT8_P12ihipStream_tbDpT10_ENKUlT_T0_E_clISt17integral_constantIbLb0EES1F_EEDaS1A_S1B_EUlS1A_E_NS1_11comp_targetILNS1_3genE4ELNS1_11target_archE910ELNS1_3gpuE8ELNS1_3repE0EEENS1_30default_config_static_selectorELNS0_4arch9wavefront6targetE0EEEvT1_.num_named_barrier, 0
	.set _ZN7rocprim17ROCPRIM_400000_NS6detail17trampoline_kernelINS0_14default_configENS1_25partition_config_selectorILNS1_17partition_subalgoE5EjNS0_10empty_typeEbEEZZNS1_14partition_implILS5_5ELb0ES3_mN6thrust23THRUST_200600_302600_NS6detail15normal_iteratorINSA_10device_ptrIjEEEEPS6_NSA_18transform_iteratorINSB_9not_fun_tI7is_trueIjEEENSC_INSD_IbEEEENSA_11use_defaultESO_EENS0_5tupleIJNSA_16discard_iteratorISO_EES6_EEENSQ_IJSG_SG_EEES6_PlJS6_EEE10hipError_tPvRmT3_T4_T5_T6_T7_T9_mT8_P12ihipStream_tbDpT10_ENKUlT_T0_E_clISt17integral_constantIbLb0EES1F_EEDaS1A_S1B_EUlS1A_E_NS1_11comp_targetILNS1_3genE4ELNS1_11target_archE910ELNS1_3gpuE8ELNS1_3repE0EEENS1_30default_config_static_selectorELNS0_4arch9wavefront6targetE0EEEvT1_.private_seg_size, 0
	.set _ZN7rocprim17ROCPRIM_400000_NS6detail17trampoline_kernelINS0_14default_configENS1_25partition_config_selectorILNS1_17partition_subalgoE5EjNS0_10empty_typeEbEEZZNS1_14partition_implILS5_5ELb0ES3_mN6thrust23THRUST_200600_302600_NS6detail15normal_iteratorINSA_10device_ptrIjEEEEPS6_NSA_18transform_iteratorINSB_9not_fun_tI7is_trueIjEEENSC_INSD_IbEEEENSA_11use_defaultESO_EENS0_5tupleIJNSA_16discard_iteratorISO_EES6_EEENSQ_IJSG_SG_EEES6_PlJS6_EEE10hipError_tPvRmT3_T4_T5_T6_T7_T9_mT8_P12ihipStream_tbDpT10_ENKUlT_T0_E_clISt17integral_constantIbLb0EES1F_EEDaS1A_S1B_EUlS1A_E_NS1_11comp_targetILNS1_3genE4ELNS1_11target_archE910ELNS1_3gpuE8ELNS1_3repE0EEENS1_30default_config_static_selectorELNS0_4arch9wavefront6targetE0EEEvT1_.uses_vcc, 0
	.set _ZN7rocprim17ROCPRIM_400000_NS6detail17trampoline_kernelINS0_14default_configENS1_25partition_config_selectorILNS1_17partition_subalgoE5EjNS0_10empty_typeEbEEZZNS1_14partition_implILS5_5ELb0ES3_mN6thrust23THRUST_200600_302600_NS6detail15normal_iteratorINSA_10device_ptrIjEEEEPS6_NSA_18transform_iteratorINSB_9not_fun_tI7is_trueIjEEENSC_INSD_IbEEEENSA_11use_defaultESO_EENS0_5tupleIJNSA_16discard_iteratorISO_EES6_EEENSQ_IJSG_SG_EEES6_PlJS6_EEE10hipError_tPvRmT3_T4_T5_T6_T7_T9_mT8_P12ihipStream_tbDpT10_ENKUlT_T0_E_clISt17integral_constantIbLb0EES1F_EEDaS1A_S1B_EUlS1A_E_NS1_11comp_targetILNS1_3genE4ELNS1_11target_archE910ELNS1_3gpuE8ELNS1_3repE0EEENS1_30default_config_static_selectorELNS0_4arch9wavefront6targetE0EEEvT1_.uses_flat_scratch, 0
	.set _ZN7rocprim17ROCPRIM_400000_NS6detail17trampoline_kernelINS0_14default_configENS1_25partition_config_selectorILNS1_17partition_subalgoE5EjNS0_10empty_typeEbEEZZNS1_14partition_implILS5_5ELb0ES3_mN6thrust23THRUST_200600_302600_NS6detail15normal_iteratorINSA_10device_ptrIjEEEEPS6_NSA_18transform_iteratorINSB_9not_fun_tI7is_trueIjEEENSC_INSD_IbEEEENSA_11use_defaultESO_EENS0_5tupleIJNSA_16discard_iteratorISO_EES6_EEENSQ_IJSG_SG_EEES6_PlJS6_EEE10hipError_tPvRmT3_T4_T5_T6_T7_T9_mT8_P12ihipStream_tbDpT10_ENKUlT_T0_E_clISt17integral_constantIbLb0EES1F_EEDaS1A_S1B_EUlS1A_E_NS1_11comp_targetILNS1_3genE4ELNS1_11target_archE910ELNS1_3gpuE8ELNS1_3repE0EEENS1_30default_config_static_selectorELNS0_4arch9wavefront6targetE0EEEvT1_.has_dyn_sized_stack, 0
	.set _ZN7rocprim17ROCPRIM_400000_NS6detail17trampoline_kernelINS0_14default_configENS1_25partition_config_selectorILNS1_17partition_subalgoE5EjNS0_10empty_typeEbEEZZNS1_14partition_implILS5_5ELb0ES3_mN6thrust23THRUST_200600_302600_NS6detail15normal_iteratorINSA_10device_ptrIjEEEEPS6_NSA_18transform_iteratorINSB_9not_fun_tI7is_trueIjEEENSC_INSD_IbEEEENSA_11use_defaultESO_EENS0_5tupleIJNSA_16discard_iteratorISO_EES6_EEENSQ_IJSG_SG_EEES6_PlJS6_EEE10hipError_tPvRmT3_T4_T5_T6_T7_T9_mT8_P12ihipStream_tbDpT10_ENKUlT_T0_E_clISt17integral_constantIbLb0EES1F_EEDaS1A_S1B_EUlS1A_E_NS1_11comp_targetILNS1_3genE4ELNS1_11target_archE910ELNS1_3gpuE8ELNS1_3repE0EEENS1_30default_config_static_selectorELNS0_4arch9wavefront6targetE0EEEvT1_.has_recursion, 0
	.set _ZN7rocprim17ROCPRIM_400000_NS6detail17trampoline_kernelINS0_14default_configENS1_25partition_config_selectorILNS1_17partition_subalgoE5EjNS0_10empty_typeEbEEZZNS1_14partition_implILS5_5ELb0ES3_mN6thrust23THRUST_200600_302600_NS6detail15normal_iteratorINSA_10device_ptrIjEEEEPS6_NSA_18transform_iteratorINSB_9not_fun_tI7is_trueIjEEENSC_INSD_IbEEEENSA_11use_defaultESO_EENS0_5tupleIJNSA_16discard_iteratorISO_EES6_EEENSQ_IJSG_SG_EEES6_PlJS6_EEE10hipError_tPvRmT3_T4_T5_T6_T7_T9_mT8_P12ihipStream_tbDpT10_ENKUlT_T0_E_clISt17integral_constantIbLb0EES1F_EEDaS1A_S1B_EUlS1A_E_NS1_11comp_targetILNS1_3genE4ELNS1_11target_archE910ELNS1_3gpuE8ELNS1_3repE0EEENS1_30default_config_static_selectorELNS0_4arch9wavefront6targetE0EEEvT1_.has_indirect_call, 0
	.section	.AMDGPU.csdata,"",@progbits
; Kernel info:
; codeLenInByte = 0
; TotalNumSgprs: 0
; NumVgprs: 0
; ScratchSize: 0
; MemoryBound: 0
; FloatMode: 240
; IeeeMode: 1
; LDSByteSize: 0 bytes/workgroup (compile time only)
; SGPRBlocks: 0
; VGPRBlocks: 0
; NumSGPRsForWavesPerEU: 1
; NumVGPRsForWavesPerEU: 1
; Occupancy: 16
; WaveLimiterHint : 0
; COMPUTE_PGM_RSRC2:SCRATCH_EN: 0
; COMPUTE_PGM_RSRC2:USER_SGPR: 2
; COMPUTE_PGM_RSRC2:TRAP_HANDLER: 0
; COMPUTE_PGM_RSRC2:TGID_X_EN: 1
; COMPUTE_PGM_RSRC2:TGID_Y_EN: 0
; COMPUTE_PGM_RSRC2:TGID_Z_EN: 0
; COMPUTE_PGM_RSRC2:TIDIG_COMP_CNT: 0
	.section	.text._ZN7rocprim17ROCPRIM_400000_NS6detail17trampoline_kernelINS0_14default_configENS1_25partition_config_selectorILNS1_17partition_subalgoE5EjNS0_10empty_typeEbEEZZNS1_14partition_implILS5_5ELb0ES3_mN6thrust23THRUST_200600_302600_NS6detail15normal_iteratorINSA_10device_ptrIjEEEEPS6_NSA_18transform_iteratorINSB_9not_fun_tI7is_trueIjEEENSC_INSD_IbEEEENSA_11use_defaultESO_EENS0_5tupleIJNSA_16discard_iteratorISO_EES6_EEENSQ_IJSG_SG_EEES6_PlJS6_EEE10hipError_tPvRmT3_T4_T5_T6_T7_T9_mT8_P12ihipStream_tbDpT10_ENKUlT_T0_E_clISt17integral_constantIbLb0EES1F_EEDaS1A_S1B_EUlS1A_E_NS1_11comp_targetILNS1_3genE3ELNS1_11target_archE908ELNS1_3gpuE7ELNS1_3repE0EEENS1_30default_config_static_selectorELNS0_4arch9wavefront6targetE0EEEvT1_,"axG",@progbits,_ZN7rocprim17ROCPRIM_400000_NS6detail17trampoline_kernelINS0_14default_configENS1_25partition_config_selectorILNS1_17partition_subalgoE5EjNS0_10empty_typeEbEEZZNS1_14partition_implILS5_5ELb0ES3_mN6thrust23THRUST_200600_302600_NS6detail15normal_iteratorINSA_10device_ptrIjEEEEPS6_NSA_18transform_iteratorINSB_9not_fun_tI7is_trueIjEEENSC_INSD_IbEEEENSA_11use_defaultESO_EENS0_5tupleIJNSA_16discard_iteratorISO_EES6_EEENSQ_IJSG_SG_EEES6_PlJS6_EEE10hipError_tPvRmT3_T4_T5_T6_T7_T9_mT8_P12ihipStream_tbDpT10_ENKUlT_T0_E_clISt17integral_constantIbLb0EES1F_EEDaS1A_S1B_EUlS1A_E_NS1_11comp_targetILNS1_3genE3ELNS1_11target_archE908ELNS1_3gpuE7ELNS1_3repE0EEENS1_30default_config_static_selectorELNS0_4arch9wavefront6targetE0EEEvT1_,comdat
	.protected	_ZN7rocprim17ROCPRIM_400000_NS6detail17trampoline_kernelINS0_14default_configENS1_25partition_config_selectorILNS1_17partition_subalgoE5EjNS0_10empty_typeEbEEZZNS1_14partition_implILS5_5ELb0ES3_mN6thrust23THRUST_200600_302600_NS6detail15normal_iteratorINSA_10device_ptrIjEEEEPS6_NSA_18transform_iteratorINSB_9not_fun_tI7is_trueIjEEENSC_INSD_IbEEEENSA_11use_defaultESO_EENS0_5tupleIJNSA_16discard_iteratorISO_EES6_EEENSQ_IJSG_SG_EEES6_PlJS6_EEE10hipError_tPvRmT3_T4_T5_T6_T7_T9_mT8_P12ihipStream_tbDpT10_ENKUlT_T0_E_clISt17integral_constantIbLb0EES1F_EEDaS1A_S1B_EUlS1A_E_NS1_11comp_targetILNS1_3genE3ELNS1_11target_archE908ELNS1_3gpuE7ELNS1_3repE0EEENS1_30default_config_static_selectorELNS0_4arch9wavefront6targetE0EEEvT1_ ; -- Begin function _ZN7rocprim17ROCPRIM_400000_NS6detail17trampoline_kernelINS0_14default_configENS1_25partition_config_selectorILNS1_17partition_subalgoE5EjNS0_10empty_typeEbEEZZNS1_14partition_implILS5_5ELb0ES3_mN6thrust23THRUST_200600_302600_NS6detail15normal_iteratorINSA_10device_ptrIjEEEEPS6_NSA_18transform_iteratorINSB_9not_fun_tI7is_trueIjEEENSC_INSD_IbEEEENSA_11use_defaultESO_EENS0_5tupleIJNSA_16discard_iteratorISO_EES6_EEENSQ_IJSG_SG_EEES6_PlJS6_EEE10hipError_tPvRmT3_T4_T5_T6_T7_T9_mT8_P12ihipStream_tbDpT10_ENKUlT_T0_E_clISt17integral_constantIbLb0EES1F_EEDaS1A_S1B_EUlS1A_E_NS1_11comp_targetILNS1_3genE3ELNS1_11target_archE908ELNS1_3gpuE7ELNS1_3repE0EEENS1_30default_config_static_selectorELNS0_4arch9wavefront6targetE0EEEvT1_
	.globl	_ZN7rocprim17ROCPRIM_400000_NS6detail17trampoline_kernelINS0_14default_configENS1_25partition_config_selectorILNS1_17partition_subalgoE5EjNS0_10empty_typeEbEEZZNS1_14partition_implILS5_5ELb0ES3_mN6thrust23THRUST_200600_302600_NS6detail15normal_iteratorINSA_10device_ptrIjEEEEPS6_NSA_18transform_iteratorINSB_9not_fun_tI7is_trueIjEEENSC_INSD_IbEEEENSA_11use_defaultESO_EENS0_5tupleIJNSA_16discard_iteratorISO_EES6_EEENSQ_IJSG_SG_EEES6_PlJS6_EEE10hipError_tPvRmT3_T4_T5_T6_T7_T9_mT8_P12ihipStream_tbDpT10_ENKUlT_T0_E_clISt17integral_constantIbLb0EES1F_EEDaS1A_S1B_EUlS1A_E_NS1_11comp_targetILNS1_3genE3ELNS1_11target_archE908ELNS1_3gpuE7ELNS1_3repE0EEENS1_30default_config_static_selectorELNS0_4arch9wavefront6targetE0EEEvT1_
	.p2align	8
	.type	_ZN7rocprim17ROCPRIM_400000_NS6detail17trampoline_kernelINS0_14default_configENS1_25partition_config_selectorILNS1_17partition_subalgoE5EjNS0_10empty_typeEbEEZZNS1_14partition_implILS5_5ELb0ES3_mN6thrust23THRUST_200600_302600_NS6detail15normal_iteratorINSA_10device_ptrIjEEEEPS6_NSA_18transform_iteratorINSB_9not_fun_tI7is_trueIjEEENSC_INSD_IbEEEENSA_11use_defaultESO_EENS0_5tupleIJNSA_16discard_iteratorISO_EES6_EEENSQ_IJSG_SG_EEES6_PlJS6_EEE10hipError_tPvRmT3_T4_T5_T6_T7_T9_mT8_P12ihipStream_tbDpT10_ENKUlT_T0_E_clISt17integral_constantIbLb0EES1F_EEDaS1A_S1B_EUlS1A_E_NS1_11comp_targetILNS1_3genE3ELNS1_11target_archE908ELNS1_3gpuE7ELNS1_3repE0EEENS1_30default_config_static_selectorELNS0_4arch9wavefront6targetE0EEEvT1_,@function
_ZN7rocprim17ROCPRIM_400000_NS6detail17trampoline_kernelINS0_14default_configENS1_25partition_config_selectorILNS1_17partition_subalgoE5EjNS0_10empty_typeEbEEZZNS1_14partition_implILS5_5ELb0ES3_mN6thrust23THRUST_200600_302600_NS6detail15normal_iteratorINSA_10device_ptrIjEEEEPS6_NSA_18transform_iteratorINSB_9not_fun_tI7is_trueIjEEENSC_INSD_IbEEEENSA_11use_defaultESO_EENS0_5tupleIJNSA_16discard_iteratorISO_EES6_EEENSQ_IJSG_SG_EEES6_PlJS6_EEE10hipError_tPvRmT3_T4_T5_T6_T7_T9_mT8_P12ihipStream_tbDpT10_ENKUlT_T0_E_clISt17integral_constantIbLb0EES1F_EEDaS1A_S1B_EUlS1A_E_NS1_11comp_targetILNS1_3genE3ELNS1_11target_archE908ELNS1_3gpuE7ELNS1_3repE0EEENS1_30default_config_static_selectorELNS0_4arch9wavefront6targetE0EEEvT1_: ; @_ZN7rocprim17ROCPRIM_400000_NS6detail17trampoline_kernelINS0_14default_configENS1_25partition_config_selectorILNS1_17partition_subalgoE5EjNS0_10empty_typeEbEEZZNS1_14partition_implILS5_5ELb0ES3_mN6thrust23THRUST_200600_302600_NS6detail15normal_iteratorINSA_10device_ptrIjEEEEPS6_NSA_18transform_iteratorINSB_9not_fun_tI7is_trueIjEEENSC_INSD_IbEEEENSA_11use_defaultESO_EENS0_5tupleIJNSA_16discard_iteratorISO_EES6_EEENSQ_IJSG_SG_EEES6_PlJS6_EEE10hipError_tPvRmT3_T4_T5_T6_T7_T9_mT8_P12ihipStream_tbDpT10_ENKUlT_T0_E_clISt17integral_constantIbLb0EES1F_EEDaS1A_S1B_EUlS1A_E_NS1_11comp_targetILNS1_3genE3ELNS1_11target_archE908ELNS1_3gpuE7ELNS1_3repE0EEENS1_30default_config_static_selectorELNS0_4arch9wavefront6targetE0EEEvT1_
; %bb.0:
	.section	.rodata,"a",@progbits
	.p2align	6, 0x0
	.amdhsa_kernel _ZN7rocprim17ROCPRIM_400000_NS6detail17trampoline_kernelINS0_14default_configENS1_25partition_config_selectorILNS1_17partition_subalgoE5EjNS0_10empty_typeEbEEZZNS1_14partition_implILS5_5ELb0ES3_mN6thrust23THRUST_200600_302600_NS6detail15normal_iteratorINSA_10device_ptrIjEEEEPS6_NSA_18transform_iteratorINSB_9not_fun_tI7is_trueIjEEENSC_INSD_IbEEEENSA_11use_defaultESO_EENS0_5tupleIJNSA_16discard_iteratorISO_EES6_EEENSQ_IJSG_SG_EEES6_PlJS6_EEE10hipError_tPvRmT3_T4_T5_T6_T7_T9_mT8_P12ihipStream_tbDpT10_ENKUlT_T0_E_clISt17integral_constantIbLb0EES1F_EEDaS1A_S1B_EUlS1A_E_NS1_11comp_targetILNS1_3genE3ELNS1_11target_archE908ELNS1_3gpuE7ELNS1_3repE0EEENS1_30default_config_static_selectorELNS0_4arch9wavefront6targetE0EEEvT1_
		.amdhsa_group_segment_fixed_size 0
		.amdhsa_private_segment_fixed_size 0
		.amdhsa_kernarg_size 128
		.amdhsa_user_sgpr_count 2
		.amdhsa_user_sgpr_dispatch_ptr 0
		.amdhsa_user_sgpr_queue_ptr 0
		.amdhsa_user_sgpr_kernarg_segment_ptr 1
		.amdhsa_user_sgpr_dispatch_id 0
		.amdhsa_user_sgpr_private_segment_size 0
		.amdhsa_wavefront_size32 1
		.amdhsa_uses_dynamic_stack 0
		.amdhsa_enable_private_segment 0
		.amdhsa_system_sgpr_workgroup_id_x 1
		.amdhsa_system_sgpr_workgroup_id_y 0
		.amdhsa_system_sgpr_workgroup_id_z 0
		.amdhsa_system_sgpr_workgroup_info 0
		.amdhsa_system_vgpr_workitem_id 0
		.amdhsa_next_free_vgpr 1
		.amdhsa_next_free_sgpr 1
		.amdhsa_reserve_vcc 0
		.amdhsa_float_round_mode_32 0
		.amdhsa_float_round_mode_16_64 0
		.amdhsa_float_denorm_mode_32 3
		.amdhsa_float_denorm_mode_16_64 3
		.amdhsa_fp16_overflow 0
		.amdhsa_workgroup_processor_mode 1
		.amdhsa_memory_ordered 1
		.amdhsa_forward_progress 1
		.amdhsa_inst_pref_size 0
		.amdhsa_round_robin_scheduling 0
		.amdhsa_exception_fp_ieee_invalid_op 0
		.amdhsa_exception_fp_denorm_src 0
		.amdhsa_exception_fp_ieee_div_zero 0
		.amdhsa_exception_fp_ieee_overflow 0
		.amdhsa_exception_fp_ieee_underflow 0
		.amdhsa_exception_fp_ieee_inexact 0
		.amdhsa_exception_int_div_zero 0
	.end_amdhsa_kernel
	.section	.text._ZN7rocprim17ROCPRIM_400000_NS6detail17trampoline_kernelINS0_14default_configENS1_25partition_config_selectorILNS1_17partition_subalgoE5EjNS0_10empty_typeEbEEZZNS1_14partition_implILS5_5ELb0ES3_mN6thrust23THRUST_200600_302600_NS6detail15normal_iteratorINSA_10device_ptrIjEEEEPS6_NSA_18transform_iteratorINSB_9not_fun_tI7is_trueIjEEENSC_INSD_IbEEEENSA_11use_defaultESO_EENS0_5tupleIJNSA_16discard_iteratorISO_EES6_EEENSQ_IJSG_SG_EEES6_PlJS6_EEE10hipError_tPvRmT3_T4_T5_T6_T7_T9_mT8_P12ihipStream_tbDpT10_ENKUlT_T0_E_clISt17integral_constantIbLb0EES1F_EEDaS1A_S1B_EUlS1A_E_NS1_11comp_targetILNS1_3genE3ELNS1_11target_archE908ELNS1_3gpuE7ELNS1_3repE0EEENS1_30default_config_static_selectorELNS0_4arch9wavefront6targetE0EEEvT1_,"axG",@progbits,_ZN7rocprim17ROCPRIM_400000_NS6detail17trampoline_kernelINS0_14default_configENS1_25partition_config_selectorILNS1_17partition_subalgoE5EjNS0_10empty_typeEbEEZZNS1_14partition_implILS5_5ELb0ES3_mN6thrust23THRUST_200600_302600_NS6detail15normal_iteratorINSA_10device_ptrIjEEEEPS6_NSA_18transform_iteratorINSB_9not_fun_tI7is_trueIjEEENSC_INSD_IbEEEENSA_11use_defaultESO_EENS0_5tupleIJNSA_16discard_iteratorISO_EES6_EEENSQ_IJSG_SG_EEES6_PlJS6_EEE10hipError_tPvRmT3_T4_T5_T6_T7_T9_mT8_P12ihipStream_tbDpT10_ENKUlT_T0_E_clISt17integral_constantIbLb0EES1F_EEDaS1A_S1B_EUlS1A_E_NS1_11comp_targetILNS1_3genE3ELNS1_11target_archE908ELNS1_3gpuE7ELNS1_3repE0EEENS1_30default_config_static_selectorELNS0_4arch9wavefront6targetE0EEEvT1_,comdat
.Lfunc_end2688:
	.size	_ZN7rocprim17ROCPRIM_400000_NS6detail17trampoline_kernelINS0_14default_configENS1_25partition_config_selectorILNS1_17partition_subalgoE5EjNS0_10empty_typeEbEEZZNS1_14partition_implILS5_5ELb0ES3_mN6thrust23THRUST_200600_302600_NS6detail15normal_iteratorINSA_10device_ptrIjEEEEPS6_NSA_18transform_iteratorINSB_9not_fun_tI7is_trueIjEEENSC_INSD_IbEEEENSA_11use_defaultESO_EENS0_5tupleIJNSA_16discard_iteratorISO_EES6_EEENSQ_IJSG_SG_EEES6_PlJS6_EEE10hipError_tPvRmT3_T4_T5_T6_T7_T9_mT8_P12ihipStream_tbDpT10_ENKUlT_T0_E_clISt17integral_constantIbLb0EES1F_EEDaS1A_S1B_EUlS1A_E_NS1_11comp_targetILNS1_3genE3ELNS1_11target_archE908ELNS1_3gpuE7ELNS1_3repE0EEENS1_30default_config_static_selectorELNS0_4arch9wavefront6targetE0EEEvT1_, .Lfunc_end2688-_ZN7rocprim17ROCPRIM_400000_NS6detail17trampoline_kernelINS0_14default_configENS1_25partition_config_selectorILNS1_17partition_subalgoE5EjNS0_10empty_typeEbEEZZNS1_14partition_implILS5_5ELb0ES3_mN6thrust23THRUST_200600_302600_NS6detail15normal_iteratorINSA_10device_ptrIjEEEEPS6_NSA_18transform_iteratorINSB_9not_fun_tI7is_trueIjEEENSC_INSD_IbEEEENSA_11use_defaultESO_EENS0_5tupleIJNSA_16discard_iteratorISO_EES6_EEENSQ_IJSG_SG_EEES6_PlJS6_EEE10hipError_tPvRmT3_T4_T5_T6_T7_T9_mT8_P12ihipStream_tbDpT10_ENKUlT_T0_E_clISt17integral_constantIbLb0EES1F_EEDaS1A_S1B_EUlS1A_E_NS1_11comp_targetILNS1_3genE3ELNS1_11target_archE908ELNS1_3gpuE7ELNS1_3repE0EEENS1_30default_config_static_selectorELNS0_4arch9wavefront6targetE0EEEvT1_
                                        ; -- End function
	.set _ZN7rocprim17ROCPRIM_400000_NS6detail17trampoline_kernelINS0_14default_configENS1_25partition_config_selectorILNS1_17partition_subalgoE5EjNS0_10empty_typeEbEEZZNS1_14partition_implILS5_5ELb0ES3_mN6thrust23THRUST_200600_302600_NS6detail15normal_iteratorINSA_10device_ptrIjEEEEPS6_NSA_18transform_iteratorINSB_9not_fun_tI7is_trueIjEEENSC_INSD_IbEEEENSA_11use_defaultESO_EENS0_5tupleIJNSA_16discard_iteratorISO_EES6_EEENSQ_IJSG_SG_EEES6_PlJS6_EEE10hipError_tPvRmT3_T4_T5_T6_T7_T9_mT8_P12ihipStream_tbDpT10_ENKUlT_T0_E_clISt17integral_constantIbLb0EES1F_EEDaS1A_S1B_EUlS1A_E_NS1_11comp_targetILNS1_3genE3ELNS1_11target_archE908ELNS1_3gpuE7ELNS1_3repE0EEENS1_30default_config_static_selectorELNS0_4arch9wavefront6targetE0EEEvT1_.num_vgpr, 0
	.set _ZN7rocprim17ROCPRIM_400000_NS6detail17trampoline_kernelINS0_14default_configENS1_25partition_config_selectorILNS1_17partition_subalgoE5EjNS0_10empty_typeEbEEZZNS1_14partition_implILS5_5ELb0ES3_mN6thrust23THRUST_200600_302600_NS6detail15normal_iteratorINSA_10device_ptrIjEEEEPS6_NSA_18transform_iteratorINSB_9not_fun_tI7is_trueIjEEENSC_INSD_IbEEEENSA_11use_defaultESO_EENS0_5tupleIJNSA_16discard_iteratorISO_EES6_EEENSQ_IJSG_SG_EEES6_PlJS6_EEE10hipError_tPvRmT3_T4_T5_T6_T7_T9_mT8_P12ihipStream_tbDpT10_ENKUlT_T0_E_clISt17integral_constantIbLb0EES1F_EEDaS1A_S1B_EUlS1A_E_NS1_11comp_targetILNS1_3genE3ELNS1_11target_archE908ELNS1_3gpuE7ELNS1_3repE0EEENS1_30default_config_static_selectorELNS0_4arch9wavefront6targetE0EEEvT1_.num_agpr, 0
	.set _ZN7rocprim17ROCPRIM_400000_NS6detail17trampoline_kernelINS0_14default_configENS1_25partition_config_selectorILNS1_17partition_subalgoE5EjNS0_10empty_typeEbEEZZNS1_14partition_implILS5_5ELb0ES3_mN6thrust23THRUST_200600_302600_NS6detail15normal_iteratorINSA_10device_ptrIjEEEEPS6_NSA_18transform_iteratorINSB_9not_fun_tI7is_trueIjEEENSC_INSD_IbEEEENSA_11use_defaultESO_EENS0_5tupleIJNSA_16discard_iteratorISO_EES6_EEENSQ_IJSG_SG_EEES6_PlJS6_EEE10hipError_tPvRmT3_T4_T5_T6_T7_T9_mT8_P12ihipStream_tbDpT10_ENKUlT_T0_E_clISt17integral_constantIbLb0EES1F_EEDaS1A_S1B_EUlS1A_E_NS1_11comp_targetILNS1_3genE3ELNS1_11target_archE908ELNS1_3gpuE7ELNS1_3repE0EEENS1_30default_config_static_selectorELNS0_4arch9wavefront6targetE0EEEvT1_.numbered_sgpr, 0
	.set _ZN7rocprim17ROCPRIM_400000_NS6detail17trampoline_kernelINS0_14default_configENS1_25partition_config_selectorILNS1_17partition_subalgoE5EjNS0_10empty_typeEbEEZZNS1_14partition_implILS5_5ELb0ES3_mN6thrust23THRUST_200600_302600_NS6detail15normal_iteratorINSA_10device_ptrIjEEEEPS6_NSA_18transform_iteratorINSB_9not_fun_tI7is_trueIjEEENSC_INSD_IbEEEENSA_11use_defaultESO_EENS0_5tupleIJNSA_16discard_iteratorISO_EES6_EEENSQ_IJSG_SG_EEES6_PlJS6_EEE10hipError_tPvRmT3_T4_T5_T6_T7_T9_mT8_P12ihipStream_tbDpT10_ENKUlT_T0_E_clISt17integral_constantIbLb0EES1F_EEDaS1A_S1B_EUlS1A_E_NS1_11comp_targetILNS1_3genE3ELNS1_11target_archE908ELNS1_3gpuE7ELNS1_3repE0EEENS1_30default_config_static_selectorELNS0_4arch9wavefront6targetE0EEEvT1_.num_named_barrier, 0
	.set _ZN7rocprim17ROCPRIM_400000_NS6detail17trampoline_kernelINS0_14default_configENS1_25partition_config_selectorILNS1_17partition_subalgoE5EjNS0_10empty_typeEbEEZZNS1_14partition_implILS5_5ELb0ES3_mN6thrust23THRUST_200600_302600_NS6detail15normal_iteratorINSA_10device_ptrIjEEEEPS6_NSA_18transform_iteratorINSB_9not_fun_tI7is_trueIjEEENSC_INSD_IbEEEENSA_11use_defaultESO_EENS0_5tupleIJNSA_16discard_iteratorISO_EES6_EEENSQ_IJSG_SG_EEES6_PlJS6_EEE10hipError_tPvRmT3_T4_T5_T6_T7_T9_mT8_P12ihipStream_tbDpT10_ENKUlT_T0_E_clISt17integral_constantIbLb0EES1F_EEDaS1A_S1B_EUlS1A_E_NS1_11comp_targetILNS1_3genE3ELNS1_11target_archE908ELNS1_3gpuE7ELNS1_3repE0EEENS1_30default_config_static_selectorELNS0_4arch9wavefront6targetE0EEEvT1_.private_seg_size, 0
	.set _ZN7rocprim17ROCPRIM_400000_NS6detail17trampoline_kernelINS0_14default_configENS1_25partition_config_selectorILNS1_17partition_subalgoE5EjNS0_10empty_typeEbEEZZNS1_14partition_implILS5_5ELb0ES3_mN6thrust23THRUST_200600_302600_NS6detail15normal_iteratorINSA_10device_ptrIjEEEEPS6_NSA_18transform_iteratorINSB_9not_fun_tI7is_trueIjEEENSC_INSD_IbEEEENSA_11use_defaultESO_EENS0_5tupleIJNSA_16discard_iteratorISO_EES6_EEENSQ_IJSG_SG_EEES6_PlJS6_EEE10hipError_tPvRmT3_T4_T5_T6_T7_T9_mT8_P12ihipStream_tbDpT10_ENKUlT_T0_E_clISt17integral_constantIbLb0EES1F_EEDaS1A_S1B_EUlS1A_E_NS1_11comp_targetILNS1_3genE3ELNS1_11target_archE908ELNS1_3gpuE7ELNS1_3repE0EEENS1_30default_config_static_selectorELNS0_4arch9wavefront6targetE0EEEvT1_.uses_vcc, 0
	.set _ZN7rocprim17ROCPRIM_400000_NS6detail17trampoline_kernelINS0_14default_configENS1_25partition_config_selectorILNS1_17partition_subalgoE5EjNS0_10empty_typeEbEEZZNS1_14partition_implILS5_5ELb0ES3_mN6thrust23THRUST_200600_302600_NS6detail15normal_iteratorINSA_10device_ptrIjEEEEPS6_NSA_18transform_iteratorINSB_9not_fun_tI7is_trueIjEEENSC_INSD_IbEEEENSA_11use_defaultESO_EENS0_5tupleIJNSA_16discard_iteratorISO_EES6_EEENSQ_IJSG_SG_EEES6_PlJS6_EEE10hipError_tPvRmT3_T4_T5_T6_T7_T9_mT8_P12ihipStream_tbDpT10_ENKUlT_T0_E_clISt17integral_constantIbLb0EES1F_EEDaS1A_S1B_EUlS1A_E_NS1_11comp_targetILNS1_3genE3ELNS1_11target_archE908ELNS1_3gpuE7ELNS1_3repE0EEENS1_30default_config_static_selectorELNS0_4arch9wavefront6targetE0EEEvT1_.uses_flat_scratch, 0
	.set _ZN7rocprim17ROCPRIM_400000_NS6detail17trampoline_kernelINS0_14default_configENS1_25partition_config_selectorILNS1_17partition_subalgoE5EjNS0_10empty_typeEbEEZZNS1_14partition_implILS5_5ELb0ES3_mN6thrust23THRUST_200600_302600_NS6detail15normal_iteratorINSA_10device_ptrIjEEEEPS6_NSA_18transform_iteratorINSB_9not_fun_tI7is_trueIjEEENSC_INSD_IbEEEENSA_11use_defaultESO_EENS0_5tupleIJNSA_16discard_iteratorISO_EES6_EEENSQ_IJSG_SG_EEES6_PlJS6_EEE10hipError_tPvRmT3_T4_T5_T6_T7_T9_mT8_P12ihipStream_tbDpT10_ENKUlT_T0_E_clISt17integral_constantIbLb0EES1F_EEDaS1A_S1B_EUlS1A_E_NS1_11comp_targetILNS1_3genE3ELNS1_11target_archE908ELNS1_3gpuE7ELNS1_3repE0EEENS1_30default_config_static_selectorELNS0_4arch9wavefront6targetE0EEEvT1_.has_dyn_sized_stack, 0
	.set _ZN7rocprim17ROCPRIM_400000_NS6detail17trampoline_kernelINS0_14default_configENS1_25partition_config_selectorILNS1_17partition_subalgoE5EjNS0_10empty_typeEbEEZZNS1_14partition_implILS5_5ELb0ES3_mN6thrust23THRUST_200600_302600_NS6detail15normal_iteratorINSA_10device_ptrIjEEEEPS6_NSA_18transform_iteratorINSB_9not_fun_tI7is_trueIjEEENSC_INSD_IbEEEENSA_11use_defaultESO_EENS0_5tupleIJNSA_16discard_iteratorISO_EES6_EEENSQ_IJSG_SG_EEES6_PlJS6_EEE10hipError_tPvRmT3_T4_T5_T6_T7_T9_mT8_P12ihipStream_tbDpT10_ENKUlT_T0_E_clISt17integral_constantIbLb0EES1F_EEDaS1A_S1B_EUlS1A_E_NS1_11comp_targetILNS1_3genE3ELNS1_11target_archE908ELNS1_3gpuE7ELNS1_3repE0EEENS1_30default_config_static_selectorELNS0_4arch9wavefront6targetE0EEEvT1_.has_recursion, 0
	.set _ZN7rocprim17ROCPRIM_400000_NS6detail17trampoline_kernelINS0_14default_configENS1_25partition_config_selectorILNS1_17partition_subalgoE5EjNS0_10empty_typeEbEEZZNS1_14partition_implILS5_5ELb0ES3_mN6thrust23THRUST_200600_302600_NS6detail15normal_iteratorINSA_10device_ptrIjEEEEPS6_NSA_18transform_iteratorINSB_9not_fun_tI7is_trueIjEEENSC_INSD_IbEEEENSA_11use_defaultESO_EENS0_5tupleIJNSA_16discard_iteratorISO_EES6_EEENSQ_IJSG_SG_EEES6_PlJS6_EEE10hipError_tPvRmT3_T4_T5_T6_T7_T9_mT8_P12ihipStream_tbDpT10_ENKUlT_T0_E_clISt17integral_constantIbLb0EES1F_EEDaS1A_S1B_EUlS1A_E_NS1_11comp_targetILNS1_3genE3ELNS1_11target_archE908ELNS1_3gpuE7ELNS1_3repE0EEENS1_30default_config_static_selectorELNS0_4arch9wavefront6targetE0EEEvT1_.has_indirect_call, 0
	.section	.AMDGPU.csdata,"",@progbits
; Kernel info:
; codeLenInByte = 0
; TotalNumSgprs: 0
; NumVgprs: 0
; ScratchSize: 0
; MemoryBound: 0
; FloatMode: 240
; IeeeMode: 1
; LDSByteSize: 0 bytes/workgroup (compile time only)
; SGPRBlocks: 0
; VGPRBlocks: 0
; NumSGPRsForWavesPerEU: 1
; NumVGPRsForWavesPerEU: 1
; Occupancy: 16
; WaveLimiterHint : 0
; COMPUTE_PGM_RSRC2:SCRATCH_EN: 0
; COMPUTE_PGM_RSRC2:USER_SGPR: 2
; COMPUTE_PGM_RSRC2:TRAP_HANDLER: 0
; COMPUTE_PGM_RSRC2:TGID_X_EN: 1
; COMPUTE_PGM_RSRC2:TGID_Y_EN: 0
; COMPUTE_PGM_RSRC2:TGID_Z_EN: 0
; COMPUTE_PGM_RSRC2:TIDIG_COMP_CNT: 0
	.section	.text._ZN7rocprim17ROCPRIM_400000_NS6detail17trampoline_kernelINS0_14default_configENS1_25partition_config_selectorILNS1_17partition_subalgoE5EjNS0_10empty_typeEbEEZZNS1_14partition_implILS5_5ELb0ES3_mN6thrust23THRUST_200600_302600_NS6detail15normal_iteratorINSA_10device_ptrIjEEEEPS6_NSA_18transform_iteratorINSB_9not_fun_tI7is_trueIjEEENSC_INSD_IbEEEENSA_11use_defaultESO_EENS0_5tupleIJNSA_16discard_iteratorISO_EES6_EEENSQ_IJSG_SG_EEES6_PlJS6_EEE10hipError_tPvRmT3_T4_T5_T6_T7_T9_mT8_P12ihipStream_tbDpT10_ENKUlT_T0_E_clISt17integral_constantIbLb0EES1F_EEDaS1A_S1B_EUlS1A_E_NS1_11comp_targetILNS1_3genE2ELNS1_11target_archE906ELNS1_3gpuE6ELNS1_3repE0EEENS1_30default_config_static_selectorELNS0_4arch9wavefront6targetE0EEEvT1_,"axG",@progbits,_ZN7rocprim17ROCPRIM_400000_NS6detail17trampoline_kernelINS0_14default_configENS1_25partition_config_selectorILNS1_17partition_subalgoE5EjNS0_10empty_typeEbEEZZNS1_14partition_implILS5_5ELb0ES3_mN6thrust23THRUST_200600_302600_NS6detail15normal_iteratorINSA_10device_ptrIjEEEEPS6_NSA_18transform_iteratorINSB_9not_fun_tI7is_trueIjEEENSC_INSD_IbEEEENSA_11use_defaultESO_EENS0_5tupleIJNSA_16discard_iteratorISO_EES6_EEENSQ_IJSG_SG_EEES6_PlJS6_EEE10hipError_tPvRmT3_T4_T5_T6_T7_T9_mT8_P12ihipStream_tbDpT10_ENKUlT_T0_E_clISt17integral_constantIbLb0EES1F_EEDaS1A_S1B_EUlS1A_E_NS1_11comp_targetILNS1_3genE2ELNS1_11target_archE906ELNS1_3gpuE6ELNS1_3repE0EEENS1_30default_config_static_selectorELNS0_4arch9wavefront6targetE0EEEvT1_,comdat
	.protected	_ZN7rocprim17ROCPRIM_400000_NS6detail17trampoline_kernelINS0_14default_configENS1_25partition_config_selectorILNS1_17partition_subalgoE5EjNS0_10empty_typeEbEEZZNS1_14partition_implILS5_5ELb0ES3_mN6thrust23THRUST_200600_302600_NS6detail15normal_iteratorINSA_10device_ptrIjEEEEPS6_NSA_18transform_iteratorINSB_9not_fun_tI7is_trueIjEEENSC_INSD_IbEEEENSA_11use_defaultESO_EENS0_5tupleIJNSA_16discard_iteratorISO_EES6_EEENSQ_IJSG_SG_EEES6_PlJS6_EEE10hipError_tPvRmT3_T4_T5_T6_T7_T9_mT8_P12ihipStream_tbDpT10_ENKUlT_T0_E_clISt17integral_constantIbLb0EES1F_EEDaS1A_S1B_EUlS1A_E_NS1_11comp_targetILNS1_3genE2ELNS1_11target_archE906ELNS1_3gpuE6ELNS1_3repE0EEENS1_30default_config_static_selectorELNS0_4arch9wavefront6targetE0EEEvT1_ ; -- Begin function _ZN7rocprim17ROCPRIM_400000_NS6detail17trampoline_kernelINS0_14default_configENS1_25partition_config_selectorILNS1_17partition_subalgoE5EjNS0_10empty_typeEbEEZZNS1_14partition_implILS5_5ELb0ES3_mN6thrust23THRUST_200600_302600_NS6detail15normal_iteratorINSA_10device_ptrIjEEEEPS6_NSA_18transform_iteratorINSB_9not_fun_tI7is_trueIjEEENSC_INSD_IbEEEENSA_11use_defaultESO_EENS0_5tupleIJNSA_16discard_iteratorISO_EES6_EEENSQ_IJSG_SG_EEES6_PlJS6_EEE10hipError_tPvRmT3_T4_T5_T6_T7_T9_mT8_P12ihipStream_tbDpT10_ENKUlT_T0_E_clISt17integral_constantIbLb0EES1F_EEDaS1A_S1B_EUlS1A_E_NS1_11comp_targetILNS1_3genE2ELNS1_11target_archE906ELNS1_3gpuE6ELNS1_3repE0EEENS1_30default_config_static_selectorELNS0_4arch9wavefront6targetE0EEEvT1_
	.globl	_ZN7rocprim17ROCPRIM_400000_NS6detail17trampoline_kernelINS0_14default_configENS1_25partition_config_selectorILNS1_17partition_subalgoE5EjNS0_10empty_typeEbEEZZNS1_14partition_implILS5_5ELb0ES3_mN6thrust23THRUST_200600_302600_NS6detail15normal_iteratorINSA_10device_ptrIjEEEEPS6_NSA_18transform_iteratorINSB_9not_fun_tI7is_trueIjEEENSC_INSD_IbEEEENSA_11use_defaultESO_EENS0_5tupleIJNSA_16discard_iteratorISO_EES6_EEENSQ_IJSG_SG_EEES6_PlJS6_EEE10hipError_tPvRmT3_T4_T5_T6_T7_T9_mT8_P12ihipStream_tbDpT10_ENKUlT_T0_E_clISt17integral_constantIbLb0EES1F_EEDaS1A_S1B_EUlS1A_E_NS1_11comp_targetILNS1_3genE2ELNS1_11target_archE906ELNS1_3gpuE6ELNS1_3repE0EEENS1_30default_config_static_selectorELNS0_4arch9wavefront6targetE0EEEvT1_
	.p2align	8
	.type	_ZN7rocprim17ROCPRIM_400000_NS6detail17trampoline_kernelINS0_14default_configENS1_25partition_config_selectorILNS1_17partition_subalgoE5EjNS0_10empty_typeEbEEZZNS1_14partition_implILS5_5ELb0ES3_mN6thrust23THRUST_200600_302600_NS6detail15normal_iteratorINSA_10device_ptrIjEEEEPS6_NSA_18transform_iteratorINSB_9not_fun_tI7is_trueIjEEENSC_INSD_IbEEEENSA_11use_defaultESO_EENS0_5tupleIJNSA_16discard_iteratorISO_EES6_EEENSQ_IJSG_SG_EEES6_PlJS6_EEE10hipError_tPvRmT3_T4_T5_T6_T7_T9_mT8_P12ihipStream_tbDpT10_ENKUlT_T0_E_clISt17integral_constantIbLb0EES1F_EEDaS1A_S1B_EUlS1A_E_NS1_11comp_targetILNS1_3genE2ELNS1_11target_archE906ELNS1_3gpuE6ELNS1_3repE0EEENS1_30default_config_static_selectorELNS0_4arch9wavefront6targetE0EEEvT1_,@function
_ZN7rocprim17ROCPRIM_400000_NS6detail17trampoline_kernelINS0_14default_configENS1_25partition_config_selectorILNS1_17partition_subalgoE5EjNS0_10empty_typeEbEEZZNS1_14partition_implILS5_5ELb0ES3_mN6thrust23THRUST_200600_302600_NS6detail15normal_iteratorINSA_10device_ptrIjEEEEPS6_NSA_18transform_iteratorINSB_9not_fun_tI7is_trueIjEEENSC_INSD_IbEEEENSA_11use_defaultESO_EENS0_5tupleIJNSA_16discard_iteratorISO_EES6_EEENSQ_IJSG_SG_EEES6_PlJS6_EEE10hipError_tPvRmT3_T4_T5_T6_T7_T9_mT8_P12ihipStream_tbDpT10_ENKUlT_T0_E_clISt17integral_constantIbLb0EES1F_EEDaS1A_S1B_EUlS1A_E_NS1_11comp_targetILNS1_3genE2ELNS1_11target_archE906ELNS1_3gpuE6ELNS1_3repE0EEENS1_30default_config_static_selectorELNS0_4arch9wavefront6targetE0EEEvT1_: ; @_ZN7rocprim17ROCPRIM_400000_NS6detail17trampoline_kernelINS0_14default_configENS1_25partition_config_selectorILNS1_17partition_subalgoE5EjNS0_10empty_typeEbEEZZNS1_14partition_implILS5_5ELb0ES3_mN6thrust23THRUST_200600_302600_NS6detail15normal_iteratorINSA_10device_ptrIjEEEEPS6_NSA_18transform_iteratorINSB_9not_fun_tI7is_trueIjEEENSC_INSD_IbEEEENSA_11use_defaultESO_EENS0_5tupleIJNSA_16discard_iteratorISO_EES6_EEENSQ_IJSG_SG_EEES6_PlJS6_EEE10hipError_tPvRmT3_T4_T5_T6_T7_T9_mT8_P12ihipStream_tbDpT10_ENKUlT_T0_E_clISt17integral_constantIbLb0EES1F_EEDaS1A_S1B_EUlS1A_E_NS1_11comp_targetILNS1_3genE2ELNS1_11target_archE906ELNS1_3gpuE6ELNS1_3repE0EEENS1_30default_config_static_selectorELNS0_4arch9wavefront6targetE0EEEvT1_
; %bb.0:
	.section	.rodata,"a",@progbits
	.p2align	6, 0x0
	.amdhsa_kernel _ZN7rocprim17ROCPRIM_400000_NS6detail17trampoline_kernelINS0_14default_configENS1_25partition_config_selectorILNS1_17partition_subalgoE5EjNS0_10empty_typeEbEEZZNS1_14partition_implILS5_5ELb0ES3_mN6thrust23THRUST_200600_302600_NS6detail15normal_iteratorINSA_10device_ptrIjEEEEPS6_NSA_18transform_iteratorINSB_9not_fun_tI7is_trueIjEEENSC_INSD_IbEEEENSA_11use_defaultESO_EENS0_5tupleIJNSA_16discard_iteratorISO_EES6_EEENSQ_IJSG_SG_EEES6_PlJS6_EEE10hipError_tPvRmT3_T4_T5_T6_T7_T9_mT8_P12ihipStream_tbDpT10_ENKUlT_T0_E_clISt17integral_constantIbLb0EES1F_EEDaS1A_S1B_EUlS1A_E_NS1_11comp_targetILNS1_3genE2ELNS1_11target_archE906ELNS1_3gpuE6ELNS1_3repE0EEENS1_30default_config_static_selectorELNS0_4arch9wavefront6targetE0EEEvT1_
		.amdhsa_group_segment_fixed_size 0
		.amdhsa_private_segment_fixed_size 0
		.amdhsa_kernarg_size 128
		.amdhsa_user_sgpr_count 2
		.amdhsa_user_sgpr_dispatch_ptr 0
		.amdhsa_user_sgpr_queue_ptr 0
		.amdhsa_user_sgpr_kernarg_segment_ptr 1
		.amdhsa_user_sgpr_dispatch_id 0
		.amdhsa_user_sgpr_private_segment_size 0
		.amdhsa_wavefront_size32 1
		.amdhsa_uses_dynamic_stack 0
		.amdhsa_enable_private_segment 0
		.amdhsa_system_sgpr_workgroup_id_x 1
		.amdhsa_system_sgpr_workgroup_id_y 0
		.amdhsa_system_sgpr_workgroup_id_z 0
		.amdhsa_system_sgpr_workgroup_info 0
		.amdhsa_system_vgpr_workitem_id 0
		.amdhsa_next_free_vgpr 1
		.amdhsa_next_free_sgpr 1
		.amdhsa_reserve_vcc 0
		.amdhsa_float_round_mode_32 0
		.amdhsa_float_round_mode_16_64 0
		.amdhsa_float_denorm_mode_32 3
		.amdhsa_float_denorm_mode_16_64 3
		.amdhsa_fp16_overflow 0
		.amdhsa_workgroup_processor_mode 1
		.amdhsa_memory_ordered 1
		.amdhsa_forward_progress 1
		.amdhsa_inst_pref_size 0
		.amdhsa_round_robin_scheduling 0
		.amdhsa_exception_fp_ieee_invalid_op 0
		.amdhsa_exception_fp_denorm_src 0
		.amdhsa_exception_fp_ieee_div_zero 0
		.amdhsa_exception_fp_ieee_overflow 0
		.amdhsa_exception_fp_ieee_underflow 0
		.amdhsa_exception_fp_ieee_inexact 0
		.amdhsa_exception_int_div_zero 0
	.end_amdhsa_kernel
	.section	.text._ZN7rocprim17ROCPRIM_400000_NS6detail17trampoline_kernelINS0_14default_configENS1_25partition_config_selectorILNS1_17partition_subalgoE5EjNS0_10empty_typeEbEEZZNS1_14partition_implILS5_5ELb0ES3_mN6thrust23THRUST_200600_302600_NS6detail15normal_iteratorINSA_10device_ptrIjEEEEPS6_NSA_18transform_iteratorINSB_9not_fun_tI7is_trueIjEEENSC_INSD_IbEEEENSA_11use_defaultESO_EENS0_5tupleIJNSA_16discard_iteratorISO_EES6_EEENSQ_IJSG_SG_EEES6_PlJS6_EEE10hipError_tPvRmT3_T4_T5_T6_T7_T9_mT8_P12ihipStream_tbDpT10_ENKUlT_T0_E_clISt17integral_constantIbLb0EES1F_EEDaS1A_S1B_EUlS1A_E_NS1_11comp_targetILNS1_3genE2ELNS1_11target_archE906ELNS1_3gpuE6ELNS1_3repE0EEENS1_30default_config_static_selectorELNS0_4arch9wavefront6targetE0EEEvT1_,"axG",@progbits,_ZN7rocprim17ROCPRIM_400000_NS6detail17trampoline_kernelINS0_14default_configENS1_25partition_config_selectorILNS1_17partition_subalgoE5EjNS0_10empty_typeEbEEZZNS1_14partition_implILS5_5ELb0ES3_mN6thrust23THRUST_200600_302600_NS6detail15normal_iteratorINSA_10device_ptrIjEEEEPS6_NSA_18transform_iteratorINSB_9not_fun_tI7is_trueIjEEENSC_INSD_IbEEEENSA_11use_defaultESO_EENS0_5tupleIJNSA_16discard_iteratorISO_EES6_EEENSQ_IJSG_SG_EEES6_PlJS6_EEE10hipError_tPvRmT3_T4_T5_T6_T7_T9_mT8_P12ihipStream_tbDpT10_ENKUlT_T0_E_clISt17integral_constantIbLb0EES1F_EEDaS1A_S1B_EUlS1A_E_NS1_11comp_targetILNS1_3genE2ELNS1_11target_archE906ELNS1_3gpuE6ELNS1_3repE0EEENS1_30default_config_static_selectorELNS0_4arch9wavefront6targetE0EEEvT1_,comdat
.Lfunc_end2689:
	.size	_ZN7rocprim17ROCPRIM_400000_NS6detail17trampoline_kernelINS0_14default_configENS1_25partition_config_selectorILNS1_17partition_subalgoE5EjNS0_10empty_typeEbEEZZNS1_14partition_implILS5_5ELb0ES3_mN6thrust23THRUST_200600_302600_NS6detail15normal_iteratorINSA_10device_ptrIjEEEEPS6_NSA_18transform_iteratorINSB_9not_fun_tI7is_trueIjEEENSC_INSD_IbEEEENSA_11use_defaultESO_EENS0_5tupleIJNSA_16discard_iteratorISO_EES6_EEENSQ_IJSG_SG_EEES6_PlJS6_EEE10hipError_tPvRmT3_T4_T5_T6_T7_T9_mT8_P12ihipStream_tbDpT10_ENKUlT_T0_E_clISt17integral_constantIbLb0EES1F_EEDaS1A_S1B_EUlS1A_E_NS1_11comp_targetILNS1_3genE2ELNS1_11target_archE906ELNS1_3gpuE6ELNS1_3repE0EEENS1_30default_config_static_selectorELNS0_4arch9wavefront6targetE0EEEvT1_, .Lfunc_end2689-_ZN7rocprim17ROCPRIM_400000_NS6detail17trampoline_kernelINS0_14default_configENS1_25partition_config_selectorILNS1_17partition_subalgoE5EjNS0_10empty_typeEbEEZZNS1_14partition_implILS5_5ELb0ES3_mN6thrust23THRUST_200600_302600_NS6detail15normal_iteratorINSA_10device_ptrIjEEEEPS6_NSA_18transform_iteratorINSB_9not_fun_tI7is_trueIjEEENSC_INSD_IbEEEENSA_11use_defaultESO_EENS0_5tupleIJNSA_16discard_iteratorISO_EES6_EEENSQ_IJSG_SG_EEES6_PlJS6_EEE10hipError_tPvRmT3_T4_T5_T6_T7_T9_mT8_P12ihipStream_tbDpT10_ENKUlT_T0_E_clISt17integral_constantIbLb0EES1F_EEDaS1A_S1B_EUlS1A_E_NS1_11comp_targetILNS1_3genE2ELNS1_11target_archE906ELNS1_3gpuE6ELNS1_3repE0EEENS1_30default_config_static_selectorELNS0_4arch9wavefront6targetE0EEEvT1_
                                        ; -- End function
	.set _ZN7rocprim17ROCPRIM_400000_NS6detail17trampoline_kernelINS0_14default_configENS1_25partition_config_selectorILNS1_17partition_subalgoE5EjNS0_10empty_typeEbEEZZNS1_14partition_implILS5_5ELb0ES3_mN6thrust23THRUST_200600_302600_NS6detail15normal_iteratorINSA_10device_ptrIjEEEEPS6_NSA_18transform_iteratorINSB_9not_fun_tI7is_trueIjEEENSC_INSD_IbEEEENSA_11use_defaultESO_EENS0_5tupleIJNSA_16discard_iteratorISO_EES6_EEENSQ_IJSG_SG_EEES6_PlJS6_EEE10hipError_tPvRmT3_T4_T5_T6_T7_T9_mT8_P12ihipStream_tbDpT10_ENKUlT_T0_E_clISt17integral_constantIbLb0EES1F_EEDaS1A_S1B_EUlS1A_E_NS1_11comp_targetILNS1_3genE2ELNS1_11target_archE906ELNS1_3gpuE6ELNS1_3repE0EEENS1_30default_config_static_selectorELNS0_4arch9wavefront6targetE0EEEvT1_.num_vgpr, 0
	.set _ZN7rocprim17ROCPRIM_400000_NS6detail17trampoline_kernelINS0_14default_configENS1_25partition_config_selectorILNS1_17partition_subalgoE5EjNS0_10empty_typeEbEEZZNS1_14partition_implILS5_5ELb0ES3_mN6thrust23THRUST_200600_302600_NS6detail15normal_iteratorINSA_10device_ptrIjEEEEPS6_NSA_18transform_iteratorINSB_9not_fun_tI7is_trueIjEEENSC_INSD_IbEEEENSA_11use_defaultESO_EENS0_5tupleIJNSA_16discard_iteratorISO_EES6_EEENSQ_IJSG_SG_EEES6_PlJS6_EEE10hipError_tPvRmT3_T4_T5_T6_T7_T9_mT8_P12ihipStream_tbDpT10_ENKUlT_T0_E_clISt17integral_constantIbLb0EES1F_EEDaS1A_S1B_EUlS1A_E_NS1_11comp_targetILNS1_3genE2ELNS1_11target_archE906ELNS1_3gpuE6ELNS1_3repE0EEENS1_30default_config_static_selectorELNS0_4arch9wavefront6targetE0EEEvT1_.num_agpr, 0
	.set _ZN7rocprim17ROCPRIM_400000_NS6detail17trampoline_kernelINS0_14default_configENS1_25partition_config_selectorILNS1_17partition_subalgoE5EjNS0_10empty_typeEbEEZZNS1_14partition_implILS5_5ELb0ES3_mN6thrust23THRUST_200600_302600_NS6detail15normal_iteratorINSA_10device_ptrIjEEEEPS6_NSA_18transform_iteratorINSB_9not_fun_tI7is_trueIjEEENSC_INSD_IbEEEENSA_11use_defaultESO_EENS0_5tupleIJNSA_16discard_iteratorISO_EES6_EEENSQ_IJSG_SG_EEES6_PlJS6_EEE10hipError_tPvRmT3_T4_T5_T6_T7_T9_mT8_P12ihipStream_tbDpT10_ENKUlT_T0_E_clISt17integral_constantIbLb0EES1F_EEDaS1A_S1B_EUlS1A_E_NS1_11comp_targetILNS1_3genE2ELNS1_11target_archE906ELNS1_3gpuE6ELNS1_3repE0EEENS1_30default_config_static_selectorELNS0_4arch9wavefront6targetE0EEEvT1_.numbered_sgpr, 0
	.set _ZN7rocprim17ROCPRIM_400000_NS6detail17trampoline_kernelINS0_14default_configENS1_25partition_config_selectorILNS1_17partition_subalgoE5EjNS0_10empty_typeEbEEZZNS1_14partition_implILS5_5ELb0ES3_mN6thrust23THRUST_200600_302600_NS6detail15normal_iteratorINSA_10device_ptrIjEEEEPS6_NSA_18transform_iteratorINSB_9not_fun_tI7is_trueIjEEENSC_INSD_IbEEEENSA_11use_defaultESO_EENS0_5tupleIJNSA_16discard_iteratorISO_EES6_EEENSQ_IJSG_SG_EEES6_PlJS6_EEE10hipError_tPvRmT3_T4_T5_T6_T7_T9_mT8_P12ihipStream_tbDpT10_ENKUlT_T0_E_clISt17integral_constantIbLb0EES1F_EEDaS1A_S1B_EUlS1A_E_NS1_11comp_targetILNS1_3genE2ELNS1_11target_archE906ELNS1_3gpuE6ELNS1_3repE0EEENS1_30default_config_static_selectorELNS0_4arch9wavefront6targetE0EEEvT1_.num_named_barrier, 0
	.set _ZN7rocprim17ROCPRIM_400000_NS6detail17trampoline_kernelINS0_14default_configENS1_25partition_config_selectorILNS1_17partition_subalgoE5EjNS0_10empty_typeEbEEZZNS1_14partition_implILS5_5ELb0ES3_mN6thrust23THRUST_200600_302600_NS6detail15normal_iteratorINSA_10device_ptrIjEEEEPS6_NSA_18transform_iteratorINSB_9not_fun_tI7is_trueIjEEENSC_INSD_IbEEEENSA_11use_defaultESO_EENS0_5tupleIJNSA_16discard_iteratorISO_EES6_EEENSQ_IJSG_SG_EEES6_PlJS6_EEE10hipError_tPvRmT3_T4_T5_T6_T7_T9_mT8_P12ihipStream_tbDpT10_ENKUlT_T0_E_clISt17integral_constantIbLb0EES1F_EEDaS1A_S1B_EUlS1A_E_NS1_11comp_targetILNS1_3genE2ELNS1_11target_archE906ELNS1_3gpuE6ELNS1_3repE0EEENS1_30default_config_static_selectorELNS0_4arch9wavefront6targetE0EEEvT1_.private_seg_size, 0
	.set _ZN7rocprim17ROCPRIM_400000_NS6detail17trampoline_kernelINS0_14default_configENS1_25partition_config_selectorILNS1_17partition_subalgoE5EjNS0_10empty_typeEbEEZZNS1_14partition_implILS5_5ELb0ES3_mN6thrust23THRUST_200600_302600_NS6detail15normal_iteratorINSA_10device_ptrIjEEEEPS6_NSA_18transform_iteratorINSB_9not_fun_tI7is_trueIjEEENSC_INSD_IbEEEENSA_11use_defaultESO_EENS0_5tupleIJNSA_16discard_iteratorISO_EES6_EEENSQ_IJSG_SG_EEES6_PlJS6_EEE10hipError_tPvRmT3_T4_T5_T6_T7_T9_mT8_P12ihipStream_tbDpT10_ENKUlT_T0_E_clISt17integral_constantIbLb0EES1F_EEDaS1A_S1B_EUlS1A_E_NS1_11comp_targetILNS1_3genE2ELNS1_11target_archE906ELNS1_3gpuE6ELNS1_3repE0EEENS1_30default_config_static_selectorELNS0_4arch9wavefront6targetE0EEEvT1_.uses_vcc, 0
	.set _ZN7rocprim17ROCPRIM_400000_NS6detail17trampoline_kernelINS0_14default_configENS1_25partition_config_selectorILNS1_17partition_subalgoE5EjNS0_10empty_typeEbEEZZNS1_14partition_implILS5_5ELb0ES3_mN6thrust23THRUST_200600_302600_NS6detail15normal_iteratorINSA_10device_ptrIjEEEEPS6_NSA_18transform_iteratorINSB_9not_fun_tI7is_trueIjEEENSC_INSD_IbEEEENSA_11use_defaultESO_EENS0_5tupleIJNSA_16discard_iteratorISO_EES6_EEENSQ_IJSG_SG_EEES6_PlJS6_EEE10hipError_tPvRmT3_T4_T5_T6_T7_T9_mT8_P12ihipStream_tbDpT10_ENKUlT_T0_E_clISt17integral_constantIbLb0EES1F_EEDaS1A_S1B_EUlS1A_E_NS1_11comp_targetILNS1_3genE2ELNS1_11target_archE906ELNS1_3gpuE6ELNS1_3repE0EEENS1_30default_config_static_selectorELNS0_4arch9wavefront6targetE0EEEvT1_.uses_flat_scratch, 0
	.set _ZN7rocprim17ROCPRIM_400000_NS6detail17trampoline_kernelINS0_14default_configENS1_25partition_config_selectorILNS1_17partition_subalgoE5EjNS0_10empty_typeEbEEZZNS1_14partition_implILS5_5ELb0ES3_mN6thrust23THRUST_200600_302600_NS6detail15normal_iteratorINSA_10device_ptrIjEEEEPS6_NSA_18transform_iteratorINSB_9not_fun_tI7is_trueIjEEENSC_INSD_IbEEEENSA_11use_defaultESO_EENS0_5tupleIJNSA_16discard_iteratorISO_EES6_EEENSQ_IJSG_SG_EEES6_PlJS6_EEE10hipError_tPvRmT3_T4_T5_T6_T7_T9_mT8_P12ihipStream_tbDpT10_ENKUlT_T0_E_clISt17integral_constantIbLb0EES1F_EEDaS1A_S1B_EUlS1A_E_NS1_11comp_targetILNS1_3genE2ELNS1_11target_archE906ELNS1_3gpuE6ELNS1_3repE0EEENS1_30default_config_static_selectorELNS0_4arch9wavefront6targetE0EEEvT1_.has_dyn_sized_stack, 0
	.set _ZN7rocprim17ROCPRIM_400000_NS6detail17trampoline_kernelINS0_14default_configENS1_25partition_config_selectorILNS1_17partition_subalgoE5EjNS0_10empty_typeEbEEZZNS1_14partition_implILS5_5ELb0ES3_mN6thrust23THRUST_200600_302600_NS6detail15normal_iteratorINSA_10device_ptrIjEEEEPS6_NSA_18transform_iteratorINSB_9not_fun_tI7is_trueIjEEENSC_INSD_IbEEEENSA_11use_defaultESO_EENS0_5tupleIJNSA_16discard_iteratorISO_EES6_EEENSQ_IJSG_SG_EEES6_PlJS6_EEE10hipError_tPvRmT3_T4_T5_T6_T7_T9_mT8_P12ihipStream_tbDpT10_ENKUlT_T0_E_clISt17integral_constantIbLb0EES1F_EEDaS1A_S1B_EUlS1A_E_NS1_11comp_targetILNS1_3genE2ELNS1_11target_archE906ELNS1_3gpuE6ELNS1_3repE0EEENS1_30default_config_static_selectorELNS0_4arch9wavefront6targetE0EEEvT1_.has_recursion, 0
	.set _ZN7rocprim17ROCPRIM_400000_NS6detail17trampoline_kernelINS0_14default_configENS1_25partition_config_selectorILNS1_17partition_subalgoE5EjNS0_10empty_typeEbEEZZNS1_14partition_implILS5_5ELb0ES3_mN6thrust23THRUST_200600_302600_NS6detail15normal_iteratorINSA_10device_ptrIjEEEEPS6_NSA_18transform_iteratorINSB_9not_fun_tI7is_trueIjEEENSC_INSD_IbEEEENSA_11use_defaultESO_EENS0_5tupleIJNSA_16discard_iteratorISO_EES6_EEENSQ_IJSG_SG_EEES6_PlJS6_EEE10hipError_tPvRmT3_T4_T5_T6_T7_T9_mT8_P12ihipStream_tbDpT10_ENKUlT_T0_E_clISt17integral_constantIbLb0EES1F_EEDaS1A_S1B_EUlS1A_E_NS1_11comp_targetILNS1_3genE2ELNS1_11target_archE906ELNS1_3gpuE6ELNS1_3repE0EEENS1_30default_config_static_selectorELNS0_4arch9wavefront6targetE0EEEvT1_.has_indirect_call, 0
	.section	.AMDGPU.csdata,"",@progbits
; Kernel info:
; codeLenInByte = 0
; TotalNumSgprs: 0
; NumVgprs: 0
; ScratchSize: 0
; MemoryBound: 0
; FloatMode: 240
; IeeeMode: 1
; LDSByteSize: 0 bytes/workgroup (compile time only)
; SGPRBlocks: 0
; VGPRBlocks: 0
; NumSGPRsForWavesPerEU: 1
; NumVGPRsForWavesPerEU: 1
; Occupancy: 16
; WaveLimiterHint : 0
; COMPUTE_PGM_RSRC2:SCRATCH_EN: 0
; COMPUTE_PGM_RSRC2:USER_SGPR: 2
; COMPUTE_PGM_RSRC2:TRAP_HANDLER: 0
; COMPUTE_PGM_RSRC2:TGID_X_EN: 1
; COMPUTE_PGM_RSRC2:TGID_Y_EN: 0
; COMPUTE_PGM_RSRC2:TGID_Z_EN: 0
; COMPUTE_PGM_RSRC2:TIDIG_COMP_CNT: 0
	.section	.text._ZN7rocprim17ROCPRIM_400000_NS6detail17trampoline_kernelINS0_14default_configENS1_25partition_config_selectorILNS1_17partition_subalgoE5EjNS0_10empty_typeEbEEZZNS1_14partition_implILS5_5ELb0ES3_mN6thrust23THRUST_200600_302600_NS6detail15normal_iteratorINSA_10device_ptrIjEEEEPS6_NSA_18transform_iteratorINSB_9not_fun_tI7is_trueIjEEENSC_INSD_IbEEEENSA_11use_defaultESO_EENS0_5tupleIJNSA_16discard_iteratorISO_EES6_EEENSQ_IJSG_SG_EEES6_PlJS6_EEE10hipError_tPvRmT3_T4_T5_T6_T7_T9_mT8_P12ihipStream_tbDpT10_ENKUlT_T0_E_clISt17integral_constantIbLb0EES1F_EEDaS1A_S1B_EUlS1A_E_NS1_11comp_targetILNS1_3genE10ELNS1_11target_archE1200ELNS1_3gpuE4ELNS1_3repE0EEENS1_30default_config_static_selectorELNS0_4arch9wavefront6targetE0EEEvT1_,"axG",@progbits,_ZN7rocprim17ROCPRIM_400000_NS6detail17trampoline_kernelINS0_14default_configENS1_25partition_config_selectorILNS1_17partition_subalgoE5EjNS0_10empty_typeEbEEZZNS1_14partition_implILS5_5ELb0ES3_mN6thrust23THRUST_200600_302600_NS6detail15normal_iteratorINSA_10device_ptrIjEEEEPS6_NSA_18transform_iteratorINSB_9not_fun_tI7is_trueIjEEENSC_INSD_IbEEEENSA_11use_defaultESO_EENS0_5tupleIJNSA_16discard_iteratorISO_EES6_EEENSQ_IJSG_SG_EEES6_PlJS6_EEE10hipError_tPvRmT3_T4_T5_T6_T7_T9_mT8_P12ihipStream_tbDpT10_ENKUlT_T0_E_clISt17integral_constantIbLb0EES1F_EEDaS1A_S1B_EUlS1A_E_NS1_11comp_targetILNS1_3genE10ELNS1_11target_archE1200ELNS1_3gpuE4ELNS1_3repE0EEENS1_30default_config_static_selectorELNS0_4arch9wavefront6targetE0EEEvT1_,comdat
	.protected	_ZN7rocprim17ROCPRIM_400000_NS6detail17trampoline_kernelINS0_14default_configENS1_25partition_config_selectorILNS1_17partition_subalgoE5EjNS0_10empty_typeEbEEZZNS1_14partition_implILS5_5ELb0ES3_mN6thrust23THRUST_200600_302600_NS6detail15normal_iteratorINSA_10device_ptrIjEEEEPS6_NSA_18transform_iteratorINSB_9not_fun_tI7is_trueIjEEENSC_INSD_IbEEEENSA_11use_defaultESO_EENS0_5tupleIJNSA_16discard_iteratorISO_EES6_EEENSQ_IJSG_SG_EEES6_PlJS6_EEE10hipError_tPvRmT3_T4_T5_T6_T7_T9_mT8_P12ihipStream_tbDpT10_ENKUlT_T0_E_clISt17integral_constantIbLb0EES1F_EEDaS1A_S1B_EUlS1A_E_NS1_11comp_targetILNS1_3genE10ELNS1_11target_archE1200ELNS1_3gpuE4ELNS1_3repE0EEENS1_30default_config_static_selectorELNS0_4arch9wavefront6targetE0EEEvT1_ ; -- Begin function _ZN7rocprim17ROCPRIM_400000_NS6detail17trampoline_kernelINS0_14default_configENS1_25partition_config_selectorILNS1_17partition_subalgoE5EjNS0_10empty_typeEbEEZZNS1_14partition_implILS5_5ELb0ES3_mN6thrust23THRUST_200600_302600_NS6detail15normal_iteratorINSA_10device_ptrIjEEEEPS6_NSA_18transform_iteratorINSB_9not_fun_tI7is_trueIjEEENSC_INSD_IbEEEENSA_11use_defaultESO_EENS0_5tupleIJNSA_16discard_iteratorISO_EES6_EEENSQ_IJSG_SG_EEES6_PlJS6_EEE10hipError_tPvRmT3_T4_T5_T6_T7_T9_mT8_P12ihipStream_tbDpT10_ENKUlT_T0_E_clISt17integral_constantIbLb0EES1F_EEDaS1A_S1B_EUlS1A_E_NS1_11comp_targetILNS1_3genE10ELNS1_11target_archE1200ELNS1_3gpuE4ELNS1_3repE0EEENS1_30default_config_static_selectorELNS0_4arch9wavefront6targetE0EEEvT1_
	.globl	_ZN7rocprim17ROCPRIM_400000_NS6detail17trampoline_kernelINS0_14default_configENS1_25partition_config_selectorILNS1_17partition_subalgoE5EjNS0_10empty_typeEbEEZZNS1_14partition_implILS5_5ELb0ES3_mN6thrust23THRUST_200600_302600_NS6detail15normal_iteratorINSA_10device_ptrIjEEEEPS6_NSA_18transform_iteratorINSB_9not_fun_tI7is_trueIjEEENSC_INSD_IbEEEENSA_11use_defaultESO_EENS0_5tupleIJNSA_16discard_iteratorISO_EES6_EEENSQ_IJSG_SG_EEES6_PlJS6_EEE10hipError_tPvRmT3_T4_T5_T6_T7_T9_mT8_P12ihipStream_tbDpT10_ENKUlT_T0_E_clISt17integral_constantIbLb0EES1F_EEDaS1A_S1B_EUlS1A_E_NS1_11comp_targetILNS1_3genE10ELNS1_11target_archE1200ELNS1_3gpuE4ELNS1_3repE0EEENS1_30default_config_static_selectorELNS0_4arch9wavefront6targetE0EEEvT1_
	.p2align	8
	.type	_ZN7rocprim17ROCPRIM_400000_NS6detail17trampoline_kernelINS0_14default_configENS1_25partition_config_selectorILNS1_17partition_subalgoE5EjNS0_10empty_typeEbEEZZNS1_14partition_implILS5_5ELb0ES3_mN6thrust23THRUST_200600_302600_NS6detail15normal_iteratorINSA_10device_ptrIjEEEEPS6_NSA_18transform_iteratorINSB_9not_fun_tI7is_trueIjEEENSC_INSD_IbEEEENSA_11use_defaultESO_EENS0_5tupleIJNSA_16discard_iteratorISO_EES6_EEENSQ_IJSG_SG_EEES6_PlJS6_EEE10hipError_tPvRmT3_T4_T5_T6_T7_T9_mT8_P12ihipStream_tbDpT10_ENKUlT_T0_E_clISt17integral_constantIbLb0EES1F_EEDaS1A_S1B_EUlS1A_E_NS1_11comp_targetILNS1_3genE10ELNS1_11target_archE1200ELNS1_3gpuE4ELNS1_3repE0EEENS1_30default_config_static_selectorELNS0_4arch9wavefront6targetE0EEEvT1_,@function
_ZN7rocprim17ROCPRIM_400000_NS6detail17trampoline_kernelINS0_14default_configENS1_25partition_config_selectorILNS1_17partition_subalgoE5EjNS0_10empty_typeEbEEZZNS1_14partition_implILS5_5ELb0ES3_mN6thrust23THRUST_200600_302600_NS6detail15normal_iteratorINSA_10device_ptrIjEEEEPS6_NSA_18transform_iteratorINSB_9not_fun_tI7is_trueIjEEENSC_INSD_IbEEEENSA_11use_defaultESO_EENS0_5tupleIJNSA_16discard_iteratorISO_EES6_EEENSQ_IJSG_SG_EEES6_PlJS6_EEE10hipError_tPvRmT3_T4_T5_T6_T7_T9_mT8_P12ihipStream_tbDpT10_ENKUlT_T0_E_clISt17integral_constantIbLb0EES1F_EEDaS1A_S1B_EUlS1A_E_NS1_11comp_targetILNS1_3genE10ELNS1_11target_archE1200ELNS1_3gpuE4ELNS1_3repE0EEENS1_30default_config_static_selectorELNS0_4arch9wavefront6targetE0EEEvT1_: ; @_ZN7rocprim17ROCPRIM_400000_NS6detail17trampoline_kernelINS0_14default_configENS1_25partition_config_selectorILNS1_17partition_subalgoE5EjNS0_10empty_typeEbEEZZNS1_14partition_implILS5_5ELb0ES3_mN6thrust23THRUST_200600_302600_NS6detail15normal_iteratorINSA_10device_ptrIjEEEEPS6_NSA_18transform_iteratorINSB_9not_fun_tI7is_trueIjEEENSC_INSD_IbEEEENSA_11use_defaultESO_EENS0_5tupleIJNSA_16discard_iteratorISO_EES6_EEENSQ_IJSG_SG_EEES6_PlJS6_EEE10hipError_tPvRmT3_T4_T5_T6_T7_T9_mT8_P12ihipStream_tbDpT10_ENKUlT_T0_E_clISt17integral_constantIbLb0EES1F_EEDaS1A_S1B_EUlS1A_E_NS1_11comp_targetILNS1_3genE10ELNS1_11target_archE1200ELNS1_3gpuE4ELNS1_3repE0EEENS1_30default_config_static_selectorELNS0_4arch9wavefront6targetE0EEEvT1_
; %bb.0:
	s_clause 0x3
	s_load_b128 s[8:11], s[0:1], 0x8
	s_load_b32 s2, s[0:1], 0x78
	s_load_b128 s[4:7], s[0:1], 0x50
	s_load_b64 s[14:15], s[0:1], 0x60
	s_mov_b32 s13, 0
	s_mul_i32 s22, ttmp9, 0x600
	v_lshlrev_b32_e32 v9, 2, v0
	v_lshrrev_b32_e32 v10, 3, v0
	v_add_nc_u32_e32 v23, 0xc0, v0
	v_add_nc_u32_e32 v22, 0x180, v0
	;; [unrolled: 1-line block ×3, first 2 shown]
	v_or_b32_e32 v19, 0x300, v0
	v_add_nc_u32_e32 v18, 0x3c0, v0
	v_add_nc_u32_e32 v17, 0x480, v0
	;; [unrolled: 1-line block ×3, first 2 shown]
	s_mov_b32 s3, -1
	s_wait_kmcnt 0x0
	s_lshl_b64 s[18:19], s[10:11], 2
	s_mul_i32 s12, s2, 0x600
	s_load_b64 s[6:7], s[6:7], 0x0
	s_add_co_i32 s16, s12, s10
	s_add_co_i32 s2, s2, -1
	s_sub_co_i32 s17, s14, s16
	s_add_nc_u64 s[20:21], s[10:11], s[12:13]
	s_addk_co_i32 s17, 0x600
	s_cmp_eq_u32 ttmp9, s2
	v_cmp_gt_u64_e64 s14, s[14:15], s[20:21]
	s_cselect_b32 s16, -1, 0
	s_cmp_lg_u32 ttmp9, s2
	s_mov_b32 s12, s22
	s_cselect_b32 s2, -1, 0
	s_add_nc_u64 s[8:9], s[8:9], s[18:19]
	s_or_b32 s18, s2, s14
	s_lshl_b64 s[14:15], s[12:13], 2
	s_and_b32 vcc_lo, exec_lo, s18
	s_wait_alu 0xfffe
	s_add_nc_u64 s[8:9], s[8:9], s[14:15]
	s_cbranch_vccz .LBB2690_2
; %bb.1:
	v_add_co_u32 v1, s2, s8, v9
	s_delay_alu instid0(VALU_DEP_1)
	v_add_co_ci_u32_e64 v2, null, s9, 0, s2
	v_lshrrev_b32_e32 v12, 3, v23
	v_lshrrev_b32_e32 v13, 3, v22
	;; [unrolled: 1-line block ×3, first 2 shown]
	s_clause 0x7
	flat_load_b32 v3, v[1:2]
	flat_load_b32 v4, v[1:2] offset:768
	flat_load_b32 v5, v[1:2] offset:1536
	flat_load_b32 v6, v[1:2] offset:2304
	flat_load_b32 v7, v[1:2] offset:3072
	flat_load_b32 v8, v[1:2] offset:3840
	flat_load_b32 v11, v[1:2] offset:4608
	flat_load_b32 v1, v[1:2] offset:5376
	v_lshrrev_b32_e32 v15, 3, v19
	v_and_b32_e32 v2, 28, v10
	v_lshrrev_b32_e32 v16, 3, v18
	v_lshrrev_b32_e32 v24, 3, v17
	;; [unrolled: 1-line block ×3, first 2 shown]
	v_and_b32_e32 v12, 60, v12
	v_and_b32_e32 v13, 0x7c, v13
	;; [unrolled: 1-line block ×4, first 2 shown]
	v_add_nc_u32_e32 v2, v2, v9
	v_and_b32_e32 v16, 0xfc, v16
	v_and_b32_e32 v24, 0xbc, v24
	;; [unrolled: 1-line block ×3, first 2 shown]
	v_add_nc_u32_e32 v12, v12, v9
	v_add_nc_u32_e32 v13, v13, v9
	;; [unrolled: 1-line block ×4, first 2 shown]
	s_mov_b32 s3, s13
	v_add_nc_u32_e32 v16, v16, v9
	v_add_nc_u32_e32 v24, v24, v9
	;; [unrolled: 1-line block ×3, first 2 shown]
	s_wait_loadcnt_dscnt 0x707
	ds_store_b32 v2, v3
	s_wait_loadcnt_dscnt 0x607
	ds_store_b32 v12, v4 offset:768
	s_wait_loadcnt_dscnt 0x507
	ds_store_b32 v13, v5 offset:1536
	;; [unrolled: 2-line block ×7, first 2 shown]
	s_wait_dscnt 0x0
	s_barrier_signal -1
	s_barrier_wait -1
.LBB2690_2:
	s_load_b64 s[14:15], s[0:1], 0x20
	v_cmp_gt_u32_e64 s2, s17, v0
	s_and_not1_b32 vcc_lo, exec_lo, s3
	s_cbranch_vccnz .LBB2690_13
; %bb.3:
	v_mov_b32_e32 v1, 0
	s_delay_alu instid0(VALU_DEP_1)
	v_dual_mov_b32 v2, v1 :: v_dual_mov_b32 v3, v1
	v_dual_mov_b32 v4, v1 :: v_dual_mov_b32 v5, v1
	;; [unrolled: 1-line block ×3, first 2 shown]
	v_mov_b32_e32 v8, v1
	s_and_saveexec_b32 s3, s2
	s_cbranch_execnz .LBB2690_135
; %bb.4:
	s_wait_alu 0xfffe
	s_or_b32 exec_lo, exec_lo, s3
	s_delay_alu instid0(SALU_CYCLE_1)
	s_mov_b32 s2, exec_lo
	v_cmpx_gt_u32_e64 s17, v23
	s_cbranch_execnz .LBB2690_136
.LBB2690_5:
	s_wait_alu 0xfffe
	s_or_b32 exec_lo, exec_lo, s2
	s_delay_alu instid0(SALU_CYCLE_1)
	s_mov_b32 s2, exec_lo
	v_cmpx_gt_u32_e64 s17, v22
	s_cbranch_execnz .LBB2690_137
.LBB2690_6:
	s_wait_alu 0xfffe
	s_or_b32 exec_lo, exec_lo, s2
	s_delay_alu instid0(SALU_CYCLE_1)
	s_mov_b32 s2, exec_lo
	v_cmpx_gt_u32_e64 s17, v21
	s_cbranch_execnz .LBB2690_138
.LBB2690_7:
	s_wait_alu 0xfffe
	s_or_b32 exec_lo, exec_lo, s2
	s_delay_alu instid0(SALU_CYCLE_1)
	s_mov_b32 s2, exec_lo
	v_cmpx_gt_u32_e64 s17, v19
	s_cbranch_execnz .LBB2690_139
.LBB2690_8:
	s_wait_alu 0xfffe
	s_or_b32 exec_lo, exec_lo, s2
	s_delay_alu instid0(SALU_CYCLE_1)
	s_mov_b32 s2, exec_lo
	v_cmpx_gt_u32_e64 s17, v18
	s_cbranch_execnz .LBB2690_140
.LBB2690_9:
	s_wait_alu 0xfffe
	s_or_b32 exec_lo, exec_lo, s2
	s_delay_alu instid0(SALU_CYCLE_1)
	s_mov_b32 s2, exec_lo
	v_cmpx_gt_u32_e64 s17, v17
	s_cbranch_execnz .LBB2690_141
.LBB2690_10:
	s_wait_alu 0xfffe
	s_or_b32 exec_lo, exec_lo, s2
	s_delay_alu instid0(SALU_CYCLE_1)
	s_mov_b32 s2, exec_lo
	v_cmpx_gt_u32_e64 s17, v20
	s_cbranch_execz .LBB2690_12
.LBB2690_11:
	v_add_co_u32 v11, s3, s8, v9
	s_wait_alu 0xf1ff
	v_add_co_ci_u32_e64 v12, null, s9, 0, s3
	flat_load_b32 v8, v[11:12] offset:5376
.LBB2690_12:
	s_wait_alu 0xfffe
	s_or_b32 exec_lo, exec_lo, s2
	v_lshrrev_b32_e32 v11, 3, v23
	v_lshrrev_b32_e32 v12, 3, v22
	;; [unrolled: 1-line block ×4, first 2 shown]
	v_and_b32_e32 v10, 28, v10
	v_lshrrev_b32_e32 v15, 3, v18
	v_lshrrev_b32_e32 v16, 3, v17
	;; [unrolled: 1-line block ×3, first 2 shown]
	v_and_b32_e32 v11, 60, v11
	v_and_b32_e32 v12, 0x7c, v12
	;; [unrolled: 1-line block ×4, first 2 shown]
	v_add_nc_u32_e32 v10, v10, v9
	v_and_b32_e32 v15, 0xfc, v15
	v_and_b32_e32 v16, 0xfc, v16
	v_and_b32_e32 v24, 0xfc, v24
	v_add_nc_u32_e32 v11, v11, v9
	v_add_nc_u32_e32 v12, v12, v9
	v_add_nc_u32_e32 v13, v13, v9
	v_add_nc_u32_e32 v14, v14, v9
	v_add_nc_u32_e32 v15, v15, v9
	v_add_nc_u32_e32 v16, v16, v9
	v_add_nc_u32_e32 v9, v24, v9
	ds_store_b32 v10, v1
	s_wait_loadcnt_dscnt 0x1
	ds_store_b32 v11, v2 offset:768
	ds_store_b32 v12, v3 offset:1536
	;; [unrolled: 1-line block ×7, first 2 shown]
	s_wait_dscnt 0x0
	s_barrier_signal -1
	s_barrier_wait -1
.LBB2690_13:
	v_and_b32_e32 v1, 0xfc, v0
	global_inv scope:SCOPE_SE
	v_lshrrev_b32_e32 v27, 5, v0
	s_wait_kmcnt 0x0
	s_add_nc_u64 s[2:3], s[14:15], s[10:11]
	s_and_b32 vcc_lo, exec_lo, s18
	v_lshl_add_u32 v1, v0, 5, v1
	s_wait_alu 0xfffe
	s_add_nc_u64 s[2:3], s[2:3], s[12:13]
	s_mov_b32 s8, -1
	ds_load_2addr_b32 v[15:16], v1 offset1:1
	ds_load_2addr_b32 v[13:14], v1 offset0:2 offset1:3
	ds_load_2addr_b32 v[11:12], v1 offset0:4 offset1:5
	ds_load_2addr_b32 v[9:10], v1 offset0:6 offset1:7
	s_wait_loadcnt_dscnt 0x0
	s_barrier_signal -1
	s_barrier_wait -1
	global_inv scope:SCOPE_SE
	s_cbranch_vccz .LBB2690_15
; %bb.14:
	s_clause 0x7
	global_load_u8 v1, v0, s[2:3]
	global_load_u8 v2, v0, s[2:3] offset:192
	global_load_u8 v3, v0, s[2:3] offset:384
	;; [unrolled: 1-line block ×7, first 2 shown]
	v_lshrrev_b32_e32 v25, 5, v23
	v_lshrrev_b32_e32 v26, 5, v22
	;; [unrolled: 1-line block ×4, first 2 shown]
	v_and_b32_e32 v24, 4, v27
	v_lshrrev_b32_e32 v30, 5, v18
	v_lshrrev_b32_e32 v31, 5, v17
	;; [unrolled: 1-line block ×3, first 2 shown]
	v_and_b32_e32 v25, 12, v25
	v_and_b32_e32 v26, 28, v26
	;; [unrolled: 1-line block ×4, first 2 shown]
	v_add_nc_u32_e32 v24, v24, v0
	v_and_b32_e32 v30, 60, v30
	v_and_b32_e32 v31, 44, v31
	;; [unrolled: 1-line block ×3, first 2 shown]
	v_add_nc_u32_e32 v25, v25, v0
	v_add_nc_u32_e32 v26, v26, v0
	;; [unrolled: 1-line block ×4, first 2 shown]
	s_mov_b32 s8, 0
	v_add_nc_u32_e32 v30, v30, v0
	v_add_nc_u32_e32 v31, v31, v0
	;; [unrolled: 1-line block ×3, first 2 shown]
	s_wait_loadcnt 0x7
	v_xor_b32_e32 v1, 1, v1
	s_wait_loadcnt 0x6
	v_xor_b32_e32 v2, 1, v2
	;; [unrolled: 2-line block ×8, first 2 shown]
	ds_store_b8 v24, v1
	ds_store_b8 v25, v2 offset:192
	ds_store_b8 v26, v3 offset:384
	;; [unrolled: 1-line block ×7, first 2 shown]
	s_wait_dscnt 0x0
	s_barrier_signal -1
	s_barrier_wait -1
.LBB2690_15:
	v_lshlrev_b32_e32 v28, 3, v0
	v_lshrrev_b32_e32 v1, 2, v0
	s_wait_alu 0xfffe
	s_and_not1_b32 vcc_lo, exec_lo, s8
	s_cbranch_vccnz .LBB2690_26
; %bb.16:
	v_mov_b32_e32 v2, 0
	s_mov_b32 s9, 0
	s_mov_b32 s8, exec_lo
	s_delay_alu instid0(VALU_DEP_1)
	v_dual_mov_b32 v3, v2 :: v_dual_mov_b32 v4, v2
	v_cmpx_gt_u32_e64 s17, v0
	s_cbranch_execnz .LBB2690_142
; %bb.17:
	s_wait_alu 0xfffe
	s_or_b32 exec_lo, exec_lo, s8
	s_delay_alu instid0(SALU_CYCLE_1)
	s_mov_b32 s8, exec_lo
	v_cmpx_gt_u32_e64 s17, v23
	s_cbranch_execnz .LBB2690_143
.LBB2690_18:
	s_wait_alu 0xfffe
	s_or_b32 exec_lo, exec_lo, s8
	s_delay_alu instid0(SALU_CYCLE_1)
	s_mov_b32 s8, exec_lo
	v_cmpx_gt_u32_e64 s17, v22
	s_cbranch_execnz .LBB2690_144
.LBB2690_19:
	s_wait_alu 0xfffe
	s_or_b32 exec_lo, exec_lo, s8
	s_delay_alu instid0(SALU_CYCLE_1)
	s_mov_b32 s8, exec_lo
	v_cmpx_gt_u32_e64 s17, v21
	s_cbranch_execnz .LBB2690_145
.LBB2690_20:
	s_wait_alu 0xfffe
	s_or_b32 exec_lo, exec_lo, s8
	s_delay_alu instid0(SALU_CYCLE_1)
	s_mov_b32 s8, exec_lo
	v_cmpx_gt_u32_e64 s17, v19
	s_cbranch_execnz .LBB2690_146
.LBB2690_21:
	s_wait_alu 0xfffe
	s_or_b32 exec_lo, exec_lo, s8
	s_delay_alu instid0(SALU_CYCLE_1)
	s_mov_b32 s8, exec_lo
	v_cmpx_gt_u32_e64 s17, v18
	s_cbranch_execnz .LBB2690_147
.LBB2690_22:
	s_wait_alu 0xfffe
	s_or_b32 exec_lo, exec_lo, s8
	s_delay_alu instid0(SALU_CYCLE_1)
	s_mov_b32 s8, exec_lo
	v_cmpx_gt_u32_e64 s17, v17
	s_cbranch_execnz .LBB2690_148
.LBB2690_23:
	s_wait_alu 0xfffe
	s_or_b32 exec_lo, exec_lo, s8
	s_delay_alu instid0(SALU_CYCLE_1)
	s_mov_b32 s8, exec_lo
	v_cmpx_gt_u32_e64 s17, v20
	s_cbranch_execz .LBB2690_25
.LBB2690_24:
	global_load_u8 v5, v0, s[2:3] offset:1344
	v_lshrrev_b32_e32 v6, 16, v3
	s_delay_alu instid0(VALU_DEP_1) | instskip(SKIP_2) | instid1(VALU_DEP_1)
	v_and_b32_e32 v6, 0xff, v6
	s_wait_loadcnt 0x0
	v_xor_b32_e32 v5, 1, v5
	v_lshlrev_b16 v5, 8, v5
	s_delay_alu instid0(VALU_DEP_1) | instskip(NEXT) | instid1(VALU_DEP_1)
	v_or_b32_e32 v5, v6, v5
	v_lshlrev_b32_e32 v5, 16, v5
	s_delay_alu instid0(VALU_DEP_1)
	v_and_or_b32 v3, 0xffff, v3, v5
.LBB2690_25:
	s_wait_alu 0xfffe
	s_or_b32 exec_lo, exec_lo, s8
	v_lshrrev_b32_e32 v5, 5, v23
	v_lshrrev_b32_e32 v6, 5, v22
	;; [unrolled: 1-line block ×4, first 2 shown]
	v_and_b32_e32 v7, 4, v27
	v_lshrrev_b32_e32 v18, 5, v18
	v_lshrrev_b32_e32 v17, 5, v17
	;; [unrolled: 1-line block ×3, first 2 shown]
	v_and_b32_e32 v5, 12, v5
	v_and_b32_e32 v6, 28, v6
	;; [unrolled: 1-line block ×4, first 2 shown]
	v_add_nc_u32_e32 v7, v7, v0
	v_and_b32_e32 v18, 60, v18
	v_and_b32_e32 v17, 60, v17
	;; [unrolled: 1-line block ×3, first 2 shown]
	v_lshrrev_b32_e32 v8, 8, v2
	v_add_nc_u32_e32 v5, v5, v0
	v_add_nc_u32_e32 v6, v6, v0
	v_lshrrev_b32_e32 v22, 24, v2
	v_add_nc_u32_e32 v21, v21, v0
	v_add_nc_u32_e32 v19, v19, v0
	;; [unrolled: 3-line block ×3, first 2 shown]
	v_lshrrev_b32_e32 v24, 24, v3
	v_add_nc_u32_e32 v20, v20, v0
	ds_store_b8 v7, v4
	ds_store_b8 v5, v8 offset:192
	ds_store_b8_d16_hi v6, v2 offset:384
	ds_store_b8 v21, v22 offset:576
	ds_store_b8 v19, v3 offset:768
	ds_store_b8 v18, v23 offset:960
	ds_store_b8_d16_hi v17, v3 offset:1152
	ds_store_b8 v20, v24 offset:1344
	s_wait_loadcnt_dscnt 0x0
	s_barrier_signal -1
	s_barrier_wait -1
.LBB2690_26:
	s_delay_alu instid0(VALU_DEP_1)
	v_dual_mov_b32 v2, 0 :: v_dual_and_b32 v1, 60, v1
	s_wait_loadcnt 0x0
	global_inv scope:SCOPE_SE
	s_load_b64 s[8:9], s[0:1], 0x70
	v_mbcnt_lo_u32_b32 v37, -1, 0
	v_add_nc_u32_e32 v1, v1, v28
	s_cmp_lg_u32 ttmp9, 0
	s_mov_b32 s1, -1
	s_delay_alu instid0(VALU_DEP_2)
	v_and_b32_e32 v38, 15, v37
	ds_load_2addr_b32 v[17:18], v1 offset1:1
	s_wait_loadcnt_dscnt 0x0
	s_barrier_signal -1
	s_barrier_wait -1
	global_inv scope:SCOPE_SE
	v_and_b32_e32 v33, 0xff, v17
	v_bfe_u32 v32, v17, 8, 8
	v_bfe_u32 v31, v17, 16, 8
	v_lshrrev_b32_e32 v30, 24, v17
	v_and_b32_e32 v36, 0xff, v18
	v_bfe_u32 v35, v18, 8, 8
	v_bfe_u32 v34, v18, 16, 8
	v_add3_u32 v1, v32, v33, v31
	v_lshrrev_b32_e32 v29, 24, v18
	s_delay_alu instid0(VALU_DEP_2) | instskip(NEXT) | instid1(VALU_DEP_1)
	v_add_co_u32 v1, s0, v1, v30
	v_add_co_ci_u32_e64 v3, null, 0, 0, s0
	v_cmp_ne_u32_e64 s0, 0, v38
	s_delay_alu instid0(VALU_DEP_3) | instskip(NEXT) | instid1(VALU_DEP_1)
	v_add_co_u32 v1, vcc_lo, v1, v36
	v_add_co_ci_u32_e64 v3, null, 0, v3, vcc_lo
	s_delay_alu instid0(VALU_DEP_2) | instskip(SKIP_1) | instid1(VALU_DEP_2)
	v_add_co_u32 v1, vcc_lo, v1, v35
	s_wait_alu 0xfffd
	v_add_co_ci_u32_e64 v3, null, 0, v3, vcc_lo
	s_delay_alu instid0(VALU_DEP_2) | instskip(SKIP_1) | instid1(VALU_DEP_2)
	v_add_co_u32 v1, vcc_lo, v1, v34
	s_wait_alu 0xfffd
	;; [unrolled: 4-line block ×3, first 2 shown]
	v_add_co_ci_u32_e64 v20, null, 0, v3, vcc_lo
	s_cbranch_scc0 .LBB2690_83
; %bb.27:
	v_mov_b32_e32 v3, v19
	v_mov_b32_dpp v1, v19 row_shr:1 row_mask:0xf bank_mask:0xf
	v_mov_b32_dpp v6, v2 row_shr:1 row_mask:0xf bank_mask:0xf
	v_dual_mov_b32 v5, v19 :: v_dual_mov_b32 v4, v20
	s_and_saveexec_b32 s1, s0
; %bb.28:
	s_delay_alu instid0(VALU_DEP_3) | instskip(SKIP_2) | instid1(VALU_DEP_2)
	v_add_co_u32 v5, vcc_lo, v19, v1
	s_wait_alu 0xfffd
	v_add_co_ci_u32_e64 v2, null, 0, v20, vcc_lo
	v_add_co_u32 v1, vcc_lo, 0, v5
	s_wait_alu 0xfffd
	s_delay_alu instid0(VALU_DEP_2) | instskip(NEXT) | instid1(VALU_DEP_1)
	v_add_co_ci_u32_e64 v2, null, v6, v2, vcc_lo
	v_dual_mov_b32 v4, v2 :: v_dual_mov_b32 v3, v1
; %bb.29:
	s_wait_alu 0xfffe
	s_or_b32 exec_lo, exec_lo, s1
	v_mov_b32_dpp v1, v5 row_shr:2 row_mask:0xf bank_mask:0xf
	v_mov_b32_dpp v6, v2 row_shr:2 row_mask:0xf bank_mask:0xf
	s_mov_b32 s1, exec_lo
	v_cmpx_lt_u32_e32 1, v38
; %bb.30:
	s_delay_alu instid0(VALU_DEP_3) | instskip(SKIP_2) | instid1(VALU_DEP_2)
	v_add_co_u32 v5, vcc_lo, v3, v1
	s_wait_alu 0xfffd
	v_add_co_ci_u32_e64 v2, null, 0, v4, vcc_lo
	v_add_co_u32 v1, vcc_lo, 0, v5
	s_wait_alu 0xfffd
	s_delay_alu instid0(VALU_DEP_2) | instskip(NEXT) | instid1(VALU_DEP_1)
	v_add_co_ci_u32_e64 v2, null, v6, v2, vcc_lo
	v_dual_mov_b32 v4, v2 :: v_dual_mov_b32 v3, v1
; %bb.31:
	s_wait_alu 0xfffe
	s_or_b32 exec_lo, exec_lo, s1
	v_mov_b32_dpp v1, v5 row_shr:4 row_mask:0xf bank_mask:0xf
	v_mov_b32_dpp v6, v2 row_shr:4 row_mask:0xf bank_mask:0xf
	s_mov_b32 s1, exec_lo
	v_cmpx_lt_u32_e32 3, v38
	;; [unrolled: 17-line block ×3, first 2 shown]
; %bb.34:
	s_delay_alu instid0(VALU_DEP_3) | instskip(SKIP_2) | instid1(VALU_DEP_2)
	v_add_co_u32 v5, vcc_lo, v3, v6
	s_wait_alu 0xfffd
	v_add_co_ci_u32_e64 v2, null, 0, v4, vcc_lo
	v_add_co_u32 v3, vcc_lo, 0, v5
	s_wait_alu 0xfffd
	s_delay_alu instid0(VALU_DEP_2) | instskip(NEXT) | instid1(VALU_DEP_1)
	v_add_co_ci_u32_e64 v4, null, v1, v2, vcc_lo
	v_mov_b32_e32 v2, v4
; %bb.35:
	s_wait_alu 0xfffe
	s_or_b32 exec_lo, exec_lo, s1
	ds_swizzle_b32 v6, v5 offset:swizzle(BROADCAST,32,15)
	ds_swizzle_b32 v1, v2 offset:swizzle(BROADCAST,32,15)
	v_and_b32_e32 v2, 16, v37
	s_mov_b32 s1, exec_lo
	s_delay_alu instid0(VALU_DEP_1)
	v_cmpx_ne_u32_e32 0, v2
	s_cbranch_execz .LBB2690_37
; %bb.36:
	s_wait_dscnt 0x1
	v_add_co_u32 v5, vcc_lo, v3, v6
	s_wait_alu 0xfffd
	v_add_co_ci_u32_e64 v2, null, 0, v4, vcc_lo
	s_delay_alu instid0(VALU_DEP_2) | instskip(SKIP_2) | instid1(VALU_DEP_2)
	v_add_co_u32 v3, vcc_lo, 0, v5
	s_wait_dscnt 0x0
	s_wait_alu 0xfffd
	v_add_co_ci_u32_e64 v4, null, v1, v2, vcc_lo
.LBB2690_37:
	s_wait_alu 0xfffe
	s_or_b32 exec_lo, exec_lo, s1
	s_wait_dscnt 0x0
	v_and_b32_e32 v1, 0xe0, v0
	s_mov_b32 s1, exec_lo
	s_delay_alu instid0(VALU_DEP_1) | instskip(NEXT) | instid1(VALU_DEP_1)
	v_min_u32_e32 v1, 0xa0, v1
	v_or_b32_e32 v1, 31, v1
	s_delay_alu instid0(VALU_DEP_1)
	v_cmpx_eq_u32_e64 v0, v1
; %bb.38:
	v_lshlrev_b32_e32 v1, 3, v27
	ds_store_b64 v1, v[3:4]
; %bb.39:
	s_wait_alu 0xfffe
	s_or_b32 exec_lo, exec_lo, s1
	s_delay_alu instid0(SALU_CYCLE_1)
	s_mov_b32 s1, exec_lo
	s_wait_loadcnt_dscnt 0x0
	s_barrier_signal -1
	s_barrier_wait -1
	global_inv scope:SCOPE_SE
	v_cmpx_gt_u32_e32 6, v0
	s_cbranch_execz .LBB2690_47
; %bb.40:
	ds_load_b64 v[1:2], v28
	v_and_b32_e32 v3, 7, v37
	s_mov_b32 s2, exec_lo
	s_wait_dscnt 0x0
	v_mov_b32_dpp v7, v1 row_shr:1 row_mask:0xf bank_mask:0xf
	v_mov_b32_dpp v6, v2 row_shr:1 row_mask:0xf bank_mask:0xf
	v_mov_b32_e32 v4, v1
	v_cmpx_ne_u32_e32 0, v3
; %bb.41:
	s_delay_alu instid0(VALU_DEP_4) | instskip(SKIP_2) | instid1(VALU_DEP_2)
	v_add_co_u32 v4, vcc_lo, v1, v7
	s_wait_alu 0xfffd
	v_add_co_ci_u32_e64 v2, null, 0, v2, vcc_lo
	v_add_co_u32 v1, vcc_lo, 0, v4
	s_wait_alu 0xfffd
	s_delay_alu instid0(VALU_DEP_2)
	v_add_co_ci_u32_e64 v2, null, v6, v2, vcc_lo
; %bb.42:
	s_wait_alu 0xfffe
	s_or_b32 exec_lo, exec_lo, s2
	v_mov_b32_dpp v7, v4 row_shr:2 row_mask:0xf bank_mask:0xf
	s_delay_alu instid0(VALU_DEP_2)
	v_mov_b32_dpp v6, v2 row_shr:2 row_mask:0xf bank_mask:0xf
	s_mov_b32 s2, exec_lo
	v_cmpx_lt_u32_e32 1, v3
; %bb.43:
	s_delay_alu instid0(VALU_DEP_3) | instskip(SKIP_2) | instid1(VALU_DEP_2)
	v_add_co_u32 v4, vcc_lo, v1, v7
	s_wait_alu 0xfffd
	v_add_co_ci_u32_e64 v2, null, 0, v2, vcc_lo
	v_add_co_u32 v1, vcc_lo, 0, v4
	s_wait_alu 0xfffd
	s_delay_alu instid0(VALU_DEP_2)
	v_add_co_ci_u32_e64 v2, null, v6, v2, vcc_lo
; %bb.44:
	s_wait_alu 0xfffe
	s_or_b32 exec_lo, exec_lo, s2
	v_mov_b32_dpp v6, v4 row_shr:4 row_mask:0xf bank_mask:0xf
	s_delay_alu instid0(VALU_DEP_2)
	v_mov_b32_dpp v4, v2 row_shr:4 row_mask:0xf bank_mask:0xf
	s_mov_b32 s2, exec_lo
	v_cmpx_lt_u32_e32 3, v3
; %bb.45:
	s_delay_alu instid0(VALU_DEP_3) | instskip(SKIP_2) | instid1(VALU_DEP_2)
	v_add_co_u32 v1, vcc_lo, v1, v6
	s_wait_alu 0xfffd
	v_add_co_ci_u32_e64 v2, null, 0, v2, vcc_lo
	v_add_co_u32 v1, vcc_lo, v1, 0
	s_wait_alu 0xfffd
	s_delay_alu instid0(VALU_DEP_2)
	v_add_co_ci_u32_e64 v2, null, v2, v4, vcc_lo
; %bb.46:
	s_wait_alu 0xfffe
	s_or_b32 exec_lo, exec_lo, s2
	ds_store_b64 v28, v[1:2]
.LBB2690_47:
	s_wait_alu 0xfffe
	s_or_b32 exec_lo, exec_lo, s1
	s_delay_alu instid0(SALU_CYCLE_1)
	s_mov_b32 s2, exec_lo
	v_cmp_gt_u32_e32 vcc_lo, 32, v0
	s_wait_loadcnt_dscnt 0x0
	s_barrier_signal -1
	s_barrier_wait -1
	global_inv scope:SCOPE_SE
                                        ; implicit-def: $vgpr21_vgpr22
	v_cmpx_lt_u32_e32 31, v0
	s_cbranch_execz .LBB2690_49
; %bb.48:
	v_lshl_add_u32 v1, v27, 3, -8
	ds_load_b64 v[21:22], v1
	s_wait_dscnt 0x0
	v_add_nc_u32_e32 v5, v5, v21
.LBB2690_49:
	s_wait_alu 0xfffe
	s_or_b32 exec_lo, exec_lo, s2
	v_sub_co_u32 v1, s1, v37, 1
	s_delay_alu instid0(VALU_DEP_1) | instskip(SKIP_1) | instid1(VALU_DEP_1)
	v_cmp_gt_i32_e64 s2, 0, v1
	s_wait_alu 0xf1ff
	v_cndmask_b32_e64 v1, v1, v37, s2
	s_delay_alu instid0(VALU_DEP_1)
	v_lshlrev_b32_e32 v1, 2, v1
	ds_bpermute_b32 v39, v1, v5
	s_and_saveexec_b32 s2, vcc_lo
	s_cbranch_execz .LBB2690_88
; %bb.50:
	v_mov_b32_e32 v4, 0
	ds_load_b64 v[1:2], v4 offset:40
	s_and_saveexec_b32 s3, s1
	s_cbranch_execz .LBB2690_52
; %bb.51:
	s_add_co_i32 s10, ttmp9, 32
	s_mov_b32 s11, 0
	s_delay_alu instid0(SALU_CYCLE_1)
	s_lshl_b64 s[10:11], s[10:11], 4
	s_wait_kmcnt 0x0
	s_add_nc_u64 s[10:11], s[8:9], s[10:11]
	v_mov_b32_e32 v3, 1
	v_dual_mov_b32 v5, s10 :: v_dual_mov_b32 v6, s11
	s_wait_dscnt 0x0
	;;#ASMSTART
	global_store_b128 v[5:6], v[1:4] off scope:SCOPE_DEV	
s_wait_storecnt 0x0
	;;#ASMEND
.LBB2690_52:
	s_wait_alu 0xfffe
	s_or_b32 exec_lo, exec_lo, s3
	v_xad_u32 v23, v37, -1, ttmp9
	s_mov_b32 s10, 0
	s_mov_b32 s3, exec_lo
	s_delay_alu instid0(VALU_DEP_1) | instskip(NEXT) | instid1(VALU_DEP_1)
	v_add_nc_u32_e32 v3, 32, v23
	v_lshlrev_b64_e32 v[3:4], 4, v[3:4]
	s_wait_kmcnt 0x0
	s_delay_alu instid0(VALU_DEP_1) | instskip(SKIP_1) | instid1(VALU_DEP_2)
	v_add_co_u32 v3, vcc_lo, s8, v3
	s_wait_alu 0xfffd
	v_add_co_ci_u32_e64 v4, null, s9, v4, vcc_lo
	;;#ASMSTART
	global_load_b128 v[5:8], v[3:4] off scope:SCOPE_DEV	
s_wait_loadcnt 0x0
	;;#ASMEND
	v_and_b32_e32 v8, 0xff, v7
	s_delay_alu instid0(VALU_DEP_1)
	v_cmpx_eq_u16_e32 0, v8
	s_cbranch_execz .LBB2690_55
.LBB2690_53:                            ; =>This Inner Loop Header: Depth=1
	;;#ASMSTART
	global_load_b128 v[5:8], v[3:4] off scope:SCOPE_DEV	
s_wait_loadcnt 0x0
	;;#ASMEND
	v_and_b32_e32 v8, 0xff, v7
	s_delay_alu instid0(VALU_DEP_1)
	v_cmp_ne_u16_e32 vcc_lo, 0, v8
	s_wait_alu 0xfffe
	s_or_b32 s10, vcc_lo, s10
	s_wait_alu 0xfffe
	s_and_not1_b32 exec_lo, exec_lo, s10
	s_cbranch_execnz .LBB2690_53
; %bb.54:
	s_or_b32 exec_lo, exec_lo, s10
.LBB2690_55:
	s_wait_alu 0xfffe
	s_or_b32 exec_lo, exec_lo, s3
	v_cmp_ne_u32_e32 vcc_lo, 31, v37
	v_and_b32_e32 v4, 0xff, v7
	v_lshlrev_b32_e64 v41, v37, -1
	s_mov_b32 s3, exec_lo
	s_wait_alu 0xfffd
	v_add_co_ci_u32_e64 v3, null, 0, v37, vcc_lo
	v_cmp_eq_u16_e32 vcc_lo, 2, v4
	v_mov_b32_e32 v4, v5
	s_delay_alu instid0(VALU_DEP_3)
	v_lshlrev_b32_e32 v40, 2, v3
	s_wait_alu 0xfffd
	v_and_or_b32 v3, vcc_lo, v41, 0x80000000
	ds_bpermute_b32 v24, v40, v5
	ds_bpermute_b32 v8, v40, v6
	v_ctz_i32_b32_e32 v3, v3
	s_delay_alu instid0(VALU_DEP_1)
	v_cmpx_lt_u32_e64 v37, v3
	s_cbranch_execz .LBB2690_57
; %bb.56:
	s_wait_dscnt 0x1
	v_add_co_u32 v4, vcc_lo, v5, v24
	s_wait_alu 0xfffd
	v_add_co_ci_u32_e64 v6, null, 0, v6, vcc_lo
	s_delay_alu instid0(VALU_DEP_2) | instskip(SKIP_2) | instid1(VALU_DEP_2)
	v_add_co_u32 v5, vcc_lo, 0, v4
	s_wait_dscnt 0x0
	s_wait_alu 0xfffd
	v_add_co_ci_u32_e64 v6, null, v8, v6, vcc_lo
.LBB2690_57:
	s_wait_alu 0xfffe
	s_or_b32 exec_lo, exec_lo, s3
	v_cmp_gt_u32_e32 vcc_lo, 30, v37
	v_add_nc_u32_e32 v43, 2, v37
	s_mov_b32 s3, exec_lo
	s_wait_dscnt 0x0
	s_wait_alu 0xfffd
	v_cndmask_b32_e64 v8, 0, 2, vcc_lo
	s_delay_alu instid0(VALU_DEP_1)
	v_add_lshl_u32 v42, v8, v37, 2
	ds_bpermute_b32 v24, v42, v4
	ds_bpermute_b32 v8, v42, v6
	v_cmpx_le_u32_e64 v43, v3
	s_cbranch_execz .LBB2690_59
; %bb.58:
	s_wait_dscnt 0x1
	v_add_co_u32 v4, vcc_lo, v5, v24
	s_wait_alu 0xfffd
	v_add_co_ci_u32_e64 v6, null, 0, v6, vcc_lo
	s_delay_alu instid0(VALU_DEP_2) | instskip(SKIP_2) | instid1(VALU_DEP_2)
	v_add_co_u32 v5, vcc_lo, 0, v4
	s_wait_dscnt 0x0
	s_wait_alu 0xfffd
	v_add_co_ci_u32_e64 v6, null, v8, v6, vcc_lo
.LBB2690_59:
	s_wait_alu 0xfffe
	s_or_b32 exec_lo, exec_lo, s3
	v_cmp_gt_u32_e32 vcc_lo, 28, v37
	v_add_nc_u32_e32 v45, 4, v37
	s_mov_b32 s3, exec_lo
	s_wait_dscnt 0x0
	s_wait_alu 0xfffd
	v_cndmask_b32_e64 v8, 0, 4, vcc_lo
	s_delay_alu instid0(VALU_DEP_1)
	v_add_lshl_u32 v44, v8, v37, 2
	ds_bpermute_b32 v24, v44, v4
	ds_bpermute_b32 v8, v44, v6
	v_cmpx_le_u32_e64 v45, v3
	s_cbranch_execz .LBB2690_61
; %bb.60:
	s_wait_dscnt 0x1
	v_add_co_u32 v4, vcc_lo, v5, v24
	s_wait_alu 0xfffd
	v_add_co_ci_u32_e64 v6, null, 0, v6, vcc_lo
	s_delay_alu instid0(VALU_DEP_2) | instskip(SKIP_2) | instid1(VALU_DEP_2)
	v_add_co_u32 v5, vcc_lo, 0, v4
	s_wait_dscnt 0x0
	s_wait_alu 0xfffd
	v_add_co_ci_u32_e64 v6, null, v8, v6, vcc_lo
.LBB2690_61:
	s_wait_alu 0xfffe
	s_or_b32 exec_lo, exec_lo, s3
	v_cmp_gt_u32_e32 vcc_lo, 24, v37
	v_add_nc_u32_e32 v47, 8, v37
	s_mov_b32 s3, exec_lo
	s_wait_dscnt 0x0
	s_wait_alu 0xfffd
	v_cndmask_b32_e64 v8, 0, 8, vcc_lo
	s_delay_alu instid0(VALU_DEP_1)
	v_add_lshl_u32 v46, v8, v37, 2
	ds_bpermute_b32 v24, v46, v4
	ds_bpermute_b32 v8, v46, v6
	v_cmpx_le_u32_e64 v47, v3
	s_cbranch_execz .LBB2690_63
; %bb.62:
	s_wait_dscnt 0x1
	v_add_co_u32 v4, vcc_lo, v5, v24
	s_wait_alu 0xfffd
	v_add_co_ci_u32_e64 v6, null, 0, v6, vcc_lo
	s_delay_alu instid0(VALU_DEP_2) | instskip(SKIP_2) | instid1(VALU_DEP_2)
	v_add_co_u32 v5, vcc_lo, 0, v4
	s_wait_dscnt 0x0
	s_wait_alu 0xfffd
	v_add_co_ci_u32_e64 v6, null, v8, v6, vcc_lo
.LBB2690_63:
	s_wait_alu 0xfffe
	s_or_b32 exec_lo, exec_lo, s3
	v_lshl_or_b32 v48, v37, 2, 64
	v_add_nc_u32_e32 v49, 16, v37
	s_mov_b32 s3, exec_lo
	s_wait_dscnt 0x0
	ds_bpermute_b32 v8, v48, v4
	ds_bpermute_b32 v4, v48, v6
	v_cmpx_le_u32_e64 v49, v3
	s_cbranch_execz .LBB2690_65
; %bb.64:
	s_wait_dscnt 0x1
	v_add_co_u32 v3, vcc_lo, v5, v8
	s_wait_alu 0xfffd
	v_add_co_ci_u32_e64 v6, null, 0, v6, vcc_lo
	s_delay_alu instid0(VALU_DEP_2) | instskip(SKIP_2) | instid1(VALU_DEP_2)
	v_add_co_u32 v5, vcc_lo, v3, 0
	s_wait_dscnt 0x0
	s_wait_alu 0xfffd
	v_add_co_ci_u32_e64 v6, null, v6, v4, vcc_lo
.LBB2690_65:
	s_wait_alu 0xfffe
	s_or_b32 exec_lo, exec_lo, s3
	v_mov_b32_e32 v24, 0
	s_branch .LBB2690_68
.LBB2690_66:                            ;   in Loop: Header=BB2690_68 Depth=1
	s_wait_alu 0xfffe
	s_or_b32 exec_lo, exec_lo, s3
	v_add_co_u32 v5, vcc_lo, v5, v3
	v_subrev_nc_u32_e32 v23, 32, v23
	s_wait_alu 0xfffd
	v_add_co_ci_u32_e64 v6, null, v6, v4, vcc_lo
	s_mov_b32 s3, 0
.LBB2690_67:                            ;   in Loop: Header=BB2690_68 Depth=1
	s_wait_alu 0xfffe
	s_and_b32 vcc_lo, exec_lo, s3
	s_wait_alu 0xfffe
	s_cbranch_vccnz .LBB2690_84
.LBB2690_68:                            ; =>This Loop Header: Depth=1
                                        ;     Child Loop BB2690_71 Depth 2
	v_and_b32_e32 v3, 0xff, v7
	s_mov_b32 s3, -1
	s_delay_alu instid0(VALU_DEP_1)
	v_cmp_ne_u16_e32 vcc_lo, 2, v3
	s_wait_dscnt 0x0
	v_dual_mov_b32 v3, v5 :: v_dual_mov_b32 v4, v6
                                        ; implicit-def: $vgpr5_vgpr6
	s_cmp_lg_u32 vcc_lo, exec_lo
	s_cbranch_scc1 .LBB2690_67
; %bb.69:                               ;   in Loop: Header=BB2690_68 Depth=1
	v_lshlrev_b64_e32 v[5:6], 4, v[23:24]
	s_mov_b32 s3, exec_lo
	s_delay_alu instid0(VALU_DEP_1) | instskip(SKIP_1) | instid1(VALU_DEP_2)
	v_add_co_u32 v25, vcc_lo, s8, v5
	s_wait_alu 0xfffd
	v_add_co_ci_u32_e64 v26, null, s9, v6, vcc_lo
	;;#ASMSTART
	global_load_b128 v[5:8], v[25:26] off scope:SCOPE_DEV	
s_wait_loadcnt 0x0
	;;#ASMEND
	v_and_b32_e32 v8, 0xff, v7
	s_delay_alu instid0(VALU_DEP_1)
	v_cmpx_eq_u16_e32 0, v8
	s_cbranch_execz .LBB2690_73
; %bb.70:                               ;   in Loop: Header=BB2690_68 Depth=1
	s_mov_b32 s10, 0
.LBB2690_71:                            ;   Parent Loop BB2690_68 Depth=1
                                        ; =>  This Inner Loop Header: Depth=2
	;;#ASMSTART
	global_load_b128 v[5:8], v[25:26] off scope:SCOPE_DEV	
s_wait_loadcnt 0x0
	;;#ASMEND
	v_and_b32_e32 v8, 0xff, v7
	s_delay_alu instid0(VALU_DEP_1)
	v_cmp_ne_u16_e32 vcc_lo, 0, v8
	s_wait_alu 0xfffe
	s_or_b32 s10, vcc_lo, s10
	s_wait_alu 0xfffe
	s_and_not1_b32 exec_lo, exec_lo, s10
	s_cbranch_execnz .LBB2690_71
; %bb.72:                               ;   in Loop: Header=BB2690_68 Depth=1
	s_or_b32 exec_lo, exec_lo, s10
.LBB2690_73:                            ;   in Loop: Header=BB2690_68 Depth=1
	s_wait_alu 0xfffe
	s_or_b32 exec_lo, exec_lo, s3
	v_dual_mov_b32 v25, v5 :: v_dual_and_b32 v8, 0xff, v7
	ds_bpermute_b32 v50, v40, v5
	ds_bpermute_b32 v26, v40, v6
	s_mov_b32 s3, exec_lo
	v_cmp_eq_u16_e32 vcc_lo, 2, v8
	s_wait_alu 0xfffd
	v_and_or_b32 v8, vcc_lo, v41, 0x80000000
	s_delay_alu instid0(VALU_DEP_1) | instskip(NEXT) | instid1(VALU_DEP_1)
	v_ctz_i32_b32_e32 v8, v8
	v_cmpx_lt_u32_e64 v37, v8
	s_cbranch_execz .LBB2690_75
; %bb.74:                               ;   in Loop: Header=BB2690_68 Depth=1
	s_wait_dscnt 0x1
	v_add_co_u32 v25, vcc_lo, v5, v50
	s_wait_alu 0xfffd
	v_add_co_ci_u32_e64 v6, null, 0, v6, vcc_lo
	s_delay_alu instid0(VALU_DEP_2) | instskip(SKIP_2) | instid1(VALU_DEP_2)
	v_add_co_u32 v5, vcc_lo, 0, v25
	s_wait_dscnt 0x0
	s_wait_alu 0xfffd
	v_add_co_ci_u32_e64 v6, null, v26, v6, vcc_lo
.LBB2690_75:                            ;   in Loop: Header=BB2690_68 Depth=1
	s_wait_alu 0xfffe
	s_or_b32 exec_lo, exec_lo, s3
	s_wait_dscnt 0x1
	ds_bpermute_b32 v50, v42, v25
	s_wait_dscnt 0x1
	ds_bpermute_b32 v26, v42, v6
	s_mov_b32 s3, exec_lo
	v_cmpx_le_u32_e64 v43, v8
	s_cbranch_execz .LBB2690_77
; %bb.76:                               ;   in Loop: Header=BB2690_68 Depth=1
	s_wait_dscnt 0x1
	v_add_co_u32 v25, vcc_lo, v5, v50
	s_wait_alu 0xfffd
	v_add_co_ci_u32_e64 v6, null, 0, v6, vcc_lo
	s_delay_alu instid0(VALU_DEP_2) | instskip(SKIP_2) | instid1(VALU_DEP_2)
	v_add_co_u32 v5, vcc_lo, 0, v25
	s_wait_dscnt 0x0
	s_wait_alu 0xfffd
	v_add_co_ci_u32_e64 v6, null, v26, v6, vcc_lo
.LBB2690_77:                            ;   in Loop: Header=BB2690_68 Depth=1
	s_wait_alu 0xfffe
	s_or_b32 exec_lo, exec_lo, s3
	s_wait_dscnt 0x1
	ds_bpermute_b32 v50, v44, v25
	s_wait_dscnt 0x1
	ds_bpermute_b32 v26, v44, v6
	s_mov_b32 s3, exec_lo
	v_cmpx_le_u32_e64 v45, v8
	;; [unrolled: 20-line block ×3, first 2 shown]
	s_cbranch_execz .LBB2690_81
; %bb.80:                               ;   in Loop: Header=BB2690_68 Depth=1
	s_wait_dscnt 0x1
	v_add_co_u32 v25, vcc_lo, v5, v50
	s_wait_alu 0xfffd
	v_add_co_ci_u32_e64 v6, null, 0, v6, vcc_lo
	s_delay_alu instid0(VALU_DEP_2) | instskip(SKIP_2) | instid1(VALU_DEP_2)
	v_add_co_u32 v5, vcc_lo, 0, v25
	s_wait_dscnt 0x0
	s_wait_alu 0xfffd
	v_add_co_ci_u32_e64 v6, null, v26, v6, vcc_lo
.LBB2690_81:                            ;   in Loop: Header=BB2690_68 Depth=1
	s_wait_alu 0xfffe
	s_or_b32 exec_lo, exec_lo, s3
	s_wait_dscnt 0x0
	ds_bpermute_b32 v26, v48, v25
	ds_bpermute_b32 v25, v48, v6
	s_mov_b32 s3, exec_lo
	v_cmpx_le_u32_e64 v49, v8
	s_cbranch_execz .LBB2690_66
; %bb.82:                               ;   in Loop: Header=BB2690_68 Depth=1
	s_wait_dscnt 0x1
	v_add_co_u32 v5, vcc_lo, v5, v26
	s_wait_alu 0xfffd
	v_add_co_ci_u32_e64 v6, null, 0, v6, vcc_lo
	s_delay_alu instid0(VALU_DEP_2) | instskip(SKIP_2) | instid1(VALU_DEP_2)
	v_add_co_u32 v5, vcc_lo, v5, 0
	s_wait_dscnt 0x0
	s_wait_alu 0xfffd
	v_add_co_ci_u32_e64 v6, null, v6, v25, vcc_lo
	s_branch .LBB2690_66
.LBB2690_83:
                                        ; implicit-def: $vgpr21_vgpr22
                                        ; implicit-def: $vgpr5_vgpr6
                                        ; implicit-def: $vgpr3_vgpr4
                                        ; implicit-def: $vgpr22_vgpr23
                                        ; implicit-def: $vgpr6_vgpr7
                                        ; implicit-def: $vgpr23_vgpr24
                                        ; implicit-def: $vgpr7_vgpr8
                                        ; implicit-def: $vgpr24_vgpr25
                                        ; implicit-def: $vgpr25_vgpr26
	s_and_b32 vcc_lo, exec_lo, s1
	s_wait_alu 0xfffe
	s_cbranch_vccnz .LBB2690_89
	s_branch .LBB2690_114
.LBB2690_84:
	s_and_saveexec_b32 s3, s1
	s_cbranch_execz .LBB2690_86
; %bb.85:
	s_add_co_i32 s10, ttmp9, 32
	s_mov_b32 s11, 0
	v_add_co_u32 v5, vcc_lo, v3, v1
	s_wait_alu 0xfffe
	s_lshl_b64 s[10:11], s[10:11], 4
	v_dual_mov_b32 v7, 2 :: v_dual_mov_b32 v8, 0
	s_wait_alu 0xfffe
	s_add_nc_u64 s[10:11], s[8:9], s[10:11]
	s_wait_alu 0xfffd
	v_add_co_ci_u32_e64 v6, null, v4, v2, vcc_lo
	s_wait_alu 0xfffe
	v_dual_mov_b32 v24, s11 :: v_dual_mov_b32 v23, s10
	;;#ASMSTART
	global_store_b128 v[23:24], v[5:8] off scope:SCOPE_DEV	
s_wait_storecnt 0x0
	;;#ASMEND
	ds_store_b128 v8, v[1:4] offset:6336
.LBB2690_86:
	s_wait_alu 0xfffe
	s_or_b32 exec_lo, exec_lo, s3
	v_cmp_eq_u32_e32 vcc_lo, 0, v0
	s_and_b32 exec_lo, exec_lo, vcc_lo
; %bb.87:
	v_mov_b32_e32 v1, 0
	ds_store_b64 v1, v[3:4] offset:40
.LBB2690_88:
	s_wait_alu 0xfffe
	s_or_b32 exec_lo, exec_lo, s2
	s_wait_dscnt 0x0
	v_cndmask_b32_e64 v4, v39, v21, s1
	v_cmp_ne_u32_e32 vcc_lo, 0, v0
	v_mov_b32_e32 v3, 0
	s_wait_loadcnt 0x0
	s_barrier_signal -1
	s_barrier_wait -1
	global_inv scope:SCOPE_SE
	s_wait_alu 0xfffd
	v_cndmask_b32_e32 v4, 0, v4, vcc_lo
	ds_load_b64 v[1:2], v3 offset:40
	v_cndmask_b32_e64 v5, 0, v22, s1
	s_wait_loadcnt_dscnt 0x0
	s_barrier_signal -1
	s_barrier_wait -1
	global_inv scope:SCOPE_SE
	v_cndmask_b32_e32 v5, 0, v5, vcc_lo
	v_add_co_u32 v25, vcc_lo, v1, v4
	s_wait_alu 0xfffd
	s_delay_alu instid0(VALU_DEP_2) | instskip(NEXT) | instid1(VALU_DEP_2)
	v_add_co_ci_u32_e64 v1, null, v2, v5, vcc_lo
	v_add_co_u32 v24, vcc_lo, v25, v33
	s_wait_alu 0xfffd
	s_delay_alu instid0(VALU_DEP_2) | instskip(NEXT) | instid1(VALU_DEP_2)
	v_add_co_ci_u32_e64 v1, null, 0, v1, vcc_lo
	;; [unrolled: 4-line block ×3, first 2 shown]
	v_add_co_u32 v22, vcc_lo, v23, v31
	s_wait_alu 0xfffd
	s_delay_alu instid0(VALU_DEP_2) | instskip(SKIP_4) | instid1(VALU_DEP_2)
	v_add_co_ci_u32_e64 v5, null, 0, v1, vcc_lo
	ds_load_b128 v[1:4], v3 offset:6336
	v_add_co_u32 v21, vcc_lo, v22, v30
	s_wait_alu 0xfffd
	v_add_co_ci_u32_e64 v5, null, 0, v5, vcc_lo
	v_add_co_u32 v7, vcc_lo, v21, v36
	s_wait_alu 0xfffd
	s_delay_alu instid0(VALU_DEP_2) | instskip(NEXT) | instid1(VALU_DEP_2)
	v_add_co_ci_u32_e64 v5, null, 0, v5, vcc_lo
	v_add_co_u32 v6, vcc_lo, v7, v35
	s_wait_alu 0xfffd
	s_delay_alu instid0(VALU_DEP_2) | instskip(NEXT) | instid1(VALU_DEP_2)
	v_add_co_ci_u32_e64 v8, null, 0, v5, vcc_lo
	v_add_co_u32 v5, vcc_lo, v6, v34
	s_wait_alu 0xfffd
	s_delay_alu instid0(VALU_DEP_2)
	v_add_co_ci_u32_e64 v8, null, 0, v8, vcc_lo
	s_branch .LBB2690_114
.LBB2690_89:
	s_wait_dscnt 0x0
	v_dual_mov_b32 v2, 0 :: v_dual_mov_b32 v3, v19
	v_mov_b32_dpp v4, v19 row_shr:1 row_mask:0xf bank_mask:0xf
	s_delay_alu instid0(VALU_DEP_2)
	v_mov_b32_dpp v1, v2 row_shr:1 row_mask:0xf bank_mask:0xf
	s_and_saveexec_b32 s1, s0
; %bb.90:
	s_delay_alu instid0(VALU_DEP_2) | instskip(SKIP_2) | instid1(VALU_DEP_2)
	v_add_co_u32 v3, vcc_lo, v19, v4
	s_wait_alu 0xfffd
	v_add_co_ci_u32_e64 v2, null, 0, v20, vcc_lo
	v_add_co_u32 v19, vcc_lo, 0, v3
	s_wait_alu 0xfffd
	s_delay_alu instid0(VALU_DEP_2) | instskip(NEXT) | instid1(VALU_DEP_1)
	v_add_co_ci_u32_e64 v20, null, v1, v2, vcc_lo
	v_mov_b32_e32 v2, v20
; %bb.91:
	s_wait_alu 0xfffe
	s_or_b32 exec_lo, exec_lo, s1
	v_mov_b32_dpp v1, v3 row_shr:2 row_mask:0xf bank_mask:0xf
	s_delay_alu instid0(VALU_DEP_2)
	v_mov_b32_dpp v4, v2 row_shr:2 row_mask:0xf bank_mask:0xf
	s_mov_b32 s0, exec_lo
	v_cmpx_lt_u32_e32 1, v38
; %bb.92:
	s_delay_alu instid0(VALU_DEP_3) | instskip(SKIP_2) | instid1(VALU_DEP_2)
	v_add_co_u32 v3, vcc_lo, v19, v1
	s_wait_alu 0xfffd
	v_add_co_ci_u32_e64 v2, null, 0, v20, vcc_lo
	v_add_co_u32 v1, vcc_lo, 0, v3
	s_wait_alu 0xfffd
	s_delay_alu instid0(VALU_DEP_2) | instskip(NEXT) | instid1(VALU_DEP_1)
	v_add_co_ci_u32_e64 v2, null, v4, v2, vcc_lo
	v_dual_mov_b32 v20, v2 :: v_dual_mov_b32 v19, v1
; %bb.93:
	s_wait_alu 0xfffe
	s_or_b32 exec_lo, exec_lo, s0
	v_mov_b32_dpp v1, v3 row_shr:4 row_mask:0xf bank_mask:0xf
	v_mov_b32_dpp v4, v2 row_shr:4 row_mask:0xf bank_mask:0xf
	s_mov_b32 s0, exec_lo
	v_cmpx_lt_u32_e32 3, v38
; %bb.94:
	s_delay_alu instid0(VALU_DEP_3) | instskip(SKIP_2) | instid1(VALU_DEP_2)
	v_add_co_u32 v3, vcc_lo, v19, v1
	s_wait_alu 0xfffd
	v_add_co_ci_u32_e64 v2, null, 0, v20, vcc_lo
	v_add_co_u32 v1, vcc_lo, 0, v3
	s_wait_alu 0xfffd
	s_delay_alu instid0(VALU_DEP_2) | instskip(NEXT) | instid1(VALU_DEP_1)
	v_add_co_ci_u32_e64 v2, null, v4, v2, vcc_lo
	v_dual_mov_b32 v20, v2 :: v_dual_mov_b32 v19, v1
; %bb.95:
	s_wait_alu 0xfffe
	s_or_b32 exec_lo, exec_lo, s0
	v_mov_b32_dpp v4, v3 row_shr:8 row_mask:0xf bank_mask:0xf
	v_mov_b32_dpp v1, v2 row_shr:8 row_mask:0xf bank_mask:0xf
	s_mov_b32 s0, exec_lo
	v_cmpx_lt_u32_e32 7, v38
; %bb.96:
	s_delay_alu instid0(VALU_DEP_3) | instskip(SKIP_2) | instid1(VALU_DEP_2)
	v_add_co_u32 v3, vcc_lo, v19, v4
	s_wait_alu 0xfffd
	v_add_co_ci_u32_e64 v2, null, 0, v20, vcc_lo
	v_add_co_u32 v19, vcc_lo, 0, v3
	s_wait_alu 0xfffd
	s_delay_alu instid0(VALU_DEP_2) | instskip(NEXT) | instid1(VALU_DEP_1)
	v_add_co_ci_u32_e64 v20, null, v1, v2, vcc_lo
	v_mov_b32_e32 v2, v20
; %bb.97:
	s_wait_alu 0xfffe
	s_or_b32 exec_lo, exec_lo, s0
	ds_swizzle_b32 v3, v3 offset:swizzle(BROADCAST,32,15)
	ds_swizzle_b32 v1, v2 offset:swizzle(BROADCAST,32,15)
	v_and_b32_e32 v2, 16, v37
	s_mov_b32 s0, exec_lo
	s_delay_alu instid0(VALU_DEP_1)
	v_cmpx_ne_u32_e32 0, v2
	s_cbranch_execz .LBB2690_99
; %bb.98:
	s_wait_dscnt 0x1
	v_add_co_u32 v2, vcc_lo, v19, v3
	s_wait_alu 0xfffd
	v_add_co_ci_u32_e64 v3, null, 0, v20, vcc_lo
	s_delay_alu instid0(VALU_DEP_2) | instskip(SKIP_2) | instid1(VALU_DEP_2)
	v_add_co_u32 v19, vcc_lo, v2, 0
	s_wait_dscnt 0x0
	s_wait_alu 0xfffd
	v_add_co_ci_u32_e64 v20, null, v3, v1, vcc_lo
.LBB2690_99:
	s_wait_alu 0xfffe
	s_or_b32 exec_lo, exec_lo, s0
	s_wait_dscnt 0x0
	v_and_b32_e32 v1, 0xe0, v0
	s_mov_b32 s0, exec_lo
	s_delay_alu instid0(VALU_DEP_1) | instskip(NEXT) | instid1(VALU_DEP_1)
	v_min_u32_e32 v1, 0xa0, v1
	v_or_b32_e32 v1, 31, v1
	s_delay_alu instid0(VALU_DEP_1)
	v_cmpx_eq_u32_e64 v0, v1
; %bb.100:
	v_lshlrev_b32_e32 v1, 3, v27
	ds_store_b64 v1, v[19:20]
; %bb.101:
	s_wait_alu 0xfffe
	s_or_b32 exec_lo, exec_lo, s0
	s_delay_alu instid0(SALU_CYCLE_1)
	s_mov_b32 s0, exec_lo
	s_wait_loadcnt_dscnt 0x0
	s_barrier_signal -1
	s_barrier_wait -1
	global_inv scope:SCOPE_SE
	v_cmpx_gt_u32_e32 6, v0
	s_cbranch_execz .LBB2690_109
; %bb.102:
	ds_load_b64 v[1:2], v28
	v_and_b32_e32 v3, 7, v37
	s_mov_b32 s1, exec_lo
	s_wait_dscnt 0x0
	v_mov_b32_dpp v6, v1 row_shr:1 row_mask:0xf bank_mask:0xf
	v_mov_b32_dpp v5, v2 row_shr:1 row_mask:0xf bank_mask:0xf
	v_mov_b32_e32 v4, v1
	v_cmpx_ne_u32_e32 0, v3
; %bb.103:
	s_delay_alu instid0(VALU_DEP_4) | instskip(SKIP_2) | instid1(VALU_DEP_2)
	v_add_co_u32 v4, vcc_lo, v1, v6
	s_wait_alu 0xfffd
	v_add_co_ci_u32_e64 v2, null, 0, v2, vcc_lo
	v_add_co_u32 v1, vcc_lo, 0, v4
	s_wait_alu 0xfffd
	s_delay_alu instid0(VALU_DEP_2)
	v_add_co_ci_u32_e64 v2, null, v5, v2, vcc_lo
; %bb.104:
	s_wait_alu 0xfffe
	s_or_b32 exec_lo, exec_lo, s1
	v_mov_b32_dpp v6, v4 row_shr:2 row_mask:0xf bank_mask:0xf
	s_delay_alu instid0(VALU_DEP_2)
	v_mov_b32_dpp v5, v2 row_shr:2 row_mask:0xf bank_mask:0xf
	s_mov_b32 s1, exec_lo
	v_cmpx_lt_u32_e32 1, v3
; %bb.105:
	s_delay_alu instid0(VALU_DEP_3) | instskip(SKIP_2) | instid1(VALU_DEP_2)
	v_add_co_u32 v4, vcc_lo, v1, v6
	s_wait_alu 0xfffd
	v_add_co_ci_u32_e64 v2, null, 0, v2, vcc_lo
	v_add_co_u32 v1, vcc_lo, 0, v4
	s_wait_alu 0xfffd
	s_delay_alu instid0(VALU_DEP_2)
	v_add_co_ci_u32_e64 v2, null, v5, v2, vcc_lo
; %bb.106:
	s_wait_alu 0xfffe
	s_or_b32 exec_lo, exec_lo, s1
	v_mov_b32_dpp v5, v4 row_shr:4 row_mask:0xf bank_mask:0xf
	s_delay_alu instid0(VALU_DEP_2)
	v_mov_b32_dpp v4, v2 row_shr:4 row_mask:0xf bank_mask:0xf
	s_mov_b32 s1, exec_lo
	v_cmpx_lt_u32_e32 3, v3
; %bb.107:
	s_delay_alu instid0(VALU_DEP_3) | instskip(SKIP_2) | instid1(VALU_DEP_2)
	v_add_co_u32 v1, vcc_lo, v1, v5
	s_wait_alu 0xfffd
	v_add_co_ci_u32_e64 v2, null, 0, v2, vcc_lo
	v_add_co_u32 v1, vcc_lo, v1, 0
	s_wait_alu 0xfffd
	s_delay_alu instid0(VALU_DEP_2)
	v_add_co_ci_u32_e64 v2, null, v2, v4, vcc_lo
; %bb.108:
	s_wait_alu 0xfffe
	s_or_b32 exec_lo, exec_lo, s1
	ds_store_b64 v28, v[1:2]
.LBB2690_109:
	s_wait_alu 0xfffe
	s_or_b32 exec_lo, exec_lo, s0
	v_mov_b32_e32 v5, 0
	v_mov_b32_e32 v6, 0
	s_mov_b32 s0, exec_lo
	s_wait_loadcnt_dscnt 0x0
	s_barrier_signal -1
	s_barrier_wait -1
	global_inv scope:SCOPE_SE
	v_cmpx_lt_u32_e32 31, v0
; %bb.110:
	v_lshl_add_u32 v1, v27, 3, -8
	ds_load_b64 v[5:6], v1
; %bb.111:
	s_wait_alu 0xfffe
	s_or_b32 exec_lo, exec_lo, s0
	v_sub_co_u32 v1, vcc_lo, v37, 1
	s_wait_dscnt 0x0
	v_add_nc_u32_e32 v2, v5, v19
	v_mov_b32_e32 v4, 0
	s_delay_alu instid0(VALU_DEP_3) | instskip(SKIP_1) | instid1(VALU_DEP_1)
	v_cmp_gt_i32_e64 s0, 0, v1
	s_wait_alu 0xf1ff
	v_cndmask_b32_e64 v1, v1, v37, s0
	v_cmp_eq_u32_e64 s0, 0, v0
	s_delay_alu instid0(VALU_DEP_2)
	v_lshlrev_b32_e32 v1, 2, v1
	ds_bpermute_b32 v7, v1, v2
	ds_load_b64 v[1:2], v4 offset:40
	s_and_saveexec_b32 s1, s0
	s_cbranch_execz .LBB2690_113
; %bb.112:
	s_wait_kmcnt 0x0
	s_add_nc_u64 s[2:3], s[8:9], 0x200
	s_wait_alu 0xfffe
	v_dual_mov_b32 v3, 2 :: v_dual_mov_b32 v20, s3
	v_mov_b32_e32 v19, s2
	s_wait_dscnt 0x0
	;;#ASMSTART
	global_store_b128 v[19:20], v[1:4] off scope:SCOPE_DEV	
s_wait_storecnt 0x0
	;;#ASMEND
.LBB2690_113:
	s_wait_alu 0xfffe
	s_or_b32 exec_lo, exec_lo, s1
	s_wait_dscnt 0x1
	s_wait_alu 0xfffd
	v_dual_cndmask_b32 v3, v7, v5 :: v_dual_cndmask_b32 v4, 0, v6
	s_wait_loadcnt_dscnt 0x0
	s_barrier_signal -1
	s_barrier_wait -1
	s_delay_alu instid0(VALU_DEP_1)
	v_cndmask_b32_e64 v25, v3, 0, s0
	v_cndmask_b32_e64 v3, v4, 0, s0
	global_inv scope:SCOPE_SE
	v_add_co_u32 v24, vcc_lo, v25, v33
	s_wait_alu 0xfffd
	v_add_co_ci_u32_e64 v3, null, 0, v3, vcc_lo
	s_delay_alu instid0(VALU_DEP_2) | instskip(SKIP_1) | instid1(VALU_DEP_2)
	v_add_co_u32 v23, vcc_lo, v24, v32
	s_wait_alu 0xfffd
	v_add_co_ci_u32_e64 v3, null, 0, v3, vcc_lo
	s_delay_alu instid0(VALU_DEP_2) | instskip(SKIP_1) | instid1(VALU_DEP_2)
	;; [unrolled: 4-line block ×5, first 2 shown]
	v_add_co_u32 v6, vcc_lo, v7, v35
	s_wait_alu 0xfffd
	v_add_co_ci_u32_e64 v8, null, 0, v3, vcc_lo
	v_mov_b32_e32 v3, 0
	v_mov_b32_e32 v4, 0
	v_add_co_u32 v5, vcc_lo, v6, v34
	s_wait_alu 0xfffd
	v_add_co_ci_u32_e64 v8, null, 0, v8, vcc_lo
.LBB2690_114:
	s_wait_dscnt 0x0
	v_cmp_gt_u64_e32 vcc_lo, 0xc1, v[1:2]
	v_lshrrev_b32_e32 v26, 8, v17
	v_lshrrev_b32_e32 v20, 16, v17
	;; [unrolled: 1-line block ×4, first 2 shown]
	s_cbranch_vccz .LBB2690_117
; %bb.115:
	v_cmp_eq_u32_e32 vcc_lo, 0, v0
	s_and_b32 s0, vcc_lo, s16
	s_wait_alu 0xfffe
	s_and_saveexec_b32 s1, s0
	s_cbranch_execnz .LBB2690_134
.LBB2690_116:
	s_endpgm
.LBB2690_117:
	v_and_b32_e32 v17, 1, v17
	s_mov_b32 s0, exec_lo
	s_delay_alu instid0(VALU_DEP_1)
	v_cmpx_eq_u32_e32 1, v17
; %bb.118:
	v_sub_nc_u32_e32 v17, v25, v3
	s_delay_alu instid0(VALU_DEP_1)
	v_lshlrev_b32_e32 v17, 2, v17
	ds_store_b32 v17, v15
; %bb.119:
	s_wait_alu 0xfffe
	s_or_b32 exec_lo, exec_lo, s0
	v_and_b32_e32 v15, 1, v26
	s_mov_b32 s0, exec_lo
	s_delay_alu instid0(VALU_DEP_1)
	v_cmpx_eq_u32_e32 1, v15
; %bb.120:
	v_sub_nc_u32_e32 v15, v24, v3
	s_delay_alu instid0(VALU_DEP_1)
	v_lshlrev_b32_e32 v15, 2, v15
	ds_store_b32 v15, v16
; %bb.121:
	s_wait_alu 0xfffe
	s_or_b32 exec_lo, exec_lo, s0
	v_and_b32_e32 v15, 1, v20
	s_mov_b32 s0, exec_lo
	s_delay_alu instid0(VALU_DEP_1)
	v_cmpx_eq_u32_e32 1, v15
; %bb.122:
	v_sub_nc_u32_e32 v15, v23, v3
	s_delay_alu instid0(VALU_DEP_1)
	v_lshlrev_b32_e32 v15, 2, v15
	ds_store_b32 v15, v13
; %bb.123:
	s_wait_alu 0xfffe
	s_or_b32 exec_lo, exec_lo, s0
	v_and_b32_e32 v13, 1, v30
	s_mov_b32 s0, exec_lo
	s_delay_alu instid0(VALU_DEP_1)
	v_cmpx_eq_u32_e32 1, v13
; %bb.124:
	v_sub_nc_u32_e32 v13, v22, v3
	s_delay_alu instid0(VALU_DEP_1)
	v_lshlrev_b32_e32 v13, 2, v13
	ds_store_b32 v13, v14
; %bb.125:
	s_wait_alu 0xfffe
	s_or_b32 exec_lo, exec_lo, s0
	v_and_b32_e32 v13, 1, v18
	s_mov_b32 s0, exec_lo
	s_delay_alu instid0(VALU_DEP_1)
	v_cmpx_eq_u32_e32 1, v13
; %bb.126:
	v_sub_nc_u32_e32 v13, v21, v3
	s_delay_alu instid0(VALU_DEP_1)
	v_lshlrev_b32_e32 v13, 2, v13
	ds_store_b32 v13, v11
; %bb.127:
	s_wait_alu 0xfffe
	s_or_b32 exec_lo, exec_lo, s0
	v_and_b32_e32 v11, 1, v19
	s_mov_b32 s0, exec_lo
	s_delay_alu instid0(VALU_DEP_1)
	v_cmpx_eq_u32_e32 1, v11
; %bb.128:
	v_sub_nc_u32_e32 v7, v7, v3
	s_delay_alu instid0(VALU_DEP_1)
	v_lshlrev_b32_e32 v7, 2, v7
	ds_store_b32 v7, v12
; %bb.129:
	s_wait_alu 0xfffe
	s_or_b32 exec_lo, exec_lo, s0
	v_and_b32_e32 v7, 1, v8
	s_mov_b32 s0, exec_lo
	s_delay_alu instid0(VALU_DEP_1)
	v_cmpx_eq_u32_e32 1, v7
; %bb.130:
	v_sub_nc_u32_e32 v6, v6, v3
	s_delay_alu instid0(VALU_DEP_1)
	v_lshlrev_b32_e32 v6, 2, v6
	ds_store_b32 v6, v9
; %bb.131:
	s_wait_alu 0xfffe
	s_or_b32 exec_lo, exec_lo, s0
	v_and_b32_e32 v6, 1, v29
	s_mov_b32 s0, exec_lo
	s_delay_alu instid0(VALU_DEP_1)
	v_cmpx_eq_u32_e32 1, v6
; %bb.132:
	v_sub_nc_u32_e32 v5, v5, v3
	s_delay_alu instid0(VALU_DEP_1)
	v_lshlrev_b32_e32 v5, 2, v5
	ds_store_b32 v5, v10
; %bb.133:
	s_wait_alu 0xfffe
	s_or_b32 exec_lo, exec_lo, s0
	s_wait_loadcnt_dscnt 0x0
	s_barrier_signal -1
	s_barrier_wait -1
	global_inv scope:SCOPE_SE
	v_cmp_eq_u32_e32 vcc_lo, 0, v0
	s_and_b32 s0, vcc_lo, s16
	s_wait_alu 0xfffe
	s_and_saveexec_b32 s1, s0
	s_cbranch_execz .LBB2690_116
.LBB2690_134:
	v_add_co_u32 v0, vcc_lo, v1, s6
	s_wait_alu 0xfffd
	v_add_co_ci_u32_e64 v1, null, s7, v2, vcc_lo
	v_mov_b32_e32 v2, 0
	s_delay_alu instid0(VALU_DEP_3) | instskip(SKIP_1) | instid1(VALU_DEP_3)
	v_add_co_u32 v0, vcc_lo, v0, v3
	s_wait_alu 0xfffd
	v_add_co_ci_u32_e64 v1, null, v1, v4, vcc_lo
	global_store_b64 v2, v[0:1], s[4:5]
	s_endpgm
.LBB2690_135:
	v_add_co_u32 v2, s2, s8, v9
	s_wait_alu 0xf1ff
	v_add_co_ci_u32_e64 v3, null, s9, 0, s2
	v_dual_mov_b32 v25, v1 :: v_dual_mov_b32 v26, v1
	v_dual_mov_b32 v27, v1 :: v_dual_mov_b32 v28, v1
	flat_load_b32 v24, v[2:3]
	v_dual_mov_b32 v29, v1 :: v_dual_mov_b32 v30, v1
	v_mov_b32_e32 v31, v1
	s_wait_loadcnt_dscnt 0x0
	v_dual_mov_b32 v1, v24 :: v_dual_mov_b32 v2, v25
	v_dual_mov_b32 v3, v26 :: v_dual_mov_b32 v4, v27
	;; [unrolled: 1-line block ×4, first 2 shown]
	s_wait_alu 0xfffe
	s_or_b32 exec_lo, exec_lo, s3
	s_delay_alu instid0(SALU_CYCLE_1)
	s_mov_b32 s2, exec_lo
	v_cmpx_gt_u32_e64 s17, v23
	s_cbranch_execz .LBB2690_5
.LBB2690_136:
	v_add_co_u32 v11, s3, s8, v9
	s_wait_alu 0xf1ff
	v_add_co_ci_u32_e64 v12, null, s9, 0, s3
	flat_load_b32 v2, v[11:12] offset:768
	s_wait_alu 0xfffe
	s_or_b32 exec_lo, exec_lo, s2
	s_delay_alu instid0(SALU_CYCLE_1)
	s_mov_b32 s2, exec_lo
	v_cmpx_gt_u32_e64 s17, v22
	s_cbranch_execz .LBB2690_6
.LBB2690_137:
	v_add_co_u32 v11, s3, s8, v9
	s_wait_alu 0xf1ff
	v_add_co_ci_u32_e64 v12, null, s9, 0, s3
	flat_load_b32 v3, v[11:12] offset:1536
	s_wait_alu 0xfffe
	s_or_b32 exec_lo, exec_lo, s2
	s_delay_alu instid0(SALU_CYCLE_1)
	s_mov_b32 s2, exec_lo
	v_cmpx_gt_u32_e64 s17, v21
	s_cbranch_execz .LBB2690_7
.LBB2690_138:
	v_add_co_u32 v11, s3, s8, v9
	s_wait_alu 0xf1ff
	v_add_co_ci_u32_e64 v12, null, s9, 0, s3
	flat_load_b32 v4, v[11:12] offset:2304
	s_wait_alu 0xfffe
	s_or_b32 exec_lo, exec_lo, s2
	s_delay_alu instid0(SALU_CYCLE_1)
	s_mov_b32 s2, exec_lo
	v_cmpx_gt_u32_e64 s17, v19
	s_cbranch_execz .LBB2690_8
.LBB2690_139:
	v_add_co_u32 v11, s3, s8, v9
	s_wait_alu 0xf1ff
	v_add_co_ci_u32_e64 v12, null, s9, 0, s3
	flat_load_b32 v5, v[11:12] offset:3072
	s_wait_alu 0xfffe
	s_or_b32 exec_lo, exec_lo, s2
	s_delay_alu instid0(SALU_CYCLE_1)
	s_mov_b32 s2, exec_lo
	v_cmpx_gt_u32_e64 s17, v18
	s_cbranch_execz .LBB2690_9
.LBB2690_140:
	v_add_co_u32 v11, s3, s8, v9
	s_wait_alu 0xf1ff
	v_add_co_ci_u32_e64 v12, null, s9, 0, s3
	flat_load_b32 v6, v[11:12] offset:3840
	s_wait_alu 0xfffe
	s_or_b32 exec_lo, exec_lo, s2
	s_delay_alu instid0(SALU_CYCLE_1)
	s_mov_b32 s2, exec_lo
	v_cmpx_gt_u32_e64 s17, v17
	s_cbranch_execz .LBB2690_10
.LBB2690_141:
	v_add_co_u32 v11, s3, s8, v9
	s_wait_alu 0xf1ff
	v_add_co_ci_u32_e64 v12, null, s9, 0, s3
	flat_load_b32 v7, v[11:12] offset:4608
	s_wait_alu 0xfffe
	s_or_b32 exec_lo, exec_lo, s2
	s_delay_alu instid0(SALU_CYCLE_1)
	s_mov_b32 s2, exec_lo
	v_cmpx_gt_u32_e64 s17, v20
	s_cbranch_execnz .LBB2690_11
	s_branch .LBB2690_12
.LBB2690_142:
	global_load_u8 v2, v0, s[2:3]
	s_wait_alu 0xfffe
	v_mov_b32_e32 v3, s9
	s_wait_loadcnt 0x0
	v_xor_b32_e32 v4, 1, v2
	s_delay_alu instid0(VALU_DEP_1) | instskip(NEXT) | instid1(VALU_DEP_1)
	v_and_b32_e32 v2, 1, v4
	v_and_b32_e32 v2, 0xffff, v2
	s_or_b32 exec_lo, exec_lo, s8
	s_delay_alu instid0(SALU_CYCLE_1)
	s_mov_b32 s8, exec_lo
	v_cmpx_gt_u32_e64 s17, v23
	s_cbranch_execz .LBB2690_18
.LBB2690_143:
	global_load_u8 v5, v0, s[2:3] offset:192
	v_and_b32_e32 v6, 0xff, v2
	s_wait_loadcnt 0x0
	v_xor_b32_e32 v5, 1, v5
	s_delay_alu instid0(VALU_DEP_1) | instskip(NEXT) | instid1(VALU_DEP_1)
	v_lshlrev_b16 v5, 8, v5
	v_or_b32_e32 v5, v6, v5
	s_delay_alu instid0(VALU_DEP_1) | instskip(NEXT) | instid1(VALU_DEP_1)
	v_and_b32_e32 v5, 0xffff, v5
	v_and_or_b32 v2, 0xffff0000, v2, v5
	s_wait_alu 0xfffe
	s_or_b32 exec_lo, exec_lo, s8
	s_delay_alu instid0(SALU_CYCLE_1)
	s_mov_b32 s8, exec_lo
	v_cmpx_gt_u32_e64 s17, v22
	s_cbranch_execz .LBB2690_19
.LBB2690_144:
	global_load_u8 v5, v0, s[2:3] offset:384
	v_lshrrev_b32_e32 v6, 16, v2
	s_delay_alu instid0(VALU_DEP_1) | instskip(SKIP_2) | instid1(VALU_DEP_1)
	v_and_b32_e32 v6, 0xffffff00, v6
	s_wait_loadcnt 0x0
	v_xor_b32_e32 v5, 1, v5
	v_or_b32_e32 v5, v5, v6
	s_delay_alu instid0(VALU_DEP_1) | instskip(NEXT) | instid1(VALU_DEP_1)
	v_lshlrev_b32_e32 v5, 16, v5
	v_and_or_b32 v2, 0xffff, v2, v5
	s_wait_alu 0xfffe
	s_or_b32 exec_lo, exec_lo, s8
	s_delay_alu instid0(SALU_CYCLE_1)
	s_mov_b32 s8, exec_lo
	v_cmpx_gt_u32_e64 s17, v21
	s_cbranch_execz .LBB2690_20
.LBB2690_145:
	global_load_u8 v5, v0, s[2:3] offset:576
	v_lshrrev_b32_e32 v6, 16, v2
	s_delay_alu instid0(VALU_DEP_1) | instskip(SKIP_2) | instid1(VALU_DEP_1)
	v_and_b32_e32 v6, 0xff, v6
	s_wait_loadcnt 0x0
	v_xor_b32_e32 v5, 1, v5
	v_lshlrev_b16 v5, 8, v5
	s_delay_alu instid0(VALU_DEP_1) | instskip(NEXT) | instid1(VALU_DEP_1)
	v_or_b32_e32 v5, v6, v5
	v_lshlrev_b32_e32 v5, 16, v5
	s_delay_alu instid0(VALU_DEP_1) | instskip(SKIP_2) | instid1(SALU_CYCLE_1)
	v_and_or_b32 v2, 0xffff, v2, v5
	s_wait_alu 0xfffe
	s_or_b32 exec_lo, exec_lo, s8
	s_mov_b32 s8, exec_lo
	v_cmpx_gt_u32_e64 s17, v19
	s_cbranch_execz .LBB2690_21
.LBB2690_146:
	global_load_u8 v5, v0, s[2:3] offset:768
	v_and_b32_e32 v6, 0xffffff00, v3
	s_wait_loadcnt 0x0
	v_xor_b32_e32 v5, 1, v5
	s_delay_alu instid0(VALU_DEP_1) | instskip(NEXT) | instid1(VALU_DEP_1)
	v_or_b32_e32 v5, v5, v6
	v_and_b32_e32 v5, 0xffff, v5
	s_delay_alu instid0(VALU_DEP_1) | instskip(SKIP_2) | instid1(SALU_CYCLE_1)
	v_and_or_b32 v3, 0xffff0000, v3, v5
	s_wait_alu 0xfffe
	s_or_b32 exec_lo, exec_lo, s8
	s_mov_b32 s8, exec_lo
	v_cmpx_gt_u32_e64 s17, v18
	s_cbranch_execz .LBB2690_22
.LBB2690_147:
	global_load_u8 v5, v0, s[2:3] offset:960
	v_and_b32_e32 v6, 0xff, v3
	s_wait_loadcnt 0x0
	v_xor_b32_e32 v5, 1, v5
	s_delay_alu instid0(VALU_DEP_1) | instskip(NEXT) | instid1(VALU_DEP_1)
	v_lshlrev_b16 v5, 8, v5
	v_or_b32_e32 v5, v6, v5
	s_delay_alu instid0(VALU_DEP_1) | instskip(NEXT) | instid1(VALU_DEP_1)
	v_and_b32_e32 v5, 0xffff, v5
	v_and_or_b32 v3, 0xffff0000, v3, v5
	s_wait_alu 0xfffe
	s_or_b32 exec_lo, exec_lo, s8
	s_delay_alu instid0(SALU_CYCLE_1)
	s_mov_b32 s8, exec_lo
	v_cmpx_gt_u32_e64 s17, v17
	s_cbranch_execz .LBB2690_23
.LBB2690_148:
	global_load_u8 v5, v0, s[2:3] offset:1152
	v_lshrrev_b32_e32 v6, 16, v3
	s_delay_alu instid0(VALU_DEP_1) | instskip(SKIP_2) | instid1(VALU_DEP_1)
	v_and_b32_e32 v6, 0xffffff00, v6
	s_wait_loadcnt 0x0
	v_xor_b32_e32 v5, 1, v5
	v_or_b32_e32 v5, v5, v6
	s_delay_alu instid0(VALU_DEP_1) | instskip(NEXT) | instid1(VALU_DEP_1)
	v_lshlrev_b32_e32 v5, 16, v5
	v_and_or_b32 v3, 0xffff, v3, v5
	s_wait_alu 0xfffe
	s_or_b32 exec_lo, exec_lo, s8
	s_delay_alu instid0(SALU_CYCLE_1)
	s_mov_b32 s8, exec_lo
	v_cmpx_gt_u32_e64 s17, v20
	s_cbranch_execnz .LBB2690_24
	s_branch .LBB2690_25
	.section	.rodata,"a",@progbits
	.p2align	6, 0x0
	.amdhsa_kernel _ZN7rocprim17ROCPRIM_400000_NS6detail17trampoline_kernelINS0_14default_configENS1_25partition_config_selectorILNS1_17partition_subalgoE5EjNS0_10empty_typeEbEEZZNS1_14partition_implILS5_5ELb0ES3_mN6thrust23THRUST_200600_302600_NS6detail15normal_iteratorINSA_10device_ptrIjEEEEPS6_NSA_18transform_iteratorINSB_9not_fun_tI7is_trueIjEEENSC_INSD_IbEEEENSA_11use_defaultESO_EENS0_5tupleIJNSA_16discard_iteratorISO_EES6_EEENSQ_IJSG_SG_EEES6_PlJS6_EEE10hipError_tPvRmT3_T4_T5_T6_T7_T9_mT8_P12ihipStream_tbDpT10_ENKUlT_T0_E_clISt17integral_constantIbLb0EES1F_EEDaS1A_S1B_EUlS1A_E_NS1_11comp_targetILNS1_3genE10ELNS1_11target_archE1200ELNS1_3gpuE4ELNS1_3repE0EEENS1_30default_config_static_selectorELNS0_4arch9wavefront6targetE0EEEvT1_
		.amdhsa_group_segment_fixed_size 6352
		.amdhsa_private_segment_fixed_size 0
		.amdhsa_kernarg_size 128
		.amdhsa_user_sgpr_count 2
		.amdhsa_user_sgpr_dispatch_ptr 0
		.amdhsa_user_sgpr_queue_ptr 0
		.amdhsa_user_sgpr_kernarg_segment_ptr 1
		.amdhsa_user_sgpr_dispatch_id 0
		.amdhsa_user_sgpr_private_segment_size 0
		.amdhsa_wavefront_size32 1
		.amdhsa_uses_dynamic_stack 0
		.amdhsa_enable_private_segment 0
		.amdhsa_system_sgpr_workgroup_id_x 1
		.amdhsa_system_sgpr_workgroup_id_y 0
		.amdhsa_system_sgpr_workgroup_id_z 0
		.amdhsa_system_sgpr_workgroup_info 0
		.amdhsa_system_vgpr_workitem_id 0
		.amdhsa_next_free_vgpr 51
		.amdhsa_next_free_sgpr 23
		.amdhsa_reserve_vcc 1
		.amdhsa_float_round_mode_32 0
		.amdhsa_float_round_mode_16_64 0
		.amdhsa_float_denorm_mode_32 3
		.amdhsa_float_denorm_mode_16_64 3
		.amdhsa_fp16_overflow 0
		.amdhsa_workgroup_processor_mode 1
		.amdhsa_memory_ordered 1
		.amdhsa_forward_progress 1
		.amdhsa_inst_pref_size 64
		.amdhsa_round_robin_scheduling 0
		.amdhsa_exception_fp_ieee_invalid_op 0
		.amdhsa_exception_fp_denorm_src 0
		.amdhsa_exception_fp_ieee_div_zero 0
		.amdhsa_exception_fp_ieee_overflow 0
		.amdhsa_exception_fp_ieee_underflow 0
		.amdhsa_exception_fp_ieee_inexact 0
		.amdhsa_exception_int_div_zero 0
	.end_amdhsa_kernel
	.section	.text._ZN7rocprim17ROCPRIM_400000_NS6detail17trampoline_kernelINS0_14default_configENS1_25partition_config_selectorILNS1_17partition_subalgoE5EjNS0_10empty_typeEbEEZZNS1_14partition_implILS5_5ELb0ES3_mN6thrust23THRUST_200600_302600_NS6detail15normal_iteratorINSA_10device_ptrIjEEEEPS6_NSA_18transform_iteratorINSB_9not_fun_tI7is_trueIjEEENSC_INSD_IbEEEENSA_11use_defaultESO_EENS0_5tupleIJNSA_16discard_iteratorISO_EES6_EEENSQ_IJSG_SG_EEES6_PlJS6_EEE10hipError_tPvRmT3_T4_T5_T6_T7_T9_mT8_P12ihipStream_tbDpT10_ENKUlT_T0_E_clISt17integral_constantIbLb0EES1F_EEDaS1A_S1B_EUlS1A_E_NS1_11comp_targetILNS1_3genE10ELNS1_11target_archE1200ELNS1_3gpuE4ELNS1_3repE0EEENS1_30default_config_static_selectorELNS0_4arch9wavefront6targetE0EEEvT1_,"axG",@progbits,_ZN7rocprim17ROCPRIM_400000_NS6detail17trampoline_kernelINS0_14default_configENS1_25partition_config_selectorILNS1_17partition_subalgoE5EjNS0_10empty_typeEbEEZZNS1_14partition_implILS5_5ELb0ES3_mN6thrust23THRUST_200600_302600_NS6detail15normal_iteratorINSA_10device_ptrIjEEEEPS6_NSA_18transform_iteratorINSB_9not_fun_tI7is_trueIjEEENSC_INSD_IbEEEENSA_11use_defaultESO_EENS0_5tupleIJNSA_16discard_iteratorISO_EES6_EEENSQ_IJSG_SG_EEES6_PlJS6_EEE10hipError_tPvRmT3_T4_T5_T6_T7_T9_mT8_P12ihipStream_tbDpT10_ENKUlT_T0_E_clISt17integral_constantIbLb0EES1F_EEDaS1A_S1B_EUlS1A_E_NS1_11comp_targetILNS1_3genE10ELNS1_11target_archE1200ELNS1_3gpuE4ELNS1_3repE0EEENS1_30default_config_static_selectorELNS0_4arch9wavefront6targetE0EEEvT1_,comdat
.Lfunc_end2690:
	.size	_ZN7rocprim17ROCPRIM_400000_NS6detail17trampoline_kernelINS0_14default_configENS1_25partition_config_selectorILNS1_17partition_subalgoE5EjNS0_10empty_typeEbEEZZNS1_14partition_implILS5_5ELb0ES3_mN6thrust23THRUST_200600_302600_NS6detail15normal_iteratorINSA_10device_ptrIjEEEEPS6_NSA_18transform_iteratorINSB_9not_fun_tI7is_trueIjEEENSC_INSD_IbEEEENSA_11use_defaultESO_EENS0_5tupleIJNSA_16discard_iteratorISO_EES6_EEENSQ_IJSG_SG_EEES6_PlJS6_EEE10hipError_tPvRmT3_T4_T5_T6_T7_T9_mT8_P12ihipStream_tbDpT10_ENKUlT_T0_E_clISt17integral_constantIbLb0EES1F_EEDaS1A_S1B_EUlS1A_E_NS1_11comp_targetILNS1_3genE10ELNS1_11target_archE1200ELNS1_3gpuE4ELNS1_3repE0EEENS1_30default_config_static_selectorELNS0_4arch9wavefront6targetE0EEEvT1_, .Lfunc_end2690-_ZN7rocprim17ROCPRIM_400000_NS6detail17trampoline_kernelINS0_14default_configENS1_25partition_config_selectorILNS1_17partition_subalgoE5EjNS0_10empty_typeEbEEZZNS1_14partition_implILS5_5ELb0ES3_mN6thrust23THRUST_200600_302600_NS6detail15normal_iteratorINSA_10device_ptrIjEEEEPS6_NSA_18transform_iteratorINSB_9not_fun_tI7is_trueIjEEENSC_INSD_IbEEEENSA_11use_defaultESO_EENS0_5tupleIJNSA_16discard_iteratorISO_EES6_EEENSQ_IJSG_SG_EEES6_PlJS6_EEE10hipError_tPvRmT3_T4_T5_T6_T7_T9_mT8_P12ihipStream_tbDpT10_ENKUlT_T0_E_clISt17integral_constantIbLb0EES1F_EEDaS1A_S1B_EUlS1A_E_NS1_11comp_targetILNS1_3genE10ELNS1_11target_archE1200ELNS1_3gpuE4ELNS1_3repE0EEENS1_30default_config_static_selectorELNS0_4arch9wavefront6targetE0EEEvT1_
                                        ; -- End function
	.set _ZN7rocprim17ROCPRIM_400000_NS6detail17trampoline_kernelINS0_14default_configENS1_25partition_config_selectorILNS1_17partition_subalgoE5EjNS0_10empty_typeEbEEZZNS1_14partition_implILS5_5ELb0ES3_mN6thrust23THRUST_200600_302600_NS6detail15normal_iteratorINSA_10device_ptrIjEEEEPS6_NSA_18transform_iteratorINSB_9not_fun_tI7is_trueIjEEENSC_INSD_IbEEEENSA_11use_defaultESO_EENS0_5tupleIJNSA_16discard_iteratorISO_EES6_EEENSQ_IJSG_SG_EEES6_PlJS6_EEE10hipError_tPvRmT3_T4_T5_T6_T7_T9_mT8_P12ihipStream_tbDpT10_ENKUlT_T0_E_clISt17integral_constantIbLb0EES1F_EEDaS1A_S1B_EUlS1A_E_NS1_11comp_targetILNS1_3genE10ELNS1_11target_archE1200ELNS1_3gpuE4ELNS1_3repE0EEENS1_30default_config_static_selectorELNS0_4arch9wavefront6targetE0EEEvT1_.num_vgpr, 51
	.set _ZN7rocprim17ROCPRIM_400000_NS6detail17trampoline_kernelINS0_14default_configENS1_25partition_config_selectorILNS1_17partition_subalgoE5EjNS0_10empty_typeEbEEZZNS1_14partition_implILS5_5ELb0ES3_mN6thrust23THRUST_200600_302600_NS6detail15normal_iteratorINSA_10device_ptrIjEEEEPS6_NSA_18transform_iteratorINSB_9not_fun_tI7is_trueIjEEENSC_INSD_IbEEEENSA_11use_defaultESO_EENS0_5tupleIJNSA_16discard_iteratorISO_EES6_EEENSQ_IJSG_SG_EEES6_PlJS6_EEE10hipError_tPvRmT3_T4_T5_T6_T7_T9_mT8_P12ihipStream_tbDpT10_ENKUlT_T0_E_clISt17integral_constantIbLb0EES1F_EEDaS1A_S1B_EUlS1A_E_NS1_11comp_targetILNS1_3genE10ELNS1_11target_archE1200ELNS1_3gpuE4ELNS1_3repE0EEENS1_30default_config_static_selectorELNS0_4arch9wavefront6targetE0EEEvT1_.num_agpr, 0
	.set _ZN7rocprim17ROCPRIM_400000_NS6detail17trampoline_kernelINS0_14default_configENS1_25partition_config_selectorILNS1_17partition_subalgoE5EjNS0_10empty_typeEbEEZZNS1_14partition_implILS5_5ELb0ES3_mN6thrust23THRUST_200600_302600_NS6detail15normal_iteratorINSA_10device_ptrIjEEEEPS6_NSA_18transform_iteratorINSB_9not_fun_tI7is_trueIjEEENSC_INSD_IbEEEENSA_11use_defaultESO_EENS0_5tupleIJNSA_16discard_iteratorISO_EES6_EEENSQ_IJSG_SG_EEES6_PlJS6_EEE10hipError_tPvRmT3_T4_T5_T6_T7_T9_mT8_P12ihipStream_tbDpT10_ENKUlT_T0_E_clISt17integral_constantIbLb0EES1F_EEDaS1A_S1B_EUlS1A_E_NS1_11comp_targetILNS1_3genE10ELNS1_11target_archE1200ELNS1_3gpuE4ELNS1_3repE0EEENS1_30default_config_static_selectorELNS0_4arch9wavefront6targetE0EEEvT1_.numbered_sgpr, 23
	.set _ZN7rocprim17ROCPRIM_400000_NS6detail17trampoline_kernelINS0_14default_configENS1_25partition_config_selectorILNS1_17partition_subalgoE5EjNS0_10empty_typeEbEEZZNS1_14partition_implILS5_5ELb0ES3_mN6thrust23THRUST_200600_302600_NS6detail15normal_iteratorINSA_10device_ptrIjEEEEPS6_NSA_18transform_iteratorINSB_9not_fun_tI7is_trueIjEEENSC_INSD_IbEEEENSA_11use_defaultESO_EENS0_5tupleIJNSA_16discard_iteratorISO_EES6_EEENSQ_IJSG_SG_EEES6_PlJS6_EEE10hipError_tPvRmT3_T4_T5_T6_T7_T9_mT8_P12ihipStream_tbDpT10_ENKUlT_T0_E_clISt17integral_constantIbLb0EES1F_EEDaS1A_S1B_EUlS1A_E_NS1_11comp_targetILNS1_3genE10ELNS1_11target_archE1200ELNS1_3gpuE4ELNS1_3repE0EEENS1_30default_config_static_selectorELNS0_4arch9wavefront6targetE0EEEvT1_.num_named_barrier, 0
	.set _ZN7rocprim17ROCPRIM_400000_NS6detail17trampoline_kernelINS0_14default_configENS1_25partition_config_selectorILNS1_17partition_subalgoE5EjNS0_10empty_typeEbEEZZNS1_14partition_implILS5_5ELb0ES3_mN6thrust23THRUST_200600_302600_NS6detail15normal_iteratorINSA_10device_ptrIjEEEEPS6_NSA_18transform_iteratorINSB_9not_fun_tI7is_trueIjEEENSC_INSD_IbEEEENSA_11use_defaultESO_EENS0_5tupleIJNSA_16discard_iteratorISO_EES6_EEENSQ_IJSG_SG_EEES6_PlJS6_EEE10hipError_tPvRmT3_T4_T5_T6_T7_T9_mT8_P12ihipStream_tbDpT10_ENKUlT_T0_E_clISt17integral_constantIbLb0EES1F_EEDaS1A_S1B_EUlS1A_E_NS1_11comp_targetILNS1_3genE10ELNS1_11target_archE1200ELNS1_3gpuE4ELNS1_3repE0EEENS1_30default_config_static_selectorELNS0_4arch9wavefront6targetE0EEEvT1_.private_seg_size, 0
	.set _ZN7rocprim17ROCPRIM_400000_NS6detail17trampoline_kernelINS0_14default_configENS1_25partition_config_selectorILNS1_17partition_subalgoE5EjNS0_10empty_typeEbEEZZNS1_14partition_implILS5_5ELb0ES3_mN6thrust23THRUST_200600_302600_NS6detail15normal_iteratorINSA_10device_ptrIjEEEEPS6_NSA_18transform_iteratorINSB_9not_fun_tI7is_trueIjEEENSC_INSD_IbEEEENSA_11use_defaultESO_EENS0_5tupleIJNSA_16discard_iteratorISO_EES6_EEENSQ_IJSG_SG_EEES6_PlJS6_EEE10hipError_tPvRmT3_T4_T5_T6_T7_T9_mT8_P12ihipStream_tbDpT10_ENKUlT_T0_E_clISt17integral_constantIbLb0EES1F_EEDaS1A_S1B_EUlS1A_E_NS1_11comp_targetILNS1_3genE10ELNS1_11target_archE1200ELNS1_3gpuE4ELNS1_3repE0EEENS1_30default_config_static_selectorELNS0_4arch9wavefront6targetE0EEEvT1_.uses_vcc, 1
	.set _ZN7rocprim17ROCPRIM_400000_NS6detail17trampoline_kernelINS0_14default_configENS1_25partition_config_selectorILNS1_17partition_subalgoE5EjNS0_10empty_typeEbEEZZNS1_14partition_implILS5_5ELb0ES3_mN6thrust23THRUST_200600_302600_NS6detail15normal_iteratorINSA_10device_ptrIjEEEEPS6_NSA_18transform_iteratorINSB_9not_fun_tI7is_trueIjEEENSC_INSD_IbEEEENSA_11use_defaultESO_EENS0_5tupleIJNSA_16discard_iteratorISO_EES6_EEENSQ_IJSG_SG_EEES6_PlJS6_EEE10hipError_tPvRmT3_T4_T5_T6_T7_T9_mT8_P12ihipStream_tbDpT10_ENKUlT_T0_E_clISt17integral_constantIbLb0EES1F_EEDaS1A_S1B_EUlS1A_E_NS1_11comp_targetILNS1_3genE10ELNS1_11target_archE1200ELNS1_3gpuE4ELNS1_3repE0EEENS1_30default_config_static_selectorELNS0_4arch9wavefront6targetE0EEEvT1_.uses_flat_scratch, 1
	.set _ZN7rocprim17ROCPRIM_400000_NS6detail17trampoline_kernelINS0_14default_configENS1_25partition_config_selectorILNS1_17partition_subalgoE5EjNS0_10empty_typeEbEEZZNS1_14partition_implILS5_5ELb0ES3_mN6thrust23THRUST_200600_302600_NS6detail15normal_iteratorINSA_10device_ptrIjEEEEPS6_NSA_18transform_iteratorINSB_9not_fun_tI7is_trueIjEEENSC_INSD_IbEEEENSA_11use_defaultESO_EENS0_5tupleIJNSA_16discard_iteratorISO_EES6_EEENSQ_IJSG_SG_EEES6_PlJS6_EEE10hipError_tPvRmT3_T4_T5_T6_T7_T9_mT8_P12ihipStream_tbDpT10_ENKUlT_T0_E_clISt17integral_constantIbLb0EES1F_EEDaS1A_S1B_EUlS1A_E_NS1_11comp_targetILNS1_3genE10ELNS1_11target_archE1200ELNS1_3gpuE4ELNS1_3repE0EEENS1_30default_config_static_selectorELNS0_4arch9wavefront6targetE0EEEvT1_.has_dyn_sized_stack, 0
	.set _ZN7rocprim17ROCPRIM_400000_NS6detail17trampoline_kernelINS0_14default_configENS1_25partition_config_selectorILNS1_17partition_subalgoE5EjNS0_10empty_typeEbEEZZNS1_14partition_implILS5_5ELb0ES3_mN6thrust23THRUST_200600_302600_NS6detail15normal_iteratorINSA_10device_ptrIjEEEEPS6_NSA_18transform_iteratorINSB_9not_fun_tI7is_trueIjEEENSC_INSD_IbEEEENSA_11use_defaultESO_EENS0_5tupleIJNSA_16discard_iteratorISO_EES6_EEENSQ_IJSG_SG_EEES6_PlJS6_EEE10hipError_tPvRmT3_T4_T5_T6_T7_T9_mT8_P12ihipStream_tbDpT10_ENKUlT_T0_E_clISt17integral_constantIbLb0EES1F_EEDaS1A_S1B_EUlS1A_E_NS1_11comp_targetILNS1_3genE10ELNS1_11target_archE1200ELNS1_3gpuE4ELNS1_3repE0EEENS1_30default_config_static_selectorELNS0_4arch9wavefront6targetE0EEEvT1_.has_recursion, 0
	.set _ZN7rocprim17ROCPRIM_400000_NS6detail17trampoline_kernelINS0_14default_configENS1_25partition_config_selectorILNS1_17partition_subalgoE5EjNS0_10empty_typeEbEEZZNS1_14partition_implILS5_5ELb0ES3_mN6thrust23THRUST_200600_302600_NS6detail15normal_iteratorINSA_10device_ptrIjEEEEPS6_NSA_18transform_iteratorINSB_9not_fun_tI7is_trueIjEEENSC_INSD_IbEEEENSA_11use_defaultESO_EENS0_5tupleIJNSA_16discard_iteratorISO_EES6_EEENSQ_IJSG_SG_EEES6_PlJS6_EEE10hipError_tPvRmT3_T4_T5_T6_T7_T9_mT8_P12ihipStream_tbDpT10_ENKUlT_T0_E_clISt17integral_constantIbLb0EES1F_EEDaS1A_S1B_EUlS1A_E_NS1_11comp_targetILNS1_3genE10ELNS1_11target_archE1200ELNS1_3gpuE4ELNS1_3repE0EEENS1_30default_config_static_selectorELNS0_4arch9wavefront6targetE0EEEvT1_.has_indirect_call, 0
	.section	.AMDGPU.csdata,"",@progbits
; Kernel info:
; codeLenInByte = 8176
; TotalNumSgprs: 25
; NumVgprs: 51
; ScratchSize: 0
; MemoryBound: 0
; FloatMode: 240
; IeeeMode: 1
; LDSByteSize: 6352 bytes/workgroup (compile time only)
; SGPRBlocks: 0
; VGPRBlocks: 6
; NumSGPRsForWavesPerEU: 25
; NumVGPRsForWavesPerEU: 51
; Occupancy: 15
; WaveLimiterHint : 1
; COMPUTE_PGM_RSRC2:SCRATCH_EN: 0
; COMPUTE_PGM_RSRC2:USER_SGPR: 2
; COMPUTE_PGM_RSRC2:TRAP_HANDLER: 0
; COMPUTE_PGM_RSRC2:TGID_X_EN: 1
; COMPUTE_PGM_RSRC2:TGID_Y_EN: 0
; COMPUTE_PGM_RSRC2:TGID_Z_EN: 0
; COMPUTE_PGM_RSRC2:TIDIG_COMP_CNT: 0
	.section	.text._ZN7rocprim17ROCPRIM_400000_NS6detail17trampoline_kernelINS0_14default_configENS1_25partition_config_selectorILNS1_17partition_subalgoE5EjNS0_10empty_typeEbEEZZNS1_14partition_implILS5_5ELb0ES3_mN6thrust23THRUST_200600_302600_NS6detail15normal_iteratorINSA_10device_ptrIjEEEEPS6_NSA_18transform_iteratorINSB_9not_fun_tI7is_trueIjEEENSC_INSD_IbEEEENSA_11use_defaultESO_EENS0_5tupleIJNSA_16discard_iteratorISO_EES6_EEENSQ_IJSG_SG_EEES6_PlJS6_EEE10hipError_tPvRmT3_T4_T5_T6_T7_T9_mT8_P12ihipStream_tbDpT10_ENKUlT_T0_E_clISt17integral_constantIbLb0EES1F_EEDaS1A_S1B_EUlS1A_E_NS1_11comp_targetILNS1_3genE9ELNS1_11target_archE1100ELNS1_3gpuE3ELNS1_3repE0EEENS1_30default_config_static_selectorELNS0_4arch9wavefront6targetE0EEEvT1_,"axG",@progbits,_ZN7rocprim17ROCPRIM_400000_NS6detail17trampoline_kernelINS0_14default_configENS1_25partition_config_selectorILNS1_17partition_subalgoE5EjNS0_10empty_typeEbEEZZNS1_14partition_implILS5_5ELb0ES3_mN6thrust23THRUST_200600_302600_NS6detail15normal_iteratorINSA_10device_ptrIjEEEEPS6_NSA_18transform_iteratorINSB_9not_fun_tI7is_trueIjEEENSC_INSD_IbEEEENSA_11use_defaultESO_EENS0_5tupleIJNSA_16discard_iteratorISO_EES6_EEENSQ_IJSG_SG_EEES6_PlJS6_EEE10hipError_tPvRmT3_T4_T5_T6_T7_T9_mT8_P12ihipStream_tbDpT10_ENKUlT_T0_E_clISt17integral_constantIbLb0EES1F_EEDaS1A_S1B_EUlS1A_E_NS1_11comp_targetILNS1_3genE9ELNS1_11target_archE1100ELNS1_3gpuE3ELNS1_3repE0EEENS1_30default_config_static_selectorELNS0_4arch9wavefront6targetE0EEEvT1_,comdat
	.protected	_ZN7rocprim17ROCPRIM_400000_NS6detail17trampoline_kernelINS0_14default_configENS1_25partition_config_selectorILNS1_17partition_subalgoE5EjNS0_10empty_typeEbEEZZNS1_14partition_implILS5_5ELb0ES3_mN6thrust23THRUST_200600_302600_NS6detail15normal_iteratorINSA_10device_ptrIjEEEEPS6_NSA_18transform_iteratorINSB_9not_fun_tI7is_trueIjEEENSC_INSD_IbEEEENSA_11use_defaultESO_EENS0_5tupleIJNSA_16discard_iteratorISO_EES6_EEENSQ_IJSG_SG_EEES6_PlJS6_EEE10hipError_tPvRmT3_T4_T5_T6_T7_T9_mT8_P12ihipStream_tbDpT10_ENKUlT_T0_E_clISt17integral_constantIbLb0EES1F_EEDaS1A_S1B_EUlS1A_E_NS1_11comp_targetILNS1_3genE9ELNS1_11target_archE1100ELNS1_3gpuE3ELNS1_3repE0EEENS1_30default_config_static_selectorELNS0_4arch9wavefront6targetE0EEEvT1_ ; -- Begin function _ZN7rocprim17ROCPRIM_400000_NS6detail17trampoline_kernelINS0_14default_configENS1_25partition_config_selectorILNS1_17partition_subalgoE5EjNS0_10empty_typeEbEEZZNS1_14partition_implILS5_5ELb0ES3_mN6thrust23THRUST_200600_302600_NS6detail15normal_iteratorINSA_10device_ptrIjEEEEPS6_NSA_18transform_iteratorINSB_9not_fun_tI7is_trueIjEEENSC_INSD_IbEEEENSA_11use_defaultESO_EENS0_5tupleIJNSA_16discard_iteratorISO_EES6_EEENSQ_IJSG_SG_EEES6_PlJS6_EEE10hipError_tPvRmT3_T4_T5_T6_T7_T9_mT8_P12ihipStream_tbDpT10_ENKUlT_T0_E_clISt17integral_constantIbLb0EES1F_EEDaS1A_S1B_EUlS1A_E_NS1_11comp_targetILNS1_3genE9ELNS1_11target_archE1100ELNS1_3gpuE3ELNS1_3repE0EEENS1_30default_config_static_selectorELNS0_4arch9wavefront6targetE0EEEvT1_
	.globl	_ZN7rocprim17ROCPRIM_400000_NS6detail17trampoline_kernelINS0_14default_configENS1_25partition_config_selectorILNS1_17partition_subalgoE5EjNS0_10empty_typeEbEEZZNS1_14partition_implILS5_5ELb0ES3_mN6thrust23THRUST_200600_302600_NS6detail15normal_iteratorINSA_10device_ptrIjEEEEPS6_NSA_18transform_iteratorINSB_9not_fun_tI7is_trueIjEEENSC_INSD_IbEEEENSA_11use_defaultESO_EENS0_5tupleIJNSA_16discard_iteratorISO_EES6_EEENSQ_IJSG_SG_EEES6_PlJS6_EEE10hipError_tPvRmT3_T4_T5_T6_T7_T9_mT8_P12ihipStream_tbDpT10_ENKUlT_T0_E_clISt17integral_constantIbLb0EES1F_EEDaS1A_S1B_EUlS1A_E_NS1_11comp_targetILNS1_3genE9ELNS1_11target_archE1100ELNS1_3gpuE3ELNS1_3repE0EEENS1_30default_config_static_selectorELNS0_4arch9wavefront6targetE0EEEvT1_
	.p2align	8
	.type	_ZN7rocprim17ROCPRIM_400000_NS6detail17trampoline_kernelINS0_14default_configENS1_25partition_config_selectorILNS1_17partition_subalgoE5EjNS0_10empty_typeEbEEZZNS1_14partition_implILS5_5ELb0ES3_mN6thrust23THRUST_200600_302600_NS6detail15normal_iteratorINSA_10device_ptrIjEEEEPS6_NSA_18transform_iteratorINSB_9not_fun_tI7is_trueIjEEENSC_INSD_IbEEEENSA_11use_defaultESO_EENS0_5tupleIJNSA_16discard_iteratorISO_EES6_EEENSQ_IJSG_SG_EEES6_PlJS6_EEE10hipError_tPvRmT3_T4_T5_T6_T7_T9_mT8_P12ihipStream_tbDpT10_ENKUlT_T0_E_clISt17integral_constantIbLb0EES1F_EEDaS1A_S1B_EUlS1A_E_NS1_11comp_targetILNS1_3genE9ELNS1_11target_archE1100ELNS1_3gpuE3ELNS1_3repE0EEENS1_30default_config_static_selectorELNS0_4arch9wavefront6targetE0EEEvT1_,@function
_ZN7rocprim17ROCPRIM_400000_NS6detail17trampoline_kernelINS0_14default_configENS1_25partition_config_selectorILNS1_17partition_subalgoE5EjNS0_10empty_typeEbEEZZNS1_14partition_implILS5_5ELb0ES3_mN6thrust23THRUST_200600_302600_NS6detail15normal_iteratorINSA_10device_ptrIjEEEEPS6_NSA_18transform_iteratorINSB_9not_fun_tI7is_trueIjEEENSC_INSD_IbEEEENSA_11use_defaultESO_EENS0_5tupleIJNSA_16discard_iteratorISO_EES6_EEENSQ_IJSG_SG_EEES6_PlJS6_EEE10hipError_tPvRmT3_T4_T5_T6_T7_T9_mT8_P12ihipStream_tbDpT10_ENKUlT_T0_E_clISt17integral_constantIbLb0EES1F_EEDaS1A_S1B_EUlS1A_E_NS1_11comp_targetILNS1_3genE9ELNS1_11target_archE1100ELNS1_3gpuE3ELNS1_3repE0EEENS1_30default_config_static_selectorELNS0_4arch9wavefront6targetE0EEEvT1_: ; @_ZN7rocprim17ROCPRIM_400000_NS6detail17trampoline_kernelINS0_14default_configENS1_25partition_config_selectorILNS1_17partition_subalgoE5EjNS0_10empty_typeEbEEZZNS1_14partition_implILS5_5ELb0ES3_mN6thrust23THRUST_200600_302600_NS6detail15normal_iteratorINSA_10device_ptrIjEEEEPS6_NSA_18transform_iteratorINSB_9not_fun_tI7is_trueIjEEENSC_INSD_IbEEEENSA_11use_defaultESO_EENS0_5tupleIJNSA_16discard_iteratorISO_EES6_EEENSQ_IJSG_SG_EEES6_PlJS6_EEE10hipError_tPvRmT3_T4_T5_T6_T7_T9_mT8_P12ihipStream_tbDpT10_ENKUlT_T0_E_clISt17integral_constantIbLb0EES1F_EEDaS1A_S1B_EUlS1A_E_NS1_11comp_targetILNS1_3genE9ELNS1_11target_archE1100ELNS1_3gpuE3ELNS1_3repE0EEENS1_30default_config_static_selectorELNS0_4arch9wavefront6targetE0EEEvT1_
; %bb.0:
	.section	.rodata,"a",@progbits
	.p2align	6, 0x0
	.amdhsa_kernel _ZN7rocprim17ROCPRIM_400000_NS6detail17trampoline_kernelINS0_14default_configENS1_25partition_config_selectorILNS1_17partition_subalgoE5EjNS0_10empty_typeEbEEZZNS1_14partition_implILS5_5ELb0ES3_mN6thrust23THRUST_200600_302600_NS6detail15normal_iteratorINSA_10device_ptrIjEEEEPS6_NSA_18transform_iteratorINSB_9not_fun_tI7is_trueIjEEENSC_INSD_IbEEEENSA_11use_defaultESO_EENS0_5tupleIJNSA_16discard_iteratorISO_EES6_EEENSQ_IJSG_SG_EEES6_PlJS6_EEE10hipError_tPvRmT3_T4_T5_T6_T7_T9_mT8_P12ihipStream_tbDpT10_ENKUlT_T0_E_clISt17integral_constantIbLb0EES1F_EEDaS1A_S1B_EUlS1A_E_NS1_11comp_targetILNS1_3genE9ELNS1_11target_archE1100ELNS1_3gpuE3ELNS1_3repE0EEENS1_30default_config_static_selectorELNS0_4arch9wavefront6targetE0EEEvT1_
		.amdhsa_group_segment_fixed_size 0
		.amdhsa_private_segment_fixed_size 0
		.amdhsa_kernarg_size 128
		.amdhsa_user_sgpr_count 2
		.amdhsa_user_sgpr_dispatch_ptr 0
		.amdhsa_user_sgpr_queue_ptr 0
		.amdhsa_user_sgpr_kernarg_segment_ptr 1
		.amdhsa_user_sgpr_dispatch_id 0
		.amdhsa_user_sgpr_private_segment_size 0
		.amdhsa_wavefront_size32 1
		.amdhsa_uses_dynamic_stack 0
		.amdhsa_enable_private_segment 0
		.amdhsa_system_sgpr_workgroup_id_x 1
		.amdhsa_system_sgpr_workgroup_id_y 0
		.amdhsa_system_sgpr_workgroup_id_z 0
		.amdhsa_system_sgpr_workgroup_info 0
		.amdhsa_system_vgpr_workitem_id 0
		.amdhsa_next_free_vgpr 1
		.amdhsa_next_free_sgpr 1
		.amdhsa_reserve_vcc 0
		.amdhsa_float_round_mode_32 0
		.amdhsa_float_round_mode_16_64 0
		.amdhsa_float_denorm_mode_32 3
		.amdhsa_float_denorm_mode_16_64 3
		.amdhsa_fp16_overflow 0
		.amdhsa_workgroup_processor_mode 1
		.amdhsa_memory_ordered 1
		.amdhsa_forward_progress 1
		.amdhsa_inst_pref_size 0
		.amdhsa_round_robin_scheduling 0
		.amdhsa_exception_fp_ieee_invalid_op 0
		.amdhsa_exception_fp_denorm_src 0
		.amdhsa_exception_fp_ieee_div_zero 0
		.amdhsa_exception_fp_ieee_overflow 0
		.amdhsa_exception_fp_ieee_underflow 0
		.amdhsa_exception_fp_ieee_inexact 0
		.amdhsa_exception_int_div_zero 0
	.end_amdhsa_kernel
	.section	.text._ZN7rocprim17ROCPRIM_400000_NS6detail17trampoline_kernelINS0_14default_configENS1_25partition_config_selectorILNS1_17partition_subalgoE5EjNS0_10empty_typeEbEEZZNS1_14partition_implILS5_5ELb0ES3_mN6thrust23THRUST_200600_302600_NS6detail15normal_iteratorINSA_10device_ptrIjEEEEPS6_NSA_18transform_iteratorINSB_9not_fun_tI7is_trueIjEEENSC_INSD_IbEEEENSA_11use_defaultESO_EENS0_5tupleIJNSA_16discard_iteratorISO_EES6_EEENSQ_IJSG_SG_EEES6_PlJS6_EEE10hipError_tPvRmT3_T4_T5_T6_T7_T9_mT8_P12ihipStream_tbDpT10_ENKUlT_T0_E_clISt17integral_constantIbLb0EES1F_EEDaS1A_S1B_EUlS1A_E_NS1_11comp_targetILNS1_3genE9ELNS1_11target_archE1100ELNS1_3gpuE3ELNS1_3repE0EEENS1_30default_config_static_selectorELNS0_4arch9wavefront6targetE0EEEvT1_,"axG",@progbits,_ZN7rocprim17ROCPRIM_400000_NS6detail17trampoline_kernelINS0_14default_configENS1_25partition_config_selectorILNS1_17partition_subalgoE5EjNS0_10empty_typeEbEEZZNS1_14partition_implILS5_5ELb0ES3_mN6thrust23THRUST_200600_302600_NS6detail15normal_iteratorINSA_10device_ptrIjEEEEPS6_NSA_18transform_iteratorINSB_9not_fun_tI7is_trueIjEEENSC_INSD_IbEEEENSA_11use_defaultESO_EENS0_5tupleIJNSA_16discard_iteratorISO_EES6_EEENSQ_IJSG_SG_EEES6_PlJS6_EEE10hipError_tPvRmT3_T4_T5_T6_T7_T9_mT8_P12ihipStream_tbDpT10_ENKUlT_T0_E_clISt17integral_constantIbLb0EES1F_EEDaS1A_S1B_EUlS1A_E_NS1_11comp_targetILNS1_3genE9ELNS1_11target_archE1100ELNS1_3gpuE3ELNS1_3repE0EEENS1_30default_config_static_selectorELNS0_4arch9wavefront6targetE0EEEvT1_,comdat
.Lfunc_end2691:
	.size	_ZN7rocprim17ROCPRIM_400000_NS6detail17trampoline_kernelINS0_14default_configENS1_25partition_config_selectorILNS1_17partition_subalgoE5EjNS0_10empty_typeEbEEZZNS1_14partition_implILS5_5ELb0ES3_mN6thrust23THRUST_200600_302600_NS6detail15normal_iteratorINSA_10device_ptrIjEEEEPS6_NSA_18transform_iteratorINSB_9not_fun_tI7is_trueIjEEENSC_INSD_IbEEEENSA_11use_defaultESO_EENS0_5tupleIJNSA_16discard_iteratorISO_EES6_EEENSQ_IJSG_SG_EEES6_PlJS6_EEE10hipError_tPvRmT3_T4_T5_T6_T7_T9_mT8_P12ihipStream_tbDpT10_ENKUlT_T0_E_clISt17integral_constantIbLb0EES1F_EEDaS1A_S1B_EUlS1A_E_NS1_11comp_targetILNS1_3genE9ELNS1_11target_archE1100ELNS1_3gpuE3ELNS1_3repE0EEENS1_30default_config_static_selectorELNS0_4arch9wavefront6targetE0EEEvT1_, .Lfunc_end2691-_ZN7rocprim17ROCPRIM_400000_NS6detail17trampoline_kernelINS0_14default_configENS1_25partition_config_selectorILNS1_17partition_subalgoE5EjNS0_10empty_typeEbEEZZNS1_14partition_implILS5_5ELb0ES3_mN6thrust23THRUST_200600_302600_NS6detail15normal_iteratorINSA_10device_ptrIjEEEEPS6_NSA_18transform_iteratorINSB_9not_fun_tI7is_trueIjEEENSC_INSD_IbEEEENSA_11use_defaultESO_EENS0_5tupleIJNSA_16discard_iteratorISO_EES6_EEENSQ_IJSG_SG_EEES6_PlJS6_EEE10hipError_tPvRmT3_T4_T5_T6_T7_T9_mT8_P12ihipStream_tbDpT10_ENKUlT_T0_E_clISt17integral_constantIbLb0EES1F_EEDaS1A_S1B_EUlS1A_E_NS1_11comp_targetILNS1_3genE9ELNS1_11target_archE1100ELNS1_3gpuE3ELNS1_3repE0EEENS1_30default_config_static_selectorELNS0_4arch9wavefront6targetE0EEEvT1_
                                        ; -- End function
	.set _ZN7rocprim17ROCPRIM_400000_NS6detail17trampoline_kernelINS0_14default_configENS1_25partition_config_selectorILNS1_17partition_subalgoE5EjNS0_10empty_typeEbEEZZNS1_14partition_implILS5_5ELb0ES3_mN6thrust23THRUST_200600_302600_NS6detail15normal_iteratorINSA_10device_ptrIjEEEEPS6_NSA_18transform_iteratorINSB_9not_fun_tI7is_trueIjEEENSC_INSD_IbEEEENSA_11use_defaultESO_EENS0_5tupleIJNSA_16discard_iteratorISO_EES6_EEENSQ_IJSG_SG_EEES6_PlJS6_EEE10hipError_tPvRmT3_T4_T5_T6_T7_T9_mT8_P12ihipStream_tbDpT10_ENKUlT_T0_E_clISt17integral_constantIbLb0EES1F_EEDaS1A_S1B_EUlS1A_E_NS1_11comp_targetILNS1_3genE9ELNS1_11target_archE1100ELNS1_3gpuE3ELNS1_3repE0EEENS1_30default_config_static_selectorELNS0_4arch9wavefront6targetE0EEEvT1_.num_vgpr, 0
	.set _ZN7rocprim17ROCPRIM_400000_NS6detail17trampoline_kernelINS0_14default_configENS1_25partition_config_selectorILNS1_17partition_subalgoE5EjNS0_10empty_typeEbEEZZNS1_14partition_implILS5_5ELb0ES3_mN6thrust23THRUST_200600_302600_NS6detail15normal_iteratorINSA_10device_ptrIjEEEEPS6_NSA_18transform_iteratorINSB_9not_fun_tI7is_trueIjEEENSC_INSD_IbEEEENSA_11use_defaultESO_EENS0_5tupleIJNSA_16discard_iteratorISO_EES6_EEENSQ_IJSG_SG_EEES6_PlJS6_EEE10hipError_tPvRmT3_T4_T5_T6_T7_T9_mT8_P12ihipStream_tbDpT10_ENKUlT_T0_E_clISt17integral_constantIbLb0EES1F_EEDaS1A_S1B_EUlS1A_E_NS1_11comp_targetILNS1_3genE9ELNS1_11target_archE1100ELNS1_3gpuE3ELNS1_3repE0EEENS1_30default_config_static_selectorELNS0_4arch9wavefront6targetE0EEEvT1_.num_agpr, 0
	.set _ZN7rocprim17ROCPRIM_400000_NS6detail17trampoline_kernelINS0_14default_configENS1_25partition_config_selectorILNS1_17partition_subalgoE5EjNS0_10empty_typeEbEEZZNS1_14partition_implILS5_5ELb0ES3_mN6thrust23THRUST_200600_302600_NS6detail15normal_iteratorINSA_10device_ptrIjEEEEPS6_NSA_18transform_iteratorINSB_9not_fun_tI7is_trueIjEEENSC_INSD_IbEEEENSA_11use_defaultESO_EENS0_5tupleIJNSA_16discard_iteratorISO_EES6_EEENSQ_IJSG_SG_EEES6_PlJS6_EEE10hipError_tPvRmT3_T4_T5_T6_T7_T9_mT8_P12ihipStream_tbDpT10_ENKUlT_T0_E_clISt17integral_constantIbLb0EES1F_EEDaS1A_S1B_EUlS1A_E_NS1_11comp_targetILNS1_3genE9ELNS1_11target_archE1100ELNS1_3gpuE3ELNS1_3repE0EEENS1_30default_config_static_selectorELNS0_4arch9wavefront6targetE0EEEvT1_.numbered_sgpr, 0
	.set _ZN7rocprim17ROCPRIM_400000_NS6detail17trampoline_kernelINS0_14default_configENS1_25partition_config_selectorILNS1_17partition_subalgoE5EjNS0_10empty_typeEbEEZZNS1_14partition_implILS5_5ELb0ES3_mN6thrust23THRUST_200600_302600_NS6detail15normal_iteratorINSA_10device_ptrIjEEEEPS6_NSA_18transform_iteratorINSB_9not_fun_tI7is_trueIjEEENSC_INSD_IbEEEENSA_11use_defaultESO_EENS0_5tupleIJNSA_16discard_iteratorISO_EES6_EEENSQ_IJSG_SG_EEES6_PlJS6_EEE10hipError_tPvRmT3_T4_T5_T6_T7_T9_mT8_P12ihipStream_tbDpT10_ENKUlT_T0_E_clISt17integral_constantIbLb0EES1F_EEDaS1A_S1B_EUlS1A_E_NS1_11comp_targetILNS1_3genE9ELNS1_11target_archE1100ELNS1_3gpuE3ELNS1_3repE0EEENS1_30default_config_static_selectorELNS0_4arch9wavefront6targetE0EEEvT1_.num_named_barrier, 0
	.set _ZN7rocprim17ROCPRIM_400000_NS6detail17trampoline_kernelINS0_14default_configENS1_25partition_config_selectorILNS1_17partition_subalgoE5EjNS0_10empty_typeEbEEZZNS1_14partition_implILS5_5ELb0ES3_mN6thrust23THRUST_200600_302600_NS6detail15normal_iteratorINSA_10device_ptrIjEEEEPS6_NSA_18transform_iteratorINSB_9not_fun_tI7is_trueIjEEENSC_INSD_IbEEEENSA_11use_defaultESO_EENS0_5tupleIJNSA_16discard_iteratorISO_EES6_EEENSQ_IJSG_SG_EEES6_PlJS6_EEE10hipError_tPvRmT3_T4_T5_T6_T7_T9_mT8_P12ihipStream_tbDpT10_ENKUlT_T0_E_clISt17integral_constantIbLb0EES1F_EEDaS1A_S1B_EUlS1A_E_NS1_11comp_targetILNS1_3genE9ELNS1_11target_archE1100ELNS1_3gpuE3ELNS1_3repE0EEENS1_30default_config_static_selectorELNS0_4arch9wavefront6targetE0EEEvT1_.private_seg_size, 0
	.set _ZN7rocprim17ROCPRIM_400000_NS6detail17trampoline_kernelINS0_14default_configENS1_25partition_config_selectorILNS1_17partition_subalgoE5EjNS0_10empty_typeEbEEZZNS1_14partition_implILS5_5ELb0ES3_mN6thrust23THRUST_200600_302600_NS6detail15normal_iteratorINSA_10device_ptrIjEEEEPS6_NSA_18transform_iteratorINSB_9not_fun_tI7is_trueIjEEENSC_INSD_IbEEEENSA_11use_defaultESO_EENS0_5tupleIJNSA_16discard_iteratorISO_EES6_EEENSQ_IJSG_SG_EEES6_PlJS6_EEE10hipError_tPvRmT3_T4_T5_T6_T7_T9_mT8_P12ihipStream_tbDpT10_ENKUlT_T0_E_clISt17integral_constantIbLb0EES1F_EEDaS1A_S1B_EUlS1A_E_NS1_11comp_targetILNS1_3genE9ELNS1_11target_archE1100ELNS1_3gpuE3ELNS1_3repE0EEENS1_30default_config_static_selectorELNS0_4arch9wavefront6targetE0EEEvT1_.uses_vcc, 0
	.set _ZN7rocprim17ROCPRIM_400000_NS6detail17trampoline_kernelINS0_14default_configENS1_25partition_config_selectorILNS1_17partition_subalgoE5EjNS0_10empty_typeEbEEZZNS1_14partition_implILS5_5ELb0ES3_mN6thrust23THRUST_200600_302600_NS6detail15normal_iteratorINSA_10device_ptrIjEEEEPS6_NSA_18transform_iteratorINSB_9not_fun_tI7is_trueIjEEENSC_INSD_IbEEEENSA_11use_defaultESO_EENS0_5tupleIJNSA_16discard_iteratorISO_EES6_EEENSQ_IJSG_SG_EEES6_PlJS6_EEE10hipError_tPvRmT3_T4_T5_T6_T7_T9_mT8_P12ihipStream_tbDpT10_ENKUlT_T0_E_clISt17integral_constantIbLb0EES1F_EEDaS1A_S1B_EUlS1A_E_NS1_11comp_targetILNS1_3genE9ELNS1_11target_archE1100ELNS1_3gpuE3ELNS1_3repE0EEENS1_30default_config_static_selectorELNS0_4arch9wavefront6targetE0EEEvT1_.uses_flat_scratch, 0
	.set _ZN7rocprim17ROCPRIM_400000_NS6detail17trampoline_kernelINS0_14default_configENS1_25partition_config_selectorILNS1_17partition_subalgoE5EjNS0_10empty_typeEbEEZZNS1_14partition_implILS5_5ELb0ES3_mN6thrust23THRUST_200600_302600_NS6detail15normal_iteratorINSA_10device_ptrIjEEEEPS6_NSA_18transform_iteratorINSB_9not_fun_tI7is_trueIjEEENSC_INSD_IbEEEENSA_11use_defaultESO_EENS0_5tupleIJNSA_16discard_iteratorISO_EES6_EEENSQ_IJSG_SG_EEES6_PlJS6_EEE10hipError_tPvRmT3_T4_T5_T6_T7_T9_mT8_P12ihipStream_tbDpT10_ENKUlT_T0_E_clISt17integral_constantIbLb0EES1F_EEDaS1A_S1B_EUlS1A_E_NS1_11comp_targetILNS1_3genE9ELNS1_11target_archE1100ELNS1_3gpuE3ELNS1_3repE0EEENS1_30default_config_static_selectorELNS0_4arch9wavefront6targetE0EEEvT1_.has_dyn_sized_stack, 0
	.set _ZN7rocprim17ROCPRIM_400000_NS6detail17trampoline_kernelINS0_14default_configENS1_25partition_config_selectorILNS1_17partition_subalgoE5EjNS0_10empty_typeEbEEZZNS1_14partition_implILS5_5ELb0ES3_mN6thrust23THRUST_200600_302600_NS6detail15normal_iteratorINSA_10device_ptrIjEEEEPS6_NSA_18transform_iteratorINSB_9not_fun_tI7is_trueIjEEENSC_INSD_IbEEEENSA_11use_defaultESO_EENS0_5tupleIJNSA_16discard_iteratorISO_EES6_EEENSQ_IJSG_SG_EEES6_PlJS6_EEE10hipError_tPvRmT3_T4_T5_T6_T7_T9_mT8_P12ihipStream_tbDpT10_ENKUlT_T0_E_clISt17integral_constantIbLb0EES1F_EEDaS1A_S1B_EUlS1A_E_NS1_11comp_targetILNS1_3genE9ELNS1_11target_archE1100ELNS1_3gpuE3ELNS1_3repE0EEENS1_30default_config_static_selectorELNS0_4arch9wavefront6targetE0EEEvT1_.has_recursion, 0
	.set _ZN7rocprim17ROCPRIM_400000_NS6detail17trampoline_kernelINS0_14default_configENS1_25partition_config_selectorILNS1_17partition_subalgoE5EjNS0_10empty_typeEbEEZZNS1_14partition_implILS5_5ELb0ES3_mN6thrust23THRUST_200600_302600_NS6detail15normal_iteratorINSA_10device_ptrIjEEEEPS6_NSA_18transform_iteratorINSB_9not_fun_tI7is_trueIjEEENSC_INSD_IbEEEENSA_11use_defaultESO_EENS0_5tupleIJNSA_16discard_iteratorISO_EES6_EEENSQ_IJSG_SG_EEES6_PlJS6_EEE10hipError_tPvRmT3_T4_T5_T6_T7_T9_mT8_P12ihipStream_tbDpT10_ENKUlT_T0_E_clISt17integral_constantIbLb0EES1F_EEDaS1A_S1B_EUlS1A_E_NS1_11comp_targetILNS1_3genE9ELNS1_11target_archE1100ELNS1_3gpuE3ELNS1_3repE0EEENS1_30default_config_static_selectorELNS0_4arch9wavefront6targetE0EEEvT1_.has_indirect_call, 0
	.section	.AMDGPU.csdata,"",@progbits
; Kernel info:
; codeLenInByte = 0
; TotalNumSgprs: 0
; NumVgprs: 0
; ScratchSize: 0
; MemoryBound: 0
; FloatMode: 240
; IeeeMode: 1
; LDSByteSize: 0 bytes/workgroup (compile time only)
; SGPRBlocks: 0
; VGPRBlocks: 0
; NumSGPRsForWavesPerEU: 1
; NumVGPRsForWavesPerEU: 1
; Occupancy: 16
; WaveLimiterHint : 0
; COMPUTE_PGM_RSRC2:SCRATCH_EN: 0
; COMPUTE_PGM_RSRC2:USER_SGPR: 2
; COMPUTE_PGM_RSRC2:TRAP_HANDLER: 0
; COMPUTE_PGM_RSRC2:TGID_X_EN: 1
; COMPUTE_PGM_RSRC2:TGID_Y_EN: 0
; COMPUTE_PGM_RSRC2:TGID_Z_EN: 0
; COMPUTE_PGM_RSRC2:TIDIG_COMP_CNT: 0
	.section	.text._ZN7rocprim17ROCPRIM_400000_NS6detail17trampoline_kernelINS0_14default_configENS1_25partition_config_selectorILNS1_17partition_subalgoE5EjNS0_10empty_typeEbEEZZNS1_14partition_implILS5_5ELb0ES3_mN6thrust23THRUST_200600_302600_NS6detail15normal_iteratorINSA_10device_ptrIjEEEEPS6_NSA_18transform_iteratorINSB_9not_fun_tI7is_trueIjEEENSC_INSD_IbEEEENSA_11use_defaultESO_EENS0_5tupleIJNSA_16discard_iteratorISO_EES6_EEENSQ_IJSG_SG_EEES6_PlJS6_EEE10hipError_tPvRmT3_T4_T5_T6_T7_T9_mT8_P12ihipStream_tbDpT10_ENKUlT_T0_E_clISt17integral_constantIbLb0EES1F_EEDaS1A_S1B_EUlS1A_E_NS1_11comp_targetILNS1_3genE8ELNS1_11target_archE1030ELNS1_3gpuE2ELNS1_3repE0EEENS1_30default_config_static_selectorELNS0_4arch9wavefront6targetE0EEEvT1_,"axG",@progbits,_ZN7rocprim17ROCPRIM_400000_NS6detail17trampoline_kernelINS0_14default_configENS1_25partition_config_selectorILNS1_17partition_subalgoE5EjNS0_10empty_typeEbEEZZNS1_14partition_implILS5_5ELb0ES3_mN6thrust23THRUST_200600_302600_NS6detail15normal_iteratorINSA_10device_ptrIjEEEEPS6_NSA_18transform_iteratorINSB_9not_fun_tI7is_trueIjEEENSC_INSD_IbEEEENSA_11use_defaultESO_EENS0_5tupleIJNSA_16discard_iteratorISO_EES6_EEENSQ_IJSG_SG_EEES6_PlJS6_EEE10hipError_tPvRmT3_T4_T5_T6_T7_T9_mT8_P12ihipStream_tbDpT10_ENKUlT_T0_E_clISt17integral_constantIbLb0EES1F_EEDaS1A_S1B_EUlS1A_E_NS1_11comp_targetILNS1_3genE8ELNS1_11target_archE1030ELNS1_3gpuE2ELNS1_3repE0EEENS1_30default_config_static_selectorELNS0_4arch9wavefront6targetE0EEEvT1_,comdat
	.protected	_ZN7rocprim17ROCPRIM_400000_NS6detail17trampoline_kernelINS0_14default_configENS1_25partition_config_selectorILNS1_17partition_subalgoE5EjNS0_10empty_typeEbEEZZNS1_14partition_implILS5_5ELb0ES3_mN6thrust23THRUST_200600_302600_NS6detail15normal_iteratorINSA_10device_ptrIjEEEEPS6_NSA_18transform_iteratorINSB_9not_fun_tI7is_trueIjEEENSC_INSD_IbEEEENSA_11use_defaultESO_EENS0_5tupleIJNSA_16discard_iteratorISO_EES6_EEENSQ_IJSG_SG_EEES6_PlJS6_EEE10hipError_tPvRmT3_T4_T5_T6_T7_T9_mT8_P12ihipStream_tbDpT10_ENKUlT_T0_E_clISt17integral_constantIbLb0EES1F_EEDaS1A_S1B_EUlS1A_E_NS1_11comp_targetILNS1_3genE8ELNS1_11target_archE1030ELNS1_3gpuE2ELNS1_3repE0EEENS1_30default_config_static_selectorELNS0_4arch9wavefront6targetE0EEEvT1_ ; -- Begin function _ZN7rocprim17ROCPRIM_400000_NS6detail17trampoline_kernelINS0_14default_configENS1_25partition_config_selectorILNS1_17partition_subalgoE5EjNS0_10empty_typeEbEEZZNS1_14partition_implILS5_5ELb0ES3_mN6thrust23THRUST_200600_302600_NS6detail15normal_iteratorINSA_10device_ptrIjEEEEPS6_NSA_18transform_iteratorINSB_9not_fun_tI7is_trueIjEEENSC_INSD_IbEEEENSA_11use_defaultESO_EENS0_5tupleIJNSA_16discard_iteratorISO_EES6_EEENSQ_IJSG_SG_EEES6_PlJS6_EEE10hipError_tPvRmT3_T4_T5_T6_T7_T9_mT8_P12ihipStream_tbDpT10_ENKUlT_T0_E_clISt17integral_constantIbLb0EES1F_EEDaS1A_S1B_EUlS1A_E_NS1_11comp_targetILNS1_3genE8ELNS1_11target_archE1030ELNS1_3gpuE2ELNS1_3repE0EEENS1_30default_config_static_selectorELNS0_4arch9wavefront6targetE0EEEvT1_
	.globl	_ZN7rocprim17ROCPRIM_400000_NS6detail17trampoline_kernelINS0_14default_configENS1_25partition_config_selectorILNS1_17partition_subalgoE5EjNS0_10empty_typeEbEEZZNS1_14partition_implILS5_5ELb0ES3_mN6thrust23THRUST_200600_302600_NS6detail15normal_iteratorINSA_10device_ptrIjEEEEPS6_NSA_18transform_iteratorINSB_9not_fun_tI7is_trueIjEEENSC_INSD_IbEEEENSA_11use_defaultESO_EENS0_5tupleIJNSA_16discard_iteratorISO_EES6_EEENSQ_IJSG_SG_EEES6_PlJS6_EEE10hipError_tPvRmT3_T4_T5_T6_T7_T9_mT8_P12ihipStream_tbDpT10_ENKUlT_T0_E_clISt17integral_constantIbLb0EES1F_EEDaS1A_S1B_EUlS1A_E_NS1_11comp_targetILNS1_3genE8ELNS1_11target_archE1030ELNS1_3gpuE2ELNS1_3repE0EEENS1_30default_config_static_selectorELNS0_4arch9wavefront6targetE0EEEvT1_
	.p2align	8
	.type	_ZN7rocprim17ROCPRIM_400000_NS6detail17trampoline_kernelINS0_14default_configENS1_25partition_config_selectorILNS1_17partition_subalgoE5EjNS0_10empty_typeEbEEZZNS1_14partition_implILS5_5ELb0ES3_mN6thrust23THRUST_200600_302600_NS6detail15normal_iteratorINSA_10device_ptrIjEEEEPS6_NSA_18transform_iteratorINSB_9not_fun_tI7is_trueIjEEENSC_INSD_IbEEEENSA_11use_defaultESO_EENS0_5tupleIJNSA_16discard_iteratorISO_EES6_EEENSQ_IJSG_SG_EEES6_PlJS6_EEE10hipError_tPvRmT3_T4_T5_T6_T7_T9_mT8_P12ihipStream_tbDpT10_ENKUlT_T0_E_clISt17integral_constantIbLb0EES1F_EEDaS1A_S1B_EUlS1A_E_NS1_11comp_targetILNS1_3genE8ELNS1_11target_archE1030ELNS1_3gpuE2ELNS1_3repE0EEENS1_30default_config_static_selectorELNS0_4arch9wavefront6targetE0EEEvT1_,@function
_ZN7rocprim17ROCPRIM_400000_NS6detail17trampoline_kernelINS0_14default_configENS1_25partition_config_selectorILNS1_17partition_subalgoE5EjNS0_10empty_typeEbEEZZNS1_14partition_implILS5_5ELb0ES3_mN6thrust23THRUST_200600_302600_NS6detail15normal_iteratorINSA_10device_ptrIjEEEEPS6_NSA_18transform_iteratorINSB_9not_fun_tI7is_trueIjEEENSC_INSD_IbEEEENSA_11use_defaultESO_EENS0_5tupleIJNSA_16discard_iteratorISO_EES6_EEENSQ_IJSG_SG_EEES6_PlJS6_EEE10hipError_tPvRmT3_T4_T5_T6_T7_T9_mT8_P12ihipStream_tbDpT10_ENKUlT_T0_E_clISt17integral_constantIbLb0EES1F_EEDaS1A_S1B_EUlS1A_E_NS1_11comp_targetILNS1_3genE8ELNS1_11target_archE1030ELNS1_3gpuE2ELNS1_3repE0EEENS1_30default_config_static_selectorELNS0_4arch9wavefront6targetE0EEEvT1_: ; @_ZN7rocprim17ROCPRIM_400000_NS6detail17trampoline_kernelINS0_14default_configENS1_25partition_config_selectorILNS1_17partition_subalgoE5EjNS0_10empty_typeEbEEZZNS1_14partition_implILS5_5ELb0ES3_mN6thrust23THRUST_200600_302600_NS6detail15normal_iteratorINSA_10device_ptrIjEEEEPS6_NSA_18transform_iteratorINSB_9not_fun_tI7is_trueIjEEENSC_INSD_IbEEEENSA_11use_defaultESO_EENS0_5tupleIJNSA_16discard_iteratorISO_EES6_EEENSQ_IJSG_SG_EEES6_PlJS6_EEE10hipError_tPvRmT3_T4_T5_T6_T7_T9_mT8_P12ihipStream_tbDpT10_ENKUlT_T0_E_clISt17integral_constantIbLb0EES1F_EEDaS1A_S1B_EUlS1A_E_NS1_11comp_targetILNS1_3genE8ELNS1_11target_archE1030ELNS1_3gpuE2ELNS1_3repE0EEENS1_30default_config_static_selectorELNS0_4arch9wavefront6targetE0EEEvT1_
; %bb.0:
	.section	.rodata,"a",@progbits
	.p2align	6, 0x0
	.amdhsa_kernel _ZN7rocprim17ROCPRIM_400000_NS6detail17trampoline_kernelINS0_14default_configENS1_25partition_config_selectorILNS1_17partition_subalgoE5EjNS0_10empty_typeEbEEZZNS1_14partition_implILS5_5ELb0ES3_mN6thrust23THRUST_200600_302600_NS6detail15normal_iteratorINSA_10device_ptrIjEEEEPS6_NSA_18transform_iteratorINSB_9not_fun_tI7is_trueIjEEENSC_INSD_IbEEEENSA_11use_defaultESO_EENS0_5tupleIJNSA_16discard_iteratorISO_EES6_EEENSQ_IJSG_SG_EEES6_PlJS6_EEE10hipError_tPvRmT3_T4_T5_T6_T7_T9_mT8_P12ihipStream_tbDpT10_ENKUlT_T0_E_clISt17integral_constantIbLb0EES1F_EEDaS1A_S1B_EUlS1A_E_NS1_11comp_targetILNS1_3genE8ELNS1_11target_archE1030ELNS1_3gpuE2ELNS1_3repE0EEENS1_30default_config_static_selectorELNS0_4arch9wavefront6targetE0EEEvT1_
		.amdhsa_group_segment_fixed_size 0
		.amdhsa_private_segment_fixed_size 0
		.amdhsa_kernarg_size 128
		.amdhsa_user_sgpr_count 2
		.amdhsa_user_sgpr_dispatch_ptr 0
		.amdhsa_user_sgpr_queue_ptr 0
		.amdhsa_user_sgpr_kernarg_segment_ptr 1
		.amdhsa_user_sgpr_dispatch_id 0
		.amdhsa_user_sgpr_private_segment_size 0
		.amdhsa_wavefront_size32 1
		.amdhsa_uses_dynamic_stack 0
		.amdhsa_enable_private_segment 0
		.amdhsa_system_sgpr_workgroup_id_x 1
		.amdhsa_system_sgpr_workgroup_id_y 0
		.amdhsa_system_sgpr_workgroup_id_z 0
		.amdhsa_system_sgpr_workgroup_info 0
		.amdhsa_system_vgpr_workitem_id 0
		.amdhsa_next_free_vgpr 1
		.amdhsa_next_free_sgpr 1
		.amdhsa_reserve_vcc 0
		.amdhsa_float_round_mode_32 0
		.amdhsa_float_round_mode_16_64 0
		.amdhsa_float_denorm_mode_32 3
		.amdhsa_float_denorm_mode_16_64 3
		.amdhsa_fp16_overflow 0
		.amdhsa_workgroup_processor_mode 1
		.amdhsa_memory_ordered 1
		.amdhsa_forward_progress 1
		.amdhsa_inst_pref_size 0
		.amdhsa_round_robin_scheduling 0
		.amdhsa_exception_fp_ieee_invalid_op 0
		.amdhsa_exception_fp_denorm_src 0
		.amdhsa_exception_fp_ieee_div_zero 0
		.amdhsa_exception_fp_ieee_overflow 0
		.amdhsa_exception_fp_ieee_underflow 0
		.amdhsa_exception_fp_ieee_inexact 0
		.amdhsa_exception_int_div_zero 0
	.end_amdhsa_kernel
	.section	.text._ZN7rocprim17ROCPRIM_400000_NS6detail17trampoline_kernelINS0_14default_configENS1_25partition_config_selectorILNS1_17partition_subalgoE5EjNS0_10empty_typeEbEEZZNS1_14partition_implILS5_5ELb0ES3_mN6thrust23THRUST_200600_302600_NS6detail15normal_iteratorINSA_10device_ptrIjEEEEPS6_NSA_18transform_iteratorINSB_9not_fun_tI7is_trueIjEEENSC_INSD_IbEEEENSA_11use_defaultESO_EENS0_5tupleIJNSA_16discard_iteratorISO_EES6_EEENSQ_IJSG_SG_EEES6_PlJS6_EEE10hipError_tPvRmT3_T4_T5_T6_T7_T9_mT8_P12ihipStream_tbDpT10_ENKUlT_T0_E_clISt17integral_constantIbLb0EES1F_EEDaS1A_S1B_EUlS1A_E_NS1_11comp_targetILNS1_3genE8ELNS1_11target_archE1030ELNS1_3gpuE2ELNS1_3repE0EEENS1_30default_config_static_selectorELNS0_4arch9wavefront6targetE0EEEvT1_,"axG",@progbits,_ZN7rocprim17ROCPRIM_400000_NS6detail17trampoline_kernelINS0_14default_configENS1_25partition_config_selectorILNS1_17partition_subalgoE5EjNS0_10empty_typeEbEEZZNS1_14partition_implILS5_5ELb0ES3_mN6thrust23THRUST_200600_302600_NS6detail15normal_iteratorINSA_10device_ptrIjEEEEPS6_NSA_18transform_iteratorINSB_9not_fun_tI7is_trueIjEEENSC_INSD_IbEEEENSA_11use_defaultESO_EENS0_5tupleIJNSA_16discard_iteratorISO_EES6_EEENSQ_IJSG_SG_EEES6_PlJS6_EEE10hipError_tPvRmT3_T4_T5_T6_T7_T9_mT8_P12ihipStream_tbDpT10_ENKUlT_T0_E_clISt17integral_constantIbLb0EES1F_EEDaS1A_S1B_EUlS1A_E_NS1_11comp_targetILNS1_3genE8ELNS1_11target_archE1030ELNS1_3gpuE2ELNS1_3repE0EEENS1_30default_config_static_selectorELNS0_4arch9wavefront6targetE0EEEvT1_,comdat
.Lfunc_end2692:
	.size	_ZN7rocprim17ROCPRIM_400000_NS6detail17trampoline_kernelINS0_14default_configENS1_25partition_config_selectorILNS1_17partition_subalgoE5EjNS0_10empty_typeEbEEZZNS1_14partition_implILS5_5ELb0ES3_mN6thrust23THRUST_200600_302600_NS6detail15normal_iteratorINSA_10device_ptrIjEEEEPS6_NSA_18transform_iteratorINSB_9not_fun_tI7is_trueIjEEENSC_INSD_IbEEEENSA_11use_defaultESO_EENS0_5tupleIJNSA_16discard_iteratorISO_EES6_EEENSQ_IJSG_SG_EEES6_PlJS6_EEE10hipError_tPvRmT3_T4_T5_T6_T7_T9_mT8_P12ihipStream_tbDpT10_ENKUlT_T0_E_clISt17integral_constantIbLb0EES1F_EEDaS1A_S1B_EUlS1A_E_NS1_11comp_targetILNS1_3genE8ELNS1_11target_archE1030ELNS1_3gpuE2ELNS1_3repE0EEENS1_30default_config_static_selectorELNS0_4arch9wavefront6targetE0EEEvT1_, .Lfunc_end2692-_ZN7rocprim17ROCPRIM_400000_NS6detail17trampoline_kernelINS0_14default_configENS1_25partition_config_selectorILNS1_17partition_subalgoE5EjNS0_10empty_typeEbEEZZNS1_14partition_implILS5_5ELb0ES3_mN6thrust23THRUST_200600_302600_NS6detail15normal_iteratorINSA_10device_ptrIjEEEEPS6_NSA_18transform_iteratorINSB_9not_fun_tI7is_trueIjEEENSC_INSD_IbEEEENSA_11use_defaultESO_EENS0_5tupleIJNSA_16discard_iteratorISO_EES6_EEENSQ_IJSG_SG_EEES6_PlJS6_EEE10hipError_tPvRmT3_T4_T5_T6_T7_T9_mT8_P12ihipStream_tbDpT10_ENKUlT_T0_E_clISt17integral_constantIbLb0EES1F_EEDaS1A_S1B_EUlS1A_E_NS1_11comp_targetILNS1_3genE8ELNS1_11target_archE1030ELNS1_3gpuE2ELNS1_3repE0EEENS1_30default_config_static_selectorELNS0_4arch9wavefront6targetE0EEEvT1_
                                        ; -- End function
	.set _ZN7rocprim17ROCPRIM_400000_NS6detail17trampoline_kernelINS0_14default_configENS1_25partition_config_selectorILNS1_17partition_subalgoE5EjNS0_10empty_typeEbEEZZNS1_14partition_implILS5_5ELb0ES3_mN6thrust23THRUST_200600_302600_NS6detail15normal_iteratorINSA_10device_ptrIjEEEEPS6_NSA_18transform_iteratorINSB_9not_fun_tI7is_trueIjEEENSC_INSD_IbEEEENSA_11use_defaultESO_EENS0_5tupleIJNSA_16discard_iteratorISO_EES6_EEENSQ_IJSG_SG_EEES6_PlJS6_EEE10hipError_tPvRmT3_T4_T5_T6_T7_T9_mT8_P12ihipStream_tbDpT10_ENKUlT_T0_E_clISt17integral_constantIbLb0EES1F_EEDaS1A_S1B_EUlS1A_E_NS1_11comp_targetILNS1_3genE8ELNS1_11target_archE1030ELNS1_3gpuE2ELNS1_3repE0EEENS1_30default_config_static_selectorELNS0_4arch9wavefront6targetE0EEEvT1_.num_vgpr, 0
	.set _ZN7rocprim17ROCPRIM_400000_NS6detail17trampoline_kernelINS0_14default_configENS1_25partition_config_selectorILNS1_17partition_subalgoE5EjNS0_10empty_typeEbEEZZNS1_14partition_implILS5_5ELb0ES3_mN6thrust23THRUST_200600_302600_NS6detail15normal_iteratorINSA_10device_ptrIjEEEEPS6_NSA_18transform_iteratorINSB_9not_fun_tI7is_trueIjEEENSC_INSD_IbEEEENSA_11use_defaultESO_EENS0_5tupleIJNSA_16discard_iteratorISO_EES6_EEENSQ_IJSG_SG_EEES6_PlJS6_EEE10hipError_tPvRmT3_T4_T5_T6_T7_T9_mT8_P12ihipStream_tbDpT10_ENKUlT_T0_E_clISt17integral_constantIbLb0EES1F_EEDaS1A_S1B_EUlS1A_E_NS1_11comp_targetILNS1_3genE8ELNS1_11target_archE1030ELNS1_3gpuE2ELNS1_3repE0EEENS1_30default_config_static_selectorELNS0_4arch9wavefront6targetE0EEEvT1_.num_agpr, 0
	.set _ZN7rocprim17ROCPRIM_400000_NS6detail17trampoline_kernelINS0_14default_configENS1_25partition_config_selectorILNS1_17partition_subalgoE5EjNS0_10empty_typeEbEEZZNS1_14partition_implILS5_5ELb0ES3_mN6thrust23THRUST_200600_302600_NS6detail15normal_iteratorINSA_10device_ptrIjEEEEPS6_NSA_18transform_iteratorINSB_9not_fun_tI7is_trueIjEEENSC_INSD_IbEEEENSA_11use_defaultESO_EENS0_5tupleIJNSA_16discard_iteratorISO_EES6_EEENSQ_IJSG_SG_EEES6_PlJS6_EEE10hipError_tPvRmT3_T4_T5_T6_T7_T9_mT8_P12ihipStream_tbDpT10_ENKUlT_T0_E_clISt17integral_constantIbLb0EES1F_EEDaS1A_S1B_EUlS1A_E_NS1_11comp_targetILNS1_3genE8ELNS1_11target_archE1030ELNS1_3gpuE2ELNS1_3repE0EEENS1_30default_config_static_selectorELNS0_4arch9wavefront6targetE0EEEvT1_.numbered_sgpr, 0
	.set _ZN7rocprim17ROCPRIM_400000_NS6detail17trampoline_kernelINS0_14default_configENS1_25partition_config_selectorILNS1_17partition_subalgoE5EjNS0_10empty_typeEbEEZZNS1_14partition_implILS5_5ELb0ES3_mN6thrust23THRUST_200600_302600_NS6detail15normal_iteratorINSA_10device_ptrIjEEEEPS6_NSA_18transform_iteratorINSB_9not_fun_tI7is_trueIjEEENSC_INSD_IbEEEENSA_11use_defaultESO_EENS0_5tupleIJNSA_16discard_iteratorISO_EES6_EEENSQ_IJSG_SG_EEES6_PlJS6_EEE10hipError_tPvRmT3_T4_T5_T6_T7_T9_mT8_P12ihipStream_tbDpT10_ENKUlT_T0_E_clISt17integral_constantIbLb0EES1F_EEDaS1A_S1B_EUlS1A_E_NS1_11comp_targetILNS1_3genE8ELNS1_11target_archE1030ELNS1_3gpuE2ELNS1_3repE0EEENS1_30default_config_static_selectorELNS0_4arch9wavefront6targetE0EEEvT1_.num_named_barrier, 0
	.set _ZN7rocprim17ROCPRIM_400000_NS6detail17trampoline_kernelINS0_14default_configENS1_25partition_config_selectorILNS1_17partition_subalgoE5EjNS0_10empty_typeEbEEZZNS1_14partition_implILS5_5ELb0ES3_mN6thrust23THRUST_200600_302600_NS6detail15normal_iteratorINSA_10device_ptrIjEEEEPS6_NSA_18transform_iteratorINSB_9not_fun_tI7is_trueIjEEENSC_INSD_IbEEEENSA_11use_defaultESO_EENS0_5tupleIJNSA_16discard_iteratorISO_EES6_EEENSQ_IJSG_SG_EEES6_PlJS6_EEE10hipError_tPvRmT3_T4_T5_T6_T7_T9_mT8_P12ihipStream_tbDpT10_ENKUlT_T0_E_clISt17integral_constantIbLb0EES1F_EEDaS1A_S1B_EUlS1A_E_NS1_11comp_targetILNS1_3genE8ELNS1_11target_archE1030ELNS1_3gpuE2ELNS1_3repE0EEENS1_30default_config_static_selectorELNS0_4arch9wavefront6targetE0EEEvT1_.private_seg_size, 0
	.set _ZN7rocprim17ROCPRIM_400000_NS6detail17trampoline_kernelINS0_14default_configENS1_25partition_config_selectorILNS1_17partition_subalgoE5EjNS0_10empty_typeEbEEZZNS1_14partition_implILS5_5ELb0ES3_mN6thrust23THRUST_200600_302600_NS6detail15normal_iteratorINSA_10device_ptrIjEEEEPS6_NSA_18transform_iteratorINSB_9not_fun_tI7is_trueIjEEENSC_INSD_IbEEEENSA_11use_defaultESO_EENS0_5tupleIJNSA_16discard_iteratorISO_EES6_EEENSQ_IJSG_SG_EEES6_PlJS6_EEE10hipError_tPvRmT3_T4_T5_T6_T7_T9_mT8_P12ihipStream_tbDpT10_ENKUlT_T0_E_clISt17integral_constantIbLb0EES1F_EEDaS1A_S1B_EUlS1A_E_NS1_11comp_targetILNS1_3genE8ELNS1_11target_archE1030ELNS1_3gpuE2ELNS1_3repE0EEENS1_30default_config_static_selectorELNS0_4arch9wavefront6targetE0EEEvT1_.uses_vcc, 0
	.set _ZN7rocprim17ROCPRIM_400000_NS6detail17trampoline_kernelINS0_14default_configENS1_25partition_config_selectorILNS1_17partition_subalgoE5EjNS0_10empty_typeEbEEZZNS1_14partition_implILS5_5ELb0ES3_mN6thrust23THRUST_200600_302600_NS6detail15normal_iteratorINSA_10device_ptrIjEEEEPS6_NSA_18transform_iteratorINSB_9not_fun_tI7is_trueIjEEENSC_INSD_IbEEEENSA_11use_defaultESO_EENS0_5tupleIJNSA_16discard_iteratorISO_EES6_EEENSQ_IJSG_SG_EEES6_PlJS6_EEE10hipError_tPvRmT3_T4_T5_T6_T7_T9_mT8_P12ihipStream_tbDpT10_ENKUlT_T0_E_clISt17integral_constantIbLb0EES1F_EEDaS1A_S1B_EUlS1A_E_NS1_11comp_targetILNS1_3genE8ELNS1_11target_archE1030ELNS1_3gpuE2ELNS1_3repE0EEENS1_30default_config_static_selectorELNS0_4arch9wavefront6targetE0EEEvT1_.uses_flat_scratch, 0
	.set _ZN7rocprim17ROCPRIM_400000_NS6detail17trampoline_kernelINS0_14default_configENS1_25partition_config_selectorILNS1_17partition_subalgoE5EjNS0_10empty_typeEbEEZZNS1_14partition_implILS5_5ELb0ES3_mN6thrust23THRUST_200600_302600_NS6detail15normal_iteratorINSA_10device_ptrIjEEEEPS6_NSA_18transform_iteratorINSB_9not_fun_tI7is_trueIjEEENSC_INSD_IbEEEENSA_11use_defaultESO_EENS0_5tupleIJNSA_16discard_iteratorISO_EES6_EEENSQ_IJSG_SG_EEES6_PlJS6_EEE10hipError_tPvRmT3_T4_T5_T6_T7_T9_mT8_P12ihipStream_tbDpT10_ENKUlT_T0_E_clISt17integral_constantIbLb0EES1F_EEDaS1A_S1B_EUlS1A_E_NS1_11comp_targetILNS1_3genE8ELNS1_11target_archE1030ELNS1_3gpuE2ELNS1_3repE0EEENS1_30default_config_static_selectorELNS0_4arch9wavefront6targetE0EEEvT1_.has_dyn_sized_stack, 0
	.set _ZN7rocprim17ROCPRIM_400000_NS6detail17trampoline_kernelINS0_14default_configENS1_25partition_config_selectorILNS1_17partition_subalgoE5EjNS0_10empty_typeEbEEZZNS1_14partition_implILS5_5ELb0ES3_mN6thrust23THRUST_200600_302600_NS6detail15normal_iteratorINSA_10device_ptrIjEEEEPS6_NSA_18transform_iteratorINSB_9not_fun_tI7is_trueIjEEENSC_INSD_IbEEEENSA_11use_defaultESO_EENS0_5tupleIJNSA_16discard_iteratorISO_EES6_EEENSQ_IJSG_SG_EEES6_PlJS6_EEE10hipError_tPvRmT3_T4_T5_T6_T7_T9_mT8_P12ihipStream_tbDpT10_ENKUlT_T0_E_clISt17integral_constantIbLb0EES1F_EEDaS1A_S1B_EUlS1A_E_NS1_11comp_targetILNS1_3genE8ELNS1_11target_archE1030ELNS1_3gpuE2ELNS1_3repE0EEENS1_30default_config_static_selectorELNS0_4arch9wavefront6targetE0EEEvT1_.has_recursion, 0
	.set _ZN7rocprim17ROCPRIM_400000_NS6detail17trampoline_kernelINS0_14default_configENS1_25partition_config_selectorILNS1_17partition_subalgoE5EjNS0_10empty_typeEbEEZZNS1_14partition_implILS5_5ELb0ES3_mN6thrust23THRUST_200600_302600_NS6detail15normal_iteratorINSA_10device_ptrIjEEEEPS6_NSA_18transform_iteratorINSB_9not_fun_tI7is_trueIjEEENSC_INSD_IbEEEENSA_11use_defaultESO_EENS0_5tupleIJNSA_16discard_iteratorISO_EES6_EEENSQ_IJSG_SG_EEES6_PlJS6_EEE10hipError_tPvRmT3_T4_T5_T6_T7_T9_mT8_P12ihipStream_tbDpT10_ENKUlT_T0_E_clISt17integral_constantIbLb0EES1F_EEDaS1A_S1B_EUlS1A_E_NS1_11comp_targetILNS1_3genE8ELNS1_11target_archE1030ELNS1_3gpuE2ELNS1_3repE0EEENS1_30default_config_static_selectorELNS0_4arch9wavefront6targetE0EEEvT1_.has_indirect_call, 0
	.section	.AMDGPU.csdata,"",@progbits
; Kernel info:
; codeLenInByte = 0
; TotalNumSgprs: 0
; NumVgprs: 0
; ScratchSize: 0
; MemoryBound: 0
; FloatMode: 240
; IeeeMode: 1
; LDSByteSize: 0 bytes/workgroup (compile time only)
; SGPRBlocks: 0
; VGPRBlocks: 0
; NumSGPRsForWavesPerEU: 1
; NumVGPRsForWavesPerEU: 1
; Occupancy: 16
; WaveLimiterHint : 0
; COMPUTE_PGM_RSRC2:SCRATCH_EN: 0
; COMPUTE_PGM_RSRC2:USER_SGPR: 2
; COMPUTE_PGM_RSRC2:TRAP_HANDLER: 0
; COMPUTE_PGM_RSRC2:TGID_X_EN: 1
; COMPUTE_PGM_RSRC2:TGID_Y_EN: 0
; COMPUTE_PGM_RSRC2:TGID_Z_EN: 0
; COMPUTE_PGM_RSRC2:TIDIG_COMP_CNT: 0
	.section	.text._ZN7rocprim17ROCPRIM_400000_NS6detail17trampoline_kernelINS0_14default_configENS1_25partition_config_selectorILNS1_17partition_subalgoE5EjNS0_10empty_typeEbEEZZNS1_14partition_implILS5_5ELb0ES3_mN6thrust23THRUST_200600_302600_NS6detail15normal_iteratorINSA_10device_ptrIjEEEEPS6_NSA_18transform_iteratorINSB_9not_fun_tI7is_trueIjEEENSC_INSD_IbEEEENSA_11use_defaultESO_EENS0_5tupleIJNSA_16discard_iteratorISO_EES6_EEENSQ_IJSG_SG_EEES6_PlJS6_EEE10hipError_tPvRmT3_T4_T5_T6_T7_T9_mT8_P12ihipStream_tbDpT10_ENKUlT_T0_E_clISt17integral_constantIbLb1EES1F_EEDaS1A_S1B_EUlS1A_E_NS1_11comp_targetILNS1_3genE0ELNS1_11target_archE4294967295ELNS1_3gpuE0ELNS1_3repE0EEENS1_30default_config_static_selectorELNS0_4arch9wavefront6targetE0EEEvT1_,"axG",@progbits,_ZN7rocprim17ROCPRIM_400000_NS6detail17trampoline_kernelINS0_14default_configENS1_25partition_config_selectorILNS1_17partition_subalgoE5EjNS0_10empty_typeEbEEZZNS1_14partition_implILS5_5ELb0ES3_mN6thrust23THRUST_200600_302600_NS6detail15normal_iteratorINSA_10device_ptrIjEEEEPS6_NSA_18transform_iteratorINSB_9not_fun_tI7is_trueIjEEENSC_INSD_IbEEEENSA_11use_defaultESO_EENS0_5tupleIJNSA_16discard_iteratorISO_EES6_EEENSQ_IJSG_SG_EEES6_PlJS6_EEE10hipError_tPvRmT3_T4_T5_T6_T7_T9_mT8_P12ihipStream_tbDpT10_ENKUlT_T0_E_clISt17integral_constantIbLb1EES1F_EEDaS1A_S1B_EUlS1A_E_NS1_11comp_targetILNS1_3genE0ELNS1_11target_archE4294967295ELNS1_3gpuE0ELNS1_3repE0EEENS1_30default_config_static_selectorELNS0_4arch9wavefront6targetE0EEEvT1_,comdat
	.protected	_ZN7rocprim17ROCPRIM_400000_NS6detail17trampoline_kernelINS0_14default_configENS1_25partition_config_selectorILNS1_17partition_subalgoE5EjNS0_10empty_typeEbEEZZNS1_14partition_implILS5_5ELb0ES3_mN6thrust23THRUST_200600_302600_NS6detail15normal_iteratorINSA_10device_ptrIjEEEEPS6_NSA_18transform_iteratorINSB_9not_fun_tI7is_trueIjEEENSC_INSD_IbEEEENSA_11use_defaultESO_EENS0_5tupleIJNSA_16discard_iteratorISO_EES6_EEENSQ_IJSG_SG_EEES6_PlJS6_EEE10hipError_tPvRmT3_T4_T5_T6_T7_T9_mT8_P12ihipStream_tbDpT10_ENKUlT_T0_E_clISt17integral_constantIbLb1EES1F_EEDaS1A_S1B_EUlS1A_E_NS1_11comp_targetILNS1_3genE0ELNS1_11target_archE4294967295ELNS1_3gpuE0ELNS1_3repE0EEENS1_30default_config_static_selectorELNS0_4arch9wavefront6targetE0EEEvT1_ ; -- Begin function _ZN7rocprim17ROCPRIM_400000_NS6detail17trampoline_kernelINS0_14default_configENS1_25partition_config_selectorILNS1_17partition_subalgoE5EjNS0_10empty_typeEbEEZZNS1_14partition_implILS5_5ELb0ES3_mN6thrust23THRUST_200600_302600_NS6detail15normal_iteratorINSA_10device_ptrIjEEEEPS6_NSA_18transform_iteratorINSB_9not_fun_tI7is_trueIjEEENSC_INSD_IbEEEENSA_11use_defaultESO_EENS0_5tupleIJNSA_16discard_iteratorISO_EES6_EEENSQ_IJSG_SG_EEES6_PlJS6_EEE10hipError_tPvRmT3_T4_T5_T6_T7_T9_mT8_P12ihipStream_tbDpT10_ENKUlT_T0_E_clISt17integral_constantIbLb1EES1F_EEDaS1A_S1B_EUlS1A_E_NS1_11comp_targetILNS1_3genE0ELNS1_11target_archE4294967295ELNS1_3gpuE0ELNS1_3repE0EEENS1_30default_config_static_selectorELNS0_4arch9wavefront6targetE0EEEvT1_
	.globl	_ZN7rocprim17ROCPRIM_400000_NS6detail17trampoline_kernelINS0_14default_configENS1_25partition_config_selectorILNS1_17partition_subalgoE5EjNS0_10empty_typeEbEEZZNS1_14partition_implILS5_5ELb0ES3_mN6thrust23THRUST_200600_302600_NS6detail15normal_iteratorINSA_10device_ptrIjEEEEPS6_NSA_18transform_iteratorINSB_9not_fun_tI7is_trueIjEEENSC_INSD_IbEEEENSA_11use_defaultESO_EENS0_5tupleIJNSA_16discard_iteratorISO_EES6_EEENSQ_IJSG_SG_EEES6_PlJS6_EEE10hipError_tPvRmT3_T4_T5_T6_T7_T9_mT8_P12ihipStream_tbDpT10_ENKUlT_T0_E_clISt17integral_constantIbLb1EES1F_EEDaS1A_S1B_EUlS1A_E_NS1_11comp_targetILNS1_3genE0ELNS1_11target_archE4294967295ELNS1_3gpuE0ELNS1_3repE0EEENS1_30default_config_static_selectorELNS0_4arch9wavefront6targetE0EEEvT1_
	.p2align	8
	.type	_ZN7rocprim17ROCPRIM_400000_NS6detail17trampoline_kernelINS0_14default_configENS1_25partition_config_selectorILNS1_17partition_subalgoE5EjNS0_10empty_typeEbEEZZNS1_14partition_implILS5_5ELb0ES3_mN6thrust23THRUST_200600_302600_NS6detail15normal_iteratorINSA_10device_ptrIjEEEEPS6_NSA_18transform_iteratorINSB_9not_fun_tI7is_trueIjEEENSC_INSD_IbEEEENSA_11use_defaultESO_EENS0_5tupleIJNSA_16discard_iteratorISO_EES6_EEENSQ_IJSG_SG_EEES6_PlJS6_EEE10hipError_tPvRmT3_T4_T5_T6_T7_T9_mT8_P12ihipStream_tbDpT10_ENKUlT_T0_E_clISt17integral_constantIbLb1EES1F_EEDaS1A_S1B_EUlS1A_E_NS1_11comp_targetILNS1_3genE0ELNS1_11target_archE4294967295ELNS1_3gpuE0ELNS1_3repE0EEENS1_30default_config_static_selectorELNS0_4arch9wavefront6targetE0EEEvT1_,@function
_ZN7rocprim17ROCPRIM_400000_NS6detail17trampoline_kernelINS0_14default_configENS1_25partition_config_selectorILNS1_17partition_subalgoE5EjNS0_10empty_typeEbEEZZNS1_14partition_implILS5_5ELb0ES3_mN6thrust23THRUST_200600_302600_NS6detail15normal_iteratorINSA_10device_ptrIjEEEEPS6_NSA_18transform_iteratorINSB_9not_fun_tI7is_trueIjEEENSC_INSD_IbEEEENSA_11use_defaultESO_EENS0_5tupleIJNSA_16discard_iteratorISO_EES6_EEENSQ_IJSG_SG_EEES6_PlJS6_EEE10hipError_tPvRmT3_T4_T5_T6_T7_T9_mT8_P12ihipStream_tbDpT10_ENKUlT_T0_E_clISt17integral_constantIbLb1EES1F_EEDaS1A_S1B_EUlS1A_E_NS1_11comp_targetILNS1_3genE0ELNS1_11target_archE4294967295ELNS1_3gpuE0ELNS1_3repE0EEENS1_30default_config_static_selectorELNS0_4arch9wavefront6targetE0EEEvT1_: ; @_ZN7rocprim17ROCPRIM_400000_NS6detail17trampoline_kernelINS0_14default_configENS1_25partition_config_selectorILNS1_17partition_subalgoE5EjNS0_10empty_typeEbEEZZNS1_14partition_implILS5_5ELb0ES3_mN6thrust23THRUST_200600_302600_NS6detail15normal_iteratorINSA_10device_ptrIjEEEEPS6_NSA_18transform_iteratorINSB_9not_fun_tI7is_trueIjEEENSC_INSD_IbEEEENSA_11use_defaultESO_EENS0_5tupleIJNSA_16discard_iteratorISO_EES6_EEENSQ_IJSG_SG_EEES6_PlJS6_EEE10hipError_tPvRmT3_T4_T5_T6_T7_T9_mT8_P12ihipStream_tbDpT10_ENKUlT_T0_E_clISt17integral_constantIbLb1EES1F_EEDaS1A_S1B_EUlS1A_E_NS1_11comp_targetILNS1_3genE0ELNS1_11target_archE4294967295ELNS1_3gpuE0ELNS1_3repE0EEENS1_30default_config_static_selectorELNS0_4arch9wavefront6targetE0EEEvT1_
; %bb.0:
	.section	.rodata,"a",@progbits
	.p2align	6, 0x0
	.amdhsa_kernel _ZN7rocprim17ROCPRIM_400000_NS6detail17trampoline_kernelINS0_14default_configENS1_25partition_config_selectorILNS1_17partition_subalgoE5EjNS0_10empty_typeEbEEZZNS1_14partition_implILS5_5ELb0ES3_mN6thrust23THRUST_200600_302600_NS6detail15normal_iteratorINSA_10device_ptrIjEEEEPS6_NSA_18transform_iteratorINSB_9not_fun_tI7is_trueIjEEENSC_INSD_IbEEEENSA_11use_defaultESO_EENS0_5tupleIJNSA_16discard_iteratorISO_EES6_EEENSQ_IJSG_SG_EEES6_PlJS6_EEE10hipError_tPvRmT3_T4_T5_T6_T7_T9_mT8_P12ihipStream_tbDpT10_ENKUlT_T0_E_clISt17integral_constantIbLb1EES1F_EEDaS1A_S1B_EUlS1A_E_NS1_11comp_targetILNS1_3genE0ELNS1_11target_archE4294967295ELNS1_3gpuE0ELNS1_3repE0EEENS1_30default_config_static_selectorELNS0_4arch9wavefront6targetE0EEEvT1_
		.amdhsa_group_segment_fixed_size 0
		.amdhsa_private_segment_fixed_size 0
		.amdhsa_kernarg_size 144
		.amdhsa_user_sgpr_count 2
		.amdhsa_user_sgpr_dispatch_ptr 0
		.amdhsa_user_sgpr_queue_ptr 0
		.amdhsa_user_sgpr_kernarg_segment_ptr 1
		.amdhsa_user_sgpr_dispatch_id 0
		.amdhsa_user_sgpr_private_segment_size 0
		.amdhsa_wavefront_size32 1
		.amdhsa_uses_dynamic_stack 0
		.amdhsa_enable_private_segment 0
		.amdhsa_system_sgpr_workgroup_id_x 1
		.amdhsa_system_sgpr_workgroup_id_y 0
		.amdhsa_system_sgpr_workgroup_id_z 0
		.amdhsa_system_sgpr_workgroup_info 0
		.amdhsa_system_vgpr_workitem_id 0
		.amdhsa_next_free_vgpr 1
		.amdhsa_next_free_sgpr 1
		.amdhsa_reserve_vcc 0
		.amdhsa_float_round_mode_32 0
		.amdhsa_float_round_mode_16_64 0
		.amdhsa_float_denorm_mode_32 3
		.amdhsa_float_denorm_mode_16_64 3
		.amdhsa_fp16_overflow 0
		.amdhsa_workgroup_processor_mode 1
		.amdhsa_memory_ordered 1
		.amdhsa_forward_progress 1
		.amdhsa_inst_pref_size 0
		.amdhsa_round_robin_scheduling 0
		.amdhsa_exception_fp_ieee_invalid_op 0
		.amdhsa_exception_fp_denorm_src 0
		.amdhsa_exception_fp_ieee_div_zero 0
		.amdhsa_exception_fp_ieee_overflow 0
		.amdhsa_exception_fp_ieee_underflow 0
		.amdhsa_exception_fp_ieee_inexact 0
		.amdhsa_exception_int_div_zero 0
	.end_amdhsa_kernel
	.section	.text._ZN7rocprim17ROCPRIM_400000_NS6detail17trampoline_kernelINS0_14default_configENS1_25partition_config_selectorILNS1_17partition_subalgoE5EjNS0_10empty_typeEbEEZZNS1_14partition_implILS5_5ELb0ES3_mN6thrust23THRUST_200600_302600_NS6detail15normal_iteratorINSA_10device_ptrIjEEEEPS6_NSA_18transform_iteratorINSB_9not_fun_tI7is_trueIjEEENSC_INSD_IbEEEENSA_11use_defaultESO_EENS0_5tupleIJNSA_16discard_iteratorISO_EES6_EEENSQ_IJSG_SG_EEES6_PlJS6_EEE10hipError_tPvRmT3_T4_T5_T6_T7_T9_mT8_P12ihipStream_tbDpT10_ENKUlT_T0_E_clISt17integral_constantIbLb1EES1F_EEDaS1A_S1B_EUlS1A_E_NS1_11comp_targetILNS1_3genE0ELNS1_11target_archE4294967295ELNS1_3gpuE0ELNS1_3repE0EEENS1_30default_config_static_selectorELNS0_4arch9wavefront6targetE0EEEvT1_,"axG",@progbits,_ZN7rocprim17ROCPRIM_400000_NS6detail17trampoline_kernelINS0_14default_configENS1_25partition_config_selectorILNS1_17partition_subalgoE5EjNS0_10empty_typeEbEEZZNS1_14partition_implILS5_5ELb0ES3_mN6thrust23THRUST_200600_302600_NS6detail15normal_iteratorINSA_10device_ptrIjEEEEPS6_NSA_18transform_iteratorINSB_9not_fun_tI7is_trueIjEEENSC_INSD_IbEEEENSA_11use_defaultESO_EENS0_5tupleIJNSA_16discard_iteratorISO_EES6_EEENSQ_IJSG_SG_EEES6_PlJS6_EEE10hipError_tPvRmT3_T4_T5_T6_T7_T9_mT8_P12ihipStream_tbDpT10_ENKUlT_T0_E_clISt17integral_constantIbLb1EES1F_EEDaS1A_S1B_EUlS1A_E_NS1_11comp_targetILNS1_3genE0ELNS1_11target_archE4294967295ELNS1_3gpuE0ELNS1_3repE0EEENS1_30default_config_static_selectorELNS0_4arch9wavefront6targetE0EEEvT1_,comdat
.Lfunc_end2693:
	.size	_ZN7rocprim17ROCPRIM_400000_NS6detail17trampoline_kernelINS0_14default_configENS1_25partition_config_selectorILNS1_17partition_subalgoE5EjNS0_10empty_typeEbEEZZNS1_14partition_implILS5_5ELb0ES3_mN6thrust23THRUST_200600_302600_NS6detail15normal_iteratorINSA_10device_ptrIjEEEEPS6_NSA_18transform_iteratorINSB_9not_fun_tI7is_trueIjEEENSC_INSD_IbEEEENSA_11use_defaultESO_EENS0_5tupleIJNSA_16discard_iteratorISO_EES6_EEENSQ_IJSG_SG_EEES6_PlJS6_EEE10hipError_tPvRmT3_T4_T5_T6_T7_T9_mT8_P12ihipStream_tbDpT10_ENKUlT_T0_E_clISt17integral_constantIbLb1EES1F_EEDaS1A_S1B_EUlS1A_E_NS1_11comp_targetILNS1_3genE0ELNS1_11target_archE4294967295ELNS1_3gpuE0ELNS1_3repE0EEENS1_30default_config_static_selectorELNS0_4arch9wavefront6targetE0EEEvT1_, .Lfunc_end2693-_ZN7rocprim17ROCPRIM_400000_NS6detail17trampoline_kernelINS0_14default_configENS1_25partition_config_selectorILNS1_17partition_subalgoE5EjNS0_10empty_typeEbEEZZNS1_14partition_implILS5_5ELb0ES3_mN6thrust23THRUST_200600_302600_NS6detail15normal_iteratorINSA_10device_ptrIjEEEEPS6_NSA_18transform_iteratorINSB_9not_fun_tI7is_trueIjEEENSC_INSD_IbEEEENSA_11use_defaultESO_EENS0_5tupleIJNSA_16discard_iteratorISO_EES6_EEENSQ_IJSG_SG_EEES6_PlJS6_EEE10hipError_tPvRmT3_T4_T5_T6_T7_T9_mT8_P12ihipStream_tbDpT10_ENKUlT_T0_E_clISt17integral_constantIbLb1EES1F_EEDaS1A_S1B_EUlS1A_E_NS1_11comp_targetILNS1_3genE0ELNS1_11target_archE4294967295ELNS1_3gpuE0ELNS1_3repE0EEENS1_30default_config_static_selectorELNS0_4arch9wavefront6targetE0EEEvT1_
                                        ; -- End function
	.set _ZN7rocprim17ROCPRIM_400000_NS6detail17trampoline_kernelINS0_14default_configENS1_25partition_config_selectorILNS1_17partition_subalgoE5EjNS0_10empty_typeEbEEZZNS1_14partition_implILS5_5ELb0ES3_mN6thrust23THRUST_200600_302600_NS6detail15normal_iteratorINSA_10device_ptrIjEEEEPS6_NSA_18transform_iteratorINSB_9not_fun_tI7is_trueIjEEENSC_INSD_IbEEEENSA_11use_defaultESO_EENS0_5tupleIJNSA_16discard_iteratorISO_EES6_EEENSQ_IJSG_SG_EEES6_PlJS6_EEE10hipError_tPvRmT3_T4_T5_T6_T7_T9_mT8_P12ihipStream_tbDpT10_ENKUlT_T0_E_clISt17integral_constantIbLb1EES1F_EEDaS1A_S1B_EUlS1A_E_NS1_11comp_targetILNS1_3genE0ELNS1_11target_archE4294967295ELNS1_3gpuE0ELNS1_3repE0EEENS1_30default_config_static_selectorELNS0_4arch9wavefront6targetE0EEEvT1_.num_vgpr, 0
	.set _ZN7rocprim17ROCPRIM_400000_NS6detail17trampoline_kernelINS0_14default_configENS1_25partition_config_selectorILNS1_17partition_subalgoE5EjNS0_10empty_typeEbEEZZNS1_14partition_implILS5_5ELb0ES3_mN6thrust23THRUST_200600_302600_NS6detail15normal_iteratorINSA_10device_ptrIjEEEEPS6_NSA_18transform_iteratorINSB_9not_fun_tI7is_trueIjEEENSC_INSD_IbEEEENSA_11use_defaultESO_EENS0_5tupleIJNSA_16discard_iteratorISO_EES6_EEENSQ_IJSG_SG_EEES6_PlJS6_EEE10hipError_tPvRmT3_T4_T5_T6_T7_T9_mT8_P12ihipStream_tbDpT10_ENKUlT_T0_E_clISt17integral_constantIbLb1EES1F_EEDaS1A_S1B_EUlS1A_E_NS1_11comp_targetILNS1_3genE0ELNS1_11target_archE4294967295ELNS1_3gpuE0ELNS1_3repE0EEENS1_30default_config_static_selectorELNS0_4arch9wavefront6targetE0EEEvT1_.num_agpr, 0
	.set _ZN7rocprim17ROCPRIM_400000_NS6detail17trampoline_kernelINS0_14default_configENS1_25partition_config_selectorILNS1_17partition_subalgoE5EjNS0_10empty_typeEbEEZZNS1_14partition_implILS5_5ELb0ES3_mN6thrust23THRUST_200600_302600_NS6detail15normal_iteratorINSA_10device_ptrIjEEEEPS6_NSA_18transform_iteratorINSB_9not_fun_tI7is_trueIjEEENSC_INSD_IbEEEENSA_11use_defaultESO_EENS0_5tupleIJNSA_16discard_iteratorISO_EES6_EEENSQ_IJSG_SG_EEES6_PlJS6_EEE10hipError_tPvRmT3_T4_T5_T6_T7_T9_mT8_P12ihipStream_tbDpT10_ENKUlT_T0_E_clISt17integral_constantIbLb1EES1F_EEDaS1A_S1B_EUlS1A_E_NS1_11comp_targetILNS1_3genE0ELNS1_11target_archE4294967295ELNS1_3gpuE0ELNS1_3repE0EEENS1_30default_config_static_selectorELNS0_4arch9wavefront6targetE0EEEvT1_.numbered_sgpr, 0
	.set _ZN7rocprim17ROCPRIM_400000_NS6detail17trampoline_kernelINS0_14default_configENS1_25partition_config_selectorILNS1_17partition_subalgoE5EjNS0_10empty_typeEbEEZZNS1_14partition_implILS5_5ELb0ES3_mN6thrust23THRUST_200600_302600_NS6detail15normal_iteratorINSA_10device_ptrIjEEEEPS6_NSA_18transform_iteratorINSB_9not_fun_tI7is_trueIjEEENSC_INSD_IbEEEENSA_11use_defaultESO_EENS0_5tupleIJNSA_16discard_iteratorISO_EES6_EEENSQ_IJSG_SG_EEES6_PlJS6_EEE10hipError_tPvRmT3_T4_T5_T6_T7_T9_mT8_P12ihipStream_tbDpT10_ENKUlT_T0_E_clISt17integral_constantIbLb1EES1F_EEDaS1A_S1B_EUlS1A_E_NS1_11comp_targetILNS1_3genE0ELNS1_11target_archE4294967295ELNS1_3gpuE0ELNS1_3repE0EEENS1_30default_config_static_selectorELNS0_4arch9wavefront6targetE0EEEvT1_.num_named_barrier, 0
	.set _ZN7rocprim17ROCPRIM_400000_NS6detail17trampoline_kernelINS0_14default_configENS1_25partition_config_selectorILNS1_17partition_subalgoE5EjNS0_10empty_typeEbEEZZNS1_14partition_implILS5_5ELb0ES3_mN6thrust23THRUST_200600_302600_NS6detail15normal_iteratorINSA_10device_ptrIjEEEEPS6_NSA_18transform_iteratorINSB_9not_fun_tI7is_trueIjEEENSC_INSD_IbEEEENSA_11use_defaultESO_EENS0_5tupleIJNSA_16discard_iteratorISO_EES6_EEENSQ_IJSG_SG_EEES6_PlJS6_EEE10hipError_tPvRmT3_T4_T5_T6_T7_T9_mT8_P12ihipStream_tbDpT10_ENKUlT_T0_E_clISt17integral_constantIbLb1EES1F_EEDaS1A_S1B_EUlS1A_E_NS1_11comp_targetILNS1_3genE0ELNS1_11target_archE4294967295ELNS1_3gpuE0ELNS1_3repE0EEENS1_30default_config_static_selectorELNS0_4arch9wavefront6targetE0EEEvT1_.private_seg_size, 0
	.set _ZN7rocprim17ROCPRIM_400000_NS6detail17trampoline_kernelINS0_14default_configENS1_25partition_config_selectorILNS1_17partition_subalgoE5EjNS0_10empty_typeEbEEZZNS1_14partition_implILS5_5ELb0ES3_mN6thrust23THRUST_200600_302600_NS6detail15normal_iteratorINSA_10device_ptrIjEEEEPS6_NSA_18transform_iteratorINSB_9not_fun_tI7is_trueIjEEENSC_INSD_IbEEEENSA_11use_defaultESO_EENS0_5tupleIJNSA_16discard_iteratorISO_EES6_EEENSQ_IJSG_SG_EEES6_PlJS6_EEE10hipError_tPvRmT3_T4_T5_T6_T7_T9_mT8_P12ihipStream_tbDpT10_ENKUlT_T0_E_clISt17integral_constantIbLb1EES1F_EEDaS1A_S1B_EUlS1A_E_NS1_11comp_targetILNS1_3genE0ELNS1_11target_archE4294967295ELNS1_3gpuE0ELNS1_3repE0EEENS1_30default_config_static_selectorELNS0_4arch9wavefront6targetE0EEEvT1_.uses_vcc, 0
	.set _ZN7rocprim17ROCPRIM_400000_NS6detail17trampoline_kernelINS0_14default_configENS1_25partition_config_selectorILNS1_17partition_subalgoE5EjNS0_10empty_typeEbEEZZNS1_14partition_implILS5_5ELb0ES3_mN6thrust23THRUST_200600_302600_NS6detail15normal_iteratorINSA_10device_ptrIjEEEEPS6_NSA_18transform_iteratorINSB_9not_fun_tI7is_trueIjEEENSC_INSD_IbEEEENSA_11use_defaultESO_EENS0_5tupleIJNSA_16discard_iteratorISO_EES6_EEENSQ_IJSG_SG_EEES6_PlJS6_EEE10hipError_tPvRmT3_T4_T5_T6_T7_T9_mT8_P12ihipStream_tbDpT10_ENKUlT_T0_E_clISt17integral_constantIbLb1EES1F_EEDaS1A_S1B_EUlS1A_E_NS1_11comp_targetILNS1_3genE0ELNS1_11target_archE4294967295ELNS1_3gpuE0ELNS1_3repE0EEENS1_30default_config_static_selectorELNS0_4arch9wavefront6targetE0EEEvT1_.uses_flat_scratch, 0
	.set _ZN7rocprim17ROCPRIM_400000_NS6detail17trampoline_kernelINS0_14default_configENS1_25partition_config_selectorILNS1_17partition_subalgoE5EjNS0_10empty_typeEbEEZZNS1_14partition_implILS5_5ELb0ES3_mN6thrust23THRUST_200600_302600_NS6detail15normal_iteratorINSA_10device_ptrIjEEEEPS6_NSA_18transform_iteratorINSB_9not_fun_tI7is_trueIjEEENSC_INSD_IbEEEENSA_11use_defaultESO_EENS0_5tupleIJNSA_16discard_iteratorISO_EES6_EEENSQ_IJSG_SG_EEES6_PlJS6_EEE10hipError_tPvRmT3_T4_T5_T6_T7_T9_mT8_P12ihipStream_tbDpT10_ENKUlT_T0_E_clISt17integral_constantIbLb1EES1F_EEDaS1A_S1B_EUlS1A_E_NS1_11comp_targetILNS1_3genE0ELNS1_11target_archE4294967295ELNS1_3gpuE0ELNS1_3repE0EEENS1_30default_config_static_selectorELNS0_4arch9wavefront6targetE0EEEvT1_.has_dyn_sized_stack, 0
	.set _ZN7rocprim17ROCPRIM_400000_NS6detail17trampoline_kernelINS0_14default_configENS1_25partition_config_selectorILNS1_17partition_subalgoE5EjNS0_10empty_typeEbEEZZNS1_14partition_implILS5_5ELb0ES3_mN6thrust23THRUST_200600_302600_NS6detail15normal_iteratorINSA_10device_ptrIjEEEEPS6_NSA_18transform_iteratorINSB_9not_fun_tI7is_trueIjEEENSC_INSD_IbEEEENSA_11use_defaultESO_EENS0_5tupleIJNSA_16discard_iteratorISO_EES6_EEENSQ_IJSG_SG_EEES6_PlJS6_EEE10hipError_tPvRmT3_T4_T5_T6_T7_T9_mT8_P12ihipStream_tbDpT10_ENKUlT_T0_E_clISt17integral_constantIbLb1EES1F_EEDaS1A_S1B_EUlS1A_E_NS1_11comp_targetILNS1_3genE0ELNS1_11target_archE4294967295ELNS1_3gpuE0ELNS1_3repE0EEENS1_30default_config_static_selectorELNS0_4arch9wavefront6targetE0EEEvT1_.has_recursion, 0
	.set _ZN7rocprim17ROCPRIM_400000_NS6detail17trampoline_kernelINS0_14default_configENS1_25partition_config_selectorILNS1_17partition_subalgoE5EjNS0_10empty_typeEbEEZZNS1_14partition_implILS5_5ELb0ES3_mN6thrust23THRUST_200600_302600_NS6detail15normal_iteratorINSA_10device_ptrIjEEEEPS6_NSA_18transform_iteratorINSB_9not_fun_tI7is_trueIjEEENSC_INSD_IbEEEENSA_11use_defaultESO_EENS0_5tupleIJNSA_16discard_iteratorISO_EES6_EEENSQ_IJSG_SG_EEES6_PlJS6_EEE10hipError_tPvRmT3_T4_T5_T6_T7_T9_mT8_P12ihipStream_tbDpT10_ENKUlT_T0_E_clISt17integral_constantIbLb1EES1F_EEDaS1A_S1B_EUlS1A_E_NS1_11comp_targetILNS1_3genE0ELNS1_11target_archE4294967295ELNS1_3gpuE0ELNS1_3repE0EEENS1_30default_config_static_selectorELNS0_4arch9wavefront6targetE0EEEvT1_.has_indirect_call, 0
	.section	.AMDGPU.csdata,"",@progbits
; Kernel info:
; codeLenInByte = 0
; TotalNumSgprs: 0
; NumVgprs: 0
; ScratchSize: 0
; MemoryBound: 0
; FloatMode: 240
; IeeeMode: 1
; LDSByteSize: 0 bytes/workgroup (compile time only)
; SGPRBlocks: 0
; VGPRBlocks: 0
; NumSGPRsForWavesPerEU: 1
; NumVGPRsForWavesPerEU: 1
; Occupancy: 16
; WaveLimiterHint : 0
; COMPUTE_PGM_RSRC2:SCRATCH_EN: 0
; COMPUTE_PGM_RSRC2:USER_SGPR: 2
; COMPUTE_PGM_RSRC2:TRAP_HANDLER: 0
; COMPUTE_PGM_RSRC2:TGID_X_EN: 1
; COMPUTE_PGM_RSRC2:TGID_Y_EN: 0
; COMPUTE_PGM_RSRC2:TGID_Z_EN: 0
; COMPUTE_PGM_RSRC2:TIDIG_COMP_CNT: 0
	.section	.text._ZN7rocprim17ROCPRIM_400000_NS6detail17trampoline_kernelINS0_14default_configENS1_25partition_config_selectorILNS1_17partition_subalgoE5EjNS0_10empty_typeEbEEZZNS1_14partition_implILS5_5ELb0ES3_mN6thrust23THRUST_200600_302600_NS6detail15normal_iteratorINSA_10device_ptrIjEEEEPS6_NSA_18transform_iteratorINSB_9not_fun_tI7is_trueIjEEENSC_INSD_IbEEEENSA_11use_defaultESO_EENS0_5tupleIJNSA_16discard_iteratorISO_EES6_EEENSQ_IJSG_SG_EEES6_PlJS6_EEE10hipError_tPvRmT3_T4_T5_T6_T7_T9_mT8_P12ihipStream_tbDpT10_ENKUlT_T0_E_clISt17integral_constantIbLb1EES1F_EEDaS1A_S1B_EUlS1A_E_NS1_11comp_targetILNS1_3genE5ELNS1_11target_archE942ELNS1_3gpuE9ELNS1_3repE0EEENS1_30default_config_static_selectorELNS0_4arch9wavefront6targetE0EEEvT1_,"axG",@progbits,_ZN7rocprim17ROCPRIM_400000_NS6detail17trampoline_kernelINS0_14default_configENS1_25partition_config_selectorILNS1_17partition_subalgoE5EjNS0_10empty_typeEbEEZZNS1_14partition_implILS5_5ELb0ES3_mN6thrust23THRUST_200600_302600_NS6detail15normal_iteratorINSA_10device_ptrIjEEEEPS6_NSA_18transform_iteratorINSB_9not_fun_tI7is_trueIjEEENSC_INSD_IbEEEENSA_11use_defaultESO_EENS0_5tupleIJNSA_16discard_iteratorISO_EES6_EEENSQ_IJSG_SG_EEES6_PlJS6_EEE10hipError_tPvRmT3_T4_T5_T6_T7_T9_mT8_P12ihipStream_tbDpT10_ENKUlT_T0_E_clISt17integral_constantIbLb1EES1F_EEDaS1A_S1B_EUlS1A_E_NS1_11comp_targetILNS1_3genE5ELNS1_11target_archE942ELNS1_3gpuE9ELNS1_3repE0EEENS1_30default_config_static_selectorELNS0_4arch9wavefront6targetE0EEEvT1_,comdat
	.protected	_ZN7rocprim17ROCPRIM_400000_NS6detail17trampoline_kernelINS0_14default_configENS1_25partition_config_selectorILNS1_17partition_subalgoE5EjNS0_10empty_typeEbEEZZNS1_14partition_implILS5_5ELb0ES3_mN6thrust23THRUST_200600_302600_NS6detail15normal_iteratorINSA_10device_ptrIjEEEEPS6_NSA_18transform_iteratorINSB_9not_fun_tI7is_trueIjEEENSC_INSD_IbEEEENSA_11use_defaultESO_EENS0_5tupleIJNSA_16discard_iteratorISO_EES6_EEENSQ_IJSG_SG_EEES6_PlJS6_EEE10hipError_tPvRmT3_T4_T5_T6_T7_T9_mT8_P12ihipStream_tbDpT10_ENKUlT_T0_E_clISt17integral_constantIbLb1EES1F_EEDaS1A_S1B_EUlS1A_E_NS1_11comp_targetILNS1_3genE5ELNS1_11target_archE942ELNS1_3gpuE9ELNS1_3repE0EEENS1_30default_config_static_selectorELNS0_4arch9wavefront6targetE0EEEvT1_ ; -- Begin function _ZN7rocprim17ROCPRIM_400000_NS6detail17trampoline_kernelINS0_14default_configENS1_25partition_config_selectorILNS1_17partition_subalgoE5EjNS0_10empty_typeEbEEZZNS1_14partition_implILS5_5ELb0ES3_mN6thrust23THRUST_200600_302600_NS6detail15normal_iteratorINSA_10device_ptrIjEEEEPS6_NSA_18transform_iteratorINSB_9not_fun_tI7is_trueIjEEENSC_INSD_IbEEEENSA_11use_defaultESO_EENS0_5tupleIJNSA_16discard_iteratorISO_EES6_EEENSQ_IJSG_SG_EEES6_PlJS6_EEE10hipError_tPvRmT3_T4_T5_T6_T7_T9_mT8_P12ihipStream_tbDpT10_ENKUlT_T0_E_clISt17integral_constantIbLb1EES1F_EEDaS1A_S1B_EUlS1A_E_NS1_11comp_targetILNS1_3genE5ELNS1_11target_archE942ELNS1_3gpuE9ELNS1_3repE0EEENS1_30default_config_static_selectorELNS0_4arch9wavefront6targetE0EEEvT1_
	.globl	_ZN7rocprim17ROCPRIM_400000_NS6detail17trampoline_kernelINS0_14default_configENS1_25partition_config_selectorILNS1_17partition_subalgoE5EjNS0_10empty_typeEbEEZZNS1_14partition_implILS5_5ELb0ES3_mN6thrust23THRUST_200600_302600_NS6detail15normal_iteratorINSA_10device_ptrIjEEEEPS6_NSA_18transform_iteratorINSB_9not_fun_tI7is_trueIjEEENSC_INSD_IbEEEENSA_11use_defaultESO_EENS0_5tupleIJNSA_16discard_iteratorISO_EES6_EEENSQ_IJSG_SG_EEES6_PlJS6_EEE10hipError_tPvRmT3_T4_T5_T6_T7_T9_mT8_P12ihipStream_tbDpT10_ENKUlT_T0_E_clISt17integral_constantIbLb1EES1F_EEDaS1A_S1B_EUlS1A_E_NS1_11comp_targetILNS1_3genE5ELNS1_11target_archE942ELNS1_3gpuE9ELNS1_3repE0EEENS1_30default_config_static_selectorELNS0_4arch9wavefront6targetE0EEEvT1_
	.p2align	8
	.type	_ZN7rocprim17ROCPRIM_400000_NS6detail17trampoline_kernelINS0_14default_configENS1_25partition_config_selectorILNS1_17partition_subalgoE5EjNS0_10empty_typeEbEEZZNS1_14partition_implILS5_5ELb0ES3_mN6thrust23THRUST_200600_302600_NS6detail15normal_iteratorINSA_10device_ptrIjEEEEPS6_NSA_18transform_iteratorINSB_9not_fun_tI7is_trueIjEEENSC_INSD_IbEEEENSA_11use_defaultESO_EENS0_5tupleIJNSA_16discard_iteratorISO_EES6_EEENSQ_IJSG_SG_EEES6_PlJS6_EEE10hipError_tPvRmT3_T4_T5_T6_T7_T9_mT8_P12ihipStream_tbDpT10_ENKUlT_T0_E_clISt17integral_constantIbLb1EES1F_EEDaS1A_S1B_EUlS1A_E_NS1_11comp_targetILNS1_3genE5ELNS1_11target_archE942ELNS1_3gpuE9ELNS1_3repE0EEENS1_30default_config_static_selectorELNS0_4arch9wavefront6targetE0EEEvT1_,@function
_ZN7rocprim17ROCPRIM_400000_NS6detail17trampoline_kernelINS0_14default_configENS1_25partition_config_selectorILNS1_17partition_subalgoE5EjNS0_10empty_typeEbEEZZNS1_14partition_implILS5_5ELb0ES3_mN6thrust23THRUST_200600_302600_NS6detail15normal_iteratorINSA_10device_ptrIjEEEEPS6_NSA_18transform_iteratorINSB_9not_fun_tI7is_trueIjEEENSC_INSD_IbEEEENSA_11use_defaultESO_EENS0_5tupleIJNSA_16discard_iteratorISO_EES6_EEENSQ_IJSG_SG_EEES6_PlJS6_EEE10hipError_tPvRmT3_T4_T5_T6_T7_T9_mT8_P12ihipStream_tbDpT10_ENKUlT_T0_E_clISt17integral_constantIbLb1EES1F_EEDaS1A_S1B_EUlS1A_E_NS1_11comp_targetILNS1_3genE5ELNS1_11target_archE942ELNS1_3gpuE9ELNS1_3repE0EEENS1_30default_config_static_selectorELNS0_4arch9wavefront6targetE0EEEvT1_: ; @_ZN7rocprim17ROCPRIM_400000_NS6detail17trampoline_kernelINS0_14default_configENS1_25partition_config_selectorILNS1_17partition_subalgoE5EjNS0_10empty_typeEbEEZZNS1_14partition_implILS5_5ELb0ES3_mN6thrust23THRUST_200600_302600_NS6detail15normal_iteratorINSA_10device_ptrIjEEEEPS6_NSA_18transform_iteratorINSB_9not_fun_tI7is_trueIjEEENSC_INSD_IbEEEENSA_11use_defaultESO_EENS0_5tupleIJNSA_16discard_iteratorISO_EES6_EEENSQ_IJSG_SG_EEES6_PlJS6_EEE10hipError_tPvRmT3_T4_T5_T6_T7_T9_mT8_P12ihipStream_tbDpT10_ENKUlT_T0_E_clISt17integral_constantIbLb1EES1F_EEDaS1A_S1B_EUlS1A_E_NS1_11comp_targetILNS1_3genE5ELNS1_11target_archE942ELNS1_3gpuE9ELNS1_3repE0EEENS1_30default_config_static_selectorELNS0_4arch9wavefront6targetE0EEEvT1_
; %bb.0:
	.section	.rodata,"a",@progbits
	.p2align	6, 0x0
	.amdhsa_kernel _ZN7rocprim17ROCPRIM_400000_NS6detail17trampoline_kernelINS0_14default_configENS1_25partition_config_selectorILNS1_17partition_subalgoE5EjNS0_10empty_typeEbEEZZNS1_14partition_implILS5_5ELb0ES3_mN6thrust23THRUST_200600_302600_NS6detail15normal_iteratorINSA_10device_ptrIjEEEEPS6_NSA_18transform_iteratorINSB_9not_fun_tI7is_trueIjEEENSC_INSD_IbEEEENSA_11use_defaultESO_EENS0_5tupleIJNSA_16discard_iteratorISO_EES6_EEENSQ_IJSG_SG_EEES6_PlJS6_EEE10hipError_tPvRmT3_T4_T5_T6_T7_T9_mT8_P12ihipStream_tbDpT10_ENKUlT_T0_E_clISt17integral_constantIbLb1EES1F_EEDaS1A_S1B_EUlS1A_E_NS1_11comp_targetILNS1_3genE5ELNS1_11target_archE942ELNS1_3gpuE9ELNS1_3repE0EEENS1_30default_config_static_selectorELNS0_4arch9wavefront6targetE0EEEvT1_
		.amdhsa_group_segment_fixed_size 0
		.amdhsa_private_segment_fixed_size 0
		.amdhsa_kernarg_size 144
		.amdhsa_user_sgpr_count 2
		.amdhsa_user_sgpr_dispatch_ptr 0
		.amdhsa_user_sgpr_queue_ptr 0
		.amdhsa_user_sgpr_kernarg_segment_ptr 1
		.amdhsa_user_sgpr_dispatch_id 0
		.amdhsa_user_sgpr_private_segment_size 0
		.amdhsa_wavefront_size32 1
		.amdhsa_uses_dynamic_stack 0
		.amdhsa_enable_private_segment 0
		.amdhsa_system_sgpr_workgroup_id_x 1
		.amdhsa_system_sgpr_workgroup_id_y 0
		.amdhsa_system_sgpr_workgroup_id_z 0
		.amdhsa_system_sgpr_workgroup_info 0
		.amdhsa_system_vgpr_workitem_id 0
		.amdhsa_next_free_vgpr 1
		.amdhsa_next_free_sgpr 1
		.amdhsa_reserve_vcc 0
		.amdhsa_float_round_mode_32 0
		.amdhsa_float_round_mode_16_64 0
		.amdhsa_float_denorm_mode_32 3
		.amdhsa_float_denorm_mode_16_64 3
		.amdhsa_fp16_overflow 0
		.amdhsa_workgroup_processor_mode 1
		.amdhsa_memory_ordered 1
		.amdhsa_forward_progress 1
		.amdhsa_inst_pref_size 0
		.amdhsa_round_robin_scheduling 0
		.amdhsa_exception_fp_ieee_invalid_op 0
		.amdhsa_exception_fp_denorm_src 0
		.amdhsa_exception_fp_ieee_div_zero 0
		.amdhsa_exception_fp_ieee_overflow 0
		.amdhsa_exception_fp_ieee_underflow 0
		.amdhsa_exception_fp_ieee_inexact 0
		.amdhsa_exception_int_div_zero 0
	.end_amdhsa_kernel
	.section	.text._ZN7rocprim17ROCPRIM_400000_NS6detail17trampoline_kernelINS0_14default_configENS1_25partition_config_selectorILNS1_17partition_subalgoE5EjNS0_10empty_typeEbEEZZNS1_14partition_implILS5_5ELb0ES3_mN6thrust23THRUST_200600_302600_NS6detail15normal_iteratorINSA_10device_ptrIjEEEEPS6_NSA_18transform_iteratorINSB_9not_fun_tI7is_trueIjEEENSC_INSD_IbEEEENSA_11use_defaultESO_EENS0_5tupleIJNSA_16discard_iteratorISO_EES6_EEENSQ_IJSG_SG_EEES6_PlJS6_EEE10hipError_tPvRmT3_T4_T5_T6_T7_T9_mT8_P12ihipStream_tbDpT10_ENKUlT_T0_E_clISt17integral_constantIbLb1EES1F_EEDaS1A_S1B_EUlS1A_E_NS1_11comp_targetILNS1_3genE5ELNS1_11target_archE942ELNS1_3gpuE9ELNS1_3repE0EEENS1_30default_config_static_selectorELNS0_4arch9wavefront6targetE0EEEvT1_,"axG",@progbits,_ZN7rocprim17ROCPRIM_400000_NS6detail17trampoline_kernelINS0_14default_configENS1_25partition_config_selectorILNS1_17partition_subalgoE5EjNS0_10empty_typeEbEEZZNS1_14partition_implILS5_5ELb0ES3_mN6thrust23THRUST_200600_302600_NS6detail15normal_iteratorINSA_10device_ptrIjEEEEPS6_NSA_18transform_iteratorINSB_9not_fun_tI7is_trueIjEEENSC_INSD_IbEEEENSA_11use_defaultESO_EENS0_5tupleIJNSA_16discard_iteratorISO_EES6_EEENSQ_IJSG_SG_EEES6_PlJS6_EEE10hipError_tPvRmT3_T4_T5_T6_T7_T9_mT8_P12ihipStream_tbDpT10_ENKUlT_T0_E_clISt17integral_constantIbLb1EES1F_EEDaS1A_S1B_EUlS1A_E_NS1_11comp_targetILNS1_3genE5ELNS1_11target_archE942ELNS1_3gpuE9ELNS1_3repE0EEENS1_30default_config_static_selectorELNS0_4arch9wavefront6targetE0EEEvT1_,comdat
.Lfunc_end2694:
	.size	_ZN7rocprim17ROCPRIM_400000_NS6detail17trampoline_kernelINS0_14default_configENS1_25partition_config_selectorILNS1_17partition_subalgoE5EjNS0_10empty_typeEbEEZZNS1_14partition_implILS5_5ELb0ES3_mN6thrust23THRUST_200600_302600_NS6detail15normal_iteratorINSA_10device_ptrIjEEEEPS6_NSA_18transform_iteratorINSB_9not_fun_tI7is_trueIjEEENSC_INSD_IbEEEENSA_11use_defaultESO_EENS0_5tupleIJNSA_16discard_iteratorISO_EES6_EEENSQ_IJSG_SG_EEES6_PlJS6_EEE10hipError_tPvRmT3_T4_T5_T6_T7_T9_mT8_P12ihipStream_tbDpT10_ENKUlT_T0_E_clISt17integral_constantIbLb1EES1F_EEDaS1A_S1B_EUlS1A_E_NS1_11comp_targetILNS1_3genE5ELNS1_11target_archE942ELNS1_3gpuE9ELNS1_3repE0EEENS1_30default_config_static_selectorELNS0_4arch9wavefront6targetE0EEEvT1_, .Lfunc_end2694-_ZN7rocprim17ROCPRIM_400000_NS6detail17trampoline_kernelINS0_14default_configENS1_25partition_config_selectorILNS1_17partition_subalgoE5EjNS0_10empty_typeEbEEZZNS1_14partition_implILS5_5ELb0ES3_mN6thrust23THRUST_200600_302600_NS6detail15normal_iteratorINSA_10device_ptrIjEEEEPS6_NSA_18transform_iteratorINSB_9not_fun_tI7is_trueIjEEENSC_INSD_IbEEEENSA_11use_defaultESO_EENS0_5tupleIJNSA_16discard_iteratorISO_EES6_EEENSQ_IJSG_SG_EEES6_PlJS6_EEE10hipError_tPvRmT3_T4_T5_T6_T7_T9_mT8_P12ihipStream_tbDpT10_ENKUlT_T0_E_clISt17integral_constantIbLb1EES1F_EEDaS1A_S1B_EUlS1A_E_NS1_11comp_targetILNS1_3genE5ELNS1_11target_archE942ELNS1_3gpuE9ELNS1_3repE0EEENS1_30default_config_static_selectorELNS0_4arch9wavefront6targetE0EEEvT1_
                                        ; -- End function
	.set _ZN7rocprim17ROCPRIM_400000_NS6detail17trampoline_kernelINS0_14default_configENS1_25partition_config_selectorILNS1_17partition_subalgoE5EjNS0_10empty_typeEbEEZZNS1_14partition_implILS5_5ELb0ES3_mN6thrust23THRUST_200600_302600_NS6detail15normal_iteratorINSA_10device_ptrIjEEEEPS6_NSA_18transform_iteratorINSB_9not_fun_tI7is_trueIjEEENSC_INSD_IbEEEENSA_11use_defaultESO_EENS0_5tupleIJNSA_16discard_iteratorISO_EES6_EEENSQ_IJSG_SG_EEES6_PlJS6_EEE10hipError_tPvRmT3_T4_T5_T6_T7_T9_mT8_P12ihipStream_tbDpT10_ENKUlT_T0_E_clISt17integral_constantIbLb1EES1F_EEDaS1A_S1B_EUlS1A_E_NS1_11comp_targetILNS1_3genE5ELNS1_11target_archE942ELNS1_3gpuE9ELNS1_3repE0EEENS1_30default_config_static_selectorELNS0_4arch9wavefront6targetE0EEEvT1_.num_vgpr, 0
	.set _ZN7rocprim17ROCPRIM_400000_NS6detail17trampoline_kernelINS0_14default_configENS1_25partition_config_selectorILNS1_17partition_subalgoE5EjNS0_10empty_typeEbEEZZNS1_14partition_implILS5_5ELb0ES3_mN6thrust23THRUST_200600_302600_NS6detail15normal_iteratorINSA_10device_ptrIjEEEEPS6_NSA_18transform_iteratorINSB_9not_fun_tI7is_trueIjEEENSC_INSD_IbEEEENSA_11use_defaultESO_EENS0_5tupleIJNSA_16discard_iteratorISO_EES6_EEENSQ_IJSG_SG_EEES6_PlJS6_EEE10hipError_tPvRmT3_T4_T5_T6_T7_T9_mT8_P12ihipStream_tbDpT10_ENKUlT_T0_E_clISt17integral_constantIbLb1EES1F_EEDaS1A_S1B_EUlS1A_E_NS1_11comp_targetILNS1_3genE5ELNS1_11target_archE942ELNS1_3gpuE9ELNS1_3repE0EEENS1_30default_config_static_selectorELNS0_4arch9wavefront6targetE0EEEvT1_.num_agpr, 0
	.set _ZN7rocprim17ROCPRIM_400000_NS6detail17trampoline_kernelINS0_14default_configENS1_25partition_config_selectorILNS1_17partition_subalgoE5EjNS0_10empty_typeEbEEZZNS1_14partition_implILS5_5ELb0ES3_mN6thrust23THRUST_200600_302600_NS6detail15normal_iteratorINSA_10device_ptrIjEEEEPS6_NSA_18transform_iteratorINSB_9not_fun_tI7is_trueIjEEENSC_INSD_IbEEEENSA_11use_defaultESO_EENS0_5tupleIJNSA_16discard_iteratorISO_EES6_EEENSQ_IJSG_SG_EEES6_PlJS6_EEE10hipError_tPvRmT3_T4_T5_T6_T7_T9_mT8_P12ihipStream_tbDpT10_ENKUlT_T0_E_clISt17integral_constantIbLb1EES1F_EEDaS1A_S1B_EUlS1A_E_NS1_11comp_targetILNS1_3genE5ELNS1_11target_archE942ELNS1_3gpuE9ELNS1_3repE0EEENS1_30default_config_static_selectorELNS0_4arch9wavefront6targetE0EEEvT1_.numbered_sgpr, 0
	.set _ZN7rocprim17ROCPRIM_400000_NS6detail17trampoline_kernelINS0_14default_configENS1_25partition_config_selectorILNS1_17partition_subalgoE5EjNS0_10empty_typeEbEEZZNS1_14partition_implILS5_5ELb0ES3_mN6thrust23THRUST_200600_302600_NS6detail15normal_iteratorINSA_10device_ptrIjEEEEPS6_NSA_18transform_iteratorINSB_9not_fun_tI7is_trueIjEEENSC_INSD_IbEEEENSA_11use_defaultESO_EENS0_5tupleIJNSA_16discard_iteratorISO_EES6_EEENSQ_IJSG_SG_EEES6_PlJS6_EEE10hipError_tPvRmT3_T4_T5_T6_T7_T9_mT8_P12ihipStream_tbDpT10_ENKUlT_T0_E_clISt17integral_constantIbLb1EES1F_EEDaS1A_S1B_EUlS1A_E_NS1_11comp_targetILNS1_3genE5ELNS1_11target_archE942ELNS1_3gpuE9ELNS1_3repE0EEENS1_30default_config_static_selectorELNS0_4arch9wavefront6targetE0EEEvT1_.num_named_barrier, 0
	.set _ZN7rocprim17ROCPRIM_400000_NS6detail17trampoline_kernelINS0_14default_configENS1_25partition_config_selectorILNS1_17partition_subalgoE5EjNS0_10empty_typeEbEEZZNS1_14partition_implILS5_5ELb0ES3_mN6thrust23THRUST_200600_302600_NS6detail15normal_iteratorINSA_10device_ptrIjEEEEPS6_NSA_18transform_iteratorINSB_9not_fun_tI7is_trueIjEEENSC_INSD_IbEEEENSA_11use_defaultESO_EENS0_5tupleIJNSA_16discard_iteratorISO_EES6_EEENSQ_IJSG_SG_EEES6_PlJS6_EEE10hipError_tPvRmT3_T4_T5_T6_T7_T9_mT8_P12ihipStream_tbDpT10_ENKUlT_T0_E_clISt17integral_constantIbLb1EES1F_EEDaS1A_S1B_EUlS1A_E_NS1_11comp_targetILNS1_3genE5ELNS1_11target_archE942ELNS1_3gpuE9ELNS1_3repE0EEENS1_30default_config_static_selectorELNS0_4arch9wavefront6targetE0EEEvT1_.private_seg_size, 0
	.set _ZN7rocprim17ROCPRIM_400000_NS6detail17trampoline_kernelINS0_14default_configENS1_25partition_config_selectorILNS1_17partition_subalgoE5EjNS0_10empty_typeEbEEZZNS1_14partition_implILS5_5ELb0ES3_mN6thrust23THRUST_200600_302600_NS6detail15normal_iteratorINSA_10device_ptrIjEEEEPS6_NSA_18transform_iteratorINSB_9not_fun_tI7is_trueIjEEENSC_INSD_IbEEEENSA_11use_defaultESO_EENS0_5tupleIJNSA_16discard_iteratorISO_EES6_EEENSQ_IJSG_SG_EEES6_PlJS6_EEE10hipError_tPvRmT3_T4_T5_T6_T7_T9_mT8_P12ihipStream_tbDpT10_ENKUlT_T0_E_clISt17integral_constantIbLb1EES1F_EEDaS1A_S1B_EUlS1A_E_NS1_11comp_targetILNS1_3genE5ELNS1_11target_archE942ELNS1_3gpuE9ELNS1_3repE0EEENS1_30default_config_static_selectorELNS0_4arch9wavefront6targetE0EEEvT1_.uses_vcc, 0
	.set _ZN7rocprim17ROCPRIM_400000_NS6detail17trampoline_kernelINS0_14default_configENS1_25partition_config_selectorILNS1_17partition_subalgoE5EjNS0_10empty_typeEbEEZZNS1_14partition_implILS5_5ELb0ES3_mN6thrust23THRUST_200600_302600_NS6detail15normal_iteratorINSA_10device_ptrIjEEEEPS6_NSA_18transform_iteratorINSB_9not_fun_tI7is_trueIjEEENSC_INSD_IbEEEENSA_11use_defaultESO_EENS0_5tupleIJNSA_16discard_iteratorISO_EES6_EEENSQ_IJSG_SG_EEES6_PlJS6_EEE10hipError_tPvRmT3_T4_T5_T6_T7_T9_mT8_P12ihipStream_tbDpT10_ENKUlT_T0_E_clISt17integral_constantIbLb1EES1F_EEDaS1A_S1B_EUlS1A_E_NS1_11comp_targetILNS1_3genE5ELNS1_11target_archE942ELNS1_3gpuE9ELNS1_3repE0EEENS1_30default_config_static_selectorELNS0_4arch9wavefront6targetE0EEEvT1_.uses_flat_scratch, 0
	.set _ZN7rocprim17ROCPRIM_400000_NS6detail17trampoline_kernelINS0_14default_configENS1_25partition_config_selectorILNS1_17partition_subalgoE5EjNS0_10empty_typeEbEEZZNS1_14partition_implILS5_5ELb0ES3_mN6thrust23THRUST_200600_302600_NS6detail15normal_iteratorINSA_10device_ptrIjEEEEPS6_NSA_18transform_iteratorINSB_9not_fun_tI7is_trueIjEEENSC_INSD_IbEEEENSA_11use_defaultESO_EENS0_5tupleIJNSA_16discard_iteratorISO_EES6_EEENSQ_IJSG_SG_EEES6_PlJS6_EEE10hipError_tPvRmT3_T4_T5_T6_T7_T9_mT8_P12ihipStream_tbDpT10_ENKUlT_T0_E_clISt17integral_constantIbLb1EES1F_EEDaS1A_S1B_EUlS1A_E_NS1_11comp_targetILNS1_3genE5ELNS1_11target_archE942ELNS1_3gpuE9ELNS1_3repE0EEENS1_30default_config_static_selectorELNS0_4arch9wavefront6targetE0EEEvT1_.has_dyn_sized_stack, 0
	.set _ZN7rocprim17ROCPRIM_400000_NS6detail17trampoline_kernelINS0_14default_configENS1_25partition_config_selectorILNS1_17partition_subalgoE5EjNS0_10empty_typeEbEEZZNS1_14partition_implILS5_5ELb0ES3_mN6thrust23THRUST_200600_302600_NS6detail15normal_iteratorINSA_10device_ptrIjEEEEPS6_NSA_18transform_iteratorINSB_9not_fun_tI7is_trueIjEEENSC_INSD_IbEEEENSA_11use_defaultESO_EENS0_5tupleIJNSA_16discard_iteratorISO_EES6_EEENSQ_IJSG_SG_EEES6_PlJS6_EEE10hipError_tPvRmT3_T4_T5_T6_T7_T9_mT8_P12ihipStream_tbDpT10_ENKUlT_T0_E_clISt17integral_constantIbLb1EES1F_EEDaS1A_S1B_EUlS1A_E_NS1_11comp_targetILNS1_3genE5ELNS1_11target_archE942ELNS1_3gpuE9ELNS1_3repE0EEENS1_30default_config_static_selectorELNS0_4arch9wavefront6targetE0EEEvT1_.has_recursion, 0
	.set _ZN7rocprim17ROCPRIM_400000_NS6detail17trampoline_kernelINS0_14default_configENS1_25partition_config_selectorILNS1_17partition_subalgoE5EjNS0_10empty_typeEbEEZZNS1_14partition_implILS5_5ELb0ES3_mN6thrust23THRUST_200600_302600_NS6detail15normal_iteratorINSA_10device_ptrIjEEEEPS6_NSA_18transform_iteratorINSB_9not_fun_tI7is_trueIjEEENSC_INSD_IbEEEENSA_11use_defaultESO_EENS0_5tupleIJNSA_16discard_iteratorISO_EES6_EEENSQ_IJSG_SG_EEES6_PlJS6_EEE10hipError_tPvRmT3_T4_T5_T6_T7_T9_mT8_P12ihipStream_tbDpT10_ENKUlT_T0_E_clISt17integral_constantIbLb1EES1F_EEDaS1A_S1B_EUlS1A_E_NS1_11comp_targetILNS1_3genE5ELNS1_11target_archE942ELNS1_3gpuE9ELNS1_3repE0EEENS1_30default_config_static_selectorELNS0_4arch9wavefront6targetE0EEEvT1_.has_indirect_call, 0
	.section	.AMDGPU.csdata,"",@progbits
; Kernel info:
; codeLenInByte = 0
; TotalNumSgprs: 0
; NumVgprs: 0
; ScratchSize: 0
; MemoryBound: 0
; FloatMode: 240
; IeeeMode: 1
; LDSByteSize: 0 bytes/workgroup (compile time only)
; SGPRBlocks: 0
; VGPRBlocks: 0
; NumSGPRsForWavesPerEU: 1
; NumVGPRsForWavesPerEU: 1
; Occupancy: 16
; WaveLimiterHint : 0
; COMPUTE_PGM_RSRC2:SCRATCH_EN: 0
; COMPUTE_PGM_RSRC2:USER_SGPR: 2
; COMPUTE_PGM_RSRC2:TRAP_HANDLER: 0
; COMPUTE_PGM_RSRC2:TGID_X_EN: 1
; COMPUTE_PGM_RSRC2:TGID_Y_EN: 0
; COMPUTE_PGM_RSRC2:TGID_Z_EN: 0
; COMPUTE_PGM_RSRC2:TIDIG_COMP_CNT: 0
	.section	.text._ZN7rocprim17ROCPRIM_400000_NS6detail17trampoline_kernelINS0_14default_configENS1_25partition_config_selectorILNS1_17partition_subalgoE5EjNS0_10empty_typeEbEEZZNS1_14partition_implILS5_5ELb0ES3_mN6thrust23THRUST_200600_302600_NS6detail15normal_iteratorINSA_10device_ptrIjEEEEPS6_NSA_18transform_iteratorINSB_9not_fun_tI7is_trueIjEEENSC_INSD_IbEEEENSA_11use_defaultESO_EENS0_5tupleIJNSA_16discard_iteratorISO_EES6_EEENSQ_IJSG_SG_EEES6_PlJS6_EEE10hipError_tPvRmT3_T4_T5_T6_T7_T9_mT8_P12ihipStream_tbDpT10_ENKUlT_T0_E_clISt17integral_constantIbLb1EES1F_EEDaS1A_S1B_EUlS1A_E_NS1_11comp_targetILNS1_3genE4ELNS1_11target_archE910ELNS1_3gpuE8ELNS1_3repE0EEENS1_30default_config_static_selectorELNS0_4arch9wavefront6targetE0EEEvT1_,"axG",@progbits,_ZN7rocprim17ROCPRIM_400000_NS6detail17trampoline_kernelINS0_14default_configENS1_25partition_config_selectorILNS1_17partition_subalgoE5EjNS0_10empty_typeEbEEZZNS1_14partition_implILS5_5ELb0ES3_mN6thrust23THRUST_200600_302600_NS6detail15normal_iteratorINSA_10device_ptrIjEEEEPS6_NSA_18transform_iteratorINSB_9not_fun_tI7is_trueIjEEENSC_INSD_IbEEEENSA_11use_defaultESO_EENS0_5tupleIJNSA_16discard_iteratorISO_EES6_EEENSQ_IJSG_SG_EEES6_PlJS6_EEE10hipError_tPvRmT3_T4_T5_T6_T7_T9_mT8_P12ihipStream_tbDpT10_ENKUlT_T0_E_clISt17integral_constantIbLb1EES1F_EEDaS1A_S1B_EUlS1A_E_NS1_11comp_targetILNS1_3genE4ELNS1_11target_archE910ELNS1_3gpuE8ELNS1_3repE0EEENS1_30default_config_static_selectorELNS0_4arch9wavefront6targetE0EEEvT1_,comdat
	.protected	_ZN7rocprim17ROCPRIM_400000_NS6detail17trampoline_kernelINS0_14default_configENS1_25partition_config_selectorILNS1_17partition_subalgoE5EjNS0_10empty_typeEbEEZZNS1_14partition_implILS5_5ELb0ES3_mN6thrust23THRUST_200600_302600_NS6detail15normal_iteratorINSA_10device_ptrIjEEEEPS6_NSA_18transform_iteratorINSB_9not_fun_tI7is_trueIjEEENSC_INSD_IbEEEENSA_11use_defaultESO_EENS0_5tupleIJNSA_16discard_iteratorISO_EES6_EEENSQ_IJSG_SG_EEES6_PlJS6_EEE10hipError_tPvRmT3_T4_T5_T6_T7_T9_mT8_P12ihipStream_tbDpT10_ENKUlT_T0_E_clISt17integral_constantIbLb1EES1F_EEDaS1A_S1B_EUlS1A_E_NS1_11comp_targetILNS1_3genE4ELNS1_11target_archE910ELNS1_3gpuE8ELNS1_3repE0EEENS1_30default_config_static_selectorELNS0_4arch9wavefront6targetE0EEEvT1_ ; -- Begin function _ZN7rocprim17ROCPRIM_400000_NS6detail17trampoline_kernelINS0_14default_configENS1_25partition_config_selectorILNS1_17partition_subalgoE5EjNS0_10empty_typeEbEEZZNS1_14partition_implILS5_5ELb0ES3_mN6thrust23THRUST_200600_302600_NS6detail15normal_iteratorINSA_10device_ptrIjEEEEPS6_NSA_18transform_iteratorINSB_9not_fun_tI7is_trueIjEEENSC_INSD_IbEEEENSA_11use_defaultESO_EENS0_5tupleIJNSA_16discard_iteratorISO_EES6_EEENSQ_IJSG_SG_EEES6_PlJS6_EEE10hipError_tPvRmT3_T4_T5_T6_T7_T9_mT8_P12ihipStream_tbDpT10_ENKUlT_T0_E_clISt17integral_constantIbLb1EES1F_EEDaS1A_S1B_EUlS1A_E_NS1_11comp_targetILNS1_3genE4ELNS1_11target_archE910ELNS1_3gpuE8ELNS1_3repE0EEENS1_30default_config_static_selectorELNS0_4arch9wavefront6targetE0EEEvT1_
	.globl	_ZN7rocprim17ROCPRIM_400000_NS6detail17trampoline_kernelINS0_14default_configENS1_25partition_config_selectorILNS1_17partition_subalgoE5EjNS0_10empty_typeEbEEZZNS1_14partition_implILS5_5ELb0ES3_mN6thrust23THRUST_200600_302600_NS6detail15normal_iteratorINSA_10device_ptrIjEEEEPS6_NSA_18transform_iteratorINSB_9not_fun_tI7is_trueIjEEENSC_INSD_IbEEEENSA_11use_defaultESO_EENS0_5tupleIJNSA_16discard_iteratorISO_EES6_EEENSQ_IJSG_SG_EEES6_PlJS6_EEE10hipError_tPvRmT3_T4_T5_T6_T7_T9_mT8_P12ihipStream_tbDpT10_ENKUlT_T0_E_clISt17integral_constantIbLb1EES1F_EEDaS1A_S1B_EUlS1A_E_NS1_11comp_targetILNS1_3genE4ELNS1_11target_archE910ELNS1_3gpuE8ELNS1_3repE0EEENS1_30default_config_static_selectorELNS0_4arch9wavefront6targetE0EEEvT1_
	.p2align	8
	.type	_ZN7rocprim17ROCPRIM_400000_NS6detail17trampoline_kernelINS0_14default_configENS1_25partition_config_selectorILNS1_17partition_subalgoE5EjNS0_10empty_typeEbEEZZNS1_14partition_implILS5_5ELb0ES3_mN6thrust23THRUST_200600_302600_NS6detail15normal_iteratorINSA_10device_ptrIjEEEEPS6_NSA_18transform_iteratorINSB_9not_fun_tI7is_trueIjEEENSC_INSD_IbEEEENSA_11use_defaultESO_EENS0_5tupleIJNSA_16discard_iteratorISO_EES6_EEENSQ_IJSG_SG_EEES6_PlJS6_EEE10hipError_tPvRmT3_T4_T5_T6_T7_T9_mT8_P12ihipStream_tbDpT10_ENKUlT_T0_E_clISt17integral_constantIbLb1EES1F_EEDaS1A_S1B_EUlS1A_E_NS1_11comp_targetILNS1_3genE4ELNS1_11target_archE910ELNS1_3gpuE8ELNS1_3repE0EEENS1_30default_config_static_selectorELNS0_4arch9wavefront6targetE0EEEvT1_,@function
_ZN7rocprim17ROCPRIM_400000_NS6detail17trampoline_kernelINS0_14default_configENS1_25partition_config_selectorILNS1_17partition_subalgoE5EjNS0_10empty_typeEbEEZZNS1_14partition_implILS5_5ELb0ES3_mN6thrust23THRUST_200600_302600_NS6detail15normal_iteratorINSA_10device_ptrIjEEEEPS6_NSA_18transform_iteratorINSB_9not_fun_tI7is_trueIjEEENSC_INSD_IbEEEENSA_11use_defaultESO_EENS0_5tupleIJNSA_16discard_iteratorISO_EES6_EEENSQ_IJSG_SG_EEES6_PlJS6_EEE10hipError_tPvRmT3_T4_T5_T6_T7_T9_mT8_P12ihipStream_tbDpT10_ENKUlT_T0_E_clISt17integral_constantIbLb1EES1F_EEDaS1A_S1B_EUlS1A_E_NS1_11comp_targetILNS1_3genE4ELNS1_11target_archE910ELNS1_3gpuE8ELNS1_3repE0EEENS1_30default_config_static_selectorELNS0_4arch9wavefront6targetE0EEEvT1_: ; @_ZN7rocprim17ROCPRIM_400000_NS6detail17trampoline_kernelINS0_14default_configENS1_25partition_config_selectorILNS1_17partition_subalgoE5EjNS0_10empty_typeEbEEZZNS1_14partition_implILS5_5ELb0ES3_mN6thrust23THRUST_200600_302600_NS6detail15normal_iteratorINSA_10device_ptrIjEEEEPS6_NSA_18transform_iteratorINSB_9not_fun_tI7is_trueIjEEENSC_INSD_IbEEEENSA_11use_defaultESO_EENS0_5tupleIJNSA_16discard_iteratorISO_EES6_EEENSQ_IJSG_SG_EEES6_PlJS6_EEE10hipError_tPvRmT3_T4_T5_T6_T7_T9_mT8_P12ihipStream_tbDpT10_ENKUlT_T0_E_clISt17integral_constantIbLb1EES1F_EEDaS1A_S1B_EUlS1A_E_NS1_11comp_targetILNS1_3genE4ELNS1_11target_archE910ELNS1_3gpuE8ELNS1_3repE0EEENS1_30default_config_static_selectorELNS0_4arch9wavefront6targetE0EEEvT1_
; %bb.0:
	.section	.rodata,"a",@progbits
	.p2align	6, 0x0
	.amdhsa_kernel _ZN7rocprim17ROCPRIM_400000_NS6detail17trampoline_kernelINS0_14default_configENS1_25partition_config_selectorILNS1_17partition_subalgoE5EjNS0_10empty_typeEbEEZZNS1_14partition_implILS5_5ELb0ES3_mN6thrust23THRUST_200600_302600_NS6detail15normal_iteratorINSA_10device_ptrIjEEEEPS6_NSA_18transform_iteratorINSB_9not_fun_tI7is_trueIjEEENSC_INSD_IbEEEENSA_11use_defaultESO_EENS0_5tupleIJNSA_16discard_iteratorISO_EES6_EEENSQ_IJSG_SG_EEES6_PlJS6_EEE10hipError_tPvRmT3_T4_T5_T6_T7_T9_mT8_P12ihipStream_tbDpT10_ENKUlT_T0_E_clISt17integral_constantIbLb1EES1F_EEDaS1A_S1B_EUlS1A_E_NS1_11comp_targetILNS1_3genE4ELNS1_11target_archE910ELNS1_3gpuE8ELNS1_3repE0EEENS1_30default_config_static_selectorELNS0_4arch9wavefront6targetE0EEEvT1_
		.amdhsa_group_segment_fixed_size 0
		.amdhsa_private_segment_fixed_size 0
		.amdhsa_kernarg_size 144
		.amdhsa_user_sgpr_count 2
		.amdhsa_user_sgpr_dispatch_ptr 0
		.amdhsa_user_sgpr_queue_ptr 0
		.amdhsa_user_sgpr_kernarg_segment_ptr 1
		.amdhsa_user_sgpr_dispatch_id 0
		.amdhsa_user_sgpr_private_segment_size 0
		.amdhsa_wavefront_size32 1
		.amdhsa_uses_dynamic_stack 0
		.amdhsa_enable_private_segment 0
		.amdhsa_system_sgpr_workgroup_id_x 1
		.amdhsa_system_sgpr_workgroup_id_y 0
		.amdhsa_system_sgpr_workgroup_id_z 0
		.amdhsa_system_sgpr_workgroup_info 0
		.amdhsa_system_vgpr_workitem_id 0
		.amdhsa_next_free_vgpr 1
		.amdhsa_next_free_sgpr 1
		.amdhsa_reserve_vcc 0
		.amdhsa_float_round_mode_32 0
		.amdhsa_float_round_mode_16_64 0
		.amdhsa_float_denorm_mode_32 3
		.amdhsa_float_denorm_mode_16_64 3
		.amdhsa_fp16_overflow 0
		.amdhsa_workgroup_processor_mode 1
		.amdhsa_memory_ordered 1
		.amdhsa_forward_progress 1
		.amdhsa_inst_pref_size 0
		.amdhsa_round_robin_scheduling 0
		.amdhsa_exception_fp_ieee_invalid_op 0
		.amdhsa_exception_fp_denorm_src 0
		.amdhsa_exception_fp_ieee_div_zero 0
		.amdhsa_exception_fp_ieee_overflow 0
		.amdhsa_exception_fp_ieee_underflow 0
		.amdhsa_exception_fp_ieee_inexact 0
		.amdhsa_exception_int_div_zero 0
	.end_amdhsa_kernel
	.section	.text._ZN7rocprim17ROCPRIM_400000_NS6detail17trampoline_kernelINS0_14default_configENS1_25partition_config_selectorILNS1_17partition_subalgoE5EjNS0_10empty_typeEbEEZZNS1_14partition_implILS5_5ELb0ES3_mN6thrust23THRUST_200600_302600_NS6detail15normal_iteratorINSA_10device_ptrIjEEEEPS6_NSA_18transform_iteratorINSB_9not_fun_tI7is_trueIjEEENSC_INSD_IbEEEENSA_11use_defaultESO_EENS0_5tupleIJNSA_16discard_iteratorISO_EES6_EEENSQ_IJSG_SG_EEES6_PlJS6_EEE10hipError_tPvRmT3_T4_T5_T6_T7_T9_mT8_P12ihipStream_tbDpT10_ENKUlT_T0_E_clISt17integral_constantIbLb1EES1F_EEDaS1A_S1B_EUlS1A_E_NS1_11comp_targetILNS1_3genE4ELNS1_11target_archE910ELNS1_3gpuE8ELNS1_3repE0EEENS1_30default_config_static_selectorELNS0_4arch9wavefront6targetE0EEEvT1_,"axG",@progbits,_ZN7rocprim17ROCPRIM_400000_NS6detail17trampoline_kernelINS0_14default_configENS1_25partition_config_selectorILNS1_17partition_subalgoE5EjNS0_10empty_typeEbEEZZNS1_14partition_implILS5_5ELb0ES3_mN6thrust23THRUST_200600_302600_NS6detail15normal_iteratorINSA_10device_ptrIjEEEEPS6_NSA_18transform_iteratorINSB_9not_fun_tI7is_trueIjEEENSC_INSD_IbEEEENSA_11use_defaultESO_EENS0_5tupleIJNSA_16discard_iteratorISO_EES6_EEENSQ_IJSG_SG_EEES6_PlJS6_EEE10hipError_tPvRmT3_T4_T5_T6_T7_T9_mT8_P12ihipStream_tbDpT10_ENKUlT_T0_E_clISt17integral_constantIbLb1EES1F_EEDaS1A_S1B_EUlS1A_E_NS1_11comp_targetILNS1_3genE4ELNS1_11target_archE910ELNS1_3gpuE8ELNS1_3repE0EEENS1_30default_config_static_selectorELNS0_4arch9wavefront6targetE0EEEvT1_,comdat
.Lfunc_end2695:
	.size	_ZN7rocprim17ROCPRIM_400000_NS6detail17trampoline_kernelINS0_14default_configENS1_25partition_config_selectorILNS1_17partition_subalgoE5EjNS0_10empty_typeEbEEZZNS1_14partition_implILS5_5ELb0ES3_mN6thrust23THRUST_200600_302600_NS6detail15normal_iteratorINSA_10device_ptrIjEEEEPS6_NSA_18transform_iteratorINSB_9not_fun_tI7is_trueIjEEENSC_INSD_IbEEEENSA_11use_defaultESO_EENS0_5tupleIJNSA_16discard_iteratorISO_EES6_EEENSQ_IJSG_SG_EEES6_PlJS6_EEE10hipError_tPvRmT3_T4_T5_T6_T7_T9_mT8_P12ihipStream_tbDpT10_ENKUlT_T0_E_clISt17integral_constantIbLb1EES1F_EEDaS1A_S1B_EUlS1A_E_NS1_11comp_targetILNS1_3genE4ELNS1_11target_archE910ELNS1_3gpuE8ELNS1_3repE0EEENS1_30default_config_static_selectorELNS0_4arch9wavefront6targetE0EEEvT1_, .Lfunc_end2695-_ZN7rocprim17ROCPRIM_400000_NS6detail17trampoline_kernelINS0_14default_configENS1_25partition_config_selectorILNS1_17partition_subalgoE5EjNS0_10empty_typeEbEEZZNS1_14partition_implILS5_5ELb0ES3_mN6thrust23THRUST_200600_302600_NS6detail15normal_iteratorINSA_10device_ptrIjEEEEPS6_NSA_18transform_iteratorINSB_9not_fun_tI7is_trueIjEEENSC_INSD_IbEEEENSA_11use_defaultESO_EENS0_5tupleIJNSA_16discard_iteratorISO_EES6_EEENSQ_IJSG_SG_EEES6_PlJS6_EEE10hipError_tPvRmT3_T4_T5_T6_T7_T9_mT8_P12ihipStream_tbDpT10_ENKUlT_T0_E_clISt17integral_constantIbLb1EES1F_EEDaS1A_S1B_EUlS1A_E_NS1_11comp_targetILNS1_3genE4ELNS1_11target_archE910ELNS1_3gpuE8ELNS1_3repE0EEENS1_30default_config_static_selectorELNS0_4arch9wavefront6targetE0EEEvT1_
                                        ; -- End function
	.set _ZN7rocprim17ROCPRIM_400000_NS6detail17trampoline_kernelINS0_14default_configENS1_25partition_config_selectorILNS1_17partition_subalgoE5EjNS0_10empty_typeEbEEZZNS1_14partition_implILS5_5ELb0ES3_mN6thrust23THRUST_200600_302600_NS6detail15normal_iteratorINSA_10device_ptrIjEEEEPS6_NSA_18transform_iteratorINSB_9not_fun_tI7is_trueIjEEENSC_INSD_IbEEEENSA_11use_defaultESO_EENS0_5tupleIJNSA_16discard_iteratorISO_EES6_EEENSQ_IJSG_SG_EEES6_PlJS6_EEE10hipError_tPvRmT3_T4_T5_T6_T7_T9_mT8_P12ihipStream_tbDpT10_ENKUlT_T0_E_clISt17integral_constantIbLb1EES1F_EEDaS1A_S1B_EUlS1A_E_NS1_11comp_targetILNS1_3genE4ELNS1_11target_archE910ELNS1_3gpuE8ELNS1_3repE0EEENS1_30default_config_static_selectorELNS0_4arch9wavefront6targetE0EEEvT1_.num_vgpr, 0
	.set _ZN7rocprim17ROCPRIM_400000_NS6detail17trampoline_kernelINS0_14default_configENS1_25partition_config_selectorILNS1_17partition_subalgoE5EjNS0_10empty_typeEbEEZZNS1_14partition_implILS5_5ELb0ES3_mN6thrust23THRUST_200600_302600_NS6detail15normal_iteratorINSA_10device_ptrIjEEEEPS6_NSA_18transform_iteratorINSB_9not_fun_tI7is_trueIjEEENSC_INSD_IbEEEENSA_11use_defaultESO_EENS0_5tupleIJNSA_16discard_iteratorISO_EES6_EEENSQ_IJSG_SG_EEES6_PlJS6_EEE10hipError_tPvRmT3_T4_T5_T6_T7_T9_mT8_P12ihipStream_tbDpT10_ENKUlT_T0_E_clISt17integral_constantIbLb1EES1F_EEDaS1A_S1B_EUlS1A_E_NS1_11comp_targetILNS1_3genE4ELNS1_11target_archE910ELNS1_3gpuE8ELNS1_3repE0EEENS1_30default_config_static_selectorELNS0_4arch9wavefront6targetE0EEEvT1_.num_agpr, 0
	.set _ZN7rocprim17ROCPRIM_400000_NS6detail17trampoline_kernelINS0_14default_configENS1_25partition_config_selectorILNS1_17partition_subalgoE5EjNS0_10empty_typeEbEEZZNS1_14partition_implILS5_5ELb0ES3_mN6thrust23THRUST_200600_302600_NS6detail15normal_iteratorINSA_10device_ptrIjEEEEPS6_NSA_18transform_iteratorINSB_9not_fun_tI7is_trueIjEEENSC_INSD_IbEEEENSA_11use_defaultESO_EENS0_5tupleIJNSA_16discard_iteratorISO_EES6_EEENSQ_IJSG_SG_EEES6_PlJS6_EEE10hipError_tPvRmT3_T4_T5_T6_T7_T9_mT8_P12ihipStream_tbDpT10_ENKUlT_T0_E_clISt17integral_constantIbLb1EES1F_EEDaS1A_S1B_EUlS1A_E_NS1_11comp_targetILNS1_3genE4ELNS1_11target_archE910ELNS1_3gpuE8ELNS1_3repE0EEENS1_30default_config_static_selectorELNS0_4arch9wavefront6targetE0EEEvT1_.numbered_sgpr, 0
	.set _ZN7rocprim17ROCPRIM_400000_NS6detail17trampoline_kernelINS0_14default_configENS1_25partition_config_selectorILNS1_17partition_subalgoE5EjNS0_10empty_typeEbEEZZNS1_14partition_implILS5_5ELb0ES3_mN6thrust23THRUST_200600_302600_NS6detail15normal_iteratorINSA_10device_ptrIjEEEEPS6_NSA_18transform_iteratorINSB_9not_fun_tI7is_trueIjEEENSC_INSD_IbEEEENSA_11use_defaultESO_EENS0_5tupleIJNSA_16discard_iteratorISO_EES6_EEENSQ_IJSG_SG_EEES6_PlJS6_EEE10hipError_tPvRmT3_T4_T5_T6_T7_T9_mT8_P12ihipStream_tbDpT10_ENKUlT_T0_E_clISt17integral_constantIbLb1EES1F_EEDaS1A_S1B_EUlS1A_E_NS1_11comp_targetILNS1_3genE4ELNS1_11target_archE910ELNS1_3gpuE8ELNS1_3repE0EEENS1_30default_config_static_selectorELNS0_4arch9wavefront6targetE0EEEvT1_.num_named_barrier, 0
	.set _ZN7rocprim17ROCPRIM_400000_NS6detail17trampoline_kernelINS0_14default_configENS1_25partition_config_selectorILNS1_17partition_subalgoE5EjNS0_10empty_typeEbEEZZNS1_14partition_implILS5_5ELb0ES3_mN6thrust23THRUST_200600_302600_NS6detail15normal_iteratorINSA_10device_ptrIjEEEEPS6_NSA_18transform_iteratorINSB_9not_fun_tI7is_trueIjEEENSC_INSD_IbEEEENSA_11use_defaultESO_EENS0_5tupleIJNSA_16discard_iteratorISO_EES6_EEENSQ_IJSG_SG_EEES6_PlJS6_EEE10hipError_tPvRmT3_T4_T5_T6_T7_T9_mT8_P12ihipStream_tbDpT10_ENKUlT_T0_E_clISt17integral_constantIbLb1EES1F_EEDaS1A_S1B_EUlS1A_E_NS1_11comp_targetILNS1_3genE4ELNS1_11target_archE910ELNS1_3gpuE8ELNS1_3repE0EEENS1_30default_config_static_selectorELNS0_4arch9wavefront6targetE0EEEvT1_.private_seg_size, 0
	.set _ZN7rocprim17ROCPRIM_400000_NS6detail17trampoline_kernelINS0_14default_configENS1_25partition_config_selectorILNS1_17partition_subalgoE5EjNS0_10empty_typeEbEEZZNS1_14partition_implILS5_5ELb0ES3_mN6thrust23THRUST_200600_302600_NS6detail15normal_iteratorINSA_10device_ptrIjEEEEPS6_NSA_18transform_iteratorINSB_9not_fun_tI7is_trueIjEEENSC_INSD_IbEEEENSA_11use_defaultESO_EENS0_5tupleIJNSA_16discard_iteratorISO_EES6_EEENSQ_IJSG_SG_EEES6_PlJS6_EEE10hipError_tPvRmT3_T4_T5_T6_T7_T9_mT8_P12ihipStream_tbDpT10_ENKUlT_T0_E_clISt17integral_constantIbLb1EES1F_EEDaS1A_S1B_EUlS1A_E_NS1_11comp_targetILNS1_3genE4ELNS1_11target_archE910ELNS1_3gpuE8ELNS1_3repE0EEENS1_30default_config_static_selectorELNS0_4arch9wavefront6targetE0EEEvT1_.uses_vcc, 0
	.set _ZN7rocprim17ROCPRIM_400000_NS6detail17trampoline_kernelINS0_14default_configENS1_25partition_config_selectorILNS1_17partition_subalgoE5EjNS0_10empty_typeEbEEZZNS1_14partition_implILS5_5ELb0ES3_mN6thrust23THRUST_200600_302600_NS6detail15normal_iteratorINSA_10device_ptrIjEEEEPS6_NSA_18transform_iteratorINSB_9not_fun_tI7is_trueIjEEENSC_INSD_IbEEEENSA_11use_defaultESO_EENS0_5tupleIJNSA_16discard_iteratorISO_EES6_EEENSQ_IJSG_SG_EEES6_PlJS6_EEE10hipError_tPvRmT3_T4_T5_T6_T7_T9_mT8_P12ihipStream_tbDpT10_ENKUlT_T0_E_clISt17integral_constantIbLb1EES1F_EEDaS1A_S1B_EUlS1A_E_NS1_11comp_targetILNS1_3genE4ELNS1_11target_archE910ELNS1_3gpuE8ELNS1_3repE0EEENS1_30default_config_static_selectorELNS0_4arch9wavefront6targetE0EEEvT1_.uses_flat_scratch, 0
	.set _ZN7rocprim17ROCPRIM_400000_NS6detail17trampoline_kernelINS0_14default_configENS1_25partition_config_selectorILNS1_17partition_subalgoE5EjNS0_10empty_typeEbEEZZNS1_14partition_implILS5_5ELb0ES3_mN6thrust23THRUST_200600_302600_NS6detail15normal_iteratorINSA_10device_ptrIjEEEEPS6_NSA_18transform_iteratorINSB_9not_fun_tI7is_trueIjEEENSC_INSD_IbEEEENSA_11use_defaultESO_EENS0_5tupleIJNSA_16discard_iteratorISO_EES6_EEENSQ_IJSG_SG_EEES6_PlJS6_EEE10hipError_tPvRmT3_T4_T5_T6_T7_T9_mT8_P12ihipStream_tbDpT10_ENKUlT_T0_E_clISt17integral_constantIbLb1EES1F_EEDaS1A_S1B_EUlS1A_E_NS1_11comp_targetILNS1_3genE4ELNS1_11target_archE910ELNS1_3gpuE8ELNS1_3repE0EEENS1_30default_config_static_selectorELNS0_4arch9wavefront6targetE0EEEvT1_.has_dyn_sized_stack, 0
	.set _ZN7rocprim17ROCPRIM_400000_NS6detail17trampoline_kernelINS0_14default_configENS1_25partition_config_selectorILNS1_17partition_subalgoE5EjNS0_10empty_typeEbEEZZNS1_14partition_implILS5_5ELb0ES3_mN6thrust23THRUST_200600_302600_NS6detail15normal_iteratorINSA_10device_ptrIjEEEEPS6_NSA_18transform_iteratorINSB_9not_fun_tI7is_trueIjEEENSC_INSD_IbEEEENSA_11use_defaultESO_EENS0_5tupleIJNSA_16discard_iteratorISO_EES6_EEENSQ_IJSG_SG_EEES6_PlJS6_EEE10hipError_tPvRmT3_T4_T5_T6_T7_T9_mT8_P12ihipStream_tbDpT10_ENKUlT_T0_E_clISt17integral_constantIbLb1EES1F_EEDaS1A_S1B_EUlS1A_E_NS1_11comp_targetILNS1_3genE4ELNS1_11target_archE910ELNS1_3gpuE8ELNS1_3repE0EEENS1_30default_config_static_selectorELNS0_4arch9wavefront6targetE0EEEvT1_.has_recursion, 0
	.set _ZN7rocprim17ROCPRIM_400000_NS6detail17trampoline_kernelINS0_14default_configENS1_25partition_config_selectorILNS1_17partition_subalgoE5EjNS0_10empty_typeEbEEZZNS1_14partition_implILS5_5ELb0ES3_mN6thrust23THRUST_200600_302600_NS6detail15normal_iteratorINSA_10device_ptrIjEEEEPS6_NSA_18transform_iteratorINSB_9not_fun_tI7is_trueIjEEENSC_INSD_IbEEEENSA_11use_defaultESO_EENS0_5tupleIJNSA_16discard_iteratorISO_EES6_EEENSQ_IJSG_SG_EEES6_PlJS6_EEE10hipError_tPvRmT3_T4_T5_T6_T7_T9_mT8_P12ihipStream_tbDpT10_ENKUlT_T0_E_clISt17integral_constantIbLb1EES1F_EEDaS1A_S1B_EUlS1A_E_NS1_11comp_targetILNS1_3genE4ELNS1_11target_archE910ELNS1_3gpuE8ELNS1_3repE0EEENS1_30default_config_static_selectorELNS0_4arch9wavefront6targetE0EEEvT1_.has_indirect_call, 0
	.section	.AMDGPU.csdata,"",@progbits
; Kernel info:
; codeLenInByte = 0
; TotalNumSgprs: 0
; NumVgprs: 0
; ScratchSize: 0
; MemoryBound: 0
; FloatMode: 240
; IeeeMode: 1
; LDSByteSize: 0 bytes/workgroup (compile time only)
; SGPRBlocks: 0
; VGPRBlocks: 0
; NumSGPRsForWavesPerEU: 1
; NumVGPRsForWavesPerEU: 1
; Occupancy: 16
; WaveLimiterHint : 0
; COMPUTE_PGM_RSRC2:SCRATCH_EN: 0
; COMPUTE_PGM_RSRC2:USER_SGPR: 2
; COMPUTE_PGM_RSRC2:TRAP_HANDLER: 0
; COMPUTE_PGM_RSRC2:TGID_X_EN: 1
; COMPUTE_PGM_RSRC2:TGID_Y_EN: 0
; COMPUTE_PGM_RSRC2:TGID_Z_EN: 0
; COMPUTE_PGM_RSRC2:TIDIG_COMP_CNT: 0
	.section	.text._ZN7rocprim17ROCPRIM_400000_NS6detail17trampoline_kernelINS0_14default_configENS1_25partition_config_selectorILNS1_17partition_subalgoE5EjNS0_10empty_typeEbEEZZNS1_14partition_implILS5_5ELb0ES3_mN6thrust23THRUST_200600_302600_NS6detail15normal_iteratorINSA_10device_ptrIjEEEEPS6_NSA_18transform_iteratorINSB_9not_fun_tI7is_trueIjEEENSC_INSD_IbEEEENSA_11use_defaultESO_EENS0_5tupleIJNSA_16discard_iteratorISO_EES6_EEENSQ_IJSG_SG_EEES6_PlJS6_EEE10hipError_tPvRmT3_T4_T5_T6_T7_T9_mT8_P12ihipStream_tbDpT10_ENKUlT_T0_E_clISt17integral_constantIbLb1EES1F_EEDaS1A_S1B_EUlS1A_E_NS1_11comp_targetILNS1_3genE3ELNS1_11target_archE908ELNS1_3gpuE7ELNS1_3repE0EEENS1_30default_config_static_selectorELNS0_4arch9wavefront6targetE0EEEvT1_,"axG",@progbits,_ZN7rocprim17ROCPRIM_400000_NS6detail17trampoline_kernelINS0_14default_configENS1_25partition_config_selectorILNS1_17partition_subalgoE5EjNS0_10empty_typeEbEEZZNS1_14partition_implILS5_5ELb0ES3_mN6thrust23THRUST_200600_302600_NS6detail15normal_iteratorINSA_10device_ptrIjEEEEPS6_NSA_18transform_iteratorINSB_9not_fun_tI7is_trueIjEEENSC_INSD_IbEEEENSA_11use_defaultESO_EENS0_5tupleIJNSA_16discard_iteratorISO_EES6_EEENSQ_IJSG_SG_EEES6_PlJS6_EEE10hipError_tPvRmT3_T4_T5_T6_T7_T9_mT8_P12ihipStream_tbDpT10_ENKUlT_T0_E_clISt17integral_constantIbLb1EES1F_EEDaS1A_S1B_EUlS1A_E_NS1_11comp_targetILNS1_3genE3ELNS1_11target_archE908ELNS1_3gpuE7ELNS1_3repE0EEENS1_30default_config_static_selectorELNS0_4arch9wavefront6targetE0EEEvT1_,comdat
	.protected	_ZN7rocprim17ROCPRIM_400000_NS6detail17trampoline_kernelINS0_14default_configENS1_25partition_config_selectorILNS1_17partition_subalgoE5EjNS0_10empty_typeEbEEZZNS1_14partition_implILS5_5ELb0ES3_mN6thrust23THRUST_200600_302600_NS6detail15normal_iteratorINSA_10device_ptrIjEEEEPS6_NSA_18transform_iteratorINSB_9not_fun_tI7is_trueIjEEENSC_INSD_IbEEEENSA_11use_defaultESO_EENS0_5tupleIJNSA_16discard_iteratorISO_EES6_EEENSQ_IJSG_SG_EEES6_PlJS6_EEE10hipError_tPvRmT3_T4_T5_T6_T7_T9_mT8_P12ihipStream_tbDpT10_ENKUlT_T0_E_clISt17integral_constantIbLb1EES1F_EEDaS1A_S1B_EUlS1A_E_NS1_11comp_targetILNS1_3genE3ELNS1_11target_archE908ELNS1_3gpuE7ELNS1_3repE0EEENS1_30default_config_static_selectorELNS0_4arch9wavefront6targetE0EEEvT1_ ; -- Begin function _ZN7rocprim17ROCPRIM_400000_NS6detail17trampoline_kernelINS0_14default_configENS1_25partition_config_selectorILNS1_17partition_subalgoE5EjNS0_10empty_typeEbEEZZNS1_14partition_implILS5_5ELb0ES3_mN6thrust23THRUST_200600_302600_NS6detail15normal_iteratorINSA_10device_ptrIjEEEEPS6_NSA_18transform_iteratorINSB_9not_fun_tI7is_trueIjEEENSC_INSD_IbEEEENSA_11use_defaultESO_EENS0_5tupleIJNSA_16discard_iteratorISO_EES6_EEENSQ_IJSG_SG_EEES6_PlJS6_EEE10hipError_tPvRmT3_T4_T5_T6_T7_T9_mT8_P12ihipStream_tbDpT10_ENKUlT_T0_E_clISt17integral_constantIbLb1EES1F_EEDaS1A_S1B_EUlS1A_E_NS1_11comp_targetILNS1_3genE3ELNS1_11target_archE908ELNS1_3gpuE7ELNS1_3repE0EEENS1_30default_config_static_selectorELNS0_4arch9wavefront6targetE0EEEvT1_
	.globl	_ZN7rocprim17ROCPRIM_400000_NS6detail17trampoline_kernelINS0_14default_configENS1_25partition_config_selectorILNS1_17partition_subalgoE5EjNS0_10empty_typeEbEEZZNS1_14partition_implILS5_5ELb0ES3_mN6thrust23THRUST_200600_302600_NS6detail15normal_iteratorINSA_10device_ptrIjEEEEPS6_NSA_18transform_iteratorINSB_9not_fun_tI7is_trueIjEEENSC_INSD_IbEEEENSA_11use_defaultESO_EENS0_5tupleIJNSA_16discard_iteratorISO_EES6_EEENSQ_IJSG_SG_EEES6_PlJS6_EEE10hipError_tPvRmT3_T4_T5_T6_T7_T9_mT8_P12ihipStream_tbDpT10_ENKUlT_T0_E_clISt17integral_constantIbLb1EES1F_EEDaS1A_S1B_EUlS1A_E_NS1_11comp_targetILNS1_3genE3ELNS1_11target_archE908ELNS1_3gpuE7ELNS1_3repE0EEENS1_30default_config_static_selectorELNS0_4arch9wavefront6targetE0EEEvT1_
	.p2align	8
	.type	_ZN7rocprim17ROCPRIM_400000_NS6detail17trampoline_kernelINS0_14default_configENS1_25partition_config_selectorILNS1_17partition_subalgoE5EjNS0_10empty_typeEbEEZZNS1_14partition_implILS5_5ELb0ES3_mN6thrust23THRUST_200600_302600_NS6detail15normal_iteratorINSA_10device_ptrIjEEEEPS6_NSA_18transform_iteratorINSB_9not_fun_tI7is_trueIjEEENSC_INSD_IbEEEENSA_11use_defaultESO_EENS0_5tupleIJNSA_16discard_iteratorISO_EES6_EEENSQ_IJSG_SG_EEES6_PlJS6_EEE10hipError_tPvRmT3_T4_T5_T6_T7_T9_mT8_P12ihipStream_tbDpT10_ENKUlT_T0_E_clISt17integral_constantIbLb1EES1F_EEDaS1A_S1B_EUlS1A_E_NS1_11comp_targetILNS1_3genE3ELNS1_11target_archE908ELNS1_3gpuE7ELNS1_3repE0EEENS1_30default_config_static_selectorELNS0_4arch9wavefront6targetE0EEEvT1_,@function
_ZN7rocprim17ROCPRIM_400000_NS6detail17trampoline_kernelINS0_14default_configENS1_25partition_config_selectorILNS1_17partition_subalgoE5EjNS0_10empty_typeEbEEZZNS1_14partition_implILS5_5ELb0ES3_mN6thrust23THRUST_200600_302600_NS6detail15normal_iteratorINSA_10device_ptrIjEEEEPS6_NSA_18transform_iteratorINSB_9not_fun_tI7is_trueIjEEENSC_INSD_IbEEEENSA_11use_defaultESO_EENS0_5tupleIJNSA_16discard_iteratorISO_EES6_EEENSQ_IJSG_SG_EEES6_PlJS6_EEE10hipError_tPvRmT3_T4_T5_T6_T7_T9_mT8_P12ihipStream_tbDpT10_ENKUlT_T0_E_clISt17integral_constantIbLb1EES1F_EEDaS1A_S1B_EUlS1A_E_NS1_11comp_targetILNS1_3genE3ELNS1_11target_archE908ELNS1_3gpuE7ELNS1_3repE0EEENS1_30default_config_static_selectorELNS0_4arch9wavefront6targetE0EEEvT1_: ; @_ZN7rocprim17ROCPRIM_400000_NS6detail17trampoline_kernelINS0_14default_configENS1_25partition_config_selectorILNS1_17partition_subalgoE5EjNS0_10empty_typeEbEEZZNS1_14partition_implILS5_5ELb0ES3_mN6thrust23THRUST_200600_302600_NS6detail15normal_iteratorINSA_10device_ptrIjEEEEPS6_NSA_18transform_iteratorINSB_9not_fun_tI7is_trueIjEEENSC_INSD_IbEEEENSA_11use_defaultESO_EENS0_5tupleIJNSA_16discard_iteratorISO_EES6_EEENSQ_IJSG_SG_EEES6_PlJS6_EEE10hipError_tPvRmT3_T4_T5_T6_T7_T9_mT8_P12ihipStream_tbDpT10_ENKUlT_T0_E_clISt17integral_constantIbLb1EES1F_EEDaS1A_S1B_EUlS1A_E_NS1_11comp_targetILNS1_3genE3ELNS1_11target_archE908ELNS1_3gpuE7ELNS1_3repE0EEENS1_30default_config_static_selectorELNS0_4arch9wavefront6targetE0EEEvT1_
; %bb.0:
	.section	.rodata,"a",@progbits
	.p2align	6, 0x0
	.amdhsa_kernel _ZN7rocprim17ROCPRIM_400000_NS6detail17trampoline_kernelINS0_14default_configENS1_25partition_config_selectorILNS1_17partition_subalgoE5EjNS0_10empty_typeEbEEZZNS1_14partition_implILS5_5ELb0ES3_mN6thrust23THRUST_200600_302600_NS6detail15normal_iteratorINSA_10device_ptrIjEEEEPS6_NSA_18transform_iteratorINSB_9not_fun_tI7is_trueIjEEENSC_INSD_IbEEEENSA_11use_defaultESO_EENS0_5tupleIJNSA_16discard_iteratorISO_EES6_EEENSQ_IJSG_SG_EEES6_PlJS6_EEE10hipError_tPvRmT3_T4_T5_T6_T7_T9_mT8_P12ihipStream_tbDpT10_ENKUlT_T0_E_clISt17integral_constantIbLb1EES1F_EEDaS1A_S1B_EUlS1A_E_NS1_11comp_targetILNS1_3genE3ELNS1_11target_archE908ELNS1_3gpuE7ELNS1_3repE0EEENS1_30default_config_static_selectorELNS0_4arch9wavefront6targetE0EEEvT1_
		.amdhsa_group_segment_fixed_size 0
		.amdhsa_private_segment_fixed_size 0
		.amdhsa_kernarg_size 144
		.amdhsa_user_sgpr_count 2
		.amdhsa_user_sgpr_dispatch_ptr 0
		.amdhsa_user_sgpr_queue_ptr 0
		.amdhsa_user_sgpr_kernarg_segment_ptr 1
		.amdhsa_user_sgpr_dispatch_id 0
		.amdhsa_user_sgpr_private_segment_size 0
		.amdhsa_wavefront_size32 1
		.amdhsa_uses_dynamic_stack 0
		.amdhsa_enable_private_segment 0
		.amdhsa_system_sgpr_workgroup_id_x 1
		.amdhsa_system_sgpr_workgroup_id_y 0
		.amdhsa_system_sgpr_workgroup_id_z 0
		.amdhsa_system_sgpr_workgroup_info 0
		.amdhsa_system_vgpr_workitem_id 0
		.amdhsa_next_free_vgpr 1
		.amdhsa_next_free_sgpr 1
		.amdhsa_reserve_vcc 0
		.amdhsa_float_round_mode_32 0
		.amdhsa_float_round_mode_16_64 0
		.amdhsa_float_denorm_mode_32 3
		.amdhsa_float_denorm_mode_16_64 3
		.amdhsa_fp16_overflow 0
		.amdhsa_workgroup_processor_mode 1
		.amdhsa_memory_ordered 1
		.amdhsa_forward_progress 1
		.amdhsa_inst_pref_size 0
		.amdhsa_round_robin_scheduling 0
		.amdhsa_exception_fp_ieee_invalid_op 0
		.amdhsa_exception_fp_denorm_src 0
		.amdhsa_exception_fp_ieee_div_zero 0
		.amdhsa_exception_fp_ieee_overflow 0
		.amdhsa_exception_fp_ieee_underflow 0
		.amdhsa_exception_fp_ieee_inexact 0
		.amdhsa_exception_int_div_zero 0
	.end_amdhsa_kernel
	.section	.text._ZN7rocprim17ROCPRIM_400000_NS6detail17trampoline_kernelINS0_14default_configENS1_25partition_config_selectorILNS1_17partition_subalgoE5EjNS0_10empty_typeEbEEZZNS1_14partition_implILS5_5ELb0ES3_mN6thrust23THRUST_200600_302600_NS6detail15normal_iteratorINSA_10device_ptrIjEEEEPS6_NSA_18transform_iteratorINSB_9not_fun_tI7is_trueIjEEENSC_INSD_IbEEEENSA_11use_defaultESO_EENS0_5tupleIJNSA_16discard_iteratorISO_EES6_EEENSQ_IJSG_SG_EEES6_PlJS6_EEE10hipError_tPvRmT3_T4_T5_T6_T7_T9_mT8_P12ihipStream_tbDpT10_ENKUlT_T0_E_clISt17integral_constantIbLb1EES1F_EEDaS1A_S1B_EUlS1A_E_NS1_11comp_targetILNS1_3genE3ELNS1_11target_archE908ELNS1_3gpuE7ELNS1_3repE0EEENS1_30default_config_static_selectorELNS0_4arch9wavefront6targetE0EEEvT1_,"axG",@progbits,_ZN7rocprim17ROCPRIM_400000_NS6detail17trampoline_kernelINS0_14default_configENS1_25partition_config_selectorILNS1_17partition_subalgoE5EjNS0_10empty_typeEbEEZZNS1_14partition_implILS5_5ELb0ES3_mN6thrust23THRUST_200600_302600_NS6detail15normal_iteratorINSA_10device_ptrIjEEEEPS6_NSA_18transform_iteratorINSB_9not_fun_tI7is_trueIjEEENSC_INSD_IbEEEENSA_11use_defaultESO_EENS0_5tupleIJNSA_16discard_iteratorISO_EES6_EEENSQ_IJSG_SG_EEES6_PlJS6_EEE10hipError_tPvRmT3_T4_T5_T6_T7_T9_mT8_P12ihipStream_tbDpT10_ENKUlT_T0_E_clISt17integral_constantIbLb1EES1F_EEDaS1A_S1B_EUlS1A_E_NS1_11comp_targetILNS1_3genE3ELNS1_11target_archE908ELNS1_3gpuE7ELNS1_3repE0EEENS1_30default_config_static_selectorELNS0_4arch9wavefront6targetE0EEEvT1_,comdat
.Lfunc_end2696:
	.size	_ZN7rocprim17ROCPRIM_400000_NS6detail17trampoline_kernelINS0_14default_configENS1_25partition_config_selectorILNS1_17partition_subalgoE5EjNS0_10empty_typeEbEEZZNS1_14partition_implILS5_5ELb0ES3_mN6thrust23THRUST_200600_302600_NS6detail15normal_iteratorINSA_10device_ptrIjEEEEPS6_NSA_18transform_iteratorINSB_9not_fun_tI7is_trueIjEEENSC_INSD_IbEEEENSA_11use_defaultESO_EENS0_5tupleIJNSA_16discard_iteratorISO_EES6_EEENSQ_IJSG_SG_EEES6_PlJS6_EEE10hipError_tPvRmT3_T4_T5_T6_T7_T9_mT8_P12ihipStream_tbDpT10_ENKUlT_T0_E_clISt17integral_constantIbLb1EES1F_EEDaS1A_S1B_EUlS1A_E_NS1_11comp_targetILNS1_3genE3ELNS1_11target_archE908ELNS1_3gpuE7ELNS1_3repE0EEENS1_30default_config_static_selectorELNS0_4arch9wavefront6targetE0EEEvT1_, .Lfunc_end2696-_ZN7rocprim17ROCPRIM_400000_NS6detail17trampoline_kernelINS0_14default_configENS1_25partition_config_selectorILNS1_17partition_subalgoE5EjNS0_10empty_typeEbEEZZNS1_14partition_implILS5_5ELb0ES3_mN6thrust23THRUST_200600_302600_NS6detail15normal_iteratorINSA_10device_ptrIjEEEEPS6_NSA_18transform_iteratorINSB_9not_fun_tI7is_trueIjEEENSC_INSD_IbEEEENSA_11use_defaultESO_EENS0_5tupleIJNSA_16discard_iteratorISO_EES6_EEENSQ_IJSG_SG_EEES6_PlJS6_EEE10hipError_tPvRmT3_T4_T5_T6_T7_T9_mT8_P12ihipStream_tbDpT10_ENKUlT_T0_E_clISt17integral_constantIbLb1EES1F_EEDaS1A_S1B_EUlS1A_E_NS1_11comp_targetILNS1_3genE3ELNS1_11target_archE908ELNS1_3gpuE7ELNS1_3repE0EEENS1_30default_config_static_selectorELNS0_4arch9wavefront6targetE0EEEvT1_
                                        ; -- End function
	.set _ZN7rocprim17ROCPRIM_400000_NS6detail17trampoline_kernelINS0_14default_configENS1_25partition_config_selectorILNS1_17partition_subalgoE5EjNS0_10empty_typeEbEEZZNS1_14partition_implILS5_5ELb0ES3_mN6thrust23THRUST_200600_302600_NS6detail15normal_iteratorINSA_10device_ptrIjEEEEPS6_NSA_18transform_iteratorINSB_9not_fun_tI7is_trueIjEEENSC_INSD_IbEEEENSA_11use_defaultESO_EENS0_5tupleIJNSA_16discard_iteratorISO_EES6_EEENSQ_IJSG_SG_EEES6_PlJS6_EEE10hipError_tPvRmT3_T4_T5_T6_T7_T9_mT8_P12ihipStream_tbDpT10_ENKUlT_T0_E_clISt17integral_constantIbLb1EES1F_EEDaS1A_S1B_EUlS1A_E_NS1_11comp_targetILNS1_3genE3ELNS1_11target_archE908ELNS1_3gpuE7ELNS1_3repE0EEENS1_30default_config_static_selectorELNS0_4arch9wavefront6targetE0EEEvT1_.num_vgpr, 0
	.set _ZN7rocprim17ROCPRIM_400000_NS6detail17trampoline_kernelINS0_14default_configENS1_25partition_config_selectorILNS1_17partition_subalgoE5EjNS0_10empty_typeEbEEZZNS1_14partition_implILS5_5ELb0ES3_mN6thrust23THRUST_200600_302600_NS6detail15normal_iteratorINSA_10device_ptrIjEEEEPS6_NSA_18transform_iteratorINSB_9not_fun_tI7is_trueIjEEENSC_INSD_IbEEEENSA_11use_defaultESO_EENS0_5tupleIJNSA_16discard_iteratorISO_EES6_EEENSQ_IJSG_SG_EEES6_PlJS6_EEE10hipError_tPvRmT3_T4_T5_T6_T7_T9_mT8_P12ihipStream_tbDpT10_ENKUlT_T0_E_clISt17integral_constantIbLb1EES1F_EEDaS1A_S1B_EUlS1A_E_NS1_11comp_targetILNS1_3genE3ELNS1_11target_archE908ELNS1_3gpuE7ELNS1_3repE0EEENS1_30default_config_static_selectorELNS0_4arch9wavefront6targetE0EEEvT1_.num_agpr, 0
	.set _ZN7rocprim17ROCPRIM_400000_NS6detail17trampoline_kernelINS0_14default_configENS1_25partition_config_selectorILNS1_17partition_subalgoE5EjNS0_10empty_typeEbEEZZNS1_14partition_implILS5_5ELb0ES3_mN6thrust23THRUST_200600_302600_NS6detail15normal_iteratorINSA_10device_ptrIjEEEEPS6_NSA_18transform_iteratorINSB_9not_fun_tI7is_trueIjEEENSC_INSD_IbEEEENSA_11use_defaultESO_EENS0_5tupleIJNSA_16discard_iteratorISO_EES6_EEENSQ_IJSG_SG_EEES6_PlJS6_EEE10hipError_tPvRmT3_T4_T5_T6_T7_T9_mT8_P12ihipStream_tbDpT10_ENKUlT_T0_E_clISt17integral_constantIbLb1EES1F_EEDaS1A_S1B_EUlS1A_E_NS1_11comp_targetILNS1_3genE3ELNS1_11target_archE908ELNS1_3gpuE7ELNS1_3repE0EEENS1_30default_config_static_selectorELNS0_4arch9wavefront6targetE0EEEvT1_.numbered_sgpr, 0
	.set _ZN7rocprim17ROCPRIM_400000_NS6detail17trampoline_kernelINS0_14default_configENS1_25partition_config_selectorILNS1_17partition_subalgoE5EjNS0_10empty_typeEbEEZZNS1_14partition_implILS5_5ELb0ES3_mN6thrust23THRUST_200600_302600_NS6detail15normal_iteratorINSA_10device_ptrIjEEEEPS6_NSA_18transform_iteratorINSB_9not_fun_tI7is_trueIjEEENSC_INSD_IbEEEENSA_11use_defaultESO_EENS0_5tupleIJNSA_16discard_iteratorISO_EES6_EEENSQ_IJSG_SG_EEES6_PlJS6_EEE10hipError_tPvRmT3_T4_T5_T6_T7_T9_mT8_P12ihipStream_tbDpT10_ENKUlT_T0_E_clISt17integral_constantIbLb1EES1F_EEDaS1A_S1B_EUlS1A_E_NS1_11comp_targetILNS1_3genE3ELNS1_11target_archE908ELNS1_3gpuE7ELNS1_3repE0EEENS1_30default_config_static_selectorELNS0_4arch9wavefront6targetE0EEEvT1_.num_named_barrier, 0
	.set _ZN7rocprim17ROCPRIM_400000_NS6detail17trampoline_kernelINS0_14default_configENS1_25partition_config_selectorILNS1_17partition_subalgoE5EjNS0_10empty_typeEbEEZZNS1_14partition_implILS5_5ELb0ES3_mN6thrust23THRUST_200600_302600_NS6detail15normal_iteratorINSA_10device_ptrIjEEEEPS6_NSA_18transform_iteratorINSB_9not_fun_tI7is_trueIjEEENSC_INSD_IbEEEENSA_11use_defaultESO_EENS0_5tupleIJNSA_16discard_iteratorISO_EES6_EEENSQ_IJSG_SG_EEES6_PlJS6_EEE10hipError_tPvRmT3_T4_T5_T6_T7_T9_mT8_P12ihipStream_tbDpT10_ENKUlT_T0_E_clISt17integral_constantIbLb1EES1F_EEDaS1A_S1B_EUlS1A_E_NS1_11comp_targetILNS1_3genE3ELNS1_11target_archE908ELNS1_3gpuE7ELNS1_3repE0EEENS1_30default_config_static_selectorELNS0_4arch9wavefront6targetE0EEEvT1_.private_seg_size, 0
	.set _ZN7rocprim17ROCPRIM_400000_NS6detail17trampoline_kernelINS0_14default_configENS1_25partition_config_selectorILNS1_17partition_subalgoE5EjNS0_10empty_typeEbEEZZNS1_14partition_implILS5_5ELb0ES3_mN6thrust23THRUST_200600_302600_NS6detail15normal_iteratorINSA_10device_ptrIjEEEEPS6_NSA_18transform_iteratorINSB_9not_fun_tI7is_trueIjEEENSC_INSD_IbEEEENSA_11use_defaultESO_EENS0_5tupleIJNSA_16discard_iteratorISO_EES6_EEENSQ_IJSG_SG_EEES6_PlJS6_EEE10hipError_tPvRmT3_T4_T5_T6_T7_T9_mT8_P12ihipStream_tbDpT10_ENKUlT_T0_E_clISt17integral_constantIbLb1EES1F_EEDaS1A_S1B_EUlS1A_E_NS1_11comp_targetILNS1_3genE3ELNS1_11target_archE908ELNS1_3gpuE7ELNS1_3repE0EEENS1_30default_config_static_selectorELNS0_4arch9wavefront6targetE0EEEvT1_.uses_vcc, 0
	.set _ZN7rocprim17ROCPRIM_400000_NS6detail17trampoline_kernelINS0_14default_configENS1_25partition_config_selectorILNS1_17partition_subalgoE5EjNS0_10empty_typeEbEEZZNS1_14partition_implILS5_5ELb0ES3_mN6thrust23THRUST_200600_302600_NS6detail15normal_iteratorINSA_10device_ptrIjEEEEPS6_NSA_18transform_iteratorINSB_9not_fun_tI7is_trueIjEEENSC_INSD_IbEEEENSA_11use_defaultESO_EENS0_5tupleIJNSA_16discard_iteratorISO_EES6_EEENSQ_IJSG_SG_EEES6_PlJS6_EEE10hipError_tPvRmT3_T4_T5_T6_T7_T9_mT8_P12ihipStream_tbDpT10_ENKUlT_T0_E_clISt17integral_constantIbLb1EES1F_EEDaS1A_S1B_EUlS1A_E_NS1_11comp_targetILNS1_3genE3ELNS1_11target_archE908ELNS1_3gpuE7ELNS1_3repE0EEENS1_30default_config_static_selectorELNS0_4arch9wavefront6targetE0EEEvT1_.uses_flat_scratch, 0
	.set _ZN7rocprim17ROCPRIM_400000_NS6detail17trampoline_kernelINS0_14default_configENS1_25partition_config_selectorILNS1_17partition_subalgoE5EjNS0_10empty_typeEbEEZZNS1_14partition_implILS5_5ELb0ES3_mN6thrust23THRUST_200600_302600_NS6detail15normal_iteratorINSA_10device_ptrIjEEEEPS6_NSA_18transform_iteratorINSB_9not_fun_tI7is_trueIjEEENSC_INSD_IbEEEENSA_11use_defaultESO_EENS0_5tupleIJNSA_16discard_iteratorISO_EES6_EEENSQ_IJSG_SG_EEES6_PlJS6_EEE10hipError_tPvRmT3_T4_T5_T6_T7_T9_mT8_P12ihipStream_tbDpT10_ENKUlT_T0_E_clISt17integral_constantIbLb1EES1F_EEDaS1A_S1B_EUlS1A_E_NS1_11comp_targetILNS1_3genE3ELNS1_11target_archE908ELNS1_3gpuE7ELNS1_3repE0EEENS1_30default_config_static_selectorELNS0_4arch9wavefront6targetE0EEEvT1_.has_dyn_sized_stack, 0
	.set _ZN7rocprim17ROCPRIM_400000_NS6detail17trampoline_kernelINS0_14default_configENS1_25partition_config_selectorILNS1_17partition_subalgoE5EjNS0_10empty_typeEbEEZZNS1_14partition_implILS5_5ELb0ES3_mN6thrust23THRUST_200600_302600_NS6detail15normal_iteratorINSA_10device_ptrIjEEEEPS6_NSA_18transform_iteratorINSB_9not_fun_tI7is_trueIjEEENSC_INSD_IbEEEENSA_11use_defaultESO_EENS0_5tupleIJNSA_16discard_iteratorISO_EES6_EEENSQ_IJSG_SG_EEES6_PlJS6_EEE10hipError_tPvRmT3_T4_T5_T6_T7_T9_mT8_P12ihipStream_tbDpT10_ENKUlT_T0_E_clISt17integral_constantIbLb1EES1F_EEDaS1A_S1B_EUlS1A_E_NS1_11comp_targetILNS1_3genE3ELNS1_11target_archE908ELNS1_3gpuE7ELNS1_3repE0EEENS1_30default_config_static_selectorELNS0_4arch9wavefront6targetE0EEEvT1_.has_recursion, 0
	.set _ZN7rocprim17ROCPRIM_400000_NS6detail17trampoline_kernelINS0_14default_configENS1_25partition_config_selectorILNS1_17partition_subalgoE5EjNS0_10empty_typeEbEEZZNS1_14partition_implILS5_5ELb0ES3_mN6thrust23THRUST_200600_302600_NS6detail15normal_iteratorINSA_10device_ptrIjEEEEPS6_NSA_18transform_iteratorINSB_9not_fun_tI7is_trueIjEEENSC_INSD_IbEEEENSA_11use_defaultESO_EENS0_5tupleIJNSA_16discard_iteratorISO_EES6_EEENSQ_IJSG_SG_EEES6_PlJS6_EEE10hipError_tPvRmT3_T4_T5_T6_T7_T9_mT8_P12ihipStream_tbDpT10_ENKUlT_T0_E_clISt17integral_constantIbLb1EES1F_EEDaS1A_S1B_EUlS1A_E_NS1_11comp_targetILNS1_3genE3ELNS1_11target_archE908ELNS1_3gpuE7ELNS1_3repE0EEENS1_30default_config_static_selectorELNS0_4arch9wavefront6targetE0EEEvT1_.has_indirect_call, 0
	.section	.AMDGPU.csdata,"",@progbits
; Kernel info:
; codeLenInByte = 0
; TotalNumSgprs: 0
; NumVgprs: 0
; ScratchSize: 0
; MemoryBound: 0
; FloatMode: 240
; IeeeMode: 1
; LDSByteSize: 0 bytes/workgroup (compile time only)
; SGPRBlocks: 0
; VGPRBlocks: 0
; NumSGPRsForWavesPerEU: 1
; NumVGPRsForWavesPerEU: 1
; Occupancy: 16
; WaveLimiterHint : 0
; COMPUTE_PGM_RSRC2:SCRATCH_EN: 0
; COMPUTE_PGM_RSRC2:USER_SGPR: 2
; COMPUTE_PGM_RSRC2:TRAP_HANDLER: 0
; COMPUTE_PGM_RSRC2:TGID_X_EN: 1
; COMPUTE_PGM_RSRC2:TGID_Y_EN: 0
; COMPUTE_PGM_RSRC2:TGID_Z_EN: 0
; COMPUTE_PGM_RSRC2:TIDIG_COMP_CNT: 0
	.section	.text._ZN7rocprim17ROCPRIM_400000_NS6detail17trampoline_kernelINS0_14default_configENS1_25partition_config_selectorILNS1_17partition_subalgoE5EjNS0_10empty_typeEbEEZZNS1_14partition_implILS5_5ELb0ES3_mN6thrust23THRUST_200600_302600_NS6detail15normal_iteratorINSA_10device_ptrIjEEEEPS6_NSA_18transform_iteratorINSB_9not_fun_tI7is_trueIjEEENSC_INSD_IbEEEENSA_11use_defaultESO_EENS0_5tupleIJNSA_16discard_iteratorISO_EES6_EEENSQ_IJSG_SG_EEES6_PlJS6_EEE10hipError_tPvRmT3_T4_T5_T6_T7_T9_mT8_P12ihipStream_tbDpT10_ENKUlT_T0_E_clISt17integral_constantIbLb1EES1F_EEDaS1A_S1B_EUlS1A_E_NS1_11comp_targetILNS1_3genE2ELNS1_11target_archE906ELNS1_3gpuE6ELNS1_3repE0EEENS1_30default_config_static_selectorELNS0_4arch9wavefront6targetE0EEEvT1_,"axG",@progbits,_ZN7rocprim17ROCPRIM_400000_NS6detail17trampoline_kernelINS0_14default_configENS1_25partition_config_selectorILNS1_17partition_subalgoE5EjNS0_10empty_typeEbEEZZNS1_14partition_implILS5_5ELb0ES3_mN6thrust23THRUST_200600_302600_NS6detail15normal_iteratorINSA_10device_ptrIjEEEEPS6_NSA_18transform_iteratorINSB_9not_fun_tI7is_trueIjEEENSC_INSD_IbEEEENSA_11use_defaultESO_EENS0_5tupleIJNSA_16discard_iteratorISO_EES6_EEENSQ_IJSG_SG_EEES6_PlJS6_EEE10hipError_tPvRmT3_T4_T5_T6_T7_T9_mT8_P12ihipStream_tbDpT10_ENKUlT_T0_E_clISt17integral_constantIbLb1EES1F_EEDaS1A_S1B_EUlS1A_E_NS1_11comp_targetILNS1_3genE2ELNS1_11target_archE906ELNS1_3gpuE6ELNS1_3repE0EEENS1_30default_config_static_selectorELNS0_4arch9wavefront6targetE0EEEvT1_,comdat
	.protected	_ZN7rocprim17ROCPRIM_400000_NS6detail17trampoline_kernelINS0_14default_configENS1_25partition_config_selectorILNS1_17partition_subalgoE5EjNS0_10empty_typeEbEEZZNS1_14partition_implILS5_5ELb0ES3_mN6thrust23THRUST_200600_302600_NS6detail15normal_iteratorINSA_10device_ptrIjEEEEPS6_NSA_18transform_iteratorINSB_9not_fun_tI7is_trueIjEEENSC_INSD_IbEEEENSA_11use_defaultESO_EENS0_5tupleIJNSA_16discard_iteratorISO_EES6_EEENSQ_IJSG_SG_EEES6_PlJS6_EEE10hipError_tPvRmT3_T4_T5_T6_T7_T9_mT8_P12ihipStream_tbDpT10_ENKUlT_T0_E_clISt17integral_constantIbLb1EES1F_EEDaS1A_S1B_EUlS1A_E_NS1_11comp_targetILNS1_3genE2ELNS1_11target_archE906ELNS1_3gpuE6ELNS1_3repE0EEENS1_30default_config_static_selectorELNS0_4arch9wavefront6targetE0EEEvT1_ ; -- Begin function _ZN7rocprim17ROCPRIM_400000_NS6detail17trampoline_kernelINS0_14default_configENS1_25partition_config_selectorILNS1_17partition_subalgoE5EjNS0_10empty_typeEbEEZZNS1_14partition_implILS5_5ELb0ES3_mN6thrust23THRUST_200600_302600_NS6detail15normal_iteratorINSA_10device_ptrIjEEEEPS6_NSA_18transform_iteratorINSB_9not_fun_tI7is_trueIjEEENSC_INSD_IbEEEENSA_11use_defaultESO_EENS0_5tupleIJNSA_16discard_iteratorISO_EES6_EEENSQ_IJSG_SG_EEES6_PlJS6_EEE10hipError_tPvRmT3_T4_T5_T6_T7_T9_mT8_P12ihipStream_tbDpT10_ENKUlT_T0_E_clISt17integral_constantIbLb1EES1F_EEDaS1A_S1B_EUlS1A_E_NS1_11comp_targetILNS1_3genE2ELNS1_11target_archE906ELNS1_3gpuE6ELNS1_3repE0EEENS1_30default_config_static_selectorELNS0_4arch9wavefront6targetE0EEEvT1_
	.globl	_ZN7rocprim17ROCPRIM_400000_NS6detail17trampoline_kernelINS0_14default_configENS1_25partition_config_selectorILNS1_17partition_subalgoE5EjNS0_10empty_typeEbEEZZNS1_14partition_implILS5_5ELb0ES3_mN6thrust23THRUST_200600_302600_NS6detail15normal_iteratorINSA_10device_ptrIjEEEEPS6_NSA_18transform_iteratorINSB_9not_fun_tI7is_trueIjEEENSC_INSD_IbEEEENSA_11use_defaultESO_EENS0_5tupleIJNSA_16discard_iteratorISO_EES6_EEENSQ_IJSG_SG_EEES6_PlJS6_EEE10hipError_tPvRmT3_T4_T5_T6_T7_T9_mT8_P12ihipStream_tbDpT10_ENKUlT_T0_E_clISt17integral_constantIbLb1EES1F_EEDaS1A_S1B_EUlS1A_E_NS1_11comp_targetILNS1_3genE2ELNS1_11target_archE906ELNS1_3gpuE6ELNS1_3repE0EEENS1_30default_config_static_selectorELNS0_4arch9wavefront6targetE0EEEvT1_
	.p2align	8
	.type	_ZN7rocprim17ROCPRIM_400000_NS6detail17trampoline_kernelINS0_14default_configENS1_25partition_config_selectorILNS1_17partition_subalgoE5EjNS0_10empty_typeEbEEZZNS1_14partition_implILS5_5ELb0ES3_mN6thrust23THRUST_200600_302600_NS6detail15normal_iteratorINSA_10device_ptrIjEEEEPS6_NSA_18transform_iteratorINSB_9not_fun_tI7is_trueIjEEENSC_INSD_IbEEEENSA_11use_defaultESO_EENS0_5tupleIJNSA_16discard_iteratorISO_EES6_EEENSQ_IJSG_SG_EEES6_PlJS6_EEE10hipError_tPvRmT3_T4_T5_T6_T7_T9_mT8_P12ihipStream_tbDpT10_ENKUlT_T0_E_clISt17integral_constantIbLb1EES1F_EEDaS1A_S1B_EUlS1A_E_NS1_11comp_targetILNS1_3genE2ELNS1_11target_archE906ELNS1_3gpuE6ELNS1_3repE0EEENS1_30default_config_static_selectorELNS0_4arch9wavefront6targetE0EEEvT1_,@function
_ZN7rocprim17ROCPRIM_400000_NS6detail17trampoline_kernelINS0_14default_configENS1_25partition_config_selectorILNS1_17partition_subalgoE5EjNS0_10empty_typeEbEEZZNS1_14partition_implILS5_5ELb0ES3_mN6thrust23THRUST_200600_302600_NS6detail15normal_iteratorINSA_10device_ptrIjEEEEPS6_NSA_18transform_iteratorINSB_9not_fun_tI7is_trueIjEEENSC_INSD_IbEEEENSA_11use_defaultESO_EENS0_5tupleIJNSA_16discard_iteratorISO_EES6_EEENSQ_IJSG_SG_EEES6_PlJS6_EEE10hipError_tPvRmT3_T4_T5_T6_T7_T9_mT8_P12ihipStream_tbDpT10_ENKUlT_T0_E_clISt17integral_constantIbLb1EES1F_EEDaS1A_S1B_EUlS1A_E_NS1_11comp_targetILNS1_3genE2ELNS1_11target_archE906ELNS1_3gpuE6ELNS1_3repE0EEENS1_30default_config_static_selectorELNS0_4arch9wavefront6targetE0EEEvT1_: ; @_ZN7rocprim17ROCPRIM_400000_NS6detail17trampoline_kernelINS0_14default_configENS1_25partition_config_selectorILNS1_17partition_subalgoE5EjNS0_10empty_typeEbEEZZNS1_14partition_implILS5_5ELb0ES3_mN6thrust23THRUST_200600_302600_NS6detail15normal_iteratorINSA_10device_ptrIjEEEEPS6_NSA_18transform_iteratorINSB_9not_fun_tI7is_trueIjEEENSC_INSD_IbEEEENSA_11use_defaultESO_EENS0_5tupleIJNSA_16discard_iteratorISO_EES6_EEENSQ_IJSG_SG_EEES6_PlJS6_EEE10hipError_tPvRmT3_T4_T5_T6_T7_T9_mT8_P12ihipStream_tbDpT10_ENKUlT_T0_E_clISt17integral_constantIbLb1EES1F_EEDaS1A_S1B_EUlS1A_E_NS1_11comp_targetILNS1_3genE2ELNS1_11target_archE906ELNS1_3gpuE6ELNS1_3repE0EEENS1_30default_config_static_selectorELNS0_4arch9wavefront6targetE0EEEvT1_
; %bb.0:
	.section	.rodata,"a",@progbits
	.p2align	6, 0x0
	.amdhsa_kernel _ZN7rocprim17ROCPRIM_400000_NS6detail17trampoline_kernelINS0_14default_configENS1_25partition_config_selectorILNS1_17partition_subalgoE5EjNS0_10empty_typeEbEEZZNS1_14partition_implILS5_5ELb0ES3_mN6thrust23THRUST_200600_302600_NS6detail15normal_iteratorINSA_10device_ptrIjEEEEPS6_NSA_18transform_iteratorINSB_9not_fun_tI7is_trueIjEEENSC_INSD_IbEEEENSA_11use_defaultESO_EENS0_5tupleIJNSA_16discard_iteratorISO_EES6_EEENSQ_IJSG_SG_EEES6_PlJS6_EEE10hipError_tPvRmT3_T4_T5_T6_T7_T9_mT8_P12ihipStream_tbDpT10_ENKUlT_T0_E_clISt17integral_constantIbLb1EES1F_EEDaS1A_S1B_EUlS1A_E_NS1_11comp_targetILNS1_3genE2ELNS1_11target_archE906ELNS1_3gpuE6ELNS1_3repE0EEENS1_30default_config_static_selectorELNS0_4arch9wavefront6targetE0EEEvT1_
		.amdhsa_group_segment_fixed_size 0
		.amdhsa_private_segment_fixed_size 0
		.amdhsa_kernarg_size 144
		.amdhsa_user_sgpr_count 2
		.amdhsa_user_sgpr_dispatch_ptr 0
		.amdhsa_user_sgpr_queue_ptr 0
		.amdhsa_user_sgpr_kernarg_segment_ptr 1
		.amdhsa_user_sgpr_dispatch_id 0
		.amdhsa_user_sgpr_private_segment_size 0
		.amdhsa_wavefront_size32 1
		.amdhsa_uses_dynamic_stack 0
		.amdhsa_enable_private_segment 0
		.amdhsa_system_sgpr_workgroup_id_x 1
		.amdhsa_system_sgpr_workgroup_id_y 0
		.amdhsa_system_sgpr_workgroup_id_z 0
		.amdhsa_system_sgpr_workgroup_info 0
		.amdhsa_system_vgpr_workitem_id 0
		.amdhsa_next_free_vgpr 1
		.amdhsa_next_free_sgpr 1
		.amdhsa_reserve_vcc 0
		.amdhsa_float_round_mode_32 0
		.amdhsa_float_round_mode_16_64 0
		.amdhsa_float_denorm_mode_32 3
		.amdhsa_float_denorm_mode_16_64 3
		.amdhsa_fp16_overflow 0
		.amdhsa_workgroup_processor_mode 1
		.amdhsa_memory_ordered 1
		.amdhsa_forward_progress 1
		.amdhsa_inst_pref_size 0
		.amdhsa_round_robin_scheduling 0
		.amdhsa_exception_fp_ieee_invalid_op 0
		.amdhsa_exception_fp_denorm_src 0
		.amdhsa_exception_fp_ieee_div_zero 0
		.amdhsa_exception_fp_ieee_overflow 0
		.amdhsa_exception_fp_ieee_underflow 0
		.amdhsa_exception_fp_ieee_inexact 0
		.amdhsa_exception_int_div_zero 0
	.end_amdhsa_kernel
	.section	.text._ZN7rocprim17ROCPRIM_400000_NS6detail17trampoline_kernelINS0_14default_configENS1_25partition_config_selectorILNS1_17partition_subalgoE5EjNS0_10empty_typeEbEEZZNS1_14partition_implILS5_5ELb0ES3_mN6thrust23THRUST_200600_302600_NS6detail15normal_iteratorINSA_10device_ptrIjEEEEPS6_NSA_18transform_iteratorINSB_9not_fun_tI7is_trueIjEEENSC_INSD_IbEEEENSA_11use_defaultESO_EENS0_5tupleIJNSA_16discard_iteratorISO_EES6_EEENSQ_IJSG_SG_EEES6_PlJS6_EEE10hipError_tPvRmT3_T4_T5_T6_T7_T9_mT8_P12ihipStream_tbDpT10_ENKUlT_T0_E_clISt17integral_constantIbLb1EES1F_EEDaS1A_S1B_EUlS1A_E_NS1_11comp_targetILNS1_3genE2ELNS1_11target_archE906ELNS1_3gpuE6ELNS1_3repE0EEENS1_30default_config_static_selectorELNS0_4arch9wavefront6targetE0EEEvT1_,"axG",@progbits,_ZN7rocprim17ROCPRIM_400000_NS6detail17trampoline_kernelINS0_14default_configENS1_25partition_config_selectorILNS1_17partition_subalgoE5EjNS0_10empty_typeEbEEZZNS1_14partition_implILS5_5ELb0ES3_mN6thrust23THRUST_200600_302600_NS6detail15normal_iteratorINSA_10device_ptrIjEEEEPS6_NSA_18transform_iteratorINSB_9not_fun_tI7is_trueIjEEENSC_INSD_IbEEEENSA_11use_defaultESO_EENS0_5tupleIJNSA_16discard_iteratorISO_EES6_EEENSQ_IJSG_SG_EEES6_PlJS6_EEE10hipError_tPvRmT3_T4_T5_T6_T7_T9_mT8_P12ihipStream_tbDpT10_ENKUlT_T0_E_clISt17integral_constantIbLb1EES1F_EEDaS1A_S1B_EUlS1A_E_NS1_11comp_targetILNS1_3genE2ELNS1_11target_archE906ELNS1_3gpuE6ELNS1_3repE0EEENS1_30default_config_static_selectorELNS0_4arch9wavefront6targetE0EEEvT1_,comdat
.Lfunc_end2697:
	.size	_ZN7rocprim17ROCPRIM_400000_NS6detail17trampoline_kernelINS0_14default_configENS1_25partition_config_selectorILNS1_17partition_subalgoE5EjNS0_10empty_typeEbEEZZNS1_14partition_implILS5_5ELb0ES3_mN6thrust23THRUST_200600_302600_NS6detail15normal_iteratorINSA_10device_ptrIjEEEEPS6_NSA_18transform_iteratorINSB_9not_fun_tI7is_trueIjEEENSC_INSD_IbEEEENSA_11use_defaultESO_EENS0_5tupleIJNSA_16discard_iteratorISO_EES6_EEENSQ_IJSG_SG_EEES6_PlJS6_EEE10hipError_tPvRmT3_T4_T5_T6_T7_T9_mT8_P12ihipStream_tbDpT10_ENKUlT_T0_E_clISt17integral_constantIbLb1EES1F_EEDaS1A_S1B_EUlS1A_E_NS1_11comp_targetILNS1_3genE2ELNS1_11target_archE906ELNS1_3gpuE6ELNS1_3repE0EEENS1_30default_config_static_selectorELNS0_4arch9wavefront6targetE0EEEvT1_, .Lfunc_end2697-_ZN7rocprim17ROCPRIM_400000_NS6detail17trampoline_kernelINS0_14default_configENS1_25partition_config_selectorILNS1_17partition_subalgoE5EjNS0_10empty_typeEbEEZZNS1_14partition_implILS5_5ELb0ES3_mN6thrust23THRUST_200600_302600_NS6detail15normal_iteratorINSA_10device_ptrIjEEEEPS6_NSA_18transform_iteratorINSB_9not_fun_tI7is_trueIjEEENSC_INSD_IbEEEENSA_11use_defaultESO_EENS0_5tupleIJNSA_16discard_iteratorISO_EES6_EEENSQ_IJSG_SG_EEES6_PlJS6_EEE10hipError_tPvRmT3_T4_T5_T6_T7_T9_mT8_P12ihipStream_tbDpT10_ENKUlT_T0_E_clISt17integral_constantIbLb1EES1F_EEDaS1A_S1B_EUlS1A_E_NS1_11comp_targetILNS1_3genE2ELNS1_11target_archE906ELNS1_3gpuE6ELNS1_3repE0EEENS1_30default_config_static_selectorELNS0_4arch9wavefront6targetE0EEEvT1_
                                        ; -- End function
	.set _ZN7rocprim17ROCPRIM_400000_NS6detail17trampoline_kernelINS0_14default_configENS1_25partition_config_selectorILNS1_17partition_subalgoE5EjNS0_10empty_typeEbEEZZNS1_14partition_implILS5_5ELb0ES3_mN6thrust23THRUST_200600_302600_NS6detail15normal_iteratorINSA_10device_ptrIjEEEEPS6_NSA_18transform_iteratorINSB_9not_fun_tI7is_trueIjEEENSC_INSD_IbEEEENSA_11use_defaultESO_EENS0_5tupleIJNSA_16discard_iteratorISO_EES6_EEENSQ_IJSG_SG_EEES6_PlJS6_EEE10hipError_tPvRmT3_T4_T5_T6_T7_T9_mT8_P12ihipStream_tbDpT10_ENKUlT_T0_E_clISt17integral_constantIbLb1EES1F_EEDaS1A_S1B_EUlS1A_E_NS1_11comp_targetILNS1_3genE2ELNS1_11target_archE906ELNS1_3gpuE6ELNS1_3repE0EEENS1_30default_config_static_selectorELNS0_4arch9wavefront6targetE0EEEvT1_.num_vgpr, 0
	.set _ZN7rocprim17ROCPRIM_400000_NS6detail17trampoline_kernelINS0_14default_configENS1_25partition_config_selectorILNS1_17partition_subalgoE5EjNS0_10empty_typeEbEEZZNS1_14partition_implILS5_5ELb0ES3_mN6thrust23THRUST_200600_302600_NS6detail15normal_iteratorINSA_10device_ptrIjEEEEPS6_NSA_18transform_iteratorINSB_9not_fun_tI7is_trueIjEEENSC_INSD_IbEEEENSA_11use_defaultESO_EENS0_5tupleIJNSA_16discard_iteratorISO_EES6_EEENSQ_IJSG_SG_EEES6_PlJS6_EEE10hipError_tPvRmT3_T4_T5_T6_T7_T9_mT8_P12ihipStream_tbDpT10_ENKUlT_T0_E_clISt17integral_constantIbLb1EES1F_EEDaS1A_S1B_EUlS1A_E_NS1_11comp_targetILNS1_3genE2ELNS1_11target_archE906ELNS1_3gpuE6ELNS1_3repE0EEENS1_30default_config_static_selectorELNS0_4arch9wavefront6targetE0EEEvT1_.num_agpr, 0
	.set _ZN7rocprim17ROCPRIM_400000_NS6detail17trampoline_kernelINS0_14default_configENS1_25partition_config_selectorILNS1_17partition_subalgoE5EjNS0_10empty_typeEbEEZZNS1_14partition_implILS5_5ELb0ES3_mN6thrust23THRUST_200600_302600_NS6detail15normal_iteratorINSA_10device_ptrIjEEEEPS6_NSA_18transform_iteratorINSB_9not_fun_tI7is_trueIjEEENSC_INSD_IbEEEENSA_11use_defaultESO_EENS0_5tupleIJNSA_16discard_iteratorISO_EES6_EEENSQ_IJSG_SG_EEES6_PlJS6_EEE10hipError_tPvRmT3_T4_T5_T6_T7_T9_mT8_P12ihipStream_tbDpT10_ENKUlT_T0_E_clISt17integral_constantIbLb1EES1F_EEDaS1A_S1B_EUlS1A_E_NS1_11comp_targetILNS1_3genE2ELNS1_11target_archE906ELNS1_3gpuE6ELNS1_3repE0EEENS1_30default_config_static_selectorELNS0_4arch9wavefront6targetE0EEEvT1_.numbered_sgpr, 0
	.set _ZN7rocprim17ROCPRIM_400000_NS6detail17trampoline_kernelINS0_14default_configENS1_25partition_config_selectorILNS1_17partition_subalgoE5EjNS0_10empty_typeEbEEZZNS1_14partition_implILS5_5ELb0ES3_mN6thrust23THRUST_200600_302600_NS6detail15normal_iteratorINSA_10device_ptrIjEEEEPS6_NSA_18transform_iteratorINSB_9not_fun_tI7is_trueIjEEENSC_INSD_IbEEEENSA_11use_defaultESO_EENS0_5tupleIJNSA_16discard_iteratorISO_EES6_EEENSQ_IJSG_SG_EEES6_PlJS6_EEE10hipError_tPvRmT3_T4_T5_T6_T7_T9_mT8_P12ihipStream_tbDpT10_ENKUlT_T0_E_clISt17integral_constantIbLb1EES1F_EEDaS1A_S1B_EUlS1A_E_NS1_11comp_targetILNS1_3genE2ELNS1_11target_archE906ELNS1_3gpuE6ELNS1_3repE0EEENS1_30default_config_static_selectorELNS0_4arch9wavefront6targetE0EEEvT1_.num_named_barrier, 0
	.set _ZN7rocprim17ROCPRIM_400000_NS6detail17trampoline_kernelINS0_14default_configENS1_25partition_config_selectorILNS1_17partition_subalgoE5EjNS0_10empty_typeEbEEZZNS1_14partition_implILS5_5ELb0ES3_mN6thrust23THRUST_200600_302600_NS6detail15normal_iteratorINSA_10device_ptrIjEEEEPS6_NSA_18transform_iteratorINSB_9not_fun_tI7is_trueIjEEENSC_INSD_IbEEEENSA_11use_defaultESO_EENS0_5tupleIJNSA_16discard_iteratorISO_EES6_EEENSQ_IJSG_SG_EEES6_PlJS6_EEE10hipError_tPvRmT3_T4_T5_T6_T7_T9_mT8_P12ihipStream_tbDpT10_ENKUlT_T0_E_clISt17integral_constantIbLb1EES1F_EEDaS1A_S1B_EUlS1A_E_NS1_11comp_targetILNS1_3genE2ELNS1_11target_archE906ELNS1_3gpuE6ELNS1_3repE0EEENS1_30default_config_static_selectorELNS0_4arch9wavefront6targetE0EEEvT1_.private_seg_size, 0
	.set _ZN7rocprim17ROCPRIM_400000_NS6detail17trampoline_kernelINS0_14default_configENS1_25partition_config_selectorILNS1_17partition_subalgoE5EjNS0_10empty_typeEbEEZZNS1_14partition_implILS5_5ELb0ES3_mN6thrust23THRUST_200600_302600_NS6detail15normal_iteratorINSA_10device_ptrIjEEEEPS6_NSA_18transform_iteratorINSB_9not_fun_tI7is_trueIjEEENSC_INSD_IbEEEENSA_11use_defaultESO_EENS0_5tupleIJNSA_16discard_iteratorISO_EES6_EEENSQ_IJSG_SG_EEES6_PlJS6_EEE10hipError_tPvRmT3_T4_T5_T6_T7_T9_mT8_P12ihipStream_tbDpT10_ENKUlT_T0_E_clISt17integral_constantIbLb1EES1F_EEDaS1A_S1B_EUlS1A_E_NS1_11comp_targetILNS1_3genE2ELNS1_11target_archE906ELNS1_3gpuE6ELNS1_3repE0EEENS1_30default_config_static_selectorELNS0_4arch9wavefront6targetE0EEEvT1_.uses_vcc, 0
	.set _ZN7rocprim17ROCPRIM_400000_NS6detail17trampoline_kernelINS0_14default_configENS1_25partition_config_selectorILNS1_17partition_subalgoE5EjNS0_10empty_typeEbEEZZNS1_14partition_implILS5_5ELb0ES3_mN6thrust23THRUST_200600_302600_NS6detail15normal_iteratorINSA_10device_ptrIjEEEEPS6_NSA_18transform_iteratorINSB_9not_fun_tI7is_trueIjEEENSC_INSD_IbEEEENSA_11use_defaultESO_EENS0_5tupleIJNSA_16discard_iteratorISO_EES6_EEENSQ_IJSG_SG_EEES6_PlJS6_EEE10hipError_tPvRmT3_T4_T5_T6_T7_T9_mT8_P12ihipStream_tbDpT10_ENKUlT_T0_E_clISt17integral_constantIbLb1EES1F_EEDaS1A_S1B_EUlS1A_E_NS1_11comp_targetILNS1_3genE2ELNS1_11target_archE906ELNS1_3gpuE6ELNS1_3repE0EEENS1_30default_config_static_selectorELNS0_4arch9wavefront6targetE0EEEvT1_.uses_flat_scratch, 0
	.set _ZN7rocprim17ROCPRIM_400000_NS6detail17trampoline_kernelINS0_14default_configENS1_25partition_config_selectorILNS1_17partition_subalgoE5EjNS0_10empty_typeEbEEZZNS1_14partition_implILS5_5ELb0ES3_mN6thrust23THRUST_200600_302600_NS6detail15normal_iteratorINSA_10device_ptrIjEEEEPS6_NSA_18transform_iteratorINSB_9not_fun_tI7is_trueIjEEENSC_INSD_IbEEEENSA_11use_defaultESO_EENS0_5tupleIJNSA_16discard_iteratorISO_EES6_EEENSQ_IJSG_SG_EEES6_PlJS6_EEE10hipError_tPvRmT3_T4_T5_T6_T7_T9_mT8_P12ihipStream_tbDpT10_ENKUlT_T0_E_clISt17integral_constantIbLb1EES1F_EEDaS1A_S1B_EUlS1A_E_NS1_11comp_targetILNS1_3genE2ELNS1_11target_archE906ELNS1_3gpuE6ELNS1_3repE0EEENS1_30default_config_static_selectorELNS0_4arch9wavefront6targetE0EEEvT1_.has_dyn_sized_stack, 0
	.set _ZN7rocprim17ROCPRIM_400000_NS6detail17trampoline_kernelINS0_14default_configENS1_25partition_config_selectorILNS1_17partition_subalgoE5EjNS0_10empty_typeEbEEZZNS1_14partition_implILS5_5ELb0ES3_mN6thrust23THRUST_200600_302600_NS6detail15normal_iteratorINSA_10device_ptrIjEEEEPS6_NSA_18transform_iteratorINSB_9not_fun_tI7is_trueIjEEENSC_INSD_IbEEEENSA_11use_defaultESO_EENS0_5tupleIJNSA_16discard_iteratorISO_EES6_EEENSQ_IJSG_SG_EEES6_PlJS6_EEE10hipError_tPvRmT3_T4_T5_T6_T7_T9_mT8_P12ihipStream_tbDpT10_ENKUlT_T0_E_clISt17integral_constantIbLb1EES1F_EEDaS1A_S1B_EUlS1A_E_NS1_11comp_targetILNS1_3genE2ELNS1_11target_archE906ELNS1_3gpuE6ELNS1_3repE0EEENS1_30default_config_static_selectorELNS0_4arch9wavefront6targetE0EEEvT1_.has_recursion, 0
	.set _ZN7rocprim17ROCPRIM_400000_NS6detail17trampoline_kernelINS0_14default_configENS1_25partition_config_selectorILNS1_17partition_subalgoE5EjNS0_10empty_typeEbEEZZNS1_14partition_implILS5_5ELb0ES3_mN6thrust23THRUST_200600_302600_NS6detail15normal_iteratorINSA_10device_ptrIjEEEEPS6_NSA_18transform_iteratorINSB_9not_fun_tI7is_trueIjEEENSC_INSD_IbEEEENSA_11use_defaultESO_EENS0_5tupleIJNSA_16discard_iteratorISO_EES6_EEENSQ_IJSG_SG_EEES6_PlJS6_EEE10hipError_tPvRmT3_T4_T5_T6_T7_T9_mT8_P12ihipStream_tbDpT10_ENKUlT_T0_E_clISt17integral_constantIbLb1EES1F_EEDaS1A_S1B_EUlS1A_E_NS1_11comp_targetILNS1_3genE2ELNS1_11target_archE906ELNS1_3gpuE6ELNS1_3repE0EEENS1_30default_config_static_selectorELNS0_4arch9wavefront6targetE0EEEvT1_.has_indirect_call, 0
	.section	.AMDGPU.csdata,"",@progbits
; Kernel info:
; codeLenInByte = 0
; TotalNumSgprs: 0
; NumVgprs: 0
; ScratchSize: 0
; MemoryBound: 0
; FloatMode: 240
; IeeeMode: 1
; LDSByteSize: 0 bytes/workgroup (compile time only)
; SGPRBlocks: 0
; VGPRBlocks: 0
; NumSGPRsForWavesPerEU: 1
; NumVGPRsForWavesPerEU: 1
; Occupancy: 16
; WaveLimiterHint : 0
; COMPUTE_PGM_RSRC2:SCRATCH_EN: 0
; COMPUTE_PGM_RSRC2:USER_SGPR: 2
; COMPUTE_PGM_RSRC2:TRAP_HANDLER: 0
; COMPUTE_PGM_RSRC2:TGID_X_EN: 1
; COMPUTE_PGM_RSRC2:TGID_Y_EN: 0
; COMPUTE_PGM_RSRC2:TGID_Z_EN: 0
; COMPUTE_PGM_RSRC2:TIDIG_COMP_CNT: 0
	.section	.text._ZN7rocprim17ROCPRIM_400000_NS6detail17trampoline_kernelINS0_14default_configENS1_25partition_config_selectorILNS1_17partition_subalgoE5EjNS0_10empty_typeEbEEZZNS1_14partition_implILS5_5ELb0ES3_mN6thrust23THRUST_200600_302600_NS6detail15normal_iteratorINSA_10device_ptrIjEEEEPS6_NSA_18transform_iteratorINSB_9not_fun_tI7is_trueIjEEENSC_INSD_IbEEEENSA_11use_defaultESO_EENS0_5tupleIJNSA_16discard_iteratorISO_EES6_EEENSQ_IJSG_SG_EEES6_PlJS6_EEE10hipError_tPvRmT3_T4_T5_T6_T7_T9_mT8_P12ihipStream_tbDpT10_ENKUlT_T0_E_clISt17integral_constantIbLb1EES1F_EEDaS1A_S1B_EUlS1A_E_NS1_11comp_targetILNS1_3genE10ELNS1_11target_archE1200ELNS1_3gpuE4ELNS1_3repE0EEENS1_30default_config_static_selectorELNS0_4arch9wavefront6targetE0EEEvT1_,"axG",@progbits,_ZN7rocprim17ROCPRIM_400000_NS6detail17trampoline_kernelINS0_14default_configENS1_25partition_config_selectorILNS1_17partition_subalgoE5EjNS0_10empty_typeEbEEZZNS1_14partition_implILS5_5ELb0ES3_mN6thrust23THRUST_200600_302600_NS6detail15normal_iteratorINSA_10device_ptrIjEEEEPS6_NSA_18transform_iteratorINSB_9not_fun_tI7is_trueIjEEENSC_INSD_IbEEEENSA_11use_defaultESO_EENS0_5tupleIJNSA_16discard_iteratorISO_EES6_EEENSQ_IJSG_SG_EEES6_PlJS6_EEE10hipError_tPvRmT3_T4_T5_T6_T7_T9_mT8_P12ihipStream_tbDpT10_ENKUlT_T0_E_clISt17integral_constantIbLb1EES1F_EEDaS1A_S1B_EUlS1A_E_NS1_11comp_targetILNS1_3genE10ELNS1_11target_archE1200ELNS1_3gpuE4ELNS1_3repE0EEENS1_30default_config_static_selectorELNS0_4arch9wavefront6targetE0EEEvT1_,comdat
	.protected	_ZN7rocprim17ROCPRIM_400000_NS6detail17trampoline_kernelINS0_14default_configENS1_25partition_config_selectorILNS1_17partition_subalgoE5EjNS0_10empty_typeEbEEZZNS1_14partition_implILS5_5ELb0ES3_mN6thrust23THRUST_200600_302600_NS6detail15normal_iteratorINSA_10device_ptrIjEEEEPS6_NSA_18transform_iteratorINSB_9not_fun_tI7is_trueIjEEENSC_INSD_IbEEEENSA_11use_defaultESO_EENS0_5tupleIJNSA_16discard_iteratorISO_EES6_EEENSQ_IJSG_SG_EEES6_PlJS6_EEE10hipError_tPvRmT3_T4_T5_T6_T7_T9_mT8_P12ihipStream_tbDpT10_ENKUlT_T0_E_clISt17integral_constantIbLb1EES1F_EEDaS1A_S1B_EUlS1A_E_NS1_11comp_targetILNS1_3genE10ELNS1_11target_archE1200ELNS1_3gpuE4ELNS1_3repE0EEENS1_30default_config_static_selectorELNS0_4arch9wavefront6targetE0EEEvT1_ ; -- Begin function _ZN7rocprim17ROCPRIM_400000_NS6detail17trampoline_kernelINS0_14default_configENS1_25partition_config_selectorILNS1_17partition_subalgoE5EjNS0_10empty_typeEbEEZZNS1_14partition_implILS5_5ELb0ES3_mN6thrust23THRUST_200600_302600_NS6detail15normal_iteratorINSA_10device_ptrIjEEEEPS6_NSA_18transform_iteratorINSB_9not_fun_tI7is_trueIjEEENSC_INSD_IbEEEENSA_11use_defaultESO_EENS0_5tupleIJNSA_16discard_iteratorISO_EES6_EEENSQ_IJSG_SG_EEES6_PlJS6_EEE10hipError_tPvRmT3_T4_T5_T6_T7_T9_mT8_P12ihipStream_tbDpT10_ENKUlT_T0_E_clISt17integral_constantIbLb1EES1F_EEDaS1A_S1B_EUlS1A_E_NS1_11comp_targetILNS1_3genE10ELNS1_11target_archE1200ELNS1_3gpuE4ELNS1_3repE0EEENS1_30default_config_static_selectorELNS0_4arch9wavefront6targetE0EEEvT1_
	.globl	_ZN7rocprim17ROCPRIM_400000_NS6detail17trampoline_kernelINS0_14default_configENS1_25partition_config_selectorILNS1_17partition_subalgoE5EjNS0_10empty_typeEbEEZZNS1_14partition_implILS5_5ELb0ES3_mN6thrust23THRUST_200600_302600_NS6detail15normal_iteratorINSA_10device_ptrIjEEEEPS6_NSA_18transform_iteratorINSB_9not_fun_tI7is_trueIjEEENSC_INSD_IbEEEENSA_11use_defaultESO_EENS0_5tupleIJNSA_16discard_iteratorISO_EES6_EEENSQ_IJSG_SG_EEES6_PlJS6_EEE10hipError_tPvRmT3_T4_T5_T6_T7_T9_mT8_P12ihipStream_tbDpT10_ENKUlT_T0_E_clISt17integral_constantIbLb1EES1F_EEDaS1A_S1B_EUlS1A_E_NS1_11comp_targetILNS1_3genE10ELNS1_11target_archE1200ELNS1_3gpuE4ELNS1_3repE0EEENS1_30default_config_static_selectorELNS0_4arch9wavefront6targetE0EEEvT1_
	.p2align	8
	.type	_ZN7rocprim17ROCPRIM_400000_NS6detail17trampoline_kernelINS0_14default_configENS1_25partition_config_selectorILNS1_17partition_subalgoE5EjNS0_10empty_typeEbEEZZNS1_14partition_implILS5_5ELb0ES3_mN6thrust23THRUST_200600_302600_NS6detail15normal_iteratorINSA_10device_ptrIjEEEEPS6_NSA_18transform_iteratorINSB_9not_fun_tI7is_trueIjEEENSC_INSD_IbEEEENSA_11use_defaultESO_EENS0_5tupleIJNSA_16discard_iteratorISO_EES6_EEENSQ_IJSG_SG_EEES6_PlJS6_EEE10hipError_tPvRmT3_T4_T5_T6_T7_T9_mT8_P12ihipStream_tbDpT10_ENKUlT_T0_E_clISt17integral_constantIbLb1EES1F_EEDaS1A_S1B_EUlS1A_E_NS1_11comp_targetILNS1_3genE10ELNS1_11target_archE1200ELNS1_3gpuE4ELNS1_3repE0EEENS1_30default_config_static_selectorELNS0_4arch9wavefront6targetE0EEEvT1_,@function
_ZN7rocprim17ROCPRIM_400000_NS6detail17trampoline_kernelINS0_14default_configENS1_25partition_config_selectorILNS1_17partition_subalgoE5EjNS0_10empty_typeEbEEZZNS1_14partition_implILS5_5ELb0ES3_mN6thrust23THRUST_200600_302600_NS6detail15normal_iteratorINSA_10device_ptrIjEEEEPS6_NSA_18transform_iteratorINSB_9not_fun_tI7is_trueIjEEENSC_INSD_IbEEEENSA_11use_defaultESO_EENS0_5tupleIJNSA_16discard_iteratorISO_EES6_EEENSQ_IJSG_SG_EEES6_PlJS6_EEE10hipError_tPvRmT3_T4_T5_T6_T7_T9_mT8_P12ihipStream_tbDpT10_ENKUlT_T0_E_clISt17integral_constantIbLb1EES1F_EEDaS1A_S1B_EUlS1A_E_NS1_11comp_targetILNS1_3genE10ELNS1_11target_archE1200ELNS1_3gpuE4ELNS1_3repE0EEENS1_30default_config_static_selectorELNS0_4arch9wavefront6targetE0EEEvT1_: ; @_ZN7rocprim17ROCPRIM_400000_NS6detail17trampoline_kernelINS0_14default_configENS1_25partition_config_selectorILNS1_17partition_subalgoE5EjNS0_10empty_typeEbEEZZNS1_14partition_implILS5_5ELb0ES3_mN6thrust23THRUST_200600_302600_NS6detail15normal_iteratorINSA_10device_ptrIjEEEEPS6_NSA_18transform_iteratorINSB_9not_fun_tI7is_trueIjEEENSC_INSD_IbEEEENSA_11use_defaultESO_EENS0_5tupleIJNSA_16discard_iteratorISO_EES6_EEENSQ_IJSG_SG_EEES6_PlJS6_EEE10hipError_tPvRmT3_T4_T5_T6_T7_T9_mT8_P12ihipStream_tbDpT10_ENKUlT_T0_E_clISt17integral_constantIbLb1EES1F_EEDaS1A_S1B_EUlS1A_E_NS1_11comp_targetILNS1_3genE10ELNS1_11target_archE1200ELNS1_3gpuE4ELNS1_3repE0EEENS1_30default_config_static_selectorELNS0_4arch9wavefront6targetE0EEEvT1_
; %bb.0:
	s_endpgm
	.section	.rodata,"a",@progbits
	.p2align	6, 0x0
	.amdhsa_kernel _ZN7rocprim17ROCPRIM_400000_NS6detail17trampoline_kernelINS0_14default_configENS1_25partition_config_selectorILNS1_17partition_subalgoE5EjNS0_10empty_typeEbEEZZNS1_14partition_implILS5_5ELb0ES3_mN6thrust23THRUST_200600_302600_NS6detail15normal_iteratorINSA_10device_ptrIjEEEEPS6_NSA_18transform_iteratorINSB_9not_fun_tI7is_trueIjEEENSC_INSD_IbEEEENSA_11use_defaultESO_EENS0_5tupleIJNSA_16discard_iteratorISO_EES6_EEENSQ_IJSG_SG_EEES6_PlJS6_EEE10hipError_tPvRmT3_T4_T5_T6_T7_T9_mT8_P12ihipStream_tbDpT10_ENKUlT_T0_E_clISt17integral_constantIbLb1EES1F_EEDaS1A_S1B_EUlS1A_E_NS1_11comp_targetILNS1_3genE10ELNS1_11target_archE1200ELNS1_3gpuE4ELNS1_3repE0EEENS1_30default_config_static_selectorELNS0_4arch9wavefront6targetE0EEEvT1_
		.amdhsa_group_segment_fixed_size 0
		.amdhsa_private_segment_fixed_size 0
		.amdhsa_kernarg_size 144
		.amdhsa_user_sgpr_count 2
		.amdhsa_user_sgpr_dispatch_ptr 0
		.amdhsa_user_sgpr_queue_ptr 0
		.amdhsa_user_sgpr_kernarg_segment_ptr 1
		.amdhsa_user_sgpr_dispatch_id 0
		.amdhsa_user_sgpr_private_segment_size 0
		.amdhsa_wavefront_size32 1
		.amdhsa_uses_dynamic_stack 0
		.amdhsa_enable_private_segment 0
		.amdhsa_system_sgpr_workgroup_id_x 1
		.amdhsa_system_sgpr_workgroup_id_y 0
		.amdhsa_system_sgpr_workgroup_id_z 0
		.amdhsa_system_sgpr_workgroup_info 0
		.amdhsa_system_vgpr_workitem_id 0
		.amdhsa_next_free_vgpr 1
		.amdhsa_next_free_sgpr 1
		.amdhsa_reserve_vcc 0
		.amdhsa_float_round_mode_32 0
		.amdhsa_float_round_mode_16_64 0
		.amdhsa_float_denorm_mode_32 3
		.amdhsa_float_denorm_mode_16_64 3
		.amdhsa_fp16_overflow 0
		.amdhsa_workgroup_processor_mode 1
		.amdhsa_memory_ordered 1
		.amdhsa_forward_progress 1
		.amdhsa_inst_pref_size 1
		.amdhsa_round_robin_scheduling 0
		.amdhsa_exception_fp_ieee_invalid_op 0
		.amdhsa_exception_fp_denorm_src 0
		.amdhsa_exception_fp_ieee_div_zero 0
		.amdhsa_exception_fp_ieee_overflow 0
		.amdhsa_exception_fp_ieee_underflow 0
		.amdhsa_exception_fp_ieee_inexact 0
		.amdhsa_exception_int_div_zero 0
	.end_amdhsa_kernel
	.section	.text._ZN7rocprim17ROCPRIM_400000_NS6detail17trampoline_kernelINS0_14default_configENS1_25partition_config_selectorILNS1_17partition_subalgoE5EjNS0_10empty_typeEbEEZZNS1_14partition_implILS5_5ELb0ES3_mN6thrust23THRUST_200600_302600_NS6detail15normal_iteratorINSA_10device_ptrIjEEEEPS6_NSA_18transform_iteratorINSB_9not_fun_tI7is_trueIjEEENSC_INSD_IbEEEENSA_11use_defaultESO_EENS0_5tupleIJNSA_16discard_iteratorISO_EES6_EEENSQ_IJSG_SG_EEES6_PlJS6_EEE10hipError_tPvRmT3_T4_T5_T6_T7_T9_mT8_P12ihipStream_tbDpT10_ENKUlT_T0_E_clISt17integral_constantIbLb1EES1F_EEDaS1A_S1B_EUlS1A_E_NS1_11comp_targetILNS1_3genE10ELNS1_11target_archE1200ELNS1_3gpuE4ELNS1_3repE0EEENS1_30default_config_static_selectorELNS0_4arch9wavefront6targetE0EEEvT1_,"axG",@progbits,_ZN7rocprim17ROCPRIM_400000_NS6detail17trampoline_kernelINS0_14default_configENS1_25partition_config_selectorILNS1_17partition_subalgoE5EjNS0_10empty_typeEbEEZZNS1_14partition_implILS5_5ELb0ES3_mN6thrust23THRUST_200600_302600_NS6detail15normal_iteratorINSA_10device_ptrIjEEEEPS6_NSA_18transform_iteratorINSB_9not_fun_tI7is_trueIjEEENSC_INSD_IbEEEENSA_11use_defaultESO_EENS0_5tupleIJNSA_16discard_iteratorISO_EES6_EEENSQ_IJSG_SG_EEES6_PlJS6_EEE10hipError_tPvRmT3_T4_T5_T6_T7_T9_mT8_P12ihipStream_tbDpT10_ENKUlT_T0_E_clISt17integral_constantIbLb1EES1F_EEDaS1A_S1B_EUlS1A_E_NS1_11comp_targetILNS1_3genE10ELNS1_11target_archE1200ELNS1_3gpuE4ELNS1_3repE0EEENS1_30default_config_static_selectorELNS0_4arch9wavefront6targetE0EEEvT1_,comdat
.Lfunc_end2698:
	.size	_ZN7rocprim17ROCPRIM_400000_NS6detail17trampoline_kernelINS0_14default_configENS1_25partition_config_selectorILNS1_17partition_subalgoE5EjNS0_10empty_typeEbEEZZNS1_14partition_implILS5_5ELb0ES3_mN6thrust23THRUST_200600_302600_NS6detail15normal_iteratorINSA_10device_ptrIjEEEEPS6_NSA_18transform_iteratorINSB_9not_fun_tI7is_trueIjEEENSC_INSD_IbEEEENSA_11use_defaultESO_EENS0_5tupleIJNSA_16discard_iteratorISO_EES6_EEENSQ_IJSG_SG_EEES6_PlJS6_EEE10hipError_tPvRmT3_T4_T5_T6_T7_T9_mT8_P12ihipStream_tbDpT10_ENKUlT_T0_E_clISt17integral_constantIbLb1EES1F_EEDaS1A_S1B_EUlS1A_E_NS1_11comp_targetILNS1_3genE10ELNS1_11target_archE1200ELNS1_3gpuE4ELNS1_3repE0EEENS1_30default_config_static_selectorELNS0_4arch9wavefront6targetE0EEEvT1_, .Lfunc_end2698-_ZN7rocprim17ROCPRIM_400000_NS6detail17trampoline_kernelINS0_14default_configENS1_25partition_config_selectorILNS1_17partition_subalgoE5EjNS0_10empty_typeEbEEZZNS1_14partition_implILS5_5ELb0ES3_mN6thrust23THRUST_200600_302600_NS6detail15normal_iteratorINSA_10device_ptrIjEEEEPS6_NSA_18transform_iteratorINSB_9not_fun_tI7is_trueIjEEENSC_INSD_IbEEEENSA_11use_defaultESO_EENS0_5tupleIJNSA_16discard_iteratorISO_EES6_EEENSQ_IJSG_SG_EEES6_PlJS6_EEE10hipError_tPvRmT3_T4_T5_T6_T7_T9_mT8_P12ihipStream_tbDpT10_ENKUlT_T0_E_clISt17integral_constantIbLb1EES1F_EEDaS1A_S1B_EUlS1A_E_NS1_11comp_targetILNS1_3genE10ELNS1_11target_archE1200ELNS1_3gpuE4ELNS1_3repE0EEENS1_30default_config_static_selectorELNS0_4arch9wavefront6targetE0EEEvT1_
                                        ; -- End function
	.set _ZN7rocprim17ROCPRIM_400000_NS6detail17trampoline_kernelINS0_14default_configENS1_25partition_config_selectorILNS1_17partition_subalgoE5EjNS0_10empty_typeEbEEZZNS1_14partition_implILS5_5ELb0ES3_mN6thrust23THRUST_200600_302600_NS6detail15normal_iteratorINSA_10device_ptrIjEEEEPS6_NSA_18transform_iteratorINSB_9not_fun_tI7is_trueIjEEENSC_INSD_IbEEEENSA_11use_defaultESO_EENS0_5tupleIJNSA_16discard_iteratorISO_EES6_EEENSQ_IJSG_SG_EEES6_PlJS6_EEE10hipError_tPvRmT3_T4_T5_T6_T7_T9_mT8_P12ihipStream_tbDpT10_ENKUlT_T0_E_clISt17integral_constantIbLb1EES1F_EEDaS1A_S1B_EUlS1A_E_NS1_11comp_targetILNS1_3genE10ELNS1_11target_archE1200ELNS1_3gpuE4ELNS1_3repE0EEENS1_30default_config_static_selectorELNS0_4arch9wavefront6targetE0EEEvT1_.num_vgpr, 0
	.set _ZN7rocprim17ROCPRIM_400000_NS6detail17trampoline_kernelINS0_14default_configENS1_25partition_config_selectorILNS1_17partition_subalgoE5EjNS0_10empty_typeEbEEZZNS1_14partition_implILS5_5ELb0ES3_mN6thrust23THRUST_200600_302600_NS6detail15normal_iteratorINSA_10device_ptrIjEEEEPS6_NSA_18transform_iteratorINSB_9not_fun_tI7is_trueIjEEENSC_INSD_IbEEEENSA_11use_defaultESO_EENS0_5tupleIJNSA_16discard_iteratorISO_EES6_EEENSQ_IJSG_SG_EEES6_PlJS6_EEE10hipError_tPvRmT3_T4_T5_T6_T7_T9_mT8_P12ihipStream_tbDpT10_ENKUlT_T0_E_clISt17integral_constantIbLb1EES1F_EEDaS1A_S1B_EUlS1A_E_NS1_11comp_targetILNS1_3genE10ELNS1_11target_archE1200ELNS1_3gpuE4ELNS1_3repE0EEENS1_30default_config_static_selectorELNS0_4arch9wavefront6targetE0EEEvT1_.num_agpr, 0
	.set _ZN7rocprim17ROCPRIM_400000_NS6detail17trampoline_kernelINS0_14default_configENS1_25partition_config_selectorILNS1_17partition_subalgoE5EjNS0_10empty_typeEbEEZZNS1_14partition_implILS5_5ELb0ES3_mN6thrust23THRUST_200600_302600_NS6detail15normal_iteratorINSA_10device_ptrIjEEEEPS6_NSA_18transform_iteratorINSB_9not_fun_tI7is_trueIjEEENSC_INSD_IbEEEENSA_11use_defaultESO_EENS0_5tupleIJNSA_16discard_iteratorISO_EES6_EEENSQ_IJSG_SG_EEES6_PlJS6_EEE10hipError_tPvRmT3_T4_T5_T6_T7_T9_mT8_P12ihipStream_tbDpT10_ENKUlT_T0_E_clISt17integral_constantIbLb1EES1F_EEDaS1A_S1B_EUlS1A_E_NS1_11comp_targetILNS1_3genE10ELNS1_11target_archE1200ELNS1_3gpuE4ELNS1_3repE0EEENS1_30default_config_static_selectorELNS0_4arch9wavefront6targetE0EEEvT1_.numbered_sgpr, 0
	.set _ZN7rocprim17ROCPRIM_400000_NS6detail17trampoline_kernelINS0_14default_configENS1_25partition_config_selectorILNS1_17partition_subalgoE5EjNS0_10empty_typeEbEEZZNS1_14partition_implILS5_5ELb0ES3_mN6thrust23THRUST_200600_302600_NS6detail15normal_iteratorINSA_10device_ptrIjEEEEPS6_NSA_18transform_iteratorINSB_9not_fun_tI7is_trueIjEEENSC_INSD_IbEEEENSA_11use_defaultESO_EENS0_5tupleIJNSA_16discard_iteratorISO_EES6_EEENSQ_IJSG_SG_EEES6_PlJS6_EEE10hipError_tPvRmT3_T4_T5_T6_T7_T9_mT8_P12ihipStream_tbDpT10_ENKUlT_T0_E_clISt17integral_constantIbLb1EES1F_EEDaS1A_S1B_EUlS1A_E_NS1_11comp_targetILNS1_3genE10ELNS1_11target_archE1200ELNS1_3gpuE4ELNS1_3repE0EEENS1_30default_config_static_selectorELNS0_4arch9wavefront6targetE0EEEvT1_.num_named_barrier, 0
	.set _ZN7rocprim17ROCPRIM_400000_NS6detail17trampoline_kernelINS0_14default_configENS1_25partition_config_selectorILNS1_17partition_subalgoE5EjNS0_10empty_typeEbEEZZNS1_14partition_implILS5_5ELb0ES3_mN6thrust23THRUST_200600_302600_NS6detail15normal_iteratorINSA_10device_ptrIjEEEEPS6_NSA_18transform_iteratorINSB_9not_fun_tI7is_trueIjEEENSC_INSD_IbEEEENSA_11use_defaultESO_EENS0_5tupleIJNSA_16discard_iteratorISO_EES6_EEENSQ_IJSG_SG_EEES6_PlJS6_EEE10hipError_tPvRmT3_T4_T5_T6_T7_T9_mT8_P12ihipStream_tbDpT10_ENKUlT_T0_E_clISt17integral_constantIbLb1EES1F_EEDaS1A_S1B_EUlS1A_E_NS1_11comp_targetILNS1_3genE10ELNS1_11target_archE1200ELNS1_3gpuE4ELNS1_3repE0EEENS1_30default_config_static_selectorELNS0_4arch9wavefront6targetE0EEEvT1_.private_seg_size, 0
	.set _ZN7rocprim17ROCPRIM_400000_NS6detail17trampoline_kernelINS0_14default_configENS1_25partition_config_selectorILNS1_17partition_subalgoE5EjNS0_10empty_typeEbEEZZNS1_14partition_implILS5_5ELb0ES3_mN6thrust23THRUST_200600_302600_NS6detail15normal_iteratorINSA_10device_ptrIjEEEEPS6_NSA_18transform_iteratorINSB_9not_fun_tI7is_trueIjEEENSC_INSD_IbEEEENSA_11use_defaultESO_EENS0_5tupleIJNSA_16discard_iteratorISO_EES6_EEENSQ_IJSG_SG_EEES6_PlJS6_EEE10hipError_tPvRmT3_T4_T5_T6_T7_T9_mT8_P12ihipStream_tbDpT10_ENKUlT_T0_E_clISt17integral_constantIbLb1EES1F_EEDaS1A_S1B_EUlS1A_E_NS1_11comp_targetILNS1_3genE10ELNS1_11target_archE1200ELNS1_3gpuE4ELNS1_3repE0EEENS1_30default_config_static_selectorELNS0_4arch9wavefront6targetE0EEEvT1_.uses_vcc, 0
	.set _ZN7rocprim17ROCPRIM_400000_NS6detail17trampoline_kernelINS0_14default_configENS1_25partition_config_selectorILNS1_17partition_subalgoE5EjNS0_10empty_typeEbEEZZNS1_14partition_implILS5_5ELb0ES3_mN6thrust23THRUST_200600_302600_NS6detail15normal_iteratorINSA_10device_ptrIjEEEEPS6_NSA_18transform_iteratorINSB_9not_fun_tI7is_trueIjEEENSC_INSD_IbEEEENSA_11use_defaultESO_EENS0_5tupleIJNSA_16discard_iteratorISO_EES6_EEENSQ_IJSG_SG_EEES6_PlJS6_EEE10hipError_tPvRmT3_T4_T5_T6_T7_T9_mT8_P12ihipStream_tbDpT10_ENKUlT_T0_E_clISt17integral_constantIbLb1EES1F_EEDaS1A_S1B_EUlS1A_E_NS1_11comp_targetILNS1_3genE10ELNS1_11target_archE1200ELNS1_3gpuE4ELNS1_3repE0EEENS1_30default_config_static_selectorELNS0_4arch9wavefront6targetE0EEEvT1_.uses_flat_scratch, 0
	.set _ZN7rocprim17ROCPRIM_400000_NS6detail17trampoline_kernelINS0_14default_configENS1_25partition_config_selectorILNS1_17partition_subalgoE5EjNS0_10empty_typeEbEEZZNS1_14partition_implILS5_5ELb0ES3_mN6thrust23THRUST_200600_302600_NS6detail15normal_iteratorINSA_10device_ptrIjEEEEPS6_NSA_18transform_iteratorINSB_9not_fun_tI7is_trueIjEEENSC_INSD_IbEEEENSA_11use_defaultESO_EENS0_5tupleIJNSA_16discard_iteratorISO_EES6_EEENSQ_IJSG_SG_EEES6_PlJS6_EEE10hipError_tPvRmT3_T4_T5_T6_T7_T9_mT8_P12ihipStream_tbDpT10_ENKUlT_T0_E_clISt17integral_constantIbLb1EES1F_EEDaS1A_S1B_EUlS1A_E_NS1_11comp_targetILNS1_3genE10ELNS1_11target_archE1200ELNS1_3gpuE4ELNS1_3repE0EEENS1_30default_config_static_selectorELNS0_4arch9wavefront6targetE0EEEvT1_.has_dyn_sized_stack, 0
	.set _ZN7rocprim17ROCPRIM_400000_NS6detail17trampoline_kernelINS0_14default_configENS1_25partition_config_selectorILNS1_17partition_subalgoE5EjNS0_10empty_typeEbEEZZNS1_14partition_implILS5_5ELb0ES3_mN6thrust23THRUST_200600_302600_NS6detail15normal_iteratorINSA_10device_ptrIjEEEEPS6_NSA_18transform_iteratorINSB_9not_fun_tI7is_trueIjEEENSC_INSD_IbEEEENSA_11use_defaultESO_EENS0_5tupleIJNSA_16discard_iteratorISO_EES6_EEENSQ_IJSG_SG_EEES6_PlJS6_EEE10hipError_tPvRmT3_T4_T5_T6_T7_T9_mT8_P12ihipStream_tbDpT10_ENKUlT_T0_E_clISt17integral_constantIbLb1EES1F_EEDaS1A_S1B_EUlS1A_E_NS1_11comp_targetILNS1_3genE10ELNS1_11target_archE1200ELNS1_3gpuE4ELNS1_3repE0EEENS1_30default_config_static_selectorELNS0_4arch9wavefront6targetE0EEEvT1_.has_recursion, 0
	.set _ZN7rocprim17ROCPRIM_400000_NS6detail17trampoline_kernelINS0_14default_configENS1_25partition_config_selectorILNS1_17partition_subalgoE5EjNS0_10empty_typeEbEEZZNS1_14partition_implILS5_5ELb0ES3_mN6thrust23THRUST_200600_302600_NS6detail15normal_iteratorINSA_10device_ptrIjEEEEPS6_NSA_18transform_iteratorINSB_9not_fun_tI7is_trueIjEEENSC_INSD_IbEEEENSA_11use_defaultESO_EENS0_5tupleIJNSA_16discard_iteratorISO_EES6_EEENSQ_IJSG_SG_EEES6_PlJS6_EEE10hipError_tPvRmT3_T4_T5_T6_T7_T9_mT8_P12ihipStream_tbDpT10_ENKUlT_T0_E_clISt17integral_constantIbLb1EES1F_EEDaS1A_S1B_EUlS1A_E_NS1_11comp_targetILNS1_3genE10ELNS1_11target_archE1200ELNS1_3gpuE4ELNS1_3repE0EEENS1_30default_config_static_selectorELNS0_4arch9wavefront6targetE0EEEvT1_.has_indirect_call, 0
	.section	.AMDGPU.csdata,"",@progbits
; Kernel info:
; codeLenInByte = 4
; TotalNumSgprs: 0
; NumVgprs: 0
; ScratchSize: 0
; MemoryBound: 0
; FloatMode: 240
; IeeeMode: 1
; LDSByteSize: 0 bytes/workgroup (compile time only)
; SGPRBlocks: 0
; VGPRBlocks: 0
; NumSGPRsForWavesPerEU: 1
; NumVGPRsForWavesPerEU: 1
; Occupancy: 16
; WaveLimiterHint : 0
; COMPUTE_PGM_RSRC2:SCRATCH_EN: 0
; COMPUTE_PGM_RSRC2:USER_SGPR: 2
; COMPUTE_PGM_RSRC2:TRAP_HANDLER: 0
; COMPUTE_PGM_RSRC2:TGID_X_EN: 1
; COMPUTE_PGM_RSRC2:TGID_Y_EN: 0
; COMPUTE_PGM_RSRC2:TGID_Z_EN: 0
; COMPUTE_PGM_RSRC2:TIDIG_COMP_CNT: 0
	.section	.text._ZN7rocprim17ROCPRIM_400000_NS6detail17trampoline_kernelINS0_14default_configENS1_25partition_config_selectorILNS1_17partition_subalgoE5EjNS0_10empty_typeEbEEZZNS1_14partition_implILS5_5ELb0ES3_mN6thrust23THRUST_200600_302600_NS6detail15normal_iteratorINSA_10device_ptrIjEEEEPS6_NSA_18transform_iteratorINSB_9not_fun_tI7is_trueIjEEENSC_INSD_IbEEEENSA_11use_defaultESO_EENS0_5tupleIJNSA_16discard_iteratorISO_EES6_EEENSQ_IJSG_SG_EEES6_PlJS6_EEE10hipError_tPvRmT3_T4_T5_T6_T7_T9_mT8_P12ihipStream_tbDpT10_ENKUlT_T0_E_clISt17integral_constantIbLb1EES1F_EEDaS1A_S1B_EUlS1A_E_NS1_11comp_targetILNS1_3genE9ELNS1_11target_archE1100ELNS1_3gpuE3ELNS1_3repE0EEENS1_30default_config_static_selectorELNS0_4arch9wavefront6targetE0EEEvT1_,"axG",@progbits,_ZN7rocprim17ROCPRIM_400000_NS6detail17trampoline_kernelINS0_14default_configENS1_25partition_config_selectorILNS1_17partition_subalgoE5EjNS0_10empty_typeEbEEZZNS1_14partition_implILS5_5ELb0ES3_mN6thrust23THRUST_200600_302600_NS6detail15normal_iteratorINSA_10device_ptrIjEEEEPS6_NSA_18transform_iteratorINSB_9not_fun_tI7is_trueIjEEENSC_INSD_IbEEEENSA_11use_defaultESO_EENS0_5tupleIJNSA_16discard_iteratorISO_EES6_EEENSQ_IJSG_SG_EEES6_PlJS6_EEE10hipError_tPvRmT3_T4_T5_T6_T7_T9_mT8_P12ihipStream_tbDpT10_ENKUlT_T0_E_clISt17integral_constantIbLb1EES1F_EEDaS1A_S1B_EUlS1A_E_NS1_11comp_targetILNS1_3genE9ELNS1_11target_archE1100ELNS1_3gpuE3ELNS1_3repE0EEENS1_30default_config_static_selectorELNS0_4arch9wavefront6targetE0EEEvT1_,comdat
	.protected	_ZN7rocprim17ROCPRIM_400000_NS6detail17trampoline_kernelINS0_14default_configENS1_25partition_config_selectorILNS1_17partition_subalgoE5EjNS0_10empty_typeEbEEZZNS1_14partition_implILS5_5ELb0ES3_mN6thrust23THRUST_200600_302600_NS6detail15normal_iteratorINSA_10device_ptrIjEEEEPS6_NSA_18transform_iteratorINSB_9not_fun_tI7is_trueIjEEENSC_INSD_IbEEEENSA_11use_defaultESO_EENS0_5tupleIJNSA_16discard_iteratorISO_EES6_EEENSQ_IJSG_SG_EEES6_PlJS6_EEE10hipError_tPvRmT3_T4_T5_T6_T7_T9_mT8_P12ihipStream_tbDpT10_ENKUlT_T0_E_clISt17integral_constantIbLb1EES1F_EEDaS1A_S1B_EUlS1A_E_NS1_11comp_targetILNS1_3genE9ELNS1_11target_archE1100ELNS1_3gpuE3ELNS1_3repE0EEENS1_30default_config_static_selectorELNS0_4arch9wavefront6targetE0EEEvT1_ ; -- Begin function _ZN7rocprim17ROCPRIM_400000_NS6detail17trampoline_kernelINS0_14default_configENS1_25partition_config_selectorILNS1_17partition_subalgoE5EjNS0_10empty_typeEbEEZZNS1_14partition_implILS5_5ELb0ES3_mN6thrust23THRUST_200600_302600_NS6detail15normal_iteratorINSA_10device_ptrIjEEEEPS6_NSA_18transform_iteratorINSB_9not_fun_tI7is_trueIjEEENSC_INSD_IbEEEENSA_11use_defaultESO_EENS0_5tupleIJNSA_16discard_iteratorISO_EES6_EEENSQ_IJSG_SG_EEES6_PlJS6_EEE10hipError_tPvRmT3_T4_T5_T6_T7_T9_mT8_P12ihipStream_tbDpT10_ENKUlT_T0_E_clISt17integral_constantIbLb1EES1F_EEDaS1A_S1B_EUlS1A_E_NS1_11comp_targetILNS1_3genE9ELNS1_11target_archE1100ELNS1_3gpuE3ELNS1_3repE0EEENS1_30default_config_static_selectorELNS0_4arch9wavefront6targetE0EEEvT1_
	.globl	_ZN7rocprim17ROCPRIM_400000_NS6detail17trampoline_kernelINS0_14default_configENS1_25partition_config_selectorILNS1_17partition_subalgoE5EjNS0_10empty_typeEbEEZZNS1_14partition_implILS5_5ELb0ES3_mN6thrust23THRUST_200600_302600_NS6detail15normal_iteratorINSA_10device_ptrIjEEEEPS6_NSA_18transform_iteratorINSB_9not_fun_tI7is_trueIjEEENSC_INSD_IbEEEENSA_11use_defaultESO_EENS0_5tupleIJNSA_16discard_iteratorISO_EES6_EEENSQ_IJSG_SG_EEES6_PlJS6_EEE10hipError_tPvRmT3_T4_T5_T6_T7_T9_mT8_P12ihipStream_tbDpT10_ENKUlT_T0_E_clISt17integral_constantIbLb1EES1F_EEDaS1A_S1B_EUlS1A_E_NS1_11comp_targetILNS1_3genE9ELNS1_11target_archE1100ELNS1_3gpuE3ELNS1_3repE0EEENS1_30default_config_static_selectorELNS0_4arch9wavefront6targetE0EEEvT1_
	.p2align	8
	.type	_ZN7rocprim17ROCPRIM_400000_NS6detail17trampoline_kernelINS0_14default_configENS1_25partition_config_selectorILNS1_17partition_subalgoE5EjNS0_10empty_typeEbEEZZNS1_14partition_implILS5_5ELb0ES3_mN6thrust23THRUST_200600_302600_NS6detail15normal_iteratorINSA_10device_ptrIjEEEEPS6_NSA_18transform_iteratorINSB_9not_fun_tI7is_trueIjEEENSC_INSD_IbEEEENSA_11use_defaultESO_EENS0_5tupleIJNSA_16discard_iteratorISO_EES6_EEENSQ_IJSG_SG_EEES6_PlJS6_EEE10hipError_tPvRmT3_T4_T5_T6_T7_T9_mT8_P12ihipStream_tbDpT10_ENKUlT_T0_E_clISt17integral_constantIbLb1EES1F_EEDaS1A_S1B_EUlS1A_E_NS1_11comp_targetILNS1_3genE9ELNS1_11target_archE1100ELNS1_3gpuE3ELNS1_3repE0EEENS1_30default_config_static_selectorELNS0_4arch9wavefront6targetE0EEEvT1_,@function
_ZN7rocprim17ROCPRIM_400000_NS6detail17trampoline_kernelINS0_14default_configENS1_25partition_config_selectorILNS1_17partition_subalgoE5EjNS0_10empty_typeEbEEZZNS1_14partition_implILS5_5ELb0ES3_mN6thrust23THRUST_200600_302600_NS6detail15normal_iteratorINSA_10device_ptrIjEEEEPS6_NSA_18transform_iteratorINSB_9not_fun_tI7is_trueIjEEENSC_INSD_IbEEEENSA_11use_defaultESO_EENS0_5tupleIJNSA_16discard_iteratorISO_EES6_EEENSQ_IJSG_SG_EEES6_PlJS6_EEE10hipError_tPvRmT3_T4_T5_T6_T7_T9_mT8_P12ihipStream_tbDpT10_ENKUlT_T0_E_clISt17integral_constantIbLb1EES1F_EEDaS1A_S1B_EUlS1A_E_NS1_11comp_targetILNS1_3genE9ELNS1_11target_archE1100ELNS1_3gpuE3ELNS1_3repE0EEENS1_30default_config_static_selectorELNS0_4arch9wavefront6targetE0EEEvT1_: ; @_ZN7rocprim17ROCPRIM_400000_NS6detail17trampoline_kernelINS0_14default_configENS1_25partition_config_selectorILNS1_17partition_subalgoE5EjNS0_10empty_typeEbEEZZNS1_14partition_implILS5_5ELb0ES3_mN6thrust23THRUST_200600_302600_NS6detail15normal_iteratorINSA_10device_ptrIjEEEEPS6_NSA_18transform_iteratorINSB_9not_fun_tI7is_trueIjEEENSC_INSD_IbEEEENSA_11use_defaultESO_EENS0_5tupleIJNSA_16discard_iteratorISO_EES6_EEENSQ_IJSG_SG_EEES6_PlJS6_EEE10hipError_tPvRmT3_T4_T5_T6_T7_T9_mT8_P12ihipStream_tbDpT10_ENKUlT_T0_E_clISt17integral_constantIbLb1EES1F_EEDaS1A_S1B_EUlS1A_E_NS1_11comp_targetILNS1_3genE9ELNS1_11target_archE1100ELNS1_3gpuE3ELNS1_3repE0EEENS1_30default_config_static_selectorELNS0_4arch9wavefront6targetE0EEEvT1_
; %bb.0:
	.section	.rodata,"a",@progbits
	.p2align	6, 0x0
	.amdhsa_kernel _ZN7rocprim17ROCPRIM_400000_NS6detail17trampoline_kernelINS0_14default_configENS1_25partition_config_selectorILNS1_17partition_subalgoE5EjNS0_10empty_typeEbEEZZNS1_14partition_implILS5_5ELb0ES3_mN6thrust23THRUST_200600_302600_NS6detail15normal_iteratorINSA_10device_ptrIjEEEEPS6_NSA_18transform_iteratorINSB_9not_fun_tI7is_trueIjEEENSC_INSD_IbEEEENSA_11use_defaultESO_EENS0_5tupleIJNSA_16discard_iteratorISO_EES6_EEENSQ_IJSG_SG_EEES6_PlJS6_EEE10hipError_tPvRmT3_T4_T5_T6_T7_T9_mT8_P12ihipStream_tbDpT10_ENKUlT_T0_E_clISt17integral_constantIbLb1EES1F_EEDaS1A_S1B_EUlS1A_E_NS1_11comp_targetILNS1_3genE9ELNS1_11target_archE1100ELNS1_3gpuE3ELNS1_3repE0EEENS1_30default_config_static_selectorELNS0_4arch9wavefront6targetE0EEEvT1_
		.amdhsa_group_segment_fixed_size 0
		.amdhsa_private_segment_fixed_size 0
		.amdhsa_kernarg_size 144
		.amdhsa_user_sgpr_count 2
		.amdhsa_user_sgpr_dispatch_ptr 0
		.amdhsa_user_sgpr_queue_ptr 0
		.amdhsa_user_sgpr_kernarg_segment_ptr 1
		.amdhsa_user_sgpr_dispatch_id 0
		.amdhsa_user_sgpr_private_segment_size 0
		.amdhsa_wavefront_size32 1
		.amdhsa_uses_dynamic_stack 0
		.amdhsa_enable_private_segment 0
		.amdhsa_system_sgpr_workgroup_id_x 1
		.amdhsa_system_sgpr_workgroup_id_y 0
		.amdhsa_system_sgpr_workgroup_id_z 0
		.amdhsa_system_sgpr_workgroup_info 0
		.amdhsa_system_vgpr_workitem_id 0
		.amdhsa_next_free_vgpr 1
		.amdhsa_next_free_sgpr 1
		.amdhsa_reserve_vcc 0
		.amdhsa_float_round_mode_32 0
		.amdhsa_float_round_mode_16_64 0
		.amdhsa_float_denorm_mode_32 3
		.amdhsa_float_denorm_mode_16_64 3
		.amdhsa_fp16_overflow 0
		.amdhsa_workgroup_processor_mode 1
		.amdhsa_memory_ordered 1
		.amdhsa_forward_progress 1
		.amdhsa_inst_pref_size 0
		.amdhsa_round_robin_scheduling 0
		.amdhsa_exception_fp_ieee_invalid_op 0
		.amdhsa_exception_fp_denorm_src 0
		.amdhsa_exception_fp_ieee_div_zero 0
		.amdhsa_exception_fp_ieee_overflow 0
		.amdhsa_exception_fp_ieee_underflow 0
		.amdhsa_exception_fp_ieee_inexact 0
		.amdhsa_exception_int_div_zero 0
	.end_amdhsa_kernel
	.section	.text._ZN7rocprim17ROCPRIM_400000_NS6detail17trampoline_kernelINS0_14default_configENS1_25partition_config_selectorILNS1_17partition_subalgoE5EjNS0_10empty_typeEbEEZZNS1_14partition_implILS5_5ELb0ES3_mN6thrust23THRUST_200600_302600_NS6detail15normal_iteratorINSA_10device_ptrIjEEEEPS6_NSA_18transform_iteratorINSB_9not_fun_tI7is_trueIjEEENSC_INSD_IbEEEENSA_11use_defaultESO_EENS0_5tupleIJNSA_16discard_iteratorISO_EES6_EEENSQ_IJSG_SG_EEES6_PlJS6_EEE10hipError_tPvRmT3_T4_T5_T6_T7_T9_mT8_P12ihipStream_tbDpT10_ENKUlT_T0_E_clISt17integral_constantIbLb1EES1F_EEDaS1A_S1B_EUlS1A_E_NS1_11comp_targetILNS1_3genE9ELNS1_11target_archE1100ELNS1_3gpuE3ELNS1_3repE0EEENS1_30default_config_static_selectorELNS0_4arch9wavefront6targetE0EEEvT1_,"axG",@progbits,_ZN7rocprim17ROCPRIM_400000_NS6detail17trampoline_kernelINS0_14default_configENS1_25partition_config_selectorILNS1_17partition_subalgoE5EjNS0_10empty_typeEbEEZZNS1_14partition_implILS5_5ELb0ES3_mN6thrust23THRUST_200600_302600_NS6detail15normal_iteratorINSA_10device_ptrIjEEEEPS6_NSA_18transform_iteratorINSB_9not_fun_tI7is_trueIjEEENSC_INSD_IbEEEENSA_11use_defaultESO_EENS0_5tupleIJNSA_16discard_iteratorISO_EES6_EEENSQ_IJSG_SG_EEES6_PlJS6_EEE10hipError_tPvRmT3_T4_T5_T6_T7_T9_mT8_P12ihipStream_tbDpT10_ENKUlT_T0_E_clISt17integral_constantIbLb1EES1F_EEDaS1A_S1B_EUlS1A_E_NS1_11comp_targetILNS1_3genE9ELNS1_11target_archE1100ELNS1_3gpuE3ELNS1_3repE0EEENS1_30default_config_static_selectorELNS0_4arch9wavefront6targetE0EEEvT1_,comdat
.Lfunc_end2699:
	.size	_ZN7rocprim17ROCPRIM_400000_NS6detail17trampoline_kernelINS0_14default_configENS1_25partition_config_selectorILNS1_17partition_subalgoE5EjNS0_10empty_typeEbEEZZNS1_14partition_implILS5_5ELb0ES3_mN6thrust23THRUST_200600_302600_NS6detail15normal_iteratorINSA_10device_ptrIjEEEEPS6_NSA_18transform_iteratorINSB_9not_fun_tI7is_trueIjEEENSC_INSD_IbEEEENSA_11use_defaultESO_EENS0_5tupleIJNSA_16discard_iteratorISO_EES6_EEENSQ_IJSG_SG_EEES6_PlJS6_EEE10hipError_tPvRmT3_T4_T5_T6_T7_T9_mT8_P12ihipStream_tbDpT10_ENKUlT_T0_E_clISt17integral_constantIbLb1EES1F_EEDaS1A_S1B_EUlS1A_E_NS1_11comp_targetILNS1_3genE9ELNS1_11target_archE1100ELNS1_3gpuE3ELNS1_3repE0EEENS1_30default_config_static_selectorELNS0_4arch9wavefront6targetE0EEEvT1_, .Lfunc_end2699-_ZN7rocprim17ROCPRIM_400000_NS6detail17trampoline_kernelINS0_14default_configENS1_25partition_config_selectorILNS1_17partition_subalgoE5EjNS0_10empty_typeEbEEZZNS1_14partition_implILS5_5ELb0ES3_mN6thrust23THRUST_200600_302600_NS6detail15normal_iteratorINSA_10device_ptrIjEEEEPS6_NSA_18transform_iteratorINSB_9not_fun_tI7is_trueIjEEENSC_INSD_IbEEEENSA_11use_defaultESO_EENS0_5tupleIJNSA_16discard_iteratorISO_EES6_EEENSQ_IJSG_SG_EEES6_PlJS6_EEE10hipError_tPvRmT3_T4_T5_T6_T7_T9_mT8_P12ihipStream_tbDpT10_ENKUlT_T0_E_clISt17integral_constantIbLb1EES1F_EEDaS1A_S1B_EUlS1A_E_NS1_11comp_targetILNS1_3genE9ELNS1_11target_archE1100ELNS1_3gpuE3ELNS1_3repE0EEENS1_30default_config_static_selectorELNS0_4arch9wavefront6targetE0EEEvT1_
                                        ; -- End function
	.set _ZN7rocprim17ROCPRIM_400000_NS6detail17trampoline_kernelINS0_14default_configENS1_25partition_config_selectorILNS1_17partition_subalgoE5EjNS0_10empty_typeEbEEZZNS1_14partition_implILS5_5ELb0ES3_mN6thrust23THRUST_200600_302600_NS6detail15normal_iteratorINSA_10device_ptrIjEEEEPS6_NSA_18transform_iteratorINSB_9not_fun_tI7is_trueIjEEENSC_INSD_IbEEEENSA_11use_defaultESO_EENS0_5tupleIJNSA_16discard_iteratorISO_EES6_EEENSQ_IJSG_SG_EEES6_PlJS6_EEE10hipError_tPvRmT3_T4_T5_T6_T7_T9_mT8_P12ihipStream_tbDpT10_ENKUlT_T0_E_clISt17integral_constantIbLb1EES1F_EEDaS1A_S1B_EUlS1A_E_NS1_11comp_targetILNS1_3genE9ELNS1_11target_archE1100ELNS1_3gpuE3ELNS1_3repE0EEENS1_30default_config_static_selectorELNS0_4arch9wavefront6targetE0EEEvT1_.num_vgpr, 0
	.set _ZN7rocprim17ROCPRIM_400000_NS6detail17trampoline_kernelINS0_14default_configENS1_25partition_config_selectorILNS1_17partition_subalgoE5EjNS0_10empty_typeEbEEZZNS1_14partition_implILS5_5ELb0ES3_mN6thrust23THRUST_200600_302600_NS6detail15normal_iteratorINSA_10device_ptrIjEEEEPS6_NSA_18transform_iteratorINSB_9not_fun_tI7is_trueIjEEENSC_INSD_IbEEEENSA_11use_defaultESO_EENS0_5tupleIJNSA_16discard_iteratorISO_EES6_EEENSQ_IJSG_SG_EEES6_PlJS6_EEE10hipError_tPvRmT3_T4_T5_T6_T7_T9_mT8_P12ihipStream_tbDpT10_ENKUlT_T0_E_clISt17integral_constantIbLb1EES1F_EEDaS1A_S1B_EUlS1A_E_NS1_11comp_targetILNS1_3genE9ELNS1_11target_archE1100ELNS1_3gpuE3ELNS1_3repE0EEENS1_30default_config_static_selectorELNS0_4arch9wavefront6targetE0EEEvT1_.num_agpr, 0
	.set _ZN7rocprim17ROCPRIM_400000_NS6detail17trampoline_kernelINS0_14default_configENS1_25partition_config_selectorILNS1_17partition_subalgoE5EjNS0_10empty_typeEbEEZZNS1_14partition_implILS5_5ELb0ES3_mN6thrust23THRUST_200600_302600_NS6detail15normal_iteratorINSA_10device_ptrIjEEEEPS6_NSA_18transform_iteratorINSB_9not_fun_tI7is_trueIjEEENSC_INSD_IbEEEENSA_11use_defaultESO_EENS0_5tupleIJNSA_16discard_iteratorISO_EES6_EEENSQ_IJSG_SG_EEES6_PlJS6_EEE10hipError_tPvRmT3_T4_T5_T6_T7_T9_mT8_P12ihipStream_tbDpT10_ENKUlT_T0_E_clISt17integral_constantIbLb1EES1F_EEDaS1A_S1B_EUlS1A_E_NS1_11comp_targetILNS1_3genE9ELNS1_11target_archE1100ELNS1_3gpuE3ELNS1_3repE0EEENS1_30default_config_static_selectorELNS0_4arch9wavefront6targetE0EEEvT1_.numbered_sgpr, 0
	.set _ZN7rocprim17ROCPRIM_400000_NS6detail17trampoline_kernelINS0_14default_configENS1_25partition_config_selectorILNS1_17partition_subalgoE5EjNS0_10empty_typeEbEEZZNS1_14partition_implILS5_5ELb0ES3_mN6thrust23THRUST_200600_302600_NS6detail15normal_iteratorINSA_10device_ptrIjEEEEPS6_NSA_18transform_iteratorINSB_9not_fun_tI7is_trueIjEEENSC_INSD_IbEEEENSA_11use_defaultESO_EENS0_5tupleIJNSA_16discard_iteratorISO_EES6_EEENSQ_IJSG_SG_EEES6_PlJS6_EEE10hipError_tPvRmT3_T4_T5_T6_T7_T9_mT8_P12ihipStream_tbDpT10_ENKUlT_T0_E_clISt17integral_constantIbLb1EES1F_EEDaS1A_S1B_EUlS1A_E_NS1_11comp_targetILNS1_3genE9ELNS1_11target_archE1100ELNS1_3gpuE3ELNS1_3repE0EEENS1_30default_config_static_selectorELNS0_4arch9wavefront6targetE0EEEvT1_.num_named_barrier, 0
	.set _ZN7rocprim17ROCPRIM_400000_NS6detail17trampoline_kernelINS0_14default_configENS1_25partition_config_selectorILNS1_17partition_subalgoE5EjNS0_10empty_typeEbEEZZNS1_14partition_implILS5_5ELb0ES3_mN6thrust23THRUST_200600_302600_NS6detail15normal_iteratorINSA_10device_ptrIjEEEEPS6_NSA_18transform_iteratorINSB_9not_fun_tI7is_trueIjEEENSC_INSD_IbEEEENSA_11use_defaultESO_EENS0_5tupleIJNSA_16discard_iteratorISO_EES6_EEENSQ_IJSG_SG_EEES6_PlJS6_EEE10hipError_tPvRmT3_T4_T5_T6_T7_T9_mT8_P12ihipStream_tbDpT10_ENKUlT_T0_E_clISt17integral_constantIbLb1EES1F_EEDaS1A_S1B_EUlS1A_E_NS1_11comp_targetILNS1_3genE9ELNS1_11target_archE1100ELNS1_3gpuE3ELNS1_3repE0EEENS1_30default_config_static_selectorELNS0_4arch9wavefront6targetE0EEEvT1_.private_seg_size, 0
	.set _ZN7rocprim17ROCPRIM_400000_NS6detail17trampoline_kernelINS0_14default_configENS1_25partition_config_selectorILNS1_17partition_subalgoE5EjNS0_10empty_typeEbEEZZNS1_14partition_implILS5_5ELb0ES3_mN6thrust23THRUST_200600_302600_NS6detail15normal_iteratorINSA_10device_ptrIjEEEEPS6_NSA_18transform_iteratorINSB_9not_fun_tI7is_trueIjEEENSC_INSD_IbEEEENSA_11use_defaultESO_EENS0_5tupleIJNSA_16discard_iteratorISO_EES6_EEENSQ_IJSG_SG_EEES6_PlJS6_EEE10hipError_tPvRmT3_T4_T5_T6_T7_T9_mT8_P12ihipStream_tbDpT10_ENKUlT_T0_E_clISt17integral_constantIbLb1EES1F_EEDaS1A_S1B_EUlS1A_E_NS1_11comp_targetILNS1_3genE9ELNS1_11target_archE1100ELNS1_3gpuE3ELNS1_3repE0EEENS1_30default_config_static_selectorELNS0_4arch9wavefront6targetE0EEEvT1_.uses_vcc, 0
	.set _ZN7rocprim17ROCPRIM_400000_NS6detail17trampoline_kernelINS0_14default_configENS1_25partition_config_selectorILNS1_17partition_subalgoE5EjNS0_10empty_typeEbEEZZNS1_14partition_implILS5_5ELb0ES3_mN6thrust23THRUST_200600_302600_NS6detail15normal_iteratorINSA_10device_ptrIjEEEEPS6_NSA_18transform_iteratorINSB_9not_fun_tI7is_trueIjEEENSC_INSD_IbEEEENSA_11use_defaultESO_EENS0_5tupleIJNSA_16discard_iteratorISO_EES6_EEENSQ_IJSG_SG_EEES6_PlJS6_EEE10hipError_tPvRmT3_T4_T5_T6_T7_T9_mT8_P12ihipStream_tbDpT10_ENKUlT_T0_E_clISt17integral_constantIbLb1EES1F_EEDaS1A_S1B_EUlS1A_E_NS1_11comp_targetILNS1_3genE9ELNS1_11target_archE1100ELNS1_3gpuE3ELNS1_3repE0EEENS1_30default_config_static_selectorELNS0_4arch9wavefront6targetE0EEEvT1_.uses_flat_scratch, 0
	.set _ZN7rocprim17ROCPRIM_400000_NS6detail17trampoline_kernelINS0_14default_configENS1_25partition_config_selectorILNS1_17partition_subalgoE5EjNS0_10empty_typeEbEEZZNS1_14partition_implILS5_5ELb0ES3_mN6thrust23THRUST_200600_302600_NS6detail15normal_iteratorINSA_10device_ptrIjEEEEPS6_NSA_18transform_iteratorINSB_9not_fun_tI7is_trueIjEEENSC_INSD_IbEEEENSA_11use_defaultESO_EENS0_5tupleIJNSA_16discard_iteratorISO_EES6_EEENSQ_IJSG_SG_EEES6_PlJS6_EEE10hipError_tPvRmT3_T4_T5_T6_T7_T9_mT8_P12ihipStream_tbDpT10_ENKUlT_T0_E_clISt17integral_constantIbLb1EES1F_EEDaS1A_S1B_EUlS1A_E_NS1_11comp_targetILNS1_3genE9ELNS1_11target_archE1100ELNS1_3gpuE3ELNS1_3repE0EEENS1_30default_config_static_selectorELNS0_4arch9wavefront6targetE0EEEvT1_.has_dyn_sized_stack, 0
	.set _ZN7rocprim17ROCPRIM_400000_NS6detail17trampoline_kernelINS0_14default_configENS1_25partition_config_selectorILNS1_17partition_subalgoE5EjNS0_10empty_typeEbEEZZNS1_14partition_implILS5_5ELb0ES3_mN6thrust23THRUST_200600_302600_NS6detail15normal_iteratorINSA_10device_ptrIjEEEEPS6_NSA_18transform_iteratorINSB_9not_fun_tI7is_trueIjEEENSC_INSD_IbEEEENSA_11use_defaultESO_EENS0_5tupleIJNSA_16discard_iteratorISO_EES6_EEENSQ_IJSG_SG_EEES6_PlJS6_EEE10hipError_tPvRmT3_T4_T5_T6_T7_T9_mT8_P12ihipStream_tbDpT10_ENKUlT_T0_E_clISt17integral_constantIbLb1EES1F_EEDaS1A_S1B_EUlS1A_E_NS1_11comp_targetILNS1_3genE9ELNS1_11target_archE1100ELNS1_3gpuE3ELNS1_3repE0EEENS1_30default_config_static_selectorELNS0_4arch9wavefront6targetE0EEEvT1_.has_recursion, 0
	.set _ZN7rocprim17ROCPRIM_400000_NS6detail17trampoline_kernelINS0_14default_configENS1_25partition_config_selectorILNS1_17partition_subalgoE5EjNS0_10empty_typeEbEEZZNS1_14partition_implILS5_5ELb0ES3_mN6thrust23THRUST_200600_302600_NS6detail15normal_iteratorINSA_10device_ptrIjEEEEPS6_NSA_18transform_iteratorINSB_9not_fun_tI7is_trueIjEEENSC_INSD_IbEEEENSA_11use_defaultESO_EENS0_5tupleIJNSA_16discard_iteratorISO_EES6_EEENSQ_IJSG_SG_EEES6_PlJS6_EEE10hipError_tPvRmT3_T4_T5_T6_T7_T9_mT8_P12ihipStream_tbDpT10_ENKUlT_T0_E_clISt17integral_constantIbLb1EES1F_EEDaS1A_S1B_EUlS1A_E_NS1_11comp_targetILNS1_3genE9ELNS1_11target_archE1100ELNS1_3gpuE3ELNS1_3repE0EEENS1_30default_config_static_selectorELNS0_4arch9wavefront6targetE0EEEvT1_.has_indirect_call, 0
	.section	.AMDGPU.csdata,"",@progbits
; Kernel info:
; codeLenInByte = 0
; TotalNumSgprs: 0
; NumVgprs: 0
; ScratchSize: 0
; MemoryBound: 0
; FloatMode: 240
; IeeeMode: 1
; LDSByteSize: 0 bytes/workgroup (compile time only)
; SGPRBlocks: 0
; VGPRBlocks: 0
; NumSGPRsForWavesPerEU: 1
; NumVGPRsForWavesPerEU: 1
; Occupancy: 16
; WaveLimiterHint : 0
; COMPUTE_PGM_RSRC2:SCRATCH_EN: 0
; COMPUTE_PGM_RSRC2:USER_SGPR: 2
; COMPUTE_PGM_RSRC2:TRAP_HANDLER: 0
; COMPUTE_PGM_RSRC2:TGID_X_EN: 1
; COMPUTE_PGM_RSRC2:TGID_Y_EN: 0
; COMPUTE_PGM_RSRC2:TGID_Z_EN: 0
; COMPUTE_PGM_RSRC2:TIDIG_COMP_CNT: 0
	.section	.text._ZN7rocprim17ROCPRIM_400000_NS6detail17trampoline_kernelINS0_14default_configENS1_25partition_config_selectorILNS1_17partition_subalgoE5EjNS0_10empty_typeEbEEZZNS1_14partition_implILS5_5ELb0ES3_mN6thrust23THRUST_200600_302600_NS6detail15normal_iteratorINSA_10device_ptrIjEEEEPS6_NSA_18transform_iteratorINSB_9not_fun_tI7is_trueIjEEENSC_INSD_IbEEEENSA_11use_defaultESO_EENS0_5tupleIJNSA_16discard_iteratorISO_EES6_EEENSQ_IJSG_SG_EEES6_PlJS6_EEE10hipError_tPvRmT3_T4_T5_T6_T7_T9_mT8_P12ihipStream_tbDpT10_ENKUlT_T0_E_clISt17integral_constantIbLb1EES1F_EEDaS1A_S1B_EUlS1A_E_NS1_11comp_targetILNS1_3genE8ELNS1_11target_archE1030ELNS1_3gpuE2ELNS1_3repE0EEENS1_30default_config_static_selectorELNS0_4arch9wavefront6targetE0EEEvT1_,"axG",@progbits,_ZN7rocprim17ROCPRIM_400000_NS6detail17trampoline_kernelINS0_14default_configENS1_25partition_config_selectorILNS1_17partition_subalgoE5EjNS0_10empty_typeEbEEZZNS1_14partition_implILS5_5ELb0ES3_mN6thrust23THRUST_200600_302600_NS6detail15normal_iteratorINSA_10device_ptrIjEEEEPS6_NSA_18transform_iteratorINSB_9not_fun_tI7is_trueIjEEENSC_INSD_IbEEEENSA_11use_defaultESO_EENS0_5tupleIJNSA_16discard_iteratorISO_EES6_EEENSQ_IJSG_SG_EEES6_PlJS6_EEE10hipError_tPvRmT3_T4_T5_T6_T7_T9_mT8_P12ihipStream_tbDpT10_ENKUlT_T0_E_clISt17integral_constantIbLb1EES1F_EEDaS1A_S1B_EUlS1A_E_NS1_11comp_targetILNS1_3genE8ELNS1_11target_archE1030ELNS1_3gpuE2ELNS1_3repE0EEENS1_30default_config_static_selectorELNS0_4arch9wavefront6targetE0EEEvT1_,comdat
	.protected	_ZN7rocprim17ROCPRIM_400000_NS6detail17trampoline_kernelINS0_14default_configENS1_25partition_config_selectorILNS1_17partition_subalgoE5EjNS0_10empty_typeEbEEZZNS1_14partition_implILS5_5ELb0ES3_mN6thrust23THRUST_200600_302600_NS6detail15normal_iteratorINSA_10device_ptrIjEEEEPS6_NSA_18transform_iteratorINSB_9not_fun_tI7is_trueIjEEENSC_INSD_IbEEEENSA_11use_defaultESO_EENS0_5tupleIJNSA_16discard_iteratorISO_EES6_EEENSQ_IJSG_SG_EEES6_PlJS6_EEE10hipError_tPvRmT3_T4_T5_T6_T7_T9_mT8_P12ihipStream_tbDpT10_ENKUlT_T0_E_clISt17integral_constantIbLb1EES1F_EEDaS1A_S1B_EUlS1A_E_NS1_11comp_targetILNS1_3genE8ELNS1_11target_archE1030ELNS1_3gpuE2ELNS1_3repE0EEENS1_30default_config_static_selectorELNS0_4arch9wavefront6targetE0EEEvT1_ ; -- Begin function _ZN7rocprim17ROCPRIM_400000_NS6detail17trampoline_kernelINS0_14default_configENS1_25partition_config_selectorILNS1_17partition_subalgoE5EjNS0_10empty_typeEbEEZZNS1_14partition_implILS5_5ELb0ES3_mN6thrust23THRUST_200600_302600_NS6detail15normal_iteratorINSA_10device_ptrIjEEEEPS6_NSA_18transform_iteratorINSB_9not_fun_tI7is_trueIjEEENSC_INSD_IbEEEENSA_11use_defaultESO_EENS0_5tupleIJNSA_16discard_iteratorISO_EES6_EEENSQ_IJSG_SG_EEES6_PlJS6_EEE10hipError_tPvRmT3_T4_T5_T6_T7_T9_mT8_P12ihipStream_tbDpT10_ENKUlT_T0_E_clISt17integral_constantIbLb1EES1F_EEDaS1A_S1B_EUlS1A_E_NS1_11comp_targetILNS1_3genE8ELNS1_11target_archE1030ELNS1_3gpuE2ELNS1_3repE0EEENS1_30default_config_static_selectorELNS0_4arch9wavefront6targetE0EEEvT1_
	.globl	_ZN7rocprim17ROCPRIM_400000_NS6detail17trampoline_kernelINS0_14default_configENS1_25partition_config_selectorILNS1_17partition_subalgoE5EjNS0_10empty_typeEbEEZZNS1_14partition_implILS5_5ELb0ES3_mN6thrust23THRUST_200600_302600_NS6detail15normal_iteratorINSA_10device_ptrIjEEEEPS6_NSA_18transform_iteratorINSB_9not_fun_tI7is_trueIjEEENSC_INSD_IbEEEENSA_11use_defaultESO_EENS0_5tupleIJNSA_16discard_iteratorISO_EES6_EEENSQ_IJSG_SG_EEES6_PlJS6_EEE10hipError_tPvRmT3_T4_T5_T6_T7_T9_mT8_P12ihipStream_tbDpT10_ENKUlT_T0_E_clISt17integral_constantIbLb1EES1F_EEDaS1A_S1B_EUlS1A_E_NS1_11comp_targetILNS1_3genE8ELNS1_11target_archE1030ELNS1_3gpuE2ELNS1_3repE0EEENS1_30default_config_static_selectorELNS0_4arch9wavefront6targetE0EEEvT1_
	.p2align	8
	.type	_ZN7rocprim17ROCPRIM_400000_NS6detail17trampoline_kernelINS0_14default_configENS1_25partition_config_selectorILNS1_17partition_subalgoE5EjNS0_10empty_typeEbEEZZNS1_14partition_implILS5_5ELb0ES3_mN6thrust23THRUST_200600_302600_NS6detail15normal_iteratorINSA_10device_ptrIjEEEEPS6_NSA_18transform_iteratorINSB_9not_fun_tI7is_trueIjEEENSC_INSD_IbEEEENSA_11use_defaultESO_EENS0_5tupleIJNSA_16discard_iteratorISO_EES6_EEENSQ_IJSG_SG_EEES6_PlJS6_EEE10hipError_tPvRmT3_T4_T5_T6_T7_T9_mT8_P12ihipStream_tbDpT10_ENKUlT_T0_E_clISt17integral_constantIbLb1EES1F_EEDaS1A_S1B_EUlS1A_E_NS1_11comp_targetILNS1_3genE8ELNS1_11target_archE1030ELNS1_3gpuE2ELNS1_3repE0EEENS1_30default_config_static_selectorELNS0_4arch9wavefront6targetE0EEEvT1_,@function
_ZN7rocprim17ROCPRIM_400000_NS6detail17trampoline_kernelINS0_14default_configENS1_25partition_config_selectorILNS1_17partition_subalgoE5EjNS0_10empty_typeEbEEZZNS1_14partition_implILS5_5ELb0ES3_mN6thrust23THRUST_200600_302600_NS6detail15normal_iteratorINSA_10device_ptrIjEEEEPS6_NSA_18transform_iteratorINSB_9not_fun_tI7is_trueIjEEENSC_INSD_IbEEEENSA_11use_defaultESO_EENS0_5tupleIJNSA_16discard_iteratorISO_EES6_EEENSQ_IJSG_SG_EEES6_PlJS6_EEE10hipError_tPvRmT3_T4_T5_T6_T7_T9_mT8_P12ihipStream_tbDpT10_ENKUlT_T0_E_clISt17integral_constantIbLb1EES1F_EEDaS1A_S1B_EUlS1A_E_NS1_11comp_targetILNS1_3genE8ELNS1_11target_archE1030ELNS1_3gpuE2ELNS1_3repE0EEENS1_30default_config_static_selectorELNS0_4arch9wavefront6targetE0EEEvT1_: ; @_ZN7rocprim17ROCPRIM_400000_NS6detail17trampoline_kernelINS0_14default_configENS1_25partition_config_selectorILNS1_17partition_subalgoE5EjNS0_10empty_typeEbEEZZNS1_14partition_implILS5_5ELb0ES3_mN6thrust23THRUST_200600_302600_NS6detail15normal_iteratorINSA_10device_ptrIjEEEEPS6_NSA_18transform_iteratorINSB_9not_fun_tI7is_trueIjEEENSC_INSD_IbEEEENSA_11use_defaultESO_EENS0_5tupleIJNSA_16discard_iteratorISO_EES6_EEENSQ_IJSG_SG_EEES6_PlJS6_EEE10hipError_tPvRmT3_T4_T5_T6_T7_T9_mT8_P12ihipStream_tbDpT10_ENKUlT_T0_E_clISt17integral_constantIbLb1EES1F_EEDaS1A_S1B_EUlS1A_E_NS1_11comp_targetILNS1_3genE8ELNS1_11target_archE1030ELNS1_3gpuE2ELNS1_3repE0EEENS1_30default_config_static_selectorELNS0_4arch9wavefront6targetE0EEEvT1_
; %bb.0:
	.section	.rodata,"a",@progbits
	.p2align	6, 0x0
	.amdhsa_kernel _ZN7rocprim17ROCPRIM_400000_NS6detail17trampoline_kernelINS0_14default_configENS1_25partition_config_selectorILNS1_17partition_subalgoE5EjNS0_10empty_typeEbEEZZNS1_14partition_implILS5_5ELb0ES3_mN6thrust23THRUST_200600_302600_NS6detail15normal_iteratorINSA_10device_ptrIjEEEEPS6_NSA_18transform_iteratorINSB_9not_fun_tI7is_trueIjEEENSC_INSD_IbEEEENSA_11use_defaultESO_EENS0_5tupleIJNSA_16discard_iteratorISO_EES6_EEENSQ_IJSG_SG_EEES6_PlJS6_EEE10hipError_tPvRmT3_T4_T5_T6_T7_T9_mT8_P12ihipStream_tbDpT10_ENKUlT_T0_E_clISt17integral_constantIbLb1EES1F_EEDaS1A_S1B_EUlS1A_E_NS1_11comp_targetILNS1_3genE8ELNS1_11target_archE1030ELNS1_3gpuE2ELNS1_3repE0EEENS1_30default_config_static_selectorELNS0_4arch9wavefront6targetE0EEEvT1_
		.amdhsa_group_segment_fixed_size 0
		.amdhsa_private_segment_fixed_size 0
		.amdhsa_kernarg_size 144
		.amdhsa_user_sgpr_count 2
		.amdhsa_user_sgpr_dispatch_ptr 0
		.amdhsa_user_sgpr_queue_ptr 0
		.amdhsa_user_sgpr_kernarg_segment_ptr 1
		.amdhsa_user_sgpr_dispatch_id 0
		.amdhsa_user_sgpr_private_segment_size 0
		.amdhsa_wavefront_size32 1
		.amdhsa_uses_dynamic_stack 0
		.amdhsa_enable_private_segment 0
		.amdhsa_system_sgpr_workgroup_id_x 1
		.amdhsa_system_sgpr_workgroup_id_y 0
		.amdhsa_system_sgpr_workgroup_id_z 0
		.amdhsa_system_sgpr_workgroup_info 0
		.amdhsa_system_vgpr_workitem_id 0
		.amdhsa_next_free_vgpr 1
		.amdhsa_next_free_sgpr 1
		.amdhsa_reserve_vcc 0
		.amdhsa_float_round_mode_32 0
		.amdhsa_float_round_mode_16_64 0
		.amdhsa_float_denorm_mode_32 3
		.amdhsa_float_denorm_mode_16_64 3
		.amdhsa_fp16_overflow 0
		.amdhsa_workgroup_processor_mode 1
		.amdhsa_memory_ordered 1
		.amdhsa_forward_progress 1
		.amdhsa_inst_pref_size 0
		.amdhsa_round_robin_scheduling 0
		.amdhsa_exception_fp_ieee_invalid_op 0
		.amdhsa_exception_fp_denorm_src 0
		.amdhsa_exception_fp_ieee_div_zero 0
		.amdhsa_exception_fp_ieee_overflow 0
		.amdhsa_exception_fp_ieee_underflow 0
		.amdhsa_exception_fp_ieee_inexact 0
		.amdhsa_exception_int_div_zero 0
	.end_amdhsa_kernel
	.section	.text._ZN7rocprim17ROCPRIM_400000_NS6detail17trampoline_kernelINS0_14default_configENS1_25partition_config_selectorILNS1_17partition_subalgoE5EjNS0_10empty_typeEbEEZZNS1_14partition_implILS5_5ELb0ES3_mN6thrust23THRUST_200600_302600_NS6detail15normal_iteratorINSA_10device_ptrIjEEEEPS6_NSA_18transform_iteratorINSB_9not_fun_tI7is_trueIjEEENSC_INSD_IbEEEENSA_11use_defaultESO_EENS0_5tupleIJNSA_16discard_iteratorISO_EES6_EEENSQ_IJSG_SG_EEES6_PlJS6_EEE10hipError_tPvRmT3_T4_T5_T6_T7_T9_mT8_P12ihipStream_tbDpT10_ENKUlT_T0_E_clISt17integral_constantIbLb1EES1F_EEDaS1A_S1B_EUlS1A_E_NS1_11comp_targetILNS1_3genE8ELNS1_11target_archE1030ELNS1_3gpuE2ELNS1_3repE0EEENS1_30default_config_static_selectorELNS0_4arch9wavefront6targetE0EEEvT1_,"axG",@progbits,_ZN7rocprim17ROCPRIM_400000_NS6detail17trampoline_kernelINS0_14default_configENS1_25partition_config_selectorILNS1_17partition_subalgoE5EjNS0_10empty_typeEbEEZZNS1_14partition_implILS5_5ELb0ES3_mN6thrust23THRUST_200600_302600_NS6detail15normal_iteratorINSA_10device_ptrIjEEEEPS6_NSA_18transform_iteratorINSB_9not_fun_tI7is_trueIjEEENSC_INSD_IbEEEENSA_11use_defaultESO_EENS0_5tupleIJNSA_16discard_iteratorISO_EES6_EEENSQ_IJSG_SG_EEES6_PlJS6_EEE10hipError_tPvRmT3_T4_T5_T6_T7_T9_mT8_P12ihipStream_tbDpT10_ENKUlT_T0_E_clISt17integral_constantIbLb1EES1F_EEDaS1A_S1B_EUlS1A_E_NS1_11comp_targetILNS1_3genE8ELNS1_11target_archE1030ELNS1_3gpuE2ELNS1_3repE0EEENS1_30default_config_static_selectorELNS0_4arch9wavefront6targetE0EEEvT1_,comdat
.Lfunc_end2700:
	.size	_ZN7rocprim17ROCPRIM_400000_NS6detail17trampoline_kernelINS0_14default_configENS1_25partition_config_selectorILNS1_17partition_subalgoE5EjNS0_10empty_typeEbEEZZNS1_14partition_implILS5_5ELb0ES3_mN6thrust23THRUST_200600_302600_NS6detail15normal_iteratorINSA_10device_ptrIjEEEEPS6_NSA_18transform_iteratorINSB_9not_fun_tI7is_trueIjEEENSC_INSD_IbEEEENSA_11use_defaultESO_EENS0_5tupleIJNSA_16discard_iteratorISO_EES6_EEENSQ_IJSG_SG_EEES6_PlJS6_EEE10hipError_tPvRmT3_T4_T5_T6_T7_T9_mT8_P12ihipStream_tbDpT10_ENKUlT_T0_E_clISt17integral_constantIbLb1EES1F_EEDaS1A_S1B_EUlS1A_E_NS1_11comp_targetILNS1_3genE8ELNS1_11target_archE1030ELNS1_3gpuE2ELNS1_3repE0EEENS1_30default_config_static_selectorELNS0_4arch9wavefront6targetE0EEEvT1_, .Lfunc_end2700-_ZN7rocprim17ROCPRIM_400000_NS6detail17trampoline_kernelINS0_14default_configENS1_25partition_config_selectorILNS1_17partition_subalgoE5EjNS0_10empty_typeEbEEZZNS1_14partition_implILS5_5ELb0ES3_mN6thrust23THRUST_200600_302600_NS6detail15normal_iteratorINSA_10device_ptrIjEEEEPS6_NSA_18transform_iteratorINSB_9not_fun_tI7is_trueIjEEENSC_INSD_IbEEEENSA_11use_defaultESO_EENS0_5tupleIJNSA_16discard_iteratorISO_EES6_EEENSQ_IJSG_SG_EEES6_PlJS6_EEE10hipError_tPvRmT3_T4_T5_T6_T7_T9_mT8_P12ihipStream_tbDpT10_ENKUlT_T0_E_clISt17integral_constantIbLb1EES1F_EEDaS1A_S1B_EUlS1A_E_NS1_11comp_targetILNS1_3genE8ELNS1_11target_archE1030ELNS1_3gpuE2ELNS1_3repE0EEENS1_30default_config_static_selectorELNS0_4arch9wavefront6targetE0EEEvT1_
                                        ; -- End function
	.set _ZN7rocprim17ROCPRIM_400000_NS6detail17trampoline_kernelINS0_14default_configENS1_25partition_config_selectorILNS1_17partition_subalgoE5EjNS0_10empty_typeEbEEZZNS1_14partition_implILS5_5ELb0ES3_mN6thrust23THRUST_200600_302600_NS6detail15normal_iteratorINSA_10device_ptrIjEEEEPS6_NSA_18transform_iteratorINSB_9not_fun_tI7is_trueIjEEENSC_INSD_IbEEEENSA_11use_defaultESO_EENS0_5tupleIJNSA_16discard_iteratorISO_EES6_EEENSQ_IJSG_SG_EEES6_PlJS6_EEE10hipError_tPvRmT3_T4_T5_T6_T7_T9_mT8_P12ihipStream_tbDpT10_ENKUlT_T0_E_clISt17integral_constantIbLb1EES1F_EEDaS1A_S1B_EUlS1A_E_NS1_11comp_targetILNS1_3genE8ELNS1_11target_archE1030ELNS1_3gpuE2ELNS1_3repE0EEENS1_30default_config_static_selectorELNS0_4arch9wavefront6targetE0EEEvT1_.num_vgpr, 0
	.set _ZN7rocprim17ROCPRIM_400000_NS6detail17trampoline_kernelINS0_14default_configENS1_25partition_config_selectorILNS1_17partition_subalgoE5EjNS0_10empty_typeEbEEZZNS1_14partition_implILS5_5ELb0ES3_mN6thrust23THRUST_200600_302600_NS6detail15normal_iteratorINSA_10device_ptrIjEEEEPS6_NSA_18transform_iteratorINSB_9not_fun_tI7is_trueIjEEENSC_INSD_IbEEEENSA_11use_defaultESO_EENS0_5tupleIJNSA_16discard_iteratorISO_EES6_EEENSQ_IJSG_SG_EEES6_PlJS6_EEE10hipError_tPvRmT3_T4_T5_T6_T7_T9_mT8_P12ihipStream_tbDpT10_ENKUlT_T0_E_clISt17integral_constantIbLb1EES1F_EEDaS1A_S1B_EUlS1A_E_NS1_11comp_targetILNS1_3genE8ELNS1_11target_archE1030ELNS1_3gpuE2ELNS1_3repE0EEENS1_30default_config_static_selectorELNS0_4arch9wavefront6targetE0EEEvT1_.num_agpr, 0
	.set _ZN7rocprim17ROCPRIM_400000_NS6detail17trampoline_kernelINS0_14default_configENS1_25partition_config_selectorILNS1_17partition_subalgoE5EjNS0_10empty_typeEbEEZZNS1_14partition_implILS5_5ELb0ES3_mN6thrust23THRUST_200600_302600_NS6detail15normal_iteratorINSA_10device_ptrIjEEEEPS6_NSA_18transform_iteratorINSB_9not_fun_tI7is_trueIjEEENSC_INSD_IbEEEENSA_11use_defaultESO_EENS0_5tupleIJNSA_16discard_iteratorISO_EES6_EEENSQ_IJSG_SG_EEES6_PlJS6_EEE10hipError_tPvRmT3_T4_T5_T6_T7_T9_mT8_P12ihipStream_tbDpT10_ENKUlT_T0_E_clISt17integral_constantIbLb1EES1F_EEDaS1A_S1B_EUlS1A_E_NS1_11comp_targetILNS1_3genE8ELNS1_11target_archE1030ELNS1_3gpuE2ELNS1_3repE0EEENS1_30default_config_static_selectorELNS0_4arch9wavefront6targetE0EEEvT1_.numbered_sgpr, 0
	.set _ZN7rocprim17ROCPRIM_400000_NS6detail17trampoline_kernelINS0_14default_configENS1_25partition_config_selectorILNS1_17partition_subalgoE5EjNS0_10empty_typeEbEEZZNS1_14partition_implILS5_5ELb0ES3_mN6thrust23THRUST_200600_302600_NS6detail15normal_iteratorINSA_10device_ptrIjEEEEPS6_NSA_18transform_iteratorINSB_9not_fun_tI7is_trueIjEEENSC_INSD_IbEEEENSA_11use_defaultESO_EENS0_5tupleIJNSA_16discard_iteratorISO_EES6_EEENSQ_IJSG_SG_EEES6_PlJS6_EEE10hipError_tPvRmT3_T4_T5_T6_T7_T9_mT8_P12ihipStream_tbDpT10_ENKUlT_T0_E_clISt17integral_constantIbLb1EES1F_EEDaS1A_S1B_EUlS1A_E_NS1_11comp_targetILNS1_3genE8ELNS1_11target_archE1030ELNS1_3gpuE2ELNS1_3repE0EEENS1_30default_config_static_selectorELNS0_4arch9wavefront6targetE0EEEvT1_.num_named_barrier, 0
	.set _ZN7rocprim17ROCPRIM_400000_NS6detail17trampoline_kernelINS0_14default_configENS1_25partition_config_selectorILNS1_17partition_subalgoE5EjNS0_10empty_typeEbEEZZNS1_14partition_implILS5_5ELb0ES3_mN6thrust23THRUST_200600_302600_NS6detail15normal_iteratorINSA_10device_ptrIjEEEEPS6_NSA_18transform_iteratorINSB_9not_fun_tI7is_trueIjEEENSC_INSD_IbEEEENSA_11use_defaultESO_EENS0_5tupleIJNSA_16discard_iteratorISO_EES6_EEENSQ_IJSG_SG_EEES6_PlJS6_EEE10hipError_tPvRmT3_T4_T5_T6_T7_T9_mT8_P12ihipStream_tbDpT10_ENKUlT_T0_E_clISt17integral_constantIbLb1EES1F_EEDaS1A_S1B_EUlS1A_E_NS1_11comp_targetILNS1_3genE8ELNS1_11target_archE1030ELNS1_3gpuE2ELNS1_3repE0EEENS1_30default_config_static_selectorELNS0_4arch9wavefront6targetE0EEEvT1_.private_seg_size, 0
	.set _ZN7rocprim17ROCPRIM_400000_NS6detail17trampoline_kernelINS0_14default_configENS1_25partition_config_selectorILNS1_17partition_subalgoE5EjNS0_10empty_typeEbEEZZNS1_14partition_implILS5_5ELb0ES3_mN6thrust23THRUST_200600_302600_NS6detail15normal_iteratorINSA_10device_ptrIjEEEEPS6_NSA_18transform_iteratorINSB_9not_fun_tI7is_trueIjEEENSC_INSD_IbEEEENSA_11use_defaultESO_EENS0_5tupleIJNSA_16discard_iteratorISO_EES6_EEENSQ_IJSG_SG_EEES6_PlJS6_EEE10hipError_tPvRmT3_T4_T5_T6_T7_T9_mT8_P12ihipStream_tbDpT10_ENKUlT_T0_E_clISt17integral_constantIbLb1EES1F_EEDaS1A_S1B_EUlS1A_E_NS1_11comp_targetILNS1_3genE8ELNS1_11target_archE1030ELNS1_3gpuE2ELNS1_3repE0EEENS1_30default_config_static_selectorELNS0_4arch9wavefront6targetE0EEEvT1_.uses_vcc, 0
	.set _ZN7rocprim17ROCPRIM_400000_NS6detail17trampoline_kernelINS0_14default_configENS1_25partition_config_selectorILNS1_17partition_subalgoE5EjNS0_10empty_typeEbEEZZNS1_14partition_implILS5_5ELb0ES3_mN6thrust23THRUST_200600_302600_NS6detail15normal_iteratorINSA_10device_ptrIjEEEEPS6_NSA_18transform_iteratorINSB_9not_fun_tI7is_trueIjEEENSC_INSD_IbEEEENSA_11use_defaultESO_EENS0_5tupleIJNSA_16discard_iteratorISO_EES6_EEENSQ_IJSG_SG_EEES6_PlJS6_EEE10hipError_tPvRmT3_T4_T5_T6_T7_T9_mT8_P12ihipStream_tbDpT10_ENKUlT_T0_E_clISt17integral_constantIbLb1EES1F_EEDaS1A_S1B_EUlS1A_E_NS1_11comp_targetILNS1_3genE8ELNS1_11target_archE1030ELNS1_3gpuE2ELNS1_3repE0EEENS1_30default_config_static_selectorELNS0_4arch9wavefront6targetE0EEEvT1_.uses_flat_scratch, 0
	.set _ZN7rocprim17ROCPRIM_400000_NS6detail17trampoline_kernelINS0_14default_configENS1_25partition_config_selectorILNS1_17partition_subalgoE5EjNS0_10empty_typeEbEEZZNS1_14partition_implILS5_5ELb0ES3_mN6thrust23THRUST_200600_302600_NS6detail15normal_iteratorINSA_10device_ptrIjEEEEPS6_NSA_18transform_iteratorINSB_9not_fun_tI7is_trueIjEEENSC_INSD_IbEEEENSA_11use_defaultESO_EENS0_5tupleIJNSA_16discard_iteratorISO_EES6_EEENSQ_IJSG_SG_EEES6_PlJS6_EEE10hipError_tPvRmT3_T4_T5_T6_T7_T9_mT8_P12ihipStream_tbDpT10_ENKUlT_T0_E_clISt17integral_constantIbLb1EES1F_EEDaS1A_S1B_EUlS1A_E_NS1_11comp_targetILNS1_3genE8ELNS1_11target_archE1030ELNS1_3gpuE2ELNS1_3repE0EEENS1_30default_config_static_selectorELNS0_4arch9wavefront6targetE0EEEvT1_.has_dyn_sized_stack, 0
	.set _ZN7rocprim17ROCPRIM_400000_NS6detail17trampoline_kernelINS0_14default_configENS1_25partition_config_selectorILNS1_17partition_subalgoE5EjNS0_10empty_typeEbEEZZNS1_14partition_implILS5_5ELb0ES3_mN6thrust23THRUST_200600_302600_NS6detail15normal_iteratorINSA_10device_ptrIjEEEEPS6_NSA_18transform_iteratorINSB_9not_fun_tI7is_trueIjEEENSC_INSD_IbEEEENSA_11use_defaultESO_EENS0_5tupleIJNSA_16discard_iteratorISO_EES6_EEENSQ_IJSG_SG_EEES6_PlJS6_EEE10hipError_tPvRmT3_T4_T5_T6_T7_T9_mT8_P12ihipStream_tbDpT10_ENKUlT_T0_E_clISt17integral_constantIbLb1EES1F_EEDaS1A_S1B_EUlS1A_E_NS1_11comp_targetILNS1_3genE8ELNS1_11target_archE1030ELNS1_3gpuE2ELNS1_3repE0EEENS1_30default_config_static_selectorELNS0_4arch9wavefront6targetE0EEEvT1_.has_recursion, 0
	.set _ZN7rocprim17ROCPRIM_400000_NS6detail17trampoline_kernelINS0_14default_configENS1_25partition_config_selectorILNS1_17partition_subalgoE5EjNS0_10empty_typeEbEEZZNS1_14partition_implILS5_5ELb0ES3_mN6thrust23THRUST_200600_302600_NS6detail15normal_iteratorINSA_10device_ptrIjEEEEPS6_NSA_18transform_iteratorINSB_9not_fun_tI7is_trueIjEEENSC_INSD_IbEEEENSA_11use_defaultESO_EENS0_5tupleIJNSA_16discard_iteratorISO_EES6_EEENSQ_IJSG_SG_EEES6_PlJS6_EEE10hipError_tPvRmT3_T4_T5_T6_T7_T9_mT8_P12ihipStream_tbDpT10_ENKUlT_T0_E_clISt17integral_constantIbLb1EES1F_EEDaS1A_S1B_EUlS1A_E_NS1_11comp_targetILNS1_3genE8ELNS1_11target_archE1030ELNS1_3gpuE2ELNS1_3repE0EEENS1_30default_config_static_selectorELNS0_4arch9wavefront6targetE0EEEvT1_.has_indirect_call, 0
	.section	.AMDGPU.csdata,"",@progbits
; Kernel info:
; codeLenInByte = 0
; TotalNumSgprs: 0
; NumVgprs: 0
; ScratchSize: 0
; MemoryBound: 0
; FloatMode: 240
; IeeeMode: 1
; LDSByteSize: 0 bytes/workgroup (compile time only)
; SGPRBlocks: 0
; VGPRBlocks: 0
; NumSGPRsForWavesPerEU: 1
; NumVGPRsForWavesPerEU: 1
; Occupancy: 16
; WaveLimiterHint : 0
; COMPUTE_PGM_RSRC2:SCRATCH_EN: 0
; COMPUTE_PGM_RSRC2:USER_SGPR: 2
; COMPUTE_PGM_RSRC2:TRAP_HANDLER: 0
; COMPUTE_PGM_RSRC2:TGID_X_EN: 1
; COMPUTE_PGM_RSRC2:TGID_Y_EN: 0
; COMPUTE_PGM_RSRC2:TGID_Z_EN: 0
; COMPUTE_PGM_RSRC2:TIDIG_COMP_CNT: 0
	.section	.text._ZN7rocprim17ROCPRIM_400000_NS6detail17trampoline_kernelINS0_14default_configENS1_25partition_config_selectorILNS1_17partition_subalgoE5EjNS0_10empty_typeEbEEZZNS1_14partition_implILS5_5ELb0ES3_mN6thrust23THRUST_200600_302600_NS6detail15normal_iteratorINSA_10device_ptrIjEEEEPS6_NSA_18transform_iteratorINSB_9not_fun_tI7is_trueIjEEENSC_INSD_IbEEEENSA_11use_defaultESO_EENS0_5tupleIJNSA_16discard_iteratorISO_EES6_EEENSQ_IJSG_SG_EEES6_PlJS6_EEE10hipError_tPvRmT3_T4_T5_T6_T7_T9_mT8_P12ihipStream_tbDpT10_ENKUlT_T0_E_clISt17integral_constantIbLb1EES1E_IbLb0EEEEDaS1A_S1B_EUlS1A_E_NS1_11comp_targetILNS1_3genE0ELNS1_11target_archE4294967295ELNS1_3gpuE0ELNS1_3repE0EEENS1_30default_config_static_selectorELNS0_4arch9wavefront6targetE0EEEvT1_,"axG",@progbits,_ZN7rocprim17ROCPRIM_400000_NS6detail17trampoline_kernelINS0_14default_configENS1_25partition_config_selectorILNS1_17partition_subalgoE5EjNS0_10empty_typeEbEEZZNS1_14partition_implILS5_5ELb0ES3_mN6thrust23THRUST_200600_302600_NS6detail15normal_iteratorINSA_10device_ptrIjEEEEPS6_NSA_18transform_iteratorINSB_9not_fun_tI7is_trueIjEEENSC_INSD_IbEEEENSA_11use_defaultESO_EENS0_5tupleIJNSA_16discard_iteratorISO_EES6_EEENSQ_IJSG_SG_EEES6_PlJS6_EEE10hipError_tPvRmT3_T4_T5_T6_T7_T9_mT8_P12ihipStream_tbDpT10_ENKUlT_T0_E_clISt17integral_constantIbLb1EES1E_IbLb0EEEEDaS1A_S1B_EUlS1A_E_NS1_11comp_targetILNS1_3genE0ELNS1_11target_archE4294967295ELNS1_3gpuE0ELNS1_3repE0EEENS1_30default_config_static_selectorELNS0_4arch9wavefront6targetE0EEEvT1_,comdat
	.protected	_ZN7rocprim17ROCPRIM_400000_NS6detail17trampoline_kernelINS0_14default_configENS1_25partition_config_selectorILNS1_17partition_subalgoE5EjNS0_10empty_typeEbEEZZNS1_14partition_implILS5_5ELb0ES3_mN6thrust23THRUST_200600_302600_NS6detail15normal_iteratorINSA_10device_ptrIjEEEEPS6_NSA_18transform_iteratorINSB_9not_fun_tI7is_trueIjEEENSC_INSD_IbEEEENSA_11use_defaultESO_EENS0_5tupleIJNSA_16discard_iteratorISO_EES6_EEENSQ_IJSG_SG_EEES6_PlJS6_EEE10hipError_tPvRmT3_T4_T5_T6_T7_T9_mT8_P12ihipStream_tbDpT10_ENKUlT_T0_E_clISt17integral_constantIbLb1EES1E_IbLb0EEEEDaS1A_S1B_EUlS1A_E_NS1_11comp_targetILNS1_3genE0ELNS1_11target_archE4294967295ELNS1_3gpuE0ELNS1_3repE0EEENS1_30default_config_static_selectorELNS0_4arch9wavefront6targetE0EEEvT1_ ; -- Begin function _ZN7rocprim17ROCPRIM_400000_NS6detail17trampoline_kernelINS0_14default_configENS1_25partition_config_selectorILNS1_17partition_subalgoE5EjNS0_10empty_typeEbEEZZNS1_14partition_implILS5_5ELb0ES3_mN6thrust23THRUST_200600_302600_NS6detail15normal_iteratorINSA_10device_ptrIjEEEEPS6_NSA_18transform_iteratorINSB_9not_fun_tI7is_trueIjEEENSC_INSD_IbEEEENSA_11use_defaultESO_EENS0_5tupleIJNSA_16discard_iteratorISO_EES6_EEENSQ_IJSG_SG_EEES6_PlJS6_EEE10hipError_tPvRmT3_T4_T5_T6_T7_T9_mT8_P12ihipStream_tbDpT10_ENKUlT_T0_E_clISt17integral_constantIbLb1EES1E_IbLb0EEEEDaS1A_S1B_EUlS1A_E_NS1_11comp_targetILNS1_3genE0ELNS1_11target_archE4294967295ELNS1_3gpuE0ELNS1_3repE0EEENS1_30default_config_static_selectorELNS0_4arch9wavefront6targetE0EEEvT1_
	.globl	_ZN7rocprim17ROCPRIM_400000_NS6detail17trampoline_kernelINS0_14default_configENS1_25partition_config_selectorILNS1_17partition_subalgoE5EjNS0_10empty_typeEbEEZZNS1_14partition_implILS5_5ELb0ES3_mN6thrust23THRUST_200600_302600_NS6detail15normal_iteratorINSA_10device_ptrIjEEEEPS6_NSA_18transform_iteratorINSB_9not_fun_tI7is_trueIjEEENSC_INSD_IbEEEENSA_11use_defaultESO_EENS0_5tupleIJNSA_16discard_iteratorISO_EES6_EEENSQ_IJSG_SG_EEES6_PlJS6_EEE10hipError_tPvRmT3_T4_T5_T6_T7_T9_mT8_P12ihipStream_tbDpT10_ENKUlT_T0_E_clISt17integral_constantIbLb1EES1E_IbLb0EEEEDaS1A_S1B_EUlS1A_E_NS1_11comp_targetILNS1_3genE0ELNS1_11target_archE4294967295ELNS1_3gpuE0ELNS1_3repE0EEENS1_30default_config_static_selectorELNS0_4arch9wavefront6targetE0EEEvT1_
	.p2align	8
	.type	_ZN7rocprim17ROCPRIM_400000_NS6detail17trampoline_kernelINS0_14default_configENS1_25partition_config_selectorILNS1_17partition_subalgoE5EjNS0_10empty_typeEbEEZZNS1_14partition_implILS5_5ELb0ES3_mN6thrust23THRUST_200600_302600_NS6detail15normal_iteratorINSA_10device_ptrIjEEEEPS6_NSA_18transform_iteratorINSB_9not_fun_tI7is_trueIjEEENSC_INSD_IbEEEENSA_11use_defaultESO_EENS0_5tupleIJNSA_16discard_iteratorISO_EES6_EEENSQ_IJSG_SG_EEES6_PlJS6_EEE10hipError_tPvRmT3_T4_T5_T6_T7_T9_mT8_P12ihipStream_tbDpT10_ENKUlT_T0_E_clISt17integral_constantIbLb1EES1E_IbLb0EEEEDaS1A_S1B_EUlS1A_E_NS1_11comp_targetILNS1_3genE0ELNS1_11target_archE4294967295ELNS1_3gpuE0ELNS1_3repE0EEENS1_30default_config_static_selectorELNS0_4arch9wavefront6targetE0EEEvT1_,@function
_ZN7rocprim17ROCPRIM_400000_NS6detail17trampoline_kernelINS0_14default_configENS1_25partition_config_selectorILNS1_17partition_subalgoE5EjNS0_10empty_typeEbEEZZNS1_14partition_implILS5_5ELb0ES3_mN6thrust23THRUST_200600_302600_NS6detail15normal_iteratorINSA_10device_ptrIjEEEEPS6_NSA_18transform_iteratorINSB_9not_fun_tI7is_trueIjEEENSC_INSD_IbEEEENSA_11use_defaultESO_EENS0_5tupleIJNSA_16discard_iteratorISO_EES6_EEENSQ_IJSG_SG_EEES6_PlJS6_EEE10hipError_tPvRmT3_T4_T5_T6_T7_T9_mT8_P12ihipStream_tbDpT10_ENKUlT_T0_E_clISt17integral_constantIbLb1EES1E_IbLb0EEEEDaS1A_S1B_EUlS1A_E_NS1_11comp_targetILNS1_3genE0ELNS1_11target_archE4294967295ELNS1_3gpuE0ELNS1_3repE0EEENS1_30default_config_static_selectorELNS0_4arch9wavefront6targetE0EEEvT1_: ; @_ZN7rocprim17ROCPRIM_400000_NS6detail17trampoline_kernelINS0_14default_configENS1_25partition_config_selectorILNS1_17partition_subalgoE5EjNS0_10empty_typeEbEEZZNS1_14partition_implILS5_5ELb0ES3_mN6thrust23THRUST_200600_302600_NS6detail15normal_iteratorINSA_10device_ptrIjEEEEPS6_NSA_18transform_iteratorINSB_9not_fun_tI7is_trueIjEEENSC_INSD_IbEEEENSA_11use_defaultESO_EENS0_5tupleIJNSA_16discard_iteratorISO_EES6_EEENSQ_IJSG_SG_EEES6_PlJS6_EEE10hipError_tPvRmT3_T4_T5_T6_T7_T9_mT8_P12ihipStream_tbDpT10_ENKUlT_T0_E_clISt17integral_constantIbLb1EES1E_IbLb0EEEEDaS1A_S1B_EUlS1A_E_NS1_11comp_targetILNS1_3genE0ELNS1_11target_archE4294967295ELNS1_3gpuE0ELNS1_3repE0EEENS1_30default_config_static_selectorELNS0_4arch9wavefront6targetE0EEEvT1_
; %bb.0:
	.section	.rodata,"a",@progbits
	.p2align	6, 0x0
	.amdhsa_kernel _ZN7rocprim17ROCPRIM_400000_NS6detail17trampoline_kernelINS0_14default_configENS1_25partition_config_selectorILNS1_17partition_subalgoE5EjNS0_10empty_typeEbEEZZNS1_14partition_implILS5_5ELb0ES3_mN6thrust23THRUST_200600_302600_NS6detail15normal_iteratorINSA_10device_ptrIjEEEEPS6_NSA_18transform_iteratorINSB_9not_fun_tI7is_trueIjEEENSC_INSD_IbEEEENSA_11use_defaultESO_EENS0_5tupleIJNSA_16discard_iteratorISO_EES6_EEENSQ_IJSG_SG_EEES6_PlJS6_EEE10hipError_tPvRmT3_T4_T5_T6_T7_T9_mT8_P12ihipStream_tbDpT10_ENKUlT_T0_E_clISt17integral_constantIbLb1EES1E_IbLb0EEEEDaS1A_S1B_EUlS1A_E_NS1_11comp_targetILNS1_3genE0ELNS1_11target_archE4294967295ELNS1_3gpuE0ELNS1_3repE0EEENS1_30default_config_static_selectorELNS0_4arch9wavefront6targetE0EEEvT1_
		.amdhsa_group_segment_fixed_size 0
		.amdhsa_private_segment_fixed_size 0
		.amdhsa_kernarg_size 128
		.amdhsa_user_sgpr_count 2
		.amdhsa_user_sgpr_dispatch_ptr 0
		.amdhsa_user_sgpr_queue_ptr 0
		.amdhsa_user_sgpr_kernarg_segment_ptr 1
		.amdhsa_user_sgpr_dispatch_id 0
		.amdhsa_user_sgpr_private_segment_size 0
		.amdhsa_wavefront_size32 1
		.amdhsa_uses_dynamic_stack 0
		.amdhsa_enable_private_segment 0
		.amdhsa_system_sgpr_workgroup_id_x 1
		.amdhsa_system_sgpr_workgroup_id_y 0
		.amdhsa_system_sgpr_workgroup_id_z 0
		.amdhsa_system_sgpr_workgroup_info 0
		.amdhsa_system_vgpr_workitem_id 0
		.amdhsa_next_free_vgpr 1
		.amdhsa_next_free_sgpr 1
		.amdhsa_reserve_vcc 0
		.amdhsa_float_round_mode_32 0
		.amdhsa_float_round_mode_16_64 0
		.amdhsa_float_denorm_mode_32 3
		.amdhsa_float_denorm_mode_16_64 3
		.amdhsa_fp16_overflow 0
		.amdhsa_workgroup_processor_mode 1
		.amdhsa_memory_ordered 1
		.amdhsa_forward_progress 1
		.amdhsa_inst_pref_size 0
		.amdhsa_round_robin_scheduling 0
		.amdhsa_exception_fp_ieee_invalid_op 0
		.amdhsa_exception_fp_denorm_src 0
		.amdhsa_exception_fp_ieee_div_zero 0
		.amdhsa_exception_fp_ieee_overflow 0
		.amdhsa_exception_fp_ieee_underflow 0
		.amdhsa_exception_fp_ieee_inexact 0
		.amdhsa_exception_int_div_zero 0
	.end_amdhsa_kernel
	.section	.text._ZN7rocprim17ROCPRIM_400000_NS6detail17trampoline_kernelINS0_14default_configENS1_25partition_config_selectorILNS1_17partition_subalgoE5EjNS0_10empty_typeEbEEZZNS1_14partition_implILS5_5ELb0ES3_mN6thrust23THRUST_200600_302600_NS6detail15normal_iteratorINSA_10device_ptrIjEEEEPS6_NSA_18transform_iteratorINSB_9not_fun_tI7is_trueIjEEENSC_INSD_IbEEEENSA_11use_defaultESO_EENS0_5tupleIJNSA_16discard_iteratorISO_EES6_EEENSQ_IJSG_SG_EEES6_PlJS6_EEE10hipError_tPvRmT3_T4_T5_T6_T7_T9_mT8_P12ihipStream_tbDpT10_ENKUlT_T0_E_clISt17integral_constantIbLb1EES1E_IbLb0EEEEDaS1A_S1B_EUlS1A_E_NS1_11comp_targetILNS1_3genE0ELNS1_11target_archE4294967295ELNS1_3gpuE0ELNS1_3repE0EEENS1_30default_config_static_selectorELNS0_4arch9wavefront6targetE0EEEvT1_,"axG",@progbits,_ZN7rocprim17ROCPRIM_400000_NS6detail17trampoline_kernelINS0_14default_configENS1_25partition_config_selectorILNS1_17partition_subalgoE5EjNS0_10empty_typeEbEEZZNS1_14partition_implILS5_5ELb0ES3_mN6thrust23THRUST_200600_302600_NS6detail15normal_iteratorINSA_10device_ptrIjEEEEPS6_NSA_18transform_iteratorINSB_9not_fun_tI7is_trueIjEEENSC_INSD_IbEEEENSA_11use_defaultESO_EENS0_5tupleIJNSA_16discard_iteratorISO_EES6_EEENSQ_IJSG_SG_EEES6_PlJS6_EEE10hipError_tPvRmT3_T4_T5_T6_T7_T9_mT8_P12ihipStream_tbDpT10_ENKUlT_T0_E_clISt17integral_constantIbLb1EES1E_IbLb0EEEEDaS1A_S1B_EUlS1A_E_NS1_11comp_targetILNS1_3genE0ELNS1_11target_archE4294967295ELNS1_3gpuE0ELNS1_3repE0EEENS1_30default_config_static_selectorELNS0_4arch9wavefront6targetE0EEEvT1_,comdat
.Lfunc_end2701:
	.size	_ZN7rocprim17ROCPRIM_400000_NS6detail17trampoline_kernelINS0_14default_configENS1_25partition_config_selectorILNS1_17partition_subalgoE5EjNS0_10empty_typeEbEEZZNS1_14partition_implILS5_5ELb0ES3_mN6thrust23THRUST_200600_302600_NS6detail15normal_iteratorINSA_10device_ptrIjEEEEPS6_NSA_18transform_iteratorINSB_9not_fun_tI7is_trueIjEEENSC_INSD_IbEEEENSA_11use_defaultESO_EENS0_5tupleIJNSA_16discard_iteratorISO_EES6_EEENSQ_IJSG_SG_EEES6_PlJS6_EEE10hipError_tPvRmT3_T4_T5_T6_T7_T9_mT8_P12ihipStream_tbDpT10_ENKUlT_T0_E_clISt17integral_constantIbLb1EES1E_IbLb0EEEEDaS1A_S1B_EUlS1A_E_NS1_11comp_targetILNS1_3genE0ELNS1_11target_archE4294967295ELNS1_3gpuE0ELNS1_3repE0EEENS1_30default_config_static_selectorELNS0_4arch9wavefront6targetE0EEEvT1_, .Lfunc_end2701-_ZN7rocprim17ROCPRIM_400000_NS6detail17trampoline_kernelINS0_14default_configENS1_25partition_config_selectorILNS1_17partition_subalgoE5EjNS0_10empty_typeEbEEZZNS1_14partition_implILS5_5ELb0ES3_mN6thrust23THRUST_200600_302600_NS6detail15normal_iteratorINSA_10device_ptrIjEEEEPS6_NSA_18transform_iteratorINSB_9not_fun_tI7is_trueIjEEENSC_INSD_IbEEEENSA_11use_defaultESO_EENS0_5tupleIJNSA_16discard_iteratorISO_EES6_EEENSQ_IJSG_SG_EEES6_PlJS6_EEE10hipError_tPvRmT3_T4_T5_T6_T7_T9_mT8_P12ihipStream_tbDpT10_ENKUlT_T0_E_clISt17integral_constantIbLb1EES1E_IbLb0EEEEDaS1A_S1B_EUlS1A_E_NS1_11comp_targetILNS1_3genE0ELNS1_11target_archE4294967295ELNS1_3gpuE0ELNS1_3repE0EEENS1_30default_config_static_selectorELNS0_4arch9wavefront6targetE0EEEvT1_
                                        ; -- End function
	.set _ZN7rocprim17ROCPRIM_400000_NS6detail17trampoline_kernelINS0_14default_configENS1_25partition_config_selectorILNS1_17partition_subalgoE5EjNS0_10empty_typeEbEEZZNS1_14partition_implILS5_5ELb0ES3_mN6thrust23THRUST_200600_302600_NS6detail15normal_iteratorINSA_10device_ptrIjEEEEPS6_NSA_18transform_iteratorINSB_9not_fun_tI7is_trueIjEEENSC_INSD_IbEEEENSA_11use_defaultESO_EENS0_5tupleIJNSA_16discard_iteratorISO_EES6_EEENSQ_IJSG_SG_EEES6_PlJS6_EEE10hipError_tPvRmT3_T4_T5_T6_T7_T9_mT8_P12ihipStream_tbDpT10_ENKUlT_T0_E_clISt17integral_constantIbLb1EES1E_IbLb0EEEEDaS1A_S1B_EUlS1A_E_NS1_11comp_targetILNS1_3genE0ELNS1_11target_archE4294967295ELNS1_3gpuE0ELNS1_3repE0EEENS1_30default_config_static_selectorELNS0_4arch9wavefront6targetE0EEEvT1_.num_vgpr, 0
	.set _ZN7rocprim17ROCPRIM_400000_NS6detail17trampoline_kernelINS0_14default_configENS1_25partition_config_selectorILNS1_17partition_subalgoE5EjNS0_10empty_typeEbEEZZNS1_14partition_implILS5_5ELb0ES3_mN6thrust23THRUST_200600_302600_NS6detail15normal_iteratorINSA_10device_ptrIjEEEEPS6_NSA_18transform_iteratorINSB_9not_fun_tI7is_trueIjEEENSC_INSD_IbEEEENSA_11use_defaultESO_EENS0_5tupleIJNSA_16discard_iteratorISO_EES6_EEENSQ_IJSG_SG_EEES6_PlJS6_EEE10hipError_tPvRmT3_T4_T5_T6_T7_T9_mT8_P12ihipStream_tbDpT10_ENKUlT_T0_E_clISt17integral_constantIbLb1EES1E_IbLb0EEEEDaS1A_S1B_EUlS1A_E_NS1_11comp_targetILNS1_3genE0ELNS1_11target_archE4294967295ELNS1_3gpuE0ELNS1_3repE0EEENS1_30default_config_static_selectorELNS0_4arch9wavefront6targetE0EEEvT1_.num_agpr, 0
	.set _ZN7rocprim17ROCPRIM_400000_NS6detail17trampoline_kernelINS0_14default_configENS1_25partition_config_selectorILNS1_17partition_subalgoE5EjNS0_10empty_typeEbEEZZNS1_14partition_implILS5_5ELb0ES3_mN6thrust23THRUST_200600_302600_NS6detail15normal_iteratorINSA_10device_ptrIjEEEEPS6_NSA_18transform_iteratorINSB_9not_fun_tI7is_trueIjEEENSC_INSD_IbEEEENSA_11use_defaultESO_EENS0_5tupleIJNSA_16discard_iteratorISO_EES6_EEENSQ_IJSG_SG_EEES6_PlJS6_EEE10hipError_tPvRmT3_T4_T5_T6_T7_T9_mT8_P12ihipStream_tbDpT10_ENKUlT_T0_E_clISt17integral_constantIbLb1EES1E_IbLb0EEEEDaS1A_S1B_EUlS1A_E_NS1_11comp_targetILNS1_3genE0ELNS1_11target_archE4294967295ELNS1_3gpuE0ELNS1_3repE0EEENS1_30default_config_static_selectorELNS0_4arch9wavefront6targetE0EEEvT1_.numbered_sgpr, 0
	.set _ZN7rocprim17ROCPRIM_400000_NS6detail17trampoline_kernelINS0_14default_configENS1_25partition_config_selectorILNS1_17partition_subalgoE5EjNS0_10empty_typeEbEEZZNS1_14partition_implILS5_5ELb0ES3_mN6thrust23THRUST_200600_302600_NS6detail15normal_iteratorINSA_10device_ptrIjEEEEPS6_NSA_18transform_iteratorINSB_9not_fun_tI7is_trueIjEEENSC_INSD_IbEEEENSA_11use_defaultESO_EENS0_5tupleIJNSA_16discard_iteratorISO_EES6_EEENSQ_IJSG_SG_EEES6_PlJS6_EEE10hipError_tPvRmT3_T4_T5_T6_T7_T9_mT8_P12ihipStream_tbDpT10_ENKUlT_T0_E_clISt17integral_constantIbLb1EES1E_IbLb0EEEEDaS1A_S1B_EUlS1A_E_NS1_11comp_targetILNS1_3genE0ELNS1_11target_archE4294967295ELNS1_3gpuE0ELNS1_3repE0EEENS1_30default_config_static_selectorELNS0_4arch9wavefront6targetE0EEEvT1_.num_named_barrier, 0
	.set _ZN7rocprim17ROCPRIM_400000_NS6detail17trampoline_kernelINS0_14default_configENS1_25partition_config_selectorILNS1_17partition_subalgoE5EjNS0_10empty_typeEbEEZZNS1_14partition_implILS5_5ELb0ES3_mN6thrust23THRUST_200600_302600_NS6detail15normal_iteratorINSA_10device_ptrIjEEEEPS6_NSA_18transform_iteratorINSB_9not_fun_tI7is_trueIjEEENSC_INSD_IbEEEENSA_11use_defaultESO_EENS0_5tupleIJNSA_16discard_iteratorISO_EES6_EEENSQ_IJSG_SG_EEES6_PlJS6_EEE10hipError_tPvRmT3_T4_T5_T6_T7_T9_mT8_P12ihipStream_tbDpT10_ENKUlT_T0_E_clISt17integral_constantIbLb1EES1E_IbLb0EEEEDaS1A_S1B_EUlS1A_E_NS1_11comp_targetILNS1_3genE0ELNS1_11target_archE4294967295ELNS1_3gpuE0ELNS1_3repE0EEENS1_30default_config_static_selectorELNS0_4arch9wavefront6targetE0EEEvT1_.private_seg_size, 0
	.set _ZN7rocprim17ROCPRIM_400000_NS6detail17trampoline_kernelINS0_14default_configENS1_25partition_config_selectorILNS1_17partition_subalgoE5EjNS0_10empty_typeEbEEZZNS1_14partition_implILS5_5ELb0ES3_mN6thrust23THRUST_200600_302600_NS6detail15normal_iteratorINSA_10device_ptrIjEEEEPS6_NSA_18transform_iteratorINSB_9not_fun_tI7is_trueIjEEENSC_INSD_IbEEEENSA_11use_defaultESO_EENS0_5tupleIJNSA_16discard_iteratorISO_EES6_EEENSQ_IJSG_SG_EEES6_PlJS6_EEE10hipError_tPvRmT3_T4_T5_T6_T7_T9_mT8_P12ihipStream_tbDpT10_ENKUlT_T0_E_clISt17integral_constantIbLb1EES1E_IbLb0EEEEDaS1A_S1B_EUlS1A_E_NS1_11comp_targetILNS1_3genE0ELNS1_11target_archE4294967295ELNS1_3gpuE0ELNS1_3repE0EEENS1_30default_config_static_selectorELNS0_4arch9wavefront6targetE0EEEvT1_.uses_vcc, 0
	.set _ZN7rocprim17ROCPRIM_400000_NS6detail17trampoline_kernelINS0_14default_configENS1_25partition_config_selectorILNS1_17partition_subalgoE5EjNS0_10empty_typeEbEEZZNS1_14partition_implILS5_5ELb0ES3_mN6thrust23THRUST_200600_302600_NS6detail15normal_iteratorINSA_10device_ptrIjEEEEPS6_NSA_18transform_iteratorINSB_9not_fun_tI7is_trueIjEEENSC_INSD_IbEEEENSA_11use_defaultESO_EENS0_5tupleIJNSA_16discard_iteratorISO_EES6_EEENSQ_IJSG_SG_EEES6_PlJS6_EEE10hipError_tPvRmT3_T4_T5_T6_T7_T9_mT8_P12ihipStream_tbDpT10_ENKUlT_T0_E_clISt17integral_constantIbLb1EES1E_IbLb0EEEEDaS1A_S1B_EUlS1A_E_NS1_11comp_targetILNS1_3genE0ELNS1_11target_archE4294967295ELNS1_3gpuE0ELNS1_3repE0EEENS1_30default_config_static_selectorELNS0_4arch9wavefront6targetE0EEEvT1_.uses_flat_scratch, 0
	.set _ZN7rocprim17ROCPRIM_400000_NS6detail17trampoline_kernelINS0_14default_configENS1_25partition_config_selectorILNS1_17partition_subalgoE5EjNS0_10empty_typeEbEEZZNS1_14partition_implILS5_5ELb0ES3_mN6thrust23THRUST_200600_302600_NS6detail15normal_iteratorINSA_10device_ptrIjEEEEPS6_NSA_18transform_iteratorINSB_9not_fun_tI7is_trueIjEEENSC_INSD_IbEEEENSA_11use_defaultESO_EENS0_5tupleIJNSA_16discard_iteratorISO_EES6_EEENSQ_IJSG_SG_EEES6_PlJS6_EEE10hipError_tPvRmT3_T4_T5_T6_T7_T9_mT8_P12ihipStream_tbDpT10_ENKUlT_T0_E_clISt17integral_constantIbLb1EES1E_IbLb0EEEEDaS1A_S1B_EUlS1A_E_NS1_11comp_targetILNS1_3genE0ELNS1_11target_archE4294967295ELNS1_3gpuE0ELNS1_3repE0EEENS1_30default_config_static_selectorELNS0_4arch9wavefront6targetE0EEEvT1_.has_dyn_sized_stack, 0
	.set _ZN7rocprim17ROCPRIM_400000_NS6detail17trampoline_kernelINS0_14default_configENS1_25partition_config_selectorILNS1_17partition_subalgoE5EjNS0_10empty_typeEbEEZZNS1_14partition_implILS5_5ELb0ES3_mN6thrust23THRUST_200600_302600_NS6detail15normal_iteratorINSA_10device_ptrIjEEEEPS6_NSA_18transform_iteratorINSB_9not_fun_tI7is_trueIjEEENSC_INSD_IbEEEENSA_11use_defaultESO_EENS0_5tupleIJNSA_16discard_iteratorISO_EES6_EEENSQ_IJSG_SG_EEES6_PlJS6_EEE10hipError_tPvRmT3_T4_T5_T6_T7_T9_mT8_P12ihipStream_tbDpT10_ENKUlT_T0_E_clISt17integral_constantIbLb1EES1E_IbLb0EEEEDaS1A_S1B_EUlS1A_E_NS1_11comp_targetILNS1_3genE0ELNS1_11target_archE4294967295ELNS1_3gpuE0ELNS1_3repE0EEENS1_30default_config_static_selectorELNS0_4arch9wavefront6targetE0EEEvT1_.has_recursion, 0
	.set _ZN7rocprim17ROCPRIM_400000_NS6detail17trampoline_kernelINS0_14default_configENS1_25partition_config_selectorILNS1_17partition_subalgoE5EjNS0_10empty_typeEbEEZZNS1_14partition_implILS5_5ELb0ES3_mN6thrust23THRUST_200600_302600_NS6detail15normal_iteratorINSA_10device_ptrIjEEEEPS6_NSA_18transform_iteratorINSB_9not_fun_tI7is_trueIjEEENSC_INSD_IbEEEENSA_11use_defaultESO_EENS0_5tupleIJNSA_16discard_iteratorISO_EES6_EEENSQ_IJSG_SG_EEES6_PlJS6_EEE10hipError_tPvRmT3_T4_T5_T6_T7_T9_mT8_P12ihipStream_tbDpT10_ENKUlT_T0_E_clISt17integral_constantIbLb1EES1E_IbLb0EEEEDaS1A_S1B_EUlS1A_E_NS1_11comp_targetILNS1_3genE0ELNS1_11target_archE4294967295ELNS1_3gpuE0ELNS1_3repE0EEENS1_30default_config_static_selectorELNS0_4arch9wavefront6targetE0EEEvT1_.has_indirect_call, 0
	.section	.AMDGPU.csdata,"",@progbits
; Kernel info:
; codeLenInByte = 0
; TotalNumSgprs: 0
; NumVgprs: 0
; ScratchSize: 0
; MemoryBound: 0
; FloatMode: 240
; IeeeMode: 1
; LDSByteSize: 0 bytes/workgroup (compile time only)
; SGPRBlocks: 0
; VGPRBlocks: 0
; NumSGPRsForWavesPerEU: 1
; NumVGPRsForWavesPerEU: 1
; Occupancy: 16
; WaveLimiterHint : 0
; COMPUTE_PGM_RSRC2:SCRATCH_EN: 0
; COMPUTE_PGM_RSRC2:USER_SGPR: 2
; COMPUTE_PGM_RSRC2:TRAP_HANDLER: 0
; COMPUTE_PGM_RSRC2:TGID_X_EN: 1
; COMPUTE_PGM_RSRC2:TGID_Y_EN: 0
; COMPUTE_PGM_RSRC2:TGID_Z_EN: 0
; COMPUTE_PGM_RSRC2:TIDIG_COMP_CNT: 0
	.section	.text._ZN7rocprim17ROCPRIM_400000_NS6detail17trampoline_kernelINS0_14default_configENS1_25partition_config_selectorILNS1_17partition_subalgoE5EjNS0_10empty_typeEbEEZZNS1_14partition_implILS5_5ELb0ES3_mN6thrust23THRUST_200600_302600_NS6detail15normal_iteratorINSA_10device_ptrIjEEEEPS6_NSA_18transform_iteratorINSB_9not_fun_tI7is_trueIjEEENSC_INSD_IbEEEENSA_11use_defaultESO_EENS0_5tupleIJNSA_16discard_iteratorISO_EES6_EEENSQ_IJSG_SG_EEES6_PlJS6_EEE10hipError_tPvRmT3_T4_T5_T6_T7_T9_mT8_P12ihipStream_tbDpT10_ENKUlT_T0_E_clISt17integral_constantIbLb1EES1E_IbLb0EEEEDaS1A_S1B_EUlS1A_E_NS1_11comp_targetILNS1_3genE5ELNS1_11target_archE942ELNS1_3gpuE9ELNS1_3repE0EEENS1_30default_config_static_selectorELNS0_4arch9wavefront6targetE0EEEvT1_,"axG",@progbits,_ZN7rocprim17ROCPRIM_400000_NS6detail17trampoline_kernelINS0_14default_configENS1_25partition_config_selectorILNS1_17partition_subalgoE5EjNS0_10empty_typeEbEEZZNS1_14partition_implILS5_5ELb0ES3_mN6thrust23THRUST_200600_302600_NS6detail15normal_iteratorINSA_10device_ptrIjEEEEPS6_NSA_18transform_iteratorINSB_9not_fun_tI7is_trueIjEEENSC_INSD_IbEEEENSA_11use_defaultESO_EENS0_5tupleIJNSA_16discard_iteratorISO_EES6_EEENSQ_IJSG_SG_EEES6_PlJS6_EEE10hipError_tPvRmT3_T4_T5_T6_T7_T9_mT8_P12ihipStream_tbDpT10_ENKUlT_T0_E_clISt17integral_constantIbLb1EES1E_IbLb0EEEEDaS1A_S1B_EUlS1A_E_NS1_11comp_targetILNS1_3genE5ELNS1_11target_archE942ELNS1_3gpuE9ELNS1_3repE0EEENS1_30default_config_static_selectorELNS0_4arch9wavefront6targetE0EEEvT1_,comdat
	.protected	_ZN7rocprim17ROCPRIM_400000_NS6detail17trampoline_kernelINS0_14default_configENS1_25partition_config_selectorILNS1_17partition_subalgoE5EjNS0_10empty_typeEbEEZZNS1_14partition_implILS5_5ELb0ES3_mN6thrust23THRUST_200600_302600_NS6detail15normal_iteratorINSA_10device_ptrIjEEEEPS6_NSA_18transform_iteratorINSB_9not_fun_tI7is_trueIjEEENSC_INSD_IbEEEENSA_11use_defaultESO_EENS0_5tupleIJNSA_16discard_iteratorISO_EES6_EEENSQ_IJSG_SG_EEES6_PlJS6_EEE10hipError_tPvRmT3_T4_T5_T6_T7_T9_mT8_P12ihipStream_tbDpT10_ENKUlT_T0_E_clISt17integral_constantIbLb1EES1E_IbLb0EEEEDaS1A_S1B_EUlS1A_E_NS1_11comp_targetILNS1_3genE5ELNS1_11target_archE942ELNS1_3gpuE9ELNS1_3repE0EEENS1_30default_config_static_selectorELNS0_4arch9wavefront6targetE0EEEvT1_ ; -- Begin function _ZN7rocprim17ROCPRIM_400000_NS6detail17trampoline_kernelINS0_14default_configENS1_25partition_config_selectorILNS1_17partition_subalgoE5EjNS0_10empty_typeEbEEZZNS1_14partition_implILS5_5ELb0ES3_mN6thrust23THRUST_200600_302600_NS6detail15normal_iteratorINSA_10device_ptrIjEEEEPS6_NSA_18transform_iteratorINSB_9not_fun_tI7is_trueIjEEENSC_INSD_IbEEEENSA_11use_defaultESO_EENS0_5tupleIJNSA_16discard_iteratorISO_EES6_EEENSQ_IJSG_SG_EEES6_PlJS6_EEE10hipError_tPvRmT3_T4_T5_T6_T7_T9_mT8_P12ihipStream_tbDpT10_ENKUlT_T0_E_clISt17integral_constantIbLb1EES1E_IbLb0EEEEDaS1A_S1B_EUlS1A_E_NS1_11comp_targetILNS1_3genE5ELNS1_11target_archE942ELNS1_3gpuE9ELNS1_3repE0EEENS1_30default_config_static_selectorELNS0_4arch9wavefront6targetE0EEEvT1_
	.globl	_ZN7rocprim17ROCPRIM_400000_NS6detail17trampoline_kernelINS0_14default_configENS1_25partition_config_selectorILNS1_17partition_subalgoE5EjNS0_10empty_typeEbEEZZNS1_14partition_implILS5_5ELb0ES3_mN6thrust23THRUST_200600_302600_NS6detail15normal_iteratorINSA_10device_ptrIjEEEEPS6_NSA_18transform_iteratorINSB_9not_fun_tI7is_trueIjEEENSC_INSD_IbEEEENSA_11use_defaultESO_EENS0_5tupleIJNSA_16discard_iteratorISO_EES6_EEENSQ_IJSG_SG_EEES6_PlJS6_EEE10hipError_tPvRmT3_T4_T5_T6_T7_T9_mT8_P12ihipStream_tbDpT10_ENKUlT_T0_E_clISt17integral_constantIbLb1EES1E_IbLb0EEEEDaS1A_S1B_EUlS1A_E_NS1_11comp_targetILNS1_3genE5ELNS1_11target_archE942ELNS1_3gpuE9ELNS1_3repE0EEENS1_30default_config_static_selectorELNS0_4arch9wavefront6targetE0EEEvT1_
	.p2align	8
	.type	_ZN7rocprim17ROCPRIM_400000_NS6detail17trampoline_kernelINS0_14default_configENS1_25partition_config_selectorILNS1_17partition_subalgoE5EjNS0_10empty_typeEbEEZZNS1_14partition_implILS5_5ELb0ES3_mN6thrust23THRUST_200600_302600_NS6detail15normal_iteratorINSA_10device_ptrIjEEEEPS6_NSA_18transform_iteratorINSB_9not_fun_tI7is_trueIjEEENSC_INSD_IbEEEENSA_11use_defaultESO_EENS0_5tupleIJNSA_16discard_iteratorISO_EES6_EEENSQ_IJSG_SG_EEES6_PlJS6_EEE10hipError_tPvRmT3_T4_T5_T6_T7_T9_mT8_P12ihipStream_tbDpT10_ENKUlT_T0_E_clISt17integral_constantIbLb1EES1E_IbLb0EEEEDaS1A_S1B_EUlS1A_E_NS1_11comp_targetILNS1_3genE5ELNS1_11target_archE942ELNS1_3gpuE9ELNS1_3repE0EEENS1_30default_config_static_selectorELNS0_4arch9wavefront6targetE0EEEvT1_,@function
_ZN7rocprim17ROCPRIM_400000_NS6detail17trampoline_kernelINS0_14default_configENS1_25partition_config_selectorILNS1_17partition_subalgoE5EjNS0_10empty_typeEbEEZZNS1_14partition_implILS5_5ELb0ES3_mN6thrust23THRUST_200600_302600_NS6detail15normal_iteratorINSA_10device_ptrIjEEEEPS6_NSA_18transform_iteratorINSB_9not_fun_tI7is_trueIjEEENSC_INSD_IbEEEENSA_11use_defaultESO_EENS0_5tupleIJNSA_16discard_iteratorISO_EES6_EEENSQ_IJSG_SG_EEES6_PlJS6_EEE10hipError_tPvRmT3_T4_T5_T6_T7_T9_mT8_P12ihipStream_tbDpT10_ENKUlT_T0_E_clISt17integral_constantIbLb1EES1E_IbLb0EEEEDaS1A_S1B_EUlS1A_E_NS1_11comp_targetILNS1_3genE5ELNS1_11target_archE942ELNS1_3gpuE9ELNS1_3repE0EEENS1_30default_config_static_selectorELNS0_4arch9wavefront6targetE0EEEvT1_: ; @_ZN7rocprim17ROCPRIM_400000_NS6detail17trampoline_kernelINS0_14default_configENS1_25partition_config_selectorILNS1_17partition_subalgoE5EjNS0_10empty_typeEbEEZZNS1_14partition_implILS5_5ELb0ES3_mN6thrust23THRUST_200600_302600_NS6detail15normal_iteratorINSA_10device_ptrIjEEEEPS6_NSA_18transform_iteratorINSB_9not_fun_tI7is_trueIjEEENSC_INSD_IbEEEENSA_11use_defaultESO_EENS0_5tupleIJNSA_16discard_iteratorISO_EES6_EEENSQ_IJSG_SG_EEES6_PlJS6_EEE10hipError_tPvRmT3_T4_T5_T6_T7_T9_mT8_P12ihipStream_tbDpT10_ENKUlT_T0_E_clISt17integral_constantIbLb1EES1E_IbLb0EEEEDaS1A_S1B_EUlS1A_E_NS1_11comp_targetILNS1_3genE5ELNS1_11target_archE942ELNS1_3gpuE9ELNS1_3repE0EEENS1_30default_config_static_selectorELNS0_4arch9wavefront6targetE0EEEvT1_
; %bb.0:
	.section	.rodata,"a",@progbits
	.p2align	6, 0x0
	.amdhsa_kernel _ZN7rocprim17ROCPRIM_400000_NS6detail17trampoline_kernelINS0_14default_configENS1_25partition_config_selectorILNS1_17partition_subalgoE5EjNS0_10empty_typeEbEEZZNS1_14partition_implILS5_5ELb0ES3_mN6thrust23THRUST_200600_302600_NS6detail15normal_iteratorINSA_10device_ptrIjEEEEPS6_NSA_18transform_iteratorINSB_9not_fun_tI7is_trueIjEEENSC_INSD_IbEEEENSA_11use_defaultESO_EENS0_5tupleIJNSA_16discard_iteratorISO_EES6_EEENSQ_IJSG_SG_EEES6_PlJS6_EEE10hipError_tPvRmT3_T4_T5_T6_T7_T9_mT8_P12ihipStream_tbDpT10_ENKUlT_T0_E_clISt17integral_constantIbLb1EES1E_IbLb0EEEEDaS1A_S1B_EUlS1A_E_NS1_11comp_targetILNS1_3genE5ELNS1_11target_archE942ELNS1_3gpuE9ELNS1_3repE0EEENS1_30default_config_static_selectorELNS0_4arch9wavefront6targetE0EEEvT1_
		.amdhsa_group_segment_fixed_size 0
		.amdhsa_private_segment_fixed_size 0
		.amdhsa_kernarg_size 128
		.amdhsa_user_sgpr_count 2
		.amdhsa_user_sgpr_dispatch_ptr 0
		.amdhsa_user_sgpr_queue_ptr 0
		.amdhsa_user_sgpr_kernarg_segment_ptr 1
		.amdhsa_user_sgpr_dispatch_id 0
		.amdhsa_user_sgpr_private_segment_size 0
		.amdhsa_wavefront_size32 1
		.amdhsa_uses_dynamic_stack 0
		.amdhsa_enable_private_segment 0
		.amdhsa_system_sgpr_workgroup_id_x 1
		.amdhsa_system_sgpr_workgroup_id_y 0
		.amdhsa_system_sgpr_workgroup_id_z 0
		.amdhsa_system_sgpr_workgroup_info 0
		.amdhsa_system_vgpr_workitem_id 0
		.amdhsa_next_free_vgpr 1
		.amdhsa_next_free_sgpr 1
		.amdhsa_reserve_vcc 0
		.amdhsa_float_round_mode_32 0
		.amdhsa_float_round_mode_16_64 0
		.amdhsa_float_denorm_mode_32 3
		.amdhsa_float_denorm_mode_16_64 3
		.amdhsa_fp16_overflow 0
		.amdhsa_workgroup_processor_mode 1
		.amdhsa_memory_ordered 1
		.amdhsa_forward_progress 1
		.amdhsa_inst_pref_size 0
		.amdhsa_round_robin_scheduling 0
		.amdhsa_exception_fp_ieee_invalid_op 0
		.amdhsa_exception_fp_denorm_src 0
		.amdhsa_exception_fp_ieee_div_zero 0
		.amdhsa_exception_fp_ieee_overflow 0
		.amdhsa_exception_fp_ieee_underflow 0
		.amdhsa_exception_fp_ieee_inexact 0
		.amdhsa_exception_int_div_zero 0
	.end_amdhsa_kernel
	.section	.text._ZN7rocprim17ROCPRIM_400000_NS6detail17trampoline_kernelINS0_14default_configENS1_25partition_config_selectorILNS1_17partition_subalgoE5EjNS0_10empty_typeEbEEZZNS1_14partition_implILS5_5ELb0ES3_mN6thrust23THRUST_200600_302600_NS6detail15normal_iteratorINSA_10device_ptrIjEEEEPS6_NSA_18transform_iteratorINSB_9not_fun_tI7is_trueIjEEENSC_INSD_IbEEEENSA_11use_defaultESO_EENS0_5tupleIJNSA_16discard_iteratorISO_EES6_EEENSQ_IJSG_SG_EEES6_PlJS6_EEE10hipError_tPvRmT3_T4_T5_T6_T7_T9_mT8_P12ihipStream_tbDpT10_ENKUlT_T0_E_clISt17integral_constantIbLb1EES1E_IbLb0EEEEDaS1A_S1B_EUlS1A_E_NS1_11comp_targetILNS1_3genE5ELNS1_11target_archE942ELNS1_3gpuE9ELNS1_3repE0EEENS1_30default_config_static_selectorELNS0_4arch9wavefront6targetE0EEEvT1_,"axG",@progbits,_ZN7rocprim17ROCPRIM_400000_NS6detail17trampoline_kernelINS0_14default_configENS1_25partition_config_selectorILNS1_17partition_subalgoE5EjNS0_10empty_typeEbEEZZNS1_14partition_implILS5_5ELb0ES3_mN6thrust23THRUST_200600_302600_NS6detail15normal_iteratorINSA_10device_ptrIjEEEEPS6_NSA_18transform_iteratorINSB_9not_fun_tI7is_trueIjEEENSC_INSD_IbEEEENSA_11use_defaultESO_EENS0_5tupleIJNSA_16discard_iteratorISO_EES6_EEENSQ_IJSG_SG_EEES6_PlJS6_EEE10hipError_tPvRmT3_T4_T5_T6_T7_T9_mT8_P12ihipStream_tbDpT10_ENKUlT_T0_E_clISt17integral_constantIbLb1EES1E_IbLb0EEEEDaS1A_S1B_EUlS1A_E_NS1_11comp_targetILNS1_3genE5ELNS1_11target_archE942ELNS1_3gpuE9ELNS1_3repE0EEENS1_30default_config_static_selectorELNS0_4arch9wavefront6targetE0EEEvT1_,comdat
.Lfunc_end2702:
	.size	_ZN7rocprim17ROCPRIM_400000_NS6detail17trampoline_kernelINS0_14default_configENS1_25partition_config_selectorILNS1_17partition_subalgoE5EjNS0_10empty_typeEbEEZZNS1_14partition_implILS5_5ELb0ES3_mN6thrust23THRUST_200600_302600_NS6detail15normal_iteratorINSA_10device_ptrIjEEEEPS6_NSA_18transform_iteratorINSB_9not_fun_tI7is_trueIjEEENSC_INSD_IbEEEENSA_11use_defaultESO_EENS0_5tupleIJNSA_16discard_iteratorISO_EES6_EEENSQ_IJSG_SG_EEES6_PlJS6_EEE10hipError_tPvRmT3_T4_T5_T6_T7_T9_mT8_P12ihipStream_tbDpT10_ENKUlT_T0_E_clISt17integral_constantIbLb1EES1E_IbLb0EEEEDaS1A_S1B_EUlS1A_E_NS1_11comp_targetILNS1_3genE5ELNS1_11target_archE942ELNS1_3gpuE9ELNS1_3repE0EEENS1_30default_config_static_selectorELNS0_4arch9wavefront6targetE0EEEvT1_, .Lfunc_end2702-_ZN7rocprim17ROCPRIM_400000_NS6detail17trampoline_kernelINS0_14default_configENS1_25partition_config_selectorILNS1_17partition_subalgoE5EjNS0_10empty_typeEbEEZZNS1_14partition_implILS5_5ELb0ES3_mN6thrust23THRUST_200600_302600_NS6detail15normal_iteratorINSA_10device_ptrIjEEEEPS6_NSA_18transform_iteratorINSB_9not_fun_tI7is_trueIjEEENSC_INSD_IbEEEENSA_11use_defaultESO_EENS0_5tupleIJNSA_16discard_iteratorISO_EES6_EEENSQ_IJSG_SG_EEES6_PlJS6_EEE10hipError_tPvRmT3_T4_T5_T6_T7_T9_mT8_P12ihipStream_tbDpT10_ENKUlT_T0_E_clISt17integral_constantIbLb1EES1E_IbLb0EEEEDaS1A_S1B_EUlS1A_E_NS1_11comp_targetILNS1_3genE5ELNS1_11target_archE942ELNS1_3gpuE9ELNS1_3repE0EEENS1_30default_config_static_selectorELNS0_4arch9wavefront6targetE0EEEvT1_
                                        ; -- End function
	.set _ZN7rocprim17ROCPRIM_400000_NS6detail17trampoline_kernelINS0_14default_configENS1_25partition_config_selectorILNS1_17partition_subalgoE5EjNS0_10empty_typeEbEEZZNS1_14partition_implILS5_5ELb0ES3_mN6thrust23THRUST_200600_302600_NS6detail15normal_iteratorINSA_10device_ptrIjEEEEPS6_NSA_18transform_iteratorINSB_9not_fun_tI7is_trueIjEEENSC_INSD_IbEEEENSA_11use_defaultESO_EENS0_5tupleIJNSA_16discard_iteratorISO_EES6_EEENSQ_IJSG_SG_EEES6_PlJS6_EEE10hipError_tPvRmT3_T4_T5_T6_T7_T9_mT8_P12ihipStream_tbDpT10_ENKUlT_T0_E_clISt17integral_constantIbLb1EES1E_IbLb0EEEEDaS1A_S1B_EUlS1A_E_NS1_11comp_targetILNS1_3genE5ELNS1_11target_archE942ELNS1_3gpuE9ELNS1_3repE0EEENS1_30default_config_static_selectorELNS0_4arch9wavefront6targetE0EEEvT1_.num_vgpr, 0
	.set _ZN7rocprim17ROCPRIM_400000_NS6detail17trampoline_kernelINS0_14default_configENS1_25partition_config_selectorILNS1_17partition_subalgoE5EjNS0_10empty_typeEbEEZZNS1_14partition_implILS5_5ELb0ES3_mN6thrust23THRUST_200600_302600_NS6detail15normal_iteratorINSA_10device_ptrIjEEEEPS6_NSA_18transform_iteratorINSB_9not_fun_tI7is_trueIjEEENSC_INSD_IbEEEENSA_11use_defaultESO_EENS0_5tupleIJNSA_16discard_iteratorISO_EES6_EEENSQ_IJSG_SG_EEES6_PlJS6_EEE10hipError_tPvRmT3_T4_T5_T6_T7_T9_mT8_P12ihipStream_tbDpT10_ENKUlT_T0_E_clISt17integral_constantIbLb1EES1E_IbLb0EEEEDaS1A_S1B_EUlS1A_E_NS1_11comp_targetILNS1_3genE5ELNS1_11target_archE942ELNS1_3gpuE9ELNS1_3repE0EEENS1_30default_config_static_selectorELNS0_4arch9wavefront6targetE0EEEvT1_.num_agpr, 0
	.set _ZN7rocprim17ROCPRIM_400000_NS6detail17trampoline_kernelINS0_14default_configENS1_25partition_config_selectorILNS1_17partition_subalgoE5EjNS0_10empty_typeEbEEZZNS1_14partition_implILS5_5ELb0ES3_mN6thrust23THRUST_200600_302600_NS6detail15normal_iteratorINSA_10device_ptrIjEEEEPS6_NSA_18transform_iteratorINSB_9not_fun_tI7is_trueIjEEENSC_INSD_IbEEEENSA_11use_defaultESO_EENS0_5tupleIJNSA_16discard_iteratorISO_EES6_EEENSQ_IJSG_SG_EEES6_PlJS6_EEE10hipError_tPvRmT3_T4_T5_T6_T7_T9_mT8_P12ihipStream_tbDpT10_ENKUlT_T0_E_clISt17integral_constantIbLb1EES1E_IbLb0EEEEDaS1A_S1B_EUlS1A_E_NS1_11comp_targetILNS1_3genE5ELNS1_11target_archE942ELNS1_3gpuE9ELNS1_3repE0EEENS1_30default_config_static_selectorELNS0_4arch9wavefront6targetE0EEEvT1_.numbered_sgpr, 0
	.set _ZN7rocprim17ROCPRIM_400000_NS6detail17trampoline_kernelINS0_14default_configENS1_25partition_config_selectorILNS1_17partition_subalgoE5EjNS0_10empty_typeEbEEZZNS1_14partition_implILS5_5ELb0ES3_mN6thrust23THRUST_200600_302600_NS6detail15normal_iteratorINSA_10device_ptrIjEEEEPS6_NSA_18transform_iteratorINSB_9not_fun_tI7is_trueIjEEENSC_INSD_IbEEEENSA_11use_defaultESO_EENS0_5tupleIJNSA_16discard_iteratorISO_EES6_EEENSQ_IJSG_SG_EEES6_PlJS6_EEE10hipError_tPvRmT3_T4_T5_T6_T7_T9_mT8_P12ihipStream_tbDpT10_ENKUlT_T0_E_clISt17integral_constantIbLb1EES1E_IbLb0EEEEDaS1A_S1B_EUlS1A_E_NS1_11comp_targetILNS1_3genE5ELNS1_11target_archE942ELNS1_3gpuE9ELNS1_3repE0EEENS1_30default_config_static_selectorELNS0_4arch9wavefront6targetE0EEEvT1_.num_named_barrier, 0
	.set _ZN7rocprim17ROCPRIM_400000_NS6detail17trampoline_kernelINS0_14default_configENS1_25partition_config_selectorILNS1_17partition_subalgoE5EjNS0_10empty_typeEbEEZZNS1_14partition_implILS5_5ELb0ES3_mN6thrust23THRUST_200600_302600_NS6detail15normal_iteratorINSA_10device_ptrIjEEEEPS6_NSA_18transform_iteratorINSB_9not_fun_tI7is_trueIjEEENSC_INSD_IbEEEENSA_11use_defaultESO_EENS0_5tupleIJNSA_16discard_iteratorISO_EES6_EEENSQ_IJSG_SG_EEES6_PlJS6_EEE10hipError_tPvRmT3_T4_T5_T6_T7_T9_mT8_P12ihipStream_tbDpT10_ENKUlT_T0_E_clISt17integral_constantIbLb1EES1E_IbLb0EEEEDaS1A_S1B_EUlS1A_E_NS1_11comp_targetILNS1_3genE5ELNS1_11target_archE942ELNS1_3gpuE9ELNS1_3repE0EEENS1_30default_config_static_selectorELNS0_4arch9wavefront6targetE0EEEvT1_.private_seg_size, 0
	.set _ZN7rocprim17ROCPRIM_400000_NS6detail17trampoline_kernelINS0_14default_configENS1_25partition_config_selectorILNS1_17partition_subalgoE5EjNS0_10empty_typeEbEEZZNS1_14partition_implILS5_5ELb0ES3_mN6thrust23THRUST_200600_302600_NS6detail15normal_iteratorINSA_10device_ptrIjEEEEPS6_NSA_18transform_iteratorINSB_9not_fun_tI7is_trueIjEEENSC_INSD_IbEEEENSA_11use_defaultESO_EENS0_5tupleIJNSA_16discard_iteratorISO_EES6_EEENSQ_IJSG_SG_EEES6_PlJS6_EEE10hipError_tPvRmT3_T4_T5_T6_T7_T9_mT8_P12ihipStream_tbDpT10_ENKUlT_T0_E_clISt17integral_constantIbLb1EES1E_IbLb0EEEEDaS1A_S1B_EUlS1A_E_NS1_11comp_targetILNS1_3genE5ELNS1_11target_archE942ELNS1_3gpuE9ELNS1_3repE0EEENS1_30default_config_static_selectorELNS0_4arch9wavefront6targetE0EEEvT1_.uses_vcc, 0
	.set _ZN7rocprim17ROCPRIM_400000_NS6detail17trampoline_kernelINS0_14default_configENS1_25partition_config_selectorILNS1_17partition_subalgoE5EjNS0_10empty_typeEbEEZZNS1_14partition_implILS5_5ELb0ES3_mN6thrust23THRUST_200600_302600_NS6detail15normal_iteratorINSA_10device_ptrIjEEEEPS6_NSA_18transform_iteratorINSB_9not_fun_tI7is_trueIjEEENSC_INSD_IbEEEENSA_11use_defaultESO_EENS0_5tupleIJNSA_16discard_iteratorISO_EES6_EEENSQ_IJSG_SG_EEES6_PlJS6_EEE10hipError_tPvRmT3_T4_T5_T6_T7_T9_mT8_P12ihipStream_tbDpT10_ENKUlT_T0_E_clISt17integral_constantIbLb1EES1E_IbLb0EEEEDaS1A_S1B_EUlS1A_E_NS1_11comp_targetILNS1_3genE5ELNS1_11target_archE942ELNS1_3gpuE9ELNS1_3repE0EEENS1_30default_config_static_selectorELNS0_4arch9wavefront6targetE0EEEvT1_.uses_flat_scratch, 0
	.set _ZN7rocprim17ROCPRIM_400000_NS6detail17trampoline_kernelINS0_14default_configENS1_25partition_config_selectorILNS1_17partition_subalgoE5EjNS0_10empty_typeEbEEZZNS1_14partition_implILS5_5ELb0ES3_mN6thrust23THRUST_200600_302600_NS6detail15normal_iteratorINSA_10device_ptrIjEEEEPS6_NSA_18transform_iteratorINSB_9not_fun_tI7is_trueIjEEENSC_INSD_IbEEEENSA_11use_defaultESO_EENS0_5tupleIJNSA_16discard_iteratorISO_EES6_EEENSQ_IJSG_SG_EEES6_PlJS6_EEE10hipError_tPvRmT3_T4_T5_T6_T7_T9_mT8_P12ihipStream_tbDpT10_ENKUlT_T0_E_clISt17integral_constantIbLb1EES1E_IbLb0EEEEDaS1A_S1B_EUlS1A_E_NS1_11comp_targetILNS1_3genE5ELNS1_11target_archE942ELNS1_3gpuE9ELNS1_3repE0EEENS1_30default_config_static_selectorELNS0_4arch9wavefront6targetE0EEEvT1_.has_dyn_sized_stack, 0
	.set _ZN7rocprim17ROCPRIM_400000_NS6detail17trampoline_kernelINS0_14default_configENS1_25partition_config_selectorILNS1_17partition_subalgoE5EjNS0_10empty_typeEbEEZZNS1_14partition_implILS5_5ELb0ES3_mN6thrust23THRUST_200600_302600_NS6detail15normal_iteratorINSA_10device_ptrIjEEEEPS6_NSA_18transform_iteratorINSB_9not_fun_tI7is_trueIjEEENSC_INSD_IbEEEENSA_11use_defaultESO_EENS0_5tupleIJNSA_16discard_iteratorISO_EES6_EEENSQ_IJSG_SG_EEES6_PlJS6_EEE10hipError_tPvRmT3_T4_T5_T6_T7_T9_mT8_P12ihipStream_tbDpT10_ENKUlT_T0_E_clISt17integral_constantIbLb1EES1E_IbLb0EEEEDaS1A_S1B_EUlS1A_E_NS1_11comp_targetILNS1_3genE5ELNS1_11target_archE942ELNS1_3gpuE9ELNS1_3repE0EEENS1_30default_config_static_selectorELNS0_4arch9wavefront6targetE0EEEvT1_.has_recursion, 0
	.set _ZN7rocprim17ROCPRIM_400000_NS6detail17trampoline_kernelINS0_14default_configENS1_25partition_config_selectorILNS1_17partition_subalgoE5EjNS0_10empty_typeEbEEZZNS1_14partition_implILS5_5ELb0ES3_mN6thrust23THRUST_200600_302600_NS6detail15normal_iteratorINSA_10device_ptrIjEEEEPS6_NSA_18transform_iteratorINSB_9not_fun_tI7is_trueIjEEENSC_INSD_IbEEEENSA_11use_defaultESO_EENS0_5tupleIJNSA_16discard_iteratorISO_EES6_EEENSQ_IJSG_SG_EEES6_PlJS6_EEE10hipError_tPvRmT3_T4_T5_T6_T7_T9_mT8_P12ihipStream_tbDpT10_ENKUlT_T0_E_clISt17integral_constantIbLb1EES1E_IbLb0EEEEDaS1A_S1B_EUlS1A_E_NS1_11comp_targetILNS1_3genE5ELNS1_11target_archE942ELNS1_3gpuE9ELNS1_3repE0EEENS1_30default_config_static_selectorELNS0_4arch9wavefront6targetE0EEEvT1_.has_indirect_call, 0
	.section	.AMDGPU.csdata,"",@progbits
; Kernel info:
; codeLenInByte = 0
; TotalNumSgprs: 0
; NumVgprs: 0
; ScratchSize: 0
; MemoryBound: 0
; FloatMode: 240
; IeeeMode: 1
; LDSByteSize: 0 bytes/workgroup (compile time only)
; SGPRBlocks: 0
; VGPRBlocks: 0
; NumSGPRsForWavesPerEU: 1
; NumVGPRsForWavesPerEU: 1
; Occupancy: 16
; WaveLimiterHint : 0
; COMPUTE_PGM_RSRC2:SCRATCH_EN: 0
; COMPUTE_PGM_RSRC2:USER_SGPR: 2
; COMPUTE_PGM_RSRC2:TRAP_HANDLER: 0
; COMPUTE_PGM_RSRC2:TGID_X_EN: 1
; COMPUTE_PGM_RSRC2:TGID_Y_EN: 0
; COMPUTE_PGM_RSRC2:TGID_Z_EN: 0
; COMPUTE_PGM_RSRC2:TIDIG_COMP_CNT: 0
	.section	.text._ZN7rocprim17ROCPRIM_400000_NS6detail17trampoline_kernelINS0_14default_configENS1_25partition_config_selectorILNS1_17partition_subalgoE5EjNS0_10empty_typeEbEEZZNS1_14partition_implILS5_5ELb0ES3_mN6thrust23THRUST_200600_302600_NS6detail15normal_iteratorINSA_10device_ptrIjEEEEPS6_NSA_18transform_iteratorINSB_9not_fun_tI7is_trueIjEEENSC_INSD_IbEEEENSA_11use_defaultESO_EENS0_5tupleIJNSA_16discard_iteratorISO_EES6_EEENSQ_IJSG_SG_EEES6_PlJS6_EEE10hipError_tPvRmT3_T4_T5_T6_T7_T9_mT8_P12ihipStream_tbDpT10_ENKUlT_T0_E_clISt17integral_constantIbLb1EES1E_IbLb0EEEEDaS1A_S1B_EUlS1A_E_NS1_11comp_targetILNS1_3genE4ELNS1_11target_archE910ELNS1_3gpuE8ELNS1_3repE0EEENS1_30default_config_static_selectorELNS0_4arch9wavefront6targetE0EEEvT1_,"axG",@progbits,_ZN7rocprim17ROCPRIM_400000_NS6detail17trampoline_kernelINS0_14default_configENS1_25partition_config_selectorILNS1_17partition_subalgoE5EjNS0_10empty_typeEbEEZZNS1_14partition_implILS5_5ELb0ES3_mN6thrust23THRUST_200600_302600_NS6detail15normal_iteratorINSA_10device_ptrIjEEEEPS6_NSA_18transform_iteratorINSB_9not_fun_tI7is_trueIjEEENSC_INSD_IbEEEENSA_11use_defaultESO_EENS0_5tupleIJNSA_16discard_iteratorISO_EES6_EEENSQ_IJSG_SG_EEES6_PlJS6_EEE10hipError_tPvRmT3_T4_T5_T6_T7_T9_mT8_P12ihipStream_tbDpT10_ENKUlT_T0_E_clISt17integral_constantIbLb1EES1E_IbLb0EEEEDaS1A_S1B_EUlS1A_E_NS1_11comp_targetILNS1_3genE4ELNS1_11target_archE910ELNS1_3gpuE8ELNS1_3repE0EEENS1_30default_config_static_selectorELNS0_4arch9wavefront6targetE0EEEvT1_,comdat
	.protected	_ZN7rocprim17ROCPRIM_400000_NS6detail17trampoline_kernelINS0_14default_configENS1_25partition_config_selectorILNS1_17partition_subalgoE5EjNS0_10empty_typeEbEEZZNS1_14partition_implILS5_5ELb0ES3_mN6thrust23THRUST_200600_302600_NS6detail15normal_iteratorINSA_10device_ptrIjEEEEPS6_NSA_18transform_iteratorINSB_9not_fun_tI7is_trueIjEEENSC_INSD_IbEEEENSA_11use_defaultESO_EENS0_5tupleIJNSA_16discard_iteratorISO_EES6_EEENSQ_IJSG_SG_EEES6_PlJS6_EEE10hipError_tPvRmT3_T4_T5_T6_T7_T9_mT8_P12ihipStream_tbDpT10_ENKUlT_T0_E_clISt17integral_constantIbLb1EES1E_IbLb0EEEEDaS1A_S1B_EUlS1A_E_NS1_11comp_targetILNS1_3genE4ELNS1_11target_archE910ELNS1_3gpuE8ELNS1_3repE0EEENS1_30default_config_static_selectorELNS0_4arch9wavefront6targetE0EEEvT1_ ; -- Begin function _ZN7rocprim17ROCPRIM_400000_NS6detail17trampoline_kernelINS0_14default_configENS1_25partition_config_selectorILNS1_17partition_subalgoE5EjNS0_10empty_typeEbEEZZNS1_14partition_implILS5_5ELb0ES3_mN6thrust23THRUST_200600_302600_NS6detail15normal_iteratorINSA_10device_ptrIjEEEEPS6_NSA_18transform_iteratorINSB_9not_fun_tI7is_trueIjEEENSC_INSD_IbEEEENSA_11use_defaultESO_EENS0_5tupleIJNSA_16discard_iteratorISO_EES6_EEENSQ_IJSG_SG_EEES6_PlJS6_EEE10hipError_tPvRmT3_T4_T5_T6_T7_T9_mT8_P12ihipStream_tbDpT10_ENKUlT_T0_E_clISt17integral_constantIbLb1EES1E_IbLb0EEEEDaS1A_S1B_EUlS1A_E_NS1_11comp_targetILNS1_3genE4ELNS1_11target_archE910ELNS1_3gpuE8ELNS1_3repE0EEENS1_30default_config_static_selectorELNS0_4arch9wavefront6targetE0EEEvT1_
	.globl	_ZN7rocprim17ROCPRIM_400000_NS6detail17trampoline_kernelINS0_14default_configENS1_25partition_config_selectorILNS1_17partition_subalgoE5EjNS0_10empty_typeEbEEZZNS1_14partition_implILS5_5ELb0ES3_mN6thrust23THRUST_200600_302600_NS6detail15normal_iteratorINSA_10device_ptrIjEEEEPS6_NSA_18transform_iteratorINSB_9not_fun_tI7is_trueIjEEENSC_INSD_IbEEEENSA_11use_defaultESO_EENS0_5tupleIJNSA_16discard_iteratorISO_EES6_EEENSQ_IJSG_SG_EEES6_PlJS6_EEE10hipError_tPvRmT3_T4_T5_T6_T7_T9_mT8_P12ihipStream_tbDpT10_ENKUlT_T0_E_clISt17integral_constantIbLb1EES1E_IbLb0EEEEDaS1A_S1B_EUlS1A_E_NS1_11comp_targetILNS1_3genE4ELNS1_11target_archE910ELNS1_3gpuE8ELNS1_3repE0EEENS1_30default_config_static_selectorELNS0_4arch9wavefront6targetE0EEEvT1_
	.p2align	8
	.type	_ZN7rocprim17ROCPRIM_400000_NS6detail17trampoline_kernelINS0_14default_configENS1_25partition_config_selectorILNS1_17partition_subalgoE5EjNS0_10empty_typeEbEEZZNS1_14partition_implILS5_5ELb0ES3_mN6thrust23THRUST_200600_302600_NS6detail15normal_iteratorINSA_10device_ptrIjEEEEPS6_NSA_18transform_iteratorINSB_9not_fun_tI7is_trueIjEEENSC_INSD_IbEEEENSA_11use_defaultESO_EENS0_5tupleIJNSA_16discard_iteratorISO_EES6_EEENSQ_IJSG_SG_EEES6_PlJS6_EEE10hipError_tPvRmT3_T4_T5_T6_T7_T9_mT8_P12ihipStream_tbDpT10_ENKUlT_T0_E_clISt17integral_constantIbLb1EES1E_IbLb0EEEEDaS1A_S1B_EUlS1A_E_NS1_11comp_targetILNS1_3genE4ELNS1_11target_archE910ELNS1_3gpuE8ELNS1_3repE0EEENS1_30default_config_static_selectorELNS0_4arch9wavefront6targetE0EEEvT1_,@function
_ZN7rocprim17ROCPRIM_400000_NS6detail17trampoline_kernelINS0_14default_configENS1_25partition_config_selectorILNS1_17partition_subalgoE5EjNS0_10empty_typeEbEEZZNS1_14partition_implILS5_5ELb0ES3_mN6thrust23THRUST_200600_302600_NS6detail15normal_iteratorINSA_10device_ptrIjEEEEPS6_NSA_18transform_iteratorINSB_9not_fun_tI7is_trueIjEEENSC_INSD_IbEEEENSA_11use_defaultESO_EENS0_5tupleIJNSA_16discard_iteratorISO_EES6_EEENSQ_IJSG_SG_EEES6_PlJS6_EEE10hipError_tPvRmT3_T4_T5_T6_T7_T9_mT8_P12ihipStream_tbDpT10_ENKUlT_T0_E_clISt17integral_constantIbLb1EES1E_IbLb0EEEEDaS1A_S1B_EUlS1A_E_NS1_11comp_targetILNS1_3genE4ELNS1_11target_archE910ELNS1_3gpuE8ELNS1_3repE0EEENS1_30default_config_static_selectorELNS0_4arch9wavefront6targetE0EEEvT1_: ; @_ZN7rocprim17ROCPRIM_400000_NS6detail17trampoline_kernelINS0_14default_configENS1_25partition_config_selectorILNS1_17partition_subalgoE5EjNS0_10empty_typeEbEEZZNS1_14partition_implILS5_5ELb0ES3_mN6thrust23THRUST_200600_302600_NS6detail15normal_iteratorINSA_10device_ptrIjEEEEPS6_NSA_18transform_iteratorINSB_9not_fun_tI7is_trueIjEEENSC_INSD_IbEEEENSA_11use_defaultESO_EENS0_5tupleIJNSA_16discard_iteratorISO_EES6_EEENSQ_IJSG_SG_EEES6_PlJS6_EEE10hipError_tPvRmT3_T4_T5_T6_T7_T9_mT8_P12ihipStream_tbDpT10_ENKUlT_T0_E_clISt17integral_constantIbLb1EES1E_IbLb0EEEEDaS1A_S1B_EUlS1A_E_NS1_11comp_targetILNS1_3genE4ELNS1_11target_archE910ELNS1_3gpuE8ELNS1_3repE0EEENS1_30default_config_static_selectorELNS0_4arch9wavefront6targetE0EEEvT1_
; %bb.0:
	.section	.rodata,"a",@progbits
	.p2align	6, 0x0
	.amdhsa_kernel _ZN7rocprim17ROCPRIM_400000_NS6detail17trampoline_kernelINS0_14default_configENS1_25partition_config_selectorILNS1_17partition_subalgoE5EjNS0_10empty_typeEbEEZZNS1_14partition_implILS5_5ELb0ES3_mN6thrust23THRUST_200600_302600_NS6detail15normal_iteratorINSA_10device_ptrIjEEEEPS6_NSA_18transform_iteratorINSB_9not_fun_tI7is_trueIjEEENSC_INSD_IbEEEENSA_11use_defaultESO_EENS0_5tupleIJNSA_16discard_iteratorISO_EES6_EEENSQ_IJSG_SG_EEES6_PlJS6_EEE10hipError_tPvRmT3_T4_T5_T6_T7_T9_mT8_P12ihipStream_tbDpT10_ENKUlT_T0_E_clISt17integral_constantIbLb1EES1E_IbLb0EEEEDaS1A_S1B_EUlS1A_E_NS1_11comp_targetILNS1_3genE4ELNS1_11target_archE910ELNS1_3gpuE8ELNS1_3repE0EEENS1_30default_config_static_selectorELNS0_4arch9wavefront6targetE0EEEvT1_
		.amdhsa_group_segment_fixed_size 0
		.amdhsa_private_segment_fixed_size 0
		.amdhsa_kernarg_size 128
		.amdhsa_user_sgpr_count 2
		.amdhsa_user_sgpr_dispatch_ptr 0
		.amdhsa_user_sgpr_queue_ptr 0
		.amdhsa_user_sgpr_kernarg_segment_ptr 1
		.amdhsa_user_sgpr_dispatch_id 0
		.amdhsa_user_sgpr_private_segment_size 0
		.amdhsa_wavefront_size32 1
		.amdhsa_uses_dynamic_stack 0
		.amdhsa_enable_private_segment 0
		.amdhsa_system_sgpr_workgroup_id_x 1
		.amdhsa_system_sgpr_workgroup_id_y 0
		.amdhsa_system_sgpr_workgroup_id_z 0
		.amdhsa_system_sgpr_workgroup_info 0
		.amdhsa_system_vgpr_workitem_id 0
		.amdhsa_next_free_vgpr 1
		.amdhsa_next_free_sgpr 1
		.amdhsa_reserve_vcc 0
		.amdhsa_float_round_mode_32 0
		.amdhsa_float_round_mode_16_64 0
		.amdhsa_float_denorm_mode_32 3
		.amdhsa_float_denorm_mode_16_64 3
		.amdhsa_fp16_overflow 0
		.amdhsa_workgroup_processor_mode 1
		.amdhsa_memory_ordered 1
		.amdhsa_forward_progress 1
		.amdhsa_inst_pref_size 0
		.amdhsa_round_robin_scheduling 0
		.amdhsa_exception_fp_ieee_invalid_op 0
		.amdhsa_exception_fp_denorm_src 0
		.amdhsa_exception_fp_ieee_div_zero 0
		.amdhsa_exception_fp_ieee_overflow 0
		.amdhsa_exception_fp_ieee_underflow 0
		.amdhsa_exception_fp_ieee_inexact 0
		.amdhsa_exception_int_div_zero 0
	.end_amdhsa_kernel
	.section	.text._ZN7rocprim17ROCPRIM_400000_NS6detail17trampoline_kernelINS0_14default_configENS1_25partition_config_selectorILNS1_17partition_subalgoE5EjNS0_10empty_typeEbEEZZNS1_14partition_implILS5_5ELb0ES3_mN6thrust23THRUST_200600_302600_NS6detail15normal_iteratorINSA_10device_ptrIjEEEEPS6_NSA_18transform_iteratorINSB_9not_fun_tI7is_trueIjEEENSC_INSD_IbEEEENSA_11use_defaultESO_EENS0_5tupleIJNSA_16discard_iteratorISO_EES6_EEENSQ_IJSG_SG_EEES6_PlJS6_EEE10hipError_tPvRmT3_T4_T5_T6_T7_T9_mT8_P12ihipStream_tbDpT10_ENKUlT_T0_E_clISt17integral_constantIbLb1EES1E_IbLb0EEEEDaS1A_S1B_EUlS1A_E_NS1_11comp_targetILNS1_3genE4ELNS1_11target_archE910ELNS1_3gpuE8ELNS1_3repE0EEENS1_30default_config_static_selectorELNS0_4arch9wavefront6targetE0EEEvT1_,"axG",@progbits,_ZN7rocprim17ROCPRIM_400000_NS6detail17trampoline_kernelINS0_14default_configENS1_25partition_config_selectorILNS1_17partition_subalgoE5EjNS0_10empty_typeEbEEZZNS1_14partition_implILS5_5ELb0ES3_mN6thrust23THRUST_200600_302600_NS6detail15normal_iteratorINSA_10device_ptrIjEEEEPS6_NSA_18transform_iteratorINSB_9not_fun_tI7is_trueIjEEENSC_INSD_IbEEEENSA_11use_defaultESO_EENS0_5tupleIJNSA_16discard_iteratorISO_EES6_EEENSQ_IJSG_SG_EEES6_PlJS6_EEE10hipError_tPvRmT3_T4_T5_T6_T7_T9_mT8_P12ihipStream_tbDpT10_ENKUlT_T0_E_clISt17integral_constantIbLb1EES1E_IbLb0EEEEDaS1A_S1B_EUlS1A_E_NS1_11comp_targetILNS1_3genE4ELNS1_11target_archE910ELNS1_3gpuE8ELNS1_3repE0EEENS1_30default_config_static_selectorELNS0_4arch9wavefront6targetE0EEEvT1_,comdat
.Lfunc_end2703:
	.size	_ZN7rocprim17ROCPRIM_400000_NS6detail17trampoline_kernelINS0_14default_configENS1_25partition_config_selectorILNS1_17partition_subalgoE5EjNS0_10empty_typeEbEEZZNS1_14partition_implILS5_5ELb0ES3_mN6thrust23THRUST_200600_302600_NS6detail15normal_iteratorINSA_10device_ptrIjEEEEPS6_NSA_18transform_iteratorINSB_9not_fun_tI7is_trueIjEEENSC_INSD_IbEEEENSA_11use_defaultESO_EENS0_5tupleIJNSA_16discard_iteratorISO_EES6_EEENSQ_IJSG_SG_EEES6_PlJS6_EEE10hipError_tPvRmT3_T4_T5_T6_T7_T9_mT8_P12ihipStream_tbDpT10_ENKUlT_T0_E_clISt17integral_constantIbLb1EES1E_IbLb0EEEEDaS1A_S1B_EUlS1A_E_NS1_11comp_targetILNS1_3genE4ELNS1_11target_archE910ELNS1_3gpuE8ELNS1_3repE0EEENS1_30default_config_static_selectorELNS0_4arch9wavefront6targetE0EEEvT1_, .Lfunc_end2703-_ZN7rocprim17ROCPRIM_400000_NS6detail17trampoline_kernelINS0_14default_configENS1_25partition_config_selectorILNS1_17partition_subalgoE5EjNS0_10empty_typeEbEEZZNS1_14partition_implILS5_5ELb0ES3_mN6thrust23THRUST_200600_302600_NS6detail15normal_iteratorINSA_10device_ptrIjEEEEPS6_NSA_18transform_iteratorINSB_9not_fun_tI7is_trueIjEEENSC_INSD_IbEEEENSA_11use_defaultESO_EENS0_5tupleIJNSA_16discard_iteratorISO_EES6_EEENSQ_IJSG_SG_EEES6_PlJS6_EEE10hipError_tPvRmT3_T4_T5_T6_T7_T9_mT8_P12ihipStream_tbDpT10_ENKUlT_T0_E_clISt17integral_constantIbLb1EES1E_IbLb0EEEEDaS1A_S1B_EUlS1A_E_NS1_11comp_targetILNS1_3genE4ELNS1_11target_archE910ELNS1_3gpuE8ELNS1_3repE0EEENS1_30default_config_static_selectorELNS0_4arch9wavefront6targetE0EEEvT1_
                                        ; -- End function
	.set _ZN7rocprim17ROCPRIM_400000_NS6detail17trampoline_kernelINS0_14default_configENS1_25partition_config_selectorILNS1_17partition_subalgoE5EjNS0_10empty_typeEbEEZZNS1_14partition_implILS5_5ELb0ES3_mN6thrust23THRUST_200600_302600_NS6detail15normal_iteratorINSA_10device_ptrIjEEEEPS6_NSA_18transform_iteratorINSB_9not_fun_tI7is_trueIjEEENSC_INSD_IbEEEENSA_11use_defaultESO_EENS0_5tupleIJNSA_16discard_iteratorISO_EES6_EEENSQ_IJSG_SG_EEES6_PlJS6_EEE10hipError_tPvRmT3_T4_T5_T6_T7_T9_mT8_P12ihipStream_tbDpT10_ENKUlT_T0_E_clISt17integral_constantIbLb1EES1E_IbLb0EEEEDaS1A_S1B_EUlS1A_E_NS1_11comp_targetILNS1_3genE4ELNS1_11target_archE910ELNS1_3gpuE8ELNS1_3repE0EEENS1_30default_config_static_selectorELNS0_4arch9wavefront6targetE0EEEvT1_.num_vgpr, 0
	.set _ZN7rocprim17ROCPRIM_400000_NS6detail17trampoline_kernelINS0_14default_configENS1_25partition_config_selectorILNS1_17partition_subalgoE5EjNS0_10empty_typeEbEEZZNS1_14partition_implILS5_5ELb0ES3_mN6thrust23THRUST_200600_302600_NS6detail15normal_iteratorINSA_10device_ptrIjEEEEPS6_NSA_18transform_iteratorINSB_9not_fun_tI7is_trueIjEEENSC_INSD_IbEEEENSA_11use_defaultESO_EENS0_5tupleIJNSA_16discard_iteratorISO_EES6_EEENSQ_IJSG_SG_EEES6_PlJS6_EEE10hipError_tPvRmT3_T4_T5_T6_T7_T9_mT8_P12ihipStream_tbDpT10_ENKUlT_T0_E_clISt17integral_constantIbLb1EES1E_IbLb0EEEEDaS1A_S1B_EUlS1A_E_NS1_11comp_targetILNS1_3genE4ELNS1_11target_archE910ELNS1_3gpuE8ELNS1_3repE0EEENS1_30default_config_static_selectorELNS0_4arch9wavefront6targetE0EEEvT1_.num_agpr, 0
	.set _ZN7rocprim17ROCPRIM_400000_NS6detail17trampoline_kernelINS0_14default_configENS1_25partition_config_selectorILNS1_17partition_subalgoE5EjNS0_10empty_typeEbEEZZNS1_14partition_implILS5_5ELb0ES3_mN6thrust23THRUST_200600_302600_NS6detail15normal_iteratorINSA_10device_ptrIjEEEEPS6_NSA_18transform_iteratorINSB_9not_fun_tI7is_trueIjEEENSC_INSD_IbEEEENSA_11use_defaultESO_EENS0_5tupleIJNSA_16discard_iteratorISO_EES6_EEENSQ_IJSG_SG_EEES6_PlJS6_EEE10hipError_tPvRmT3_T4_T5_T6_T7_T9_mT8_P12ihipStream_tbDpT10_ENKUlT_T0_E_clISt17integral_constantIbLb1EES1E_IbLb0EEEEDaS1A_S1B_EUlS1A_E_NS1_11comp_targetILNS1_3genE4ELNS1_11target_archE910ELNS1_3gpuE8ELNS1_3repE0EEENS1_30default_config_static_selectorELNS0_4arch9wavefront6targetE0EEEvT1_.numbered_sgpr, 0
	.set _ZN7rocprim17ROCPRIM_400000_NS6detail17trampoline_kernelINS0_14default_configENS1_25partition_config_selectorILNS1_17partition_subalgoE5EjNS0_10empty_typeEbEEZZNS1_14partition_implILS5_5ELb0ES3_mN6thrust23THRUST_200600_302600_NS6detail15normal_iteratorINSA_10device_ptrIjEEEEPS6_NSA_18transform_iteratorINSB_9not_fun_tI7is_trueIjEEENSC_INSD_IbEEEENSA_11use_defaultESO_EENS0_5tupleIJNSA_16discard_iteratorISO_EES6_EEENSQ_IJSG_SG_EEES6_PlJS6_EEE10hipError_tPvRmT3_T4_T5_T6_T7_T9_mT8_P12ihipStream_tbDpT10_ENKUlT_T0_E_clISt17integral_constantIbLb1EES1E_IbLb0EEEEDaS1A_S1B_EUlS1A_E_NS1_11comp_targetILNS1_3genE4ELNS1_11target_archE910ELNS1_3gpuE8ELNS1_3repE0EEENS1_30default_config_static_selectorELNS0_4arch9wavefront6targetE0EEEvT1_.num_named_barrier, 0
	.set _ZN7rocprim17ROCPRIM_400000_NS6detail17trampoline_kernelINS0_14default_configENS1_25partition_config_selectorILNS1_17partition_subalgoE5EjNS0_10empty_typeEbEEZZNS1_14partition_implILS5_5ELb0ES3_mN6thrust23THRUST_200600_302600_NS6detail15normal_iteratorINSA_10device_ptrIjEEEEPS6_NSA_18transform_iteratorINSB_9not_fun_tI7is_trueIjEEENSC_INSD_IbEEEENSA_11use_defaultESO_EENS0_5tupleIJNSA_16discard_iteratorISO_EES6_EEENSQ_IJSG_SG_EEES6_PlJS6_EEE10hipError_tPvRmT3_T4_T5_T6_T7_T9_mT8_P12ihipStream_tbDpT10_ENKUlT_T0_E_clISt17integral_constantIbLb1EES1E_IbLb0EEEEDaS1A_S1B_EUlS1A_E_NS1_11comp_targetILNS1_3genE4ELNS1_11target_archE910ELNS1_3gpuE8ELNS1_3repE0EEENS1_30default_config_static_selectorELNS0_4arch9wavefront6targetE0EEEvT1_.private_seg_size, 0
	.set _ZN7rocprim17ROCPRIM_400000_NS6detail17trampoline_kernelINS0_14default_configENS1_25partition_config_selectorILNS1_17partition_subalgoE5EjNS0_10empty_typeEbEEZZNS1_14partition_implILS5_5ELb0ES3_mN6thrust23THRUST_200600_302600_NS6detail15normal_iteratorINSA_10device_ptrIjEEEEPS6_NSA_18transform_iteratorINSB_9not_fun_tI7is_trueIjEEENSC_INSD_IbEEEENSA_11use_defaultESO_EENS0_5tupleIJNSA_16discard_iteratorISO_EES6_EEENSQ_IJSG_SG_EEES6_PlJS6_EEE10hipError_tPvRmT3_T4_T5_T6_T7_T9_mT8_P12ihipStream_tbDpT10_ENKUlT_T0_E_clISt17integral_constantIbLb1EES1E_IbLb0EEEEDaS1A_S1B_EUlS1A_E_NS1_11comp_targetILNS1_3genE4ELNS1_11target_archE910ELNS1_3gpuE8ELNS1_3repE0EEENS1_30default_config_static_selectorELNS0_4arch9wavefront6targetE0EEEvT1_.uses_vcc, 0
	.set _ZN7rocprim17ROCPRIM_400000_NS6detail17trampoline_kernelINS0_14default_configENS1_25partition_config_selectorILNS1_17partition_subalgoE5EjNS0_10empty_typeEbEEZZNS1_14partition_implILS5_5ELb0ES3_mN6thrust23THRUST_200600_302600_NS6detail15normal_iteratorINSA_10device_ptrIjEEEEPS6_NSA_18transform_iteratorINSB_9not_fun_tI7is_trueIjEEENSC_INSD_IbEEEENSA_11use_defaultESO_EENS0_5tupleIJNSA_16discard_iteratorISO_EES6_EEENSQ_IJSG_SG_EEES6_PlJS6_EEE10hipError_tPvRmT3_T4_T5_T6_T7_T9_mT8_P12ihipStream_tbDpT10_ENKUlT_T0_E_clISt17integral_constantIbLb1EES1E_IbLb0EEEEDaS1A_S1B_EUlS1A_E_NS1_11comp_targetILNS1_3genE4ELNS1_11target_archE910ELNS1_3gpuE8ELNS1_3repE0EEENS1_30default_config_static_selectorELNS0_4arch9wavefront6targetE0EEEvT1_.uses_flat_scratch, 0
	.set _ZN7rocprim17ROCPRIM_400000_NS6detail17trampoline_kernelINS0_14default_configENS1_25partition_config_selectorILNS1_17partition_subalgoE5EjNS0_10empty_typeEbEEZZNS1_14partition_implILS5_5ELb0ES3_mN6thrust23THRUST_200600_302600_NS6detail15normal_iteratorINSA_10device_ptrIjEEEEPS6_NSA_18transform_iteratorINSB_9not_fun_tI7is_trueIjEEENSC_INSD_IbEEEENSA_11use_defaultESO_EENS0_5tupleIJNSA_16discard_iteratorISO_EES6_EEENSQ_IJSG_SG_EEES6_PlJS6_EEE10hipError_tPvRmT3_T4_T5_T6_T7_T9_mT8_P12ihipStream_tbDpT10_ENKUlT_T0_E_clISt17integral_constantIbLb1EES1E_IbLb0EEEEDaS1A_S1B_EUlS1A_E_NS1_11comp_targetILNS1_3genE4ELNS1_11target_archE910ELNS1_3gpuE8ELNS1_3repE0EEENS1_30default_config_static_selectorELNS0_4arch9wavefront6targetE0EEEvT1_.has_dyn_sized_stack, 0
	.set _ZN7rocprim17ROCPRIM_400000_NS6detail17trampoline_kernelINS0_14default_configENS1_25partition_config_selectorILNS1_17partition_subalgoE5EjNS0_10empty_typeEbEEZZNS1_14partition_implILS5_5ELb0ES3_mN6thrust23THRUST_200600_302600_NS6detail15normal_iteratorINSA_10device_ptrIjEEEEPS6_NSA_18transform_iteratorINSB_9not_fun_tI7is_trueIjEEENSC_INSD_IbEEEENSA_11use_defaultESO_EENS0_5tupleIJNSA_16discard_iteratorISO_EES6_EEENSQ_IJSG_SG_EEES6_PlJS6_EEE10hipError_tPvRmT3_T4_T5_T6_T7_T9_mT8_P12ihipStream_tbDpT10_ENKUlT_T0_E_clISt17integral_constantIbLb1EES1E_IbLb0EEEEDaS1A_S1B_EUlS1A_E_NS1_11comp_targetILNS1_3genE4ELNS1_11target_archE910ELNS1_3gpuE8ELNS1_3repE0EEENS1_30default_config_static_selectorELNS0_4arch9wavefront6targetE0EEEvT1_.has_recursion, 0
	.set _ZN7rocprim17ROCPRIM_400000_NS6detail17trampoline_kernelINS0_14default_configENS1_25partition_config_selectorILNS1_17partition_subalgoE5EjNS0_10empty_typeEbEEZZNS1_14partition_implILS5_5ELb0ES3_mN6thrust23THRUST_200600_302600_NS6detail15normal_iteratorINSA_10device_ptrIjEEEEPS6_NSA_18transform_iteratorINSB_9not_fun_tI7is_trueIjEEENSC_INSD_IbEEEENSA_11use_defaultESO_EENS0_5tupleIJNSA_16discard_iteratorISO_EES6_EEENSQ_IJSG_SG_EEES6_PlJS6_EEE10hipError_tPvRmT3_T4_T5_T6_T7_T9_mT8_P12ihipStream_tbDpT10_ENKUlT_T0_E_clISt17integral_constantIbLb1EES1E_IbLb0EEEEDaS1A_S1B_EUlS1A_E_NS1_11comp_targetILNS1_3genE4ELNS1_11target_archE910ELNS1_3gpuE8ELNS1_3repE0EEENS1_30default_config_static_selectorELNS0_4arch9wavefront6targetE0EEEvT1_.has_indirect_call, 0
	.section	.AMDGPU.csdata,"",@progbits
; Kernel info:
; codeLenInByte = 0
; TotalNumSgprs: 0
; NumVgprs: 0
; ScratchSize: 0
; MemoryBound: 0
; FloatMode: 240
; IeeeMode: 1
; LDSByteSize: 0 bytes/workgroup (compile time only)
; SGPRBlocks: 0
; VGPRBlocks: 0
; NumSGPRsForWavesPerEU: 1
; NumVGPRsForWavesPerEU: 1
; Occupancy: 16
; WaveLimiterHint : 0
; COMPUTE_PGM_RSRC2:SCRATCH_EN: 0
; COMPUTE_PGM_RSRC2:USER_SGPR: 2
; COMPUTE_PGM_RSRC2:TRAP_HANDLER: 0
; COMPUTE_PGM_RSRC2:TGID_X_EN: 1
; COMPUTE_PGM_RSRC2:TGID_Y_EN: 0
; COMPUTE_PGM_RSRC2:TGID_Z_EN: 0
; COMPUTE_PGM_RSRC2:TIDIG_COMP_CNT: 0
	.section	.text._ZN7rocprim17ROCPRIM_400000_NS6detail17trampoline_kernelINS0_14default_configENS1_25partition_config_selectorILNS1_17partition_subalgoE5EjNS0_10empty_typeEbEEZZNS1_14partition_implILS5_5ELb0ES3_mN6thrust23THRUST_200600_302600_NS6detail15normal_iteratorINSA_10device_ptrIjEEEEPS6_NSA_18transform_iteratorINSB_9not_fun_tI7is_trueIjEEENSC_INSD_IbEEEENSA_11use_defaultESO_EENS0_5tupleIJNSA_16discard_iteratorISO_EES6_EEENSQ_IJSG_SG_EEES6_PlJS6_EEE10hipError_tPvRmT3_T4_T5_T6_T7_T9_mT8_P12ihipStream_tbDpT10_ENKUlT_T0_E_clISt17integral_constantIbLb1EES1E_IbLb0EEEEDaS1A_S1B_EUlS1A_E_NS1_11comp_targetILNS1_3genE3ELNS1_11target_archE908ELNS1_3gpuE7ELNS1_3repE0EEENS1_30default_config_static_selectorELNS0_4arch9wavefront6targetE0EEEvT1_,"axG",@progbits,_ZN7rocprim17ROCPRIM_400000_NS6detail17trampoline_kernelINS0_14default_configENS1_25partition_config_selectorILNS1_17partition_subalgoE5EjNS0_10empty_typeEbEEZZNS1_14partition_implILS5_5ELb0ES3_mN6thrust23THRUST_200600_302600_NS6detail15normal_iteratorINSA_10device_ptrIjEEEEPS6_NSA_18transform_iteratorINSB_9not_fun_tI7is_trueIjEEENSC_INSD_IbEEEENSA_11use_defaultESO_EENS0_5tupleIJNSA_16discard_iteratorISO_EES6_EEENSQ_IJSG_SG_EEES6_PlJS6_EEE10hipError_tPvRmT3_T4_T5_T6_T7_T9_mT8_P12ihipStream_tbDpT10_ENKUlT_T0_E_clISt17integral_constantIbLb1EES1E_IbLb0EEEEDaS1A_S1B_EUlS1A_E_NS1_11comp_targetILNS1_3genE3ELNS1_11target_archE908ELNS1_3gpuE7ELNS1_3repE0EEENS1_30default_config_static_selectorELNS0_4arch9wavefront6targetE0EEEvT1_,comdat
	.protected	_ZN7rocprim17ROCPRIM_400000_NS6detail17trampoline_kernelINS0_14default_configENS1_25partition_config_selectorILNS1_17partition_subalgoE5EjNS0_10empty_typeEbEEZZNS1_14partition_implILS5_5ELb0ES3_mN6thrust23THRUST_200600_302600_NS6detail15normal_iteratorINSA_10device_ptrIjEEEEPS6_NSA_18transform_iteratorINSB_9not_fun_tI7is_trueIjEEENSC_INSD_IbEEEENSA_11use_defaultESO_EENS0_5tupleIJNSA_16discard_iteratorISO_EES6_EEENSQ_IJSG_SG_EEES6_PlJS6_EEE10hipError_tPvRmT3_T4_T5_T6_T7_T9_mT8_P12ihipStream_tbDpT10_ENKUlT_T0_E_clISt17integral_constantIbLb1EES1E_IbLb0EEEEDaS1A_S1B_EUlS1A_E_NS1_11comp_targetILNS1_3genE3ELNS1_11target_archE908ELNS1_3gpuE7ELNS1_3repE0EEENS1_30default_config_static_selectorELNS0_4arch9wavefront6targetE0EEEvT1_ ; -- Begin function _ZN7rocprim17ROCPRIM_400000_NS6detail17trampoline_kernelINS0_14default_configENS1_25partition_config_selectorILNS1_17partition_subalgoE5EjNS0_10empty_typeEbEEZZNS1_14partition_implILS5_5ELb0ES3_mN6thrust23THRUST_200600_302600_NS6detail15normal_iteratorINSA_10device_ptrIjEEEEPS6_NSA_18transform_iteratorINSB_9not_fun_tI7is_trueIjEEENSC_INSD_IbEEEENSA_11use_defaultESO_EENS0_5tupleIJNSA_16discard_iteratorISO_EES6_EEENSQ_IJSG_SG_EEES6_PlJS6_EEE10hipError_tPvRmT3_T4_T5_T6_T7_T9_mT8_P12ihipStream_tbDpT10_ENKUlT_T0_E_clISt17integral_constantIbLb1EES1E_IbLb0EEEEDaS1A_S1B_EUlS1A_E_NS1_11comp_targetILNS1_3genE3ELNS1_11target_archE908ELNS1_3gpuE7ELNS1_3repE0EEENS1_30default_config_static_selectorELNS0_4arch9wavefront6targetE0EEEvT1_
	.globl	_ZN7rocprim17ROCPRIM_400000_NS6detail17trampoline_kernelINS0_14default_configENS1_25partition_config_selectorILNS1_17partition_subalgoE5EjNS0_10empty_typeEbEEZZNS1_14partition_implILS5_5ELb0ES3_mN6thrust23THRUST_200600_302600_NS6detail15normal_iteratorINSA_10device_ptrIjEEEEPS6_NSA_18transform_iteratorINSB_9not_fun_tI7is_trueIjEEENSC_INSD_IbEEEENSA_11use_defaultESO_EENS0_5tupleIJNSA_16discard_iteratorISO_EES6_EEENSQ_IJSG_SG_EEES6_PlJS6_EEE10hipError_tPvRmT3_T4_T5_T6_T7_T9_mT8_P12ihipStream_tbDpT10_ENKUlT_T0_E_clISt17integral_constantIbLb1EES1E_IbLb0EEEEDaS1A_S1B_EUlS1A_E_NS1_11comp_targetILNS1_3genE3ELNS1_11target_archE908ELNS1_3gpuE7ELNS1_3repE0EEENS1_30default_config_static_selectorELNS0_4arch9wavefront6targetE0EEEvT1_
	.p2align	8
	.type	_ZN7rocprim17ROCPRIM_400000_NS6detail17trampoline_kernelINS0_14default_configENS1_25partition_config_selectorILNS1_17partition_subalgoE5EjNS0_10empty_typeEbEEZZNS1_14partition_implILS5_5ELb0ES3_mN6thrust23THRUST_200600_302600_NS6detail15normal_iteratorINSA_10device_ptrIjEEEEPS6_NSA_18transform_iteratorINSB_9not_fun_tI7is_trueIjEEENSC_INSD_IbEEEENSA_11use_defaultESO_EENS0_5tupleIJNSA_16discard_iteratorISO_EES6_EEENSQ_IJSG_SG_EEES6_PlJS6_EEE10hipError_tPvRmT3_T4_T5_T6_T7_T9_mT8_P12ihipStream_tbDpT10_ENKUlT_T0_E_clISt17integral_constantIbLb1EES1E_IbLb0EEEEDaS1A_S1B_EUlS1A_E_NS1_11comp_targetILNS1_3genE3ELNS1_11target_archE908ELNS1_3gpuE7ELNS1_3repE0EEENS1_30default_config_static_selectorELNS0_4arch9wavefront6targetE0EEEvT1_,@function
_ZN7rocprim17ROCPRIM_400000_NS6detail17trampoline_kernelINS0_14default_configENS1_25partition_config_selectorILNS1_17partition_subalgoE5EjNS0_10empty_typeEbEEZZNS1_14partition_implILS5_5ELb0ES3_mN6thrust23THRUST_200600_302600_NS6detail15normal_iteratorINSA_10device_ptrIjEEEEPS6_NSA_18transform_iteratorINSB_9not_fun_tI7is_trueIjEEENSC_INSD_IbEEEENSA_11use_defaultESO_EENS0_5tupleIJNSA_16discard_iteratorISO_EES6_EEENSQ_IJSG_SG_EEES6_PlJS6_EEE10hipError_tPvRmT3_T4_T5_T6_T7_T9_mT8_P12ihipStream_tbDpT10_ENKUlT_T0_E_clISt17integral_constantIbLb1EES1E_IbLb0EEEEDaS1A_S1B_EUlS1A_E_NS1_11comp_targetILNS1_3genE3ELNS1_11target_archE908ELNS1_3gpuE7ELNS1_3repE0EEENS1_30default_config_static_selectorELNS0_4arch9wavefront6targetE0EEEvT1_: ; @_ZN7rocprim17ROCPRIM_400000_NS6detail17trampoline_kernelINS0_14default_configENS1_25partition_config_selectorILNS1_17partition_subalgoE5EjNS0_10empty_typeEbEEZZNS1_14partition_implILS5_5ELb0ES3_mN6thrust23THRUST_200600_302600_NS6detail15normal_iteratorINSA_10device_ptrIjEEEEPS6_NSA_18transform_iteratorINSB_9not_fun_tI7is_trueIjEEENSC_INSD_IbEEEENSA_11use_defaultESO_EENS0_5tupleIJNSA_16discard_iteratorISO_EES6_EEENSQ_IJSG_SG_EEES6_PlJS6_EEE10hipError_tPvRmT3_T4_T5_T6_T7_T9_mT8_P12ihipStream_tbDpT10_ENKUlT_T0_E_clISt17integral_constantIbLb1EES1E_IbLb0EEEEDaS1A_S1B_EUlS1A_E_NS1_11comp_targetILNS1_3genE3ELNS1_11target_archE908ELNS1_3gpuE7ELNS1_3repE0EEENS1_30default_config_static_selectorELNS0_4arch9wavefront6targetE0EEEvT1_
; %bb.0:
	.section	.rodata,"a",@progbits
	.p2align	6, 0x0
	.amdhsa_kernel _ZN7rocprim17ROCPRIM_400000_NS6detail17trampoline_kernelINS0_14default_configENS1_25partition_config_selectorILNS1_17partition_subalgoE5EjNS0_10empty_typeEbEEZZNS1_14partition_implILS5_5ELb0ES3_mN6thrust23THRUST_200600_302600_NS6detail15normal_iteratorINSA_10device_ptrIjEEEEPS6_NSA_18transform_iteratorINSB_9not_fun_tI7is_trueIjEEENSC_INSD_IbEEEENSA_11use_defaultESO_EENS0_5tupleIJNSA_16discard_iteratorISO_EES6_EEENSQ_IJSG_SG_EEES6_PlJS6_EEE10hipError_tPvRmT3_T4_T5_T6_T7_T9_mT8_P12ihipStream_tbDpT10_ENKUlT_T0_E_clISt17integral_constantIbLb1EES1E_IbLb0EEEEDaS1A_S1B_EUlS1A_E_NS1_11comp_targetILNS1_3genE3ELNS1_11target_archE908ELNS1_3gpuE7ELNS1_3repE0EEENS1_30default_config_static_selectorELNS0_4arch9wavefront6targetE0EEEvT1_
		.amdhsa_group_segment_fixed_size 0
		.amdhsa_private_segment_fixed_size 0
		.amdhsa_kernarg_size 128
		.amdhsa_user_sgpr_count 2
		.amdhsa_user_sgpr_dispatch_ptr 0
		.amdhsa_user_sgpr_queue_ptr 0
		.amdhsa_user_sgpr_kernarg_segment_ptr 1
		.amdhsa_user_sgpr_dispatch_id 0
		.amdhsa_user_sgpr_private_segment_size 0
		.amdhsa_wavefront_size32 1
		.amdhsa_uses_dynamic_stack 0
		.amdhsa_enable_private_segment 0
		.amdhsa_system_sgpr_workgroup_id_x 1
		.amdhsa_system_sgpr_workgroup_id_y 0
		.amdhsa_system_sgpr_workgroup_id_z 0
		.amdhsa_system_sgpr_workgroup_info 0
		.amdhsa_system_vgpr_workitem_id 0
		.amdhsa_next_free_vgpr 1
		.amdhsa_next_free_sgpr 1
		.amdhsa_reserve_vcc 0
		.amdhsa_float_round_mode_32 0
		.amdhsa_float_round_mode_16_64 0
		.amdhsa_float_denorm_mode_32 3
		.amdhsa_float_denorm_mode_16_64 3
		.amdhsa_fp16_overflow 0
		.amdhsa_workgroup_processor_mode 1
		.amdhsa_memory_ordered 1
		.amdhsa_forward_progress 1
		.amdhsa_inst_pref_size 0
		.amdhsa_round_robin_scheduling 0
		.amdhsa_exception_fp_ieee_invalid_op 0
		.amdhsa_exception_fp_denorm_src 0
		.amdhsa_exception_fp_ieee_div_zero 0
		.amdhsa_exception_fp_ieee_overflow 0
		.amdhsa_exception_fp_ieee_underflow 0
		.amdhsa_exception_fp_ieee_inexact 0
		.amdhsa_exception_int_div_zero 0
	.end_amdhsa_kernel
	.section	.text._ZN7rocprim17ROCPRIM_400000_NS6detail17trampoline_kernelINS0_14default_configENS1_25partition_config_selectorILNS1_17partition_subalgoE5EjNS0_10empty_typeEbEEZZNS1_14partition_implILS5_5ELb0ES3_mN6thrust23THRUST_200600_302600_NS6detail15normal_iteratorINSA_10device_ptrIjEEEEPS6_NSA_18transform_iteratorINSB_9not_fun_tI7is_trueIjEEENSC_INSD_IbEEEENSA_11use_defaultESO_EENS0_5tupleIJNSA_16discard_iteratorISO_EES6_EEENSQ_IJSG_SG_EEES6_PlJS6_EEE10hipError_tPvRmT3_T4_T5_T6_T7_T9_mT8_P12ihipStream_tbDpT10_ENKUlT_T0_E_clISt17integral_constantIbLb1EES1E_IbLb0EEEEDaS1A_S1B_EUlS1A_E_NS1_11comp_targetILNS1_3genE3ELNS1_11target_archE908ELNS1_3gpuE7ELNS1_3repE0EEENS1_30default_config_static_selectorELNS0_4arch9wavefront6targetE0EEEvT1_,"axG",@progbits,_ZN7rocprim17ROCPRIM_400000_NS6detail17trampoline_kernelINS0_14default_configENS1_25partition_config_selectorILNS1_17partition_subalgoE5EjNS0_10empty_typeEbEEZZNS1_14partition_implILS5_5ELb0ES3_mN6thrust23THRUST_200600_302600_NS6detail15normal_iteratorINSA_10device_ptrIjEEEEPS6_NSA_18transform_iteratorINSB_9not_fun_tI7is_trueIjEEENSC_INSD_IbEEEENSA_11use_defaultESO_EENS0_5tupleIJNSA_16discard_iteratorISO_EES6_EEENSQ_IJSG_SG_EEES6_PlJS6_EEE10hipError_tPvRmT3_T4_T5_T6_T7_T9_mT8_P12ihipStream_tbDpT10_ENKUlT_T0_E_clISt17integral_constantIbLb1EES1E_IbLb0EEEEDaS1A_S1B_EUlS1A_E_NS1_11comp_targetILNS1_3genE3ELNS1_11target_archE908ELNS1_3gpuE7ELNS1_3repE0EEENS1_30default_config_static_selectorELNS0_4arch9wavefront6targetE0EEEvT1_,comdat
.Lfunc_end2704:
	.size	_ZN7rocprim17ROCPRIM_400000_NS6detail17trampoline_kernelINS0_14default_configENS1_25partition_config_selectorILNS1_17partition_subalgoE5EjNS0_10empty_typeEbEEZZNS1_14partition_implILS5_5ELb0ES3_mN6thrust23THRUST_200600_302600_NS6detail15normal_iteratorINSA_10device_ptrIjEEEEPS6_NSA_18transform_iteratorINSB_9not_fun_tI7is_trueIjEEENSC_INSD_IbEEEENSA_11use_defaultESO_EENS0_5tupleIJNSA_16discard_iteratorISO_EES6_EEENSQ_IJSG_SG_EEES6_PlJS6_EEE10hipError_tPvRmT3_T4_T5_T6_T7_T9_mT8_P12ihipStream_tbDpT10_ENKUlT_T0_E_clISt17integral_constantIbLb1EES1E_IbLb0EEEEDaS1A_S1B_EUlS1A_E_NS1_11comp_targetILNS1_3genE3ELNS1_11target_archE908ELNS1_3gpuE7ELNS1_3repE0EEENS1_30default_config_static_selectorELNS0_4arch9wavefront6targetE0EEEvT1_, .Lfunc_end2704-_ZN7rocprim17ROCPRIM_400000_NS6detail17trampoline_kernelINS0_14default_configENS1_25partition_config_selectorILNS1_17partition_subalgoE5EjNS0_10empty_typeEbEEZZNS1_14partition_implILS5_5ELb0ES3_mN6thrust23THRUST_200600_302600_NS6detail15normal_iteratorINSA_10device_ptrIjEEEEPS6_NSA_18transform_iteratorINSB_9not_fun_tI7is_trueIjEEENSC_INSD_IbEEEENSA_11use_defaultESO_EENS0_5tupleIJNSA_16discard_iteratorISO_EES6_EEENSQ_IJSG_SG_EEES6_PlJS6_EEE10hipError_tPvRmT3_T4_T5_T6_T7_T9_mT8_P12ihipStream_tbDpT10_ENKUlT_T0_E_clISt17integral_constantIbLb1EES1E_IbLb0EEEEDaS1A_S1B_EUlS1A_E_NS1_11comp_targetILNS1_3genE3ELNS1_11target_archE908ELNS1_3gpuE7ELNS1_3repE0EEENS1_30default_config_static_selectorELNS0_4arch9wavefront6targetE0EEEvT1_
                                        ; -- End function
	.set _ZN7rocprim17ROCPRIM_400000_NS6detail17trampoline_kernelINS0_14default_configENS1_25partition_config_selectorILNS1_17partition_subalgoE5EjNS0_10empty_typeEbEEZZNS1_14partition_implILS5_5ELb0ES3_mN6thrust23THRUST_200600_302600_NS6detail15normal_iteratorINSA_10device_ptrIjEEEEPS6_NSA_18transform_iteratorINSB_9not_fun_tI7is_trueIjEEENSC_INSD_IbEEEENSA_11use_defaultESO_EENS0_5tupleIJNSA_16discard_iteratorISO_EES6_EEENSQ_IJSG_SG_EEES6_PlJS6_EEE10hipError_tPvRmT3_T4_T5_T6_T7_T9_mT8_P12ihipStream_tbDpT10_ENKUlT_T0_E_clISt17integral_constantIbLb1EES1E_IbLb0EEEEDaS1A_S1B_EUlS1A_E_NS1_11comp_targetILNS1_3genE3ELNS1_11target_archE908ELNS1_3gpuE7ELNS1_3repE0EEENS1_30default_config_static_selectorELNS0_4arch9wavefront6targetE0EEEvT1_.num_vgpr, 0
	.set _ZN7rocprim17ROCPRIM_400000_NS6detail17trampoline_kernelINS0_14default_configENS1_25partition_config_selectorILNS1_17partition_subalgoE5EjNS0_10empty_typeEbEEZZNS1_14partition_implILS5_5ELb0ES3_mN6thrust23THRUST_200600_302600_NS6detail15normal_iteratorINSA_10device_ptrIjEEEEPS6_NSA_18transform_iteratorINSB_9not_fun_tI7is_trueIjEEENSC_INSD_IbEEEENSA_11use_defaultESO_EENS0_5tupleIJNSA_16discard_iteratorISO_EES6_EEENSQ_IJSG_SG_EEES6_PlJS6_EEE10hipError_tPvRmT3_T4_T5_T6_T7_T9_mT8_P12ihipStream_tbDpT10_ENKUlT_T0_E_clISt17integral_constantIbLb1EES1E_IbLb0EEEEDaS1A_S1B_EUlS1A_E_NS1_11comp_targetILNS1_3genE3ELNS1_11target_archE908ELNS1_3gpuE7ELNS1_3repE0EEENS1_30default_config_static_selectorELNS0_4arch9wavefront6targetE0EEEvT1_.num_agpr, 0
	.set _ZN7rocprim17ROCPRIM_400000_NS6detail17trampoline_kernelINS0_14default_configENS1_25partition_config_selectorILNS1_17partition_subalgoE5EjNS0_10empty_typeEbEEZZNS1_14partition_implILS5_5ELb0ES3_mN6thrust23THRUST_200600_302600_NS6detail15normal_iteratorINSA_10device_ptrIjEEEEPS6_NSA_18transform_iteratorINSB_9not_fun_tI7is_trueIjEEENSC_INSD_IbEEEENSA_11use_defaultESO_EENS0_5tupleIJNSA_16discard_iteratorISO_EES6_EEENSQ_IJSG_SG_EEES6_PlJS6_EEE10hipError_tPvRmT3_T4_T5_T6_T7_T9_mT8_P12ihipStream_tbDpT10_ENKUlT_T0_E_clISt17integral_constantIbLb1EES1E_IbLb0EEEEDaS1A_S1B_EUlS1A_E_NS1_11comp_targetILNS1_3genE3ELNS1_11target_archE908ELNS1_3gpuE7ELNS1_3repE0EEENS1_30default_config_static_selectorELNS0_4arch9wavefront6targetE0EEEvT1_.numbered_sgpr, 0
	.set _ZN7rocprim17ROCPRIM_400000_NS6detail17trampoline_kernelINS0_14default_configENS1_25partition_config_selectorILNS1_17partition_subalgoE5EjNS0_10empty_typeEbEEZZNS1_14partition_implILS5_5ELb0ES3_mN6thrust23THRUST_200600_302600_NS6detail15normal_iteratorINSA_10device_ptrIjEEEEPS6_NSA_18transform_iteratorINSB_9not_fun_tI7is_trueIjEEENSC_INSD_IbEEEENSA_11use_defaultESO_EENS0_5tupleIJNSA_16discard_iteratorISO_EES6_EEENSQ_IJSG_SG_EEES6_PlJS6_EEE10hipError_tPvRmT3_T4_T5_T6_T7_T9_mT8_P12ihipStream_tbDpT10_ENKUlT_T0_E_clISt17integral_constantIbLb1EES1E_IbLb0EEEEDaS1A_S1B_EUlS1A_E_NS1_11comp_targetILNS1_3genE3ELNS1_11target_archE908ELNS1_3gpuE7ELNS1_3repE0EEENS1_30default_config_static_selectorELNS0_4arch9wavefront6targetE0EEEvT1_.num_named_barrier, 0
	.set _ZN7rocprim17ROCPRIM_400000_NS6detail17trampoline_kernelINS0_14default_configENS1_25partition_config_selectorILNS1_17partition_subalgoE5EjNS0_10empty_typeEbEEZZNS1_14partition_implILS5_5ELb0ES3_mN6thrust23THRUST_200600_302600_NS6detail15normal_iteratorINSA_10device_ptrIjEEEEPS6_NSA_18transform_iteratorINSB_9not_fun_tI7is_trueIjEEENSC_INSD_IbEEEENSA_11use_defaultESO_EENS0_5tupleIJNSA_16discard_iteratorISO_EES6_EEENSQ_IJSG_SG_EEES6_PlJS6_EEE10hipError_tPvRmT3_T4_T5_T6_T7_T9_mT8_P12ihipStream_tbDpT10_ENKUlT_T0_E_clISt17integral_constantIbLb1EES1E_IbLb0EEEEDaS1A_S1B_EUlS1A_E_NS1_11comp_targetILNS1_3genE3ELNS1_11target_archE908ELNS1_3gpuE7ELNS1_3repE0EEENS1_30default_config_static_selectorELNS0_4arch9wavefront6targetE0EEEvT1_.private_seg_size, 0
	.set _ZN7rocprim17ROCPRIM_400000_NS6detail17trampoline_kernelINS0_14default_configENS1_25partition_config_selectorILNS1_17partition_subalgoE5EjNS0_10empty_typeEbEEZZNS1_14partition_implILS5_5ELb0ES3_mN6thrust23THRUST_200600_302600_NS6detail15normal_iteratorINSA_10device_ptrIjEEEEPS6_NSA_18transform_iteratorINSB_9not_fun_tI7is_trueIjEEENSC_INSD_IbEEEENSA_11use_defaultESO_EENS0_5tupleIJNSA_16discard_iteratorISO_EES6_EEENSQ_IJSG_SG_EEES6_PlJS6_EEE10hipError_tPvRmT3_T4_T5_T6_T7_T9_mT8_P12ihipStream_tbDpT10_ENKUlT_T0_E_clISt17integral_constantIbLb1EES1E_IbLb0EEEEDaS1A_S1B_EUlS1A_E_NS1_11comp_targetILNS1_3genE3ELNS1_11target_archE908ELNS1_3gpuE7ELNS1_3repE0EEENS1_30default_config_static_selectorELNS0_4arch9wavefront6targetE0EEEvT1_.uses_vcc, 0
	.set _ZN7rocprim17ROCPRIM_400000_NS6detail17trampoline_kernelINS0_14default_configENS1_25partition_config_selectorILNS1_17partition_subalgoE5EjNS0_10empty_typeEbEEZZNS1_14partition_implILS5_5ELb0ES3_mN6thrust23THRUST_200600_302600_NS6detail15normal_iteratorINSA_10device_ptrIjEEEEPS6_NSA_18transform_iteratorINSB_9not_fun_tI7is_trueIjEEENSC_INSD_IbEEEENSA_11use_defaultESO_EENS0_5tupleIJNSA_16discard_iteratorISO_EES6_EEENSQ_IJSG_SG_EEES6_PlJS6_EEE10hipError_tPvRmT3_T4_T5_T6_T7_T9_mT8_P12ihipStream_tbDpT10_ENKUlT_T0_E_clISt17integral_constantIbLb1EES1E_IbLb0EEEEDaS1A_S1B_EUlS1A_E_NS1_11comp_targetILNS1_3genE3ELNS1_11target_archE908ELNS1_3gpuE7ELNS1_3repE0EEENS1_30default_config_static_selectorELNS0_4arch9wavefront6targetE0EEEvT1_.uses_flat_scratch, 0
	.set _ZN7rocprim17ROCPRIM_400000_NS6detail17trampoline_kernelINS0_14default_configENS1_25partition_config_selectorILNS1_17partition_subalgoE5EjNS0_10empty_typeEbEEZZNS1_14partition_implILS5_5ELb0ES3_mN6thrust23THRUST_200600_302600_NS6detail15normal_iteratorINSA_10device_ptrIjEEEEPS6_NSA_18transform_iteratorINSB_9not_fun_tI7is_trueIjEEENSC_INSD_IbEEEENSA_11use_defaultESO_EENS0_5tupleIJNSA_16discard_iteratorISO_EES6_EEENSQ_IJSG_SG_EEES6_PlJS6_EEE10hipError_tPvRmT3_T4_T5_T6_T7_T9_mT8_P12ihipStream_tbDpT10_ENKUlT_T0_E_clISt17integral_constantIbLb1EES1E_IbLb0EEEEDaS1A_S1B_EUlS1A_E_NS1_11comp_targetILNS1_3genE3ELNS1_11target_archE908ELNS1_3gpuE7ELNS1_3repE0EEENS1_30default_config_static_selectorELNS0_4arch9wavefront6targetE0EEEvT1_.has_dyn_sized_stack, 0
	.set _ZN7rocprim17ROCPRIM_400000_NS6detail17trampoline_kernelINS0_14default_configENS1_25partition_config_selectorILNS1_17partition_subalgoE5EjNS0_10empty_typeEbEEZZNS1_14partition_implILS5_5ELb0ES3_mN6thrust23THRUST_200600_302600_NS6detail15normal_iteratorINSA_10device_ptrIjEEEEPS6_NSA_18transform_iteratorINSB_9not_fun_tI7is_trueIjEEENSC_INSD_IbEEEENSA_11use_defaultESO_EENS0_5tupleIJNSA_16discard_iteratorISO_EES6_EEENSQ_IJSG_SG_EEES6_PlJS6_EEE10hipError_tPvRmT3_T4_T5_T6_T7_T9_mT8_P12ihipStream_tbDpT10_ENKUlT_T0_E_clISt17integral_constantIbLb1EES1E_IbLb0EEEEDaS1A_S1B_EUlS1A_E_NS1_11comp_targetILNS1_3genE3ELNS1_11target_archE908ELNS1_3gpuE7ELNS1_3repE0EEENS1_30default_config_static_selectorELNS0_4arch9wavefront6targetE0EEEvT1_.has_recursion, 0
	.set _ZN7rocprim17ROCPRIM_400000_NS6detail17trampoline_kernelINS0_14default_configENS1_25partition_config_selectorILNS1_17partition_subalgoE5EjNS0_10empty_typeEbEEZZNS1_14partition_implILS5_5ELb0ES3_mN6thrust23THRUST_200600_302600_NS6detail15normal_iteratorINSA_10device_ptrIjEEEEPS6_NSA_18transform_iteratorINSB_9not_fun_tI7is_trueIjEEENSC_INSD_IbEEEENSA_11use_defaultESO_EENS0_5tupleIJNSA_16discard_iteratorISO_EES6_EEENSQ_IJSG_SG_EEES6_PlJS6_EEE10hipError_tPvRmT3_T4_T5_T6_T7_T9_mT8_P12ihipStream_tbDpT10_ENKUlT_T0_E_clISt17integral_constantIbLb1EES1E_IbLb0EEEEDaS1A_S1B_EUlS1A_E_NS1_11comp_targetILNS1_3genE3ELNS1_11target_archE908ELNS1_3gpuE7ELNS1_3repE0EEENS1_30default_config_static_selectorELNS0_4arch9wavefront6targetE0EEEvT1_.has_indirect_call, 0
	.section	.AMDGPU.csdata,"",@progbits
; Kernel info:
; codeLenInByte = 0
; TotalNumSgprs: 0
; NumVgprs: 0
; ScratchSize: 0
; MemoryBound: 0
; FloatMode: 240
; IeeeMode: 1
; LDSByteSize: 0 bytes/workgroup (compile time only)
; SGPRBlocks: 0
; VGPRBlocks: 0
; NumSGPRsForWavesPerEU: 1
; NumVGPRsForWavesPerEU: 1
; Occupancy: 16
; WaveLimiterHint : 0
; COMPUTE_PGM_RSRC2:SCRATCH_EN: 0
; COMPUTE_PGM_RSRC2:USER_SGPR: 2
; COMPUTE_PGM_RSRC2:TRAP_HANDLER: 0
; COMPUTE_PGM_RSRC2:TGID_X_EN: 1
; COMPUTE_PGM_RSRC2:TGID_Y_EN: 0
; COMPUTE_PGM_RSRC2:TGID_Z_EN: 0
; COMPUTE_PGM_RSRC2:TIDIG_COMP_CNT: 0
	.section	.text._ZN7rocprim17ROCPRIM_400000_NS6detail17trampoline_kernelINS0_14default_configENS1_25partition_config_selectorILNS1_17partition_subalgoE5EjNS0_10empty_typeEbEEZZNS1_14partition_implILS5_5ELb0ES3_mN6thrust23THRUST_200600_302600_NS6detail15normal_iteratorINSA_10device_ptrIjEEEEPS6_NSA_18transform_iteratorINSB_9not_fun_tI7is_trueIjEEENSC_INSD_IbEEEENSA_11use_defaultESO_EENS0_5tupleIJNSA_16discard_iteratorISO_EES6_EEENSQ_IJSG_SG_EEES6_PlJS6_EEE10hipError_tPvRmT3_T4_T5_T6_T7_T9_mT8_P12ihipStream_tbDpT10_ENKUlT_T0_E_clISt17integral_constantIbLb1EES1E_IbLb0EEEEDaS1A_S1B_EUlS1A_E_NS1_11comp_targetILNS1_3genE2ELNS1_11target_archE906ELNS1_3gpuE6ELNS1_3repE0EEENS1_30default_config_static_selectorELNS0_4arch9wavefront6targetE0EEEvT1_,"axG",@progbits,_ZN7rocprim17ROCPRIM_400000_NS6detail17trampoline_kernelINS0_14default_configENS1_25partition_config_selectorILNS1_17partition_subalgoE5EjNS0_10empty_typeEbEEZZNS1_14partition_implILS5_5ELb0ES3_mN6thrust23THRUST_200600_302600_NS6detail15normal_iteratorINSA_10device_ptrIjEEEEPS6_NSA_18transform_iteratorINSB_9not_fun_tI7is_trueIjEEENSC_INSD_IbEEEENSA_11use_defaultESO_EENS0_5tupleIJNSA_16discard_iteratorISO_EES6_EEENSQ_IJSG_SG_EEES6_PlJS6_EEE10hipError_tPvRmT3_T4_T5_T6_T7_T9_mT8_P12ihipStream_tbDpT10_ENKUlT_T0_E_clISt17integral_constantIbLb1EES1E_IbLb0EEEEDaS1A_S1B_EUlS1A_E_NS1_11comp_targetILNS1_3genE2ELNS1_11target_archE906ELNS1_3gpuE6ELNS1_3repE0EEENS1_30default_config_static_selectorELNS0_4arch9wavefront6targetE0EEEvT1_,comdat
	.protected	_ZN7rocprim17ROCPRIM_400000_NS6detail17trampoline_kernelINS0_14default_configENS1_25partition_config_selectorILNS1_17partition_subalgoE5EjNS0_10empty_typeEbEEZZNS1_14partition_implILS5_5ELb0ES3_mN6thrust23THRUST_200600_302600_NS6detail15normal_iteratorINSA_10device_ptrIjEEEEPS6_NSA_18transform_iteratorINSB_9not_fun_tI7is_trueIjEEENSC_INSD_IbEEEENSA_11use_defaultESO_EENS0_5tupleIJNSA_16discard_iteratorISO_EES6_EEENSQ_IJSG_SG_EEES6_PlJS6_EEE10hipError_tPvRmT3_T4_T5_T6_T7_T9_mT8_P12ihipStream_tbDpT10_ENKUlT_T0_E_clISt17integral_constantIbLb1EES1E_IbLb0EEEEDaS1A_S1B_EUlS1A_E_NS1_11comp_targetILNS1_3genE2ELNS1_11target_archE906ELNS1_3gpuE6ELNS1_3repE0EEENS1_30default_config_static_selectorELNS0_4arch9wavefront6targetE0EEEvT1_ ; -- Begin function _ZN7rocprim17ROCPRIM_400000_NS6detail17trampoline_kernelINS0_14default_configENS1_25partition_config_selectorILNS1_17partition_subalgoE5EjNS0_10empty_typeEbEEZZNS1_14partition_implILS5_5ELb0ES3_mN6thrust23THRUST_200600_302600_NS6detail15normal_iteratorINSA_10device_ptrIjEEEEPS6_NSA_18transform_iteratorINSB_9not_fun_tI7is_trueIjEEENSC_INSD_IbEEEENSA_11use_defaultESO_EENS0_5tupleIJNSA_16discard_iteratorISO_EES6_EEENSQ_IJSG_SG_EEES6_PlJS6_EEE10hipError_tPvRmT3_T4_T5_T6_T7_T9_mT8_P12ihipStream_tbDpT10_ENKUlT_T0_E_clISt17integral_constantIbLb1EES1E_IbLb0EEEEDaS1A_S1B_EUlS1A_E_NS1_11comp_targetILNS1_3genE2ELNS1_11target_archE906ELNS1_3gpuE6ELNS1_3repE0EEENS1_30default_config_static_selectorELNS0_4arch9wavefront6targetE0EEEvT1_
	.globl	_ZN7rocprim17ROCPRIM_400000_NS6detail17trampoline_kernelINS0_14default_configENS1_25partition_config_selectorILNS1_17partition_subalgoE5EjNS0_10empty_typeEbEEZZNS1_14partition_implILS5_5ELb0ES3_mN6thrust23THRUST_200600_302600_NS6detail15normal_iteratorINSA_10device_ptrIjEEEEPS6_NSA_18transform_iteratorINSB_9not_fun_tI7is_trueIjEEENSC_INSD_IbEEEENSA_11use_defaultESO_EENS0_5tupleIJNSA_16discard_iteratorISO_EES6_EEENSQ_IJSG_SG_EEES6_PlJS6_EEE10hipError_tPvRmT3_T4_T5_T6_T7_T9_mT8_P12ihipStream_tbDpT10_ENKUlT_T0_E_clISt17integral_constantIbLb1EES1E_IbLb0EEEEDaS1A_S1B_EUlS1A_E_NS1_11comp_targetILNS1_3genE2ELNS1_11target_archE906ELNS1_3gpuE6ELNS1_3repE0EEENS1_30default_config_static_selectorELNS0_4arch9wavefront6targetE0EEEvT1_
	.p2align	8
	.type	_ZN7rocprim17ROCPRIM_400000_NS6detail17trampoline_kernelINS0_14default_configENS1_25partition_config_selectorILNS1_17partition_subalgoE5EjNS0_10empty_typeEbEEZZNS1_14partition_implILS5_5ELb0ES3_mN6thrust23THRUST_200600_302600_NS6detail15normal_iteratorINSA_10device_ptrIjEEEEPS6_NSA_18transform_iteratorINSB_9not_fun_tI7is_trueIjEEENSC_INSD_IbEEEENSA_11use_defaultESO_EENS0_5tupleIJNSA_16discard_iteratorISO_EES6_EEENSQ_IJSG_SG_EEES6_PlJS6_EEE10hipError_tPvRmT3_T4_T5_T6_T7_T9_mT8_P12ihipStream_tbDpT10_ENKUlT_T0_E_clISt17integral_constantIbLb1EES1E_IbLb0EEEEDaS1A_S1B_EUlS1A_E_NS1_11comp_targetILNS1_3genE2ELNS1_11target_archE906ELNS1_3gpuE6ELNS1_3repE0EEENS1_30default_config_static_selectorELNS0_4arch9wavefront6targetE0EEEvT1_,@function
_ZN7rocprim17ROCPRIM_400000_NS6detail17trampoline_kernelINS0_14default_configENS1_25partition_config_selectorILNS1_17partition_subalgoE5EjNS0_10empty_typeEbEEZZNS1_14partition_implILS5_5ELb0ES3_mN6thrust23THRUST_200600_302600_NS6detail15normal_iteratorINSA_10device_ptrIjEEEEPS6_NSA_18transform_iteratorINSB_9not_fun_tI7is_trueIjEEENSC_INSD_IbEEEENSA_11use_defaultESO_EENS0_5tupleIJNSA_16discard_iteratorISO_EES6_EEENSQ_IJSG_SG_EEES6_PlJS6_EEE10hipError_tPvRmT3_T4_T5_T6_T7_T9_mT8_P12ihipStream_tbDpT10_ENKUlT_T0_E_clISt17integral_constantIbLb1EES1E_IbLb0EEEEDaS1A_S1B_EUlS1A_E_NS1_11comp_targetILNS1_3genE2ELNS1_11target_archE906ELNS1_3gpuE6ELNS1_3repE0EEENS1_30default_config_static_selectorELNS0_4arch9wavefront6targetE0EEEvT1_: ; @_ZN7rocprim17ROCPRIM_400000_NS6detail17trampoline_kernelINS0_14default_configENS1_25partition_config_selectorILNS1_17partition_subalgoE5EjNS0_10empty_typeEbEEZZNS1_14partition_implILS5_5ELb0ES3_mN6thrust23THRUST_200600_302600_NS6detail15normal_iteratorINSA_10device_ptrIjEEEEPS6_NSA_18transform_iteratorINSB_9not_fun_tI7is_trueIjEEENSC_INSD_IbEEEENSA_11use_defaultESO_EENS0_5tupleIJNSA_16discard_iteratorISO_EES6_EEENSQ_IJSG_SG_EEES6_PlJS6_EEE10hipError_tPvRmT3_T4_T5_T6_T7_T9_mT8_P12ihipStream_tbDpT10_ENKUlT_T0_E_clISt17integral_constantIbLb1EES1E_IbLb0EEEEDaS1A_S1B_EUlS1A_E_NS1_11comp_targetILNS1_3genE2ELNS1_11target_archE906ELNS1_3gpuE6ELNS1_3repE0EEENS1_30default_config_static_selectorELNS0_4arch9wavefront6targetE0EEEvT1_
; %bb.0:
	.section	.rodata,"a",@progbits
	.p2align	6, 0x0
	.amdhsa_kernel _ZN7rocprim17ROCPRIM_400000_NS6detail17trampoline_kernelINS0_14default_configENS1_25partition_config_selectorILNS1_17partition_subalgoE5EjNS0_10empty_typeEbEEZZNS1_14partition_implILS5_5ELb0ES3_mN6thrust23THRUST_200600_302600_NS6detail15normal_iteratorINSA_10device_ptrIjEEEEPS6_NSA_18transform_iteratorINSB_9not_fun_tI7is_trueIjEEENSC_INSD_IbEEEENSA_11use_defaultESO_EENS0_5tupleIJNSA_16discard_iteratorISO_EES6_EEENSQ_IJSG_SG_EEES6_PlJS6_EEE10hipError_tPvRmT3_T4_T5_T6_T7_T9_mT8_P12ihipStream_tbDpT10_ENKUlT_T0_E_clISt17integral_constantIbLb1EES1E_IbLb0EEEEDaS1A_S1B_EUlS1A_E_NS1_11comp_targetILNS1_3genE2ELNS1_11target_archE906ELNS1_3gpuE6ELNS1_3repE0EEENS1_30default_config_static_selectorELNS0_4arch9wavefront6targetE0EEEvT1_
		.amdhsa_group_segment_fixed_size 0
		.amdhsa_private_segment_fixed_size 0
		.amdhsa_kernarg_size 128
		.amdhsa_user_sgpr_count 2
		.amdhsa_user_sgpr_dispatch_ptr 0
		.amdhsa_user_sgpr_queue_ptr 0
		.amdhsa_user_sgpr_kernarg_segment_ptr 1
		.amdhsa_user_sgpr_dispatch_id 0
		.amdhsa_user_sgpr_private_segment_size 0
		.amdhsa_wavefront_size32 1
		.amdhsa_uses_dynamic_stack 0
		.amdhsa_enable_private_segment 0
		.amdhsa_system_sgpr_workgroup_id_x 1
		.amdhsa_system_sgpr_workgroup_id_y 0
		.amdhsa_system_sgpr_workgroup_id_z 0
		.amdhsa_system_sgpr_workgroup_info 0
		.amdhsa_system_vgpr_workitem_id 0
		.amdhsa_next_free_vgpr 1
		.amdhsa_next_free_sgpr 1
		.amdhsa_reserve_vcc 0
		.amdhsa_float_round_mode_32 0
		.amdhsa_float_round_mode_16_64 0
		.amdhsa_float_denorm_mode_32 3
		.amdhsa_float_denorm_mode_16_64 3
		.amdhsa_fp16_overflow 0
		.amdhsa_workgroup_processor_mode 1
		.amdhsa_memory_ordered 1
		.amdhsa_forward_progress 1
		.amdhsa_inst_pref_size 0
		.amdhsa_round_robin_scheduling 0
		.amdhsa_exception_fp_ieee_invalid_op 0
		.amdhsa_exception_fp_denorm_src 0
		.amdhsa_exception_fp_ieee_div_zero 0
		.amdhsa_exception_fp_ieee_overflow 0
		.amdhsa_exception_fp_ieee_underflow 0
		.amdhsa_exception_fp_ieee_inexact 0
		.amdhsa_exception_int_div_zero 0
	.end_amdhsa_kernel
	.section	.text._ZN7rocprim17ROCPRIM_400000_NS6detail17trampoline_kernelINS0_14default_configENS1_25partition_config_selectorILNS1_17partition_subalgoE5EjNS0_10empty_typeEbEEZZNS1_14partition_implILS5_5ELb0ES3_mN6thrust23THRUST_200600_302600_NS6detail15normal_iteratorINSA_10device_ptrIjEEEEPS6_NSA_18transform_iteratorINSB_9not_fun_tI7is_trueIjEEENSC_INSD_IbEEEENSA_11use_defaultESO_EENS0_5tupleIJNSA_16discard_iteratorISO_EES6_EEENSQ_IJSG_SG_EEES6_PlJS6_EEE10hipError_tPvRmT3_T4_T5_T6_T7_T9_mT8_P12ihipStream_tbDpT10_ENKUlT_T0_E_clISt17integral_constantIbLb1EES1E_IbLb0EEEEDaS1A_S1B_EUlS1A_E_NS1_11comp_targetILNS1_3genE2ELNS1_11target_archE906ELNS1_3gpuE6ELNS1_3repE0EEENS1_30default_config_static_selectorELNS0_4arch9wavefront6targetE0EEEvT1_,"axG",@progbits,_ZN7rocprim17ROCPRIM_400000_NS6detail17trampoline_kernelINS0_14default_configENS1_25partition_config_selectorILNS1_17partition_subalgoE5EjNS0_10empty_typeEbEEZZNS1_14partition_implILS5_5ELb0ES3_mN6thrust23THRUST_200600_302600_NS6detail15normal_iteratorINSA_10device_ptrIjEEEEPS6_NSA_18transform_iteratorINSB_9not_fun_tI7is_trueIjEEENSC_INSD_IbEEEENSA_11use_defaultESO_EENS0_5tupleIJNSA_16discard_iteratorISO_EES6_EEENSQ_IJSG_SG_EEES6_PlJS6_EEE10hipError_tPvRmT3_T4_T5_T6_T7_T9_mT8_P12ihipStream_tbDpT10_ENKUlT_T0_E_clISt17integral_constantIbLb1EES1E_IbLb0EEEEDaS1A_S1B_EUlS1A_E_NS1_11comp_targetILNS1_3genE2ELNS1_11target_archE906ELNS1_3gpuE6ELNS1_3repE0EEENS1_30default_config_static_selectorELNS0_4arch9wavefront6targetE0EEEvT1_,comdat
.Lfunc_end2705:
	.size	_ZN7rocprim17ROCPRIM_400000_NS6detail17trampoline_kernelINS0_14default_configENS1_25partition_config_selectorILNS1_17partition_subalgoE5EjNS0_10empty_typeEbEEZZNS1_14partition_implILS5_5ELb0ES3_mN6thrust23THRUST_200600_302600_NS6detail15normal_iteratorINSA_10device_ptrIjEEEEPS6_NSA_18transform_iteratorINSB_9not_fun_tI7is_trueIjEEENSC_INSD_IbEEEENSA_11use_defaultESO_EENS0_5tupleIJNSA_16discard_iteratorISO_EES6_EEENSQ_IJSG_SG_EEES6_PlJS6_EEE10hipError_tPvRmT3_T4_T5_T6_T7_T9_mT8_P12ihipStream_tbDpT10_ENKUlT_T0_E_clISt17integral_constantIbLb1EES1E_IbLb0EEEEDaS1A_S1B_EUlS1A_E_NS1_11comp_targetILNS1_3genE2ELNS1_11target_archE906ELNS1_3gpuE6ELNS1_3repE0EEENS1_30default_config_static_selectorELNS0_4arch9wavefront6targetE0EEEvT1_, .Lfunc_end2705-_ZN7rocprim17ROCPRIM_400000_NS6detail17trampoline_kernelINS0_14default_configENS1_25partition_config_selectorILNS1_17partition_subalgoE5EjNS0_10empty_typeEbEEZZNS1_14partition_implILS5_5ELb0ES3_mN6thrust23THRUST_200600_302600_NS6detail15normal_iteratorINSA_10device_ptrIjEEEEPS6_NSA_18transform_iteratorINSB_9not_fun_tI7is_trueIjEEENSC_INSD_IbEEEENSA_11use_defaultESO_EENS0_5tupleIJNSA_16discard_iteratorISO_EES6_EEENSQ_IJSG_SG_EEES6_PlJS6_EEE10hipError_tPvRmT3_T4_T5_T6_T7_T9_mT8_P12ihipStream_tbDpT10_ENKUlT_T0_E_clISt17integral_constantIbLb1EES1E_IbLb0EEEEDaS1A_S1B_EUlS1A_E_NS1_11comp_targetILNS1_3genE2ELNS1_11target_archE906ELNS1_3gpuE6ELNS1_3repE0EEENS1_30default_config_static_selectorELNS0_4arch9wavefront6targetE0EEEvT1_
                                        ; -- End function
	.set _ZN7rocprim17ROCPRIM_400000_NS6detail17trampoline_kernelINS0_14default_configENS1_25partition_config_selectorILNS1_17partition_subalgoE5EjNS0_10empty_typeEbEEZZNS1_14partition_implILS5_5ELb0ES3_mN6thrust23THRUST_200600_302600_NS6detail15normal_iteratorINSA_10device_ptrIjEEEEPS6_NSA_18transform_iteratorINSB_9not_fun_tI7is_trueIjEEENSC_INSD_IbEEEENSA_11use_defaultESO_EENS0_5tupleIJNSA_16discard_iteratorISO_EES6_EEENSQ_IJSG_SG_EEES6_PlJS6_EEE10hipError_tPvRmT3_T4_T5_T6_T7_T9_mT8_P12ihipStream_tbDpT10_ENKUlT_T0_E_clISt17integral_constantIbLb1EES1E_IbLb0EEEEDaS1A_S1B_EUlS1A_E_NS1_11comp_targetILNS1_3genE2ELNS1_11target_archE906ELNS1_3gpuE6ELNS1_3repE0EEENS1_30default_config_static_selectorELNS0_4arch9wavefront6targetE0EEEvT1_.num_vgpr, 0
	.set _ZN7rocprim17ROCPRIM_400000_NS6detail17trampoline_kernelINS0_14default_configENS1_25partition_config_selectorILNS1_17partition_subalgoE5EjNS0_10empty_typeEbEEZZNS1_14partition_implILS5_5ELb0ES3_mN6thrust23THRUST_200600_302600_NS6detail15normal_iteratorINSA_10device_ptrIjEEEEPS6_NSA_18transform_iteratorINSB_9not_fun_tI7is_trueIjEEENSC_INSD_IbEEEENSA_11use_defaultESO_EENS0_5tupleIJNSA_16discard_iteratorISO_EES6_EEENSQ_IJSG_SG_EEES6_PlJS6_EEE10hipError_tPvRmT3_T4_T5_T6_T7_T9_mT8_P12ihipStream_tbDpT10_ENKUlT_T0_E_clISt17integral_constantIbLb1EES1E_IbLb0EEEEDaS1A_S1B_EUlS1A_E_NS1_11comp_targetILNS1_3genE2ELNS1_11target_archE906ELNS1_3gpuE6ELNS1_3repE0EEENS1_30default_config_static_selectorELNS0_4arch9wavefront6targetE0EEEvT1_.num_agpr, 0
	.set _ZN7rocprim17ROCPRIM_400000_NS6detail17trampoline_kernelINS0_14default_configENS1_25partition_config_selectorILNS1_17partition_subalgoE5EjNS0_10empty_typeEbEEZZNS1_14partition_implILS5_5ELb0ES3_mN6thrust23THRUST_200600_302600_NS6detail15normal_iteratorINSA_10device_ptrIjEEEEPS6_NSA_18transform_iteratorINSB_9not_fun_tI7is_trueIjEEENSC_INSD_IbEEEENSA_11use_defaultESO_EENS0_5tupleIJNSA_16discard_iteratorISO_EES6_EEENSQ_IJSG_SG_EEES6_PlJS6_EEE10hipError_tPvRmT3_T4_T5_T6_T7_T9_mT8_P12ihipStream_tbDpT10_ENKUlT_T0_E_clISt17integral_constantIbLb1EES1E_IbLb0EEEEDaS1A_S1B_EUlS1A_E_NS1_11comp_targetILNS1_3genE2ELNS1_11target_archE906ELNS1_3gpuE6ELNS1_3repE0EEENS1_30default_config_static_selectorELNS0_4arch9wavefront6targetE0EEEvT1_.numbered_sgpr, 0
	.set _ZN7rocprim17ROCPRIM_400000_NS6detail17trampoline_kernelINS0_14default_configENS1_25partition_config_selectorILNS1_17partition_subalgoE5EjNS0_10empty_typeEbEEZZNS1_14partition_implILS5_5ELb0ES3_mN6thrust23THRUST_200600_302600_NS6detail15normal_iteratorINSA_10device_ptrIjEEEEPS6_NSA_18transform_iteratorINSB_9not_fun_tI7is_trueIjEEENSC_INSD_IbEEEENSA_11use_defaultESO_EENS0_5tupleIJNSA_16discard_iteratorISO_EES6_EEENSQ_IJSG_SG_EEES6_PlJS6_EEE10hipError_tPvRmT3_T4_T5_T6_T7_T9_mT8_P12ihipStream_tbDpT10_ENKUlT_T0_E_clISt17integral_constantIbLb1EES1E_IbLb0EEEEDaS1A_S1B_EUlS1A_E_NS1_11comp_targetILNS1_3genE2ELNS1_11target_archE906ELNS1_3gpuE6ELNS1_3repE0EEENS1_30default_config_static_selectorELNS0_4arch9wavefront6targetE0EEEvT1_.num_named_barrier, 0
	.set _ZN7rocprim17ROCPRIM_400000_NS6detail17trampoline_kernelINS0_14default_configENS1_25partition_config_selectorILNS1_17partition_subalgoE5EjNS0_10empty_typeEbEEZZNS1_14partition_implILS5_5ELb0ES3_mN6thrust23THRUST_200600_302600_NS6detail15normal_iteratorINSA_10device_ptrIjEEEEPS6_NSA_18transform_iteratorINSB_9not_fun_tI7is_trueIjEEENSC_INSD_IbEEEENSA_11use_defaultESO_EENS0_5tupleIJNSA_16discard_iteratorISO_EES6_EEENSQ_IJSG_SG_EEES6_PlJS6_EEE10hipError_tPvRmT3_T4_T5_T6_T7_T9_mT8_P12ihipStream_tbDpT10_ENKUlT_T0_E_clISt17integral_constantIbLb1EES1E_IbLb0EEEEDaS1A_S1B_EUlS1A_E_NS1_11comp_targetILNS1_3genE2ELNS1_11target_archE906ELNS1_3gpuE6ELNS1_3repE0EEENS1_30default_config_static_selectorELNS0_4arch9wavefront6targetE0EEEvT1_.private_seg_size, 0
	.set _ZN7rocprim17ROCPRIM_400000_NS6detail17trampoline_kernelINS0_14default_configENS1_25partition_config_selectorILNS1_17partition_subalgoE5EjNS0_10empty_typeEbEEZZNS1_14partition_implILS5_5ELb0ES3_mN6thrust23THRUST_200600_302600_NS6detail15normal_iteratorINSA_10device_ptrIjEEEEPS6_NSA_18transform_iteratorINSB_9not_fun_tI7is_trueIjEEENSC_INSD_IbEEEENSA_11use_defaultESO_EENS0_5tupleIJNSA_16discard_iteratorISO_EES6_EEENSQ_IJSG_SG_EEES6_PlJS6_EEE10hipError_tPvRmT3_T4_T5_T6_T7_T9_mT8_P12ihipStream_tbDpT10_ENKUlT_T0_E_clISt17integral_constantIbLb1EES1E_IbLb0EEEEDaS1A_S1B_EUlS1A_E_NS1_11comp_targetILNS1_3genE2ELNS1_11target_archE906ELNS1_3gpuE6ELNS1_3repE0EEENS1_30default_config_static_selectorELNS0_4arch9wavefront6targetE0EEEvT1_.uses_vcc, 0
	.set _ZN7rocprim17ROCPRIM_400000_NS6detail17trampoline_kernelINS0_14default_configENS1_25partition_config_selectorILNS1_17partition_subalgoE5EjNS0_10empty_typeEbEEZZNS1_14partition_implILS5_5ELb0ES3_mN6thrust23THRUST_200600_302600_NS6detail15normal_iteratorINSA_10device_ptrIjEEEEPS6_NSA_18transform_iteratorINSB_9not_fun_tI7is_trueIjEEENSC_INSD_IbEEEENSA_11use_defaultESO_EENS0_5tupleIJNSA_16discard_iteratorISO_EES6_EEENSQ_IJSG_SG_EEES6_PlJS6_EEE10hipError_tPvRmT3_T4_T5_T6_T7_T9_mT8_P12ihipStream_tbDpT10_ENKUlT_T0_E_clISt17integral_constantIbLb1EES1E_IbLb0EEEEDaS1A_S1B_EUlS1A_E_NS1_11comp_targetILNS1_3genE2ELNS1_11target_archE906ELNS1_3gpuE6ELNS1_3repE0EEENS1_30default_config_static_selectorELNS0_4arch9wavefront6targetE0EEEvT1_.uses_flat_scratch, 0
	.set _ZN7rocprim17ROCPRIM_400000_NS6detail17trampoline_kernelINS0_14default_configENS1_25partition_config_selectorILNS1_17partition_subalgoE5EjNS0_10empty_typeEbEEZZNS1_14partition_implILS5_5ELb0ES3_mN6thrust23THRUST_200600_302600_NS6detail15normal_iteratorINSA_10device_ptrIjEEEEPS6_NSA_18transform_iteratorINSB_9not_fun_tI7is_trueIjEEENSC_INSD_IbEEEENSA_11use_defaultESO_EENS0_5tupleIJNSA_16discard_iteratorISO_EES6_EEENSQ_IJSG_SG_EEES6_PlJS6_EEE10hipError_tPvRmT3_T4_T5_T6_T7_T9_mT8_P12ihipStream_tbDpT10_ENKUlT_T0_E_clISt17integral_constantIbLb1EES1E_IbLb0EEEEDaS1A_S1B_EUlS1A_E_NS1_11comp_targetILNS1_3genE2ELNS1_11target_archE906ELNS1_3gpuE6ELNS1_3repE0EEENS1_30default_config_static_selectorELNS0_4arch9wavefront6targetE0EEEvT1_.has_dyn_sized_stack, 0
	.set _ZN7rocprim17ROCPRIM_400000_NS6detail17trampoline_kernelINS0_14default_configENS1_25partition_config_selectorILNS1_17partition_subalgoE5EjNS0_10empty_typeEbEEZZNS1_14partition_implILS5_5ELb0ES3_mN6thrust23THRUST_200600_302600_NS6detail15normal_iteratorINSA_10device_ptrIjEEEEPS6_NSA_18transform_iteratorINSB_9not_fun_tI7is_trueIjEEENSC_INSD_IbEEEENSA_11use_defaultESO_EENS0_5tupleIJNSA_16discard_iteratorISO_EES6_EEENSQ_IJSG_SG_EEES6_PlJS6_EEE10hipError_tPvRmT3_T4_T5_T6_T7_T9_mT8_P12ihipStream_tbDpT10_ENKUlT_T0_E_clISt17integral_constantIbLb1EES1E_IbLb0EEEEDaS1A_S1B_EUlS1A_E_NS1_11comp_targetILNS1_3genE2ELNS1_11target_archE906ELNS1_3gpuE6ELNS1_3repE0EEENS1_30default_config_static_selectorELNS0_4arch9wavefront6targetE0EEEvT1_.has_recursion, 0
	.set _ZN7rocprim17ROCPRIM_400000_NS6detail17trampoline_kernelINS0_14default_configENS1_25partition_config_selectorILNS1_17partition_subalgoE5EjNS0_10empty_typeEbEEZZNS1_14partition_implILS5_5ELb0ES3_mN6thrust23THRUST_200600_302600_NS6detail15normal_iteratorINSA_10device_ptrIjEEEEPS6_NSA_18transform_iteratorINSB_9not_fun_tI7is_trueIjEEENSC_INSD_IbEEEENSA_11use_defaultESO_EENS0_5tupleIJNSA_16discard_iteratorISO_EES6_EEENSQ_IJSG_SG_EEES6_PlJS6_EEE10hipError_tPvRmT3_T4_T5_T6_T7_T9_mT8_P12ihipStream_tbDpT10_ENKUlT_T0_E_clISt17integral_constantIbLb1EES1E_IbLb0EEEEDaS1A_S1B_EUlS1A_E_NS1_11comp_targetILNS1_3genE2ELNS1_11target_archE906ELNS1_3gpuE6ELNS1_3repE0EEENS1_30default_config_static_selectorELNS0_4arch9wavefront6targetE0EEEvT1_.has_indirect_call, 0
	.section	.AMDGPU.csdata,"",@progbits
; Kernel info:
; codeLenInByte = 0
; TotalNumSgprs: 0
; NumVgprs: 0
; ScratchSize: 0
; MemoryBound: 0
; FloatMode: 240
; IeeeMode: 1
; LDSByteSize: 0 bytes/workgroup (compile time only)
; SGPRBlocks: 0
; VGPRBlocks: 0
; NumSGPRsForWavesPerEU: 1
; NumVGPRsForWavesPerEU: 1
; Occupancy: 16
; WaveLimiterHint : 0
; COMPUTE_PGM_RSRC2:SCRATCH_EN: 0
; COMPUTE_PGM_RSRC2:USER_SGPR: 2
; COMPUTE_PGM_RSRC2:TRAP_HANDLER: 0
; COMPUTE_PGM_RSRC2:TGID_X_EN: 1
; COMPUTE_PGM_RSRC2:TGID_Y_EN: 0
; COMPUTE_PGM_RSRC2:TGID_Z_EN: 0
; COMPUTE_PGM_RSRC2:TIDIG_COMP_CNT: 0
	.section	.text._ZN7rocprim17ROCPRIM_400000_NS6detail17trampoline_kernelINS0_14default_configENS1_25partition_config_selectorILNS1_17partition_subalgoE5EjNS0_10empty_typeEbEEZZNS1_14partition_implILS5_5ELb0ES3_mN6thrust23THRUST_200600_302600_NS6detail15normal_iteratorINSA_10device_ptrIjEEEEPS6_NSA_18transform_iteratorINSB_9not_fun_tI7is_trueIjEEENSC_INSD_IbEEEENSA_11use_defaultESO_EENS0_5tupleIJNSA_16discard_iteratorISO_EES6_EEENSQ_IJSG_SG_EEES6_PlJS6_EEE10hipError_tPvRmT3_T4_T5_T6_T7_T9_mT8_P12ihipStream_tbDpT10_ENKUlT_T0_E_clISt17integral_constantIbLb1EES1E_IbLb0EEEEDaS1A_S1B_EUlS1A_E_NS1_11comp_targetILNS1_3genE10ELNS1_11target_archE1200ELNS1_3gpuE4ELNS1_3repE0EEENS1_30default_config_static_selectorELNS0_4arch9wavefront6targetE0EEEvT1_,"axG",@progbits,_ZN7rocprim17ROCPRIM_400000_NS6detail17trampoline_kernelINS0_14default_configENS1_25partition_config_selectorILNS1_17partition_subalgoE5EjNS0_10empty_typeEbEEZZNS1_14partition_implILS5_5ELb0ES3_mN6thrust23THRUST_200600_302600_NS6detail15normal_iteratorINSA_10device_ptrIjEEEEPS6_NSA_18transform_iteratorINSB_9not_fun_tI7is_trueIjEEENSC_INSD_IbEEEENSA_11use_defaultESO_EENS0_5tupleIJNSA_16discard_iteratorISO_EES6_EEENSQ_IJSG_SG_EEES6_PlJS6_EEE10hipError_tPvRmT3_T4_T5_T6_T7_T9_mT8_P12ihipStream_tbDpT10_ENKUlT_T0_E_clISt17integral_constantIbLb1EES1E_IbLb0EEEEDaS1A_S1B_EUlS1A_E_NS1_11comp_targetILNS1_3genE10ELNS1_11target_archE1200ELNS1_3gpuE4ELNS1_3repE0EEENS1_30default_config_static_selectorELNS0_4arch9wavefront6targetE0EEEvT1_,comdat
	.protected	_ZN7rocprim17ROCPRIM_400000_NS6detail17trampoline_kernelINS0_14default_configENS1_25partition_config_selectorILNS1_17partition_subalgoE5EjNS0_10empty_typeEbEEZZNS1_14partition_implILS5_5ELb0ES3_mN6thrust23THRUST_200600_302600_NS6detail15normal_iteratorINSA_10device_ptrIjEEEEPS6_NSA_18transform_iteratorINSB_9not_fun_tI7is_trueIjEEENSC_INSD_IbEEEENSA_11use_defaultESO_EENS0_5tupleIJNSA_16discard_iteratorISO_EES6_EEENSQ_IJSG_SG_EEES6_PlJS6_EEE10hipError_tPvRmT3_T4_T5_T6_T7_T9_mT8_P12ihipStream_tbDpT10_ENKUlT_T0_E_clISt17integral_constantIbLb1EES1E_IbLb0EEEEDaS1A_S1B_EUlS1A_E_NS1_11comp_targetILNS1_3genE10ELNS1_11target_archE1200ELNS1_3gpuE4ELNS1_3repE0EEENS1_30default_config_static_selectorELNS0_4arch9wavefront6targetE0EEEvT1_ ; -- Begin function _ZN7rocprim17ROCPRIM_400000_NS6detail17trampoline_kernelINS0_14default_configENS1_25partition_config_selectorILNS1_17partition_subalgoE5EjNS0_10empty_typeEbEEZZNS1_14partition_implILS5_5ELb0ES3_mN6thrust23THRUST_200600_302600_NS6detail15normal_iteratorINSA_10device_ptrIjEEEEPS6_NSA_18transform_iteratorINSB_9not_fun_tI7is_trueIjEEENSC_INSD_IbEEEENSA_11use_defaultESO_EENS0_5tupleIJNSA_16discard_iteratorISO_EES6_EEENSQ_IJSG_SG_EEES6_PlJS6_EEE10hipError_tPvRmT3_T4_T5_T6_T7_T9_mT8_P12ihipStream_tbDpT10_ENKUlT_T0_E_clISt17integral_constantIbLb1EES1E_IbLb0EEEEDaS1A_S1B_EUlS1A_E_NS1_11comp_targetILNS1_3genE10ELNS1_11target_archE1200ELNS1_3gpuE4ELNS1_3repE0EEENS1_30default_config_static_selectorELNS0_4arch9wavefront6targetE0EEEvT1_
	.globl	_ZN7rocprim17ROCPRIM_400000_NS6detail17trampoline_kernelINS0_14default_configENS1_25partition_config_selectorILNS1_17partition_subalgoE5EjNS0_10empty_typeEbEEZZNS1_14partition_implILS5_5ELb0ES3_mN6thrust23THRUST_200600_302600_NS6detail15normal_iteratorINSA_10device_ptrIjEEEEPS6_NSA_18transform_iteratorINSB_9not_fun_tI7is_trueIjEEENSC_INSD_IbEEEENSA_11use_defaultESO_EENS0_5tupleIJNSA_16discard_iteratorISO_EES6_EEENSQ_IJSG_SG_EEES6_PlJS6_EEE10hipError_tPvRmT3_T4_T5_T6_T7_T9_mT8_P12ihipStream_tbDpT10_ENKUlT_T0_E_clISt17integral_constantIbLb1EES1E_IbLb0EEEEDaS1A_S1B_EUlS1A_E_NS1_11comp_targetILNS1_3genE10ELNS1_11target_archE1200ELNS1_3gpuE4ELNS1_3repE0EEENS1_30default_config_static_selectorELNS0_4arch9wavefront6targetE0EEEvT1_
	.p2align	8
	.type	_ZN7rocprim17ROCPRIM_400000_NS6detail17trampoline_kernelINS0_14default_configENS1_25partition_config_selectorILNS1_17partition_subalgoE5EjNS0_10empty_typeEbEEZZNS1_14partition_implILS5_5ELb0ES3_mN6thrust23THRUST_200600_302600_NS6detail15normal_iteratorINSA_10device_ptrIjEEEEPS6_NSA_18transform_iteratorINSB_9not_fun_tI7is_trueIjEEENSC_INSD_IbEEEENSA_11use_defaultESO_EENS0_5tupleIJNSA_16discard_iteratorISO_EES6_EEENSQ_IJSG_SG_EEES6_PlJS6_EEE10hipError_tPvRmT3_T4_T5_T6_T7_T9_mT8_P12ihipStream_tbDpT10_ENKUlT_T0_E_clISt17integral_constantIbLb1EES1E_IbLb0EEEEDaS1A_S1B_EUlS1A_E_NS1_11comp_targetILNS1_3genE10ELNS1_11target_archE1200ELNS1_3gpuE4ELNS1_3repE0EEENS1_30default_config_static_selectorELNS0_4arch9wavefront6targetE0EEEvT1_,@function
_ZN7rocprim17ROCPRIM_400000_NS6detail17trampoline_kernelINS0_14default_configENS1_25partition_config_selectorILNS1_17partition_subalgoE5EjNS0_10empty_typeEbEEZZNS1_14partition_implILS5_5ELb0ES3_mN6thrust23THRUST_200600_302600_NS6detail15normal_iteratorINSA_10device_ptrIjEEEEPS6_NSA_18transform_iteratorINSB_9not_fun_tI7is_trueIjEEENSC_INSD_IbEEEENSA_11use_defaultESO_EENS0_5tupleIJNSA_16discard_iteratorISO_EES6_EEENSQ_IJSG_SG_EEES6_PlJS6_EEE10hipError_tPvRmT3_T4_T5_T6_T7_T9_mT8_P12ihipStream_tbDpT10_ENKUlT_T0_E_clISt17integral_constantIbLb1EES1E_IbLb0EEEEDaS1A_S1B_EUlS1A_E_NS1_11comp_targetILNS1_3genE10ELNS1_11target_archE1200ELNS1_3gpuE4ELNS1_3repE0EEENS1_30default_config_static_selectorELNS0_4arch9wavefront6targetE0EEEvT1_: ; @_ZN7rocprim17ROCPRIM_400000_NS6detail17trampoline_kernelINS0_14default_configENS1_25partition_config_selectorILNS1_17partition_subalgoE5EjNS0_10empty_typeEbEEZZNS1_14partition_implILS5_5ELb0ES3_mN6thrust23THRUST_200600_302600_NS6detail15normal_iteratorINSA_10device_ptrIjEEEEPS6_NSA_18transform_iteratorINSB_9not_fun_tI7is_trueIjEEENSC_INSD_IbEEEENSA_11use_defaultESO_EENS0_5tupleIJNSA_16discard_iteratorISO_EES6_EEENSQ_IJSG_SG_EEES6_PlJS6_EEE10hipError_tPvRmT3_T4_T5_T6_T7_T9_mT8_P12ihipStream_tbDpT10_ENKUlT_T0_E_clISt17integral_constantIbLb1EES1E_IbLb0EEEEDaS1A_S1B_EUlS1A_E_NS1_11comp_targetILNS1_3genE10ELNS1_11target_archE1200ELNS1_3gpuE4ELNS1_3repE0EEENS1_30default_config_static_selectorELNS0_4arch9wavefront6targetE0EEEvT1_
; %bb.0:
	s_endpgm
	.section	.rodata,"a",@progbits
	.p2align	6, 0x0
	.amdhsa_kernel _ZN7rocprim17ROCPRIM_400000_NS6detail17trampoline_kernelINS0_14default_configENS1_25partition_config_selectorILNS1_17partition_subalgoE5EjNS0_10empty_typeEbEEZZNS1_14partition_implILS5_5ELb0ES3_mN6thrust23THRUST_200600_302600_NS6detail15normal_iteratorINSA_10device_ptrIjEEEEPS6_NSA_18transform_iteratorINSB_9not_fun_tI7is_trueIjEEENSC_INSD_IbEEEENSA_11use_defaultESO_EENS0_5tupleIJNSA_16discard_iteratorISO_EES6_EEENSQ_IJSG_SG_EEES6_PlJS6_EEE10hipError_tPvRmT3_T4_T5_T6_T7_T9_mT8_P12ihipStream_tbDpT10_ENKUlT_T0_E_clISt17integral_constantIbLb1EES1E_IbLb0EEEEDaS1A_S1B_EUlS1A_E_NS1_11comp_targetILNS1_3genE10ELNS1_11target_archE1200ELNS1_3gpuE4ELNS1_3repE0EEENS1_30default_config_static_selectorELNS0_4arch9wavefront6targetE0EEEvT1_
		.amdhsa_group_segment_fixed_size 0
		.amdhsa_private_segment_fixed_size 0
		.amdhsa_kernarg_size 128
		.amdhsa_user_sgpr_count 2
		.amdhsa_user_sgpr_dispatch_ptr 0
		.amdhsa_user_sgpr_queue_ptr 0
		.amdhsa_user_sgpr_kernarg_segment_ptr 1
		.amdhsa_user_sgpr_dispatch_id 0
		.amdhsa_user_sgpr_private_segment_size 0
		.amdhsa_wavefront_size32 1
		.amdhsa_uses_dynamic_stack 0
		.amdhsa_enable_private_segment 0
		.amdhsa_system_sgpr_workgroup_id_x 1
		.amdhsa_system_sgpr_workgroup_id_y 0
		.amdhsa_system_sgpr_workgroup_id_z 0
		.amdhsa_system_sgpr_workgroup_info 0
		.amdhsa_system_vgpr_workitem_id 0
		.amdhsa_next_free_vgpr 1
		.amdhsa_next_free_sgpr 1
		.amdhsa_reserve_vcc 0
		.amdhsa_float_round_mode_32 0
		.amdhsa_float_round_mode_16_64 0
		.amdhsa_float_denorm_mode_32 3
		.amdhsa_float_denorm_mode_16_64 3
		.amdhsa_fp16_overflow 0
		.amdhsa_workgroup_processor_mode 1
		.amdhsa_memory_ordered 1
		.amdhsa_forward_progress 1
		.amdhsa_inst_pref_size 1
		.amdhsa_round_robin_scheduling 0
		.amdhsa_exception_fp_ieee_invalid_op 0
		.amdhsa_exception_fp_denorm_src 0
		.amdhsa_exception_fp_ieee_div_zero 0
		.amdhsa_exception_fp_ieee_overflow 0
		.amdhsa_exception_fp_ieee_underflow 0
		.amdhsa_exception_fp_ieee_inexact 0
		.amdhsa_exception_int_div_zero 0
	.end_amdhsa_kernel
	.section	.text._ZN7rocprim17ROCPRIM_400000_NS6detail17trampoline_kernelINS0_14default_configENS1_25partition_config_selectorILNS1_17partition_subalgoE5EjNS0_10empty_typeEbEEZZNS1_14partition_implILS5_5ELb0ES3_mN6thrust23THRUST_200600_302600_NS6detail15normal_iteratorINSA_10device_ptrIjEEEEPS6_NSA_18transform_iteratorINSB_9not_fun_tI7is_trueIjEEENSC_INSD_IbEEEENSA_11use_defaultESO_EENS0_5tupleIJNSA_16discard_iteratorISO_EES6_EEENSQ_IJSG_SG_EEES6_PlJS6_EEE10hipError_tPvRmT3_T4_T5_T6_T7_T9_mT8_P12ihipStream_tbDpT10_ENKUlT_T0_E_clISt17integral_constantIbLb1EES1E_IbLb0EEEEDaS1A_S1B_EUlS1A_E_NS1_11comp_targetILNS1_3genE10ELNS1_11target_archE1200ELNS1_3gpuE4ELNS1_3repE0EEENS1_30default_config_static_selectorELNS0_4arch9wavefront6targetE0EEEvT1_,"axG",@progbits,_ZN7rocprim17ROCPRIM_400000_NS6detail17trampoline_kernelINS0_14default_configENS1_25partition_config_selectorILNS1_17partition_subalgoE5EjNS0_10empty_typeEbEEZZNS1_14partition_implILS5_5ELb0ES3_mN6thrust23THRUST_200600_302600_NS6detail15normal_iteratorINSA_10device_ptrIjEEEEPS6_NSA_18transform_iteratorINSB_9not_fun_tI7is_trueIjEEENSC_INSD_IbEEEENSA_11use_defaultESO_EENS0_5tupleIJNSA_16discard_iteratorISO_EES6_EEENSQ_IJSG_SG_EEES6_PlJS6_EEE10hipError_tPvRmT3_T4_T5_T6_T7_T9_mT8_P12ihipStream_tbDpT10_ENKUlT_T0_E_clISt17integral_constantIbLb1EES1E_IbLb0EEEEDaS1A_S1B_EUlS1A_E_NS1_11comp_targetILNS1_3genE10ELNS1_11target_archE1200ELNS1_3gpuE4ELNS1_3repE0EEENS1_30default_config_static_selectorELNS0_4arch9wavefront6targetE0EEEvT1_,comdat
.Lfunc_end2706:
	.size	_ZN7rocprim17ROCPRIM_400000_NS6detail17trampoline_kernelINS0_14default_configENS1_25partition_config_selectorILNS1_17partition_subalgoE5EjNS0_10empty_typeEbEEZZNS1_14partition_implILS5_5ELb0ES3_mN6thrust23THRUST_200600_302600_NS6detail15normal_iteratorINSA_10device_ptrIjEEEEPS6_NSA_18transform_iteratorINSB_9not_fun_tI7is_trueIjEEENSC_INSD_IbEEEENSA_11use_defaultESO_EENS0_5tupleIJNSA_16discard_iteratorISO_EES6_EEENSQ_IJSG_SG_EEES6_PlJS6_EEE10hipError_tPvRmT3_T4_T5_T6_T7_T9_mT8_P12ihipStream_tbDpT10_ENKUlT_T0_E_clISt17integral_constantIbLb1EES1E_IbLb0EEEEDaS1A_S1B_EUlS1A_E_NS1_11comp_targetILNS1_3genE10ELNS1_11target_archE1200ELNS1_3gpuE4ELNS1_3repE0EEENS1_30default_config_static_selectorELNS0_4arch9wavefront6targetE0EEEvT1_, .Lfunc_end2706-_ZN7rocprim17ROCPRIM_400000_NS6detail17trampoline_kernelINS0_14default_configENS1_25partition_config_selectorILNS1_17partition_subalgoE5EjNS0_10empty_typeEbEEZZNS1_14partition_implILS5_5ELb0ES3_mN6thrust23THRUST_200600_302600_NS6detail15normal_iteratorINSA_10device_ptrIjEEEEPS6_NSA_18transform_iteratorINSB_9not_fun_tI7is_trueIjEEENSC_INSD_IbEEEENSA_11use_defaultESO_EENS0_5tupleIJNSA_16discard_iteratorISO_EES6_EEENSQ_IJSG_SG_EEES6_PlJS6_EEE10hipError_tPvRmT3_T4_T5_T6_T7_T9_mT8_P12ihipStream_tbDpT10_ENKUlT_T0_E_clISt17integral_constantIbLb1EES1E_IbLb0EEEEDaS1A_S1B_EUlS1A_E_NS1_11comp_targetILNS1_3genE10ELNS1_11target_archE1200ELNS1_3gpuE4ELNS1_3repE0EEENS1_30default_config_static_selectorELNS0_4arch9wavefront6targetE0EEEvT1_
                                        ; -- End function
	.set _ZN7rocprim17ROCPRIM_400000_NS6detail17trampoline_kernelINS0_14default_configENS1_25partition_config_selectorILNS1_17partition_subalgoE5EjNS0_10empty_typeEbEEZZNS1_14partition_implILS5_5ELb0ES3_mN6thrust23THRUST_200600_302600_NS6detail15normal_iteratorINSA_10device_ptrIjEEEEPS6_NSA_18transform_iteratorINSB_9not_fun_tI7is_trueIjEEENSC_INSD_IbEEEENSA_11use_defaultESO_EENS0_5tupleIJNSA_16discard_iteratorISO_EES6_EEENSQ_IJSG_SG_EEES6_PlJS6_EEE10hipError_tPvRmT3_T4_T5_T6_T7_T9_mT8_P12ihipStream_tbDpT10_ENKUlT_T0_E_clISt17integral_constantIbLb1EES1E_IbLb0EEEEDaS1A_S1B_EUlS1A_E_NS1_11comp_targetILNS1_3genE10ELNS1_11target_archE1200ELNS1_3gpuE4ELNS1_3repE0EEENS1_30default_config_static_selectorELNS0_4arch9wavefront6targetE0EEEvT1_.num_vgpr, 0
	.set _ZN7rocprim17ROCPRIM_400000_NS6detail17trampoline_kernelINS0_14default_configENS1_25partition_config_selectorILNS1_17partition_subalgoE5EjNS0_10empty_typeEbEEZZNS1_14partition_implILS5_5ELb0ES3_mN6thrust23THRUST_200600_302600_NS6detail15normal_iteratorINSA_10device_ptrIjEEEEPS6_NSA_18transform_iteratorINSB_9not_fun_tI7is_trueIjEEENSC_INSD_IbEEEENSA_11use_defaultESO_EENS0_5tupleIJNSA_16discard_iteratorISO_EES6_EEENSQ_IJSG_SG_EEES6_PlJS6_EEE10hipError_tPvRmT3_T4_T5_T6_T7_T9_mT8_P12ihipStream_tbDpT10_ENKUlT_T0_E_clISt17integral_constantIbLb1EES1E_IbLb0EEEEDaS1A_S1B_EUlS1A_E_NS1_11comp_targetILNS1_3genE10ELNS1_11target_archE1200ELNS1_3gpuE4ELNS1_3repE0EEENS1_30default_config_static_selectorELNS0_4arch9wavefront6targetE0EEEvT1_.num_agpr, 0
	.set _ZN7rocprim17ROCPRIM_400000_NS6detail17trampoline_kernelINS0_14default_configENS1_25partition_config_selectorILNS1_17partition_subalgoE5EjNS0_10empty_typeEbEEZZNS1_14partition_implILS5_5ELb0ES3_mN6thrust23THRUST_200600_302600_NS6detail15normal_iteratorINSA_10device_ptrIjEEEEPS6_NSA_18transform_iteratorINSB_9not_fun_tI7is_trueIjEEENSC_INSD_IbEEEENSA_11use_defaultESO_EENS0_5tupleIJNSA_16discard_iteratorISO_EES6_EEENSQ_IJSG_SG_EEES6_PlJS6_EEE10hipError_tPvRmT3_T4_T5_T6_T7_T9_mT8_P12ihipStream_tbDpT10_ENKUlT_T0_E_clISt17integral_constantIbLb1EES1E_IbLb0EEEEDaS1A_S1B_EUlS1A_E_NS1_11comp_targetILNS1_3genE10ELNS1_11target_archE1200ELNS1_3gpuE4ELNS1_3repE0EEENS1_30default_config_static_selectorELNS0_4arch9wavefront6targetE0EEEvT1_.numbered_sgpr, 0
	.set _ZN7rocprim17ROCPRIM_400000_NS6detail17trampoline_kernelINS0_14default_configENS1_25partition_config_selectorILNS1_17partition_subalgoE5EjNS0_10empty_typeEbEEZZNS1_14partition_implILS5_5ELb0ES3_mN6thrust23THRUST_200600_302600_NS6detail15normal_iteratorINSA_10device_ptrIjEEEEPS6_NSA_18transform_iteratorINSB_9not_fun_tI7is_trueIjEEENSC_INSD_IbEEEENSA_11use_defaultESO_EENS0_5tupleIJNSA_16discard_iteratorISO_EES6_EEENSQ_IJSG_SG_EEES6_PlJS6_EEE10hipError_tPvRmT3_T4_T5_T6_T7_T9_mT8_P12ihipStream_tbDpT10_ENKUlT_T0_E_clISt17integral_constantIbLb1EES1E_IbLb0EEEEDaS1A_S1B_EUlS1A_E_NS1_11comp_targetILNS1_3genE10ELNS1_11target_archE1200ELNS1_3gpuE4ELNS1_3repE0EEENS1_30default_config_static_selectorELNS0_4arch9wavefront6targetE0EEEvT1_.num_named_barrier, 0
	.set _ZN7rocprim17ROCPRIM_400000_NS6detail17trampoline_kernelINS0_14default_configENS1_25partition_config_selectorILNS1_17partition_subalgoE5EjNS0_10empty_typeEbEEZZNS1_14partition_implILS5_5ELb0ES3_mN6thrust23THRUST_200600_302600_NS6detail15normal_iteratorINSA_10device_ptrIjEEEEPS6_NSA_18transform_iteratorINSB_9not_fun_tI7is_trueIjEEENSC_INSD_IbEEEENSA_11use_defaultESO_EENS0_5tupleIJNSA_16discard_iteratorISO_EES6_EEENSQ_IJSG_SG_EEES6_PlJS6_EEE10hipError_tPvRmT3_T4_T5_T6_T7_T9_mT8_P12ihipStream_tbDpT10_ENKUlT_T0_E_clISt17integral_constantIbLb1EES1E_IbLb0EEEEDaS1A_S1B_EUlS1A_E_NS1_11comp_targetILNS1_3genE10ELNS1_11target_archE1200ELNS1_3gpuE4ELNS1_3repE0EEENS1_30default_config_static_selectorELNS0_4arch9wavefront6targetE0EEEvT1_.private_seg_size, 0
	.set _ZN7rocprim17ROCPRIM_400000_NS6detail17trampoline_kernelINS0_14default_configENS1_25partition_config_selectorILNS1_17partition_subalgoE5EjNS0_10empty_typeEbEEZZNS1_14partition_implILS5_5ELb0ES3_mN6thrust23THRUST_200600_302600_NS6detail15normal_iteratorINSA_10device_ptrIjEEEEPS6_NSA_18transform_iteratorINSB_9not_fun_tI7is_trueIjEEENSC_INSD_IbEEEENSA_11use_defaultESO_EENS0_5tupleIJNSA_16discard_iteratorISO_EES6_EEENSQ_IJSG_SG_EEES6_PlJS6_EEE10hipError_tPvRmT3_T4_T5_T6_T7_T9_mT8_P12ihipStream_tbDpT10_ENKUlT_T0_E_clISt17integral_constantIbLb1EES1E_IbLb0EEEEDaS1A_S1B_EUlS1A_E_NS1_11comp_targetILNS1_3genE10ELNS1_11target_archE1200ELNS1_3gpuE4ELNS1_3repE0EEENS1_30default_config_static_selectorELNS0_4arch9wavefront6targetE0EEEvT1_.uses_vcc, 0
	.set _ZN7rocprim17ROCPRIM_400000_NS6detail17trampoline_kernelINS0_14default_configENS1_25partition_config_selectorILNS1_17partition_subalgoE5EjNS0_10empty_typeEbEEZZNS1_14partition_implILS5_5ELb0ES3_mN6thrust23THRUST_200600_302600_NS6detail15normal_iteratorINSA_10device_ptrIjEEEEPS6_NSA_18transform_iteratorINSB_9not_fun_tI7is_trueIjEEENSC_INSD_IbEEEENSA_11use_defaultESO_EENS0_5tupleIJNSA_16discard_iteratorISO_EES6_EEENSQ_IJSG_SG_EEES6_PlJS6_EEE10hipError_tPvRmT3_T4_T5_T6_T7_T9_mT8_P12ihipStream_tbDpT10_ENKUlT_T0_E_clISt17integral_constantIbLb1EES1E_IbLb0EEEEDaS1A_S1B_EUlS1A_E_NS1_11comp_targetILNS1_3genE10ELNS1_11target_archE1200ELNS1_3gpuE4ELNS1_3repE0EEENS1_30default_config_static_selectorELNS0_4arch9wavefront6targetE0EEEvT1_.uses_flat_scratch, 0
	.set _ZN7rocprim17ROCPRIM_400000_NS6detail17trampoline_kernelINS0_14default_configENS1_25partition_config_selectorILNS1_17partition_subalgoE5EjNS0_10empty_typeEbEEZZNS1_14partition_implILS5_5ELb0ES3_mN6thrust23THRUST_200600_302600_NS6detail15normal_iteratorINSA_10device_ptrIjEEEEPS6_NSA_18transform_iteratorINSB_9not_fun_tI7is_trueIjEEENSC_INSD_IbEEEENSA_11use_defaultESO_EENS0_5tupleIJNSA_16discard_iteratorISO_EES6_EEENSQ_IJSG_SG_EEES6_PlJS6_EEE10hipError_tPvRmT3_T4_T5_T6_T7_T9_mT8_P12ihipStream_tbDpT10_ENKUlT_T0_E_clISt17integral_constantIbLb1EES1E_IbLb0EEEEDaS1A_S1B_EUlS1A_E_NS1_11comp_targetILNS1_3genE10ELNS1_11target_archE1200ELNS1_3gpuE4ELNS1_3repE0EEENS1_30default_config_static_selectorELNS0_4arch9wavefront6targetE0EEEvT1_.has_dyn_sized_stack, 0
	.set _ZN7rocprim17ROCPRIM_400000_NS6detail17trampoline_kernelINS0_14default_configENS1_25partition_config_selectorILNS1_17partition_subalgoE5EjNS0_10empty_typeEbEEZZNS1_14partition_implILS5_5ELb0ES3_mN6thrust23THRUST_200600_302600_NS6detail15normal_iteratorINSA_10device_ptrIjEEEEPS6_NSA_18transform_iteratorINSB_9not_fun_tI7is_trueIjEEENSC_INSD_IbEEEENSA_11use_defaultESO_EENS0_5tupleIJNSA_16discard_iteratorISO_EES6_EEENSQ_IJSG_SG_EEES6_PlJS6_EEE10hipError_tPvRmT3_T4_T5_T6_T7_T9_mT8_P12ihipStream_tbDpT10_ENKUlT_T0_E_clISt17integral_constantIbLb1EES1E_IbLb0EEEEDaS1A_S1B_EUlS1A_E_NS1_11comp_targetILNS1_3genE10ELNS1_11target_archE1200ELNS1_3gpuE4ELNS1_3repE0EEENS1_30default_config_static_selectorELNS0_4arch9wavefront6targetE0EEEvT1_.has_recursion, 0
	.set _ZN7rocprim17ROCPRIM_400000_NS6detail17trampoline_kernelINS0_14default_configENS1_25partition_config_selectorILNS1_17partition_subalgoE5EjNS0_10empty_typeEbEEZZNS1_14partition_implILS5_5ELb0ES3_mN6thrust23THRUST_200600_302600_NS6detail15normal_iteratorINSA_10device_ptrIjEEEEPS6_NSA_18transform_iteratorINSB_9not_fun_tI7is_trueIjEEENSC_INSD_IbEEEENSA_11use_defaultESO_EENS0_5tupleIJNSA_16discard_iteratorISO_EES6_EEENSQ_IJSG_SG_EEES6_PlJS6_EEE10hipError_tPvRmT3_T4_T5_T6_T7_T9_mT8_P12ihipStream_tbDpT10_ENKUlT_T0_E_clISt17integral_constantIbLb1EES1E_IbLb0EEEEDaS1A_S1B_EUlS1A_E_NS1_11comp_targetILNS1_3genE10ELNS1_11target_archE1200ELNS1_3gpuE4ELNS1_3repE0EEENS1_30default_config_static_selectorELNS0_4arch9wavefront6targetE0EEEvT1_.has_indirect_call, 0
	.section	.AMDGPU.csdata,"",@progbits
; Kernel info:
; codeLenInByte = 4
; TotalNumSgprs: 0
; NumVgprs: 0
; ScratchSize: 0
; MemoryBound: 0
; FloatMode: 240
; IeeeMode: 1
; LDSByteSize: 0 bytes/workgroup (compile time only)
; SGPRBlocks: 0
; VGPRBlocks: 0
; NumSGPRsForWavesPerEU: 1
; NumVGPRsForWavesPerEU: 1
; Occupancy: 16
; WaveLimiterHint : 0
; COMPUTE_PGM_RSRC2:SCRATCH_EN: 0
; COMPUTE_PGM_RSRC2:USER_SGPR: 2
; COMPUTE_PGM_RSRC2:TRAP_HANDLER: 0
; COMPUTE_PGM_RSRC2:TGID_X_EN: 1
; COMPUTE_PGM_RSRC2:TGID_Y_EN: 0
; COMPUTE_PGM_RSRC2:TGID_Z_EN: 0
; COMPUTE_PGM_RSRC2:TIDIG_COMP_CNT: 0
	.section	.text._ZN7rocprim17ROCPRIM_400000_NS6detail17trampoline_kernelINS0_14default_configENS1_25partition_config_selectorILNS1_17partition_subalgoE5EjNS0_10empty_typeEbEEZZNS1_14partition_implILS5_5ELb0ES3_mN6thrust23THRUST_200600_302600_NS6detail15normal_iteratorINSA_10device_ptrIjEEEEPS6_NSA_18transform_iteratorINSB_9not_fun_tI7is_trueIjEEENSC_INSD_IbEEEENSA_11use_defaultESO_EENS0_5tupleIJNSA_16discard_iteratorISO_EES6_EEENSQ_IJSG_SG_EEES6_PlJS6_EEE10hipError_tPvRmT3_T4_T5_T6_T7_T9_mT8_P12ihipStream_tbDpT10_ENKUlT_T0_E_clISt17integral_constantIbLb1EES1E_IbLb0EEEEDaS1A_S1B_EUlS1A_E_NS1_11comp_targetILNS1_3genE9ELNS1_11target_archE1100ELNS1_3gpuE3ELNS1_3repE0EEENS1_30default_config_static_selectorELNS0_4arch9wavefront6targetE0EEEvT1_,"axG",@progbits,_ZN7rocprim17ROCPRIM_400000_NS6detail17trampoline_kernelINS0_14default_configENS1_25partition_config_selectorILNS1_17partition_subalgoE5EjNS0_10empty_typeEbEEZZNS1_14partition_implILS5_5ELb0ES3_mN6thrust23THRUST_200600_302600_NS6detail15normal_iteratorINSA_10device_ptrIjEEEEPS6_NSA_18transform_iteratorINSB_9not_fun_tI7is_trueIjEEENSC_INSD_IbEEEENSA_11use_defaultESO_EENS0_5tupleIJNSA_16discard_iteratorISO_EES6_EEENSQ_IJSG_SG_EEES6_PlJS6_EEE10hipError_tPvRmT3_T4_T5_T6_T7_T9_mT8_P12ihipStream_tbDpT10_ENKUlT_T0_E_clISt17integral_constantIbLb1EES1E_IbLb0EEEEDaS1A_S1B_EUlS1A_E_NS1_11comp_targetILNS1_3genE9ELNS1_11target_archE1100ELNS1_3gpuE3ELNS1_3repE0EEENS1_30default_config_static_selectorELNS0_4arch9wavefront6targetE0EEEvT1_,comdat
	.protected	_ZN7rocprim17ROCPRIM_400000_NS6detail17trampoline_kernelINS0_14default_configENS1_25partition_config_selectorILNS1_17partition_subalgoE5EjNS0_10empty_typeEbEEZZNS1_14partition_implILS5_5ELb0ES3_mN6thrust23THRUST_200600_302600_NS6detail15normal_iteratorINSA_10device_ptrIjEEEEPS6_NSA_18transform_iteratorINSB_9not_fun_tI7is_trueIjEEENSC_INSD_IbEEEENSA_11use_defaultESO_EENS0_5tupleIJNSA_16discard_iteratorISO_EES6_EEENSQ_IJSG_SG_EEES6_PlJS6_EEE10hipError_tPvRmT3_T4_T5_T6_T7_T9_mT8_P12ihipStream_tbDpT10_ENKUlT_T0_E_clISt17integral_constantIbLb1EES1E_IbLb0EEEEDaS1A_S1B_EUlS1A_E_NS1_11comp_targetILNS1_3genE9ELNS1_11target_archE1100ELNS1_3gpuE3ELNS1_3repE0EEENS1_30default_config_static_selectorELNS0_4arch9wavefront6targetE0EEEvT1_ ; -- Begin function _ZN7rocprim17ROCPRIM_400000_NS6detail17trampoline_kernelINS0_14default_configENS1_25partition_config_selectorILNS1_17partition_subalgoE5EjNS0_10empty_typeEbEEZZNS1_14partition_implILS5_5ELb0ES3_mN6thrust23THRUST_200600_302600_NS6detail15normal_iteratorINSA_10device_ptrIjEEEEPS6_NSA_18transform_iteratorINSB_9not_fun_tI7is_trueIjEEENSC_INSD_IbEEEENSA_11use_defaultESO_EENS0_5tupleIJNSA_16discard_iteratorISO_EES6_EEENSQ_IJSG_SG_EEES6_PlJS6_EEE10hipError_tPvRmT3_T4_T5_T6_T7_T9_mT8_P12ihipStream_tbDpT10_ENKUlT_T0_E_clISt17integral_constantIbLb1EES1E_IbLb0EEEEDaS1A_S1B_EUlS1A_E_NS1_11comp_targetILNS1_3genE9ELNS1_11target_archE1100ELNS1_3gpuE3ELNS1_3repE0EEENS1_30default_config_static_selectorELNS0_4arch9wavefront6targetE0EEEvT1_
	.globl	_ZN7rocprim17ROCPRIM_400000_NS6detail17trampoline_kernelINS0_14default_configENS1_25partition_config_selectorILNS1_17partition_subalgoE5EjNS0_10empty_typeEbEEZZNS1_14partition_implILS5_5ELb0ES3_mN6thrust23THRUST_200600_302600_NS6detail15normal_iteratorINSA_10device_ptrIjEEEEPS6_NSA_18transform_iteratorINSB_9not_fun_tI7is_trueIjEEENSC_INSD_IbEEEENSA_11use_defaultESO_EENS0_5tupleIJNSA_16discard_iteratorISO_EES6_EEENSQ_IJSG_SG_EEES6_PlJS6_EEE10hipError_tPvRmT3_T4_T5_T6_T7_T9_mT8_P12ihipStream_tbDpT10_ENKUlT_T0_E_clISt17integral_constantIbLb1EES1E_IbLb0EEEEDaS1A_S1B_EUlS1A_E_NS1_11comp_targetILNS1_3genE9ELNS1_11target_archE1100ELNS1_3gpuE3ELNS1_3repE0EEENS1_30default_config_static_selectorELNS0_4arch9wavefront6targetE0EEEvT1_
	.p2align	8
	.type	_ZN7rocprim17ROCPRIM_400000_NS6detail17trampoline_kernelINS0_14default_configENS1_25partition_config_selectorILNS1_17partition_subalgoE5EjNS0_10empty_typeEbEEZZNS1_14partition_implILS5_5ELb0ES3_mN6thrust23THRUST_200600_302600_NS6detail15normal_iteratorINSA_10device_ptrIjEEEEPS6_NSA_18transform_iteratorINSB_9not_fun_tI7is_trueIjEEENSC_INSD_IbEEEENSA_11use_defaultESO_EENS0_5tupleIJNSA_16discard_iteratorISO_EES6_EEENSQ_IJSG_SG_EEES6_PlJS6_EEE10hipError_tPvRmT3_T4_T5_T6_T7_T9_mT8_P12ihipStream_tbDpT10_ENKUlT_T0_E_clISt17integral_constantIbLb1EES1E_IbLb0EEEEDaS1A_S1B_EUlS1A_E_NS1_11comp_targetILNS1_3genE9ELNS1_11target_archE1100ELNS1_3gpuE3ELNS1_3repE0EEENS1_30default_config_static_selectorELNS0_4arch9wavefront6targetE0EEEvT1_,@function
_ZN7rocprim17ROCPRIM_400000_NS6detail17trampoline_kernelINS0_14default_configENS1_25partition_config_selectorILNS1_17partition_subalgoE5EjNS0_10empty_typeEbEEZZNS1_14partition_implILS5_5ELb0ES3_mN6thrust23THRUST_200600_302600_NS6detail15normal_iteratorINSA_10device_ptrIjEEEEPS6_NSA_18transform_iteratorINSB_9not_fun_tI7is_trueIjEEENSC_INSD_IbEEEENSA_11use_defaultESO_EENS0_5tupleIJNSA_16discard_iteratorISO_EES6_EEENSQ_IJSG_SG_EEES6_PlJS6_EEE10hipError_tPvRmT3_T4_T5_T6_T7_T9_mT8_P12ihipStream_tbDpT10_ENKUlT_T0_E_clISt17integral_constantIbLb1EES1E_IbLb0EEEEDaS1A_S1B_EUlS1A_E_NS1_11comp_targetILNS1_3genE9ELNS1_11target_archE1100ELNS1_3gpuE3ELNS1_3repE0EEENS1_30default_config_static_selectorELNS0_4arch9wavefront6targetE0EEEvT1_: ; @_ZN7rocprim17ROCPRIM_400000_NS6detail17trampoline_kernelINS0_14default_configENS1_25partition_config_selectorILNS1_17partition_subalgoE5EjNS0_10empty_typeEbEEZZNS1_14partition_implILS5_5ELb0ES3_mN6thrust23THRUST_200600_302600_NS6detail15normal_iteratorINSA_10device_ptrIjEEEEPS6_NSA_18transform_iteratorINSB_9not_fun_tI7is_trueIjEEENSC_INSD_IbEEEENSA_11use_defaultESO_EENS0_5tupleIJNSA_16discard_iteratorISO_EES6_EEENSQ_IJSG_SG_EEES6_PlJS6_EEE10hipError_tPvRmT3_T4_T5_T6_T7_T9_mT8_P12ihipStream_tbDpT10_ENKUlT_T0_E_clISt17integral_constantIbLb1EES1E_IbLb0EEEEDaS1A_S1B_EUlS1A_E_NS1_11comp_targetILNS1_3genE9ELNS1_11target_archE1100ELNS1_3gpuE3ELNS1_3repE0EEENS1_30default_config_static_selectorELNS0_4arch9wavefront6targetE0EEEvT1_
; %bb.0:
	.section	.rodata,"a",@progbits
	.p2align	6, 0x0
	.amdhsa_kernel _ZN7rocprim17ROCPRIM_400000_NS6detail17trampoline_kernelINS0_14default_configENS1_25partition_config_selectorILNS1_17partition_subalgoE5EjNS0_10empty_typeEbEEZZNS1_14partition_implILS5_5ELb0ES3_mN6thrust23THRUST_200600_302600_NS6detail15normal_iteratorINSA_10device_ptrIjEEEEPS6_NSA_18transform_iteratorINSB_9not_fun_tI7is_trueIjEEENSC_INSD_IbEEEENSA_11use_defaultESO_EENS0_5tupleIJNSA_16discard_iteratorISO_EES6_EEENSQ_IJSG_SG_EEES6_PlJS6_EEE10hipError_tPvRmT3_T4_T5_T6_T7_T9_mT8_P12ihipStream_tbDpT10_ENKUlT_T0_E_clISt17integral_constantIbLb1EES1E_IbLb0EEEEDaS1A_S1B_EUlS1A_E_NS1_11comp_targetILNS1_3genE9ELNS1_11target_archE1100ELNS1_3gpuE3ELNS1_3repE0EEENS1_30default_config_static_selectorELNS0_4arch9wavefront6targetE0EEEvT1_
		.amdhsa_group_segment_fixed_size 0
		.amdhsa_private_segment_fixed_size 0
		.amdhsa_kernarg_size 128
		.amdhsa_user_sgpr_count 2
		.amdhsa_user_sgpr_dispatch_ptr 0
		.amdhsa_user_sgpr_queue_ptr 0
		.amdhsa_user_sgpr_kernarg_segment_ptr 1
		.amdhsa_user_sgpr_dispatch_id 0
		.amdhsa_user_sgpr_private_segment_size 0
		.amdhsa_wavefront_size32 1
		.amdhsa_uses_dynamic_stack 0
		.amdhsa_enable_private_segment 0
		.amdhsa_system_sgpr_workgroup_id_x 1
		.amdhsa_system_sgpr_workgroup_id_y 0
		.amdhsa_system_sgpr_workgroup_id_z 0
		.amdhsa_system_sgpr_workgroup_info 0
		.amdhsa_system_vgpr_workitem_id 0
		.amdhsa_next_free_vgpr 1
		.amdhsa_next_free_sgpr 1
		.amdhsa_reserve_vcc 0
		.amdhsa_float_round_mode_32 0
		.amdhsa_float_round_mode_16_64 0
		.amdhsa_float_denorm_mode_32 3
		.amdhsa_float_denorm_mode_16_64 3
		.amdhsa_fp16_overflow 0
		.amdhsa_workgroup_processor_mode 1
		.amdhsa_memory_ordered 1
		.amdhsa_forward_progress 1
		.amdhsa_inst_pref_size 0
		.amdhsa_round_robin_scheduling 0
		.amdhsa_exception_fp_ieee_invalid_op 0
		.amdhsa_exception_fp_denorm_src 0
		.amdhsa_exception_fp_ieee_div_zero 0
		.amdhsa_exception_fp_ieee_overflow 0
		.amdhsa_exception_fp_ieee_underflow 0
		.amdhsa_exception_fp_ieee_inexact 0
		.amdhsa_exception_int_div_zero 0
	.end_amdhsa_kernel
	.section	.text._ZN7rocprim17ROCPRIM_400000_NS6detail17trampoline_kernelINS0_14default_configENS1_25partition_config_selectorILNS1_17partition_subalgoE5EjNS0_10empty_typeEbEEZZNS1_14partition_implILS5_5ELb0ES3_mN6thrust23THRUST_200600_302600_NS6detail15normal_iteratorINSA_10device_ptrIjEEEEPS6_NSA_18transform_iteratorINSB_9not_fun_tI7is_trueIjEEENSC_INSD_IbEEEENSA_11use_defaultESO_EENS0_5tupleIJNSA_16discard_iteratorISO_EES6_EEENSQ_IJSG_SG_EEES6_PlJS6_EEE10hipError_tPvRmT3_T4_T5_T6_T7_T9_mT8_P12ihipStream_tbDpT10_ENKUlT_T0_E_clISt17integral_constantIbLb1EES1E_IbLb0EEEEDaS1A_S1B_EUlS1A_E_NS1_11comp_targetILNS1_3genE9ELNS1_11target_archE1100ELNS1_3gpuE3ELNS1_3repE0EEENS1_30default_config_static_selectorELNS0_4arch9wavefront6targetE0EEEvT1_,"axG",@progbits,_ZN7rocprim17ROCPRIM_400000_NS6detail17trampoline_kernelINS0_14default_configENS1_25partition_config_selectorILNS1_17partition_subalgoE5EjNS0_10empty_typeEbEEZZNS1_14partition_implILS5_5ELb0ES3_mN6thrust23THRUST_200600_302600_NS6detail15normal_iteratorINSA_10device_ptrIjEEEEPS6_NSA_18transform_iteratorINSB_9not_fun_tI7is_trueIjEEENSC_INSD_IbEEEENSA_11use_defaultESO_EENS0_5tupleIJNSA_16discard_iteratorISO_EES6_EEENSQ_IJSG_SG_EEES6_PlJS6_EEE10hipError_tPvRmT3_T4_T5_T6_T7_T9_mT8_P12ihipStream_tbDpT10_ENKUlT_T0_E_clISt17integral_constantIbLb1EES1E_IbLb0EEEEDaS1A_S1B_EUlS1A_E_NS1_11comp_targetILNS1_3genE9ELNS1_11target_archE1100ELNS1_3gpuE3ELNS1_3repE0EEENS1_30default_config_static_selectorELNS0_4arch9wavefront6targetE0EEEvT1_,comdat
.Lfunc_end2707:
	.size	_ZN7rocprim17ROCPRIM_400000_NS6detail17trampoline_kernelINS0_14default_configENS1_25partition_config_selectorILNS1_17partition_subalgoE5EjNS0_10empty_typeEbEEZZNS1_14partition_implILS5_5ELb0ES3_mN6thrust23THRUST_200600_302600_NS6detail15normal_iteratorINSA_10device_ptrIjEEEEPS6_NSA_18transform_iteratorINSB_9not_fun_tI7is_trueIjEEENSC_INSD_IbEEEENSA_11use_defaultESO_EENS0_5tupleIJNSA_16discard_iteratorISO_EES6_EEENSQ_IJSG_SG_EEES6_PlJS6_EEE10hipError_tPvRmT3_T4_T5_T6_T7_T9_mT8_P12ihipStream_tbDpT10_ENKUlT_T0_E_clISt17integral_constantIbLb1EES1E_IbLb0EEEEDaS1A_S1B_EUlS1A_E_NS1_11comp_targetILNS1_3genE9ELNS1_11target_archE1100ELNS1_3gpuE3ELNS1_3repE0EEENS1_30default_config_static_selectorELNS0_4arch9wavefront6targetE0EEEvT1_, .Lfunc_end2707-_ZN7rocprim17ROCPRIM_400000_NS6detail17trampoline_kernelINS0_14default_configENS1_25partition_config_selectorILNS1_17partition_subalgoE5EjNS0_10empty_typeEbEEZZNS1_14partition_implILS5_5ELb0ES3_mN6thrust23THRUST_200600_302600_NS6detail15normal_iteratorINSA_10device_ptrIjEEEEPS6_NSA_18transform_iteratorINSB_9not_fun_tI7is_trueIjEEENSC_INSD_IbEEEENSA_11use_defaultESO_EENS0_5tupleIJNSA_16discard_iteratorISO_EES6_EEENSQ_IJSG_SG_EEES6_PlJS6_EEE10hipError_tPvRmT3_T4_T5_T6_T7_T9_mT8_P12ihipStream_tbDpT10_ENKUlT_T0_E_clISt17integral_constantIbLb1EES1E_IbLb0EEEEDaS1A_S1B_EUlS1A_E_NS1_11comp_targetILNS1_3genE9ELNS1_11target_archE1100ELNS1_3gpuE3ELNS1_3repE0EEENS1_30default_config_static_selectorELNS0_4arch9wavefront6targetE0EEEvT1_
                                        ; -- End function
	.set _ZN7rocprim17ROCPRIM_400000_NS6detail17trampoline_kernelINS0_14default_configENS1_25partition_config_selectorILNS1_17partition_subalgoE5EjNS0_10empty_typeEbEEZZNS1_14partition_implILS5_5ELb0ES3_mN6thrust23THRUST_200600_302600_NS6detail15normal_iteratorINSA_10device_ptrIjEEEEPS6_NSA_18transform_iteratorINSB_9not_fun_tI7is_trueIjEEENSC_INSD_IbEEEENSA_11use_defaultESO_EENS0_5tupleIJNSA_16discard_iteratorISO_EES6_EEENSQ_IJSG_SG_EEES6_PlJS6_EEE10hipError_tPvRmT3_T4_T5_T6_T7_T9_mT8_P12ihipStream_tbDpT10_ENKUlT_T0_E_clISt17integral_constantIbLb1EES1E_IbLb0EEEEDaS1A_S1B_EUlS1A_E_NS1_11comp_targetILNS1_3genE9ELNS1_11target_archE1100ELNS1_3gpuE3ELNS1_3repE0EEENS1_30default_config_static_selectorELNS0_4arch9wavefront6targetE0EEEvT1_.num_vgpr, 0
	.set _ZN7rocprim17ROCPRIM_400000_NS6detail17trampoline_kernelINS0_14default_configENS1_25partition_config_selectorILNS1_17partition_subalgoE5EjNS0_10empty_typeEbEEZZNS1_14partition_implILS5_5ELb0ES3_mN6thrust23THRUST_200600_302600_NS6detail15normal_iteratorINSA_10device_ptrIjEEEEPS6_NSA_18transform_iteratorINSB_9not_fun_tI7is_trueIjEEENSC_INSD_IbEEEENSA_11use_defaultESO_EENS0_5tupleIJNSA_16discard_iteratorISO_EES6_EEENSQ_IJSG_SG_EEES6_PlJS6_EEE10hipError_tPvRmT3_T4_T5_T6_T7_T9_mT8_P12ihipStream_tbDpT10_ENKUlT_T0_E_clISt17integral_constantIbLb1EES1E_IbLb0EEEEDaS1A_S1B_EUlS1A_E_NS1_11comp_targetILNS1_3genE9ELNS1_11target_archE1100ELNS1_3gpuE3ELNS1_3repE0EEENS1_30default_config_static_selectorELNS0_4arch9wavefront6targetE0EEEvT1_.num_agpr, 0
	.set _ZN7rocprim17ROCPRIM_400000_NS6detail17trampoline_kernelINS0_14default_configENS1_25partition_config_selectorILNS1_17partition_subalgoE5EjNS0_10empty_typeEbEEZZNS1_14partition_implILS5_5ELb0ES3_mN6thrust23THRUST_200600_302600_NS6detail15normal_iteratorINSA_10device_ptrIjEEEEPS6_NSA_18transform_iteratorINSB_9not_fun_tI7is_trueIjEEENSC_INSD_IbEEEENSA_11use_defaultESO_EENS0_5tupleIJNSA_16discard_iteratorISO_EES6_EEENSQ_IJSG_SG_EEES6_PlJS6_EEE10hipError_tPvRmT3_T4_T5_T6_T7_T9_mT8_P12ihipStream_tbDpT10_ENKUlT_T0_E_clISt17integral_constantIbLb1EES1E_IbLb0EEEEDaS1A_S1B_EUlS1A_E_NS1_11comp_targetILNS1_3genE9ELNS1_11target_archE1100ELNS1_3gpuE3ELNS1_3repE0EEENS1_30default_config_static_selectorELNS0_4arch9wavefront6targetE0EEEvT1_.numbered_sgpr, 0
	.set _ZN7rocprim17ROCPRIM_400000_NS6detail17trampoline_kernelINS0_14default_configENS1_25partition_config_selectorILNS1_17partition_subalgoE5EjNS0_10empty_typeEbEEZZNS1_14partition_implILS5_5ELb0ES3_mN6thrust23THRUST_200600_302600_NS6detail15normal_iteratorINSA_10device_ptrIjEEEEPS6_NSA_18transform_iteratorINSB_9not_fun_tI7is_trueIjEEENSC_INSD_IbEEEENSA_11use_defaultESO_EENS0_5tupleIJNSA_16discard_iteratorISO_EES6_EEENSQ_IJSG_SG_EEES6_PlJS6_EEE10hipError_tPvRmT3_T4_T5_T6_T7_T9_mT8_P12ihipStream_tbDpT10_ENKUlT_T0_E_clISt17integral_constantIbLb1EES1E_IbLb0EEEEDaS1A_S1B_EUlS1A_E_NS1_11comp_targetILNS1_3genE9ELNS1_11target_archE1100ELNS1_3gpuE3ELNS1_3repE0EEENS1_30default_config_static_selectorELNS0_4arch9wavefront6targetE0EEEvT1_.num_named_barrier, 0
	.set _ZN7rocprim17ROCPRIM_400000_NS6detail17trampoline_kernelINS0_14default_configENS1_25partition_config_selectorILNS1_17partition_subalgoE5EjNS0_10empty_typeEbEEZZNS1_14partition_implILS5_5ELb0ES3_mN6thrust23THRUST_200600_302600_NS6detail15normal_iteratorINSA_10device_ptrIjEEEEPS6_NSA_18transform_iteratorINSB_9not_fun_tI7is_trueIjEEENSC_INSD_IbEEEENSA_11use_defaultESO_EENS0_5tupleIJNSA_16discard_iteratorISO_EES6_EEENSQ_IJSG_SG_EEES6_PlJS6_EEE10hipError_tPvRmT3_T4_T5_T6_T7_T9_mT8_P12ihipStream_tbDpT10_ENKUlT_T0_E_clISt17integral_constantIbLb1EES1E_IbLb0EEEEDaS1A_S1B_EUlS1A_E_NS1_11comp_targetILNS1_3genE9ELNS1_11target_archE1100ELNS1_3gpuE3ELNS1_3repE0EEENS1_30default_config_static_selectorELNS0_4arch9wavefront6targetE0EEEvT1_.private_seg_size, 0
	.set _ZN7rocprim17ROCPRIM_400000_NS6detail17trampoline_kernelINS0_14default_configENS1_25partition_config_selectorILNS1_17partition_subalgoE5EjNS0_10empty_typeEbEEZZNS1_14partition_implILS5_5ELb0ES3_mN6thrust23THRUST_200600_302600_NS6detail15normal_iteratorINSA_10device_ptrIjEEEEPS6_NSA_18transform_iteratorINSB_9not_fun_tI7is_trueIjEEENSC_INSD_IbEEEENSA_11use_defaultESO_EENS0_5tupleIJNSA_16discard_iteratorISO_EES6_EEENSQ_IJSG_SG_EEES6_PlJS6_EEE10hipError_tPvRmT3_T4_T5_T6_T7_T9_mT8_P12ihipStream_tbDpT10_ENKUlT_T0_E_clISt17integral_constantIbLb1EES1E_IbLb0EEEEDaS1A_S1B_EUlS1A_E_NS1_11comp_targetILNS1_3genE9ELNS1_11target_archE1100ELNS1_3gpuE3ELNS1_3repE0EEENS1_30default_config_static_selectorELNS0_4arch9wavefront6targetE0EEEvT1_.uses_vcc, 0
	.set _ZN7rocprim17ROCPRIM_400000_NS6detail17trampoline_kernelINS0_14default_configENS1_25partition_config_selectorILNS1_17partition_subalgoE5EjNS0_10empty_typeEbEEZZNS1_14partition_implILS5_5ELb0ES3_mN6thrust23THRUST_200600_302600_NS6detail15normal_iteratorINSA_10device_ptrIjEEEEPS6_NSA_18transform_iteratorINSB_9not_fun_tI7is_trueIjEEENSC_INSD_IbEEEENSA_11use_defaultESO_EENS0_5tupleIJNSA_16discard_iteratorISO_EES6_EEENSQ_IJSG_SG_EEES6_PlJS6_EEE10hipError_tPvRmT3_T4_T5_T6_T7_T9_mT8_P12ihipStream_tbDpT10_ENKUlT_T0_E_clISt17integral_constantIbLb1EES1E_IbLb0EEEEDaS1A_S1B_EUlS1A_E_NS1_11comp_targetILNS1_3genE9ELNS1_11target_archE1100ELNS1_3gpuE3ELNS1_3repE0EEENS1_30default_config_static_selectorELNS0_4arch9wavefront6targetE0EEEvT1_.uses_flat_scratch, 0
	.set _ZN7rocprim17ROCPRIM_400000_NS6detail17trampoline_kernelINS0_14default_configENS1_25partition_config_selectorILNS1_17partition_subalgoE5EjNS0_10empty_typeEbEEZZNS1_14partition_implILS5_5ELb0ES3_mN6thrust23THRUST_200600_302600_NS6detail15normal_iteratorINSA_10device_ptrIjEEEEPS6_NSA_18transform_iteratorINSB_9not_fun_tI7is_trueIjEEENSC_INSD_IbEEEENSA_11use_defaultESO_EENS0_5tupleIJNSA_16discard_iteratorISO_EES6_EEENSQ_IJSG_SG_EEES6_PlJS6_EEE10hipError_tPvRmT3_T4_T5_T6_T7_T9_mT8_P12ihipStream_tbDpT10_ENKUlT_T0_E_clISt17integral_constantIbLb1EES1E_IbLb0EEEEDaS1A_S1B_EUlS1A_E_NS1_11comp_targetILNS1_3genE9ELNS1_11target_archE1100ELNS1_3gpuE3ELNS1_3repE0EEENS1_30default_config_static_selectorELNS0_4arch9wavefront6targetE0EEEvT1_.has_dyn_sized_stack, 0
	.set _ZN7rocprim17ROCPRIM_400000_NS6detail17trampoline_kernelINS0_14default_configENS1_25partition_config_selectorILNS1_17partition_subalgoE5EjNS0_10empty_typeEbEEZZNS1_14partition_implILS5_5ELb0ES3_mN6thrust23THRUST_200600_302600_NS6detail15normal_iteratorINSA_10device_ptrIjEEEEPS6_NSA_18transform_iteratorINSB_9not_fun_tI7is_trueIjEEENSC_INSD_IbEEEENSA_11use_defaultESO_EENS0_5tupleIJNSA_16discard_iteratorISO_EES6_EEENSQ_IJSG_SG_EEES6_PlJS6_EEE10hipError_tPvRmT3_T4_T5_T6_T7_T9_mT8_P12ihipStream_tbDpT10_ENKUlT_T0_E_clISt17integral_constantIbLb1EES1E_IbLb0EEEEDaS1A_S1B_EUlS1A_E_NS1_11comp_targetILNS1_3genE9ELNS1_11target_archE1100ELNS1_3gpuE3ELNS1_3repE0EEENS1_30default_config_static_selectorELNS0_4arch9wavefront6targetE0EEEvT1_.has_recursion, 0
	.set _ZN7rocprim17ROCPRIM_400000_NS6detail17trampoline_kernelINS0_14default_configENS1_25partition_config_selectorILNS1_17partition_subalgoE5EjNS0_10empty_typeEbEEZZNS1_14partition_implILS5_5ELb0ES3_mN6thrust23THRUST_200600_302600_NS6detail15normal_iteratorINSA_10device_ptrIjEEEEPS6_NSA_18transform_iteratorINSB_9not_fun_tI7is_trueIjEEENSC_INSD_IbEEEENSA_11use_defaultESO_EENS0_5tupleIJNSA_16discard_iteratorISO_EES6_EEENSQ_IJSG_SG_EEES6_PlJS6_EEE10hipError_tPvRmT3_T4_T5_T6_T7_T9_mT8_P12ihipStream_tbDpT10_ENKUlT_T0_E_clISt17integral_constantIbLb1EES1E_IbLb0EEEEDaS1A_S1B_EUlS1A_E_NS1_11comp_targetILNS1_3genE9ELNS1_11target_archE1100ELNS1_3gpuE3ELNS1_3repE0EEENS1_30default_config_static_selectorELNS0_4arch9wavefront6targetE0EEEvT1_.has_indirect_call, 0
	.section	.AMDGPU.csdata,"",@progbits
; Kernel info:
; codeLenInByte = 0
; TotalNumSgprs: 0
; NumVgprs: 0
; ScratchSize: 0
; MemoryBound: 0
; FloatMode: 240
; IeeeMode: 1
; LDSByteSize: 0 bytes/workgroup (compile time only)
; SGPRBlocks: 0
; VGPRBlocks: 0
; NumSGPRsForWavesPerEU: 1
; NumVGPRsForWavesPerEU: 1
; Occupancy: 16
; WaveLimiterHint : 0
; COMPUTE_PGM_RSRC2:SCRATCH_EN: 0
; COMPUTE_PGM_RSRC2:USER_SGPR: 2
; COMPUTE_PGM_RSRC2:TRAP_HANDLER: 0
; COMPUTE_PGM_RSRC2:TGID_X_EN: 1
; COMPUTE_PGM_RSRC2:TGID_Y_EN: 0
; COMPUTE_PGM_RSRC2:TGID_Z_EN: 0
; COMPUTE_PGM_RSRC2:TIDIG_COMP_CNT: 0
	.section	.text._ZN7rocprim17ROCPRIM_400000_NS6detail17trampoline_kernelINS0_14default_configENS1_25partition_config_selectorILNS1_17partition_subalgoE5EjNS0_10empty_typeEbEEZZNS1_14partition_implILS5_5ELb0ES3_mN6thrust23THRUST_200600_302600_NS6detail15normal_iteratorINSA_10device_ptrIjEEEEPS6_NSA_18transform_iteratorINSB_9not_fun_tI7is_trueIjEEENSC_INSD_IbEEEENSA_11use_defaultESO_EENS0_5tupleIJNSA_16discard_iteratorISO_EES6_EEENSQ_IJSG_SG_EEES6_PlJS6_EEE10hipError_tPvRmT3_T4_T5_T6_T7_T9_mT8_P12ihipStream_tbDpT10_ENKUlT_T0_E_clISt17integral_constantIbLb1EES1E_IbLb0EEEEDaS1A_S1B_EUlS1A_E_NS1_11comp_targetILNS1_3genE8ELNS1_11target_archE1030ELNS1_3gpuE2ELNS1_3repE0EEENS1_30default_config_static_selectorELNS0_4arch9wavefront6targetE0EEEvT1_,"axG",@progbits,_ZN7rocprim17ROCPRIM_400000_NS6detail17trampoline_kernelINS0_14default_configENS1_25partition_config_selectorILNS1_17partition_subalgoE5EjNS0_10empty_typeEbEEZZNS1_14partition_implILS5_5ELb0ES3_mN6thrust23THRUST_200600_302600_NS6detail15normal_iteratorINSA_10device_ptrIjEEEEPS6_NSA_18transform_iteratorINSB_9not_fun_tI7is_trueIjEEENSC_INSD_IbEEEENSA_11use_defaultESO_EENS0_5tupleIJNSA_16discard_iteratorISO_EES6_EEENSQ_IJSG_SG_EEES6_PlJS6_EEE10hipError_tPvRmT3_T4_T5_T6_T7_T9_mT8_P12ihipStream_tbDpT10_ENKUlT_T0_E_clISt17integral_constantIbLb1EES1E_IbLb0EEEEDaS1A_S1B_EUlS1A_E_NS1_11comp_targetILNS1_3genE8ELNS1_11target_archE1030ELNS1_3gpuE2ELNS1_3repE0EEENS1_30default_config_static_selectorELNS0_4arch9wavefront6targetE0EEEvT1_,comdat
	.protected	_ZN7rocprim17ROCPRIM_400000_NS6detail17trampoline_kernelINS0_14default_configENS1_25partition_config_selectorILNS1_17partition_subalgoE5EjNS0_10empty_typeEbEEZZNS1_14partition_implILS5_5ELb0ES3_mN6thrust23THRUST_200600_302600_NS6detail15normal_iteratorINSA_10device_ptrIjEEEEPS6_NSA_18transform_iteratorINSB_9not_fun_tI7is_trueIjEEENSC_INSD_IbEEEENSA_11use_defaultESO_EENS0_5tupleIJNSA_16discard_iteratorISO_EES6_EEENSQ_IJSG_SG_EEES6_PlJS6_EEE10hipError_tPvRmT3_T4_T5_T6_T7_T9_mT8_P12ihipStream_tbDpT10_ENKUlT_T0_E_clISt17integral_constantIbLb1EES1E_IbLb0EEEEDaS1A_S1B_EUlS1A_E_NS1_11comp_targetILNS1_3genE8ELNS1_11target_archE1030ELNS1_3gpuE2ELNS1_3repE0EEENS1_30default_config_static_selectorELNS0_4arch9wavefront6targetE0EEEvT1_ ; -- Begin function _ZN7rocprim17ROCPRIM_400000_NS6detail17trampoline_kernelINS0_14default_configENS1_25partition_config_selectorILNS1_17partition_subalgoE5EjNS0_10empty_typeEbEEZZNS1_14partition_implILS5_5ELb0ES3_mN6thrust23THRUST_200600_302600_NS6detail15normal_iteratorINSA_10device_ptrIjEEEEPS6_NSA_18transform_iteratorINSB_9not_fun_tI7is_trueIjEEENSC_INSD_IbEEEENSA_11use_defaultESO_EENS0_5tupleIJNSA_16discard_iteratorISO_EES6_EEENSQ_IJSG_SG_EEES6_PlJS6_EEE10hipError_tPvRmT3_T4_T5_T6_T7_T9_mT8_P12ihipStream_tbDpT10_ENKUlT_T0_E_clISt17integral_constantIbLb1EES1E_IbLb0EEEEDaS1A_S1B_EUlS1A_E_NS1_11comp_targetILNS1_3genE8ELNS1_11target_archE1030ELNS1_3gpuE2ELNS1_3repE0EEENS1_30default_config_static_selectorELNS0_4arch9wavefront6targetE0EEEvT1_
	.globl	_ZN7rocprim17ROCPRIM_400000_NS6detail17trampoline_kernelINS0_14default_configENS1_25partition_config_selectorILNS1_17partition_subalgoE5EjNS0_10empty_typeEbEEZZNS1_14partition_implILS5_5ELb0ES3_mN6thrust23THRUST_200600_302600_NS6detail15normal_iteratorINSA_10device_ptrIjEEEEPS6_NSA_18transform_iteratorINSB_9not_fun_tI7is_trueIjEEENSC_INSD_IbEEEENSA_11use_defaultESO_EENS0_5tupleIJNSA_16discard_iteratorISO_EES6_EEENSQ_IJSG_SG_EEES6_PlJS6_EEE10hipError_tPvRmT3_T4_T5_T6_T7_T9_mT8_P12ihipStream_tbDpT10_ENKUlT_T0_E_clISt17integral_constantIbLb1EES1E_IbLb0EEEEDaS1A_S1B_EUlS1A_E_NS1_11comp_targetILNS1_3genE8ELNS1_11target_archE1030ELNS1_3gpuE2ELNS1_3repE0EEENS1_30default_config_static_selectorELNS0_4arch9wavefront6targetE0EEEvT1_
	.p2align	8
	.type	_ZN7rocprim17ROCPRIM_400000_NS6detail17trampoline_kernelINS0_14default_configENS1_25partition_config_selectorILNS1_17partition_subalgoE5EjNS0_10empty_typeEbEEZZNS1_14partition_implILS5_5ELb0ES3_mN6thrust23THRUST_200600_302600_NS6detail15normal_iteratorINSA_10device_ptrIjEEEEPS6_NSA_18transform_iteratorINSB_9not_fun_tI7is_trueIjEEENSC_INSD_IbEEEENSA_11use_defaultESO_EENS0_5tupleIJNSA_16discard_iteratorISO_EES6_EEENSQ_IJSG_SG_EEES6_PlJS6_EEE10hipError_tPvRmT3_T4_T5_T6_T7_T9_mT8_P12ihipStream_tbDpT10_ENKUlT_T0_E_clISt17integral_constantIbLb1EES1E_IbLb0EEEEDaS1A_S1B_EUlS1A_E_NS1_11comp_targetILNS1_3genE8ELNS1_11target_archE1030ELNS1_3gpuE2ELNS1_3repE0EEENS1_30default_config_static_selectorELNS0_4arch9wavefront6targetE0EEEvT1_,@function
_ZN7rocprim17ROCPRIM_400000_NS6detail17trampoline_kernelINS0_14default_configENS1_25partition_config_selectorILNS1_17partition_subalgoE5EjNS0_10empty_typeEbEEZZNS1_14partition_implILS5_5ELb0ES3_mN6thrust23THRUST_200600_302600_NS6detail15normal_iteratorINSA_10device_ptrIjEEEEPS6_NSA_18transform_iteratorINSB_9not_fun_tI7is_trueIjEEENSC_INSD_IbEEEENSA_11use_defaultESO_EENS0_5tupleIJNSA_16discard_iteratorISO_EES6_EEENSQ_IJSG_SG_EEES6_PlJS6_EEE10hipError_tPvRmT3_T4_T5_T6_T7_T9_mT8_P12ihipStream_tbDpT10_ENKUlT_T0_E_clISt17integral_constantIbLb1EES1E_IbLb0EEEEDaS1A_S1B_EUlS1A_E_NS1_11comp_targetILNS1_3genE8ELNS1_11target_archE1030ELNS1_3gpuE2ELNS1_3repE0EEENS1_30default_config_static_selectorELNS0_4arch9wavefront6targetE0EEEvT1_: ; @_ZN7rocprim17ROCPRIM_400000_NS6detail17trampoline_kernelINS0_14default_configENS1_25partition_config_selectorILNS1_17partition_subalgoE5EjNS0_10empty_typeEbEEZZNS1_14partition_implILS5_5ELb0ES3_mN6thrust23THRUST_200600_302600_NS6detail15normal_iteratorINSA_10device_ptrIjEEEEPS6_NSA_18transform_iteratorINSB_9not_fun_tI7is_trueIjEEENSC_INSD_IbEEEENSA_11use_defaultESO_EENS0_5tupleIJNSA_16discard_iteratorISO_EES6_EEENSQ_IJSG_SG_EEES6_PlJS6_EEE10hipError_tPvRmT3_T4_T5_T6_T7_T9_mT8_P12ihipStream_tbDpT10_ENKUlT_T0_E_clISt17integral_constantIbLb1EES1E_IbLb0EEEEDaS1A_S1B_EUlS1A_E_NS1_11comp_targetILNS1_3genE8ELNS1_11target_archE1030ELNS1_3gpuE2ELNS1_3repE0EEENS1_30default_config_static_selectorELNS0_4arch9wavefront6targetE0EEEvT1_
; %bb.0:
	.section	.rodata,"a",@progbits
	.p2align	6, 0x0
	.amdhsa_kernel _ZN7rocprim17ROCPRIM_400000_NS6detail17trampoline_kernelINS0_14default_configENS1_25partition_config_selectorILNS1_17partition_subalgoE5EjNS0_10empty_typeEbEEZZNS1_14partition_implILS5_5ELb0ES3_mN6thrust23THRUST_200600_302600_NS6detail15normal_iteratorINSA_10device_ptrIjEEEEPS6_NSA_18transform_iteratorINSB_9not_fun_tI7is_trueIjEEENSC_INSD_IbEEEENSA_11use_defaultESO_EENS0_5tupleIJNSA_16discard_iteratorISO_EES6_EEENSQ_IJSG_SG_EEES6_PlJS6_EEE10hipError_tPvRmT3_T4_T5_T6_T7_T9_mT8_P12ihipStream_tbDpT10_ENKUlT_T0_E_clISt17integral_constantIbLb1EES1E_IbLb0EEEEDaS1A_S1B_EUlS1A_E_NS1_11comp_targetILNS1_3genE8ELNS1_11target_archE1030ELNS1_3gpuE2ELNS1_3repE0EEENS1_30default_config_static_selectorELNS0_4arch9wavefront6targetE0EEEvT1_
		.amdhsa_group_segment_fixed_size 0
		.amdhsa_private_segment_fixed_size 0
		.amdhsa_kernarg_size 128
		.amdhsa_user_sgpr_count 2
		.amdhsa_user_sgpr_dispatch_ptr 0
		.amdhsa_user_sgpr_queue_ptr 0
		.amdhsa_user_sgpr_kernarg_segment_ptr 1
		.amdhsa_user_sgpr_dispatch_id 0
		.amdhsa_user_sgpr_private_segment_size 0
		.amdhsa_wavefront_size32 1
		.amdhsa_uses_dynamic_stack 0
		.amdhsa_enable_private_segment 0
		.amdhsa_system_sgpr_workgroup_id_x 1
		.amdhsa_system_sgpr_workgroup_id_y 0
		.amdhsa_system_sgpr_workgroup_id_z 0
		.amdhsa_system_sgpr_workgroup_info 0
		.amdhsa_system_vgpr_workitem_id 0
		.amdhsa_next_free_vgpr 1
		.amdhsa_next_free_sgpr 1
		.amdhsa_reserve_vcc 0
		.amdhsa_float_round_mode_32 0
		.amdhsa_float_round_mode_16_64 0
		.amdhsa_float_denorm_mode_32 3
		.amdhsa_float_denorm_mode_16_64 3
		.amdhsa_fp16_overflow 0
		.amdhsa_workgroup_processor_mode 1
		.amdhsa_memory_ordered 1
		.amdhsa_forward_progress 1
		.amdhsa_inst_pref_size 0
		.amdhsa_round_robin_scheduling 0
		.amdhsa_exception_fp_ieee_invalid_op 0
		.amdhsa_exception_fp_denorm_src 0
		.amdhsa_exception_fp_ieee_div_zero 0
		.amdhsa_exception_fp_ieee_overflow 0
		.amdhsa_exception_fp_ieee_underflow 0
		.amdhsa_exception_fp_ieee_inexact 0
		.amdhsa_exception_int_div_zero 0
	.end_amdhsa_kernel
	.section	.text._ZN7rocprim17ROCPRIM_400000_NS6detail17trampoline_kernelINS0_14default_configENS1_25partition_config_selectorILNS1_17partition_subalgoE5EjNS0_10empty_typeEbEEZZNS1_14partition_implILS5_5ELb0ES3_mN6thrust23THRUST_200600_302600_NS6detail15normal_iteratorINSA_10device_ptrIjEEEEPS6_NSA_18transform_iteratorINSB_9not_fun_tI7is_trueIjEEENSC_INSD_IbEEEENSA_11use_defaultESO_EENS0_5tupleIJNSA_16discard_iteratorISO_EES6_EEENSQ_IJSG_SG_EEES6_PlJS6_EEE10hipError_tPvRmT3_T4_T5_T6_T7_T9_mT8_P12ihipStream_tbDpT10_ENKUlT_T0_E_clISt17integral_constantIbLb1EES1E_IbLb0EEEEDaS1A_S1B_EUlS1A_E_NS1_11comp_targetILNS1_3genE8ELNS1_11target_archE1030ELNS1_3gpuE2ELNS1_3repE0EEENS1_30default_config_static_selectorELNS0_4arch9wavefront6targetE0EEEvT1_,"axG",@progbits,_ZN7rocprim17ROCPRIM_400000_NS6detail17trampoline_kernelINS0_14default_configENS1_25partition_config_selectorILNS1_17partition_subalgoE5EjNS0_10empty_typeEbEEZZNS1_14partition_implILS5_5ELb0ES3_mN6thrust23THRUST_200600_302600_NS6detail15normal_iteratorINSA_10device_ptrIjEEEEPS6_NSA_18transform_iteratorINSB_9not_fun_tI7is_trueIjEEENSC_INSD_IbEEEENSA_11use_defaultESO_EENS0_5tupleIJNSA_16discard_iteratorISO_EES6_EEENSQ_IJSG_SG_EEES6_PlJS6_EEE10hipError_tPvRmT3_T4_T5_T6_T7_T9_mT8_P12ihipStream_tbDpT10_ENKUlT_T0_E_clISt17integral_constantIbLb1EES1E_IbLb0EEEEDaS1A_S1B_EUlS1A_E_NS1_11comp_targetILNS1_3genE8ELNS1_11target_archE1030ELNS1_3gpuE2ELNS1_3repE0EEENS1_30default_config_static_selectorELNS0_4arch9wavefront6targetE0EEEvT1_,comdat
.Lfunc_end2708:
	.size	_ZN7rocprim17ROCPRIM_400000_NS6detail17trampoline_kernelINS0_14default_configENS1_25partition_config_selectorILNS1_17partition_subalgoE5EjNS0_10empty_typeEbEEZZNS1_14partition_implILS5_5ELb0ES3_mN6thrust23THRUST_200600_302600_NS6detail15normal_iteratorINSA_10device_ptrIjEEEEPS6_NSA_18transform_iteratorINSB_9not_fun_tI7is_trueIjEEENSC_INSD_IbEEEENSA_11use_defaultESO_EENS0_5tupleIJNSA_16discard_iteratorISO_EES6_EEENSQ_IJSG_SG_EEES6_PlJS6_EEE10hipError_tPvRmT3_T4_T5_T6_T7_T9_mT8_P12ihipStream_tbDpT10_ENKUlT_T0_E_clISt17integral_constantIbLb1EES1E_IbLb0EEEEDaS1A_S1B_EUlS1A_E_NS1_11comp_targetILNS1_3genE8ELNS1_11target_archE1030ELNS1_3gpuE2ELNS1_3repE0EEENS1_30default_config_static_selectorELNS0_4arch9wavefront6targetE0EEEvT1_, .Lfunc_end2708-_ZN7rocprim17ROCPRIM_400000_NS6detail17trampoline_kernelINS0_14default_configENS1_25partition_config_selectorILNS1_17partition_subalgoE5EjNS0_10empty_typeEbEEZZNS1_14partition_implILS5_5ELb0ES3_mN6thrust23THRUST_200600_302600_NS6detail15normal_iteratorINSA_10device_ptrIjEEEEPS6_NSA_18transform_iteratorINSB_9not_fun_tI7is_trueIjEEENSC_INSD_IbEEEENSA_11use_defaultESO_EENS0_5tupleIJNSA_16discard_iteratorISO_EES6_EEENSQ_IJSG_SG_EEES6_PlJS6_EEE10hipError_tPvRmT3_T4_T5_T6_T7_T9_mT8_P12ihipStream_tbDpT10_ENKUlT_T0_E_clISt17integral_constantIbLb1EES1E_IbLb0EEEEDaS1A_S1B_EUlS1A_E_NS1_11comp_targetILNS1_3genE8ELNS1_11target_archE1030ELNS1_3gpuE2ELNS1_3repE0EEENS1_30default_config_static_selectorELNS0_4arch9wavefront6targetE0EEEvT1_
                                        ; -- End function
	.set _ZN7rocprim17ROCPRIM_400000_NS6detail17trampoline_kernelINS0_14default_configENS1_25partition_config_selectorILNS1_17partition_subalgoE5EjNS0_10empty_typeEbEEZZNS1_14partition_implILS5_5ELb0ES3_mN6thrust23THRUST_200600_302600_NS6detail15normal_iteratorINSA_10device_ptrIjEEEEPS6_NSA_18transform_iteratorINSB_9not_fun_tI7is_trueIjEEENSC_INSD_IbEEEENSA_11use_defaultESO_EENS0_5tupleIJNSA_16discard_iteratorISO_EES6_EEENSQ_IJSG_SG_EEES6_PlJS6_EEE10hipError_tPvRmT3_T4_T5_T6_T7_T9_mT8_P12ihipStream_tbDpT10_ENKUlT_T0_E_clISt17integral_constantIbLb1EES1E_IbLb0EEEEDaS1A_S1B_EUlS1A_E_NS1_11comp_targetILNS1_3genE8ELNS1_11target_archE1030ELNS1_3gpuE2ELNS1_3repE0EEENS1_30default_config_static_selectorELNS0_4arch9wavefront6targetE0EEEvT1_.num_vgpr, 0
	.set _ZN7rocprim17ROCPRIM_400000_NS6detail17trampoline_kernelINS0_14default_configENS1_25partition_config_selectorILNS1_17partition_subalgoE5EjNS0_10empty_typeEbEEZZNS1_14partition_implILS5_5ELb0ES3_mN6thrust23THRUST_200600_302600_NS6detail15normal_iteratorINSA_10device_ptrIjEEEEPS6_NSA_18transform_iteratorINSB_9not_fun_tI7is_trueIjEEENSC_INSD_IbEEEENSA_11use_defaultESO_EENS0_5tupleIJNSA_16discard_iteratorISO_EES6_EEENSQ_IJSG_SG_EEES6_PlJS6_EEE10hipError_tPvRmT3_T4_T5_T6_T7_T9_mT8_P12ihipStream_tbDpT10_ENKUlT_T0_E_clISt17integral_constantIbLb1EES1E_IbLb0EEEEDaS1A_S1B_EUlS1A_E_NS1_11comp_targetILNS1_3genE8ELNS1_11target_archE1030ELNS1_3gpuE2ELNS1_3repE0EEENS1_30default_config_static_selectorELNS0_4arch9wavefront6targetE0EEEvT1_.num_agpr, 0
	.set _ZN7rocprim17ROCPRIM_400000_NS6detail17trampoline_kernelINS0_14default_configENS1_25partition_config_selectorILNS1_17partition_subalgoE5EjNS0_10empty_typeEbEEZZNS1_14partition_implILS5_5ELb0ES3_mN6thrust23THRUST_200600_302600_NS6detail15normal_iteratorINSA_10device_ptrIjEEEEPS6_NSA_18transform_iteratorINSB_9not_fun_tI7is_trueIjEEENSC_INSD_IbEEEENSA_11use_defaultESO_EENS0_5tupleIJNSA_16discard_iteratorISO_EES6_EEENSQ_IJSG_SG_EEES6_PlJS6_EEE10hipError_tPvRmT3_T4_T5_T6_T7_T9_mT8_P12ihipStream_tbDpT10_ENKUlT_T0_E_clISt17integral_constantIbLb1EES1E_IbLb0EEEEDaS1A_S1B_EUlS1A_E_NS1_11comp_targetILNS1_3genE8ELNS1_11target_archE1030ELNS1_3gpuE2ELNS1_3repE0EEENS1_30default_config_static_selectorELNS0_4arch9wavefront6targetE0EEEvT1_.numbered_sgpr, 0
	.set _ZN7rocprim17ROCPRIM_400000_NS6detail17trampoline_kernelINS0_14default_configENS1_25partition_config_selectorILNS1_17partition_subalgoE5EjNS0_10empty_typeEbEEZZNS1_14partition_implILS5_5ELb0ES3_mN6thrust23THRUST_200600_302600_NS6detail15normal_iteratorINSA_10device_ptrIjEEEEPS6_NSA_18transform_iteratorINSB_9not_fun_tI7is_trueIjEEENSC_INSD_IbEEEENSA_11use_defaultESO_EENS0_5tupleIJNSA_16discard_iteratorISO_EES6_EEENSQ_IJSG_SG_EEES6_PlJS6_EEE10hipError_tPvRmT3_T4_T5_T6_T7_T9_mT8_P12ihipStream_tbDpT10_ENKUlT_T0_E_clISt17integral_constantIbLb1EES1E_IbLb0EEEEDaS1A_S1B_EUlS1A_E_NS1_11comp_targetILNS1_3genE8ELNS1_11target_archE1030ELNS1_3gpuE2ELNS1_3repE0EEENS1_30default_config_static_selectorELNS0_4arch9wavefront6targetE0EEEvT1_.num_named_barrier, 0
	.set _ZN7rocprim17ROCPRIM_400000_NS6detail17trampoline_kernelINS0_14default_configENS1_25partition_config_selectorILNS1_17partition_subalgoE5EjNS0_10empty_typeEbEEZZNS1_14partition_implILS5_5ELb0ES3_mN6thrust23THRUST_200600_302600_NS6detail15normal_iteratorINSA_10device_ptrIjEEEEPS6_NSA_18transform_iteratorINSB_9not_fun_tI7is_trueIjEEENSC_INSD_IbEEEENSA_11use_defaultESO_EENS0_5tupleIJNSA_16discard_iteratorISO_EES6_EEENSQ_IJSG_SG_EEES6_PlJS6_EEE10hipError_tPvRmT3_T4_T5_T6_T7_T9_mT8_P12ihipStream_tbDpT10_ENKUlT_T0_E_clISt17integral_constantIbLb1EES1E_IbLb0EEEEDaS1A_S1B_EUlS1A_E_NS1_11comp_targetILNS1_3genE8ELNS1_11target_archE1030ELNS1_3gpuE2ELNS1_3repE0EEENS1_30default_config_static_selectorELNS0_4arch9wavefront6targetE0EEEvT1_.private_seg_size, 0
	.set _ZN7rocprim17ROCPRIM_400000_NS6detail17trampoline_kernelINS0_14default_configENS1_25partition_config_selectorILNS1_17partition_subalgoE5EjNS0_10empty_typeEbEEZZNS1_14partition_implILS5_5ELb0ES3_mN6thrust23THRUST_200600_302600_NS6detail15normal_iteratorINSA_10device_ptrIjEEEEPS6_NSA_18transform_iteratorINSB_9not_fun_tI7is_trueIjEEENSC_INSD_IbEEEENSA_11use_defaultESO_EENS0_5tupleIJNSA_16discard_iteratorISO_EES6_EEENSQ_IJSG_SG_EEES6_PlJS6_EEE10hipError_tPvRmT3_T4_T5_T6_T7_T9_mT8_P12ihipStream_tbDpT10_ENKUlT_T0_E_clISt17integral_constantIbLb1EES1E_IbLb0EEEEDaS1A_S1B_EUlS1A_E_NS1_11comp_targetILNS1_3genE8ELNS1_11target_archE1030ELNS1_3gpuE2ELNS1_3repE0EEENS1_30default_config_static_selectorELNS0_4arch9wavefront6targetE0EEEvT1_.uses_vcc, 0
	.set _ZN7rocprim17ROCPRIM_400000_NS6detail17trampoline_kernelINS0_14default_configENS1_25partition_config_selectorILNS1_17partition_subalgoE5EjNS0_10empty_typeEbEEZZNS1_14partition_implILS5_5ELb0ES3_mN6thrust23THRUST_200600_302600_NS6detail15normal_iteratorINSA_10device_ptrIjEEEEPS6_NSA_18transform_iteratorINSB_9not_fun_tI7is_trueIjEEENSC_INSD_IbEEEENSA_11use_defaultESO_EENS0_5tupleIJNSA_16discard_iteratorISO_EES6_EEENSQ_IJSG_SG_EEES6_PlJS6_EEE10hipError_tPvRmT3_T4_T5_T6_T7_T9_mT8_P12ihipStream_tbDpT10_ENKUlT_T0_E_clISt17integral_constantIbLb1EES1E_IbLb0EEEEDaS1A_S1B_EUlS1A_E_NS1_11comp_targetILNS1_3genE8ELNS1_11target_archE1030ELNS1_3gpuE2ELNS1_3repE0EEENS1_30default_config_static_selectorELNS0_4arch9wavefront6targetE0EEEvT1_.uses_flat_scratch, 0
	.set _ZN7rocprim17ROCPRIM_400000_NS6detail17trampoline_kernelINS0_14default_configENS1_25partition_config_selectorILNS1_17partition_subalgoE5EjNS0_10empty_typeEbEEZZNS1_14partition_implILS5_5ELb0ES3_mN6thrust23THRUST_200600_302600_NS6detail15normal_iteratorINSA_10device_ptrIjEEEEPS6_NSA_18transform_iteratorINSB_9not_fun_tI7is_trueIjEEENSC_INSD_IbEEEENSA_11use_defaultESO_EENS0_5tupleIJNSA_16discard_iteratorISO_EES6_EEENSQ_IJSG_SG_EEES6_PlJS6_EEE10hipError_tPvRmT3_T4_T5_T6_T7_T9_mT8_P12ihipStream_tbDpT10_ENKUlT_T0_E_clISt17integral_constantIbLb1EES1E_IbLb0EEEEDaS1A_S1B_EUlS1A_E_NS1_11comp_targetILNS1_3genE8ELNS1_11target_archE1030ELNS1_3gpuE2ELNS1_3repE0EEENS1_30default_config_static_selectorELNS0_4arch9wavefront6targetE0EEEvT1_.has_dyn_sized_stack, 0
	.set _ZN7rocprim17ROCPRIM_400000_NS6detail17trampoline_kernelINS0_14default_configENS1_25partition_config_selectorILNS1_17partition_subalgoE5EjNS0_10empty_typeEbEEZZNS1_14partition_implILS5_5ELb0ES3_mN6thrust23THRUST_200600_302600_NS6detail15normal_iteratorINSA_10device_ptrIjEEEEPS6_NSA_18transform_iteratorINSB_9not_fun_tI7is_trueIjEEENSC_INSD_IbEEEENSA_11use_defaultESO_EENS0_5tupleIJNSA_16discard_iteratorISO_EES6_EEENSQ_IJSG_SG_EEES6_PlJS6_EEE10hipError_tPvRmT3_T4_T5_T6_T7_T9_mT8_P12ihipStream_tbDpT10_ENKUlT_T0_E_clISt17integral_constantIbLb1EES1E_IbLb0EEEEDaS1A_S1B_EUlS1A_E_NS1_11comp_targetILNS1_3genE8ELNS1_11target_archE1030ELNS1_3gpuE2ELNS1_3repE0EEENS1_30default_config_static_selectorELNS0_4arch9wavefront6targetE0EEEvT1_.has_recursion, 0
	.set _ZN7rocprim17ROCPRIM_400000_NS6detail17trampoline_kernelINS0_14default_configENS1_25partition_config_selectorILNS1_17partition_subalgoE5EjNS0_10empty_typeEbEEZZNS1_14partition_implILS5_5ELb0ES3_mN6thrust23THRUST_200600_302600_NS6detail15normal_iteratorINSA_10device_ptrIjEEEEPS6_NSA_18transform_iteratorINSB_9not_fun_tI7is_trueIjEEENSC_INSD_IbEEEENSA_11use_defaultESO_EENS0_5tupleIJNSA_16discard_iteratorISO_EES6_EEENSQ_IJSG_SG_EEES6_PlJS6_EEE10hipError_tPvRmT3_T4_T5_T6_T7_T9_mT8_P12ihipStream_tbDpT10_ENKUlT_T0_E_clISt17integral_constantIbLb1EES1E_IbLb0EEEEDaS1A_S1B_EUlS1A_E_NS1_11comp_targetILNS1_3genE8ELNS1_11target_archE1030ELNS1_3gpuE2ELNS1_3repE0EEENS1_30default_config_static_selectorELNS0_4arch9wavefront6targetE0EEEvT1_.has_indirect_call, 0
	.section	.AMDGPU.csdata,"",@progbits
; Kernel info:
; codeLenInByte = 0
; TotalNumSgprs: 0
; NumVgprs: 0
; ScratchSize: 0
; MemoryBound: 0
; FloatMode: 240
; IeeeMode: 1
; LDSByteSize: 0 bytes/workgroup (compile time only)
; SGPRBlocks: 0
; VGPRBlocks: 0
; NumSGPRsForWavesPerEU: 1
; NumVGPRsForWavesPerEU: 1
; Occupancy: 16
; WaveLimiterHint : 0
; COMPUTE_PGM_RSRC2:SCRATCH_EN: 0
; COMPUTE_PGM_RSRC2:USER_SGPR: 2
; COMPUTE_PGM_RSRC2:TRAP_HANDLER: 0
; COMPUTE_PGM_RSRC2:TGID_X_EN: 1
; COMPUTE_PGM_RSRC2:TGID_Y_EN: 0
; COMPUTE_PGM_RSRC2:TGID_Z_EN: 0
; COMPUTE_PGM_RSRC2:TIDIG_COMP_CNT: 0
	.section	.text._ZN7rocprim17ROCPRIM_400000_NS6detail17trampoline_kernelINS0_14default_configENS1_25partition_config_selectorILNS1_17partition_subalgoE5EjNS0_10empty_typeEbEEZZNS1_14partition_implILS5_5ELb0ES3_mN6thrust23THRUST_200600_302600_NS6detail15normal_iteratorINSA_10device_ptrIjEEEEPS6_NSA_18transform_iteratorINSB_9not_fun_tI7is_trueIjEEENSC_INSD_IbEEEENSA_11use_defaultESO_EENS0_5tupleIJNSA_16discard_iteratorISO_EES6_EEENSQ_IJSG_SG_EEES6_PlJS6_EEE10hipError_tPvRmT3_T4_T5_T6_T7_T9_mT8_P12ihipStream_tbDpT10_ENKUlT_T0_E_clISt17integral_constantIbLb0EES1E_IbLb1EEEEDaS1A_S1B_EUlS1A_E_NS1_11comp_targetILNS1_3genE0ELNS1_11target_archE4294967295ELNS1_3gpuE0ELNS1_3repE0EEENS1_30default_config_static_selectorELNS0_4arch9wavefront6targetE0EEEvT1_,"axG",@progbits,_ZN7rocprim17ROCPRIM_400000_NS6detail17trampoline_kernelINS0_14default_configENS1_25partition_config_selectorILNS1_17partition_subalgoE5EjNS0_10empty_typeEbEEZZNS1_14partition_implILS5_5ELb0ES3_mN6thrust23THRUST_200600_302600_NS6detail15normal_iteratorINSA_10device_ptrIjEEEEPS6_NSA_18transform_iteratorINSB_9not_fun_tI7is_trueIjEEENSC_INSD_IbEEEENSA_11use_defaultESO_EENS0_5tupleIJNSA_16discard_iteratorISO_EES6_EEENSQ_IJSG_SG_EEES6_PlJS6_EEE10hipError_tPvRmT3_T4_T5_T6_T7_T9_mT8_P12ihipStream_tbDpT10_ENKUlT_T0_E_clISt17integral_constantIbLb0EES1E_IbLb1EEEEDaS1A_S1B_EUlS1A_E_NS1_11comp_targetILNS1_3genE0ELNS1_11target_archE4294967295ELNS1_3gpuE0ELNS1_3repE0EEENS1_30default_config_static_selectorELNS0_4arch9wavefront6targetE0EEEvT1_,comdat
	.protected	_ZN7rocprim17ROCPRIM_400000_NS6detail17trampoline_kernelINS0_14default_configENS1_25partition_config_selectorILNS1_17partition_subalgoE5EjNS0_10empty_typeEbEEZZNS1_14partition_implILS5_5ELb0ES3_mN6thrust23THRUST_200600_302600_NS6detail15normal_iteratorINSA_10device_ptrIjEEEEPS6_NSA_18transform_iteratorINSB_9not_fun_tI7is_trueIjEEENSC_INSD_IbEEEENSA_11use_defaultESO_EENS0_5tupleIJNSA_16discard_iteratorISO_EES6_EEENSQ_IJSG_SG_EEES6_PlJS6_EEE10hipError_tPvRmT3_T4_T5_T6_T7_T9_mT8_P12ihipStream_tbDpT10_ENKUlT_T0_E_clISt17integral_constantIbLb0EES1E_IbLb1EEEEDaS1A_S1B_EUlS1A_E_NS1_11comp_targetILNS1_3genE0ELNS1_11target_archE4294967295ELNS1_3gpuE0ELNS1_3repE0EEENS1_30default_config_static_selectorELNS0_4arch9wavefront6targetE0EEEvT1_ ; -- Begin function _ZN7rocprim17ROCPRIM_400000_NS6detail17trampoline_kernelINS0_14default_configENS1_25partition_config_selectorILNS1_17partition_subalgoE5EjNS0_10empty_typeEbEEZZNS1_14partition_implILS5_5ELb0ES3_mN6thrust23THRUST_200600_302600_NS6detail15normal_iteratorINSA_10device_ptrIjEEEEPS6_NSA_18transform_iteratorINSB_9not_fun_tI7is_trueIjEEENSC_INSD_IbEEEENSA_11use_defaultESO_EENS0_5tupleIJNSA_16discard_iteratorISO_EES6_EEENSQ_IJSG_SG_EEES6_PlJS6_EEE10hipError_tPvRmT3_T4_T5_T6_T7_T9_mT8_P12ihipStream_tbDpT10_ENKUlT_T0_E_clISt17integral_constantIbLb0EES1E_IbLb1EEEEDaS1A_S1B_EUlS1A_E_NS1_11comp_targetILNS1_3genE0ELNS1_11target_archE4294967295ELNS1_3gpuE0ELNS1_3repE0EEENS1_30default_config_static_selectorELNS0_4arch9wavefront6targetE0EEEvT1_
	.globl	_ZN7rocprim17ROCPRIM_400000_NS6detail17trampoline_kernelINS0_14default_configENS1_25partition_config_selectorILNS1_17partition_subalgoE5EjNS0_10empty_typeEbEEZZNS1_14partition_implILS5_5ELb0ES3_mN6thrust23THRUST_200600_302600_NS6detail15normal_iteratorINSA_10device_ptrIjEEEEPS6_NSA_18transform_iteratorINSB_9not_fun_tI7is_trueIjEEENSC_INSD_IbEEEENSA_11use_defaultESO_EENS0_5tupleIJNSA_16discard_iteratorISO_EES6_EEENSQ_IJSG_SG_EEES6_PlJS6_EEE10hipError_tPvRmT3_T4_T5_T6_T7_T9_mT8_P12ihipStream_tbDpT10_ENKUlT_T0_E_clISt17integral_constantIbLb0EES1E_IbLb1EEEEDaS1A_S1B_EUlS1A_E_NS1_11comp_targetILNS1_3genE0ELNS1_11target_archE4294967295ELNS1_3gpuE0ELNS1_3repE0EEENS1_30default_config_static_selectorELNS0_4arch9wavefront6targetE0EEEvT1_
	.p2align	8
	.type	_ZN7rocprim17ROCPRIM_400000_NS6detail17trampoline_kernelINS0_14default_configENS1_25partition_config_selectorILNS1_17partition_subalgoE5EjNS0_10empty_typeEbEEZZNS1_14partition_implILS5_5ELb0ES3_mN6thrust23THRUST_200600_302600_NS6detail15normal_iteratorINSA_10device_ptrIjEEEEPS6_NSA_18transform_iteratorINSB_9not_fun_tI7is_trueIjEEENSC_INSD_IbEEEENSA_11use_defaultESO_EENS0_5tupleIJNSA_16discard_iteratorISO_EES6_EEENSQ_IJSG_SG_EEES6_PlJS6_EEE10hipError_tPvRmT3_T4_T5_T6_T7_T9_mT8_P12ihipStream_tbDpT10_ENKUlT_T0_E_clISt17integral_constantIbLb0EES1E_IbLb1EEEEDaS1A_S1B_EUlS1A_E_NS1_11comp_targetILNS1_3genE0ELNS1_11target_archE4294967295ELNS1_3gpuE0ELNS1_3repE0EEENS1_30default_config_static_selectorELNS0_4arch9wavefront6targetE0EEEvT1_,@function
_ZN7rocprim17ROCPRIM_400000_NS6detail17trampoline_kernelINS0_14default_configENS1_25partition_config_selectorILNS1_17partition_subalgoE5EjNS0_10empty_typeEbEEZZNS1_14partition_implILS5_5ELb0ES3_mN6thrust23THRUST_200600_302600_NS6detail15normal_iteratorINSA_10device_ptrIjEEEEPS6_NSA_18transform_iteratorINSB_9not_fun_tI7is_trueIjEEENSC_INSD_IbEEEENSA_11use_defaultESO_EENS0_5tupleIJNSA_16discard_iteratorISO_EES6_EEENSQ_IJSG_SG_EEES6_PlJS6_EEE10hipError_tPvRmT3_T4_T5_T6_T7_T9_mT8_P12ihipStream_tbDpT10_ENKUlT_T0_E_clISt17integral_constantIbLb0EES1E_IbLb1EEEEDaS1A_S1B_EUlS1A_E_NS1_11comp_targetILNS1_3genE0ELNS1_11target_archE4294967295ELNS1_3gpuE0ELNS1_3repE0EEENS1_30default_config_static_selectorELNS0_4arch9wavefront6targetE0EEEvT1_: ; @_ZN7rocprim17ROCPRIM_400000_NS6detail17trampoline_kernelINS0_14default_configENS1_25partition_config_selectorILNS1_17partition_subalgoE5EjNS0_10empty_typeEbEEZZNS1_14partition_implILS5_5ELb0ES3_mN6thrust23THRUST_200600_302600_NS6detail15normal_iteratorINSA_10device_ptrIjEEEEPS6_NSA_18transform_iteratorINSB_9not_fun_tI7is_trueIjEEENSC_INSD_IbEEEENSA_11use_defaultESO_EENS0_5tupleIJNSA_16discard_iteratorISO_EES6_EEENSQ_IJSG_SG_EEES6_PlJS6_EEE10hipError_tPvRmT3_T4_T5_T6_T7_T9_mT8_P12ihipStream_tbDpT10_ENKUlT_T0_E_clISt17integral_constantIbLb0EES1E_IbLb1EEEEDaS1A_S1B_EUlS1A_E_NS1_11comp_targetILNS1_3genE0ELNS1_11target_archE4294967295ELNS1_3gpuE0ELNS1_3repE0EEENS1_30default_config_static_selectorELNS0_4arch9wavefront6targetE0EEEvT1_
; %bb.0:
	.section	.rodata,"a",@progbits
	.p2align	6, 0x0
	.amdhsa_kernel _ZN7rocprim17ROCPRIM_400000_NS6detail17trampoline_kernelINS0_14default_configENS1_25partition_config_selectorILNS1_17partition_subalgoE5EjNS0_10empty_typeEbEEZZNS1_14partition_implILS5_5ELb0ES3_mN6thrust23THRUST_200600_302600_NS6detail15normal_iteratorINSA_10device_ptrIjEEEEPS6_NSA_18transform_iteratorINSB_9not_fun_tI7is_trueIjEEENSC_INSD_IbEEEENSA_11use_defaultESO_EENS0_5tupleIJNSA_16discard_iteratorISO_EES6_EEENSQ_IJSG_SG_EEES6_PlJS6_EEE10hipError_tPvRmT3_T4_T5_T6_T7_T9_mT8_P12ihipStream_tbDpT10_ENKUlT_T0_E_clISt17integral_constantIbLb0EES1E_IbLb1EEEEDaS1A_S1B_EUlS1A_E_NS1_11comp_targetILNS1_3genE0ELNS1_11target_archE4294967295ELNS1_3gpuE0ELNS1_3repE0EEENS1_30default_config_static_selectorELNS0_4arch9wavefront6targetE0EEEvT1_
		.amdhsa_group_segment_fixed_size 0
		.amdhsa_private_segment_fixed_size 0
		.amdhsa_kernarg_size 144
		.amdhsa_user_sgpr_count 2
		.amdhsa_user_sgpr_dispatch_ptr 0
		.amdhsa_user_sgpr_queue_ptr 0
		.amdhsa_user_sgpr_kernarg_segment_ptr 1
		.amdhsa_user_sgpr_dispatch_id 0
		.amdhsa_user_sgpr_private_segment_size 0
		.amdhsa_wavefront_size32 1
		.amdhsa_uses_dynamic_stack 0
		.amdhsa_enable_private_segment 0
		.amdhsa_system_sgpr_workgroup_id_x 1
		.amdhsa_system_sgpr_workgroup_id_y 0
		.amdhsa_system_sgpr_workgroup_id_z 0
		.amdhsa_system_sgpr_workgroup_info 0
		.amdhsa_system_vgpr_workitem_id 0
		.amdhsa_next_free_vgpr 1
		.amdhsa_next_free_sgpr 1
		.amdhsa_reserve_vcc 0
		.amdhsa_float_round_mode_32 0
		.amdhsa_float_round_mode_16_64 0
		.amdhsa_float_denorm_mode_32 3
		.amdhsa_float_denorm_mode_16_64 3
		.amdhsa_fp16_overflow 0
		.amdhsa_workgroup_processor_mode 1
		.amdhsa_memory_ordered 1
		.amdhsa_forward_progress 1
		.amdhsa_inst_pref_size 0
		.amdhsa_round_robin_scheduling 0
		.amdhsa_exception_fp_ieee_invalid_op 0
		.amdhsa_exception_fp_denorm_src 0
		.amdhsa_exception_fp_ieee_div_zero 0
		.amdhsa_exception_fp_ieee_overflow 0
		.amdhsa_exception_fp_ieee_underflow 0
		.amdhsa_exception_fp_ieee_inexact 0
		.amdhsa_exception_int_div_zero 0
	.end_amdhsa_kernel
	.section	.text._ZN7rocprim17ROCPRIM_400000_NS6detail17trampoline_kernelINS0_14default_configENS1_25partition_config_selectorILNS1_17partition_subalgoE5EjNS0_10empty_typeEbEEZZNS1_14partition_implILS5_5ELb0ES3_mN6thrust23THRUST_200600_302600_NS6detail15normal_iteratorINSA_10device_ptrIjEEEEPS6_NSA_18transform_iteratorINSB_9not_fun_tI7is_trueIjEEENSC_INSD_IbEEEENSA_11use_defaultESO_EENS0_5tupleIJNSA_16discard_iteratorISO_EES6_EEENSQ_IJSG_SG_EEES6_PlJS6_EEE10hipError_tPvRmT3_T4_T5_T6_T7_T9_mT8_P12ihipStream_tbDpT10_ENKUlT_T0_E_clISt17integral_constantIbLb0EES1E_IbLb1EEEEDaS1A_S1B_EUlS1A_E_NS1_11comp_targetILNS1_3genE0ELNS1_11target_archE4294967295ELNS1_3gpuE0ELNS1_3repE0EEENS1_30default_config_static_selectorELNS0_4arch9wavefront6targetE0EEEvT1_,"axG",@progbits,_ZN7rocprim17ROCPRIM_400000_NS6detail17trampoline_kernelINS0_14default_configENS1_25partition_config_selectorILNS1_17partition_subalgoE5EjNS0_10empty_typeEbEEZZNS1_14partition_implILS5_5ELb0ES3_mN6thrust23THRUST_200600_302600_NS6detail15normal_iteratorINSA_10device_ptrIjEEEEPS6_NSA_18transform_iteratorINSB_9not_fun_tI7is_trueIjEEENSC_INSD_IbEEEENSA_11use_defaultESO_EENS0_5tupleIJNSA_16discard_iteratorISO_EES6_EEENSQ_IJSG_SG_EEES6_PlJS6_EEE10hipError_tPvRmT3_T4_T5_T6_T7_T9_mT8_P12ihipStream_tbDpT10_ENKUlT_T0_E_clISt17integral_constantIbLb0EES1E_IbLb1EEEEDaS1A_S1B_EUlS1A_E_NS1_11comp_targetILNS1_3genE0ELNS1_11target_archE4294967295ELNS1_3gpuE0ELNS1_3repE0EEENS1_30default_config_static_selectorELNS0_4arch9wavefront6targetE0EEEvT1_,comdat
.Lfunc_end2709:
	.size	_ZN7rocprim17ROCPRIM_400000_NS6detail17trampoline_kernelINS0_14default_configENS1_25partition_config_selectorILNS1_17partition_subalgoE5EjNS0_10empty_typeEbEEZZNS1_14partition_implILS5_5ELb0ES3_mN6thrust23THRUST_200600_302600_NS6detail15normal_iteratorINSA_10device_ptrIjEEEEPS6_NSA_18transform_iteratorINSB_9not_fun_tI7is_trueIjEEENSC_INSD_IbEEEENSA_11use_defaultESO_EENS0_5tupleIJNSA_16discard_iteratorISO_EES6_EEENSQ_IJSG_SG_EEES6_PlJS6_EEE10hipError_tPvRmT3_T4_T5_T6_T7_T9_mT8_P12ihipStream_tbDpT10_ENKUlT_T0_E_clISt17integral_constantIbLb0EES1E_IbLb1EEEEDaS1A_S1B_EUlS1A_E_NS1_11comp_targetILNS1_3genE0ELNS1_11target_archE4294967295ELNS1_3gpuE0ELNS1_3repE0EEENS1_30default_config_static_selectorELNS0_4arch9wavefront6targetE0EEEvT1_, .Lfunc_end2709-_ZN7rocprim17ROCPRIM_400000_NS6detail17trampoline_kernelINS0_14default_configENS1_25partition_config_selectorILNS1_17partition_subalgoE5EjNS0_10empty_typeEbEEZZNS1_14partition_implILS5_5ELb0ES3_mN6thrust23THRUST_200600_302600_NS6detail15normal_iteratorINSA_10device_ptrIjEEEEPS6_NSA_18transform_iteratorINSB_9not_fun_tI7is_trueIjEEENSC_INSD_IbEEEENSA_11use_defaultESO_EENS0_5tupleIJNSA_16discard_iteratorISO_EES6_EEENSQ_IJSG_SG_EEES6_PlJS6_EEE10hipError_tPvRmT3_T4_T5_T6_T7_T9_mT8_P12ihipStream_tbDpT10_ENKUlT_T0_E_clISt17integral_constantIbLb0EES1E_IbLb1EEEEDaS1A_S1B_EUlS1A_E_NS1_11comp_targetILNS1_3genE0ELNS1_11target_archE4294967295ELNS1_3gpuE0ELNS1_3repE0EEENS1_30default_config_static_selectorELNS0_4arch9wavefront6targetE0EEEvT1_
                                        ; -- End function
	.set _ZN7rocprim17ROCPRIM_400000_NS6detail17trampoline_kernelINS0_14default_configENS1_25partition_config_selectorILNS1_17partition_subalgoE5EjNS0_10empty_typeEbEEZZNS1_14partition_implILS5_5ELb0ES3_mN6thrust23THRUST_200600_302600_NS6detail15normal_iteratorINSA_10device_ptrIjEEEEPS6_NSA_18transform_iteratorINSB_9not_fun_tI7is_trueIjEEENSC_INSD_IbEEEENSA_11use_defaultESO_EENS0_5tupleIJNSA_16discard_iteratorISO_EES6_EEENSQ_IJSG_SG_EEES6_PlJS6_EEE10hipError_tPvRmT3_T4_T5_T6_T7_T9_mT8_P12ihipStream_tbDpT10_ENKUlT_T0_E_clISt17integral_constantIbLb0EES1E_IbLb1EEEEDaS1A_S1B_EUlS1A_E_NS1_11comp_targetILNS1_3genE0ELNS1_11target_archE4294967295ELNS1_3gpuE0ELNS1_3repE0EEENS1_30default_config_static_selectorELNS0_4arch9wavefront6targetE0EEEvT1_.num_vgpr, 0
	.set _ZN7rocprim17ROCPRIM_400000_NS6detail17trampoline_kernelINS0_14default_configENS1_25partition_config_selectorILNS1_17partition_subalgoE5EjNS0_10empty_typeEbEEZZNS1_14partition_implILS5_5ELb0ES3_mN6thrust23THRUST_200600_302600_NS6detail15normal_iteratorINSA_10device_ptrIjEEEEPS6_NSA_18transform_iteratorINSB_9not_fun_tI7is_trueIjEEENSC_INSD_IbEEEENSA_11use_defaultESO_EENS0_5tupleIJNSA_16discard_iteratorISO_EES6_EEENSQ_IJSG_SG_EEES6_PlJS6_EEE10hipError_tPvRmT3_T4_T5_T6_T7_T9_mT8_P12ihipStream_tbDpT10_ENKUlT_T0_E_clISt17integral_constantIbLb0EES1E_IbLb1EEEEDaS1A_S1B_EUlS1A_E_NS1_11comp_targetILNS1_3genE0ELNS1_11target_archE4294967295ELNS1_3gpuE0ELNS1_3repE0EEENS1_30default_config_static_selectorELNS0_4arch9wavefront6targetE0EEEvT1_.num_agpr, 0
	.set _ZN7rocprim17ROCPRIM_400000_NS6detail17trampoline_kernelINS0_14default_configENS1_25partition_config_selectorILNS1_17partition_subalgoE5EjNS0_10empty_typeEbEEZZNS1_14partition_implILS5_5ELb0ES3_mN6thrust23THRUST_200600_302600_NS6detail15normal_iteratorINSA_10device_ptrIjEEEEPS6_NSA_18transform_iteratorINSB_9not_fun_tI7is_trueIjEEENSC_INSD_IbEEEENSA_11use_defaultESO_EENS0_5tupleIJNSA_16discard_iteratorISO_EES6_EEENSQ_IJSG_SG_EEES6_PlJS6_EEE10hipError_tPvRmT3_T4_T5_T6_T7_T9_mT8_P12ihipStream_tbDpT10_ENKUlT_T0_E_clISt17integral_constantIbLb0EES1E_IbLb1EEEEDaS1A_S1B_EUlS1A_E_NS1_11comp_targetILNS1_3genE0ELNS1_11target_archE4294967295ELNS1_3gpuE0ELNS1_3repE0EEENS1_30default_config_static_selectorELNS0_4arch9wavefront6targetE0EEEvT1_.numbered_sgpr, 0
	.set _ZN7rocprim17ROCPRIM_400000_NS6detail17trampoline_kernelINS0_14default_configENS1_25partition_config_selectorILNS1_17partition_subalgoE5EjNS0_10empty_typeEbEEZZNS1_14partition_implILS5_5ELb0ES3_mN6thrust23THRUST_200600_302600_NS6detail15normal_iteratorINSA_10device_ptrIjEEEEPS6_NSA_18transform_iteratorINSB_9not_fun_tI7is_trueIjEEENSC_INSD_IbEEEENSA_11use_defaultESO_EENS0_5tupleIJNSA_16discard_iteratorISO_EES6_EEENSQ_IJSG_SG_EEES6_PlJS6_EEE10hipError_tPvRmT3_T4_T5_T6_T7_T9_mT8_P12ihipStream_tbDpT10_ENKUlT_T0_E_clISt17integral_constantIbLb0EES1E_IbLb1EEEEDaS1A_S1B_EUlS1A_E_NS1_11comp_targetILNS1_3genE0ELNS1_11target_archE4294967295ELNS1_3gpuE0ELNS1_3repE0EEENS1_30default_config_static_selectorELNS0_4arch9wavefront6targetE0EEEvT1_.num_named_barrier, 0
	.set _ZN7rocprim17ROCPRIM_400000_NS6detail17trampoline_kernelINS0_14default_configENS1_25partition_config_selectorILNS1_17partition_subalgoE5EjNS0_10empty_typeEbEEZZNS1_14partition_implILS5_5ELb0ES3_mN6thrust23THRUST_200600_302600_NS6detail15normal_iteratorINSA_10device_ptrIjEEEEPS6_NSA_18transform_iteratorINSB_9not_fun_tI7is_trueIjEEENSC_INSD_IbEEEENSA_11use_defaultESO_EENS0_5tupleIJNSA_16discard_iteratorISO_EES6_EEENSQ_IJSG_SG_EEES6_PlJS6_EEE10hipError_tPvRmT3_T4_T5_T6_T7_T9_mT8_P12ihipStream_tbDpT10_ENKUlT_T0_E_clISt17integral_constantIbLb0EES1E_IbLb1EEEEDaS1A_S1B_EUlS1A_E_NS1_11comp_targetILNS1_3genE0ELNS1_11target_archE4294967295ELNS1_3gpuE0ELNS1_3repE0EEENS1_30default_config_static_selectorELNS0_4arch9wavefront6targetE0EEEvT1_.private_seg_size, 0
	.set _ZN7rocprim17ROCPRIM_400000_NS6detail17trampoline_kernelINS0_14default_configENS1_25partition_config_selectorILNS1_17partition_subalgoE5EjNS0_10empty_typeEbEEZZNS1_14partition_implILS5_5ELb0ES3_mN6thrust23THRUST_200600_302600_NS6detail15normal_iteratorINSA_10device_ptrIjEEEEPS6_NSA_18transform_iteratorINSB_9not_fun_tI7is_trueIjEEENSC_INSD_IbEEEENSA_11use_defaultESO_EENS0_5tupleIJNSA_16discard_iteratorISO_EES6_EEENSQ_IJSG_SG_EEES6_PlJS6_EEE10hipError_tPvRmT3_T4_T5_T6_T7_T9_mT8_P12ihipStream_tbDpT10_ENKUlT_T0_E_clISt17integral_constantIbLb0EES1E_IbLb1EEEEDaS1A_S1B_EUlS1A_E_NS1_11comp_targetILNS1_3genE0ELNS1_11target_archE4294967295ELNS1_3gpuE0ELNS1_3repE0EEENS1_30default_config_static_selectorELNS0_4arch9wavefront6targetE0EEEvT1_.uses_vcc, 0
	.set _ZN7rocprim17ROCPRIM_400000_NS6detail17trampoline_kernelINS0_14default_configENS1_25partition_config_selectorILNS1_17partition_subalgoE5EjNS0_10empty_typeEbEEZZNS1_14partition_implILS5_5ELb0ES3_mN6thrust23THRUST_200600_302600_NS6detail15normal_iteratorINSA_10device_ptrIjEEEEPS6_NSA_18transform_iteratorINSB_9not_fun_tI7is_trueIjEEENSC_INSD_IbEEEENSA_11use_defaultESO_EENS0_5tupleIJNSA_16discard_iteratorISO_EES6_EEENSQ_IJSG_SG_EEES6_PlJS6_EEE10hipError_tPvRmT3_T4_T5_T6_T7_T9_mT8_P12ihipStream_tbDpT10_ENKUlT_T0_E_clISt17integral_constantIbLb0EES1E_IbLb1EEEEDaS1A_S1B_EUlS1A_E_NS1_11comp_targetILNS1_3genE0ELNS1_11target_archE4294967295ELNS1_3gpuE0ELNS1_3repE0EEENS1_30default_config_static_selectorELNS0_4arch9wavefront6targetE0EEEvT1_.uses_flat_scratch, 0
	.set _ZN7rocprim17ROCPRIM_400000_NS6detail17trampoline_kernelINS0_14default_configENS1_25partition_config_selectorILNS1_17partition_subalgoE5EjNS0_10empty_typeEbEEZZNS1_14partition_implILS5_5ELb0ES3_mN6thrust23THRUST_200600_302600_NS6detail15normal_iteratorINSA_10device_ptrIjEEEEPS6_NSA_18transform_iteratorINSB_9not_fun_tI7is_trueIjEEENSC_INSD_IbEEEENSA_11use_defaultESO_EENS0_5tupleIJNSA_16discard_iteratorISO_EES6_EEENSQ_IJSG_SG_EEES6_PlJS6_EEE10hipError_tPvRmT3_T4_T5_T6_T7_T9_mT8_P12ihipStream_tbDpT10_ENKUlT_T0_E_clISt17integral_constantIbLb0EES1E_IbLb1EEEEDaS1A_S1B_EUlS1A_E_NS1_11comp_targetILNS1_3genE0ELNS1_11target_archE4294967295ELNS1_3gpuE0ELNS1_3repE0EEENS1_30default_config_static_selectorELNS0_4arch9wavefront6targetE0EEEvT1_.has_dyn_sized_stack, 0
	.set _ZN7rocprim17ROCPRIM_400000_NS6detail17trampoline_kernelINS0_14default_configENS1_25partition_config_selectorILNS1_17partition_subalgoE5EjNS0_10empty_typeEbEEZZNS1_14partition_implILS5_5ELb0ES3_mN6thrust23THRUST_200600_302600_NS6detail15normal_iteratorINSA_10device_ptrIjEEEEPS6_NSA_18transform_iteratorINSB_9not_fun_tI7is_trueIjEEENSC_INSD_IbEEEENSA_11use_defaultESO_EENS0_5tupleIJNSA_16discard_iteratorISO_EES6_EEENSQ_IJSG_SG_EEES6_PlJS6_EEE10hipError_tPvRmT3_T4_T5_T6_T7_T9_mT8_P12ihipStream_tbDpT10_ENKUlT_T0_E_clISt17integral_constantIbLb0EES1E_IbLb1EEEEDaS1A_S1B_EUlS1A_E_NS1_11comp_targetILNS1_3genE0ELNS1_11target_archE4294967295ELNS1_3gpuE0ELNS1_3repE0EEENS1_30default_config_static_selectorELNS0_4arch9wavefront6targetE0EEEvT1_.has_recursion, 0
	.set _ZN7rocprim17ROCPRIM_400000_NS6detail17trampoline_kernelINS0_14default_configENS1_25partition_config_selectorILNS1_17partition_subalgoE5EjNS0_10empty_typeEbEEZZNS1_14partition_implILS5_5ELb0ES3_mN6thrust23THRUST_200600_302600_NS6detail15normal_iteratorINSA_10device_ptrIjEEEEPS6_NSA_18transform_iteratorINSB_9not_fun_tI7is_trueIjEEENSC_INSD_IbEEEENSA_11use_defaultESO_EENS0_5tupleIJNSA_16discard_iteratorISO_EES6_EEENSQ_IJSG_SG_EEES6_PlJS6_EEE10hipError_tPvRmT3_T4_T5_T6_T7_T9_mT8_P12ihipStream_tbDpT10_ENKUlT_T0_E_clISt17integral_constantIbLb0EES1E_IbLb1EEEEDaS1A_S1B_EUlS1A_E_NS1_11comp_targetILNS1_3genE0ELNS1_11target_archE4294967295ELNS1_3gpuE0ELNS1_3repE0EEENS1_30default_config_static_selectorELNS0_4arch9wavefront6targetE0EEEvT1_.has_indirect_call, 0
	.section	.AMDGPU.csdata,"",@progbits
; Kernel info:
; codeLenInByte = 0
; TotalNumSgprs: 0
; NumVgprs: 0
; ScratchSize: 0
; MemoryBound: 0
; FloatMode: 240
; IeeeMode: 1
; LDSByteSize: 0 bytes/workgroup (compile time only)
; SGPRBlocks: 0
; VGPRBlocks: 0
; NumSGPRsForWavesPerEU: 1
; NumVGPRsForWavesPerEU: 1
; Occupancy: 16
; WaveLimiterHint : 0
; COMPUTE_PGM_RSRC2:SCRATCH_EN: 0
; COMPUTE_PGM_RSRC2:USER_SGPR: 2
; COMPUTE_PGM_RSRC2:TRAP_HANDLER: 0
; COMPUTE_PGM_RSRC2:TGID_X_EN: 1
; COMPUTE_PGM_RSRC2:TGID_Y_EN: 0
; COMPUTE_PGM_RSRC2:TGID_Z_EN: 0
; COMPUTE_PGM_RSRC2:TIDIG_COMP_CNT: 0
	.section	.text._ZN7rocprim17ROCPRIM_400000_NS6detail17trampoline_kernelINS0_14default_configENS1_25partition_config_selectorILNS1_17partition_subalgoE5EjNS0_10empty_typeEbEEZZNS1_14partition_implILS5_5ELb0ES3_mN6thrust23THRUST_200600_302600_NS6detail15normal_iteratorINSA_10device_ptrIjEEEEPS6_NSA_18transform_iteratorINSB_9not_fun_tI7is_trueIjEEENSC_INSD_IbEEEENSA_11use_defaultESO_EENS0_5tupleIJNSA_16discard_iteratorISO_EES6_EEENSQ_IJSG_SG_EEES6_PlJS6_EEE10hipError_tPvRmT3_T4_T5_T6_T7_T9_mT8_P12ihipStream_tbDpT10_ENKUlT_T0_E_clISt17integral_constantIbLb0EES1E_IbLb1EEEEDaS1A_S1B_EUlS1A_E_NS1_11comp_targetILNS1_3genE5ELNS1_11target_archE942ELNS1_3gpuE9ELNS1_3repE0EEENS1_30default_config_static_selectorELNS0_4arch9wavefront6targetE0EEEvT1_,"axG",@progbits,_ZN7rocprim17ROCPRIM_400000_NS6detail17trampoline_kernelINS0_14default_configENS1_25partition_config_selectorILNS1_17partition_subalgoE5EjNS0_10empty_typeEbEEZZNS1_14partition_implILS5_5ELb0ES3_mN6thrust23THRUST_200600_302600_NS6detail15normal_iteratorINSA_10device_ptrIjEEEEPS6_NSA_18transform_iteratorINSB_9not_fun_tI7is_trueIjEEENSC_INSD_IbEEEENSA_11use_defaultESO_EENS0_5tupleIJNSA_16discard_iteratorISO_EES6_EEENSQ_IJSG_SG_EEES6_PlJS6_EEE10hipError_tPvRmT3_T4_T5_T6_T7_T9_mT8_P12ihipStream_tbDpT10_ENKUlT_T0_E_clISt17integral_constantIbLb0EES1E_IbLb1EEEEDaS1A_S1B_EUlS1A_E_NS1_11comp_targetILNS1_3genE5ELNS1_11target_archE942ELNS1_3gpuE9ELNS1_3repE0EEENS1_30default_config_static_selectorELNS0_4arch9wavefront6targetE0EEEvT1_,comdat
	.protected	_ZN7rocprim17ROCPRIM_400000_NS6detail17trampoline_kernelINS0_14default_configENS1_25partition_config_selectorILNS1_17partition_subalgoE5EjNS0_10empty_typeEbEEZZNS1_14partition_implILS5_5ELb0ES3_mN6thrust23THRUST_200600_302600_NS6detail15normal_iteratorINSA_10device_ptrIjEEEEPS6_NSA_18transform_iteratorINSB_9not_fun_tI7is_trueIjEEENSC_INSD_IbEEEENSA_11use_defaultESO_EENS0_5tupleIJNSA_16discard_iteratorISO_EES6_EEENSQ_IJSG_SG_EEES6_PlJS6_EEE10hipError_tPvRmT3_T4_T5_T6_T7_T9_mT8_P12ihipStream_tbDpT10_ENKUlT_T0_E_clISt17integral_constantIbLb0EES1E_IbLb1EEEEDaS1A_S1B_EUlS1A_E_NS1_11comp_targetILNS1_3genE5ELNS1_11target_archE942ELNS1_3gpuE9ELNS1_3repE0EEENS1_30default_config_static_selectorELNS0_4arch9wavefront6targetE0EEEvT1_ ; -- Begin function _ZN7rocprim17ROCPRIM_400000_NS6detail17trampoline_kernelINS0_14default_configENS1_25partition_config_selectorILNS1_17partition_subalgoE5EjNS0_10empty_typeEbEEZZNS1_14partition_implILS5_5ELb0ES3_mN6thrust23THRUST_200600_302600_NS6detail15normal_iteratorINSA_10device_ptrIjEEEEPS6_NSA_18transform_iteratorINSB_9not_fun_tI7is_trueIjEEENSC_INSD_IbEEEENSA_11use_defaultESO_EENS0_5tupleIJNSA_16discard_iteratorISO_EES6_EEENSQ_IJSG_SG_EEES6_PlJS6_EEE10hipError_tPvRmT3_T4_T5_T6_T7_T9_mT8_P12ihipStream_tbDpT10_ENKUlT_T0_E_clISt17integral_constantIbLb0EES1E_IbLb1EEEEDaS1A_S1B_EUlS1A_E_NS1_11comp_targetILNS1_3genE5ELNS1_11target_archE942ELNS1_3gpuE9ELNS1_3repE0EEENS1_30default_config_static_selectorELNS0_4arch9wavefront6targetE0EEEvT1_
	.globl	_ZN7rocprim17ROCPRIM_400000_NS6detail17trampoline_kernelINS0_14default_configENS1_25partition_config_selectorILNS1_17partition_subalgoE5EjNS0_10empty_typeEbEEZZNS1_14partition_implILS5_5ELb0ES3_mN6thrust23THRUST_200600_302600_NS6detail15normal_iteratorINSA_10device_ptrIjEEEEPS6_NSA_18transform_iteratorINSB_9not_fun_tI7is_trueIjEEENSC_INSD_IbEEEENSA_11use_defaultESO_EENS0_5tupleIJNSA_16discard_iteratorISO_EES6_EEENSQ_IJSG_SG_EEES6_PlJS6_EEE10hipError_tPvRmT3_T4_T5_T6_T7_T9_mT8_P12ihipStream_tbDpT10_ENKUlT_T0_E_clISt17integral_constantIbLb0EES1E_IbLb1EEEEDaS1A_S1B_EUlS1A_E_NS1_11comp_targetILNS1_3genE5ELNS1_11target_archE942ELNS1_3gpuE9ELNS1_3repE0EEENS1_30default_config_static_selectorELNS0_4arch9wavefront6targetE0EEEvT1_
	.p2align	8
	.type	_ZN7rocprim17ROCPRIM_400000_NS6detail17trampoline_kernelINS0_14default_configENS1_25partition_config_selectorILNS1_17partition_subalgoE5EjNS0_10empty_typeEbEEZZNS1_14partition_implILS5_5ELb0ES3_mN6thrust23THRUST_200600_302600_NS6detail15normal_iteratorINSA_10device_ptrIjEEEEPS6_NSA_18transform_iteratorINSB_9not_fun_tI7is_trueIjEEENSC_INSD_IbEEEENSA_11use_defaultESO_EENS0_5tupleIJNSA_16discard_iteratorISO_EES6_EEENSQ_IJSG_SG_EEES6_PlJS6_EEE10hipError_tPvRmT3_T4_T5_T6_T7_T9_mT8_P12ihipStream_tbDpT10_ENKUlT_T0_E_clISt17integral_constantIbLb0EES1E_IbLb1EEEEDaS1A_S1B_EUlS1A_E_NS1_11comp_targetILNS1_3genE5ELNS1_11target_archE942ELNS1_3gpuE9ELNS1_3repE0EEENS1_30default_config_static_selectorELNS0_4arch9wavefront6targetE0EEEvT1_,@function
_ZN7rocprim17ROCPRIM_400000_NS6detail17trampoline_kernelINS0_14default_configENS1_25partition_config_selectorILNS1_17partition_subalgoE5EjNS0_10empty_typeEbEEZZNS1_14partition_implILS5_5ELb0ES3_mN6thrust23THRUST_200600_302600_NS6detail15normal_iteratorINSA_10device_ptrIjEEEEPS6_NSA_18transform_iteratorINSB_9not_fun_tI7is_trueIjEEENSC_INSD_IbEEEENSA_11use_defaultESO_EENS0_5tupleIJNSA_16discard_iteratorISO_EES6_EEENSQ_IJSG_SG_EEES6_PlJS6_EEE10hipError_tPvRmT3_T4_T5_T6_T7_T9_mT8_P12ihipStream_tbDpT10_ENKUlT_T0_E_clISt17integral_constantIbLb0EES1E_IbLb1EEEEDaS1A_S1B_EUlS1A_E_NS1_11comp_targetILNS1_3genE5ELNS1_11target_archE942ELNS1_3gpuE9ELNS1_3repE0EEENS1_30default_config_static_selectorELNS0_4arch9wavefront6targetE0EEEvT1_: ; @_ZN7rocprim17ROCPRIM_400000_NS6detail17trampoline_kernelINS0_14default_configENS1_25partition_config_selectorILNS1_17partition_subalgoE5EjNS0_10empty_typeEbEEZZNS1_14partition_implILS5_5ELb0ES3_mN6thrust23THRUST_200600_302600_NS6detail15normal_iteratorINSA_10device_ptrIjEEEEPS6_NSA_18transform_iteratorINSB_9not_fun_tI7is_trueIjEEENSC_INSD_IbEEEENSA_11use_defaultESO_EENS0_5tupleIJNSA_16discard_iteratorISO_EES6_EEENSQ_IJSG_SG_EEES6_PlJS6_EEE10hipError_tPvRmT3_T4_T5_T6_T7_T9_mT8_P12ihipStream_tbDpT10_ENKUlT_T0_E_clISt17integral_constantIbLb0EES1E_IbLb1EEEEDaS1A_S1B_EUlS1A_E_NS1_11comp_targetILNS1_3genE5ELNS1_11target_archE942ELNS1_3gpuE9ELNS1_3repE0EEENS1_30default_config_static_selectorELNS0_4arch9wavefront6targetE0EEEvT1_
; %bb.0:
	.section	.rodata,"a",@progbits
	.p2align	6, 0x0
	.amdhsa_kernel _ZN7rocprim17ROCPRIM_400000_NS6detail17trampoline_kernelINS0_14default_configENS1_25partition_config_selectorILNS1_17partition_subalgoE5EjNS0_10empty_typeEbEEZZNS1_14partition_implILS5_5ELb0ES3_mN6thrust23THRUST_200600_302600_NS6detail15normal_iteratorINSA_10device_ptrIjEEEEPS6_NSA_18transform_iteratorINSB_9not_fun_tI7is_trueIjEEENSC_INSD_IbEEEENSA_11use_defaultESO_EENS0_5tupleIJNSA_16discard_iteratorISO_EES6_EEENSQ_IJSG_SG_EEES6_PlJS6_EEE10hipError_tPvRmT3_T4_T5_T6_T7_T9_mT8_P12ihipStream_tbDpT10_ENKUlT_T0_E_clISt17integral_constantIbLb0EES1E_IbLb1EEEEDaS1A_S1B_EUlS1A_E_NS1_11comp_targetILNS1_3genE5ELNS1_11target_archE942ELNS1_3gpuE9ELNS1_3repE0EEENS1_30default_config_static_selectorELNS0_4arch9wavefront6targetE0EEEvT1_
		.amdhsa_group_segment_fixed_size 0
		.amdhsa_private_segment_fixed_size 0
		.amdhsa_kernarg_size 144
		.amdhsa_user_sgpr_count 2
		.amdhsa_user_sgpr_dispatch_ptr 0
		.amdhsa_user_sgpr_queue_ptr 0
		.amdhsa_user_sgpr_kernarg_segment_ptr 1
		.amdhsa_user_sgpr_dispatch_id 0
		.amdhsa_user_sgpr_private_segment_size 0
		.amdhsa_wavefront_size32 1
		.amdhsa_uses_dynamic_stack 0
		.amdhsa_enable_private_segment 0
		.amdhsa_system_sgpr_workgroup_id_x 1
		.amdhsa_system_sgpr_workgroup_id_y 0
		.amdhsa_system_sgpr_workgroup_id_z 0
		.amdhsa_system_sgpr_workgroup_info 0
		.amdhsa_system_vgpr_workitem_id 0
		.amdhsa_next_free_vgpr 1
		.amdhsa_next_free_sgpr 1
		.amdhsa_reserve_vcc 0
		.amdhsa_float_round_mode_32 0
		.amdhsa_float_round_mode_16_64 0
		.amdhsa_float_denorm_mode_32 3
		.amdhsa_float_denorm_mode_16_64 3
		.amdhsa_fp16_overflow 0
		.amdhsa_workgroup_processor_mode 1
		.amdhsa_memory_ordered 1
		.amdhsa_forward_progress 1
		.amdhsa_inst_pref_size 0
		.amdhsa_round_robin_scheduling 0
		.amdhsa_exception_fp_ieee_invalid_op 0
		.amdhsa_exception_fp_denorm_src 0
		.amdhsa_exception_fp_ieee_div_zero 0
		.amdhsa_exception_fp_ieee_overflow 0
		.amdhsa_exception_fp_ieee_underflow 0
		.amdhsa_exception_fp_ieee_inexact 0
		.amdhsa_exception_int_div_zero 0
	.end_amdhsa_kernel
	.section	.text._ZN7rocprim17ROCPRIM_400000_NS6detail17trampoline_kernelINS0_14default_configENS1_25partition_config_selectorILNS1_17partition_subalgoE5EjNS0_10empty_typeEbEEZZNS1_14partition_implILS5_5ELb0ES3_mN6thrust23THRUST_200600_302600_NS6detail15normal_iteratorINSA_10device_ptrIjEEEEPS6_NSA_18transform_iteratorINSB_9not_fun_tI7is_trueIjEEENSC_INSD_IbEEEENSA_11use_defaultESO_EENS0_5tupleIJNSA_16discard_iteratorISO_EES6_EEENSQ_IJSG_SG_EEES6_PlJS6_EEE10hipError_tPvRmT3_T4_T5_T6_T7_T9_mT8_P12ihipStream_tbDpT10_ENKUlT_T0_E_clISt17integral_constantIbLb0EES1E_IbLb1EEEEDaS1A_S1B_EUlS1A_E_NS1_11comp_targetILNS1_3genE5ELNS1_11target_archE942ELNS1_3gpuE9ELNS1_3repE0EEENS1_30default_config_static_selectorELNS0_4arch9wavefront6targetE0EEEvT1_,"axG",@progbits,_ZN7rocprim17ROCPRIM_400000_NS6detail17trampoline_kernelINS0_14default_configENS1_25partition_config_selectorILNS1_17partition_subalgoE5EjNS0_10empty_typeEbEEZZNS1_14partition_implILS5_5ELb0ES3_mN6thrust23THRUST_200600_302600_NS6detail15normal_iteratorINSA_10device_ptrIjEEEEPS6_NSA_18transform_iteratorINSB_9not_fun_tI7is_trueIjEEENSC_INSD_IbEEEENSA_11use_defaultESO_EENS0_5tupleIJNSA_16discard_iteratorISO_EES6_EEENSQ_IJSG_SG_EEES6_PlJS6_EEE10hipError_tPvRmT3_T4_T5_T6_T7_T9_mT8_P12ihipStream_tbDpT10_ENKUlT_T0_E_clISt17integral_constantIbLb0EES1E_IbLb1EEEEDaS1A_S1B_EUlS1A_E_NS1_11comp_targetILNS1_3genE5ELNS1_11target_archE942ELNS1_3gpuE9ELNS1_3repE0EEENS1_30default_config_static_selectorELNS0_4arch9wavefront6targetE0EEEvT1_,comdat
.Lfunc_end2710:
	.size	_ZN7rocprim17ROCPRIM_400000_NS6detail17trampoline_kernelINS0_14default_configENS1_25partition_config_selectorILNS1_17partition_subalgoE5EjNS0_10empty_typeEbEEZZNS1_14partition_implILS5_5ELb0ES3_mN6thrust23THRUST_200600_302600_NS6detail15normal_iteratorINSA_10device_ptrIjEEEEPS6_NSA_18transform_iteratorINSB_9not_fun_tI7is_trueIjEEENSC_INSD_IbEEEENSA_11use_defaultESO_EENS0_5tupleIJNSA_16discard_iteratorISO_EES6_EEENSQ_IJSG_SG_EEES6_PlJS6_EEE10hipError_tPvRmT3_T4_T5_T6_T7_T9_mT8_P12ihipStream_tbDpT10_ENKUlT_T0_E_clISt17integral_constantIbLb0EES1E_IbLb1EEEEDaS1A_S1B_EUlS1A_E_NS1_11comp_targetILNS1_3genE5ELNS1_11target_archE942ELNS1_3gpuE9ELNS1_3repE0EEENS1_30default_config_static_selectorELNS0_4arch9wavefront6targetE0EEEvT1_, .Lfunc_end2710-_ZN7rocprim17ROCPRIM_400000_NS6detail17trampoline_kernelINS0_14default_configENS1_25partition_config_selectorILNS1_17partition_subalgoE5EjNS0_10empty_typeEbEEZZNS1_14partition_implILS5_5ELb0ES3_mN6thrust23THRUST_200600_302600_NS6detail15normal_iteratorINSA_10device_ptrIjEEEEPS6_NSA_18transform_iteratorINSB_9not_fun_tI7is_trueIjEEENSC_INSD_IbEEEENSA_11use_defaultESO_EENS0_5tupleIJNSA_16discard_iteratorISO_EES6_EEENSQ_IJSG_SG_EEES6_PlJS6_EEE10hipError_tPvRmT3_T4_T5_T6_T7_T9_mT8_P12ihipStream_tbDpT10_ENKUlT_T0_E_clISt17integral_constantIbLb0EES1E_IbLb1EEEEDaS1A_S1B_EUlS1A_E_NS1_11comp_targetILNS1_3genE5ELNS1_11target_archE942ELNS1_3gpuE9ELNS1_3repE0EEENS1_30default_config_static_selectorELNS0_4arch9wavefront6targetE0EEEvT1_
                                        ; -- End function
	.set _ZN7rocprim17ROCPRIM_400000_NS6detail17trampoline_kernelINS0_14default_configENS1_25partition_config_selectorILNS1_17partition_subalgoE5EjNS0_10empty_typeEbEEZZNS1_14partition_implILS5_5ELb0ES3_mN6thrust23THRUST_200600_302600_NS6detail15normal_iteratorINSA_10device_ptrIjEEEEPS6_NSA_18transform_iteratorINSB_9not_fun_tI7is_trueIjEEENSC_INSD_IbEEEENSA_11use_defaultESO_EENS0_5tupleIJNSA_16discard_iteratorISO_EES6_EEENSQ_IJSG_SG_EEES6_PlJS6_EEE10hipError_tPvRmT3_T4_T5_T6_T7_T9_mT8_P12ihipStream_tbDpT10_ENKUlT_T0_E_clISt17integral_constantIbLb0EES1E_IbLb1EEEEDaS1A_S1B_EUlS1A_E_NS1_11comp_targetILNS1_3genE5ELNS1_11target_archE942ELNS1_3gpuE9ELNS1_3repE0EEENS1_30default_config_static_selectorELNS0_4arch9wavefront6targetE0EEEvT1_.num_vgpr, 0
	.set _ZN7rocprim17ROCPRIM_400000_NS6detail17trampoline_kernelINS0_14default_configENS1_25partition_config_selectorILNS1_17partition_subalgoE5EjNS0_10empty_typeEbEEZZNS1_14partition_implILS5_5ELb0ES3_mN6thrust23THRUST_200600_302600_NS6detail15normal_iteratorINSA_10device_ptrIjEEEEPS6_NSA_18transform_iteratorINSB_9not_fun_tI7is_trueIjEEENSC_INSD_IbEEEENSA_11use_defaultESO_EENS0_5tupleIJNSA_16discard_iteratorISO_EES6_EEENSQ_IJSG_SG_EEES6_PlJS6_EEE10hipError_tPvRmT3_T4_T5_T6_T7_T9_mT8_P12ihipStream_tbDpT10_ENKUlT_T0_E_clISt17integral_constantIbLb0EES1E_IbLb1EEEEDaS1A_S1B_EUlS1A_E_NS1_11comp_targetILNS1_3genE5ELNS1_11target_archE942ELNS1_3gpuE9ELNS1_3repE0EEENS1_30default_config_static_selectorELNS0_4arch9wavefront6targetE0EEEvT1_.num_agpr, 0
	.set _ZN7rocprim17ROCPRIM_400000_NS6detail17trampoline_kernelINS0_14default_configENS1_25partition_config_selectorILNS1_17partition_subalgoE5EjNS0_10empty_typeEbEEZZNS1_14partition_implILS5_5ELb0ES3_mN6thrust23THRUST_200600_302600_NS6detail15normal_iteratorINSA_10device_ptrIjEEEEPS6_NSA_18transform_iteratorINSB_9not_fun_tI7is_trueIjEEENSC_INSD_IbEEEENSA_11use_defaultESO_EENS0_5tupleIJNSA_16discard_iteratorISO_EES6_EEENSQ_IJSG_SG_EEES6_PlJS6_EEE10hipError_tPvRmT3_T4_T5_T6_T7_T9_mT8_P12ihipStream_tbDpT10_ENKUlT_T0_E_clISt17integral_constantIbLb0EES1E_IbLb1EEEEDaS1A_S1B_EUlS1A_E_NS1_11comp_targetILNS1_3genE5ELNS1_11target_archE942ELNS1_3gpuE9ELNS1_3repE0EEENS1_30default_config_static_selectorELNS0_4arch9wavefront6targetE0EEEvT1_.numbered_sgpr, 0
	.set _ZN7rocprim17ROCPRIM_400000_NS6detail17trampoline_kernelINS0_14default_configENS1_25partition_config_selectorILNS1_17partition_subalgoE5EjNS0_10empty_typeEbEEZZNS1_14partition_implILS5_5ELb0ES3_mN6thrust23THRUST_200600_302600_NS6detail15normal_iteratorINSA_10device_ptrIjEEEEPS6_NSA_18transform_iteratorINSB_9not_fun_tI7is_trueIjEEENSC_INSD_IbEEEENSA_11use_defaultESO_EENS0_5tupleIJNSA_16discard_iteratorISO_EES6_EEENSQ_IJSG_SG_EEES6_PlJS6_EEE10hipError_tPvRmT3_T4_T5_T6_T7_T9_mT8_P12ihipStream_tbDpT10_ENKUlT_T0_E_clISt17integral_constantIbLb0EES1E_IbLb1EEEEDaS1A_S1B_EUlS1A_E_NS1_11comp_targetILNS1_3genE5ELNS1_11target_archE942ELNS1_3gpuE9ELNS1_3repE0EEENS1_30default_config_static_selectorELNS0_4arch9wavefront6targetE0EEEvT1_.num_named_barrier, 0
	.set _ZN7rocprim17ROCPRIM_400000_NS6detail17trampoline_kernelINS0_14default_configENS1_25partition_config_selectorILNS1_17partition_subalgoE5EjNS0_10empty_typeEbEEZZNS1_14partition_implILS5_5ELb0ES3_mN6thrust23THRUST_200600_302600_NS6detail15normal_iteratorINSA_10device_ptrIjEEEEPS6_NSA_18transform_iteratorINSB_9not_fun_tI7is_trueIjEEENSC_INSD_IbEEEENSA_11use_defaultESO_EENS0_5tupleIJNSA_16discard_iteratorISO_EES6_EEENSQ_IJSG_SG_EEES6_PlJS6_EEE10hipError_tPvRmT3_T4_T5_T6_T7_T9_mT8_P12ihipStream_tbDpT10_ENKUlT_T0_E_clISt17integral_constantIbLb0EES1E_IbLb1EEEEDaS1A_S1B_EUlS1A_E_NS1_11comp_targetILNS1_3genE5ELNS1_11target_archE942ELNS1_3gpuE9ELNS1_3repE0EEENS1_30default_config_static_selectorELNS0_4arch9wavefront6targetE0EEEvT1_.private_seg_size, 0
	.set _ZN7rocprim17ROCPRIM_400000_NS6detail17trampoline_kernelINS0_14default_configENS1_25partition_config_selectorILNS1_17partition_subalgoE5EjNS0_10empty_typeEbEEZZNS1_14partition_implILS5_5ELb0ES3_mN6thrust23THRUST_200600_302600_NS6detail15normal_iteratorINSA_10device_ptrIjEEEEPS6_NSA_18transform_iteratorINSB_9not_fun_tI7is_trueIjEEENSC_INSD_IbEEEENSA_11use_defaultESO_EENS0_5tupleIJNSA_16discard_iteratorISO_EES6_EEENSQ_IJSG_SG_EEES6_PlJS6_EEE10hipError_tPvRmT3_T4_T5_T6_T7_T9_mT8_P12ihipStream_tbDpT10_ENKUlT_T0_E_clISt17integral_constantIbLb0EES1E_IbLb1EEEEDaS1A_S1B_EUlS1A_E_NS1_11comp_targetILNS1_3genE5ELNS1_11target_archE942ELNS1_3gpuE9ELNS1_3repE0EEENS1_30default_config_static_selectorELNS0_4arch9wavefront6targetE0EEEvT1_.uses_vcc, 0
	.set _ZN7rocprim17ROCPRIM_400000_NS6detail17trampoline_kernelINS0_14default_configENS1_25partition_config_selectorILNS1_17partition_subalgoE5EjNS0_10empty_typeEbEEZZNS1_14partition_implILS5_5ELb0ES3_mN6thrust23THRUST_200600_302600_NS6detail15normal_iteratorINSA_10device_ptrIjEEEEPS6_NSA_18transform_iteratorINSB_9not_fun_tI7is_trueIjEEENSC_INSD_IbEEEENSA_11use_defaultESO_EENS0_5tupleIJNSA_16discard_iteratorISO_EES6_EEENSQ_IJSG_SG_EEES6_PlJS6_EEE10hipError_tPvRmT3_T4_T5_T6_T7_T9_mT8_P12ihipStream_tbDpT10_ENKUlT_T0_E_clISt17integral_constantIbLb0EES1E_IbLb1EEEEDaS1A_S1B_EUlS1A_E_NS1_11comp_targetILNS1_3genE5ELNS1_11target_archE942ELNS1_3gpuE9ELNS1_3repE0EEENS1_30default_config_static_selectorELNS0_4arch9wavefront6targetE0EEEvT1_.uses_flat_scratch, 0
	.set _ZN7rocprim17ROCPRIM_400000_NS6detail17trampoline_kernelINS0_14default_configENS1_25partition_config_selectorILNS1_17partition_subalgoE5EjNS0_10empty_typeEbEEZZNS1_14partition_implILS5_5ELb0ES3_mN6thrust23THRUST_200600_302600_NS6detail15normal_iteratorINSA_10device_ptrIjEEEEPS6_NSA_18transform_iteratorINSB_9not_fun_tI7is_trueIjEEENSC_INSD_IbEEEENSA_11use_defaultESO_EENS0_5tupleIJNSA_16discard_iteratorISO_EES6_EEENSQ_IJSG_SG_EEES6_PlJS6_EEE10hipError_tPvRmT3_T4_T5_T6_T7_T9_mT8_P12ihipStream_tbDpT10_ENKUlT_T0_E_clISt17integral_constantIbLb0EES1E_IbLb1EEEEDaS1A_S1B_EUlS1A_E_NS1_11comp_targetILNS1_3genE5ELNS1_11target_archE942ELNS1_3gpuE9ELNS1_3repE0EEENS1_30default_config_static_selectorELNS0_4arch9wavefront6targetE0EEEvT1_.has_dyn_sized_stack, 0
	.set _ZN7rocprim17ROCPRIM_400000_NS6detail17trampoline_kernelINS0_14default_configENS1_25partition_config_selectorILNS1_17partition_subalgoE5EjNS0_10empty_typeEbEEZZNS1_14partition_implILS5_5ELb0ES3_mN6thrust23THRUST_200600_302600_NS6detail15normal_iteratorINSA_10device_ptrIjEEEEPS6_NSA_18transform_iteratorINSB_9not_fun_tI7is_trueIjEEENSC_INSD_IbEEEENSA_11use_defaultESO_EENS0_5tupleIJNSA_16discard_iteratorISO_EES6_EEENSQ_IJSG_SG_EEES6_PlJS6_EEE10hipError_tPvRmT3_T4_T5_T6_T7_T9_mT8_P12ihipStream_tbDpT10_ENKUlT_T0_E_clISt17integral_constantIbLb0EES1E_IbLb1EEEEDaS1A_S1B_EUlS1A_E_NS1_11comp_targetILNS1_3genE5ELNS1_11target_archE942ELNS1_3gpuE9ELNS1_3repE0EEENS1_30default_config_static_selectorELNS0_4arch9wavefront6targetE0EEEvT1_.has_recursion, 0
	.set _ZN7rocprim17ROCPRIM_400000_NS6detail17trampoline_kernelINS0_14default_configENS1_25partition_config_selectorILNS1_17partition_subalgoE5EjNS0_10empty_typeEbEEZZNS1_14partition_implILS5_5ELb0ES3_mN6thrust23THRUST_200600_302600_NS6detail15normal_iteratorINSA_10device_ptrIjEEEEPS6_NSA_18transform_iteratorINSB_9not_fun_tI7is_trueIjEEENSC_INSD_IbEEEENSA_11use_defaultESO_EENS0_5tupleIJNSA_16discard_iteratorISO_EES6_EEENSQ_IJSG_SG_EEES6_PlJS6_EEE10hipError_tPvRmT3_T4_T5_T6_T7_T9_mT8_P12ihipStream_tbDpT10_ENKUlT_T0_E_clISt17integral_constantIbLb0EES1E_IbLb1EEEEDaS1A_S1B_EUlS1A_E_NS1_11comp_targetILNS1_3genE5ELNS1_11target_archE942ELNS1_3gpuE9ELNS1_3repE0EEENS1_30default_config_static_selectorELNS0_4arch9wavefront6targetE0EEEvT1_.has_indirect_call, 0
	.section	.AMDGPU.csdata,"",@progbits
; Kernel info:
; codeLenInByte = 0
; TotalNumSgprs: 0
; NumVgprs: 0
; ScratchSize: 0
; MemoryBound: 0
; FloatMode: 240
; IeeeMode: 1
; LDSByteSize: 0 bytes/workgroup (compile time only)
; SGPRBlocks: 0
; VGPRBlocks: 0
; NumSGPRsForWavesPerEU: 1
; NumVGPRsForWavesPerEU: 1
; Occupancy: 16
; WaveLimiterHint : 0
; COMPUTE_PGM_RSRC2:SCRATCH_EN: 0
; COMPUTE_PGM_RSRC2:USER_SGPR: 2
; COMPUTE_PGM_RSRC2:TRAP_HANDLER: 0
; COMPUTE_PGM_RSRC2:TGID_X_EN: 1
; COMPUTE_PGM_RSRC2:TGID_Y_EN: 0
; COMPUTE_PGM_RSRC2:TGID_Z_EN: 0
; COMPUTE_PGM_RSRC2:TIDIG_COMP_CNT: 0
	.section	.text._ZN7rocprim17ROCPRIM_400000_NS6detail17trampoline_kernelINS0_14default_configENS1_25partition_config_selectorILNS1_17partition_subalgoE5EjNS0_10empty_typeEbEEZZNS1_14partition_implILS5_5ELb0ES3_mN6thrust23THRUST_200600_302600_NS6detail15normal_iteratorINSA_10device_ptrIjEEEEPS6_NSA_18transform_iteratorINSB_9not_fun_tI7is_trueIjEEENSC_INSD_IbEEEENSA_11use_defaultESO_EENS0_5tupleIJNSA_16discard_iteratorISO_EES6_EEENSQ_IJSG_SG_EEES6_PlJS6_EEE10hipError_tPvRmT3_T4_T5_T6_T7_T9_mT8_P12ihipStream_tbDpT10_ENKUlT_T0_E_clISt17integral_constantIbLb0EES1E_IbLb1EEEEDaS1A_S1B_EUlS1A_E_NS1_11comp_targetILNS1_3genE4ELNS1_11target_archE910ELNS1_3gpuE8ELNS1_3repE0EEENS1_30default_config_static_selectorELNS0_4arch9wavefront6targetE0EEEvT1_,"axG",@progbits,_ZN7rocprim17ROCPRIM_400000_NS6detail17trampoline_kernelINS0_14default_configENS1_25partition_config_selectorILNS1_17partition_subalgoE5EjNS0_10empty_typeEbEEZZNS1_14partition_implILS5_5ELb0ES3_mN6thrust23THRUST_200600_302600_NS6detail15normal_iteratorINSA_10device_ptrIjEEEEPS6_NSA_18transform_iteratorINSB_9not_fun_tI7is_trueIjEEENSC_INSD_IbEEEENSA_11use_defaultESO_EENS0_5tupleIJNSA_16discard_iteratorISO_EES6_EEENSQ_IJSG_SG_EEES6_PlJS6_EEE10hipError_tPvRmT3_T4_T5_T6_T7_T9_mT8_P12ihipStream_tbDpT10_ENKUlT_T0_E_clISt17integral_constantIbLb0EES1E_IbLb1EEEEDaS1A_S1B_EUlS1A_E_NS1_11comp_targetILNS1_3genE4ELNS1_11target_archE910ELNS1_3gpuE8ELNS1_3repE0EEENS1_30default_config_static_selectorELNS0_4arch9wavefront6targetE0EEEvT1_,comdat
	.protected	_ZN7rocprim17ROCPRIM_400000_NS6detail17trampoline_kernelINS0_14default_configENS1_25partition_config_selectorILNS1_17partition_subalgoE5EjNS0_10empty_typeEbEEZZNS1_14partition_implILS5_5ELb0ES3_mN6thrust23THRUST_200600_302600_NS6detail15normal_iteratorINSA_10device_ptrIjEEEEPS6_NSA_18transform_iteratorINSB_9not_fun_tI7is_trueIjEEENSC_INSD_IbEEEENSA_11use_defaultESO_EENS0_5tupleIJNSA_16discard_iteratorISO_EES6_EEENSQ_IJSG_SG_EEES6_PlJS6_EEE10hipError_tPvRmT3_T4_T5_T6_T7_T9_mT8_P12ihipStream_tbDpT10_ENKUlT_T0_E_clISt17integral_constantIbLb0EES1E_IbLb1EEEEDaS1A_S1B_EUlS1A_E_NS1_11comp_targetILNS1_3genE4ELNS1_11target_archE910ELNS1_3gpuE8ELNS1_3repE0EEENS1_30default_config_static_selectorELNS0_4arch9wavefront6targetE0EEEvT1_ ; -- Begin function _ZN7rocprim17ROCPRIM_400000_NS6detail17trampoline_kernelINS0_14default_configENS1_25partition_config_selectorILNS1_17partition_subalgoE5EjNS0_10empty_typeEbEEZZNS1_14partition_implILS5_5ELb0ES3_mN6thrust23THRUST_200600_302600_NS6detail15normal_iteratorINSA_10device_ptrIjEEEEPS6_NSA_18transform_iteratorINSB_9not_fun_tI7is_trueIjEEENSC_INSD_IbEEEENSA_11use_defaultESO_EENS0_5tupleIJNSA_16discard_iteratorISO_EES6_EEENSQ_IJSG_SG_EEES6_PlJS6_EEE10hipError_tPvRmT3_T4_T5_T6_T7_T9_mT8_P12ihipStream_tbDpT10_ENKUlT_T0_E_clISt17integral_constantIbLb0EES1E_IbLb1EEEEDaS1A_S1B_EUlS1A_E_NS1_11comp_targetILNS1_3genE4ELNS1_11target_archE910ELNS1_3gpuE8ELNS1_3repE0EEENS1_30default_config_static_selectorELNS0_4arch9wavefront6targetE0EEEvT1_
	.globl	_ZN7rocprim17ROCPRIM_400000_NS6detail17trampoline_kernelINS0_14default_configENS1_25partition_config_selectorILNS1_17partition_subalgoE5EjNS0_10empty_typeEbEEZZNS1_14partition_implILS5_5ELb0ES3_mN6thrust23THRUST_200600_302600_NS6detail15normal_iteratorINSA_10device_ptrIjEEEEPS6_NSA_18transform_iteratorINSB_9not_fun_tI7is_trueIjEEENSC_INSD_IbEEEENSA_11use_defaultESO_EENS0_5tupleIJNSA_16discard_iteratorISO_EES6_EEENSQ_IJSG_SG_EEES6_PlJS6_EEE10hipError_tPvRmT3_T4_T5_T6_T7_T9_mT8_P12ihipStream_tbDpT10_ENKUlT_T0_E_clISt17integral_constantIbLb0EES1E_IbLb1EEEEDaS1A_S1B_EUlS1A_E_NS1_11comp_targetILNS1_3genE4ELNS1_11target_archE910ELNS1_3gpuE8ELNS1_3repE0EEENS1_30default_config_static_selectorELNS0_4arch9wavefront6targetE0EEEvT1_
	.p2align	8
	.type	_ZN7rocprim17ROCPRIM_400000_NS6detail17trampoline_kernelINS0_14default_configENS1_25partition_config_selectorILNS1_17partition_subalgoE5EjNS0_10empty_typeEbEEZZNS1_14partition_implILS5_5ELb0ES3_mN6thrust23THRUST_200600_302600_NS6detail15normal_iteratorINSA_10device_ptrIjEEEEPS6_NSA_18transform_iteratorINSB_9not_fun_tI7is_trueIjEEENSC_INSD_IbEEEENSA_11use_defaultESO_EENS0_5tupleIJNSA_16discard_iteratorISO_EES6_EEENSQ_IJSG_SG_EEES6_PlJS6_EEE10hipError_tPvRmT3_T4_T5_T6_T7_T9_mT8_P12ihipStream_tbDpT10_ENKUlT_T0_E_clISt17integral_constantIbLb0EES1E_IbLb1EEEEDaS1A_S1B_EUlS1A_E_NS1_11comp_targetILNS1_3genE4ELNS1_11target_archE910ELNS1_3gpuE8ELNS1_3repE0EEENS1_30default_config_static_selectorELNS0_4arch9wavefront6targetE0EEEvT1_,@function
_ZN7rocprim17ROCPRIM_400000_NS6detail17trampoline_kernelINS0_14default_configENS1_25partition_config_selectorILNS1_17partition_subalgoE5EjNS0_10empty_typeEbEEZZNS1_14partition_implILS5_5ELb0ES3_mN6thrust23THRUST_200600_302600_NS6detail15normal_iteratorINSA_10device_ptrIjEEEEPS6_NSA_18transform_iteratorINSB_9not_fun_tI7is_trueIjEEENSC_INSD_IbEEEENSA_11use_defaultESO_EENS0_5tupleIJNSA_16discard_iteratorISO_EES6_EEENSQ_IJSG_SG_EEES6_PlJS6_EEE10hipError_tPvRmT3_T4_T5_T6_T7_T9_mT8_P12ihipStream_tbDpT10_ENKUlT_T0_E_clISt17integral_constantIbLb0EES1E_IbLb1EEEEDaS1A_S1B_EUlS1A_E_NS1_11comp_targetILNS1_3genE4ELNS1_11target_archE910ELNS1_3gpuE8ELNS1_3repE0EEENS1_30default_config_static_selectorELNS0_4arch9wavefront6targetE0EEEvT1_: ; @_ZN7rocprim17ROCPRIM_400000_NS6detail17trampoline_kernelINS0_14default_configENS1_25partition_config_selectorILNS1_17partition_subalgoE5EjNS0_10empty_typeEbEEZZNS1_14partition_implILS5_5ELb0ES3_mN6thrust23THRUST_200600_302600_NS6detail15normal_iteratorINSA_10device_ptrIjEEEEPS6_NSA_18transform_iteratorINSB_9not_fun_tI7is_trueIjEEENSC_INSD_IbEEEENSA_11use_defaultESO_EENS0_5tupleIJNSA_16discard_iteratorISO_EES6_EEENSQ_IJSG_SG_EEES6_PlJS6_EEE10hipError_tPvRmT3_T4_T5_T6_T7_T9_mT8_P12ihipStream_tbDpT10_ENKUlT_T0_E_clISt17integral_constantIbLb0EES1E_IbLb1EEEEDaS1A_S1B_EUlS1A_E_NS1_11comp_targetILNS1_3genE4ELNS1_11target_archE910ELNS1_3gpuE8ELNS1_3repE0EEENS1_30default_config_static_selectorELNS0_4arch9wavefront6targetE0EEEvT1_
; %bb.0:
	.section	.rodata,"a",@progbits
	.p2align	6, 0x0
	.amdhsa_kernel _ZN7rocprim17ROCPRIM_400000_NS6detail17trampoline_kernelINS0_14default_configENS1_25partition_config_selectorILNS1_17partition_subalgoE5EjNS0_10empty_typeEbEEZZNS1_14partition_implILS5_5ELb0ES3_mN6thrust23THRUST_200600_302600_NS6detail15normal_iteratorINSA_10device_ptrIjEEEEPS6_NSA_18transform_iteratorINSB_9not_fun_tI7is_trueIjEEENSC_INSD_IbEEEENSA_11use_defaultESO_EENS0_5tupleIJNSA_16discard_iteratorISO_EES6_EEENSQ_IJSG_SG_EEES6_PlJS6_EEE10hipError_tPvRmT3_T4_T5_T6_T7_T9_mT8_P12ihipStream_tbDpT10_ENKUlT_T0_E_clISt17integral_constantIbLb0EES1E_IbLb1EEEEDaS1A_S1B_EUlS1A_E_NS1_11comp_targetILNS1_3genE4ELNS1_11target_archE910ELNS1_3gpuE8ELNS1_3repE0EEENS1_30default_config_static_selectorELNS0_4arch9wavefront6targetE0EEEvT1_
		.amdhsa_group_segment_fixed_size 0
		.amdhsa_private_segment_fixed_size 0
		.amdhsa_kernarg_size 144
		.amdhsa_user_sgpr_count 2
		.amdhsa_user_sgpr_dispatch_ptr 0
		.amdhsa_user_sgpr_queue_ptr 0
		.amdhsa_user_sgpr_kernarg_segment_ptr 1
		.amdhsa_user_sgpr_dispatch_id 0
		.amdhsa_user_sgpr_private_segment_size 0
		.amdhsa_wavefront_size32 1
		.amdhsa_uses_dynamic_stack 0
		.amdhsa_enable_private_segment 0
		.amdhsa_system_sgpr_workgroup_id_x 1
		.amdhsa_system_sgpr_workgroup_id_y 0
		.amdhsa_system_sgpr_workgroup_id_z 0
		.amdhsa_system_sgpr_workgroup_info 0
		.amdhsa_system_vgpr_workitem_id 0
		.amdhsa_next_free_vgpr 1
		.amdhsa_next_free_sgpr 1
		.amdhsa_reserve_vcc 0
		.amdhsa_float_round_mode_32 0
		.amdhsa_float_round_mode_16_64 0
		.amdhsa_float_denorm_mode_32 3
		.amdhsa_float_denorm_mode_16_64 3
		.amdhsa_fp16_overflow 0
		.amdhsa_workgroup_processor_mode 1
		.amdhsa_memory_ordered 1
		.amdhsa_forward_progress 1
		.amdhsa_inst_pref_size 0
		.amdhsa_round_robin_scheduling 0
		.amdhsa_exception_fp_ieee_invalid_op 0
		.amdhsa_exception_fp_denorm_src 0
		.amdhsa_exception_fp_ieee_div_zero 0
		.amdhsa_exception_fp_ieee_overflow 0
		.amdhsa_exception_fp_ieee_underflow 0
		.amdhsa_exception_fp_ieee_inexact 0
		.amdhsa_exception_int_div_zero 0
	.end_amdhsa_kernel
	.section	.text._ZN7rocprim17ROCPRIM_400000_NS6detail17trampoline_kernelINS0_14default_configENS1_25partition_config_selectorILNS1_17partition_subalgoE5EjNS0_10empty_typeEbEEZZNS1_14partition_implILS5_5ELb0ES3_mN6thrust23THRUST_200600_302600_NS6detail15normal_iteratorINSA_10device_ptrIjEEEEPS6_NSA_18transform_iteratorINSB_9not_fun_tI7is_trueIjEEENSC_INSD_IbEEEENSA_11use_defaultESO_EENS0_5tupleIJNSA_16discard_iteratorISO_EES6_EEENSQ_IJSG_SG_EEES6_PlJS6_EEE10hipError_tPvRmT3_T4_T5_T6_T7_T9_mT8_P12ihipStream_tbDpT10_ENKUlT_T0_E_clISt17integral_constantIbLb0EES1E_IbLb1EEEEDaS1A_S1B_EUlS1A_E_NS1_11comp_targetILNS1_3genE4ELNS1_11target_archE910ELNS1_3gpuE8ELNS1_3repE0EEENS1_30default_config_static_selectorELNS0_4arch9wavefront6targetE0EEEvT1_,"axG",@progbits,_ZN7rocprim17ROCPRIM_400000_NS6detail17trampoline_kernelINS0_14default_configENS1_25partition_config_selectorILNS1_17partition_subalgoE5EjNS0_10empty_typeEbEEZZNS1_14partition_implILS5_5ELb0ES3_mN6thrust23THRUST_200600_302600_NS6detail15normal_iteratorINSA_10device_ptrIjEEEEPS6_NSA_18transform_iteratorINSB_9not_fun_tI7is_trueIjEEENSC_INSD_IbEEEENSA_11use_defaultESO_EENS0_5tupleIJNSA_16discard_iteratorISO_EES6_EEENSQ_IJSG_SG_EEES6_PlJS6_EEE10hipError_tPvRmT3_T4_T5_T6_T7_T9_mT8_P12ihipStream_tbDpT10_ENKUlT_T0_E_clISt17integral_constantIbLb0EES1E_IbLb1EEEEDaS1A_S1B_EUlS1A_E_NS1_11comp_targetILNS1_3genE4ELNS1_11target_archE910ELNS1_3gpuE8ELNS1_3repE0EEENS1_30default_config_static_selectorELNS0_4arch9wavefront6targetE0EEEvT1_,comdat
.Lfunc_end2711:
	.size	_ZN7rocprim17ROCPRIM_400000_NS6detail17trampoline_kernelINS0_14default_configENS1_25partition_config_selectorILNS1_17partition_subalgoE5EjNS0_10empty_typeEbEEZZNS1_14partition_implILS5_5ELb0ES3_mN6thrust23THRUST_200600_302600_NS6detail15normal_iteratorINSA_10device_ptrIjEEEEPS6_NSA_18transform_iteratorINSB_9not_fun_tI7is_trueIjEEENSC_INSD_IbEEEENSA_11use_defaultESO_EENS0_5tupleIJNSA_16discard_iteratorISO_EES6_EEENSQ_IJSG_SG_EEES6_PlJS6_EEE10hipError_tPvRmT3_T4_T5_T6_T7_T9_mT8_P12ihipStream_tbDpT10_ENKUlT_T0_E_clISt17integral_constantIbLb0EES1E_IbLb1EEEEDaS1A_S1B_EUlS1A_E_NS1_11comp_targetILNS1_3genE4ELNS1_11target_archE910ELNS1_3gpuE8ELNS1_3repE0EEENS1_30default_config_static_selectorELNS0_4arch9wavefront6targetE0EEEvT1_, .Lfunc_end2711-_ZN7rocprim17ROCPRIM_400000_NS6detail17trampoline_kernelINS0_14default_configENS1_25partition_config_selectorILNS1_17partition_subalgoE5EjNS0_10empty_typeEbEEZZNS1_14partition_implILS5_5ELb0ES3_mN6thrust23THRUST_200600_302600_NS6detail15normal_iteratorINSA_10device_ptrIjEEEEPS6_NSA_18transform_iteratorINSB_9not_fun_tI7is_trueIjEEENSC_INSD_IbEEEENSA_11use_defaultESO_EENS0_5tupleIJNSA_16discard_iteratorISO_EES6_EEENSQ_IJSG_SG_EEES6_PlJS6_EEE10hipError_tPvRmT3_T4_T5_T6_T7_T9_mT8_P12ihipStream_tbDpT10_ENKUlT_T0_E_clISt17integral_constantIbLb0EES1E_IbLb1EEEEDaS1A_S1B_EUlS1A_E_NS1_11comp_targetILNS1_3genE4ELNS1_11target_archE910ELNS1_3gpuE8ELNS1_3repE0EEENS1_30default_config_static_selectorELNS0_4arch9wavefront6targetE0EEEvT1_
                                        ; -- End function
	.set _ZN7rocprim17ROCPRIM_400000_NS6detail17trampoline_kernelINS0_14default_configENS1_25partition_config_selectorILNS1_17partition_subalgoE5EjNS0_10empty_typeEbEEZZNS1_14partition_implILS5_5ELb0ES3_mN6thrust23THRUST_200600_302600_NS6detail15normal_iteratorINSA_10device_ptrIjEEEEPS6_NSA_18transform_iteratorINSB_9not_fun_tI7is_trueIjEEENSC_INSD_IbEEEENSA_11use_defaultESO_EENS0_5tupleIJNSA_16discard_iteratorISO_EES6_EEENSQ_IJSG_SG_EEES6_PlJS6_EEE10hipError_tPvRmT3_T4_T5_T6_T7_T9_mT8_P12ihipStream_tbDpT10_ENKUlT_T0_E_clISt17integral_constantIbLb0EES1E_IbLb1EEEEDaS1A_S1B_EUlS1A_E_NS1_11comp_targetILNS1_3genE4ELNS1_11target_archE910ELNS1_3gpuE8ELNS1_3repE0EEENS1_30default_config_static_selectorELNS0_4arch9wavefront6targetE0EEEvT1_.num_vgpr, 0
	.set _ZN7rocprim17ROCPRIM_400000_NS6detail17trampoline_kernelINS0_14default_configENS1_25partition_config_selectorILNS1_17partition_subalgoE5EjNS0_10empty_typeEbEEZZNS1_14partition_implILS5_5ELb0ES3_mN6thrust23THRUST_200600_302600_NS6detail15normal_iteratorINSA_10device_ptrIjEEEEPS6_NSA_18transform_iteratorINSB_9not_fun_tI7is_trueIjEEENSC_INSD_IbEEEENSA_11use_defaultESO_EENS0_5tupleIJNSA_16discard_iteratorISO_EES6_EEENSQ_IJSG_SG_EEES6_PlJS6_EEE10hipError_tPvRmT3_T4_T5_T6_T7_T9_mT8_P12ihipStream_tbDpT10_ENKUlT_T0_E_clISt17integral_constantIbLb0EES1E_IbLb1EEEEDaS1A_S1B_EUlS1A_E_NS1_11comp_targetILNS1_3genE4ELNS1_11target_archE910ELNS1_3gpuE8ELNS1_3repE0EEENS1_30default_config_static_selectorELNS0_4arch9wavefront6targetE0EEEvT1_.num_agpr, 0
	.set _ZN7rocprim17ROCPRIM_400000_NS6detail17trampoline_kernelINS0_14default_configENS1_25partition_config_selectorILNS1_17partition_subalgoE5EjNS0_10empty_typeEbEEZZNS1_14partition_implILS5_5ELb0ES3_mN6thrust23THRUST_200600_302600_NS6detail15normal_iteratorINSA_10device_ptrIjEEEEPS6_NSA_18transform_iteratorINSB_9not_fun_tI7is_trueIjEEENSC_INSD_IbEEEENSA_11use_defaultESO_EENS0_5tupleIJNSA_16discard_iteratorISO_EES6_EEENSQ_IJSG_SG_EEES6_PlJS6_EEE10hipError_tPvRmT3_T4_T5_T6_T7_T9_mT8_P12ihipStream_tbDpT10_ENKUlT_T0_E_clISt17integral_constantIbLb0EES1E_IbLb1EEEEDaS1A_S1B_EUlS1A_E_NS1_11comp_targetILNS1_3genE4ELNS1_11target_archE910ELNS1_3gpuE8ELNS1_3repE0EEENS1_30default_config_static_selectorELNS0_4arch9wavefront6targetE0EEEvT1_.numbered_sgpr, 0
	.set _ZN7rocprim17ROCPRIM_400000_NS6detail17trampoline_kernelINS0_14default_configENS1_25partition_config_selectorILNS1_17partition_subalgoE5EjNS0_10empty_typeEbEEZZNS1_14partition_implILS5_5ELb0ES3_mN6thrust23THRUST_200600_302600_NS6detail15normal_iteratorINSA_10device_ptrIjEEEEPS6_NSA_18transform_iteratorINSB_9not_fun_tI7is_trueIjEEENSC_INSD_IbEEEENSA_11use_defaultESO_EENS0_5tupleIJNSA_16discard_iteratorISO_EES6_EEENSQ_IJSG_SG_EEES6_PlJS6_EEE10hipError_tPvRmT3_T4_T5_T6_T7_T9_mT8_P12ihipStream_tbDpT10_ENKUlT_T0_E_clISt17integral_constantIbLb0EES1E_IbLb1EEEEDaS1A_S1B_EUlS1A_E_NS1_11comp_targetILNS1_3genE4ELNS1_11target_archE910ELNS1_3gpuE8ELNS1_3repE0EEENS1_30default_config_static_selectorELNS0_4arch9wavefront6targetE0EEEvT1_.num_named_barrier, 0
	.set _ZN7rocprim17ROCPRIM_400000_NS6detail17trampoline_kernelINS0_14default_configENS1_25partition_config_selectorILNS1_17partition_subalgoE5EjNS0_10empty_typeEbEEZZNS1_14partition_implILS5_5ELb0ES3_mN6thrust23THRUST_200600_302600_NS6detail15normal_iteratorINSA_10device_ptrIjEEEEPS6_NSA_18transform_iteratorINSB_9not_fun_tI7is_trueIjEEENSC_INSD_IbEEEENSA_11use_defaultESO_EENS0_5tupleIJNSA_16discard_iteratorISO_EES6_EEENSQ_IJSG_SG_EEES6_PlJS6_EEE10hipError_tPvRmT3_T4_T5_T6_T7_T9_mT8_P12ihipStream_tbDpT10_ENKUlT_T0_E_clISt17integral_constantIbLb0EES1E_IbLb1EEEEDaS1A_S1B_EUlS1A_E_NS1_11comp_targetILNS1_3genE4ELNS1_11target_archE910ELNS1_3gpuE8ELNS1_3repE0EEENS1_30default_config_static_selectorELNS0_4arch9wavefront6targetE0EEEvT1_.private_seg_size, 0
	.set _ZN7rocprim17ROCPRIM_400000_NS6detail17trampoline_kernelINS0_14default_configENS1_25partition_config_selectorILNS1_17partition_subalgoE5EjNS0_10empty_typeEbEEZZNS1_14partition_implILS5_5ELb0ES3_mN6thrust23THRUST_200600_302600_NS6detail15normal_iteratorINSA_10device_ptrIjEEEEPS6_NSA_18transform_iteratorINSB_9not_fun_tI7is_trueIjEEENSC_INSD_IbEEEENSA_11use_defaultESO_EENS0_5tupleIJNSA_16discard_iteratorISO_EES6_EEENSQ_IJSG_SG_EEES6_PlJS6_EEE10hipError_tPvRmT3_T4_T5_T6_T7_T9_mT8_P12ihipStream_tbDpT10_ENKUlT_T0_E_clISt17integral_constantIbLb0EES1E_IbLb1EEEEDaS1A_S1B_EUlS1A_E_NS1_11comp_targetILNS1_3genE4ELNS1_11target_archE910ELNS1_3gpuE8ELNS1_3repE0EEENS1_30default_config_static_selectorELNS0_4arch9wavefront6targetE0EEEvT1_.uses_vcc, 0
	.set _ZN7rocprim17ROCPRIM_400000_NS6detail17trampoline_kernelINS0_14default_configENS1_25partition_config_selectorILNS1_17partition_subalgoE5EjNS0_10empty_typeEbEEZZNS1_14partition_implILS5_5ELb0ES3_mN6thrust23THRUST_200600_302600_NS6detail15normal_iteratorINSA_10device_ptrIjEEEEPS6_NSA_18transform_iteratorINSB_9not_fun_tI7is_trueIjEEENSC_INSD_IbEEEENSA_11use_defaultESO_EENS0_5tupleIJNSA_16discard_iteratorISO_EES6_EEENSQ_IJSG_SG_EEES6_PlJS6_EEE10hipError_tPvRmT3_T4_T5_T6_T7_T9_mT8_P12ihipStream_tbDpT10_ENKUlT_T0_E_clISt17integral_constantIbLb0EES1E_IbLb1EEEEDaS1A_S1B_EUlS1A_E_NS1_11comp_targetILNS1_3genE4ELNS1_11target_archE910ELNS1_3gpuE8ELNS1_3repE0EEENS1_30default_config_static_selectorELNS0_4arch9wavefront6targetE0EEEvT1_.uses_flat_scratch, 0
	.set _ZN7rocprim17ROCPRIM_400000_NS6detail17trampoline_kernelINS0_14default_configENS1_25partition_config_selectorILNS1_17partition_subalgoE5EjNS0_10empty_typeEbEEZZNS1_14partition_implILS5_5ELb0ES3_mN6thrust23THRUST_200600_302600_NS6detail15normal_iteratorINSA_10device_ptrIjEEEEPS6_NSA_18transform_iteratorINSB_9not_fun_tI7is_trueIjEEENSC_INSD_IbEEEENSA_11use_defaultESO_EENS0_5tupleIJNSA_16discard_iteratorISO_EES6_EEENSQ_IJSG_SG_EEES6_PlJS6_EEE10hipError_tPvRmT3_T4_T5_T6_T7_T9_mT8_P12ihipStream_tbDpT10_ENKUlT_T0_E_clISt17integral_constantIbLb0EES1E_IbLb1EEEEDaS1A_S1B_EUlS1A_E_NS1_11comp_targetILNS1_3genE4ELNS1_11target_archE910ELNS1_3gpuE8ELNS1_3repE0EEENS1_30default_config_static_selectorELNS0_4arch9wavefront6targetE0EEEvT1_.has_dyn_sized_stack, 0
	.set _ZN7rocprim17ROCPRIM_400000_NS6detail17trampoline_kernelINS0_14default_configENS1_25partition_config_selectorILNS1_17partition_subalgoE5EjNS0_10empty_typeEbEEZZNS1_14partition_implILS5_5ELb0ES3_mN6thrust23THRUST_200600_302600_NS6detail15normal_iteratorINSA_10device_ptrIjEEEEPS6_NSA_18transform_iteratorINSB_9not_fun_tI7is_trueIjEEENSC_INSD_IbEEEENSA_11use_defaultESO_EENS0_5tupleIJNSA_16discard_iteratorISO_EES6_EEENSQ_IJSG_SG_EEES6_PlJS6_EEE10hipError_tPvRmT3_T4_T5_T6_T7_T9_mT8_P12ihipStream_tbDpT10_ENKUlT_T0_E_clISt17integral_constantIbLb0EES1E_IbLb1EEEEDaS1A_S1B_EUlS1A_E_NS1_11comp_targetILNS1_3genE4ELNS1_11target_archE910ELNS1_3gpuE8ELNS1_3repE0EEENS1_30default_config_static_selectorELNS0_4arch9wavefront6targetE0EEEvT1_.has_recursion, 0
	.set _ZN7rocprim17ROCPRIM_400000_NS6detail17trampoline_kernelINS0_14default_configENS1_25partition_config_selectorILNS1_17partition_subalgoE5EjNS0_10empty_typeEbEEZZNS1_14partition_implILS5_5ELb0ES3_mN6thrust23THRUST_200600_302600_NS6detail15normal_iteratorINSA_10device_ptrIjEEEEPS6_NSA_18transform_iteratorINSB_9not_fun_tI7is_trueIjEEENSC_INSD_IbEEEENSA_11use_defaultESO_EENS0_5tupleIJNSA_16discard_iteratorISO_EES6_EEENSQ_IJSG_SG_EEES6_PlJS6_EEE10hipError_tPvRmT3_T4_T5_T6_T7_T9_mT8_P12ihipStream_tbDpT10_ENKUlT_T0_E_clISt17integral_constantIbLb0EES1E_IbLb1EEEEDaS1A_S1B_EUlS1A_E_NS1_11comp_targetILNS1_3genE4ELNS1_11target_archE910ELNS1_3gpuE8ELNS1_3repE0EEENS1_30default_config_static_selectorELNS0_4arch9wavefront6targetE0EEEvT1_.has_indirect_call, 0
	.section	.AMDGPU.csdata,"",@progbits
; Kernel info:
; codeLenInByte = 0
; TotalNumSgprs: 0
; NumVgprs: 0
; ScratchSize: 0
; MemoryBound: 0
; FloatMode: 240
; IeeeMode: 1
; LDSByteSize: 0 bytes/workgroup (compile time only)
; SGPRBlocks: 0
; VGPRBlocks: 0
; NumSGPRsForWavesPerEU: 1
; NumVGPRsForWavesPerEU: 1
; Occupancy: 16
; WaveLimiterHint : 0
; COMPUTE_PGM_RSRC2:SCRATCH_EN: 0
; COMPUTE_PGM_RSRC2:USER_SGPR: 2
; COMPUTE_PGM_RSRC2:TRAP_HANDLER: 0
; COMPUTE_PGM_RSRC2:TGID_X_EN: 1
; COMPUTE_PGM_RSRC2:TGID_Y_EN: 0
; COMPUTE_PGM_RSRC2:TGID_Z_EN: 0
; COMPUTE_PGM_RSRC2:TIDIG_COMP_CNT: 0
	.section	.text._ZN7rocprim17ROCPRIM_400000_NS6detail17trampoline_kernelINS0_14default_configENS1_25partition_config_selectorILNS1_17partition_subalgoE5EjNS0_10empty_typeEbEEZZNS1_14partition_implILS5_5ELb0ES3_mN6thrust23THRUST_200600_302600_NS6detail15normal_iteratorINSA_10device_ptrIjEEEEPS6_NSA_18transform_iteratorINSB_9not_fun_tI7is_trueIjEEENSC_INSD_IbEEEENSA_11use_defaultESO_EENS0_5tupleIJNSA_16discard_iteratorISO_EES6_EEENSQ_IJSG_SG_EEES6_PlJS6_EEE10hipError_tPvRmT3_T4_T5_T6_T7_T9_mT8_P12ihipStream_tbDpT10_ENKUlT_T0_E_clISt17integral_constantIbLb0EES1E_IbLb1EEEEDaS1A_S1B_EUlS1A_E_NS1_11comp_targetILNS1_3genE3ELNS1_11target_archE908ELNS1_3gpuE7ELNS1_3repE0EEENS1_30default_config_static_selectorELNS0_4arch9wavefront6targetE0EEEvT1_,"axG",@progbits,_ZN7rocprim17ROCPRIM_400000_NS6detail17trampoline_kernelINS0_14default_configENS1_25partition_config_selectorILNS1_17partition_subalgoE5EjNS0_10empty_typeEbEEZZNS1_14partition_implILS5_5ELb0ES3_mN6thrust23THRUST_200600_302600_NS6detail15normal_iteratorINSA_10device_ptrIjEEEEPS6_NSA_18transform_iteratorINSB_9not_fun_tI7is_trueIjEEENSC_INSD_IbEEEENSA_11use_defaultESO_EENS0_5tupleIJNSA_16discard_iteratorISO_EES6_EEENSQ_IJSG_SG_EEES6_PlJS6_EEE10hipError_tPvRmT3_T4_T5_T6_T7_T9_mT8_P12ihipStream_tbDpT10_ENKUlT_T0_E_clISt17integral_constantIbLb0EES1E_IbLb1EEEEDaS1A_S1B_EUlS1A_E_NS1_11comp_targetILNS1_3genE3ELNS1_11target_archE908ELNS1_3gpuE7ELNS1_3repE0EEENS1_30default_config_static_selectorELNS0_4arch9wavefront6targetE0EEEvT1_,comdat
	.protected	_ZN7rocprim17ROCPRIM_400000_NS6detail17trampoline_kernelINS0_14default_configENS1_25partition_config_selectorILNS1_17partition_subalgoE5EjNS0_10empty_typeEbEEZZNS1_14partition_implILS5_5ELb0ES3_mN6thrust23THRUST_200600_302600_NS6detail15normal_iteratorINSA_10device_ptrIjEEEEPS6_NSA_18transform_iteratorINSB_9not_fun_tI7is_trueIjEEENSC_INSD_IbEEEENSA_11use_defaultESO_EENS0_5tupleIJNSA_16discard_iteratorISO_EES6_EEENSQ_IJSG_SG_EEES6_PlJS6_EEE10hipError_tPvRmT3_T4_T5_T6_T7_T9_mT8_P12ihipStream_tbDpT10_ENKUlT_T0_E_clISt17integral_constantIbLb0EES1E_IbLb1EEEEDaS1A_S1B_EUlS1A_E_NS1_11comp_targetILNS1_3genE3ELNS1_11target_archE908ELNS1_3gpuE7ELNS1_3repE0EEENS1_30default_config_static_selectorELNS0_4arch9wavefront6targetE0EEEvT1_ ; -- Begin function _ZN7rocprim17ROCPRIM_400000_NS6detail17trampoline_kernelINS0_14default_configENS1_25partition_config_selectorILNS1_17partition_subalgoE5EjNS0_10empty_typeEbEEZZNS1_14partition_implILS5_5ELb0ES3_mN6thrust23THRUST_200600_302600_NS6detail15normal_iteratorINSA_10device_ptrIjEEEEPS6_NSA_18transform_iteratorINSB_9not_fun_tI7is_trueIjEEENSC_INSD_IbEEEENSA_11use_defaultESO_EENS0_5tupleIJNSA_16discard_iteratorISO_EES6_EEENSQ_IJSG_SG_EEES6_PlJS6_EEE10hipError_tPvRmT3_T4_T5_T6_T7_T9_mT8_P12ihipStream_tbDpT10_ENKUlT_T0_E_clISt17integral_constantIbLb0EES1E_IbLb1EEEEDaS1A_S1B_EUlS1A_E_NS1_11comp_targetILNS1_3genE3ELNS1_11target_archE908ELNS1_3gpuE7ELNS1_3repE0EEENS1_30default_config_static_selectorELNS0_4arch9wavefront6targetE0EEEvT1_
	.globl	_ZN7rocprim17ROCPRIM_400000_NS6detail17trampoline_kernelINS0_14default_configENS1_25partition_config_selectorILNS1_17partition_subalgoE5EjNS0_10empty_typeEbEEZZNS1_14partition_implILS5_5ELb0ES3_mN6thrust23THRUST_200600_302600_NS6detail15normal_iteratorINSA_10device_ptrIjEEEEPS6_NSA_18transform_iteratorINSB_9not_fun_tI7is_trueIjEEENSC_INSD_IbEEEENSA_11use_defaultESO_EENS0_5tupleIJNSA_16discard_iteratorISO_EES6_EEENSQ_IJSG_SG_EEES6_PlJS6_EEE10hipError_tPvRmT3_T4_T5_T6_T7_T9_mT8_P12ihipStream_tbDpT10_ENKUlT_T0_E_clISt17integral_constantIbLb0EES1E_IbLb1EEEEDaS1A_S1B_EUlS1A_E_NS1_11comp_targetILNS1_3genE3ELNS1_11target_archE908ELNS1_3gpuE7ELNS1_3repE0EEENS1_30default_config_static_selectorELNS0_4arch9wavefront6targetE0EEEvT1_
	.p2align	8
	.type	_ZN7rocprim17ROCPRIM_400000_NS6detail17trampoline_kernelINS0_14default_configENS1_25partition_config_selectorILNS1_17partition_subalgoE5EjNS0_10empty_typeEbEEZZNS1_14partition_implILS5_5ELb0ES3_mN6thrust23THRUST_200600_302600_NS6detail15normal_iteratorINSA_10device_ptrIjEEEEPS6_NSA_18transform_iteratorINSB_9not_fun_tI7is_trueIjEEENSC_INSD_IbEEEENSA_11use_defaultESO_EENS0_5tupleIJNSA_16discard_iteratorISO_EES6_EEENSQ_IJSG_SG_EEES6_PlJS6_EEE10hipError_tPvRmT3_T4_T5_T6_T7_T9_mT8_P12ihipStream_tbDpT10_ENKUlT_T0_E_clISt17integral_constantIbLb0EES1E_IbLb1EEEEDaS1A_S1B_EUlS1A_E_NS1_11comp_targetILNS1_3genE3ELNS1_11target_archE908ELNS1_3gpuE7ELNS1_3repE0EEENS1_30default_config_static_selectorELNS0_4arch9wavefront6targetE0EEEvT1_,@function
_ZN7rocprim17ROCPRIM_400000_NS6detail17trampoline_kernelINS0_14default_configENS1_25partition_config_selectorILNS1_17partition_subalgoE5EjNS0_10empty_typeEbEEZZNS1_14partition_implILS5_5ELb0ES3_mN6thrust23THRUST_200600_302600_NS6detail15normal_iteratorINSA_10device_ptrIjEEEEPS6_NSA_18transform_iteratorINSB_9not_fun_tI7is_trueIjEEENSC_INSD_IbEEEENSA_11use_defaultESO_EENS0_5tupleIJNSA_16discard_iteratorISO_EES6_EEENSQ_IJSG_SG_EEES6_PlJS6_EEE10hipError_tPvRmT3_T4_T5_T6_T7_T9_mT8_P12ihipStream_tbDpT10_ENKUlT_T0_E_clISt17integral_constantIbLb0EES1E_IbLb1EEEEDaS1A_S1B_EUlS1A_E_NS1_11comp_targetILNS1_3genE3ELNS1_11target_archE908ELNS1_3gpuE7ELNS1_3repE0EEENS1_30default_config_static_selectorELNS0_4arch9wavefront6targetE0EEEvT1_: ; @_ZN7rocprim17ROCPRIM_400000_NS6detail17trampoline_kernelINS0_14default_configENS1_25partition_config_selectorILNS1_17partition_subalgoE5EjNS0_10empty_typeEbEEZZNS1_14partition_implILS5_5ELb0ES3_mN6thrust23THRUST_200600_302600_NS6detail15normal_iteratorINSA_10device_ptrIjEEEEPS6_NSA_18transform_iteratorINSB_9not_fun_tI7is_trueIjEEENSC_INSD_IbEEEENSA_11use_defaultESO_EENS0_5tupleIJNSA_16discard_iteratorISO_EES6_EEENSQ_IJSG_SG_EEES6_PlJS6_EEE10hipError_tPvRmT3_T4_T5_T6_T7_T9_mT8_P12ihipStream_tbDpT10_ENKUlT_T0_E_clISt17integral_constantIbLb0EES1E_IbLb1EEEEDaS1A_S1B_EUlS1A_E_NS1_11comp_targetILNS1_3genE3ELNS1_11target_archE908ELNS1_3gpuE7ELNS1_3repE0EEENS1_30default_config_static_selectorELNS0_4arch9wavefront6targetE0EEEvT1_
; %bb.0:
	.section	.rodata,"a",@progbits
	.p2align	6, 0x0
	.amdhsa_kernel _ZN7rocprim17ROCPRIM_400000_NS6detail17trampoline_kernelINS0_14default_configENS1_25partition_config_selectorILNS1_17partition_subalgoE5EjNS0_10empty_typeEbEEZZNS1_14partition_implILS5_5ELb0ES3_mN6thrust23THRUST_200600_302600_NS6detail15normal_iteratorINSA_10device_ptrIjEEEEPS6_NSA_18transform_iteratorINSB_9not_fun_tI7is_trueIjEEENSC_INSD_IbEEEENSA_11use_defaultESO_EENS0_5tupleIJNSA_16discard_iteratorISO_EES6_EEENSQ_IJSG_SG_EEES6_PlJS6_EEE10hipError_tPvRmT3_T4_T5_T6_T7_T9_mT8_P12ihipStream_tbDpT10_ENKUlT_T0_E_clISt17integral_constantIbLb0EES1E_IbLb1EEEEDaS1A_S1B_EUlS1A_E_NS1_11comp_targetILNS1_3genE3ELNS1_11target_archE908ELNS1_3gpuE7ELNS1_3repE0EEENS1_30default_config_static_selectorELNS0_4arch9wavefront6targetE0EEEvT1_
		.amdhsa_group_segment_fixed_size 0
		.amdhsa_private_segment_fixed_size 0
		.amdhsa_kernarg_size 144
		.amdhsa_user_sgpr_count 2
		.amdhsa_user_sgpr_dispatch_ptr 0
		.amdhsa_user_sgpr_queue_ptr 0
		.amdhsa_user_sgpr_kernarg_segment_ptr 1
		.amdhsa_user_sgpr_dispatch_id 0
		.amdhsa_user_sgpr_private_segment_size 0
		.amdhsa_wavefront_size32 1
		.amdhsa_uses_dynamic_stack 0
		.amdhsa_enable_private_segment 0
		.amdhsa_system_sgpr_workgroup_id_x 1
		.amdhsa_system_sgpr_workgroup_id_y 0
		.amdhsa_system_sgpr_workgroup_id_z 0
		.amdhsa_system_sgpr_workgroup_info 0
		.amdhsa_system_vgpr_workitem_id 0
		.amdhsa_next_free_vgpr 1
		.amdhsa_next_free_sgpr 1
		.amdhsa_reserve_vcc 0
		.amdhsa_float_round_mode_32 0
		.amdhsa_float_round_mode_16_64 0
		.amdhsa_float_denorm_mode_32 3
		.amdhsa_float_denorm_mode_16_64 3
		.amdhsa_fp16_overflow 0
		.amdhsa_workgroup_processor_mode 1
		.amdhsa_memory_ordered 1
		.amdhsa_forward_progress 1
		.amdhsa_inst_pref_size 0
		.amdhsa_round_robin_scheduling 0
		.amdhsa_exception_fp_ieee_invalid_op 0
		.amdhsa_exception_fp_denorm_src 0
		.amdhsa_exception_fp_ieee_div_zero 0
		.amdhsa_exception_fp_ieee_overflow 0
		.amdhsa_exception_fp_ieee_underflow 0
		.amdhsa_exception_fp_ieee_inexact 0
		.amdhsa_exception_int_div_zero 0
	.end_amdhsa_kernel
	.section	.text._ZN7rocprim17ROCPRIM_400000_NS6detail17trampoline_kernelINS0_14default_configENS1_25partition_config_selectorILNS1_17partition_subalgoE5EjNS0_10empty_typeEbEEZZNS1_14partition_implILS5_5ELb0ES3_mN6thrust23THRUST_200600_302600_NS6detail15normal_iteratorINSA_10device_ptrIjEEEEPS6_NSA_18transform_iteratorINSB_9not_fun_tI7is_trueIjEEENSC_INSD_IbEEEENSA_11use_defaultESO_EENS0_5tupleIJNSA_16discard_iteratorISO_EES6_EEENSQ_IJSG_SG_EEES6_PlJS6_EEE10hipError_tPvRmT3_T4_T5_T6_T7_T9_mT8_P12ihipStream_tbDpT10_ENKUlT_T0_E_clISt17integral_constantIbLb0EES1E_IbLb1EEEEDaS1A_S1B_EUlS1A_E_NS1_11comp_targetILNS1_3genE3ELNS1_11target_archE908ELNS1_3gpuE7ELNS1_3repE0EEENS1_30default_config_static_selectorELNS0_4arch9wavefront6targetE0EEEvT1_,"axG",@progbits,_ZN7rocprim17ROCPRIM_400000_NS6detail17trampoline_kernelINS0_14default_configENS1_25partition_config_selectorILNS1_17partition_subalgoE5EjNS0_10empty_typeEbEEZZNS1_14partition_implILS5_5ELb0ES3_mN6thrust23THRUST_200600_302600_NS6detail15normal_iteratorINSA_10device_ptrIjEEEEPS6_NSA_18transform_iteratorINSB_9not_fun_tI7is_trueIjEEENSC_INSD_IbEEEENSA_11use_defaultESO_EENS0_5tupleIJNSA_16discard_iteratorISO_EES6_EEENSQ_IJSG_SG_EEES6_PlJS6_EEE10hipError_tPvRmT3_T4_T5_T6_T7_T9_mT8_P12ihipStream_tbDpT10_ENKUlT_T0_E_clISt17integral_constantIbLb0EES1E_IbLb1EEEEDaS1A_S1B_EUlS1A_E_NS1_11comp_targetILNS1_3genE3ELNS1_11target_archE908ELNS1_3gpuE7ELNS1_3repE0EEENS1_30default_config_static_selectorELNS0_4arch9wavefront6targetE0EEEvT1_,comdat
.Lfunc_end2712:
	.size	_ZN7rocprim17ROCPRIM_400000_NS6detail17trampoline_kernelINS0_14default_configENS1_25partition_config_selectorILNS1_17partition_subalgoE5EjNS0_10empty_typeEbEEZZNS1_14partition_implILS5_5ELb0ES3_mN6thrust23THRUST_200600_302600_NS6detail15normal_iteratorINSA_10device_ptrIjEEEEPS6_NSA_18transform_iteratorINSB_9not_fun_tI7is_trueIjEEENSC_INSD_IbEEEENSA_11use_defaultESO_EENS0_5tupleIJNSA_16discard_iteratorISO_EES6_EEENSQ_IJSG_SG_EEES6_PlJS6_EEE10hipError_tPvRmT3_T4_T5_T6_T7_T9_mT8_P12ihipStream_tbDpT10_ENKUlT_T0_E_clISt17integral_constantIbLb0EES1E_IbLb1EEEEDaS1A_S1B_EUlS1A_E_NS1_11comp_targetILNS1_3genE3ELNS1_11target_archE908ELNS1_3gpuE7ELNS1_3repE0EEENS1_30default_config_static_selectorELNS0_4arch9wavefront6targetE0EEEvT1_, .Lfunc_end2712-_ZN7rocprim17ROCPRIM_400000_NS6detail17trampoline_kernelINS0_14default_configENS1_25partition_config_selectorILNS1_17partition_subalgoE5EjNS0_10empty_typeEbEEZZNS1_14partition_implILS5_5ELb0ES3_mN6thrust23THRUST_200600_302600_NS6detail15normal_iteratorINSA_10device_ptrIjEEEEPS6_NSA_18transform_iteratorINSB_9not_fun_tI7is_trueIjEEENSC_INSD_IbEEEENSA_11use_defaultESO_EENS0_5tupleIJNSA_16discard_iteratorISO_EES6_EEENSQ_IJSG_SG_EEES6_PlJS6_EEE10hipError_tPvRmT3_T4_T5_T6_T7_T9_mT8_P12ihipStream_tbDpT10_ENKUlT_T0_E_clISt17integral_constantIbLb0EES1E_IbLb1EEEEDaS1A_S1B_EUlS1A_E_NS1_11comp_targetILNS1_3genE3ELNS1_11target_archE908ELNS1_3gpuE7ELNS1_3repE0EEENS1_30default_config_static_selectorELNS0_4arch9wavefront6targetE0EEEvT1_
                                        ; -- End function
	.set _ZN7rocprim17ROCPRIM_400000_NS6detail17trampoline_kernelINS0_14default_configENS1_25partition_config_selectorILNS1_17partition_subalgoE5EjNS0_10empty_typeEbEEZZNS1_14partition_implILS5_5ELb0ES3_mN6thrust23THRUST_200600_302600_NS6detail15normal_iteratorINSA_10device_ptrIjEEEEPS6_NSA_18transform_iteratorINSB_9not_fun_tI7is_trueIjEEENSC_INSD_IbEEEENSA_11use_defaultESO_EENS0_5tupleIJNSA_16discard_iteratorISO_EES6_EEENSQ_IJSG_SG_EEES6_PlJS6_EEE10hipError_tPvRmT3_T4_T5_T6_T7_T9_mT8_P12ihipStream_tbDpT10_ENKUlT_T0_E_clISt17integral_constantIbLb0EES1E_IbLb1EEEEDaS1A_S1B_EUlS1A_E_NS1_11comp_targetILNS1_3genE3ELNS1_11target_archE908ELNS1_3gpuE7ELNS1_3repE0EEENS1_30default_config_static_selectorELNS0_4arch9wavefront6targetE0EEEvT1_.num_vgpr, 0
	.set _ZN7rocprim17ROCPRIM_400000_NS6detail17trampoline_kernelINS0_14default_configENS1_25partition_config_selectorILNS1_17partition_subalgoE5EjNS0_10empty_typeEbEEZZNS1_14partition_implILS5_5ELb0ES3_mN6thrust23THRUST_200600_302600_NS6detail15normal_iteratorINSA_10device_ptrIjEEEEPS6_NSA_18transform_iteratorINSB_9not_fun_tI7is_trueIjEEENSC_INSD_IbEEEENSA_11use_defaultESO_EENS0_5tupleIJNSA_16discard_iteratorISO_EES6_EEENSQ_IJSG_SG_EEES6_PlJS6_EEE10hipError_tPvRmT3_T4_T5_T6_T7_T9_mT8_P12ihipStream_tbDpT10_ENKUlT_T0_E_clISt17integral_constantIbLb0EES1E_IbLb1EEEEDaS1A_S1B_EUlS1A_E_NS1_11comp_targetILNS1_3genE3ELNS1_11target_archE908ELNS1_3gpuE7ELNS1_3repE0EEENS1_30default_config_static_selectorELNS0_4arch9wavefront6targetE0EEEvT1_.num_agpr, 0
	.set _ZN7rocprim17ROCPRIM_400000_NS6detail17trampoline_kernelINS0_14default_configENS1_25partition_config_selectorILNS1_17partition_subalgoE5EjNS0_10empty_typeEbEEZZNS1_14partition_implILS5_5ELb0ES3_mN6thrust23THRUST_200600_302600_NS6detail15normal_iteratorINSA_10device_ptrIjEEEEPS6_NSA_18transform_iteratorINSB_9not_fun_tI7is_trueIjEEENSC_INSD_IbEEEENSA_11use_defaultESO_EENS0_5tupleIJNSA_16discard_iteratorISO_EES6_EEENSQ_IJSG_SG_EEES6_PlJS6_EEE10hipError_tPvRmT3_T4_T5_T6_T7_T9_mT8_P12ihipStream_tbDpT10_ENKUlT_T0_E_clISt17integral_constantIbLb0EES1E_IbLb1EEEEDaS1A_S1B_EUlS1A_E_NS1_11comp_targetILNS1_3genE3ELNS1_11target_archE908ELNS1_3gpuE7ELNS1_3repE0EEENS1_30default_config_static_selectorELNS0_4arch9wavefront6targetE0EEEvT1_.numbered_sgpr, 0
	.set _ZN7rocprim17ROCPRIM_400000_NS6detail17trampoline_kernelINS0_14default_configENS1_25partition_config_selectorILNS1_17partition_subalgoE5EjNS0_10empty_typeEbEEZZNS1_14partition_implILS5_5ELb0ES3_mN6thrust23THRUST_200600_302600_NS6detail15normal_iteratorINSA_10device_ptrIjEEEEPS6_NSA_18transform_iteratorINSB_9not_fun_tI7is_trueIjEEENSC_INSD_IbEEEENSA_11use_defaultESO_EENS0_5tupleIJNSA_16discard_iteratorISO_EES6_EEENSQ_IJSG_SG_EEES6_PlJS6_EEE10hipError_tPvRmT3_T4_T5_T6_T7_T9_mT8_P12ihipStream_tbDpT10_ENKUlT_T0_E_clISt17integral_constantIbLb0EES1E_IbLb1EEEEDaS1A_S1B_EUlS1A_E_NS1_11comp_targetILNS1_3genE3ELNS1_11target_archE908ELNS1_3gpuE7ELNS1_3repE0EEENS1_30default_config_static_selectorELNS0_4arch9wavefront6targetE0EEEvT1_.num_named_barrier, 0
	.set _ZN7rocprim17ROCPRIM_400000_NS6detail17trampoline_kernelINS0_14default_configENS1_25partition_config_selectorILNS1_17partition_subalgoE5EjNS0_10empty_typeEbEEZZNS1_14partition_implILS5_5ELb0ES3_mN6thrust23THRUST_200600_302600_NS6detail15normal_iteratorINSA_10device_ptrIjEEEEPS6_NSA_18transform_iteratorINSB_9not_fun_tI7is_trueIjEEENSC_INSD_IbEEEENSA_11use_defaultESO_EENS0_5tupleIJNSA_16discard_iteratorISO_EES6_EEENSQ_IJSG_SG_EEES6_PlJS6_EEE10hipError_tPvRmT3_T4_T5_T6_T7_T9_mT8_P12ihipStream_tbDpT10_ENKUlT_T0_E_clISt17integral_constantIbLb0EES1E_IbLb1EEEEDaS1A_S1B_EUlS1A_E_NS1_11comp_targetILNS1_3genE3ELNS1_11target_archE908ELNS1_3gpuE7ELNS1_3repE0EEENS1_30default_config_static_selectorELNS0_4arch9wavefront6targetE0EEEvT1_.private_seg_size, 0
	.set _ZN7rocprim17ROCPRIM_400000_NS6detail17trampoline_kernelINS0_14default_configENS1_25partition_config_selectorILNS1_17partition_subalgoE5EjNS0_10empty_typeEbEEZZNS1_14partition_implILS5_5ELb0ES3_mN6thrust23THRUST_200600_302600_NS6detail15normal_iteratorINSA_10device_ptrIjEEEEPS6_NSA_18transform_iteratorINSB_9not_fun_tI7is_trueIjEEENSC_INSD_IbEEEENSA_11use_defaultESO_EENS0_5tupleIJNSA_16discard_iteratorISO_EES6_EEENSQ_IJSG_SG_EEES6_PlJS6_EEE10hipError_tPvRmT3_T4_T5_T6_T7_T9_mT8_P12ihipStream_tbDpT10_ENKUlT_T0_E_clISt17integral_constantIbLb0EES1E_IbLb1EEEEDaS1A_S1B_EUlS1A_E_NS1_11comp_targetILNS1_3genE3ELNS1_11target_archE908ELNS1_3gpuE7ELNS1_3repE0EEENS1_30default_config_static_selectorELNS0_4arch9wavefront6targetE0EEEvT1_.uses_vcc, 0
	.set _ZN7rocprim17ROCPRIM_400000_NS6detail17trampoline_kernelINS0_14default_configENS1_25partition_config_selectorILNS1_17partition_subalgoE5EjNS0_10empty_typeEbEEZZNS1_14partition_implILS5_5ELb0ES3_mN6thrust23THRUST_200600_302600_NS6detail15normal_iteratorINSA_10device_ptrIjEEEEPS6_NSA_18transform_iteratorINSB_9not_fun_tI7is_trueIjEEENSC_INSD_IbEEEENSA_11use_defaultESO_EENS0_5tupleIJNSA_16discard_iteratorISO_EES6_EEENSQ_IJSG_SG_EEES6_PlJS6_EEE10hipError_tPvRmT3_T4_T5_T6_T7_T9_mT8_P12ihipStream_tbDpT10_ENKUlT_T0_E_clISt17integral_constantIbLb0EES1E_IbLb1EEEEDaS1A_S1B_EUlS1A_E_NS1_11comp_targetILNS1_3genE3ELNS1_11target_archE908ELNS1_3gpuE7ELNS1_3repE0EEENS1_30default_config_static_selectorELNS0_4arch9wavefront6targetE0EEEvT1_.uses_flat_scratch, 0
	.set _ZN7rocprim17ROCPRIM_400000_NS6detail17trampoline_kernelINS0_14default_configENS1_25partition_config_selectorILNS1_17partition_subalgoE5EjNS0_10empty_typeEbEEZZNS1_14partition_implILS5_5ELb0ES3_mN6thrust23THRUST_200600_302600_NS6detail15normal_iteratorINSA_10device_ptrIjEEEEPS6_NSA_18transform_iteratorINSB_9not_fun_tI7is_trueIjEEENSC_INSD_IbEEEENSA_11use_defaultESO_EENS0_5tupleIJNSA_16discard_iteratorISO_EES6_EEENSQ_IJSG_SG_EEES6_PlJS6_EEE10hipError_tPvRmT3_T4_T5_T6_T7_T9_mT8_P12ihipStream_tbDpT10_ENKUlT_T0_E_clISt17integral_constantIbLb0EES1E_IbLb1EEEEDaS1A_S1B_EUlS1A_E_NS1_11comp_targetILNS1_3genE3ELNS1_11target_archE908ELNS1_3gpuE7ELNS1_3repE0EEENS1_30default_config_static_selectorELNS0_4arch9wavefront6targetE0EEEvT1_.has_dyn_sized_stack, 0
	.set _ZN7rocprim17ROCPRIM_400000_NS6detail17trampoline_kernelINS0_14default_configENS1_25partition_config_selectorILNS1_17partition_subalgoE5EjNS0_10empty_typeEbEEZZNS1_14partition_implILS5_5ELb0ES3_mN6thrust23THRUST_200600_302600_NS6detail15normal_iteratorINSA_10device_ptrIjEEEEPS6_NSA_18transform_iteratorINSB_9not_fun_tI7is_trueIjEEENSC_INSD_IbEEEENSA_11use_defaultESO_EENS0_5tupleIJNSA_16discard_iteratorISO_EES6_EEENSQ_IJSG_SG_EEES6_PlJS6_EEE10hipError_tPvRmT3_T4_T5_T6_T7_T9_mT8_P12ihipStream_tbDpT10_ENKUlT_T0_E_clISt17integral_constantIbLb0EES1E_IbLb1EEEEDaS1A_S1B_EUlS1A_E_NS1_11comp_targetILNS1_3genE3ELNS1_11target_archE908ELNS1_3gpuE7ELNS1_3repE0EEENS1_30default_config_static_selectorELNS0_4arch9wavefront6targetE0EEEvT1_.has_recursion, 0
	.set _ZN7rocprim17ROCPRIM_400000_NS6detail17trampoline_kernelINS0_14default_configENS1_25partition_config_selectorILNS1_17partition_subalgoE5EjNS0_10empty_typeEbEEZZNS1_14partition_implILS5_5ELb0ES3_mN6thrust23THRUST_200600_302600_NS6detail15normal_iteratorINSA_10device_ptrIjEEEEPS6_NSA_18transform_iteratorINSB_9not_fun_tI7is_trueIjEEENSC_INSD_IbEEEENSA_11use_defaultESO_EENS0_5tupleIJNSA_16discard_iteratorISO_EES6_EEENSQ_IJSG_SG_EEES6_PlJS6_EEE10hipError_tPvRmT3_T4_T5_T6_T7_T9_mT8_P12ihipStream_tbDpT10_ENKUlT_T0_E_clISt17integral_constantIbLb0EES1E_IbLb1EEEEDaS1A_S1B_EUlS1A_E_NS1_11comp_targetILNS1_3genE3ELNS1_11target_archE908ELNS1_3gpuE7ELNS1_3repE0EEENS1_30default_config_static_selectorELNS0_4arch9wavefront6targetE0EEEvT1_.has_indirect_call, 0
	.section	.AMDGPU.csdata,"",@progbits
; Kernel info:
; codeLenInByte = 0
; TotalNumSgprs: 0
; NumVgprs: 0
; ScratchSize: 0
; MemoryBound: 0
; FloatMode: 240
; IeeeMode: 1
; LDSByteSize: 0 bytes/workgroup (compile time only)
; SGPRBlocks: 0
; VGPRBlocks: 0
; NumSGPRsForWavesPerEU: 1
; NumVGPRsForWavesPerEU: 1
; Occupancy: 16
; WaveLimiterHint : 0
; COMPUTE_PGM_RSRC2:SCRATCH_EN: 0
; COMPUTE_PGM_RSRC2:USER_SGPR: 2
; COMPUTE_PGM_RSRC2:TRAP_HANDLER: 0
; COMPUTE_PGM_RSRC2:TGID_X_EN: 1
; COMPUTE_PGM_RSRC2:TGID_Y_EN: 0
; COMPUTE_PGM_RSRC2:TGID_Z_EN: 0
; COMPUTE_PGM_RSRC2:TIDIG_COMP_CNT: 0
	.section	.text._ZN7rocprim17ROCPRIM_400000_NS6detail17trampoline_kernelINS0_14default_configENS1_25partition_config_selectorILNS1_17partition_subalgoE5EjNS0_10empty_typeEbEEZZNS1_14partition_implILS5_5ELb0ES3_mN6thrust23THRUST_200600_302600_NS6detail15normal_iteratorINSA_10device_ptrIjEEEEPS6_NSA_18transform_iteratorINSB_9not_fun_tI7is_trueIjEEENSC_INSD_IbEEEENSA_11use_defaultESO_EENS0_5tupleIJNSA_16discard_iteratorISO_EES6_EEENSQ_IJSG_SG_EEES6_PlJS6_EEE10hipError_tPvRmT3_T4_T5_T6_T7_T9_mT8_P12ihipStream_tbDpT10_ENKUlT_T0_E_clISt17integral_constantIbLb0EES1E_IbLb1EEEEDaS1A_S1B_EUlS1A_E_NS1_11comp_targetILNS1_3genE2ELNS1_11target_archE906ELNS1_3gpuE6ELNS1_3repE0EEENS1_30default_config_static_selectorELNS0_4arch9wavefront6targetE0EEEvT1_,"axG",@progbits,_ZN7rocprim17ROCPRIM_400000_NS6detail17trampoline_kernelINS0_14default_configENS1_25partition_config_selectorILNS1_17partition_subalgoE5EjNS0_10empty_typeEbEEZZNS1_14partition_implILS5_5ELb0ES3_mN6thrust23THRUST_200600_302600_NS6detail15normal_iteratorINSA_10device_ptrIjEEEEPS6_NSA_18transform_iteratorINSB_9not_fun_tI7is_trueIjEEENSC_INSD_IbEEEENSA_11use_defaultESO_EENS0_5tupleIJNSA_16discard_iteratorISO_EES6_EEENSQ_IJSG_SG_EEES6_PlJS6_EEE10hipError_tPvRmT3_T4_T5_T6_T7_T9_mT8_P12ihipStream_tbDpT10_ENKUlT_T0_E_clISt17integral_constantIbLb0EES1E_IbLb1EEEEDaS1A_S1B_EUlS1A_E_NS1_11comp_targetILNS1_3genE2ELNS1_11target_archE906ELNS1_3gpuE6ELNS1_3repE0EEENS1_30default_config_static_selectorELNS0_4arch9wavefront6targetE0EEEvT1_,comdat
	.protected	_ZN7rocprim17ROCPRIM_400000_NS6detail17trampoline_kernelINS0_14default_configENS1_25partition_config_selectorILNS1_17partition_subalgoE5EjNS0_10empty_typeEbEEZZNS1_14partition_implILS5_5ELb0ES3_mN6thrust23THRUST_200600_302600_NS6detail15normal_iteratorINSA_10device_ptrIjEEEEPS6_NSA_18transform_iteratorINSB_9not_fun_tI7is_trueIjEEENSC_INSD_IbEEEENSA_11use_defaultESO_EENS0_5tupleIJNSA_16discard_iteratorISO_EES6_EEENSQ_IJSG_SG_EEES6_PlJS6_EEE10hipError_tPvRmT3_T4_T5_T6_T7_T9_mT8_P12ihipStream_tbDpT10_ENKUlT_T0_E_clISt17integral_constantIbLb0EES1E_IbLb1EEEEDaS1A_S1B_EUlS1A_E_NS1_11comp_targetILNS1_3genE2ELNS1_11target_archE906ELNS1_3gpuE6ELNS1_3repE0EEENS1_30default_config_static_selectorELNS0_4arch9wavefront6targetE0EEEvT1_ ; -- Begin function _ZN7rocprim17ROCPRIM_400000_NS6detail17trampoline_kernelINS0_14default_configENS1_25partition_config_selectorILNS1_17partition_subalgoE5EjNS0_10empty_typeEbEEZZNS1_14partition_implILS5_5ELb0ES3_mN6thrust23THRUST_200600_302600_NS6detail15normal_iteratorINSA_10device_ptrIjEEEEPS6_NSA_18transform_iteratorINSB_9not_fun_tI7is_trueIjEEENSC_INSD_IbEEEENSA_11use_defaultESO_EENS0_5tupleIJNSA_16discard_iteratorISO_EES6_EEENSQ_IJSG_SG_EEES6_PlJS6_EEE10hipError_tPvRmT3_T4_T5_T6_T7_T9_mT8_P12ihipStream_tbDpT10_ENKUlT_T0_E_clISt17integral_constantIbLb0EES1E_IbLb1EEEEDaS1A_S1B_EUlS1A_E_NS1_11comp_targetILNS1_3genE2ELNS1_11target_archE906ELNS1_3gpuE6ELNS1_3repE0EEENS1_30default_config_static_selectorELNS0_4arch9wavefront6targetE0EEEvT1_
	.globl	_ZN7rocprim17ROCPRIM_400000_NS6detail17trampoline_kernelINS0_14default_configENS1_25partition_config_selectorILNS1_17partition_subalgoE5EjNS0_10empty_typeEbEEZZNS1_14partition_implILS5_5ELb0ES3_mN6thrust23THRUST_200600_302600_NS6detail15normal_iteratorINSA_10device_ptrIjEEEEPS6_NSA_18transform_iteratorINSB_9not_fun_tI7is_trueIjEEENSC_INSD_IbEEEENSA_11use_defaultESO_EENS0_5tupleIJNSA_16discard_iteratorISO_EES6_EEENSQ_IJSG_SG_EEES6_PlJS6_EEE10hipError_tPvRmT3_T4_T5_T6_T7_T9_mT8_P12ihipStream_tbDpT10_ENKUlT_T0_E_clISt17integral_constantIbLb0EES1E_IbLb1EEEEDaS1A_S1B_EUlS1A_E_NS1_11comp_targetILNS1_3genE2ELNS1_11target_archE906ELNS1_3gpuE6ELNS1_3repE0EEENS1_30default_config_static_selectorELNS0_4arch9wavefront6targetE0EEEvT1_
	.p2align	8
	.type	_ZN7rocprim17ROCPRIM_400000_NS6detail17trampoline_kernelINS0_14default_configENS1_25partition_config_selectorILNS1_17partition_subalgoE5EjNS0_10empty_typeEbEEZZNS1_14partition_implILS5_5ELb0ES3_mN6thrust23THRUST_200600_302600_NS6detail15normal_iteratorINSA_10device_ptrIjEEEEPS6_NSA_18transform_iteratorINSB_9not_fun_tI7is_trueIjEEENSC_INSD_IbEEEENSA_11use_defaultESO_EENS0_5tupleIJNSA_16discard_iteratorISO_EES6_EEENSQ_IJSG_SG_EEES6_PlJS6_EEE10hipError_tPvRmT3_T4_T5_T6_T7_T9_mT8_P12ihipStream_tbDpT10_ENKUlT_T0_E_clISt17integral_constantIbLb0EES1E_IbLb1EEEEDaS1A_S1B_EUlS1A_E_NS1_11comp_targetILNS1_3genE2ELNS1_11target_archE906ELNS1_3gpuE6ELNS1_3repE0EEENS1_30default_config_static_selectorELNS0_4arch9wavefront6targetE0EEEvT1_,@function
_ZN7rocprim17ROCPRIM_400000_NS6detail17trampoline_kernelINS0_14default_configENS1_25partition_config_selectorILNS1_17partition_subalgoE5EjNS0_10empty_typeEbEEZZNS1_14partition_implILS5_5ELb0ES3_mN6thrust23THRUST_200600_302600_NS6detail15normal_iteratorINSA_10device_ptrIjEEEEPS6_NSA_18transform_iteratorINSB_9not_fun_tI7is_trueIjEEENSC_INSD_IbEEEENSA_11use_defaultESO_EENS0_5tupleIJNSA_16discard_iteratorISO_EES6_EEENSQ_IJSG_SG_EEES6_PlJS6_EEE10hipError_tPvRmT3_T4_T5_T6_T7_T9_mT8_P12ihipStream_tbDpT10_ENKUlT_T0_E_clISt17integral_constantIbLb0EES1E_IbLb1EEEEDaS1A_S1B_EUlS1A_E_NS1_11comp_targetILNS1_3genE2ELNS1_11target_archE906ELNS1_3gpuE6ELNS1_3repE0EEENS1_30default_config_static_selectorELNS0_4arch9wavefront6targetE0EEEvT1_: ; @_ZN7rocprim17ROCPRIM_400000_NS6detail17trampoline_kernelINS0_14default_configENS1_25partition_config_selectorILNS1_17partition_subalgoE5EjNS0_10empty_typeEbEEZZNS1_14partition_implILS5_5ELb0ES3_mN6thrust23THRUST_200600_302600_NS6detail15normal_iteratorINSA_10device_ptrIjEEEEPS6_NSA_18transform_iteratorINSB_9not_fun_tI7is_trueIjEEENSC_INSD_IbEEEENSA_11use_defaultESO_EENS0_5tupleIJNSA_16discard_iteratorISO_EES6_EEENSQ_IJSG_SG_EEES6_PlJS6_EEE10hipError_tPvRmT3_T4_T5_T6_T7_T9_mT8_P12ihipStream_tbDpT10_ENKUlT_T0_E_clISt17integral_constantIbLb0EES1E_IbLb1EEEEDaS1A_S1B_EUlS1A_E_NS1_11comp_targetILNS1_3genE2ELNS1_11target_archE906ELNS1_3gpuE6ELNS1_3repE0EEENS1_30default_config_static_selectorELNS0_4arch9wavefront6targetE0EEEvT1_
; %bb.0:
	.section	.rodata,"a",@progbits
	.p2align	6, 0x0
	.amdhsa_kernel _ZN7rocprim17ROCPRIM_400000_NS6detail17trampoline_kernelINS0_14default_configENS1_25partition_config_selectorILNS1_17partition_subalgoE5EjNS0_10empty_typeEbEEZZNS1_14partition_implILS5_5ELb0ES3_mN6thrust23THRUST_200600_302600_NS6detail15normal_iteratorINSA_10device_ptrIjEEEEPS6_NSA_18transform_iteratorINSB_9not_fun_tI7is_trueIjEEENSC_INSD_IbEEEENSA_11use_defaultESO_EENS0_5tupleIJNSA_16discard_iteratorISO_EES6_EEENSQ_IJSG_SG_EEES6_PlJS6_EEE10hipError_tPvRmT3_T4_T5_T6_T7_T9_mT8_P12ihipStream_tbDpT10_ENKUlT_T0_E_clISt17integral_constantIbLb0EES1E_IbLb1EEEEDaS1A_S1B_EUlS1A_E_NS1_11comp_targetILNS1_3genE2ELNS1_11target_archE906ELNS1_3gpuE6ELNS1_3repE0EEENS1_30default_config_static_selectorELNS0_4arch9wavefront6targetE0EEEvT1_
		.amdhsa_group_segment_fixed_size 0
		.amdhsa_private_segment_fixed_size 0
		.amdhsa_kernarg_size 144
		.amdhsa_user_sgpr_count 2
		.amdhsa_user_sgpr_dispatch_ptr 0
		.amdhsa_user_sgpr_queue_ptr 0
		.amdhsa_user_sgpr_kernarg_segment_ptr 1
		.amdhsa_user_sgpr_dispatch_id 0
		.amdhsa_user_sgpr_private_segment_size 0
		.amdhsa_wavefront_size32 1
		.amdhsa_uses_dynamic_stack 0
		.amdhsa_enable_private_segment 0
		.amdhsa_system_sgpr_workgroup_id_x 1
		.amdhsa_system_sgpr_workgroup_id_y 0
		.amdhsa_system_sgpr_workgroup_id_z 0
		.amdhsa_system_sgpr_workgroup_info 0
		.amdhsa_system_vgpr_workitem_id 0
		.amdhsa_next_free_vgpr 1
		.amdhsa_next_free_sgpr 1
		.amdhsa_reserve_vcc 0
		.amdhsa_float_round_mode_32 0
		.amdhsa_float_round_mode_16_64 0
		.amdhsa_float_denorm_mode_32 3
		.amdhsa_float_denorm_mode_16_64 3
		.amdhsa_fp16_overflow 0
		.amdhsa_workgroup_processor_mode 1
		.amdhsa_memory_ordered 1
		.amdhsa_forward_progress 1
		.amdhsa_inst_pref_size 0
		.amdhsa_round_robin_scheduling 0
		.amdhsa_exception_fp_ieee_invalid_op 0
		.amdhsa_exception_fp_denorm_src 0
		.amdhsa_exception_fp_ieee_div_zero 0
		.amdhsa_exception_fp_ieee_overflow 0
		.amdhsa_exception_fp_ieee_underflow 0
		.amdhsa_exception_fp_ieee_inexact 0
		.amdhsa_exception_int_div_zero 0
	.end_amdhsa_kernel
	.section	.text._ZN7rocprim17ROCPRIM_400000_NS6detail17trampoline_kernelINS0_14default_configENS1_25partition_config_selectorILNS1_17partition_subalgoE5EjNS0_10empty_typeEbEEZZNS1_14partition_implILS5_5ELb0ES3_mN6thrust23THRUST_200600_302600_NS6detail15normal_iteratorINSA_10device_ptrIjEEEEPS6_NSA_18transform_iteratorINSB_9not_fun_tI7is_trueIjEEENSC_INSD_IbEEEENSA_11use_defaultESO_EENS0_5tupleIJNSA_16discard_iteratorISO_EES6_EEENSQ_IJSG_SG_EEES6_PlJS6_EEE10hipError_tPvRmT3_T4_T5_T6_T7_T9_mT8_P12ihipStream_tbDpT10_ENKUlT_T0_E_clISt17integral_constantIbLb0EES1E_IbLb1EEEEDaS1A_S1B_EUlS1A_E_NS1_11comp_targetILNS1_3genE2ELNS1_11target_archE906ELNS1_3gpuE6ELNS1_3repE0EEENS1_30default_config_static_selectorELNS0_4arch9wavefront6targetE0EEEvT1_,"axG",@progbits,_ZN7rocprim17ROCPRIM_400000_NS6detail17trampoline_kernelINS0_14default_configENS1_25partition_config_selectorILNS1_17partition_subalgoE5EjNS0_10empty_typeEbEEZZNS1_14partition_implILS5_5ELb0ES3_mN6thrust23THRUST_200600_302600_NS6detail15normal_iteratorINSA_10device_ptrIjEEEEPS6_NSA_18transform_iteratorINSB_9not_fun_tI7is_trueIjEEENSC_INSD_IbEEEENSA_11use_defaultESO_EENS0_5tupleIJNSA_16discard_iteratorISO_EES6_EEENSQ_IJSG_SG_EEES6_PlJS6_EEE10hipError_tPvRmT3_T4_T5_T6_T7_T9_mT8_P12ihipStream_tbDpT10_ENKUlT_T0_E_clISt17integral_constantIbLb0EES1E_IbLb1EEEEDaS1A_S1B_EUlS1A_E_NS1_11comp_targetILNS1_3genE2ELNS1_11target_archE906ELNS1_3gpuE6ELNS1_3repE0EEENS1_30default_config_static_selectorELNS0_4arch9wavefront6targetE0EEEvT1_,comdat
.Lfunc_end2713:
	.size	_ZN7rocprim17ROCPRIM_400000_NS6detail17trampoline_kernelINS0_14default_configENS1_25partition_config_selectorILNS1_17partition_subalgoE5EjNS0_10empty_typeEbEEZZNS1_14partition_implILS5_5ELb0ES3_mN6thrust23THRUST_200600_302600_NS6detail15normal_iteratorINSA_10device_ptrIjEEEEPS6_NSA_18transform_iteratorINSB_9not_fun_tI7is_trueIjEEENSC_INSD_IbEEEENSA_11use_defaultESO_EENS0_5tupleIJNSA_16discard_iteratorISO_EES6_EEENSQ_IJSG_SG_EEES6_PlJS6_EEE10hipError_tPvRmT3_T4_T5_T6_T7_T9_mT8_P12ihipStream_tbDpT10_ENKUlT_T0_E_clISt17integral_constantIbLb0EES1E_IbLb1EEEEDaS1A_S1B_EUlS1A_E_NS1_11comp_targetILNS1_3genE2ELNS1_11target_archE906ELNS1_3gpuE6ELNS1_3repE0EEENS1_30default_config_static_selectorELNS0_4arch9wavefront6targetE0EEEvT1_, .Lfunc_end2713-_ZN7rocprim17ROCPRIM_400000_NS6detail17trampoline_kernelINS0_14default_configENS1_25partition_config_selectorILNS1_17partition_subalgoE5EjNS0_10empty_typeEbEEZZNS1_14partition_implILS5_5ELb0ES3_mN6thrust23THRUST_200600_302600_NS6detail15normal_iteratorINSA_10device_ptrIjEEEEPS6_NSA_18transform_iteratorINSB_9not_fun_tI7is_trueIjEEENSC_INSD_IbEEEENSA_11use_defaultESO_EENS0_5tupleIJNSA_16discard_iteratorISO_EES6_EEENSQ_IJSG_SG_EEES6_PlJS6_EEE10hipError_tPvRmT3_T4_T5_T6_T7_T9_mT8_P12ihipStream_tbDpT10_ENKUlT_T0_E_clISt17integral_constantIbLb0EES1E_IbLb1EEEEDaS1A_S1B_EUlS1A_E_NS1_11comp_targetILNS1_3genE2ELNS1_11target_archE906ELNS1_3gpuE6ELNS1_3repE0EEENS1_30default_config_static_selectorELNS0_4arch9wavefront6targetE0EEEvT1_
                                        ; -- End function
	.set _ZN7rocprim17ROCPRIM_400000_NS6detail17trampoline_kernelINS0_14default_configENS1_25partition_config_selectorILNS1_17partition_subalgoE5EjNS0_10empty_typeEbEEZZNS1_14partition_implILS5_5ELb0ES3_mN6thrust23THRUST_200600_302600_NS6detail15normal_iteratorINSA_10device_ptrIjEEEEPS6_NSA_18transform_iteratorINSB_9not_fun_tI7is_trueIjEEENSC_INSD_IbEEEENSA_11use_defaultESO_EENS0_5tupleIJNSA_16discard_iteratorISO_EES6_EEENSQ_IJSG_SG_EEES6_PlJS6_EEE10hipError_tPvRmT3_T4_T5_T6_T7_T9_mT8_P12ihipStream_tbDpT10_ENKUlT_T0_E_clISt17integral_constantIbLb0EES1E_IbLb1EEEEDaS1A_S1B_EUlS1A_E_NS1_11comp_targetILNS1_3genE2ELNS1_11target_archE906ELNS1_3gpuE6ELNS1_3repE0EEENS1_30default_config_static_selectorELNS0_4arch9wavefront6targetE0EEEvT1_.num_vgpr, 0
	.set _ZN7rocprim17ROCPRIM_400000_NS6detail17trampoline_kernelINS0_14default_configENS1_25partition_config_selectorILNS1_17partition_subalgoE5EjNS0_10empty_typeEbEEZZNS1_14partition_implILS5_5ELb0ES3_mN6thrust23THRUST_200600_302600_NS6detail15normal_iteratorINSA_10device_ptrIjEEEEPS6_NSA_18transform_iteratorINSB_9not_fun_tI7is_trueIjEEENSC_INSD_IbEEEENSA_11use_defaultESO_EENS0_5tupleIJNSA_16discard_iteratorISO_EES6_EEENSQ_IJSG_SG_EEES6_PlJS6_EEE10hipError_tPvRmT3_T4_T5_T6_T7_T9_mT8_P12ihipStream_tbDpT10_ENKUlT_T0_E_clISt17integral_constantIbLb0EES1E_IbLb1EEEEDaS1A_S1B_EUlS1A_E_NS1_11comp_targetILNS1_3genE2ELNS1_11target_archE906ELNS1_3gpuE6ELNS1_3repE0EEENS1_30default_config_static_selectorELNS0_4arch9wavefront6targetE0EEEvT1_.num_agpr, 0
	.set _ZN7rocprim17ROCPRIM_400000_NS6detail17trampoline_kernelINS0_14default_configENS1_25partition_config_selectorILNS1_17partition_subalgoE5EjNS0_10empty_typeEbEEZZNS1_14partition_implILS5_5ELb0ES3_mN6thrust23THRUST_200600_302600_NS6detail15normal_iteratorINSA_10device_ptrIjEEEEPS6_NSA_18transform_iteratorINSB_9not_fun_tI7is_trueIjEEENSC_INSD_IbEEEENSA_11use_defaultESO_EENS0_5tupleIJNSA_16discard_iteratorISO_EES6_EEENSQ_IJSG_SG_EEES6_PlJS6_EEE10hipError_tPvRmT3_T4_T5_T6_T7_T9_mT8_P12ihipStream_tbDpT10_ENKUlT_T0_E_clISt17integral_constantIbLb0EES1E_IbLb1EEEEDaS1A_S1B_EUlS1A_E_NS1_11comp_targetILNS1_3genE2ELNS1_11target_archE906ELNS1_3gpuE6ELNS1_3repE0EEENS1_30default_config_static_selectorELNS0_4arch9wavefront6targetE0EEEvT1_.numbered_sgpr, 0
	.set _ZN7rocprim17ROCPRIM_400000_NS6detail17trampoline_kernelINS0_14default_configENS1_25partition_config_selectorILNS1_17partition_subalgoE5EjNS0_10empty_typeEbEEZZNS1_14partition_implILS5_5ELb0ES3_mN6thrust23THRUST_200600_302600_NS6detail15normal_iteratorINSA_10device_ptrIjEEEEPS6_NSA_18transform_iteratorINSB_9not_fun_tI7is_trueIjEEENSC_INSD_IbEEEENSA_11use_defaultESO_EENS0_5tupleIJNSA_16discard_iteratorISO_EES6_EEENSQ_IJSG_SG_EEES6_PlJS6_EEE10hipError_tPvRmT3_T4_T5_T6_T7_T9_mT8_P12ihipStream_tbDpT10_ENKUlT_T0_E_clISt17integral_constantIbLb0EES1E_IbLb1EEEEDaS1A_S1B_EUlS1A_E_NS1_11comp_targetILNS1_3genE2ELNS1_11target_archE906ELNS1_3gpuE6ELNS1_3repE0EEENS1_30default_config_static_selectorELNS0_4arch9wavefront6targetE0EEEvT1_.num_named_barrier, 0
	.set _ZN7rocprim17ROCPRIM_400000_NS6detail17trampoline_kernelINS0_14default_configENS1_25partition_config_selectorILNS1_17partition_subalgoE5EjNS0_10empty_typeEbEEZZNS1_14partition_implILS5_5ELb0ES3_mN6thrust23THRUST_200600_302600_NS6detail15normal_iteratorINSA_10device_ptrIjEEEEPS6_NSA_18transform_iteratorINSB_9not_fun_tI7is_trueIjEEENSC_INSD_IbEEEENSA_11use_defaultESO_EENS0_5tupleIJNSA_16discard_iteratorISO_EES6_EEENSQ_IJSG_SG_EEES6_PlJS6_EEE10hipError_tPvRmT3_T4_T5_T6_T7_T9_mT8_P12ihipStream_tbDpT10_ENKUlT_T0_E_clISt17integral_constantIbLb0EES1E_IbLb1EEEEDaS1A_S1B_EUlS1A_E_NS1_11comp_targetILNS1_3genE2ELNS1_11target_archE906ELNS1_3gpuE6ELNS1_3repE0EEENS1_30default_config_static_selectorELNS0_4arch9wavefront6targetE0EEEvT1_.private_seg_size, 0
	.set _ZN7rocprim17ROCPRIM_400000_NS6detail17trampoline_kernelINS0_14default_configENS1_25partition_config_selectorILNS1_17partition_subalgoE5EjNS0_10empty_typeEbEEZZNS1_14partition_implILS5_5ELb0ES3_mN6thrust23THRUST_200600_302600_NS6detail15normal_iteratorINSA_10device_ptrIjEEEEPS6_NSA_18transform_iteratorINSB_9not_fun_tI7is_trueIjEEENSC_INSD_IbEEEENSA_11use_defaultESO_EENS0_5tupleIJNSA_16discard_iteratorISO_EES6_EEENSQ_IJSG_SG_EEES6_PlJS6_EEE10hipError_tPvRmT3_T4_T5_T6_T7_T9_mT8_P12ihipStream_tbDpT10_ENKUlT_T0_E_clISt17integral_constantIbLb0EES1E_IbLb1EEEEDaS1A_S1B_EUlS1A_E_NS1_11comp_targetILNS1_3genE2ELNS1_11target_archE906ELNS1_3gpuE6ELNS1_3repE0EEENS1_30default_config_static_selectorELNS0_4arch9wavefront6targetE0EEEvT1_.uses_vcc, 0
	.set _ZN7rocprim17ROCPRIM_400000_NS6detail17trampoline_kernelINS0_14default_configENS1_25partition_config_selectorILNS1_17partition_subalgoE5EjNS0_10empty_typeEbEEZZNS1_14partition_implILS5_5ELb0ES3_mN6thrust23THRUST_200600_302600_NS6detail15normal_iteratorINSA_10device_ptrIjEEEEPS6_NSA_18transform_iteratorINSB_9not_fun_tI7is_trueIjEEENSC_INSD_IbEEEENSA_11use_defaultESO_EENS0_5tupleIJNSA_16discard_iteratorISO_EES6_EEENSQ_IJSG_SG_EEES6_PlJS6_EEE10hipError_tPvRmT3_T4_T5_T6_T7_T9_mT8_P12ihipStream_tbDpT10_ENKUlT_T0_E_clISt17integral_constantIbLb0EES1E_IbLb1EEEEDaS1A_S1B_EUlS1A_E_NS1_11comp_targetILNS1_3genE2ELNS1_11target_archE906ELNS1_3gpuE6ELNS1_3repE0EEENS1_30default_config_static_selectorELNS0_4arch9wavefront6targetE0EEEvT1_.uses_flat_scratch, 0
	.set _ZN7rocprim17ROCPRIM_400000_NS6detail17trampoline_kernelINS0_14default_configENS1_25partition_config_selectorILNS1_17partition_subalgoE5EjNS0_10empty_typeEbEEZZNS1_14partition_implILS5_5ELb0ES3_mN6thrust23THRUST_200600_302600_NS6detail15normal_iteratorINSA_10device_ptrIjEEEEPS6_NSA_18transform_iteratorINSB_9not_fun_tI7is_trueIjEEENSC_INSD_IbEEEENSA_11use_defaultESO_EENS0_5tupleIJNSA_16discard_iteratorISO_EES6_EEENSQ_IJSG_SG_EEES6_PlJS6_EEE10hipError_tPvRmT3_T4_T5_T6_T7_T9_mT8_P12ihipStream_tbDpT10_ENKUlT_T0_E_clISt17integral_constantIbLb0EES1E_IbLb1EEEEDaS1A_S1B_EUlS1A_E_NS1_11comp_targetILNS1_3genE2ELNS1_11target_archE906ELNS1_3gpuE6ELNS1_3repE0EEENS1_30default_config_static_selectorELNS0_4arch9wavefront6targetE0EEEvT1_.has_dyn_sized_stack, 0
	.set _ZN7rocprim17ROCPRIM_400000_NS6detail17trampoline_kernelINS0_14default_configENS1_25partition_config_selectorILNS1_17partition_subalgoE5EjNS0_10empty_typeEbEEZZNS1_14partition_implILS5_5ELb0ES3_mN6thrust23THRUST_200600_302600_NS6detail15normal_iteratorINSA_10device_ptrIjEEEEPS6_NSA_18transform_iteratorINSB_9not_fun_tI7is_trueIjEEENSC_INSD_IbEEEENSA_11use_defaultESO_EENS0_5tupleIJNSA_16discard_iteratorISO_EES6_EEENSQ_IJSG_SG_EEES6_PlJS6_EEE10hipError_tPvRmT3_T4_T5_T6_T7_T9_mT8_P12ihipStream_tbDpT10_ENKUlT_T0_E_clISt17integral_constantIbLb0EES1E_IbLb1EEEEDaS1A_S1B_EUlS1A_E_NS1_11comp_targetILNS1_3genE2ELNS1_11target_archE906ELNS1_3gpuE6ELNS1_3repE0EEENS1_30default_config_static_selectorELNS0_4arch9wavefront6targetE0EEEvT1_.has_recursion, 0
	.set _ZN7rocprim17ROCPRIM_400000_NS6detail17trampoline_kernelINS0_14default_configENS1_25partition_config_selectorILNS1_17partition_subalgoE5EjNS0_10empty_typeEbEEZZNS1_14partition_implILS5_5ELb0ES3_mN6thrust23THRUST_200600_302600_NS6detail15normal_iteratorINSA_10device_ptrIjEEEEPS6_NSA_18transform_iteratorINSB_9not_fun_tI7is_trueIjEEENSC_INSD_IbEEEENSA_11use_defaultESO_EENS0_5tupleIJNSA_16discard_iteratorISO_EES6_EEENSQ_IJSG_SG_EEES6_PlJS6_EEE10hipError_tPvRmT3_T4_T5_T6_T7_T9_mT8_P12ihipStream_tbDpT10_ENKUlT_T0_E_clISt17integral_constantIbLb0EES1E_IbLb1EEEEDaS1A_S1B_EUlS1A_E_NS1_11comp_targetILNS1_3genE2ELNS1_11target_archE906ELNS1_3gpuE6ELNS1_3repE0EEENS1_30default_config_static_selectorELNS0_4arch9wavefront6targetE0EEEvT1_.has_indirect_call, 0
	.section	.AMDGPU.csdata,"",@progbits
; Kernel info:
; codeLenInByte = 0
; TotalNumSgprs: 0
; NumVgprs: 0
; ScratchSize: 0
; MemoryBound: 0
; FloatMode: 240
; IeeeMode: 1
; LDSByteSize: 0 bytes/workgroup (compile time only)
; SGPRBlocks: 0
; VGPRBlocks: 0
; NumSGPRsForWavesPerEU: 1
; NumVGPRsForWavesPerEU: 1
; Occupancy: 16
; WaveLimiterHint : 0
; COMPUTE_PGM_RSRC2:SCRATCH_EN: 0
; COMPUTE_PGM_RSRC2:USER_SGPR: 2
; COMPUTE_PGM_RSRC2:TRAP_HANDLER: 0
; COMPUTE_PGM_RSRC2:TGID_X_EN: 1
; COMPUTE_PGM_RSRC2:TGID_Y_EN: 0
; COMPUTE_PGM_RSRC2:TGID_Z_EN: 0
; COMPUTE_PGM_RSRC2:TIDIG_COMP_CNT: 0
	.section	.text._ZN7rocprim17ROCPRIM_400000_NS6detail17trampoline_kernelINS0_14default_configENS1_25partition_config_selectorILNS1_17partition_subalgoE5EjNS0_10empty_typeEbEEZZNS1_14partition_implILS5_5ELb0ES3_mN6thrust23THRUST_200600_302600_NS6detail15normal_iteratorINSA_10device_ptrIjEEEEPS6_NSA_18transform_iteratorINSB_9not_fun_tI7is_trueIjEEENSC_INSD_IbEEEENSA_11use_defaultESO_EENS0_5tupleIJNSA_16discard_iteratorISO_EES6_EEENSQ_IJSG_SG_EEES6_PlJS6_EEE10hipError_tPvRmT3_T4_T5_T6_T7_T9_mT8_P12ihipStream_tbDpT10_ENKUlT_T0_E_clISt17integral_constantIbLb0EES1E_IbLb1EEEEDaS1A_S1B_EUlS1A_E_NS1_11comp_targetILNS1_3genE10ELNS1_11target_archE1200ELNS1_3gpuE4ELNS1_3repE0EEENS1_30default_config_static_selectorELNS0_4arch9wavefront6targetE0EEEvT1_,"axG",@progbits,_ZN7rocprim17ROCPRIM_400000_NS6detail17trampoline_kernelINS0_14default_configENS1_25partition_config_selectorILNS1_17partition_subalgoE5EjNS0_10empty_typeEbEEZZNS1_14partition_implILS5_5ELb0ES3_mN6thrust23THRUST_200600_302600_NS6detail15normal_iteratorINSA_10device_ptrIjEEEEPS6_NSA_18transform_iteratorINSB_9not_fun_tI7is_trueIjEEENSC_INSD_IbEEEENSA_11use_defaultESO_EENS0_5tupleIJNSA_16discard_iteratorISO_EES6_EEENSQ_IJSG_SG_EEES6_PlJS6_EEE10hipError_tPvRmT3_T4_T5_T6_T7_T9_mT8_P12ihipStream_tbDpT10_ENKUlT_T0_E_clISt17integral_constantIbLb0EES1E_IbLb1EEEEDaS1A_S1B_EUlS1A_E_NS1_11comp_targetILNS1_3genE10ELNS1_11target_archE1200ELNS1_3gpuE4ELNS1_3repE0EEENS1_30default_config_static_selectorELNS0_4arch9wavefront6targetE0EEEvT1_,comdat
	.protected	_ZN7rocprim17ROCPRIM_400000_NS6detail17trampoline_kernelINS0_14default_configENS1_25partition_config_selectorILNS1_17partition_subalgoE5EjNS0_10empty_typeEbEEZZNS1_14partition_implILS5_5ELb0ES3_mN6thrust23THRUST_200600_302600_NS6detail15normal_iteratorINSA_10device_ptrIjEEEEPS6_NSA_18transform_iteratorINSB_9not_fun_tI7is_trueIjEEENSC_INSD_IbEEEENSA_11use_defaultESO_EENS0_5tupleIJNSA_16discard_iteratorISO_EES6_EEENSQ_IJSG_SG_EEES6_PlJS6_EEE10hipError_tPvRmT3_T4_T5_T6_T7_T9_mT8_P12ihipStream_tbDpT10_ENKUlT_T0_E_clISt17integral_constantIbLb0EES1E_IbLb1EEEEDaS1A_S1B_EUlS1A_E_NS1_11comp_targetILNS1_3genE10ELNS1_11target_archE1200ELNS1_3gpuE4ELNS1_3repE0EEENS1_30default_config_static_selectorELNS0_4arch9wavefront6targetE0EEEvT1_ ; -- Begin function _ZN7rocprim17ROCPRIM_400000_NS6detail17trampoline_kernelINS0_14default_configENS1_25partition_config_selectorILNS1_17partition_subalgoE5EjNS0_10empty_typeEbEEZZNS1_14partition_implILS5_5ELb0ES3_mN6thrust23THRUST_200600_302600_NS6detail15normal_iteratorINSA_10device_ptrIjEEEEPS6_NSA_18transform_iteratorINSB_9not_fun_tI7is_trueIjEEENSC_INSD_IbEEEENSA_11use_defaultESO_EENS0_5tupleIJNSA_16discard_iteratorISO_EES6_EEENSQ_IJSG_SG_EEES6_PlJS6_EEE10hipError_tPvRmT3_T4_T5_T6_T7_T9_mT8_P12ihipStream_tbDpT10_ENKUlT_T0_E_clISt17integral_constantIbLb0EES1E_IbLb1EEEEDaS1A_S1B_EUlS1A_E_NS1_11comp_targetILNS1_3genE10ELNS1_11target_archE1200ELNS1_3gpuE4ELNS1_3repE0EEENS1_30default_config_static_selectorELNS0_4arch9wavefront6targetE0EEEvT1_
	.globl	_ZN7rocprim17ROCPRIM_400000_NS6detail17trampoline_kernelINS0_14default_configENS1_25partition_config_selectorILNS1_17partition_subalgoE5EjNS0_10empty_typeEbEEZZNS1_14partition_implILS5_5ELb0ES3_mN6thrust23THRUST_200600_302600_NS6detail15normal_iteratorINSA_10device_ptrIjEEEEPS6_NSA_18transform_iteratorINSB_9not_fun_tI7is_trueIjEEENSC_INSD_IbEEEENSA_11use_defaultESO_EENS0_5tupleIJNSA_16discard_iteratorISO_EES6_EEENSQ_IJSG_SG_EEES6_PlJS6_EEE10hipError_tPvRmT3_T4_T5_T6_T7_T9_mT8_P12ihipStream_tbDpT10_ENKUlT_T0_E_clISt17integral_constantIbLb0EES1E_IbLb1EEEEDaS1A_S1B_EUlS1A_E_NS1_11comp_targetILNS1_3genE10ELNS1_11target_archE1200ELNS1_3gpuE4ELNS1_3repE0EEENS1_30default_config_static_selectorELNS0_4arch9wavefront6targetE0EEEvT1_
	.p2align	8
	.type	_ZN7rocprim17ROCPRIM_400000_NS6detail17trampoline_kernelINS0_14default_configENS1_25partition_config_selectorILNS1_17partition_subalgoE5EjNS0_10empty_typeEbEEZZNS1_14partition_implILS5_5ELb0ES3_mN6thrust23THRUST_200600_302600_NS6detail15normal_iteratorINSA_10device_ptrIjEEEEPS6_NSA_18transform_iteratorINSB_9not_fun_tI7is_trueIjEEENSC_INSD_IbEEEENSA_11use_defaultESO_EENS0_5tupleIJNSA_16discard_iteratorISO_EES6_EEENSQ_IJSG_SG_EEES6_PlJS6_EEE10hipError_tPvRmT3_T4_T5_T6_T7_T9_mT8_P12ihipStream_tbDpT10_ENKUlT_T0_E_clISt17integral_constantIbLb0EES1E_IbLb1EEEEDaS1A_S1B_EUlS1A_E_NS1_11comp_targetILNS1_3genE10ELNS1_11target_archE1200ELNS1_3gpuE4ELNS1_3repE0EEENS1_30default_config_static_selectorELNS0_4arch9wavefront6targetE0EEEvT1_,@function
_ZN7rocprim17ROCPRIM_400000_NS6detail17trampoline_kernelINS0_14default_configENS1_25partition_config_selectorILNS1_17partition_subalgoE5EjNS0_10empty_typeEbEEZZNS1_14partition_implILS5_5ELb0ES3_mN6thrust23THRUST_200600_302600_NS6detail15normal_iteratorINSA_10device_ptrIjEEEEPS6_NSA_18transform_iteratorINSB_9not_fun_tI7is_trueIjEEENSC_INSD_IbEEEENSA_11use_defaultESO_EENS0_5tupleIJNSA_16discard_iteratorISO_EES6_EEENSQ_IJSG_SG_EEES6_PlJS6_EEE10hipError_tPvRmT3_T4_T5_T6_T7_T9_mT8_P12ihipStream_tbDpT10_ENKUlT_T0_E_clISt17integral_constantIbLb0EES1E_IbLb1EEEEDaS1A_S1B_EUlS1A_E_NS1_11comp_targetILNS1_3genE10ELNS1_11target_archE1200ELNS1_3gpuE4ELNS1_3repE0EEENS1_30default_config_static_selectorELNS0_4arch9wavefront6targetE0EEEvT1_: ; @_ZN7rocprim17ROCPRIM_400000_NS6detail17trampoline_kernelINS0_14default_configENS1_25partition_config_selectorILNS1_17partition_subalgoE5EjNS0_10empty_typeEbEEZZNS1_14partition_implILS5_5ELb0ES3_mN6thrust23THRUST_200600_302600_NS6detail15normal_iteratorINSA_10device_ptrIjEEEEPS6_NSA_18transform_iteratorINSB_9not_fun_tI7is_trueIjEEENSC_INSD_IbEEEENSA_11use_defaultESO_EENS0_5tupleIJNSA_16discard_iteratorISO_EES6_EEENSQ_IJSG_SG_EEES6_PlJS6_EEE10hipError_tPvRmT3_T4_T5_T6_T7_T9_mT8_P12ihipStream_tbDpT10_ENKUlT_T0_E_clISt17integral_constantIbLb0EES1E_IbLb1EEEEDaS1A_S1B_EUlS1A_E_NS1_11comp_targetILNS1_3genE10ELNS1_11target_archE1200ELNS1_3gpuE4ELNS1_3repE0EEENS1_30default_config_static_selectorELNS0_4arch9wavefront6targetE0EEEvT1_
; %bb.0:
	s_clause 0x2
	s_load_b64 s[16:17], s[0:1], 0x60
	s_load_b128 s[4:7], s[0:1], 0x50
	s_load_b64 s[12:13], s[0:1], 0x70
	v_cmp_eq_u32_e64 s2, 0, v0
	s_and_saveexec_b32 s3, s2
	s_cbranch_execz .LBB2714_4
; %bb.1:
	s_mov_b32 s9, exec_lo
	s_mov_b32 s8, exec_lo
	v_mbcnt_lo_u32_b32 v1, s9, 0
                                        ; implicit-def: $vgpr2
	s_delay_alu instid0(VALU_DEP_1)
	v_cmpx_eq_u32_e32 0, v1
	s_cbranch_execz .LBB2714_3
; %bb.2:
	s_load_b64 s[10:11], s[0:1], 0x80
	s_bcnt1_i32_b32 s9, s9
	s_wait_alu 0xfffe
	v_dual_mov_b32 v2, 0 :: v_dual_mov_b32 v3, s9
	s_wait_kmcnt 0x0
	global_atomic_add_u32 v2, v2, v3, s[10:11] th:TH_ATOMIC_RETURN scope:SCOPE_DEV
.LBB2714_3:
	s_or_b32 exec_lo, exec_lo, s8
	s_wait_loadcnt 0x0
	v_readfirstlane_b32 s8, v2
	s_wait_alu 0xf1ff
	s_delay_alu instid0(VALU_DEP_1)
	v_dual_mov_b32 v2, 0 :: v_dual_add_nc_u32 v1, s8, v1
	ds_store_b32 v2, v1
.LBB2714_4:
	s_or_b32 exec_lo, exec_lo, s3
	v_dual_mov_b32 v1, 0 :: v_dual_add_nc_u32 v24, 0x180, v0
	s_clause 0x2
	s_load_b128 s[8:11], s[0:1], 0x8
	s_load_b64 s[14:15], s[0:1], 0x20
	s_load_b32 s0, s[0:1], 0x78
	s_wait_dscnt 0x0
	s_barrier_signal -1
	s_barrier_wait -1
	global_inv scope:SCOPE_SE
	ds_load_b32 v2, v1
	s_wait_loadcnt_dscnt 0x0
	s_barrier_signal -1
	s_barrier_wait -1
	global_inv scope:SCOPE_SE
	s_wait_kmcnt 0x0
	global_load_b64 v[9:10], v1, s[6:7]
	v_lshlrev_b32_e32 v11, 2, v0
	v_lshrrev_b32_e32 v12, 3, v0
	v_add_nc_u32_e32 v25, 0xc0, v0
	v_add_nc_u32_e32 v23, 0x240, v0
	v_or_b32_e32 v22, 0x300, v0
	v_add_nc_u32_e32 v21, 0x3c0, v0
	v_add_nc_u32_e32 v20, 0x480, v0
	s_lshl_b64 s[6:7], s[10:11], 2
	v_add_nc_u32_e32 v19, 0x540, v0
	s_add_nc_u64 s[8:9], s[8:9], s[6:7]
	s_mul_i32 s6, s0, 0x600
	s_mov_b32 s7, 0
	s_add_co_i32 s1, s6, s10
	s_add_co_i32 s20, s0, -1
	v_readfirstlane_b32 s18, v2
	s_sub_co_i32 s3, s16, s1
	s_add_nc_u64 s[0:1], s[10:11], s[6:7]
	s_addk_co_i32 s3, 0x600
	v_cmp_gt_u64_e64 s0, s[16:17], s[0:1]
	s_cmp_eq_u32 s18, s20
	s_mul_i32 s19, s18, 0x600
	s_cselect_b32 s16, -1, 0
	s_cmp_lg_u32 s18, s20
	s_mov_b32 s6, s19
	s_cselect_b32 s17, -1, 0
	s_lshl_b64 s[20:21], s[6:7], 2
	s_wait_alu 0xfffe
	s_or_b32 s17, s0, s17
	s_mov_b32 s1, -1
	s_wait_alu 0xfffe
	s_and_b32 vcc_lo, exec_lo, s17
	s_add_nc_u64 s[8:9], s[8:9], s[20:21]
	s_cbranch_vccz .LBB2714_6
; %bb.5:
	s_wait_alu 0xfffe
	v_add_co_u32 v1, s0, s8, v11
	s_wait_alu 0xf1ff
	v_add_co_ci_u32_e64 v2, null, s9, 0, s0
	v_lshrrev_b32_e32 v14, 3, v25
	v_lshrrev_b32_e32 v15, 3, v24
	;; [unrolled: 1-line block ×3, first 2 shown]
	s_clause 0x7
	flat_load_b32 v3, v[1:2]
	flat_load_b32 v4, v[1:2] offset:768
	flat_load_b32 v5, v[1:2] offset:1536
	;; [unrolled: 1-line block ×7, first 2 shown]
	v_lshrrev_b32_e32 v17, 3, v22
	v_and_b32_e32 v2, 28, v12
	v_lshrrev_b32_e32 v18, 3, v21
	v_lshrrev_b32_e32 v26, 3, v20
	;; [unrolled: 1-line block ×3, first 2 shown]
	v_and_b32_e32 v14, 60, v14
	v_and_b32_e32 v15, 0x7c, v15
	;; [unrolled: 1-line block ×4, first 2 shown]
	v_add_nc_u32_e32 v2, v2, v11
	v_and_b32_e32 v18, 0xfc, v18
	v_and_b32_e32 v26, 0xbc, v26
	;; [unrolled: 1-line block ×3, first 2 shown]
	v_add_nc_u32_e32 v14, v14, v11
	v_add_nc_u32_e32 v15, v15, v11
	;; [unrolled: 1-line block ×4, first 2 shown]
	s_mov_b32 s1, s7
	v_add_nc_u32_e32 v18, v18, v11
	v_add_nc_u32_e32 v26, v26, v11
	;; [unrolled: 1-line block ×3, first 2 shown]
	s_wait_loadcnt_dscnt 0x707
	ds_store_b32 v2, v3
	s_wait_loadcnt_dscnt 0x607
	ds_store_b32 v14, v4 offset:768
	s_wait_loadcnt_dscnt 0x507
	ds_store_b32 v15, v5 offset:1536
	;; [unrolled: 2-line block ×7, first 2 shown]
	s_wait_dscnt 0x0
	s_barrier_signal -1
	s_barrier_wait -1
.LBB2714_6:
	v_cmp_gt_u32_e64 s0, s3, v0
	s_wait_alu 0xfffe
	s_and_not1_b32 vcc_lo, exec_lo, s1
	s_cbranch_vccnz .LBB2714_17
; %bb.7:
	v_mov_b32_e32 v1, 0
	s_delay_alu instid0(VALU_DEP_1)
	v_dual_mov_b32 v2, v1 :: v_dual_mov_b32 v3, v1
	v_dual_mov_b32 v4, v1 :: v_dual_mov_b32 v5, v1
	;; [unrolled: 1-line block ×3, first 2 shown]
	v_mov_b32_e32 v8, v1
	s_and_saveexec_b32 s1, s0
	s_cbranch_execnz .LBB2714_139
; %bb.8:
	s_wait_alu 0xfffe
	s_or_b32 exec_lo, exec_lo, s1
	s_delay_alu instid0(SALU_CYCLE_1)
	s_mov_b32 s0, exec_lo
	v_cmpx_gt_u32_e64 s3, v25
	s_cbranch_execnz .LBB2714_140
.LBB2714_9:
	s_wait_alu 0xfffe
	s_or_b32 exec_lo, exec_lo, s0
	s_delay_alu instid0(SALU_CYCLE_1)
	s_mov_b32 s0, exec_lo
	v_cmpx_gt_u32_e64 s3, v24
	s_cbranch_execnz .LBB2714_141
.LBB2714_10:
	s_wait_alu 0xfffe
	s_or_b32 exec_lo, exec_lo, s0
	s_delay_alu instid0(SALU_CYCLE_1)
	s_mov_b32 s0, exec_lo
	v_cmpx_gt_u32_e64 s3, v23
	s_cbranch_execnz .LBB2714_142
.LBB2714_11:
	s_wait_alu 0xfffe
	s_or_b32 exec_lo, exec_lo, s0
	s_delay_alu instid0(SALU_CYCLE_1)
	s_mov_b32 s0, exec_lo
	v_cmpx_gt_u32_e64 s3, v22
	s_cbranch_execnz .LBB2714_143
.LBB2714_12:
	s_wait_alu 0xfffe
	s_or_b32 exec_lo, exec_lo, s0
	s_delay_alu instid0(SALU_CYCLE_1)
	s_mov_b32 s0, exec_lo
	v_cmpx_gt_u32_e64 s3, v21
	s_cbranch_execnz .LBB2714_144
.LBB2714_13:
	s_wait_alu 0xfffe
	s_or_b32 exec_lo, exec_lo, s0
	s_delay_alu instid0(SALU_CYCLE_1)
	s_mov_b32 s0, exec_lo
	v_cmpx_gt_u32_e64 s3, v20
	s_cbranch_execnz .LBB2714_145
.LBB2714_14:
	s_wait_alu 0xfffe
	s_or_b32 exec_lo, exec_lo, s0
	s_delay_alu instid0(SALU_CYCLE_1)
	s_mov_b32 s0, exec_lo
	v_cmpx_gt_u32_e64 s3, v19
	s_cbranch_execz .LBB2714_16
.LBB2714_15:
	v_add_co_u32 v13, s1, s8, v11
	s_wait_alu 0xf1ff
	v_add_co_ci_u32_e64 v14, null, s9, 0, s1
	flat_load_b32 v8, v[13:14] offset:5376
.LBB2714_16:
	s_wait_alu 0xfffe
	s_or_b32 exec_lo, exec_lo, s0
	v_lshrrev_b32_e32 v13, 3, v25
	v_lshrrev_b32_e32 v14, 3, v24
	;; [unrolled: 1-line block ×4, first 2 shown]
	v_and_b32_e32 v12, 28, v12
	v_lshrrev_b32_e32 v17, 3, v21
	v_lshrrev_b32_e32 v18, 3, v20
	;; [unrolled: 1-line block ×3, first 2 shown]
	v_and_b32_e32 v13, 60, v13
	v_and_b32_e32 v14, 0x7c, v14
	v_and_b32_e32 v15, 0x7c, v15
	v_and_b32_e32 v16, 0x7c, v16
	v_add_nc_u32_e32 v12, v12, v11
	v_and_b32_e32 v17, 0xfc, v17
	v_and_b32_e32 v18, 0xfc, v18
	;; [unrolled: 1-line block ×3, first 2 shown]
	v_add_nc_u32_e32 v13, v13, v11
	v_add_nc_u32_e32 v14, v14, v11
	;; [unrolled: 1-line block ×7, first 2 shown]
	ds_store_b32 v12, v1
	s_wait_loadcnt_dscnt 0x1
	ds_store_b32 v13, v2 offset:768
	ds_store_b32 v14, v3 offset:1536
	;; [unrolled: 1-line block ×7, first 2 shown]
	s_wait_dscnt 0x0
	s_barrier_signal -1
	s_barrier_wait -1
.LBB2714_17:
	v_and_b32_e32 v1, 0xfc, v0
	s_wait_loadcnt 0x0
	global_inv scope:SCOPE_SE
	v_lshrrev_b32_e32 v29, 5, v0
	s_add_nc_u64 s[0:1], s[14:15], s[10:11]
	s_and_b32 vcc_lo, exec_lo, s17
	v_lshl_add_u32 v1, v0, 5, v1
	s_wait_alu 0xfffe
	s_add_nc_u64 s[0:1], s[0:1], s[6:7]
	s_mov_b32 s6, -1
	ds_load_2addr_b32 v[17:18], v1 offset1:1
	ds_load_2addr_b32 v[15:16], v1 offset0:2 offset1:3
	ds_load_2addr_b32 v[13:14], v1 offset0:4 offset1:5
	;; [unrolled: 1-line block ×3, first 2 shown]
	s_wait_loadcnt_dscnt 0x0
	s_barrier_signal -1
	s_barrier_wait -1
	global_inv scope:SCOPE_SE
	s_cbranch_vccz .LBB2714_19
; %bb.18:
	s_clause 0x7
	global_load_u8 v1, v0, s[0:1]
	global_load_u8 v2, v0, s[0:1] offset:192
	global_load_u8 v3, v0, s[0:1] offset:384
	;; [unrolled: 1-line block ×7, first 2 shown]
	v_lshrrev_b32_e32 v27, 5, v25
	v_lshrrev_b32_e32 v28, 5, v24
	;; [unrolled: 1-line block ×4, first 2 shown]
	v_and_b32_e32 v26, 4, v29
	v_lshrrev_b32_e32 v32, 5, v21
	v_lshrrev_b32_e32 v33, 5, v20
	;; [unrolled: 1-line block ×3, first 2 shown]
	v_and_b32_e32 v27, 12, v27
	v_and_b32_e32 v28, 28, v28
	;; [unrolled: 1-line block ×4, first 2 shown]
	v_add_nc_u32_e32 v26, v26, v0
	v_and_b32_e32 v32, 60, v32
	v_and_b32_e32 v33, 44, v33
	;; [unrolled: 1-line block ×3, first 2 shown]
	v_add_nc_u32_e32 v27, v27, v0
	v_add_nc_u32_e32 v28, v28, v0
	;; [unrolled: 1-line block ×4, first 2 shown]
	s_mov_b32 s6, 0
	v_add_nc_u32_e32 v32, v32, v0
	v_add_nc_u32_e32 v33, v33, v0
	v_add_nc_u32_e32 v34, v34, v0
	s_wait_loadcnt 0x7
	v_xor_b32_e32 v1, 1, v1
	s_wait_loadcnt 0x6
	v_xor_b32_e32 v2, 1, v2
	;; [unrolled: 2-line block ×8, first 2 shown]
	ds_store_b8 v26, v1
	ds_store_b8 v27, v2 offset:192
	ds_store_b8 v28, v3 offset:384
	;; [unrolled: 1-line block ×7, first 2 shown]
	s_wait_dscnt 0x0
	s_barrier_signal -1
	s_barrier_wait -1
.LBB2714_19:
	v_lshlrev_b32_e32 v30, 3, v0
	v_lshrrev_b32_e32 v1, 2, v0
	s_and_not1_b32 vcc_lo, exec_lo, s6
	s_cbranch_vccnz .LBB2714_30
; %bb.20:
	v_mov_b32_e32 v2, 0
	s_mov_b32 s6, exec_lo
	s_delay_alu instid0(VALU_DEP_1)
	v_dual_mov_b32 v3, v2 :: v_dual_mov_b32 v4, v2
	v_cmpx_gt_u32_e64 s3, v0
	s_cbranch_execnz .LBB2714_146
; %bb.21:
	s_or_b32 exec_lo, exec_lo, s6
	s_delay_alu instid0(SALU_CYCLE_1)
	s_mov_b32 s6, exec_lo
	v_cmpx_gt_u32_e64 s3, v25
	s_cbranch_execnz .LBB2714_147
.LBB2714_22:
	s_wait_alu 0xfffe
	s_or_b32 exec_lo, exec_lo, s6
	s_delay_alu instid0(SALU_CYCLE_1)
	s_mov_b32 s6, exec_lo
	v_cmpx_gt_u32_e64 s3, v24
	s_cbranch_execnz .LBB2714_148
.LBB2714_23:
	s_wait_alu 0xfffe
	s_or_b32 exec_lo, exec_lo, s6
	s_delay_alu instid0(SALU_CYCLE_1)
	s_mov_b32 s6, exec_lo
	v_cmpx_gt_u32_e64 s3, v23
	s_cbranch_execnz .LBB2714_149
.LBB2714_24:
	s_wait_alu 0xfffe
	s_or_b32 exec_lo, exec_lo, s6
	s_delay_alu instid0(SALU_CYCLE_1)
	s_mov_b32 s6, exec_lo
	v_cmpx_gt_u32_e64 s3, v22
	s_cbranch_execnz .LBB2714_150
.LBB2714_25:
	s_wait_alu 0xfffe
	s_or_b32 exec_lo, exec_lo, s6
	s_delay_alu instid0(SALU_CYCLE_1)
	s_mov_b32 s6, exec_lo
	v_cmpx_gt_u32_e64 s3, v21
	s_cbranch_execnz .LBB2714_151
.LBB2714_26:
	s_wait_alu 0xfffe
	s_or_b32 exec_lo, exec_lo, s6
	s_delay_alu instid0(SALU_CYCLE_1)
	s_mov_b32 s6, exec_lo
	v_cmpx_gt_u32_e64 s3, v20
	s_cbranch_execnz .LBB2714_152
.LBB2714_27:
	s_wait_alu 0xfffe
	s_or_b32 exec_lo, exec_lo, s6
	v_cmp_gt_u32_e32 vcc_lo, s3, v19
	s_and_saveexec_b32 s3, vcc_lo
	s_cbranch_execz .LBB2714_29
.LBB2714_28:
	global_load_u8 v5, v0, s[0:1] offset:1344
	v_lshrrev_b32_e32 v6, 16, v3
	s_delay_alu instid0(VALU_DEP_1) | instskip(SKIP_2) | instid1(VALU_DEP_1)
	v_and_b32_e32 v6, 0xff, v6
	s_wait_loadcnt 0x0
	v_xor_b32_e32 v5, 1, v5
	v_lshlrev_b16 v5, 8, v5
	s_delay_alu instid0(VALU_DEP_1) | instskip(NEXT) | instid1(VALU_DEP_1)
	v_or_b32_e32 v5, v6, v5
	v_lshlrev_b32_e32 v5, 16, v5
	s_delay_alu instid0(VALU_DEP_1)
	v_and_or_b32 v3, 0xffff, v3, v5
.LBB2714_29:
	s_wait_alu 0xfffe
	s_or_b32 exec_lo, exec_lo, s3
	v_lshrrev_b32_e32 v5, 5, v25
	v_lshrrev_b32_e32 v6, 5, v24
	;; [unrolled: 1-line block ×4, first 2 shown]
	v_and_b32_e32 v7, 4, v29
	v_lshrrev_b32_e32 v21, 5, v21
	v_lshrrev_b32_e32 v20, 5, v20
	;; [unrolled: 1-line block ×3, first 2 shown]
	v_and_b32_e32 v5, 12, v5
	v_and_b32_e32 v6, 28, v6
	;; [unrolled: 1-line block ×4, first 2 shown]
	v_add_nc_u32_e32 v7, v7, v0
	v_and_b32_e32 v21, 60, v21
	v_and_b32_e32 v20, 60, v20
	;; [unrolled: 1-line block ×3, first 2 shown]
	v_lshrrev_b32_e32 v8, 8, v2
	v_add_nc_u32_e32 v5, v5, v0
	v_add_nc_u32_e32 v6, v6, v0
	v_lshrrev_b32_e32 v24, 24, v2
	v_add_nc_u32_e32 v23, v23, v0
	v_add_nc_u32_e32 v22, v22, v0
	;; [unrolled: 3-line block ×3, first 2 shown]
	v_lshrrev_b32_e32 v26, 24, v3
	v_add_nc_u32_e32 v19, v19, v0
	ds_store_b8 v7, v4
	ds_store_b8 v5, v8 offset:192
	ds_store_b8_d16_hi v6, v2 offset:384
	ds_store_b8 v23, v24 offset:576
	ds_store_b8 v22, v3 offset:768
	;; [unrolled: 1-line block ×3, first 2 shown]
	ds_store_b8_d16_hi v20, v3 offset:1152
	ds_store_b8 v19, v26 offset:1344
	s_wait_loadcnt_dscnt 0x0
	s_barrier_signal -1
	s_barrier_wait -1
.LBB2714_30:
	s_delay_alu instid0(VALU_DEP_1)
	v_dual_mov_b32 v2, 0 :: v_dual_and_b32 v1, 60, v1
	s_wait_loadcnt 0x0
	global_inv scope:SCOPE_SE
	v_mbcnt_lo_u32_b32 v39, -1, 0
	s_cmp_lg_u32 s18, 0
	v_add_nc_u32_e32 v1, v1, v30
	s_mov_b32 s1, -1
	s_delay_alu instid0(VALU_DEP_2)
	v_and_b32_e32 v40, 15, v39
	ds_load_2addr_b32 v[19:20], v1 offset1:1
	s_wait_loadcnt_dscnt 0x0
	s_barrier_signal -1
	s_barrier_wait -1
	global_inv scope:SCOPE_SE
	v_and_b32_e32 v35, 0xff, v19
	v_bfe_u32 v34, v19, 8, 8
	v_bfe_u32 v33, v19, 16, 8
	v_lshrrev_b32_e32 v32, 24, v19
	v_and_b32_e32 v38, 0xff, v20
	v_bfe_u32 v37, v20, 8, 8
	v_bfe_u32 v36, v20, 16, 8
	v_add3_u32 v1, v34, v35, v33
	v_lshrrev_b32_e32 v31, 24, v20
	s_delay_alu instid0(VALU_DEP_2) | instskip(SKIP_3) | instid1(VALU_DEP_3)
	v_add_co_u32 v1, s0, v1, v32
	s_wait_alu 0xf1fe
	v_add_co_ci_u32_e64 v3, null, 0, 0, s0
	v_cmp_ne_u32_e64 s0, 0, v40
	v_add_co_u32 v1, vcc_lo, v1, v38
	s_delay_alu instid0(VALU_DEP_1) | instskip(NEXT) | instid1(VALU_DEP_2)
	v_add_co_ci_u32_e64 v3, null, 0, v3, vcc_lo
	v_add_co_u32 v1, vcc_lo, v1, v37
	s_wait_alu 0xfffd
	s_delay_alu instid0(VALU_DEP_2) | instskip(NEXT) | instid1(VALU_DEP_2)
	v_add_co_ci_u32_e64 v3, null, 0, v3, vcc_lo
	v_add_co_u32 v1, vcc_lo, v1, v36
	s_wait_alu 0xfffd
	s_delay_alu instid0(VALU_DEP_2) | instskip(NEXT) | instid1(VALU_DEP_2)
	v_add_co_ci_u32_e64 v3, null, 0, v3, vcc_lo
	v_add_co_u32 v21, vcc_lo, v1, v31
	s_wait_alu 0xfffd
	s_delay_alu instid0(VALU_DEP_2)
	v_add_co_ci_u32_e64 v22, null, 0, v3, vcc_lo
	s_cbranch_scc0 .LBB2714_87
; %bb.31:
	v_mov_b32_e32 v3, v21
	v_mov_b32_dpp v1, v21 row_shr:1 row_mask:0xf bank_mask:0xf
	v_mov_b32_dpp v6, v2 row_shr:1 row_mask:0xf bank_mask:0xf
	v_dual_mov_b32 v5, v21 :: v_dual_mov_b32 v4, v22
	s_and_saveexec_b32 s1, s0
; %bb.32:
	s_delay_alu instid0(VALU_DEP_3) | instskip(SKIP_2) | instid1(VALU_DEP_2)
	v_add_co_u32 v5, vcc_lo, v21, v1
	s_wait_alu 0xfffd
	v_add_co_ci_u32_e64 v2, null, 0, v22, vcc_lo
	v_add_co_u32 v1, vcc_lo, 0, v5
	s_wait_alu 0xfffd
	s_delay_alu instid0(VALU_DEP_2) | instskip(NEXT) | instid1(VALU_DEP_1)
	v_add_co_ci_u32_e64 v2, null, v6, v2, vcc_lo
	v_dual_mov_b32 v4, v2 :: v_dual_mov_b32 v3, v1
; %bb.33:
	s_wait_alu 0xfffe
	s_or_b32 exec_lo, exec_lo, s1
	v_mov_b32_dpp v1, v5 row_shr:2 row_mask:0xf bank_mask:0xf
	v_mov_b32_dpp v6, v2 row_shr:2 row_mask:0xf bank_mask:0xf
	s_mov_b32 s1, exec_lo
	v_cmpx_lt_u32_e32 1, v40
; %bb.34:
	s_delay_alu instid0(VALU_DEP_3) | instskip(SKIP_2) | instid1(VALU_DEP_2)
	v_add_co_u32 v5, vcc_lo, v3, v1
	s_wait_alu 0xfffd
	v_add_co_ci_u32_e64 v2, null, 0, v4, vcc_lo
	v_add_co_u32 v1, vcc_lo, 0, v5
	s_wait_alu 0xfffd
	s_delay_alu instid0(VALU_DEP_2) | instskip(NEXT) | instid1(VALU_DEP_1)
	v_add_co_ci_u32_e64 v2, null, v6, v2, vcc_lo
	v_dual_mov_b32 v4, v2 :: v_dual_mov_b32 v3, v1
; %bb.35:
	s_wait_alu 0xfffe
	s_or_b32 exec_lo, exec_lo, s1
	v_mov_b32_dpp v1, v5 row_shr:4 row_mask:0xf bank_mask:0xf
	v_mov_b32_dpp v6, v2 row_shr:4 row_mask:0xf bank_mask:0xf
	s_mov_b32 s1, exec_lo
	v_cmpx_lt_u32_e32 3, v40
	;; [unrolled: 17-line block ×3, first 2 shown]
; %bb.38:
	s_delay_alu instid0(VALU_DEP_3) | instskip(SKIP_2) | instid1(VALU_DEP_2)
	v_add_co_u32 v5, vcc_lo, v3, v6
	s_wait_alu 0xfffd
	v_add_co_ci_u32_e64 v2, null, 0, v4, vcc_lo
	v_add_co_u32 v3, vcc_lo, 0, v5
	s_wait_alu 0xfffd
	s_delay_alu instid0(VALU_DEP_2) | instskip(NEXT) | instid1(VALU_DEP_1)
	v_add_co_ci_u32_e64 v4, null, v1, v2, vcc_lo
	v_mov_b32_e32 v2, v4
; %bb.39:
	s_wait_alu 0xfffe
	s_or_b32 exec_lo, exec_lo, s1
	ds_swizzle_b32 v6, v5 offset:swizzle(BROADCAST,32,15)
	ds_swizzle_b32 v1, v2 offset:swizzle(BROADCAST,32,15)
	v_and_b32_e32 v2, 16, v39
	s_mov_b32 s1, exec_lo
	s_delay_alu instid0(VALU_DEP_1)
	v_cmpx_ne_u32_e32 0, v2
	s_cbranch_execz .LBB2714_41
; %bb.40:
	s_wait_dscnt 0x1
	v_add_co_u32 v5, vcc_lo, v3, v6
	s_wait_alu 0xfffd
	v_add_co_ci_u32_e64 v2, null, 0, v4, vcc_lo
	s_delay_alu instid0(VALU_DEP_2) | instskip(SKIP_2) | instid1(VALU_DEP_2)
	v_add_co_u32 v3, vcc_lo, 0, v5
	s_wait_dscnt 0x0
	s_wait_alu 0xfffd
	v_add_co_ci_u32_e64 v4, null, v1, v2, vcc_lo
.LBB2714_41:
	s_wait_alu 0xfffe
	s_or_b32 exec_lo, exec_lo, s1
	s_wait_dscnt 0x0
	v_and_b32_e32 v1, 0xe0, v0
	s_mov_b32 s1, exec_lo
	s_delay_alu instid0(VALU_DEP_1) | instskip(NEXT) | instid1(VALU_DEP_1)
	v_min_u32_e32 v1, 0xa0, v1
	v_or_b32_e32 v1, 31, v1
	s_delay_alu instid0(VALU_DEP_1)
	v_cmpx_eq_u32_e64 v0, v1
; %bb.42:
	v_lshlrev_b32_e32 v1, 3, v29
	ds_store_b64 v1, v[3:4]
; %bb.43:
	s_wait_alu 0xfffe
	s_or_b32 exec_lo, exec_lo, s1
	s_delay_alu instid0(SALU_CYCLE_1)
	s_mov_b32 s1, exec_lo
	s_wait_loadcnt_dscnt 0x0
	s_barrier_signal -1
	s_barrier_wait -1
	global_inv scope:SCOPE_SE
	v_cmpx_gt_u32_e32 6, v0
	s_cbranch_execz .LBB2714_51
; %bb.44:
	ds_load_b64 v[1:2], v30
	v_and_b32_e32 v3, 7, v39
	s_mov_b32 s3, exec_lo
	s_wait_dscnt 0x0
	v_mov_b32_dpp v7, v1 row_shr:1 row_mask:0xf bank_mask:0xf
	v_mov_b32_dpp v6, v2 row_shr:1 row_mask:0xf bank_mask:0xf
	v_mov_b32_e32 v4, v1
	v_cmpx_ne_u32_e32 0, v3
; %bb.45:
	s_delay_alu instid0(VALU_DEP_4) | instskip(SKIP_2) | instid1(VALU_DEP_2)
	v_add_co_u32 v4, vcc_lo, v1, v7
	s_wait_alu 0xfffd
	v_add_co_ci_u32_e64 v2, null, 0, v2, vcc_lo
	v_add_co_u32 v1, vcc_lo, 0, v4
	s_wait_alu 0xfffd
	s_delay_alu instid0(VALU_DEP_2)
	v_add_co_ci_u32_e64 v2, null, v6, v2, vcc_lo
; %bb.46:
	s_wait_alu 0xfffe
	s_or_b32 exec_lo, exec_lo, s3
	v_mov_b32_dpp v7, v4 row_shr:2 row_mask:0xf bank_mask:0xf
	s_delay_alu instid0(VALU_DEP_2)
	v_mov_b32_dpp v6, v2 row_shr:2 row_mask:0xf bank_mask:0xf
	s_mov_b32 s3, exec_lo
	v_cmpx_lt_u32_e32 1, v3
; %bb.47:
	s_delay_alu instid0(VALU_DEP_3) | instskip(SKIP_2) | instid1(VALU_DEP_2)
	v_add_co_u32 v4, vcc_lo, v1, v7
	s_wait_alu 0xfffd
	v_add_co_ci_u32_e64 v2, null, 0, v2, vcc_lo
	v_add_co_u32 v1, vcc_lo, 0, v4
	s_wait_alu 0xfffd
	s_delay_alu instid0(VALU_DEP_2)
	v_add_co_ci_u32_e64 v2, null, v6, v2, vcc_lo
; %bb.48:
	s_wait_alu 0xfffe
	s_or_b32 exec_lo, exec_lo, s3
	v_mov_b32_dpp v6, v4 row_shr:4 row_mask:0xf bank_mask:0xf
	s_delay_alu instid0(VALU_DEP_2)
	v_mov_b32_dpp v4, v2 row_shr:4 row_mask:0xf bank_mask:0xf
	s_mov_b32 s3, exec_lo
	v_cmpx_lt_u32_e32 3, v3
; %bb.49:
	s_delay_alu instid0(VALU_DEP_3) | instskip(SKIP_2) | instid1(VALU_DEP_2)
	v_add_co_u32 v1, vcc_lo, v1, v6
	s_wait_alu 0xfffd
	v_add_co_ci_u32_e64 v2, null, 0, v2, vcc_lo
	v_add_co_u32 v1, vcc_lo, v1, 0
	s_wait_alu 0xfffd
	s_delay_alu instid0(VALU_DEP_2)
	v_add_co_ci_u32_e64 v2, null, v2, v4, vcc_lo
; %bb.50:
	s_wait_alu 0xfffe
	s_or_b32 exec_lo, exec_lo, s3
	ds_store_b64 v30, v[1:2]
.LBB2714_51:
	s_wait_alu 0xfffe
	s_or_b32 exec_lo, exec_lo, s1
	s_delay_alu instid0(SALU_CYCLE_1)
	s_mov_b32 s3, exec_lo
	v_cmp_gt_u32_e32 vcc_lo, 32, v0
	s_wait_loadcnt_dscnt 0x0
	s_barrier_signal -1
	s_barrier_wait -1
	global_inv scope:SCOPE_SE
                                        ; implicit-def: $vgpr23_vgpr24
	v_cmpx_lt_u32_e32 31, v0
	s_cbranch_execz .LBB2714_53
; %bb.52:
	v_lshl_add_u32 v1, v29, 3, -8
	ds_load_b64 v[23:24], v1
	s_wait_dscnt 0x0
	v_add_nc_u32_e32 v5, v5, v23
.LBB2714_53:
	s_wait_alu 0xfffe
	s_or_b32 exec_lo, exec_lo, s3
	v_sub_co_u32 v1, s1, v39, 1
	s_delay_alu instid0(VALU_DEP_1) | instskip(SKIP_1) | instid1(VALU_DEP_1)
	v_cmp_gt_i32_e64 s3, 0, v1
	s_wait_alu 0xf1ff
	v_cndmask_b32_e64 v1, v1, v39, s3
	s_delay_alu instid0(VALU_DEP_1)
	v_lshlrev_b32_e32 v1, 2, v1
	ds_bpermute_b32 v41, v1, v5
	s_and_saveexec_b32 s3, vcc_lo
	s_cbranch_execz .LBB2714_92
; %bb.54:
	v_mov_b32_e32 v4, 0
	ds_load_b64 v[1:2], v4 offset:40
	s_and_saveexec_b32 s6, s1
	s_cbranch_execz .LBB2714_56
; %bb.55:
	s_add_co_i32 s8, s18, 32
	s_mov_b32 s9, 0
	s_wait_alu 0xfffe
	s_lshl_b64 s[8:9], s[8:9], 4
	s_wait_alu 0xfffe
	s_add_nc_u64 s[8:9], s[12:13], s[8:9]
	v_mov_b32_e32 v3, 1
	s_wait_alu 0xfffe
	v_dual_mov_b32 v5, s8 :: v_dual_mov_b32 v6, s9
	s_wait_dscnt 0x0
	;;#ASMSTART
	global_store_b128 v[5:6], v[1:4] off scope:SCOPE_DEV	
s_wait_storecnt 0x0
	;;#ASMEND
.LBB2714_56:
	s_wait_alu 0xfffe
	s_or_b32 exec_lo, exec_lo, s6
	v_xad_u32 v25, v39, -1, s18
	s_mov_b32 s6, exec_lo
	s_delay_alu instid0(VALU_DEP_1) | instskip(NEXT) | instid1(VALU_DEP_1)
	v_add_nc_u32_e32 v3, 32, v25
	v_lshlrev_b64_e32 v[3:4], 4, v[3:4]
	s_delay_alu instid0(VALU_DEP_1) | instskip(SKIP_1) | instid1(VALU_DEP_2)
	v_add_co_u32 v3, vcc_lo, s12, v3
	s_wait_alu 0xfffd
	v_add_co_ci_u32_e64 v4, null, s13, v4, vcc_lo
	;;#ASMSTART
	global_load_b128 v[5:8], v[3:4] off scope:SCOPE_DEV	
s_wait_loadcnt 0x0
	;;#ASMEND
	v_and_b32_e32 v8, 0xff, v7
	s_delay_alu instid0(VALU_DEP_1)
	v_cmpx_eq_u16_e32 0, v8
	s_cbranch_execz .LBB2714_59
.LBB2714_57:                            ; =>This Inner Loop Header: Depth=1
	;;#ASMSTART
	global_load_b128 v[5:8], v[3:4] off scope:SCOPE_DEV	
s_wait_loadcnt 0x0
	;;#ASMEND
	v_and_b32_e32 v8, 0xff, v7
	s_delay_alu instid0(VALU_DEP_1)
	v_cmp_ne_u16_e32 vcc_lo, 0, v8
	s_or_b32 s7, vcc_lo, s7
	s_wait_alu 0xfffe
	s_and_not1_b32 exec_lo, exec_lo, s7
	s_cbranch_execnz .LBB2714_57
; %bb.58:
	s_or_b32 exec_lo, exec_lo, s7
.LBB2714_59:
	s_wait_alu 0xfffe
	s_or_b32 exec_lo, exec_lo, s6
	v_cmp_ne_u32_e32 vcc_lo, 31, v39
	v_and_b32_e32 v4, 0xff, v7
	v_lshlrev_b32_e64 v43, v39, -1
	s_mov_b32 s6, exec_lo
	s_wait_alu 0xfffd
	v_add_co_ci_u32_e64 v3, null, 0, v39, vcc_lo
	v_cmp_eq_u16_e32 vcc_lo, 2, v4
	v_mov_b32_e32 v4, v5
	s_delay_alu instid0(VALU_DEP_3)
	v_lshlrev_b32_e32 v42, 2, v3
	s_wait_alu 0xfffd
	v_and_or_b32 v3, vcc_lo, v43, 0x80000000
	ds_bpermute_b32 v26, v42, v5
	ds_bpermute_b32 v8, v42, v6
	v_ctz_i32_b32_e32 v3, v3
	s_delay_alu instid0(VALU_DEP_1)
	v_cmpx_lt_u32_e64 v39, v3
	s_cbranch_execz .LBB2714_61
; %bb.60:
	s_wait_dscnt 0x1
	v_add_co_u32 v4, vcc_lo, v5, v26
	s_wait_alu 0xfffd
	v_add_co_ci_u32_e64 v6, null, 0, v6, vcc_lo
	s_delay_alu instid0(VALU_DEP_2) | instskip(SKIP_2) | instid1(VALU_DEP_2)
	v_add_co_u32 v5, vcc_lo, 0, v4
	s_wait_dscnt 0x0
	s_wait_alu 0xfffd
	v_add_co_ci_u32_e64 v6, null, v8, v6, vcc_lo
.LBB2714_61:
	s_wait_alu 0xfffe
	s_or_b32 exec_lo, exec_lo, s6
	v_cmp_gt_u32_e32 vcc_lo, 30, v39
	v_add_nc_u32_e32 v45, 2, v39
	s_mov_b32 s6, exec_lo
	s_wait_dscnt 0x0
	s_wait_alu 0xfffd
	v_cndmask_b32_e64 v8, 0, 2, vcc_lo
	s_delay_alu instid0(VALU_DEP_1)
	v_add_lshl_u32 v44, v8, v39, 2
	ds_bpermute_b32 v26, v44, v4
	ds_bpermute_b32 v8, v44, v6
	v_cmpx_le_u32_e64 v45, v3
	s_cbranch_execz .LBB2714_63
; %bb.62:
	s_wait_dscnt 0x1
	v_add_co_u32 v4, vcc_lo, v5, v26
	s_wait_alu 0xfffd
	v_add_co_ci_u32_e64 v6, null, 0, v6, vcc_lo
	s_delay_alu instid0(VALU_DEP_2) | instskip(SKIP_2) | instid1(VALU_DEP_2)
	v_add_co_u32 v5, vcc_lo, 0, v4
	s_wait_dscnt 0x0
	s_wait_alu 0xfffd
	v_add_co_ci_u32_e64 v6, null, v8, v6, vcc_lo
.LBB2714_63:
	s_wait_alu 0xfffe
	s_or_b32 exec_lo, exec_lo, s6
	v_cmp_gt_u32_e32 vcc_lo, 28, v39
	v_add_nc_u32_e32 v47, 4, v39
	s_mov_b32 s6, exec_lo
	s_wait_dscnt 0x0
	s_wait_alu 0xfffd
	v_cndmask_b32_e64 v8, 0, 4, vcc_lo
	s_delay_alu instid0(VALU_DEP_1)
	v_add_lshl_u32 v46, v8, v39, 2
	ds_bpermute_b32 v26, v46, v4
	ds_bpermute_b32 v8, v46, v6
	v_cmpx_le_u32_e64 v47, v3
	;; [unrolled: 25-line block ×3, first 2 shown]
	s_cbranch_execz .LBB2714_67
; %bb.66:
	s_wait_dscnt 0x1
	v_add_co_u32 v4, vcc_lo, v5, v26
	s_wait_alu 0xfffd
	v_add_co_ci_u32_e64 v6, null, 0, v6, vcc_lo
	s_delay_alu instid0(VALU_DEP_2) | instskip(SKIP_2) | instid1(VALU_DEP_2)
	v_add_co_u32 v5, vcc_lo, 0, v4
	s_wait_dscnt 0x0
	s_wait_alu 0xfffd
	v_add_co_ci_u32_e64 v6, null, v8, v6, vcc_lo
.LBB2714_67:
	s_wait_alu 0xfffe
	s_or_b32 exec_lo, exec_lo, s6
	v_lshl_or_b32 v50, v39, 2, 64
	v_add_nc_u32_e32 v51, 16, v39
	s_mov_b32 s6, exec_lo
	s_wait_dscnt 0x0
	ds_bpermute_b32 v8, v50, v4
	ds_bpermute_b32 v4, v50, v6
	v_cmpx_le_u32_e64 v51, v3
	s_cbranch_execz .LBB2714_69
; %bb.68:
	s_wait_dscnt 0x1
	v_add_co_u32 v3, vcc_lo, v5, v8
	s_wait_alu 0xfffd
	v_add_co_ci_u32_e64 v6, null, 0, v6, vcc_lo
	s_delay_alu instid0(VALU_DEP_2) | instskip(SKIP_2) | instid1(VALU_DEP_2)
	v_add_co_u32 v5, vcc_lo, v3, 0
	s_wait_dscnt 0x0
	s_wait_alu 0xfffd
	v_add_co_ci_u32_e64 v6, null, v6, v4, vcc_lo
.LBB2714_69:
	s_wait_alu 0xfffe
	s_or_b32 exec_lo, exec_lo, s6
	v_mov_b32_e32 v26, 0
	s_branch .LBB2714_72
.LBB2714_70:                            ;   in Loop: Header=BB2714_72 Depth=1
	s_wait_alu 0xfffe
	s_or_b32 exec_lo, exec_lo, s6
	v_add_co_u32 v5, vcc_lo, v5, v3
	v_subrev_nc_u32_e32 v25, 32, v25
	s_wait_alu 0xfffd
	v_add_co_ci_u32_e64 v6, null, v6, v4, vcc_lo
	s_mov_b32 s6, 0
.LBB2714_71:                            ;   in Loop: Header=BB2714_72 Depth=1
	s_wait_alu 0xfffe
	s_and_b32 vcc_lo, exec_lo, s6
	s_wait_alu 0xfffe
	s_cbranch_vccnz .LBB2714_88
.LBB2714_72:                            ; =>This Loop Header: Depth=1
                                        ;     Child Loop BB2714_75 Depth 2
	v_and_b32_e32 v3, 0xff, v7
	s_mov_b32 s6, -1
	s_delay_alu instid0(VALU_DEP_1)
	v_cmp_ne_u16_e32 vcc_lo, 2, v3
	s_wait_dscnt 0x0
	v_dual_mov_b32 v3, v5 :: v_dual_mov_b32 v4, v6
                                        ; implicit-def: $vgpr5_vgpr6
	s_cmp_lg_u32 vcc_lo, exec_lo
	s_cbranch_scc1 .LBB2714_71
; %bb.73:                               ;   in Loop: Header=BB2714_72 Depth=1
	v_lshlrev_b64_e32 v[5:6], 4, v[25:26]
	s_mov_b32 s6, exec_lo
	s_delay_alu instid0(VALU_DEP_1) | instskip(SKIP_1) | instid1(VALU_DEP_2)
	v_add_co_u32 v27, vcc_lo, s12, v5
	s_wait_alu 0xfffd
	v_add_co_ci_u32_e64 v28, null, s13, v6, vcc_lo
	;;#ASMSTART
	global_load_b128 v[5:8], v[27:28] off scope:SCOPE_DEV	
s_wait_loadcnt 0x0
	;;#ASMEND
	v_and_b32_e32 v8, 0xff, v7
	s_delay_alu instid0(VALU_DEP_1)
	v_cmpx_eq_u16_e32 0, v8
	s_cbranch_execz .LBB2714_77
; %bb.74:                               ;   in Loop: Header=BB2714_72 Depth=1
	s_mov_b32 s7, 0
.LBB2714_75:                            ;   Parent Loop BB2714_72 Depth=1
                                        ; =>  This Inner Loop Header: Depth=2
	;;#ASMSTART
	global_load_b128 v[5:8], v[27:28] off scope:SCOPE_DEV	
s_wait_loadcnt 0x0
	;;#ASMEND
	v_and_b32_e32 v8, 0xff, v7
	s_delay_alu instid0(VALU_DEP_1)
	v_cmp_ne_u16_e32 vcc_lo, 0, v8
	s_wait_alu 0xfffe
	s_or_b32 s7, vcc_lo, s7
	s_wait_alu 0xfffe
	s_and_not1_b32 exec_lo, exec_lo, s7
	s_cbranch_execnz .LBB2714_75
; %bb.76:                               ;   in Loop: Header=BB2714_72 Depth=1
	s_or_b32 exec_lo, exec_lo, s7
.LBB2714_77:                            ;   in Loop: Header=BB2714_72 Depth=1
	s_wait_alu 0xfffe
	s_or_b32 exec_lo, exec_lo, s6
	v_dual_mov_b32 v27, v5 :: v_dual_and_b32 v8, 0xff, v7
	ds_bpermute_b32 v52, v42, v5
	ds_bpermute_b32 v28, v42, v6
	s_mov_b32 s6, exec_lo
	v_cmp_eq_u16_e32 vcc_lo, 2, v8
	s_wait_alu 0xfffd
	v_and_or_b32 v8, vcc_lo, v43, 0x80000000
	s_delay_alu instid0(VALU_DEP_1) | instskip(NEXT) | instid1(VALU_DEP_1)
	v_ctz_i32_b32_e32 v8, v8
	v_cmpx_lt_u32_e64 v39, v8
	s_cbranch_execz .LBB2714_79
; %bb.78:                               ;   in Loop: Header=BB2714_72 Depth=1
	s_wait_dscnt 0x1
	v_add_co_u32 v27, vcc_lo, v5, v52
	s_wait_alu 0xfffd
	v_add_co_ci_u32_e64 v6, null, 0, v6, vcc_lo
	s_delay_alu instid0(VALU_DEP_2) | instskip(SKIP_2) | instid1(VALU_DEP_2)
	v_add_co_u32 v5, vcc_lo, 0, v27
	s_wait_dscnt 0x0
	s_wait_alu 0xfffd
	v_add_co_ci_u32_e64 v6, null, v28, v6, vcc_lo
.LBB2714_79:                            ;   in Loop: Header=BB2714_72 Depth=1
	s_wait_alu 0xfffe
	s_or_b32 exec_lo, exec_lo, s6
	s_wait_dscnt 0x1
	ds_bpermute_b32 v52, v44, v27
	s_wait_dscnt 0x1
	ds_bpermute_b32 v28, v44, v6
	s_mov_b32 s6, exec_lo
	v_cmpx_le_u32_e64 v45, v8
	s_cbranch_execz .LBB2714_81
; %bb.80:                               ;   in Loop: Header=BB2714_72 Depth=1
	s_wait_dscnt 0x1
	v_add_co_u32 v27, vcc_lo, v5, v52
	s_wait_alu 0xfffd
	v_add_co_ci_u32_e64 v6, null, 0, v6, vcc_lo
	s_delay_alu instid0(VALU_DEP_2) | instskip(SKIP_2) | instid1(VALU_DEP_2)
	v_add_co_u32 v5, vcc_lo, 0, v27
	s_wait_dscnt 0x0
	s_wait_alu 0xfffd
	v_add_co_ci_u32_e64 v6, null, v28, v6, vcc_lo
.LBB2714_81:                            ;   in Loop: Header=BB2714_72 Depth=1
	s_wait_alu 0xfffe
	s_or_b32 exec_lo, exec_lo, s6
	s_wait_dscnt 0x1
	ds_bpermute_b32 v52, v46, v27
	s_wait_dscnt 0x1
	ds_bpermute_b32 v28, v46, v6
	s_mov_b32 s6, exec_lo
	v_cmpx_le_u32_e64 v47, v8
	;; [unrolled: 20-line block ×3, first 2 shown]
	s_cbranch_execz .LBB2714_85
; %bb.84:                               ;   in Loop: Header=BB2714_72 Depth=1
	s_wait_dscnt 0x1
	v_add_co_u32 v27, vcc_lo, v5, v52
	s_wait_alu 0xfffd
	v_add_co_ci_u32_e64 v6, null, 0, v6, vcc_lo
	s_delay_alu instid0(VALU_DEP_2) | instskip(SKIP_2) | instid1(VALU_DEP_2)
	v_add_co_u32 v5, vcc_lo, 0, v27
	s_wait_dscnt 0x0
	s_wait_alu 0xfffd
	v_add_co_ci_u32_e64 v6, null, v28, v6, vcc_lo
.LBB2714_85:                            ;   in Loop: Header=BB2714_72 Depth=1
	s_wait_alu 0xfffe
	s_or_b32 exec_lo, exec_lo, s6
	s_wait_dscnt 0x0
	ds_bpermute_b32 v28, v50, v27
	ds_bpermute_b32 v27, v50, v6
	s_mov_b32 s6, exec_lo
	v_cmpx_le_u32_e64 v51, v8
	s_cbranch_execz .LBB2714_70
; %bb.86:                               ;   in Loop: Header=BB2714_72 Depth=1
	s_wait_dscnt 0x1
	v_add_co_u32 v5, vcc_lo, v5, v28
	s_wait_alu 0xfffd
	v_add_co_ci_u32_e64 v6, null, 0, v6, vcc_lo
	s_delay_alu instid0(VALU_DEP_2) | instskip(SKIP_2) | instid1(VALU_DEP_2)
	v_add_co_u32 v5, vcc_lo, v5, 0
	s_wait_dscnt 0x0
	s_wait_alu 0xfffd
	v_add_co_ci_u32_e64 v6, null, v6, v27, vcc_lo
	s_branch .LBB2714_70
.LBB2714_87:
                                        ; implicit-def: $vgpr23_vgpr24
                                        ; implicit-def: $vgpr5_vgpr6
                                        ; implicit-def: $vgpr3_vgpr4
                                        ; implicit-def: $vgpr24_vgpr25
                                        ; implicit-def: $vgpr6_vgpr7
                                        ; implicit-def: $vgpr25_vgpr26
                                        ; implicit-def: $vgpr7_vgpr8
                                        ; implicit-def: $vgpr26_vgpr27
                                        ; implicit-def: $vgpr27_vgpr28
	s_and_b32 vcc_lo, exec_lo, s1
	s_wait_alu 0xfffe
	s_cbranch_vccnz .LBB2714_93
	s_branch .LBB2714_118
.LBB2714_88:
	s_and_saveexec_b32 s6, s1
	s_cbranch_execz .LBB2714_90
; %bb.89:
	s_add_co_i32 s8, s18, 32
	s_mov_b32 s9, 0
	v_add_co_u32 v5, vcc_lo, v3, v1
	s_wait_alu 0xfffe
	s_lshl_b64 s[8:9], s[8:9], 4
	v_dual_mov_b32 v7, 2 :: v_dual_mov_b32 v8, 0
	s_wait_alu 0xfffe
	s_add_nc_u64 s[8:9], s[12:13], s[8:9]
	s_wait_alu 0xfffd
	v_add_co_ci_u32_e64 v6, null, v4, v2, vcc_lo
	s_wait_alu 0xfffe
	v_dual_mov_b32 v26, s9 :: v_dual_mov_b32 v25, s8
	;;#ASMSTART
	global_store_b128 v[25:26], v[5:8] off scope:SCOPE_DEV	
s_wait_storecnt 0x0
	;;#ASMEND
	ds_store_b128 v8, v[1:4] offset:6336
.LBB2714_90:
	s_wait_alu 0xfffe
	s_or_b32 exec_lo, exec_lo, s6
	s_delay_alu instid0(SALU_CYCLE_1)
	s_and_b32 exec_lo, exec_lo, s2
; %bb.91:
	v_mov_b32_e32 v1, 0
	ds_store_b64 v1, v[3:4] offset:40
.LBB2714_92:
	s_wait_alu 0xfffe
	s_or_b32 exec_lo, exec_lo, s3
	v_mov_b32_e32 v3, 0
	s_wait_loadcnt_dscnt 0x0
	s_barrier_signal -1
	s_barrier_wait -1
	global_inv scope:SCOPE_SE
	ds_load_b64 v[1:2], v3 offset:40
	v_cndmask_b32_e64 v4, v41, v23, s1
	v_cndmask_b32_e64 v5, 0, v24, s1
	s_wait_loadcnt_dscnt 0x0
	s_barrier_signal -1
	s_barrier_wait -1
	v_cndmask_b32_e64 v4, v4, 0, s2
	v_cndmask_b32_e64 v5, v5, 0, s2
	global_inv scope:SCOPE_SE
	v_add_co_u32 v27, vcc_lo, v1, v4
	s_wait_alu 0xfffd
	v_add_co_ci_u32_e64 v1, null, v2, v5, vcc_lo
	s_delay_alu instid0(VALU_DEP_2) | instskip(SKIP_1) | instid1(VALU_DEP_2)
	v_add_co_u32 v26, vcc_lo, v27, v35
	s_wait_alu 0xfffd
	v_add_co_ci_u32_e64 v1, null, 0, v1, vcc_lo
	s_delay_alu instid0(VALU_DEP_2) | instskip(SKIP_1) | instid1(VALU_DEP_2)
	;; [unrolled: 4-line block ×3, first 2 shown]
	v_add_co_u32 v24, vcc_lo, v25, v33
	s_wait_alu 0xfffd
	v_add_co_ci_u32_e64 v5, null, 0, v1, vcc_lo
	ds_load_b128 v[1:4], v3 offset:6336
	v_add_co_u32 v23, vcc_lo, v24, v32
	s_wait_alu 0xfffd
	v_add_co_ci_u32_e64 v5, null, 0, v5, vcc_lo
	s_delay_alu instid0(VALU_DEP_2) | instskip(SKIP_1) | instid1(VALU_DEP_2)
	v_add_co_u32 v7, vcc_lo, v23, v38
	s_wait_alu 0xfffd
	v_add_co_ci_u32_e64 v5, null, 0, v5, vcc_lo
	s_delay_alu instid0(VALU_DEP_2) | instskip(SKIP_1) | instid1(VALU_DEP_2)
	;; [unrolled: 4-line block ×3, first 2 shown]
	v_add_co_u32 v5, vcc_lo, v6, v36
	s_wait_alu 0xfffd
	v_add_co_ci_u32_e64 v8, null, 0, v8, vcc_lo
	s_branch .LBB2714_118
.LBB2714_93:
	s_wait_dscnt 0x0
	v_dual_mov_b32 v2, 0 :: v_dual_mov_b32 v3, v21
	v_mov_b32_dpp v4, v21 row_shr:1 row_mask:0xf bank_mask:0xf
	s_delay_alu instid0(VALU_DEP_2)
	v_mov_b32_dpp v1, v2 row_shr:1 row_mask:0xf bank_mask:0xf
	s_and_saveexec_b32 s1, s0
; %bb.94:
	s_delay_alu instid0(VALU_DEP_2) | instskip(SKIP_2) | instid1(VALU_DEP_2)
	v_add_co_u32 v3, vcc_lo, v21, v4
	s_wait_alu 0xfffd
	v_add_co_ci_u32_e64 v2, null, 0, v22, vcc_lo
	v_add_co_u32 v21, vcc_lo, 0, v3
	s_wait_alu 0xfffd
	s_delay_alu instid0(VALU_DEP_2) | instskip(NEXT) | instid1(VALU_DEP_1)
	v_add_co_ci_u32_e64 v22, null, v1, v2, vcc_lo
	v_mov_b32_e32 v2, v22
; %bb.95:
	s_wait_alu 0xfffe
	s_or_b32 exec_lo, exec_lo, s1
	v_mov_b32_dpp v1, v3 row_shr:2 row_mask:0xf bank_mask:0xf
	s_delay_alu instid0(VALU_DEP_2)
	v_mov_b32_dpp v4, v2 row_shr:2 row_mask:0xf bank_mask:0xf
	s_mov_b32 s0, exec_lo
	v_cmpx_lt_u32_e32 1, v40
; %bb.96:
	s_delay_alu instid0(VALU_DEP_3) | instskip(SKIP_2) | instid1(VALU_DEP_2)
	v_add_co_u32 v3, vcc_lo, v21, v1
	s_wait_alu 0xfffd
	v_add_co_ci_u32_e64 v2, null, 0, v22, vcc_lo
	v_add_co_u32 v1, vcc_lo, 0, v3
	s_wait_alu 0xfffd
	s_delay_alu instid0(VALU_DEP_2) | instskip(NEXT) | instid1(VALU_DEP_1)
	v_add_co_ci_u32_e64 v2, null, v4, v2, vcc_lo
	v_dual_mov_b32 v22, v2 :: v_dual_mov_b32 v21, v1
; %bb.97:
	s_wait_alu 0xfffe
	s_or_b32 exec_lo, exec_lo, s0
	v_mov_b32_dpp v1, v3 row_shr:4 row_mask:0xf bank_mask:0xf
	v_mov_b32_dpp v4, v2 row_shr:4 row_mask:0xf bank_mask:0xf
	s_mov_b32 s0, exec_lo
	v_cmpx_lt_u32_e32 3, v40
; %bb.98:
	s_delay_alu instid0(VALU_DEP_3) | instskip(SKIP_2) | instid1(VALU_DEP_2)
	v_add_co_u32 v3, vcc_lo, v21, v1
	s_wait_alu 0xfffd
	v_add_co_ci_u32_e64 v2, null, 0, v22, vcc_lo
	v_add_co_u32 v1, vcc_lo, 0, v3
	s_wait_alu 0xfffd
	s_delay_alu instid0(VALU_DEP_2) | instskip(NEXT) | instid1(VALU_DEP_1)
	v_add_co_ci_u32_e64 v2, null, v4, v2, vcc_lo
	v_dual_mov_b32 v22, v2 :: v_dual_mov_b32 v21, v1
; %bb.99:
	s_wait_alu 0xfffe
	s_or_b32 exec_lo, exec_lo, s0
	v_mov_b32_dpp v4, v3 row_shr:8 row_mask:0xf bank_mask:0xf
	v_mov_b32_dpp v1, v2 row_shr:8 row_mask:0xf bank_mask:0xf
	s_mov_b32 s0, exec_lo
	v_cmpx_lt_u32_e32 7, v40
; %bb.100:
	s_delay_alu instid0(VALU_DEP_3) | instskip(SKIP_2) | instid1(VALU_DEP_2)
	v_add_co_u32 v3, vcc_lo, v21, v4
	s_wait_alu 0xfffd
	v_add_co_ci_u32_e64 v2, null, 0, v22, vcc_lo
	v_add_co_u32 v21, vcc_lo, 0, v3
	s_wait_alu 0xfffd
	s_delay_alu instid0(VALU_DEP_2) | instskip(NEXT) | instid1(VALU_DEP_1)
	v_add_co_ci_u32_e64 v22, null, v1, v2, vcc_lo
	v_mov_b32_e32 v2, v22
; %bb.101:
	s_wait_alu 0xfffe
	s_or_b32 exec_lo, exec_lo, s0
	ds_swizzle_b32 v3, v3 offset:swizzle(BROADCAST,32,15)
	ds_swizzle_b32 v1, v2 offset:swizzle(BROADCAST,32,15)
	v_and_b32_e32 v2, 16, v39
	s_mov_b32 s0, exec_lo
	s_delay_alu instid0(VALU_DEP_1)
	v_cmpx_ne_u32_e32 0, v2
	s_cbranch_execz .LBB2714_103
; %bb.102:
	s_wait_dscnt 0x1
	v_add_co_u32 v2, vcc_lo, v21, v3
	s_wait_alu 0xfffd
	v_add_co_ci_u32_e64 v3, null, 0, v22, vcc_lo
	s_delay_alu instid0(VALU_DEP_2) | instskip(SKIP_2) | instid1(VALU_DEP_2)
	v_add_co_u32 v21, vcc_lo, v2, 0
	s_wait_dscnt 0x0
	s_wait_alu 0xfffd
	v_add_co_ci_u32_e64 v22, null, v3, v1, vcc_lo
.LBB2714_103:
	s_wait_alu 0xfffe
	s_or_b32 exec_lo, exec_lo, s0
	s_wait_dscnt 0x0
	v_and_b32_e32 v1, 0xe0, v0
	s_mov_b32 s0, exec_lo
	s_delay_alu instid0(VALU_DEP_1) | instskip(NEXT) | instid1(VALU_DEP_1)
	v_min_u32_e32 v1, 0xa0, v1
	v_or_b32_e32 v1, 31, v1
	s_delay_alu instid0(VALU_DEP_1)
	v_cmpx_eq_u32_e64 v0, v1
; %bb.104:
	v_lshlrev_b32_e32 v1, 3, v29
	ds_store_b64 v1, v[21:22]
; %bb.105:
	s_wait_alu 0xfffe
	s_or_b32 exec_lo, exec_lo, s0
	s_delay_alu instid0(SALU_CYCLE_1)
	s_mov_b32 s0, exec_lo
	s_wait_loadcnt_dscnt 0x0
	s_barrier_signal -1
	s_barrier_wait -1
	global_inv scope:SCOPE_SE
	v_cmpx_gt_u32_e32 6, v0
	s_cbranch_execz .LBB2714_113
; %bb.106:
	ds_load_b64 v[1:2], v30
	v_and_b32_e32 v3, 7, v39
	s_mov_b32 s1, exec_lo
	s_wait_dscnt 0x0
	v_mov_b32_dpp v6, v1 row_shr:1 row_mask:0xf bank_mask:0xf
	v_mov_b32_dpp v5, v2 row_shr:1 row_mask:0xf bank_mask:0xf
	v_mov_b32_e32 v4, v1
	v_cmpx_ne_u32_e32 0, v3
; %bb.107:
	s_delay_alu instid0(VALU_DEP_4) | instskip(SKIP_2) | instid1(VALU_DEP_2)
	v_add_co_u32 v4, vcc_lo, v1, v6
	s_wait_alu 0xfffd
	v_add_co_ci_u32_e64 v2, null, 0, v2, vcc_lo
	v_add_co_u32 v1, vcc_lo, 0, v4
	s_wait_alu 0xfffd
	s_delay_alu instid0(VALU_DEP_2)
	v_add_co_ci_u32_e64 v2, null, v5, v2, vcc_lo
; %bb.108:
	s_wait_alu 0xfffe
	s_or_b32 exec_lo, exec_lo, s1
	v_mov_b32_dpp v6, v4 row_shr:2 row_mask:0xf bank_mask:0xf
	s_delay_alu instid0(VALU_DEP_2)
	v_mov_b32_dpp v5, v2 row_shr:2 row_mask:0xf bank_mask:0xf
	s_mov_b32 s1, exec_lo
	v_cmpx_lt_u32_e32 1, v3
; %bb.109:
	s_delay_alu instid0(VALU_DEP_3) | instskip(SKIP_2) | instid1(VALU_DEP_2)
	v_add_co_u32 v4, vcc_lo, v1, v6
	s_wait_alu 0xfffd
	v_add_co_ci_u32_e64 v2, null, 0, v2, vcc_lo
	v_add_co_u32 v1, vcc_lo, 0, v4
	s_wait_alu 0xfffd
	s_delay_alu instid0(VALU_DEP_2)
	v_add_co_ci_u32_e64 v2, null, v5, v2, vcc_lo
; %bb.110:
	s_wait_alu 0xfffe
	s_or_b32 exec_lo, exec_lo, s1
	v_mov_b32_dpp v5, v4 row_shr:4 row_mask:0xf bank_mask:0xf
	s_delay_alu instid0(VALU_DEP_2)
	v_mov_b32_dpp v4, v2 row_shr:4 row_mask:0xf bank_mask:0xf
	s_mov_b32 s1, exec_lo
	v_cmpx_lt_u32_e32 3, v3
; %bb.111:
	s_delay_alu instid0(VALU_DEP_3) | instskip(SKIP_2) | instid1(VALU_DEP_2)
	v_add_co_u32 v1, vcc_lo, v1, v5
	s_wait_alu 0xfffd
	v_add_co_ci_u32_e64 v2, null, 0, v2, vcc_lo
	v_add_co_u32 v1, vcc_lo, v1, 0
	s_wait_alu 0xfffd
	s_delay_alu instid0(VALU_DEP_2)
	v_add_co_ci_u32_e64 v2, null, v2, v4, vcc_lo
; %bb.112:
	s_wait_alu 0xfffe
	s_or_b32 exec_lo, exec_lo, s1
	ds_store_b64 v30, v[1:2]
.LBB2714_113:
	s_wait_alu 0xfffe
	s_or_b32 exec_lo, exec_lo, s0
	v_mov_b32_e32 v5, 0
	v_mov_b32_e32 v6, 0
	s_mov_b32 s0, exec_lo
	s_wait_loadcnt_dscnt 0x0
	s_barrier_signal -1
	s_barrier_wait -1
	global_inv scope:SCOPE_SE
	v_cmpx_lt_u32_e32 31, v0
; %bb.114:
	v_lshl_add_u32 v0, v29, 3, -8
	ds_load_b64 v[5:6], v0
; %bb.115:
	s_wait_alu 0xfffe
	s_or_b32 exec_lo, exec_lo, s0
	v_sub_co_u32 v0, vcc_lo, v39, 1
	s_wait_dscnt 0x0
	v_dual_mov_b32 v4, 0 :: v_dual_add_nc_u32 v1, v5, v21
	s_delay_alu instid0(VALU_DEP_2) | instskip(SKIP_1) | instid1(VALU_DEP_1)
	v_cmp_gt_i32_e64 s0, 0, v0
	s_wait_alu 0xf1ff
	v_cndmask_b32_e64 v0, v0, v39, s0
	s_delay_alu instid0(VALU_DEP_1)
	v_lshlrev_b32_e32 v0, 2, v0
	ds_bpermute_b32 v0, v0, v1
	ds_load_b64 v[1:2], v4 offset:40
	s_and_saveexec_b32 s0, s2
	s_cbranch_execz .LBB2714_117
; %bb.116:
	s_add_nc_u64 s[6:7], s[12:13], 0x200
	s_wait_alu 0xfffe
	v_dual_mov_b32 v3, 2 :: v_dual_mov_b32 v8, s7
	v_mov_b32_e32 v7, s6
	s_wait_dscnt 0x0
	;;#ASMSTART
	global_store_b128 v[7:8], v[1:4] off scope:SCOPE_DEV	
s_wait_storecnt 0x0
	;;#ASMEND
.LBB2714_117:
	s_wait_alu 0xfffe
	s_or_b32 exec_lo, exec_lo, s0
	s_wait_dscnt 0x1
	s_wait_alu 0xfffd
	v_dual_cndmask_b32 v0, v0, v5 :: v_dual_cndmask_b32 v3, 0, v6
	s_wait_loadcnt_dscnt 0x0
	s_barrier_signal -1
	s_barrier_wait -1
	s_delay_alu instid0(VALU_DEP_1)
	v_cndmask_b32_e64 v27, v0, 0, s2
	v_cndmask_b32_e64 v0, v3, 0, s2
	v_mov_b32_e32 v3, 0
	v_mov_b32_e32 v4, 0
	global_inv scope:SCOPE_SE
	v_add_co_u32 v26, vcc_lo, v27, v35
	s_wait_alu 0xfffd
	v_add_co_ci_u32_e64 v0, null, 0, v0, vcc_lo
	s_delay_alu instid0(VALU_DEP_2) | instskip(SKIP_1) | instid1(VALU_DEP_2)
	v_add_co_u32 v25, vcc_lo, v26, v34
	s_wait_alu 0xfffd
	v_add_co_ci_u32_e64 v0, null, 0, v0, vcc_lo
	s_delay_alu instid0(VALU_DEP_2) | instskip(SKIP_1) | instid1(VALU_DEP_2)
	;; [unrolled: 4-line block ×6, first 2 shown]
	v_add_co_u32 v5, vcc_lo, v6, v36
	s_wait_alu 0xfffd
	v_add_co_ci_u32_e64 v0, null, 0, v0, vcc_lo
.LBB2714_118:
	s_wait_dscnt 0x0
	v_cmp_gt_u64_e32 vcc_lo, 0xc1, v[1:2]
	v_lshrrev_b32_e32 v22, 8, v19
	v_lshrrev_b32_e32 v21, 16, v19
	;; [unrolled: 1-line block ×4, first 2 shown]
	s_cbranch_vccz .LBB2714_121
; %bb.119:
	s_and_b32 s0, s2, s16
	s_wait_alu 0xfffe
	s_and_saveexec_b32 s1, s0
	s_cbranch_execnz .LBB2714_138
.LBB2714_120:
	s_endpgm
.LBB2714_121:
	v_and_b32_e32 v19, 1, v19
	s_mov_b32 s0, exec_lo
	s_delay_alu instid0(VALU_DEP_1)
	v_cmpx_eq_u32_e32 1, v19
; %bb.122:
	v_sub_nc_u32_e32 v19, v27, v3
	s_delay_alu instid0(VALU_DEP_1)
	v_lshlrev_b32_e32 v19, 2, v19
	ds_store_b32 v19, v17
; %bb.123:
	s_wait_alu 0xfffe
	s_or_b32 exec_lo, exec_lo, s0
	v_and_b32_e32 v17, 1, v22
	s_mov_b32 s0, exec_lo
	s_delay_alu instid0(VALU_DEP_1)
	v_cmpx_eq_u32_e32 1, v17
; %bb.124:
	v_sub_nc_u32_e32 v17, v26, v3
	s_delay_alu instid0(VALU_DEP_1)
	v_lshlrev_b32_e32 v17, 2, v17
	ds_store_b32 v17, v18
; %bb.125:
	s_wait_alu 0xfffe
	s_or_b32 exec_lo, exec_lo, s0
	v_and_b32_e32 v17, 1, v21
	s_mov_b32 s0, exec_lo
	s_delay_alu instid0(VALU_DEP_1)
	v_cmpx_eq_u32_e32 1, v17
; %bb.126:
	v_sub_nc_u32_e32 v17, v25, v3
	s_delay_alu instid0(VALU_DEP_1)
	v_lshlrev_b32_e32 v17, 2, v17
	ds_store_b32 v17, v15
; %bb.127:
	s_wait_alu 0xfffe
	s_or_b32 exec_lo, exec_lo, s0
	v_and_b32_e32 v15, 1, v32
	s_mov_b32 s0, exec_lo
	s_delay_alu instid0(VALU_DEP_1)
	v_cmpx_eq_u32_e32 1, v15
; %bb.128:
	v_sub_nc_u32_e32 v15, v24, v3
	s_delay_alu instid0(VALU_DEP_1)
	v_lshlrev_b32_e32 v15, 2, v15
	ds_store_b32 v15, v16
; %bb.129:
	s_wait_alu 0xfffe
	s_or_b32 exec_lo, exec_lo, s0
	v_and_b32_e32 v15, 1, v20
	s_mov_b32 s0, exec_lo
	s_delay_alu instid0(VALU_DEP_1)
	v_cmpx_eq_u32_e32 1, v15
; %bb.130:
	v_sub_nc_u32_e32 v15, v23, v3
	s_delay_alu instid0(VALU_DEP_1)
	v_lshlrev_b32_e32 v15, 2, v15
	ds_store_b32 v15, v13
; %bb.131:
	s_wait_alu 0xfffe
	s_or_b32 exec_lo, exec_lo, s0
	v_and_b32_e32 v8, 1, v8
	s_mov_b32 s0, exec_lo
	s_delay_alu instid0(VALU_DEP_1)
	v_cmpx_eq_u32_e32 1, v8
; %bb.132:
	v_sub_nc_u32_e32 v7, v7, v3
	s_delay_alu instid0(VALU_DEP_1)
	v_lshlrev_b32_e32 v7, 2, v7
	ds_store_b32 v7, v14
; %bb.133:
	s_wait_alu 0xfffe
	s_or_b32 exec_lo, exec_lo, s0
	v_and_b32_e32 v0, 1, v0
	s_mov_b32 s0, exec_lo
	s_delay_alu instid0(VALU_DEP_1)
	v_cmpx_eq_u32_e32 1, v0
; %bb.134:
	v_sub_nc_u32_e32 v0, v6, v3
	s_delay_alu instid0(VALU_DEP_1)
	v_lshlrev_b32_e32 v0, 2, v0
	ds_store_b32 v0, v11
; %bb.135:
	s_wait_alu 0xfffe
	s_or_b32 exec_lo, exec_lo, s0
	v_and_b32_e32 v0, 1, v31
	s_mov_b32 s0, exec_lo
	s_delay_alu instid0(VALU_DEP_1)
	v_cmpx_eq_u32_e32 1, v0
; %bb.136:
	v_sub_nc_u32_e32 v0, v5, v3
	s_delay_alu instid0(VALU_DEP_1)
	v_lshlrev_b32_e32 v0, 2, v0
	ds_store_b32 v0, v12
; %bb.137:
	s_wait_alu 0xfffe
	s_or_b32 exec_lo, exec_lo, s0
	s_wait_loadcnt_dscnt 0x0
	s_barrier_signal -1
	s_barrier_wait -1
	global_inv scope:SCOPE_SE
	s_and_b32 s0, s2, s16
	s_wait_alu 0xfffe
	s_and_saveexec_b32 s1, s0
	s_cbranch_execz .LBB2714_120
.LBB2714_138:
	v_add_co_u32 v0, vcc_lo, v1, v9
	s_wait_alu 0xfffd
	v_add_co_ci_u32_e64 v1, null, v2, v10, vcc_lo
	v_mov_b32_e32 v2, 0
	s_delay_alu instid0(VALU_DEP_3) | instskip(SKIP_1) | instid1(VALU_DEP_3)
	v_add_co_u32 v0, vcc_lo, v0, v3
	s_wait_alu 0xfffd
	v_add_co_ci_u32_e64 v1, null, v1, v4, vcc_lo
	global_store_b64 v2, v[0:1], s[4:5]
	s_endpgm
.LBB2714_139:
	v_add_co_u32 v2, s0, s8, v11
	s_wait_alu 0xf1ff
	v_add_co_ci_u32_e64 v3, null, s9, 0, s0
	v_dual_mov_b32 v27, v1 :: v_dual_mov_b32 v28, v1
	v_dual_mov_b32 v29, v1 :: v_dual_mov_b32 v30, v1
	flat_load_b32 v26, v[2:3]
	v_dual_mov_b32 v31, v1 :: v_dual_mov_b32 v32, v1
	v_mov_b32_e32 v33, v1
	s_wait_loadcnt_dscnt 0x0
	v_dual_mov_b32 v1, v26 :: v_dual_mov_b32 v2, v27
	v_dual_mov_b32 v3, v28 :: v_dual_mov_b32 v4, v29
	;; [unrolled: 1-line block ×4, first 2 shown]
	s_wait_alu 0xfffe
	s_or_b32 exec_lo, exec_lo, s1
	s_delay_alu instid0(SALU_CYCLE_1)
	s_mov_b32 s0, exec_lo
	v_cmpx_gt_u32_e64 s3, v25
	s_cbranch_execz .LBB2714_9
.LBB2714_140:
	v_add_co_u32 v13, s1, s8, v11
	s_wait_alu 0xf1ff
	v_add_co_ci_u32_e64 v14, null, s9, 0, s1
	flat_load_b32 v2, v[13:14] offset:768
	s_wait_alu 0xfffe
	s_or_b32 exec_lo, exec_lo, s0
	s_delay_alu instid0(SALU_CYCLE_1)
	s_mov_b32 s0, exec_lo
	v_cmpx_gt_u32_e64 s3, v24
	s_cbranch_execz .LBB2714_10
.LBB2714_141:
	v_add_co_u32 v13, s1, s8, v11
	s_wait_alu 0xf1ff
	v_add_co_ci_u32_e64 v14, null, s9, 0, s1
	flat_load_b32 v3, v[13:14] offset:1536
	s_wait_alu 0xfffe
	s_or_b32 exec_lo, exec_lo, s0
	s_delay_alu instid0(SALU_CYCLE_1)
	s_mov_b32 s0, exec_lo
	v_cmpx_gt_u32_e64 s3, v23
	s_cbranch_execz .LBB2714_11
.LBB2714_142:
	v_add_co_u32 v13, s1, s8, v11
	s_wait_alu 0xf1ff
	v_add_co_ci_u32_e64 v14, null, s9, 0, s1
	flat_load_b32 v4, v[13:14] offset:2304
	s_wait_alu 0xfffe
	s_or_b32 exec_lo, exec_lo, s0
	s_delay_alu instid0(SALU_CYCLE_1)
	s_mov_b32 s0, exec_lo
	v_cmpx_gt_u32_e64 s3, v22
	s_cbranch_execz .LBB2714_12
.LBB2714_143:
	v_add_co_u32 v13, s1, s8, v11
	s_wait_alu 0xf1ff
	v_add_co_ci_u32_e64 v14, null, s9, 0, s1
	flat_load_b32 v5, v[13:14] offset:3072
	s_wait_alu 0xfffe
	s_or_b32 exec_lo, exec_lo, s0
	s_delay_alu instid0(SALU_CYCLE_1)
	s_mov_b32 s0, exec_lo
	v_cmpx_gt_u32_e64 s3, v21
	s_cbranch_execz .LBB2714_13
.LBB2714_144:
	v_add_co_u32 v13, s1, s8, v11
	s_wait_alu 0xf1ff
	v_add_co_ci_u32_e64 v14, null, s9, 0, s1
	flat_load_b32 v6, v[13:14] offset:3840
	s_wait_alu 0xfffe
	s_or_b32 exec_lo, exec_lo, s0
	s_delay_alu instid0(SALU_CYCLE_1)
	s_mov_b32 s0, exec_lo
	v_cmpx_gt_u32_e64 s3, v20
	s_cbranch_execz .LBB2714_14
.LBB2714_145:
	v_add_co_u32 v13, s1, s8, v11
	s_wait_alu 0xf1ff
	v_add_co_ci_u32_e64 v14, null, s9, 0, s1
	flat_load_b32 v7, v[13:14] offset:4608
	s_wait_alu 0xfffe
	s_or_b32 exec_lo, exec_lo, s0
	s_delay_alu instid0(SALU_CYCLE_1)
	s_mov_b32 s0, exec_lo
	v_cmpx_gt_u32_e64 s3, v19
	s_cbranch_execnz .LBB2714_15
	s_branch .LBB2714_16
.LBB2714_146:
	global_load_u8 v2, v0, s[0:1]
	v_mov_b32_e32 v3, s7
	s_wait_loadcnt 0x0
	v_xor_b32_e32 v4, 1, v2
	s_delay_alu instid0(VALU_DEP_1) | instskip(NEXT) | instid1(VALU_DEP_1)
	v_and_b32_e32 v2, 1, v4
	v_and_b32_e32 v2, 0xffff, v2
	s_or_b32 exec_lo, exec_lo, s6
	s_delay_alu instid0(SALU_CYCLE_1)
	s_mov_b32 s6, exec_lo
	v_cmpx_gt_u32_e64 s3, v25
	s_cbranch_execz .LBB2714_22
.LBB2714_147:
	global_load_u8 v5, v0, s[0:1] offset:192
	v_and_b32_e32 v6, 0xff, v2
	s_wait_loadcnt 0x0
	v_xor_b32_e32 v5, 1, v5
	s_delay_alu instid0(VALU_DEP_1) | instskip(NEXT) | instid1(VALU_DEP_1)
	v_lshlrev_b16 v5, 8, v5
	v_or_b32_e32 v5, v6, v5
	s_delay_alu instid0(VALU_DEP_1) | instskip(NEXT) | instid1(VALU_DEP_1)
	v_and_b32_e32 v5, 0xffff, v5
	v_and_or_b32 v2, 0xffff0000, v2, v5
	s_wait_alu 0xfffe
	s_or_b32 exec_lo, exec_lo, s6
	s_delay_alu instid0(SALU_CYCLE_1)
	s_mov_b32 s6, exec_lo
	v_cmpx_gt_u32_e64 s3, v24
	s_cbranch_execz .LBB2714_23
.LBB2714_148:
	global_load_u8 v5, v0, s[0:1] offset:384
	v_lshrrev_b32_e32 v6, 16, v2
	s_delay_alu instid0(VALU_DEP_1) | instskip(SKIP_2) | instid1(VALU_DEP_1)
	v_and_b32_e32 v6, 0xffffff00, v6
	s_wait_loadcnt 0x0
	v_xor_b32_e32 v5, 1, v5
	v_or_b32_e32 v5, v5, v6
	s_delay_alu instid0(VALU_DEP_1) | instskip(NEXT) | instid1(VALU_DEP_1)
	v_lshlrev_b32_e32 v5, 16, v5
	v_and_or_b32 v2, 0xffff, v2, v5
	s_wait_alu 0xfffe
	s_or_b32 exec_lo, exec_lo, s6
	s_delay_alu instid0(SALU_CYCLE_1)
	s_mov_b32 s6, exec_lo
	v_cmpx_gt_u32_e64 s3, v23
	s_cbranch_execz .LBB2714_24
.LBB2714_149:
	global_load_u8 v5, v0, s[0:1] offset:576
	v_lshrrev_b32_e32 v6, 16, v2
	s_delay_alu instid0(VALU_DEP_1) | instskip(SKIP_2) | instid1(VALU_DEP_1)
	v_and_b32_e32 v6, 0xff, v6
	s_wait_loadcnt 0x0
	v_xor_b32_e32 v5, 1, v5
	v_lshlrev_b16 v5, 8, v5
	s_delay_alu instid0(VALU_DEP_1) | instskip(NEXT) | instid1(VALU_DEP_1)
	v_or_b32_e32 v5, v6, v5
	v_lshlrev_b32_e32 v5, 16, v5
	s_delay_alu instid0(VALU_DEP_1) | instskip(SKIP_2) | instid1(SALU_CYCLE_1)
	v_and_or_b32 v2, 0xffff, v2, v5
	s_wait_alu 0xfffe
	s_or_b32 exec_lo, exec_lo, s6
	s_mov_b32 s6, exec_lo
	v_cmpx_gt_u32_e64 s3, v22
	s_cbranch_execz .LBB2714_25
.LBB2714_150:
	global_load_u8 v5, v0, s[0:1] offset:768
	v_and_b32_e32 v6, 0xffffff00, v3
	s_wait_loadcnt 0x0
	v_xor_b32_e32 v5, 1, v5
	s_delay_alu instid0(VALU_DEP_1) | instskip(NEXT) | instid1(VALU_DEP_1)
	v_or_b32_e32 v5, v5, v6
	v_and_b32_e32 v5, 0xffff, v5
	s_delay_alu instid0(VALU_DEP_1) | instskip(SKIP_2) | instid1(SALU_CYCLE_1)
	v_and_or_b32 v3, 0xffff0000, v3, v5
	s_wait_alu 0xfffe
	s_or_b32 exec_lo, exec_lo, s6
	s_mov_b32 s6, exec_lo
	v_cmpx_gt_u32_e64 s3, v21
	s_cbranch_execz .LBB2714_26
.LBB2714_151:
	global_load_u8 v5, v0, s[0:1] offset:960
	v_and_b32_e32 v6, 0xff, v3
	s_wait_loadcnt 0x0
	v_xor_b32_e32 v5, 1, v5
	s_delay_alu instid0(VALU_DEP_1) | instskip(NEXT) | instid1(VALU_DEP_1)
	v_lshlrev_b16 v5, 8, v5
	v_or_b32_e32 v5, v6, v5
	s_delay_alu instid0(VALU_DEP_1) | instskip(NEXT) | instid1(VALU_DEP_1)
	v_and_b32_e32 v5, 0xffff, v5
	v_and_or_b32 v3, 0xffff0000, v3, v5
	s_wait_alu 0xfffe
	s_or_b32 exec_lo, exec_lo, s6
	s_delay_alu instid0(SALU_CYCLE_1)
	s_mov_b32 s6, exec_lo
	v_cmpx_gt_u32_e64 s3, v20
	s_cbranch_execz .LBB2714_27
.LBB2714_152:
	global_load_u8 v5, v0, s[0:1] offset:1152
	v_lshrrev_b32_e32 v6, 16, v3
	s_delay_alu instid0(VALU_DEP_1) | instskip(SKIP_2) | instid1(VALU_DEP_1)
	v_and_b32_e32 v6, 0xffffff00, v6
	s_wait_loadcnt 0x0
	v_xor_b32_e32 v5, 1, v5
	v_or_b32_e32 v5, v5, v6
	s_delay_alu instid0(VALU_DEP_1) | instskip(NEXT) | instid1(VALU_DEP_1)
	v_lshlrev_b32_e32 v5, 16, v5
	v_and_or_b32 v3, 0xffff, v3, v5
	s_wait_alu 0xfffe
	s_or_b32 exec_lo, exec_lo, s6
	v_cmp_gt_u32_e32 vcc_lo, s3, v19
	s_and_saveexec_b32 s3, vcc_lo
	s_cbranch_execnz .LBB2714_28
	s_branch .LBB2714_29
	.section	.rodata,"a",@progbits
	.p2align	6, 0x0
	.amdhsa_kernel _ZN7rocprim17ROCPRIM_400000_NS6detail17trampoline_kernelINS0_14default_configENS1_25partition_config_selectorILNS1_17partition_subalgoE5EjNS0_10empty_typeEbEEZZNS1_14partition_implILS5_5ELb0ES3_mN6thrust23THRUST_200600_302600_NS6detail15normal_iteratorINSA_10device_ptrIjEEEEPS6_NSA_18transform_iteratorINSB_9not_fun_tI7is_trueIjEEENSC_INSD_IbEEEENSA_11use_defaultESO_EENS0_5tupleIJNSA_16discard_iteratorISO_EES6_EEENSQ_IJSG_SG_EEES6_PlJS6_EEE10hipError_tPvRmT3_T4_T5_T6_T7_T9_mT8_P12ihipStream_tbDpT10_ENKUlT_T0_E_clISt17integral_constantIbLb0EES1E_IbLb1EEEEDaS1A_S1B_EUlS1A_E_NS1_11comp_targetILNS1_3genE10ELNS1_11target_archE1200ELNS1_3gpuE4ELNS1_3repE0EEENS1_30default_config_static_selectorELNS0_4arch9wavefront6targetE0EEEvT1_
		.amdhsa_group_segment_fixed_size 6352
		.amdhsa_private_segment_fixed_size 0
		.amdhsa_kernarg_size 144
		.amdhsa_user_sgpr_count 2
		.amdhsa_user_sgpr_dispatch_ptr 0
		.amdhsa_user_sgpr_queue_ptr 0
		.amdhsa_user_sgpr_kernarg_segment_ptr 1
		.amdhsa_user_sgpr_dispatch_id 0
		.amdhsa_user_sgpr_private_segment_size 0
		.amdhsa_wavefront_size32 1
		.amdhsa_uses_dynamic_stack 0
		.amdhsa_enable_private_segment 0
		.amdhsa_system_sgpr_workgroup_id_x 1
		.amdhsa_system_sgpr_workgroup_id_y 0
		.amdhsa_system_sgpr_workgroup_id_z 0
		.amdhsa_system_sgpr_workgroup_info 0
		.amdhsa_system_vgpr_workitem_id 0
		.amdhsa_next_free_vgpr 53
		.amdhsa_next_free_sgpr 22
		.amdhsa_reserve_vcc 1
		.amdhsa_float_round_mode_32 0
		.amdhsa_float_round_mode_16_64 0
		.amdhsa_float_denorm_mode_32 3
		.amdhsa_float_denorm_mode_16_64 3
		.amdhsa_fp16_overflow 0
		.amdhsa_workgroup_processor_mode 1
		.amdhsa_memory_ordered 1
		.amdhsa_forward_progress 1
		.amdhsa_inst_pref_size 66
		.amdhsa_round_robin_scheduling 0
		.amdhsa_exception_fp_ieee_invalid_op 0
		.amdhsa_exception_fp_denorm_src 0
		.amdhsa_exception_fp_ieee_div_zero 0
		.amdhsa_exception_fp_ieee_overflow 0
		.amdhsa_exception_fp_ieee_underflow 0
		.amdhsa_exception_fp_ieee_inexact 0
		.amdhsa_exception_int_div_zero 0
	.end_amdhsa_kernel
	.section	.text._ZN7rocprim17ROCPRIM_400000_NS6detail17trampoline_kernelINS0_14default_configENS1_25partition_config_selectorILNS1_17partition_subalgoE5EjNS0_10empty_typeEbEEZZNS1_14partition_implILS5_5ELb0ES3_mN6thrust23THRUST_200600_302600_NS6detail15normal_iteratorINSA_10device_ptrIjEEEEPS6_NSA_18transform_iteratorINSB_9not_fun_tI7is_trueIjEEENSC_INSD_IbEEEENSA_11use_defaultESO_EENS0_5tupleIJNSA_16discard_iteratorISO_EES6_EEENSQ_IJSG_SG_EEES6_PlJS6_EEE10hipError_tPvRmT3_T4_T5_T6_T7_T9_mT8_P12ihipStream_tbDpT10_ENKUlT_T0_E_clISt17integral_constantIbLb0EES1E_IbLb1EEEEDaS1A_S1B_EUlS1A_E_NS1_11comp_targetILNS1_3genE10ELNS1_11target_archE1200ELNS1_3gpuE4ELNS1_3repE0EEENS1_30default_config_static_selectorELNS0_4arch9wavefront6targetE0EEEvT1_,"axG",@progbits,_ZN7rocprim17ROCPRIM_400000_NS6detail17trampoline_kernelINS0_14default_configENS1_25partition_config_selectorILNS1_17partition_subalgoE5EjNS0_10empty_typeEbEEZZNS1_14partition_implILS5_5ELb0ES3_mN6thrust23THRUST_200600_302600_NS6detail15normal_iteratorINSA_10device_ptrIjEEEEPS6_NSA_18transform_iteratorINSB_9not_fun_tI7is_trueIjEEENSC_INSD_IbEEEENSA_11use_defaultESO_EENS0_5tupleIJNSA_16discard_iteratorISO_EES6_EEENSQ_IJSG_SG_EEES6_PlJS6_EEE10hipError_tPvRmT3_T4_T5_T6_T7_T9_mT8_P12ihipStream_tbDpT10_ENKUlT_T0_E_clISt17integral_constantIbLb0EES1E_IbLb1EEEEDaS1A_S1B_EUlS1A_E_NS1_11comp_targetILNS1_3genE10ELNS1_11target_archE1200ELNS1_3gpuE4ELNS1_3repE0EEENS1_30default_config_static_selectorELNS0_4arch9wavefront6targetE0EEEvT1_,comdat
.Lfunc_end2714:
	.size	_ZN7rocprim17ROCPRIM_400000_NS6detail17trampoline_kernelINS0_14default_configENS1_25partition_config_selectorILNS1_17partition_subalgoE5EjNS0_10empty_typeEbEEZZNS1_14partition_implILS5_5ELb0ES3_mN6thrust23THRUST_200600_302600_NS6detail15normal_iteratorINSA_10device_ptrIjEEEEPS6_NSA_18transform_iteratorINSB_9not_fun_tI7is_trueIjEEENSC_INSD_IbEEEENSA_11use_defaultESO_EENS0_5tupleIJNSA_16discard_iteratorISO_EES6_EEENSQ_IJSG_SG_EEES6_PlJS6_EEE10hipError_tPvRmT3_T4_T5_T6_T7_T9_mT8_P12ihipStream_tbDpT10_ENKUlT_T0_E_clISt17integral_constantIbLb0EES1E_IbLb1EEEEDaS1A_S1B_EUlS1A_E_NS1_11comp_targetILNS1_3genE10ELNS1_11target_archE1200ELNS1_3gpuE4ELNS1_3repE0EEENS1_30default_config_static_selectorELNS0_4arch9wavefront6targetE0EEEvT1_, .Lfunc_end2714-_ZN7rocprim17ROCPRIM_400000_NS6detail17trampoline_kernelINS0_14default_configENS1_25partition_config_selectorILNS1_17partition_subalgoE5EjNS0_10empty_typeEbEEZZNS1_14partition_implILS5_5ELb0ES3_mN6thrust23THRUST_200600_302600_NS6detail15normal_iteratorINSA_10device_ptrIjEEEEPS6_NSA_18transform_iteratorINSB_9not_fun_tI7is_trueIjEEENSC_INSD_IbEEEENSA_11use_defaultESO_EENS0_5tupleIJNSA_16discard_iteratorISO_EES6_EEENSQ_IJSG_SG_EEES6_PlJS6_EEE10hipError_tPvRmT3_T4_T5_T6_T7_T9_mT8_P12ihipStream_tbDpT10_ENKUlT_T0_E_clISt17integral_constantIbLb0EES1E_IbLb1EEEEDaS1A_S1B_EUlS1A_E_NS1_11comp_targetILNS1_3genE10ELNS1_11target_archE1200ELNS1_3gpuE4ELNS1_3repE0EEENS1_30default_config_static_selectorELNS0_4arch9wavefront6targetE0EEEvT1_
                                        ; -- End function
	.set _ZN7rocprim17ROCPRIM_400000_NS6detail17trampoline_kernelINS0_14default_configENS1_25partition_config_selectorILNS1_17partition_subalgoE5EjNS0_10empty_typeEbEEZZNS1_14partition_implILS5_5ELb0ES3_mN6thrust23THRUST_200600_302600_NS6detail15normal_iteratorINSA_10device_ptrIjEEEEPS6_NSA_18transform_iteratorINSB_9not_fun_tI7is_trueIjEEENSC_INSD_IbEEEENSA_11use_defaultESO_EENS0_5tupleIJNSA_16discard_iteratorISO_EES6_EEENSQ_IJSG_SG_EEES6_PlJS6_EEE10hipError_tPvRmT3_T4_T5_T6_T7_T9_mT8_P12ihipStream_tbDpT10_ENKUlT_T0_E_clISt17integral_constantIbLb0EES1E_IbLb1EEEEDaS1A_S1B_EUlS1A_E_NS1_11comp_targetILNS1_3genE10ELNS1_11target_archE1200ELNS1_3gpuE4ELNS1_3repE0EEENS1_30default_config_static_selectorELNS0_4arch9wavefront6targetE0EEEvT1_.num_vgpr, 53
	.set _ZN7rocprim17ROCPRIM_400000_NS6detail17trampoline_kernelINS0_14default_configENS1_25partition_config_selectorILNS1_17partition_subalgoE5EjNS0_10empty_typeEbEEZZNS1_14partition_implILS5_5ELb0ES3_mN6thrust23THRUST_200600_302600_NS6detail15normal_iteratorINSA_10device_ptrIjEEEEPS6_NSA_18transform_iteratorINSB_9not_fun_tI7is_trueIjEEENSC_INSD_IbEEEENSA_11use_defaultESO_EENS0_5tupleIJNSA_16discard_iteratorISO_EES6_EEENSQ_IJSG_SG_EEES6_PlJS6_EEE10hipError_tPvRmT3_T4_T5_T6_T7_T9_mT8_P12ihipStream_tbDpT10_ENKUlT_T0_E_clISt17integral_constantIbLb0EES1E_IbLb1EEEEDaS1A_S1B_EUlS1A_E_NS1_11comp_targetILNS1_3genE10ELNS1_11target_archE1200ELNS1_3gpuE4ELNS1_3repE0EEENS1_30default_config_static_selectorELNS0_4arch9wavefront6targetE0EEEvT1_.num_agpr, 0
	.set _ZN7rocprim17ROCPRIM_400000_NS6detail17trampoline_kernelINS0_14default_configENS1_25partition_config_selectorILNS1_17partition_subalgoE5EjNS0_10empty_typeEbEEZZNS1_14partition_implILS5_5ELb0ES3_mN6thrust23THRUST_200600_302600_NS6detail15normal_iteratorINSA_10device_ptrIjEEEEPS6_NSA_18transform_iteratorINSB_9not_fun_tI7is_trueIjEEENSC_INSD_IbEEEENSA_11use_defaultESO_EENS0_5tupleIJNSA_16discard_iteratorISO_EES6_EEENSQ_IJSG_SG_EEES6_PlJS6_EEE10hipError_tPvRmT3_T4_T5_T6_T7_T9_mT8_P12ihipStream_tbDpT10_ENKUlT_T0_E_clISt17integral_constantIbLb0EES1E_IbLb1EEEEDaS1A_S1B_EUlS1A_E_NS1_11comp_targetILNS1_3genE10ELNS1_11target_archE1200ELNS1_3gpuE4ELNS1_3repE0EEENS1_30default_config_static_selectorELNS0_4arch9wavefront6targetE0EEEvT1_.numbered_sgpr, 22
	.set _ZN7rocprim17ROCPRIM_400000_NS6detail17trampoline_kernelINS0_14default_configENS1_25partition_config_selectorILNS1_17partition_subalgoE5EjNS0_10empty_typeEbEEZZNS1_14partition_implILS5_5ELb0ES3_mN6thrust23THRUST_200600_302600_NS6detail15normal_iteratorINSA_10device_ptrIjEEEEPS6_NSA_18transform_iteratorINSB_9not_fun_tI7is_trueIjEEENSC_INSD_IbEEEENSA_11use_defaultESO_EENS0_5tupleIJNSA_16discard_iteratorISO_EES6_EEENSQ_IJSG_SG_EEES6_PlJS6_EEE10hipError_tPvRmT3_T4_T5_T6_T7_T9_mT8_P12ihipStream_tbDpT10_ENKUlT_T0_E_clISt17integral_constantIbLb0EES1E_IbLb1EEEEDaS1A_S1B_EUlS1A_E_NS1_11comp_targetILNS1_3genE10ELNS1_11target_archE1200ELNS1_3gpuE4ELNS1_3repE0EEENS1_30default_config_static_selectorELNS0_4arch9wavefront6targetE0EEEvT1_.num_named_barrier, 0
	.set _ZN7rocprim17ROCPRIM_400000_NS6detail17trampoline_kernelINS0_14default_configENS1_25partition_config_selectorILNS1_17partition_subalgoE5EjNS0_10empty_typeEbEEZZNS1_14partition_implILS5_5ELb0ES3_mN6thrust23THRUST_200600_302600_NS6detail15normal_iteratorINSA_10device_ptrIjEEEEPS6_NSA_18transform_iteratorINSB_9not_fun_tI7is_trueIjEEENSC_INSD_IbEEEENSA_11use_defaultESO_EENS0_5tupleIJNSA_16discard_iteratorISO_EES6_EEENSQ_IJSG_SG_EEES6_PlJS6_EEE10hipError_tPvRmT3_T4_T5_T6_T7_T9_mT8_P12ihipStream_tbDpT10_ENKUlT_T0_E_clISt17integral_constantIbLb0EES1E_IbLb1EEEEDaS1A_S1B_EUlS1A_E_NS1_11comp_targetILNS1_3genE10ELNS1_11target_archE1200ELNS1_3gpuE4ELNS1_3repE0EEENS1_30default_config_static_selectorELNS0_4arch9wavefront6targetE0EEEvT1_.private_seg_size, 0
	.set _ZN7rocprim17ROCPRIM_400000_NS6detail17trampoline_kernelINS0_14default_configENS1_25partition_config_selectorILNS1_17partition_subalgoE5EjNS0_10empty_typeEbEEZZNS1_14partition_implILS5_5ELb0ES3_mN6thrust23THRUST_200600_302600_NS6detail15normal_iteratorINSA_10device_ptrIjEEEEPS6_NSA_18transform_iteratorINSB_9not_fun_tI7is_trueIjEEENSC_INSD_IbEEEENSA_11use_defaultESO_EENS0_5tupleIJNSA_16discard_iteratorISO_EES6_EEENSQ_IJSG_SG_EEES6_PlJS6_EEE10hipError_tPvRmT3_T4_T5_T6_T7_T9_mT8_P12ihipStream_tbDpT10_ENKUlT_T0_E_clISt17integral_constantIbLb0EES1E_IbLb1EEEEDaS1A_S1B_EUlS1A_E_NS1_11comp_targetILNS1_3genE10ELNS1_11target_archE1200ELNS1_3gpuE4ELNS1_3repE0EEENS1_30default_config_static_selectorELNS0_4arch9wavefront6targetE0EEEvT1_.uses_vcc, 1
	.set _ZN7rocprim17ROCPRIM_400000_NS6detail17trampoline_kernelINS0_14default_configENS1_25partition_config_selectorILNS1_17partition_subalgoE5EjNS0_10empty_typeEbEEZZNS1_14partition_implILS5_5ELb0ES3_mN6thrust23THRUST_200600_302600_NS6detail15normal_iteratorINSA_10device_ptrIjEEEEPS6_NSA_18transform_iteratorINSB_9not_fun_tI7is_trueIjEEENSC_INSD_IbEEEENSA_11use_defaultESO_EENS0_5tupleIJNSA_16discard_iteratorISO_EES6_EEENSQ_IJSG_SG_EEES6_PlJS6_EEE10hipError_tPvRmT3_T4_T5_T6_T7_T9_mT8_P12ihipStream_tbDpT10_ENKUlT_T0_E_clISt17integral_constantIbLb0EES1E_IbLb1EEEEDaS1A_S1B_EUlS1A_E_NS1_11comp_targetILNS1_3genE10ELNS1_11target_archE1200ELNS1_3gpuE4ELNS1_3repE0EEENS1_30default_config_static_selectorELNS0_4arch9wavefront6targetE0EEEvT1_.uses_flat_scratch, 1
	.set _ZN7rocprim17ROCPRIM_400000_NS6detail17trampoline_kernelINS0_14default_configENS1_25partition_config_selectorILNS1_17partition_subalgoE5EjNS0_10empty_typeEbEEZZNS1_14partition_implILS5_5ELb0ES3_mN6thrust23THRUST_200600_302600_NS6detail15normal_iteratorINSA_10device_ptrIjEEEEPS6_NSA_18transform_iteratorINSB_9not_fun_tI7is_trueIjEEENSC_INSD_IbEEEENSA_11use_defaultESO_EENS0_5tupleIJNSA_16discard_iteratorISO_EES6_EEENSQ_IJSG_SG_EEES6_PlJS6_EEE10hipError_tPvRmT3_T4_T5_T6_T7_T9_mT8_P12ihipStream_tbDpT10_ENKUlT_T0_E_clISt17integral_constantIbLb0EES1E_IbLb1EEEEDaS1A_S1B_EUlS1A_E_NS1_11comp_targetILNS1_3genE10ELNS1_11target_archE1200ELNS1_3gpuE4ELNS1_3repE0EEENS1_30default_config_static_selectorELNS0_4arch9wavefront6targetE0EEEvT1_.has_dyn_sized_stack, 0
	.set _ZN7rocprim17ROCPRIM_400000_NS6detail17trampoline_kernelINS0_14default_configENS1_25partition_config_selectorILNS1_17partition_subalgoE5EjNS0_10empty_typeEbEEZZNS1_14partition_implILS5_5ELb0ES3_mN6thrust23THRUST_200600_302600_NS6detail15normal_iteratorINSA_10device_ptrIjEEEEPS6_NSA_18transform_iteratorINSB_9not_fun_tI7is_trueIjEEENSC_INSD_IbEEEENSA_11use_defaultESO_EENS0_5tupleIJNSA_16discard_iteratorISO_EES6_EEENSQ_IJSG_SG_EEES6_PlJS6_EEE10hipError_tPvRmT3_T4_T5_T6_T7_T9_mT8_P12ihipStream_tbDpT10_ENKUlT_T0_E_clISt17integral_constantIbLb0EES1E_IbLb1EEEEDaS1A_S1B_EUlS1A_E_NS1_11comp_targetILNS1_3genE10ELNS1_11target_archE1200ELNS1_3gpuE4ELNS1_3repE0EEENS1_30default_config_static_selectorELNS0_4arch9wavefront6targetE0EEEvT1_.has_recursion, 0
	.set _ZN7rocprim17ROCPRIM_400000_NS6detail17trampoline_kernelINS0_14default_configENS1_25partition_config_selectorILNS1_17partition_subalgoE5EjNS0_10empty_typeEbEEZZNS1_14partition_implILS5_5ELb0ES3_mN6thrust23THRUST_200600_302600_NS6detail15normal_iteratorINSA_10device_ptrIjEEEEPS6_NSA_18transform_iteratorINSB_9not_fun_tI7is_trueIjEEENSC_INSD_IbEEEENSA_11use_defaultESO_EENS0_5tupleIJNSA_16discard_iteratorISO_EES6_EEENSQ_IJSG_SG_EEES6_PlJS6_EEE10hipError_tPvRmT3_T4_T5_T6_T7_T9_mT8_P12ihipStream_tbDpT10_ENKUlT_T0_E_clISt17integral_constantIbLb0EES1E_IbLb1EEEEDaS1A_S1B_EUlS1A_E_NS1_11comp_targetILNS1_3genE10ELNS1_11target_archE1200ELNS1_3gpuE4ELNS1_3repE0EEENS1_30default_config_static_selectorELNS0_4arch9wavefront6targetE0EEEvT1_.has_indirect_call, 0
	.section	.AMDGPU.csdata,"",@progbits
; Kernel info:
; codeLenInByte = 8324
; TotalNumSgprs: 24
; NumVgprs: 53
; ScratchSize: 0
; MemoryBound: 0
; FloatMode: 240
; IeeeMode: 1
; LDSByteSize: 6352 bytes/workgroup (compile time only)
; SGPRBlocks: 0
; VGPRBlocks: 6
; NumSGPRsForWavesPerEU: 24
; NumVGPRsForWavesPerEU: 53
; Occupancy: 15
; WaveLimiterHint : 1
; COMPUTE_PGM_RSRC2:SCRATCH_EN: 0
; COMPUTE_PGM_RSRC2:USER_SGPR: 2
; COMPUTE_PGM_RSRC2:TRAP_HANDLER: 0
; COMPUTE_PGM_RSRC2:TGID_X_EN: 1
; COMPUTE_PGM_RSRC2:TGID_Y_EN: 0
; COMPUTE_PGM_RSRC2:TGID_Z_EN: 0
; COMPUTE_PGM_RSRC2:TIDIG_COMP_CNT: 0
	.section	.text._ZN7rocprim17ROCPRIM_400000_NS6detail17trampoline_kernelINS0_14default_configENS1_25partition_config_selectorILNS1_17partition_subalgoE5EjNS0_10empty_typeEbEEZZNS1_14partition_implILS5_5ELb0ES3_mN6thrust23THRUST_200600_302600_NS6detail15normal_iteratorINSA_10device_ptrIjEEEEPS6_NSA_18transform_iteratorINSB_9not_fun_tI7is_trueIjEEENSC_INSD_IbEEEENSA_11use_defaultESO_EENS0_5tupleIJNSA_16discard_iteratorISO_EES6_EEENSQ_IJSG_SG_EEES6_PlJS6_EEE10hipError_tPvRmT3_T4_T5_T6_T7_T9_mT8_P12ihipStream_tbDpT10_ENKUlT_T0_E_clISt17integral_constantIbLb0EES1E_IbLb1EEEEDaS1A_S1B_EUlS1A_E_NS1_11comp_targetILNS1_3genE9ELNS1_11target_archE1100ELNS1_3gpuE3ELNS1_3repE0EEENS1_30default_config_static_selectorELNS0_4arch9wavefront6targetE0EEEvT1_,"axG",@progbits,_ZN7rocprim17ROCPRIM_400000_NS6detail17trampoline_kernelINS0_14default_configENS1_25partition_config_selectorILNS1_17partition_subalgoE5EjNS0_10empty_typeEbEEZZNS1_14partition_implILS5_5ELb0ES3_mN6thrust23THRUST_200600_302600_NS6detail15normal_iteratorINSA_10device_ptrIjEEEEPS6_NSA_18transform_iteratorINSB_9not_fun_tI7is_trueIjEEENSC_INSD_IbEEEENSA_11use_defaultESO_EENS0_5tupleIJNSA_16discard_iteratorISO_EES6_EEENSQ_IJSG_SG_EEES6_PlJS6_EEE10hipError_tPvRmT3_T4_T5_T6_T7_T9_mT8_P12ihipStream_tbDpT10_ENKUlT_T0_E_clISt17integral_constantIbLb0EES1E_IbLb1EEEEDaS1A_S1B_EUlS1A_E_NS1_11comp_targetILNS1_3genE9ELNS1_11target_archE1100ELNS1_3gpuE3ELNS1_3repE0EEENS1_30default_config_static_selectorELNS0_4arch9wavefront6targetE0EEEvT1_,comdat
	.protected	_ZN7rocprim17ROCPRIM_400000_NS6detail17trampoline_kernelINS0_14default_configENS1_25partition_config_selectorILNS1_17partition_subalgoE5EjNS0_10empty_typeEbEEZZNS1_14partition_implILS5_5ELb0ES3_mN6thrust23THRUST_200600_302600_NS6detail15normal_iteratorINSA_10device_ptrIjEEEEPS6_NSA_18transform_iteratorINSB_9not_fun_tI7is_trueIjEEENSC_INSD_IbEEEENSA_11use_defaultESO_EENS0_5tupleIJNSA_16discard_iteratorISO_EES6_EEENSQ_IJSG_SG_EEES6_PlJS6_EEE10hipError_tPvRmT3_T4_T5_T6_T7_T9_mT8_P12ihipStream_tbDpT10_ENKUlT_T0_E_clISt17integral_constantIbLb0EES1E_IbLb1EEEEDaS1A_S1B_EUlS1A_E_NS1_11comp_targetILNS1_3genE9ELNS1_11target_archE1100ELNS1_3gpuE3ELNS1_3repE0EEENS1_30default_config_static_selectorELNS0_4arch9wavefront6targetE0EEEvT1_ ; -- Begin function _ZN7rocprim17ROCPRIM_400000_NS6detail17trampoline_kernelINS0_14default_configENS1_25partition_config_selectorILNS1_17partition_subalgoE5EjNS0_10empty_typeEbEEZZNS1_14partition_implILS5_5ELb0ES3_mN6thrust23THRUST_200600_302600_NS6detail15normal_iteratorINSA_10device_ptrIjEEEEPS6_NSA_18transform_iteratorINSB_9not_fun_tI7is_trueIjEEENSC_INSD_IbEEEENSA_11use_defaultESO_EENS0_5tupleIJNSA_16discard_iteratorISO_EES6_EEENSQ_IJSG_SG_EEES6_PlJS6_EEE10hipError_tPvRmT3_T4_T5_T6_T7_T9_mT8_P12ihipStream_tbDpT10_ENKUlT_T0_E_clISt17integral_constantIbLb0EES1E_IbLb1EEEEDaS1A_S1B_EUlS1A_E_NS1_11comp_targetILNS1_3genE9ELNS1_11target_archE1100ELNS1_3gpuE3ELNS1_3repE0EEENS1_30default_config_static_selectorELNS0_4arch9wavefront6targetE0EEEvT1_
	.globl	_ZN7rocprim17ROCPRIM_400000_NS6detail17trampoline_kernelINS0_14default_configENS1_25partition_config_selectorILNS1_17partition_subalgoE5EjNS0_10empty_typeEbEEZZNS1_14partition_implILS5_5ELb0ES3_mN6thrust23THRUST_200600_302600_NS6detail15normal_iteratorINSA_10device_ptrIjEEEEPS6_NSA_18transform_iteratorINSB_9not_fun_tI7is_trueIjEEENSC_INSD_IbEEEENSA_11use_defaultESO_EENS0_5tupleIJNSA_16discard_iteratorISO_EES6_EEENSQ_IJSG_SG_EEES6_PlJS6_EEE10hipError_tPvRmT3_T4_T5_T6_T7_T9_mT8_P12ihipStream_tbDpT10_ENKUlT_T0_E_clISt17integral_constantIbLb0EES1E_IbLb1EEEEDaS1A_S1B_EUlS1A_E_NS1_11comp_targetILNS1_3genE9ELNS1_11target_archE1100ELNS1_3gpuE3ELNS1_3repE0EEENS1_30default_config_static_selectorELNS0_4arch9wavefront6targetE0EEEvT1_
	.p2align	8
	.type	_ZN7rocprim17ROCPRIM_400000_NS6detail17trampoline_kernelINS0_14default_configENS1_25partition_config_selectorILNS1_17partition_subalgoE5EjNS0_10empty_typeEbEEZZNS1_14partition_implILS5_5ELb0ES3_mN6thrust23THRUST_200600_302600_NS6detail15normal_iteratorINSA_10device_ptrIjEEEEPS6_NSA_18transform_iteratorINSB_9not_fun_tI7is_trueIjEEENSC_INSD_IbEEEENSA_11use_defaultESO_EENS0_5tupleIJNSA_16discard_iteratorISO_EES6_EEENSQ_IJSG_SG_EEES6_PlJS6_EEE10hipError_tPvRmT3_T4_T5_T6_T7_T9_mT8_P12ihipStream_tbDpT10_ENKUlT_T0_E_clISt17integral_constantIbLb0EES1E_IbLb1EEEEDaS1A_S1B_EUlS1A_E_NS1_11comp_targetILNS1_3genE9ELNS1_11target_archE1100ELNS1_3gpuE3ELNS1_3repE0EEENS1_30default_config_static_selectorELNS0_4arch9wavefront6targetE0EEEvT1_,@function
_ZN7rocprim17ROCPRIM_400000_NS6detail17trampoline_kernelINS0_14default_configENS1_25partition_config_selectorILNS1_17partition_subalgoE5EjNS0_10empty_typeEbEEZZNS1_14partition_implILS5_5ELb0ES3_mN6thrust23THRUST_200600_302600_NS6detail15normal_iteratorINSA_10device_ptrIjEEEEPS6_NSA_18transform_iteratorINSB_9not_fun_tI7is_trueIjEEENSC_INSD_IbEEEENSA_11use_defaultESO_EENS0_5tupleIJNSA_16discard_iteratorISO_EES6_EEENSQ_IJSG_SG_EEES6_PlJS6_EEE10hipError_tPvRmT3_T4_T5_T6_T7_T9_mT8_P12ihipStream_tbDpT10_ENKUlT_T0_E_clISt17integral_constantIbLb0EES1E_IbLb1EEEEDaS1A_S1B_EUlS1A_E_NS1_11comp_targetILNS1_3genE9ELNS1_11target_archE1100ELNS1_3gpuE3ELNS1_3repE0EEENS1_30default_config_static_selectorELNS0_4arch9wavefront6targetE0EEEvT1_: ; @_ZN7rocprim17ROCPRIM_400000_NS6detail17trampoline_kernelINS0_14default_configENS1_25partition_config_selectorILNS1_17partition_subalgoE5EjNS0_10empty_typeEbEEZZNS1_14partition_implILS5_5ELb0ES3_mN6thrust23THRUST_200600_302600_NS6detail15normal_iteratorINSA_10device_ptrIjEEEEPS6_NSA_18transform_iteratorINSB_9not_fun_tI7is_trueIjEEENSC_INSD_IbEEEENSA_11use_defaultESO_EENS0_5tupleIJNSA_16discard_iteratorISO_EES6_EEENSQ_IJSG_SG_EEES6_PlJS6_EEE10hipError_tPvRmT3_T4_T5_T6_T7_T9_mT8_P12ihipStream_tbDpT10_ENKUlT_T0_E_clISt17integral_constantIbLb0EES1E_IbLb1EEEEDaS1A_S1B_EUlS1A_E_NS1_11comp_targetILNS1_3genE9ELNS1_11target_archE1100ELNS1_3gpuE3ELNS1_3repE0EEENS1_30default_config_static_selectorELNS0_4arch9wavefront6targetE0EEEvT1_
; %bb.0:
	.section	.rodata,"a",@progbits
	.p2align	6, 0x0
	.amdhsa_kernel _ZN7rocprim17ROCPRIM_400000_NS6detail17trampoline_kernelINS0_14default_configENS1_25partition_config_selectorILNS1_17partition_subalgoE5EjNS0_10empty_typeEbEEZZNS1_14partition_implILS5_5ELb0ES3_mN6thrust23THRUST_200600_302600_NS6detail15normal_iteratorINSA_10device_ptrIjEEEEPS6_NSA_18transform_iteratorINSB_9not_fun_tI7is_trueIjEEENSC_INSD_IbEEEENSA_11use_defaultESO_EENS0_5tupleIJNSA_16discard_iteratorISO_EES6_EEENSQ_IJSG_SG_EEES6_PlJS6_EEE10hipError_tPvRmT3_T4_T5_T6_T7_T9_mT8_P12ihipStream_tbDpT10_ENKUlT_T0_E_clISt17integral_constantIbLb0EES1E_IbLb1EEEEDaS1A_S1B_EUlS1A_E_NS1_11comp_targetILNS1_3genE9ELNS1_11target_archE1100ELNS1_3gpuE3ELNS1_3repE0EEENS1_30default_config_static_selectorELNS0_4arch9wavefront6targetE0EEEvT1_
		.amdhsa_group_segment_fixed_size 0
		.amdhsa_private_segment_fixed_size 0
		.amdhsa_kernarg_size 144
		.amdhsa_user_sgpr_count 2
		.amdhsa_user_sgpr_dispatch_ptr 0
		.amdhsa_user_sgpr_queue_ptr 0
		.amdhsa_user_sgpr_kernarg_segment_ptr 1
		.amdhsa_user_sgpr_dispatch_id 0
		.amdhsa_user_sgpr_private_segment_size 0
		.amdhsa_wavefront_size32 1
		.amdhsa_uses_dynamic_stack 0
		.amdhsa_enable_private_segment 0
		.amdhsa_system_sgpr_workgroup_id_x 1
		.amdhsa_system_sgpr_workgroup_id_y 0
		.amdhsa_system_sgpr_workgroup_id_z 0
		.amdhsa_system_sgpr_workgroup_info 0
		.amdhsa_system_vgpr_workitem_id 0
		.amdhsa_next_free_vgpr 1
		.amdhsa_next_free_sgpr 1
		.amdhsa_reserve_vcc 0
		.amdhsa_float_round_mode_32 0
		.amdhsa_float_round_mode_16_64 0
		.amdhsa_float_denorm_mode_32 3
		.amdhsa_float_denorm_mode_16_64 3
		.amdhsa_fp16_overflow 0
		.amdhsa_workgroup_processor_mode 1
		.amdhsa_memory_ordered 1
		.amdhsa_forward_progress 1
		.amdhsa_inst_pref_size 0
		.amdhsa_round_robin_scheduling 0
		.amdhsa_exception_fp_ieee_invalid_op 0
		.amdhsa_exception_fp_denorm_src 0
		.amdhsa_exception_fp_ieee_div_zero 0
		.amdhsa_exception_fp_ieee_overflow 0
		.amdhsa_exception_fp_ieee_underflow 0
		.amdhsa_exception_fp_ieee_inexact 0
		.amdhsa_exception_int_div_zero 0
	.end_amdhsa_kernel
	.section	.text._ZN7rocprim17ROCPRIM_400000_NS6detail17trampoline_kernelINS0_14default_configENS1_25partition_config_selectorILNS1_17partition_subalgoE5EjNS0_10empty_typeEbEEZZNS1_14partition_implILS5_5ELb0ES3_mN6thrust23THRUST_200600_302600_NS6detail15normal_iteratorINSA_10device_ptrIjEEEEPS6_NSA_18transform_iteratorINSB_9not_fun_tI7is_trueIjEEENSC_INSD_IbEEEENSA_11use_defaultESO_EENS0_5tupleIJNSA_16discard_iteratorISO_EES6_EEENSQ_IJSG_SG_EEES6_PlJS6_EEE10hipError_tPvRmT3_T4_T5_T6_T7_T9_mT8_P12ihipStream_tbDpT10_ENKUlT_T0_E_clISt17integral_constantIbLb0EES1E_IbLb1EEEEDaS1A_S1B_EUlS1A_E_NS1_11comp_targetILNS1_3genE9ELNS1_11target_archE1100ELNS1_3gpuE3ELNS1_3repE0EEENS1_30default_config_static_selectorELNS0_4arch9wavefront6targetE0EEEvT1_,"axG",@progbits,_ZN7rocprim17ROCPRIM_400000_NS6detail17trampoline_kernelINS0_14default_configENS1_25partition_config_selectorILNS1_17partition_subalgoE5EjNS0_10empty_typeEbEEZZNS1_14partition_implILS5_5ELb0ES3_mN6thrust23THRUST_200600_302600_NS6detail15normal_iteratorINSA_10device_ptrIjEEEEPS6_NSA_18transform_iteratorINSB_9not_fun_tI7is_trueIjEEENSC_INSD_IbEEEENSA_11use_defaultESO_EENS0_5tupleIJNSA_16discard_iteratorISO_EES6_EEENSQ_IJSG_SG_EEES6_PlJS6_EEE10hipError_tPvRmT3_T4_T5_T6_T7_T9_mT8_P12ihipStream_tbDpT10_ENKUlT_T0_E_clISt17integral_constantIbLb0EES1E_IbLb1EEEEDaS1A_S1B_EUlS1A_E_NS1_11comp_targetILNS1_3genE9ELNS1_11target_archE1100ELNS1_3gpuE3ELNS1_3repE0EEENS1_30default_config_static_selectorELNS0_4arch9wavefront6targetE0EEEvT1_,comdat
.Lfunc_end2715:
	.size	_ZN7rocprim17ROCPRIM_400000_NS6detail17trampoline_kernelINS0_14default_configENS1_25partition_config_selectorILNS1_17partition_subalgoE5EjNS0_10empty_typeEbEEZZNS1_14partition_implILS5_5ELb0ES3_mN6thrust23THRUST_200600_302600_NS6detail15normal_iteratorINSA_10device_ptrIjEEEEPS6_NSA_18transform_iteratorINSB_9not_fun_tI7is_trueIjEEENSC_INSD_IbEEEENSA_11use_defaultESO_EENS0_5tupleIJNSA_16discard_iteratorISO_EES6_EEENSQ_IJSG_SG_EEES6_PlJS6_EEE10hipError_tPvRmT3_T4_T5_T6_T7_T9_mT8_P12ihipStream_tbDpT10_ENKUlT_T0_E_clISt17integral_constantIbLb0EES1E_IbLb1EEEEDaS1A_S1B_EUlS1A_E_NS1_11comp_targetILNS1_3genE9ELNS1_11target_archE1100ELNS1_3gpuE3ELNS1_3repE0EEENS1_30default_config_static_selectorELNS0_4arch9wavefront6targetE0EEEvT1_, .Lfunc_end2715-_ZN7rocprim17ROCPRIM_400000_NS6detail17trampoline_kernelINS0_14default_configENS1_25partition_config_selectorILNS1_17partition_subalgoE5EjNS0_10empty_typeEbEEZZNS1_14partition_implILS5_5ELb0ES3_mN6thrust23THRUST_200600_302600_NS6detail15normal_iteratorINSA_10device_ptrIjEEEEPS6_NSA_18transform_iteratorINSB_9not_fun_tI7is_trueIjEEENSC_INSD_IbEEEENSA_11use_defaultESO_EENS0_5tupleIJNSA_16discard_iteratorISO_EES6_EEENSQ_IJSG_SG_EEES6_PlJS6_EEE10hipError_tPvRmT3_T4_T5_T6_T7_T9_mT8_P12ihipStream_tbDpT10_ENKUlT_T0_E_clISt17integral_constantIbLb0EES1E_IbLb1EEEEDaS1A_S1B_EUlS1A_E_NS1_11comp_targetILNS1_3genE9ELNS1_11target_archE1100ELNS1_3gpuE3ELNS1_3repE0EEENS1_30default_config_static_selectorELNS0_4arch9wavefront6targetE0EEEvT1_
                                        ; -- End function
	.set _ZN7rocprim17ROCPRIM_400000_NS6detail17trampoline_kernelINS0_14default_configENS1_25partition_config_selectorILNS1_17partition_subalgoE5EjNS0_10empty_typeEbEEZZNS1_14partition_implILS5_5ELb0ES3_mN6thrust23THRUST_200600_302600_NS6detail15normal_iteratorINSA_10device_ptrIjEEEEPS6_NSA_18transform_iteratorINSB_9not_fun_tI7is_trueIjEEENSC_INSD_IbEEEENSA_11use_defaultESO_EENS0_5tupleIJNSA_16discard_iteratorISO_EES6_EEENSQ_IJSG_SG_EEES6_PlJS6_EEE10hipError_tPvRmT3_T4_T5_T6_T7_T9_mT8_P12ihipStream_tbDpT10_ENKUlT_T0_E_clISt17integral_constantIbLb0EES1E_IbLb1EEEEDaS1A_S1B_EUlS1A_E_NS1_11comp_targetILNS1_3genE9ELNS1_11target_archE1100ELNS1_3gpuE3ELNS1_3repE0EEENS1_30default_config_static_selectorELNS0_4arch9wavefront6targetE0EEEvT1_.num_vgpr, 0
	.set _ZN7rocprim17ROCPRIM_400000_NS6detail17trampoline_kernelINS0_14default_configENS1_25partition_config_selectorILNS1_17partition_subalgoE5EjNS0_10empty_typeEbEEZZNS1_14partition_implILS5_5ELb0ES3_mN6thrust23THRUST_200600_302600_NS6detail15normal_iteratorINSA_10device_ptrIjEEEEPS6_NSA_18transform_iteratorINSB_9not_fun_tI7is_trueIjEEENSC_INSD_IbEEEENSA_11use_defaultESO_EENS0_5tupleIJNSA_16discard_iteratorISO_EES6_EEENSQ_IJSG_SG_EEES6_PlJS6_EEE10hipError_tPvRmT3_T4_T5_T6_T7_T9_mT8_P12ihipStream_tbDpT10_ENKUlT_T0_E_clISt17integral_constantIbLb0EES1E_IbLb1EEEEDaS1A_S1B_EUlS1A_E_NS1_11comp_targetILNS1_3genE9ELNS1_11target_archE1100ELNS1_3gpuE3ELNS1_3repE0EEENS1_30default_config_static_selectorELNS0_4arch9wavefront6targetE0EEEvT1_.num_agpr, 0
	.set _ZN7rocprim17ROCPRIM_400000_NS6detail17trampoline_kernelINS0_14default_configENS1_25partition_config_selectorILNS1_17partition_subalgoE5EjNS0_10empty_typeEbEEZZNS1_14partition_implILS5_5ELb0ES3_mN6thrust23THRUST_200600_302600_NS6detail15normal_iteratorINSA_10device_ptrIjEEEEPS6_NSA_18transform_iteratorINSB_9not_fun_tI7is_trueIjEEENSC_INSD_IbEEEENSA_11use_defaultESO_EENS0_5tupleIJNSA_16discard_iteratorISO_EES6_EEENSQ_IJSG_SG_EEES6_PlJS6_EEE10hipError_tPvRmT3_T4_T5_T6_T7_T9_mT8_P12ihipStream_tbDpT10_ENKUlT_T0_E_clISt17integral_constantIbLb0EES1E_IbLb1EEEEDaS1A_S1B_EUlS1A_E_NS1_11comp_targetILNS1_3genE9ELNS1_11target_archE1100ELNS1_3gpuE3ELNS1_3repE0EEENS1_30default_config_static_selectorELNS0_4arch9wavefront6targetE0EEEvT1_.numbered_sgpr, 0
	.set _ZN7rocprim17ROCPRIM_400000_NS6detail17trampoline_kernelINS0_14default_configENS1_25partition_config_selectorILNS1_17partition_subalgoE5EjNS0_10empty_typeEbEEZZNS1_14partition_implILS5_5ELb0ES3_mN6thrust23THRUST_200600_302600_NS6detail15normal_iteratorINSA_10device_ptrIjEEEEPS6_NSA_18transform_iteratorINSB_9not_fun_tI7is_trueIjEEENSC_INSD_IbEEEENSA_11use_defaultESO_EENS0_5tupleIJNSA_16discard_iteratorISO_EES6_EEENSQ_IJSG_SG_EEES6_PlJS6_EEE10hipError_tPvRmT3_T4_T5_T6_T7_T9_mT8_P12ihipStream_tbDpT10_ENKUlT_T0_E_clISt17integral_constantIbLb0EES1E_IbLb1EEEEDaS1A_S1B_EUlS1A_E_NS1_11comp_targetILNS1_3genE9ELNS1_11target_archE1100ELNS1_3gpuE3ELNS1_3repE0EEENS1_30default_config_static_selectorELNS0_4arch9wavefront6targetE0EEEvT1_.num_named_barrier, 0
	.set _ZN7rocprim17ROCPRIM_400000_NS6detail17trampoline_kernelINS0_14default_configENS1_25partition_config_selectorILNS1_17partition_subalgoE5EjNS0_10empty_typeEbEEZZNS1_14partition_implILS5_5ELb0ES3_mN6thrust23THRUST_200600_302600_NS6detail15normal_iteratorINSA_10device_ptrIjEEEEPS6_NSA_18transform_iteratorINSB_9not_fun_tI7is_trueIjEEENSC_INSD_IbEEEENSA_11use_defaultESO_EENS0_5tupleIJNSA_16discard_iteratorISO_EES6_EEENSQ_IJSG_SG_EEES6_PlJS6_EEE10hipError_tPvRmT3_T4_T5_T6_T7_T9_mT8_P12ihipStream_tbDpT10_ENKUlT_T0_E_clISt17integral_constantIbLb0EES1E_IbLb1EEEEDaS1A_S1B_EUlS1A_E_NS1_11comp_targetILNS1_3genE9ELNS1_11target_archE1100ELNS1_3gpuE3ELNS1_3repE0EEENS1_30default_config_static_selectorELNS0_4arch9wavefront6targetE0EEEvT1_.private_seg_size, 0
	.set _ZN7rocprim17ROCPRIM_400000_NS6detail17trampoline_kernelINS0_14default_configENS1_25partition_config_selectorILNS1_17partition_subalgoE5EjNS0_10empty_typeEbEEZZNS1_14partition_implILS5_5ELb0ES3_mN6thrust23THRUST_200600_302600_NS6detail15normal_iteratorINSA_10device_ptrIjEEEEPS6_NSA_18transform_iteratorINSB_9not_fun_tI7is_trueIjEEENSC_INSD_IbEEEENSA_11use_defaultESO_EENS0_5tupleIJNSA_16discard_iteratorISO_EES6_EEENSQ_IJSG_SG_EEES6_PlJS6_EEE10hipError_tPvRmT3_T4_T5_T6_T7_T9_mT8_P12ihipStream_tbDpT10_ENKUlT_T0_E_clISt17integral_constantIbLb0EES1E_IbLb1EEEEDaS1A_S1B_EUlS1A_E_NS1_11comp_targetILNS1_3genE9ELNS1_11target_archE1100ELNS1_3gpuE3ELNS1_3repE0EEENS1_30default_config_static_selectorELNS0_4arch9wavefront6targetE0EEEvT1_.uses_vcc, 0
	.set _ZN7rocprim17ROCPRIM_400000_NS6detail17trampoline_kernelINS0_14default_configENS1_25partition_config_selectorILNS1_17partition_subalgoE5EjNS0_10empty_typeEbEEZZNS1_14partition_implILS5_5ELb0ES3_mN6thrust23THRUST_200600_302600_NS6detail15normal_iteratorINSA_10device_ptrIjEEEEPS6_NSA_18transform_iteratorINSB_9not_fun_tI7is_trueIjEEENSC_INSD_IbEEEENSA_11use_defaultESO_EENS0_5tupleIJNSA_16discard_iteratorISO_EES6_EEENSQ_IJSG_SG_EEES6_PlJS6_EEE10hipError_tPvRmT3_T4_T5_T6_T7_T9_mT8_P12ihipStream_tbDpT10_ENKUlT_T0_E_clISt17integral_constantIbLb0EES1E_IbLb1EEEEDaS1A_S1B_EUlS1A_E_NS1_11comp_targetILNS1_3genE9ELNS1_11target_archE1100ELNS1_3gpuE3ELNS1_3repE0EEENS1_30default_config_static_selectorELNS0_4arch9wavefront6targetE0EEEvT1_.uses_flat_scratch, 0
	.set _ZN7rocprim17ROCPRIM_400000_NS6detail17trampoline_kernelINS0_14default_configENS1_25partition_config_selectorILNS1_17partition_subalgoE5EjNS0_10empty_typeEbEEZZNS1_14partition_implILS5_5ELb0ES3_mN6thrust23THRUST_200600_302600_NS6detail15normal_iteratorINSA_10device_ptrIjEEEEPS6_NSA_18transform_iteratorINSB_9not_fun_tI7is_trueIjEEENSC_INSD_IbEEEENSA_11use_defaultESO_EENS0_5tupleIJNSA_16discard_iteratorISO_EES6_EEENSQ_IJSG_SG_EEES6_PlJS6_EEE10hipError_tPvRmT3_T4_T5_T6_T7_T9_mT8_P12ihipStream_tbDpT10_ENKUlT_T0_E_clISt17integral_constantIbLb0EES1E_IbLb1EEEEDaS1A_S1B_EUlS1A_E_NS1_11comp_targetILNS1_3genE9ELNS1_11target_archE1100ELNS1_3gpuE3ELNS1_3repE0EEENS1_30default_config_static_selectorELNS0_4arch9wavefront6targetE0EEEvT1_.has_dyn_sized_stack, 0
	.set _ZN7rocprim17ROCPRIM_400000_NS6detail17trampoline_kernelINS0_14default_configENS1_25partition_config_selectorILNS1_17partition_subalgoE5EjNS0_10empty_typeEbEEZZNS1_14partition_implILS5_5ELb0ES3_mN6thrust23THRUST_200600_302600_NS6detail15normal_iteratorINSA_10device_ptrIjEEEEPS6_NSA_18transform_iteratorINSB_9not_fun_tI7is_trueIjEEENSC_INSD_IbEEEENSA_11use_defaultESO_EENS0_5tupleIJNSA_16discard_iteratorISO_EES6_EEENSQ_IJSG_SG_EEES6_PlJS6_EEE10hipError_tPvRmT3_T4_T5_T6_T7_T9_mT8_P12ihipStream_tbDpT10_ENKUlT_T0_E_clISt17integral_constantIbLb0EES1E_IbLb1EEEEDaS1A_S1B_EUlS1A_E_NS1_11comp_targetILNS1_3genE9ELNS1_11target_archE1100ELNS1_3gpuE3ELNS1_3repE0EEENS1_30default_config_static_selectorELNS0_4arch9wavefront6targetE0EEEvT1_.has_recursion, 0
	.set _ZN7rocprim17ROCPRIM_400000_NS6detail17trampoline_kernelINS0_14default_configENS1_25partition_config_selectorILNS1_17partition_subalgoE5EjNS0_10empty_typeEbEEZZNS1_14partition_implILS5_5ELb0ES3_mN6thrust23THRUST_200600_302600_NS6detail15normal_iteratorINSA_10device_ptrIjEEEEPS6_NSA_18transform_iteratorINSB_9not_fun_tI7is_trueIjEEENSC_INSD_IbEEEENSA_11use_defaultESO_EENS0_5tupleIJNSA_16discard_iteratorISO_EES6_EEENSQ_IJSG_SG_EEES6_PlJS6_EEE10hipError_tPvRmT3_T4_T5_T6_T7_T9_mT8_P12ihipStream_tbDpT10_ENKUlT_T0_E_clISt17integral_constantIbLb0EES1E_IbLb1EEEEDaS1A_S1B_EUlS1A_E_NS1_11comp_targetILNS1_3genE9ELNS1_11target_archE1100ELNS1_3gpuE3ELNS1_3repE0EEENS1_30default_config_static_selectorELNS0_4arch9wavefront6targetE0EEEvT1_.has_indirect_call, 0
	.section	.AMDGPU.csdata,"",@progbits
; Kernel info:
; codeLenInByte = 0
; TotalNumSgprs: 0
; NumVgprs: 0
; ScratchSize: 0
; MemoryBound: 0
; FloatMode: 240
; IeeeMode: 1
; LDSByteSize: 0 bytes/workgroup (compile time only)
; SGPRBlocks: 0
; VGPRBlocks: 0
; NumSGPRsForWavesPerEU: 1
; NumVGPRsForWavesPerEU: 1
; Occupancy: 16
; WaveLimiterHint : 0
; COMPUTE_PGM_RSRC2:SCRATCH_EN: 0
; COMPUTE_PGM_RSRC2:USER_SGPR: 2
; COMPUTE_PGM_RSRC2:TRAP_HANDLER: 0
; COMPUTE_PGM_RSRC2:TGID_X_EN: 1
; COMPUTE_PGM_RSRC2:TGID_Y_EN: 0
; COMPUTE_PGM_RSRC2:TGID_Z_EN: 0
; COMPUTE_PGM_RSRC2:TIDIG_COMP_CNT: 0
	.section	.text._ZN7rocprim17ROCPRIM_400000_NS6detail17trampoline_kernelINS0_14default_configENS1_25partition_config_selectorILNS1_17partition_subalgoE5EjNS0_10empty_typeEbEEZZNS1_14partition_implILS5_5ELb0ES3_mN6thrust23THRUST_200600_302600_NS6detail15normal_iteratorINSA_10device_ptrIjEEEEPS6_NSA_18transform_iteratorINSB_9not_fun_tI7is_trueIjEEENSC_INSD_IbEEEENSA_11use_defaultESO_EENS0_5tupleIJNSA_16discard_iteratorISO_EES6_EEENSQ_IJSG_SG_EEES6_PlJS6_EEE10hipError_tPvRmT3_T4_T5_T6_T7_T9_mT8_P12ihipStream_tbDpT10_ENKUlT_T0_E_clISt17integral_constantIbLb0EES1E_IbLb1EEEEDaS1A_S1B_EUlS1A_E_NS1_11comp_targetILNS1_3genE8ELNS1_11target_archE1030ELNS1_3gpuE2ELNS1_3repE0EEENS1_30default_config_static_selectorELNS0_4arch9wavefront6targetE0EEEvT1_,"axG",@progbits,_ZN7rocprim17ROCPRIM_400000_NS6detail17trampoline_kernelINS0_14default_configENS1_25partition_config_selectorILNS1_17partition_subalgoE5EjNS0_10empty_typeEbEEZZNS1_14partition_implILS5_5ELb0ES3_mN6thrust23THRUST_200600_302600_NS6detail15normal_iteratorINSA_10device_ptrIjEEEEPS6_NSA_18transform_iteratorINSB_9not_fun_tI7is_trueIjEEENSC_INSD_IbEEEENSA_11use_defaultESO_EENS0_5tupleIJNSA_16discard_iteratorISO_EES6_EEENSQ_IJSG_SG_EEES6_PlJS6_EEE10hipError_tPvRmT3_T4_T5_T6_T7_T9_mT8_P12ihipStream_tbDpT10_ENKUlT_T0_E_clISt17integral_constantIbLb0EES1E_IbLb1EEEEDaS1A_S1B_EUlS1A_E_NS1_11comp_targetILNS1_3genE8ELNS1_11target_archE1030ELNS1_3gpuE2ELNS1_3repE0EEENS1_30default_config_static_selectorELNS0_4arch9wavefront6targetE0EEEvT1_,comdat
	.protected	_ZN7rocprim17ROCPRIM_400000_NS6detail17trampoline_kernelINS0_14default_configENS1_25partition_config_selectorILNS1_17partition_subalgoE5EjNS0_10empty_typeEbEEZZNS1_14partition_implILS5_5ELb0ES3_mN6thrust23THRUST_200600_302600_NS6detail15normal_iteratorINSA_10device_ptrIjEEEEPS6_NSA_18transform_iteratorINSB_9not_fun_tI7is_trueIjEEENSC_INSD_IbEEEENSA_11use_defaultESO_EENS0_5tupleIJNSA_16discard_iteratorISO_EES6_EEENSQ_IJSG_SG_EEES6_PlJS6_EEE10hipError_tPvRmT3_T4_T5_T6_T7_T9_mT8_P12ihipStream_tbDpT10_ENKUlT_T0_E_clISt17integral_constantIbLb0EES1E_IbLb1EEEEDaS1A_S1B_EUlS1A_E_NS1_11comp_targetILNS1_3genE8ELNS1_11target_archE1030ELNS1_3gpuE2ELNS1_3repE0EEENS1_30default_config_static_selectorELNS0_4arch9wavefront6targetE0EEEvT1_ ; -- Begin function _ZN7rocprim17ROCPRIM_400000_NS6detail17trampoline_kernelINS0_14default_configENS1_25partition_config_selectorILNS1_17partition_subalgoE5EjNS0_10empty_typeEbEEZZNS1_14partition_implILS5_5ELb0ES3_mN6thrust23THRUST_200600_302600_NS6detail15normal_iteratorINSA_10device_ptrIjEEEEPS6_NSA_18transform_iteratorINSB_9not_fun_tI7is_trueIjEEENSC_INSD_IbEEEENSA_11use_defaultESO_EENS0_5tupleIJNSA_16discard_iteratorISO_EES6_EEENSQ_IJSG_SG_EEES6_PlJS6_EEE10hipError_tPvRmT3_T4_T5_T6_T7_T9_mT8_P12ihipStream_tbDpT10_ENKUlT_T0_E_clISt17integral_constantIbLb0EES1E_IbLb1EEEEDaS1A_S1B_EUlS1A_E_NS1_11comp_targetILNS1_3genE8ELNS1_11target_archE1030ELNS1_3gpuE2ELNS1_3repE0EEENS1_30default_config_static_selectorELNS0_4arch9wavefront6targetE0EEEvT1_
	.globl	_ZN7rocprim17ROCPRIM_400000_NS6detail17trampoline_kernelINS0_14default_configENS1_25partition_config_selectorILNS1_17partition_subalgoE5EjNS0_10empty_typeEbEEZZNS1_14partition_implILS5_5ELb0ES3_mN6thrust23THRUST_200600_302600_NS6detail15normal_iteratorINSA_10device_ptrIjEEEEPS6_NSA_18transform_iteratorINSB_9not_fun_tI7is_trueIjEEENSC_INSD_IbEEEENSA_11use_defaultESO_EENS0_5tupleIJNSA_16discard_iteratorISO_EES6_EEENSQ_IJSG_SG_EEES6_PlJS6_EEE10hipError_tPvRmT3_T4_T5_T6_T7_T9_mT8_P12ihipStream_tbDpT10_ENKUlT_T0_E_clISt17integral_constantIbLb0EES1E_IbLb1EEEEDaS1A_S1B_EUlS1A_E_NS1_11comp_targetILNS1_3genE8ELNS1_11target_archE1030ELNS1_3gpuE2ELNS1_3repE0EEENS1_30default_config_static_selectorELNS0_4arch9wavefront6targetE0EEEvT1_
	.p2align	8
	.type	_ZN7rocprim17ROCPRIM_400000_NS6detail17trampoline_kernelINS0_14default_configENS1_25partition_config_selectorILNS1_17partition_subalgoE5EjNS0_10empty_typeEbEEZZNS1_14partition_implILS5_5ELb0ES3_mN6thrust23THRUST_200600_302600_NS6detail15normal_iteratorINSA_10device_ptrIjEEEEPS6_NSA_18transform_iteratorINSB_9not_fun_tI7is_trueIjEEENSC_INSD_IbEEEENSA_11use_defaultESO_EENS0_5tupleIJNSA_16discard_iteratorISO_EES6_EEENSQ_IJSG_SG_EEES6_PlJS6_EEE10hipError_tPvRmT3_T4_T5_T6_T7_T9_mT8_P12ihipStream_tbDpT10_ENKUlT_T0_E_clISt17integral_constantIbLb0EES1E_IbLb1EEEEDaS1A_S1B_EUlS1A_E_NS1_11comp_targetILNS1_3genE8ELNS1_11target_archE1030ELNS1_3gpuE2ELNS1_3repE0EEENS1_30default_config_static_selectorELNS0_4arch9wavefront6targetE0EEEvT1_,@function
_ZN7rocprim17ROCPRIM_400000_NS6detail17trampoline_kernelINS0_14default_configENS1_25partition_config_selectorILNS1_17partition_subalgoE5EjNS0_10empty_typeEbEEZZNS1_14partition_implILS5_5ELb0ES3_mN6thrust23THRUST_200600_302600_NS6detail15normal_iteratorINSA_10device_ptrIjEEEEPS6_NSA_18transform_iteratorINSB_9not_fun_tI7is_trueIjEEENSC_INSD_IbEEEENSA_11use_defaultESO_EENS0_5tupleIJNSA_16discard_iteratorISO_EES6_EEENSQ_IJSG_SG_EEES6_PlJS6_EEE10hipError_tPvRmT3_T4_T5_T6_T7_T9_mT8_P12ihipStream_tbDpT10_ENKUlT_T0_E_clISt17integral_constantIbLb0EES1E_IbLb1EEEEDaS1A_S1B_EUlS1A_E_NS1_11comp_targetILNS1_3genE8ELNS1_11target_archE1030ELNS1_3gpuE2ELNS1_3repE0EEENS1_30default_config_static_selectorELNS0_4arch9wavefront6targetE0EEEvT1_: ; @_ZN7rocprim17ROCPRIM_400000_NS6detail17trampoline_kernelINS0_14default_configENS1_25partition_config_selectorILNS1_17partition_subalgoE5EjNS0_10empty_typeEbEEZZNS1_14partition_implILS5_5ELb0ES3_mN6thrust23THRUST_200600_302600_NS6detail15normal_iteratorINSA_10device_ptrIjEEEEPS6_NSA_18transform_iteratorINSB_9not_fun_tI7is_trueIjEEENSC_INSD_IbEEEENSA_11use_defaultESO_EENS0_5tupleIJNSA_16discard_iteratorISO_EES6_EEENSQ_IJSG_SG_EEES6_PlJS6_EEE10hipError_tPvRmT3_T4_T5_T6_T7_T9_mT8_P12ihipStream_tbDpT10_ENKUlT_T0_E_clISt17integral_constantIbLb0EES1E_IbLb1EEEEDaS1A_S1B_EUlS1A_E_NS1_11comp_targetILNS1_3genE8ELNS1_11target_archE1030ELNS1_3gpuE2ELNS1_3repE0EEENS1_30default_config_static_selectorELNS0_4arch9wavefront6targetE0EEEvT1_
; %bb.0:
	.section	.rodata,"a",@progbits
	.p2align	6, 0x0
	.amdhsa_kernel _ZN7rocprim17ROCPRIM_400000_NS6detail17trampoline_kernelINS0_14default_configENS1_25partition_config_selectorILNS1_17partition_subalgoE5EjNS0_10empty_typeEbEEZZNS1_14partition_implILS5_5ELb0ES3_mN6thrust23THRUST_200600_302600_NS6detail15normal_iteratorINSA_10device_ptrIjEEEEPS6_NSA_18transform_iteratorINSB_9not_fun_tI7is_trueIjEEENSC_INSD_IbEEEENSA_11use_defaultESO_EENS0_5tupleIJNSA_16discard_iteratorISO_EES6_EEENSQ_IJSG_SG_EEES6_PlJS6_EEE10hipError_tPvRmT3_T4_T5_T6_T7_T9_mT8_P12ihipStream_tbDpT10_ENKUlT_T0_E_clISt17integral_constantIbLb0EES1E_IbLb1EEEEDaS1A_S1B_EUlS1A_E_NS1_11comp_targetILNS1_3genE8ELNS1_11target_archE1030ELNS1_3gpuE2ELNS1_3repE0EEENS1_30default_config_static_selectorELNS0_4arch9wavefront6targetE0EEEvT1_
		.amdhsa_group_segment_fixed_size 0
		.amdhsa_private_segment_fixed_size 0
		.amdhsa_kernarg_size 144
		.amdhsa_user_sgpr_count 2
		.amdhsa_user_sgpr_dispatch_ptr 0
		.amdhsa_user_sgpr_queue_ptr 0
		.amdhsa_user_sgpr_kernarg_segment_ptr 1
		.amdhsa_user_sgpr_dispatch_id 0
		.amdhsa_user_sgpr_private_segment_size 0
		.amdhsa_wavefront_size32 1
		.amdhsa_uses_dynamic_stack 0
		.amdhsa_enable_private_segment 0
		.amdhsa_system_sgpr_workgroup_id_x 1
		.amdhsa_system_sgpr_workgroup_id_y 0
		.amdhsa_system_sgpr_workgroup_id_z 0
		.amdhsa_system_sgpr_workgroup_info 0
		.amdhsa_system_vgpr_workitem_id 0
		.amdhsa_next_free_vgpr 1
		.amdhsa_next_free_sgpr 1
		.amdhsa_reserve_vcc 0
		.amdhsa_float_round_mode_32 0
		.amdhsa_float_round_mode_16_64 0
		.amdhsa_float_denorm_mode_32 3
		.amdhsa_float_denorm_mode_16_64 3
		.amdhsa_fp16_overflow 0
		.amdhsa_workgroup_processor_mode 1
		.amdhsa_memory_ordered 1
		.amdhsa_forward_progress 1
		.amdhsa_inst_pref_size 0
		.amdhsa_round_robin_scheduling 0
		.amdhsa_exception_fp_ieee_invalid_op 0
		.amdhsa_exception_fp_denorm_src 0
		.amdhsa_exception_fp_ieee_div_zero 0
		.amdhsa_exception_fp_ieee_overflow 0
		.amdhsa_exception_fp_ieee_underflow 0
		.amdhsa_exception_fp_ieee_inexact 0
		.amdhsa_exception_int_div_zero 0
	.end_amdhsa_kernel
	.section	.text._ZN7rocprim17ROCPRIM_400000_NS6detail17trampoline_kernelINS0_14default_configENS1_25partition_config_selectorILNS1_17partition_subalgoE5EjNS0_10empty_typeEbEEZZNS1_14partition_implILS5_5ELb0ES3_mN6thrust23THRUST_200600_302600_NS6detail15normal_iteratorINSA_10device_ptrIjEEEEPS6_NSA_18transform_iteratorINSB_9not_fun_tI7is_trueIjEEENSC_INSD_IbEEEENSA_11use_defaultESO_EENS0_5tupleIJNSA_16discard_iteratorISO_EES6_EEENSQ_IJSG_SG_EEES6_PlJS6_EEE10hipError_tPvRmT3_T4_T5_T6_T7_T9_mT8_P12ihipStream_tbDpT10_ENKUlT_T0_E_clISt17integral_constantIbLb0EES1E_IbLb1EEEEDaS1A_S1B_EUlS1A_E_NS1_11comp_targetILNS1_3genE8ELNS1_11target_archE1030ELNS1_3gpuE2ELNS1_3repE0EEENS1_30default_config_static_selectorELNS0_4arch9wavefront6targetE0EEEvT1_,"axG",@progbits,_ZN7rocprim17ROCPRIM_400000_NS6detail17trampoline_kernelINS0_14default_configENS1_25partition_config_selectorILNS1_17partition_subalgoE5EjNS0_10empty_typeEbEEZZNS1_14partition_implILS5_5ELb0ES3_mN6thrust23THRUST_200600_302600_NS6detail15normal_iteratorINSA_10device_ptrIjEEEEPS6_NSA_18transform_iteratorINSB_9not_fun_tI7is_trueIjEEENSC_INSD_IbEEEENSA_11use_defaultESO_EENS0_5tupleIJNSA_16discard_iteratorISO_EES6_EEENSQ_IJSG_SG_EEES6_PlJS6_EEE10hipError_tPvRmT3_T4_T5_T6_T7_T9_mT8_P12ihipStream_tbDpT10_ENKUlT_T0_E_clISt17integral_constantIbLb0EES1E_IbLb1EEEEDaS1A_S1B_EUlS1A_E_NS1_11comp_targetILNS1_3genE8ELNS1_11target_archE1030ELNS1_3gpuE2ELNS1_3repE0EEENS1_30default_config_static_selectorELNS0_4arch9wavefront6targetE0EEEvT1_,comdat
.Lfunc_end2716:
	.size	_ZN7rocprim17ROCPRIM_400000_NS6detail17trampoline_kernelINS0_14default_configENS1_25partition_config_selectorILNS1_17partition_subalgoE5EjNS0_10empty_typeEbEEZZNS1_14partition_implILS5_5ELb0ES3_mN6thrust23THRUST_200600_302600_NS6detail15normal_iteratorINSA_10device_ptrIjEEEEPS6_NSA_18transform_iteratorINSB_9not_fun_tI7is_trueIjEEENSC_INSD_IbEEEENSA_11use_defaultESO_EENS0_5tupleIJNSA_16discard_iteratorISO_EES6_EEENSQ_IJSG_SG_EEES6_PlJS6_EEE10hipError_tPvRmT3_T4_T5_T6_T7_T9_mT8_P12ihipStream_tbDpT10_ENKUlT_T0_E_clISt17integral_constantIbLb0EES1E_IbLb1EEEEDaS1A_S1B_EUlS1A_E_NS1_11comp_targetILNS1_3genE8ELNS1_11target_archE1030ELNS1_3gpuE2ELNS1_3repE0EEENS1_30default_config_static_selectorELNS0_4arch9wavefront6targetE0EEEvT1_, .Lfunc_end2716-_ZN7rocprim17ROCPRIM_400000_NS6detail17trampoline_kernelINS0_14default_configENS1_25partition_config_selectorILNS1_17partition_subalgoE5EjNS0_10empty_typeEbEEZZNS1_14partition_implILS5_5ELb0ES3_mN6thrust23THRUST_200600_302600_NS6detail15normal_iteratorINSA_10device_ptrIjEEEEPS6_NSA_18transform_iteratorINSB_9not_fun_tI7is_trueIjEEENSC_INSD_IbEEEENSA_11use_defaultESO_EENS0_5tupleIJNSA_16discard_iteratorISO_EES6_EEENSQ_IJSG_SG_EEES6_PlJS6_EEE10hipError_tPvRmT3_T4_T5_T6_T7_T9_mT8_P12ihipStream_tbDpT10_ENKUlT_T0_E_clISt17integral_constantIbLb0EES1E_IbLb1EEEEDaS1A_S1B_EUlS1A_E_NS1_11comp_targetILNS1_3genE8ELNS1_11target_archE1030ELNS1_3gpuE2ELNS1_3repE0EEENS1_30default_config_static_selectorELNS0_4arch9wavefront6targetE0EEEvT1_
                                        ; -- End function
	.set _ZN7rocprim17ROCPRIM_400000_NS6detail17trampoline_kernelINS0_14default_configENS1_25partition_config_selectorILNS1_17partition_subalgoE5EjNS0_10empty_typeEbEEZZNS1_14partition_implILS5_5ELb0ES3_mN6thrust23THRUST_200600_302600_NS6detail15normal_iteratorINSA_10device_ptrIjEEEEPS6_NSA_18transform_iteratorINSB_9not_fun_tI7is_trueIjEEENSC_INSD_IbEEEENSA_11use_defaultESO_EENS0_5tupleIJNSA_16discard_iteratorISO_EES6_EEENSQ_IJSG_SG_EEES6_PlJS6_EEE10hipError_tPvRmT3_T4_T5_T6_T7_T9_mT8_P12ihipStream_tbDpT10_ENKUlT_T0_E_clISt17integral_constantIbLb0EES1E_IbLb1EEEEDaS1A_S1B_EUlS1A_E_NS1_11comp_targetILNS1_3genE8ELNS1_11target_archE1030ELNS1_3gpuE2ELNS1_3repE0EEENS1_30default_config_static_selectorELNS0_4arch9wavefront6targetE0EEEvT1_.num_vgpr, 0
	.set _ZN7rocprim17ROCPRIM_400000_NS6detail17trampoline_kernelINS0_14default_configENS1_25partition_config_selectorILNS1_17partition_subalgoE5EjNS0_10empty_typeEbEEZZNS1_14partition_implILS5_5ELb0ES3_mN6thrust23THRUST_200600_302600_NS6detail15normal_iteratorINSA_10device_ptrIjEEEEPS6_NSA_18transform_iteratorINSB_9not_fun_tI7is_trueIjEEENSC_INSD_IbEEEENSA_11use_defaultESO_EENS0_5tupleIJNSA_16discard_iteratorISO_EES6_EEENSQ_IJSG_SG_EEES6_PlJS6_EEE10hipError_tPvRmT3_T4_T5_T6_T7_T9_mT8_P12ihipStream_tbDpT10_ENKUlT_T0_E_clISt17integral_constantIbLb0EES1E_IbLb1EEEEDaS1A_S1B_EUlS1A_E_NS1_11comp_targetILNS1_3genE8ELNS1_11target_archE1030ELNS1_3gpuE2ELNS1_3repE0EEENS1_30default_config_static_selectorELNS0_4arch9wavefront6targetE0EEEvT1_.num_agpr, 0
	.set _ZN7rocprim17ROCPRIM_400000_NS6detail17trampoline_kernelINS0_14default_configENS1_25partition_config_selectorILNS1_17partition_subalgoE5EjNS0_10empty_typeEbEEZZNS1_14partition_implILS5_5ELb0ES3_mN6thrust23THRUST_200600_302600_NS6detail15normal_iteratorINSA_10device_ptrIjEEEEPS6_NSA_18transform_iteratorINSB_9not_fun_tI7is_trueIjEEENSC_INSD_IbEEEENSA_11use_defaultESO_EENS0_5tupleIJNSA_16discard_iteratorISO_EES6_EEENSQ_IJSG_SG_EEES6_PlJS6_EEE10hipError_tPvRmT3_T4_T5_T6_T7_T9_mT8_P12ihipStream_tbDpT10_ENKUlT_T0_E_clISt17integral_constantIbLb0EES1E_IbLb1EEEEDaS1A_S1B_EUlS1A_E_NS1_11comp_targetILNS1_3genE8ELNS1_11target_archE1030ELNS1_3gpuE2ELNS1_3repE0EEENS1_30default_config_static_selectorELNS0_4arch9wavefront6targetE0EEEvT1_.numbered_sgpr, 0
	.set _ZN7rocprim17ROCPRIM_400000_NS6detail17trampoline_kernelINS0_14default_configENS1_25partition_config_selectorILNS1_17partition_subalgoE5EjNS0_10empty_typeEbEEZZNS1_14partition_implILS5_5ELb0ES3_mN6thrust23THRUST_200600_302600_NS6detail15normal_iteratorINSA_10device_ptrIjEEEEPS6_NSA_18transform_iteratorINSB_9not_fun_tI7is_trueIjEEENSC_INSD_IbEEEENSA_11use_defaultESO_EENS0_5tupleIJNSA_16discard_iteratorISO_EES6_EEENSQ_IJSG_SG_EEES6_PlJS6_EEE10hipError_tPvRmT3_T4_T5_T6_T7_T9_mT8_P12ihipStream_tbDpT10_ENKUlT_T0_E_clISt17integral_constantIbLb0EES1E_IbLb1EEEEDaS1A_S1B_EUlS1A_E_NS1_11comp_targetILNS1_3genE8ELNS1_11target_archE1030ELNS1_3gpuE2ELNS1_3repE0EEENS1_30default_config_static_selectorELNS0_4arch9wavefront6targetE0EEEvT1_.num_named_barrier, 0
	.set _ZN7rocprim17ROCPRIM_400000_NS6detail17trampoline_kernelINS0_14default_configENS1_25partition_config_selectorILNS1_17partition_subalgoE5EjNS0_10empty_typeEbEEZZNS1_14partition_implILS5_5ELb0ES3_mN6thrust23THRUST_200600_302600_NS6detail15normal_iteratorINSA_10device_ptrIjEEEEPS6_NSA_18transform_iteratorINSB_9not_fun_tI7is_trueIjEEENSC_INSD_IbEEEENSA_11use_defaultESO_EENS0_5tupleIJNSA_16discard_iteratorISO_EES6_EEENSQ_IJSG_SG_EEES6_PlJS6_EEE10hipError_tPvRmT3_T4_T5_T6_T7_T9_mT8_P12ihipStream_tbDpT10_ENKUlT_T0_E_clISt17integral_constantIbLb0EES1E_IbLb1EEEEDaS1A_S1B_EUlS1A_E_NS1_11comp_targetILNS1_3genE8ELNS1_11target_archE1030ELNS1_3gpuE2ELNS1_3repE0EEENS1_30default_config_static_selectorELNS0_4arch9wavefront6targetE0EEEvT1_.private_seg_size, 0
	.set _ZN7rocprim17ROCPRIM_400000_NS6detail17trampoline_kernelINS0_14default_configENS1_25partition_config_selectorILNS1_17partition_subalgoE5EjNS0_10empty_typeEbEEZZNS1_14partition_implILS5_5ELb0ES3_mN6thrust23THRUST_200600_302600_NS6detail15normal_iteratorINSA_10device_ptrIjEEEEPS6_NSA_18transform_iteratorINSB_9not_fun_tI7is_trueIjEEENSC_INSD_IbEEEENSA_11use_defaultESO_EENS0_5tupleIJNSA_16discard_iteratorISO_EES6_EEENSQ_IJSG_SG_EEES6_PlJS6_EEE10hipError_tPvRmT3_T4_T5_T6_T7_T9_mT8_P12ihipStream_tbDpT10_ENKUlT_T0_E_clISt17integral_constantIbLb0EES1E_IbLb1EEEEDaS1A_S1B_EUlS1A_E_NS1_11comp_targetILNS1_3genE8ELNS1_11target_archE1030ELNS1_3gpuE2ELNS1_3repE0EEENS1_30default_config_static_selectorELNS0_4arch9wavefront6targetE0EEEvT1_.uses_vcc, 0
	.set _ZN7rocprim17ROCPRIM_400000_NS6detail17trampoline_kernelINS0_14default_configENS1_25partition_config_selectorILNS1_17partition_subalgoE5EjNS0_10empty_typeEbEEZZNS1_14partition_implILS5_5ELb0ES3_mN6thrust23THRUST_200600_302600_NS6detail15normal_iteratorINSA_10device_ptrIjEEEEPS6_NSA_18transform_iteratorINSB_9not_fun_tI7is_trueIjEEENSC_INSD_IbEEEENSA_11use_defaultESO_EENS0_5tupleIJNSA_16discard_iteratorISO_EES6_EEENSQ_IJSG_SG_EEES6_PlJS6_EEE10hipError_tPvRmT3_T4_T5_T6_T7_T9_mT8_P12ihipStream_tbDpT10_ENKUlT_T0_E_clISt17integral_constantIbLb0EES1E_IbLb1EEEEDaS1A_S1B_EUlS1A_E_NS1_11comp_targetILNS1_3genE8ELNS1_11target_archE1030ELNS1_3gpuE2ELNS1_3repE0EEENS1_30default_config_static_selectorELNS0_4arch9wavefront6targetE0EEEvT1_.uses_flat_scratch, 0
	.set _ZN7rocprim17ROCPRIM_400000_NS6detail17trampoline_kernelINS0_14default_configENS1_25partition_config_selectorILNS1_17partition_subalgoE5EjNS0_10empty_typeEbEEZZNS1_14partition_implILS5_5ELb0ES3_mN6thrust23THRUST_200600_302600_NS6detail15normal_iteratorINSA_10device_ptrIjEEEEPS6_NSA_18transform_iteratorINSB_9not_fun_tI7is_trueIjEEENSC_INSD_IbEEEENSA_11use_defaultESO_EENS0_5tupleIJNSA_16discard_iteratorISO_EES6_EEENSQ_IJSG_SG_EEES6_PlJS6_EEE10hipError_tPvRmT3_T4_T5_T6_T7_T9_mT8_P12ihipStream_tbDpT10_ENKUlT_T0_E_clISt17integral_constantIbLb0EES1E_IbLb1EEEEDaS1A_S1B_EUlS1A_E_NS1_11comp_targetILNS1_3genE8ELNS1_11target_archE1030ELNS1_3gpuE2ELNS1_3repE0EEENS1_30default_config_static_selectorELNS0_4arch9wavefront6targetE0EEEvT1_.has_dyn_sized_stack, 0
	.set _ZN7rocprim17ROCPRIM_400000_NS6detail17trampoline_kernelINS0_14default_configENS1_25partition_config_selectorILNS1_17partition_subalgoE5EjNS0_10empty_typeEbEEZZNS1_14partition_implILS5_5ELb0ES3_mN6thrust23THRUST_200600_302600_NS6detail15normal_iteratorINSA_10device_ptrIjEEEEPS6_NSA_18transform_iteratorINSB_9not_fun_tI7is_trueIjEEENSC_INSD_IbEEEENSA_11use_defaultESO_EENS0_5tupleIJNSA_16discard_iteratorISO_EES6_EEENSQ_IJSG_SG_EEES6_PlJS6_EEE10hipError_tPvRmT3_T4_T5_T6_T7_T9_mT8_P12ihipStream_tbDpT10_ENKUlT_T0_E_clISt17integral_constantIbLb0EES1E_IbLb1EEEEDaS1A_S1B_EUlS1A_E_NS1_11comp_targetILNS1_3genE8ELNS1_11target_archE1030ELNS1_3gpuE2ELNS1_3repE0EEENS1_30default_config_static_selectorELNS0_4arch9wavefront6targetE0EEEvT1_.has_recursion, 0
	.set _ZN7rocprim17ROCPRIM_400000_NS6detail17trampoline_kernelINS0_14default_configENS1_25partition_config_selectorILNS1_17partition_subalgoE5EjNS0_10empty_typeEbEEZZNS1_14partition_implILS5_5ELb0ES3_mN6thrust23THRUST_200600_302600_NS6detail15normal_iteratorINSA_10device_ptrIjEEEEPS6_NSA_18transform_iteratorINSB_9not_fun_tI7is_trueIjEEENSC_INSD_IbEEEENSA_11use_defaultESO_EENS0_5tupleIJNSA_16discard_iteratorISO_EES6_EEENSQ_IJSG_SG_EEES6_PlJS6_EEE10hipError_tPvRmT3_T4_T5_T6_T7_T9_mT8_P12ihipStream_tbDpT10_ENKUlT_T0_E_clISt17integral_constantIbLb0EES1E_IbLb1EEEEDaS1A_S1B_EUlS1A_E_NS1_11comp_targetILNS1_3genE8ELNS1_11target_archE1030ELNS1_3gpuE2ELNS1_3repE0EEENS1_30default_config_static_selectorELNS0_4arch9wavefront6targetE0EEEvT1_.has_indirect_call, 0
	.section	.AMDGPU.csdata,"",@progbits
; Kernel info:
; codeLenInByte = 0
; TotalNumSgprs: 0
; NumVgprs: 0
; ScratchSize: 0
; MemoryBound: 0
; FloatMode: 240
; IeeeMode: 1
; LDSByteSize: 0 bytes/workgroup (compile time only)
; SGPRBlocks: 0
; VGPRBlocks: 0
; NumSGPRsForWavesPerEU: 1
; NumVGPRsForWavesPerEU: 1
; Occupancy: 16
; WaveLimiterHint : 0
; COMPUTE_PGM_RSRC2:SCRATCH_EN: 0
; COMPUTE_PGM_RSRC2:USER_SGPR: 2
; COMPUTE_PGM_RSRC2:TRAP_HANDLER: 0
; COMPUTE_PGM_RSRC2:TGID_X_EN: 1
; COMPUTE_PGM_RSRC2:TGID_Y_EN: 0
; COMPUTE_PGM_RSRC2:TGID_Z_EN: 0
; COMPUTE_PGM_RSRC2:TIDIG_COMP_CNT: 0
	.section	.text._ZN7rocprim17ROCPRIM_400000_NS6detail17trampoline_kernelINS0_14default_configENS1_25partition_config_selectorILNS1_17partition_subalgoE5EtNS0_10empty_typeEbEEZZNS1_14partition_implILS5_5ELb0ES3_mN6thrust23THRUST_200600_302600_NS6detail15normal_iteratorINSA_10device_ptrItEEEEPS6_NSA_18transform_iteratorINSB_9not_fun_tI7is_trueItEEENSC_INSD_IbEEEENSA_11use_defaultESO_EENS0_5tupleIJNSA_16discard_iteratorISO_EES6_EEENSQ_IJSG_SG_EEES6_PlJS6_EEE10hipError_tPvRmT3_T4_T5_T6_T7_T9_mT8_P12ihipStream_tbDpT10_ENKUlT_T0_E_clISt17integral_constantIbLb0EES1F_EEDaS1A_S1B_EUlS1A_E_NS1_11comp_targetILNS1_3genE0ELNS1_11target_archE4294967295ELNS1_3gpuE0ELNS1_3repE0EEENS1_30default_config_static_selectorELNS0_4arch9wavefront6targetE0EEEvT1_,"axG",@progbits,_ZN7rocprim17ROCPRIM_400000_NS6detail17trampoline_kernelINS0_14default_configENS1_25partition_config_selectorILNS1_17partition_subalgoE5EtNS0_10empty_typeEbEEZZNS1_14partition_implILS5_5ELb0ES3_mN6thrust23THRUST_200600_302600_NS6detail15normal_iteratorINSA_10device_ptrItEEEEPS6_NSA_18transform_iteratorINSB_9not_fun_tI7is_trueItEEENSC_INSD_IbEEEENSA_11use_defaultESO_EENS0_5tupleIJNSA_16discard_iteratorISO_EES6_EEENSQ_IJSG_SG_EEES6_PlJS6_EEE10hipError_tPvRmT3_T4_T5_T6_T7_T9_mT8_P12ihipStream_tbDpT10_ENKUlT_T0_E_clISt17integral_constantIbLb0EES1F_EEDaS1A_S1B_EUlS1A_E_NS1_11comp_targetILNS1_3genE0ELNS1_11target_archE4294967295ELNS1_3gpuE0ELNS1_3repE0EEENS1_30default_config_static_selectorELNS0_4arch9wavefront6targetE0EEEvT1_,comdat
	.protected	_ZN7rocprim17ROCPRIM_400000_NS6detail17trampoline_kernelINS0_14default_configENS1_25partition_config_selectorILNS1_17partition_subalgoE5EtNS0_10empty_typeEbEEZZNS1_14partition_implILS5_5ELb0ES3_mN6thrust23THRUST_200600_302600_NS6detail15normal_iteratorINSA_10device_ptrItEEEEPS6_NSA_18transform_iteratorINSB_9not_fun_tI7is_trueItEEENSC_INSD_IbEEEENSA_11use_defaultESO_EENS0_5tupleIJNSA_16discard_iteratorISO_EES6_EEENSQ_IJSG_SG_EEES6_PlJS6_EEE10hipError_tPvRmT3_T4_T5_T6_T7_T9_mT8_P12ihipStream_tbDpT10_ENKUlT_T0_E_clISt17integral_constantIbLb0EES1F_EEDaS1A_S1B_EUlS1A_E_NS1_11comp_targetILNS1_3genE0ELNS1_11target_archE4294967295ELNS1_3gpuE0ELNS1_3repE0EEENS1_30default_config_static_selectorELNS0_4arch9wavefront6targetE0EEEvT1_ ; -- Begin function _ZN7rocprim17ROCPRIM_400000_NS6detail17trampoline_kernelINS0_14default_configENS1_25partition_config_selectorILNS1_17partition_subalgoE5EtNS0_10empty_typeEbEEZZNS1_14partition_implILS5_5ELb0ES3_mN6thrust23THRUST_200600_302600_NS6detail15normal_iteratorINSA_10device_ptrItEEEEPS6_NSA_18transform_iteratorINSB_9not_fun_tI7is_trueItEEENSC_INSD_IbEEEENSA_11use_defaultESO_EENS0_5tupleIJNSA_16discard_iteratorISO_EES6_EEENSQ_IJSG_SG_EEES6_PlJS6_EEE10hipError_tPvRmT3_T4_T5_T6_T7_T9_mT8_P12ihipStream_tbDpT10_ENKUlT_T0_E_clISt17integral_constantIbLb0EES1F_EEDaS1A_S1B_EUlS1A_E_NS1_11comp_targetILNS1_3genE0ELNS1_11target_archE4294967295ELNS1_3gpuE0ELNS1_3repE0EEENS1_30default_config_static_selectorELNS0_4arch9wavefront6targetE0EEEvT1_
	.globl	_ZN7rocprim17ROCPRIM_400000_NS6detail17trampoline_kernelINS0_14default_configENS1_25partition_config_selectorILNS1_17partition_subalgoE5EtNS0_10empty_typeEbEEZZNS1_14partition_implILS5_5ELb0ES3_mN6thrust23THRUST_200600_302600_NS6detail15normal_iteratorINSA_10device_ptrItEEEEPS6_NSA_18transform_iteratorINSB_9not_fun_tI7is_trueItEEENSC_INSD_IbEEEENSA_11use_defaultESO_EENS0_5tupleIJNSA_16discard_iteratorISO_EES6_EEENSQ_IJSG_SG_EEES6_PlJS6_EEE10hipError_tPvRmT3_T4_T5_T6_T7_T9_mT8_P12ihipStream_tbDpT10_ENKUlT_T0_E_clISt17integral_constantIbLb0EES1F_EEDaS1A_S1B_EUlS1A_E_NS1_11comp_targetILNS1_3genE0ELNS1_11target_archE4294967295ELNS1_3gpuE0ELNS1_3repE0EEENS1_30default_config_static_selectorELNS0_4arch9wavefront6targetE0EEEvT1_
	.p2align	8
	.type	_ZN7rocprim17ROCPRIM_400000_NS6detail17trampoline_kernelINS0_14default_configENS1_25partition_config_selectorILNS1_17partition_subalgoE5EtNS0_10empty_typeEbEEZZNS1_14partition_implILS5_5ELb0ES3_mN6thrust23THRUST_200600_302600_NS6detail15normal_iteratorINSA_10device_ptrItEEEEPS6_NSA_18transform_iteratorINSB_9not_fun_tI7is_trueItEEENSC_INSD_IbEEEENSA_11use_defaultESO_EENS0_5tupleIJNSA_16discard_iteratorISO_EES6_EEENSQ_IJSG_SG_EEES6_PlJS6_EEE10hipError_tPvRmT3_T4_T5_T6_T7_T9_mT8_P12ihipStream_tbDpT10_ENKUlT_T0_E_clISt17integral_constantIbLb0EES1F_EEDaS1A_S1B_EUlS1A_E_NS1_11comp_targetILNS1_3genE0ELNS1_11target_archE4294967295ELNS1_3gpuE0ELNS1_3repE0EEENS1_30default_config_static_selectorELNS0_4arch9wavefront6targetE0EEEvT1_,@function
_ZN7rocprim17ROCPRIM_400000_NS6detail17trampoline_kernelINS0_14default_configENS1_25partition_config_selectorILNS1_17partition_subalgoE5EtNS0_10empty_typeEbEEZZNS1_14partition_implILS5_5ELb0ES3_mN6thrust23THRUST_200600_302600_NS6detail15normal_iteratorINSA_10device_ptrItEEEEPS6_NSA_18transform_iteratorINSB_9not_fun_tI7is_trueItEEENSC_INSD_IbEEEENSA_11use_defaultESO_EENS0_5tupleIJNSA_16discard_iteratorISO_EES6_EEENSQ_IJSG_SG_EEES6_PlJS6_EEE10hipError_tPvRmT3_T4_T5_T6_T7_T9_mT8_P12ihipStream_tbDpT10_ENKUlT_T0_E_clISt17integral_constantIbLb0EES1F_EEDaS1A_S1B_EUlS1A_E_NS1_11comp_targetILNS1_3genE0ELNS1_11target_archE4294967295ELNS1_3gpuE0ELNS1_3repE0EEENS1_30default_config_static_selectorELNS0_4arch9wavefront6targetE0EEEvT1_: ; @_ZN7rocprim17ROCPRIM_400000_NS6detail17trampoline_kernelINS0_14default_configENS1_25partition_config_selectorILNS1_17partition_subalgoE5EtNS0_10empty_typeEbEEZZNS1_14partition_implILS5_5ELb0ES3_mN6thrust23THRUST_200600_302600_NS6detail15normal_iteratorINSA_10device_ptrItEEEEPS6_NSA_18transform_iteratorINSB_9not_fun_tI7is_trueItEEENSC_INSD_IbEEEENSA_11use_defaultESO_EENS0_5tupleIJNSA_16discard_iteratorISO_EES6_EEENSQ_IJSG_SG_EEES6_PlJS6_EEE10hipError_tPvRmT3_T4_T5_T6_T7_T9_mT8_P12ihipStream_tbDpT10_ENKUlT_T0_E_clISt17integral_constantIbLb0EES1F_EEDaS1A_S1B_EUlS1A_E_NS1_11comp_targetILNS1_3genE0ELNS1_11target_archE4294967295ELNS1_3gpuE0ELNS1_3repE0EEENS1_30default_config_static_selectorELNS0_4arch9wavefront6targetE0EEEvT1_
; %bb.0:
	.section	.rodata,"a",@progbits
	.p2align	6, 0x0
	.amdhsa_kernel _ZN7rocprim17ROCPRIM_400000_NS6detail17trampoline_kernelINS0_14default_configENS1_25partition_config_selectorILNS1_17partition_subalgoE5EtNS0_10empty_typeEbEEZZNS1_14partition_implILS5_5ELb0ES3_mN6thrust23THRUST_200600_302600_NS6detail15normal_iteratorINSA_10device_ptrItEEEEPS6_NSA_18transform_iteratorINSB_9not_fun_tI7is_trueItEEENSC_INSD_IbEEEENSA_11use_defaultESO_EENS0_5tupleIJNSA_16discard_iteratorISO_EES6_EEENSQ_IJSG_SG_EEES6_PlJS6_EEE10hipError_tPvRmT3_T4_T5_T6_T7_T9_mT8_P12ihipStream_tbDpT10_ENKUlT_T0_E_clISt17integral_constantIbLb0EES1F_EEDaS1A_S1B_EUlS1A_E_NS1_11comp_targetILNS1_3genE0ELNS1_11target_archE4294967295ELNS1_3gpuE0ELNS1_3repE0EEENS1_30default_config_static_selectorELNS0_4arch9wavefront6targetE0EEEvT1_
		.amdhsa_group_segment_fixed_size 0
		.amdhsa_private_segment_fixed_size 0
		.amdhsa_kernarg_size 128
		.amdhsa_user_sgpr_count 2
		.amdhsa_user_sgpr_dispatch_ptr 0
		.amdhsa_user_sgpr_queue_ptr 0
		.amdhsa_user_sgpr_kernarg_segment_ptr 1
		.amdhsa_user_sgpr_dispatch_id 0
		.amdhsa_user_sgpr_private_segment_size 0
		.amdhsa_wavefront_size32 1
		.amdhsa_uses_dynamic_stack 0
		.amdhsa_enable_private_segment 0
		.amdhsa_system_sgpr_workgroup_id_x 1
		.amdhsa_system_sgpr_workgroup_id_y 0
		.amdhsa_system_sgpr_workgroup_id_z 0
		.amdhsa_system_sgpr_workgroup_info 0
		.amdhsa_system_vgpr_workitem_id 0
		.amdhsa_next_free_vgpr 1
		.amdhsa_next_free_sgpr 1
		.amdhsa_reserve_vcc 0
		.amdhsa_float_round_mode_32 0
		.amdhsa_float_round_mode_16_64 0
		.amdhsa_float_denorm_mode_32 3
		.amdhsa_float_denorm_mode_16_64 3
		.amdhsa_fp16_overflow 0
		.amdhsa_workgroup_processor_mode 1
		.amdhsa_memory_ordered 1
		.amdhsa_forward_progress 1
		.amdhsa_inst_pref_size 0
		.amdhsa_round_robin_scheduling 0
		.amdhsa_exception_fp_ieee_invalid_op 0
		.amdhsa_exception_fp_denorm_src 0
		.amdhsa_exception_fp_ieee_div_zero 0
		.amdhsa_exception_fp_ieee_overflow 0
		.amdhsa_exception_fp_ieee_underflow 0
		.amdhsa_exception_fp_ieee_inexact 0
		.amdhsa_exception_int_div_zero 0
	.end_amdhsa_kernel
	.section	.text._ZN7rocprim17ROCPRIM_400000_NS6detail17trampoline_kernelINS0_14default_configENS1_25partition_config_selectorILNS1_17partition_subalgoE5EtNS0_10empty_typeEbEEZZNS1_14partition_implILS5_5ELb0ES3_mN6thrust23THRUST_200600_302600_NS6detail15normal_iteratorINSA_10device_ptrItEEEEPS6_NSA_18transform_iteratorINSB_9not_fun_tI7is_trueItEEENSC_INSD_IbEEEENSA_11use_defaultESO_EENS0_5tupleIJNSA_16discard_iteratorISO_EES6_EEENSQ_IJSG_SG_EEES6_PlJS6_EEE10hipError_tPvRmT3_T4_T5_T6_T7_T9_mT8_P12ihipStream_tbDpT10_ENKUlT_T0_E_clISt17integral_constantIbLb0EES1F_EEDaS1A_S1B_EUlS1A_E_NS1_11comp_targetILNS1_3genE0ELNS1_11target_archE4294967295ELNS1_3gpuE0ELNS1_3repE0EEENS1_30default_config_static_selectorELNS0_4arch9wavefront6targetE0EEEvT1_,"axG",@progbits,_ZN7rocprim17ROCPRIM_400000_NS6detail17trampoline_kernelINS0_14default_configENS1_25partition_config_selectorILNS1_17partition_subalgoE5EtNS0_10empty_typeEbEEZZNS1_14partition_implILS5_5ELb0ES3_mN6thrust23THRUST_200600_302600_NS6detail15normal_iteratorINSA_10device_ptrItEEEEPS6_NSA_18transform_iteratorINSB_9not_fun_tI7is_trueItEEENSC_INSD_IbEEEENSA_11use_defaultESO_EENS0_5tupleIJNSA_16discard_iteratorISO_EES6_EEENSQ_IJSG_SG_EEES6_PlJS6_EEE10hipError_tPvRmT3_T4_T5_T6_T7_T9_mT8_P12ihipStream_tbDpT10_ENKUlT_T0_E_clISt17integral_constantIbLb0EES1F_EEDaS1A_S1B_EUlS1A_E_NS1_11comp_targetILNS1_3genE0ELNS1_11target_archE4294967295ELNS1_3gpuE0ELNS1_3repE0EEENS1_30default_config_static_selectorELNS0_4arch9wavefront6targetE0EEEvT1_,comdat
.Lfunc_end2717:
	.size	_ZN7rocprim17ROCPRIM_400000_NS6detail17trampoline_kernelINS0_14default_configENS1_25partition_config_selectorILNS1_17partition_subalgoE5EtNS0_10empty_typeEbEEZZNS1_14partition_implILS5_5ELb0ES3_mN6thrust23THRUST_200600_302600_NS6detail15normal_iteratorINSA_10device_ptrItEEEEPS6_NSA_18transform_iteratorINSB_9not_fun_tI7is_trueItEEENSC_INSD_IbEEEENSA_11use_defaultESO_EENS0_5tupleIJNSA_16discard_iteratorISO_EES6_EEENSQ_IJSG_SG_EEES6_PlJS6_EEE10hipError_tPvRmT3_T4_T5_T6_T7_T9_mT8_P12ihipStream_tbDpT10_ENKUlT_T0_E_clISt17integral_constantIbLb0EES1F_EEDaS1A_S1B_EUlS1A_E_NS1_11comp_targetILNS1_3genE0ELNS1_11target_archE4294967295ELNS1_3gpuE0ELNS1_3repE0EEENS1_30default_config_static_selectorELNS0_4arch9wavefront6targetE0EEEvT1_, .Lfunc_end2717-_ZN7rocprim17ROCPRIM_400000_NS6detail17trampoline_kernelINS0_14default_configENS1_25partition_config_selectorILNS1_17partition_subalgoE5EtNS0_10empty_typeEbEEZZNS1_14partition_implILS5_5ELb0ES3_mN6thrust23THRUST_200600_302600_NS6detail15normal_iteratorINSA_10device_ptrItEEEEPS6_NSA_18transform_iteratorINSB_9not_fun_tI7is_trueItEEENSC_INSD_IbEEEENSA_11use_defaultESO_EENS0_5tupleIJNSA_16discard_iteratorISO_EES6_EEENSQ_IJSG_SG_EEES6_PlJS6_EEE10hipError_tPvRmT3_T4_T5_T6_T7_T9_mT8_P12ihipStream_tbDpT10_ENKUlT_T0_E_clISt17integral_constantIbLb0EES1F_EEDaS1A_S1B_EUlS1A_E_NS1_11comp_targetILNS1_3genE0ELNS1_11target_archE4294967295ELNS1_3gpuE0ELNS1_3repE0EEENS1_30default_config_static_selectorELNS0_4arch9wavefront6targetE0EEEvT1_
                                        ; -- End function
	.set _ZN7rocprim17ROCPRIM_400000_NS6detail17trampoline_kernelINS0_14default_configENS1_25partition_config_selectorILNS1_17partition_subalgoE5EtNS0_10empty_typeEbEEZZNS1_14partition_implILS5_5ELb0ES3_mN6thrust23THRUST_200600_302600_NS6detail15normal_iteratorINSA_10device_ptrItEEEEPS6_NSA_18transform_iteratorINSB_9not_fun_tI7is_trueItEEENSC_INSD_IbEEEENSA_11use_defaultESO_EENS0_5tupleIJNSA_16discard_iteratorISO_EES6_EEENSQ_IJSG_SG_EEES6_PlJS6_EEE10hipError_tPvRmT3_T4_T5_T6_T7_T9_mT8_P12ihipStream_tbDpT10_ENKUlT_T0_E_clISt17integral_constantIbLb0EES1F_EEDaS1A_S1B_EUlS1A_E_NS1_11comp_targetILNS1_3genE0ELNS1_11target_archE4294967295ELNS1_3gpuE0ELNS1_3repE0EEENS1_30default_config_static_selectorELNS0_4arch9wavefront6targetE0EEEvT1_.num_vgpr, 0
	.set _ZN7rocprim17ROCPRIM_400000_NS6detail17trampoline_kernelINS0_14default_configENS1_25partition_config_selectorILNS1_17partition_subalgoE5EtNS0_10empty_typeEbEEZZNS1_14partition_implILS5_5ELb0ES3_mN6thrust23THRUST_200600_302600_NS6detail15normal_iteratorINSA_10device_ptrItEEEEPS6_NSA_18transform_iteratorINSB_9not_fun_tI7is_trueItEEENSC_INSD_IbEEEENSA_11use_defaultESO_EENS0_5tupleIJNSA_16discard_iteratorISO_EES6_EEENSQ_IJSG_SG_EEES6_PlJS6_EEE10hipError_tPvRmT3_T4_T5_T6_T7_T9_mT8_P12ihipStream_tbDpT10_ENKUlT_T0_E_clISt17integral_constantIbLb0EES1F_EEDaS1A_S1B_EUlS1A_E_NS1_11comp_targetILNS1_3genE0ELNS1_11target_archE4294967295ELNS1_3gpuE0ELNS1_3repE0EEENS1_30default_config_static_selectorELNS0_4arch9wavefront6targetE0EEEvT1_.num_agpr, 0
	.set _ZN7rocprim17ROCPRIM_400000_NS6detail17trampoline_kernelINS0_14default_configENS1_25partition_config_selectorILNS1_17partition_subalgoE5EtNS0_10empty_typeEbEEZZNS1_14partition_implILS5_5ELb0ES3_mN6thrust23THRUST_200600_302600_NS6detail15normal_iteratorINSA_10device_ptrItEEEEPS6_NSA_18transform_iteratorINSB_9not_fun_tI7is_trueItEEENSC_INSD_IbEEEENSA_11use_defaultESO_EENS0_5tupleIJNSA_16discard_iteratorISO_EES6_EEENSQ_IJSG_SG_EEES6_PlJS6_EEE10hipError_tPvRmT3_T4_T5_T6_T7_T9_mT8_P12ihipStream_tbDpT10_ENKUlT_T0_E_clISt17integral_constantIbLb0EES1F_EEDaS1A_S1B_EUlS1A_E_NS1_11comp_targetILNS1_3genE0ELNS1_11target_archE4294967295ELNS1_3gpuE0ELNS1_3repE0EEENS1_30default_config_static_selectorELNS0_4arch9wavefront6targetE0EEEvT1_.numbered_sgpr, 0
	.set _ZN7rocprim17ROCPRIM_400000_NS6detail17trampoline_kernelINS0_14default_configENS1_25partition_config_selectorILNS1_17partition_subalgoE5EtNS0_10empty_typeEbEEZZNS1_14partition_implILS5_5ELb0ES3_mN6thrust23THRUST_200600_302600_NS6detail15normal_iteratorINSA_10device_ptrItEEEEPS6_NSA_18transform_iteratorINSB_9not_fun_tI7is_trueItEEENSC_INSD_IbEEEENSA_11use_defaultESO_EENS0_5tupleIJNSA_16discard_iteratorISO_EES6_EEENSQ_IJSG_SG_EEES6_PlJS6_EEE10hipError_tPvRmT3_T4_T5_T6_T7_T9_mT8_P12ihipStream_tbDpT10_ENKUlT_T0_E_clISt17integral_constantIbLb0EES1F_EEDaS1A_S1B_EUlS1A_E_NS1_11comp_targetILNS1_3genE0ELNS1_11target_archE4294967295ELNS1_3gpuE0ELNS1_3repE0EEENS1_30default_config_static_selectorELNS0_4arch9wavefront6targetE0EEEvT1_.num_named_barrier, 0
	.set _ZN7rocprim17ROCPRIM_400000_NS6detail17trampoline_kernelINS0_14default_configENS1_25partition_config_selectorILNS1_17partition_subalgoE5EtNS0_10empty_typeEbEEZZNS1_14partition_implILS5_5ELb0ES3_mN6thrust23THRUST_200600_302600_NS6detail15normal_iteratorINSA_10device_ptrItEEEEPS6_NSA_18transform_iteratorINSB_9not_fun_tI7is_trueItEEENSC_INSD_IbEEEENSA_11use_defaultESO_EENS0_5tupleIJNSA_16discard_iteratorISO_EES6_EEENSQ_IJSG_SG_EEES6_PlJS6_EEE10hipError_tPvRmT3_T4_T5_T6_T7_T9_mT8_P12ihipStream_tbDpT10_ENKUlT_T0_E_clISt17integral_constantIbLb0EES1F_EEDaS1A_S1B_EUlS1A_E_NS1_11comp_targetILNS1_3genE0ELNS1_11target_archE4294967295ELNS1_3gpuE0ELNS1_3repE0EEENS1_30default_config_static_selectorELNS0_4arch9wavefront6targetE0EEEvT1_.private_seg_size, 0
	.set _ZN7rocprim17ROCPRIM_400000_NS6detail17trampoline_kernelINS0_14default_configENS1_25partition_config_selectorILNS1_17partition_subalgoE5EtNS0_10empty_typeEbEEZZNS1_14partition_implILS5_5ELb0ES3_mN6thrust23THRUST_200600_302600_NS6detail15normal_iteratorINSA_10device_ptrItEEEEPS6_NSA_18transform_iteratorINSB_9not_fun_tI7is_trueItEEENSC_INSD_IbEEEENSA_11use_defaultESO_EENS0_5tupleIJNSA_16discard_iteratorISO_EES6_EEENSQ_IJSG_SG_EEES6_PlJS6_EEE10hipError_tPvRmT3_T4_T5_T6_T7_T9_mT8_P12ihipStream_tbDpT10_ENKUlT_T0_E_clISt17integral_constantIbLb0EES1F_EEDaS1A_S1B_EUlS1A_E_NS1_11comp_targetILNS1_3genE0ELNS1_11target_archE4294967295ELNS1_3gpuE0ELNS1_3repE0EEENS1_30default_config_static_selectorELNS0_4arch9wavefront6targetE0EEEvT1_.uses_vcc, 0
	.set _ZN7rocprim17ROCPRIM_400000_NS6detail17trampoline_kernelINS0_14default_configENS1_25partition_config_selectorILNS1_17partition_subalgoE5EtNS0_10empty_typeEbEEZZNS1_14partition_implILS5_5ELb0ES3_mN6thrust23THRUST_200600_302600_NS6detail15normal_iteratorINSA_10device_ptrItEEEEPS6_NSA_18transform_iteratorINSB_9not_fun_tI7is_trueItEEENSC_INSD_IbEEEENSA_11use_defaultESO_EENS0_5tupleIJNSA_16discard_iteratorISO_EES6_EEENSQ_IJSG_SG_EEES6_PlJS6_EEE10hipError_tPvRmT3_T4_T5_T6_T7_T9_mT8_P12ihipStream_tbDpT10_ENKUlT_T0_E_clISt17integral_constantIbLb0EES1F_EEDaS1A_S1B_EUlS1A_E_NS1_11comp_targetILNS1_3genE0ELNS1_11target_archE4294967295ELNS1_3gpuE0ELNS1_3repE0EEENS1_30default_config_static_selectorELNS0_4arch9wavefront6targetE0EEEvT1_.uses_flat_scratch, 0
	.set _ZN7rocprim17ROCPRIM_400000_NS6detail17trampoline_kernelINS0_14default_configENS1_25partition_config_selectorILNS1_17partition_subalgoE5EtNS0_10empty_typeEbEEZZNS1_14partition_implILS5_5ELb0ES3_mN6thrust23THRUST_200600_302600_NS6detail15normal_iteratorINSA_10device_ptrItEEEEPS6_NSA_18transform_iteratorINSB_9not_fun_tI7is_trueItEEENSC_INSD_IbEEEENSA_11use_defaultESO_EENS0_5tupleIJNSA_16discard_iteratorISO_EES6_EEENSQ_IJSG_SG_EEES6_PlJS6_EEE10hipError_tPvRmT3_T4_T5_T6_T7_T9_mT8_P12ihipStream_tbDpT10_ENKUlT_T0_E_clISt17integral_constantIbLb0EES1F_EEDaS1A_S1B_EUlS1A_E_NS1_11comp_targetILNS1_3genE0ELNS1_11target_archE4294967295ELNS1_3gpuE0ELNS1_3repE0EEENS1_30default_config_static_selectorELNS0_4arch9wavefront6targetE0EEEvT1_.has_dyn_sized_stack, 0
	.set _ZN7rocprim17ROCPRIM_400000_NS6detail17trampoline_kernelINS0_14default_configENS1_25partition_config_selectorILNS1_17partition_subalgoE5EtNS0_10empty_typeEbEEZZNS1_14partition_implILS5_5ELb0ES3_mN6thrust23THRUST_200600_302600_NS6detail15normal_iteratorINSA_10device_ptrItEEEEPS6_NSA_18transform_iteratorINSB_9not_fun_tI7is_trueItEEENSC_INSD_IbEEEENSA_11use_defaultESO_EENS0_5tupleIJNSA_16discard_iteratorISO_EES6_EEENSQ_IJSG_SG_EEES6_PlJS6_EEE10hipError_tPvRmT3_T4_T5_T6_T7_T9_mT8_P12ihipStream_tbDpT10_ENKUlT_T0_E_clISt17integral_constantIbLb0EES1F_EEDaS1A_S1B_EUlS1A_E_NS1_11comp_targetILNS1_3genE0ELNS1_11target_archE4294967295ELNS1_3gpuE0ELNS1_3repE0EEENS1_30default_config_static_selectorELNS0_4arch9wavefront6targetE0EEEvT1_.has_recursion, 0
	.set _ZN7rocprim17ROCPRIM_400000_NS6detail17trampoline_kernelINS0_14default_configENS1_25partition_config_selectorILNS1_17partition_subalgoE5EtNS0_10empty_typeEbEEZZNS1_14partition_implILS5_5ELb0ES3_mN6thrust23THRUST_200600_302600_NS6detail15normal_iteratorINSA_10device_ptrItEEEEPS6_NSA_18transform_iteratorINSB_9not_fun_tI7is_trueItEEENSC_INSD_IbEEEENSA_11use_defaultESO_EENS0_5tupleIJNSA_16discard_iteratorISO_EES6_EEENSQ_IJSG_SG_EEES6_PlJS6_EEE10hipError_tPvRmT3_T4_T5_T6_T7_T9_mT8_P12ihipStream_tbDpT10_ENKUlT_T0_E_clISt17integral_constantIbLb0EES1F_EEDaS1A_S1B_EUlS1A_E_NS1_11comp_targetILNS1_3genE0ELNS1_11target_archE4294967295ELNS1_3gpuE0ELNS1_3repE0EEENS1_30default_config_static_selectorELNS0_4arch9wavefront6targetE0EEEvT1_.has_indirect_call, 0
	.section	.AMDGPU.csdata,"",@progbits
; Kernel info:
; codeLenInByte = 0
; TotalNumSgprs: 0
; NumVgprs: 0
; ScratchSize: 0
; MemoryBound: 0
; FloatMode: 240
; IeeeMode: 1
; LDSByteSize: 0 bytes/workgroup (compile time only)
; SGPRBlocks: 0
; VGPRBlocks: 0
; NumSGPRsForWavesPerEU: 1
; NumVGPRsForWavesPerEU: 1
; Occupancy: 16
; WaveLimiterHint : 0
; COMPUTE_PGM_RSRC2:SCRATCH_EN: 0
; COMPUTE_PGM_RSRC2:USER_SGPR: 2
; COMPUTE_PGM_RSRC2:TRAP_HANDLER: 0
; COMPUTE_PGM_RSRC2:TGID_X_EN: 1
; COMPUTE_PGM_RSRC2:TGID_Y_EN: 0
; COMPUTE_PGM_RSRC2:TGID_Z_EN: 0
; COMPUTE_PGM_RSRC2:TIDIG_COMP_CNT: 0
	.section	.text._ZN7rocprim17ROCPRIM_400000_NS6detail17trampoline_kernelINS0_14default_configENS1_25partition_config_selectorILNS1_17partition_subalgoE5EtNS0_10empty_typeEbEEZZNS1_14partition_implILS5_5ELb0ES3_mN6thrust23THRUST_200600_302600_NS6detail15normal_iteratorINSA_10device_ptrItEEEEPS6_NSA_18transform_iteratorINSB_9not_fun_tI7is_trueItEEENSC_INSD_IbEEEENSA_11use_defaultESO_EENS0_5tupleIJNSA_16discard_iteratorISO_EES6_EEENSQ_IJSG_SG_EEES6_PlJS6_EEE10hipError_tPvRmT3_T4_T5_T6_T7_T9_mT8_P12ihipStream_tbDpT10_ENKUlT_T0_E_clISt17integral_constantIbLb0EES1F_EEDaS1A_S1B_EUlS1A_E_NS1_11comp_targetILNS1_3genE5ELNS1_11target_archE942ELNS1_3gpuE9ELNS1_3repE0EEENS1_30default_config_static_selectorELNS0_4arch9wavefront6targetE0EEEvT1_,"axG",@progbits,_ZN7rocprim17ROCPRIM_400000_NS6detail17trampoline_kernelINS0_14default_configENS1_25partition_config_selectorILNS1_17partition_subalgoE5EtNS0_10empty_typeEbEEZZNS1_14partition_implILS5_5ELb0ES3_mN6thrust23THRUST_200600_302600_NS6detail15normal_iteratorINSA_10device_ptrItEEEEPS6_NSA_18transform_iteratorINSB_9not_fun_tI7is_trueItEEENSC_INSD_IbEEEENSA_11use_defaultESO_EENS0_5tupleIJNSA_16discard_iteratorISO_EES6_EEENSQ_IJSG_SG_EEES6_PlJS6_EEE10hipError_tPvRmT3_T4_T5_T6_T7_T9_mT8_P12ihipStream_tbDpT10_ENKUlT_T0_E_clISt17integral_constantIbLb0EES1F_EEDaS1A_S1B_EUlS1A_E_NS1_11comp_targetILNS1_3genE5ELNS1_11target_archE942ELNS1_3gpuE9ELNS1_3repE0EEENS1_30default_config_static_selectorELNS0_4arch9wavefront6targetE0EEEvT1_,comdat
	.protected	_ZN7rocprim17ROCPRIM_400000_NS6detail17trampoline_kernelINS0_14default_configENS1_25partition_config_selectorILNS1_17partition_subalgoE5EtNS0_10empty_typeEbEEZZNS1_14partition_implILS5_5ELb0ES3_mN6thrust23THRUST_200600_302600_NS6detail15normal_iteratorINSA_10device_ptrItEEEEPS6_NSA_18transform_iteratorINSB_9not_fun_tI7is_trueItEEENSC_INSD_IbEEEENSA_11use_defaultESO_EENS0_5tupleIJNSA_16discard_iteratorISO_EES6_EEENSQ_IJSG_SG_EEES6_PlJS6_EEE10hipError_tPvRmT3_T4_T5_T6_T7_T9_mT8_P12ihipStream_tbDpT10_ENKUlT_T0_E_clISt17integral_constantIbLb0EES1F_EEDaS1A_S1B_EUlS1A_E_NS1_11comp_targetILNS1_3genE5ELNS1_11target_archE942ELNS1_3gpuE9ELNS1_3repE0EEENS1_30default_config_static_selectorELNS0_4arch9wavefront6targetE0EEEvT1_ ; -- Begin function _ZN7rocprim17ROCPRIM_400000_NS6detail17trampoline_kernelINS0_14default_configENS1_25partition_config_selectorILNS1_17partition_subalgoE5EtNS0_10empty_typeEbEEZZNS1_14partition_implILS5_5ELb0ES3_mN6thrust23THRUST_200600_302600_NS6detail15normal_iteratorINSA_10device_ptrItEEEEPS6_NSA_18transform_iteratorINSB_9not_fun_tI7is_trueItEEENSC_INSD_IbEEEENSA_11use_defaultESO_EENS0_5tupleIJNSA_16discard_iteratorISO_EES6_EEENSQ_IJSG_SG_EEES6_PlJS6_EEE10hipError_tPvRmT3_T4_T5_T6_T7_T9_mT8_P12ihipStream_tbDpT10_ENKUlT_T0_E_clISt17integral_constantIbLb0EES1F_EEDaS1A_S1B_EUlS1A_E_NS1_11comp_targetILNS1_3genE5ELNS1_11target_archE942ELNS1_3gpuE9ELNS1_3repE0EEENS1_30default_config_static_selectorELNS0_4arch9wavefront6targetE0EEEvT1_
	.globl	_ZN7rocprim17ROCPRIM_400000_NS6detail17trampoline_kernelINS0_14default_configENS1_25partition_config_selectorILNS1_17partition_subalgoE5EtNS0_10empty_typeEbEEZZNS1_14partition_implILS5_5ELb0ES3_mN6thrust23THRUST_200600_302600_NS6detail15normal_iteratorINSA_10device_ptrItEEEEPS6_NSA_18transform_iteratorINSB_9not_fun_tI7is_trueItEEENSC_INSD_IbEEEENSA_11use_defaultESO_EENS0_5tupleIJNSA_16discard_iteratorISO_EES6_EEENSQ_IJSG_SG_EEES6_PlJS6_EEE10hipError_tPvRmT3_T4_T5_T6_T7_T9_mT8_P12ihipStream_tbDpT10_ENKUlT_T0_E_clISt17integral_constantIbLb0EES1F_EEDaS1A_S1B_EUlS1A_E_NS1_11comp_targetILNS1_3genE5ELNS1_11target_archE942ELNS1_3gpuE9ELNS1_3repE0EEENS1_30default_config_static_selectorELNS0_4arch9wavefront6targetE0EEEvT1_
	.p2align	8
	.type	_ZN7rocprim17ROCPRIM_400000_NS6detail17trampoline_kernelINS0_14default_configENS1_25partition_config_selectorILNS1_17partition_subalgoE5EtNS0_10empty_typeEbEEZZNS1_14partition_implILS5_5ELb0ES3_mN6thrust23THRUST_200600_302600_NS6detail15normal_iteratorINSA_10device_ptrItEEEEPS6_NSA_18transform_iteratorINSB_9not_fun_tI7is_trueItEEENSC_INSD_IbEEEENSA_11use_defaultESO_EENS0_5tupleIJNSA_16discard_iteratorISO_EES6_EEENSQ_IJSG_SG_EEES6_PlJS6_EEE10hipError_tPvRmT3_T4_T5_T6_T7_T9_mT8_P12ihipStream_tbDpT10_ENKUlT_T0_E_clISt17integral_constantIbLb0EES1F_EEDaS1A_S1B_EUlS1A_E_NS1_11comp_targetILNS1_3genE5ELNS1_11target_archE942ELNS1_3gpuE9ELNS1_3repE0EEENS1_30default_config_static_selectorELNS0_4arch9wavefront6targetE0EEEvT1_,@function
_ZN7rocprim17ROCPRIM_400000_NS6detail17trampoline_kernelINS0_14default_configENS1_25partition_config_selectorILNS1_17partition_subalgoE5EtNS0_10empty_typeEbEEZZNS1_14partition_implILS5_5ELb0ES3_mN6thrust23THRUST_200600_302600_NS6detail15normal_iteratorINSA_10device_ptrItEEEEPS6_NSA_18transform_iteratorINSB_9not_fun_tI7is_trueItEEENSC_INSD_IbEEEENSA_11use_defaultESO_EENS0_5tupleIJNSA_16discard_iteratorISO_EES6_EEENSQ_IJSG_SG_EEES6_PlJS6_EEE10hipError_tPvRmT3_T4_T5_T6_T7_T9_mT8_P12ihipStream_tbDpT10_ENKUlT_T0_E_clISt17integral_constantIbLb0EES1F_EEDaS1A_S1B_EUlS1A_E_NS1_11comp_targetILNS1_3genE5ELNS1_11target_archE942ELNS1_3gpuE9ELNS1_3repE0EEENS1_30default_config_static_selectorELNS0_4arch9wavefront6targetE0EEEvT1_: ; @_ZN7rocprim17ROCPRIM_400000_NS6detail17trampoline_kernelINS0_14default_configENS1_25partition_config_selectorILNS1_17partition_subalgoE5EtNS0_10empty_typeEbEEZZNS1_14partition_implILS5_5ELb0ES3_mN6thrust23THRUST_200600_302600_NS6detail15normal_iteratorINSA_10device_ptrItEEEEPS6_NSA_18transform_iteratorINSB_9not_fun_tI7is_trueItEEENSC_INSD_IbEEEENSA_11use_defaultESO_EENS0_5tupleIJNSA_16discard_iteratorISO_EES6_EEENSQ_IJSG_SG_EEES6_PlJS6_EEE10hipError_tPvRmT3_T4_T5_T6_T7_T9_mT8_P12ihipStream_tbDpT10_ENKUlT_T0_E_clISt17integral_constantIbLb0EES1F_EEDaS1A_S1B_EUlS1A_E_NS1_11comp_targetILNS1_3genE5ELNS1_11target_archE942ELNS1_3gpuE9ELNS1_3repE0EEENS1_30default_config_static_selectorELNS0_4arch9wavefront6targetE0EEEvT1_
; %bb.0:
	.section	.rodata,"a",@progbits
	.p2align	6, 0x0
	.amdhsa_kernel _ZN7rocprim17ROCPRIM_400000_NS6detail17trampoline_kernelINS0_14default_configENS1_25partition_config_selectorILNS1_17partition_subalgoE5EtNS0_10empty_typeEbEEZZNS1_14partition_implILS5_5ELb0ES3_mN6thrust23THRUST_200600_302600_NS6detail15normal_iteratorINSA_10device_ptrItEEEEPS6_NSA_18transform_iteratorINSB_9not_fun_tI7is_trueItEEENSC_INSD_IbEEEENSA_11use_defaultESO_EENS0_5tupleIJNSA_16discard_iteratorISO_EES6_EEENSQ_IJSG_SG_EEES6_PlJS6_EEE10hipError_tPvRmT3_T4_T5_T6_T7_T9_mT8_P12ihipStream_tbDpT10_ENKUlT_T0_E_clISt17integral_constantIbLb0EES1F_EEDaS1A_S1B_EUlS1A_E_NS1_11comp_targetILNS1_3genE5ELNS1_11target_archE942ELNS1_3gpuE9ELNS1_3repE0EEENS1_30default_config_static_selectorELNS0_4arch9wavefront6targetE0EEEvT1_
		.amdhsa_group_segment_fixed_size 0
		.amdhsa_private_segment_fixed_size 0
		.amdhsa_kernarg_size 128
		.amdhsa_user_sgpr_count 2
		.amdhsa_user_sgpr_dispatch_ptr 0
		.amdhsa_user_sgpr_queue_ptr 0
		.amdhsa_user_sgpr_kernarg_segment_ptr 1
		.amdhsa_user_sgpr_dispatch_id 0
		.amdhsa_user_sgpr_private_segment_size 0
		.amdhsa_wavefront_size32 1
		.amdhsa_uses_dynamic_stack 0
		.amdhsa_enable_private_segment 0
		.amdhsa_system_sgpr_workgroup_id_x 1
		.amdhsa_system_sgpr_workgroup_id_y 0
		.amdhsa_system_sgpr_workgroup_id_z 0
		.amdhsa_system_sgpr_workgroup_info 0
		.amdhsa_system_vgpr_workitem_id 0
		.amdhsa_next_free_vgpr 1
		.amdhsa_next_free_sgpr 1
		.amdhsa_reserve_vcc 0
		.amdhsa_float_round_mode_32 0
		.amdhsa_float_round_mode_16_64 0
		.amdhsa_float_denorm_mode_32 3
		.amdhsa_float_denorm_mode_16_64 3
		.amdhsa_fp16_overflow 0
		.amdhsa_workgroup_processor_mode 1
		.amdhsa_memory_ordered 1
		.amdhsa_forward_progress 1
		.amdhsa_inst_pref_size 0
		.amdhsa_round_robin_scheduling 0
		.amdhsa_exception_fp_ieee_invalid_op 0
		.amdhsa_exception_fp_denorm_src 0
		.amdhsa_exception_fp_ieee_div_zero 0
		.amdhsa_exception_fp_ieee_overflow 0
		.amdhsa_exception_fp_ieee_underflow 0
		.amdhsa_exception_fp_ieee_inexact 0
		.amdhsa_exception_int_div_zero 0
	.end_amdhsa_kernel
	.section	.text._ZN7rocprim17ROCPRIM_400000_NS6detail17trampoline_kernelINS0_14default_configENS1_25partition_config_selectorILNS1_17partition_subalgoE5EtNS0_10empty_typeEbEEZZNS1_14partition_implILS5_5ELb0ES3_mN6thrust23THRUST_200600_302600_NS6detail15normal_iteratorINSA_10device_ptrItEEEEPS6_NSA_18transform_iteratorINSB_9not_fun_tI7is_trueItEEENSC_INSD_IbEEEENSA_11use_defaultESO_EENS0_5tupleIJNSA_16discard_iteratorISO_EES6_EEENSQ_IJSG_SG_EEES6_PlJS6_EEE10hipError_tPvRmT3_T4_T5_T6_T7_T9_mT8_P12ihipStream_tbDpT10_ENKUlT_T0_E_clISt17integral_constantIbLb0EES1F_EEDaS1A_S1B_EUlS1A_E_NS1_11comp_targetILNS1_3genE5ELNS1_11target_archE942ELNS1_3gpuE9ELNS1_3repE0EEENS1_30default_config_static_selectorELNS0_4arch9wavefront6targetE0EEEvT1_,"axG",@progbits,_ZN7rocprim17ROCPRIM_400000_NS6detail17trampoline_kernelINS0_14default_configENS1_25partition_config_selectorILNS1_17partition_subalgoE5EtNS0_10empty_typeEbEEZZNS1_14partition_implILS5_5ELb0ES3_mN6thrust23THRUST_200600_302600_NS6detail15normal_iteratorINSA_10device_ptrItEEEEPS6_NSA_18transform_iteratorINSB_9not_fun_tI7is_trueItEEENSC_INSD_IbEEEENSA_11use_defaultESO_EENS0_5tupleIJNSA_16discard_iteratorISO_EES6_EEENSQ_IJSG_SG_EEES6_PlJS6_EEE10hipError_tPvRmT3_T4_T5_T6_T7_T9_mT8_P12ihipStream_tbDpT10_ENKUlT_T0_E_clISt17integral_constantIbLb0EES1F_EEDaS1A_S1B_EUlS1A_E_NS1_11comp_targetILNS1_3genE5ELNS1_11target_archE942ELNS1_3gpuE9ELNS1_3repE0EEENS1_30default_config_static_selectorELNS0_4arch9wavefront6targetE0EEEvT1_,comdat
.Lfunc_end2718:
	.size	_ZN7rocprim17ROCPRIM_400000_NS6detail17trampoline_kernelINS0_14default_configENS1_25partition_config_selectorILNS1_17partition_subalgoE5EtNS0_10empty_typeEbEEZZNS1_14partition_implILS5_5ELb0ES3_mN6thrust23THRUST_200600_302600_NS6detail15normal_iteratorINSA_10device_ptrItEEEEPS6_NSA_18transform_iteratorINSB_9not_fun_tI7is_trueItEEENSC_INSD_IbEEEENSA_11use_defaultESO_EENS0_5tupleIJNSA_16discard_iteratorISO_EES6_EEENSQ_IJSG_SG_EEES6_PlJS6_EEE10hipError_tPvRmT3_T4_T5_T6_T7_T9_mT8_P12ihipStream_tbDpT10_ENKUlT_T0_E_clISt17integral_constantIbLb0EES1F_EEDaS1A_S1B_EUlS1A_E_NS1_11comp_targetILNS1_3genE5ELNS1_11target_archE942ELNS1_3gpuE9ELNS1_3repE0EEENS1_30default_config_static_selectorELNS0_4arch9wavefront6targetE0EEEvT1_, .Lfunc_end2718-_ZN7rocprim17ROCPRIM_400000_NS6detail17trampoline_kernelINS0_14default_configENS1_25partition_config_selectorILNS1_17partition_subalgoE5EtNS0_10empty_typeEbEEZZNS1_14partition_implILS5_5ELb0ES3_mN6thrust23THRUST_200600_302600_NS6detail15normal_iteratorINSA_10device_ptrItEEEEPS6_NSA_18transform_iteratorINSB_9not_fun_tI7is_trueItEEENSC_INSD_IbEEEENSA_11use_defaultESO_EENS0_5tupleIJNSA_16discard_iteratorISO_EES6_EEENSQ_IJSG_SG_EEES6_PlJS6_EEE10hipError_tPvRmT3_T4_T5_T6_T7_T9_mT8_P12ihipStream_tbDpT10_ENKUlT_T0_E_clISt17integral_constantIbLb0EES1F_EEDaS1A_S1B_EUlS1A_E_NS1_11comp_targetILNS1_3genE5ELNS1_11target_archE942ELNS1_3gpuE9ELNS1_3repE0EEENS1_30default_config_static_selectorELNS0_4arch9wavefront6targetE0EEEvT1_
                                        ; -- End function
	.set _ZN7rocprim17ROCPRIM_400000_NS6detail17trampoline_kernelINS0_14default_configENS1_25partition_config_selectorILNS1_17partition_subalgoE5EtNS0_10empty_typeEbEEZZNS1_14partition_implILS5_5ELb0ES3_mN6thrust23THRUST_200600_302600_NS6detail15normal_iteratorINSA_10device_ptrItEEEEPS6_NSA_18transform_iteratorINSB_9not_fun_tI7is_trueItEEENSC_INSD_IbEEEENSA_11use_defaultESO_EENS0_5tupleIJNSA_16discard_iteratorISO_EES6_EEENSQ_IJSG_SG_EEES6_PlJS6_EEE10hipError_tPvRmT3_T4_T5_T6_T7_T9_mT8_P12ihipStream_tbDpT10_ENKUlT_T0_E_clISt17integral_constantIbLb0EES1F_EEDaS1A_S1B_EUlS1A_E_NS1_11comp_targetILNS1_3genE5ELNS1_11target_archE942ELNS1_3gpuE9ELNS1_3repE0EEENS1_30default_config_static_selectorELNS0_4arch9wavefront6targetE0EEEvT1_.num_vgpr, 0
	.set _ZN7rocprim17ROCPRIM_400000_NS6detail17trampoline_kernelINS0_14default_configENS1_25partition_config_selectorILNS1_17partition_subalgoE5EtNS0_10empty_typeEbEEZZNS1_14partition_implILS5_5ELb0ES3_mN6thrust23THRUST_200600_302600_NS6detail15normal_iteratorINSA_10device_ptrItEEEEPS6_NSA_18transform_iteratorINSB_9not_fun_tI7is_trueItEEENSC_INSD_IbEEEENSA_11use_defaultESO_EENS0_5tupleIJNSA_16discard_iteratorISO_EES6_EEENSQ_IJSG_SG_EEES6_PlJS6_EEE10hipError_tPvRmT3_T4_T5_T6_T7_T9_mT8_P12ihipStream_tbDpT10_ENKUlT_T0_E_clISt17integral_constantIbLb0EES1F_EEDaS1A_S1B_EUlS1A_E_NS1_11comp_targetILNS1_3genE5ELNS1_11target_archE942ELNS1_3gpuE9ELNS1_3repE0EEENS1_30default_config_static_selectorELNS0_4arch9wavefront6targetE0EEEvT1_.num_agpr, 0
	.set _ZN7rocprim17ROCPRIM_400000_NS6detail17trampoline_kernelINS0_14default_configENS1_25partition_config_selectorILNS1_17partition_subalgoE5EtNS0_10empty_typeEbEEZZNS1_14partition_implILS5_5ELb0ES3_mN6thrust23THRUST_200600_302600_NS6detail15normal_iteratorINSA_10device_ptrItEEEEPS6_NSA_18transform_iteratorINSB_9not_fun_tI7is_trueItEEENSC_INSD_IbEEEENSA_11use_defaultESO_EENS0_5tupleIJNSA_16discard_iteratorISO_EES6_EEENSQ_IJSG_SG_EEES6_PlJS6_EEE10hipError_tPvRmT3_T4_T5_T6_T7_T9_mT8_P12ihipStream_tbDpT10_ENKUlT_T0_E_clISt17integral_constantIbLb0EES1F_EEDaS1A_S1B_EUlS1A_E_NS1_11comp_targetILNS1_3genE5ELNS1_11target_archE942ELNS1_3gpuE9ELNS1_3repE0EEENS1_30default_config_static_selectorELNS0_4arch9wavefront6targetE0EEEvT1_.numbered_sgpr, 0
	.set _ZN7rocprim17ROCPRIM_400000_NS6detail17trampoline_kernelINS0_14default_configENS1_25partition_config_selectorILNS1_17partition_subalgoE5EtNS0_10empty_typeEbEEZZNS1_14partition_implILS5_5ELb0ES3_mN6thrust23THRUST_200600_302600_NS6detail15normal_iteratorINSA_10device_ptrItEEEEPS6_NSA_18transform_iteratorINSB_9not_fun_tI7is_trueItEEENSC_INSD_IbEEEENSA_11use_defaultESO_EENS0_5tupleIJNSA_16discard_iteratorISO_EES6_EEENSQ_IJSG_SG_EEES6_PlJS6_EEE10hipError_tPvRmT3_T4_T5_T6_T7_T9_mT8_P12ihipStream_tbDpT10_ENKUlT_T0_E_clISt17integral_constantIbLb0EES1F_EEDaS1A_S1B_EUlS1A_E_NS1_11comp_targetILNS1_3genE5ELNS1_11target_archE942ELNS1_3gpuE9ELNS1_3repE0EEENS1_30default_config_static_selectorELNS0_4arch9wavefront6targetE0EEEvT1_.num_named_barrier, 0
	.set _ZN7rocprim17ROCPRIM_400000_NS6detail17trampoline_kernelINS0_14default_configENS1_25partition_config_selectorILNS1_17partition_subalgoE5EtNS0_10empty_typeEbEEZZNS1_14partition_implILS5_5ELb0ES3_mN6thrust23THRUST_200600_302600_NS6detail15normal_iteratorINSA_10device_ptrItEEEEPS6_NSA_18transform_iteratorINSB_9not_fun_tI7is_trueItEEENSC_INSD_IbEEEENSA_11use_defaultESO_EENS0_5tupleIJNSA_16discard_iteratorISO_EES6_EEENSQ_IJSG_SG_EEES6_PlJS6_EEE10hipError_tPvRmT3_T4_T5_T6_T7_T9_mT8_P12ihipStream_tbDpT10_ENKUlT_T0_E_clISt17integral_constantIbLb0EES1F_EEDaS1A_S1B_EUlS1A_E_NS1_11comp_targetILNS1_3genE5ELNS1_11target_archE942ELNS1_3gpuE9ELNS1_3repE0EEENS1_30default_config_static_selectorELNS0_4arch9wavefront6targetE0EEEvT1_.private_seg_size, 0
	.set _ZN7rocprim17ROCPRIM_400000_NS6detail17trampoline_kernelINS0_14default_configENS1_25partition_config_selectorILNS1_17partition_subalgoE5EtNS0_10empty_typeEbEEZZNS1_14partition_implILS5_5ELb0ES3_mN6thrust23THRUST_200600_302600_NS6detail15normal_iteratorINSA_10device_ptrItEEEEPS6_NSA_18transform_iteratorINSB_9not_fun_tI7is_trueItEEENSC_INSD_IbEEEENSA_11use_defaultESO_EENS0_5tupleIJNSA_16discard_iteratorISO_EES6_EEENSQ_IJSG_SG_EEES6_PlJS6_EEE10hipError_tPvRmT3_T4_T5_T6_T7_T9_mT8_P12ihipStream_tbDpT10_ENKUlT_T0_E_clISt17integral_constantIbLb0EES1F_EEDaS1A_S1B_EUlS1A_E_NS1_11comp_targetILNS1_3genE5ELNS1_11target_archE942ELNS1_3gpuE9ELNS1_3repE0EEENS1_30default_config_static_selectorELNS0_4arch9wavefront6targetE0EEEvT1_.uses_vcc, 0
	.set _ZN7rocprim17ROCPRIM_400000_NS6detail17trampoline_kernelINS0_14default_configENS1_25partition_config_selectorILNS1_17partition_subalgoE5EtNS0_10empty_typeEbEEZZNS1_14partition_implILS5_5ELb0ES3_mN6thrust23THRUST_200600_302600_NS6detail15normal_iteratorINSA_10device_ptrItEEEEPS6_NSA_18transform_iteratorINSB_9not_fun_tI7is_trueItEEENSC_INSD_IbEEEENSA_11use_defaultESO_EENS0_5tupleIJNSA_16discard_iteratorISO_EES6_EEENSQ_IJSG_SG_EEES6_PlJS6_EEE10hipError_tPvRmT3_T4_T5_T6_T7_T9_mT8_P12ihipStream_tbDpT10_ENKUlT_T0_E_clISt17integral_constantIbLb0EES1F_EEDaS1A_S1B_EUlS1A_E_NS1_11comp_targetILNS1_3genE5ELNS1_11target_archE942ELNS1_3gpuE9ELNS1_3repE0EEENS1_30default_config_static_selectorELNS0_4arch9wavefront6targetE0EEEvT1_.uses_flat_scratch, 0
	.set _ZN7rocprim17ROCPRIM_400000_NS6detail17trampoline_kernelINS0_14default_configENS1_25partition_config_selectorILNS1_17partition_subalgoE5EtNS0_10empty_typeEbEEZZNS1_14partition_implILS5_5ELb0ES3_mN6thrust23THRUST_200600_302600_NS6detail15normal_iteratorINSA_10device_ptrItEEEEPS6_NSA_18transform_iteratorINSB_9not_fun_tI7is_trueItEEENSC_INSD_IbEEEENSA_11use_defaultESO_EENS0_5tupleIJNSA_16discard_iteratorISO_EES6_EEENSQ_IJSG_SG_EEES6_PlJS6_EEE10hipError_tPvRmT3_T4_T5_T6_T7_T9_mT8_P12ihipStream_tbDpT10_ENKUlT_T0_E_clISt17integral_constantIbLb0EES1F_EEDaS1A_S1B_EUlS1A_E_NS1_11comp_targetILNS1_3genE5ELNS1_11target_archE942ELNS1_3gpuE9ELNS1_3repE0EEENS1_30default_config_static_selectorELNS0_4arch9wavefront6targetE0EEEvT1_.has_dyn_sized_stack, 0
	.set _ZN7rocprim17ROCPRIM_400000_NS6detail17trampoline_kernelINS0_14default_configENS1_25partition_config_selectorILNS1_17partition_subalgoE5EtNS0_10empty_typeEbEEZZNS1_14partition_implILS5_5ELb0ES3_mN6thrust23THRUST_200600_302600_NS6detail15normal_iteratorINSA_10device_ptrItEEEEPS6_NSA_18transform_iteratorINSB_9not_fun_tI7is_trueItEEENSC_INSD_IbEEEENSA_11use_defaultESO_EENS0_5tupleIJNSA_16discard_iteratorISO_EES6_EEENSQ_IJSG_SG_EEES6_PlJS6_EEE10hipError_tPvRmT3_T4_T5_T6_T7_T9_mT8_P12ihipStream_tbDpT10_ENKUlT_T0_E_clISt17integral_constantIbLb0EES1F_EEDaS1A_S1B_EUlS1A_E_NS1_11comp_targetILNS1_3genE5ELNS1_11target_archE942ELNS1_3gpuE9ELNS1_3repE0EEENS1_30default_config_static_selectorELNS0_4arch9wavefront6targetE0EEEvT1_.has_recursion, 0
	.set _ZN7rocprim17ROCPRIM_400000_NS6detail17trampoline_kernelINS0_14default_configENS1_25partition_config_selectorILNS1_17partition_subalgoE5EtNS0_10empty_typeEbEEZZNS1_14partition_implILS5_5ELb0ES3_mN6thrust23THRUST_200600_302600_NS6detail15normal_iteratorINSA_10device_ptrItEEEEPS6_NSA_18transform_iteratorINSB_9not_fun_tI7is_trueItEEENSC_INSD_IbEEEENSA_11use_defaultESO_EENS0_5tupleIJNSA_16discard_iteratorISO_EES6_EEENSQ_IJSG_SG_EEES6_PlJS6_EEE10hipError_tPvRmT3_T4_T5_T6_T7_T9_mT8_P12ihipStream_tbDpT10_ENKUlT_T0_E_clISt17integral_constantIbLb0EES1F_EEDaS1A_S1B_EUlS1A_E_NS1_11comp_targetILNS1_3genE5ELNS1_11target_archE942ELNS1_3gpuE9ELNS1_3repE0EEENS1_30default_config_static_selectorELNS0_4arch9wavefront6targetE0EEEvT1_.has_indirect_call, 0
	.section	.AMDGPU.csdata,"",@progbits
; Kernel info:
; codeLenInByte = 0
; TotalNumSgprs: 0
; NumVgprs: 0
; ScratchSize: 0
; MemoryBound: 0
; FloatMode: 240
; IeeeMode: 1
; LDSByteSize: 0 bytes/workgroup (compile time only)
; SGPRBlocks: 0
; VGPRBlocks: 0
; NumSGPRsForWavesPerEU: 1
; NumVGPRsForWavesPerEU: 1
; Occupancy: 16
; WaveLimiterHint : 0
; COMPUTE_PGM_RSRC2:SCRATCH_EN: 0
; COMPUTE_PGM_RSRC2:USER_SGPR: 2
; COMPUTE_PGM_RSRC2:TRAP_HANDLER: 0
; COMPUTE_PGM_RSRC2:TGID_X_EN: 1
; COMPUTE_PGM_RSRC2:TGID_Y_EN: 0
; COMPUTE_PGM_RSRC2:TGID_Z_EN: 0
; COMPUTE_PGM_RSRC2:TIDIG_COMP_CNT: 0
	.section	.text._ZN7rocprim17ROCPRIM_400000_NS6detail17trampoline_kernelINS0_14default_configENS1_25partition_config_selectorILNS1_17partition_subalgoE5EtNS0_10empty_typeEbEEZZNS1_14partition_implILS5_5ELb0ES3_mN6thrust23THRUST_200600_302600_NS6detail15normal_iteratorINSA_10device_ptrItEEEEPS6_NSA_18transform_iteratorINSB_9not_fun_tI7is_trueItEEENSC_INSD_IbEEEENSA_11use_defaultESO_EENS0_5tupleIJNSA_16discard_iteratorISO_EES6_EEENSQ_IJSG_SG_EEES6_PlJS6_EEE10hipError_tPvRmT3_T4_T5_T6_T7_T9_mT8_P12ihipStream_tbDpT10_ENKUlT_T0_E_clISt17integral_constantIbLb0EES1F_EEDaS1A_S1B_EUlS1A_E_NS1_11comp_targetILNS1_3genE4ELNS1_11target_archE910ELNS1_3gpuE8ELNS1_3repE0EEENS1_30default_config_static_selectorELNS0_4arch9wavefront6targetE0EEEvT1_,"axG",@progbits,_ZN7rocprim17ROCPRIM_400000_NS6detail17trampoline_kernelINS0_14default_configENS1_25partition_config_selectorILNS1_17partition_subalgoE5EtNS0_10empty_typeEbEEZZNS1_14partition_implILS5_5ELb0ES3_mN6thrust23THRUST_200600_302600_NS6detail15normal_iteratorINSA_10device_ptrItEEEEPS6_NSA_18transform_iteratorINSB_9not_fun_tI7is_trueItEEENSC_INSD_IbEEEENSA_11use_defaultESO_EENS0_5tupleIJNSA_16discard_iteratorISO_EES6_EEENSQ_IJSG_SG_EEES6_PlJS6_EEE10hipError_tPvRmT3_T4_T5_T6_T7_T9_mT8_P12ihipStream_tbDpT10_ENKUlT_T0_E_clISt17integral_constantIbLb0EES1F_EEDaS1A_S1B_EUlS1A_E_NS1_11comp_targetILNS1_3genE4ELNS1_11target_archE910ELNS1_3gpuE8ELNS1_3repE0EEENS1_30default_config_static_selectorELNS0_4arch9wavefront6targetE0EEEvT1_,comdat
	.protected	_ZN7rocprim17ROCPRIM_400000_NS6detail17trampoline_kernelINS0_14default_configENS1_25partition_config_selectorILNS1_17partition_subalgoE5EtNS0_10empty_typeEbEEZZNS1_14partition_implILS5_5ELb0ES3_mN6thrust23THRUST_200600_302600_NS6detail15normal_iteratorINSA_10device_ptrItEEEEPS6_NSA_18transform_iteratorINSB_9not_fun_tI7is_trueItEEENSC_INSD_IbEEEENSA_11use_defaultESO_EENS0_5tupleIJNSA_16discard_iteratorISO_EES6_EEENSQ_IJSG_SG_EEES6_PlJS6_EEE10hipError_tPvRmT3_T4_T5_T6_T7_T9_mT8_P12ihipStream_tbDpT10_ENKUlT_T0_E_clISt17integral_constantIbLb0EES1F_EEDaS1A_S1B_EUlS1A_E_NS1_11comp_targetILNS1_3genE4ELNS1_11target_archE910ELNS1_3gpuE8ELNS1_3repE0EEENS1_30default_config_static_selectorELNS0_4arch9wavefront6targetE0EEEvT1_ ; -- Begin function _ZN7rocprim17ROCPRIM_400000_NS6detail17trampoline_kernelINS0_14default_configENS1_25partition_config_selectorILNS1_17partition_subalgoE5EtNS0_10empty_typeEbEEZZNS1_14partition_implILS5_5ELb0ES3_mN6thrust23THRUST_200600_302600_NS6detail15normal_iteratorINSA_10device_ptrItEEEEPS6_NSA_18transform_iteratorINSB_9not_fun_tI7is_trueItEEENSC_INSD_IbEEEENSA_11use_defaultESO_EENS0_5tupleIJNSA_16discard_iteratorISO_EES6_EEENSQ_IJSG_SG_EEES6_PlJS6_EEE10hipError_tPvRmT3_T4_T5_T6_T7_T9_mT8_P12ihipStream_tbDpT10_ENKUlT_T0_E_clISt17integral_constantIbLb0EES1F_EEDaS1A_S1B_EUlS1A_E_NS1_11comp_targetILNS1_3genE4ELNS1_11target_archE910ELNS1_3gpuE8ELNS1_3repE0EEENS1_30default_config_static_selectorELNS0_4arch9wavefront6targetE0EEEvT1_
	.globl	_ZN7rocprim17ROCPRIM_400000_NS6detail17trampoline_kernelINS0_14default_configENS1_25partition_config_selectorILNS1_17partition_subalgoE5EtNS0_10empty_typeEbEEZZNS1_14partition_implILS5_5ELb0ES3_mN6thrust23THRUST_200600_302600_NS6detail15normal_iteratorINSA_10device_ptrItEEEEPS6_NSA_18transform_iteratorINSB_9not_fun_tI7is_trueItEEENSC_INSD_IbEEEENSA_11use_defaultESO_EENS0_5tupleIJNSA_16discard_iteratorISO_EES6_EEENSQ_IJSG_SG_EEES6_PlJS6_EEE10hipError_tPvRmT3_T4_T5_T6_T7_T9_mT8_P12ihipStream_tbDpT10_ENKUlT_T0_E_clISt17integral_constantIbLb0EES1F_EEDaS1A_S1B_EUlS1A_E_NS1_11comp_targetILNS1_3genE4ELNS1_11target_archE910ELNS1_3gpuE8ELNS1_3repE0EEENS1_30default_config_static_selectorELNS0_4arch9wavefront6targetE0EEEvT1_
	.p2align	8
	.type	_ZN7rocprim17ROCPRIM_400000_NS6detail17trampoline_kernelINS0_14default_configENS1_25partition_config_selectorILNS1_17partition_subalgoE5EtNS0_10empty_typeEbEEZZNS1_14partition_implILS5_5ELb0ES3_mN6thrust23THRUST_200600_302600_NS6detail15normal_iteratorINSA_10device_ptrItEEEEPS6_NSA_18transform_iteratorINSB_9not_fun_tI7is_trueItEEENSC_INSD_IbEEEENSA_11use_defaultESO_EENS0_5tupleIJNSA_16discard_iteratorISO_EES6_EEENSQ_IJSG_SG_EEES6_PlJS6_EEE10hipError_tPvRmT3_T4_T5_T6_T7_T9_mT8_P12ihipStream_tbDpT10_ENKUlT_T0_E_clISt17integral_constantIbLb0EES1F_EEDaS1A_S1B_EUlS1A_E_NS1_11comp_targetILNS1_3genE4ELNS1_11target_archE910ELNS1_3gpuE8ELNS1_3repE0EEENS1_30default_config_static_selectorELNS0_4arch9wavefront6targetE0EEEvT1_,@function
_ZN7rocprim17ROCPRIM_400000_NS6detail17trampoline_kernelINS0_14default_configENS1_25partition_config_selectorILNS1_17partition_subalgoE5EtNS0_10empty_typeEbEEZZNS1_14partition_implILS5_5ELb0ES3_mN6thrust23THRUST_200600_302600_NS6detail15normal_iteratorINSA_10device_ptrItEEEEPS6_NSA_18transform_iteratorINSB_9not_fun_tI7is_trueItEEENSC_INSD_IbEEEENSA_11use_defaultESO_EENS0_5tupleIJNSA_16discard_iteratorISO_EES6_EEENSQ_IJSG_SG_EEES6_PlJS6_EEE10hipError_tPvRmT3_T4_T5_T6_T7_T9_mT8_P12ihipStream_tbDpT10_ENKUlT_T0_E_clISt17integral_constantIbLb0EES1F_EEDaS1A_S1B_EUlS1A_E_NS1_11comp_targetILNS1_3genE4ELNS1_11target_archE910ELNS1_3gpuE8ELNS1_3repE0EEENS1_30default_config_static_selectorELNS0_4arch9wavefront6targetE0EEEvT1_: ; @_ZN7rocprim17ROCPRIM_400000_NS6detail17trampoline_kernelINS0_14default_configENS1_25partition_config_selectorILNS1_17partition_subalgoE5EtNS0_10empty_typeEbEEZZNS1_14partition_implILS5_5ELb0ES3_mN6thrust23THRUST_200600_302600_NS6detail15normal_iteratorINSA_10device_ptrItEEEEPS6_NSA_18transform_iteratorINSB_9not_fun_tI7is_trueItEEENSC_INSD_IbEEEENSA_11use_defaultESO_EENS0_5tupleIJNSA_16discard_iteratorISO_EES6_EEENSQ_IJSG_SG_EEES6_PlJS6_EEE10hipError_tPvRmT3_T4_T5_T6_T7_T9_mT8_P12ihipStream_tbDpT10_ENKUlT_T0_E_clISt17integral_constantIbLb0EES1F_EEDaS1A_S1B_EUlS1A_E_NS1_11comp_targetILNS1_3genE4ELNS1_11target_archE910ELNS1_3gpuE8ELNS1_3repE0EEENS1_30default_config_static_selectorELNS0_4arch9wavefront6targetE0EEEvT1_
; %bb.0:
	.section	.rodata,"a",@progbits
	.p2align	6, 0x0
	.amdhsa_kernel _ZN7rocprim17ROCPRIM_400000_NS6detail17trampoline_kernelINS0_14default_configENS1_25partition_config_selectorILNS1_17partition_subalgoE5EtNS0_10empty_typeEbEEZZNS1_14partition_implILS5_5ELb0ES3_mN6thrust23THRUST_200600_302600_NS6detail15normal_iteratorINSA_10device_ptrItEEEEPS6_NSA_18transform_iteratorINSB_9not_fun_tI7is_trueItEEENSC_INSD_IbEEEENSA_11use_defaultESO_EENS0_5tupleIJNSA_16discard_iteratorISO_EES6_EEENSQ_IJSG_SG_EEES6_PlJS6_EEE10hipError_tPvRmT3_T4_T5_T6_T7_T9_mT8_P12ihipStream_tbDpT10_ENKUlT_T0_E_clISt17integral_constantIbLb0EES1F_EEDaS1A_S1B_EUlS1A_E_NS1_11comp_targetILNS1_3genE4ELNS1_11target_archE910ELNS1_3gpuE8ELNS1_3repE0EEENS1_30default_config_static_selectorELNS0_4arch9wavefront6targetE0EEEvT1_
		.amdhsa_group_segment_fixed_size 0
		.amdhsa_private_segment_fixed_size 0
		.amdhsa_kernarg_size 128
		.amdhsa_user_sgpr_count 2
		.amdhsa_user_sgpr_dispatch_ptr 0
		.amdhsa_user_sgpr_queue_ptr 0
		.amdhsa_user_sgpr_kernarg_segment_ptr 1
		.amdhsa_user_sgpr_dispatch_id 0
		.amdhsa_user_sgpr_private_segment_size 0
		.amdhsa_wavefront_size32 1
		.amdhsa_uses_dynamic_stack 0
		.amdhsa_enable_private_segment 0
		.amdhsa_system_sgpr_workgroup_id_x 1
		.amdhsa_system_sgpr_workgroup_id_y 0
		.amdhsa_system_sgpr_workgroup_id_z 0
		.amdhsa_system_sgpr_workgroup_info 0
		.amdhsa_system_vgpr_workitem_id 0
		.amdhsa_next_free_vgpr 1
		.amdhsa_next_free_sgpr 1
		.amdhsa_reserve_vcc 0
		.amdhsa_float_round_mode_32 0
		.amdhsa_float_round_mode_16_64 0
		.amdhsa_float_denorm_mode_32 3
		.amdhsa_float_denorm_mode_16_64 3
		.amdhsa_fp16_overflow 0
		.amdhsa_workgroup_processor_mode 1
		.amdhsa_memory_ordered 1
		.amdhsa_forward_progress 1
		.amdhsa_inst_pref_size 0
		.amdhsa_round_robin_scheduling 0
		.amdhsa_exception_fp_ieee_invalid_op 0
		.amdhsa_exception_fp_denorm_src 0
		.amdhsa_exception_fp_ieee_div_zero 0
		.amdhsa_exception_fp_ieee_overflow 0
		.amdhsa_exception_fp_ieee_underflow 0
		.amdhsa_exception_fp_ieee_inexact 0
		.amdhsa_exception_int_div_zero 0
	.end_amdhsa_kernel
	.section	.text._ZN7rocprim17ROCPRIM_400000_NS6detail17trampoline_kernelINS0_14default_configENS1_25partition_config_selectorILNS1_17partition_subalgoE5EtNS0_10empty_typeEbEEZZNS1_14partition_implILS5_5ELb0ES3_mN6thrust23THRUST_200600_302600_NS6detail15normal_iteratorINSA_10device_ptrItEEEEPS6_NSA_18transform_iteratorINSB_9not_fun_tI7is_trueItEEENSC_INSD_IbEEEENSA_11use_defaultESO_EENS0_5tupleIJNSA_16discard_iteratorISO_EES6_EEENSQ_IJSG_SG_EEES6_PlJS6_EEE10hipError_tPvRmT3_T4_T5_T6_T7_T9_mT8_P12ihipStream_tbDpT10_ENKUlT_T0_E_clISt17integral_constantIbLb0EES1F_EEDaS1A_S1B_EUlS1A_E_NS1_11comp_targetILNS1_3genE4ELNS1_11target_archE910ELNS1_3gpuE8ELNS1_3repE0EEENS1_30default_config_static_selectorELNS0_4arch9wavefront6targetE0EEEvT1_,"axG",@progbits,_ZN7rocprim17ROCPRIM_400000_NS6detail17trampoline_kernelINS0_14default_configENS1_25partition_config_selectorILNS1_17partition_subalgoE5EtNS0_10empty_typeEbEEZZNS1_14partition_implILS5_5ELb0ES3_mN6thrust23THRUST_200600_302600_NS6detail15normal_iteratorINSA_10device_ptrItEEEEPS6_NSA_18transform_iteratorINSB_9not_fun_tI7is_trueItEEENSC_INSD_IbEEEENSA_11use_defaultESO_EENS0_5tupleIJNSA_16discard_iteratorISO_EES6_EEENSQ_IJSG_SG_EEES6_PlJS6_EEE10hipError_tPvRmT3_T4_T5_T6_T7_T9_mT8_P12ihipStream_tbDpT10_ENKUlT_T0_E_clISt17integral_constantIbLb0EES1F_EEDaS1A_S1B_EUlS1A_E_NS1_11comp_targetILNS1_3genE4ELNS1_11target_archE910ELNS1_3gpuE8ELNS1_3repE0EEENS1_30default_config_static_selectorELNS0_4arch9wavefront6targetE0EEEvT1_,comdat
.Lfunc_end2719:
	.size	_ZN7rocprim17ROCPRIM_400000_NS6detail17trampoline_kernelINS0_14default_configENS1_25partition_config_selectorILNS1_17partition_subalgoE5EtNS0_10empty_typeEbEEZZNS1_14partition_implILS5_5ELb0ES3_mN6thrust23THRUST_200600_302600_NS6detail15normal_iteratorINSA_10device_ptrItEEEEPS6_NSA_18transform_iteratorINSB_9not_fun_tI7is_trueItEEENSC_INSD_IbEEEENSA_11use_defaultESO_EENS0_5tupleIJNSA_16discard_iteratorISO_EES6_EEENSQ_IJSG_SG_EEES6_PlJS6_EEE10hipError_tPvRmT3_T4_T5_T6_T7_T9_mT8_P12ihipStream_tbDpT10_ENKUlT_T0_E_clISt17integral_constantIbLb0EES1F_EEDaS1A_S1B_EUlS1A_E_NS1_11comp_targetILNS1_3genE4ELNS1_11target_archE910ELNS1_3gpuE8ELNS1_3repE0EEENS1_30default_config_static_selectorELNS0_4arch9wavefront6targetE0EEEvT1_, .Lfunc_end2719-_ZN7rocprim17ROCPRIM_400000_NS6detail17trampoline_kernelINS0_14default_configENS1_25partition_config_selectorILNS1_17partition_subalgoE5EtNS0_10empty_typeEbEEZZNS1_14partition_implILS5_5ELb0ES3_mN6thrust23THRUST_200600_302600_NS6detail15normal_iteratorINSA_10device_ptrItEEEEPS6_NSA_18transform_iteratorINSB_9not_fun_tI7is_trueItEEENSC_INSD_IbEEEENSA_11use_defaultESO_EENS0_5tupleIJNSA_16discard_iteratorISO_EES6_EEENSQ_IJSG_SG_EEES6_PlJS6_EEE10hipError_tPvRmT3_T4_T5_T6_T7_T9_mT8_P12ihipStream_tbDpT10_ENKUlT_T0_E_clISt17integral_constantIbLb0EES1F_EEDaS1A_S1B_EUlS1A_E_NS1_11comp_targetILNS1_3genE4ELNS1_11target_archE910ELNS1_3gpuE8ELNS1_3repE0EEENS1_30default_config_static_selectorELNS0_4arch9wavefront6targetE0EEEvT1_
                                        ; -- End function
	.set _ZN7rocprim17ROCPRIM_400000_NS6detail17trampoline_kernelINS0_14default_configENS1_25partition_config_selectorILNS1_17partition_subalgoE5EtNS0_10empty_typeEbEEZZNS1_14partition_implILS5_5ELb0ES3_mN6thrust23THRUST_200600_302600_NS6detail15normal_iteratorINSA_10device_ptrItEEEEPS6_NSA_18transform_iteratorINSB_9not_fun_tI7is_trueItEEENSC_INSD_IbEEEENSA_11use_defaultESO_EENS0_5tupleIJNSA_16discard_iteratorISO_EES6_EEENSQ_IJSG_SG_EEES6_PlJS6_EEE10hipError_tPvRmT3_T4_T5_T6_T7_T9_mT8_P12ihipStream_tbDpT10_ENKUlT_T0_E_clISt17integral_constantIbLb0EES1F_EEDaS1A_S1B_EUlS1A_E_NS1_11comp_targetILNS1_3genE4ELNS1_11target_archE910ELNS1_3gpuE8ELNS1_3repE0EEENS1_30default_config_static_selectorELNS0_4arch9wavefront6targetE0EEEvT1_.num_vgpr, 0
	.set _ZN7rocprim17ROCPRIM_400000_NS6detail17trampoline_kernelINS0_14default_configENS1_25partition_config_selectorILNS1_17partition_subalgoE5EtNS0_10empty_typeEbEEZZNS1_14partition_implILS5_5ELb0ES3_mN6thrust23THRUST_200600_302600_NS6detail15normal_iteratorINSA_10device_ptrItEEEEPS6_NSA_18transform_iteratorINSB_9not_fun_tI7is_trueItEEENSC_INSD_IbEEEENSA_11use_defaultESO_EENS0_5tupleIJNSA_16discard_iteratorISO_EES6_EEENSQ_IJSG_SG_EEES6_PlJS6_EEE10hipError_tPvRmT3_T4_T5_T6_T7_T9_mT8_P12ihipStream_tbDpT10_ENKUlT_T0_E_clISt17integral_constantIbLb0EES1F_EEDaS1A_S1B_EUlS1A_E_NS1_11comp_targetILNS1_3genE4ELNS1_11target_archE910ELNS1_3gpuE8ELNS1_3repE0EEENS1_30default_config_static_selectorELNS0_4arch9wavefront6targetE0EEEvT1_.num_agpr, 0
	.set _ZN7rocprim17ROCPRIM_400000_NS6detail17trampoline_kernelINS0_14default_configENS1_25partition_config_selectorILNS1_17partition_subalgoE5EtNS0_10empty_typeEbEEZZNS1_14partition_implILS5_5ELb0ES3_mN6thrust23THRUST_200600_302600_NS6detail15normal_iteratorINSA_10device_ptrItEEEEPS6_NSA_18transform_iteratorINSB_9not_fun_tI7is_trueItEEENSC_INSD_IbEEEENSA_11use_defaultESO_EENS0_5tupleIJNSA_16discard_iteratorISO_EES6_EEENSQ_IJSG_SG_EEES6_PlJS6_EEE10hipError_tPvRmT3_T4_T5_T6_T7_T9_mT8_P12ihipStream_tbDpT10_ENKUlT_T0_E_clISt17integral_constantIbLb0EES1F_EEDaS1A_S1B_EUlS1A_E_NS1_11comp_targetILNS1_3genE4ELNS1_11target_archE910ELNS1_3gpuE8ELNS1_3repE0EEENS1_30default_config_static_selectorELNS0_4arch9wavefront6targetE0EEEvT1_.numbered_sgpr, 0
	.set _ZN7rocprim17ROCPRIM_400000_NS6detail17trampoline_kernelINS0_14default_configENS1_25partition_config_selectorILNS1_17partition_subalgoE5EtNS0_10empty_typeEbEEZZNS1_14partition_implILS5_5ELb0ES3_mN6thrust23THRUST_200600_302600_NS6detail15normal_iteratorINSA_10device_ptrItEEEEPS6_NSA_18transform_iteratorINSB_9not_fun_tI7is_trueItEEENSC_INSD_IbEEEENSA_11use_defaultESO_EENS0_5tupleIJNSA_16discard_iteratorISO_EES6_EEENSQ_IJSG_SG_EEES6_PlJS6_EEE10hipError_tPvRmT3_T4_T5_T6_T7_T9_mT8_P12ihipStream_tbDpT10_ENKUlT_T0_E_clISt17integral_constantIbLb0EES1F_EEDaS1A_S1B_EUlS1A_E_NS1_11comp_targetILNS1_3genE4ELNS1_11target_archE910ELNS1_3gpuE8ELNS1_3repE0EEENS1_30default_config_static_selectorELNS0_4arch9wavefront6targetE0EEEvT1_.num_named_barrier, 0
	.set _ZN7rocprim17ROCPRIM_400000_NS6detail17trampoline_kernelINS0_14default_configENS1_25partition_config_selectorILNS1_17partition_subalgoE5EtNS0_10empty_typeEbEEZZNS1_14partition_implILS5_5ELb0ES3_mN6thrust23THRUST_200600_302600_NS6detail15normal_iteratorINSA_10device_ptrItEEEEPS6_NSA_18transform_iteratorINSB_9not_fun_tI7is_trueItEEENSC_INSD_IbEEEENSA_11use_defaultESO_EENS0_5tupleIJNSA_16discard_iteratorISO_EES6_EEENSQ_IJSG_SG_EEES6_PlJS6_EEE10hipError_tPvRmT3_T4_T5_T6_T7_T9_mT8_P12ihipStream_tbDpT10_ENKUlT_T0_E_clISt17integral_constantIbLb0EES1F_EEDaS1A_S1B_EUlS1A_E_NS1_11comp_targetILNS1_3genE4ELNS1_11target_archE910ELNS1_3gpuE8ELNS1_3repE0EEENS1_30default_config_static_selectorELNS0_4arch9wavefront6targetE0EEEvT1_.private_seg_size, 0
	.set _ZN7rocprim17ROCPRIM_400000_NS6detail17trampoline_kernelINS0_14default_configENS1_25partition_config_selectorILNS1_17partition_subalgoE5EtNS0_10empty_typeEbEEZZNS1_14partition_implILS5_5ELb0ES3_mN6thrust23THRUST_200600_302600_NS6detail15normal_iteratorINSA_10device_ptrItEEEEPS6_NSA_18transform_iteratorINSB_9not_fun_tI7is_trueItEEENSC_INSD_IbEEEENSA_11use_defaultESO_EENS0_5tupleIJNSA_16discard_iteratorISO_EES6_EEENSQ_IJSG_SG_EEES6_PlJS6_EEE10hipError_tPvRmT3_T4_T5_T6_T7_T9_mT8_P12ihipStream_tbDpT10_ENKUlT_T0_E_clISt17integral_constantIbLb0EES1F_EEDaS1A_S1B_EUlS1A_E_NS1_11comp_targetILNS1_3genE4ELNS1_11target_archE910ELNS1_3gpuE8ELNS1_3repE0EEENS1_30default_config_static_selectorELNS0_4arch9wavefront6targetE0EEEvT1_.uses_vcc, 0
	.set _ZN7rocprim17ROCPRIM_400000_NS6detail17trampoline_kernelINS0_14default_configENS1_25partition_config_selectorILNS1_17partition_subalgoE5EtNS0_10empty_typeEbEEZZNS1_14partition_implILS5_5ELb0ES3_mN6thrust23THRUST_200600_302600_NS6detail15normal_iteratorINSA_10device_ptrItEEEEPS6_NSA_18transform_iteratorINSB_9not_fun_tI7is_trueItEEENSC_INSD_IbEEEENSA_11use_defaultESO_EENS0_5tupleIJNSA_16discard_iteratorISO_EES6_EEENSQ_IJSG_SG_EEES6_PlJS6_EEE10hipError_tPvRmT3_T4_T5_T6_T7_T9_mT8_P12ihipStream_tbDpT10_ENKUlT_T0_E_clISt17integral_constantIbLb0EES1F_EEDaS1A_S1B_EUlS1A_E_NS1_11comp_targetILNS1_3genE4ELNS1_11target_archE910ELNS1_3gpuE8ELNS1_3repE0EEENS1_30default_config_static_selectorELNS0_4arch9wavefront6targetE0EEEvT1_.uses_flat_scratch, 0
	.set _ZN7rocprim17ROCPRIM_400000_NS6detail17trampoline_kernelINS0_14default_configENS1_25partition_config_selectorILNS1_17partition_subalgoE5EtNS0_10empty_typeEbEEZZNS1_14partition_implILS5_5ELb0ES3_mN6thrust23THRUST_200600_302600_NS6detail15normal_iteratorINSA_10device_ptrItEEEEPS6_NSA_18transform_iteratorINSB_9not_fun_tI7is_trueItEEENSC_INSD_IbEEEENSA_11use_defaultESO_EENS0_5tupleIJNSA_16discard_iteratorISO_EES6_EEENSQ_IJSG_SG_EEES6_PlJS6_EEE10hipError_tPvRmT3_T4_T5_T6_T7_T9_mT8_P12ihipStream_tbDpT10_ENKUlT_T0_E_clISt17integral_constantIbLb0EES1F_EEDaS1A_S1B_EUlS1A_E_NS1_11comp_targetILNS1_3genE4ELNS1_11target_archE910ELNS1_3gpuE8ELNS1_3repE0EEENS1_30default_config_static_selectorELNS0_4arch9wavefront6targetE0EEEvT1_.has_dyn_sized_stack, 0
	.set _ZN7rocprim17ROCPRIM_400000_NS6detail17trampoline_kernelINS0_14default_configENS1_25partition_config_selectorILNS1_17partition_subalgoE5EtNS0_10empty_typeEbEEZZNS1_14partition_implILS5_5ELb0ES3_mN6thrust23THRUST_200600_302600_NS6detail15normal_iteratorINSA_10device_ptrItEEEEPS6_NSA_18transform_iteratorINSB_9not_fun_tI7is_trueItEEENSC_INSD_IbEEEENSA_11use_defaultESO_EENS0_5tupleIJNSA_16discard_iteratorISO_EES6_EEENSQ_IJSG_SG_EEES6_PlJS6_EEE10hipError_tPvRmT3_T4_T5_T6_T7_T9_mT8_P12ihipStream_tbDpT10_ENKUlT_T0_E_clISt17integral_constantIbLb0EES1F_EEDaS1A_S1B_EUlS1A_E_NS1_11comp_targetILNS1_3genE4ELNS1_11target_archE910ELNS1_3gpuE8ELNS1_3repE0EEENS1_30default_config_static_selectorELNS0_4arch9wavefront6targetE0EEEvT1_.has_recursion, 0
	.set _ZN7rocprim17ROCPRIM_400000_NS6detail17trampoline_kernelINS0_14default_configENS1_25partition_config_selectorILNS1_17partition_subalgoE5EtNS0_10empty_typeEbEEZZNS1_14partition_implILS5_5ELb0ES3_mN6thrust23THRUST_200600_302600_NS6detail15normal_iteratorINSA_10device_ptrItEEEEPS6_NSA_18transform_iteratorINSB_9not_fun_tI7is_trueItEEENSC_INSD_IbEEEENSA_11use_defaultESO_EENS0_5tupleIJNSA_16discard_iteratorISO_EES6_EEENSQ_IJSG_SG_EEES6_PlJS6_EEE10hipError_tPvRmT3_T4_T5_T6_T7_T9_mT8_P12ihipStream_tbDpT10_ENKUlT_T0_E_clISt17integral_constantIbLb0EES1F_EEDaS1A_S1B_EUlS1A_E_NS1_11comp_targetILNS1_3genE4ELNS1_11target_archE910ELNS1_3gpuE8ELNS1_3repE0EEENS1_30default_config_static_selectorELNS0_4arch9wavefront6targetE0EEEvT1_.has_indirect_call, 0
	.section	.AMDGPU.csdata,"",@progbits
; Kernel info:
; codeLenInByte = 0
; TotalNumSgprs: 0
; NumVgprs: 0
; ScratchSize: 0
; MemoryBound: 0
; FloatMode: 240
; IeeeMode: 1
; LDSByteSize: 0 bytes/workgroup (compile time only)
; SGPRBlocks: 0
; VGPRBlocks: 0
; NumSGPRsForWavesPerEU: 1
; NumVGPRsForWavesPerEU: 1
; Occupancy: 16
; WaveLimiterHint : 0
; COMPUTE_PGM_RSRC2:SCRATCH_EN: 0
; COMPUTE_PGM_RSRC2:USER_SGPR: 2
; COMPUTE_PGM_RSRC2:TRAP_HANDLER: 0
; COMPUTE_PGM_RSRC2:TGID_X_EN: 1
; COMPUTE_PGM_RSRC2:TGID_Y_EN: 0
; COMPUTE_PGM_RSRC2:TGID_Z_EN: 0
; COMPUTE_PGM_RSRC2:TIDIG_COMP_CNT: 0
	.section	.text._ZN7rocprim17ROCPRIM_400000_NS6detail17trampoline_kernelINS0_14default_configENS1_25partition_config_selectorILNS1_17partition_subalgoE5EtNS0_10empty_typeEbEEZZNS1_14partition_implILS5_5ELb0ES3_mN6thrust23THRUST_200600_302600_NS6detail15normal_iteratorINSA_10device_ptrItEEEEPS6_NSA_18transform_iteratorINSB_9not_fun_tI7is_trueItEEENSC_INSD_IbEEEENSA_11use_defaultESO_EENS0_5tupleIJNSA_16discard_iteratorISO_EES6_EEENSQ_IJSG_SG_EEES6_PlJS6_EEE10hipError_tPvRmT3_T4_T5_T6_T7_T9_mT8_P12ihipStream_tbDpT10_ENKUlT_T0_E_clISt17integral_constantIbLb0EES1F_EEDaS1A_S1B_EUlS1A_E_NS1_11comp_targetILNS1_3genE3ELNS1_11target_archE908ELNS1_3gpuE7ELNS1_3repE0EEENS1_30default_config_static_selectorELNS0_4arch9wavefront6targetE0EEEvT1_,"axG",@progbits,_ZN7rocprim17ROCPRIM_400000_NS6detail17trampoline_kernelINS0_14default_configENS1_25partition_config_selectorILNS1_17partition_subalgoE5EtNS0_10empty_typeEbEEZZNS1_14partition_implILS5_5ELb0ES3_mN6thrust23THRUST_200600_302600_NS6detail15normal_iteratorINSA_10device_ptrItEEEEPS6_NSA_18transform_iteratorINSB_9not_fun_tI7is_trueItEEENSC_INSD_IbEEEENSA_11use_defaultESO_EENS0_5tupleIJNSA_16discard_iteratorISO_EES6_EEENSQ_IJSG_SG_EEES6_PlJS6_EEE10hipError_tPvRmT3_T4_T5_T6_T7_T9_mT8_P12ihipStream_tbDpT10_ENKUlT_T0_E_clISt17integral_constantIbLb0EES1F_EEDaS1A_S1B_EUlS1A_E_NS1_11comp_targetILNS1_3genE3ELNS1_11target_archE908ELNS1_3gpuE7ELNS1_3repE0EEENS1_30default_config_static_selectorELNS0_4arch9wavefront6targetE0EEEvT1_,comdat
	.protected	_ZN7rocprim17ROCPRIM_400000_NS6detail17trampoline_kernelINS0_14default_configENS1_25partition_config_selectorILNS1_17partition_subalgoE5EtNS0_10empty_typeEbEEZZNS1_14partition_implILS5_5ELb0ES3_mN6thrust23THRUST_200600_302600_NS6detail15normal_iteratorINSA_10device_ptrItEEEEPS6_NSA_18transform_iteratorINSB_9not_fun_tI7is_trueItEEENSC_INSD_IbEEEENSA_11use_defaultESO_EENS0_5tupleIJNSA_16discard_iteratorISO_EES6_EEENSQ_IJSG_SG_EEES6_PlJS6_EEE10hipError_tPvRmT3_T4_T5_T6_T7_T9_mT8_P12ihipStream_tbDpT10_ENKUlT_T0_E_clISt17integral_constantIbLb0EES1F_EEDaS1A_S1B_EUlS1A_E_NS1_11comp_targetILNS1_3genE3ELNS1_11target_archE908ELNS1_3gpuE7ELNS1_3repE0EEENS1_30default_config_static_selectorELNS0_4arch9wavefront6targetE0EEEvT1_ ; -- Begin function _ZN7rocprim17ROCPRIM_400000_NS6detail17trampoline_kernelINS0_14default_configENS1_25partition_config_selectorILNS1_17partition_subalgoE5EtNS0_10empty_typeEbEEZZNS1_14partition_implILS5_5ELb0ES3_mN6thrust23THRUST_200600_302600_NS6detail15normal_iteratorINSA_10device_ptrItEEEEPS6_NSA_18transform_iteratorINSB_9not_fun_tI7is_trueItEEENSC_INSD_IbEEEENSA_11use_defaultESO_EENS0_5tupleIJNSA_16discard_iteratorISO_EES6_EEENSQ_IJSG_SG_EEES6_PlJS6_EEE10hipError_tPvRmT3_T4_T5_T6_T7_T9_mT8_P12ihipStream_tbDpT10_ENKUlT_T0_E_clISt17integral_constantIbLb0EES1F_EEDaS1A_S1B_EUlS1A_E_NS1_11comp_targetILNS1_3genE3ELNS1_11target_archE908ELNS1_3gpuE7ELNS1_3repE0EEENS1_30default_config_static_selectorELNS0_4arch9wavefront6targetE0EEEvT1_
	.globl	_ZN7rocprim17ROCPRIM_400000_NS6detail17trampoline_kernelINS0_14default_configENS1_25partition_config_selectorILNS1_17partition_subalgoE5EtNS0_10empty_typeEbEEZZNS1_14partition_implILS5_5ELb0ES3_mN6thrust23THRUST_200600_302600_NS6detail15normal_iteratorINSA_10device_ptrItEEEEPS6_NSA_18transform_iteratorINSB_9not_fun_tI7is_trueItEEENSC_INSD_IbEEEENSA_11use_defaultESO_EENS0_5tupleIJNSA_16discard_iteratorISO_EES6_EEENSQ_IJSG_SG_EEES6_PlJS6_EEE10hipError_tPvRmT3_T4_T5_T6_T7_T9_mT8_P12ihipStream_tbDpT10_ENKUlT_T0_E_clISt17integral_constantIbLb0EES1F_EEDaS1A_S1B_EUlS1A_E_NS1_11comp_targetILNS1_3genE3ELNS1_11target_archE908ELNS1_3gpuE7ELNS1_3repE0EEENS1_30default_config_static_selectorELNS0_4arch9wavefront6targetE0EEEvT1_
	.p2align	8
	.type	_ZN7rocprim17ROCPRIM_400000_NS6detail17trampoline_kernelINS0_14default_configENS1_25partition_config_selectorILNS1_17partition_subalgoE5EtNS0_10empty_typeEbEEZZNS1_14partition_implILS5_5ELb0ES3_mN6thrust23THRUST_200600_302600_NS6detail15normal_iteratorINSA_10device_ptrItEEEEPS6_NSA_18transform_iteratorINSB_9not_fun_tI7is_trueItEEENSC_INSD_IbEEEENSA_11use_defaultESO_EENS0_5tupleIJNSA_16discard_iteratorISO_EES6_EEENSQ_IJSG_SG_EEES6_PlJS6_EEE10hipError_tPvRmT3_T4_T5_T6_T7_T9_mT8_P12ihipStream_tbDpT10_ENKUlT_T0_E_clISt17integral_constantIbLb0EES1F_EEDaS1A_S1B_EUlS1A_E_NS1_11comp_targetILNS1_3genE3ELNS1_11target_archE908ELNS1_3gpuE7ELNS1_3repE0EEENS1_30default_config_static_selectorELNS0_4arch9wavefront6targetE0EEEvT1_,@function
_ZN7rocprim17ROCPRIM_400000_NS6detail17trampoline_kernelINS0_14default_configENS1_25partition_config_selectorILNS1_17partition_subalgoE5EtNS0_10empty_typeEbEEZZNS1_14partition_implILS5_5ELb0ES3_mN6thrust23THRUST_200600_302600_NS6detail15normal_iteratorINSA_10device_ptrItEEEEPS6_NSA_18transform_iteratorINSB_9not_fun_tI7is_trueItEEENSC_INSD_IbEEEENSA_11use_defaultESO_EENS0_5tupleIJNSA_16discard_iteratorISO_EES6_EEENSQ_IJSG_SG_EEES6_PlJS6_EEE10hipError_tPvRmT3_T4_T5_T6_T7_T9_mT8_P12ihipStream_tbDpT10_ENKUlT_T0_E_clISt17integral_constantIbLb0EES1F_EEDaS1A_S1B_EUlS1A_E_NS1_11comp_targetILNS1_3genE3ELNS1_11target_archE908ELNS1_3gpuE7ELNS1_3repE0EEENS1_30default_config_static_selectorELNS0_4arch9wavefront6targetE0EEEvT1_: ; @_ZN7rocprim17ROCPRIM_400000_NS6detail17trampoline_kernelINS0_14default_configENS1_25partition_config_selectorILNS1_17partition_subalgoE5EtNS0_10empty_typeEbEEZZNS1_14partition_implILS5_5ELb0ES3_mN6thrust23THRUST_200600_302600_NS6detail15normal_iteratorINSA_10device_ptrItEEEEPS6_NSA_18transform_iteratorINSB_9not_fun_tI7is_trueItEEENSC_INSD_IbEEEENSA_11use_defaultESO_EENS0_5tupleIJNSA_16discard_iteratorISO_EES6_EEENSQ_IJSG_SG_EEES6_PlJS6_EEE10hipError_tPvRmT3_T4_T5_T6_T7_T9_mT8_P12ihipStream_tbDpT10_ENKUlT_T0_E_clISt17integral_constantIbLb0EES1F_EEDaS1A_S1B_EUlS1A_E_NS1_11comp_targetILNS1_3genE3ELNS1_11target_archE908ELNS1_3gpuE7ELNS1_3repE0EEENS1_30default_config_static_selectorELNS0_4arch9wavefront6targetE0EEEvT1_
; %bb.0:
	.section	.rodata,"a",@progbits
	.p2align	6, 0x0
	.amdhsa_kernel _ZN7rocprim17ROCPRIM_400000_NS6detail17trampoline_kernelINS0_14default_configENS1_25partition_config_selectorILNS1_17partition_subalgoE5EtNS0_10empty_typeEbEEZZNS1_14partition_implILS5_5ELb0ES3_mN6thrust23THRUST_200600_302600_NS6detail15normal_iteratorINSA_10device_ptrItEEEEPS6_NSA_18transform_iteratorINSB_9not_fun_tI7is_trueItEEENSC_INSD_IbEEEENSA_11use_defaultESO_EENS0_5tupleIJNSA_16discard_iteratorISO_EES6_EEENSQ_IJSG_SG_EEES6_PlJS6_EEE10hipError_tPvRmT3_T4_T5_T6_T7_T9_mT8_P12ihipStream_tbDpT10_ENKUlT_T0_E_clISt17integral_constantIbLb0EES1F_EEDaS1A_S1B_EUlS1A_E_NS1_11comp_targetILNS1_3genE3ELNS1_11target_archE908ELNS1_3gpuE7ELNS1_3repE0EEENS1_30default_config_static_selectorELNS0_4arch9wavefront6targetE0EEEvT1_
		.amdhsa_group_segment_fixed_size 0
		.amdhsa_private_segment_fixed_size 0
		.amdhsa_kernarg_size 128
		.amdhsa_user_sgpr_count 2
		.amdhsa_user_sgpr_dispatch_ptr 0
		.amdhsa_user_sgpr_queue_ptr 0
		.amdhsa_user_sgpr_kernarg_segment_ptr 1
		.amdhsa_user_sgpr_dispatch_id 0
		.amdhsa_user_sgpr_private_segment_size 0
		.amdhsa_wavefront_size32 1
		.amdhsa_uses_dynamic_stack 0
		.amdhsa_enable_private_segment 0
		.amdhsa_system_sgpr_workgroup_id_x 1
		.amdhsa_system_sgpr_workgroup_id_y 0
		.amdhsa_system_sgpr_workgroup_id_z 0
		.amdhsa_system_sgpr_workgroup_info 0
		.amdhsa_system_vgpr_workitem_id 0
		.amdhsa_next_free_vgpr 1
		.amdhsa_next_free_sgpr 1
		.amdhsa_reserve_vcc 0
		.amdhsa_float_round_mode_32 0
		.amdhsa_float_round_mode_16_64 0
		.amdhsa_float_denorm_mode_32 3
		.amdhsa_float_denorm_mode_16_64 3
		.amdhsa_fp16_overflow 0
		.amdhsa_workgroup_processor_mode 1
		.amdhsa_memory_ordered 1
		.amdhsa_forward_progress 1
		.amdhsa_inst_pref_size 0
		.amdhsa_round_robin_scheduling 0
		.amdhsa_exception_fp_ieee_invalid_op 0
		.amdhsa_exception_fp_denorm_src 0
		.amdhsa_exception_fp_ieee_div_zero 0
		.amdhsa_exception_fp_ieee_overflow 0
		.amdhsa_exception_fp_ieee_underflow 0
		.amdhsa_exception_fp_ieee_inexact 0
		.amdhsa_exception_int_div_zero 0
	.end_amdhsa_kernel
	.section	.text._ZN7rocprim17ROCPRIM_400000_NS6detail17trampoline_kernelINS0_14default_configENS1_25partition_config_selectorILNS1_17partition_subalgoE5EtNS0_10empty_typeEbEEZZNS1_14partition_implILS5_5ELb0ES3_mN6thrust23THRUST_200600_302600_NS6detail15normal_iteratorINSA_10device_ptrItEEEEPS6_NSA_18transform_iteratorINSB_9not_fun_tI7is_trueItEEENSC_INSD_IbEEEENSA_11use_defaultESO_EENS0_5tupleIJNSA_16discard_iteratorISO_EES6_EEENSQ_IJSG_SG_EEES6_PlJS6_EEE10hipError_tPvRmT3_T4_T5_T6_T7_T9_mT8_P12ihipStream_tbDpT10_ENKUlT_T0_E_clISt17integral_constantIbLb0EES1F_EEDaS1A_S1B_EUlS1A_E_NS1_11comp_targetILNS1_3genE3ELNS1_11target_archE908ELNS1_3gpuE7ELNS1_3repE0EEENS1_30default_config_static_selectorELNS0_4arch9wavefront6targetE0EEEvT1_,"axG",@progbits,_ZN7rocprim17ROCPRIM_400000_NS6detail17trampoline_kernelINS0_14default_configENS1_25partition_config_selectorILNS1_17partition_subalgoE5EtNS0_10empty_typeEbEEZZNS1_14partition_implILS5_5ELb0ES3_mN6thrust23THRUST_200600_302600_NS6detail15normal_iteratorINSA_10device_ptrItEEEEPS6_NSA_18transform_iteratorINSB_9not_fun_tI7is_trueItEEENSC_INSD_IbEEEENSA_11use_defaultESO_EENS0_5tupleIJNSA_16discard_iteratorISO_EES6_EEENSQ_IJSG_SG_EEES6_PlJS6_EEE10hipError_tPvRmT3_T4_T5_T6_T7_T9_mT8_P12ihipStream_tbDpT10_ENKUlT_T0_E_clISt17integral_constantIbLb0EES1F_EEDaS1A_S1B_EUlS1A_E_NS1_11comp_targetILNS1_3genE3ELNS1_11target_archE908ELNS1_3gpuE7ELNS1_3repE0EEENS1_30default_config_static_selectorELNS0_4arch9wavefront6targetE0EEEvT1_,comdat
.Lfunc_end2720:
	.size	_ZN7rocprim17ROCPRIM_400000_NS6detail17trampoline_kernelINS0_14default_configENS1_25partition_config_selectorILNS1_17partition_subalgoE5EtNS0_10empty_typeEbEEZZNS1_14partition_implILS5_5ELb0ES3_mN6thrust23THRUST_200600_302600_NS6detail15normal_iteratorINSA_10device_ptrItEEEEPS6_NSA_18transform_iteratorINSB_9not_fun_tI7is_trueItEEENSC_INSD_IbEEEENSA_11use_defaultESO_EENS0_5tupleIJNSA_16discard_iteratorISO_EES6_EEENSQ_IJSG_SG_EEES6_PlJS6_EEE10hipError_tPvRmT3_T4_T5_T6_T7_T9_mT8_P12ihipStream_tbDpT10_ENKUlT_T0_E_clISt17integral_constantIbLb0EES1F_EEDaS1A_S1B_EUlS1A_E_NS1_11comp_targetILNS1_3genE3ELNS1_11target_archE908ELNS1_3gpuE7ELNS1_3repE0EEENS1_30default_config_static_selectorELNS0_4arch9wavefront6targetE0EEEvT1_, .Lfunc_end2720-_ZN7rocprim17ROCPRIM_400000_NS6detail17trampoline_kernelINS0_14default_configENS1_25partition_config_selectorILNS1_17partition_subalgoE5EtNS0_10empty_typeEbEEZZNS1_14partition_implILS5_5ELb0ES3_mN6thrust23THRUST_200600_302600_NS6detail15normal_iteratorINSA_10device_ptrItEEEEPS6_NSA_18transform_iteratorINSB_9not_fun_tI7is_trueItEEENSC_INSD_IbEEEENSA_11use_defaultESO_EENS0_5tupleIJNSA_16discard_iteratorISO_EES6_EEENSQ_IJSG_SG_EEES6_PlJS6_EEE10hipError_tPvRmT3_T4_T5_T6_T7_T9_mT8_P12ihipStream_tbDpT10_ENKUlT_T0_E_clISt17integral_constantIbLb0EES1F_EEDaS1A_S1B_EUlS1A_E_NS1_11comp_targetILNS1_3genE3ELNS1_11target_archE908ELNS1_3gpuE7ELNS1_3repE0EEENS1_30default_config_static_selectorELNS0_4arch9wavefront6targetE0EEEvT1_
                                        ; -- End function
	.set _ZN7rocprim17ROCPRIM_400000_NS6detail17trampoline_kernelINS0_14default_configENS1_25partition_config_selectorILNS1_17partition_subalgoE5EtNS0_10empty_typeEbEEZZNS1_14partition_implILS5_5ELb0ES3_mN6thrust23THRUST_200600_302600_NS6detail15normal_iteratorINSA_10device_ptrItEEEEPS6_NSA_18transform_iteratorINSB_9not_fun_tI7is_trueItEEENSC_INSD_IbEEEENSA_11use_defaultESO_EENS0_5tupleIJNSA_16discard_iteratorISO_EES6_EEENSQ_IJSG_SG_EEES6_PlJS6_EEE10hipError_tPvRmT3_T4_T5_T6_T7_T9_mT8_P12ihipStream_tbDpT10_ENKUlT_T0_E_clISt17integral_constantIbLb0EES1F_EEDaS1A_S1B_EUlS1A_E_NS1_11comp_targetILNS1_3genE3ELNS1_11target_archE908ELNS1_3gpuE7ELNS1_3repE0EEENS1_30default_config_static_selectorELNS0_4arch9wavefront6targetE0EEEvT1_.num_vgpr, 0
	.set _ZN7rocprim17ROCPRIM_400000_NS6detail17trampoline_kernelINS0_14default_configENS1_25partition_config_selectorILNS1_17partition_subalgoE5EtNS0_10empty_typeEbEEZZNS1_14partition_implILS5_5ELb0ES3_mN6thrust23THRUST_200600_302600_NS6detail15normal_iteratorINSA_10device_ptrItEEEEPS6_NSA_18transform_iteratorINSB_9not_fun_tI7is_trueItEEENSC_INSD_IbEEEENSA_11use_defaultESO_EENS0_5tupleIJNSA_16discard_iteratorISO_EES6_EEENSQ_IJSG_SG_EEES6_PlJS6_EEE10hipError_tPvRmT3_T4_T5_T6_T7_T9_mT8_P12ihipStream_tbDpT10_ENKUlT_T0_E_clISt17integral_constantIbLb0EES1F_EEDaS1A_S1B_EUlS1A_E_NS1_11comp_targetILNS1_3genE3ELNS1_11target_archE908ELNS1_3gpuE7ELNS1_3repE0EEENS1_30default_config_static_selectorELNS0_4arch9wavefront6targetE0EEEvT1_.num_agpr, 0
	.set _ZN7rocprim17ROCPRIM_400000_NS6detail17trampoline_kernelINS0_14default_configENS1_25partition_config_selectorILNS1_17partition_subalgoE5EtNS0_10empty_typeEbEEZZNS1_14partition_implILS5_5ELb0ES3_mN6thrust23THRUST_200600_302600_NS6detail15normal_iteratorINSA_10device_ptrItEEEEPS6_NSA_18transform_iteratorINSB_9not_fun_tI7is_trueItEEENSC_INSD_IbEEEENSA_11use_defaultESO_EENS0_5tupleIJNSA_16discard_iteratorISO_EES6_EEENSQ_IJSG_SG_EEES6_PlJS6_EEE10hipError_tPvRmT3_T4_T5_T6_T7_T9_mT8_P12ihipStream_tbDpT10_ENKUlT_T0_E_clISt17integral_constantIbLb0EES1F_EEDaS1A_S1B_EUlS1A_E_NS1_11comp_targetILNS1_3genE3ELNS1_11target_archE908ELNS1_3gpuE7ELNS1_3repE0EEENS1_30default_config_static_selectorELNS0_4arch9wavefront6targetE0EEEvT1_.numbered_sgpr, 0
	.set _ZN7rocprim17ROCPRIM_400000_NS6detail17trampoline_kernelINS0_14default_configENS1_25partition_config_selectorILNS1_17partition_subalgoE5EtNS0_10empty_typeEbEEZZNS1_14partition_implILS5_5ELb0ES3_mN6thrust23THRUST_200600_302600_NS6detail15normal_iteratorINSA_10device_ptrItEEEEPS6_NSA_18transform_iteratorINSB_9not_fun_tI7is_trueItEEENSC_INSD_IbEEEENSA_11use_defaultESO_EENS0_5tupleIJNSA_16discard_iteratorISO_EES6_EEENSQ_IJSG_SG_EEES6_PlJS6_EEE10hipError_tPvRmT3_T4_T5_T6_T7_T9_mT8_P12ihipStream_tbDpT10_ENKUlT_T0_E_clISt17integral_constantIbLb0EES1F_EEDaS1A_S1B_EUlS1A_E_NS1_11comp_targetILNS1_3genE3ELNS1_11target_archE908ELNS1_3gpuE7ELNS1_3repE0EEENS1_30default_config_static_selectorELNS0_4arch9wavefront6targetE0EEEvT1_.num_named_barrier, 0
	.set _ZN7rocprim17ROCPRIM_400000_NS6detail17trampoline_kernelINS0_14default_configENS1_25partition_config_selectorILNS1_17partition_subalgoE5EtNS0_10empty_typeEbEEZZNS1_14partition_implILS5_5ELb0ES3_mN6thrust23THRUST_200600_302600_NS6detail15normal_iteratorINSA_10device_ptrItEEEEPS6_NSA_18transform_iteratorINSB_9not_fun_tI7is_trueItEEENSC_INSD_IbEEEENSA_11use_defaultESO_EENS0_5tupleIJNSA_16discard_iteratorISO_EES6_EEENSQ_IJSG_SG_EEES6_PlJS6_EEE10hipError_tPvRmT3_T4_T5_T6_T7_T9_mT8_P12ihipStream_tbDpT10_ENKUlT_T0_E_clISt17integral_constantIbLb0EES1F_EEDaS1A_S1B_EUlS1A_E_NS1_11comp_targetILNS1_3genE3ELNS1_11target_archE908ELNS1_3gpuE7ELNS1_3repE0EEENS1_30default_config_static_selectorELNS0_4arch9wavefront6targetE0EEEvT1_.private_seg_size, 0
	.set _ZN7rocprim17ROCPRIM_400000_NS6detail17trampoline_kernelINS0_14default_configENS1_25partition_config_selectorILNS1_17partition_subalgoE5EtNS0_10empty_typeEbEEZZNS1_14partition_implILS5_5ELb0ES3_mN6thrust23THRUST_200600_302600_NS6detail15normal_iteratorINSA_10device_ptrItEEEEPS6_NSA_18transform_iteratorINSB_9not_fun_tI7is_trueItEEENSC_INSD_IbEEEENSA_11use_defaultESO_EENS0_5tupleIJNSA_16discard_iteratorISO_EES6_EEENSQ_IJSG_SG_EEES6_PlJS6_EEE10hipError_tPvRmT3_T4_T5_T6_T7_T9_mT8_P12ihipStream_tbDpT10_ENKUlT_T0_E_clISt17integral_constantIbLb0EES1F_EEDaS1A_S1B_EUlS1A_E_NS1_11comp_targetILNS1_3genE3ELNS1_11target_archE908ELNS1_3gpuE7ELNS1_3repE0EEENS1_30default_config_static_selectorELNS0_4arch9wavefront6targetE0EEEvT1_.uses_vcc, 0
	.set _ZN7rocprim17ROCPRIM_400000_NS6detail17trampoline_kernelINS0_14default_configENS1_25partition_config_selectorILNS1_17partition_subalgoE5EtNS0_10empty_typeEbEEZZNS1_14partition_implILS5_5ELb0ES3_mN6thrust23THRUST_200600_302600_NS6detail15normal_iteratorINSA_10device_ptrItEEEEPS6_NSA_18transform_iteratorINSB_9not_fun_tI7is_trueItEEENSC_INSD_IbEEEENSA_11use_defaultESO_EENS0_5tupleIJNSA_16discard_iteratorISO_EES6_EEENSQ_IJSG_SG_EEES6_PlJS6_EEE10hipError_tPvRmT3_T4_T5_T6_T7_T9_mT8_P12ihipStream_tbDpT10_ENKUlT_T0_E_clISt17integral_constantIbLb0EES1F_EEDaS1A_S1B_EUlS1A_E_NS1_11comp_targetILNS1_3genE3ELNS1_11target_archE908ELNS1_3gpuE7ELNS1_3repE0EEENS1_30default_config_static_selectorELNS0_4arch9wavefront6targetE0EEEvT1_.uses_flat_scratch, 0
	.set _ZN7rocprim17ROCPRIM_400000_NS6detail17trampoline_kernelINS0_14default_configENS1_25partition_config_selectorILNS1_17partition_subalgoE5EtNS0_10empty_typeEbEEZZNS1_14partition_implILS5_5ELb0ES3_mN6thrust23THRUST_200600_302600_NS6detail15normal_iteratorINSA_10device_ptrItEEEEPS6_NSA_18transform_iteratorINSB_9not_fun_tI7is_trueItEEENSC_INSD_IbEEEENSA_11use_defaultESO_EENS0_5tupleIJNSA_16discard_iteratorISO_EES6_EEENSQ_IJSG_SG_EEES6_PlJS6_EEE10hipError_tPvRmT3_T4_T5_T6_T7_T9_mT8_P12ihipStream_tbDpT10_ENKUlT_T0_E_clISt17integral_constantIbLb0EES1F_EEDaS1A_S1B_EUlS1A_E_NS1_11comp_targetILNS1_3genE3ELNS1_11target_archE908ELNS1_3gpuE7ELNS1_3repE0EEENS1_30default_config_static_selectorELNS0_4arch9wavefront6targetE0EEEvT1_.has_dyn_sized_stack, 0
	.set _ZN7rocprim17ROCPRIM_400000_NS6detail17trampoline_kernelINS0_14default_configENS1_25partition_config_selectorILNS1_17partition_subalgoE5EtNS0_10empty_typeEbEEZZNS1_14partition_implILS5_5ELb0ES3_mN6thrust23THRUST_200600_302600_NS6detail15normal_iteratorINSA_10device_ptrItEEEEPS6_NSA_18transform_iteratorINSB_9not_fun_tI7is_trueItEEENSC_INSD_IbEEEENSA_11use_defaultESO_EENS0_5tupleIJNSA_16discard_iteratorISO_EES6_EEENSQ_IJSG_SG_EEES6_PlJS6_EEE10hipError_tPvRmT3_T4_T5_T6_T7_T9_mT8_P12ihipStream_tbDpT10_ENKUlT_T0_E_clISt17integral_constantIbLb0EES1F_EEDaS1A_S1B_EUlS1A_E_NS1_11comp_targetILNS1_3genE3ELNS1_11target_archE908ELNS1_3gpuE7ELNS1_3repE0EEENS1_30default_config_static_selectorELNS0_4arch9wavefront6targetE0EEEvT1_.has_recursion, 0
	.set _ZN7rocprim17ROCPRIM_400000_NS6detail17trampoline_kernelINS0_14default_configENS1_25partition_config_selectorILNS1_17partition_subalgoE5EtNS0_10empty_typeEbEEZZNS1_14partition_implILS5_5ELb0ES3_mN6thrust23THRUST_200600_302600_NS6detail15normal_iteratorINSA_10device_ptrItEEEEPS6_NSA_18transform_iteratorINSB_9not_fun_tI7is_trueItEEENSC_INSD_IbEEEENSA_11use_defaultESO_EENS0_5tupleIJNSA_16discard_iteratorISO_EES6_EEENSQ_IJSG_SG_EEES6_PlJS6_EEE10hipError_tPvRmT3_T4_T5_T6_T7_T9_mT8_P12ihipStream_tbDpT10_ENKUlT_T0_E_clISt17integral_constantIbLb0EES1F_EEDaS1A_S1B_EUlS1A_E_NS1_11comp_targetILNS1_3genE3ELNS1_11target_archE908ELNS1_3gpuE7ELNS1_3repE0EEENS1_30default_config_static_selectorELNS0_4arch9wavefront6targetE0EEEvT1_.has_indirect_call, 0
	.section	.AMDGPU.csdata,"",@progbits
; Kernel info:
; codeLenInByte = 0
; TotalNumSgprs: 0
; NumVgprs: 0
; ScratchSize: 0
; MemoryBound: 0
; FloatMode: 240
; IeeeMode: 1
; LDSByteSize: 0 bytes/workgroup (compile time only)
; SGPRBlocks: 0
; VGPRBlocks: 0
; NumSGPRsForWavesPerEU: 1
; NumVGPRsForWavesPerEU: 1
; Occupancy: 16
; WaveLimiterHint : 0
; COMPUTE_PGM_RSRC2:SCRATCH_EN: 0
; COMPUTE_PGM_RSRC2:USER_SGPR: 2
; COMPUTE_PGM_RSRC2:TRAP_HANDLER: 0
; COMPUTE_PGM_RSRC2:TGID_X_EN: 1
; COMPUTE_PGM_RSRC2:TGID_Y_EN: 0
; COMPUTE_PGM_RSRC2:TGID_Z_EN: 0
; COMPUTE_PGM_RSRC2:TIDIG_COMP_CNT: 0
	.section	.text._ZN7rocprim17ROCPRIM_400000_NS6detail17trampoline_kernelINS0_14default_configENS1_25partition_config_selectorILNS1_17partition_subalgoE5EtNS0_10empty_typeEbEEZZNS1_14partition_implILS5_5ELb0ES3_mN6thrust23THRUST_200600_302600_NS6detail15normal_iteratorINSA_10device_ptrItEEEEPS6_NSA_18transform_iteratorINSB_9not_fun_tI7is_trueItEEENSC_INSD_IbEEEENSA_11use_defaultESO_EENS0_5tupleIJNSA_16discard_iteratorISO_EES6_EEENSQ_IJSG_SG_EEES6_PlJS6_EEE10hipError_tPvRmT3_T4_T5_T6_T7_T9_mT8_P12ihipStream_tbDpT10_ENKUlT_T0_E_clISt17integral_constantIbLb0EES1F_EEDaS1A_S1B_EUlS1A_E_NS1_11comp_targetILNS1_3genE2ELNS1_11target_archE906ELNS1_3gpuE6ELNS1_3repE0EEENS1_30default_config_static_selectorELNS0_4arch9wavefront6targetE0EEEvT1_,"axG",@progbits,_ZN7rocprim17ROCPRIM_400000_NS6detail17trampoline_kernelINS0_14default_configENS1_25partition_config_selectorILNS1_17partition_subalgoE5EtNS0_10empty_typeEbEEZZNS1_14partition_implILS5_5ELb0ES3_mN6thrust23THRUST_200600_302600_NS6detail15normal_iteratorINSA_10device_ptrItEEEEPS6_NSA_18transform_iteratorINSB_9not_fun_tI7is_trueItEEENSC_INSD_IbEEEENSA_11use_defaultESO_EENS0_5tupleIJNSA_16discard_iteratorISO_EES6_EEENSQ_IJSG_SG_EEES6_PlJS6_EEE10hipError_tPvRmT3_T4_T5_T6_T7_T9_mT8_P12ihipStream_tbDpT10_ENKUlT_T0_E_clISt17integral_constantIbLb0EES1F_EEDaS1A_S1B_EUlS1A_E_NS1_11comp_targetILNS1_3genE2ELNS1_11target_archE906ELNS1_3gpuE6ELNS1_3repE0EEENS1_30default_config_static_selectorELNS0_4arch9wavefront6targetE0EEEvT1_,comdat
	.protected	_ZN7rocprim17ROCPRIM_400000_NS6detail17trampoline_kernelINS0_14default_configENS1_25partition_config_selectorILNS1_17partition_subalgoE5EtNS0_10empty_typeEbEEZZNS1_14partition_implILS5_5ELb0ES3_mN6thrust23THRUST_200600_302600_NS6detail15normal_iteratorINSA_10device_ptrItEEEEPS6_NSA_18transform_iteratorINSB_9not_fun_tI7is_trueItEEENSC_INSD_IbEEEENSA_11use_defaultESO_EENS0_5tupleIJNSA_16discard_iteratorISO_EES6_EEENSQ_IJSG_SG_EEES6_PlJS6_EEE10hipError_tPvRmT3_T4_T5_T6_T7_T9_mT8_P12ihipStream_tbDpT10_ENKUlT_T0_E_clISt17integral_constantIbLb0EES1F_EEDaS1A_S1B_EUlS1A_E_NS1_11comp_targetILNS1_3genE2ELNS1_11target_archE906ELNS1_3gpuE6ELNS1_3repE0EEENS1_30default_config_static_selectorELNS0_4arch9wavefront6targetE0EEEvT1_ ; -- Begin function _ZN7rocprim17ROCPRIM_400000_NS6detail17trampoline_kernelINS0_14default_configENS1_25partition_config_selectorILNS1_17partition_subalgoE5EtNS0_10empty_typeEbEEZZNS1_14partition_implILS5_5ELb0ES3_mN6thrust23THRUST_200600_302600_NS6detail15normal_iteratorINSA_10device_ptrItEEEEPS6_NSA_18transform_iteratorINSB_9not_fun_tI7is_trueItEEENSC_INSD_IbEEEENSA_11use_defaultESO_EENS0_5tupleIJNSA_16discard_iteratorISO_EES6_EEENSQ_IJSG_SG_EEES6_PlJS6_EEE10hipError_tPvRmT3_T4_T5_T6_T7_T9_mT8_P12ihipStream_tbDpT10_ENKUlT_T0_E_clISt17integral_constantIbLb0EES1F_EEDaS1A_S1B_EUlS1A_E_NS1_11comp_targetILNS1_3genE2ELNS1_11target_archE906ELNS1_3gpuE6ELNS1_3repE0EEENS1_30default_config_static_selectorELNS0_4arch9wavefront6targetE0EEEvT1_
	.globl	_ZN7rocprim17ROCPRIM_400000_NS6detail17trampoline_kernelINS0_14default_configENS1_25partition_config_selectorILNS1_17partition_subalgoE5EtNS0_10empty_typeEbEEZZNS1_14partition_implILS5_5ELb0ES3_mN6thrust23THRUST_200600_302600_NS6detail15normal_iteratorINSA_10device_ptrItEEEEPS6_NSA_18transform_iteratorINSB_9not_fun_tI7is_trueItEEENSC_INSD_IbEEEENSA_11use_defaultESO_EENS0_5tupleIJNSA_16discard_iteratorISO_EES6_EEENSQ_IJSG_SG_EEES6_PlJS6_EEE10hipError_tPvRmT3_T4_T5_T6_T7_T9_mT8_P12ihipStream_tbDpT10_ENKUlT_T0_E_clISt17integral_constantIbLb0EES1F_EEDaS1A_S1B_EUlS1A_E_NS1_11comp_targetILNS1_3genE2ELNS1_11target_archE906ELNS1_3gpuE6ELNS1_3repE0EEENS1_30default_config_static_selectorELNS0_4arch9wavefront6targetE0EEEvT1_
	.p2align	8
	.type	_ZN7rocprim17ROCPRIM_400000_NS6detail17trampoline_kernelINS0_14default_configENS1_25partition_config_selectorILNS1_17partition_subalgoE5EtNS0_10empty_typeEbEEZZNS1_14partition_implILS5_5ELb0ES3_mN6thrust23THRUST_200600_302600_NS6detail15normal_iteratorINSA_10device_ptrItEEEEPS6_NSA_18transform_iteratorINSB_9not_fun_tI7is_trueItEEENSC_INSD_IbEEEENSA_11use_defaultESO_EENS0_5tupleIJNSA_16discard_iteratorISO_EES6_EEENSQ_IJSG_SG_EEES6_PlJS6_EEE10hipError_tPvRmT3_T4_T5_T6_T7_T9_mT8_P12ihipStream_tbDpT10_ENKUlT_T0_E_clISt17integral_constantIbLb0EES1F_EEDaS1A_S1B_EUlS1A_E_NS1_11comp_targetILNS1_3genE2ELNS1_11target_archE906ELNS1_3gpuE6ELNS1_3repE0EEENS1_30default_config_static_selectorELNS0_4arch9wavefront6targetE0EEEvT1_,@function
_ZN7rocprim17ROCPRIM_400000_NS6detail17trampoline_kernelINS0_14default_configENS1_25partition_config_selectorILNS1_17partition_subalgoE5EtNS0_10empty_typeEbEEZZNS1_14partition_implILS5_5ELb0ES3_mN6thrust23THRUST_200600_302600_NS6detail15normal_iteratorINSA_10device_ptrItEEEEPS6_NSA_18transform_iteratorINSB_9not_fun_tI7is_trueItEEENSC_INSD_IbEEEENSA_11use_defaultESO_EENS0_5tupleIJNSA_16discard_iteratorISO_EES6_EEENSQ_IJSG_SG_EEES6_PlJS6_EEE10hipError_tPvRmT3_T4_T5_T6_T7_T9_mT8_P12ihipStream_tbDpT10_ENKUlT_T0_E_clISt17integral_constantIbLb0EES1F_EEDaS1A_S1B_EUlS1A_E_NS1_11comp_targetILNS1_3genE2ELNS1_11target_archE906ELNS1_3gpuE6ELNS1_3repE0EEENS1_30default_config_static_selectorELNS0_4arch9wavefront6targetE0EEEvT1_: ; @_ZN7rocprim17ROCPRIM_400000_NS6detail17trampoline_kernelINS0_14default_configENS1_25partition_config_selectorILNS1_17partition_subalgoE5EtNS0_10empty_typeEbEEZZNS1_14partition_implILS5_5ELb0ES3_mN6thrust23THRUST_200600_302600_NS6detail15normal_iteratorINSA_10device_ptrItEEEEPS6_NSA_18transform_iteratorINSB_9not_fun_tI7is_trueItEEENSC_INSD_IbEEEENSA_11use_defaultESO_EENS0_5tupleIJNSA_16discard_iteratorISO_EES6_EEENSQ_IJSG_SG_EEES6_PlJS6_EEE10hipError_tPvRmT3_T4_T5_T6_T7_T9_mT8_P12ihipStream_tbDpT10_ENKUlT_T0_E_clISt17integral_constantIbLb0EES1F_EEDaS1A_S1B_EUlS1A_E_NS1_11comp_targetILNS1_3genE2ELNS1_11target_archE906ELNS1_3gpuE6ELNS1_3repE0EEENS1_30default_config_static_selectorELNS0_4arch9wavefront6targetE0EEEvT1_
; %bb.0:
	.section	.rodata,"a",@progbits
	.p2align	6, 0x0
	.amdhsa_kernel _ZN7rocprim17ROCPRIM_400000_NS6detail17trampoline_kernelINS0_14default_configENS1_25partition_config_selectorILNS1_17partition_subalgoE5EtNS0_10empty_typeEbEEZZNS1_14partition_implILS5_5ELb0ES3_mN6thrust23THRUST_200600_302600_NS6detail15normal_iteratorINSA_10device_ptrItEEEEPS6_NSA_18transform_iteratorINSB_9not_fun_tI7is_trueItEEENSC_INSD_IbEEEENSA_11use_defaultESO_EENS0_5tupleIJNSA_16discard_iteratorISO_EES6_EEENSQ_IJSG_SG_EEES6_PlJS6_EEE10hipError_tPvRmT3_T4_T5_T6_T7_T9_mT8_P12ihipStream_tbDpT10_ENKUlT_T0_E_clISt17integral_constantIbLb0EES1F_EEDaS1A_S1B_EUlS1A_E_NS1_11comp_targetILNS1_3genE2ELNS1_11target_archE906ELNS1_3gpuE6ELNS1_3repE0EEENS1_30default_config_static_selectorELNS0_4arch9wavefront6targetE0EEEvT1_
		.amdhsa_group_segment_fixed_size 0
		.amdhsa_private_segment_fixed_size 0
		.amdhsa_kernarg_size 128
		.amdhsa_user_sgpr_count 2
		.amdhsa_user_sgpr_dispatch_ptr 0
		.amdhsa_user_sgpr_queue_ptr 0
		.amdhsa_user_sgpr_kernarg_segment_ptr 1
		.amdhsa_user_sgpr_dispatch_id 0
		.amdhsa_user_sgpr_private_segment_size 0
		.amdhsa_wavefront_size32 1
		.amdhsa_uses_dynamic_stack 0
		.amdhsa_enable_private_segment 0
		.amdhsa_system_sgpr_workgroup_id_x 1
		.amdhsa_system_sgpr_workgroup_id_y 0
		.amdhsa_system_sgpr_workgroup_id_z 0
		.amdhsa_system_sgpr_workgroup_info 0
		.amdhsa_system_vgpr_workitem_id 0
		.amdhsa_next_free_vgpr 1
		.amdhsa_next_free_sgpr 1
		.amdhsa_reserve_vcc 0
		.amdhsa_float_round_mode_32 0
		.amdhsa_float_round_mode_16_64 0
		.amdhsa_float_denorm_mode_32 3
		.amdhsa_float_denorm_mode_16_64 3
		.amdhsa_fp16_overflow 0
		.amdhsa_workgroup_processor_mode 1
		.amdhsa_memory_ordered 1
		.amdhsa_forward_progress 1
		.amdhsa_inst_pref_size 0
		.amdhsa_round_robin_scheduling 0
		.amdhsa_exception_fp_ieee_invalid_op 0
		.amdhsa_exception_fp_denorm_src 0
		.amdhsa_exception_fp_ieee_div_zero 0
		.amdhsa_exception_fp_ieee_overflow 0
		.amdhsa_exception_fp_ieee_underflow 0
		.amdhsa_exception_fp_ieee_inexact 0
		.amdhsa_exception_int_div_zero 0
	.end_amdhsa_kernel
	.section	.text._ZN7rocprim17ROCPRIM_400000_NS6detail17trampoline_kernelINS0_14default_configENS1_25partition_config_selectorILNS1_17partition_subalgoE5EtNS0_10empty_typeEbEEZZNS1_14partition_implILS5_5ELb0ES3_mN6thrust23THRUST_200600_302600_NS6detail15normal_iteratorINSA_10device_ptrItEEEEPS6_NSA_18transform_iteratorINSB_9not_fun_tI7is_trueItEEENSC_INSD_IbEEEENSA_11use_defaultESO_EENS0_5tupleIJNSA_16discard_iteratorISO_EES6_EEENSQ_IJSG_SG_EEES6_PlJS6_EEE10hipError_tPvRmT3_T4_T5_T6_T7_T9_mT8_P12ihipStream_tbDpT10_ENKUlT_T0_E_clISt17integral_constantIbLb0EES1F_EEDaS1A_S1B_EUlS1A_E_NS1_11comp_targetILNS1_3genE2ELNS1_11target_archE906ELNS1_3gpuE6ELNS1_3repE0EEENS1_30default_config_static_selectorELNS0_4arch9wavefront6targetE0EEEvT1_,"axG",@progbits,_ZN7rocprim17ROCPRIM_400000_NS6detail17trampoline_kernelINS0_14default_configENS1_25partition_config_selectorILNS1_17partition_subalgoE5EtNS0_10empty_typeEbEEZZNS1_14partition_implILS5_5ELb0ES3_mN6thrust23THRUST_200600_302600_NS6detail15normal_iteratorINSA_10device_ptrItEEEEPS6_NSA_18transform_iteratorINSB_9not_fun_tI7is_trueItEEENSC_INSD_IbEEEENSA_11use_defaultESO_EENS0_5tupleIJNSA_16discard_iteratorISO_EES6_EEENSQ_IJSG_SG_EEES6_PlJS6_EEE10hipError_tPvRmT3_T4_T5_T6_T7_T9_mT8_P12ihipStream_tbDpT10_ENKUlT_T0_E_clISt17integral_constantIbLb0EES1F_EEDaS1A_S1B_EUlS1A_E_NS1_11comp_targetILNS1_3genE2ELNS1_11target_archE906ELNS1_3gpuE6ELNS1_3repE0EEENS1_30default_config_static_selectorELNS0_4arch9wavefront6targetE0EEEvT1_,comdat
.Lfunc_end2721:
	.size	_ZN7rocprim17ROCPRIM_400000_NS6detail17trampoline_kernelINS0_14default_configENS1_25partition_config_selectorILNS1_17partition_subalgoE5EtNS0_10empty_typeEbEEZZNS1_14partition_implILS5_5ELb0ES3_mN6thrust23THRUST_200600_302600_NS6detail15normal_iteratorINSA_10device_ptrItEEEEPS6_NSA_18transform_iteratorINSB_9not_fun_tI7is_trueItEEENSC_INSD_IbEEEENSA_11use_defaultESO_EENS0_5tupleIJNSA_16discard_iteratorISO_EES6_EEENSQ_IJSG_SG_EEES6_PlJS6_EEE10hipError_tPvRmT3_T4_T5_T6_T7_T9_mT8_P12ihipStream_tbDpT10_ENKUlT_T0_E_clISt17integral_constantIbLb0EES1F_EEDaS1A_S1B_EUlS1A_E_NS1_11comp_targetILNS1_3genE2ELNS1_11target_archE906ELNS1_3gpuE6ELNS1_3repE0EEENS1_30default_config_static_selectorELNS0_4arch9wavefront6targetE0EEEvT1_, .Lfunc_end2721-_ZN7rocprim17ROCPRIM_400000_NS6detail17trampoline_kernelINS0_14default_configENS1_25partition_config_selectorILNS1_17partition_subalgoE5EtNS0_10empty_typeEbEEZZNS1_14partition_implILS5_5ELb0ES3_mN6thrust23THRUST_200600_302600_NS6detail15normal_iteratorINSA_10device_ptrItEEEEPS6_NSA_18transform_iteratorINSB_9not_fun_tI7is_trueItEEENSC_INSD_IbEEEENSA_11use_defaultESO_EENS0_5tupleIJNSA_16discard_iteratorISO_EES6_EEENSQ_IJSG_SG_EEES6_PlJS6_EEE10hipError_tPvRmT3_T4_T5_T6_T7_T9_mT8_P12ihipStream_tbDpT10_ENKUlT_T0_E_clISt17integral_constantIbLb0EES1F_EEDaS1A_S1B_EUlS1A_E_NS1_11comp_targetILNS1_3genE2ELNS1_11target_archE906ELNS1_3gpuE6ELNS1_3repE0EEENS1_30default_config_static_selectorELNS0_4arch9wavefront6targetE0EEEvT1_
                                        ; -- End function
	.set _ZN7rocprim17ROCPRIM_400000_NS6detail17trampoline_kernelINS0_14default_configENS1_25partition_config_selectorILNS1_17partition_subalgoE5EtNS0_10empty_typeEbEEZZNS1_14partition_implILS5_5ELb0ES3_mN6thrust23THRUST_200600_302600_NS6detail15normal_iteratorINSA_10device_ptrItEEEEPS6_NSA_18transform_iteratorINSB_9not_fun_tI7is_trueItEEENSC_INSD_IbEEEENSA_11use_defaultESO_EENS0_5tupleIJNSA_16discard_iteratorISO_EES6_EEENSQ_IJSG_SG_EEES6_PlJS6_EEE10hipError_tPvRmT3_T4_T5_T6_T7_T9_mT8_P12ihipStream_tbDpT10_ENKUlT_T0_E_clISt17integral_constantIbLb0EES1F_EEDaS1A_S1B_EUlS1A_E_NS1_11comp_targetILNS1_3genE2ELNS1_11target_archE906ELNS1_3gpuE6ELNS1_3repE0EEENS1_30default_config_static_selectorELNS0_4arch9wavefront6targetE0EEEvT1_.num_vgpr, 0
	.set _ZN7rocprim17ROCPRIM_400000_NS6detail17trampoline_kernelINS0_14default_configENS1_25partition_config_selectorILNS1_17partition_subalgoE5EtNS0_10empty_typeEbEEZZNS1_14partition_implILS5_5ELb0ES3_mN6thrust23THRUST_200600_302600_NS6detail15normal_iteratorINSA_10device_ptrItEEEEPS6_NSA_18transform_iteratorINSB_9not_fun_tI7is_trueItEEENSC_INSD_IbEEEENSA_11use_defaultESO_EENS0_5tupleIJNSA_16discard_iteratorISO_EES6_EEENSQ_IJSG_SG_EEES6_PlJS6_EEE10hipError_tPvRmT3_T4_T5_T6_T7_T9_mT8_P12ihipStream_tbDpT10_ENKUlT_T0_E_clISt17integral_constantIbLb0EES1F_EEDaS1A_S1B_EUlS1A_E_NS1_11comp_targetILNS1_3genE2ELNS1_11target_archE906ELNS1_3gpuE6ELNS1_3repE0EEENS1_30default_config_static_selectorELNS0_4arch9wavefront6targetE0EEEvT1_.num_agpr, 0
	.set _ZN7rocprim17ROCPRIM_400000_NS6detail17trampoline_kernelINS0_14default_configENS1_25partition_config_selectorILNS1_17partition_subalgoE5EtNS0_10empty_typeEbEEZZNS1_14partition_implILS5_5ELb0ES3_mN6thrust23THRUST_200600_302600_NS6detail15normal_iteratorINSA_10device_ptrItEEEEPS6_NSA_18transform_iteratorINSB_9not_fun_tI7is_trueItEEENSC_INSD_IbEEEENSA_11use_defaultESO_EENS0_5tupleIJNSA_16discard_iteratorISO_EES6_EEENSQ_IJSG_SG_EEES6_PlJS6_EEE10hipError_tPvRmT3_T4_T5_T6_T7_T9_mT8_P12ihipStream_tbDpT10_ENKUlT_T0_E_clISt17integral_constantIbLb0EES1F_EEDaS1A_S1B_EUlS1A_E_NS1_11comp_targetILNS1_3genE2ELNS1_11target_archE906ELNS1_3gpuE6ELNS1_3repE0EEENS1_30default_config_static_selectorELNS0_4arch9wavefront6targetE0EEEvT1_.numbered_sgpr, 0
	.set _ZN7rocprim17ROCPRIM_400000_NS6detail17trampoline_kernelINS0_14default_configENS1_25partition_config_selectorILNS1_17partition_subalgoE5EtNS0_10empty_typeEbEEZZNS1_14partition_implILS5_5ELb0ES3_mN6thrust23THRUST_200600_302600_NS6detail15normal_iteratorINSA_10device_ptrItEEEEPS6_NSA_18transform_iteratorINSB_9not_fun_tI7is_trueItEEENSC_INSD_IbEEEENSA_11use_defaultESO_EENS0_5tupleIJNSA_16discard_iteratorISO_EES6_EEENSQ_IJSG_SG_EEES6_PlJS6_EEE10hipError_tPvRmT3_T4_T5_T6_T7_T9_mT8_P12ihipStream_tbDpT10_ENKUlT_T0_E_clISt17integral_constantIbLb0EES1F_EEDaS1A_S1B_EUlS1A_E_NS1_11comp_targetILNS1_3genE2ELNS1_11target_archE906ELNS1_3gpuE6ELNS1_3repE0EEENS1_30default_config_static_selectorELNS0_4arch9wavefront6targetE0EEEvT1_.num_named_barrier, 0
	.set _ZN7rocprim17ROCPRIM_400000_NS6detail17trampoline_kernelINS0_14default_configENS1_25partition_config_selectorILNS1_17partition_subalgoE5EtNS0_10empty_typeEbEEZZNS1_14partition_implILS5_5ELb0ES3_mN6thrust23THRUST_200600_302600_NS6detail15normal_iteratorINSA_10device_ptrItEEEEPS6_NSA_18transform_iteratorINSB_9not_fun_tI7is_trueItEEENSC_INSD_IbEEEENSA_11use_defaultESO_EENS0_5tupleIJNSA_16discard_iteratorISO_EES6_EEENSQ_IJSG_SG_EEES6_PlJS6_EEE10hipError_tPvRmT3_T4_T5_T6_T7_T9_mT8_P12ihipStream_tbDpT10_ENKUlT_T0_E_clISt17integral_constantIbLb0EES1F_EEDaS1A_S1B_EUlS1A_E_NS1_11comp_targetILNS1_3genE2ELNS1_11target_archE906ELNS1_3gpuE6ELNS1_3repE0EEENS1_30default_config_static_selectorELNS0_4arch9wavefront6targetE0EEEvT1_.private_seg_size, 0
	.set _ZN7rocprim17ROCPRIM_400000_NS6detail17trampoline_kernelINS0_14default_configENS1_25partition_config_selectorILNS1_17partition_subalgoE5EtNS0_10empty_typeEbEEZZNS1_14partition_implILS5_5ELb0ES3_mN6thrust23THRUST_200600_302600_NS6detail15normal_iteratorINSA_10device_ptrItEEEEPS6_NSA_18transform_iteratorINSB_9not_fun_tI7is_trueItEEENSC_INSD_IbEEEENSA_11use_defaultESO_EENS0_5tupleIJNSA_16discard_iteratorISO_EES6_EEENSQ_IJSG_SG_EEES6_PlJS6_EEE10hipError_tPvRmT3_T4_T5_T6_T7_T9_mT8_P12ihipStream_tbDpT10_ENKUlT_T0_E_clISt17integral_constantIbLb0EES1F_EEDaS1A_S1B_EUlS1A_E_NS1_11comp_targetILNS1_3genE2ELNS1_11target_archE906ELNS1_3gpuE6ELNS1_3repE0EEENS1_30default_config_static_selectorELNS0_4arch9wavefront6targetE0EEEvT1_.uses_vcc, 0
	.set _ZN7rocprim17ROCPRIM_400000_NS6detail17trampoline_kernelINS0_14default_configENS1_25partition_config_selectorILNS1_17partition_subalgoE5EtNS0_10empty_typeEbEEZZNS1_14partition_implILS5_5ELb0ES3_mN6thrust23THRUST_200600_302600_NS6detail15normal_iteratorINSA_10device_ptrItEEEEPS6_NSA_18transform_iteratorINSB_9not_fun_tI7is_trueItEEENSC_INSD_IbEEEENSA_11use_defaultESO_EENS0_5tupleIJNSA_16discard_iteratorISO_EES6_EEENSQ_IJSG_SG_EEES6_PlJS6_EEE10hipError_tPvRmT3_T4_T5_T6_T7_T9_mT8_P12ihipStream_tbDpT10_ENKUlT_T0_E_clISt17integral_constantIbLb0EES1F_EEDaS1A_S1B_EUlS1A_E_NS1_11comp_targetILNS1_3genE2ELNS1_11target_archE906ELNS1_3gpuE6ELNS1_3repE0EEENS1_30default_config_static_selectorELNS0_4arch9wavefront6targetE0EEEvT1_.uses_flat_scratch, 0
	.set _ZN7rocprim17ROCPRIM_400000_NS6detail17trampoline_kernelINS0_14default_configENS1_25partition_config_selectorILNS1_17partition_subalgoE5EtNS0_10empty_typeEbEEZZNS1_14partition_implILS5_5ELb0ES3_mN6thrust23THRUST_200600_302600_NS6detail15normal_iteratorINSA_10device_ptrItEEEEPS6_NSA_18transform_iteratorINSB_9not_fun_tI7is_trueItEEENSC_INSD_IbEEEENSA_11use_defaultESO_EENS0_5tupleIJNSA_16discard_iteratorISO_EES6_EEENSQ_IJSG_SG_EEES6_PlJS6_EEE10hipError_tPvRmT3_T4_T5_T6_T7_T9_mT8_P12ihipStream_tbDpT10_ENKUlT_T0_E_clISt17integral_constantIbLb0EES1F_EEDaS1A_S1B_EUlS1A_E_NS1_11comp_targetILNS1_3genE2ELNS1_11target_archE906ELNS1_3gpuE6ELNS1_3repE0EEENS1_30default_config_static_selectorELNS0_4arch9wavefront6targetE0EEEvT1_.has_dyn_sized_stack, 0
	.set _ZN7rocprim17ROCPRIM_400000_NS6detail17trampoline_kernelINS0_14default_configENS1_25partition_config_selectorILNS1_17partition_subalgoE5EtNS0_10empty_typeEbEEZZNS1_14partition_implILS5_5ELb0ES3_mN6thrust23THRUST_200600_302600_NS6detail15normal_iteratorINSA_10device_ptrItEEEEPS6_NSA_18transform_iteratorINSB_9not_fun_tI7is_trueItEEENSC_INSD_IbEEEENSA_11use_defaultESO_EENS0_5tupleIJNSA_16discard_iteratorISO_EES6_EEENSQ_IJSG_SG_EEES6_PlJS6_EEE10hipError_tPvRmT3_T4_T5_T6_T7_T9_mT8_P12ihipStream_tbDpT10_ENKUlT_T0_E_clISt17integral_constantIbLb0EES1F_EEDaS1A_S1B_EUlS1A_E_NS1_11comp_targetILNS1_3genE2ELNS1_11target_archE906ELNS1_3gpuE6ELNS1_3repE0EEENS1_30default_config_static_selectorELNS0_4arch9wavefront6targetE0EEEvT1_.has_recursion, 0
	.set _ZN7rocprim17ROCPRIM_400000_NS6detail17trampoline_kernelINS0_14default_configENS1_25partition_config_selectorILNS1_17partition_subalgoE5EtNS0_10empty_typeEbEEZZNS1_14partition_implILS5_5ELb0ES3_mN6thrust23THRUST_200600_302600_NS6detail15normal_iteratorINSA_10device_ptrItEEEEPS6_NSA_18transform_iteratorINSB_9not_fun_tI7is_trueItEEENSC_INSD_IbEEEENSA_11use_defaultESO_EENS0_5tupleIJNSA_16discard_iteratorISO_EES6_EEENSQ_IJSG_SG_EEES6_PlJS6_EEE10hipError_tPvRmT3_T4_T5_T6_T7_T9_mT8_P12ihipStream_tbDpT10_ENKUlT_T0_E_clISt17integral_constantIbLb0EES1F_EEDaS1A_S1B_EUlS1A_E_NS1_11comp_targetILNS1_3genE2ELNS1_11target_archE906ELNS1_3gpuE6ELNS1_3repE0EEENS1_30default_config_static_selectorELNS0_4arch9wavefront6targetE0EEEvT1_.has_indirect_call, 0
	.section	.AMDGPU.csdata,"",@progbits
; Kernel info:
; codeLenInByte = 0
; TotalNumSgprs: 0
; NumVgprs: 0
; ScratchSize: 0
; MemoryBound: 0
; FloatMode: 240
; IeeeMode: 1
; LDSByteSize: 0 bytes/workgroup (compile time only)
; SGPRBlocks: 0
; VGPRBlocks: 0
; NumSGPRsForWavesPerEU: 1
; NumVGPRsForWavesPerEU: 1
; Occupancy: 16
; WaveLimiterHint : 0
; COMPUTE_PGM_RSRC2:SCRATCH_EN: 0
; COMPUTE_PGM_RSRC2:USER_SGPR: 2
; COMPUTE_PGM_RSRC2:TRAP_HANDLER: 0
; COMPUTE_PGM_RSRC2:TGID_X_EN: 1
; COMPUTE_PGM_RSRC2:TGID_Y_EN: 0
; COMPUTE_PGM_RSRC2:TGID_Z_EN: 0
; COMPUTE_PGM_RSRC2:TIDIG_COMP_CNT: 0
	.section	.text._ZN7rocprim17ROCPRIM_400000_NS6detail17trampoline_kernelINS0_14default_configENS1_25partition_config_selectorILNS1_17partition_subalgoE5EtNS0_10empty_typeEbEEZZNS1_14partition_implILS5_5ELb0ES3_mN6thrust23THRUST_200600_302600_NS6detail15normal_iteratorINSA_10device_ptrItEEEEPS6_NSA_18transform_iteratorINSB_9not_fun_tI7is_trueItEEENSC_INSD_IbEEEENSA_11use_defaultESO_EENS0_5tupleIJNSA_16discard_iteratorISO_EES6_EEENSQ_IJSG_SG_EEES6_PlJS6_EEE10hipError_tPvRmT3_T4_T5_T6_T7_T9_mT8_P12ihipStream_tbDpT10_ENKUlT_T0_E_clISt17integral_constantIbLb0EES1F_EEDaS1A_S1B_EUlS1A_E_NS1_11comp_targetILNS1_3genE10ELNS1_11target_archE1200ELNS1_3gpuE4ELNS1_3repE0EEENS1_30default_config_static_selectorELNS0_4arch9wavefront6targetE0EEEvT1_,"axG",@progbits,_ZN7rocprim17ROCPRIM_400000_NS6detail17trampoline_kernelINS0_14default_configENS1_25partition_config_selectorILNS1_17partition_subalgoE5EtNS0_10empty_typeEbEEZZNS1_14partition_implILS5_5ELb0ES3_mN6thrust23THRUST_200600_302600_NS6detail15normal_iteratorINSA_10device_ptrItEEEEPS6_NSA_18transform_iteratorINSB_9not_fun_tI7is_trueItEEENSC_INSD_IbEEEENSA_11use_defaultESO_EENS0_5tupleIJNSA_16discard_iteratorISO_EES6_EEENSQ_IJSG_SG_EEES6_PlJS6_EEE10hipError_tPvRmT3_T4_T5_T6_T7_T9_mT8_P12ihipStream_tbDpT10_ENKUlT_T0_E_clISt17integral_constantIbLb0EES1F_EEDaS1A_S1B_EUlS1A_E_NS1_11comp_targetILNS1_3genE10ELNS1_11target_archE1200ELNS1_3gpuE4ELNS1_3repE0EEENS1_30default_config_static_selectorELNS0_4arch9wavefront6targetE0EEEvT1_,comdat
	.protected	_ZN7rocprim17ROCPRIM_400000_NS6detail17trampoline_kernelINS0_14default_configENS1_25partition_config_selectorILNS1_17partition_subalgoE5EtNS0_10empty_typeEbEEZZNS1_14partition_implILS5_5ELb0ES3_mN6thrust23THRUST_200600_302600_NS6detail15normal_iteratorINSA_10device_ptrItEEEEPS6_NSA_18transform_iteratorINSB_9not_fun_tI7is_trueItEEENSC_INSD_IbEEEENSA_11use_defaultESO_EENS0_5tupleIJNSA_16discard_iteratorISO_EES6_EEENSQ_IJSG_SG_EEES6_PlJS6_EEE10hipError_tPvRmT3_T4_T5_T6_T7_T9_mT8_P12ihipStream_tbDpT10_ENKUlT_T0_E_clISt17integral_constantIbLb0EES1F_EEDaS1A_S1B_EUlS1A_E_NS1_11comp_targetILNS1_3genE10ELNS1_11target_archE1200ELNS1_3gpuE4ELNS1_3repE0EEENS1_30default_config_static_selectorELNS0_4arch9wavefront6targetE0EEEvT1_ ; -- Begin function _ZN7rocprim17ROCPRIM_400000_NS6detail17trampoline_kernelINS0_14default_configENS1_25partition_config_selectorILNS1_17partition_subalgoE5EtNS0_10empty_typeEbEEZZNS1_14partition_implILS5_5ELb0ES3_mN6thrust23THRUST_200600_302600_NS6detail15normal_iteratorINSA_10device_ptrItEEEEPS6_NSA_18transform_iteratorINSB_9not_fun_tI7is_trueItEEENSC_INSD_IbEEEENSA_11use_defaultESO_EENS0_5tupleIJNSA_16discard_iteratorISO_EES6_EEENSQ_IJSG_SG_EEES6_PlJS6_EEE10hipError_tPvRmT3_T4_T5_T6_T7_T9_mT8_P12ihipStream_tbDpT10_ENKUlT_T0_E_clISt17integral_constantIbLb0EES1F_EEDaS1A_S1B_EUlS1A_E_NS1_11comp_targetILNS1_3genE10ELNS1_11target_archE1200ELNS1_3gpuE4ELNS1_3repE0EEENS1_30default_config_static_selectorELNS0_4arch9wavefront6targetE0EEEvT1_
	.globl	_ZN7rocprim17ROCPRIM_400000_NS6detail17trampoline_kernelINS0_14default_configENS1_25partition_config_selectorILNS1_17partition_subalgoE5EtNS0_10empty_typeEbEEZZNS1_14partition_implILS5_5ELb0ES3_mN6thrust23THRUST_200600_302600_NS6detail15normal_iteratorINSA_10device_ptrItEEEEPS6_NSA_18transform_iteratorINSB_9not_fun_tI7is_trueItEEENSC_INSD_IbEEEENSA_11use_defaultESO_EENS0_5tupleIJNSA_16discard_iteratorISO_EES6_EEENSQ_IJSG_SG_EEES6_PlJS6_EEE10hipError_tPvRmT3_T4_T5_T6_T7_T9_mT8_P12ihipStream_tbDpT10_ENKUlT_T0_E_clISt17integral_constantIbLb0EES1F_EEDaS1A_S1B_EUlS1A_E_NS1_11comp_targetILNS1_3genE10ELNS1_11target_archE1200ELNS1_3gpuE4ELNS1_3repE0EEENS1_30default_config_static_selectorELNS0_4arch9wavefront6targetE0EEEvT1_
	.p2align	8
	.type	_ZN7rocprim17ROCPRIM_400000_NS6detail17trampoline_kernelINS0_14default_configENS1_25partition_config_selectorILNS1_17partition_subalgoE5EtNS0_10empty_typeEbEEZZNS1_14partition_implILS5_5ELb0ES3_mN6thrust23THRUST_200600_302600_NS6detail15normal_iteratorINSA_10device_ptrItEEEEPS6_NSA_18transform_iteratorINSB_9not_fun_tI7is_trueItEEENSC_INSD_IbEEEENSA_11use_defaultESO_EENS0_5tupleIJNSA_16discard_iteratorISO_EES6_EEENSQ_IJSG_SG_EEES6_PlJS6_EEE10hipError_tPvRmT3_T4_T5_T6_T7_T9_mT8_P12ihipStream_tbDpT10_ENKUlT_T0_E_clISt17integral_constantIbLb0EES1F_EEDaS1A_S1B_EUlS1A_E_NS1_11comp_targetILNS1_3genE10ELNS1_11target_archE1200ELNS1_3gpuE4ELNS1_3repE0EEENS1_30default_config_static_selectorELNS0_4arch9wavefront6targetE0EEEvT1_,@function
_ZN7rocprim17ROCPRIM_400000_NS6detail17trampoline_kernelINS0_14default_configENS1_25partition_config_selectorILNS1_17partition_subalgoE5EtNS0_10empty_typeEbEEZZNS1_14partition_implILS5_5ELb0ES3_mN6thrust23THRUST_200600_302600_NS6detail15normal_iteratorINSA_10device_ptrItEEEEPS6_NSA_18transform_iteratorINSB_9not_fun_tI7is_trueItEEENSC_INSD_IbEEEENSA_11use_defaultESO_EENS0_5tupleIJNSA_16discard_iteratorISO_EES6_EEENSQ_IJSG_SG_EEES6_PlJS6_EEE10hipError_tPvRmT3_T4_T5_T6_T7_T9_mT8_P12ihipStream_tbDpT10_ENKUlT_T0_E_clISt17integral_constantIbLb0EES1F_EEDaS1A_S1B_EUlS1A_E_NS1_11comp_targetILNS1_3genE10ELNS1_11target_archE1200ELNS1_3gpuE4ELNS1_3repE0EEENS1_30default_config_static_selectorELNS0_4arch9wavefront6targetE0EEEvT1_: ; @_ZN7rocprim17ROCPRIM_400000_NS6detail17trampoline_kernelINS0_14default_configENS1_25partition_config_selectorILNS1_17partition_subalgoE5EtNS0_10empty_typeEbEEZZNS1_14partition_implILS5_5ELb0ES3_mN6thrust23THRUST_200600_302600_NS6detail15normal_iteratorINSA_10device_ptrItEEEEPS6_NSA_18transform_iteratorINSB_9not_fun_tI7is_trueItEEENSC_INSD_IbEEEENSA_11use_defaultESO_EENS0_5tupleIJNSA_16discard_iteratorISO_EES6_EEENSQ_IJSG_SG_EEES6_PlJS6_EEE10hipError_tPvRmT3_T4_T5_T6_T7_T9_mT8_P12ihipStream_tbDpT10_ENKUlT_T0_E_clISt17integral_constantIbLb0EES1F_EEDaS1A_S1B_EUlS1A_E_NS1_11comp_targetILNS1_3genE10ELNS1_11target_archE1200ELNS1_3gpuE4ELNS1_3repE0EEENS1_30default_config_static_selectorELNS0_4arch9wavefront6targetE0EEEvT1_
; %bb.0:
	s_clause 0x3
	s_load_b128 s[8:11], s[0:1], 0x8
	s_load_b32 s2, s[0:1], 0x78
	s_load_b128 s[4:7], s[0:1], 0x50
	s_load_b64 s[14:15], s[0:1], 0x60
	s_mov_b32 s13, 0
	s_mul_i32 s22, ttmp9, 0xc00
	v_lshlrev_b32_e32 v9, 1, v0
	s_mov_b32 s3, -1
	s_wait_kmcnt 0x0
	s_lshl_b64 s[18:19], s[10:11], 1
	s_mul_i32 s12, s2, 0xc00
	s_load_b64 s[6:7], s[6:7], 0x0
	s_add_co_i32 s16, s12, s10
	s_add_co_i32 s2, s2, -1
	s_sub_co_i32 s17, s14, s16
	s_add_nc_u64 s[20:21], s[10:11], s[12:13]
	s_addk_co_i32 s17, 0xc00
	s_cmp_eq_u32 ttmp9, s2
	v_cmp_gt_u64_e64 s14, s[14:15], s[20:21]
	s_cselect_b32 s16, -1, 0
	s_cmp_lg_u32 ttmp9, s2
	s_mov_b32 s12, s22
	s_cselect_b32 s2, -1, 0
	s_add_nc_u64 s[8:9], s[8:9], s[18:19]
	s_or_b32 s18, s2, s14
	s_lshl_b64 s[14:15], s[12:13], 1
	s_and_b32 vcc_lo, exec_lo, s18
	s_wait_alu 0xfffe
	s_add_nc_u64 s[8:9], s[8:9], s[14:15]
	s_cbranch_vccz .LBB2722_2
; %bb.1:
	v_add_co_u32 v1, s2, s8, v9
	s_delay_alu instid0(VALU_DEP_1)
	v_add_co_ci_u32_e64 v2, null, s9, 0, s2
	s_mov_b32 s3, s13
	s_clause 0xb
	flat_load_u16 v3, v[1:2]
	flat_load_u16 v4, v[1:2] offset:512
	flat_load_u16 v5, v[1:2] offset:1024
	;; [unrolled: 1-line block ×11, first 2 shown]
	s_wait_loadcnt_dscnt 0xb0b
	ds_store_b16 v9, v3
	s_wait_loadcnt_dscnt 0xa0b
	ds_store_b16 v9, v4 offset:512
	s_wait_loadcnt_dscnt 0x90b
	ds_store_b16 v9, v5 offset:1024
	;; [unrolled: 2-line block ×11, first 2 shown]
	s_wait_dscnt 0x0
	s_barrier_signal -1
	s_barrier_wait -1
.LBB2722_2:
	s_load_b64 s[14:15], s[0:1], 0x20
	v_cmp_gt_u32_e64 s2, s17, v0
	s_and_not1_b32 vcc_lo, exec_lo, s3
	s_cbranch_vccnz .LBB2722_28
; %bb.3:
	v_mov_b32_e32 v1, 0
	s_delay_alu instid0(VALU_DEP_1)
	v_dual_mov_b32 v2, v1 :: v_dual_mov_b32 v3, v1
	v_dual_mov_b32 v4, v1 :: v_dual_mov_b32 v5, v1
	v_mov_b32_e32 v6, v1
	s_and_saveexec_b32 s3, s2
	s_cbranch_execz .LBB2722_5
; %bb.4:
	v_add_co_u32 v3, s2, s8, v9
	s_wait_alu 0xf1ff
	v_add_co_ci_u32_e64 v4, null, s9, 0, s2
	v_mov_b32_e32 v2, v1
	v_dual_mov_b32 v6, v1 :: v_dual_mov_b32 v7, v1
	v_mov_b32_e32 v5, v1
	flat_load_d16_b16 v2, v[3:4]
	v_dual_mov_b32 v3, v1 :: v_dual_mov_b32 v4, v1
	s_wait_loadcnt_dscnt 0x0
	v_mov_b32_e32 v1, v2
	s_delay_alu instid0(VALU_DEP_2) | instskip(NEXT) | instid1(VALU_DEP_3)
	v_mov_b32_e32 v2, v3
	v_mov_b32_e32 v3, v4
	;; [unrolled: 1-line block ×7, first 2 shown]
.LBB2722_5:
	s_wait_alu 0xfffe
	s_or_b32 exec_lo, exec_lo, s3
	v_or_b32_e32 v7, 0x100, v0
	s_mov_b32 s2, exec_lo
	s_delay_alu instid0(VALU_DEP_1)
	v_cmpx_gt_u32_e64 s17, v7
	s_cbranch_execz .LBB2722_7
; %bb.6:
	v_add_co_u32 v7, s3, s8, v9
	s_wait_alu 0xf1ff
	v_add_co_ci_u32_e64 v8, null, s9, 0, s3
	flat_load_d16_hi_b16 v1, v[7:8] offset:512
.LBB2722_7:
	s_wait_alu 0xfffe
	s_or_b32 exec_lo, exec_lo, s2
	v_or_b32_e32 v7, 0x200, v0
	s_mov_b32 s2, exec_lo
	s_delay_alu instid0(VALU_DEP_1)
	v_cmpx_gt_u32_e64 s17, v7
	s_cbranch_execz .LBB2722_9
; %bb.8:
	v_add_co_u32 v7, s3, s8, v9
	s_wait_alu 0xf1ff
	v_add_co_ci_u32_e64 v8, null, s9, 0, s3
	flat_load_d16_b16 v2, v[7:8] offset:1024
.LBB2722_9:
	s_wait_alu 0xfffe
	s_or_b32 exec_lo, exec_lo, s2
	v_or_b32_e32 v7, 0x300, v0
	s_mov_b32 s2, exec_lo
	s_delay_alu instid0(VALU_DEP_1)
	v_cmpx_gt_u32_e64 s17, v7
	s_cbranch_execz .LBB2722_11
; %bb.10:
	v_add_co_u32 v7, s3, s8, v9
	s_wait_alu 0xf1ff
	v_add_co_ci_u32_e64 v8, null, s9, 0, s3
	s_wait_loadcnt_dscnt 0x0
	flat_load_d16_hi_b16 v2, v[7:8] offset:1536
.LBB2722_11:
	s_wait_alu 0xfffe
	s_or_b32 exec_lo, exec_lo, s2
	v_or_b32_e32 v7, 0x400, v0
	s_mov_b32 s2, exec_lo
	s_delay_alu instid0(VALU_DEP_1)
	v_cmpx_gt_u32_e64 s17, v7
	s_cbranch_execz .LBB2722_13
; %bb.12:
	v_add_co_u32 v7, s3, s8, v9
	s_wait_alu 0xf1ff
	v_add_co_ci_u32_e64 v8, null, s9, 0, s3
	flat_load_d16_b16 v3, v[7:8] offset:2048
.LBB2722_13:
	s_wait_alu 0xfffe
	s_or_b32 exec_lo, exec_lo, s2
	v_or_b32_e32 v7, 0x500, v0
	s_mov_b32 s2, exec_lo
	s_delay_alu instid0(VALU_DEP_1)
	v_cmpx_gt_u32_e64 s17, v7
	s_cbranch_execz .LBB2722_15
; %bb.14:
	v_add_co_u32 v7, s3, s8, v9
	s_wait_alu 0xf1ff
	v_add_co_ci_u32_e64 v8, null, s9, 0, s3
	s_wait_loadcnt_dscnt 0x0
	flat_load_d16_hi_b16 v3, v[7:8] offset:2560
.LBB2722_15:
	;; [unrolled: 27-line block ×5, first 2 shown]
	s_wait_alu 0xfffe
	s_or_b32 exec_lo, exec_lo, s2
	s_wait_loadcnt_dscnt 0x0
	ds_store_b16 v9, v1
	ds_store_b16_d16_hi v9, v1 offset:512
	ds_store_b16 v9, v2 offset:1024
	ds_store_b16_d16_hi v9, v2 offset:1536
	ds_store_b16 v9, v3 offset:2048
	;; [unrolled: 2-line block ×5, first 2 shown]
	ds_store_b16_d16_hi v9, v6 offset:5632
	s_wait_dscnt 0x0
	s_barrier_signal -1
	s_barrier_wait -1
.LBB2722_28:
	v_mul_u32_u24_e32 v47, 12, v0
	global_inv scope:SCOPE_SE
	s_wait_kmcnt 0x0
	s_add_nc_u64 s[2:3], s[14:15], s[10:11]
	s_and_b32 vcc_lo, exec_lo, s18
	s_wait_alu 0xfffe
	s_add_nc_u64 s[2:3], s[2:3], s[12:13]
	v_lshlrev_b32_e32 v1, 1, v47
	s_mov_b32 s8, -1
	ds_load_2addr_b64 v[33:36], v1 offset1:1
	ds_load_b64 v[41:42], v1 offset:16
	s_wait_loadcnt_dscnt 0x0
	s_barrier_signal -1
	s_barrier_wait -1
	global_inv scope:SCOPE_SE
	s_cbranch_vccz .LBB2722_30
; %bb.29:
	s_clause 0xb
	global_load_u8 v1, v0, s[2:3]
	global_load_u8 v2, v0, s[2:3] offset:256
	global_load_u8 v3, v0, s[2:3] offset:512
	;; [unrolled: 1-line block ×11, first 2 shown]
	s_mov_b32 s8, 0
	s_wait_loadcnt 0xb
	v_xor_b32_e32 v1, 1, v1
	s_wait_loadcnt 0xa
	v_xor_b32_e32 v2, 1, v2
	s_wait_loadcnt 0x9
	v_xor_b32_e32 v3, 1, v3
	s_wait_loadcnt 0x8
	v_xor_b32_e32 v4, 1, v4
	s_wait_loadcnt 0x7
	v_xor_b32_e32 v5, 1, v5
	s_wait_loadcnt 0x6
	v_xor_b32_e32 v6, 1, v6
	s_wait_loadcnt 0x5
	v_xor_b32_e32 v7, 1, v7
	s_wait_loadcnt 0x4
	v_xor_b32_e32 v8, 1, v8
	s_wait_loadcnt 0x3
	v_xor_b32_e32 v9, 1, v9
	s_wait_loadcnt 0x2
	v_xor_b32_e32 v10, 1, v10
	s_wait_loadcnt 0x1
	v_xor_b32_e32 v11, 1, v11
	s_wait_loadcnt 0x0
	v_xor_b32_e32 v12, 1, v12
	ds_store_b8 v0, v1
	ds_store_b8 v0, v2 offset:256
	ds_store_b8 v0, v3 offset:512
	;; [unrolled: 1-line block ×11, first 2 shown]
	s_wait_dscnt 0x0
	s_barrier_signal -1
	s_barrier_wait -1
.LBB2722_30:
	s_wait_alu 0xfffe
	s_and_not1_b32 vcc_lo, exec_lo, s8
	s_cbranch_vccnz .LBB2722_56
; %bb.31:
	v_mov_b32_e32 v3, 0
	s_mov_b32 s8, exec_lo
	s_delay_alu instid0(VALU_DEP_1)
	v_dual_mov_b32 v1, v3 :: v_dual_mov_b32 v2, v3
	v_mov_b32_e32 v4, v3
	v_cmpx_gt_u32_e64 s17, v0
	s_cbranch_execz .LBB2722_33
; %bb.32:
	global_load_u8 v1, v0, s[2:3]
	s_wait_loadcnt 0x0
	v_xor_b32_e32 v4, 1, v1
	s_delay_alu instid0(VALU_DEP_1) | instskip(NEXT) | instid1(VALU_DEP_1)
	v_dual_mov_b32 v1, 0 :: v_dual_and_b32 v2, 1, v4
	v_dual_mov_b32 v2, v1 :: v_dual_and_b32 v3, 0xffff, v2
.LBB2722_33:
	s_wait_alu 0xfffe
	s_or_b32 exec_lo, exec_lo, s8
	v_or_b32_e32 v5, 0x100, v0
	s_mov_b32 s8, exec_lo
	s_delay_alu instid0(VALU_DEP_1)
	v_cmpx_gt_u32_e64 s17, v5
	s_cbranch_execz .LBB2722_35
; %bb.34:
	global_load_u8 v5, v0, s[2:3] offset:256
	v_and_b32_e32 v6, 0xff, v3
	s_wait_loadcnt 0x0
	v_xor_b32_e32 v5, 1, v5
	s_delay_alu instid0(VALU_DEP_1) | instskip(NEXT) | instid1(VALU_DEP_1)
	v_lshlrev_b16 v5, 8, v5
	v_or_b32_e32 v5, v6, v5
	s_delay_alu instid0(VALU_DEP_1) | instskip(NEXT) | instid1(VALU_DEP_1)
	v_and_b32_e32 v5, 0xffff, v5
	v_and_or_b32 v3, 0xffff0000, v3, v5
.LBB2722_35:
	s_wait_alu 0xfffe
	s_or_b32 exec_lo, exec_lo, s8
	v_or_b32_e32 v5, 0x200, v0
	s_mov_b32 s8, exec_lo
	s_delay_alu instid0(VALU_DEP_1)
	v_cmpx_gt_u32_e64 s17, v5
	s_cbranch_execz .LBB2722_37
; %bb.36:
	global_load_u8 v5, v0, s[2:3] offset:512
	v_lshrrev_b32_e32 v6, 16, v3
	s_delay_alu instid0(VALU_DEP_1) | instskip(SKIP_2) | instid1(VALU_DEP_1)
	v_and_b32_e32 v6, 0xffffff00, v6
	s_wait_loadcnt 0x0
	v_xor_b32_e32 v5, 1, v5
	v_or_b32_e32 v5, v5, v6
	s_delay_alu instid0(VALU_DEP_1) | instskip(NEXT) | instid1(VALU_DEP_1)
	v_lshlrev_b32_e32 v5, 16, v5
	v_and_or_b32 v3, 0xffff, v3, v5
.LBB2722_37:
	s_wait_alu 0xfffe
	s_or_b32 exec_lo, exec_lo, s8
	v_or_b32_e32 v5, 0x300, v0
	s_mov_b32 s8, exec_lo
	s_delay_alu instid0(VALU_DEP_1)
	v_cmpx_gt_u32_e64 s17, v5
	s_cbranch_execz .LBB2722_39
; %bb.38:
	global_load_u8 v5, v0, s[2:3] offset:768
	v_lshrrev_b32_e32 v6, 16, v3
	s_delay_alu instid0(VALU_DEP_1) | instskip(SKIP_2) | instid1(VALU_DEP_1)
	v_and_b32_e32 v6, 0xff, v6
	s_wait_loadcnt 0x0
	v_xor_b32_e32 v5, 1, v5
	v_lshlrev_b16 v5, 8, v5
	s_delay_alu instid0(VALU_DEP_1) | instskip(NEXT) | instid1(VALU_DEP_1)
	v_or_b32_e32 v5, v6, v5
	v_lshlrev_b32_e32 v5, 16, v5
	s_delay_alu instid0(VALU_DEP_1)
	v_and_or_b32 v3, 0xffff, v3, v5
.LBB2722_39:
	s_wait_alu 0xfffe
	s_or_b32 exec_lo, exec_lo, s8
	v_or_b32_e32 v5, 0x400, v0
	s_mov_b32 s8, exec_lo
	s_delay_alu instid0(VALU_DEP_1)
	v_cmpx_gt_u32_e64 s17, v5
	s_cbranch_execz .LBB2722_41
; %bb.40:
	global_load_u8 v5, v0, s[2:3] offset:1024
	v_and_b32_e32 v6, 0xffffff00, v1
	s_wait_loadcnt 0x0
	v_xor_b32_e32 v5, 1, v5
	s_delay_alu instid0(VALU_DEP_1) | instskip(NEXT) | instid1(VALU_DEP_1)
	v_or_b32_e32 v5, v5, v6
	v_and_b32_e32 v5, 0xffff, v5
	s_delay_alu instid0(VALU_DEP_1)
	v_and_or_b32 v1, 0xffff0000, v1, v5
.LBB2722_41:
	s_wait_alu 0xfffe
	s_or_b32 exec_lo, exec_lo, s8
	v_or_b32_e32 v5, 0x500, v0
	s_mov_b32 s8, exec_lo
	s_delay_alu instid0(VALU_DEP_1)
	v_cmpx_gt_u32_e64 s17, v5
	s_cbranch_execz .LBB2722_43
; %bb.42:
	global_load_u8 v5, v0, s[2:3] offset:1280
	v_and_b32_e32 v6, 0xff, v1
	s_wait_loadcnt 0x0
	v_xor_b32_e32 v5, 1, v5
	s_delay_alu instid0(VALU_DEP_1) | instskip(NEXT) | instid1(VALU_DEP_1)
	v_lshlrev_b16 v5, 8, v5
	v_or_b32_e32 v5, v6, v5
	s_delay_alu instid0(VALU_DEP_1) | instskip(NEXT) | instid1(VALU_DEP_1)
	v_and_b32_e32 v5, 0xffff, v5
	v_and_or_b32 v1, 0xffff0000, v1, v5
.LBB2722_43:
	s_wait_alu 0xfffe
	s_or_b32 exec_lo, exec_lo, s8
	v_or_b32_e32 v5, 0x600, v0
	s_mov_b32 s8, exec_lo
	s_delay_alu instid0(VALU_DEP_1)
	v_cmpx_gt_u32_e64 s17, v5
	s_cbranch_execz .LBB2722_45
; %bb.44:
	global_load_u8 v5, v0, s[2:3] offset:1536
	v_lshrrev_b32_e32 v6, 16, v1
	s_delay_alu instid0(VALU_DEP_1) | instskip(SKIP_2) | instid1(VALU_DEP_1)
	v_and_b32_e32 v6, 0xffffff00, v6
	s_wait_loadcnt 0x0
	v_xor_b32_e32 v5, 1, v5
	v_or_b32_e32 v5, v5, v6
	s_delay_alu instid0(VALU_DEP_1) | instskip(NEXT) | instid1(VALU_DEP_1)
	v_lshlrev_b32_e32 v5, 16, v5
	v_and_or_b32 v1, 0xffff, v1, v5
.LBB2722_45:
	s_wait_alu 0xfffe
	s_or_b32 exec_lo, exec_lo, s8
	v_or_b32_e32 v5, 0x700, v0
	s_mov_b32 s8, exec_lo
	s_delay_alu instid0(VALU_DEP_1)
	v_cmpx_gt_u32_e64 s17, v5
	s_cbranch_execz .LBB2722_47
; %bb.46:
	global_load_u8 v5, v0, s[2:3] offset:1792
	v_lshrrev_b32_e32 v6, 16, v1
	s_delay_alu instid0(VALU_DEP_1) | instskip(SKIP_2) | instid1(VALU_DEP_1)
	v_and_b32_e32 v6, 0xff, v6
	s_wait_loadcnt 0x0
	v_xor_b32_e32 v5, 1, v5
	v_lshlrev_b16 v5, 8, v5
	s_delay_alu instid0(VALU_DEP_1) | instskip(NEXT) | instid1(VALU_DEP_1)
	v_or_b32_e32 v5, v6, v5
	v_lshlrev_b32_e32 v5, 16, v5
	s_delay_alu instid0(VALU_DEP_1)
	v_and_or_b32 v1, 0xffff, v1, v5
.LBB2722_47:
	s_wait_alu 0xfffe
	s_or_b32 exec_lo, exec_lo, s8
	v_or_b32_e32 v5, 0x800, v0
	s_mov_b32 s8, exec_lo
	s_delay_alu instid0(VALU_DEP_1)
	v_cmpx_gt_u32_e64 s17, v5
	s_cbranch_execz .LBB2722_49
; %bb.48:
	global_load_u8 v5, v0, s[2:3] offset:2048
	v_and_b32_e32 v6, 0xffffff00, v2
	s_wait_loadcnt 0x0
	v_xor_b32_e32 v5, 1, v5
	s_delay_alu instid0(VALU_DEP_1) | instskip(NEXT) | instid1(VALU_DEP_1)
	v_or_b32_e32 v5, v5, v6
	v_and_b32_e32 v5, 0xffff, v5
	s_delay_alu instid0(VALU_DEP_1)
	v_and_or_b32 v2, 0xffff0000, v2, v5
.LBB2722_49:
	s_wait_alu 0xfffe
	s_or_b32 exec_lo, exec_lo, s8
	v_or_b32_e32 v5, 0x900, v0
	s_mov_b32 s8, exec_lo
	s_delay_alu instid0(VALU_DEP_1)
	v_cmpx_gt_u32_e64 s17, v5
	s_cbranch_execz .LBB2722_51
; %bb.50:
	global_load_u8 v5, v0, s[2:3] offset:2304
	v_and_b32_e32 v6, 0xff, v2
	s_wait_loadcnt 0x0
	v_xor_b32_e32 v5, 1, v5
	s_delay_alu instid0(VALU_DEP_1) | instskip(NEXT) | instid1(VALU_DEP_1)
	v_lshlrev_b16 v5, 8, v5
	v_or_b32_e32 v5, v6, v5
	s_delay_alu instid0(VALU_DEP_1) | instskip(NEXT) | instid1(VALU_DEP_1)
	v_and_b32_e32 v5, 0xffff, v5
	v_and_or_b32 v2, 0xffff0000, v2, v5
.LBB2722_51:
	s_wait_alu 0xfffe
	s_or_b32 exec_lo, exec_lo, s8
	v_or_b32_e32 v5, 0xa00, v0
	s_mov_b32 s8, exec_lo
	s_delay_alu instid0(VALU_DEP_1)
	v_cmpx_gt_u32_e64 s17, v5
	s_cbranch_execz .LBB2722_53
; %bb.52:
	global_load_u8 v5, v0, s[2:3] offset:2560
	v_lshrrev_b32_e32 v6, 16, v2
	s_delay_alu instid0(VALU_DEP_1) | instskip(SKIP_2) | instid1(VALU_DEP_1)
	v_and_b32_e32 v6, 0xffffff00, v6
	s_wait_loadcnt 0x0
	v_xor_b32_e32 v5, 1, v5
	v_or_b32_e32 v5, v5, v6
	s_delay_alu instid0(VALU_DEP_1) | instskip(NEXT) | instid1(VALU_DEP_1)
	v_lshlrev_b32_e32 v5, 16, v5
	v_and_or_b32 v2, 0xffff, v2, v5
.LBB2722_53:
	s_wait_alu 0xfffe
	s_or_b32 exec_lo, exec_lo, s8
	v_or_b32_e32 v5, 0xb00, v0
	s_mov_b32 s8, exec_lo
	s_delay_alu instid0(VALU_DEP_1)
	v_cmpx_gt_u32_e64 s17, v5
	s_cbranch_execz .LBB2722_55
; %bb.54:
	global_load_u8 v5, v0, s[2:3] offset:2816
	v_lshrrev_b32_e32 v6, 16, v2
	s_delay_alu instid0(VALU_DEP_1) | instskip(SKIP_2) | instid1(VALU_DEP_1)
	v_and_b32_e32 v6, 0xff, v6
	s_wait_loadcnt 0x0
	v_xor_b32_e32 v5, 1, v5
	v_lshlrev_b16 v5, 8, v5
	s_delay_alu instid0(VALU_DEP_1) | instskip(NEXT) | instid1(VALU_DEP_1)
	v_or_b32_e32 v5, v6, v5
	v_lshlrev_b32_e32 v5, 16, v5
	s_delay_alu instid0(VALU_DEP_1)
	v_and_or_b32 v2, 0xffff, v2, v5
.LBB2722_55:
	s_wait_alu 0xfffe
	s_or_b32 exec_lo, exec_lo, s8
	v_lshrrev_b32_e32 v5, 8, v3
	v_lshrrev_b32_e32 v6, 24, v3
	v_lshrrev_b32_e32 v7, 8, v1
	v_lshrrev_b32_e32 v8, 24, v1
	v_lshrrev_b32_e32 v9, 8, v2
	v_lshrrev_b32_e32 v10, 24, v2
	ds_store_b8 v0, v4
	ds_store_b8 v0, v5 offset:256
	ds_store_b8_d16_hi v0, v3 offset:512
	ds_store_b8 v0, v6 offset:768
	ds_store_b8 v0, v1 offset:1024
	;; [unrolled: 1-line block ×3, first 2 shown]
	ds_store_b8_d16_hi v0, v1 offset:1536
	ds_store_b8 v0, v8 offset:1792
	ds_store_b8 v0, v2 offset:2048
	;; [unrolled: 1-line block ×3, first 2 shown]
	ds_store_b8_d16_hi v0, v2 offset:2560
	ds_store_b8 v0, v10 offset:2816
	s_wait_loadcnt_dscnt 0x0
	s_barrier_signal -1
	s_barrier_wait -1
.LBB2722_56:
	s_wait_loadcnt 0x0
	global_inv scope:SCOPE_SE
	ds_load_2addr_b32 v[43:44], v47 offset1:1
	ds_load_b32 v48, v47 offset:8
	s_load_b64 s[8:9], s[0:1], 0x70
	v_mbcnt_lo_u32_b32 v61, -1, 0
	s_cmp_lg_u32 ttmp9, 0
	s_mov_b32 s1, -1
	s_wait_loadcnt_dscnt 0x0
	s_barrier_signal -1
	v_and_b32_e32 v62, 15, v61
	s_barrier_wait -1
	global_inv scope:SCOPE_SE
	v_dual_mov_b32 v2, 0 :: v_dual_and_b32 v53, 0xff, v43
	v_bfe_u32 v54, v43, 8, 8
	v_bfe_u32 v52, v43, 16, 8
	v_lshrrev_b32_e32 v51, 24, v43
	v_and_b32_e32 v56, 0xff, v44
	v_bfe_u32 v57, v44, 8, 8
	v_bfe_u32 v58, v44, 16, 8
	v_add3_u32 v1, v54, v53, v52
	v_lshrrev_b32_e32 v50, 24, v44
	v_and_b32_e32 v59, 0xff, v48
	v_bfe_u32 v60, v48, 8, 8
	v_bfe_u32 v55, v48, 16, 8
	v_add_co_u32 v1, s0, v1, v51
	s_delay_alu instid0(VALU_DEP_1) | instskip(SKIP_1) | instid1(VALU_DEP_3)
	v_add_co_ci_u32_e64 v3, null, 0, 0, s0
	v_lshrrev_b32_e32 v49, 24, v48
	v_add_co_u32 v1, vcc_lo, v1, v56
	s_delay_alu instid0(VALU_DEP_1) | instskip(SKIP_1) | instid1(VALU_DEP_3)
	v_add_co_ci_u32_e64 v3, null, 0, v3, vcc_lo
	v_cmp_ne_u32_e64 s0, 0, v62
	v_add_co_u32 v1, vcc_lo, v1, v57
	s_wait_alu 0xfffd
	s_delay_alu instid0(VALU_DEP_3) | instskip(NEXT) | instid1(VALU_DEP_2)
	v_add_co_ci_u32_e64 v3, null, 0, v3, vcc_lo
	v_add_co_u32 v1, vcc_lo, v1, v58
	s_wait_alu 0xfffd
	s_delay_alu instid0(VALU_DEP_2) | instskip(NEXT) | instid1(VALU_DEP_2)
	v_add_co_ci_u32_e64 v3, null, 0, v3, vcc_lo
	v_add_co_u32 v1, vcc_lo, v1, v50
	s_wait_alu 0xfffd
	s_delay_alu instid0(VALU_DEP_2) | instskip(NEXT) | instid1(VALU_DEP_2)
	;; [unrolled: 4-line block ×5, first 2 shown]
	v_add_co_ci_u32_e64 v3, null, 0, v3, vcc_lo
	v_add_co_u32 v45, vcc_lo, v1, v49
	s_wait_alu 0xfffd
	s_delay_alu instid0(VALU_DEP_2)
	v_add_co_ci_u32_e64 v46, null, 0, v3, vcc_lo
	s_cbranch_scc0 .LBB2722_113
; %bb.57:
	v_mov_b32_e32 v3, v45
	v_mov_b32_dpp v1, v45 row_shr:1 row_mask:0xf bank_mask:0xf
	v_mov_b32_dpp v6, v2 row_shr:1 row_mask:0xf bank_mask:0xf
	v_dual_mov_b32 v5, v45 :: v_dual_mov_b32 v4, v46
	s_and_saveexec_b32 s1, s0
; %bb.58:
	s_delay_alu instid0(VALU_DEP_3) | instskip(SKIP_2) | instid1(VALU_DEP_2)
	v_add_co_u32 v5, vcc_lo, v45, v1
	s_wait_alu 0xfffd
	v_add_co_ci_u32_e64 v2, null, 0, v46, vcc_lo
	v_add_co_u32 v1, vcc_lo, 0, v5
	s_wait_alu 0xfffd
	s_delay_alu instid0(VALU_DEP_2) | instskip(NEXT) | instid1(VALU_DEP_1)
	v_add_co_ci_u32_e64 v2, null, v6, v2, vcc_lo
	v_dual_mov_b32 v4, v2 :: v_dual_mov_b32 v3, v1
; %bb.59:
	s_wait_alu 0xfffe
	s_or_b32 exec_lo, exec_lo, s1
	v_mov_b32_dpp v1, v5 row_shr:2 row_mask:0xf bank_mask:0xf
	v_mov_b32_dpp v6, v2 row_shr:2 row_mask:0xf bank_mask:0xf
	s_mov_b32 s1, exec_lo
	v_cmpx_lt_u32_e32 1, v62
; %bb.60:
	s_delay_alu instid0(VALU_DEP_3) | instskip(SKIP_2) | instid1(VALU_DEP_2)
	v_add_co_u32 v5, vcc_lo, v3, v1
	s_wait_alu 0xfffd
	v_add_co_ci_u32_e64 v2, null, 0, v4, vcc_lo
	v_add_co_u32 v1, vcc_lo, 0, v5
	s_wait_alu 0xfffd
	s_delay_alu instid0(VALU_DEP_2) | instskip(NEXT) | instid1(VALU_DEP_1)
	v_add_co_ci_u32_e64 v2, null, v6, v2, vcc_lo
	v_dual_mov_b32 v4, v2 :: v_dual_mov_b32 v3, v1
; %bb.61:
	s_wait_alu 0xfffe
	s_or_b32 exec_lo, exec_lo, s1
	v_mov_b32_dpp v1, v5 row_shr:4 row_mask:0xf bank_mask:0xf
	v_mov_b32_dpp v6, v2 row_shr:4 row_mask:0xf bank_mask:0xf
	s_mov_b32 s1, exec_lo
	v_cmpx_lt_u32_e32 3, v62
; %bb.62:
	s_delay_alu instid0(VALU_DEP_3) | instskip(SKIP_2) | instid1(VALU_DEP_2)
	v_add_co_u32 v5, vcc_lo, v3, v1
	s_wait_alu 0xfffd
	v_add_co_ci_u32_e64 v2, null, 0, v4, vcc_lo
	v_add_co_u32 v1, vcc_lo, 0, v5
	s_wait_alu 0xfffd
	s_delay_alu instid0(VALU_DEP_2) | instskip(NEXT) | instid1(VALU_DEP_1)
	v_add_co_ci_u32_e64 v2, null, v6, v2, vcc_lo
	v_dual_mov_b32 v4, v2 :: v_dual_mov_b32 v3, v1
; %bb.63:
	s_wait_alu 0xfffe
	s_or_b32 exec_lo, exec_lo, s1
	v_mov_b32_dpp v6, v5 row_shr:8 row_mask:0xf bank_mask:0xf
	v_mov_b32_dpp v1, v2 row_shr:8 row_mask:0xf bank_mask:0xf
	s_mov_b32 s1, exec_lo
	v_cmpx_lt_u32_e32 7, v62
; %bb.64:
	s_delay_alu instid0(VALU_DEP_3) | instskip(SKIP_2) | instid1(VALU_DEP_2)
	v_add_co_u32 v5, vcc_lo, v3, v6
	s_wait_alu 0xfffd
	v_add_co_ci_u32_e64 v2, null, 0, v4, vcc_lo
	v_add_co_u32 v3, vcc_lo, 0, v5
	s_wait_alu 0xfffd
	s_delay_alu instid0(VALU_DEP_2) | instskip(NEXT) | instid1(VALU_DEP_1)
	v_add_co_ci_u32_e64 v4, null, v1, v2, vcc_lo
	v_mov_b32_e32 v2, v4
; %bb.65:
	s_wait_alu 0xfffe
	s_or_b32 exec_lo, exec_lo, s1
	ds_swizzle_b32 v6, v5 offset:swizzle(BROADCAST,32,15)
	ds_swizzle_b32 v1, v2 offset:swizzle(BROADCAST,32,15)
	v_and_b32_e32 v2, 16, v61
	s_mov_b32 s1, exec_lo
	s_delay_alu instid0(VALU_DEP_1)
	v_cmpx_ne_u32_e32 0, v2
	s_cbranch_execz .LBB2722_67
; %bb.66:
	s_wait_dscnt 0x1
	v_add_co_u32 v5, vcc_lo, v3, v6
	s_wait_alu 0xfffd
	v_add_co_ci_u32_e64 v2, null, 0, v4, vcc_lo
	s_delay_alu instid0(VALU_DEP_2) | instskip(SKIP_2) | instid1(VALU_DEP_2)
	v_add_co_u32 v3, vcc_lo, 0, v5
	s_wait_dscnt 0x0
	s_wait_alu 0xfffd
	v_add_co_ci_u32_e64 v4, null, v1, v2, vcc_lo
.LBB2722_67:
	s_wait_alu 0xfffe
	s_or_b32 exec_lo, exec_lo, s1
	s_wait_dscnt 0x0
	v_or_b32_e32 v1, 31, v0
	v_lshrrev_b32_e32 v6, 5, v0
	s_mov_b32 s1, exec_lo
	s_delay_alu instid0(VALU_DEP_2)
	v_cmpx_eq_u32_e64 v0, v1
; %bb.68:
	s_delay_alu instid0(VALU_DEP_2)
	v_lshlrev_b32_e32 v1, 3, v6
	ds_store_b64 v1, v[3:4]
; %bb.69:
	s_wait_alu 0xfffe
	s_or_b32 exec_lo, exec_lo, s1
	s_delay_alu instid0(SALU_CYCLE_1)
	s_mov_b32 s1, exec_lo
	s_wait_loadcnt_dscnt 0x0
	s_barrier_signal -1
	s_barrier_wait -1
	global_inv scope:SCOPE_SE
	v_cmpx_gt_u32_e32 8, v0
	s_cbranch_execz .LBB2722_77
; %bb.70:
	v_lshlrev_b32_e32 v3, 3, v0
	s_mov_b32 s2, exec_lo
	ds_load_b64 v[1:2], v3
	s_wait_dscnt 0x0
	v_dual_mov_b32 v7, v1 :: v_dual_and_b32 v4, 7, v61
	v_mov_b32_dpp v9, v1 row_shr:1 row_mask:0xf bank_mask:0xf
	v_mov_b32_dpp v8, v2 row_shr:1 row_mask:0xf bank_mask:0xf
	s_delay_alu instid0(VALU_DEP_3)
	v_cmpx_ne_u32_e32 0, v4
; %bb.71:
	s_delay_alu instid0(VALU_DEP_3) | instskip(SKIP_2) | instid1(VALU_DEP_2)
	v_add_co_u32 v7, vcc_lo, v1, v9
	s_wait_alu 0xfffd
	v_add_co_ci_u32_e64 v2, null, 0, v2, vcc_lo
	v_add_co_u32 v1, vcc_lo, 0, v7
	s_wait_alu 0xfffd
	s_delay_alu instid0(VALU_DEP_2)
	v_add_co_ci_u32_e64 v2, null, v8, v2, vcc_lo
; %bb.72:
	s_wait_alu 0xfffe
	s_or_b32 exec_lo, exec_lo, s2
	v_mov_b32_dpp v9, v7 row_shr:2 row_mask:0xf bank_mask:0xf
	s_delay_alu instid0(VALU_DEP_2)
	v_mov_b32_dpp v8, v2 row_shr:2 row_mask:0xf bank_mask:0xf
	s_mov_b32 s2, exec_lo
	v_cmpx_lt_u32_e32 1, v4
; %bb.73:
	s_delay_alu instid0(VALU_DEP_3) | instskip(SKIP_2) | instid1(VALU_DEP_2)
	v_add_co_u32 v7, vcc_lo, v1, v9
	s_wait_alu 0xfffd
	v_add_co_ci_u32_e64 v2, null, 0, v2, vcc_lo
	v_add_co_u32 v1, vcc_lo, 0, v7
	s_wait_alu 0xfffd
	s_delay_alu instid0(VALU_DEP_2)
	v_add_co_ci_u32_e64 v2, null, v8, v2, vcc_lo
; %bb.74:
	s_wait_alu 0xfffe
	s_or_b32 exec_lo, exec_lo, s2
	v_mov_b32_dpp v8, v7 row_shr:4 row_mask:0xf bank_mask:0xf
	s_delay_alu instid0(VALU_DEP_2)
	v_mov_b32_dpp v7, v2 row_shr:4 row_mask:0xf bank_mask:0xf
	s_mov_b32 s2, exec_lo
	v_cmpx_lt_u32_e32 3, v4
; %bb.75:
	s_delay_alu instid0(VALU_DEP_3) | instskip(SKIP_2) | instid1(VALU_DEP_2)
	v_add_co_u32 v1, vcc_lo, v1, v8
	s_wait_alu 0xfffd
	v_add_co_ci_u32_e64 v2, null, 0, v2, vcc_lo
	v_add_co_u32 v1, vcc_lo, v1, 0
	s_wait_alu 0xfffd
	s_delay_alu instid0(VALU_DEP_2)
	v_add_co_ci_u32_e64 v2, null, v2, v7, vcc_lo
; %bb.76:
	s_wait_alu 0xfffe
	s_or_b32 exec_lo, exec_lo, s2
	ds_store_b64 v3, v[1:2]
.LBB2722_77:
	s_wait_alu 0xfffe
	s_or_b32 exec_lo, exec_lo, s1
	s_delay_alu instid0(SALU_CYCLE_1)
	s_mov_b32 s2, exec_lo
	v_cmp_gt_u32_e32 vcc_lo, 32, v0
	s_wait_loadcnt_dscnt 0x0
	s_barrier_signal -1
	s_barrier_wait -1
	global_inv scope:SCOPE_SE
                                        ; implicit-def: $vgpr9_vgpr10
	v_cmpx_lt_u32_e32 31, v0
	s_cbranch_execz .LBB2722_79
; %bb.78:
	v_lshl_add_u32 v1, v6, 3, -8
	ds_load_b64 v[9:10], v1
	s_wait_dscnt 0x0
	v_add_nc_u32_e32 v5, v5, v9
.LBB2722_79:
	s_wait_alu 0xfffe
	s_or_b32 exec_lo, exec_lo, s2
	v_sub_co_u32 v1, s1, v61, 1
	s_delay_alu instid0(VALU_DEP_1) | instskip(SKIP_1) | instid1(VALU_DEP_1)
	v_cmp_gt_i32_e64 s2, 0, v1
	s_wait_alu 0xf1ff
	v_cndmask_b32_e64 v1, v1, v61, s2
	s_delay_alu instid0(VALU_DEP_1)
	v_lshlrev_b32_e32 v1, 2, v1
	ds_bpermute_b32 v15, v1, v5
	s_and_saveexec_b32 s2, vcc_lo
	s_cbranch_execz .LBB2722_118
; %bb.80:
	v_mov_b32_e32 v4, 0
	ds_load_b64 v[1:2], v4 offset:56
	s_and_saveexec_b32 s3, s1
	s_cbranch_execz .LBB2722_82
; %bb.81:
	s_add_co_i32 s10, ttmp9, 32
	s_mov_b32 s11, 0
	s_delay_alu instid0(SALU_CYCLE_1)
	s_lshl_b64 s[10:11], s[10:11], 4
	s_wait_kmcnt 0x0
	s_add_nc_u64 s[10:11], s[8:9], s[10:11]
	v_mov_b32_e32 v3, 1
	v_dual_mov_b32 v5, s10 :: v_dual_mov_b32 v6, s11
	s_wait_dscnt 0x0
	;;#ASMSTART
	global_store_b128 v[5:6], v[1:4] off scope:SCOPE_DEV	
s_wait_storecnt 0x0
	;;#ASMEND
.LBB2722_82:
	s_wait_alu 0xfffe
	s_or_b32 exec_lo, exec_lo, s3
	v_xad_u32 v11, v61, -1, ttmp9
	s_mov_b32 s10, 0
	s_mov_b32 s3, exec_lo
	s_delay_alu instid0(VALU_DEP_1) | instskip(NEXT) | instid1(VALU_DEP_1)
	v_add_nc_u32_e32 v3, 32, v11
	v_lshlrev_b64_e32 v[3:4], 4, v[3:4]
	s_wait_kmcnt 0x0
	s_delay_alu instid0(VALU_DEP_1) | instskip(SKIP_1) | instid1(VALU_DEP_2)
	v_add_co_u32 v3, vcc_lo, s8, v3
	s_wait_alu 0xfffd
	v_add_co_ci_u32_e64 v4, null, s9, v4, vcc_lo
	;;#ASMSTART
	global_load_b128 v[5:8], v[3:4] off scope:SCOPE_DEV	
s_wait_loadcnt 0x0
	;;#ASMEND
	v_and_b32_e32 v8, 0xff, v7
	s_delay_alu instid0(VALU_DEP_1)
	v_cmpx_eq_u16_e32 0, v8
	s_cbranch_execz .LBB2722_85
.LBB2722_83:                            ; =>This Inner Loop Header: Depth=1
	;;#ASMSTART
	global_load_b128 v[5:8], v[3:4] off scope:SCOPE_DEV	
s_wait_loadcnt 0x0
	;;#ASMEND
	v_and_b32_e32 v8, 0xff, v7
	s_delay_alu instid0(VALU_DEP_1)
	v_cmp_ne_u16_e32 vcc_lo, 0, v8
	s_wait_alu 0xfffe
	s_or_b32 s10, vcc_lo, s10
	s_wait_alu 0xfffe
	s_and_not1_b32 exec_lo, exec_lo, s10
	s_cbranch_execnz .LBB2722_83
; %bb.84:
	s_or_b32 exec_lo, exec_lo, s10
.LBB2722_85:
	s_wait_alu 0xfffe
	s_or_b32 exec_lo, exec_lo, s3
	v_cmp_ne_u32_e32 vcc_lo, 31, v61
	v_and_b32_e32 v4, 0xff, v7
	v_lshlrev_b32_e64 v17, v61, -1
	s_mov_b32 s3, exec_lo
	s_wait_alu 0xfffd
	v_add_co_ci_u32_e64 v3, null, 0, v61, vcc_lo
	v_cmp_eq_u16_e32 vcc_lo, 2, v4
	v_mov_b32_e32 v4, v5
	s_delay_alu instid0(VALU_DEP_3)
	v_lshlrev_b32_e32 v16, 2, v3
	s_wait_alu 0xfffd
	v_and_or_b32 v3, vcc_lo, v17, 0x80000000
	ds_bpermute_b32 v12, v16, v5
	ds_bpermute_b32 v8, v16, v6
	v_ctz_i32_b32_e32 v3, v3
	s_delay_alu instid0(VALU_DEP_1)
	v_cmpx_lt_u32_e64 v61, v3
	s_cbranch_execz .LBB2722_87
; %bb.86:
	s_wait_dscnt 0x1
	v_add_co_u32 v4, vcc_lo, v5, v12
	s_wait_alu 0xfffd
	v_add_co_ci_u32_e64 v6, null, 0, v6, vcc_lo
	s_delay_alu instid0(VALU_DEP_2) | instskip(SKIP_2) | instid1(VALU_DEP_2)
	v_add_co_u32 v5, vcc_lo, 0, v4
	s_wait_dscnt 0x0
	s_wait_alu 0xfffd
	v_add_co_ci_u32_e64 v6, null, v8, v6, vcc_lo
.LBB2722_87:
	s_wait_alu 0xfffe
	s_or_b32 exec_lo, exec_lo, s3
	v_cmp_gt_u32_e32 vcc_lo, 30, v61
	v_add_nc_u32_e32 v19, 2, v61
	s_mov_b32 s3, exec_lo
	s_wait_dscnt 0x0
	s_wait_alu 0xfffd
	v_cndmask_b32_e64 v8, 0, 2, vcc_lo
	s_delay_alu instid0(VALU_DEP_1)
	v_add_lshl_u32 v18, v8, v61, 2
	ds_bpermute_b32 v12, v18, v4
	ds_bpermute_b32 v8, v18, v6
	v_cmpx_le_u32_e64 v19, v3
	s_cbranch_execz .LBB2722_89
; %bb.88:
	s_wait_dscnt 0x1
	v_add_co_u32 v4, vcc_lo, v5, v12
	s_wait_alu 0xfffd
	v_add_co_ci_u32_e64 v6, null, 0, v6, vcc_lo
	s_delay_alu instid0(VALU_DEP_2) | instskip(SKIP_2) | instid1(VALU_DEP_2)
	v_add_co_u32 v5, vcc_lo, 0, v4
	s_wait_dscnt 0x0
	s_wait_alu 0xfffd
	v_add_co_ci_u32_e64 v6, null, v8, v6, vcc_lo
.LBB2722_89:
	s_wait_alu 0xfffe
	s_or_b32 exec_lo, exec_lo, s3
	v_cmp_gt_u32_e32 vcc_lo, 28, v61
	v_add_nc_u32_e32 v21, 4, v61
	s_mov_b32 s3, exec_lo
	s_wait_dscnt 0x0
	s_wait_alu 0xfffd
	v_cndmask_b32_e64 v8, 0, 4, vcc_lo
	s_delay_alu instid0(VALU_DEP_1)
	v_add_lshl_u32 v20, v8, v61, 2
	ds_bpermute_b32 v12, v20, v4
	ds_bpermute_b32 v8, v20, v6
	v_cmpx_le_u32_e64 v21, v3
	;; [unrolled: 25-line block ×3, first 2 shown]
	s_cbranch_execz .LBB2722_93
; %bb.92:
	s_wait_dscnt 0x1
	v_add_co_u32 v4, vcc_lo, v5, v12
	s_wait_alu 0xfffd
	v_add_co_ci_u32_e64 v6, null, 0, v6, vcc_lo
	s_delay_alu instid0(VALU_DEP_2) | instskip(SKIP_2) | instid1(VALU_DEP_2)
	v_add_co_u32 v5, vcc_lo, 0, v4
	s_wait_dscnt 0x0
	s_wait_alu 0xfffd
	v_add_co_ci_u32_e64 v6, null, v8, v6, vcc_lo
.LBB2722_93:
	s_wait_alu 0xfffe
	s_or_b32 exec_lo, exec_lo, s3
	v_lshl_or_b32 v24, v61, 2, 64
	v_add_nc_u32_e32 v25, 16, v61
	s_mov_b32 s3, exec_lo
	s_wait_dscnt 0x0
	ds_bpermute_b32 v8, v24, v4
	ds_bpermute_b32 v4, v24, v6
	v_cmpx_le_u32_e64 v25, v3
	s_cbranch_execz .LBB2722_95
; %bb.94:
	s_wait_dscnt 0x1
	v_add_co_u32 v3, vcc_lo, v5, v8
	s_wait_alu 0xfffd
	v_add_co_ci_u32_e64 v6, null, 0, v6, vcc_lo
	s_delay_alu instid0(VALU_DEP_2) | instskip(SKIP_2) | instid1(VALU_DEP_2)
	v_add_co_u32 v5, vcc_lo, v3, 0
	s_wait_dscnt 0x0
	s_wait_alu 0xfffd
	v_add_co_ci_u32_e64 v6, null, v6, v4, vcc_lo
.LBB2722_95:
	s_wait_alu 0xfffe
	s_or_b32 exec_lo, exec_lo, s3
	v_mov_b32_e32 v12, 0
	s_branch .LBB2722_98
.LBB2722_96:                            ;   in Loop: Header=BB2722_98 Depth=1
	s_wait_alu 0xfffe
	s_or_b32 exec_lo, exec_lo, s3
	v_add_co_u32 v5, vcc_lo, v5, v3
	v_subrev_nc_u32_e32 v11, 32, v11
	s_wait_alu 0xfffd
	v_add_co_ci_u32_e64 v6, null, v6, v4, vcc_lo
	s_mov_b32 s3, 0
.LBB2722_97:                            ;   in Loop: Header=BB2722_98 Depth=1
	s_wait_alu 0xfffe
	s_and_b32 vcc_lo, exec_lo, s3
	s_wait_alu 0xfffe
	s_cbranch_vccnz .LBB2722_114
.LBB2722_98:                            ; =>This Loop Header: Depth=1
                                        ;     Child Loop BB2722_101 Depth 2
	v_and_b32_e32 v3, 0xff, v7
	s_mov_b32 s3, -1
	s_delay_alu instid0(VALU_DEP_1)
	v_cmp_ne_u16_e32 vcc_lo, 2, v3
	s_wait_dscnt 0x0
	v_dual_mov_b32 v3, v5 :: v_dual_mov_b32 v4, v6
                                        ; implicit-def: $vgpr5_vgpr6
	s_cmp_lg_u32 vcc_lo, exec_lo
	s_cbranch_scc1 .LBB2722_97
; %bb.99:                               ;   in Loop: Header=BB2722_98 Depth=1
	v_lshlrev_b64_e32 v[5:6], 4, v[11:12]
	s_mov_b32 s3, exec_lo
	s_delay_alu instid0(VALU_DEP_1) | instskip(SKIP_1) | instid1(VALU_DEP_2)
	v_add_co_u32 v13, vcc_lo, s8, v5
	s_wait_alu 0xfffd
	v_add_co_ci_u32_e64 v14, null, s9, v6, vcc_lo
	;;#ASMSTART
	global_load_b128 v[5:8], v[13:14] off scope:SCOPE_DEV	
s_wait_loadcnt 0x0
	;;#ASMEND
	v_and_b32_e32 v8, 0xff, v7
	s_delay_alu instid0(VALU_DEP_1)
	v_cmpx_eq_u16_e32 0, v8
	s_cbranch_execz .LBB2722_103
; %bb.100:                              ;   in Loop: Header=BB2722_98 Depth=1
	s_mov_b32 s10, 0
.LBB2722_101:                           ;   Parent Loop BB2722_98 Depth=1
                                        ; =>  This Inner Loop Header: Depth=2
	;;#ASMSTART
	global_load_b128 v[5:8], v[13:14] off scope:SCOPE_DEV	
s_wait_loadcnt 0x0
	;;#ASMEND
	v_and_b32_e32 v8, 0xff, v7
	s_delay_alu instid0(VALU_DEP_1)
	v_cmp_ne_u16_e32 vcc_lo, 0, v8
	s_wait_alu 0xfffe
	s_or_b32 s10, vcc_lo, s10
	s_wait_alu 0xfffe
	s_and_not1_b32 exec_lo, exec_lo, s10
	s_cbranch_execnz .LBB2722_101
; %bb.102:                              ;   in Loop: Header=BB2722_98 Depth=1
	s_or_b32 exec_lo, exec_lo, s10
.LBB2722_103:                           ;   in Loop: Header=BB2722_98 Depth=1
	s_wait_alu 0xfffe
	s_or_b32 exec_lo, exec_lo, s3
	v_dual_mov_b32 v13, v5 :: v_dual_and_b32 v8, 0xff, v7
	ds_bpermute_b32 v26, v16, v5
	ds_bpermute_b32 v14, v16, v6
	s_mov_b32 s3, exec_lo
	v_cmp_eq_u16_e32 vcc_lo, 2, v8
	s_wait_alu 0xfffd
	v_and_or_b32 v8, vcc_lo, v17, 0x80000000
	s_delay_alu instid0(VALU_DEP_1) | instskip(NEXT) | instid1(VALU_DEP_1)
	v_ctz_i32_b32_e32 v8, v8
	v_cmpx_lt_u32_e64 v61, v8
	s_cbranch_execz .LBB2722_105
; %bb.104:                              ;   in Loop: Header=BB2722_98 Depth=1
	s_wait_dscnt 0x1
	v_add_co_u32 v13, vcc_lo, v5, v26
	s_wait_alu 0xfffd
	v_add_co_ci_u32_e64 v6, null, 0, v6, vcc_lo
	s_delay_alu instid0(VALU_DEP_2) | instskip(SKIP_2) | instid1(VALU_DEP_2)
	v_add_co_u32 v5, vcc_lo, 0, v13
	s_wait_dscnt 0x0
	s_wait_alu 0xfffd
	v_add_co_ci_u32_e64 v6, null, v14, v6, vcc_lo
.LBB2722_105:                           ;   in Loop: Header=BB2722_98 Depth=1
	s_wait_alu 0xfffe
	s_or_b32 exec_lo, exec_lo, s3
	s_wait_dscnt 0x1
	ds_bpermute_b32 v26, v18, v13
	s_wait_dscnt 0x1
	ds_bpermute_b32 v14, v18, v6
	s_mov_b32 s3, exec_lo
	v_cmpx_le_u32_e64 v19, v8
	s_cbranch_execz .LBB2722_107
; %bb.106:                              ;   in Loop: Header=BB2722_98 Depth=1
	s_wait_dscnt 0x1
	v_add_co_u32 v13, vcc_lo, v5, v26
	s_wait_alu 0xfffd
	v_add_co_ci_u32_e64 v6, null, 0, v6, vcc_lo
	s_delay_alu instid0(VALU_DEP_2) | instskip(SKIP_2) | instid1(VALU_DEP_2)
	v_add_co_u32 v5, vcc_lo, 0, v13
	s_wait_dscnt 0x0
	s_wait_alu 0xfffd
	v_add_co_ci_u32_e64 v6, null, v14, v6, vcc_lo
.LBB2722_107:                           ;   in Loop: Header=BB2722_98 Depth=1
	s_wait_alu 0xfffe
	s_or_b32 exec_lo, exec_lo, s3
	s_wait_dscnt 0x1
	ds_bpermute_b32 v26, v20, v13
	s_wait_dscnt 0x1
	ds_bpermute_b32 v14, v20, v6
	s_mov_b32 s3, exec_lo
	v_cmpx_le_u32_e64 v21, v8
	;; [unrolled: 20-line block ×3, first 2 shown]
	s_cbranch_execz .LBB2722_111
; %bb.110:                              ;   in Loop: Header=BB2722_98 Depth=1
	s_wait_dscnt 0x1
	v_add_co_u32 v13, vcc_lo, v5, v26
	s_wait_alu 0xfffd
	v_add_co_ci_u32_e64 v6, null, 0, v6, vcc_lo
	s_delay_alu instid0(VALU_DEP_2) | instskip(SKIP_2) | instid1(VALU_DEP_2)
	v_add_co_u32 v5, vcc_lo, 0, v13
	s_wait_dscnt 0x0
	s_wait_alu 0xfffd
	v_add_co_ci_u32_e64 v6, null, v14, v6, vcc_lo
.LBB2722_111:                           ;   in Loop: Header=BB2722_98 Depth=1
	s_wait_alu 0xfffe
	s_or_b32 exec_lo, exec_lo, s3
	s_wait_dscnt 0x0
	ds_bpermute_b32 v14, v24, v13
	ds_bpermute_b32 v13, v24, v6
	s_mov_b32 s3, exec_lo
	v_cmpx_le_u32_e64 v25, v8
	s_cbranch_execz .LBB2722_96
; %bb.112:                              ;   in Loop: Header=BB2722_98 Depth=1
	s_wait_dscnt 0x1
	v_add_co_u32 v5, vcc_lo, v5, v14
	s_wait_alu 0xfffd
	v_add_co_ci_u32_e64 v6, null, 0, v6, vcc_lo
	s_delay_alu instid0(VALU_DEP_2) | instskip(SKIP_2) | instid1(VALU_DEP_2)
	v_add_co_u32 v5, vcc_lo, v5, 0
	s_wait_dscnt 0x0
	s_wait_alu 0xfffd
	v_add_co_ci_u32_e64 v6, null, v6, v13, vcc_lo
	s_branch .LBB2722_96
.LBB2722_113:
                                        ; implicit-def: $vgpr39_vgpr40
                                        ; implicit-def: $vgpr1_vgpr2_vgpr3_vgpr4_vgpr5_vgpr6_vgpr7_vgpr8_vgpr9_vgpr10_vgpr11_vgpr12_vgpr13_vgpr14_vgpr15_vgpr16_vgpr17_vgpr18_vgpr19_vgpr20_vgpr21_vgpr22_vgpr23_vgpr24_vgpr25_vgpr26_vgpr27_vgpr28_vgpr29_vgpr30_vgpr31_vgpr32
	s_and_b32 vcc_lo, exec_lo, s1
	s_wait_alu 0xfffe
	s_cbranch_vccnz .LBB2722_119
	s_branch .LBB2722_144
.LBB2722_114:
	s_and_saveexec_b32 s3, s1
	s_cbranch_execz .LBB2722_116
; %bb.115:
	s_add_co_i32 s10, ttmp9, 32
	s_mov_b32 s11, 0
	v_add_co_u32 v5, vcc_lo, v3, v1
	s_wait_alu 0xfffe
	s_lshl_b64 s[10:11], s[10:11], 4
	v_dual_mov_b32 v7, 2 :: v_dual_mov_b32 v8, 0
	s_wait_alu 0xfffe
	s_add_nc_u64 s[10:11], s[8:9], s[10:11]
	s_wait_alu 0xfffd
	v_add_co_ci_u32_e64 v6, null, v4, v2, vcc_lo
	s_wait_alu 0xfffe
	v_dual_mov_b32 v12, s11 :: v_dual_mov_b32 v11, s10
	;;#ASMSTART
	global_store_b128 v[11:12], v[5:8] off scope:SCOPE_DEV	
s_wait_storecnt 0x0
	;;#ASMEND
	ds_store_b128 v8, v[1:4] offset:6144
.LBB2722_116:
	s_wait_alu 0xfffe
	s_or_b32 exec_lo, exec_lo, s3
	v_cmp_eq_u32_e32 vcc_lo, 0, v0
	s_and_b32 exec_lo, exec_lo, vcc_lo
; %bb.117:
	v_mov_b32_e32 v1, 0
	ds_store_b64 v1, v[3:4] offset:56
.LBB2722_118:
	s_wait_alu 0xfffe
	s_or_b32 exec_lo, exec_lo, s2
	v_cndmask_b32_e64 v5, 0, v10, s1
	v_cmp_ne_u32_e32 vcc_lo, 0, v0
	v_mov_b32_e32 v4, 0
	s_wait_loadcnt_dscnt 0x0
	s_barrier_signal -1
	s_barrier_wait -1
	global_inv scope:SCOPE_SE
	s_wait_alu 0xfffd
	v_cndmask_b32_e32 v5, 0, v5, vcc_lo
	ds_load_b64 v[1:2], v4 offset:56
	v_cndmask_b32_e64 v3, v15, v9, s1
	s_wait_loadcnt_dscnt 0x0
	s_barrier_signal -1
	s_barrier_wait -1
	global_inv scope:SCOPE_SE
	v_cndmask_b32_e32 v3, 0, v3, vcc_lo
	ds_load_b128 v[37:40], v4 offset:6144
	v_add_co_u32 v1, vcc_lo, v1, v3
	s_wait_alu 0xfffd
	v_add_co_ci_u32_e64 v2, null, v2, v5, vcc_lo
	s_delay_alu instid0(VALU_DEP_2) | instskip(SKIP_1) | instid1(VALU_DEP_2)
	v_add_co_u32 v3, vcc_lo, v1, v53
	s_wait_alu 0xfffd
	v_add_co_ci_u32_e64 v2, null, 0, v2, vcc_lo
	s_delay_alu instid0(VALU_DEP_2) | instskip(SKIP_1) | instid1(VALU_DEP_2)
	;; [unrolled: 4-line block ×11, first 2 shown]
	v_add_co_u32 v23, vcc_lo, v21, v55
	s_wait_alu 0xfffd
	v_add_co_ci_u32_e64 v2, null, 0, v2, vcc_lo
	s_branch .LBB2722_144
.LBB2722_119:
	v_dual_mov_b32 v2, 0 :: v_dual_mov_b32 v3, v45
	v_mov_b32_dpp v4, v45 row_shr:1 row_mask:0xf bank_mask:0xf
	s_delay_alu instid0(VALU_DEP_2)
	v_mov_b32_dpp v1, v2 row_shr:1 row_mask:0xf bank_mask:0xf
	s_and_saveexec_b32 s1, s0
; %bb.120:
	s_delay_alu instid0(VALU_DEP_2) | instskip(SKIP_2) | instid1(VALU_DEP_2)
	v_add_co_u32 v3, vcc_lo, v45, v4
	s_wait_alu 0xfffd
	v_add_co_ci_u32_e64 v2, null, 0, v46, vcc_lo
	v_add_co_u32 v45, vcc_lo, 0, v3
	s_wait_alu 0xfffd
	s_delay_alu instid0(VALU_DEP_2) | instskip(NEXT) | instid1(VALU_DEP_1)
	v_add_co_ci_u32_e64 v46, null, v1, v2, vcc_lo
	v_mov_b32_e32 v2, v46
; %bb.121:
	s_wait_alu 0xfffe
	s_or_b32 exec_lo, exec_lo, s1
	v_mov_b32_dpp v1, v3 row_shr:2 row_mask:0xf bank_mask:0xf
	s_delay_alu instid0(VALU_DEP_2)
	v_mov_b32_dpp v4, v2 row_shr:2 row_mask:0xf bank_mask:0xf
	s_mov_b32 s0, exec_lo
	v_cmpx_lt_u32_e32 1, v62
; %bb.122:
	s_delay_alu instid0(VALU_DEP_3) | instskip(SKIP_2) | instid1(VALU_DEP_2)
	v_add_co_u32 v3, vcc_lo, v45, v1
	s_wait_alu 0xfffd
	v_add_co_ci_u32_e64 v2, null, 0, v46, vcc_lo
	v_add_co_u32 v1, vcc_lo, 0, v3
	s_wait_alu 0xfffd
	s_delay_alu instid0(VALU_DEP_2) | instskip(NEXT) | instid1(VALU_DEP_1)
	v_add_co_ci_u32_e64 v2, null, v4, v2, vcc_lo
	v_dual_mov_b32 v46, v2 :: v_dual_mov_b32 v45, v1
; %bb.123:
	s_wait_alu 0xfffe
	s_or_b32 exec_lo, exec_lo, s0
	v_mov_b32_dpp v1, v3 row_shr:4 row_mask:0xf bank_mask:0xf
	v_mov_b32_dpp v4, v2 row_shr:4 row_mask:0xf bank_mask:0xf
	s_mov_b32 s0, exec_lo
	v_cmpx_lt_u32_e32 3, v62
; %bb.124:
	s_delay_alu instid0(VALU_DEP_3) | instskip(SKIP_2) | instid1(VALU_DEP_2)
	v_add_co_u32 v3, vcc_lo, v45, v1
	s_wait_alu 0xfffd
	v_add_co_ci_u32_e64 v2, null, 0, v46, vcc_lo
	v_add_co_u32 v1, vcc_lo, 0, v3
	s_wait_alu 0xfffd
	s_delay_alu instid0(VALU_DEP_2) | instskip(NEXT) | instid1(VALU_DEP_1)
	v_add_co_ci_u32_e64 v2, null, v4, v2, vcc_lo
	v_dual_mov_b32 v46, v2 :: v_dual_mov_b32 v45, v1
; %bb.125:
	s_wait_alu 0xfffe
	s_or_b32 exec_lo, exec_lo, s0
	v_mov_b32_dpp v4, v3 row_shr:8 row_mask:0xf bank_mask:0xf
	v_mov_b32_dpp v1, v2 row_shr:8 row_mask:0xf bank_mask:0xf
	s_mov_b32 s0, exec_lo
	v_cmpx_lt_u32_e32 7, v62
; %bb.126:
	s_delay_alu instid0(VALU_DEP_3) | instskip(SKIP_2) | instid1(VALU_DEP_2)
	v_add_co_u32 v3, vcc_lo, v45, v4
	s_wait_alu 0xfffd
	v_add_co_ci_u32_e64 v2, null, 0, v46, vcc_lo
	v_add_co_u32 v45, vcc_lo, 0, v3
	s_wait_alu 0xfffd
	s_delay_alu instid0(VALU_DEP_2) | instskip(NEXT) | instid1(VALU_DEP_1)
	v_add_co_ci_u32_e64 v46, null, v1, v2, vcc_lo
	v_mov_b32_e32 v2, v46
; %bb.127:
	s_wait_alu 0xfffe
	s_or_b32 exec_lo, exec_lo, s0
	ds_swizzle_b32 v3, v3 offset:swizzle(BROADCAST,32,15)
	ds_swizzle_b32 v1, v2 offset:swizzle(BROADCAST,32,15)
	v_and_b32_e32 v2, 16, v61
	s_mov_b32 s0, exec_lo
	s_delay_alu instid0(VALU_DEP_1)
	v_cmpx_ne_u32_e32 0, v2
	s_cbranch_execz .LBB2722_129
; %bb.128:
	s_wait_dscnt 0x1
	v_add_co_u32 v2, vcc_lo, v45, v3
	s_wait_alu 0xfffd
	v_add_co_ci_u32_e64 v3, null, 0, v46, vcc_lo
	s_delay_alu instid0(VALU_DEP_2) | instskip(SKIP_2) | instid1(VALU_DEP_2)
	v_add_co_u32 v45, vcc_lo, v2, 0
	s_wait_dscnt 0x0
	s_wait_alu 0xfffd
	v_add_co_ci_u32_e64 v46, null, v3, v1, vcc_lo
.LBB2722_129:
	s_wait_alu 0xfffe
	s_or_b32 exec_lo, exec_lo, s0
	s_wait_dscnt 0x0
	v_or_b32_e32 v1, 31, v0
	v_lshrrev_b32_e32 v3, 5, v0
	s_mov_b32 s0, exec_lo
	s_delay_alu instid0(VALU_DEP_2)
	v_cmpx_eq_u32_e64 v0, v1
; %bb.130:
	s_delay_alu instid0(VALU_DEP_2)
	v_lshlrev_b32_e32 v1, 3, v3
	ds_store_b64 v1, v[45:46]
; %bb.131:
	s_wait_alu 0xfffe
	s_or_b32 exec_lo, exec_lo, s0
	s_delay_alu instid0(SALU_CYCLE_1)
	s_mov_b32 s0, exec_lo
	s_wait_loadcnt_dscnt 0x0
	s_barrier_signal -1
	s_barrier_wait -1
	global_inv scope:SCOPE_SE
	v_cmpx_gt_u32_e32 8, v0
	s_cbranch_execz .LBB2722_139
; %bb.132:
	v_lshlrev_b32_e32 v4, 2, v0
	s_mov_b32 s1, exec_lo
	s_delay_alu instid0(VALU_DEP_1)
	v_sub_nc_u32_e32 v1, v47, v4
	ds_load_b64 v[1:2], v1
	s_wait_dscnt 0x0
	v_dual_mov_b32 v6, v1 :: v_dual_and_b32 v5, 7, v61
	v_mov_b32_dpp v8, v1 row_shr:1 row_mask:0xf bank_mask:0xf
	v_mov_b32_dpp v7, v2 row_shr:1 row_mask:0xf bank_mask:0xf
	s_delay_alu instid0(VALU_DEP_3)
	v_cmpx_ne_u32_e32 0, v5
; %bb.133:
	s_delay_alu instid0(VALU_DEP_3) | instskip(SKIP_2) | instid1(VALU_DEP_2)
	v_add_co_u32 v6, vcc_lo, v1, v8
	s_wait_alu 0xfffd
	v_add_co_ci_u32_e64 v2, null, 0, v2, vcc_lo
	v_add_co_u32 v1, vcc_lo, 0, v6
	s_wait_alu 0xfffd
	s_delay_alu instid0(VALU_DEP_2)
	v_add_co_ci_u32_e64 v2, null, v7, v2, vcc_lo
; %bb.134:
	s_wait_alu 0xfffe
	s_or_b32 exec_lo, exec_lo, s1
	v_mov_b32_dpp v8, v6 row_shr:2 row_mask:0xf bank_mask:0xf
	s_delay_alu instid0(VALU_DEP_2)
	v_mov_b32_dpp v7, v2 row_shr:2 row_mask:0xf bank_mask:0xf
	s_mov_b32 s1, exec_lo
	v_cmpx_lt_u32_e32 1, v5
; %bb.135:
	s_delay_alu instid0(VALU_DEP_3) | instskip(SKIP_2) | instid1(VALU_DEP_2)
	v_add_co_u32 v6, vcc_lo, v1, v8
	s_wait_alu 0xfffd
	v_add_co_ci_u32_e64 v2, null, 0, v2, vcc_lo
	v_add_co_u32 v1, vcc_lo, 0, v6
	s_wait_alu 0xfffd
	s_delay_alu instid0(VALU_DEP_2)
	v_add_co_ci_u32_e64 v2, null, v7, v2, vcc_lo
; %bb.136:
	s_wait_alu 0xfffe
	s_or_b32 exec_lo, exec_lo, s1
	v_sub_nc_u32_e32 v4, 0, v4
	v_mov_b32_dpp v7, v6 row_shr:4 row_mask:0xf bank_mask:0xf
	v_mov_b32_dpp v6, v2 row_shr:4 row_mask:0xf bank_mask:0xf
	s_mov_b32 s1, exec_lo
	v_cmpx_lt_u32_e32 3, v5
; %bb.137:
	s_delay_alu instid0(VALU_DEP_3) | instskip(SKIP_2) | instid1(VALU_DEP_2)
	v_add_co_u32 v1, vcc_lo, v1, v7
	s_wait_alu 0xfffd
	v_add_co_ci_u32_e64 v2, null, 0, v2, vcc_lo
	v_add_co_u32 v1, vcc_lo, v1, 0
	s_wait_alu 0xfffd
	s_delay_alu instid0(VALU_DEP_2)
	v_add_co_ci_u32_e64 v2, null, v2, v6, vcc_lo
; %bb.138:
	s_wait_alu 0xfffe
	s_or_b32 exec_lo, exec_lo, s1
	v_add_nc_u32_e32 v4, v47, v4
	ds_store_b64 v4, v[1:2]
.LBB2722_139:
	s_wait_alu 0xfffe
	s_or_b32 exec_lo, exec_lo, s0
	v_mov_b32_e32 v1, 0
	v_mov_b32_e32 v2, 0
	s_mov_b32 s0, exec_lo
	s_wait_loadcnt_dscnt 0x0
	s_barrier_signal -1
	s_barrier_wait -1
	global_inv scope:SCOPE_SE
	v_cmpx_lt_u32_e32 31, v0
; %bb.140:
	v_lshl_add_u32 v1, v3, 3, -8
	ds_load_b64 v[1:2], v1
; %bb.141:
	s_wait_alu 0xfffe
	s_or_b32 exec_lo, exec_lo, s0
	v_sub_co_u32 v3, vcc_lo, v61, 1
	s_wait_dscnt 0x0
	v_add_nc_u32_e32 v4, v1, v45
	v_mov_b32_e32 v40, 0
	s_delay_alu instid0(VALU_DEP_3) | instskip(SKIP_4) | instid1(VALU_DEP_2)
	v_cmp_gt_i32_e64 s0, 0, v3
	ds_load_b64 v[37:38], v40 offset:56
	s_wait_alu 0xf1ff
	v_cndmask_b32_e64 v3, v3, v61, s0
	v_cmp_eq_u32_e64 s0, 0, v0
	v_lshlrev_b32_e32 v3, 2, v3
	ds_bpermute_b32 v3, v3, v4
	s_and_saveexec_b32 s1, s0
	s_cbranch_execz .LBB2722_143
; %bb.142:
	s_wait_kmcnt 0x0
	s_add_nc_u64 s[2:3], s[8:9], 0x200
	v_mov_b32_e32 v39, 2
	s_wait_alu 0xfffe
	v_dual_mov_b32 v5, s3 :: v_dual_mov_b32 v4, s2
	s_wait_dscnt 0x1
	;;#ASMSTART
	global_store_b128 v[4:5], v[37:40] off scope:SCOPE_DEV	
s_wait_storecnt 0x0
	;;#ASMEND
.LBB2722_143:
	s_wait_alu 0xfffe
	s_or_b32 exec_lo, exec_lo, s1
	s_wait_dscnt 0x0
	s_wait_alu 0xfffd
	v_dual_cndmask_b32 v1, v3, v1 :: v_dual_cndmask_b32 v2, 0, v2
	v_mov_b32_e32 v39, 0
	v_mov_b32_e32 v40, 0
	s_wait_loadcnt 0x0
	s_delay_alu instid0(VALU_DEP_3)
	v_cndmask_b32_e64 v1, v1, 0, s0
	v_cndmask_b32_e64 v2, v2, 0, s0
	s_barrier_signal -1
	s_barrier_wait -1
	global_inv scope:SCOPE_SE
	v_add_co_u32 v3, vcc_lo, v1, v53
	s_wait_alu 0xfffd
	v_add_co_ci_u32_e64 v2, null, 0, v2, vcc_lo
	s_delay_alu instid0(VALU_DEP_2) | instskip(SKIP_1) | instid1(VALU_DEP_2)
	v_add_co_u32 v5, vcc_lo, v3, v54
	s_wait_alu 0xfffd
	v_add_co_ci_u32_e64 v2, null, 0, v2, vcc_lo
	s_delay_alu instid0(VALU_DEP_2) | instskip(SKIP_1) | instid1(VALU_DEP_2)
	;; [unrolled: 4-line block ×10, first 2 shown]
	v_add_co_u32 v23, vcc_lo, v21, v55
	s_wait_alu 0xfffd
	v_add_co_ci_u32_e64 v2, null, 0, v2, vcc_lo
.LBB2722_144:
	s_wait_dscnt 0x0
	v_cmp_gt_u64_e32 vcc_lo, 0x101, v[37:38]
	v_lshrrev_b32_e32 v12, 8, v43
	v_lshrrev_b32_e32 v10, 16, v43
	;; [unrolled: 1-line block ×6, first 2 shown]
	s_cbranch_vccz .LBB2722_147
; %bb.145:
	v_cmp_eq_u32_e32 vcc_lo, 0, v0
	s_and_b32 s0, vcc_lo, s16
	s_wait_alu 0xfffe
	s_and_saveexec_b32 s1, s0
	s_cbranch_execnz .LBB2722_172
.LBB2722_146:
	s_endpgm
.LBB2722_147:
	v_and_b32_e32 v14, 1, v43
	s_mov_b32 s0, exec_lo
	s_delay_alu instid0(VALU_DEP_1)
	v_cmpx_eq_u32_e32 1, v14
; %bb.148:
	v_sub_nc_u32_e32 v1, v1, v39
	s_delay_alu instid0(VALU_DEP_1)
	v_lshlrev_b32_e32 v1, 1, v1
	ds_store_b16 v1, v33
; %bb.149:
	s_wait_alu 0xfffe
	s_or_b32 exec_lo, exec_lo, s0
	v_and_b32_e32 v1, 1, v12
	s_mov_b32 s0, exec_lo
	s_delay_alu instid0(VALU_DEP_1)
	v_cmpx_eq_u32_e32 1, v1
; %bb.150:
	v_sub_nc_u32_e32 v1, v3, v39
	s_delay_alu instid0(VALU_DEP_1)
	v_lshlrev_b32_e32 v1, 1, v1
	ds_store_b16_d16_hi v1, v33
; %bb.151:
	s_wait_alu 0xfffe
	s_or_b32 exec_lo, exec_lo, s0
	v_and_b32_e32 v1, 1, v10
	s_mov_b32 s0, exec_lo
	s_delay_alu instid0(VALU_DEP_1)
	v_cmpx_eq_u32_e32 1, v1
; %bb.152:
	v_sub_nc_u32_e32 v1, v5, v39
	s_delay_alu instid0(VALU_DEP_1)
	v_lshlrev_b32_e32 v1, 1, v1
	ds_store_b16 v1, v34
; %bb.153:
	s_wait_alu 0xfffe
	s_or_b32 exec_lo, exec_lo, s0
	v_and_b32_e32 v1, 1, v51
	s_mov_b32 s0, exec_lo
	s_delay_alu instid0(VALU_DEP_1)
	v_cmpx_eq_u32_e32 1, v1
; %bb.154:
	v_sub_nc_u32_e32 v1, v7, v39
	s_delay_alu instid0(VALU_DEP_1)
	v_lshlrev_b32_e32 v1, 1, v1
	ds_store_b16_d16_hi v1, v34
; %bb.155:
	s_wait_alu 0xfffe
	s_or_b32 exec_lo, exec_lo, s0
	;; [unrolled: 24-line block ×6, first 2 shown]
	s_wait_loadcnt_dscnt 0x0
	s_barrier_signal -1
	s_barrier_wait -1
	global_inv scope:SCOPE_SE
	v_cmp_eq_u32_e32 vcc_lo, 0, v0
	s_and_b32 s0, vcc_lo, s16
	s_wait_alu 0xfffe
	s_and_saveexec_b32 s1, s0
	s_cbranch_execz .LBB2722_146
.LBB2722_172:
	v_add_co_u32 v0, vcc_lo, v37, s6
	s_wait_alu 0xfffd
	v_add_co_ci_u32_e64 v1, null, s7, v38, vcc_lo
	v_mov_b32_e32 v2, 0
	s_delay_alu instid0(VALU_DEP_3) | instskip(SKIP_1) | instid1(VALU_DEP_3)
	v_add_co_u32 v0, vcc_lo, v0, v39
	s_wait_alu 0xfffd
	v_add_co_ci_u32_e64 v1, null, v1, v40, vcc_lo
	global_store_b64 v2, v[0:1], s[4:5]
	s_endpgm
	.section	.rodata,"a",@progbits
	.p2align	6, 0x0
	.amdhsa_kernel _ZN7rocprim17ROCPRIM_400000_NS6detail17trampoline_kernelINS0_14default_configENS1_25partition_config_selectorILNS1_17partition_subalgoE5EtNS0_10empty_typeEbEEZZNS1_14partition_implILS5_5ELb0ES3_mN6thrust23THRUST_200600_302600_NS6detail15normal_iteratorINSA_10device_ptrItEEEEPS6_NSA_18transform_iteratorINSB_9not_fun_tI7is_trueItEEENSC_INSD_IbEEEENSA_11use_defaultESO_EENS0_5tupleIJNSA_16discard_iteratorISO_EES6_EEENSQ_IJSG_SG_EEES6_PlJS6_EEE10hipError_tPvRmT3_T4_T5_T6_T7_T9_mT8_P12ihipStream_tbDpT10_ENKUlT_T0_E_clISt17integral_constantIbLb0EES1F_EEDaS1A_S1B_EUlS1A_E_NS1_11comp_targetILNS1_3genE10ELNS1_11target_archE1200ELNS1_3gpuE4ELNS1_3repE0EEENS1_30default_config_static_selectorELNS0_4arch9wavefront6targetE0EEEvT1_
		.amdhsa_group_segment_fixed_size 6160
		.amdhsa_private_segment_fixed_size 0
		.amdhsa_kernarg_size 128
		.amdhsa_user_sgpr_count 2
		.amdhsa_user_sgpr_dispatch_ptr 0
		.amdhsa_user_sgpr_queue_ptr 0
		.amdhsa_user_sgpr_kernarg_segment_ptr 1
		.amdhsa_user_sgpr_dispatch_id 0
		.amdhsa_user_sgpr_private_segment_size 0
		.amdhsa_wavefront_size32 1
		.amdhsa_uses_dynamic_stack 0
		.amdhsa_enable_private_segment 0
		.amdhsa_system_sgpr_workgroup_id_x 1
		.amdhsa_system_sgpr_workgroup_id_y 0
		.amdhsa_system_sgpr_workgroup_id_z 0
		.amdhsa_system_sgpr_workgroup_info 0
		.amdhsa_system_vgpr_workitem_id 0
		.amdhsa_next_free_vgpr 63
		.amdhsa_next_free_sgpr 23
		.amdhsa_reserve_vcc 1
		.amdhsa_float_round_mode_32 0
		.amdhsa_float_round_mode_16_64 0
		.amdhsa_float_denorm_mode_32 3
		.amdhsa_float_denorm_mode_16_64 3
		.amdhsa_fp16_overflow 0
		.amdhsa_workgroup_processor_mode 1
		.amdhsa_memory_ordered 1
		.amdhsa_forward_progress 1
		.amdhsa_inst_pref_size 70
		.amdhsa_round_robin_scheduling 0
		.amdhsa_exception_fp_ieee_invalid_op 0
		.amdhsa_exception_fp_denorm_src 0
		.amdhsa_exception_fp_ieee_div_zero 0
		.amdhsa_exception_fp_ieee_overflow 0
		.amdhsa_exception_fp_ieee_underflow 0
		.amdhsa_exception_fp_ieee_inexact 0
		.amdhsa_exception_int_div_zero 0
	.end_amdhsa_kernel
	.section	.text._ZN7rocprim17ROCPRIM_400000_NS6detail17trampoline_kernelINS0_14default_configENS1_25partition_config_selectorILNS1_17partition_subalgoE5EtNS0_10empty_typeEbEEZZNS1_14partition_implILS5_5ELb0ES3_mN6thrust23THRUST_200600_302600_NS6detail15normal_iteratorINSA_10device_ptrItEEEEPS6_NSA_18transform_iteratorINSB_9not_fun_tI7is_trueItEEENSC_INSD_IbEEEENSA_11use_defaultESO_EENS0_5tupleIJNSA_16discard_iteratorISO_EES6_EEENSQ_IJSG_SG_EEES6_PlJS6_EEE10hipError_tPvRmT3_T4_T5_T6_T7_T9_mT8_P12ihipStream_tbDpT10_ENKUlT_T0_E_clISt17integral_constantIbLb0EES1F_EEDaS1A_S1B_EUlS1A_E_NS1_11comp_targetILNS1_3genE10ELNS1_11target_archE1200ELNS1_3gpuE4ELNS1_3repE0EEENS1_30default_config_static_selectorELNS0_4arch9wavefront6targetE0EEEvT1_,"axG",@progbits,_ZN7rocprim17ROCPRIM_400000_NS6detail17trampoline_kernelINS0_14default_configENS1_25partition_config_selectorILNS1_17partition_subalgoE5EtNS0_10empty_typeEbEEZZNS1_14partition_implILS5_5ELb0ES3_mN6thrust23THRUST_200600_302600_NS6detail15normal_iteratorINSA_10device_ptrItEEEEPS6_NSA_18transform_iteratorINSB_9not_fun_tI7is_trueItEEENSC_INSD_IbEEEENSA_11use_defaultESO_EENS0_5tupleIJNSA_16discard_iteratorISO_EES6_EEENSQ_IJSG_SG_EEES6_PlJS6_EEE10hipError_tPvRmT3_T4_T5_T6_T7_T9_mT8_P12ihipStream_tbDpT10_ENKUlT_T0_E_clISt17integral_constantIbLb0EES1F_EEDaS1A_S1B_EUlS1A_E_NS1_11comp_targetILNS1_3genE10ELNS1_11target_archE1200ELNS1_3gpuE4ELNS1_3repE0EEENS1_30default_config_static_selectorELNS0_4arch9wavefront6targetE0EEEvT1_,comdat
.Lfunc_end2722:
	.size	_ZN7rocprim17ROCPRIM_400000_NS6detail17trampoline_kernelINS0_14default_configENS1_25partition_config_selectorILNS1_17partition_subalgoE5EtNS0_10empty_typeEbEEZZNS1_14partition_implILS5_5ELb0ES3_mN6thrust23THRUST_200600_302600_NS6detail15normal_iteratorINSA_10device_ptrItEEEEPS6_NSA_18transform_iteratorINSB_9not_fun_tI7is_trueItEEENSC_INSD_IbEEEENSA_11use_defaultESO_EENS0_5tupleIJNSA_16discard_iteratorISO_EES6_EEENSQ_IJSG_SG_EEES6_PlJS6_EEE10hipError_tPvRmT3_T4_T5_T6_T7_T9_mT8_P12ihipStream_tbDpT10_ENKUlT_T0_E_clISt17integral_constantIbLb0EES1F_EEDaS1A_S1B_EUlS1A_E_NS1_11comp_targetILNS1_3genE10ELNS1_11target_archE1200ELNS1_3gpuE4ELNS1_3repE0EEENS1_30default_config_static_selectorELNS0_4arch9wavefront6targetE0EEEvT1_, .Lfunc_end2722-_ZN7rocprim17ROCPRIM_400000_NS6detail17trampoline_kernelINS0_14default_configENS1_25partition_config_selectorILNS1_17partition_subalgoE5EtNS0_10empty_typeEbEEZZNS1_14partition_implILS5_5ELb0ES3_mN6thrust23THRUST_200600_302600_NS6detail15normal_iteratorINSA_10device_ptrItEEEEPS6_NSA_18transform_iteratorINSB_9not_fun_tI7is_trueItEEENSC_INSD_IbEEEENSA_11use_defaultESO_EENS0_5tupleIJNSA_16discard_iteratorISO_EES6_EEENSQ_IJSG_SG_EEES6_PlJS6_EEE10hipError_tPvRmT3_T4_T5_T6_T7_T9_mT8_P12ihipStream_tbDpT10_ENKUlT_T0_E_clISt17integral_constantIbLb0EES1F_EEDaS1A_S1B_EUlS1A_E_NS1_11comp_targetILNS1_3genE10ELNS1_11target_archE1200ELNS1_3gpuE4ELNS1_3repE0EEENS1_30default_config_static_selectorELNS0_4arch9wavefront6targetE0EEEvT1_
                                        ; -- End function
	.set _ZN7rocprim17ROCPRIM_400000_NS6detail17trampoline_kernelINS0_14default_configENS1_25partition_config_selectorILNS1_17partition_subalgoE5EtNS0_10empty_typeEbEEZZNS1_14partition_implILS5_5ELb0ES3_mN6thrust23THRUST_200600_302600_NS6detail15normal_iteratorINSA_10device_ptrItEEEEPS6_NSA_18transform_iteratorINSB_9not_fun_tI7is_trueItEEENSC_INSD_IbEEEENSA_11use_defaultESO_EENS0_5tupleIJNSA_16discard_iteratorISO_EES6_EEENSQ_IJSG_SG_EEES6_PlJS6_EEE10hipError_tPvRmT3_T4_T5_T6_T7_T9_mT8_P12ihipStream_tbDpT10_ENKUlT_T0_E_clISt17integral_constantIbLb0EES1F_EEDaS1A_S1B_EUlS1A_E_NS1_11comp_targetILNS1_3genE10ELNS1_11target_archE1200ELNS1_3gpuE4ELNS1_3repE0EEENS1_30default_config_static_selectorELNS0_4arch9wavefront6targetE0EEEvT1_.num_vgpr, 63
	.set _ZN7rocprim17ROCPRIM_400000_NS6detail17trampoline_kernelINS0_14default_configENS1_25partition_config_selectorILNS1_17partition_subalgoE5EtNS0_10empty_typeEbEEZZNS1_14partition_implILS5_5ELb0ES3_mN6thrust23THRUST_200600_302600_NS6detail15normal_iteratorINSA_10device_ptrItEEEEPS6_NSA_18transform_iteratorINSB_9not_fun_tI7is_trueItEEENSC_INSD_IbEEEENSA_11use_defaultESO_EENS0_5tupleIJNSA_16discard_iteratorISO_EES6_EEENSQ_IJSG_SG_EEES6_PlJS6_EEE10hipError_tPvRmT3_T4_T5_T6_T7_T9_mT8_P12ihipStream_tbDpT10_ENKUlT_T0_E_clISt17integral_constantIbLb0EES1F_EEDaS1A_S1B_EUlS1A_E_NS1_11comp_targetILNS1_3genE10ELNS1_11target_archE1200ELNS1_3gpuE4ELNS1_3repE0EEENS1_30default_config_static_selectorELNS0_4arch9wavefront6targetE0EEEvT1_.num_agpr, 0
	.set _ZN7rocprim17ROCPRIM_400000_NS6detail17trampoline_kernelINS0_14default_configENS1_25partition_config_selectorILNS1_17partition_subalgoE5EtNS0_10empty_typeEbEEZZNS1_14partition_implILS5_5ELb0ES3_mN6thrust23THRUST_200600_302600_NS6detail15normal_iteratorINSA_10device_ptrItEEEEPS6_NSA_18transform_iteratorINSB_9not_fun_tI7is_trueItEEENSC_INSD_IbEEEENSA_11use_defaultESO_EENS0_5tupleIJNSA_16discard_iteratorISO_EES6_EEENSQ_IJSG_SG_EEES6_PlJS6_EEE10hipError_tPvRmT3_T4_T5_T6_T7_T9_mT8_P12ihipStream_tbDpT10_ENKUlT_T0_E_clISt17integral_constantIbLb0EES1F_EEDaS1A_S1B_EUlS1A_E_NS1_11comp_targetILNS1_3genE10ELNS1_11target_archE1200ELNS1_3gpuE4ELNS1_3repE0EEENS1_30default_config_static_selectorELNS0_4arch9wavefront6targetE0EEEvT1_.numbered_sgpr, 23
	.set _ZN7rocprim17ROCPRIM_400000_NS6detail17trampoline_kernelINS0_14default_configENS1_25partition_config_selectorILNS1_17partition_subalgoE5EtNS0_10empty_typeEbEEZZNS1_14partition_implILS5_5ELb0ES3_mN6thrust23THRUST_200600_302600_NS6detail15normal_iteratorINSA_10device_ptrItEEEEPS6_NSA_18transform_iteratorINSB_9not_fun_tI7is_trueItEEENSC_INSD_IbEEEENSA_11use_defaultESO_EENS0_5tupleIJNSA_16discard_iteratorISO_EES6_EEENSQ_IJSG_SG_EEES6_PlJS6_EEE10hipError_tPvRmT3_T4_T5_T6_T7_T9_mT8_P12ihipStream_tbDpT10_ENKUlT_T0_E_clISt17integral_constantIbLb0EES1F_EEDaS1A_S1B_EUlS1A_E_NS1_11comp_targetILNS1_3genE10ELNS1_11target_archE1200ELNS1_3gpuE4ELNS1_3repE0EEENS1_30default_config_static_selectorELNS0_4arch9wavefront6targetE0EEEvT1_.num_named_barrier, 0
	.set _ZN7rocprim17ROCPRIM_400000_NS6detail17trampoline_kernelINS0_14default_configENS1_25partition_config_selectorILNS1_17partition_subalgoE5EtNS0_10empty_typeEbEEZZNS1_14partition_implILS5_5ELb0ES3_mN6thrust23THRUST_200600_302600_NS6detail15normal_iteratorINSA_10device_ptrItEEEEPS6_NSA_18transform_iteratorINSB_9not_fun_tI7is_trueItEEENSC_INSD_IbEEEENSA_11use_defaultESO_EENS0_5tupleIJNSA_16discard_iteratorISO_EES6_EEENSQ_IJSG_SG_EEES6_PlJS6_EEE10hipError_tPvRmT3_T4_T5_T6_T7_T9_mT8_P12ihipStream_tbDpT10_ENKUlT_T0_E_clISt17integral_constantIbLb0EES1F_EEDaS1A_S1B_EUlS1A_E_NS1_11comp_targetILNS1_3genE10ELNS1_11target_archE1200ELNS1_3gpuE4ELNS1_3repE0EEENS1_30default_config_static_selectorELNS0_4arch9wavefront6targetE0EEEvT1_.private_seg_size, 0
	.set _ZN7rocprim17ROCPRIM_400000_NS6detail17trampoline_kernelINS0_14default_configENS1_25partition_config_selectorILNS1_17partition_subalgoE5EtNS0_10empty_typeEbEEZZNS1_14partition_implILS5_5ELb0ES3_mN6thrust23THRUST_200600_302600_NS6detail15normal_iteratorINSA_10device_ptrItEEEEPS6_NSA_18transform_iteratorINSB_9not_fun_tI7is_trueItEEENSC_INSD_IbEEEENSA_11use_defaultESO_EENS0_5tupleIJNSA_16discard_iteratorISO_EES6_EEENSQ_IJSG_SG_EEES6_PlJS6_EEE10hipError_tPvRmT3_T4_T5_T6_T7_T9_mT8_P12ihipStream_tbDpT10_ENKUlT_T0_E_clISt17integral_constantIbLb0EES1F_EEDaS1A_S1B_EUlS1A_E_NS1_11comp_targetILNS1_3genE10ELNS1_11target_archE1200ELNS1_3gpuE4ELNS1_3repE0EEENS1_30default_config_static_selectorELNS0_4arch9wavefront6targetE0EEEvT1_.uses_vcc, 1
	.set _ZN7rocprim17ROCPRIM_400000_NS6detail17trampoline_kernelINS0_14default_configENS1_25partition_config_selectorILNS1_17partition_subalgoE5EtNS0_10empty_typeEbEEZZNS1_14partition_implILS5_5ELb0ES3_mN6thrust23THRUST_200600_302600_NS6detail15normal_iteratorINSA_10device_ptrItEEEEPS6_NSA_18transform_iteratorINSB_9not_fun_tI7is_trueItEEENSC_INSD_IbEEEENSA_11use_defaultESO_EENS0_5tupleIJNSA_16discard_iteratorISO_EES6_EEENSQ_IJSG_SG_EEES6_PlJS6_EEE10hipError_tPvRmT3_T4_T5_T6_T7_T9_mT8_P12ihipStream_tbDpT10_ENKUlT_T0_E_clISt17integral_constantIbLb0EES1F_EEDaS1A_S1B_EUlS1A_E_NS1_11comp_targetILNS1_3genE10ELNS1_11target_archE1200ELNS1_3gpuE4ELNS1_3repE0EEENS1_30default_config_static_selectorELNS0_4arch9wavefront6targetE0EEEvT1_.uses_flat_scratch, 1
	.set _ZN7rocprim17ROCPRIM_400000_NS6detail17trampoline_kernelINS0_14default_configENS1_25partition_config_selectorILNS1_17partition_subalgoE5EtNS0_10empty_typeEbEEZZNS1_14partition_implILS5_5ELb0ES3_mN6thrust23THRUST_200600_302600_NS6detail15normal_iteratorINSA_10device_ptrItEEEEPS6_NSA_18transform_iteratorINSB_9not_fun_tI7is_trueItEEENSC_INSD_IbEEEENSA_11use_defaultESO_EENS0_5tupleIJNSA_16discard_iteratorISO_EES6_EEENSQ_IJSG_SG_EEES6_PlJS6_EEE10hipError_tPvRmT3_T4_T5_T6_T7_T9_mT8_P12ihipStream_tbDpT10_ENKUlT_T0_E_clISt17integral_constantIbLb0EES1F_EEDaS1A_S1B_EUlS1A_E_NS1_11comp_targetILNS1_3genE10ELNS1_11target_archE1200ELNS1_3gpuE4ELNS1_3repE0EEENS1_30default_config_static_selectorELNS0_4arch9wavefront6targetE0EEEvT1_.has_dyn_sized_stack, 0
	.set _ZN7rocprim17ROCPRIM_400000_NS6detail17trampoline_kernelINS0_14default_configENS1_25partition_config_selectorILNS1_17partition_subalgoE5EtNS0_10empty_typeEbEEZZNS1_14partition_implILS5_5ELb0ES3_mN6thrust23THRUST_200600_302600_NS6detail15normal_iteratorINSA_10device_ptrItEEEEPS6_NSA_18transform_iteratorINSB_9not_fun_tI7is_trueItEEENSC_INSD_IbEEEENSA_11use_defaultESO_EENS0_5tupleIJNSA_16discard_iteratorISO_EES6_EEENSQ_IJSG_SG_EEES6_PlJS6_EEE10hipError_tPvRmT3_T4_T5_T6_T7_T9_mT8_P12ihipStream_tbDpT10_ENKUlT_T0_E_clISt17integral_constantIbLb0EES1F_EEDaS1A_S1B_EUlS1A_E_NS1_11comp_targetILNS1_3genE10ELNS1_11target_archE1200ELNS1_3gpuE4ELNS1_3repE0EEENS1_30default_config_static_selectorELNS0_4arch9wavefront6targetE0EEEvT1_.has_recursion, 0
	.set _ZN7rocprim17ROCPRIM_400000_NS6detail17trampoline_kernelINS0_14default_configENS1_25partition_config_selectorILNS1_17partition_subalgoE5EtNS0_10empty_typeEbEEZZNS1_14partition_implILS5_5ELb0ES3_mN6thrust23THRUST_200600_302600_NS6detail15normal_iteratorINSA_10device_ptrItEEEEPS6_NSA_18transform_iteratorINSB_9not_fun_tI7is_trueItEEENSC_INSD_IbEEEENSA_11use_defaultESO_EENS0_5tupleIJNSA_16discard_iteratorISO_EES6_EEENSQ_IJSG_SG_EEES6_PlJS6_EEE10hipError_tPvRmT3_T4_T5_T6_T7_T9_mT8_P12ihipStream_tbDpT10_ENKUlT_T0_E_clISt17integral_constantIbLb0EES1F_EEDaS1A_S1B_EUlS1A_E_NS1_11comp_targetILNS1_3genE10ELNS1_11target_archE1200ELNS1_3gpuE4ELNS1_3repE0EEENS1_30default_config_static_selectorELNS0_4arch9wavefront6targetE0EEEvT1_.has_indirect_call, 0
	.section	.AMDGPU.csdata,"",@progbits
; Kernel info:
; codeLenInByte = 8844
; TotalNumSgprs: 25
; NumVgprs: 63
; ScratchSize: 0
; MemoryBound: 0
; FloatMode: 240
; IeeeMode: 1
; LDSByteSize: 6160 bytes/workgroup (compile time only)
; SGPRBlocks: 0
; VGPRBlocks: 7
; NumSGPRsForWavesPerEU: 25
; NumVGPRsForWavesPerEU: 63
; Occupancy: 16
; WaveLimiterHint : 1
; COMPUTE_PGM_RSRC2:SCRATCH_EN: 0
; COMPUTE_PGM_RSRC2:USER_SGPR: 2
; COMPUTE_PGM_RSRC2:TRAP_HANDLER: 0
; COMPUTE_PGM_RSRC2:TGID_X_EN: 1
; COMPUTE_PGM_RSRC2:TGID_Y_EN: 0
; COMPUTE_PGM_RSRC2:TGID_Z_EN: 0
; COMPUTE_PGM_RSRC2:TIDIG_COMP_CNT: 0
	.section	.text._ZN7rocprim17ROCPRIM_400000_NS6detail17trampoline_kernelINS0_14default_configENS1_25partition_config_selectorILNS1_17partition_subalgoE5EtNS0_10empty_typeEbEEZZNS1_14partition_implILS5_5ELb0ES3_mN6thrust23THRUST_200600_302600_NS6detail15normal_iteratorINSA_10device_ptrItEEEEPS6_NSA_18transform_iteratorINSB_9not_fun_tI7is_trueItEEENSC_INSD_IbEEEENSA_11use_defaultESO_EENS0_5tupleIJNSA_16discard_iteratorISO_EES6_EEENSQ_IJSG_SG_EEES6_PlJS6_EEE10hipError_tPvRmT3_T4_T5_T6_T7_T9_mT8_P12ihipStream_tbDpT10_ENKUlT_T0_E_clISt17integral_constantIbLb0EES1F_EEDaS1A_S1B_EUlS1A_E_NS1_11comp_targetILNS1_3genE9ELNS1_11target_archE1100ELNS1_3gpuE3ELNS1_3repE0EEENS1_30default_config_static_selectorELNS0_4arch9wavefront6targetE0EEEvT1_,"axG",@progbits,_ZN7rocprim17ROCPRIM_400000_NS6detail17trampoline_kernelINS0_14default_configENS1_25partition_config_selectorILNS1_17partition_subalgoE5EtNS0_10empty_typeEbEEZZNS1_14partition_implILS5_5ELb0ES3_mN6thrust23THRUST_200600_302600_NS6detail15normal_iteratorINSA_10device_ptrItEEEEPS6_NSA_18transform_iteratorINSB_9not_fun_tI7is_trueItEEENSC_INSD_IbEEEENSA_11use_defaultESO_EENS0_5tupleIJNSA_16discard_iteratorISO_EES6_EEENSQ_IJSG_SG_EEES6_PlJS6_EEE10hipError_tPvRmT3_T4_T5_T6_T7_T9_mT8_P12ihipStream_tbDpT10_ENKUlT_T0_E_clISt17integral_constantIbLb0EES1F_EEDaS1A_S1B_EUlS1A_E_NS1_11comp_targetILNS1_3genE9ELNS1_11target_archE1100ELNS1_3gpuE3ELNS1_3repE0EEENS1_30default_config_static_selectorELNS0_4arch9wavefront6targetE0EEEvT1_,comdat
	.protected	_ZN7rocprim17ROCPRIM_400000_NS6detail17trampoline_kernelINS0_14default_configENS1_25partition_config_selectorILNS1_17partition_subalgoE5EtNS0_10empty_typeEbEEZZNS1_14partition_implILS5_5ELb0ES3_mN6thrust23THRUST_200600_302600_NS6detail15normal_iteratorINSA_10device_ptrItEEEEPS6_NSA_18transform_iteratorINSB_9not_fun_tI7is_trueItEEENSC_INSD_IbEEEENSA_11use_defaultESO_EENS0_5tupleIJNSA_16discard_iteratorISO_EES6_EEENSQ_IJSG_SG_EEES6_PlJS6_EEE10hipError_tPvRmT3_T4_T5_T6_T7_T9_mT8_P12ihipStream_tbDpT10_ENKUlT_T0_E_clISt17integral_constantIbLb0EES1F_EEDaS1A_S1B_EUlS1A_E_NS1_11comp_targetILNS1_3genE9ELNS1_11target_archE1100ELNS1_3gpuE3ELNS1_3repE0EEENS1_30default_config_static_selectorELNS0_4arch9wavefront6targetE0EEEvT1_ ; -- Begin function _ZN7rocprim17ROCPRIM_400000_NS6detail17trampoline_kernelINS0_14default_configENS1_25partition_config_selectorILNS1_17partition_subalgoE5EtNS0_10empty_typeEbEEZZNS1_14partition_implILS5_5ELb0ES3_mN6thrust23THRUST_200600_302600_NS6detail15normal_iteratorINSA_10device_ptrItEEEEPS6_NSA_18transform_iteratorINSB_9not_fun_tI7is_trueItEEENSC_INSD_IbEEEENSA_11use_defaultESO_EENS0_5tupleIJNSA_16discard_iteratorISO_EES6_EEENSQ_IJSG_SG_EEES6_PlJS6_EEE10hipError_tPvRmT3_T4_T5_T6_T7_T9_mT8_P12ihipStream_tbDpT10_ENKUlT_T0_E_clISt17integral_constantIbLb0EES1F_EEDaS1A_S1B_EUlS1A_E_NS1_11comp_targetILNS1_3genE9ELNS1_11target_archE1100ELNS1_3gpuE3ELNS1_3repE0EEENS1_30default_config_static_selectorELNS0_4arch9wavefront6targetE0EEEvT1_
	.globl	_ZN7rocprim17ROCPRIM_400000_NS6detail17trampoline_kernelINS0_14default_configENS1_25partition_config_selectorILNS1_17partition_subalgoE5EtNS0_10empty_typeEbEEZZNS1_14partition_implILS5_5ELb0ES3_mN6thrust23THRUST_200600_302600_NS6detail15normal_iteratorINSA_10device_ptrItEEEEPS6_NSA_18transform_iteratorINSB_9not_fun_tI7is_trueItEEENSC_INSD_IbEEEENSA_11use_defaultESO_EENS0_5tupleIJNSA_16discard_iteratorISO_EES6_EEENSQ_IJSG_SG_EEES6_PlJS6_EEE10hipError_tPvRmT3_T4_T5_T6_T7_T9_mT8_P12ihipStream_tbDpT10_ENKUlT_T0_E_clISt17integral_constantIbLb0EES1F_EEDaS1A_S1B_EUlS1A_E_NS1_11comp_targetILNS1_3genE9ELNS1_11target_archE1100ELNS1_3gpuE3ELNS1_3repE0EEENS1_30default_config_static_selectorELNS0_4arch9wavefront6targetE0EEEvT1_
	.p2align	8
	.type	_ZN7rocprim17ROCPRIM_400000_NS6detail17trampoline_kernelINS0_14default_configENS1_25partition_config_selectorILNS1_17partition_subalgoE5EtNS0_10empty_typeEbEEZZNS1_14partition_implILS5_5ELb0ES3_mN6thrust23THRUST_200600_302600_NS6detail15normal_iteratorINSA_10device_ptrItEEEEPS6_NSA_18transform_iteratorINSB_9not_fun_tI7is_trueItEEENSC_INSD_IbEEEENSA_11use_defaultESO_EENS0_5tupleIJNSA_16discard_iteratorISO_EES6_EEENSQ_IJSG_SG_EEES6_PlJS6_EEE10hipError_tPvRmT3_T4_T5_T6_T7_T9_mT8_P12ihipStream_tbDpT10_ENKUlT_T0_E_clISt17integral_constantIbLb0EES1F_EEDaS1A_S1B_EUlS1A_E_NS1_11comp_targetILNS1_3genE9ELNS1_11target_archE1100ELNS1_3gpuE3ELNS1_3repE0EEENS1_30default_config_static_selectorELNS0_4arch9wavefront6targetE0EEEvT1_,@function
_ZN7rocprim17ROCPRIM_400000_NS6detail17trampoline_kernelINS0_14default_configENS1_25partition_config_selectorILNS1_17partition_subalgoE5EtNS0_10empty_typeEbEEZZNS1_14partition_implILS5_5ELb0ES3_mN6thrust23THRUST_200600_302600_NS6detail15normal_iteratorINSA_10device_ptrItEEEEPS6_NSA_18transform_iteratorINSB_9not_fun_tI7is_trueItEEENSC_INSD_IbEEEENSA_11use_defaultESO_EENS0_5tupleIJNSA_16discard_iteratorISO_EES6_EEENSQ_IJSG_SG_EEES6_PlJS6_EEE10hipError_tPvRmT3_T4_T5_T6_T7_T9_mT8_P12ihipStream_tbDpT10_ENKUlT_T0_E_clISt17integral_constantIbLb0EES1F_EEDaS1A_S1B_EUlS1A_E_NS1_11comp_targetILNS1_3genE9ELNS1_11target_archE1100ELNS1_3gpuE3ELNS1_3repE0EEENS1_30default_config_static_selectorELNS0_4arch9wavefront6targetE0EEEvT1_: ; @_ZN7rocprim17ROCPRIM_400000_NS6detail17trampoline_kernelINS0_14default_configENS1_25partition_config_selectorILNS1_17partition_subalgoE5EtNS0_10empty_typeEbEEZZNS1_14partition_implILS5_5ELb0ES3_mN6thrust23THRUST_200600_302600_NS6detail15normal_iteratorINSA_10device_ptrItEEEEPS6_NSA_18transform_iteratorINSB_9not_fun_tI7is_trueItEEENSC_INSD_IbEEEENSA_11use_defaultESO_EENS0_5tupleIJNSA_16discard_iteratorISO_EES6_EEENSQ_IJSG_SG_EEES6_PlJS6_EEE10hipError_tPvRmT3_T4_T5_T6_T7_T9_mT8_P12ihipStream_tbDpT10_ENKUlT_T0_E_clISt17integral_constantIbLb0EES1F_EEDaS1A_S1B_EUlS1A_E_NS1_11comp_targetILNS1_3genE9ELNS1_11target_archE1100ELNS1_3gpuE3ELNS1_3repE0EEENS1_30default_config_static_selectorELNS0_4arch9wavefront6targetE0EEEvT1_
; %bb.0:
	.section	.rodata,"a",@progbits
	.p2align	6, 0x0
	.amdhsa_kernel _ZN7rocprim17ROCPRIM_400000_NS6detail17trampoline_kernelINS0_14default_configENS1_25partition_config_selectorILNS1_17partition_subalgoE5EtNS0_10empty_typeEbEEZZNS1_14partition_implILS5_5ELb0ES3_mN6thrust23THRUST_200600_302600_NS6detail15normal_iteratorINSA_10device_ptrItEEEEPS6_NSA_18transform_iteratorINSB_9not_fun_tI7is_trueItEEENSC_INSD_IbEEEENSA_11use_defaultESO_EENS0_5tupleIJNSA_16discard_iteratorISO_EES6_EEENSQ_IJSG_SG_EEES6_PlJS6_EEE10hipError_tPvRmT3_T4_T5_T6_T7_T9_mT8_P12ihipStream_tbDpT10_ENKUlT_T0_E_clISt17integral_constantIbLb0EES1F_EEDaS1A_S1B_EUlS1A_E_NS1_11comp_targetILNS1_3genE9ELNS1_11target_archE1100ELNS1_3gpuE3ELNS1_3repE0EEENS1_30default_config_static_selectorELNS0_4arch9wavefront6targetE0EEEvT1_
		.amdhsa_group_segment_fixed_size 0
		.amdhsa_private_segment_fixed_size 0
		.amdhsa_kernarg_size 128
		.amdhsa_user_sgpr_count 2
		.amdhsa_user_sgpr_dispatch_ptr 0
		.amdhsa_user_sgpr_queue_ptr 0
		.amdhsa_user_sgpr_kernarg_segment_ptr 1
		.amdhsa_user_sgpr_dispatch_id 0
		.amdhsa_user_sgpr_private_segment_size 0
		.amdhsa_wavefront_size32 1
		.amdhsa_uses_dynamic_stack 0
		.amdhsa_enable_private_segment 0
		.amdhsa_system_sgpr_workgroup_id_x 1
		.amdhsa_system_sgpr_workgroup_id_y 0
		.amdhsa_system_sgpr_workgroup_id_z 0
		.amdhsa_system_sgpr_workgroup_info 0
		.amdhsa_system_vgpr_workitem_id 0
		.amdhsa_next_free_vgpr 1
		.amdhsa_next_free_sgpr 1
		.amdhsa_reserve_vcc 0
		.amdhsa_float_round_mode_32 0
		.amdhsa_float_round_mode_16_64 0
		.amdhsa_float_denorm_mode_32 3
		.amdhsa_float_denorm_mode_16_64 3
		.amdhsa_fp16_overflow 0
		.amdhsa_workgroup_processor_mode 1
		.amdhsa_memory_ordered 1
		.amdhsa_forward_progress 1
		.amdhsa_inst_pref_size 0
		.amdhsa_round_robin_scheduling 0
		.amdhsa_exception_fp_ieee_invalid_op 0
		.amdhsa_exception_fp_denorm_src 0
		.amdhsa_exception_fp_ieee_div_zero 0
		.amdhsa_exception_fp_ieee_overflow 0
		.amdhsa_exception_fp_ieee_underflow 0
		.amdhsa_exception_fp_ieee_inexact 0
		.amdhsa_exception_int_div_zero 0
	.end_amdhsa_kernel
	.section	.text._ZN7rocprim17ROCPRIM_400000_NS6detail17trampoline_kernelINS0_14default_configENS1_25partition_config_selectorILNS1_17partition_subalgoE5EtNS0_10empty_typeEbEEZZNS1_14partition_implILS5_5ELb0ES3_mN6thrust23THRUST_200600_302600_NS6detail15normal_iteratorINSA_10device_ptrItEEEEPS6_NSA_18transform_iteratorINSB_9not_fun_tI7is_trueItEEENSC_INSD_IbEEEENSA_11use_defaultESO_EENS0_5tupleIJNSA_16discard_iteratorISO_EES6_EEENSQ_IJSG_SG_EEES6_PlJS6_EEE10hipError_tPvRmT3_T4_T5_T6_T7_T9_mT8_P12ihipStream_tbDpT10_ENKUlT_T0_E_clISt17integral_constantIbLb0EES1F_EEDaS1A_S1B_EUlS1A_E_NS1_11comp_targetILNS1_3genE9ELNS1_11target_archE1100ELNS1_3gpuE3ELNS1_3repE0EEENS1_30default_config_static_selectorELNS0_4arch9wavefront6targetE0EEEvT1_,"axG",@progbits,_ZN7rocprim17ROCPRIM_400000_NS6detail17trampoline_kernelINS0_14default_configENS1_25partition_config_selectorILNS1_17partition_subalgoE5EtNS0_10empty_typeEbEEZZNS1_14partition_implILS5_5ELb0ES3_mN6thrust23THRUST_200600_302600_NS6detail15normal_iteratorINSA_10device_ptrItEEEEPS6_NSA_18transform_iteratorINSB_9not_fun_tI7is_trueItEEENSC_INSD_IbEEEENSA_11use_defaultESO_EENS0_5tupleIJNSA_16discard_iteratorISO_EES6_EEENSQ_IJSG_SG_EEES6_PlJS6_EEE10hipError_tPvRmT3_T4_T5_T6_T7_T9_mT8_P12ihipStream_tbDpT10_ENKUlT_T0_E_clISt17integral_constantIbLb0EES1F_EEDaS1A_S1B_EUlS1A_E_NS1_11comp_targetILNS1_3genE9ELNS1_11target_archE1100ELNS1_3gpuE3ELNS1_3repE0EEENS1_30default_config_static_selectorELNS0_4arch9wavefront6targetE0EEEvT1_,comdat
.Lfunc_end2723:
	.size	_ZN7rocprim17ROCPRIM_400000_NS6detail17trampoline_kernelINS0_14default_configENS1_25partition_config_selectorILNS1_17partition_subalgoE5EtNS0_10empty_typeEbEEZZNS1_14partition_implILS5_5ELb0ES3_mN6thrust23THRUST_200600_302600_NS6detail15normal_iteratorINSA_10device_ptrItEEEEPS6_NSA_18transform_iteratorINSB_9not_fun_tI7is_trueItEEENSC_INSD_IbEEEENSA_11use_defaultESO_EENS0_5tupleIJNSA_16discard_iteratorISO_EES6_EEENSQ_IJSG_SG_EEES6_PlJS6_EEE10hipError_tPvRmT3_T4_T5_T6_T7_T9_mT8_P12ihipStream_tbDpT10_ENKUlT_T0_E_clISt17integral_constantIbLb0EES1F_EEDaS1A_S1B_EUlS1A_E_NS1_11comp_targetILNS1_3genE9ELNS1_11target_archE1100ELNS1_3gpuE3ELNS1_3repE0EEENS1_30default_config_static_selectorELNS0_4arch9wavefront6targetE0EEEvT1_, .Lfunc_end2723-_ZN7rocprim17ROCPRIM_400000_NS6detail17trampoline_kernelINS0_14default_configENS1_25partition_config_selectorILNS1_17partition_subalgoE5EtNS0_10empty_typeEbEEZZNS1_14partition_implILS5_5ELb0ES3_mN6thrust23THRUST_200600_302600_NS6detail15normal_iteratorINSA_10device_ptrItEEEEPS6_NSA_18transform_iteratorINSB_9not_fun_tI7is_trueItEEENSC_INSD_IbEEEENSA_11use_defaultESO_EENS0_5tupleIJNSA_16discard_iteratorISO_EES6_EEENSQ_IJSG_SG_EEES6_PlJS6_EEE10hipError_tPvRmT3_T4_T5_T6_T7_T9_mT8_P12ihipStream_tbDpT10_ENKUlT_T0_E_clISt17integral_constantIbLb0EES1F_EEDaS1A_S1B_EUlS1A_E_NS1_11comp_targetILNS1_3genE9ELNS1_11target_archE1100ELNS1_3gpuE3ELNS1_3repE0EEENS1_30default_config_static_selectorELNS0_4arch9wavefront6targetE0EEEvT1_
                                        ; -- End function
	.set _ZN7rocprim17ROCPRIM_400000_NS6detail17trampoline_kernelINS0_14default_configENS1_25partition_config_selectorILNS1_17partition_subalgoE5EtNS0_10empty_typeEbEEZZNS1_14partition_implILS5_5ELb0ES3_mN6thrust23THRUST_200600_302600_NS6detail15normal_iteratorINSA_10device_ptrItEEEEPS6_NSA_18transform_iteratorINSB_9not_fun_tI7is_trueItEEENSC_INSD_IbEEEENSA_11use_defaultESO_EENS0_5tupleIJNSA_16discard_iteratorISO_EES6_EEENSQ_IJSG_SG_EEES6_PlJS6_EEE10hipError_tPvRmT3_T4_T5_T6_T7_T9_mT8_P12ihipStream_tbDpT10_ENKUlT_T0_E_clISt17integral_constantIbLb0EES1F_EEDaS1A_S1B_EUlS1A_E_NS1_11comp_targetILNS1_3genE9ELNS1_11target_archE1100ELNS1_3gpuE3ELNS1_3repE0EEENS1_30default_config_static_selectorELNS0_4arch9wavefront6targetE0EEEvT1_.num_vgpr, 0
	.set _ZN7rocprim17ROCPRIM_400000_NS6detail17trampoline_kernelINS0_14default_configENS1_25partition_config_selectorILNS1_17partition_subalgoE5EtNS0_10empty_typeEbEEZZNS1_14partition_implILS5_5ELb0ES3_mN6thrust23THRUST_200600_302600_NS6detail15normal_iteratorINSA_10device_ptrItEEEEPS6_NSA_18transform_iteratorINSB_9not_fun_tI7is_trueItEEENSC_INSD_IbEEEENSA_11use_defaultESO_EENS0_5tupleIJNSA_16discard_iteratorISO_EES6_EEENSQ_IJSG_SG_EEES6_PlJS6_EEE10hipError_tPvRmT3_T4_T5_T6_T7_T9_mT8_P12ihipStream_tbDpT10_ENKUlT_T0_E_clISt17integral_constantIbLb0EES1F_EEDaS1A_S1B_EUlS1A_E_NS1_11comp_targetILNS1_3genE9ELNS1_11target_archE1100ELNS1_3gpuE3ELNS1_3repE0EEENS1_30default_config_static_selectorELNS0_4arch9wavefront6targetE0EEEvT1_.num_agpr, 0
	.set _ZN7rocprim17ROCPRIM_400000_NS6detail17trampoline_kernelINS0_14default_configENS1_25partition_config_selectorILNS1_17partition_subalgoE5EtNS0_10empty_typeEbEEZZNS1_14partition_implILS5_5ELb0ES3_mN6thrust23THRUST_200600_302600_NS6detail15normal_iteratorINSA_10device_ptrItEEEEPS6_NSA_18transform_iteratorINSB_9not_fun_tI7is_trueItEEENSC_INSD_IbEEEENSA_11use_defaultESO_EENS0_5tupleIJNSA_16discard_iteratorISO_EES6_EEENSQ_IJSG_SG_EEES6_PlJS6_EEE10hipError_tPvRmT3_T4_T5_T6_T7_T9_mT8_P12ihipStream_tbDpT10_ENKUlT_T0_E_clISt17integral_constantIbLb0EES1F_EEDaS1A_S1B_EUlS1A_E_NS1_11comp_targetILNS1_3genE9ELNS1_11target_archE1100ELNS1_3gpuE3ELNS1_3repE0EEENS1_30default_config_static_selectorELNS0_4arch9wavefront6targetE0EEEvT1_.numbered_sgpr, 0
	.set _ZN7rocprim17ROCPRIM_400000_NS6detail17trampoline_kernelINS0_14default_configENS1_25partition_config_selectorILNS1_17partition_subalgoE5EtNS0_10empty_typeEbEEZZNS1_14partition_implILS5_5ELb0ES3_mN6thrust23THRUST_200600_302600_NS6detail15normal_iteratorINSA_10device_ptrItEEEEPS6_NSA_18transform_iteratorINSB_9not_fun_tI7is_trueItEEENSC_INSD_IbEEEENSA_11use_defaultESO_EENS0_5tupleIJNSA_16discard_iteratorISO_EES6_EEENSQ_IJSG_SG_EEES6_PlJS6_EEE10hipError_tPvRmT3_T4_T5_T6_T7_T9_mT8_P12ihipStream_tbDpT10_ENKUlT_T0_E_clISt17integral_constantIbLb0EES1F_EEDaS1A_S1B_EUlS1A_E_NS1_11comp_targetILNS1_3genE9ELNS1_11target_archE1100ELNS1_3gpuE3ELNS1_3repE0EEENS1_30default_config_static_selectorELNS0_4arch9wavefront6targetE0EEEvT1_.num_named_barrier, 0
	.set _ZN7rocprim17ROCPRIM_400000_NS6detail17trampoline_kernelINS0_14default_configENS1_25partition_config_selectorILNS1_17partition_subalgoE5EtNS0_10empty_typeEbEEZZNS1_14partition_implILS5_5ELb0ES3_mN6thrust23THRUST_200600_302600_NS6detail15normal_iteratorINSA_10device_ptrItEEEEPS6_NSA_18transform_iteratorINSB_9not_fun_tI7is_trueItEEENSC_INSD_IbEEEENSA_11use_defaultESO_EENS0_5tupleIJNSA_16discard_iteratorISO_EES6_EEENSQ_IJSG_SG_EEES6_PlJS6_EEE10hipError_tPvRmT3_T4_T5_T6_T7_T9_mT8_P12ihipStream_tbDpT10_ENKUlT_T0_E_clISt17integral_constantIbLb0EES1F_EEDaS1A_S1B_EUlS1A_E_NS1_11comp_targetILNS1_3genE9ELNS1_11target_archE1100ELNS1_3gpuE3ELNS1_3repE0EEENS1_30default_config_static_selectorELNS0_4arch9wavefront6targetE0EEEvT1_.private_seg_size, 0
	.set _ZN7rocprim17ROCPRIM_400000_NS6detail17trampoline_kernelINS0_14default_configENS1_25partition_config_selectorILNS1_17partition_subalgoE5EtNS0_10empty_typeEbEEZZNS1_14partition_implILS5_5ELb0ES3_mN6thrust23THRUST_200600_302600_NS6detail15normal_iteratorINSA_10device_ptrItEEEEPS6_NSA_18transform_iteratorINSB_9not_fun_tI7is_trueItEEENSC_INSD_IbEEEENSA_11use_defaultESO_EENS0_5tupleIJNSA_16discard_iteratorISO_EES6_EEENSQ_IJSG_SG_EEES6_PlJS6_EEE10hipError_tPvRmT3_T4_T5_T6_T7_T9_mT8_P12ihipStream_tbDpT10_ENKUlT_T0_E_clISt17integral_constantIbLb0EES1F_EEDaS1A_S1B_EUlS1A_E_NS1_11comp_targetILNS1_3genE9ELNS1_11target_archE1100ELNS1_3gpuE3ELNS1_3repE0EEENS1_30default_config_static_selectorELNS0_4arch9wavefront6targetE0EEEvT1_.uses_vcc, 0
	.set _ZN7rocprim17ROCPRIM_400000_NS6detail17trampoline_kernelINS0_14default_configENS1_25partition_config_selectorILNS1_17partition_subalgoE5EtNS0_10empty_typeEbEEZZNS1_14partition_implILS5_5ELb0ES3_mN6thrust23THRUST_200600_302600_NS6detail15normal_iteratorINSA_10device_ptrItEEEEPS6_NSA_18transform_iteratorINSB_9not_fun_tI7is_trueItEEENSC_INSD_IbEEEENSA_11use_defaultESO_EENS0_5tupleIJNSA_16discard_iteratorISO_EES6_EEENSQ_IJSG_SG_EEES6_PlJS6_EEE10hipError_tPvRmT3_T4_T5_T6_T7_T9_mT8_P12ihipStream_tbDpT10_ENKUlT_T0_E_clISt17integral_constantIbLb0EES1F_EEDaS1A_S1B_EUlS1A_E_NS1_11comp_targetILNS1_3genE9ELNS1_11target_archE1100ELNS1_3gpuE3ELNS1_3repE0EEENS1_30default_config_static_selectorELNS0_4arch9wavefront6targetE0EEEvT1_.uses_flat_scratch, 0
	.set _ZN7rocprim17ROCPRIM_400000_NS6detail17trampoline_kernelINS0_14default_configENS1_25partition_config_selectorILNS1_17partition_subalgoE5EtNS0_10empty_typeEbEEZZNS1_14partition_implILS5_5ELb0ES3_mN6thrust23THRUST_200600_302600_NS6detail15normal_iteratorINSA_10device_ptrItEEEEPS6_NSA_18transform_iteratorINSB_9not_fun_tI7is_trueItEEENSC_INSD_IbEEEENSA_11use_defaultESO_EENS0_5tupleIJNSA_16discard_iteratorISO_EES6_EEENSQ_IJSG_SG_EEES6_PlJS6_EEE10hipError_tPvRmT3_T4_T5_T6_T7_T9_mT8_P12ihipStream_tbDpT10_ENKUlT_T0_E_clISt17integral_constantIbLb0EES1F_EEDaS1A_S1B_EUlS1A_E_NS1_11comp_targetILNS1_3genE9ELNS1_11target_archE1100ELNS1_3gpuE3ELNS1_3repE0EEENS1_30default_config_static_selectorELNS0_4arch9wavefront6targetE0EEEvT1_.has_dyn_sized_stack, 0
	.set _ZN7rocprim17ROCPRIM_400000_NS6detail17trampoline_kernelINS0_14default_configENS1_25partition_config_selectorILNS1_17partition_subalgoE5EtNS0_10empty_typeEbEEZZNS1_14partition_implILS5_5ELb0ES3_mN6thrust23THRUST_200600_302600_NS6detail15normal_iteratorINSA_10device_ptrItEEEEPS6_NSA_18transform_iteratorINSB_9not_fun_tI7is_trueItEEENSC_INSD_IbEEEENSA_11use_defaultESO_EENS0_5tupleIJNSA_16discard_iteratorISO_EES6_EEENSQ_IJSG_SG_EEES6_PlJS6_EEE10hipError_tPvRmT3_T4_T5_T6_T7_T9_mT8_P12ihipStream_tbDpT10_ENKUlT_T0_E_clISt17integral_constantIbLb0EES1F_EEDaS1A_S1B_EUlS1A_E_NS1_11comp_targetILNS1_3genE9ELNS1_11target_archE1100ELNS1_3gpuE3ELNS1_3repE0EEENS1_30default_config_static_selectorELNS0_4arch9wavefront6targetE0EEEvT1_.has_recursion, 0
	.set _ZN7rocprim17ROCPRIM_400000_NS6detail17trampoline_kernelINS0_14default_configENS1_25partition_config_selectorILNS1_17partition_subalgoE5EtNS0_10empty_typeEbEEZZNS1_14partition_implILS5_5ELb0ES3_mN6thrust23THRUST_200600_302600_NS6detail15normal_iteratorINSA_10device_ptrItEEEEPS6_NSA_18transform_iteratorINSB_9not_fun_tI7is_trueItEEENSC_INSD_IbEEEENSA_11use_defaultESO_EENS0_5tupleIJNSA_16discard_iteratorISO_EES6_EEENSQ_IJSG_SG_EEES6_PlJS6_EEE10hipError_tPvRmT3_T4_T5_T6_T7_T9_mT8_P12ihipStream_tbDpT10_ENKUlT_T0_E_clISt17integral_constantIbLb0EES1F_EEDaS1A_S1B_EUlS1A_E_NS1_11comp_targetILNS1_3genE9ELNS1_11target_archE1100ELNS1_3gpuE3ELNS1_3repE0EEENS1_30default_config_static_selectorELNS0_4arch9wavefront6targetE0EEEvT1_.has_indirect_call, 0
	.section	.AMDGPU.csdata,"",@progbits
; Kernel info:
; codeLenInByte = 0
; TotalNumSgprs: 0
; NumVgprs: 0
; ScratchSize: 0
; MemoryBound: 0
; FloatMode: 240
; IeeeMode: 1
; LDSByteSize: 0 bytes/workgroup (compile time only)
; SGPRBlocks: 0
; VGPRBlocks: 0
; NumSGPRsForWavesPerEU: 1
; NumVGPRsForWavesPerEU: 1
; Occupancy: 16
; WaveLimiterHint : 0
; COMPUTE_PGM_RSRC2:SCRATCH_EN: 0
; COMPUTE_PGM_RSRC2:USER_SGPR: 2
; COMPUTE_PGM_RSRC2:TRAP_HANDLER: 0
; COMPUTE_PGM_RSRC2:TGID_X_EN: 1
; COMPUTE_PGM_RSRC2:TGID_Y_EN: 0
; COMPUTE_PGM_RSRC2:TGID_Z_EN: 0
; COMPUTE_PGM_RSRC2:TIDIG_COMP_CNT: 0
	.section	.text._ZN7rocprim17ROCPRIM_400000_NS6detail17trampoline_kernelINS0_14default_configENS1_25partition_config_selectorILNS1_17partition_subalgoE5EtNS0_10empty_typeEbEEZZNS1_14partition_implILS5_5ELb0ES3_mN6thrust23THRUST_200600_302600_NS6detail15normal_iteratorINSA_10device_ptrItEEEEPS6_NSA_18transform_iteratorINSB_9not_fun_tI7is_trueItEEENSC_INSD_IbEEEENSA_11use_defaultESO_EENS0_5tupleIJNSA_16discard_iteratorISO_EES6_EEENSQ_IJSG_SG_EEES6_PlJS6_EEE10hipError_tPvRmT3_T4_T5_T6_T7_T9_mT8_P12ihipStream_tbDpT10_ENKUlT_T0_E_clISt17integral_constantIbLb0EES1F_EEDaS1A_S1B_EUlS1A_E_NS1_11comp_targetILNS1_3genE8ELNS1_11target_archE1030ELNS1_3gpuE2ELNS1_3repE0EEENS1_30default_config_static_selectorELNS0_4arch9wavefront6targetE0EEEvT1_,"axG",@progbits,_ZN7rocprim17ROCPRIM_400000_NS6detail17trampoline_kernelINS0_14default_configENS1_25partition_config_selectorILNS1_17partition_subalgoE5EtNS0_10empty_typeEbEEZZNS1_14partition_implILS5_5ELb0ES3_mN6thrust23THRUST_200600_302600_NS6detail15normal_iteratorINSA_10device_ptrItEEEEPS6_NSA_18transform_iteratorINSB_9not_fun_tI7is_trueItEEENSC_INSD_IbEEEENSA_11use_defaultESO_EENS0_5tupleIJNSA_16discard_iteratorISO_EES6_EEENSQ_IJSG_SG_EEES6_PlJS6_EEE10hipError_tPvRmT3_T4_T5_T6_T7_T9_mT8_P12ihipStream_tbDpT10_ENKUlT_T0_E_clISt17integral_constantIbLb0EES1F_EEDaS1A_S1B_EUlS1A_E_NS1_11comp_targetILNS1_3genE8ELNS1_11target_archE1030ELNS1_3gpuE2ELNS1_3repE0EEENS1_30default_config_static_selectorELNS0_4arch9wavefront6targetE0EEEvT1_,comdat
	.protected	_ZN7rocprim17ROCPRIM_400000_NS6detail17trampoline_kernelINS0_14default_configENS1_25partition_config_selectorILNS1_17partition_subalgoE5EtNS0_10empty_typeEbEEZZNS1_14partition_implILS5_5ELb0ES3_mN6thrust23THRUST_200600_302600_NS6detail15normal_iteratorINSA_10device_ptrItEEEEPS6_NSA_18transform_iteratorINSB_9not_fun_tI7is_trueItEEENSC_INSD_IbEEEENSA_11use_defaultESO_EENS0_5tupleIJNSA_16discard_iteratorISO_EES6_EEENSQ_IJSG_SG_EEES6_PlJS6_EEE10hipError_tPvRmT3_T4_T5_T6_T7_T9_mT8_P12ihipStream_tbDpT10_ENKUlT_T0_E_clISt17integral_constantIbLb0EES1F_EEDaS1A_S1B_EUlS1A_E_NS1_11comp_targetILNS1_3genE8ELNS1_11target_archE1030ELNS1_3gpuE2ELNS1_3repE0EEENS1_30default_config_static_selectorELNS0_4arch9wavefront6targetE0EEEvT1_ ; -- Begin function _ZN7rocprim17ROCPRIM_400000_NS6detail17trampoline_kernelINS0_14default_configENS1_25partition_config_selectorILNS1_17partition_subalgoE5EtNS0_10empty_typeEbEEZZNS1_14partition_implILS5_5ELb0ES3_mN6thrust23THRUST_200600_302600_NS6detail15normal_iteratorINSA_10device_ptrItEEEEPS6_NSA_18transform_iteratorINSB_9not_fun_tI7is_trueItEEENSC_INSD_IbEEEENSA_11use_defaultESO_EENS0_5tupleIJNSA_16discard_iteratorISO_EES6_EEENSQ_IJSG_SG_EEES6_PlJS6_EEE10hipError_tPvRmT3_T4_T5_T6_T7_T9_mT8_P12ihipStream_tbDpT10_ENKUlT_T0_E_clISt17integral_constantIbLb0EES1F_EEDaS1A_S1B_EUlS1A_E_NS1_11comp_targetILNS1_3genE8ELNS1_11target_archE1030ELNS1_3gpuE2ELNS1_3repE0EEENS1_30default_config_static_selectorELNS0_4arch9wavefront6targetE0EEEvT1_
	.globl	_ZN7rocprim17ROCPRIM_400000_NS6detail17trampoline_kernelINS0_14default_configENS1_25partition_config_selectorILNS1_17partition_subalgoE5EtNS0_10empty_typeEbEEZZNS1_14partition_implILS5_5ELb0ES3_mN6thrust23THRUST_200600_302600_NS6detail15normal_iteratorINSA_10device_ptrItEEEEPS6_NSA_18transform_iteratorINSB_9not_fun_tI7is_trueItEEENSC_INSD_IbEEEENSA_11use_defaultESO_EENS0_5tupleIJNSA_16discard_iteratorISO_EES6_EEENSQ_IJSG_SG_EEES6_PlJS6_EEE10hipError_tPvRmT3_T4_T5_T6_T7_T9_mT8_P12ihipStream_tbDpT10_ENKUlT_T0_E_clISt17integral_constantIbLb0EES1F_EEDaS1A_S1B_EUlS1A_E_NS1_11comp_targetILNS1_3genE8ELNS1_11target_archE1030ELNS1_3gpuE2ELNS1_3repE0EEENS1_30default_config_static_selectorELNS0_4arch9wavefront6targetE0EEEvT1_
	.p2align	8
	.type	_ZN7rocprim17ROCPRIM_400000_NS6detail17trampoline_kernelINS0_14default_configENS1_25partition_config_selectorILNS1_17partition_subalgoE5EtNS0_10empty_typeEbEEZZNS1_14partition_implILS5_5ELb0ES3_mN6thrust23THRUST_200600_302600_NS6detail15normal_iteratorINSA_10device_ptrItEEEEPS6_NSA_18transform_iteratorINSB_9not_fun_tI7is_trueItEEENSC_INSD_IbEEEENSA_11use_defaultESO_EENS0_5tupleIJNSA_16discard_iteratorISO_EES6_EEENSQ_IJSG_SG_EEES6_PlJS6_EEE10hipError_tPvRmT3_T4_T5_T6_T7_T9_mT8_P12ihipStream_tbDpT10_ENKUlT_T0_E_clISt17integral_constantIbLb0EES1F_EEDaS1A_S1B_EUlS1A_E_NS1_11comp_targetILNS1_3genE8ELNS1_11target_archE1030ELNS1_3gpuE2ELNS1_3repE0EEENS1_30default_config_static_selectorELNS0_4arch9wavefront6targetE0EEEvT1_,@function
_ZN7rocprim17ROCPRIM_400000_NS6detail17trampoline_kernelINS0_14default_configENS1_25partition_config_selectorILNS1_17partition_subalgoE5EtNS0_10empty_typeEbEEZZNS1_14partition_implILS5_5ELb0ES3_mN6thrust23THRUST_200600_302600_NS6detail15normal_iteratorINSA_10device_ptrItEEEEPS6_NSA_18transform_iteratorINSB_9not_fun_tI7is_trueItEEENSC_INSD_IbEEEENSA_11use_defaultESO_EENS0_5tupleIJNSA_16discard_iteratorISO_EES6_EEENSQ_IJSG_SG_EEES6_PlJS6_EEE10hipError_tPvRmT3_T4_T5_T6_T7_T9_mT8_P12ihipStream_tbDpT10_ENKUlT_T0_E_clISt17integral_constantIbLb0EES1F_EEDaS1A_S1B_EUlS1A_E_NS1_11comp_targetILNS1_3genE8ELNS1_11target_archE1030ELNS1_3gpuE2ELNS1_3repE0EEENS1_30default_config_static_selectorELNS0_4arch9wavefront6targetE0EEEvT1_: ; @_ZN7rocprim17ROCPRIM_400000_NS6detail17trampoline_kernelINS0_14default_configENS1_25partition_config_selectorILNS1_17partition_subalgoE5EtNS0_10empty_typeEbEEZZNS1_14partition_implILS5_5ELb0ES3_mN6thrust23THRUST_200600_302600_NS6detail15normal_iteratorINSA_10device_ptrItEEEEPS6_NSA_18transform_iteratorINSB_9not_fun_tI7is_trueItEEENSC_INSD_IbEEEENSA_11use_defaultESO_EENS0_5tupleIJNSA_16discard_iteratorISO_EES6_EEENSQ_IJSG_SG_EEES6_PlJS6_EEE10hipError_tPvRmT3_T4_T5_T6_T7_T9_mT8_P12ihipStream_tbDpT10_ENKUlT_T0_E_clISt17integral_constantIbLb0EES1F_EEDaS1A_S1B_EUlS1A_E_NS1_11comp_targetILNS1_3genE8ELNS1_11target_archE1030ELNS1_3gpuE2ELNS1_3repE0EEENS1_30default_config_static_selectorELNS0_4arch9wavefront6targetE0EEEvT1_
; %bb.0:
	.section	.rodata,"a",@progbits
	.p2align	6, 0x0
	.amdhsa_kernel _ZN7rocprim17ROCPRIM_400000_NS6detail17trampoline_kernelINS0_14default_configENS1_25partition_config_selectorILNS1_17partition_subalgoE5EtNS0_10empty_typeEbEEZZNS1_14partition_implILS5_5ELb0ES3_mN6thrust23THRUST_200600_302600_NS6detail15normal_iteratorINSA_10device_ptrItEEEEPS6_NSA_18transform_iteratorINSB_9not_fun_tI7is_trueItEEENSC_INSD_IbEEEENSA_11use_defaultESO_EENS0_5tupleIJNSA_16discard_iteratorISO_EES6_EEENSQ_IJSG_SG_EEES6_PlJS6_EEE10hipError_tPvRmT3_T4_T5_T6_T7_T9_mT8_P12ihipStream_tbDpT10_ENKUlT_T0_E_clISt17integral_constantIbLb0EES1F_EEDaS1A_S1B_EUlS1A_E_NS1_11comp_targetILNS1_3genE8ELNS1_11target_archE1030ELNS1_3gpuE2ELNS1_3repE0EEENS1_30default_config_static_selectorELNS0_4arch9wavefront6targetE0EEEvT1_
		.amdhsa_group_segment_fixed_size 0
		.amdhsa_private_segment_fixed_size 0
		.amdhsa_kernarg_size 128
		.amdhsa_user_sgpr_count 2
		.amdhsa_user_sgpr_dispatch_ptr 0
		.amdhsa_user_sgpr_queue_ptr 0
		.amdhsa_user_sgpr_kernarg_segment_ptr 1
		.amdhsa_user_sgpr_dispatch_id 0
		.amdhsa_user_sgpr_private_segment_size 0
		.amdhsa_wavefront_size32 1
		.amdhsa_uses_dynamic_stack 0
		.amdhsa_enable_private_segment 0
		.amdhsa_system_sgpr_workgroup_id_x 1
		.amdhsa_system_sgpr_workgroup_id_y 0
		.amdhsa_system_sgpr_workgroup_id_z 0
		.amdhsa_system_sgpr_workgroup_info 0
		.amdhsa_system_vgpr_workitem_id 0
		.amdhsa_next_free_vgpr 1
		.amdhsa_next_free_sgpr 1
		.amdhsa_reserve_vcc 0
		.amdhsa_float_round_mode_32 0
		.amdhsa_float_round_mode_16_64 0
		.amdhsa_float_denorm_mode_32 3
		.amdhsa_float_denorm_mode_16_64 3
		.amdhsa_fp16_overflow 0
		.amdhsa_workgroup_processor_mode 1
		.amdhsa_memory_ordered 1
		.amdhsa_forward_progress 1
		.amdhsa_inst_pref_size 0
		.amdhsa_round_robin_scheduling 0
		.amdhsa_exception_fp_ieee_invalid_op 0
		.amdhsa_exception_fp_denorm_src 0
		.amdhsa_exception_fp_ieee_div_zero 0
		.amdhsa_exception_fp_ieee_overflow 0
		.amdhsa_exception_fp_ieee_underflow 0
		.amdhsa_exception_fp_ieee_inexact 0
		.amdhsa_exception_int_div_zero 0
	.end_amdhsa_kernel
	.section	.text._ZN7rocprim17ROCPRIM_400000_NS6detail17trampoline_kernelINS0_14default_configENS1_25partition_config_selectorILNS1_17partition_subalgoE5EtNS0_10empty_typeEbEEZZNS1_14partition_implILS5_5ELb0ES3_mN6thrust23THRUST_200600_302600_NS6detail15normal_iteratorINSA_10device_ptrItEEEEPS6_NSA_18transform_iteratorINSB_9not_fun_tI7is_trueItEEENSC_INSD_IbEEEENSA_11use_defaultESO_EENS0_5tupleIJNSA_16discard_iteratorISO_EES6_EEENSQ_IJSG_SG_EEES6_PlJS6_EEE10hipError_tPvRmT3_T4_T5_T6_T7_T9_mT8_P12ihipStream_tbDpT10_ENKUlT_T0_E_clISt17integral_constantIbLb0EES1F_EEDaS1A_S1B_EUlS1A_E_NS1_11comp_targetILNS1_3genE8ELNS1_11target_archE1030ELNS1_3gpuE2ELNS1_3repE0EEENS1_30default_config_static_selectorELNS0_4arch9wavefront6targetE0EEEvT1_,"axG",@progbits,_ZN7rocprim17ROCPRIM_400000_NS6detail17trampoline_kernelINS0_14default_configENS1_25partition_config_selectorILNS1_17partition_subalgoE5EtNS0_10empty_typeEbEEZZNS1_14partition_implILS5_5ELb0ES3_mN6thrust23THRUST_200600_302600_NS6detail15normal_iteratorINSA_10device_ptrItEEEEPS6_NSA_18transform_iteratorINSB_9not_fun_tI7is_trueItEEENSC_INSD_IbEEEENSA_11use_defaultESO_EENS0_5tupleIJNSA_16discard_iteratorISO_EES6_EEENSQ_IJSG_SG_EEES6_PlJS6_EEE10hipError_tPvRmT3_T4_T5_T6_T7_T9_mT8_P12ihipStream_tbDpT10_ENKUlT_T0_E_clISt17integral_constantIbLb0EES1F_EEDaS1A_S1B_EUlS1A_E_NS1_11comp_targetILNS1_3genE8ELNS1_11target_archE1030ELNS1_3gpuE2ELNS1_3repE0EEENS1_30default_config_static_selectorELNS0_4arch9wavefront6targetE0EEEvT1_,comdat
.Lfunc_end2724:
	.size	_ZN7rocprim17ROCPRIM_400000_NS6detail17trampoline_kernelINS0_14default_configENS1_25partition_config_selectorILNS1_17partition_subalgoE5EtNS0_10empty_typeEbEEZZNS1_14partition_implILS5_5ELb0ES3_mN6thrust23THRUST_200600_302600_NS6detail15normal_iteratorINSA_10device_ptrItEEEEPS6_NSA_18transform_iteratorINSB_9not_fun_tI7is_trueItEEENSC_INSD_IbEEEENSA_11use_defaultESO_EENS0_5tupleIJNSA_16discard_iteratorISO_EES6_EEENSQ_IJSG_SG_EEES6_PlJS6_EEE10hipError_tPvRmT3_T4_T5_T6_T7_T9_mT8_P12ihipStream_tbDpT10_ENKUlT_T0_E_clISt17integral_constantIbLb0EES1F_EEDaS1A_S1B_EUlS1A_E_NS1_11comp_targetILNS1_3genE8ELNS1_11target_archE1030ELNS1_3gpuE2ELNS1_3repE0EEENS1_30default_config_static_selectorELNS0_4arch9wavefront6targetE0EEEvT1_, .Lfunc_end2724-_ZN7rocprim17ROCPRIM_400000_NS6detail17trampoline_kernelINS0_14default_configENS1_25partition_config_selectorILNS1_17partition_subalgoE5EtNS0_10empty_typeEbEEZZNS1_14partition_implILS5_5ELb0ES3_mN6thrust23THRUST_200600_302600_NS6detail15normal_iteratorINSA_10device_ptrItEEEEPS6_NSA_18transform_iteratorINSB_9not_fun_tI7is_trueItEEENSC_INSD_IbEEEENSA_11use_defaultESO_EENS0_5tupleIJNSA_16discard_iteratorISO_EES6_EEENSQ_IJSG_SG_EEES6_PlJS6_EEE10hipError_tPvRmT3_T4_T5_T6_T7_T9_mT8_P12ihipStream_tbDpT10_ENKUlT_T0_E_clISt17integral_constantIbLb0EES1F_EEDaS1A_S1B_EUlS1A_E_NS1_11comp_targetILNS1_3genE8ELNS1_11target_archE1030ELNS1_3gpuE2ELNS1_3repE0EEENS1_30default_config_static_selectorELNS0_4arch9wavefront6targetE0EEEvT1_
                                        ; -- End function
	.set _ZN7rocprim17ROCPRIM_400000_NS6detail17trampoline_kernelINS0_14default_configENS1_25partition_config_selectorILNS1_17partition_subalgoE5EtNS0_10empty_typeEbEEZZNS1_14partition_implILS5_5ELb0ES3_mN6thrust23THRUST_200600_302600_NS6detail15normal_iteratorINSA_10device_ptrItEEEEPS6_NSA_18transform_iteratorINSB_9not_fun_tI7is_trueItEEENSC_INSD_IbEEEENSA_11use_defaultESO_EENS0_5tupleIJNSA_16discard_iteratorISO_EES6_EEENSQ_IJSG_SG_EEES6_PlJS6_EEE10hipError_tPvRmT3_T4_T5_T6_T7_T9_mT8_P12ihipStream_tbDpT10_ENKUlT_T0_E_clISt17integral_constantIbLb0EES1F_EEDaS1A_S1B_EUlS1A_E_NS1_11comp_targetILNS1_3genE8ELNS1_11target_archE1030ELNS1_3gpuE2ELNS1_3repE0EEENS1_30default_config_static_selectorELNS0_4arch9wavefront6targetE0EEEvT1_.num_vgpr, 0
	.set _ZN7rocprim17ROCPRIM_400000_NS6detail17trampoline_kernelINS0_14default_configENS1_25partition_config_selectorILNS1_17partition_subalgoE5EtNS0_10empty_typeEbEEZZNS1_14partition_implILS5_5ELb0ES3_mN6thrust23THRUST_200600_302600_NS6detail15normal_iteratorINSA_10device_ptrItEEEEPS6_NSA_18transform_iteratorINSB_9not_fun_tI7is_trueItEEENSC_INSD_IbEEEENSA_11use_defaultESO_EENS0_5tupleIJNSA_16discard_iteratorISO_EES6_EEENSQ_IJSG_SG_EEES6_PlJS6_EEE10hipError_tPvRmT3_T4_T5_T6_T7_T9_mT8_P12ihipStream_tbDpT10_ENKUlT_T0_E_clISt17integral_constantIbLb0EES1F_EEDaS1A_S1B_EUlS1A_E_NS1_11comp_targetILNS1_3genE8ELNS1_11target_archE1030ELNS1_3gpuE2ELNS1_3repE0EEENS1_30default_config_static_selectorELNS0_4arch9wavefront6targetE0EEEvT1_.num_agpr, 0
	.set _ZN7rocprim17ROCPRIM_400000_NS6detail17trampoline_kernelINS0_14default_configENS1_25partition_config_selectorILNS1_17partition_subalgoE5EtNS0_10empty_typeEbEEZZNS1_14partition_implILS5_5ELb0ES3_mN6thrust23THRUST_200600_302600_NS6detail15normal_iteratorINSA_10device_ptrItEEEEPS6_NSA_18transform_iteratorINSB_9not_fun_tI7is_trueItEEENSC_INSD_IbEEEENSA_11use_defaultESO_EENS0_5tupleIJNSA_16discard_iteratorISO_EES6_EEENSQ_IJSG_SG_EEES6_PlJS6_EEE10hipError_tPvRmT3_T4_T5_T6_T7_T9_mT8_P12ihipStream_tbDpT10_ENKUlT_T0_E_clISt17integral_constantIbLb0EES1F_EEDaS1A_S1B_EUlS1A_E_NS1_11comp_targetILNS1_3genE8ELNS1_11target_archE1030ELNS1_3gpuE2ELNS1_3repE0EEENS1_30default_config_static_selectorELNS0_4arch9wavefront6targetE0EEEvT1_.numbered_sgpr, 0
	.set _ZN7rocprim17ROCPRIM_400000_NS6detail17trampoline_kernelINS0_14default_configENS1_25partition_config_selectorILNS1_17partition_subalgoE5EtNS0_10empty_typeEbEEZZNS1_14partition_implILS5_5ELb0ES3_mN6thrust23THRUST_200600_302600_NS6detail15normal_iteratorINSA_10device_ptrItEEEEPS6_NSA_18transform_iteratorINSB_9not_fun_tI7is_trueItEEENSC_INSD_IbEEEENSA_11use_defaultESO_EENS0_5tupleIJNSA_16discard_iteratorISO_EES6_EEENSQ_IJSG_SG_EEES6_PlJS6_EEE10hipError_tPvRmT3_T4_T5_T6_T7_T9_mT8_P12ihipStream_tbDpT10_ENKUlT_T0_E_clISt17integral_constantIbLb0EES1F_EEDaS1A_S1B_EUlS1A_E_NS1_11comp_targetILNS1_3genE8ELNS1_11target_archE1030ELNS1_3gpuE2ELNS1_3repE0EEENS1_30default_config_static_selectorELNS0_4arch9wavefront6targetE0EEEvT1_.num_named_barrier, 0
	.set _ZN7rocprim17ROCPRIM_400000_NS6detail17trampoline_kernelINS0_14default_configENS1_25partition_config_selectorILNS1_17partition_subalgoE5EtNS0_10empty_typeEbEEZZNS1_14partition_implILS5_5ELb0ES3_mN6thrust23THRUST_200600_302600_NS6detail15normal_iteratorINSA_10device_ptrItEEEEPS6_NSA_18transform_iteratorINSB_9not_fun_tI7is_trueItEEENSC_INSD_IbEEEENSA_11use_defaultESO_EENS0_5tupleIJNSA_16discard_iteratorISO_EES6_EEENSQ_IJSG_SG_EEES6_PlJS6_EEE10hipError_tPvRmT3_T4_T5_T6_T7_T9_mT8_P12ihipStream_tbDpT10_ENKUlT_T0_E_clISt17integral_constantIbLb0EES1F_EEDaS1A_S1B_EUlS1A_E_NS1_11comp_targetILNS1_3genE8ELNS1_11target_archE1030ELNS1_3gpuE2ELNS1_3repE0EEENS1_30default_config_static_selectorELNS0_4arch9wavefront6targetE0EEEvT1_.private_seg_size, 0
	.set _ZN7rocprim17ROCPRIM_400000_NS6detail17trampoline_kernelINS0_14default_configENS1_25partition_config_selectorILNS1_17partition_subalgoE5EtNS0_10empty_typeEbEEZZNS1_14partition_implILS5_5ELb0ES3_mN6thrust23THRUST_200600_302600_NS6detail15normal_iteratorINSA_10device_ptrItEEEEPS6_NSA_18transform_iteratorINSB_9not_fun_tI7is_trueItEEENSC_INSD_IbEEEENSA_11use_defaultESO_EENS0_5tupleIJNSA_16discard_iteratorISO_EES6_EEENSQ_IJSG_SG_EEES6_PlJS6_EEE10hipError_tPvRmT3_T4_T5_T6_T7_T9_mT8_P12ihipStream_tbDpT10_ENKUlT_T0_E_clISt17integral_constantIbLb0EES1F_EEDaS1A_S1B_EUlS1A_E_NS1_11comp_targetILNS1_3genE8ELNS1_11target_archE1030ELNS1_3gpuE2ELNS1_3repE0EEENS1_30default_config_static_selectorELNS0_4arch9wavefront6targetE0EEEvT1_.uses_vcc, 0
	.set _ZN7rocprim17ROCPRIM_400000_NS6detail17trampoline_kernelINS0_14default_configENS1_25partition_config_selectorILNS1_17partition_subalgoE5EtNS0_10empty_typeEbEEZZNS1_14partition_implILS5_5ELb0ES3_mN6thrust23THRUST_200600_302600_NS6detail15normal_iteratorINSA_10device_ptrItEEEEPS6_NSA_18transform_iteratorINSB_9not_fun_tI7is_trueItEEENSC_INSD_IbEEEENSA_11use_defaultESO_EENS0_5tupleIJNSA_16discard_iteratorISO_EES6_EEENSQ_IJSG_SG_EEES6_PlJS6_EEE10hipError_tPvRmT3_T4_T5_T6_T7_T9_mT8_P12ihipStream_tbDpT10_ENKUlT_T0_E_clISt17integral_constantIbLb0EES1F_EEDaS1A_S1B_EUlS1A_E_NS1_11comp_targetILNS1_3genE8ELNS1_11target_archE1030ELNS1_3gpuE2ELNS1_3repE0EEENS1_30default_config_static_selectorELNS0_4arch9wavefront6targetE0EEEvT1_.uses_flat_scratch, 0
	.set _ZN7rocprim17ROCPRIM_400000_NS6detail17trampoline_kernelINS0_14default_configENS1_25partition_config_selectorILNS1_17partition_subalgoE5EtNS0_10empty_typeEbEEZZNS1_14partition_implILS5_5ELb0ES3_mN6thrust23THRUST_200600_302600_NS6detail15normal_iteratorINSA_10device_ptrItEEEEPS6_NSA_18transform_iteratorINSB_9not_fun_tI7is_trueItEEENSC_INSD_IbEEEENSA_11use_defaultESO_EENS0_5tupleIJNSA_16discard_iteratorISO_EES6_EEENSQ_IJSG_SG_EEES6_PlJS6_EEE10hipError_tPvRmT3_T4_T5_T6_T7_T9_mT8_P12ihipStream_tbDpT10_ENKUlT_T0_E_clISt17integral_constantIbLb0EES1F_EEDaS1A_S1B_EUlS1A_E_NS1_11comp_targetILNS1_3genE8ELNS1_11target_archE1030ELNS1_3gpuE2ELNS1_3repE0EEENS1_30default_config_static_selectorELNS0_4arch9wavefront6targetE0EEEvT1_.has_dyn_sized_stack, 0
	.set _ZN7rocprim17ROCPRIM_400000_NS6detail17trampoline_kernelINS0_14default_configENS1_25partition_config_selectorILNS1_17partition_subalgoE5EtNS0_10empty_typeEbEEZZNS1_14partition_implILS5_5ELb0ES3_mN6thrust23THRUST_200600_302600_NS6detail15normal_iteratorINSA_10device_ptrItEEEEPS6_NSA_18transform_iteratorINSB_9not_fun_tI7is_trueItEEENSC_INSD_IbEEEENSA_11use_defaultESO_EENS0_5tupleIJNSA_16discard_iteratorISO_EES6_EEENSQ_IJSG_SG_EEES6_PlJS6_EEE10hipError_tPvRmT3_T4_T5_T6_T7_T9_mT8_P12ihipStream_tbDpT10_ENKUlT_T0_E_clISt17integral_constantIbLb0EES1F_EEDaS1A_S1B_EUlS1A_E_NS1_11comp_targetILNS1_3genE8ELNS1_11target_archE1030ELNS1_3gpuE2ELNS1_3repE0EEENS1_30default_config_static_selectorELNS0_4arch9wavefront6targetE0EEEvT1_.has_recursion, 0
	.set _ZN7rocprim17ROCPRIM_400000_NS6detail17trampoline_kernelINS0_14default_configENS1_25partition_config_selectorILNS1_17partition_subalgoE5EtNS0_10empty_typeEbEEZZNS1_14partition_implILS5_5ELb0ES3_mN6thrust23THRUST_200600_302600_NS6detail15normal_iteratorINSA_10device_ptrItEEEEPS6_NSA_18transform_iteratorINSB_9not_fun_tI7is_trueItEEENSC_INSD_IbEEEENSA_11use_defaultESO_EENS0_5tupleIJNSA_16discard_iteratorISO_EES6_EEENSQ_IJSG_SG_EEES6_PlJS6_EEE10hipError_tPvRmT3_T4_T5_T6_T7_T9_mT8_P12ihipStream_tbDpT10_ENKUlT_T0_E_clISt17integral_constantIbLb0EES1F_EEDaS1A_S1B_EUlS1A_E_NS1_11comp_targetILNS1_3genE8ELNS1_11target_archE1030ELNS1_3gpuE2ELNS1_3repE0EEENS1_30default_config_static_selectorELNS0_4arch9wavefront6targetE0EEEvT1_.has_indirect_call, 0
	.section	.AMDGPU.csdata,"",@progbits
; Kernel info:
; codeLenInByte = 0
; TotalNumSgprs: 0
; NumVgprs: 0
; ScratchSize: 0
; MemoryBound: 0
; FloatMode: 240
; IeeeMode: 1
; LDSByteSize: 0 bytes/workgroup (compile time only)
; SGPRBlocks: 0
; VGPRBlocks: 0
; NumSGPRsForWavesPerEU: 1
; NumVGPRsForWavesPerEU: 1
; Occupancy: 16
; WaveLimiterHint : 0
; COMPUTE_PGM_RSRC2:SCRATCH_EN: 0
; COMPUTE_PGM_RSRC2:USER_SGPR: 2
; COMPUTE_PGM_RSRC2:TRAP_HANDLER: 0
; COMPUTE_PGM_RSRC2:TGID_X_EN: 1
; COMPUTE_PGM_RSRC2:TGID_Y_EN: 0
; COMPUTE_PGM_RSRC2:TGID_Z_EN: 0
; COMPUTE_PGM_RSRC2:TIDIG_COMP_CNT: 0
	.section	.text._ZN7rocprim17ROCPRIM_400000_NS6detail17trampoline_kernelINS0_14default_configENS1_25partition_config_selectorILNS1_17partition_subalgoE5EtNS0_10empty_typeEbEEZZNS1_14partition_implILS5_5ELb0ES3_mN6thrust23THRUST_200600_302600_NS6detail15normal_iteratorINSA_10device_ptrItEEEEPS6_NSA_18transform_iteratorINSB_9not_fun_tI7is_trueItEEENSC_INSD_IbEEEENSA_11use_defaultESO_EENS0_5tupleIJNSA_16discard_iteratorISO_EES6_EEENSQ_IJSG_SG_EEES6_PlJS6_EEE10hipError_tPvRmT3_T4_T5_T6_T7_T9_mT8_P12ihipStream_tbDpT10_ENKUlT_T0_E_clISt17integral_constantIbLb1EES1F_EEDaS1A_S1B_EUlS1A_E_NS1_11comp_targetILNS1_3genE0ELNS1_11target_archE4294967295ELNS1_3gpuE0ELNS1_3repE0EEENS1_30default_config_static_selectorELNS0_4arch9wavefront6targetE0EEEvT1_,"axG",@progbits,_ZN7rocprim17ROCPRIM_400000_NS6detail17trampoline_kernelINS0_14default_configENS1_25partition_config_selectorILNS1_17partition_subalgoE5EtNS0_10empty_typeEbEEZZNS1_14partition_implILS5_5ELb0ES3_mN6thrust23THRUST_200600_302600_NS6detail15normal_iteratorINSA_10device_ptrItEEEEPS6_NSA_18transform_iteratorINSB_9not_fun_tI7is_trueItEEENSC_INSD_IbEEEENSA_11use_defaultESO_EENS0_5tupleIJNSA_16discard_iteratorISO_EES6_EEENSQ_IJSG_SG_EEES6_PlJS6_EEE10hipError_tPvRmT3_T4_T5_T6_T7_T9_mT8_P12ihipStream_tbDpT10_ENKUlT_T0_E_clISt17integral_constantIbLb1EES1F_EEDaS1A_S1B_EUlS1A_E_NS1_11comp_targetILNS1_3genE0ELNS1_11target_archE4294967295ELNS1_3gpuE0ELNS1_3repE0EEENS1_30default_config_static_selectorELNS0_4arch9wavefront6targetE0EEEvT1_,comdat
	.protected	_ZN7rocprim17ROCPRIM_400000_NS6detail17trampoline_kernelINS0_14default_configENS1_25partition_config_selectorILNS1_17partition_subalgoE5EtNS0_10empty_typeEbEEZZNS1_14partition_implILS5_5ELb0ES3_mN6thrust23THRUST_200600_302600_NS6detail15normal_iteratorINSA_10device_ptrItEEEEPS6_NSA_18transform_iteratorINSB_9not_fun_tI7is_trueItEEENSC_INSD_IbEEEENSA_11use_defaultESO_EENS0_5tupleIJNSA_16discard_iteratorISO_EES6_EEENSQ_IJSG_SG_EEES6_PlJS6_EEE10hipError_tPvRmT3_T4_T5_T6_T7_T9_mT8_P12ihipStream_tbDpT10_ENKUlT_T0_E_clISt17integral_constantIbLb1EES1F_EEDaS1A_S1B_EUlS1A_E_NS1_11comp_targetILNS1_3genE0ELNS1_11target_archE4294967295ELNS1_3gpuE0ELNS1_3repE0EEENS1_30default_config_static_selectorELNS0_4arch9wavefront6targetE0EEEvT1_ ; -- Begin function _ZN7rocprim17ROCPRIM_400000_NS6detail17trampoline_kernelINS0_14default_configENS1_25partition_config_selectorILNS1_17partition_subalgoE5EtNS0_10empty_typeEbEEZZNS1_14partition_implILS5_5ELb0ES3_mN6thrust23THRUST_200600_302600_NS6detail15normal_iteratorINSA_10device_ptrItEEEEPS6_NSA_18transform_iteratorINSB_9not_fun_tI7is_trueItEEENSC_INSD_IbEEEENSA_11use_defaultESO_EENS0_5tupleIJNSA_16discard_iteratorISO_EES6_EEENSQ_IJSG_SG_EEES6_PlJS6_EEE10hipError_tPvRmT3_T4_T5_T6_T7_T9_mT8_P12ihipStream_tbDpT10_ENKUlT_T0_E_clISt17integral_constantIbLb1EES1F_EEDaS1A_S1B_EUlS1A_E_NS1_11comp_targetILNS1_3genE0ELNS1_11target_archE4294967295ELNS1_3gpuE0ELNS1_3repE0EEENS1_30default_config_static_selectorELNS0_4arch9wavefront6targetE0EEEvT1_
	.globl	_ZN7rocprim17ROCPRIM_400000_NS6detail17trampoline_kernelINS0_14default_configENS1_25partition_config_selectorILNS1_17partition_subalgoE5EtNS0_10empty_typeEbEEZZNS1_14partition_implILS5_5ELb0ES3_mN6thrust23THRUST_200600_302600_NS6detail15normal_iteratorINSA_10device_ptrItEEEEPS6_NSA_18transform_iteratorINSB_9not_fun_tI7is_trueItEEENSC_INSD_IbEEEENSA_11use_defaultESO_EENS0_5tupleIJNSA_16discard_iteratorISO_EES6_EEENSQ_IJSG_SG_EEES6_PlJS6_EEE10hipError_tPvRmT3_T4_T5_T6_T7_T9_mT8_P12ihipStream_tbDpT10_ENKUlT_T0_E_clISt17integral_constantIbLb1EES1F_EEDaS1A_S1B_EUlS1A_E_NS1_11comp_targetILNS1_3genE0ELNS1_11target_archE4294967295ELNS1_3gpuE0ELNS1_3repE0EEENS1_30default_config_static_selectorELNS0_4arch9wavefront6targetE0EEEvT1_
	.p2align	8
	.type	_ZN7rocprim17ROCPRIM_400000_NS6detail17trampoline_kernelINS0_14default_configENS1_25partition_config_selectorILNS1_17partition_subalgoE5EtNS0_10empty_typeEbEEZZNS1_14partition_implILS5_5ELb0ES3_mN6thrust23THRUST_200600_302600_NS6detail15normal_iteratorINSA_10device_ptrItEEEEPS6_NSA_18transform_iteratorINSB_9not_fun_tI7is_trueItEEENSC_INSD_IbEEEENSA_11use_defaultESO_EENS0_5tupleIJNSA_16discard_iteratorISO_EES6_EEENSQ_IJSG_SG_EEES6_PlJS6_EEE10hipError_tPvRmT3_T4_T5_T6_T7_T9_mT8_P12ihipStream_tbDpT10_ENKUlT_T0_E_clISt17integral_constantIbLb1EES1F_EEDaS1A_S1B_EUlS1A_E_NS1_11comp_targetILNS1_3genE0ELNS1_11target_archE4294967295ELNS1_3gpuE0ELNS1_3repE0EEENS1_30default_config_static_selectorELNS0_4arch9wavefront6targetE0EEEvT1_,@function
_ZN7rocprim17ROCPRIM_400000_NS6detail17trampoline_kernelINS0_14default_configENS1_25partition_config_selectorILNS1_17partition_subalgoE5EtNS0_10empty_typeEbEEZZNS1_14partition_implILS5_5ELb0ES3_mN6thrust23THRUST_200600_302600_NS6detail15normal_iteratorINSA_10device_ptrItEEEEPS6_NSA_18transform_iteratorINSB_9not_fun_tI7is_trueItEEENSC_INSD_IbEEEENSA_11use_defaultESO_EENS0_5tupleIJNSA_16discard_iteratorISO_EES6_EEENSQ_IJSG_SG_EEES6_PlJS6_EEE10hipError_tPvRmT3_T4_T5_T6_T7_T9_mT8_P12ihipStream_tbDpT10_ENKUlT_T0_E_clISt17integral_constantIbLb1EES1F_EEDaS1A_S1B_EUlS1A_E_NS1_11comp_targetILNS1_3genE0ELNS1_11target_archE4294967295ELNS1_3gpuE0ELNS1_3repE0EEENS1_30default_config_static_selectorELNS0_4arch9wavefront6targetE0EEEvT1_: ; @_ZN7rocprim17ROCPRIM_400000_NS6detail17trampoline_kernelINS0_14default_configENS1_25partition_config_selectorILNS1_17partition_subalgoE5EtNS0_10empty_typeEbEEZZNS1_14partition_implILS5_5ELb0ES3_mN6thrust23THRUST_200600_302600_NS6detail15normal_iteratorINSA_10device_ptrItEEEEPS6_NSA_18transform_iteratorINSB_9not_fun_tI7is_trueItEEENSC_INSD_IbEEEENSA_11use_defaultESO_EENS0_5tupleIJNSA_16discard_iteratorISO_EES6_EEENSQ_IJSG_SG_EEES6_PlJS6_EEE10hipError_tPvRmT3_T4_T5_T6_T7_T9_mT8_P12ihipStream_tbDpT10_ENKUlT_T0_E_clISt17integral_constantIbLb1EES1F_EEDaS1A_S1B_EUlS1A_E_NS1_11comp_targetILNS1_3genE0ELNS1_11target_archE4294967295ELNS1_3gpuE0ELNS1_3repE0EEENS1_30default_config_static_selectorELNS0_4arch9wavefront6targetE0EEEvT1_
; %bb.0:
	.section	.rodata,"a",@progbits
	.p2align	6, 0x0
	.amdhsa_kernel _ZN7rocprim17ROCPRIM_400000_NS6detail17trampoline_kernelINS0_14default_configENS1_25partition_config_selectorILNS1_17partition_subalgoE5EtNS0_10empty_typeEbEEZZNS1_14partition_implILS5_5ELb0ES3_mN6thrust23THRUST_200600_302600_NS6detail15normal_iteratorINSA_10device_ptrItEEEEPS6_NSA_18transform_iteratorINSB_9not_fun_tI7is_trueItEEENSC_INSD_IbEEEENSA_11use_defaultESO_EENS0_5tupleIJNSA_16discard_iteratorISO_EES6_EEENSQ_IJSG_SG_EEES6_PlJS6_EEE10hipError_tPvRmT3_T4_T5_T6_T7_T9_mT8_P12ihipStream_tbDpT10_ENKUlT_T0_E_clISt17integral_constantIbLb1EES1F_EEDaS1A_S1B_EUlS1A_E_NS1_11comp_targetILNS1_3genE0ELNS1_11target_archE4294967295ELNS1_3gpuE0ELNS1_3repE0EEENS1_30default_config_static_selectorELNS0_4arch9wavefront6targetE0EEEvT1_
		.amdhsa_group_segment_fixed_size 0
		.amdhsa_private_segment_fixed_size 0
		.amdhsa_kernarg_size 144
		.amdhsa_user_sgpr_count 2
		.amdhsa_user_sgpr_dispatch_ptr 0
		.amdhsa_user_sgpr_queue_ptr 0
		.amdhsa_user_sgpr_kernarg_segment_ptr 1
		.amdhsa_user_sgpr_dispatch_id 0
		.amdhsa_user_sgpr_private_segment_size 0
		.amdhsa_wavefront_size32 1
		.amdhsa_uses_dynamic_stack 0
		.amdhsa_enable_private_segment 0
		.amdhsa_system_sgpr_workgroup_id_x 1
		.amdhsa_system_sgpr_workgroup_id_y 0
		.amdhsa_system_sgpr_workgroup_id_z 0
		.amdhsa_system_sgpr_workgroup_info 0
		.amdhsa_system_vgpr_workitem_id 0
		.amdhsa_next_free_vgpr 1
		.amdhsa_next_free_sgpr 1
		.amdhsa_reserve_vcc 0
		.amdhsa_float_round_mode_32 0
		.amdhsa_float_round_mode_16_64 0
		.amdhsa_float_denorm_mode_32 3
		.amdhsa_float_denorm_mode_16_64 3
		.amdhsa_fp16_overflow 0
		.amdhsa_workgroup_processor_mode 1
		.amdhsa_memory_ordered 1
		.amdhsa_forward_progress 1
		.amdhsa_inst_pref_size 0
		.amdhsa_round_robin_scheduling 0
		.amdhsa_exception_fp_ieee_invalid_op 0
		.amdhsa_exception_fp_denorm_src 0
		.amdhsa_exception_fp_ieee_div_zero 0
		.amdhsa_exception_fp_ieee_overflow 0
		.amdhsa_exception_fp_ieee_underflow 0
		.amdhsa_exception_fp_ieee_inexact 0
		.amdhsa_exception_int_div_zero 0
	.end_amdhsa_kernel
	.section	.text._ZN7rocprim17ROCPRIM_400000_NS6detail17trampoline_kernelINS0_14default_configENS1_25partition_config_selectorILNS1_17partition_subalgoE5EtNS0_10empty_typeEbEEZZNS1_14partition_implILS5_5ELb0ES3_mN6thrust23THRUST_200600_302600_NS6detail15normal_iteratorINSA_10device_ptrItEEEEPS6_NSA_18transform_iteratorINSB_9not_fun_tI7is_trueItEEENSC_INSD_IbEEEENSA_11use_defaultESO_EENS0_5tupleIJNSA_16discard_iteratorISO_EES6_EEENSQ_IJSG_SG_EEES6_PlJS6_EEE10hipError_tPvRmT3_T4_T5_T6_T7_T9_mT8_P12ihipStream_tbDpT10_ENKUlT_T0_E_clISt17integral_constantIbLb1EES1F_EEDaS1A_S1B_EUlS1A_E_NS1_11comp_targetILNS1_3genE0ELNS1_11target_archE4294967295ELNS1_3gpuE0ELNS1_3repE0EEENS1_30default_config_static_selectorELNS0_4arch9wavefront6targetE0EEEvT1_,"axG",@progbits,_ZN7rocprim17ROCPRIM_400000_NS6detail17trampoline_kernelINS0_14default_configENS1_25partition_config_selectorILNS1_17partition_subalgoE5EtNS0_10empty_typeEbEEZZNS1_14partition_implILS5_5ELb0ES3_mN6thrust23THRUST_200600_302600_NS6detail15normal_iteratorINSA_10device_ptrItEEEEPS6_NSA_18transform_iteratorINSB_9not_fun_tI7is_trueItEEENSC_INSD_IbEEEENSA_11use_defaultESO_EENS0_5tupleIJNSA_16discard_iteratorISO_EES6_EEENSQ_IJSG_SG_EEES6_PlJS6_EEE10hipError_tPvRmT3_T4_T5_T6_T7_T9_mT8_P12ihipStream_tbDpT10_ENKUlT_T0_E_clISt17integral_constantIbLb1EES1F_EEDaS1A_S1B_EUlS1A_E_NS1_11comp_targetILNS1_3genE0ELNS1_11target_archE4294967295ELNS1_3gpuE0ELNS1_3repE0EEENS1_30default_config_static_selectorELNS0_4arch9wavefront6targetE0EEEvT1_,comdat
.Lfunc_end2725:
	.size	_ZN7rocprim17ROCPRIM_400000_NS6detail17trampoline_kernelINS0_14default_configENS1_25partition_config_selectorILNS1_17partition_subalgoE5EtNS0_10empty_typeEbEEZZNS1_14partition_implILS5_5ELb0ES3_mN6thrust23THRUST_200600_302600_NS6detail15normal_iteratorINSA_10device_ptrItEEEEPS6_NSA_18transform_iteratorINSB_9not_fun_tI7is_trueItEEENSC_INSD_IbEEEENSA_11use_defaultESO_EENS0_5tupleIJNSA_16discard_iteratorISO_EES6_EEENSQ_IJSG_SG_EEES6_PlJS6_EEE10hipError_tPvRmT3_T4_T5_T6_T7_T9_mT8_P12ihipStream_tbDpT10_ENKUlT_T0_E_clISt17integral_constantIbLb1EES1F_EEDaS1A_S1B_EUlS1A_E_NS1_11comp_targetILNS1_3genE0ELNS1_11target_archE4294967295ELNS1_3gpuE0ELNS1_3repE0EEENS1_30default_config_static_selectorELNS0_4arch9wavefront6targetE0EEEvT1_, .Lfunc_end2725-_ZN7rocprim17ROCPRIM_400000_NS6detail17trampoline_kernelINS0_14default_configENS1_25partition_config_selectorILNS1_17partition_subalgoE5EtNS0_10empty_typeEbEEZZNS1_14partition_implILS5_5ELb0ES3_mN6thrust23THRUST_200600_302600_NS6detail15normal_iteratorINSA_10device_ptrItEEEEPS6_NSA_18transform_iteratorINSB_9not_fun_tI7is_trueItEEENSC_INSD_IbEEEENSA_11use_defaultESO_EENS0_5tupleIJNSA_16discard_iteratorISO_EES6_EEENSQ_IJSG_SG_EEES6_PlJS6_EEE10hipError_tPvRmT3_T4_T5_T6_T7_T9_mT8_P12ihipStream_tbDpT10_ENKUlT_T0_E_clISt17integral_constantIbLb1EES1F_EEDaS1A_S1B_EUlS1A_E_NS1_11comp_targetILNS1_3genE0ELNS1_11target_archE4294967295ELNS1_3gpuE0ELNS1_3repE0EEENS1_30default_config_static_selectorELNS0_4arch9wavefront6targetE0EEEvT1_
                                        ; -- End function
	.set _ZN7rocprim17ROCPRIM_400000_NS6detail17trampoline_kernelINS0_14default_configENS1_25partition_config_selectorILNS1_17partition_subalgoE5EtNS0_10empty_typeEbEEZZNS1_14partition_implILS5_5ELb0ES3_mN6thrust23THRUST_200600_302600_NS6detail15normal_iteratorINSA_10device_ptrItEEEEPS6_NSA_18transform_iteratorINSB_9not_fun_tI7is_trueItEEENSC_INSD_IbEEEENSA_11use_defaultESO_EENS0_5tupleIJNSA_16discard_iteratorISO_EES6_EEENSQ_IJSG_SG_EEES6_PlJS6_EEE10hipError_tPvRmT3_T4_T5_T6_T7_T9_mT8_P12ihipStream_tbDpT10_ENKUlT_T0_E_clISt17integral_constantIbLb1EES1F_EEDaS1A_S1B_EUlS1A_E_NS1_11comp_targetILNS1_3genE0ELNS1_11target_archE4294967295ELNS1_3gpuE0ELNS1_3repE0EEENS1_30default_config_static_selectorELNS0_4arch9wavefront6targetE0EEEvT1_.num_vgpr, 0
	.set _ZN7rocprim17ROCPRIM_400000_NS6detail17trampoline_kernelINS0_14default_configENS1_25partition_config_selectorILNS1_17partition_subalgoE5EtNS0_10empty_typeEbEEZZNS1_14partition_implILS5_5ELb0ES3_mN6thrust23THRUST_200600_302600_NS6detail15normal_iteratorINSA_10device_ptrItEEEEPS6_NSA_18transform_iteratorINSB_9not_fun_tI7is_trueItEEENSC_INSD_IbEEEENSA_11use_defaultESO_EENS0_5tupleIJNSA_16discard_iteratorISO_EES6_EEENSQ_IJSG_SG_EEES6_PlJS6_EEE10hipError_tPvRmT3_T4_T5_T6_T7_T9_mT8_P12ihipStream_tbDpT10_ENKUlT_T0_E_clISt17integral_constantIbLb1EES1F_EEDaS1A_S1B_EUlS1A_E_NS1_11comp_targetILNS1_3genE0ELNS1_11target_archE4294967295ELNS1_3gpuE0ELNS1_3repE0EEENS1_30default_config_static_selectorELNS0_4arch9wavefront6targetE0EEEvT1_.num_agpr, 0
	.set _ZN7rocprim17ROCPRIM_400000_NS6detail17trampoline_kernelINS0_14default_configENS1_25partition_config_selectorILNS1_17partition_subalgoE5EtNS0_10empty_typeEbEEZZNS1_14partition_implILS5_5ELb0ES3_mN6thrust23THRUST_200600_302600_NS6detail15normal_iteratorINSA_10device_ptrItEEEEPS6_NSA_18transform_iteratorINSB_9not_fun_tI7is_trueItEEENSC_INSD_IbEEEENSA_11use_defaultESO_EENS0_5tupleIJNSA_16discard_iteratorISO_EES6_EEENSQ_IJSG_SG_EEES6_PlJS6_EEE10hipError_tPvRmT3_T4_T5_T6_T7_T9_mT8_P12ihipStream_tbDpT10_ENKUlT_T0_E_clISt17integral_constantIbLb1EES1F_EEDaS1A_S1B_EUlS1A_E_NS1_11comp_targetILNS1_3genE0ELNS1_11target_archE4294967295ELNS1_3gpuE0ELNS1_3repE0EEENS1_30default_config_static_selectorELNS0_4arch9wavefront6targetE0EEEvT1_.numbered_sgpr, 0
	.set _ZN7rocprim17ROCPRIM_400000_NS6detail17trampoline_kernelINS0_14default_configENS1_25partition_config_selectorILNS1_17partition_subalgoE5EtNS0_10empty_typeEbEEZZNS1_14partition_implILS5_5ELb0ES3_mN6thrust23THRUST_200600_302600_NS6detail15normal_iteratorINSA_10device_ptrItEEEEPS6_NSA_18transform_iteratorINSB_9not_fun_tI7is_trueItEEENSC_INSD_IbEEEENSA_11use_defaultESO_EENS0_5tupleIJNSA_16discard_iteratorISO_EES6_EEENSQ_IJSG_SG_EEES6_PlJS6_EEE10hipError_tPvRmT3_T4_T5_T6_T7_T9_mT8_P12ihipStream_tbDpT10_ENKUlT_T0_E_clISt17integral_constantIbLb1EES1F_EEDaS1A_S1B_EUlS1A_E_NS1_11comp_targetILNS1_3genE0ELNS1_11target_archE4294967295ELNS1_3gpuE0ELNS1_3repE0EEENS1_30default_config_static_selectorELNS0_4arch9wavefront6targetE0EEEvT1_.num_named_barrier, 0
	.set _ZN7rocprim17ROCPRIM_400000_NS6detail17trampoline_kernelINS0_14default_configENS1_25partition_config_selectorILNS1_17partition_subalgoE5EtNS0_10empty_typeEbEEZZNS1_14partition_implILS5_5ELb0ES3_mN6thrust23THRUST_200600_302600_NS6detail15normal_iteratorINSA_10device_ptrItEEEEPS6_NSA_18transform_iteratorINSB_9not_fun_tI7is_trueItEEENSC_INSD_IbEEEENSA_11use_defaultESO_EENS0_5tupleIJNSA_16discard_iteratorISO_EES6_EEENSQ_IJSG_SG_EEES6_PlJS6_EEE10hipError_tPvRmT3_T4_T5_T6_T7_T9_mT8_P12ihipStream_tbDpT10_ENKUlT_T0_E_clISt17integral_constantIbLb1EES1F_EEDaS1A_S1B_EUlS1A_E_NS1_11comp_targetILNS1_3genE0ELNS1_11target_archE4294967295ELNS1_3gpuE0ELNS1_3repE0EEENS1_30default_config_static_selectorELNS0_4arch9wavefront6targetE0EEEvT1_.private_seg_size, 0
	.set _ZN7rocprim17ROCPRIM_400000_NS6detail17trampoline_kernelINS0_14default_configENS1_25partition_config_selectorILNS1_17partition_subalgoE5EtNS0_10empty_typeEbEEZZNS1_14partition_implILS5_5ELb0ES3_mN6thrust23THRUST_200600_302600_NS6detail15normal_iteratorINSA_10device_ptrItEEEEPS6_NSA_18transform_iteratorINSB_9not_fun_tI7is_trueItEEENSC_INSD_IbEEEENSA_11use_defaultESO_EENS0_5tupleIJNSA_16discard_iteratorISO_EES6_EEENSQ_IJSG_SG_EEES6_PlJS6_EEE10hipError_tPvRmT3_T4_T5_T6_T7_T9_mT8_P12ihipStream_tbDpT10_ENKUlT_T0_E_clISt17integral_constantIbLb1EES1F_EEDaS1A_S1B_EUlS1A_E_NS1_11comp_targetILNS1_3genE0ELNS1_11target_archE4294967295ELNS1_3gpuE0ELNS1_3repE0EEENS1_30default_config_static_selectorELNS0_4arch9wavefront6targetE0EEEvT1_.uses_vcc, 0
	.set _ZN7rocprim17ROCPRIM_400000_NS6detail17trampoline_kernelINS0_14default_configENS1_25partition_config_selectorILNS1_17partition_subalgoE5EtNS0_10empty_typeEbEEZZNS1_14partition_implILS5_5ELb0ES3_mN6thrust23THRUST_200600_302600_NS6detail15normal_iteratorINSA_10device_ptrItEEEEPS6_NSA_18transform_iteratorINSB_9not_fun_tI7is_trueItEEENSC_INSD_IbEEEENSA_11use_defaultESO_EENS0_5tupleIJNSA_16discard_iteratorISO_EES6_EEENSQ_IJSG_SG_EEES6_PlJS6_EEE10hipError_tPvRmT3_T4_T5_T6_T7_T9_mT8_P12ihipStream_tbDpT10_ENKUlT_T0_E_clISt17integral_constantIbLb1EES1F_EEDaS1A_S1B_EUlS1A_E_NS1_11comp_targetILNS1_3genE0ELNS1_11target_archE4294967295ELNS1_3gpuE0ELNS1_3repE0EEENS1_30default_config_static_selectorELNS0_4arch9wavefront6targetE0EEEvT1_.uses_flat_scratch, 0
	.set _ZN7rocprim17ROCPRIM_400000_NS6detail17trampoline_kernelINS0_14default_configENS1_25partition_config_selectorILNS1_17partition_subalgoE5EtNS0_10empty_typeEbEEZZNS1_14partition_implILS5_5ELb0ES3_mN6thrust23THRUST_200600_302600_NS6detail15normal_iteratorINSA_10device_ptrItEEEEPS6_NSA_18transform_iteratorINSB_9not_fun_tI7is_trueItEEENSC_INSD_IbEEEENSA_11use_defaultESO_EENS0_5tupleIJNSA_16discard_iteratorISO_EES6_EEENSQ_IJSG_SG_EEES6_PlJS6_EEE10hipError_tPvRmT3_T4_T5_T6_T7_T9_mT8_P12ihipStream_tbDpT10_ENKUlT_T0_E_clISt17integral_constantIbLb1EES1F_EEDaS1A_S1B_EUlS1A_E_NS1_11comp_targetILNS1_3genE0ELNS1_11target_archE4294967295ELNS1_3gpuE0ELNS1_3repE0EEENS1_30default_config_static_selectorELNS0_4arch9wavefront6targetE0EEEvT1_.has_dyn_sized_stack, 0
	.set _ZN7rocprim17ROCPRIM_400000_NS6detail17trampoline_kernelINS0_14default_configENS1_25partition_config_selectorILNS1_17partition_subalgoE5EtNS0_10empty_typeEbEEZZNS1_14partition_implILS5_5ELb0ES3_mN6thrust23THRUST_200600_302600_NS6detail15normal_iteratorINSA_10device_ptrItEEEEPS6_NSA_18transform_iteratorINSB_9not_fun_tI7is_trueItEEENSC_INSD_IbEEEENSA_11use_defaultESO_EENS0_5tupleIJNSA_16discard_iteratorISO_EES6_EEENSQ_IJSG_SG_EEES6_PlJS6_EEE10hipError_tPvRmT3_T4_T5_T6_T7_T9_mT8_P12ihipStream_tbDpT10_ENKUlT_T0_E_clISt17integral_constantIbLb1EES1F_EEDaS1A_S1B_EUlS1A_E_NS1_11comp_targetILNS1_3genE0ELNS1_11target_archE4294967295ELNS1_3gpuE0ELNS1_3repE0EEENS1_30default_config_static_selectorELNS0_4arch9wavefront6targetE0EEEvT1_.has_recursion, 0
	.set _ZN7rocprim17ROCPRIM_400000_NS6detail17trampoline_kernelINS0_14default_configENS1_25partition_config_selectorILNS1_17partition_subalgoE5EtNS0_10empty_typeEbEEZZNS1_14partition_implILS5_5ELb0ES3_mN6thrust23THRUST_200600_302600_NS6detail15normal_iteratorINSA_10device_ptrItEEEEPS6_NSA_18transform_iteratorINSB_9not_fun_tI7is_trueItEEENSC_INSD_IbEEEENSA_11use_defaultESO_EENS0_5tupleIJNSA_16discard_iteratorISO_EES6_EEENSQ_IJSG_SG_EEES6_PlJS6_EEE10hipError_tPvRmT3_T4_T5_T6_T7_T9_mT8_P12ihipStream_tbDpT10_ENKUlT_T0_E_clISt17integral_constantIbLb1EES1F_EEDaS1A_S1B_EUlS1A_E_NS1_11comp_targetILNS1_3genE0ELNS1_11target_archE4294967295ELNS1_3gpuE0ELNS1_3repE0EEENS1_30default_config_static_selectorELNS0_4arch9wavefront6targetE0EEEvT1_.has_indirect_call, 0
	.section	.AMDGPU.csdata,"",@progbits
; Kernel info:
; codeLenInByte = 0
; TotalNumSgprs: 0
; NumVgprs: 0
; ScratchSize: 0
; MemoryBound: 0
; FloatMode: 240
; IeeeMode: 1
; LDSByteSize: 0 bytes/workgroup (compile time only)
; SGPRBlocks: 0
; VGPRBlocks: 0
; NumSGPRsForWavesPerEU: 1
; NumVGPRsForWavesPerEU: 1
; Occupancy: 16
; WaveLimiterHint : 0
; COMPUTE_PGM_RSRC2:SCRATCH_EN: 0
; COMPUTE_PGM_RSRC2:USER_SGPR: 2
; COMPUTE_PGM_RSRC2:TRAP_HANDLER: 0
; COMPUTE_PGM_RSRC2:TGID_X_EN: 1
; COMPUTE_PGM_RSRC2:TGID_Y_EN: 0
; COMPUTE_PGM_RSRC2:TGID_Z_EN: 0
; COMPUTE_PGM_RSRC2:TIDIG_COMP_CNT: 0
	.section	.text._ZN7rocprim17ROCPRIM_400000_NS6detail17trampoline_kernelINS0_14default_configENS1_25partition_config_selectorILNS1_17partition_subalgoE5EtNS0_10empty_typeEbEEZZNS1_14partition_implILS5_5ELb0ES3_mN6thrust23THRUST_200600_302600_NS6detail15normal_iteratorINSA_10device_ptrItEEEEPS6_NSA_18transform_iteratorINSB_9not_fun_tI7is_trueItEEENSC_INSD_IbEEEENSA_11use_defaultESO_EENS0_5tupleIJNSA_16discard_iteratorISO_EES6_EEENSQ_IJSG_SG_EEES6_PlJS6_EEE10hipError_tPvRmT3_T4_T5_T6_T7_T9_mT8_P12ihipStream_tbDpT10_ENKUlT_T0_E_clISt17integral_constantIbLb1EES1F_EEDaS1A_S1B_EUlS1A_E_NS1_11comp_targetILNS1_3genE5ELNS1_11target_archE942ELNS1_3gpuE9ELNS1_3repE0EEENS1_30default_config_static_selectorELNS0_4arch9wavefront6targetE0EEEvT1_,"axG",@progbits,_ZN7rocprim17ROCPRIM_400000_NS6detail17trampoline_kernelINS0_14default_configENS1_25partition_config_selectorILNS1_17partition_subalgoE5EtNS0_10empty_typeEbEEZZNS1_14partition_implILS5_5ELb0ES3_mN6thrust23THRUST_200600_302600_NS6detail15normal_iteratorINSA_10device_ptrItEEEEPS6_NSA_18transform_iteratorINSB_9not_fun_tI7is_trueItEEENSC_INSD_IbEEEENSA_11use_defaultESO_EENS0_5tupleIJNSA_16discard_iteratorISO_EES6_EEENSQ_IJSG_SG_EEES6_PlJS6_EEE10hipError_tPvRmT3_T4_T5_T6_T7_T9_mT8_P12ihipStream_tbDpT10_ENKUlT_T0_E_clISt17integral_constantIbLb1EES1F_EEDaS1A_S1B_EUlS1A_E_NS1_11comp_targetILNS1_3genE5ELNS1_11target_archE942ELNS1_3gpuE9ELNS1_3repE0EEENS1_30default_config_static_selectorELNS0_4arch9wavefront6targetE0EEEvT1_,comdat
	.protected	_ZN7rocprim17ROCPRIM_400000_NS6detail17trampoline_kernelINS0_14default_configENS1_25partition_config_selectorILNS1_17partition_subalgoE5EtNS0_10empty_typeEbEEZZNS1_14partition_implILS5_5ELb0ES3_mN6thrust23THRUST_200600_302600_NS6detail15normal_iteratorINSA_10device_ptrItEEEEPS6_NSA_18transform_iteratorINSB_9not_fun_tI7is_trueItEEENSC_INSD_IbEEEENSA_11use_defaultESO_EENS0_5tupleIJNSA_16discard_iteratorISO_EES6_EEENSQ_IJSG_SG_EEES6_PlJS6_EEE10hipError_tPvRmT3_T4_T5_T6_T7_T9_mT8_P12ihipStream_tbDpT10_ENKUlT_T0_E_clISt17integral_constantIbLb1EES1F_EEDaS1A_S1B_EUlS1A_E_NS1_11comp_targetILNS1_3genE5ELNS1_11target_archE942ELNS1_3gpuE9ELNS1_3repE0EEENS1_30default_config_static_selectorELNS0_4arch9wavefront6targetE0EEEvT1_ ; -- Begin function _ZN7rocprim17ROCPRIM_400000_NS6detail17trampoline_kernelINS0_14default_configENS1_25partition_config_selectorILNS1_17partition_subalgoE5EtNS0_10empty_typeEbEEZZNS1_14partition_implILS5_5ELb0ES3_mN6thrust23THRUST_200600_302600_NS6detail15normal_iteratorINSA_10device_ptrItEEEEPS6_NSA_18transform_iteratorINSB_9not_fun_tI7is_trueItEEENSC_INSD_IbEEEENSA_11use_defaultESO_EENS0_5tupleIJNSA_16discard_iteratorISO_EES6_EEENSQ_IJSG_SG_EEES6_PlJS6_EEE10hipError_tPvRmT3_T4_T5_T6_T7_T9_mT8_P12ihipStream_tbDpT10_ENKUlT_T0_E_clISt17integral_constantIbLb1EES1F_EEDaS1A_S1B_EUlS1A_E_NS1_11comp_targetILNS1_3genE5ELNS1_11target_archE942ELNS1_3gpuE9ELNS1_3repE0EEENS1_30default_config_static_selectorELNS0_4arch9wavefront6targetE0EEEvT1_
	.globl	_ZN7rocprim17ROCPRIM_400000_NS6detail17trampoline_kernelINS0_14default_configENS1_25partition_config_selectorILNS1_17partition_subalgoE5EtNS0_10empty_typeEbEEZZNS1_14partition_implILS5_5ELb0ES3_mN6thrust23THRUST_200600_302600_NS6detail15normal_iteratorINSA_10device_ptrItEEEEPS6_NSA_18transform_iteratorINSB_9not_fun_tI7is_trueItEEENSC_INSD_IbEEEENSA_11use_defaultESO_EENS0_5tupleIJNSA_16discard_iteratorISO_EES6_EEENSQ_IJSG_SG_EEES6_PlJS6_EEE10hipError_tPvRmT3_T4_T5_T6_T7_T9_mT8_P12ihipStream_tbDpT10_ENKUlT_T0_E_clISt17integral_constantIbLb1EES1F_EEDaS1A_S1B_EUlS1A_E_NS1_11comp_targetILNS1_3genE5ELNS1_11target_archE942ELNS1_3gpuE9ELNS1_3repE0EEENS1_30default_config_static_selectorELNS0_4arch9wavefront6targetE0EEEvT1_
	.p2align	8
	.type	_ZN7rocprim17ROCPRIM_400000_NS6detail17trampoline_kernelINS0_14default_configENS1_25partition_config_selectorILNS1_17partition_subalgoE5EtNS0_10empty_typeEbEEZZNS1_14partition_implILS5_5ELb0ES3_mN6thrust23THRUST_200600_302600_NS6detail15normal_iteratorINSA_10device_ptrItEEEEPS6_NSA_18transform_iteratorINSB_9not_fun_tI7is_trueItEEENSC_INSD_IbEEEENSA_11use_defaultESO_EENS0_5tupleIJNSA_16discard_iteratorISO_EES6_EEENSQ_IJSG_SG_EEES6_PlJS6_EEE10hipError_tPvRmT3_T4_T5_T6_T7_T9_mT8_P12ihipStream_tbDpT10_ENKUlT_T0_E_clISt17integral_constantIbLb1EES1F_EEDaS1A_S1B_EUlS1A_E_NS1_11comp_targetILNS1_3genE5ELNS1_11target_archE942ELNS1_3gpuE9ELNS1_3repE0EEENS1_30default_config_static_selectorELNS0_4arch9wavefront6targetE0EEEvT1_,@function
_ZN7rocprim17ROCPRIM_400000_NS6detail17trampoline_kernelINS0_14default_configENS1_25partition_config_selectorILNS1_17partition_subalgoE5EtNS0_10empty_typeEbEEZZNS1_14partition_implILS5_5ELb0ES3_mN6thrust23THRUST_200600_302600_NS6detail15normal_iteratorINSA_10device_ptrItEEEEPS6_NSA_18transform_iteratorINSB_9not_fun_tI7is_trueItEEENSC_INSD_IbEEEENSA_11use_defaultESO_EENS0_5tupleIJNSA_16discard_iteratorISO_EES6_EEENSQ_IJSG_SG_EEES6_PlJS6_EEE10hipError_tPvRmT3_T4_T5_T6_T7_T9_mT8_P12ihipStream_tbDpT10_ENKUlT_T0_E_clISt17integral_constantIbLb1EES1F_EEDaS1A_S1B_EUlS1A_E_NS1_11comp_targetILNS1_3genE5ELNS1_11target_archE942ELNS1_3gpuE9ELNS1_3repE0EEENS1_30default_config_static_selectorELNS0_4arch9wavefront6targetE0EEEvT1_: ; @_ZN7rocprim17ROCPRIM_400000_NS6detail17trampoline_kernelINS0_14default_configENS1_25partition_config_selectorILNS1_17partition_subalgoE5EtNS0_10empty_typeEbEEZZNS1_14partition_implILS5_5ELb0ES3_mN6thrust23THRUST_200600_302600_NS6detail15normal_iteratorINSA_10device_ptrItEEEEPS6_NSA_18transform_iteratorINSB_9not_fun_tI7is_trueItEEENSC_INSD_IbEEEENSA_11use_defaultESO_EENS0_5tupleIJNSA_16discard_iteratorISO_EES6_EEENSQ_IJSG_SG_EEES6_PlJS6_EEE10hipError_tPvRmT3_T4_T5_T6_T7_T9_mT8_P12ihipStream_tbDpT10_ENKUlT_T0_E_clISt17integral_constantIbLb1EES1F_EEDaS1A_S1B_EUlS1A_E_NS1_11comp_targetILNS1_3genE5ELNS1_11target_archE942ELNS1_3gpuE9ELNS1_3repE0EEENS1_30default_config_static_selectorELNS0_4arch9wavefront6targetE0EEEvT1_
; %bb.0:
	.section	.rodata,"a",@progbits
	.p2align	6, 0x0
	.amdhsa_kernel _ZN7rocprim17ROCPRIM_400000_NS6detail17trampoline_kernelINS0_14default_configENS1_25partition_config_selectorILNS1_17partition_subalgoE5EtNS0_10empty_typeEbEEZZNS1_14partition_implILS5_5ELb0ES3_mN6thrust23THRUST_200600_302600_NS6detail15normal_iteratorINSA_10device_ptrItEEEEPS6_NSA_18transform_iteratorINSB_9not_fun_tI7is_trueItEEENSC_INSD_IbEEEENSA_11use_defaultESO_EENS0_5tupleIJNSA_16discard_iteratorISO_EES6_EEENSQ_IJSG_SG_EEES6_PlJS6_EEE10hipError_tPvRmT3_T4_T5_T6_T7_T9_mT8_P12ihipStream_tbDpT10_ENKUlT_T0_E_clISt17integral_constantIbLb1EES1F_EEDaS1A_S1B_EUlS1A_E_NS1_11comp_targetILNS1_3genE5ELNS1_11target_archE942ELNS1_3gpuE9ELNS1_3repE0EEENS1_30default_config_static_selectorELNS0_4arch9wavefront6targetE0EEEvT1_
		.amdhsa_group_segment_fixed_size 0
		.amdhsa_private_segment_fixed_size 0
		.amdhsa_kernarg_size 144
		.amdhsa_user_sgpr_count 2
		.amdhsa_user_sgpr_dispatch_ptr 0
		.amdhsa_user_sgpr_queue_ptr 0
		.amdhsa_user_sgpr_kernarg_segment_ptr 1
		.amdhsa_user_sgpr_dispatch_id 0
		.amdhsa_user_sgpr_private_segment_size 0
		.amdhsa_wavefront_size32 1
		.amdhsa_uses_dynamic_stack 0
		.amdhsa_enable_private_segment 0
		.amdhsa_system_sgpr_workgroup_id_x 1
		.amdhsa_system_sgpr_workgroup_id_y 0
		.amdhsa_system_sgpr_workgroup_id_z 0
		.amdhsa_system_sgpr_workgroup_info 0
		.amdhsa_system_vgpr_workitem_id 0
		.amdhsa_next_free_vgpr 1
		.amdhsa_next_free_sgpr 1
		.amdhsa_reserve_vcc 0
		.amdhsa_float_round_mode_32 0
		.amdhsa_float_round_mode_16_64 0
		.amdhsa_float_denorm_mode_32 3
		.amdhsa_float_denorm_mode_16_64 3
		.amdhsa_fp16_overflow 0
		.amdhsa_workgroup_processor_mode 1
		.amdhsa_memory_ordered 1
		.amdhsa_forward_progress 1
		.amdhsa_inst_pref_size 0
		.amdhsa_round_robin_scheduling 0
		.amdhsa_exception_fp_ieee_invalid_op 0
		.amdhsa_exception_fp_denorm_src 0
		.amdhsa_exception_fp_ieee_div_zero 0
		.amdhsa_exception_fp_ieee_overflow 0
		.amdhsa_exception_fp_ieee_underflow 0
		.amdhsa_exception_fp_ieee_inexact 0
		.amdhsa_exception_int_div_zero 0
	.end_amdhsa_kernel
	.section	.text._ZN7rocprim17ROCPRIM_400000_NS6detail17trampoline_kernelINS0_14default_configENS1_25partition_config_selectorILNS1_17partition_subalgoE5EtNS0_10empty_typeEbEEZZNS1_14partition_implILS5_5ELb0ES3_mN6thrust23THRUST_200600_302600_NS6detail15normal_iteratorINSA_10device_ptrItEEEEPS6_NSA_18transform_iteratorINSB_9not_fun_tI7is_trueItEEENSC_INSD_IbEEEENSA_11use_defaultESO_EENS0_5tupleIJNSA_16discard_iteratorISO_EES6_EEENSQ_IJSG_SG_EEES6_PlJS6_EEE10hipError_tPvRmT3_T4_T5_T6_T7_T9_mT8_P12ihipStream_tbDpT10_ENKUlT_T0_E_clISt17integral_constantIbLb1EES1F_EEDaS1A_S1B_EUlS1A_E_NS1_11comp_targetILNS1_3genE5ELNS1_11target_archE942ELNS1_3gpuE9ELNS1_3repE0EEENS1_30default_config_static_selectorELNS0_4arch9wavefront6targetE0EEEvT1_,"axG",@progbits,_ZN7rocprim17ROCPRIM_400000_NS6detail17trampoline_kernelINS0_14default_configENS1_25partition_config_selectorILNS1_17partition_subalgoE5EtNS0_10empty_typeEbEEZZNS1_14partition_implILS5_5ELb0ES3_mN6thrust23THRUST_200600_302600_NS6detail15normal_iteratorINSA_10device_ptrItEEEEPS6_NSA_18transform_iteratorINSB_9not_fun_tI7is_trueItEEENSC_INSD_IbEEEENSA_11use_defaultESO_EENS0_5tupleIJNSA_16discard_iteratorISO_EES6_EEENSQ_IJSG_SG_EEES6_PlJS6_EEE10hipError_tPvRmT3_T4_T5_T6_T7_T9_mT8_P12ihipStream_tbDpT10_ENKUlT_T0_E_clISt17integral_constantIbLb1EES1F_EEDaS1A_S1B_EUlS1A_E_NS1_11comp_targetILNS1_3genE5ELNS1_11target_archE942ELNS1_3gpuE9ELNS1_3repE0EEENS1_30default_config_static_selectorELNS0_4arch9wavefront6targetE0EEEvT1_,comdat
.Lfunc_end2726:
	.size	_ZN7rocprim17ROCPRIM_400000_NS6detail17trampoline_kernelINS0_14default_configENS1_25partition_config_selectorILNS1_17partition_subalgoE5EtNS0_10empty_typeEbEEZZNS1_14partition_implILS5_5ELb0ES3_mN6thrust23THRUST_200600_302600_NS6detail15normal_iteratorINSA_10device_ptrItEEEEPS6_NSA_18transform_iteratorINSB_9not_fun_tI7is_trueItEEENSC_INSD_IbEEEENSA_11use_defaultESO_EENS0_5tupleIJNSA_16discard_iteratorISO_EES6_EEENSQ_IJSG_SG_EEES6_PlJS6_EEE10hipError_tPvRmT3_T4_T5_T6_T7_T9_mT8_P12ihipStream_tbDpT10_ENKUlT_T0_E_clISt17integral_constantIbLb1EES1F_EEDaS1A_S1B_EUlS1A_E_NS1_11comp_targetILNS1_3genE5ELNS1_11target_archE942ELNS1_3gpuE9ELNS1_3repE0EEENS1_30default_config_static_selectorELNS0_4arch9wavefront6targetE0EEEvT1_, .Lfunc_end2726-_ZN7rocprim17ROCPRIM_400000_NS6detail17trampoline_kernelINS0_14default_configENS1_25partition_config_selectorILNS1_17partition_subalgoE5EtNS0_10empty_typeEbEEZZNS1_14partition_implILS5_5ELb0ES3_mN6thrust23THRUST_200600_302600_NS6detail15normal_iteratorINSA_10device_ptrItEEEEPS6_NSA_18transform_iteratorINSB_9not_fun_tI7is_trueItEEENSC_INSD_IbEEEENSA_11use_defaultESO_EENS0_5tupleIJNSA_16discard_iteratorISO_EES6_EEENSQ_IJSG_SG_EEES6_PlJS6_EEE10hipError_tPvRmT3_T4_T5_T6_T7_T9_mT8_P12ihipStream_tbDpT10_ENKUlT_T0_E_clISt17integral_constantIbLb1EES1F_EEDaS1A_S1B_EUlS1A_E_NS1_11comp_targetILNS1_3genE5ELNS1_11target_archE942ELNS1_3gpuE9ELNS1_3repE0EEENS1_30default_config_static_selectorELNS0_4arch9wavefront6targetE0EEEvT1_
                                        ; -- End function
	.set _ZN7rocprim17ROCPRIM_400000_NS6detail17trampoline_kernelINS0_14default_configENS1_25partition_config_selectorILNS1_17partition_subalgoE5EtNS0_10empty_typeEbEEZZNS1_14partition_implILS5_5ELb0ES3_mN6thrust23THRUST_200600_302600_NS6detail15normal_iteratorINSA_10device_ptrItEEEEPS6_NSA_18transform_iteratorINSB_9not_fun_tI7is_trueItEEENSC_INSD_IbEEEENSA_11use_defaultESO_EENS0_5tupleIJNSA_16discard_iteratorISO_EES6_EEENSQ_IJSG_SG_EEES6_PlJS6_EEE10hipError_tPvRmT3_T4_T5_T6_T7_T9_mT8_P12ihipStream_tbDpT10_ENKUlT_T0_E_clISt17integral_constantIbLb1EES1F_EEDaS1A_S1B_EUlS1A_E_NS1_11comp_targetILNS1_3genE5ELNS1_11target_archE942ELNS1_3gpuE9ELNS1_3repE0EEENS1_30default_config_static_selectorELNS0_4arch9wavefront6targetE0EEEvT1_.num_vgpr, 0
	.set _ZN7rocprim17ROCPRIM_400000_NS6detail17trampoline_kernelINS0_14default_configENS1_25partition_config_selectorILNS1_17partition_subalgoE5EtNS0_10empty_typeEbEEZZNS1_14partition_implILS5_5ELb0ES3_mN6thrust23THRUST_200600_302600_NS6detail15normal_iteratorINSA_10device_ptrItEEEEPS6_NSA_18transform_iteratorINSB_9not_fun_tI7is_trueItEEENSC_INSD_IbEEEENSA_11use_defaultESO_EENS0_5tupleIJNSA_16discard_iteratorISO_EES6_EEENSQ_IJSG_SG_EEES6_PlJS6_EEE10hipError_tPvRmT3_T4_T5_T6_T7_T9_mT8_P12ihipStream_tbDpT10_ENKUlT_T0_E_clISt17integral_constantIbLb1EES1F_EEDaS1A_S1B_EUlS1A_E_NS1_11comp_targetILNS1_3genE5ELNS1_11target_archE942ELNS1_3gpuE9ELNS1_3repE0EEENS1_30default_config_static_selectorELNS0_4arch9wavefront6targetE0EEEvT1_.num_agpr, 0
	.set _ZN7rocprim17ROCPRIM_400000_NS6detail17trampoline_kernelINS0_14default_configENS1_25partition_config_selectorILNS1_17partition_subalgoE5EtNS0_10empty_typeEbEEZZNS1_14partition_implILS5_5ELb0ES3_mN6thrust23THRUST_200600_302600_NS6detail15normal_iteratorINSA_10device_ptrItEEEEPS6_NSA_18transform_iteratorINSB_9not_fun_tI7is_trueItEEENSC_INSD_IbEEEENSA_11use_defaultESO_EENS0_5tupleIJNSA_16discard_iteratorISO_EES6_EEENSQ_IJSG_SG_EEES6_PlJS6_EEE10hipError_tPvRmT3_T4_T5_T6_T7_T9_mT8_P12ihipStream_tbDpT10_ENKUlT_T0_E_clISt17integral_constantIbLb1EES1F_EEDaS1A_S1B_EUlS1A_E_NS1_11comp_targetILNS1_3genE5ELNS1_11target_archE942ELNS1_3gpuE9ELNS1_3repE0EEENS1_30default_config_static_selectorELNS0_4arch9wavefront6targetE0EEEvT1_.numbered_sgpr, 0
	.set _ZN7rocprim17ROCPRIM_400000_NS6detail17trampoline_kernelINS0_14default_configENS1_25partition_config_selectorILNS1_17partition_subalgoE5EtNS0_10empty_typeEbEEZZNS1_14partition_implILS5_5ELb0ES3_mN6thrust23THRUST_200600_302600_NS6detail15normal_iteratorINSA_10device_ptrItEEEEPS6_NSA_18transform_iteratorINSB_9not_fun_tI7is_trueItEEENSC_INSD_IbEEEENSA_11use_defaultESO_EENS0_5tupleIJNSA_16discard_iteratorISO_EES6_EEENSQ_IJSG_SG_EEES6_PlJS6_EEE10hipError_tPvRmT3_T4_T5_T6_T7_T9_mT8_P12ihipStream_tbDpT10_ENKUlT_T0_E_clISt17integral_constantIbLb1EES1F_EEDaS1A_S1B_EUlS1A_E_NS1_11comp_targetILNS1_3genE5ELNS1_11target_archE942ELNS1_3gpuE9ELNS1_3repE0EEENS1_30default_config_static_selectorELNS0_4arch9wavefront6targetE0EEEvT1_.num_named_barrier, 0
	.set _ZN7rocprim17ROCPRIM_400000_NS6detail17trampoline_kernelINS0_14default_configENS1_25partition_config_selectorILNS1_17partition_subalgoE5EtNS0_10empty_typeEbEEZZNS1_14partition_implILS5_5ELb0ES3_mN6thrust23THRUST_200600_302600_NS6detail15normal_iteratorINSA_10device_ptrItEEEEPS6_NSA_18transform_iteratorINSB_9not_fun_tI7is_trueItEEENSC_INSD_IbEEEENSA_11use_defaultESO_EENS0_5tupleIJNSA_16discard_iteratorISO_EES6_EEENSQ_IJSG_SG_EEES6_PlJS6_EEE10hipError_tPvRmT3_T4_T5_T6_T7_T9_mT8_P12ihipStream_tbDpT10_ENKUlT_T0_E_clISt17integral_constantIbLb1EES1F_EEDaS1A_S1B_EUlS1A_E_NS1_11comp_targetILNS1_3genE5ELNS1_11target_archE942ELNS1_3gpuE9ELNS1_3repE0EEENS1_30default_config_static_selectorELNS0_4arch9wavefront6targetE0EEEvT1_.private_seg_size, 0
	.set _ZN7rocprim17ROCPRIM_400000_NS6detail17trampoline_kernelINS0_14default_configENS1_25partition_config_selectorILNS1_17partition_subalgoE5EtNS0_10empty_typeEbEEZZNS1_14partition_implILS5_5ELb0ES3_mN6thrust23THRUST_200600_302600_NS6detail15normal_iteratorINSA_10device_ptrItEEEEPS6_NSA_18transform_iteratorINSB_9not_fun_tI7is_trueItEEENSC_INSD_IbEEEENSA_11use_defaultESO_EENS0_5tupleIJNSA_16discard_iteratorISO_EES6_EEENSQ_IJSG_SG_EEES6_PlJS6_EEE10hipError_tPvRmT3_T4_T5_T6_T7_T9_mT8_P12ihipStream_tbDpT10_ENKUlT_T0_E_clISt17integral_constantIbLb1EES1F_EEDaS1A_S1B_EUlS1A_E_NS1_11comp_targetILNS1_3genE5ELNS1_11target_archE942ELNS1_3gpuE9ELNS1_3repE0EEENS1_30default_config_static_selectorELNS0_4arch9wavefront6targetE0EEEvT1_.uses_vcc, 0
	.set _ZN7rocprim17ROCPRIM_400000_NS6detail17trampoline_kernelINS0_14default_configENS1_25partition_config_selectorILNS1_17partition_subalgoE5EtNS0_10empty_typeEbEEZZNS1_14partition_implILS5_5ELb0ES3_mN6thrust23THRUST_200600_302600_NS6detail15normal_iteratorINSA_10device_ptrItEEEEPS6_NSA_18transform_iteratorINSB_9not_fun_tI7is_trueItEEENSC_INSD_IbEEEENSA_11use_defaultESO_EENS0_5tupleIJNSA_16discard_iteratorISO_EES6_EEENSQ_IJSG_SG_EEES6_PlJS6_EEE10hipError_tPvRmT3_T4_T5_T6_T7_T9_mT8_P12ihipStream_tbDpT10_ENKUlT_T0_E_clISt17integral_constantIbLb1EES1F_EEDaS1A_S1B_EUlS1A_E_NS1_11comp_targetILNS1_3genE5ELNS1_11target_archE942ELNS1_3gpuE9ELNS1_3repE0EEENS1_30default_config_static_selectorELNS0_4arch9wavefront6targetE0EEEvT1_.uses_flat_scratch, 0
	.set _ZN7rocprim17ROCPRIM_400000_NS6detail17trampoline_kernelINS0_14default_configENS1_25partition_config_selectorILNS1_17partition_subalgoE5EtNS0_10empty_typeEbEEZZNS1_14partition_implILS5_5ELb0ES3_mN6thrust23THRUST_200600_302600_NS6detail15normal_iteratorINSA_10device_ptrItEEEEPS6_NSA_18transform_iteratorINSB_9not_fun_tI7is_trueItEEENSC_INSD_IbEEEENSA_11use_defaultESO_EENS0_5tupleIJNSA_16discard_iteratorISO_EES6_EEENSQ_IJSG_SG_EEES6_PlJS6_EEE10hipError_tPvRmT3_T4_T5_T6_T7_T9_mT8_P12ihipStream_tbDpT10_ENKUlT_T0_E_clISt17integral_constantIbLb1EES1F_EEDaS1A_S1B_EUlS1A_E_NS1_11comp_targetILNS1_3genE5ELNS1_11target_archE942ELNS1_3gpuE9ELNS1_3repE0EEENS1_30default_config_static_selectorELNS0_4arch9wavefront6targetE0EEEvT1_.has_dyn_sized_stack, 0
	.set _ZN7rocprim17ROCPRIM_400000_NS6detail17trampoline_kernelINS0_14default_configENS1_25partition_config_selectorILNS1_17partition_subalgoE5EtNS0_10empty_typeEbEEZZNS1_14partition_implILS5_5ELb0ES3_mN6thrust23THRUST_200600_302600_NS6detail15normal_iteratorINSA_10device_ptrItEEEEPS6_NSA_18transform_iteratorINSB_9not_fun_tI7is_trueItEEENSC_INSD_IbEEEENSA_11use_defaultESO_EENS0_5tupleIJNSA_16discard_iteratorISO_EES6_EEENSQ_IJSG_SG_EEES6_PlJS6_EEE10hipError_tPvRmT3_T4_T5_T6_T7_T9_mT8_P12ihipStream_tbDpT10_ENKUlT_T0_E_clISt17integral_constantIbLb1EES1F_EEDaS1A_S1B_EUlS1A_E_NS1_11comp_targetILNS1_3genE5ELNS1_11target_archE942ELNS1_3gpuE9ELNS1_3repE0EEENS1_30default_config_static_selectorELNS0_4arch9wavefront6targetE0EEEvT1_.has_recursion, 0
	.set _ZN7rocprim17ROCPRIM_400000_NS6detail17trampoline_kernelINS0_14default_configENS1_25partition_config_selectorILNS1_17partition_subalgoE5EtNS0_10empty_typeEbEEZZNS1_14partition_implILS5_5ELb0ES3_mN6thrust23THRUST_200600_302600_NS6detail15normal_iteratorINSA_10device_ptrItEEEEPS6_NSA_18transform_iteratorINSB_9not_fun_tI7is_trueItEEENSC_INSD_IbEEEENSA_11use_defaultESO_EENS0_5tupleIJNSA_16discard_iteratorISO_EES6_EEENSQ_IJSG_SG_EEES6_PlJS6_EEE10hipError_tPvRmT3_T4_T5_T6_T7_T9_mT8_P12ihipStream_tbDpT10_ENKUlT_T0_E_clISt17integral_constantIbLb1EES1F_EEDaS1A_S1B_EUlS1A_E_NS1_11comp_targetILNS1_3genE5ELNS1_11target_archE942ELNS1_3gpuE9ELNS1_3repE0EEENS1_30default_config_static_selectorELNS0_4arch9wavefront6targetE0EEEvT1_.has_indirect_call, 0
	.section	.AMDGPU.csdata,"",@progbits
; Kernel info:
; codeLenInByte = 0
; TotalNumSgprs: 0
; NumVgprs: 0
; ScratchSize: 0
; MemoryBound: 0
; FloatMode: 240
; IeeeMode: 1
; LDSByteSize: 0 bytes/workgroup (compile time only)
; SGPRBlocks: 0
; VGPRBlocks: 0
; NumSGPRsForWavesPerEU: 1
; NumVGPRsForWavesPerEU: 1
; Occupancy: 16
; WaveLimiterHint : 0
; COMPUTE_PGM_RSRC2:SCRATCH_EN: 0
; COMPUTE_PGM_RSRC2:USER_SGPR: 2
; COMPUTE_PGM_RSRC2:TRAP_HANDLER: 0
; COMPUTE_PGM_RSRC2:TGID_X_EN: 1
; COMPUTE_PGM_RSRC2:TGID_Y_EN: 0
; COMPUTE_PGM_RSRC2:TGID_Z_EN: 0
; COMPUTE_PGM_RSRC2:TIDIG_COMP_CNT: 0
	.section	.text._ZN7rocprim17ROCPRIM_400000_NS6detail17trampoline_kernelINS0_14default_configENS1_25partition_config_selectorILNS1_17partition_subalgoE5EtNS0_10empty_typeEbEEZZNS1_14partition_implILS5_5ELb0ES3_mN6thrust23THRUST_200600_302600_NS6detail15normal_iteratorINSA_10device_ptrItEEEEPS6_NSA_18transform_iteratorINSB_9not_fun_tI7is_trueItEEENSC_INSD_IbEEEENSA_11use_defaultESO_EENS0_5tupleIJNSA_16discard_iteratorISO_EES6_EEENSQ_IJSG_SG_EEES6_PlJS6_EEE10hipError_tPvRmT3_T4_T5_T6_T7_T9_mT8_P12ihipStream_tbDpT10_ENKUlT_T0_E_clISt17integral_constantIbLb1EES1F_EEDaS1A_S1B_EUlS1A_E_NS1_11comp_targetILNS1_3genE4ELNS1_11target_archE910ELNS1_3gpuE8ELNS1_3repE0EEENS1_30default_config_static_selectorELNS0_4arch9wavefront6targetE0EEEvT1_,"axG",@progbits,_ZN7rocprim17ROCPRIM_400000_NS6detail17trampoline_kernelINS0_14default_configENS1_25partition_config_selectorILNS1_17partition_subalgoE5EtNS0_10empty_typeEbEEZZNS1_14partition_implILS5_5ELb0ES3_mN6thrust23THRUST_200600_302600_NS6detail15normal_iteratorINSA_10device_ptrItEEEEPS6_NSA_18transform_iteratorINSB_9not_fun_tI7is_trueItEEENSC_INSD_IbEEEENSA_11use_defaultESO_EENS0_5tupleIJNSA_16discard_iteratorISO_EES6_EEENSQ_IJSG_SG_EEES6_PlJS6_EEE10hipError_tPvRmT3_T4_T5_T6_T7_T9_mT8_P12ihipStream_tbDpT10_ENKUlT_T0_E_clISt17integral_constantIbLb1EES1F_EEDaS1A_S1B_EUlS1A_E_NS1_11comp_targetILNS1_3genE4ELNS1_11target_archE910ELNS1_3gpuE8ELNS1_3repE0EEENS1_30default_config_static_selectorELNS0_4arch9wavefront6targetE0EEEvT1_,comdat
	.protected	_ZN7rocprim17ROCPRIM_400000_NS6detail17trampoline_kernelINS0_14default_configENS1_25partition_config_selectorILNS1_17partition_subalgoE5EtNS0_10empty_typeEbEEZZNS1_14partition_implILS5_5ELb0ES3_mN6thrust23THRUST_200600_302600_NS6detail15normal_iteratorINSA_10device_ptrItEEEEPS6_NSA_18transform_iteratorINSB_9not_fun_tI7is_trueItEEENSC_INSD_IbEEEENSA_11use_defaultESO_EENS0_5tupleIJNSA_16discard_iteratorISO_EES6_EEENSQ_IJSG_SG_EEES6_PlJS6_EEE10hipError_tPvRmT3_T4_T5_T6_T7_T9_mT8_P12ihipStream_tbDpT10_ENKUlT_T0_E_clISt17integral_constantIbLb1EES1F_EEDaS1A_S1B_EUlS1A_E_NS1_11comp_targetILNS1_3genE4ELNS1_11target_archE910ELNS1_3gpuE8ELNS1_3repE0EEENS1_30default_config_static_selectorELNS0_4arch9wavefront6targetE0EEEvT1_ ; -- Begin function _ZN7rocprim17ROCPRIM_400000_NS6detail17trampoline_kernelINS0_14default_configENS1_25partition_config_selectorILNS1_17partition_subalgoE5EtNS0_10empty_typeEbEEZZNS1_14partition_implILS5_5ELb0ES3_mN6thrust23THRUST_200600_302600_NS6detail15normal_iteratorINSA_10device_ptrItEEEEPS6_NSA_18transform_iteratorINSB_9not_fun_tI7is_trueItEEENSC_INSD_IbEEEENSA_11use_defaultESO_EENS0_5tupleIJNSA_16discard_iteratorISO_EES6_EEENSQ_IJSG_SG_EEES6_PlJS6_EEE10hipError_tPvRmT3_T4_T5_T6_T7_T9_mT8_P12ihipStream_tbDpT10_ENKUlT_T0_E_clISt17integral_constantIbLb1EES1F_EEDaS1A_S1B_EUlS1A_E_NS1_11comp_targetILNS1_3genE4ELNS1_11target_archE910ELNS1_3gpuE8ELNS1_3repE0EEENS1_30default_config_static_selectorELNS0_4arch9wavefront6targetE0EEEvT1_
	.globl	_ZN7rocprim17ROCPRIM_400000_NS6detail17trampoline_kernelINS0_14default_configENS1_25partition_config_selectorILNS1_17partition_subalgoE5EtNS0_10empty_typeEbEEZZNS1_14partition_implILS5_5ELb0ES3_mN6thrust23THRUST_200600_302600_NS6detail15normal_iteratorINSA_10device_ptrItEEEEPS6_NSA_18transform_iteratorINSB_9not_fun_tI7is_trueItEEENSC_INSD_IbEEEENSA_11use_defaultESO_EENS0_5tupleIJNSA_16discard_iteratorISO_EES6_EEENSQ_IJSG_SG_EEES6_PlJS6_EEE10hipError_tPvRmT3_T4_T5_T6_T7_T9_mT8_P12ihipStream_tbDpT10_ENKUlT_T0_E_clISt17integral_constantIbLb1EES1F_EEDaS1A_S1B_EUlS1A_E_NS1_11comp_targetILNS1_3genE4ELNS1_11target_archE910ELNS1_3gpuE8ELNS1_3repE0EEENS1_30default_config_static_selectorELNS0_4arch9wavefront6targetE0EEEvT1_
	.p2align	8
	.type	_ZN7rocprim17ROCPRIM_400000_NS6detail17trampoline_kernelINS0_14default_configENS1_25partition_config_selectorILNS1_17partition_subalgoE5EtNS0_10empty_typeEbEEZZNS1_14partition_implILS5_5ELb0ES3_mN6thrust23THRUST_200600_302600_NS6detail15normal_iteratorINSA_10device_ptrItEEEEPS6_NSA_18transform_iteratorINSB_9not_fun_tI7is_trueItEEENSC_INSD_IbEEEENSA_11use_defaultESO_EENS0_5tupleIJNSA_16discard_iteratorISO_EES6_EEENSQ_IJSG_SG_EEES6_PlJS6_EEE10hipError_tPvRmT3_T4_T5_T6_T7_T9_mT8_P12ihipStream_tbDpT10_ENKUlT_T0_E_clISt17integral_constantIbLb1EES1F_EEDaS1A_S1B_EUlS1A_E_NS1_11comp_targetILNS1_3genE4ELNS1_11target_archE910ELNS1_3gpuE8ELNS1_3repE0EEENS1_30default_config_static_selectorELNS0_4arch9wavefront6targetE0EEEvT1_,@function
_ZN7rocprim17ROCPRIM_400000_NS6detail17trampoline_kernelINS0_14default_configENS1_25partition_config_selectorILNS1_17partition_subalgoE5EtNS0_10empty_typeEbEEZZNS1_14partition_implILS5_5ELb0ES3_mN6thrust23THRUST_200600_302600_NS6detail15normal_iteratorINSA_10device_ptrItEEEEPS6_NSA_18transform_iteratorINSB_9not_fun_tI7is_trueItEEENSC_INSD_IbEEEENSA_11use_defaultESO_EENS0_5tupleIJNSA_16discard_iteratorISO_EES6_EEENSQ_IJSG_SG_EEES6_PlJS6_EEE10hipError_tPvRmT3_T4_T5_T6_T7_T9_mT8_P12ihipStream_tbDpT10_ENKUlT_T0_E_clISt17integral_constantIbLb1EES1F_EEDaS1A_S1B_EUlS1A_E_NS1_11comp_targetILNS1_3genE4ELNS1_11target_archE910ELNS1_3gpuE8ELNS1_3repE0EEENS1_30default_config_static_selectorELNS0_4arch9wavefront6targetE0EEEvT1_: ; @_ZN7rocprim17ROCPRIM_400000_NS6detail17trampoline_kernelINS0_14default_configENS1_25partition_config_selectorILNS1_17partition_subalgoE5EtNS0_10empty_typeEbEEZZNS1_14partition_implILS5_5ELb0ES3_mN6thrust23THRUST_200600_302600_NS6detail15normal_iteratorINSA_10device_ptrItEEEEPS6_NSA_18transform_iteratorINSB_9not_fun_tI7is_trueItEEENSC_INSD_IbEEEENSA_11use_defaultESO_EENS0_5tupleIJNSA_16discard_iteratorISO_EES6_EEENSQ_IJSG_SG_EEES6_PlJS6_EEE10hipError_tPvRmT3_T4_T5_T6_T7_T9_mT8_P12ihipStream_tbDpT10_ENKUlT_T0_E_clISt17integral_constantIbLb1EES1F_EEDaS1A_S1B_EUlS1A_E_NS1_11comp_targetILNS1_3genE4ELNS1_11target_archE910ELNS1_3gpuE8ELNS1_3repE0EEENS1_30default_config_static_selectorELNS0_4arch9wavefront6targetE0EEEvT1_
; %bb.0:
	.section	.rodata,"a",@progbits
	.p2align	6, 0x0
	.amdhsa_kernel _ZN7rocprim17ROCPRIM_400000_NS6detail17trampoline_kernelINS0_14default_configENS1_25partition_config_selectorILNS1_17partition_subalgoE5EtNS0_10empty_typeEbEEZZNS1_14partition_implILS5_5ELb0ES3_mN6thrust23THRUST_200600_302600_NS6detail15normal_iteratorINSA_10device_ptrItEEEEPS6_NSA_18transform_iteratorINSB_9not_fun_tI7is_trueItEEENSC_INSD_IbEEEENSA_11use_defaultESO_EENS0_5tupleIJNSA_16discard_iteratorISO_EES6_EEENSQ_IJSG_SG_EEES6_PlJS6_EEE10hipError_tPvRmT3_T4_T5_T6_T7_T9_mT8_P12ihipStream_tbDpT10_ENKUlT_T0_E_clISt17integral_constantIbLb1EES1F_EEDaS1A_S1B_EUlS1A_E_NS1_11comp_targetILNS1_3genE4ELNS1_11target_archE910ELNS1_3gpuE8ELNS1_3repE0EEENS1_30default_config_static_selectorELNS0_4arch9wavefront6targetE0EEEvT1_
		.amdhsa_group_segment_fixed_size 0
		.amdhsa_private_segment_fixed_size 0
		.amdhsa_kernarg_size 144
		.amdhsa_user_sgpr_count 2
		.amdhsa_user_sgpr_dispatch_ptr 0
		.amdhsa_user_sgpr_queue_ptr 0
		.amdhsa_user_sgpr_kernarg_segment_ptr 1
		.amdhsa_user_sgpr_dispatch_id 0
		.amdhsa_user_sgpr_private_segment_size 0
		.amdhsa_wavefront_size32 1
		.amdhsa_uses_dynamic_stack 0
		.amdhsa_enable_private_segment 0
		.amdhsa_system_sgpr_workgroup_id_x 1
		.amdhsa_system_sgpr_workgroup_id_y 0
		.amdhsa_system_sgpr_workgroup_id_z 0
		.amdhsa_system_sgpr_workgroup_info 0
		.amdhsa_system_vgpr_workitem_id 0
		.amdhsa_next_free_vgpr 1
		.amdhsa_next_free_sgpr 1
		.amdhsa_reserve_vcc 0
		.amdhsa_float_round_mode_32 0
		.amdhsa_float_round_mode_16_64 0
		.amdhsa_float_denorm_mode_32 3
		.amdhsa_float_denorm_mode_16_64 3
		.amdhsa_fp16_overflow 0
		.amdhsa_workgroup_processor_mode 1
		.amdhsa_memory_ordered 1
		.amdhsa_forward_progress 1
		.amdhsa_inst_pref_size 0
		.amdhsa_round_robin_scheduling 0
		.amdhsa_exception_fp_ieee_invalid_op 0
		.amdhsa_exception_fp_denorm_src 0
		.amdhsa_exception_fp_ieee_div_zero 0
		.amdhsa_exception_fp_ieee_overflow 0
		.amdhsa_exception_fp_ieee_underflow 0
		.amdhsa_exception_fp_ieee_inexact 0
		.amdhsa_exception_int_div_zero 0
	.end_amdhsa_kernel
	.section	.text._ZN7rocprim17ROCPRIM_400000_NS6detail17trampoline_kernelINS0_14default_configENS1_25partition_config_selectorILNS1_17partition_subalgoE5EtNS0_10empty_typeEbEEZZNS1_14partition_implILS5_5ELb0ES3_mN6thrust23THRUST_200600_302600_NS6detail15normal_iteratorINSA_10device_ptrItEEEEPS6_NSA_18transform_iteratorINSB_9not_fun_tI7is_trueItEEENSC_INSD_IbEEEENSA_11use_defaultESO_EENS0_5tupleIJNSA_16discard_iteratorISO_EES6_EEENSQ_IJSG_SG_EEES6_PlJS6_EEE10hipError_tPvRmT3_T4_T5_T6_T7_T9_mT8_P12ihipStream_tbDpT10_ENKUlT_T0_E_clISt17integral_constantIbLb1EES1F_EEDaS1A_S1B_EUlS1A_E_NS1_11comp_targetILNS1_3genE4ELNS1_11target_archE910ELNS1_3gpuE8ELNS1_3repE0EEENS1_30default_config_static_selectorELNS0_4arch9wavefront6targetE0EEEvT1_,"axG",@progbits,_ZN7rocprim17ROCPRIM_400000_NS6detail17trampoline_kernelINS0_14default_configENS1_25partition_config_selectorILNS1_17partition_subalgoE5EtNS0_10empty_typeEbEEZZNS1_14partition_implILS5_5ELb0ES3_mN6thrust23THRUST_200600_302600_NS6detail15normal_iteratorINSA_10device_ptrItEEEEPS6_NSA_18transform_iteratorINSB_9not_fun_tI7is_trueItEEENSC_INSD_IbEEEENSA_11use_defaultESO_EENS0_5tupleIJNSA_16discard_iteratorISO_EES6_EEENSQ_IJSG_SG_EEES6_PlJS6_EEE10hipError_tPvRmT3_T4_T5_T6_T7_T9_mT8_P12ihipStream_tbDpT10_ENKUlT_T0_E_clISt17integral_constantIbLb1EES1F_EEDaS1A_S1B_EUlS1A_E_NS1_11comp_targetILNS1_3genE4ELNS1_11target_archE910ELNS1_3gpuE8ELNS1_3repE0EEENS1_30default_config_static_selectorELNS0_4arch9wavefront6targetE0EEEvT1_,comdat
.Lfunc_end2727:
	.size	_ZN7rocprim17ROCPRIM_400000_NS6detail17trampoline_kernelINS0_14default_configENS1_25partition_config_selectorILNS1_17partition_subalgoE5EtNS0_10empty_typeEbEEZZNS1_14partition_implILS5_5ELb0ES3_mN6thrust23THRUST_200600_302600_NS6detail15normal_iteratorINSA_10device_ptrItEEEEPS6_NSA_18transform_iteratorINSB_9not_fun_tI7is_trueItEEENSC_INSD_IbEEEENSA_11use_defaultESO_EENS0_5tupleIJNSA_16discard_iteratorISO_EES6_EEENSQ_IJSG_SG_EEES6_PlJS6_EEE10hipError_tPvRmT3_T4_T5_T6_T7_T9_mT8_P12ihipStream_tbDpT10_ENKUlT_T0_E_clISt17integral_constantIbLb1EES1F_EEDaS1A_S1B_EUlS1A_E_NS1_11comp_targetILNS1_3genE4ELNS1_11target_archE910ELNS1_3gpuE8ELNS1_3repE0EEENS1_30default_config_static_selectorELNS0_4arch9wavefront6targetE0EEEvT1_, .Lfunc_end2727-_ZN7rocprim17ROCPRIM_400000_NS6detail17trampoline_kernelINS0_14default_configENS1_25partition_config_selectorILNS1_17partition_subalgoE5EtNS0_10empty_typeEbEEZZNS1_14partition_implILS5_5ELb0ES3_mN6thrust23THRUST_200600_302600_NS6detail15normal_iteratorINSA_10device_ptrItEEEEPS6_NSA_18transform_iteratorINSB_9not_fun_tI7is_trueItEEENSC_INSD_IbEEEENSA_11use_defaultESO_EENS0_5tupleIJNSA_16discard_iteratorISO_EES6_EEENSQ_IJSG_SG_EEES6_PlJS6_EEE10hipError_tPvRmT3_T4_T5_T6_T7_T9_mT8_P12ihipStream_tbDpT10_ENKUlT_T0_E_clISt17integral_constantIbLb1EES1F_EEDaS1A_S1B_EUlS1A_E_NS1_11comp_targetILNS1_3genE4ELNS1_11target_archE910ELNS1_3gpuE8ELNS1_3repE0EEENS1_30default_config_static_selectorELNS0_4arch9wavefront6targetE0EEEvT1_
                                        ; -- End function
	.set _ZN7rocprim17ROCPRIM_400000_NS6detail17trampoline_kernelINS0_14default_configENS1_25partition_config_selectorILNS1_17partition_subalgoE5EtNS0_10empty_typeEbEEZZNS1_14partition_implILS5_5ELb0ES3_mN6thrust23THRUST_200600_302600_NS6detail15normal_iteratorINSA_10device_ptrItEEEEPS6_NSA_18transform_iteratorINSB_9not_fun_tI7is_trueItEEENSC_INSD_IbEEEENSA_11use_defaultESO_EENS0_5tupleIJNSA_16discard_iteratorISO_EES6_EEENSQ_IJSG_SG_EEES6_PlJS6_EEE10hipError_tPvRmT3_T4_T5_T6_T7_T9_mT8_P12ihipStream_tbDpT10_ENKUlT_T0_E_clISt17integral_constantIbLb1EES1F_EEDaS1A_S1B_EUlS1A_E_NS1_11comp_targetILNS1_3genE4ELNS1_11target_archE910ELNS1_3gpuE8ELNS1_3repE0EEENS1_30default_config_static_selectorELNS0_4arch9wavefront6targetE0EEEvT1_.num_vgpr, 0
	.set _ZN7rocprim17ROCPRIM_400000_NS6detail17trampoline_kernelINS0_14default_configENS1_25partition_config_selectorILNS1_17partition_subalgoE5EtNS0_10empty_typeEbEEZZNS1_14partition_implILS5_5ELb0ES3_mN6thrust23THRUST_200600_302600_NS6detail15normal_iteratorINSA_10device_ptrItEEEEPS6_NSA_18transform_iteratorINSB_9not_fun_tI7is_trueItEEENSC_INSD_IbEEEENSA_11use_defaultESO_EENS0_5tupleIJNSA_16discard_iteratorISO_EES6_EEENSQ_IJSG_SG_EEES6_PlJS6_EEE10hipError_tPvRmT3_T4_T5_T6_T7_T9_mT8_P12ihipStream_tbDpT10_ENKUlT_T0_E_clISt17integral_constantIbLb1EES1F_EEDaS1A_S1B_EUlS1A_E_NS1_11comp_targetILNS1_3genE4ELNS1_11target_archE910ELNS1_3gpuE8ELNS1_3repE0EEENS1_30default_config_static_selectorELNS0_4arch9wavefront6targetE0EEEvT1_.num_agpr, 0
	.set _ZN7rocprim17ROCPRIM_400000_NS6detail17trampoline_kernelINS0_14default_configENS1_25partition_config_selectorILNS1_17partition_subalgoE5EtNS0_10empty_typeEbEEZZNS1_14partition_implILS5_5ELb0ES3_mN6thrust23THRUST_200600_302600_NS6detail15normal_iteratorINSA_10device_ptrItEEEEPS6_NSA_18transform_iteratorINSB_9not_fun_tI7is_trueItEEENSC_INSD_IbEEEENSA_11use_defaultESO_EENS0_5tupleIJNSA_16discard_iteratorISO_EES6_EEENSQ_IJSG_SG_EEES6_PlJS6_EEE10hipError_tPvRmT3_T4_T5_T6_T7_T9_mT8_P12ihipStream_tbDpT10_ENKUlT_T0_E_clISt17integral_constantIbLb1EES1F_EEDaS1A_S1B_EUlS1A_E_NS1_11comp_targetILNS1_3genE4ELNS1_11target_archE910ELNS1_3gpuE8ELNS1_3repE0EEENS1_30default_config_static_selectorELNS0_4arch9wavefront6targetE0EEEvT1_.numbered_sgpr, 0
	.set _ZN7rocprim17ROCPRIM_400000_NS6detail17trampoline_kernelINS0_14default_configENS1_25partition_config_selectorILNS1_17partition_subalgoE5EtNS0_10empty_typeEbEEZZNS1_14partition_implILS5_5ELb0ES3_mN6thrust23THRUST_200600_302600_NS6detail15normal_iteratorINSA_10device_ptrItEEEEPS6_NSA_18transform_iteratorINSB_9not_fun_tI7is_trueItEEENSC_INSD_IbEEEENSA_11use_defaultESO_EENS0_5tupleIJNSA_16discard_iteratorISO_EES6_EEENSQ_IJSG_SG_EEES6_PlJS6_EEE10hipError_tPvRmT3_T4_T5_T6_T7_T9_mT8_P12ihipStream_tbDpT10_ENKUlT_T0_E_clISt17integral_constantIbLb1EES1F_EEDaS1A_S1B_EUlS1A_E_NS1_11comp_targetILNS1_3genE4ELNS1_11target_archE910ELNS1_3gpuE8ELNS1_3repE0EEENS1_30default_config_static_selectorELNS0_4arch9wavefront6targetE0EEEvT1_.num_named_barrier, 0
	.set _ZN7rocprim17ROCPRIM_400000_NS6detail17trampoline_kernelINS0_14default_configENS1_25partition_config_selectorILNS1_17partition_subalgoE5EtNS0_10empty_typeEbEEZZNS1_14partition_implILS5_5ELb0ES3_mN6thrust23THRUST_200600_302600_NS6detail15normal_iteratorINSA_10device_ptrItEEEEPS6_NSA_18transform_iteratorINSB_9not_fun_tI7is_trueItEEENSC_INSD_IbEEEENSA_11use_defaultESO_EENS0_5tupleIJNSA_16discard_iteratorISO_EES6_EEENSQ_IJSG_SG_EEES6_PlJS6_EEE10hipError_tPvRmT3_T4_T5_T6_T7_T9_mT8_P12ihipStream_tbDpT10_ENKUlT_T0_E_clISt17integral_constantIbLb1EES1F_EEDaS1A_S1B_EUlS1A_E_NS1_11comp_targetILNS1_3genE4ELNS1_11target_archE910ELNS1_3gpuE8ELNS1_3repE0EEENS1_30default_config_static_selectorELNS0_4arch9wavefront6targetE0EEEvT1_.private_seg_size, 0
	.set _ZN7rocprim17ROCPRIM_400000_NS6detail17trampoline_kernelINS0_14default_configENS1_25partition_config_selectorILNS1_17partition_subalgoE5EtNS0_10empty_typeEbEEZZNS1_14partition_implILS5_5ELb0ES3_mN6thrust23THRUST_200600_302600_NS6detail15normal_iteratorINSA_10device_ptrItEEEEPS6_NSA_18transform_iteratorINSB_9not_fun_tI7is_trueItEEENSC_INSD_IbEEEENSA_11use_defaultESO_EENS0_5tupleIJNSA_16discard_iteratorISO_EES6_EEENSQ_IJSG_SG_EEES6_PlJS6_EEE10hipError_tPvRmT3_T4_T5_T6_T7_T9_mT8_P12ihipStream_tbDpT10_ENKUlT_T0_E_clISt17integral_constantIbLb1EES1F_EEDaS1A_S1B_EUlS1A_E_NS1_11comp_targetILNS1_3genE4ELNS1_11target_archE910ELNS1_3gpuE8ELNS1_3repE0EEENS1_30default_config_static_selectorELNS0_4arch9wavefront6targetE0EEEvT1_.uses_vcc, 0
	.set _ZN7rocprim17ROCPRIM_400000_NS6detail17trampoline_kernelINS0_14default_configENS1_25partition_config_selectorILNS1_17partition_subalgoE5EtNS0_10empty_typeEbEEZZNS1_14partition_implILS5_5ELb0ES3_mN6thrust23THRUST_200600_302600_NS6detail15normal_iteratorINSA_10device_ptrItEEEEPS6_NSA_18transform_iteratorINSB_9not_fun_tI7is_trueItEEENSC_INSD_IbEEEENSA_11use_defaultESO_EENS0_5tupleIJNSA_16discard_iteratorISO_EES6_EEENSQ_IJSG_SG_EEES6_PlJS6_EEE10hipError_tPvRmT3_T4_T5_T6_T7_T9_mT8_P12ihipStream_tbDpT10_ENKUlT_T0_E_clISt17integral_constantIbLb1EES1F_EEDaS1A_S1B_EUlS1A_E_NS1_11comp_targetILNS1_3genE4ELNS1_11target_archE910ELNS1_3gpuE8ELNS1_3repE0EEENS1_30default_config_static_selectorELNS0_4arch9wavefront6targetE0EEEvT1_.uses_flat_scratch, 0
	.set _ZN7rocprim17ROCPRIM_400000_NS6detail17trampoline_kernelINS0_14default_configENS1_25partition_config_selectorILNS1_17partition_subalgoE5EtNS0_10empty_typeEbEEZZNS1_14partition_implILS5_5ELb0ES3_mN6thrust23THRUST_200600_302600_NS6detail15normal_iteratorINSA_10device_ptrItEEEEPS6_NSA_18transform_iteratorINSB_9not_fun_tI7is_trueItEEENSC_INSD_IbEEEENSA_11use_defaultESO_EENS0_5tupleIJNSA_16discard_iteratorISO_EES6_EEENSQ_IJSG_SG_EEES6_PlJS6_EEE10hipError_tPvRmT3_T4_T5_T6_T7_T9_mT8_P12ihipStream_tbDpT10_ENKUlT_T0_E_clISt17integral_constantIbLb1EES1F_EEDaS1A_S1B_EUlS1A_E_NS1_11comp_targetILNS1_3genE4ELNS1_11target_archE910ELNS1_3gpuE8ELNS1_3repE0EEENS1_30default_config_static_selectorELNS0_4arch9wavefront6targetE0EEEvT1_.has_dyn_sized_stack, 0
	.set _ZN7rocprim17ROCPRIM_400000_NS6detail17trampoline_kernelINS0_14default_configENS1_25partition_config_selectorILNS1_17partition_subalgoE5EtNS0_10empty_typeEbEEZZNS1_14partition_implILS5_5ELb0ES3_mN6thrust23THRUST_200600_302600_NS6detail15normal_iteratorINSA_10device_ptrItEEEEPS6_NSA_18transform_iteratorINSB_9not_fun_tI7is_trueItEEENSC_INSD_IbEEEENSA_11use_defaultESO_EENS0_5tupleIJNSA_16discard_iteratorISO_EES6_EEENSQ_IJSG_SG_EEES6_PlJS6_EEE10hipError_tPvRmT3_T4_T5_T6_T7_T9_mT8_P12ihipStream_tbDpT10_ENKUlT_T0_E_clISt17integral_constantIbLb1EES1F_EEDaS1A_S1B_EUlS1A_E_NS1_11comp_targetILNS1_3genE4ELNS1_11target_archE910ELNS1_3gpuE8ELNS1_3repE0EEENS1_30default_config_static_selectorELNS0_4arch9wavefront6targetE0EEEvT1_.has_recursion, 0
	.set _ZN7rocprim17ROCPRIM_400000_NS6detail17trampoline_kernelINS0_14default_configENS1_25partition_config_selectorILNS1_17partition_subalgoE5EtNS0_10empty_typeEbEEZZNS1_14partition_implILS5_5ELb0ES3_mN6thrust23THRUST_200600_302600_NS6detail15normal_iteratorINSA_10device_ptrItEEEEPS6_NSA_18transform_iteratorINSB_9not_fun_tI7is_trueItEEENSC_INSD_IbEEEENSA_11use_defaultESO_EENS0_5tupleIJNSA_16discard_iteratorISO_EES6_EEENSQ_IJSG_SG_EEES6_PlJS6_EEE10hipError_tPvRmT3_T4_T5_T6_T7_T9_mT8_P12ihipStream_tbDpT10_ENKUlT_T0_E_clISt17integral_constantIbLb1EES1F_EEDaS1A_S1B_EUlS1A_E_NS1_11comp_targetILNS1_3genE4ELNS1_11target_archE910ELNS1_3gpuE8ELNS1_3repE0EEENS1_30default_config_static_selectorELNS0_4arch9wavefront6targetE0EEEvT1_.has_indirect_call, 0
	.section	.AMDGPU.csdata,"",@progbits
; Kernel info:
; codeLenInByte = 0
; TotalNumSgprs: 0
; NumVgprs: 0
; ScratchSize: 0
; MemoryBound: 0
; FloatMode: 240
; IeeeMode: 1
; LDSByteSize: 0 bytes/workgroup (compile time only)
; SGPRBlocks: 0
; VGPRBlocks: 0
; NumSGPRsForWavesPerEU: 1
; NumVGPRsForWavesPerEU: 1
; Occupancy: 16
; WaveLimiterHint : 0
; COMPUTE_PGM_RSRC2:SCRATCH_EN: 0
; COMPUTE_PGM_RSRC2:USER_SGPR: 2
; COMPUTE_PGM_RSRC2:TRAP_HANDLER: 0
; COMPUTE_PGM_RSRC2:TGID_X_EN: 1
; COMPUTE_PGM_RSRC2:TGID_Y_EN: 0
; COMPUTE_PGM_RSRC2:TGID_Z_EN: 0
; COMPUTE_PGM_RSRC2:TIDIG_COMP_CNT: 0
	.section	.text._ZN7rocprim17ROCPRIM_400000_NS6detail17trampoline_kernelINS0_14default_configENS1_25partition_config_selectorILNS1_17partition_subalgoE5EtNS0_10empty_typeEbEEZZNS1_14partition_implILS5_5ELb0ES3_mN6thrust23THRUST_200600_302600_NS6detail15normal_iteratorINSA_10device_ptrItEEEEPS6_NSA_18transform_iteratorINSB_9not_fun_tI7is_trueItEEENSC_INSD_IbEEEENSA_11use_defaultESO_EENS0_5tupleIJNSA_16discard_iteratorISO_EES6_EEENSQ_IJSG_SG_EEES6_PlJS6_EEE10hipError_tPvRmT3_T4_T5_T6_T7_T9_mT8_P12ihipStream_tbDpT10_ENKUlT_T0_E_clISt17integral_constantIbLb1EES1F_EEDaS1A_S1B_EUlS1A_E_NS1_11comp_targetILNS1_3genE3ELNS1_11target_archE908ELNS1_3gpuE7ELNS1_3repE0EEENS1_30default_config_static_selectorELNS0_4arch9wavefront6targetE0EEEvT1_,"axG",@progbits,_ZN7rocprim17ROCPRIM_400000_NS6detail17trampoline_kernelINS0_14default_configENS1_25partition_config_selectorILNS1_17partition_subalgoE5EtNS0_10empty_typeEbEEZZNS1_14partition_implILS5_5ELb0ES3_mN6thrust23THRUST_200600_302600_NS6detail15normal_iteratorINSA_10device_ptrItEEEEPS6_NSA_18transform_iteratorINSB_9not_fun_tI7is_trueItEEENSC_INSD_IbEEEENSA_11use_defaultESO_EENS0_5tupleIJNSA_16discard_iteratorISO_EES6_EEENSQ_IJSG_SG_EEES6_PlJS6_EEE10hipError_tPvRmT3_T4_T5_T6_T7_T9_mT8_P12ihipStream_tbDpT10_ENKUlT_T0_E_clISt17integral_constantIbLb1EES1F_EEDaS1A_S1B_EUlS1A_E_NS1_11comp_targetILNS1_3genE3ELNS1_11target_archE908ELNS1_3gpuE7ELNS1_3repE0EEENS1_30default_config_static_selectorELNS0_4arch9wavefront6targetE0EEEvT1_,comdat
	.protected	_ZN7rocprim17ROCPRIM_400000_NS6detail17trampoline_kernelINS0_14default_configENS1_25partition_config_selectorILNS1_17partition_subalgoE5EtNS0_10empty_typeEbEEZZNS1_14partition_implILS5_5ELb0ES3_mN6thrust23THRUST_200600_302600_NS6detail15normal_iteratorINSA_10device_ptrItEEEEPS6_NSA_18transform_iteratorINSB_9not_fun_tI7is_trueItEEENSC_INSD_IbEEEENSA_11use_defaultESO_EENS0_5tupleIJNSA_16discard_iteratorISO_EES6_EEENSQ_IJSG_SG_EEES6_PlJS6_EEE10hipError_tPvRmT3_T4_T5_T6_T7_T9_mT8_P12ihipStream_tbDpT10_ENKUlT_T0_E_clISt17integral_constantIbLb1EES1F_EEDaS1A_S1B_EUlS1A_E_NS1_11comp_targetILNS1_3genE3ELNS1_11target_archE908ELNS1_3gpuE7ELNS1_3repE0EEENS1_30default_config_static_selectorELNS0_4arch9wavefront6targetE0EEEvT1_ ; -- Begin function _ZN7rocprim17ROCPRIM_400000_NS6detail17trampoline_kernelINS0_14default_configENS1_25partition_config_selectorILNS1_17partition_subalgoE5EtNS0_10empty_typeEbEEZZNS1_14partition_implILS5_5ELb0ES3_mN6thrust23THRUST_200600_302600_NS6detail15normal_iteratorINSA_10device_ptrItEEEEPS6_NSA_18transform_iteratorINSB_9not_fun_tI7is_trueItEEENSC_INSD_IbEEEENSA_11use_defaultESO_EENS0_5tupleIJNSA_16discard_iteratorISO_EES6_EEENSQ_IJSG_SG_EEES6_PlJS6_EEE10hipError_tPvRmT3_T4_T5_T6_T7_T9_mT8_P12ihipStream_tbDpT10_ENKUlT_T0_E_clISt17integral_constantIbLb1EES1F_EEDaS1A_S1B_EUlS1A_E_NS1_11comp_targetILNS1_3genE3ELNS1_11target_archE908ELNS1_3gpuE7ELNS1_3repE0EEENS1_30default_config_static_selectorELNS0_4arch9wavefront6targetE0EEEvT1_
	.globl	_ZN7rocprim17ROCPRIM_400000_NS6detail17trampoline_kernelINS0_14default_configENS1_25partition_config_selectorILNS1_17partition_subalgoE5EtNS0_10empty_typeEbEEZZNS1_14partition_implILS5_5ELb0ES3_mN6thrust23THRUST_200600_302600_NS6detail15normal_iteratorINSA_10device_ptrItEEEEPS6_NSA_18transform_iteratorINSB_9not_fun_tI7is_trueItEEENSC_INSD_IbEEEENSA_11use_defaultESO_EENS0_5tupleIJNSA_16discard_iteratorISO_EES6_EEENSQ_IJSG_SG_EEES6_PlJS6_EEE10hipError_tPvRmT3_T4_T5_T6_T7_T9_mT8_P12ihipStream_tbDpT10_ENKUlT_T0_E_clISt17integral_constantIbLb1EES1F_EEDaS1A_S1B_EUlS1A_E_NS1_11comp_targetILNS1_3genE3ELNS1_11target_archE908ELNS1_3gpuE7ELNS1_3repE0EEENS1_30default_config_static_selectorELNS0_4arch9wavefront6targetE0EEEvT1_
	.p2align	8
	.type	_ZN7rocprim17ROCPRIM_400000_NS6detail17trampoline_kernelINS0_14default_configENS1_25partition_config_selectorILNS1_17partition_subalgoE5EtNS0_10empty_typeEbEEZZNS1_14partition_implILS5_5ELb0ES3_mN6thrust23THRUST_200600_302600_NS6detail15normal_iteratorINSA_10device_ptrItEEEEPS6_NSA_18transform_iteratorINSB_9not_fun_tI7is_trueItEEENSC_INSD_IbEEEENSA_11use_defaultESO_EENS0_5tupleIJNSA_16discard_iteratorISO_EES6_EEENSQ_IJSG_SG_EEES6_PlJS6_EEE10hipError_tPvRmT3_T4_T5_T6_T7_T9_mT8_P12ihipStream_tbDpT10_ENKUlT_T0_E_clISt17integral_constantIbLb1EES1F_EEDaS1A_S1B_EUlS1A_E_NS1_11comp_targetILNS1_3genE3ELNS1_11target_archE908ELNS1_3gpuE7ELNS1_3repE0EEENS1_30default_config_static_selectorELNS0_4arch9wavefront6targetE0EEEvT1_,@function
_ZN7rocprim17ROCPRIM_400000_NS6detail17trampoline_kernelINS0_14default_configENS1_25partition_config_selectorILNS1_17partition_subalgoE5EtNS0_10empty_typeEbEEZZNS1_14partition_implILS5_5ELb0ES3_mN6thrust23THRUST_200600_302600_NS6detail15normal_iteratorINSA_10device_ptrItEEEEPS6_NSA_18transform_iteratorINSB_9not_fun_tI7is_trueItEEENSC_INSD_IbEEEENSA_11use_defaultESO_EENS0_5tupleIJNSA_16discard_iteratorISO_EES6_EEENSQ_IJSG_SG_EEES6_PlJS6_EEE10hipError_tPvRmT3_T4_T5_T6_T7_T9_mT8_P12ihipStream_tbDpT10_ENKUlT_T0_E_clISt17integral_constantIbLb1EES1F_EEDaS1A_S1B_EUlS1A_E_NS1_11comp_targetILNS1_3genE3ELNS1_11target_archE908ELNS1_3gpuE7ELNS1_3repE0EEENS1_30default_config_static_selectorELNS0_4arch9wavefront6targetE0EEEvT1_: ; @_ZN7rocprim17ROCPRIM_400000_NS6detail17trampoline_kernelINS0_14default_configENS1_25partition_config_selectorILNS1_17partition_subalgoE5EtNS0_10empty_typeEbEEZZNS1_14partition_implILS5_5ELb0ES3_mN6thrust23THRUST_200600_302600_NS6detail15normal_iteratorINSA_10device_ptrItEEEEPS6_NSA_18transform_iteratorINSB_9not_fun_tI7is_trueItEEENSC_INSD_IbEEEENSA_11use_defaultESO_EENS0_5tupleIJNSA_16discard_iteratorISO_EES6_EEENSQ_IJSG_SG_EEES6_PlJS6_EEE10hipError_tPvRmT3_T4_T5_T6_T7_T9_mT8_P12ihipStream_tbDpT10_ENKUlT_T0_E_clISt17integral_constantIbLb1EES1F_EEDaS1A_S1B_EUlS1A_E_NS1_11comp_targetILNS1_3genE3ELNS1_11target_archE908ELNS1_3gpuE7ELNS1_3repE0EEENS1_30default_config_static_selectorELNS0_4arch9wavefront6targetE0EEEvT1_
; %bb.0:
	.section	.rodata,"a",@progbits
	.p2align	6, 0x0
	.amdhsa_kernel _ZN7rocprim17ROCPRIM_400000_NS6detail17trampoline_kernelINS0_14default_configENS1_25partition_config_selectorILNS1_17partition_subalgoE5EtNS0_10empty_typeEbEEZZNS1_14partition_implILS5_5ELb0ES3_mN6thrust23THRUST_200600_302600_NS6detail15normal_iteratorINSA_10device_ptrItEEEEPS6_NSA_18transform_iteratorINSB_9not_fun_tI7is_trueItEEENSC_INSD_IbEEEENSA_11use_defaultESO_EENS0_5tupleIJNSA_16discard_iteratorISO_EES6_EEENSQ_IJSG_SG_EEES6_PlJS6_EEE10hipError_tPvRmT3_T4_T5_T6_T7_T9_mT8_P12ihipStream_tbDpT10_ENKUlT_T0_E_clISt17integral_constantIbLb1EES1F_EEDaS1A_S1B_EUlS1A_E_NS1_11comp_targetILNS1_3genE3ELNS1_11target_archE908ELNS1_3gpuE7ELNS1_3repE0EEENS1_30default_config_static_selectorELNS0_4arch9wavefront6targetE0EEEvT1_
		.amdhsa_group_segment_fixed_size 0
		.amdhsa_private_segment_fixed_size 0
		.amdhsa_kernarg_size 144
		.amdhsa_user_sgpr_count 2
		.amdhsa_user_sgpr_dispatch_ptr 0
		.amdhsa_user_sgpr_queue_ptr 0
		.amdhsa_user_sgpr_kernarg_segment_ptr 1
		.amdhsa_user_sgpr_dispatch_id 0
		.amdhsa_user_sgpr_private_segment_size 0
		.amdhsa_wavefront_size32 1
		.amdhsa_uses_dynamic_stack 0
		.amdhsa_enable_private_segment 0
		.amdhsa_system_sgpr_workgroup_id_x 1
		.amdhsa_system_sgpr_workgroup_id_y 0
		.amdhsa_system_sgpr_workgroup_id_z 0
		.amdhsa_system_sgpr_workgroup_info 0
		.amdhsa_system_vgpr_workitem_id 0
		.amdhsa_next_free_vgpr 1
		.amdhsa_next_free_sgpr 1
		.amdhsa_reserve_vcc 0
		.amdhsa_float_round_mode_32 0
		.amdhsa_float_round_mode_16_64 0
		.amdhsa_float_denorm_mode_32 3
		.amdhsa_float_denorm_mode_16_64 3
		.amdhsa_fp16_overflow 0
		.amdhsa_workgroup_processor_mode 1
		.amdhsa_memory_ordered 1
		.amdhsa_forward_progress 1
		.amdhsa_inst_pref_size 0
		.amdhsa_round_robin_scheduling 0
		.amdhsa_exception_fp_ieee_invalid_op 0
		.amdhsa_exception_fp_denorm_src 0
		.amdhsa_exception_fp_ieee_div_zero 0
		.amdhsa_exception_fp_ieee_overflow 0
		.amdhsa_exception_fp_ieee_underflow 0
		.amdhsa_exception_fp_ieee_inexact 0
		.amdhsa_exception_int_div_zero 0
	.end_amdhsa_kernel
	.section	.text._ZN7rocprim17ROCPRIM_400000_NS6detail17trampoline_kernelINS0_14default_configENS1_25partition_config_selectorILNS1_17partition_subalgoE5EtNS0_10empty_typeEbEEZZNS1_14partition_implILS5_5ELb0ES3_mN6thrust23THRUST_200600_302600_NS6detail15normal_iteratorINSA_10device_ptrItEEEEPS6_NSA_18transform_iteratorINSB_9not_fun_tI7is_trueItEEENSC_INSD_IbEEEENSA_11use_defaultESO_EENS0_5tupleIJNSA_16discard_iteratorISO_EES6_EEENSQ_IJSG_SG_EEES6_PlJS6_EEE10hipError_tPvRmT3_T4_T5_T6_T7_T9_mT8_P12ihipStream_tbDpT10_ENKUlT_T0_E_clISt17integral_constantIbLb1EES1F_EEDaS1A_S1B_EUlS1A_E_NS1_11comp_targetILNS1_3genE3ELNS1_11target_archE908ELNS1_3gpuE7ELNS1_3repE0EEENS1_30default_config_static_selectorELNS0_4arch9wavefront6targetE0EEEvT1_,"axG",@progbits,_ZN7rocprim17ROCPRIM_400000_NS6detail17trampoline_kernelINS0_14default_configENS1_25partition_config_selectorILNS1_17partition_subalgoE5EtNS0_10empty_typeEbEEZZNS1_14partition_implILS5_5ELb0ES3_mN6thrust23THRUST_200600_302600_NS6detail15normal_iteratorINSA_10device_ptrItEEEEPS6_NSA_18transform_iteratorINSB_9not_fun_tI7is_trueItEEENSC_INSD_IbEEEENSA_11use_defaultESO_EENS0_5tupleIJNSA_16discard_iteratorISO_EES6_EEENSQ_IJSG_SG_EEES6_PlJS6_EEE10hipError_tPvRmT3_T4_T5_T6_T7_T9_mT8_P12ihipStream_tbDpT10_ENKUlT_T0_E_clISt17integral_constantIbLb1EES1F_EEDaS1A_S1B_EUlS1A_E_NS1_11comp_targetILNS1_3genE3ELNS1_11target_archE908ELNS1_3gpuE7ELNS1_3repE0EEENS1_30default_config_static_selectorELNS0_4arch9wavefront6targetE0EEEvT1_,comdat
.Lfunc_end2728:
	.size	_ZN7rocprim17ROCPRIM_400000_NS6detail17trampoline_kernelINS0_14default_configENS1_25partition_config_selectorILNS1_17partition_subalgoE5EtNS0_10empty_typeEbEEZZNS1_14partition_implILS5_5ELb0ES3_mN6thrust23THRUST_200600_302600_NS6detail15normal_iteratorINSA_10device_ptrItEEEEPS6_NSA_18transform_iteratorINSB_9not_fun_tI7is_trueItEEENSC_INSD_IbEEEENSA_11use_defaultESO_EENS0_5tupleIJNSA_16discard_iteratorISO_EES6_EEENSQ_IJSG_SG_EEES6_PlJS6_EEE10hipError_tPvRmT3_T4_T5_T6_T7_T9_mT8_P12ihipStream_tbDpT10_ENKUlT_T0_E_clISt17integral_constantIbLb1EES1F_EEDaS1A_S1B_EUlS1A_E_NS1_11comp_targetILNS1_3genE3ELNS1_11target_archE908ELNS1_3gpuE7ELNS1_3repE0EEENS1_30default_config_static_selectorELNS0_4arch9wavefront6targetE0EEEvT1_, .Lfunc_end2728-_ZN7rocprim17ROCPRIM_400000_NS6detail17trampoline_kernelINS0_14default_configENS1_25partition_config_selectorILNS1_17partition_subalgoE5EtNS0_10empty_typeEbEEZZNS1_14partition_implILS5_5ELb0ES3_mN6thrust23THRUST_200600_302600_NS6detail15normal_iteratorINSA_10device_ptrItEEEEPS6_NSA_18transform_iteratorINSB_9not_fun_tI7is_trueItEEENSC_INSD_IbEEEENSA_11use_defaultESO_EENS0_5tupleIJNSA_16discard_iteratorISO_EES6_EEENSQ_IJSG_SG_EEES6_PlJS6_EEE10hipError_tPvRmT3_T4_T5_T6_T7_T9_mT8_P12ihipStream_tbDpT10_ENKUlT_T0_E_clISt17integral_constantIbLb1EES1F_EEDaS1A_S1B_EUlS1A_E_NS1_11comp_targetILNS1_3genE3ELNS1_11target_archE908ELNS1_3gpuE7ELNS1_3repE0EEENS1_30default_config_static_selectorELNS0_4arch9wavefront6targetE0EEEvT1_
                                        ; -- End function
	.set _ZN7rocprim17ROCPRIM_400000_NS6detail17trampoline_kernelINS0_14default_configENS1_25partition_config_selectorILNS1_17partition_subalgoE5EtNS0_10empty_typeEbEEZZNS1_14partition_implILS5_5ELb0ES3_mN6thrust23THRUST_200600_302600_NS6detail15normal_iteratorINSA_10device_ptrItEEEEPS6_NSA_18transform_iteratorINSB_9not_fun_tI7is_trueItEEENSC_INSD_IbEEEENSA_11use_defaultESO_EENS0_5tupleIJNSA_16discard_iteratorISO_EES6_EEENSQ_IJSG_SG_EEES6_PlJS6_EEE10hipError_tPvRmT3_T4_T5_T6_T7_T9_mT8_P12ihipStream_tbDpT10_ENKUlT_T0_E_clISt17integral_constantIbLb1EES1F_EEDaS1A_S1B_EUlS1A_E_NS1_11comp_targetILNS1_3genE3ELNS1_11target_archE908ELNS1_3gpuE7ELNS1_3repE0EEENS1_30default_config_static_selectorELNS0_4arch9wavefront6targetE0EEEvT1_.num_vgpr, 0
	.set _ZN7rocprim17ROCPRIM_400000_NS6detail17trampoline_kernelINS0_14default_configENS1_25partition_config_selectorILNS1_17partition_subalgoE5EtNS0_10empty_typeEbEEZZNS1_14partition_implILS5_5ELb0ES3_mN6thrust23THRUST_200600_302600_NS6detail15normal_iteratorINSA_10device_ptrItEEEEPS6_NSA_18transform_iteratorINSB_9not_fun_tI7is_trueItEEENSC_INSD_IbEEEENSA_11use_defaultESO_EENS0_5tupleIJNSA_16discard_iteratorISO_EES6_EEENSQ_IJSG_SG_EEES6_PlJS6_EEE10hipError_tPvRmT3_T4_T5_T6_T7_T9_mT8_P12ihipStream_tbDpT10_ENKUlT_T0_E_clISt17integral_constantIbLb1EES1F_EEDaS1A_S1B_EUlS1A_E_NS1_11comp_targetILNS1_3genE3ELNS1_11target_archE908ELNS1_3gpuE7ELNS1_3repE0EEENS1_30default_config_static_selectorELNS0_4arch9wavefront6targetE0EEEvT1_.num_agpr, 0
	.set _ZN7rocprim17ROCPRIM_400000_NS6detail17trampoline_kernelINS0_14default_configENS1_25partition_config_selectorILNS1_17partition_subalgoE5EtNS0_10empty_typeEbEEZZNS1_14partition_implILS5_5ELb0ES3_mN6thrust23THRUST_200600_302600_NS6detail15normal_iteratorINSA_10device_ptrItEEEEPS6_NSA_18transform_iteratorINSB_9not_fun_tI7is_trueItEEENSC_INSD_IbEEEENSA_11use_defaultESO_EENS0_5tupleIJNSA_16discard_iteratorISO_EES6_EEENSQ_IJSG_SG_EEES6_PlJS6_EEE10hipError_tPvRmT3_T4_T5_T6_T7_T9_mT8_P12ihipStream_tbDpT10_ENKUlT_T0_E_clISt17integral_constantIbLb1EES1F_EEDaS1A_S1B_EUlS1A_E_NS1_11comp_targetILNS1_3genE3ELNS1_11target_archE908ELNS1_3gpuE7ELNS1_3repE0EEENS1_30default_config_static_selectorELNS0_4arch9wavefront6targetE0EEEvT1_.numbered_sgpr, 0
	.set _ZN7rocprim17ROCPRIM_400000_NS6detail17trampoline_kernelINS0_14default_configENS1_25partition_config_selectorILNS1_17partition_subalgoE5EtNS0_10empty_typeEbEEZZNS1_14partition_implILS5_5ELb0ES3_mN6thrust23THRUST_200600_302600_NS6detail15normal_iteratorINSA_10device_ptrItEEEEPS6_NSA_18transform_iteratorINSB_9not_fun_tI7is_trueItEEENSC_INSD_IbEEEENSA_11use_defaultESO_EENS0_5tupleIJNSA_16discard_iteratorISO_EES6_EEENSQ_IJSG_SG_EEES6_PlJS6_EEE10hipError_tPvRmT3_T4_T5_T6_T7_T9_mT8_P12ihipStream_tbDpT10_ENKUlT_T0_E_clISt17integral_constantIbLb1EES1F_EEDaS1A_S1B_EUlS1A_E_NS1_11comp_targetILNS1_3genE3ELNS1_11target_archE908ELNS1_3gpuE7ELNS1_3repE0EEENS1_30default_config_static_selectorELNS0_4arch9wavefront6targetE0EEEvT1_.num_named_barrier, 0
	.set _ZN7rocprim17ROCPRIM_400000_NS6detail17trampoline_kernelINS0_14default_configENS1_25partition_config_selectorILNS1_17partition_subalgoE5EtNS0_10empty_typeEbEEZZNS1_14partition_implILS5_5ELb0ES3_mN6thrust23THRUST_200600_302600_NS6detail15normal_iteratorINSA_10device_ptrItEEEEPS6_NSA_18transform_iteratorINSB_9not_fun_tI7is_trueItEEENSC_INSD_IbEEEENSA_11use_defaultESO_EENS0_5tupleIJNSA_16discard_iteratorISO_EES6_EEENSQ_IJSG_SG_EEES6_PlJS6_EEE10hipError_tPvRmT3_T4_T5_T6_T7_T9_mT8_P12ihipStream_tbDpT10_ENKUlT_T0_E_clISt17integral_constantIbLb1EES1F_EEDaS1A_S1B_EUlS1A_E_NS1_11comp_targetILNS1_3genE3ELNS1_11target_archE908ELNS1_3gpuE7ELNS1_3repE0EEENS1_30default_config_static_selectorELNS0_4arch9wavefront6targetE0EEEvT1_.private_seg_size, 0
	.set _ZN7rocprim17ROCPRIM_400000_NS6detail17trampoline_kernelINS0_14default_configENS1_25partition_config_selectorILNS1_17partition_subalgoE5EtNS0_10empty_typeEbEEZZNS1_14partition_implILS5_5ELb0ES3_mN6thrust23THRUST_200600_302600_NS6detail15normal_iteratorINSA_10device_ptrItEEEEPS6_NSA_18transform_iteratorINSB_9not_fun_tI7is_trueItEEENSC_INSD_IbEEEENSA_11use_defaultESO_EENS0_5tupleIJNSA_16discard_iteratorISO_EES6_EEENSQ_IJSG_SG_EEES6_PlJS6_EEE10hipError_tPvRmT3_T4_T5_T6_T7_T9_mT8_P12ihipStream_tbDpT10_ENKUlT_T0_E_clISt17integral_constantIbLb1EES1F_EEDaS1A_S1B_EUlS1A_E_NS1_11comp_targetILNS1_3genE3ELNS1_11target_archE908ELNS1_3gpuE7ELNS1_3repE0EEENS1_30default_config_static_selectorELNS0_4arch9wavefront6targetE0EEEvT1_.uses_vcc, 0
	.set _ZN7rocprim17ROCPRIM_400000_NS6detail17trampoline_kernelINS0_14default_configENS1_25partition_config_selectorILNS1_17partition_subalgoE5EtNS0_10empty_typeEbEEZZNS1_14partition_implILS5_5ELb0ES3_mN6thrust23THRUST_200600_302600_NS6detail15normal_iteratorINSA_10device_ptrItEEEEPS6_NSA_18transform_iteratorINSB_9not_fun_tI7is_trueItEEENSC_INSD_IbEEEENSA_11use_defaultESO_EENS0_5tupleIJNSA_16discard_iteratorISO_EES6_EEENSQ_IJSG_SG_EEES6_PlJS6_EEE10hipError_tPvRmT3_T4_T5_T6_T7_T9_mT8_P12ihipStream_tbDpT10_ENKUlT_T0_E_clISt17integral_constantIbLb1EES1F_EEDaS1A_S1B_EUlS1A_E_NS1_11comp_targetILNS1_3genE3ELNS1_11target_archE908ELNS1_3gpuE7ELNS1_3repE0EEENS1_30default_config_static_selectorELNS0_4arch9wavefront6targetE0EEEvT1_.uses_flat_scratch, 0
	.set _ZN7rocprim17ROCPRIM_400000_NS6detail17trampoline_kernelINS0_14default_configENS1_25partition_config_selectorILNS1_17partition_subalgoE5EtNS0_10empty_typeEbEEZZNS1_14partition_implILS5_5ELb0ES3_mN6thrust23THRUST_200600_302600_NS6detail15normal_iteratorINSA_10device_ptrItEEEEPS6_NSA_18transform_iteratorINSB_9not_fun_tI7is_trueItEEENSC_INSD_IbEEEENSA_11use_defaultESO_EENS0_5tupleIJNSA_16discard_iteratorISO_EES6_EEENSQ_IJSG_SG_EEES6_PlJS6_EEE10hipError_tPvRmT3_T4_T5_T6_T7_T9_mT8_P12ihipStream_tbDpT10_ENKUlT_T0_E_clISt17integral_constantIbLb1EES1F_EEDaS1A_S1B_EUlS1A_E_NS1_11comp_targetILNS1_3genE3ELNS1_11target_archE908ELNS1_3gpuE7ELNS1_3repE0EEENS1_30default_config_static_selectorELNS0_4arch9wavefront6targetE0EEEvT1_.has_dyn_sized_stack, 0
	.set _ZN7rocprim17ROCPRIM_400000_NS6detail17trampoline_kernelINS0_14default_configENS1_25partition_config_selectorILNS1_17partition_subalgoE5EtNS0_10empty_typeEbEEZZNS1_14partition_implILS5_5ELb0ES3_mN6thrust23THRUST_200600_302600_NS6detail15normal_iteratorINSA_10device_ptrItEEEEPS6_NSA_18transform_iteratorINSB_9not_fun_tI7is_trueItEEENSC_INSD_IbEEEENSA_11use_defaultESO_EENS0_5tupleIJNSA_16discard_iteratorISO_EES6_EEENSQ_IJSG_SG_EEES6_PlJS6_EEE10hipError_tPvRmT3_T4_T5_T6_T7_T9_mT8_P12ihipStream_tbDpT10_ENKUlT_T0_E_clISt17integral_constantIbLb1EES1F_EEDaS1A_S1B_EUlS1A_E_NS1_11comp_targetILNS1_3genE3ELNS1_11target_archE908ELNS1_3gpuE7ELNS1_3repE0EEENS1_30default_config_static_selectorELNS0_4arch9wavefront6targetE0EEEvT1_.has_recursion, 0
	.set _ZN7rocprim17ROCPRIM_400000_NS6detail17trampoline_kernelINS0_14default_configENS1_25partition_config_selectorILNS1_17partition_subalgoE5EtNS0_10empty_typeEbEEZZNS1_14partition_implILS5_5ELb0ES3_mN6thrust23THRUST_200600_302600_NS6detail15normal_iteratorINSA_10device_ptrItEEEEPS6_NSA_18transform_iteratorINSB_9not_fun_tI7is_trueItEEENSC_INSD_IbEEEENSA_11use_defaultESO_EENS0_5tupleIJNSA_16discard_iteratorISO_EES6_EEENSQ_IJSG_SG_EEES6_PlJS6_EEE10hipError_tPvRmT3_T4_T5_T6_T7_T9_mT8_P12ihipStream_tbDpT10_ENKUlT_T0_E_clISt17integral_constantIbLb1EES1F_EEDaS1A_S1B_EUlS1A_E_NS1_11comp_targetILNS1_3genE3ELNS1_11target_archE908ELNS1_3gpuE7ELNS1_3repE0EEENS1_30default_config_static_selectorELNS0_4arch9wavefront6targetE0EEEvT1_.has_indirect_call, 0
	.section	.AMDGPU.csdata,"",@progbits
; Kernel info:
; codeLenInByte = 0
; TotalNumSgprs: 0
; NumVgprs: 0
; ScratchSize: 0
; MemoryBound: 0
; FloatMode: 240
; IeeeMode: 1
; LDSByteSize: 0 bytes/workgroup (compile time only)
; SGPRBlocks: 0
; VGPRBlocks: 0
; NumSGPRsForWavesPerEU: 1
; NumVGPRsForWavesPerEU: 1
; Occupancy: 16
; WaveLimiterHint : 0
; COMPUTE_PGM_RSRC2:SCRATCH_EN: 0
; COMPUTE_PGM_RSRC2:USER_SGPR: 2
; COMPUTE_PGM_RSRC2:TRAP_HANDLER: 0
; COMPUTE_PGM_RSRC2:TGID_X_EN: 1
; COMPUTE_PGM_RSRC2:TGID_Y_EN: 0
; COMPUTE_PGM_RSRC2:TGID_Z_EN: 0
; COMPUTE_PGM_RSRC2:TIDIG_COMP_CNT: 0
	.section	.text._ZN7rocprim17ROCPRIM_400000_NS6detail17trampoline_kernelINS0_14default_configENS1_25partition_config_selectorILNS1_17partition_subalgoE5EtNS0_10empty_typeEbEEZZNS1_14partition_implILS5_5ELb0ES3_mN6thrust23THRUST_200600_302600_NS6detail15normal_iteratorINSA_10device_ptrItEEEEPS6_NSA_18transform_iteratorINSB_9not_fun_tI7is_trueItEEENSC_INSD_IbEEEENSA_11use_defaultESO_EENS0_5tupleIJNSA_16discard_iteratorISO_EES6_EEENSQ_IJSG_SG_EEES6_PlJS6_EEE10hipError_tPvRmT3_T4_T5_T6_T7_T9_mT8_P12ihipStream_tbDpT10_ENKUlT_T0_E_clISt17integral_constantIbLb1EES1F_EEDaS1A_S1B_EUlS1A_E_NS1_11comp_targetILNS1_3genE2ELNS1_11target_archE906ELNS1_3gpuE6ELNS1_3repE0EEENS1_30default_config_static_selectorELNS0_4arch9wavefront6targetE0EEEvT1_,"axG",@progbits,_ZN7rocprim17ROCPRIM_400000_NS6detail17trampoline_kernelINS0_14default_configENS1_25partition_config_selectorILNS1_17partition_subalgoE5EtNS0_10empty_typeEbEEZZNS1_14partition_implILS5_5ELb0ES3_mN6thrust23THRUST_200600_302600_NS6detail15normal_iteratorINSA_10device_ptrItEEEEPS6_NSA_18transform_iteratorINSB_9not_fun_tI7is_trueItEEENSC_INSD_IbEEEENSA_11use_defaultESO_EENS0_5tupleIJNSA_16discard_iteratorISO_EES6_EEENSQ_IJSG_SG_EEES6_PlJS6_EEE10hipError_tPvRmT3_T4_T5_T6_T7_T9_mT8_P12ihipStream_tbDpT10_ENKUlT_T0_E_clISt17integral_constantIbLb1EES1F_EEDaS1A_S1B_EUlS1A_E_NS1_11comp_targetILNS1_3genE2ELNS1_11target_archE906ELNS1_3gpuE6ELNS1_3repE0EEENS1_30default_config_static_selectorELNS0_4arch9wavefront6targetE0EEEvT1_,comdat
	.protected	_ZN7rocprim17ROCPRIM_400000_NS6detail17trampoline_kernelINS0_14default_configENS1_25partition_config_selectorILNS1_17partition_subalgoE5EtNS0_10empty_typeEbEEZZNS1_14partition_implILS5_5ELb0ES3_mN6thrust23THRUST_200600_302600_NS6detail15normal_iteratorINSA_10device_ptrItEEEEPS6_NSA_18transform_iteratorINSB_9not_fun_tI7is_trueItEEENSC_INSD_IbEEEENSA_11use_defaultESO_EENS0_5tupleIJNSA_16discard_iteratorISO_EES6_EEENSQ_IJSG_SG_EEES6_PlJS6_EEE10hipError_tPvRmT3_T4_T5_T6_T7_T9_mT8_P12ihipStream_tbDpT10_ENKUlT_T0_E_clISt17integral_constantIbLb1EES1F_EEDaS1A_S1B_EUlS1A_E_NS1_11comp_targetILNS1_3genE2ELNS1_11target_archE906ELNS1_3gpuE6ELNS1_3repE0EEENS1_30default_config_static_selectorELNS0_4arch9wavefront6targetE0EEEvT1_ ; -- Begin function _ZN7rocprim17ROCPRIM_400000_NS6detail17trampoline_kernelINS0_14default_configENS1_25partition_config_selectorILNS1_17partition_subalgoE5EtNS0_10empty_typeEbEEZZNS1_14partition_implILS5_5ELb0ES3_mN6thrust23THRUST_200600_302600_NS6detail15normal_iteratorINSA_10device_ptrItEEEEPS6_NSA_18transform_iteratorINSB_9not_fun_tI7is_trueItEEENSC_INSD_IbEEEENSA_11use_defaultESO_EENS0_5tupleIJNSA_16discard_iteratorISO_EES6_EEENSQ_IJSG_SG_EEES6_PlJS6_EEE10hipError_tPvRmT3_T4_T5_T6_T7_T9_mT8_P12ihipStream_tbDpT10_ENKUlT_T0_E_clISt17integral_constantIbLb1EES1F_EEDaS1A_S1B_EUlS1A_E_NS1_11comp_targetILNS1_3genE2ELNS1_11target_archE906ELNS1_3gpuE6ELNS1_3repE0EEENS1_30default_config_static_selectorELNS0_4arch9wavefront6targetE0EEEvT1_
	.globl	_ZN7rocprim17ROCPRIM_400000_NS6detail17trampoline_kernelINS0_14default_configENS1_25partition_config_selectorILNS1_17partition_subalgoE5EtNS0_10empty_typeEbEEZZNS1_14partition_implILS5_5ELb0ES3_mN6thrust23THRUST_200600_302600_NS6detail15normal_iteratorINSA_10device_ptrItEEEEPS6_NSA_18transform_iteratorINSB_9not_fun_tI7is_trueItEEENSC_INSD_IbEEEENSA_11use_defaultESO_EENS0_5tupleIJNSA_16discard_iteratorISO_EES6_EEENSQ_IJSG_SG_EEES6_PlJS6_EEE10hipError_tPvRmT3_T4_T5_T6_T7_T9_mT8_P12ihipStream_tbDpT10_ENKUlT_T0_E_clISt17integral_constantIbLb1EES1F_EEDaS1A_S1B_EUlS1A_E_NS1_11comp_targetILNS1_3genE2ELNS1_11target_archE906ELNS1_3gpuE6ELNS1_3repE0EEENS1_30default_config_static_selectorELNS0_4arch9wavefront6targetE0EEEvT1_
	.p2align	8
	.type	_ZN7rocprim17ROCPRIM_400000_NS6detail17trampoline_kernelINS0_14default_configENS1_25partition_config_selectorILNS1_17partition_subalgoE5EtNS0_10empty_typeEbEEZZNS1_14partition_implILS5_5ELb0ES3_mN6thrust23THRUST_200600_302600_NS6detail15normal_iteratorINSA_10device_ptrItEEEEPS6_NSA_18transform_iteratorINSB_9not_fun_tI7is_trueItEEENSC_INSD_IbEEEENSA_11use_defaultESO_EENS0_5tupleIJNSA_16discard_iteratorISO_EES6_EEENSQ_IJSG_SG_EEES6_PlJS6_EEE10hipError_tPvRmT3_T4_T5_T6_T7_T9_mT8_P12ihipStream_tbDpT10_ENKUlT_T0_E_clISt17integral_constantIbLb1EES1F_EEDaS1A_S1B_EUlS1A_E_NS1_11comp_targetILNS1_3genE2ELNS1_11target_archE906ELNS1_3gpuE6ELNS1_3repE0EEENS1_30default_config_static_selectorELNS0_4arch9wavefront6targetE0EEEvT1_,@function
_ZN7rocprim17ROCPRIM_400000_NS6detail17trampoline_kernelINS0_14default_configENS1_25partition_config_selectorILNS1_17partition_subalgoE5EtNS0_10empty_typeEbEEZZNS1_14partition_implILS5_5ELb0ES3_mN6thrust23THRUST_200600_302600_NS6detail15normal_iteratorINSA_10device_ptrItEEEEPS6_NSA_18transform_iteratorINSB_9not_fun_tI7is_trueItEEENSC_INSD_IbEEEENSA_11use_defaultESO_EENS0_5tupleIJNSA_16discard_iteratorISO_EES6_EEENSQ_IJSG_SG_EEES6_PlJS6_EEE10hipError_tPvRmT3_T4_T5_T6_T7_T9_mT8_P12ihipStream_tbDpT10_ENKUlT_T0_E_clISt17integral_constantIbLb1EES1F_EEDaS1A_S1B_EUlS1A_E_NS1_11comp_targetILNS1_3genE2ELNS1_11target_archE906ELNS1_3gpuE6ELNS1_3repE0EEENS1_30default_config_static_selectorELNS0_4arch9wavefront6targetE0EEEvT1_: ; @_ZN7rocprim17ROCPRIM_400000_NS6detail17trampoline_kernelINS0_14default_configENS1_25partition_config_selectorILNS1_17partition_subalgoE5EtNS0_10empty_typeEbEEZZNS1_14partition_implILS5_5ELb0ES3_mN6thrust23THRUST_200600_302600_NS6detail15normal_iteratorINSA_10device_ptrItEEEEPS6_NSA_18transform_iteratorINSB_9not_fun_tI7is_trueItEEENSC_INSD_IbEEEENSA_11use_defaultESO_EENS0_5tupleIJNSA_16discard_iteratorISO_EES6_EEENSQ_IJSG_SG_EEES6_PlJS6_EEE10hipError_tPvRmT3_T4_T5_T6_T7_T9_mT8_P12ihipStream_tbDpT10_ENKUlT_T0_E_clISt17integral_constantIbLb1EES1F_EEDaS1A_S1B_EUlS1A_E_NS1_11comp_targetILNS1_3genE2ELNS1_11target_archE906ELNS1_3gpuE6ELNS1_3repE0EEENS1_30default_config_static_selectorELNS0_4arch9wavefront6targetE0EEEvT1_
; %bb.0:
	.section	.rodata,"a",@progbits
	.p2align	6, 0x0
	.amdhsa_kernel _ZN7rocprim17ROCPRIM_400000_NS6detail17trampoline_kernelINS0_14default_configENS1_25partition_config_selectorILNS1_17partition_subalgoE5EtNS0_10empty_typeEbEEZZNS1_14partition_implILS5_5ELb0ES3_mN6thrust23THRUST_200600_302600_NS6detail15normal_iteratorINSA_10device_ptrItEEEEPS6_NSA_18transform_iteratorINSB_9not_fun_tI7is_trueItEEENSC_INSD_IbEEEENSA_11use_defaultESO_EENS0_5tupleIJNSA_16discard_iteratorISO_EES6_EEENSQ_IJSG_SG_EEES6_PlJS6_EEE10hipError_tPvRmT3_T4_T5_T6_T7_T9_mT8_P12ihipStream_tbDpT10_ENKUlT_T0_E_clISt17integral_constantIbLb1EES1F_EEDaS1A_S1B_EUlS1A_E_NS1_11comp_targetILNS1_3genE2ELNS1_11target_archE906ELNS1_3gpuE6ELNS1_3repE0EEENS1_30default_config_static_selectorELNS0_4arch9wavefront6targetE0EEEvT1_
		.amdhsa_group_segment_fixed_size 0
		.amdhsa_private_segment_fixed_size 0
		.amdhsa_kernarg_size 144
		.amdhsa_user_sgpr_count 2
		.amdhsa_user_sgpr_dispatch_ptr 0
		.amdhsa_user_sgpr_queue_ptr 0
		.amdhsa_user_sgpr_kernarg_segment_ptr 1
		.amdhsa_user_sgpr_dispatch_id 0
		.amdhsa_user_sgpr_private_segment_size 0
		.amdhsa_wavefront_size32 1
		.amdhsa_uses_dynamic_stack 0
		.amdhsa_enable_private_segment 0
		.amdhsa_system_sgpr_workgroup_id_x 1
		.amdhsa_system_sgpr_workgroup_id_y 0
		.amdhsa_system_sgpr_workgroup_id_z 0
		.amdhsa_system_sgpr_workgroup_info 0
		.amdhsa_system_vgpr_workitem_id 0
		.amdhsa_next_free_vgpr 1
		.amdhsa_next_free_sgpr 1
		.amdhsa_reserve_vcc 0
		.amdhsa_float_round_mode_32 0
		.amdhsa_float_round_mode_16_64 0
		.amdhsa_float_denorm_mode_32 3
		.amdhsa_float_denorm_mode_16_64 3
		.amdhsa_fp16_overflow 0
		.amdhsa_workgroup_processor_mode 1
		.amdhsa_memory_ordered 1
		.amdhsa_forward_progress 1
		.amdhsa_inst_pref_size 0
		.amdhsa_round_robin_scheduling 0
		.amdhsa_exception_fp_ieee_invalid_op 0
		.amdhsa_exception_fp_denorm_src 0
		.amdhsa_exception_fp_ieee_div_zero 0
		.amdhsa_exception_fp_ieee_overflow 0
		.amdhsa_exception_fp_ieee_underflow 0
		.amdhsa_exception_fp_ieee_inexact 0
		.amdhsa_exception_int_div_zero 0
	.end_amdhsa_kernel
	.section	.text._ZN7rocprim17ROCPRIM_400000_NS6detail17trampoline_kernelINS0_14default_configENS1_25partition_config_selectorILNS1_17partition_subalgoE5EtNS0_10empty_typeEbEEZZNS1_14partition_implILS5_5ELb0ES3_mN6thrust23THRUST_200600_302600_NS6detail15normal_iteratorINSA_10device_ptrItEEEEPS6_NSA_18transform_iteratorINSB_9not_fun_tI7is_trueItEEENSC_INSD_IbEEEENSA_11use_defaultESO_EENS0_5tupleIJNSA_16discard_iteratorISO_EES6_EEENSQ_IJSG_SG_EEES6_PlJS6_EEE10hipError_tPvRmT3_T4_T5_T6_T7_T9_mT8_P12ihipStream_tbDpT10_ENKUlT_T0_E_clISt17integral_constantIbLb1EES1F_EEDaS1A_S1B_EUlS1A_E_NS1_11comp_targetILNS1_3genE2ELNS1_11target_archE906ELNS1_3gpuE6ELNS1_3repE0EEENS1_30default_config_static_selectorELNS0_4arch9wavefront6targetE0EEEvT1_,"axG",@progbits,_ZN7rocprim17ROCPRIM_400000_NS6detail17trampoline_kernelINS0_14default_configENS1_25partition_config_selectorILNS1_17partition_subalgoE5EtNS0_10empty_typeEbEEZZNS1_14partition_implILS5_5ELb0ES3_mN6thrust23THRUST_200600_302600_NS6detail15normal_iteratorINSA_10device_ptrItEEEEPS6_NSA_18transform_iteratorINSB_9not_fun_tI7is_trueItEEENSC_INSD_IbEEEENSA_11use_defaultESO_EENS0_5tupleIJNSA_16discard_iteratorISO_EES6_EEENSQ_IJSG_SG_EEES6_PlJS6_EEE10hipError_tPvRmT3_T4_T5_T6_T7_T9_mT8_P12ihipStream_tbDpT10_ENKUlT_T0_E_clISt17integral_constantIbLb1EES1F_EEDaS1A_S1B_EUlS1A_E_NS1_11comp_targetILNS1_3genE2ELNS1_11target_archE906ELNS1_3gpuE6ELNS1_3repE0EEENS1_30default_config_static_selectorELNS0_4arch9wavefront6targetE0EEEvT1_,comdat
.Lfunc_end2729:
	.size	_ZN7rocprim17ROCPRIM_400000_NS6detail17trampoline_kernelINS0_14default_configENS1_25partition_config_selectorILNS1_17partition_subalgoE5EtNS0_10empty_typeEbEEZZNS1_14partition_implILS5_5ELb0ES3_mN6thrust23THRUST_200600_302600_NS6detail15normal_iteratorINSA_10device_ptrItEEEEPS6_NSA_18transform_iteratorINSB_9not_fun_tI7is_trueItEEENSC_INSD_IbEEEENSA_11use_defaultESO_EENS0_5tupleIJNSA_16discard_iteratorISO_EES6_EEENSQ_IJSG_SG_EEES6_PlJS6_EEE10hipError_tPvRmT3_T4_T5_T6_T7_T9_mT8_P12ihipStream_tbDpT10_ENKUlT_T0_E_clISt17integral_constantIbLb1EES1F_EEDaS1A_S1B_EUlS1A_E_NS1_11comp_targetILNS1_3genE2ELNS1_11target_archE906ELNS1_3gpuE6ELNS1_3repE0EEENS1_30default_config_static_selectorELNS0_4arch9wavefront6targetE0EEEvT1_, .Lfunc_end2729-_ZN7rocprim17ROCPRIM_400000_NS6detail17trampoline_kernelINS0_14default_configENS1_25partition_config_selectorILNS1_17partition_subalgoE5EtNS0_10empty_typeEbEEZZNS1_14partition_implILS5_5ELb0ES3_mN6thrust23THRUST_200600_302600_NS6detail15normal_iteratorINSA_10device_ptrItEEEEPS6_NSA_18transform_iteratorINSB_9not_fun_tI7is_trueItEEENSC_INSD_IbEEEENSA_11use_defaultESO_EENS0_5tupleIJNSA_16discard_iteratorISO_EES6_EEENSQ_IJSG_SG_EEES6_PlJS6_EEE10hipError_tPvRmT3_T4_T5_T6_T7_T9_mT8_P12ihipStream_tbDpT10_ENKUlT_T0_E_clISt17integral_constantIbLb1EES1F_EEDaS1A_S1B_EUlS1A_E_NS1_11comp_targetILNS1_3genE2ELNS1_11target_archE906ELNS1_3gpuE6ELNS1_3repE0EEENS1_30default_config_static_selectorELNS0_4arch9wavefront6targetE0EEEvT1_
                                        ; -- End function
	.set _ZN7rocprim17ROCPRIM_400000_NS6detail17trampoline_kernelINS0_14default_configENS1_25partition_config_selectorILNS1_17partition_subalgoE5EtNS0_10empty_typeEbEEZZNS1_14partition_implILS5_5ELb0ES3_mN6thrust23THRUST_200600_302600_NS6detail15normal_iteratorINSA_10device_ptrItEEEEPS6_NSA_18transform_iteratorINSB_9not_fun_tI7is_trueItEEENSC_INSD_IbEEEENSA_11use_defaultESO_EENS0_5tupleIJNSA_16discard_iteratorISO_EES6_EEENSQ_IJSG_SG_EEES6_PlJS6_EEE10hipError_tPvRmT3_T4_T5_T6_T7_T9_mT8_P12ihipStream_tbDpT10_ENKUlT_T0_E_clISt17integral_constantIbLb1EES1F_EEDaS1A_S1B_EUlS1A_E_NS1_11comp_targetILNS1_3genE2ELNS1_11target_archE906ELNS1_3gpuE6ELNS1_3repE0EEENS1_30default_config_static_selectorELNS0_4arch9wavefront6targetE0EEEvT1_.num_vgpr, 0
	.set _ZN7rocprim17ROCPRIM_400000_NS6detail17trampoline_kernelINS0_14default_configENS1_25partition_config_selectorILNS1_17partition_subalgoE5EtNS0_10empty_typeEbEEZZNS1_14partition_implILS5_5ELb0ES3_mN6thrust23THRUST_200600_302600_NS6detail15normal_iteratorINSA_10device_ptrItEEEEPS6_NSA_18transform_iteratorINSB_9not_fun_tI7is_trueItEEENSC_INSD_IbEEEENSA_11use_defaultESO_EENS0_5tupleIJNSA_16discard_iteratorISO_EES6_EEENSQ_IJSG_SG_EEES6_PlJS6_EEE10hipError_tPvRmT3_T4_T5_T6_T7_T9_mT8_P12ihipStream_tbDpT10_ENKUlT_T0_E_clISt17integral_constantIbLb1EES1F_EEDaS1A_S1B_EUlS1A_E_NS1_11comp_targetILNS1_3genE2ELNS1_11target_archE906ELNS1_3gpuE6ELNS1_3repE0EEENS1_30default_config_static_selectorELNS0_4arch9wavefront6targetE0EEEvT1_.num_agpr, 0
	.set _ZN7rocprim17ROCPRIM_400000_NS6detail17trampoline_kernelINS0_14default_configENS1_25partition_config_selectorILNS1_17partition_subalgoE5EtNS0_10empty_typeEbEEZZNS1_14partition_implILS5_5ELb0ES3_mN6thrust23THRUST_200600_302600_NS6detail15normal_iteratorINSA_10device_ptrItEEEEPS6_NSA_18transform_iteratorINSB_9not_fun_tI7is_trueItEEENSC_INSD_IbEEEENSA_11use_defaultESO_EENS0_5tupleIJNSA_16discard_iteratorISO_EES6_EEENSQ_IJSG_SG_EEES6_PlJS6_EEE10hipError_tPvRmT3_T4_T5_T6_T7_T9_mT8_P12ihipStream_tbDpT10_ENKUlT_T0_E_clISt17integral_constantIbLb1EES1F_EEDaS1A_S1B_EUlS1A_E_NS1_11comp_targetILNS1_3genE2ELNS1_11target_archE906ELNS1_3gpuE6ELNS1_3repE0EEENS1_30default_config_static_selectorELNS0_4arch9wavefront6targetE0EEEvT1_.numbered_sgpr, 0
	.set _ZN7rocprim17ROCPRIM_400000_NS6detail17trampoline_kernelINS0_14default_configENS1_25partition_config_selectorILNS1_17partition_subalgoE5EtNS0_10empty_typeEbEEZZNS1_14partition_implILS5_5ELb0ES3_mN6thrust23THRUST_200600_302600_NS6detail15normal_iteratorINSA_10device_ptrItEEEEPS6_NSA_18transform_iteratorINSB_9not_fun_tI7is_trueItEEENSC_INSD_IbEEEENSA_11use_defaultESO_EENS0_5tupleIJNSA_16discard_iteratorISO_EES6_EEENSQ_IJSG_SG_EEES6_PlJS6_EEE10hipError_tPvRmT3_T4_T5_T6_T7_T9_mT8_P12ihipStream_tbDpT10_ENKUlT_T0_E_clISt17integral_constantIbLb1EES1F_EEDaS1A_S1B_EUlS1A_E_NS1_11comp_targetILNS1_3genE2ELNS1_11target_archE906ELNS1_3gpuE6ELNS1_3repE0EEENS1_30default_config_static_selectorELNS0_4arch9wavefront6targetE0EEEvT1_.num_named_barrier, 0
	.set _ZN7rocprim17ROCPRIM_400000_NS6detail17trampoline_kernelINS0_14default_configENS1_25partition_config_selectorILNS1_17partition_subalgoE5EtNS0_10empty_typeEbEEZZNS1_14partition_implILS5_5ELb0ES3_mN6thrust23THRUST_200600_302600_NS6detail15normal_iteratorINSA_10device_ptrItEEEEPS6_NSA_18transform_iteratorINSB_9not_fun_tI7is_trueItEEENSC_INSD_IbEEEENSA_11use_defaultESO_EENS0_5tupleIJNSA_16discard_iteratorISO_EES6_EEENSQ_IJSG_SG_EEES6_PlJS6_EEE10hipError_tPvRmT3_T4_T5_T6_T7_T9_mT8_P12ihipStream_tbDpT10_ENKUlT_T0_E_clISt17integral_constantIbLb1EES1F_EEDaS1A_S1B_EUlS1A_E_NS1_11comp_targetILNS1_3genE2ELNS1_11target_archE906ELNS1_3gpuE6ELNS1_3repE0EEENS1_30default_config_static_selectorELNS0_4arch9wavefront6targetE0EEEvT1_.private_seg_size, 0
	.set _ZN7rocprim17ROCPRIM_400000_NS6detail17trampoline_kernelINS0_14default_configENS1_25partition_config_selectorILNS1_17partition_subalgoE5EtNS0_10empty_typeEbEEZZNS1_14partition_implILS5_5ELb0ES3_mN6thrust23THRUST_200600_302600_NS6detail15normal_iteratorINSA_10device_ptrItEEEEPS6_NSA_18transform_iteratorINSB_9not_fun_tI7is_trueItEEENSC_INSD_IbEEEENSA_11use_defaultESO_EENS0_5tupleIJNSA_16discard_iteratorISO_EES6_EEENSQ_IJSG_SG_EEES6_PlJS6_EEE10hipError_tPvRmT3_T4_T5_T6_T7_T9_mT8_P12ihipStream_tbDpT10_ENKUlT_T0_E_clISt17integral_constantIbLb1EES1F_EEDaS1A_S1B_EUlS1A_E_NS1_11comp_targetILNS1_3genE2ELNS1_11target_archE906ELNS1_3gpuE6ELNS1_3repE0EEENS1_30default_config_static_selectorELNS0_4arch9wavefront6targetE0EEEvT1_.uses_vcc, 0
	.set _ZN7rocprim17ROCPRIM_400000_NS6detail17trampoline_kernelINS0_14default_configENS1_25partition_config_selectorILNS1_17partition_subalgoE5EtNS0_10empty_typeEbEEZZNS1_14partition_implILS5_5ELb0ES3_mN6thrust23THRUST_200600_302600_NS6detail15normal_iteratorINSA_10device_ptrItEEEEPS6_NSA_18transform_iteratorINSB_9not_fun_tI7is_trueItEEENSC_INSD_IbEEEENSA_11use_defaultESO_EENS0_5tupleIJNSA_16discard_iteratorISO_EES6_EEENSQ_IJSG_SG_EEES6_PlJS6_EEE10hipError_tPvRmT3_T4_T5_T6_T7_T9_mT8_P12ihipStream_tbDpT10_ENKUlT_T0_E_clISt17integral_constantIbLb1EES1F_EEDaS1A_S1B_EUlS1A_E_NS1_11comp_targetILNS1_3genE2ELNS1_11target_archE906ELNS1_3gpuE6ELNS1_3repE0EEENS1_30default_config_static_selectorELNS0_4arch9wavefront6targetE0EEEvT1_.uses_flat_scratch, 0
	.set _ZN7rocprim17ROCPRIM_400000_NS6detail17trampoline_kernelINS0_14default_configENS1_25partition_config_selectorILNS1_17partition_subalgoE5EtNS0_10empty_typeEbEEZZNS1_14partition_implILS5_5ELb0ES3_mN6thrust23THRUST_200600_302600_NS6detail15normal_iteratorINSA_10device_ptrItEEEEPS6_NSA_18transform_iteratorINSB_9not_fun_tI7is_trueItEEENSC_INSD_IbEEEENSA_11use_defaultESO_EENS0_5tupleIJNSA_16discard_iteratorISO_EES6_EEENSQ_IJSG_SG_EEES6_PlJS6_EEE10hipError_tPvRmT3_T4_T5_T6_T7_T9_mT8_P12ihipStream_tbDpT10_ENKUlT_T0_E_clISt17integral_constantIbLb1EES1F_EEDaS1A_S1B_EUlS1A_E_NS1_11comp_targetILNS1_3genE2ELNS1_11target_archE906ELNS1_3gpuE6ELNS1_3repE0EEENS1_30default_config_static_selectorELNS0_4arch9wavefront6targetE0EEEvT1_.has_dyn_sized_stack, 0
	.set _ZN7rocprim17ROCPRIM_400000_NS6detail17trampoline_kernelINS0_14default_configENS1_25partition_config_selectorILNS1_17partition_subalgoE5EtNS0_10empty_typeEbEEZZNS1_14partition_implILS5_5ELb0ES3_mN6thrust23THRUST_200600_302600_NS6detail15normal_iteratorINSA_10device_ptrItEEEEPS6_NSA_18transform_iteratorINSB_9not_fun_tI7is_trueItEEENSC_INSD_IbEEEENSA_11use_defaultESO_EENS0_5tupleIJNSA_16discard_iteratorISO_EES6_EEENSQ_IJSG_SG_EEES6_PlJS6_EEE10hipError_tPvRmT3_T4_T5_T6_T7_T9_mT8_P12ihipStream_tbDpT10_ENKUlT_T0_E_clISt17integral_constantIbLb1EES1F_EEDaS1A_S1B_EUlS1A_E_NS1_11comp_targetILNS1_3genE2ELNS1_11target_archE906ELNS1_3gpuE6ELNS1_3repE0EEENS1_30default_config_static_selectorELNS0_4arch9wavefront6targetE0EEEvT1_.has_recursion, 0
	.set _ZN7rocprim17ROCPRIM_400000_NS6detail17trampoline_kernelINS0_14default_configENS1_25partition_config_selectorILNS1_17partition_subalgoE5EtNS0_10empty_typeEbEEZZNS1_14partition_implILS5_5ELb0ES3_mN6thrust23THRUST_200600_302600_NS6detail15normal_iteratorINSA_10device_ptrItEEEEPS6_NSA_18transform_iteratorINSB_9not_fun_tI7is_trueItEEENSC_INSD_IbEEEENSA_11use_defaultESO_EENS0_5tupleIJNSA_16discard_iteratorISO_EES6_EEENSQ_IJSG_SG_EEES6_PlJS6_EEE10hipError_tPvRmT3_T4_T5_T6_T7_T9_mT8_P12ihipStream_tbDpT10_ENKUlT_T0_E_clISt17integral_constantIbLb1EES1F_EEDaS1A_S1B_EUlS1A_E_NS1_11comp_targetILNS1_3genE2ELNS1_11target_archE906ELNS1_3gpuE6ELNS1_3repE0EEENS1_30default_config_static_selectorELNS0_4arch9wavefront6targetE0EEEvT1_.has_indirect_call, 0
	.section	.AMDGPU.csdata,"",@progbits
; Kernel info:
; codeLenInByte = 0
; TotalNumSgprs: 0
; NumVgprs: 0
; ScratchSize: 0
; MemoryBound: 0
; FloatMode: 240
; IeeeMode: 1
; LDSByteSize: 0 bytes/workgroup (compile time only)
; SGPRBlocks: 0
; VGPRBlocks: 0
; NumSGPRsForWavesPerEU: 1
; NumVGPRsForWavesPerEU: 1
; Occupancy: 16
; WaveLimiterHint : 0
; COMPUTE_PGM_RSRC2:SCRATCH_EN: 0
; COMPUTE_PGM_RSRC2:USER_SGPR: 2
; COMPUTE_PGM_RSRC2:TRAP_HANDLER: 0
; COMPUTE_PGM_RSRC2:TGID_X_EN: 1
; COMPUTE_PGM_RSRC2:TGID_Y_EN: 0
; COMPUTE_PGM_RSRC2:TGID_Z_EN: 0
; COMPUTE_PGM_RSRC2:TIDIG_COMP_CNT: 0
	.section	.text._ZN7rocprim17ROCPRIM_400000_NS6detail17trampoline_kernelINS0_14default_configENS1_25partition_config_selectorILNS1_17partition_subalgoE5EtNS0_10empty_typeEbEEZZNS1_14partition_implILS5_5ELb0ES3_mN6thrust23THRUST_200600_302600_NS6detail15normal_iteratorINSA_10device_ptrItEEEEPS6_NSA_18transform_iteratorINSB_9not_fun_tI7is_trueItEEENSC_INSD_IbEEEENSA_11use_defaultESO_EENS0_5tupleIJNSA_16discard_iteratorISO_EES6_EEENSQ_IJSG_SG_EEES6_PlJS6_EEE10hipError_tPvRmT3_T4_T5_T6_T7_T9_mT8_P12ihipStream_tbDpT10_ENKUlT_T0_E_clISt17integral_constantIbLb1EES1F_EEDaS1A_S1B_EUlS1A_E_NS1_11comp_targetILNS1_3genE10ELNS1_11target_archE1200ELNS1_3gpuE4ELNS1_3repE0EEENS1_30default_config_static_selectorELNS0_4arch9wavefront6targetE0EEEvT1_,"axG",@progbits,_ZN7rocprim17ROCPRIM_400000_NS6detail17trampoline_kernelINS0_14default_configENS1_25partition_config_selectorILNS1_17partition_subalgoE5EtNS0_10empty_typeEbEEZZNS1_14partition_implILS5_5ELb0ES3_mN6thrust23THRUST_200600_302600_NS6detail15normal_iteratorINSA_10device_ptrItEEEEPS6_NSA_18transform_iteratorINSB_9not_fun_tI7is_trueItEEENSC_INSD_IbEEEENSA_11use_defaultESO_EENS0_5tupleIJNSA_16discard_iteratorISO_EES6_EEENSQ_IJSG_SG_EEES6_PlJS6_EEE10hipError_tPvRmT3_T4_T5_T6_T7_T9_mT8_P12ihipStream_tbDpT10_ENKUlT_T0_E_clISt17integral_constantIbLb1EES1F_EEDaS1A_S1B_EUlS1A_E_NS1_11comp_targetILNS1_3genE10ELNS1_11target_archE1200ELNS1_3gpuE4ELNS1_3repE0EEENS1_30default_config_static_selectorELNS0_4arch9wavefront6targetE0EEEvT1_,comdat
	.protected	_ZN7rocprim17ROCPRIM_400000_NS6detail17trampoline_kernelINS0_14default_configENS1_25partition_config_selectorILNS1_17partition_subalgoE5EtNS0_10empty_typeEbEEZZNS1_14partition_implILS5_5ELb0ES3_mN6thrust23THRUST_200600_302600_NS6detail15normal_iteratorINSA_10device_ptrItEEEEPS6_NSA_18transform_iteratorINSB_9not_fun_tI7is_trueItEEENSC_INSD_IbEEEENSA_11use_defaultESO_EENS0_5tupleIJNSA_16discard_iteratorISO_EES6_EEENSQ_IJSG_SG_EEES6_PlJS6_EEE10hipError_tPvRmT3_T4_T5_T6_T7_T9_mT8_P12ihipStream_tbDpT10_ENKUlT_T0_E_clISt17integral_constantIbLb1EES1F_EEDaS1A_S1B_EUlS1A_E_NS1_11comp_targetILNS1_3genE10ELNS1_11target_archE1200ELNS1_3gpuE4ELNS1_3repE0EEENS1_30default_config_static_selectorELNS0_4arch9wavefront6targetE0EEEvT1_ ; -- Begin function _ZN7rocprim17ROCPRIM_400000_NS6detail17trampoline_kernelINS0_14default_configENS1_25partition_config_selectorILNS1_17partition_subalgoE5EtNS0_10empty_typeEbEEZZNS1_14partition_implILS5_5ELb0ES3_mN6thrust23THRUST_200600_302600_NS6detail15normal_iteratorINSA_10device_ptrItEEEEPS6_NSA_18transform_iteratorINSB_9not_fun_tI7is_trueItEEENSC_INSD_IbEEEENSA_11use_defaultESO_EENS0_5tupleIJNSA_16discard_iteratorISO_EES6_EEENSQ_IJSG_SG_EEES6_PlJS6_EEE10hipError_tPvRmT3_T4_T5_T6_T7_T9_mT8_P12ihipStream_tbDpT10_ENKUlT_T0_E_clISt17integral_constantIbLb1EES1F_EEDaS1A_S1B_EUlS1A_E_NS1_11comp_targetILNS1_3genE10ELNS1_11target_archE1200ELNS1_3gpuE4ELNS1_3repE0EEENS1_30default_config_static_selectorELNS0_4arch9wavefront6targetE0EEEvT1_
	.globl	_ZN7rocprim17ROCPRIM_400000_NS6detail17trampoline_kernelINS0_14default_configENS1_25partition_config_selectorILNS1_17partition_subalgoE5EtNS0_10empty_typeEbEEZZNS1_14partition_implILS5_5ELb0ES3_mN6thrust23THRUST_200600_302600_NS6detail15normal_iteratorINSA_10device_ptrItEEEEPS6_NSA_18transform_iteratorINSB_9not_fun_tI7is_trueItEEENSC_INSD_IbEEEENSA_11use_defaultESO_EENS0_5tupleIJNSA_16discard_iteratorISO_EES6_EEENSQ_IJSG_SG_EEES6_PlJS6_EEE10hipError_tPvRmT3_T4_T5_T6_T7_T9_mT8_P12ihipStream_tbDpT10_ENKUlT_T0_E_clISt17integral_constantIbLb1EES1F_EEDaS1A_S1B_EUlS1A_E_NS1_11comp_targetILNS1_3genE10ELNS1_11target_archE1200ELNS1_3gpuE4ELNS1_3repE0EEENS1_30default_config_static_selectorELNS0_4arch9wavefront6targetE0EEEvT1_
	.p2align	8
	.type	_ZN7rocprim17ROCPRIM_400000_NS6detail17trampoline_kernelINS0_14default_configENS1_25partition_config_selectorILNS1_17partition_subalgoE5EtNS0_10empty_typeEbEEZZNS1_14partition_implILS5_5ELb0ES3_mN6thrust23THRUST_200600_302600_NS6detail15normal_iteratorINSA_10device_ptrItEEEEPS6_NSA_18transform_iteratorINSB_9not_fun_tI7is_trueItEEENSC_INSD_IbEEEENSA_11use_defaultESO_EENS0_5tupleIJNSA_16discard_iteratorISO_EES6_EEENSQ_IJSG_SG_EEES6_PlJS6_EEE10hipError_tPvRmT3_T4_T5_T6_T7_T9_mT8_P12ihipStream_tbDpT10_ENKUlT_T0_E_clISt17integral_constantIbLb1EES1F_EEDaS1A_S1B_EUlS1A_E_NS1_11comp_targetILNS1_3genE10ELNS1_11target_archE1200ELNS1_3gpuE4ELNS1_3repE0EEENS1_30default_config_static_selectorELNS0_4arch9wavefront6targetE0EEEvT1_,@function
_ZN7rocprim17ROCPRIM_400000_NS6detail17trampoline_kernelINS0_14default_configENS1_25partition_config_selectorILNS1_17partition_subalgoE5EtNS0_10empty_typeEbEEZZNS1_14partition_implILS5_5ELb0ES3_mN6thrust23THRUST_200600_302600_NS6detail15normal_iteratorINSA_10device_ptrItEEEEPS6_NSA_18transform_iteratorINSB_9not_fun_tI7is_trueItEEENSC_INSD_IbEEEENSA_11use_defaultESO_EENS0_5tupleIJNSA_16discard_iteratorISO_EES6_EEENSQ_IJSG_SG_EEES6_PlJS6_EEE10hipError_tPvRmT3_T4_T5_T6_T7_T9_mT8_P12ihipStream_tbDpT10_ENKUlT_T0_E_clISt17integral_constantIbLb1EES1F_EEDaS1A_S1B_EUlS1A_E_NS1_11comp_targetILNS1_3genE10ELNS1_11target_archE1200ELNS1_3gpuE4ELNS1_3repE0EEENS1_30default_config_static_selectorELNS0_4arch9wavefront6targetE0EEEvT1_: ; @_ZN7rocprim17ROCPRIM_400000_NS6detail17trampoline_kernelINS0_14default_configENS1_25partition_config_selectorILNS1_17partition_subalgoE5EtNS0_10empty_typeEbEEZZNS1_14partition_implILS5_5ELb0ES3_mN6thrust23THRUST_200600_302600_NS6detail15normal_iteratorINSA_10device_ptrItEEEEPS6_NSA_18transform_iteratorINSB_9not_fun_tI7is_trueItEEENSC_INSD_IbEEEENSA_11use_defaultESO_EENS0_5tupleIJNSA_16discard_iteratorISO_EES6_EEENSQ_IJSG_SG_EEES6_PlJS6_EEE10hipError_tPvRmT3_T4_T5_T6_T7_T9_mT8_P12ihipStream_tbDpT10_ENKUlT_T0_E_clISt17integral_constantIbLb1EES1F_EEDaS1A_S1B_EUlS1A_E_NS1_11comp_targetILNS1_3genE10ELNS1_11target_archE1200ELNS1_3gpuE4ELNS1_3repE0EEENS1_30default_config_static_selectorELNS0_4arch9wavefront6targetE0EEEvT1_
; %bb.0:
	s_endpgm
	.section	.rodata,"a",@progbits
	.p2align	6, 0x0
	.amdhsa_kernel _ZN7rocprim17ROCPRIM_400000_NS6detail17trampoline_kernelINS0_14default_configENS1_25partition_config_selectorILNS1_17partition_subalgoE5EtNS0_10empty_typeEbEEZZNS1_14partition_implILS5_5ELb0ES3_mN6thrust23THRUST_200600_302600_NS6detail15normal_iteratorINSA_10device_ptrItEEEEPS6_NSA_18transform_iteratorINSB_9not_fun_tI7is_trueItEEENSC_INSD_IbEEEENSA_11use_defaultESO_EENS0_5tupleIJNSA_16discard_iteratorISO_EES6_EEENSQ_IJSG_SG_EEES6_PlJS6_EEE10hipError_tPvRmT3_T4_T5_T6_T7_T9_mT8_P12ihipStream_tbDpT10_ENKUlT_T0_E_clISt17integral_constantIbLb1EES1F_EEDaS1A_S1B_EUlS1A_E_NS1_11comp_targetILNS1_3genE10ELNS1_11target_archE1200ELNS1_3gpuE4ELNS1_3repE0EEENS1_30default_config_static_selectorELNS0_4arch9wavefront6targetE0EEEvT1_
		.amdhsa_group_segment_fixed_size 0
		.amdhsa_private_segment_fixed_size 0
		.amdhsa_kernarg_size 144
		.amdhsa_user_sgpr_count 2
		.amdhsa_user_sgpr_dispatch_ptr 0
		.amdhsa_user_sgpr_queue_ptr 0
		.amdhsa_user_sgpr_kernarg_segment_ptr 1
		.amdhsa_user_sgpr_dispatch_id 0
		.amdhsa_user_sgpr_private_segment_size 0
		.amdhsa_wavefront_size32 1
		.amdhsa_uses_dynamic_stack 0
		.amdhsa_enable_private_segment 0
		.amdhsa_system_sgpr_workgroup_id_x 1
		.amdhsa_system_sgpr_workgroup_id_y 0
		.amdhsa_system_sgpr_workgroup_id_z 0
		.amdhsa_system_sgpr_workgroup_info 0
		.amdhsa_system_vgpr_workitem_id 0
		.amdhsa_next_free_vgpr 1
		.amdhsa_next_free_sgpr 1
		.amdhsa_reserve_vcc 0
		.amdhsa_float_round_mode_32 0
		.amdhsa_float_round_mode_16_64 0
		.amdhsa_float_denorm_mode_32 3
		.amdhsa_float_denorm_mode_16_64 3
		.amdhsa_fp16_overflow 0
		.amdhsa_workgroup_processor_mode 1
		.amdhsa_memory_ordered 1
		.amdhsa_forward_progress 1
		.amdhsa_inst_pref_size 1
		.amdhsa_round_robin_scheduling 0
		.amdhsa_exception_fp_ieee_invalid_op 0
		.amdhsa_exception_fp_denorm_src 0
		.amdhsa_exception_fp_ieee_div_zero 0
		.amdhsa_exception_fp_ieee_overflow 0
		.amdhsa_exception_fp_ieee_underflow 0
		.amdhsa_exception_fp_ieee_inexact 0
		.amdhsa_exception_int_div_zero 0
	.end_amdhsa_kernel
	.section	.text._ZN7rocprim17ROCPRIM_400000_NS6detail17trampoline_kernelINS0_14default_configENS1_25partition_config_selectorILNS1_17partition_subalgoE5EtNS0_10empty_typeEbEEZZNS1_14partition_implILS5_5ELb0ES3_mN6thrust23THRUST_200600_302600_NS6detail15normal_iteratorINSA_10device_ptrItEEEEPS6_NSA_18transform_iteratorINSB_9not_fun_tI7is_trueItEEENSC_INSD_IbEEEENSA_11use_defaultESO_EENS0_5tupleIJNSA_16discard_iteratorISO_EES6_EEENSQ_IJSG_SG_EEES6_PlJS6_EEE10hipError_tPvRmT3_T4_T5_T6_T7_T9_mT8_P12ihipStream_tbDpT10_ENKUlT_T0_E_clISt17integral_constantIbLb1EES1F_EEDaS1A_S1B_EUlS1A_E_NS1_11comp_targetILNS1_3genE10ELNS1_11target_archE1200ELNS1_3gpuE4ELNS1_3repE0EEENS1_30default_config_static_selectorELNS0_4arch9wavefront6targetE0EEEvT1_,"axG",@progbits,_ZN7rocprim17ROCPRIM_400000_NS6detail17trampoline_kernelINS0_14default_configENS1_25partition_config_selectorILNS1_17partition_subalgoE5EtNS0_10empty_typeEbEEZZNS1_14partition_implILS5_5ELb0ES3_mN6thrust23THRUST_200600_302600_NS6detail15normal_iteratorINSA_10device_ptrItEEEEPS6_NSA_18transform_iteratorINSB_9not_fun_tI7is_trueItEEENSC_INSD_IbEEEENSA_11use_defaultESO_EENS0_5tupleIJNSA_16discard_iteratorISO_EES6_EEENSQ_IJSG_SG_EEES6_PlJS6_EEE10hipError_tPvRmT3_T4_T5_T6_T7_T9_mT8_P12ihipStream_tbDpT10_ENKUlT_T0_E_clISt17integral_constantIbLb1EES1F_EEDaS1A_S1B_EUlS1A_E_NS1_11comp_targetILNS1_3genE10ELNS1_11target_archE1200ELNS1_3gpuE4ELNS1_3repE0EEENS1_30default_config_static_selectorELNS0_4arch9wavefront6targetE0EEEvT1_,comdat
.Lfunc_end2730:
	.size	_ZN7rocprim17ROCPRIM_400000_NS6detail17trampoline_kernelINS0_14default_configENS1_25partition_config_selectorILNS1_17partition_subalgoE5EtNS0_10empty_typeEbEEZZNS1_14partition_implILS5_5ELb0ES3_mN6thrust23THRUST_200600_302600_NS6detail15normal_iteratorINSA_10device_ptrItEEEEPS6_NSA_18transform_iteratorINSB_9not_fun_tI7is_trueItEEENSC_INSD_IbEEEENSA_11use_defaultESO_EENS0_5tupleIJNSA_16discard_iteratorISO_EES6_EEENSQ_IJSG_SG_EEES6_PlJS6_EEE10hipError_tPvRmT3_T4_T5_T6_T7_T9_mT8_P12ihipStream_tbDpT10_ENKUlT_T0_E_clISt17integral_constantIbLb1EES1F_EEDaS1A_S1B_EUlS1A_E_NS1_11comp_targetILNS1_3genE10ELNS1_11target_archE1200ELNS1_3gpuE4ELNS1_3repE0EEENS1_30default_config_static_selectorELNS0_4arch9wavefront6targetE0EEEvT1_, .Lfunc_end2730-_ZN7rocprim17ROCPRIM_400000_NS6detail17trampoline_kernelINS0_14default_configENS1_25partition_config_selectorILNS1_17partition_subalgoE5EtNS0_10empty_typeEbEEZZNS1_14partition_implILS5_5ELb0ES3_mN6thrust23THRUST_200600_302600_NS6detail15normal_iteratorINSA_10device_ptrItEEEEPS6_NSA_18transform_iteratorINSB_9not_fun_tI7is_trueItEEENSC_INSD_IbEEEENSA_11use_defaultESO_EENS0_5tupleIJNSA_16discard_iteratorISO_EES6_EEENSQ_IJSG_SG_EEES6_PlJS6_EEE10hipError_tPvRmT3_T4_T5_T6_T7_T9_mT8_P12ihipStream_tbDpT10_ENKUlT_T0_E_clISt17integral_constantIbLb1EES1F_EEDaS1A_S1B_EUlS1A_E_NS1_11comp_targetILNS1_3genE10ELNS1_11target_archE1200ELNS1_3gpuE4ELNS1_3repE0EEENS1_30default_config_static_selectorELNS0_4arch9wavefront6targetE0EEEvT1_
                                        ; -- End function
	.set _ZN7rocprim17ROCPRIM_400000_NS6detail17trampoline_kernelINS0_14default_configENS1_25partition_config_selectorILNS1_17partition_subalgoE5EtNS0_10empty_typeEbEEZZNS1_14partition_implILS5_5ELb0ES3_mN6thrust23THRUST_200600_302600_NS6detail15normal_iteratorINSA_10device_ptrItEEEEPS6_NSA_18transform_iteratorINSB_9not_fun_tI7is_trueItEEENSC_INSD_IbEEEENSA_11use_defaultESO_EENS0_5tupleIJNSA_16discard_iteratorISO_EES6_EEENSQ_IJSG_SG_EEES6_PlJS6_EEE10hipError_tPvRmT3_T4_T5_T6_T7_T9_mT8_P12ihipStream_tbDpT10_ENKUlT_T0_E_clISt17integral_constantIbLb1EES1F_EEDaS1A_S1B_EUlS1A_E_NS1_11comp_targetILNS1_3genE10ELNS1_11target_archE1200ELNS1_3gpuE4ELNS1_3repE0EEENS1_30default_config_static_selectorELNS0_4arch9wavefront6targetE0EEEvT1_.num_vgpr, 0
	.set _ZN7rocprim17ROCPRIM_400000_NS6detail17trampoline_kernelINS0_14default_configENS1_25partition_config_selectorILNS1_17partition_subalgoE5EtNS0_10empty_typeEbEEZZNS1_14partition_implILS5_5ELb0ES3_mN6thrust23THRUST_200600_302600_NS6detail15normal_iteratorINSA_10device_ptrItEEEEPS6_NSA_18transform_iteratorINSB_9not_fun_tI7is_trueItEEENSC_INSD_IbEEEENSA_11use_defaultESO_EENS0_5tupleIJNSA_16discard_iteratorISO_EES6_EEENSQ_IJSG_SG_EEES6_PlJS6_EEE10hipError_tPvRmT3_T4_T5_T6_T7_T9_mT8_P12ihipStream_tbDpT10_ENKUlT_T0_E_clISt17integral_constantIbLb1EES1F_EEDaS1A_S1B_EUlS1A_E_NS1_11comp_targetILNS1_3genE10ELNS1_11target_archE1200ELNS1_3gpuE4ELNS1_3repE0EEENS1_30default_config_static_selectorELNS0_4arch9wavefront6targetE0EEEvT1_.num_agpr, 0
	.set _ZN7rocprim17ROCPRIM_400000_NS6detail17trampoline_kernelINS0_14default_configENS1_25partition_config_selectorILNS1_17partition_subalgoE5EtNS0_10empty_typeEbEEZZNS1_14partition_implILS5_5ELb0ES3_mN6thrust23THRUST_200600_302600_NS6detail15normal_iteratorINSA_10device_ptrItEEEEPS6_NSA_18transform_iteratorINSB_9not_fun_tI7is_trueItEEENSC_INSD_IbEEEENSA_11use_defaultESO_EENS0_5tupleIJNSA_16discard_iteratorISO_EES6_EEENSQ_IJSG_SG_EEES6_PlJS6_EEE10hipError_tPvRmT3_T4_T5_T6_T7_T9_mT8_P12ihipStream_tbDpT10_ENKUlT_T0_E_clISt17integral_constantIbLb1EES1F_EEDaS1A_S1B_EUlS1A_E_NS1_11comp_targetILNS1_3genE10ELNS1_11target_archE1200ELNS1_3gpuE4ELNS1_3repE0EEENS1_30default_config_static_selectorELNS0_4arch9wavefront6targetE0EEEvT1_.numbered_sgpr, 0
	.set _ZN7rocprim17ROCPRIM_400000_NS6detail17trampoline_kernelINS0_14default_configENS1_25partition_config_selectorILNS1_17partition_subalgoE5EtNS0_10empty_typeEbEEZZNS1_14partition_implILS5_5ELb0ES3_mN6thrust23THRUST_200600_302600_NS6detail15normal_iteratorINSA_10device_ptrItEEEEPS6_NSA_18transform_iteratorINSB_9not_fun_tI7is_trueItEEENSC_INSD_IbEEEENSA_11use_defaultESO_EENS0_5tupleIJNSA_16discard_iteratorISO_EES6_EEENSQ_IJSG_SG_EEES6_PlJS6_EEE10hipError_tPvRmT3_T4_T5_T6_T7_T9_mT8_P12ihipStream_tbDpT10_ENKUlT_T0_E_clISt17integral_constantIbLb1EES1F_EEDaS1A_S1B_EUlS1A_E_NS1_11comp_targetILNS1_3genE10ELNS1_11target_archE1200ELNS1_3gpuE4ELNS1_3repE0EEENS1_30default_config_static_selectorELNS0_4arch9wavefront6targetE0EEEvT1_.num_named_barrier, 0
	.set _ZN7rocprim17ROCPRIM_400000_NS6detail17trampoline_kernelINS0_14default_configENS1_25partition_config_selectorILNS1_17partition_subalgoE5EtNS0_10empty_typeEbEEZZNS1_14partition_implILS5_5ELb0ES3_mN6thrust23THRUST_200600_302600_NS6detail15normal_iteratorINSA_10device_ptrItEEEEPS6_NSA_18transform_iteratorINSB_9not_fun_tI7is_trueItEEENSC_INSD_IbEEEENSA_11use_defaultESO_EENS0_5tupleIJNSA_16discard_iteratorISO_EES6_EEENSQ_IJSG_SG_EEES6_PlJS6_EEE10hipError_tPvRmT3_T4_T5_T6_T7_T9_mT8_P12ihipStream_tbDpT10_ENKUlT_T0_E_clISt17integral_constantIbLb1EES1F_EEDaS1A_S1B_EUlS1A_E_NS1_11comp_targetILNS1_3genE10ELNS1_11target_archE1200ELNS1_3gpuE4ELNS1_3repE0EEENS1_30default_config_static_selectorELNS0_4arch9wavefront6targetE0EEEvT1_.private_seg_size, 0
	.set _ZN7rocprim17ROCPRIM_400000_NS6detail17trampoline_kernelINS0_14default_configENS1_25partition_config_selectorILNS1_17partition_subalgoE5EtNS0_10empty_typeEbEEZZNS1_14partition_implILS5_5ELb0ES3_mN6thrust23THRUST_200600_302600_NS6detail15normal_iteratorINSA_10device_ptrItEEEEPS6_NSA_18transform_iteratorINSB_9not_fun_tI7is_trueItEEENSC_INSD_IbEEEENSA_11use_defaultESO_EENS0_5tupleIJNSA_16discard_iteratorISO_EES6_EEENSQ_IJSG_SG_EEES6_PlJS6_EEE10hipError_tPvRmT3_T4_T5_T6_T7_T9_mT8_P12ihipStream_tbDpT10_ENKUlT_T0_E_clISt17integral_constantIbLb1EES1F_EEDaS1A_S1B_EUlS1A_E_NS1_11comp_targetILNS1_3genE10ELNS1_11target_archE1200ELNS1_3gpuE4ELNS1_3repE0EEENS1_30default_config_static_selectorELNS0_4arch9wavefront6targetE0EEEvT1_.uses_vcc, 0
	.set _ZN7rocprim17ROCPRIM_400000_NS6detail17trampoline_kernelINS0_14default_configENS1_25partition_config_selectorILNS1_17partition_subalgoE5EtNS0_10empty_typeEbEEZZNS1_14partition_implILS5_5ELb0ES3_mN6thrust23THRUST_200600_302600_NS6detail15normal_iteratorINSA_10device_ptrItEEEEPS6_NSA_18transform_iteratorINSB_9not_fun_tI7is_trueItEEENSC_INSD_IbEEEENSA_11use_defaultESO_EENS0_5tupleIJNSA_16discard_iteratorISO_EES6_EEENSQ_IJSG_SG_EEES6_PlJS6_EEE10hipError_tPvRmT3_T4_T5_T6_T7_T9_mT8_P12ihipStream_tbDpT10_ENKUlT_T0_E_clISt17integral_constantIbLb1EES1F_EEDaS1A_S1B_EUlS1A_E_NS1_11comp_targetILNS1_3genE10ELNS1_11target_archE1200ELNS1_3gpuE4ELNS1_3repE0EEENS1_30default_config_static_selectorELNS0_4arch9wavefront6targetE0EEEvT1_.uses_flat_scratch, 0
	.set _ZN7rocprim17ROCPRIM_400000_NS6detail17trampoline_kernelINS0_14default_configENS1_25partition_config_selectorILNS1_17partition_subalgoE5EtNS0_10empty_typeEbEEZZNS1_14partition_implILS5_5ELb0ES3_mN6thrust23THRUST_200600_302600_NS6detail15normal_iteratorINSA_10device_ptrItEEEEPS6_NSA_18transform_iteratorINSB_9not_fun_tI7is_trueItEEENSC_INSD_IbEEEENSA_11use_defaultESO_EENS0_5tupleIJNSA_16discard_iteratorISO_EES6_EEENSQ_IJSG_SG_EEES6_PlJS6_EEE10hipError_tPvRmT3_T4_T5_T6_T7_T9_mT8_P12ihipStream_tbDpT10_ENKUlT_T0_E_clISt17integral_constantIbLb1EES1F_EEDaS1A_S1B_EUlS1A_E_NS1_11comp_targetILNS1_3genE10ELNS1_11target_archE1200ELNS1_3gpuE4ELNS1_3repE0EEENS1_30default_config_static_selectorELNS0_4arch9wavefront6targetE0EEEvT1_.has_dyn_sized_stack, 0
	.set _ZN7rocprim17ROCPRIM_400000_NS6detail17trampoline_kernelINS0_14default_configENS1_25partition_config_selectorILNS1_17partition_subalgoE5EtNS0_10empty_typeEbEEZZNS1_14partition_implILS5_5ELb0ES3_mN6thrust23THRUST_200600_302600_NS6detail15normal_iteratorINSA_10device_ptrItEEEEPS6_NSA_18transform_iteratorINSB_9not_fun_tI7is_trueItEEENSC_INSD_IbEEEENSA_11use_defaultESO_EENS0_5tupleIJNSA_16discard_iteratorISO_EES6_EEENSQ_IJSG_SG_EEES6_PlJS6_EEE10hipError_tPvRmT3_T4_T5_T6_T7_T9_mT8_P12ihipStream_tbDpT10_ENKUlT_T0_E_clISt17integral_constantIbLb1EES1F_EEDaS1A_S1B_EUlS1A_E_NS1_11comp_targetILNS1_3genE10ELNS1_11target_archE1200ELNS1_3gpuE4ELNS1_3repE0EEENS1_30default_config_static_selectorELNS0_4arch9wavefront6targetE0EEEvT1_.has_recursion, 0
	.set _ZN7rocprim17ROCPRIM_400000_NS6detail17trampoline_kernelINS0_14default_configENS1_25partition_config_selectorILNS1_17partition_subalgoE5EtNS0_10empty_typeEbEEZZNS1_14partition_implILS5_5ELb0ES3_mN6thrust23THRUST_200600_302600_NS6detail15normal_iteratorINSA_10device_ptrItEEEEPS6_NSA_18transform_iteratorINSB_9not_fun_tI7is_trueItEEENSC_INSD_IbEEEENSA_11use_defaultESO_EENS0_5tupleIJNSA_16discard_iteratorISO_EES6_EEENSQ_IJSG_SG_EEES6_PlJS6_EEE10hipError_tPvRmT3_T4_T5_T6_T7_T9_mT8_P12ihipStream_tbDpT10_ENKUlT_T0_E_clISt17integral_constantIbLb1EES1F_EEDaS1A_S1B_EUlS1A_E_NS1_11comp_targetILNS1_3genE10ELNS1_11target_archE1200ELNS1_3gpuE4ELNS1_3repE0EEENS1_30default_config_static_selectorELNS0_4arch9wavefront6targetE0EEEvT1_.has_indirect_call, 0
	.section	.AMDGPU.csdata,"",@progbits
; Kernel info:
; codeLenInByte = 4
; TotalNumSgprs: 0
; NumVgprs: 0
; ScratchSize: 0
; MemoryBound: 0
; FloatMode: 240
; IeeeMode: 1
; LDSByteSize: 0 bytes/workgroup (compile time only)
; SGPRBlocks: 0
; VGPRBlocks: 0
; NumSGPRsForWavesPerEU: 1
; NumVGPRsForWavesPerEU: 1
; Occupancy: 16
; WaveLimiterHint : 0
; COMPUTE_PGM_RSRC2:SCRATCH_EN: 0
; COMPUTE_PGM_RSRC2:USER_SGPR: 2
; COMPUTE_PGM_RSRC2:TRAP_HANDLER: 0
; COMPUTE_PGM_RSRC2:TGID_X_EN: 1
; COMPUTE_PGM_RSRC2:TGID_Y_EN: 0
; COMPUTE_PGM_RSRC2:TGID_Z_EN: 0
; COMPUTE_PGM_RSRC2:TIDIG_COMP_CNT: 0
	.section	.text._ZN7rocprim17ROCPRIM_400000_NS6detail17trampoline_kernelINS0_14default_configENS1_25partition_config_selectorILNS1_17partition_subalgoE5EtNS0_10empty_typeEbEEZZNS1_14partition_implILS5_5ELb0ES3_mN6thrust23THRUST_200600_302600_NS6detail15normal_iteratorINSA_10device_ptrItEEEEPS6_NSA_18transform_iteratorINSB_9not_fun_tI7is_trueItEEENSC_INSD_IbEEEENSA_11use_defaultESO_EENS0_5tupleIJNSA_16discard_iteratorISO_EES6_EEENSQ_IJSG_SG_EEES6_PlJS6_EEE10hipError_tPvRmT3_T4_T5_T6_T7_T9_mT8_P12ihipStream_tbDpT10_ENKUlT_T0_E_clISt17integral_constantIbLb1EES1F_EEDaS1A_S1B_EUlS1A_E_NS1_11comp_targetILNS1_3genE9ELNS1_11target_archE1100ELNS1_3gpuE3ELNS1_3repE0EEENS1_30default_config_static_selectorELNS0_4arch9wavefront6targetE0EEEvT1_,"axG",@progbits,_ZN7rocprim17ROCPRIM_400000_NS6detail17trampoline_kernelINS0_14default_configENS1_25partition_config_selectorILNS1_17partition_subalgoE5EtNS0_10empty_typeEbEEZZNS1_14partition_implILS5_5ELb0ES3_mN6thrust23THRUST_200600_302600_NS6detail15normal_iteratorINSA_10device_ptrItEEEEPS6_NSA_18transform_iteratorINSB_9not_fun_tI7is_trueItEEENSC_INSD_IbEEEENSA_11use_defaultESO_EENS0_5tupleIJNSA_16discard_iteratorISO_EES6_EEENSQ_IJSG_SG_EEES6_PlJS6_EEE10hipError_tPvRmT3_T4_T5_T6_T7_T9_mT8_P12ihipStream_tbDpT10_ENKUlT_T0_E_clISt17integral_constantIbLb1EES1F_EEDaS1A_S1B_EUlS1A_E_NS1_11comp_targetILNS1_3genE9ELNS1_11target_archE1100ELNS1_3gpuE3ELNS1_3repE0EEENS1_30default_config_static_selectorELNS0_4arch9wavefront6targetE0EEEvT1_,comdat
	.protected	_ZN7rocprim17ROCPRIM_400000_NS6detail17trampoline_kernelINS0_14default_configENS1_25partition_config_selectorILNS1_17partition_subalgoE5EtNS0_10empty_typeEbEEZZNS1_14partition_implILS5_5ELb0ES3_mN6thrust23THRUST_200600_302600_NS6detail15normal_iteratorINSA_10device_ptrItEEEEPS6_NSA_18transform_iteratorINSB_9not_fun_tI7is_trueItEEENSC_INSD_IbEEEENSA_11use_defaultESO_EENS0_5tupleIJNSA_16discard_iteratorISO_EES6_EEENSQ_IJSG_SG_EEES6_PlJS6_EEE10hipError_tPvRmT3_T4_T5_T6_T7_T9_mT8_P12ihipStream_tbDpT10_ENKUlT_T0_E_clISt17integral_constantIbLb1EES1F_EEDaS1A_S1B_EUlS1A_E_NS1_11comp_targetILNS1_3genE9ELNS1_11target_archE1100ELNS1_3gpuE3ELNS1_3repE0EEENS1_30default_config_static_selectorELNS0_4arch9wavefront6targetE0EEEvT1_ ; -- Begin function _ZN7rocprim17ROCPRIM_400000_NS6detail17trampoline_kernelINS0_14default_configENS1_25partition_config_selectorILNS1_17partition_subalgoE5EtNS0_10empty_typeEbEEZZNS1_14partition_implILS5_5ELb0ES3_mN6thrust23THRUST_200600_302600_NS6detail15normal_iteratorINSA_10device_ptrItEEEEPS6_NSA_18transform_iteratorINSB_9not_fun_tI7is_trueItEEENSC_INSD_IbEEEENSA_11use_defaultESO_EENS0_5tupleIJNSA_16discard_iteratorISO_EES6_EEENSQ_IJSG_SG_EEES6_PlJS6_EEE10hipError_tPvRmT3_T4_T5_T6_T7_T9_mT8_P12ihipStream_tbDpT10_ENKUlT_T0_E_clISt17integral_constantIbLb1EES1F_EEDaS1A_S1B_EUlS1A_E_NS1_11comp_targetILNS1_3genE9ELNS1_11target_archE1100ELNS1_3gpuE3ELNS1_3repE0EEENS1_30default_config_static_selectorELNS0_4arch9wavefront6targetE0EEEvT1_
	.globl	_ZN7rocprim17ROCPRIM_400000_NS6detail17trampoline_kernelINS0_14default_configENS1_25partition_config_selectorILNS1_17partition_subalgoE5EtNS0_10empty_typeEbEEZZNS1_14partition_implILS5_5ELb0ES3_mN6thrust23THRUST_200600_302600_NS6detail15normal_iteratorINSA_10device_ptrItEEEEPS6_NSA_18transform_iteratorINSB_9not_fun_tI7is_trueItEEENSC_INSD_IbEEEENSA_11use_defaultESO_EENS0_5tupleIJNSA_16discard_iteratorISO_EES6_EEENSQ_IJSG_SG_EEES6_PlJS6_EEE10hipError_tPvRmT3_T4_T5_T6_T7_T9_mT8_P12ihipStream_tbDpT10_ENKUlT_T0_E_clISt17integral_constantIbLb1EES1F_EEDaS1A_S1B_EUlS1A_E_NS1_11comp_targetILNS1_3genE9ELNS1_11target_archE1100ELNS1_3gpuE3ELNS1_3repE0EEENS1_30default_config_static_selectorELNS0_4arch9wavefront6targetE0EEEvT1_
	.p2align	8
	.type	_ZN7rocprim17ROCPRIM_400000_NS6detail17trampoline_kernelINS0_14default_configENS1_25partition_config_selectorILNS1_17partition_subalgoE5EtNS0_10empty_typeEbEEZZNS1_14partition_implILS5_5ELb0ES3_mN6thrust23THRUST_200600_302600_NS6detail15normal_iteratorINSA_10device_ptrItEEEEPS6_NSA_18transform_iteratorINSB_9not_fun_tI7is_trueItEEENSC_INSD_IbEEEENSA_11use_defaultESO_EENS0_5tupleIJNSA_16discard_iteratorISO_EES6_EEENSQ_IJSG_SG_EEES6_PlJS6_EEE10hipError_tPvRmT3_T4_T5_T6_T7_T9_mT8_P12ihipStream_tbDpT10_ENKUlT_T0_E_clISt17integral_constantIbLb1EES1F_EEDaS1A_S1B_EUlS1A_E_NS1_11comp_targetILNS1_3genE9ELNS1_11target_archE1100ELNS1_3gpuE3ELNS1_3repE0EEENS1_30default_config_static_selectorELNS0_4arch9wavefront6targetE0EEEvT1_,@function
_ZN7rocprim17ROCPRIM_400000_NS6detail17trampoline_kernelINS0_14default_configENS1_25partition_config_selectorILNS1_17partition_subalgoE5EtNS0_10empty_typeEbEEZZNS1_14partition_implILS5_5ELb0ES3_mN6thrust23THRUST_200600_302600_NS6detail15normal_iteratorINSA_10device_ptrItEEEEPS6_NSA_18transform_iteratorINSB_9not_fun_tI7is_trueItEEENSC_INSD_IbEEEENSA_11use_defaultESO_EENS0_5tupleIJNSA_16discard_iteratorISO_EES6_EEENSQ_IJSG_SG_EEES6_PlJS6_EEE10hipError_tPvRmT3_T4_T5_T6_T7_T9_mT8_P12ihipStream_tbDpT10_ENKUlT_T0_E_clISt17integral_constantIbLb1EES1F_EEDaS1A_S1B_EUlS1A_E_NS1_11comp_targetILNS1_3genE9ELNS1_11target_archE1100ELNS1_3gpuE3ELNS1_3repE0EEENS1_30default_config_static_selectorELNS0_4arch9wavefront6targetE0EEEvT1_: ; @_ZN7rocprim17ROCPRIM_400000_NS6detail17trampoline_kernelINS0_14default_configENS1_25partition_config_selectorILNS1_17partition_subalgoE5EtNS0_10empty_typeEbEEZZNS1_14partition_implILS5_5ELb0ES3_mN6thrust23THRUST_200600_302600_NS6detail15normal_iteratorINSA_10device_ptrItEEEEPS6_NSA_18transform_iteratorINSB_9not_fun_tI7is_trueItEEENSC_INSD_IbEEEENSA_11use_defaultESO_EENS0_5tupleIJNSA_16discard_iteratorISO_EES6_EEENSQ_IJSG_SG_EEES6_PlJS6_EEE10hipError_tPvRmT3_T4_T5_T6_T7_T9_mT8_P12ihipStream_tbDpT10_ENKUlT_T0_E_clISt17integral_constantIbLb1EES1F_EEDaS1A_S1B_EUlS1A_E_NS1_11comp_targetILNS1_3genE9ELNS1_11target_archE1100ELNS1_3gpuE3ELNS1_3repE0EEENS1_30default_config_static_selectorELNS0_4arch9wavefront6targetE0EEEvT1_
; %bb.0:
	.section	.rodata,"a",@progbits
	.p2align	6, 0x0
	.amdhsa_kernel _ZN7rocprim17ROCPRIM_400000_NS6detail17trampoline_kernelINS0_14default_configENS1_25partition_config_selectorILNS1_17partition_subalgoE5EtNS0_10empty_typeEbEEZZNS1_14partition_implILS5_5ELb0ES3_mN6thrust23THRUST_200600_302600_NS6detail15normal_iteratorINSA_10device_ptrItEEEEPS6_NSA_18transform_iteratorINSB_9not_fun_tI7is_trueItEEENSC_INSD_IbEEEENSA_11use_defaultESO_EENS0_5tupleIJNSA_16discard_iteratorISO_EES6_EEENSQ_IJSG_SG_EEES6_PlJS6_EEE10hipError_tPvRmT3_T4_T5_T6_T7_T9_mT8_P12ihipStream_tbDpT10_ENKUlT_T0_E_clISt17integral_constantIbLb1EES1F_EEDaS1A_S1B_EUlS1A_E_NS1_11comp_targetILNS1_3genE9ELNS1_11target_archE1100ELNS1_3gpuE3ELNS1_3repE0EEENS1_30default_config_static_selectorELNS0_4arch9wavefront6targetE0EEEvT1_
		.amdhsa_group_segment_fixed_size 0
		.amdhsa_private_segment_fixed_size 0
		.amdhsa_kernarg_size 144
		.amdhsa_user_sgpr_count 2
		.amdhsa_user_sgpr_dispatch_ptr 0
		.amdhsa_user_sgpr_queue_ptr 0
		.amdhsa_user_sgpr_kernarg_segment_ptr 1
		.amdhsa_user_sgpr_dispatch_id 0
		.amdhsa_user_sgpr_private_segment_size 0
		.amdhsa_wavefront_size32 1
		.amdhsa_uses_dynamic_stack 0
		.amdhsa_enable_private_segment 0
		.amdhsa_system_sgpr_workgroup_id_x 1
		.amdhsa_system_sgpr_workgroup_id_y 0
		.amdhsa_system_sgpr_workgroup_id_z 0
		.amdhsa_system_sgpr_workgroup_info 0
		.amdhsa_system_vgpr_workitem_id 0
		.amdhsa_next_free_vgpr 1
		.amdhsa_next_free_sgpr 1
		.amdhsa_reserve_vcc 0
		.amdhsa_float_round_mode_32 0
		.amdhsa_float_round_mode_16_64 0
		.amdhsa_float_denorm_mode_32 3
		.amdhsa_float_denorm_mode_16_64 3
		.amdhsa_fp16_overflow 0
		.amdhsa_workgroup_processor_mode 1
		.amdhsa_memory_ordered 1
		.amdhsa_forward_progress 1
		.amdhsa_inst_pref_size 0
		.amdhsa_round_robin_scheduling 0
		.amdhsa_exception_fp_ieee_invalid_op 0
		.amdhsa_exception_fp_denorm_src 0
		.amdhsa_exception_fp_ieee_div_zero 0
		.amdhsa_exception_fp_ieee_overflow 0
		.amdhsa_exception_fp_ieee_underflow 0
		.amdhsa_exception_fp_ieee_inexact 0
		.amdhsa_exception_int_div_zero 0
	.end_amdhsa_kernel
	.section	.text._ZN7rocprim17ROCPRIM_400000_NS6detail17trampoline_kernelINS0_14default_configENS1_25partition_config_selectorILNS1_17partition_subalgoE5EtNS0_10empty_typeEbEEZZNS1_14partition_implILS5_5ELb0ES3_mN6thrust23THRUST_200600_302600_NS6detail15normal_iteratorINSA_10device_ptrItEEEEPS6_NSA_18transform_iteratorINSB_9not_fun_tI7is_trueItEEENSC_INSD_IbEEEENSA_11use_defaultESO_EENS0_5tupleIJNSA_16discard_iteratorISO_EES6_EEENSQ_IJSG_SG_EEES6_PlJS6_EEE10hipError_tPvRmT3_T4_T5_T6_T7_T9_mT8_P12ihipStream_tbDpT10_ENKUlT_T0_E_clISt17integral_constantIbLb1EES1F_EEDaS1A_S1B_EUlS1A_E_NS1_11comp_targetILNS1_3genE9ELNS1_11target_archE1100ELNS1_3gpuE3ELNS1_3repE0EEENS1_30default_config_static_selectorELNS0_4arch9wavefront6targetE0EEEvT1_,"axG",@progbits,_ZN7rocprim17ROCPRIM_400000_NS6detail17trampoline_kernelINS0_14default_configENS1_25partition_config_selectorILNS1_17partition_subalgoE5EtNS0_10empty_typeEbEEZZNS1_14partition_implILS5_5ELb0ES3_mN6thrust23THRUST_200600_302600_NS6detail15normal_iteratorINSA_10device_ptrItEEEEPS6_NSA_18transform_iteratorINSB_9not_fun_tI7is_trueItEEENSC_INSD_IbEEEENSA_11use_defaultESO_EENS0_5tupleIJNSA_16discard_iteratorISO_EES6_EEENSQ_IJSG_SG_EEES6_PlJS6_EEE10hipError_tPvRmT3_T4_T5_T6_T7_T9_mT8_P12ihipStream_tbDpT10_ENKUlT_T0_E_clISt17integral_constantIbLb1EES1F_EEDaS1A_S1B_EUlS1A_E_NS1_11comp_targetILNS1_3genE9ELNS1_11target_archE1100ELNS1_3gpuE3ELNS1_3repE0EEENS1_30default_config_static_selectorELNS0_4arch9wavefront6targetE0EEEvT1_,comdat
.Lfunc_end2731:
	.size	_ZN7rocprim17ROCPRIM_400000_NS6detail17trampoline_kernelINS0_14default_configENS1_25partition_config_selectorILNS1_17partition_subalgoE5EtNS0_10empty_typeEbEEZZNS1_14partition_implILS5_5ELb0ES3_mN6thrust23THRUST_200600_302600_NS6detail15normal_iteratorINSA_10device_ptrItEEEEPS6_NSA_18transform_iteratorINSB_9not_fun_tI7is_trueItEEENSC_INSD_IbEEEENSA_11use_defaultESO_EENS0_5tupleIJNSA_16discard_iteratorISO_EES6_EEENSQ_IJSG_SG_EEES6_PlJS6_EEE10hipError_tPvRmT3_T4_T5_T6_T7_T9_mT8_P12ihipStream_tbDpT10_ENKUlT_T0_E_clISt17integral_constantIbLb1EES1F_EEDaS1A_S1B_EUlS1A_E_NS1_11comp_targetILNS1_3genE9ELNS1_11target_archE1100ELNS1_3gpuE3ELNS1_3repE0EEENS1_30default_config_static_selectorELNS0_4arch9wavefront6targetE0EEEvT1_, .Lfunc_end2731-_ZN7rocprim17ROCPRIM_400000_NS6detail17trampoline_kernelINS0_14default_configENS1_25partition_config_selectorILNS1_17partition_subalgoE5EtNS0_10empty_typeEbEEZZNS1_14partition_implILS5_5ELb0ES3_mN6thrust23THRUST_200600_302600_NS6detail15normal_iteratorINSA_10device_ptrItEEEEPS6_NSA_18transform_iteratorINSB_9not_fun_tI7is_trueItEEENSC_INSD_IbEEEENSA_11use_defaultESO_EENS0_5tupleIJNSA_16discard_iteratorISO_EES6_EEENSQ_IJSG_SG_EEES6_PlJS6_EEE10hipError_tPvRmT3_T4_T5_T6_T7_T9_mT8_P12ihipStream_tbDpT10_ENKUlT_T0_E_clISt17integral_constantIbLb1EES1F_EEDaS1A_S1B_EUlS1A_E_NS1_11comp_targetILNS1_3genE9ELNS1_11target_archE1100ELNS1_3gpuE3ELNS1_3repE0EEENS1_30default_config_static_selectorELNS0_4arch9wavefront6targetE0EEEvT1_
                                        ; -- End function
	.set _ZN7rocprim17ROCPRIM_400000_NS6detail17trampoline_kernelINS0_14default_configENS1_25partition_config_selectorILNS1_17partition_subalgoE5EtNS0_10empty_typeEbEEZZNS1_14partition_implILS5_5ELb0ES3_mN6thrust23THRUST_200600_302600_NS6detail15normal_iteratorINSA_10device_ptrItEEEEPS6_NSA_18transform_iteratorINSB_9not_fun_tI7is_trueItEEENSC_INSD_IbEEEENSA_11use_defaultESO_EENS0_5tupleIJNSA_16discard_iteratorISO_EES6_EEENSQ_IJSG_SG_EEES6_PlJS6_EEE10hipError_tPvRmT3_T4_T5_T6_T7_T9_mT8_P12ihipStream_tbDpT10_ENKUlT_T0_E_clISt17integral_constantIbLb1EES1F_EEDaS1A_S1B_EUlS1A_E_NS1_11comp_targetILNS1_3genE9ELNS1_11target_archE1100ELNS1_3gpuE3ELNS1_3repE0EEENS1_30default_config_static_selectorELNS0_4arch9wavefront6targetE0EEEvT1_.num_vgpr, 0
	.set _ZN7rocprim17ROCPRIM_400000_NS6detail17trampoline_kernelINS0_14default_configENS1_25partition_config_selectorILNS1_17partition_subalgoE5EtNS0_10empty_typeEbEEZZNS1_14partition_implILS5_5ELb0ES3_mN6thrust23THRUST_200600_302600_NS6detail15normal_iteratorINSA_10device_ptrItEEEEPS6_NSA_18transform_iteratorINSB_9not_fun_tI7is_trueItEEENSC_INSD_IbEEEENSA_11use_defaultESO_EENS0_5tupleIJNSA_16discard_iteratorISO_EES6_EEENSQ_IJSG_SG_EEES6_PlJS6_EEE10hipError_tPvRmT3_T4_T5_T6_T7_T9_mT8_P12ihipStream_tbDpT10_ENKUlT_T0_E_clISt17integral_constantIbLb1EES1F_EEDaS1A_S1B_EUlS1A_E_NS1_11comp_targetILNS1_3genE9ELNS1_11target_archE1100ELNS1_3gpuE3ELNS1_3repE0EEENS1_30default_config_static_selectorELNS0_4arch9wavefront6targetE0EEEvT1_.num_agpr, 0
	.set _ZN7rocprim17ROCPRIM_400000_NS6detail17trampoline_kernelINS0_14default_configENS1_25partition_config_selectorILNS1_17partition_subalgoE5EtNS0_10empty_typeEbEEZZNS1_14partition_implILS5_5ELb0ES3_mN6thrust23THRUST_200600_302600_NS6detail15normal_iteratorINSA_10device_ptrItEEEEPS6_NSA_18transform_iteratorINSB_9not_fun_tI7is_trueItEEENSC_INSD_IbEEEENSA_11use_defaultESO_EENS0_5tupleIJNSA_16discard_iteratorISO_EES6_EEENSQ_IJSG_SG_EEES6_PlJS6_EEE10hipError_tPvRmT3_T4_T5_T6_T7_T9_mT8_P12ihipStream_tbDpT10_ENKUlT_T0_E_clISt17integral_constantIbLb1EES1F_EEDaS1A_S1B_EUlS1A_E_NS1_11comp_targetILNS1_3genE9ELNS1_11target_archE1100ELNS1_3gpuE3ELNS1_3repE0EEENS1_30default_config_static_selectorELNS0_4arch9wavefront6targetE0EEEvT1_.numbered_sgpr, 0
	.set _ZN7rocprim17ROCPRIM_400000_NS6detail17trampoline_kernelINS0_14default_configENS1_25partition_config_selectorILNS1_17partition_subalgoE5EtNS0_10empty_typeEbEEZZNS1_14partition_implILS5_5ELb0ES3_mN6thrust23THRUST_200600_302600_NS6detail15normal_iteratorINSA_10device_ptrItEEEEPS6_NSA_18transform_iteratorINSB_9not_fun_tI7is_trueItEEENSC_INSD_IbEEEENSA_11use_defaultESO_EENS0_5tupleIJNSA_16discard_iteratorISO_EES6_EEENSQ_IJSG_SG_EEES6_PlJS6_EEE10hipError_tPvRmT3_T4_T5_T6_T7_T9_mT8_P12ihipStream_tbDpT10_ENKUlT_T0_E_clISt17integral_constantIbLb1EES1F_EEDaS1A_S1B_EUlS1A_E_NS1_11comp_targetILNS1_3genE9ELNS1_11target_archE1100ELNS1_3gpuE3ELNS1_3repE0EEENS1_30default_config_static_selectorELNS0_4arch9wavefront6targetE0EEEvT1_.num_named_barrier, 0
	.set _ZN7rocprim17ROCPRIM_400000_NS6detail17trampoline_kernelINS0_14default_configENS1_25partition_config_selectorILNS1_17partition_subalgoE5EtNS0_10empty_typeEbEEZZNS1_14partition_implILS5_5ELb0ES3_mN6thrust23THRUST_200600_302600_NS6detail15normal_iteratorINSA_10device_ptrItEEEEPS6_NSA_18transform_iteratorINSB_9not_fun_tI7is_trueItEEENSC_INSD_IbEEEENSA_11use_defaultESO_EENS0_5tupleIJNSA_16discard_iteratorISO_EES6_EEENSQ_IJSG_SG_EEES6_PlJS6_EEE10hipError_tPvRmT3_T4_T5_T6_T7_T9_mT8_P12ihipStream_tbDpT10_ENKUlT_T0_E_clISt17integral_constantIbLb1EES1F_EEDaS1A_S1B_EUlS1A_E_NS1_11comp_targetILNS1_3genE9ELNS1_11target_archE1100ELNS1_3gpuE3ELNS1_3repE0EEENS1_30default_config_static_selectorELNS0_4arch9wavefront6targetE0EEEvT1_.private_seg_size, 0
	.set _ZN7rocprim17ROCPRIM_400000_NS6detail17trampoline_kernelINS0_14default_configENS1_25partition_config_selectorILNS1_17partition_subalgoE5EtNS0_10empty_typeEbEEZZNS1_14partition_implILS5_5ELb0ES3_mN6thrust23THRUST_200600_302600_NS6detail15normal_iteratorINSA_10device_ptrItEEEEPS6_NSA_18transform_iteratorINSB_9not_fun_tI7is_trueItEEENSC_INSD_IbEEEENSA_11use_defaultESO_EENS0_5tupleIJNSA_16discard_iteratorISO_EES6_EEENSQ_IJSG_SG_EEES6_PlJS6_EEE10hipError_tPvRmT3_T4_T5_T6_T7_T9_mT8_P12ihipStream_tbDpT10_ENKUlT_T0_E_clISt17integral_constantIbLb1EES1F_EEDaS1A_S1B_EUlS1A_E_NS1_11comp_targetILNS1_3genE9ELNS1_11target_archE1100ELNS1_3gpuE3ELNS1_3repE0EEENS1_30default_config_static_selectorELNS0_4arch9wavefront6targetE0EEEvT1_.uses_vcc, 0
	.set _ZN7rocprim17ROCPRIM_400000_NS6detail17trampoline_kernelINS0_14default_configENS1_25partition_config_selectorILNS1_17partition_subalgoE5EtNS0_10empty_typeEbEEZZNS1_14partition_implILS5_5ELb0ES3_mN6thrust23THRUST_200600_302600_NS6detail15normal_iteratorINSA_10device_ptrItEEEEPS6_NSA_18transform_iteratorINSB_9not_fun_tI7is_trueItEEENSC_INSD_IbEEEENSA_11use_defaultESO_EENS0_5tupleIJNSA_16discard_iteratorISO_EES6_EEENSQ_IJSG_SG_EEES6_PlJS6_EEE10hipError_tPvRmT3_T4_T5_T6_T7_T9_mT8_P12ihipStream_tbDpT10_ENKUlT_T0_E_clISt17integral_constantIbLb1EES1F_EEDaS1A_S1B_EUlS1A_E_NS1_11comp_targetILNS1_3genE9ELNS1_11target_archE1100ELNS1_3gpuE3ELNS1_3repE0EEENS1_30default_config_static_selectorELNS0_4arch9wavefront6targetE0EEEvT1_.uses_flat_scratch, 0
	.set _ZN7rocprim17ROCPRIM_400000_NS6detail17trampoline_kernelINS0_14default_configENS1_25partition_config_selectorILNS1_17partition_subalgoE5EtNS0_10empty_typeEbEEZZNS1_14partition_implILS5_5ELb0ES3_mN6thrust23THRUST_200600_302600_NS6detail15normal_iteratorINSA_10device_ptrItEEEEPS6_NSA_18transform_iteratorINSB_9not_fun_tI7is_trueItEEENSC_INSD_IbEEEENSA_11use_defaultESO_EENS0_5tupleIJNSA_16discard_iteratorISO_EES6_EEENSQ_IJSG_SG_EEES6_PlJS6_EEE10hipError_tPvRmT3_T4_T5_T6_T7_T9_mT8_P12ihipStream_tbDpT10_ENKUlT_T0_E_clISt17integral_constantIbLb1EES1F_EEDaS1A_S1B_EUlS1A_E_NS1_11comp_targetILNS1_3genE9ELNS1_11target_archE1100ELNS1_3gpuE3ELNS1_3repE0EEENS1_30default_config_static_selectorELNS0_4arch9wavefront6targetE0EEEvT1_.has_dyn_sized_stack, 0
	.set _ZN7rocprim17ROCPRIM_400000_NS6detail17trampoline_kernelINS0_14default_configENS1_25partition_config_selectorILNS1_17partition_subalgoE5EtNS0_10empty_typeEbEEZZNS1_14partition_implILS5_5ELb0ES3_mN6thrust23THRUST_200600_302600_NS6detail15normal_iteratorINSA_10device_ptrItEEEEPS6_NSA_18transform_iteratorINSB_9not_fun_tI7is_trueItEEENSC_INSD_IbEEEENSA_11use_defaultESO_EENS0_5tupleIJNSA_16discard_iteratorISO_EES6_EEENSQ_IJSG_SG_EEES6_PlJS6_EEE10hipError_tPvRmT3_T4_T5_T6_T7_T9_mT8_P12ihipStream_tbDpT10_ENKUlT_T0_E_clISt17integral_constantIbLb1EES1F_EEDaS1A_S1B_EUlS1A_E_NS1_11comp_targetILNS1_3genE9ELNS1_11target_archE1100ELNS1_3gpuE3ELNS1_3repE0EEENS1_30default_config_static_selectorELNS0_4arch9wavefront6targetE0EEEvT1_.has_recursion, 0
	.set _ZN7rocprim17ROCPRIM_400000_NS6detail17trampoline_kernelINS0_14default_configENS1_25partition_config_selectorILNS1_17partition_subalgoE5EtNS0_10empty_typeEbEEZZNS1_14partition_implILS5_5ELb0ES3_mN6thrust23THRUST_200600_302600_NS6detail15normal_iteratorINSA_10device_ptrItEEEEPS6_NSA_18transform_iteratorINSB_9not_fun_tI7is_trueItEEENSC_INSD_IbEEEENSA_11use_defaultESO_EENS0_5tupleIJNSA_16discard_iteratorISO_EES6_EEENSQ_IJSG_SG_EEES6_PlJS6_EEE10hipError_tPvRmT3_T4_T5_T6_T7_T9_mT8_P12ihipStream_tbDpT10_ENKUlT_T0_E_clISt17integral_constantIbLb1EES1F_EEDaS1A_S1B_EUlS1A_E_NS1_11comp_targetILNS1_3genE9ELNS1_11target_archE1100ELNS1_3gpuE3ELNS1_3repE0EEENS1_30default_config_static_selectorELNS0_4arch9wavefront6targetE0EEEvT1_.has_indirect_call, 0
	.section	.AMDGPU.csdata,"",@progbits
; Kernel info:
; codeLenInByte = 0
; TotalNumSgprs: 0
; NumVgprs: 0
; ScratchSize: 0
; MemoryBound: 0
; FloatMode: 240
; IeeeMode: 1
; LDSByteSize: 0 bytes/workgroup (compile time only)
; SGPRBlocks: 0
; VGPRBlocks: 0
; NumSGPRsForWavesPerEU: 1
; NumVGPRsForWavesPerEU: 1
; Occupancy: 16
; WaveLimiterHint : 0
; COMPUTE_PGM_RSRC2:SCRATCH_EN: 0
; COMPUTE_PGM_RSRC2:USER_SGPR: 2
; COMPUTE_PGM_RSRC2:TRAP_HANDLER: 0
; COMPUTE_PGM_RSRC2:TGID_X_EN: 1
; COMPUTE_PGM_RSRC2:TGID_Y_EN: 0
; COMPUTE_PGM_RSRC2:TGID_Z_EN: 0
; COMPUTE_PGM_RSRC2:TIDIG_COMP_CNT: 0
	.section	.text._ZN7rocprim17ROCPRIM_400000_NS6detail17trampoline_kernelINS0_14default_configENS1_25partition_config_selectorILNS1_17partition_subalgoE5EtNS0_10empty_typeEbEEZZNS1_14partition_implILS5_5ELb0ES3_mN6thrust23THRUST_200600_302600_NS6detail15normal_iteratorINSA_10device_ptrItEEEEPS6_NSA_18transform_iteratorINSB_9not_fun_tI7is_trueItEEENSC_INSD_IbEEEENSA_11use_defaultESO_EENS0_5tupleIJNSA_16discard_iteratorISO_EES6_EEENSQ_IJSG_SG_EEES6_PlJS6_EEE10hipError_tPvRmT3_T4_T5_T6_T7_T9_mT8_P12ihipStream_tbDpT10_ENKUlT_T0_E_clISt17integral_constantIbLb1EES1F_EEDaS1A_S1B_EUlS1A_E_NS1_11comp_targetILNS1_3genE8ELNS1_11target_archE1030ELNS1_3gpuE2ELNS1_3repE0EEENS1_30default_config_static_selectorELNS0_4arch9wavefront6targetE0EEEvT1_,"axG",@progbits,_ZN7rocprim17ROCPRIM_400000_NS6detail17trampoline_kernelINS0_14default_configENS1_25partition_config_selectorILNS1_17partition_subalgoE5EtNS0_10empty_typeEbEEZZNS1_14partition_implILS5_5ELb0ES3_mN6thrust23THRUST_200600_302600_NS6detail15normal_iteratorINSA_10device_ptrItEEEEPS6_NSA_18transform_iteratorINSB_9not_fun_tI7is_trueItEEENSC_INSD_IbEEEENSA_11use_defaultESO_EENS0_5tupleIJNSA_16discard_iteratorISO_EES6_EEENSQ_IJSG_SG_EEES6_PlJS6_EEE10hipError_tPvRmT3_T4_T5_T6_T7_T9_mT8_P12ihipStream_tbDpT10_ENKUlT_T0_E_clISt17integral_constantIbLb1EES1F_EEDaS1A_S1B_EUlS1A_E_NS1_11comp_targetILNS1_3genE8ELNS1_11target_archE1030ELNS1_3gpuE2ELNS1_3repE0EEENS1_30default_config_static_selectorELNS0_4arch9wavefront6targetE0EEEvT1_,comdat
	.protected	_ZN7rocprim17ROCPRIM_400000_NS6detail17trampoline_kernelINS0_14default_configENS1_25partition_config_selectorILNS1_17partition_subalgoE5EtNS0_10empty_typeEbEEZZNS1_14partition_implILS5_5ELb0ES3_mN6thrust23THRUST_200600_302600_NS6detail15normal_iteratorINSA_10device_ptrItEEEEPS6_NSA_18transform_iteratorINSB_9not_fun_tI7is_trueItEEENSC_INSD_IbEEEENSA_11use_defaultESO_EENS0_5tupleIJNSA_16discard_iteratorISO_EES6_EEENSQ_IJSG_SG_EEES6_PlJS6_EEE10hipError_tPvRmT3_T4_T5_T6_T7_T9_mT8_P12ihipStream_tbDpT10_ENKUlT_T0_E_clISt17integral_constantIbLb1EES1F_EEDaS1A_S1B_EUlS1A_E_NS1_11comp_targetILNS1_3genE8ELNS1_11target_archE1030ELNS1_3gpuE2ELNS1_3repE0EEENS1_30default_config_static_selectorELNS0_4arch9wavefront6targetE0EEEvT1_ ; -- Begin function _ZN7rocprim17ROCPRIM_400000_NS6detail17trampoline_kernelINS0_14default_configENS1_25partition_config_selectorILNS1_17partition_subalgoE5EtNS0_10empty_typeEbEEZZNS1_14partition_implILS5_5ELb0ES3_mN6thrust23THRUST_200600_302600_NS6detail15normal_iteratorINSA_10device_ptrItEEEEPS6_NSA_18transform_iteratorINSB_9not_fun_tI7is_trueItEEENSC_INSD_IbEEEENSA_11use_defaultESO_EENS0_5tupleIJNSA_16discard_iteratorISO_EES6_EEENSQ_IJSG_SG_EEES6_PlJS6_EEE10hipError_tPvRmT3_T4_T5_T6_T7_T9_mT8_P12ihipStream_tbDpT10_ENKUlT_T0_E_clISt17integral_constantIbLb1EES1F_EEDaS1A_S1B_EUlS1A_E_NS1_11comp_targetILNS1_3genE8ELNS1_11target_archE1030ELNS1_3gpuE2ELNS1_3repE0EEENS1_30default_config_static_selectorELNS0_4arch9wavefront6targetE0EEEvT1_
	.globl	_ZN7rocprim17ROCPRIM_400000_NS6detail17trampoline_kernelINS0_14default_configENS1_25partition_config_selectorILNS1_17partition_subalgoE5EtNS0_10empty_typeEbEEZZNS1_14partition_implILS5_5ELb0ES3_mN6thrust23THRUST_200600_302600_NS6detail15normal_iteratorINSA_10device_ptrItEEEEPS6_NSA_18transform_iteratorINSB_9not_fun_tI7is_trueItEEENSC_INSD_IbEEEENSA_11use_defaultESO_EENS0_5tupleIJNSA_16discard_iteratorISO_EES6_EEENSQ_IJSG_SG_EEES6_PlJS6_EEE10hipError_tPvRmT3_T4_T5_T6_T7_T9_mT8_P12ihipStream_tbDpT10_ENKUlT_T0_E_clISt17integral_constantIbLb1EES1F_EEDaS1A_S1B_EUlS1A_E_NS1_11comp_targetILNS1_3genE8ELNS1_11target_archE1030ELNS1_3gpuE2ELNS1_3repE0EEENS1_30default_config_static_selectorELNS0_4arch9wavefront6targetE0EEEvT1_
	.p2align	8
	.type	_ZN7rocprim17ROCPRIM_400000_NS6detail17trampoline_kernelINS0_14default_configENS1_25partition_config_selectorILNS1_17partition_subalgoE5EtNS0_10empty_typeEbEEZZNS1_14partition_implILS5_5ELb0ES3_mN6thrust23THRUST_200600_302600_NS6detail15normal_iteratorINSA_10device_ptrItEEEEPS6_NSA_18transform_iteratorINSB_9not_fun_tI7is_trueItEEENSC_INSD_IbEEEENSA_11use_defaultESO_EENS0_5tupleIJNSA_16discard_iteratorISO_EES6_EEENSQ_IJSG_SG_EEES6_PlJS6_EEE10hipError_tPvRmT3_T4_T5_T6_T7_T9_mT8_P12ihipStream_tbDpT10_ENKUlT_T0_E_clISt17integral_constantIbLb1EES1F_EEDaS1A_S1B_EUlS1A_E_NS1_11comp_targetILNS1_3genE8ELNS1_11target_archE1030ELNS1_3gpuE2ELNS1_3repE0EEENS1_30default_config_static_selectorELNS0_4arch9wavefront6targetE0EEEvT1_,@function
_ZN7rocprim17ROCPRIM_400000_NS6detail17trampoline_kernelINS0_14default_configENS1_25partition_config_selectorILNS1_17partition_subalgoE5EtNS0_10empty_typeEbEEZZNS1_14partition_implILS5_5ELb0ES3_mN6thrust23THRUST_200600_302600_NS6detail15normal_iteratorINSA_10device_ptrItEEEEPS6_NSA_18transform_iteratorINSB_9not_fun_tI7is_trueItEEENSC_INSD_IbEEEENSA_11use_defaultESO_EENS0_5tupleIJNSA_16discard_iteratorISO_EES6_EEENSQ_IJSG_SG_EEES6_PlJS6_EEE10hipError_tPvRmT3_T4_T5_T6_T7_T9_mT8_P12ihipStream_tbDpT10_ENKUlT_T0_E_clISt17integral_constantIbLb1EES1F_EEDaS1A_S1B_EUlS1A_E_NS1_11comp_targetILNS1_3genE8ELNS1_11target_archE1030ELNS1_3gpuE2ELNS1_3repE0EEENS1_30default_config_static_selectorELNS0_4arch9wavefront6targetE0EEEvT1_: ; @_ZN7rocprim17ROCPRIM_400000_NS6detail17trampoline_kernelINS0_14default_configENS1_25partition_config_selectorILNS1_17partition_subalgoE5EtNS0_10empty_typeEbEEZZNS1_14partition_implILS5_5ELb0ES3_mN6thrust23THRUST_200600_302600_NS6detail15normal_iteratorINSA_10device_ptrItEEEEPS6_NSA_18transform_iteratorINSB_9not_fun_tI7is_trueItEEENSC_INSD_IbEEEENSA_11use_defaultESO_EENS0_5tupleIJNSA_16discard_iteratorISO_EES6_EEENSQ_IJSG_SG_EEES6_PlJS6_EEE10hipError_tPvRmT3_T4_T5_T6_T7_T9_mT8_P12ihipStream_tbDpT10_ENKUlT_T0_E_clISt17integral_constantIbLb1EES1F_EEDaS1A_S1B_EUlS1A_E_NS1_11comp_targetILNS1_3genE8ELNS1_11target_archE1030ELNS1_3gpuE2ELNS1_3repE0EEENS1_30default_config_static_selectorELNS0_4arch9wavefront6targetE0EEEvT1_
; %bb.0:
	.section	.rodata,"a",@progbits
	.p2align	6, 0x0
	.amdhsa_kernel _ZN7rocprim17ROCPRIM_400000_NS6detail17trampoline_kernelINS0_14default_configENS1_25partition_config_selectorILNS1_17partition_subalgoE5EtNS0_10empty_typeEbEEZZNS1_14partition_implILS5_5ELb0ES3_mN6thrust23THRUST_200600_302600_NS6detail15normal_iteratorINSA_10device_ptrItEEEEPS6_NSA_18transform_iteratorINSB_9not_fun_tI7is_trueItEEENSC_INSD_IbEEEENSA_11use_defaultESO_EENS0_5tupleIJNSA_16discard_iteratorISO_EES6_EEENSQ_IJSG_SG_EEES6_PlJS6_EEE10hipError_tPvRmT3_T4_T5_T6_T7_T9_mT8_P12ihipStream_tbDpT10_ENKUlT_T0_E_clISt17integral_constantIbLb1EES1F_EEDaS1A_S1B_EUlS1A_E_NS1_11comp_targetILNS1_3genE8ELNS1_11target_archE1030ELNS1_3gpuE2ELNS1_3repE0EEENS1_30default_config_static_selectorELNS0_4arch9wavefront6targetE0EEEvT1_
		.amdhsa_group_segment_fixed_size 0
		.amdhsa_private_segment_fixed_size 0
		.amdhsa_kernarg_size 144
		.amdhsa_user_sgpr_count 2
		.amdhsa_user_sgpr_dispatch_ptr 0
		.amdhsa_user_sgpr_queue_ptr 0
		.amdhsa_user_sgpr_kernarg_segment_ptr 1
		.amdhsa_user_sgpr_dispatch_id 0
		.amdhsa_user_sgpr_private_segment_size 0
		.amdhsa_wavefront_size32 1
		.amdhsa_uses_dynamic_stack 0
		.amdhsa_enable_private_segment 0
		.amdhsa_system_sgpr_workgroup_id_x 1
		.amdhsa_system_sgpr_workgroup_id_y 0
		.amdhsa_system_sgpr_workgroup_id_z 0
		.amdhsa_system_sgpr_workgroup_info 0
		.amdhsa_system_vgpr_workitem_id 0
		.amdhsa_next_free_vgpr 1
		.amdhsa_next_free_sgpr 1
		.amdhsa_reserve_vcc 0
		.amdhsa_float_round_mode_32 0
		.amdhsa_float_round_mode_16_64 0
		.amdhsa_float_denorm_mode_32 3
		.amdhsa_float_denorm_mode_16_64 3
		.amdhsa_fp16_overflow 0
		.amdhsa_workgroup_processor_mode 1
		.amdhsa_memory_ordered 1
		.amdhsa_forward_progress 1
		.amdhsa_inst_pref_size 0
		.amdhsa_round_robin_scheduling 0
		.amdhsa_exception_fp_ieee_invalid_op 0
		.amdhsa_exception_fp_denorm_src 0
		.amdhsa_exception_fp_ieee_div_zero 0
		.amdhsa_exception_fp_ieee_overflow 0
		.amdhsa_exception_fp_ieee_underflow 0
		.amdhsa_exception_fp_ieee_inexact 0
		.amdhsa_exception_int_div_zero 0
	.end_amdhsa_kernel
	.section	.text._ZN7rocprim17ROCPRIM_400000_NS6detail17trampoline_kernelINS0_14default_configENS1_25partition_config_selectorILNS1_17partition_subalgoE5EtNS0_10empty_typeEbEEZZNS1_14partition_implILS5_5ELb0ES3_mN6thrust23THRUST_200600_302600_NS6detail15normal_iteratorINSA_10device_ptrItEEEEPS6_NSA_18transform_iteratorINSB_9not_fun_tI7is_trueItEEENSC_INSD_IbEEEENSA_11use_defaultESO_EENS0_5tupleIJNSA_16discard_iteratorISO_EES6_EEENSQ_IJSG_SG_EEES6_PlJS6_EEE10hipError_tPvRmT3_T4_T5_T6_T7_T9_mT8_P12ihipStream_tbDpT10_ENKUlT_T0_E_clISt17integral_constantIbLb1EES1F_EEDaS1A_S1B_EUlS1A_E_NS1_11comp_targetILNS1_3genE8ELNS1_11target_archE1030ELNS1_3gpuE2ELNS1_3repE0EEENS1_30default_config_static_selectorELNS0_4arch9wavefront6targetE0EEEvT1_,"axG",@progbits,_ZN7rocprim17ROCPRIM_400000_NS6detail17trampoline_kernelINS0_14default_configENS1_25partition_config_selectorILNS1_17partition_subalgoE5EtNS0_10empty_typeEbEEZZNS1_14partition_implILS5_5ELb0ES3_mN6thrust23THRUST_200600_302600_NS6detail15normal_iteratorINSA_10device_ptrItEEEEPS6_NSA_18transform_iteratorINSB_9not_fun_tI7is_trueItEEENSC_INSD_IbEEEENSA_11use_defaultESO_EENS0_5tupleIJNSA_16discard_iteratorISO_EES6_EEENSQ_IJSG_SG_EEES6_PlJS6_EEE10hipError_tPvRmT3_T4_T5_T6_T7_T9_mT8_P12ihipStream_tbDpT10_ENKUlT_T0_E_clISt17integral_constantIbLb1EES1F_EEDaS1A_S1B_EUlS1A_E_NS1_11comp_targetILNS1_3genE8ELNS1_11target_archE1030ELNS1_3gpuE2ELNS1_3repE0EEENS1_30default_config_static_selectorELNS0_4arch9wavefront6targetE0EEEvT1_,comdat
.Lfunc_end2732:
	.size	_ZN7rocprim17ROCPRIM_400000_NS6detail17trampoline_kernelINS0_14default_configENS1_25partition_config_selectorILNS1_17partition_subalgoE5EtNS0_10empty_typeEbEEZZNS1_14partition_implILS5_5ELb0ES3_mN6thrust23THRUST_200600_302600_NS6detail15normal_iteratorINSA_10device_ptrItEEEEPS6_NSA_18transform_iteratorINSB_9not_fun_tI7is_trueItEEENSC_INSD_IbEEEENSA_11use_defaultESO_EENS0_5tupleIJNSA_16discard_iteratorISO_EES6_EEENSQ_IJSG_SG_EEES6_PlJS6_EEE10hipError_tPvRmT3_T4_T5_T6_T7_T9_mT8_P12ihipStream_tbDpT10_ENKUlT_T0_E_clISt17integral_constantIbLb1EES1F_EEDaS1A_S1B_EUlS1A_E_NS1_11comp_targetILNS1_3genE8ELNS1_11target_archE1030ELNS1_3gpuE2ELNS1_3repE0EEENS1_30default_config_static_selectorELNS0_4arch9wavefront6targetE0EEEvT1_, .Lfunc_end2732-_ZN7rocprim17ROCPRIM_400000_NS6detail17trampoline_kernelINS0_14default_configENS1_25partition_config_selectorILNS1_17partition_subalgoE5EtNS0_10empty_typeEbEEZZNS1_14partition_implILS5_5ELb0ES3_mN6thrust23THRUST_200600_302600_NS6detail15normal_iteratorINSA_10device_ptrItEEEEPS6_NSA_18transform_iteratorINSB_9not_fun_tI7is_trueItEEENSC_INSD_IbEEEENSA_11use_defaultESO_EENS0_5tupleIJNSA_16discard_iteratorISO_EES6_EEENSQ_IJSG_SG_EEES6_PlJS6_EEE10hipError_tPvRmT3_T4_T5_T6_T7_T9_mT8_P12ihipStream_tbDpT10_ENKUlT_T0_E_clISt17integral_constantIbLb1EES1F_EEDaS1A_S1B_EUlS1A_E_NS1_11comp_targetILNS1_3genE8ELNS1_11target_archE1030ELNS1_3gpuE2ELNS1_3repE0EEENS1_30default_config_static_selectorELNS0_4arch9wavefront6targetE0EEEvT1_
                                        ; -- End function
	.set _ZN7rocprim17ROCPRIM_400000_NS6detail17trampoline_kernelINS0_14default_configENS1_25partition_config_selectorILNS1_17partition_subalgoE5EtNS0_10empty_typeEbEEZZNS1_14partition_implILS5_5ELb0ES3_mN6thrust23THRUST_200600_302600_NS6detail15normal_iteratorINSA_10device_ptrItEEEEPS6_NSA_18transform_iteratorINSB_9not_fun_tI7is_trueItEEENSC_INSD_IbEEEENSA_11use_defaultESO_EENS0_5tupleIJNSA_16discard_iteratorISO_EES6_EEENSQ_IJSG_SG_EEES6_PlJS6_EEE10hipError_tPvRmT3_T4_T5_T6_T7_T9_mT8_P12ihipStream_tbDpT10_ENKUlT_T0_E_clISt17integral_constantIbLb1EES1F_EEDaS1A_S1B_EUlS1A_E_NS1_11comp_targetILNS1_3genE8ELNS1_11target_archE1030ELNS1_3gpuE2ELNS1_3repE0EEENS1_30default_config_static_selectorELNS0_4arch9wavefront6targetE0EEEvT1_.num_vgpr, 0
	.set _ZN7rocprim17ROCPRIM_400000_NS6detail17trampoline_kernelINS0_14default_configENS1_25partition_config_selectorILNS1_17partition_subalgoE5EtNS0_10empty_typeEbEEZZNS1_14partition_implILS5_5ELb0ES3_mN6thrust23THRUST_200600_302600_NS6detail15normal_iteratorINSA_10device_ptrItEEEEPS6_NSA_18transform_iteratorINSB_9not_fun_tI7is_trueItEEENSC_INSD_IbEEEENSA_11use_defaultESO_EENS0_5tupleIJNSA_16discard_iteratorISO_EES6_EEENSQ_IJSG_SG_EEES6_PlJS6_EEE10hipError_tPvRmT3_T4_T5_T6_T7_T9_mT8_P12ihipStream_tbDpT10_ENKUlT_T0_E_clISt17integral_constantIbLb1EES1F_EEDaS1A_S1B_EUlS1A_E_NS1_11comp_targetILNS1_3genE8ELNS1_11target_archE1030ELNS1_3gpuE2ELNS1_3repE0EEENS1_30default_config_static_selectorELNS0_4arch9wavefront6targetE0EEEvT1_.num_agpr, 0
	.set _ZN7rocprim17ROCPRIM_400000_NS6detail17trampoline_kernelINS0_14default_configENS1_25partition_config_selectorILNS1_17partition_subalgoE5EtNS0_10empty_typeEbEEZZNS1_14partition_implILS5_5ELb0ES3_mN6thrust23THRUST_200600_302600_NS6detail15normal_iteratorINSA_10device_ptrItEEEEPS6_NSA_18transform_iteratorINSB_9not_fun_tI7is_trueItEEENSC_INSD_IbEEEENSA_11use_defaultESO_EENS0_5tupleIJNSA_16discard_iteratorISO_EES6_EEENSQ_IJSG_SG_EEES6_PlJS6_EEE10hipError_tPvRmT3_T4_T5_T6_T7_T9_mT8_P12ihipStream_tbDpT10_ENKUlT_T0_E_clISt17integral_constantIbLb1EES1F_EEDaS1A_S1B_EUlS1A_E_NS1_11comp_targetILNS1_3genE8ELNS1_11target_archE1030ELNS1_3gpuE2ELNS1_3repE0EEENS1_30default_config_static_selectorELNS0_4arch9wavefront6targetE0EEEvT1_.numbered_sgpr, 0
	.set _ZN7rocprim17ROCPRIM_400000_NS6detail17trampoline_kernelINS0_14default_configENS1_25partition_config_selectorILNS1_17partition_subalgoE5EtNS0_10empty_typeEbEEZZNS1_14partition_implILS5_5ELb0ES3_mN6thrust23THRUST_200600_302600_NS6detail15normal_iteratorINSA_10device_ptrItEEEEPS6_NSA_18transform_iteratorINSB_9not_fun_tI7is_trueItEEENSC_INSD_IbEEEENSA_11use_defaultESO_EENS0_5tupleIJNSA_16discard_iteratorISO_EES6_EEENSQ_IJSG_SG_EEES6_PlJS6_EEE10hipError_tPvRmT3_T4_T5_T6_T7_T9_mT8_P12ihipStream_tbDpT10_ENKUlT_T0_E_clISt17integral_constantIbLb1EES1F_EEDaS1A_S1B_EUlS1A_E_NS1_11comp_targetILNS1_3genE8ELNS1_11target_archE1030ELNS1_3gpuE2ELNS1_3repE0EEENS1_30default_config_static_selectorELNS0_4arch9wavefront6targetE0EEEvT1_.num_named_barrier, 0
	.set _ZN7rocprim17ROCPRIM_400000_NS6detail17trampoline_kernelINS0_14default_configENS1_25partition_config_selectorILNS1_17partition_subalgoE5EtNS0_10empty_typeEbEEZZNS1_14partition_implILS5_5ELb0ES3_mN6thrust23THRUST_200600_302600_NS6detail15normal_iteratorINSA_10device_ptrItEEEEPS6_NSA_18transform_iteratorINSB_9not_fun_tI7is_trueItEEENSC_INSD_IbEEEENSA_11use_defaultESO_EENS0_5tupleIJNSA_16discard_iteratorISO_EES6_EEENSQ_IJSG_SG_EEES6_PlJS6_EEE10hipError_tPvRmT3_T4_T5_T6_T7_T9_mT8_P12ihipStream_tbDpT10_ENKUlT_T0_E_clISt17integral_constantIbLb1EES1F_EEDaS1A_S1B_EUlS1A_E_NS1_11comp_targetILNS1_3genE8ELNS1_11target_archE1030ELNS1_3gpuE2ELNS1_3repE0EEENS1_30default_config_static_selectorELNS0_4arch9wavefront6targetE0EEEvT1_.private_seg_size, 0
	.set _ZN7rocprim17ROCPRIM_400000_NS6detail17trampoline_kernelINS0_14default_configENS1_25partition_config_selectorILNS1_17partition_subalgoE5EtNS0_10empty_typeEbEEZZNS1_14partition_implILS5_5ELb0ES3_mN6thrust23THRUST_200600_302600_NS6detail15normal_iteratorINSA_10device_ptrItEEEEPS6_NSA_18transform_iteratorINSB_9not_fun_tI7is_trueItEEENSC_INSD_IbEEEENSA_11use_defaultESO_EENS0_5tupleIJNSA_16discard_iteratorISO_EES6_EEENSQ_IJSG_SG_EEES6_PlJS6_EEE10hipError_tPvRmT3_T4_T5_T6_T7_T9_mT8_P12ihipStream_tbDpT10_ENKUlT_T0_E_clISt17integral_constantIbLb1EES1F_EEDaS1A_S1B_EUlS1A_E_NS1_11comp_targetILNS1_3genE8ELNS1_11target_archE1030ELNS1_3gpuE2ELNS1_3repE0EEENS1_30default_config_static_selectorELNS0_4arch9wavefront6targetE0EEEvT1_.uses_vcc, 0
	.set _ZN7rocprim17ROCPRIM_400000_NS6detail17trampoline_kernelINS0_14default_configENS1_25partition_config_selectorILNS1_17partition_subalgoE5EtNS0_10empty_typeEbEEZZNS1_14partition_implILS5_5ELb0ES3_mN6thrust23THRUST_200600_302600_NS6detail15normal_iteratorINSA_10device_ptrItEEEEPS6_NSA_18transform_iteratorINSB_9not_fun_tI7is_trueItEEENSC_INSD_IbEEEENSA_11use_defaultESO_EENS0_5tupleIJNSA_16discard_iteratorISO_EES6_EEENSQ_IJSG_SG_EEES6_PlJS6_EEE10hipError_tPvRmT3_T4_T5_T6_T7_T9_mT8_P12ihipStream_tbDpT10_ENKUlT_T0_E_clISt17integral_constantIbLb1EES1F_EEDaS1A_S1B_EUlS1A_E_NS1_11comp_targetILNS1_3genE8ELNS1_11target_archE1030ELNS1_3gpuE2ELNS1_3repE0EEENS1_30default_config_static_selectorELNS0_4arch9wavefront6targetE0EEEvT1_.uses_flat_scratch, 0
	.set _ZN7rocprim17ROCPRIM_400000_NS6detail17trampoline_kernelINS0_14default_configENS1_25partition_config_selectorILNS1_17partition_subalgoE5EtNS0_10empty_typeEbEEZZNS1_14partition_implILS5_5ELb0ES3_mN6thrust23THRUST_200600_302600_NS6detail15normal_iteratorINSA_10device_ptrItEEEEPS6_NSA_18transform_iteratorINSB_9not_fun_tI7is_trueItEEENSC_INSD_IbEEEENSA_11use_defaultESO_EENS0_5tupleIJNSA_16discard_iteratorISO_EES6_EEENSQ_IJSG_SG_EEES6_PlJS6_EEE10hipError_tPvRmT3_T4_T5_T6_T7_T9_mT8_P12ihipStream_tbDpT10_ENKUlT_T0_E_clISt17integral_constantIbLb1EES1F_EEDaS1A_S1B_EUlS1A_E_NS1_11comp_targetILNS1_3genE8ELNS1_11target_archE1030ELNS1_3gpuE2ELNS1_3repE0EEENS1_30default_config_static_selectorELNS0_4arch9wavefront6targetE0EEEvT1_.has_dyn_sized_stack, 0
	.set _ZN7rocprim17ROCPRIM_400000_NS6detail17trampoline_kernelINS0_14default_configENS1_25partition_config_selectorILNS1_17partition_subalgoE5EtNS0_10empty_typeEbEEZZNS1_14partition_implILS5_5ELb0ES3_mN6thrust23THRUST_200600_302600_NS6detail15normal_iteratorINSA_10device_ptrItEEEEPS6_NSA_18transform_iteratorINSB_9not_fun_tI7is_trueItEEENSC_INSD_IbEEEENSA_11use_defaultESO_EENS0_5tupleIJNSA_16discard_iteratorISO_EES6_EEENSQ_IJSG_SG_EEES6_PlJS6_EEE10hipError_tPvRmT3_T4_T5_T6_T7_T9_mT8_P12ihipStream_tbDpT10_ENKUlT_T0_E_clISt17integral_constantIbLb1EES1F_EEDaS1A_S1B_EUlS1A_E_NS1_11comp_targetILNS1_3genE8ELNS1_11target_archE1030ELNS1_3gpuE2ELNS1_3repE0EEENS1_30default_config_static_selectorELNS0_4arch9wavefront6targetE0EEEvT1_.has_recursion, 0
	.set _ZN7rocprim17ROCPRIM_400000_NS6detail17trampoline_kernelINS0_14default_configENS1_25partition_config_selectorILNS1_17partition_subalgoE5EtNS0_10empty_typeEbEEZZNS1_14partition_implILS5_5ELb0ES3_mN6thrust23THRUST_200600_302600_NS6detail15normal_iteratorINSA_10device_ptrItEEEEPS6_NSA_18transform_iteratorINSB_9not_fun_tI7is_trueItEEENSC_INSD_IbEEEENSA_11use_defaultESO_EENS0_5tupleIJNSA_16discard_iteratorISO_EES6_EEENSQ_IJSG_SG_EEES6_PlJS6_EEE10hipError_tPvRmT3_T4_T5_T6_T7_T9_mT8_P12ihipStream_tbDpT10_ENKUlT_T0_E_clISt17integral_constantIbLb1EES1F_EEDaS1A_S1B_EUlS1A_E_NS1_11comp_targetILNS1_3genE8ELNS1_11target_archE1030ELNS1_3gpuE2ELNS1_3repE0EEENS1_30default_config_static_selectorELNS0_4arch9wavefront6targetE0EEEvT1_.has_indirect_call, 0
	.section	.AMDGPU.csdata,"",@progbits
; Kernel info:
; codeLenInByte = 0
; TotalNumSgprs: 0
; NumVgprs: 0
; ScratchSize: 0
; MemoryBound: 0
; FloatMode: 240
; IeeeMode: 1
; LDSByteSize: 0 bytes/workgroup (compile time only)
; SGPRBlocks: 0
; VGPRBlocks: 0
; NumSGPRsForWavesPerEU: 1
; NumVGPRsForWavesPerEU: 1
; Occupancy: 16
; WaveLimiterHint : 0
; COMPUTE_PGM_RSRC2:SCRATCH_EN: 0
; COMPUTE_PGM_RSRC2:USER_SGPR: 2
; COMPUTE_PGM_RSRC2:TRAP_HANDLER: 0
; COMPUTE_PGM_RSRC2:TGID_X_EN: 1
; COMPUTE_PGM_RSRC2:TGID_Y_EN: 0
; COMPUTE_PGM_RSRC2:TGID_Z_EN: 0
; COMPUTE_PGM_RSRC2:TIDIG_COMP_CNT: 0
	.section	.text._ZN7rocprim17ROCPRIM_400000_NS6detail17trampoline_kernelINS0_14default_configENS1_25partition_config_selectorILNS1_17partition_subalgoE5EtNS0_10empty_typeEbEEZZNS1_14partition_implILS5_5ELb0ES3_mN6thrust23THRUST_200600_302600_NS6detail15normal_iteratorINSA_10device_ptrItEEEEPS6_NSA_18transform_iteratorINSB_9not_fun_tI7is_trueItEEENSC_INSD_IbEEEENSA_11use_defaultESO_EENS0_5tupleIJNSA_16discard_iteratorISO_EES6_EEENSQ_IJSG_SG_EEES6_PlJS6_EEE10hipError_tPvRmT3_T4_T5_T6_T7_T9_mT8_P12ihipStream_tbDpT10_ENKUlT_T0_E_clISt17integral_constantIbLb1EES1E_IbLb0EEEEDaS1A_S1B_EUlS1A_E_NS1_11comp_targetILNS1_3genE0ELNS1_11target_archE4294967295ELNS1_3gpuE0ELNS1_3repE0EEENS1_30default_config_static_selectorELNS0_4arch9wavefront6targetE0EEEvT1_,"axG",@progbits,_ZN7rocprim17ROCPRIM_400000_NS6detail17trampoline_kernelINS0_14default_configENS1_25partition_config_selectorILNS1_17partition_subalgoE5EtNS0_10empty_typeEbEEZZNS1_14partition_implILS5_5ELb0ES3_mN6thrust23THRUST_200600_302600_NS6detail15normal_iteratorINSA_10device_ptrItEEEEPS6_NSA_18transform_iteratorINSB_9not_fun_tI7is_trueItEEENSC_INSD_IbEEEENSA_11use_defaultESO_EENS0_5tupleIJNSA_16discard_iteratorISO_EES6_EEENSQ_IJSG_SG_EEES6_PlJS6_EEE10hipError_tPvRmT3_T4_T5_T6_T7_T9_mT8_P12ihipStream_tbDpT10_ENKUlT_T0_E_clISt17integral_constantIbLb1EES1E_IbLb0EEEEDaS1A_S1B_EUlS1A_E_NS1_11comp_targetILNS1_3genE0ELNS1_11target_archE4294967295ELNS1_3gpuE0ELNS1_3repE0EEENS1_30default_config_static_selectorELNS0_4arch9wavefront6targetE0EEEvT1_,comdat
	.protected	_ZN7rocprim17ROCPRIM_400000_NS6detail17trampoline_kernelINS0_14default_configENS1_25partition_config_selectorILNS1_17partition_subalgoE5EtNS0_10empty_typeEbEEZZNS1_14partition_implILS5_5ELb0ES3_mN6thrust23THRUST_200600_302600_NS6detail15normal_iteratorINSA_10device_ptrItEEEEPS6_NSA_18transform_iteratorINSB_9not_fun_tI7is_trueItEEENSC_INSD_IbEEEENSA_11use_defaultESO_EENS0_5tupleIJNSA_16discard_iteratorISO_EES6_EEENSQ_IJSG_SG_EEES6_PlJS6_EEE10hipError_tPvRmT3_T4_T5_T6_T7_T9_mT8_P12ihipStream_tbDpT10_ENKUlT_T0_E_clISt17integral_constantIbLb1EES1E_IbLb0EEEEDaS1A_S1B_EUlS1A_E_NS1_11comp_targetILNS1_3genE0ELNS1_11target_archE4294967295ELNS1_3gpuE0ELNS1_3repE0EEENS1_30default_config_static_selectorELNS0_4arch9wavefront6targetE0EEEvT1_ ; -- Begin function _ZN7rocprim17ROCPRIM_400000_NS6detail17trampoline_kernelINS0_14default_configENS1_25partition_config_selectorILNS1_17partition_subalgoE5EtNS0_10empty_typeEbEEZZNS1_14partition_implILS5_5ELb0ES3_mN6thrust23THRUST_200600_302600_NS6detail15normal_iteratorINSA_10device_ptrItEEEEPS6_NSA_18transform_iteratorINSB_9not_fun_tI7is_trueItEEENSC_INSD_IbEEEENSA_11use_defaultESO_EENS0_5tupleIJNSA_16discard_iteratorISO_EES6_EEENSQ_IJSG_SG_EEES6_PlJS6_EEE10hipError_tPvRmT3_T4_T5_T6_T7_T9_mT8_P12ihipStream_tbDpT10_ENKUlT_T0_E_clISt17integral_constantIbLb1EES1E_IbLb0EEEEDaS1A_S1B_EUlS1A_E_NS1_11comp_targetILNS1_3genE0ELNS1_11target_archE4294967295ELNS1_3gpuE0ELNS1_3repE0EEENS1_30default_config_static_selectorELNS0_4arch9wavefront6targetE0EEEvT1_
	.globl	_ZN7rocprim17ROCPRIM_400000_NS6detail17trampoline_kernelINS0_14default_configENS1_25partition_config_selectorILNS1_17partition_subalgoE5EtNS0_10empty_typeEbEEZZNS1_14partition_implILS5_5ELb0ES3_mN6thrust23THRUST_200600_302600_NS6detail15normal_iteratorINSA_10device_ptrItEEEEPS6_NSA_18transform_iteratorINSB_9not_fun_tI7is_trueItEEENSC_INSD_IbEEEENSA_11use_defaultESO_EENS0_5tupleIJNSA_16discard_iteratorISO_EES6_EEENSQ_IJSG_SG_EEES6_PlJS6_EEE10hipError_tPvRmT3_T4_T5_T6_T7_T9_mT8_P12ihipStream_tbDpT10_ENKUlT_T0_E_clISt17integral_constantIbLb1EES1E_IbLb0EEEEDaS1A_S1B_EUlS1A_E_NS1_11comp_targetILNS1_3genE0ELNS1_11target_archE4294967295ELNS1_3gpuE0ELNS1_3repE0EEENS1_30default_config_static_selectorELNS0_4arch9wavefront6targetE0EEEvT1_
	.p2align	8
	.type	_ZN7rocprim17ROCPRIM_400000_NS6detail17trampoline_kernelINS0_14default_configENS1_25partition_config_selectorILNS1_17partition_subalgoE5EtNS0_10empty_typeEbEEZZNS1_14partition_implILS5_5ELb0ES3_mN6thrust23THRUST_200600_302600_NS6detail15normal_iteratorINSA_10device_ptrItEEEEPS6_NSA_18transform_iteratorINSB_9not_fun_tI7is_trueItEEENSC_INSD_IbEEEENSA_11use_defaultESO_EENS0_5tupleIJNSA_16discard_iteratorISO_EES6_EEENSQ_IJSG_SG_EEES6_PlJS6_EEE10hipError_tPvRmT3_T4_T5_T6_T7_T9_mT8_P12ihipStream_tbDpT10_ENKUlT_T0_E_clISt17integral_constantIbLb1EES1E_IbLb0EEEEDaS1A_S1B_EUlS1A_E_NS1_11comp_targetILNS1_3genE0ELNS1_11target_archE4294967295ELNS1_3gpuE0ELNS1_3repE0EEENS1_30default_config_static_selectorELNS0_4arch9wavefront6targetE0EEEvT1_,@function
_ZN7rocprim17ROCPRIM_400000_NS6detail17trampoline_kernelINS0_14default_configENS1_25partition_config_selectorILNS1_17partition_subalgoE5EtNS0_10empty_typeEbEEZZNS1_14partition_implILS5_5ELb0ES3_mN6thrust23THRUST_200600_302600_NS6detail15normal_iteratorINSA_10device_ptrItEEEEPS6_NSA_18transform_iteratorINSB_9not_fun_tI7is_trueItEEENSC_INSD_IbEEEENSA_11use_defaultESO_EENS0_5tupleIJNSA_16discard_iteratorISO_EES6_EEENSQ_IJSG_SG_EEES6_PlJS6_EEE10hipError_tPvRmT3_T4_T5_T6_T7_T9_mT8_P12ihipStream_tbDpT10_ENKUlT_T0_E_clISt17integral_constantIbLb1EES1E_IbLb0EEEEDaS1A_S1B_EUlS1A_E_NS1_11comp_targetILNS1_3genE0ELNS1_11target_archE4294967295ELNS1_3gpuE0ELNS1_3repE0EEENS1_30default_config_static_selectorELNS0_4arch9wavefront6targetE0EEEvT1_: ; @_ZN7rocprim17ROCPRIM_400000_NS6detail17trampoline_kernelINS0_14default_configENS1_25partition_config_selectorILNS1_17partition_subalgoE5EtNS0_10empty_typeEbEEZZNS1_14partition_implILS5_5ELb0ES3_mN6thrust23THRUST_200600_302600_NS6detail15normal_iteratorINSA_10device_ptrItEEEEPS6_NSA_18transform_iteratorINSB_9not_fun_tI7is_trueItEEENSC_INSD_IbEEEENSA_11use_defaultESO_EENS0_5tupleIJNSA_16discard_iteratorISO_EES6_EEENSQ_IJSG_SG_EEES6_PlJS6_EEE10hipError_tPvRmT3_T4_T5_T6_T7_T9_mT8_P12ihipStream_tbDpT10_ENKUlT_T0_E_clISt17integral_constantIbLb1EES1E_IbLb0EEEEDaS1A_S1B_EUlS1A_E_NS1_11comp_targetILNS1_3genE0ELNS1_11target_archE4294967295ELNS1_3gpuE0ELNS1_3repE0EEENS1_30default_config_static_selectorELNS0_4arch9wavefront6targetE0EEEvT1_
; %bb.0:
	.section	.rodata,"a",@progbits
	.p2align	6, 0x0
	.amdhsa_kernel _ZN7rocprim17ROCPRIM_400000_NS6detail17trampoline_kernelINS0_14default_configENS1_25partition_config_selectorILNS1_17partition_subalgoE5EtNS0_10empty_typeEbEEZZNS1_14partition_implILS5_5ELb0ES3_mN6thrust23THRUST_200600_302600_NS6detail15normal_iteratorINSA_10device_ptrItEEEEPS6_NSA_18transform_iteratorINSB_9not_fun_tI7is_trueItEEENSC_INSD_IbEEEENSA_11use_defaultESO_EENS0_5tupleIJNSA_16discard_iteratorISO_EES6_EEENSQ_IJSG_SG_EEES6_PlJS6_EEE10hipError_tPvRmT3_T4_T5_T6_T7_T9_mT8_P12ihipStream_tbDpT10_ENKUlT_T0_E_clISt17integral_constantIbLb1EES1E_IbLb0EEEEDaS1A_S1B_EUlS1A_E_NS1_11comp_targetILNS1_3genE0ELNS1_11target_archE4294967295ELNS1_3gpuE0ELNS1_3repE0EEENS1_30default_config_static_selectorELNS0_4arch9wavefront6targetE0EEEvT1_
		.amdhsa_group_segment_fixed_size 0
		.amdhsa_private_segment_fixed_size 0
		.amdhsa_kernarg_size 128
		.amdhsa_user_sgpr_count 2
		.amdhsa_user_sgpr_dispatch_ptr 0
		.amdhsa_user_sgpr_queue_ptr 0
		.amdhsa_user_sgpr_kernarg_segment_ptr 1
		.amdhsa_user_sgpr_dispatch_id 0
		.amdhsa_user_sgpr_private_segment_size 0
		.amdhsa_wavefront_size32 1
		.amdhsa_uses_dynamic_stack 0
		.amdhsa_enable_private_segment 0
		.amdhsa_system_sgpr_workgroup_id_x 1
		.amdhsa_system_sgpr_workgroup_id_y 0
		.amdhsa_system_sgpr_workgroup_id_z 0
		.amdhsa_system_sgpr_workgroup_info 0
		.amdhsa_system_vgpr_workitem_id 0
		.amdhsa_next_free_vgpr 1
		.amdhsa_next_free_sgpr 1
		.amdhsa_reserve_vcc 0
		.amdhsa_float_round_mode_32 0
		.amdhsa_float_round_mode_16_64 0
		.amdhsa_float_denorm_mode_32 3
		.amdhsa_float_denorm_mode_16_64 3
		.amdhsa_fp16_overflow 0
		.amdhsa_workgroup_processor_mode 1
		.amdhsa_memory_ordered 1
		.amdhsa_forward_progress 1
		.amdhsa_inst_pref_size 0
		.amdhsa_round_robin_scheduling 0
		.amdhsa_exception_fp_ieee_invalid_op 0
		.amdhsa_exception_fp_denorm_src 0
		.amdhsa_exception_fp_ieee_div_zero 0
		.amdhsa_exception_fp_ieee_overflow 0
		.amdhsa_exception_fp_ieee_underflow 0
		.amdhsa_exception_fp_ieee_inexact 0
		.amdhsa_exception_int_div_zero 0
	.end_amdhsa_kernel
	.section	.text._ZN7rocprim17ROCPRIM_400000_NS6detail17trampoline_kernelINS0_14default_configENS1_25partition_config_selectorILNS1_17partition_subalgoE5EtNS0_10empty_typeEbEEZZNS1_14partition_implILS5_5ELb0ES3_mN6thrust23THRUST_200600_302600_NS6detail15normal_iteratorINSA_10device_ptrItEEEEPS6_NSA_18transform_iteratorINSB_9not_fun_tI7is_trueItEEENSC_INSD_IbEEEENSA_11use_defaultESO_EENS0_5tupleIJNSA_16discard_iteratorISO_EES6_EEENSQ_IJSG_SG_EEES6_PlJS6_EEE10hipError_tPvRmT3_T4_T5_T6_T7_T9_mT8_P12ihipStream_tbDpT10_ENKUlT_T0_E_clISt17integral_constantIbLb1EES1E_IbLb0EEEEDaS1A_S1B_EUlS1A_E_NS1_11comp_targetILNS1_3genE0ELNS1_11target_archE4294967295ELNS1_3gpuE0ELNS1_3repE0EEENS1_30default_config_static_selectorELNS0_4arch9wavefront6targetE0EEEvT1_,"axG",@progbits,_ZN7rocprim17ROCPRIM_400000_NS6detail17trampoline_kernelINS0_14default_configENS1_25partition_config_selectorILNS1_17partition_subalgoE5EtNS0_10empty_typeEbEEZZNS1_14partition_implILS5_5ELb0ES3_mN6thrust23THRUST_200600_302600_NS6detail15normal_iteratorINSA_10device_ptrItEEEEPS6_NSA_18transform_iteratorINSB_9not_fun_tI7is_trueItEEENSC_INSD_IbEEEENSA_11use_defaultESO_EENS0_5tupleIJNSA_16discard_iteratorISO_EES6_EEENSQ_IJSG_SG_EEES6_PlJS6_EEE10hipError_tPvRmT3_T4_T5_T6_T7_T9_mT8_P12ihipStream_tbDpT10_ENKUlT_T0_E_clISt17integral_constantIbLb1EES1E_IbLb0EEEEDaS1A_S1B_EUlS1A_E_NS1_11comp_targetILNS1_3genE0ELNS1_11target_archE4294967295ELNS1_3gpuE0ELNS1_3repE0EEENS1_30default_config_static_selectorELNS0_4arch9wavefront6targetE0EEEvT1_,comdat
.Lfunc_end2733:
	.size	_ZN7rocprim17ROCPRIM_400000_NS6detail17trampoline_kernelINS0_14default_configENS1_25partition_config_selectorILNS1_17partition_subalgoE5EtNS0_10empty_typeEbEEZZNS1_14partition_implILS5_5ELb0ES3_mN6thrust23THRUST_200600_302600_NS6detail15normal_iteratorINSA_10device_ptrItEEEEPS6_NSA_18transform_iteratorINSB_9not_fun_tI7is_trueItEEENSC_INSD_IbEEEENSA_11use_defaultESO_EENS0_5tupleIJNSA_16discard_iteratorISO_EES6_EEENSQ_IJSG_SG_EEES6_PlJS6_EEE10hipError_tPvRmT3_T4_T5_T6_T7_T9_mT8_P12ihipStream_tbDpT10_ENKUlT_T0_E_clISt17integral_constantIbLb1EES1E_IbLb0EEEEDaS1A_S1B_EUlS1A_E_NS1_11comp_targetILNS1_3genE0ELNS1_11target_archE4294967295ELNS1_3gpuE0ELNS1_3repE0EEENS1_30default_config_static_selectorELNS0_4arch9wavefront6targetE0EEEvT1_, .Lfunc_end2733-_ZN7rocprim17ROCPRIM_400000_NS6detail17trampoline_kernelINS0_14default_configENS1_25partition_config_selectorILNS1_17partition_subalgoE5EtNS0_10empty_typeEbEEZZNS1_14partition_implILS5_5ELb0ES3_mN6thrust23THRUST_200600_302600_NS6detail15normal_iteratorINSA_10device_ptrItEEEEPS6_NSA_18transform_iteratorINSB_9not_fun_tI7is_trueItEEENSC_INSD_IbEEEENSA_11use_defaultESO_EENS0_5tupleIJNSA_16discard_iteratorISO_EES6_EEENSQ_IJSG_SG_EEES6_PlJS6_EEE10hipError_tPvRmT3_T4_T5_T6_T7_T9_mT8_P12ihipStream_tbDpT10_ENKUlT_T0_E_clISt17integral_constantIbLb1EES1E_IbLb0EEEEDaS1A_S1B_EUlS1A_E_NS1_11comp_targetILNS1_3genE0ELNS1_11target_archE4294967295ELNS1_3gpuE0ELNS1_3repE0EEENS1_30default_config_static_selectorELNS0_4arch9wavefront6targetE0EEEvT1_
                                        ; -- End function
	.set _ZN7rocprim17ROCPRIM_400000_NS6detail17trampoline_kernelINS0_14default_configENS1_25partition_config_selectorILNS1_17partition_subalgoE5EtNS0_10empty_typeEbEEZZNS1_14partition_implILS5_5ELb0ES3_mN6thrust23THRUST_200600_302600_NS6detail15normal_iteratorINSA_10device_ptrItEEEEPS6_NSA_18transform_iteratorINSB_9not_fun_tI7is_trueItEEENSC_INSD_IbEEEENSA_11use_defaultESO_EENS0_5tupleIJNSA_16discard_iteratorISO_EES6_EEENSQ_IJSG_SG_EEES6_PlJS6_EEE10hipError_tPvRmT3_T4_T5_T6_T7_T9_mT8_P12ihipStream_tbDpT10_ENKUlT_T0_E_clISt17integral_constantIbLb1EES1E_IbLb0EEEEDaS1A_S1B_EUlS1A_E_NS1_11comp_targetILNS1_3genE0ELNS1_11target_archE4294967295ELNS1_3gpuE0ELNS1_3repE0EEENS1_30default_config_static_selectorELNS0_4arch9wavefront6targetE0EEEvT1_.num_vgpr, 0
	.set _ZN7rocprim17ROCPRIM_400000_NS6detail17trampoline_kernelINS0_14default_configENS1_25partition_config_selectorILNS1_17partition_subalgoE5EtNS0_10empty_typeEbEEZZNS1_14partition_implILS5_5ELb0ES3_mN6thrust23THRUST_200600_302600_NS6detail15normal_iteratorINSA_10device_ptrItEEEEPS6_NSA_18transform_iteratorINSB_9not_fun_tI7is_trueItEEENSC_INSD_IbEEEENSA_11use_defaultESO_EENS0_5tupleIJNSA_16discard_iteratorISO_EES6_EEENSQ_IJSG_SG_EEES6_PlJS6_EEE10hipError_tPvRmT3_T4_T5_T6_T7_T9_mT8_P12ihipStream_tbDpT10_ENKUlT_T0_E_clISt17integral_constantIbLb1EES1E_IbLb0EEEEDaS1A_S1B_EUlS1A_E_NS1_11comp_targetILNS1_3genE0ELNS1_11target_archE4294967295ELNS1_3gpuE0ELNS1_3repE0EEENS1_30default_config_static_selectorELNS0_4arch9wavefront6targetE0EEEvT1_.num_agpr, 0
	.set _ZN7rocprim17ROCPRIM_400000_NS6detail17trampoline_kernelINS0_14default_configENS1_25partition_config_selectorILNS1_17partition_subalgoE5EtNS0_10empty_typeEbEEZZNS1_14partition_implILS5_5ELb0ES3_mN6thrust23THRUST_200600_302600_NS6detail15normal_iteratorINSA_10device_ptrItEEEEPS6_NSA_18transform_iteratorINSB_9not_fun_tI7is_trueItEEENSC_INSD_IbEEEENSA_11use_defaultESO_EENS0_5tupleIJNSA_16discard_iteratorISO_EES6_EEENSQ_IJSG_SG_EEES6_PlJS6_EEE10hipError_tPvRmT3_T4_T5_T6_T7_T9_mT8_P12ihipStream_tbDpT10_ENKUlT_T0_E_clISt17integral_constantIbLb1EES1E_IbLb0EEEEDaS1A_S1B_EUlS1A_E_NS1_11comp_targetILNS1_3genE0ELNS1_11target_archE4294967295ELNS1_3gpuE0ELNS1_3repE0EEENS1_30default_config_static_selectorELNS0_4arch9wavefront6targetE0EEEvT1_.numbered_sgpr, 0
	.set _ZN7rocprim17ROCPRIM_400000_NS6detail17trampoline_kernelINS0_14default_configENS1_25partition_config_selectorILNS1_17partition_subalgoE5EtNS0_10empty_typeEbEEZZNS1_14partition_implILS5_5ELb0ES3_mN6thrust23THRUST_200600_302600_NS6detail15normal_iteratorINSA_10device_ptrItEEEEPS6_NSA_18transform_iteratorINSB_9not_fun_tI7is_trueItEEENSC_INSD_IbEEEENSA_11use_defaultESO_EENS0_5tupleIJNSA_16discard_iteratorISO_EES6_EEENSQ_IJSG_SG_EEES6_PlJS6_EEE10hipError_tPvRmT3_T4_T5_T6_T7_T9_mT8_P12ihipStream_tbDpT10_ENKUlT_T0_E_clISt17integral_constantIbLb1EES1E_IbLb0EEEEDaS1A_S1B_EUlS1A_E_NS1_11comp_targetILNS1_3genE0ELNS1_11target_archE4294967295ELNS1_3gpuE0ELNS1_3repE0EEENS1_30default_config_static_selectorELNS0_4arch9wavefront6targetE0EEEvT1_.num_named_barrier, 0
	.set _ZN7rocprim17ROCPRIM_400000_NS6detail17trampoline_kernelINS0_14default_configENS1_25partition_config_selectorILNS1_17partition_subalgoE5EtNS0_10empty_typeEbEEZZNS1_14partition_implILS5_5ELb0ES3_mN6thrust23THRUST_200600_302600_NS6detail15normal_iteratorINSA_10device_ptrItEEEEPS6_NSA_18transform_iteratorINSB_9not_fun_tI7is_trueItEEENSC_INSD_IbEEEENSA_11use_defaultESO_EENS0_5tupleIJNSA_16discard_iteratorISO_EES6_EEENSQ_IJSG_SG_EEES6_PlJS6_EEE10hipError_tPvRmT3_T4_T5_T6_T7_T9_mT8_P12ihipStream_tbDpT10_ENKUlT_T0_E_clISt17integral_constantIbLb1EES1E_IbLb0EEEEDaS1A_S1B_EUlS1A_E_NS1_11comp_targetILNS1_3genE0ELNS1_11target_archE4294967295ELNS1_3gpuE0ELNS1_3repE0EEENS1_30default_config_static_selectorELNS0_4arch9wavefront6targetE0EEEvT1_.private_seg_size, 0
	.set _ZN7rocprim17ROCPRIM_400000_NS6detail17trampoline_kernelINS0_14default_configENS1_25partition_config_selectorILNS1_17partition_subalgoE5EtNS0_10empty_typeEbEEZZNS1_14partition_implILS5_5ELb0ES3_mN6thrust23THRUST_200600_302600_NS6detail15normal_iteratorINSA_10device_ptrItEEEEPS6_NSA_18transform_iteratorINSB_9not_fun_tI7is_trueItEEENSC_INSD_IbEEEENSA_11use_defaultESO_EENS0_5tupleIJNSA_16discard_iteratorISO_EES6_EEENSQ_IJSG_SG_EEES6_PlJS6_EEE10hipError_tPvRmT3_T4_T5_T6_T7_T9_mT8_P12ihipStream_tbDpT10_ENKUlT_T0_E_clISt17integral_constantIbLb1EES1E_IbLb0EEEEDaS1A_S1B_EUlS1A_E_NS1_11comp_targetILNS1_3genE0ELNS1_11target_archE4294967295ELNS1_3gpuE0ELNS1_3repE0EEENS1_30default_config_static_selectorELNS0_4arch9wavefront6targetE0EEEvT1_.uses_vcc, 0
	.set _ZN7rocprim17ROCPRIM_400000_NS6detail17trampoline_kernelINS0_14default_configENS1_25partition_config_selectorILNS1_17partition_subalgoE5EtNS0_10empty_typeEbEEZZNS1_14partition_implILS5_5ELb0ES3_mN6thrust23THRUST_200600_302600_NS6detail15normal_iteratorINSA_10device_ptrItEEEEPS6_NSA_18transform_iteratorINSB_9not_fun_tI7is_trueItEEENSC_INSD_IbEEEENSA_11use_defaultESO_EENS0_5tupleIJNSA_16discard_iteratorISO_EES6_EEENSQ_IJSG_SG_EEES6_PlJS6_EEE10hipError_tPvRmT3_T4_T5_T6_T7_T9_mT8_P12ihipStream_tbDpT10_ENKUlT_T0_E_clISt17integral_constantIbLb1EES1E_IbLb0EEEEDaS1A_S1B_EUlS1A_E_NS1_11comp_targetILNS1_3genE0ELNS1_11target_archE4294967295ELNS1_3gpuE0ELNS1_3repE0EEENS1_30default_config_static_selectorELNS0_4arch9wavefront6targetE0EEEvT1_.uses_flat_scratch, 0
	.set _ZN7rocprim17ROCPRIM_400000_NS6detail17trampoline_kernelINS0_14default_configENS1_25partition_config_selectorILNS1_17partition_subalgoE5EtNS0_10empty_typeEbEEZZNS1_14partition_implILS5_5ELb0ES3_mN6thrust23THRUST_200600_302600_NS6detail15normal_iteratorINSA_10device_ptrItEEEEPS6_NSA_18transform_iteratorINSB_9not_fun_tI7is_trueItEEENSC_INSD_IbEEEENSA_11use_defaultESO_EENS0_5tupleIJNSA_16discard_iteratorISO_EES6_EEENSQ_IJSG_SG_EEES6_PlJS6_EEE10hipError_tPvRmT3_T4_T5_T6_T7_T9_mT8_P12ihipStream_tbDpT10_ENKUlT_T0_E_clISt17integral_constantIbLb1EES1E_IbLb0EEEEDaS1A_S1B_EUlS1A_E_NS1_11comp_targetILNS1_3genE0ELNS1_11target_archE4294967295ELNS1_3gpuE0ELNS1_3repE0EEENS1_30default_config_static_selectorELNS0_4arch9wavefront6targetE0EEEvT1_.has_dyn_sized_stack, 0
	.set _ZN7rocprim17ROCPRIM_400000_NS6detail17trampoline_kernelINS0_14default_configENS1_25partition_config_selectorILNS1_17partition_subalgoE5EtNS0_10empty_typeEbEEZZNS1_14partition_implILS5_5ELb0ES3_mN6thrust23THRUST_200600_302600_NS6detail15normal_iteratorINSA_10device_ptrItEEEEPS6_NSA_18transform_iteratorINSB_9not_fun_tI7is_trueItEEENSC_INSD_IbEEEENSA_11use_defaultESO_EENS0_5tupleIJNSA_16discard_iteratorISO_EES6_EEENSQ_IJSG_SG_EEES6_PlJS6_EEE10hipError_tPvRmT3_T4_T5_T6_T7_T9_mT8_P12ihipStream_tbDpT10_ENKUlT_T0_E_clISt17integral_constantIbLb1EES1E_IbLb0EEEEDaS1A_S1B_EUlS1A_E_NS1_11comp_targetILNS1_3genE0ELNS1_11target_archE4294967295ELNS1_3gpuE0ELNS1_3repE0EEENS1_30default_config_static_selectorELNS0_4arch9wavefront6targetE0EEEvT1_.has_recursion, 0
	.set _ZN7rocprim17ROCPRIM_400000_NS6detail17trampoline_kernelINS0_14default_configENS1_25partition_config_selectorILNS1_17partition_subalgoE5EtNS0_10empty_typeEbEEZZNS1_14partition_implILS5_5ELb0ES3_mN6thrust23THRUST_200600_302600_NS6detail15normal_iteratorINSA_10device_ptrItEEEEPS6_NSA_18transform_iteratorINSB_9not_fun_tI7is_trueItEEENSC_INSD_IbEEEENSA_11use_defaultESO_EENS0_5tupleIJNSA_16discard_iteratorISO_EES6_EEENSQ_IJSG_SG_EEES6_PlJS6_EEE10hipError_tPvRmT3_T4_T5_T6_T7_T9_mT8_P12ihipStream_tbDpT10_ENKUlT_T0_E_clISt17integral_constantIbLb1EES1E_IbLb0EEEEDaS1A_S1B_EUlS1A_E_NS1_11comp_targetILNS1_3genE0ELNS1_11target_archE4294967295ELNS1_3gpuE0ELNS1_3repE0EEENS1_30default_config_static_selectorELNS0_4arch9wavefront6targetE0EEEvT1_.has_indirect_call, 0
	.section	.AMDGPU.csdata,"",@progbits
; Kernel info:
; codeLenInByte = 0
; TotalNumSgprs: 0
; NumVgprs: 0
; ScratchSize: 0
; MemoryBound: 0
; FloatMode: 240
; IeeeMode: 1
; LDSByteSize: 0 bytes/workgroup (compile time only)
; SGPRBlocks: 0
; VGPRBlocks: 0
; NumSGPRsForWavesPerEU: 1
; NumVGPRsForWavesPerEU: 1
; Occupancy: 16
; WaveLimiterHint : 0
; COMPUTE_PGM_RSRC2:SCRATCH_EN: 0
; COMPUTE_PGM_RSRC2:USER_SGPR: 2
; COMPUTE_PGM_RSRC2:TRAP_HANDLER: 0
; COMPUTE_PGM_RSRC2:TGID_X_EN: 1
; COMPUTE_PGM_RSRC2:TGID_Y_EN: 0
; COMPUTE_PGM_RSRC2:TGID_Z_EN: 0
; COMPUTE_PGM_RSRC2:TIDIG_COMP_CNT: 0
	.section	.text._ZN7rocprim17ROCPRIM_400000_NS6detail17trampoline_kernelINS0_14default_configENS1_25partition_config_selectorILNS1_17partition_subalgoE5EtNS0_10empty_typeEbEEZZNS1_14partition_implILS5_5ELb0ES3_mN6thrust23THRUST_200600_302600_NS6detail15normal_iteratorINSA_10device_ptrItEEEEPS6_NSA_18transform_iteratorINSB_9not_fun_tI7is_trueItEEENSC_INSD_IbEEEENSA_11use_defaultESO_EENS0_5tupleIJNSA_16discard_iteratorISO_EES6_EEENSQ_IJSG_SG_EEES6_PlJS6_EEE10hipError_tPvRmT3_T4_T5_T6_T7_T9_mT8_P12ihipStream_tbDpT10_ENKUlT_T0_E_clISt17integral_constantIbLb1EES1E_IbLb0EEEEDaS1A_S1B_EUlS1A_E_NS1_11comp_targetILNS1_3genE5ELNS1_11target_archE942ELNS1_3gpuE9ELNS1_3repE0EEENS1_30default_config_static_selectorELNS0_4arch9wavefront6targetE0EEEvT1_,"axG",@progbits,_ZN7rocprim17ROCPRIM_400000_NS6detail17trampoline_kernelINS0_14default_configENS1_25partition_config_selectorILNS1_17partition_subalgoE5EtNS0_10empty_typeEbEEZZNS1_14partition_implILS5_5ELb0ES3_mN6thrust23THRUST_200600_302600_NS6detail15normal_iteratorINSA_10device_ptrItEEEEPS6_NSA_18transform_iteratorINSB_9not_fun_tI7is_trueItEEENSC_INSD_IbEEEENSA_11use_defaultESO_EENS0_5tupleIJNSA_16discard_iteratorISO_EES6_EEENSQ_IJSG_SG_EEES6_PlJS6_EEE10hipError_tPvRmT3_T4_T5_T6_T7_T9_mT8_P12ihipStream_tbDpT10_ENKUlT_T0_E_clISt17integral_constantIbLb1EES1E_IbLb0EEEEDaS1A_S1B_EUlS1A_E_NS1_11comp_targetILNS1_3genE5ELNS1_11target_archE942ELNS1_3gpuE9ELNS1_3repE0EEENS1_30default_config_static_selectorELNS0_4arch9wavefront6targetE0EEEvT1_,comdat
	.protected	_ZN7rocprim17ROCPRIM_400000_NS6detail17trampoline_kernelINS0_14default_configENS1_25partition_config_selectorILNS1_17partition_subalgoE5EtNS0_10empty_typeEbEEZZNS1_14partition_implILS5_5ELb0ES3_mN6thrust23THRUST_200600_302600_NS6detail15normal_iteratorINSA_10device_ptrItEEEEPS6_NSA_18transform_iteratorINSB_9not_fun_tI7is_trueItEEENSC_INSD_IbEEEENSA_11use_defaultESO_EENS0_5tupleIJNSA_16discard_iteratorISO_EES6_EEENSQ_IJSG_SG_EEES6_PlJS6_EEE10hipError_tPvRmT3_T4_T5_T6_T7_T9_mT8_P12ihipStream_tbDpT10_ENKUlT_T0_E_clISt17integral_constantIbLb1EES1E_IbLb0EEEEDaS1A_S1B_EUlS1A_E_NS1_11comp_targetILNS1_3genE5ELNS1_11target_archE942ELNS1_3gpuE9ELNS1_3repE0EEENS1_30default_config_static_selectorELNS0_4arch9wavefront6targetE0EEEvT1_ ; -- Begin function _ZN7rocprim17ROCPRIM_400000_NS6detail17trampoline_kernelINS0_14default_configENS1_25partition_config_selectorILNS1_17partition_subalgoE5EtNS0_10empty_typeEbEEZZNS1_14partition_implILS5_5ELb0ES3_mN6thrust23THRUST_200600_302600_NS6detail15normal_iteratorINSA_10device_ptrItEEEEPS6_NSA_18transform_iteratorINSB_9not_fun_tI7is_trueItEEENSC_INSD_IbEEEENSA_11use_defaultESO_EENS0_5tupleIJNSA_16discard_iteratorISO_EES6_EEENSQ_IJSG_SG_EEES6_PlJS6_EEE10hipError_tPvRmT3_T4_T5_T6_T7_T9_mT8_P12ihipStream_tbDpT10_ENKUlT_T0_E_clISt17integral_constantIbLb1EES1E_IbLb0EEEEDaS1A_S1B_EUlS1A_E_NS1_11comp_targetILNS1_3genE5ELNS1_11target_archE942ELNS1_3gpuE9ELNS1_3repE0EEENS1_30default_config_static_selectorELNS0_4arch9wavefront6targetE0EEEvT1_
	.globl	_ZN7rocprim17ROCPRIM_400000_NS6detail17trampoline_kernelINS0_14default_configENS1_25partition_config_selectorILNS1_17partition_subalgoE5EtNS0_10empty_typeEbEEZZNS1_14partition_implILS5_5ELb0ES3_mN6thrust23THRUST_200600_302600_NS6detail15normal_iteratorINSA_10device_ptrItEEEEPS6_NSA_18transform_iteratorINSB_9not_fun_tI7is_trueItEEENSC_INSD_IbEEEENSA_11use_defaultESO_EENS0_5tupleIJNSA_16discard_iteratorISO_EES6_EEENSQ_IJSG_SG_EEES6_PlJS6_EEE10hipError_tPvRmT3_T4_T5_T6_T7_T9_mT8_P12ihipStream_tbDpT10_ENKUlT_T0_E_clISt17integral_constantIbLb1EES1E_IbLb0EEEEDaS1A_S1B_EUlS1A_E_NS1_11comp_targetILNS1_3genE5ELNS1_11target_archE942ELNS1_3gpuE9ELNS1_3repE0EEENS1_30default_config_static_selectorELNS0_4arch9wavefront6targetE0EEEvT1_
	.p2align	8
	.type	_ZN7rocprim17ROCPRIM_400000_NS6detail17trampoline_kernelINS0_14default_configENS1_25partition_config_selectorILNS1_17partition_subalgoE5EtNS0_10empty_typeEbEEZZNS1_14partition_implILS5_5ELb0ES3_mN6thrust23THRUST_200600_302600_NS6detail15normal_iteratorINSA_10device_ptrItEEEEPS6_NSA_18transform_iteratorINSB_9not_fun_tI7is_trueItEEENSC_INSD_IbEEEENSA_11use_defaultESO_EENS0_5tupleIJNSA_16discard_iteratorISO_EES6_EEENSQ_IJSG_SG_EEES6_PlJS6_EEE10hipError_tPvRmT3_T4_T5_T6_T7_T9_mT8_P12ihipStream_tbDpT10_ENKUlT_T0_E_clISt17integral_constantIbLb1EES1E_IbLb0EEEEDaS1A_S1B_EUlS1A_E_NS1_11comp_targetILNS1_3genE5ELNS1_11target_archE942ELNS1_3gpuE9ELNS1_3repE0EEENS1_30default_config_static_selectorELNS0_4arch9wavefront6targetE0EEEvT1_,@function
_ZN7rocprim17ROCPRIM_400000_NS6detail17trampoline_kernelINS0_14default_configENS1_25partition_config_selectorILNS1_17partition_subalgoE5EtNS0_10empty_typeEbEEZZNS1_14partition_implILS5_5ELb0ES3_mN6thrust23THRUST_200600_302600_NS6detail15normal_iteratorINSA_10device_ptrItEEEEPS6_NSA_18transform_iteratorINSB_9not_fun_tI7is_trueItEEENSC_INSD_IbEEEENSA_11use_defaultESO_EENS0_5tupleIJNSA_16discard_iteratorISO_EES6_EEENSQ_IJSG_SG_EEES6_PlJS6_EEE10hipError_tPvRmT3_T4_T5_T6_T7_T9_mT8_P12ihipStream_tbDpT10_ENKUlT_T0_E_clISt17integral_constantIbLb1EES1E_IbLb0EEEEDaS1A_S1B_EUlS1A_E_NS1_11comp_targetILNS1_3genE5ELNS1_11target_archE942ELNS1_3gpuE9ELNS1_3repE0EEENS1_30default_config_static_selectorELNS0_4arch9wavefront6targetE0EEEvT1_: ; @_ZN7rocprim17ROCPRIM_400000_NS6detail17trampoline_kernelINS0_14default_configENS1_25partition_config_selectorILNS1_17partition_subalgoE5EtNS0_10empty_typeEbEEZZNS1_14partition_implILS5_5ELb0ES3_mN6thrust23THRUST_200600_302600_NS6detail15normal_iteratorINSA_10device_ptrItEEEEPS6_NSA_18transform_iteratorINSB_9not_fun_tI7is_trueItEEENSC_INSD_IbEEEENSA_11use_defaultESO_EENS0_5tupleIJNSA_16discard_iteratorISO_EES6_EEENSQ_IJSG_SG_EEES6_PlJS6_EEE10hipError_tPvRmT3_T4_T5_T6_T7_T9_mT8_P12ihipStream_tbDpT10_ENKUlT_T0_E_clISt17integral_constantIbLb1EES1E_IbLb0EEEEDaS1A_S1B_EUlS1A_E_NS1_11comp_targetILNS1_3genE5ELNS1_11target_archE942ELNS1_3gpuE9ELNS1_3repE0EEENS1_30default_config_static_selectorELNS0_4arch9wavefront6targetE0EEEvT1_
; %bb.0:
	.section	.rodata,"a",@progbits
	.p2align	6, 0x0
	.amdhsa_kernel _ZN7rocprim17ROCPRIM_400000_NS6detail17trampoline_kernelINS0_14default_configENS1_25partition_config_selectorILNS1_17partition_subalgoE5EtNS0_10empty_typeEbEEZZNS1_14partition_implILS5_5ELb0ES3_mN6thrust23THRUST_200600_302600_NS6detail15normal_iteratorINSA_10device_ptrItEEEEPS6_NSA_18transform_iteratorINSB_9not_fun_tI7is_trueItEEENSC_INSD_IbEEEENSA_11use_defaultESO_EENS0_5tupleIJNSA_16discard_iteratorISO_EES6_EEENSQ_IJSG_SG_EEES6_PlJS6_EEE10hipError_tPvRmT3_T4_T5_T6_T7_T9_mT8_P12ihipStream_tbDpT10_ENKUlT_T0_E_clISt17integral_constantIbLb1EES1E_IbLb0EEEEDaS1A_S1B_EUlS1A_E_NS1_11comp_targetILNS1_3genE5ELNS1_11target_archE942ELNS1_3gpuE9ELNS1_3repE0EEENS1_30default_config_static_selectorELNS0_4arch9wavefront6targetE0EEEvT1_
		.amdhsa_group_segment_fixed_size 0
		.amdhsa_private_segment_fixed_size 0
		.amdhsa_kernarg_size 128
		.amdhsa_user_sgpr_count 2
		.amdhsa_user_sgpr_dispatch_ptr 0
		.amdhsa_user_sgpr_queue_ptr 0
		.amdhsa_user_sgpr_kernarg_segment_ptr 1
		.amdhsa_user_sgpr_dispatch_id 0
		.amdhsa_user_sgpr_private_segment_size 0
		.amdhsa_wavefront_size32 1
		.amdhsa_uses_dynamic_stack 0
		.amdhsa_enable_private_segment 0
		.amdhsa_system_sgpr_workgroup_id_x 1
		.amdhsa_system_sgpr_workgroup_id_y 0
		.amdhsa_system_sgpr_workgroup_id_z 0
		.amdhsa_system_sgpr_workgroup_info 0
		.amdhsa_system_vgpr_workitem_id 0
		.amdhsa_next_free_vgpr 1
		.amdhsa_next_free_sgpr 1
		.amdhsa_reserve_vcc 0
		.amdhsa_float_round_mode_32 0
		.amdhsa_float_round_mode_16_64 0
		.amdhsa_float_denorm_mode_32 3
		.amdhsa_float_denorm_mode_16_64 3
		.amdhsa_fp16_overflow 0
		.amdhsa_workgroup_processor_mode 1
		.amdhsa_memory_ordered 1
		.amdhsa_forward_progress 1
		.amdhsa_inst_pref_size 0
		.amdhsa_round_robin_scheduling 0
		.amdhsa_exception_fp_ieee_invalid_op 0
		.amdhsa_exception_fp_denorm_src 0
		.amdhsa_exception_fp_ieee_div_zero 0
		.amdhsa_exception_fp_ieee_overflow 0
		.amdhsa_exception_fp_ieee_underflow 0
		.amdhsa_exception_fp_ieee_inexact 0
		.amdhsa_exception_int_div_zero 0
	.end_amdhsa_kernel
	.section	.text._ZN7rocprim17ROCPRIM_400000_NS6detail17trampoline_kernelINS0_14default_configENS1_25partition_config_selectorILNS1_17partition_subalgoE5EtNS0_10empty_typeEbEEZZNS1_14partition_implILS5_5ELb0ES3_mN6thrust23THRUST_200600_302600_NS6detail15normal_iteratorINSA_10device_ptrItEEEEPS6_NSA_18transform_iteratorINSB_9not_fun_tI7is_trueItEEENSC_INSD_IbEEEENSA_11use_defaultESO_EENS0_5tupleIJNSA_16discard_iteratorISO_EES6_EEENSQ_IJSG_SG_EEES6_PlJS6_EEE10hipError_tPvRmT3_T4_T5_T6_T7_T9_mT8_P12ihipStream_tbDpT10_ENKUlT_T0_E_clISt17integral_constantIbLb1EES1E_IbLb0EEEEDaS1A_S1B_EUlS1A_E_NS1_11comp_targetILNS1_3genE5ELNS1_11target_archE942ELNS1_3gpuE9ELNS1_3repE0EEENS1_30default_config_static_selectorELNS0_4arch9wavefront6targetE0EEEvT1_,"axG",@progbits,_ZN7rocprim17ROCPRIM_400000_NS6detail17trampoline_kernelINS0_14default_configENS1_25partition_config_selectorILNS1_17partition_subalgoE5EtNS0_10empty_typeEbEEZZNS1_14partition_implILS5_5ELb0ES3_mN6thrust23THRUST_200600_302600_NS6detail15normal_iteratorINSA_10device_ptrItEEEEPS6_NSA_18transform_iteratorINSB_9not_fun_tI7is_trueItEEENSC_INSD_IbEEEENSA_11use_defaultESO_EENS0_5tupleIJNSA_16discard_iteratorISO_EES6_EEENSQ_IJSG_SG_EEES6_PlJS6_EEE10hipError_tPvRmT3_T4_T5_T6_T7_T9_mT8_P12ihipStream_tbDpT10_ENKUlT_T0_E_clISt17integral_constantIbLb1EES1E_IbLb0EEEEDaS1A_S1B_EUlS1A_E_NS1_11comp_targetILNS1_3genE5ELNS1_11target_archE942ELNS1_3gpuE9ELNS1_3repE0EEENS1_30default_config_static_selectorELNS0_4arch9wavefront6targetE0EEEvT1_,comdat
.Lfunc_end2734:
	.size	_ZN7rocprim17ROCPRIM_400000_NS6detail17trampoline_kernelINS0_14default_configENS1_25partition_config_selectorILNS1_17partition_subalgoE5EtNS0_10empty_typeEbEEZZNS1_14partition_implILS5_5ELb0ES3_mN6thrust23THRUST_200600_302600_NS6detail15normal_iteratorINSA_10device_ptrItEEEEPS6_NSA_18transform_iteratorINSB_9not_fun_tI7is_trueItEEENSC_INSD_IbEEEENSA_11use_defaultESO_EENS0_5tupleIJNSA_16discard_iteratorISO_EES6_EEENSQ_IJSG_SG_EEES6_PlJS6_EEE10hipError_tPvRmT3_T4_T5_T6_T7_T9_mT8_P12ihipStream_tbDpT10_ENKUlT_T0_E_clISt17integral_constantIbLb1EES1E_IbLb0EEEEDaS1A_S1B_EUlS1A_E_NS1_11comp_targetILNS1_3genE5ELNS1_11target_archE942ELNS1_3gpuE9ELNS1_3repE0EEENS1_30default_config_static_selectorELNS0_4arch9wavefront6targetE0EEEvT1_, .Lfunc_end2734-_ZN7rocprim17ROCPRIM_400000_NS6detail17trampoline_kernelINS0_14default_configENS1_25partition_config_selectorILNS1_17partition_subalgoE5EtNS0_10empty_typeEbEEZZNS1_14partition_implILS5_5ELb0ES3_mN6thrust23THRUST_200600_302600_NS6detail15normal_iteratorINSA_10device_ptrItEEEEPS6_NSA_18transform_iteratorINSB_9not_fun_tI7is_trueItEEENSC_INSD_IbEEEENSA_11use_defaultESO_EENS0_5tupleIJNSA_16discard_iteratorISO_EES6_EEENSQ_IJSG_SG_EEES6_PlJS6_EEE10hipError_tPvRmT3_T4_T5_T6_T7_T9_mT8_P12ihipStream_tbDpT10_ENKUlT_T0_E_clISt17integral_constantIbLb1EES1E_IbLb0EEEEDaS1A_S1B_EUlS1A_E_NS1_11comp_targetILNS1_3genE5ELNS1_11target_archE942ELNS1_3gpuE9ELNS1_3repE0EEENS1_30default_config_static_selectorELNS0_4arch9wavefront6targetE0EEEvT1_
                                        ; -- End function
	.set _ZN7rocprim17ROCPRIM_400000_NS6detail17trampoline_kernelINS0_14default_configENS1_25partition_config_selectorILNS1_17partition_subalgoE5EtNS0_10empty_typeEbEEZZNS1_14partition_implILS5_5ELb0ES3_mN6thrust23THRUST_200600_302600_NS6detail15normal_iteratorINSA_10device_ptrItEEEEPS6_NSA_18transform_iteratorINSB_9not_fun_tI7is_trueItEEENSC_INSD_IbEEEENSA_11use_defaultESO_EENS0_5tupleIJNSA_16discard_iteratorISO_EES6_EEENSQ_IJSG_SG_EEES6_PlJS6_EEE10hipError_tPvRmT3_T4_T5_T6_T7_T9_mT8_P12ihipStream_tbDpT10_ENKUlT_T0_E_clISt17integral_constantIbLb1EES1E_IbLb0EEEEDaS1A_S1B_EUlS1A_E_NS1_11comp_targetILNS1_3genE5ELNS1_11target_archE942ELNS1_3gpuE9ELNS1_3repE0EEENS1_30default_config_static_selectorELNS0_4arch9wavefront6targetE0EEEvT1_.num_vgpr, 0
	.set _ZN7rocprim17ROCPRIM_400000_NS6detail17trampoline_kernelINS0_14default_configENS1_25partition_config_selectorILNS1_17partition_subalgoE5EtNS0_10empty_typeEbEEZZNS1_14partition_implILS5_5ELb0ES3_mN6thrust23THRUST_200600_302600_NS6detail15normal_iteratorINSA_10device_ptrItEEEEPS6_NSA_18transform_iteratorINSB_9not_fun_tI7is_trueItEEENSC_INSD_IbEEEENSA_11use_defaultESO_EENS0_5tupleIJNSA_16discard_iteratorISO_EES6_EEENSQ_IJSG_SG_EEES6_PlJS6_EEE10hipError_tPvRmT3_T4_T5_T6_T7_T9_mT8_P12ihipStream_tbDpT10_ENKUlT_T0_E_clISt17integral_constantIbLb1EES1E_IbLb0EEEEDaS1A_S1B_EUlS1A_E_NS1_11comp_targetILNS1_3genE5ELNS1_11target_archE942ELNS1_3gpuE9ELNS1_3repE0EEENS1_30default_config_static_selectorELNS0_4arch9wavefront6targetE0EEEvT1_.num_agpr, 0
	.set _ZN7rocprim17ROCPRIM_400000_NS6detail17trampoline_kernelINS0_14default_configENS1_25partition_config_selectorILNS1_17partition_subalgoE5EtNS0_10empty_typeEbEEZZNS1_14partition_implILS5_5ELb0ES3_mN6thrust23THRUST_200600_302600_NS6detail15normal_iteratorINSA_10device_ptrItEEEEPS6_NSA_18transform_iteratorINSB_9not_fun_tI7is_trueItEEENSC_INSD_IbEEEENSA_11use_defaultESO_EENS0_5tupleIJNSA_16discard_iteratorISO_EES6_EEENSQ_IJSG_SG_EEES6_PlJS6_EEE10hipError_tPvRmT3_T4_T5_T6_T7_T9_mT8_P12ihipStream_tbDpT10_ENKUlT_T0_E_clISt17integral_constantIbLb1EES1E_IbLb0EEEEDaS1A_S1B_EUlS1A_E_NS1_11comp_targetILNS1_3genE5ELNS1_11target_archE942ELNS1_3gpuE9ELNS1_3repE0EEENS1_30default_config_static_selectorELNS0_4arch9wavefront6targetE0EEEvT1_.numbered_sgpr, 0
	.set _ZN7rocprim17ROCPRIM_400000_NS6detail17trampoline_kernelINS0_14default_configENS1_25partition_config_selectorILNS1_17partition_subalgoE5EtNS0_10empty_typeEbEEZZNS1_14partition_implILS5_5ELb0ES3_mN6thrust23THRUST_200600_302600_NS6detail15normal_iteratorINSA_10device_ptrItEEEEPS6_NSA_18transform_iteratorINSB_9not_fun_tI7is_trueItEEENSC_INSD_IbEEEENSA_11use_defaultESO_EENS0_5tupleIJNSA_16discard_iteratorISO_EES6_EEENSQ_IJSG_SG_EEES6_PlJS6_EEE10hipError_tPvRmT3_T4_T5_T6_T7_T9_mT8_P12ihipStream_tbDpT10_ENKUlT_T0_E_clISt17integral_constantIbLb1EES1E_IbLb0EEEEDaS1A_S1B_EUlS1A_E_NS1_11comp_targetILNS1_3genE5ELNS1_11target_archE942ELNS1_3gpuE9ELNS1_3repE0EEENS1_30default_config_static_selectorELNS0_4arch9wavefront6targetE0EEEvT1_.num_named_barrier, 0
	.set _ZN7rocprim17ROCPRIM_400000_NS6detail17trampoline_kernelINS0_14default_configENS1_25partition_config_selectorILNS1_17partition_subalgoE5EtNS0_10empty_typeEbEEZZNS1_14partition_implILS5_5ELb0ES3_mN6thrust23THRUST_200600_302600_NS6detail15normal_iteratorINSA_10device_ptrItEEEEPS6_NSA_18transform_iteratorINSB_9not_fun_tI7is_trueItEEENSC_INSD_IbEEEENSA_11use_defaultESO_EENS0_5tupleIJNSA_16discard_iteratorISO_EES6_EEENSQ_IJSG_SG_EEES6_PlJS6_EEE10hipError_tPvRmT3_T4_T5_T6_T7_T9_mT8_P12ihipStream_tbDpT10_ENKUlT_T0_E_clISt17integral_constantIbLb1EES1E_IbLb0EEEEDaS1A_S1B_EUlS1A_E_NS1_11comp_targetILNS1_3genE5ELNS1_11target_archE942ELNS1_3gpuE9ELNS1_3repE0EEENS1_30default_config_static_selectorELNS0_4arch9wavefront6targetE0EEEvT1_.private_seg_size, 0
	.set _ZN7rocprim17ROCPRIM_400000_NS6detail17trampoline_kernelINS0_14default_configENS1_25partition_config_selectorILNS1_17partition_subalgoE5EtNS0_10empty_typeEbEEZZNS1_14partition_implILS5_5ELb0ES3_mN6thrust23THRUST_200600_302600_NS6detail15normal_iteratorINSA_10device_ptrItEEEEPS6_NSA_18transform_iteratorINSB_9not_fun_tI7is_trueItEEENSC_INSD_IbEEEENSA_11use_defaultESO_EENS0_5tupleIJNSA_16discard_iteratorISO_EES6_EEENSQ_IJSG_SG_EEES6_PlJS6_EEE10hipError_tPvRmT3_T4_T5_T6_T7_T9_mT8_P12ihipStream_tbDpT10_ENKUlT_T0_E_clISt17integral_constantIbLb1EES1E_IbLb0EEEEDaS1A_S1B_EUlS1A_E_NS1_11comp_targetILNS1_3genE5ELNS1_11target_archE942ELNS1_3gpuE9ELNS1_3repE0EEENS1_30default_config_static_selectorELNS0_4arch9wavefront6targetE0EEEvT1_.uses_vcc, 0
	.set _ZN7rocprim17ROCPRIM_400000_NS6detail17trampoline_kernelINS0_14default_configENS1_25partition_config_selectorILNS1_17partition_subalgoE5EtNS0_10empty_typeEbEEZZNS1_14partition_implILS5_5ELb0ES3_mN6thrust23THRUST_200600_302600_NS6detail15normal_iteratorINSA_10device_ptrItEEEEPS6_NSA_18transform_iteratorINSB_9not_fun_tI7is_trueItEEENSC_INSD_IbEEEENSA_11use_defaultESO_EENS0_5tupleIJNSA_16discard_iteratorISO_EES6_EEENSQ_IJSG_SG_EEES6_PlJS6_EEE10hipError_tPvRmT3_T4_T5_T6_T7_T9_mT8_P12ihipStream_tbDpT10_ENKUlT_T0_E_clISt17integral_constantIbLb1EES1E_IbLb0EEEEDaS1A_S1B_EUlS1A_E_NS1_11comp_targetILNS1_3genE5ELNS1_11target_archE942ELNS1_3gpuE9ELNS1_3repE0EEENS1_30default_config_static_selectorELNS0_4arch9wavefront6targetE0EEEvT1_.uses_flat_scratch, 0
	.set _ZN7rocprim17ROCPRIM_400000_NS6detail17trampoline_kernelINS0_14default_configENS1_25partition_config_selectorILNS1_17partition_subalgoE5EtNS0_10empty_typeEbEEZZNS1_14partition_implILS5_5ELb0ES3_mN6thrust23THRUST_200600_302600_NS6detail15normal_iteratorINSA_10device_ptrItEEEEPS6_NSA_18transform_iteratorINSB_9not_fun_tI7is_trueItEEENSC_INSD_IbEEEENSA_11use_defaultESO_EENS0_5tupleIJNSA_16discard_iteratorISO_EES6_EEENSQ_IJSG_SG_EEES6_PlJS6_EEE10hipError_tPvRmT3_T4_T5_T6_T7_T9_mT8_P12ihipStream_tbDpT10_ENKUlT_T0_E_clISt17integral_constantIbLb1EES1E_IbLb0EEEEDaS1A_S1B_EUlS1A_E_NS1_11comp_targetILNS1_3genE5ELNS1_11target_archE942ELNS1_3gpuE9ELNS1_3repE0EEENS1_30default_config_static_selectorELNS0_4arch9wavefront6targetE0EEEvT1_.has_dyn_sized_stack, 0
	.set _ZN7rocprim17ROCPRIM_400000_NS6detail17trampoline_kernelINS0_14default_configENS1_25partition_config_selectorILNS1_17partition_subalgoE5EtNS0_10empty_typeEbEEZZNS1_14partition_implILS5_5ELb0ES3_mN6thrust23THRUST_200600_302600_NS6detail15normal_iteratorINSA_10device_ptrItEEEEPS6_NSA_18transform_iteratorINSB_9not_fun_tI7is_trueItEEENSC_INSD_IbEEEENSA_11use_defaultESO_EENS0_5tupleIJNSA_16discard_iteratorISO_EES6_EEENSQ_IJSG_SG_EEES6_PlJS6_EEE10hipError_tPvRmT3_T4_T5_T6_T7_T9_mT8_P12ihipStream_tbDpT10_ENKUlT_T0_E_clISt17integral_constantIbLb1EES1E_IbLb0EEEEDaS1A_S1B_EUlS1A_E_NS1_11comp_targetILNS1_3genE5ELNS1_11target_archE942ELNS1_3gpuE9ELNS1_3repE0EEENS1_30default_config_static_selectorELNS0_4arch9wavefront6targetE0EEEvT1_.has_recursion, 0
	.set _ZN7rocprim17ROCPRIM_400000_NS6detail17trampoline_kernelINS0_14default_configENS1_25partition_config_selectorILNS1_17partition_subalgoE5EtNS0_10empty_typeEbEEZZNS1_14partition_implILS5_5ELb0ES3_mN6thrust23THRUST_200600_302600_NS6detail15normal_iteratorINSA_10device_ptrItEEEEPS6_NSA_18transform_iteratorINSB_9not_fun_tI7is_trueItEEENSC_INSD_IbEEEENSA_11use_defaultESO_EENS0_5tupleIJNSA_16discard_iteratorISO_EES6_EEENSQ_IJSG_SG_EEES6_PlJS6_EEE10hipError_tPvRmT3_T4_T5_T6_T7_T9_mT8_P12ihipStream_tbDpT10_ENKUlT_T0_E_clISt17integral_constantIbLb1EES1E_IbLb0EEEEDaS1A_S1B_EUlS1A_E_NS1_11comp_targetILNS1_3genE5ELNS1_11target_archE942ELNS1_3gpuE9ELNS1_3repE0EEENS1_30default_config_static_selectorELNS0_4arch9wavefront6targetE0EEEvT1_.has_indirect_call, 0
	.section	.AMDGPU.csdata,"",@progbits
; Kernel info:
; codeLenInByte = 0
; TotalNumSgprs: 0
; NumVgprs: 0
; ScratchSize: 0
; MemoryBound: 0
; FloatMode: 240
; IeeeMode: 1
; LDSByteSize: 0 bytes/workgroup (compile time only)
; SGPRBlocks: 0
; VGPRBlocks: 0
; NumSGPRsForWavesPerEU: 1
; NumVGPRsForWavesPerEU: 1
; Occupancy: 16
; WaveLimiterHint : 0
; COMPUTE_PGM_RSRC2:SCRATCH_EN: 0
; COMPUTE_PGM_RSRC2:USER_SGPR: 2
; COMPUTE_PGM_RSRC2:TRAP_HANDLER: 0
; COMPUTE_PGM_RSRC2:TGID_X_EN: 1
; COMPUTE_PGM_RSRC2:TGID_Y_EN: 0
; COMPUTE_PGM_RSRC2:TGID_Z_EN: 0
; COMPUTE_PGM_RSRC2:TIDIG_COMP_CNT: 0
	.section	.text._ZN7rocprim17ROCPRIM_400000_NS6detail17trampoline_kernelINS0_14default_configENS1_25partition_config_selectorILNS1_17partition_subalgoE5EtNS0_10empty_typeEbEEZZNS1_14partition_implILS5_5ELb0ES3_mN6thrust23THRUST_200600_302600_NS6detail15normal_iteratorINSA_10device_ptrItEEEEPS6_NSA_18transform_iteratorINSB_9not_fun_tI7is_trueItEEENSC_INSD_IbEEEENSA_11use_defaultESO_EENS0_5tupleIJNSA_16discard_iteratorISO_EES6_EEENSQ_IJSG_SG_EEES6_PlJS6_EEE10hipError_tPvRmT3_T4_T5_T6_T7_T9_mT8_P12ihipStream_tbDpT10_ENKUlT_T0_E_clISt17integral_constantIbLb1EES1E_IbLb0EEEEDaS1A_S1B_EUlS1A_E_NS1_11comp_targetILNS1_3genE4ELNS1_11target_archE910ELNS1_3gpuE8ELNS1_3repE0EEENS1_30default_config_static_selectorELNS0_4arch9wavefront6targetE0EEEvT1_,"axG",@progbits,_ZN7rocprim17ROCPRIM_400000_NS6detail17trampoline_kernelINS0_14default_configENS1_25partition_config_selectorILNS1_17partition_subalgoE5EtNS0_10empty_typeEbEEZZNS1_14partition_implILS5_5ELb0ES3_mN6thrust23THRUST_200600_302600_NS6detail15normal_iteratorINSA_10device_ptrItEEEEPS6_NSA_18transform_iteratorINSB_9not_fun_tI7is_trueItEEENSC_INSD_IbEEEENSA_11use_defaultESO_EENS0_5tupleIJNSA_16discard_iteratorISO_EES6_EEENSQ_IJSG_SG_EEES6_PlJS6_EEE10hipError_tPvRmT3_T4_T5_T6_T7_T9_mT8_P12ihipStream_tbDpT10_ENKUlT_T0_E_clISt17integral_constantIbLb1EES1E_IbLb0EEEEDaS1A_S1B_EUlS1A_E_NS1_11comp_targetILNS1_3genE4ELNS1_11target_archE910ELNS1_3gpuE8ELNS1_3repE0EEENS1_30default_config_static_selectorELNS0_4arch9wavefront6targetE0EEEvT1_,comdat
	.protected	_ZN7rocprim17ROCPRIM_400000_NS6detail17trampoline_kernelINS0_14default_configENS1_25partition_config_selectorILNS1_17partition_subalgoE5EtNS0_10empty_typeEbEEZZNS1_14partition_implILS5_5ELb0ES3_mN6thrust23THRUST_200600_302600_NS6detail15normal_iteratorINSA_10device_ptrItEEEEPS6_NSA_18transform_iteratorINSB_9not_fun_tI7is_trueItEEENSC_INSD_IbEEEENSA_11use_defaultESO_EENS0_5tupleIJNSA_16discard_iteratorISO_EES6_EEENSQ_IJSG_SG_EEES6_PlJS6_EEE10hipError_tPvRmT3_T4_T5_T6_T7_T9_mT8_P12ihipStream_tbDpT10_ENKUlT_T0_E_clISt17integral_constantIbLb1EES1E_IbLb0EEEEDaS1A_S1B_EUlS1A_E_NS1_11comp_targetILNS1_3genE4ELNS1_11target_archE910ELNS1_3gpuE8ELNS1_3repE0EEENS1_30default_config_static_selectorELNS0_4arch9wavefront6targetE0EEEvT1_ ; -- Begin function _ZN7rocprim17ROCPRIM_400000_NS6detail17trampoline_kernelINS0_14default_configENS1_25partition_config_selectorILNS1_17partition_subalgoE5EtNS0_10empty_typeEbEEZZNS1_14partition_implILS5_5ELb0ES3_mN6thrust23THRUST_200600_302600_NS6detail15normal_iteratorINSA_10device_ptrItEEEEPS6_NSA_18transform_iteratorINSB_9not_fun_tI7is_trueItEEENSC_INSD_IbEEEENSA_11use_defaultESO_EENS0_5tupleIJNSA_16discard_iteratorISO_EES6_EEENSQ_IJSG_SG_EEES6_PlJS6_EEE10hipError_tPvRmT3_T4_T5_T6_T7_T9_mT8_P12ihipStream_tbDpT10_ENKUlT_T0_E_clISt17integral_constantIbLb1EES1E_IbLb0EEEEDaS1A_S1B_EUlS1A_E_NS1_11comp_targetILNS1_3genE4ELNS1_11target_archE910ELNS1_3gpuE8ELNS1_3repE0EEENS1_30default_config_static_selectorELNS0_4arch9wavefront6targetE0EEEvT1_
	.globl	_ZN7rocprim17ROCPRIM_400000_NS6detail17trampoline_kernelINS0_14default_configENS1_25partition_config_selectorILNS1_17partition_subalgoE5EtNS0_10empty_typeEbEEZZNS1_14partition_implILS5_5ELb0ES3_mN6thrust23THRUST_200600_302600_NS6detail15normal_iteratorINSA_10device_ptrItEEEEPS6_NSA_18transform_iteratorINSB_9not_fun_tI7is_trueItEEENSC_INSD_IbEEEENSA_11use_defaultESO_EENS0_5tupleIJNSA_16discard_iteratorISO_EES6_EEENSQ_IJSG_SG_EEES6_PlJS6_EEE10hipError_tPvRmT3_T4_T5_T6_T7_T9_mT8_P12ihipStream_tbDpT10_ENKUlT_T0_E_clISt17integral_constantIbLb1EES1E_IbLb0EEEEDaS1A_S1B_EUlS1A_E_NS1_11comp_targetILNS1_3genE4ELNS1_11target_archE910ELNS1_3gpuE8ELNS1_3repE0EEENS1_30default_config_static_selectorELNS0_4arch9wavefront6targetE0EEEvT1_
	.p2align	8
	.type	_ZN7rocprim17ROCPRIM_400000_NS6detail17trampoline_kernelINS0_14default_configENS1_25partition_config_selectorILNS1_17partition_subalgoE5EtNS0_10empty_typeEbEEZZNS1_14partition_implILS5_5ELb0ES3_mN6thrust23THRUST_200600_302600_NS6detail15normal_iteratorINSA_10device_ptrItEEEEPS6_NSA_18transform_iteratorINSB_9not_fun_tI7is_trueItEEENSC_INSD_IbEEEENSA_11use_defaultESO_EENS0_5tupleIJNSA_16discard_iteratorISO_EES6_EEENSQ_IJSG_SG_EEES6_PlJS6_EEE10hipError_tPvRmT3_T4_T5_T6_T7_T9_mT8_P12ihipStream_tbDpT10_ENKUlT_T0_E_clISt17integral_constantIbLb1EES1E_IbLb0EEEEDaS1A_S1B_EUlS1A_E_NS1_11comp_targetILNS1_3genE4ELNS1_11target_archE910ELNS1_3gpuE8ELNS1_3repE0EEENS1_30default_config_static_selectorELNS0_4arch9wavefront6targetE0EEEvT1_,@function
_ZN7rocprim17ROCPRIM_400000_NS6detail17trampoline_kernelINS0_14default_configENS1_25partition_config_selectorILNS1_17partition_subalgoE5EtNS0_10empty_typeEbEEZZNS1_14partition_implILS5_5ELb0ES3_mN6thrust23THRUST_200600_302600_NS6detail15normal_iteratorINSA_10device_ptrItEEEEPS6_NSA_18transform_iteratorINSB_9not_fun_tI7is_trueItEEENSC_INSD_IbEEEENSA_11use_defaultESO_EENS0_5tupleIJNSA_16discard_iteratorISO_EES6_EEENSQ_IJSG_SG_EEES6_PlJS6_EEE10hipError_tPvRmT3_T4_T5_T6_T7_T9_mT8_P12ihipStream_tbDpT10_ENKUlT_T0_E_clISt17integral_constantIbLb1EES1E_IbLb0EEEEDaS1A_S1B_EUlS1A_E_NS1_11comp_targetILNS1_3genE4ELNS1_11target_archE910ELNS1_3gpuE8ELNS1_3repE0EEENS1_30default_config_static_selectorELNS0_4arch9wavefront6targetE0EEEvT1_: ; @_ZN7rocprim17ROCPRIM_400000_NS6detail17trampoline_kernelINS0_14default_configENS1_25partition_config_selectorILNS1_17partition_subalgoE5EtNS0_10empty_typeEbEEZZNS1_14partition_implILS5_5ELb0ES3_mN6thrust23THRUST_200600_302600_NS6detail15normal_iteratorINSA_10device_ptrItEEEEPS6_NSA_18transform_iteratorINSB_9not_fun_tI7is_trueItEEENSC_INSD_IbEEEENSA_11use_defaultESO_EENS0_5tupleIJNSA_16discard_iteratorISO_EES6_EEENSQ_IJSG_SG_EEES6_PlJS6_EEE10hipError_tPvRmT3_T4_T5_T6_T7_T9_mT8_P12ihipStream_tbDpT10_ENKUlT_T0_E_clISt17integral_constantIbLb1EES1E_IbLb0EEEEDaS1A_S1B_EUlS1A_E_NS1_11comp_targetILNS1_3genE4ELNS1_11target_archE910ELNS1_3gpuE8ELNS1_3repE0EEENS1_30default_config_static_selectorELNS0_4arch9wavefront6targetE0EEEvT1_
; %bb.0:
	.section	.rodata,"a",@progbits
	.p2align	6, 0x0
	.amdhsa_kernel _ZN7rocprim17ROCPRIM_400000_NS6detail17trampoline_kernelINS0_14default_configENS1_25partition_config_selectorILNS1_17partition_subalgoE5EtNS0_10empty_typeEbEEZZNS1_14partition_implILS5_5ELb0ES3_mN6thrust23THRUST_200600_302600_NS6detail15normal_iteratorINSA_10device_ptrItEEEEPS6_NSA_18transform_iteratorINSB_9not_fun_tI7is_trueItEEENSC_INSD_IbEEEENSA_11use_defaultESO_EENS0_5tupleIJNSA_16discard_iteratorISO_EES6_EEENSQ_IJSG_SG_EEES6_PlJS6_EEE10hipError_tPvRmT3_T4_T5_T6_T7_T9_mT8_P12ihipStream_tbDpT10_ENKUlT_T0_E_clISt17integral_constantIbLb1EES1E_IbLb0EEEEDaS1A_S1B_EUlS1A_E_NS1_11comp_targetILNS1_3genE4ELNS1_11target_archE910ELNS1_3gpuE8ELNS1_3repE0EEENS1_30default_config_static_selectorELNS0_4arch9wavefront6targetE0EEEvT1_
		.amdhsa_group_segment_fixed_size 0
		.amdhsa_private_segment_fixed_size 0
		.amdhsa_kernarg_size 128
		.amdhsa_user_sgpr_count 2
		.amdhsa_user_sgpr_dispatch_ptr 0
		.amdhsa_user_sgpr_queue_ptr 0
		.amdhsa_user_sgpr_kernarg_segment_ptr 1
		.amdhsa_user_sgpr_dispatch_id 0
		.amdhsa_user_sgpr_private_segment_size 0
		.amdhsa_wavefront_size32 1
		.amdhsa_uses_dynamic_stack 0
		.amdhsa_enable_private_segment 0
		.amdhsa_system_sgpr_workgroup_id_x 1
		.amdhsa_system_sgpr_workgroup_id_y 0
		.amdhsa_system_sgpr_workgroup_id_z 0
		.amdhsa_system_sgpr_workgroup_info 0
		.amdhsa_system_vgpr_workitem_id 0
		.amdhsa_next_free_vgpr 1
		.amdhsa_next_free_sgpr 1
		.amdhsa_reserve_vcc 0
		.amdhsa_float_round_mode_32 0
		.amdhsa_float_round_mode_16_64 0
		.amdhsa_float_denorm_mode_32 3
		.amdhsa_float_denorm_mode_16_64 3
		.amdhsa_fp16_overflow 0
		.amdhsa_workgroup_processor_mode 1
		.amdhsa_memory_ordered 1
		.amdhsa_forward_progress 1
		.amdhsa_inst_pref_size 0
		.amdhsa_round_robin_scheduling 0
		.amdhsa_exception_fp_ieee_invalid_op 0
		.amdhsa_exception_fp_denorm_src 0
		.amdhsa_exception_fp_ieee_div_zero 0
		.amdhsa_exception_fp_ieee_overflow 0
		.amdhsa_exception_fp_ieee_underflow 0
		.amdhsa_exception_fp_ieee_inexact 0
		.amdhsa_exception_int_div_zero 0
	.end_amdhsa_kernel
	.section	.text._ZN7rocprim17ROCPRIM_400000_NS6detail17trampoline_kernelINS0_14default_configENS1_25partition_config_selectorILNS1_17partition_subalgoE5EtNS0_10empty_typeEbEEZZNS1_14partition_implILS5_5ELb0ES3_mN6thrust23THRUST_200600_302600_NS6detail15normal_iteratorINSA_10device_ptrItEEEEPS6_NSA_18transform_iteratorINSB_9not_fun_tI7is_trueItEEENSC_INSD_IbEEEENSA_11use_defaultESO_EENS0_5tupleIJNSA_16discard_iteratorISO_EES6_EEENSQ_IJSG_SG_EEES6_PlJS6_EEE10hipError_tPvRmT3_T4_T5_T6_T7_T9_mT8_P12ihipStream_tbDpT10_ENKUlT_T0_E_clISt17integral_constantIbLb1EES1E_IbLb0EEEEDaS1A_S1B_EUlS1A_E_NS1_11comp_targetILNS1_3genE4ELNS1_11target_archE910ELNS1_3gpuE8ELNS1_3repE0EEENS1_30default_config_static_selectorELNS0_4arch9wavefront6targetE0EEEvT1_,"axG",@progbits,_ZN7rocprim17ROCPRIM_400000_NS6detail17trampoline_kernelINS0_14default_configENS1_25partition_config_selectorILNS1_17partition_subalgoE5EtNS0_10empty_typeEbEEZZNS1_14partition_implILS5_5ELb0ES3_mN6thrust23THRUST_200600_302600_NS6detail15normal_iteratorINSA_10device_ptrItEEEEPS6_NSA_18transform_iteratorINSB_9not_fun_tI7is_trueItEEENSC_INSD_IbEEEENSA_11use_defaultESO_EENS0_5tupleIJNSA_16discard_iteratorISO_EES6_EEENSQ_IJSG_SG_EEES6_PlJS6_EEE10hipError_tPvRmT3_T4_T5_T6_T7_T9_mT8_P12ihipStream_tbDpT10_ENKUlT_T0_E_clISt17integral_constantIbLb1EES1E_IbLb0EEEEDaS1A_S1B_EUlS1A_E_NS1_11comp_targetILNS1_3genE4ELNS1_11target_archE910ELNS1_3gpuE8ELNS1_3repE0EEENS1_30default_config_static_selectorELNS0_4arch9wavefront6targetE0EEEvT1_,comdat
.Lfunc_end2735:
	.size	_ZN7rocprim17ROCPRIM_400000_NS6detail17trampoline_kernelINS0_14default_configENS1_25partition_config_selectorILNS1_17partition_subalgoE5EtNS0_10empty_typeEbEEZZNS1_14partition_implILS5_5ELb0ES3_mN6thrust23THRUST_200600_302600_NS6detail15normal_iteratorINSA_10device_ptrItEEEEPS6_NSA_18transform_iteratorINSB_9not_fun_tI7is_trueItEEENSC_INSD_IbEEEENSA_11use_defaultESO_EENS0_5tupleIJNSA_16discard_iteratorISO_EES6_EEENSQ_IJSG_SG_EEES6_PlJS6_EEE10hipError_tPvRmT3_T4_T5_T6_T7_T9_mT8_P12ihipStream_tbDpT10_ENKUlT_T0_E_clISt17integral_constantIbLb1EES1E_IbLb0EEEEDaS1A_S1B_EUlS1A_E_NS1_11comp_targetILNS1_3genE4ELNS1_11target_archE910ELNS1_3gpuE8ELNS1_3repE0EEENS1_30default_config_static_selectorELNS0_4arch9wavefront6targetE0EEEvT1_, .Lfunc_end2735-_ZN7rocprim17ROCPRIM_400000_NS6detail17trampoline_kernelINS0_14default_configENS1_25partition_config_selectorILNS1_17partition_subalgoE5EtNS0_10empty_typeEbEEZZNS1_14partition_implILS5_5ELb0ES3_mN6thrust23THRUST_200600_302600_NS6detail15normal_iteratorINSA_10device_ptrItEEEEPS6_NSA_18transform_iteratorINSB_9not_fun_tI7is_trueItEEENSC_INSD_IbEEEENSA_11use_defaultESO_EENS0_5tupleIJNSA_16discard_iteratorISO_EES6_EEENSQ_IJSG_SG_EEES6_PlJS6_EEE10hipError_tPvRmT3_T4_T5_T6_T7_T9_mT8_P12ihipStream_tbDpT10_ENKUlT_T0_E_clISt17integral_constantIbLb1EES1E_IbLb0EEEEDaS1A_S1B_EUlS1A_E_NS1_11comp_targetILNS1_3genE4ELNS1_11target_archE910ELNS1_3gpuE8ELNS1_3repE0EEENS1_30default_config_static_selectorELNS0_4arch9wavefront6targetE0EEEvT1_
                                        ; -- End function
	.set _ZN7rocprim17ROCPRIM_400000_NS6detail17trampoline_kernelINS0_14default_configENS1_25partition_config_selectorILNS1_17partition_subalgoE5EtNS0_10empty_typeEbEEZZNS1_14partition_implILS5_5ELb0ES3_mN6thrust23THRUST_200600_302600_NS6detail15normal_iteratorINSA_10device_ptrItEEEEPS6_NSA_18transform_iteratorINSB_9not_fun_tI7is_trueItEEENSC_INSD_IbEEEENSA_11use_defaultESO_EENS0_5tupleIJNSA_16discard_iteratorISO_EES6_EEENSQ_IJSG_SG_EEES6_PlJS6_EEE10hipError_tPvRmT3_T4_T5_T6_T7_T9_mT8_P12ihipStream_tbDpT10_ENKUlT_T0_E_clISt17integral_constantIbLb1EES1E_IbLb0EEEEDaS1A_S1B_EUlS1A_E_NS1_11comp_targetILNS1_3genE4ELNS1_11target_archE910ELNS1_3gpuE8ELNS1_3repE0EEENS1_30default_config_static_selectorELNS0_4arch9wavefront6targetE0EEEvT1_.num_vgpr, 0
	.set _ZN7rocprim17ROCPRIM_400000_NS6detail17trampoline_kernelINS0_14default_configENS1_25partition_config_selectorILNS1_17partition_subalgoE5EtNS0_10empty_typeEbEEZZNS1_14partition_implILS5_5ELb0ES3_mN6thrust23THRUST_200600_302600_NS6detail15normal_iteratorINSA_10device_ptrItEEEEPS6_NSA_18transform_iteratorINSB_9not_fun_tI7is_trueItEEENSC_INSD_IbEEEENSA_11use_defaultESO_EENS0_5tupleIJNSA_16discard_iteratorISO_EES6_EEENSQ_IJSG_SG_EEES6_PlJS6_EEE10hipError_tPvRmT3_T4_T5_T6_T7_T9_mT8_P12ihipStream_tbDpT10_ENKUlT_T0_E_clISt17integral_constantIbLb1EES1E_IbLb0EEEEDaS1A_S1B_EUlS1A_E_NS1_11comp_targetILNS1_3genE4ELNS1_11target_archE910ELNS1_3gpuE8ELNS1_3repE0EEENS1_30default_config_static_selectorELNS0_4arch9wavefront6targetE0EEEvT1_.num_agpr, 0
	.set _ZN7rocprim17ROCPRIM_400000_NS6detail17trampoline_kernelINS0_14default_configENS1_25partition_config_selectorILNS1_17partition_subalgoE5EtNS0_10empty_typeEbEEZZNS1_14partition_implILS5_5ELb0ES3_mN6thrust23THRUST_200600_302600_NS6detail15normal_iteratorINSA_10device_ptrItEEEEPS6_NSA_18transform_iteratorINSB_9not_fun_tI7is_trueItEEENSC_INSD_IbEEEENSA_11use_defaultESO_EENS0_5tupleIJNSA_16discard_iteratorISO_EES6_EEENSQ_IJSG_SG_EEES6_PlJS6_EEE10hipError_tPvRmT3_T4_T5_T6_T7_T9_mT8_P12ihipStream_tbDpT10_ENKUlT_T0_E_clISt17integral_constantIbLb1EES1E_IbLb0EEEEDaS1A_S1B_EUlS1A_E_NS1_11comp_targetILNS1_3genE4ELNS1_11target_archE910ELNS1_3gpuE8ELNS1_3repE0EEENS1_30default_config_static_selectorELNS0_4arch9wavefront6targetE0EEEvT1_.numbered_sgpr, 0
	.set _ZN7rocprim17ROCPRIM_400000_NS6detail17trampoline_kernelINS0_14default_configENS1_25partition_config_selectorILNS1_17partition_subalgoE5EtNS0_10empty_typeEbEEZZNS1_14partition_implILS5_5ELb0ES3_mN6thrust23THRUST_200600_302600_NS6detail15normal_iteratorINSA_10device_ptrItEEEEPS6_NSA_18transform_iteratorINSB_9not_fun_tI7is_trueItEEENSC_INSD_IbEEEENSA_11use_defaultESO_EENS0_5tupleIJNSA_16discard_iteratorISO_EES6_EEENSQ_IJSG_SG_EEES6_PlJS6_EEE10hipError_tPvRmT3_T4_T5_T6_T7_T9_mT8_P12ihipStream_tbDpT10_ENKUlT_T0_E_clISt17integral_constantIbLb1EES1E_IbLb0EEEEDaS1A_S1B_EUlS1A_E_NS1_11comp_targetILNS1_3genE4ELNS1_11target_archE910ELNS1_3gpuE8ELNS1_3repE0EEENS1_30default_config_static_selectorELNS0_4arch9wavefront6targetE0EEEvT1_.num_named_barrier, 0
	.set _ZN7rocprim17ROCPRIM_400000_NS6detail17trampoline_kernelINS0_14default_configENS1_25partition_config_selectorILNS1_17partition_subalgoE5EtNS0_10empty_typeEbEEZZNS1_14partition_implILS5_5ELb0ES3_mN6thrust23THRUST_200600_302600_NS6detail15normal_iteratorINSA_10device_ptrItEEEEPS6_NSA_18transform_iteratorINSB_9not_fun_tI7is_trueItEEENSC_INSD_IbEEEENSA_11use_defaultESO_EENS0_5tupleIJNSA_16discard_iteratorISO_EES6_EEENSQ_IJSG_SG_EEES6_PlJS6_EEE10hipError_tPvRmT3_T4_T5_T6_T7_T9_mT8_P12ihipStream_tbDpT10_ENKUlT_T0_E_clISt17integral_constantIbLb1EES1E_IbLb0EEEEDaS1A_S1B_EUlS1A_E_NS1_11comp_targetILNS1_3genE4ELNS1_11target_archE910ELNS1_3gpuE8ELNS1_3repE0EEENS1_30default_config_static_selectorELNS0_4arch9wavefront6targetE0EEEvT1_.private_seg_size, 0
	.set _ZN7rocprim17ROCPRIM_400000_NS6detail17trampoline_kernelINS0_14default_configENS1_25partition_config_selectorILNS1_17partition_subalgoE5EtNS0_10empty_typeEbEEZZNS1_14partition_implILS5_5ELb0ES3_mN6thrust23THRUST_200600_302600_NS6detail15normal_iteratorINSA_10device_ptrItEEEEPS6_NSA_18transform_iteratorINSB_9not_fun_tI7is_trueItEEENSC_INSD_IbEEEENSA_11use_defaultESO_EENS0_5tupleIJNSA_16discard_iteratorISO_EES6_EEENSQ_IJSG_SG_EEES6_PlJS6_EEE10hipError_tPvRmT3_T4_T5_T6_T7_T9_mT8_P12ihipStream_tbDpT10_ENKUlT_T0_E_clISt17integral_constantIbLb1EES1E_IbLb0EEEEDaS1A_S1B_EUlS1A_E_NS1_11comp_targetILNS1_3genE4ELNS1_11target_archE910ELNS1_3gpuE8ELNS1_3repE0EEENS1_30default_config_static_selectorELNS0_4arch9wavefront6targetE0EEEvT1_.uses_vcc, 0
	.set _ZN7rocprim17ROCPRIM_400000_NS6detail17trampoline_kernelINS0_14default_configENS1_25partition_config_selectorILNS1_17partition_subalgoE5EtNS0_10empty_typeEbEEZZNS1_14partition_implILS5_5ELb0ES3_mN6thrust23THRUST_200600_302600_NS6detail15normal_iteratorINSA_10device_ptrItEEEEPS6_NSA_18transform_iteratorINSB_9not_fun_tI7is_trueItEEENSC_INSD_IbEEEENSA_11use_defaultESO_EENS0_5tupleIJNSA_16discard_iteratorISO_EES6_EEENSQ_IJSG_SG_EEES6_PlJS6_EEE10hipError_tPvRmT3_T4_T5_T6_T7_T9_mT8_P12ihipStream_tbDpT10_ENKUlT_T0_E_clISt17integral_constantIbLb1EES1E_IbLb0EEEEDaS1A_S1B_EUlS1A_E_NS1_11comp_targetILNS1_3genE4ELNS1_11target_archE910ELNS1_3gpuE8ELNS1_3repE0EEENS1_30default_config_static_selectorELNS0_4arch9wavefront6targetE0EEEvT1_.uses_flat_scratch, 0
	.set _ZN7rocprim17ROCPRIM_400000_NS6detail17trampoline_kernelINS0_14default_configENS1_25partition_config_selectorILNS1_17partition_subalgoE5EtNS0_10empty_typeEbEEZZNS1_14partition_implILS5_5ELb0ES3_mN6thrust23THRUST_200600_302600_NS6detail15normal_iteratorINSA_10device_ptrItEEEEPS6_NSA_18transform_iteratorINSB_9not_fun_tI7is_trueItEEENSC_INSD_IbEEEENSA_11use_defaultESO_EENS0_5tupleIJNSA_16discard_iteratorISO_EES6_EEENSQ_IJSG_SG_EEES6_PlJS6_EEE10hipError_tPvRmT3_T4_T5_T6_T7_T9_mT8_P12ihipStream_tbDpT10_ENKUlT_T0_E_clISt17integral_constantIbLb1EES1E_IbLb0EEEEDaS1A_S1B_EUlS1A_E_NS1_11comp_targetILNS1_3genE4ELNS1_11target_archE910ELNS1_3gpuE8ELNS1_3repE0EEENS1_30default_config_static_selectorELNS0_4arch9wavefront6targetE0EEEvT1_.has_dyn_sized_stack, 0
	.set _ZN7rocprim17ROCPRIM_400000_NS6detail17trampoline_kernelINS0_14default_configENS1_25partition_config_selectorILNS1_17partition_subalgoE5EtNS0_10empty_typeEbEEZZNS1_14partition_implILS5_5ELb0ES3_mN6thrust23THRUST_200600_302600_NS6detail15normal_iteratorINSA_10device_ptrItEEEEPS6_NSA_18transform_iteratorINSB_9not_fun_tI7is_trueItEEENSC_INSD_IbEEEENSA_11use_defaultESO_EENS0_5tupleIJNSA_16discard_iteratorISO_EES6_EEENSQ_IJSG_SG_EEES6_PlJS6_EEE10hipError_tPvRmT3_T4_T5_T6_T7_T9_mT8_P12ihipStream_tbDpT10_ENKUlT_T0_E_clISt17integral_constantIbLb1EES1E_IbLb0EEEEDaS1A_S1B_EUlS1A_E_NS1_11comp_targetILNS1_3genE4ELNS1_11target_archE910ELNS1_3gpuE8ELNS1_3repE0EEENS1_30default_config_static_selectorELNS0_4arch9wavefront6targetE0EEEvT1_.has_recursion, 0
	.set _ZN7rocprim17ROCPRIM_400000_NS6detail17trampoline_kernelINS0_14default_configENS1_25partition_config_selectorILNS1_17partition_subalgoE5EtNS0_10empty_typeEbEEZZNS1_14partition_implILS5_5ELb0ES3_mN6thrust23THRUST_200600_302600_NS6detail15normal_iteratorINSA_10device_ptrItEEEEPS6_NSA_18transform_iteratorINSB_9not_fun_tI7is_trueItEEENSC_INSD_IbEEEENSA_11use_defaultESO_EENS0_5tupleIJNSA_16discard_iteratorISO_EES6_EEENSQ_IJSG_SG_EEES6_PlJS6_EEE10hipError_tPvRmT3_T4_T5_T6_T7_T9_mT8_P12ihipStream_tbDpT10_ENKUlT_T0_E_clISt17integral_constantIbLb1EES1E_IbLb0EEEEDaS1A_S1B_EUlS1A_E_NS1_11comp_targetILNS1_3genE4ELNS1_11target_archE910ELNS1_3gpuE8ELNS1_3repE0EEENS1_30default_config_static_selectorELNS0_4arch9wavefront6targetE0EEEvT1_.has_indirect_call, 0
	.section	.AMDGPU.csdata,"",@progbits
; Kernel info:
; codeLenInByte = 0
; TotalNumSgprs: 0
; NumVgprs: 0
; ScratchSize: 0
; MemoryBound: 0
; FloatMode: 240
; IeeeMode: 1
; LDSByteSize: 0 bytes/workgroup (compile time only)
; SGPRBlocks: 0
; VGPRBlocks: 0
; NumSGPRsForWavesPerEU: 1
; NumVGPRsForWavesPerEU: 1
; Occupancy: 16
; WaveLimiterHint : 0
; COMPUTE_PGM_RSRC2:SCRATCH_EN: 0
; COMPUTE_PGM_RSRC2:USER_SGPR: 2
; COMPUTE_PGM_RSRC2:TRAP_HANDLER: 0
; COMPUTE_PGM_RSRC2:TGID_X_EN: 1
; COMPUTE_PGM_RSRC2:TGID_Y_EN: 0
; COMPUTE_PGM_RSRC2:TGID_Z_EN: 0
; COMPUTE_PGM_RSRC2:TIDIG_COMP_CNT: 0
	.section	.text._ZN7rocprim17ROCPRIM_400000_NS6detail17trampoline_kernelINS0_14default_configENS1_25partition_config_selectorILNS1_17partition_subalgoE5EtNS0_10empty_typeEbEEZZNS1_14partition_implILS5_5ELb0ES3_mN6thrust23THRUST_200600_302600_NS6detail15normal_iteratorINSA_10device_ptrItEEEEPS6_NSA_18transform_iteratorINSB_9not_fun_tI7is_trueItEEENSC_INSD_IbEEEENSA_11use_defaultESO_EENS0_5tupleIJNSA_16discard_iteratorISO_EES6_EEENSQ_IJSG_SG_EEES6_PlJS6_EEE10hipError_tPvRmT3_T4_T5_T6_T7_T9_mT8_P12ihipStream_tbDpT10_ENKUlT_T0_E_clISt17integral_constantIbLb1EES1E_IbLb0EEEEDaS1A_S1B_EUlS1A_E_NS1_11comp_targetILNS1_3genE3ELNS1_11target_archE908ELNS1_3gpuE7ELNS1_3repE0EEENS1_30default_config_static_selectorELNS0_4arch9wavefront6targetE0EEEvT1_,"axG",@progbits,_ZN7rocprim17ROCPRIM_400000_NS6detail17trampoline_kernelINS0_14default_configENS1_25partition_config_selectorILNS1_17partition_subalgoE5EtNS0_10empty_typeEbEEZZNS1_14partition_implILS5_5ELb0ES3_mN6thrust23THRUST_200600_302600_NS6detail15normal_iteratorINSA_10device_ptrItEEEEPS6_NSA_18transform_iteratorINSB_9not_fun_tI7is_trueItEEENSC_INSD_IbEEEENSA_11use_defaultESO_EENS0_5tupleIJNSA_16discard_iteratorISO_EES6_EEENSQ_IJSG_SG_EEES6_PlJS6_EEE10hipError_tPvRmT3_T4_T5_T6_T7_T9_mT8_P12ihipStream_tbDpT10_ENKUlT_T0_E_clISt17integral_constantIbLb1EES1E_IbLb0EEEEDaS1A_S1B_EUlS1A_E_NS1_11comp_targetILNS1_3genE3ELNS1_11target_archE908ELNS1_3gpuE7ELNS1_3repE0EEENS1_30default_config_static_selectorELNS0_4arch9wavefront6targetE0EEEvT1_,comdat
	.protected	_ZN7rocprim17ROCPRIM_400000_NS6detail17trampoline_kernelINS0_14default_configENS1_25partition_config_selectorILNS1_17partition_subalgoE5EtNS0_10empty_typeEbEEZZNS1_14partition_implILS5_5ELb0ES3_mN6thrust23THRUST_200600_302600_NS6detail15normal_iteratorINSA_10device_ptrItEEEEPS6_NSA_18transform_iteratorINSB_9not_fun_tI7is_trueItEEENSC_INSD_IbEEEENSA_11use_defaultESO_EENS0_5tupleIJNSA_16discard_iteratorISO_EES6_EEENSQ_IJSG_SG_EEES6_PlJS6_EEE10hipError_tPvRmT3_T4_T5_T6_T7_T9_mT8_P12ihipStream_tbDpT10_ENKUlT_T0_E_clISt17integral_constantIbLb1EES1E_IbLb0EEEEDaS1A_S1B_EUlS1A_E_NS1_11comp_targetILNS1_3genE3ELNS1_11target_archE908ELNS1_3gpuE7ELNS1_3repE0EEENS1_30default_config_static_selectorELNS0_4arch9wavefront6targetE0EEEvT1_ ; -- Begin function _ZN7rocprim17ROCPRIM_400000_NS6detail17trampoline_kernelINS0_14default_configENS1_25partition_config_selectorILNS1_17partition_subalgoE5EtNS0_10empty_typeEbEEZZNS1_14partition_implILS5_5ELb0ES3_mN6thrust23THRUST_200600_302600_NS6detail15normal_iteratorINSA_10device_ptrItEEEEPS6_NSA_18transform_iteratorINSB_9not_fun_tI7is_trueItEEENSC_INSD_IbEEEENSA_11use_defaultESO_EENS0_5tupleIJNSA_16discard_iteratorISO_EES6_EEENSQ_IJSG_SG_EEES6_PlJS6_EEE10hipError_tPvRmT3_T4_T5_T6_T7_T9_mT8_P12ihipStream_tbDpT10_ENKUlT_T0_E_clISt17integral_constantIbLb1EES1E_IbLb0EEEEDaS1A_S1B_EUlS1A_E_NS1_11comp_targetILNS1_3genE3ELNS1_11target_archE908ELNS1_3gpuE7ELNS1_3repE0EEENS1_30default_config_static_selectorELNS0_4arch9wavefront6targetE0EEEvT1_
	.globl	_ZN7rocprim17ROCPRIM_400000_NS6detail17trampoline_kernelINS0_14default_configENS1_25partition_config_selectorILNS1_17partition_subalgoE5EtNS0_10empty_typeEbEEZZNS1_14partition_implILS5_5ELb0ES3_mN6thrust23THRUST_200600_302600_NS6detail15normal_iteratorINSA_10device_ptrItEEEEPS6_NSA_18transform_iteratorINSB_9not_fun_tI7is_trueItEEENSC_INSD_IbEEEENSA_11use_defaultESO_EENS0_5tupleIJNSA_16discard_iteratorISO_EES6_EEENSQ_IJSG_SG_EEES6_PlJS6_EEE10hipError_tPvRmT3_T4_T5_T6_T7_T9_mT8_P12ihipStream_tbDpT10_ENKUlT_T0_E_clISt17integral_constantIbLb1EES1E_IbLb0EEEEDaS1A_S1B_EUlS1A_E_NS1_11comp_targetILNS1_3genE3ELNS1_11target_archE908ELNS1_3gpuE7ELNS1_3repE0EEENS1_30default_config_static_selectorELNS0_4arch9wavefront6targetE0EEEvT1_
	.p2align	8
	.type	_ZN7rocprim17ROCPRIM_400000_NS6detail17trampoline_kernelINS0_14default_configENS1_25partition_config_selectorILNS1_17partition_subalgoE5EtNS0_10empty_typeEbEEZZNS1_14partition_implILS5_5ELb0ES3_mN6thrust23THRUST_200600_302600_NS6detail15normal_iteratorINSA_10device_ptrItEEEEPS6_NSA_18transform_iteratorINSB_9not_fun_tI7is_trueItEEENSC_INSD_IbEEEENSA_11use_defaultESO_EENS0_5tupleIJNSA_16discard_iteratorISO_EES6_EEENSQ_IJSG_SG_EEES6_PlJS6_EEE10hipError_tPvRmT3_T4_T5_T6_T7_T9_mT8_P12ihipStream_tbDpT10_ENKUlT_T0_E_clISt17integral_constantIbLb1EES1E_IbLb0EEEEDaS1A_S1B_EUlS1A_E_NS1_11comp_targetILNS1_3genE3ELNS1_11target_archE908ELNS1_3gpuE7ELNS1_3repE0EEENS1_30default_config_static_selectorELNS0_4arch9wavefront6targetE0EEEvT1_,@function
_ZN7rocprim17ROCPRIM_400000_NS6detail17trampoline_kernelINS0_14default_configENS1_25partition_config_selectorILNS1_17partition_subalgoE5EtNS0_10empty_typeEbEEZZNS1_14partition_implILS5_5ELb0ES3_mN6thrust23THRUST_200600_302600_NS6detail15normal_iteratorINSA_10device_ptrItEEEEPS6_NSA_18transform_iteratorINSB_9not_fun_tI7is_trueItEEENSC_INSD_IbEEEENSA_11use_defaultESO_EENS0_5tupleIJNSA_16discard_iteratorISO_EES6_EEENSQ_IJSG_SG_EEES6_PlJS6_EEE10hipError_tPvRmT3_T4_T5_T6_T7_T9_mT8_P12ihipStream_tbDpT10_ENKUlT_T0_E_clISt17integral_constantIbLb1EES1E_IbLb0EEEEDaS1A_S1B_EUlS1A_E_NS1_11comp_targetILNS1_3genE3ELNS1_11target_archE908ELNS1_3gpuE7ELNS1_3repE0EEENS1_30default_config_static_selectorELNS0_4arch9wavefront6targetE0EEEvT1_: ; @_ZN7rocprim17ROCPRIM_400000_NS6detail17trampoline_kernelINS0_14default_configENS1_25partition_config_selectorILNS1_17partition_subalgoE5EtNS0_10empty_typeEbEEZZNS1_14partition_implILS5_5ELb0ES3_mN6thrust23THRUST_200600_302600_NS6detail15normal_iteratorINSA_10device_ptrItEEEEPS6_NSA_18transform_iteratorINSB_9not_fun_tI7is_trueItEEENSC_INSD_IbEEEENSA_11use_defaultESO_EENS0_5tupleIJNSA_16discard_iteratorISO_EES6_EEENSQ_IJSG_SG_EEES6_PlJS6_EEE10hipError_tPvRmT3_T4_T5_T6_T7_T9_mT8_P12ihipStream_tbDpT10_ENKUlT_T0_E_clISt17integral_constantIbLb1EES1E_IbLb0EEEEDaS1A_S1B_EUlS1A_E_NS1_11comp_targetILNS1_3genE3ELNS1_11target_archE908ELNS1_3gpuE7ELNS1_3repE0EEENS1_30default_config_static_selectorELNS0_4arch9wavefront6targetE0EEEvT1_
; %bb.0:
	.section	.rodata,"a",@progbits
	.p2align	6, 0x0
	.amdhsa_kernel _ZN7rocprim17ROCPRIM_400000_NS6detail17trampoline_kernelINS0_14default_configENS1_25partition_config_selectorILNS1_17partition_subalgoE5EtNS0_10empty_typeEbEEZZNS1_14partition_implILS5_5ELb0ES3_mN6thrust23THRUST_200600_302600_NS6detail15normal_iteratorINSA_10device_ptrItEEEEPS6_NSA_18transform_iteratorINSB_9not_fun_tI7is_trueItEEENSC_INSD_IbEEEENSA_11use_defaultESO_EENS0_5tupleIJNSA_16discard_iteratorISO_EES6_EEENSQ_IJSG_SG_EEES6_PlJS6_EEE10hipError_tPvRmT3_T4_T5_T6_T7_T9_mT8_P12ihipStream_tbDpT10_ENKUlT_T0_E_clISt17integral_constantIbLb1EES1E_IbLb0EEEEDaS1A_S1B_EUlS1A_E_NS1_11comp_targetILNS1_3genE3ELNS1_11target_archE908ELNS1_3gpuE7ELNS1_3repE0EEENS1_30default_config_static_selectorELNS0_4arch9wavefront6targetE0EEEvT1_
		.amdhsa_group_segment_fixed_size 0
		.amdhsa_private_segment_fixed_size 0
		.amdhsa_kernarg_size 128
		.amdhsa_user_sgpr_count 2
		.amdhsa_user_sgpr_dispatch_ptr 0
		.amdhsa_user_sgpr_queue_ptr 0
		.amdhsa_user_sgpr_kernarg_segment_ptr 1
		.amdhsa_user_sgpr_dispatch_id 0
		.amdhsa_user_sgpr_private_segment_size 0
		.amdhsa_wavefront_size32 1
		.amdhsa_uses_dynamic_stack 0
		.amdhsa_enable_private_segment 0
		.amdhsa_system_sgpr_workgroup_id_x 1
		.amdhsa_system_sgpr_workgroup_id_y 0
		.amdhsa_system_sgpr_workgroup_id_z 0
		.amdhsa_system_sgpr_workgroup_info 0
		.amdhsa_system_vgpr_workitem_id 0
		.amdhsa_next_free_vgpr 1
		.amdhsa_next_free_sgpr 1
		.amdhsa_reserve_vcc 0
		.amdhsa_float_round_mode_32 0
		.amdhsa_float_round_mode_16_64 0
		.amdhsa_float_denorm_mode_32 3
		.amdhsa_float_denorm_mode_16_64 3
		.amdhsa_fp16_overflow 0
		.amdhsa_workgroup_processor_mode 1
		.amdhsa_memory_ordered 1
		.amdhsa_forward_progress 1
		.amdhsa_inst_pref_size 0
		.amdhsa_round_robin_scheduling 0
		.amdhsa_exception_fp_ieee_invalid_op 0
		.amdhsa_exception_fp_denorm_src 0
		.amdhsa_exception_fp_ieee_div_zero 0
		.amdhsa_exception_fp_ieee_overflow 0
		.amdhsa_exception_fp_ieee_underflow 0
		.amdhsa_exception_fp_ieee_inexact 0
		.amdhsa_exception_int_div_zero 0
	.end_amdhsa_kernel
	.section	.text._ZN7rocprim17ROCPRIM_400000_NS6detail17trampoline_kernelINS0_14default_configENS1_25partition_config_selectorILNS1_17partition_subalgoE5EtNS0_10empty_typeEbEEZZNS1_14partition_implILS5_5ELb0ES3_mN6thrust23THRUST_200600_302600_NS6detail15normal_iteratorINSA_10device_ptrItEEEEPS6_NSA_18transform_iteratorINSB_9not_fun_tI7is_trueItEEENSC_INSD_IbEEEENSA_11use_defaultESO_EENS0_5tupleIJNSA_16discard_iteratorISO_EES6_EEENSQ_IJSG_SG_EEES6_PlJS6_EEE10hipError_tPvRmT3_T4_T5_T6_T7_T9_mT8_P12ihipStream_tbDpT10_ENKUlT_T0_E_clISt17integral_constantIbLb1EES1E_IbLb0EEEEDaS1A_S1B_EUlS1A_E_NS1_11comp_targetILNS1_3genE3ELNS1_11target_archE908ELNS1_3gpuE7ELNS1_3repE0EEENS1_30default_config_static_selectorELNS0_4arch9wavefront6targetE0EEEvT1_,"axG",@progbits,_ZN7rocprim17ROCPRIM_400000_NS6detail17trampoline_kernelINS0_14default_configENS1_25partition_config_selectorILNS1_17partition_subalgoE5EtNS0_10empty_typeEbEEZZNS1_14partition_implILS5_5ELb0ES3_mN6thrust23THRUST_200600_302600_NS6detail15normal_iteratorINSA_10device_ptrItEEEEPS6_NSA_18transform_iteratorINSB_9not_fun_tI7is_trueItEEENSC_INSD_IbEEEENSA_11use_defaultESO_EENS0_5tupleIJNSA_16discard_iteratorISO_EES6_EEENSQ_IJSG_SG_EEES6_PlJS6_EEE10hipError_tPvRmT3_T4_T5_T6_T7_T9_mT8_P12ihipStream_tbDpT10_ENKUlT_T0_E_clISt17integral_constantIbLb1EES1E_IbLb0EEEEDaS1A_S1B_EUlS1A_E_NS1_11comp_targetILNS1_3genE3ELNS1_11target_archE908ELNS1_3gpuE7ELNS1_3repE0EEENS1_30default_config_static_selectorELNS0_4arch9wavefront6targetE0EEEvT1_,comdat
.Lfunc_end2736:
	.size	_ZN7rocprim17ROCPRIM_400000_NS6detail17trampoline_kernelINS0_14default_configENS1_25partition_config_selectorILNS1_17partition_subalgoE5EtNS0_10empty_typeEbEEZZNS1_14partition_implILS5_5ELb0ES3_mN6thrust23THRUST_200600_302600_NS6detail15normal_iteratorINSA_10device_ptrItEEEEPS6_NSA_18transform_iteratorINSB_9not_fun_tI7is_trueItEEENSC_INSD_IbEEEENSA_11use_defaultESO_EENS0_5tupleIJNSA_16discard_iteratorISO_EES6_EEENSQ_IJSG_SG_EEES6_PlJS6_EEE10hipError_tPvRmT3_T4_T5_T6_T7_T9_mT8_P12ihipStream_tbDpT10_ENKUlT_T0_E_clISt17integral_constantIbLb1EES1E_IbLb0EEEEDaS1A_S1B_EUlS1A_E_NS1_11comp_targetILNS1_3genE3ELNS1_11target_archE908ELNS1_3gpuE7ELNS1_3repE0EEENS1_30default_config_static_selectorELNS0_4arch9wavefront6targetE0EEEvT1_, .Lfunc_end2736-_ZN7rocprim17ROCPRIM_400000_NS6detail17trampoline_kernelINS0_14default_configENS1_25partition_config_selectorILNS1_17partition_subalgoE5EtNS0_10empty_typeEbEEZZNS1_14partition_implILS5_5ELb0ES3_mN6thrust23THRUST_200600_302600_NS6detail15normal_iteratorINSA_10device_ptrItEEEEPS6_NSA_18transform_iteratorINSB_9not_fun_tI7is_trueItEEENSC_INSD_IbEEEENSA_11use_defaultESO_EENS0_5tupleIJNSA_16discard_iteratorISO_EES6_EEENSQ_IJSG_SG_EEES6_PlJS6_EEE10hipError_tPvRmT3_T4_T5_T6_T7_T9_mT8_P12ihipStream_tbDpT10_ENKUlT_T0_E_clISt17integral_constantIbLb1EES1E_IbLb0EEEEDaS1A_S1B_EUlS1A_E_NS1_11comp_targetILNS1_3genE3ELNS1_11target_archE908ELNS1_3gpuE7ELNS1_3repE0EEENS1_30default_config_static_selectorELNS0_4arch9wavefront6targetE0EEEvT1_
                                        ; -- End function
	.set _ZN7rocprim17ROCPRIM_400000_NS6detail17trampoline_kernelINS0_14default_configENS1_25partition_config_selectorILNS1_17partition_subalgoE5EtNS0_10empty_typeEbEEZZNS1_14partition_implILS5_5ELb0ES3_mN6thrust23THRUST_200600_302600_NS6detail15normal_iteratorINSA_10device_ptrItEEEEPS6_NSA_18transform_iteratorINSB_9not_fun_tI7is_trueItEEENSC_INSD_IbEEEENSA_11use_defaultESO_EENS0_5tupleIJNSA_16discard_iteratorISO_EES6_EEENSQ_IJSG_SG_EEES6_PlJS6_EEE10hipError_tPvRmT3_T4_T5_T6_T7_T9_mT8_P12ihipStream_tbDpT10_ENKUlT_T0_E_clISt17integral_constantIbLb1EES1E_IbLb0EEEEDaS1A_S1B_EUlS1A_E_NS1_11comp_targetILNS1_3genE3ELNS1_11target_archE908ELNS1_3gpuE7ELNS1_3repE0EEENS1_30default_config_static_selectorELNS0_4arch9wavefront6targetE0EEEvT1_.num_vgpr, 0
	.set _ZN7rocprim17ROCPRIM_400000_NS6detail17trampoline_kernelINS0_14default_configENS1_25partition_config_selectorILNS1_17partition_subalgoE5EtNS0_10empty_typeEbEEZZNS1_14partition_implILS5_5ELb0ES3_mN6thrust23THRUST_200600_302600_NS6detail15normal_iteratorINSA_10device_ptrItEEEEPS6_NSA_18transform_iteratorINSB_9not_fun_tI7is_trueItEEENSC_INSD_IbEEEENSA_11use_defaultESO_EENS0_5tupleIJNSA_16discard_iteratorISO_EES6_EEENSQ_IJSG_SG_EEES6_PlJS6_EEE10hipError_tPvRmT3_T4_T5_T6_T7_T9_mT8_P12ihipStream_tbDpT10_ENKUlT_T0_E_clISt17integral_constantIbLb1EES1E_IbLb0EEEEDaS1A_S1B_EUlS1A_E_NS1_11comp_targetILNS1_3genE3ELNS1_11target_archE908ELNS1_3gpuE7ELNS1_3repE0EEENS1_30default_config_static_selectorELNS0_4arch9wavefront6targetE0EEEvT1_.num_agpr, 0
	.set _ZN7rocprim17ROCPRIM_400000_NS6detail17trampoline_kernelINS0_14default_configENS1_25partition_config_selectorILNS1_17partition_subalgoE5EtNS0_10empty_typeEbEEZZNS1_14partition_implILS5_5ELb0ES3_mN6thrust23THRUST_200600_302600_NS6detail15normal_iteratorINSA_10device_ptrItEEEEPS6_NSA_18transform_iteratorINSB_9not_fun_tI7is_trueItEEENSC_INSD_IbEEEENSA_11use_defaultESO_EENS0_5tupleIJNSA_16discard_iteratorISO_EES6_EEENSQ_IJSG_SG_EEES6_PlJS6_EEE10hipError_tPvRmT3_T4_T5_T6_T7_T9_mT8_P12ihipStream_tbDpT10_ENKUlT_T0_E_clISt17integral_constantIbLb1EES1E_IbLb0EEEEDaS1A_S1B_EUlS1A_E_NS1_11comp_targetILNS1_3genE3ELNS1_11target_archE908ELNS1_3gpuE7ELNS1_3repE0EEENS1_30default_config_static_selectorELNS0_4arch9wavefront6targetE0EEEvT1_.numbered_sgpr, 0
	.set _ZN7rocprim17ROCPRIM_400000_NS6detail17trampoline_kernelINS0_14default_configENS1_25partition_config_selectorILNS1_17partition_subalgoE5EtNS0_10empty_typeEbEEZZNS1_14partition_implILS5_5ELb0ES3_mN6thrust23THRUST_200600_302600_NS6detail15normal_iteratorINSA_10device_ptrItEEEEPS6_NSA_18transform_iteratorINSB_9not_fun_tI7is_trueItEEENSC_INSD_IbEEEENSA_11use_defaultESO_EENS0_5tupleIJNSA_16discard_iteratorISO_EES6_EEENSQ_IJSG_SG_EEES6_PlJS6_EEE10hipError_tPvRmT3_T4_T5_T6_T7_T9_mT8_P12ihipStream_tbDpT10_ENKUlT_T0_E_clISt17integral_constantIbLb1EES1E_IbLb0EEEEDaS1A_S1B_EUlS1A_E_NS1_11comp_targetILNS1_3genE3ELNS1_11target_archE908ELNS1_3gpuE7ELNS1_3repE0EEENS1_30default_config_static_selectorELNS0_4arch9wavefront6targetE0EEEvT1_.num_named_barrier, 0
	.set _ZN7rocprim17ROCPRIM_400000_NS6detail17trampoline_kernelINS0_14default_configENS1_25partition_config_selectorILNS1_17partition_subalgoE5EtNS0_10empty_typeEbEEZZNS1_14partition_implILS5_5ELb0ES3_mN6thrust23THRUST_200600_302600_NS6detail15normal_iteratorINSA_10device_ptrItEEEEPS6_NSA_18transform_iteratorINSB_9not_fun_tI7is_trueItEEENSC_INSD_IbEEEENSA_11use_defaultESO_EENS0_5tupleIJNSA_16discard_iteratorISO_EES6_EEENSQ_IJSG_SG_EEES6_PlJS6_EEE10hipError_tPvRmT3_T4_T5_T6_T7_T9_mT8_P12ihipStream_tbDpT10_ENKUlT_T0_E_clISt17integral_constantIbLb1EES1E_IbLb0EEEEDaS1A_S1B_EUlS1A_E_NS1_11comp_targetILNS1_3genE3ELNS1_11target_archE908ELNS1_3gpuE7ELNS1_3repE0EEENS1_30default_config_static_selectorELNS0_4arch9wavefront6targetE0EEEvT1_.private_seg_size, 0
	.set _ZN7rocprim17ROCPRIM_400000_NS6detail17trampoline_kernelINS0_14default_configENS1_25partition_config_selectorILNS1_17partition_subalgoE5EtNS0_10empty_typeEbEEZZNS1_14partition_implILS5_5ELb0ES3_mN6thrust23THRUST_200600_302600_NS6detail15normal_iteratorINSA_10device_ptrItEEEEPS6_NSA_18transform_iteratorINSB_9not_fun_tI7is_trueItEEENSC_INSD_IbEEEENSA_11use_defaultESO_EENS0_5tupleIJNSA_16discard_iteratorISO_EES6_EEENSQ_IJSG_SG_EEES6_PlJS6_EEE10hipError_tPvRmT3_T4_T5_T6_T7_T9_mT8_P12ihipStream_tbDpT10_ENKUlT_T0_E_clISt17integral_constantIbLb1EES1E_IbLb0EEEEDaS1A_S1B_EUlS1A_E_NS1_11comp_targetILNS1_3genE3ELNS1_11target_archE908ELNS1_3gpuE7ELNS1_3repE0EEENS1_30default_config_static_selectorELNS0_4arch9wavefront6targetE0EEEvT1_.uses_vcc, 0
	.set _ZN7rocprim17ROCPRIM_400000_NS6detail17trampoline_kernelINS0_14default_configENS1_25partition_config_selectorILNS1_17partition_subalgoE5EtNS0_10empty_typeEbEEZZNS1_14partition_implILS5_5ELb0ES3_mN6thrust23THRUST_200600_302600_NS6detail15normal_iteratorINSA_10device_ptrItEEEEPS6_NSA_18transform_iteratorINSB_9not_fun_tI7is_trueItEEENSC_INSD_IbEEEENSA_11use_defaultESO_EENS0_5tupleIJNSA_16discard_iteratorISO_EES6_EEENSQ_IJSG_SG_EEES6_PlJS6_EEE10hipError_tPvRmT3_T4_T5_T6_T7_T9_mT8_P12ihipStream_tbDpT10_ENKUlT_T0_E_clISt17integral_constantIbLb1EES1E_IbLb0EEEEDaS1A_S1B_EUlS1A_E_NS1_11comp_targetILNS1_3genE3ELNS1_11target_archE908ELNS1_3gpuE7ELNS1_3repE0EEENS1_30default_config_static_selectorELNS0_4arch9wavefront6targetE0EEEvT1_.uses_flat_scratch, 0
	.set _ZN7rocprim17ROCPRIM_400000_NS6detail17trampoline_kernelINS0_14default_configENS1_25partition_config_selectorILNS1_17partition_subalgoE5EtNS0_10empty_typeEbEEZZNS1_14partition_implILS5_5ELb0ES3_mN6thrust23THRUST_200600_302600_NS6detail15normal_iteratorINSA_10device_ptrItEEEEPS6_NSA_18transform_iteratorINSB_9not_fun_tI7is_trueItEEENSC_INSD_IbEEEENSA_11use_defaultESO_EENS0_5tupleIJNSA_16discard_iteratorISO_EES6_EEENSQ_IJSG_SG_EEES6_PlJS6_EEE10hipError_tPvRmT3_T4_T5_T6_T7_T9_mT8_P12ihipStream_tbDpT10_ENKUlT_T0_E_clISt17integral_constantIbLb1EES1E_IbLb0EEEEDaS1A_S1B_EUlS1A_E_NS1_11comp_targetILNS1_3genE3ELNS1_11target_archE908ELNS1_3gpuE7ELNS1_3repE0EEENS1_30default_config_static_selectorELNS0_4arch9wavefront6targetE0EEEvT1_.has_dyn_sized_stack, 0
	.set _ZN7rocprim17ROCPRIM_400000_NS6detail17trampoline_kernelINS0_14default_configENS1_25partition_config_selectorILNS1_17partition_subalgoE5EtNS0_10empty_typeEbEEZZNS1_14partition_implILS5_5ELb0ES3_mN6thrust23THRUST_200600_302600_NS6detail15normal_iteratorINSA_10device_ptrItEEEEPS6_NSA_18transform_iteratorINSB_9not_fun_tI7is_trueItEEENSC_INSD_IbEEEENSA_11use_defaultESO_EENS0_5tupleIJNSA_16discard_iteratorISO_EES6_EEENSQ_IJSG_SG_EEES6_PlJS6_EEE10hipError_tPvRmT3_T4_T5_T6_T7_T9_mT8_P12ihipStream_tbDpT10_ENKUlT_T0_E_clISt17integral_constantIbLb1EES1E_IbLb0EEEEDaS1A_S1B_EUlS1A_E_NS1_11comp_targetILNS1_3genE3ELNS1_11target_archE908ELNS1_3gpuE7ELNS1_3repE0EEENS1_30default_config_static_selectorELNS0_4arch9wavefront6targetE0EEEvT1_.has_recursion, 0
	.set _ZN7rocprim17ROCPRIM_400000_NS6detail17trampoline_kernelINS0_14default_configENS1_25partition_config_selectorILNS1_17partition_subalgoE5EtNS0_10empty_typeEbEEZZNS1_14partition_implILS5_5ELb0ES3_mN6thrust23THRUST_200600_302600_NS6detail15normal_iteratorINSA_10device_ptrItEEEEPS6_NSA_18transform_iteratorINSB_9not_fun_tI7is_trueItEEENSC_INSD_IbEEEENSA_11use_defaultESO_EENS0_5tupleIJNSA_16discard_iteratorISO_EES6_EEENSQ_IJSG_SG_EEES6_PlJS6_EEE10hipError_tPvRmT3_T4_T5_T6_T7_T9_mT8_P12ihipStream_tbDpT10_ENKUlT_T0_E_clISt17integral_constantIbLb1EES1E_IbLb0EEEEDaS1A_S1B_EUlS1A_E_NS1_11comp_targetILNS1_3genE3ELNS1_11target_archE908ELNS1_3gpuE7ELNS1_3repE0EEENS1_30default_config_static_selectorELNS0_4arch9wavefront6targetE0EEEvT1_.has_indirect_call, 0
	.section	.AMDGPU.csdata,"",@progbits
; Kernel info:
; codeLenInByte = 0
; TotalNumSgprs: 0
; NumVgprs: 0
; ScratchSize: 0
; MemoryBound: 0
; FloatMode: 240
; IeeeMode: 1
; LDSByteSize: 0 bytes/workgroup (compile time only)
; SGPRBlocks: 0
; VGPRBlocks: 0
; NumSGPRsForWavesPerEU: 1
; NumVGPRsForWavesPerEU: 1
; Occupancy: 16
; WaveLimiterHint : 0
; COMPUTE_PGM_RSRC2:SCRATCH_EN: 0
; COMPUTE_PGM_RSRC2:USER_SGPR: 2
; COMPUTE_PGM_RSRC2:TRAP_HANDLER: 0
; COMPUTE_PGM_RSRC2:TGID_X_EN: 1
; COMPUTE_PGM_RSRC2:TGID_Y_EN: 0
; COMPUTE_PGM_RSRC2:TGID_Z_EN: 0
; COMPUTE_PGM_RSRC2:TIDIG_COMP_CNT: 0
	.section	.text._ZN7rocprim17ROCPRIM_400000_NS6detail17trampoline_kernelINS0_14default_configENS1_25partition_config_selectorILNS1_17partition_subalgoE5EtNS0_10empty_typeEbEEZZNS1_14partition_implILS5_5ELb0ES3_mN6thrust23THRUST_200600_302600_NS6detail15normal_iteratorINSA_10device_ptrItEEEEPS6_NSA_18transform_iteratorINSB_9not_fun_tI7is_trueItEEENSC_INSD_IbEEEENSA_11use_defaultESO_EENS0_5tupleIJNSA_16discard_iteratorISO_EES6_EEENSQ_IJSG_SG_EEES6_PlJS6_EEE10hipError_tPvRmT3_T4_T5_T6_T7_T9_mT8_P12ihipStream_tbDpT10_ENKUlT_T0_E_clISt17integral_constantIbLb1EES1E_IbLb0EEEEDaS1A_S1B_EUlS1A_E_NS1_11comp_targetILNS1_3genE2ELNS1_11target_archE906ELNS1_3gpuE6ELNS1_3repE0EEENS1_30default_config_static_selectorELNS0_4arch9wavefront6targetE0EEEvT1_,"axG",@progbits,_ZN7rocprim17ROCPRIM_400000_NS6detail17trampoline_kernelINS0_14default_configENS1_25partition_config_selectorILNS1_17partition_subalgoE5EtNS0_10empty_typeEbEEZZNS1_14partition_implILS5_5ELb0ES3_mN6thrust23THRUST_200600_302600_NS6detail15normal_iteratorINSA_10device_ptrItEEEEPS6_NSA_18transform_iteratorINSB_9not_fun_tI7is_trueItEEENSC_INSD_IbEEEENSA_11use_defaultESO_EENS0_5tupleIJNSA_16discard_iteratorISO_EES6_EEENSQ_IJSG_SG_EEES6_PlJS6_EEE10hipError_tPvRmT3_T4_T5_T6_T7_T9_mT8_P12ihipStream_tbDpT10_ENKUlT_T0_E_clISt17integral_constantIbLb1EES1E_IbLb0EEEEDaS1A_S1B_EUlS1A_E_NS1_11comp_targetILNS1_3genE2ELNS1_11target_archE906ELNS1_3gpuE6ELNS1_3repE0EEENS1_30default_config_static_selectorELNS0_4arch9wavefront6targetE0EEEvT1_,comdat
	.protected	_ZN7rocprim17ROCPRIM_400000_NS6detail17trampoline_kernelINS0_14default_configENS1_25partition_config_selectorILNS1_17partition_subalgoE5EtNS0_10empty_typeEbEEZZNS1_14partition_implILS5_5ELb0ES3_mN6thrust23THRUST_200600_302600_NS6detail15normal_iteratorINSA_10device_ptrItEEEEPS6_NSA_18transform_iteratorINSB_9not_fun_tI7is_trueItEEENSC_INSD_IbEEEENSA_11use_defaultESO_EENS0_5tupleIJNSA_16discard_iteratorISO_EES6_EEENSQ_IJSG_SG_EEES6_PlJS6_EEE10hipError_tPvRmT3_T4_T5_T6_T7_T9_mT8_P12ihipStream_tbDpT10_ENKUlT_T0_E_clISt17integral_constantIbLb1EES1E_IbLb0EEEEDaS1A_S1B_EUlS1A_E_NS1_11comp_targetILNS1_3genE2ELNS1_11target_archE906ELNS1_3gpuE6ELNS1_3repE0EEENS1_30default_config_static_selectorELNS0_4arch9wavefront6targetE0EEEvT1_ ; -- Begin function _ZN7rocprim17ROCPRIM_400000_NS6detail17trampoline_kernelINS0_14default_configENS1_25partition_config_selectorILNS1_17partition_subalgoE5EtNS0_10empty_typeEbEEZZNS1_14partition_implILS5_5ELb0ES3_mN6thrust23THRUST_200600_302600_NS6detail15normal_iteratorINSA_10device_ptrItEEEEPS6_NSA_18transform_iteratorINSB_9not_fun_tI7is_trueItEEENSC_INSD_IbEEEENSA_11use_defaultESO_EENS0_5tupleIJNSA_16discard_iteratorISO_EES6_EEENSQ_IJSG_SG_EEES6_PlJS6_EEE10hipError_tPvRmT3_T4_T5_T6_T7_T9_mT8_P12ihipStream_tbDpT10_ENKUlT_T0_E_clISt17integral_constantIbLb1EES1E_IbLb0EEEEDaS1A_S1B_EUlS1A_E_NS1_11comp_targetILNS1_3genE2ELNS1_11target_archE906ELNS1_3gpuE6ELNS1_3repE0EEENS1_30default_config_static_selectorELNS0_4arch9wavefront6targetE0EEEvT1_
	.globl	_ZN7rocprim17ROCPRIM_400000_NS6detail17trampoline_kernelINS0_14default_configENS1_25partition_config_selectorILNS1_17partition_subalgoE5EtNS0_10empty_typeEbEEZZNS1_14partition_implILS5_5ELb0ES3_mN6thrust23THRUST_200600_302600_NS6detail15normal_iteratorINSA_10device_ptrItEEEEPS6_NSA_18transform_iteratorINSB_9not_fun_tI7is_trueItEEENSC_INSD_IbEEEENSA_11use_defaultESO_EENS0_5tupleIJNSA_16discard_iteratorISO_EES6_EEENSQ_IJSG_SG_EEES6_PlJS6_EEE10hipError_tPvRmT3_T4_T5_T6_T7_T9_mT8_P12ihipStream_tbDpT10_ENKUlT_T0_E_clISt17integral_constantIbLb1EES1E_IbLb0EEEEDaS1A_S1B_EUlS1A_E_NS1_11comp_targetILNS1_3genE2ELNS1_11target_archE906ELNS1_3gpuE6ELNS1_3repE0EEENS1_30default_config_static_selectorELNS0_4arch9wavefront6targetE0EEEvT1_
	.p2align	8
	.type	_ZN7rocprim17ROCPRIM_400000_NS6detail17trampoline_kernelINS0_14default_configENS1_25partition_config_selectorILNS1_17partition_subalgoE5EtNS0_10empty_typeEbEEZZNS1_14partition_implILS5_5ELb0ES3_mN6thrust23THRUST_200600_302600_NS6detail15normal_iteratorINSA_10device_ptrItEEEEPS6_NSA_18transform_iteratorINSB_9not_fun_tI7is_trueItEEENSC_INSD_IbEEEENSA_11use_defaultESO_EENS0_5tupleIJNSA_16discard_iteratorISO_EES6_EEENSQ_IJSG_SG_EEES6_PlJS6_EEE10hipError_tPvRmT3_T4_T5_T6_T7_T9_mT8_P12ihipStream_tbDpT10_ENKUlT_T0_E_clISt17integral_constantIbLb1EES1E_IbLb0EEEEDaS1A_S1B_EUlS1A_E_NS1_11comp_targetILNS1_3genE2ELNS1_11target_archE906ELNS1_3gpuE6ELNS1_3repE0EEENS1_30default_config_static_selectorELNS0_4arch9wavefront6targetE0EEEvT1_,@function
_ZN7rocprim17ROCPRIM_400000_NS6detail17trampoline_kernelINS0_14default_configENS1_25partition_config_selectorILNS1_17partition_subalgoE5EtNS0_10empty_typeEbEEZZNS1_14partition_implILS5_5ELb0ES3_mN6thrust23THRUST_200600_302600_NS6detail15normal_iteratorINSA_10device_ptrItEEEEPS6_NSA_18transform_iteratorINSB_9not_fun_tI7is_trueItEEENSC_INSD_IbEEEENSA_11use_defaultESO_EENS0_5tupleIJNSA_16discard_iteratorISO_EES6_EEENSQ_IJSG_SG_EEES6_PlJS6_EEE10hipError_tPvRmT3_T4_T5_T6_T7_T9_mT8_P12ihipStream_tbDpT10_ENKUlT_T0_E_clISt17integral_constantIbLb1EES1E_IbLb0EEEEDaS1A_S1B_EUlS1A_E_NS1_11comp_targetILNS1_3genE2ELNS1_11target_archE906ELNS1_3gpuE6ELNS1_3repE0EEENS1_30default_config_static_selectorELNS0_4arch9wavefront6targetE0EEEvT1_: ; @_ZN7rocprim17ROCPRIM_400000_NS6detail17trampoline_kernelINS0_14default_configENS1_25partition_config_selectorILNS1_17partition_subalgoE5EtNS0_10empty_typeEbEEZZNS1_14partition_implILS5_5ELb0ES3_mN6thrust23THRUST_200600_302600_NS6detail15normal_iteratorINSA_10device_ptrItEEEEPS6_NSA_18transform_iteratorINSB_9not_fun_tI7is_trueItEEENSC_INSD_IbEEEENSA_11use_defaultESO_EENS0_5tupleIJNSA_16discard_iteratorISO_EES6_EEENSQ_IJSG_SG_EEES6_PlJS6_EEE10hipError_tPvRmT3_T4_T5_T6_T7_T9_mT8_P12ihipStream_tbDpT10_ENKUlT_T0_E_clISt17integral_constantIbLb1EES1E_IbLb0EEEEDaS1A_S1B_EUlS1A_E_NS1_11comp_targetILNS1_3genE2ELNS1_11target_archE906ELNS1_3gpuE6ELNS1_3repE0EEENS1_30default_config_static_selectorELNS0_4arch9wavefront6targetE0EEEvT1_
; %bb.0:
	.section	.rodata,"a",@progbits
	.p2align	6, 0x0
	.amdhsa_kernel _ZN7rocprim17ROCPRIM_400000_NS6detail17trampoline_kernelINS0_14default_configENS1_25partition_config_selectorILNS1_17partition_subalgoE5EtNS0_10empty_typeEbEEZZNS1_14partition_implILS5_5ELb0ES3_mN6thrust23THRUST_200600_302600_NS6detail15normal_iteratorINSA_10device_ptrItEEEEPS6_NSA_18transform_iteratorINSB_9not_fun_tI7is_trueItEEENSC_INSD_IbEEEENSA_11use_defaultESO_EENS0_5tupleIJNSA_16discard_iteratorISO_EES6_EEENSQ_IJSG_SG_EEES6_PlJS6_EEE10hipError_tPvRmT3_T4_T5_T6_T7_T9_mT8_P12ihipStream_tbDpT10_ENKUlT_T0_E_clISt17integral_constantIbLb1EES1E_IbLb0EEEEDaS1A_S1B_EUlS1A_E_NS1_11comp_targetILNS1_3genE2ELNS1_11target_archE906ELNS1_3gpuE6ELNS1_3repE0EEENS1_30default_config_static_selectorELNS0_4arch9wavefront6targetE0EEEvT1_
		.amdhsa_group_segment_fixed_size 0
		.amdhsa_private_segment_fixed_size 0
		.amdhsa_kernarg_size 128
		.amdhsa_user_sgpr_count 2
		.amdhsa_user_sgpr_dispatch_ptr 0
		.amdhsa_user_sgpr_queue_ptr 0
		.amdhsa_user_sgpr_kernarg_segment_ptr 1
		.amdhsa_user_sgpr_dispatch_id 0
		.amdhsa_user_sgpr_private_segment_size 0
		.amdhsa_wavefront_size32 1
		.amdhsa_uses_dynamic_stack 0
		.amdhsa_enable_private_segment 0
		.amdhsa_system_sgpr_workgroup_id_x 1
		.amdhsa_system_sgpr_workgroup_id_y 0
		.amdhsa_system_sgpr_workgroup_id_z 0
		.amdhsa_system_sgpr_workgroup_info 0
		.amdhsa_system_vgpr_workitem_id 0
		.amdhsa_next_free_vgpr 1
		.amdhsa_next_free_sgpr 1
		.amdhsa_reserve_vcc 0
		.amdhsa_float_round_mode_32 0
		.amdhsa_float_round_mode_16_64 0
		.amdhsa_float_denorm_mode_32 3
		.amdhsa_float_denorm_mode_16_64 3
		.amdhsa_fp16_overflow 0
		.amdhsa_workgroup_processor_mode 1
		.amdhsa_memory_ordered 1
		.amdhsa_forward_progress 1
		.amdhsa_inst_pref_size 0
		.amdhsa_round_robin_scheduling 0
		.amdhsa_exception_fp_ieee_invalid_op 0
		.amdhsa_exception_fp_denorm_src 0
		.amdhsa_exception_fp_ieee_div_zero 0
		.amdhsa_exception_fp_ieee_overflow 0
		.amdhsa_exception_fp_ieee_underflow 0
		.amdhsa_exception_fp_ieee_inexact 0
		.amdhsa_exception_int_div_zero 0
	.end_amdhsa_kernel
	.section	.text._ZN7rocprim17ROCPRIM_400000_NS6detail17trampoline_kernelINS0_14default_configENS1_25partition_config_selectorILNS1_17partition_subalgoE5EtNS0_10empty_typeEbEEZZNS1_14partition_implILS5_5ELb0ES3_mN6thrust23THRUST_200600_302600_NS6detail15normal_iteratorINSA_10device_ptrItEEEEPS6_NSA_18transform_iteratorINSB_9not_fun_tI7is_trueItEEENSC_INSD_IbEEEENSA_11use_defaultESO_EENS0_5tupleIJNSA_16discard_iteratorISO_EES6_EEENSQ_IJSG_SG_EEES6_PlJS6_EEE10hipError_tPvRmT3_T4_T5_T6_T7_T9_mT8_P12ihipStream_tbDpT10_ENKUlT_T0_E_clISt17integral_constantIbLb1EES1E_IbLb0EEEEDaS1A_S1B_EUlS1A_E_NS1_11comp_targetILNS1_3genE2ELNS1_11target_archE906ELNS1_3gpuE6ELNS1_3repE0EEENS1_30default_config_static_selectorELNS0_4arch9wavefront6targetE0EEEvT1_,"axG",@progbits,_ZN7rocprim17ROCPRIM_400000_NS6detail17trampoline_kernelINS0_14default_configENS1_25partition_config_selectorILNS1_17partition_subalgoE5EtNS0_10empty_typeEbEEZZNS1_14partition_implILS5_5ELb0ES3_mN6thrust23THRUST_200600_302600_NS6detail15normal_iteratorINSA_10device_ptrItEEEEPS6_NSA_18transform_iteratorINSB_9not_fun_tI7is_trueItEEENSC_INSD_IbEEEENSA_11use_defaultESO_EENS0_5tupleIJNSA_16discard_iteratorISO_EES6_EEENSQ_IJSG_SG_EEES6_PlJS6_EEE10hipError_tPvRmT3_T4_T5_T6_T7_T9_mT8_P12ihipStream_tbDpT10_ENKUlT_T0_E_clISt17integral_constantIbLb1EES1E_IbLb0EEEEDaS1A_S1B_EUlS1A_E_NS1_11comp_targetILNS1_3genE2ELNS1_11target_archE906ELNS1_3gpuE6ELNS1_3repE0EEENS1_30default_config_static_selectorELNS0_4arch9wavefront6targetE0EEEvT1_,comdat
.Lfunc_end2737:
	.size	_ZN7rocprim17ROCPRIM_400000_NS6detail17trampoline_kernelINS0_14default_configENS1_25partition_config_selectorILNS1_17partition_subalgoE5EtNS0_10empty_typeEbEEZZNS1_14partition_implILS5_5ELb0ES3_mN6thrust23THRUST_200600_302600_NS6detail15normal_iteratorINSA_10device_ptrItEEEEPS6_NSA_18transform_iteratorINSB_9not_fun_tI7is_trueItEEENSC_INSD_IbEEEENSA_11use_defaultESO_EENS0_5tupleIJNSA_16discard_iteratorISO_EES6_EEENSQ_IJSG_SG_EEES6_PlJS6_EEE10hipError_tPvRmT3_T4_T5_T6_T7_T9_mT8_P12ihipStream_tbDpT10_ENKUlT_T0_E_clISt17integral_constantIbLb1EES1E_IbLb0EEEEDaS1A_S1B_EUlS1A_E_NS1_11comp_targetILNS1_3genE2ELNS1_11target_archE906ELNS1_3gpuE6ELNS1_3repE0EEENS1_30default_config_static_selectorELNS0_4arch9wavefront6targetE0EEEvT1_, .Lfunc_end2737-_ZN7rocprim17ROCPRIM_400000_NS6detail17trampoline_kernelINS0_14default_configENS1_25partition_config_selectorILNS1_17partition_subalgoE5EtNS0_10empty_typeEbEEZZNS1_14partition_implILS5_5ELb0ES3_mN6thrust23THRUST_200600_302600_NS6detail15normal_iteratorINSA_10device_ptrItEEEEPS6_NSA_18transform_iteratorINSB_9not_fun_tI7is_trueItEEENSC_INSD_IbEEEENSA_11use_defaultESO_EENS0_5tupleIJNSA_16discard_iteratorISO_EES6_EEENSQ_IJSG_SG_EEES6_PlJS6_EEE10hipError_tPvRmT3_T4_T5_T6_T7_T9_mT8_P12ihipStream_tbDpT10_ENKUlT_T0_E_clISt17integral_constantIbLb1EES1E_IbLb0EEEEDaS1A_S1B_EUlS1A_E_NS1_11comp_targetILNS1_3genE2ELNS1_11target_archE906ELNS1_3gpuE6ELNS1_3repE0EEENS1_30default_config_static_selectorELNS0_4arch9wavefront6targetE0EEEvT1_
                                        ; -- End function
	.set _ZN7rocprim17ROCPRIM_400000_NS6detail17trampoline_kernelINS0_14default_configENS1_25partition_config_selectorILNS1_17partition_subalgoE5EtNS0_10empty_typeEbEEZZNS1_14partition_implILS5_5ELb0ES3_mN6thrust23THRUST_200600_302600_NS6detail15normal_iteratorINSA_10device_ptrItEEEEPS6_NSA_18transform_iteratorINSB_9not_fun_tI7is_trueItEEENSC_INSD_IbEEEENSA_11use_defaultESO_EENS0_5tupleIJNSA_16discard_iteratorISO_EES6_EEENSQ_IJSG_SG_EEES6_PlJS6_EEE10hipError_tPvRmT3_T4_T5_T6_T7_T9_mT8_P12ihipStream_tbDpT10_ENKUlT_T0_E_clISt17integral_constantIbLb1EES1E_IbLb0EEEEDaS1A_S1B_EUlS1A_E_NS1_11comp_targetILNS1_3genE2ELNS1_11target_archE906ELNS1_3gpuE6ELNS1_3repE0EEENS1_30default_config_static_selectorELNS0_4arch9wavefront6targetE0EEEvT1_.num_vgpr, 0
	.set _ZN7rocprim17ROCPRIM_400000_NS6detail17trampoline_kernelINS0_14default_configENS1_25partition_config_selectorILNS1_17partition_subalgoE5EtNS0_10empty_typeEbEEZZNS1_14partition_implILS5_5ELb0ES3_mN6thrust23THRUST_200600_302600_NS6detail15normal_iteratorINSA_10device_ptrItEEEEPS6_NSA_18transform_iteratorINSB_9not_fun_tI7is_trueItEEENSC_INSD_IbEEEENSA_11use_defaultESO_EENS0_5tupleIJNSA_16discard_iteratorISO_EES6_EEENSQ_IJSG_SG_EEES6_PlJS6_EEE10hipError_tPvRmT3_T4_T5_T6_T7_T9_mT8_P12ihipStream_tbDpT10_ENKUlT_T0_E_clISt17integral_constantIbLb1EES1E_IbLb0EEEEDaS1A_S1B_EUlS1A_E_NS1_11comp_targetILNS1_3genE2ELNS1_11target_archE906ELNS1_3gpuE6ELNS1_3repE0EEENS1_30default_config_static_selectorELNS0_4arch9wavefront6targetE0EEEvT1_.num_agpr, 0
	.set _ZN7rocprim17ROCPRIM_400000_NS6detail17trampoline_kernelINS0_14default_configENS1_25partition_config_selectorILNS1_17partition_subalgoE5EtNS0_10empty_typeEbEEZZNS1_14partition_implILS5_5ELb0ES3_mN6thrust23THRUST_200600_302600_NS6detail15normal_iteratorINSA_10device_ptrItEEEEPS6_NSA_18transform_iteratorINSB_9not_fun_tI7is_trueItEEENSC_INSD_IbEEEENSA_11use_defaultESO_EENS0_5tupleIJNSA_16discard_iteratorISO_EES6_EEENSQ_IJSG_SG_EEES6_PlJS6_EEE10hipError_tPvRmT3_T4_T5_T6_T7_T9_mT8_P12ihipStream_tbDpT10_ENKUlT_T0_E_clISt17integral_constantIbLb1EES1E_IbLb0EEEEDaS1A_S1B_EUlS1A_E_NS1_11comp_targetILNS1_3genE2ELNS1_11target_archE906ELNS1_3gpuE6ELNS1_3repE0EEENS1_30default_config_static_selectorELNS0_4arch9wavefront6targetE0EEEvT1_.numbered_sgpr, 0
	.set _ZN7rocprim17ROCPRIM_400000_NS6detail17trampoline_kernelINS0_14default_configENS1_25partition_config_selectorILNS1_17partition_subalgoE5EtNS0_10empty_typeEbEEZZNS1_14partition_implILS5_5ELb0ES3_mN6thrust23THRUST_200600_302600_NS6detail15normal_iteratorINSA_10device_ptrItEEEEPS6_NSA_18transform_iteratorINSB_9not_fun_tI7is_trueItEEENSC_INSD_IbEEEENSA_11use_defaultESO_EENS0_5tupleIJNSA_16discard_iteratorISO_EES6_EEENSQ_IJSG_SG_EEES6_PlJS6_EEE10hipError_tPvRmT3_T4_T5_T6_T7_T9_mT8_P12ihipStream_tbDpT10_ENKUlT_T0_E_clISt17integral_constantIbLb1EES1E_IbLb0EEEEDaS1A_S1B_EUlS1A_E_NS1_11comp_targetILNS1_3genE2ELNS1_11target_archE906ELNS1_3gpuE6ELNS1_3repE0EEENS1_30default_config_static_selectorELNS0_4arch9wavefront6targetE0EEEvT1_.num_named_barrier, 0
	.set _ZN7rocprim17ROCPRIM_400000_NS6detail17trampoline_kernelINS0_14default_configENS1_25partition_config_selectorILNS1_17partition_subalgoE5EtNS0_10empty_typeEbEEZZNS1_14partition_implILS5_5ELb0ES3_mN6thrust23THRUST_200600_302600_NS6detail15normal_iteratorINSA_10device_ptrItEEEEPS6_NSA_18transform_iteratorINSB_9not_fun_tI7is_trueItEEENSC_INSD_IbEEEENSA_11use_defaultESO_EENS0_5tupleIJNSA_16discard_iteratorISO_EES6_EEENSQ_IJSG_SG_EEES6_PlJS6_EEE10hipError_tPvRmT3_T4_T5_T6_T7_T9_mT8_P12ihipStream_tbDpT10_ENKUlT_T0_E_clISt17integral_constantIbLb1EES1E_IbLb0EEEEDaS1A_S1B_EUlS1A_E_NS1_11comp_targetILNS1_3genE2ELNS1_11target_archE906ELNS1_3gpuE6ELNS1_3repE0EEENS1_30default_config_static_selectorELNS0_4arch9wavefront6targetE0EEEvT1_.private_seg_size, 0
	.set _ZN7rocprim17ROCPRIM_400000_NS6detail17trampoline_kernelINS0_14default_configENS1_25partition_config_selectorILNS1_17partition_subalgoE5EtNS0_10empty_typeEbEEZZNS1_14partition_implILS5_5ELb0ES3_mN6thrust23THRUST_200600_302600_NS6detail15normal_iteratorINSA_10device_ptrItEEEEPS6_NSA_18transform_iteratorINSB_9not_fun_tI7is_trueItEEENSC_INSD_IbEEEENSA_11use_defaultESO_EENS0_5tupleIJNSA_16discard_iteratorISO_EES6_EEENSQ_IJSG_SG_EEES6_PlJS6_EEE10hipError_tPvRmT3_T4_T5_T6_T7_T9_mT8_P12ihipStream_tbDpT10_ENKUlT_T0_E_clISt17integral_constantIbLb1EES1E_IbLb0EEEEDaS1A_S1B_EUlS1A_E_NS1_11comp_targetILNS1_3genE2ELNS1_11target_archE906ELNS1_3gpuE6ELNS1_3repE0EEENS1_30default_config_static_selectorELNS0_4arch9wavefront6targetE0EEEvT1_.uses_vcc, 0
	.set _ZN7rocprim17ROCPRIM_400000_NS6detail17trampoline_kernelINS0_14default_configENS1_25partition_config_selectorILNS1_17partition_subalgoE5EtNS0_10empty_typeEbEEZZNS1_14partition_implILS5_5ELb0ES3_mN6thrust23THRUST_200600_302600_NS6detail15normal_iteratorINSA_10device_ptrItEEEEPS6_NSA_18transform_iteratorINSB_9not_fun_tI7is_trueItEEENSC_INSD_IbEEEENSA_11use_defaultESO_EENS0_5tupleIJNSA_16discard_iteratorISO_EES6_EEENSQ_IJSG_SG_EEES6_PlJS6_EEE10hipError_tPvRmT3_T4_T5_T6_T7_T9_mT8_P12ihipStream_tbDpT10_ENKUlT_T0_E_clISt17integral_constantIbLb1EES1E_IbLb0EEEEDaS1A_S1B_EUlS1A_E_NS1_11comp_targetILNS1_3genE2ELNS1_11target_archE906ELNS1_3gpuE6ELNS1_3repE0EEENS1_30default_config_static_selectorELNS0_4arch9wavefront6targetE0EEEvT1_.uses_flat_scratch, 0
	.set _ZN7rocprim17ROCPRIM_400000_NS6detail17trampoline_kernelINS0_14default_configENS1_25partition_config_selectorILNS1_17partition_subalgoE5EtNS0_10empty_typeEbEEZZNS1_14partition_implILS5_5ELb0ES3_mN6thrust23THRUST_200600_302600_NS6detail15normal_iteratorINSA_10device_ptrItEEEEPS6_NSA_18transform_iteratorINSB_9not_fun_tI7is_trueItEEENSC_INSD_IbEEEENSA_11use_defaultESO_EENS0_5tupleIJNSA_16discard_iteratorISO_EES6_EEENSQ_IJSG_SG_EEES6_PlJS6_EEE10hipError_tPvRmT3_T4_T5_T6_T7_T9_mT8_P12ihipStream_tbDpT10_ENKUlT_T0_E_clISt17integral_constantIbLb1EES1E_IbLb0EEEEDaS1A_S1B_EUlS1A_E_NS1_11comp_targetILNS1_3genE2ELNS1_11target_archE906ELNS1_3gpuE6ELNS1_3repE0EEENS1_30default_config_static_selectorELNS0_4arch9wavefront6targetE0EEEvT1_.has_dyn_sized_stack, 0
	.set _ZN7rocprim17ROCPRIM_400000_NS6detail17trampoline_kernelINS0_14default_configENS1_25partition_config_selectorILNS1_17partition_subalgoE5EtNS0_10empty_typeEbEEZZNS1_14partition_implILS5_5ELb0ES3_mN6thrust23THRUST_200600_302600_NS6detail15normal_iteratorINSA_10device_ptrItEEEEPS6_NSA_18transform_iteratorINSB_9not_fun_tI7is_trueItEEENSC_INSD_IbEEEENSA_11use_defaultESO_EENS0_5tupleIJNSA_16discard_iteratorISO_EES6_EEENSQ_IJSG_SG_EEES6_PlJS6_EEE10hipError_tPvRmT3_T4_T5_T6_T7_T9_mT8_P12ihipStream_tbDpT10_ENKUlT_T0_E_clISt17integral_constantIbLb1EES1E_IbLb0EEEEDaS1A_S1B_EUlS1A_E_NS1_11comp_targetILNS1_3genE2ELNS1_11target_archE906ELNS1_3gpuE6ELNS1_3repE0EEENS1_30default_config_static_selectorELNS0_4arch9wavefront6targetE0EEEvT1_.has_recursion, 0
	.set _ZN7rocprim17ROCPRIM_400000_NS6detail17trampoline_kernelINS0_14default_configENS1_25partition_config_selectorILNS1_17partition_subalgoE5EtNS0_10empty_typeEbEEZZNS1_14partition_implILS5_5ELb0ES3_mN6thrust23THRUST_200600_302600_NS6detail15normal_iteratorINSA_10device_ptrItEEEEPS6_NSA_18transform_iteratorINSB_9not_fun_tI7is_trueItEEENSC_INSD_IbEEEENSA_11use_defaultESO_EENS0_5tupleIJNSA_16discard_iteratorISO_EES6_EEENSQ_IJSG_SG_EEES6_PlJS6_EEE10hipError_tPvRmT3_T4_T5_T6_T7_T9_mT8_P12ihipStream_tbDpT10_ENKUlT_T0_E_clISt17integral_constantIbLb1EES1E_IbLb0EEEEDaS1A_S1B_EUlS1A_E_NS1_11comp_targetILNS1_3genE2ELNS1_11target_archE906ELNS1_3gpuE6ELNS1_3repE0EEENS1_30default_config_static_selectorELNS0_4arch9wavefront6targetE0EEEvT1_.has_indirect_call, 0
	.section	.AMDGPU.csdata,"",@progbits
; Kernel info:
; codeLenInByte = 0
; TotalNumSgprs: 0
; NumVgprs: 0
; ScratchSize: 0
; MemoryBound: 0
; FloatMode: 240
; IeeeMode: 1
; LDSByteSize: 0 bytes/workgroup (compile time only)
; SGPRBlocks: 0
; VGPRBlocks: 0
; NumSGPRsForWavesPerEU: 1
; NumVGPRsForWavesPerEU: 1
; Occupancy: 16
; WaveLimiterHint : 0
; COMPUTE_PGM_RSRC2:SCRATCH_EN: 0
; COMPUTE_PGM_RSRC2:USER_SGPR: 2
; COMPUTE_PGM_RSRC2:TRAP_HANDLER: 0
; COMPUTE_PGM_RSRC2:TGID_X_EN: 1
; COMPUTE_PGM_RSRC2:TGID_Y_EN: 0
; COMPUTE_PGM_RSRC2:TGID_Z_EN: 0
; COMPUTE_PGM_RSRC2:TIDIG_COMP_CNT: 0
	.section	.text._ZN7rocprim17ROCPRIM_400000_NS6detail17trampoline_kernelINS0_14default_configENS1_25partition_config_selectorILNS1_17partition_subalgoE5EtNS0_10empty_typeEbEEZZNS1_14partition_implILS5_5ELb0ES3_mN6thrust23THRUST_200600_302600_NS6detail15normal_iteratorINSA_10device_ptrItEEEEPS6_NSA_18transform_iteratorINSB_9not_fun_tI7is_trueItEEENSC_INSD_IbEEEENSA_11use_defaultESO_EENS0_5tupleIJNSA_16discard_iteratorISO_EES6_EEENSQ_IJSG_SG_EEES6_PlJS6_EEE10hipError_tPvRmT3_T4_T5_T6_T7_T9_mT8_P12ihipStream_tbDpT10_ENKUlT_T0_E_clISt17integral_constantIbLb1EES1E_IbLb0EEEEDaS1A_S1B_EUlS1A_E_NS1_11comp_targetILNS1_3genE10ELNS1_11target_archE1200ELNS1_3gpuE4ELNS1_3repE0EEENS1_30default_config_static_selectorELNS0_4arch9wavefront6targetE0EEEvT1_,"axG",@progbits,_ZN7rocprim17ROCPRIM_400000_NS6detail17trampoline_kernelINS0_14default_configENS1_25partition_config_selectorILNS1_17partition_subalgoE5EtNS0_10empty_typeEbEEZZNS1_14partition_implILS5_5ELb0ES3_mN6thrust23THRUST_200600_302600_NS6detail15normal_iteratorINSA_10device_ptrItEEEEPS6_NSA_18transform_iteratorINSB_9not_fun_tI7is_trueItEEENSC_INSD_IbEEEENSA_11use_defaultESO_EENS0_5tupleIJNSA_16discard_iteratorISO_EES6_EEENSQ_IJSG_SG_EEES6_PlJS6_EEE10hipError_tPvRmT3_T4_T5_T6_T7_T9_mT8_P12ihipStream_tbDpT10_ENKUlT_T0_E_clISt17integral_constantIbLb1EES1E_IbLb0EEEEDaS1A_S1B_EUlS1A_E_NS1_11comp_targetILNS1_3genE10ELNS1_11target_archE1200ELNS1_3gpuE4ELNS1_3repE0EEENS1_30default_config_static_selectorELNS0_4arch9wavefront6targetE0EEEvT1_,comdat
	.protected	_ZN7rocprim17ROCPRIM_400000_NS6detail17trampoline_kernelINS0_14default_configENS1_25partition_config_selectorILNS1_17partition_subalgoE5EtNS0_10empty_typeEbEEZZNS1_14partition_implILS5_5ELb0ES3_mN6thrust23THRUST_200600_302600_NS6detail15normal_iteratorINSA_10device_ptrItEEEEPS6_NSA_18transform_iteratorINSB_9not_fun_tI7is_trueItEEENSC_INSD_IbEEEENSA_11use_defaultESO_EENS0_5tupleIJNSA_16discard_iteratorISO_EES6_EEENSQ_IJSG_SG_EEES6_PlJS6_EEE10hipError_tPvRmT3_T4_T5_T6_T7_T9_mT8_P12ihipStream_tbDpT10_ENKUlT_T0_E_clISt17integral_constantIbLb1EES1E_IbLb0EEEEDaS1A_S1B_EUlS1A_E_NS1_11comp_targetILNS1_3genE10ELNS1_11target_archE1200ELNS1_3gpuE4ELNS1_3repE0EEENS1_30default_config_static_selectorELNS0_4arch9wavefront6targetE0EEEvT1_ ; -- Begin function _ZN7rocprim17ROCPRIM_400000_NS6detail17trampoline_kernelINS0_14default_configENS1_25partition_config_selectorILNS1_17partition_subalgoE5EtNS0_10empty_typeEbEEZZNS1_14partition_implILS5_5ELb0ES3_mN6thrust23THRUST_200600_302600_NS6detail15normal_iteratorINSA_10device_ptrItEEEEPS6_NSA_18transform_iteratorINSB_9not_fun_tI7is_trueItEEENSC_INSD_IbEEEENSA_11use_defaultESO_EENS0_5tupleIJNSA_16discard_iteratorISO_EES6_EEENSQ_IJSG_SG_EEES6_PlJS6_EEE10hipError_tPvRmT3_T4_T5_T6_T7_T9_mT8_P12ihipStream_tbDpT10_ENKUlT_T0_E_clISt17integral_constantIbLb1EES1E_IbLb0EEEEDaS1A_S1B_EUlS1A_E_NS1_11comp_targetILNS1_3genE10ELNS1_11target_archE1200ELNS1_3gpuE4ELNS1_3repE0EEENS1_30default_config_static_selectorELNS0_4arch9wavefront6targetE0EEEvT1_
	.globl	_ZN7rocprim17ROCPRIM_400000_NS6detail17trampoline_kernelINS0_14default_configENS1_25partition_config_selectorILNS1_17partition_subalgoE5EtNS0_10empty_typeEbEEZZNS1_14partition_implILS5_5ELb0ES3_mN6thrust23THRUST_200600_302600_NS6detail15normal_iteratorINSA_10device_ptrItEEEEPS6_NSA_18transform_iteratorINSB_9not_fun_tI7is_trueItEEENSC_INSD_IbEEEENSA_11use_defaultESO_EENS0_5tupleIJNSA_16discard_iteratorISO_EES6_EEENSQ_IJSG_SG_EEES6_PlJS6_EEE10hipError_tPvRmT3_T4_T5_T6_T7_T9_mT8_P12ihipStream_tbDpT10_ENKUlT_T0_E_clISt17integral_constantIbLb1EES1E_IbLb0EEEEDaS1A_S1B_EUlS1A_E_NS1_11comp_targetILNS1_3genE10ELNS1_11target_archE1200ELNS1_3gpuE4ELNS1_3repE0EEENS1_30default_config_static_selectorELNS0_4arch9wavefront6targetE0EEEvT1_
	.p2align	8
	.type	_ZN7rocprim17ROCPRIM_400000_NS6detail17trampoline_kernelINS0_14default_configENS1_25partition_config_selectorILNS1_17partition_subalgoE5EtNS0_10empty_typeEbEEZZNS1_14partition_implILS5_5ELb0ES3_mN6thrust23THRUST_200600_302600_NS6detail15normal_iteratorINSA_10device_ptrItEEEEPS6_NSA_18transform_iteratorINSB_9not_fun_tI7is_trueItEEENSC_INSD_IbEEEENSA_11use_defaultESO_EENS0_5tupleIJNSA_16discard_iteratorISO_EES6_EEENSQ_IJSG_SG_EEES6_PlJS6_EEE10hipError_tPvRmT3_T4_T5_T6_T7_T9_mT8_P12ihipStream_tbDpT10_ENKUlT_T0_E_clISt17integral_constantIbLb1EES1E_IbLb0EEEEDaS1A_S1B_EUlS1A_E_NS1_11comp_targetILNS1_3genE10ELNS1_11target_archE1200ELNS1_3gpuE4ELNS1_3repE0EEENS1_30default_config_static_selectorELNS0_4arch9wavefront6targetE0EEEvT1_,@function
_ZN7rocprim17ROCPRIM_400000_NS6detail17trampoline_kernelINS0_14default_configENS1_25partition_config_selectorILNS1_17partition_subalgoE5EtNS0_10empty_typeEbEEZZNS1_14partition_implILS5_5ELb0ES3_mN6thrust23THRUST_200600_302600_NS6detail15normal_iteratorINSA_10device_ptrItEEEEPS6_NSA_18transform_iteratorINSB_9not_fun_tI7is_trueItEEENSC_INSD_IbEEEENSA_11use_defaultESO_EENS0_5tupleIJNSA_16discard_iteratorISO_EES6_EEENSQ_IJSG_SG_EEES6_PlJS6_EEE10hipError_tPvRmT3_T4_T5_T6_T7_T9_mT8_P12ihipStream_tbDpT10_ENKUlT_T0_E_clISt17integral_constantIbLb1EES1E_IbLb0EEEEDaS1A_S1B_EUlS1A_E_NS1_11comp_targetILNS1_3genE10ELNS1_11target_archE1200ELNS1_3gpuE4ELNS1_3repE0EEENS1_30default_config_static_selectorELNS0_4arch9wavefront6targetE0EEEvT1_: ; @_ZN7rocprim17ROCPRIM_400000_NS6detail17trampoline_kernelINS0_14default_configENS1_25partition_config_selectorILNS1_17partition_subalgoE5EtNS0_10empty_typeEbEEZZNS1_14partition_implILS5_5ELb0ES3_mN6thrust23THRUST_200600_302600_NS6detail15normal_iteratorINSA_10device_ptrItEEEEPS6_NSA_18transform_iteratorINSB_9not_fun_tI7is_trueItEEENSC_INSD_IbEEEENSA_11use_defaultESO_EENS0_5tupleIJNSA_16discard_iteratorISO_EES6_EEENSQ_IJSG_SG_EEES6_PlJS6_EEE10hipError_tPvRmT3_T4_T5_T6_T7_T9_mT8_P12ihipStream_tbDpT10_ENKUlT_T0_E_clISt17integral_constantIbLb1EES1E_IbLb0EEEEDaS1A_S1B_EUlS1A_E_NS1_11comp_targetILNS1_3genE10ELNS1_11target_archE1200ELNS1_3gpuE4ELNS1_3repE0EEENS1_30default_config_static_selectorELNS0_4arch9wavefront6targetE0EEEvT1_
; %bb.0:
	s_endpgm
	.section	.rodata,"a",@progbits
	.p2align	6, 0x0
	.amdhsa_kernel _ZN7rocprim17ROCPRIM_400000_NS6detail17trampoline_kernelINS0_14default_configENS1_25partition_config_selectorILNS1_17partition_subalgoE5EtNS0_10empty_typeEbEEZZNS1_14partition_implILS5_5ELb0ES3_mN6thrust23THRUST_200600_302600_NS6detail15normal_iteratorINSA_10device_ptrItEEEEPS6_NSA_18transform_iteratorINSB_9not_fun_tI7is_trueItEEENSC_INSD_IbEEEENSA_11use_defaultESO_EENS0_5tupleIJNSA_16discard_iteratorISO_EES6_EEENSQ_IJSG_SG_EEES6_PlJS6_EEE10hipError_tPvRmT3_T4_T5_T6_T7_T9_mT8_P12ihipStream_tbDpT10_ENKUlT_T0_E_clISt17integral_constantIbLb1EES1E_IbLb0EEEEDaS1A_S1B_EUlS1A_E_NS1_11comp_targetILNS1_3genE10ELNS1_11target_archE1200ELNS1_3gpuE4ELNS1_3repE0EEENS1_30default_config_static_selectorELNS0_4arch9wavefront6targetE0EEEvT1_
		.amdhsa_group_segment_fixed_size 0
		.amdhsa_private_segment_fixed_size 0
		.amdhsa_kernarg_size 128
		.amdhsa_user_sgpr_count 2
		.amdhsa_user_sgpr_dispatch_ptr 0
		.amdhsa_user_sgpr_queue_ptr 0
		.amdhsa_user_sgpr_kernarg_segment_ptr 1
		.amdhsa_user_sgpr_dispatch_id 0
		.amdhsa_user_sgpr_private_segment_size 0
		.amdhsa_wavefront_size32 1
		.amdhsa_uses_dynamic_stack 0
		.amdhsa_enable_private_segment 0
		.amdhsa_system_sgpr_workgroup_id_x 1
		.amdhsa_system_sgpr_workgroup_id_y 0
		.amdhsa_system_sgpr_workgroup_id_z 0
		.amdhsa_system_sgpr_workgroup_info 0
		.amdhsa_system_vgpr_workitem_id 0
		.amdhsa_next_free_vgpr 1
		.amdhsa_next_free_sgpr 1
		.amdhsa_reserve_vcc 0
		.amdhsa_float_round_mode_32 0
		.amdhsa_float_round_mode_16_64 0
		.amdhsa_float_denorm_mode_32 3
		.amdhsa_float_denorm_mode_16_64 3
		.amdhsa_fp16_overflow 0
		.amdhsa_workgroup_processor_mode 1
		.amdhsa_memory_ordered 1
		.amdhsa_forward_progress 1
		.amdhsa_inst_pref_size 1
		.amdhsa_round_robin_scheduling 0
		.amdhsa_exception_fp_ieee_invalid_op 0
		.amdhsa_exception_fp_denorm_src 0
		.amdhsa_exception_fp_ieee_div_zero 0
		.amdhsa_exception_fp_ieee_overflow 0
		.amdhsa_exception_fp_ieee_underflow 0
		.amdhsa_exception_fp_ieee_inexact 0
		.amdhsa_exception_int_div_zero 0
	.end_amdhsa_kernel
	.section	.text._ZN7rocprim17ROCPRIM_400000_NS6detail17trampoline_kernelINS0_14default_configENS1_25partition_config_selectorILNS1_17partition_subalgoE5EtNS0_10empty_typeEbEEZZNS1_14partition_implILS5_5ELb0ES3_mN6thrust23THRUST_200600_302600_NS6detail15normal_iteratorINSA_10device_ptrItEEEEPS6_NSA_18transform_iteratorINSB_9not_fun_tI7is_trueItEEENSC_INSD_IbEEEENSA_11use_defaultESO_EENS0_5tupleIJNSA_16discard_iteratorISO_EES6_EEENSQ_IJSG_SG_EEES6_PlJS6_EEE10hipError_tPvRmT3_T4_T5_T6_T7_T9_mT8_P12ihipStream_tbDpT10_ENKUlT_T0_E_clISt17integral_constantIbLb1EES1E_IbLb0EEEEDaS1A_S1B_EUlS1A_E_NS1_11comp_targetILNS1_3genE10ELNS1_11target_archE1200ELNS1_3gpuE4ELNS1_3repE0EEENS1_30default_config_static_selectorELNS0_4arch9wavefront6targetE0EEEvT1_,"axG",@progbits,_ZN7rocprim17ROCPRIM_400000_NS6detail17trampoline_kernelINS0_14default_configENS1_25partition_config_selectorILNS1_17partition_subalgoE5EtNS0_10empty_typeEbEEZZNS1_14partition_implILS5_5ELb0ES3_mN6thrust23THRUST_200600_302600_NS6detail15normal_iteratorINSA_10device_ptrItEEEEPS6_NSA_18transform_iteratorINSB_9not_fun_tI7is_trueItEEENSC_INSD_IbEEEENSA_11use_defaultESO_EENS0_5tupleIJNSA_16discard_iteratorISO_EES6_EEENSQ_IJSG_SG_EEES6_PlJS6_EEE10hipError_tPvRmT3_T4_T5_T6_T7_T9_mT8_P12ihipStream_tbDpT10_ENKUlT_T0_E_clISt17integral_constantIbLb1EES1E_IbLb0EEEEDaS1A_S1B_EUlS1A_E_NS1_11comp_targetILNS1_3genE10ELNS1_11target_archE1200ELNS1_3gpuE4ELNS1_3repE0EEENS1_30default_config_static_selectorELNS0_4arch9wavefront6targetE0EEEvT1_,comdat
.Lfunc_end2738:
	.size	_ZN7rocprim17ROCPRIM_400000_NS6detail17trampoline_kernelINS0_14default_configENS1_25partition_config_selectorILNS1_17partition_subalgoE5EtNS0_10empty_typeEbEEZZNS1_14partition_implILS5_5ELb0ES3_mN6thrust23THRUST_200600_302600_NS6detail15normal_iteratorINSA_10device_ptrItEEEEPS6_NSA_18transform_iteratorINSB_9not_fun_tI7is_trueItEEENSC_INSD_IbEEEENSA_11use_defaultESO_EENS0_5tupleIJNSA_16discard_iteratorISO_EES6_EEENSQ_IJSG_SG_EEES6_PlJS6_EEE10hipError_tPvRmT3_T4_T5_T6_T7_T9_mT8_P12ihipStream_tbDpT10_ENKUlT_T0_E_clISt17integral_constantIbLb1EES1E_IbLb0EEEEDaS1A_S1B_EUlS1A_E_NS1_11comp_targetILNS1_3genE10ELNS1_11target_archE1200ELNS1_3gpuE4ELNS1_3repE0EEENS1_30default_config_static_selectorELNS0_4arch9wavefront6targetE0EEEvT1_, .Lfunc_end2738-_ZN7rocprim17ROCPRIM_400000_NS6detail17trampoline_kernelINS0_14default_configENS1_25partition_config_selectorILNS1_17partition_subalgoE5EtNS0_10empty_typeEbEEZZNS1_14partition_implILS5_5ELb0ES3_mN6thrust23THRUST_200600_302600_NS6detail15normal_iteratorINSA_10device_ptrItEEEEPS6_NSA_18transform_iteratorINSB_9not_fun_tI7is_trueItEEENSC_INSD_IbEEEENSA_11use_defaultESO_EENS0_5tupleIJNSA_16discard_iteratorISO_EES6_EEENSQ_IJSG_SG_EEES6_PlJS6_EEE10hipError_tPvRmT3_T4_T5_T6_T7_T9_mT8_P12ihipStream_tbDpT10_ENKUlT_T0_E_clISt17integral_constantIbLb1EES1E_IbLb0EEEEDaS1A_S1B_EUlS1A_E_NS1_11comp_targetILNS1_3genE10ELNS1_11target_archE1200ELNS1_3gpuE4ELNS1_3repE0EEENS1_30default_config_static_selectorELNS0_4arch9wavefront6targetE0EEEvT1_
                                        ; -- End function
	.set _ZN7rocprim17ROCPRIM_400000_NS6detail17trampoline_kernelINS0_14default_configENS1_25partition_config_selectorILNS1_17partition_subalgoE5EtNS0_10empty_typeEbEEZZNS1_14partition_implILS5_5ELb0ES3_mN6thrust23THRUST_200600_302600_NS6detail15normal_iteratorINSA_10device_ptrItEEEEPS6_NSA_18transform_iteratorINSB_9not_fun_tI7is_trueItEEENSC_INSD_IbEEEENSA_11use_defaultESO_EENS0_5tupleIJNSA_16discard_iteratorISO_EES6_EEENSQ_IJSG_SG_EEES6_PlJS6_EEE10hipError_tPvRmT3_T4_T5_T6_T7_T9_mT8_P12ihipStream_tbDpT10_ENKUlT_T0_E_clISt17integral_constantIbLb1EES1E_IbLb0EEEEDaS1A_S1B_EUlS1A_E_NS1_11comp_targetILNS1_3genE10ELNS1_11target_archE1200ELNS1_3gpuE4ELNS1_3repE0EEENS1_30default_config_static_selectorELNS0_4arch9wavefront6targetE0EEEvT1_.num_vgpr, 0
	.set _ZN7rocprim17ROCPRIM_400000_NS6detail17trampoline_kernelINS0_14default_configENS1_25partition_config_selectorILNS1_17partition_subalgoE5EtNS0_10empty_typeEbEEZZNS1_14partition_implILS5_5ELb0ES3_mN6thrust23THRUST_200600_302600_NS6detail15normal_iteratorINSA_10device_ptrItEEEEPS6_NSA_18transform_iteratorINSB_9not_fun_tI7is_trueItEEENSC_INSD_IbEEEENSA_11use_defaultESO_EENS0_5tupleIJNSA_16discard_iteratorISO_EES6_EEENSQ_IJSG_SG_EEES6_PlJS6_EEE10hipError_tPvRmT3_T4_T5_T6_T7_T9_mT8_P12ihipStream_tbDpT10_ENKUlT_T0_E_clISt17integral_constantIbLb1EES1E_IbLb0EEEEDaS1A_S1B_EUlS1A_E_NS1_11comp_targetILNS1_3genE10ELNS1_11target_archE1200ELNS1_3gpuE4ELNS1_3repE0EEENS1_30default_config_static_selectorELNS0_4arch9wavefront6targetE0EEEvT1_.num_agpr, 0
	.set _ZN7rocprim17ROCPRIM_400000_NS6detail17trampoline_kernelINS0_14default_configENS1_25partition_config_selectorILNS1_17partition_subalgoE5EtNS0_10empty_typeEbEEZZNS1_14partition_implILS5_5ELb0ES3_mN6thrust23THRUST_200600_302600_NS6detail15normal_iteratorINSA_10device_ptrItEEEEPS6_NSA_18transform_iteratorINSB_9not_fun_tI7is_trueItEEENSC_INSD_IbEEEENSA_11use_defaultESO_EENS0_5tupleIJNSA_16discard_iteratorISO_EES6_EEENSQ_IJSG_SG_EEES6_PlJS6_EEE10hipError_tPvRmT3_T4_T5_T6_T7_T9_mT8_P12ihipStream_tbDpT10_ENKUlT_T0_E_clISt17integral_constantIbLb1EES1E_IbLb0EEEEDaS1A_S1B_EUlS1A_E_NS1_11comp_targetILNS1_3genE10ELNS1_11target_archE1200ELNS1_3gpuE4ELNS1_3repE0EEENS1_30default_config_static_selectorELNS0_4arch9wavefront6targetE0EEEvT1_.numbered_sgpr, 0
	.set _ZN7rocprim17ROCPRIM_400000_NS6detail17trampoline_kernelINS0_14default_configENS1_25partition_config_selectorILNS1_17partition_subalgoE5EtNS0_10empty_typeEbEEZZNS1_14partition_implILS5_5ELb0ES3_mN6thrust23THRUST_200600_302600_NS6detail15normal_iteratorINSA_10device_ptrItEEEEPS6_NSA_18transform_iteratorINSB_9not_fun_tI7is_trueItEEENSC_INSD_IbEEEENSA_11use_defaultESO_EENS0_5tupleIJNSA_16discard_iteratorISO_EES6_EEENSQ_IJSG_SG_EEES6_PlJS6_EEE10hipError_tPvRmT3_T4_T5_T6_T7_T9_mT8_P12ihipStream_tbDpT10_ENKUlT_T0_E_clISt17integral_constantIbLb1EES1E_IbLb0EEEEDaS1A_S1B_EUlS1A_E_NS1_11comp_targetILNS1_3genE10ELNS1_11target_archE1200ELNS1_3gpuE4ELNS1_3repE0EEENS1_30default_config_static_selectorELNS0_4arch9wavefront6targetE0EEEvT1_.num_named_barrier, 0
	.set _ZN7rocprim17ROCPRIM_400000_NS6detail17trampoline_kernelINS0_14default_configENS1_25partition_config_selectorILNS1_17partition_subalgoE5EtNS0_10empty_typeEbEEZZNS1_14partition_implILS5_5ELb0ES3_mN6thrust23THRUST_200600_302600_NS6detail15normal_iteratorINSA_10device_ptrItEEEEPS6_NSA_18transform_iteratorINSB_9not_fun_tI7is_trueItEEENSC_INSD_IbEEEENSA_11use_defaultESO_EENS0_5tupleIJNSA_16discard_iteratorISO_EES6_EEENSQ_IJSG_SG_EEES6_PlJS6_EEE10hipError_tPvRmT3_T4_T5_T6_T7_T9_mT8_P12ihipStream_tbDpT10_ENKUlT_T0_E_clISt17integral_constantIbLb1EES1E_IbLb0EEEEDaS1A_S1B_EUlS1A_E_NS1_11comp_targetILNS1_3genE10ELNS1_11target_archE1200ELNS1_3gpuE4ELNS1_3repE0EEENS1_30default_config_static_selectorELNS0_4arch9wavefront6targetE0EEEvT1_.private_seg_size, 0
	.set _ZN7rocprim17ROCPRIM_400000_NS6detail17trampoline_kernelINS0_14default_configENS1_25partition_config_selectorILNS1_17partition_subalgoE5EtNS0_10empty_typeEbEEZZNS1_14partition_implILS5_5ELb0ES3_mN6thrust23THRUST_200600_302600_NS6detail15normal_iteratorINSA_10device_ptrItEEEEPS6_NSA_18transform_iteratorINSB_9not_fun_tI7is_trueItEEENSC_INSD_IbEEEENSA_11use_defaultESO_EENS0_5tupleIJNSA_16discard_iteratorISO_EES6_EEENSQ_IJSG_SG_EEES6_PlJS6_EEE10hipError_tPvRmT3_T4_T5_T6_T7_T9_mT8_P12ihipStream_tbDpT10_ENKUlT_T0_E_clISt17integral_constantIbLb1EES1E_IbLb0EEEEDaS1A_S1B_EUlS1A_E_NS1_11comp_targetILNS1_3genE10ELNS1_11target_archE1200ELNS1_3gpuE4ELNS1_3repE0EEENS1_30default_config_static_selectorELNS0_4arch9wavefront6targetE0EEEvT1_.uses_vcc, 0
	.set _ZN7rocprim17ROCPRIM_400000_NS6detail17trampoline_kernelINS0_14default_configENS1_25partition_config_selectorILNS1_17partition_subalgoE5EtNS0_10empty_typeEbEEZZNS1_14partition_implILS5_5ELb0ES3_mN6thrust23THRUST_200600_302600_NS6detail15normal_iteratorINSA_10device_ptrItEEEEPS6_NSA_18transform_iteratorINSB_9not_fun_tI7is_trueItEEENSC_INSD_IbEEEENSA_11use_defaultESO_EENS0_5tupleIJNSA_16discard_iteratorISO_EES6_EEENSQ_IJSG_SG_EEES6_PlJS6_EEE10hipError_tPvRmT3_T4_T5_T6_T7_T9_mT8_P12ihipStream_tbDpT10_ENKUlT_T0_E_clISt17integral_constantIbLb1EES1E_IbLb0EEEEDaS1A_S1B_EUlS1A_E_NS1_11comp_targetILNS1_3genE10ELNS1_11target_archE1200ELNS1_3gpuE4ELNS1_3repE0EEENS1_30default_config_static_selectorELNS0_4arch9wavefront6targetE0EEEvT1_.uses_flat_scratch, 0
	.set _ZN7rocprim17ROCPRIM_400000_NS6detail17trampoline_kernelINS0_14default_configENS1_25partition_config_selectorILNS1_17partition_subalgoE5EtNS0_10empty_typeEbEEZZNS1_14partition_implILS5_5ELb0ES3_mN6thrust23THRUST_200600_302600_NS6detail15normal_iteratorINSA_10device_ptrItEEEEPS6_NSA_18transform_iteratorINSB_9not_fun_tI7is_trueItEEENSC_INSD_IbEEEENSA_11use_defaultESO_EENS0_5tupleIJNSA_16discard_iteratorISO_EES6_EEENSQ_IJSG_SG_EEES6_PlJS6_EEE10hipError_tPvRmT3_T4_T5_T6_T7_T9_mT8_P12ihipStream_tbDpT10_ENKUlT_T0_E_clISt17integral_constantIbLb1EES1E_IbLb0EEEEDaS1A_S1B_EUlS1A_E_NS1_11comp_targetILNS1_3genE10ELNS1_11target_archE1200ELNS1_3gpuE4ELNS1_3repE0EEENS1_30default_config_static_selectorELNS0_4arch9wavefront6targetE0EEEvT1_.has_dyn_sized_stack, 0
	.set _ZN7rocprim17ROCPRIM_400000_NS6detail17trampoline_kernelINS0_14default_configENS1_25partition_config_selectorILNS1_17partition_subalgoE5EtNS0_10empty_typeEbEEZZNS1_14partition_implILS5_5ELb0ES3_mN6thrust23THRUST_200600_302600_NS6detail15normal_iteratorINSA_10device_ptrItEEEEPS6_NSA_18transform_iteratorINSB_9not_fun_tI7is_trueItEEENSC_INSD_IbEEEENSA_11use_defaultESO_EENS0_5tupleIJNSA_16discard_iteratorISO_EES6_EEENSQ_IJSG_SG_EEES6_PlJS6_EEE10hipError_tPvRmT3_T4_T5_T6_T7_T9_mT8_P12ihipStream_tbDpT10_ENKUlT_T0_E_clISt17integral_constantIbLb1EES1E_IbLb0EEEEDaS1A_S1B_EUlS1A_E_NS1_11comp_targetILNS1_3genE10ELNS1_11target_archE1200ELNS1_3gpuE4ELNS1_3repE0EEENS1_30default_config_static_selectorELNS0_4arch9wavefront6targetE0EEEvT1_.has_recursion, 0
	.set _ZN7rocprim17ROCPRIM_400000_NS6detail17trampoline_kernelINS0_14default_configENS1_25partition_config_selectorILNS1_17partition_subalgoE5EtNS0_10empty_typeEbEEZZNS1_14partition_implILS5_5ELb0ES3_mN6thrust23THRUST_200600_302600_NS6detail15normal_iteratorINSA_10device_ptrItEEEEPS6_NSA_18transform_iteratorINSB_9not_fun_tI7is_trueItEEENSC_INSD_IbEEEENSA_11use_defaultESO_EENS0_5tupleIJNSA_16discard_iteratorISO_EES6_EEENSQ_IJSG_SG_EEES6_PlJS6_EEE10hipError_tPvRmT3_T4_T5_T6_T7_T9_mT8_P12ihipStream_tbDpT10_ENKUlT_T0_E_clISt17integral_constantIbLb1EES1E_IbLb0EEEEDaS1A_S1B_EUlS1A_E_NS1_11comp_targetILNS1_3genE10ELNS1_11target_archE1200ELNS1_3gpuE4ELNS1_3repE0EEENS1_30default_config_static_selectorELNS0_4arch9wavefront6targetE0EEEvT1_.has_indirect_call, 0
	.section	.AMDGPU.csdata,"",@progbits
; Kernel info:
; codeLenInByte = 4
; TotalNumSgprs: 0
; NumVgprs: 0
; ScratchSize: 0
; MemoryBound: 0
; FloatMode: 240
; IeeeMode: 1
; LDSByteSize: 0 bytes/workgroup (compile time only)
; SGPRBlocks: 0
; VGPRBlocks: 0
; NumSGPRsForWavesPerEU: 1
; NumVGPRsForWavesPerEU: 1
; Occupancy: 16
; WaveLimiterHint : 0
; COMPUTE_PGM_RSRC2:SCRATCH_EN: 0
; COMPUTE_PGM_RSRC2:USER_SGPR: 2
; COMPUTE_PGM_RSRC2:TRAP_HANDLER: 0
; COMPUTE_PGM_RSRC2:TGID_X_EN: 1
; COMPUTE_PGM_RSRC2:TGID_Y_EN: 0
; COMPUTE_PGM_RSRC2:TGID_Z_EN: 0
; COMPUTE_PGM_RSRC2:TIDIG_COMP_CNT: 0
	.section	.text._ZN7rocprim17ROCPRIM_400000_NS6detail17trampoline_kernelINS0_14default_configENS1_25partition_config_selectorILNS1_17partition_subalgoE5EtNS0_10empty_typeEbEEZZNS1_14partition_implILS5_5ELb0ES3_mN6thrust23THRUST_200600_302600_NS6detail15normal_iteratorINSA_10device_ptrItEEEEPS6_NSA_18transform_iteratorINSB_9not_fun_tI7is_trueItEEENSC_INSD_IbEEEENSA_11use_defaultESO_EENS0_5tupleIJNSA_16discard_iteratorISO_EES6_EEENSQ_IJSG_SG_EEES6_PlJS6_EEE10hipError_tPvRmT3_T4_T5_T6_T7_T9_mT8_P12ihipStream_tbDpT10_ENKUlT_T0_E_clISt17integral_constantIbLb1EES1E_IbLb0EEEEDaS1A_S1B_EUlS1A_E_NS1_11comp_targetILNS1_3genE9ELNS1_11target_archE1100ELNS1_3gpuE3ELNS1_3repE0EEENS1_30default_config_static_selectorELNS0_4arch9wavefront6targetE0EEEvT1_,"axG",@progbits,_ZN7rocprim17ROCPRIM_400000_NS6detail17trampoline_kernelINS0_14default_configENS1_25partition_config_selectorILNS1_17partition_subalgoE5EtNS0_10empty_typeEbEEZZNS1_14partition_implILS5_5ELb0ES3_mN6thrust23THRUST_200600_302600_NS6detail15normal_iteratorINSA_10device_ptrItEEEEPS6_NSA_18transform_iteratorINSB_9not_fun_tI7is_trueItEEENSC_INSD_IbEEEENSA_11use_defaultESO_EENS0_5tupleIJNSA_16discard_iteratorISO_EES6_EEENSQ_IJSG_SG_EEES6_PlJS6_EEE10hipError_tPvRmT3_T4_T5_T6_T7_T9_mT8_P12ihipStream_tbDpT10_ENKUlT_T0_E_clISt17integral_constantIbLb1EES1E_IbLb0EEEEDaS1A_S1B_EUlS1A_E_NS1_11comp_targetILNS1_3genE9ELNS1_11target_archE1100ELNS1_3gpuE3ELNS1_3repE0EEENS1_30default_config_static_selectorELNS0_4arch9wavefront6targetE0EEEvT1_,comdat
	.protected	_ZN7rocprim17ROCPRIM_400000_NS6detail17trampoline_kernelINS0_14default_configENS1_25partition_config_selectorILNS1_17partition_subalgoE5EtNS0_10empty_typeEbEEZZNS1_14partition_implILS5_5ELb0ES3_mN6thrust23THRUST_200600_302600_NS6detail15normal_iteratorINSA_10device_ptrItEEEEPS6_NSA_18transform_iteratorINSB_9not_fun_tI7is_trueItEEENSC_INSD_IbEEEENSA_11use_defaultESO_EENS0_5tupleIJNSA_16discard_iteratorISO_EES6_EEENSQ_IJSG_SG_EEES6_PlJS6_EEE10hipError_tPvRmT3_T4_T5_T6_T7_T9_mT8_P12ihipStream_tbDpT10_ENKUlT_T0_E_clISt17integral_constantIbLb1EES1E_IbLb0EEEEDaS1A_S1B_EUlS1A_E_NS1_11comp_targetILNS1_3genE9ELNS1_11target_archE1100ELNS1_3gpuE3ELNS1_3repE0EEENS1_30default_config_static_selectorELNS0_4arch9wavefront6targetE0EEEvT1_ ; -- Begin function _ZN7rocprim17ROCPRIM_400000_NS6detail17trampoline_kernelINS0_14default_configENS1_25partition_config_selectorILNS1_17partition_subalgoE5EtNS0_10empty_typeEbEEZZNS1_14partition_implILS5_5ELb0ES3_mN6thrust23THRUST_200600_302600_NS6detail15normal_iteratorINSA_10device_ptrItEEEEPS6_NSA_18transform_iteratorINSB_9not_fun_tI7is_trueItEEENSC_INSD_IbEEEENSA_11use_defaultESO_EENS0_5tupleIJNSA_16discard_iteratorISO_EES6_EEENSQ_IJSG_SG_EEES6_PlJS6_EEE10hipError_tPvRmT3_T4_T5_T6_T7_T9_mT8_P12ihipStream_tbDpT10_ENKUlT_T0_E_clISt17integral_constantIbLb1EES1E_IbLb0EEEEDaS1A_S1B_EUlS1A_E_NS1_11comp_targetILNS1_3genE9ELNS1_11target_archE1100ELNS1_3gpuE3ELNS1_3repE0EEENS1_30default_config_static_selectorELNS0_4arch9wavefront6targetE0EEEvT1_
	.globl	_ZN7rocprim17ROCPRIM_400000_NS6detail17trampoline_kernelINS0_14default_configENS1_25partition_config_selectorILNS1_17partition_subalgoE5EtNS0_10empty_typeEbEEZZNS1_14partition_implILS5_5ELb0ES3_mN6thrust23THRUST_200600_302600_NS6detail15normal_iteratorINSA_10device_ptrItEEEEPS6_NSA_18transform_iteratorINSB_9not_fun_tI7is_trueItEEENSC_INSD_IbEEEENSA_11use_defaultESO_EENS0_5tupleIJNSA_16discard_iteratorISO_EES6_EEENSQ_IJSG_SG_EEES6_PlJS6_EEE10hipError_tPvRmT3_T4_T5_T6_T7_T9_mT8_P12ihipStream_tbDpT10_ENKUlT_T0_E_clISt17integral_constantIbLb1EES1E_IbLb0EEEEDaS1A_S1B_EUlS1A_E_NS1_11comp_targetILNS1_3genE9ELNS1_11target_archE1100ELNS1_3gpuE3ELNS1_3repE0EEENS1_30default_config_static_selectorELNS0_4arch9wavefront6targetE0EEEvT1_
	.p2align	8
	.type	_ZN7rocprim17ROCPRIM_400000_NS6detail17trampoline_kernelINS0_14default_configENS1_25partition_config_selectorILNS1_17partition_subalgoE5EtNS0_10empty_typeEbEEZZNS1_14partition_implILS5_5ELb0ES3_mN6thrust23THRUST_200600_302600_NS6detail15normal_iteratorINSA_10device_ptrItEEEEPS6_NSA_18transform_iteratorINSB_9not_fun_tI7is_trueItEEENSC_INSD_IbEEEENSA_11use_defaultESO_EENS0_5tupleIJNSA_16discard_iteratorISO_EES6_EEENSQ_IJSG_SG_EEES6_PlJS6_EEE10hipError_tPvRmT3_T4_T5_T6_T7_T9_mT8_P12ihipStream_tbDpT10_ENKUlT_T0_E_clISt17integral_constantIbLb1EES1E_IbLb0EEEEDaS1A_S1B_EUlS1A_E_NS1_11comp_targetILNS1_3genE9ELNS1_11target_archE1100ELNS1_3gpuE3ELNS1_3repE0EEENS1_30default_config_static_selectorELNS0_4arch9wavefront6targetE0EEEvT1_,@function
_ZN7rocprim17ROCPRIM_400000_NS6detail17trampoline_kernelINS0_14default_configENS1_25partition_config_selectorILNS1_17partition_subalgoE5EtNS0_10empty_typeEbEEZZNS1_14partition_implILS5_5ELb0ES3_mN6thrust23THRUST_200600_302600_NS6detail15normal_iteratorINSA_10device_ptrItEEEEPS6_NSA_18transform_iteratorINSB_9not_fun_tI7is_trueItEEENSC_INSD_IbEEEENSA_11use_defaultESO_EENS0_5tupleIJNSA_16discard_iteratorISO_EES6_EEENSQ_IJSG_SG_EEES6_PlJS6_EEE10hipError_tPvRmT3_T4_T5_T6_T7_T9_mT8_P12ihipStream_tbDpT10_ENKUlT_T0_E_clISt17integral_constantIbLb1EES1E_IbLb0EEEEDaS1A_S1B_EUlS1A_E_NS1_11comp_targetILNS1_3genE9ELNS1_11target_archE1100ELNS1_3gpuE3ELNS1_3repE0EEENS1_30default_config_static_selectorELNS0_4arch9wavefront6targetE0EEEvT1_: ; @_ZN7rocprim17ROCPRIM_400000_NS6detail17trampoline_kernelINS0_14default_configENS1_25partition_config_selectorILNS1_17partition_subalgoE5EtNS0_10empty_typeEbEEZZNS1_14partition_implILS5_5ELb0ES3_mN6thrust23THRUST_200600_302600_NS6detail15normal_iteratorINSA_10device_ptrItEEEEPS6_NSA_18transform_iteratorINSB_9not_fun_tI7is_trueItEEENSC_INSD_IbEEEENSA_11use_defaultESO_EENS0_5tupleIJNSA_16discard_iteratorISO_EES6_EEENSQ_IJSG_SG_EEES6_PlJS6_EEE10hipError_tPvRmT3_T4_T5_T6_T7_T9_mT8_P12ihipStream_tbDpT10_ENKUlT_T0_E_clISt17integral_constantIbLb1EES1E_IbLb0EEEEDaS1A_S1B_EUlS1A_E_NS1_11comp_targetILNS1_3genE9ELNS1_11target_archE1100ELNS1_3gpuE3ELNS1_3repE0EEENS1_30default_config_static_selectorELNS0_4arch9wavefront6targetE0EEEvT1_
; %bb.0:
	.section	.rodata,"a",@progbits
	.p2align	6, 0x0
	.amdhsa_kernel _ZN7rocprim17ROCPRIM_400000_NS6detail17trampoline_kernelINS0_14default_configENS1_25partition_config_selectorILNS1_17partition_subalgoE5EtNS0_10empty_typeEbEEZZNS1_14partition_implILS5_5ELb0ES3_mN6thrust23THRUST_200600_302600_NS6detail15normal_iteratorINSA_10device_ptrItEEEEPS6_NSA_18transform_iteratorINSB_9not_fun_tI7is_trueItEEENSC_INSD_IbEEEENSA_11use_defaultESO_EENS0_5tupleIJNSA_16discard_iteratorISO_EES6_EEENSQ_IJSG_SG_EEES6_PlJS6_EEE10hipError_tPvRmT3_T4_T5_T6_T7_T9_mT8_P12ihipStream_tbDpT10_ENKUlT_T0_E_clISt17integral_constantIbLb1EES1E_IbLb0EEEEDaS1A_S1B_EUlS1A_E_NS1_11comp_targetILNS1_3genE9ELNS1_11target_archE1100ELNS1_3gpuE3ELNS1_3repE0EEENS1_30default_config_static_selectorELNS0_4arch9wavefront6targetE0EEEvT1_
		.amdhsa_group_segment_fixed_size 0
		.amdhsa_private_segment_fixed_size 0
		.amdhsa_kernarg_size 128
		.amdhsa_user_sgpr_count 2
		.amdhsa_user_sgpr_dispatch_ptr 0
		.amdhsa_user_sgpr_queue_ptr 0
		.amdhsa_user_sgpr_kernarg_segment_ptr 1
		.amdhsa_user_sgpr_dispatch_id 0
		.amdhsa_user_sgpr_private_segment_size 0
		.amdhsa_wavefront_size32 1
		.amdhsa_uses_dynamic_stack 0
		.amdhsa_enable_private_segment 0
		.amdhsa_system_sgpr_workgroup_id_x 1
		.amdhsa_system_sgpr_workgroup_id_y 0
		.amdhsa_system_sgpr_workgroup_id_z 0
		.amdhsa_system_sgpr_workgroup_info 0
		.amdhsa_system_vgpr_workitem_id 0
		.amdhsa_next_free_vgpr 1
		.amdhsa_next_free_sgpr 1
		.amdhsa_reserve_vcc 0
		.amdhsa_float_round_mode_32 0
		.amdhsa_float_round_mode_16_64 0
		.amdhsa_float_denorm_mode_32 3
		.amdhsa_float_denorm_mode_16_64 3
		.amdhsa_fp16_overflow 0
		.amdhsa_workgroup_processor_mode 1
		.amdhsa_memory_ordered 1
		.amdhsa_forward_progress 1
		.amdhsa_inst_pref_size 0
		.amdhsa_round_robin_scheduling 0
		.amdhsa_exception_fp_ieee_invalid_op 0
		.amdhsa_exception_fp_denorm_src 0
		.amdhsa_exception_fp_ieee_div_zero 0
		.amdhsa_exception_fp_ieee_overflow 0
		.amdhsa_exception_fp_ieee_underflow 0
		.amdhsa_exception_fp_ieee_inexact 0
		.amdhsa_exception_int_div_zero 0
	.end_amdhsa_kernel
	.section	.text._ZN7rocprim17ROCPRIM_400000_NS6detail17trampoline_kernelINS0_14default_configENS1_25partition_config_selectorILNS1_17partition_subalgoE5EtNS0_10empty_typeEbEEZZNS1_14partition_implILS5_5ELb0ES3_mN6thrust23THRUST_200600_302600_NS6detail15normal_iteratorINSA_10device_ptrItEEEEPS6_NSA_18transform_iteratorINSB_9not_fun_tI7is_trueItEEENSC_INSD_IbEEEENSA_11use_defaultESO_EENS0_5tupleIJNSA_16discard_iteratorISO_EES6_EEENSQ_IJSG_SG_EEES6_PlJS6_EEE10hipError_tPvRmT3_T4_T5_T6_T7_T9_mT8_P12ihipStream_tbDpT10_ENKUlT_T0_E_clISt17integral_constantIbLb1EES1E_IbLb0EEEEDaS1A_S1B_EUlS1A_E_NS1_11comp_targetILNS1_3genE9ELNS1_11target_archE1100ELNS1_3gpuE3ELNS1_3repE0EEENS1_30default_config_static_selectorELNS0_4arch9wavefront6targetE0EEEvT1_,"axG",@progbits,_ZN7rocprim17ROCPRIM_400000_NS6detail17trampoline_kernelINS0_14default_configENS1_25partition_config_selectorILNS1_17partition_subalgoE5EtNS0_10empty_typeEbEEZZNS1_14partition_implILS5_5ELb0ES3_mN6thrust23THRUST_200600_302600_NS6detail15normal_iteratorINSA_10device_ptrItEEEEPS6_NSA_18transform_iteratorINSB_9not_fun_tI7is_trueItEEENSC_INSD_IbEEEENSA_11use_defaultESO_EENS0_5tupleIJNSA_16discard_iteratorISO_EES6_EEENSQ_IJSG_SG_EEES6_PlJS6_EEE10hipError_tPvRmT3_T4_T5_T6_T7_T9_mT8_P12ihipStream_tbDpT10_ENKUlT_T0_E_clISt17integral_constantIbLb1EES1E_IbLb0EEEEDaS1A_S1B_EUlS1A_E_NS1_11comp_targetILNS1_3genE9ELNS1_11target_archE1100ELNS1_3gpuE3ELNS1_3repE0EEENS1_30default_config_static_selectorELNS0_4arch9wavefront6targetE0EEEvT1_,comdat
.Lfunc_end2739:
	.size	_ZN7rocprim17ROCPRIM_400000_NS6detail17trampoline_kernelINS0_14default_configENS1_25partition_config_selectorILNS1_17partition_subalgoE5EtNS0_10empty_typeEbEEZZNS1_14partition_implILS5_5ELb0ES3_mN6thrust23THRUST_200600_302600_NS6detail15normal_iteratorINSA_10device_ptrItEEEEPS6_NSA_18transform_iteratorINSB_9not_fun_tI7is_trueItEEENSC_INSD_IbEEEENSA_11use_defaultESO_EENS0_5tupleIJNSA_16discard_iteratorISO_EES6_EEENSQ_IJSG_SG_EEES6_PlJS6_EEE10hipError_tPvRmT3_T4_T5_T6_T7_T9_mT8_P12ihipStream_tbDpT10_ENKUlT_T0_E_clISt17integral_constantIbLb1EES1E_IbLb0EEEEDaS1A_S1B_EUlS1A_E_NS1_11comp_targetILNS1_3genE9ELNS1_11target_archE1100ELNS1_3gpuE3ELNS1_3repE0EEENS1_30default_config_static_selectorELNS0_4arch9wavefront6targetE0EEEvT1_, .Lfunc_end2739-_ZN7rocprim17ROCPRIM_400000_NS6detail17trampoline_kernelINS0_14default_configENS1_25partition_config_selectorILNS1_17partition_subalgoE5EtNS0_10empty_typeEbEEZZNS1_14partition_implILS5_5ELb0ES3_mN6thrust23THRUST_200600_302600_NS6detail15normal_iteratorINSA_10device_ptrItEEEEPS6_NSA_18transform_iteratorINSB_9not_fun_tI7is_trueItEEENSC_INSD_IbEEEENSA_11use_defaultESO_EENS0_5tupleIJNSA_16discard_iteratorISO_EES6_EEENSQ_IJSG_SG_EEES6_PlJS6_EEE10hipError_tPvRmT3_T4_T5_T6_T7_T9_mT8_P12ihipStream_tbDpT10_ENKUlT_T0_E_clISt17integral_constantIbLb1EES1E_IbLb0EEEEDaS1A_S1B_EUlS1A_E_NS1_11comp_targetILNS1_3genE9ELNS1_11target_archE1100ELNS1_3gpuE3ELNS1_3repE0EEENS1_30default_config_static_selectorELNS0_4arch9wavefront6targetE0EEEvT1_
                                        ; -- End function
	.set _ZN7rocprim17ROCPRIM_400000_NS6detail17trampoline_kernelINS0_14default_configENS1_25partition_config_selectorILNS1_17partition_subalgoE5EtNS0_10empty_typeEbEEZZNS1_14partition_implILS5_5ELb0ES3_mN6thrust23THRUST_200600_302600_NS6detail15normal_iteratorINSA_10device_ptrItEEEEPS6_NSA_18transform_iteratorINSB_9not_fun_tI7is_trueItEEENSC_INSD_IbEEEENSA_11use_defaultESO_EENS0_5tupleIJNSA_16discard_iteratorISO_EES6_EEENSQ_IJSG_SG_EEES6_PlJS6_EEE10hipError_tPvRmT3_T4_T5_T6_T7_T9_mT8_P12ihipStream_tbDpT10_ENKUlT_T0_E_clISt17integral_constantIbLb1EES1E_IbLb0EEEEDaS1A_S1B_EUlS1A_E_NS1_11comp_targetILNS1_3genE9ELNS1_11target_archE1100ELNS1_3gpuE3ELNS1_3repE0EEENS1_30default_config_static_selectorELNS0_4arch9wavefront6targetE0EEEvT1_.num_vgpr, 0
	.set _ZN7rocprim17ROCPRIM_400000_NS6detail17trampoline_kernelINS0_14default_configENS1_25partition_config_selectorILNS1_17partition_subalgoE5EtNS0_10empty_typeEbEEZZNS1_14partition_implILS5_5ELb0ES3_mN6thrust23THRUST_200600_302600_NS6detail15normal_iteratorINSA_10device_ptrItEEEEPS6_NSA_18transform_iteratorINSB_9not_fun_tI7is_trueItEEENSC_INSD_IbEEEENSA_11use_defaultESO_EENS0_5tupleIJNSA_16discard_iteratorISO_EES6_EEENSQ_IJSG_SG_EEES6_PlJS6_EEE10hipError_tPvRmT3_T4_T5_T6_T7_T9_mT8_P12ihipStream_tbDpT10_ENKUlT_T0_E_clISt17integral_constantIbLb1EES1E_IbLb0EEEEDaS1A_S1B_EUlS1A_E_NS1_11comp_targetILNS1_3genE9ELNS1_11target_archE1100ELNS1_3gpuE3ELNS1_3repE0EEENS1_30default_config_static_selectorELNS0_4arch9wavefront6targetE0EEEvT1_.num_agpr, 0
	.set _ZN7rocprim17ROCPRIM_400000_NS6detail17trampoline_kernelINS0_14default_configENS1_25partition_config_selectorILNS1_17partition_subalgoE5EtNS0_10empty_typeEbEEZZNS1_14partition_implILS5_5ELb0ES3_mN6thrust23THRUST_200600_302600_NS6detail15normal_iteratorINSA_10device_ptrItEEEEPS6_NSA_18transform_iteratorINSB_9not_fun_tI7is_trueItEEENSC_INSD_IbEEEENSA_11use_defaultESO_EENS0_5tupleIJNSA_16discard_iteratorISO_EES6_EEENSQ_IJSG_SG_EEES6_PlJS6_EEE10hipError_tPvRmT3_T4_T5_T6_T7_T9_mT8_P12ihipStream_tbDpT10_ENKUlT_T0_E_clISt17integral_constantIbLb1EES1E_IbLb0EEEEDaS1A_S1B_EUlS1A_E_NS1_11comp_targetILNS1_3genE9ELNS1_11target_archE1100ELNS1_3gpuE3ELNS1_3repE0EEENS1_30default_config_static_selectorELNS0_4arch9wavefront6targetE0EEEvT1_.numbered_sgpr, 0
	.set _ZN7rocprim17ROCPRIM_400000_NS6detail17trampoline_kernelINS0_14default_configENS1_25partition_config_selectorILNS1_17partition_subalgoE5EtNS0_10empty_typeEbEEZZNS1_14partition_implILS5_5ELb0ES3_mN6thrust23THRUST_200600_302600_NS6detail15normal_iteratorINSA_10device_ptrItEEEEPS6_NSA_18transform_iteratorINSB_9not_fun_tI7is_trueItEEENSC_INSD_IbEEEENSA_11use_defaultESO_EENS0_5tupleIJNSA_16discard_iteratorISO_EES6_EEENSQ_IJSG_SG_EEES6_PlJS6_EEE10hipError_tPvRmT3_T4_T5_T6_T7_T9_mT8_P12ihipStream_tbDpT10_ENKUlT_T0_E_clISt17integral_constantIbLb1EES1E_IbLb0EEEEDaS1A_S1B_EUlS1A_E_NS1_11comp_targetILNS1_3genE9ELNS1_11target_archE1100ELNS1_3gpuE3ELNS1_3repE0EEENS1_30default_config_static_selectorELNS0_4arch9wavefront6targetE0EEEvT1_.num_named_barrier, 0
	.set _ZN7rocprim17ROCPRIM_400000_NS6detail17trampoline_kernelINS0_14default_configENS1_25partition_config_selectorILNS1_17partition_subalgoE5EtNS0_10empty_typeEbEEZZNS1_14partition_implILS5_5ELb0ES3_mN6thrust23THRUST_200600_302600_NS6detail15normal_iteratorINSA_10device_ptrItEEEEPS6_NSA_18transform_iteratorINSB_9not_fun_tI7is_trueItEEENSC_INSD_IbEEEENSA_11use_defaultESO_EENS0_5tupleIJNSA_16discard_iteratorISO_EES6_EEENSQ_IJSG_SG_EEES6_PlJS6_EEE10hipError_tPvRmT3_T4_T5_T6_T7_T9_mT8_P12ihipStream_tbDpT10_ENKUlT_T0_E_clISt17integral_constantIbLb1EES1E_IbLb0EEEEDaS1A_S1B_EUlS1A_E_NS1_11comp_targetILNS1_3genE9ELNS1_11target_archE1100ELNS1_3gpuE3ELNS1_3repE0EEENS1_30default_config_static_selectorELNS0_4arch9wavefront6targetE0EEEvT1_.private_seg_size, 0
	.set _ZN7rocprim17ROCPRIM_400000_NS6detail17trampoline_kernelINS0_14default_configENS1_25partition_config_selectorILNS1_17partition_subalgoE5EtNS0_10empty_typeEbEEZZNS1_14partition_implILS5_5ELb0ES3_mN6thrust23THRUST_200600_302600_NS6detail15normal_iteratorINSA_10device_ptrItEEEEPS6_NSA_18transform_iteratorINSB_9not_fun_tI7is_trueItEEENSC_INSD_IbEEEENSA_11use_defaultESO_EENS0_5tupleIJNSA_16discard_iteratorISO_EES6_EEENSQ_IJSG_SG_EEES6_PlJS6_EEE10hipError_tPvRmT3_T4_T5_T6_T7_T9_mT8_P12ihipStream_tbDpT10_ENKUlT_T0_E_clISt17integral_constantIbLb1EES1E_IbLb0EEEEDaS1A_S1B_EUlS1A_E_NS1_11comp_targetILNS1_3genE9ELNS1_11target_archE1100ELNS1_3gpuE3ELNS1_3repE0EEENS1_30default_config_static_selectorELNS0_4arch9wavefront6targetE0EEEvT1_.uses_vcc, 0
	.set _ZN7rocprim17ROCPRIM_400000_NS6detail17trampoline_kernelINS0_14default_configENS1_25partition_config_selectorILNS1_17partition_subalgoE5EtNS0_10empty_typeEbEEZZNS1_14partition_implILS5_5ELb0ES3_mN6thrust23THRUST_200600_302600_NS6detail15normal_iteratorINSA_10device_ptrItEEEEPS6_NSA_18transform_iteratorINSB_9not_fun_tI7is_trueItEEENSC_INSD_IbEEEENSA_11use_defaultESO_EENS0_5tupleIJNSA_16discard_iteratorISO_EES6_EEENSQ_IJSG_SG_EEES6_PlJS6_EEE10hipError_tPvRmT3_T4_T5_T6_T7_T9_mT8_P12ihipStream_tbDpT10_ENKUlT_T0_E_clISt17integral_constantIbLb1EES1E_IbLb0EEEEDaS1A_S1B_EUlS1A_E_NS1_11comp_targetILNS1_3genE9ELNS1_11target_archE1100ELNS1_3gpuE3ELNS1_3repE0EEENS1_30default_config_static_selectorELNS0_4arch9wavefront6targetE0EEEvT1_.uses_flat_scratch, 0
	.set _ZN7rocprim17ROCPRIM_400000_NS6detail17trampoline_kernelINS0_14default_configENS1_25partition_config_selectorILNS1_17partition_subalgoE5EtNS0_10empty_typeEbEEZZNS1_14partition_implILS5_5ELb0ES3_mN6thrust23THRUST_200600_302600_NS6detail15normal_iteratorINSA_10device_ptrItEEEEPS6_NSA_18transform_iteratorINSB_9not_fun_tI7is_trueItEEENSC_INSD_IbEEEENSA_11use_defaultESO_EENS0_5tupleIJNSA_16discard_iteratorISO_EES6_EEENSQ_IJSG_SG_EEES6_PlJS6_EEE10hipError_tPvRmT3_T4_T5_T6_T7_T9_mT8_P12ihipStream_tbDpT10_ENKUlT_T0_E_clISt17integral_constantIbLb1EES1E_IbLb0EEEEDaS1A_S1B_EUlS1A_E_NS1_11comp_targetILNS1_3genE9ELNS1_11target_archE1100ELNS1_3gpuE3ELNS1_3repE0EEENS1_30default_config_static_selectorELNS0_4arch9wavefront6targetE0EEEvT1_.has_dyn_sized_stack, 0
	.set _ZN7rocprim17ROCPRIM_400000_NS6detail17trampoline_kernelINS0_14default_configENS1_25partition_config_selectorILNS1_17partition_subalgoE5EtNS0_10empty_typeEbEEZZNS1_14partition_implILS5_5ELb0ES3_mN6thrust23THRUST_200600_302600_NS6detail15normal_iteratorINSA_10device_ptrItEEEEPS6_NSA_18transform_iteratorINSB_9not_fun_tI7is_trueItEEENSC_INSD_IbEEEENSA_11use_defaultESO_EENS0_5tupleIJNSA_16discard_iteratorISO_EES6_EEENSQ_IJSG_SG_EEES6_PlJS6_EEE10hipError_tPvRmT3_T4_T5_T6_T7_T9_mT8_P12ihipStream_tbDpT10_ENKUlT_T0_E_clISt17integral_constantIbLb1EES1E_IbLb0EEEEDaS1A_S1B_EUlS1A_E_NS1_11comp_targetILNS1_3genE9ELNS1_11target_archE1100ELNS1_3gpuE3ELNS1_3repE0EEENS1_30default_config_static_selectorELNS0_4arch9wavefront6targetE0EEEvT1_.has_recursion, 0
	.set _ZN7rocprim17ROCPRIM_400000_NS6detail17trampoline_kernelINS0_14default_configENS1_25partition_config_selectorILNS1_17partition_subalgoE5EtNS0_10empty_typeEbEEZZNS1_14partition_implILS5_5ELb0ES3_mN6thrust23THRUST_200600_302600_NS6detail15normal_iteratorINSA_10device_ptrItEEEEPS6_NSA_18transform_iteratorINSB_9not_fun_tI7is_trueItEEENSC_INSD_IbEEEENSA_11use_defaultESO_EENS0_5tupleIJNSA_16discard_iteratorISO_EES6_EEENSQ_IJSG_SG_EEES6_PlJS6_EEE10hipError_tPvRmT3_T4_T5_T6_T7_T9_mT8_P12ihipStream_tbDpT10_ENKUlT_T0_E_clISt17integral_constantIbLb1EES1E_IbLb0EEEEDaS1A_S1B_EUlS1A_E_NS1_11comp_targetILNS1_3genE9ELNS1_11target_archE1100ELNS1_3gpuE3ELNS1_3repE0EEENS1_30default_config_static_selectorELNS0_4arch9wavefront6targetE0EEEvT1_.has_indirect_call, 0
	.section	.AMDGPU.csdata,"",@progbits
; Kernel info:
; codeLenInByte = 0
; TotalNumSgprs: 0
; NumVgprs: 0
; ScratchSize: 0
; MemoryBound: 0
; FloatMode: 240
; IeeeMode: 1
; LDSByteSize: 0 bytes/workgroup (compile time only)
; SGPRBlocks: 0
; VGPRBlocks: 0
; NumSGPRsForWavesPerEU: 1
; NumVGPRsForWavesPerEU: 1
; Occupancy: 16
; WaveLimiterHint : 0
; COMPUTE_PGM_RSRC2:SCRATCH_EN: 0
; COMPUTE_PGM_RSRC2:USER_SGPR: 2
; COMPUTE_PGM_RSRC2:TRAP_HANDLER: 0
; COMPUTE_PGM_RSRC2:TGID_X_EN: 1
; COMPUTE_PGM_RSRC2:TGID_Y_EN: 0
; COMPUTE_PGM_RSRC2:TGID_Z_EN: 0
; COMPUTE_PGM_RSRC2:TIDIG_COMP_CNT: 0
	.section	.text._ZN7rocprim17ROCPRIM_400000_NS6detail17trampoline_kernelINS0_14default_configENS1_25partition_config_selectorILNS1_17partition_subalgoE5EtNS0_10empty_typeEbEEZZNS1_14partition_implILS5_5ELb0ES3_mN6thrust23THRUST_200600_302600_NS6detail15normal_iteratorINSA_10device_ptrItEEEEPS6_NSA_18transform_iteratorINSB_9not_fun_tI7is_trueItEEENSC_INSD_IbEEEENSA_11use_defaultESO_EENS0_5tupleIJNSA_16discard_iteratorISO_EES6_EEENSQ_IJSG_SG_EEES6_PlJS6_EEE10hipError_tPvRmT3_T4_T5_T6_T7_T9_mT8_P12ihipStream_tbDpT10_ENKUlT_T0_E_clISt17integral_constantIbLb1EES1E_IbLb0EEEEDaS1A_S1B_EUlS1A_E_NS1_11comp_targetILNS1_3genE8ELNS1_11target_archE1030ELNS1_3gpuE2ELNS1_3repE0EEENS1_30default_config_static_selectorELNS0_4arch9wavefront6targetE0EEEvT1_,"axG",@progbits,_ZN7rocprim17ROCPRIM_400000_NS6detail17trampoline_kernelINS0_14default_configENS1_25partition_config_selectorILNS1_17partition_subalgoE5EtNS0_10empty_typeEbEEZZNS1_14partition_implILS5_5ELb0ES3_mN6thrust23THRUST_200600_302600_NS6detail15normal_iteratorINSA_10device_ptrItEEEEPS6_NSA_18transform_iteratorINSB_9not_fun_tI7is_trueItEEENSC_INSD_IbEEEENSA_11use_defaultESO_EENS0_5tupleIJNSA_16discard_iteratorISO_EES6_EEENSQ_IJSG_SG_EEES6_PlJS6_EEE10hipError_tPvRmT3_T4_T5_T6_T7_T9_mT8_P12ihipStream_tbDpT10_ENKUlT_T0_E_clISt17integral_constantIbLb1EES1E_IbLb0EEEEDaS1A_S1B_EUlS1A_E_NS1_11comp_targetILNS1_3genE8ELNS1_11target_archE1030ELNS1_3gpuE2ELNS1_3repE0EEENS1_30default_config_static_selectorELNS0_4arch9wavefront6targetE0EEEvT1_,comdat
	.protected	_ZN7rocprim17ROCPRIM_400000_NS6detail17trampoline_kernelINS0_14default_configENS1_25partition_config_selectorILNS1_17partition_subalgoE5EtNS0_10empty_typeEbEEZZNS1_14partition_implILS5_5ELb0ES3_mN6thrust23THRUST_200600_302600_NS6detail15normal_iteratorINSA_10device_ptrItEEEEPS6_NSA_18transform_iteratorINSB_9not_fun_tI7is_trueItEEENSC_INSD_IbEEEENSA_11use_defaultESO_EENS0_5tupleIJNSA_16discard_iteratorISO_EES6_EEENSQ_IJSG_SG_EEES6_PlJS6_EEE10hipError_tPvRmT3_T4_T5_T6_T7_T9_mT8_P12ihipStream_tbDpT10_ENKUlT_T0_E_clISt17integral_constantIbLb1EES1E_IbLb0EEEEDaS1A_S1B_EUlS1A_E_NS1_11comp_targetILNS1_3genE8ELNS1_11target_archE1030ELNS1_3gpuE2ELNS1_3repE0EEENS1_30default_config_static_selectorELNS0_4arch9wavefront6targetE0EEEvT1_ ; -- Begin function _ZN7rocprim17ROCPRIM_400000_NS6detail17trampoline_kernelINS0_14default_configENS1_25partition_config_selectorILNS1_17partition_subalgoE5EtNS0_10empty_typeEbEEZZNS1_14partition_implILS5_5ELb0ES3_mN6thrust23THRUST_200600_302600_NS6detail15normal_iteratorINSA_10device_ptrItEEEEPS6_NSA_18transform_iteratorINSB_9not_fun_tI7is_trueItEEENSC_INSD_IbEEEENSA_11use_defaultESO_EENS0_5tupleIJNSA_16discard_iteratorISO_EES6_EEENSQ_IJSG_SG_EEES6_PlJS6_EEE10hipError_tPvRmT3_T4_T5_T6_T7_T9_mT8_P12ihipStream_tbDpT10_ENKUlT_T0_E_clISt17integral_constantIbLb1EES1E_IbLb0EEEEDaS1A_S1B_EUlS1A_E_NS1_11comp_targetILNS1_3genE8ELNS1_11target_archE1030ELNS1_3gpuE2ELNS1_3repE0EEENS1_30default_config_static_selectorELNS0_4arch9wavefront6targetE0EEEvT1_
	.globl	_ZN7rocprim17ROCPRIM_400000_NS6detail17trampoline_kernelINS0_14default_configENS1_25partition_config_selectorILNS1_17partition_subalgoE5EtNS0_10empty_typeEbEEZZNS1_14partition_implILS5_5ELb0ES3_mN6thrust23THRUST_200600_302600_NS6detail15normal_iteratorINSA_10device_ptrItEEEEPS6_NSA_18transform_iteratorINSB_9not_fun_tI7is_trueItEEENSC_INSD_IbEEEENSA_11use_defaultESO_EENS0_5tupleIJNSA_16discard_iteratorISO_EES6_EEENSQ_IJSG_SG_EEES6_PlJS6_EEE10hipError_tPvRmT3_T4_T5_T6_T7_T9_mT8_P12ihipStream_tbDpT10_ENKUlT_T0_E_clISt17integral_constantIbLb1EES1E_IbLb0EEEEDaS1A_S1B_EUlS1A_E_NS1_11comp_targetILNS1_3genE8ELNS1_11target_archE1030ELNS1_3gpuE2ELNS1_3repE0EEENS1_30default_config_static_selectorELNS0_4arch9wavefront6targetE0EEEvT1_
	.p2align	8
	.type	_ZN7rocprim17ROCPRIM_400000_NS6detail17trampoline_kernelINS0_14default_configENS1_25partition_config_selectorILNS1_17partition_subalgoE5EtNS0_10empty_typeEbEEZZNS1_14partition_implILS5_5ELb0ES3_mN6thrust23THRUST_200600_302600_NS6detail15normal_iteratorINSA_10device_ptrItEEEEPS6_NSA_18transform_iteratorINSB_9not_fun_tI7is_trueItEEENSC_INSD_IbEEEENSA_11use_defaultESO_EENS0_5tupleIJNSA_16discard_iteratorISO_EES6_EEENSQ_IJSG_SG_EEES6_PlJS6_EEE10hipError_tPvRmT3_T4_T5_T6_T7_T9_mT8_P12ihipStream_tbDpT10_ENKUlT_T0_E_clISt17integral_constantIbLb1EES1E_IbLb0EEEEDaS1A_S1B_EUlS1A_E_NS1_11comp_targetILNS1_3genE8ELNS1_11target_archE1030ELNS1_3gpuE2ELNS1_3repE0EEENS1_30default_config_static_selectorELNS0_4arch9wavefront6targetE0EEEvT1_,@function
_ZN7rocprim17ROCPRIM_400000_NS6detail17trampoline_kernelINS0_14default_configENS1_25partition_config_selectorILNS1_17partition_subalgoE5EtNS0_10empty_typeEbEEZZNS1_14partition_implILS5_5ELb0ES3_mN6thrust23THRUST_200600_302600_NS6detail15normal_iteratorINSA_10device_ptrItEEEEPS6_NSA_18transform_iteratorINSB_9not_fun_tI7is_trueItEEENSC_INSD_IbEEEENSA_11use_defaultESO_EENS0_5tupleIJNSA_16discard_iteratorISO_EES6_EEENSQ_IJSG_SG_EEES6_PlJS6_EEE10hipError_tPvRmT3_T4_T5_T6_T7_T9_mT8_P12ihipStream_tbDpT10_ENKUlT_T0_E_clISt17integral_constantIbLb1EES1E_IbLb0EEEEDaS1A_S1B_EUlS1A_E_NS1_11comp_targetILNS1_3genE8ELNS1_11target_archE1030ELNS1_3gpuE2ELNS1_3repE0EEENS1_30default_config_static_selectorELNS0_4arch9wavefront6targetE0EEEvT1_: ; @_ZN7rocprim17ROCPRIM_400000_NS6detail17trampoline_kernelINS0_14default_configENS1_25partition_config_selectorILNS1_17partition_subalgoE5EtNS0_10empty_typeEbEEZZNS1_14partition_implILS5_5ELb0ES3_mN6thrust23THRUST_200600_302600_NS6detail15normal_iteratorINSA_10device_ptrItEEEEPS6_NSA_18transform_iteratorINSB_9not_fun_tI7is_trueItEEENSC_INSD_IbEEEENSA_11use_defaultESO_EENS0_5tupleIJNSA_16discard_iteratorISO_EES6_EEENSQ_IJSG_SG_EEES6_PlJS6_EEE10hipError_tPvRmT3_T4_T5_T6_T7_T9_mT8_P12ihipStream_tbDpT10_ENKUlT_T0_E_clISt17integral_constantIbLb1EES1E_IbLb0EEEEDaS1A_S1B_EUlS1A_E_NS1_11comp_targetILNS1_3genE8ELNS1_11target_archE1030ELNS1_3gpuE2ELNS1_3repE0EEENS1_30default_config_static_selectorELNS0_4arch9wavefront6targetE0EEEvT1_
; %bb.0:
	.section	.rodata,"a",@progbits
	.p2align	6, 0x0
	.amdhsa_kernel _ZN7rocprim17ROCPRIM_400000_NS6detail17trampoline_kernelINS0_14default_configENS1_25partition_config_selectorILNS1_17partition_subalgoE5EtNS0_10empty_typeEbEEZZNS1_14partition_implILS5_5ELb0ES3_mN6thrust23THRUST_200600_302600_NS6detail15normal_iteratorINSA_10device_ptrItEEEEPS6_NSA_18transform_iteratorINSB_9not_fun_tI7is_trueItEEENSC_INSD_IbEEEENSA_11use_defaultESO_EENS0_5tupleIJNSA_16discard_iteratorISO_EES6_EEENSQ_IJSG_SG_EEES6_PlJS6_EEE10hipError_tPvRmT3_T4_T5_T6_T7_T9_mT8_P12ihipStream_tbDpT10_ENKUlT_T0_E_clISt17integral_constantIbLb1EES1E_IbLb0EEEEDaS1A_S1B_EUlS1A_E_NS1_11comp_targetILNS1_3genE8ELNS1_11target_archE1030ELNS1_3gpuE2ELNS1_3repE0EEENS1_30default_config_static_selectorELNS0_4arch9wavefront6targetE0EEEvT1_
		.amdhsa_group_segment_fixed_size 0
		.amdhsa_private_segment_fixed_size 0
		.amdhsa_kernarg_size 128
		.amdhsa_user_sgpr_count 2
		.amdhsa_user_sgpr_dispatch_ptr 0
		.amdhsa_user_sgpr_queue_ptr 0
		.amdhsa_user_sgpr_kernarg_segment_ptr 1
		.amdhsa_user_sgpr_dispatch_id 0
		.amdhsa_user_sgpr_private_segment_size 0
		.amdhsa_wavefront_size32 1
		.amdhsa_uses_dynamic_stack 0
		.amdhsa_enable_private_segment 0
		.amdhsa_system_sgpr_workgroup_id_x 1
		.amdhsa_system_sgpr_workgroup_id_y 0
		.amdhsa_system_sgpr_workgroup_id_z 0
		.amdhsa_system_sgpr_workgroup_info 0
		.amdhsa_system_vgpr_workitem_id 0
		.amdhsa_next_free_vgpr 1
		.amdhsa_next_free_sgpr 1
		.amdhsa_reserve_vcc 0
		.amdhsa_float_round_mode_32 0
		.amdhsa_float_round_mode_16_64 0
		.amdhsa_float_denorm_mode_32 3
		.amdhsa_float_denorm_mode_16_64 3
		.amdhsa_fp16_overflow 0
		.amdhsa_workgroup_processor_mode 1
		.amdhsa_memory_ordered 1
		.amdhsa_forward_progress 1
		.amdhsa_inst_pref_size 0
		.amdhsa_round_robin_scheduling 0
		.amdhsa_exception_fp_ieee_invalid_op 0
		.amdhsa_exception_fp_denorm_src 0
		.amdhsa_exception_fp_ieee_div_zero 0
		.amdhsa_exception_fp_ieee_overflow 0
		.amdhsa_exception_fp_ieee_underflow 0
		.amdhsa_exception_fp_ieee_inexact 0
		.amdhsa_exception_int_div_zero 0
	.end_amdhsa_kernel
	.section	.text._ZN7rocprim17ROCPRIM_400000_NS6detail17trampoline_kernelINS0_14default_configENS1_25partition_config_selectorILNS1_17partition_subalgoE5EtNS0_10empty_typeEbEEZZNS1_14partition_implILS5_5ELb0ES3_mN6thrust23THRUST_200600_302600_NS6detail15normal_iteratorINSA_10device_ptrItEEEEPS6_NSA_18transform_iteratorINSB_9not_fun_tI7is_trueItEEENSC_INSD_IbEEEENSA_11use_defaultESO_EENS0_5tupleIJNSA_16discard_iteratorISO_EES6_EEENSQ_IJSG_SG_EEES6_PlJS6_EEE10hipError_tPvRmT3_T4_T5_T6_T7_T9_mT8_P12ihipStream_tbDpT10_ENKUlT_T0_E_clISt17integral_constantIbLb1EES1E_IbLb0EEEEDaS1A_S1B_EUlS1A_E_NS1_11comp_targetILNS1_3genE8ELNS1_11target_archE1030ELNS1_3gpuE2ELNS1_3repE0EEENS1_30default_config_static_selectorELNS0_4arch9wavefront6targetE0EEEvT1_,"axG",@progbits,_ZN7rocprim17ROCPRIM_400000_NS6detail17trampoline_kernelINS0_14default_configENS1_25partition_config_selectorILNS1_17partition_subalgoE5EtNS0_10empty_typeEbEEZZNS1_14partition_implILS5_5ELb0ES3_mN6thrust23THRUST_200600_302600_NS6detail15normal_iteratorINSA_10device_ptrItEEEEPS6_NSA_18transform_iteratorINSB_9not_fun_tI7is_trueItEEENSC_INSD_IbEEEENSA_11use_defaultESO_EENS0_5tupleIJNSA_16discard_iteratorISO_EES6_EEENSQ_IJSG_SG_EEES6_PlJS6_EEE10hipError_tPvRmT3_T4_T5_T6_T7_T9_mT8_P12ihipStream_tbDpT10_ENKUlT_T0_E_clISt17integral_constantIbLb1EES1E_IbLb0EEEEDaS1A_S1B_EUlS1A_E_NS1_11comp_targetILNS1_3genE8ELNS1_11target_archE1030ELNS1_3gpuE2ELNS1_3repE0EEENS1_30default_config_static_selectorELNS0_4arch9wavefront6targetE0EEEvT1_,comdat
.Lfunc_end2740:
	.size	_ZN7rocprim17ROCPRIM_400000_NS6detail17trampoline_kernelINS0_14default_configENS1_25partition_config_selectorILNS1_17partition_subalgoE5EtNS0_10empty_typeEbEEZZNS1_14partition_implILS5_5ELb0ES3_mN6thrust23THRUST_200600_302600_NS6detail15normal_iteratorINSA_10device_ptrItEEEEPS6_NSA_18transform_iteratorINSB_9not_fun_tI7is_trueItEEENSC_INSD_IbEEEENSA_11use_defaultESO_EENS0_5tupleIJNSA_16discard_iteratorISO_EES6_EEENSQ_IJSG_SG_EEES6_PlJS6_EEE10hipError_tPvRmT3_T4_T5_T6_T7_T9_mT8_P12ihipStream_tbDpT10_ENKUlT_T0_E_clISt17integral_constantIbLb1EES1E_IbLb0EEEEDaS1A_S1B_EUlS1A_E_NS1_11comp_targetILNS1_3genE8ELNS1_11target_archE1030ELNS1_3gpuE2ELNS1_3repE0EEENS1_30default_config_static_selectorELNS0_4arch9wavefront6targetE0EEEvT1_, .Lfunc_end2740-_ZN7rocprim17ROCPRIM_400000_NS6detail17trampoline_kernelINS0_14default_configENS1_25partition_config_selectorILNS1_17partition_subalgoE5EtNS0_10empty_typeEbEEZZNS1_14partition_implILS5_5ELb0ES3_mN6thrust23THRUST_200600_302600_NS6detail15normal_iteratorINSA_10device_ptrItEEEEPS6_NSA_18transform_iteratorINSB_9not_fun_tI7is_trueItEEENSC_INSD_IbEEEENSA_11use_defaultESO_EENS0_5tupleIJNSA_16discard_iteratorISO_EES6_EEENSQ_IJSG_SG_EEES6_PlJS6_EEE10hipError_tPvRmT3_T4_T5_T6_T7_T9_mT8_P12ihipStream_tbDpT10_ENKUlT_T0_E_clISt17integral_constantIbLb1EES1E_IbLb0EEEEDaS1A_S1B_EUlS1A_E_NS1_11comp_targetILNS1_3genE8ELNS1_11target_archE1030ELNS1_3gpuE2ELNS1_3repE0EEENS1_30default_config_static_selectorELNS0_4arch9wavefront6targetE0EEEvT1_
                                        ; -- End function
	.set _ZN7rocprim17ROCPRIM_400000_NS6detail17trampoline_kernelINS0_14default_configENS1_25partition_config_selectorILNS1_17partition_subalgoE5EtNS0_10empty_typeEbEEZZNS1_14partition_implILS5_5ELb0ES3_mN6thrust23THRUST_200600_302600_NS6detail15normal_iteratorINSA_10device_ptrItEEEEPS6_NSA_18transform_iteratorINSB_9not_fun_tI7is_trueItEEENSC_INSD_IbEEEENSA_11use_defaultESO_EENS0_5tupleIJNSA_16discard_iteratorISO_EES6_EEENSQ_IJSG_SG_EEES6_PlJS6_EEE10hipError_tPvRmT3_T4_T5_T6_T7_T9_mT8_P12ihipStream_tbDpT10_ENKUlT_T0_E_clISt17integral_constantIbLb1EES1E_IbLb0EEEEDaS1A_S1B_EUlS1A_E_NS1_11comp_targetILNS1_3genE8ELNS1_11target_archE1030ELNS1_3gpuE2ELNS1_3repE0EEENS1_30default_config_static_selectorELNS0_4arch9wavefront6targetE0EEEvT1_.num_vgpr, 0
	.set _ZN7rocprim17ROCPRIM_400000_NS6detail17trampoline_kernelINS0_14default_configENS1_25partition_config_selectorILNS1_17partition_subalgoE5EtNS0_10empty_typeEbEEZZNS1_14partition_implILS5_5ELb0ES3_mN6thrust23THRUST_200600_302600_NS6detail15normal_iteratorINSA_10device_ptrItEEEEPS6_NSA_18transform_iteratorINSB_9not_fun_tI7is_trueItEEENSC_INSD_IbEEEENSA_11use_defaultESO_EENS0_5tupleIJNSA_16discard_iteratorISO_EES6_EEENSQ_IJSG_SG_EEES6_PlJS6_EEE10hipError_tPvRmT3_T4_T5_T6_T7_T9_mT8_P12ihipStream_tbDpT10_ENKUlT_T0_E_clISt17integral_constantIbLb1EES1E_IbLb0EEEEDaS1A_S1B_EUlS1A_E_NS1_11comp_targetILNS1_3genE8ELNS1_11target_archE1030ELNS1_3gpuE2ELNS1_3repE0EEENS1_30default_config_static_selectorELNS0_4arch9wavefront6targetE0EEEvT1_.num_agpr, 0
	.set _ZN7rocprim17ROCPRIM_400000_NS6detail17trampoline_kernelINS0_14default_configENS1_25partition_config_selectorILNS1_17partition_subalgoE5EtNS0_10empty_typeEbEEZZNS1_14partition_implILS5_5ELb0ES3_mN6thrust23THRUST_200600_302600_NS6detail15normal_iteratorINSA_10device_ptrItEEEEPS6_NSA_18transform_iteratorINSB_9not_fun_tI7is_trueItEEENSC_INSD_IbEEEENSA_11use_defaultESO_EENS0_5tupleIJNSA_16discard_iteratorISO_EES6_EEENSQ_IJSG_SG_EEES6_PlJS6_EEE10hipError_tPvRmT3_T4_T5_T6_T7_T9_mT8_P12ihipStream_tbDpT10_ENKUlT_T0_E_clISt17integral_constantIbLb1EES1E_IbLb0EEEEDaS1A_S1B_EUlS1A_E_NS1_11comp_targetILNS1_3genE8ELNS1_11target_archE1030ELNS1_3gpuE2ELNS1_3repE0EEENS1_30default_config_static_selectorELNS0_4arch9wavefront6targetE0EEEvT1_.numbered_sgpr, 0
	.set _ZN7rocprim17ROCPRIM_400000_NS6detail17trampoline_kernelINS0_14default_configENS1_25partition_config_selectorILNS1_17partition_subalgoE5EtNS0_10empty_typeEbEEZZNS1_14partition_implILS5_5ELb0ES3_mN6thrust23THRUST_200600_302600_NS6detail15normal_iteratorINSA_10device_ptrItEEEEPS6_NSA_18transform_iteratorINSB_9not_fun_tI7is_trueItEEENSC_INSD_IbEEEENSA_11use_defaultESO_EENS0_5tupleIJNSA_16discard_iteratorISO_EES6_EEENSQ_IJSG_SG_EEES6_PlJS6_EEE10hipError_tPvRmT3_T4_T5_T6_T7_T9_mT8_P12ihipStream_tbDpT10_ENKUlT_T0_E_clISt17integral_constantIbLb1EES1E_IbLb0EEEEDaS1A_S1B_EUlS1A_E_NS1_11comp_targetILNS1_3genE8ELNS1_11target_archE1030ELNS1_3gpuE2ELNS1_3repE0EEENS1_30default_config_static_selectorELNS0_4arch9wavefront6targetE0EEEvT1_.num_named_barrier, 0
	.set _ZN7rocprim17ROCPRIM_400000_NS6detail17trampoline_kernelINS0_14default_configENS1_25partition_config_selectorILNS1_17partition_subalgoE5EtNS0_10empty_typeEbEEZZNS1_14partition_implILS5_5ELb0ES3_mN6thrust23THRUST_200600_302600_NS6detail15normal_iteratorINSA_10device_ptrItEEEEPS6_NSA_18transform_iteratorINSB_9not_fun_tI7is_trueItEEENSC_INSD_IbEEEENSA_11use_defaultESO_EENS0_5tupleIJNSA_16discard_iteratorISO_EES6_EEENSQ_IJSG_SG_EEES6_PlJS6_EEE10hipError_tPvRmT3_T4_T5_T6_T7_T9_mT8_P12ihipStream_tbDpT10_ENKUlT_T0_E_clISt17integral_constantIbLb1EES1E_IbLb0EEEEDaS1A_S1B_EUlS1A_E_NS1_11comp_targetILNS1_3genE8ELNS1_11target_archE1030ELNS1_3gpuE2ELNS1_3repE0EEENS1_30default_config_static_selectorELNS0_4arch9wavefront6targetE0EEEvT1_.private_seg_size, 0
	.set _ZN7rocprim17ROCPRIM_400000_NS6detail17trampoline_kernelINS0_14default_configENS1_25partition_config_selectorILNS1_17partition_subalgoE5EtNS0_10empty_typeEbEEZZNS1_14partition_implILS5_5ELb0ES3_mN6thrust23THRUST_200600_302600_NS6detail15normal_iteratorINSA_10device_ptrItEEEEPS6_NSA_18transform_iteratorINSB_9not_fun_tI7is_trueItEEENSC_INSD_IbEEEENSA_11use_defaultESO_EENS0_5tupleIJNSA_16discard_iteratorISO_EES6_EEENSQ_IJSG_SG_EEES6_PlJS6_EEE10hipError_tPvRmT3_T4_T5_T6_T7_T9_mT8_P12ihipStream_tbDpT10_ENKUlT_T0_E_clISt17integral_constantIbLb1EES1E_IbLb0EEEEDaS1A_S1B_EUlS1A_E_NS1_11comp_targetILNS1_3genE8ELNS1_11target_archE1030ELNS1_3gpuE2ELNS1_3repE0EEENS1_30default_config_static_selectorELNS0_4arch9wavefront6targetE0EEEvT1_.uses_vcc, 0
	.set _ZN7rocprim17ROCPRIM_400000_NS6detail17trampoline_kernelINS0_14default_configENS1_25partition_config_selectorILNS1_17partition_subalgoE5EtNS0_10empty_typeEbEEZZNS1_14partition_implILS5_5ELb0ES3_mN6thrust23THRUST_200600_302600_NS6detail15normal_iteratorINSA_10device_ptrItEEEEPS6_NSA_18transform_iteratorINSB_9not_fun_tI7is_trueItEEENSC_INSD_IbEEEENSA_11use_defaultESO_EENS0_5tupleIJNSA_16discard_iteratorISO_EES6_EEENSQ_IJSG_SG_EEES6_PlJS6_EEE10hipError_tPvRmT3_T4_T5_T6_T7_T9_mT8_P12ihipStream_tbDpT10_ENKUlT_T0_E_clISt17integral_constantIbLb1EES1E_IbLb0EEEEDaS1A_S1B_EUlS1A_E_NS1_11comp_targetILNS1_3genE8ELNS1_11target_archE1030ELNS1_3gpuE2ELNS1_3repE0EEENS1_30default_config_static_selectorELNS0_4arch9wavefront6targetE0EEEvT1_.uses_flat_scratch, 0
	.set _ZN7rocprim17ROCPRIM_400000_NS6detail17trampoline_kernelINS0_14default_configENS1_25partition_config_selectorILNS1_17partition_subalgoE5EtNS0_10empty_typeEbEEZZNS1_14partition_implILS5_5ELb0ES3_mN6thrust23THRUST_200600_302600_NS6detail15normal_iteratorINSA_10device_ptrItEEEEPS6_NSA_18transform_iteratorINSB_9not_fun_tI7is_trueItEEENSC_INSD_IbEEEENSA_11use_defaultESO_EENS0_5tupleIJNSA_16discard_iteratorISO_EES6_EEENSQ_IJSG_SG_EEES6_PlJS6_EEE10hipError_tPvRmT3_T4_T5_T6_T7_T9_mT8_P12ihipStream_tbDpT10_ENKUlT_T0_E_clISt17integral_constantIbLb1EES1E_IbLb0EEEEDaS1A_S1B_EUlS1A_E_NS1_11comp_targetILNS1_3genE8ELNS1_11target_archE1030ELNS1_3gpuE2ELNS1_3repE0EEENS1_30default_config_static_selectorELNS0_4arch9wavefront6targetE0EEEvT1_.has_dyn_sized_stack, 0
	.set _ZN7rocprim17ROCPRIM_400000_NS6detail17trampoline_kernelINS0_14default_configENS1_25partition_config_selectorILNS1_17partition_subalgoE5EtNS0_10empty_typeEbEEZZNS1_14partition_implILS5_5ELb0ES3_mN6thrust23THRUST_200600_302600_NS6detail15normal_iteratorINSA_10device_ptrItEEEEPS6_NSA_18transform_iteratorINSB_9not_fun_tI7is_trueItEEENSC_INSD_IbEEEENSA_11use_defaultESO_EENS0_5tupleIJNSA_16discard_iteratorISO_EES6_EEENSQ_IJSG_SG_EEES6_PlJS6_EEE10hipError_tPvRmT3_T4_T5_T6_T7_T9_mT8_P12ihipStream_tbDpT10_ENKUlT_T0_E_clISt17integral_constantIbLb1EES1E_IbLb0EEEEDaS1A_S1B_EUlS1A_E_NS1_11comp_targetILNS1_3genE8ELNS1_11target_archE1030ELNS1_3gpuE2ELNS1_3repE0EEENS1_30default_config_static_selectorELNS0_4arch9wavefront6targetE0EEEvT1_.has_recursion, 0
	.set _ZN7rocprim17ROCPRIM_400000_NS6detail17trampoline_kernelINS0_14default_configENS1_25partition_config_selectorILNS1_17partition_subalgoE5EtNS0_10empty_typeEbEEZZNS1_14partition_implILS5_5ELb0ES3_mN6thrust23THRUST_200600_302600_NS6detail15normal_iteratorINSA_10device_ptrItEEEEPS6_NSA_18transform_iteratorINSB_9not_fun_tI7is_trueItEEENSC_INSD_IbEEEENSA_11use_defaultESO_EENS0_5tupleIJNSA_16discard_iteratorISO_EES6_EEENSQ_IJSG_SG_EEES6_PlJS6_EEE10hipError_tPvRmT3_T4_T5_T6_T7_T9_mT8_P12ihipStream_tbDpT10_ENKUlT_T0_E_clISt17integral_constantIbLb1EES1E_IbLb0EEEEDaS1A_S1B_EUlS1A_E_NS1_11comp_targetILNS1_3genE8ELNS1_11target_archE1030ELNS1_3gpuE2ELNS1_3repE0EEENS1_30default_config_static_selectorELNS0_4arch9wavefront6targetE0EEEvT1_.has_indirect_call, 0
	.section	.AMDGPU.csdata,"",@progbits
; Kernel info:
; codeLenInByte = 0
; TotalNumSgprs: 0
; NumVgprs: 0
; ScratchSize: 0
; MemoryBound: 0
; FloatMode: 240
; IeeeMode: 1
; LDSByteSize: 0 bytes/workgroup (compile time only)
; SGPRBlocks: 0
; VGPRBlocks: 0
; NumSGPRsForWavesPerEU: 1
; NumVGPRsForWavesPerEU: 1
; Occupancy: 16
; WaveLimiterHint : 0
; COMPUTE_PGM_RSRC2:SCRATCH_EN: 0
; COMPUTE_PGM_RSRC2:USER_SGPR: 2
; COMPUTE_PGM_RSRC2:TRAP_HANDLER: 0
; COMPUTE_PGM_RSRC2:TGID_X_EN: 1
; COMPUTE_PGM_RSRC2:TGID_Y_EN: 0
; COMPUTE_PGM_RSRC2:TGID_Z_EN: 0
; COMPUTE_PGM_RSRC2:TIDIG_COMP_CNT: 0
	.section	.text._ZN7rocprim17ROCPRIM_400000_NS6detail17trampoline_kernelINS0_14default_configENS1_25partition_config_selectorILNS1_17partition_subalgoE5EtNS0_10empty_typeEbEEZZNS1_14partition_implILS5_5ELb0ES3_mN6thrust23THRUST_200600_302600_NS6detail15normal_iteratorINSA_10device_ptrItEEEEPS6_NSA_18transform_iteratorINSB_9not_fun_tI7is_trueItEEENSC_INSD_IbEEEENSA_11use_defaultESO_EENS0_5tupleIJNSA_16discard_iteratorISO_EES6_EEENSQ_IJSG_SG_EEES6_PlJS6_EEE10hipError_tPvRmT3_T4_T5_T6_T7_T9_mT8_P12ihipStream_tbDpT10_ENKUlT_T0_E_clISt17integral_constantIbLb0EES1E_IbLb1EEEEDaS1A_S1B_EUlS1A_E_NS1_11comp_targetILNS1_3genE0ELNS1_11target_archE4294967295ELNS1_3gpuE0ELNS1_3repE0EEENS1_30default_config_static_selectorELNS0_4arch9wavefront6targetE0EEEvT1_,"axG",@progbits,_ZN7rocprim17ROCPRIM_400000_NS6detail17trampoline_kernelINS0_14default_configENS1_25partition_config_selectorILNS1_17partition_subalgoE5EtNS0_10empty_typeEbEEZZNS1_14partition_implILS5_5ELb0ES3_mN6thrust23THRUST_200600_302600_NS6detail15normal_iteratorINSA_10device_ptrItEEEEPS6_NSA_18transform_iteratorINSB_9not_fun_tI7is_trueItEEENSC_INSD_IbEEEENSA_11use_defaultESO_EENS0_5tupleIJNSA_16discard_iteratorISO_EES6_EEENSQ_IJSG_SG_EEES6_PlJS6_EEE10hipError_tPvRmT3_T4_T5_T6_T7_T9_mT8_P12ihipStream_tbDpT10_ENKUlT_T0_E_clISt17integral_constantIbLb0EES1E_IbLb1EEEEDaS1A_S1B_EUlS1A_E_NS1_11comp_targetILNS1_3genE0ELNS1_11target_archE4294967295ELNS1_3gpuE0ELNS1_3repE0EEENS1_30default_config_static_selectorELNS0_4arch9wavefront6targetE0EEEvT1_,comdat
	.protected	_ZN7rocprim17ROCPRIM_400000_NS6detail17trampoline_kernelINS0_14default_configENS1_25partition_config_selectorILNS1_17partition_subalgoE5EtNS0_10empty_typeEbEEZZNS1_14partition_implILS5_5ELb0ES3_mN6thrust23THRUST_200600_302600_NS6detail15normal_iteratorINSA_10device_ptrItEEEEPS6_NSA_18transform_iteratorINSB_9not_fun_tI7is_trueItEEENSC_INSD_IbEEEENSA_11use_defaultESO_EENS0_5tupleIJNSA_16discard_iteratorISO_EES6_EEENSQ_IJSG_SG_EEES6_PlJS6_EEE10hipError_tPvRmT3_T4_T5_T6_T7_T9_mT8_P12ihipStream_tbDpT10_ENKUlT_T0_E_clISt17integral_constantIbLb0EES1E_IbLb1EEEEDaS1A_S1B_EUlS1A_E_NS1_11comp_targetILNS1_3genE0ELNS1_11target_archE4294967295ELNS1_3gpuE0ELNS1_3repE0EEENS1_30default_config_static_selectorELNS0_4arch9wavefront6targetE0EEEvT1_ ; -- Begin function _ZN7rocprim17ROCPRIM_400000_NS6detail17trampoline_kernelINS0_14default_configENS1_25partition_config_selectorILNS1_17partition_subalgoE5EtNS0_10empty_typeEbEEZZNS1_14partition_implILS5_5ELb0ES3_mN6thrust23THRUST_200600_302600_NS6detail15normal_iteratorINSA_10device_ptrItEEEEPS6_NSA_18transform_iteratorINSB_9not_fun_tI7is_trueItEEENSC_INSD_IbEEEENSA_11use_defaultESO_EENS0_5tupleIJNSA_16discard_iteratorISO_EES6_EEENSQ_IJSG_SG_EEES6_PlJS6_EEE10hipError_tPvRmT3_T4_T5_T6_T7_T9_mT8_P12ihipStream_tbDpT10_ENKUlT_T0_E_clISt17integral_constantIbLb0EES1E_IbLb1EEEEDaS1A_S1B_EUlS1A_E_NS1_11comp_targetILNS1_3genE0ELNS1_11target_archE4294967295ELNS1_3gpuE0ELNS1_3repE0EEENS1_30default_config_static_selectorELNS0_4arch9wavefront6targetE0EEEvT1_
	.globl	_ZN7rocprim17ROCPRIM_400000_NS6detail17trampoline_kernelINS0_14default_configENS1_25partition_config_selectorILNS1_17partition_subalgoE5EtNS0_10empty_typeEbEEZZNS1_14partition_implILS5_5ELb0ES3_mN6thrust23THRUST_200600_302600_NS6detail15normal_iteratorINSA_10device_ptrItEEEEPS6_NSA_18transform_iteratorINSB_9not_fun_tI7is_trueItEEENSC_INSD_IbEEEENSA_11use_defaultESO_EENS0_5tupleIJNSA_16discard_iteratorISO_EES6_EEENSQ_IJSG_SG_EEES6_PlJS6_EEE10hipError_tPvRmT3_T4_T5_T6_T7_T9_mT8_P12ihipStream_tbDpT10_ENKUlT_T0_E_clISt17integral_constantIbLb0EES1E_IbLb1EEEEDaS1A_S1B_EUlS1A_E_NS1_11comp_targetILNS1_3genE0ELNS1_11target_archE4294967295ELNS1_3gpuE0ELNS1_3repE0EEENS1_30default_config_static_selectorELNS0_4arch9wavefront6targetE0EEEvT1_
	.p2align	8
	.type	_ZN7rocprim17ROCPRIM_400000_NS6detail17trampoline_kernelINS0_14default_configENS1_25partition_config_selectorILNS1_17partition_subalgoE5EtNS0_10empty_typeEbEEZZNS1_14partition_implILS5_5ELb0ES3_mN6thrust23THRUST_200600_302600_NS6detail15normal_iteratorINSA_10device_ptrItEEEEPS6_NSA_18transform_iteratorINSB_9not_fun_tI7is_trueItEEENSC_INSD_IbEEEENSA_11use_defaultESO_EENS0_5tupleIJNSA_16discard_iteratorISO_EES6_EEENSQ_IJSG_SG_EEES6_PlJS6_EEE10hipError_tPvRmT3_T4_T5_T6_T7_T9_mT8_P12ihipStream_tbDpT10_ENKUlT_T0_E_clISt17integral_constantIbLb0EES1E_IbLb1EEEEDaS1A_S1B_EUlS1A_E_NS1_11comp_targetILNS1_3genE0ELNS1_11target_archE4294967295ELNS1_3gpuE0ELNS1_3repE0EEENS1_30default_config_static_selectorELNS0_4arch9wavefront6targetE0EEEvT1_,@function
_ZN7rocprim17ROCPRIM_400000_NS6detail17trampoline_kernelINS0_14default_configENS1_25partition_config_selectorILNS1_17partition_subalgoE5EtNS0_10empty_typeEbEEZZNS1_14partition_implILS5_5ELb0ES3_mN6thrust23THRUST_200600_302600_NS6detail15normal_iteratorINSA_10device_ptrItEEEEPS6_NSA_18transform_iteratorINSB_9not_fun_tI7is_trueItEEENSC_INSD_IbEEEENSA_11use_defaultESO_EENS0_5tupleIJNSA_16discard_iteratorISO_EES6_EEENSQ_IJSG_SG_EEES6_PlJS6_EEE10hipError_tPvRmT3_T4_T5_T6_T7_T9_mT8_P12ihipStream_tbDpT10_ENKUlT_T0_E_clISt17integral_constantIbLb0EES1E_IbLb1EEEEDaS1A_S1B_EUlS1A_E_NS1_11comp_targetILNS1_3genE0ELNS1_11target_archE4294967295ELNS1_3gpuE0ELNS1_3repE0EEENS1_30default_config_static_selectorELNS0_4arch9wavefront6targetE0EEEvT1_: ; @_ZN7rocprim17ROCPRIM_400000_NS6detail17trampoline_kernelINS0_14default_configENS1_25partition_config_selectorILNS1_17partition_subalgoE5EtNS0_10empty_typeEbEEZZNS1_14partition_implILS5_5ELb0ES3_mN6thrust23THRUST_200600_302600_NS6detail15normal_iteratorINSA_10device_ptrItEEEEPS6_NSA_18transform_iteratorINSB_9not_fun_tI7is_trueItEEENSC_INSD_IbEEEENSA_11use_defaultESO_EENS0_5tupleIJNSA_16discard_iteratorISO_EES6_EEENSQ_IJSG_SG_EEES6_PlJS6_EEE10hipError_tPvRmT3_T4_T5_T6_T7_T9_mT8_P12ihipStream_tbDpT10_ENKUlT_T0_E_clISt17integral_constantIbLb0EES1E_IbLb1EEEEDaS1A_S1B_EUlS1A_E_NS1_11comp_targetILNS1_3genE0ELNS1_11target_archE4294967295ELNS1_3gpuE0ELNS1_3repE0EEENS1_30default_config_static_selectorELNS0_4arch9wavefront6targetE0EEEvT1_
; %bb.0:
	.section	.rodata,"a",@progbits
	.p2align	6, 0x0
	.amdhsa_kernel _ZN7rocprim17ROCPRIM_400000_NS6detail17trampoline_kernelINS0_14default_configENS1_25partition_config_selectorILNS1_17partition_subalgoE5EtNS0_10empty_typeEbEEZZNS1_14partition_implILS5_5ELb0ES3_mN6thrust23THRUST_200600_302600_NS6detail15normal_iteratorINSA_10device_ptrItEEEEPS6_NSA_18transform_iteratorINSB_9not_fun_tI7is_trueItEEENSC_INSD_IbEEEENSA_11use_defaultESO_EENS0_5tupleIJNSA_16discard_iteratorISO_EES6_EEENSQ_IJSG_SG_EEES6_PlJS6_EEE10hipError_tPvRmT3_T4_T5_T6_T7_T9_mT8_P12ihipStream_tbDpT10_ENKUlT_T0_E_clISt17integral_constantIbLb0EES1E_IbLb1EEEEDaS1A_S1B_EUlS1A_E_NS1_11comp_targetILNS1_3genE0ELNS1_11target_archE4294967295ELNS1_3gpuE0ELNS1_3repE0EEENS1_30default_config_static_selectorELNS0_4arch9wavefront6targetE0EEEvT1_
		.amdhsa_group_segment_fixed_size 0
		.amdhsa_private_segment_fixed_size 0
		.amdhsa_kernarg_size 144
		.amdhsa_user_sgpr_count 2
		.amdhsa_user_sgpr_dispatch_ptr 0
		.amdhsa_user_sgpr_queue_ptr 0
		.amdhsa_user_sgpr_kernarg_segment_ptr 1
		.amdhsa_user_sgpr_dispatch_id 0
		.amdhsa_user_sgpr_private_segment_size 0
		.amdhsa_wavefront_size32 1
		.amdhsa_uses_dynamic_stack 0
		.amdhsa_enable_private_segment 0
		.amdhsa_system_sgpr_workgroup_id_x 1
		.amdhsa_system_sgpr_workgroup_id_y 0
		.amdhsa_system_sgpr_workgroup_id_z 0
		.amdhsa_system_sgpr_workgroup_info 0
		.amdhsa_system_vgpr_workitem_id 0
		.amdhsa_next_free_vgpr 1
		.amdhsa_next_free_sgpr 1
		.amdhsa_reserve_vcc 0
		.amdhsa_float_round_mode_32 0
		.amdhsa_float_round_mode_16_64 0
		.amdhsa_float_denorm_mode_32 3
		.amdhsa_float_denorm_mode_16_64 3
		.amdhsa_fp16_overflow 0
		.amdhsa_workgroup_processor_mode 1
		.amdhsa_memory_ordered 1
		.amdhsa_forward_progress 1
		.amdhsa_inst_pref_size 0
		.amdhsa_round_robin_scheduling 0
		.amdhsa_exception_fp_ieee_invalid_op 0
		.amdhsa_exception_fp_denorm_src 0
		.amdhsa_exception_fp_ieee_div_zero 0
		.amdhsa_exception_fp_ieee_overflow 0
		.amdhsa_exception_fp_ieee_underflow 0
		.amdhsa_exception_fp_ieee_inexact 0
		.amdhsa_exception_int_div_zero 0
	.end_amdhsa_kernel
	.section	.text._ZN7rocprim17ROCPRIM_400000_NS6detail17trampoline_kernelINS0_14default_configENS1_25partition_config_selectorILNS1_17partition_subalgoE5EtNS0_10empty_typeEbEEZZNS1_14partition_implILS5_5ELb0ES3_mN6thrust23THRUST_200600_302600_NS6detail15normal_iteratorINSA_10device_ptrItEEEEPS6_NSA_18transform_iteratorINSB_9not_fun_tI7is_trueItEEENSC_INSD_IbEEEENSA_11use_defaultESO_EENS0_5tupleIJNSA_16discard_iteratorISO_EES6_EEENSQ_IJSG_SG_EEES6_PlJS6_EEE10hipError_tPvRmT3_T4_T5_T6_T7_T9_mT8_P12ihipStream_tbDpT10_ENKUlT_T0_E_clISt17integral_constantIbLb0EES1E_IbLb1EEEEDaS1A_S1B_EUlS1A_E_NS1_11comp_targetILNS1_3genE0ELNS1_11target_archE4294967295ELNS1_3gpuE0ELNS1_3repE0EEENS1_30default_config_static_selectorELNS0_4arch9wavefront6targetE0EEEvT1_,"axG",@progbits,_ZN7rocprim17ROCPRIM_400000_NS6detail17trampoline_kernelINS0_14default_configENS1_25partition_config_selectorILNS1_17partition_subalgoE5EtNS0_10empty_typeEbEEZZNS1_14partition_implILS5_5ELb0ES3_mN6thrust23THRUST_200600_302600_NS6detail15normal_iteratorINSA_10device_ptrItEEEEPS6_NSA_18transform_iteratorINSB_9not_fun_tI7is_trueItEEENSC_INSD_IbEEEENSA_11use_defaultESO_EENS0_5tupleIJNSA_16discard_iteratorISO_EES6_EEENSQ_IJSG_SG_EEES6_PlJS6_EEE10hipError_tPvRmT3_T4_T5_T6_T7_T9_mT8_P12ihipStream_tbDpT10_ENKUlT_T0_E_clISt17integral_constantIbLb0EES1E_IbLb1EEEEDaS1A_S1B_EUlS1A_E_NS1_11comp_targetILNS1_3genE0ELNS1_11target_archE4294967295ELNS1_3gpuE0ELNS1_3repE0EEENS1_30default_config_static_selectorELNS0_4arch9wavefront6targetE0EEEvT1_,comdat
.Lfunc_end2741:
	.size	_ZN7rocprim17ROCPRIM_400000_NS6detail17trampoline_kernelINS0_14default_configENS1_25partition_config_selectorILNS1_17partition_subalgoE5EtNS0_10empty_typeEbEEZZNS1_14partition_implILS5_5ELb0ES3_mN6thrust23THRUST_200600_302600_NS6detail15normal_iteratorINSA_10device_ptrItEEEEPS6_NSA_18transform_iteratorINSB_9not_fun_tI7is_trueItEEENSC_INSD_IbEEEENSA_11use_defaultESO_EENS0_5tupleIJNSA_16discard_iteratorISO_EES6_EEENSQ_IJSG_SG_EEES6_PlJS6_EEE10hipError_tPvRmT3_T4_T5_T6_T7_T9_mT8_P12ihipStream_tbDpT10_ENKUlT_T0_E_clISt17integral_constantIbLb0EES1E_IbLb1EEEEDaS1A_S1B_EUlS1A_E_NS1_11comp_targetILNS1_3genE0ELNS1_11target_archE4294967295ELNS1_3gpuE0ELNS1_3repE0EEENS1_30default_config_static_selectorELNS0_4arch9wavefront6targetE0EEEvT1_, .Lfunc_end2741-_ZN7rocprim17ROCPRIM_400000_NS6detail17trampoline_kernelINS0_14default_configENS1_25partition_config_selectorILNS1_17partition_subalgoE5EtNS0_10empty_typeEbEEZZNS1_14partition_implILS5_5ELb0ES3_mN6thrust23THRUST_200600_302600_NS6detail15normal_iteratorINSA_10device_ptrItEEEEPS6_NSA_18transform_iteratorINSB_9not_fun_tI7is_trueItEEENSC_INSD_IbEEEENSA_11use_defaultESO_EENS0_5tupleIJNSA_16discard_iteratorISO_EES6_EEENSQ_IJSG_SG_EEES6_PlJS6_EEE10hipError_tPvRmT3_T4_T5_T6_T7_T9_mT8_P12ihipStream_tbDpT10_ENKUlT_T0_E_clISt17integral_constantIbLb0EES1E_IbLb1EEEEDaS1A_S1B_EUlS1A_E_NS1_11comp_targetILNS1_3genE0ELNS1_11target_archE4294967295ELNS1_3gpuE0ELNS1_3repE0EEENS1_30default_config_static_selectorELNS0_4arch9wavefront6targetE0EEEvT1_
                                        ; -- End function
	.set _ZN7rocprim17ROCPRIM_400000_NS6detail17trampoline_kernelINS0_14default_configENS1_25partition_config_selectorILNS1_17partition_subalgoE5EtNS0_10empty_typeEbEEZZNS1_14partition_implILS5_5ELb0ES3_mN6thrust23THRUST_200600_302600_NS6detail15normal_iteratorINSA_10device_ptrItEEEEPS6_NSA_18transform_iteratorINSB_9not_fun_tI7is_trueItEEENSC_INSD_IbEEEENSA_11use_defaultESO_EENS0_5tupleIJNSA_16discard_iteratorISO_EES6_EEENSQ_IJSG_SG_EEES6_PlJS6_EEE10hipError_tPvRmT3_T4_T5_T6_T7_T9_mT8_P12ihipStream_tbDpT10_ENKUlT_T0_E_clISt17integral_constantIbLb0EES1E_IbLb1EEEEDaS1A_S1B_EUlS1A_E_NS1_11comp_targetILNS1_3genE0ELNS1_11target_archE4294967295ELNS1_3gpuE0ELNS1_3repE0EEENS1_30default_config_static_selectorELNS0_4arch9wavefront6targetE0EEEvT1_.num_vgpr, 0
	.set _ZN7rocprim17ROCPRIM_400000_NS6detail17trampoline_kernelINS0_14default_configENS1_25partition_config_selectorILNS1_17partition_subalgoE5EtNS0_10empty_typeEbEEZZNS1_14partition_implILS5_5ELb0ES3_mN6thrust23THRUST_200600_302600_NS6detail15normal_iteratorINSA_10device_ptrItEEEEPS6_NSA_18transform_iteratorINSB_9not_fun_tI7is_trueItEEENSC_INSD_IbEEEENSA_11use_defaultESO_EENS0_5tupleIJNSA_16discard_iteratorISO_EES6_EEENSQ_IJSG_SG_EEES6_PlJS6_EEE10hipError_tPvRmT3_T4_T5_T6_T7_T9_mT8_P12ihipStream_tbDpT10_ENKUlT_T0_E_clISt17integral_constantIbLb0EES1E_IbLb1EEEEDaS1A_S1B_EUlS1A_E_NS1_11comp_targetILNS1_3genE0ELNS1_11target_archE4294967295ELNS1_3gpuE0ELNS1_3repE0EEENS1_30default_config_static_selectorELNS0_4arch9wavefront6targetE0EEEvT1_.num_agpr, 0
	.set _ZN7rocprim17ROCPRIM_400000_NS6detail17trampoline_kernelINS0_14default_configENS1_25partition_config_selectorILNS1_17partition_subalgoE5EtNS0_10empty_typeEbEEZZNS1_14partition_implILS5_5ELb0ES3_mN6thrust23THRUST_200600_302600_NS6detail15normal_iteratorINSA_10device_ptrItEEEEPS6_NSA_18transform_iteratorINSB_9not_fun_tI7is_trueItEEENSC_INSD_IbEEEENSA_11use_defaultESO_EENS0_5tupleIJNSA_16discard_iteratorISO_EES6_EEENSQ_IJSG_SG_EEES6_PlJS6_EEE10hipError_tPvRmT3_T4_T5_T6_T7_T9_mT8_P12ihipStream_tbDpT10_ENKUlT_T0_E_clISt17integral_constantIbLb0EES1E_IbLb1EEEEDaS1A_S1B_EUlS1A_E_NS1_11comp_targetILNS1_3genE0ELNS1_11target_archE4294967295ELNS1_3gpuE0ELNS1_3repE0EEENS1_30default_config_static_selectorELNS0_4arch9wavefront6targetE0EEEvT1_.numbered_sgpr, 0
	.set _ZN7rocprim17ROCPRIM_400000_NS6detail17trampoline_kernelINS0_14default_configENS1_25partition_config_selectorILNS1_17partition_subalgoE5EtNS0_10empty_typeEbEEZZNS1_14partition_implILS5_5ELb0ES3_mN6thrust23THRUST_200600_302600_NS6detail15normal_iteratorINSA_10device_ptrItEEEEPS6_NSA_18transform_iteratorINSB_9not_fun_tI7is_trueItEEENSC_INSD_IbEEEENSA_11use_defaultESO_EENS0_5tupleIJNSA_16discard_iteratorISO_EES6_EEENSQ_IJSG_SG_EEES6_PlJS6_EEE10hipError_tPvRmT3_T4_T5_T6_T7_T9_mT8_P12ihipStream_tbDpT10_ENKUlT_T0_E_clISt17integral_constantIbLb0EES1E_IbLb1EEEEDaS1A_S1B_EUlS1A_E_NS1_11comp_targetILNS1_3genE0ELNS1_11target_archE4294967295ELNS1_3gpuE0ELNS1_3repE0EEENS1_30default_config_static_selectorELNS0_4arch9wavefront6targetE0EEEvT1_.num_named_barrier, 0
	.set _ZN7rocprim17ROCPRIM_400000_NS6detail17trampoline_kernelINS0_14default_configENS1_25partition_config_selectorILNS1_17partition_subalgoE5EtNS0_10empty_typeEbEEZZNS1_14partition_implILS5_5ELb0ES3_mN6thrust23THRUST_200600_302600_NS6detail15normal_iteratorINSA_10device_ptrItEEEEPS6_NSA_18transform_iteratorINSB_9not_fun_tI7is_trueItEEENSC_INSD_IbEEEENSA_11use_defaultESO_EENS0_5tupleIJNSA_16discard_iteratorISO_EES6_EEENSQ_IJSG_SG_EEES6_PlJS6_EEE10hipError_tPvRmT3_T4_T5_T6_T7_T9_mT8_P12ihipStream_tbDpT10_ENKUlT_T0_E_clISt17integral_constantIbLb0EES1E_IbLb1EEEEDaS1A_S1B_EUlS1A_E_NS1_11comp_targetILNS1_3genE0ELNS1_11target_archE4294967295ELNS1_3gpuE0ELNS1_3repE0EEENS1_30default_config_static_selectorELNS0_4arch9wavefront6targetE0EEEvT1_.private_seg_size, 0
	.set _ZN7rocprim17ROCPRIM_400000_NS6detail17trampoline_kernelINS0_14default_configENS1_25partition_config_selectorILNS1_17partition_subalgoE5EtNS0_10empty_typeEbEEZZNS1_14partition_implILS5_5ELb0ES3_mN6thrust23THRUST_200600_302600_NS6detail15normal_iteratorINSA_10device_ptrItEEEEPS6_NSA_18transform_iteratorINSB_9not_fun_tI7is_trueItEEENSC_INSD_IbEEEENSA_11use_defaultESO_EENS0_5tupleIJNSA_16discard_iteratorISO_EES6_EEENSQ_IJSG_SG_EEES6_PlJS6_EEE10hipError_tPvRmT3_T4_T5_T6_T7_T9_mT8_P12ihipStream_tbDpT10_ENKUlT_T0_E_clISt17integral_constantIbLb0EES1E_IbLb1EEEEDaS1A_S1B_EUlS1A_E_NS1_11comp_targetILNS1_3genE0ELNS1_11target_archE4294967295ELNS1_3gpuE0ELNS1_3repE0EEENS1_30default_config_static_selectorELNS0_4arch9wavefront6targetE0EEEvT1_.uses_vcc, 0
	.set _ZN7rocprim17ROCPRIM_400000_NS6detail17trampoline_kernelINS0_14default_configENS1_25partition_config_selectorILNS1_17partition_subalgoE5EtNS0_10empty_typeEbEEZZNS1_14partition_implILS5_5ELb0ES3_mN6thrust23THRUST_200600_302600_NS6detail15normal_iteratorINSA_10device_ptrItEEEEPS6_NSA_18transform_iteratorINSB_9not_fun_tI7is_trueItEEENSC_INSD_IbEEEENSA_11use_defaultESO_EENS0_5tupleIJNSA_16discard_iteratorISO_EES6_EEENSQ_IJSG_SG_EEES6_PlJS6_EEE10hipError_tPvRmT3_T4_T5_T6_T7_T9_mT8_P12ihipStream_tbDpT10_ENKUlT_T0_E_clISt17integral_constantIbLb0EES1E_IbLb1EEEEDaS1A_S1B_EUlS1A_E_NS1_11comp_targetILNS1_3genE0ELNS1_11target_archE4294967295ELNS1_3gpuE0ELNS1_3repE0EEENS1_30default_config_static_selectorELNS0_4arch9wavefront6targetE0EEEvT1_.uses_flat_scratch, 0
	.set _ZN7rocprim17ROCPRIM_400000_NS6detail17trampoline_kernelINS0_14default_configENS1_25partition_config_selectorILNS1_17partition_subalgoE5EtNS0_10empty_typeEbEEZZNS1_14partition_implILS5_5ELb0ES3_mN6thrust23THRUST_200600_302600_NS6detail15normal_iteratorINSA_10device_ptrItEEEEPS6_NSA_18transform_iteratorINSB_9not_fun_tI7is_trueItEEENSC_INSD_IbEEEENSA_11use_defaultESO_EENS0_5tupleIJNSA_16discard_iteratorISO_EES6_EEENSQ_IJSG_SG_EEES6_PlJS6_EEE10hipError_tPvRmT3_T4_T5_T6_T7_T9_mT8_P12ihipStream_tbDpT10_ENKUlT_T0_E_clISt17integral_constantIbLb0EES1E_IbLb1EEEEDaS1A_S1B_EUlS1A_E_NS1_11comp_targetILNS1_3genE0ELNS1_11target_archE4294967295ELNS1_3gpuE0ELNS1_3repE0EEENS1_30default_config_static_selectorELNS0_4arch9wavefront6targetE0EEEvT1_.has_dyn_sized_stack, 0
	.set _ZN7rocprim17ROCPRIM_400000_NS6detail17trampoline_kernelINS0_14default_configENS1_25partition_config_selectorILNS1_17partition_subalgoE5EtNS0_10empty_typeEbEEZZNS1_14partition_implILS5_5ELb0ES3_mN6thrust23THRUST_200600_302600_NS6detail15normal_iteratorINSA_10device_ptrItEEEEPS6_NSA_18transform_iteratorINSB_9not_fun_tI7is_trueItEEENSC_INSD_IbEEEENSA_11use_defaultESO_EENS0_5tupleIJNSA_16discard_iteratorISO_EES6_EEENSQ_IJSG_SG_EEES6_PlJS6_EEE10hipError_tPvRmT3_T4_T5_T6_T7_T9_mT8_P12ihipStream_tbDpT10_ENKUlT_T0_E_clISt17integral_constantIbLb0EES1E_IbLb1EEEEDaS1A_S1B_EUlS1A_E_NS1_11comp_targetILNS1_3genE0ELNS1_11target_archE4294967295ELNS1_3gpuE0ELNS1_3repE0EEENS1_30default_config_static_selectorELNS0_4arch9wavefront6targetE0EEEvT1_.has_recursion, 0
	.set _ZN7rocprim17ROCPRIM_400000_NS6detail17trampoline_kernelINS0_14default_configENS1_25partition_config_selectorILNS1_17partition_subalgoE5EtNS0_10empty_typeEbEEZZNS1_14partition_implILS5_5ELb0ES3_mN6thrust23THRUST_200600_302600_NS6detail15normal_iteratorINSA_10device_ptrItEEEEPS6_NSA_18transform_iteratorINSB_9not_fun_tI7is_trueItEEENSC_INSD_IbEEEENSA_11use_defaultESO_EENS0_5tupleIJNSA_16discard_iteratorISO_EES6_EEENSQ_IJSG_SG_EEES6_PlJS6_EEE10hipError_tPvRmT3_T4_T5_T6_T7_T9_mT8_P12ihipStream_tbDpT10_ENKUlT_T0_E_clISt17integral_constantIbLb0EES1E_IbLb1EEEEDaS1A_S1B_EUlS1A_E_NS1_11comp_targetILNS1_3genE0ELNS1_11target_archE4294967295ELNS1_3gpuE0ELNS1_3repE0EEENS1_30default_config_static_selectorELNS0_4arch9wavefront6targetE0EEEvT1_.has_indirect_call, 0
	.section	.AMDGPU.csdata,"",@progbits
; Kernel info:
; codeLenInByte = 0
; TotalNumSgprs: 0
; NumVgprs: 0
; ScratchSize: 0
; MemoryBound: 0
; FloatMode: 240
; IeeeMode: 1
; LDSByteSize: 0 bytes/workgroup (compile time only)
; SGPRBlocks: 0
; VGPRBlocks: 0
; NumSGPRsForWavesPerEU: 1
; NumVGPRsForWavesPerEU: 1
; Occupancy: 16
; WaveLimiterHint : 0
; COMPUTE_PGM_RSRC2:SCRATCH_EN: 0
; COMPUTE_PGM_RSRC2:USER_SGPR: 2
; COMPUTE_PGM_RSRC2:TRAP_HANDLER: 0
; COMPUTE_PGM_RSRC2:TGID_X_EN: 1
; COMPUTE_PGM_RSRC2:TGID_Y_EN: 0
; COMPUTE_PGM_RSRC2:TGID_Z_EN: 0
; COMPUTE_PGM_RSRC2:TIDIG_COMP_CNT: 0
	.section	.text._ZN7rocprim17ROCPRIM_400000_NS6detail17trampoline_kernelINS0_14default_configENS1_25partition_config_selectorILNS1_17partition_subalgoE5EtNS0_10empty_typeEbEEZZNS1_14partition_implILS5_5ELb0ES3_mN6thrust23THRUST_200600_302600_NS6detail15normal_iteratorINSA_10device_ptrItEEEEPS6_NSA_18transform_iteratorINSB_9not_fun_tI7is_trueItEEENSC_INSD_IbEEEENSA_11use_defaultESO_EENS0_5tupleIJNSA_16discard_iteratorISO_EES6_EEENSQ_IJSG_SG_EEES6_PlJS6_EEE10hipError_tPvRmT3_T4_T5_T6_T7_T9_mT8_P12ihipStream_tbDpT10_ENKUlT_T0_E_clISt17integral_constantIbLb0EES1E_IbLb1EEEEDaS1A_S1B_EUlS1A_E_NS1_11comp_targetILNS1_3genE5ELNS1_11target_archE942ELNS1_3gpuE9ELNS1_3repE0EEENS1_30default_config_static_selectorELNS0_4arch9wavefront6targetE0EEEvT1_,"axG",@progbits,_ZN7rocprim17ROCPRIM_400000_NS6detail17trampoline_kernelINS0_14default_configENS1_25partition_config_selectorILNS1_17partition_subalgoE5EtNS0_10empty_typeEbEEZZNS1_14partition_implILS5_5ELb0ES3_mN6thrust23THRUST_200600_302600_NS6detail15normal_iteratorINSA_10device_ptrItEEEEPS6_NSA_18transform_iteratorINSB_9not_fun_tI7is_trueItEEENSC_INSD_IbEEEENSA_11use_defaultESO_EENS0_5tupleIJNSA_16discard_iteratorISO_EES6_EEENSQ_IJSG_SG_EEES6_PlJS6_EEE10hipError_tPvRmT3_T4_T5_T6_T7_T9_mT8_P12ihipStream_tbDpT10_ENKUlT_T0_E_clISt17integral_constantIbLb0EES1E_IbLb1EEEEDaS1A_S1B_EUlS1A_E_NS1_11comp_targetILNS1_3genE5ELNS1_11target_archE942ELNS1_3gpuE9ELNS1_3repE0EEENS1_30default_config_static_selectorELNS0_4arch9wavefront6targetE0EEEvT1_,comdat
	.protected	_ZN7rocprim17ROCPRIM_400000_NS6detail17trampoline_kernelINS0_14default_configENS1_25partition_config_selectorILNS1_17partition_subalgoE5EtNS0_10empty_typeEbEEZZNS1_14partition_implILS5_5ELb0ES3_mN6thrust23THRUST_200600_302600_NS6detail15normal_iteratorINSA_10device_ptrItEEEEPS6_NSA_18transform_iteratorINSB_9not_fun_tI7is_trueItEEENSC_INSD_IbEEEENSA_11use_defaultESO_EENS0_5tupleIJNSA_16discard_iteratorISO_EES6_EEENSQ_IJSG_SG_EEES6_PlJS6_EEE10hipError_tPvRmT3_T4_T5_T6_T7_T9_mT8_P12ihipStream_tbDpT10_ENKUlT_T0_E_clISt17integral_constantIbLb0EES1E_IbLb1EEEEDaS1A_S1B_EUlS1A_E_NS1_11comp_targetILNS1_3genE5ELNS1_11target_archE942ELNS1_3gpuE9ELNS1_3repE0EEENS1_30default_config_static_selectorELNS0_4arch9wavefront6targetE0EEEvT1_ ; -- Begin function _ZN7rocprim17ROCPRIM_400000_NS6detail17trampoline_kernelINS0_14default_configENS1_25partition_config_selectorILNS1_17partition_subalgoE5EtNS0_10empty_typeEbEEZZNS1_14partition_implILS5_5ELb0ES3_mN6thrust23THRUST_200600_302600_NS6detail15normal_iteratorINSA_10device_ptrItEEEEPS6_NSA_18transform_iteratorINSB_9not_fun_tI7is_trueItEEENSC_INSD_IbEEEENSA_11use_defaultESO_EENS0_5tupleIJNSA_16discard_iteratorISO_EES6_EEENSQ_IJSG_SG_EEES6_PlJS6_EEE10hipError_tPvRmT3_T4_T5_T6_T7_T9_mT8_P12ihipStream_tbDpT10_ENKUlT_T0_E_clISt17integral_constantIbLb0EES1E_IbLb1EEEEDaS1A_S1B_EUlS1A_E_NS1_11comp_targetILNS1_3genE5ELNS1_11target_archE942ELNS1_3gpuE9ELNS1_3repE0EEENS1_30default_config_static_selectorELNS0_4arch9wavefront6targetE0EEEvT1_
	.globl	_ZN7rocprim17ROCPRIM_400000_NS6detail17trampoline_kernelINS0_14default_configENS1_25partition_config_selectorILNS1_17partition_subalgoE5EtNS0_10empty_typeEbEEZZNS1_14partition_implILS5_5ELb0ES3_mN6thrust23THRUST_200600_302600_NS6detail15normal_iteratorINSA_10device_ptrItEEEEPS6_NSA_18transform_iteratorINSB_9not_fun_tI7is_trueItEEENSC_INSD_IbEEEENSA_11use_defaultESO_EENS0_5tupleIJNSA_16discard_iteratorISO_EES6_EEENSQ_IJSG_SG_EEES6_PlJS6_EEE10hipError_tPvRmT3_T4_T5_T6_T7_T9_mT8_P12ihipStream_tbDpT10_ENKUlT_T0_E_clISt17integral_constantIbLb0EES1E_IbLb1EEEEDaS1A_S1B_EUlS1A_E_NS1_11comp_targetILNS1_3genE5ELNS1_11target_archE942ELNS1_3gpuE9ELNS1_3repE0EEENS1_30default_config_static_selectorELNS0_4arch9wavefront6targetE0EEEvT1_
	.p2align	8
	.type	_ZN7rocprim17ROCPRIM_400000_NS6detail17trampoline_kernelINS0_14default_configENS1_25partition_config_selectorILNS1_17partition_subalgoE5EtNS0_10empty_typeEbEEZZNS1_14partition_implILS5_5ELb0ES3_mN6thrust23THRUST_200600_302600_NS6detail15normal_iteratorINSA_10device_ptrItEEEEPS6_NSA_18transform_iteratorINSB_9not_fun_tI7is_trueItEEENSC_INSD_IbEEEENSA_11use_defaultESO_EENS0_5tupleIJNSA_16discard_iteratorISO_EES6_EEENSQ_IJSG_SG_EEES6_PlJS6_EEE10hipError_tPvRmT3_T4_T5_T6_T7_T9_mT8_P12ihipStream_tbDpT10_ENKUlT_T0_E_clISt17integral_constantIbLb0EES1E_IbLb1EEEEDaS1A_S1B_EUlS1A_E_NS1_11comp_targetILNS1_3genE5ELNS1_11target_archE942ELNS1_3gpuE9ELNS1_3repE0EEENS1_30default_config_static_selectorELNS0_4arch9wavefront6targetE0EEEvT1_,@function
_ZN7rocprim17ROCPRIM_400000_NS6detail17trampoline_kernelINS0_14default_configENS1_25partition_config_selectorILNS1_17partition_subalgoE5EtNS0_10empty_typeEbEEZZNS1_14partition_implILS5_5ELb0ES3_mN6thrust23THRUST_200600_302600_NS6detail15normal_iteratorINSA_10device_ptrItEEEEPS6_NSA_18transform_iteratorINSB_9not_fun_tI7is_trueItEEENSC_INSD_IbEEEENSA_11use_defaultESO_EENS0_5tupleIJNSA_16discard_iteratorISO_EES6_EEENSQ_IJSG_SG_EEES6_PlJS6_EEE10hipError_tPvRmT3_T4_T5_T6_T7_T9_mT8_P12ihipStream_tbDpT10_ENKUlT_T0_E_clISt17integral_constantIbLb0EES1E_IbLb1EEEEDaS1A_S1B_EUlS1A_E_NS1_11comp_targetILNS1_3genE5ELNS1_11target_archE942ELNS1_3gpuE9ELNS1_3repE0EEENS1_30default_config_static_selectorELNS0_4arch9wavefront6targetE0EEEvT1_: ; @_ZN7rocprim17ROCPRIM_400000_NS6detail17trampoline_kernelINS0_14default_configENS1_25partition_config_selectorILNS1_17partition_subalgoE5EtNS0_10empty_typeEbEEZZNS1_14partition_implILS5_5ELb0ES3_mN6thrust23THRUST_200600_302600_NS6detail15normal_iteratorINSA_10device_ptrItEEEEPS6_NSA_18transform_iteratorINSB_9not_fun_tI7is_trueItEEENSC_INSD_IbEEEENSA_11use_defaultESO_EENS0_5tupleIJNSA_16discard_iteratorISO_EES6_EEENSQ_IJSG_SG_EEES6_PlJS6_EEE10hipError_tPvRmT3_T4_T5_T6_T7_T9_mT8_P12ihipStream_tbDpT10_ENKUlT_T0_E_clISt17integral_constantIbLb0EES1E_IbLb1EEEEDaS1A_S1B_EUlS1A_E_NS1_11comp_targetILNS1_3genE5ELNS1_11target_archE942ELNS1_3gpuE9ELNS1_3repE0EEENS1_30default_config_static_selectorELNS0_4arch9wavefront6targetE0EEEvT1_
; %bb.0:
	.section	.rodata,"a",@progbits
	.p2align	6, 0x0
	.amdhsa_kernel _ZN7rocprim17ROCPRIM_400000_NS6detail17trampoline_kernelINS0_14default_configENS1_25partition_config_selectorILNS1_17partition_subalgoE5EtNS0_10empty_typeEbEEZZNS1_14partition_implILS5_5ELb0ES3_mN6thrust23THRUST_200600_302600_NS6detail15normal_iteratorINSA_10device_ptrItEEEEPS6_NSA_18transform_iteratorINSB_9not_fun_tI7is_trueItEEENSC_INSD_IbEEEENSA_11use_defaultESO_EENS0_5tupleIJNSA_16discard_iteratorISO_EES6_EEENSQ_IJSG_SG_EEES6_PlJS6_EEE10hipError_tPvRmT3_T4_T5_T6_T7_T9_mT8_P12ihipStream_tbDpT10_ENKUlT_T0_E_clISt17integral_constantIbLb0EES1E_IbLb1EEEEDaS1A_S1B_EUlS1A_E_NS1_11comp_targetILNS1_3genE5ELNS1_11target_archE942ELNS1_3gpuE9ELNS1_3repE0EEENS1_30default_config_static_selectorELNS0_4arch9wavefront6targetE0EEEvT1_
		.amdhsa_group_segment_fixed_size 0
		.amdhsa_private_segment_fixed_size 0
		.amdhsa_kernarg_size 144
		.amdhsa_user_sgpr_count 2
		.amdhsa_user_sgpr_dispatch_ptr 0
		.amdhsa_user_sgpr_queue_ptr 0
		.amdhsa_user_sgpr_kernarg_segment_ptr 1
		.amdhsa_user_sgpr_dispatch_id 0
		.amdhsa_user_sgpr_private_segment_size 0
		.amdhsa_wavefront_size32 1
		.amdhsa_uses_dynamic_stack 0
		.amdhsa_enable_private_segment 0
		.amdhsa_system_sgpr_workgroup_id_x 1
		.amdhsa_system_sgpr_workgroup_id_y 0
		.amdhsa_system_sgpr_workgroup_id_z 0
		.amdhsa_system_sgpr_workgroup_info 0
		.amdhsa_system_vgpr_workitem_id 0
		.amdhsa_next_free_vgpr 1
		.amdhsa_next_free_sgpr 1
		.amdhsa_reserve_vcc 0
		.amdhsa_float_round_mode_32 0
		.amdhsa_float_round_mode_16_64 0
		.amdhsa_float_denorm_mode_32 3
		.amdhsa_float_denorm_mode_16_64 3
		.amdhsa_fp16_overflow 0
		.amdhsa_workgroup_processor_mode 1
		.amdhsa_memory_ordered 1
		.amdhsa_forward_progress 1
		.amdhsa_inst_pref_size 0
		.amdhsa_round_robin_scheduling 0
		.amdhsa_exception_fp_ieee_invalid_op 0
		.amdhsa_exception_fp_denorm_src 0
		.amdhsa_exception_fp_ieee_div_zero 0
		.amdhsa_exception_fp_ieee_overflow 0
		.amdhsa_exception_fp_ieee_underflow 0
		.amdhsa_exception_fp_ieee_inexact 0
		.amdhsa_exception_int_div_zero 0
	.end_amdhsa_kernel
	.section	.text._ZN7rocprim17ROCPRIM_400000_NS6detail17trampoline_kernelINS0_14default_configENS1_25partition_config_selectorILNS1_17partition_subalgoE5EtNS0_10empty_typeEbEEZZNS1_14partition_implILS5_5ELb0ES3_mN6thrust23THRUST_200600_302600_NS6detail15normal_iteratorINSA_10device_ptrItEEEEPS6_NSA_18transform_iteratorINSB_9not_fun_tI7is_trueItEEENSC_INSD_IbEEEENSA_11use_defaultESO_EENS0_5tupleIJNSA_16discard_iteratorISO_EES6_EEENSQ_IJSG_SG_EEES6_PlJS6_EEE10hipError_tPvRmT3_T4_T5_T6_T7_T9_mT8_P12ihipStream_tbDpT10_ENKUlT_T0_E_clISt17integral_constantIbLb0EES1E_IbLb1EEEEDaS1A_S1B_EUlS1A_E_NS1_11comp_targetILNS1_3genE5ELNS1_11target_archE942ELNS1_3gpuE9ELNS1_3repE0EEENS1_30default_config_static_selectorELNS0_4arch9wavefront6targetE0EEEvT1_,"axG",@progbits,_ZN7rocprim17ROCPRIM_400000_NS6detail17trampoline_kernelINS0_14default_configENS1_25partition_config_selectorILNS1_17partition_subalgoE5EtNS0_10empty_typeEbEEZZNS1_14partition_implILS5_5ELb0ES3_mN6thrust23THRUST_200600_302600_NS6detail15normal_iteratorINSA_10device_ptrItEEEEPS6_NSA_18transform_iteratorINSB_9not_fun_tI7is_trueItEEENSC_INSD_IbEEEENSA_11use_defaultESO_EENS0_5tupleIJNSA_16discard_iteratorISO_EES6_EEENSQ_IJSG_SG_EEES6_PlJS6_EEE10hipError_tPvRmT3_T4_T5_T6_T7_T9_mT8_P12ihipStream_tbDpT10_ENKUlT_T0_E_clISt17integral_constantIbLb0EES1E_IbLb1EEEEDaS1A_S1B_EUlS1A_E_NS1_11comp_targetILNS1_3genE5ELNS1_11target_archE942ELNS1_3gpuE9ELNS1_3repE0EEENS1_30default_config_static_selectorELNS0_4arch9wavefront6targetE0EEEvT1_,comdat
.Lfunc_end2742:
	.size	_ZN7rocprim17ROCPRIM_400000_NS6detail17trampoline_kernelINS0_14default_configENS1_25partition_config_selectorILNS1_17partition_subalgoE5EtNS0_10empty_typeEbEEZZNS1_14partition_implILS5_5ELb0ES3_mN6thrust23THRUST_200600_302600_NS6detail15normal_iteratorINSA_10device_ptrItEEEEPS6_NSA_18transform_iteratorINSB_9not_fun_tI7is_trueItEEENSC_INSD_IbEEEENSA_11use_defaultESO_EENS0_5tupleIJNSA_16discard_iteratorISO_EES6_EEENSQ_IJSG_SG_EEES6_PlJS6_EEE10hipError_tPvRmT3_T4_T5_T6_T7_T9_mT8_P12ihipStream_tbDpT10_ENKUlT_T0_E_clISt17integral_constantIbLb0EES1E_IbLb1EEEEDaS1A_S1B_EUlS1A_E_NS1_11comp_targetILNS1_3genE5ELNS1_11target_archE942ELNS1_3gpuE9ELNS1_3repE0EEENS1_30default_config_static_selectorELNS0_4arch9wavefront6targetE0EEEvT1_, .Lfunc_end2742-_ZN7rocprim17ROCPRIM_400000_NS6detail17trampoline_kernelINS0_14default_configENS1_25partition_config_selectorILNS1_17partition_subalgoE5EtNS0_10empty_typeEbEEZZNS1_14partition_implILS5_5ELb0ES3_mN6thrust23THRUST_200600_302600_NS6detail15normal_iteratorINSA_10device_ptrItEEEEPS6_NSA_18transform_iteratorINSB_9not_fun_tI7is_trueItEEENSC_INSD_IbEEEENSA_11use_defaultESO_EENS0_5tupleIJNSA_16discard_iteratorISO_EES6_EEENSQ_IJSG_SG_EEES6_PlJS6_EEE10hipError_tPvRmT3_T4_T5_T6_T7_T9_mT8_P12ihipStream_tbDpT10_ENKUlT_T0_E_clISt17integral_constantIbLb0EES1E_IbLb1EEEEDaS1A_S1B_EUlS1A_E_NS1_11comp_targetILNS1_3genE5ELNS1_11target_archE942ELNS1_3gpuE9ELNS1_3repE0EEENS1_30default_config_static_selectorELNS0_4arch9wavefront6targetE0EEEvT1_
                                        ; -- End function
	.set _ZN7rocprim17ROCPRIM_400000_NS6detail17trampoline_kernelINS0_14default_configENS1_25partition_config_selectorILNS1_17partition_subalgoE5EtNS0_10empty_typeEbEEZZNS1_14partition_implILS5_5ELb0ES3_mN6thrust23THRUST_200600_302600_NS6detail15normal_iteratorINSA_10device_ptrItEEEEPS6_NSA_18transform_iteratorINSB_9not_fun_tI7is_trueItEEENSC_INSD_IbEEEENSA_11use_defaultESO_EENS0_5tupleIJNSA_16discard_iteratorISO_EES6_EEENSQ_IJSG_SG_EEES6_PlJS6_EEE10hipError_tPvRmT3_T4_T5_T6_T7_T9_mT8_P12ihipStream_tbDpT10_ENKUlT_T0_E_clISt17integral_constantIbLb0EES1E_IbLb1EEEEDaS1A_S1B_EUlS1A_E_NS1_11comp_targetILNS1_3genE5ELNS1_11target_archE942ELNS1_3gpuE9ELNS1_3repE0EEENS1_30default_config_static_selectorELNS0_4arch9wavefront6targetE0EEEvT1_.num_vgpr, 0
	.set _ZN7rocprim17ROCPRIM_400000_NS6detail17trampoline_kernelINS0_14default_configENS1_25partition_config_selectorILNS1_17partition_subalgoE5EtNS0_10empty_typeEbEEZZNS1_14partition_implILS5_5ELb0ES3_mN6thrust23THRUST_200600_302600_NS6detail15normal_iteratorINSA_10device_ptrItEEEEPS6_NSA_18transform_iteratorINSB_9not_fun_tI7is_trueItEEENSC_INSD_IbEEEENSA_11use_defaultESO_EENS0_5tupleIJNSA_16discard_iteratorISO_EES6_EEENSQ_IJSG_SG_EEES6_PlJS6_EEE10hipError_tPvRmT3_T4_T5_T6_T7_T9_mT8_P12ihipStream_tbDpT10_ENKUlT_T0_E_clISt17integral_constantIbLb0EES1E_IbLb1EEEEDaS1A_S1B_EUlS1A_E_NS1_11comp_targetILNS1_3genE5ELNS1_11target_archE942ELNS1_3gpuE9ELNS1_3repE0EEENS1_30default_config_static_selectorELNS0_4arch9wavefront6targetE0EEEvT1_.num_agpr, 0
	.set _ZN7rocprim17ROCPRIM_400000_NS6detail17trampoline_kernelINS0_14default_configENS1_25partition_config_selectorILNS1_17partition_subalgoE5EtNS0_10empty_typeEbEEZZNS1_14partition_implILS5_5ELb0ES3_mN6thrust23THRUST_200600_302600_NS6detail15normal_iteratorINSA_10device_ptrItEEEEPS6_NSA_18transform_iteratorINSB_9not_fun_tI7is_trueItEEENSC_INSD_IbEEEENSA_11use_defaultESO_EENS0_5tupleIJNSA_16discard_iteratorISO_EES6_EEENSQ_IJSG_SG_EEES6_PlJS6_EEE10hipError_tPvRmT3_T4_T5_T6_T7_T9_mT8_P12ihipStream_tbDpT10_ENKUlT_T0_E_clISt17integral_constantIbLb0EES1E_IbLb1EEEEDaS1A_S1B_EUlS1A_E_NS1_11comp_targetILNS1_3genE5ELNS1_11target_archE942ELNS1_3gpuE9ELNS1_3repE0EEENS1_30default_config_static_selectorELNS0_4arch9wavefront6targetE0EEEvT1_.numbered_sgpr, 0
	.set _ZN7rocprim17ROCPRIM_400000_NS6detail17trampoline_kernelINS0_14default_configENS1_25partition_config_selectorILNS1_17partition_subalgoE5EtNS0_10empty_typeEbEEZZNS1_14partition_implILS5_5ELb0ES3_mN6thrust23THRUST_200600_302600_NS6detail15normal_iteratorINSA_10device_ptrItEEEEPS6_NSA_18transform_iteratorINSB_9not_fun_tI7is_trueItEEENSC_INSD_IbEEEENSA_11use_defaultESO_EENS0_5tupleIJNSA_16discard_iteratorISO_EES6_EEENSQ_IJSG_SG_EEES6_PlJS6_EEE10hipError_tPvRmT3_T4_T5_T6_T7_T9_mT8_P12ihipStream_tbDpT10_ENKUlT_T0_E_clISt17integral_constantIbLb0EES1E_IbLb1EEEEDaS1A_S1B_EUlS1A_E_NS1_11comp_targetILNS1_3genE5ELNS1_11target_archE942ELNS1_3gpuE9ELNS1_3repE0EEENS1_30default_config_static_selectorELNS0_4arch9wavefront6targetE0EEEvT1_.num_named_barrier, 0
	.set _ZN7rocprim17ROCPRIM_400000_NS6detail17trampoline_kernelINS0_14default_configENS1_25partition_config_selectorILNS1_17partition_subalgoE5EtNS0_10empty_typeEbEEZZNS1_14partition_implILS5_5ELb0ES3_mN6thrust23THRUST_200600_302600_NS6detail15normal_iteratorINSA_10device_ptrItEEEEPS6_NSA_18transform_iteratorINSB_9not_fun_tI7is_trueItEEENSC_INSD_IbEEEENSA_11use_defaultESO_EENS0_5tupleIJNSA_16discard_iteratorISO_EES6_EEENSQ_IJSG_SG_EEES6_PlJS6_EEE10hipError_tPvRmT3_T4_T5_T6_T7_T9_mT8_P12ihipStream_tbDpT10_ENKUlT_T0_E_clISt17integral_constantIbLb0EES1E_IbLb1EEEEDaS1A_S1B_EUlS1A_E_NS1_11comp_targetILNS1_3genE5ELNS1_11target_archE942ELNS1_3gpuE9ELNS1_3repE0EEENS1_30default_config_static_selectorELNS0_4arch9wavefront6targetE0EEEvT1_.private_seg_size, 0
	.set _ZN7rocprim17ROCPRIM_400000_NS6detail17trampoline_kernelINS0_14default_configENS1_25partition_config_selectorILNS1_17partition_subalgoE5EtNS0_10empty_typeEbEEZZNS1_14partition_implILS5_5ELb0ES3_mN6thrust23THRUST_200600_302600_NS6detail15normal_iteratorINSA_10device_ptrItEEEEPS6_NSA_18transform_iteratorINSB_9not_fun_tI7is_trueItEEENSC_INSD_IbEEEENSA_11use_defaultESO_EENS0_5tupleIJNSA_16discard_iteratorISO_EES6_EEENSQ_IJSG_SG_EEES6_PlJS6_EEE10hipError_tPvRmT3_T4_T5_T6_T7_T9_mT8_P12ihipStream_tbDpT10_ENKUlT_T0_E_clISt17integral_constantIbLb0EES1E_IbLb1EEEEDaS1A_S1B_EUlS1A_E_NS1_11comp_targetILNS1_3genE5ELNS1_11target_archE942ELNS1_3gpuE9ELNS1_3repE0EEENS1_30default_config_static_selectorELNS0_4arch9wavefront6targetE0EEEvT1_.uses_vcc, 0
	.set _ZN7rocprim17ROCPRIM_400000_NS6detail17trampoline_kernelINS0_14default_configENS1_25partition_config_selectorILNS1_17partition_subalgoE5EtNS0_10empty_typeEbEEZZNS1_14partition_implILS5_5ELb0ES3_mN6thrust23THRUST_200600_302600_NS6detail15normal_iteratorINSA_10device_ptrItEEEEPS6_NSA_18transform_iteratorINSB_9not_fun_tI7is_trueItEEENSC_INSD_IbEEEENSA_11use_defaultESO_EENS0_5tupleIJNSA_16discard_iteratorISO_EES6_EEENSQ_IJSG_SG_EEES6_PlJS6_EEE10hipError_tPvRmT3_T4_T5_T6_T7_T9_mT8_P12ihipStream_tbDpT10_ENKUlT_T0_E_clISt17integral_constantIbLb0EES1E_IbLb1EEEEDaS1A_S1B_EUlS1A_E_NS1_11comp_targetILNS1_3genE5ELNS1_11target_archE942ELNS1_3gpuE9ELNS1_3repE0EEENS1_30default_config_static_selectorELNS0_4arch9wavefront6targetE0EEEvT1_.uses_flat_scratch, 0
	.set _ZN7rocprim17ROCPRIM_400000_NS6detail17trampoline_kernelINS0_14default_configENS1_25partition_config_selectorILNS1_17partition_subalgoE5EtNS0_10empty_typeEbEEZZNS1_14partition_implILS5_5ELb0ES3_mN6thrust23THRUST_200600_302600_NS6detail15normal_iteratorINSA_10device_ptrItEEEEPS6_NSA_18transform_iteratorINSB_9not_fun_tI7is_trueItEEENSC_INSD_IbEEEENSA_11use_defaultESO_EENS0_5tupleIJNSA_16discard_iteratorISO_EES6_EEENSQ_IJSG_SG_EEES6_PlJS6_EEE10hipError_tPvRmT3_T4_T5_T6_T7_T9_mT8_P12ihipStream_tbDpT10_ENKUlT_T0_E_clISt17integral_constantIbLb0EES1E_IbLb1EEEEDaS1A_S1B_EUlS1A_E_NS1_11comp_targetILNS1_3genE5ELNS1_11target_archE942ELNS1_3gpuE9ELNS1_3repE0EEENS1_30default_config_static_selectorELNS0_4arch9wavefront6targetE0EEEvT1_.has_dyn_sized_stack, 0
	.set _ZN7rocprim17ROCPRIM_400000_NS6detail17trampoline_kernelINS0_14default_configENS1_25partition_config_selectorILNS1_17partition_subalgoE5EtNS0_10empty_typeEbEEZZNS1_14partition_implILS5_5ELb0ES3_mN6thrust23THRUST_200600_302600_NS6detail15normal_iteratorINSA_10device_ptrItEEEEPS6_NSA_18transform_iteratorINSB_9not_fun_tI7is_trueItEEENSC_INSD_IbEEEENSA_11use_defaultESO_EENS0_5tupleIJNSA_16discard_iteratorISO_EES6_EEENSQ_IJSG_SG_EEES6_PlJS6_EEE10hipError_tPvRmT3_T4_T5_T6_T7_T9_mT8_P12ihipStream_tbDpT10_ENKUlT_T0_E_clISt17integral_constantIbLb0EES1E_IbLb1EEEEDaS1A_S1B_EUlS1A_E_NS1_11comp_targetILNS1_3genE5ELNS1_11target_archE942ELNS1_3gpuE9ELNS1_3repE0EEENS1_30default_config_static_selectorELNS0_4arch9wavefront6targetE0EEEvT1_.has_recursion, 0
	.set _ZN7rocprim17ROCPRIM_400000_NS6detail17trampoline_kernelINS0_14default_configENS1_25partition_config_selectorILNS1_17partition_subalgoE5EtNS0_10empty_typeEbEEZZNS1_14partition_implILS5_5ELb0ES3_mN6thrust23THRUST_200600_302600_NS6detail15normal_iteratorINSA_10device_ptrItEEEEPS6_NSA_18transform_iteratorINSB_9not_fun_tI7is_trueItEEENSC_INSD_IbEEEENSA_11use_defaultESO_EENS0_5tupleIJNSA_16discard_iteratorISO_EES6_EEENSQ_IJSG_SG_EEES6_PlJS6_EEE10hipError_tPvRmT3_T4_T5_T6_T7_T9_mT8_P12ihipStream_tbDpT10_ENKUlT_T0_E_clISt17integral_constantIbLb0EES1E_IbLb1EEEEDaS1A_S1B_EUlS1A_E_NS1_11comp_targetILNS1_3genE5ELNS1_11target_archE942ELNS1_3gpuE9ELNS1_3repE0EEENS1_30default_config_static_selectorELNS0_4arch9wavefront6targetE0EEEvT1_.has_indirect_call, 0
	.section	.AMDGPU.csdata,"",@progbits
; Kernel info:
; codeLenInByte = 0
; TotalNumSgprs: 0
; NumVgprs: 0
; ScratchSize: 0
; MemoryBound: 0
; FloatMode: 240
; IeeeMode: 1
; LDSByteSize: 0 bytes/workgroup (compile time only)
; SGPRBlocks: 0
; VGPRBlocks: 0
; NumSGPRsForWavesPerEU: 1
; NumVGPRsForWavesPerEU: 1
; Occupancy: 16
; WaveLimiterHint : 0
; COMPUTE_PGM_RSRC2:SCRATCH_EN: 0
; COMPUTE_PGM_RSRC2:USER_SGPR: 2
; COMPUTE_PGM_RSRC2:TRAP_HANDLER: 0
; COMPUTE_PGM_RSRC2:TGID_X_EN: 1
; COMPUTE_PGM_RSRC2:TGID_Y_EN: 0
; COMPUTE_PGM_RSRC2:TGID_Z_EN: 0
; COMPUTE_PGM_RSRC2:TIDIG_COMP_CNT: 0
	.section	.text._ZN7rocprim17ROCPRIM_400000_NS6detail17trampoline_kernelINS0_14default_configENS1_25partition_config_selectorILNS1_17partition_subalgoE5EtNS0_10empty_typeEbEEZZNS1_14partition_implILS5_5ELb0ES3_mN6thrust23THRUST_200600_302600_NS6detail15normal_iteratorINSA_10device_ptrItEEEEPS6_NSA_18transform_iteratorINSB_9not_fun_tI7is_trueItEEENSC_INSD_IbEEEENSA_11use_defaultESO_EENS0_5tupleIJNSA_16discard_iteratorISO_EES6_EEENSQ_IJSG_SG_EEES6_PlJS6_EEE10hipError_tPvRmT3_T4_T5_T6_T7_T9_mT8_P12ihipStream_tbDpT10_ENKUlT_T0_E_clISt17integral_constantIbLb0EES1E_IbLb1EEEEDaS1A_S1B_EUlS1A_E_NS1_11comp_targetILNS1_3genE4ELNS1_11target_archE910ELNS1_3gpuE8ELNS1_3repE0EEENS1_30default_config_static_selectorELNS0_4arch9wavefront6targetE0EEEvT1_,"axG",@progbits,_ZN7rocprim17ROCPRIM_400000_NS6detail17trampoline_kernelINS0_14default_configENS1_25partition_config_selectorILNS1_17partition_subalgoE5EtNS0_10empty_typeEbEEZZNS1_14partition_implILS5_5ELb0ES3_mN6thrust23THRUST_200600_302600_NS6detail15normal_iteratorINSA_10device_ptrItEEEEPS6_NSA_18transform_iteratorINSB_9not_fun_tI7is_trueItEEENSC_INSD_IbEEEENSA_11use_defaultESO_EENS0_5tupleIJNSA_16discard_iteratorISO_EES6_EEENSQ_IJSG_SG_EEES6_PlJS6_EEE10hipError_tPvRmT3_T4_T5_T6_T7_T9_mT8_P12ihipStream_tbDpT10_ENKUlT_T0_E_clISt17integral_constantIbLb0EES1E_IbLb1EEEEDaS1A_S1B_EUlS1A_E_NS1_11comp_targetILNS1_3genE4ELNS1_11target_archE910ELNS1_3gpuE8ELNS1_3repE0EEENS1_30default_config_static_selectorELNS0_4arch9wavefront6targetE0EEEvT1_,comdat
	.protected	_ZN7rocprim17ROCPRIM_400000_NS6detail17trampoline_kernelINS0_14default_configENS1_25partition_config_selectorILNS1_17partition_subalgoE5EtNS0_10empty_typeEbEEZZNS1_14partition_implILS5_5ELb0ES3_mN6thrust23THRUST_200600_302600_NS6detail15normal_iteratorINSA_10device_ptrItEEEEPS6_NSA_18transform_iteratorINSB_9not_fun_tI7is_trueItEEENSC_INSD_IbEEEENSA_11use_defaultESO_EENS0_5tupleIJNSA_16discard_iteratorISO_EES6_EEENSQ_IJSG_SG_EEES6_PlJS6_EEE10hipError_tPvRmT3_T4_T5_T6_T7_T9_mT8_P12ihipStream_tbDpT10_ENKUlT_T0_E_clISt17integral_constantIbLb0EES1E_IbLb1EEEEDaS1A_S1B_EUlS1A_E_NS1_11comp_targetILNS1_3genE4ELNS1_11target_archE910ELNS1_3gpuE8ELNS1_3repE0EEENS1_30default_config_static_selectorELNS0_4arch9wavefront6targetE0EEEvT1_ ; -- Begin function _ZN7rocprim17ROCPRIM_400000_NS6detail17trampoline_kernelINS0_14default_configENS1_25partition_config_selectorILNS1_17partition_subalgoE5EtNS0_10empty_typeEbEEZZNS1_14partition_implILS5_5ELb0ES3_mN6thrust23THRUST_200600_302600_NS6detail15normal_iteratorINSA_10device_ptrItEEEEPS6_NSA_18transform_iteratorINSB_9not_fun_tI7is_trueItEEENSC_INSD_IbEEEENSA_11use_defaultESO_EENS0_5tupleIJNSA_16discard_iteratorISO_EES6_EEENSQ_IJSG_SG_EEES6_PlJS6_EEE10hipError_tPvRmT3_T4_T5_T6_T7_T9_mT8_P12ihipStream_tbDpT10_ENKUlT_T0_E_clISt17integral_constantIbLb0EES1E_IbLb1EEEEDaS1A_S1B_EUlS1A_E_NS1_11comp_targetILNS1_3genE4ELNS1_11target_archE910ELNS1_3gpuE8ELNS1_3repE0EEENS1_30default_config_static_selectorELNS0_4arch9wavefront6targetE0EEEvT1_
	.globl	_ZN7rocprim17ROCPRIM_400000_NS6detail17trampoline_kernelINS0_14default_configENS1_25partition_config_selectorILNS1_17partition_subalgoE5EtNS0_10empty_typeEbEEZZNS1_14partition_implILS5_5ELb0ES3_mN6thrust23THRUST_200600_302600_NS6detail15normal_iteratorINSA_10device_ptrItEEEEPS6_NSA_18transform_iteratorINSB_9not_fun_tI7is_trueItEEENSC_INSD_IbEEEENSA_11use_defaultESO_EENS0_5tupleIJNSA_16discard_iteratorISO_EES6_EEENSQ_IJSG_SG_EEES6_PlJS6_EEE10hipError_tPvRmT3_T4_T5_T6_T7_T9_mT8_P12ihipStream_tbDpT10_ENKUlT_T0_E_clISt17integral_constantIbLb0EES1E_IbLb1EEEEDaS1A_S1B_EUlS1A_E_NS1_11comp_targetILNS1_3genE4ELNS1_11target_archE910ELNS1_3gpuE8ELNS1_3repE0EEENS1_30default_config_static_selectorELNS0_4arch9wavefront6targetE0EEEvT1_
	.p2align	8
	.type	_ZN7rocprim17ROCPRIM_400000_NS6detail17trampoline_kernelINS0_14default_configENS1_25partition_config_selectorILNS1_17partition_subalgoE5EtNS0_10empty_typeEbEEZZNS1_14partition_implILS5_5ELb0ES3_mN6thrust23THRUST_200600_302600_NS6detail15normal_iteratorINSA_10device_ptrItEEEEPS6_NSA_18transform_iteratorINSB_9not_fun_tI7is_trueItEEENSC_INSD_IbEEEENSA_11use_defaultESO_EENS0_5tupleIJNSA_16discard_iteratorISO_EES6_EEENSQ_IJSG_SG_EEES6_PlJS6_EEE10hipError_tPvRmT3_T4_T5_T6_T7_T9_mT8_P12ihipStream_tbDpT10_ENKUlT_T0_E_clISt17integral_constantIbLb0EES1E_IbLb1EEEEDaS1A_S1B_EUlS1A_E_NS1_11comp_targetILNS1_3genE4ELNS1_11target_archE910ELNS1_3gpuE8ELNS1_3repE0EEENS1_30default_config_static_selectorELNS0_4arch9wavefront6targetE0EEEvT1_,@function
_ZN7rocprim17ROCPRIM_400000_NS6detail17trampoline_kernelINS0_14default_configENS1_25partition_config_selectorILNS1_17partition_subalgoE5EtNS0_10empty_typeEbEEZZNS1_14partition_implILS5_5ELb0ES3_mN6thrust23THRUST_200600_302600_NS6detail15normal_iteratorINSA_10device_ptrItEEEEPS6_NSA_18transform_iteratorINSB_9not_fun_tI7is_trueItEEENSC_INSD_IbEEEENSA_11use_defaultESO_EENS0_5tupleIJNSA_16discard_iteratorISO_EES6_EEENSQ_IJSG_SG_EEES6_PlJS6_EEE10hipError_tPvRmT3_T4_T5_T6_T7_T9_mT8_P12ihipStream_tbDpT10_ENKUlT_T0_E_clISt17integral_constantIbLb0EES1E_IbLb1EEEEDaS1A_S1B_EUlS1A_E_NS1_11comp_targetILNS1_3genE4ELNS1_11target_archE910ELNS1_3gpuE8ELNS1_3repE0EEENS1_30default_config_static_selectorELNS0_4arch9wavefront6targetE0EEEvT1_: ; @_ZN7rocprim17ROCPRIM_400000_NS6detail17trampoline_kernelINS0_14default_configENS1_25partition_config_selectorILNS1_17partition_subalgoE5EtNS0_10empty_typeEbEEZZNS1_14partition_implILS5_5ELb0ES3_mN6thrust23THRUST_200600_302600_NS6detail15normal_iteratorINSA_10device_ptrItEEEEPS6_NSA_18transform_iteratorINSB_9not_fun_tI7is_trueItEEENSC_INSD_IbEEEENSA_11use_defaultESO_EENS0_5tupleIJNSA_16discard_iteratorISO_EES6_EEENSQ_IJSG_SG_EEES6_PlJS6_EEE10hipError_tPvRmT3_T4_T5_T6_T7_T9_mT8_P12ihipStream_tbDpT10_ENKUlT_T0_E_clISt17integral_constantIbLb0EES1E_IbLb1EEEEDaS1A_S1B_EUlS1A_E_NS1_11comp_targetILNS1_3genE4ELNS1_11target_archE910ELNS1_3gpuE8ELNS1_3repE0EEENS1_30default_config_static_selectorELNS0_4arch9wavefront6targetE0EEEvT1_
; %bb.0:
	.section	.rodata,"a",@progbits
	.p2align	6, 0x0
	.amdhsa_kernel _ZN7rocprim17ROCPRIM_400000_NS6detail17trampoline_kernelINS0_14default_configENS1_25partition_config_selectorILNS1_17partition_subalgoE5EtNS0_10empty_typeEbEEZZNS1_14partition_implILS5_5ELb0ES3_mN6thrust23THRUST_200600_302600_NS6detail15normal_iteratorINSA_10device_ptrItEEEEPS6_NSA_18transform_iteratorINSB_9not_fun_tI7is_trueItEEENSC_INSD_IbEEEENSA_11use_defaultESO_EENS0_5tupleIJNSA_16discard_iteratorISO_EES6_EEENSQ_IJSG_SG_EEES6_PlJS6_EEE10hipError_tPvRmT3_T4_T5_T6_T7_T9_mT8_P12ihipStream_tbDpT10_ENKUlT_T0_E_clISt17integral_constantIbLb0EES1E_IbLb1EEEEDaS1A_S1B_EUlS1A_E_NS1_11comp_targetILNS1_3genE4ELNS1_11target_archE910ELNS1_3gpuE8ELNS1_3repE0EEENS1_30default_config_static_selectorELNS0_4arch9wavefront6targetE0EEEvT1_
		.amdhsa_group_segment_fixed_size 0
		.amdhsa_private_segment_fixed_size 0
		.amdhsa_kernarg_size 144
		.amdhsa_user_sgpr_count 2
		.amdhsa_user_sgpr_dispatch_ptr 0
		.amdhsa_user_sgpr_queue_ptr 0
		.amdhsa_user_sgpr_kernarg_segment_ptr 1
		.amdhsa_user_sgpr_dispatch_id 0
		.amdhsa_user_sgpr_private_segment_size 0
		.amdhsa_wavefront_size32 1
		.amdhsa_uses_dynamic_stack 0
		.amdhsa_enable_private_segment 0
		.amdhsa_system_sgpr_workgroup_id_x 1
		.amdhsa_system_sgpr_workgroup_id_y 0
		.amdhsa_system_sgpr_workgroup_id_z 0
		.amdhsa_system_sgpr_workgroup_info 0
		.amdhsa_system_vgpr_workitem_id 0
		.amdhsa_next_free_vgpr 1
		.amdhsa_next_free_sgpr 1
		.amdhsa_reserve_vcc 0
		.amdhsa_float_round_mode_32 0
		.amdhsa_float_round_mode_16_64 0
		.amdhsa_float_denorm_mode_32 3
		.amdhsa_float_denorm_mode_16_64 3
		.amdhsa_fp16_overflow 0
		.amdhsa_workgroup_processor_mode 1
		.amdhsa_memory_ordered 1
		.amdhsa_forward_progress 1
		.amdhsa_inst_pref_size 0
		.amdhsa_round_robin_scheduling 0
		.amdhsa_exception_fp_ieee_invalid_op 0
		.amdhsa_exception_fp_denorm_src 0
		.amdhsa_exception_fp_ieee_div_zero 0
		.amdhsa_exception_fp_ieee_overflow 0
		.amdhsa_exception_fp_ieee_underflow 0
		.amdhsa_exception_fp_ieee_inexact 0
		.amdhsa_exception_int_div_zero 0
	.end_amdhsa_kernel
	.section	.text._ZN7rocprim17ROCPRIM_400000_NS6detail17trampoline_kernelINS0_14default_configENS1_25partition_config_selectorILNS1_17partition_subalgoE5EtNS0_10empty_typeEbEEZZNS1_14partition_implILS5_5ELb0ES3_mN6thrust23THRUST_200600_302600_NS6detail15normal_iteratorINSA_10device_ptrItEEEEPS6_NSA_18transform_iteratorINSB_9not_fun_tI7is_trueItEEENSC_INSD_IbEEEENSA_11use_defaultESO_EENS0_5tupleIJNSA_16discard_iteratorISO_EES6_EEENSQ_IJSG_SG_EEES6_PlJS6_EEE10hipError_tPvRmT3_T4_T5_T6_T7_T9_mT8_P12ihipStream_tbDpT10_ENKUlT_T0_E_clISt17integral_constantIbLb0EES1E_IbLb1EEEEDaS1A_S1B_EUlS1A_E_NS1_11comp_targetILNS1_3genE4ELNS1_11target_archE910ELNS1_3gpuE8ELNS1_3repE0EEENS1_30default_config_static_selectorELNS0_4arch9wavefront6targetE0EEEvT1_,"axG",@progbits,_ZN7rocprim17ROCPRIM_400000_NS6detail17trampoline_kernelINS0_14default_configENS1_25partition_config_selectorILNS1_17partition_subalgoE5EtNS0_10empty_typeEbEEZZNS1_14partition_implILS5_5ELb0ES3_mN6thrust23THRUST_200600_302600_NS6detail15normal_iteratorINSA_10device_ptrItEEEEPS6_NSA_18transform_iteratorINSB_9not_fun_tI7is_trueItEEENSC_INSD_IbEEEENSA_11use_defaultESO_EENS0_5tupleIJNSA_16discard_iteratorISO_EES6_EEENSQ_IJSG_SG_EEES6_PlJS6_EEE10hipError_tPvRmT3_T4_T5_T6_T7_T9_mT8_P12ihipStream_tbDpT10_ENKUlT_T0_E_clISt17integral_constantIbLb0EES1E_IbLb1EEEEDaS1A_S1B_EUlS1A_E_NS1_11comp_targetILNS1_3genE4ELNS1_11target_archE910ELNS1_3gpuE8ELNS1_3repE0EEENS1_30default_config_static_selectorELNS0_4arch9wavefront6targetE0EEEvT1_,comdat
.Lfunc_end2743:
	.size	_ZN7rocprim17ROCPRIM_400000_NS6detail17trampoline_kernelINS0_14default_configENS1_25partition_config_selectorILNS1_17partition_subalgoE5EtNS0_10empty_typeEbEEZZNS1_14partition_implILS5_5ELb0ES3_mN6thrust23THRUST_200600_302600_NS6detail15normal_iteratorINSA_10device_ptrItEEEEPS6_NSA_18transform_iteratorINSB_9not_fun_tI7is_trueItEEENSC_INSD_IbEEEENSA_11use_defaultESO_EENS0_5tupleIJNSA_16discard_iteratorISO_EES6_EEENSQ_IJSG_SG_EEES6_PlJS6_EEE10hipError_tPvRmT3_T4_T5_T6_T7_T9_mT8_P12ihipStream_tbDpT10_ENKUlT_T0_E_clISt17integral_constantIbLb0EES1E_IbLb1EEEEDaS1A_S1B_EUlS1A_E_NS1_11comp_targetILNS1_3genE4ELNS1_11target_archE910ELNS1_3gpuE8ELNS1_3repE0EEENS1_30default_config_static_selectorELNS0_4arch9wavefront6targetE0EEEvT1_, .Lfunc_end2743-_ZN7rocprim17ROCPRIM_400000_NS6detail17trampoline_kernelINS0_14default_configENS1_25partition_config_selectorILNS1_17partition_subalgoE5EtNS0_10empty_typeEbEEZZNS1_14partition_implILS5_5ELb0ES3_mN6thrust23THRUST_200600_302600_NS6detail15normal_iteratorINSA_10device_ptrItEEEEPS6_NSA_18transform_iteratorINSB_9not_fun_tI7is_trueItEEENSC_INSD_IbEEEENSA_11use_defaultESO_EENS0_5tupleIJNSA_16discard_iteratorISO_EES6_EEENSQ_IJSG_SG_EEES6_PlJS6_EEE10hipError_tPvRmT3_T4_T5_T6_T7_T9_mT8_P12ihipStream_tbDpT10_ENKUlT_T0_E_clISt17integral_constantIbLb0EES1E_IbLb1EEEEDaS1A_S1B_EUlS1A_E_NS1_11comp_targetILNS1_3genE4ELNS1_11target_archE910ELNS1_3gpuE8ELNS1_3repE0EEENS1_30default_config_static_selectorELNS0_4arch9wavefront6targetE0EEEvT1_
                                        ; -- End function
	.set _ZN7rocprim17ROCPRIM_400000_NS6detail17trampoline_kernelINS0_14default_configENS1_25partition_config_selectorILNS1_17partition_subalgoE5EtNS0_10empty_typeEbEEZZNS1_14partition_implILS5_5ELb0ES3_mN6thrust23THRUST_200600_302600_NS6detail15normal_iteratorINSA_10device_ptrItEEEEPS6_NSA_18transform_iteratorINSB_9not_fun_tI7is_trueItEEENSC_INSD_IbEEEENSA_11use_defaultESO_EENS0_5tupleIJNSA_16discard_iteratorISO_EES6_EEENSQ_IJSG_SG_EEES6_PlJS6_EEE10hipError_tPvRmT3_T4_T5_T6_T7_T9_mT8_P12ihipStream_tbDpT10_ENKUlT_T0_E_clISt17integral_constantIbLb0EES1E_IbLb1EEEEDaS1A_S1B_EUlS1A_E_NS1_11comp_targetILNS1_3genE4ELNS1_11target_archE910ELNS1_3gpuE8ELNS1_3repE0EEENS1_30default_config_static_selectorELNS0_4arch9wavefront6targetE0EEEvT1_.num_vgpr, 0
	.set _ZN7rocprim17ROCPRIM_400000_NS6detail17trampoline_kernelINS0_14default_configENS1_25partition_config_selectorILNS1_17partition_subalgoE5EtNS0_10empty_typeEbEEZZNS1_14partition_implILS5_5ELb0ES3_mN6thrust23THRUST_200600_302600_NS6detail15normal_iteratorINSA_10device_ptrItEEEEPS6_NSA_18transform_iteratorINSB_9not_fun_tI7is_trueItEEENSC_INSD_IbEEEENSA_11use_defaultESO_EENS0_5tupleIJNSA_16discard_iteratorISO_EES6_EEENSQ_IJSG_SG_EEES6_PlJS6_EEE10hipError_tPvRmT3_T4_T5_T6_T7_T9_mT8_P12ihipStream_tbDpT10_ENKUlT_T0_E_clISt17integral_constantIbLb0EES1E_IbLb1EEEEDaS1A_S1B_EUlS1A_E_NS1_11comp_targetILNS1_3genE4ELNS1_11target_archE910ELNS1_3gpuE8ELNS1_3repE0EEENS1_30default_config_static_selectorELNS0_4arch9wavefront6targetE0EEEvT1_.num_agpr, 0
	.set _ZN7rocprim17ROCPRIM_400000_NS6detail17trampoline_kernelINS0_14default_configENS1_25partition_config_selectorILNS1_17partition_subalgoE5EtNS0_10empty_typeEbEEZZNS1_14partition_implILS5_5ELb0ES3_mN6thrust23THRUST_200600_302600_NS6detail15normal_iteratorINSA_10device_ptrItEEEEPS6_NSA_18transform_iteratorINSB_9not_fun_tI7is_trueItEEENSC_INSD_IbEEEENSA_11use_defaultESO_EENS0_5tupleIJNSA_16discard_iteratorISO_EES6_EEENSQ_IJSG_SG_EEES6_PlJS6_EEE10hipError_tPvRmT3_T4_T5_T6_T7_T9_mT8_P12ihipStream_tbDpT10_ENKUlT_T0_E_clISt17integral_constantIbLb0EES1E_IbLb1EEEEDaS1A_S1B_EUlS1A_E_NS1_11comp_targetILNS1_3genE4ELNS1_11target_archE910ELNS1_3gpuE8ELNS1_3repE0EEENS1_30default_config_static_selectorELNS0_4arch9wavefront6targetE0EEEvT1_.numbered_sgpr, 0
	.set _ZN7rocprim17ROCPRIM_400000_NS6detail17trampoline_kernelINS0_14default_configENS1_25partition_config_selectorILNS1_17partition_subalgoE5EtNS0_10empty_typeEbEEZZNS1_14partition_implILS5_5ELb0ES3_mN6thrust23THRUST_200600_302600_NS6detail15normal_iteratorINSA_10device_ptrItEEEEPS6_NSA_18transform_iteratorINSB_9not_fun_tI7is_trueItEEENSC_INSD_IbEEEENSA_11use_defaultESO_EENS0_5tupleIJNSA_16discard_iteratorISO_EES6_EEENSQ_IJSG_SG_EEES6_PlJS6_EEE10hipError_tPvRmT3_T4_T5_T6_T7_T9_mT8_P12ihipStream_tbDpT10_ENKUlT_T0_E_clISt17integral_constantIbLb0EES1E_IbLb1EEEEDaS1A_S1B_EUlS1A_E_NS1_11comp_targetILNS1_3genE4ELNS1_11target_archE910ELNS1_3gpuE8ELNS1_3repE0EEENS1_30default_config_static_selectorELNS0_4arch9wavefront6targetE0EEEvT1_.num_named_barrier, 0
	.set _ZN7rocprim17ROCPRIM_400000_NS6detail17trampoline_kernelINS0_14default_configENS1_25partition_config_selectorILNS1_17partition_subalgoE5EtNS0_10empty_typeEbEEZZNS1_14partition_implILS5_5ELb0ES3_mN6thrust23THRUST_200600_302600_NS6detail15normal_iteratorINSA_10device_ptrItEEEEPS6_NSA_18transform_iteratorINSB_9not_fun_tI7is_trueItEEENSC_INSD_IbEEEENSA_11use_defaultESO_EENS0_5tupleIJNSA_16discard_iteratorISO_EES6_EEENSQ_IJSG_SG_EEES6_PlJS6_EEE10hipError_tPvRmT3_T4_T5_T6_T7_T9_mT8_P12ihipStream_tbDpT10_ENKUlT_T0_E_clISt17integral_constantIbLb0EES1E_IbLb1EEEEDaS1A_S1B_EUlS1A_E_NS1_11comp_targetILNS1_3genE4ELNS1_11target_archE910ELNS1_3gpuE8ELNS1_3repE0EEENS1_30default_config_static_selectorELNS0_4arch9wavefront6targetE0EEEvT1_.private_seg_size, 0
	.set _ZN7rocprim17ROCPRIM_400000_NS6detail17trampoline_kernelINS0_14default_configENS1_25partition_config_selectorILNS1_17partition_subalgoE5EtNS0_10empty_typeEbEEZZNS1_14partition_implILS5_5ELb0ES3_mN6thrust23THRUST_200600_302600_NS6detail15normal_iteratorINSA_10device_ptrItEEEEPS6_NSA_18transform_iteratorINSB_9not_fun_tI7is_trueItEEENSC_INSD_IbEEEENSA_11use_defaultESO_EENS0_5tupleIJNSA_16discard_iteratorISO_EES6_EEENSQ_IJSG_SG_EEES6_PlJS6_EEE10hipError_tPvRmT3_T4_T5_T6_T7_T9_mT8_P12ihipStream_tbDpT10_ENKUlT_T0_E_clISt17integral_constantIbLb0EES1E_IbLb1EEEEDaS1A_S1B_EUlS1A_E_NS1_11comp_targetILNS1_3genE4ELNS1_11target_archE910ELNS1_3gpuE8ELNS1_3repE0EEENS1_30default_config_static_selectorELNS0_4arch9wavefront6targetE0EEEvT1_.uses_vcc, 0
	.set _ZN7rocprim17ROCPRIM_400000_NS6detail17trampoline_kernelINS0_14default_configENS1_25partition_config_selectorILNS1_17partition_subalgoE5EtNS0_10empty_typeEbEEZZNS1_14partition_implILS5_5ELb0ES3_mN6thrust23THRUST_200600_302600_NS6detail15normal_iteratorINSA_10device_ptrItEEEEPS6_NSA_18transform_iteratorINSB_9not_fun_tI7is_trueItEEENSC_INSD_IbEEEENSA_11use_defaultESO_EENS0_5tupleIJNSA_16discard_iteratorISO_EES6_EEENSQ_IJSG_SG_EEES6_PlJS6_EEE10hipError_tPvRmT3_T4_T5_T6_T7_T9_mT8_P12ihipStream_tbDpT10_ENKUlT_T0_E_clISt17integral_constantIbLb0EES1E_IbLb1EEEEDaS1A_S1B_EUlS1A_E_NS1_11comp_targetILNS1_3genE4ELNS1_11target_archE910ELNS1_3gpuE8ELNS1_3repE0EEENS1_30default_config_static_selectorELNS0_4arch9wavefront6targetE0EEEvT1_.uses_flat_scratch, 0
	.set _ZN7rocprim17ROCPRIM_400000_NS6detail17trampoline_kernelINS0_14default_configENS1_25partition_config_selectorILNS1_17partition_subalgoE5EtNS0_10empty_typeEbEEZZNS1_14partition_implILS5_5ELb0ES3_mN6thrust23THRUST_200600_302600_NS6detail15normal_iteratorINSA_10device_ptrItEEEEPS6_NSA_18transform_iteratorINSB_9not_fun_tI7is_trueItEEENSC_INSD_IbEEEENSA_11use_defaultESO_EENS0_5tupleIJNSA_16discard_iteratorISO_EES6_EEENSQ_IJSG_SG_EEES6_PlJS6_EEE10hipError_tPvRmT3_T4_T5_T6_T7_T9_mT8_P12ihipStream_tbDpT10_ENKUlT_T0_E_clISt17integral_constantIbLb0EES1E_IbLb1EEEEDaS1A_S1B_EUlS1A_E_NS1_11comp_targetILNS1_3genE4ELNS1_11target_archE910ELNS1_3gpuE8ELNS1_3repE0EEENS1_30default_config_static_selectorELNS0_4arch9wavefront6targetE0EEEvT1_.has_dyn_sized_stack, 0
	.set _ZN7rocprim17ROCPRIM_400000_NS6detail17trampoline_kernelINS0_14default_configENS1_25partition_config_selectorILNS1_17partition_subalgoE5EtNS0_10empty_typeEbEEZZNS1_14partition_implILS5_5ELb0ES3_mN6thrust23THRUST_200600_302600_NS6detail15normal_iteratorINSA_10device_ptrItEEEEPS6_NSA_18transform_iteratorINSB_9not_fun_tI7is_trueItEEENSC_INSD_IbEEEENSA_11use_defaultESO_EENS0_5tupleIJNSA_16discard_iteratorISO_EES6_EEENSQ_IJSG_SG_EEES6_PlJS6_EEE10hipError_tPvRmT3_T4_T5_T6_T7_T9_mT8_P12ihipStream_tbDpT10_ENKUlT_T0_E_clISt17integral_constantIbLb0EES1E_IbLb1EEEEDaS1A_S1B_EUlS1A_E_NS1_11comp_targetILNS1_3genE4ELNS1_11target_archE910ELNS1_3gpuE8ELNS1_3repE0EEENS1_30default_config_static_selectorELNS0_4arch9wavefront6targetE0EEEvT1_.has_recursion, 0
	.set _ZN7rocprim17ROCPRIM_400000_NS6detail17trampoline_kernelINS0_14default_configENS1_25partition_config_selectorILNS1_17partition_subalgoE5EtNS0_10empty_typeEbEEZZNS1_14partition_implILS5_5ELb0ES3_mN6thrust23THRUST_200600_302600_NS6detail15normal_iteratorINSA_10device_ptrItEEEEPS6_NSA_18transform_iteratorINSB_9not_fun_tI7is_trueItEEENSC_INSD_IbEEEENSA_11use_defaultESO_EENS0_5tupleIJNSA_16discard_iteratorISO_EES6_EEENSQ_IJSG_SG_EEES6_PlJS6_EEE10hipError_tPvRmT3_T4_T5_T6_T7_T9_mT8_P12ihipStream_tbDpT10_ENKUlT_T0_E_clISt17integral_constantIbLb0EES1E_IbLb1EEEEDaS1A_S1B_EUlS1A_E_NS1_11comp_targetILNS1_3genE4ELNS1_11target_archE910ELNS1_3gpuE8ELNS1_3repE0EEENS1_30default_config_static_selectorELNS0_4arch9wavefront6targetE0EEEvT1_.has_indirect_call, 0
	.section	.AMDGPU.csdata,"",@progbits
; Kernel info:
; codeLenInByte = 0
; TotalNumSgprs: 0
; NumVgprs: 0
; ScratchSize: 0
; MemoryBound: 0
; FloatMode: 240
; IeeeMode: 1
; LDSByteSize: 0 bytes/workgroup (compile time only)
; SGPRBlocks: 0
; VGPRBlocks: 0
; NumSGPRsForWavesPerEU: 1
; NumVGPRsForWavesPerEU: 1
; Occupancy: 16
; WaveLimiterHint : 0
; COMPUTE_PGM_RSRC2:SCRATCH_EN: 0
; COMPUTE_PGM_RSRC2:USER_SGPR: 2
; COMPUTE_PGM_RSRC2:TRAP_HANDLER: 0
; COMPUTE_PGM_RSRC2:TGID_X_EN: 1
; COMPUTE_PGM_RSRC2:TGID_Y_EN: 0
; COMPUTE_PGM_RSRC2:TGID_Z_EN: 0
; COMPUTE_PGM_RSRC2:TIDIG_COMP_CNT: 0
	.section	.text._ZN7rocprim17ROCPRIM_400000_NS6detail17trampoline_kernelINS0_14default_configENS1_25partition_config_selectorILNS1_17partition_subalgoE5EtNS0_10empty_typeEbEEZZNS1_14partition_implILS5_5ELb0ES3_mN6thrust23THRUST_200600_302600_NS6detail15normal_iteratorINSA_10device_ptrItEEEEPS6_NSA_18transform_iteratorINSB_9not_fun_tI7is_trueItEEENSC_INSD_IbEEEENSA_11use_defaultESO_EENS0_5tupleIJNSA_16discard_iteratorISO_EES6_EEENSQ_IJSG_SG_EEES6_PlJS6_EEE10hipError_tPvRmT3_T4_T5_T6_T7_T9_mT8_P12ihipStream_tbDpT10_ENKUlT_T0_E_clISt17integral_constantIbLb0EES1E_IbLb1EEEEDaS1A_S1B_EUlS1A_E_NS1_11comp_targetILNS1_3genE3ELNS1_11target_archE908ELNS1_3gpuE7ELNS1_3repE0EEENS1_30default_config_static_selectorELNS0_4arch9wavefront6targetE0EEEvT1_,"axG",@progbits,_ZN7rocprim17ROCPRIM_400000_NS6detail17trampoline_kernelINS0_14default_configENS1_25partition_config_selectorILNS1_17partition_subalgoE5EtNS0_10empty_typeEbEEZZNS1_14partition_implILS5_5ELb0ES3_mN6thrust23THRUST_200600_302600_NS6detail15normal_iteratorINSA_10device_ptrItEEEEPS6_NSA_18transform_iteratorINSB_9not_fun_tI7is_trueItEEENSC_INSD_IbEEEENSA_11use_defaultESO_EENS0_5tupleIJNSA_16discard_iteratorISO_EES6_EEENSQ_IJSG_SG_EEES6_PlJS6_EEE10hipError_tPvRmT3_T4_T5_T6_T7_T9_mT8_P12ihipStream_tbDpT10_ENKUlT_T0_E_clISt17integral_constantIbLb0EES1E_IbLb1EEEEDaS1A_S1B_EUlS1A_E_NS1_11comp_targetILNS1_3genE3ELNS1_11target_archE908ELNS1_3gpuE7ELNS1_3repE0EEENS1_30default_config_static_selectorELNS0_4arch9wavefront6targetE0EEEvT1_,comdat
	.protected	_ZN7rocprim17ROCPRIM_400000_NS6detail17trampoline_kernelINS0_14default_configENS1_25partition_config_selectorILNS1_17partition_subalgoE5EtNS0_10empty_typeEbEEZZNS1_14partition_implILS5_5ELb0ES3_mN6thrust23THRUST_200600_302600_NS6detail15normal_iteratorINSA_10device_ptrItEEEEPS6_NSA_18transform_iteratorINSB_9not_fun_tI7is_trueItEEENSC_INSD_IbEEEENSA_11use_defaultESO_EENS0_5tupleIJNSA_16discard_iteratorISO_EES6_EEENSQ_IJSG_SG_EEES6_PlJS6_EEE10hipError_tPvRmT3_T4_T5_T6_T7_T9_mT8_P12ihipStream_tbDpT10_ENKUlT_T0_E_clISt17integral_constantIbLb0EES1E_IbLb1EEEEDaS1A_S1B_EUlS1A_E_NS1_11comp_targetILNS1_3genE3ELNS1_11target_archE908ELNS1_3gpuE7ELNS1_3repE0EEENS1_30default_config_static_selectorELNS0_4arch9wavefront6targetE0EEEvT1_ ; -- Begin function _ZN7rocprim17ROCPRIM_400000_NS6detail17trampoline_kernelINS0_14default_configENS1_25partition_config_selectorILNS1_17partition_subalgoE5EtNS0_10empty_typeEbEEZZNS1_14partition_implILS5_5ELb0ES3_mN6thrust23THRUST_200600_302600_NS6detail15normal_iteratorINSA_10device_ptrItEEEEPS6_NSA_18transform_iteratorINSB_9not_fun_tI7is_trueItEEENSC_INSD_IbEEEENSA_11use_defaultESO_EENS0_5tupleIJNSA_16discard_iteratorISO_EES6_EEENSQ_IJSG_SG_EEES6_PlJS6_EEE10hipError_tPvRmT3_T4_T5_T6_T7_T9_mT8_P12ihipStream_tbDpT10_ENKUlT_T0_E_clISt17integral_constantIbLb0EES1E_IbLb1EEEEDaS1A_S1B_EUlS1A_E_NS1_11comp_targetILNS1_3genE3ELNS1_11target_archE908ELNS1_3gpuE7ELNS1_3repE0EEENS1_30default_config_static_selectorELNS0_4arch9wavefront6targetE0EEEvT1_
	.globl	_ZN7rocprim17ROCPRIM_400000_NS6detail17trampoline_kernelINS0_14default_configENS1_25partition_config_selectorILNS1_17partition_subalgoE5EtNS0_10empty_typeEbEEZZNS1_14partition_implILS5_5ELb0ES3_mN6thrust23THRUST_200600_302600_NS6detail15normal_iteratorINSA_10device_ptrItEEEEPS6_NSA_18transform_iteratorINSB_9not_fun_tI7is_trueItEEENSC_INSD_IbEEEENSA_11use_defaultESO_EENS0_5tupleIJNSA_16discard_iteratorISO_EES6_EEENSQ_IJSG_SG_EEES6_PlJS6_EEE10hipError_tPvRmT3_T4_T5_T6_T7_T9_mT8_P12ihipStream_tbDpT10_ENKUlT_T0_E_clISt17integral_constantIbLb0EES1E_IbLb1EEEEDaS1A_S1B_EUlS1A_E_NS1_11comp_targetILNS1_3genE3ELNS1_11target_archE908ELNS1_3gpuE7ELNS1_3repE0EEENS1_30default_config_static_selectorELNS0_4arch9wavefront6targetE0EEEvT1_
	.p2align	8
	.type	_ZN7rocprim17ROCPRIM_400000_NS6detail17trampoline_kernelINS0_14default_configENS1_25partition_config_selectorILNS1_17partition_subalgoE5EtNS0_10empty_typeEbEEZZNS1_14partition_implILS5_5ELb0ES3_mN6thrust23THRUST_200600_302600_NS6detail15normal_iteratorINSA_10device_ptrItEEEEPS6_NSA_18transform_iteratorINSB_9not_fun_tI7is_trueItEEENSC_INSD_IbEEEENSA_11use_defaultESO_EENS0_5tupleIJNSA_16discard_iteratorISO_EES6_EEENSQ_IJSG_SG_EEES6_PlJS6_EEE10hipError_tPvRmT3_T4_T5_T6_T7_T9_mT8_P12ihipStream_tbDpT10_ENKUlT_T0_E_clISt17integral_constantIbLb0EES1E_IbLb1EEEEDaS1A_S1B_EUlS1A_E_NS1_11comp_targetILNS1_3genE3ELNS1_11target_archE908ELNS1_3gpuE7ELNS1_3repE0EEENS1_30default_config_static_selectorELNS0_4arch9wavefront6targetE0EEEvT1_,@function
_ZN7rocprim17ROCPRIM_400000_NS6detail17trampoline_kernelINS0_14default_configENS1_25partition_config_selectorILNS1_17partition_subalgoE5EtNS0_10empty_typeEbEEZZNS1_14partition_implILS5_5ELb0ES3_mN6thrust23THRUST_200600_302600_NS6detail15normal_iteratorINSA_10device_ptrItEEEEPS6_NSA_18transform_iteratorINSB_9not_fun_tI7is_trueItEEENSC_INSD_IbEEEENSA_11use_defaultESO_EENS0_5tupleIJNSA_16discard_iteratorISO_EES6_EEENSQ_IJSG_SG_EEES6_PlJS6_EEE10hipError_tPvRmT3_T4_T5_T6_T7_T9_mT8_P12ihipStream_tbDpT10_ENKUlT_T0_E_clISt17integral_constantIbLb0EES1E_IbLb1EEEEDaS1A_S1B_EUlS1A_E_NS1_11comp_targetILNS1_3genE3ELNS1_11target_archE908ELNS1_3gpuE7ELNS1_3repE0EEENS1_30default_config_static_selectorELNS0_4arch9wavefront6targetE0EEEvT1_: ; @_ZN7rocprim17ROCPRIM_400000_NS6detail17trampoline_kernelINS0_14default_configENS1_25partition_config_selectorILNS1_17partition_subalgoE5EtNS0_10empty_typeEbEEZZNS1_14partition_implILS5_5ELb0ES3_mN6thrust23THRUST_200600_302600_NS6detail15normal_iteratorINSA_10device_ptrItEEEEPS6_NSA_18transform_iteratorINSB_9not_fun_tI7is_trueItEEENSC_INSD_IbEEEENSA_11use_defaultESO_EENS0_5tupleIJNSA_16discard_iteratorISO_EES6_EEENSQ_IJSG_SG_EEES6_PlJS6_EEE10hipError_tPvRmT3_T4_T5_T6_T7_T9_mT8_P12ihipStream_tbDpT10_ENKUlT_T0_E_clISt17integral_constantIbLb0EES1E_IbLb1EEEEDaS1A_S1B_EUlS1A_E_NS1_11comp_targetILNS1_3genE3ELNS1_11target_archE908ELNS1_3gpuE7ELNS1_3repE0EEENS1_30default_config_static_selectorELNS0_4arch9wavefront6targetE0EEEvT1_
; %bb.0:
	.section	.rodata,"a",@progbits
	.p2align	6, 0x0
	.amdhsa_kernel _ZN7rocprim17ROCPRIM_400000_NS6detail17trampoline_kernelINS0_14default_configENS1_25partition_config_selectorILNS1_17partition_subalgoE5EtNS0_10empty_typeEbEEZZNS1_14partition_implILS5_5ELb0ES3_mN6thrust23THRUST_200600_302600_NS6detail15normal_iteratorINSA_10device_ptrItEEEEPS6_NSA_18transform_iteratorINSB_9not_fun_tI7is_trueItEEENSC_INSD_IbEEEENSA_11use_defaultESO_EENS0_5tupleIJNSA_16discard_iteratorISO_EES6_EEENSQ_IJSG_SG_EEES6_PlJS6_EEE10hipError_tPvRmT3_T4_T5_T6_T7_T9_mT8_P12ihipStream_tbDpT10_ENKUlT_T0_E_clISt17integral_constantIbLb0EES1E_IbLb1EEEEDaS1A_S1B_EUlS1A_E_NS1_11comp_targetILNS1_3genE3ELNS1_11target_archE908ELNS1_3gpuE7ELNS1_3repE0EEENS1_30default_config_static_selectorELNS0_4arch9wavefront6targetE0EEEvT1_
		.amdhsa_group_segment_fixed_size 0
		.amdhsa_private_segment_fixed_size 0
		.amdhsa_kernarg_size 144
		.amdhsa_user_sgpr_count 2
		.amdhsa_user_sgpr_dispatch_ptr 0
		.amdhsa_user_sgpr_queue_ptr 0
		.amdhsa_user_sgpr_kernarg_segment_ptr 1
		.amdhsa_user_sgpr_dispatch_id 0
		.amdhsa_user_sgpr_private_segment_size 0
		.amdhsa_wavefront_size32 1
		.amdhsa_uses_dynamic_stack 0
		.amdhsa_enable_private_segment 0
		.amdhsa_system_sgpr_workgroup_id_x 1
		.amdhsa_system_sgpr_workgroup_id_y 0
		.amdhsa_system_sgpr_workgroup_id_z 0
		.amdhsa_system_sgpr_workgroup_info 0
		.amdhsa_system_vgpr_workitem_id 0
		.amdhsa_next_free_vgpr 1
		.amdhsa_next_free_sgpr 1
		.amdhsa_reserve_vcc 0
		.amdhsa_float_round_mode_32 0
		.amdhsa_float_round_mode_16_64 0
		.amdhsa_float_denorm_mode_32 3
		.amdhsa_float_denorm_mode_16_64 3
		.amdhsa_fp16_overflow 0
		.amdhsa_workgroup_processor_mode 1
		.amdhsa_memory_ordered 1
		.amdhsa_forward_progress 1
		.amdhsa_inst_pref_size 0
		.amdhsa_round_robin_scheduling 0
		.amdhsa_exception_fp_ieee_invalid_op 0
		.amdhsa_exception_fp_denorm_src 0
		.amdhsa_exception_fp_ieee_div_zero 0
		.amdhsa_exception_fp_ieee_overflow 0
		.amdhsa_exception_fp_ieee_underflow 0
		.amdhsa_exception_fp_ieee_inexact 0
		.amdhsa_exception_int_div_zero 0
	.end_amdhsa_kernel
	.section	.text._ZN7rocprim17ROCPRIM_400000_NS6detail17trampoline_kernelINS0_14default_configENS1_25partition_config_selectorILNS1_17partition_subalgoE5EtNS0_10empty_typeEbEEZZNS1_14partition_implILS5_5ELb0ES3_mN6thrust23THRUST_200600_302600_NS6detail15normal_iteratorINSA_10device_ptrItEEEEPS6_NSA_18transform_iteratorINSB_9not_fun_tI7is_trueItEEENSC_INSD_IbEEEENSA_11use_defaultESO_EENS0_5tupleIJNSA_16discard_iteratorISO_EES6_EEENSQ_IJSG_SG_EEES6_PlJS6_EEE10hipError_tPvRmT3_T4_T5_T6_T7_T9_mT8_P12ihipStream_tbDpT10_ENKUlT_T0_E_clISt17integral_constantIbLb0EES1E_IbLb1EEEEDaS1A_S1B_EUlS1A_E_NS1_11comp_targetILNS1_3genE3ELNS1_11target_archE908ELNS1_3gpuE7ELNS1_3repE0EEENS1_30default_config_static_selectorELNS0_4arch9wavefront6targetE0EEEvT1_,"axG",@progbits,_ZN7rocprim17ROCPRIM_400000_NS6detail17trampoline_kernelINS0_14default_configENS1_25partition_config_selectorILNS1_17partition_subalgoE5EtNS0_10empty_typeEbEEZZNS1_14partition_implILS5_5ELb0ES3_mN6thrust23THRUST_200600_302600_NS6detail15normal_iteratorINSA_10device_ptrItEEEEPS6_NSA_18transform_iteratorINSB_9not_fun_tI7is_trueItEEENSC_INSD_IbEEEENSA_11use_defaultESO_EENS0_5tupleIJNSA_16discard_iteratorISO_EES6_EEENSQ_IJSG_SG_EEES6_PlJS6_EEE10hipError_tPvRmT3_T4_T5_T6_T7_T9_mT8_P12ihipStream_tbDpT10_ENKUlT_T0_E_clISt17integral_constantIbLb0EES1E_IbLb1EEEEDaS1A_S1B_EUlS1A_E_NS1_11comp_targetILNS1_3genE3ELNS1_11target_archE908ELNS1_3gpuE7ELNS1_3repE0EEENS1_30default_config_static_selectorELNS0_4arch9wavefront6targetE0EEEvT1_,comdat
.Lfunc_end2744:
	.size	_ZN7rocprim17ROCPRIM_400000_NS6detail17trampoline_kernelINS0_14default_configENS1_25partition_config_selectorILNS1_17partition_subalgoE5EtNS0_10empty_typeEbEEZZNS1_14partition_implILS5_5ELb0ES3_mN6thrust23THRUST_200600_302600_NS6detail15normal_iteratorINSA_10device_ptrItEEEEPS6_NSA_18transform_iteratorINSB_9not_fun_tI7is_trueItEEENSC_INSD_IbEEEENSA_11use_defaultESO_EENS0_5tupleIJNSA_16discard_iteratorISO_EES6_EEENSQ_IJSG_SG_EEES6_PlJS6_EEE10hipError_tPvRmT3_T4_T5_T6_T7_T9_mT8_P12ihipStream_tbDpT10_ENKUlT_T0_E_clISt17integral_constantIbLb0EES1E_IbLb1EEEEDaS1A_S1B_EUlS1A_E_NS1_11comp_targetILNS1_3genE3ELNS1_11target_archE908ELNS1_3gpuE7ELNS1_3repE0EEENS1_30default_config_static_selectorELNS0_4arch9wavefront6targetE0EEEvT1_, .Lfunc_end2744-_ZN7rocprim17ROCPRIM_400000_NS6detail17trampoline_kernelINS0_14default_configENS1_25partition_config_selectorILNS1_17partition_subalgoE5EtNS0_10empty_typeEbEEZZNS1_14partition_implILS5_5ELb0ES3_mN6thrust23THRUST_200600_302600_NS6detail15normal_iteratorINSA_10device_ptrItEEEEPS6_NSA_18transform_iteratorINSB_9not_fun_tI7is_trueItEEENSC_INSD_IbEEEENSA_11use_defaultESO_EENS0_5tupleIJNSA_16discard_iteratorISO_EES6_EEENSQ_IJSG_SG_EEES6_PlJS6_EEE10hipError_tPvRmT3_T4_T5_T6_T7_T9_mT8_P12ihipStream_tbDpT10_ENKUlT_T0_E_clISt17integral_constantIbLb0EES1E_IbLb1EEEEDaS1A_S1B_EUlS1A_E_NS1_11comp_targetILNS1_3genE3ELNS1_11target_archE908ELNS1_3gpuE7ELNS1_3repE0EEENS1_30default_config_static_selectorELNS0_4arch9wavefront6targetE0EEEvT1_
                                        ; -- End function
	.set _ZN7rocprim17ROCPRIM_400000_NS6detail17trampoline_kernelINS0_14default_configENS1_25partition_config_selectorILNS1_17partition_subalgoE5EtNS0_10empty_typeEbEEZZNS1_14partition_implILS5_5ELb0ES3_mN6thrust23THRUST_200600_302600_NS6detail15normal_iteratorINSA_10device_ptrItEEEEPS6_NSA_18transform_iteratorINSB_9not_fun_tI7is_trueItEEENSC_INSD_IbEEEENSA_11use_defaultESO_EENS0_5tupleIJNSA_16discard_iteratorISO_EES6_EEENSQ_IJSG_SG_EEES6_PlJS6_EEE10hipError_tPvRmT3_T4_T5_T6_T7_T9_mT8_P12ihipStream_tbDpT10_ENKUlT_T0_E_clISt17integral_constantIbLb0EES1E_IbLb1EEEEDaS1A_S1B_EUlS1A_E_NS1_11comp_targetILNS1_3genE3ELNS1_11target_archE908ELNS1_3gpuE7ELNS1_3repE0EEENS1_30default_config_static_selectorELNS0_4arch9wavefront6targetE0EEEvT1_.num_vgpr, 0
	.set _ZN7rocprim17ROCPRIM_400000_NS6detail17trampoline_kernelINS0_14default_configENS1_25partition_config_selectorILNS1_17partition_subalgoE5EtNS0_10empty_typeEbEEZZNS1_14partition_implILS5_5ELb0ES3_mN6thrust23THRUST_200600_302600_NS6detail15normal_iteratorINSA_10device_ptrItEEEEPS6_NSA_18transform_iteratorINSB_9not_fun_tI7is_trueItEEENSC_INSD_IbEEEENSA_11use_defaultESO_EENS0_5tupleIJNSA_16discard_iteratorISO_EES6_EEENSQ_IJSG_SG_EEES6_PlJS6_EEE10hipError_tPvRmT3_T4_T5_T6_T7_T9_mT8_P12ihipStream_tbDpT10_ENKUlT_T0_E_clISt17integral_constantIbLb0EES1E_IbLb1EEEEDaS1A_S1B_EUlS1A_E_NS1_11comp_targetILNS1_3genE3ELNS1_11target_archE908ELNS1_3gpuE7ELNS1_3repE0EEENS1_30default_config_static_selectorELNS0_4arch9wavefront6targetE0EEEvT1_.num_agpr, 0
	.set _ZN7rocprim17ROCPRIM_400000_NS6detail17trampoline_kernelINS0_14default_configENS1_25partition_config_selectorILNS1_17partition_subalgoE5EtNS0_10empty_typeEbEEZZNS1_14partition_implILS5_5ELb0ES3_mN6thrust23THRUST_200600_302600_NS6detail15normal_iteratorINSA_10device_ptrItEEEEPS6_NSA_18transform_iteratorINSB_9not_fun_tI7is_trueItEEENSC_INSD_IbEEEENSA_11use_defaultESO_EENS0_5tupleIJNSA_16discard_iteratorISO_EES6_EEENSQ_IJSG_SG_EEES6_PlJS6_EEE10hipError_tPvRmT3_T4_T5_T6_T7_T9_mT8_P12ihipStream_tbDpT10_ENKUlT_T0_E_clISt17integral_constantIbLb0EES1E_IbLb1EEEEDaS1A_S1B_EUlS1A_E_NS1_11comp_targetILNS1_3genE3ELNS1_11target_archE908ELNS1_3gpuE7ELNS1_3repE0EEENS1_30default_config_static_selectorELNS0_4arch9wavefront6targetE0EEEvT1_.numbered_sgpr, 0
	.set _ZN7rocprim17ROCPRIM_400000_NS6detail17trampoline_kernelINS0_14default_configENS1_25partition_config_selectorILNS1_17partition_subalgoE5EtNS0_10empty_typeEbEEZZNS1_14partition_implILS5_5ELb0ES3_mN6thrust23THRUST_200600_302600_NS6detail15normal_iteratorINSA_10device_ptrItEEEEPS6_NSA_18transform_iteratorINSB_9not_fun_tI7is_trueItEEENSC_INSD_IbEEEENSA_11use_defaultESO_EENS0_5tupleIJNSA_16discard_iteratorISO_EES6_EEENSQ_IJSG_SG_EEES6_PlJS6_EEE10hipError_tPvRmT3_T4_T5_T6_T7_T9_mT8_P12ihipStream_tbDpT10_ENKUlT_T0_E_clISt17integral_constantIbLb0EES1E_IbLb1EEEEDaS1A_S1B_EUlS1A_E_NS1_11comp_targetILNS1_3genE3ELNS1_11target_archE908ELNS1_3gpuE7ELNS1_3repE0EEENS1_30default_config_static_selectorELNS0_4arch9wavefront6targetE0EEEvT1_.num_named_barrier, 0
	.set _ZN7rocprim17ROCPRIM_400000_NS6detail17trampoline_kernelINS0_14default_configENS1_25partition_config_selectorILNS1_17partition_subalgoE5EtNS0_10empty_typeEbEEZZNS1_14partition_implILS5_5ELb0ES3_mN6thrust23THRUST_200600_302600_NS6detail15normal_iteratorINSA_10device_ptrItEEEEPS6_NSA_18transform_iteratorINSB_9not_fun_tI7is_trueItEEENSC_INSD_IbEEEENSA_11use_defaultESO_EENS0_5tupleIJNSA_16discard_iteratorISO_EES6_EEENSQ_IJSG_SG_EEES6_PlJS6_EEE10hipError_tPvRmT3_T4_T5_T6_T7_T9_mT8_P12ihipStream_tbDpT10_ENKUlT_T0_E_clISt17integral_constantIbLb0EES1E_IbLb1EEEEDaS1A_S1B_EUlS1A_E_NS1_11comp_targetILNS1_3genE3ELNS1_11target_archE908ELNS1_3gpuE7ELNS1_3repE0EEENS1_30default_config_static_selectorELNS0_4arch9wavefront6targetE0EEEvT1_.private_seg_size, 0
	.set _ZN7rocprim17ROCPRIM_400000_NS6detail17trampoline_kernelINS0_14default_configENS1_25partition_config_selectorILNS1_17partition_subalgoE5EtNS0_10empty_typeEbEEZZNS1_14partition_implILS5_5ELb0ES3_mN6thrust23THRUST_200600_302600_NS6detail15normal_iteratorINSA_10device_ptrItEEEEPS6_NSA_18transform_iteratorINSB_9not_fun_tI7is_trueItEEENSC_INSD_IbEEEENSA_11use_defaultESO_EENS0_5tupleIJNSA_16discard_iteratorISO_EES6_EEENSQ_IJSG_SG_EEES6_PlJS6_EEE10hipError_tPvRmT3_T4_T5_T6_T7_T9_mT8_P12ihipStream_tbDpT10_ENKUlT_T0_E_clISt17integral_constantIbLb0EES1E_IbLb1EEEEDaS1A_S1B_EUlS1A_E_NS1_11comp_targetILNS1_3genE3ELNS1_11target_archE908ELNS1_3gpuE7ELNS1_3repE0EEENS1_30default_config_static_selectorELNS0_4arch9wavefront6targetE0EEEvT1_.uses_vcc, 0
	.set _ZN7rocprim17ROCPRIM_400000_NS6detail17trampoline_kernelINS0_14default_configENS1_25partition_config_selectorILNS1_17partition_subalgoE5EtNS0_10empty_typeEbEEZZNS1_14partition_implILS5_5ELb0ES3_mN6thrust23THRUST_200600_302600_NS6detail15normal_iteratorINSA_10device_ptrItEEEEPS6_NSA_18transform_iteratorINSB_9not_fun_tI7is_trueItEEENSC_INSD_IbEEEENSA_11use_defaultESO_EENS0_5tupleIJNSA_16discard_iteratorISO_EES6_EEENSQ_IJSG_SG_EEES6_PlJS6_EEE10hipError_tPvRmT3_T4_T5_T6_T7_T9_mT8_P12ihipStream_tbDpT10_ENKUlT_T0_E_clISt17integral_constantIbLb0EES1E_IbLb1EEEEDaS1A_S1B_EUlS1A_E_NS1_11comp_targetILNS1_3genE3ELNS1_11target_archE908ELNS1_3gpuE7ELNS1_3repE0EEENS1_30default_config_static_selectorELNS0_4arch9wavefront6targetE0EEEvT1_.uses_flat_scratch, 0
	.set _ZN7rocprim17ROCPRIM_400000_NS6detail17trampoline_kernelINS0_14default_configENS1_25partition_config_selectorILNS1_17partition_subalgoE5EtNS0_10empty_typeEbEEZZNS1_14partition_implILS5_5ELb0ES3_mN6thrust23THRUST_200600_302600_NS6detail15normal_iteratorINSA_10device_ptrItEEEEPS6_NSA_18transform_iteratorINSB_9not_fun_tI7is_trueItEEENSC_INSD_IbEEEENSA_11use_defaultESO_EENS0_5tupleIJNSA_16discard_iteratorISO_EES6_EEENSQ_IJSG_SG_EEES6_PlJS6_EEE10hipError_tPvRmT3_T4_T5_T6_T7_T9_mT8_P12ihipStream_tbDpT10_ENKUlT_T0_E_clISt17integral_constantIbLb0EES1E_IbLb1EEEEDaS1A_S1B_EUlS1A_E_NS1_11comp_targetILNS1_3genE3ELNS1_11target_archE908ELNS1_3gpuE7ELNS1_3repE0EEENS1_30default_config_static_selectorELNS0_4arch9wavefront6targetE0EEEvT1_.has_dyn_sized_stack, 0
	.set _ZN7rocprim17ROCPRIM_400000_NS6detail17trampoline_kernelINS0_14default_configENS1_25partition_config_selectorILNS1_17partition_subalgoE5EtNS0_10empty_typeEbEEZZNS1_14partition_implILS5_5ELb0ES3_mN6thrust23THRUST_200600_302600_NS6detail15normal_iteratorINSA_10device_ptrItEEEEPS6_NSA_18transform_iteratorINSB_9not_fun_tI7is_trueItEEENSC_INSD_IbEEEENSA_11use_defaultESO_EENS0_5tupleIJNSA_16discard_iteratorISO_EES6_EEENSQ_IJSG_SG_EEES6_PlJS6_EEE10hipError_tPvRmT3_T4_T5_T6_T7_T9_mT8_P12ihipStream_tbDpT10_ENKUlT_T0_E_clISt17integral_constantIbLb0EES1E_IbLb1EEEEDaS1A_S1B_EUlS1A_E_NS1_11comp_targetILNS1_3genE3ELNS1_11target_archE908ELNS1_3gpuE7ELNS1_3repE0EEENS1_30default_config_static_selectorELNS0_4arch9wavefront6targetE0EEEvT1_.has_recursion, 0
	.set _ZN7rocprim17ROCPRIM_400000_NS6detail17trampoline_kernelINS0_14default_configENS1_25partition_config_selectorILNS1_17partition_subalgoE5EtNS0_10empty_typeEbEEZZNS1_14partition_implILS5_5ELb0ES3_mN6thrust23THRUST_200600_302600_NS6detail15normal_iteratorINSA_10device_ptrItEEEEPS6_NSA_18transform_iteratorINSB_9not_fun_tI7is_trueItEEENSC_INSD_IbEEEENSA_11use_defaultESO_EENS0_5tupleIJNSA_16discard_iteratorISO_EES6_EEENSQ_IJSG_SG_EEES6_PlJS6_EEE10hipError_tPvRmT3_T4_T5_T6_T7_T9_mT8_P12ihipStream_tbDpT10_ENKUlT_T0_E_clISt17integral_constantIbLb0EES1E_IbLb1EEEEDaS1A_S1B_EUlS1A_E_NS1_11comp_targetILNS1_3genE3ELNS1_11target_archE908ELNS1_3gpuE7ELNS1_3repE0EEENS1_30default_config_static_selectorELNS0_4arch9wavefront6targetE0EEEvT1_.has_indirect_call, 0
	.section	.AMDGPU.csdata,"",@progbits
; Kernel info:
; codeLenInByte = 0
; TotalNumSgprs: 0
; NumVgprs: 0
; ScratchSize: 0
; MemoryBound: 0
; FloatMode: 240
; IeeeMode: 1
; LDSByteSize: 0 bytes/workgroup (compile time only)
; SGPRBlocks: 0
; VGPRBlocks: 0
; NumSGPRsForWavesPerEU: 1
; NumVGPRsForWavesPerEU: 1
; Occupancy: 16
; WaveLimiterHint : 0
; COMPUTE_PGM_RSRC2:SCRATCH_EN: 0
; COMPUTE_PGM_RSRC2:USER_SGPR: 2
; COMPUTE_PGM_RSRC2:TRAP_HANDLER: 0
; COMPUTE_PGM_RSRC2:TGID_X_EN: 1
; COMPUTE_PGM_RSRC2:TGID_Y_EN: 0
; COMPUTE_PGM_RSRC2:TGID_Z_EN: 0
; COMPUTE_PGM_RSRC2:TIDIG_COMP_CNT: 0
	.section	.text._ZN7rocprim17ROCPRIM_400000_NS6detail17trampoline_kernelINS0_14default_configENS1_25partition_config_selectorILNS1_17partition_subalgoE5EtNS0_10empty_typeEbEEZZNS1_14partition_implILS5_5ELb0ES3_mN6thrust23THRUST_200600_302600_NS6detail15normal_iteratorINSA_10device_ptrItEEEEPS6_NSA_18transform_iteratorINSB_9not_fun_tI7is_trueItEEENSC_INSD_IbEEEENSA_11use_defaultESO_EENS0_5tupleIJNSA_16discard_iteratorISO_EES6_EEENSQ_IJSG_SG_EEES6_PlJS6_EEE10hipError_tPvRmT3_T4_T5_T6_T7_T9_mT8_P12ihipStream_tbDpT10_ENKUlT_T0_E_clISt17integral_constantIbLb0EES1E_IbLb1EEEEDaS1A_S1B_EUlS1A_E_NS1_11comp_targetILNS1_3genE2ELNS1_11target_archE906ELNS1_3gpuE6ELNS1_3repE0EEENS1_30default_config_static_selectorELNS0_4arch9wavefront6targetE0EEEvT1_,"axG",@progbits,_ZN7rocprim17ROCPRIM_400000_NS6detail17trampoline_kernelINS0_14default_configENS1_25partition_config_selectorILNS1_17partition_subalgoE5EtNS0_10empty_typeEbEEZZNS1_14partition_implILS5_5ELb0ES3_mN6thrust23THRUST_200600_302600_NS6detail15normal_iteratorINSA_10device_ptrItEEEEPS6_NSA_18transform_iteratorINSB_9not_fun_tI7is_trueItEEENSC_INSD_IbEEEENSA_11use_defaultESO_EENS0_5tupleIJNSA_16discard_iteratorISO_EES6_EEENSQ_IJSG_SG_EEES6_PlJS6_EEE10hipError_tPvRmT3_T4_T5_T6_T7_T9_mT8_P12ihipStream_tbDpT10_ENKUlT_T0_E_clISt17integral_constantIbLb0EES1E_IbLb1EEEEDaS1A_S1B_EUlS1A_E_NS1_11comp_targetILNS1_3genE2ELNS1_11target_archE906ELNS1_3gpuE6ELNS1_3repE0EEENS1_30default_config_static_selectorELNS0_4arch9wavefront6targetE0EEEvT1_,comdat
	.protected	_ZN7rocprim17ROCPRIM_400000_NS6detail17trampoline_kernelINS0_14default_configENS1_25partition_config_selectorILNS1_17partition_subalgoE5EtNS0_10empty_typeEbEEZZNS1_14partition_implILS5_5ELb0ES3_mN6thrust23THRUST_200600_302600_NS6detail15normal_iteratorINSA_10device_ptrItEEEEPS6_NSA_18transform_iteratorINSB_9not_fun_tI7is_trueItEEENSC_INSD_IbEEEENSA_11use_defaultESO_EENS0_5tupleIJNSA_16discard_iteratorISO_EES6_EEENSQ_IJSG_SG_EEES6_PlJS6_EEE10hipError_tPvRmT3_T4_T5_T6_T7_T9_mT8_P12ihipStream_tbDpT10_ENKUlT_T0_E_clISt17integral_constantIbLb0EES1E_IbLb1EEEEDaS1A_S1B_EUlS1A_E_NS1_11comp_targetILNS1_3genE2ELNS1_11target_archE906ELNS1_3gpuE6ELNS1_3repE0EEENS1_30default_config_static_selectorELNS0_4arch9wavefront6targetE0EEEvT1_ ; -- Begin function _ZN7rocprim17ROCPRIM_400000_NS6detail17trampoline_kernelINS0_14default_configENS1_25partition_config_selectorILNS1_17partition_subalgoE5EtNS0_10empty_typeEbEEZZNS1_14partition_implILS5_5ELb0ES3_mN6thrust23THRUST_200600_302600_NS6detail15normal_iteratorINSA_10device_ptrItEEEEPS6_NSA_18transform_iteratorINSB_9not_fun_tI7is_trueItEEENSC_INSD_IbEEEENSA_11use_defaultESO_EENS0_5tupleIJNSA_16discard_iteratorISO_EES6_EEENSQ_IJSG_SG_EEES6_PlJS6_EEE10hipError_tPvRmT3_T4_T5_T6_T7_T9_mT8_P12ihipStream_tbDpT10_ENKUlT_T0_E_clISt17integral_constantIbLb0EES1E_IbLb1EEEEDaS1A_S1B_EUlS1A_E_NS1_11comp_targetILNS1_3genE2ELNS1_11target_archE906ELNS1_3gpuE6ELNS1_3repE0EEENS1_30default_config_static_selectorELNS0_4arch9wavefront6targetE0EEEvT1_
	.globl	_ZN7rocprim17ROCPRIM_400000_NS6detail17trampoline_kernelINS0_14default_configENS1_25partition_config_selectorILNS1_17partition_subalgoE5EtNS0_10empty_typeEbEEZZNS1_14partition_implILS5_5ELb0ES3_mN6thrust23THRUST_200600_302600_NS6detail15normal_iteratorINSA_10device_ptrItEEEEPS6_NSA_18transform_iteratorINSB_9not_fun_tI7is_trueItEEENSC_INSD_IbEEEENSA_11use_defaultESO_EENS0_5tupleIJNSA_16discard_iteratorISO_EES6_EEENSQ_IJSG_SG_EEES6_PlJS6_EEE10hipError_tPvRmT3_T4_T5_T6_T7_T9_mT8_P12ihipStream_tbDpT10_ENKUlT_T0_E_clISt17integral_constantIbLb0EES1E_IbLb1EEEEDaS1A_S1B_EUlS1A_E_NS1_11comp_targetILNS1_3genE2ELNS1_11target_archE906ELNS1_3gpuE6ELNS1_3repE0EEENS1_30default_config_static_selectorELNS0_4arch9wavefront6targetE0EEEvT1_
	.p2align	8
	.type	_ZN7rocprim17ROCPRIM_400000_NS6detail17trampoline_kernelINS0_14default_configENS1_25partition_config_selectorILNS1_17partition_subalgoE5EtNS0_10empty_typeEbEEZZNS1_14partition_implILS5_5ELb0ES3_mN6thrust23THRUST_200600_302600_NS6detail15normal_iteratorINSA_10device_ptrItEEEEPS6_NSA_18transform_iteratorINSB_9not_fun_tI7is_trueItEEENSC_INSD_IbEEEENSA_11use_defaultESO_EENS0_5tupleIJNSA_16discard_iteratorISO_EES6_EEENSQ_IJSG_SG_EEES6_PlJS6_EEE10hipError_tPvRmT3_T4_T5_T6_T7_T9_mT8_P12ihipStream_tbDpT10_ENKUlT_T0_E_clISt17integral_constantIbLb0EES1E_IbLb1EEEEDaS1A_S1B_EUlS1A_E_NS1_11comp_targetILNS1_3genE2ELNS1_11target_archE906ELNS1_3gpuE6ELNS1_3repE0EEENS1_30default_config_static_selectorELNS0_4arch9wavefront6targetE0EEEvT1_,@function
_ZN7rocprim17ROCPRIM_400000_NS6detail17trampoline_kernelINS0_14default_configENS1_25partition_config_selectorILNS1_17partition_subalgoE5EtNS0_10empty_typeEbEEZZNS1_14partition_implILS5_5ELb0ES3_mN6thrust23THRUST_200600_302600_NS6detail15normal_iteratorINSA_10device_ptrItEEEEPS6_NSA_18transform_iteratorINSB_9not_fun_tI7is_trueItEEENSC_INSD_IbEEEENSA_11use_defaultESO_EENS0_5tupleIJNSA_16discard_iteratorISO_EES6_EEENSQ_IJSG_SG_EEES6_PlJS6_EEE10hipError_tPvRmT3_T4_T5_T6_T7_T9_mT8_P12ihipStream_tbDpT10_ENKUlT_T0_E_clISt17integral_constantIbLb0EES1E_IbLb1EEEEDaS1A_S1B_EUlS1A_E_NS1_11comp_targetILNS1_3genE2ELNS1_11target_archE906ELNS1_3gpuE6ELNS1_3repE0EEENS1_30default_config_static_selectorELNS0_4arch9wavefront6targetE0EEEvT1_: ; @_ZN7rocprim17ROCPRIM_400000_NS6detail17trampoline_kernelINS0_14default_configENS1_25partition_config_selectorILNS1_17partition_subalgoE5EtNS0_10empty_typeEbEEZZNS1_14partition_implILS5_5ELb0ES3_mN6thrust23THRUST_200600_302600_NS6detail15normal_iteratorINSA_10device_ptrItEEEEPS6_NSA_18transform_iteratorINSB_9not_fun_tI7is_trueItEEENSC_INSD_IbEEEENSA_11use_defaultESO_EENS0_5tupleIJNSA_16discard_iteratorISO_EES6_EEENSQ_IJSG_SG_EEES6_PlJS6_EEE10hipError_tPvRmT3_T4_T5_T6_T7_T9_mT8_P12ihipStream_tbDpT10_ENKUlT_T0_E_clISt17integral_constantIbLb0EES1E_IbLb1EEEEDaS1A_S1B_EUlS1A_E_NS1_11comp_targetILNS1_3genE2ELNS1_11target_archE906ELNS1_3gpuE6ELNS1_3repE0EEENS1_30default_config_static_selectorELNS0_4arch9wavefront6targetE0EEEvT1_
; %bb.0:
	.section	.rodata,"a",@progbits
	.p2align	6, 0x0
	.amdhsa_kernel _ZN7rocprim17ROCPRIM_400000_NS6detail17trampoline_kernelINS0_14default_configENS1_25partition_config_selectorILNS1_17partition_subalgoE5EtNS0_10empty_typeEbEEZZNS1_14partition_implILS5_5ELb0ES3_mN6thrust23THRUST_200600_302600_NS6detail15normal_iteratorINSA_10device_ptrItEEEEPS6_NSA_18transform_iteratorINSB_9not_fun_tI7is_trueItEEENSC_INSD_IbEEEENSA_11use_defaultESO_EENS0_5tupleIJNSA_16discard_iteratorISO_EES6_EEENSQ_IJSG_SG_EEES6_PlJS6_EEE10hipError_tPvRmT3_T4_T5_T6_T7_T9_mT8_P12ihipStream_tbDpT10_ENKUlT_T0_E_clISt17integral_constantIbLb0EES1E_IbLb1EEEEDaS1A_S1B_EUlS1A_E_NS1_11comp_targetILNS1_3genE2ELNS1_11target_archE906ELNS1_3gpuE6ELNS1_3repE0EEENS1_30default_config_static_selectorELNS0_4arch9wavefront6targetE0EEEvT1_
		.amdhsa_group_segment_fixed_size 0
		.amdhsa_private_segment_fixed_size 0
		.amdhsa_kernarg_size 144
		.amdhsa_user_sgpr_count 2
		.amdhsa_user_sgpr_dispatch_ptr 0
		.amdhsa_user_sgpr_queue_ptr 0
		.amdhsa_user_sgpr_kernarg_segment_ptr 1
		.amdhsa_user_sgpr_dispatch_id 0
		.amdhsa_user_sgpr_private_segment_size 0
		.amdhsa_wavefront_size32 1
		.amdhsa_uses_dynamic_stack 0
		.amdhsa_enable_private_segment 0
		.amdhsa_system_sgpr_workgroup_id_x 1
		.amdhsa_system_sgpr_workgroup_id_y 0
		.amdhsa_system_sgpr_workgroup_id_z 0
		.amdhsa_system_sgpr_workgroup_info 0
		.amdhsa_system_vgpr_workitem_id 0
		.amdhsa_next_free_vgpr 1
		.amdhsa_next_free_sgpr 1
		.amdhsa_reserve_vcc 0
		.amdhsa_float_round_mode_32 0
		.amdhsa_float_round_mode_16_64 0
		.amdhsa_float_denorm_mode_32 3
		.amdhsa_float_denorm_mode_16_64 3
		.amdhsa_fp16_overflow 0
		.amdhsa_workgroup_processor_mode 1
		.amdhsa_memory_ordered 1
		.amdhsa_forward_progress 1
		.amdhsa_inst_pref_size 0
		.amdhsa_round_robin_scheduling 0
		.amdhsa_exception_fp_ieee_invalid_op 0
		.amdhsa_exception_fp_denorm_src 0
		.amdhsa_exception_fp_ieee_div_zero 0
		.amdhsa_exception_fp_ieee_overflow 0
		.amdhsa_exception_fp_ieee_underflow 0
		.amdhsa_exception_fp_ieee_inexact 0
		.amdhsa_exception_int_div_zero 0
	.end_amdhsa_kernel
	.section	.text._ZN7rocprim17ROCPRIM_400000_NS6detail17trampoline_kernelINS0_14default_configENS1_25partition_config_selectorILNS1_17partition_subalgoE5EtNS0_10empty_typeEbEEZZNS1_14partition_implILS5_5ELb0ES3_mN6thrust23THRUST_200600_302600_NS6detail15normal_iteratorINSA_10device_ptrItEEEEPS6_NSA_18transform_iteratorINSB_9not_fun_tI7is_trueItEEENSC_INSD_IbEEEENSA_11use_defaultESO_EENS0_5tupleIJNSA_16discard_iteratorISO_EES6_EEENSQ_IJSG_SG_EEES6_PlJS6_EEE10hipError_tPvRmT3_T4_T5_T6_T7_T9_mT8_P12ihipStream_tbDpT10_ENKUlT_T0_E_clISt17integral_constantIbLb0EES1E_IbLb1EEEEDaS1A_S1B_EUlS1A_E_NS1_11comp_targetILNS1_3genE2ELNS1_11target_archE906ELNS1_3gpuE6ELNS1_3repE0EEENS1_30default_config_static_selectorELNS0_4arch9wavefront6targetE0EEEvT1_,"axG",@progbits,_ZN7rocprim17ROCPRIM_400000_NS6detail17trampoline_kernelINS0_14default_configENS1_25partition_config_selectorILNS1_17partition_subalgoE5EtNS0_10empty_typeEbEEZZNS1_14partition_implILS5_5ELb0ES3_mN6thrust23THRUST_200600_302600_NS6detail15normal_iteratorINSA_10device_ptrItEEEEPS6_NSA_18transform_iteratorINSB_9not_fun_tI7is_trueItEEENSC_INSD_IbEEEENSA_11use_defaultESO_EENS0_5tupleIJNSA_16discard_iteratorISO_EES6_EEENSQ_IJSG_SG_EEES6_PlJS6_EEE10hipError_tPvRmT3_T4_T5_T6_T7_T9_mT8_P12ihipStream_tbDpT10_ENKUlT_T0_E_clISt17integral_constantIbLb0EES1E_IbLb1EEEEDaS1A_S1B_EUlS1A_E_NS1_11comp_targetILNS1_3genE2ELNS1_11target_archE906ELNS1_3gpuE6ELNS1_3repE0EEENS1_30default_config_static_selectorELNS0_4arch9wavefront6targetE0EEEvT1_,comdat
.Lfunc_end2745:
	.size	_ZN7rocprim17ROCPRIM_400000_NS6detail17trampoline_kernelINS0_14default_configENS1_25partition_config_selectorILNS1_17partition_subalgoE5EtNS0_10empty_typeEbEEZZNS1_14partition_implILS5_5ELb0ES3_mN6thrust23THRUST_200600_302600_NS6detail15normal_iteratorINSA_10device_ptrItEEEEPS6_NSA_18transform_iteratorINSB_9not_fun_tI7is_trueItEEENSC_INSD_IbEEEENSA_11use_defaultESO_EENS0_5tupleIJNSA_16discard_iteratorISO_EES6_EEENSQ_IJSG_SG_EEES6_PlJS6_EEE10hipError_tPvRmT3_T4_T5_T6_T7_T9_mT8_P12ihipStream_tbDpT10_ENKUlT_T0_E_clISt17integral_constantIbLb0EES1E_IbLb1EEEEDaS1A_S1B_EUlS1A_E_NS1_11comp_targetILNS1_3genE2ELNS1_11target_archE906ELNS1_3gpuE6ELNS1_3repE0EEENS1_30default_config_static_selectorELNS0_4arch9wavefront6targetE0EEEvT1_, .Lfunc_end2745-_ZN7rocprim17ROCPRIM_400000_NS6detail17trampoline_kernelINS0_14default_configENS1_25partition_config_selectorILNS1_17partition_subalgoE5EtNS0_10empty_typeEbEEZZNS1_14partition_implILS5_5ELb0ES3_mN6thrust23THRUST_200600_302600_NS6detail15normal_iteratorINSA_10device_ptrItEEEEPS6_NSA_18transform_iteratorINSB_9not_fun_tI7is_trueItEEENSC_INSD_IbEEEENSA_11use_defaultESO_EENS0_5tupleIJNSA_16discard_iteratorISO_EES6_EEENSQ_IJSG_SG_EEES6_PlJS6_EEE10hipError_tPvRmT3_T4_T5_T6_T7_T9_mT8_P12ihipStream_tbDpT10_ENKUlT_T0_E_clISt17integral_constantIbLb0EES1E_IbLb1EEEEDaS1A_S1B_EUlS1A_E_NS1_11comp_targetILNS1_3genE2ELNS1_11target_archE906ELNS1_3gpuE6ELNS1_3repE0EEENS1_30default_config_static_selectorELNS0_4arch9wavefront6targetE0EEEvT1_
                                        ; -- End function
	.set _ZN7rocprim17ROCPRIM_400000_NS6detail17trampoline_kernelINS0_14default_configENS1_25partition_config_selectorILNS1_17partition_subalgoE5EtNS0_10empty_typeEbEEZZNS1_14partition_implILS5_5ELb0ES3_mN6thrust23THRUST_200600_302600_NS6detail15normal_iteratorINSA_10device_ptrItEEEEPS6_NSA_18transform_iteratorINSB_9not_fun_tI7is_trueItEEENSC_INSD_IbEEEENSA_11use_defaultESO_EENS0_5tupleIJNSA_16discard_iteratorISO_EES6_EEENSQ_IJSG_SG_EEES6_PlJS6_EEE10hipError_tPvRmT3_T4_T5_T6_T7_T9_mT8_P12ihipStream_tbDpT10_ENKUlT_T0_E_clISt17integral_constantIbLb0EES1E_IbLb1EEEEDaS1A_S1B_EUlS1A_E_NS1_11comp_targetILNS1_3genE2ELNS1_11target_archE906ELNS1_3gpuE6ELNS1_3repE0EEENS1_30default_config_static_selectorELNS0_4arch9wavefront6targetE0EEEvT1_.num_vgpr, 0
	.set _ZN7rocprim17ROCPRIM_400000_NS6detail17trampoline_kernelINS0_14default_configENS1_25partition_config_selectorILNS1_17partition_subalgoE5EtNS0_10empty_typeEbEEZZNS1_14partition_implILS5_5ELb0ES3_mN6thrust23THRUST_200600_302600_NS6detail15normal_iteratorINSA_10device_ptrItEEEEPS6_NSA_18transform_iteratorINSB_9not_fun_tI7is_trueItEEENSC_INSD_IbEEEENSA_11use_defaultESO_EENS0_5tupleIJNSA_16discard_iteratorISO_EES6_EEENSQ_IJSG_SG_EEES6_PlJS6_EEE10hipError_tPvRmT3_T4_T5_T6_T7_T9_mT8_P12ihipStream_tbDpT10_ENKUlT_T0_E_clISt17integral_constantIbLb0EES1E_IbLb1EEEEDaS1A_S1B_EUlS1A_E_NS1_11comp_targetILNS1_3genE2ELNS1_11target_archE906ELNS1_3gpuE6ELNS1_3repE0EEENS1_30default_config_static_selectorELNS0_4arch9wavefront6targetE0EEEvT1_.num_agpr, 0
	.set _ZN7rocprim17ROCPRIM_400000_NS6detail17trampoline_kernelINS0_14default_configENS1_25partition_config_selectorILNS1_17partition_subalgoE5EtNS0_10empty_typeEbEEZZNS1_14partition_implILS5_5ELb0ES3_mN6thrust23THRUST_200600_302600_NS6detail15normal_iteratorINSA_10device_ptrItEEEEPS6_NSA_18transform_iteratorINSB_9not_fun_tI7is_trueItEEENSC_INSD_IbEEEENSA_11use_defaultESO_EENS0_5tupleIJNSA_16discard_iteratorISO_EES6_EEENSQ_IJSG_SG_EEES6_PlJS6_EEE10hipError_tPvRmT3_T4_T5_T6_T7_T9_mT8_P12ihipStream_tbDpT10_ENKUlT_T0_E_clISt17integral_constantIbLb0EES1E_IbLb1EEEEDaS1A_S1B_EUlS1A_E_NS1_11comp_targetILNS1_3genE2ELNS1_11target_archE906ELNS1_3gpuE6ELNS1_3repE0EEENS1_30default_config_static_selectorELNS0_4arch9wavefront6targetE0EEEvT1_.numbered_sgpr, 0
	.set _ZN7rocprim17ROCPRIM_400000_NS6detail17trampoline_kernelINS0_14default_configENS1_25partition_config_selectorILNS1_17partition_subalgoE5EtNS0_10empty_typeEbEEZZNS1_14partition_implILS5_5ELb0ES3_mN6thrust23THRUST_200600_302600_NS6detail15normal_iteratorINSA_10device_ptrItEEEEPS6_NSA_18transform_iteratorINSB_9not_fun_tI7is_trueItEEENSC_INSD_IbEEEENSA_11use_defaultESO_EENS0_5tupleIJNSA_16discard_iteratorISO_EES6_EEENSQ_IJSG_SG_EEES6_PlJS6_EEE10hipError_tPvRmT3_T4_T5_T6_T7_T9_mT8_P12ihipStream_tbDpT10_ENKUlT_T0_E_clISt17integral_constantIbLb0EES1E_IbLb1EEEEDaS1A_S1B_EUlS1A_E_NS1_11comp_targetILNS1_3genE2ELNS1_11target_archE906ELNS1_3gpuE6ELNS1_3repE0EEENS1_30default_config_static_selectorELNS0_4arch9wavefront6targetE0EEEvT1_.num_named_barrier, 0
	.set _ZN7rocprim17ROCPRIM_400000_NS6detail17trampoline_kernelINS0_14default_configENS1_25partition_config_selectorILNS1_17partition_subalgoE5EtNS0_10empty_typeEbEEZZNS1_14partition_implILS5_5ELb0ES3_mN6thrust23THRUST_200600_302600_NS6detail15normal_iteratorINSA_10device_ptrItEEEEPS6_NSA_18transform_iteratorINSB_9not_fun_tI7is_trueItEEENSC_INSD_IbEEEENSA_11use_defaultESO_EENS0_5tupleIJNSA_16discard_iteratorISO_EES6_EEENSQ_IJSG_SG_EEES6_PlJS6_EEE10hipError_tPvRmT3_T4_T5_T6_T7_T9_mT8_P12ihipStream_tbDpT10_ENKUlT_T0_E_clISt17integral_constantIbLb0EES1E_IbLb1EEEEDaS1A_S1B_EUlS1A_E_NS1_11comp_targetILNS1_3genE2ELNS1_11target_archE906ELNS1_3gpuE6ELNS1_3repE0EEENS1_30default_config_static_selectorELNS0_4arch9wavefront6targetE0EEEvT1_.private_seg_size, 0
	.set _ZN7rocprim17ROCPRIM_400000_NS6detail17trampoline_kernelINS0_14default_configENS1_25partition_config_selectorILNS1_17partition_subalgoE5EtNS0_10empty_typeEbEEZZNS1_14partition_implILS5_5ELb0ES3_mN6thrust23THRUST_200600_302600_NS6detail15normal_iteratorINSA_10device_ptrItEEEEPS6_NSA_18transform_iteratorINSB_9not_fun_tI7is_trueItEEENSC_INSD_IbEEEENSA_11use_defaultESO_EENS0_5tupleIJNSA_16discard_iteratorISO_EES6_EEENSQ_IJSG_SG_EEES6_PlJS6_EEE10hipError_tPvRmT3_T4_T5_T6_T7_T9_mT8_P12ihipStream_tbDpT10_ENKUlT_T0_E_clISt17integral_constantIbLb0EES1E_IbLb1EEEEDaS1A_S1B_EUlS1A_E_NS1_11comp_targetILNS1_3genE2ELNS1_11target_archE906ELNS1_3gpuE6ELNS1_3repE0EEENS1_30default_config_static_selectorELNS0_4arch9wavefront6targetE0EEEvT1_.uses_vcc, 0
	.set _ZN7rocprim17ROCPRIM_400000_NS6detail17trampoline_kernelINS0_14default_configENS1_25partition_config_selectorILNS1_17partition_subalgoE5EtNS0_10empty_typeEbEEZZNS1_14partition_implILS5_5ELb0ES3_mN6thrust23THRUST_200600_302600_NS6detail15normal_iteratorINSA_10device_ptrItEEEEPS6_NSA_18transform_iteratorINSB_9not_fun_tI7is_trueItEEENSC_INSD_IbEEEENSA_11use_defaultESO_EENS0_5tupleIJNSA_16discard_iteratorISO_EES6_EEENSQ_IJSG_SG_EEES6_PlJS6_EEE10hipError_tPvRmT3_T4_T5_T6_T7_T9_mT8_P12ihipStream_tbDpT10_ENKUlT_T0_E_clISt17integral_constantIbLb0EES1E_IbLb1EEEEDaS1A_S1B_EUlS1A_E_NS1_11comp_targetILNS1_3genE2ELNS1_11target_archE906ELNS1_3gpuE6ELNS1_3repE0EEENS1_30default_config_static_selectorELNS0_4arch9wavefront6targetE0EEEvT1_.uses_flat_scratch, 0
	.set _ZN7rocprim17ROCPRIM_400000_NS6detail17trampoline_kernelINS0_14default_configENS1_25partition_config_selectorILNS1_17partition_subalgoE5EtNS0_10empty_typeEbEEZZNS1_14partition_implILS5_5ELb0ES3_mN6thrust23THRUST_200600_302600_NS6detail15normal_iteratorINSA_10device_ptrItEEEEPS6_NSA_18transform_iteratorINSB_9not_fun_tI7is_trueItEEENSC_INSD_IbEEEENSA_11use_defaultESO_EENS0_5tupleIJNSA_16discard_iteratorISO_EES6_EEENSQ_IJSG_SG_EEES6_PlJS6_EEE10hipError_tPvRmT3_T4_T5_T6_T7_T9_mT8_P12ihipStream_tbDpT10_ENKUlT_T0_E_clISt17integral_constantIbLb0EES1E_IbLb1EEEEDaS1A_S1B_EUlS1A_E_NS1_11comp_targetILNS1_3genE2ELNS1_11target_archE906ELNS1_3gpuE6ELNS1_3repE0EEENS1_30default_config_static_selectorELNS0_4arch9wavefront6targetE0EEEvT1_.has_dyn_sized_stack, 0
	.set _ZN7rocprim17ROCPRIM_400000_NS6detail17trampoline_kernelINS0_14default_configENS1_25partition_config_selectorILNS1_17partition_subalgoE5EtNS0_10empty_typeEbEEZZNS1_14partition_implILS5_5ELb0ES3_mN6thrust23THRUST_200600_302600_NS6detail15normal_iteratorINSA_10device_ptrItEEEEPS6_NSA_18transform_iteratorINSB_9not_fun_tI7is_trueItEEENSC_INSD_IbEEEENSA_11use_defaultESO_EENS0_5tupleIJNSA_16discard_iteratorISO_EES6_EEENSQ_IJSG_SG_EEES6_PlJS6_EEE10hipError_tPvRmT3_T4_T5_T6_T7_T9_mT8_P12ihipStream_tbDpT10_ENKUlT_T0_E_clISt17integral_constantIbLb0EES1E_IbLb1EEEEDaS1A_S1B_EUlS1A_E_NS1_11comp_targetILNS1_3genE2ELNS1_11target_archE906ELNS1_3gpuE6ELNS1_3repE0EEENS1_30default_config_static_selectorELNS0_4arch9wavefront6targetE0EEEvT1_.has_recursion, 0
	.set _ZN7rocprim17ROCPRIM_400000_NS6detail17trampoline_kernelINS0_14default_configENS1_25partition_config_selectorILNS1_17partition_subalgoE5EtNS0_10empty_typeEbEEZZNS1_14partition_implILS5_5ELb0ES3_mN6thrust23THRUST_200600_302600_NS6detail15normal_iteratorINSA_10device_ptrItEEEEPS6_NSA_18transform_iteratorINSB_9not_fun_tI7is_trueItEEENSC_INSD_IbEEEENSA_11use_defaultESO_EENS0_5tupleIJNSA_16discard_iteratorISO_EES6_EEENSQ_IJSG_SG_EEES6_PlJS6_EEE10hipError_tPvRmT3_T4_T5_T6_T7_T9_mT8_P12ihipStream_tbDpT10_ENKUlT_T0_E_clISt17integral_constantIbLb0EES1E_IbLb1EEEEDaS1A_S1B_EUlS1A_E_NS1_11comp_targetILNS1_3genE2ELNS1_11target_archE906ELNS1_3gpuE6ELNS1_3repE0EEENS1_30default_config_static_selectorELNS0_4arch9wavefront6targetE0EEEvT1_.has_indirect_call, 0
	.section	.AMDGPU.csdata,"",@progbits
; Kernel info:
; codeLenInByte = 0
; TotalNumSgprs: 0
; NumVgprs: 0
; ScratchSize: 0
; MemoryBound: 0
; FloatMode: 240
; IeeeMode: 1
; LDSByteSize: 0 bytes/workgroup (compile time only)
; SGPRBlocks: 0
; VGPRBlocks: 0
; NumSGPRsForWavesPerEU: 1
; NumVGPRsForWavesPerEU: 1
; Occupancy: 16
; WaveLimiterHint : 0
; COMPUTE_PGM_RSRC2:SCRATCH_EN: 0
; COMPUTE_PGM_RSRC2:USER_SGPR: 2
; COMPUTE_PGM_RSRC2:TRAP_HANDLER: 0
; COMPUTE_PGM_RSRC2:TGID_X_EN: 1
; COMPUTE_PGM_RSRC2:TGID_Y_EN: 0
; COMPUTE_PGM_RSRC2:TGID_Z_EN: 0
; COMPUTE_PGM_RSRC2:TIDIG_COMP_CNT: 0
	.section	.text._ZN7rocprim17ROCPRIM_400000_NS6detail17trampoline_kernelINS0_14default_configENS1_25partition_config_selectorILNS1_17partition_subalgoE5EtNS0_10empty_typeEbEEZZNS1_14partition_implILS5_5ELb0ES3_mN6thrust23THRUST_200600_302600_NS6detail15normal_iteratorINSA_10device_ptrItEEEEPS6_NSA_18transform_iteratorINSB_9not_fun_tI7is_trueItEEENSC_INSD_IbEEEENSA_11use_defaultESO_EENS0_5tupleIJNSA_16discard_iteratorISO_EES6_EEENSQ_IJSG_SG_EEES6_PlJS6_EEE10hipError_tPvRmT3_T4_T5_T6_T7_T9_mT8_P12ihipStream_tbDpT10_ENKUlT_T0_E_clISt17integral_constantIbLb0EES1E_IbLb1EEEEDaS1A_S1B_EUlS1A_E_NS1_11comp_targetILNS1_3genE10ELNS1_11target_archE1200ELNS1_3gpuE4ELNS1_3repE0EEENS1_30default_config_static_selectorELNS0_4arch9wavefront6targetE0EEEvT1_,"axG",@progbits,_ZN7rocprim17ROCPRIM_400000_NS6detail17trampoline_kernelINS0_14default_configENS1_25partition_config_selectorILNS1_17partition_subalgoE5EtNS0_10empty_typeEbEEZZNS1_14partition_implILS5_5ELb0ES3_mN6thrust23THRUST_200600_302600_NS6detail15normal_iteratorINSA_10device_ptrItEEEEPS6_NSA_18transform_iteratorINSB_9not_fun_tI7is_trueItEEENSC_INSD_IbEEEENSA_11use_defaultESO_EENS0_5tupleIJNSA_16discard_iteratorISO_EES6_EEENSQ_IJSG_SG_EEES6_PlJS6_EEE10hipError_tPvRmT3_T4_T5_T6_T7_T9_mT8_P12ihipStream_tbDpT10_ENKUlT_T0_E_clISt17integral_constantIbLb0EES1E_IbLb1EEEEDaS1A_S1B_EUlS1A_E_NS1_11comp_targetILNS1_3genE10ELNS1_11target_archE1200ELNS1_3gpuE4ELNS1_3repE0EEENS1_30default_config_static_selectorELNS0_4arch9wavefront6targetE0EEEvT1_,comdat
	.protected	_ZN7rocprim17ROCPRIM_400000_NS6detail17trampoline_kernelINS0_14default_configENS1_25partition_config_selectorILNS1_17partition_subalgoE5EtNS0_10empty_typeEbEEZZNS1_14partition_implILS5_5ELb0ES3_mN6thrust23THRUST_200600_302600_NS6detail15normal_iteratorINSA_10device_ptrItEEEEPS6_NSA_18transform_iteratorINSB_9not_fun_tI7is_trueItEEENSC_INSD_IbEEEENSA_11use_defaultESO_EENS0_5tupleIJNSA_16discard_iteratorISO_EES6_EEENSQ_IJSG_SG_EEES6_PlJS6_EEE10hipError_tPvRmT3_T4_T5_T6_T7_T9_mT8_P12ihipStream_tbDpT10_ENKUlT_T0_E_clISt17integral_constantIbLb0EES1E_IbLb1EEEEDaS1A_S1B_EUlS1A_E_NS1_11comp_targetILNS1_3genE10ELNS1_11target_archE1200ELNS1_3gpuE4ELNS1_3repE0EEENS1_30default_config_static_selectorELNS0_4arch9wavefront6targetE0EEEvT1_ ; -- Begin function _ZN7rocprim17ROCPRIM_400000_NS6detail17trampoline_kernelINS0_14default_configENS1_25partition_config_selectorILNS1_17partition_subalgoE5EtNS0_10empty_typeEbEEZZNS1_14partition_implILS5_5ELb0ES3_mN6thrust23THRUST_200600_302600_NS6detail15normal_iteratorINSA_10device_ptrItEEEEPS6_NSA_18transform_iteratorINSB_9not_fun_tI7is_trueItEEENSC_INSD_IbEEEENSA_11use_defaultESO_EENS0_5tupleIJNSA_16discard_iteratorISO_EES6_EEENSQ_IJSG_SG_EEES6_PlJS6_EEE10hipError_tPvRmT3_T4_T5_T6_T7_T9_mT8_P12ihipStream_tbDpT10_ENKUlT_T0_E_clISt17integral_constantIbLb0EES1E_IbLb1EEEEDaS1A_S1B_EUlS1A_E_NS1_11comp_targetILNS1_3genE10ELNS1_11target_archE1200ELNS1_3gpuE4ELNS1_3repE0EEENS1_30default_config_static_selectorELNS0_4arch9wavefront6targetE0EEEvT1_
	.globl	_ZN7rocprim17ROCPRIM_400000_NS6detail17trampoline_kernelINS0_14default_configENS1_25partition_config_selectorILNS1_17partition_subalgoE5EtNS0_10empty_typeEbEEZZNS1_14partition_implILS5_5ELb0ES3_mN6thrust23THRUST_200600_302600_NS6detail15normal_iteratorINSA_10device_ptrItEEEEPS6_NSA_18transform_iteratorINSB_9not_fun_tI7is_trueItEEENSC_INSD_IbEEEENSA_11use_defaultESO_EENS0_5tupleIJNSA_16discard_iteratorISO_EES6_EEENSQ_IJSG_SG_EEES6_PlJS6_EEE10hipError_tPvRmT3_T4_T5_T6_T7_T9_mT8_P12ihipStream_tbDpT10_ENKUlT_T0_E_clISt17integral_constantIbLb0EES1E_IbLb1EEEEDaS1A_S1B_EUlS1A_E_NS1_11comp_targetILNS1_3genE10ELNS1_11target_archE1200ELNS1_3gpuE4ELNS1_3repE0EEENS1_30default_config_static_selectorELNS0_4arch9wavefront6targetE0EEEvT1_
	.p2align	8
	.type	_ZN7rocprim17ROCPRIM_400000_NS6detail17trampoline_kernelINS0_14default_configENS1_25partition_config_selectorILNS1_17partition_subalgoE5EtNS0_10empty_typeEbEEZZNS1_14partition_implILS5_5ELb0ES3_mN6thrust23THRUST_200600_302600_NS6detail15normal_iteratorINSA_10device_ptrItEEEEPS6_NSA_18transform_iteratorINSB_9not_fun_tI7is_trueItEEENSC_INSD_IbEEEENSA_11use_defaultESO_EENS0_5tupleIJNSA_16discard_iteratorISO_EES6_EEENSQ_IJSG_SG_EEES6_PlJS6_EEE10hipError_tPvRmT3_T4_T5_T6_T7_T9_mT8_P12ihipStream_tbDpT10_ENKUlT_T0_E_clISt17integral_constantIbLb0EES1E_IbLb1EEEEDaS1A_S1B_EUlS1A_E_NS1_11comp_targetILNS1_3genE10ELNS1_11target_archE1200ELNS1_3gpuE4ELNS1_3repE0EEENS1_30default_config_static_selectorELNS0_4arch9wavefront6targetE0EEEvT1_,@function
_ZN7rocprim17ROCPRIM_400000_NS6detail17trampoline_kernelINS0_14default_configENS1_25partition_config_selectorILNS1_17partition_subalgoE5EtNS0_10empty_typeEbEEZZNS1_14partition_implILS5_5ELb0ES3_mN6thrust23THRUST_200600_302600_NS6detail15normal_iteratorINSA_10device_ptrItEEEEPS6_NSA_18transform_iteratorINSB_9not_fun_tI7is_trueItEEENSC_INSD_IbEEEENSA_11use_defaultESO_EENS0_5tupleIJNSA_16discard_iteratorISO_EES6_EEENSQ_IJSG_SG_EEES6_PlJS6_EEE10hipError_tPvRmT3_T4_T5_T6_T7_T9_mT8_P12ihipStream_tbDpT10_ENKUlT_T0_E_clISt17integral_constantIbLb0EES1E_IbLb1EEEEDaS1A_S1B_EUlS1A_E_NS1_11comp_targetILNS1_3genE10ELNS1_11target_archE1200ELNS1_3gpuE4ELNS1_3repE0EEENS1_30default_config_static_selectorELNS0_4arch9wavefront6targetE0EEEvT1_: ; @_ZN7rocprim17ROCPRIM_400000_NS6detail17trampoline_kernelINS0_14default_configENS1_25partition_config_selectorILNS1_17partition_subalgoE5EtNS0_10empty_typeEbEEZZNS1_14partition_implILS5_5ELb0ES3_mN6thrust23THRUST_200600_302600_NS6detail15normal_iteratorINSA_10device_ptrItEEEEPS6_NSA_18transform_iteratorINSB_9not_fun_tI7is_trueItEEENSC_INSD_IbEEEENSA_11use_defaultESO_EENS0_5tupleIJNSA_16discard_iteratorISO_EES6_EEENSQ_IJSG_SG_EEES6_PlJS6_EEE10hipError_tPvRmT3_T4_T5_T6_T7_T9_mT8_P12ihipStream_tbDpT10_ENKUlT_T0_E_clISt17integral_constantIbLb0EES1E_IbLb1EEEEDaS1A_S1B_EUlS1A_E_NS1_11comp_targetILNS1_3genE10ELNS1_11target_archE1200ELNS1_3gpuE4ELNS1_3repE0EEENS1_30default_config_static_selectorELNS0_4arch9wavefront6targetE0EEEvT1_
; %bb.0:
	s_clause 0x2
	s_load_b64 s[16:17], s[0:1], 0x60
	s_load_b128 s[4:7], s[0:1], 0x50
	s_load_b64 s[12:13], s[0:1], 0x70
	v_cmp_eq_u32_e64 s2, 0, v0
	s_and_saveexec_b32 s3, s2
	s_cbranch_execz .LBB2746_4
; %bb.1:
	s_mov_b32 s9, exec_lo
	s_mov_b32 s8, exec_lo
	v_mbcnt_lo_u32_b32 v1, s9, 0
                                        ; implicit-def: $vgpr2
	s_delay_alu instid0(VALU_DEP_1)
	v_cmpx_eq_u32_e32 0, v1
	s_cbranch_execz .LBB2746_3
; %bb.2:
	s_load_b64 s[10:11], s[0:1], 0x80
	s_bcnt1_i32_b32 s9, s9
	s_wait_alu 0xfffe
	v_dual_mov_b32 v2, 0 :: v_dual_mov_b32 v3, s9
	s_wait_kmcnt 0x0
	global_atomic_add_u32 v2, v2, v3, s[10:11] th:TH_ATOMIC_RETURN scope:SCOPE_DEV
.LBB2746_3:
	s_or_b32 exec_lo, exec_lo, s8
	s_wait_loadcnt 0x0
	v_readfirstlane_b32 s8, v2
	s_wait_alu 0xf1ff
	s_delay_alu instid0(VALU_DEP_1)
	v_dual_mov_b32 v2, 0 :: v_dual_add_nc_u32 v1, s8, v1
	ds_store_b32 v2, v1
.LBB2746_4:
	s_or_b32 exec_lo, exec_lo, s3
	v_mov_b32_e32 v1, 0
	s_clause 0x2
	s_load_b128 s[8:11], s[0:1], 0x8
	s_load_b64 s[14:15], s[0:1], 0x20
	s_load_b32 s0, s[0:1], 0x78
	s_wait_dscnt 0x0
	s_barrier_signal -1
	s_barrier_wait -1
	global_inv scope:SCOPE_SE
	ds_load_b32 v2, v1
	s_wait_loadcnt_dscnt 0x0
	s_barrier_signal -1
	s_barrier_wait -1
	global_inv scope:SCOPE_SE
	s_wait_kmcnt 0x0
	global_load_b64 v[41:42], v1, s[6:7]
	v_lshlrev_b32_e32 v9, 1, v0
	s_lshl_b64 s[6:7], s[10:11], 1
	s_delay_alu instid0(SALU_CYCLE_1)
	s_add_nc_u64 s[8:9], s[8:9], s[6:7]
	s_mul_i32 s6, s0, 0xc00
	s_mov_b32 s7, 0
	s_add_co_i32 s1, s6, s10
	s_add_co_i32 s20, s0, -1
	v_readfirstlane_b32 s18, v2
	s_sub_co_i32 s3, s16, s1
	s_add_nc_u64 s[0:1], s[10:11], s[6:7]
	s_addk_co_i32 s3, 0xc00
	v_cmp_gt_u64_e64 s0, s[16:17], s[0:1]
	s_cmp_eq_u32 s18, s20
	s_mul_i32 s19, s18, 0xc00
	s_cselect_b32 s16, -1, 0
	s_cmp_lg_u32 s18, s20
	s_mov_b32 s6, s19
	s_cselect_b32 s17, -1, 0
	s_lshl_b64 s[20:21], s[6:7], 1
	s_wait_alu 0xfffe
	s_or_b32 s17, s0, s17
	s_mov_b32 s1, -1
	s_wait_alu 0xfffe
	s_and_b32 vcc_lo, exec_lo, s17
	s_add_nc_u64 s[8:9], s[8:9], s[20:21]
	s_cbranch_vccz .LBB2746_6
; %bb.5:
	s_wait_alu 0xfffe
	v_add_co_u32 v1, s0, s8, v9
	s_wait_alu 0xf1ff
	v_add_co_ci_u32_e64 v2, null, s9, 0, s0
	s_mov_b32 s1, s7
	s_clause 0xb
	flat_load_u16 v3, v[1:2]
	flat_load_u16 v4, v[1:2] offset:512
	flat_load_u16 v5, v[1:2] offset:1024
	flat_load_u16 v6, v[1:2] offset:1536
	flat_load_u16 v7, v[1:2] offset:2048
	flat_load_u16 v8, v[1:2] offset:2560
	flat_load_u16 v10, v[1:2] offset:3072
	flat_load_u16 v11, v[1:2] offset:3584
	flat_load_u16 v12, v[1:2] offset:4096
	flat_load_u16 v13, v[1:2] offset:4608
	flat_load_u16 v14, v[1:2] offset:5120
	flat_load_u16 v1, v[1:2] offset:5632
	s_wait_loadcnt_dscnt 0xb0b
	ds_store_b16 v9, v3
	s_wait_loadcnt_dscnt 0xa0b
	ds_store_b16 v9, v4 offset:512
	s_wait_loadcnt_dscnt 0x90b
	ds_store_b16 v9, v5 offset:1024
	;; [unrolled: 2-line block ×11, first 2 shown]
	s_wait_dscnt 0x0
	s_barrier_signal -1
	s_barrier_wait -1
.LBB2746_6:
	v_cmp_gt_u32_e64 s0, s3, v0
	s_wait_alu 0xfffe
	s_and_not1_b32 vcc_lo, exec_lo, s1
	s_cbranch_vccnz .LBB2746_32
; %bb.7:
	v_mov_b32_e32 v1, 0
	s_delay_alu instid0(VALU_DEP_1)
	v_dual_mov_b32 v2, v1 :: v_dual_mov_b32 v3, v1
	v_dual_mov_b32 v4, v1 :: v_dual_mov_b32 v5, v1
	v_mov_b32_e32 v6, v1
	s_and_saveexec_b32 s1, s0
	s_cbranch_execz .LBB2746_9
; %bb.8:
	v_add_co_u32 v3, s0, s8, v9
	s_wait_alu 0xf1ff
	v_add_co_ci_u32_e64 v4, null, s9, 0, s0
	v_mov_b32_e32 v2, v1
	v_dual_mov_b32 v6, v1 :: v_dual_mov_b32 v7, v1
	v_mov_b32_e32 v5, v1
	flat_load_d16_b16 v2, v[3:4]
	v_dual_mov_b32 v3, v1 :: v_dual_mov_b32 v4, v1
	s_wait_loadcnt_dscnt 0x0
	v_mov_b32_e32 v1, v2
	s_delay_alu instid0(VALU_DEP_2) | instskip(NEXT) | instid1(VALU_DEP_3)
	v_mov_b32_e32 v2, v3
	v_mov_b32_e32 v3, v4
	;; [unrolled: 1-line block ×7, first 2 shown]
.LBB2746_9:
	s_wait_alu 0xfffe
	s_or_b32 exec_lo, exec_lo, s1
	v_or_b32_e32 v7, 0x100, v0
	s_mov_b32 s0, exec_lo
	s_delay_alu instid0(VALU_DEP_1)
	v_cmpx_gt_u32_e64 s3, v7
	s_cbranch_execz .LBB2746_11
; %bb.10:
	v_add_co_u32 v7, s1, s8, v9
	s_wait_alu 0xf1ff
	v_add_co_ci_u32_e64 v8, null, s9, 0, s1
	flat_load_d16_hi_b16 v1, v[7:8] offset:512
.LBB2746_11:
	s_wait_alu 0xfffe
	s_or_b32 exec_lo, exec_lo, s0
	v_or_b32_e32 v7, 0x200, v0
	s_mov_b32 s0, exec_lo
	s_delay_alu instid0(VALU_DEP_1)
	v_cmpx_gt_u32_e64 s3, v7
	s_cbranch_execz .LBB2746_13
; %bb.12:
	v_add_co_u32 v7, s1, s8, v9
	s_wait_alu 0xf1ff
	v_add_co_ci_u32_e64 v8, null, s9, 0, s1
	flat_load_d16_b16 v2, v[7:8] offset:1024
.LBB2746_13:
	s_wait_alu 0xfffe
	s_or_b32 exec_lo, exec_lo, s0
	v_or_b32_e32 v7, 0x300, v0
	s_mov_b32 s0, exec_lo
	s_delay_alu instid0(VALU_DEP_1)
	v_cmpx_gt_u32_e64 s3, v7
	s_cbranch_execz .LBB2746_15
; %bb.14:
	v_add_co_u32 v7, s1, s8, v9
	s_wait_alu 0xf1ff
	v_add_co_ci_u32_e64 v8, null, s9, 0, s1
	s_wait_loadcnt_dscnt 0x0
	flat_load_d16_hi_b16 v2, v[7:8] offset:1536
.LBB2746_15:
	s_wait_alu 0xfffe
	s_or_b32 exec_lo, exec_lo, s0
	v_or_b32_e32 v7, 0x400, v0
	s_mov_b32 s0, exec_lo
	s_delay_alu instid0(VALU_DEP_1)
	v_cmpx_gt_u32_e64 s3, v7
	s_cbranch_execz .LBB2746_17
; %bb.16:
	v_add_co_u32 v7, s1, s8, v9
	s_wait_alu 0xf1ff
	v_add_co_ci_u32_e64 v8, null, s9, 0, s1
	flat_load_d16_b16 v3, v[7:8] offset:2048
.LBB2746_17:
	s_wait_alu 0xfffe
	s_or_b32 exec_lo, exec_lo, s0
	v_or_b32_e32 v7, 0x500, v0
	s_mov_b32 s0, exec_lo
	s_delay_alu instid0(VALU_DEP_1)
	v_cmpx_gt_u32_e64 s3, v7
	s_cbranch_execz .LBB2746_19
; %bb.18:
	v_add_co_u32 v7, s1, s8, v9
	s_wait_alu 0xf1ff
	v_add_co_ci_u32_e64 v8, null, s9, 0, s1
	s_wait_loadcnt_dscnt 0x0
	flat_load_d16_hi_b16 v3, v[7:8] offset:2560
.LBB2746_19:
	;; [unrolled: 27-line block ×5, first 2 shown]
	s_wait_alu 0xfffe
	s_or_b32 exec_lo, exec_lo, s0
	s_wait_loadcnt_dscnt 0x0
	ds_store_b16 v9, v1
	ds_store_b16_d16_hi v9, v1 offset:512
	ds_store_b16 v9, v2 offset:1024
	ds_store_b16_d16_hi v9, v2 offset:1536
	ds_store_b16 v9, v3 offset:2048
	;; [unrolled: 2-line block ×5, first 2 shown]
	ds_store_b16_d16_hi v9, v6 offset:5632
	s_wait_dscnt 0x0
	s_barrier_signal -1
	s_barrier_wait -1
.LBB2746_32:
	v_mul_u32_u24_e32 v49, 12, v0
	s_wait_loadcnt 0x0
	global_inv scope:SCOPE_SE
	s_add_nc_u64 s[0:1], s[14:15], s[10:11]
	s_and_b32 vcc_lo, exec_lo, s17
	s_wait_alu 0xfffe
	s_add_nc_u64 s[0:1], s[0:1], s[6:7]
	v_lshlrev_b32_e32 v1, 1, v49
	s_mov_b32 s6, -1
	ds_load_2addr_b64 v[33:36], v1 offset1:1
	ds_load_b64 v[43:44], v1 offset:16
	s_wait_loadcnt_dscnt 0x0
	s_barrier_signal -1
	s_barrier_wait -1
	global_inv scope:SCOPE_SE
	s_cbranch_vccz .LBB2746_34
; %bb.33:
	s_clause 0xb
	global_load_u8 v1, v0, s[0:1]
	global_load_u8 v2, v0, s[0:1] offset:256
	global_load_u8 v3, v0, s[0:1] offset:512
	;; [unrolled: 1-line block ×11, first 2 shown]
	s_mov_b32 s6, 0
	s_wait_loadcnt 0xb
	v_xor_b32_e32 v1, 1, v1
	s_wait_loadcnt 0xa
	v_xor_b32_e32 v2, 1, v2
	;; [unrolled: 2-line block ×12, first 2 shown]
	ds_store_b8 v0, v1
	ds_store_b8 v0, v2 offset:256
	ds_store_b8 v0, v3 offset:512
	ds_store_b8 v0, v4 offset:768
	ds_store_b8 v0, v5 offset:1024
	ds_store_b8 v0, v6 offset:1280
	ds_store_b8 v0, v7 offset:1536
	ds_store_b8 v0, v8 offset:1792
	ds_store_b8 v0, v9 offset:2048
	ds_store_b8 v0, v10 offset:2304
	ds_store_b8 v0, v11 offset:2560
	ds_store_b8 v0, v12 offset:2816
	s_wait_dscnt 0x0
	s_barrier_signal -1
	s_barrier_wait -1
.LBB2746_34:
	s_and_not1_b32 vcc_lo, exec_lo, s6
	s_cbranch_vccnz .LBB2746_60
; %bb.35:
	v_mov_b32_e32 v3, 0
	s_mov_b32 s6, exec_lo
	s_delay_alu instid0(VALU_DEP_1)
	v_dual_mov_b32 v1, v3 :: v_dual_mov_b32 v2, v3
	v_mov_b32_e32 v4, v3
	v_cmpx_gt_u32_e64 s3, v0
	s_cbranch_execz .LBB2746_37
; %bb.36:
	global_load_u8 v1, v0, s[0:1]
	s_wait_loadcnt 0x0
	v_xor_b32_e32 v4, 1, v1
	s_delay_alu instid0(VALU_DEP_1) | instskip(NEXT) | instid1(VALU_DEP_1)
	v_dual_mov_b32 v1, 0 :: v_dual_and_b32 v2, 1, v4
	v_dual_mov_b32 v2, v1 :: v_dual_and_b32 v3, 0xffff, v2
.LBB2746_37:
	s_or_b32 exec_lo, exec_lo, s6
	v_or_b32_e32 v5, 0x100, v0
	s_mov_b32 s6, exec_lo
	s_delay_alu instid0(VALU_DEP_1)
	v_cmpx_gt_u32_e64 s3, v5
	s_cbranch_execz .LBB2746_39
; %bb.38:
	global_load_u8 v5, v0, s[0:1] offset:256
	v_and_b32_e32 v6, 0xff, v3
	s_wait_loadcnt 0x0
	v_xor_b32_e32 v5, 1, v5
	s_delay_alu instid0(VALU_DEP_1) | instskip(NEXT) | instid1(VALU_DEP_1)
	v_lshlrev_b16 v5, 8, v5
	v_or_b32_e32 v5, v6, v5
	s_delay_alu instid0(VALU_DEP_1) | instskip(NEXT) | instid1(VALU_DEP_1)
	v_and_b32_e32 v5, 0xffff, v5
	v_and_or_b32 v3, 0xffff0000, v3, v5
.LBB2746_39:
	s_or_b32 exec_lo, exec_lo, s6
	v_or_b32_e32 v5, 0x200, v0
	s_mov_b32 s6, exec_lo
	s_delay_alu instid0(VALU_DEP_1)
	v_cmpx_gt_u32_e64 s3, v5
	s_cbranch_execz .LBB2746_41
; %bb.40:
	global_load_u8 v5, v0, s[0:1] offset:512
	v_lshrrev_b32_e32 v6, 16, v3
	s_delay_alu instid0(VALU_DEP_1) | instskip(SKIP_2) | instid1(VALU_DEP_1)
	v_and_b32_e32 v6, 0xffffff00, v6
	s_wait_loadcnt 0x0
	v_xor_b32_e32 v5, 1, v5
	v_or_b32_e32 v5, v5, v6
	s_delay_alu instid0(VALU_DEP_1) | instskip(NEXT) | instid1(VALU_DEP_1)
	v_lshlrev_b32_e32 v5, 16, v5
	v_and_or_b32 v3, 0xffff, v3, v5
.LBB2746_41:
	s_or_b32 exec_lo, exec_lo, s6
	v_or_b32_e32 v5, 0x300, v0
	s_mov_b32 s6, exec_lo
	s_delay_alu instid0(VALU_DEP_1)
	v_cmpx_gt_u32_e64 s3, v5
	s_cbranch_execz .LBB2746_43
; %bb.42:
	global_load_u8 v5, v0, s[0:1] offset:768
	v_lshrrev_b32_e32 v6, 16, v3
	s_delay_alu instid0(VALU_DEP_1) | instskip(SKIP_2) | instid1(VALU_DEP_1)
	v_and_b32_e32 v6, 0xff, v6
	s_wait_loadcnt 0x0
	v_xor_b32_e32 v5, 1, v5
	v_lshlrev_b16 v5, 8, v5
	s_delay_alu instid0(VALU_DEP_1) | instskip(NEXT) | instid1(VALU_DEP_1)
	v_or_b32_e32 v5, v6, v5
	v_lshlrev_b32_e32 v5, 16, v5
	s_delay_alu instid0(VALU_DEP_1)
	v_and_or_b32 v3, 0xffff, v3, v5
.LBB2746_43:
	s_or_b32 exec_lo, exec_lo, s6
	v_or_b32_e32 v5, 0x400, v0
	s_mov_b32 s6, exec_lo
	s_delay_alu instid0(VALU_DEP_1)
	v_cmpx_gt_u32_e64 s3, v5
	s_cbranch_execz .LBB2746_45
; %bb.44:
	global_load_u8 v5, v0, s[0:1] offset:1024
	v_and_b32_e32 v6, 0xffffff00, v1
	s_wait_loadcnt 0x0
	v_xor_b32_e32 v5, 1, v5
	s_delay_alu instid0(VALU_DEP_1) | instskip(NEXT) | instid1(VALU_DEP_1)
	v_or_b32_e32 v5, v5, v6
	v_and_b32_e32 v5, 0xffff, v5
	s_delay_alu instid0(VALU_DEP_1)
	v_and_or_b32 v1, 0xffff0000, v1, v5
.LBB2746_45:
	s_or_b32 exec_lo, exec_lo, s6
	v_or_b32_e32 v5, 0x500, v0
	s_mov_b32 s6, exec_lo
	s_delay_alu instid0(VALU_DEP_1)
	v_cmpx_gt_u32_e64 s3, v5
	s_cbranch_execz .LBB2746_47
; %bb.46:
	global_load_u8 v5, v0, s[0:1] offset:1280
	v_and_b32_e32 v6, 0xff, v1
	s_wait_loadcnt 0x0
	v_xor_b32_e32 v5, 1, v5
	s_delay_alu instid0(VALU_DEP_1) | instskip(NEXT) | instid1(VALU_DEP_1)
	v_lshlrev_b16 v5, 8, v5
	v_or_b32_e32 v5, v6, v5
	s_delay_alu instid0(VALU_DEP_1) | instskip(NEXT) | instid1(VALU_DEP_1)
	v_and_b32_e32 v5, 0xffff, v5
	v_and_or_b32 v1, 0xffff0000, v1, v5
.LBB2746_47:
	s_or_b32 exec_lo, exec_lo, s6
	v_or_b32_e32 v5, 0x600, v0
	s_mov_b32 s6, exec_lo
	s_delay_alu instid0(VALU_DEP_1)
	v_cmpx_gt_u32_e64 s3, v5
	s_cbranch_execz .LBB2746_49
; %bb.48:
	global_load_u8 v5, v0, s[0:1] offset:1536
	v_lshrrev_b32_e32 v6, 16, v1
	s_delay_alu instid0(VALU_DEP_1) | instskip(SKIP_2) | instid1(VALU_DEP_1)
	v_and_b32_e32 v6, 0xffffff00, v6
	s_wait_loadcnt 0x0
	v_xor_b32_e32 v5, 1, v5
	v_or_b32_e32 v5, v5, v6
	s_delay_alu instid0(VALU_DEP_1) | instskip(NEXT) | instid1(VALU_DEP_1)
	v_lshlrev_b32_e32 v5, 16, v5
	v_and_or_b32 v1, 0xffff, v1, v5
.LBB2746_49:
	s_or_b32 exec_lo, exec_lo, s6
	v_or_b32_e32 v5, 0x700, v0
	s_mov_b32 s6, exec_lo
	s_delay_alu instid0(VALU_DEP_1)
	v_cmpx_gt_u32_e64 s3, v5
	s_cbranch_execz .LBB2746_51
; %bb.50:
	global_load_u8 v5, v0, s[0:1] offset:1792
	v_lshrrev_b32_e32 v6, 16, v1
	s_delay_alu instid0(VALU_DEP_1) | instskip(SKIP_2) | instid1(VALU_DEP_1)
	v_and_b32_e32 v6, 0xff, v6
	s_wait_loadcnt 0x0
	v_xor_b32_e32 v5, 1, v5
	v_lshlrev_b16 v5, 8, v5
	s_delay_alu instid0(VALU_DEP_1) | instskip(NEXT) | instid1(VALU_DEP_1)
	v_or_b32_e32 v5, v6, v5
	v_lshlrev_b32_e32 v5, 16, v5
	s_delay_alu instid0(VALU_DEP_1)
	v_and_or_b32 v1, 0xffff, v1, v5
.LBB2746_51:
	s_or_b32 exec_lo, exec_lo, s6
	v_or_b32_e32 v5, 0x800, v0
	s_mov_b32 s6, exec_lo
	s_delay_alu instid0(VALU_DEP_1)
	v_cmpx_gt_u32_e64 s3, v5
	s_cbranch_execz .LBB2746_53
; %bb.52:
	global_load_u8 v5, v0, s[0:1] offset:2048
	v_and_b32_e32 v6, 0xffffff00, v2
	s_wait_loadcnt 0x0
	v_xor_b32_e32 v5, 1, v5
	s_delay_alu instid0(VALU_DEP_1) | instskip(NEXT) | instid1(VALU_DEP_1)
	v_or_b32_e32 v5, v5, v6
	v_and_b32_e32 v5, 0xffff, v5
	s_delay_alu instid0(VALU_DEP_1)
	v_and_or_b32 v2, 0xffff0000, v2, v5
.LBB2746_53:
	s_or_b32 exec_lo, exec_lo, s6
	v_or_b32_e32 v5, 0x900, v0
	s_mov_b32 s6, exec_lo
	s_delay_alu instid0(VALU_DEP_1)
	v_cmpx_gt_u32_e64 s3, v5
	s_cbranch_execz .LBB2746_55
; %bb.54:
	global_load_u8 v5, v0, s[0:1] offset:2304
	v_and_b32_e32 v6, 0xff, v2
	s_wait_loadcnt 0x0
	v_xor_b32_e32 v5, 1, v5
	s_delay_alu instid0(VALU_DEP_1) | instskip(NEXT) | instid1(VALU_DEP_1)
	v_lshlrev_b16 v5, 8, v5
	v_or_b32_e32 v5, v6, v5
	s_delay_alu instid0(VALU_DEP_1) | instskip(NEXT) | instid1(VALU_DEP_1)
	v_and_b32_e32 v5, 0xffff, v5
	v_and_or_b32 v2, 0xffff0000, v2, v5
.LBB2746_55:
	s_or_b32 exec_lo, exec_lo, s6
	v_or_b32_e32 v5, 0xa00, v0
	s_mov_b32 s6, exec_lo
	s_delay_alu instid0(VALU_DEP_1)
	v_cmpx_gt_u32_e64 s3, v5
	s_cbranch_execz .LBB2746_57
; %bb.56:
	global_load_u8 v5, v0, s[0:1] offset:2560
	v_lshrrev_b32_e32 v6, 16, v2
	s_delay_alu instid0(VALU_DEP_1) | instskip(SKIP_2) | instid1(VALU_DEP_1)
	v_and_b32_e32 v6, 0xffffff00, v6
	s_wait_loadcnt 0x0
	v_xor_b32_e32 v5, 1, v5
	v_or_b32_e32 v5, v5, v6
	s_delay_alu instid0(VALU_DEP_1) | instskip(NEXT) | instid1(VALU_DEP_1)
	v_lshlrev_b32_e32 v5, 16, v5
	v_and_or_b32 v2, 0xffff, v2, v5
.LBB2746_57:
	s_or_b32 exec_lo, exec_lo, s6
	v_or_b32_e32 v5, 0xb00, v0
	s_delay_alu instid0(VALU_DEP_1)
	v_cmp_gt_u32_e32 vcc_lo, s3, v5
	s_and_saveexec_b32 s3, vcc_lo
	s_cbranch_execz .LBB2746_59
; %bb.58:
	global_load_u8 v5, v0, s[0:1] offset:2816
	v_lshrrev_b32_e32 v6, 16, v2
	s_delay_alu instid0(VALU_DEP_1) | instskip(SKIP_2) | instid1(VALU_DEP_1)
	v_and_b32_e32 v6, 0xff, v6
	s_wait_loadcnt 0x0
	v_xor_b32_e32 v5, 1, v5
	v_lshlrev_b16 v5, 8, v5
	s_delay_alu instid0(VALU_DEP_1) | instskip(NEXT) | instid1(VALU_DEP_1)
	v_or_b32_e32 v5, v6, v5
	v_lshlrev_b32_e32 v5, 16, v5
	s_delay_alu instid0(VALU_DEP_1)
	v_and_or_b32 v2, 0xffff, v2, v5
.LBB2746_59:
	s_wait_alu 0xfffe
	s_or_b32 exec_lo, exec_lo, s3
	v_lshrrev_b32_e32 v5, 8, v3
	v_lshrrev_b32_e32 v6, 24, v3
	;; [unrolled: 1-line block ×6, first 2 shown]
	ds_store_b8 v0, v4
	ds_store_b8 v0, v5 offset:256
	ds_store_b8_d16_hi v0, v3 offset:512
	ds_store_b8 v0, v6 offset:768
	ds_store_b8 v0, v1 offset:1024
	;; [unrolled: 1-line block ×3, first 2 shown]
	ds_store_b8_d16_hi v0, v1 offset:1536
	ds_store_b8 v0, v8 offset:1792
	ds_store_b8 v0, v2 offset:2048
	;; [unrolled: 1-line block ×3, first 2 shown]
	ds_store_b8_d16_hi v0, v2 offset:2560
	ds_store_b8 v0, v10 offset:2816
	s_wait_loadcnt_dscnt 0x0
	s_barrier_signal -1
	s_barrier_wait -1
.LBB2746_60:
	s_wait_loadcnt 0x0
	global_inv scope:SCOPE_SE
	ds_load_2addr_b32 v[45:46], v49 offset1:1
	ds_load_b32 v50, v49 offset:8
	v_mbcnt_lo_u32_b32 v63, -1, 0
	s_cmp_lg_u32 s18, 0
	s_mov_b32 s1, -1
	s_wait_loadcnt_dscnt 0x0
	s_barrier_signal -1
	v_and_b32_e32 v64, 15, v63
	s_barrier_wait -1
	global_inv scope:SCOPE_SE
	v_dual_mov_b32 v2, 0 :: v_dual_and_b32 v55, 0xff, v45
	v_bfe_u32 v56, v45, 8, 8
	v_bfe_u32 v54, v45, 16, 8
	v_lshrrev_b32_e32 v53, 24, v45
	v_and_b32_e32 v58, 0xff, v46
	v_bfe_u32 v59, v46, 8, 8
	v_bfe_u32 v60, v46, 16, 8
	v_add3_u32 v1, v56, v55, v54
	v_lshrrev_b32_e32 v52, 24, v46
	v_and_b32_e32 v61, 0xff, v50
	v_bfe_u32 v62, v50, 8, 8
	v_bfe_u32 v57, v50, 16, 8
	v_add_co_u32 v1, s0, v1, v53
	s_wait_alu 0xf1fe
	v_add_co_ci_u32_e64 v3, null, 0, 0, s0
	v_lshrrev_b32_e32 v51, 24, v50
	s_delay_alu instid0(VALU_DEP_3) | instskip(NEXT) | instid1(VALU_DEP_1)
	v_add_co_u32 v1, vcc_lo, v1, v58
	v_add_co_ci_u32_e64 v3, null, 0, v3, vcc_lo
	v_cmp_ne_u32_e64 s0, 0, v64
	s_delay_alu instid0(VALU_DEP_3) | instskip(SKIP_1) | instid1(VALU_DEP_3)
	v_add_co_u32 v1, vcc_lo, v1, v59
	s_wait_alu 0xfffd
	v_add_co_ci_u32_e64 v3, null, 0, v3, vcc_lo
	s_delay_alu instid0(VALU_DEP_2) | instskip(SKIP_1) | instid1(VALU_DEP_2)
	v_add_co_u32 v1, vcc_lo, v1, v60
	s_wait_alu 0xfffd
	v_add_co_ci_u32_e64 v3, null, 0, v3, vcc_lo
	s_delay_alu instid0(VALU_DEP_2) | instskip(SKIP_1) | instid1(VALU_DEP_2)
	;; [unrolled: 4-line block ×6, first 2 shown]
	v_add_co_u32 v47, vcc_lo, v1, v51
	s_wait_alu 0xfffd
	v_add_co_ci_u32_e64 v48, null, 0, v3, vcc_lo
	s_cbranch_scc0 .LBB2746_117
; %bb.61:
	v_mov_b32_e32 v3, v47
	v_mov_b32_dpp v1, v47 row_shr:1 row_mask:0xf bank_mask:0xf
	v_mov_b32_dpp v6, v2 row_shr:1 row_mask:0xf bank_mask:0xf
	v_dual_mov_b32 v5, v47 :: v_dual_mov_b32 v4, v48
	s_and_saveexec_b32 s1, s0
; %bb.62:
	s_delay_alu instid0(VALU_DEP_3) | instskip(SKIP_2) | instid1(VALU_DEP_2)
	v_add_co_u32 v5, vcc_lo, v47, v1
	s_wait_alu 0xfffd
	v_add_co_ci_u32_e64 v2, null, 0, v48, vcc_lo
	v_add_co_u32 v1, vcc_lo, 0, v5
	s_wait_alu 0xfffd
	s_delay_alu instid0(VALU_DEP_2) | instskip(NEXT) | instid1(VALU_DEP_1)
	v_add_co_ci_u32_e64 v2, null, v6, v2, vcc_lo
	v_dual_mov_b32 v4, v2 :: v_dual_mov_b32 v3, v1
; %bb.63:
	s_wait_alu 0xfffe
	s_or_b32 exec_lo, exec_lo, s1
	v_mov_b32_dpp v1, v5 row_shr:2 row_mask:0xf bank_mask:0xf
	v_mov_b32_dpp v6, v2 row_shr:2 row_mask:0xf bank_mask:0xf
	s_mov_b32 s1, exec_lo
	v_cmpx_lt_u32_e32 1, v64
; %bb.64:
	s_delay_alu instid0(VALU_DEP_3) | instskip(SKIP_2) | instid1(VALU_DEP_2)
	v_add_co_u32 v5, vcc_lo, v3, v1
	s_wait_alu 0xfffd
	v_add_co_ci_u32_e64 v2, null, 0, v4, vcc_lo
	v_add_co_u32 v1, vcc_lo, 0, v5
	s_wait_alu 0xfffd
	s_delay_alu instid0(VALU_DEP_2) | instskip(NEXT) | instid1(VALU_DEP_1)
	v_add_co_ci_u32_e64 v2, null, v6, v2, vcc_lo
	v_dual_mov_b32 v4, v2 :: v_dual_mov_b32 v3, v1
; %bb.65:
	s_wait_alu 0xfffe
	s_or_b32 exec_lo, exec_lo, s1
	v_mov_b32_dpp v1, v5 row_shr:4 row_mask:0xf bank_mask:0xf
	v_mov_b32_dpp v6, v2 row_shr:4 row_mask:0xf bank_mask:0xf
	s_mov_b32 s1, exec_lo
	v_cmpx_lt_u32_e32 3, v64
	;; [unrolled: 17-line block ×3, first 2 shown]
; %bb.68:
	s_delay_alu instid0(VALU_DEP_3) | instskip(SKIP_2) | instid1(VALU_DEP_2)
	v_add_co_u32 v5, vcc_lo, v3, v6
	s_wait_alu 0xfffd
	v_add_co_ci_u32_e64 v2, null, 0, v4, vcc_lo
	v_add_co_u32 v3, vcc_lo, 0, v5
	s_wait_alu 0xfffd
	s_delay_alu instid0(VALU_DEP_2) | instskip(NEXT) | instid1(VALU_DEP_1)
	v_add_co_ci_u32_e64 v4, null, v1, v2, vcc_lo
	v_mov_b32_e32 v2, v4
; %bb.69:
	s_wait_alu 0xfffe
	s_or_b32 exec_lo, exec_lo, s1
	ds_swizzle_b32 v6, v5 offset:swizzle(BROADCAST,32,15)
	ds_swizzle_b32 v1, v2 offset:swizzle(BROADCAST,32,15)
	v_and_b32_e32 v2, 16, v63
	s_mov_b32 s1, exec_lo
	s_delay_alu instid0(VALU_DEP_1)
	v_cmpx_ne_u32_e32 0, v2
	s_cbranch_execz .LBB2746_71
; %bb.70:
	s_wait_dscnt 0x1
	v_add_co_u32 v5, vcc_lo, v3, v6
	s_wait_alu 0xfffd
	v_add_co_ci_u32_e64 v2, null, 0, v4, vcc_lo
	s_delay_alu instid0(VALU_DEP_2) | instskip(SKIP_2) | instid1(VALU_DEP_2)
	v_add_co_u32 v3, vcc_lo, 0, v5
	s_wait_dscnt 0x0
	s_wait_alu 0xfffd
	v_add_co_ci_u32_e64 v4, null, v1, v2, vcc_lo
.LBB2746_71:
	s_wait_alu 0xfffe
	s_or_b32 exec_lo, exec_lo, s1
	s_wait_dscnt 0x0
	v_or_b32_e32 v1, 31, v0
	v_lshrrev_b32_e32 v6, 5, v0
	s_mov_b32 s1, exec_lo
	s_delay_alu instid0(VALU_DEP_2)
	v_cmpx_eq_u32_e64 v0, v1
; %bb.72:
	s_delay_alu instid0(VALU_DEP_2)
	v_lshlrev_b32_e32 v1, 3, v6
	ds_store_b64 v1, v[3:4]
; %bb.73:
	s_wait_alu 0xfffe
	s_or_b32 exec_lo, exec_lo, s1
	s_delay_alu instid0(SALU_CYCLE_1)
	s_mov_b32 s1, exec_lo
	s_wait_loadcnt_dscnt 0x0
	s_barrier_signal -1
	s_barrier_wait -1
	global_inv scope:SCOPE_SE
	v_cmpx_gt_u32_e32 8, v0
	s_cbranch_execz .LBB2746_81
; %bb.74:
	v_lshlrev_b32_e32 v3, 3, v0
	s_mov_b32 s3, exec_lo
	ds_load_b64 v[1:2], v3
	s_wait_dscnt 0x0
	v_dual_mov_b32 v7, v1 :: v_dual_and_b32 v4, 7, v63
	v_mov_b32_dpp v9, v1 row_shr:1 row_mask:0xf bank_mask:0xf
	v_mov_b32_dpp v8, v2 row_shr:1 row_mask:0xf bank_mask:0xf
	s_delay_alu instid0(VALU_DEP_3)
	v_cmpx_ne_u32_e32 0, v4
; %bb.75:
	s_delay_alu instid0(VALU_DEP_3) | instskip(SKIP_2) | instid1(VALU_DEP_2)
	v_add_co_u32 v7, vcc_lo, v1, v9
	s_wait_alu 0xfffd
	v_add_co_ci_u32_e64 v2, null, 0, v2, vcc_lo
	v_add_co_u32 v1, vcc_lo, 0, v7
	s_wait_alu 0xfffd
	s_delay_alu instid0(VALU_DEP_2)
	v_add_co_ci_u32_e64 v2, null, v8, v2, vcc_lo
; %bb.76:
	s_wait_alu 0xfffe
	s_or_b32 exec_lo, exec_lo, s3
	v_mov_b32_dpp v9, v7 row_shr:2 row_mask:0xf bank_mask:0xf
	s_delay_alu instid0(VALU_DEP_2)
	v_mov_b32_dpp v8, v2 row_shr:2 row_mask:0xf bank_mask:0xf
	s_mov_b32 s3, exec_lo
	v_cmpx_lt_u32_e32 1, v4
; %bb.77:
	s_delay_alu instid0(VALU_DEP_3) | instskip(SKIP_2) | instid1(VALU_DEP_2)
	v_add_co_u32 v7, vcc_lo, v1, v9
	s_wait_alu 0xfffd
	v_add_co_ci_u32_e64 v2, null, 0, v2, vcc_lo
	v_add_co_u32 v1, vcc_lo, 0, v7
	s_wait_alu 0xfffd
	s_delay_alu instid0(VALU_DEP_2)
	v_add_co_ci_u32_e64 v2, null, v8, v2, vcc_lo
; %bb.78:
	s_wait_alu 0xfffe
	s_or_b32 exec_lo, exec_lo, s3
	v_mov_b32_dpp v8, v7 row_shr:4 row_mask:0xf bank_mask:0xf
	s_delay_alu instid0(VALU_DEP_2)
	v_mov_b32_dpp v7, v2 row_shr:4 row_mask:0xf bank_mask:0xf
	s_mov_b32 s3, exec_lo
	v_cmpx_lt_u32_e32 3, v4
; %bb.79:
	s_delay_alu instid0(VALU_DEP_3) | instskip(SKIP_2) | instid1(VALU_DEP_2)
	v_add_co_u32 v1, vcc_lo, v1, v8
	s_wait_alu 0xfffd
	v_add_co_ci_u32_e64 v2, null, 0, v2, vcc_lo
	v_add_co_u32 v1, vcc_lo, v1, 0
	s_wait_alu 0xfffd
	s_delay_alu instid0(VALU_DEP_2)
	v_add_co_ci_u32_e64 v2, null, v2, v7, vcc_lo
; %bb.80:
	s_wait_alu 0xfffe
	s_or_b32 exec_lo, exec_lo, s3
	ds_store_b64 v3, v[1:2]
.LBB2746_81:
	s_wait_alu 0xfffe
	s_or_b32 exec_lo, exec_lo, s1
	s_delay_alu instid0(SALU_CYCLE_1)
	s_mov_b32 s3, exec_lo
	v_cmp_gt_u32_e32 vcc_lo, 32, v0
	s_wait_loadcnt_dscnt 0x0
	s_barrier_signal -1
	s_barrier_wait -1
	global_inv scope:SCOPE_SE
                                        ; implicit-def: $vgpr9_vgpr10
	v_cmpx_lt_u32_e32 31, v0
	s_cbranch_execz .LBB2746_83
; %bb.82:
	v_lshl_add_u32 v1, v6, 3, -8
	ds_load_b64 v[9:10], v1
	s_wait_dscnt 0x0
	v_add_nc_u32_e32 v5, v5, v9
.LBB2746_83:
	s_wait_alu 0xfffe
	s_or_b32 exec_lo, exec_lo, s3
	v_sub_co_u32 v1, s1, v63, 1
	s_delay_alu instid0(VALU_DEP_1) | instskip(SKIP_1) | instid1(VALU_DEP_1)
	v_cmp_gt_i32_e64 s3, 0, v1
	s_wait_alu 0xf1ff
	v_cndmask_b32_e64 v1, v1, v63, s3
	s_delay_alu instid0(VALU_DEP_1)
	v_lshlrev_b32_e32 v1, 2, v1
	ds_bpermute_b32 v15, v1, v5
	s_and_saveexec_b32 s3, vcc_lo
	s_cbranch_execz .LBB2746_122
; %bb.84:
	v_mov_b32_e32 v4, 0
	ds_load_b64 v[1:2], v4 offset:56
	s_and_saveexec_b32 s6, s1
	s_cbranch_execz .LBB2746_86
; %bb.85:
	s_add_co_i32 s8, s18, 32
	s_mov_b32 s9, 0
	s_wait_alu 0xfffe
	s_lshl_b64 s[8:9], s[8:9], 4
	s_wait_alu 0xfffe
	s_add_nc_u64 s[8:9], s[12:13], s[8:9]
	v_mov_b32_e32 v3, 1
	s_wait_alu 0xfffe
	v_dual_mov_b32 v5, s8 :: v_dual_mov_b32 v6, s9
	s_wait_dscnt 0x0
	;;#ASMSTART
	global_store_b128 v[5:6], v[1:4] off scope:SCOPE_DEV	
s_wait_storecnt 0x0
	;;#ASMEND
.LBB2746_86:
	s_or_b32 exec_lo, exec_lo, s6
	v_xad_u32 v11, v63, -1, s18
	s_mov_b32 s6, exec_lo
	s_delay_alu instid0(VALU_DEP_1) | instskip(NEXT) | instid1(VALU_DEP_1)
	v_add_nc_u32_e32 v3, 32, v11
	v_lshlrev_b64_e32 v[3:4], 4, v[3:4]
	s_delay_alu instid0(VALU_DEP_1) | instskip(SKIP_1) | instid1(VALU_DEP_2)
	v_add_co_u32 v3, vcc_lo, s12, v3
	s_wait_alu 0xfffd
	v_add_co_ci_u32_e64 v4, null, s13, v4, vcc_lo
	;;#ASMSTART
	global_load_b128 v[5:8], v[3:4] off scope:SCOPE_DEV	
s_wait_loadcnt 0x0
	;;#ASMEND
	v_and_b32_e32 v8, 0xff, v7
	s_delay_alu instid0(VALU_DEP_1)
	v_cmpx_eq_u16_e32 0, v8
	s_cbranch_execz .LBB2746_89
.LBB2746_87:                            ; =>This Inner Loop Header: Depth=1
	;;#ASMSTART
	global_load_b128 v[5:8], v[3:4] off scope:SCOPE_DEV	
s_wait_loadcnt 0x0
	;;#ASMEND
	v_and_b32_e32 v8, 0xff, v7
	s_delay_alu instid0(VALU_DEP_1) | instskip(SKIP_1) | instid1(SALU_CYCLE_1)
	v_cmp_ne_u16_e32 vcc_lo, 0, v8
	s_or_b32 s7, vcc_lo, s7
	s_and_not1_b32 exec_lo, exec_lo, s7
	s_cbranch_execnz .LBB2746_87
; %bb.88:
	s_or_b32 exec_lo, exec_lo, s7
.LBB2746_89:
	s_delay_alu instid0(SALU_CYCLE_1)
	s_or_b32 exec_lo, exec_lo, s6
	v_cmp_ne_u32_e32 vcc_lo, 31, v63
	v_and_b32_e32 v4, 0xff, v7
	v_lshlrev_b32_e64 v17, v63, -1
	s_mov_b32 s6, exec_lo
	s_wait_alu 0xfffd
	v_add_co_ci_u32_e64 v3, null, 0, v63, vcc_lo
	v_cmp_eq_u16_e32 vcc_lo, 2, v4
	v_mov_b32_e32 v4, v5
	s_delay_alu instid0(VALU_DEP_3)
	v_lshlrev_b32_e32 v16, 2, v3
	s_wait_alu 0xfffd
	v_and_or_b32 v3, vcc_lo, v17, 0x80000000
	ds_bpermute_b32 v12, v16, v5
	ds_bpermute_b32 v8, v16, v6
	v_ctz_i32_b32_e32 v3, v3
	s_delay_alu instid0(VALU_DEP_1)
	v_cmpx_lt_u32_e64 v63, v3
	s_cbranch_execz .LBB2746_91
; %bb.90:
	s_wait_dscnt 0x1
	v_add_co_u32 v4, vcc_lo, v5, v12
	s_wait_alu 0xfffd
	v_add_co_ci_u32_e64 v6, null, 0, v6, vcc_lo
	s_delay_alu instid0(VALU_DEP_2) | instskip(SKIP_2) | instid1(VALU_DEP_2)
	v_add_co_u32 v5, vcc_lo, 0, v4
	s_wait_dscnt 0x0
	s_wait_alu 0xfffd
	v_add_co_ci_u32_e64 v6, null, v8, v6, vcc_lo
.LBB2746_91:
	s_or_b32 exec_lo, exec_lo, s6
	v_cmp_gt_u32_e32 vcc_lo, 30, v63
	v_add_nc_u32_e32 v19, 2, v63
	s_mov_b32 s6, exec_lo
	s_wait_dscnt 0x0
	s_wait_alu 0xfffd
	v_cndmask_b32_e64 v8, 0, 2, vcc_lo
	s_delay_alu instid0(VALU_DEP_1)
	v_add_lshl_u32 v18, v8, v63, 2
	ds_bpermute_b32 v12, v18, v4
	ds_bpermute_b32 v8, v18, v6
	v_cmpx_le_u32_e64 v19, v3
	s_cbranch_execz .LBB2746_93
; %bb.92:
	s_wait_dscnt 0x1
	v_add_co_u32 v4, vcc_lo, v5, v12
	s_wait_alu 0xfffd
	v_add_co_ci_u32_e64 v6, null, 0, v6, vcc_lo
	s_delay_alu instid0(VALU_DEP_2) | instskip(SKIP_2) | instid1(VALU_DEP_2)
	v_add_co_u32 v5, vcc_lo, 0, v4
	s_wait_dscnt 0x0
	s_wait_alu 0xfffd
	v_add_co_ci_u32_e64 v6, null, v8, v6, vcc_lo
.LBB2746_93:
	s_or_b32 exec_lo, exec_lo, s6
	v_cmp_gt_u32_e32 vcc_lo, 28, v63
	v_add_nc_u32_e32 v21, 4, v63
	s_mov_b32 s6, exec_lo
	s_wait_dscnt 0x0
	s_wait_alu 0xfffd
	v_cndmask_b32_e64 v8, 0, 4, vcc_lo
	s_delay_alu instid0(VALU_DEP_1)
	v_add_lshl_u32 v20, v8, v63, 2
	ds_bpermute_b32 v12, v20, v4
	ds_bpermute_b32 v8, v20, v6
	v_cmpx_le_u32_e64 v21, v3
	;; [unrolled: 24-line block ×3, first 2 shown]
	s_cbranch_execz .LBB2746_97
; %bb.96:
	s_wait_dscnt 0x1
	v_add_co_u32 v4, vcc_lo, v5, v12
	s_wait_alu 0xfffd
	v_add_co_ci_u32_e64 v6, null, 0, v6, vcc_lo
	s_delay_alu instid0(VALU_DEP_2) | instskip(SKIP_2) | instid1(VALU_DEP_2)
	v_add_co_u32 v5, vcc_lo, 0, v4
	s_wait_dscnt 0x0
	s_wait_alu 0xfffd
	v_add_co_ci_u32_e64 v6, null, v8, v6, vcc_lo
.LBB2746_97:
	s_or_b32 exec_lo, exec_lo, s6
	v_lshl_or_b32 v24, v63, 2, 64
	v_add_nc_u32_e32 v25, 16, v63
	s_mov_b32 s6, exec_lo
	s_wait_dscnt 0x0
	ds_bpermute_b32 v8, v24, v4
	ds_bpermute_b32 v4, v24, v6
	v_cmpx_le_u32_e64 v25, v3
	s_cbranch_execz .LBB2746_99
; %bb.98:
	s_wait_dscnt 0x1
	v_add_co_u32 v3, vcc_lo, v5, v8
	s_wait_alu 0xfffd
	v_add_co_ci_u32_e64 v6, null, 0, v6, vcc_lo
	s_delay_alu instid0(VALU_DEP_2) | instskip(SKIP_2) | instid1(VALU_DEP_2)
	v_add_co_u32 v5, vcc_lo, v3, 0
	s_wait_dscnt 0x0
	s_wait_alu 0xfffd
	v_add_co_ci_u32_e64 v6, null, v6, v4, vcc_lo
.LBB2746_99:
	s_or_b32 exec_lo, exec_lo, s6
	v_mov_b32_e32 v12, 0
	s_branch .LBB2746_102
.LBB2746_100:                           ;   in Loop: Header=BB2746_102 Depth=1
	s_or_b32 exec_lo, exec_lo, s6
	v_add_co_u32 v5, vcc_lo, v5, v3
	v_subrev_nc_u32_e32 v11, 32, v11
	s_wait_alu 0xfffd
	v_add_co_ci_u32_e64 v6, null, v6, v4, vcc_lo
	s_mov_b32 s6, 0
.LBB2746_101:                           ;   in Loop: Header=BB2746_102 Depth=1
	s_delay_alu instid0(SALU_CYCLE_1)
	s_and_b32 vcc_lo, exec_lo, s6
	s_wait_alu 0xfffe
	s_cbranch_vccnz .LBB2746_118
.LBB2746_102:                           ; =>This Loop Header: Depth=1
                                        ;     Child Loop BB2746_105 Depth 2
	v_and_b32_e32 v3, 0xff, v7
	s_mov_b32 s6, -1
	s_delay_alu instid0(VALU_DEP_1)
	v_cmp_ne_u16_e32 vcc_lo, 2, v3
	s_wait_dscnt 0x0
	v_dual_mov_b32 v3, v5 :: v_dual_mov_b32 v4, v6
                                        ; implicit-def: $vgpr5_vgpr6
	s_cmp_lg_u32 vcc_lo, exec_lo
	s_cbranch_scc1 .LBB2746_101
; %bb.103:                              ;   in Loop: Header=BB2746_102 Depth=1
	v_lshlrev_b64_e32 v[5:6], 4, v[11:12]
	s_mov_b32 s6, exec_lo
	s_delay_alu instid0(VALU_DEP_1) | instskip(SKIP_1) | instid1(VALU_DEP_2)
	v_add_co_u32 v13, vcc_lo, s12, v5
	s_wait_alu 0xfffd
	v_add_co_ci_u32_e64 v14, null, s13, v6, vcc_lo
	;;#ASMSTART
	global_load_b128 v[5:8], v[13:14] off scope:SCOPE_DEV	
s_wait_loadcnt 0x0
	;;#ASMEND
	v_and_b32_e32 v8, 0xff, v7
	s_delay_alu instid0(VALU_DEP_1)
	v_cmpx_eq_u16_e32 0, v8
	s_cbranch_execz .LBB2746_107
; %bb.104:                              ;   in Loop: Header=BB2746_102 Depth=1
	s_mov_b32 s7, 0
.LBB2746_105:                           ;   Parent Loop BB2746_102 Depth=1
                                        ; =>  This Inner Loop Header: Depth=2
	;;#ASMSTART
	global_load_b128 v[5:8], v[13:14] off scope:SCOPE_DEV	
s_wait_loadcnt 0x0
	;;#ASMEND
	v_and_b32_e32 v8, 0xff, v7
	s_delay_alu instid0(VALU_DEP_1) | instskip(SKIP_1) | instid1(SALU_CYCLE_1)
	v_cmp_ne_u16_e32 vcc_lo, 0, v8
	s_or_b32 s7, vcc_lo, s7
	s_and_not1_b32 exec_lo, exec_lo, s7
	s_cbranch_execnz .LBB2746_105
; %bb.106:                              ;   in Loop: Header=BB2746_102 Depth=1
	s_or_b32 exec_lo, exec_lo, s7
.LBB2746_107:                           ;   in Loop: Header=BB2746_102 Depth=1
	s_delay_alu instid0(SALU_CYCLE_1)
	s_or_b32 exec_lo, exec_lo, s6
	v_dual_mov_b32 v13, v5 :: v_dual_and_b32 v8, 0xff, v7
	ds_bpermute_b32 v26, v16, v5
	ds_bpermute_b32 v14, v16, v6
	s_mov_b32 s6, exec_lo
	v_cmp_eq_u16_e32 vcc_lo, 2, v8
	s_wait_alu 0xfffd
	v_and_or_b32 v8, vcc_lo, v17, 0x80000000
	s_delay_alu instid0(VALU_DEP_1) | instskip(NEXT) | instid1(VALU_DEP_1)
	v_ctz_i32_b32_e32 v8, v8
	v_cmpx_lt_u32_e64 v63, v8
	s_cbranch_execz .LBB2746_109
; %bb.108:                              ;   in Loop: Header=BB2746_102 Depth=1
	s_wait_dscnt 0x1
	v_add_co_u32 v13, vcc_lo, v5, v26
	s_wait_alu 0xfffd
	v_add_co_ci_u32_e64 v6, null, 0, v6, vcc_lo
	s_delay_alu instid0(VALU_DEP_2) | instskip(SKIP_2) | instid1(VALU_DEP_2)
	v_add_co_u32 v5, vcc_lo, 0, v13
	s_wait_dscnt 0x0
	s_wait_alu 0xfffd
	v_add_co_ci_u32_e64 v6, null, v14, v6, vcc_lo
.LBB2746_109:                           ;   in Loop: Header=BB2746_102 Depth=1
	s_or_b32 exec_lo, exec_lo, s6
	s_wait_dscnt 0x1
	ds_bpermute_b32 v26, v18, v13
	s_wait_dscnt 0x1
	ds_bpermute_b32 v14, v18, v6
	s_mov_b32 s6, exec_lo
	v_cmpx_le_u32_e64 v19, v8
	s_cbranch_execz .LBB2746_111
; %bb.110:                              ;   in Loop: Header=BB2746_102 Depth=1
	s_wait_dscnt 0x1
	v_add_co_u32 v13, vcc_lo, v5, v26
	s_wait_alu 0xfffd
	v_add_co_ci_u32_e64 v6, null, 0, v6, vcc_lo
	s_delay_alu instid0(VALU_DEP_2) | instskip(SKIP_2) | instid1(VALU_DEP_2)
	v_add_co_u32 v5, vcc_lo, 0, v13
	s_wait_dscnt 0x0
	s_wait_alu 0xfffd
	v_add_co_ci_u32_e64 v6, null, v14, v6, vcc_lo
.LBB2746_111:                           ;   in Loop: Header=BB2746_102 Depth=1
	s_or_b32 exec_lo, exec_lo, s6
	s_wait_dscnt 0x1
	ds_bpermute_b32 v26, v20, v13
	s_wait_dscnt 0x1
	ds_bpermute_b32 v14, v20, v6
	s_mov_b32 s6, exec_lo
	v_cmpx_le_u32_e64 v21, v8
	;; [unrolled: 19-line block ×3, first 2 shown]
	s_cbranch_execz .LBB2746_115
; %bb.114:                              ;   in Loop: Header=BB2746_102 Depth=1
	s_wait_dscnt 0x1
	v_add_co_u32 v13, vcc_lo, v5, v26
	s_wait_alu 0xfffd
	v_add_co_ci_u32_e64 v6, null, 0, v6, vcc_lo
	s_delay_alu instid0(VALU_DEP_2) | instskip(SKIP_2) | instid1(VALU_DEP_2)
	v_add_co_u32 v5, vcc_lo, 0, v13
	s_wait_dscnt 0x0
	s_wait_alu 0xfffd
	v_add_co_ci_u32_e64 v6, null, v14, v6, vcc_lo
.LBB2746_115:                           ;   in Loop: Header=BB2746_102 Depth=1
	s_or_b32 exec_lo, exec_lo, s6
	s_wait_dscnt 0x0
	ds_bpermute_b32 v14, v24, v13
	ds_bpermute_b32 v13, v24, v6
	s_mov_b32 s6, exec_lo
	v_cmpx_le_u32_e64 v25, v8
	s_cbranch_execz .LBB2746_100
; %bb.116:                              ;   in Loop: Header=BB2746_102 Depth=1
	s_wait_dscnt 0x1
	v_add_co_u32 v5, vcc_lo, v5, v14
	s_wait_alu 0xfffd
	v_add_co_ci_u32_e64 v6, null, 0, v6, vcc_lo
	s_delay_alu instid0(VALU_DEP_2) | instskip(SKIP_2) | instid1(VALU_DEP_2)
	v_add_co_u32 v5, vcc_lo, v5, 0
	s_wait_dscnt 0x0
	s_wait_alu 0xfffd
	v_add_co_ci_u32_e64 v6, null, v6, v13, vcc_lo
	s_branch .LBB2746_100
.LBB2746_117:
                                        ; implicit-def: $vgpr39_vgpr40
                                        ; implicit-def: $vgpr1_vgpr2_vgpr3_vgpr4_vgpr5_vgpr6_vgpr7_vgpr8_vgpr9_vgpr10_vgpr11_vgpr12_vgpr13_vgpr14_vgpr15_vgpr16_vgpr17_vgpr18_vgpr19_vgpr20_vgpr21_vgpr22_vgpr23_vgpr24_vgpr25_vgpr26_vgpr27_vgpr28_vgpr29_vgpr30_vgpr31_vgpr32
	s_and_b32 vcc_lo, exec_lo, s1
	s_wait_alu 0xfffe
	s_cbranch_vccnz .LBB2746_123
	s_branch .LBB2746_148
.LBB2746_118:
	s_and_saveexec_b32 s6, s1
	s_cbranch_execz .LBB2746_120
; %bb.119:
	s_add_co_i32 s8, s18, 32
	s_mov_b32 s9, 0
	v_add_co_u32 v5, vcc_lo, v3, v1
	s_wait_alu 0xfffe
	s_lshl_b64 s[8:9], s[8:9], 4
	v_dual_mov_b32 v7, 2 :: v_dual_mov_b32 v8, 0
	s_wait_alu 0xfffe
	s_add_nc_u64 s[8:9], s[12:13], s[8:9]
	s_wait_alu 0xfffd
	v_add_co_ci_u32_e64 v6, null, v4, v2, vcc_lo
	s_wait_alu 0xfffe
	v_dual_mov_b32 v12, s9 :: v_dual_mov_b32 v11, s8
	;;#ASMSTART
	global_store_b128 v[11:12], v[5:8] off scope:SCOPE_DEV	
s_wait_storecnt 0x0
	;;#ASMEND
	ds_store_b128 v8, v[1:4] offset:6144
.LBB2746_120:
	s_or_b32 exec_lo, exec_lo, s6
	s_delay_alu instid0(SALU_CYCLE_1)
	s_and_b32 exec_lo, exec_lo, s2
; %bb.121:
	v_mov_b32_e32 v1, 0
	ds_store_b64 v1, v[3:4] offset:56
.LBB2746_122:
	s_wait_alu 0xfffe
	s_or_b32 exec_lo, exec_lo, s3
	v_mov_b32_e32 v4, 0
	s_wait_loadcnt_dscnt 0x0
	s_barrier_signal -1
	s_barrier_wait -1
	global_inv scope:SCOPE_SE
	ds_load_b64 v[1:2], v4 offset:56
	v_cndmask_b32_e64 v3, v15, v9, s1
	v_cndmask_b32_e64 v5, 0, v10, s1
	s_wait_loadcnt_dscnt 0x0
	s_barrier_signal -1
	s_barrier_wait -1
	v_cndmask_b32_e64 v3, v3, 0, s2
	v_cndmask_b32_e64 v5, v5, 0, s2
	global_inv scope:SCOPE_SE
	ds_load_b128 v[37:40], v4 offset:6144
	v_add_co_u32 v1, vcc_lo, v1, v3
	s_wait_alu 0xfffd
	v_add_co_ci_u32_e64 v2, null, v2, v5, vcc_lo
	s_delay_alu instid0(VALU_DEP_2) | instskip(SKIP_1) | instid1(VALU_DEP_2)
	v_add_co_u32 v3, vcc_lo, v1, v55
	s_wait_alu 0xfffd
	v_add_co_ci_u32_e64 v2, null, 0, v2, vcc_lo
	s_delay_alu instid0(VALU_DEP_2) | instskip(SKIP_1) | instid1(VALU_DEP_2)
	;; [unrolled: 4-line block ×11, first 2 shown]
	v_add_co_u32 v23, vcc_lo, v21, v57
	s_wait_alu 0xfffd
	v_add_co_ci_u32_e64 v2, null, 0, v2, vcc_lo
	s_branch .LBB2746_148
.LBB2746_123:
	v_dual_mov_b32 v2, 0 :: v_dual_mov_b32 v3, v47
	v_mov_b32_dpp v4, v47 row_shr:1 row_mask:0xf bank_mask:0xf
	s_delay_alu instid0(VALU_DEP_2)
	v_mov_b32_dpp v1, v2 row_shr:1 row_mask:0xf bank_mask:0xf
	s_and_saveexec_b32 s1, s0
; %bb.124:
	s_delay_alu instid0(VALU_DEP_2) | instskip(SKIP_2) | instid1(VALU_DEP_2)
	v_add_co_u32 v3, vcc_lo, v47, v4
	s_wait_alu 0xfffd
	v_add_co_ci_u32_e64 v2, null, 0, v48, vcc_lo
	v_add_co_u32 v47, vcc_lo, 0, v3
	s_wait_alu 0xfffd
	s_delay_alu instid0(VALU_DEP_2) | instskip(NEXT) | instid1(VALU_DEP_1)
	v_add_co_ci_u32_e64 v48, null, v1, v2, vcc_lo
	v_mov_b32_e32 v2, v48
; %bb.125:
	s_wait_alu 0xfffe
	s_or_b32 exec_lo, exec_lo, s1
	v_mov_b32_dpp v1, v3 row_shr:2 row_mask:0xf bank_mask:0xf
	s_delay_alu instid0(VALU_DEP_2)
	v_mov_b32_dpp v4, v2 row_shr:2 row_mask:0xf bank_mask:0xf
	s_mov_b32 s0, exec_lo
	v_cmpx_lt_u32_e32 1, v64
; %bb.126:
	s_delay_alu instid0(VALU_DEP_3) | instskip(SKIP_2) | instid1(VALU_DEP_2)
	v_add_co_u32 v3, vcc_lo, v47, v1
	s_wait_alu 0xfffd
	v_add_co_ci_u32_e64 v2, null, 0, v48, vcc_lo
	v_add_co_u32 v1, vcc_lo, 0, v3
	s_wait_alu 0xfffd
	s_delay_alu instid0(VALU_DEP_2) | instskip(NEXT) | instid1(VALU_DEP_1)
	v_add_co_ci_u32_e64 v2, null, v4, v2, vcc_lo
	v_dual_mov_b32 v48, v2 :: v_dual_mov_b32 v47, v1
; %bb.127:
	s_wait_alu 0xfffe
	s_or_b32 exec_lo, exec_lo, s0
	v_mov_b32_dpp v1, v3 row_shr:4 row_mask:0xf bank_mask:0xf
	v_mov_b32_dpp v4, v2 row_shr:4 row_mask:0xf bank_mask:0xf
	s_mov_b32 s0, exec_lo
	v_cmpx_lt_u32_e32 3, v64
; %bb.128:
	s_delay_alu instid0(VALU_DEP_3) | instskip(SKIP_2) | instid1(VALU_DEP_2)
	v_add_co_u32 v3, vcc_lo, v47, v1
	s_wait_alu 0xfffd
	v_add_co_ci_u32_e64 v2, null, 0, v48, vcc_lo
	v_add_co_u32 v1, vcc_lo, 0, v3
	s_wait_alu 0xfffd
	s_delay_alu instid0(VALU_DEP_2) | instskip(NEXT) | instid1(VALU_DEP_1)
	v_add_co_ci_u32_e64 v2, null, v4, v2, vcc_lo
	v_dual_mov_b32 v48, v2 :: v_dual_mov_b32 v47, v1
; %bb.129:
	s_wait_alu 0xfffe
	s_or_b32 exec_lo, exec_lo, s0
	v_mov_b32_dpp v4, v3 row_shr:8 row_mask:0xf bank_mask:0xf
	v_mov_b32_dpp v1, v2 row_shr:8 row_mask:0xf bank_mask:0xf
	s_mov_b32 s0, exec_lo
	v_cmpx_lt_u32_e32 7, v64
; %bb.130:
	s_delay_alu instid0(VALU_DEP_3) | instskip(SKIP_2) | instid1(VALU_DEP_2)
	v_add_co_u32 v3, vcc_lo, v47, v4
	s_wait_alu 0xfffd
	v_add_co_ci_u32_e64 v2, null, 0, v48, vcc_lo
	v_add_co_u32 v47, vcc_lo, 0, v3
	s_wait_alu 0xfffd
	s_delay_alu instid0(VALU_DEP_2) | instskip(NEXT) | instid1(VALU_DEP_1)
	v_add_co_ci_u32_e64 v48, null, v1, v2, vcc_lo
	v_mov_b32_e32 v2, v48
; %bb.131:
	s_wait_alu 0xfffe
	s_or_b32 exec_lo, exec_lo, s0
	ds_swizzle_b32 v3, v3 offset:swizzle(BROADCAST,32,15)
	ds_swizzle_b32 v1, v2 offset:swizzle(BROADCAST,32,15)
	v_and_b32_e32 v2, 16, v63
	s_mov_b32 s0, exec_lo
	s_delay_alu instid0(VALU_DEP_1)
	v_cmpx_ne_u32_e32 0, v2
	s_cbranch_execz .LBB2746_133
; %bb.132:
	s_wait_dscnt 0x1
	v_add_co_u32 v2, vcc_lo, v47, v3
	s_wait_alu 0xfffd
	v_add_co_ci_u32_e64 v3, null, 0, v48, vcc_lo
	s_delay_alu instid0(VALU_DEP_2) | instskip(SKIP_2) | instid1(VALU_DEP_2)
	v_add_co_u32 v47, vcc_lo, v2, 0
	s_wait_dscnt 0x0
	s_wait_alu 0xfffd
	v_add_co_ci_u32_e64 v48, null, v3, v1, vcc_lo
.LBB2746_133:
	s_wait_alu 0xfffe
	s_or_b32 exec_lo, exec_lo, s0
	s_wait_dscnt 0x0
	v_or_b32_e32 v1, 31, v0
	v_lshrrev_b32_e32 v3, 5, v0
	s_mov_b32 s0, exec_lo
	s_delay_alu instid0(VALU_DEP_2)
	v_cmpx_eq_u32_e64 v0, v1
; %bb.134:
	s_delay_alu instid0(VALU_DEP_2)
	v_lshlrev_b32_e32 v1, 3, v3
	ds_store_b64 v1, v[47:48]
; %bb.135:
	s_wait_alu 0xfffe
	s_or_b32 exec_lo, exec_lo, s0
	s_delay_alu instid0(SALU_CYCLE_1)
	s_mov_b32 s0, exec_lo
	s_wait_loadcnt_dscnt 0x0
	s_barrier_signal -1
	s_barrier_wait -1
	global_inv scope:SCOPE_SE
	v_cmpx_gt_u32_e32 8, v0
	s_cbranch_execz .LBB2746_143
; %bb.136:
	v_lshlrev_b32_e32 v4, 2, v0
	s_mov_b32 s1, exec_lo
	s_delay_alu instid0(VALU_DEP_1)
	v_sub_nc_u32_e32 v1, v49, v4
	ds_load_b64 v[1:2], v1
	s_wait_dscnt 0x0
	v_dual_mov_b32 v6, v1 :: v_dual_and_b32 v5, 7, v63
	v_mov_b32_dpp v8, v1 row_shr:1 row_mask:0xf bank_mask:0xf
	v_mov_b32_dpp v7, v2 row_shr:1 row_mask:0xf bank_mask:0xf
	s_delay_alu instid0(VALU_DEP_3)
	v_cmpx_ne_u32_e32 0, v5
; %bb.137:
	s_delay_alu instid0(VALU_DEP_3) | instskip(SKIP_2) | instid1(VALU_DEP_2)
	v_add_co_u32 v6, vcc_lo, v1, v8
	s_wait_alu 0xfffd
	v_add_co_ci_u32_e64 v2, null, 0, v2, vcc_lo
	v_add_co_u32 v1, vcc_lo, 0, v6
	s_wait_alu 0xfffd
	s_delay_alu instid0(VALU_DEP_2)
	v_add_co_ci_u32_e64 v2, null, v7, v2, vcc_lo
; %bb.138:
	s_wait_alu 0xfffe
	s_or_b32 exec_lo, exec_lo, s1
	v_mov_b32_dpp v8, v6 row_shr:2 row_mask:0xf bank_mask:0xf
	s_delay_alu instid0(VALU_DEP_2)
	v_mov_b32_dpp v7, v2 row_shr:2 row_mask:0xf bank_mask:0xf
	s_mov_b32 s1, exec_lo
	v_cmpx_lt_u32_e32 1, v5
; %bb.139:
	s_delay_alu instid0(VALU_DEP_3) | instskip(SKIP_2) | instid1(VALU_DEP_2)
	v_add_co_u32 v6, vcc_lo, v1, v8
	s_wait_alu 0xfffd
	v_add_co_ci_u32_e64 v2, null, 0, v2, vcc_lo
	v_add_co_u32 v1, vcc_lo, 0, v6
	s_wait_alu 0xfffd
	s_delay_alu instid0(VALU_DEP_2)
	v_add_co_ci_u32_e64 v2, null, v7, v2, vcc_lo
; %bb.140:
	s_wait_alu 0xfffe
	s_or_b32 exec_lo, exec_lo, s1
	v_sub_nc_u32_e32 v4, 0, v4
	v_mov_b32_dpp v7, v6 row_shr:4 row_mask:0xf bank_mask:0xf
	v_mov_b32_dpp v6, v2 row_shr:4 row_mask:0xf bank_mask:0xf
	s_mov_b32 s1, exec_lo
	v_cmpx_lt_u32_e32 3, v5
; %bb.141:
	s_delay_alu instid0(VALU_DEP_3) | instskip(SKIP_2) | instid1(VALU_DEP_2)
	v_add_co_u32 v1, vcc_lo, v1, v7
	s_wait_alu 0xfffd
	v_add_co_ci_u32_e64 v2, null, 0, v2, vcc_lo
	v_add_co_u32 v1, vcc_lo, v1, 0
	s_wait_alu 0xfffd
	s_delay_alu instid0(VALU_DEP_2)
	v_add_co_ci_u32_e64 v2, null, v2, v6, vcc_lo
; %bb.142:
	s_wait_alu 0xfffe
	s_or_b32 exec_lo, exec_lo, s1
	v_add_nc_u32_e32 v4, v49, v4
	ds_store_b64 v4, v[1:2]
.LBB2746_143:
	s_wait_alu 0xfffe
	s_or_b32 exec_lo, exec_lo, s0
	v_mov_b32_e32 v1, 0
	v_mov_b32_e32 v2, 0
	s_mov_b32 s0, exec_lo
	s_wait_loadcnt_dscnt 0x0
	s_barrier_signal -1
	s_barrier_wait -1
	global_inv scope:SCOPE_SE
	v_cmpx_lt_u32_e32 31, v0
; %bb.144:
	v_lshl_add_u32 v0, v3, 3, -8
	ds_load_b64 v[1:2], v0
; %bb.145:
	s_wait_alu 0xfffe
	s_or_b32 exec_lo, exec_lo, s0
	v_sub_co_u32 v0, vcc_lo, v63, 1
	s_wait_dscnt 0x0
	v_dual_mov_b32 v40, 0 :: v_dual_add_nc_u32 v3, v1, v47
	s_delay_alu instid0(VALU_DEP_2) | instskip(SKIP_3) | instid1(VALU_DEP_1)
	v_cmp_gt_i32_e64 s0, 0, v0
	ds_load_b64 v[37:38], v40 offset:56
	s_wait_alu 0xf1ff
	v_cndmask_b32_e64 v0, v0, v63, s0
	v_lshlrev_b32_e32 v0, 2, v0
	ds_bpermute_b32 v0, v0, v3
	s_and_saveexec_b32 s0, s2
	s_cbranch_execz .LBB2746_147
; %bb.146:
	s_add_nc_u64 s[6:7], s[12:13], 0x200
	v_mov_b32_e32 v39, 2
	v_dual_mov_b32 v3, s6 :: v_dual_mov_b32 v4, s7
	s_wait_dscnt 0x1
	;;#ASMSTART
	global_store_b128 v[3:4], v[37:40] off scope:SCOPE_DEV	
s_wait_storecnt 0x0
	;;#ASMEND
.LBB2746_147:
	s_wait_alu 0xfffe
	s_or_b32 exec_lo, exec_lo, s0
	s_wait_dscnt 0x0
	s_wait_alu 0xfffd
	v_dual_cndmask_b32 v0, v0, v1 :: v_dual_mov_b32 v39, 0
	v_cndmask_b32_e32 v2, 0, v2, vcc_lo
	v_mov_b32_e32 v40, 0
	s_wait_loadcnt 0x0
	s_delay_alu instid0(VALU_DEP_3)
	v_cndmask_b32_e64 v1, v0, 0, s2
	s_barrier_signal -1
	v_cndmask_b32_e64 v0, v2, 0, s2
	s_barrier_wait -1
	global_inv scope:SCOPE_SE
	v_add_co_u32 v3, vcc_lo, v1, v55
	s_wait_alu 0xfffd
	v_add_co_ci_u32_e64 v0, null, 0, v0, vcc_lo
	s_delay_alu instid0(VALU_DEP_2) | instskip(SKIP_1) | instid1(VALU_DEP_2)
	v_add_co_u32 v5, vcc_lo, v3, v56
	s_wait_alu 0xfffd
	v_add_co_ci_u32_e64 v0, null, 0, v0, vcc_lo
	s_delay_alu instid0(VALU_DEP_2) | instskip(SKIP_1) | instid1(VALU_DEP_2)
	;; [unrolled: 4-line block ×10, first 2 shown]
	v_add_co_u32 v23, vcc_lo, v21, v57
	s_wait_alu 0xfffd
	v_add_co_ci_u32_e64 v0, null, 0, v0, vcc_lo
.LBB2746_148:
	s_wait_dscnt 0x0
	v_cmp_gt_u64_e32 vcc_lo, 0x101, v[37:38]
	v_lshrrev_b32_e32 v10, 8, v45
	v_lshrrev_b32_e32 v8, 16, v45
	v_lshrrev_b32_e32 v6, 8, v46
	v_lshrrev_b32_e32 v4, 16, v46
	v_lshrrev_b32_e32 v0, 16, v50
	v_lshrrev_b32_e32 v2, 8, v50
	s_cbranch_vccz .LBB2746_151
; %bb.149:
	s_and_b32 s0, s2, s16
	s_wait_alu 0xfffe
	s_and_saveexec_b32 s1, s0
	s_cbranch_execnz .LBB2746_176
.LBB2746_150:
	s_endpgm
.LBB2746_151:
	v_and_b32_e32 v12, 1, v45
	s_mov_b32 s0, exec_lo
	s_delay_alu instid0(VALU_DEP_1)
	v_cmpx_eq_u32_e32 1, v12
; %bb.152:
	v_sub_nc_u32_e32 v1, v1, v39
	s_delay_alu instid0(VALU_DEP_1)
	v_lshlrev_b32_e32 v1, 1, v1
	ds_store_b16 v1, v33
; %bb.153:
	s_wait_alu 0xfffe
	s_or_b32 exec_lo, exec_lo, s0
	v_and_b32_e32 v1, 1, v10
	s_mov_b32 s0, exec_lo
	s_delay_alu instid0(VALU_DEP_1)
	v_cmpx_eq_u32_e32 1, v1
; %bb.154:
	v_sub_nc_u32_e32 v1, v3, v39
	s_delay_alu instid0(VALU_DEP_1)
	v_lshlrev_b32_e32 v1, 1, v1
	ds_store_b16_d16_hi v1, v33
; %bb.155:
	s_wait_alu 0xfffe
	s_or_b32 exec_lo, exec_lo, s0
	v_and_b32_e32 v1, 1, v8
	s_mov_b32 s0, exec_lo
	s_delay_alu instid0(VALU_DEP_1)
	v_cmpx_eq_u32_e32 1, v1
; %bb.156:
	v_sub_nc_u32_e32 v1, v5, v39
	s_delay_alu instid0(VALU_DEP_1)
	v_lshlrev_b32_e32 v1, 1, v1
	ds_store_b16 v1, v34
; %bb.157:
	s_wait_alu 0xfffe
	s_or_b32 exec_lo, exec_lo, s0
	v_and_b32_e32 v1, 1, v53
	s_mov_b32 s0, exec_lo
	s_delay_alu instid0(VALU_DEP_1)
	v_cmpx_eq_u32_e32 1, v1
; %bb.158:
	v_sub_nc_u32_e32 v1, v7, v39
	s_delay_alu instid0(VALU_DEP_1)
	v_lshlrev_b32_e32 v1, 1, v1
	ds_store_b16_d16_hi v1, v34
; %bb.159:
	s_wait_alu 0xfffe
	s_or_b32 exec_lo, exec_lo, s0
	;; [unrolled: 24-line block ×6, first 2 shown]
	s_wait_loadcnt_dscnt 0x0
	s_barrier_signal -1
	s_barrier_wait -1
	global_inv scope:SCOPE_SE
	s_and_b32 s0, s2, s16
	s_wait_alu 0xfffe
	s_and_saveexec_b32 s1, s0
	s_cbranch_execz .LBB2746_150
.LBB2746_176:
	v_add_co_u32 v0, vcc_lo, v37, v41
	s_wait_alu 0xfffd
	v_add_co_ci_u32_e64 v1, null, v38, v42, vcc_lo
	v_mov_b32_e32 v2, 0
	s_delay_alu instid0(VALU_DEP_3) | instskip(SKIP_1) | instid1(VALU_DEP_3)
	v_add_co_u32 v0, vcc_lo, v0, v39
	s_wait_alu 0xfffd
	v_add_co_ci_u32_e64 v1, null, v1, v40, vcc_lo
	global_store_b64 v2, v[0:1], s[4:5]
	s_endpgm
	.section	.rodata,"a",@progbits
	.p2align	6, 0x0
	.amdhsa_kernel _ZN7rocprim17ROCPRIM_400000_NS6detail17trampoline_kernelINS0_14default_configENS1_25partition_config_selectorILNS1_17partition_subalgoE5EtNS0_10empty_typeEbEEZZNS1_14partition_implILS5_5ELb0ES3_mN6thrust23THRUST_200600_302600_NS6detail15normal_iteratorINSA_10device_ptrItEEEEPS6_NSA_18transform_iteratorINSB_9not_fun_tI7is_trueItEEENSC_INSD_IbEEEENSA_11use_defaultESO_EENS0_5tupleIJNSA_16discard_iteratorISO_EES6_EEENSQ_IJSG_SG_EEES6_PlJS6_EEE10hipError_tPvRmT3_T4_T5_T6_T7_T9_mT8_P12ihipStream_tbDpT10_ENKUlT_T0_E_clISt17integral_constantIbLb0EES1E_IbLb1EEEEDaS1A_S1B_EUlS1A_E_NS1_11comp_targetILNS1_3genE10ELNS1_11target_archE1200ELNS1_3gpuE4ELNS1_3repE0EEENS1_30default_config_static_selectorELNS0_4arch9wavefront6targetE0EEEvT1_
		.amdhsa_group_segment_fixed_size 6160
		.amdhsa_private_segment_fixed_size 0
		.amdhsa_kernarg_size 144
		.amdhsa_user_sgpr_count 2
		.amdhsa_user_sgpr_dispatch_ptr 0
		.amdhsa_user_sgpr_queue_ptr 0
		.amdhsa_user_sgpr_kernarg_segment_ptr 1
		.amdhsa_user_sgpr_dispatch_id 0
		.amdhsa_user_sgpr_private_segment_size 0
		.amdhsa_wavefront_size32 1
		.amdhsa_uses_dynamic_stack 0
		.amdhsa_enable_private_segment 0
		.amdhsa_system_sgpr_workgroup_id_x 1
		.amdhsa_system_sgpr_workgroup_id_y 0
		.amdhsa_system_sgpr_workgroup_id_z 0
		.amdhsa_system_sgpr_workgroup_info 0
		.amdhsa_system_vgpr_workitem_id 0
		.amdhsa_next_free_vgpr 65
		.amdhsa_next_free_sgpr 22
		.amdhsa_reserve_vcc 1
		.amdhsa_float_round_mode_32 0
		.amdhsa_float_round_mode_16_64 0
		.amdhsa_float_denorm_mode_32 3
		.amdhsa_float_denorm_mode_16_64 3
		.amdhsa_fp16_overflow 0
		.amdhsa_workgroup_processor_mode 1
		.amdhsa_memory_ordered 1
		.amdhsa_forward_progress 1
		.amdhsa_inst_pref_size 70
		.amdhsa_round_robin_scheduling 0
		.amdhsa_exception_fp_ieee_invalid_op 0
		.amdhsa_exception_fp_denorm_src 0
		.amdhsa_exception_fp_ieee_div_zero 0
		.amdhsa_exception_fp_ieee_overflow 0
		.amdhsa_exception_fp_ieee_underflow 0
		.amdhsa_exception_fp_ieee_inexact 0
		.amdhsa_exception_int_div_zero 0
	.end_amdhsa_kernel
	.section	.text._ZN7rocprim17ROCPRIM_400000_NS6detail17trampoline_kernelINS0_14default_configENS1_25partition_config_selectorILNS1_17partition_subalgoE5EtNS0_10empty_typeEbEEZZNS1_14partition_implILS5_5ELb0ES3_mN6thrust23THRUST_200600_302600_NS6detail15normal_iteratorINSA_10device_ptrItEEEEPS6_NSA_18transform_iteratorINSB_9not_fun_tI7is_trueItEEENSC_INSD_IbEEEENSA_11use_defaultESO_EENS0_5tupleIJNSA_16discard_iteratorISO_EES6_EEENSQ_IJSG_SG_EEES6_PlJS6_EEE10hipError_tPvRmT3_T4_T5_T6_T7_T9_mT8_P12ihipStream_tbDpT10_ENKUlT_T0_E_clISt17integral_constantIbLb0EES1E_IbLb1EEEEDaS1A_S1B_EUlS1A_E_NS1_11comp_targetILNS1_3genE10ELNS1_11target_archE1200ELNS1_3gpuE4ELNS1_3repE0EEENS1_30default_config_static_selectorELNS0_4arch9wavefront6targetE0EEEvT1_,"axG",@progbits,_ZN7rocprim17ROCPRIM_400000_NS6detail17trampoline_kernelINS0_14default_configENS1_25partition_config_selectorILNS1_17partition_subalgoE5EtNS0_10empty_typeEbEEZZNS1_14partition_implILS5_5ELb0ES3_mN6thrust23THRUST_200600_302600_NS6detail15normal_iteratorINSA_10device_ptrItEEEEPS6_NSA_18transform_iteratorINSB_9not_fun_tI7is_trueItEEENSC_INSD_IbEEEENSA_11use_defaultESO_EENS0_5tupleIJNSA_16discard_iteratorISO_EES6_EEENSQ_IJSG_SG_EEES6_PlJS6_EEE10hipError_tPvRmT3_T4_T5_T6_T7_T9_mT8_P12ihipStream_tbDpT10_ENKUlT_T0_E_clISt17integral_constantIbLb0EES1E_IbLb1EEEEDaS1A_S1B_EUlS1A_E_NS1_11comp_targetILNS1_3genE10ELNS1_11target_archE1200ELNS1_3gpuE4ELNS1_3repE0EEENS1_30default_config_static_selectorELNS0_4arch9wavefront6targetE0EEEvT1_,comdat
.Lfunc_end2746:
	.size	_ZN7rocprim17ROCPRIM_400000_NS6detail17trampoline_kernelINS0_14default_configENS1_25partition_config_selectorILNS1_17partition_subalgoE5EtNS0_10empty_typeEbEEZZNS1_14partition_implILS5_5ELb0ES3_mN6thrust23THRUST_200600_302600_NS6detail15normal_iteratorINSA_10device_ptrItEEEEPS6_NSA_18transform_iteratorINSB_9not_fun_tI7is_trueItEEENSC_INSD_IbEEEENSA_11use_defaultESO_EENS0_5tupleIJNSA_16discard_iteratorISO_EES6_EEENSQ_IJSG_SG_EEES6_PlJS6_EEE10hipError_tPvRmT3_T4_T5_T6_T7_T9_mT8_P12ihipStream_tbDpT10_ENKUlT_T0_E_clISt17integral_constantIbLb0EES1E_IbLb1EEEEDaS1A_S1B_EUlS1A_E_NS1_11comp_targetILNS1_3genE10ELNS1_11target_archE1200ELNS1_3gpuE4ELNS1_3repE0EEENS1_30default_config_static_selectorELNS0_4arch9wavefront6targetE0EEEvT1_, .Lfunc_end2746-_ZN7rocprim17ROCPRIM_400000_NS6detail17trampoline_kernelINS0_14default_configENS1_25partition_config_selectorILNS1_17partition_subalgoE5EtNS0_10empty_typeEbEEZZNS1_14partition_implILS5_5ELb0ES3_mN6thrust23THRUST_200600_302600_NS6detail15normal_iteratorINSA_10device_ptrItEEEEPS6_NSA_18transform_iteratorINSB_9not_fun_tI7is_trueItEEENSC_INSD_IbEEEENSA_11use_defaultESO_EENS0_5tupleIJNSA_16discard_iteratorISO_EES6_EEENSQ_IJSG_SG_EEES6_PlJS6_EEE10hipError_tPvRmT3_T4_T5_T6_T7_T9_mT8_P12ihipStream_tbDpT10_ENKUlT_T0_E_clISt17integral_constantIbLb0EES1E_IbLb1EEEEDaS1A_S1B_EUlS1A_E_NS1_11comp_targetILNS1_3genE10ELNS1_11target_archE1200ELNS1_3gpuE4ELNS1_3repE0EEENS1_30default_config_static_selectorELNS0_4arch9wavefront6targetE0EEEvT1_
                                        ; -- End function
	.set _ZN7rocprim17ROCPRIM_400000_NS6detail17trampoline_kernelINS0_14default_configENS1_25partition_config_selectorILNS1_17partition_subalgoE5EtNS0_10empty_typeEbEEZZNS1_14partition_implILS5_5ELb0ES3_mN6thrust23THRUST_200600_302600_NS6detail15normal_iteratorINSA_10device_ptrItEEEEPS6_NSA_18transform_iteratorINSB_9not_fun_tI7is_trueItEEENSC_INSD_IbEEEENSA_11use_defaultESO_EENS0_5tupleIJNSA_16discard_iteratorISO_EES6_EEENSQ_IJSG_SG_EEES6_PlJS6_EEE10hipError_tPvRmT3_T4_T5_T6_T7_T9_mT8_P12ihipStream_tbDpT10_ENKUlT_T0_E_clISt17integral_constantIbLb0EES1E_IbLb1EEEEDaS1A_S1B_EUlS1A_E_NS1_11comp_targetILNS1_3genE10ELNS1_11target_archE1200ELNS1_3gpuE4ELNS1_3repE0EEENS1_30default_config_static_selectorELNS0_4arch9wavefront6targetE0EEEvT1_.num_vgpr, 65
	.set _ZN7rocprim17ROCPRIM_400000_NS6detail17trampoline_kernelINS0_14default_configENS1_25partition_config_selectorILNS1_17partition_subalgoE5EtNS0_10empty_typeEbEEZZNS1_14partition_implILS5_5ELb0ES3_mN6thrust23THRUST_200600_302600_NS6detail15normal_iteratorINSA_10device_ptrItEEEEPS6_NSA_18transform_iteratorINSB_9not_fun_tI7is_trueItEEENSC_INSD_IbEEEENSA_11use_defaultESO_EENS0_5tupleIJNSA_16discard_iteratorISO_EES6_EEENSQ_IJSG_SG_EEES6_PlJS6_EEE10hipError_tPvRmT3_T4_T5_T6_T7_T9_mT8_P12ihipStream_tbDpT10_ENKUlT_T0_E_clISt17integral_constantIbLb0EES1E_IbLb1EEEEDaS1A_S1B_EUlS1A_E_NS1_11comp_targetILNS1_3genE10ELNS1_11target_archE1200ELNS1_3gpuE4ELNS1_3repE0EEENS1_30default_config_static_selectorELNS0_4arch9wavefront6targetE0EEEvT1_.num_agpr, 0
	.set _ZN7rocprim17ROCPRIM_400000_NS6detail17trampoline_kernelINS0_14default_configENS1_25partition_config_selectorILNS1_17partition_subalgoE5EtNS0_10empty_typeEbEEZZNS1_14partition_implILS5_5ELb0ES3_mN6thrust23THRUST_200600_302600_NS6detail15normal_iteratorINSA_10device_ptrItEEEEPS6_NSA_18transform_iteratorINSB_9not_fun_tI7is_trueItEEENSC_INSD_IbEEEENSA_11use_defaultESO_EENS0_5tupleIJNSA_16discard_iteratorISO_EES6_EEENSQ_IJSG_SG_EEES6_PlJS6_EEE10hipError_tPvRmT3_T4_T5_T6_T7_T9_mT8_P12ihipStream_tbDpT10_ENKUlT_T0_E_clISt17integral_constantIbLb0EES1E_IbLb1EEEEDaS1A_S1B_EUlS1A_E_NS1_11comp_targetILNS1_3genE10ELNS1_11target_archE1200ELNS1_3gpuE4ELNS1_3repE0EEENS1_30default_config_static_selectorELNS0_4arch9wavefront6targetE0EEEvT1_.numbered_sgpr, 22
	.set _ZN7rocprim17ROCPRIM_400000_NS6detail17trampoline_kernelINS0_14default_configENS1_25partition_config_selectorILNS1_17partition_subalgoE5EtNS0_10empty_typeEbEEZZNS1_14partition_implILS5_5ELb0ES3_mN6thrust23THRUST_200600_302600_NS6detail15normal_iteratorINSA_10device_ptrItEEEEPS6_NSA_18transform_iteratorINSB_9not_fun_tI7is_trueItEEENSC_INSD_IbEEEENSA_11use_defaultESO_EENS0_5tupleIJNSA_16discard_iteratorISO_EES6_EEENSQ_IJSG_SG_EEES6_PlJS6_EEE10hipError_tPvRmT3_T4_T5_T6_T7_T9_mT8_P12ihipStream_tbDpT10_ENKUlT_T0_E_clISt17integral_constantIbLb0EES1E_IbLb1EEEEDaS1A_S1B_EUlS1A_E_NS1_11comp_targetILNS1_3genE10ELNS1_11target_archE1200ELNS1_3gpuE4ELNS1_3repE0EEENS1_30default_config_static_selectorELNS0_4arch9wavefront6targetE0EEEvT1_.num_named_barrier, 0
	.set _ZN7rocprim17ROCPRIM_400000_NS6detail17trampoline_kernelINS0_14default_configENS1_25partition_config_selectorILNS1_17partition_subalgoE5EtNS0_10empty_typeEbEEZZNS1_14partition_implILS5_5ELb0ES3_mN6thrust23THRUST_200600_302600_NS6detail15normal_iteratorINSA_10device_ptrItEEEEPS6_NSA_18transform_iteratorINSB_9not_fun_tI7is_trueItEEENSC_INSD_IbEEEENSA_11use_defaultESO_EENS0_5tupleIJNSA_16discard_iteratorISO_EES6_EEENSQ_IJSG_SG_EEES6_PlJS6_EEE10hipError_tPvRmT3_T4_T5_T6_T7_T9_mT8_P12ihipStream_tbDpT10_ENKUlT_T0_E_clISt17integral_constantIbLb0EES1E_IbLb1EEEEDaS1A_S1B_EUlS1A_E_NS1_11comp_targetILNS1_3genE10ELNS1_11target_archE1200ELNS1_3gpuE4ELNS1_3repE0EEENS1_30default_config_static_selectorELNS0_4arch9wavefront6targetE0EEEvT1_.private_seg_size, 0
	.set _ZN7rocprim17ROCPRIM_400000_NS6detail17trampoline_kernelINS0_14default_configENS1_25partition_config_selectorILNS1_17partition_subalgoE5EtNS0_10empty_typeEbEEZZNS1_14partition_implILS5_5ELb0ES3_mN6thrust23THRUST_200600_302600_NS6detail15normal_iteratorINSA_10device_ptrItEEEEPS6_NSA_18transform_iteratorINSB_9not_fun_tI7is_trueItEEENSC_INSD_IbEEEENSA_11use_defaultESO_EENS0_5tupleIJNSA_16discard_iteratorISO_EES6_EEENSQ_IJSG_SG_EEES6_PlJS6_EEE10hipError_tPvRmT3_T4_T5_T6_T7_T9_mT8_P12ihipStream_tbDpT10_ENKUlT_T0_E_clISt17integral_constantIbLb0EES1E_IbLb1EEEEDaS1A_S1B_EUlS1A_E_NS1_11comp_targetILNS1_3genE10ELNS1_11target_archE1200ELNS1_3gpuE4ELNS1_3repE0EEENS1_30default_config_static_selectorELNS0_4arch9wavefront6targetE0EEEvT1_.uses_vcc, 1
	.set _ZN7rocprim17ROCPRIM_400000_NS6detail17trampoline_kernelINS0_14default_configENS1_25partition_config_selectorILNS1_17partition_subalgoE5EtNS0_10empty_typeEbEEZZNS1_14partition_implILS5_5ELb0ES3_mN6thrust23THRUST_200600_302600_NS6detail15normal_iteratorINSA_10device_ptrItEEEEPS6_NSA_18transform_iteratorINSB_9not_fun_tI7is_trueItEEENSC_INSD_IbEEEENSA_11use_defaultESO_EENS0_5tupleIJNSA_16discard_iteratorISO_EES6_EEENSQ_IJSG_SG_EEES6_PlJS6_EEE10hipError_tPvRmT3_T4_T5_T6_T7_T9_mT8_P12ihipStream_tbDpT10_ENKUlT_T0_E_clISt17integral_constantIbLb0EES1E_IbLb1EEEEDaS1A_S1B_EUlS1A_E_NS1_11comp_targetILNS1_3genE10ELNS1_11target_archE1200ELNS1_3gpuE4ELNS1_3repE0EEENS1_30default_config_static_selectorELNS0_4arch9wavefront6targetE0EEEvT1_.uses_flat_scratch, 1
	.set _ZN7rocprim17ROCPRIM_400000_NS6detail17trampoline_kernelINS0_14default_configENS1_25partition_config_selectorILNS1_17partition_subalgoE5EtNS0_10empty_typeEbEEZZNS1_14partition_implILS5_5ELb0ES3_mN6thrust23THRUST_200600_302600_NS6detail15normal_iteratorINSA_10device_ptrItEEEEPS6_NSA_18transform_iteratorINSB_9not_fun_tI7is_trueItEEENSC_INSD_IbEEEENSA_11use_defaultESO_EENS0_5tupleIJNSA_16discard_iteratorISO_EES6_EEENSQ_IJSG_SG_EEES6_PlJS6_EEE10hipError_tPvRmT3_T4_T5_T6_T7_T9_mT8_P12ihipStream_tbDpT10_ENKUlT_T0_E_clISt17integral_constantIbLb0EES1E_IbLb1EEEEDaS1A_S1B_EUlS1A_E_NS1_11comp_targetILNS1_3genE10ELNS1_11target_archE1200ELNS1_3gpuE4ELNS1_3repE0EEENS1_30default_config_static_selectorELNS0_4arch9wavefront6targetE0EEEvT1_.has_dyn_sized_stack, 0
	.set _ZN7rocprim17ROCPRIM_400000_NS6detail17trampoline_kernelINS0_14default_configENS1_25partition_config_selectorILNS1_17partition_subalgoE5EtNS0_10empty_typeEbEEZZNS1_14partition_implILS5_5ELb0ES3_mN6thrust23THRUST_200600_302600_NS6detail15normal_iteratorINSA_10device_ptrItEEEEPS6_NSA_18transform_iteratorINSB_9not_fun_tI7is_trueItEEENSC_INSD_IbEEEENSA_11use_defaultESO_EENS0_5tupleIJNSA_16discard_iteratorISO_EES6_EEENSQ_IJSG_SG_EEES6_PlJS6_EEE10hipError_tPvRmT3_T4_T5_T6_T7_T9_mT8_P12ihipStream_tbDpT10_ENKUlT_T0_E_clISt17integral_constantIbLb0EES1E_IbLb1EEEEDaS1A_S1B_EUlS1A_E_NS1_11comp_targetILNS1_3genE10ELNS1_11target_archE1200ELNS1_3gpuE4ELNS1_3repE0EEENS1_30default_config_static_selectorELNS0_4arch9wavefront6targetE0EEEvT1_.has_recursion, 0
	.set _ZN7rocprim17ROCPRIM_400000_NS6detail17trampoline_kernelINS0_14default_configENS1_25partition_config_selectorILNS1_17partition_subalgoE5EtNS0_10empty_typeEbEEZZNS1_14partition_implILS5_5ELb0ES3_mN6thrust23THRUST_200600_302600_NS6detail15normal_iteratorINSA_10device_ptrItEEEEPS6_NSA_18transform_iteratorINSB_9not_fun_tI7is_trueItEEENSC_INSD_IbEEEENSA_11use_defaultESO_EENS0_5tupleIJNSA_16discard_iteratorISO_EES6_EEENSQ_IJSG_SG_EEES6_PlJS6_EEE10hipError_tPvRmT3_T4_T5_T6_T7_T9_mT8_P12ihipStream_tbDpT10_ENKUlT_T0_E_clISt17integral_constantIbLb0EES1E_IbLb1EEEEDaS1A_S1B_EUlS1A_E_NS1_11comp_targetILNS1_3genE10ELNS1_11target_archE1200ELNS1_3gpuE4ELNS1_3repE0EEENS1_30default_config_static_selectorELNS0_4arch9wavefront6targetE0EEEvT1_.has_indirect_call, 0
	.section	.AMDGPU.csdata,"",@progbits
; Kernel info:
; codeLenInByte = 8912
; TotalNumSgprs: 24
; NumVgprs: 65
; ScratchSize: 0
; MemoryBound: 0
; FloatMode: 240
; IeeeMode: 1
; LDSByteSize: 6160 bytes/workgroup (compile time only)
; SGPRBlocks: 0
; VGPRBlocks: 8
; NumSGPRsForWavesPerEU: 24
; NumVGPRsForWavesPerEU: 65
; Occupancy: 16
; WaveLimiterHint : 1
; COMPUTE_PGM_RSRC2:SCRATCH_EN: 0
; COMPUTE_PGM_RSRC2:USER_SGPR: 2
; COMPUTE_PGM_RSRC2:TRAP_HANDLER: 0
; COMPUTE_PGM_RSRC2:TGID_X_EN: 1
; COMPUTE_PGM_RSRC2:TGID_Y_EN: 0
; COMPUTE_PGM_RSRC2:TGID_Z_EN: 0
; COMPUTE_PGM_RSRC2:TIDIG_COMP_CNT: 0
	.section	.text._ZN7rocprim17ROCPRIM_400000_NS6detail17trampoline_kernelINS0_14default_configENS1_25partition_config_selectorILNS1_17partition_subalgoE5EtNS0_10empty_typeEbEEZZNS1_14partition_implILS5_5ELb0ES3_mN6thrust23THRUST_200600_302600_NS6detail15normal_iteratorINSA_10device_ptrItEEEEPS6_NSA_18transform_iteratorINSB_9not_fun_tI7is_trueItEEENSC_INSD_IbEEEENSA_11use_defaultESO_EENS0_5tupleIJNSA_16discard_iteratorISO_EES6_EEENSQ_IJSG_SG_EEES6_PlJS6_EEE10hipError_tPvRmT3_T4_T5_T6_T7_T9_mT8_P12ihipStream_tbDpT10_ENKUlT_T0_E_clISt17integral_constantIbLb0EES1E_IbLb1EEEEDaS1A_S1B_EUlS1A_E_NS1_11comp_targetILNS1_3genE9ELNS1_11target_archE1100ELNS1_3gpuE3ELNS1_3repE0EEENS1_30default_config_static_selectorELNS0_4arch9wavefront6targetE0EEEvT1_,"axG",@progbits,_ZN7rocprim17ROCPRIM_400000_NS6detail17trampoline_kernelINS0_14default_configENS1_25partition_config_selectorILNS1_17partition_subalgoE5EtNS0_10empty_typeEbEEZZNS1_14partition_implILS5_5ELb0ES3_mN6thrust23THRUST_200600_302600_NS6detail15normal_iteratorINSA_10device_ptrItEEEEPS6_NSA_18transform_iteratorINSB_9not_fun_tI7is_trueItEEENSC_INSD_IbEEEENSA_11use_defaultESO_EENS0_5tupleIJNSA_16discard_iteratorISO_EES6_EEENSQ_IJSG_SG_EEES6_PlJS6_EEE10hipError_tPvRmT3_T4_T5_T6_T7_T9_mT8_P12ihipStream_tbDpT10_ENKUlT_T0_E_clISt17integral_constantIbLb0EES1E_IbLb1EEEEDaS1A_S1B_EUlS1A_E_NS1_11comp_targetILNS1_3genE9ELNS1_11target_archE1100ELNS1_3gpuE3ELNS1_3repE0EEENS1_30default_config_static_selectorELNS0_4arch9wavefront6targetE0EEEvT1_,comdat
	.protected	_ZN7rocprim17ROCPRIM_400000_NS6detail17trampoline_kernelINS0_14default_configENS1_25partition_config_selectorILNS1_17partition_subalgoE5EtNS0_10empty_typeEbEEZZNS1_14partition_implILS5_5ELb0ES3_mN6thrust23THRUST_200600_302600_NS6detail15normal_iteratorINSA_10device_ptrItEEEEPS6_NSA_18transform_iteratorINSB_9not_fun_tI7is_trueItEEENSC_INSD_IbEEEENSA_11use_defaultESO_EENS0_5tupleIJNSA_16discard_iteratorISO_EES6_EEENSQ_IJSG_SG_EEES6_PlJS6_EEE10hipError_tPvRmT3_T4_T5_T6_T7_T9_mT8_P12ihipStream_tbDpT10_ENKUlT_T0_E_clISt17integral_constantIbLb0EES1E_IbLb1EEEEDaS1A_S1B_EUlS1A_E_NS1_11comp_targetILNS1_3genE9ELNS1_11target_archE1100ELNS1_3gpuE3ELNS1_3repE0EEENS1_30default_config_static_selectorELNS0_4arch9wavefront6targetE0EEEvT1_ ; -- Begin function _ZN7rocprim17ROCPRIM_400000_NS6detail17trampoline_kernelINS0_14default_configENS1_25partition_config_selectorILNS1_17partition_subalgoE5EtNS0_10empty_typeEbEEZZNS1_14partition_implILS5_5ELb0ES3_mN6thrust23THRUST_200600_302600_NS6detail15normal_iteratorINSA_10device_ptrItEEEEPS6_NSA_18transform_iteratorINSB_9not_fun_tI7is_trueItEEENSC_INSD_IbEEEENSA_11use_defaultESO_EENS0_5tupleIJNSA_16discard_iteratorISO_EES6_EEENSQ_IJSG_SG_EEES6_PlJS6_EEE10hipError_tPvRmT3_T4_T5_T6_T7_T9_mT8_P12ihipStream_tbDpT10_ENKUlT_T0_E_clISt17integral_constantIbLb0EES1E_IbLb1EEEEDaS1A_S1B_EUlS1A_E_NS1_11comp_targetILNS1_3genE9ELNS1_11target_archE1100ELNS1_3gpuE3ELNS1_3repE0EEENS1_30default_config_static_selectorELNS0_4arch9wavefront6targetE0EEEvT1_
	.globl	_ZN7rocprim17ROCPRIM_400000_NS6detail17trampoline_kernelINS0_14default_configENS1_25partition_config_selectorILNS1_17partition_subalgoE5EtNS0_10empty_typeEbEEZZNS1_14partition_implILS5_5ELb0ES3_mN6thrust23THRUST_200600_302600_NS6detail15normal_iteratorINSA_10device_ptrItEEEEPS6_NSA_18transform_iteratorINSB_9not_fun_tI7is_trueItEEENSC_INSD_IbEEEENSA_11use_defaultESO_EENS0_5tupleIJNSA_16discard_iteratorISO_EES6_EEENSQ_IJSG_SG_EEES6_PlJS6_EEE10hipError_tPvRmT3_T4_T5_T6_T7_T9_mT8_P12ihipStream_tbDpT10_ENKUlT_T0_E_clISt17integral_constantIbLb0EES1E_IbLb1EEEEDaS1A_S1B_EUlS1A_E_NS1_11comp_targetILNS1_3genE9ELNS1_11target_archE1100ELNS1_3gpuE3ELNS1_3repE0EEENS1_30default_config_static_selectorELNS0_4arch9wavefront6targetE0EEEvT1_
	.p2align	8
	.type	_ZN7rocprim17ROCPRIM_400000_NS6detail17trampoline_kernelINS0_14default_configENS1_25partition_config_selectorILNS1_17partition_subalgoE5EtNS0_10empty_typeEbEEZZNS1_14partition_implILS5_5ELb0ES3_mN6thrust23THRUST_200600_302600_NS6detail15normal_iteratorINSA_10device_ptrItEEEEPS6_NSA_18transform_iteratorINSB_9not_fun_tI7is_trueItEEENSC_INSD_IbEEEENSA_11use_defaultESO_EENS0_5tupleIJNSA_16discard_iteratorISO_EES6_EEENSQ_IJSG_SG_EEES6_PlJS6_EEE10hipError_tPvRmT3_T4_T5_T6_T7_T9_mT8_P12ihipStream_tbDpT10_ENKUlT_T0_E_clISt17integral_constantIbLb0EES1E_IbLb1EEEEDaS1A_S1B_EUlS1A_E_NS1_11comp_targetILNS1_3genE9ELNS1_11target_archE1100ELNS1_3gpuE3ELNS1_3repE0EEENS1_30default_config_static_selectorELNS0_4arch9wavefront6targetE0EEEvT1_,@function
_ZN7rocprim17ROCPRIM_400000_NS6detail17trampoline_kernelINS0_14default_configENS1_25partition_config_selectorILNS1_17partition_subalgoE5EtNS0_10empty_typeEbEEZZNS1_14partition_implILS5_5ELb0ES3_mN6thrust23THRUST_200600_302600_NS6detail15normal_iteratorINSA_10device_ptrItEEEEPS6_NSA_18transform_iteratorINSB_9not_fun_tI7is_trueItEEENSC_INSD_IbEEEENSA_11use_defaultESO_EENS0_5tupleIJNSA_16discard_iteratorISO_EES6_EEENSQ_IJSG_SG_EEES6_PlJS6_EEE10hipError_tPvRmT3_T4_T5_T6_T7_T9_mT8_P12ihipStream_tbDpT10_ENKUlT_T0_E_clISt17integral_constantIbLb0EES1E_IbLb1EEEEDaS1A_S1B_EUlS1A_E_NS1_11comp_targetILNS1_3genE9ELNS1_11target_archE1100ELNS1_3gpuE3ELNS1_3repE0EEENS1_30default_config_static_selectorELNS0_4arch9wavefront6targetE0EEEvT1_: ; @_ZN7rocprim17ROCPRIM_400000_NS6detail17trampoline_kernelINS0_14default_configENS1_25partition_config_selectorILNS1_17partition_subalgoE5EtNS0_10empty_typeEbEEZZNS1_14partition_implILS5_5ELb0ES3_mN6thrust23THRUST_200600_302600_NS6detail15normal_iteratorINSA_10device_ptrItEEEEPS6_NSA_18transform_iteratorINSB_9not_fun_tI7is_trueItEEENSC_INSD_IbEEEENSA_11use_defaultESO_EENS0_5tupleIJNSA_16discard_iteratorISO_EES6_EEENSQ_IJSG_SG_EEES6_PlJS6_EEE10hipError_tPvRmT3_T4_T5_T6_T7_T9_mT8_P12ihipStream_tbDpT10_ENKUlT_T0_E_clISt17integral_constantIbLb0EES1E_IbLb1EEEEDaS1A_S1B_EUlS1A_E_NS1_11comp_targetILNS1_3genE9ELNS1_11target_archE1100ELNS1_3gpuE3ELNS1_3repE0EEENS1_30default_config_static_selectorELNS0_4arch9wavefront6targetE0EEEvT1_
; %bb.0:
	.section	.rodata,"a",@progbits
	.p2align	6, 0x0
	.amdhsa_kernel _ZN7rocprim17ROCPRIM_400000_NS6detail17trampoline_kernelINS0_14default_configENS1_25partition_config_selectorILNS1_17partition_subalgoE5EtNS0_10empty_typeEbEEZZNS1_14partition_implILS5_5ELb0ES3_mN6thrust23THRUST_200600_302600_NS6detail15normal_iteratorINSA_10device_ptrItEEEEPS6_NSA_18transform_iteratorINSB_9not_fun_tI7is_trueItEEENSC_INSD_IbEEEENSA_11use_defaultESO_EENS0_5tupleIJNSA_16discard_iteratorISO_EES6_EEENSQ_IJSG_SG_EEES6_PlJS6_EEE10hipError_tPvRmT3_T4_T5_T6_T7_T9_mT8_P12ihipStream_tbDpT10_ENKUlT_T0_E_clISt17integral_constantIbLb0EES1E_IbLb1EEEEDaS1A_S1B_EUlS1A_E_NS1_11comp_targetILNS1_3genE9ELNS1_11target_archE1100ELNS1_3gpuE3ELNS1_3repE0EEENS1_30default_config_static_selectorELNS0_4arch9wavefront6targetE0EEEvT1_
		.amdhsa_group_segment_fixed_size 0
		.amdhsa_private_segment_fixed_size 0
		.amdhsa_kernarg_size 144
		.amdhsa_user_sgpr_count 2
		.amdhsa_user_sgpr_dispatch_ptr 0
		.amdhsa_user_sgpr_queue_ptr 0
		.amdhsa_user_sgpr_kernarg_segment_ptr 1
		.amdhsa_user_sgpr_dispatch_id 0
		.amdhsa_user_sgpr_private_segment_size 0
		.amdhsa_wavefront_size32 1
		.amdhsa_uses_dynamic_stack 0
		.amdhsa_enable_private_segment 0
		.amdhsa_system_sgpr_workgroup_id_x 1
		.amdhsa_system_sgpr_workgroup_id_y 0
		.amdhsa_system_sgpr_workgroup_id_z 0
		.amdhsa_system_sgpr_workgroup_info 0
		.amdhsa_system_vgpr_workitem_id 0
		.amdhsa_next_free_vgpr 1
		.amdhsa_next_free_sgpr 1
		.amdhsa_reserve_vcc 0
		.amdhsa_float_round_mode_32 0
		.amdhsa_float_round_mode_16_64 0
		.amdhsa_float_denorm_mode_32 3
		.amdhsa_float_denorm_mode_16_64 3
		.amdhsa_fp16_overflow 0
		.amdhsa_workgroup_processor_mode 1
		.amdhsa_memory_ordered 1
		.amdhsa_forward_progress 1
		.amdhsa_inst_pref_size 0
		.amdhsa_round_robin_scheduling 0
		.amdhsa_exception_fp_ieee_invalid_op 0
		.amdhsa_exception_fp_denorm_src 0
		.amdhsa_exception_fp_ieee_div_zero 0
		.amdhsa_exception_fp_ieee_overflow 0
		.amdhsa_exception_fp_ieee_underflow 0
		.amdhsa_exception_fp_ieee_inexact 0
		.amdhsa_exception_int_div_zero 0
	.end_amdhsa_kernel
	.section	.text._ZN7rocprim17ROCPRIM_400000_NS6detail17trampoline_kernelINS0_14default_configENS1_25partition_config_selectorILNS1_17partition_subalgoE5EtNS0_10empty_typeEbEEZZNS1_14partition_implILS5_5ELb0ES3_mN6thrust23THRUST_200600_302600_NS6detail15normal_iteratorINSA_10device_ptrItEEEEPS6_NSA_18transform_iteratorINSB_9not_fun_tI7is_trueItEEENSC_INSD_IbEEEENSA_11use_defaultESO_EENS0_5tupleIJNSA_16discard_iteratorISO_EES6_EEENSQ_IJSG_SG_EEES6_PlJS6_EEE10hipError_tPvRmT3_T4_T5_T6_T7_T9_mT8_P12ihipStream_tbDpT10_ENKUlT_T0_E_clISt17integral_constantIbLb0EES1E_IbLb1EEEEDaS1A_S1B_EUlS1A_E_NS1_11comp_targetILNS1_3genE9ELNS1_11target_archE1100ELNS1_3gpuE3ELNS1_3repE0EEENS1_30default_config_static_selectorELNS0_4arch9wavefront6targetE0EEEvT1_,"axG",@progbits,_ZN7rocprim17ROCPRIM_400000_NS6detail17trampoline_kernelINS0_14default_configENS1_25partition_config_selectorILNS1_17partition_subalgoE5EtNS0_10empty_typeEbEEZZNS1_14partition_implILS5_5ELb0ES3_mN6thrust23THRUST_200600_302600_NS6detail15normal_iteratorINSA_10device_ptrItEEEEPS6_NSA_18transform_iteratorINSB_9not_fun_tI7is_trueItEEENSC_INSD_IbEEEENSA_11use_defaultESO_EENS0_5tupleIJNSA_16discard_iteratorISO_EES6_EEENSQ_IJSG_SG_EEES6_PlJS6_EEE10hipError_tPvRmT3_T4_T5_T6_T7_T9_mT8_P12ihipStream_tbDpT10_ENKUlT_T0_E_clISt17integral_constantIbLb0EES1E_IbLb1EEEEDaS1A_S1B_EUlS1A_E_NS1_11comp_targetILNS1_3genE9ELNS1_11target_archE1100ELNS1_3gpuE3ELNS1_3repE0EEENS1_30default_config_static_selectorELNS0_4arch9wavefront6targetE0EEEvT1_,comdat
.Lfunc_end2747:
	.size	_ZN7rocprim17ROCPRIM_400000_NS6detail17trampoline_kernelINS0_14default_configENS1_25partition_config_selectorILNS1_17partition_subalgoE5EtNS0_10empty_typeEbEEZZNS1_14partition_implILS5_5ELb0ES3_mN6thrust23THRUST_200600_302600_NS6detail15normal_iteratorINSA_10device_ptrItEEEEPS6_NSA_18transform_iteratorINSB_9not_fun_tI7is_trueItEEENSC_INSD_IbEEEENSA_11use_defaultESO_EENS0_5tupleIJNSA_16discard_iteratorISO_EES6_EEENSQ_IJSG_SG_EEES6_PlJS6_EEE10hipError_tPvRmT3_T4_T5_T6_T7_T9_mT8_P12ihipStream_tbDpT10_ENKUlT_T0_E_clISt17integral_constantIbLb0EES1E_IbLb1EEEEDaS1A_S1B_EUlS1A_E_NS1_11comp_targetILNS1_3genE9ELNS1_11target_archE1100ELNS1_3gpuE3ELNS1_3repE0EEENS1_30default_config_static_selectorELNS0_4arch9wavefront6targetE0EEEvT1_, .Lfunc_end2747-_ZN7rocprim17ROCPRIM_400000_NS6detail17trampoline_kernelINS0_14default_configENS1_25partition_config_selectorILNS1_17partition_subalgoE5EtNS0_10empty_typeEbEEZZNS1_14partition_implILS5_5ELb0ES3_mN6thrust23THRUST_200600_302600_NS6detail15normal_iteratorINSA_10device_ptrItEEEEPS6_NSA_18transform_iteratorINSB_9not_fun_tI7is_trueItEEENSC_INSD_IbEEEENSA_11use_defaultESO_EENS0_5tupleIJNSA_16discard_iteratorISO_EES6_EEENSQ_IJSG_SG_EEES6_PlJS6_EEE10hipError_tPvRmT3_T4_T5_T6_T7_T9_mT8_P12ihipStream_tbDpT10_ENKUlT_T0_E_clISt17integral_constantIbLb0EES1E_IbLb1EEEEDaS1A_S1B_EUlS1A_E_NS1_11comp_targetILNS1_3genE9ELNS1_11target_archE1100ELNS1_3gpuE3ELNS1_3repE0EEENS1_30default_config_static_selectorELNS0_4arch9wavefront6targetE0EEEvT1_
                                        ; -- End function
	.set _ZN7rocprim17ROCPRIM_400000_NS6detail17trampoline_kernelINS0_14default_configENS1_25partition_config_selectorILNS1_17partition_subalgoE5EtNS0_10empty_typeEbEEZZNS1_14partition_implILS5_5ELb0ES3_mN6thrust23THRUST_200600_302600_NS6detail15normal_iteratorINSA_10device_ptrItEEEEPS6_NSA_18transform_iteratorINSB_9not_fun_tI7is_trueItEEENSC_INSD_IbEEEENSA_11use_defaultESO_EENS0_5tupleIJNSA_16discard_iteratorISO_EES6_EEENSQ_IJSG_SG_EEES6_PlJS6_EEE10hipError_tPvRmT3_T4_T5_T6_T7_T9_mT8_P12ihipStream_tbDpT10_ENKUlT_T0_E_clISt17integral_constantIbLb0EES1E_IbLb1EEEEDaS1A_S1B_EUlS1A_E_NS1_11comp_targetILNS1_3genE9ELNS1_11target_archE1100ELNS1_3gpuE3ELNS1_3repE0EEENS1_30default_config_static_selectorELNS0_4arch9wavefront6targetE0EEEvT1_.num_vgpr, 0
	.set _ZN7rocprim17ROCPRIM_400000_NS6detail17trampoline_kernelINS0_14default_configENS1_25partition_config_selectorILNS1_17partition_subalgoE5EtNS0_10empty_typeEbEEZZNS1_14partition_implILS5_5ELb0ES3_mN6thrust23THRUST_200600_302600_NS6detail15normal_iteratorINSA_10device_ptrItEEEEPS6_NSA_18transform_iteratorINSB_9not_fun_tI7is_trueItEEENSC_INSD_IbEEEENSA_11use_defaultESO_EENS0_5tupleIJNSA_16discard_iteratorISO_EES6_EEENSQ_IJSG_SG_EEES6_PlJS6_EEE10hipError_tPvRmT3_T4_T5_T6_T7_T9_mT8_P12ihipStream_tbDpT10_ENKUlT_T0_E_clISt17integral_constantIbLb0EES1E_IbLb1EEEEDaS1A_S1B_EUlS1A_E_NS1_11comp_targetILNS1_3genE9ELNS1_11target_archE1100ELNS1_3gpuE3ELNS1_3repE0EEENS1_30default_config_static_selectorELNS0_4arch9wavefront6targetE0EEEvT1_.num_agpr, 0
	.set _ZN7rocprim17ROCPRIM_400000_NS6detail17trampoline_kernelINS0_14default_configENS1_25partition_config_selectorILNS1_17partition_subalgoE5EtNS0_10empty_typeEbEEZZNS1_14partition_implILS5_5ELb0ES3_mN6thrust23THRUST_200600_302600_NS6detail15normal_iteratorINSA_10device_ptrItEEEEPS6_NSA_18transform_iteratorINSB_9not_fun_tI7is_trueItEEENSC_INSD_IbEEEENSA_11use_defaultESO_EENS0_5tupleIJNSA_16discard_iteratorISO_EES6_EEENSQ_IJSG_SG_EEES6_PlJS6_EEE10hipError_tPvRmT3_T4_T5_T6_T7_T9_mT8_P12ihipStream_tbDpT10_ENKUlT_T0_E_clISt17integral_constantIbLb0EES1E_IbLb1EEEEDaS1A_S1B_EUlS1A_E_NS1_11comp_targetILNS1_3genE9ELNS1_11target_archE1100ELNS1_3gpuE3ELNS1_3repE0EEENS1_30default_config_static_selectorELNS0_4arch9wavefront6targetE0EEEvT1_.numbered_sgpr, 0
	.set _ZN7rocprim17ROCPRIM_400000_NS6detail17trampoline_kernelINS0_14default_configENS1_25partition_config_selectorILNS1_17partition_subalgoE5EtNS0_10empty_typeEbEEZZNS1_14partition_implILS5_5ELb0ES3_mN6thrust23THRUST_200600_302600_NS6detail15normal_iteratorINSA_10device_ptrItEEEEPS6_NSA_18transform_iteratorINSB_9not_fun_tI7is_trueItEEENSC_INSD_IbEEEENSA_11use_defaultESO_EENS0_5tupleIJNSA_16discard_iteratorISO_EES6_EEENSQ_IJSG_SG_EEES6_PlJS6_EEE10hipError_tPvRmT3_T4_T5_T6_T7_T9_mT8_P12ihipStream_tbDpT10_ENKUlT_T0_E_clISt17integral_constantIbLb0EES1E_IbLb1EEEEDaS1A_S1B_EUlS1A_E_NS1_11comp_targetILNS1_3genE9ELNS1_11target_archE1100ELNS1_3gpuE3ELNS1_3repE0EEENS1_30default_config_static_selectorELNS0_4arch9wavefront6targetE0EEEvT1_.num_named_barrier, 0
	.set _ZN7rocprim17ROCPRIM_400000_NS6detail17trampoline_kernelINS0_14default_configENS1_25partition_config_selectorILNS1_17partition_subalgoE5EtNS0_10empty_typeEbEEZZNS1_14partition_implILS5_5ELb0ES3_mN6thrust23THRUST_200600_302600_NS6detail15normal_iteratorINSA_10device_ptrItEEEEPS6_NSA_18transform_iteratorINSB_9not_fun_tI7is_trueItEEENSC_INSD_IbEEEENSA_11use_defaultESO_EENS0_5tupleIJNSA_16discard_iteratorISO_EES6_EEENSQ_IJSG_SG_EEES6_PlJS6_EEE10hipError_tPvRmT3_T4_T5_T6_T7_T9_mT8_P12ihipStream_tbDpT10_ENKUlT_T0_E_clISt17integral_constantIbLb0EES1E_IbLb1EEEEDaS1A_S1B_EUlS1A_E_NS1_11comp_targetILNS1_3genE9ELNS1_11target_archE1100ELNS1_3gpuE3ELNS1_3repE0EEENS1_30default_config_static_selectorELNS0_4arch9wavefront6targetE0EEEvT1_.private_seg_size, 0
	.set _ZN7rocprim17ROCPRIM_400000_NS6detail17trampoline_kernelINS0_14default_configENS1_25partition_config_selectorILNS1_17partition_subalgoE5EtNS0_10empty_typeEbEEZZNS1_14partition_implILS5_5ELb0ES3_mN6thrust23THRUST_200600_302600_NS6detail15normal_iteratorINSA_10device_ptrItEEEEPS6_NSA_18transform_iteratorINSB_9not_fun_tI7is_trueItEEENSC_INSD_IbEEEENSA_11use_defaultESO_EENS0_5tupleIJNSA_16discard_iteratorISO_EES6_EEENSQ_IJSG_SG_EEES6_PlJS6_EEE10hipError_tPvRmT3_T4_T5_T6_T7_T9_mT8_P12ihipStream_tbDpT10_ENKUlT_T0_E_clISt17integral_constantIbLb0EES1E_IbLb1EEEEDaS1A_S1B_EUlS1A_E_NS1_11comp_targetILNS1_3genE9ELNS1_11target_archE1100ELNS1_3gpuE3ELNS1_3repE0EEENS1_30default_config_static_selectorELNS0_4arch9wavefront6targetE0EEEvT1_.uses_vcc, 0
	.set _ZN7rocprim17ROCPRIM_400000_NS6detail17trampoline_kernelINS0_14default_configENS1_25partition_config_selectorILNS1_17partition_subalgoE5EtNS0_10empty_typeEbEEZZNS1_14partition_implILS5_5ELb0ES3_mN6thrust23THRUST_200600_302600_NS6detail15normal_iteratorINSA_10device_ptrItEEEEPS6_NSA_18transform_iteratorINSB_9not_fun_tI7is_trueItEEENSC_INSD_IbEEEENSA_11use_defaultESO_EENS0_5tupleIJNSA_16discard_iteratorISO_EES6_EEENSQ_IJSG_SG_EEES6_PlJS6_EEE10hipError_tPvRmT3_T4_T5_T6_T7_T9_mT8_P12ihipStream_tbDpT10_ENKUlT_T0_E_clISt17integral_constantIbLb0EES1E_IbLb1EEEEDaS1A_S1B_EUlS1A_E_NS1_11comp_targetILNS1_3genE9ELNS1_11target_archE1100ELNS1_3gpuE3ELNS1_3repE0EEENS1_30default_config_static_selectorELNS0_4arch9wavefront6targetE0EEEvT1_.uses_flat_scratch, 0
	.set _ZN7rocprim17ROCPRIM_400000_NS6detail17trampoline_kernelINS0_14default_configENS1_25partition_config_selectorILNS1_17partition_subalgoE5EtNS0_10empty_typeEbEEZZNS1_14partition_implILS5_5ELb0ES3_mN6thrust23THRUST_200600_302600_NS6detail15normal_iteratorINSA_10device_ptrItEEEEPS6_NSA_18transform_iteratorINSB_9not_fun_tI7is_trueItEEENSC_INSD_IbEEEENSA_11use_defaultESO_EENS0_5tupleIJNSA_16discard_iteratorISO_EES6_EEENSQ_IJSG_SG_EEES6_PlJS6_EEE10hipError_tPvRmT3_T4_T5_T6_T7_T9_mT8_P12ihipStream_tbDpT10_ENKUlT_T0_E_clISt17integral_constantIbLb0EES1E_IbLb1EEEEDaS1A_S1B_EUlS1A_E_NS1_11comp_targetILNS1_3genE9ELNS1_11target_archE1100ELNS1_3gpuE3ELNS1_3repE0EEENS1_30default_config_static_selectorELNS0_4arch9wavefront6targetE0EEEvT1_.has_dyn_sized_stack, 0
	.set _ZN7rocprim17ROCPRIM_400000_NS6detail17trampoline_kernelINS0_14default_configENS1_25partition_config_selectorILNS1_17partition_subalgoE5EtNS0_10empty_typeEbEEZZNS1_14partition_implILS5_5ELb0ES3_mN6thrust23THRUST_200600_302600_NS6detail15normal_iteratorINSA_10device_ptrItEEEEPS6_NSA_18transform_iteratorINSB_9not_fun_tI7is_trueItEEENSC_INSD_IbEEEENSA_11use_defaultESO_EENS0_5tupleIJNSA_16discard_iteratorISO_EES6_EEENSQ_IJSG_SG_EEES6_PlJS6_EEE10hipError_tPvRmT3_T4_T5_T6_T7_T9_mT8_P12ihipStream_tbDpT10_ENKUlT_T0_E_clISt17integral_constantIbLb0EES1E_IbLb1EEEEDaS1A_S1B_EUlS1A_E_NS1_11comp_targetILNS1_3genE9ELNS1_11target_archE1100ELNS1_3gpuE3ELNS1_3repE0EEENS1_30default_config_static_selectorELNS0_4arch9wavefront6targetE0EEEvT1_.has_recursion, 0
	.set _ZN7rocprim17ROCPRIM_400000_NS6detail17trampoline_kernelINS0_14default_configENS1_25partition_config_selectorILNS1_17partition_subalgoE5EtNS0_10empty_typeEbEEZZNS1_14partition_implILS5_5ELb0ES3_mN6thrust23THRUST_200600_302600_NS6detail15normal_iteratorINSA_10device_ptrItEEEEPS6_NSA_18transform_iteratorINSB_9not_fun_tI7is_trueItEEENSC_INSD_IbEEEENSA_11use_defaultESO_EENS0_5tupleIJNSA_16discard_iteratorISO_EES6_EEENSQ_IJSG_SG_EEES6_PlJS6_EEE10hipError_tPvRmT3_T4_T5_T6_T7_T9_mT8_P12ihipStream_tbDpT10_ENKUlT_T0_E_clISt17integral_constantIbLb0EES1E_IbLb1EEEEDaS1A_S1B_EUlS1A_E_NS1_11comp_targetILNS1_3genE9ELNS1_11target_archE1100ELNS1_3gpuE3ELNS1_3repE0EEENS1_30default_config_static_selectorELNS0_4arch9wavefront6targetE0EEEvT1_.has_indirect_call, 0
	.section	.AMDGPU.csdata,"",@progbits
; Kernel info:
; codeLenInByte = 0
; TotalNumSgprs: 0
; NumVgprs: 0
; ScratchSize: 0
; MemoryBound: 0
; FloatMode: 240
; IeeeMode: 1
; LDSByteSize: 0 bytes/workgroup (compile time only)
; SGPRBlocks: 0
; VGPRBlocks: 0
; NumSGPRsForWavesPerEU: 1
; NumVGPRsForWavesPerEU: 1
; Occupancy: 16
; WaveLimiterHint : 0
; COMPUTE_PGM_RSRC2:SCRATCH_EN: 0
; COMPUTE_PGM_RSRC2:USER_SGPR: 2
; COMPUTE_PGM_RSRC2:TRAP_HANDLER: 0
; COMPUTE_PGM_RSRC2:TGID_X_EN: 1
; COMPUTE_PGM_RSRC2:TGID_Y_EN: 0
; COMPUTE_PGM_RSRC2:TGID_Z_EN: 0
; COMPUTE_PGM_RSRC2:TIDIG_COMP_CNT: 0
	.section	.text._ZN7rocprim17ROCPRIM_400000_NS6detail17trampoline_kernelINS0_14default_configENS1_25partition_config_selectorILNS1_17partition_subalgoE5EtNS0_10empty_typeEbEEZZNS1_14partition_implILS5_5ELb0ES3_mN6thrust23THRUST_200600_302600_NS6detail15normal_iteratorINSA_10device_ptrItEEEEPS6_NSA_18transform_iteratorINSB_9not_fun_tI7is_trueItEEENSC_INSD_IbEEEENSA_11use_defaultESO_EENS0_5tupleIJNSA_16discard_iteratorISO_EES6_EEENSQ_IJSG_SG_EEES6_PlJS6_EEE10hipError_tPvRmT3_T4_T5_T6_T7_T9_mT8_P12ihipStream_tbDpT10_ENKUlT_T0_E_clISt17integral_constantIbLb0EES1E_IbLb1EEEEDaS1A_S1B_EUlS1A_E_NS1_11comp_targetILNS1_3genE8ELNS1_11target_archE1030ELNS1_3gpuE2ELNS1_3repE0EEENS1_30default_config_static_selectorELNS0_4arch9wavefront6targetE0EEEvT1_,"axG",@progbits,_ZN7rocprim17ROCPRIM_400000_NS6detail17trampoline_kernelINS0_14default_configENS1_25partition_config_selectorILNS1_17partition_subalgoE5EtNS0_10empty_typeEbEEZZNS1_14partition_implILS5_5ELb0ES3_mN6thrust23THRUST_200600_302600_NS6detail15normal_iteratorINSA_10device_ptrItEEEEPS6_NSA_18transform_iteratorINSB_9not_fun_tI7is_trueItEEENSC_INSD_IbEEEENSA_11use_defaultESO_EENS0_5tupleIJNSA_16discard_iteratorISO_EES6_EEENSQ_IJSG_SG_EEES6_PlJS6_EEE10hipError_tPvRmT3_T4_T5_T6_T7_T9_mT8_P12ihipStream_tbDpT10_ENKUlT_T0_E_clISt17integral_constantIbLb0EES1E_IbLb1EEEEDaS1A_S1B_EUlS1A_E_NS1_11comp_targetILNS1_3genE8ELNS1_11target_archE1030ELNS1_3gpuE2ELNS1_3repE0EEENS1_30default_config_static_selectorELNS0_4arch9wavefront6targetE0EEEvT1_,comdat
	.protected	_ZN7rocprim17ROCPRIM_400000_NS6detail17trampoline_kernelINS0_14default_configENS1_25partition_config_selectorILNS1_17partition_subalgoE5EtNS0_10empty_typeEbEEZZNS1_14partition_implILS5_5ELb0ES3_mN6thrust23THRUST_200600_302600_NS6detail15normal_iteratorINSA_10device_ptrItEEEEPS6_NSA_18transform_iteratorINSB_9not_fun_tI7is_trueItEEENSC_INSD_IbEEEENSA_11use_defaultESO_EENS0_5tupleIJNSA_16discard_iteratorISO_EES6_EEENSQ_IJSG_SG_EEES6_PlJS6_EEE10hipError_tPvRmT3_T4_T5_T6_T7_T9_mT8_P12ihipStream_tbDpT10_ENKUlT_T0_E_clISt17integral_constantIbLb0EES1E_IbLb1EEEEDaS1A_S1B_EUlS1A_E_NS1_11comp_targetILNS1_3genE8ELNS1_11target_archE1030ELNS1_3gpuE2ELNS1_3repE0EEENS1_30default_config_static_selectorELNS0_4arch9wavefront6targetE0EEEvT1_ ; -- Begin function _ZN7rocprim17ROCPRIM_400000_NS6detail17trampoline_kernelINS0_14default_configENS1_25partition_config_selectorILNS1_17partition_subalgoE5EtNS0_10empty_typeEbEEZZNS1_14partition_implILS5_5ELb0ES3_mN6thrust23THRUST_200600_302600_NS6detail15normal_iteratorINSA_10device_ptrItEEEEPS6_NSA_18transform_iteratorINSB_9not_fun_tI7is_trueItEEENSC_INSD_IbEEEENSA_11use_defaultESO_EENS0_5tupleIJNSA_16discard_iteratorISO_EES6_EEENSQ_IJSG_SG_EEES6_PlJS6_EEE10hipError_tPvRmT3_T4_T5_T6_T7_T9_mT8_P12ihipStream_tbDpT10_ENKUlT_T0_E_clISt17integral_constantIbLb0EES1E_IbLb1EEEEDaS1A_S1B_EUlS1A_E_NS1_11comp_targetILNS1_3genE8ELNS1_11target_archE1030ELNS1_3gpuE2ELNS1_3repE0EEENS1_30default_config_static_selectorELNS0_4arch9wavefront6targetE0EEEvT1_
	.globl	_ZN7rocprim17ROCPRIM_400000_NS6detail17trampoline_kernelINS0_14default_configENS1_25partition_config_selectorILNS1_17partition_subalgoE5EtNS0_10empty_typeEbEEZZNS1_14partition_implILS5_5ELb0ES3_mN6thrust23THRUST_200600_302600_NS6detail15normal_iteratorINSA_10device_ptrItEEEEPS6_NSA_18transform_iteratorINSB_9not_fun_tI7is_trueItEEENSC_INSD_IbEEEENSA_11use_defaultESO_EENS0_5tupleIJNSA_16discard_iteratorISO_EES6_EEENSQ_IJSG_SG_EEES6_PlJS6_EEE10hipError_tPvRmT3_T4_T5_T6_T7_T9_mT8_P12ihipStream_tbDpT10_ENKUlT_T0_E_clISt17integral_constantIbLb0EES1E_IbLb1EEEEDaS1A_S1B_EUlS1A_E_NS1_11comp_targetILNS1_3genE8ELNS1_11target_archE1030ELNS1_3gpuE2ELNS1_3repE0EEENS1_30default_config_static_selectorELNS0_4arch9wavefront6targetE0EEEvT1_
	.p2align	8
	.type	_ZN7rocprim17ROCPRIM_400000_NS6detail17trampoline_kernelINS0_14default_configENS1_25partition_config_selectorILNS1_17partition_subalgoE5EtNS0_10empty_typeEbEEZZNS1_14partition_implILS5_5ELb0ES3_mN6thrust23THRUST_200600_302600_NS6detail15normal_iteratorINSA_10device_ptrItEEEEPS6_NSA_18transform_iteratorINSB_9not_fun_tI7is_trueItEEENSC_INSD_IbEEEENSA_11use_defaultESO_EENS0_5tupleIJNSA_16discard_iteratorISO_EES6_EEENSQ_IJSG_SG_EEES6_PlJS6_EEE10hipError_tPvRmT3_T4_T5_T6_T7_T9_mT8_P12ihipStream_tbDpT10_ENKUlT_T0_E_clISt17integral_constantIbLb0EES1E_IbLb1EEEEDaS1A_S1B_EUlS1A_E_NS1_11comp_targetILNS1_3genE8ELNS1_11target_archE1030ELNS1_3gpuE2ELNS1_3repE0EEENS1_30default_config_static_selectorELNS0_4arch9wavefront6targetE0EEEvT1_,@function
_ZN7rocprim17ROCPRIM_400000_NS6detail17trampoline_kernelINS0_14default_configENS1_25partition_config_selectorILNS1_17partition_subalgoE5EtNS0_10empty_typeEbEEZZNS1_14partition_implILS5_5ELb0ES3_mN6thrust23THRUST_200600_302600_NS6detail15normal_iteratorINSA_10device_ptrItEEEEPS6_NSA_18transform_iteratorINSB_9not_fun_tI7is_trueItEEENSC_INSD_IbEEEENSA_11use_defaultESO_EENS0_5tupleIJNSA_16discard_iteratorISO_EES6_EEENSQ_IJSG_SG_EEES6_PlJS6_EEE10hipError_tPvRmT3_T4_T5_T6_T7_T9_mT8_P12ihipStream_tbDpT10_ENKUlT_T0_E_clISt17integral_constantIbLb0EES1E_IbLb1EEEEDaS1A_S1B_EUlS1A_E_NS1_11comp_targetILNS1_3genE8ELNS1_11target_archE1030ELNS1_3gpuE2ELNS1_3repE0EEENS1_30default_config_static_selectorELNS0_4arch9wavefront6targetE0EEEvT1_: ; @_ZN7rocprim17ROCPRIM_400000_NS6detail17trampoline_kernelINS0_14default_configENS1_25partition_config_selectorILNS1_17partition_subalgoE5EtNS0_10empty_typeEbEEZZNS1_14partition_implILS5_5ELb0ES3_mN6thrust23THRUST_200600_302600_NS6detail15normal_iteratorINSA_10device_ptrItEEEEPS6_NSA_18transform_iteratorINSB_9not_fun_tI7is_trueItEEENSC_INSD_IbEEEENSA_11use_defaultESO_EENS0_5tupleIJNSA_16discard_iteratorISO_EES6_EEENSQ_IJSG_SG_EEES6_PlJS6_EEE10hipError_tPvRmT3_T4_T5_T6_T7_T9_mT8_P12ihipStream_tbDpT10_ENKUlT_T0_E_clISt17integral_constantIbLb0EES1E_IbLb1EEEEDaS1A_S1B_EUlS1A_E_NS1_11comp_targetILNS1_3genE8ELNS1_11target_archE1030ELNS1_3gpuE2ELNS1_3repE0EEENS1_30default_config_static_selectorELNS0_4arch9wavefront6targetE0EEEvT1_
; %bb.0:
	.section	.rodata,"a",@progbits
	.p2align	6, 0x0
	.amdhsa_kernel _ZN7rocprim17ROCPRIM_400000_NS6detail17trampoline_kernelINS0_14default_configENS1_25partition_config_selectorILNS1_17partition_subalgoE5EtNS0_10empty_typeEbEEZZNS1_14partition_implILS5_5ELb0ES3_mN6thrust23THRUST_200600_302600_NS6detail15normal_iteratorINSA_10device_ptrItEEEEPS6_NSA_18transform_iteratorINSB_9not_fun_tI7is_trueItEEENSC_INSD_IbEEEENSA_11use_defaultESO_EENS0_5tupleIJNSA_16discard_iteratorISO_EES6_EEENSQ_IJSG_SG_EEES6_PlJS6_EEE10hipError_tPvRmT3_T4_T5_T6_T7_T9_mT8_P12ihipStream_tbDpT10_ENKUlT_T0_E_clISt17integral_constantIbLb0EES1E_IbLb1EEEEDaS1A_S1B_EUlS1A_E_NS1_11comp_targetILNS1_3genE8ELNS1_11target_archE1030ELNS1_3gpuE2ELNS1_3repE0EEENS1_30default_config_static_selectorELNS0_4arch9wavefront6targetE0EEEvT1_
		.amdhsa_group_segment_fixed_size 0
		.amdhsa_private_segment_fixed_size 0
		.amdhsa_kernarg_size 144
		.amdhsa_user_sgpr_count 2
		.amdhsa_user_sgpr_dispatch_ptr 0
		.amdhsa_user_sgpr_queue_ptr 0
		.amdhsa_user_sgpr_kernarg_segment_ptr 1
		.amdhsa_user_sgpr_dispatch_id 0
		.amdhsa_user_sgpr_private_segment_size 0
		.amdhsa_wavefront_size32 1
		.amdhsa_uses_dynamic_stack 0
		.amdhsa_enable_private_segment 0
		.amdhsa_system_sgpr_workgroup_id_x 1
		.amdhsa_system_sgpr_workgroup_id_y 0
		.amdhsa_system_sgpr_workgroup_id_z 0
		.amdhsa_system_sgpr_workgroup_info 0
		.amdhsa_system_vgpr_workitem_id 0
		.amdhsa_next_free_vgpr 1
		.amdhsa_next_free_sgpr 1
		.amdhsa_reserve_vcc 0
		.amdhsa_float_round_mode_32 0
		.amdhsa_float_round_mode_16_64 0
		.amdhsa_float_denorm_mode_32 3
		.amdhsa_float_denorm_mode_16_64 3
		.amdhsa_fp16_overflow 0
		.amdhsa_workgroup_processor_mode 1
		.amdhsa_memory_ordered 1
		.amdhsa_forward_progress 1
		.amdhsa_inst_pref_size 0
		.amdhsa_round_robin_scheduling 0
		.amdhsa_exception_fp_ieee_invalid_op 0
		.amdhsa_exception_fp_denorm_src 0
		.amdhsa_exception_fp_ieee_div_zero 0
		.amdhsa_exception_fp_ieee_overflow 0
		.amdhsa_exception_fp_ieee_underflow 0
		.amdhsa_exception_fp_ieee_inexact 0
		.amdhsa_exception_int_div_zero 0
	.end_amdhsa_kernel
	.section	.text._ZN7rocprim17ROCPRIM_400000_NS6detail17trampoline_kernelINS0_14default_configENS1_25partition_config_selectorILNS1_17partition_subalgoE5EtNS0_10empty_typeEbEEZZNS1_14partition_implILS5_5ELb0ES3_mN6thrust23THRUST_200600_302600_NS6detail15normal_iteratorINSA_10device_ptrItEEEEPS6_NSA_18transform_iteratorINSB_9not_fun_tI7is_trueItEEENSC_INSD_IbEEEENSA_11use_defaultESO_EENS0_5tupleIJNSA_16discard_iteratorISO_EES6_EEENSQ_IJSG_SG_EEES6_PlJS6_EEE10hipError_tPvRmT3_T4_T5_T6_T7_T9_mT8_P12ihipStream_tbDpT10_ENKUlT_T0_E_clISt17integral_constantIbLb0EES1E_IbLb1EEEEDaS1A_S1B_EUlS1A_E_NS1_11comp_targetILNS1_3genE8ELNS1_11target_archE1030ELNS1_3gpuE2ELNS1_3repE0EEENS1_30default_config_static_selectorELNS0_4arch9wavefront6targetE0EEEvT1_,"axG",@progbits,_ZN7rocprim17ROCPRIM_400000_NS6detail17trampoline_kernelINS0_14default_configENS1_25partition_config_selectorILNS1_17partition_subalgoE5EtNS0_10empty_typeEbEEZZNS1_14partition_implILS5_5ELb0ES3_mN6thrust23THRUST_200600_302600_NS6detail15normal_iteratorINSA_10device_ptrItEEEEPS6_NSA_18transform_iteratorINSB_9not_fun_tI7is_trueItEEENSC_INSD_IbEEEENSA_11use_defaultESO_EENS0_5tupleIJNSA_16discard_iteratorISO_EES6_EEENSQ_IJSG_SG_EEES6_PlJS6_EEE10hipError_tPvRmT3_T4_T5_T6_T7_T9_mT8_P12ihipStream_tbDpT10_ENKUlT_T0_E_clISt17integral_constantIbLb0EES1E_IbLb1EEEEDaS1A_S1B_EUlS1A_E_NS1_11comp_targetILNS1_3genE8ELNS1_11target_archE1030ELNS1_3gpuE2ELNS1_3repE0EEENS1_30default_config_static_selectorELNS0_4arch9wavefront6targetE0EEEvT1_,comdat
.Lfunc_end2748:
	.size	_ZN7rocprim17ROCPRIM_400000_NS6detail17trampoline_kernelINS0_14default_configENS1_25partition_config_selectorILNS1_17partition_subalgoE5EtNS0_10empty_typeEbEEZZNS1_14partition_implILS5_5ELb0ES3_mN6thrust23THRUST_200600_302600_NS6detail15normal_iteratorINSA_10device_ptrItEEEEPS6_NSA_18transform_iteratorINSB_9not_fun_tI7is_trueItEEENSC_INSD_IbEEEENSA_11use_defaultESO_EENS0_5tupleIJNSA_16discard_iteratorISO_EES6_EEENSQ_IJSG_SG_EEES6_PlJS6_EEE10hipError_tPvRmT3_T4_T5_T6_T7_T9_mT8_P12ihipStream_tbDpT10_ENKUlT_T0_E_clISt17integral_constantIbLb0EES1E_IbLb1EEEEDaS1A_S1B_EUlS1A_E_NS1_11comp_targetILNS1_3genE8ELNS1_11target_archE1030ELNS1_3gpuE2ELNS1_3repE0EEENS1_30default_config_static_selectorELNS0_4arch9wavefront6targetE0EEEvT1_, .Lfunc_end2748-_ZN7rocprim17ROCPRIM_400000_NS6detail17trampoline_kernelINS0_14default_configENS1_25partition_config_selectorILNS1_17partition_subalgoE5EtNS0_10empty_typeEbEEZZNS1_14partition_implILS5_5ELb0ES3_mN6thrust23THRUST_200600_302600_NS6detail15normal_iteratorINSA_10device_ptrItEEEEPS6_NSA_18transform_iteratorINSB_9not_fun_tI7is_trueItEEENSC_INSD_IbEEEENSA_11use_defaultESO_EENS0_5tupleIJNSA_16discard_iteratorISO_EES6_EEENSQ_IJSG_SG_EEES6_PlJS6_EEE10hipError_tPvRmT3_T4_T5_T6_T7_T9_mT8_P12ihipStream_tbDpT10_ENKUlT_T0_E_clISt17integral_constantIbLb0EES1E_IbLb1EEEEDaS1A_S1B_EUlS1A_E_NS1_11comp_targetILNS1_3genE8ELNS1_11target_archE1030ELNS1_3gpuE2ELNS1_3repE0EEENS1_30default_config_static_selectorELNS0_4arch9wavefront6targetE0EEEvT1_
                                        ; -- End function
	.set _ZN7rocprim17ROCPRIM_400000_NS6detail17trampoline_kernelINS0_14default_configENS1_25partition_config_selectorILNS1_17partition_subalgoE5EtNS0_10empty_typeEbEEZZNS1_14partition_implILS5_5ELb0ES3_mN6thrust23THRUST_200600_302600_NS6detail15normal_iteratorINSA_10device_ptrItEEEEPS6_NSA_18transform_iteratorINSB_9not_fun_tI7is_trueItEEENSC_INSD_IbEEEENSA_11use_defaultESO_EENS0_5tupleIJNSA_16discard_iteratorISO_EES6_EEENSQ_IJSG_SG_EEES6_PlJS6_EEE10hipError_tPvRmT3_T4_T5_T6_T7_T9_mT8_P12ihipStream_tbDpT10_ENKUlT_T0_E_clISt17integral_constantIbLb0EES1E_IbLb1EEEEDaS1A_S1B_EUlS1A_E_NS1_11comp_targetILNS1_3genE8ELNS1_11target_archE1030ELNS1_3gpuE2ELNS1_3repE0EEENS1_30default_config_static_selectorELNS0_4arch9wavefront6targetE0EEEvT1_.num_vgpr, 0
	.set _ZN7rocprim17ROCPRIM_400000_NS6detail17trampoline_kernelINS0_14default_configENS1_25partition_config_selectorILNS1_17partition_subalgoE5EtNS0_10empty_typeEbEEZZNS1_14partition_implILS5_5ELb0ES3_mN6thrust23THRUST_200600_302600_NS6detail15normal_iteratorINSA_10device_ptrItEEEEPS6_NSA_18transform_iteratorINSB_9not_fun_tI7is_trueItEEENSC_INSD_IbEEEENSA_11use_defaultESO_EENS0_5tupleIJNSA_16discard_iteratorISO_EES6_EEENSQ_IJSG_SG_EEES6_PlJS6_EEE10hipError_tPvRmT3_T4_T5_T6_T7_T9_mT8_P12ihipStream_tbDpT10_ENKUlT_T0_E_clISt17integral_constantIbLb0EES1E_IbLb1EEEEDaS1A_S1B_EUlS1A_E_NS1_11comp_targetILNS1_3genE8ELNS1_11target_archE1030ELNS1_3gpuE2ELNS1_3repE0EEENS1_30default_config_static_selectorELNS0_4arch9wavefront6targetE0EEEvT1_.num_agpr, 0
	.set _ZN7rocprim17ROCPRIM_400000_NS6detail17trampoline_kernelINS0_14default_configENS1_25partition_config_selectorILNS1_17partition_subalgoE5EtNS0_10empty_typeEbEEZZNS1_14partition_implILS5_5ELb0ES3_mN6thrust23THRUST_200600_302600_NS6detail15normal_iteratorINSA_10device_ptrItEEEEPS6_NSA_18transform_iteratorINSB_9not_fun_tI7is_trueItEEENSC_INSD_IbEEEENSA_11use_defaultESO_EENS0_5tupleIJNSA_16discard_iteratorISO_EES6_EEENSQ_IJSG_SG_EEES6_PlJS6_EEE10hipError_tPvRmT3_T4_T5_T6_T7_T9_mT8_P12ihipStream_tbDpT10_ENKUlT_T0_E_clISt17integral_constantIbLb0EES1E_IbLb1EEEEDaS1A_S1B_EUlS1A_E_NS1_11comp_targetILNS1_3genE8ELNS1_11target_archE1030ELNS1_3gpuE2ELNS1_3repE0EEENS1_30default_config_static_selectorELNS0_4arch9wavefront6targetE0EEEvT1_.numbered_sgpr, 0
	.set _ZN7rocprim17ROCPRIM_400000_NS6detail17trampoline_kernelINS0_14default_configENS1_25partition_config_selectorILNS1_17partition_subalgoE5EtNS0_10empty_typeEbEEZZNS1_14partition_implILS5_5ELb0ES3_mN6thrust23THRUST_200600_302600_NS6detail15normal_iteratorINSA_10device_ptrItEEEEPS6_NSA_18transform_iteratorINSB_9not_fun_tI7is_trueItEEENSC_INSD_IbEEEENSA_11use_defaultESO_EENS0_5tupleIJNSA_16discard_iteratorISO_EES6_EEENSQ_IJSG_SG_EEES6_PlJS6_EEE10hipError_tPvRmT3_T4_T5_T6_T7_T9_mT8_P12ihipStream_tbDpT10_ENKUlT_T0_E_clISt17integral_constantIbLb0EES1E_IbLb1EEEEDaS1A_S1B_EUlS1A_E_NS1_11comp_targetILNS1_3genE8ELNS1_11target_archE1030ELNS1_3gpuE2ELNS1_3repE0EEENS1_30default_config_static_selectorELNS0_4arch9wavefront6targetE0EEEvT1_.num_named_barrier, 0
	.set _ZN7rocprim17ROCPRIM_400000_NS6detail17trampoline_kernelINS0_14default_configENS1_25partition_config_selectorILNS1_17partition_subalgoE5EtNS0_10empty_typeEbEEZZNS1_14partition_implILS5_5ELb0ES3_mN6thrust23THRUST_200600_302600_NS6detail15normal_iteratorINSA_10device_ptrItEEEEPS6_NSA_18transform_iteratorINSB_9not_fun_tI7is_trueItEEENSC_INSD_IbEEEENSA_11use_defaultESO_EENS0_5tupleIJNSA_16discard_iteratorISO_EES6_EEENSQ_IJSG_SG_EEES6_PlJS6_EEE10hipError_tPvRmT3_T4_T5_T6_T7_T9_mT8_P12ihipStream_tbDpT10_ENKUlT_T0_E_clISt17integral_constantIbLb0EES1E_IbLb1EEEEDaS1A_S1B_EUlS1A_E_NS1_11comp_targetILNS1_3genE8ELNS1_11target_archE1030ELNS1_3gpuE2ELNS1_3repE0EEENS1_30default_config_static_selectorELNS0_4arch9wavefront6targetE0EEEvT1_.private_seg_size, 0
	.set _ZN7rocprim17ROCPRIM_400000_NS6detail17trampoline_kernelINS0_14default_configENS1_25partition_config_selectorILNS1_17partition_subalgoE5EtNS0_10empty_typeEbEEZZNS1_14partition_implILS5_5ELb0ES3_mN6thrust23THRUST_200600_302600_NS6detail15normal_iteratorINSA_10device_ptrItEEEEPS6_NSA_18transform_iteratorINSB_9not_fun_tI7is_trueItEEENSC_INSD_IbEEEENSA_11use_defaultESO_EENS0_5tupleIJNSA_16discard_iteratorISO_EES6_EEENSQ_IJSG_SG_EEES6_PlJS6_EEE10hipError_tPvRmT3_T4_T5_T6_T7_T9_mT8_P12ihipStream_tbDpT10_ENKUlT_T0_E_clISt17integral_constantIbLb0EES1E_IbLb1EEEEDaS1A_S1B_EUlS1A_E_NS1_11comp_targetILNS1_3genE8ELNS1_11target_archE1030ELNS1_3gpuE2ELNS1_3repE0EEENS1_30default_config_static_selectorELNS0_4arch9wavefront6targetE0EEEvT1_.uses_vcc, 0
	.set _ZN7rocprim17ROCPRIM_400000_NS6detail17trampoline_kernelINS0_14default_configENS1_25partition_config_selectorILNS1_17partition_subalgoE5EtNS0_10empty_typeEbEEZZNS1_14partition_implILS5_5ELb0ES3_mN6thrust23THRUST_200600_302600_NS6detail15normal_iteratorINSA_10device_ptrItEEEEPS6_NSA_18transform_iteratorINSB_9not_fun_tI7is_trueItEEENSC_INSD_IbEEEENSA_11use_defaultESO_EENS0_5tupleIJNSA_16discard_iteratorISO_EES6_EEENSQ_IJSG_SG_EEES6_PlJS6_EEE10hipError_tPvRmT3_T4_T5_T6_T7_T9_mT8_P12ihipStream_tbDpT10_ENKUlT_T0_E_clISt17integral_constantIbLb0EES1E_IbLb1EEEEDaS1A_S1B_EUlS1A_E_NS1_11comp_targetILNS1_3genE8ELNS1_11target_archE1030ELNS1_3gpuE2ELNS1_3repE0EEENS1_30default_config_static_selectorELNS0_4arch9wavefront6targetE0EEEvT1_.uses_flat_scratch, 0
	.set _ZN7rocprim17ROCPRIM_400000_NS6detail17trampoline_kernelINS0_14default_configENS1_25partition_config_selectorILNS1_17partition_subalgoE5EtNS0_10empty_typeEbEEZZNS1_14partition_implILS5_5ELb0ES3_mN6thrust23THRUST_200600_302600_NS6detail15normal_iteratorINSA_10device_ptrItEEEEPS6_NSA_18transform_iteratorINSB_9not_fun_tI7is_trueItEEENSC_INSD_IbEEEENSA_11use_defaultESO_EENS0_5tupleIJNSA_16discard_iteratorISO_EES6_EEENSQ_IJSG_SG_EEES6_PlJS6_EEE10hipError_tPvRmT3_T4_T5_T6_T7_T9_mT8_P12ihipStream_tbDpT10_ENKUlT_T0_E_clISt17integral_constantIbLb0EES1E_IbLb1EEEEDaS1A_S1B_EUlS1A_E_NS1_11comp_targetILNS1_3genE8ELNS1_11target_archE1030ELNS1_3gpuE2ELNS1_3repE0EEENS1_30default_config_static_selectorELNS0_4arch9wavefront6targetE0EEEvT1_.has_dyn_sized_stack, 0
	.set _ZN7rocprim17ROCPRIM_400000_NS6detail17trampoline_kernelINS0_14default_configENS1_25partition_config_selectorILNS1_17partition_subalgoE5EtNS0_10empty_typeEbEEZZNS1_14partition_implILS5_5ELb0ES3_mN6thrust23THRUST_200600_302600_NS6detail15normal_iteratorINSA_10device_ptrItEEEEPS6_NSA_18transform_iteratorINSB_9not_fun_tI7is_trueItEEENSC_INSD_IbEEEENSA_11use_defaultESO_EENS0_5tupleIJNSA_16discard_iteratorISO_EES6_EEENSQ_IJSG_SG_EEES6_PlJS6_EEE10hipError_tPvRmT3_T4_T5_T6_T7_T9_mT8_P12ihipStream_tbDpT10_ENKUlT_T0_E_clISt17integral_constantIbLb0EES1E_IbLb1EEEEDaS1A_S1B_EUlS1A_E_NS1_11comp_targetILNS1_3genE8ELNS1_11target_archE1030ELNS1_3gpuE2ELNS1_3repE0EEENS1_30default_config_static_selectorELNS0_4arch9wavefront6targetE0EEEvT1_.has_recursion, 0
	.set _ZN7rocprim17ROCPRIM_400000_NS6detail17trampoline_kernelINS0_14default_configENS1_25partition_config_selectorILNS1_17partition_subalgoE5EtNS0_10empty_typeEbEEZZNS1_14partition_implILS5_5ELb0ES3_mN6thrust23THRUST_200600_302600_NS6detail15normal_iteratorINSA_10device_ptrItEEEEPS6_NSA_18transform_iteratorINSB_9not_fun_tI7is_trueItEEENSC_INSD_IbEEEENSA_11use_defaultESO_EENS0_5tupleIJNSA_16discard_iteratorISO_EES6_EEENSQ_IJSG_SG_EEES6_PlJS6_EEE10hipError_tPvRmT3_T4_T5_T6_T7_T9_mT8_P12ihipStream_tbDpT10_ENKUlT_T0_E_clISt17integral_constantIbLb0EES1E_IbLb1EEEEDaS1A_S1B_EUlS1A_E_NS1_11comp_targetILNS1_3genE8ELNS1_11target_archE1030ELNS1_3gpuE2ELNS1_3repE0EEENS1_30default_config_static_selectorELNS0_4arch9wavefront6targetE0EEEvT1_.has_indirect_call, 0
	.section	.AMDGPU.csdata,"",@progbits
; Kernel info:
; codeLenInByte = 0
; TotalNumSgprs: 0
; NumVgprs: 0
; ScratchSize: 0
; MemoryBound: 0
; FloatMode: 240
; IeeeMode: 1
; LDSByteSize: 0 bytes/workgroup (compile time only)
; SGPRBlocks: 0
; VGPRBlocks: 0
; NumSGPRsForWavesPerEU: 1
; NumVGPRsForWavesPerEU: 1
; Occupancy: 16
; WaveLimiterHint : 0
; COMPUTE_PGM_RSRC2:SCRATCH_EN: 0
; COMPUTE_PGM_RSRC2:USER_SGPR: 2
; COMPUTE_PGM_RSRC2:TRAP_HANDLER: 0
; COMPUTE_PGM_RSRC2:TGID_X_EN: 1
; COMPUTE_PGM_RSRC2:TGID_Y_EN: 0
; COMPUTE_PGM_RSRC2:TGID_Z_EN: 0
; COMPUTE_PGM_RSRC2:TIDIG_COMP_CNT: 0
	.section	.text._ZN7rocprim17ROCPRIM_400000_NS6detail17trampoline_kernelINS0_14default_configENS1_25partition_config_selectorILNS1_17partition_subalgoE5ExNS0_10empty_typeEbEEZZNS1_14partition_implILS5_5ELb0ES3_mN6thrust23THRUST_200600_302600_NS6detail15normal_iteratorINSA_10device_ptrIxEEEEPS6_NSA_18transform_iteratorINSB_9not_fun_tI7is_trueIxEEENSC_INSD_IbEEEENSA_11use_defaultESO_EENS0_5tupleIJNSA_16discard_iteratorISO_EES6_EEENSQ_IJSG_SG_EEES6_PlJS6_EEE10hipError_tPvRmT3_T4_T5_T6_T7_T9_mT8_P12ihipStream_tbDpT10_ENKUlT_T0_E_clISt17integral_constantIbLb0EES1F_EEDaS1A_S1B_EUlS1A_E_NS1_11comp_targetILNS1_3genE0ELNS1_11target_archE4294967295ELNS1_3gpuE0ELNS1_3repE0EEENS1_30default_config_static_selectorELNS0_4arch9wavefront6targetE0EEEvT1_,"axG",@progbits,_ZN7rocprim17ROCPRIM_400000_NS6detail17trampoline_kernelINS0_14default_configENS1_25partition_config_selectorILNS1_17partition_subalgoE5ExNS0_10empty_typeEbEEZZNS1_14partition_implILS5_5ELb0ES3_mN6thrust23THRUST_200600_302600_NS6detail15normal_iteratorINSA_10device_ptrIxEEEEPS6_NSA_18transform_iteratorINSB_9not_fun_tI7is_trueIxEEENSC_INSD_IbEEEENSA_11use_defaultESO_EENS0_5tupleIJNSA_16discard_iteratorISO_EES6_EEENSQ_IJSG_SG_EEES6_PlJS6_EEE10hipError_tPvRmT3_T4_T5_T6_T7_T9_mT8_P12ihipStream_tbDpT10_ENKUlT_T0_E_clISt17integral_constantIbLb0EES1F_EEDaS1A_S1B_EUlS1A_E_NS1_11comp_targetILNS1_3genE0ELNS1_11target_archE4294967295ELNS1_3gpuE0ELNS1_3repE0EEENS1_30default_config_static_selectorELNS0_4arch9wavefront6targetE0EEEvT1_,comdat
	.protected	_ZN7rocprim17ROCPRIM_400000_NS6detail17trampoline_kernelINS0_14default_configENS1_25partition_config_selectorILNS1_17partition_subalgoE5ExNS0_10empty_typeEbEEZZNS1_14partition_implILS5_5ELb0ES3_mN6thrust23THRUST_200600_302600_NS6detail15normal_iteratorINSA_10device_ptrIxEEEEPS6_NSA_18transform_iteratorINSB_9not_fun_tI7is_trueIxEEENSC_INSD_IbEEEENSA_11use_defaultESO_EENS0_5tupleIJNSA_16discard_iteratorISO_EES6_EEENSQ_IJSG_SG_EEES6_PlJS6_EEE10hipError_tPvRmT3_T4_T5_T6_T7_T9_mT8_P12ihipStream_tbDpT10_ENKUlT_T0_E_clISt17integral_constantIbLb0EES1F_EEDaS1A_S1B_EUlS1A_E_NS1_11comp_targetILNS1_3genE0ELNS1_11target_archE4294967295ELNS1_3gpuE0ELNS1_3repE0EEENS1_30default_config_static_selectorELNS0_4arch9wavefront6targetE0EEEvT1_ ; -- Begin function _ZN7rocprim17ROCPRIM_400000_NS6detail17trampoline_kernelINS0_14default_configENS1_25partition_config_selectorILNS1_17partition_subalgoE5ExNS0_10empty_typeEbEEZZNS1_14partition_implILS5_5ELb0ES3_mN6thrust23THRUST_200600_302600_NS6detail15normal_iteratorINSA_10device_ptrIxEEEEPS6_NSA_18transform_iteratorINSB_9not_fun_tI7is_trueIxEEENSC_INSD_IbEEEENSA_11use_defaultESO_EENS0_5tupleIJNSA_16discard_iteratorISO_EES6_EEENSQ_IJSG_SG_EEES6_PlJS6_EEE10hipError_tPvRmT3_T4_T5_T6_T7_T9_mT8_P12ihipStream_tbDpT10_ENKUlT_T0_E_clISt17integral_constantIbLb0EES1F_EEDaS1A_S1B_EUlS1A_E_NS1_11comp_targetILNS1_3genE0ELNS1_11target_archE4294967295ELNS1_3gpuE0ELNS1_3repE0EEENS1_30default_config_static_selectorELNS0_4arch9wavefront6targetE0EEEvT1_
	.globl	_ZN7rocprim17ROCPRIM_400000_NS6detail17trampoline_kernelINS0_14default_configENS1_25partition_config_selectorILNS1_17partition_subalgoE5ExNS0_10empty_typeEbEEZZNS1_14partition_implILS5_5ELb0ES3_mN6thrust23THRUST_200600_302600_NS6detail15normal_iteratorINSA_10device_ptrIxEEEEPS6_NSA_18transform_iteratorINSB_9not_fun_tI7is_trueIxEEENSC_INSD_IbEEEENSA_11use_defaultESO_EENS0_5tupleIJNSA_16discard_iteratorISO_EES6_EEENSQ_IJSG_SG_EEES6_PlJS6_EEE10hipError_tPvRmT3_T4_T5_T6_T7_T9_mT8_P12ihipStream_tbDpT10_ENKUlT_T0_E_clISt17integral_constantIbLb0EES1F_EEDaS1A_S1B_EUlS1A_E_NS1_11comp_targetILNS1_3genE0ELNS1_11target_archE4294967295ELNS1_3gpuE0ELNS1_3repE0EEENS1_30default_config_static_selectorELNS0_4arch9wavefront6targetE0EEEvT1_
	.p2align	8
	.type	_ZN7rocprim17ROCPRIM_400000_NS6detail17trampoline_kernelINS0_14default_configENS1_25partition_config_selectorILNS1_17partition_subalgoE5ExNS0_10empty_typeEbEEZZNS1_14partition_implILS5_5ELb0ES3_mN6thrust23THRUST_200600_302600_NS6detail15normal_iteratorINSA_10device_ptrIxEEEEPS6_NSA_18transform_iteratorINSB_9not_fun_tI7is_trueIxEEENSC_INSD_IbEEEENSA_11use_defaultESO_EENS0_5tupleIJNSA_16discard_iteratorISO_EES6_EEENSQ_IJSG_SG_EEES6_PlJS6_EEE10hipError_tPvRmT3_T4_T5_T6_T7_T9_mT8_P12ihipStream_tbDpT10_ENKUlT_T0_E_clISt17integral_constantIbLb0EES1F_EEDaS1A_S1B_EUlS1A_E_NS1_11comp_targetILNS1_3genE0ELNS1_11target_archE4294967295ELNS1_3gpuE0ELNS1_3repE0EEENS1_30default_config_static_selectorELNS0_4arch9wavefront6targetE0EEEvT1_,@function
_ZN7rocprim17ROCPRIM_400000_NS6detail17trampoline_kernelINS0_14default_configENS1_25partition_config_selectorILNS1_17partition_subalgoE5ExNS0_10empty_typeEbEEZZNS1_14partition_implILS5_5ELb0ES3_mN6thrust23THRUST_200600_302600_NS6detail15normal_iteratorINSA_10device_ptrIxEEEEPS6_NSA_18transform_iteratorINSB_9not_fun_tI7is_trueIxEEENSC_INSD_IbEEEENSA_11use_defaultESO_EENS0_5tupleIJNSA_16discard_iteratorISO_EES6_EEENSQ_IJSG_SG_EEES6_PlJS6_EEE10hipError_tPvRmT3_T4_T5_T6_T7_T9_mT8_P12ihipStream_tbDpT10_ENKUlT_T0_E_clISt17integral_constantIbLb0EES1F_EEDaS1A_S1B_EUlS1A_E_NS1_11comp_targetILNS1_3genE0ELNS1_11target_archE4294967295ELNS1_3gpuE0ELNS1_3repE0EEENS1_30default_config_static_selectorELNS0_4arch9wavefront6targetE0EEEvT1_: ; @_ZN7rocprim17ROCPRIM_400000_NS6detail17trampoline_kernelINS0_14default_configENS1_25partition_config_selectorILNS1_17partition_subalgoE5ExNS0_10empty_typeEbEEZZNS1_14partition_implILS5_5ELb0ES3_mN6thrust23THRUST_200600_302600_NS6detail15normal_iteratorINSA_10device_ptrIxEEEEPS6_NSA_18transform_iteratorINSB_9not_fun_tI7is_trueIxEEENSC_INSD_IbEEEENSA_11use_defaultESO_EENS0_5tupleIJNSA_16discard_iteratorISO_EES6_EEENSQ_IJSG_SG_EEES6_PlJS6_EEE10hipError_tPvRmT3_T4_T5_T6_T7_T9_mT8_P12ihipStream_tbDpT10_ENKUlT_T0_E_clISt17integral_constantIbLb0EES1F_EEDaS1A_S1B_EUlS1A_E_NS1_11comp_targetILNS1_3genE0ELNS1_11target_archE4294967295ELNS1_3gpuE0ELNS1_3repE0EEENS1_30default_config_static_selectorELNS0_4arch9wavefront6targetE0EEEvT1_
; %bb.0:
	.section	.rodata,"a",@progbits
	.p2align	6, 0x0
	.amdhsa_kernel _ZN7rocprim17ROCPRIM_400000_NS6detail17trampoline_kernelINS0_14default_configENS1_25partition_config_selectorILNS1_17partition_subalgoE5ExNS0_10empty_typeEbEEZZNS1_14partition_implILS5_5ELb0ES3_mN6thrust23THRUST_200600_302600_NS6detail15normal_iteratorINSA_10device_ptrIxEEEEPS6_NSA_18transform_iteratorINSB_9not_fun_tI7is_trueIxEEENSC_INSD_IbEEEENSA_11use_defaultESO_EENS0_5tupleIJNSA_16discard_iteratorISO_EES6_EEENSQ_IJSG_SG_EEES6_PlJS6_EEE10hipError_tPvRmT3_T4_T5_T6_T7_T9_mT8_P12ihipStream_tbDpT10_ENKUlT_T0_E_clISt17integral_constantIbLb0EES1F_EEDaS1A_S1B_EUlS1A_E_NS1_11comp_targetILNS1_3genE0ELNS1_11target_archE4294967295ELNS1_3gpuE0ELNS1_3repE0EEENS1_30default_config_static_selectorELNS0_4arch9wavefront6targetE0EEEvT1_
		.amdhsa_group_segment_fixed_size 0
		.amdhsa_private_segment_fixed_size 0
		.amdhsa_kernarg_size 128
		.amdhsa_user_sgpr_count 2
		.amdhsa_user_sgpr_dispatch_ptr 0
		.amdhsa_user_sgpr_queue_ptr 0
		.amdhsa_user_sgpr_kernarg_segment_ptr 1
		.amdhsa_user_sgpr_dispatch_id 0
		.amdhsa_user_sgpr_private_segment_size 0
		.amdhsa_wavefront_size32 1
		.amdhsa_uses_dynamic_stack 0
		.amdhsa_enable_private_segment 0
		.amdhsa_system_sgpr_workgroup_id_x 1
		.amdhsa_system_sgpr_workgroup_id_y 0
		.amdhsa_system_sgpr_workgroup_id_z 0
		.amdhsa_system_sgpr_workgroup_info 0
		.amdhsa_system_vgpr_workitem_id 0
		.amdhsa_next_free_vgpr 1
		.amdhsa_next_free_sgpr 1
		.amdhsa_reserve_vcc 0
		.amdhsa_float_round_mode_32 0
		.amdhsa_float_round_mode_16_64 0
		.amdhsa_float_denorm_mode_32 3
		.amdhsa_float_denorm_mode_16_64 3
		.amdhsa_fp16_overflow 0
		.amdhsa_workgroup_processor_mode 1
		.amdhsa_memory_ordered 1
		.amdhsa_forward_progress 1
		.amdhsa_inst_pref_size 0
		.amdhsa_round_robin_scheduling 0
		.amdhsa_exception_fp_ieee_invalid_op 0
		.amdhsa_exception_fp_denorm_src 0
		.amdhsa_exception_fp_ieee_div_zero 0
		.amdhsa_exception_fp_ieee_overflow 0
		.amdhsa_exception_fp_ieee_underflow 0
		.amdhsa_exception_fp_ieee_inexact 0
		.amdhsa_exception_int_div_zero 0
	.end_amdhsa_kernel
	.section	.text._ZN7rocprim17ROCPRIM_400000_NS6detail17trampoline_kernelINS0_14default_configENS1_25partition_config_selectorILNS1_17partition_subalgoE5ExNS0_10empty_typeEbEEZZNS1_14partition_implILS5_5ELb0ES3_mN6thrust23THRUST_200600_302600_NS6detail15normal_iteratorINSA_10device_ptrIxEEEEPS6_NSA_18transform_iteratorINSB_9not_fun_tI7is_trueIxEEENSC_INSD_IbEEEENSA_11use_defaultESO_EENS0_5tupleIJNSA_16discard_iteratorISO_EES6_EEENSQ_IJSG_SG_EEES6_PlJS6_EEE10hipError_tPvRmT3_T4_T5_T6_T7_T9_mT8_P12ihipStream_tbDpT10_ENKUlT_T0_E_clISt17integral_constantIbLb0EES1F_EEDaS1A_S1B_EUlS1A_E_NS1_11comp_targetILNS1_3genE0ELNS1_11target_archE4294967295ELNS1_3gpuE0ELNS1_3repE0EEENS1_30default_config_static_selectorELNS0_4arch9wavefront6targetE0EEEvT1_,"axG",@progbits,_ZN7rocprim17ROCPRIM_400000_NS6detail17trampoline_kernelINS0_14default_configENS1_25partition_config_selectorILNS1_17partition_subalgoE5ExNS0_10empty_typeEbEEZZNS1_14partition_implILS5_5ELb0ES3_mN6thrust23THRUST_200600_302600_NS6detail15normal_iteratorINSA_10device_ptrIxEEEEPS6_NSA_18transform_iteratorINSB_9not_fun_tI7is_trueIxEEENSC_INSD_IbEEEENSA_11use_defaultESO_EENS0_5tupleIJNSA_16discard_iteratorISO_EES6_EEENSQ_IJSG_SG_EEES6_PlJS6_EEE10hipError_tPvRmT3_T4_T5_T6_T7_T9_mT8_P12ihipStream_tbDpT10_ENKUlT_T0_E_clISt17integral_constantIbLb0EES1F_EEDaS1A_S1B_EUlS1A_E_NS1_11comp_targetILNS1_3genE0ELNS1_11target_archE4294967295ELNS1_3gpuE0ELNS1_3repE0EEENS1_30default_config_static_selectorELNS0_4arch9wavefront6targetE0EEEvT1_,comdat
.Lfunc_end2749:
	.size	_ZN7rocprim17ROCPRIM_400000_NS6detail17trampoline_kernelINS0_14default_configENS1_25partition_config_selectorILNS1_17partition_subalgoE5ExNS0_10empty_typeEbEEZZNS1_14partition_implILS5_5ELb0ES3_mN6thrust23THRUST_200600_302600_NS6detail15normal_iteratorINSA_10device_ptrIxEEEEPS6_NSA_18transform_iteratorINSB_9not_fun_tI7is_trueIxEEENSC_INSD_IbEEEENSA_11use_defaultESO_EENS0_5tupleIJNSA_16discard_iteratorISO_EES6_EEENSQ_IJSG_SG_EEES6_PlJS6_EEE10hipError_tPvRmT3_T4_T5_T6_T7_T9_mT8_P12ihipStream_tbDpT10_ENKUlT_T0_E_clISt17integral_constantIbLb0EES1F_EEDaS1A_S1B_EUlS1A_E_NS1_11comp_targetILNS1_3genE0ELNS1_11target_archE4294967295ELNS1_3gpuE0ELNS1_3repE0EEENS1_30default_config_static_selectorELNS0_4arch9wavefront6targetE0EEEvT1_, .Lfunc_end2749-_ZN7rocprim17ROCPRIM_400000_NS6detail17trampoline_kernelINS0_14default_configENS1_25partition_config_selectorILNS1_17partition_subalgoE5ExNS0_10empty_typeEbEEZZNS1_14partition_implILS5_5ELb0ES3_mN6thrust23THRUST_200600_302600_NS6detail15normal_iteratorINSA_10device_ptrIxEEEEPS6_NSA_18transform_iteratorINSB_9not_fun_tI7is_trueIxEEENSC_INSD_IbEEEENSA_11use_defaultESO_EENS0_5tupleIJNSA_16discard_iteratorISO_EES6_EEENSQ_IJSG_SG_EEES6_PlJS6_EEE10hipError_tPvRmT3_T4_T5_T6_T7_T9_mT8_P12ihipStream_tbDpT10_ENKUlT_T0_E_clISt17integral_constantIbLb0EES1F_EEDaS1A_S1B_EUlS1A_E_NS1_11comp_targetILNS1_3genE0ELNS1_11target_archE4294967295ELNS1_3gpuE0ELNS1_3repE0EEENS1_30default_config_static_selectorELNS0_4arch9wavefront6targetE0EEEvT1_
                                        ; -- End function
	.set _ZN7rocprim17ROCPRIM_400000_NS6detail17trampoline_kernelINS0_14default_configENS1_25partition_config_selectorILNS1_17partition_subalgoE5ExNS0_10empty_typeEbEEZZNS1_14partition_implILS5_5ELb0ES3_mN6thrust23THRUST_200600_302600_NS6detail15normal_iteratorINSA_10device_ptrIxEEEEPS6_NSA_18transform_iteratorINSB_9not_fun_tI7is_trueIxEEENSC_INSD_IbEEEENSA_11use_defaultESO_EENS0_5tupleIJNSA_16discard_iteratorISO_EES6_EEENSQ_IJSG_SG_EEES6_PlJS6_EEE10hipError_tPvRmT3_T4_T5_T6_T7_T9_mT8_P12ihipStream_tbDpT10_ENKUlT_T0_E_clISt17integral_constantIbLb0EES1F_EEDaS1A_S1B_EUlS1A_E_NS1_11comp_targetILNS1_3genE0ELNS1_11target_archE4294967295ELNS1_3gpuE0ELNS1_3repE0EEENS1_30default_config_static_selectorELNS0_4arch9wavefront6targetE0EEEvT1_.num_vgpr, 0
	.set _ZN7rocprim17ROCPRIM_400000_NS6detail17trampoline_kernelINS0_14default_configENS1_25partition_config_selectorILNS1_17partition_subalgoE5ExNS0_10empty_typeEbEEZZNS1_14partition_implILS5_5ELb0ES3_mN6thrust23THRUST_200600_302600_NS6detail15normal_iteratorINSA_10device_ptrIxEEEEPS6_NSA_18transform_iteratorINSB_9not_fun_tI7is_trueIxEEENSC_INSD_IbEEEENSA_11use_defaultESO_EENS0_5tupleIJNSA_16discard_iteratorISO_EES6_EEENSQ_IJSG_SG_EEES6_PlJS6_EEE10hipError_tPvRmT3_T4_T5_T6_T7_T9_mT8_P12ihipStream_tbDpT10_ENKUlT_T0_E_clISt17integral_constantIbLb0EES1F_EEDaS1A_S1B_EUlS1A_E_NS1_11comp_targetILNS1_3genE0ELNS1_11target_archE4294967295ELNS1_3gpuE0ELNS1_3repE0EEENS1_30default_config_static_selectorELNS0_4arch9wavefront6targetE0EEEvT1_.num_agpr, 0
	.set _ZN7rocprim17ROCPRIM_400000_NS6detail17trampoline_kernelINS0_14default_configENS1_25partition_config_selectorILNS1_17partition_subalgoE5ExNS0_10empty_typeEbEEZZNS1_14partition_implILS5_5ELb0ES3_mN6thrust23THRUST_200600_302600_NS6detail15normal_iteratorINSA_10device_ptrIxEEEEPS6_NSA_18transform_iteratorINSB_9not_fun_tI7is_trueIxEEENSC_INSD_IbEEEENSA_11use_defaultESO_EENS0_5tupleIJNSA_16discard_iteratorISO_EES6_EEENSQ_IJSG_SG_EEES6_PlJS6_EEE10hipError_tPvRmT3_T4_T5_T6_T7_T9_mT8_P12ihipStream_tbDpT10_ENKUlT_T0_E_clISt17integral_constantIbLb0EES1F_EEDaS1A_S1B_EUlS1A_E_NS1_11comp_targetILNS1_3genE0ELNS1_11target_archE4294967295ELNS1_3gpuE0ELNS1_3repE0EEENS1_30default_config_static_selectorELNS0_4arch9wavefront6targetE0EEEvT1_.numbered_sgpr, 0
	.set _ZN7rocprim17ROCPRIM_400000_NS6detail17trampoline_kernelINS0_14default_configENS1_25partition_config_selectorILNS1_17partition_subalgoE5ExNS0_10empty_typeEbEEZZNS1_14partition_implILS5_5ELb0ES3_mN6thrust23THRUST_200600_302600_NS6detail15normal_iteratorINSA_10device_ptrIxEEEEPS6_NSA_18transform_iteratorINSB_9not_fun_tI7is_trueIxEEENSC_INSD_IbEEEENSA_11use_defaultESO_EENS0_5tupleIJNSA_16discard_iteratorISO_EES6_EEENSQ_IJSG_SG_EEES6_PlJS6_EEE10hipError_tPvRmT3_T4_T5_T6_T7_T9_mT8_P12ihipStream_tbDpT10_ENKUlT_T0_E_clISt17integral_constantIbLb0EES1F_EEDaS1A_S1B_EUlS1A_E_NS1_11comp_targetILNS1_3genE0ELNS1_11target_archE4294967295ELNS1_3gpuE0ELNS1_3repE0EEENS1_30default_config_static_selectorELNS0_4arch9wavefront6targetE0EEEvT1_.num_named_barrier, 0
	.set _ZN7rocprim17ROCPRIM_400000_NS6detail17trampoline_kernelINS0_14default_configENS1_25partition_config_selectorILNS1_17partition_subalgoE5ExNS0_10empty_typeEbEEZZNS1_14partition_implILS5_5ELb0ES3_mN6thrust23THRUST_200600_302600_NS6detail15normal_iteratorINSA_10device_ptrIxEEEEPS6_NSA_18transform_iteratorINSB_9not_fun_tI7is_trueIxEEENSC_INSD_IbEEEENSA_11use_defaultESO_EENS0_5tupleIJNSA_16discard_iteratorISO_EES6_EEENSQ_IJSG_SG_EEES6_PlJS6_EEE10hipError_tPvRmT3_T4_T5_T6_T7_T9_mT8_P12ihipStream_tbDpT10_ENKUlT_T0_E_clISt17integral_constantIbLb0EES1F_EEDaS1A_S1B_EUlS1A_E_NS1_11comp_targetILNS1_3genE0ELNS1_11target_archE4294967295ELNS1_3gpuE0ELNS1_3repE0EEENS1_30default_config_static_selectorELNS0_4arch9wavefront6targetE0EEEvT1_.private_seg_size, 0
	.set _ZN7rocprim17ROCPRIM_400000_NS6detail17trampoline_kernelINS0_14default_configENS1_25partition_config_selectorILNS1_17partition_subalgoE5ExNS0_10empty_typeEbEEZZNS1_14partition_implILS5_5ELb0ES3_mN6thrust23THRUST_200600_302600_NS6detail15normal_iteratorINSA_10device_ptrIxEEEEPS6_NSA_18transform_iteratorINSB_9not_fun_tI7is_trueIxEEENSC_INSD_IbEEEENSA_11use_defaultESO_EENS0_5tupleIJNSA_16discard_iteratorISO_EES6_EEENSQ_IJSG_SG_EEES6_PlJS6_EEE10hipError_tPvRmT3_T4_T5_T6_T7_T9_mT8_P12ihipStream_tbDpT10_ENKUlT_T0_E_clISt17integral_constantIbLb0EES1F_EEDaS1A_S1B_EUlS1A_E_NS1_11comp_targetILNS1_3genE0ELNS1_11target_archE4294967295ELNS1_3gpuE0ELNS1_3repE0EEENS1_30default_config_static_selectorELNS0_4arch9wavefront6targetE0EEEvT1_.uses_vcc, 0
	.set _ZN7rocprim17ROCPRIM_400000_NS6detail17trampoline_kernelINS0_14default_configENS1_25partition_config_selectorILNS1_17partition_subalgoE5ExNS0_10empty_typeEbEEZZNS1_14partition_implILS5_5ELb0ES3_mN6thrust23THRUST_200600_302600_NS6detail15normal_iteratorINSA_10device_ptrIxEEEEPS6_NSA_18transform_iteratorINSB_9not_fun_tI7is_trueIxEEENSC_INSD_IbEEEENSA_11use_defaultESO_EENS0_5tupleIJNSA_16discard_iteratorISO_EES6_EEENSQ_IJSG_SG_EEES6_PlJS6_EEE10hipError_tPvRmT3_T4_T5_T6_T7_T9_mT8_P12ihipStream_tbDpT10_ENKUlT_T0_E_clISt17integral_constantIbLb0EES1F_EEDaS1A_S1B_EUlS1A_E_NS1_11comp_targetILNS1_3genE0ELNS1_11target_archE4294967295ELNS1_3gpuE0ELNS1_3repE0EEENS1_30default_config_static_selectorELNS0_4arch9wavefront6targetE0EEEvT1_.uses_flat_scratch, 0
	.set _ZN7rocprim17ROCPRIM_400000_NS6detail17trampoline_kernelINS0_14default_configENS1_25partition_config_selectorILNS1_17partition_subalgoE5ExNS0_10empty_typeEbEEZZNS1_14partition_implILS5_5ELb0ES3_mN6thrust23THRUST_200600_302600_NS6detail15normal_iteratorINSA_10device_ptrIxEEEEPS6_NSA_18transform_iteratorINSB_9not_fun_tI7is_trueIxEEENSC_INSD_IbEEEENSA_11use_defaultESO_EENS0_5tupleIJNSA_16discard_iteratorISO_EES6_EEENSQ_IJSG_SG_EEES6_PlJS6_EEE10hipError_tPvRmT3_T4_T5_T6_T7_T9_mT8_P12ihipStream_tbDpT10_ENKUlT_T0_E_clISt17integral_constantIbLb0EES1F_EEDaS1A_S1B_EUlS1A_E_NS1_11comp_targetILNS1_3genE0ELNS1_11target_archE4294967295ELNS1_3gpuE0ELNS1_3repE0EEENS1_30default_config_static_selectorELNS0_4arch9wavefront6targetE0EEEvT1_.has_dyn_sized_stack, 0
	.set _ZN7rocprim17ROCPRIM_400000_NS6detail17trampoline_kernelINS0_14default_configENS1_25partition_config_selectorILNS1_17partition_subalgoE5ExNS0_10empty_typeEbEEZZNS1_14partition_implILS5_5ELb0ES3_mN6thrust23THRUST_200600_302600_NS6detail15normal_iteratorINSA_10device_ptrIxEEEEPS6_NSA_18transform_iteratorINSB_9not_fun_tI7is_trueIxEEENSC_INSD_IbEEEENSA_11use_defaultESO_EENS0_5tupleIJNSA_16discard_iteratorISO_EES6_EEENSQ_IJSG_SG_EEES6_PlJS6_EEE10hipError_tPvRmT3_T4_T5_T6_T7_T9_mT8_P12ihipStream_tbDpT10_ENKUlT_T0_E_clISt17integral_constantIbLb0EES1F_EEDaS1A_S1B_EUlS1A_E_NS1_11comp_targetILNS1_3genE0ELNS1_11target_archE4294967295ELNS1_3gpuE0ELNS1_3repE0EEENS1_30default_config_static_selectorELNS0_4arch9wavefront6targetE0EEEvT1_.has_recursion, 0
	.set _ZN7rocprim17ROCPRIM_400000_NS6detail17trampoline_kernelINS0_14default_configENS1_25partition_config_selectorILNS1_17partition_subalgoE5ExNS0_10empty_typeEbEEZZNS1_14partition_implILS5_5ELb0ES3_mN6thrust23THRUST_200600_302600_NS6detail15normal_iteratorINSA_10device_ptrIxEEEEPS6_NSA_18transform_iteratorINSB_9not_fun_tI7is_trueIxEEENSC_INSD_IbEEEENSA_11use_defaultESO_EENS0_5tupleIJNSA_16discard_iteratorISO_EES6_EEENSQ_IJSG_SG_EEES6_PlJS6_EEE10hipError_tPvRmT3_T4_T5_T6_T7_T9_mT8_P12ihipStream_tbDpT10_ENKUlT_T0_E_clISt17integral_constantIbLb0EES1F_EEDaS1A_S1B_EUlS1A_E_NS1_11comp_targetILNS1_3genE0ELNS1_11target_archE4294967295ELNS1_3gpuE0ELNS1_3repE0EEENS1_30default_config_static_selectorELNS0_4arch9wavefront6targetE0EEEvT1_.has_indirect_call, 0
	.section	.AMDGPU.csdata,"",@progbits
; Kernel info:
; codeLenInByte = 0
; TotalNumSgprs: 0
; NumVgprs: 0
; ScratchSize: 0
; MemoryBound: 0
; FloatMode: 240
; IeeeMode: 1
; LDSByteSize: 0 bytes/workgroup (compile time only)
; SGPRBlocks: 0
; VGPRBlocks: 0
; NumSGPRsForWavesPerEU: 1
; NumVGPRsForWavesPerEU: 1
; Occupancy: 16
; WaveLimiterHint : 0
; COMPUTE_PGM_RSRC2:SCRATCH_EN: 0
; COMPUTE_PGM_RSRC2:USER_SGPR: 2
; COMPUTE_PGM_RSRC2:TRAP_HANDLER: 0
; COMPUTE_PGM_RSRC2:TGID_X_EN: 1
; COMPUTE_PGM_RSRC2:TGID_Y_EN: 0
; COMPUTE_PGM_RSRC2:TGID_Z_EN: 0
; COMPUTE_PGM_RSRC2:TIDIG_COMP_CNT: 0
	.section	.text._ZN7rocprim17ROCPRIM_400000_NS6detail17trampoline_kernelINS0_14default_configENS1_25partition_config_selectorILNS1_17partition_subalgoE5ExNS0_10empty_typeEbEEZZNS1_14partition_implILS5_5ELb0ES3_mN6thrust23THRUST_200600_302600_NS6detail15normal_iteratorINSA_10device_ptrIxEEEEPS6_NSA_18transform_iteratorINSB_9not_fun_tI7is_trueIxEEENSC_INSD_IbEEEENSA_11use_defaultESO_EENS0_5tupleIJNSA_16discard_iteratorISO_EES6_EEENSQ_IJSG_SG_EEES6_PlJS6_EEE10hipError_tPvRmT3_T4_T5_T6_T7_T9_mT8_P12ihipStream_tbDpT10_ENKUlT_T0_E_clISt17integral_constantIbLb0EES1F_EEDaS1A_S1B_EUlS1A_E_NS1_11comp_targetILNS1_3genE5ELNS1_11target_archE942ELNS1_3gpuE9ELNS1_3repE0EEENS1_30default_config_static_selectorELNS0_4arch9wavefront6targetE0EEEvT1_,"axG",@progbits,_ZN7rocprim17ROCPRIM_400000_NS6detail17trampoline_kernelINS0_14default_configENS1_25partition_config_selectorILNS1_17partition_subalgoE5ExNS0_10empty_typeEbEEZZNS1_14partition_implILS5_5ELb0ES3_mN6thrust23THRUST_200600_302600_NS6detail15normal_iteratorINSA_10device_ptrIxEEEEPS6_NSA_18transform_iteratorINSB_9not_fun_tI7is_trueIxEEENSC_INSD_IbEEEENSA_11use_defaultESO_EENS0_5tupleIJNSA_16discard_iteratorISO_EES6_EEENSQ_IJSG_SG_EEES6_PlJS6_EEE10hipError_tPvRmT3_T4_T5_T6_T7_T9_mT8_P12ihipStream_tbDpT10_ENKUlT_T0_E_clISt17integral_constantIbLb0EES1F_EEDaS1A_S1B_EUlS1A_E_NS1_11comp_targetILNS1_3genE5ELNS1_11target_archE942ELNS1_3gpuE9ELNS1_3repE0EEENS1_30default_config_static_selectorELNS0_4arch9wavefront6targetE0EEEvT1_,comdat
	.protected	_ZN7rocprim17ROCPRIM_400000_NS6detail17trampoline_kernelINS0_14default_configENS1_25partition_config_selectorILNS1_17partition_subalgoE5ExNS0_10empty_typeEbEEZZNS1_14partition_implILS5_5ELb0ES3_mN6thrust23THRUST_200600_302600_NS6detail15normal_iteratorINSA_10device_ptrIxEEEEPS6_NSA_18transform_iteratorINSB_9not_fun_tI7is_trueIxEEENSC_INSD_IbEEEENSA_11use_defaultESO_EENS0_5tupleIJNSA_16discard_iteratorISO_EES6_EEENSQ_IJSG_SG_EEES6_PlJS6_EEE10hipError_tPvRmT3_T4_T5_T6_T7_T9_mT8_P12ihipStream_tbDpT10_ENKUlT_T0_E_clISt17integral_constantIbLb0EES1F_EEDaS1A_S1B_EUlS1A_E_NS1_11comp_targetILNS1_3genE5ELNS1_11target_archE942ELNS1_3gpuE9ELNS1_3repE0EEENS1_30default_config_static_selectorELNS0_4arch9wavefront6targetE0EEEvT1_ ; -- Begin function _ZN7rocprim17ROCPRIM_400000_NS6detail17trampoline_kernelINS0_14default_configENS1_25partition_config_selectorILNS1_17partition_subalgoE5ExNS0_10empty_typeEbEEZZNS1_14partition_implILS5_5ELb0ES3_mN6thrust23THRUST_200600_302600_NS6detail15normal_iteratorINSA_10device_ptrIxEEEEPS6_NSA_18transform_iteratorINSB_9not_fun_tI7is_trueIxEEENSC_INSD_IbEEEENSA_11use_defaultESO_EENS0_5tupleIJNSA_16discard_iteratorISO_EES6_EEENSQ_IJSG_SG_EEES6_PlJS6_EEE10hipError_tPvRmT3_T4_T5_T6_T7_T9_mT8_P12ihipStream_tbDpT10_ENKUlT_T0_E_clISt17integral_constantIbLb0EES1F_EEDaS1A_S1B_EUlS1A_E_NS1_11comp_targetILNS1_3genE5ELNS1_11target_archE942ELNS1_3gpuE9ELNS1_3repE0EEENS1_30default_config_static_selectorELNS0_4arch9wavefront6targetE0EEEvT1_
	.globl	_ZN7rocprim17ROCPRIM_400000_NS6detail17trampoline_kernelINS0_14default_configENS1_25partition_config_selectorILNS1_17partition_subalgoE5ExNS0_10empty_typeEbEEZZNS1_14partition_implILS5_5ELb0ES3_mN6thrust23THRUST_200600_302600_NS6detail15normal_iteratorINSA_10device_ptrIxEEEEPS6_NSA_18transform_iteratorINSB_9not_fun_tI7is_trueIxEEENSC_INSD_IbEEEENSA_11use_defaultESO_EENS0_5tupleIJNSA_16discard_iteratorISO_EES6_EEENSQ_IJSG_SG_EEES6_PlJS6_EEE10hipError_tPvRmT3_T4_T5_T6_T7_T9_mT8_P12ihipStream_tbDpT10_ENKUlT_T0_E_clISt17integral_constantIbLb0EES1F_EEDaS1A_S1B_EUlS1A_E_NS1_11comp_targetILNS1_3genE5ELNS1_11target_archE942ELNS1_3gpuE9ELNS1_3repE0EEENS1_30default_config_static_selectorELNS0_4arch9wavefront6targetE0EEEvT1_
	.p2align	8
	.type	_ZN7rocprim17ROCPRIM_400000_NS6detail17trampoline_kernelINS0_14default_configENS1_25partition_config_selectorILNS1_17partition_subalgoE5ExNS0_10empty_typeEbEEZZNS1_14partition_implILS5_5ELb0ES3_mN6thrust23THRUST_200600_302600_NS6detail15normal_iteratorINSA_10device_ptrIxEEEEPS6_NSA_18transform_iteratorINSB_9not_fun_tI7is_trueIxEEENSC_INSD_IbEEEENSA_11use_defaultESO_EENS0_5tupleIJNSA_16discard_iteratorISO_EES6_EEENSQ_IJSG_SG_EEES6_PlJS6_EEE10hipError_tPvRmT3_T4_T5_T6_T7_T9_mT8_P12ihipStream_tbDpT10_ENKUlT_T0_E_clISt17integral_constantIbLb0EES1F_EEDaS1A_S1B_EUlS1A_E_NS1_11comp_targetILNS1_3genE5ELNS1_11target_archE942ELNS1_3gpuE9ELNS1_3repE0EEENS1_30default_config_static_selectorELNS0_4arch9wavefront6targetE0EEEvT1_,@function
_ZN7rocprim17ROCPRIM_400000_NS6detail17trampoline_kernelINS0_14default_configENS1_25partition_config_selectorILNS1_17partition_subalgoE5ExNS0_10empty_typeEbEEZZNS1_14partition_implILS5_5ELb0ES3_mN6thrust23THRUST_200600_302600_NS6detail15normal_iteratorINSA_10device_ptrIxEEEEPS6_NSA_18transform_iteratorINSB_9not_fun_tI7is_trueIxEEENSC_INSD_IbEEEENSA_11use_defaultESO_EENS0_5tupleIJNSA_16discard_iteratorISO_EES6_EEENSQ_IJSG_SG_EEES6_PlJS6_EEE10hipError_tPvRmT3_T4_T5_T6_T7_T9_mT8_P12ihipStream_tbDpT10_ENKUlT_T0_E_clISt17integral_constantIbLb0EES1F_EEDaS1A_S1B_EUlS1A_E_NS1_11comp_targetILNS1_3genE5ELNS1_11target_archE942ELNS1_3gpuE9ELNS1_3repE0EEENS1_30default_config_static_selectorELNS0_4arch9wavefront6targetE0EEEvT1_: ; @_ZN7rocprim17ROCPRIM_400000_NS6detail17trampoline_kernelINS0_14default_configENS1_25partition_config_selectorILNS1_17partition_subalgoE5ExNS0_10empty_typeEbEEZZNS1_14partition_implILS5_5ELb0ES3_mN6thrust23THRUST_200600_302600_NS6detail15normal_iteratorINSA_10device_ptrIxEEEEPS6_NSA_18transform_iteratorINSB_9not_fun_tI7is_trueIxEEENSC_INSD_IbEEEENSA_11use_defaultESO_EENS0_5tupleIJNSA_16discard_iteratorISO_EES6_EEENSQ_IJSG_SG_EEES6_PlJS6_EEE10hipError_tPvRmT3_T4_T5_T6_T7_T9_mT8_P12ihipStream_tbDpT10_ENKUlT_T0_E_clISt17integral_constantIbLb0EES1F_EEDaS1A_S1B_EUlS1A_E_NS1_11comp_targetILNS1_3genE5ELNS1_11target_archE942ELNS1_3gpuE9ELNS1_3repE0EEENS1_30default_config_static_selectorELNS0_4arch9wavefront6targetE0EEEvT1_
; %bb.0:
	.section	.rodata,"a",@progbits
	.p2align	6, 0x0
	.amdhsa_kernel _ZN7rocprim17ROCPRIM_400000_NS6detail17trampoline_kernelINS0_14default_configENS1_25partition_config_selectorILNS1_17partition_subalgoE5ExNS0_10empty_typeEbEEZZNS1_14partition_implILS5_5ELb0ES3_mN6thrust23THRUST_200600_302600_NS6detail15normal_iteratorINSA_10device_ptrIxEEEEPS6_NSA_18transform_iteratorINSB_9not_fun_tI7is_trueIxEEENSC_INSD_IbEEEENSA_11use_defaultESO_EENS0_5tupleIJNSA_16discard_iteratorISO_EES6_EEENSQ_IJSG_SG_EEES6_PlJS6_EEE10hipError_tPvRmT3_T4_T5_T6_T7_T9_mT8_P12ihipStream_tbDpT10_ENKUlT_T0_E_clISt17integral_constantIbLb0EES1F_EEDaS1A_S1B_EUlS1A_E_NS1_11comp_targetILNS1_3genE5ELNS1_11target_archE942ELNS1_3gpuE9ELNS1_3repE0EEENS1_30default_config_static_selectorELNS0_4arch9wavefront6targetE0EEEvT1_
		.amdhsa_group_segment_fixed_size 0
		.amdhsa_private_segment_fixed_size 0
		.amdhsa_kernarg_size 128
		.amdhsa_user_sgpr_count 2
		.amdhsa_user_sgpr_dispatch_ptr 0
		.amdhsa_user_sgpr_queue_ptr 0
		.amdhsa_user_sgpr_kernarg_segment_ptr 1
		.amdhsa_user_sgpr_dispatch_id 0
		.amdhsa_user_sgpr_private_segment_size 0
		.amdhsa_wavefront_size32 1
		.amdhsa_uses_dynamic_stack 0
		.amdhsa_enable_private_segment 0
		.amdhsa_system_sgpr_workgroup_id_x 1
		.amdhsa_system_sgpr_workgroup_id_y 0
		.amdhsa_system_sgpr_workgroup_id_z 0
		.amdhsa_system_sgpr_workgroup_info 0
		.amdhsa_system_vgpr_workitem_id 0
		.amdhsa_next_free_vgpr 1
		.amdhsa_next_free_sgpr 1
		.amdhsa_reserve_vcc 0
		.amdhsa_float_round_mode_32 0
		.amdhsa_float_round_mode_16_64 0
		.amdhsa_float_denorm_mode_32 3
		.amdhsa_float_denorm_mode_16_64 3
		.amdhsa_fp16_overflow 0
		.amdhsa_workgroup_processor_mode 1
		.amdhsa_memory_ordered 1
		.amdhsa_forward_progress 1
		.amdhsa_inst_pref_size 0
		.amdhsa_round_robin_scheduling 0
		.amdhsa_exception_fp_ieee_invalid_op 0
		.amdhsa_exception_fp_denorm_src 0
		.amdhsa_exception_fp_ieee_div_zero 0
		.amdhsa_exception_fp_ieee_overflow 0
		.amdhsa_exception_fp_ieee_underflow 0
		.amdhsa_exception_fp_ieee_inexact 0
		.amdhsa_exception_int_div_zero 0
	.end_amdhsa_kernel
	.section	.text._ZN7rocprim17ROCPRIM_400000_NS6detail17trampoline_kernelINS0_14default_configENS1_25partition_config_selectorILNS1_17partition_subalgoE5ExNS0_10empty_typeEbEEZZNS1_14partition_implILS5_5ELb0ES3_mN6thrust23THRUST_200600_302600_NS6detail15normal_iteratorINSA_10device_ptrIxEEEEPS6_NSA_18transform_iteratorINSB_9not_fun_tI7is_trueIxEEENSC_INSD_IbEEEENSA_11use_defaultESO_EENS0_5tupleIJNSA_16discard_iteratorISO_EES6_EEENSQ_IJSG_SG_EEES6_PlJS6_EEE10hipError_tPvRmT3_T4_T5_T6_T7_T9_mT8_P12ihipStream_tbDpT10_ENKUlT_T0_E_clISt17integral_constantIbLb0EES1F_EEDaS1A_S1B_EUlS1A_E_NS1_11comp_targetILNS1_3genE5ELNS1_11target_archE942ELNS1_3gpuE9ELNS1_3repE0EEENS1_30default_config_static_selectorELNS0_4arch9wavefront6targetE0EEEvT1_,"axG",@progbits,_ZN7rocprim17ROCPRIM_400000_NS6detail17trampoline_kernelINS0_14default_configENS1_25partition_config_selectorILNS1_17partition_subalgoE5ExNS0_10empty_typeEbEEZZNS1_14partition_implILS5_5ELb0ES3_mN6thrust23THRUST_200600_302600_NS6detail15normal_iteratorINSA_10device_ptrIxEEEEPS6_NSA_18transform_iteratorINSB_9not_fun_tI7is_trueIxEEENSC_INSD_IbEEEENSA_11use_defaultESO_EENS0_5tupleIJNSA_16discard_iteratorISO_EES6_EEENSQ_IJSG_SG_EEES6_PlJS6_EEE10hipError_tPvRmT3_T4_T5_T6_T7_T9_mT8_P12ihipStream_tbDpT10_ENKUlT_T0_E_clISt17integral_constantIbLb0EES1F_EEDaS1A_S1B_EUlS1A_E_NS1_11comp_targetILNS1_3genE5ELNS1_11target_archE942ELNS1_3gpuE9ELNS1_3repE0EEENS1_30default_config_static_selectorELNS0_4arch9wavefront6targetE0EEEvT1_,comdat
.Lfunc_end2750:
	.size	_ZN7rocprim17ROCPRIM_400000_NS6detail17trampoline_kernelINS0_14default_configENS1_25partition_config_selectorILNS1_17partition_subalgoE5ExNS0_10empty_typeEbEEZZNS1_14partition_implILS5_5ELb0ES3_mN6thrust23THRUST_200600_302600_NS6detail15normal_iteratorINSA_10device_ptrIxEEEEPS6_NSA_18transform_iteratorINSB_9not_fun_tI7is_trueIxEEENSC_INSD_IbEEEENSA_11use_defaultESO_EENS0_5tupleIJNSA_16discard_iteratorISO_EES6_EEENSQ_IJSG_SG_EEES6_PlJS6_EEE10hipError_tPvRmT3_T4_T5_T6_T7_T9_mT8_P12ihipStream_tbDpT10_ENKUlT_T0_E_clISt17integral_constantIbLb0EES1F_EEDaS1A_S1B_EUlS1A_E_NS1_11comp_targetILNS1_3genE5ELNS1_11target_archE942ELNS1_3gpuE9ELNS1_3repE0EEENS1_30default_config_static_selectorELNS0_4arch9wavefront6targetE0EEEvT1_, .Lfunc_end2750-_ZN7rocprim17ROCPRIM_400000_NS6detail17trampoline_kernelINS0_14default_configENS1_25partition_config_selectorILNS1_17partition_subalgoE5ExNS0_10empty_typeEbEEZZNS1_14partition_implILS5_5ELb0ES3_mN6thrust23THRUST_200600_302600_NS6detail15normal_iteratorINSA_10device_ptrIxEEEEPS6_NSA_18transform_iteratorINSB_9not_fun_tI7is_trueIxEEENSC_INSD_IbEEEENSA_11use_defaultESO_EENS0_5tupleIJNSA_16discard_iteratorISO_EES6_EEENSQ_IJSG_SG_EEES6_PlJS6_EEE10hipError_tPvRmT3_T4_T5_T6_T7_T9_mT8_P12ihipStream_tbDpT10_ENKUlT_T0_E_clISt17integral_constantIbLb0EES1F_EEDaS1A_S1B_EUlS1A_E_NS1_11comp_targetILNS1_3genE5ELNS1_11target_archE942ELNS1_3gpuE9ELNS1_3repE0EEENS1_30default_config_static_selectorELNS0_4arch9wavefront6targetE0EEEvT1_
                                        ; -- End function
	.set _ZN7rocprim17ROCPRIM_400000_NS6detail17trampoline_kernelINS0_14default_configENS1_25partition_config_selectorILNS1_17partition_subalgoE5ExNS0_10empty_typeEbEEZZNS1_14partition_implILS5_5ELb0ES3_mN6thrust23THRUST_200600_302600_NS6detail15normal_iteratorINSA_10device_ptrIxEEEEPS6_NSA_18transform_iteratorINSB_9not_fun_tI7is_trueIxEEENSC_INSD_IbEEEENSA_11use_defaultESO_EENS0_5tupleIJNSA_16discard_iteratorISO_EES6_EEENSQ_IJSG_SG_EEES6_PlJS6_EEE10hipError_tPvRmT3_T4_T5_T6_T7_T9_mT8_P12ihipStream_tbDpT10_ENKUlT_T0_E_clISt17integral_constantIbLb0EES1F_EEDaS1A_S1B_EUlS1A_E_NS1_11comp_targetILNS1_3genE5ELNS1_11target_archE942ELNS1_3gpuE9ELNS1_3repE0EEENS1_30default_config_static_selectorELNS0_4arch9wavefront6targetE0EEEvT1_.num_vgpr, 0
	.set _ZN7rocprim17ROCPRIM_400000_NS6detail17trampoline_kernelINS0_14default_configENS1_25partition_config_selectorILNS1_17partition_subalgoE5ExNS0_10empty_typeEbEEZZNS1_14partition_implILS5_5ELb0ES3_mN6thrust23THRUST_200600_302600_NS6detail15normal_iteratorINSA_10device_ptrIxEEEEPS6_NSA_18transform_iteratorINSB_9not_fun_tI7is_trueIxEEENSC_INSD_IbEEEENSA_11use_defaultESO_EENS0_5tupleIJNSA_16discard_iteratorISO_EES6_EEENSQ_IJSG_SG_EEES6_PlJS6_EEE10hipError_tPvRmT3_T4_T5_T6_T7_T9_mT8_P12ihipStream_tbDpT10_ENKUlT_T0_E_clISt17integral_constantIbLb0EES1F_EEDaS1A_S1B_EUlS1A_E_NS1_11comp_targetILNS1_3genE5ELNS1_11target_archE942ELNS1_3gpuE9ELNS1_3repE0EEENS1_30default_config_static_selectorELNS0_4arch9wavefront6targetE0EEEvT1_.num_agpr, 0
	.set _ZN7rocprim17ROCPRIM_400000_NS6detail17trampoline_kernelINS0_14default_configENS1_25partition_config_selectorILNS1_17partition_subalgoE5ExNS0_10empty_typeEbEEZZNS1_14partition_implILS5_5ELb0ES3_mN6thrust23THRUST_200600_302600_NS6detail15normal_iteratorINSA_10device_ptrIxEEEEPS6_NSA_18transform_iteratorINSB_9not_fun_tI7is_trueIxEEENSC_INSD_IbEEEENSA_11use_defaultESO_EENS0_5tupleIJNSA_16discard_iteratorISO_EES6_EEENSQ_IJSG_SG_EEES6_PlJS6_EEE10hipError_tPvRmT3_T4_T5_T6_T7_T9_mT8_P12ihipStream_tbDpT10_ENKUlT_T0_E_clISt17integral_constantIbLb0EES1F_EEDaS1A_S1B_EUlS1A_E_NS1_11comp_targetILNS1_3genE5ELNS1_11target_archE942ELNS1_3gpuE9ELNS1_3repE0EEENS1_30default_config_static_selectorELNS0_4arch9wavefront6targetE0EEEvT1_.numbered_sgpr, 0
	.set _ZN7rocprim17ROCPRIM_400000_NS6detail17trampoline_kernelINS0_14default_configENS1_25partition_config_selectorILNS1_17partition_subalgoE5ExNS0_10empty_typeEbEEZZNS1_14partition_implILS5_5ELb0ES3_mN6thrust23THRUST_200600_302600_NS6detail15normal_iteratorINSA_10device_ptrIxEEEEPS6_NSA_18transform_iteratorINSB_9not_fun_tI7is_trueIxEEENSC_INSD_IbEEEENSA_11use_defaultESO_EENS0_5tupleIJNSA_16discard_iteratorISO_EES6_EEENSQ_IJSG_SG_EEES6_PlJS6_EEE10hipError_tPvRmT3_T4_T5_T6_T7_T9_mT8_P12ihipStream_tbDpT10_ENKUlT_T0_E_clISt17integral_constantIbLb0EES1F_EEDaS1A_S1B_EUlS1A_E_NS1_11comp_targetILNS1_3genE5ELNS1_11target_archE942ELNS1_3gpuE9ELNS1_3repE0EEENS1_30default_config_static_selectorELNS0_4arch9wavefront6targetE0EEEvT1_.num_named_barrier, 0
	.set _ZN7rocprim17ROCPRIM_400000_NS6detail17trampoline_kernelINS0_14default_configENS1_25partition_config_selectorILNS1_17partition_subalgoE5ExNS0_10empty_typeEbEEZZNS1_14partition_implILS5_5ELb0ES3_mN6thrust23THRUST_200600_302600_NS6detail15normal_iteratorINSA_10device_ptrIxEEEEPS6_NSA_18transform_iteratorINSB_9not_fun_tI7is_trueIxEEENSC_INSD_IbEEEENSA_11use_defaultESO_EENS0_5tupleIJNSA_16discard_iteratorISO_EES6_EEENSQ_IJSG_SG_EEES6_PlJS6_EEE10hipError_tPvRmT3_T4_T5_T6_T7_T9_mT8_P12ihipStream_tbDpT10_ENKUlT_T0_E_clISt17integral_constantIbLb0EES1F_EEDaS1A_S1B_EUlS1A_E_NS1_11comp_targetILNS1_3genE5ELNS1_11target_archE942ELNS1_3gpuE9ELNS1_3repE0EEENS1_30default_config_static_selectorELNS0_4arch9wavefront6targetE0EEEvT1_.private_seg_size, 0
	.set _ZN7rocprim17ROCPRIM_400000_NS6detail17trampoline_kernelINS0_14default_configENS1_25partition_config_selectorILNS1_17partition_subalgoE5ExNS0_10empty_typeEbEEZZNS1_14partition_implILS5_5ELb0ES3_mN6thrust23THRUST_200600_302600_NS6detail15normal_iteratorINSA_10device_ptrIxEEEEPS6_NSA_18transform_iteratorINSB_9not_fun_tI7is_trueIxEEENSC_INSD_IbEEEENSA_11use_defaultESO_EENS0_5tupleIJNSA_16discard_iteratorISO_EES6_EEENSQ_IJSG_SG_EEES6_PlJS6_EEE10hipError_tPvRmT3_T4_T5_T6_T7_T9_mT8_P12ihipStream_tbDpT10_ENKUlT_T0_E_clISt17integral_constantIbLb0EES1F_EEDaS1A_S1B_EUlS1A_E_NS1_11comp_targetILNS1_3genE5ELNS1_11target_archE942ELNS1_3gpuE9ELNS1_3repE0EEENS1_30default_config_static_selectorELNS0_4arch9wavefront6targetE0EEEvT1_.uses_vcc, 0
	.set _ZN7rocprim17ROCPRIM_400000_NS6detail17trampoline_kernelINS0_14default_configENS1_25partition_config_selectorILNS1_17partition_subalgoE5ExNS0_10empty_typeEbEEZZNS1_14partition_implILS5_5ELb0ES3_mN6thrust23THRUST_200600_302600_NS6detail15normal_iteratorINSA_10device_ptrIxEEEEPS6_NSA_18transform_iteratorINSB_9not_fun_tI7is_trueIxEEENSC_INSD_IbEEEENSA_11use_defaultESO_EENS0_5tupleIJNSA_16discard_iteratorISO_EES6_EEENSQ_IJSG_SG_EEES6_PlJS6_EEE10hipError_tPvRmT3_T4_T5_T6_T7_T9_mT8_P12ihipStream_tbDpT10_ENKUlT_T0_E_clISt17integral_constantIbLb0EES1F_EEDaS1A_S1B_EUlS1A_E_NS1_11comp_targetILNS1_3genE5ELNS1_11target_archE942ELNS1_3gpuE9ELNS1_3repE0EEENS1_30default_config_static_selectorELNS0_4arch9wavefront6targetE0EEEvT1_.uses_flat_scratch, 0
	.set _ZN7rocprim17ROCPRIM_400000_NS6detail17trampoline_kernelINS0_14default_configENS1_25partition_config_selectorILNS1_17partition_subalgoE5ExNS0_10empty_typeEbEEZZNS1_14partition_implILS5_5ELb0ES3_mN6thrust23THRUST_200600_302600_NS6detail15normal_iteratorINSA_10device_ptrIxEEEEPS6_NSA_18transform_iteratorINSB_9not_fun_tI7is_trueIxEEENSC_INSD_IbEEEENSA_11use_defaultESO_EENS0_5tupleIJNSA_16discard_iteratorISO_EES6_EEENSQ_IJSG_SG_EEES6_PlJS6_EEE10hipError_tPvRmT3_T4_T5_T6_T7_T9_mT8_P12ihipStream_tbDpT10_ENKUlT_T0_E_clISt17integral_constantIbLb0EES1F_EEDaS1A_S1B_EUlS1A_E_NS1_11comp_targetILNS1_3genE5ELNS1_11target_archE942ELNS1_3gpuE9ELNS1_3repE0EEENS1_30default_config_static_selectorELNS0_4arch9wavefront6targetE0EEEvT1_.has_dyn_sized_stack, 0
	.set _ZN7rocprim17ROCPRIM_400000_NS6detail17trampoline_kernelINS0_14default_configENS1_25partition_config_selectorILNS1_17partition_subalgoE5ExNS0_10empty_typeEbEEZZNS1_14partition_implILS5_5ELb0ES3_mN6thrust23THRUST_200600_302600_NS6detail15normal_iteratorINSA_10device_ptrIxEEEEPS6_NSA_18transform_iteratorINSB_9not_fun_tI7is_trueIxEEENSC_INSD_IbEEEENSA_11use_defaultESO_EENS0_5tupleIJNSA_16discard_iteratorISO_EES6_EEENSQ_IJSG_SG_EEES6_PlJS6_EEE10hipError_tPvRmT3_T4_T5_T6_T7_T9_mT8_P12ihipStream_tbDpT10_ENKUlT_T0_E_clISt17integral_constantIbLb0EES1F_EEDaS1A_S1B_EUlS1A_E_NS1_11comp_targetILNS1_3genE5ELNS1_11target_archE942ELNS1_3gpuE9ELNS1_3repE0EEENS1_30default_config_static_selectorELNS0_4arch9wavefront6targetE0EEEvT1_.has_recursion, 0
	.set _ZN7rocprim17ROCPRIM_400000_NS6detail17trampoline_kernelINS0_14default_configENS1_25partition_config_selectorILNS1_17partition_subalgoE5ExNS0_10empty_typeEbEEZZNS1_14partition_implILS5_5ELb0ES3_mN6thrust23THRUST_200600_302600_NS6detail15normal_iteratorINSA_10device_ptrIxEEEEPS6_NSA_18transform_iteratorINSB_9not_fun_tI7is_trueIxEEENSC_INSD_IbEEEENSA_11use_defaultESO_EENS0_5tupleIJNSA_16discard_iteratorISO_EES6_EEENSQ_IJSG_SG_EEES6_PlJS6_EEE10hipError_tPvRmT3_T4_T5_T6_T7_T9_mT8_P12ihipStream_tbDpT10_ENKUlT_T0_E_clISt17integral_constantIbLb0EES1F_EEDaS1A_S1B_EUlS1A_E_NS1_11comp_targetILNS1_3genE5ELNS1_11target_archE942ELNS1_3gpuE9ELNS1_3repE0EEENS1_30default_config_static_selectorELNS0_4arch9wavefront6targetE0EEEvT1_.has_indirect_call, 0
	.section	.AMDGPU.csdata,"",@progbits
; Kernel info:
; codeLenInByte = 0
; TotalNumSgprs: 0
; NumVgprs: 0
; ScratchSize: 0
; MemoryBound: 0
; FloatMode: 240
; IeeeMode: 1
; LDSByteSize: 0 bytes/workgroup (compile time only)
; SGPRBlocks: 0
; VGPRBlocks: 0
; NumSGPRsForWavesPerEU: 1
; NumVGPRsForWavesPerEU: 1
; Occupancy: 16
; WaveLimiterHint : 0
; COMPUTE_PGM_RSRC2:SCRATCH_EN: 0
; COMPUTE_PGM_RSRC2:USER_SGPR: 2
; COMPUTE_PGM_RSRC2:TRAP_HANDLER: 0
; COMPUTE_PGM_RSRC2:TGID_X_EN: 1
; COMPUTE_PGM_RSRC2:TGID_Y_EN: 0
; COMPUTE_PGM_RSRC2:TGID_Z_EN: 0
; COMPUTE_PGM_RSRC2:TIDIG_COMP_CNT: 0
	.section	.text._ZN7rocprim17ROCPRIM_400000_NS6detail17trampoline_kernelINS0_14default_configENS1_25partition_config_selectorILNS1_17partition_subalgoE5ExNS0_10empty_typeEbEEZZNS1_14partition_implILS5_5ELb0ES3_mN6thrust23THRUST_200600_302600_NS6detail15normal_iteratorINSA_10device_ptrIxEEEEPS6_NSA_18transform_iteratorINSB_9not_fun_tI7is_trueIxEEENSC_INSD_IbEEEENSA_11use_defaultESO_EENS0_5tupleIJNSA_16discard_iteratorISO_EES6_EEENSQ_IJSG_SG_EEES6_PlJS6_EEE10hipError_tPvRmT3_T4_T5_T6_T7_T9_mT8_P12ihipStream_tbDpT10_ENKUlT_T0_E_clISt17integral_constantIbLb0EES1F_EEDaS1A_S1B_EUlS1A_E_NS1_11comp_targetILNS1_3genE4ELNS1_11target_archE910ELNS1_3gpuE8ELNS1_3repE0EEENS1_30default_config_static_selectorELNS0_4arch9wavefront6targetE0EEEvT1_,"axG",@progbits,_ZN7rocprim17ROCPRIM_400000_NS6detail17trampoline_kernelINS0_14default_configENS1_25partition_config_selectorILNS1_17partition_subalgoE5ExNS0_10empty_typeEbEEZZNS1_14partition_implILS5_5ELb0ES3_mN6thrust23THRUST_200600_302600_NS6detail15normal_iteratorINSA_10device_ptrIxEEEEPS6_NSA_18transform_iteratorINSB_9not_fun_tI7is_trueIxEEENSC_INSD_IbEEEENSA_11use_defaultESO_EENS0_5tupleIJNSA_16discard_iteratorISO_EES6_EEENSQ_IJSG_SG_EEES6_PlJS6_EEE10hipError_tPvRmT3_T4_T5_T6_T7_T9_mT8_P12ihipStream_tbDpT10_ENKUlT_T0_E_clISt17integral_constantIbLb0EES1F_EEDaS1A_S1B_EUlS1A_E_NS1_11comp_targetILNS1_3genE4ELNS1_11target_archE910ELNS1_3gpuE8ELNS1_3repE0EEENS1_30default_config_static_selectorELNS0_4arch9wavefront6targetE0EEEvT1_,comdat
	.protected	_ZN7rocprim17ROCPRIM_400000_NS6detail17trampoline_kernelINS0_14default_configENS1_25partition_config_selectorILNS1_17partition_subalgoE5ExNS0_10empty_typeEbEEZZNS1_14partition_implILS5_5ELb0ES3_mN6thrust23THRUST_200600_302600_NS6detail15normal_iteratorINSA_10device_ptrIxEEEEPS6_NSA_18transform_iteratorINSB_9not_fun_tI7is_trueIxEEENSC_INSD_IbEEEENSA_11use_defaultESO_EENS0_5tupleIJNSA_16discard_iteratorISO_EES6_EEENSQ_IJSG_SG_EEES6_PlJS6_EEE10hipError_tPvRmT3_T4_T5_T6_T7_T9_mT8_P12ihipStream_tbDpT10_ENKUlT_T0_E_clISt17integral_constantIbLb0EES1F_EEDaS1A_S1B_EUlS1A_E_NS1_11comp_targetILNS1_3genE4ELNS1_11target_archE910ELNS1_3gpuE8ELNS1_3repE0EEENS1_30default_config_static_selectorELNS0_4arch9wavefront6targetE0EEEvT1_ ; -- Begin function _ZN7rocprim17ROCPRIM_400000_NS6detail17trampoline_kernelINS0_14default_configENS1_25partition_config_selectorILNS1_17partition_subalgoE5ExNS0_10empty_typeEbEEZZNS1_14partition_implILS5_5ELb0ES3_mN6thrust23THRUST_200600_302600_NS6detail15normal_iteratorINSA_10device_ptrIxEEEEPS6_NSA_18transform_iteratorINSB_9not_fun_tI7is_trueIxEEENSC_INSD_IbEEEENSA_11use_defaultESO_EENS0_5tupleIJNSA_16discard_iteratorISO_EES6_EEENSQ_IJSG_SG_EEES6_PlJS6_EEE10hipError_tPvRmT3_T4_T5_T6_T7_T9_mT8_P12ihipStream_tbDpT10_ENKUlT_T0_E_clISt17integral_constantIbLb0EES1F_EEDaS1A_S1B_EUlS1A_E_NS1_11comp_targetILNS1_3genE4ELNS1_11target_archE910ELNS1_3gpuE8ELNS1_3repE0EEENS1_30default_config_static_selectorELNS0_4arch9wavefront6targetE0EEEvT1_
	.globl	_ZN7rocprim17ROCPRIM_400000_NS6detail17trampoline_kernelINS0_14default_configENS1_25partition_config_selectorILNS1_17partition_subalgoE5ExNS0_10empty_typeEbEEZZNS1_14partition_implILS5_5ELb0ES3_mN6thrust23THRUST_200600_302600_NS6detail15normal_iteratorINSA_10device_ptrIxEEEEPS6_NSA_18transform_iteratorINSB_9not_fun_tI7is_trueIxEEENSC_INSD_IbEEEENSA_11use_defaultESO_EENS0_5tupleIJNSA_16discard_iteratorISO_EES6_EEENSQ_IJSG_SG_EEES6_PlJS6_EEE10hipError_tPvRmT3_T4_T5_T6_T7_T9_mT8_P12ihipStream_tbDpT10_ENKUlT_T0_E_clISt17integral_constantIbLb0EES1F_EEDaS1A_S1B_EUlS1A_E_NS1_11comp_targetILNS1_3genE4ELNS1_11target_archE910ELNS1_3gpuE8ELNS1_3repE0EEENS1_30default_config_static_selectorELNS0_4arch9wavefront6targetE0EEEvT1_
	.p2align	8
	.type	_ZN7rocprim17ROCPRIM_400000_NS6detail17trampoline_kernelINS0_14default_configENS1_25partition_config_selectorILNS1_17partition_subalgoE5ExNS0_10empty_typeEbEEZZNS1_14partition_implILS5_5ELb0ES3_mN6thrust23THRUST_200600_302600_NS6detail15normal_iteratorINSA_10device_ptrIxEEEEPS6_NSA_18transform_iteratorINSB_9not_fun_tI7is_trueIxEEENSC_INSD_IbEEEENSA_11use_defaultESO_EENS0_5tupleIJNSA_16discard_iteratorISO_EES6_EEENSQ_IJSG_SG_EEES6_PlJS6_EEE10hipError_tPvRmT3_T4_T5_T6_T7_T9_mT8_P12ihipStream_tbDpT10_ENKUlT_T0_E_clISt17integral_constantIbLb0EES1F_EEDaS1A_S1B_EUlS1A_E_NS1_11comp_targetILNS1_3genE4ELNS1_11target_archE910ELNS1_3gpuE8ELNS1_3repE0EEENS1_30default_config_static_selectorELNS0_4arch9wavefront6targetE0EEEvT1_,@function
_ZN7rocprim17ROCPRIM_400000_NS6detail17trampoline_kernelINS0_14default_configENS1_25partition_config_selectorILNS1_17partition_subalgoE5ExNS0_10empty_typeEbEEZZNS1_14partition_implILS5_5ELb0ES3_mN6thrust23THRUST_200600_302600_NS6detail15normal_iteratorINSA_10device_ptrIxEEEEPS6_NSA_18transform_iteratorINSB_9not_fun_tI7is_trueIxEEENSC_INSD_IbEEEENSA_11use_defaultESO_EENS0_5tupleIJNSA_16discard_iteratorISO_EES6_EEENSQ_IJSG_SG_EEES6_PlJS6_EEE10hipError_tPvRmT3_T4_T5_T6_T7_T9_mT8_P12ihipStream_tbDpT10_ENKUlT_T0_E_clISt17integral_constantIbLb0EES1F_EEDaS1A_S1B_EUlS1A_E_NS1_11comp_targetILNS1_3genE4ELNS1_11target_archE910ELNS1_3gpuE8ELNS1_3repE0EEENS1_30default_config_static_selectorELNS0_4arch9wavefront6targetE0EEEvT1_: ; @_ZN7rocprim17ROCPRIM_400000_NS6detail17trampoline_kernelINS0_14default_configENS1_25partition_config_selectorILNS1_17partition_subalgoE5ExNS0_10empty_typeEbEEZZNS1_14partition_implILS5_5ELb0ES3_mN6thrust23THRUST_200600_302600_NS6detail15normal_iteratorINSA_10device_ptrIxEEEEPS6_NSA_18transform_iteratorINSB_9not_fun_tI7is_trueIxEEENSC_INSD_IbEEEENSA_11use_defaultESO_EENS0_5tupleIJNSA_16discard_iteratorISO_EES6_EEENSQ_IJSG_SG_EEES6_PlJS6_EEE10hipError_tPvRmT3_T4_T5_T6_T7_T9_mT8_P12ihipStream_tbDpT10_ENKUlT_T0_E_clISt17integral_constantIbLb0EES1F_EEDaS1A_S1B_EUlS1A_E_NS1_11comp_targetILNS1_3genE4ELNS1_11target_archE910ELNS1_3gpuE8ELNS1_3repE0EEENS1_30default_config_static_selectorELNS0_4arch9wavefront6targetE0EEEvT1_
; %bb.0:
	.section	.rodata,"a",@progbits
	.p2align	6, 0x0
	.amdhsa_kernel _ZN7rocprim17ROCPRIM_400000_NS6detail17trampoline_kernelINS0_14default_configENS1_25partition_config_selectorILNS1_17partition_subalgoE5ExNS0_10empty_typeEbEEZZNS1_14partition_implILS5_5ELb0ES3_mN6thrust23THRUST_200600_302600_NS6detail15normal_iteratorINSA_10device_ptrIxEEEEPS6_NSA_18transform_iteratorINSB_9not_fun_tI7is_trueIxEEENSC_INSD_IbEEEENSA_11use_defaultESO_EENS0_5tupleIJNSA_16discard_iteratorISO_EES6_EEENSQ_IJSG_SG_EEES6_PlJS6_EEE10hipError_tPvRmT3_T4_T5_T6_T7_T9_mT8_P12ihipStream_tbDpT10_ENKUlT_T0_E_clISt17integral_constantIbLb0EES1F_EEDaS1A_S1B_EUlS1A_E_NS1_11comp_targetILNS1_3genE4ELNS1_11target_archE910ELNS1_3gpuE8ELNS1_3repE0EEENS1_30default_config_static_selectorELNS0_4arch9wavefront6targetE0EEEvT1_
		.amdhsa_group_segment_fixed_size 0
		.amdhsa_private_segment_fixed_size 0
		.amdhsa_kernarg_size 128
		.amdhsa_user_sgpr_count 2
		.amdhsa_user_sgpr_dispatch_ptr 0
		.amdhsa_user_sgpr_queue_ptr 0
		.amdhsa_user_sgpr_kernarg_segment_ptr 1
		.amdhsa_user_sgpr_dispatch_id 0
		.amdhsa_user_sgpr_private_segment_size 0
		.amdhsa_wavefront_size32 1
		.amdhsa_uses_dynamic_stack 0
		.amdhsa_enable_private_segment 0
		.amdhsa_system_sgpr_workgroup_id_x 1
		.amdhsa_system_sgpr_workgroup_id_y 0
		.amdhsa_system_sgpr_workgroup_id_z 0
		.amdhsa_system_sgpr_workgroup_info 0
		.amdhsa_system_vgpr_workitem_id 0
		.amdhsa_next_free_vgpr 1
		.amdhsa_next_free_sgpr 1
		.amdhsa_reserve_vcc 0
		.amdhsa_float_round_mode_32 0
		.amdhsa_float_round_mode_16_64 0
		.amdhsa_float_denorm_mode_32 3
		.amdhsa_float_denorm_mode_16_64 3
		.amdhsa_fp16_overflow 0
		.amdhsa_workgroup_processor_mode 1
		.amdhsa_memory_ordered 1
		.amdhsa_forward_progress 1
		.amdhsa_inst_pref_size 0
		.amdhsa_round_robin_scheduling 0
		.amdhsa_exception_fp_ieee_invalid_op 0
		.amdhsa_exception_fp_denorm_src 0
		.amdhsa_exception_fp_ieee_div_zero 0
		.amdhsa_exception_fp_ieee_overflow 0
		.amdhsa_exception_fp_ieee_underflow 0
		.amdhsa_exception_fp_ieee_inexact 0
		.amdhsa_exception_int_div_zero 0
	.end_amdhsa_kernel
	.section	.text._ZN7rocprim17ROCPRIM_400000_NS6detail17trampoline_kernelINS0_14default_configENS1_25partition_config_selectorILNS1_17partition_subalgoE5ExNS0_10empty_typeEbEEZZNS1_14partition_implILS5_5ELb0ES3_mN6thrust23THRUST_200600_302600_NS6detail15normal_iteratorINSA_10device_ptrIxEEEEPS6_NSA_18transform_iteratorINSB_9not_fun_tI7is_trueIxEEENSC_INSD_IbEEEENSA_11use_defaultESO_EENS0_5tupleIJNSA_16discard_iteratorISO_EES6_EEENSQ_IJSG_SG_EEES6_PlJS6_EEE10hipError_tPvRmT3_T4_T5_T6_T7_T9_mT8_P12ihipStream_tbDpT10_ENKUlT_T0_E_clISt17integral_constantIbLb0EES1F_EEDaS1A_S1B_EUlS1A_E_NS1_11comp_targetILNS1_3genE4ELNS1_11target_archE910ELNS1_3gpuE8ELNS1_3repE0EEENS1_30default_config_static_selectorELNS0_4arch9wavefront6targetE0EEEvT1_,"axG",@progbits,_ZN7rocprim17ROCPRIM_400000_NS6detail17trampoline_kernelINS0_14default_configENS1_25partition_config_selectorILNS1_17partition_subalgoE5ExNS0_10empty_typeEbEEZZNS1_14partition_implILS5_5ELb0ES3_mN6thrust23THRUST_200600_302600_NS6detail15normal_iteratorINSA_10device_ptrIxEEEEPS6_NSA_18transform_iteratorINSB_9not_fun_tI7is_trueIxEEENSC_INSD_IbEEEENSA_11use_defaultESO_EENS0_5tupleIJNSA_16discard_iteratorISO_EES6_EEENSQ_IJSG_SG_EEES6_PlJS6_EEE10hipError_tPvRmT3_T4_T5_T6_T7_T9_mT8_P12ihipStream_tbDpT10_ENKUlT_T0_E_clISt17integral_constantIbLb0EES1F_EEDaS1A_S1B_EUlS1A_E_NS1_11comp_targetILNS1_3genE4ELNS1_11target_archE910ELNS1_3gpuE8ELNS1_3repE0EEENS1_30default_config_static_selectorELNS0_4arch9wavefront6targetE0EEEvT1_,comdat
.Lfunc_end2751:
	.size	_ZN7rocprim17ROCPRIM_400000_NS6detail17trampoline_kernelINS0_14default_configENS1_25partition_config_selectorILNS1_17partition_subalgoE5ExNS0_10empty_typeEbEEZZNS1_14partition_implILS5_5ELb0ES3_mN6thrust23THRUST_200600_302600_NS6detail15normal_iteratorINSA_10device_ptrIxEEEEPS6_NSA_18transform_iteratorINSB_9not_fun_tI7is_trueIxEEENSC_INSD_IbEEEENSA_11use_defaultESO_EENS0_5tupleIJNSA_16discard_iteratorISO_EES6_EEENSQ_IJSG_SG_EEES6_PlJS6_EEE10hipError_tPvRmT3_T4_T5_T6_T7_T9_mT8_P12ihipStream_tbDpT10_ENKUlT_T0_E_clISt17integral_constantIbLb0EES1F_EEDaS1A_S1B_EUlS1A_E_NS1_11comp_targetILNS1_3genE4ELNS1_11target_archE910ELNS1_3gpuE8ELNS1_3repE0EEENS1_30default_config_static_selectorELNS0_4arch9wavefront6targetE0EEEvT1_, .Lfunc_end2751-_ZN7rocprim17ROCPRIM_400000_NS6detail17trampoline_kernelINS0_14default_configENS1_25partition_config_selectorILNS1_17partition_subalgoE5ExNS0_10empty_typeEbEEZZNS1_14partition_implILS5_5ELb0ES3_mN6thrust23THRUST_200600_302600_NS6detail15normal_iteratorINSA_10device_ptrIxEEEEPS6_NSA_18transform_iteratorINSB_9not_fun_tI7is_trueIxEEENSC_INSD_IbEEEENSA_11use_defaultESO_EENS0_5tupleIJNSA_16discard_iteratorISO_EES6_EEENSQ_IJSG_SG_EEES6_PlJS6_EEE10hipError_tPvRmT3_T4_T5_T6_T7_T9_mT8_P12ihipStream_tbDpT10_ENKUlT_T0_E_clISt17integral_constantIbLb0EES1F_EEDaS1A_S1B_EUlS1A_E_NS1_11comp_targetILNS1_3genE4ELNS1_11target_archE910ELNS1_3gpuE8ELNS1_3repE0EEENS1_30default_config_static_selectorELNS0_4arch9wavefront6targetE0EEEvT1_
                                        ; -- End function
	.set _ZN7rocprim17ROCPRIM_400000_NS6detail17trampoline_kernelINS0_14default_configENS1_25partition_config_selectorILNS1_17partition_subalgoE5ExNS0_10empty_typeEbEEZZNS1_14partition_implILS5_5ELb0ES3_mN6thrust23THRUST_200600_302600_NS6detail15normal_iteratorINSA_10device_ptrIxEEEEPS6_NSA_18transform_iteratorINSB_9not_fun_tI7is_trueIxEEENSC_INSD_IbEEEENSA_11use_defaultESO_EENS0_5tupleIJNSA_16discard_iteratorISO_EES6_EEENSQ_IJSG_SG_EEES6_PlJS6_EEE10hipError_tPvRmT3_T4_T5_T6_T7_T9_mT8_P12ihipStream_tbDpT10_ENKUlT_T0_E_clISt17integral_constantIbLb0EES1F_EEDaS1A_S1B_EUlS1A_E_NS1_11comp_targetILNS1_3genE4ELNS1_11target_archE910ELNS1_3gpuE8ELNS1_3repE0EEENS1_30default_config_static_selectorELNS0_4arch9wavefront6targetE0EEEvT1_.num_vgpr, 0
	.set _ZN7rocprim17ROCPRIM_400000_NS6detail17trampoline_kernelINS0_14default_configENS1_25partition_config_selectorILNS1_17partition_subalgoE5ExNS0_10empty_typeEbEEZZNS1_14partition_implILS5_5ELb0ES3_mN6thrust23THRUST_200600_302600_NS6detail15normal_iteratorINSA_10device_ptrIxEEEEPS6_NSA_18transform_iteratorINSB_9not_fun_tI7is_trueIxEEENSC_INSD_IbEEEENSA_11use_defaultESO_EENS0_5tupleIJNSA_16discard_iteratorISO_EES6_EEENSQ_IJSG_SG_EEES6_PlJS6_EEE10hipError_tPvRmT3_T4_T5_T6_T7_T9_mT8_P12ihipStream_tbDpT10_ENKUlT_T0_E_clISt17integral_constantIbLb0EES1F_EEDaS1A_S1B_EUlS1A_E_NS1_11comp_targetILNS1_3genE4ELNS1_11target_archE910ELNS1_3gpuE8ELNS1_3repE0EEENS1_30default_config_static_selectorELNS0_4arch9wavefront6targetE0EEEvT1_.num_agpr, 0
	.set _ZN7rocprim17ROCPRIM_400000_NS6detail17trampoline_kernelINS0_14default_configENS1_25partition_config_selectorILNS1_17partition_subalgoE5ExNS0_10empty_typeEbEEZZNS1_14partition_implILS5_5ELb0ES3_mN6thrust23THRUST_200600_302600_NS6detail15normal_iteratorINSA_10device_ptrIxEEEEPS6_NSA_18transform_iteratorINSB_9not_fun_tI7is_trueIxEEENSC_INSD_IbEEEENSA_11use_defaultESO_EENS0_5tupleIJNSA_16discard_iteratorISO_EES6_EEENSQ_IJSG_SG_EEES6_PlJS6_EEE10hipError_tPvRmT3_T4_T5_T6_T7_T9_mT8_P12ihipStream_tbDpT10_ENKUlT_T0_E_clISt17integral_constantIbLb0EES1F_EEDaS1A_S1B_EUlS1A_E_NS1_11comp_targetILNS1_3genE4ELNS1_11target_archE910ELNS1_3gpuE8ELNS1_3repE0EEENS1_30default_config_static_selectorELNS0_4arch9wavefront6targetE0EEEvT1_.numbered_sgpr, 0
	.set _ZN7rocprim17ROCPRIM_400000_NS6detail17trampoline_kernelINS0_14default_configENS1_25partition_config_selectorILNS1_17partition_subalgoE5ExNS0_10empty_typeEbEEZZNS1_14partition_implILS5_5ELb0ES3_mN6thrust23THRUST_200600_302600_NS6detail15normal_iteratorINSA_10device_ptrIxEEEEPS6_NSA_18transform_iteratorINSB_9not_fun_tI7is_trueIxEEENSC_INSD_IbEEEENSA_11use_defaultESO_EENS0_5tupleIJNSA_16discard_iteratorISO_EES6_EEENSQ_IJSG_SG_EEES6_PlJS6_EEE10hipError_tPvRmT3_T4_T5_T6_T7_T9_mT8_P12ihipStream_tbDpT10_ENKUlT_T0_E_clISt17integral_constantIbLb0EES1F_EEDaS1A_S1B_EUlS1A_E_NS1_11comp_targetILNS1_3genE4ELNS1_11target_archE910ELNS1_3gpuE8ELNS1_3repE0EEENS1_30default_config_static_selectorELNS0_4arch9wavefront6targetE0EEEvT1_.num_named_barrier, 0
	.set _ZN7rocprim17ROCPRIM_400000_NS6detail17trampoline_kernelINS0_14default_configENS1_25partition_config_selectorILNS1_17partition_subalgoE5ExNS0_10empty_typeEbEEZZNS1_14partition_implILS5_5ELb0ES3_mN6thrust23THRUST_200600_302600_NS6detail15normal_iteratorINSA_10device_ptrIxEEEEPS6_NSA_18transform_iteratorINSB_9not_fun_tI7is_trueIxEEENSC_INSD_IbEEEENSA_11use_defaultESO_EENS0_5tupleIJNSA_16discard_iteratorISO_EES6_EEENSQ_IJSG_SG_EEES6_PlJS6_EEE10hipError_tPvRmT3_T4_T5_T6_T7_T9_mT8_P12ihipStream_tbDpT10_ENKUlT_T0_E_clISt17integral_constantIbLb0EES1F_EEDaS1A_S1B_EUlS1A_E_NS1_11comp_targetILNS1_3genE4ELNS1_11target_archE910ELNS1_3gpuE8ELNS1_3repE0EEENS1_30default_config_static_selectorELNS0_4arch9wavefront6targetE0EEEvT1_.private_seg_size, 0
	.set _ZN7rocprim17ROCPRIM_400000_NS6detail17trampoline_kernelINS0_14default_configENS1_25partition_config_selectorILNS1_17partition_subalgoE5ExNS0_10empty_typeEbEEZZNS1_14partition_implILS5_5ELb0ES3_mN6thrust23THRUST_200600_302600_NS6detail15normal_iteratorINSA_10device_ptrIxEEEEPS6_NSA_18transform_iteratorINSB_9not_fun_tI7is_trueIxEEENSC_INSD_IbEEEENSA_11use_defaultESO_EENS0_5tupleIJNSA_16discard_iteratorISO_EES6_EEENSQ_IJSG_SG_EEES6_PlJS6_EEE10hipError_tPvRmT3_T4_T5_T6_T7_T9_mT8_P12ihipStream_tbDpT10_ENKUlT_T0_E_clISt17integral_constantIbLb0EES1F_EEDaS1A_S1B_EUlS1A_E_NS1_11comp_targetILNS1_3genE4ELNS1_11target_archE910ELNS1_3gpuE8ELNS1_3repE0EEENS1_30default_config_static_selectorELNS0_4arch9wavefront6targetE0EEEvT1_.uses_vcc, 0
	.set _ZN7rocprim17ROCPRIM_400000_NS6detail17trampoline_kernelINS0_14default_configENS1_25partition_config_selectorILNS1_17partition_subalgoE5ExNS0_10empty_typeEbEEZZNS1_14partition_implILS5_5ELb0ES3_mN6thrust23THRUST_200600_302600_NS6detail15normal_iteratorINSA_10device_ptrIxEEEEPS6_NSA_18transform_iteratorINSB_9not_fun_tI7is_trueIxEEENSC_INSD_IbEEEENSA_11use_defaultESO_EENS0_5tupleIJNSA_16discard_iteratorISO_EES6_EEENSQ_IJSG_SG_EEES6_PlJS6_EEE10hipError_tPvRmT3_T4_T5_T6_T7_T9_mT8_P12ihipStream_tbDpT10_ENKUlT_T0_E_clISt17integral_constantIbLb0EES1F_EEDaS1A_S1B_EUlS1A_E_NS1_11comp_targetILNS1_3genE4ELNS1_11target_archE910ELNS1_3gpuE8ELNS1_3repE0EEENS1_30default_config_static_selectorELNS0_4arch9wavefront6targetE0EEEvT1_.uses_flat_scratch, 0
	.set _ZN7rocprim17ROCPRIM_400000_NS6detail17trampoline_kernelINS0_14default_configENS1_25partition_config_selectorILNS1_17partition_subalgoE5ExNS0_10empty_typeEbEEZZNS1_14partition_implILS5_5ELb0ES3_mN6thrust23THRUST_200600_302600_NS6detail15normal_iteratorINSA_10device_ptrIxEEEEPS6_NSA_18transform_iteratorINSB_9not_fun_tI7is_trueIxEEENSC_INSD_IbEEEENSA_11use_defaultESO_EENS0_5tupleIJNSA_16discard_iteratorISO_EES6_EEENSQ_IJSG_SG_EEES6_PlJS6_EEE10hipError_tPvRmT3_T4_T5_T6_T7_T9_mT8_P12ihipStream_tbDpT10_ENKUlT_T0_E_clISt17integral_constantIbLb0EES1F_EEDaS1A_S1B_EUlS1A_E_NS1_11comp_targetILNS1_3genE4ELNS1_11target_archE910ELNS1_3gpuE8ELNS1_3repE0EEENS1_30default_config_static_selectorELNS0_4arch9wavefront6targetE0EEEvT1_.has_dyn_sized_stack, 0
	.set _ZN7rocprim17ROCPRIM_400000_NS6detail17trampoline_kernelINS0_14default_configENS1_25partition_config_selectorILNS1_17partition_subalgoE5ExNS0_10empty_typeEbEEZZNS1_14partition_implILS5_5ELb0ES3_mN6thrust23THRUST_200600_302600_NS6detail15normal_iteratorINSA_10device_ptrIxEEEEPS6_NSA_18transform_iteratorINSB_9not_fun_tI7is_trueIxEEENSC_INSD_IbEEEENSA_11use_defaultESO_EENS0_5tupleIJNSA_16discard_iteratorISO_EES6_EEENSQ_IJSG_SG_EEES6_PlJS6_EEE10hipError_tPvRmT3_T4_T5_T6_T7_T9_mT8_P12ihipStream_tbDpT10_ENKUlT_T0_E_clISt17integral_constantIbLb0EES1F_EEDaS1A_S1B_EUlS1A_E_NS1_11comp_targetILNS1_3genE4ELNS1_11target_archE910ELNS1_3gpuE8ELNS1_3repE0EEENS1_30default_config_static_selectorELNS0_4arch9wavefront6targetE0EEEvT1_.has_recursion, 0
	.set _ZN7rocprim17ROCPRIM_400000_NS6detail17trampoline_kernelINS0_14default_configENS1_25partition_config_selectorILNS1_17partition_subalgoE5ExNS0_10empty_typeEbEEZZNS1_14partition_implILS5_5ELb0ES3_mN6thrust23THRUST_200600_302600_NS6detail15normal_iteratorINSA_10device_ptrIxEEEEPS6_NSA_18transform_iteratorINSB_9not_fun_tI7is_trueIxEEENSC_INSD_IbEEEENSA_11use_defaultESO_EENS0_5tupleIJNSA_16discard_iteratorISO_EES6_EEENSQ_IJSG_SG_EEES6_PlJS6_EEE10hipError_tPvRmT3_T4_T5_T6_T7_T9_mT8_P12ihipStream_tbDpT10_ENKUlT_T0_E_clISt17integral_constantIbLb0EES1F_EEDaS1A_S1B_EUlS1A_E_NS1_11comp_targetILNS1_3genE4ELNS1_11target_archE910ELNS1_3gpuE8ELNS1_3repE0EEENS1_30default_config_static_selectorELNS0_4arch9wavefront6targetE0EEEvT1_.has_indirect_call, 0
	.section	.AMDGPU.csdata,"",@progbits
; Kernel info:
; codeLenInByte = 0
; TotalNumSgprs: 0
; NumVgprs: 0
; ScratchSize: 0
; MemoryBound: 0
; FloatMode: 240
; IeeeMode: 1
; LDSByteSize: 0 bytes/workgroup (compile time only)
; SGPRBlocks: 0
; VGPRBlocks: 0
; NumSGPRsForWavesPerEU: 1
; NumVGPRsForWavesPerEU: 1
; Occupancy: 16
; WaveLimiterHint : 0
; COMPUTE_PGM_RSRC2:SCRATCH_EN: 0
; COMPUTE_PGM_RSRC2:USER_SGPR: 2
; COMPUTE_PGM_RSRC2:TRAP_HANDLER: 0
; COMPUTE_PGM_RSRC2:TGID_X_EN: 1
; COMPUTE_PGM_RSRC2:TGID_Y_EN: 0
; COMPUTE_PGM_RSRC2:TGID_Z_EN: 0
; COMPUTE_PGM_RSRC2:TIDIG_COMP_CNT: 0
	.section	.text._ZN7rocprim17ROCPRIM_400000_NS6detail17trampoline_kernelINS0_14default_configENS1_25partition_config_selectorILNS1_17partition_subalgoE5ExNS0_10empty_typeEbEEZZNS1_14partition_implILS5_5ELb0ES3_mN6thrust23THRUST_200600_302600_NS6detail15normal_iteratorINSA_10device_ptrIxEEEEPS6_NSA_18transform_iteratorINSB_9not_fun_tI7is_trueIxEEENSC_INSD_IbEEEENSA_11use_defaultESO_EENS0_5tupleIJNSA_16discard_iteratorISO_EES6_EEENSQ_IJSG_SG_EEES6_PlJS6_EEE10hipError_tPvRmT3_T4_T5_T6_T7_T9_mT8_P12ihipStream_tbDpT10_ENKUlT_T0_E_clISt17integral_constantIbLb0EES1F_EEDaS1A_S1B_EUlS1A_E_NS1_11comp_targetILNS1_3genE3ELNS1_11target_archE908ELNS1_3gpuE7ELNS1_3repE0EEENS1_30default_config_static_selectorELNS0_4arch9wavefront6targetE0EEEvT1_,"axG",@progbits,_ZN7rocprim17ROCPRIM_400000_NS6detail17trampoline_kernelINS0_14default_configENS1_25partition_config_selectorILNS1_17partition_subalgoE5ExNS0_10empty_typeEbEEZZNS1_14partition_implILS5_5ELb0ES3_mN6thrust23THRUST_200600_302600_NS6detail15normal_iteratorINSA_10device_ptrIxEEEEPS6_NSA_18transform_iteratorINSB_9not_fun_tI7is_trueIxEEENSC_INSD_IbEEEENSA_11use_defaultESO_EENS0_5tupleIJNSA_16discard_iteratorISO_EES6_EEENSQ_IJSG_SG_EEES6_PlJS6_EEE10hipError_tPvRmT3_T4_T5_T6_T7_T9_mT8_P12ihipStream_tbDpT10_ENKUlT_T0_E_clISt17integral_constantIbLb0EES1F_EEDaS1A_S1B_EUlS1A_E_NS1_11comp_targetILNS1_3genE3ELNS1_11target_archE908ELNS1_3gpuE7ELNS1_3repE0EEENS1_30default_config_static_selectorELNS0_4arch9wavefront6targetE0EEEvT1_,comdat
	.protected	_ZN7rocprim17ROCPRIM_400000_NS6detail17trampoline_kernelINS0_14default_configENS1_25partition_config_selectorILNS1_17partition_subalgoE5ExNS0_10empty_typeEbEEZZNS1_14partition_implILS5_5ELb0ES3_mN6thrust23THRUST_200600_302600_NS6detail15normal_iteratorINSA_10device_ptrIxEEEEPS6_NSA_18transform_iteratorINSB_9not_fun_tI7is_trueIxEEENSC_INSD_IbEEEENSA_11use_defaultESO_EENS0_5tupleIJNSA_16discard_iteratorISO_EES6_EEENSQ_IJSG_SG_EEES6_PlJS6_EEE10hipError_tPvRmT3_T4_T5_T6_T7_T9_mT8_P12ihipStream_tbDpT10_ENKUlT_T0_E_clISt17integral_constantIbLb0EES1F_EEDaS1A_S1B_EUlS1A_E_NS1_11comp_targetILNS1_3genE3ELNS1_11target_archE908ELNS1_3gpuE7ELNS1_3repE0EEENS1_30default_config_static_selectorELNS0_4arch9wavefront6targetE0EEEvT1_ ; -- Begin function _ZN7rocprim17ROCPRIM_400000_NS6detail17trampoline_kernelINS0_14default_configENS1_25partition_config_selectorILNS1_17partition_subalgoE5ExNS0_10empty_typeEbEEZZNS1_14partition_implILS5_5ELb0ES3_mN6thrust23THRUST_200600_302600_NS6detail15normal_iteratorINSA_10device_ptrIxEEEEPS6_NSA_18transform_iteratorINSB_9not_fun_tI7is_trueIxEEENSC_INSD_IbEEEENSA_11use_defaultESO_EENS0_5tupleIJNSA_16discard_iteratorISO_EES6_EEENSQ_IJSG_SG_EEES6_PlJS6_EEE10hipError_tPvRmT3_T4_T5_T6_T7_T9_mT8_P12ihipStream_tbDpT10_ENKUlT_T0_E_clISt17integral_constantIbLb0EES1F_EEDaS1A_S1B_EUlS1A_E_NS1_11comp_targetILNS1_3genE3ELNS1_11target_archE908ELNS1_3gpuE7ELNS1_3repE0EEENS1_30default_config_static_selectorELNS0_4arch9wavefront6targetE0EEEvT1_
	.globl	_ZN7rocprim17ROCPRIM_400000_NS6detail17trampoline_kernelINS0_14default_configENS1_25partition_config_selectorILNS1_17partition_subalgoE5ExNS0_10empty_typeEbEEZZNS1_14partition_implILS5_5ELb0ES3_mN6thrust23THRUST_200600_302600_NS6detail15normal_iteratorINSA_10device_ptrIxEEEEPS6_NSA_18transform_iteratorINSB_9not_fun_tI7is_trueIxEEENSC_INSD_IbEEEENSA_11use_defaultESO_EENS0_5tupleIJNSA_16discard_iteratorISO_EES6_EEENSQ_IJSG_SG_EEES6_PlJS6_EEE10hipError_tPvRmT3_T4_T5_T6_T7_T9_mT8_P12ihipStream_tbDpT10_ENKUlT_T0_E_clISt17integral_constantIbLb0EES1F_EEDaS1A_S1B_EUlS1A_E_NS1_11comp_targetILNS1_3genE3ELNS1_11target_archE908ELNS1_3gpuE7ELNS1_3repE0EEENS1_30default_config_static_selectorELNS0_4arch9wavefront6targetE0EEEvT1_
	.p2align	8
	.type	_ZN7rocprim17ROCPRIM_400000_NS6detail17trampoline_kernelINS0_14default_configENS1_25partition_config_selectorILNS1_17partition_subalgoE5ExNS0_10empty_typeEbEEZZNS1_14partition_implILS5_5ELb0ES3_mN6thrust23THRUST_200600_302600_NS6detail15normal_iteratorINSA_10device_ptrIxEEEEPS6_NSA_18transform_iteratorINSB_9not_fun_tI7is_trueIxEEENSC_INSD_IbEEEENSA_11use_defaultESO_EENS0_5tupleIJNSA_16discard_iteratorISO_EES6_EEENSQ_IJSG_SG_EEES6_PlJS6_EEE10hipError_tPvRmT3_T4_T5_T6_T7_T9_mT8_P12ihipStream_tbDpT10_ENKUlT_T0_E_clISt17integral_constantIbLb0EES1F_EEDaS1A_S1B_EUlS1A_E_NS1_11comp_targetILNS1_3genE3ELNS1_11target_archE908ELNS1_3gpuE7ELNS1_3repE0EEENS1_30default_config_static_selectorELNS0_4arch9wavefront6targetE0EEEvT1_,@function
_ZN7rocprim17ROCPRIM_400000_NS6detail17trampoline_kernelINS0_14default_configENS1_25partition_config_selectorILNS1_17partition_subalgoE5ExNS0_10empty_typeEbEEZZNS1_14partition_implILS5_5ELb0ES3_mN6thrust23THRUST_200600_302600_NS6detail15normal_iteratorINSA_10device_ptrIxEEEEPS6_NSA_18transform_iteratorINSB_9not_fun_tI7is_trueIxEEENSC_INSD_IbEEEENSA_11use_defaultESO_EENS0_5tupleIJNSA_16discard_iteratorISO_EES6_EEENSQ_IJSG_SG_EEES6_PlJS6_EEE10hipError_tPvRmT3_T4_T5_T6_T7_T9_mT8_P12ihipStream_tbDpT10_ENKUlT_T0_E_clISt17integral_constantIbLb0EES1F_EEDaS1A_S1B_EUlS1A_E_NS1_11comp_targetILNS1_3genE3ELNS1_11target_archE908ELNS1_3gpuE7ELNS1_3repE0EEENS1_30default_config_static_selectorELNS0_4arch9wavefront6targetE0EEEvT1_: ; @_ZN7rocprim17ROCPRIM_400000_NS6detail17trampoline_kernelINS0_14default_configENS1_25partition_config_selectorILNS1_17partition_subalgoE5ExNS0_10empty_typeEbEEZZNS1_14partition_implILS5_5ELb0ES3_mN6thrust23THRUST_200600_302600_NS6detail15normal_iteratorINSA_10device_ptrIxEEEEPS6_NSA_18transform_iteratorINSB_9not_fun_tI7is_trueIxEEENSC_INSD_IbEEEENSA_11use_defaultESO_EENS0_5tupleIJNSA_16discard_iteratorISO_EES6_EEENSQ_IJSG_SG_EEES6_PlJS6_EEE10hipError_tPvRmT3_T4_T5_T6_T7_T9_mT8_P12ihipStream_tbDpT10_ENKUlT_T0_E_clISt17integral_constantIbLb0EES1F_EEDaS1A_S1B_EUlS1A_E_NS1_11comp_targetILNS1_3genE3ELNS1_11target_archE908ELNS1_3gpuE7ELNS1_3repE0EEENS1_30default_config_static_selectorELNS0_4arch9wavefront6targetE0EEEvT1_
; %bb.0:
	.section	.rodata,"a",@progbits
	.p2align	6, 0x0
	.amdhsa_kernel _ZN7rocprim17ROCPRIM_400000_NS6detail17trampoline_kernelINS0_14default_configENS1_25partition_config_selectorILNS1_17partition_subalgoE5ExNS0_10empty_typeEbEEZZNS1_14partition_implILS5_5ELb0ES3_mN6thrust23THRUST_200600_302600_NS6detail15normal_iteratorINSA_10device_ptrIxEEEEPS6_NSA_18transform_iteratorINSB_9not_fun_tI7is_trueIxEEENSC_INSD_IbEEEENSA_11use_defaultESO_EENS0_5tupleIJNSA_16discard_iteratorISO_EES6_EEENSQ_IJSG_SG_EEES6_PlJS6_EEE10hipError_tPvRmT3_T4_T5_T6_T7_T9_mT8_P12ihipStream_tbDpT10_ENKUlT_T0_E_clISt17integral_constantIbLb0EES1F_EEDaS1A_S1B_EUlS1A_E_NS1_11comp_targetILNS1_3genE3ELNS1_11target_archE908ELNS1_3gpuE7ELNS1_3repE0EEENS1_30default_config_static_selectorELNS0_4arch9wavefront6targetE0EEEvT1_
		.amdhsa_group_segment_fixed_size 0
		.amdhsa_private_segment_fixed_size 0
		.amdhsa_kernarg_size 128
		.amdhsa_user_sgpr_count 2
		.amdhsa_user_sgpr_dispatch_ptr 0
		.amdhsa_user_sgpr_queue_ptr 0
		.amdhsa_user_sgpr_kernarg_segment_ptr 1
		.amdhsa_user_sgpr_dispatch_id 0
		.amdhsa_user_sgpr_private_segment_size 0
		.amdhsa_wavefront_size32 1
		.amdhsa_uses_dynamic_stack 0
		.amdhsa_enable_private_segment 0
		.amdhsa_system_sgpr_workgroup_id_x 1
		.amdhsa_system_sgpr_workgroup_id_y 0
		.amdhsa_system_sgpr_workgroup_id_z 0
		.amdhsa_system_sgpr_workgroup_info 0
		.amdhsa_system_vgpr_workitem_id 0
		.amdhsa_next_free_vgpr 1
		.amdhsa_next_free_sgpr 1
		.amdhsa_reserve_vcc 0
		.amdhsa_float_round_mode_32 0
		.amdhsa_float_round_mode_16_64 0
		.amdhsa_float_denorm_mode_32 3
		.amdhsa_float_denorm_mode_16_64 3
		.amdhsa_fp16_overflow 0
		.amdhsa_workgroup_processor_mode 1
		.amdhsa_memory_ordered 1
		.amdhsa_forward_progress 1
		.amdhsa_inst_pref_size 0
		.amdhsa_round_robin_scheduling 0
		.amdhsa_exception_fp_ieee_invalid_op 0
		.amdhsa_exception_fp_denorm_src 0
		.amdhsa_exception_fp_ieee_div_zero 0
		.amdhsa_exception_fp_ieee_overflow 0
		.amdhsa_exception_fp_ieee_underflow 0
		.amdhsa_exception_fp_ieee_inexact 0
		.amdhsa_exception_int_div_zero 0
	.end_amdhsa_kernel
	.section	.text._ZN7rocprim17ROCPRIM_400000_NS6detail17trampoline_kernelINS0_14default_configENS1_25partition_config_selectorILNS1_17partition_subalgoE5ExNS0_10empty_typeEbEEZZNS1_14partition_implILS5_5ELb0ES3_mN6thrust23THRUST_200600_302600_NS6detail15normal_iteratorINSA_10device_ptrIxEEEEPS6_NSA_18transform_iteratorINSB_9not_fun_tI7is_trueIxEEENSC_INSD_IbEEEENSA_11use_defaultESO_EENS0_5tupleIJNSA_16discard_iteratorISO_EES6_EEENSQ_IJSG_SG_EEES6_PlJS6_EEE10hipError_tPvRmT3_T4_T5_T6_T7_T9_mT8_P12ihipStream_tbDpT10_ENKUlT_T0_E_clISt17integral_constantIbLb0EES1F_EEDaS1A_S1B_EUlS1A_E_NS1_11comp_targetILNS1_3genE3ELNS1_11target_archE908ELNS1_3gpuE7ELNS1_3repE0EEENS1_30default_config_static_selectorELNS0_4arch9wavefront6targetE0EEEvT1_,"axG",@progbits,_ZN7rocprim17ROCPRIM_400000_NS6detail17trampoline_kernelINS0_14default_configENS1_25partition_config_selectorILNS1_17partition_subalgoE5ExNS0_10empty_typeEbEEZZNS1_14partition_implILS5_5ELb0ES3_mN6thrust23THRUST_200600_302600_NS6detail15normal_iteratorINSA_10device_ptrIxEEEEPS6_NSA_18transform_iteratorINSB_9not_fun_tI7is_trueIxEEENSC_INSD_IbEEEENSA_11use_defaultESO_EENS0_5tupleIJNSA_16discard_iteratorISO_EES6_EEENSQ_IJSG_SG_EEES6_PlJS6_EEE10hipError_tPvRmT3_T4_T5_T6_T7_T9_mT8_P12ihipStream_tbDpT10_ENKUlT_T0_E_clISt17integral_constantIbLb0EES1F_EEDaS1A_S1B_EUlS1A_E_NS1_11comp_targetILNS1_3genE3ELNS1_11target_archE908ELNS1_3gpuE7ELNS1_3repE0EEENS1_30default_config_static_selectorELNS0_4arch9wavefront6targetE0EEEvT1_,comdat
.Lfunc_end2752:
	.size	_ZN7rocprim17ROCPRIM_400000_NS6detail17trampoline_kernelINS0_14default_configENS1_25partition_config_selectorILNS1_17partition_subalgoE5ExNS0_10empty_typeEbEEZZNS1_14partition_implILS5_5ELb0ES3_mN6thrust23THRUST_200600_302600_NS6detail15normal_iteratorINSA_10device_ptrIxEEEEPS6_NSA_18transform_iteratorINSB_9not_fun_tI7is_trueIxEEENSC_INSD_IbEEEENSA_11use_defaultESO_EENS0_5tupleIJNSA_16discard_iteratorISO_EES6_EEENSQ_IJSG_SG_EEES6_PlJS6_EEE10hipError_tPvRmT3_T4_T5_T6_T7_T9_mT8_P12ihipStream_tbDpT10_ENKUlT_T0_E_clISt17integral_constantIbLb0EES1F_EEDaS1A_S1B_EUlS1A_E_NS1_11comp_targetILNS1_3genE3ELNS1_11target_archE908ELNS1_3gpuE7ELNS1_3repE0EEENS1_30default_config_static_selectorELNS0_4arch9wavefront6targetE0EEEvT1_, .Lfunc_end2752-_ZN7rocprim17ROCPRIM_400000_NS6detail17trampoline_kernelINS0_14default_configENS1_25partition_config_selectorILNS1_17partition_subalgoE5ExNS0_10empty_typeEbEEZZNS1_14partition_implILS5_5ELb0ES3_mN6thrust23THRUST_200600_302600_NS6detail15normal_iteratorINSA_10device_ptrIxEEEEPS6_NSA_18transform_iteratorINSB_9not_fun_tI7is_trueIxEEENSC_INSD_IbEEEENSA_11use_defaultESO_EENS0_5tupleIJNSA_16discard_iteratorISO_EES6_EEENSQ_IJSG_SG_EEES6_PlJS6_EEE10hipError_tPvRmT3_T4_T5_T6_T7_T9_mT8_P12ihipStream_tbDpT10_ENKUlT_T0_E_clISt17integral_constantIbLb0EES1F_EEDaS1A_S1B_EUlS1A_E_NS1_11comp_targetILNS1_3genE3ELNS1_11target_archE908ELNS1_3gpuE7ELNS1_3repE0EEENS1_30default_config_static_selectorELNS0_4arch9wavefront6targetE0EEEvT1_
                                        ; -- End function
	.set _ZN7rocprim17ROCPRIM_400000_NS6detail17trampoline_kernelINS0_14default_configENS1_25partition_config_selectorILNS1_17partition_subalgoE5ExNS0_10empty_typeEbEEZZNS1_14partition_implILS5_5ELb0ES3_mN6thrust23THRUST_200600_302600_NS6detail15normal_iteratorINSA_10device_ptrIxEEEEPS6_NSA_18transform_iteratorINSB_9not_fun_tI7is_trueIxEEENSC_INSD_IbEEEENSA_11use_defaultESO_EENS0_5tupleIJNSA_16discard_iteratorISO_EES6_EEENSQ_IJSG_SG_EEES6_PlJS6_EEE10hipError_tPvRmT3_T4_T5_T6_T7_T9_mT8_P12ihipStream_tbDpT10_ENKUlT_T0_E_clISt17integral_constantIbLb0EES1F_EEDaS1A_S1B_EUlS1A_E_NS1_11comp_targetILNS1_3genE3ELNS1_11target_archE908ELNS1_3gpuE7ELNS1_3repE0EEENS1_30default_config_static_selectorELNS0_4arch9wavefront6targetE0EEEvT1_.num_vgpr, 0
	.set _ZN7rocprim17ROCPRIM_400000_NS6detail17trampoline_kernelINS0_14default_configENS1_25partition_config_selectorILNS1_17partition_subalgoE5ExNS0_10empty_typeEbEEZZNS1_14partition_implILS5_5ELb0ES3_mN6thrust23THRUST_200600_302600_NS6detail15normal_iteratorINSA_10device_ptrIxEEEEPS6_NSA_18transform_iteratorINSB_9not_fun_tI7is_trueIxEEENSC_INSD_IbEEEENSA_11use_defaultESO_EENS0_5tupleIJNSA_16discard_iteratorISO_EES6_EEENSQ_IJSG_SG_EEES6_PlJS6_EEE10hipError_tPvRmT3_T4_T5_T6_T7_T9_mT8_P12ihipStream_tbDpT10_ENKUlT_T0_E_clISt17integral_constantIbLb0EES1F_EEDaS1A_S1B_EUlS1A_E_NS1_11comp_targetILNS1_3genE3ELNS1_11target_archE908ELNS1_3gpuE7ELNS1_3repE0EEENS1_30default_config_static_selectorELNS0_4arch9wavefront6targetE0EEEvT1_.num_agpr, 0
	.set _ZN7rocprim17ROCPRIM_400000_NS6detail17trampoline_kernelINS0_14default_configENS1_25partition_config_selectorILNS1_17partition_subalgoE5ExNS0_10empty_typeEbEEZZNS1_14partition_implILS5_5ELb0ES3_mN6thrust23THRUST_200600_302600_NS6detail15normal_iteratorINSA_10device_ptrIxEEEEPS6_NSA_18transform_iteratorINSB_9not_fun_tI7is_trueIxEEENSC_INSD_IbEEEENSA_11use_defaultESO_EENS0_5tupleIJNSA_16discard_iteratorISO_EES6_EEENSQ_IJSG_SG_EEES6_PlJS6_EEE10hipError_tPvRmT3_T4_T5_T6_T7_T9_mT8_P12ihipStream_tbDpT10_ENKUlT_T0_E_clISt17integral_constantIbLb0EES1F_EEDaS1A_S1B_EUlS1A_E_NS1_11comp_targetILNS1_3genE3ELNS1_11target_archE908ELNS1_3gpuE7ELNS1_3repE0EEENS1_30default_config_static_selectorELNS0_4arch9wavefront6targetE0EEEvT1_.numbered_sgpr, 0
	.set _ZN7rocprim17ROCPRIM_400000_NS6detail17trampoline_kernelINS0_14default_configENS1_25partition_config_selectorILNS1_17partition_subalgoE5ExNS0_10empty_typeEbEEZZNS1_14partition_implILS5_5ELb0ES3_mN6thrust23THRUST_200600_302600_NS6detail15normal_iteratorINSA_10device_ptrIxEEEEPS6_NSA_18transform_iteratorINSB_9not_fun_tI7is_trueIxEEENSC_INSD_IbEEEENSA_11use_defaultESO_EENS0_5tupleIJNSA_16discard_iteratorISO_EES6_EEENSQ_IJSG_SG_EEES6_PlJS6_EEE10hipError_tPvRmT3_T4_T5_T6_T7_T9_mT8_P12ihipStream_tbDpT10_ENKUlT_T0_E_clISt17integral_constantIbLb0EES1F_EEDaS1A_S1B_EUlS1A_E_NS1_11comp_targetILNS1_3genE3ELNS1_11target_archE908ELNS1_3gpuE7ELNS1_3repE0EEENS1_30default_config_static_selectorELNS0_4arch9wavefront6targetE0EEEvT1_.num_named_barrier, 0
	.set _ZN7rocprim17ROCPRIM_400000_NS6detail17trampoline_kernelINS0_14default_configENS1_25partition_config_selectorILNS1_17partition_subalgoE5ExNS0_10empty_typeEbEEZZNS1_14partition_implILS5_5ELb0ES3_mN6thrust23THRUST_200600_302600_NS6detail15normal_iteratorINSA_10device_ptrIxEEEEPS6_NSA_18transform_iteratorINSB_9not_fun_tI7is_trueIxEEENSC_INSD_IbEEEENSA_11use_defaultESO_EENS0_5tupleIJNSA_16discard_iteratorISO_EES6_EEENSQ_IJSG_SG_EEES6_PlJS6_EEE10hipError_tPvRmT3_T4_T5_T6_T7_T9_mT8_P12ihipStream_tbDpT10_ENKUlT_T0_E_clISt17integral_constantIbLb0EES1F_EEDaS1A_S1B_EUlS1A_E_NS1_11comp_targetILNS1_3genE3ELNS1_11target_archE908ELNS1_3gpuE7ELNS1_3repE0EEENS1_30default_config_static_selectorELNS0_4arch9wavefront6targetE0EEEvT1_.private_seg_size, 0
	.set _ZN7rocprim17ROCPRIM_400000_NS6detail17trampoline_kernelINS0_14default_configENS1_25partition_config_selectorILNS1_17partition_subalgoE5ExNS0_10empty_typeEbEEZZNS1_14partition_implILS5_5ELb0ES3_mN6thrust23THRUST_200600_302600_NS6detail15normal_iteratorINSA_10device_ptrIxEEEEPS6_NSA_18transform_iteratorINSB_9not_fun_tI7is_trueIxEEENSC_INSD_IbEEEENSA_11use_defaultESO_EENS0_5tupleIJNSA_16discard_iteratorISO_EES6_EEENSQ_IJSG_SG_EEES6_PlJS6_EEE10hipError_tPvRmT3_T4_T5_T6_T7_T9_mT8_P12ihipStream_tbDpT10_ENKUlT_T0_E_clISt17integral_constantIbLb0EES1F_EEDaS1A_S1B_EUlS1A_E_NS1_11comp_targetILNS1_3genE3ELNS1_11target_archE908ELNS1_3gpuE7ELNS1_3repE0EEENS1_30default_config_static_selectorELNS0_4arch9wavefront6targetE0EEEvT1_.uses_vcc, 0
	.set _ZN7rocprim17ROCPRIM_400000_NS6detail17trampoline_kernelINS0_14default_configENS1_25partition_config_selectorILNS1_17partition_subalgoE5ExNS0_10empty_typeEbEEZZNS1_14partition_implILS5_5ELb0ES3_mN6thrust23THRUST_200600_302600_NS6detail15normal_iteratorINSA_10device_ptrIxEEEEPS6_NSA_18transform_iteratorINSB_9not_fun_tI7is_trueIxEEENSC_INSD_IbEEEENSA_11use_defaultESO_EENS0_5tupleIJNSA_16discard_iteratorISO_EES6_EEENSQ_IJSG_SG_EEES6_PlJS6_EEE10hipError_tPvRmT3_T4_T5_T6_T7_T9_mT8_P12ihipStream_tbDpT10_ENKUlT_T0_E_clISt17integral_constantIbLb0EES1F_EEDaS1A_S1B_EUlS1A_E_NS1_11comp_targetILNS1_3genE3ELNS1_11target_archE908ELNS1_3gpuE7ELNS1_3repE0EEENS1_30default_config_static_selectorELNS0_4arch9wavefront6targetE0EEEvT1_.uses_flat_scratch, 0
	.set _ZN7rocprim17ROCPRIM_400000_NS6detail17trampoline_kernelINS0_14default_configENS1_25partition_config_selectorILNS1_17partition_subalgoE5ExNS0_10empty_typeEbEEZZNS1_14partition_implILS5_5ELb0ES3_mN6thrust23THRUST_200600_302600_NS6detail15normal_iteratorINSA_10device_ptrIxEEEEPS6_NSA_18transform_iteratorINSB_9not_fun_tI7is_trueIxEEENSC_INSD_IbEEEENSA_11use_defaultESO_EENS0_5tupleIJNSA_16discard_iteratorISO_EES6_EEENSQ_IJSG_SG_EEES6_PlJS6_EEE10hipError_tPvRmT3_T4_T5_T6_T7_T9_mT8_P12ihipStream_tbDpT10_ENKUlT_T0_E_clISt17integral_constantIbLb0EES1F_EEDaS1A_S1B_EUlS1A_E_NS1_11comp_targetILNS1_3genE3ELNS1_11target_archE908ELNS1_3gpuE7ELNS1_3repE0EEENS1_30default_config_static_selectorELNS0_4arch9wavefront6targetE0EEEvT1_.has_dyn_sized_stack, 0
	.set _ZN7rocprim17ROCPRIM_400000_NS6detail17trampoline_kernelINS0_14default_configENS1_25partition_config_selectorILNS1_17partition_subalgoE5ExNS0_10empty_typeEbEEZZNS1_14partition_implILS5_5ELb0ES3_mN6thrust23THRUST_200600_302600_NS6detail15normal_iteratorINSA_10device_ptrIxEEEEPS6_NSA_18transform_iteratorINSB_9not_fun_tI7is_trueIxEEENSC_INSD_IbEEEENSA_11use_defaultESO_EENS0_5tupleIJNSA_16discard_iteratorISO_EES6_EEENSQ_IJSG_SG_EEES6_PlJS6_EEE10hipError_tPvRmT3_T4_T5_T6_T7_T9_mT8_P12ihipStream_tbDpT10_ENKUlT_T0_E_clISt17integral_constantIbLb0EES1F_EEDaS1A_S1B_EUlS1A_E_NS1_11comp_targetILNS1_3genE3ELNS1_11target_archE908ELNS1_3gpuE7ELNS1_3repE0EEENS1_30default_config_static_selectorELNS0_4arch9wavefront6targetE0EEEvT1_.has_recursion, 0
	.set _ZN7rocprim17ROCPRIM_400000_NS6detail17trampoline_kernelINS0_14default_configENS1_25partition_config_selectorILNS1_17partition_subalgoE5ExNS0_10empty_typeEbEEZZNS1_14partition_implILS5_5ELb0ES3_mN6thrust23THRUST_200600_302600_NS6detail15normal_iteratorINSA_10device_ptrIxEEEEPS6_NSA_18transform_iteratorINSB_9not_fun_tI7is_trueIxEEENSC_INSD_IbEEEENSA_11use_defaultESO_EENS0_5tupleIJNSA_16discard_iteratorISO_EES6_EEENSQ_IJSG_SG_EEES6_PlJS6_EEE10hipError_tPvRmT3_T4_T5_T6_T7_T9_mT8_P12ihipStream_tbDpT10_ENKUlT_T0_E_clISt17integral_constantIbLb0EES1F_EEDaS1A_S1B_EUlS1A_E_NS1_11comp_targetILNS1_3genE3ELNS1_11target_archE908ELNS1_3gpuE7ELNS1_3repE0EEENS1_30default_config_static_selectorELNS0_4arch9wavefront6targetE0EEEvT1_.has_indirect_call, 0
	.section	.AMDGPU.csdata,"",@progbits
; Kernel info:
; codeLenInByte = 0
; TotalNumSgprs: 0
; NumVgprs: 0
; ScratchSize: 0
; MemoryBound: 0
; FloatMode: 240
; IeeeMode: 1
; LDSByteSize: 0 bytes/workgroup (compile time only)
; SGPRBlocks: 0
; VGPRBlocks: 0
; NumSGPRsForWavesPerEU: 1
; NumVGPRsForWavesPerEU: 1
; Occupancy: 16
; WaveLimiterHint : 0
; COMPUTE_PGM_RSRC2:SCRATCH_EN: 0
; COMPUTE_PGM_RSRC2:USER_SGPR: 2
; COMPUTE_PGM_RSRC2:TRAP_HANDLER: 0
; COMPUTE_PGM_RSRC2:TGID_X_EN: 1
; COMPUTE_PGM_RSRC2:TGID_Y_EN: 0
; COMPUTE_PGM_RSRC2:TGID_Z_EN: 0
; COMPUTE_PGM_RSRC2:TIDIG_COMP_CNT: 0
	.section	.text._ZN7rocprim17ROCPRIM_400000_NS6detail17trampoline_kernelINS0_14default_configENS1_25partition_config_selectorILNS1_17partition_subalgoE5ExNS0_10empty_typeEbEEZZNS1_14partition_implILS5_5ELb0ES3_mN6thrust23THRUST_200600_302600_NS6detail15normal_iteratorINSA_10device_ptrIxEEEEPS6_NSA_18transform_iteratorINSB_9not_fun_tI7is_trueIxEEENSC_INSD_IbEEEENSA_11use_defaultESO_EENS0_5tupleIJNSA_16discard_iteratorISO_EES6_EEENSQ_IJSG_SG_EEES6_PlJS6_EEE10hipError_tPvRmT3_T4_T5_T6_T7_T9_mT8_P12ihipStream_tbDpT10_ENKUlT_T0_E_clISt17integral_constantIbLb0EES1F_EEDaS1A_S1B_EUlS1A_E_NS1_11comp_targetILNS1_3genE2ELNS1_11target_archE906ELNS1_3gpuE6ELNS1_3repE0EEENS1_30default_config_static_selectorELNS0_4arch9wavefront6targetE0EEEvT1_,"axG",@progbits,_ZN7rocprim17ROCPRIM_400000_NS6detail17trampoline_kernelINS0_14default_configENS1_25partition_config_selectorILNS1_17partition_subalgoE5ExNS0_10empty_typeEbEEZZNS1_14partition_implILS5_5ELb0ES3_mN6thrust23THRUST_200600_302600_NS6detail15normal_iteratorINSA_10device_ptrIxEEEEPS6_NSA_18transform_iteratorINSB_9not_fun_tI7is_trueIxEEENSC_INSD_IbEEEENSA_11use_defaultESO_EENS0_5tupleIJNSA_16discard_iteratorISO_EES6_EEENSQ_IJSG_SG_EEES6_PlJS6_EEE10hipError_tPvRmT3_T4_T5_T6_T7_T9_mT8_P12ihipStream_tbDpT10_ENKUlT_T0_E_clISt17integral_constantIbLb0EES1F_EEDaS1A_S1B_EUlS1A_E_NS1_11comp_targetILNS1_3genE2ELNS1_11target_archE906ELNS1_3gpuE6ELNS1_3repE0EEENS1_30default_config_static_selectorELNS0_4arch9wavefront6targetE0EEEvT1_,comdat
	.protected	_ZN7rocprim17ROCPRIM_400000_NS6detail17trampoline_kernelINS0_14default_configENS1_25partition_config_selectorILNS1_17partition_subalgoE5ExNS0_10empty_typeEbEEZZNS1_14partition_implILS5_5ELb0ES3_mN6thrust23THRUST_200600_302600_NS6detail15normal_iteratorINSA_10device_ptrIxEEEEPS6_NSA_18transform_iteratorINSB_9not_fun_tI7is_trueIxEEENSC_INSD_IbEEEENSA_11use_defaultESO_EENS0_5tupleIJNSA_16discard_iteratorISO_EES6_EEENSQ_IJSG_SG_EEES6_PlJS6_EEE10hipError_tPvRmT3_T4_T5_T6_T7_T9_mT8_P12ihipStream_tbDpT10_ENKUlT_T0_E_clISt17integral_constantIbLb0EES1F_EEDaS1A_S1B_EUlS1A_E_NS1_11comp_targetILNS1_3genE2ELNS1_11target_archE906ELNS1_3gpuE6ELNS1_3repE0EEENS1_30default_config_static_selectorELNS0_4arch9wavefront6targetE0EEEvT1_ ; -- Begin function _ZN7rocprim17ROCPRIM_400000_NS6detail17trampoline_kernelINS0_14default_configENS1_25partition_config_selectorILNS1_17partition_subalgoE5ExNS0_10empty_typeEbEEZZNS1_14partition_implILS5_5ELb0ES3_mN6thrust23THRUST_200600_302600_NS6detail15normal_iteratorINSA_10device_ptrIxEEEEPS6_NSA_18transform_iteratorINSB_9not_fun_tI7is_trueIxEEENSC_INSD_IbEEEENSA_11use_defaultESO_EENS0_5tupleIJNSA_16discard_iteratorISO_EES6_EEENSQ_IJSG_SG_EEES6_PlJS6_EEE10hipError_tPvRmT3_T4_T5_T6_T7_T9_mT8_P12ihipStream_tbDpT10_ENKUlT_T0_E_clISt17integral_constantIbLb0EES1F_EEDaS1A_S1B_EUlS1A_E_NS1_11comp_targetILNS1_3genE2ELNS1_11target_archE906ELNS1_3gpuE6ELNS1_3repE0EEENS1_30default_config_static_selectorELNS0_4arch9wavefront6targetE0EEEvT1_
	.globl	_ZN7rocprim17ROCPRIM_400000_NS6detail17trampoline_kernelINS0_14default_configENS1_25partition_config_selectorILNS1_17partition_subalgoE5ExNS0_10empty_typeEbEEZZNS1_14partition_implILS5_5ELb0ES3_mN6thrust23THRUST_200600_302600_NS6detail15normal_iteratorINSA_10device_ptrIxEEEEPS6_NSA_18transform_iteratorINSB_9not_fun_tI7is_trueIxEEENSC_INSD_IbEEEENSA_11use_defaultESO_EENS0_5tupleIJNSA_16discard_iteratorISO_EES6_EEENSQ_IJSG_SG_EEES6_PlJS6_EEE10hipError_tPvRmT3_T4_T5_T6_T7_T9_mT8_P12ihipStream_tbDpT10_ENKUlT_T0_E_clISt17integral_constantIbLb0EES1F_EEDaS1A_S1B_EUlS1A_E_NS1_11comp_targetILNS1_3genE2ELNS1_11target_archE906ELNS1_3gpuE6ELNS1_3repE0EEENS1_30default_config_static_selectorELNS0_4arch9wavefront6targetE0EEEvT1_
	.p2align	8
	.type	_ZN7rocprim17ROCPRIM_400000_NS6detail17trampoline_kernelINS0_14default_configENS1_25partition_config_selectorILNS1_17partition_subalgoE5ExNS0_10empty_typeEbEEZZNS1_14partition_implILS5_5ELb0ES3_mN6thrust23THRUST_200600_302600_NS6detail15normal_iteratorINSA_10device_ptrIxEEEEPS6_NSA_18transform_iteratorINSB_9not_fun_tI7is_trueIxEEENSC_INSD_IbEEEENSA_11use_defaultESO_EENS0_5tupleIJNSA_16discard_iteratorISO_EES6_EEENSQ_IJSG_SG_EEES6_PlJS6_EEE10hipError_tPvRmT3_T4_T5_T6_T7_T9_mT8_P12ihipStream_tbDpT10_ENKUlT_T0_E_clISt17integral_constantIbLb0EES1F_EEDaS1A_S1B_EUlS1A_E_NS1_11comp_targetILNS1_3genE2ELNS1_11target_archE906ELNS1_3gpuE6ELNS1_3repE0EEENS1_30default_config_static_selectorELNS0_4arch9wavefront6targetE0EEEvT1_,@function
_ZN7rocprim17ROCPRIM_400000_NS6detail17trampoline_kernelINS0_14default_configENS1_25partition_config_selectorILNS1_17partition_subalgoE5ExNS0_10empty_typeEbEEZZNS1_14partition_implILS5_5ELb0ES3_mN6thrust23THRUST_200600_302600_NS6detail15normal_iteratorINSA_10device_ptrIxEEEEPS6_NSA_18transform_iteratorINSB_9not_fun_tI7is_trueIxEEENSC_INSD_IbEEEENSA_11use_defaultESO_EENS0_5tupleIJNSA_16discard_iteratorISO_EES6_EEENSQ_IJSG_SG_EEES6_PlJS6_EEE10hipError_tPvRmT3_T4_T5_T6_T7_T9_mT8_P12ihipStream_tbDpT10_ENKUlT_T0_E_clISt17integral_constantIbLb0EES1F_EEDaS1A_S1B_EUlS1A_E_NS1_11comp_targetILNS1_3genE2ELNS1_11target_archE906ELNS1_3gpuE6ELNS1_3repE0EEENS1_30default_config_static_selectorELNS0_4arch9wavefront6targetE0EEEvT1_: ; @_ZN7rocprim17ROCPRIM_400000_NS6detail17trampoline_kernelINS0_14default_configENS1_25partition_config_selectorILNS1_17partition_subalgoE5ExNS0_10empty_typeEbEEZZNS1_14partition_implILS5_5ELb0ES3_mN6thrust23THRUST_200600_302600_NS6detail15normal_iteratorINSA_10device_ptrIxEEEEPS6_NSA_18transform_iteratorINSB_9not_fun_tI7is_trueIxEEENSC_INSD_IbEEEENSA_11use_defaultESO_EENS0_5tupleIJNSA_16discard_iteratorISO_EES6_EEENSQ_IJSG_SG_EEES6_PlJS6_EEE10hipError_tPvRmT3_T4_T5_T6_T7_T9_mT8_P12ihipStream_tbDpT10_ENKUlT_T0_E_clISt17integral_constantIbLb0EES1F_EEDaS1A_S1B_EUlS1A_E_NS1_11comp_targetILNS1_3genE2ELNS1_11target_archE906ELNS1_3gpuE6ELNS1_3repE0EEENS1_30default_config_static_selectorELNS0_4arch9wavefront6targetE0EEEvT1_
; %bb.0:
	.section	.rodata,"a",@progbits
	.p2align	6, 0x0
	.amdhsa_kernel _ZN7rocprim17ROCPRIM_400000_NS6detail17trampoline_kernelINS0_14default_configENS1_25partition_config_selectorILNS1_17partition_subalgoE5ExNS0_10empty_typeEbEEZZNS1_14partition_implILS5_5ELb0ES3_mN6thrust23THRUST_200600_302600_NS6detail15normal_iteratorINSA_10device_ptrIxEEEEPS6_NSA_18transform_iteratorINSB_9not_fun_tI7is_trueIxEEENSC_INSD_IbEEEENSA_11use_defaultESO_EENS0_5tupleIJNSA_16discard_iteratorISO_EES6_EEENSQ_IJSG_SG_EEES6_PlJS6_EEE10hipError_tPvRmT3_T4_T5_T6_T7_T9_mT8_P12ihipStream_tbDpT10_ENKUlT_T0_E_clISt17integral_constantIbLb0EES1F_EEDaS1A_S1B_EUlS1A_E_NS1_11comp_targetILNS1_3genE2ELNS1_11target_archE906ELNS1_3gpuE6ELNS1_3repE0EEENS1_30default_config_static_selectorELNS0_4arch9wavefront6targetE0EEEvT1_
		.amdhsa_group_segment_fixed_size 0
		.amdhsa_private_segment_fixed_size 0
		.amdhsa_kernarg_size 128
		.amdhsa_user_sgpr_count 2
		.amdhsa_user_sgpr_dispatch_ptr 0
		.amdhsa_user_sgpr_queue_ptr 0
		.amdhsa_user_sgpr_kernarg_segment_ptr 1
		.amdhsa_user_sgpr_dispatch_id 0
		.amdhsa_user_sgpr_private_segment_size 0
		.amdhsa_wavefront_size32 1
		.amdhsa_uses_dynamic_stack 0
		.amdhsa_enable_private_segment 0
		.amdhsa_system_sgpr_workgroup_id_x 1
		.amdhsa_system_sgpr_workgroup_id_y 0
		.amdhsa_system_sgpr_workgroup_id_z 0
		.amdhsa_system_sgpr_workgroup_info 0
		.amdhsa_system_vgpr_workitem_id 0
		.amdhsa_next_free_vgpr 1
		.amdhsa_next_free_sgpr 1
		.amdhsa_reserve_vcc 0
		.amdhsa_float_round_mode_32 0
		.amdhsa_float_round_mode_16_64 0
		.amdhsa_float_denorm_mode_32 3
		.amdhsa_float_denorm_mode_16_64 3
		.amdhsa_fp16_overflow 0
		.amdhsa_workgroup_processor_mode 1
		.amdhsa_memory_ordered 1
		.amdhsa_forward_progress 1
		.amdhsa_inst_pref_size 0
		.amdhsa_round_robin_scheduling 0
		.amdhsa_exception_fp_ieee_invalid_op 0
		.amdhsa_exception_fp_denorm_src 0
		.amdhsa_exception_fp_ieee_div_zero 0
		.amdhsa_exception_fp_ieee_overflow 0
		.amdhsa_exception_fp_ieee_underflow 0
		.amdhsa_exception_fp_ieee_inexact 0
		.amdhsa_exception_int_div_zero 0
	.end_amdhsa_kernel
	.section	.text._ZN7rocprim17ROCPRIM_400000_NS6detail17trampoline_kernelINS0_14default_configENS1_25partition_config_selectorILNS1_17partition_subalgoE5ExNS0_10empty_typeEbEEZZNS1_14partition_implILS5_5ELb0ES3_mN6thrust23THRUST_200600_302600_NS6detail15normal_iteratorINSA_10device_ptrIxEEEEPS6_NSA_18transform_iteratorINSB_9not_fun_tI7is_trueIxEEENSC_INSD_IbEEEENSA_11use_defaultESO_EENS0_5tupleIJNSA_16discard_iteratorISO_EES6_EEENSQ_IJSG_SG_EEES6_PlJS6_EEE10hipError_tPvRmT3_T4_T5_T6_T7_T9_mT8_P12ihipStream_tbDpT10_ENKUlT_T0_E_clISt17integral_constantIbLb0EES1F_EEDaS1A_S1B_EUlS1A_E_NS1_11comp_targetILNS1_3genE2ELNS1_11target_archE906ELNS1_3gpuE6ELNS1_3repE0EEENS1_30default_config_static_selectorELNS0_4arch9wavefront6targetE0EEEvT1_,"axG",@progbits,_ZN7rocprim17ROCPRIM_400000_NS6detail17trampoline_kernelINS0_14default_configENS1_25partition_config_selectorILNS1_17partition_subalgoE5ExNS0_10empty_typeEbEEZZNS1_14partition_implILS5_5ELb0ES3_mN6thrust23THRUST_200600_302600_NS6detail15normal_iteratorINSA_10device_ptrIxEEEEPS6_NSA_18transform_iteratorINSB_9not_fun_tI7is_trueIxEEENSC_INSD_IbEEEENSA_11use_defaultESO_EENS0_5tupleIJNSA_16discard_iteratorISO_EES6_EEENSQ_IJSG_SG_EEES6_PlJS6_EEE10hipError_tPvRmT3_T4_T5_T6_T7_T9_mT8_P12ihipStream_tbDpT10_ENKUlT_T0_E_clISt17integral_constantIbLb0EES1F_EEDaS1A_S1B_EUlS1A_E_NS1_11comp_targetILNS1_3genE2ELNS1_11target_archE906ELNS1_3gpuE6ELNS1_3repE0EEENS1_30default_config_static_selectorELNS0_4arch9wavefront6targetE0EEEvT1_,comdat
.Lfunc_end2753:
	.size	_ZN7rocprim17ROCPRIM_400000_NS6detail17trampoline_kernelINS0_14default_configENS1_25partition_config_selectorILNS1_17partition_subalgoE5ExNS0_10empty_typeEbEEZZNS1_14partition_implILS5_5ELb0ES3_mN6thrust23THRUST_200600_302600_NS6detail15normal_iteratorINSA_10device_ptrIxEEEEPS6_NSA_18transform_iteratorINSB_9not_fun_tI7is_trueIxEEENSC_INSD_IbEEEENSA_11use_defaultESO_EENS0_5tupleIJNSA_16discard_iteratorISO_EES6_EEENSQ_IJSG_SG_EEES6_PlJS6_EEE10hipError_tPvRmT3_T4_T5_T6_T7_T9_mT8_P12ihipStream_tbDpT10_ENKUlT_T0_E_clISt17integral_constantIbLb0EES1F_EEDaS1A_S1B_EUlS1A_E_NS1_11comp_targetILNS1_3genE2ELNS1_11target_archE906ELNS1_3gpuE6ELNS1_3repE0EEENS1_30default_config_static_selectorELNS0_4arch9wavefront6targetE0EEEvT1_, .Lfunc_end2753-_ZN7rocprim17ROCPRIM_400000_NS6detail17trampoline_kernelINS0_14default_configENS1_25partition_config_selectorILNS1_17partition_subalgoE5ExNS0_10empty_typeEbEEZZNS1_14partition_implILS5_5ELb0ES3_mN6thrust23THRUST_200600_302600_NS6detail15normal_iteratorINSA_10device_ptrIxEEEEPS6_NSA_18transform_iteratorINSB_9not_fun_tI7is_trueIxEEENSC_INSD_IbEEEENSA_11use_defaultESO_EENS0_5tupleIJNSA_16discard_iteratorISO_EES6_EEENSQ_IJSG_SG_EEES6_PlJS6_EEE10hipError_tPvRmT3_T4_T5_T6_T7_T9_mT8_P12ihipStream_tbDpT10_ENKUlT_T0_E_clISt17integral_constantIbLb0EES1F_EEDaS1A_S1B_EUlS1A_E_NS1_11comp_targetILNS1_3genE2ELNS1_11target_archE906ELNS1_3gpuE6ELNS1_3repE0EEENS1_30default_config_static_selectorELNS0_4arch9wavefront6targetE0EEEvT1_
                                        ; -- End function
	.set _ZN7rocprim17ROCPRIM_400000_NS6detail17trampoline_kernelINS0_14default_configENS1_25partition_config_selectorILNS1_17partition_subalgoE5ExNS0_10empty_typeEbEEZZNS1_14partition_implILS5_5ELb0ES3_mN6thrust23THRUST_200600_302600_NS6detail15normal_iteratorINSA_10device_ptrIxEEEEPS6_NSA_18transform_iteratorINSB_9not_fun_tI7is_trueIxEEENSC_INSD_IbEEEENSA_11use_defaultESO_EENS0_5tupleIJNSA_16discard_iteratorISO_EES6_EEENSQ_IJSG_SG_EEES6_PlJS6_EEE10hipError_tPvRmT3_T4_T5_T6_T7_T9_mT8_P12ihipStream_tbDpT10_ENKUlT_T0_E_clISt17integral_constantIbLb0EES1F_EEDaS1A_S1B_EUlS1A_E_NS1_11comp_targetILNS1_3genE2ELNS1_11target_archE906ELNS1_3gpuE6ELNS1_3repE0EEENS1_30default_config_static_selectorELNS0_4arch9wavefront6targetE0EEEvT1_.num_vgpr, 0
	.set _ZN7rocprim17ROCPRIM_400000_NS6detail17trampoline_kernelINS0_14default_configENS1_25partition_config_selectorILNS1_17partition_subalgoE5ExNS0_10empty_typeEbEEZZNS1_14partition_implILS5_5ELb0ES3_mN6thrust23THRUST_200600_302600_NS6detail15normal_iteratorINSA_10device_ptrIxEEEEPS6_NSA_18transform_iteratorINSB_9not_fun_tI7is_trueIxEEENSC_INSD_IbEEEENSA_11use_defaultESO_EENS0_5tupleIJNSA_16discard_iteratorISO_EES6_EEENSQ_IJSG_SG_EEES6_PlJS6_EEE10hipError_tPvRmT3_T4_T5_T6_T7_T9_mT8_P12ihipStream_tbDpT10_ENKUlT_T0_E_clISt17integral_constantIbLb0EES1F_EEDaS1A_S1B_EUlS1A_E_NS1_11comp_targetILNS1_3genE2ELNS1_11target_archE906ELNS1_3gpuE6ELNS1_3repE0EEENS1_30default_config_static_selectorELNS0_4arch9wavefront6targetE0EEEvT1_.num_agpr, 0
	.set _ZN7rocprim17ROCPRIM_400000_NS6detail17trampoline_kernelINS0_14default_configENS1_25partition_config_selectorILNS1_17partition_subalgoE5ExNS0_10empty_typeEbEEZZNS1_14partition_implILS5_5ELb0ES3_mN6thrust23THRUST_200600_302600_NS6detail15normal_iteratorINSA_10device_ptrIxEEEEPS6_NSA_18transform_iteratorINSB_9not_fun_tI7is_trueIxEEENSC_INSD_IbEEEENSA_11use_defaultESO_EENS0_5tupleIJNSA_16discard_iteratorISO_EES6_EEENSQ_IJSG_SG_EEES6_PlJS6_EEE10hipError_tPvRmT3_T4_T5_T6_T7_T9_mT8_P12ihipStream_tbDpT10_ENKUlT_T0_E_clISt17integral_constantIbLb0EES1F_EEDaS1A_S1B_EUlS1A_E_NS1_11comp_targetILNS1_3genE2ELNS1_11target_archE906ELNS1_3gpuE6ELNS1_3repE0EEENS1_30default_config_static_selectorELNS0_4arch9wavefront6targetE0EEEvT1_.numbered_sgpr, 0
	.set _ZN7rocprim17ROCPRIM_400000_NS6detail17trampoline_kernelINS0_14default_configENS1_25partition_config_selectorILNS1_17partition_subalgoE5ExNS0_10empty_typeEbEEZZNS1_14partition_implILS5_5ELb0ES3_mN6thrust23THRUST_200600_302600_NS6detail15normal_iteratorINSA_10device_ptrIxEEEEPS6_NSA_18transform_iteratorINSB_9not_fun_tI7is_trueIxEEENSC_INSD_IbEEEENSA_11use_defaultESO_EENS0_5tupleIJNSA_16discard_iteratorISO_EES6_EEENSQ_IJSG_SG_EEES6_PlJS6_EEE10hipError_tPvRmT3_T4_T5_T6_T7_T9_mT8_P12ihipStream_tbDpT10_ENKUlT_T0_E_clISt17integral_constantIbLb0EES1F_EEDaS1A_S1B_EUlS1A_E_NS1_11comp_targetILNS1_3genE2ELNS1_11target_archE906ELNS1_3gpuE6ELNS1_3repE0EEENS1_30default_config_static_selectorELNS0_4arch9wavefront6targetE0EEEvT1_.num_named_barrier, 0
	.set _ZN7rocprim17ROCPRIM_400000_NS6detail17trampoline_kernelINS0_14default_configENS1_25partition_config_selectorILNS1_17partition_subalgoE5ExNS0_10empty_typeEbEEZZNS1_14partition_implILS5_5ELb0ES3_mN6thrust23THRUST_200600_302600_NS6detail15normal_iteratorINSA_10device_ptrIxEEEEPS6_NSA_18transform_iteratorINSB_9not_fun_tI7is_trueIxEEENSC_INSD_IbEEEENSA_11use_defaultESO_EENS0_5tupleIJNSA_16discard_iteratorISO_EES6_EEENSQ_IJSG_SG_EEES6_PlJS6_EEE10hipError_tPvRmT3_T4_T5_T6_T7_T9_mT8_P12ihipStream_tbDpT10_ENKUlT_T0_E_clISt17integral_constantIbLb0EES1F_EEDaS1A_S1B_EUlS1A_E_NS1_11comp_targetILNS1_3genE2ELNS1_11target_archE906ELNS1_3gpuE6ELNS1_3repE0EEENS1_30default_config_static_selectorELNS0_4arch9wavefront6targetE0EEEvT1_.private_seg_size, 0
	.set _ZN7rocprim17ROCPRIM_400000_NS6detail17trampoline_kernelINS0_14default_configENS1_25partition_config_selectorILNS1_17partition_subalgoE5ExNS0_10empty_typeEbEEZZNS1_14partition_implILS5_5ELb0ES3_mN6thrust23THRUST_200600_302600_NS6detail15normal_iteratorINSA_10device_ptrIxEEEEPS6_NSA_18transform_iteratorINSB_9not_fun_tI7is_trueIxEEENSC_INSD_IbEEEENSA_11use_defaultESO_EENS0_5tupleIJNSA_16discard_iteratorISO_EES6_EEENSQ_IJSG_SG_EEES6_PlJS6_EEE10hipError_tPvRmT3_T4_T5_T6_T7_T9_mT8_P12ihipStream_tbDpT10_ENKUlT_T0_E_clISt17integral_constantIbLb0EES1F_EEDaS1A_S1B_EUlS1A_E_NS1_11comp_targetILNS1_3genE2ELNS1_11target_archE906ELNS1_3gpuE6ELNS1_3repE0EEENS1_30default_config_static_selectorELNS0_4arch9wavefront6targetE0EEEvT1_.uses_vcc, 0
	.set _ZN7rocprim17ROCPRIM_400000_NS6detail17trampoline_kernelINS0_14default_configENS1_25partition_config_selectorILNS1_17partition_subalgoE5ExNS0_10empty_typeEbEEZZNS1_14partition_implILS5_5ELb0ES3_mN6thrust23THRUST_200600_302600_NS6detail15normal_iteratorINSA_10device_ptrIxEEEEPS6_NSA_18transform_iteratorINSB_9not_fun_tI7is_trueIxEEENSC_INSD_IbEEEENSA_11use_defaultESO_EENS0_5tupleIJNSA_16discard_iteratorISO_EES6_EEENSQ_IJSG_SG_EEES6_PlJS6_EEE10hipError_tPvRmT3_T4_T5_T6_T7_T9_mT8_P12ihipStream_tbDpT10_ENKUlT_T0_E_clISt17integral_constantIbLb0EES1F_EEDaS1A_S1B_EUlS1A_E_NS1_11comp_targetILNS1_3genE2ELNS1_11target_archE906ELNS1_3gpuE6ELNS1_3repE0EEENS1_30default_config_static_selectorELNS0_4arch9wavefront6targetE0EEEvT1_.uses_flat_scratch, 0
	.set _ZN7rocprim17ROCPRIM_400000_NS6detail17trampoline_kernelINS0_14default_configENS1_25partition_config_selectorILNS1_17partition_subalgoE5ExNS0_10empty_typeEbEEZZNS1_14partition_implILS5_5ELb0ES3_mN6thrust23THRUST_200600_302600_NS6detail15normal_iteratorINSA_10device_ptrIxEEEEPS6_NSA_18transform_iteratorINSB_9not_fun_tI7is_trueIxEEENSC_INSD_IbEEEENSA_11use_defaultESO_EENS0_5tupleIJNSA_16discard_iteratorISO_EES6_EEENSQ_IJSG_SG_EEES6_PlJS6_EEE10hipError_tPvRmT3_T4_T5_T6_T7_T9_mT8_P12ihipStream_tbDpT10_ENKUlT_T0_E_clISt17integral_constantIbLb0EES1F_EEDaS1A_S1B_EUlS1A_E_NS1_11comp_targetILNS1_3genE2ELNS1_11target_archE906ELNS1_3gpuE6ELNS1_3repE0EEENS1_30default_config_static_selectorELNS0_4arch9wavefront6targetE0EEEvT1_.has_dyn_sized_stack, 0
	.set _ZN7rocprim17ROCPRIM_400000_NS6detail17trampoline_kernelINS0_14default_configENS1_25partition_config_selectorILNS1_17partition_subalgoE5ExNS0_10empty_typeEbEEZZNS1_14partition_implILS5_5ELb0ES3_mN6thrust23THRUST_200600_302600_NS6detail15normal_iteratorINSA_10device_ptrIxEEEEPS6_NSA_18transform_iteratorINSB_9not_fun_tI7is_trueIxEEENSC_INSD_IbEEEENSA_11use_defaultESO_EENS0_5tupleIJNSA_16discard_iteratorISO_EES6_EEENSQ_IJSG_SG_EEES6_PlJS6_EEE10hipError_tPvRmT3_T4_T5_T6_T7_T9_mT8_P12ihipStream_tbDpT10_ENKUlT_T0_E_clISt17integral_constantIbLb0EES1F_EEDaS1A_S1B_EUlS1A_E_NS1_11comp_targetILNS1_3genE2ELNS1_11target_archE906ELNS1_3gpuE6ELNS1_3repE0EEENS1_30default_config_static_selectorELNS0_4arch9wavefront6targetE0EEEvT1_.has_recursion, 0
	.set _ZN7rocprim17ROCPRIM_400000_NS6detail17trampoline_kernelINS0_14default_configENS1_25partition_config_selectorILNS1_17partition_subalgoE5ExNS0_10empty_typeEbEEZZNS1_14partition_implILS5_5ELb0ES3_mN6thrust23THRUST_200600_302600_NS6detail15normal_iteratorINSA_10device_ptrIxEEEEPS6_NSA_18transform_iteratorINSB_9not_fun_tI7is_trueIxEEENSC_INSD_IbEEEENSA_11use_defaultESO_EENS0_5tupleIJNSA_16discard_iteratorISO_EES6_EEENSQ_IJSG_SG_EEES6_PlJS6_EEE10hipError_tPvRmT3_T4_T5_T6_T7_T9_mT8_P12ihipStream_tbDpT10_ENKUlT_T0_E_clISt17integral_constantIbLb0EES1F_EEDaS1A_S1B_EUlS1A_E_NS1_11comp_targetILNS1_3genE2ELNS1_11target_archE906ELNS1_3gpuE6ELNS1_3repE0EEENS1_30default_config_static_selectorELNS0_4arch9wavefront6targetE0EEEvT1_.has_indirect_call, 0
	.section	.AMDGPU.csdata,"",@progbits
; Kernel info:
; codeLenInByte = 0
; TotalNumSgprs: 0
; NumVgprs: 0
; ScratchSize: 0
; MemoryBound: 0
; FloatMode: 240
; IeeeMode: 1
; LDSByteSize: 0 bytes/workgroup (compile time only)
; SGPRBlocks: 0
; VGPRBlocks: 0
; NumSGPRsForWavesPerEU: 1
; NumVGPRsForWavesPerEU: 1
; Occupancy: 16
; WaveLimiterHint : 0
; COMPUTE_PGM_RSRC2:SCRATCH_EN: 0
; COMPUTE_PGM_RSRC2:USER_SGPR: 2
; COMPUTE_PGM_RSRC2:TRAP_HANDLER: 0
; COMPUTE_PGM_RSRC2:TGID_X_EN: 1
; COMPUTE_PGM_RSRC2:TGID_Y_EN: 0
; COMPUTE_PGM_RSRC2:TGID_Z_EN: 0
; COMPUTE_PGM_RSRC2:TIDIG_COMP_CNT: 0
	.section	.text._ZN7rocprim17ROCPRIM_400000_NS6detail17trampoline_kernelINS0_14default_configENS1_25partition_config_selectorILNS1_17partition_subalgoE5ExNS0_10empty_typeEbEEZZNS1_14partition_implILS5_5ELb0ES3_mN6thrust23THRUST_200600_302600_NS6detail15normal_iteratorINSA_10device_ptrIxEEEEPS6_NSA_18transform_iteratorINSB_9not_fun_tI7is_trueIxEEENSC_INSD_IbEEEENSA_11use_defaultESO_EENS0_5tupleIJNSA_16discard_iteratorISO_EES6_EEENSQ_IJSG_SG_EEES6_PlJS6_EEE10hipError_tPvRmT3_T4_T5_T6_T7_T9_mT8_P12ihipStream_tbDpT10_ENKUlT_T0_E_clISt17integral_constantIbLb0EES1F_EEDaS1A_S1B_EUlS1A_E_NS1_11comp_targetILNS1_3genE10ELNS1_11target_archE1200ELNS1_3gpuE4ELNS1_3repE0EEENS1_30default_config_static_selectorELNS0_4arch9wavefront6targetE0EEEvT1_,"axG",@progbits,_ZN7rocprim17ROCPRIM_400000_NS6detail17trampoline_kernelINS0_14default_configENS1_25partition_config_selectorILNS1_17partition_subalgoE5ExNS0_10empty_typeEbEEZZNS1_14partition_implILS5_5ELb0ES3_mN6thrust23THRUST_200600_302600_NS6detail15normal_iteratorINSA_10device_ptrIxEEEEPS6_NSA_18transform_iteratorINSB_9not_fun_tI7is_trueIxEEENSC_INSD_IbEEEENSA_11use_defaultESO_EENS0_5tupleIJNSA_16discard_iteratorISO_EES6_EEENSQ_IJSG_SG_EEES6_PlJS6_EEE10hipError_tPvRmT3_T4_T5_T6_T7_T9_mT8_P12ihipStream_tbDpT10_ENKUlT_T0_E_clISt17integral_constantIbLb0EES1F_EEDaS1A_S1B_EUlS1A_E_NS1_11comp_targetILNS1_3genE10ELNS1_11target_archE1200ELNS1_3gpuE4ELNS1_3repE0EEENS1_30default_config_static_selectorELNS0_4arch9wavefront6targetE0EEEvT1_,comdat
	.protected	_ZN7rocprim17ROCPRIM_400000_NS6detail17trampoline_kernelINS0_14default_configENS1_25partition_config_selectorILNS1_17partition_subalgoE5ExNS0_10empty_typeEbEEZZNS1_14partition_implILS5_5ELb0ES3_mN6thrust23THRUST_200600_302600_NS6detail15normal_iteratorINSA_10device_ptrIxEEEEPS6_NSA_18transform_iteratorINSB_9not_fun_tI7is_trueIxEEENSC_INSD_IbEEEENSA_11use_defaultESO_EENS0_5tupleIJNSA_16discard_iteratorISO_EES6_EEENSQ_IJSG_SG_EEES6_PlJS6_EEE10hipError_tPvRmT3_T4_T5_T6_T7_T9_mT8_P12ihipStream_tbDpT10_ENKUlT_T0_E_clISt17integral_constantIbLb0EES1F_EEDaS1A_S1B_EUlS1A_E_NS1_11comp_targetILNS1_3genE10ELNS1_11target_archE1200ELNS1_3gpuE4ELNS1_3repE0EEENS1_30default_config_static_selectorELNS0_4arch9wavefront6targetE0EEEvT1_ ; -- Begin function _ZN7rocprim17ROCPRIM_400000_NS6detail17trampoline_kernelINS0_14default_configENS1_25partition_config_selectorILNS1_17partition_subalgoE5ExNS0_10empty_typeEbEEZZNS1_14partition_implILS5_5ELb0ES3_mN6thrust23THRUST_200600_302600_NS6detail15normal_iteratorINSA_10device_ptrIxEEEEPS6_NSA_18transform_iteratorINSB_9not_fun_tI7is_trueIxEEENSC_INSD_IbEEEENSA_11use_defaultESO_EENS0_5tupleIJNSA_16discard_iteratorISO_EES6_EEENSQ_IJSG_SG_EEES6_PlJS6_EEE10hipError_tPvRmT3_T4_T5_T6_T7_T9_mT8_P12ihipStream_tbDpT10_ENKUlT_T0_E_clISt17integral_constantIbLb0EES1F_EEDaS1A_S1B_EUlS1A_E_NS1_11comp_targetILNS1_3genE10ELNS1_11target_archE1200ELNS1_3gpuE4ELNS1_3repE0EEENS1_30default_config_static_selectorELNS0_4arch9wavefront6targetE0EEEvT1_
	.globl	_ZN7rocprim17ROCPRIM_400000_NS6detail17trampoline_kernelINS0_14default_configENS1_25partition_config_selectorILNS1_17partition_subalgoE5ExNS0_10empty_typeEbEEZZNS1_14partition_implILS5_5ELb0ES3_mN6thrust23THRUST_200600_302600_NS6detail15normal_iteratorINSA_10device_ptrIxEEEEPS6_NSA_18transform_iteratorINSB_9not_fun_tI7is_trueIxEEENSC_INSD_IbEEEENSA_11use_defaultESO_EENS0_5tupleIJNSA_16discard_iteratorISO_EES6_EEENSQ_IJSG_SG_EEES6_PlJS6_EEE10hipError_tPvRmT3_T4_T5_T6_T7_T9_mT8_P12ihipStream_tbDpT10_ENKUlT_T0_E_clISt17integral_constantIbLb0EES1F_EEDaS1A_S1B_EUlS1A_E_NS1_11comp_targetILNS1_3genE10ELNS1_11target_archE1200ELNS1_3gpuE4ELNS1_3repE0EEENS1_30default_config_static_selectorELNS0_4arch9wavefront6targetE0EEEvT1_
	.p2align	8
	.type	_ZN7rocprim17ROCPRIM_400000_NS6detail17trampoline_kernelINS0_14default_configENS1_25partition_config_selectorILNS1_17partition_subalgoE5ExNS0_10empty_typeEbEEZZNS1_14partition_implILS5_5ELb0ES3_mN6thrust23THRUST_200600_302600_NS6detail15normal_iteratorINSA_10device_ptrIxEEEEPS6_NSA_18transform_iteratorINSB_9not_fun_tI7is_trueIxEEENSC_INSD_IbEEEENSA_11use_defaultESO_EENS0_5tupleIJNSA_16discard_iteratorISO_EES6_EEENSQ_IJSG_SG_EEES6_PlJS6_EEE10hipError_tPvRmT3_T4_T5_T6_T7_T9_mT8_P12ihipStream_tbDpT10_ENKUlT_T0_E_clISt17integral_constantIbLb0EES1F_EEDaS1A_S1B_EUlS1A_E_NS1_11comp_targetILNS1_3genE10ELNS1_11target_archE1200ELNS1_3gpuE4ELNS1_3repE0EEENS1_30default_config_static_selectorELNS0_4arch9wavefront6targetE0EEEvT1_,@function
_ZN7rocprim17ROCPRIM_400000_NS6detail17trampoline_kernelINS0_14default_configENS1_25partition_config_selectorILNS1_17partition_subalgoE5ExNS0_10empty_typeEbEEZZNS1_14partition_implILS5_5ELb0ES3_mN6thrust23THRUST_200600_302600_NS6detail15normal_iteratorINSA_10device_ptrIxEEEEPS6_NSA_18transform_iteratorINSB_9not_fun_tI7is_trueIxEEENSC_INSD_IbEEEENSA_11use_defaultESO_EENS0_5tupleIJNSA_16discard_iteratorISO_EES6_EEENSQ_IJSG_SG_EEES6_PlJS6_EEE10hipError_tPvRmT3_T4_T5_T6_T7_T9_mT8_P12ihipStream_tbDpT10_ENKUlT_T0_E_clISt17integral_constantIbLb0EES1F_EEDaS1A_S1B_EUlS1A_E_NS1_11comp_targetILNS1_3genE10ELNS1_11target_archE1200ELNS1_3gpuE4ELNS1_3repE0EEENS1_30default_config_static_selectorELNS0_4arch9wavefront6targetE0EEEvT1_: ; @_ZN7rocprim17ROCPRIM_400000_NS6detail17trampoline_kernelINS0_14default_configENS1_25partition_config_selectorILNS1_17partition_subalgoE5ExNS0_10empty_typeEbEEZZNS1_14partition_implILS5_5ELb0ES3_mN6thrust23THRUST_200600_302600_NS6detail15normal_iteratorINSA_10device_ptrIxEEEEPS6_NSA_18transform_iteratorINSB_9not_fun_tI7is_trueIxEEENSC_INSD_IbEEEENSA_11use_defaultESO_EENS0_5tupleIJNSA_16discard_iteratorISO_EES6_EEENSQ_IJSG_SG_EEES6_PlJS6_EEE10hipError_tPvRmT3_T4_T5_T6_T7_T9_mT8_P12ihipStream_tbDpT10_ENKUlT_T0_E_clISt17integral_constantIbLb0EES1F_EEDaS1A_S1B_EUlS1A_E_NS1_11comp_targetILNS1_3genE10ELNS1_11target_archE1200ELNS1_3gpuE4ELNS1_3repE0EEENS1_30default_config_static_selectorELNS0_4arch9wavefront6targetE0EEEvT1_
; %bb.0:
	s_clause 0x3
	s_load_b128 s[8:11], s[0:1], 0x8
	s_load_b32 s2, s[0:1], 0x78
	s_load_b128 s[4:7], s[0:1], 0x50
	s_load_b64 s[14:15], s[0:1], 0x60
	s_mov_b32 s13, 0
	s_lshl_b32 s22, ttmp9, 10
	v_lshrrev_b32_e32 v12, 2, v0
	v_or_b32_e32 v10, 0x100, v0
	v_or_b32_e32 v9, 0x200, v0
	;; [unrolled: 1-line block ×3, first 2 shown]
	s_mov_b32 s3, -1
	s_wait_kmcnt 0x0
	s_lshl_b64 s[18:19], s[10:11], 3
	s_add_co_i32 s23, s2, -1
	s_load_b64 s[6:7], s[6:7], 0x0
	s_lshl_b32 s16, s23, 10
	s_lshl_b32 s12, s2, 10
	s_add_co_i32 s2, s10, s16
	s_add_nc_u64 s[20:21], s[10:11], s[12:13]
	s_sub_co_i32 s17, s14, s2
	s_cmp_eq_u32 ttmp9, s23
	v_cmp_gt_u64_e64 s2, s[14:15], s[20:21]
	s_cselect_b32 s16, -1, 0
	s_cmp_lg_u32 ttmp9, s23
	s_mov_b32 s12, s22
	s_cselect_b32 s14, -1, 0
	s_add_nc_u64 s[8:9], s[8:9], s[18:19]
	s_wait_alu 0xfffe
	s_or_b32 s18, s14, s2
	s_lshl_b64 s[14:15], s[12:13], 3
	s_and_b32 vcc_lo, exec_lo, s18
	s_wait_alu 0xfffe
	s_add_nc_u64 s[14:15], s[8:9], s[14:15]
	s_cbranch_vccz .LBB2754_2
; %bb.1:
	v_lshlrev_b32_e32 v13, 3, v0
	v_lshrrev_b32_e32 v14, 2, v10
	v_lshrrev_b32_e32 v15, 2, v9
	;; [unrolled: 1-line block ×3, first 2 shown]
	v_and_b32_e32 v17, 56, v12
	s_wait_alu 0xfffe
	v_add_co_u32 v1, s2, s14, v13
	s_delay_alu instid0(VALU_DEP_1)
	v_add_co_ci_u32_e64 v2, null, s15, 0, s2
	v_and_b32_e32 v14, 0x78, v14
	v_and_b32_e32 v15, 0xb8, v15
	;; [unrolled: 1-line block ×3, first 2 shown]
	s_clause 0x3
	flat_load_b64 v[3:4], v[1:2]
	flat_load_b64 v[5:6], v[1:2] offset:2048
	flat_load_b64 v[7:8], v[1:2] offset:4096
	;; [unrolled: 1-line block ×3, first 2 shown]
	v_add_nc_u32_e32 v17, v17, v13
	v_add_nc_u32_e32 v14, v14, v13
	;; [unrolled: 1-line block ×4, first 2 shown]
	s_mov_b32 s3, s13
	s_wait_loadcnt_dscnt 0x303
	ds_store_b64 v17, v[3:4]
	s_wait_loadcnt_dscnt 0x203
	ds_store_b64 v14, v[5:6] offset:2048
	s_wait_loadcnt_dscnt 0x103
	ds_store_b64 v15, v[7:8] offset:4096
	;; [unrolled: 2-line block ×3, first 2 shown]
	s_wait_dscnt 0x0
	s_barrier_signal -1
	s_barrier_wait -1
.LBB2754_2:
	s_load_b64 s[8:9], s[0:1], 0x20
	v_cmp_gt_u32_e64 s2, s17, v0
	s_and_not1_b32 vcc_lo, exec_lo, s3
	s_cbranch_vccnz .LBB2754_9
; %bb.3:
	v_mov_b32_e32 v1, 0
	s_delay_alu instid0(VALU_DEP_1)
	v_dual_mov_b32 v2, v1 :: v_dual_mov_b32 v3, v1
	v_dual_mov_b32 v4, v1 :: v_dual_mov_b32 v5, v1
	;; [unrolled: 1-line block ×3, first 2 shown]
	v_mov_b32_e32 v8, v1
	s_and_saveexec_b32 s3, s2
	s_cbranch_execnz .LBB2754_119
; %bb.4:
	s_wait_alu 0xfffe
	s_or_b32 exec_lo, exec_lo, s3
	s_delay_alu instid0(SALU_CYCLE_1)
	s_mov_b32 s2, exec_lo
	v_cmpx_gt_u32_e64 s17, v10
	s_cbranch_execnz .LBB2754_120
.LBB2754_5:
	s_wait_alu 0xfffe
	s_or_b32 exec_lo, exec_lo, s2
	s_delay_alu instid0(SALU_CYCLE_1)
	s_mov_b32 s2, exec_lo
	v_cmpx_gt_u32_e64 s17, v9
	s_cbranch_execnz .LBB2754_121
.LBB2754_6:
	s_wait_alu 0xfffe
	s_or_b32 exec_lo, exec_lo, s2
	s_delay_alu instid0(SALU_CYCLE_1)
	s_mov_b32 s2, exec_lo
	v_cmpx_gt_u32_e64 s17, v11
	s_cbranch_execz .LBB2754_8
.LBB2754_7:
	v_lshlrev_b32_e32 v7, 3, v0
	s_delay_alu instid0(VALU_DEP_1)
	v_add_co_u32 v7, s3, s14, v7
	s_wait_alu 0xf1ff
	v_add_co_ci_u32_e64 v8, null, s15, 0, s3
	flat_load_b64 v[7:8], v[7:8] offset:6144
.LBB2754_8:
	s_wait_alu 0xfffe
	s_or_b32 exec_lo, exec_lo, s2
	v_lshrrev_b32_e32 v13, 2, v10
	v_lshrrev_b32_e32 v14, 2, v9
	;; [unrolled: 1-line block ×3, first 2 shown]
	v_and_b32_e32 v12, 56, v12
	v_lshlrev_b32_e32 v16, 3, v0
	v_and_b32_e32 v13, 0x78, v13
	v_and_b32_e32 v14, 0xf8, v14
	;; [unrolled: 1-line block ×3, first 2 shown]
	s_delay_alu instid0(VALU_DEP_4) | instskip(NEXT) | instid1(VALU_DEP_4)
	v_add_nc_u32_e32 v12, v12, v16
	v_add_nc_u32_e32 v13, v13, v16
	s_delay_alu instid0(VALU_DEP_4) | instskip(NEXT) | instid1(VALU_DEP_4)
	v_add_nc_u32_e32 v14, v14, v16
	v_add_nc_u32_e32 v15, v15, v16
	ds_store_b64 v12, v[1:2]
	s_wait_loadcnt_dscnt 0x1
	ds_store_b64 v13, v[3:4] offset:2048
	ds_store_b64 v14, v[5:6] offset:4096
	;; [unrolled: 1-line block ×3, first 2 shown]
	s_wait_dscnt 0x0
	s_barrier_signal -1
	s_barrier_wait -1
.LBB2754_9:
	v_and_b32_e32 v1, 0xf8, v0
	global_inv scope:SCOPE_SE
	v_lshrrev_b32_e32 v25, 5, v0
	s_wait_kmcnt 0x0
	s_add_nc_u64 s[2:3], s[8:9], s[10:11]
	s_and_b32 vcc_lo, exec_lo, s18
	v_lshl_add_u32 v1, v0, 5, v1
	s_wait_alu 0xfffe
	s_add_nc_u64 s[2:3], s[2:3], s[12:13]
	s_mov_b32 s8, -1
	ds_load_2addr_b64 v[5:8], v1 offset1:1
	ds_load_2addr_b64 v[1:4], v1 offset0:2 offset1:3
	s_wait_loadcnt_dscnt 0x0
	s_barrier_signal -1
	s_barrier_wait -1
	global_inv scope:SCOPE_SE
	s_cbranch_vccz .LBB2754_11
; %bb.10:
	s_clause 0x3
	global_load_u8 v12, v0, s[2:3]
	global_load_u8 v13, v0, s[2:3] offset:256
	global_load_u8 v14, v0, s[2:3] offset:512
	;; [unrolled: 1-line block ×3, first 2 shown]
	v_lshrrev_b32_e32 v16, 5, v10
	v_lshrrev_b32_e32 v17, 5, v9
	;; [unrolled: 1-line block ×3, first 2 shown]
	v_and_b32_e32 v19, 4, v25
	s_mov_b32 s8, 0
	v_and_b32_e32 v16, 12, v16
	v_and_b32_e32 v17, 20, v17
	;; [unrolled: 1-line block ×3, first 2 shown]
	v_add_nc_u32_e32 v19, v19, v0
	s_delay_alu instid0(VALU_DEP_4) | instskip(NEXT) | instid1(VALU_DEP_4)
	v_add_nc_u32_e32 v16, v16, v0
	v_add_nc_u32_e32 v17, v17, v0
	s_delay_alu instid0(VALU_DEP_4)
	v_add_nc_u32_e32 v18, v18, v0
	s_wait_loadcnt 0x3
	v_xor_b32_e32 v12, 1, v12
	s_wait_loadcnt 0x2
	v_xor_b32_e32 v13, 1, v13
	;; [unrolled: 2-line block ×4, first 2 shown]
	ds_store_b8 v19, v12
	ds_store_b8 v16, v13 offset:256
	ds_store_b8 v17, v14 offset:512
	;; [unrolled: 1-line block ×3, first 2 shown]
	s_wait_dscnt 0x0
	s_barrier_signal -1
	s_barrier_wait -1
.LBB2754_11:
	v_lshlrev_b32_e32 v12, 2, v0
	v_lshrrev_b32_e32 v13, 3, v0
	s_and_not1_b32 vcc_lo, exec_lo, s8
	s_cbranch_vccnz .LBB2754_18
; %bb.12:
	v_dual_mov_b32 v14, 0 :: v_dual_mov_b32 v15, 0
	s_mov_b32 s8, exec_lo
	v_cmpx_gt_u32_e64 s17, v0
	s_cbranch_execnz .LBB2754_122
; %bb.13:
	s_or_b32 exec_lo, exec_lo, s8
	s_delay_alu instid0(SALU_CYCLE_1)
	s_mov_b32 s8, exec_lo
	v_cmpx_gt_u32_e64 s17, v10
	s_cbranch_execnz .LBB2754_123
.LBB2754_14:
	s_or_b32 exec_lo, exec_lo, s8
	s_delay_alu instid0(SALU_CYCLE_1)
	s_mov_b32 s8, exec_lo
	v_cmpx_gt_u32_e64 s17, v9
	s_cbranch_execnz .LBB2754_124
.LBB2754_15:
	s_or_b32 exec_lo, exec_lo, s8
	s_delay_alu instid0(SALU_CYCLE_1)
	s_mov_b32 s8, exec_lo
	v_cmpx_gt_u32_e64 s17, v11
	s_cbranch_execz .LBB2754_17
.LBB2754_16:
	global_load_u8 v16, v0, s[2:3] offset:768
	v_lshrrev_b32_e32 v17, 16, v15
	s_wait_loadcnt 0x0
	v_xor_b32_e32 v16, 1, v16
	s_delay_alu instid0(VALU_DEP_1) | instskip(NEXT) | instid1(VALU_DEP_1)
	v_lshlrev_b16 v16, 8, v16
	v_or_b32_e32 v16, v17, v16
	s_delay_alu instid0(VALU_DEP_1) | instskip(NEXT) | instid1(VALU_DEP_1)
	v_lshlrev_b32_e32 v16, 16, v16
	v_and_or_b32 v15, 0xffff, v15, v16
.LBB2754_17:
	s_or_b32 exec_lo, exec_lo, s8
	v_lshrrev_b32_e32 v10, 5, v10
	v_lshrrev_b32_e32 v9, 5, v9
	;; [unrolled: 1-line block ×3, first 2 shown]
	v_and_b32_e32 v16, 4, v25
	v_lshrrev_b32_e32 v17, 8, v15
	v_and_b32_e32 v10, 12, v10
	v_and_b32_e32 v9, 28, v9
	;; [unrolled: 1-line block ×3, first 2 shown]
	v_add_nc_u32_e32 v16, v16, v0
	v_lshrrev_b32_e32 v18, 24, v15
	v_add_nc_u32_e32 v10, v10, v0
	v_add_nc_u32_e32 v9, v9, v0
	;; [unrolled: 1-line block ×3, first 2 shown]
	ds_store_b8 v16, v14
	ds_store_b8 v10, v17 offset:256
	ds_store_b8_d16_hi v9, v15 offset:512
	ds_store_b8 v11, v18 offset:768
	s_wait_loadcnt_dscnt 0x0
	s_barrier_signal -1
	s_barrier_wait -1
.LBB2754_18:
	s_delay_alu instid0(VALU_DEP_1)
	v_and_b32_e32 v9, 28, v13
	s_wait_loadcnt 0x0
	global_inv scope:SCOPE_SE
	s_load_b64 s[8:9], s[0:1], 0x70
	v_mbcnt_lo_u32_b32 v31, -1, 0
	s_cmp_lg_u32 ttmp9, 0
	v_add_nc_u32_e32 v9, v9, v12
	s_mov_b32 s1, -1
	s_delay_alu instid0(VALU_DEP_2)
	v_dual_mov_b32 v11, 0 :: v_dual_and_b32 v32, 15, v31
	ds_load_b32 v27, v9
	s_wait_loadcnt_dscnt 0x0
	s_barrier_signal -1
	s_barrier_wait -1
	global_inv scope:SCOPE_SE
	v_and_b32_e32 v30, 0xff, v27
	v_bfe_u32 v29, v27, 8, 8
	v_bfe_u32 v28, v27, 16, 8
	v_lshrrev_b32_e32 v26, 24, v27
	s_delay_alu instid0(VALU_DEP_2) | instskip(NEXT) | instid1(VALU_DEP_1)
	v_add3_u32 v9, v29, v30, v28
	v_add_co_u32 v17, s0, v9, v26
	s_delay_alu instid0(VALU_DEP_1)
	v_add_co_ci_u32_e64 v18, null, 0, 0, s0
	v_cmp_ne_u32_e64 s0, 0, v32
	s_cbranch_scc0 .LBB2754_75
; %bb.19:
	v_dual_mov_b32 v12, v17 :: v_dual_mov_b32 v9, v17
	v_mov_b32_dpp v14, v17 row_shr:1 row_mask:0xf bank_mask:0xf
	v_mov_b32_dpp v13, v11 row_shr:1 row_mask:0xf bank_mask:0xf
	v_mov_b32_e32 v10, v18
	s_and_saveexec_b32 s1, s0
; %bb.20:
	s_delay_alu instid0(VALU_DEP_3) | instskip(NEXT) | instid1(VALU_DEP_1)
	v_add_co_u32 v12, vcc_lo, v17, v14
	v_add_co_ci_u32_e64 v9, null, 0, v18, vcc_lo
	s_delay_alu instid0(VALU_DEP_2) | instskip(SKIP_1) | instid1(VALU_DEP_2)
	v_add_co_u32 v10, vcc_lo, 0, v12
	s_wait_alu 0xfffd
	v_add_co_ci_u32_e64 v11, null, v13, v9, vcc_lo
	s_delay_alu instid0(VALU_DEP_2) | instskip(NEXT) | instid1(VALU_DEP_2)
	v_mov_b32_e32 v9, v10
	v_mov_b32_e32 v10, v11
; %bb.21:
	s_wait_alu 0xfffe
	s_or_b32 exec_lo, exec_lo, s1
	v_mov_b32_dpp v14, v12 row_shr:2 row_mask:0xf bank_mask:0xf
	v_mov_b32_dpp v13, v11 row_shr:2 row_mask:0xf bank_mask:0xf
	s_mov_b32 s1, exec_lo
	v_cmpx_lt_u32_e32 1, v32
; %bb.22:
	s_delay_alu instid0(VALU_DEP_3) | instskip(SKIP_2) | instid1(VALU_DEP_2)
	v_add_co_u32 v12, vcc_lo, v9, v14
	s_wait_alu 0xfffd
	v_add_co_ci_u32_e64 v9, null, 0, v10, vcc_lo
	v_add_co_u32 v10, vcc_lo, 0, v12
	s_wait_alu 0xfffd
	s_delay_alu instid0(VALU_DEP_2) | instskip(NEXT) | instid1(VALU_DEP_2)
	v_add_co_ci_u32_e64 v11, null, v13, v9, vcc_lo
	v_mov_b32_e32 v9, v10
	s_delay_alu instid0(VALU_DEP_2)
	v_mov_b32_e32 v10, v11
; %bb.23:
	s_wait_alu 0xfffe
	s_or_b32 exec_lo, exec_lo, s1
	v_mov_b32_dpp v14, v12 row_shr:4 row_mask:0xf bank_mask:0xf
	v_mov_b32_dpp v13, v11 row_shr:4 row_mask:0xf bank_mask:0xf
	s_mov_b32 s1, exec_lo
	v_cmpx_lt_u32_e32 3, v32
; %bb.24:
	s_delay_alu instid0(VALU_DEP_3) | instskip(SKIP_2) | instid1(VALU_DEP_2)
	v_add_co_u32 v12, vcc_lo, v9, v14
	s_wait_alu 0xfffd
	v_add_co_ci_u32_e64 v9, null, 0, v10, vcc_lo
	v_add_co_u32 v10, vcc_lo, 0, v12
	s_wait_alu 0xfffd
	s_delay_alu instid0(VALU_DEP_2) | instskip(NEXT) | instid1(VALU_DEP_2)
	v_add_co_ci_u32_e64 v11, null, v13, v9, vcc_lo
	v_mov_b32_e32 v9, v10
	s_delay_alu instid0(VALU_DEP_2)
	v_mov_b32_e32 v10, v11
; %bb.25:
	s_wait_alu 0xfffe
	s_or_b32 exec_lo, exec_lo, s1
	v_mov_b32_dpp v14, v12 row_shr:8 row_mask:0xf bank_mask:0xf
	v_mov_b32_dpp v13, v11 row_shr:8 row_mask:0xf bank_mask:0xf
	s_mov_b32 s1, exec_lo
	v_cmpx_lt_u32_e32 7, v32
; %bb.26:
	s_delay_alu instid0(VALU_DEP_3) | instskip(SKIP_2) | instid1(VALU_DEP_2)
	v_add_co_u32 v12, vcc_lo, v9, v14
	s_wait_alu 0xfffd
	v_add_co_ci_u32_e64 v10, null, 0, v10, vcc_lo
	v_add_co_u32 v9, vcc_lo, 0, v12
	s_wait_alu 0xfffd
	s_delay_alu instid0(VALU_DEP_2) | instskip(NEXT) | instid1(VALU_DEP_1)
	v_add_co_ci_u32_e64 v10, null, v13, v10, vcc_lo
	v_mov_b32_e32 v11, v10
; %bb.27:
	s_wait_alu 0xfffe
	s_or_b32 exec_lo, exec_lo, s1
	ds_swizzle_b32 v13, v12 offset:swizzle(BROADCAST,32,15)
	ds_swizzle_b32 v11, v11 offset:swizzle(BROADCAST,32,15)
	v_and_b32_e32 v14, 16, v31
	s_mov_b32 s1, exec_lo
	s_delay_alu instid0(VALU_DEP_1)
	v_cmpx_ne_u32_e32 0, v14
	s_cbranch_execz .LBB2754_29
; %bb.28:
	s_wait_dscnt 0x1
	v_add_co_u32 v12, vcc_lo, v9, v13
	s_wait_alu 0xfffd
	v_add_co_ci_u32_e64 v10, null, 0, v10, vcc_lo
	s_delay_alu instid0(VALU_DEP_2) | instskip(SKIP_2) | instid1(VALU_DEP_2)
	v_add_co_u32 v9, vcc_lo, 0, v12
	s_wait_dscnt 0x0
	s_wait_alu 0xfffd
	v_add_co_ci_u32_e64 v10, null, v11, v10, vcc_lo
.LBB2754_29:
	s_wait_alu 0xfffe
	s_or_b32 exec_lo, exec_lo, s1
	s_wait_dscnt 0x0
	v_or_b32_e32 v11, 31, v0
	s_mov_b32 s1, exec_lo
	s_delay_alu instid0(VALU_DEP_1)
	v_cmpx_eq_u32_e64 v0, v11
; %bb.30:
	v_lshlrev_b32_e32 v11, 3, v25
	ds_store_b64 v11, v[9:10]
; %bb.31:
	s_wait_alu 0xfffe
	s_or_b32 exec_lo, exec_lo, s1
	s_delay_alu instid0(SALU_CYCLE_1)
	s_mov_b32 s1, exec_lo
	s_wait_loadcnt_dscnt 0x0
	s_barrier_signal -1
	s_barrier_wait -1
	global_inv scope:SCOPE_SE
	v_cmpx_gt_u32_e32 8, v0
	s_cbranch_execz .LBB2754_39
; %bb.32:
	v_lshlrev_b32_e32 v11, 3, v0
	v_and_b32_e32 v13, 7, v31
	s_mov_b32 s2, exec_lo
	ds_load_b64 v[9:10], v11
	s_wait_dscnt 0x0
	v_mov_b32_dpp v16, v9 row_shr:1 row_mask:0xf bank_mask:0xf
	v_mov_b32_dpp v15, v10 row_shr:1 row_mask:0xf bank_mask:0xf
	v_mov_b32_e32 v14, v9
	v_cmpx_ne_u32_e32 0, v13
; %bb.33:
	s_delay_alu instid0(VALU_DEP_4) | instskip(SKIP_2) | instid1(VALU_DEP_2)
	v_add_co_u32 v14, vcc_lo, v9, v16
	s_wait_alu 0xfffd
	v_add_co_ci_u32_e64 v10, null, 0, v10, vcc_lo
	v_add_co_u32 v9, vcc_lo, 0, v14
	s_wait_alu 0xfffd
	s_delay_alu instid0(VALU_DEP_2)
	v_add_co_ci_u32_e64 v10, null, v15, v10, vcc_lo
; %bb.34:
	s_wait_alu 0xfffe
	s_or_b32 exec_lo, exec_lo, s2
	v_mov_b32_dpp v16, v14 row_shr:2 row_mask:0xf bank_mask:0xf
	s_delay_alu instid0(VALU_DEP_2)
	v_mov_b32_dpp v15, v10 row_shr:2 row_mask:0xf bank_mask:0xf
	s_mov_b32 s2, exec_lo
	v_cmpx_lt_u32_e32 1, v13
; %bb.35:
	s_delay_alu instid0(VALU_DEP_3) | instskip(SKIP_2) | instid1(VALU_DEP_2)
	v_add_co_u32 v14, vcc_lo, v9, v16
	s_wait_alu 0xfffd
	v_add_co_ci_u32_e64 v10, null, 0, v10, vcc_lo
	v_add_co_u32 v9, vcc_lo, 0, v14
	s_wait_alu 0xfffd
	s_delay_alu instid0(VALU_DEP_2)
	v_add_co_ci_u32_e64 v10, null, v15, v10, vcc_lo
; %bb.36:
	s_wait_alu 0xfffe
	s_or_b32 exec_lo, exec_lo, s2
	v_mov_b32_dpp v15, v14 row_shr:4 row_mask:0xf bank_mask:0xf
	s_delay_alu instid0(VALU_DEP_2)
	v_mov_b32_dpp v14, v10 row_shr:4 row_mask:0xf bank_mask:0xf
	s_mov_b32 s2, exec_lo
	v_cmpx_lt_u32_e32 3, v13
; %bb.37:
	s_delay_alu instid0(VALU_DEP_3) | instskip(SKIP_2) | instid1(VALU_DEP_2)
	v_add_co_u32 v9, vcc_lo, v9, v15
	s_wait_alu 0xfffd
	v_add_co_ci_u32_e64 v10, null, 0, v10, vcc_lo
	v_add_co_u32 v9, vcc_lo, v9, 0
	s_wait_alu 0xfffd
	s_delay_alu instid0(VALU_DEP_2)
	v_add_co_ci_u32_e64 v10, null, v10, v14, vcc_lo
; %bb.38:
	s_wait_alu 0xfffe
	s_or_b32 exec_lo, exec_lo, s2
	ds_store_b64 v11, v[9:10]
.LBB2754_39:
	s_wait_alu 0xfffe
	s_or_b32 exec_lo, exec_lo, s1
	s_delay_alu instid0(SALU_CYCLE_1)
	s_mov_b32 s2, exec_lo
	v_cmp_gt_u32_e32 vcc_lo, 32, v0
	s_wait_loadcnt_dscnt 0x0
	s_barrier_signal -1
	s_barrier_wait -1
	global_inv scope:SCOPE_SE
                                        ; implicit-def: $vgpr19_vgpr20
	v_cmpx_lt_u32_e32 31, v0
	s_cbranch_execz .LBB2754_41
; %bb.40:
	v_lshl_add_u32 v9, v25, 3, -8
	ds_load_b64 v[19:20], v9
	s_wait_dscnt 0x0
	v_add_nc_u32_e32 v12, v12, v19
.LBB2754_41:
	s_wait_alu 0xfffe
	s_or_b32 exec_lo, exec_lo, s2
	v_sub_co_u32 v9, s1, v31, 1
	s_delay_alu instid0(VALU_DEP_1) | instskip(SKIP_1) | instid1(VALU_DEP_1)
	v_cmp_gt_i32_e64 s2, 0, v9
	s_wait_alu 0xf1ff
	v_cndmask_b32_e64 v9, v9, v31, s2
	s_delay_alu instid0(VALU_DEP_1)
	v_lshlrev_b32_e32 v9, 2, v9
	ds_bpermute_b32 v33, v9, v12
	s_and_saveexec_b32 s2, vcc_lo
	s_cbranch_execz .LBB2754_80
; %bb.42:
	v_mov_b32_e32 v12, 0
	ds_load_b64 v[9:10], v12 offset:56
	s_and_saveexec_b32 s3, s1
	s_cbranch_execz .LBB2754_44
; %bb.43:
	s_add_co_i32 s10, ttmp9, 32
	s_mov_b32 s11, 0
	s_delay_alu instid0(SALU_CYCLE_1) | instskip(SKIP_2) | instid1(SALU_CYCLE_1)
	s_lshl_b64 s[10:11], s[10:11], 4
	s_wait_kmcnt 0x0
	s_add_nc_u64 s[10:11], s[8:9], s[10:11]
	v_dual_mov_b32 v11, 1 :: v_dual_mov_b32 v14, s11
	v_mov_b32_e32 v13, s10
	s_wait_dscnt 0x0
	;;#ASMSTART
	global_store_b128 v[13:14], v[9:12] off scope:SCOPE_DEV	
s_wait_storecnt 0x0
	;;#ASMEND
.LBB2754_44:
	s_wait_alu 0xfffe
	s_or_b32 exec_lo, exec_lo, s3
	v_xad_u32 v21, v31, -1, ttmp9
	s_mov_b32 s10, 0
	s_mov_b32 s3, exec_lo
	s_delay_alu instid0(VALU_DEP_1) | instskip(NEXT) | instid1(VALU_DEP_1)
	v_add_nc_u32_e32 v11, 32, v21
	v_lshlrev_b64_e32 v[11:12], 4, v[11:12]
	s_wait_kmcnt 0x0
	s_delay_alu instid0(VALU_DEP_1) | instskip(SKIP_1) | instid1(VALU_DEP_2)
	v_add_co_u32 v11, vcc_lo, s8, v11
	s_wait_alu 0xfffd
	v_add_co_ci_u32_e64 v12, null, s9, v12, vcc_lo
	;;#ASMSTART
	global_load_b128 v[13:16], v[11:12] off scope:SCOPE_DEV	
s_wait_loadcnt 0x0
	;;#ASMEND
	v_and_b32_e32 v16, 0xff, v15
	s_delay_alu instid0(VALU_DEP_1)
	v_cmpx_eq_u16_e32 0, v16
	s_cbranch_execz .LBB2754_47
.LBB2754_45:                            ; =>This Inner Loop Header: Depth=1
	;;#ASMSTART
	global_load_b128 v[13:16], v[11:12] off scope:SCOPE_DEV	
s_wait_loadcnt 0x0
	;;#ASMEND
	v_and_b32_e32 v16, 0xff, v15
	s_delay_alu instid0(VALU_DEP_1)
	v_cmp_ne_u16_e32 vcc_lo, 0, v16
	s_wait_alu 0xfffe
	s_or_b32 s10, vcc_lo, s10
	s_wait_alu 0xfffe
	s_and_not1_b32 exec_lo, exec_lo, s10
	s_cbranch_execnz .LBB2754_45
; %bb.46:
	s_or_b32 exec_lo, exec_lo, s10
.LBB2754_47:
	s_wait_alu 0xfffe
	s_or_b32 exec_lo, exec_lo, s3
	v_cmp_ne_u32_e32 vcc_lo, 31, v31
	v_and_b32_e32 v12, 0xff, v15
	v_lshlrev_b32_e64 v35, v31, -1
	s_mov_b32 s3, exec_lo
	s_wait_alu 0xfffd
	v_add_co_ci_u32_e64 v11, null, 0, v31, vcc_lo
	v_cmp_eq_u16_e32 vcc_lo, 2, v12
	v_mov_b32_e32 v12, v13
	s_delay_alu instid0(VALU_DEP_3)
	v_lshlrev_b32_e32 v34, 2, v11
	s_wait_alu 0xfffd
	v_and_or_b32 v11, vcc_lo, v35, 0x80000000
	ds_bpermute_b32 v22, v34, v13
	ds_bpermute_b32 v16, v34, v14
	v_ctz_i32_b32_e32 v11, v11
	s_delay_alu instid0(VALU_DEP_1)
	v_cmpx_lt_u32_e64 v31, v11
	s_cbranch_execz .LBB2754_49
; %bb.48:
	s_wait_dscnt 0x1
	v_add_co_u32 v12, vcc_lo, v13, v22
	s_wait_alu 0xfffd
	v_add_co_ci_u32_e64 v14, null, 0, v14, vcc_lo
	s_delay_alu instid0(VALU_DEP_2) | instskip(SKIP_2) | instid1(VALU_DEP_2)
	v_add_co_u32 v13, vcc_lo, 0, v12
	s_wait_dscnt 0x0
	s_wait_alu 0xfffd
	v_add_co_ci_u32_e64 v14, null, v16, v14, vcc_lo
.LBB2754_49:
	s_wait_alu 0xfffe
	s_or_b32 exec_lo, exec_lo, s3
	v_cmp_gt_u32_e32 vcc_lo, 30, v31
	v_add_nc_u32_e32 v37, 2, v31
	s_mov_b32 s3, exec_lo
	s_wait_dscnt 0x0
	s_wait_alu 0xfffd
	v_cndmask_b32_e64 v16, 0, 2, vcc_lo
	s_delay_alu instid0(VALU_DEP_1)
	v_add_lshl_u32 v36, v16, v31, 2
	ds_bpermute_b32 v22, v36, v12
	ds_bpermute_b32 v16, v36, v14
	v_cmpx_le_u32_e64 v37, v11
	s_cbranch_execz .LBB2754_51
; %bb.50:
	s_wait_dscnt 0x1
	v_add_co_u32 v12, vcc_lo, v13, v22
	s_wait_alu 0xfffd
	v_add_co_ci_u32_e64 v14, null, 0, v14, vcc_lo
	s_delay_alu instid0(VALU_DEP_2) | instskip(SKIP_2) | instid1(VALU_DEP_2)
	v_add_co_u32 v13, vcc_lo, 0, v12
	s_wait_dscnt 0x0
	s_wait_alu 0xfffd
	v_add_co_ci_u32_e64 v14, null, v16, v14, vcc_lo
.LBB2754_51:
	s_wait_alu 0xfffe
	s_or_b32 exec_lo, exec_lo, s3
	v_cmp_gt_u32_e32 vcc_lo, 28, v31
	v_add_nc_u32_e32 v39, 4, v31
	s_mov_b32 s3, exec_lo
	s_wait_dscnt 0x0
	s_wait_alu 0xfffd
	v_cndmask_b32_e64 v16, 0, 4, vcc_lo
	s_delay_alu instid0(VALU_DEP_1)
	v_add_lshl_u32 v38, v16, v31, 2
	ds_bpermute_b32 v22, v38, v12
	ds_bpermute_b32 v16, v38, v14
	v_cmpx_le_u32_e64 v39, v11
	;; [unrolled: 25-line block ×3, first 2 shown]
	s_cbranch_execz .LBB2754_55
; %bb.54:
	s_wait_dscnt 0x1
	v_add_co_u32 v12, vcc_lo, v13, v22
	s_wait_alu 0xfffd
	v_add_co_ci_u32_e64 v14, null, 0, v14, vcc_lo
	s_delay_alu instid0(VALU_DEP_2) | instskip(SKIP_2) | instid1(VALU_DEP_2)
	v_add_co_u32 v13, vcc_lo, 0, v12
	s_wait_dscnt 0x0
	s_wait_alu 0xfffd
	v_add_co_ci_u32_e64 v14, null, v16, v14, vcc_lo
.LBB2754_55:
	s_wait_alu 0xfffe
	s_or_b32 exec_lo, exec_lo, s3
	v_lshl_or_b32 v42, v31, 2, 64
	v_add_nc_u32_e32 v43, 16, v31
	s_mov_b32 s3, exec_lo
	s_wait_dscnt 0x0
	ds_bpermute_b32 v16, v42, v12
	ds_bpermute_b32 v12, v42, v14
	v_cmpx_le_u32_e64 v43, v11
	s_cbranch_execz .LBB2754_57
; %bb.56:
	s_wait_dscnt 0x1
	v_add_co_u32 v11, vcc_lo, v13, v16
	s_wait_alu 0xfffd
	v_add_co_ci_u32_e64 v14, null, 0, v14, vcc_lo
	s_delay_alu instid0(VALU_DEP_2) | instskip(SKIP_2) | instid1(VALU_DEP_2)
	v_add_co_u32 v13, vcc_lo, v11, 0
	s_wait_dscnt 0x0
	s_wait_alu 0xfffd
	v_add_co_ci_u32_e64 v14, null, v14, v12, vcc_lo
.LBB2754_57:
	s_wait_alu 0xfffe
	s_or_b32 exec_lo, exec_lo, s3
	v_mov_b32_e32 v22, 0
	s_branch .LBB2754_60
.LBB2754_58:                            ;   in Loop: Header=BB2754_60 Depth=1
	s_wait_alu 0xfffe
	s_or_b32 exec_lo, exec_lo, s3
	v_add_co_u32 v13, vcc_lo, v13, v11
	v_subrev_nc_u32_e32 v21, 32, v21
	s_wait_alu 0xfffd
	v_add_co_ci_u32_e64 v14, null, v14, v12, vcc_lo
	s_mov_b32 s3, 0
.LBB2754_59:                            ;   in Loop: Header=BB2754_60 Depth=1
	s_wait_alu 0xfffe
	s_and_b32 vcc_lo, exec_lo, s3
	s_wait_alu 0xfffe
	s_cbranch_vccnz .LBB2754_76
.LBB2754_60:                            ; =>This Loop Header: Depth=1
                                        ;     Child Loop BB2754_63 Depth 2
	v_and_b32_e32 v11, 0xff, v15
	s_mov_b32 s3, -1
	s_delay_alu instid0(VALU_DEP_1)
	v_cmp_ne_u16_e32 vcc_lo, 2, v11
	s_wait_dscnt 0x0
	v_dual_mov_b32 v11, v13 :: v_dual_mov_b32 v12, v14
                                        ; implicit-def: $vgpr13_vgpr14
	s_cmp_lg_u32 vcc_lo, exec_lo
	s_cbranch_scc1 .LBB2754_59
; %bb.61:                               ;   in Loop: Header=BB2754_60 Depth=1
	v_lshlrev_b64_e32 v[13:14], 4, v[21:22]
	s_mov_b32 s3, exec_lo
	s_delay_alu instid0(VALU_DEP_1) | instskip(SKIP_1) | instid1(VALU_DEP_2)
	v_add_co_u32 v23, vcc_lo, s8, v13
	s_wait_alu 0xfffd
	v_add_co_ci_u32_e64 v24, null, s9, v14, vcc_lo
	;;#ASMSTART
	global_load_b128 v[13:16], v[23:24] off scope:SCOPE_DEV	
s_wait_loadcnt 0x0
	;;#ASMEND
	v_and_b32_e32 v16, 0xff, v15
	s_delay_alu instid0(VALU_DEP_1)
	v_cmpx_eq_u16_e32 0, v16
	s_cbranch_execz .LBB2754_65
; %bb.62:                               ;   in Loop: Header=BB2754_60 Depth=1
	s_mov_b32 s10, 0
.LBB2754_63:                            ;   Parent Loop BB2754_60 Depth=1
                                        ; =>  This Inner Loop Header: Depth=2
	;;#ASMSTART
	global_load_b128 v[13:16], v[23:24] off scope:SCOPE_DEV	
s_wait_loadcnt 0x0
	;;#ASMEND
	v_and_b32_e32 v16, 0xff, v15
	s_delay_alu instid0(VALU_DEP_1)
	v_cmp_ne_u16_e32 vcc_lo, 0, v16
	s_wait_alu 0xfffe
	s_or_b32 s10, vcc_lo, s10
	s_wait_alu 0xfffe
	s_and_not1_b32 exec_lo, exec_lo, s10
	s_cbranch_execnz .LBB2754_63
; %bb.64:                               ;   in Loop: Header=BB2754_60 Depth=1
	s_or_b32 exec_lo, exec_lo, s10
.LBB2754_65:                            ;   in Loop: Header=BB2754_60 Depth=1
	s_wait_alu 0xfffe
	s_or_b32 exec_lo, exec_lo, s3
	v_dual_mov_b32 v23, v13 :: v_dual_and_b32 v16, 0xff, v15
	ds_bpermute_b32 v44, v34, v13
	ds_bpermute_b32 v24, v34, v14
	s_mov_b32 s3, exec_lo
	v_cmp_eq_u16_e32 vcc_lo, 2, v16
	s_wait_alu 0xfffd
	v_and_or_b32 v16, vcc_lo, v35, 0x80000000
	s_delay_alu instid0(VALU_DEP_1) | instskip(NEXT) | instid1(VALU_DEP_1)
	v_ctz_i32_b32_e32 v16, v16
	v_cmpx_lt_u32_e64 v31, v16
	s_cbranch_execz .LBB2754_67
; %bb.66:                               ;   in Loop: Header=BB2754_60 Depth=1
	s_wait_dscnt 0x1
	v_add_co_u32 v23, vcc_lo, v13, v44
	s_wait_alu 0xfffd
	v_add_co_ci_u32_e64 v14, null, 0, v14, vcc_lo
	s_delay_alu instid0(VALU_DEP_2) | instskip(SKIP_2) | instid1(VALU_DEP_2)
	v_add_co_u32 v13, vcc_lo, 0, v23
	s_wait_dscnt 0x0
	s_wait_alu 0xfffd
	v_add_co_ci_u32_e64 v14, null, v24, v14, vcc_lo
.LBB2754_67:                            ;   in Loop: Header=BB2754_60 Depth=1
	s_wait_alu 0xfffe
	s_or_b32 exec_lo, exec_lo, s3
	s_wait_dscnt 0x1
	ds_bpermute_b32 v44, v36, v23
	s_wait_dscnt 0x1
	ds_bpermute_b32 v24, v36, v14
	s_mov_b32 s3, exec_lo
	v_cmpx_le_u32_e64 v37, v16
	s_cbranch_execz .LBB2754_69
; %bb.68:                               ;   in Loop: Header=BB2754_60 Depth=1
	s_wait_dscnt 0x1
	v_add_co_u32 v23, vcc_lo, v13, v44
	s_wait_alu 0xfffd
	v_add_co_ci_u32_e64 v14, null, 0, v14, vcc_lo
	s_delay_alu instid0(VALU_DEP_2) | instskip(SKIP_2) | instid1(VALU_DEP_2)
	v_add_co_u32 v13, vcc_lo, 0, v23
	s_wait_dscnt 0x0
	s_wait_alu 0xfffd
	v_add_co_ci_u32_e64 v14, null, v24, v14, vcc_lo
.LBB2754_69:                            ;   in Loop: Header=BB2754_60 Depth=1
	s_wait_alu 0xfffe
	s_or_b32 exec_lo, exec_lo, s3
	s_wait_dscnt 0x1
	ds_bpermute_b32 v44, v38, v23
	s_wait_dscnt 0x1
	ds_bpermute_b32 v24, v38, v14
	s_mov_b32 s3, exec_lo
	v_cmpx_le_u32_e64 v39, v16
	;; [unrolled: 20-line block ×3, first 2 shown]
	s_cbranch_execz .LBB2754_73
; %bb.72:                               ;   in Loop: Header=BB2754_60 Depth=1
	s_wait_dscnt 0x1
	v_add_co_u32 v23, vcc_lo, v13, v44
	s_wait_alu 0xfffd
	v_add_co_ci_u32_e64 v14, null, 0, v14, vcc_lo
	s_delay_alu instid0(VALU_DEP_2) | instskip(SKIP_2) | instid1(VALU_DEP_2)
	v_add_co_u32 v13, vcc_lo, 0, v23
	s_wait_dscnt 0x0
	s_wait_alu 0xfffd
	v_add_co_ci_u32_e64 v14, null, v24, v14, vcc_lo
.LBB2754_73:                            ;   in Loop: Header=BB2754_60 Depth=1
	s_wait_alu 0xfffe
	s_or_b32 exec_lo, exec_lo, s3
	s_wait_dscnt 0x0
	ds_bpermute_b32 v24, v42, v23
	ds_bpermute_b32 v23, v42, v14
	s_mov_b32 s3, exec_lo
	v_cmpx_le_u32_e64 v43, v16
	s_cbranch_execz .LBB2754_58
; %bb.74:                               ;   in Loop: Header=BB2754_60 Depth=1
	s_wait_dscnt 0x1
	v_add_co_u32 v13, vcc_lo, v13, v24
	s_wait_alu 0xfffd
	v_add_co_ci_u32_e64 v14, null, 0, v14, vcc_lo
	s_delay_alu instid0(VALU_DEP_2) | instskip(SKIP_2) | instid1(VALU_DEP_2)
	v_add_co_u32 v13, vcc_lo, v13, 0
	s_wait_dscnt 0x0
	s_wait_alu 0xfffd
	v_add_co_ci_u32_e64 v14, null, v14, v23, vcc_lo
	s_branch .LBB2754_58
.LBB2754_75:
                                        ; implicit-def: $vgpr13_vgpr14
                                        ; implicit-def: $vgpr19_vgpr20
                                        ; implicit-def: $vgpr11_vgpr12
                                        ; implicit-def: $vgpr14_vgpr15
                                        ; implicit-def: $vgpr15_vgpr16
	s_and_b32 vcc_lo, exec_lo, s1
	s_cbranch_vccnz .LBB2754_81
	s_branch .LBB2754_106
.LBB2754_76:
	s_and_saveexec_b32 s3, s1
	s_cbranch_execz .LBB2754_78
; %bb.77:
	s_add_co_i32 s10, ttmp9, 32
	s_mov_b32 s11, 0
	v_add_co_u32 v13, vcc_lo, v11, v9
	s_wait_alu 0xfffe
	s_lshl_b64 s[10:11], s[10:11], 4
	v_dual_mov_b32 v15, 2 :: v_dual_mov_b32 v16, 0
	s_wait_alu 0xfffe
	s_add_nc_u64 s[10:11], s[8:9], s[10:11]
	s_wait_alu 0xfffd
	v_add_co_ci_u32_e64 v14, null, v12, v10, vcc_lo
	s_wait_alu 0xfffe
	v_dual_mov_b32 v22, s11 :: v_dual_mov_b32 v21, s10
	;;#ASMSTART
	global_store_b128 v[21:22], v[13:16] off scope:SCOPE_DEV	
s_wait_storecnt 0x0
	;;#ASMEND
	ds_store_b128 v16, v[9:12] offset:8448
.LBB2754_78:
	s_wait_alu 0xfffe
	s_or_b32 exec_lo, exec_lo, s3
	v_cmp_eq_u32_e32 vcc_lo, 0, v0
	s_and_b32 exec_lo, exec_lo, vcc_lo
; %bb.79:
	v_mov_b32_e32 v9, 0
	ds_store_b64 v9, v[11:12] offset:56
.LBB2754_80:
	s_wait_alu 0xfffe
	s_or_b32 exec_lo, exec_lo, s2
	s_wait_dscnt 0x0
	v_cndmask_b32_e64 v10, v33, v19, s1
	v_cmp_ne_u32_e32 vcc_lo, 0, v0
	v_mov_b32_e32 v9, 0
	s_wait_loadcnt 0x0
	s_barrier_signal -1
	s_barrier_wait -1
	global_inv scope:SCOPE_SE
	s_wait_alu 0xfffd
	v_cndmask_b32_e32 v16, 0, v10, vcc_lo
	ds_load_b64 v[13:14], v9 offset:56
	v_cndmask_b32_e64 v11, 0, v20, s1
	s_wait_loadcnt_dscnt 0x0
	s_barrier_signal -1
	s_barrier_wait -1
	global_inv scope:SCOPE_SE
	v_cndmask_b32_e32 v15, 0, v11, vcc_lo
	ds_load_b128 v[9:12], v9 offset:8448
	v_add_co_u32 v19, vcc_lo, v13, v16
	s_wait_alu 0xfffd
	v_add_co_ci_u32_e64 v13, null, v14, v15, vcc_lo
	s_delay_alu instid0(VALU_DEP_2) | instskip(SKIP_1) | instid1(VALU_DEP_2)
	v_add_co_u32 v15, vcc_lo, v19, v30
	s_wait_alu 0xfffd
	v_add_co_ci_u32_e64 v13, null, 0, v13, vcc_lo
	s_delay_alu instid0(VALU_DEP_2) | instskip(SKIP_1) | instid1(VALU_DEP_2)
	;; [unrolled: 4-line block ×3, first 2 shown]
	v_add_co_u32 v13, vcc_lo, v14, v28
	s_wait_alu 0xfffd
	v_add_co_ci_u32_e64 v16, null, 0, v16, vcc_lo
	s_branch .LBB2754_106
.LBB2754_81:
	s_wait_dscnt 0x0
	v_dual_mov_b32 v10, 0 :: v_dual_mov_b32 v11, v17
	v_mov_b32_dpp v12, v17 row_shr:1 row_mask:0xf bank_mask:0xf
	s_delay_alu instid0(VALU_DEP_2)
	v_mov_b32_dpp v9, v10 row_shr:1 row_mask:0xf bank_mask:0xf
	s_and_saveexec_b32 s1, s0
; %bb.82:
	s_delay_alu instid0(VALU_DEP_2) | instskip(NEXT) | instid1(VALU_DEP_1)
	v_add_co_u32 v11, vcc_lo, v17, v12
	v_add_co_ci_u32_e64 v10, null, 0, v18, vcc_lo
	s_delay_alu instid0(VALU_DEP_2) | instskip(SKIP_1) | instid1(VALU_DEP_2)
	v_add_co_u32 v17, vcc_lo, 0, v11
	s_wait_alu 0xfffd
	v_add_co_ci_u32_e64 v18, null, v9, v10, vcc_lo
	s_delay_alu instid0(VALU_DEP_1)
	v_mov_b32_e32 v10, v18
; %bb.83:
	s_wait_alu 0xfffe
	s_or_b32 exec_lo, exec_lo, s1
	v_mov_b32_dpp v9, v11 row_shr:2 row_mask:0xf bank_mask:0xf
	s_delay_alu instid0(VALU_DEP_2)
	v_mov_b32_dpp v12, v10 row_shr:2 row_mask:0xf bank_mask:0xf
	s_mov_b32 s0, exec_lo
	v_cmpx_lt_u32_e32 1, v32
; %bb.84:
	s_delay_alu instid0(VALU_DEP_3) | instskip(SKIP_2) | instid1(VALU_DEP_2)
	v_add_co_u32 v11, vcc_lo, v17, v9
	s_wait_alu 0xfffd
	v_add_co_ci_u32_e64 v10, null, 0, v18, vcc_lo
	v_add_co_u32 v9, vcc_lo, 0, v11
	s_wait_alu 0xfffd
	s_delay_alu instid0(VALU_DEP_2) | instskip(NEXT) | instid1(VALU_DEP_1)
	v_add_co_ci_u32_e64 v10, null, v12, v10, vcc_lo
	v_dual_mov_b32 v18, v10 :: v_dual_mov_b32 v17, v9
; %bb.85:
	s_wait_alu 0xfffe
	s_or_b32 exec_lo, exec_lo, s0
	v_mov_b32_dpp v9, v11 row_shr:4 row_mask:0xf bank_mask:0xf
	v_mov_b32_dpp v12, v10 row_shr:4 row_mask:0xf bank_mask:0xf
	s_mov_b32 s0, exec_lo
	v_cmpx_lt_u32_e32 3, v32
; %bb.86:
	s_delay_alu instid0(VALU_DEP_3) | instskip(SKIP_2) | instid1(VALU_DEP_2)
	v_add_co_u32 v11, vcc_lo, v17, v9
	s_wait_alu 0xfffd
	v_add_co_ci_u32_e64 v10, null, 0, v18, vcc_lo
	v_add_co_u32 v9, vcc_lo, 0, v11
	s_wait_alu 0xfffd
	s_delay_alu instid0(VALU_DEP_2) | instskip(NEXT) | instid1(VALU_DEP_1)
	v_add_co_ci_u32_e64 v10, null, v12, v10, vcc_lo
	v_dual_mov_b32 v18, v10 :: v_dual_mov_b32 v17, v9
; %bb.87:
	s_wait_alu 0xfffe
	s_or_b32 exec_lo, exec_lo, s0
	v_mov_b32_dpp v12, v11 row_shr:8 row_mask:0xf bank_mask:0xf
	v_mov_b32_dpp v9, v10 row_shr:8 row_mask:0xf bank_mask:0xf
	s_mov_b32 s0, exec_lo
	v_cmpx_lt_u32_e32 7, v32
; %bb.88:
	s_delay_alu instid0(VALU_DEP_3) | instskip(SKIP_2) | instid1(VALU_DEP_2)
	v_add_co_u32 v11, vcc_lo, v17, v12
	s_wait_alu 0xfffd
	v_add_co_ci_u32_e64 v10, null, 0, v18, vcc_lo
	v_add_co_u32 v17, vcc_lo, 0, v11
	s_wait_alu 0xfffd
	s_delay_alu instid0(VALU_DEP_2) | instskip(NEXT) | instid1(VALU_DEP_1)
	v_add_co_ci_u32_e64 v18, null, v9, v10, vcc_lo
	v_mov_b32_e32 v10, v18
; %bb.89:
	s_wait_alu 0xfffe
	s_or_b32 exec_lo, exec_lo, s0
	ds_swizzle_b32 v11, v11 offset:swizzle(BROADCAST,32,15)
	ds_swizzle_b32 v9, v10 offset:swizzle(BROADCAST,32,15)
	v_and_b32_e32 v10, 16, v31
	s_mov_b32 s0, exec_lo
	s_delay_alu instid0(VALU_DEP_1)
	v_cmpx_ne_u32_e32 0, v10
	s_cbranch_execz .LBB2754_91
; %bb.90:
	s_wait_dscnt 0x1
	v_add_co_u32 v10, vcc_lo, v17, v11
	s_wait_alu 0xfffd
	v_add_co_ci_u32_e64 v11, null, 0, v18, vcc_lo
	s_delay_alu instid0(VALU_DEP_2) | instskip(SKIP_2) | instid1(VALU_DEP_2)
	v_add_co_u32 v17, vcc_lo, v10, 0
	s_wait_dscnt 0x0
	s_wait_alu 0xfffd
	v_add_co_ci_u32_e64 v18, null, v11, v9, vcc_lo
.LBB2754_91:
	s_wait_alu 0xfffe
	s_or_b32 exec_lo, exec_lo, s0
	s_wait_dscnt 0x0
	v_or_b32_e32 v9, 31, v0
	s_mov_b32 s0, exec_lo
	s_delay_alu instid0(VALU_DEP_1)
	v_cmpx_eq_u32_e64 v0, v9
; %bb.92:
	v_lshlrev_b32_e32 v9, 3, v25
	ds_store_b64 v9, v[17:18]
; %bb.93:
	s_wait_alu 0xfffe
	s_or_b32 exec_lo, exec_lo, s0
	s_delay_alu instid0(SALU_CYCLE_1)
	s_mov_b32 s0, exec_lo
	s_wait_loadcnt_dscnt 0x0
	s_barrier_signal -1
	s_barrier_wait -1
	global_inv scope:SCOPE_SE
	v_cmpx_gt_u32_e32 8, v0
	s_cbranch_execz .LBB2754_101
; %bb.94:
	v_lshlrev_b32_e32 v11, 3, v0
	s_mov_b32 s1, exec_lo
	ds_load_b64 v[9:10], v11
	s_wait_dscnt 0x0
	v_dual_mov_b32 v13, v9 :: v_dual_and_b32 v12, 7, v31
	v_mov_b32_dpp v15, v9 row_shr:1 row_mask:0xf bank_mask:0xf
	v_mov_b32_dpp v14, v10 row_shr:1 row_mask:0xf bank_mask:0xf
	s_delay_alu instid0(VALU_DEP_3)
	v_cmpx_ne_u32_e32 0, v12
; %bb.95:
	s_delay_alu instid0(VALU_DEP_3) | instskip(SKIP_2) | instid1(VALU_DEP_2)
	v_add_co_u32 v13, vcc_lo, v9, v15
	s_wait_alu 0xfffd
	v_add_co_ci_u32_e64 v10, null, 0, v10, vcc_lo
	v_add_co_u32 v9, vcc_lo, 0, v13
	s_wait_alu 0xfffd
	s_delay_alu instid0(VALU_DEP_2)
	v_add_co_ci_u32_e64 v10, null, v14, v10, vcc_lo
; %bb.96:
	s_wait_alu 0xfffe
	s_or_b32 exec_lo, exec_lo, s1
	v_mov_b32_dpp v15, v13 row_shr:2 row_mask:0xf bank_mask:0xf
	s_delay_alu instid0(VALU_DEP_2)
	v_mov_b32_dpp v14, v10 row_shr:2 row_mask:0xf bank_mask:0xf
	s_mov_b32 s1, exec_lo
	v_cmpx_lt_u32_e32 1, v12
; %bb.97:
	s_delay_alu instid0(VALU_DEP_3) | instskip(SKIP_2) | instid1(VALU_DEP_2)
	v_add_co_u32 v13, vcc_lo, v9, v15
	s_wait_alu 0xfffd
	v_add_co_ci_u32_e64 v10, null, 0, v10, vcc_lo
	v_add_co_u32 v9, vcc_lo, 0, v13
	s_wait_alu 0xfffd
	s_delay_alu instid0(VALU_DEP_2)
	v_add_co_ci_u32_e64 v10, null, v14, v10, vcc_lo
; %bb.98:
	s_wait_alu 0xfffe
	s_or_b32 exec_lo, exec_lo, s1
	v_mov_b32_dpp v14, v13 row_shr:4 row_mask:0xf bank_mask:0xf
	s_delay_alu instid0(VALU_DEP_2)
	v_mov_b32_dpp v13, v10 row_shr:4 row_mask:0xf bank_mask:0xf
	s_mov_b32 s1, exec_lo
	v_cmpx_lt_u32_e32 3, v12
; %bb.99:
	s_delay_alu instid0(VALU_DEP_3) | instskip(SKIP_2) | instid1(VALU_DEP_2)
	v_add_co_u32 v9, vcc_lo, v9, v14
	s_wait_alu 0xfffd
	v_add_co_ci_u32_e64 v10, null, 0, v10, vcc_lo
	v_add_co_u32 v9, vcc_lo, v9, 0
	s_wait_alu 0xfffd
	s_delay_alu instid0(VALU_DEP_2)
	v_add_co_ci_u32_e64 v10, null, v10, v13, vcc_lo
; %bb.100:
	s_wait_alu 0xfffe
	s_or_b32 exec_lo, exec_lo, s1
	ds_store_b64 v11, v[9:10]
.LBB2754_101:
	s_wait_alu 0xfffe
	s_or_b32 exec_lo, exec_lo, s0
	v_mov_b32_e32 v13, 0
	v_mov_b32_e32 v14, 0
	s_mov_b32 s0, exec_lo
	s_wait_loadcnt_dscnt 0x0
	s_barrier_signal -1
	s_barrier_wait -1
	global_inv scope:SCOPE_SE
	v_cmpx_lt_u32_e32 31, v0
; %bb.102:
	v_lshl_add_u32 v9, v25, 3, -8
	ds_load_b64 v[13:14], v9
; %bb.103:
	s_wait_alu 0xfffe
	s_or_b32 exec_lo, exec_lo, s0
	v_sub_co_u32 v9, vcc_lo, v31, 1
	s_wait_dscnt 0x0
	v_add_nc_u32_e32 v10, v13, v17
	v_mov_b32_e32 v12, 0
	s_delay_alu instid0(VALU_DEP_3) | instskip(SKIP_1) | instid1(VALU_DEP_1)
	v_cmp_gt_i32_e64 s0, 0, v9
	s_wait_alu 0xf1ff
	v_cndmask_b32_e64 v9, v9, v31, s0
	v_cmp_eq_u32_e64 s0, 0, v0
	s_delay_alu instid0(VALU_DEP_2)
	v_lshlrev_b32_e32 v9, 2, v9
	ds_bpermute_b32 v15, v9, v10
	ds_load_b64 v[9:10], v12 offset:56
	s_and_saveexec_b32 s1, s0
	s_cbranch_execz .LBB2754_105
; %bb.104:
	s_wait_kmcnt 0x0
	s_add_nc_u64 s[2:3], s[8:9], 0x200
	v_mov_b32_e32 v11, 2
	s_wait_alu 0xfffe
	v_dual_mov_b32 v17, s3 :: v_dual_mov_b32 v16, s2
	s_wait_dscnt 0x0
	;;#ASMSTART
	global_store_b128 v[16:17], v[9:12] off scope:SCOPE_DEV	
s_wait_storecnt 0x0
	;;#ASMEND
.LBB2754_105:
	s_wait_alu 0xfffe
	s_or_b32 exec_lo, exec_lo, s1
	s_wait_dscnt 0x1
	s_wait_alu 0xfffd
	v_dual_cndmask_b32 v11, v15, v13 :: v_dual_cndmask_b32 v12, 0, v14
	s_wait_loadcnt_dscnt 0x0
	s_barrier_signal -1
	s_barrier_wait -1
	s_delay_alu instid0(VALU_DEP_1)
	v_cndmask_b32_e64 v19, v11, 0, s0
	v_cndmask_b32_e64 v11, v12, 0, s0
	global_inv scope:SCOPE_SE
	v_add_co_u32 v15, vcc_lo, v19, v30
	s_wait_alu 0xfffd
	v_add_co_ci_u32_e64 v11, null, 0, v11, vcc_lo
	s_delay_alu instid0(VALU_DEP_2) | instskip(SKIP_1) | instid1(VALU_DEP_2)
	v_add_co_u32 v14, vcc_lo, v15, v29
	s_wait_alu 0xfffd
	v_add_co_ci_u32_e64 v16, null, 0, v11, vcc_lo
	v_mov_b32_e32 v11, 0
	v_mov_b32_e32 v12, 0
	v_add_co_u32 v13, vcc_lo, v14, v28
	s_wait_alu 0xfffd
	v_add_co_ci_u32_e64 v16, null, 0, v16, vcc_lo
.LBB2754_106:
	s_wait_dscnt 0x0
	v_cmp_gt_u64_e32 vcc_lo, 0x101, v[9:10]
	v_lshrrev_b32_e32 v16, 16, v27
	v_lshrrev_b32_e32 v17, 8, v27
	s_cbranch_vccz .LBB2754_109
; %bb.107:
	v_cmp_eq_u32_e32 vcc_lo, 0, v0
	s_and_b32 s0, vcc_lo, s16
	s_wait_alu 0xfffe
	s_and_saveexec_b32 s1, s0
	s_cbranch_execnz .LBB2754_118
.LBB2754_108:
	s_endpgm
.LBB2754_109:
	v_and_b32_e32 v18, 1, v27
	s_mov_b32 s0, exec_lo
	s_delay_alu instid0(VALU_DEP_1)
	v_cmpx_eq_u32_e32 1, v18
; %bb.110:
	v_sub_nc_u32_e32 v18, v19, v11
	s_delay_alu instid0(VALU_DEP_1)
	v_lshlrev_b32_e32 v18, 3, v18
	ds_store_b64 v18, v[5:6]
; %bb.111:
	s_wait_alu 0xfffe
	s_or_b32 exec_lo, exec_lo, s0
	v_and_b32_e32 v5, 1, v17
	s_mov_b32 s0, exec_lo
	s_delay_alu instid0(VALU_DEP_1)
	v_cmpx_eq_u32_e32 1, v5
; %bb.112:
	v_sub_nc_u32_e32 v5, v15, v11
	s_delay_alu instid0(VALU_DEP_1)
	v_lshlrev_b32_e32 v5, 3, v5
	ds_store_b64 v5, v[7:8]
; %bb.113:
	s_wait_alu 0xfffe
	s_or_b32 exec_lo, exec_lo, s0
	;; [unrolled: 12-line block ×4, first 2 shown]
	s_wait_loadcnt_dscnt 0x0
	s_barrier_signal -1
	s_barrier_wait -1
	global_inv scope:SCOPE_SE
	v_cmp_eq_u32_e32 vcc_lo, 0, v0
	s_and_b32 s0, vcc_lo, s16
	s_wait_alu 0xfffe
	s_and_saveexec_b32 s1, s0
	s_cbranch_execz .LBB2754_108
.LBB2754_118:
	v_add_co_u32 v0, vcc_lo, v9, s6
	s_wait_alu 0xfffd
	v_add_co_ci_u32_e64 v1, null, s7, v10, vcc_lo
	v_mov_b32_e32 v2, 0
	s_delay_alu instid0(VALU_DEP_3) | instskip(SKIP_1) | instid1(VALU_DEP_3)
	v_add_co_u32 v0, vcc_lo, v0, v11
	s_wait_alu 0xfffd
	v_add_co_ci_u32_e64 v1, null, v1, v12, vcc_lo
	global_store_b64 v2, v[0:1], s[4:5]
	s_endpgm
.LBB2754_119:
	v_dual_mov_b32 v15, v1 :: v_dual_lshlrev_b32 v2, 3, v0
	v_dual_mov_b32 v16, v1 :: v_dual_mov_b32 v17, v1
	v_dual_mov_b32 v18, v1 :: v_dual_mov_b32 v19, v1
	s_delay_alu instid0(VALU_DEP_3)
	v_add_co_u32 v2, s2, s14, v2
	s_wait_alu 0xf1ff
	v_add_co_ci_u32_e64 v3, null, s15, 0, s2
	v_mov_b32_e32 v20, v1
	flat_load_b64 v[13:14], v[2:3]
	s_wait_loadcnt_dscnt 0x0
	v_dual_mov_b32 v1, v13 :: v_dual_mov_b32 v2, v14
	v_dual_mov_b32 v3, v15 :: v_dual_mov_b32 v4, v16
	;; [unrolled: 1-line block ×4, first 2 shown]
	s_wait_alu 0xfffe
	s_or_b32 exec_lo, exec_lo, s3
	s_delay_alu instid0(SALU_CYCLE_1)
	s_mov_b32 s2, exec_lo
	v_cmpx_gt_u32_e64 s17, v10
	s_cbranch_execz .LBB2754_5
.LBB2754_120:
	v_lshlrev_b32_e32 v3, 3, v0
	s_delay_alu instid0(VALU_DEP_1)
	v_add_co_u32 v3, s3, s14, v3
	s_wait_alu 0xf1ff
	v_add_co_ci_u32_e64 v4, null, s15, 0, s3
	flat_load_b64 v[3:4], v[3:4] offset:2048
	s_wait_alu 0xfffe
	s_or_b32 exec_lo, exec_lo, s2
	s_delay_alu instid0(SALU_CYCLE_1)
	s_mov_b32 s2, exec_lo
	v_cmpx_gt_u32_e64 s17, v9
	s_cbranch_execz .LBB2754_6
.LBB2754_121:
	v_lshlrev_b32_e32 v5, 3, v0
	s_delay_alu instid0(VALU_DEP_1)
	v_add_co_u32 v5, s3, s14, v5
	s_wait_alu 0xf1ff
	v_add_co_ci_u32_e64 v6, null, s15, 0, s3
	flat_load_b64 v[5:6], v[5:6] offset:4096
	s_wait_alu 0xfffe
	s_or_b32 exec_lo, exec_lo, s2
	s_delay_alu instid0(SALU_CYCLE_1)
	s_mov_b32 s2, exec_lo
	v_cmpx_gt_u32_e64 s17, v11
	s_cbranch_execnz .LBB2754_7
	s_branch .LBB2754_8
.LBB2754_122:
	global_load_u8 v14, v0, s[2:3]
	s_wait_loadcnt 0x0
	v_xor_b32_e32 v14, 1, v14
	s_delay_alu instid0(VALU_DEP_1) | instskip(NEXT) | instid1(VALU_DEP_1)
	v_and_b32_e32 v15, 1, v14
	v_and_b32_e32 v15, 0xffff, v15
	s_or_b32 exec_lo, exec_lo, s8
	s_delay_alu instid0(SALU_CYCLE_1)
	s_mov_b32 s8, exec_lo
	v_cmpx_gt_u32_e64 s17, v10
	s_cbranch_execz .LBB2754_14
.LBB2754_123:
	global_load_u8 v16, v0, s[2:3] offset:256
	s_wait_loadcnt 0x0
	v_xor_b32_e32 v16, 1, v16
	s_delay_alu instid0(VALU_DEP_1) | instskip(NEXT) | instid1(VALU_DEP_1)
	v_lshlrev_b16 v16, 8, v16
	v_or_b32_e32 v15, v15, v16
	s_delay_alu instid0(VALU_DEP_1) | instskip(SKIP_1) | instid1(SALU_CYCLE_1)
	v_and_b32_e32 v15, 0xffff, v15
	s_or_b32 exec_lo, exec_lo, s8
	s_mov_b32 s8, exec_lo
	v_cmpx_gt_u32_e64 s17, v9
	s_cbranch_execz .LBB2754_15
.LBB2754_124:
	global_load_u8 v16, v0, s[2:3] offset:512
	s_wait_loadcnt 0x0
	v_xor_b32_e32 v16, 1, v16
	s_delay_alu instid0(VALU_DEP_1) | instskip(NEXT) | instid1(VALU_DEP_1)
	v_lshlrev_b32_e32 v16, 16, v16
	v_or_b32_e32 v15, v15, v16
	s_or_b32 exec_lo, exec_lo, s8
	s_delay_alu instid0(SALU_CYCLE_1)
	s_mov_b32 s8, exec_lo
	v_cmpx_gt_u32_e64 s17, v11
	s_cbranch_execnz .LBB2754_16
	s_branch .LBB2754_17
	.section	.rodata,"a",@progbits
	.p2align	6, 0x0
	.amdhsa_kernel _ZN7rocprim17ROCPRIM_400000_NS6detail17trampoline_kernelINS0_14default_configENS1_25partition_config_selectorILNS1_17partition_subalgoE5ExNS0_10empty_typeEbEEZZNS1_14partition_implILS5_5ELb0ES3_mN6thrust23THRUST_200600_302600_NS6detail15normal_iteratorINSA_10device_ptrIxEEEEPS6_NSA_18transform_iteratorINSB_9not_fun_tI7is_trueIxEEENSC_INSD_IbEEEENSA_11use_defaultESO_EENS0_5tupleIJNSA_16discard_iteratorISO_EES6_EEENSQ_IJSG_SG_EEES6_PlJS6_EEE10hipError_tPvRmT3_T4_T5_T6_T7_T9_mT8_P12ihipStream_tbDpT10_ENKUlT_T0_E_clISt17integral_constantIbLb0EES1F_EEDaS1A_S1B_EUlS1A_E_NS1_11comp_targetILNS1_3genE10ELNS1_11target_archE1200ELNS1_3gpuE4ELNS1_3repE0EEENS1_30default_config_static_selectorELNS0_4arch9wavefront6targetE0EEEvT1_
		.amdhsa_group_segment_fixed_size 8464
		.amdhsa_private_segment_fixed_size 0
		.amdhsa_kernarg_size 128
		.amdhsa_user_sgpr_count 2
		.amdhsa_user_sgpr_dispatch_ptr 0
		.amdhsa_user_sgpr_queue_ptr 0
		.amdhsa_user_sgpr_kernarg_segment_ptr 1
		.amdhsa_user_sgpr_dispatch_id 0
		.amdhsa_user_sgpr_private_segment_size 0
		.amdhsa_wavefront_size32 1
		.amdhsa_uses_dynamic_stack 0
		.amdhsa_enable_private_segment 0
		.amdhsa_system_sgpr_workgroup_id_x 1
		.amdhsa_system_sgpr_workgroup_id_y 0
		.amdhsa_system_sgpr_workgroup_id_z 0
		.amdhsa_system_sgpr_workgroup_info 0
		.amdhsa_system_vgpr_workitem_id 0
		.amdhsa_next_free_vgpr 45
		.amdhsa_next_free_sgpr 24
		.amdhsa_reserve_vcc 1
		.amdhsa_float_round_mode_32 0
		.amdhsa_float_round_mode_16_64 0
		.amdhsa_float_denorm_mode_32 3
		.amdhsa_float_denorm_mode_16_64 3
		.amdhsa_fp16_overflow 0
		.amdhsa_workgroup_processor_mode 1
		.amdhsa_memory_ordered 1
		.amdhsa_forward_progress 1
		.amdhsa_inst_pref_size 49
		.amdhsa_round_robin_scheduling 0
		.amdhsa_exception_fp_ieee_invalid_op 0
		.amdhsa_exception_fp_denorm_src 0
		.amdhsa_exception_fp_ieee_div_zero 0
		.amdhsa_exception_fp_ieee_overflow 0
		.amdhsa_exception_fp_ieee_underflow 0
		.amdhsa_exception_fp_ieee_inexact 0
		.amdhsa_exception_int_div_zero 0
	.end_amdhsa_kernel
	.section	.text._ZN7rocprim17ROCPRIM_400000_NS6detail17trampoline_kernelINS0_14default_configENS1_25partition_config_selectorILNS1_17partition_subalgoE5ExNS0_10empty_typeEbEEZZNS1_14partition_implILS5_5ELb0ES3_mN6thrust23THRUST_200600_302600_NS6detail15normal_iteratorINSA_10device_ptrIxEEEEPS6_NSA_18transform_iteratorINSB_9not_fun_tI7is_trueIxEEENSC_INSD_IbEEEENSA_11use_defaultESO_EENS0_5tupleIJNSA_16discard_iteratorISO_EES6_EEENSQ_IJSG_SG_EEES6_PlJS6_EEE10hipError_tPvRmT3_T4_T5_T6_T7_T9_mT8_P12ihipStream_tbDpT10_ENKUlT_T0_E_clISt17integral_constantIbLb0EES1F_EEDaS1A_S1B_EUlS1A_E_NS1_11comp_targetILNS1_3genE10ELNS1_11target_archE1200ELNS1_3gpuE4ELNS1_3repE0EEENS1_30default_config_static_selectorELNS0_4arch9wavefront6targetE0EEEvT1_,"axG",@progbits,_ZN7rocprim17ROCPRIM_400000_NS6detail17trampoline_kernelINS0_14default_configENS1_25partition_config_selectorILNS1_17partition_subalgoE5ExNS0_10empty_typeEbEEZZNS1_14partition_implILS5_5ELb0ES3_mN6thrust23THRUST_200600_302600_NS6detail15normal_iteratorINSA_10device_ptrIxEEEEPS6_NSA_18transform_iteratorINSB_9not_fun_tI7is_trueIxEEENSC_INSD_IbEEEENSA_11use_defaultESO_EENS0_5tupleIJNSA_16discard_iteratorISO_EES6_EEENSQ_IJSG_SG_EEES6_PlJS6_EEE10hipError_tPvRmT3_T4_T5_T6_T7_T9_mT8_P12ihipStream_tbDpT10_ENKUlT_T0_E_clISt17integral_constantIbLb0EES1F_EEDaS1A_S1B_EUlS1A_E_NS1_11comp_targetILNS1_3genE10ELNS1_11target_archE1200ELNS1_3gpuE4ELNS1_3repE0EEENS1_30default_config_static_selectorELNS0_4arch9wavefront6targetE0EEEvT1_,comdat
.Lfunc_end2754:
	.size	_ZN7rocprim17ROCPRIM_400000_NS6detail17trampoline_kernelINS0_14default_configENS1_25partition_config_selectorILNS1_17partition_subalgoE5ExNS0_10empty_typeEbEEZZNS1_14partition_implILS5_5ELb0ES3_mN6thrust23THRUST_200600_302600_NS6detail15normal_iteratorINSA_10device_ptrIxEEEEPS6_NSA_18transform_iteratorINSB_9not_fun_tI7is_trueIxEEENSC_INSD_IbEEEENSA_11use_defaultESO_EENS0_5tupleIJNSA_16discard_iteratorISO_EES6_EEENSQ_IJSG_SG_EEES6_PlJS6_EEE10hipError_tPvRmT3_T4_T5_T6_T7_T9_mT8_P12ihipStream_tbDpT10_ENKUlT_T0_E_clISt17integral_constantIbLb0EES1F_EEDaS1A_S1B_EUlS1A_E_NS1_11comp_targetILNS1_3genE10ELNS1_11target_archE1200ELNS1_3gpuE4ELNS1_3repE0EEENS1_30default_config_static_selectorELNS0_4arch9wavefront6targetE0EEEvT1_, .Lfunc_end2754-_ZN7rocprim17ROCPRIM_400000_NS6detail17trampoline_kernelINS0_14default_configENS1_25partition_config_selectorILNS1_17partition_subalgoE5ExNS0_10empty_typeEbEEZZNS1_14partition_implILS5_5ELb0ES3_mN6thrust23THRUST_200600_302600_NS6detail15normal_iteratorINSA_10device_ptrIxEEEEPS6_NSA_18transform_iteratorINSB_9not_fun_tI7is_trueIxEEENSC_INSD_IbEEEENSA_11use_defaultESO_EENS0_5tupleIJNSA_16discard_iteratorISO_EES6_EEENSQ_IJSG_SG_EEES6_PlJS6_EEE10hipError_tPvRmT3_T4_T5_T6_T7_T9_mT8_P12ihipStream_tbDpT10_ENKUlT_T0_E_clISt17integral_constantIbLb0EES1F_EEDaS1A_S1B_EUlS1A_E_NS1_11comp_targetILNS1_3genE10ELNS1_11target_archE1200ELNS1_3gpuE4ELNS1_3repE0EEENS1_30default_config_static_selectorELNS0_4arch9wavefront6targetE0EEEvT1_
                                        ; -- End function
	.set _ZN7rocprim17ROCPRIM_400000_NS6detail17trampoline_kernelINS0_14default_configENS1_25partition_config_selectorILNS1_17partition_subalgoE5ExNS0_10empty_typeEbEEZZNS1_14partition_implILS5_5ELb0ES3_mN6thrust23THRUST_200600_302600_NS6detail15normal_iteratorINSA_10device_ptrIxEEEEPS6_NSA_18transform_iteratorINSB_9not_fun_tI7is_trueIxEEENSC_INSD_IbEEEENSA_11use_defaultESO_EENS0_5tupleIJNSA_16discard_iteratorISO_EES6_EEENSQ_IJSG_SG_EEES6_PlJS6_EEE10hipError_tPvRmT3_T4_T5_T6_T7_T9_mT8_P12ihipStream_tbDpT10_ENKUlT_T0_E_clISt17integral_constantIbLb0EES1F_EEDaS1A_S1B_EUlS1A_E_NS1_11comp_targetILNS1_3genE10ELNS1_11target_archE1200ELNS1_3gpuE4ELNS1_3repE0EEENS1_30default_config_static_selectorELNS0_4arch9wavefront6targetE0EEEvT1_.num_vgpr, 45
	.set _ZN7rocprim17ROCPRIM_400000_NS6detail17trampoline_kernelINS0_14default_configENS1_25partition_config_selectorILNS1_17partition_subalgoE5ExNS0_10empty_typeEbEEZZNS1_14partition_implILS5_5ELb0ES3_mN6thrust23THRUST_200600_302600_NS6detail15normal_iteratorINSA_10device_ptrIxEEEEPS6_NSA_18transform_iteratorINSB_9not_fun_tI7is_trueIxEEENSC_INSD_IbEEEENSA_11use_defaultESO_EENS0_5tupleIJNSA_16discard_iteratorISO_EES6_EEENSQ_IJSG_SG_EEES6_PlJS6_EEE10hipError_tPvRmT3_T4_T5_T6_T7_T9_mT8_P12ihipStream_tbDpT10_ENKUlT_T0_E_clISt17integral_constantIbLb0EES1F_EEDaS1A_S1B_EUlS1A_E_NS1_11comp_targetILNS1_3genE10ELNS1_11target_archE1200ELNS1_3gpuE4ELNS1_3repE0EEENS1_30default_config_static_selectorELNS0_4arch9wavefront6targetE0EEEvT1_.num_agpr, 0
	.set _ZN7rocprim17ROCPRIM_400000_NS6detail17trampoline_kernelINS0_14default_configENS1_25partition_config_selectorILNS1_17partition_subalgoE5ExNS0_10empty_typeEbEEZZNS1_14partition_implILS5_5ELb0ES3_mN6thrust23THRUST_200600_302600_NS6detail15normal_iteratorINSA_10device_ptrIxEEEEPS6_NSA_18transform_iteratorINSB_9not_fun_tI7is_trueIxEEENSC_INSD_IbEEEENSA_11use_defaultESO_EENS0_5tupleIJNSA_16discard_iteratorISO_EES6_EEENSQ_IJSG_SG_EEES6_PlJS6_EEE10hipError_tPvRmT3_T4_T5_T6_T7_T9_mT8_P12ihipStream_tbDpT10_ENKUlT_T0_E_clISt17integral_constantIbLb0EES1F_EEDaS1A_S1B_EUlS1A_E_NS1_11comp_targetILNS1_3genE10ELNS1_11target_archE1200ELNS1_3gpuE4ELNS1_3repE0EEENS1_30default_config_static_selectorELNS0_4arch9wavefront6targetE0EEEvT1_.numbered_sgpr, 24
	.set _ZN7rocprim17ROCPRIM_400000_NS6detail17trampoline_kernelINS0_14default_configENS1_25partition_config_selectorILNS1_17partition_subalgoE5ExNS0_10empty_typeEbEEZZNS1_14partition_implILS5_5ELb0ES3_mN6thrust23THRUST_200600_302600_NS6detail15normal_iteratorINSA_10device_ptrIxEEEEPS6_NSA_18transform_iteratorINSB_9not_fun_tI7is_trueIxEEENSC_INSD_IbEEEENSA_11use_defaultESO_EENS0_5tupleIJNSA_16discard_iteratorISO_EES6_EEENSQ_IJSG_SG_EEES6_PlJS6_EEE10hipError_tPvRmT3_T4_T5_T6_T7_T9_mT8_P12ihipStream_tbDpT10_ENKUlT_T0_E_clISt17integral_constantIbLb0EES1F_EEDaS1A_S1B_EUlS1A_E_NS1_11comp_targetILNS1_3genE10ELNS1_11target_archE1200ELNS1_3gpuE4ELNS1_3repE0EEENS1_30default_config_static_selectorELNS0_4arch9wavefront6targetE0EEEvT1_.num_named_barrier, 0
	.set _ZN7rocprim17ROCPRIM_400000_NS6detail17trampoline_kernelINS0_14default_configENS1_25partition_config_selectorILNS1_17partition_subalgoE5ExNS0_10empty_typeEbEEZZNS1_14partition_implILS5_5ELb0ES3_mN6thrust23THRUST_200600_302600_NS6detail15normal_iteratorINSA_10device_ptrIxEEEEPS6_NSA_18transform_iteratorINSB_9not_fun_tI7is_trueIxEEENSC_INSD_IbEEEENSA_11use_defaultESO_EENS0_5tupleIJNSA_16discard_iteratorISO_EES6_EEENSQ_IJSG_SG_EEES6_PlJS6_EEE10hipError_tPvRmT3_T4_T5_T6_T7_T9_mT8_P12ihipStream_tbDpT10_ENKUlT_T0_E_clISt17integral_constantIbLb0EES1F_EEDaS1A_S1B_EUlS1A_E_NS1_11comp_targetILNS1_3genE10ELNS1_11target_archE1200ELNS1_3gpuE4ELNS1_3repE0EEENS1_30default_config_static_selectorELNS0_4arch9wavefront6targetE0EEEvT1_.private_seg_size, 0
	.set _ZN7rocprim17ROCPRIM_400000_NS6detail17trampoline_kernelINS0_14default_configENS1_25partition_config_selectorILNS1_17partition_subalgoE5ExNS0_10empty_typeEbEEZZNS1_14partition_implILS5_5ELb0ES3_mN6thrust23THRUST_200600_302600_NS6detail15normal_iteratorINSA_10device_ptrIxEEEEPS6_NSA_18transform_iteratorINSB_9not_fun_tI7is_trueIxEEENSC_INSD_IbEEEENSA_11use_defaultESO_EENS0_5tupleIJNSA_16discard_iteratorISO_EES6_EEENSQ_IJSG_SG_EEES6_PlJS6_EEE10hipError_tPvRmT3_T4_T5_T6_T7_T9_mT8_P12ihipStream_tbDpT10_ENKUlT_T0_E_clISt17integral_constantIbLb0EES1F_EEDaS1A_S1B_EUlS1A_E_NS1_11comp_targetILNS1_3genE10ELNS1_11target_archE1200ELNS1_3gpuE4ELNS1_3repE0EEENS1_30default_config_static_selectorELNS0_4arch9wavefront6targetE0EEEvT1_.uses_vcc, 1
	.set _ZN7rocprim17ROCPRIM_400000_NS6detail17trampoline_kernelINS0_14default_configENS1_25partition_config_selectorILNS1_17partition_subalgoE5ExNS0_10empty_typeEbEEZZNS1_14partition_implILS5_5ELb0ES3_mN6thrust23THRUST_200600_302600_NS6detail15normal_iteratorINSA_10device_ptrIxEEEEPS6_NSA_18transform_iteratorINSB_9not_fun_tI7is_trueIxEEENSC_INSD_IbEEEENSA_11use_defaultESO_EENS0_5tupleIJNSA_16discard_iteratorISO_EES6_EEENSQ_IJSG_SG_EEES6_PlJS6_EEE10hipError_tPvRmT3_T4_T5_T6_T7_T9_mT8_P12ihipStream_tbDpT10_ENKUlT_T0_E_clISt17integral_constantIbLb0EES1F_EEDaS1A_S1B_EUlS1A_E_NS1_11comp_targetILNS1_3genE10ELNS1_11target_archE1200ELNS1_3gpuE4ELNS1_3repE0EEENS1_30default_config_static_selectorELNS0_4arch9wavefront6targetE0EEEvT1_.uses_flat_scratch, 1
	.set _ZN7rocprim17ROCPRIM_400000_NS6detail17trampoline_kernelINS0_14default_configENS1_25partition_config_selectorILNS1_17partition_subalgoE5ExNS0_10empty_typeEbEEZZNS1_14partition_implILS5_5ELb0ES3_mN6thrust23THRUST_200600_302600_NS6detail15normal_iteratorINSA_10device_ptrIxEEEEPS6_NSA_18transform_iteratorINSB_9not_fun_tI7is_trueIxEEENSC_INSD_IbEEEENSA_11use_defaultESO_EENS0_5tupleIJNSA_16discard_iteratorISO_EES6_EEENSQ_IJSG_SG_EEES6_PlJS6_EEE10hipError_tPvRmT3_T4_T5_T6_T7_T9_mT8_P12ihipStream_tbDpT10_ENKUlT_T0_E_clISt17integral_constantIbLb0EES1F_EEDaS1A_S1B_EUlS1A_E_NS1_11comp_targetILNS1_3genE10ELNS1_11target_archE1200ELNS1_3gpuE4ELNS1_3repE0EEENS1_30default_config_static_selectorELNS0_4arch9wavefront6targetE0EEEvT1_.has_dyn_sized_stack, 0
	.set _ZN7rocprim17ROCPRIM_400000_NS6detail17trampoline_kernelINS0_14default_configENS1_25partition_config_selectorILNS1_17partition_subalgoE5ExNS0_10empty_typeEbEEZZNS1_14partition_implILS5_5ELb0ES3_mN6thrust23THRUST_200600_302600_NS6detail15normal_iteratorINSA_10device_ptrIxEEEEPS6_NSA_18transform_iteratorINSB_9not_fun_tI7is_trueIxEEENSC_INSD_IbEEEENSA_11use_defaultESO_EENS0_5tupleIJNSA_16discard_iteratorISO_EES6_EEENSQ_IJSG_SG_EEES6_PlJS6_EEE10hipError_tPvRmT3_T4_T5_T6_T7_T9_mT8_P12ihipStream_tbDpT10_ENKUlT_T0_E_clISt17integral_constantIbLb0EES1F_EEDaS1A_S1B_EUlS1A_E_NS1_11comp_targetILNS1_3genE10ELNS1_11target_archE1200ELNS1_3gpuE4ELNS1_3repE0EEENS1_30default_config_static_selectorELNS0_4arch9wavefront6targetE0EEEvT1_.has_recursion, 0
	.set _ZN7rocprim17ROCPRIM_400000_NS6detail17trampoline_kernelINS0_14default_configENS1_25partition_config_selectorILNS1_17partition_subalgoE5ExNS0_10empty_typeEbEEZZNS1_14partition_implILS5_5ELb0ES3_mN6thrust23THRUST_200600_302600_NS6detail15normal_iteratorINSA_10device_ptrIxEEEEPS6_NSA_18transform_iteratorINSB_9not_fun_tI7is_trueIxEEENSC_INSD_IbEEEENSA_11use_defaultESO_EENS0_5tupleIJNSA_16discard_iteratorISO_EES6_EEENSQ_IJSG_SG_EEES6_PlJS6_EEE10hipError_tPvRmT3_T4_T5_T6_T7_T9_mT8_P12ihipStream_tbDpT10_ENKUlT_T0_E_clISt17integral_constantIbLb0EES1F_EEDaS1A_S1B_EUlS1A_E_NS1_11comp_targetILNS1_3genE10ELNS1_11target_archE1200ELNS1_3gpuE4ELNS1_3repE0EEENS1_30default_config_static_selectorELNS0_4arch9wavefront6targetE0EEEvT1_.has_indirect_call, 0
	.section	.AMDGPU.csdata,"",@progbits
; Kernel info:
; codeLenInByte = 6224
; TotalNumSgprs: 26
; NumVgprs: 45
; ScratchSize: 0
; MemoryBound: 0
; FloatMode: 240
; IeeeMode: 1
; LDSByteSize: 8464 bytes/workgroup (compile time only)
; SGPRBlocks: 0
; VGPRBlocks: 5
; NumSGPRsForWavesPerEU: 26
; NumVGPRsForWavesPerEU: 45
; Occupancy: 16
; WaveLimiterHint : 1
; COMPUTE_PGM_RSRC2:SCRATCH_EN: 0
; COMPUTE_PGM_RSRC2:USER_SGPR: 2
; COMPUTE_PGM_RSRC2:TRAP_HANDLER: 0
; COMPUTE_PGM_RSRC2:TGID_X_EN: 1
; COMPUTE_PGM_RSRC2:TGID_Y_EN: 0
; COMPUTE_PGM_RSRC2:TGID_Z_EN: 0
; COMPUTE_PGM_RSRC2:TIDIG_COMP_CNT: 0
	.section	.text._ZN7rocprim17ROCPRIM_400000_NS6detail17trampoline_kernelINS0_14default_configENS1_25partition_config_selectorILNS1_17partition_subalgoE5ExNS0_10empty_typeEbEEZZNS1_14partition_implILS5_5ELb0ES3_mN6thrust23THRUST_200600_302600_NS6detail15normal_iteratorINSA_10device_ptrIxEEEEPS6_NSA_18transform_iteratorINSB_9not_fun_tI7is_trueIxEEENSC_INSD_IbEEEENSA_11use_defaultESO_EENS0_5tupleIJNSA_16discard_iteratorISO_EES6_EEENSQ_IJSG_SG_EEES6_PlJS6_EEE10hipError_tPvRmT3_T4_T5_T6_T7_T9_mT8_P12ihipStream_tbDpT10_ENKUlT_T0_E_clISt17integral_constantIbLb0EES1F_EEDaS1A_S1B_EUlS1A_E_NS1_11comp_targetILNS1_3genE9ELNS1_11target_archE1100ELNS1_3gpuE3ELNS1_3repE0EEENS1_30default_config_static_selectorELNS0_4arch9wavefront6targetE0EEEvT1_,"axG",@progbits,_ZN7rocprim17ROCPRIM_400000_NS6detail17trampoline_kernelINS0_14default_configENS1_25partition_config_selectorILNS1_17partition_subalgoE5ExNS0_10empty_typeEbEEZZNS1_14partition_implILS5_5ELb0ES3_mN6thrust23THRUST_200600_302600_NS6detail15normal_iteratorINSA_10device_ptrIxEEEEPS6_NSA_18transform_iteratorINSB_9not_fun_tI7is_trueIxEEENSC_INSD_IbEEEENSA_11use_defaultESO_EENS0_5tupleIJNSA_16discard_iteratorISO_EES6_EEENSQ_IJSG_SG_EEES6_PlJS6_EEE10hipError_tPvRmT3_T4_T5_T6_T7_T9_mT8_P12ihipStream_tbDpT10_ENKUlT_T0_E_clISt17integral_constantIbLb0EES1F_EEDaS1A_S1B_EUlS1A_E_NS1_11comp_targetILNS1_3genE9ELNS1_11target_archE1100ELNS1_3gpuE3ELNS1_3repE0EEENS1_30default_config_static_selectorELNS0_4arch9wavefront6targetE0EEEvT1_,comdat
	.protected	_ZN7rocprim17ROCPRIM_400000_NS6detail17trampoline_kernelINS0_14default_configENS1_25partition_config_selectorILNS1_17partition_subalgoE5ExNS0_10empty_typeEbEEZZNS1_14partition_implILS5_5ELb0ES3_mN6thrust23THRUST_200600_302600_NS6detail15normal_iteratorINSA_10device_ptrIxEEEEPS6_NSA_18transform_iteratorINSB_9not_fun_tI7is_trueIxEEENSC_INSD_IbEEEENSA_11use_defaultESO_EENS0_5tupleIJNSA_16discard_iteratorISO_EES6_EEENSQ_IJSG_SG_EEES6_PlJS6_EEE10hipError_tPvRmT3_T4_T5_T6_T7_T9_mT8_P12ihipStream_tbDpT10_ENKUlT_T0_E_clISt17integral_constantIbLb0EES1F_EEDaS1A_S1B_EUlS1A_E_NS1_11comp_targetILNS1_3genE9ELNS1_11target_archE1100ELNS1_3gpuE3ELNS1_3repE0EEENS1_30default_config_static_selectorELNS0_4arch9wavefront6targetE0EEEvT1_ ; -- Begin function _ZN7rocprim17ROCPRIM_400000_NS6detail17trampoline_kernelINS0_14default_configENS1_25partition_config_selectorILNS1_17partition_subalgoE5ExNS0_10empty_typeEbEEZZNS1_14partition_implILS5_5ELb0ES3_mN6thrust23THRUST_200600_302600_NS6detail15normal_iteratorINSA_10device_ptrIxEEEEPS6_NSA_18transform_iteratorINSB_9not_fun_tI7is_trueIxEEENSC_INSD_IbEEEENSA_11use_defaultESO_EENS0_5tupleIJNSA_16discard_iteratorISO_EES6_EEENSQ_IJSG_SG_EEES6_PlJS6_EEE10hipError_tPvRmT3_T4_T5_T6_T7_T9_mT8_P12ihipStream_tbDpT10_ENKUlT_T0_E_clISt17integral_constantIbLb0EES1F_EEDaS1A_S1B_EUlS1A_E_NS1_11comp_targetILNS1_3genE9ELNS1_11target_archE1100ELNS1_3gpuE3ELNS1_3repE0EEENS1_30default_config_static_selectorELNS0_4arch9wavefront6targetE0EEEvT1_
	.globl	_ZN7rocprim17ROCPRIM_400000_NS6detail17trampoline_kernelINS0_14default_configENS1_25partition_config_selectorILNS1_17partition_subalgoE5ExNS0_10empty_typeEbEEZZNS1_14partition_implILS5_5ELb0ES3_mN6thrust23THRUST_200600_302600_NS6detail15normal_iteratorINSA_10device_ptrIxEEEEPS6_NSA_18transform_iteratorINSB_9not_fun_tI7is_trueIxEEENSC_INSD_IbEEEENSA_11use_defaultESO_EENS0_5tupleIJNSA_16discard_iteratorISO_EES6_EEENSQ_IJSG_SG_EEES6_PlJS6_EEE10hipError_tPvRmT3_T4_T5_T6_T7_T9_mT8_P12ihipStream_tbDpT10_ENKUlT_T0_E_clISt17integral_constantIbLb0EES1F_EEDaS1A_S1B_EUlS1A_E_NS1_11comp_targetILNS1_3genE9ELNS1_11target_archE1100ELNS1_3gpuE3ELNS1_3repE0EEENS1_30default_config_static_selectorELNS0_4arch9wavefront6targetE0EEEvT1_
	.p2align	8
	.type	_ZN7rocprim17ROCPRIM_400000_NS6detail17trampoline_kernelINS0_14default_configENS1_25partition_config_selectorILNS1_17partition_subalgoE5ExNS0_10empty_typeEbEEZZNS1_14partition_implILS5_5ELb0ES3_mN6thrust23THRUST_200600_302600_NS6detail15normal_iteratorINSA_10device_ptrIxEEEEPS6_NSA_18transform_iteratorINSB_9not_fun_tI7is_trueIxEEENSC_INSD_IbEEEENSA_11use_defaultESO_EENS0_5tupleIJNSA_16discard_iteratorISO_EES6_EEENSQ_IJSG_SG_EEES6_PlJS6_EEE10hipError_tPvRmT3_T4_T5_T6_T7_T9_mT8_P12ihipStream_tbDpT10_ENKUlT_T0_E_clISt17integral_constantIbLb0EES1F_EEDaS1A_S1B_EUlS1A_E_NS1_11comp_targetILNS1_3genE9ELNS1_11target_archE1100ELNS1_3gpuE3ELNS1_3repE0EEENS1_30default_config_static_selectorELNS0_4arch9wavefront6targetE0EEEvT1_,@function
_ZN7rocprim17ROCPRIM_400000_NS6detail17trampoline_kernelINS0_14default_configENS1_25partition_config_selectorILNS1_17partition_subalgoE5ExNS0_10empty_typeEbEEZZNS1_14partition_implILS5_5ELb0ES3_mN6thrust23THRUST_200600_302600_NS6detail15normal_iteratorINSA_10device_ptrIxEEEEPS6_NSA_18transform_iteratorINSB_9not_fun_tI7is_trueIxEEENSC_INSD_IbEEEENSA_11use_defaultESO_EENS0_5tupleIJNSA_16discard_iteratorISO_EES6_EEENSQ_IJSG_SG_EEES6_PlJS6_EEE10hipError_tPvRmT3_T4_T5_T6_T7_T9_mT8_P12ihipStream_tbDpT10_ENKUlT_T0_E_clISt17integral_constantIbLb0EES1F_EEDaS1A_S1B_EUlS1A_E_NS1_11comp_targetILNS1_3genE9ELNS1_11target_archE1100ELNS1_3gpuE3ELNS1_3repE0EEENS1_30default_config_static_selectorELNS0_4arch9wavefront6targetE0EEEvT1_: ; @_ZN7rocprim17ROCPRIM_400000_NS6detail17trampoline_kernelINS0_14default_configENS1_25partition_config_selectorILNS1_17partition_subalgoE5ExNS0_10empty_typeEbEEZZNS1_14partition_implILS5_5ELb0ES3_mN6thrust23THRUST_200600_302600_NS6detail15normal_iteratorINSA_10device_ptrIxEEEEPS6_NSA_18transform_iteratorINSB_9not_fun_tI7is_trueIxEEENSC_INSD_IbEEEENSA_11use_defaultESO_EENS0_5tupleIJNSA_16discard_iteratorISO_EES6_EEENSQ_IJSG_SG_EEES6_PlJS6_EEE10hipError_tPvRmT3_T4_T5_T6_T7_T9_mT8_P12ihipStream_tbDpT10_ENKUlT_T0_E_clISt17integral_constantIbLb0EES1F_EEDaS1A_S1B_EUlS1A_E_NS1_11comp_targetILNS1_3genE9ELNS1_11target_archE1100ELNS1_3gpuE3ELNS1_3repE0EEENS1_30default_config_static_selectorELNS0_4arch9wavefront6targetE0EEEvT1_
; %bb.0:
	.section	.rodata,"a",@progbits
	.p2align	6, 0x0
	.amdhsa_kernel _ZN7rocprim17ROCPRIM_400000_NS6detail17trampoline_kernelINS0_14default_configENS1_25partition_config_selectorILNS1_17partition_subalgoE5ExNS0_10empty_typeEbEEZZNS1_14partition_implILS5_5ELb0ES3_mN6thrust23THRUST_200600_302600_NS6detail15normal_iteratorINSA_10device_ptrIxEEEEPS6_NSA_18transform_iteratorINSB_9not_fun_tI7is_trueIxEEENSC_INSD_IbEEEENSA_11use_defaultESO_EENS0_5tupleIJNSA_16discard_iteratorISO_EES6_EEENSQ_IJSG_SG_EEES6_PlJS6_EEE10hipError_tPvRmT3_T4_T5_T6_T7_T9_mT8_P12ihipStream_tbDpT10_ENKUlT_T0_E_clISt17integral_constantIbLb0EES1F_EEDaS1A_S1B_EUlS1A_E_NS1_11comp_targetILNS1_3genE9ELNS1_11target_archE1100ELNS1_3gpuE3ELNS1_3repE0EEENS1_30default_config_static_selectorELNS0_4arch9wavefront6targetE0EEEvT1_
		.amdhsa_group_segment_fixed_size 0
		.amdhsa_private_segment_fixed_size 0
		.amdhsa_kernarg_size 128
		.amdhsa_user_sgpr_count 2
		.amdhsa_user_sgpr_dispatch_ptr 0
		.amdhsa_user_sgpr_queue_ptr 0
		.amdhsa_user_sgpr_kernarg_segment_ptr 1
		.amdhsa_user_sgpr_dispatch_id 0
		.amdhsa_user_sgpr_private_segment_size 0
		.amdhsa_wavefront_size32 1
		.amdhsa_uses_dynamic_stack 0
		.amdhsa_enable_private_segment 0
		.amdhsa_system_sgpr_workgroup_id_x 1
		.amdhsa_system_sgpr_workgroup_id_y 0
		.amdhsa_system_sgpr_workgroup_id_z 0
		.amdhsa_system_sgpr_workgroup_info 0
		.amdhsa_system_vgpr_workitem_id 0
		.amdhsa_next_free_vgpr 1
		.amdhsa_next_free_sgpr 1
		.amdhsa_reserve_vcc 0
		.amdhsa_float_round_mode_32 0
		.amdhsa_float_round_mode_16_64 0
		.amdhsa_float_denorm_mode_32 3
		.amdhsa_float_denorm_mode_16_64 3
		.amdhsa_fp16_overflow 0
		.amdhsa_workgroup_processor_mode 1
		.amdhsa_memory_ordered 1
		.amdhsa_forward_progress 1
		.amdhsa_inst_pref_size 0
		.amdhsa_round_robin_scheduling 0
		.amdhsa_exception_fp_ieee_invalid_op 0
		.amdhsa_exception_fp_denorm_src 0
		.amdhsa_exception_fp_ieee_div_zero 0
		.amdhsa_exception_fp_ieee_overflow 0
		.amdhsa_exception_fp_ieee_underflow 0
		.amdhsa_exception_fp_ieee_inexact 0
		.amdhsa_exception_int_div_zero 0
	.end_amdhsa_kernel
	.section	.text._ZN7rocprim17ROCPRIM_400000_NS6detail17trampoline_kernelINS0_14default_configENS1_25partition_config_selectorILNS1_17partition_subalgoE5ExNS0_10empty_typeEbEEZZNS1_14partition_implILS5_5ELb0ES3_mN6thrust23THRUST_200600_302600_NS6detail15normal_iteratorINSA_10device_ptrIxEEEEPS6_NSA_18transform_iteratorINSB_9not_fun_tI7is_trueIxEEENSC_INSD_IbEEEENSA_11use_defaultESO_EENS0_5tupleIJNSA_16discard_iteratorISO_EES6_EEENSQ_IJSG_SG_EEES6_PlJS6_EEE10hipError_tPvRmT3_T4_T5_T6_T7_T9_mT8_P12ihipStream_tbDpT10_ENKUlT_T0_E_clISt17integral_constantIbLb0EES1F_EEDaS1A_S1B_EUlS1A_E_NS1_11comp_targetILNS1_3genE9ELNS1_11target_archE1100ELNS1_3gpuE3ELNS1_3repE0EEENS1_30default_config_static_selectorELNS0_4arch9wavefront6targetE0EEEvT1_,"axG",@progbits,_ZN7rocprim17ROCPRIM_400000_NS6detail17trampoline_kernelINS0_14default_configENS1_25partition_config_selectorILNS1_17partition_subalgoE5ExNS0_10empty_typeEbEEZZNS1_14partition_implILS5_5ELb0ES3_mN6thrust23THRUST_200600_302600_NS6detail15normal_iteratorINSA_10device_ptrIxEEEEPS6_NSA_18transform_iteratorINSB_9not_fun_tI7is_trueIxEEENSC_INSD_IbEEEENSA_11use_defaultESO_EENS0_5tupleIJNSA_16discard_iteratorISO_EES6_EEENSQ_IJSG_SG_EEES6_PlJS6_EEE10hipError_tPvRmT3_T4_T5_T6_T7_T9_mT8_P12ihipStream_tbDpT10_ENKUlT_T0_E_clISt17integral_constantIbLb0EES1F_EEDaS1A_S1B_EUlS1A_E_NS1_11comp_targetILNS1_3genE9ELNS1_11target_archE1100ELNS1_3gpuE3ELNS1_3repE0EEENS1_30default_config_static_selectorELNS0_4arch9wavefront6targetE0EEEvT1_,comdat
.Lfunc_end2755:
	.size	_ZN7rocprim17ROCPRIM_400000_NS6detail17trampoline_kernelINS0_14default_configENS1_25partition_config_selectorILNS1_17partition_subalgoE5ExNS0_10empty_typeEbEEZZNS1_14partition_implILS5_5ELb0ES3_mN6thrust23THRUST_200600_302600_NS6detail15normal_iteratorINSA_10device_ptrIxEEEEPS6_NSA_18transform_iteratorINSB_9not_fun_tI7is_trueIxEEENSC_INSD_IbEEEENSA_11use_defaultESO_EENS0_5tupleIJNSA_16discard_iteratorISO_EES6_EEENSQ_IJSG_SG_EEES6_PlJS6_EEE10hipError_tPvRmT3_T4_T5_T6_T7_T9_mT8_P12ihipStream_tbDpT10_ENKUlT_T0_E_clISt17integral_constantIbLb0EES1F_EEDaS1A_S1B_EUlS1A_E_NS1_11comp_targetILNS1_3genE9ELNS1_11target_archE1100ELNS1_3gpuE3ELNS1_3repE0EEENS1_30default_config_static_selectorELNS0_4arch9wavefront6targetE0EEEvT1_, .Lfunc_end2755-_ZN7rocprim17ROCPRIM_400000_NS6detail17trampoline_kernelINS0_14default_configENS1_25partition_config_selectorILNS1_17partition_subalgoE5ExNS0_10empty_typeEbEEZZNS1_14partition_implILS5_5ELb0ES3_mN6thrust23THRUST_200600_302600_NS6detail15normal_iteratorINSA_10device_ptrIxEEEEPS6_NSA_18transform_iteratorINSB_9not_fun_tI7is_trueIxEEENSC_INSD_IbEEEENSA_11use_defaultESO_EENS0_5tupleIJNSA_16discard_iteratorISO_EES6_EEENSQ_IJSG_SG_EEES6_PlJS6_EEE10hipError_tPvRmT3_T4_T5_T6_T7_T9_mT8_P12ihipStream_tbDpT10_ENKUlT_T0_E_clISt17integral_constantIbLb0EES1F_EEDaS1A_S1B_EUlS1A_E_NS1_11comp_targetILNS1_3genE9ELNS1_11target_archE1100ELNS1_3gpuE3ELNS1_3repE0EEENS1_30default_config_static_selectorELNS0_4arch9wavefront6targetE0EEEvT1_
                                        ; -- End function
	.set _ZN7rocprim17ROCPRIM_400000_NS6detail17trampoline_kernelINS0_14default_configENS1_25partition_config_selectorILNS1_17partition_subalgoE5ExNS0_10empty_typeEbEEZZNS1_14partition_implILS5_5ELb0ES3_mN6thrust23THRUST_200600_302600_NS6detail15normal_iteratorINSA_10device_ptrIxEEEEPS6_NSA_18transform_iteratorINSB_9not_fun_tI7is_trueIxEEENSC_INSD_IbEEEENSA_11use_defaultESO_EENS0_5tupleIJNSA_16discard_iteratorISO_EES6_EEENSQ_IJSG_SG_EEES6_PlJS6_EEE10hipError_tPvRmT3_T4_T5_T6_T7_T9_mT8_P12ihipStream_tbDpT10_ENKUlT_T0_E_clISt17integral_constantIbLb0EES1F_EEDaS1A_S1B_EUlS1A_E_NS1_11comp_targetILNS1_3genE9ELNS1_11target_archE1100ELNS1_3gpuE3ELNS1_3repE0EEENS1_30default_config_static_selectorELNS0_4arch9wavefront6targetE0EEEvT1_.num_vgpr, 0
	.set _ZN7rocprim17ROCPRIM_400000_NS6detail17trampoline_kernelINS0_14default_configENS1_25partition_config_selectorILNS1_17partition_subalgoE5ExNS0_10empty_typeEbEEZZNS1_14partition_implILS5_5ELb0ES3_mN6thrust23THRUST_200600_302600_NS6detail15normal_iteratorINSA_10device_ptrIxEEEEPS6_NSA_18transform_iteratorINSB_9not_fun_tI7is_trueIxEEENSC_INSD_IbEEEENSA_11use_defaultESO_EENS0_5tupleIJNSA_16discard_iteratorISO_EES6_EEENSQ_IJSG_SG_EEES6_PlJS6_EEE10hipError_tPvRmT3_T4_T5_T6_T7_T9_mT8_P12ihipStream_tbDpT10_ENKUlT_T0_E_clISt17integral_constantIbLb0EES1F_EEDaS1A_S1B_EUlS1A_E_NS1_11comp_targetILNS1_3genE9ELNS1_11target_archE1100ELNS1_3gpuE3ELNS1_3repE0EEENS1_30default_config_static_selectorELNS0_4arch9wavefront6targetE0EEEvT1_.num_agpr, 0
	.set _ZN7rocprim17ROCPRIM_400000_NS6detail17trampoline_kernelINS0_14default_configENS1_25partition_config_selectorILNS1_17partition_subalgoE5ExNS0_10empty_typeEbEEZZNS1_14partition_implILS5_5ELb0ES3_mN6thrust23THRUST_200600_302600_NS6detail15normal_iteratorINSA_10device_ptrIxEEEEPS6_NSA_18transform_iteratorINSB_9not_fun_tI7is_trueIxEEENSC_INSD_IbEEEENSA_11use_defaultESO_EENS0_5tupleIJNSA_16discard_iteratorISO_EES6_EEENSQ_IJSG_SG_EEES6_PlJS6_EEE10hipError_tPvRmT3_T4_T5_T6_T7_T9_mT8_P12ihipStream_tbDpT10_ENKUlT_T0_E_clISt17integral_constantIbLb0EES1F_EEDaS1A_S1B_EUlS1A_E_NS1_11comp_targetILNS1_3genE9ELNS1_11target_archE1100ELNS1_3gpuE3ELNS1_3repE0EEENS1_30default_config_static_selectorELNS0_4arch9wavefront6targetE0EEEvT1_.numbered_sgpr, 0
	.set _ZN7rocprim17ROCPRIM_400000_NS6detail17trampoline_kernelINS0_14default_configENS1_25partition_config_selectorILNS1_17partition_subalgoE5ExNS0_10empty_typeEbEEZZNS1_14partition_implILS5_5ELb0ES3_mN6thrust23THRUST_200600_302600_NS6detail15normal_iteratorINSA_10device_ptrIxEEEEPS6_NSA_18transform_iteratorINSB_9not_fun_tI7is_trueIxEEENSC_INSD_IbEEEENSA_11use_defaultESO_EENS0_5tupleIJNSA_16discard_iteratorISO_EES6_EEENSQ_IJSG_SG_EEES6_PlJS6_EEE10hipError_tPvRmT3_T4_T5_T6_T7_T9_mT8_P12ihipStream_tbDpT10_ENKUlT_T0_E_clISt17integral_constantIbLb0EES1F_EEDaS1A_S1B_EUlS1A_E_NS1_11comp_targetILNS1_3genE9ELNS1_11target_archE1100ELNS1_3gpuE3ELNS1_3repE0EEENS1_30default_config_static_selectorELNS0_4arch9wavefront6targetE0EEEvT1_.num_named_barrier, 0
	.set _ZN7rocprim17ROCPRIM_400000_NS6detail17trampoline_kernelINS0_14default_configENS1_25partition_config_selectorILNS1_17partition_subalgoE5ExNS0_10empty_typeEbEEZZNS1_14partition_implILS5_5ELb0ES3_mN6thrust23THRUST_200600_302600_NS6detail15normal_iteratorINSA_10device_ptrIxEEEEPS6_NSA_18transform_iteratorINSB_9not_fun_tI7is_trueIxEEENSC_INSD_IbEEEENSA_11use_defaultESO_EENS0_5tupleIJNSA_16discard_iteratorISO_EES6_EEENSQ_IJSG_SG_EEES6_PlJS6_EEE10hipError_tPvRmT3_T4_T5_T6_T7_T9_mT8_P12ihipStream_tbDpT10_ENKUlT_T0_E_clISt17integral_constantIbLb0EES1F_EEDaS1A_S1B_EUlS1A_E_NS1_11comp_targetILNS1_3genE9ELNS1_11target_archE1100ELNS1_3gpuE3ELNS1_3repE0EEENS1_30default_config_static_selectorELNS0_4arch9wavefront6targetE0EEEvT1_.private_seg_size, 0
	.set _ZN7rocprim17ROCPRIM_400000_NS6detail17trampoline_kernelINS0_14default_configENS1_25partition_config_selectorILNS1_17partition_subalgoE5ExNS0_10empty_typeEbEEZZNS1_14partition_implILS5_5ELb0ES3_mN6thrust23THRUST_200600_302600_NS6detail15normal_iteratorINSA_10device_ptrIxEEEEPS6_NSA_18transform_iteratorINSB_9not_fun_tI7is_trueIxEEENSC_INSD_IbEEEENSA_11use_defaultESO_EENS0_5tupleIJNSA_16discard_iteratorISO_EES6_EEENSQ_IJSG_SG_EEES6_PlJS6_EEE10hipError_tPvRmT3_T4_T5_T6_T7_T9_mT8_P12ihipStream_tbDpT10_ENKUlT_T0_E_clISt17integral_constantIbLb0EES1F_EEDaS1A_S1B_EUlS1A_E_NS1_11comp_targetILNS1_3genE9ELNS1_11target_archE1100ELNS1_3gpuE3ELNS1_3repE0EEENS1_30default_config_static_selectorELNS0_4arch9wavefront6targetE0EEEvT1_.uses_vcc, 0
	.set _ZN7rocprim17ROCPRIM_400000_NS6detail17trampoline_kernelINS0_14default_configENS1_25partition_config_selectorILNS1_17partition_subalgoE5ExNS0_10empty_typeEbEEZZNS1_14partition_implILS5_5ELb0ES3_mN6thrust23THRUST_200600_302600_NS6detail15normal_iteratorINSA_10device_ptrIxEEEEPS6_NSA_18transform_iteratorINSB_9not_fun_tI7is_trueIxEEENSC_INSD_IbEEEENSA_11use_defaultESO_EENS0_5tupleIJNSA_16discard_iteratorISO_EES6_EEENSQ_IJSG_SG_EEES6_PlJS6_EEE10hipError_tPvRmT3_T4_T5_T6_T7_T9_mT8_P12ihipStream_tbDpT10_ENKUlT_T0_E_clISt17integral_constantIbLb0EES1F_EEDaS1A_S1B_EUlS1A_E_NS1_11comp_targetILNS1_3genE9ELNS1_11target_archE1100ELNS1_3gpuE3ELNS1_3repE0EEENS1_30default_config_static_selectorELNS0_4arch9wavefront6targetE0EEEvT1_.uses_flat_scratch, 0
	.set _ZN7rocprim17ROCPRIM_400000_NS6detail17trampoline_kernelINS0_14default_configENS1_25partition_config_selectorILNS1_17partition_subalgoE5ExNS0_10empty_typeEbEEZZNS1_14partition_implILS5_5ELb0ES3_mN6thrust23THRUST_200600_302600_NS6detail15normal_iteratorINSA_10device_ptrIxEEEEPS6_NSA_18transform_iteratorINSB_9not_fun_tI7is_trueIxEEENSC_INSD_IbEEEENSA_11use_defaultESO_EENS0_5tupleIJNSA_16discard_iteratorISO_EES6_EEENSQ_IJSG_SG_EEES6_PlJS6_EEE10hipError_tPvRmT3_T4_T5_T6_T7_T9_mT8_P12ihipStream_tbDpT10_ENKUlT_T0_E_clISt17integral_constantIbLb0EES1F_EEDaS1A_S1B_EUlS1A_E_NS1_11comp_targetILNS1_3genE9ELNS1_11target_archE1100ELNS1_3gpuE3ELNS1_3repE0EEENS1_30default_config_static_selectorELNS0_4arch9wavefront6targetE0EEEvT1_.has_dyn_sized_stack, 0
	.set _ZN7rocprim17ROCPRIM_400000_NS6detail17trampoline_kernelINS0_14default_configENS1_25partition_config_selectorILNS1_17partition_subalgoE5ExNS0_10empty_typeEbEEZZNS1_14partition_implILS5_5ELb0ES3_mN6thrust23THRUST_200600_302600_NS6detail15normal_iteratorINSA_10device_ptrIxEEEEPS6_NSA_18transform_iteratorINSB_9not_fun_tI7is_trueIxEEENSC_INSD_IbEEEENSA_11use_defaultESO_EENS0_5tupleIJNSA_16discard_iteratorISO_EES6_EEENSQ_IJSG_SG_EEES6_PlJS6_EEE10hipError_tPvRmT3_T4_T5_T6_T7_T9_mT8_P12ihipStream_tbDpT10_ENKUlT_T0_E_clISt17integral_constantIbLb0EES1F_EEDaS1A_S1B_EUlS1A_E_NS1_11comp_targetILNS1_3genE9ELNS1_11target_archE1100ELNS1_3gpuE3ELNS1_3repE0EEENS1_30default_config_static_selectorELNS0_4arch9wavefront6targetE0EEEvT1_.has_recursion, 0
	.set _ZN7rocprim17ROCPRIM_400000_NS6detail17trampoline_kernelINS0_14default_configENS1_25partition_config_selectorILNS1_17partition_subalgoE5ExNS0_10empty_typeEbEEZZNS1_14partition_implILS5_5ELb0ES3_mN6thrust23THRUST_200600_302600_NS6detail15normal_iteratorINSA_10device_ptrIxEEEEPS6_NSA_18transform_iteratorINSB_9not_fun_tI7is_trueIxEEENSC_INSD_IbEEEENSA_11use_defaultESO_EENS0_5tupleIJNSA_16discard_iteratorISO_EES6_EEENSQ_IJSG_SG_EEES6_PlJS6_EEE10hipError_tPvRmT3_T4_T5_T6_T7_T9_mT8_P12ihipStream_tbDpT10_ENKUlT_T0_E_clISt17integral_constantIbLb0EES1F_EEDaS1A_S1B_EUlS1A_E_NS1_11comp_targetILNS1_3genE9ELNS1_11target_archE1100ELNS1_3gpuE3ELNS1_3repE0EEENS1_30default_config_static_selectorELNS0_4arch9wavefront6targetE0EEEvT1_.has_indirect_call, 0
	.section	.AMDGPU.csdata,"",@progbits
; Kernel info:
; codeLenInByte = 0
; TotalNumSgprs: 0
; NumVgprs: 0
; ScratchSize: 0
; MemoryBound: 0
; FloatMode: 240
; IeeeMode: 1
; LDSByteSize: 0 bytes/workgroup (compile time only)
; SGPRBlocks: 0
; VGPRBlocks: 0
; NumSGPRsForWavesPerEU: 1
; NumVGPRsForWavesPerEU: 1
; Occupancy: 16
; WaveLimiterHint : 0
; COMPUTE_PGM_RSRC2:SCRATCH_EN: 0
; COMPUTE_PGM_RSRC2:USER_SGPR: 2
; COMPUTE_PGM_RSRC2:TRAP_HANDLER: 0
; COMPUTE_PGM_RSRC2:TGID_X_EN: 1
; COMPUTE_PGM_RSRC2:TGID_Y_EN: 0
; COMPUTE_PGM_RSRC2:TGID_Z_EN: 0
; COMPUTE_PGM_RSRC2:TIDIG_COMP_CNT: 0
	.section	.text._ZN7rocprim17ROCPRIM_400000_NS6detail17trampoline_kernelINS0_14default_configENS1_25partition_config_selectorILNS1_17partition_subalgoE5ExNS0_10empty_typeEbEEZZNS1_14partition_implILS5_5ELb0ES3_mN6thrust23THRUST_200600_302600_NS6detail15normal_iteratorINSA_10device_ptrIxEEEEPS6_NSA_18transform_iteratorINSB_9not_fun_tI7is_trueIxEEENSC_INSD_IbEEEENSA_11use_defaultESO_EENS0_5tupleIJNSA_16discard_iteratorISO_EES6_EEENSQ_IJSG_SG_EEES6_PlJS6_EEE10hipError_tPvRmT3_T4_T5_T6_T7_T9_mT8_P12ihipStream_tbDpT10_ENKUlT_T0_E_clISt17integral_constantIbLb0EES1F_EEDaS1A_S1B_EUlS1A_E_NS1_11comp_targetILNS1_3genE8ELNS1_11target_archE1030ELNS1_3gpuE2ELNS1_3repE0EEENS1_30default_config_static_selectorELNS0_4arch9wavefront6targetE0EEEvT1_,"axG",@progbits,_ZN7rocprim17ROCPRIM_400000_NS6detail17trampoline_kernelINS0_14default_configENS1_25partition_config_selectorILNS1_17partition_subalgoE5ExNS0_10empty_typeEbEEZZNS1_14partition_implILS5_5ELb0ES3_mN6thrust23THRUST_200600_302600_NS6detail15normal_iteratorINSA_10device_ptrIxEEEEPS6_NSA_18transform_iteratorINSB_9not_fun_tI7is_trueIxEEENSC_INSD_IbEEEENSA_11use_defaultESO_EENS0_5tupleIJNSA_16discard_iteratorISO_EES6_EEENSQ_IJSG_SG_EEES6_PlJS6_EEE10hipError_tPvRmT3_T4_T5_T6_T7_T9_mT8_P12ihipStream_tbDpT10_ENKUlT_T0_E_clISt17integral_constantIbLb0EES1F_EEDaS1A_S1B_EUlS1A_E_NS1_11comp_targetILNS1_3genE8ELNS1_11target_archE1030ELNS1_3gpuE2ELNS1_3repE0EEENS1_30default_config_static_selectorELNS0_4arch9wavefront6targetE0EEEvT1_,comdat
	.protected	_ZN7rocprim17ROCPRIM_400000_NS6detail17trampoline_kernelINS0_14default_configENS1_25partition_config_selectorILNS1_17partition_subalgoE5ExNS0_10empty_typeEbEEZZNS1_14partition_implILS5_5ELb0ES3_mN6thrust23THRUST_200600_302600_NS6detail15normal_iteratorINSA_10device_ptrIxEEEEPS6_NSA_18transform_iteratorINSB_9not_fun_tI7is_trueIxEEENSC_INSD_IbEEEENSA_11use_defaultESO_EENS0_5tupleIJNSA_16discard_iteratorISO_EES6_EEENSQ_IJSG_SG_EEES6_PlJS6_EEE10hipError_tPvRmT3_T4_T5_T6_T7_T9_mT8_P12ihipStream_tbDpT10_ENKUlT_T0_E_clISt17integral_constantIbLb0EES1F_EEDaS1A_S1B_EUlS1A_E_NS1_11comp_targetILNS1_3genE8ELNS1_11target_archE1030ELNS1_3gpuE2ELNS1_3repE0EEENS1_30default_config_static_selectorELNS0_4arch9wavefront6targetE0EEEvT1_ ; -- Begin function _ZN7rocprim17ROCPRIM_400000_NS6detail17trampoline_kernelINS0_14default_configENS1_25partition_config_selectorILNS1_17partition_subalgoE5ExNS0_10empty_typeEbEEZZNS1_14partition_implILS5_5ELb0ES3_mN6thrust23THRUST_200600_302600_NS6detail15normal_iteratorINSA_10device_ptrIxEEEEPS6_NSA_18transform_iteratorINSB_9not_fun_tI7is_trueIxEEENSC_INSD_IbEEEENSA_11use_defaultESO_EENS0_5tupleIJNSA_16discard_iteratorISO_EES6_EEENSQ_IJSG_SG_EEES6_PlJS6_EEE10hipError_tPvRmT3_T4_T5_T6_T7_T9_mT8_P12ihipStream_tbDpT10_ENKUlT_T0_E_clISt17integral_constantIbLb0EES1F_EEDaS1A_S1B_EUlS1A_E_NS1_11comp_targetILNS1_3genE8ELNS1_11target_archE1030ELNS1_3gpuE2ELNS1_3repE0EEENS1_30default_config_static_selectorELNS0_4arch9wavefront6targetE0EEEvT1_
	.globl	_ZN7rocprim17ROCPRIM_400000_NS6detail17trampoline_kernelINS0_14default_configENS1_25partition_config_selectorILNS1_17partition_subalgoE5ExNS0_10empty_typeEbEEZZNS1_14partition_implILS5_5ELb0ES3_mN6thrust23THRUST_200600_302600_NS6detail15normal_iteratorINSA_10device_ptrIxEEEEPS6_NSA_18transform_iteratorINSB_9not_fun_tI7is_trueIxEEENSC_INSD_IbEEEENSA_11use_defaultESO_EENS0_5tupleIJNSA_16discard_iteratorISO_EES6_EEENSQ_IJSG_SG_EEES6_PlJS6_EEE10hipError_tPvRmT3_T4_T5_T6_T7_T9_mT8_P12ihipStream_tbDpT10_ENKUlT_T0_E_clISt17integral_constantIbLb0EES1F_EEDaS1A_S1B_EUlS1A_E_NS1_11comp_targetILNS1_3genE8ELNS1_11target_archE1030ELNS1_3gpuE2ELNS1_3repE0EEENS1_30default_config_static_selectorELNS0_4arch9wavefront6targetE0EEEvT1_
	.p2align	8
	.type	_ZN7rocprim17ROCPRIM_400000_NS6detail17trampoline_kernelINS0_14default_configENS1_25partition_config_selectorILNS1_17partition_subalgoE5ExNS0_10empty_typeEbEEZZNS1_14partition_implILS5_5ELb0ES3_mN6thrust23THRUST_200600_302600_NS6detail15normal_iteratorINSA_10device_ptrIxEEEEPS6_NSA_18transform_iteratorINSB_9not_fun_tI7is_trueIxEEENSC_INSD_IbEEEENSA_11use_defaultESO_EENS0_5tupleIJNSA_16discard_iteratorISO_EES6_EEENSQ_IJSG_SG_EEES6_PlJS6_EEE10hipError_tPvRmT3_T4_T5_T6_T7_T9_mT8_P12ihipStream_tbDpT10_ENKUlT_T0_E_clISt17integral_constantIbLb0EES1F_EEDaS1A_S1B_EUlS1A_E_NS1_11comp_targetILNS1_3genE8ELNS1_11target_archE1030ELNS1_3gpuE2ELNS1_3repE0EEENS1_30default_config_static_selectorELNS0_4arch9wavefront6targetE0EEEvT1_,@function
_ZN7rocprim17ROCPRIM_400000_NS6detail17trampoline_kernelINS0_14default_configENS1_25partition_config_selectorILNS1_17partition_subalgoE5ExNS0_10empty_typeEbEEZZNS1_14partition_implILS5_5ELb0ES3_mN6thrust23THRUST_200600_302600_NS6detail15normal_iteratorINSA_10device_ptrIxEEEEPS6_NSA_18transform_iteratorINSB_9not_fun_tI7is_trueIxEEENSC_INSD_IbEEEENSA_11use_defaultESO_EENS0_5tupleIJNSA_16discard_iteratorISO_EES6_EEENSQ_IJSG_SG_EEES6_PlJS6_EEE10hipError_tPvRmT3_T4_T5_T6_T7_T9_mT8_P12ihipStream_tbDpT10_ENKUlT_T0_E_clISt17integral_constantIbLb0EES1F_EEDaS1A_S1B_EUlS1A_E_NS1_11comp_targetILNS1_3genE8ELNS1_11target_archE1030ELNS1_3gpuE2ELNS1_3repE0EEENS1_30default_config_static_selectorELNS0_4arch9wavefront6targetE0EEEvT1_: ; @_ZN7rocprim17ROCPRIM_400000_NS6detail17trampoline_kernelINS0_14default_configENS1_25partition_config_selectorILNS1_17partition_subalgoE5ExNS0_10empty_typeEbEEZZNS1_14partition_implILS5_5ELb0ES3_mN6thrust23THRUST_200600_302600_NS6detail15normal_iteratorINSA_10device_ptrIxEEEEPS6_NSA_18transform_iteratorINSB_9not_fun_tI7is_trueIxEEENSC_INSD_IbEEEENSA_11use_defaultESO_EENS0_5tupleIJNSA_16discard_iteratorISO_EES6_EEENSQ_IJSG_SG_EEES6_PlJS6_EEE10hipError_tPvRmT3_T4_T5_T6_T7_T9_mT8_P12ihipStream_tbDpT10_ENKUlT_T0_E_clISt17integral_constantIbLb0EES1F_EEDaS1A_S1B_EUlS1A_E_NS1_11comp_targetILNS1_3genE8ELNS1_11target_archE1030ELNS1_3gpuE2ELNS1_3repE0EEENS1_30default_config_static_selectorELNS0_4arch9wavefront6targetE0EEEvT1_
; %bb.0:
	.section	.rodata,"a",@progbits
	.p2align	6, 0x0
	.amdhsa_kernel _ZN7rocprim17ROCPRIM_400000_NS6detail17trampoline_kernelINS0_14default_configENS1_25partition_config_selectorILNS1_17partition_subalgoE5ExNS0_10empty_typeEbEEZZNS1_14partition_implILS5_5ELb0ES3_mN6thrust23THRUST_200600_302600_NS6detail15normal_iteratorINSA_10device_ptrIxEEEEPS6_NSA_18transform_iteratorINSB_9not_fun_tI7is_trueIxEEENSC_INSD_IbEEEENSA_11use_defaultESO_EENS0_5tupleIJNSA_16discard_iteratorISO_EES6_EEENSQ_IJSG_SG_EEES6_PlJS6_EEE10hipError_tPvRmT3_T4_T5_T6_T7_T9_mT8_P12ihipStream_tbDpT10_ENKUlT_T0_E_clISt17integral_constantIbLb0EES1F_EEDaS1A_S1B_EUlS1A_E_NS1_11comp_targetILNS1_3genE8ELNS1_11target_archE1030ELNS1_3gpuE2ELNS1_3repE0EEENS1_30default_config_static_selectorELNS0_4arch9wavefront6targetE0EEEvT1_
		.amdhsa_group_segment_fixed_size 0
		.amdhsa_private_segment_fixed_size 0
		.amdhsa_kernarg_size 128
		.amdhsa_user_sgpr_count 2
		.amdhsa_user_sgpr_dispatch_ptr 0
		.amdhsa_user_sgpr_queue_ptr 0
		.amdhsa_user_sgpr_kernarg_segment_ptr 1
		.amdhsa_user_sgpr_dispatch_id 0
		.amdhsa_user_sgpr_private_segment_size 0
		.amdhsa_wavefront_size32 1
		.amdhsa_uses_dynamic_stack 0
		.amdhsa_enable_private_segment 0
		.amdhsa_system_sgpr_workgroup_id_x 1
		.amdhsa_system_sgpr_workgroup_id_y 0
		.amdhsa_system_sgpr_workgroup_id_z 0
		.amdhsa_system_sgpr_workgroup_info 0
		.amdhsa_system_vgpr_workitem_id 0
		.amdhsa_next_free_vgpr 1
		.amdhsa_next_free_sgpr 1
		.amdhsa_reserve_vcc 0
		.amdhsa_float_round_mode_32 0
		.amdhsa_float_round_mode_16_64 0
		.amdhsa_float_denorm_mode_32 3
		.amdhsa_float_denorm_mode_16_64 3
		.amdhsa_fp16_overflow 0
		.amdhsa_workgroup_processor_mode 1
		.amdhsa_memory_ordered 1
		.amdhsa_forward_progress 1
		.amdhsa_inst_pref_size 0
		.amdhsa_round_robin_scheduling 0
		.amdhsa_exception_fp_ieee_invalid_op 0
		.amdhsa_exception_fp_denorm_src 0
		.amdhsa_exception_fp_ieee_div_zero 0
		.amdhsa_exception_fp_ieee_overflow 0
		.amdhsa_exception_fp_ieee_underflow 0
		.amdhsa_exception_fp_ieee_inexact 0
		.amdhsa_exception_int_div_zero 0
	.end_amdhsa_kernel
	.section	.text._ZN7rocprim17ROCPRIM_400000_NS6detail17trampoline_kernelINS0_14default_configENS1_25partition_config_selectorILNS1_17partition_subalgoE5ExNS0_10empty_typeEbEEZZNS1_14partition_implILS5_5ELb0ES3_mN6thrust23THRUST_200600_302600_NS6detail15normal_iteratorINSA_10device_ptrIxEEEEPS6_NSA_18transform_iteratorINSB_9not_fun_tI7is_trueIxEEENSC_INSD_IbEEEENSA_11use_defaultESO_EENS0_5tupleIJNSA_16discard_iteratorISO_EES6_EEENSQ_IJSG_SG_EEES6_PlJS6_EEE10hipError_tPvRmT3_T4_T5_T6_T7_T9_mT8_P12ihipStream_tbDpT10_ENKUlT_T0_E_clISt17integral_constantIbLb0EES1F_EEDaS1A_S1B_EUlS1A_E_NS1_11comp_targetILNS1_3genE8ELNS1_11target_archE1030ELNS1_3gpuE2ELNS1_3repE0EEENS1_30default_config_static_selectorELNS0_4arch9wavefront6targetE0EEEvT1_,"axG",@progbits,_ZN7rocprim17ROCPRIM_400000_NS6detail17trampoline_kernelINS0_14default_configENS1_25partition_config_selectorILNS1_17partition_subalgoE5ExNS0_10empty_typeEbEEZZNS1_14partition_implILS5_5ELb0ES3_mN6thrust23THRUST_200600_302600_NS6detail15normal_iteratorINSA_10device_ptrIxEEEEPS6_NSA_18transform_iteratorINSB_9not_fun_tI7is_trueIxEEENSC_INSD_IbEEEENSA_11use_defaultESO_EENS0_5tupleIJNSA_16discard_iteratorISO_EES6_EEENSQ_IJSG_SG_EEES6_PlJS6_EEE10hipError_tPvRmT3_T4_T5_T6_T7_T9_mT8_P12ihipStream_tbDpT10_ENKUlT_T0_E_clISt17integral_constantIbLb0EES1F_EEDaS1A_S1B_EUlS1A_E_NS1_11comp_targetILNS1_3genE8ELNS1_11target_archE1030ELNS1_3gpuE2ELNS1_3repE0EEENS1_30default_config_static_selectorELNS0_4arch9wavefront6targetE0EEEvT1_,comdat
.Lfunc_end2756:
	.size	_ZN7rocprim17ROCPRIM_400000_NS6detail17trampoline_kernelINS0_14default_configENS1_25partition_config_selectorILNS1_17partition_subalgoE5ExNS0_10empty_typeEbEEZZNS1_14partition_implILS5_5ELb0ES3_mN6thrust23THRUST_200600_302600_NS6detail15normal_iteratorINSA_10device_ptrIxEEEEPS6_NSA_18transform_iteratorINSB_9not_fun_tI7is_trueIxEEENSC_INSD_IbEEEENSA_11use_defaultESO_EENS0_5tupleIJNSA_16discard_iteratorISO_EES6_EEENSQ_IJSG_SG_EEES6_PlJS6_EEE10hipError_tPvRmT3_T4_T5_T6_T7_T9_mT8_P12ihipStream_tbDpT10_ENKUlT_T0_E_clISt17integral_constantIbLb0EES1F_EEDaS1A_S1B_EUlS1A_E_NS1_11comp_targetILNS1_3genE8ELNS1_11target_archE1030ELNS1_3gpuE2ELNS1_3repE0EEENS1_30default_config_static_selectorELNS0_4arch9wavefront6targetE0EEEvT1_, .Lfunc_end2756-_ZN7rocprim17ROCPRIM_400000_NS6detail17trampoline_kernelINS0_14default_configENS1_25partition_config_selectorILNS1_17partition_subalgoE5ExNS0_10empty_typeEbEEZZNS1_14partition_implILS5_5ELb0ES3_mN6thrust23THRUST_200600_302600_NS6detail15normal_iteratorINSA_10device_ptrIxEEEEPS6_NSA_18transform_iteratorINSB_9not_fun_tI7is_trueIxEEENSC_INSD_IbEEEENSA_11use_defaultESO_EENS0_5tupleIJNSA_16discard_iteratorISO_EES6_EEENSQ_IJSG_SG_EEES6_PlJS6_EEE10hipError_tPvRmT3_T4_T5_T6_T7_T9_mT8_P12ihipStream_tbDpT10_ENKUlT_T0_E_clISt17integral_constantIbLb0EES1F_EEDaS1A_S1B_EUlS1A_E_NS1_11comp_targetILNS1_3genE8ELNS1_11target_archE1030ELNS1_3gpuE2ELNS1_3repE0EEENS1_30default_config_static_selectorELNS0_4arch9wavefront6targetE0EEEvT1_
                                        ; -- End function
	.set _ZN7rocprim17ROCPRIM_400000_NS6detail17trampoline_kernelINS0_14default_configENS1_25partition_config_selectorILNS1_17partition_subalgoE5ExNS0_10empty_typeEbEEZZNS1_14partition_implILS5_5ELb0ES3_mN6thrust23THRUST_200600_302600_NS6detail15normal_iteratorINSA_10device_ptrIxEEEEPS6_NSA_18transform_iteratorINSB_9not_fun_tI7is_trueIxEEENSC_INSD_IbEEEENSA_11use_defaultESO_EENS0_5tupleIJNSA_16discard_iteratorISO_EES6_EEENSQ_IJSG_SG_EEES6_PlJS6_EEE10hipError_tPvRmT3_T4_T5_T6_T7_T9_mT8_P12ihipStream_tbDpT10_ENKUlT_T0_E_clISt17integral_constantIbLb0EES1F_EEDaS1A_S1B_EUlS1A_E_NS1_11comp_targetILNS1_3genE8ELNS1_11target_archE1030ELNS1_3gpuE2ELNS1_3repE0EEENS1_30default_config_static_selectorELNS0_4arch9wavefront6targetE0EEEvT1_.num_vgpr, 0
	.set _ZN7rocprim17ROCPRIM_400000_NS6detail17trampoline_kernelINS0_14default_configENS1_25partition_config_selectorILNS1_17partition_subalgoE5ExNS0_10empty_typeEbEEZZNS1_14partition_implILS5_5ELb0ES3_mN6thrust23THRUST_200600_302600_NS6detail15normal_iteratorINSA_10device_ptrIxEEEEPS6_NSA_18transform_iteratorINSB_9not_fun_tI7is_trueIxEEENSC_INSD_IbEEEENSA_11use_defaultESO_EENS0_5tupleIJNSA_16discard_iteratorISO_EES6_EEENSQ_IJSG_SG_EEES6_PlJS6_EEE10hipError_tPvRmT3_T4_T5_T6_T7_T9_mT8_P12ihipStream_tbDpT10_ENKUlT_T0_E_clISt17integral_constantIbLb0EES1F_EEDaS1A_S1B_EUlS1A_E_NS1_11comp_targetILNS1_3genE8ELNS1_11target_archE1030ELNS1_3gpuE2ELNS1_3repE0EEENS1_30default_config_static_selectorELNS0_4arch9wavefront6targetE0EEEvT1_.num_agpr, 0
	.set _ZN7rocprim17ROCPRIM_400000_NS6detail17trampoline_kernelINS0_14default_configENS1_25partition_config_selectorILNS1_17partition_subalgoE5ExNS0_10empty_typeEbEEZZNS1_14partition_implILS5_5ELb0ES3_mN6thrust23THRUST_200600_302600_NS6detail15normal_iteratorINSA_10device_ptrIxEEEEPS6_NSA_18transform_iteratorINSB_9not_fun_tI7is_trueIxEEENSC_INSD_IbEEEENSA_11use_defaultESO_EENS0_5tupleIJNSA_16discard_iteratorISO_EES6_EEENSQ_IJSG_SG_EEES6_PlJS6_EEE10hipError_tPvRmT3_T4_T5_T6_T7_T9_mT8_P12ihipStream_tbDpT10_ENKUlT_T0_E_clISt17integral_constantIbLb0EES1F_EEDaS1A_S1B_EUlS1A_E_NS1_11comp_targetILNS1_3genE8ELNS1_11target_archE1030ELNS1_3gpuE2ELNS1_3repE0EEENS1_30default_config_static_selectorELNS0_4arch9wavefront6targetE0EEEvT1_.numbered_sgpr, 0
	.set _ZN7rocprim17ROCPRIM_400000_NS6detail17trampoline_kernelINS0_14default_configENS1_25partition_config_selectorILNS1_17partition_subalgoE5ExNS0_10empty_typeEbEEZZNS1_14partition_implILS5_5ELb0ES3_mN6thrust23THRUST_200600_302600_NS6detail15normal_iteratorINSA_10device_ptrIxEEEEPS6_NSA_18transform_iteratorINSB_9not_fun_tI7is_trueIxEEENSC_INSD_IbEEEENSA_11use_defaultESO_EENS0_5tupleIJNSA_16discard_iteratorISO_EES6_EEENSQ_IJSG_SG_EEES6_PlJS6_EEE10hipError_tPvRmT3_T4_T5_T6_T7_T9_mT8_P12ihipStream_tbDpT10_ENKUlT_T0_E_clISt17integral_constantIbLb0EES1F_EEDaS1A_S1B_EUlS1A_E_NS1_11comp_targetILNS1_3genE8ELNS1_11target_archE1030ELNS1_3gpuE2ELNS1_3repE0EEENS1_30default_config_static_selectorELNS0_4arch9wavefront6targetE0EEEvT1_.num_named_barrier, 0
	.set _ZN7rocprim17ROCPRIM_400000_NS6detail17trampoline_kernelINS0_14default_configENS1_25partition_config_selectorILNS1_17partition_subalgoE5ExNS0_10empty_typeEbEEZZNS1_14partition_implILS5_5ELb0ES3_mN6thrust23THRUST_200600_302600_NS6detail15normal_iteratorINSA_10device_ptrIxEEEEPS6_NSA_18transform_iteratorINSB_9not_fun_tI7is_trueIxEEENSC_INSD_IbEEEENSA_11use_defaultESO_EENS0_5tupleIJNSA_16discard_iteratorISO_EES6_EEENSQ_IJSG_SG_EEES6_PlJS6_EEE10hipError_tPvRmT3_T4_T5_T6_T7_T9_mT8_P12ihipStream_tbDpT10_ENKUlT_T0_E_clISt17integral_constantIbLb0EES1F_EEDaS1A_S1B_EUlS1A_E_NS1_11comp_targetILNS1_3genE8ELNS1_11target_archE1030ELNS1_3gpuE2ELNS1_3repE0EEENS1_30default_config_static_selectorELNS0_4arch9wavefront6targetE0EEEvT1_.private_seg_size, 0
	.set _ZN7rocprim17ROCPRIM_400000_NS6detail17trampoline_kernelINS0_14default_configENS1_25partition_config_selectorILNS1_17partition_subalgoE5ExNS0_10empty_typeEbEEZZNS1_14partition_implILS5_5ELb0ES3_mN6thrust23THRUST_200600_302600_NS6detail15normal_iteratorINSA_10device_ptrIxEEEEPS6_NSA_18transform_iteratorINSB_9not_fun_tI7is_trueIxEEENSC_INSD_IbEEEENSA_11use_defaultESO_EENS0_5tupleIJNSA_16discard_iteratorISO_EES6_EEENSQ_IJSG_SG_EEES6_PlJS6_EEE10hipError_tPvRmT3_T4_T5_T6_T7_T9_mT8_P12ihipStream_tbDpT10_ENKUlT_T0_E_clISt17integral_constantIbLb0EES1F_EEDaS1A_S1B_EUlS1A_E_NS1_11comp_targetILNS1_3genE8ELNS1_11target_archE1030ELNS1_3gpuE2ELNS1_3repE0EEENS1_30default_config_static_selectorELNS0_4arch9wavefront6targetE0EEEvT1_.uses_vcc, 0
	.set _ZN7rocprim17ROCPRIM_400000_NS6detail17trampoline_kernelINS0_14default_configENS1_25partition_config_selectorILNS1_17partition_subalgoE5ExNS0_10empty_typeEbEEZZNS1_14partition_implILS5_5ELb0ES3_mN6thrust23THRUST_200600_302600_NS6detail15normal_iteratorINSA_10device_ptrIxEEEEPS6_NSA_18transform_iteratorINSB_9not_fun_tI7is_trueIxEEENSC_INSD_IbEEEENSA_11use_defaultESO_EENS0_5tupleIJNSA_16discard_iteratorISO_EES6_EEENSQ_IJSG_SG_EEES6_PlJS6_EEE10hipError_tPvRmT3_T4_T5_T6_T7_T9_mT8_P12ihipStream_tbDpT10_ENKUlT_T0_E_clISt17integral_constantIbLb0EES1F_EEDaS1A_S1B_EUlS1A_E_NS1_11comp_targetILNS1_3genE8ELNS1_11target_archE1030ELNS1_3gpuE2ELNS1_3repE0EEENS1_30default_config_static_selectorELNS0_4arch9wavefront6targetE0EEEvT1_.uses_flat_scratch, 0
	.set _ZN7rocprim17ROCPRIM_400000_NS6detail17trampoline_kernelINS0_14default_configENS1_25partition_config_selectorILNS1_17partition_subalgoE5ExNS0_10empty_typeEbEEZZNS1_14partition_implILS5_5ELb0ES3_mN6thrust23THRUST_200600_302600_NS6detail15normal_iteratorINSA_10device_ptrIxEEEEPS6_NSA_18transform_iteratorINSB_9not_fun_tI7is_trueIxEEENSC_INSD_IbEEEENSA_11use_defaultESO_EENS0_5tupleIJNSA_16discard_iteratorISO_EES6_EEENSQ_IJSG_SG_EEES6_PlJS6_EEE10hipError_tPvRmT3_T4_T5_T6_T7_T9_mT8_P12ihipStream_tbDpT10_ENKUlT_T0_E_clISt17integral_constantIbLb0EES1F_EEDaS1A_S1B_EUlS1A_E_NS1_11comp_targetILNS1_3genE8ELNS1_11target_archE1030ELNS1_3gpuE2ELNS1_3repE0EEENS1_30default_config_static_selectorELNS0_4arch9wavefront6targetE0EEEvT1_.has_dyn_sized_stack, 0
	.set _ZN7rocprim17ROCPRIM_400000_NS6detail17trampoline_kernelINS0_14default_configENS1_25partition_config_selectorILNS1_17partition_subalgoE5ExNS0_10empty_typeEbEEZZNS1_14partition_implILS5_5ELb0ES3_mN6thrust23THRUST_200600_302600_NS6detail15normal_iteratorINSA_10device_ptrIxEEEEPS6_NSA_18transform_iteratorINSB_9not_fun_tI7is_trueIxEEENSC_INSD_IbEEEENSA_11use_defaultESO_EENS0_5tupleIJNSA_16discard_iteratorISO_EES6_EEENSQ_IJSG_SG_EEES6_PlJS6_EEE10hipError_tPvRmT3_T4_T5_T6_T7_T9_mT8_P12ihipStream_tbDpT10_ENKUlT_T0_E_clISt17integral_constantIbLb0EES1F_EEDaS1A_S1B_EUlS1A_E_NS1_11comp_targetILNS1_3genE8ELNS1_11target_archE1030ELNS1_3gpuE2ELNS1_3repE0EEENS1_30default_config_static_selectorELNS0_4arch9wavefront6targetE0EEEvT1_.has_recursion, 0
	.set _ZN7rocprim17ROCPRIM_400000_NS6detail17trampoline_kernelINS0_14default_configENS1_25partition_config_selectorILNS1_17partition_subalgoE5ExNS0_10empty_typeEbEEZZNS1_14partition_implILS5_5ELb0ES3_mN6thrust23THRUST_200600_302600_NS6detail15normal_iteratorINSA_10device_ptrIxEEEEPS6_NSA_18transform_iteratorINSB_9not_fun_tI7is_trueIxEEENSC_INSD_IbEEEENSA_11use_defaultESO_EENS0_5tupleIJNSA_16discard_iteratorISO_EES6_EEENSQ_IJSG_SG_EEES6_PlJS6_EEE10hipError_tPvRmT3_T4_T5_T6_T7_T9_mT8_P12ihipStream_tbDpT10_ENKUlT_T0_E_clISt17integral_constantIbLb0EES1F_EEDaS1A_S1B_EUlS1A_E_NS1_11comp_targetILNS1_3genE8ELNS1_11target_archE1030ELNS1_3gpuE2ELNS1_3repE0EEENS1_30default_config_static_selectorELNS0_4arch9wavefront6targetE0EEEvT1_.has_indirect_call, 0
	.section	.AMDGPU.csdata,"",@progbits
; Kernel info:
; codeLenInByte = 0
; TotalNumSgprs: 0
; NumVgprs: 0
; ScratchSize: 0
; MemoryBound: 0
; FloatMode: 240
; IeeeMode: 1
; LDSByteSize: 0 bytes/workgroup (compile time only)
; SGPRBlocks: 0
; VGPRBlocks: 0
; NumSGPRsForWavesPerEU: 1
; NumVGPRsForWavesPerEU: 1
; Occupancy: 16
; WaveLimiterHint : 0
; COMPUTE_PGM_RSRC2:SCRATCH_EN: 0
; COMPUTE_PGM_RSRC2:USER_SGPR: 2
; COMPUTE_PGM_RSRC2:TRAP_HANDLER: 0
; COMPUTE_PGM_RSRC2:TGID_X_EN: 1
; COMPUTE_PGM_RSRC2:TGID_Y_EN: 0
; COMPUTE_PGM_RSRC2:TGID_Z_EN: 0
; COMPUTE_PGM_RSRC2:TIDIG_COMP_CNT: 0
	.section	.text._ZN7rocprim17ROCPRIM_400000_NS6detail17trampoline_kernelINS0_14default_configENS1_25partition_config_selectorILNS1_17partition_subalgoE5ExNS0_10empty_typeEbEEZZNS1_14partition_implILS5_5ELb0ES3_mN6thrust23THRUST_200600_302600_NS6detail15normal_iteratorINSA_10device_ptrIxEEEEPS6_NSA_18transform_iteratorINSB_9not_fun_tI7is_trueIxEEENSC_INSD_IbEEEENSA_11use_defaultESO_EENS0_5tupleIJNSA_16discard_iteratorISO_EES6_EEENSQ_IJSG_SG_EEES6_PlJS6_EEE10hipError_tPvRmT3_T4_T5_T6_T7_T9_mT8_P12ihipStream_tbDpT10_ENKUlT_T0_E_clISt17integral_constantIbLb1EES1F_EEDaS1A_S1B_EUlS1A_E_NS1_11comp_targetILNS1_3genE0ELNS1_11target_archE4294967295ELNS1_3gpuE0ELNS1_3repE0EEENS1_30default_config_static_selectorELNS0_4arch9wavefront6targetE0EEEvT1_,"axG",@progbits,_ZN7rocprim17ROCPRIM_400000_NS6detail17trampoline_kernelINS0_14default_configENS1_25partition_config_selectorILNS1_17partition_subalgoE5ExNS0_10empty_typeEbEEZZNS1_14partition_implILS5_5ELb0ES3_mN6thrust23THRUST_200600_302600_NS6detail15normal_iteratorINSA_10device_ptrIxEEEEPS6_NSA_18transform_iteratorINSB_9not_fun_tI7is_trueIxEEENSC_INSD_IbEEEENSA_11use_defaultESO_EENS0_5tupleIJNSA_16discard_iteratorISO_EES6_EEENSQ_IJSG_SG_EEES6_PlJS6_EEE10hipError_tPvRmT3_T4_T5_T6_T7_T9_mT8_P12ihipStream_tbDpT10_ENKUlT_T0_E_clISt17integral_constantIbLb1EES1F_EEDaS1A_S1B_EUlS1A_E_NS1_11comp_targetILNS1_3genE0ELNS1_11target_archE4294967295ELNS1_3gpuE0ELNS1_3repE0EEENS1_30default_config_static_selectorELNS0_4arch9wavefront6targetE0EEEvT1_,comdat
	.protected	_ZN7rocprim17ROCPRIM_400000_NS6detail17trampoline_kernelINS0_14default_configENS1_25partition_config_selectorILNS1_17partition_subalgoE5ExNS0_10empty_typeEbEEZZNS1_14partition_implILS5_5ELb0ES3_mN6thrust23THRUST_200600_302600_NS6detail15normal_iteratorINSA_10device_ptrIxEEEEPS6_NSA_18transform_iteratorINSB_9not_fun_tI7is_trueIxEEENSC_INSD_IbEEEENSA_11use_defaultESO_EENS0_5tupleIJNSA_16discard_iteratorISO_EES6_EEENSQ_IJSG_SG_EEES6_PlJS6_EEE10hipError_tPvRmT3_T4_T5_T6_T7_T9_mT8_P12ihipStream_tbDpT10_ENKUlT_T0_E_clISt17integral_constantIbLb1EES1F_EEDaS1A_S1B_EUlS1A_E_NS1_11comp_targetILNS1_3genE0ELNS1_11target_archE4294967295ELNS1_3gpuE0ELNS1_3repE0EEENS1_30default_config_static_selectorELNS0_4arch9wavefront6targetE0EEEvT1_ ; -- Begin function _ZN7rocprim17ROCPRIM_400000_NS6detail17trampoline_kernelINS0_14default_configENS1_25partition_config_selectorILNS1_17partition_subalgoE5ExNS0_10empty_typeEbEEZZNS1_14partition_implILS5_5ELb0ES3_mN6thrust23THRUST_200600_302600_NS6detail15normal_iteratorINSA_10device_ptrIxEEEEPS6_NSA_18transform_iteratorINSB_9not_fun_tI7is_trueIxEEENSC_INSD_IbEEEENSA_11use_defaultESO_EENS0_5tupleIJNSA_16discard_iteratorISO_EES6_EEENSQ_IJSG_SG_EEES6_PlJS6_EEE10hipError_tPvRmT3_T4_T5_T6_T7_T9_mT8_P12ihipStream_tbDpT10_ENKUlT_T0_E_clISt17integral_constantIbLb1EES1F_EEDaS1A_S1B_EUlS1A_E_NS1_11comp_targetILNS1_3genE0ELNS1_11target_archE4294967295ELNS1_3gpuE0ELNS1_3repE0EEENS1_30default_config_static_selectorELNS0_4arch9wavefront6targetE0EEEvT1_
	.globl	_ZN7rocprim17ROCPRIM_400000_NS6detail17trampoline_kernelINS0_14default_configENS1_25partition_config_selectorILNS1_17partition_subalgoE5ExNS0_10empty_typeEbEEZZNS1_14partition_implILS5_5ELb0ES3_mN6thrust23THRUST_200600_302600_NS6detail15normal_iteratorINSA_10device_ptrIxEEEEPS6_NSA_18transform_iteratorINSB_9not_fun_tI7is_trueIxEEENSC_INSD_IbEEEENSA_11use_defaultESO_EENS0_5tupleIJNSA_16discard_iteratorISO_EES6_EEENSQ_IJSG_SG_EEES6_PlJS6_EEE10hipError_tPvRmT3_T4_T5_T6_T7_T9_mT8_P12ihipStream_tbDpT10_ENKUlT_T0_E_clISt17integral_constantIbLb1EES1F_EEDaS1A_S1B_EUlS1A_E_NS1_11comp_targetILNS1_3genE0ELNS1_11target_archE4294967295ELNS1_3gpuE0ELNS1_3repE0EEENS1_30default_config_static_selectorELNS0_4arch9wavefront6targetE0EEEvT1_
	.p2align	8
	.type	_ZN7rocprim17ROCPRIM_400000_NS6detail17trampoline_kernelINS0_14default_configENS1_25partition_config_selectorILNS1_17partition_subalgoE5ExNS0_10empty_typeEbEEZZNS1_14partition_implILS5_5ELb0ES3_mN6thrust23THRUST_200600_302600_NS6detail15normal_iteratorINSA_10device_ptrIxEEEEPS6_NSA_18transform_iteratorINSB_9not_fun_tI7is_trueIxEEENSC_INSD_IbEEEENSA_11use_defaultESO_EENS0_5tupleIJNSA_16discard_iteratorISO_EES6_EEENSQ_IJSG_SG_EEES6_PlJS6_EEE10hipError_tPvRmT3_T4_T5_T6_T7_T9_mT8_P12ihipStream_tbDpT10_ENKUlT_T0_E_clISt17integral_constantIbLb1EES1F_EEDaS1A_S1B_EUlS1A_E_NS1_11comp_targetILNS1_3genE0ELNS1_11target_archE4294967295ELNS1_3gpuE0ELNS1_3repE0EEENS1_30default_config_static_selectorELNS0_4arch9wavefront6targetE0EEEvT1_,@function
_ZN7rocprim17ROCPRIM_400000_NS6detail17trampoline_kernelINS0_14default_configENS1_25partition_config_selectorILNS1_17partition_subalgoE5ExNS0_10empty_typeEbEEZZNS1_14partition_implILS5_5ELb0ES3_mN6thrust23THRUST_200600_302600_NS6detail15normal_iteratorINSA_10device_ptrIxEEEEPS6_NSA_18transform_iteratorINSB_9not_fun_tI7is_trueIxEEENSC_INSD_IbEEEENSA_11use_defaultESO_EENS0_5tupleIJNSA_16discard_iteratorISO_EES6_EEENSQ_IJSG_SG_EEES6_PlJS6_EEE10hipError_tPvRmT3_T4_T5_T6_T7_T9_mT8_P12ihipStream_tbDpT10_ENKUlT_T0_E_clISt17integral_constantIbLb1EES1F_EEDaS1A_S1B_EUlS1A_E_NS1_11comp_targetILNS1_3genE0ELNS1_11target_archE4294967295ELNS1_3gpuE0ELNS1_3repE0EEENS1_30default_config_static_selectorELNS0_4arch9wavefront6targetE0EEEvT1_: ; @_ZN7rocprim17ROCPRIM_400000_NS6detail17trampoline_kernelINS0_14default_configENS1_25partition_config_selectorILNS1_17partition_subalgoE5ExNS0_10empty_typeEbEEZZNS1_14partition_implILS5_5ELb0ES3_mN6thrust23THRUST_200600_302600_NS6detail15normal_iteratorINSA_10device_ptrIxEEEEPS6_NSA_18transform_iteratorINSB_9not_fun_tI7is_trueIxEEENSC_INSD_IbEEEENSA_11use_defaultESO_EENS0_5tupleIJNSA_16discard_iteratorISO_EES6_EEENSQ_IJSG_SG_EEES6_PlJS6_EEE10hipError_tPvRmT3_T4_T5_T6_T7_T9_mT8_P12ihipStream_tbDpT10_ENKUlT_T0_E_clISt17integral_constantIbLb1EES1F_EEDaS1A_S1B_EUlS1A_E_NS1_11comp_targetILNS1_3genE0ELNS1_11target_archE4294967295ELNS1_3gpuE0ELNS1_3repE0EEENS1_30default_config_static_selectorELNS0_4arch9wavefront6targetE0EEEvT1_
; %bb.0:
	.section	.rodata,"a",@progbits
	.p2align	6, 0x0
	.amdhsa_kernel _ZN7rocprim17ROCPRIM_400000_NS6detail17trampoline_kernelINS0_14default_configENS1_25partition_config_selectorILNS1_17partition_subalgoE5ExNS0_10empty_typeEbEEZZNS1_14partition_implILS5_5ELb0ES3_mN6thrust23THRUST_200600_302600_NS6detail15normal_iteratorINSA_10device_ptrIxEEEEPS6_NSA_18transform_iteratorINSB_9not_fun_tI7is_trueIxEEENSC_INSD_IbEEEENSA_11use_defaultESO_EENS0_5tupleIJNSA_16discard_iteratorISO_EES6_EEENSQ_IJSG_SG_EEES6_PlJS6_EEE10hipError_tPvRmT3_T4_T5_T6_T7_T9_mT8_P12ihipStream_tbDpT10_ENKUlT_T0_E_clISt17integral_constantIbLb1EES1F_EEDaS1A_S1B_EUlS1A_E_NS1_11comp_targetILNS1_3genE0ELNS1_11target_archE4294967295ELNS1_3gpuE0ELNS1_3repE0EEENS1_30default_config_static_selectorELNS0_4arch9wavefront6targetE0EEEvT1_
		.amdhsa_group_segment_fixed_size 0
		.amdhsa_private_segment_fixed_size 0
		.amdhsa_kernarg_size 144
		.amdhsa_user_sgpr_count 2
		.amdhsa_user_sgpr_dispatch_ptr 0
		.amdhsa_user_sgpr_queue_ptr 0
		.amdhsa_user_sgpr_kernarg_segment_ptr 1
		.amdhsa_user_sgpr_dispatch_id 0
		.amdhsa_user_sgpr_private_segment_size 0
		.amdhsa_wavefront_size32 1
		.amdhsa_uses_dynamic_stack 0
		.amdhsa_enable_private_segment 0
		.amdhsa_system_sgpr_workgroup_id_x 1
		.amdhsa_system_sgpr_workgroup_id_y 0
		.amdhsa_system_sgpr_workgroup_id_z 0
		.amdhsa_system_sgpr_workgroup_info 0
		.amdhsa_system_vgpr_workitem_id 0
		.amdhsa_next_free_vgpr 1
		.amdhsa_next_free_sgpr 1
		.amdhsa_reserve_vcc 0
		.amdhsa_float_round_mode_32 0
		.amdhsa_float_round_mode_16_64 0
		.amdhsa_float_denorm_mode_32 3
		.amdhsa_float_denorm_mode_16_64 3
		.amdhsa_fp16_overflow 0
		.amdhsa_workgroup_processor_mode 1
		.amdhsa_memory_ordered 1
		.amdhsa_forward_progress 1
		.amdhsa_inst_pref_size 0
		.amdhsa_round_robin_scheduling 0
		.amdhsa_exception_fp_ieee_invalid_op 0
		.amdhsa_exception_fp_denorm_src 0
		.amdhsa_exception_fp_ieee_div_zero 0
		.amdhsa_exception_fp_ieee_overflow 0
		.amdhsa_exception_fp_ieee_underflow 0
		.amdhsa_exception_fp_ieee_inexact 0
		.amdhsa_exception_int_div_zero 0
	.end_amdhsa_kernel
	.section	.text._ZN7rocprim17ROCPRIM_400000_NS6detail17trampoline_kernelINS0_14default_configENS1_25partition_config_selectorILNS1_17partition_subalgoE5ExNS0_10empty_typeEbEEZZNS1_14partition_implILS5_5ELb0ES3_mN6thrust23THRUST_200600_302600_NS6detail15normal_iteratorINSA_10device_ptrIxEEEEPS6_NSA_18transform_iteratorINSB_9not_fun_tI7is_trueIxEEENSC_INSD_IbEEEENSA_11use_defaultESO_EENS0_5tupleIJNSA_16discard_iteratorISO_EES6_EEENSQ_IJSG_SG_EEES6_PlJS6_EEE10hipError_tPvRmT3_T4_T5_T6_T7_T9_mT8_P12ihipStream_tbDpT10_ENKUlT_T0_E_clISt17integral_constantIbLb1EES1F_EEDaS1A_S1B_EUlS1A_E_NS1_11comp_targetILNS1_3genE0ELNS1_11target_archE4294967295ELNS1_3gpuE0ELNS1_3repE0EEENS1_30default_config_static_selectorELNS0_4arch9wavefront6targetE0EEEvT1_,"axG",@progbits,_ZN7rocprim17ROCPRIM_400000_NS6detail17trampoline_kernelINS0_14default_configENS1_25partition_config_selectorILNS1_17partition_subalgoE5ExNS0_10empty_typeEbEEZZNS1_14partition_implILS5_5ELb0ES3_mN6thrust23THRUST_200600_302600_NS6detail15normal_iteratorINSA_10device_ptrIxEEEEPS6_NSA_18transform_iteratorINSB_9not_fun_tI7is_trueIxEEENSC_INSD_IbEEEENSA_11use_defaultESO_EENS0_5tupleIJNSA_16discard_iteratorISO_EES6_EEENSQ_IJSG_SG_EEES6_PlJS6_EEE10hipError_tPvRmT3_T4_T5_T6_T7_T9_mT8_P12ihipStream_tbDpT10_ENKUlT_T0_E_clISt17integral_constantIbLb1EES1F_EEDaS1A_S1B_EUlS1A_E_NS1_11comp_targetILNS1_3genE0ELNS1_11target_archE4294967295ELNS1_3gpuE0ELNS1_3repE0EEENS1_30default_config_static_selectorELNS0_4arch9wavefront6targetE0EEEvT1_,comdat
.Lfunc_end2757:
	.size	_ZN7rocprim17ROCPRIM_400000_NS6detail17trampoline_kernelINS0_14default_configENS1_25partition_config_selectorILNS1_17partition_subalgoE5ExNS0_10empty_typeEbEEZZNS1_14partition_implILS5_5ELb0ES3_mN6thrust23THRUST_200600_302600_NS6detail15normal_iteratorINSA_10device_ptrIxEEEEPS6_NSA_18transform_iteratorINSB_9not_fun_tI7is_trueIxEEENSC_INSD_IbEEEENSA_11use_defaultESO_EENS0_5tupleIJNSA_16discard_iteratorISO_EES6_EEENSQ_IJSG_SG_EEES6_PlJS6_EEE10hipError_tPvRmT3_T4_T5_T6_T7_T9_mT8_P12ihipStream_tbDpT10_ENKUlT_T0_E_clISt17integral_constantIbLb1EES1F_EEDaS1A_S1B_EUlS1A_E_NS1_11comp_targetILNS1_3genE0ELNS1_11target_archE4294967295ELNS1_3gpuE0ELNS1_3repE0EEENS1_30default_config_static_selectorELNS0_4arch9wavefront6targetE0EEEvT1_, .Lfunc_end2757-_ZN7rocprim17ROCPRIM_400000_NS6detail17trampoline_kernelINS0_14default_configENS1_25partition_config_selectorILNS1_17partition_subalgoE5ExNS0_10empty_typeEbEEZZNS1_14partition_implILS5_5ELb0ES3_mN6thrust23THRUST_200600_302600_NS6detail15normal_iteratorINSA_10device_ptrIxEEEEPS6_NSA_18transform_iteratorINSB_9not_fun_tI7is_trueIxEEENSC_INSD_IbEEEENSA_11use_defaultESO_EENS0_5tupleIJNSA_16discard_iteratorISO_EES6_EEENSQ_IJSG_SG_EEES6_PlJS6_EEE10hipError_tPvRmT3_T4_T5_T6_T7_T9_mT8_P12ihipStream_tbDpT10_ENKUlT_T0_E_clISt17integral_constantIbLb1EES1F_EEDaS1A_S1B_EUlS1A_E_NS1_11comp_targetILNS1_3genE0ELNS1_11target_archE4294967295ELNS1_3gpuE0ELNS1_3repE0EEENS1_30default_config_static_selectorELNS0_4arch9wavefront6targetE0EEEvT1_
                                        ; -- End function
	.set _ZN7rocprim17ROCPRIM_400000_NS6detail17trampoline_kernelINS0_14default_configENS1_25partition_config_selectorILNS1_17partition_subalgoE5ExNS0_10empty_typeEbEEZZNS1_14partition_implILS5_5ELb0ES3_mN6thrust23THRUST_200600_302600_NS6detail15normal_iteratorINSA_10device_ptrIxEEEEPS6_NSA_18transform_iteratorINSB_9not_fun_tI7is_trueIxEEENSC_INSD_IbEEEENSA_11use_defaultESO_EENS0_5tupleIJNSA_16discard_iteratorISO_EES6_EEENSQ_IJSG_SG_EEES6_PlJS6_EEE10hipError_tPvRmT3_T4_T5_T6_T7_T9_mT8_P12ihipStream_tbDpT10_ENKUlT_T0_E_clISt17integral_constantIbLb1EES1F_EEDaS1A_S1B_EUlS1A_E_NS1_11comp_targetILNS1_3genE0ELNS1_11target_archE4294967295ELNS1_3gpuE0ELNS1_3repE0EEENS1_30default_config_static_selectorELNS0_4arch9wavefront6targetE0EEEvT1_.num_vgpr, 0
	.set _ZN7rocprim17ROCPRIM_400000_NS6detail17trampoline_kernelINS0_14default_configENS1_25partition_config_selectorILNS1_17partition_subalgoE5ExNS0_10empty_typeEbEEZZNS1_14partition_implILS5_5ELb0ES3_mN6thrust23THRUST_200600_302600_NS6detail15normal_iteratorINSA_10device_ptrIxEEEEPS6_NSA_18transform_iteratorINSB_9not_fun_tI7is_trueIxEEENSC_INSD_IbEEEENSA_11use_defaultESO_EENS0_5tupleIJNSA_16discard_iteratorISO_EES6_EEENSQ_IJSG_SG_EEES6_PlJS6_EEE10hipError_tPvRmT3_T4_T5_T6_T7_T9_mT8_P12ihipStream_tbDpT10_ENKUlT_T0_E_clISt17integral_constantIbLb1EES1F_EEDaS1A_S1B_EUlS1A_E_NS1_11comp_targetILNS1_3genE0ELNS1_11target_archE4294967295ELNS1_3gpuE0ELNS1_3repE0EEENS1_30default_config_static_selectorELNS0_4arch9wavefront6targetE0EEEvT1_.num_agpr, 0
	.set _ZN7rocprim17ROCPRIM_400000_NS6detail17trampoline_kernelINS0_14default_configENS1_25partition_config_selectorILNS1_17partition_subalgoE5ExNS0_10empty_typeEbEEZZNS1_14partition_implILS5_5ELb0ES3_mN6thrust23THRUST_200600_302600_NS6detail15normal_iteratorINSA_10device_ptrIxEEEEPS6_NSA_18transform_iteratorINSB_9not_fun_tI7is_trueIxEEENSC_INSD_IbEEEENSA_11use_defaultESO_EENS0_5tupleIJNSA_16discard_iteratorISO_EES6_EEENSQ_IJSG_SG_EEES6_PlJS6_EEE10hipError_tPvRmT3_T4_T5_T6_T7_T9_mT8_P12ihipStream_tbDpT10_ENKUlT_T0_E_clISt17integral_constantIbLb1EES1F_EEDaS1A_S1B_EUlS1A_E_NS1_11comp_targetILNS1_3genE0ELNS1_11target_archE4294967295ELNS1_3gpuE0ELNS1_3repE0EEENS1_30default_config_static_selectorELNS0_4arch9wavefront6targetE0EEEvT1_.numbered_sgpr, 0
	.set _ZN7rocprim17ROCPRIM_400000_NS6detail17trampoline_kernelINS0_14default_configENS1_25partition_config_selectorILNS1_17partition_subalgoE5ExNS0_10empty_typeEbEEZZNS1_14partition_implILS5_5ELb0ES3_mN6thrust23THRUST_200600_302600_NS6detail15normal_iteratorINSA_10device_ptrIxEEEEPS6_NSA_18transform_iteratorINSB_9not_fun_tI7is_trueIxEEENSC_INSD_IbEEEENSA_11use_defaultESO_EENS0_5tupleIJNSA_16discard_iteratorISO_EES6_EEENSQ_IJSG_SG_EEES6_PlJS6_EEE10hipError_tPvRmT3_T4_T5_T6_T7_T9_mT8_P12ihipStream_tbDpT10_ENKUlT_T0_E_clISt17integral_constantIbLb1EES1F_EEDaS1A_S1B_EUlS1A_E_NS1_11comp_targetILNS1_3genE0ELNS1_11target_archE4294967295ELNS1_3gpuE0ELNS1_3repE0EEENS1_30default_config_static_selectorELNS0_4arch9wavefront6targetE0EEEvT1_.num_named_barrier, 0
	.set _ZN7rocprim17ROCPRIM_400000_NS6detail17trampoline_kernelINS0_14default_configENS1_25partition_config_selectorILNS1_17partition_subalgoE5ExNS0_10empty_typeEbEEZZNS1_14partition_implILS5_5ELb0ES3_mN6thrust23THRUST_200600_302600_NS6detail15normal_iteratorINSA_10device_ptrIxEEEEPS6_NSA_18transform_iteratorINSB_9not_fun_tI7is_trueIxEEENSC_INSD_IbEEEENSA_11use_defaultESO_EENS0_5tupleIJNSA_16discard_iteratorISO_EES6_EEENSQ_IJSG_SG_EEES6_PlJS6_EEE10hipError_tPvRmT3_T4_T5_T6_T7_T9_mT8_P12ihipStream_tbDpT10_ENKUlT_T0_E_clISt17integral_constantIbLb1EES1F_EEDaS1A_S1B_EUlS1A_E_NS1_11comp_targetILNS1_3genE0ELNS1_11target_archE4294967295ELNS1_3gpuE0ELNS1_3repE0EEENS1_30default_config_static_selectorELNS0_4arch9wavefront6targetE0EEEvT1_.private_seg_size, 0
	.set _ZN7rocprim17ROCPRIM_400000_NS6detail17trampoline_kernelINS0_14default_configENS1_25partition_config_selectorILNS1_17partition_subalgoE5ExNS0_10empty_typeEbEEZZNS1_14partition_implILS5_5ELb0ES3_mN6thrust23THRUST_200600_302600_NS6detail15normal_iteratorINSA_10device_ptrIxEEEEPS6_NSA_18transform_iteratorINSB_9not_fun_tI7is_trueIxEEENSC_INSD_IbEEEENSA_11use_defaultESO_EENS0_5tupleIJNSA_16discard_iteratorISO_EES6_EEENSQ_IJSG_SG_EEES6_PlJS6_EEE10hipError_tPvRmT3_T4_T5_T6_T7_T9_mT8_P12ihipStream_tbDpT10_ENKUlT_T0_E_clISt17integral_constantIbLb1EES1F_EEDaS1A_S1B_EUlS1A_E_NS1_11comp_targetILNS1_3genE0ELNS1_11target_archE4294967295ELNS1_3gpuE0ELNS1_3repE0EEENS1_30default_config_static_selectorELNS0_4arch9wavefront6targetE0EEEvT1_.uses_vcc, 0
	.set _ZN7rocprim17ROCPRIM_400000_NS6detail17trampoline_kernelINS0_14default_configENS1_25partition_config_selectorILNS1_17partition_subalgoE5ExNS0_10empty_typeEbEEZZNS1_14partition_implILS5_5ELb0ES3_mN6thrust23THRUST_200600_302600_NS6detail15normal_iteratorINSA_10device_ptrIxEEEEPS6_NSA_18transform_iteratorINSB_9not_fun_tI7is_trueIxEEENSC_INSD_IbEEEENSA_11use_defaultESO_EENS0_5tupleIJNSA_16discard_iteratorISO_EES6_EEENSQ_IJSG_SG_EEES6_PlJS6_EEE10hipError_tPvRmT3_T4_T5_T6_T7_T9_mT8_P12ihipStream_tbDpT10_ENKUlT_T0_E_clISt17integral_constantIbLb1EES1F_EEDaS1A_S1B_EUlS1A_E_NS1_11comp_targetILNS1_3genE0ELNS1_11target_archE4294967295ELNS1_3gpuE0ELNS1_3repE0EEENS1_30default_config_static_selectorELNS0_4arch9wavefront6targetE0EEEvT1_.uses_flat_scratch, 0
	.set _ZN7rocprim17ROCPRIM_400000_NS6detail17trampoline_kernelINS0_14default_configENS1_25partition_config_selectorILNS1_17partition_subalgoE5ExNS0_10empty_typeEbEEZZNS1_14partition_implILS5_5ELb0ES3_mN6thrust23THRUST_200600_302600_NS6detail15normal_iteratorINSA_10device_ptrIxEEEEPS6_NSA_18transform_iteratorINSB_9not_fun_tI7is_trueIxEEENSC_INSD_IbEEEENSA_11use_defaultESO_EENS0_5tupleIJNSA_16discard_iteratorISO_EES6_EEENSQ_IJSG_SG_EEES6_PlJS6_EEE10hipError_tPvRmT3_T4_T5_T6_T7_T9_mT8_P12ihipStream_tbDpT10_ENKUlT_T0_E_clISt17integral_constantIbLb1EES1F_EEDaS1A_S1B_EUlS1A_E_NS1_11comp_targetILNS1_3genE0ELNS1_11target_archE4294967295ELNS1_3gpuE0ELNS1_3repE0EEENS1_30default_config_static_selectorELNS0_4arch9wavefront6targetE0EEEvT1_.has_dyn_sized_stack, 0
	.set _ZN7rocprim17ROCPRIM_400000_NS6detail17trampoline_kernelINS0_14default_configENS1_25partition_config_selectorILNS1_17partition_subalgoE5ExNS0_10empty_typeEbEEZZNS1_14partition_implILS5_5ELb0ES3_mN6thrust23THRUST_200600_302600_NS6detail15normal_iteratorINSA_10device_ptrIxEEEEPS6_NSA_18transform_iteratorINSB_9not_fun_tI7is_trueIxEEENSC_INSD_IbEEEENSA_11use_defaultESO_EENS0_5tupleIJNSA_16discard_iteratorISO_EES6_EEENSQ_IJSG_SG_EEES6_PlJS6_EEE10hipError_tPvRmT3_T4_T5_T6_T7_T9_mT8_P12ihipStream_tbDpT10_ENKUlT_T0_E_clISt17integral_constantIbLb1EES1F_EEDaS1A_S1B_EUlS1A_E_NS1_11comp_targetILNS1_3genE0ELNS1_11target_archE4294967295ELNS1_3gpuE0ELNS1_3repE0EEENS1_30default_config_static_selectorELNS0_4arch9wavefront6targetE0EEEvT1_.has_recursion, 0
	.set _ZN7rocprim17ROCPRIM_400000_NS6detail17trampoline_kernelINS0_14default_configENS1_25partition_config_selectorILNS1_17partition_subalgoE5ExNS0_10empty_typeEbEEZZNS1_14partition_implILS5_5ELb0ES3_mN6thrust23THRUST_200600_302600_NS6detail15normal_iteratorINSA_10device_ptrIxEEEEPS6_NSA_18transform_iteratorINSB_9not_fun_tI7is_trueIxEEENSC_INSD_IbEEEENSA_11use_defaultESO_EENS0_5tupleIJNSA_16discard_iteratorISO_EES6_EEENSQ_IJSG_SG_EEES6_PlJS6_EEE10hipError_tPvRmT3_T4_T5_T6_T7_T9_mT8_P12ihipStream_tbDpT10_ENKUlT_T0_E_clISt17integral_constantIbLb1EES1F_EEDaS1A_S1B_EUlS1A_E_NS1_11comp_targetILNS1_3genE0ELNS1_11target_archE4294967295ELNS1_3gpuE0ELNS1_3repE0EEENS1_30default_config_static_selectorELNS0_4arch9wavefront6targetE0EEEvT1_.has_indirect_call, 0
	.section	.AMDGPU.csdata,"",@progbits
; Kernel info:
; codeLenInByte = 0
; TotalNumSgprs: 0
; NumVgprs: 0
; ScratchSize: 0
; MemoryBound: 0
; FloatMode: 240
; IeeeMode: 1
; LDSByteSize: 0 bytes/workgroup (compile time only)
; SGPRBlocks: 0
; VGPRBlocks: 0
; NumSGPRsForWavesPerEU: 1
; NumVGPRsForWavesPerEU: 1
; Occupancy: 16
; WaveLimiterHint : 0
; COMPUTE_PGM_RSRC2:SCRATCH_EN: 0
; COMPUTE_PGM_RSRC2:USER_SGPR: 2
; COMPUTE_PGM_RSRC2:TRAP_HANDLER: 0
; COMPUTE_PGM_RSRC2:TGID_X_EN: 1
; COMPUTE_PGM_RSRC2:TGID_Y_EN: 0
; COMPUTE_PGM_RSRC2:TGID_Z_EN: 0
; COMPUTE_PGM_RSRC2:TIDIG_COMP_CNT: 0
	.section	.text._ZN7rocprim17ROCPRIM_400000_NS6detail17trampoline_kernelINS0_14default_configENS1_25partition_config_selectorILNS1_17partition_subalgoE5ExNS0_10empty_typeEbEEZZNS1_14partition_implILS5_5ELb0ES3_mN6thrust23THRUST_200600_302600_NS6detail15normal_iteratorINSA_10device_ptrIxEEEEPS6_NSA_18transform_iteratorINSB_9not_fun_tI7is_trueIxEEENSC_INSD_IbEEEENSA_11use_defaultESO_EENS0_5tupleIJNSA_16discard_iteratorISO_EES6_EEENSQ_IJSG_SG_EEES6_PlJS6_EEE10hipError_tPvRmT3_T4_T5_T6_T7_T9_mT8_P12ihipStream_tbDpT10_ENKUlT_T0_E_clISt17integral_constantIbLb1EES1F_EEDaS1A_S1B_EUlS1A_E_NS1_11comp_targetILNS1_3genE5ELNS1_11target_archE942ELNS1_3gpuE9ELNS1_3repE0EEENS1_30default_config_static_selectorELNS0_4arch9wavefront6targetE0EEEvT1_,"axG",@progbits,_ZN7rocprim17ROCPRIM_400000_NS6detail17trampoline_kernelINS0_14default_configENS1_25partition_config_selectorILNS1_17partition_subalgoE5ExNS0_10empty_typeEbEEZZNS1_14partition_implILS5_5ELb0ES3_mN6thrust23THRUST_200600_302600_NS6detail15normal_iteratorINSA_10device_ptrIxEEEEPS6_NSA_18transform_iteratorINSB_9not_fun_tI7is_trueIxEEENSC_INSD_IbEEEENSA_11use_defaultESO_EENS0_5tupleIJNSA_16discard_iteratorISO_EES6_EEENSQ_IJSG_SG_EEES6_PlJS6_EEE10hipError_tPvRmT3_T4_T5_T6_T7_T9_mT8_P12ihipStream_tbDpT10_ENKUlT_T0_E_clISt17integral_constantIbLb1EES1F_EEDaS1A_S1B_EUlS1A_E_NS1_11comp_targetILNS1_3genE5ELNS1_11target_archE942ELNS1_3gpuE9ELNS1_3repE0EEENS1_30default_config_static_selectorELNS0_4arch9wavefront6targetE0EEEvT1_,comdat
	.protected	_ZN7rocprim17ROCPRIM_400000_NS6detail17trampoline_kernelINS0_14default_configENS1_25partition_config_selectorILNS1_17partition_subalgoE5ExNS0_10empty_typeEbEEZZNS1_14partition_implILS5_5ELb0ES3_mN6thrust23THRUST_200600_302600_NS6detail15normal_iteratorINSA_10device_ptrIxEEEEPS6_NSA_18transform_iteratorINSB_9not_fun_tI7is_trueIxEEENSC_INSD_IbEEEENSA_11use_defaultESO_EENS0_5tupleIJNSA_16discard_iteratorISO_EES6_EEENSQ_IJSG_SG_EEES6_PlJS6_EEE10hipError_tPvRmT3_T4_T5_T6_T7_T9_mT8_P12ihipStream_tbDpT10_ENKUlT_T0_E_clISt17integral_constantIbLb1EES1F_EEDaS1A_S1B_EUlS1A_E_NS1_11comp_targetILNS1_3genE5ELNS1_11target_archE942ELNS1_3gpuE9ELNS1_3repE0EEENS1_30default_config_static_selectorELNS0_4arch9wavefront6targetE0EEEvT1_ ; -- Begin function _ZN7rocprim17ROCPRIM_400000_NS6detail17trampoline_kernelINS0_14default_configENS1_25partition_config_selectorILNS1_17partition_subalgoE5ExNS0_10empty_typeEbEEZZNS1_14partition_implILS5_5ELb0ES3_mN6thrust23THRUST_200600_302600_NS6detail15normal_iteratorINSA_10device_ptrIxEEEEPS6_NSA_18transform_iteratorINSB_9not_fun_tI7is_trueIxEEENSC_INSD_IbEEEENSA_11use_defaultESO_EENS0_5tupleIJNSA_16discard_iteratorISO_EES6_EEENSQ_IJSG_SG_EEES6_PlJS6_EEE10hipError_tPvRmT3_T4_T5_T6_T7_T9_mT8_P12ihipStream_tbDpT10_ENKUlT_T0_E_clISt17integral_constantIbLb1EES1F_EEDaS1A_S1B_EUlS1A_E_NS1_11comp_targetILNS1_3genE5ELNS1_11target_archE942ELNS1_3gpuE9ELNS1_3repE0EEENS1_30default_config_static_selectorELNS0_4arch9wavefront6targetE0EEEvT1_
	.globl	_ZN7rocprim17ROCPRIM_400000_NS6detail17trampoline_kernelINS0_14default_configENS1_25partition_config_selectorILNS1_17partition_subalgoE5ExNS0_10empty_typeEbEEZZNS1_14partition_implILS5_5ELb0ES3_mN6thrust23THRUST_200600_302600_NS6detail15normal_iteratorINSA_10device_ptrIxEEEEPS6_NSA_18transform_iteratorINSB_9not_fun_tI7is_trueIxEEENSC_INSD_IbEEEENSA_11use_defaultESO_EENS0_5tupleIJNSA_16discard_iteratorISO_EES6_EEENSQ_IJSG_SG_EEES6_PlJS6_EEE10hipError_tPvRmT3_T4_T5_T6_T7_T9_mT8_P12ihipStream_tbDpT10_ENKUlT_T0_E_clISt17integral_constantIbLb1EES1F_EEDaS1A_S1B_EUlS1A_E_NS1_11comp_targetILNS1_3genE5ELNS1_11target_archE942ELNS1_3gpuE9ELNS1_3repE0EEENS1_30default_config_static_selectorELNS0_4arch9wavefront6targetE0EEEvT1_
	.p2align	8
	.type	_ZN7rocprim17ROCPRIM_400000_NS6detail17trampoline_kernelINS0_14default_configENS1_25partition_config_selectorILNS1_17partition_subalgoE5ExNS0_10empty_typeEbEEZZNS1_14partition_implILS5_5ELb0ES3_mN6thrust23THRUST_200600_302600_NS6detail15normal_iteratorINSA_10device_ptrIxEEEEPS6_NSA_18transform_iteratorINSB_9not_fun_tI7is_trueIxEEENSC_INSD_IbEEEENSA_11use_defaultESO_EENS0_5tupleIJNSA_16discard_iteratorISO_EES6_EEENSQ_IJSG_SG_EEES6_PlJS6_EEE10hipError_tPvRmT3_T4_T5_T6_T7_T9_mT8_P12ihipStream_tbDpT10_ENKUlT_T0_E_clISt17integral_constantIbLb1EES1F_EEDaS1A_S1B_EUlS1A_E_NS1_11comp_targetILNS1_3genE5ELNS1_11target_archE942ELNS1_3gpuE9ELNS1_3repE0EEENS1_30default_config_static_selectorELNS0_4arch9wavefront6targetE0EEEvT1_,@function
_ZN7rocprim17ROCPRIM_400000_NS6detail17trampoline_kernelINS0_14default_configENS1_25partition_config_selectorILNS1_17partition_subalgoE5ExNS0_10empty_typeEbEEZZNS1_14partition_implILS5_5ELb0ES3_mN6thrust23THRUST_200600_302600_NS6detail15normal_iteratorINSA_10device_ptrIxEEEEPS6_NSA_18transform_iteratorINSB_9not_fun_tI7is_trueIxEEENSC_INSD_IbEEEENSA_11use_defaultESO_EENS0_5tupleIJNSA_16discard_iteratorISO_EES6_EEENSQ_IJSG_SG_EEES6_PlJS6_EEE10hipError_tPvRmT3_T4_T5_T6_T7_T9_mT8_P12ihipStream_tbDpT10_ENKUlT_T0_E_clISt17integral_constantIbLb1EES1F_EEDaS1A_S1B_EUlS1A_E_NS1_11comp_targetILNS1_3genE5ELNS1_11target_archE942ELNS1_3gpuE9ELNS1_3repE0EEENS1_30default_config_static_selectorELNS0_4arch9wavefront6targetE0EEEvT1_: ; @_ZN7rocprim17ROCPRIM_400000_NS6detail17trampoline_kernelINS0_14default_configENS1_25partition_config_selectorILNS1_17partition_subalgoE5ExNS0_10empty_typeEbEEZZNS1_14partition_implILS5_5ELb0ES3_mN6thrust23THRUST_200600_302600_NS6detail15normal_iteratorINSA_10device_ptrIxEEEEPS6_NSA_18transform_iteratorINSB_9not_fun_tI7is_trueIxEEENSC_INSD_IbEEEENSA_11use_defaultESO_EENS0_5tupleIJNSA_16discard_iteratorISO_EES6_EEENSQ_IJSG_SG_EEES6_PlJS6_EEE10hipError_tPvRmT3_T4_T5_T6_T7_T9_mT8_P12ihipStream_tbDpT10_ENKUlT_T0_E_clISt17integral_constantIbLb1EES1F_EEDaS1A_S1B_EUlS1A_E_NS1_11comp_targetILNS1_3genE5ELNS1_11target_archE942ELNS1_3gpuE9ELNS1_3repE0EEENS1_30default_config_static_selectorELNS0_4arch9wavefront6targetE0EEEvT1_
; %bb.0:
	.section	.rodata,"a",@progbits
	.p2align	6, 0x0
	.amdhsa_kernel _ZN7rocprim17ROCPRIM_400000_NS6detail17trampoline_kernelINS0_14default_configENS1_25partition_config_selectorILNS1_17partition_subalgoE5ExNS0_10empty_typeEbEEZZNS1_14partition_implILS5_5ELb0ES3_mN6thrust23THRUST_200600_302600_NS6detail15normal_iteratorINSA_10device_ptrIxEEEEPS6_NSA_18transform_iteratorINSB_9not_fun_tI7is_trueIxEEENSC_INSD_IbEEEENSA_11use_defaultESO_EENS0_5tupleIJNSA_16discard_iteratorISO_EES6_EEENSQ_IJSG_SG_EEES6_PlJS6_EEE10hipError_tPvRmT3_T4_T5_T6_T7_T9_mT8_P12ihipStream_tbDpT10_ENKUlT_T0_E_clISt17integral_constantIbLb1EES1F_EEDaS1A_S1B_EUlS1A_E_NS1_11comp_targetILNS1_3genE5ELNS1_11target_archE942ELNS1_3gpuE9ELNS1_3repE0EEENS1_30default_config_static_selectorELNS0_4arch9wavefront6targetE0EEEvT1_
		.amdhsa_group_segment_fixed_size 0
		.amdhsa_private_segment_fixed_size 0
		.amdhsa_kernarg_size 144
		.amdhsa_user_sgpr_count 2
		.amdhsa_user_sgpr_dispatch_ptr 0
		.amdhsa_user_sgpr_queue_ptr 0
		.amdhsa_user_sgpr_kernarg_segment_ptr 1
		.amdhsa_user_sgpr_dispatch_id 0
		.amdhsa_user_sgpr_private_segment_size 0
		.amdhsa_wavefront_size32 1
		.amdhsa_uses_dynamic_stack 0
		.amdhsa_enable_private_segment 0
		.amdhsa_system_sgpr_workgroup_id_x 1
		.amdhsa_system_sgpr_workgroup_id_y 0
		.amdhsa_system_sgpr_workgroup_id_z 0
		.amdhsa_system_sgpr_workgroup_info 0
		.amdhsa_system_vgpr_workitem_id 0
		.amdhsa_next_free_vgpr 1
		.amdhsa_next_free_sgpr 1
		.amdhsa_reserve_vcc 0
		.amdhsa_float_round_mode_32 0
		.amdhsa_float_round_mode_16_64 0
		.amdhsa_float_denorm_mode_32 3
		.amdhsa_float_denorm_mode_16_64 3
		.amdhsa_fp16_overflow 0
		.amdhsa_workgroup_processor_mode 1
		.amdhsa_memory_ordered 1
		.amdhsa_forward_progress 1
		.amdhsa_inst_pref_size 0
		.amdhsa_round_robin_scheduling 0
		.amdhsa_exception_fp_ieee_invalid_op 0
		.amdhsa_exception_fp_denorm_src 0
		.amdhsa_exception_fp_ieee_div_zero 0
		.amdhsa_exception_fp_ieee_overflow 0
		.amdhsa_exception_fp_ieee_underflow 0
		.amdhsa_exception_fp_ieee_inexact 0
		.amdhsa_exception_int_div_zero 0
	.end_amdhsa_kernel
	.section	.text._ZN7rocprim17ROCPRIM_400000_NS6detail17trampoline_kernelINS0_14default_configENS1_25partition_config_selectorILNS1_17partition_subalgoE5ExNS0_10empty_typeEbEEZZNS1_14partition_implILS5_5ELb0ES3_mN6thrust23THRUST_200600_302600_NS6detail15normal_iteratorINSA_10device_ptrIxEEEEPS6_NSA_18transform_iteratorINSB_9not_fun_tI7is_trueIxEEENSC_INSD_IbEEEENSA_11use_defaultESO_EENS0_5tupleIJNSA_16discard_iteratorISO_EES6_EEENSQ_IJSG_SG_EEES6_PlJS6_EEE10hipError_tPvRmT3_T4_T5_T6_T7_T9_mT8_P12ihipStream_tbDpT10_ENKUlT_T0_E_clISt17integral_constantIbLb1EES1F_EEDaS1A_S1B_EUlS1A_E_NS1_11comp_targetILNS1_3genE5ELNS1_11target_archE942ELNS1_3gpuE9ELNS1_3repE0EEENS1_30default_config_static_selectorELNS0_4arch9wavefront6targetE0EEEvT1_,"axG",@progbits,_ZN7rocprim17ROCPRIM_400000_NS6detail17trampoline_kernelINS0_14default_configENS1_25partition_config_selectorILNS1_17partition_subalgoE5ExNS0_10empty_typeEbEEZZNS1_14partition_implILS5_5ELb0ES3_mN6thrust23THRUST_200600_302600_NS6detail15normal_iteratorINSA_10device_ptrIxEEEEPS6_NSA_18transform_iteratorINSB_9not_fun_tI7is_trueIxEEENSC_INSD_IbEEEENSA_11use_defaultESO_EENS0_5tupleIJNSA_16discard_iteratorISO_EES6_EEENSQ_IJSG_SG_EEES6_PlJS6_EEE10hipError_tPvRmT3_T4_T5_T6_T7_T9_mT8_P12ihipStream_tbDpT10_ENKUlT_T0_E_clISt17integral_constantIbLb1EES1F_EEDaS1A_S1B_EUlS1A_E_NS1_11comp_targetILNS1_3genE5ELNS1_11target_archE942ELNS1_3gpuE9ELNS1_3repE0EEENS1_30default_config_static_selectorELNS0_4arch9wavefront6targetE0EEEvT1_,comdat
.Lfunc_end2758:
	.size	_ZN7rocprim17ROCPRIM_400000_NS6detail17trampoline_kernelINS0_14default_configENS1_25partition_config_selectorILNS1_17partition_subalgoE5ExNS0_10empty_typeEbEEZZNS1_14partition_implILS5_5ELb0ES3_mN6thrust23THRUST_200600_302600_NS6detail15normal_iteratorINSA_10device_ptrIxEEEEPS6_NSA_18transform_iteratorINSB_9not_fun_tI7is_trueIxEEENSC_INSD_IbEEEENSA_11use_defaultESO_EENS0_5tupleIJNSA_16discard_iteratorISO_EES6_EEENSQ_IJSG_SG_EEES6_PlJS6_EEE10hipError_tPvRmT3_T4_T5_T6_T7_T9_mT8_P12ihipStream_tbDpT10_ENKUlT_T0_E_clISt17integral_constantIbLb1EES1F_EEDaS1A_S1B_EUlS1A_E_NS1_11comp_targetILNS1_3genE5ELNS1_11target_archE942ELNS1_3gpuE9ELNS1_3repE0EEENS1_30default_config_static_selectorELNS0_4arch9wavefront6targetE0EEEvT1_, .Lfunc_end2758-_ZN7rocprim17ROCPRIM_400000_NS6detail17trampoline_kernelINS0_14default_configENS1_25partition_config_selectorILNS1_17partition_subalgoE5ExNS0_10empty_typeEbEEZZNS1_14partition_implILS5_5ELb0ES3_mN6thrust23THRUST_200600_302600_NS6detail15normal_iteratorINSA_10device_ptrIxEEEEPS6_NSA_18transform_iteratorINSB_9not_fun_tI7is_trueIxEEENSC_INSD_IbEEEENSA_11use_defaultESO_EENS0_5tupleIJNSA_16discard_iteratorISO_EES6_EEENSQ_IJSG_SG_EEES6_PlJS6_EEE10hipError_tPvRmT3_T4_T5_T6_T7_T9_mT8_P12ihipStream_tbDpT10_ENKUlT_T0_E_clISt17integral_constantIbLb1EES1F_EEDaS1A_S1B_EUlS1A_E_NS1_11comp_targetILNS1_3genE5ELNS1_11target_archE942ELNS1_3gpuE9ELNS1_3repE0EEENS1_30default_config_static_selectorELNS0_4arch9wavefront6targetE0EEEvT1_
                                        ; -- End function
	.set _ZN7rocprim17ROCPRIM_400000_NS6detail17trampoline_kernelINS0_14default_configENS1_25partition_config_selectorILNS1_17partition_subalgoE5ExNS0_10empty_typeEbEEZZNS1_14partition_implILS5_5ELb0ES3_mN6thrust23THRUST_200600_302600_NS6detail15normal_iteratorINSA_10device_ptrIxEEEEPS6_NSA_18transform_iteratorINSB_9not_fun_tI7is_trueIxEEENSC_INSD_IbEEEENSA_11use_defaultESO_EENS0_5tupleIJNSA_16discard_iteratorISO_EES6_EEENSQ_IJSG_SG_EEES6_PlJS6_EEE10hipError_tPvRmT3_T4_T5_T6_T7_T9_mT8_P12ihipStream_tbDpT10_ENKUlT_T0_E_clISt17integral_constantIbLb1EES1F_EEDaS1A_S1B_EUlS1A_E_NS1_11comp_targetILNS1_3genE5ELNS1_11target_archE942ELNS1_3gpuE9ELNS1_3repE0EEENS1_30default_config_static_selectorELNS0_4arch9wavefront6targetE0EEEvT1_.num_vgpr, 0
	.set _ZN7rocprim17ROCPRIM_400000_NS6detail17trampoline_kernelINS0_14default_configENS1_25partition_config_selectorILNS1_17partition_subalgoE5ExNS0_10empty_typeEbEEZZNS1_14partition_implILS5_5ELb0ES3_mN6thrust23THRUST_200600_302600_NS6detail15normal_iteratorINSA_10device_ptrIxEEEEPS6_NSA_18transform_iteratorINSB_9not_fun_tI7is_trueIxEEENSC_INSD_IbEEEENSA_11use_defaultESO_EENS0_5tupleIJNSA_16discard_iteratorISO_EES6_EEENSQ_IJSG_SG_EEES6_PlJS6_EEE10hipError_tPvRmT3_T4_T5_T6_T7_T9_mT8_P12ihipStream_tbDpT10_ENKUlT_T0_E_clISt17integral_constantIbLb1EES1F_EEDaS1A_S1B_EUlS1A_E_NS1_11comp_targetILNS1_3genE5ELNS1_11target_archE942ELNS1_3gpuE9ELNS1_3repE0EEENS1_30default_config_static_selectorELNS0_4arch9wavefront6targetE0EEEvT1_.num_agpr, 0
	.set _ZN7rocprim17ROCPRIM_400000_NS6detail17trampoline_kernelINS0_14default_configENS1_25partition_config_selectorILNS1_17partition_subalgoE5ExNS0_10empty_typeEbEEZZNS1_14partition_implILS5_5ELb0ES3_mN6thrust23THRUST_200600_302600_NS6detail15normal_iteratorINSA_10device_ptrIxEEEEPS6_NSA_18transform_iteratorINSB_9not_fun_tI7is_trueIxEEENSC_INSD_IbEEEENSA_11use_defaultESO_EENS0_5tupleIJNSA_16discard_iteratorISO_EES6_EEENSQ_IJSG_SG_EEES6_PlJS6_EEE10hipError_tPvRmT3_T4_T5_T6_T7_T9_mT8_P12ihipStream_tbDpT10_ENKUlT_T0_E_clISt17integral_constantIbLb1EES1F_EEDaS1A_S1B_EUlS1A_E_NS1_11comp_targetILNS1_3genE5ELNS1_11target_archE942ELNS1_3gpuE9ELNS1_3repE0EEENS1_30default_config_static_selectorELNS0_4arch9wavefront6targetE0EEEvT1_.numbered_sgpr, 0
	.set _ZN7rocprim17ROCPRIM_400000_NS6detail17trampoline_kernelINS0_14default_configENS1_25partition_config_selectorILNS1_17partition_subalgoE5ExNS0_10empty_typeEbEEZZNS1_14partition_implILS5_5ELb0ES3_mN6thrust23THRUST_200600_302600_NS6detail15normal_iteratorINSA_10device_ptrIxEEEEPS6_NSA_18transform_iteratorINSB_9not_fun_tI7is_trueIxEEENSC_INSD_IbEEEENSA_11use_defaultESO_EENS0_5tupleIJNSA_16discard_iteratorISO_EES6_EEENSQ_IJSG_SG_EEES6_PlJS6_EEE10hipError_tPvRmT3_T4_T5_T6_T7_T9_mT8_P12ihipStream_tbDpT10_ENKUlT_T0_E_clISt17integral_constantIbLb1EES1F_EEDaS1A_S1B_EUlS1A_E_NS1_11comp_targetILNS1_3genE5ELNS1_11target_archE942ELNS1_3gpuE9ELNS1_3repE0EEENS1_30default_config_static_selectorELNS0_4arch9wavefront6targetE0EEEvT1_.num_named_barrier, 0
	.set _ZN7rocprim17ROCPRIM_400000_NS6detail17trampoline_kernelINS0_14default_configENS1_25partition_config_selectorILNS1_17partition_subalgoE5ExNS0_10empty_typeEbEEZZNS1_14partition_implILS5_5ELb0ES3_mN6thrust23THRUST_200600_302600_NS6detail15normal_iteratorINSA_10device_ptrIxEEEEPS6_NSA_18transform_iteratorINSB_9not_fun_tI7is_trueIxEEENSC_INSD_IbEEEENSA_11use_defaultESO_EENS0_5tupleIJNSA_16discard_iteratorISO_EES6_EEENSQ_IJSG_SG_EEES6_PlJS6_EEE10hipError_tPvRmT3_T4_T5_T6_T7_T9_mT8_P12ihipStream_tbDpT10_ENKUlT_T0_E_clISt17integral_constantIbLb1EES1F_EEDaS1A_S1B_EUlS1A_E_NS1_11comp_targetILNS1_3genE5ELNS1_11target_archE942ELNS1_3gpuE9ELNS1_3repE0EEENS1_30default_config_static_selectorELNS0_4arch9wavefront6targetE0EEEvT1_.private_seg_size, 0
	.set _ZN7rocprim17ROCPRIM_400000_NS6detail17trampoline_kernelINS0_14default_configENS1_25partition_config_selectorILNS1_17partition_subalgoE5ExNS0_10empty_typeEbEEZZNS1_14partition_implILS5_5ELb0ES3_mN6thrust23THRUST_200600_302600_NS6detail15normal_iteratorINSA_10device_ptrIxEEEEPS6_NSA_18transform_iteratorINSB_9not_fun_tI7is_trueIxEEENSC_INSD_IbEEEENSA_11use_defaultESO_EENS0_5tupleIJNSA_16discard_iteratorISO_EES6_EEENSQ_IJSG_SG_EEES6_PlJS6_EEE10hipError_tPvRmT3_T4_T5_T6_T7_T9_mT8_P12ihipStream_tbDpT10_ENKUlT_T0_E_clISt17integral_constantIbLb1EES1F_EEDaS1A_S1B_EUlS1A_E_NS1_11comp_targetILNS1_3genE5ELNS1_11target_archE942ELNS1_3gpuE9ELNS1_3repE0EEENS1_30default_config_static_selectorELNS0_4arch9wavefront6targetE0EEEvT1_.uses_vcc, 0
	.set _ZN7rocprim17ROCPRIM_400000_NS6detail17trampoline_kernelINS0_14default_configENS1_25partition_config_selectorILNS1_17partition_subalgoE5ExNS0_10empty_typeEbEEZZNS1_14partition_implILS5_5ELb0ES3_mN6thrust23THRUST_200600_302600_NS6detail15normal_iteratorINSA_10device_ptrIxEEEEPS6_NSA_18transform_iteratorINSB_9not_fun_tI7is_trueIxEEENSC_INSD_IbEEEENSA_11use_defaultESO_EENS0_5tupleIJNSA_16discard_iteratorISO_EES6_EEENSQ_IJSG_SG_EEES6_PlJS6_EEE10hipError_tPvRmT3_T4_T5_T6_T7_T9_mT8_P12ihipStream_tbDpT10_ENKUlT_T0_E_clISt17integral_constantIbLb1EES1F_EEDaS1A_S1B_EUlS1A_E_NS1_11comp_targetILNS1_3genE5ELNS1_11target_archE942ELNS1_3gpuE9ELNS1_3repE0EEENS1_30default_config_static_selectorELNS0_4arch9wavefront6targetE0EEEvT1_.uses_flat_scratch, 0
	.set _ZN7rocprim17ROCPRIM_400000_NS6detail17trampoline_kernelINS0_14default_configENS1_25partition_config_selectorILNS1_17partition_subalgoE5ExNS0_10empty_typeEbEEZZNS1_14partition_implILS5_5ELb0ES3_mN6thrust23THRUST_200600_302600_NS6detail15normal_iteratorINSA_10device_ptrIxEEEEPS6_NSA_18transform_iteratorINSB_9not_fun_tI7is_trueIxEEENSC_INSD_IbEEEENSA_11use_defaultESO_EENS0_5tupleIJNSA_16discard_iteratorISO_EES6_EEENSQ_IJSG_SG_EEES6_PlJS6_EEE10hipError_tPvRmT3_T4_T5_T6_T7_T9_mT8_P12ihipStream_tbDpT10_ENKUlT_T0_E_clISt17integral_constantIbLb1EES1F_EEDaS1A_S1B_EUlS1A_E_NS1_11comp_targetILNS1_3genE5ELNS1_11target_archE942ELNS1_3gpuE9ELNS1_3repE0EEENS1_30default_config_static_selectorELNS0_4arch9wavefront6targetE0EEEvT1_.has_dyn_sized_stack, 0
	.set _ZN7rocprim17ROCPRIM_400000_NS6detail17trampoline_kernelINS0_14default_configENS1_25partition_config_selectorILNS1_17partition_subalgoE5ExNS0_10empty_typeEbEEZZNS1_14partition_implILS5_5ELb0ES3_mN6thrust23THRUST_200600_302600_NS6detail15normal_iteratorINSA_10device_ptrIxEEEEPS6_NSA_18transform_iteratorINSB_9not_fun_tI7is_trueIxEEENSC_INSD_IbEEEENSA_11use_defaultESO_EENS0_5tupleIJNSA_16discard_iteratorISO_EES6_EEENSQ_IJSG_SG_EEES6_PlJS6_EEE10hipError_tPvRmT3_T4_T5_T6_T7_T9_mT8_P12ihipStream_tbDpT10_ENKUlT_T0_E_clISt17integral_constantIbLb1EES1F_EEDaS1A_S1B_EUlS1A_E_NS1_11comp_targetILNS1_3genE5ELNS1_11target_archE942ELNS1_3gpuE9ELNS1_3repE0EEENS1_30default_config_static_selectorELNS0_4arch9wavefront6targetE0EEEvT1_.has_recursion, 0
	.set _ZN7rocprim17ROCPRIM_400000_NS6detail17trampoline_kernelINS0_14default_configENS1_25partition_config_selectorILNS1_17partition_subalgoE5ExNS0_10empty_typeEbEEZZNS1_14partition_implILS5_5ELb0ES3_mN6thrust23THRUST_200600_302600_NS6detail15normal_iteratorINSA_10device_ptrIxEEEEPS6_NSA_18transform_iteratorINSB_9not_fun_tI7is_trueIxEEENSC_INSD_IbEEEENSA_11use_defaultESO_EENS0_5tupleIJNSA_16discard_iteratorISO_EES6_EEENSQ_IJSG_SG_EEES6_PlJS6_EEE10hipError_tPvRmT3_T4_T5_T6_T7_T9_mT8_P12ihipStream_tbDpT10_ENKUlT_T0_E_clISt17integral_constantIbLb1EES1F_EEDaS1A_S1B_EUlS1A_E_NS1_11comp_targetILNS1_3genE5ELNS1_11target_archE942ELNS1_3gpuE9ELNS1_3repE0EEENS1_30default_config_static_selectorELNS0_4arch9wavefront6targetE0EEEvT1_.has_indirect_call, 0
	.section	.AMDGPU.csdata,"",@progbits
; Kernel info:
; codeLenInByte = 0
; TotalNumSgprs: 0
; NumVgprs: 0
; ScratchSize: 0
; MemoryBound: 0
; FloatMode: 240
; IeeeMode: 1
; LDSByteSize: 0 bytes/workgroup (compile time only)
; SGPRBlocks: 0
; VGPRBlocks: 0
; NumSGPRsForWavesPerEU: 1
; NumVGPRsForWavesPerEU: 1
; Occupancy: 16
; WaveLimiterHint : 0
; COMPUTE_PGM_RSRC2:SCRATCH_EN: 0
; COMPUTE_PGM_RSRC2:USER_SGPR: 2
; COMPUTE_PGM_RSRC2:TRAP_HANDLER: 0
; COMPUTE_PGM_RSRC2:TGID_X_EN: 1
; COMPUTE_PGM_RSRC2:TGID_Y_EN: 0
; COMPUTE_PGM_RSRC2:TGID_Z_EN: 0
; COMPUTE_PGM_RSRC2:TIDIG_COMP_CNT: 0
	.section	.text._ZN7rocprim17ROCPRIM_400000_NS6detail17trampoline_kernelINS0_14default_configENS1_25partition_config_selectorILNS1_17partition_subalgoE5ExNS0_10empty_typeEbEEZZNS1_14partition_implILS5_5ELb0ES3_mN6thrust23THRUST_200600_302600_NS6detail15normal_iteratorINSA_10device_ptrIxEEEEPS6_NSA_18transform_iteratorINSB_9not_fun_tI7is_trueIxEEENSC_INSD_IbEEEENSA_11use_defaultESO_EENS0_5tupleIJNSA_16discard_iteratorISO_EES6_EEENSQ_IJSG_SG_EEES6_PlJS6_EEE10hipError_tPvRmT3_T4_T5_T6_T7_T9_mT8_P12ihipStream_tbDpT10_ENKUlT_T0_E_clISt17integral_constantIbLb1EES1F_EEDaS1A_S1B_EUlS1A_E_NS1_11comp_targetILNS1_3genE4ELNS1_11target_archE910ELNS1_3gpuE8ELNS1_3repE0EEENS1_30default_config_static_selectorELNS0_4arch9wavefront6targetE0EEEvT1_,"axG",@progbits,_ZN7rocprim17ROCPRIM_400000_NS6detail17trampoline_kernelINS0_14default_configENS1_25partition_config_selectorILNS1_17partition_subalgoE5ExNS0_10empty_typeEbEEZZNS1_14partition_implILS5_5ELb0ES3_mN6thrust23THRUST_200600_302600_NS6detail15normal_iteratorINSA_10device_ptrIxEEEEPS6_NSA_18transform_iteratorINSB_9not_fun_tI7is_trueIxEEENSC_INSD_IbEEEENSA_11use_defaultESO_EENS0_5tupleIJNSA_16discard_iteratorISO_EES6_EEENSQ_IJSG_SG_EEES6_PlJS6_EEE10hipError_tPvRmT3_T4_T5_T6_T7_T9_mT8_P12ihipStream_tbDpT10_ENKUlT_T0_E_clISt17integral_constantIbLb1EES1F_EEDaS1A_S1B_EUlS1A_E_NS1_11comp_targetILNS1_3genE4ELNS1_11target_archE910ELNS1_3gpuE8ELNS1_3repE0EEENS1_30default_config_static_selectorELNS0_4arch9wavefront6targetE0EEEvT1_,comdat
	.protected	_ZN7rocprim17ROCPRIM_400000_NS6detail17trampoline_kernelINS0_14default_configENS1_25partition_config_selectorILNS1_17partition_subalgoE5ExNS0_10empty_typeEbEEZZNS1_14partition_implILS5_5ELb0ES3_mN6thrust23THRUST_200600_302600_NS6detail15normal_iteratorINSA_10device_ptrIxEEEEPS6_NSA_18transform_iteratorINSB_9not_fun_tI7is_trueIxEEENSC_INSD_IbEEEENSA_11use_defaultESO_EENS0_5tupleIJNSA_16discard_iteratorISO_EES6_EEENSQ_IJSG_SG_EEES6_PlJS6_EEE10hipError_tPvRmT3_T4_T5_T6_T7_T9_mT8_P12ihipStream_tbDpT10_ENKUlT_T0_E_clISt17integral_constantIbLb1EES1F_EEDaS1A_S1B_EUlS1A_E_NS1_11comp_targetILNS1_3genE4ELNS1_11target_archE910ELNS1_3gpuE8ELNS1_3repE0EEENS1_30default_config_static_selectorELNS0_4arch9wavefront6targetE0EEEvT1_ ; -- Begin function _ZN7rocprim17ROCPRIM_400000_NS6detail17trampoline_kernelINS0_14default_configENS1_25partition_config_selectorILNS1_17partition_subalgoE5ExNS0_10empty_typeEbEEZZNS1_14partition_implILS5_5ELb0ES3_mN6thrust23THRUST_200600_302600_NS6detail15normal_iteratorINSA_10device_ptrIxEEEEPS6_NSA_18transform_iteratorINSB_9not_fun_tI7is_trueIxEEENSC_INSD_IbEEEENSA_11use_defaultESO_EENS0_5tupleIJNSA_16discard_iteratorISO_EES6_EEENSQ_IJSG_SG_EEES6_PlJS6_EEE10hipError_tPvRmT3_T4_T5_T6_T7_T9_mT8_P12ihipStream_tbDpT10_ENKUlT_T0_E_clISt17integral_constantIbLb1EES1F_EEDaS1A_S1B_EUlS1A_E_NS1_11comp_targetILNS1_3genE4ELNS1_11target_archE910ELNS1_3gpuE8ELNS1_3repE0EEENS1_30default_config_static_selectorELNS0_4arch9wavefront6targetE0EEEvT1_
	.globl	_ZN7rocprim17ROCPRIM_400000_NS6detail17trampoline_kernelINS0_14default_configENS1_25partition_config_selectorILNS1_17partition_subalgoE5ExNS0_10empty_typeEbEEZZNS1_14partition_implILS5_5ELb0ES3_mN6thrust23THRUST_200600_302600_NS6detail15normal_iteratorINSA_10device_ptrIxEEEEPS6_NSA_18transform_iteratorINSB_9not_fun_tI7is_trueIxEEENSC_INSD_IbEEEENSA_11use_defaultESO_EENS0_5tupleIJNSA_16discard_iteratorISO_EES6_EEENSQ_IJSG_SG_EEES6_PlJS6_EEE10hipError_tPvRmT3_T4_T5_T6_T7_T9_mT8_P12ihipStream_tbDpT10_ENKUlT_T0_E_clISt17integral_constantIbLb1EES1F_EEDaS1A_S1B_EUlS1A_E_NS1_11comp_targetILNS1_3genE4ELNS1_11target_archE910ELNS1_3gpuE8ELNS1_3repE0EEENS1_30default_config_static_selectorELNS0_4arch9wavefront6targetE0EEEvT1_
	.p2align	8
	.type	_ZN7rocprim17ROCPRIM_400000_NS6detail17trampoline_kernelINS0_14default_configENS1_25partition_config_selectorILNS1_17partition_subalgoE5ExNS0_10empty_typeEbEEZZNS1_14partition_implILS5_5ELb0ES3_mN6thrust23THRUST_200600_302600_NS6detail15normal_iteratorINSA_10device_ptrIxEEEEPS6_NSA_18transform_iteratorINSB_9not_fun_tI7is_trueIxEEENSC_INSD_IbEEEENSA_11use_defaultESO_EENS0_5tupleIJNSA_16discard_iteratorISO_EES6_EEENSQ_IJSG_SG_EEES6_PlJS6_EEE10hipError_tPvRmT3_T4_T5_T6_T7_T9_mT8_P12ihipStream_tbDpT10_ENKUlT_T0_E_clISt17integral_constantIbLb1EES1F_EEDaS1A_S1B_EUlS1A_E_NS1_11comp_targetILNS1_3genE4ELNS1_11target_archE910ELNS1_3gpuE8ELNS1_3repE0EEENS1_30default_config_static_selectorELNS0_4arch9wavefront6targetE0EEEvT1_,@function
_ZN7rocprim17ROCPRIM_400000_NS6detail17trampoline_kernelINS0_14default_configENS1_25partition_config_selectorILNS1_17partition_subalgoE5ExNS0_10empty_typeEbEEZZNS1_14partition_implILS5_5ELb0ES3_mN6thrust23THRUST_200600_302600_NS6detail15normal_iteratorINSA_10device_ptrIxEEEEPS6_NSA_18transform_iteratorINSB_9not_fun_tI7is_trueIxEEENSC_INSD_IbEEEENSA_11use_defaultESO_EENS0_5tupleIJNSA_16discard_iteratorISO_EES6_EEENSQ_IJSG_SG_EEES6_PlJS6_EEE10hipError_tPvRmT3_T4_T5_T6_T7_T9_mT8_P12ihipStream_tbDpT10_ENKUlT_T0_E_clISt17integral_constantIbLb1EES1F_EEDaS1A_S1B_EUlS1A_E_NS1_11comp_targetILNS1_3genE4ELNS1_11target_archE910ELNS1_3gpuE8ELNS1_3repE0EEENS1_30default_config_static_selectorELNS0_4arch9wavefront6targetE0EEEvT1_: ; @_ZN7rocprim17ROCPRIM_400000_NS6detail17trampoline_kernelINS0_14default_configENS1_25partition_config_selectorILNS1_17partition_subalgoE5ExNS0_10empty_typeEbEEZZNS1_14partition_implILS5_5ELb0ES3_mN6thrust23THRUST_200600_302600_NS6detail15normal_iteratorINSA_10device_ptrIxEEEEPS6_NSA_18transform_iteratorINSB_9not_fun_tI7is_trueIxEEENSC_INSD_IbEEEENSA_11use_defaultESO_EENS0_5tupleIJNSA_16discard_iteratorISO_EES6_EEENSQ_IJSG_SG_EEES6_PlJS6_EEE10hipError_tPvRmT3_T4_T5_T6_T7_T9_mT8_P12ihipStream_tbDpT10_ENKUlT_T0_E_clISt17integral_constantIbLb1EES1F_EEDaS1A_S1B_EUlS1A_E_NS1_11comp_targetILNS1_3genE4ELNS1_11target_archE910ELNS1_3gpuE8ELNS1_3repE0EEENS1_30default_config_static_selectorELNS0_4arch9wavefront6targetE0EEEvT1_
; %bb.0:
	.section	.rodata,"a",@progbits
	.p2align	6, 0x0
	.amdhsa_kernel _ZN7rocprim17ROCPRIM_400000_NS6detail17trampoline_kernelINS0_14default_configENS1_25partition_config_selectorILNS1_17partition_subalgoE5ExNS0_10empty_typeEbEEZZNS1_14partition_implILS5_5ELb0ES3_mN6thrust23THRUST_200600_302600_NS6detail15normal_iteratorINSA_10device_ptrIxEEEEPS6_NSA_18transform_iteratorINSB_9not_fun_tI7is_trueIxEEENSC_INSD_IbEEEENSA_11use_defaultESO_EENS0_5tupleIJNSA_16discard_iteratorISO_EES6_EEENSQ_IJSG_SG_EEES6_PlJS6_EEE10hipError_tPvRmT3_T4_T5_T6_T7_T9_mT8_P12ihipStream_tbDpT10_ENKUlT_T0_E_clISt17integral_constantIbLb1EES1F_EEDaS1A_S1B_EUlS1A_E_NS1_11comp_targetILNS1_3genE4ELNS1_11target_archE910ELNS1_3gpuE8ELNS1_3repE0EEENS1_30default_config_static_selectorELNS0_4arch9wavefront6targetE0EEEvT1_
		.amdhsa_group_segment_fixed_size 0
		.amdhsa_private_segment_fixed_size 0
		.amdhsa_kernarg_size 144
		.amdhsa_user_sgpr_count 2
		.amdhsa_user_sgpr_dispatch_ptr 0
		.amdhsa_user_sgpr_queue_ptr 0
		.amdhsa_user_sgpr_kernarg_segment_ptr 1
		.amdhsa_user_sgpr_dispatch_id 0
		.amdhsa_user_sgpr_private_segment_size 0
		.amdhsa_wavefront_size32 1
		.amdhsa_uses_dynamic_stack 0
		.amdhsa_enable_private_segment 0
		.amdhsa_system_sgpr_workgroup_id_x 1
		.amdhsa_system_sgpr_workgroup_id_y 0
		.amdhsa_system_sgpr_workgroup_id_z 0
		.amdhsa_system_sgpr_workgroup_info 0
		.amdhsa_system_vgpr_workitem_id 0
		.amdhsa_next_free_vgpr 1
		.amdhsa_next_free_sgpr 1
		.amdhsa_reserve_vcc 0
		.amdhsa_float_round_mode_32 0
		.amdhsa_float_round_mode_16_64 0
		.amdhsa_float_denorm_mode_32 3
		.amdhsa_float_denorm_mode_16_64 3
		.amdhsa_fp16_overflow 0
		.amdhsa_workgroup_processor_mode 1
		.amdhsa_memory_ordered 1
		.amdhsa_forward_progress 1
		.amdhsa_inst_pref_size 0
		.amdhsa_round_robin_scheduling 0
		.amdhsa_exception_fp_ieee_invalid_op 0
		.amdhsa_exception_fp_denorm_src 0
		.amdhsa_exception_fp_ieee_div_zero 0
		.amdhsa_exception_fp_ieee_overflow 0
		.amdhsa_exception_fp_ieee_underflow 0
		.amdhsa_exception_fp_ieee_inexact 0
		.amdhsa_exception_int_div_zero 0
	.end_amdhsa_kernel
	.section	.text._ZN7rocprim17ROCPRIM_400000_NS6detail17trampoline_kernelINS0_14default_configENS1_25partition_config_selectorILNS1_17partition_subalgoE5ExNS0_10empty_typeEbEEZZNS1_14partition_implILS5_5ELb0ES3_mN6thrust23THRUST_200600_302600_NS6detail15normal_iteratorINSA_10device_ptrIxEEEEPS6_NSA_18transform_iteratorINSB_9not_fun_tI7is_trueIxEEENSC_INSD_IbEEEENSA_11use_defaultESO_EENS0_5tupleIJNSA_16discard_iteratorISO_EES6_EEENSQ_IJSG_SG_EEES6_PlJS6_EEE10hipError_tPvRmT3_T4_T5_T6_T7_T9_mT8_P12ihipStream_tbDpT10_ENKUlT_T0_E_clISt17integral_constantIbLb1EES1F_EEDaS1A_S1B_EUlS1A_E_NS1_11comp_targetILNS1_3genE4ELNS1_11target_archE910ELNS1_3gpuE8ELNS1_3repE0EEENS1_30default_config_static_selectorELNS0_4arch9wavefront6targetE0EEEvT1_,"axG",@progbits,_ZN7rocprim17ROCPRIM_400000_NS6detail17trampoline_kernelINS0_14default_configENS1_25partition_config_selectorILNS1_17partition_subalgoE5ExNS0_10empty_typeEbEEZZNS1_14partition_implILS5_5ELb0ES3_mN6thrust23THRUST_200600_302600_NS6detail15normal_iteratorINSA_10device_ptrIxEEEEPS6_NSA_18transform_iteratorINSB_9not_fun_tI7is_trueIxEEENSC_INSD_IbEEEENSA_11use_defaultESO_EENS0_5tupleIJNSA_16discard_iteratorISO_EES6_EEENSQ_IJSG_SG_EEES6_PlJS6_EEE10hipError_tPvRmT3_T4_T5_T6_T7_T9_mT8_P12ihipStream_tbDpT10_ENKUlT_T0_E_clISt17integral_constantIbLb1EES1F_EEDaS1A_S1B_EUlS1A_E_NS1_11comp_targetILNS1_3genE4ELNS1_11target_archE910ELNS1_3gpuE8ELNS1_3repE0EEENS1_30default_config_static_selectorELNS0_4arch9wavefront6targetE0EEEvT1_,comdat
.Lfunc_end2759:
	.size	_ZN7rocprim17ROCPRIM_400000_NS6detail17trampoline_kernelINS0_14default_configENS1_25partition_config_selectorILNS1_17partition_subalgoE5ExNS0_10empty_typeEbEEZZNS1_14partition_implILS5_5ELb0ES3_mN6thrust23THRUST_200600_302600_NS6detail15normal_iteratorINSA_10device_ptrIxEEEEPS6_NSA_18transform_iteratorINSB_9not_fun_tI7is_trueIxEEENSC_INSD_IbEEEENSA_11use_defaultESO_EENS0_5tupleIJNSA_16discard_iteratorISO_EES6_EEENSQ_IJSG_SG_EEES6_PlJS6_EEE10hipError_tPvRmT3_T4_T5_T6_T7_T9_mT8_P12ihipStream_tbDpT10_ENKUlT_T0_E_clISt17integral_constantIbLb1EES1F_EEDaS1A_S1B_EUlS1A_E_NS1_11comp_targetILNS1_3genE4ELNS1_11target_archE910ELNS1_3gpuE8ELNS1_3repE0EEENS1_30default_config_static_selectorELNS0_4arch9wavefront6targetE0EEEvT1_, .Lfunc_end2759-_ZN7rocprim17ROCPRIM_400000_NS6detail17trampoline_kernelINS0_14default_configENS1_25partition_config_selectorILNS1_17partition_subalgoE5ExNS0_10empty_typeEbEEZZNS1_14partition_implILS5_5ELb0ES3_mN6thrust23THRUST_200600_302600_NS6detail15normal_iteratorINSA_10device_ptrIxEEEEPS6_NSA_18transform_iteratorINSB_9not_fun_tI7is_trueIxEEENSC_INSD_IbEEEENSA_11use_defaultESO_EENS0_5tupleIJNSA_16discard_iteratorISO_EES6_EEENSQ_IJSG_SG_EEES6_PlJS6_EEE10hipError_tPvRmT3_T4_T5_T6_T7_T9_mT8_P12ihipStream_tbDpT10_ENKUlT_T0_E_clISt17integral_constantIbLb1EES1F_EEDaS1A_S1B_EUlS1A_E_NS1_11comp_targetILNS1_3genE4ELNS1_11target_archE910ELNS1_3gpuE8ELNS1_3repE0EEENS1_30default_config_static_selectorELNS0_4arch9wavefront6targetE0EEEvT1_
                                        ; -- End function
	.set _ZN7rocprim17ROCPRIM_400000_NS6detail17trampoline_kernelINS0_14default_configENS1_25partition_config_selectorILNS1_17partition_subalgoE5ExNS0_10empty_typeEbEEZZNS1_14partition_implILS5_5ELb0ES3_mN6thrust23THRUST_200600_302600_NS6detail15normal_iteratorINSA_10device_ptrIxEEEEPS6_NSA_18transform_iteratorINSB_9not_fun_tI7is_trueIxEEENSC_INSD_IbEEEENSA_11use_defaultESO_EENS0_5tupleIJNSA_16discard_iteratorISO_EES6_EEENSQ_IJSG_SG_EEES6_PlJS6_EEE10hipError_tPvRmT3_T4_T5_T6_T7_T9_mT8_P12ihipStream_tbDpT10_ENKUlT_T0_E_clISt17integral_constantIbLb1EES1F_EEDaS1A_S1B_EUlS1A_E_NS1_11comp_targetILNS1_3genE4ELNS1_11target_archE910ELNS1_3gpuE8ELNS1_3repE0EEENS1_30default_config_static_selectorELNS0_4arch9wavefront6targetE0EEEvT1_.num_vgpr, 0
	.set _ZN7rocprim17ROCPRIM_400000_NS6detail17trampoline_kernelINS0_14default_configENS1_25partition_config_selectorILNS1_17partition_subalgoE5ExNS0_10empty_typeEbEEZZNS1_14partition_implILS5_5ELb0ES3_mN6thrust23THRUST_200600_302600_NS6detail15normal_iteratorINSA_10device_ptrIxEEEEPS6_NSA_18transform_iteratorINSB_9not_fun_tI7is_trueIxEEENSC_INSD_IbEEEENSA_11use_defaultESO_EENS0_5tupleIJNSA_16discard_iteratorISO_EES6_EEENSQ_IJSG_SG_EEES6_PlJS6_EEE10hipError_tPvRmT3_T4_T5_T6_T7_T9_mT8_P12ihipStream_tbDpT10_ENKUlT_T0_E_clISt17integral_constantIbLb1EES1F_EEDaS1A_S1B_EUlS1A_E_NS1_11comp_targetILNS1_3genE4ELNS1_11target_archE910ELNS1_3gpuE8ELNS1_3repE0EEENS1_30default_config_static_selectorELNS0_4arch9wavefront6targetE0EEEvT1_.num_agpr, 0
	.set _ZN7rocprim17ROCPRIM_400000_NS6detail17trampoline_kernelINS0_14default_configENS1_25partition_config_selectorILNS1_17partition_subalgoE5ExNS0_10empty_typeEbEEZZNS1_14partition_implILS5_5ELb0ES3_mN6thrust23THRUST_200600_302600_NS6detail15normal_iteratorINSA_10device_ptrIxEEEEPS6_NSA_18transform_iteratorINSB_9not_fun_tI7is_trueIxEEENSC_INSD_IbEEEENSA_11use_defaultESO_EENS0_5tupleIJNSA_16discard_iteratorISO_EES6_EEENSQ_IJSG_SG_EEES6_PlJS6_EEE10hipError_tPvRmT3_T4_T5_T6_T7_T9_mT8_P12ihipStream_tbDpT10_ENKUlT_T0_E_clISt17integral_constantIbLb1EES1F_EEDaS1A_S1B_EUlS1A_E_NS1_11comp_targetILNS1_3genE4ELNS1_11target_archE910ELNS1_3gpuE8ELNS1_3repE0EEENS1_30default_config_static_selectorELNS0_4arch9wavefront6targetE0EEEvT1_.numbered_sgpr, 0
	.set _ZN7rocprim17ROCPRIM_400000_NS6detail17trampoline_kernelINS0_14default_configENS1_25partition_config_selectorILNS1_17partition_subalgoE5ExNS0_10empty_typeEbEEZZNS1_14partition_implILS5_5ELb0ES3_mN6thrust23THRUST_200600_302600_NS6detail15normal_iteratorINSA_10device_ptrIxEEEEPS6_NSA_18transform_iteratorINSB_9not_fun_tI7is_trueIxEEENSC_INSD_IbEEEENSA_11use_defaultESO_EENS0_5tupleIJNSA_16discard_iteratorISO_EES6_EEENSQ_IJSG_SG_EEES6_PlJS6_EEE10hipError_tPvRmT3_T4_T5_T6_T7_T9_mT8_P12ihipStream_tbDpT10_ENKUlT_T0_E_clISt17integral_constantIbLb1EES1F_EEDaS1A_S1B_EUlS1A_E_NS1_11comp_targetILNS1_3genE4ELNS1_11target_archE910ELNS1_3gpuE8ELNS1_3repE0EEENS1_30default_config_static_selectorELNS0_4arch9wavefront6targetE0EEEvT1_.num_named_barrier, 0
	.set _ZN7rocprim17ROCPRIM_400000_NS6detail17trampoline_kernelINS0_14default_configENS1_25partition_config_selectorILNS1_17partition_subalgoE5ExNS0_10empty_typeEbEEZZNS1_14partition_implILS5_5ELb0ES3_mN6thrust23THRUST_200600_302600_NS6detail15normal_iteratorINSA_10device_ptrIxEEEEPS6_NSA_18transform_iteratorINSB_9not_fun_tI7is_trueIxEEENSC_INSD_IbEEEENSA_11use_defaultESO_EENS0_5tupleIJNSA_16discard_iteratorISO_EES6_EEENSQ_IJSG_SG_EEES6_PlJS6_EEE10hipError_tPvRmT3_T4_T5_T6_T7_T9_mT8_P12ihipStream_tbDpT10_ENKUlT_T0_E_clISt17integral_constantIbLb1EES1F_EEDaS1A_S1B_EUlS1A_E_NS1_11comp_targetILNS1_3genE4ELNS1_11target_archE910ELNS1_3gpuE8ELNS1_3repE0EEENS1_30default_config_static_selectorELNS0_4arch9wavefront6targetE0EEEvT1_.private_seg_size, 0
	.set _ZN7rocprim17ROCPRIM_400000_NS6detail17trampoline_kernelINS0_14default_configENS1_25partition_config_selectorILNS1_17partition_subalgoE5ExNS0_10empty_typeEbEEZZNS1_14partition_implILS5_5ELb0ES3_mN6thrust23THRUST_200600_302600_NS6detail15normal_iteratorINSA_10device_ptrIxEEEEPS6_NSA_18transform_iteratorINSB_9not_fun_tI7is_trueIxEEENSC_INSD_IbEEEENSA_11use_defaultESO_EENS0_5tupleIJNSA_16discard_iteratorISO_EES6_EEENSQ_IJSG_SG_EEES6_PlJS6_EEE10hipError_tPvRmT3_T4_T5_T6_T7_T9_mT8_P12ihipStream_tbDpT10_ENKUlT_T0_E_clISt17integral_constantIbLb1EES1F_EEDaS1A_S1B_EUlS1A_E_NS1_11comp_targetILNS1_3genE4ELNS1_11target_archE910ELNS1_3gpuE8ELNS1_3repE0EEENS1_30default_config_static_selectorELNS0_4arch9wavefront6targetE0EEEvT1_.uses_vcc, 0
	.set _ZN7rocprim17ROCPRIM_400000_NS6detail17trampoline_kernelINS0_14default_configENS1_25partition_config_selectorILNS1_17partition_subalgoE5ExNS0_10empty_typeEbEEZZNS1_14partition_implILS5_5ELb0ES3_mN6thrust23THRUST_200600_302600_NS6detail15normal_iteratorINSA_10device_ptrIxEEEEPS6_NSA_18transform_iteratorINSB_9not_fun_tI7is_trueIxEEENSC_INSD_IbEEEENSA_11use_defaultESO_EENS0_5tupleIJNSA_16discard_iteratorISO_EES6_EEENSQ_IJSG_SG_EEES6_PlJS6_EEE10hipError_tPvRmT3_T4_T5_T6_T7_T9_mT8_P12ihipStream_tbDpT10_ENKUlT_T0_E_clISt17integral_constantIbLb1EES1F_EEDaS1A_S1B_EUlS1A_E_NS1_11comp_targetILNS1_3genE4ELNS1_11target_archE910ELNS1_3gpuE8ELNS1_3repE0EEENS1_30default_config_static_selectorELNS0_4arch9wavefront6targetE0EEEvT1_.uses_flat_scratch, 0
	.set _ZN7rocprim17ROCPRIM_400000_NS6detail17trampoline_kernelINS0_14default_configENS1_25partition_config_selectorILNS1_17partition_subalgoE5ExNS0_10empty_typeEbEEZZNS1_14partition_implILS5_5ELb0ES3_mN6thrust23THRUST_200600_302600_NS6detail15normal_iteratorINSA_10device_ptrIxEEEEPS6_NSA_18transform_iteratorINSB_9not_fun_tI7is_trueIxEEENSC_INSD_IbEEEENSA_11use_defaultESO_EENS0_5tupleIJNSA_16discard_iteratorISO_EES6_EEENSQ_IJSG_SG_EEES6_PlJS6_EEE10hipError_tPvRmT3_T4_T5_T6_T7_T9_mT8_P12ihipStream_tbDpT10_ENKUlT_T0_E_clISt17integral_constantIbLb1EES1F_EEDaS1A_S1B_EUlS1A_E_NS1_11comp_targetILNS1_3genE4ELNS1_11target_archE910ELNS1_3gpuE8ELNS1_3repE0EEENS1_30default_config_static_selectorELNS0_4arch9wavefront6targetE0EEEvT1_.has_dyn_sized_stack, 0
	.set _ZN7rocprim17ROCPRIM_400000_NS6detail17trampoline_kernelINS0_14default_configENS1_25partition_config_selectorILNS1_17partition_subalgoE5ExNS0_10empty_typeEbEEZZNS1_14partition_implILS5_5ELb0ES3_mN6thrust23THRUST_200600_302600_NS6detail15normal_iteratorINSA_10device_ptrIxEEEEPS6_NSA_18transform_iteratorINSB_9not_fun_tI7is_trueIxEEENSC_INSD_IbEEEENSA_11use_defaultESO_EENS0_5tupleIJNSA_16discard_iteratorISO_EES6_EEENSQ_IJSG_SG_EEES6_PlJS6_EEE10hipError_tPvRmT3_T4_T5_T6_T7_T9_mT8_P12ihipStream_tbDpT10_ENKUlT_T0_E_clISt17integral_constantIbLb1EES1F_EEDaS1A_S1B_EUlS1A_E_NS1_11comp_targetILNS1_3genE4ELNS1_11target_archE910ELNS1_3gpuE8ELNS1_3repE0EEENS1_30default_config_static_selectorELNS0_4arch9wavefront6targetE0EEEvT1_.has_recursion, 0
	.set _ZN7rocprim17ROCPRIM_400000_NS6detail17trampoline_kernelINS0_14default_configENS1_25partition_config_selectorILNS1_17partition_subalgoE5ExNS0_10empty_typeEbEEZZNS1_14partition_implILS5_5ELb0ES3_mN6thrust23THRUST_200600_302600_NS6detail15normal_iteratorINSA_10device_ptrIxEEEEPS6_NSA_18transform_iteratorINSB_9not_fun_tI7is_trueIxEEENSC_INSD_IbEEEENSA_11use_defaultESO_EENS0_5tupleIJNSA_16discard_iteratorISO_EES6_EEENSQ_IJSG_SG_EEES6_PlJS6_EEE10hipError_tPvRmT3_T4_T5_T6_T7_T9_mT8_P12ihipStream_tbDpT10_ENKUlT_T0_E_clISt17integral_constantIbLb1EES1F_EEDaS1A_S1B_EUlS1A_E_NS1_11comp_targetILNS1_3genE4ELNS1_11target_archE910ELNS1_3gpuE8ELNS1_3repE0EEENS1_30default_config_static_selectorELNS0_4arch9wavefront6targetE0EEEvT1_.has_indirect_call, 0
	.section	.AMDGPU.csdata,"",@progbits
; Kernel info:
; codeLenInByte = 0
; TotalNumSgprs: 0
; NumVgprs: 0
; ScratchSize: 0
; MemoryBound: 0
; FloatMode: 240
; IeeeMode: 1
; LDSByteSize: 0 bytes/workgroup (compile time only)
; SGPRBlocks: 0
; VGPRBlocks: 0
; NumSGPRsForWavesPerEU: 1
; NumVGPRsForWavesPerEU: 1
; Occupancy: 16
; WaveLimiterHint : 0
; COMPUTE_PGM_RSRC2:SCRATCH_EN: 0
; COMPUTE_PGM_RSRC2:USER_SGPR: 2
; COMPUTE_PGM_RSRC2:TRAP_HANDLER: 0
; COMPUTE_PGM_RSRC2:TGID_X_EN: 1
; COMPUTE_PGM_RSRC2:TGID_Y_EN: 0
; COMPUTE_PGM_RSRC2:TGID_Z_EN: 0
; COMPUTE_PGM_RSRC2:TIDIG_COMP_CNT: 0
	.section	.text._ZN7rocprim17ROCPRIM_400000_NS6detail17trampoline_kernelINS0_14default_configENS1_25partition_config_selectorILNS1_17partition_subalgoE5ExNS0_10empty_typeEbEEZZNS1_14partition_implILS5_5ELb0ES3_mN6thrust23THRUST_200600_302600_NS6detail15normal_iteratorINSA_10device_ptrIxEEEEPS6_NSA_18transform_iteratorINSB_9not_fun_tI7is_trueIxEEENSC_INSD_IbEEEENSA_11use_defaultESO_EENS0_5tupleIJNSA_16discard_iteratorISO_EES6_EEENSQ_IJSG_SG_EEES6_PlJS6_EEE10hipError_tPvRmT3_T4_T5_T6_T7_T9_mT8_P12ihipStream_tbDpT10_ENKUlT_T0_E_clISt17integral_constantIbLb1EES1F_EEDaS1A_S1B_EUlS1A_E_NS1_11comp_targetILNS1_3genE3ELNS1_11target_archE908ELNS1_3gpuE7ELNS1_3repE0EEENS1_30default_config_static_selectorELNS0_4arch9wavefront6targetE0EEEvT1_,"axG",@progbits,_ZN7rocprim17ROCPRIM_400000_NS6detail17trampoline_kernelINS0_14default_configENS1_25partition_config_selectorILNS1_17partition_subalgoE5ExNS0_10empty_typeEbEEZZNS1_14partition_implILS5_5ELb0ES3_mN6thrust23THRUST_200600_302600_NS6detail15normal_iteratorINSA_10device_ptrIxEEEEPS6_NSA_18transform_iteratorINSB_9not_fun_tI7is_trueIxEEENSC_INSD_IbEEEENSA_11use_defaultESO_EENS0_5tupleIJNSA_16discard_iteratorISO_EES6_EEENSQ_IJSG_SG_EEES6_PlJS6_EEE10hipError_tPvRmT3_T4_T5_T6_T7_T9_mT8_P12ihipStream_tbDpT10_ENKUlT_T0_E_clISt17integral_constantIbLb1EES1F_EEDaS1A_S1B_EUlS1A_E_NS1_11comp_targetILNS1_3genE3ELNS1_11target_archE908ELNS1_3gpuE7ELNS1_3repE0EEENS1_30default_config_static_selectorELNS0_4arch9wavefront6targetE0EEEvT1_,comdat
	.protected	_ZN7rocprim17ROCPRIM_400000_NS6detail17trampoline_kernelINS0_14default_configENS1_25partition_config_selectorILNS1_17partition_subalgoE5ExNS0_10empty_typeEbEEZZNS1_14partition_implILS5_5ELb0ES3_mN6thrust23THRUST_200600_302600_NS6detail15normal_iteratorINSA_10device_ptrIxEEEEPS6_NSA_18transform_iteratorINSB_9not_fun_tI7is_trueIxEEENSC_INSD_IbEEEENSA_11use_defaultESO_EENS0_5tupleIJNSA_16discard_iteratorISO_EES6_EEENSQ_IJSG_SG_EEES6_PlJS6_EEE10hipError_tPvRmT3_T4_T5_T6_T7_T9_mT8_P12ihipStream_tbDpT10_ENKUlT_T0_E_clISt17integral_constantIbLb1EES1F_EEDaS1A_S1B_EUlS1A_E_NS1_11comp_targetILNS1_3genE3ELNS1_11target_archE908ELNS1_3gpuE7ELNS1_3repE0EEENS1_30default_config_static_selectorELNS0_4arch9wavefront6targetE0EEEvT1_ ; -- Begin function _ZN7rocprim17ROCPRIM_400000_NS6detail17trampoline_kernelINS0_14default_configENS1_25partition_config_selectorILNS1_17partition_subalgoE5ExNS0_10empty_typeEbEEZZNS1_14partition_implILS5_5ELb0ES3_mN6thrust23THRUST_200600_302600_NS6detail15normal_iteratorINSA_10device_ptrIxEEEEPS6_NSA_18transform_iteratorINSB_9not_fun_tI7is_trueIxEEENSC_INSD_IbEEEENSA_11use_defaultESO_EENS0_5tupleIJNSA_16discard_iteratorISO_EES6_EEENSQ_IJSG_SG_EEES6_PlJS6_EEE10hipError_tPvRmT3_T4_T5_T6_T7_T9_mT8_P12ihipStream_tbDpT10_ENKUlT_T0_E_clISt17integral_constantIbLb1EES1F_EEDaS1A_S1B_EUlS1A_E_NS1_11comp_targetILNS1_3genE3ELNS1_11target_archE908ELNS1_3gpuE7ELNS1_3repE0EEENS1_30default_config_static_selectorELNS0_4arch9wavefront6targetE0EEEvT1_
	.globl	_ZN7rocprim17ROCPRIM_400000_NS6detail17trampoline_kernelINS0_14default_configENS1_25partition_config_selectorILNS1_17partition_subalgoE5ExNS0_10empty_typeEbEEZZNS1_14partition_implILS5_5ELb0ES3_mN6thrust23THRUST_200600_302600_NS6detail15normal_iteratorINSA_10device_ptrIxEEEEPS6_NSA_18transform_iteratorINSB_9not_fun_tI7is_trueIxEEENSC_INSD_IbEEEENSA_11use_defaultESO_EENS0_5tupleIJNSA_16discard_iteratorISO_EES6_EEENSQ_IJSG_SG_EEES6_PlJS6_EEE10hipError_tPvRmT3_T4_T5_T6_T7_T9_mT8_P12ihipStream_tbDpT10_ENKUlT_T0_E_clISt17integral_constantIbLb1EES1F_EEDaS1A_S1B_EUlS1A_E_NS1_11comp_targetILNS1_3genE3ELNS1_11target_archE908ELNS1_3gpuE7ELNS1_3repE0EEENS1_30default_config_static_selectorELNS0_4arch9wavefront6targetE0EEEvT1_
	.p2align	8
	.type	_ZN7rocprim17ROCPRIM_400000_NS6detail17trampoline_kernelINS0_14default_configENS1_25partition_config_selectorILNS1_17partition_subalgoE5ExNS0_10empty_typeEbEEZZNS1_14partition_implILS5_5ELb0ES3_mN6thrust23THRUST_200600_302600_NS6detail15normal_iteratorINSA_10device_ptrIxEEEEPS6_NSA_18transform_iteratorINSB_9not_fun_tI7is_trueIxEEENSC_INSD_IbEEEENSA_11use_defaultESO_EENS0_5tupleIJNSA_16discard_iteratorISO_EES6_EEENSQ_IJSG_SG_EEES6_PlJS6_EEE10hipError_tPvRmT3_T4_T5_T6_T7_T9_mT8_P12ihipStream_tbDpT10_ENKUlT_T0_E_clISt17integral_constantIbLb1EES1F_EEDaS1A_S1B_EUlS1A_E_NS1_11comp_targetILNS1_3genE3ELNS1_11target_archE908ELNS1_3gpuE7ELNS1_3repE0EEENS1_30default_config_static_selectorELNS0_4arch9wavefront6targetE0EEEvT1_,@function
_ZN7rocprim17ROCPRIM_400000_NS6detail17trampoline_kernelINS0_14default_configENS1_25partition_config_selectorILNS1_17partition_subalgoE5ExNS0_10empty_typeEbEEZZNS1_14partition_implILS5_5ELb0ES3_mN6thrust23THRUST_200600_302600_NS6detail15normal_iteratorINSA_10device_ptrIxEEEEPS6_NSA_18transform_iteratorINSB_9not_fun_tI7is_trueIxEEENSC_INSD_IbEEEENSA_11use_defaultESO_EENS0_5tupleIJNSA_16discard_iteratorISO_EES6_EEENSQ_IJSG_SG_EEES6_PlJS6_EEE10hipError_tPvRmT3_T4_T5_T6_T7_T9_mT8_P12ihipStream_tbDpT10_ENKUlT_T0_E_clISt17integral_constantIbLb1EES1F_EEDaS1A_S1B_EUlS1A_E_NS1_11comp_targetILNS1_3genE3ELNS1_11target_archE908ELNS1_3gpuE7ELNS1_3repE0EEENS1_30default_config_static_selectorELNS0_4arch9wavefront6targetE0EEEvT1_: ; @_ZN7rocprim17ROCPRIM_400000_NS6detail17trampoline_kernelINS0_14default_configENS1_25partition_config_selectorILNS1_17partition_subalgoE5ExNS0_10empty_typeEbEEZZNS1_14partition_implILS5_5ELb0ES3_mN6thrust23THRUST_200600_302600_NS6detail15normal_iteratorINSA_10device_ptrIxEEEEPS6_NSA_18transform_iteratorINSB_9not_fun_tI7is_trueIxEEENSC_INSD_IbEEEENSA_11use_defaultESO_EENS0_5tupleIJNSA_16discard_iteratorISO_EES6_EEENSQ_IJSG_SG_EEES6_PlJS6_EEE10hipError_tPvRmT3_T4_T5_T6_T7_T9_mT8_P12ihipStream_tbDpT10_ENKUlT_T0_E_clISt17integral_constantIbLb1EES1F_EEDaS1A_S1B_EUlS1A_E_NS1_11comp_targetILNS1_3genE3ELNS1_11target_archE908ELNS1_3gpuE7ELNS1_3repE0EEENS1_30default_config_static_selectorELNS0_4arch9wavefront6targetE0EEEvT1_
; %bb.0:
	.section	.rodata,"a",@progbits
	.p2align	6, 0x0
	.amdhsa_kernel _ZN7rocprim17ROCPRIM_400000_NS6detail17trampoline_kernelINS0_14default_configENS1_25partition_config_selectorILNS1_17partition_subalgoE5ExNS0_10empty_typeEbEEZZNS1_14partition_implILS5_5ELb0ES3_mN6thrust23THRUST_200600_302600_NS6detail15normal_iteratorINSA_10device_ptrIxEEEEPS6_NSA_18transform_iteratorINSB_9not_fun_tI7is_trueIxEEENSC_INSD_IbEEEENSA_11use_defaultESO_EENS0_5tupleIJNSA_16discard_iteratorISO_EES6_EEENSQ_IJSG_SG_EEES6_PlJS6_EEE10hipError_tPvRmT3_T4_T5_T6_T7_T9_mT8_P12ihipStream_tbDpT10_ENKUlT_T0_E_clISt17integral_constantIbLb1EES1F_EEDaS1A_S1B_EUlS1A_E_NS1_11comp_targetILNS1_3genE3ELNS1_11target_archE908ELNS1_3gpuE7ELNS1_3repE0EEENS1_30default_config_static_selectorELNS0_4arch9wavefront6targetE0EEEvT1_
		.amdhsa_group_segment_fixed_size 0
		.amdhsa_private_segment_fixed_size 0
		.amdhsa_kernarg_size 144
		.amdhsa_user_sgpr_count 2
		.amdhsa_user_sgpr_dispatch_ptr 0
		.amdhsa_user_sgpr_queue_ptr 0
		.amdhsa_user_sgpr_kernarg_segment_ptr 1
		.amdhsa_user_sgpr_dispatch_id 0
		.amdhsa_user_sgpr_private_segment_size 0
		.amdhsa_wavefront_size32 1
		.amdhsa_uses_dynamic_stack 0
		.amdhsa_enable_private_segment 0
		.amdhsa_system_sgpr_workgroup_id_x 1
		.amdhsa_system_sgpr_workgroup_id_y 0
		.amdhsa_system_sgpr_workgroup_id_z 0
		.amdhsa_system_sgpr_workgroup_info 0
		.amdhsa_system_vgpr_workitem_id 0
		.amdhsa_next_free_vgpr 1
		.amdhsa_next_free_sgpr 1
		.amdhsa_reserve_vcc 0
		.amdhsa_float_round_mode_32 0
		.amdhsa_float_round_mode_16_64 0
		.amdhsa_float_denorm_mode_32 3
		.amdhsa_float_denorm_mode_16_64 3
		.amdhsa_fp16_overflow 0
		.amdhsa_workgroup_processor_mode 1
		.amdhsa_memory_ordered 1
		.amdhsa_forward_progress 1
		.amdhsa_inst_pref_size 0
		.amdhsa_round_robin_scheduling 0
		.amdhsa_exception_fp_ieee_invalid_op 0
		.amdhsa_exception_fp_denorm_src 0
		.amdhsa_exception_fp_ieee_div_zero 0
		.amdhsa_exception_fp_ieee_overflow 0
		.amdhsa_exception_fp_ieee_underflow 0
		.amdhsa_exception_fp_ieee_inexact 0
		.amdhsa_exception_int_div_zero 0
	.end_amdhsa_kernel
	.section	.text._ZN7rocprim17ROCPRIM_400000_NS6detail17trampoline_kernelINS0_14default_configENS1_25partition_config_selectorILNS1_17partition_subalgoE5ExNS0_10empty_typeEbEEZZNS1_14partition_implILS5_5ELb0ES3_mN6thrust23THRUST_200600_302600_NS6detail15normal_iteratorINSA_10device_ptrIxEEEEPS6_NSA_18transform_iteratorINSB_9not_fun_tI7is_trueIxEEENSC_INSD_IbEEEENSA_11use_defaultESO_EENS0_5tupleIJNSA_16discard_iteratorISO_EES6_EEENSQ_IJSG_SG_EEES6_PlJS6_EEE10hipError_tPvRmT3_T4_T5_T6_T7_T9_mT8_P12ihipStream_tbDpT10_ENKUlT_T0_E_clISt17integral_constantIbLb1EES1F_EEDaS1A_S1B_EUlS1A_E_NS1_11comp_targetILNS1_3genE3ELNS1_11target_archE908ELNS1_3gpuE7ELNS1_3repE0EEENS1_30default_config_static_selectorELNS0_4arch9wavefront6targetE0EEEvT1_,"axG",@progbits,_ZN7rocprim17ROCPRIM_400000_NS6detail17trampoline_kernelINS0_14default_configENS1_25partition_config_selectorILNS1_17partition_subalgoE5ExNS0_10empty_typeEbEEZZNS1_14partition_implILS5_5ELb0ES3_mN6thrust23THRUST_200600_302600_NS6detail15normal_iteratorINSA_10device_ptrIxEEEEPS6_NSA_18transform_iteratorINSB_9not_fun_tI7is_trueIxEEENSC_INSD_IbEEEENSA_11use_defaultESO_EENS0_5tupleIJNSA_16discard_iteratorISO_EES6_EEENSQ_IJSG_SG_EEES6_PlJS6_EEE10hipError_tPvRmT3_T4_T5_T6_T7_T9_mT8_P12ihipStream_tbDpT10_ENKUlT_T0_E_clISt17integral_constantIbLb1EES1F_EEDaS1A_S1B_EUlS1A_E_NS1_11comp_targetILNS1_3genE3ELNS1_11target_archE908ELNS1_3gpuE7ELNS1_3repE0EEENS1_30default_config_static_selectorELNS0_4arch9wavefront6targetE0EEEvT1_,comdat
.Lfunc_end2760:
	.size	_ZN7rocprim17ROCPRIM_400000_NS6detail17trampoline_kernelINS0_14default_configENS1_25partition_config_selectorILNS1_17partition_subalgoE5ExNS0_10empty_typeEbEEZZNS1_14partition_implILS5_5ELb0ES3_mN6thrust23THRUST_200600_302600_NS6detail15normal_iteratorINSA_10device_ptrIxEEEEPS6_NSA_18transform_iteratorINSB_9not_fun_tI7is_trueIxEEENSC_INSD_IbEEEENSA_11use_defaultESO_EENS0_5tupleIJNSA_16discard_iteratorISO_EES6_EEENSQ_IJSG_SG_EEES6_PlJS6_EEE10hipError_tPvRmT3_T4_T5_T6_T7_T9_mT8_P12ihipStream_tbDpT10_ENKUlT_T0_E_clISt17integral_constantIbLb1EES1F_EEDaS1A_S1B_EUlS1A_E_NS1_11comp_targetILNS1_3genE3ELNS1_11target_archE908ELNS1_3gpuE7ELNS1_3repE0EEENS1_30default_config_static_selectorELNS0_4arch9wavefront6targetE0EEEvT1_, .Lfunc_end2760-_ZN7rocprim17ROCPRIM_400000_NS6detail17trampoline_kernelINS0_14default_configENS1_25partition_config_selectorILNS1_17partition_subalgoE5ExNS0_10empty_typeEbEEZZNS1_14partition_implILS5_5ELb0ES3_mN6thrust23THRUST_200600_302600_NS6detail15normal_iteratorINSA_10device_ptrIxEEEEPS6_NSA_18transform_iteratorINSB_9not_fun_tI7is_trueIxEEENSC_INSD_IbEEEENSA_11use_defaultESO_EENS0_5tupleIJNSA_16discard_iteratorISO_EES6_EEENSQ_IJSG_SG_EEES6_PlJS6_EEE10hipError_tPvRmT3_T4_T5_T6_T7_T9_mT8_P12ihipStream_tbDpT10_ENKUlT_T0_E_clISt17integral_constantIbLb1EES1F_EEDaS1A_S1B_EUlS1A_E_NS1_11comp_targetILNS1_3genE3ELNS1_11target_archE908ELNS1_3gpuE7ELNS1_3repE0EEENS1_30default_config_static_selectorELNS0_4arch9wavefront6targetE0EEEvT1_
                                        ; -- End function
	.set _ZN7rocprim17ROCPRIM_400000_NS6detail17trampoline_kernelINS0_14default_configENS1_25partition_config_selectorILNS1_17partition_subalgoE5ExNS0_10empty_typeEbEEZZNS1_14partition_implILS5_5ELb0ES3_mN6thrust23THRUST_200600_302600_NS6detail15normal_iteratorINSA_10device_ptrIxEEEEPS6_NSA_18transform_iteratorINSB_9not_fun_tI7is_trueIxEEENSC_INSD_IbEEEENSA_11use_defaultESO_EENS0_5tupleIJNSA_16discard_iteratorISO_EES6_EEENSQ_IJSG_SG_EEES6_PlJS6_EEE10hipError_tPvRmT3_T4_T5_T6_T7_T9_mT8_P12ihipStream_tbDpT10_ENKUlT_T0_E_clISt17integral_constantIbLb1EES1F_EEDaS1A_S1B_EUlS1A_E_NS1_11comp_targetILNS1_3genE3ELNS1_11target_archE908ELNS1_3gpuE7ELNS1_3repE0EEENS1_30default_config_static_selectorELNS0_4arch9wavefront6targetE0EEEvT1_.num_vgpr, 0
	.set _ZN7rocprim17ROCPRIM_400000_NS6detail17trampoline_kernelINS0_14default_configENS1_25partition_config_selectorILNS1_17partition_subalgoE5ExNS0_10empty_typeEbEEZZNS1_14partition_implILS5_5ELb0ES3_mN6thrust23THRUST_200600_302600_NS6detail15normal_iteratorINSA_10device_ptrIxEEEEPS6_NSA_18transform_iteratorINSB_9not_fun_tI7is_trueIxEEENSC_INSD_IbEEEENSA_11use_defaultESO_EENS0_5tupleIJNSA_16discard_iteratorISO_EES6_EEENSQ_IJSG_SG_EEES6_PlJS6_EEE10hipError_tPvRmT3_T4_T5_T6_T7_T9_mT8_P12ihipStream_tbDpT10_ENKUlT_T0_E_clISt17integral_constantIbLb1EES1F_EEDaS1A_S1B_EUlS1A_E_NS1_11comp_targetILNS1_3genE3ELNS1_11target_archE908ELNS1_3gpuE7ELNS1_3repE0EEENS1_30default_config_static_selectorELNS0_4arch9wavefront6targetE0EEEvT1_.num_agpr, 0
	.set _ZN7rocprim17ROCPRIM_400000_NS6detail17trampoline_kernelINS0_14default_configENS1_25partition_config_selectorILNS1_17partition_subalgoE5ExNS0_10empty_typeEbEEZZNS1_14partition_implILS5_5ELb0ES3_mN6thrust23THRUST_200600_302600_NS6detail15normal_iteratorINSA_10device_ptrIxEEEEPS6_NSA_18transform_iteratorINSB_9not_fun_tI7is_trueIxEEENSC_INSD_IbEEEENSA_11use_defaultESO_EENS0_5tupleIJNSA_16discard_iteratorISO_EES6_EEENSQ_IJSG_SG_EEES6_PlJS6_EEE10hipError_tPvRmT3_T4_T5_T6_T7_T9_mT8_P12ihipStream_tbDpT10_ENKUlT_T0_E_clISt17integral_constantIbLb1EES1F_EEDaS1A_S1B_EUlS1A_E_NS1_11comp_targetILNS1_3genE3ELNS1_11target_archE908ELNS1_3gpuE7ELNS1_3repE0EEENS1_30default_config_static_selectorELNS0_4arch9wavefront6targetE0EEEvT1_.numbered_sgpr, 0
	.set _ZN7rocprim17ROCPRIM_400000_NS6detail17trampoline_kernelINS0_14default_configENS1_25partition_config_selectorILNS1_17partition_subalgoE5ExNS0_10empty_typeEbEEZZNS1_14partition_implILS5_5ELb0ES3_mN6thrust23THRUST_200600_302600_NS6detail15normal_iteratorINSA_10device_ptrIxEEEEPS6_NSA_18transform_iteratorINSB_9not_fun_tI7is_trueIxEEENSC_INSD_IbEEEENSA_11use_defaultESO_EENS0_5tupleIJNSA_16discard_iteratorISO_EES6_EEENSQ_IJSG_SG_EEES6_PlJS6_EEE10hipError_tPvRmT3_T4_T5_T6_T7_T9_mT8_P12ihipStream_tbDpT10_ENKUlT_T0_E_clISt17integral_constantIbLb1EES1F_EEDaS1A_S1B_EUlS1A_E_NS1_11comp_targetILNS1_3genE3ELNS1_11target_archE908ELNS1_3gpuE7ELNS1_3repE0EEENS1_30default_config_static_selectorELNS0_4arch9wavefront6targetE0EEEvT1_.num_named_barrier, 0
	.set _ZN7rocprim17ROCPRIM_400000_NS6detail17trampoline_kernelINS0_14default_configENS1_25partition_config_selectorILNS1_17partition_subalgoE5ExNS0_10empty_typeEbEEZZNS1_14partition_implILS5_5ELb0ES3_mN6thrust23THRUST_200600_302600_NS6detail15normal_iteratorINSA_10device_ptrIxEEEEPS6_NSA_18transform_iteratorINSB_9not_fun_tI7is_trueIxEEENSC_INSD_IbEEEENSA_11use_defaultESO_EENS0_5tupleIJNSA_16discard_iteratorISO_EES6_EEENSQ_IJSG_SG_EEES6_PlJS6_EEE10hipError_tPvRmT3_T4_T5_T6_T7_T9_mT8_P12ihipStream_tbDpT10_ENKUlT_T0_E_clISt17integral_constantIbLb1EES1F_EEDaS1A_S1B_EUlS1A_E_NS1_11comp_targetILNS1_3genE3ELNS1_11target_archE908ELNS1_3gpuE7ELNS1_3repE0EEENS1_30default_config_static_selectorELNS0_4arch9wavefront6targetE0EEEvT1_.private_seg_size, 0
	.set _ZN7rocprim17ROCPRIM_400000_NS6detail17trampoline_kernelINS0_14default_configENS1_25partition_config_selectorILNS1_17partition_subalgoE5ExNS0_10empty_typeEbEEZZNS1_14partition_implILS5_5ELb0ES3_mN6thrust23THRUST_200600_302600_NS6detail15normal_iteratorINSA_10device_ptrIxEEEEPS6_NSA_18transform_iteratorINSB_9not_fun_tI7is_trueIxEEENSC_INSD_IbEEEENSA_11use_defaultESO_EENS0_5tupleIJNSA_16discard_iteratorISO_EES6_EEENSQ_IJSG_SG_EEES6_PlJS6_EEE10hipError_tPvRmT3_T4_T5_T6_T7_T9_mT8_P12ihipStream_tbDpT10_ENKUlT_T0_E_clISt17integral_constantIbLb1EES1F_EEDaS1A_S1B_EUlS1A_E_NS1_11comp_targetILNS1_3genE3ELNS1_11target_archE908ELNS1_3gpuE7ELNS1_3repE0EEENS1_30default_config_static_selectorELNS0_4arch9wavefront6targetE0EEEvT1_.uses_vcc, 0
	.set _ZN7rocprim17ROCPRIM_400000_NS6detail17trampoline_kernelINS0_14default_configENS1_25partition_config_selectorILNS1_17partition_subalgoE5ExNS0_10empty_typeEbEEZZNS1_14partition_implILS5_5ELb0ES3_mN6thrust23THRUST_200600_302600_NS6detail15normal_iteratorINSA_10device_ptrIxEEEEPS6_NSA_18transform_iteratorINSB_9not_fun_tI7is_trueIxEEENSC_INSD_IbEEEENSA_11use_defaultESO_EENS0_5tupleIJNSA_16discard_iteratorISO_EES6_EEENSQ_IJSG_SG_EEES6_PlJS6_EEE10hipError_tPvRmT3_T4_T5_T6_T7_T9_mT8_P12ihipStream_tbDpT10_ENKUlT_T0_E_clISt17integral_constantIbLb1EES1F_EEDaS1A_S1B_EUlS1A_E_NS1_11comp_targetILNS1_3genE3ELNS1_11target_archE908ELNS1_3gpuE7ELNS1_3repE0EEENS1_30default_config_static_selectorELNS0_4arch9wavefront6targetE0EEEvT1_.uses_flat_scratch, 0
	.set _ZN7rocprim17ROCPRIM_400000_NS6detail17trampoline_kernelINS0_14default_configENS1_25partition_config_selectorILNS1_17partition_subalgoE5ExNS0_10empty_typeEbEEZZNS1_14partition_implILS5_5ELb0ES3_mN6thrust23THRUST_200600_302600_NS6detail15normal_iteratorINSA_10device_ptrIxEEEEPS6_NSA_18transform_iteratorINSB_9not_fun_tI7is_trueIxEEENSC_INSD_IbEEEENSA_11use_defaultESO_EENS0_5tupleIJNSA_16discard_iteratorISO_EES6_EEENSQ_IJSG_SG_EEES6_PlJS6_EEE10hipError_tPvRmT3_T4_T5_T6_T7_T9_mT8_P12ihipStream_tbDpT10_ENKUlT_T0_E_clISt17integral_constantIbLb1EES1F_EEDaS1A_S1B_EUlS1A_E_NS1_11comp_targetILNS1_3genE3ELNS1_11target_archE908ELNS1_3gpuE7ELNS1_3repE0EEENS1_30default_config_static_selectorELNS0_4arch9wavefront6targetE0EEEvT1_.has_dyn_sized_stack, 0
	.set _ZN7rocprim17ROCPRIM_400000_NS6detail17trampoline_kernelINS0_14default_configENS1_25partition_config_selectorILNS1_17partition_subalgoE5ExNS0_10empty_typeEbEEZZNS1_14partition_implILS5_5ELb0ES3_mN6thrust23THRUST_200600_302600_NS6detail15normal_iteratorINSA_10device_ptrIxEEEEPS6_NSA_18transform_iteratorINSB_9not_fun_tI7is_trueIxEEENSC_INSD_IbEEEENSA_11use_defaultESO_EENS0_5tupleIJNSA_16discard_iteratorISO_EES6_EEENSQ_IJSG_SG_EEES6_PlJS6_EEE10hipError_tPvRmT3_T4_T5_T6_T7_T9_mT8_P12ihipStream_tbDpT10_ENKUlT_T0_E_clISt17integral_constantIbLb1EES1F_EEDaS1A_S1B_EUlS1A_E_NS1_11comp_targetILNS1_3genE3ELNS1_11target_archE908ELNS1_3gpuE7ELNS1_3repE0EEENS1_30default_config_static_selectorELNS0_4arch9wavefront6targetE0EEEvT1_.has_recursion, 0
	.set _ZN7rocprim17ROCPRIM_400000_NS6detail17trampoline_kernelINS0_14default_configENS1_25partition_config_selectorILNS1_17partition_subalgoE5ExNS0_10empty_typeEbEEZZNS1_14partition_implILS5_5ELb0ES3_mN6thrust23THRUST_200600_302600_NS6detail15normal_iteratorINSA_10device_ptrIxEEEEPS6_NSA_18transform_iteratorINSB_9not_fun_tI7is_trueIxEEENSC_INSD_IbEEEENSA_11use_defaultESO_EENS0_5tupleIJNSA_16discard_iteratorISO_EES6_EEENSQ_IJSG_SG_EEES6_PlJS6_EEE10hipError_tPvRmT3_T4_T5_T6_T7_T9_mT8_P12ihipStream_tbDpT10_ENKUlT_T0_E_clISt17integral_constantIbLb1EES1F_EEDaS1A_S1B_EUlS1A_E_NS1_11comp_targetILNS1_3genE3ELNS1_11target_archE908ELNS1_3gpuE7ELNS1_3repE0EEENS1_30default_config_static_selectorELNS0_4arch9wavefront6targetE0EEEvT1_.has_indirect_call, 0
	.section	.AMDGPU.csdata,"",@progbits
; Kernel info:
; codeLenInByte = 0
; TotalNumSgprs: 0
; NumVgprs: 0
; ScratchSize: 0
; MemoryBound: 0
; FloatMode: 240
; IeeeMode: 1
; LDSByteSize: 0 bytes/workgroup (compile time only)
; SGPRBlocks: 0
; VGPRBlocks: 0
; NumSGPRsForWavesPerEU: 1
; NumVGPRsForWavesPerEU: 1
; Occupancy: 16
; WaveLimiterHint : 0
; COMPUTE_PGM_RSRC2:SCRATCH_EN: 0
; COMPUTE_PGM_RSRC2:USER_SGPR: 2
; COMPUTE_PGM_RSRC2:TRAP_HANDLER: 0
; COMPUTE_PGM_RSRC2:TGID_X_EN: 1
; COMPUTE_PGM_RSRC2:TGID_Y_EN: 0
; COMPUTE_PGM_RSRC2:TGID_Z_EN: 0
; COMPUTE_PGM_RSRC2:TIDIG_COMP_CNT: 0
	.section	.text._ZN7rocprim17ROCPRIM_400000_NS6detail17trampoline_kernelINS0_14default_configENS1_25partition_config_selectorILNS1_17partition_subalgoE5ExNS0_10empty_typeEbEEZZNS1_14partition_implILS5_5ELb0ES3_mN6thrust23THRUST_200600_302600_NS6detail15normal_iteratorINSA_10device_ptrIxEEEEPS6_NSA_18transform_iteratorINSB_9not_fun_tI7is_trueIxEEENSC_INSD_IbEEEENSA_11use_defaultESO_EENS0_5tupleIJNSA_16discard_iteratorISO_EES6_EEENSQ_IJSG_SG_EEES6_PlJS6_EEE10hipError_tPvRmT3_T4_T5_T6_T7_T9_mT8_P12ihipStream_tbDpT10_ENKUlT_T0_E_clISt17integral_constantIbLb1EES1F_EEDaS1A_S1B_EUlS1A_E_NS1_11comp_targetILNS1_3genE2ELNS1_11target_archE906ELNS1_3gpuE6ELNS1_3repE0EEENS1_30default_config_static_selectorELNS0_4arch9wavefront6targetE0EEEvT1_,"axG",@progbits,_ZN7rocprim17ROCPRIM_400000_NS6detail17trampoline_kernelINS0_14default_configENS1_25partition_config_selectorILNS1_17partition_subalgoE5ExNS0_10empty_typeEbEEZZNS1_14partition_implILS5_5ELb0ES3_mN6thrust23THRUST_200600_302600_NS6detail15normal_iteratorINSA_10device_ptrIxEEEEPS6_NSA_18transform_iteratorINSB_9not_fun_tI7is_trueIxEEENSC_INSD_IbEEEENSA_11use_defaultESO_EENS0_5tupleIJNSA_16discard_iteratorISO_EES6_EEENSQ_IJSG_SG_EEES6_PlJS6_EEE10hipError_tPvRmT3_T4_T5_T6_T7_T9_mT8_P12ihipStream_tbDpT10_ENKUlT_T0_E_clISt17integral_constantIbLb1EES1F_EEDaS1A_S1B_EUlS1A_E_NS1_11comp_targetILNS1_3genE2ELNS1_11target_archE906ELNS1_3gpuE6ELNS1_3repE0EEENS1_30default_config_static_selectorELNS0_4arch9wavefront6targetE0EEEvT1_,comdat
	.protected	_ZN7rocprim17ROCPRIM_400000_NS6detail17trampoline_kernelINS0_14default_configENS1_25partition_config_selectorILNS1_17partition_subalgoE5ExNS0_10empty_typeEbEEZZNS1_14partition_implILS5_5ELb0ES3_mN6thrust23THRUST_200600_302600_NS6detail15normal_iteratorINSA_10device_ptrIxEEEEPS6_NSA_18transform_iteratorINSB_9not_fun_tI7is_trueIxEEENSC_INSD_IbEEEENSA_11use_defaultESO_EENS0_5tupleIJNSA_16discard_iteratorISO_EES6_EEENSQ_IJSG_SG_EEES6_PlJS6_EEE10hipError_tPvRmT3_T4_T5_T6_T7_T9_mT8_P12ihipStream_tbDpT10_ENKUlT_T0_E_clISt17integral_constantIbLb1EES1F_EEDaS1A_S1B_EUlS1A_E_NS1_11comp_targetILNS1_3genE2ELNS1_11target_archE906ELNS1_3gpuE6ELNS1_3repE0EEENS1_30default_config_static_selectorELNS0_4arch9wavefront6targetE0EEEvT1_ ; -- Begin function _ZN7rocprim17ROCPRIM_400000_NS6detail17trampoline_kernelINS0_14default_configENS1_25partition_config_selectorILNS1_17partition_subalgoE5ExNS0_10empty_typeEbEEZZNS1_14partition_implILS5_5ELb0ES3_mN6thrust23THRUST_200600_302600_NS6detail15normal_iteratorINSA_10device_ptrIxEEEEPS6_NSA_18transform_iteratorINSB_9not_fun_tI7is_trueIxEEENSC_INSD_IbEEEENSA_11use_defaultESO_EENS0_5tupleIJNSA_16discard_iteratorISO_EES6_EEENSQ_IJSG_SG_EEES6_PlJS6_EEE10hipError_tPvRmT3_T4_T5_T6_T7_T9_mT8_P12ihipStream_tbDpT10_ENKUlT_T0_E_clISt17integral_constantIbLb1EES1F_EEDaS1A_S1B_EUlS1A_E_NS1_11comp_targetILNS1_3genE2ELNS1_11target_archE906ELNS1_3gpuE6ELNS1_3repE0EEENS1_30default_config_static_selectorELNS0_4arch9wavefront6targetE0EEEvT1_
	.globl	_ZN7rocprim17ROCPRIM_400000_NS6detail17trampoline_kernelINS0_14default_configENS1_25partition_config_selectorILNS1_17partition_subalgoE5ExNS0_10empty_typeEbEEZZNS1_14partition_implILS5_5ELb0ES3_mN6thrust23THRUST_200600_302600_NS6detail15normal_iteratorINSA_10device_ptrIxEEEEPS6_NSA_18transform_iteratorINSB_9not_fun_tI7is_trueIxEEENSC_INSD_IbEEEENSA_11use_defaultESO_EENS0_5tupleIJNSA_16discard_iteratorISO_EES6_EEENSQ_IJSG_SG_EEES6_PlJS6_EEE10hipError_tPvRmT3_T4_T5_T6_T7_T9_mT8_P12ihipStream_tbDpT10_ENKUlT_T0_E_clISt17integral_constantIbLb1EES1F_EEDaS1A_S1B_EUlS1A_E_NS1_11comp_targetILNS1_3genE2ELNS1_11target_archE906ELNS1_3gpuE6ELNS1_3repE0EEENS1_30default_config_static_selectorELNS0_4arch9wavefront6targetE0EEEvT1_
	.p2align	8
	.type	_ZN7rocprim17ROCPRIM_400000_NS6detail17trampoline_kernelINS0_14default_configENS1_25partition_config_selectorILNS1_17partition_subalgoE5ExNS0_10empty_typeEbEEZZNS1_14partition_implILS5_5ELb0ES3_mN6thrust23THRUST_200600_302600_NS6detail15normal_iteratorINSA_10device_ptrIxEEEEPS6_NSA_18transform_iteratorINSB_9not_fun_tI7is_trueIxEEENSC_INSD_IbEEEENSA_11use_defaultESO_EENS0_5tupleIJNSA_16discard_iteratorISO_EES6_EEENSQ_IJSG_SG_EEES6_PlJS6_EEE10hipError_tPvRmT3_T4_T5_T6_T7_T9_mT8_P12ihipStream_tbDpT10_ENKUlT_T0_E_clISt17integral_constantIbLb1EES1F_EEDaS1A_S1B_EUlS1A_E_NS1_11comp_targetILNS1_3genE2ELNS1_11target_archE906ELNS1_3gpuE6ELNS1_3repE0EEENS1_30default_config_static_selectorELNS0_4arch9wavefront6targetE0EEEvT1_,@function
_ZN7rocprim17ROCPRIM_400000_NS6detail17trampoline_kernelINS0_14default_configENS1_25partition_config_selectorILNS1_17partition_subalgoE5ExNS0_10empty_typeEbEEZZNS1_14partition_implILS5_5ELb0ES3_mN6thrust23THRUST_200600_302600_NS6detail15normal_iteratorINSA_10device_ptrIxEEEEPS6_NSA_18transform_iteratorINSB_9not_fun_tI7is_trueIxEEENSC_INSD_IbEEEENSA_11use_defaultESO_EENS0_5tupleIJNSA_16discard_iteratorISO_EES6_EEENSQ_IJSG_SG_EEES6_PlJS6_EEE10hipError_tPvRmT3_T4_T5_T6_T7_T9_mT8_P12ihipStream_tbDpT10_ENKUlT_T0_E_clISt17integral_constantIbLb1EES1F_EEDaS1A_S1B_EUlS1A_E_NS1_11comp_targetILNS1_3genE2ELNS1_11target_archE906ELNS1_3gpuE6ELNS1_3repE0EEENS1_30default_config_static_selectorELNS0_4arch9wavefront6targetE0EEEvT1_: ; @_ZN7rocprim17ROCPRIM_400000_NS6detail17trampoline_kernelINS0_14default_configENS1_25partition_config_selectorILNS1_17partition_subalgoE5ExNS0_10empty_typeEbEEZZNS1_14partition_implILS5_5ELb0ES3_mN6thrust23THRUST_200600_302600_NS6detail15normal_iteratorINSA_10device_ptrIxEEEEPS6_NSA_18transform_iteratorINSB_9not_fun_tI7is_trueIxEEENSC_INSD_IbEEEENSA_11use_defaultESO_EENS0_5tupleIJNSA_16discard_iteratorISO_EES6_EEENSQ_IJSG_SG_EEES6_PlJS6_EEE10hipError_tPvRmT3_T4_T5_T6_T7_T9_mT8_P12ihipStream_tbDpT10_ENKUlT_T0_E_clISt17integral_constantIbLb1EES1F_EEDaS1A_S1B_EUlS1A_E_NS1_11comp_targetILNS1_3genE2ELNS1_11target_archE906ELNS1_3gpuE6ELNS1_3repE0EEENS1_30default_config_static_selectorELNS0_4arch9wavefront6targetE0EEEvT1_
; %bb.0:
	.section	.rodata,"a",@progbits
	.p2align	6, 0x0
	.amdhsa_kernel _ZN7rocprim17ROCPRIM_400000_NS6detail17trampoline_kernelINS0_14default_configENS1_25partition_config_selectorILNS1_17partition_subalgoE5ExNS0_10empty_typeEbEEZZNS1_14partition_implILS5_5ELb0ES3_mN6thrust23THRUST_200600_302600_NS6detail15normal_iteratorINSA_10device_ptrIxEEEEPS6_NSA_18transform_iteratorINSB_9not_fun_tI7is_trueIxEEENSC_INSD_IbEEEENSA_11use_defaultESO_EENS0_5tupleIJNSA_16discard_iteratorISO_EES6_EEENSQ_IJSG_SG_EEES6_PlJS6_EEE10hipError_tPvRmT3_T4_T5_T6_T7_T9_mT8_P12ihipStream_tbDpT10_ENKUlT_T0_E_clISt17integral_constantIbLb1EES1F_EEDaS1A_S1B_EUlS1A_E_NS1_11comp_targetILNS1_3genE2ELNS1_11target_archE906ELNS1_3gpuE6ELNS1_3repE0EEENS1_30default_config_static_selectorELNS0_4arch9wavefront6targetE0EEEvT1_
		.amdhsa_group_segment_fixed_size 0
		.amdhsa_private_segment_fixed_size 0
		.amdhsa_kernarg_size 144
		.amdhsa_user_sgpr_count 2
		.amdhsa_user_sgpr_dispatch_ptr 0
		.amdhsa_user_sgpr_queue_ptr 0
		.amdhsa_user_sgpr_kernarg_segment_ptr 1
		.amdhsa_user_sgpr_dispatch_id 0
		.amdhsa_user_sgpr_private_segment_size 0
		.amdhsa_wavefront_size32 1
		.amdhsa_uses_dynamic_stack 0
		.amdhsa_enable_private_segment 0
		.amdhsa_system_sgpr_workgroup_id_x 1
		.amdhsa_system_sgpr_workgroup_id_y 0
		.amdhsa_system_sgpr_workgroup_id_z 0
		.amdhsa_system_sgpr_workgroup_info 0
		.amdhsa_system_vgpr_workitem_id 0
		.amdhsa_next_free_vgpr 1
		.amdhsa_next_free_sgpr 1
		.amdhsa_reserve_vcc 0
		.amdhsa_float_round_mode_32 0
		.amdhsa_float_round_mode_16_64 0
		.amdhsa_float_denorm_mode_32 3
		.amdhsa_float_denorm_mode_16_64 3
		.amdhsa_fp16_overflow 0
		.amdhsa_workgroup_processor_mode 1
		.amdhsa_memory_ordered 1
		.amdhsa_forward_progress 1
		.amdhsa_inst_pref_size 0
		.amdhsa_round_robin_scheduling 0
		.amdhsa_exception_fp_ieee_invalid_op 0
		.amdhsa_exception_fp_denorm_src 0
		.amdhsa_exception_fp_ieee_div_zero 0
		.amdhsa_exception_fp_ieee_overflow 0
		.amdhsa_exception_fp_ieee_underflow 0
		.amdhsa_exception_fp_ieee_inexact 0
		.amdhsa_exception_int_div_zero 0
	.end_amdhsa_kernel
	.section	.text._ZN7rocprim17ROCPRIM_400000_NS6detail17trampoline_kernelINS0_14default_configENS1_25partition_config_selectorILNS1_17partition_subalgoE5ExNS0_10empty_typeEbEEZZNS1_14partition_implILS5_5ELb0ES3_mN6thrust23THRUST_200600_302600_NS6detail15normal_iteratorINSA_10device_ptrIxEEEEPS6_NSA_18transform_iteratorINSB_9not_fun_tI7is_trueIxEEENSC_INSD_IbEEEENSA_11use_defaultESO_EENS0_5tupleIJNSA_16discard_iteratorISO_EES6_EEENSQ_IJSG_SG_EEES6_PlJS6_EEE10hipError_tPvRmT3_T4_T5_T6_T7_T9_mT8_P12ihipStream_tbDpT10_ENKUlT_T0_E_clISt17integral_constantIbLb1EES1F_EEDaS1A_S1B_EUlS1A_E_NS1_11comp_targetILNS1_3genE2ELNS1_11target_archE906ELNS1_3gpuE6ELNS1_3repE0EEENS1_30default_config_static_selectorELNS0_4arch9wavefront6targetE0EEEvT1_,"axG",@progbits,_ZN7rocprim17ROCPRIM_400000_NS6detail17trampoline_kernelINS0_14default_configENS1_25partition_config_selectorILNS1_17partition_subalgoE5ExNS0_10empty_typeEbEEZZNS1_14partition_implILS5_5ELb0ES3_mN6thrust23THRUST_200600_302600_NS6detail15normal_iteratorINSA_10device_ptrIxEEEEPS6_NSA_18transform_iteratorINSB_9not_fun_tI7is_trueIxEEENSC_INSD_IbEEEENSA_11use_defaultESO_EENS0_5tupleIJNSA_16discard_iteratorISO_EES6_EEENSQ_IJSG_SG_EEES6_PlJS6_EEE10hipError_tPvRmT3_T4_T5_T6_T7_T9_mT8_P12ihipStream_tbDpT10_ENKUlT_T0_E_clISt17integral_constantIbLb1EES1F_EEDaS1A_S1B_EUlS1A_E_NS1_11comp_targetILNS1_3genE2ELNS1_11target_archE906ELNS1_3gpuE6ELNS1_3repE0EEENS1_30default_config_static_selectorELNS0_4arch9wavefront6targetE0EEEvT1_,comdat
.Lfunc_end2761:
	.size	_ZN7rocprim17ROCPRIM_400000_NS6detail17trampoline_kernelINS0_14default_configENS1_25partition_config_selectorILNS1_17partition_subalgoE5ExNS0_10empty_typeEbEEZZNS1_14partition_implILS5_5ELb0ES3_mN6thrust23THRUST_200600_302600_NS6detail15normal_iteratorINSA_10device_ptrIxEEEEPS6_NSA_18transform_iteratorINSB_9not_fun_tI7is_trueIxEEENSC_INSD_IbEEEENSA_11use_defaultESO_EENS0_5tupleIJNSA_16discard_iteratorISO_EES6_EEENSQ_IJSG_SG_EEES6_PlJS6_EEE10hipError_tPvRmT3_T4_T5_T6_T7_T9_mT8_P12ihipStream_tbDpT10_ENKUlT_T0_E_clISt17integral_constantIbLb1EES1F_EEDaS1A_S1B_EUlS1A_E_NS1_11comp_targetILNS1_3genE2ELNS1_11target_archE906ELNS1_3gpuE6ELNS1_3repE0EEENS1_30default_config_static_selectorELNS0_4arch9wavefront6targetE0EEEvT1_, .Lfunc_end2761-_ZN7rocprim17ROCPRIM_400000_NS6detail17trampoline_kernelINS0_14default_configENS1_25partition_config_selectorILNS1_17partition_subalgoE5ExNS0_10empty_typeEbEEZZNS1_14partition_implILS5_5ELb0ES3_mN6thrust23THRUST_200600_302600_NS6detail15normal_iteratorINSA_10device_ptrIxEEEEPS6_NSA_18transform_iteratorINSB_9not_fun_tI7is_trueIxEEENSC_INSD_IbEEEENSA_11use_defaultESO_EENS0_5tupleIJNSA_16discard_iteratorISO_EES6_EEENSQ_IJSG_SG_EEES6_PlJS6_EEE10hipError_tPvRmT3_T4_T5_T6_T7_T9_mT8_P12ihipStream_tbDpT10_ENKUlT_T0_E_clISt17integral_constantIbLb1EES1F_EEDaS1A_S1B_EUlS1A_E_NS1_11comp_targetILNS1_3genE2ELNS1_11target_archE906ELNS1_3gpuE6ELNS1_3repE0EEENS1_30default_config_static_selectorELNS0_4arch9wavefront6targetE0EEEvT1_
                                        ; -- End function
	.set _ZN7rocprim17ROCPRIM_400000_NS6detail17trampoline_kernelINS0_14default_configENS1_25partition_config_selectorILNS1_17partition_subalgoE5ExNS0_10empty_typeEbEEZZNS1_14partition_implILS5_5ELb0ES3_mN6thrust23THRUST_200600_302600_NS6detail15normal_iteratorINSA_10device_ptrIxEEEEPS6_NSA_18transform_iteratorINSB_9not_fun_tI7is_trueIxEEENSC_INSD_IbEEEENSA_11use_defaultESO_EENS0_5tupleIJNSA_16discard_iteratorISO_EES6_EEENSQ_IJSG_SG_EEES6_PlJS6_EEE10hipError_tPvRmT3_T4_T5_T6_T7_T9_mT8_P12ihipStream_tbDpT10_ENKUlT_T0_E_clISt17integral_constantIbLb1EES1F_EEDaS1A_S1B_EUlS1A_E_NS1_11comp_targetILNS1_3genE2ELNS1_11target_archE906ELNS1_3gpuE6ELNS1_3repE0EEENS1_30default_config_static_selectorELNS0_4arch9wavefront6targetE0EEEvT1_.num_vgpr, 0
	.set _ZN7rocprim17ROCPRIM_400000_NS6detail17trampoline_kernelINS0_14default_configENS1_25partition_config_selectorILNS1_17partition_subalgoE5ExNS0_10empty_typeEbEEZZNS1_14partition_implILS5_5ELb0ES3_mN6thrust23THRUST_200600_302600_NS6detail15normal_iteratorINSA_10device_ptrIxEEEEPS6_NSA_18transform_iteratorINSB_9not_fun_tI7is_trueIxEEENSC_INSD_IbEEEENSA_11use_defaultESO_EENS0_5tupleIJNSA_16discard_iteratorISO_EES6_EEENSQ_IJSG_SG_EEES6_PlJS6_EEE10hipError_tPvRmT3_T4_T5_T6_T7_T9_mT8_P12ihipStream_tbDpT10_ENKUlT_T0_E_clISt17integral_constantIbLb1EES1F_EEDaS1A_S1B_EUlS1A_E_NS1_11comp_targetILNS1_3genE2ELNS1_11target_archE906ELNS1_3gpuE6ELNS1_3repE0EEENS1_30default_config_static_selectorELNS0_4arch9wavefront6targetE0EEEvT1_.num_agpr, 0
	.set _ZN7rocprim17ROCPRIM_400000_NS6detail17trampoline_kernelINS0_14default_configENS1_25partition_config_selectorILNS1_17partition_subalgoE5ExNS0_10empty_typeEbEEZZNS1_14partition_implILS5_5ELb0ES3_mN6thrust23THRUST_200600_302600_NS6detail15normal_iteratorINSA_10device_ptrIxEEEEPS6_NSA_18transform_iteratorINSB_9not_fun_tI7is_trueIxEEENSC_INSD_IbEEEENSA_11use_defaultESO_EENS0_5tupleIJNSA_16discard_iteratorISO_EES6_EEENSQ_IJSG_SG_EEES6_PlJS6_EEE10hipError_tPvRmT3_T4_T5_T6_T7_T9_mT8_P12ihipStream_tbDpT10_ENKUlT_T0_E_clISt17integral_constantIbLb1EES1F_EEDaS1A_S1B_EUlS1A_E_NS1_11comp_targetILNS1_3genE2ELNS1_11target_archE906ELNS1_3gpuE6ELNS1_3repE0EEENS1_30default_config_static_selectorELNS0_4arch9wavefront6targetE0EEEvT1_.numbered_sgpr, 0
	.set _ZN7rocprim17ROCPRIM_400000_NS6detail17trampoline_kernelINS0_14default_configENS1_25partition_config_selectorILNS1_17partition_subalgoE5ExNS0_10empty_typeEbEEZZNS1_14partition_implILS5_5ELb0ES3_mN6thrust23THRUST_200600_302600_NS6detail15normal_iteratorINSA_10device_ptrIxEEEEPS6_NSA_18transform_iteratorINSB_9not_fun_tI7is_trueIxEEENSC_INSD_IbEEEENSA_11use_defaultESO_EENS0_5tupleIJNSA_16discard_iteratorISO_EES6_EEENSQ_IJSG_SG_EEES6_PlJS6_EEE10hipError_tPvRmT3_T4_T5_T6_T7_T9_mT8_P12ihipStream_tbDpT10_ENKUlT_T0_E_clISt17integral_constantIbLb1EES1F_EEDaS1A_S1B_EUlS1A_E_NS1_11comp_targetILNS1_3genE2ELNS1_11target_archE906ELNS1_3gpuE6ELNS1_3repE0EEENS1_30default_config_static_selectorELNS0_4arch9wavefront6targetE0EEEvT1_.num_named_barrier, 0
	.set _ZN7rocprim17ROCPRIM_400000_NS6detail17trampoline_kernelINS0_14default_configENS1_25partition_config_selectorILNS1_17partition_subalgoE5ExNS0_10empty_typeEbEEZZNS1_14partition_implILS5_5ELb0ES3_mN6thrust23THRUST_200600_302600_NS6detail15normal_iteratorINSA_10device_ptrIxEEEEPS6_NSA_18transform_iteratorINSB_9not_fun_tI7is_trueIxEEENSC_INSD_IbEEEENSA_11use_defaultESO_EENS0_5tupleIJNSA_16discard_iteratorISO_EES6_EEENSQ_IJSG_SG_EEES6_PlJS6_EEE10hipError_tPvRmT3_T4_T5_T6_T7_T9_mT8_P12ihipStream_tbDpT10_ENKUlT_T0_E_clISt17integral_constantIbLb1EES1F_EEDaS1A_S1B_EUlS1A_E_NS1_11comp_targetILNS1_3genE2ELNS1_11target_archE906ELNS1_3gpuE6ELNS1_3repE0EEENS1_30default_config_static_selectorELNS0_4arch9wavefront6targetE0EEEvT1_.private_seg_size, 0
	.set _ZN7rocprim17ROCPRIM_400000_NS6detail17trampoline_kernelINS0_14default_configENS1_25partition_config_selectorILNS1_17partition_subalgoE5ExNS0_10empty_typeEbEEZZNS1_14partition_implILS5_5ELb0ES3_mN6thrust23THRUST_200600_302600_NS6detail15normal_iteratorINSA_10device_ptrIxEEEEPS6_NSA_18transform_iteratorINSB_9not_fun_tI7is_trueIxEEENSC_INSD_IbEEEENSA_11use_defaultESO_EENS0_5tupleIJNSA_16discard_iteratorISO_EES6_EEENSQ_IJSG_SG_EEES6_PlJS6_EEE10hipError_tPvRmT3_T4_T5_T6_T7_T9_mT8_P12ihipStream_tbDpT10_ENKUlT_T0_E_clISt17integral_constantIbLb1EES1F_EEDaS1A_S1B_EUlS1A_E_NS1_11comp_targetILNS1_3genE2ELNS1_11target_archE906ELNS1_3gpuE6ELNS1_3repE0EEENS1_30default_config_static_selectorELNS0_4arch9wavefront6targetE0EEEvT1_.uses_vcc, 0
	.set _ZN7rocprim17ROCPRIM_400000_NS6detail17trampoline_kernelINS0_14default_configENS1_25partition_config_selectorILNS1_17partition_subalgoE5ExNS0_10empty_typeEbEEZZNS1_14partition_implILS5_5ELb0ES3_mN6thrust23THRUST_200600_302600_NS6detail15normal_iteratorINSA_10device_ptrIxEEEEPS6_NSA_18transform_iteratorINSB_9not_fun_tI7is_trueIxEEENSC_INSD_IbEEEENSA_11use_defaultESO_EENS0_5tupleIJNSA_16discard_iteratorISO_EES6_EEENSQ_IJSG_SG_EEES6_PlJS6_EEE10hipError_tPvRmT3_T4_T5_T6_T7_T9_mT8_P12ihipStream_tbDpT10_ENKUlT_T0_E_clISt17integral_constantIbLb1EES1F_EEDaS1A_S1B_EUlS1A_E_NS1_11comp_targetILNS1_3genE2ELNS1_11target_archE906ELNS1_3gpuE6ELNS1_3repE0EEENS1_30default_config_static_selectorELNS0_4arch9wavefront6targetE0EEEvT1_.uses_flat_scratch, 0
	.set _ZN7rocprim17ROCPRIM_400000_NS6detail17trampoline_kernelINS0_14default_configENS1_25partition_config_selectorILNS1_17partition_subalgoE5ExNS0_10empty_typeEbEEZZNS1_14partition_implILS5_5ELb0ES3_mN6thrust23THRUST_200600_302600_NS6detail15normal_iteratorINSA_10device_ptrIxEEEEPS6_NSA_18transform_iteratorINSB_9not_fun_tI7is_trueIxEEENSC_INSD_IbEEEENSA_11use_defaultESO_EENS0_5tupleIJNSA_16discard_iteratorISO_EES6_EEENSQ_IJSG_SG_EEES6_PlJS6_EEE10hipError_tPvRmT3_T4_T5_T6_T7_T9_mT8_P12ihipStream_tbDpT10_ENKUlT_T0_E_clISt17integral_constantIbLb1EES1F_EEDaS1A_S1B_EUlS1A_E_NS1_11comp_targetILNS1_3genE2ELNS1_11target_archE906ELNS1_3gpuE6ELNS1_3repE0EEENS1_30default_config_static_selectorELNS0_4arch9wavefront6targetE0EEEvT1_.has_dyn_sized_stack, 0
	.set _ZN7rocprim17ROCPRIM_400000_NS6detail17trampoline_kernelINS0_14default_configENS1_25partition_config_selectorILNS1_17partition_subalgoE5ExNS0_10empty_typeEbEEZZNS1_14partition_implILS5_5ELb0ES3_mN6thrust23THRUST_200600_302600_NS6detail15normal_iteratorINSA_10device_ptrIxEEEEPS6_NSA_18transform_iteratorINSB_9not_fun_tI7is_trueIxEEENSC_INSD_IbEEEENSA_11use_defaultESO_EENS0_5tupleIJNSA_16discard_iteratorISO_EES6_EEENSQ_IJSG_SG_EEES6_PlJS6_EEE10hipError_tPvRmT3_T4_T5_T6_T7_T9_mT8_P12ihipStream_tbDpT10_ENKUlT_T0_E_clISt17integral_constantIbLb1EES1F_EEDaS1A_S1B_EUlS1A_E_NS1_11comp_targetILNS1_3genE2ELNS1_11target_archE906ELNS1_3gpuE6ELNS1_3repE0EEENS1_30default_config_static_selectorELNS0_4arch9wavefront6targetE0EEEvT1_.has_recursion, 0
	.set _ZN7rocprim17ROCPRIM_400000_NS6detail17trampoline_kernelINS0_14default_configENS1_25partition_config_selectorILNS1_17partition_subalgoE5ExNS0_10empty_typeEbEEZZNS1_14partition_implILS5_5ELb0ES3_mN6thrust23THRUST_200600_302600_NS6detail15normal_iteratorINSA_10device_ptrIxEEEEPS6_NSA_18transform_iteratorINSB_9not_fun_tI7is_trueIxEEENSC_INSD_IbEEEENSA_11use_defaultESO_EENS0_5tupleIJNSA_16discard_iteratorISO_EES6_EEENSQ_IJSG_SG_EEES6_PlJS6_EEE10hipError_tPvRmT3_T4_T5_T6_T7_T9_mT8_P12ihipStream_tbDpT10_ENKUlT_T0_E_clISt17integral_constantIbLb1EES1F_EEDaS1A_S1B_EUlS1A_E_NS1_11comp_targetILNS1_3genE2ELNS1_11target_archE906ELNS1_3gpuE6ELNS1_3repE0EEENS1_30default_config_static_selectorELNS0_4arch9wavefront6targetE0EEEvT1_.has_indirect_call, 0
	.section	.AMDGPU.csdata,"",@progbits
; Kernel info:
; codeLenInByte = 0
; TotalNumSgprs: 0
; NumVgprs: 0
; ScratchSize: 0
; MemoryBound: 0
; FloatMode: 240
; IeeeMode: 1
; LDSByteSize: 0 bytes/workgroup (compile time only)
; SGPRBlocks: 0
; VGPRBlocks: 0
; NumSGPRsForWavesPerEU: 1
; NumVGPRsForWavesPerEU: 1
; Occupancy: 16
; WaveLimiterHint : 0
; COMPUTE_PGM_RSRC2:SCRATCH_EN: 0
; COMPUTE_PGM_RSRC2:USER_SGPR: 2
; COMPUTE_PGM_RSRC2:TRAP_HANDLER: 0
; COMPUTE_PGM_RSRC2:TGID_X_EN: 1
; COMPUTE_PGM_RSRC2:TGID_Y_EN: 0
; COMPUTE_PGM_RSRC2:TGID_Z_EN: 0
; COMPUTE_PGM_RSRC2:TIDIG_COMP_CNT: 0
	.section	.text._ZN7rocprim17ROCPRIM_400000_NS6detail17trampoline_kernelINS0_14default_configENS1_25partition_config_selectorILNS1_17partition_subalgoE5ExNS0_10empty_typeEbEEZZNS1_14partition_implILS5_5ELb0ES3_mN6thrust23THRUST_200600_302600_NS6detail15normal_iteratorINSA_10device_ptrIxEEEEPS6_NSA_18transform_iteratorINSB_9not_fun_tI7is_trueIxEEENSC_INSD_IbEEEENSA_11use_defaultESO_EENS0_5tupleIJNSA_16discard_iteratorISO_EES6_EEENSQ_IJSG_SG_EEES6_PlJS6_EEE10hipError_tPvRmT3_T4_T5_T6_T7_T9_mT8_P12ihipStream_tbDpT10_ENKUlT_T0_E_clISt17integral_constantIbLb1EES1F_EEDaS1A_S1B_EUlS1A_E_NS1_11comp_targetILNS1_3genE10ELNS1_11target_archE1200ELNS1_3gpuE4ELNS1_3repE0EEENS1_30default_config_static_selectorELNS0_4arch9wavefront6targetE0EEEvT1_,"axG",@progbits,_ZN7rocprim17ROCPRIM_400000_NS6detail17trampoline_kernelINS0_14default_configENS1_25partition_config_selectorILNS1_17partition_subalgoE5ExNS0_10empty_typeEbEEZZNS1_14partition_implILS5_5ELb0ES3_mN6thrust23THRUST_200600_302600_NS6detail15normal_iteratorINSA_10device_ptrIxEEEEPS6_NSA_18transform_iteratorINSB_9not_fun_tI7is_trueIxEEENSC_INSD_IbEEEENSA_11use_defaultESO_EENS0_5tupleIJNSA_16discard_iteratorISO_EES6_EEENSQ_IJSG_SG_EEES6_PlJS6_EEE10hipError_tPvRmT3_T4_T5_T6_T7_T9_mT8_P12ihipStream_tbDpT10_ENKUlT_T0_E_clISt17integral_constantIbLb1EES1F_EEDaS1A_S1B_EUlS1A_E_NS1_11comp_targetILNS1_3genE10ELNS1_11target_archE1200ELNS1_3gpuE4ELNS1_3repE0EEENS1_30default_config_static_selectorELNS0_4arch9wavefront6targetE0EEEvT1_,comdat
	.protected	_ZN7rocprim17ROCPRIM_400000_NS6detail17trampoline_kernelINS0_14default_configENS1_25partition_config_selectorILNS1_17partition_subalgoE5ExNS0_10empty_typeEbEEZZNS1_14partition_implILS5_5ELb0ES3_mN6thrust23THRUST_200600_302600_NS6detail15normal_iteratorINSA_10device_ptrIxEEEEPS6_NSA_18transform_iteratorINSB_9not_fun_tI7is_trueIxEEENSC_INSD_IbEEEENSA_11use_defaultESO_EENS0_5tupleIJNSA_16discard_iteratorISO_EES6_EEENSQ_IJSG_SG_EEES6_PlJS6_EEE10hipError_tPvRmT3_T4_T5_T6_T7_T9_mT8_P12ihipStream_tbDpT10_ENKUlT_T0_E_clISt17integral_constantIbLb1EES1F_EEDaS1A_S1B_EUlS1A_E_NS1_11comp_targetILNS1_3genE10ELNS1_11target_archE1200ELNS1_3gpuE4ELNS1_3repE0EEENS1_30default_config_static_selectorELNS0_4arch9wavefront6targetE0EEEvT1_ ; -- Begin function _ZN7rocprim17ROCPRIM_400000_NS6detail17trampoline_kernelINS0_14default_configENS1_25partition_config_selectorILNS1_17partition_subalgoE5ExNS0_10empty_typeEbEEZZNS1_14partition_implILS5_5ELb0ES3_mN6thrust23THRUST_200600_302600_NS6detail15normal_iteratorINSA_10device_ptrIxEEEEPS6_NSA_18transform_iteratorINSB_9not_fun_tI7is_trueIxEEENSC_INSD_IbEEEENSA_11use_defaultESO_EENS0_5tupleIJNSA_16discard_iteratorISO_EES6_EEENSQ_IJSG_SG_EEES6_PlJS6_EEE10hipError_tPvRmT3_T4_T5_T6_T7_T9_mT8_P12ihipStream_tbDpT10_ENKUlT_T0_E_clISt17integral_constantIbLb1EES1F_EEDaS1A_S1B_EUlS1A_E_NS1_11comp_targetILNS1_3genE10ELNS1_11target_archE1200ELNS1_3gpuE4ELNS1_3repE0EEENS1_30default_config_static_selectorELNS0_4arch9wavefront6targetE0EEEvT1_
	.globl	_ZN7rocprim17ROCPRIM_400000_NS6detail17trampoline_kernelINS0_14default_configENS1_25partition_config_selectorILNS1_17partition_subalgoE5ExNS0_10empty_typeEbEEZZNS1_14partition_implILS5_5ELb0ES3_mN6thrust23THRUST_200600_302600_NS6detail15normal_iteratorINSA_10device_ptrIxEEEEPS6_NSA_18transform_iteratorINSB_9not_fun_tI7is_trueIxEEENSC_INSD_IbEEEENSA_11use_defaultESO_EENS0_5tupleIJNSA_16discard_iteratorISO_EES6_EEENSQ_IJSG_SG_EEES6_PlJS6_EEE10hipError_tPvRmT3_T4_T5_T6_T7_T9_mT8_P12ihipStream_tbDpT10_ENKUlT_T0_E_clISt17integral_constantIbLb1EES1F_EEDaS1A_S1B_EUlS1A_E_NS1_11comp_targetILNS1_3genE10ELNS1_11target_archE1200ELNS1_3gpuE4ELNS1_3repE0EEENS1_30default_config_static_selectorELNS0_4arch9wavefront6targetE0EEEvT1_
	.p2align	8
	.type	_ZN7rocprim17ROCPRIM_400000_NS6detail17trampoline_kernelINS0_14default_configENS1_25partition_config_selectorILNS1_17partition_subalgoE5ExNS0_10empty_typeEbEEZZNS1_14partition_implILS5_5ELb0ES3_mN6thrust23THRUST_200600_302600_NS6detail15normal_iteratorINSA_10device_ptrIxEEEEPS6_NSA_18transform_iteratorINSB_9not_fun_tI7is_trueIxEEENSC_INSD_IbEEEENSA_11use_defaultESO_EENS0_5tupleIJNSA_16discard_iteratorISO_EES6_EEENSQ_IJSG_SG_EEES6_PlJS6_EEE10hipError_tPvRmT3_T4_T5_T6_T7_T9_mT8_P12ihipStream_tbDpT10_ENKUlT_T0_E_clISt17integral_constantIbLb1EES1F_EEDaS1A_S1B_EUlS1A_E_NS1_11comp_targetILNS1_3genE10ELNS1_11target_archE1200ELNS1_3gpuE4ELNS1_3repE0EEENS1_30default_config_static_selectorELNS0_4arch9wavefront6targetE0EEEvT1_,@function
_ZN7rocprim17ROCPRIM_400000_NS6detail17trampoline_kernelINS0_14default_configENS1_25partition_config_selectorILNS1_17partition_subalgoE5ExNS0_10empty_typeEbEEZZNS1_14partition_implILS5_5ELb0ES3_mN6thrust23THRUST_200600_302600_NS6detail15normal_iteratorINSA_10device_ptrIxEEEEPS6_NSA_18transform_iteratorINSB_9not_fun_tI7is_trueIxEEENSC_INSD_IbEEEENSA_11use_defaultESO_EENS0_5tupleIJNSA_16discard_iteratorISO_EES6_EEENSQ_IJSG_SG_EEES6_PlJS6_EEE10hipError_tPvRmT3_T4_T5_T6_T7_T9_mT8_P12ihipStream_tbDpT10_ENKUlT_T0_E_clISt17integral_constantIbLb1EES1F_EEDaS1A_S1B_EUlS1A_E_NS1_11comp_targetILNS1_3genE10ELNS1_11target_archE1200ELNS1_3gpuE4ELNS1_3repE0EEENS1_30default_config_static_selectorELNS0_4arch9wavefront6targetE0EEEvT1_: ; @_ZN7rocprim17ROCPRIM_400000_NS6detail17trampoline_kernelINS0_14default_configENS1_25partition_config_selectorILNS1_17partition_subalgoE5ExNS0_10empty_typeEbEEZZNS1_14partition_implILS5_5ELb0ES3_mN6thrust23THRUST_200600_302600_NS6detail15normal_iteratorINSA_10device_ptrIxEEEEPS6_NSA_18transform_iteratorINSB_9not_fun_tI7is_trueIxEEENSC_INSD_IbEEEENSA_11use_defaultESO_EENS0_5tupleIJNSA_16discard_iteratorISO_EES6_EEENSQ_IJSG_SG_EEES6_PlJS6_EEE10hipError_tPvRmT3_T4_T5_T6_T7_T9_mT8_P12ihipStream_tbDpT10_ENKUlT_T0_E_clISt17integral_constantIbLb1EES1F_EEDaS1A_S1B_EUlS1A_E_NS1_11comp_targetILNS1_3genE10ELNS1_11target_archE1200ELNS1_3gpuE4ELNS1_3repE0EEENS1_30default_config_static_selectorELNS0_4arch9wavefront6targetE0EEEvT1_
; %bb.0:
	s_endpgm
	.section	.rodata,"a",@progbits
	.p2align	6, 0x0
	.amdhsa_kernel _ZN7rocprim17ROCPRIM_400000_NS6detail17trampoline_kernelINS0_14default_configENS1_25partition_config_selectorILNS1_17partition_subalgoE5ExNS0_10empty_typeEbEEZZNS1_14partition_implILS5_5ELb0ES3_mN6thrust23THRUST_200600_302600_NS6detail15normal_iteratorINSA_10device_ptrIxEEEEPS6_NSA_18transform_iteratorINSB_9not_fun_tI7is_trueIxEEENSC_INSD_IbEEEENSA_11use_defaultESO_EENS0_5tupleIJNSA_16discard_iteratorISO_EES6_EEENSQ_IJSG_SG_EEES6_PlJS6_EEE10hipError_tPvRmT3_T4_T5_T6_T7_T9_mT8_P12ihipStream_tbDpT10_ENKUlT_T0_E_clISt17integral_constantIbLb1EES1F_EEDaS1A_S1B_EUlS1A_E_NS1_11comp_targetILNS1_3genE10ELNS1_11target_archE1200ELNS1_3gpuE4ELNS1_3repE0EEENS1_30default_config_static_selectorELNS0_4arch9wavefront6targetE0EEEvT1_
		.amdhsa_group_segment_fixed_size 0
		.amdhsa_private_segment_fixed_size 0
		.amdhsa_kernarg_size 144
		.amdhsa_user_sgpr_count 2
		.amdhsa_user_sgpr_dispatch_ptr 0
		.amdhsa_user_sgpr_queue_ptr 0
		.amdhsa_user_sgpr_kernarg_segment_ptr 1
		.amdhsa_user_sgpr_dispatch_id 0
		.amdhsa_user_sgpr_private_segment_size 0
		.amdhsa_wavefront_size32 1
		.amdhsa_uses_dynamic_stack 0
		.amdhsa_enable_private_segment 0
		.amdhsa_system_sgpr_workgroup_id_x 1
		.amdhsa_system_sgpr_workgroup_id_y 0
		.amdhsa_system_sgpr_workgroup_id_z 0
		.amdhsa_system_sgpr_workgroup_info 0
		.amdhsa_system_vgpr_workitem_id 0
		.amdhsa_next_free_vgpr 1
		.amdhsa_next_free_sgpr 1
		.amdhsa_reserve_vcc 0
		.amdhsa_float_round_mode_32 0
		.amdhsa_float_round_mode_16_64 0
		.amdhsa_float_denorm_mode_32 3
		.amdhsa_float_denorm_mode_16_64 3
		.amdhsa_fp16_overflow 0
		.amdhsa_workgroup_processor_mode 1
		.amdhsa_memory_ordered 1
		.amdhsa_forward_progress 1
		.amdhsa_inst_pref_size 1
		.amdhsa_round_robin_scheduling 0
		.amdhsa_exception_fp_ieee_invalid_op 0
		.amdhsa_exception_fp_denorm_src 0
		.amdhsa_exception_fp_ieee_div_zero 0
		.amdhsa_exception_fp_ieee_overflow 0
		.amdhsa_exception_fp_ieee_underflow 0
		.amdhsa_exception_fp_ieee_inexact 0
		.amdhsa_exception_int_div_zero 0
	.end_amdhsa_kernel
	.section	.text._ZN7rocprim17ROCPRIM_400000_NS6detail17trampoline_kernelINS0_14default_configENS1_25partition_config_selectorILNS1_17partition_subalgoE5ExNS0_10empty_typeEbEEZZNS1_14partition_implILS5_5ELb0ES3_mN6thrust23THRUST_200600_302600_NS6detail15normal_iteratorINSA_10device_ptrIxEEEEPS6_NSA_18transform_iteratorINSB_9not_fun_tI7is_trueIxEEENSC_INSD_IbEEEENSA_11use_defaultESO_EENS0_5tupleIJNSA_16discard_iteratorISO_EES6_EEENSQ_IJSG_SG_EEES6_PlJS6_EEE10hipError_tPvRmT3_T4_T5_T6_T7_T9_mT8_P12ihipStream_tbDpT10_ENKUlT_T0_E_clISt17integral_constantIbLb1EES1F_EEDaS1A_S1B_EUlS1A_E_NS1_11comp_targetILNS1_3genE10ELNS1_11target_archE1200ELNS1_3gpuE4ELNS1_3repE0EEENS1_30default_config_static_selectorELNS0_4arch9wavefront6targetE0EEEvT1_,"axG",@progbits,_ZN7rocprim17ROCPRIM_400000_NS6detail17trampoline_kernelINS0_14default_configENS1_25partition_config_selectorILNS1_17partition_subalgoE5ExNS0_10empty_typeEbEEZZNS1_14partition_implILS5_5ELb0ES3_mN6thrust23THRUST_200600_302600_NS6detail15normal_iteratorINSA_10device_ptrIxEEEEPS6_NSA_18transform_iteratorINSB_9not_fun_tI7is_trueIxEEENSC_INSD_IbEEEENSA_11use_defaultESO_EENS0_5tupleIJNSA_16discard_iteratorISO_EES6_EEENSQ_IJSG_SG_EEES6_PlJS6_EEE10hipError_tPvRmT3_T4_T5_T6_T7_T9_mT8_P12ihipStream_tbDpT10_ENKUlT_T0_E_clISt17integral_constantIbLb1EES1F_EEDaS1A_S1B_EUlS1A_E_NS1_11comp_targetILNS1_3genE10ELNS1_11target_archE1200ELNS1_3gpuE4ELNS1_3repE0EEENS1_30default_config_static_selectorELNS0_4arch9wavefront6targetE0EEEvT1_,comdat
.Lfunc_end2762:
	.size	_ZN7rocprim17ROCPRIM_400000_NS6detail17trampoline_kernelINS0_14default_configENS1_25partition_config_selectorILNS1_17partition_subalgoE5ExNS0_10empty_typeEbEEZZNS1_14partition_implILS5_5ELb0ES3_mN6thrust23THRUST_200600_302600_NS6detail15normal_iteratorINSA_10device_ptrIxEEEEPS6_NSA_18transform_iteratorINSB_9not_fun_tI7is_trueIxEEENSC_INSD_IbEEEENSA_11use_defaultESO_EENS0_5tupleIJNSA_16discard_iteratorISO_EES6_EEENSQ_IJSG_SG_EEES6_PlJS6_EEE10hipError_tPvRmT3_T4_T5_T6_T7_T9_mT8_P12ihipStream_tbDpT10_ENKUlT_T0_E_clISt17integral_constantIbLb1EES1F_EEDaS1A_S1B_EUlS1A_E_NS1_11comp_targetILNS1_3genE10ELNS1_11target_archE1200ELNS1_3gpuE4ELNS1_3repE0EEENS1_30default_config_static_selectorELNS0_4arch9wavefront6targetE0EEEvT1_, .Lfunc_end2762-_ZN7rocprim17ROCPRIM_400000_NS6detail17trampoline_kernelINS0_14default_configENS1_25partition_config_selectorILNS1_17partition_subalgoE5ExNS0_10empty_typeEbEEZZNS1_14partition_implILS5_5ELb0ES3_mN6thrust23THRUST_200600_302600_NS6detail15normal_iteratorINSA_10device_ptrIxEEEEPS6_NSA_18transform_iteratorINSB_9not_fun_tI7is_trueIxEEENSC_INSD_IbEEEENSA_11use_defaultESO_EENS0_5tupleIJNSA_16discard_iteratorISO_EES6_EEENSQ_IJSG_SG_EEES6_PlJS6_EEE10hipError_tPvRmT3_T4_T5_T6_T7_T9_mT8_P12ihipStream_tbDpT10_ENKUlT_T0_E_clISt17integral_constantIbLb1EES1F_EEDaS1A_S1B_EUlS1A_E_NS1_11comp_targetILNS1_3genE10ELNS1_11target_archE1200ELNS1_3gpuE4ELNS1_3repE0EEENS1_30default_config_static_selectorELNS0_4arch9wavefront6targetE0EEEvT1_
                                        ; -- End function
	.set _ZN7rocprim17ROCPRIM_400000_NS6detail17trampoline_kernelINS0_14default_configENS1_25partition_config_selectorILNS1_17partition_subalgoE5ExNS0_10empty_typeEbEEZZNS1_14partition_implILS5_5ELb0ES3_mN6thrust23THRUST_200600_302600_NS6detail15normal_iteratorINSA_10device_ptrIxEEEEPS6_NSA_18transform_iteratorINSB_9not_fun_tI7is_trueIxEEENSC_INSD_IbEEEENSA_11use_defaultESO_EENS0_5tupleIJNSA_16discard_iteratorISO_EES6_EEENSQ_IJSG_SG_EEES6_PlJS6_EEE10hipError_tPvRmT3_T4_T5_T6_T7_T9_mT8_P12ihipStream_tbDpT10_ENKUlT_T0_E_clISt17integral_constantIbLb1EES1F_EEDaS1A_S1B_EUlS1A_E_NS1_11comp_targetILNS1_3genE10ELNS1_11target_archE1200ELNS1_3gpuE4ELNS1_3repE0EEENS1_30default_config_static_selectorELNS0_4arch9wavefront6targetE0EEEvT1_.num_vgpr, 0
	.set _ZN7rocprim17ROCPRIM_400000_NS6detail17trampoline_kernelINS0_14default_configENS1_25partition_config_selectorILNS1_17partition_subalgoE5ExNS0_10empty_typeEbEEZZNS1_14partition_implILS5_5ELb0ES3_mN6thrust23THRUST_200600_302600_NS6detail15normal_iteratorINSA_10device_ptrIxEEEEPS6_NSA_18transform_iteratorINSB_9not_fun_tI7is_trueIxEEENSC_INSD_IbEEEENSA_11use_defaultESO_EENS0_5tupleIJNSA_16discard_iteratorISO_EES6_EEENSQ_IJSG_SG_EEES6_PlJS6_EEE10hipError_tPvRmT3_T4_T5_T6_T7_T9_mT8_P12ihipStream_tbDpT10_ENKUlT_T0_E_clISt17integral_constantIbLb1EES1F_EEDaS1A_S1B_EUlS1A_E_NS1_11comp_targetILNS1_3genE10ELNS1_11target_archE1200ELNS1_3gpuE4ELNS1_3repE0EEENS1_30default_config_static_selectorELNS0_4arch9wavefront6targetE0EEEvT1_.num_agpr, 0
	.set _ZN7rocprim17ROCPRIM_400000_NS6detail17trampoline_kernelINS0_14default_configENS1_25partition_config_selectorILNS1_17partition_subalgoE5ExNS0_10empty_typeEbEEZZNS1_14partition_implILS5_5ELb0ES3_mN6thrust23THRUST_200600_302600_NS6detail15normal_iteratorINSA_10device_ptrIxEEEEPS6_NSA_18transform_iteratorINSB_9not_fun_tI7is_trueIxEEENSC_INSD_IbEEEENSA_11use_defaultESO_EENS0_5tupleIJNSA_16discard_iteratorISO_EES6_EEENSQ_IJSG_SG_EEES6_PlJS6_EEE10hipError_tPvRmT3_T4_T5_T6_T7_T9_mT8_P12ihipStream_tbDpT10_ENKUlT_T0_E_clISt17integral_constantIbLb1EES1F_EEDaS1A_S1B_EUlS1A_E_NS1_11comp_targetILNS1_3genE10ELNS1_11target_archE1200ELNS1_3gpuE4ELNS1_3repE0EEENS1_30default_config_static_selectorELNS0_4arch9wavefront6targetE0EEEvT1_.numbered_sgpr, 0
	.set _ZN7rocprim17ROCPRIM_400000_NS6detail17trampoline_kernelINS0_14default_configENS1_25partition_config_selectorILNS1_17partition_subalgoE5ExNS0_10empty_typeEbEEZZNS1_14partition_implILS5_5ELb0ES3_mN6thrust23THRUST_200600_302600_NS6detail15normal_iteratorINSA_10device_ptrIxEEEEPS6_NSA_18transform_iteratorINSB_9not_fun_tI7is_trueIxEEENSC_INSD_IbEEEENSA_11use_defaultESO_EENS0_5tupleIJNSA_16discard_iteratorISO_EES6_EEENSQ_IJSG_SG_EEES6_PlJS6_EEE10hipError_tPvRmT3_T4_T5_T6_T7_T9_mT8_P12ihipStream_tbDpT10_ENKUlT_T0_E_clISt17integral_constantIbLb1EES1F_EEDaS1A_S1B_EUlS1A_E_NS1_11comp_targetILNS1_3genE10ELNS1_11target_archE1200ELNS1_3gpuE4ELNS1_3repE0EEENS1_30default_config_static_selectorELNS0_4arch9wavefront6targetE0EEEvT1_.num_named_barrier, 0
	.set _ZN7rocprim17ROCPRIM_400000_NS6detail17trampoline_kernelINS0_14default_configENS1_25partition_config_selectorILNS1_17partition_subalgoE5ExNS0_10empty_typeEbEEZZNS1_14partition_implILS5_5ELb0ES3_mN6thrust23THRUST_200600_302600_NS6detail15normal_iteratorINSA_10device_ptrIxEEEEPS6_NSA_18transform_iteratorINSB_9not_fun_tI7is_trueIxEEENSC_INSD_IbEEEENSA_11use_defaultESO_EENS0_5tupleIJNSA_16discard_iteratorISO_EES6_EEENSQ_IJSG_SG_EEES6_PlJS6_EEE10hipError_tPvRmT3_T4_T5_T6_T7_T9_mT8_P12ihipStream_tbDpT10_ENKUlT_T0_E_clISt17integral_constantIbLb1EES1F_EEDaS1A_S1B_EUlS1A_E_NS1_11comp_targetILNS1_3genE10ELNS1_11target_archE1200ELNS1_3gpuE4ELNS1_3repE0EEENS1_30default_config_static_selectorELNS0_4arch9wavefront6targetE0EEEvT1_.private_seg_size, 0
	.set _ZN7rocprim17ROCPRIM_400000_NS6detail17trampoline_kernelINS0_14default_configENS1_25partition_config_selectorILNS1_17partition_subalgoE5ExNS0_10empty_typeEbEEZZNS1_14partition_implILS5_5ELb0ES3_mN6thrust23THRUST_200600_302600_NS6detail15normal_iteratorINSA_10device_ptrIxEEEEPS6_NSA_18transform_iteratorINSB_9not_fun_tI7is_trueIxEEENSC_INSD_IbEEEENSA_11use_defaultESO_EENS0_5tupleIJNSA_16discard_iteratorISO_EES6_EEENSQ_IJSG_SG_EEES6_PlJS6_EEE10hipError_tPvRmT3_T4_T5_T6_T7_T9_mT8_P12ihipStream_tbDpT10_ENKUlT_T0_E_clISt17integral_constantIbLb1EES1F_EEDaS1A_S1B_EUlS1A_E_NS1_11comp_targetILNS1_3genE10ELNS1_11target_archE1200ELNS1_3gpuE4ELNS1_3repE0EEENS1_30default_config_static_selectorELNS0_4arch9wavefront6targetE0EEEvT1_.uses_vcc, 0
	.set _ZN7rocprim17ROCPRIM_400000_NS6detail17trampoline_kernelINS0_14default_configENS1_25partition_config_selectorILNS1_17partition_subalgoE5ExNS0_10empty_typeEbEEZZNS1_14partition_implILS5_5ELb0ES3_mN6thrust23THRUST_200600_302600_NS6detail15normal_iteratorINSA_10device_ptrIxEEEEPS6_NSA_18transform_iteratorINSB_9not_fun_tI7is_trueIxEEENSC_INSD_IbEEEENSA_11use_defaultESO_EENS0_5tupleIJNSA_16discard_iteratorISO_EES6_EEENSQ_IJSG_SG_EEES6_PlJS6_EEE10hipError_tPvRmT3_T4_T5_T6_T7_T9_mT8_P12ihipStream_tbDpT10_ENKUlT_T0_E_clISt17integral_constantIbLb1EES1F_EEDaS1A_S1B_EUlS1A_E_NS1_11comp_targetILNS1_3genE10ELNS1_11target_archE1200ELNS1_3gpuE4ELNS1_3repE0EEENS1_30default_config_static_selectorELNS0_4arch9wavefront6targetE0EEEvT1_.uses_flat_scratch, 0
	.set _ZN7rocprim17ROCPRIM_400000_NS6detail17trampoline_kernelINS0_14default_configENS1_25partition_config_selectorILNS1_17partition_subalgoE5ExNS0_10empty_typeEbEEZZNS1_14partition_implILS5_5ELb0ES3_mN6thrust23THRUST_200600_302600_NS6detail15normal_iteratorINSA_10device_ptrIxEEEEPS6_NSA_18transform_iteratorINSB_9not_fun_tI7is_trueIxEEENSC_INSD_IbEEEENSA_11use_defaultESO_EENS0_5tupleIJNSA_16discard_iteratorISO_EES6_EEENSQ_IJSG_SG_EEES6_PlJS6_EEE10hipError_tPvRmT3_T4_T5_T6_T7_T9_mT8_P12ihipStream_tbDpT10_ENKUlT_T0_E_clISt17integral_constantIbLb1EES1F_EEDaS1A_S1B_EUlS1A_E_NS1_11comp_targetILNS1_3genE10ELNS1_11target_archE1200ELNS1_3gpuE4ELNS1_3repE0EEENS1_30default_config_static_selectorELNS0_4arch9wavefront6targetE0EEEvT1_.has_dyn_sized_stack, 0
	.set _ZN7rocprim17ROCPRIM_400000_NS6detail17trampoline_kernelINS0_14default_configENS1_25partition_config_selectorILNS1_17partition_subalgoE5ExNS0_10empty_typeEbEEZZNS1_14partition_implILS5_5ELb0ES3_mN6thrust23THRUST_200600_302600_NS6detail15normal_iteratorINSA_10device_ptrIxEEEEPS6_NSA_18transform_iteratorINSB_9not_fun_tI7is_trueIxEEENSC_INSD_IbEEEENSA_11use_defaultESO_EENS0_5tupleIJNSA_16discard_iteratorISO_EES6_EEENSQ_IJSG_SG_EEES6_PlJS6_EEE10hipError_tPvRmT3_T4_T5_T6_T7_T9_mT8_P12ihipStream_tbDpT10_ENKUlT_T0_E_clISt17integral_constantIbLb1EES1F_EEDaS1A_S1B_EUlS1A_E_NS1_11comp_targetILNS1_3genE10ELNS1_11target_archE1200ELNS1_3gpuE4ELNS1_3repE0EEENS1_30default_config_static_selectorELNS0_4arch9wavefront6targetE0EEEvT1_.has_recursion, 0
	.set _ZN7rocprim17ROCPRIM_400000_NS6detail17trampoline_kernelINS0_14default_configENS1_25partition_config_selectorILNS1_17partition_subalgoE5ExNS0_10empty_typeEbEEZZNS1_14partition_implILS5_5ELb0ES3_mN6thrust23THRUST_200600_302600_NS6detail15normal_iteratorINSA_10device_ptrIxEEEEPS6_NSA_18transform_iteratorINSB_9not_fun_tI7is_trueIxEEENSC_INSD_IbEEEENSA_11use_defaultESO_EENS0_5tupleIJNSA_16discard_iteratorISO_EES6_EEENSQ_IJSG_SG_EEES6_PlJS6_EEE10hipError_tPvRmT3_T4_T5_T6_T7_T9_mT8_P12ihipStream_tbDpT10_ENKUlT_T0_E_clISt17integral_constantIbLb1EES1F_EEDaS1A_S1B_EUlS1A_E_NS1_11comp_targetILNS1_3genE10ELNS1_11target_archE1200ELNS1_3gpuE4ELNS1_3repE0EEENS1_30default_config_static_selectorELNS0_4arch9wavefront6targetE0EEEvT1_.has_indirect_call, 0
	.section	.AMDGPU.csdata,"",@progbits
; Kernel info:
; codeLenInByte = 4
; TotalNumSgprs: 0
; NumVgprs: 0
; ScratchSize: 0
; MemoryBound: 0
; FloatMode: 240
; IeeeMode: 1
; LDSByteSize: 0 bytes/workgroup (compile time only)
; SGPRBlocks: 0
; VGPRBlocks: 0
; NumSGPRsForWavesPerEU: 1
; NumVGPRsForWavesPerEU: 1
; Occupancy: 16
; WaveLimiterHint : 0
; COMPUTE_PGM_RSRC2:SCRATCH_EN: 0
; COMPUTE_PGM_RSRC2:USER_SGPR: 2
; COMPUTE_PGM_RSRC2:TRAP_HANDLER: 0
; COMPUTE_PGM_RSRC2:TGID_X_EN: 1
; COMPUTE_PGM_RSRC2:TGID_Y_EN: 0
; COMPUTE_PGM_RSRC2:TGID_Z_EN: 0
; COMPUTE_PGM_RSRC2:TIDIG_COMP_CNT: 0
	.section	.text._ZN7rocprim17ROCPRIM_400000_NS6detail17trampoline_kernelINS0_14default_configENS1_25partition_config_selectorILNS1_17partition_subalgoE5ExNS0_10empty_typeEbEEZZNS1_14partition_implILS5_5ELb0ES3_mN6thrust23THRUST_200600_302600_NS6detail15normal_iteratorINSA_10device_ptrIxEEEEPS6_NSA_18transform_iteratorINSB_9not_fun_tI7is_trueIxEEENSC_INSD_IbEEEENSA_11use_defaultESO_EENS0_5tupleIJNSA_16discard_iteratorISO_EES6_EEENSQ_IJSG_SG_EEES6_PlJS6_EEE10hipError_tPvRmT3_T4_T5_T6_T7_T9_mT8_P12ihipStream_tbDpT10_ENKUlT_T0_E_clISt17integral_constantIbLb1EES1F_EEDaS1A_S1B_EUlS1A_E_NS1_11comp_targetILNS1_3genE9ELNS1_11target_archE1100ELNS1_3gpuE3ELNS1_3repE0EEENS1_30default_config_static_selectorELNS0_4arch9wavefront6targetE0EEEvT1_,"axG",@progbits,_ZN7rocprim17ROCPRIM_400000_NS6detail17trampoline_kernelINS0_14default_configENS1_25partition_config_selectorILNS1_17partition_subalgoE5ExNS0_10empty_typeEbEEZZNS1_14partition_implILS5_5ELb0ES3_mN6thrust23THRUST_200600_302600_NS6detail15normal_iteratorINSA_10device_ptrIxEEEEPS6_NSA_18transform_iteratorINSB_9not_fun_tI7is_trueIxEEENSC_INSD_IbEEEENSA_11use_defaultESO_EENS0_5tupleIJNSA_16discard_iteratorISO_EES6_EEENSQ_IJSG_SG_EEES6_PlJS6_EEE10hipError_tPvRmT3_T4_T5_T6_T7_T9_mT8_P12ihipStream_tbDpT10_ENKUlT_T0_E_clISt17integral_constantIbLb1EES1F_EEDaS1A_S1B_EUlS1A_E_NS1_11comp_targetILNS1_3genE9ELNS1_11target_archE1100ELNS1_3gpuE3ELNS1_3repE0EEENS1_30default_config_static_selectorELNS0_4arch9wavefront6targetE0EEEvT1_,comdat
	.protected	_ZN7rocprim17ROCPRIM_400000_NS6detail17trampoline_kernelINS0_14default_configENS1_25partition_config_selectorILNS1_17partition_subalgoE5ExNS0_10empty_typeEbEEZZNS1_14partition_implILS5_5ELb0ES3_mN6thrust23THRUST_200600_302600_NS6detail15normal_iteratorINSA_10device_ptrIxEEEEPS6_NSA_18transform_iteratorINSB_9not_fun_tI7is_trueIxEEENSC_INSD_IbEEEENSA_11use_defaultESO_EENS0_5tupleIJNSA_16discard_iteratorISO_EES6_EEENSQ_IJSG_SG_EEES6_PlJS6_EEE10hipError_tPvRmT3_T4_T5_T6_T7_T9_mT8_P12ihipStream_tbDpT10_ENKUlT_T0_E_clISt17integral_constantIbLb1EES1F_EEDaS1A_S1B_EUlS1A_E_NS1_11comp_targetILNS1_3genE9ELNS1_11target_archE1100ELNS1_3gpuE3ELNS1_3repE0EEENS1_30default_config_static_selectorELNS0_4arch9wavefront6targetE0EEEvT1_ ; -- Begin function _ZN7rocprim17ROCPRIM_400000_NS6detail17trampoline_kernelINS0_14default_configENS1_25partition_config_selectorILNS1_17partition_subalgoE5ExNS0_10empty_typeEbEEZZNS1_14partition_implILS5_5ELb0ES3_mN6thrust23THRUST_200600_302600_NS6detail15normal_iteratorINSA_10device_ptrIxEEEEPS6_NSA_18transform_iteratorINSB_9not_fun_tI7is_trueIxEEENSC_INSD_IbEEEENSA_11use_defaultESO_EENS0_5tupleIJNSA_16discard_iteratorISO_EES6_EEENSQ_IJSG_SG_EEES6_PlJS6_EEE10hipError_tPvRmT3_T4_T5_T6_T7_T9_mT8_P12ihipStream_tbDpT10_ENKUlT_T0_E_clISt17integral_constantIbLb1EES1F_EEDaS1A_S1B_EUlS1A_E_NS1_11comp_targetILNS1_3genE9ELNS1_11target_archE1100ELNS1_3gpuE3ELNS1_3repE0EEENS1_30default_config_static_selectorELNS0_4arch9wavefront6targetE0EEEvT1_
	.globl	_ZN7rocprim17ROCPRIM_400000_NS6detail17trampoline_kernelINS0_14default_configENS1_25partition_config_selectorILNS1_17partition_subalgoE5ExNS0_10empty_typeEbEEZZNS1_14partition_implILS5_5ELb0ES3_mN6thrust23THRUST_200600_302600_NS6detail15normal_iteratorINSA_10device_ptrIxEEEEPS6_NSA_18transform_iteratorINSB_9not_fun_tI7is_trueIxEEENSC_INSD_IbEEEENSA_11use_defaultESO_EENS0_5tupleIJNSA_16discard_iteratorISO_EES6_EEENSQ_IJSG_SG_EEES6_PlJS6_EEE10hipError_tPvRmT3_T4_T5_T6_T7_T9_mT8_P12ihipStream_tbDpT10_ENKUlT_T0_E_clISt17integral_constantIbLb1EES1F_EEDaS1A_S1B_EUlS1A_E_NS1_11comp_targetILNS1_3genE9ELNS1_11target_archE1100ELNS1_3gpuE3ELNS1_3repE0EEENS1_30default_config_static_selectorELNS0_4arch9wavefront6targetE0EEEvT1_
	.p2align	8
	.type	_ZN7rocprim17ROCPRIM_400000_NS6detail17trampoline_kernelINS0_14default_configENS1_25partition_config_selectorILNS1_17partition_subalgoE5ExNS0_10empty_typeEbEEZZNS1_14partition_implILS5_5ELb0ES3_mN6thrust23THRUST_200600_302600_NS6detail15normal_iteratorINSA_10device_ptrIxEEEEPS6_NSA_18transform_iteratorINSB_9not_fun_tI7is_trueIxEEENSC_INSD_IbEEEENSA_11use_defaultESO_EENS0_5tupleIJNSA_16discard_iteratorISO_EES6_EEENSQ_IJSG_SG_EEES6_PlJS6_EEE10hipError_tPvRmT3_T4_T5_T6_T7_T9_mT8_P12ihipStream_tbDpT10_ENKUlT_T0_E_clISt17integral_constantIbLb1EES1F_EEDaS1A_S1B_EUlS1A_E_NS1_11comp_targetILNS1_3genE9ELNS1_11target_archE1100ELNS1_3gpuE3ELNS1_3repE0EEENS1_30default_config_static_selectorELNS0_4arch9wavefront6targetE0EEEvT1_,@function
_ZN7rocprim17ROCPRIM_400000_NS6detail17trampoline_kernelINS0_14default_configENS1_25partition_config_selectorILNS1_17partition_subalgoE5ExNS0_10empty_typeEbEEZZNS1_14partition_implILS5_5ELb0ES3_mN6thrust23THRUST_200600_302600_NS6detail15normal_iteratorINSA_10device_ptrIxEEEEPS6_NSA_18transform_iteratorINSB_9not_fun_tI7is_trueIxEEENSC_INSD_IbEEEENSA_11use_defaultESO_EENS0_5tupleIJNSA_16discard_iteratorISO_EES6_EEENSQ_IJSG_SG_EEES6_PlJS6_EEE10hipError_tPvRmT3_T4_T5_T6_T7_T9_mT8_P12ihipStream_tbDpT10_ENKUlT_T0_E_clISt17integral_constantIbLb1EES1F_EEDaS1A_S1B_EUlS1A_E_NS1_11comp_targetILNS1_3genE9ELNS1_11target_archE1100ELNS1_3gpuE3ELNS1_3repE0EEENS1_30default_config_static_selectorELNS0_4arch9wavefront6targetE0EEEvT1_: ; @_ZN7rocprim17ROCPRIM_400000_NS6detail17trampoline_kernelINS0_14default_configENS1_25partition_config_selectorILNS1_17partition_subalgoE5ExNS0_10empty_typeEbEEZZNS1_14partition_implILS5_5ELb0ES3_mN6thrust23THRUST_200600_302600_NS6detail15normal_iteratorINSA_10device_ptrIxEEEEPS6_NSA_18transform_iteratorINSB_9not_fun_tI7is_trueIxEEENSC_INSD_IbEEEENSA_11use_defaultESO_EENS0_5tupleIJNSA_16discard_iteratorISO_EES6_EEENSQ_IJSG_SG_EEES6_PlJS6_EEE10hipError_tPvRmT3_T4_T5_T6_T7_T9_mT8_P12ihipStream_tbDpT10_ENKUlT_T0_E_clISt17integral_constantIbLb1EES1F_EEDaS1A_S1B_EUlS1A_E_NS1_11comp_targetILNS1_3genE9ELNS1_11target_archE1100ELNS1_3gpuE3ELNS1_3repE0EEENS1_30default_config_static_selectorELNS0_4arch9wavefront6targetE0EEEvT1_
; %bb.0:
	.section	.rodata,"a",@progbits
	.p2align	6, 0x0
	.amdhsa_kernel _ZN7rocprim17ROCPRIM_400000_NS6detail17trampoline_kernelINS0_14default_configENS1_25partition_config_selectorILNS1_17partition_subalgoE5ExNS0_10empty_typeEbEEZZNS1_14partition_implILS5_5ELb0ES3_mN6thrust23THRUST_200600_302600_NS6detail15normal_iteratorINSA_10device_ptrIxEEEEPS6_NSA_18transform_iteratorINSB_9not_fun_tI7is_trueIxEEENSC_INSD_IbEEEENSA_11use_defaultESO_EENS0_5tupleIJNSA_16discard_iteratorISO_EES6_EEENSQ_IJSG_SG_EEES6_PlJS6_EEE10hipError_tPvRmT3_T4_T5_T6_T7_T9_mT8_P12ihipStream_tbDpT10_ENKUlT_T0_E_clISt17integral_constantIbLb1EES1F_EEDaS1A_S1B_EUlS1A_E_NS1_11comp_targetILNS1_3genE9ELNS1_11target_archE1100ELNS1_3gpuE3ELNS1_3repE0EEENS1_30default_config_static_selectorELNS0_4arch9wavefront6targetE0EEEvT1_
		.amdhsa_group_segment_fixed_size 0
		.amdhsa_private_segment_fixed_size 0
		.amdhsa_kernarg_size 144
		.amdhsa_user_sgpr_count 2
		.amdhsa_user_sgpr_dispatch_ptr 0
		.amdhsa_user_sgpr_queue_ptr 0
		.amdhsa_user_sgpr_kernarg_segment_ptr 1
		.amdhsa_user_sgpr_dispatch_id 0
		.amdhsa_user_sgpr_private_segment_size 0
		.amdhsa_wavefront_size32 1
		.amdhsa_uses_dynamic_stack 0
		.amdhsa_enable_private_segment 0
		.amdhsa_system_sgpr_workgroup_id_x 1
		.amdhsa_system_sgpr_workgroup_id_y 0
		.amdhsa_system_sgpr_workgroup_id_z 0
		.amdhsa_system_sgpr_workgroup_info 0
		.amdhsa_system_vgpr_workitem_id 0
		.amdhsa_next_free_vgpr 1
		.amdhsa_next_free_sgpr 1
		.amdhsa_reserve_vcc 0
		.amdhsa_float_round_mode_32 0
		.amdhsa_float_round_mode_16_64 0
		.amdhsa_float_denorm_mode_32 3
		.amdhsa_float_denorm_mode_16_64 3
		.amdhsa_fp16_overflow 0
		.amdhsa_workgroup_processor_mode 1
		.amdhsa_memory_ordered 1
		.amdhsa_forward_progress 1
		.amdhsa_inst_pref_size 0
		.amdhsa_round_robin_scheduling 0
		.amdhsa_exception_fp_ieee_invalid_op 0
		.amdhsa_exception_fp_denorm_src 0
		.amdhsa_exception_fp_ieee_div_zero 0
		.amdhsa_exception_fp_ieee_overflow 0
		.amdhsa_exception_fp_ieee_underflow 0
		.amdhsa_exception_fp_ieee_inexact 0
		.amdhsa_exception_int_div_zero 0
	.end_amdhsa_kernel
	.section	.text._ZN7rocprim17ROCPRIM_400000_NS6detail17trampoline_kernelINS0_14default_configENS1_25partition_config_selectorILNS1_17partition_subalgoE5ExNS0_10empty_typeEbEEZZNS1_14partition_implILS5_5ELb0ES3_mN6thrust23THRUST_200600_302600_NS6detail15normal_iteratorINSA_10device_ptrIxEEEEPS6_NSA_18transform_iteratorINSB_9not_fun_tI7is_trueIxEEENSC_INSD_IbEEEENSA_11use_defaultESO_EENS0_5tupleIJNSA_16discard_iteratorISO_EES6_EEENSQ_IJSG_SG_EEES6_PlJS6_EEE10hipError_tPvRmT3_T4_T5_T6_T7_T9_mT8_P12ihipStream_tbDpT10_ENKUlT_T0_E_clISt17integral_constantIbLb1EES1F_EEDaS1A_S1B_EUlS1A_E_NS1_11comp_targetILNS1_3genE9ELNS1_11target_archE1100ELNS1_3gpuE3ELNS1_3repE0EEENS1_30default_config_static_selectorELNS0_4arch9wavefront6targetE0EEEvT1_,"axG",@progbits,_ZN7rocprim17ROCPRIM_400000_NS6detail17trampoline_kernelINS0_14default_configENS1_25partition_config_selectorILNS1_17partition_subalgoE5ExNS0_10empty_typeEbEEZZNS1_14partition_implILS5_5ELb0ES3_mN6thrust23THRUST_200600_302600_NS6detail15normal_iteratorINSA_10device_ptrIxEEEEPS6_NSA_18transform_iteratorINSB_9not_fun_tI7is_trueIxEEENSC_INSD_IbEEEENSA_11use_defaultESO_EENS0_5tupleIJNSA_16discard_iteratorISO_EES6_EEENSQ_IJSG_SG_EEES6_PlJS6_EEE10hipError_tPvRmT3_T4_T5_T6_T7_T9_mT8_P12ihipStream_tbDpT10_ENKUlT_T0_E_clISt17integral_constantIbLb1EES1F_EEDaS1A_S1B_EUlS1A_E_NS1_11comp_targetILNS1_3genE9ELNS1_11target_archE1100ELNS1_3gpuE3ELNS1_3repE0EEENS1_30default_config_static_selectorELNS0_4arch9wavefront6targetE0EEEvT1_,comdat
.Lfunc_end2763:
	.size	_ZN7rocprim17ROCPRIM_400000_NS6detail17trampoline_kernelINS0_14default_configENS1_25partition_config_selectorILNS1_17partition_subalgoE5ExNS0_10empty_typeEbEEZZNS1_14partition_implILS5_5ELb0ES3_mN6thrust23THRUST_200600_302600_NS6detail15normal_iteratorINSA_10device_ptrIxEEEEPS6_NSA_18transform_iteratorINSB_9not_fun_tI7is_trueIxEEENSC_INSD_IbEEEENSA_11use_defaultESO_EENS0_5tupleIJNSA_16discard_iteratorISO_EES6_EEENSQ_IJSG_SG_EEES6_PlJS6_EEE10hipError_tPvRmT3_T4_T5_T6_T7_T9_mT8_P12ihipStream_tbDpT10_ENKUlT_T0_E_clISt17integral_constantIbLb1EES1F_EEDaS1A_S1B_EUlS1A_E_NS1_11comp_targetILNS1_3genE9ELNS1_11target_archE1100ELNS1_3gpuE3ELNS1_3repE0EEENS1_30default_config_static_selectorELNS0_4arch9wavefront6targetE0EEEvT1_, .Lfunc_end2763-_ZN7rocprim17ROCPRIM_400000_NS6detail17trampoline_kernelINS0_14default_configENS1_25partition_config_selectorILNS1_17partition_subalgoE5ExNS0_10empty_typeEbEEZZNS1_14partition_implILS5_5ELb0ES3_mN6thrust23THRUST_200600_302600_NS6detail15normal_iteratorINSA_10device_ptrIxEEEEPS6_NSA_18transform_iteratorINSB_9not_fun_tI7is_trueIxEEENSC_INSD_IbEEEENSA_11use_defaultESO_EENS0_5tupleIJNSA_16discard_iteratorISO_EES6_EEENSQ_IJSG_SG_EEES6_PlJS6_EEE10hipError_tPvRmT3_T4_T5_T6_T7_T9_mT8_P12ihipStream_tbDpT10_ENKUlT_T0_E_clISt17integral_constantIbLb1EES1F_EEDaS1A_S1B_EUlS1A_E_NS1_11comp_targetILNS1_3genE9ELNS1_11target_archE1100ELNS1_3gpuE3ELNS1_3repE0EEENS1_30default_config_static_selectorELNS0_4arch9wavefront6targetE0EEEvT1_
                                        ; -- End function
	.set _ZN7rocprim17ROCPRIM_400000_NS6detail17trampoline_kernelINS0_14default_configENS1_25partition_config_selectorILNS1_17partition_subalgoE5ExNS0_10empty_typeEbEEZZNS1_14partition_implILS5_5ELb0ES3_mN6thrust23THRUST_200600_302600_NS6detail15normal_iteratorINSA_10device_ptrIxEEEEPS6_NSA_18transform_iteratorINSB_9not_fun_tI7is_trueIxEEENSC_INSD_IbEEEENSA_11use_defaultESO_EENS0_5tupleIJNSA_16discard_iteratorISO_EES6_EEENSQ_IJSG_SG_EEES6_PlJS6_EEE10hipError_tPvRmT3_T4_T5_T6_T7_T9_mT8_P12ihipStream_tbDpT10_ENKUlT_T0_E_clISt17integral_constantIbLb1EES1F_EEDaS1A_S1B_EUlS1A_E_NS1_11comp_targetILNS1_3genE9ELNS1_11target_archE1100ELNS1_3gpuE3ELNS1_3repE0EEENS1_30default_config_static_selectorELNS0_4arch9wavefront6targetE0EEEvT1_.num_vgpr, 0
	.set _ZN7rocprim17ROCPRIM_400000_NS6detail17trampoline_kernelINS0_14default_configENS1_25partition_config_selectorILNS1_17partition_subalgoE5ExNS0_10empty_typeEbEEZZNS1_14partition_implILS5_5ELb0ES3_mN6thrust23THRUST_200600_302600_NS6detail15normal_iteratorINSA_10device_ptrIxEEEEPS6_NSA_18transform_iteratorINSB_9not_fun_tI7is_trueIxEEENSC_INSD_IbEEEENSA_11use_defaultESO_EENS0_5tupleIJNSA_16discard_iteratorISO_EES6_EEENSQ_IJSG_SG_EEES6_PlJS6_EEE10hipError_tPvRmT3_T4_T5_T6_T7_T9_mT8_P12ihipStream_tbDpT10_ENKUlT_T0_E_clISt17integral_constantIbLb1EES1F_EEDaS1A_S1B_EUlS1A_E_NS1_11comp_targetILNS1_3genE9ELNS1_11target_archE1100ELNS1_3gpuE3ELNS1_3repE0EEENS1_30default_config_static_selectorELNS0_4arch9wavefront6targetE0EEEvT1_.num_agpr, 0
	.set _ZN7rocprim17ROCPRIM_400000_NS6detail17trampoline_kernelINS0_14default_configENS1_25partition_config_selectorILNS1_17partition_subalgoE5ExNS0_10empty_typeEbEEZZNS1_14partition_implILS5_5ELb0ES3_mN6thrust23THRUST_200600_302600_NS6detail15normal_iteratorINSA_10device_ptrIxEEEEPS6_NSA_18transform_iteratorINSB_9not_fun_tI7is_trueIxEEENSC_INSD_IbEEEENSA_11use_defaultESO_EENS0_5tupleIJNSA_16discard_iteratorISO_EES6_EEENSQ_IJSG_SG_EEES6_PlJS6_EEE10hipError_tPvRmT3_T4_T5_T6_T7_T9_mT8_P12ihipStream_tbDpT10_ENKUlT_T0_E_clISt17integral_constantIbLb1EES1F_EEDaS1A_S1B_EUlS1A_E_NS1_11comp_targetILNS1_3genE9ELNS1_11target_archE1100ELNS1_3gpuE3ELNS1_3repE0EEENS1_30default_config_static_selectorELNS0_4arch9wavefront6targetE0EEEvT1_.numbered_sgpr, 0
	.set _ZN7rocprim17ROCPRIM_400000_NS6detail17trampoline_kernelINS0_14default_configENS1_25partition_config_selectorILNS1_17partition_subalgoE5ExNS0_10empty_typeEbEEZZNS1_14partition_implILS5_5ELb0ES3_mN6thrust23THRUST_200600_302600_NS6detail15normal_iteratorINSA_10device_ptrIxEEEEPS6_NSA_18transform_iteratorINSB_9not_fun_tI7is_trueIxEEENSC_INSD_IbEEEENSA_11use_defaultESO_EENS0_5tupleIJNSA_16discard_iteratorISO_EES6_EEENSQ_IJSG_SG_EEES6_PlJS6_EEE10hipError_tPvRmT3_T4_T5_T6_T7_T9_mT8_P12ihipStream_tbDpT10_ENKUlT_T0_E_clISt17integral_constantIbLb1EES1F_EEDaS1A_S1B_EUlS1A_E_NS1_11comp_targetILNS1_3genE9ELNS1_11target_archE1100ELNS1_3gpuE3ELNS1_3repE0EEENS1_30default_config_static_selectorELNS0_4arch9wavefront6targetE0EEEvT1_.num_named_barrier, 0
	.set _ZN7rocprim17ROCPRIM_400000_NS6detail17trampoline_kernelINS0_14default_configENS1_25partition_config_selectorILNS1_17partition_subalgoE5ExNS0_10empty_typeEbEEZZNS1_14partition_implILS5_5ELb0ES3_mN6thrust23THRUST_200600_302600_NS6detail15normal_iteratorINSA_10device_ptrIxEEEEPS6_NSA_18transform_iteratorINSB_9not_fun_tI7is_trueIxEEENSC_INSD_IbEEEENSA_11use_defaultESO_EENS0_5tupleIJNSA_16discard_iteratorISO_EES6_EEENSQ_IJSG_SG_EEES6_PlJS6_EEE10hipError_tPvRmT3_T4_T5_T6_T7_T9_mT8_P12ihipStream_tbDpT10_ENKUlT_T0_E_clISt17integral_constantIbLb1EES1F_EEDaS1A_S1B_EUlS1A_E_NS1_11comp_targetILNS1_3genE9ELNS1_11target_archE1100ELNS1_3gpuE3ELNS1_3repE0EEENS1_30default_config_static_selectorELNS0_4arch9wavefront6targetE0EEEvT1_.private_seg_size, 0
	.set _ZN7rocprim17ROCPRIM_400000_NS6detail17trampoline_kernelINS0_14default_configENS1_25partition_config_selectorILNS1_17partition_subalgoE5ExNS0_10empty_typeEbEEZZNS1_14partition_implILS5_5ELb0ES3_mN6thrust23THRUST_200600_302600_NS6detail15normal_iteratorINSA_10device_ptrIxEEEEPS6_NSA_18transform_iteratorINSB_9not_fun_tI7is_trueIxEEENSC_INSD_IbEEEENSA_11use_defaultESO_EENS0_5tupleIJNSA_16discard_iteratorISO_EES6_EEENSQ_IJSG_SG_EEES6_PlJS6_EEE10hipError_tPvRmT3_T4_T5_T6_T7_T9_mT8_P12ihipStream_tbDpT10_ENKUlT_T0_E_clISt17integral_constantIbLb1EES1F_EEDaS1A_S1B_EUlS1A_E_NS1_11comp_targetILNS1_3genE9ELNS1_11target_archE1100ELNS1_3gpuE3ELNS1_3repE0EEENS1_30default_config_static_selectorELNS0_4arch9wavefront6targetE0EEEvT1_.uses_vcc, 0
	.set _ZN7rocprim17ROCPRIM_400000_NS6detail17trampoline_kernelINS0_14default_configENS1_25partition_config_selectorILNS1_17partition_subalgoE5ExNS0_10empty_typeEbEEZZNS1_14partition_implILS5_5ELb0ES3_mN6thrust23THRUST_200600_302600_NS6detail15normal_iteratorINSA_10device_ptrIxEEEEPS6_NSA_18transform_iteratorINSB_9not_fun_tI7is_trueIxEEENSC_INSD_IbEEEENSA_11use_defaultESO_EENS0_5tupleIJNSA_16discard_iteratorISO_EES6_EEENSQ_IJSG_SG_EEES6_PlJS6_EEE10hipError_tPvRmT3_T4_T5_T6_T7_T9_mT8_P12ihipStream_tbDpT10_ENKUlT_T0_E_clISt17integral_constantIbLb1EES1F_EEDaS1A_S1B_EUlS1A_E_NS1_11comp_targetILNS1_3genE9ELNS1_11target_archE1100ELNS1_3gpuE3ELNS1_3repE0EEENS1_30default_config_static_selectorELNS0_4arch9wavefront6targetE0EEEvT1_.uses_flat_scratch, 0
	.set _ZN7rocprim17ROCPRIM_400000_NS6detail17trampoline_kernelINS0_14default_configENS1_25partition_config_selectorILNS1_17partition_subalgoE5ExNS0_10empty_typeEbEEZZNS1_14partition_implILS5_5ELb0ES3_mN6thrust23THRUST_200600_302600_NS6detail15normal_iteratorINSA_10device_ptrIxEEEEPS6_NSA_18transform_iteratorINSB_9not_fun_tI7is_trueIxEEENSC_INSD_IbEEEENSA_11use_defaultESO_EENS0_5tupleIJNSA_16discard_iteratorISO_EES6_EEENSQ_IJSG_SG_EEES6_PlJS6_EEE10hipError_tPvRmT3_T4_T5_T6_T7_T9_mT8_P12ihipStream_tbDpT10_ENKUlT_T0_E_clISt17integral_constantIbLb1EES1F_EEDaS1A_S1B_EUlS1A_E_NS1_11comp_targetILNS1_3genE9ELNS1_11target_archE1100ELNS1_3gpuE3ELNS1_3repE0EEENS1_30default_config_static_selectorELNS0_4arch9wavefront6targetE0EEEvT1_.has_dyn_sized_stack, 0
	.set _ZN7rocprim17ROCPRIM_400000_NS6detail17trampoline_kernelINS0_14default_configENS1_25partition_config_selectorILNS1_17partition_subalgoE5ExNS0_10empty_typeEbEEZZNS1_14partition_implILS5_5ELb0ES3_mN6thrust23THRUST_200600_302600_NS6detail15normal_iteratorINSA_10device_ptrIxEEEEPS6_NSA_18transform_iteratorINSB_9not_fun_tI7is_trueIxEEENSC_INSD_IbEEEENSA_11use_defaultESO_EENS0_5tupleIJNSA_16discard_iteratorISO_EES6_EEENSQ_IJSG_SG_EEES6_PlJS6_EEE10hipError_tPvRmT3_T4_T5_T6_T7_T9_mT8_P12ihipStream_tbDpT10_ENKUlT_T0_E_clISt17integral_constantIbLb1EES1F_EEDaS1A_S1B_EUlS1A_E_NS1_11comp_targetILNS1_3genE9ELNS1_11target_archE1100ELNS1_3gpuE3ELNS1_3repE0EEENS1_30default_config_static_selectorELNS0_4arch9wavefront6targetE0EEEvT1_.has_recursion, 0
	.set _ZN7rocprim17ROCPRIM_400000_NS6detail17trampoline_kernelINS0_14default_configENS1_25partition_config_selectorILNS1_17partition_subalgoE5ExNS0_10empty_typeEbEEZZNS1_14partition_implILS5_5ELb0ES3_mN6thrust23THRUST_200600_302600_NS6detail15normal_iteratorINSA_10device_ptrIxEEEEPS6_NSA_18transform_iteratorINSB_9not_fun_tI7is_trueIxEEENSC_INSD_IbEEEENSA_11use_defaultESO_EENS0_5tupleIJNSA_16discard_iteratorISO_EES6_EEENSQ_IJSG_SG_EEES6_PlJS6_EEE10hipError_tPvRmT3_T4_T5_T6_T7_T9_mT8_P12ihipStream_tbDpT10_ENKUlT_T0_E_clISt17integral_constantIbLb1EES1F_EEDaS1A_S1B_EUlS1A_E_NS1_11comp_targetILNS1_3genE9ELNS1_11target_archE1100ELNS1_3gpuE3ELNS1_3repE0EEENS1_30default_config_static_selectorELNS0_4arch9wavefront6targetE0EEEvT1_.has_indirect_call, 0
	.section	.AMDGPU.csdata,"",@progbits
; Kernel info:
; codeLenInByte = 0
; TotalNumSgprs: 0
; NumVgprs: 0
; ScratchSize: 0
; MemoryBound: 0
; FloatMode: 240
; IeeeMode: 1
; LDSByteSize: 0 bytes/workgroup (compile time only)
; SGPRBlocks: 0
; VGPRBlocks: 0
; NumSGPRsForWavesPerEU: 1
; NumVGPRsForWavesPerEU: 1
; Occupancy: 16
; WaveLimiterHint : 0
; COMPUTE_PGM_RSRC2:SCRATCH_EN: 0
; COMPUTE_PGM_RSRC2:USER_SGPR: 2
; COMPUTE_PGM_RSRC2:TRAP_HANDLER: 0
; COMPUTE_PGM_RSRC2:TGID_X_EN: 1
; COMPUTE_PGM_RSRC2:TGID_Y_EN: 0
; COMPUTE_PGM_RSRC2:TGID_Z_EN: 0
; COMPUTE_PGM_RSRC2:TIDIG_COMP_CNT: 0
	.section	.text._ZN7rocprim17ROCPRIM_400000_NS6detail17trampoline_kernelINS0_14default_configENS1_25partition_config_selectorILNS1_17partition_subalgoE5ExNS0_10empty_typeEbEEZZNS1_14partition_implILS5_5ELb0ES3_mN6thrust23THRUST_200600_302600_NS6detail15normal_iteratorINSA_10device_ptrIxEEEEPS6_NSA_18transform_iteratorINSB_9not_fun_tI7is_trueIxEEENSC_INSD_IbEEEENSA_11use_defaultESO_EENS0_5tupleIJNSA_16discard_iteratorISO_EES6_EEENSQ_IJSG_SG_EEES6_PlJS6_EEE10hipError_tPvRmT3_T4_T5_T6_T7_T9_mT8_P12ihipStream_tbDpT10_ENKUlT_T0_E_clISt17integral_constantIbLb1EES1F_EEDaS1A_S1B_EUlS1A_E_NS1_11comp_targetILNS1_3genE8ELNS1_11target_archE1030ELNS1_3gpuE2ELNS1_3repE0EEENS1_30default_config_static_selectorELNS0_4arch9wavefront6targetE0EEEvT1_,"axG",@progbits,_ZN7rocprim17ROCPRIM_400000_NS6detail17trampoline_kernelINS0_14default_configENS1_25partition_config_selectorILNS1_17partition_subalgoE5ExNS0_10empty_typeEbEEZZNS1_14partition_implILS5_5ELb0ES3_mN6thrust23THRUST_200600_302600_NS6detail15normal_iteratorINSA_10device_ptrIxEEEEPS6_NSA_18transform_iteratorINSB_9not_fun_tI7is_trueIxEEENSC_INSD_IbEEEENSA_11use_defaultESO_EENS0_5tupleIJNSA_16discard_iteratorISO_EES6_EEENSQ_IJSG_SG_EEES6_PlJS6_EEE10hipError_tPvRmT3_T4_T5_T6_T7_T9_mT8_P12ihipStream_tbDpT10_ENKUlT_T0_E_clISt17integral_constantIbLb1EES1F_EEDaS1A_S1B_EUlS1A_E_NS1_11comp_targetILNS1_3genE8ELNS1_11target_archE1030ELNS1_3gpuE2ELNS1_3repE0EEENS1_30default_config_static_selectorELNS0_4arch9wavefront6targetE0EEEvT1_,comdat
	.protected	_ZN7rocprim17ROCPRIM_400000_NS6detail17trampoline_kernelINS0_14default_configENS1_25partition_config_selectorILNS1_17partition_subalgoE5ExNS0_10empty_typeEbEEZZNS1_14partition_implILS5_5ELb0ES3_mN6thrust23THRUST_200600_302600_NS6detail15normal_iteratorINSA_10device_ptrIxEEEEPS6_NSA_18transform_iteratorINSB_9not_fun_tI7is_trueIxEEENSC_INSD_IbEEEENSA_11use_defaultESO_EENS0_5tupleIJNSA_16discard_iteratorISO_EES6_EEENSQ_IJSG_SG_EEES6_PlJS6_EEE10hipError_tPvRmT3_T4_T5_T6_T7_T9_mT8_P12ihipStream_tbDpT10_ENKUlT_T0_E_clISt17integral_constantIbLb1EES1F_EEDaS1A_S1B_EUlS1A_E_NS1_11comp_targetILNS1_3genE8ELNS1_11target_archE1030ELNS1_3gpuE2ELNS1_3repE0EEENS1_30default_config_static_selectorELNS0_4arch9wavefront6targetE0EEEvT1_ ; -- Begin function _ZN7rocprim17ROCPRIM_400000_NS6detail17trampoline_kernelINS0_14default_configENS1_25partition_config_selectorILNS1_17partition_subalgoE5ExNS0_10empty_typeEbEEZZNS1_14partition_implILS5_5ELb0ES3_mN6thrust23THRUST_200600_302600_NS6detail15normal_iteratorINSA_10device_ptrIxEEEEPS6_NSA_18transform_iteratorINSB_9not_fun_tI7is_trueIxEEENSC_INSD_IbEEEENSA_11use_defaultESO_EENS0_5tupleIJNSA_16discard_iteratorISO_EES6_EEENSQ_IJSG_SG_EEES6_PlJS6_EEE10hipError_tPvRmT3_T4_T5_T6_T7_T9_mT8_P12ihipStream_tbDpT10_ENKUlT_T0_E_clISt17integral_constantIbLb1EES1F_EEDaS1A_S1B_EUlS1A_E_NS1_11comp_targetILNS1_3genE8ELNS1_11target_archE1030ELNS1_3gpuE2ELNS1_3repE0EEENS1_30default_config_static_selectorELNS0_4arch9wavefront6targetE0EEEvT1_
	.globl	_ZN7rocprim17ROCPRIM_400000_NS6detail17trampoline_kernelINS0_14default_configENS1_25partition_config_selectorILNS1_17partition_subalgoE5ExNS0_10empty_typeEbEEZZNS1_14partition_implILS5_5ELb0ES3_mN6thrust23THRUST_200600_302600_NS6detail15normal_iteratorINSA_10device_ptrIxEEEEPS6_NSA_18transform_iteratorINSB_9not_fun_tI7is_trueIxEEENSC_INSD_IbEEEENSA_11use_defaultESO_EENS0_5tupleIJNSA_16discard_iteratorISO_EES6_EEENSQ_IJSG_SG_EEES6_PlJS6_EEE10hipError_tPvRmT3_T4_T5_T6_T7_T9_mT8_P12ihipStream_tbDpT10_ENKUlT_T0_E_clISt17integral_constantIbLb1EES1F_EEDaS1A_S1B_EUlS1A_E_NS1_11comp_targetILNS1_3genE8ELNS1_11target_archE1030ELNS1_3gpuE2ELNS1_3repE0EEENS1_30default_config_static_selectorELNS0_4arch9wavefront6targetE0EEEvT1_
	.p2align	8
	.type	_ZN7rocprim17ROCPRIM_400000_NS6detail17trampoline_kernelINS0_14default_configENS1_25partition_config_selectorILNS1_17partition_subalgoE5ExNS0_10empty_typeEbEEZZNS1_14partition_implILS5_5ELb0ES3_mN6thrust23THRUST_200600_302600_NS6detail15normal_iteratorINSA_10device_ptrIxEEEEPS6_NSA_18transform_iteratorINSB_9not_fun_tI7is_trueIxEEENSC_INSD_IbEEEENSA_11use_defaultESO_EENS0_5tupleIJNSA_16discard_iteratorISO_EES6_EEENSQ_IJSG_SG_EEES6_PlJS6_EEE10hipError_tPvRmT3_T4_T5_T6_T7_T9_mT8_P12ihipStream_tbDpT10_ENKUlT_T0_E_clISt17integral_constantIbLb1EES1F_EEDaS1A_S1B_EUlS1A_E_NS1_11comp_targetILNS1_3genE8ELNS1_11target_archE1030ELNS1_3gpuE2ELNS1_3repE0EEENS1_30default_config_static_selectorELNS0_4arch9wavefront6targetE0EEEvT1_,@function
_ZN7rocprim17ROCPRIM_400000_NS6detail17trampoline_kernelINS0_14default_configENS1_25partition_config_selectorILNS1_17partition_subalgoE5ExNS0_10empty_typeEbEEZZNS1_14partition_implILS5_5ELb0ES3_mN6thrust23THRUST_200600_302600_NS6detail15normal_iteratorINSA_10device_ptrIxEEEEPS6_NSA_18transform_iteratorINSB_9not_fun_tI7is_trueIxEEENSC_INSD_IbEEEENSA_11use_defaultESO_EENS0_5tupleIJNSA_16discard_iteratorISO_EES6_EEENSQ_IJSG_SG_EEES6_PlJS6_EEE10hipError_tPvRmT3_T4_T5_T6_T7_T9_mT8_P12ihipStream_tbDpT10_ENKUlT_T0_E_clISt17integral_constantIbLb1EES1F_EEDaS1A_S1B_EUlS1A_E_NS1_11comp_targetILNS1_3genE8ELNS1_11target_archE1030ELNS1_3gpuE2ELNS1_3repE0EEENS1_30default_config_static_selectorELNS0_4arch9wavefront6targetE0EEEvT1_: ; @_ZN7rocprim17ROCPRIM_400000_NS6detail17trampoline_kernelINS0_14default_configENS1_25partition_config_selectorILNS1_17partition_subalgoE5ExNS0_10empty_typeEbEEZZNS1_14partition_implILS5_5ELb0ES3_mN6thrust23THRUST_200600_302600_NS6detail15normal_iteratorINSA_10device_ptrIxEEEEPS6_NSA_18transform_iteratorINSB_9not_fun_tI7is_trueIxEEENSC_INSD_IbEEEENSA_11use_defaultESO_EENS0_5tupleIJNSA_16discard_iteratorISO_EES6_EEENSQ_IJSG_SG_EEES6_PlJS6_EEE10hipError_tPvRmT3_T4_T5_T6_T7_T9_mT8_P12ihipStream_tbDpT10_ENKUlT_T0_E_clISt17integral_constantIbLb1EES1F_EEDaS1A_S1B_EUlS1A_E_NS1_11comp_targetILNS1_3genE8ELNS1_11target_archE1030ELNS1_3gpuE2ELNS1_3repE0EEENS1_30default_config_static_selectorELNS0_4arch9wavefront6targetE0EEEvT1_
; %bb.0:
	.section	.rodata,"a",@progbits
	.p2align	6, 0x0
	.amdhsa_kernel _ZN7rocprim17ROCPRIM_400000_NS6detail17trampoline_kernelINS0_14default_configENS1_25partition_config_selectorILNS1_17partition_subalgoE5ExNS0_10empty_typeEbEEZZNS1_14partition_implILS5_5ELb0ES3_mN6thrust23THRUST_200600_302600_NS6detail15normal_iteratorINSA_10device_ptrIxEEEEPS6_NSA_18transform_iteratorINSB_9not_fun_tI7is_trueIxEEENSC_INSD_IbEEEENSA_11use_defaultESO_EENS0_5tupleIJNSA_16discard_iteratorISO_EES6_EEENSQ_IJSG_SG_EEES6_PlJS6_EEE10hipError_tPvRmT3_T4_T5_T6_T7_T9_mT8_P12ihipStream_tbDpT10_ENKUlT_T0_E_clISt17integral_constantIbLb1EES1F_EEDaS1A_S1B_EUlS1A_E_NS1_11comp_targetILNS1_3genE8ELNS1_11target_archE1030ELNS1_3gpuE2ELNS1_3repE0EEENS1_30default_config_static_selectorELNS0_4arch9wavefront6targetE0EEEvT1_
		.amdhsa_group_segment_fixed_size 0
		.amdhsa_private_segment_fixed_size 0
		.amdhsa_kernarg_size 144
		.amdhsa_user_sgpr_count 2
		.amdhsa_user_sgpr_dispatch_ptr 0
		.amdhsa_user_sgpr_queue_ptr 0
		.amdhsa_user_sgpr_kernarg_segment_ptr 1
		.amdhsa_user_sgpr_dispatch_id 0
		.amdhsa_user_sgpr_private_segment_size 0
		.amdhsa_wavefront_size32 1
		.amdhsa_uses_dynamic_stack 0
		.amdhsa_enable_private_segment 0
		.amdhsa_system_sgpr_workgroup_id_x 1
		.amdhsa_system_sgpr_workgroup_id_y 0
		.amdhsa_system_sgpr_workgroup_id_z 0
		.amdhsa_system_sgpr_workgroup_info 0
		.amdhsa_system_vgpr_workitem_id 0
		.amdhsa_next_free_vgpr 1
		.amdhsa_next_free_sgpr 1
		.amdhsa_reserve_vcc 0
		.amdhsa_float_round_mode_32 0
		.amdhsa_float_round_mode_16_64 0
		.amdhsa_float_denorm_mode_32 3
		.amdhsa_float_denorm_mode_16_64 3
		.amdhsa_fp16_overflow 0
		.amdhsa_workgroup_processor_mode 1
		.amdhsa_memory_ordered 1
		.amdhsa_forward_progress 1
		.amdhsa_inst_pref_size 0
		.amdhsa_round_robin_scheduling 0
		.amdhsa_exception_fp_ieee_invalid_op 0
		.amdhsa_exception_fp_denorm_src 0
		.amdhsa_exception_fp_ieee_div_zero 0
		.amdhsa_exception_fp_ieee_overflow 0
		.amdhsa_exception_fp_ieee_underflow 0
		.amdhsa_exception_fp_ieee_inexact 0
		.amdhsa_exception_int_div_zero 0
	.end_amdhsa_kernel
	.section	.text._ZN7rocprim17ROCPRIM_400000_NS6detail17trampoline_kernelINS0_14default_configENS1_25partition_config_selectorILNS1_17partition_subalgoE5ExNS0_10empty_typeEbEEZZNS1_14partition_implILS5_5ELb0ES3_mN6thrust23THRUST_200600_302600_NS6detail15normal_iteratorINSA_10device_ptrIxEEEEPS6_NSA_18transform_iteratorINSB_9not_fun_tI7is_trueIxEEENSC_INSD_IbEEEENSA_11use_defaultESO_EENS0_5tupleIJNSA_16discard_iteratorISO_EES6_EEENSQ_IJSG_SG_EEES6_PlJS6_EEE10hipError_tPvRmT3_T4_T5_T6_T7_T9_mT8_P12ihipStream_tbDpT10_ENKUlT_T0_E_clISt17integral_constantIbLb1EES1F_EEDaS1A_S1B_EUlS1A_E_NS1_11comp_targetILNS1_3genE8ELNS1_11target_archE1030ELNS1_3gpuE2ELNS1_3repE0EEENS1_30default_config_static_selectorELNS0_4arch9wavefront6targetE0EEEvT1_,"axG",@progbits,_ZN7rocprim17ROCPRIM_400000_NS6detail17trampoline_kernelINS0_14default_configENS1_25partition_config_selectorILNS1_17partition_subalgoE5ExNS0_10empty_typeEbEEZZNS1_14partition_implILS5_5ELb0ES3_mN6thrust23THRUST_200600_302600_NS6detail15normal_iteratorINSA_10device_ptrIxEEEEPS6_NSA_18transform_iteratorINSB_9not_fun_tI7is_trueIxEEENSC_INSD_IbEEEENSA_11use_defaultESO_EENS0_5tupleIJNSA_16discard_iteratorISO_EES6_EEENSQ_IJSG_SG_EEES6_PlJS6_EEE10hipError_tPvRmT3_T4_T5_T6_T7_T9_mT8_P12ihipStream_tbDpT10_ENKUlT_T0_E_clISt17integral_constantIbLb1EES1F_EEDaS1A_S1B_EUlS1A_E_NS1_11comp_targetILNS1_3genE8ELNS1_11target_archE1030ELNS1_3gpuE2ELNS1_3repE0EEENS1_30default_config_static_selectorELNS0_4arch9wavefront6targetE0EEEvT1_,comdat
.Lfunc_end2764:
	.size	_ZN7rocprim17ROCPRIM_400000_NS6detail17trampoline_kernelINS0_14default_configENS1_25partition_config_selectorILNS1_17partition_subalgoE5ExNS0_10empty_typeEbEEZZNS1_14partition_implILS5_5ELb0ES3_mN6thrust23THRUST_200600_302600_NS6detail15normal_iteratorINSA_10device_ptrIxEEEEPS6_NSA_18transform_iteratorINSB_9not_fun_tI7is_trueIxEEENSC_INSD_IbEEEENSA_11use_defaultESO_EENS0_5tupleIJNSA_16discard_iteratorISO_EES6_EEENSQ_IJSG_SG_EEES6_PlJS6_EEE10hipError_tPvRmT3_T4_T5_T6_T7_T9_mT8_P12ihipStream_tbDpT10_ENKUlT_T0_E_clISt17integral_constantIbLb1EES1F_EEDaS1A_S1B_EUlS1A_E_NS1_11comp_targetILNS1_3genE8ELNS1_11target_archE1030ELNS1_3gpuE2ELNS1_3repE0EEENS1_30default_config_static_selectorELNS0_4arch9wavefront6targetE0EEEvT1_, .Lfunc_end2764-_ZN7rocprim17ROCPRIM_400000_NS6detail17trampoline_kernelINS0_14default_configENS1_25partition_config_selectorILNS1_17partition_subalgoE5ExNS0_10empty_typeEbEEZZNS1_14partition_implILS5_5ELb0ES3_mN6thrust23THRUST_200600_302600_NS6detail15normal_iteratorINSA_10device_ptrIxEEEEPS6_NSA_18transform_iteratorINSB_9not_fun_tI7is_trueIxEEENSC_INSD_IbEEEENSA_11use_defaultESO_EENS0_5tupleIJNSA_16discard_iteratorISO_EES6_EEENSQ_IJSG_SG_EEES6_PlJS6_EEE10hipError_tPvRmT3_T4_T5_T6_T7_T9_mT8_P12ihipStream_tbDpT10_ENKUlT_T0_E_clISt17integral_constantIbLb1EES1F_EEDaS1A_S1B_EUlS1A_E_NS1_11comp_targetILNS1_3genE8ELNS1_11target_archE1030ELNS1_3gpuE2ELNS1_3repE0EEENS1_30default_config_static_selectorELNS0_4arch9wavefront6targetE0EEEvT1_
                                        ; -- End function
	.set _ZN7rocprim17ROCPRIM_400000_NS6detail17trampoline_kernelINS0_14default_configENS1_25partition_config_selectorILNS1_17partition_subalgoE5ExNS0_10empty_typeEbEEZZNS1_14partition_implILS5_5ELb0ES3_mN6thrust23THRUST_200600_302600_NS6detail15normal_iteratorINSA_10device_ptrIxEEEEPS6_NSA_18transform_iteratorINSB_9not_fun_tI7is_trueIxEEENSC_INSD_IbEEEENSA_11use_defaultESO_EENS0_5tupleIJNSA_16discard_iteratorISO_EES6_EEENSQ_IJSG_SG_EEES6_PlJS6_EEE10hipError_tPvRmT3_T4_T5_T6_T7_T9_mT8_P12ihipStream_tbDpT10_ENKUlT_T0_E_clISt17integral_constantIbLb1EES1F_EEDaS1A_S1B_EUlS1A_E_NS1_11comp_targetILNS1_3genE8ELNS1_11target_archE1030ELNS1_3gpuE2ELNS1_3repE0EEENS1_30default_config_static_selectorELNS0_4arch9wavefront6targetE0EEEvT1_.num_vgpr, 0
	.set _ZN7rocprim17ROCPRIM_400000_NS6detail17trampoline_kernelINS0_14default_configENS1_25partition_config_selectorILNS1_17partition_subalgoE5ExNS0_10empty_typeEbEEZZNS1_14partition_implILS5_5ELb0ES3_mN6thrust23THRUST_200600_302600_NS6detail15normal_iteratorINSA_10device_ptrIxEEEEPS6_NSA_18transform_iteratorINSB_9not_fun_tI7is_trueIxEEENSC_INSD_IbEEEENSA_11use_defaultESO_EENS0_5tupleIJNSA_16discard_iteratorISO_EES6_EEENSQ_IJSG_SG_EEES6_PlJS6_EEE10hipError_tPvRmT3_T4_T5_T6_T7_T9_mT8_P12ihipStream_tbDpT10_ENKUlT_T0_E_clISt17integral_constantIbLb1EES1F_EEDaS1A_S1B_EUlS1A_E_NS1_11comp_targetILNS1_3genE8ELNS1_11target_archE1030ELNS1_3gpuE2ELNS1_3repE0EEENS1_30default_config_static_selectorELNS0_4arch9wavefront6targetE0EEEvT1_.num_agpr, 0
	.set _ZN7rocprim17ROCPRIM_400000_NS6detail17trampoline_kernelINS0_14default_configENS1_25partition_config_selectorILNS1_17partition_subalgoE5ExNS0_10empty_typeEbEEZZNS1_14partition_implILS5_5ELb0ES3_mN6thrust23THRUST_200600_302600_NS6detail15normal_iteratorINSA_10device_ptrIxEEEEPS6_NSA_18transform_iteratorINSB_9not_fun_tI7is_trueIxEEENSC_INSD_IbEEEENSA_11use_defaultESO_EENS0_5tupleIJNSA_16discard_iteratorISO_EES6_EEENSQ_IJSG_SG_EEES6_PlJS6_EEE10hipError_tPvRmT3_T4_T5_T6_T7_T9_mT8_P12ihipStream_tbDpT10_ENKUlT_T0_E_clISt17integral_constantIbLb1EES1F_EEDaS1A_S1B_EUlS1A_E_NS1_11comp_targetILNS1_3genE8ELNS1_11target_archE1030ELNS1_3gpuE2ELNS1_3repE0EEENS1_30default_config_static_selectorELNS0_4arch9wavefront6targetE0EEEvT1_.numbered_sgpr, 0
	.set _ZN7rocprim17ROCPRIM_400000_NS6detail17trampoline_kernelINS0_14default_configENS1_25partition_config_selectorILNS1_17partition_subalgoE5ExNS0_10empty_typeEbEEZZNS1_14partition_implILS5_5ELb0ES3_mN6thrust23THRUST_200600_302600_NS6detail15normal_iteratorINSA_10device_ptrIxEEEEPS6_NSA_18transform_iteratorINSB_9not_fun_tI7is_trueIxEEENSC_INSD_IbEEEENSA_11use_defaultESO_EENS0_5tupleIJNSA_16discard_iteratorISO_EES6_EEENSQ_IJSG_SG_EEES6_PlJS6_EEE10hipError_tPvRmT3_T4_T5_T6_T7_T9_mT8_P12ihipStream_tbDpT10_ENKUlT_T0_E_clISt17integral_constantIbLb1EES1F_EEDaS1A_S1B_EUlS1A_E_NS1_11comp_targetILNS1_3genE8ELNS1_11target_archE1030ELNS1_3gpuE2ELNS1_3repE0EEENS1_30default_config_static_selectorELNS0_4arch9wavefront6targetE0EEEvT1_.num_named_barrier, 0
	.set _ZN7rocprim17ROCPRIM_400000_NS6detail17trampoline_kernelINS0_14default_configENS1_25partition_config_selectorILNS1_17partition_subalgoE5ExNS0_10empty_typeEbEEZZNS1_14partition_implILS5_5ELb0ES3_mN6thrust23THRUST_200600_302600_NS6detail15normal_iteratorINSA_10device_ptrIxEEEEPS6_NSA_18transform_iteratorINSB_9not_fun_tI7is_trueIxEEENSC_INSD_IbEEEENSA_11use_defaultESO_EENS0_5tupleIJNSA_16discard_iteratorISO_EES6_EEENSQ_IJSG_SG_EEES6_PlJS6_EEE10hipError_tPvRmT3_T4_T5_T6_T7_T9_mT8_P12ihipStream_tbDpT10_ENKUlT_T0_E_clISt17integral_constantIbLb1EES1F_EEDaS1A_S1B_EUlS1A_E_NS1_11comp_targetILNS1_3genE8ELNS1_11target_archE1030ELNS1_3gpuE2ELNS1_3repE0EEENS1_30default_config_static_selectorELNS0_4arch9wavefront6targetE0EEEvT1_.private_seg_size, 0
	.set _ZN7rocprim17ROCPRIM_400000_NS6detail17trampoline_kernelINS0_14default_configENS1_25partition_config_selectorILNS1_17partition_subalgoE5ExNS0_10empty_typeEbEEZZNS1_14partition_implILS5_5ELb0ES3_mN6thrust23THRUST_200600_302600_NS6detail15normal_iteratorINSA_10device_ptrIxEEEEPS6_NSA_18transform_iteratorINSB_9not_fun_tI7is_trueIxEEENSC_INSD_IbEEEENSA_11use_defaultESO_EENS0_5tupleIJNSA_16discard_iteratorISO_EES6_EEENSQ_IJSG_SG_EEES6_PlJS6_EEE10hipError_tPvRmT3_T4_T5_T6_T7_T9_mT8_P12ihipStream_tbDpT10_ENKUlT_T0_E_clISt17integral_constantIbLb1EES1F_EEDaS1A_S1B_EUlS1A_E_NS1_11comp_targetILNS1_3genE8ELNS1_11target_archE1030ELNS1_3gpuE2ELNS1_3repE0EEENS1_30default_config_static_selectorELNS0_4arch9wavefront6targetE0EEEvT1_.uses_vcc, 0
	.set _ZN7rocprim17ROCPRIM_400000_NS6detail17trampoline_kernelINS0_14default_configENS1_25partition_config_selectorILNS1_17partition_subalgoE5ExNS0_10empty_typeEbEEZZNS1_14partition_implILS5_5ELb0ES3_mN6thrust23THRUST_200600_302600_NS6detail15normal_iteratorINSA_10device_ptrIxEEEEPS6_NSA_18transform_iteratorINSB_9not_fun_tI7is_trueIxEEENSC_INSD_IbEEEENSA_11use_defaultESO_EENS0_5tupleIJNSA_16discard_iteratorISO_EES6_EEENSQ_IJSG_SG_EEES6_PlJS6_EEE10hipError_tPvRmT3_T4_T5_T6_T7_T9_mT8_P12ihipStream_tbDpT10_ENKUlT_T0_E_clISt17integral_constantIbLb1EES1F_EEDaS1A_S1B_EUlS1A_E_NS1_11comp_targetILNS1_3genE8ELNS1_11target_archE1030ELNS1_3gpuE2ELNS1_3repE0EEENS1_30default_config_static_selectorELNS0_4arch9wavefront6targetE0EEEvT1_.uses_flat_scratch, 0
	.set _ZN7rocprim17ROCPRIM_400000_NS6detail17trampoline_kernelINS0_14default_configENS1_25partition_config_selectorILNS1_17partition_subalgoE5ExNS0_10empty_typeEbEEZZNS1_14partition_implILS5_5ELb0ES3_mN6thrust23THRUST_200600_302600_NS6detail15normal_iteratorINSA_10device_ptrIxEEEEPS6_NSA_18transform_iteratorINSB_9not_fun_tI7is_trueIxEEENSC_INSD_IbEEEENSA_11use_defaultESO_EENS0_5tupleIJNSA_16discard_iteratorISO_EES6_EEENSQ_IJSG_SG_EEES6_PlJS6_EEE10hipError_tPvRmT3_T4_T5_T6_T7_T9_mT8_P12ihipStream_tbDpT10_ENKUlT_T0_E_clISt17integral_constantIbLb1EES1F_EEDaS1A_S1B_EUlS1A_E_NS1_11comp_targetILNS1_3genE8ELNS1_11target_archE1030ELNS1_3gpuE2ELNS1_3repE0EEENS1_30default_config_static_selectorELNS0_4arch9wavefront6targetE0EEEvT1_.has_dyn_sized_stack, 0
	.set _ZN7rocprim17ROCPRIM_400000_NS6detail17trampoline_kernelINS0_14default_configENS1_25partition_config_selectorILNS1_17partition_subalgoE5ExNS0_10empty_typeEbEEZZNS1_14partition_implILS5_5ELb0ES3_mN6thrust23THRUST_200600_302600_NS6detail15normal_iteratorINSA_10device_ptrIxEEEEPS6_NSA_18transform_iteratorINSB_9not_fun_tI7is_trueIxEEENSC_INSD_IbEEEENSA_11use_defaultESO_EENS0_5tupleIJNSA_16discard_iteratorISO_EES6_EEENSQ_IJSG_SG_EEES6_PlJS6_EEE10hipError_tPvRmT3_T4_T5_T6_T7_T9_mT8_P12ihipStream_tbDpT10_ENKUlT_T0_E_clISt17integral_constantIbLb1EES1F_EEDaS1A_S1B_EUlS1A_E_NS1_11comp_targetILNS1_3genE8ELNS1_11target_archE1030ELNS1_3gpuE2ELNS1_3repE0EEENS1_30default_config_static_selectorELNS0_4arch9wavefront6targetE0EEEvT1_.has_recursion, 0
	.set _ZN7rocprim17ROCPRIM_400000_NS6detail17trampoline_kernelINS0_14default_configENS1_25partition_config_selectorILNS1_17partition_subalgoE5ExNS0_10empty_typeEbEEZZNS1_14partition_implILS5_5ELb0ES3_mN6thrust23THRUST_200600_302600_NS6detail15normal_iteratorINSA_10device_ptrIxEEEEPS6_NSA_18transform_iteratorINSB_9not_fun_tI7is_trueIxEEENSC_INSD_IbEEEENSA_11use_defaultESO_EENS0_5tupleIJNSA_16discard_iteratorISO_EES6_EEENSQ_IJSG_SG_EEES6_PlJS6_EEE10hipError_tPvRmT3_T4_T5_T6_T7_T9_mT8_P12ihipStream_tbDpT10_ENKUlT_T0_E_clISt17integral_constantIbLb1EES1F_EEDaS1A_S1B_EUlS1A_E_NS1_11comp_targetILNS1_3genE8ELNS1_11target_archE1030ELNS1_3gpuE2ELNS1_3repE0EEENS1_30default_config_static_selectorELNS0_4arch9wavefront6targetE0EEEvT1_.has_indirect_call, 0
	.section	.AMDGPU.csdata,"",@progbits
; Kernel info:
; codeLenInByte = 0
; TotalNumSgprs: 0
; NumVgprs: 0
; ScratchSize: 0
; MemoryBound: 0
; FloatMode: 240
; IeeeMode: 1
; LDSByteSize: 0 bytes/workgroup (compile time only)
; SGPRBlocks: 0
; VGPRBlocks: 0
; NumSGPRsForWavesPerEU: 1
; NumVGPRsForWavesPerEU: 1
; Occupancy: 16
; WaveLimiterHint : 0
; COMPUTE_PGM_RSRC2:SCRATCH_EN: 0
; COMPUTE_PGM_RSRC2:USER_SGPR: 2
; COMPUTE_PGM_RSRC2:TRAP_HANDLER: 0
; COMPUTE_PGM_RSRC2:TGID_X_EN: 1
; COMPUTE_PGM_RSRC2:TGID_Y_EN: 0
; COMPUTE_PGM_RSRC2:TGID_Z_EN: 0
; COMPUTE_PGM_RSRC2:TIDIG_COMP_CNT: 0
	.section	.text._ZN7rocprim17ROCPRIM_400000_NS6detail17trampoline_kernelINS0_14default_configENS1_25partition_config_selectorILNS1_17partition_subalgoE5ExNS0_10empty_typeEbEEZZNS1_14partition_implILS5_5ELb0ES3_mN6thrust23THRUST_200600_302600_NS6detail15normal_iteratorINSA_10device_ptrIxEEEEPS6_NSA_18transform_iteratorINSB_9not_fun_tI7is_trueIxEEENSC_INSD_IbEEEENSA_11use_defaultESO_EENS0_5tupleIJNSA_16discard_iteratorISO_EES6_EEENSQ_IJSG_SG_EEES6_PlJS6_EEE10hipError_tPvRmT3_T4_T5_T6_T7_T9_mT8_P12ihipStream_tbDpT10_ENKUlT_T0_E_clISt17integral_constantIbLb1EES1E_IbLb0EEEEDaS1A_S1B_EUlS1A_E_NS1_11comp_targetILNS1_3genE0ELNS1_11target_archE4294967295ELNS1_3gpuE0ELNS1_3repE0EEENS1_30default_config_static_selectorELNS0_4arch9wavefront6targetE0EEEvT1_,"axG",@progbits,_ZN7rocprim17ROCPRIM_400000_NS6detail17trampoline_kernelINS0_14default_configENS1_25partition_config_selectorILNS1_17partition_subalgoE5ExNS0_10empty_typeEbEEZZNS1_14partition_implILS5_5ELb0ES3_mN6thrust23THRUST_200600_302600_NS6detail15normal_iteratorINSA_10device_ptrIxEEEEPS6_NSA_18transform_iteratorINSB_9not_fun_tI7is_trueIxEEENSC_INSD_IbEEEENSA_11use_defaultESO_EENS0_5tupleIJNSA_16discard_iteratorISO_EES6_EEENSQ_IJSG_SG_EEES6_PlJS6_EEE10hipError_tPvRmT3_T4_T5_T6_T7_T9_mT8_P12ihipStream_tbDpT10_ENKUlT_T0_E_clISt17integral_constantIbLb1EES1E_IbLb0EEEEDaS1A_S1B_EUlS1A_E_NS1_11comp_targetILNS1_3genE0ELNS1_11target_archE4294967295ELNS1_3gpuE0ELNS1_3repE0EEENS1_30default_config_static_selectorELNS0_4arch9wavefront6targetE0EEEvT1_,comdat
	.protected	_ZN7rocprim17ROCPRIM_400000_NS6detail17trampoline_kernelINS0_14default_configENS1_25partition_config_selectorILNS1_17partition_subalgoE5ExNS0_10empty_typeEbEEZZNS1_14partition_implILS5_5ELb0ES3_mN6thrust23THRUST_200600_302600_NS6detail15normal_iteratorINSA_10device_ptrIxEEEEPS6_NSA_18transform_iteratorINSB_9not_fun_tI7is_trueIxEEENSC_INSD_IbEEEENSA_11use_defaultESO_EENS0_5tupleIJNSA_16discard_iteratorISO_EES6_EEENSQ_IJSG_SG_EEES6_PlJS6_EEE10hipError_tPvRmT3_T4_T5_T6_T7_T9_mT8_P12ihipStream_tbDpT10_ENKUlT_T0_E_clISt17integral_constantIbLb1EES1E_IbLb0EEEEDaS1A_S1B_EUlS1A_E_NS1_11comp_targetILNS1_3genE0ELNS1_11target_archE4294967295ELNS1_3gpuE0ELNS1_3repE0EEENS1_30default_config_static_selectorELNS0_4arch9wavefront6targetE0EEEvT1_ ; -- Begin function _ZN7rocprim17ROCPRIM_400000_NS6detail17trampoline_kernelINS0_14default_configENS1_25partition_config_selectorILNS1_17partition_subalgoE5ExNS0_10empty_typeEbEEZZNS1_14partition_implILS5_5ELb0ES3_mN6thrust23THRUST_200600_302600_NS6detail15normal_iteratorINSA_10device_ptrIxEEEEPS6_NSA_18transform_iteratorINSB_9not_fun_tI7is_trueIxEEENSC_INSD_IbEEEENSA_11use_defaultESO_EENS0_5tupleIJNSA_16discard_iteratorISO_EES6_EEENSQ_IJSG_SG_EEES6_PlJS6_EEE10hipError_tPvRmT3_T4_T5_T6_T7_T9_mT8_P12ihipStream_tbDpT10_ENKUlT_T0_E_clISt17integral_constantIbLb1EES1E_IbLb0EEEEDaS1A_S1B_EUlS1A_E_NS1_11comp_targetILNS1_3genE0ELNS1_11target_archE4294967295ELNS1_3gpuE0ELNS1_3repE0EEENS1_30default_config_static_selectorELNS0_4arch9wavefront6targetE0EEEvT1_
	.globl	_ZN7rocprim17ROCPRIM_400000_NS6detail17trampoline_kernelINS0_14default_configENS1_25partition_config_selectorILNS1_17partition_subalgoE5ExNS0_10empty_typeEbEEZZNS1_14partition_implILS5_5ELb0ES3_mN6thrust23THRUST_200600_302600_NS6detail15normal_iteratorINSA_10device_ptrIxEEEEPS6_NSA_18transform_iteratorINSB_9not_fun_tI7is_trueIxEEENSC_INSD_IbEEEENSA_11use_defaultESO_EENS0_5tupleIJNSA_16discard_iteratorISO_EES6_EEENSQ_IJSG_SG_EEES6_PlJS6_EEE10hipError_tPvRmT3_T4_T5_T6_T7_T9_mT8_P12ihipStream_tbDpT10_ENKUlT_T0_E_clISt17integral_constantIbLb1EES1E_IbLb0EEEEDaS1A_S1B_EUlS1A_E_NS1_11comp_targetILNS1_3genE0ELNS1_11target_archE4294967295ELNS1_3gpuE0ELNS1_3repE0EEENS1_30default_config_static_selectorELNS0_4arch9wavefront6targetE0EEEvT1_
	.p2align	8
	.type	_ZN7rocprim17ROCPRIM_400000_NS6detail17trampoline_kernelINS0_14default_configENS1_25partition_config_selectorILNS1_17partition_subalgoE5ExNS0_10empty_typeEbEEZZNS1_14partition_implILS5_5ELb0ES3_mN6thrust23THRUST_200600_302600_NS6detail15normal_iteratorINSA_10device_ptrIxEEEEPS6_NSA_18transform_iteratorINSB_9not_fun_tI7is_trueIxEEENSC_INSD_IbEEEENSA_11use_defaultESO_EENS0_5tupleIJNSA_16discard_iteratorISO_EES6_EEENSQ_IJSG_SG_EEES6_PlJS6_EEE10hipError_tPvRmT3_T4_T5_T6_T7_T9_mT8_P12ihipStream_tbDpT10_ENKUlT_T0_E_clISt17integral_constantIbLb1EES1E_IbLb0EEEEDaS1A_S1B_EUlS1A_E_NS1_11comp_targetILNS1_3genE0ELNS1_11target_archE4294967295ELNS1_3gpuE0ELNS1_3repE0EEENS1_30default_config_static_selectorELNS0_4arch9wavefront6targetE0EEEvT1_,@function
_ZN7rocprim17ROCPRIM_400000_NS6detail17trampoline_kernelINS0_14default_configENS1_25partition_config_selectorILNS1_17partition_subalgoE5ExNS0_10empty_typeEbEEZZNS1_14partition_implILS5_5ELb0ES3_mN6thrust23THRUST_200600_302600_NS6detail15normal_iteratorINSA_10device_ptrIxEEEEPS6_NSA_18transform_iteratorINSB_9not_fun_tI7is_trueIxEEENSC_INSD_IbEEEENSA_11use_defaultESO_EENS0_5tupleIJNSA_16discard_iteratorISO_EES6_EEENSQ_IJSG_SG_EEES6_PlJS6_EEE10hipError_tPvRmT3_T4_T5_T6_T7_T9_mT8_P12ihipStream_tbDpT10_ENKUlT_T0_E_clISt17integral_constantIbLb1EES1E_IbLb0EEEEDaS1A_S1B_EUlS1A_E_NS1_11comp_targetILNS1_3genE0ELNS1_11target_archE4294967295ELNS1_3gpuE0ELNS1_3repE0EEENS1_30default_config_static_selectorELNS0_4arch9wavefront6targetE0EEEvT1_: ; @_ZN7rocprim17ROCPRIM_400000_NS6detail17trampoline_kernelINS0_14default_configENS1_25partition_config_selectorILNS1_17partition_subalgoE5ExNS0_10empty_typeEbEEZZNS1_14partition_implILS5_5ELb0ES3_mN6thrust23THRUST_200600_302600_NS6detail15normal_iteratorINSA_10device_ptrIxEEEEPS6_NSA_18transform_iteratorINSB_9not_fun_tI7is_trueIxEEENSC_INSD_IbEEEENSA_11use_defaultESO_EENS0_5tupleIJNSA_16discard_iteratorISO_EES6_EEENSQ_IJSG_SG_EEES6_PlJS6_EEE10hipError_tPvRmT3_T4_T5_T6_T7_T9_mT8_P12ihipStream_tbDpT10_ENKUlT_T0_E_clISt17integral_constantIbLb1EES1E_IbLb0EEEEDaS1A_S1B_EUlS1A_E_NS1_11comp_targetILNS1_3genE0ELNS1_11target_archE4294967295ELNS1_3gpuE0ELNS1_3repE0EEENS1_30default_config_static_selectorELNS0_4arch9wavefront6targetE0EEEvT1_
; %bb.0:
	.section	.rodata,"a",@progbits
	.p2align	6, 0x0
	.amdhsa_kernel _ZN7rocprim17ROCPRIM_400000_NS6detail17trampoline_kernelINS0_14default_configENS1_25partition_config_selectorILNS1_17partition_subalgoE5ExNS0_10empty_typeEbEEZZNS1_14partition_implILS5_5ELb0ES3_mN6thrust23THRUST_200600_302600_NS6detail15normal_iteratorINSA_10device_ptrIxEEEEPS6_NSA_18transform_iteratorINSB_9not_fun_tI7is_trueIxEEENSC_INSD_IbEEEENSA_11use_defaultESO_EENS0_5tupleIJNSA_16discard_iteratorISO_EES6_EEENSQ_IJSG_SG_EEES6_PlJS6_EEE10hipError_tPvRmT3_T4_T5_T6_T7_T9_mT8_P12ihipStream_tbDpT10_ENKUlT_T0_E_clISt17integral_constantIbLb1EES1E_IbLb0EEEEDaS1A_S1B_EUlS1A_E_NS1_11comp_targetILNS1_3genE0ELNS1_11target_archE4294967295ELNS1_3gpuE0ELNS1_3repE0EEENS1_30default_config_static_selectorELNS0_4arch9wavefront6targetE0EEEvT1_
		.amdhsa_group_segment_fixed_size 0
		.amdhsa_private_segment_fixed_size 0
		.amdhsa_kernarg_size 128
		.amdhsa_user_sgpr_count 2
		.amdhsa_user_sgpr_dispatch_ptr 0
		.amdhsa_user_sgpr_queue_ptr 0
		.amdhsa_user_sgpr_kernarg_segment_ptr 1
		.amdhsa_user_sgpr_dispatch_id 0
		.amdhsa_user_sgpr_private_segment_size 0
		.amdhsa_wavefront_size32 1
		.amdhsa_uses_dynamic_stack 0
		.amdhsa_enable_private_segment 0
		.amdhsa_system_sgpr_workgroup_id_x 1
		.amdhsa_system_sgpr_workgroup_id_y 0
		.amdhsa_system_sgpr_workgroup_id_z 0
		.amdhsa_system_sgpr_workgroup_info 0
		.amdhsa_system_vgpr_workitem_id 0
		.amdhsa_next_free_vgpr 1
		.amdhsa_next_free_sgpr 1
		.amdhsa_reserve_vcc 0
		.amdhsa_float_round_mode_32 0
		.amdhsa_float_round_mode_16_64 0
		.amdhsa_float_denorm_mode_32 3
		.amdhsa_float_denorm_mode_16_64 3
		.amdhsa_fp16_overflow 0
		.amdhsa_workgroup_processor_mode 1
		.amdhsa_memory_ordered 1
		.amdhsa_forward_progress 1
		.amdhsa_inst_pref_size 0
		.amdhsa_round_robin_scheduling 0
		.amdhsa_exception_fp_ieee_invalid_op 0
		.amdhsa_exception_fp_denorm_src 0
		.amdhsa_exception_fp_ieee_div_zero 0
		.amdhsa_exception_fp_ieee_overflow 0
		.amdhsa_exception_fp_ieee_underflow 0
		.amdhsa_exception_fp_ieee_inexact 0
		.amdhsa_exception_int_div_zero 0
	.end_amdhsa_kernel
	.section	.text._ZN7rocprim17ROCPRIM_400000_NS6detail17trampoline_kernelINS0_14default_configENS1_25partition_config_selectorILNS1_17partition_subalgoE5ExNS0_10empty_typeEbEEZZNS1_14partition_implILS5_5ELb0ES3_mN6thrust23THRUST_200600_302600_NS6detail15normal_iteratorINSA_10device_ptrIxEEEEPS6_NSA_18transform_iteratorINSB_9not_fun_tI7is_trueIxEEENSC_INSD_IbEEEENSA_11use_defaultESO_EENS0_5tupleIJNSA_16discard_iteratorISO_EES6_EEENSQ_IJSG_SG_EEES6_PlJS6_EEE10hipError_tPvRmT3_T4_T5_T6_T7_T9_mT8_P12ihipStream_tbDpT10_ENKUlT_T0_E_clISt17integral_constantIbLb1EES1E_IbLb0EEEEDaS1A_S1B_EUlS1A_E_NS1_11comp_targetILNS1_3genE0ELNS1_11target_archE4294967295ELNS1_3gpuE0ELNS1_3repE0EEENS1_30default_config_static_selectorELNS0_4arch9wavefront6targetE0EEEvT1_,"axG",@progbits,_ZN7rocprim17ROCPRIM_400000_NS6detail17trampoline_kernelINS0_14default_configENS1_25partition_config_selectorILNS1_17partition_subalgoE5ExNS0_10empty_typeEbEEZZNS1_14partition_implILS5_5ELb0ES3_mN6thrust23THRUST_200600_302600_NS6detail15normal_iteratorINSA_10device_ptrIxEEEEPS6_NSA_18transform_iteratorINSB_9not_fun_tI7is_trueIxEEENSC_INSD_IbEEEENSA_11use_defaultESO_EENS0_5tupleIJNSA_16discard_iteratorISO_EES6_EEENSQ_IJSG_SG_EEES6_PlJS6_EEE10hipError_tPvRmT3_T4_T5_T6_T7_T9_mT8_P12ihipStream_tbDpT10_ENKUlT_T0_E_clISt17integral_constantIbLb1EES1E_IbLb0EEEEDaS1A_S1B_EUlS1A_E_NS1_11comp_targetILNS1_3genE0ELNS1_11target_archE4294967295ELNS1_3gpuE0ELNS1_3repE0EEENS1_30default_config_static_selectorELNS0_4arch9wavefront6targetE0EEEvT1_,comdat
.Lfunc_end2765:
	.size	_ZN7rocprim17ROCPRIM_400000_NS6detail17trampoline_kernelINS0_14default_configENS1_25partition_config_selectorILNS1_17partition_subalgoE5ExNS0_10empty_typeEbEEZZNS1_14partition_implILS5_5ELb0ES3_mN6thrust23THRUST_200600_302600_NS6detail15normal_iteratorINSA_10device_ptrIxEEEEPS6_NSA_18transform_iteratorINSB_9not_fun_tI7is_trueIxEEENSC_INSD_IbEEEENSA_11use_defaultESO_EENS0_5tupleIJNSA_16discard_iteratorISO_EES6_EEENSQ_IJSG_SG_EEES6_PlJS6_EEE10hipError_tPvRmT3_T4_T5_T6_T7_T9_mT8_P12ihipStream_tbDpT10_ENKUlT_T0_E_clISt17integral_constantIbLb1EES1E_IbLb0EEEEDaS1A_S1B_EUlS1A_E_NS1_11comp_targetILNS1_3genE0ELNS1_11target_archE4294967295ELNS1_3gpuE0ELNS1_3repE0EEENS1_30default_config_static_selectorELNS0_4arch9wavefront6targetE0EEEvT1_, .Lfunc_end2765-_ZN7rocprim17ROCPRIM_400000_NS6detail17trampoline_kernelINS0_14default_configENS1_25partition_config_selectorILNS1_17partition_subalgoE5ExNS0_10empty_typeEbEEZZNS1_14partition_implILS5_5ELb0ES3_mN6thrust23THRUST_200600_302600_NS6detail15normal_iteratorINSA_10device_ptrIxEEEEPS6_NSA_18transform_iteratorINSB_9not_fun_tI7is_trueIxEEENSC_INSD_IbEEEENSA_11use_defaultESO_EENS0_5tupleIJNSA_16discard_iteratorISO_EES6_EEENSQ_IJSG_SG_EEES6_PlJS6_EEE10hipError_tPvRmT3_T4_T5_T6_T7_T9_mT8_P12ihipStream_tbDpT10_ENKUlT_T0_E_clISt17integral_constantIbLb1EES1E_IbLb0EEEEDaS1A_S1B_EUlS1A_E_NS1_11comp_targetILNS1_3genE0ELNS1_11target_archE4294967295ELNS1_3gpuE0ELNS1_3repE0EEENS1_30default_config_static_selectorELNS0_4arch9wavefront6targetE0EEEvT1_
                                        ; -- End function
	.set _ZN7rocprim17ROCPRIM_400000_NS6detail17trampoline_kernelINS0_14default_configENS1_25partition_config_selectorILNS1_17partition_subalgoE5ExNS0_10empty_typeEbEEZZNS1_14partition_implILS5_5ELb0ES3_mN6thrust23THRUST_200600_302600_NS6detail15normal_iteratorINSA_10device_ptrIxEEEEPS6_NSA_18transform_iteratorINSB_9not_fun_tI7is_trueIxEEENSC_INSD_IbEEEENSA_11use_defaultESO_EENS0_5tupleIJNSA_16discard_iteratorISO_EES6_EEENSQ_IJSG_SG_EEES6_PlJS6_EEE10hipError_tPvRmT3_T4_T5_T6_T7_T9_mT8_P12ihipStream_tbDpT10_ENKUlT_T0_E_clISt17integral_constantIbLb1EES1E_IbLb0EEEEDaS1A_S1B_EUlS1A_E_NS1_11comp_targetILNS1_3genE0ELNS1_11target_archE4294967295ELNS1_3gpuE0ELNS1_3repE0EEENS1_30default_config_static_selectorELNS0_4arch9wavefront6targetE0EEEvT1_.num_vgpr, 0
	.set _ZN7rocprim17ROCPRIM_400000_NS6detail17trampoline_kernelINS0_14default_configENS1_25partition_config_selectorILNS1_17partition_subalgoE5ExNS0_10empty_typeEbEEZZNS1_14partition_implILS5_5ELb0ES3_mN6thrust23THRUST_200600_302600_NS6detail15normal_iteratorINSA_10device_ptrIxEEEEPS6_NSA_18transform_iteratorINSB_9not_fun_tI7is_trueIxEEENSC_INSD_IbEEEENSA_11use_defaultESO_EENS0_5tupleIJNSA_16discard_iteratorISO_EES6_EEENSQ_IJSG_SG_EEES6_PlJS6_EEE10hipError_tPvRmT3_T4_T5_T6_T7_T9_mT8_P12ihipStream_tbDpT10_ENKUlT_T0_E_clISt17integral_constantIbLb1EES1E_IbLb0EEEEDaS1A_S1B_EUlS1A_E_NS1_11comp_targetILNS1_3genE0ELNS1_11target_archE4294967295ELNS1_3gpuE0ELNS1_3repE0EEENS1_30default_config_static_selectorELNS0_4arch9wavefront6targetE0EEEvT1_.num_agpr, 0
	.set _ZN7rocprim17ROCPRIM_400000_NS6detail17trampoline_kernelINS0_14default_configENS1_25partition_config_selectorILNS1_17partition_subalgoE5ExNS0_10empty_typeEbEEZZNS1_14partition_implILS5_5ELb0ES3_mN6thrust23THRUST_200600_302600_NS6detail15normal_iteratorINSA_10device_ptrIxEEEEPS6_NSA_18transform_iteratorINSB_9not_fun_tI7is_trueIxEEENSC_INSD_IbEEEENSA_11use_defaultESO_EENS0_5tupleIJNSA_16discard_iteratorISO_EES6_EEENSQ_IJSG_SG_EEES6_PlJS6_EEE10hipError_tPvRmT3_T4_T5_T6_T7_T9_mT8_P12ihipStream_tbDpT10_ENKUlT_T0_E_clISt17integral_constantIbLb1EES1E_IbLb0EEEEDaS1A_S1B_EUlS1A_E_NS1_11comp_targetILNS1_3genE0ELNS1_11target_archE4294967295ELNS1_3gpuE0ELNS1_3repE0EEENS1_30default_config_static_selectorELNS0_4arch9wavefront6targetE0EEEvT1_.numbered_sgpr, 0
	.set _ZN7rocprim17ROCPRIM_400000_NS6detail17trampoline_kernelINS0_14default_configENS1_25partition_config_selectorILNS1_17partition_subalgoE5ExNS0_10empty_typeEbEEZZNS1_14partition_implILS5_5ELb0ES3_mN6thrust23THRUST_200600_302600_NS6detail15normal_iteratorINSA_10device_ptrIxEEEEPS6_NSA_18transform_iteratorINSB_9not_fun_tI7is_trueIxEEENSC_INSD_IbEEEENSA_11use_defaultESO_EENS0_5tupleIJNSA_16discard_iteratorISO_EES6_EEENSQ_IJSG_SG_EEES6_PlJS6_EEE10hipError_tPvRmT3_T4_T5_T6_T7_T9_mT8_P12ihipStream_tbDpT10_ENKUlT_T0_E_clISt17integral_constantIbLb1EES1E_IbLb0EEEEDaS1A_S1B_EUlS1A_E_NS1_11comp_targetILNS1_3genE0ELNS1_11target_archE4294967295ELNS1_3gpuE0ELNS1_3repE0EEENS1_30default_config_static_selectorELNS0_4arch9wavefront6targetE0EEEvT1_.num_named_barrier, 0
	.set _ZN7rocprim17ROCPRIM_400000_NS6detail17trampoline_kernelINS0_14default_configENS1_25partition_config_selectorILNS1_17partition_subalgoE5ExNS0_10empty_typeEbEEZZNS1_14partition_implILS5_5ELb0ES3_mN6thrust23THRUST_200600_302600_NS6detail15normal_iteratorINSA_10device_ptrIxEEEEPS6_NSA_18transform_iteratorINSB_9not_fun_tI7is_trueIxEEENSC_INSD_IbEEEENSA_11use_defaultESO_EENS0_5tupleIJNSA_16discard_iteratorISO_EES6_EEENSQ_IJSG_SG_EEES6_PlJS6_EEE10hipError_tPvRmT3_T4_T5_T6_T7_T9_mT8_P12ihipStream_tbDpT10_ENKUlT_T0_E_clISt17integral_constantIbLb1EES1E_IbLb0EEEEDaS1A_S1B_EUlS1A_E_NS1_11comp_targetILNS1_3genE0ELNS1_11target_archE4294967295ELNS1_3gpuE0ELNS1_3repE0EEENS1_30default_config_static_selectorELNS0_4arch9wavefront6targetE0EEEvT1_.private_seg_size, 0
	.set _ZN7rocprim17ROCPRIM_400000_NS6detail17trampoline_kernelINS0_14default_configENS1_25partition_config_selectorILNS1_17partition_subalgoE5ExNS0_10empty_typeEbEEZZNS1_14partition_implILS5_5ELb0ES3_mN6thrust23THRUST_200600_302600_NS6detail15normal_iteratorINSA_10device_ptrIxEEEEPS6_NSA_18transform_iteratorINSB_9not_fun_tI7is_trueIxEEENSC_INSD_IbEEEENSA_11use_defaultESO_EENS0_5tupleIJNSA_16discard_iteratorISO_EES6_EEENSQ_IJSG_SG_EEES6_PlJS6_EEE10hipError_tPvRmT3_T4_T5_T6_T7_T9_mT8_P12ihipStream_tbDpT10_ENKUlT_T0_E_clISt17integral_constantIbLb1EES1E_IbLb0EEEEDaS1A_S1B_EUlS1A_E_NS1_11comp_targetILNS1_3genE0ELNS1_11target_archE4294967295ELNS1_3gpuE0ELNS1_3repE0EEENS1_30default_config_static_selectorELNS0_4arch9wavefront6targetE0EEEvT1_.uses_vcc, 0
	.set _ZN7rocprim17ROCPRIM_400000_NS6detail17trampoline_kernelINS0_14default_configENS1_25partition_config_selectorILNS1_17partition_subalgoE5ExNS0_10empty_typeEbEEZZNS1_14partition_implILS5_5ELb0ES3_mN6thrust23THRUST_200600_302600_NS6detail15normal_iteratorINSA_10device_ptrIxEEEEPS6_NSA_18transform_iteratorINSB_9not_fun_tI7is_trueIxEEENSC_INSD_IbEEEENSA_11use_defaultESO_EENS0_5tupleIJNSA_16discard_iteratorISO_EES6_EEENSQ_IJSG_SG_EEES6_PlJS6_EEE10hipError_tPvRmT3_T4_T5_T6_T7_T9_mT8_P12ihipStream_tbDpT10_ENKUlT_T0_E_clISt17integral_constantIbLb1EES1E_IbLb0EEEEDaS1A_S1B_EUlS1A_E_NS1_11comp_targetILNS1_3genE0ELNS1_11target_archE4294967295ELNS1_3gpuE0ELNS1_3repE0EEENS1_30default_config_static_selectorELNS0_4arch9wavefront6targetE0EEEvT1_.uses_flat_scratch, 0
	.set _ZN7rocprim17ROCPRIM_400000_NS6detail17trampoline_kernelINS0_14default_configENS1_25partition_config_selectorILNS1_17partition_subalgoE5ExNS0_10empty_typeEbEEZZNS1_14partition_implILS5_5ELb0ES3_mN6thrust23THRUST_200600_302600_NS6detail15normal_iteratorINSA_10device_ptrIxEEEEPS6_NSA_18transform_iteratorINSB_9not_fun_tI7is_trueIxEEENSC_INSD_IbEEEENSA_11use_defaultESO_EENS0_5tupleIJNSA_16discard_iteratorISO_EES6_EEENSQ_IJSG_SG_EEES6_PlJS6_EEE10hipError_tPvRmT3_T4_T5_T6_T7_T9_mT8_P12ihipStream_tbDpT10_ENKUlT_T0_E_clISt17integral_constantIbLb1EES1E_IbLb0EEEEDaS1A_S1B_EUlS1A_E_NS1_11comp_targetILNS1_3genE0ELNS1_11target_archE4294967295ELNS1_3gpuE0ELNS1_3repE0EEENS1_30default_config_static_selectorELNS0_4arch9wavefront6targetE0EEEvT1_.has_dyn_sized_stack, 0
	.set _ZN7rocprim17ROCPRIM_400000_NS6detail17trampoline_kernelINS0_14default_configENS1_25partition_config_selectorILNS1_17partition_subalgoE5ExNS0_10empty_typeEbEEZZNS1_14partition_implILS5_5ELb0ES3_mN6thrust23THRUST_200600_302600_NS6detail15normal_iteratorINSA_10device_ptrIxEEEEPS6_NSA_18transform_iteratorINSB_9not_fun_tI7is_trueIxEEENSC_INSD_IbEEEENSA_11use_defaultESO_EENS0_5tupleIJNSA_16discard_iteratorISO_EES6_EEENSQ_IJSG_SG_EEES6_PlJS6_EEE10hipError_tPvRmT3_T4_T5_T6_T7_T9_mT8_P12ihipStream_tbDpT10_ENKUlT_T0_E_clISt17integral_constantIbLb1EES1E_IbLb0EEEEDaS1A_S1B_EUlS1A_E_NS1_11comp_targetILNS1_3genE0ELNS1_11target_archE4294967295ELNS1_3gpuE0ELNS1_3repE0EEENS1_30default_config_static_selectorELNS0_4arch9wavefront6targetE0EEEvT1_.has_recursion, 0
	.set _ZN7rocprim17ROCPRIM_400000_NS6detail17trampoline_kernelINS0_14default_configENS1_25partition_config_selectorILNS1_17partition_subalgoE5ExNS0_10empty_typeEbEEZZNS1_14partition_implILS5_5ELb0ES3_mN6thrust23THRUST_200600_302600_NS6detail15normal_iteratorINSA_10device_ptrIxEEEEPS6_NSA_18transform_iteratorINSB_9not_fun_tI7is_trueIxEEENSC_INSD_IbEEEENSA_11use_defaultESO_EENS0_5tupleIJNSA_16discard_iteratorISO_EES6_EEENSQ_IJSG_SG_EEES6_PlJS6_EEE10hipError_tPvRmT3_T4_T5_T6_T7_T9_mT8_P12ihipStream_tbDpT10_ENKUlT_T0_E_clISt17integral_constantIbLb1EES1E_IbLb0EEEEDaS1A_S1B_EUlS1A_E_NS1_11comp_targetILNS1_3genE0ELNS1_11target_archE4294967295ELNS1_3gpuE0ELNS1_3repE0EEENS1_30default_config_static_selectorELNS0_4arch9wavefront6targetE0EEEvT1_.has_indirect_call, 0
	.section	.AMDGPU.csdata,"",@progbits
; Kernel info:
; codeLenInByte = 0
; TotalNumSgprs: 0
; NumVgprs: 0
; ScratchSize: 0
; MemoryBound: 0
; FloatMode: 240
; IeeeMode: 1
; LDSByteSize: 0 bytes/workgroup (compile time only)
; SGPRBlocks: 0
; VGPRBlocks: 0
; NumSGPRsForWavesPerEU: 1
; NumVGPRsForWavesPerEU: 1
; Occupancy: 16
; WaveLimiterHint : 0
; COMPUTE_PGM_RSRC2:SCRATCH_EN: 0
; COMPUTE_PGM_RSRC2:USER_SGPR: 2
; COMPUTE_PGM_RSRC2:TRAP_HANDLER: 0
; COMPUTE_PGM_RSRC2:TGID_X_EN: 1
; COMPUTE_PGM_RSRC2:TGID_Y_EN: 0
; COMPUTE_PGM_RSRC2:TGID_Z_EN: 0
; COMPUTE_PGM_RSRC2:TIDIG_COMP_CNT: 0
	.section	.text._ZN7rocprim17ROCPRIM_400000_NS6detail17trampoline_kernelINS0_14default_configENS1_25partition_config_selectorILNS1_17partition_subalgoE5ExNS0_10empty_typeEbEEZZNS1_14partition_implILS5_5ELb0ES3_mN6thrust23THRUST_200600_302600_NS6detail15normal_iteratorINSA_10device_ptrIxEEEEPS6_NSA_18transform_iteratorINSB_9not_fun_tI7is_trueIxEEENSC_INSD_IbEEEENSA_11use_defaultESO_EENS0_5tupleIJNSA_16discard_iteratorISO_EES6_EEENSQ_IJSG_SG_EEES6_PlJS6_EEE10hipError_tPvRmT3_T4_T5_T6_T7_T9_mT8_P12ihipStream_tbDpT10_ENKUlT_T0_E_clISt17integral_constantIbLb1EES1E_IbLb0EEEEDaS1A_S1B_EUlS1A_E_NS1_11comp_targetILNS1_3genE5ELNS1_11target_archE942ELNS1_3gpuE9ELNS1_3repE0EEENS1_30default_config_static_selectorELNS0_4arch9wavefront6targetE0EEEvT1_,"axG",@progbits,_ZN7rocprim17ROCPRIM_400000_NS6detail17trampoline_kernelINS0_14default_configENS1_25partition_config_selectorILNS1_17partition_subalgoE5ExNS0_10empty_typeEbEEZZNS1_14partition_implILS5_5ELb0ES3_mN6thrust23THRUST_200600_302600_NS6detail15normal_iteratorINSA_10device_ptrIxEEEEPS6_NSA_18transform_iteratorINSB_9not_fun_tI7is_trueIxEEENSC_INSD_IbEEEENSA_11use_defaultESO_EENS0_5tupleIJNSA_16discard_iteratorISO_EES6_EEENSQ_IJSG_SG_EEES6_PlJS6_EEE10hipError_tPvRmT3_T4_T5_T6_T7_T9_mT8_P12ihipStream_tbDpT10_ENKUlT_T0_E_clISt17integral_constantIbLb1EES1E_IbLb0EEEEDaS1A_S1B_EUlS1A_E_NS1_11comp_targetILNS1_3genE5ELNS1_11target_archE942ELNS1_3gpuE9ELNS1_3repE0EEENS1_30default_config_static_selectorELNS0_4arch9wavefront6targetE0EEEvT1_,comdat
	.protected	_ZN7rocprim17ROCPRIM_400000_NS6detail17trampoline_kernelINS0_14default_configENS1_25partition_config_selectorILNS1_17partition_subalgoE5ExNS0_10empty_typeEbEEZZNS1_14partition_implILS5_5ELb0ES3_mN6thrust23THRUST_200600_302600_NS6detail15normal_iteratorINSA_10device_ptrIxEEEEPS6_NSA_18transform_iteratorINSB_9not_fun_tI7is_trueIxEEENSC_INSD_IbEEEENSA_11use_defaultESO_EENS0_5tupleIJNSA_16discard_iteratorISO_EES6_EEENSQ_IJSG_SG_EEES6_PlJS6_EEE10hipError_tPvRmT3_T4_T5_T6_T7_T9_mT8_P12ihipStream_tbDpT10_ENKUlT_T0_E_clISt17integral_constantIbLb1EES1E_IbLb0EEEEDaS1A_S1B_EUlS1A_E_NS1_11comp_targetILNS1_3genE5ELNS1_11target_archE942ELNS1_3gpuE9ELNS1_3repE0EEENS1_30default_config_static_selectorELNS0_4arch9wavefront6targetE0EEEvT1_ ; -- Begin function _ZN7rocprim17ROCPRIM_400000_NS6detail17trampoline_kernelINS0_14default_configENS1_25partition_config_selectorILNS1_17partition_subalgoE5ExNS0_10empty_typeEbEEZZNS1_14partition_implILS5_5ELb0ES3_mN6thrust23THRUST_200600_302600_NS6detail15normal_iteratorINSA_10device_ptrIxEEEEPS6_NSA_18transform_iteratorINSB_9not_fun_tI7is_trueIxEEENSC_INSD_IbEEEENSA_11use_defaultESO_EENS0_5tupleIJNSA_16discard_iteratorISO_EES6_EEENSQ_IJSG_SG_EEES6_PlJS6_EEE10hipError_tPvRmT3_T4_T5_T6_T7_T9_mT8_P12ihipStream_tbDpT10_ENKUlT_T0_E_clISt17integral_constantIbLb1EES1E_IbLb0EEEEDaS1A_S1B_EUlS1A_E_NS1_11comp_targetILNS1_3genE5ELNS1_11target_archE942ELNS1_3gpuE9ELNS1_3repE0EEENS1_30default_config_static_selectorELNS0_4arch9wavefront6targetE0EEEvT1_
	.globl	_ZN7rocprim17ROCPRIM_400000_NS6detail17trampoline_kernelINS0_14default_configENS1_25partition_config_selectorILNS1_17partition_subalgoE5ExNS0_10empty_typeEbEEZZNS1_14partition_implILS5_5ELb0ES3_mN6thrust23THRUST_200600_302600_NS6detail15normal_iteratorINSA_10device_ptrIxEEEEPS6_NSA_18transform_iteratorINSB_9not_fun_tI7is_trueIxEEENSC_INSD_IbEEEENSA_11use_defaultESO_EENS0_5tupleIJNSA_16discard_iteratorISO_EES6_EEENSQ_IJSG_SG_EEES6_PlJS6_EEE10hipError_tPvRmT3_T4_T5_T6_T7_T9_mT8_P12ihipStream_tbDpT10_ENKUlT_T0_E_clISt17integral_constantIbLb1EES1E_IbLb0EEEEDaS1A_S1B_EUlS1A_E_NS1_11comp_targetILNS1_3genE5ELNS1_11target_archE942ELNS1_3gpuE9ELNS1_3repE0EEENS1_30default_config_static_selectorELNS0_4arch9wavefront6targetE0EEEvT1_
	.p2align	8
	.type	_ZN7rocprim17ROCPRIM_400000_NS6detail17trampoline_kernelINS0_14default_configENS1_25partition_config_selectorILNS1_17partition_subalgoE5ExNS0_10empty_typeEbEEZZNS1_14partition_implILS5_5ELb0ES3_mN6thrust23THRUST_200600_302600_NS6detail15normal_iteratorINSA_10device_ptrIxEEEEPS6_NSA_18transform_iteratorINSB_9not_fun_tI7is_trueIxEEENSC_INSD_IbEEEENSA_11use_defaultESO_EENS0_5tupleIJNSA_16discard_iteratorISO_EES6_EEENSQ_IJSG_SG_EEES6_PlJS6_EEE10hipError_tPvRmT3_T4_T5_T6_T7_T9_mT8_P12ihipStream_tbDpT10_ENKUlT_T0_E_clISt17integral_constantIbLb1EES1E_IbLb0EEEEDaS1A_S1B_EUlS1A_E_NS1_11comp_targetILNS1_3genE5ELNS1_11target_archE942ELNS1_3gpuE9ELNS1_3repE0EEENS1_30default_config_static_selectorELNS0_4arch9wavefront6targetE0EEEvT1_,@function
_ZN7rocprim17ROCPRIM_400000_NS6detail17trampoline_kernelINS0_14default_configENS1_25partition_config_selectorILNS1_17partition_subalgoE5ExNS0_10empty_typeEbEEZZNS1_14partition_implILS5_5ELb0ES3_mN6thrust23THRUST_200600_302600_NS6detail15normal_iteratorINSA_10device_ptrIxEEEEPS6_NSA_18transform_iteratorINSB_9not_fun_tI7is_trueIxEEENSC_INSD_IbEEEENSA_11use_defaultESO_EENS0_5tupleIJNSA_16discard_iteratorISO_EES6_EEENSQ_IJSG_SG_EEES6_PlJS6_EEE10hipError_tPvRmT3_T4_T5_T6_T7_T9_mT8_P12ihipStream_tbDpT10_ENKUlT_T0_E_clISt17integral_constantIbLb1EES1E_IbLb0EEEEDaS1A_S1B_EUlS1A_E_NS1_11comp_targetILNS1_3genE5ELNS1_11target_archE942ELNS1_3gpuE9ELNS1_3repE0EEENS1_30default_config_static_selectorELNS0_4arch9wavefront6targetE0EEEvT1_: ; @_ZN7rocprim17ROCPRIM_400000_NS6detail17trampoline_kernelINS0_14default_configENS1_25partition_config_selectorILNS1_17partition_subalgoE5ExNS0_10empty_typeEbEEZZNS1_14partition_implILS5_5ELb0ES3_mN6thrust23THRUST_200600_302600_NS6detail15normal_iteratorINSA_10device_ptrIxEEEEPS6_NSA_18transform_iteratorINSB_9not_fun_tI7is_trueIxEEENSC_INSD_IbEEEENSA_11use_defaultESO_EENS0_5tupleIJNSA_16discard_iteratorISO_EES6_EEENSQ_IJSG_SG_EEES6_PlJS6_EEE10hipError_tPvRmT3_T4_T5_T6_T7_T9_mT8_P12ihipStream_tbDpT10_ENKUlT_T0_E_clISt17integral_constantIbLb1EES1E_IbLb0EEEEDaS1A_S1B_EUlS1A_E_NS1_11comp_targetILNS1_3genE5ELNS1_11target_archE942ELNS1_3gpuE9ELNS1_3repE0EEENS1_30default_config_static_selectorELNS0_4arch9wavefront6targetE0EEEvT1_
; %bb.0:
	.section	.rodata,"a",@progbits
	.p2align	6, 0x0
	.amdhsa_kernel _ZN7rocprim17ROCPRIM_400000_NS6detail17trampoline_kernelINS0_14default_configENS1_25partition_config_selectorILNS1_17partition_subalgoE5ExNS0_10empty_typeEbEEZZNS1_14partition_implILS5_5ELb0ES3_mN6thrust23THRUST_200600_302600_NS6detail15normal_iteratorINSA_10device_ptrIxEEEEPS6_NSA_18transform_iteratorINSB_9not_fun_tI7is_trueIxEEENSC_INSD_IbEEEENSA_11use_defaultESO_EENS0_5tupleIJNSA_16discard_iteratorISO_EES6_EEENSQ_IJSG_SG_EEES6_PlJS6_EEE10hipError_tPvRmT3_T4_T5_T6_T7_T9_mT8_P12ihipStream_tbDpT10_ENKUlT_T0_E_clISt17integral_constantIbLb1EES1E_IbLb0EEEEDaS1A_S1B_EUlS1A_E_NS1_11comp_targetILNS1_3genE5ELNS1_11target_archE942ELNS1_3gpuE9ELNS1_3repE0EEENS1_30default_config_static_selectorELNS0_4arch9wavefront6targetE0EEEvT1_
		.amdhsa_group_segment_fixed_size 0
		.amdhsa_private_segment_fixed_size 0
		.amdhsa_kernarg_size 128
		.amdhsa_user_sgpr_count 2
		.amdhsa_user_sgpr_dispatch_ptr 0
		.amdhsa_user_sgpr_queue_ptr 0
		.amdhsa_user_sgpr_kernarg_segment_ptr 1
		.amdhsa_user_sgpr_dispatch_id 0
		.amdhsa_user_sgpr_private_segment_size 0
		.amdhsa_wavefront_size32 1
		.amdhsa_uses_dynamic_stack 0
		.amdhsa_enable_private_segment 0
		.amdhsa_system_sgpr_workgroup_id_x 1
		.amdhsa_system_sgpr_workgroup_id_y 0
		.amdhsa_system_sgpr_workgroup_id_z 0
		.amdhsa_system_sgpr_workgroup_info 0
		.amdhsa_system_vgpr_workitem_id 0
		.amdhsa_next_free_vgpr 1
		.amdhsa_next_free_sgpr 1
		.amdhsa_reserve_vcc 0
		.amdhsa_float_round_mode_32 0
		.amdhsa_float_round_mode_16_64 0
		.amdhsa_float_denorm_mode_32 3
		.amdhsa_float_denorm_mode_16_64 3
		.amdhsa_fp16_overflow 0
		.amdhsa_workgroup_processor_mode 1
		.amdhsa_memory_ordered 1
		.amdhsa_forward_progress 1
		.amdhsa_inst_pref_size 0
		.amdhsa_round_robin_scheduling 0
		.amdhsa_exception_fp_ieee_invalid_op 0
		.amdhsa_exception_fp_denorm_src 0
		.amdhsa_exception_fp_ieee_div_zero 0
		.amdhsa_exception_fp_ieee_overflow 0
		.amdhsa_exception_fp_ieee_underflow 0
		.amdhsa_exception_fp_ieee_inexact 0
		.amdhsa_exception_int_div_zero 0
	.end_amdhsa_kernel
	.section	.text._ZN7rocprim17ROCPRIM_400000_NS6detail17trampoline_kernelINS0_14default_configENS1_25partition_config_selectorILNS1_17partition_subalgoE5ExNS0_10empty_typeEbEEZZNS1_14partition_implILS5_5ELb0ES3_mN6thrust23THRUST_200600_302600_NS6detail15normal_iteratorINSA_10device_ptrIxEEEEPS6_NSA_18transform_iteratorINSB_9not_fun_tI7is_trueIxEEENSC_INSD_IbEEEENSA_11use_defaultESO_EENS0_5tupleIJNSA_16discard_iteratorISO_EES6_EEENSQ_IJSG_SG_EEES6_PlJS6_EEE10hipError_tPvRmT3_T4_T5_T6_T7_T9_mT8_P12ihipStream_tbDpT10_ENKUlT_T0_E_clISt17integral_constantIbLb1EES1E_IbLb0EEEEDaS1A_S1B_EUlS1A_E_NS1_11comp_targetILNS1_3genE5ELNS1_11target_archE942ELNS1_3gpuE9ELNS1_3repE0EEENS1_30default_config_static_selectorELNS0_4arch9wavefront6targetE0EEEvT1_,"axG",@progbits,_ZN7rocprim17ROCPRIM_400000_NS6detail17trampoline_kernelINS0_14default_configENS1_25partition_config_selectorILNS1_17partition_subalgoE5ExNS0_10empty_typeEbEEZZNS1_14partition_implILS5_5ELb0ES3_mN6thrust23THRUST_200600_302600_NS6detail15normal_iteratorINSA_10device_ptrIxEEEEPS6_NSA_18transform_iteratorINSB_9not_fun_tI7is_trueIxEEENSC_INSD_IbEEEENSA_11use_defaultESO_EENS0_5tupleIJNSA_16discard_iteratorISO_EES6_EEENSQ_IJSG_SG_EEES6_PlJS6_EEE10hipError_tPvRmT3_T4_T5_T6_T7_T9_mT8_P12ihipStream_tbDpT10_ENKUlT_T0_E_clISt17integral_constantIbLb1EES1E_IbLb0EEEEDaS1A_S1B_EUlS1A_E_NS1_11comp_targetILNS1_3genE5ELNS1_11target_archE942ELNS1_3gpuE9ELNS1_3repE0EEENS1_30default_config_static_selectorELNS0_4arch9wavefront6targetE0EEEvT1_,comdat
.Lfunc_end2766:
	.size	_ZN7rocprim17ROCPRIM_400000_NS6detail17trampoline_kernelINS0_14default_configENS1_25partition_config_selectorILNS1_17partition_subalgoE5ExNS0_10empty_typeEbEEZZNS1_14partition_implILS5_5ELb0ES3_mN6thrust23THRUST_200600_302600_NS6detail15normal_iteratorINSA_10device_ptrIxEEEEPS6_NSA_18transform_iteratorINSB_9not_fun_tI7is_trueIxEEENSC_INSD_IbEEEENSA_11use_defaultESO_EENS0_5tupleIJNSA_16discard_iteratorISO_EES6_EEENSQ_IJSG_SG_EEES6_PlJS6_EEE10hipError_tPvRmT3_T4_T5_T6_T7_T9_mT8_P12ihipStream_tbDpT10_ENKUlT_T0_E_clISt17integral_constantIbLb1EES1E_IbLb0EEEEDaS1A_S1B_EUlS1A_E_NS1_11comp_targetILNS1_3genE5ELNS1_11target_archE942ELNS1_3gpuE9ELNS1_3repE0EEENS1_30default_config_static_selectorELNS0_4arch9wavefront6targetE0EEEvT1_, .Lfunc_end2766-_ZN7rocprim17ROCPRIM_400000_NS6detail17trampoline_kernelINS0_14default_configENS1_25partition_config_selectorILNS1_17partition_subalgoE5ExNS0_10empty_typeEbEEZZNS1_14partition_implILS5_5ELb0ES3_mN6thrust23THRUST_200600_302600_NS6detail15normal_iteratorINSA_10device_ptrIxEEEEPS6_NSA_18transform_iteratorINSB_9not_fun_tI7is_trueIxEEENSC_INSD_IbEEEENSA_11use_defaultESO_EENS0_5tupleIJNSA_16discard_iteratorISO_EES6_EEENSQ_IJSG_SG_EEES6_PlJS6_EEE10hipError_tPvRmT3_T4_T5_T6_T7_T9_mT8_P12ihipStream_tbDpT10_ENKUlT_T0_E_clISt17integral_constantIbLb1EES1E_IbLb0EEEEDaS1A_S1B_EUlS1A_E_NS1_11comp_targetILNS1_3genE5ELNS1_11target_archE942ELNS1_3gpuE9ELNS1_3repE0EEENS1_30default_config_static_selectorELNS0_4arch9wavefront6targetE0EEEvT1_
                                        ; -- End function
	.set _ZN7rocprim17ROCPRIM_400000_NS6detail17trampoline_kernelINS0_14default_configENS1_25partition_config_selectorILNS1_17partition_subalgoE5ExNS0_10empty_typeEbEEZZNS1_14partition_implILS5_5ELb0ES3_mN6thrust23THRUST_200600_302600_NS6detail15normal_iteratorINSA_10device_ptrIxEEEEPS6_NSA_18transform_iteratorINSB_9not_fun_tI7is_trueIxEEENSC_INSD_IbEEEENSA_11use_defaultESO_EENS0_5tupleIJNSA_16discard_iteratorISO_EES6_EEENSQ_IJSG_SG_EEES6_PlJS6_EEE10hipError_tPvRmT3_T4_T5_T6_T7_T9_mT8_P12ihipStream_tbDpT10_ENKUlT_T0_E_clISt17integral_constantIbLb1EES1E_IbLb0EEEEDaS1A_S1B_EUlS1A_E_NS1_11comp_targetILNS1_3genE5ELNS1_11target_archE942ELNS1_3gpuE9ELNS1_3repE0EEENS1_30default_config_static_selectorELNS0_4arch9wavefront6targetE0EEEvT1_.num_vgpr, 0
	.set _ZN7rocprim17ROCPRIM_400000_NS6detail17trampoline_kernelINS0_14default_configENS1_25partition_config_selectorILNS1_17partition_subalgoE5ExNS0_10empty_typeEbEEZZNS1_14partition_implILS5_5ELb0ES3_mN6thrust23THRUST_200600_302600_NS6detail15normal_iteratorINSA_10device_ptrIxEEEEPS6_NSA_18transform_iteratorINSB_9not_fun_tI7is_trueIxEEENSC_INSD_IbEEEENSA_11use_defaultESO_EENS0_5tupleIJNSA_16discard_iteratorISO_EES6_EEENSQ_IJSG_SG_EEES6_PlJS6_EEE10hipError_tPvRmT3_T4_T5_T6_T7_T9_mT8_P12ihipStream_tbDpT10_ENKUlT_T0_E_clISt17integral_constantIbLb1EES1E_IbLb0EEEEDaS1A_S1B_EUlS1A_E_NS1_11comp_targetILNS1_3genE5ELNS1_11target_archE942ELNS1_3gpuE9ELNS1_3repE0EEENS1_30default_config_static_selectorELNS0_4arch9wavefront6targetE0EEEvT1_.num_agpr, 0
	.set _ZN7rocprim17ROCPRIM_400000_NS6detail17trampoline_kernelINS0_14default_configENS1_25partition_config_selectorILNS1_17partition_subalgoE5ExNS0_10empty_typeEbEEZZNS1_14partition_implILS5_5ELb0ES3_mN6thrust23THRUST_200600_302600_NS6detail15normal_iteratorINSA_10device_ptrIxEEEEPS6_NSA_18transform_iteratorINSB_9not_fun_tI7is_trueIxEEENSC_INSD_IbEEEENSA_11use_defaultESO_EENS0_5tupleIJNSA_16discard_iteratorISO_EES6_EEENSQ_IJSG_SG_EEES6_PlJS6_EEE10hipError_tPvRmT3_T4_T5_T6_T7_T9_mT8_P12ihipStream_tbDpT10_ENKUlT_T0_E_clISt17integral_constantIbLb1EES1E_IbLb0EEEEDaS1A_S1B_EUlS1A_E_NS1_11comp_targetILNS1_3genE5ELNS1_11target_archE942ELNS1_3gpuE9ELNS1_3repE0EEENS1_30default_config_static_selectorELNS0_4arch9wavefront6targetE0EEEvT1_.numbered_sgpr, 0
	.set _ZN7rocprim17ROCPRIM_400000_NS6detail17trampoline_kernelINS0_14default_configENS1_25partition_config_selectorILNS1_17partition_subalgoE5ExNS0_10empty_typeEbEEZZNS1_14partition_implILS5_5ELb0ES3_mN6thrust23THRUST_200600_302600_NS6detail15normal_iteratorINSA_10device_ptrIxEEEEPS6_NSA_18transform_iteratorINSB_9not_fun_tI7is_trueIxEEENSC_INSD_IbEEEENSA_11use_defaultESO_EENS0_5tupleIJNSA_16discard_iteratorISO_EES6_EEENSQ_IJSG_SG_EEES6_PlJS6_EEE10hipError_tPvRmT3_T4_T5_T6_T7_T9_mT8_P12ihipStream_tbDpT10_ENKUlT_T0_E_clISt17integral_constantIbLb1EES1E_IbLb0EEEEDaS1A_S1B_EUlS1A_E_NS1_11comp_targetILNS1_3genE5ELNS1_11target_archE942ELNS1_3gpuE9ELNS1_3repE0EEENS1_30default_config_static_selectorELNS0_4arch9wavefront6targetE0EEEvT1_.num_named_barrier, 0
	.set _ZN7rocprim17ROCPRIM_400000_NS6detail17trampoline_kernelINS0_14default_configENS1_25partition_config_selectorILNS1_17partition_subalgoE5ExNS0_10empty_typeEbEEZZNS1_14partition_implILS5_5ELb0ES3_mN6thrust23THRUST_200600_302600_NS6detail15normal_iteratorINSA_10device_ptrIxEEEEPS6_NSA_18transform_iteratorINSB_9not_fun_tI7is_trueIxEEENSC_INSD_IbEEEENSA_11use_defaultESO_EENS0_5tupleIJNSA_16discard_iteratorISO_EES6_EEENSQ_IJSG_SG_EEES6_PlJS6_EEE10hipError_tPvRmT3_T4_T5_T6_T7_T9_mT8_P12ihipStream_tbDpT10_ENKUlT_T0_E_clISt17integral_constantIbLb1EES1E_IbLb0EEEEDaS1A_S1B_EUlS1A_E_NS1_11comp_targetILNS1_3genE5ELNS1_11target_archE942ELNS1_3gpuE9ELNS1_3repE0EEENS1_30default_config_static_selectorELNS0_4arch9wavefront6targetE0EEEvT1_.private_seg_size, 0
	.set _ZN7rocprim17ROCPRIM_400000_NS6detail17trampoline_kernelINS0_14default_configENS1_25partition_config_selectorILNS1_17partition_subalgoE5ExNS0_10empty_typeEbEEZZNS1_14partition_implILS5_5ELb0ES3_mN6thrust23THRUST_200600_302600_NS6detail15normal_iteratorINSA_10device_ptrIxEEEEPS6_NSA_18transform_iteratorINSB_9not_fun_tI7is_trueIxEEENSC_INSD_IbEEEENSA_11use_defaultESO_EENS0_5tupleIJNSA_16discard_iteratorISO_EES6_EEENSQ_IJSG_SG_EEES6_PlJS6_EEE10hipError_tPvRmT3_T4_T5_T6_T7_T9_mT8_P12ihipStream_tbDpT10_ENKUlT_T0_E_clISt17integral_constantIbLb1EES1E_IbLb0EEEEDaS1A_S1B_EUlS1A_E_NS1_11comp_targetILNS1_3genE5ELNS1_11target_archE942ELNS1_3gpuE9ELNS1_3repE0EEENS1_30default_config_static_selectorELNS0_4arch9wavefront6targetE0EEEvT1_.uses_vcc, 0
	.set _ZN7rocprim17ROCPRIM_400000_NS6detail17trampoline_kernelINS0_14default_configENS1_25partition_config_selectorILNS1_17partition_subalgoE5ExNS0_10empty_typeEbEEZZNS1_14partition_implILS5_5ELb0ES3_mN6thrust23THRUST_200600_302600_NS6detail15normal_iteratorINSA_10device_ptrIxEEEEPS6_NSA_18transform_iteratorINSB_9not_fun_tI7is_trueIxEEENSC_INSD_IbEEEENSA_11use_defaultESO_EENS0_5tupleIJNSA_16discard_iteratorISO_EES6_EEENSQ_IJSG_SG_EEES6_PlJS6_EEE10hipError_tPvRmT3_T4_T5_T6_T7_T9_mT8_P12ihipStream_tbDpT10_ENKUlT_T0_E_clISt17integral_constantIbLb1EES1E_IbLb0EEEEDaS1A_S1B_EUlS1A_E_NS1_11comp_targetILNS1_3genE5ELNS1_11target_archE942ELNS1_3gpuE9ELNS1_3repE0EEENS1_30default_config_static_selectorELNS0_4arch9wavefront6targetE0EEEvT1_.uses_flat_scratch, 0
	.set _ZN7rocprim17ROCPRIM_400000_NS6detail17trampoline_kernelINS0_14default_configENS1_25partition_config_selectorILNS1_17partition_subalgoE5ExNS0_10empty_typeEbEEZZNS1_14partition_implILS5_5ELb0ES3_mN6thrust23THRUST_200600_302600_NS6detail15normal_iteratorINSA_10device_ptrIxEEEEPS6_NSA_18transform_iteratorINSB_9not_fun_tI7is_trueIxEEENSC_INSD_IbEEEENSA_11use_defaultESO_EENS0_5tupleIJNSA_16discard_iteratorISO_EES6_EEENSQ_IJSG_SG_EEES6_PlJS6_EEE10hipError_tPvRmT3_T4_T5_T6_T7_T9_mT8_P12ihipStream_tbDpT10_ENKUlT_T0_E_clISt17integral_constantIbLb1EES1E_IbLb0EEEEDaS1A_S1B_EUlS1A_E_NS1_11comp_targetILNS1_3genE5ELNS1_11target_archE942ELNS1_3gpuE9ELNS1_3repE0EEENS1_30default_config_static_selectorELNS0_4arch9wavefront6targetE0EEEvT1_.has_dyn_sized_stack, 0
	.set _ZN7rocprim17ROCPRIM_400000_NS6detail17trampoline_kernelINS0_14default_configENS1_25partition_config_selectorILNS1_17partition_subalgoE5ExNS0_10empty_typeEbEEZZNS1_14partition_implILS5_5ELb0ES3_mN6thrust23THRUST_200600_302600_NS6detail15normal_iteratorINSA_10device_ptrIxEEEEPS6_NSA_18transform_iteratorINSB_9not_fun_tI7is_trueIxEEENSC_INSD_IbEEEENSA_11use_defaultESO_EENS0_5tupleIJNSA_16discard_iteratorISO_EES6_EEENSQ_IJSG_SG_EEES6_PlJS6_EEE10hipError_tPvRmT3_T4_T5_T6_T7_T9_mT8_P12ihipStream_tbDpT10_ENKUlT_T0_E_clISt17integral_constantIbLb1EES1E_IbLb0EEEEDaS1A_S1B_EUlS1A_E_NS1_11comp_targetILNS1_3genE5ELNS1_11target_archE942ELNS1_3gpuE9ELNS1_3repE0EEENS1_30default_config_static_selectorELNS0_4arch9wavefront6targetE0EEEvT1_.has_recursion, 0
	.set _ZN7rocprim17ROCPRIM_400000_NS6detail17trampoline_kernelINS0_14default_configENS1_25partition_config_selectorILNS1_17partition_subalgoE5ExNS0_10empty_typeEbEEZZNS1_14partition_implILS5_5ELb0ES3_mN6thrust23THRUST_200600_302600_NS6detail15normal_iteratorINSA_10device_ptrIxEEEEPS6_NSA_18transform_iteratorINSB_9not_fun_tI7is_trueIxEEENSC_INSD_IbEEEENSA_11use_defaultESO_EENS0_5tupleIJNSA_16discard_iteratorISO_EES6_EEENSQ_IJSG_SG_EEES6_PlJS6_EEE10hipError_tPvRmT3_T4_T5_T6_T7_T9_mT8_P12ihipStream_tbDpT10_ENKUlT_T0_E_clISt17integral_constantIbLb1EES1E_IbLb0EEEEDaS1A_S1B_EUlS1A_E_NS1_11comp_targetILNS1_3genE5ELNS1_11target_archE942ELNS1_3gpuE9ELNS1_3repE0EEENS1_30default_config_static_selectorELNS0_4arch9wavefront6targetE0EEEvT1_.has_indirect_call, 0
	.section	.AMDGPU.csdata,"",@progbits
; Kernel info:
; codeLenInByte = 0
; TotalNumSgprs: 0
; NumVgprs: 0
; ScratchSize: 0
; MemoryBound: 0
; FloatMode: 240
; IeeeMode: 1
; LDSByteSize: 0 bytes/workgroup (compile time only)
; SGPRBlocks: 0
; VGPRBlocks: 0
; NumSGPRsForWavesPerEU: 1
; NumVGPRsForWavesPerEU: 1
; Occupancy: 16
; WaveLimiterHint : 0
; COMPUTE_PGM_RSRC2:SCRATCH_EN: 0
; COMPUTE_PGM_RSRC2:USER_SGPR: 2
; COMPUTE_PGM_RSRC2:TRAP_HANDLER: 0
; COMPUTE_PGM_RSRC2:TGID_X_EN: 1
; COMPUTE_PGM_RSRC2:TGID_Y_EN: 0
; COMPUTE_PGM_RSRC2:TGID_Z_EN: 0
; COMPUTE_PGM_RSRC2:TIDIG_COMP_CNT: 0
	.section	.text._ZN7rocprim17ROCPRIM_400000_NS6detail17trampoline_kernelINS0_14default_configENS1_25partition_config_selectorILNS1_17partition_subalgoE5ExNS0_10empty_typeEbEEZZNS1_14partition_implILS5_5ELb0ES3_mN6thrust23THRUST_200600_302600_NS6detail15normal_iteratorINSA_10device_ptrIxEEEEPS6_NSA_18transform_iteratorINSB_9not_fun_tI7is_trueIxEEENSC_INSD_IbEEEENSA_11use_defaultESO_EENS0_5tupleIJNSA_16discard_iteratorISO_EES6_EEENSQ_IJSG_SG_EEES6_PlJS6_EEE10hipError_tPvRmT3_T4_T5_T6_T7_T9_mT8_P12ihipStream_tbDpT10_ENKUlT_T0_E_clISt17integral_constantIbLb1EES1E_IbLb0EEEEDaS1A_S1B_EUlS1A_E_NS1_11comp_targetILNS1_3genE4ELNS1_11target_archE910ELNS1_3gpuE8ELNS1_3repE0EEENS1_30default_config_static_selectorELNS0_4arch9wavefront6targetE0EEEvT1_,"axG",@progbits,_ZN7rocprim17ROCPRIM_400000_NS6detail17trampoline_kernelINS0_14default_configENS1_25partition_config_selectorILNS1_17partition_subalgoE5ExNS0_10empty_typeEbEEZZNS1_14partition_implILS5_5ELb0ES3_mN6thrust23THRUST_200600_302600_NS6detail15normal_iteratorINSA_10device_ptrIxEEEEPS6_NSA_18transform_iteratorINSB_9not_fun_tI7is_trueIxEEENSC_INSD_IbEEEENSA_11use_defaultESO_EENS0_5tupleIJNSA_16discard_iteratorISO_EES6_EEENSQ_IJSG_SG_EEES6_PlJS6_EEE10hipError_tPvRmT3_T4_T5_T6_T7_T9_mT8_P12ihipStream_tbDpT10_ENKUlT_T0_E_clISt17integral_constantIbLb1EES1E_IbLb0EEEEDaS1A_S1B_EUlS1A_E_NS1_11comp_targetILNS1_3genE4ELNS1_11target_archE910ELNS1_3gpuE8ELNS1_3repE0EEENS1_30default_config_static_selectorELNS0_4arch9wavefront6targetE0EEEvT1_,comdat
	.protected	_ZN7rocprim17ROCPRIM_400000_NS6detail17trampoline_kernelINS0_14default_configENS1_25partition_config_selectorILNS1_17partition_subalgoE5ExNS0_10empty_typeEbEEZZNS1_14partition_implILS5_5ELb0ES3_mN6thrust23THRUST_200600_302600_NS6detail15normal_iteratorINSA_10device_ptrIxEEEEPS6_NSA_18transform_iteratorINSB_9not_fun_tI7is_trueIxEEENSC_INSD_IbEEEENSA_11use_defaultESO_EENS0_5tupleIJNSA_16discard_iteratorISO_EES6_EEENSQ_IJSG_SG_EEES6_PlJS6_EEE10hipError_tPvRmT3_T4_T5_T6_T7_T9_mT8_P12ihipStream_tbDpT10_ENKUlT_T0_E_clISt17integral_constantIbLb1EES1E_IbLb0EEEEDaS1A_S1B_EUlS1A_E_NS1_11comp_targetILNS1_3genE4ELNS1_11target_archE910ELNS1_3gpuE8ELNS1_3repE0EEENS1_30default_config_static_selectorELNS0_4arch9wavefront6targetE0EEEvT1_ ; -- Begin function _ZN7rocprim17ROCPRIM_400000_NS6detail17trampoline_kernelINS0_14default_configENS1_25partition_config_selectorILNS1_17partition_subalgoE5ExNS0_10empty_typeEbEEZZNS1_14partition_implILS5_5ELb0ES3_mN6thrust23THRUST_200600_302600_NS6detail15normal_iteratorINSA_10device_ptrIxEEEEPS6_NSA_18transform_iteratorINSB_9not_fun_tI7is_trueIxEEENSC_INSD_IbEEEENSA_11use_defaultESO_EENS0_5tupleIJNSA_16discard_iteratorISO_EES6_EEENSQ_IJSG_SG_EEES6_PlJS6_EEE10hipError_tPvRmT3_T4_T5_T6_T7_T9_mT8_P12ihipStream_tbDpT10_ENKUlT_T0_E_clISt17integral_constantIbLb1EES1E_IbLb0EEEEDaS1A_S1B_EUlS1A_E_NS1_11comp_targetILNS1_3genE4ELNS1_11target_archE910ELNS1_3gpuE8ELNS1_3repE0EEENS1_30default_config_static_selectorELNS0_4arch9wavefront6targetE0EEEvT1_
	.globl	_ZN7rocprim17ROCPRIM_400000_NS6detail17trampoline_kernelINS0_14default_configENS1_25partition_config_selectorILNS1_17partition_subalgoE5ExNS0_10empty_typeEbEEZZNS1_14partition_implILS5_5ELb0ES3_mN6thrust23THRUST_200600_302600_NS6detail15normal_iteratorINSA_10device_ptrIxEEEEPS6_NSA_18transform_iteratorINSB_9not_fun_tI7is_trueIxEEENSC_INSD_IbEEEENSA_11use_defaultESO_EENS0_5tupleIJNSA_16discard_iteratorISO_EES6_EEENSQ_IJSG_SG_EEES6_PlJS6_EEE10hipError_tPvRmT3_T4_T5_T6_T7_T9_mT8_P12ihipStream_tbDpT10_ENKUlT_T0_E_clISt17integral_constantIbLb1EES1E_IbLb0EEEEDaS1A_S1B_EUlS1A_E_NS1_11comp_targetILNS1_3genE4ELNS1_11target_archE910ELNS1_3gpuE8ELNS1_3repE0EEENS1_30default_config_static_selectorELNS0_4arch9wavefront6targetE0EEEvT1_
	.p2align	8
	.type	_ZN7rocprim17ROCPRIM_400000_NS6detail17trampoline_kernelINS0_14default_configENS1_25partition_config_selectorILNS1_17partition_subalgoE5ExNS0_10empty_typeEbEEZZNS1_14partition_implILS5_5ELb0ES3_mN6thrust23THRUST_200600_302600_NS6detail15normal_iteratorINSA_10device_ptrIxEEEEPS6_NSA_18transform_iteratorINSB_9not_fun_tI7is_trueIxEEENSC_INSD_IbEEEENSA_11use_defaultESO_EENS0_5tupleIJNSA_16discard_iteratorISO_EES6_EEENSQ_IJSG_SG_EEES6_PlJS6_EEE10hipError_tPvRmT3_T4_T5_T6_T7_T9_mT8_P12ihipStream_tbDpT10_ENKUlT_T0_E_clISt17integral_constantIbLb1EES1E_IbLb0EEEEDaS1A_S1B_EUlS1A_E_NS1_11comp_targetILNS1_3genE4ELNS1_11target_archE910ELNS1_3gpuE8ELNS1_3repE0EEENS1_30default_config_static_selectorELNS0_4arch9wavefront6targetE0EEEvT1_,@function
_ZN7rocprim17ROCPRIM_400000_NS6detail17trampoline_kernelINS0_14default_configENS1_25partition_config_selectorILNS1_17partition_subalgoE5ExNS0_10empty_typeEbEEZZNS1_14partition_implILS5_5ELb0ES3_mN6thrust23THRUST_200600_302600_NS6detail15normal_iteratorINSA_10device_ptrIxEEEEPS6_NSA_18transform_iteratorINSB_9not_fun_tI7is_trueIxEEENSC_INSD_IbEEEENSA_11use_defaultESO_EENS0_5tupleIJNSA_16discard_iteratorISO_EES6_EEENSQ_IJSG_SG_EEES6_PlJS6_EEE10hipError_tPvRmT3_T4_T5_T6_T7_T9_mT8_P12ihipStream_tbDpT10_ENKUlT_T0_E_clISt17integral_constantIbLb1EES1E_IbLb0EEEEDaS1A_S1B_EUlS1A_E_NS1_11comp_targetILNS1_3genE4ELNS1_11target_archE910ELNS1_3gpuE8ELNS1_3repE0EEENS1_30default_config_static_selectorELNS0_4arch9wavefront6targetE0EEEvT1_: ; @_ZN7rocprim17ROCPRIM_400000_NS6detail17trampoline_kernelINS0_14default_configENS1_25partition_config_selectorILNS1_17partition_subalgoE5ExNS0_10empty_typeEbEEZZNS1_14partition_implILS5_5ELb0ES3_mN6thrust23THRUST_200600_302600_NS6detail15normal_iteratorINSA_10device_ptrIxEEEEPS6_NSA_18transform_iteratorINSB_9not_fun_tI7is_trueIxEEENSC_INSD_IbEEEENSA_11use_defaultESO_EENS0_5tupleIJNSA_16discard_iteratorISO_EES6_EEENSQ_IJSG_SG_EEES6_PlJS6_EEE10hipError_tPvRmT3_T4_T5_T6_T7_T9_mT8_P12ihipStream_tbDpT10_ENKUlT_T0_E_clISt17integral_constantIbLb1EES1E_IbLb0EEEEDaS1A_S1B_EUlS1A_E_NS1_11comp_targetILNS1_3genE4ELNS1_11target_archE910ELNS1_3gpuE8ELNS1_3repE0EEENS1_30default_config_static_selectorELNS0_4arch9wavefront6targetE0EEEvT1_
; %bb.0:
	.section	.rodata,"a",@progbits
	.p2align	6, 0x0
	.amdhsa_kernel _ZN7rocprim17ROCPRIM_400000_NS6detail17trampoline_kernelINS0_14default_configENS1_25partition_config_selectorILNS1_17partition_subalgoE5ExNS0_10empty_typeEbEEZZNS1_14partition_implILS5_5ELb0ES3_mN6thrust23THRUST_200600_302600_NS6detail15normal_iteratorINSA_10device_ptrIxEEEEPS6_NSA_18transform_iteratorINSB_9not_fun_tI7is_trueIxEEENSC_INSD_IbEEEENSA_11use_defaultESO_EENS0_5tupleIJNSA_16discard_iteratorISO_EES6_EEENSQ_IJSG_SG_EEES6_PlJS6_EEE10hipError_tPvRmT3_T4_T5_T6_T7_T9_mT8_P12ihipStream_tbDpT10_ENKUlT_T0_E_clISt17integral_constantIbLb1EES1E_IbLb0EEEEDaS1A_S1B_EUlS1A_E_NS1_11comp_targetILNS1_3genE4ELNS1_11target_archE910ELNS1_3gpuE8ELNS1_3repE0EEENS1_30default_config_static_selectorELNS0_4arch9wavefront6targetE0EEEvT1_
		.amdhsa_group_segment_fixed_size 0
		.amdhsa_private_segment_fixed_size 0
		.amdhsa_kernarg_size 128
		.amdhsa_user_sgpr_count 2
		.amdhsa_user_sgpr_dispatch_ptr 0
		.amdhsa_user_sgpr_queue_ptr 0
		.amdhsa_user_sgpr_kernarg_segment_ptr 1
		.amdhsa_user_sgpr_dispatch_id 0
		.amdhsa_user_sgpr_private_segment_size 0
		.amdhsa_wavefront_size32 1
		.amdhsa_uses_dynamic_stack 0
		.amdhsa_enable_private_segment 0
		.amdhsa_system_sgpr_workgroup_id_x 1
		.amdhsa_system_sgpr_workgroup_id_y 0
		.amdhsa_system_sgpr_workgroup_id_z 0
		.amdhsa_system_sgpr_workgroup_info 0
		.amdhsa_system_vgpr_workitem_id 0
		.amdhsa_next_free_vgpr 1
		.amdhsa_next_free_sgpr 1
		.amdhsa_reserve_vcc 0
		.amdhsa_float_round_mode_32 0
		.amdhsa_float_round_mode_16_64 0
		.amdhsa_float_denorm_mode_32 3
		.amdhsa_float_denorm_mode_16_64 3
		.amdhsa_fp16_overflow 0
		.amdhsa_workgroup_processor_mode 1
		.amdhsa_memory_ordered 1
		.amdhsa_forward_progress 1
		.amdhsa_inst_pref_size 0
		.amdhsa_round_robin_scheduling 0
		.amdhsa_exception_fp_ieee_invalid_op 0
		.amdhsa_exception_fp_denorm_src 0
		.amdhsa_exception_fp_ieee_div_zero 0
		.amdhsa_exception_fp_ieee_overflow 0
		.amdhsa_exception_fp_ieee_underflow 0
		.amdhsa_exception_fp_ieee_inexact 0
		.amdhsa_exception_int_div_zero 0
	.end_amdhsa_kernel
	.section	.text._ZN7rocprim17ROCPRIM_400000_NS6detail17trampoline_kernelINS0_14default_configENS1_25partition_config_selectorILNS1_17partition_subalgoE5ExNS0_10empty_typeEbEEZZNS1_14partition_implILS5_5ELb0ES3_mN6thrust23THRUST_200600_302600_NS6detail15normal_iteratorINSA_10device_ptrIxEEEEPS6_NSA_18transform_iteratorINSB_9not_fun_tI7is_trueIxEEENSC_INSD_IbEEEENSA_11use_defaultESO_EENS0_5tupleIJNSA_16discard_iteratorISO_EES6_EEENSQ_IJSG_SG_EEES6_PlJS6_EEE10hipError_tPvRmT3_T4_T5_T6_T7_T9_mT8_P12ihipStream_tbDpT10_ENKUlT_T0_E_clISt17integral_constantIbLb1EES1E_IbLb0EEEEDaS1A_S1B_EUlS1A_E_NS1_11comp_targetILNS1_3genE4ELNS1_11target_archE910ELNS1_3gpuE8ELNS1_3repE0EEENS1_30default_config_static_selectorELNS0_4arch9wavefront6targetE0EEEvT1_,"axG",@progbits,_ZN7rocprim17ROCPRIM_400000_NS6detail17trampoline_kernelINS0_14default_configENS1_25partition_config_selectorILNS1_17partition_subalgoE5ExNS0_10empty_typeEbEEZZNS1_14partition_implILS5_5ELb0ES3_mN6thrust23THRUST_200600_302600_NS6detail15normal_iteratorINSA_10device_ptrIxEEEEPS6_NSA_18transform_iteratorINSB_9not_fun_tI7is_trueIxEEENSC_INSD_IbEEEENSA_11use_defaultESO_EENS0_5tupleIJNSA_16discard_iteratorISO_EES6_EEENSQ_IJSG_SG_EEES6_PlJS6_EEE10hipError_tPvRmT3_T4_T5_T6_T7_T9_mT8_P12ihipStream_tbDpT10_ENKUlT_T0_E_clISt17integral_constantIbLb1EES1E_IbLb0EEEEDaS1A_S1B_EUlS1A_E_NS1_11comp_targetILNS1_3genE4ELNS1_11target_archE910ELNS1_3gpuE8ELNS1_3repE0EEENS1_30default_config_static_selectorELNS0_4arch9wavefront6targetE0EEEvT1_,comdat
.Lfunc_end2767:
	.size	_ZN7rocprim17ROCPRIM_400000_NS6detail17trampoline_kernelINS0_14default_configENS1_25partition_config_selectorILNS1_17partition_subalgoE5ExNS0_10empty_typeEbEEZZNS1_14partition_implILS5_5ELb0ES3_mN6thrust23THRUST_200600_302600_NS6detail15normal_iteratorINSA_10device_ptrIxEEEEPS6_NSA_18transform_iteratorINSB_9not_fun_tI7is_trueIxEEENSC_INSD_IbEEEENSA_11use_defaultESO_EENS0_5tupleIJNSA_16discard_iteratorISO_EES6_EEENSQ_IJSG_SG_EEES6_PlJS6_EEE10hipError_tPvRmT3_T4_T5_T6_T7_T9_mT8_P12ihipStream_tbDpT10_ENKUlT_T0_E_clISt17integral_constantIbLb1EES1E_IbLb0EEEEDaS1A_S1B_EUlS1A_E_NS1_11comp_targetILNS1_3genE4ELNS1_11target_archE910ELNS1_3gpuE8ELNS1_3repE0EEENS1_30default_config_static_selectorELNS0_4arch9wavefront6targetE0EEEvT1_, .Lfunc_end2767-_ZN7rocprim17ROCPRIM_400000_NS6detail17trampoline_kernelINS0_14default_configENS1_25partition_config_selectorILNS1_17partition_subalgoE5ExNS0_10empty_typeEbEEZZNS1_14partition_implILS5_5ELb0ES3_mN6thrust23THRUST_200600_302600_NS6detail15normal_iteratorINSA_10device_ptrIxEEEEPS6_NSA_18transform_iteratorINSB_9not_fun_tI7is_trueIxEEENSC_INSD_IbEEEENSA_11use_defaultESO_EENS0_5tupleIJNSA_16discard_iteratorISO_EES6_EEENSQ_IJSG_SG_EEES6_PlJS6_EEE10hipError_tPvRmT3_T4_T5_T6_T7_T9_mT8_P12ihipStream_tbDpT10_ENKUlT_T0_E_clISt17integral_constantIbLb1EES1E_IbLb0EEEEDaS1A_S1B_EUlS1A_E_NS1_11comp_targetILNS1_3genE4ELNS1_11target_archE910ELNS1_3gpuE8ELNS1_3repE0EEENS1_30default_config_static_selectorELNS0_4arch9wavefront6targetE0EEEvT1_
                                        ; -- End function
	.set _ZN7rocprim17ROCPRIM_400000_NS6detail17trampoline_kernelINS0_14default_configENS1_25partition_config_selectorILNS1_17partition_subalgoE5ExNS0_10empty_typeEbEEZZNS1_14partition_implILS5_5ELb0ES3_mN6thrust23THRUST_200600_302600_NS6detail15normal_iteratorINSA_10device_ptrIxEEEEPS6_NSA_18transform_iteratorINSB_9not_fun_tI7is_trueIxEEENSC_INSD_IbEEEENSA_11use_defaultESO_EENS0_5tupleIJNSA_16discard_iteratorISO_EES6_EEENSQ_IJSG_SG_EEES6_PlJS6_EEE10hipError_tPvRmT3_T4_T5_T6_T7_T9_mT8_P12ihipStream_tbDpT10_ENKUlT_T0_E_clISt17integral_constantIbLb1EES1E_IbLb0EEEEDaS1A_S1B_EUlS1A_E_NS1_11comp_targetILNS1_3genE4ELNS1_11target_archE910ELNS1_3gpuE8ELNS1_3repE0EEENS1_30default_config_static_selectorELNS0_4arch9wavefront6targetE0EEEvT1_.num_vgpr, 0
	.set _ZN7rocprim17ROCPRIM_400000_NS6detail17trampoline_kernelINS0_14default_configENS1_25partition_config_selectorILNS1_17partition_subalgoE5ExNS0_10empty_typeEbEEZZNS1_14partition_implILS5_5ELb0ES3_mN6thrust23THRUST_200600_302600_NS6detail15normal_iteratorINSA_10device_ptrIxEEEEPS6_NSA_18transform_iteratorINSB_9not_fun_tI7is_trueIxEEENSC_INSD_IbEEEENSA_11use_defaultESO_EENS0_5tupleIJNSA_16discard_iteratorISO_EES6_EEENSQ_IJSG_SG_EEES6_PlJS6_EEE10hipError_tPvRmT3_T4_T5_T6_T7_T9_mT8_P12ihipStream_tbDpT10_ENKUlT_T0_E_clISt17integral_constantIbLb1EES1E_IbLb0EEEEDaS1A_S1B_EUlS1A_E_NS1_11comp_targetILNS1_3genE4ELNS1_11target_archE910ELNS1_3gpuE8ELNS1_3repE0EEENS1_30default_config_static_selectorELNS0_4arch9wavefront6targetE0EEEvT1_.num_agpr, 0
	.set _ZN7rocprim17ROCPRIM_400000_NS6detail17trampoline_kernelINS0_14default_configENS1_25partition_config_selectorILNS1_17partition_subalgoE5ExNS0_10empty_typeEbEEZZNS1_14partition_implILS5_5ELb0ES3_mN6thrust23THRUST_200600_302600_NS6detail15normal_iteratorINSA_10device_ptrIxEEEEPS6_NSA_18transform_iteratorINSB_9not_fun_tI7is_trueIxEEENSC_INSD_IbEEEENSA_11use_defaultESO_EENS0_5tupleIJNSA_16discard_iteratorISO_EES6_EEENSQ_IJSG_SG_EEES6_PlJS6_EEE10hipError_tPvRmT3_T4_T5_T6_T7_T9_mT8_P12ihipStream_tbDpT10_ENKUlT_T0_E_clISt17integral_constantIbLb1EES1E_IbLb0EEEEDaS1A_S1B_EUlS1A_E_NS1_11comp_targetILNS1_3genE4ELNS1_11target_archE910ELNS1_3gpuE8ELNS1_3repE0EEENS1_30default_config_static_selectorELNS0_4arch9wavefront6targetE0EEEvT1_.numbered_sgpr, 0
	.set _ZN7rocprim17ROCPRIM_400000_NS6detail17trampoline_kernelINS0_14default_configENS1_25partition_config_selectorILNS1_17partition_subalgoE5ExNS0_10empty_typeEbEEZZNS1_14partition_implILS5_5ELb0ES3_mN6thrust23THRUST_200600_302600_NS6detail15normal_iteratorINSA_10device_ptrIxEEEEPS6_NSA_18transform_iteratorINSB_9not_fun_tI7is_trueIxEEENSC_INSD_IbEEEENSA_11use_defaultESO_EENS0_5tupleIJNSA_16discard_iteratorISO_EES6_EEENSQ_IJSG_SG_EEES6_PlJS6_EEE10hipError_tPvRmT3_T4_T5_T6_T7_T9_mT8_P12ihipStream_tbDpT10_ENKUlT_T0_E_clISt17integral_constantIbLb1EES1E_IbLb0EEEEDaS1A_S1B_EUlS1A_E_NS1_11comp_targetILNS1_3genE4ELNS1_11target_archE910ELNS1_3gpuE8ELNS1_3repE0EEENS1_30default_config_static_selectorELNS0_4arch9wavefront6targetE0EEEvT1_.num_named_barrier, 0
	.set _ZN7rocprim17ROCPRIM_400000_NS6detail17trampoline_kernelINS0_14default_configENS1_25partition_config_selectorILNS1_17partition_subalgoE5ExNS0_10empty_typeEbEEZZNS1_14partition_implILS5_5ELb0ES3_mN6thrust23THRUST_200600_302600_NS6detail15normal_iteratorINSA_10device_ptrIxEEEEPS6_NSA_18transform_iteratorINSB_9not_fun_tI7is_trueIxEEENSC_INSD_IbEEEENSA_11use_defaultESO_EENS0_5tupleIJNSA_16discard_iteratorISO_EES6_EEENSQ_IJSG_SG_EEES6_PlJS6_EEE10hipError_tPvRmT3_T4_T5_T6_T7_T9_mT8_P12ihipStream_tbDpT10_ENKUlT_T0_E_clISt17integral_constantIbLb1EES1E_IbLb0EEEEDaS1A_S1B_EUlS1A_E_NS1_11comp_targetILNS1_3genE4ELNS1_11target_archE910ELNS1_3gpuE8ELNS1_3repE0EEENS1_30default_config_static_selectorELNS0_4arch9wavefront6targetE0EEEvT1_.private_seg_size, 0
	.set _ZN7rocprim17ROCPRIM_400000_NS6detail17trampoline_kernelINS0_14default_configENS1_25partition_config_selectorILNS1_17partition_subalgoE5ExNS0_10empty_typeEbEEZZNS1_14partition_implILS5_5ELb0ES3_mN6thrust23THRUST_200600_302600_NS6detail15normal_iteratorINSA_10device_ptrIxEEEEPS6_NSA_18transform_iteratorINSB_9not_fun_tI7is_trueIxEEENSC_INSD_IbEEEENSA_11use_defaultESO_EENS0_5tupleIJNSA_16discard_iteratorISO_EES6_EEENSQ_IJSG_SG_EEES6_PlJS6_EEE10hipError_tPvRmT3_T4_T5_T6_T7_T9_mT8_P12ihipStream_tbDpT10_ENKUlT_T0_E_clISt17integral_constantIbLb1EES1E_IbLb0EEEEDaS1A_S1B_EUlS1A_E_NS1_11comp_targetILNS1_3genE4ELNS1_11target_archE910ELNS1_3gpuE8ELNS1_3repE0EEENS1_30default_config_static_selectorELNS0_4arch9wavefront6targetE0EEEvT1_.uses_vcc, 0
	.set _ZN7rocprim17ROCPRIM_400000_NS6detail17trampoline_kernelINS0_14default_configENS1_25partition_config_selectorILNS1_17partition_subalgoE5ExNS0_10empty_typeEbEEZZNS1_14partition_implILS5_5ELb0ES3_mN6thrust23THRUST_200600_302600_NS6detail15normal_iteratorINSA_10device_ptrIxEEEEPS6_NSA_18transform_iteratorINSB_9not_fun_tI7is_trueIxEEENSC_INSD_IbEEEENSA_11use_defaultESO_EENS0_5tupleIJNSA_16discard_iteratorISO_EES6_EEENSQ_IJSG_SG_EEES6_PlJS6_EEE10hipError_tPvRmT3_T4_T5_T6_T7_T9_mT8_P12ihipStream_tbDpT10_ENKUlT_T0_E_clISt17integral_constantIbLb1EES1E_IbLb0EEEEDaS1A_S1B_EUlS1A_E_NS1_11comp_targetILNS1_3genE4ELNS1_11target_archE910ELNS1_3gpuE8ELNS1_3repE0EEENS1_30default_config_static_selectorELNS0_4arch9wavefront6targetE0EEEvT1_.uses_flat_scratch, 0
	.set _ZN7rocprim17ROCPRIM_400000_NS6detail17trampoline_kernelINS0_14default_configENS1_25partition_config_selectorILNS1_17partition_subalgoE5ExNS0_10empty_typeEbEEZZNS1_14partition_implILS5_5ELb0ES3_mN6thrust23THRUST_200600_302600_NS6detail15normal_iteratorINSA_10device_ptrIxEEEEPS6_NSA_18transform_iteratorINSB_9not_fun_tI7is_trueIxEEENSC_INSD_IbEEEENSA_11use_defaultESO_EENS0_5tupleIJNSA_16discard_iteratorISO_EES6_EEENSQ_IJSG_SG_EEES6_PlJS6_EEE10hipError_tPvRmT3_T4_T5_T6_T7_T9_mT8_P12ihipStream_tbDpT10_ENKUlT_T0_E_clISt17integral_constantIbLb1EES1E_IbLb0EEEEDaS1A_S1B_EUlS1A_E_NS1_11comp_targetILNS1_3genE4ELNS1_11target_archE910ELNS1_3gpuE8ELNS1_3repE0EEENS1_30default_config_static_selectorELNS0_4arch9wavefront6targetE0EEEvT1_.has_dyn_sized_stack, 0
	.set _ZN7rocprim17ROCPRIM_400000_NS6detail17trampoline_kernelINS0_14default_configENS1_25partition_config_selectorILNS1_17partition_subalgoE5ExNS0_10empty_typeEbEEZZNS1_14partition_implILS5_5ELb0ES3_mN6thrust23THRUST_200600_302600_NS6detail15normal_iteratorINSA_10device_ptrIxEEEEPS6_NSA_18transform_iteratorINSB_9not_fun_tI7is_trueIxEEENSC_INSD_IbEEEENSA_11use_defaultESO_EENS0_5tupleIJNSA_16discard_iteratorISO_EES6_EEENSQ_IJSG_SG_EEES6_PlJS6_EEE10hipError_tPvRmT3_T4_T5_T6_T7_T9_mT8_P12ihipStream_tbDpT10_ENKUlT_T0_E_clISt17integral_constantIbLb1EES1E_IbLb0EEEEDaS1A_S1B_EUlS1A_E_NS1_11comp_targetILNS1_3genE4ELNS1_11target_archE910ELNS1_3gpuE8ELNS1_3repE0EEENS1_30default_config_static_selectorELNS0_4arch9wavefront6targetE0EEEvT1_.has_recursion, 0
	.set _ZN7rocprim17ROCPRIM_400000_NS6detail17trampoline_kernelINS0_14default_configENS1_25partition_config_selectorILNS1_17partition_subalgoE5ExNS0_10empty_typeEbEEZZNS1_14partition_implILS5_5ELb0ES3_mN6thrust23THRUST_200600_302600_NS6detail15normal_iteratorINSA_10device_ptrIxEEEEPS6_NSA_18transform_iteratorINSB_9not_fun_tI7is_trueIxEEENSC_INSD_IbEEEENSA_11use_defaultESO_EENS0_5tupleIJNSA_16discard_iteratorISO_EES6_EEENSQ_IJSG_SG_EEES6_PlJS6_EEE10hipError_tPvRmT3_T4_T5_T6_T7_T9_mT8_P12ihipStream_tbDpT10_ENKUlT_T0_E_clISt17integral_constantIbLb1EES1E_IbLb0EEEEDaS1A_S1B_EUlS1A_E_NS1_11comp_targetILNS1_3genE4ELNS1_11target_archE910ELNS1_3gpuE8ELNS1_3repE0EEENS1_30default_config_static_selectorELNS0_4arch9wavefront6targetE0EEEvT1_.has_indirect_call, 0
	.section	.AMDGPU.csdata,"",@progbits
; Kernel info:
; codeLenInByte = 0
; TotalNumSgprs: 0
; NumVgprs: 0
; ScratchSize: 0
; MemoryBound: 0
; FloatMode: 240
; IeeeMode: 1
; LDSByteSize: 0 bytes/workgroup (compile time only)
; SGPRBlocks: 0
; VGPRBlocks: 0
; NumSGPRsForWavesPerEU: 1
; NumVGPRsForWavesPerEU: 1
; Occupancy: 16
; WaveLimiterHint : 0
; COMPUTE_PGM_RSRC2:SCRATCH_EN: 0
; COMPUTE_PGM_RSRC2:USER_SGPR: 2
; COMPUTE_PGM_RSRC2:TRAP_HANDLER: 0
; COMPUTE_PGM_RSRC2:TGID_X_EN: 1
; COMPUTE_PGM_RSRC2:TGID_Y_EN: 0
; COMPUTE_PGM_RSRC2:TGID_Z_EN: 0
; COMPUTE_PGM_RSRC2:TIDIG_COMP_CNT: 0
	.section	.text._ZN7rocprim17ROCPRIM_400000_NS6detail17trampoline_kernelINS0_14default_configENS1_25partition_config_selectorILNS1_17partition_subalgoE5ExNS0_10empty_typeEbEEZZNS1_14partition_implILS5_5ELb0ES3_mN6thrust23THRUST_200600_302600_NS6detail15normal_iteratorINSA_10device_ptrIxEEEEPS6_NSA_18transform_iteratorINSB_9not_fun_tI7is_trueIxEEENSC_INSD_IbEEEENSA_11use_defaultESO_EENS0_5tupleIJNSA_16discard_iteratorISO_EES6_EEENSQ_IJSG_SG_EEES6_PlJS6_EEE10hipError_tPvRmT3_T4_T5_T6_T7_T9_mT8_P12ihipStream_tbDpT10_ENKUlT_T0_E_clISt17integral_constantIbLb1EES1E_IbLb0EEEEDaS1A_S1B_EUlS1A_E_NS1_11comp_targetILNS1_3genE3ELNS1_11target_archE908ELNS1_3gpuE7ELNS1_3repE0EEENS1_30default_config_static_selectorELNS0_4arch9wavefront6targetE0EEEvT1_,"axG",@progbits,_ZN7rocprim17ROCPRIM_400000_NS6detail17trampoline_kernelINS0_14default_configENS1_25partition_config_selectorILNS1_17partition_subalgoE5ExNS0_10empty_typeEbEEZZNS1_14partition_implILS5_5ELb0ES3_mN6thrust23THRUST_200600_302600_NS6detail15normal_iteratorINSA_10device_ptrIxEEEEPS6_NSA_18transform_iteratorINSB_9not_fun_tI7is_trueIxEEENSC_INSD_IbEEEENSA_11use_defaultESO_EENS0_5tupleIJNSA_16discard_iteratorISO_EES6_EEENSQ_IJSG_SG_EEES6_PlJS6_EEE10hipError_tPvRmT3_T4_T5_T6_T7_T9_mT8_P12ihipStream_tbDpT10_ENKUlT_T0_E_clISt17integral_constantIbLb1EES1E_IbLb0EEEEDaS1A_S1B_EUlS1A_E_NS1_11comp_targetILNS1_3genE3ELNS1_11target_archE908ELNS1_3gpuE7ELNS1_3repE0EEENS1_30default_config_static_selectorELNS0_4arch9wavefront6targetE0EEEvT1_,comdat
	.protected	_ZN7rocprim17ROCPRIM_400000_NS6detail17trampoline_kernelINS0_14default_configENS1_25partition_config_selectorILNS1_17partition_subalgoE5ExNS0_10empty_typeEbEEZZNS1_14partition_implILS5_5ELb0ES3_mN6thrust23THRUST_200600_302600_NS6detail15normal_iteratorINSA_10device_ptrIxEEEEPS6_NSA_18transform_iteratorINSB_9not_fun_tI7is_trueIxEEENSC_INSD_IbEEEENSA_11use_defaultESO_EENS0_5tupleIJNSA_16discard_iteratorISO_EES6_EEENSQ_IJSG_SG_EEES6_PlJS6_EEE10hipError_tPvRmT3_T4_T5_T6_T7_T9_mT8_P12ihipStream_tbDpT10_ENKUlT_T0_E_clISt17integral_constantIbLb1EES1E_IbLb0EEEEDaS1A_S1B_EUlS1A_E_NS1_11comp_targetILNS1_3genE3ELNS1_11target_archE908ELNS1_3gpuE7ELNS1_3repE0EEENS1_30default_config_static_selectorELNS0_4arch9wavefront6targetE0EEEvT1_ ; -- Begin function _ZN7rocprim17ROCPRIM_400000_NS6detail17trampoline_kernelINS0_14default_configENS1_25partition_config_selectorILNS1_17partition_subalgoE5ExNS0_10empty_typeEbEEZZNS1_14partition_implILS5_5ELb0ES3_mN6thrust23THRUST_200600_302600_NS6detail15normal_iteratorINSA_10device_ptrIxEEEEPS6_NSA_18transform_iteratorINSB_9not_fun_tI7is_trueIxEEENSC_INSD_IbEEEENSA_11use_defaultESO_EENS0_5tupleIJNSA_16discard_iteratorISO_EES6_EEENSQ_IJSG_SG_EEES6_PlJS6_EEE10hipError_tPvRmT3_T4_T5_T6_T7_T9_mT8_P12ihipStream_tbDpT10_ENKUlT_T0_E_clISt17integral_constantIbLb1EES1E_IbLb0EEEEDaS1A_S1B_EUlS1A_E_NS1_11comp_targetILNS1_3genE3ELNS1_11target_archE908ELNS1_3gpuE7ELNS1_3repE0EEENS1_30default_config_static_selectorELNS0_4arch9wavefront6targetE0EEEvT1_
	.globl	_ZN7rocprim17ROCPRIM_400000_NS6detail17trampoline_kernelINS0_14default_configENS1_25partition_config_selectorILNS1_17partition_subalgoE5ExNS0_10empty_typeEbEEZZNS1_14partition_implILS5_5ELb0ES3_mN6thrust23THRUST_200600_302600_NS6detail15normal_iteratorINSA_10device_ptrIxEEEEPS6_NSA_18transform_iteratorINSB_9not_fun_tI7is_trueIxEEENSC_INSD_IbEEEENSA_11use_defaultESO_EENS0_5tupleIJNSA_16discard_iteratorISO_EES6_EEENSQ_IJSG_SG_EEES6_PlJS6_EEE10hipError_tPvRmT3_T4_T5_T6_T7_T9_mT8_P12ihipStream_tbDpT10_ENKUlT_T0_E_clISt17integral_constantIbLb1EES1E_IbLb0EEEEDaS1A_S1B_EUlS1A_E_NS1_11comp_targetILNS1_3genE3ELNS1_11target_archE908ELNS1_3gpuE7ELNS1_3repE0EEENS1_30default_config_static_selectorELNS0_4arch9wavefront6targetE0EEEvT1_
	.p2align	8
	.type	_ZN7rocprim17ROCPRIM_400000_NS6detail17trampoline_kernelINS0_14default_configENS1_25partition_config_selectorILNS1_17partition_subalgoE5ExNS0_10empty_typeEbEEZZNS1_14partition_implILS5_5ELb0ES3_mN6thrust23THRUST_200600_302600_NS6detail15normal_iteratorINSA_10device_ptrIxEEEEPS6_NSA_18transform_iteratorINSB_9not_fun_tI7is_trueIxEEENSC_INSD_IbEEEENSA_11use_defaultESO_EENS0_5tupleIJNSA_16discard_iteratorISO_EES6_EEENSQ_IJSG_SG_EEES6_PlJS6_EEE10hipError_tPvRmT3_T4_T5_T6_T7_T9_mT8_P12ihipStream_tbDpT10_ENKUlT_T0_E_clISt17integral_constantIbLb1EES1E_IbLb0EEEEDaS1A_S1B_EUlS1A_E_NS1_11comp_targetILNS1_3genE3ELNS1_11target_archE908ELNS1_3gpuE7ELNS1_3repE0EEENS1_30default_config_static_selectorELNS0_4arch9wavefront6targetE0EEEvT1_,@function
_ZN7rocprim17ROCPRIM_400000_NS6detail17trampoline_kernelINS0_14default_configENS1_25partition_config_selectorILNS1_17partition_subalgoE5ExNS0_10empty_typeEbEEZZNS1_14partition_implILS5_5ELb0ES3_mN6thrust23THRUST_200600_302600_NS6detail15normal_iteratorINSA_10device_ptrIxEEEEPS6_NSA_18transform_iteratorINSB_9not_fun_tI7is_trueIxEEENSC_INSD_IbEEEENSA_11use_defaultESO_EENS0_5tupleIJNSA_16discard_iteratorISO_EES6_EEENSQ_IJSG_SG_EEES6_PlJS6_EEE10hipError_tPvRmT3_T4_T5_T6_T7_T9_mT8_P12ihipStream_tbDpT10_ENKUlT_T0_E_clISt17integral_constantIbLb1EES1E_IbLb0EEEEDaS1A_S1B_EUlS1A_E_NS1_11comp_targetILNS1_3genE3ELNS1_11target_archE908ELNS1_3gpuE7ELNS1_3repE0EEENS1_30default_config_static_selectorELNS0_4arch9wavefront6targetE0EEEvT1_: ; @_ZN7rocprim17ROCPRIM_400000_NS6detail17trampoline_kernelINS0_14default_configENS1_25partition_config_selectorILNS1_17partition_subalgoE5ExNS0_10empty_typeEbEEZZNS1_14partition_implILS5_5ELb0ES3_mN6thrust23THRUST_200600_302600_NS6detail15normal_iteratorINSA_10device_ptrIxEEEEPS6_NSA_18transform_iteratorINSB_9not_fun_tI7is_trueIxEEENSC_INSD_IbEEEENSA_11use_defaultESO_EENS0_5tupleIJNSA_16discard_iteratorISO_EES6_EEENSQ_IJSG_SG_EEES6_PlJS6_EEE10hipError_tPvRmT3_T4_T5_T6_T7_T9_mT8_P12ihipStream_tbDpT10_ENKUlT_T0_E_clISt17integral_constantIbLb1EES1E_IbLb0EEEEDaS1A_S1B_EUlS1A_E_NS1_11comp_targetILNS1_3genE3ELNS1_11target_archE908ELNS1_3gpuE7ELNS1_3repE0EEENS1_30default_config_static_selectorELNS0_4arch9wavefront6targetE0EEEvT1_
; %bb.0:
	.section	.rodata,"a",@progbits
	.p2align	6, 0x0
	.amdhsa_kernel _ZN7rocprim17ROCPRIM_400000_NS6detail17trampoline_kernelINS0_14default_configENS1_25partition_config_selectorILNS1_17partition_subalgoE5ExNS0_10empty_typeEbEEZZNS1_14partition_implILS5_5ELb0ES3_mN6thrust23THRUST_200600_302600_NS6detail15normal_iteratorINSA_10device_ptrIxEEEEPS6_NSA_18transform_iteratorINSB_9not_fun_tI7is_trueIxEEENSC_INSD_IbEEEENSA_11use_defaultESO_EENS0_5tupleIJNSA_16discard_iteratorISO_EES6_EEENSQ_IJSG_SG_EEES6_PlJS6_EEE10hipError_tPvRmT3_T4_T5_T6_T7_T9_mT8_P12ihipStream_tbDpT10_ENKUlT_T0_E_clISt17integral_constantIbLb1EES1E_IbLb0EEEEDaS1A_S1B_EUlS1A_E_NS1_11comp_targetILNS1_3genE3ELNS1_11target_archE908ELNS1_3gpuE7ELNS1_3repE0EEENS1_30default_config_static_selectorELNS0_4arch9wavefront6targetE0EEEvT1_
		.amdhsa_group_segment_fixed_size 0
		.amdhsa_private_segment_fixed_size 0
		.amdhsa_kernarg_size 128
		.amdhsa_user_sgpr_count 2
		.amdhsa_user_sgpr_dispatch_ptr 0
		.amdhsa_user_sgpr_queue_ptr 0
		.amdhsa_user_sgpr_kernarg_segment_ptr 1
		.amdhsa_user_sgpr_dispatch_id 0
		.amdhsa_user_sgpr_private_segment_size 0
		.amdhsa_wavefront_size32 1
		.amdhsa_uses_dynamic_stack 0
		.amdhsa_enable_private_segment 0
		.amdhsa_system_sgpr_workgroup_id_x 1
		.amdhsa_system_sgpr_workgroup_id_y 0
		.amdhsa_system_sgpr_workgroup_id_z 0
		.amdhsa_system_sgpr_workgroup_info 0
		.amdhsa_system_vgpr_workitem_id 0
		.amdhsa_next_free_vgpr 1
		.amdhsa_next_free_sgpr 1
		.amdhsa_reserve_vcc 0
		.amdhsa_float_round_mode_32 0
		.amdhsa_float_round_mode_16_64 0
		.amdhsa_float_denorm_mode_32 3
		.amdhsa_float_denorm_mode_16_64 3
		.amdhsa_fp16_overflow 0
		.amdhsa_workgroup_processor_mode 1
		.amdhsa_memory_ordered 1
		.amdhsa_forward_progress 1
		.amdhsa_inst_pref_size 0
		.amdhsa_round_robin_scheduling 0
		.amdhsa_exception_fp_ieee_invalid_op 0
		.amdhsa_exception_fp_denorm_src 0
		.amdhsa_exception_fp_ieee_div_zero 0
		.amdhsa_exception_fp_ieee_overflow 0
		.amdhsa_exception_fp_ieee_underflow 0
		.amdhsa_exception_fp_ieee_inexact 0
		.amdhsa_exception_int_div_zero 0
	.end_amdhsa_kernel
	.section	.text._ZN7rocprim17ROCPRIM_400000_NS6detail17trampoline_kernelINS0_14default_configENS1_25partition_config_selectorILNS1_17partition_subalgoE5ExNS0_10empty_typeEbEEZZNS1_14partition_implILS5_5ELb0ES3_mN6thrust23THRUST_200600_302600_NS6detail15normal_iteratorINSA_10device_ptrIxEEEEPS6_NSA_18transform_iteratorINSB_9not_fun_tI7is_trueIxEEENSC_INSD_IbEEEENSA_11use_defaultESO_EENS0_5tupleIJNSA_16discard_iteratorISO_EES6_EEENSQ_IJSG_SG_EEES6_PlJS6_EEE10hipError_tPvRmT3_T4_T5_T6_T7_T9_mT8_P12ihipStream_tbDpT10_ENKUlT_T0_E_clISt17integral_constantIbLb1EES1E_IbLb0EEEEDaS1A_S1B_EUlS1A_E_NS1_11comp_targetILNS1_3genE3ELNS1_11target_archE908ELNS1_3gpuE7ELNS1_3repE0EEENS1_30default_config_static_selectorELNS0_4arch9wavefront6targetE0EEEvT1_,"axG",@progbits,_ZN7rocprim17ROCPRIM_400000_NS6detail17trampoline_kernelINS0_14default_configENS1_25partition_config_selectorILNS1_17partition_subalgoE5ExNS0_10empty_typeEbEEZZNS1_14partition_implILS5_5ELb0ES3_mN6thrust23THRUST_200600_302600_NS6detail15normal_iteratorINSA_10device_ptrIxEEEEPS6_NSA_18transform_iteratorINSB_9not_fun_tI7is_trueIxEEENSC_INSD_IbEEEENSA_11use_defaultESO_EENS0_5tupleIJNSA_16discard_iteratorISO_EES6_EEENSQ_IJSG_SG_EEES6_PlJS6_EEE10hipError_tPvRmT3_T4_T5_T6_T7_T9_mT8_P12ihipStream_tbDpT10_ENKUlT_T0_E_clISt17integral_constantIbLb1EES1E_IbLb0EEEEDaS1A_S1B_EUlS1A_E_NS1_11comp_targetILNS1_3genE3ELNS1_11target_archE908ELNS1_3gpuE7ELNS1_3repE0EEENS1_30default_config_static_selectorELNS0_4arch9wavefront6targetE0EEEvT1_,comdat
.Lfunc_end2768:
	.size	_ZN7rocprim17ROCPRIM_400000_NS6detail17trampoline_kernelINS0_14default_configENS1_25partition_config_selectorILNS1_17partition_subalgoE5ExNS0_10empty_typeEbEEZZNS1_14partition_implILS5_5ELb0ES3_mN6thrust23THRUST_200600_302600_NS6detail15normal_iteratorINSA_10device_ptrIxEEEEPS6_NSA_18transform_iteratorINSB_9not_fun_tI7is_trueIxEEENSC_INSD_IbEEEENSA_11use_defaultESO_EENS0_5tupleIJNSA_16discard_iteratorISO_EES6_EEENSQ_IJSG_SG_EEES6_PlJS6_EEE10hipError_tPvRmT3_T4_T5_T6_T7_T9_mT8_P12ihipStream_tbDpT10_ENKUlT_T0_E_clISt17integral_constantIbLb1EES1E_IbLb0EEEEDaS1A_S1B_EUlS1A_E_NS1_11comp_targetILNS1_3genE3ELNS1_11target_archE908ELNS1_3gpuE7ELNS1_3repE0EEENS1_30default_config_static_selectorELNS0_4arch9wavefront6targetE0EEEvT1_, .Lfunc_end2768-_ZN7rocprim17ROCPRIM_400000_NS6detail17trampoline_kernelINS0_14default_configENS1_25partition_config_selectorILNS1_17partition_subalgoE5ExNS0_10empty_typeEbEEZZNS1_14partition_implILS5_5ELb0ES3_mN6thrust23THRUST_200600_302600_NS6detail15normal_iteratorINSA_10device_ptrIxEEEEPS6_NSA_18transform_iteratorINSB_9not_fun_tI7is_trueIxEEENSC_INSD_IbEEEENSA_11use_defaultESO_EENS0_5tupleIJNSA_16discard_iteratorISO_EES6_EEENSQ_IJSG_SG_EEES6_PlJS6_EEE10hipError_tPvRmT3_T4_T5_T6_T7_T9_mT8_P12ihipStream_tbDpT10_ENKUlT_T0_E_clISt17integral_constantIbLb1EES1E_IbLb0EEEEDaS1A_S1B_EUlS1A_E_NS1_11comp_targetILNS1_3genE3ELNS1_11target_archE908ELNS1_3gpuE7ELNS1_3repE0EEENS1_30default_config_static_selectorELNS0_4arch9wavefront6targetE0EEEvT1_
                                        ; -- End function
	.set _ZN7rocprim17ROCPRIM_400000_NS6detail17trampoline_kernelINS0_14default_configENS1_25partition_config_selectorILNS1_17partition_subalgoE5ExNS0_10empty_typeEbEEZZNS1_14partition_implILS5_5ELb0ES3_mN6thrust23THRUST_200600_302600_NS6detail15normal_iteratorINSA_10device_ptrIxEEEEPS6_NSA_18transform_iteratorINSB_9not_fun_tI7is_trueIxEEENSC_INSD_IbEEEENSA_11use_defaultESO_EENS0_5tupleIJNSA_16discard_iteratorISO_EES6_EEENSQ_IJSG_SG_EEES6_PlJS6_EEE10hipError_tPvRmT3_T4_T5_T6_T7_T9_mT8_P12ihipStream_tbDpT10_ENKUlT_T0_E_clISt17integral_constantIbLb1EES1E_IbLb0EEEEDaS1A_S1B_EUlS1A_E_NS1_11comp_targetILNS1_3genE3ELNS1_11target_archE908ELNS1_3gpuE7ELNS1_3repE0EEENS1_30default_config_static_selectorELNS0_4arch9wavefront6targetE0EEEvT1_.num_vgpr, 0
	.set _ZN7rocprim17ROCPRIM_400000_NS6detail17trampoline_kernelINS0_14default_configENS1_25partition_config_selectorILNS1_17partition_subalgoE5ExNS0_10empty_typeEbEEZZNS1_14partition_implILS5_5ELb0ES3_mN6thrust23THRUST_200600_302600_NS6detail15normal_iteratorINSA_10device_ptrIxEEEEPS6_NSA_18transform_iteratorINSB_9not_fun_tI7is_trueIxEEENSC_INSD_IbEEEENSA_11use_defaultESO_EENS0_5tupleIJNSA_16discard_iteratorISO_EES6_EEENSQ_IJSG_SG_EEES6_PlJS6_EEE10hipError_tPvRmT3_T4_T5_T6_T7_T9_mT8_P12ihipStream_tbDpT10_ENKUlT_T0_E_clISt17integral_constantIbLb1EES1E_IbLb0EEEEDaS1A_S1B_EUlS1A_E_NS1_11comp_targetILNS1_3genE3ELNS1_11target_archE908ELNS1_3gpuE7ELNS1_3repE0EEENS1_30default_config_static_selectorELNS0_4arch9wavefront6targetE0EEEvT1_.num_agpr, 0
	.set _ZN7rocprim17ROCPRIM_400000_NS6detail17trampoline_kernelINS0_14default_configENS1_25partition_config_selectorILNS1_17partition_subalgoE5ExNS0_10empty_typeEbEEZZNS1_14partition_implILS5_5ELb0ES3_mN6thrust23THRUST_200600_302600_NS6detail15normal_iteratorINSA_10device_ptrIxEEEEPS6_NSA_18transform_iteratorINSB_9not_fun_tI7is_trueIxEEENSC_INSD_IbEEEENSA_11use_defaultESO_EENS0_5tupleIJNSA_16discard_iteratorISO_EES6_EEENSQ_IJSG_SG_EEES6_PlJS6_EEE10hipError_tPvRmT3_T4_T5_T6_T7_T9_mT8_P12ihipStream_tbDpT10_ENKUlT_T0_E_clISt17integral_constantIbLb1EES1E_IbLb0EEEEDaS1A_S1B_EUlS1A_E_NS1_11comp_targetILNS1_3genE3ELNS1_11target_archE908ELNS1_3gpuE7ELNS1_3repE0EEENS1_30default_config_static_selectorELNS0_4arch9wavefront6targetE0EEEvT1_.numbered_sgpr, 0
	.set _ZN7rocprim17ROCPRIM_400000_NS6detail17trampoline_kernelINS0_14default_configENS1_25partition_config_selectorILNS1_17partition_subalgoE5ExNS0_10empty_typeEbEEZZNS1_14partition_implILS5_5ELb0ES3_mN6thrust23THRUST_200600_302600_NS6detail15normal_iteratorINSA_10device_ptrIxEEEEPS6_NSA_18transform_iteratorINSB_9not_fun_tI7is_trueIxEEENSC_INSD_IbEEEENSA_11use_defaultESO_EENS0_5tupleIJNSA_16discard_iteratorISO_EES6_EEENSQ_IJSG_SG_EEES6_PlJS6_EEE10hipError_tPvRmT3_T4_T5_T6_T7_T9_mT8_P12ihipStream_tbDpT10_ENKUlT_T0_E_clISt17integral_constantIbLb1EES1E_IbLb0EEEEDaS1A_S1B_EUlS1A_E_NS1_11comp_targetILNS1_3genE3ELNS1_11target_archE908ELNS1_3gpuE7ELNS1_3repE0EEENS1_30default_config_static_selectorELNS0_4arch9wavefront6targetE0EEEvT1_.num_named_barrier, 0
	.set _ZN7rocprim17ROCPRIM_400000_NS6detail17trampoline_kernelINS0_14default_configENS1_25partition_config_selectorILNS1_17partition_subalgoE5ExNS0_10empty_typeEbEEZZNS1_14partition_implILS5_5ELb0ES3_mN6thrust23THRUST_200600_302600_NS6detail15normal_iteratorINSA_10device_ptrIxEEEEPS6_NSA_18transform_iteratorINSB_9not_fun_tI7is_trueIxEEENSC_INSD_IbEEEENSA_11use_defaultESO_EENS0_5tupleIJNSA_16discard_iteratorISO_EES6_EEENSQ_IJSG_SG_EEES6_PlJS6_EEE10hipError_tPvRmT3_T4_T5_T6_T7_T9_mT8_P12ihipStream_tbDpT10_ENKUlT_T0_E_clISt17integral_constantIbLb1EES1E_IbLb0EEEEDaS1A_S1B_EUlS1A_E_NS1_11comp_targetILNS1_3genE3ELNS1_11target_archE908ELNS1_3gpuE7ELNS1_3repE0EEENS1_30default_config_static_selectorELNS0_4arch9wavefront6targetE0EEEvT1_.private_seg_size, 0
	.set _ZN7rocprim17ROCPRIM_400000_NS6detail17trampoline_kernelINS0_14default_configENS1_25partition_config_selectorILNS1_17partition_subalgoE5ExNS0_10empty_typeEbEEZZNS1_14partition_implILS5_5ELb0ES3_mN6thrust23THRUST_200600_302600_NS6detail15normal_iteratorINSA_10device_ptrIxEEEEPS6_NSA_18transform_iteratorINSB_9not_fun_tI7is_trueIxEEENSC_INSD_IbEEEENSA_11use_defaultESO_EENS0_5tupleIJNSA_16discard_iteratorISO_EES6_EEENSQ_IJSG_SG_EEES6_PlJS6_EEE10hipError_tPvRmT3_T4_T5_T6_T7_T9_mT8_P12ihipStream_tbDpT10_ENKUlT_T0_E_clISt17integral_constantIbLb1EES1E_IbLb0EEEEDaS1A_S1B_EUlS1A_E_NS1_11comp_targetILNS1_3genE3ELNS1_11target_archE908ELNS1_3gpuE7ELNS1_3repE0EEENS1_30default_config_static_selectorELNS0_4arch9wavefront6targetE0EEEvT1_.uses_vcc, 0
	.set _ZN7rocprim17ROCPRIM_400000_NS6detail17trampoline_kernelINS0_14default_configENS1_25partition_config_selectorILNS1_17partition_subalgoE5ExNS0_10empty_typeEbEEZZNS1_14partition_implILS5_5ELb0ES3_mN6thrust23THRUST_200600_302600_NS6detail15normal_iteratorINSA_10device_ptrIxEEEEPS6_NSA_18transform_iteratorINSB_9not_fun_tI7is_trueIxEEENSC_INSD_IbEEEENSA_11use_defaultESO_EENS0_5tupleIJNSA_16discard_iteratorISO_EES6_EEENSQ_IJSG_SG_EEES6_PlJS6_EEE10hipError_tPvRmT3_T4_T5_T6_T7_T9_mT8_P12ihipStream_tbDpT10_ENKUlT_T0_E_clISt17integral_constantIbLb1EES1E_IbLb0EEEEDaS1A_S1B_EUlS1A_E_NS1_11comp_targetILNS1_3genE3ELNS1_11target_archE908ELNS1_3gpuE7ELNS1_3repE0EEENS1_30default_config_static_selectorELNS0_4arch9wavefront6targetE0EEEvT1_.uses_flat_scratch, 0
	.set _ZN7rocprim17ROCPRIM_400000_NS6detail17trampoline_kernelINS0_14default_configENS1_25partition_config_selectorILNS1_17partition_subalgoE5ExNS0_10empty_typeEbEEZZNS1_14partition_implILS5_5ELb0ES3_mN6thrust23THRUST_200600_302600_NS6detail15normal_iteratorINSA_10device_ptrIxEEEEPS6_NSA_18transform_iteratorINSB_9not_fun_tI7is_trueIxEEENSC_INSD_IbEEEENSA_11use_defaultESO_EENS0_5tupleIJNSA_16discard_iteratorISO_EES6_EEENSQ_IJSG_SG_EEES6_PlJS6_EEE10hipError_tPvRmT3_T4_T5_T6_T7_T9_mT8_P12ihipStream_tbDpT10_ENKUlT_T0_E_clISt17integral_constantIbLb1EES1E_IbLb0EEEEDaS1A_S1B_EUlS1A_E_NS1_11comp_targetILNS1_3genE3ELNS1_11target_archE908ELNS1_3gpuE7ELNS1_3repE0EEENS1_30default_config_static_selectorELNS0_4arch9wavefront6targetE0EEEvT1_.has_dyn_sized_stack, 0
	.set _ZN7rocprim17ROCPRIM_400000_NS6detail17trampoline_kernelINS0_14default_configENS1_25partition_config_selectorILNS1_17partition_subalgoE5ExNS0_10empty_typeEbEEZZNS1_14partition_implILS5_5ELb0ES3_mN6thrust23THRUST_200600_302600_NS6detail15normal_iteratorINSA_10device_ptrIxEEEEPS6_NSA_18transform_iteratorINSB_9not_fun_tI7is_trueIxEEENSC_INSD_IbEEEENSA_11use_defaultESO_EENS0_5tupleIJNSA_16discard_iteratorISO_EES6_EEENSQ_IJSG_SG_EEES6_PlJS6_EEE10hipError_tPvRmT3_T4_T5_T6_T7_T9_mT8_P12ihipStream_tbDpT10_ENKUlT_T0_E_clISt17integral_constantIbLb1EES1E_IbLb0EEEEDaS1A_S1B_EUlS1A_E_NS1_11comp_targetILNS1_3genE3ELNS1_11target_archE908ELNS1_3gpuE7ELNS1_3repE0EEENS1_30default_config_static_selectorELNS0_4arch9wavefront6targetE0EEEvT1_.has_recursion, 0
	.set _ZN7rocprim17ROCPRIM_400000_NS6detail17trampoline_kernelINS0_14default_configENS1_25partition_config_selectorILNS1_17partition_subalgoE5ExNS0_10empty_typeEbEEZZNS1_14partition_implILS5_5ELb0ES3_mN6thrust23THRUST_200600_302600_NS6detail15normal_iteratorINSA_10device_ptrIxEEEEPS6_NSA_18transform_iteratorINSB_9not_fun_tI7is_trueIxEEENSC_INSD_IbEEEENSA_11use_defaultESO_EENS0_5tupleIJNSA_16discard_iteratorISO_EES6_EEENSQ_IJSG_SG_EEES6_PlJS6_EEE10hipError_tPvRmT3_T4_T5_T6_T7_T9_mT8_P12ihipStream_tbDpT10_ENKUlT_T0_E_clISt17integral_constantIbLb1EES1E_IbLb0EEEEDaS1A_S1B_EUlS1A_E_NS1_11comp_targetILNS1_3genE3ELNS1_11target_archE908ELNS1_3gpuE7ELNS1_3repE0EEENS1_30default_config_static_selectorELNS0_4arch9wavefront6targetE0EEEvT1_.has_indirect_call, 0
	.section	.AMDGPU.csdata,"",@progbits
; Kernel info:
; codeLenInByte = 0
; TotalNumSgprs: 0
; NumVgprs: 0
; ScratchSize: 0
; MemoryBound: 0
; FloatMode: 240
; IeeeMode: 1
; LDSByteSize: 0 bytes/workgroup (compile time only)
; SGPRBlocks: 0
; VGPRBlocks: 0
; NumSGPRsForWavesPerEU: 1
; NumVGPRsForWavesPerEU: 1
; Occupancy: 16
; WaveLimiterHint : 0
; COMPUTE_PGM_RSRC2:SCRATCH_EN: 0
; COMPUTE_PGM_RSRC2:USER_SGPR: 2
; COMPUTE_PGM_RSRC2:TRAP_HANDLER: 0
; COMPUTE_PGM_RSRC2:TGID_X_EN: 1
; COMPUTE_PGM_RSRC2:TGID_Y_EN: 0
; COMPUTE_PGM_RSRC2:TGID_Z_EN: 0
; COMPUTE_PGM_RSRC2:TIDIG_COMP_CNT: 0
	.section	.text._ZN7rocprim17ROCPRIM_400000_NS6detail17trampoline_kernelINS0_14default_configENS1_25partition_config_selectorILNS1_17partition_subalgoE5ExNS0_10empty_typeEbEEZZNS1_14partition_implILS5_5ELb0ES3_mN6thrust23THRUST_200600_302600_NS6detail15normal_iteratorINSA_10device_ptrIxEEEEPS6_NSA_18transform_iteratorINSB_9not_fun_tI7is_trueIxEEENSC_INSD_IbEEEENSA_11use_defaultESO_EENS0_5tupleIJNSA_16discard_iteratorISO_EES6_EEENSQ_IJSG_SG_EEES6_PlJS6_EEE10hipError_tPvRmT3_T4_T5_T6_T7_T9_mT8_P12ihipStream_tbDpT10_ENKUlT_T0_E_clISt17integral_constantIbLb1EES1E_IbLb0EEEEDaS1A_S1B_EUlS1A_E_NS1_11comp_targetILNS1_3genE2ELNS1_11target_archE906ELNS1_3gpuE6ELNS1_3repE0EEENS1_30default_config_static_selectorELNS0_4arch9wavefront6targetE0EEEvT1_,"axG",@progbits,_ZN7rocprim17ROCPRIM_400000_NS6detail17trampoline_kernelINS0_14default_configENS1_25partition_config_selectorILNS1_17partition_subalgoE5ExNS0_10empty_typeEbEEZZNS1_14partition_implILS5_5ELb0ES3_mN6thrust23THRUST_200600_302600_NS6detail15normal_iteratorINSA_10device_ptrIxEEEEPS6_NSA_18transform_iteratorINSB_9not_fun_tI7is_trueIxEEENSC_INSD_IbEEEENSA_11use_defaultESO_EENS0_5tupleIJNSA_16discard_iteratorISO_EES6_EEENSQ_IJSG_SG_EEES6_PlJS6_EEE10hipError_tPvRmT3_T4_T5_T6_T7_T9_mT8_P12ihipStream_tbDpT10_ENKUlT_T0_E_clISt17integral_constantIbLb1EES1E_IbLb0EEEEDaS1A_S1B_EUlS1A_E_NS1_11comp_targetILNS1_3genE2ELNS1_11target_archE906ELNS1_3gpuE6ELNS1_3repE0EEENS1_30default_config_static_selectorELNS0_4arch9wavefront6targetE0EEEvT1_,comdat
	.protected	_ZN7rocprim17ROCPRIM_400000_NS6detail17trampoline_kernelINS0_14default_configENS1_25partition_config_selectorILNS1_17partition_subalgoE5ExNS0_10empty_typeEbEEZZNS1_14partition_implILS5_5ELb0ES3_mN6thrust23THRUST_200600_302600_NS6detail15normal_iteratorINSA_10device_ptrIxEEEEPS6_NSA_18transform_iteratorINSB_9not_fun_tI7is_trueIxEEENSC_INSD_IbEEEENSA_11use_defaultESO_EENS0_5tupleIJNSA_16discard_iteratorISO_EES6_EEENSQ_IJSG_SG_EEES6_PlJS6_EEE10hipError_tPvRmT3_T4_T5_T6_T7_T9_mT8_P12ihipStream_tbDpT10_ENKUlT_T0_E_clISt17integral_constantIbLb1EES1E_IbLb0EEEEDaS1A_S1B_EUlS1A_E_NS1_11comp_targetILNS1_3genE2ELNS1_11target_archE906ELNS1_3gpuE6ELNS1_3repE0EEENS1_30default_config_static_selectorELNS0_4arch9wavefront6targetE0EEEvT1_ ; -- Begin function _ZN7rocprim17ROCPRIM_400000_NS6detail17trampoline_kernelINS0_14default_configENS1_25partition_config_selectorILNS1_17partition_subalgoE5ExNS0_10empty_typeEbEEZZNS1_14partition_implILS5_5ELb0ES3_mN6thrust23THRUST_200600_302600_NS6detail15normal_iteratorINSA_10device_ptrIxEEEEPS6_NSA_18transform_iteratorINSB_9not_fun_tI7is_trueIxEEENSC_INSD_IbEEEENSA_11use_defaultESO_EENS0_5tupleIJNSA_16discard_iteratorISO_EES6_EEENSQ_IJSG_SG_EEES6_PlJS6_EEE10hipError_tPvRmT3_T4_T5_T6_T7_T9_mT8_P12ihipStream_tbDpT10_ENKUlT_T0_E_clISt17integral_constantIbLb1EES1E_IbLb0EEEEDaS1A_S1B_EUlS1A_E_NS1_11comp_targetILNS1_3genE2ELNS1_11target_archE906ELNS1_3gpuE6ELNS1_3repE0EEENS1_30default_config_static_selectorELNS0_4arch9wavefront6targetE0EEEvT1_
	.globl	_ZN7rocprim17ROCPRIM_400000_NS6detail17trampoline_kernelINS0_14default_configENS1_25partition_config_selectorILNS1_17partition_subalgoE5ExNS0_10empty_typeEbEEZZNS1_14partition_implILS5_5ELb0ES3_mN6thrust23THRUST_200600_302600_NS6detail15normal_iteratorINSA_10device_ptrIxEEEEPS6_NSA_18transform_iteratorINSB_9not_fun_tI7is_trueIxEEENSC_INSD_IbEEEENSA_11use_defaultESO_EENS0_5tupleIJNSA_16discard_iteratorISO_EES6_EEENSQ_IJSG_SG_EEES6_PlJS6_EEE10hipError_tPvRmT3_T4_T5_T6_T7_T9_mT8_P12ihipStream_tbDpT10_ENKUlT_T0_E_clISt17integral_constantIbLb1EES1E_IbLb0EEEEDaS1A_S1B_EUlS1A_E_NS1_11comp_targetILNS1_3genE2ELNS1_11target_archE906ELNS1_3gpuE6ELNS1_3repE0EEENS1_30default_config_static_selectorELNS0_4arch9wavefront6targetE0EEEvT1_
	.p2align	8
	.type	_ZN7rocprim17ROCPRIM_400000_NS6detail17trampoline_kernelINS0_14default_configENS1_25partition_config_selectorILNS1_17partition_subalgoE5ExNS0_10empty_typeEbEEZZNS1_14partition_implILS5_5ELb0ES3_mN6thrust23THRUST_200600_302600_NS6detail15normal_iteratorINSA_10device_ptrIxEEEEPS6_NSA_18transform_iteratorINSB_9not_fun_tI7is_trueIxEEENSC_INSD_IbEEEENSA_11use_defaultESO_EENS0_5tupleIJNSA_16discard_iteratorISO_EES6_EEENSQ_IJSG_SG_EEES6_PlJS6_EEE10hipError_tPvRmT3_T4_T5_T6_T7_T9_mT8_P12ihipStream_tbDpT10_ENKUlT_T0_E_clISt17integral_constantIbLb1EES1E_IbLb0EEEEDaS1A_S1B_EUlS1A_E_NS1_11comp_targetILNS1_3genE2ELNS1_11target_archE906ELNS1_3gpuE6ELNS1_3repE0EEENS1_30default_config_static_selectorELNS0_4arch9wavefront6targetE0EEEvT1_,@function
_ZN7rocprim17ROCPRIM_400000_NS6detail17trampoline_kernelINS0_14default_configENS1_25partition_config_selectorILNS1_17partition_subalgoE5ExNS0_10empty_typeEbEEZZNS1_14partition_implILS5_5ELb0ES3_mN6thrust23THRUST_200600_302600_NS6detail15normal_iteratorINSA_10device_ptrIxEEEEPS6_NSA_18transform_iteratorINSB_9not_fun_tI7is_trueIxEEENSC_INSD_IbEEEENSA_11use_defaultESO_EENS0_5tupleIJNSA_16discard_iteratorISO_EES6_EEENSQ_IJSG_SG_EEES6_PlJS6_EEE10hipError_tPvRmT3_T4_T5_T6_T7_T9_mT8_P12ihipStream_tbDpT10_ENKUlT_T0_E_clISt17integral_constantIbLb1EES1E_IbLb0EEEEDaS1A_S1B_EUlS1A_E_NS1_11comp_targetILNS1_3genE2ELNS1_11target_archE906ELNS1_3gpuE6ELNS1_3repE0EEENS1_30default_config_static_selectorELNS0_4arch9wavefront6targetE0EEEvT1_: ; @_ZN7rocprim17ROCPRIM_400000_NS6detail17trampoline_kernelINS0_14default_configENS1_25partition_config_selectorILNS1_17partition_subalgoE5ExNS0_10empty_typeEbEEZZNS1_14partition_implILS5_5ELb0ES3_mN6thrust23THRUST_200600_302600_NS6detail15normal_iteratorINSA_10device_ptrIxEEEEPS6_NSA_18transform_iteratorINSB_9not_fun_tI7is_trueIxEEENSC_INSD_IbEEEENSA_11use_defaultESO_EENS0_5tupleIJNSA_16discard_iteratorISO_EES6_EEENSQ_IJSG_SG_EEES6_PlJS6_EEE10hipError_tPvRmT3_T4_T5_T6_T7_T9_mT8_P12ihipStream_tbDpT10_ENKUlT_T0_E_clISt17integral_constantIbLb1EES1E_IbLb0EEEEDaS1A_S1B_EUlS1A_E_NS1_11comp_targetILNS1_3genE2ELNS1_11target_archE906ELNS1_3gpuE6ELNS1_3repE0EEENS1_30default_config_static_selectorELNS0_4arch9wavefront6targetE0EEEvT1_
; %bb.0:
	.section	.rodata,"a",@progbits
	.p2align	6, 0x0
	.amdhsa_kernel _ZN7rocprim17ROCPRIM_400000_NS6detail17trampoline_kernelINS0_14default_configENS1_25partition_config_selectorILNS1_17partition_subalgoE5ExNS0_10empty_typeEbEEZZNS1_14partition_implILS5_5ELb0ES3_mN6thrust23THRUST_200600_302600_NS6detail15normal_iteratorINSA_10device_ptrIxEEEEPS6_NSA_18transform_iteratorINSB_9not_fun_tI7is_trueIxEEENSC_INSD_IbEEEENSA_11use_defaultESO_EENS0_5tupleIJNSA_16discard_iteratorISO_EES6_EEENSQ_IJSG_SG_EEES6_PlJS6_EEE10hipError_tPvRmT3_T4_T5_T6_T7_T9_mT8_P12ihipStream_tbDpT10_ENKUlT_T0_E_clISt17integral_constantIbLb1EES1E_IbLb0EEEEDaS1A_S1B_EUlS1A_E_NS1_11comp_targetILNS1_3genE2ELNS1_11target_archE906ELNS1_3gpuE6ELNS1_3repE0EEENS1_30default_config_static_selectorELNS0_4arch9wavefront6targetE0EEEvT1_
		.amdhsa_group_segment_fixed_size 0
		.amdhsa_private_segment_fixed_size 0
		.amdhsa_kernarg_size 128
		.amdhsa_user_sgpr_count 2
		.amdhsa_user_sgpr_dispatch_ptr 0
		.amdhsa_user_sgpr_queue_ptr 0
		.amdhsa_user_sgpr_kernarg_segment_ptr 1
		.amdhsa_user_sgpr_dispatch_id 0
		.amdhsa_user_sgpr_private_segment_size 0
		.amdhsa_wavefront_size32 1
		.amdhsa_uses_dynamic_stack 0
		.amdhsa_enable_private_segment 0
		.amdhsa_system_sgpr_workgroup_id_x 1
		.amdhsa_system_sgpr_workgroup_id_y 0
		.amdhsa_system_sgpr_workgroup_id_z 0
		.amdhsa_system_sgpr_workgroup_info 0
		.amdhsa_system_vgpr_workitem_id 0
		.amdhsa_next_free_vgpr 1
		.amdhsa_next_free_sgpr 1
		.amdhsa_reserve_vcc 0
		.amdhsa_float_round_mode_32 0
		.amdhsa_float_round_mode_16_64 0
		.amdhsa_float_denorm_mode_32 3
		.amdhsa_float_denorm_mode_16_64 3
		.amdhsa_fp16_overflow 0
		.amdhsa_workgroup_processor_mode 1
		.amdhsa_memory_ordered 1
		.amdhsa_forward_progress 1
		.amdhsa_inst_pref_size 0
		.amdhsa_round_robin_scheduling 0
		.amdhsa_exception_fp_ieee_invalid_op 0
		.amdhsa_exception_fp_denorm_src 0
		.amdhsa_exception_fp_ieee_div_zero 0
		.amdhsa_exception_fp_ieee_overflow 0
		.amdhsa_exception_fp_ieee_underflow 0
		.amdhsa_exception_fp_ieee_inexact 0
		.amdhsa_exception_int_div_zero 0
	.end_amdhsa_kernel
	.section	.text._ZN7rocprim17ROCPRIM_400000_NS6detail17trampoline_kernelINS0_14default_configENS1_25partition_config_selectorILNS1_17partition_subalgoE5ExNS0_10empty_typeEbEEZZNS1_14partition_implILS5_5ELb0ES3_mN6thrust23THRUST_200600_302600_NS6detail15normal_iteratorINSA_10device_ptrIxEEEEPS6_NSA_18transform_iteratorINSB_9not_fun_tI7is_trueIxEEENSC_INSD_IbEEEENSA_11use_defaultESO_EENS0_5tupleIJNSA_16discard_iteratorISO_EES6_EEENSQ_IJSG_SG_EEES6_PlJS6_EEE10hipError_tPvRmT3_T4_T5_T6_T7_T9_mT8_P12ihipStream_tbDpT10_ENKUlT_T0_E_clISt17integral_constantIbLb1EES1E_IbLb0EEEEDaS1A_S1B_EUlS1A_E_NS1_11comp_targetILNS1_3genE2ELNS1_11target_archE906ELNS1_3gpuE6ELNS1_3repE0EEENS1_30default_config_static_selectorELNS0_4arch9wavefront6targetE0EEEvT1_,"axG",@progbits,_ZN7rocprim17ROCPRIM_400000_NS6detail17trampoline_kernelINS0_14default_configENS1_25partition_config_selectorILNS1_17partition_subalgoE5ExNS0_10empty_typeEbEEZZNS1_14partition_implILS5_5ELb0ES3_mN6thrust23THRUST_200600_302600_NS6detail15normal_iteratorINSA_10device_ptrIxEEEEPS6_NSA_18transform_iteratorINSB_9not_fun_tI7is_trueIxEEENSC_INSD_IbEEEENSA_11use_defaultESO_EENS0_5tupleIJNSA_16discard_iteratorISO_EES6_EEENSQ_IJSG_SG_EEES6_PlJS6_EEE10hipError_tPvRmT3_T4_T5_T6_T7_T9_mT8_P12ihipStream_tbDpT10_ENKUlT_T0_E_clISt17integral_constantIbLb1EES1E_IbLb0EEEEDaS1A_S1B_EUlS1A_E_NS1_11comp_targetILNS1_3genE2ELNS1_11target_archE906ELNS1_3gpuE6ELNS1_3repE0EEENS1_30default_config_static_selectorELNS0_4arch9wavefront6targetE0EEEvT1_,comdat
.Lfunc_end2769:
	.size	_ZN7rocprim17ROCPRIM_400000_NS6detail17trampoline_kernelINS0_14default_configENS1_25partition_config_selectorILNS1_17partition_subalgoE5ExNS0_10empty_typeEbEEZZNS1_14partition_implILS5_5ELb0ES3_mN6thrust23THRUST_200600_302600_NS6detail15normal_iteratorINSA_10device_ptrIxEEEEPS6_NSA_18transform_iteratorINSB_9not_fun_tI7is_trueIxEEENSC_INSD_IbEEEENSA_11use_defaultESO_EENS0_5tupleIJNSA_16discard_iteratorISO_EES6_EEENSQ_IJSG_SG_EEES6_PlJS6_EEE10hipError_tPvRmT3_T4_T5_T6_T7_T9_mT8_P12ihipStream_tbDpT10_ENKUlT_T0_E_clISt17integral_constantIbLb1EES1E_IbLb0EEEEDaS1A_S1B_EUlS1A_E_NS1_11comp_targetILNS1_3genE2ELNS1_11target_archE906ELNS1_3gpuE6ELNS1_3repE0EEENS1_30default_config_static_selectorELNS0_4arch9wavefront6targetE0EEEvT1_, .Lfunc_end2769-_ZN7rocprim17ROCPRIM_400000_NS6detail17trampoline_kernelINS0_14default_configENS1_25partition_config_selectorILNS1_17partition_subalgoE5ExNS0_10empty_typeEbEEZZNS1_14partition_implILS5_5ELb0ES3_mN6thrust23THRUST_200600_302600_NS6detail15normal_iteratorINSA_10device_ptrIxEEEEPS6_NSA_18transform_iteratorINSB_9not_fun_tI7is_trueIxEEENSC_INSD_IbEEEENSA_11use_defaultESO_EENS0_5tupleIJNSA_16discard_iteratorISO_EES6_EEENSQ_IJSG_SG_EEES6_PlJS6_EEE10hipError_tPvRmT3_T4_T5_T6_T7_T9_mT8_P12ihipStream_tbDpT10_ENKUlT_T0_E_clISt17integral_constantIbLb1EES1E_IbLb0EEEEDaS1A_S1B_EUlS1A_E_NS1_11comp_targetILNS1_3genE2ELNS1_11target_archE906ELNS1_3gpuE6ELNS1_3repE0EEENS1_30default_config_static_selectorELNS0_4arch9wavefront6targetE0EEEvT1_
                                        ; -- End function
	.set _ZN7rocprim17ROCPRIM_400000_NS6detail17trampoline_kernelINS0_14default_configENS1_25partition_config_selectorILNS1_17partition_subalgoE5ExNS0_10empty_typeEbEEZZNS1_14partition_implILS5_5ELb0ES3_mN6thrust23THRUST_200600_302600_NS6detail15normal_iteratorINSA_10device_ptrIxEEEEPS6_NSA_18transform_iteratorINSB_9not_fun_tI7is_trueIxEEENSC_INSD_IbEEEENSA_11use_defaultESO_EENS0_5tupleIJNSA_16discard_iteratorISO_EES6_EEENSQ_IJSG_SG_EEES6_PlJS6_EEE10hipError_tPvRmT3_T4_T5_T6_T7_T9_mT8_P12ihipStream_tbDpT10_ENKUlT_T0_E_clISt17integral_constantIbLb1EES1E_IbLb0EEEEDaS1A_S1B_EUlS1A_E_NS1_11comp_targetILNS1_3genE2ELNS1_11target_archE906ELNS1_3gpuE6ELNS1_3repE0EEENS1_30default_config_static_selectorELNS0_4arch9wavefront6targetE0EEEvT1_.num_vgpr, 0
	.set _ZN7rocprim17ROCPRIM_400000_NS6detail17trampoline_kernelINS0_14default_configENS1_25partition_config_selectorILNS1_17partition_subalgoE5ExNS0_10empty_typeEbEEZZNS1_14partition_implILS5_5ELb0ES3_mN6thrust23THRUST_200600_302600_NS6detail15normal_iteratorINSA_10device_ptrIxEEEEPS6_NSA_18transform_iteratorINSB_9not_fun_tI7is_trueIxEEENSC_INSD_IbEEEENSA_11use_defaultESO_EENS0_5tupleIJNSA_16discard_iteratorISO_EES6_EEENSQ_IJSG_SG_EEES6_PlJS6_EEE10hipError_tPvRmT3_T4_T5_T6_T7_T9_mT8_P12ihipStream_tbDpT10_ENKUlT_T0_E_clISt17integral_constantIbLb1EES1E_IbLb0EEEEDaS1A_S1B_EUlS1A_E_NS1_11comp_targetILNS1_3genE2ELNS1_11target_archE906ELNS1_3gpuE6ELNS1_3repE0EEENS1_30default_config_static_selectorELNS0_4arch9wavefront6targetE0EEEvT1_.num_agpr, 0
	.set _ZN7rocprim17ROCPRIM_400000_NS6detail17trampoline_kernelINS0_14default_configENS1_25partition_config_selectorILNS1_17partition_subalgoE5ExNS0_10empty_typeEbEEZZNS1_14partition_implILS5_5ELb0ES3_mN6thrust23THRUST_200600_302600_NS6detail15normal_iteratorINSA_10device_ptrIxEEEEPS6_NSA_18transform_iteratorINSB_9not_fun_tI7is_trueIxEEENSC_INSD_IbEEEENSA_11use_defaultESO_EENS0_5tupleIJNSA_16discard_iteratorISO_EES6_EEENSQ_IJSG_SG_EEES6_PlJS6_EEE10hipError_tPvRmT3_T4_T5_T6_T7_T9_mT8_P12ihipStream_tbDpT10_ENKUlT_T0_E_clISt17integral_constantIbLb1EES1E_IbLb0EEEEDaS1A_S1B_EUlS1A_E_NS1_11comp_targetILNS1_3genE2ELNS1_11target_archE906ELNS1_3gpuE6ELNS1_3repE0EEENS1_30default_config_static_selectorELNS0_4arch9wavefront6targetE0EEEvT1_.numbered_sgpr, 0
	.set _ZN7rocprim17ROCPRIM_400000_NS6detail17trampoline_kernelINS0_14default_configENS1_25partition_config_selectorILNS1_17partition_subalgoE5ExNS0_10empty_typeEbEEZZNS1_14partition_implILS5_5ELb0ES3_mN6thrust23THRUST_200600_302600_NS6detail15normal_iteratorINSA_10device_ptrIxEEEEPS6_NSA_18transform_iteratorINSB_9not_fun_tI7is_trueIxEEENSC_INSD_IbEEEENSA_11use_defaultESO_EENS0_5tupleIJNSA_16discard_iteratorISO_EES6_EEENSQ_IJSG_SG_EEES6_PlJS6_EEE10hipError_tPvRmT3_T4_T5_T6_T7_T9_mT8_P12ihipStream_tbDpT10_ENKUlT_T0_E_clISt17integral_constantIbLb1EES1E_IbLb0EEEEDaS1A_S1B_EUlS1A_E_NS1_11comp_targetILNS1_3genE2ELNS1_11target_archE906ELNS1_3gpuE6ELNS1_3repE0EEENS1_30default_config_static_selectorELNS0_4arch9wavefront6targetE0EEEvT1_.num_named_barrier, 0
	.set _ZN7rocprim17ROCPRIM_400000_NS6detail17trampoline_kernelINS0_14default_configENS1_25partition_config_selectorILNS1_17partition_subalgoE5ExNS0_10empty_typeEbEEZZNS1_14partition_implILS5_5ELb0ES3_mN6thrust23THRUST_200600_302600_NS6detail15normal_iteratorINSA_10device_ptrIxEEEEPS6_NSA_18transform_iteratorINSB_9not_fun_tI7is_trueIxEEENSC_INSD_IbEEEENSA_11use_defaultESO_EENS0_5tupleIJNSA_16discard_iteratorISO_EES6_EEENSQ_IJSG_SG_EEES6_PlJS6_EEE10hipError_tPvRmT3_T4_T5_T6_T7_T9_mT8_P12ihipStream_tbDpT10_ENKUlT_T0_E_clISt17integral_constantIbLb1EES1E_IbLb0EEEEDaS1A_S1B_EUlS1A_E_NS1_11comp_targetILNS1_3genE2ELNS1_11target_archE906ELNS1_3gpuE6ELNS1_3repE0EEENS1_30default_config_static_selectorELNS0_4arch9wavefront6targetE0EEEvT1_.private_seg_size, 0
	.set _ZN7rocprim17ROCPRIM_400000_NS6detail17trampoline_kernelINS0_14default_configENS1_25partition_config_selectorILNS1_17partition_subalgoE5ExNS0_10empty_typeEbEEZZNS1_14partition_implILS5_5ELb0ES3_mN6thrust23THRUST_200600_302600_NS6detail15normal_iteratorINSA_10device_ptrIxEEEEPS6_NSA_18transform_iteratorINSB_9not_fun_tI7is_trueIxEEENSC_INSD_IbEEEENSA_11use_defaultESO_EENS0_5tupleIJNSA_16discard_iteratorISO_EES6_EEENSQ_IJSG_SG_EEES6_PlJS6_EEE10hipError_tPvRmT3_T4_T5_T6_T7_T9_mT8_P12ihipStream_tbDpT10_ENKUlT_T0_E_clISt17integral_constantIbLb1EES1E_IbLb0EEEEDaS1A_S1B_EUlS1A_E_NS1_11comp_targetILNS1_3genE2ELNS1_11target_archE906ELNS1_3gpuE6ELNS1_3repE0EEENS1_30default_config_static_selectorELNS0_4arch9wavefront6targetE0EEEvT1_.uses_vcc, 0
	.set _ZN7rocprim17ROCPRIM_400000_NS6detail17trampoline_kernelINS0_14default_configENS1_25partition_config_selectorILNS1_17partition_subalgoE5ExNS0_10empty_typeEbEEZZNS1_14partition_implILS5_5ELb0ES3_mN6thrust23THRUST_200600_302600_NS6detail15normal_iteratorINSA_10device_ptrIxEEEEPS6_NSA_18transform_iteratorINSB_9not_fun_tI7is_trueIxEEENSC_INSD_IbEEEENSA_11use_defaultESO_EENS0_5tupleIJNSA_16discard_iteratorISO_EES6_EEENSQ_IJSG_SG_EEES6_PlJS6_EEE10hipError_tPvRmT3_T4_T5_T6_T7_T9_mT8_P12ihipStream_tbDpT10_ENKUlT_T0_E_clISt17integral_constantIbLb1EES1E_IbLb0EEEEDaS1A_S1B_EUlS1A_E_NS1_11comp_targetILNS1_3genE2ELNS1_11target_archE906ELNS1_3gpuE6ELNS1_3repE0EEENS1_30default_config_static_selectorELNS0_4arch9wavefront6targetE0EEEvT1_.uses_flat_scratch, 0
	.set _ZN7rocprim17ROCPRIM_400000_NS6detail17trampoline_kernelINS0_14default_configENS1_25partition_config_selectorILNS1_17partition_subalgoE5ExNS0_10empty_typeEbEEZZNS1_14partition_implILS5_5ELb0ES3_mN6thrust23THRUST_200600_302600_NS6detail15normal_iteratorINSA_10device_ptrIxEEEEPS6_NSA_18transform_iteratorINSB_9not_fun_tI7is_trueIxEEENSC_INSD_IbEEEENSA_11use_defaultESO_EENS0_5tupleIJNSA_16discard_iteratorISO_EES6_EEENSQ_IJSG_SG_EEES6_PlJS6_EEE10hipError_tPvRmT3_T4_T5_T6_T7_T9_mT8_P12ihipStream_tbDpT10_ENKUlT_T0_E_clISt17integral_constantIbLb1EES1E_IbLb0EEEEDaS1A_S1B_EUlS1A_E_NS1_11comp_targetILNS1_3genE2ELNS1_11target_archE906ELNS1_3gpuE6ELNS1_3repE0EEENS1_30default_config_static_selectorELNS0_4arch9wavefront6targetE0EEEvT1_.has_dyn_sized_stack, 0
	.set _ZN7rocprim17ROCPRIM_400000_NS6detail17trampoline_kernelINS0_14default_configENS1_25partition_config_selectorILNS1_17partition_subalgoE5ExNS0_10empty_typeEbEEZZNS1_14partition_implILS5_5ELb0ES3_mN6thrust23THRUST_200600_302600_NS6detail15normal_iteratorINSA_10device_ptrIxEEEEPS6_NSA_18transform_iteratorINSB_9not_fun_tI7is_trueIxEEENSC_INSD_IbEEEENSA_11use_defaultESO_EENS0_5tupleIJNSA_16discard_iteratorISO_EES6_EEENSQ_IJSG_SG_EEES6_PlJS6_EEE10hipError_tPvRmT3_T4_T5_T6_T7_T9_mT8_P12ihipStream_tbDpT10_ENKUlT_T0_E_clISt17integral_constantIbLb1EES1E_IbLb0EEEEDaS1A_S1B_EUlS1A_E_NS1_11comp_targetILNS1_3genE2ELNS1_11target_archE906ELNS1_3gpuE6ELNS1_3repE0EEENS1_30default_config_static_selectorELNS0_4arch9wavefront6targetE0EEEvT1_.has_recursion, 0
	.set _ZN7rocprim17ROCPRIM_400000_NS6detail17trampoline_kernelINS0_14default_configENS1_25partition_config_selectorILNS1_17partition_subalgoE5ExNS0_10empty_typeEbEEZZNS1_14partition_implILS5_5ELb0ES3_mN6thrust23THRUST_200600_302600_NS6detail15normal_iteratorINSA_10device_ptrIxEEEEPS6_NSA_18transform_iteratorINSB_9not_fun_tI7is_trueIxEEENSC_INSD_IbEEEENSA_11use_defaultESO_EENS0_5tupleIJNSA_16discard_iteratorISO_EES6_EEENSQ_IJSG_SG_EEES6_PlJS6_EEE10hipError_tPvRmT3_T4_T5_T6_T7_T9_mT8_P12ihipStream_tbDpT10_ENKUlT_T0_E_clISt17integral_constantIbLb1EES1E_IbLb0EEEEDaS1A_S1B_EUlS1A_E_NS1_11comp_targetILNS1_3genE2ELNS1_11target_archE906ELNS1_3gpuE6ELNS1_3repE0EEENS1_30default_config_static_selectorELNS0_4arch9wavefront6targetE0EEEvT1_.has_indirect_call, 0
	.section	.AMDGPU.csdata,"",@progbits
; Kernel info:
; codeLenInByte = 0
; TotalNumSgprs: 0
; NumVgprs: 0
; ScratchSize: 0
; MemoryBound: 0
; FloatMode: 240
; IeeeMode: 1
; LDSByteSize: 0 bytes/workgroup (compile time only)
; SGPRBlocks: 0
; VGPRBlocks: 0
; NumSGPRsForWavesPerEU: 1
; NumVGPRsForWavesPerEU: 1
; Occupancy: 16
; WaveLimiterHint : 0
; COMPUTE_PGM_RSRC2:SCRATCH_EN: 0
; COMPUTE_PGM_RSRC2:USER_SGPR: 2
; COMPUTE_PGM_RSRC2:TRAP_HANDLER: 0
; COMPUTE_PGM_RSRC2:TGID_X_EN: 1
; COMPUTE_PGM_RSRC2:TGID_Y_EN: 0
; COMPUTE_PGM_RSRC2:TGID_Z_EN: 0
; COMPUTE_PGM_RSRC2:TIDIG_COMP_CNT: 0
	.section	.text._ZN7rocprim17ROCPRIM_400000_NS6detail17trampoline_kernelINS0_14default_configENS1_25partition_config_selectorILNS1_17partition_subalgoE5ExNS0_10empty_typeEbEEZZNS1_14partition_implILS5_5ELb0ES3_mN6thrust23THRUST_200600_302600_NS6detail15normal_iteratorINSA_10device_ptrIxEEEEPS6_NSA_18transform_iteratorINSB_9not_fun_tI7is_trueIxEEENSC_INSD_IbEEEENSA_11use_defaultESO_EENS0_5tupleIJNSA_16discard_iteratorISO_EES6_EEENSQ_IJSG_SG_EEES6_PlJS6_EEE10hipError_tPvRmT3_T4_T5_T6_T7_T9_mT8_P12ihipStream_tbDpT10_ENKUlT_T0_E_clISt17integral_constantIbLb1EES1E_IbLb0EEEEDaS1A_S1B_EUlS1A_E_NS1_11comp_targetILNS1_3genE10ELNS1_11target_archE1200ELNS1_3gpuE4ELNS1_3repE0EEENS1_30default_config_static_selectorELNS0_4arch9wavefront6targetE0EEEvT1_,"axG",@progbits,_ZN7rocprim17ROCPRIM_400000_NS6detail17trampoline_kernelINS0_14default_configENS1_25partition_config_selectorILNS1_17partition_subalgoE5ExNS0_10empty_typeEbEEZZNS1_14partition_implILS5_5ELb0ES3_mN6thrust23THRUST_200600_302600_NS6detail15normal_iteratorINSA_10device_ptrIxEEEEPS6_NSA_18transform_iteratorINSB_9not_fun_tI7is_trueIxEEENSC_INSD_IbEEEENSA_11use_defaultESO_EENS0_5tupleIJNSA_16discard_iteratorISO_EES6_EEENSQ_IJSG_SG_EEES6_PlJS6_EEE10hipError_tPvRmT3_T4_T5_T6_T7_T9_mT8_P12ihipStream_tbDpT10_ENKUlT_T0_E_clISt17integral_constantIbLb1EES1E_IbLb0EEEEDaS1A_S1B_EUlS1A_E_NS1_11comp_targetILNS1_3genE10ELNS1_11target_archE1200ELNS1_3gpuE4ELNS1_3repE0EEENS1_30default_config_static_selectorELNS0_4arch9wavefront6targetE0EEEvT1_,comdat
	.protected	_ZN7rocprim17ROCPRIM_400000_NS6detail17trampoline_kernelINS0_14default_configENS1_25partition_config_selectorILNS1_17partition_subalgoE5ExNS0_10empty_typeEbEEZZNS1_14partition_implILS5_5ELb0ES3_mN6thrust23THRUST_200600_302600_NS6detail15normal_iteratorINSA_10device_ptrIxEEEEPS6_NSA_18transform_iteratorINSB_9not_fun_tI7is_trueIxEEENSC_INSD_IbEEEENSA_11use_defaultESO_EENS0_5tupleIJNSA_16discard_iteratorISO_EES6_EEENSQ_IJSG_SG_EEES6_PlJS6_EEE10hipError_tPvRmT3_T4_T5_T6_T7_T9_mT8_P12ihipStream_tbDpT10_ENKUlT_T0_E_clISt17integral_constantIbLb1EES1E_IbLb0EEEEDaS1A_S1B_EUlS1A_E_NS1_11comp_targetILNS1_3genE10ELNS1_11target_archE1200ELNS1_3gpuE4ELNS1_3repE0EEENS1_30default_config_static_selectorELNS0_4arch9wavefront6targetE0EEEvT1_ ; -- Begin function _ZN7rocprim17ROCPRIM_400000_NS6detail17trampoline_kernelINS0_14default_configENS1_25partition_config_selectorILNS1_17partition_subalgoE5ExNS0_10empty_typeEbEEZZNS1_14partition_implILS5_5ELb0ES3_mN6thrust23THRUST_200600_302600_NS6detail15normal_iteratorINSA_10device_ptrIxEEEEPS6_NSA_18transform_iteratorINSB_9not_fun_tI7is_trueIxEEENSC_INSD_IbEEEENSA_11use_defaultESO_EENS0_5tupleIJNSA_16discard_iteratorISO_EES6_EEENSQ_IJSG_SG_EEES6_PlJS6_EEE10hipError_tPvRmT3_T4_T5_T6_T7_T9_mT8_P12ihipStream_tbDpT10_ENKUlT_T0_E_clISt17integral_constantIbLb1EES1E_IbLb0EEEEDaS1A_S1B_EUlS1A_E_NS1_11comp_targetILNS1_3genE10ELNS1_11target_archE1200ELNS1_3gpuE4ELNS1_3repE0EEENS1_30default_config_static_selectorELNS0_4arch9wavefront6targetE0EEEvT1_
	.globl	_ZN7rocprim17ROCPRIM_400000_NS6detail17trampoline_kernelINS0_14default_configENS1_25partition_config_selectorILNS1_17partition_subalgoE5ExNS0_10empty_typeEbEEZZNS1_14partition_implILS5_5ELb0ES3_mN6thrust23THRUST_200600_302600_NS6detail15normal_iteratorINSA_10device_ptrIxEEEEPS6_NSA_18transform_iteratorINSB_9not_fun_tI7is_trueIxEEENSC_INSD_IbEEEENSA_11use_defaultESO_EENS0_5tupleIJNSA_16discard_iteratorISO_EES6_EEENSQ_IJSG_SG_EEES6_PlJS6_EEE10hipError_tPvRmT3_T4_T5_T6_T7_T9_mT8_P12ihipStream_tbDpT10_ENKUlT_T0_E_clISt17integral_constantIbLb1EES1E_IbLb0EEEEDaS1A_S1B_EUlS1A_E_NS1_11comp_targetILNS1_3genE10ELNS1_11target_archE1200ELNS1_3gpuE4ELNS1_3repE0EEENS1_30default_config_static_selectorELNS0_4arch9wavefront6targetE0EEEvT1_
	.p2align	8
	.type	_ZN7rocprim17ROCPRIM_400000_NS6detail17trampoline_kernelINS0_14default_configENS1_25partition_config_selectorILNS1_17partition_subalgoE5ExNS0_10empty_typeEbEEZZNS1_14partition_implILS5_5ELb0ES3_mN6thrust23THRUST_200600_302600_NS6detail15normal_iteratorINSA_10device_ptrIxEEEEPS6_NSA_18transform_iteratorINSB_9not_fun_tI7is_trueIxEEENSC_INSD_IbEEEENSA_11use_defaultESO_EENS0_5tupleIJNSA_16discard_iteratorISO_EES6_EEENSQ_IJSG_SG_EEES6_PlJS6_EEE10hipError_tPvRmT3_T4_T5_T6_T7_T9_mT8_P12ihipStream_tbDpT10_ENKUlT_T0_E_clISt17integral_constantIbLb1EES1E_IbLb0EEEEDaS1A_S1B_EUlS1A_E_NS1_11comp_targetILNS1_3genE10ELNS1_11target_archE1200ELNS1_3gpuE4ELNS1_3repE0EEENS1_30default_config_static_selectorELNS0_4arch9wavefront6targetE0EEEvT1_,@function
_ZN7rocprim17ROCPRIM_400000_NS6detail17trampoline_kernelINS0_14default_configENS1_25partition_config_selectorILNS1_17partition_subalgoE5ExNS0_10empty_typeEbEEZZNS1_14partition_implILS5_5ELb0ES3_mN6thrust23THRUST_200600_302600_NS6detail15normal_iteratorINSA_10device_ptrIxEEEEPS6_NSA_18transform_iteratorINSB_9not_fun_tI7is_trueIxEEENSC_INSD_IbEEEENSA_11use_defaultESO_EENS0_5tupleIJNSA_16discard_iteratorISO_EES6_EEENSQ_IJSG_SG_EEES6_PlJS6_EEE10hipError_tPvRmT3_T4_T5_T6_T7_T9_mT8_P12ihipStream_tbDpT10_ENKUlT_T0_E_clISt17integral_constantIbLb1EES1E_IbLb0EEEEDaS1A_S1B_EUlS1A_E_NS1_11comp_targetILNS1_3genE10ELNS1_11target_archE1200ELNS1_3gpuE4ELNS1_3repE0EEENS1_30default_config_static_selectorELNS0_4arch9wavefront6targetE0EEEvT1_: ; @_ZN7rocprim17ROCPRIM_400000_NS6detail17trampoline_kernelINS0_14default_configENS1_25partition_config_selectorILNS1_17partition_subalgoE5ExNS0_10empty_typeEbEEZZNS1_14partition_implILS5_5ELb0ES3_mN6thrust23THRUST_200600_302600_NS6detail15normal_iteratorINSA_10device_ptrIxEEEEPS6_NSA_18transform_iteratorINSB_9not_fun_tI7is_trueIxEEENSC_INSD_IbEEEENSA_11use_defaultESO_EENS0_5tupleIJNSA_16discard_iteratorISO_EES6_EEENSQ_IJSG_SG_EEES6_PlJS6_EEE10hipError_tPvRmT3_T4_T5_T6_T7_T9_mT8_P12ihipStream_tbDpT10_ENKUlT_T0_E_clISt17integral_constantIbLb1EES1E_IbLb0EEEEDaS1A_S1B_EUlS1A_E_NS1_11comp_targetILNS1_3genE10ELNS1_11target_archE1200ELNS1_3gpuE4ELNS1_3repE0EEENS1_30default_config_static_selectorELNS0_4arch9wavefront6targetE0EEEvT1_
; %bb.0:
	s_endpgm
	.section	.rodata,"a",@progbits
	.p2align	6, 0x0
	.amdhsa_kernel _ZN7rocprim17ROCPRIM_400000_NS6detail17trampoline_kernelINS0_14default_configENS1_25partition_config_selectorILNS1_17partition_subalgoE5ExNS0_10empty_typeEbEEZZNS1_14partition_implILS5_5ELb0ES3_mN6thrust23THRUST_200600_302600_NS6detail15normal_iteratorINSA_10device_ptrIxEEEEPS6_NSA_18transform_iteratorINSB_9not_fun_tI7is_trueIxEEENSC_INSD_IbEEEENSA_11use_defaultESO_EENS0_5tupleIJNSA_16discard_iteratorISO_EES6_EEENSQ_IJSG_SG_EEES6_PlJS6_EEE10hipError_tPvRmT3_T4_T5_T6_T7_T9_mT8_P12ihipStream_tbDpT10_ENKUlT_T0_E_clISt17integral_constantIbLb1EES1E_IbLb0EEEEDaS1A_S1B_EUlS1A_E_NS1_11comp_targetILNS1_3genE10ELNS1_11target_archE1200ELNS1_3gpuE4ELNS1_3repE0EEENS1_30default_config_static_selectorELNS0_4arch9wavefront6targetE0EEEvT1_
		.amdhsa_group_segment_fixed_size 0
		.amdhsa_private_segment_fixed_size 0
		.amdhsa_kernarg_size 128
		.amdhsa_user_sgpr_count 2
		.amdhsa_user_sgpr_dispatch_ptr 0
		.amdhsa_user_sgpr_queue_ptr 0
		.amdhsa_user_sgpr_kernarg_segment_ptr 1
		.amdhsa_user_sgpr_dispatch_id 0
		.amdhsa_user_sgpr_private_segment_size 0
		.amdhsa_wavefront_size32 1
		.amdhsa_uses_dynamic_stack 0
		.amdhsa_enable_private_segment 0
		.amdhsa_system_sgpr_workgroup_id_x 1
		.amdhsa_system_sgpr_workgroup_id_y 0
		.amdhsa_system_sgpr_workgroup_id_z 0
		.amdhsa_system_sgpr_workgroup_info 0
		.amdhsa_system_vgpr_workitem_id 0
		.amdhsa_next_free_vgpr 1
		.amdhsa_next_free_sgpr 1
		.amdhsa_reserve_vcc 0
		.amdhsa_float_round_mode_32 0
		.amdhsa_float_round_mode_16_64 0
		.amdhsa_float_denorm_mode_32 3
		.amdhsa_float_denorm_mode_16_64 3
		.amdhsa_fp16_overflow 0
		.amdhsa_workgroup_processor_mode 1
		.amdhsa_memory_ordered 1
		.amdhsa_forward_progress 1
		.amdhsa_inst_pref_size 1
		.amdhsa_round_robin_scheduling 0
		.amdhsa_exception_fp_ieee_invalid_op 0
		.amdhsa_exception_fp_denorm_src 0
		.amdhsa_exception_fp_ieee_div_zero 0
		.amdhsa_exception_fp_ieee_overflow 0
		.amdhsa_exception_fp_ieee_underflow 0
		.amdhsa_exception_fp_ieee_inexact 0
		.amdhsa_exception_int_div_zero 0
	.end_amdhsa_kernel
	.section	.text._ZN7rocprim17ROCPRIM_400000_NS6detail17trampoline_kernelINS0_14default_configENS1_25partition_config_selectorILNS1_17partition_subalgoE5ExNS0_10empty_typeEbEEZZNS1_14partition_implILS5_5ELb0ES3_mN6thrust23THRUST_200600_302600_NS6detail15normal_iteratorINSA_10device_ptrIxEEEEPS6_NSA_18transform_iteratorINSB_9not_fun_tI7is_trueIxEEENSC_INSD_IbEEEENSA_11use_defaultESO_EENS0_5tupleIJNSA_16discard_iteratorISO_EES6_EEENSQ_IJSG_SG_EEES6_PlJS6_EEE10hipError_tPvRmT3_T4_T5_T6_T7_T9_mT8_P12ihipStream_tbDpT10_ENKUlT_T0_E_clISt17integral_constantIbLb1EES1E_IbLb0EEEEDaS1A_S1B_EUlS1A_E_NS1_11comp_targetILNS1_3genE10ELNS1_11target_archE1200ELNS1_3gpuE4ELNS1_3repE0EEENS1_30default_config_static_selectorELNS0_4arch9wavefront6targetE0EEEvT1_,"axG",@progbits,_ZN7rocprim17ROCPRIM_400000_NS6detail17trampoline_kernelINS0_14default_configENS1_25partition_config_selectorILNS1_17partition_subalgoE5ExNS0_10empty_typeEbEEZZNS1_14partition_implILS5_5ELb0ES3_mN6thrust23THRUST_200600_302600_NS6detail15normal_iteratorINSA_10device_ptrIxEEEEPS6_NSA_18transform_iteratorINSB_9not_fun_tI7is_trueIxEEENSC_INSD_IbEEEENSA_11use_defaultESO_EENS0_5tupleIJNSA_16discard_iteratorISO_EES6_EEENSQ_IJSG_SG_EEES6_PlJS6_EEE10hipError_tPvRmT3_T4_T5_T6_T7_T9_mT8_P12ihipStream_tbDpT10_ENKUlT_T0_E_clISt17integral_constantIbLb1EES1E_IbLb0EEEEDaS1A_S1B_EUlS1A_E_NS1_11comp_targetILNS1_3genE10ELNS1_11target_archE1200ELNS1_3gpuE4ELNS1_3repE0EEENS1_30default_config_static_selectorELNS0_4arch9wavefront6targetE0EEEvT1_,comdat
.Lfunc_end2770:
	.size	_ZN7rocprim17ROCPRIM_400000_NS6detail17trampoline_kernelINS0_14default_configENS1_25partition_config_selectorILNS1_17partition_subalgoE5ExNS0_10empty_typeEbEEZZNS1_14partition_implILS5_5ELb0ES3_mN6thrust23THRUST_200600_302600_NS6detail15normal_iteratorINSA_10device_ptrIxEEEEPS6_NSA_18transform_iteratorINSB_9not_fun_tI7is_trueIxEEENSC_INSD_IbEEEENSA_11use_defaultESO_EENS0_5tupleIJNSA_16discard_iteratorISO_EES6_EEENSQ_IJSG_SG_EEES6_PlJS6_EEE10hipError_tPvRmT3_T4_T5_T6_T7_T9_mT8_P12ihipStream_tbDpT10_ENKUlT_T0_E_clISt17integral_constantIbLb1EES1E_IbLb0EEEEDaS1A_S1B_EUlS1A_E_NS1_11comp_targetILNS1_3genE10ELNS1_11target_archE1200ELNS1_3gpuE4ELNS1_3repE0EEENS1_30default_config_static_selectorELNS0_4arch9wavefront6targetE0EEEvT1_, .Lfunc_end2770-_ZN7rocprim17ROCPRIM_400000_NS6detail17trampoline_kernelINS0_14default_configENS1_25partition_config_selectorILNS1_17partition_subalgoE5ExNS0_10empty_typeEbEEZZNS1_14partition_implILS5_5ELb0ES3_mN6thrust23THRUST_200600_302600_NS6detail15normal_iteratorINSA_10device_ptrIxEEEEPS6_NSA_18transform_iteratorINSB_9not_fun_tI7is_trueIxEEENSC_INSD_IbEEEENSA_11use_defaultESO_EENS0_5tupleIJNSA_16discard_iteratorISO_EES6_EEENSQ_IJSG_SG_EEES6_PlJS6_EEE10hipError_tPvRmT3_T4_T5_T6_T7_T9_mT8_P12ihipStream_tbDpT10_ENKUlT_T0_E_clISt17integral_constantIbLb1EES1E_IbLb0EEEEDaS1A_S1B_EUlS1A_E_NS1_11comp_targetILNS1_3genE10ELNS1_11target_archE1200ELNS1_3gpuE4ELNS1_3repE0EEENS1_30default_config_static_selectorELNS0_4arch9wavefront6targetE0EEEvT1_
                                        ; -- End function
	.set _ZN7rocprim17ROCPRIM_400000_NS6detail17trampoline_kernelINS0_14default_configENS1_25partition_config_selectorILNS1_17partition_subalgoE5ExNS0_10empty_typeEbEEZZNS1_14partition_implILS5_5ELb0ES3_mN6thrust23THRUST_200600_302600_NS6detail15normal_iteratorINSA_10device_ptrIxEEEEPS6_NSA_18transform_iteratorINSB_9not_fun_tI7is_trueIxEEENSC_INSD_IbEEEENSA_11use_defaultESO_EENS0_5tupleIJNSA_16discard_iteratorISO_EES6_EEENSQ_IJSG_SG_EEES6_PlJS6_EEE10hipError_tPvRmT3_T4_T5_T6_T7_T9_mT8_P12ihipStream_tbDpT10_ENKUlT_T0_E_clISt17integral_constantIbLb1EES1E_IbLb0EEEEDaS1A_S1B_EUlS1A_E_NS1_11comp_targetILNS1_3genE10ELNS1_11target_archE1200ELNS1_3gpuE4ELNS1_3repE0EEENS1_30default_config_static_selectorELNS0_4arch9wavefront6targetE0EEEvT1_.num_vgpr, 0
	.set _ZN7rocprim17ROCPRIM_400000_NS6detail17trampoline_kernelINS0_14default_configENS1_25partition_config_selectorILNS1_17partition_subalgoE5ExNS0_10empty_typeEbEEZZNS1_14partition_implILS5_5ELb0ES3_mN6thrust23THRUST_200600_302600_NS6detail15normal_iteratorINSA_10device_ptrIxEEEEPS6_NSA_18transform_iteratorINSB_9not_fun_tI7is_trueIxEEENSC_INSD_IbEEEENSA_11use_defaultESO_EENS0_5tupleIJNSA_16discard_iteratorISO_EES6_EEENSQ_IJSG_SG_EEES6_PlJS6_EEE10hipError_tPvRmT3_T4_T5_T6_T7_T9_mT8_P12ihipStream_tbDpT10_ENKUlT_T0_E_clISt17integral_constantIbLb1EES1E_IbLb0EEEEDaS1A_S1B_EUlS1A_E_NS1_11comp_targetILNS1_3genE10ELNS1_11target_archE1200ELNS1_3gpuE4ELNS1_3repE0EEENS1_30default_config_static_selectorELNS0_4arch9wavefront6targetE0EEEvT1_.num_agpr, 0
	.set _ZN7rocprim17ROCPRIM_400000_NS6detail17trampoline_kernelINS0_14default_configENS1_25partition_config_selectorILNS1_17partition_subalgoE5ExNS0_10empty_typeEbEEZZNS1_14partition_implILS5_5ELb0ES3_mN6thrust23THRUST_200600_302600_NS6detail15normal_iteratorINSA_10device_ptrIxEEEEPS6_NSA_18transform_iteratorINSB_9not_fun_tI7is_trueIxEEENSC_INSD_IbEEEENSA_11use_defaultESO_EENS0_5tupleIJNSA_16discard_iteratorISO_EES6_EEENSQ_IJSG_SG_EEES6_PlJS6_EEE10hipError_tPvRmT3_T4_T5_T6_T7_T9_mT8_P12ihipStream_tbDpT10_ENKUlT_T0_E_clISt17integral_constantIbLb1EES1E_IbLb0EEEEDaS1A_S1B_EUlS1A_E_NS1_11comp_targetILNS1_3genE10ELNS1_11target_archE1200ELNS1_3gpuE4ELNS1_3repE0EEENS1_30default_config_static_selectorELNS0_4arch9wavefront6targetE0EEEvT1_.numbered_sgpr, 0
	.set _ZN7rocprim17ROCPRIM_400000_NS6detail17trampoline_kernelINS0_14default_configENS1_25partition_config_selectorILNS1_17partition_subalgoE5ExNS0_10empty_typeEbEEZZNS1_14partition_implILS5_5ELb0ES3_mN6thrust23THRUST_200600_302600_NS6detail15normal_iteratorINSA_10device_ptrIxEEEEPS6_NSA_18transform_iteratorINSB_9not_fun_tI7is_trueIxEEENSC_INSD_IbEEEENSA_11use_defaultESO_EENS0_5tupleIJNSA_16discard_iteratorISO_EES6_EEENSQ_IJSG_SG_EEES6_PlJS6_EEE10hipError_tPvRmT3_T4_T5_T6_T7_T9_mT8_P12ihipStream_tbDpT10_ENKUlT_T0_E_clISt17integral_constantIbLb1EES1E_IbLb0EEEEDaS1A_S1B_EUlS1A_E_NS1_11comp_targetILNS1_3genE10ELNS1_11target_archE1200ELNS1_3gpuE4ELNS1_3repE0EEENS1_30default_config_static_selectorELNS0_4arch9wavefront6targetE0EEEvT1_.num_named_barrier, 0
	.set _ZN7rocprim17ROCPRIM_400000_NS6detail17trampoline_kernelINS0_14default_configENS1_25partition_config_selectorILNS1_17partition_subalgoE5ExNS0_10empty_typeEbEEZZNS1_14partition_implILS5_5ELb0ES3_mN6thrust23THRUST_200600_302600_NS6detail15normal_iteratorINSA_10device_ptrIxEEEEPS6_NSA_18transform_iteratorINSB_9not_fun_tI7is_trueIxEEENSC_INSD_IbEEEENSA_11use_defaultESO_EENS0_5tupleIJNSA_16discard_iteratorISO_EES6_EEENSQ_IJSG_SG_EEES6_PlJS6_EEE10hipError_tPvRmT3_T4_T5_T6_T7_T9_mT8_P12ihipStream_tbDpT10_ENKUlT_T0_E_clISt17integral_constantIbLb1EES1E_IbLb0EEEEDaS1A_S1B_EUlS1A_E_NS1_11comp_targetILNS1_3genE10ELNS1_11target_archE1200ELNS1_3gpuE4ELNS1_3repE0EEENS1_30default_config_static_selectorELNS0_4arch9wavefront6targetE0EEEvT1_.private_seg_size, 0
	.set _ZN7rocprim17ROCPRIM_400000_NS6detail17trampoline_kernelINS0_14default_configENS1_25partition_config_selectorILNS1_17partition_subalgoE5ExNS0_10empty_typeEbEEZZNS1_14partition_implILS5_5ELb0ES3_mN6thrust23THRUST_200600_302600_NS6detail15normal_iteratorINSA_10device_ptrIxEEEEPS6_NSA_18transform_iteratorINSB_9not_fun_tI7is_trueIxEEENSC_INSD_IbEEEENSA_11use_defaultESO_EENS0_5tupleIJNSA_16discard_iteratorISO_EES6_EEENSQ_IJSG_SG_EEES6_PlJS6_EEE10hipError_tPvRmT3_T4_T5_T6_T7_T9_mT8_P12ihipStream_tbDpT10_ENKUlT_T0_E_clISt17integral_constantIbLb1EES1E_IbLb0EEEEDaS1A_S1B_EUlS1A_E_NS1_11comp_targetILNS1_3genE10ELNS1_11target_archE1200ELNS1_3gpuE4ELNS1_3repE0EEENS1_30default_config_static_selectorELNS0_4arch9wavefront6targetE0EEEvT1_.uses_vcc, 0
	.set _ZN7rocprim17ROCPRIM_400000_NS6detail17trampoline_kernelINS0_14default_configENS1_25partition_config_selectorILNS1_17partition_subalgoE5ExNS0_10empty_typeEbEEZZNS1_14partition_implILS5_5ELb0ES3_mN6thrust23THRUST_200600_302600_NS6detail15normal_iteratorINSA_10device_ptrIxEEEEPS6_NSA_18transform_iteratorINSB_9not_fun_tI7is_trueIxEEENSC_INSD_IbEEEENSA_11use_defaultESO_EENS0_5tupleIJNSA_16discard_iteratorISO_EES6_EEENSQ_IJSG_SG_EEES6_PlJS6_EEE10hipError_tPvRmT3_T4_T5_T6_T7_T9_mT8_P12ihipStream_tbDpT10_ENKUlT_T0_E_clISt17integral_constantIbLb1EES1E_IbLb0EEEEDaS1A_S1B_EUlS1A_E_NS1_11comp_targetILNS1_3genE10ELNS1_11target_archE1200ELNS1_3gpuE4ELNS1_3repE0EEENS1_30default_config_static_selectorELNS0_4arch9wavefront6targetE0EEEvT1_.uses_flat_scratch, 0
	.set _ZN7rocprim17ROCPRIM_400000_NS6detail17trampoline_kernelINS0_14default_configENS1_25partition_config_selectorILNS1_17partition_subalgoE5ExNS0_10empty_typeEbEEZZNS1_14partition_implILS5_5ELb0ES3_mN6thrust23THRUST_200600_302600_NS6detail15normal_iteratorINSA_10device_ptrIxEEEEPS6_NSA_18transform_iteratorINSB_9not_fun_tI7is_trueIxEEENSC_INSD_IbEEEENSA_11use_defaultESO_EENS0_5tupleIJNSA_16discard_iteratorISO_EES6_EEENSQ_IJSG_SG_EEES6_PlJS6_EEE10hipError_tPvRmT3_T4_T5_T6_T7_T9_mT8_P12ihipStream_tbDpT10_ENKUlT_T0_E_clISt17integral_constantIbLb1EES1E_IbLb0EEEEDaS1A_S1B_EUlS1A_E_NS1_11comp_targetILNS1_3genE10ELNS1_11target_archE1200ELNS1_3gpuE4ELNS1_3repE0EEENS1_30default_config_static_selectorELNS0_4arch9wavefront6targetE0EEEvT1_.has_dyn_sized_stack, 0
	.set _ZN7rocprim17ROCPRIM_400000_NS6detail17trampoline_kernelINS0_14default_configENS1_25partition_config_selectorILNS1_17partition_subalgoE5ExNS0_10empty_typeEbEEZZNS1_14partition_implILS5_5ELb0ES3_mN6thrust23THRUST_200600_302600_NS6detail15normal_iteratorINSA_10device_ptrIxEEEEPS6_NSA_18transform_iteratorINSB_9not_fun_tI7is_trueIxEEENSC_INSD_IbEEEENSA_11use_defaultESO_EENS0_5tupleIJNSA_16discard_iteratorISO_EES6_EEENSQ_IJSG_SG_EEES6_PlJS6_EEE10hipError_tPvRmT3_T4_T5_T6_T7_T9_mT8_P12ihipStream_tbDpT10_ENKUlT_T0_E_clISt17integral_constantIbLb1EES1E_IbLb0EEEEDaS1A_S1B_EUlS1A_E_NS1_11comp_targetILNS1_3genE10ELNS1_11target_archE1200ELNS1_3gpuE4ELNS1_3repE0EEENS1_30default_config_static_selectorELNS0_4arch9wavefront6targetE0EEEvT1_.has_recursion, 0
	.set _ZN7rocprim17ROCPRIM_400000_NS6detail17trampoline_kernelINS0_14default_configENS1_25partition_config_selectorILNS1_17partition_subalgoE5ExNS0_10empty_typeEbEEZZNS1_14partition_implILS5_5ELb0ES3_mN6thrust23THRUST_200600_302600_NS6detail15normal_iteratorINSA_10device_ptrIxEEEEPS6_NSA_18transform_iteratorINSB_9not_fun_tI7is_trueIxEEENSC_INSD_IbEEEENSA_11use_defaultESO_EENS0_5tupleIJNSA_16discard_iteratorISO_EES6_EEENSQ_IJSG_SG_EEES6_PlJS6_EEE10hipError_tPvRmT3_T4_T5_T6_T7_T9_mT8_P12ihipStream_tbDpT10_ENKUlT_T0_E_clISt17integral_constantIbLb1EES1E_IbLb0EEEEDaS1A_S1B_EUlS1A_E_NS1_11comp_targetILNS1_3genE10ELNS1_11target_archE1200ELNS1_3gpuE4ELNS1_3repE0EEENS1_30default_config_static_selectorELNS0_4arch9wavefront6targetE0EEEvT1_.has_indirect_call, 0
	.section	.AMDGPU.csdata,"",@progbits
; Kernel info:
; codeLenInByte = 4
; TotalNumSgprs: 0
; NumVgprs: 0
; ScratchSize: 0
; MemoryBound: 0
; FloatMode: 240
; IeeeMode: 1
; LDSByteSize: 0 bytes/workgroup (compile time only)
; SGPRBlocks: 0
; VGPRBlocks: 0
; NumSGPRsForWavesPerEU: 1
; NumVGPRsForWavesPerEU: 1
; Occupancy: 16
; WaveLimiterHint : 0
; COMPUTE_PGM_RSRC2:SCRATCH_EN: 0
; COMPUTE_PGM_RSRC2:USER_SGPR: 2
; COMPUTE_PGM_RSRC2:TRAP_HANDLER: 0
; COMPUTE_PGM_RSRC2:TGID_X_EN: 1
; COMPUTE_PGM_RSRC2:TGID_Y_EN: 0
; COMPUTE_PGM_RSRC2:TGID_Z_EN: 0
; COMPUTE_PGM_RSRC2:TIDIG_COMP_CNT: 0
	.section	.text._ZN7rocprim17ROCPRIM_400000_NS6detail17trampoline_kernelINS0_14default_configENS1_25partition_config_selectorILNS1_17partition_subalgoE5ExNS0_10empty_typeEbEEZZNS1_14partition_implILS5_5ELb0ES3_mN6thrust23THRUST_200600_302600_NS6detail15normal_iteratorINSA_10device_ptrIxEEEEPS6_NSA_18transform_iteratorINSB_9not_fun_tI7is_trueIxEEENSC_INSD_IbEEEENSA_11use_defaultESO_EENS0_5tupleIJNSA_16discard_iteratorISO_EES6_EEENSQ_IJSG_SG_EEES6_PlJS6_EEE10hipError_tPvRmT3_T4_T5_T6_T7_T9_mT8_P12ihipStream_tbDpT10_ENKUlT_T0_E_clISt17integral_constantIbLb1EES1E_IbLb0EEEEDaS1A_S1B_EUlS1A_E_NS1_11comp_targetILNS1_3genE9ELNS1_11target_archE1100ELNS1_3gpuE3ELNS1_3repE0EEENS1_30default_config_static_selectorELNS0_4arch9wavefront6targetE0EEEvT1_,"axG",@progbits,_ZN7rocprim17ROCPRIM_400000_NS6detail17trampoline_kernelINS0_14default_configENS1_25partition_config_selectorILNS1_17partition_subalgoE5ExNS0_10empty_typeEbEEZZNS1_14partition_implILS5_5ELb0ES3_mN6thrust23THRUST_200600_302600_NS6detail15normal_iteratorINSA_10device_ptrIxEEEEPS6_NSA_18transform_iteratorINSB_9not_fun_tI7is_trueIxEEENSC_INSD_IbEEEENSA_11use_defaultESO_EENS0_5tupleIJNSA_16discard_iteratorISO_EES6_EEENSQ_IJSG_SG_EEES6_PlJS6_EEE10hipError_tPvRmT3_T4_T5_T6_T7_T9_mT8_P12ihipStream_tbDpT10_ENKUlT_T0_E_clISt17integral_constantIbLb1EES1E_IbLb0EEEEDaS1A_S1B_EUlS1A_E_NS1_11comp_targetILNS1_3genE9ELNS1_11target_archE1100ELNS1_3gpuE3ELNS1_3repE0EEENS1_30default_config_static_selectorELNS0_4arch9wavefront6targetE0EEEvT1_,comdat
	.protected	_ZN7rocprim17ROCPRIM_400000_NS6detail17trampoline_kernelINS0_14default_configENS1_25partition_config_selectorILNS1_17partition_subalgoE5ExNS0_10empty_typeEbEEZZNS1_14partition_implILS5_5ELb0ES3_mN6thrust23THRUST_200600_302600_NS6detail15normal_iteratorINSA_10device_ptrIxEEEEPS6_NSA_18transform_iteratorINSB_9not_fun_tI7is_trueIxEEENSC_INSD_IbEEEENSA_11use_defaultESO_EENS0_5tupleIJNSA_16discard_iteratorISO_EES6_EEENSQ_IJSG_SG_EEES6_PlJS6_EEE10hipError_tPvRmT3_T4_T5_T6_T7_T9_mT8_P12ihipStream_tbDpT10_ENKUlT_T0_E_clISt17integral_constantIbLb1EES1E_IbLb0EEEEDaS1A_S1B_EUlS1A_E_NS1_11comp_targetILNS1_3genE9ELNS1_11target_archE1100ELNS1_3gpuE3ELNS1_3repE0EEENS1_30default_config_static_selectorELNS0_4arch9wavefront6targetE0EEEvT1_ ; -- Begin function _ZN7rocprim17ROCPRIM_400000_NS6detail17trampoline_kernelINS0_14default_configENS1_25partition_config_selectorILNS1_17partition_subalgoE5ExNS0_10empty_typeEbEEZZNS1_14partition_implILS5_5ELb0ES3_mN6thrust23THRUST_200600_302600_NS6detail15normal_iteratorINSA_10device_ptrIxEEEEPS6_NSA_18transform_iteratorINSB_9not_fun_tI7is_trueIxEEENSC_INSD_IbEEEENSA_11use_defaultESO_EENS0_5tupleIJNSA_16discard_iteratorISO_EES6_EEENSQ_IJSG_SG_EEES6_PlJS6_EEE10hipError_tPvRmT3_T4_T5_T6_T7_T9_mT8_P12ihipStream_tbDpT10_ENKUlT_T0_E_clISt17integral_constantIbLb1EES1E_IbLb0EEEEDaS1A_S1B_EUlS1A_E_NS1_11comp_targetILNS1_3genE9ELNS1_11target_archE1100ELNS1_3gpuE3ELNS1_3repE0EEENS1_30default_config_static_selectorELNS0_4arch9wavefront6targetE0EEEvT1_
	.globl	_ZN7rocprim17ROCPRIM_400000_NS6detail17trampoline_kernelINS0_14default_configENS1_25partition_config_selectorILNS1_17partition_subalgoE5ExNS0_10empty_typeEbEEZZNS1_14partition_implILS5_5ELb0ES3_mN6thrust23THRUST_200600_302600_NS6detail15normal_iteratorINSA_10device_ptrIxEEEEPS6_NSA_18transform_iteratorINSB_9not_fun_tI7is_trueIxEEENSC_INSD_IbEEEENSA_11use_defaultESO_EENS0_5tupleIJNSA_16discard_iteratorISO_EES6_EEENSQ_IJSG_SG_EEES6_PlJS6_EEE10hipError_tPvRmT3_T4_T5_T6_T7_T9_mT8_P12ihipStream_tbDpT10_ENKUlT_T0_E_clISt17integral_constantIbLb1EES1E_IbLb0EEEEDaS1A_S1B_EUlS1A_E_NS1_11comp_targetILNS1_3genE9ELNS1_11target_archE1100ELNS1_3gpuE3ELNS1_3repE0EEENS1_30default_config_static_selectorELNS0_4arch9wavefront6targetE0EEEvT1_
	.p2align	8
	.type	_ZN7rocprim17ROCPRIM_400000_NS6detail17trampoline_kernelINS0_14default_configENS1_25partition_config_selectorILNS1_17partition_subalgoE5ExNS0_10empty_typeEbEEZZNS1_14partition_implILS5_5ELb0ES3_mN6thrust23THRUST_200600_302600_NS6detail15normal_iteratorINSA_10device_ptrIxEEEEPS6_NSA_18transform_iteratorINSB_9not_fun_tI7is_trueIxEEENSC_INSD_IbEEEENSA_11use_defaultESO_EENS0_5tupleIJNSA_16discard_iteratorISO_EES6_EEENSQ_IJSG_SG_EEES6_PlJS6_EEE10hipError_tPvRmT3_T4_T5_T6_T7_T9_mT8_P12ihipStream_tbDpT10_ENKUlT_T0_E_clISt17integral_constantIbLb1EES1E_IbLb0EEEEDaS1A_S1B_EUlS1A_E_NS1_11comp_targetILNS1_3genE9ELNS1_11target_archE1100ELNS1_3gpuE3ELNS1_3repE0EEENS1_30default_config_static_selectorELNS0_4arch9wavefront6targetE0EEEvT1_,@function
_ZN7rocprim17ROCPRIM_400000_NS6detail17trampoline_kernelINS0_14default_configENS1_25partition_config_selectorILNS1_17partition_subalgoE5ExNS0_10empty_typeEbEEZZNS1_14partition_implILS5_5ELb0ES3_mN6thrust23THRUST_200600_302600_NS6detail15normal_iteratorINSA_10device_ptrIxEEEEPS6_NSA_18transform_iteratorINSB_9not_fun_tI7is_trueIxEEENSC_INSD_IbEEEENSA_11use_defaultESO_EENS0_5tupleIJNSA_16discard_iteratorISO_EES6_EEENSQ_IJSG_SG_EEES6_PlJS6_EEE10hipError_tPvRmT3_T4_T5_T6_T7_T9_mT8_P12ihipStream_tbDpT10_ENKUlT_T0_E_clISt17integral_constantIbLb1EES1E_IbLb0EEEEDaS1A_S1B_EUlS1A_E_NS1_11comp_targetILNS1_3genE9ELNS1_11target_archE1100ELNS1_3gpuE3ELNS1_3repE0EEENS1_30default_config_static_selectorELNS0_4arch9wavefront6targetE0EEEvT1_: ; @_ZN7rocprim17ROCPRIM_400000_NS6detail17trampoline_kernelINS0_14default_configENS1_25partition_config_selectorILNS1_17partition_subalgoE5ExNS0_10empty_typeEbEEZZNS1_14partition_implILS5_5ELb0ES3_mN6thrust23THRUST_200600_302600_NS6detail15normal_iteratorINSA_10device_ptrIxEEEEPS6_NSA_18transform_iteratorINSB_9not_fun_tI7is_trueIxEEENSC_INSD_IbEEEENSA_11use_defaultESO_EENS0_5tupleIJNSA_16discard_iteratorISO_EES6_EEENSQ_IJSG_SG_EEES6_PlJS6_EEE10hipError_tPvRmT3_T4_T5_T6_T7_T9_mT8_P12ihipStream_tbDpT10_ENKUlT_T0_E_clISt17integral_constantIbLb1EES1E_IbLb0EEEEDaS1A_S1B_EUlS1A_E_NS1_11comp_targetILNS1_3genE9ELNS1_11target_archE1100ELNS1_3gpuE3ELNS1_3repE0EEENS1_30default_config_static_selectorELNS0_4arch9wavefront6targetE0EEEvT1_
; %bb.0:
	.section	.rodata,"a",@progbits
	.p2align	6, 0x0
	.amdhsa_kernel _ZN7rocprim17ROCPRIM_400000_NS6detail17trampoline_kernelINS0_14default_configENS1_25partition_config_selectorILNS1_17partition_subalgoE5ExNS0_10empty_typeEbEEZZNS1_14partition_implILS5_5ELb0ES3_mN6thrust23THRUST_200600_302600_NS6detail15normal_iteratorINSA_10device_ptrIxEEEEPS6_NSA_18transform_iteratorINSB_9not_fun_tI7is_trueIxEEENSC_INSD_IbEEEENSA_11use_defaultESO_EENS0_5tupleIJNSA_16discard_iteratorISO_EES6_EEENSQ_IJSG_SG_EEES6_PlJS6_EEE10hipError_tPvRmT3_T4_T5_T6_T7_T9_mT8_P12ihipStream_tbDpT10_ENKUlT_T0_E_clISt17integral_constantIbLb1EES1E_IbLb0EEEEDaS1A_S1B_EUlS1A_E_NS1_11comp_targetILNS1_3genE9ELNS1_11target_archE1100ELNS1_3gpuE3ELNS1_3repE0EEENS1_30default_config_static_selectorELNS0_4arch9wavefront6targetE0EEEvT1_
		.amdhsa_group_segment_fixed_size 0
		.amdhsa_private_segment_fixed_size 0
		.amdhsa_kernarg_size 128
		.amdhsa_user_sgpr_count 2
		.amdhsa_user_sgpr_dispatch_ptr 0
		.amdhsa_user_sgpr_queue_ptr 0
		.amdhsa_user_sgpr_kernarg_segment_ptr 1
		.amdhsa_user_sgpr_dispatch_id 0
		.amdhsa_user_sgpr_private_segment_size 0
		.amdhsa_wavefront_size32 1
		.amdhsa_uses_dynamic_stack 0
		.amdhsa_enable_private_segment 0
		.amdhsa_system_sgpr_workgroup_id_x 1
		.amdhsa_system_sgpr_workgroup_id_y 0
		.amdhsa_system_sgpr_workgroup_id_z 0
		.amdhsa_system_sgpr_workgroup_info 0
		.amdhsa_system_vgpr_workitem_id 0
		.amdhsa_next_free_vgpr 1
		.amdhsa_next_free_sgpr 1
		.amdhsa_reserve_vcc 0
		.amdhsa_float_round_mode_32 0
		.amdhsa_float_round_mode_16_64 0
		.amdhsa_float_denorm_mode_32 3
		.amdhsa_float_denorm_mode_16_64 3
		.amdhsa_fp16_overflow 0
		.amdhsa_workgroup_processor_mode 1
		.amdhsa_memory_ordered 1
		.amdhsa_forward_progress 1
		.amdhsa_inst_pref_size 0
		.amdhsa_round_robin_scheduling 0
		.amdhsa_exception_fp_ieee_invalid_op 0
		.amdhsa_exception_fp_denorm_src 0
		.amdhsa_exception_fp_ieee_div_zero 0
		.amdhsa_exception_fp_ieee_overflow 0
		.amdhsa_exception_fp_ieee_underflow 0
		.amdhsa_exception_fp_ieee_inexact 0
		.amdhsa_exception_int_div_zero 0
	.end_amdhsa_kernel
	.section	.text._ZN7rocprim17ROCPRIM_400000_NS6detail17trampoline_kernelINS0_14default_configENS1_25partition_config_selectorILNS1_17partition_subalgoE5ExNS0_10empty_typeEbEEZZNS1_14partition_implILS5_5ELb0ES3_mN6thrust23THRUST_200600_302600_NS6detail15normal_iteratorINSA_10device_ptrIxEEEEPS6_NSA_18transform_iteratorINSB_9not_fun_tI7is_trueIxEEENSC_INSD_IbEEEENSA_11use_defaultESO_EENS0_5tupleIJNSA_16discard_iteratorISO_EES6_EEENSQ_IJSG_SG_EEES6_PlJS6_EEE10hipError_tPvRmT3_T4_T5_T6_T7_T9_mT8_P12ihipStream_tbDpT10_ENKUlT_T0_E_clISt17integral_constantIbLb1EES1E_IbLb0EEEEDaS1A_S1B_EUlS1A_E_NS1_11comp_targetILNS1_3genE9ELNS1_11target_archE1100ELNS1_3gpuE3ELNS1_3repE0EEENS1_30default_config_static_selectorELNS0_4arch9wavefront6targetE0EEEvT1_,"axG",@progbits,_ZN7rocprim17ROCPRIM_400000_NS6detail17trampoline_kernelINS0_14default_configENS1_25partition_config_selectorILNS1_17partition_subalgoE5ExNS0_10empty_typeEbEEZZNS1_14partition_implILS5_5ELb0ES3_mN6thrust23THRUST_200600_302600_NS6detail15normal_iteratorINSA_10device_ptrIxEEEEPS6_NSA_18transform_iteratorINSB_9not_fun_tI7is_trueIxEEENSC_INSD_IbEEEENSA_11use_defaultESO_EENS0_5tupleIJNSA_16discard_iteratorISO_EES6_EEENSQ_IJSG_SG_EEES6_PlJS6_EEE10hipError_tPvRmT3_T4_T5_T6_T7_T9_mT8_P12ihipStream_tbDpT10_ENKUlT_T0_E_clISt17integral_constantIbLb1EES1E_IbLb0EEEEDaS1A_S1B_EUlS1A_E_NS1_11comp_targetILNS1_3genE9ELNS1_11target_archE1100ELNS1_3gpuE3ELNS1_3repE0EEENS1_30default_config_static_selectorELNS0_4arch9wavefront6targetE0EEEvT1_,comdat
.Lfunc_end2771:
	.size	_ZN7rocprim17ROCPRIM_400000_NS6detail17trampoline_kernelINS0_14default_configENS1_25partition_config_selectorILNS1_17partition_subalgoE5ExNS0_10empty_typeEbEEZZNS1_14partition_implILS5_5ELb0ES3_mN6thrust23THRUST_200600_302600_NS6detail15normal_iteratorINSA_10device_ptrIxEEEEPS6_NSA_18transform_iteratorINSB_9not_fun_tI7is_trueIxEEENSC_INSD_IbEEEENSA_11use_defaultESO_EENS0_5tupleIJNSA_16discard_iteratorISO_EES6_EEENSQ_IJSG_SG_EEES6_PlJS6_EEE10hipError_tPvRmT3_T4_T5_T6_T7_T9_mT8_P12ihipStream_tbDpT10_ENKUlT_T0_E_clISt17integral_constantIbLb1EES1E_IbLb0EEEEDaS1A_S1B_EUlS1A_E_NS1_11comp_targetILNS1_3genE9ELNS1_11target_archE1100ELNS1_3gpuE3ELNS1_3repE0EEENS1_30default_config_static_selectorELNS0_4arch9wavefront6targetE0EEEvT1_, .Lfunc_end2771-_ZN7rocprim17ROCPRIM_400000_NS6detail17trampoline_kernelINS0_14default_configENS1_25partition_config_selectorILNS1_17partition_subalgoE5ExNS0_10empty_typeEbEEZZNS1_14partition_implILS5_5ELb0ES3_mN6thrust23THRUST_200600_302600_NS6detail15normal_iteratorINSA_10device_ptrIxEEEEPS6_NSA_18transform_iteratorINSB_9not_fun_tI7is_trueIxEEENSC_INSD_IbEEEENSA_11use_defaultESO_EENS0_5tupleIJNSA_16discard_iteratorISO_EES6_EEENSQ_IJSG_SG_EEES6_PlJS6_EEE10hipError_tPvRmT3_T4_T5_T6_T7_T9_mT8_P12ihipStream_tbDpT10_ENKUlT_T0_E_clISt17integral_constantIbLb1EES1E_IbLb0EEEEDaS1A_S1B_EUlS1A_E_NS1_11comp_targetILNS1_3genE9ELNS1_11target_archE1100ELNS1_3gpuE3ELNS1_3repE0EEENS1_30default_config_static_selectorELNS0_4arch9wavefront6targetE0EEEvT1_
                                        ; -- End function
	.set _ZN7rocprim17ROCPRIM_400000_NS6detail17trampoline_kernelINS0_14default_configENS1_25partition_config_selectorILNS1_17partition_subalgoE5ExNS0_10empty_typeEbEEZZNS1_14partition_implILS5_5ELb0ES3_mN6thrust23THRUST_200600_302600_NS6detail15normal_iteratorINSA_10device_ptrIxEEEEPS6_NSA_18transform_iteratorINSB_9not_fun_tI7is_trueIxEEENSC_INSD_IbEEEENSA_11use_defaultESO_EENS0_5tupleIJNSA_16discard_iteratorISO_EES6_EEENSQ_IJSG_SG_EEES6_PlJS6_EEE10hipError_tPvRmT3_T4_T5_T6_T7_T9_mT8_P12ihipStream_tbDpT10_ENKUlT_T0_E_clISt17integral_constantIbLb1EES1E_IbLb0EEEEDaS1A_S1B_EUlS1A_E_NS1_11comp_targetILNS1_3genE9ELNS1_11target_archE1100ELNS1_3gpuE3ELNS1_3repE0EEENS1_30default_config_static_selectorELNS0_4arch9wavefront6targetE0EEEvT1_.num_vgpr, 0
	.set _ZN7rocprim17ROCPRIM_400000_NS6detail17trampoline_kernelINS0_14default_configENS1_25partition_config_selectorILNS1_17partition_subalgoE5ExNS0_10empty_typeEbEEZZNS1_14partition_implILS5_5ELb0ES3_mN6thrust23THRUST_200600_302600_NS6detail15normal_iteratorINSA_10device_ptrIxEEEEPS6_NSA_18transform_iteratorINSB_9not_fun_tI7is_trueIxEEENSC_INSD_IbEEEENSA_11use_defaultESO_EENS0_5tupleIJNSA_16discard_iteratorISO_EES6_EEENSQ_IJSG_SG_EEES6_PlJS6_EEE10hipError_tPvRmT3_T4_T5_T6_T7_T9_mT8_P12ihipStream_tbDpT10_ENKUlT_T0_E_clISt17integral_constantIbLb1EES1E_IbLb0EEEEDaS1A_S1B_EUlS1A_E_NS1_11comp_targetILNS1_3genE9ELNS1_11target_archE1100ELNS1_3gpuE3ELNS1_3repE0EEENS1_30default_config_static_selectorELNS0_4arch9wavefront6targetE0EEEvT1_.num_agpr, 0
	.set _ZN7rocprim17ROCPRIM_400000_NS6detail17trampoline_kernelINS0_14default_configENS1_25partition_config_selectorILNS1_17partition_subalgoE5ExNS0_10empty_typeEbEEZZNS1_14partition_implILS5_5ELb0ES3_mN6thrust23THRUST_200600_302600_NS6detail15normal_iteratorINSA_10device_ptrIxEEEEPS6_NSA_18transform_iteratorINSB_9not_fun_tI7is_trueIxEEENSC_INSD_IbEEEENSA_11use_defaultESO_EENS0_5tupleIJNSA_16discard_iteratorISO_EES6_EEENSQ_IJSG_SG_EEES6_PlJS6_EEE10hipError_tPvRmT3_T4_T5_T6_T7_T9_mT8_P12ihipStream_tbDpT10_ENKUlT_T0_E_clISt17integral_constantIbLb1EES1E_IbLb0EEEEDaS1A_S1B_EUlS1A_E_NS1_11comp_targetILNS1_3genE9ELNS1_11target_archE1100ELNS1_3gpuE3ELNS1_3repE0EEENS1_30default_config_static_selectorELNS0_4arch9wavefront6targetE0EEEvT1_.numbered_sgpr, 0
	.set _ZN7rocprim17ROCPRIM_400000_NS6detail17trampoline_kernelINS0_14default_configENS1_25partition_config_selectorILNS1_17partition_subalgoE5ExNS0_10empty_typeEbEEZZNS1_14partition_implILS5_5ELb0ES3_mN6thrust23THRUST_200600_302600_NS6detail15normal_iteratorINSA_10device_ptrIxEEEEPS6_NSA_18transform_iteratorINSB_9not_fun_tI7is_trueIxEEENSC_INSD_IbEEEENSA_11use_defaultESO_EENS0_5tupleIJNSA_16discard_iteratorISO_EES6_EEENSQ_IJSG_SG_EEES6_PlJS6_EEE10hipError_tPvRmT3_T4_T5_T6_T7_T9_mT8_P12ihipStream_tbDpT10_ENKUlT_T0_E_clISt17integral_constantIbLb1EES1E_IbLb0EEEEDaS1A_S1B_EUlS1A_E_NS1_11comp_targetILNS1_3genE9ELNS1_11target_archE1100ELNS1_3gpuE3ELNS1_3repE0EEENS1_30default_config_static_selectorELNS0_4arch9wavefront6targetE0EEEvT1_.num_named_barrier, 0
	.set _ZN7rocprim17ROCPRIM_400000_NS6detail17trampoline_kernelINS0_14default_configENS1_25partition_config_selectorILNS1_17partition_subalgoE5ExNS0_10empty_typeEbEEZZNS1_14partition_implILS5_5ELb0ES3_mN6thrust23THRUST_200600_302600_NS6detail15normal_iteratorINSA_10device_ptrIxEEEEPS6_NSA_18transform_iteratorINSB_9not_fun_tI7is_trueIxEEENSC_INSD_IbEEEENSA_11use_defaultESO_EENS0_5tupleIJNSA_16discard_iteratorISO_EES6_EEENSQ_IJSG_SG_EEES6_PlJS6_EEE10hipError_tPvRmT3_T4_T5_T6_T7_T9_mT8_P12ihipStream_tbDpT10_ENKUlT_T0_E_clISt17integral_constantIbLb1EES1E_IbLb0EEEEDaS1A_S1B_EUlS1A_E_NS1_11comp_targetILNS1_3genE9ELNS1_11target_archE1100ELNS1_3gpuE3ELNS1_3repE0EEENS1_30default_config_static_selectorELNS0_4arch9wavefront6targetE0EEEvT1_.private_seg_size, 0
	.set _ZN7rocprim17ROCPRIM_400000_NS6detail17trampoline_kernelINS0_14default_configENS1_25partition_config_selectorILNS1_17partition_subalgoE5ExNS0_10empty_typeEbEEZZNS1_14partition_implILS5_5ELb0ES3_mN6thrust23THRUST_200600_302600_NS6detail15normal_iteratorINSA_10device_ptrIxEEEEPS6_NSA_18transform_iteratorINSB_9not_fun_tI7is_trueIxEEENSC_INSD_IbEEEENSA_11use_defaultESO_EENS0_5tupleIJNSA_16discard_iteratorISO_EES6_EEENSQ_IJSG_SG_EEES6_PlJS6_EEE10hipError_tPvRmT3_T4_T5_T6_T7_T9_mT8_P12ihipStream_tbDpT10_ENKUlT_T0_E_clISt17integral_constantIbLb1EES1E_IbLb0EEEEDaS1A_S1B_EUlS1A_E_NS1_11comp_targetILNS1_3genE9ELNS1_11target_archE1100ELNS1_3gpuE3ELNS1_3repE0EEENS1_30default_config_static_selectorELNS0_4arch9wavefront6targetE0EEEvT1_.uses_vcc, 0
	.set _ZN7rocprim17ROCPRIM_400000_NS6detail17trampoline_kernelINS0_14default_configENS1_25partition_config_selectorILNS1_17partition_subalgoE5ExNS0_10empty_typeEbEEZZNS1_14partition_implILS5_5ELb0ES3_mN6thrust23THRUST_200600_302600_NS6detail15normal_iteratorINSA_10device_ptrIxEEEEPS6_NSA_18transform_iteratorINSB_9not_fun_tI7is_trueIxEEENSC_INSD_IbEEEENSA_11use_defaultESO_EENS0_5tupleIJNSA_16discard_iteratorISO_EES6_EEENSQ_IJSG_SG_EEES6_PlJS6_EEE10hipError_tPvRmT3_T4_T5_T6_T7_T9_mT8_P12ihipStream_tbDpT10_ENKUlT_T0_E_clISt17integral_constantIbLb1EES1E_IbLb0EEEEDaS1A_S1B_EUlS1A_E_NS1_11comp_targetILNS1_3genE9ELNS1_11target_archE1100ELNS1_3gpuE3ELNS1_3repE0EEENS1_30default_config_static_selectorELNS0_4arch9wavefront6targetE0EEEvT1_.uses_flat_scratch, 0
	.set _ZN7rocprim17ROCPRIM_400000_NS6detail17trampoline_kernelINS0_14default_configENS1_25partition_config_selectorILNS1_17partition_subalgoE5ExNS0_10empty_typeEbEEZZNS1_14partition_implILS5_5ELb0ES3_mN6thrust23THRUST_200600_302600_NS6detail15normal_iteratorINSA_10device_ptrIxEEEEPS6_NSA_18transform_iteratorINSB_9not_fun_tI7is_trueIxEEENSC_INSD_IbEEEENSA_11use_defaultESO_EENS0_5tupleIJNSA_16discard_iteratorISO_EES6_EEENSQ_IJSG_SG_EEES6_PlJS6_EEE10hipError_tPvRmT3_T4_T5_T6_T7_T9_mT8_P12ihipStream_tbDpT10_ENKUlT_T0_E_clISt17integral_constantIbLb1EES1E_IbLb0EEEEDaS1A_S1B_EUlS1A_E_NS1_11comp_targetILNS1_3genE9ELNS1_11target_archE1100ELNS1_3gpuE3ELNS1_3repE0EEENS1_30default_config_static_selectorELNS0_4arch9wavefront6targetE0EEEvT1_.has_dyn_sized_stack, 0
	.set _ZN7rocprim17ROCPRIM_400000_NS6detail17trampoline_kernelINS0_14default_configENS1_25partition_config_selectorILNS1_17partition_subalgoE5ExNS0_10empty_typeEbEEZZNS1_14partition_implILS5_5ELb0ES3_mN6thrust23THRUST_200600_302600_NS6detail15normal_iteratorINSA_10device_ptrIxEEEEPS6_NSA_18transform_iteratorINSB_9not_fun_tI7is_trueIxEEENSC_INSD_IbEEEENSA_11use_defaultESO_EENS0_5tupleIJNSA_16discard_iteratorISO_EES6_EEENSQ_IJSG_SG_EEES6_PlJS6_EEE10hipError_tPvRmT3_T4_T5_T6_T7_T9_mT8_P12ihipStream_tbDpT10_ENKUlT_T0_E_clISt17integral_constantIbLb1EES1E_IbLb0EEEEDaS1A_S1B_EUlS1A_E_NS1_11comp_targetILNS1_3genE9ELNS1_11target_archE1100ELNS1_3gpuE3ELNS1_3repE0EEENS1_30default_config_static_selectorELNS0_4arch9wavefront6targetE0EEEvT1_.has_recursion, 0
	.set _ZN7rocprim17ROCPRIM_400000_NS6detail17trampoline_kernelINS0_14default_configENS1_25partition_config_selectorILNS1_17partition_subalgoE5ExNS0_10empty_typeEbEEZZNS1_14partition_implILS5_5ELb0ES3_mN6thrust23THRUST_200600_302600_NS6detail15normal_iteratorINSA_10device_ptrIxEEEEPS6_NSA_18transform_iteratorINSB_9not_fun_tI7is_trueIxEEENSC_INSD_IbEEEENSA_11use_defaultESO_EENS0_5tupleIJNSA_16discard_iteratorISO_EES6_EEENSQ_IJSG_SG_EEES6_PlJS6_EEE10hipError_tPvRmT3_T4_T5_T6_T7_T9_mT8_P12ihipStream_tbDpT10_ENKUlT_T0_E_clISt17integral_constantIbLb1EES1E_IbLb0EEEEDaS1A_S1B_EUlS1A_E_NS1_11comp_targetILNS1_3genE9ELNS1_11target_archE1100ELNS1_3gpuE3ELNS1_3repE0EEENS1_30default_config_static_selectorELNS0_4arch9wavefront6targetE0EEEvT1_.has_indirect_call, 0
	.section	.AMDGPU.csdata,"",@progbits
; Kernel info:
; codeLenInByte = 0
; TotalNumSgprs: 0
; NumVgprs: 0
; ScratchSize: 0
; MemoryBound: 0
; FloatMode: 240
; IeeeMode: 1
; LDSByteSize: 0 bytes/workgroup (compile time only)
; SGPRBlocks: 0
; VGPRBlocks: 0
; NumSGPRsForWavesPerEU: 1
; NumVGPRsForWavesPerEU: 1
; Occupancy: 16
; WaveLimiterHint : 0
; COMPUTE_PGM_RSRC2:SCRATCH_EN: 0
; COMPUTE_PGM_RSRC2:USER_SGPR: 2
; COMPUTE_PGM_RSRC2:TRAP_HANDLER: 0
; COMPUTE_PGM_RSRC2:TGID_X_EN: 1
; COMPUTE_PGM_RSRC2:TGID_Y_EN: 0
; COMPUTE_PGM_RSRC2:TGID_Z_EN: 0
; COMPUTE_PGM_RSRC2:TIDIG_COMP_CNT: 0
	.section	.text._ZN7rocprim17ROCPRIM_400000_NS6detail17trampoline_kernelINS0_14default_configENS1_25partition_config_selectorILNS1_17partition_subalgoE5ExNS0_10empty_typeEbEEZZNS1_14partition_implILS5_5ELb0ES3_mN6thrust23THRUST_200600_302600_NS6detail15normal_iteratorINSA_10device_ptrIxEEEEPS6_NSA_18transform_iteratorINSB_9not_fun_tI7is_trueIxEEENSC_INSD_IbEEEENSA_11use_defaultESO_EENS0_5tupleIJNSA_16discard_iteratorISO_EES6_EEENSQ_IJSG_SG_EEES6_PlJS6_EEE10hipError_tPvRmT3_T4_T5_T6_T7_T9_mT8_P12ihipStream_tbDpT10_ENKUlT_T0_E_clISt17integral_constantIbLb1EES1E_IbLb0EEEEDaS1A_S1B_EUlS1A_E_NS1_11comp_targetILNS1_3genE8ELNS1_11target_archE1030ELNS1_3gpuE2ELNS1_3repE0EEENS1_30default_config_static_selectorELNS0_4arch9wavefront6targetE0EEEvT1_,"axG",@progbits,_ZN7rocprim17ROCPRIM_400000_NS6detail17trampoline_kernelINS0_14default_configENS1_25partition_config_selectorILNS1_17partition_subalgoE5ExNS0_10empty_typeEbEEZZNS1_14partition_implILS5_5ELb0ES3_mN6thrust23THRUST_200600_302600_NS6detail15normal_iteratorINSA_10device_ptrIxEEEEPS6_NSA_18transform_iteratorINSB_9not_fun_tI7is_trueIxEEENSC_INSD_IbEEEENSA_11use_defaultESO_EENS0_5tupleIJNSA_16discard_iteratorISO_EES6_EEENSQ_IJSG_SG_EEES6_PlJS6_EEE10hipError_tPvRmT3_T4_T5_T6_T7_T9_mT8_P12ihipStream_tbDpT10_ENKUlT_T0_E_clISt17integral_constantIbLb1EES1E_IbLb0EEEEDaS1A_S1B_EUlS1A_E_NS1_11comp_targetILNS1_3genE8ELNS1_11target_archE1030ELNS1_3gpuE2ELNS1_3repE0EEENS1_30default_config_static_selectorELNS0_4arch9wavefront6targetE0EEEvT1_,comdat
	.protected	_ZN7rocprim17ROCPRIM_400000_NS6detail17trampoline_kernelINS0_14default_configENS1_25partition_config_selectorILNS1_17partition_subalgoE5ExNS0_10empty_typeEbEEZZNS1_14partition_implILS5_5ELb0ES3_mN6thrust23THRUST_200600_302600_NS6detail15normal_iteratorINSA_10device_ptrIxEEEEPS6_NSA_18transform_iteratorINSB_9not_fun_tI7is_trueIxEEENSC_INSD_IbEEEENSA_11use_defaultESO_EENS0_5tupleIJNSA_16discard_iteratorISO_EES6_EEENSQ_IJSG_SG_EEES6_PlJS6_EEE10hipError_tPvRmT3_T4_T5_T6_T7_T9_mT8_P12ihipStream_tbDpT10_ENKUlT_T0_E_clISt17integral_constantIbLb1EES1E_IbLb0EEEEDaS1A_S1B_EUlS1A_E_NS1_11comp_targetILNS1_3genE8ELNS1_11target_archE1030ELNS1_3gpuE2ELNS1_3repE0EEENS1_30default_config_static_selectorELNS0_4arch9wavefront6targetE0EEEvT1_ ; -- Begin function _ZN7rocprim17ROCPRIM_400000_NS6detail17trampoline_kernelINS0_14default_configENS1_25partition_config_selectorILNS1_17partition_subalgoE5ExNS0_10empty_typeEbEEZZNS1_14partition_implILS5_5ELb0ES3_mN6thrust23THRUST_200600_302600_NS6detail15normal_iteratorINSA_10device_ptrIxEEEEPS6_NSA_18transform_iteratorINSB_9not_fun_tI7is_trueIxEEENSC_INSD_IbEEEENSA_11use_defaultESO_EENS0_5tupleIJNSA_16discard_iteratorISO_EES6_EEENSQ_IJSG_SG_EEES6_PlJS6_EEE10hipError_tPvRmT3_T4_T5_T6_T7_T9_mT8_P12ihipStream_tbDpT10_ENKUlT_T0_E_clISt17integral_constantIbLb1EES1E_IbLb0EEEEDaS1A_S1B_EUlS1A_E_NS1_11comp_targetILNS1_3genE8ELNS1_11target_archE1030ELNS1_3gpuE2ELNS1_3repE0EEENS1_30default_config_static_selectorELNS0_4arch9wavefront6targetE0EEEvT1_
	.globl	_ZN7rocprim17ROCPRIM_400000_NS6detail17trampoline_kernelINS0_14default_configENS1_25partition_config_selectorILNS1_17partition_subalgoE5ExNS0_10empty_typeEbEEZZNS1_14partition_implILS5_5ELb0ES3_mN6thrust23THRUST_200600_302600_NS6detail15normal_iteratorINSA_10device_ptrIxEEEEPS6_NSA_18transform_iteratorINSB_9not_fun_tI7is_trueIxEEENSC_INSD_IbEEEENSA_11use_defaultESO_EENS0_5tupleIJNSA_16discard_iteratorISO_EES6_EEENSQ_IJSG_SG_EEES6_PlJS6_EEE10hipError_tPvRmT3_T4_T5_T6_T7_T9_mT8_P12ihipStream_tbDpT10_ENKUlT_T0_E_clISt17integral_constantIbLb1EES1E_IbLb0EEEEDaS1A_S1B_EUlS1A_E_NS1_11comp_targetILNS1_3genE8ELNS1_11target_archE1030ELNS1_3gpuE2ELNS1_3repE0EEENS1_30default_config_static_selectorELNS0_4arch9wavefront6targetE0EEEvT1_
	.p2align	8
	.type	_ZN7rocprim17ROCPRIM_400000_NS6detail17trampoline_kernelINS0_14default_configENS1_25partition_config_selectorILNS1_17partition_subalgoE5ExNS0_10empty_typeEbEEZZNS1_14partition_implILS5_5ELb0ES3_mN6thrust23THRUST_200600_302600_NS6detail15normal_iteratorINSA_10device_ptrIxEEEEPS6_NSA_18transform_iteratorINSB_9not_fun_tI7is_trueIxEEENSC_INSD_IbEEEENSA_11use_defaultESO_EENS0_5tupleIJNSA_16discard_iteratorISO_EES6_EEENSQ_IJSG_SG_EEES6_PlJS6_EEE10hipError_tPvRmT3_T4_T5_T6_T7_T9_mT8_P12ihipStream_tbDpT10_ENKUlT_T0_E_clISt17integral_constantIbLb1EES1E_IbLb0EEEEDaS1A_S1B_EUlS1A_E_NS1_11comp_targetILNS1_3genE8ELNS1_11target_archE1030ELNS1_3gpuE2ELNS1_3repE0EEENS1_30default_config_static_selectorELNS0_4arch9wavefront6targetE0EEEvT1_,@function
_ZN7rocprim17ROCPRIM_400000_NS6detail17trampoline_kernelINS0_14default_configENS1_25partition_config_selectorILNS1_17partition_subalgoE5ExNS0_10empty_typeEbEEZZNS1_14partition_implILS5_5ELb0ES3_mN6thrust23THRUST_200600_302600_NS6detail15normal_iteratorINSA_10device_ptrIxEEEEPS6_NSA_18transform_iteratorINSB_9not_fun_tI7is_trueIxEEENSC_INSD_IbEEEENSA_11use_defaultESO_EENS0_5tupleIJNSA_16discard_iteratorISO_EES6_EEENSQ_IJSG_SG_EEES6_PlJS6_EEE10hipError_tPvRmT3_T4_T5_T6_T7_T9_mT8_P12ihipStream_tbDpT10_ENKUlT_T0_E_clISt17integral_constantIbLb1EES1E_IbLb0EEEEDaS1A_S1B_EUlS1A_E_NS1_11comp_targetILNS1_3genE8ELNS1_11target_archE1030ELNS1_3gpuE2ELNS1_3repE0EEENS1_30default_config_static_selectorELNS0_4arch9wavefront6targetE0EEEvT1_: ; @_ZN7rocprim17ROCPRIM_400000_NS6detail17trampoline_kernelINS0_14default_configENS1_25partition_config_selectorILNS1_17partition_subalgoE5ExNS0_10empty_typeEbEEZZNS1_14partition_implILS5_5ELb0ES3_mN6thrust23THRUST_200600_302600_NS6detail15normal_iteratorINSA_10device_ptrIxEEEEPS6_NSA_18transform_iteratorINSB_9not_fun_tI7is_trueIxEEENSC_INSD_IbEEEENSA_11use_defaultESO_EENS0_5tupleIJNSA_16discard_iteratorISO_EES6_EEENSQ_IJSG_SG_EEES6_PlJS6_EEE10hipError_tPvRmT3_T4_T5_T6_T7_T9_mT8_P12ihipStream_tbDpT10_ENKUlT_T0_E_clISt17integral_constantIbLb1EES1E_IbLb0EEEEDaS1A_S1B_EUlS1A_E_NS1_11comp_targetILNS1_3genE8ELNS1_11target_archE1030ELNS1_3gpuE2ELNS1_3repE0EEENS1_30default_config_static_selectorELNS0_4arch9wavefront6targetE0EEEvT1_
; %bb.0:
	.section	.rodata,"a",@progbits
	.p2align	6, 0x0
	.amdhsa_kernel _ZN7rocprim17ROCPRIM_400000_NS6detail17trampoline_kernelINS0_14default_configENS1_25partition_config_selectorILNS1_17partition_subalgoE5ExNS0_10empty_typeEbEEZZNS1_14partition_implILS5_5ELb0ES3_mN6thrust23THRUST_200600_302600_NS6detail15normal_iteratorINSA_10device_ptrIxEEEEPS6_NSA_18transform_iteratorINSB_9not_fun_tI7is_trueIxEEENSC_INSD_IbEEEENSA_11use_defaultESO_EENS0_5tupleIJNSA_16discard_iteratorISO_EES6_EEENSQ_IJSG_SG_EEES6_PlJS6_EEE10hipError_tPvRmT3_T4_T5_T6_T7_T9_mT8_P12ihipStream_tbDpT10_ENKUlT_T0_E_clISt17integral_constantIbLb1EES1E_IbLb0EEEEDaS1A_S1B_EUlS1A_E_NS1_11comp_targetILNS1_3genE8ELNS1_11target_archE1030ELNS1_3gpuE2ELNS1_3repE0EEENS1_30default_config_static_selectorELNS0_4arch9wavefront6targetE0EEEvT1_
		.amdhsa_group_segment_fixed_size 0
		.amdhsa_private_segment_fixed_size 0
		.amdhsa_kernarg_size 128
		.amdhsa_user_sgpr_count 2
		.amdhsa_user_sgpr_dispatch_ptr 0
		.amdhsa_user_sgpr_queue_ptr 0
		.amdhsa_user_sgpr_kernarg_segment_ptr 1
		.amdhsa_user_sgpr_dispatch_id 0
		.amdhsa_user_sgpr_private_segment_size 0
		.amdhsa_wavefront_size32 1
		.amdhsa_uses_dynamic_stack 0
		.amdhsa_enable_private_segment 0
		.amdhsa_system_sgpr_workgroup_id_x 1
		.amdhsa_system_sgpr_workgroup_id_y 0
		.amdhsa_system_sgpr_workgroup_id_z 0
		.amdhsa_system_sgpr_workgroup_info 0
		.amdhsa_system_vgpr_workitem_id 0
		.amdhsa_next_free_vgpr 1
		.amdhsa_next_free_sgpr 1
		.amdhsa_reserve_vcc 0
		.amdhsa_float_round_mode_32 0
		.amdhsa_float_round_mode_16_64 0
		.amdhsa_float_denorm_mode_32 3
		.amdhsa_float_denorm_mode_16_64 3
		.amdhsa_fp16_overflow 0
		.amdhsa_workgroup_processor_mode 1
		.amdhsa_memory_ordered 1
		.amdhsa_forward_progress 1
		.amdhsa_inst_pref_size 0
		.amdhsa_round_robin_scheduling 0
		.amdhsa_exception_fp_ieee_invalid_op 0
		.amdhsa_exception_fp_denorm_src 0
		.amdhsa_exception_fp_ieee_div_zero 0
		.amdhsa_exception_fp_ieee_overflow 0
		.amdhsa_exception_fp_ieee_underflow 0
		.amdhsa_exception_fp_ieee_inexact 0
		.amdhsa_exception_int_div_zero 0
	.end_amdhsa_kernel
	.section	.text._ZN7rocprim17ROCPRIM_400000_NS6detail17trampoline_kernelINS0_14default_configENS1_25partition_config_selectorILNS1_17partition_subalgoE5ExNS0_10empty_typeEbEEZZNS1_14partition_implILS5_5ELb0ES3_mN6thrust23THRUST_200600_302600_NS6detail15normal_iteratorINSA_10device_ptrIxEEEEPS6_NSA_18transform_iteratorINSB_9not_fun_tI7is_trueIxEEENSC_INSD_IbEEEENSA_11use_defaultESO_EENS0_5tupleIJNSA_16discard_iteratorISO_EES6_EEENSQ_IJSG_SG_EEES6_PlJS6_EEE10hipError_tPvRmT3_T4_T5_T6_T7_T9_mT8_P12ihipStream_tbDpT10_ENKUlT_T0_E_clISt17integral_constantIbLb1EES1E_IbLb0EEEEDaS1A_S1B_EUlS1A_E_NS1_11comp_targetILNS1_3genE8ELNS1_11target_archE1030ELNS1_3gpuE2ELNS1_3repE0EEENS1_30default_config_static_selectorELNS0_4arch9wavefront6targetE0EEEvT1_,"axG",@progbits,_ZN7rocprim17ROCPRIM_400000_NS6detail17trampoline_kernelINS0_14default_configENS1_25partition_config_selectorILNS1_17partition_subalgoE5ExNS0_10empty_typeEbEEZZNS1_14partition_implILS5_5ELb0ES3_mN6thrust23THRUST_200600_302600_NS6detail15normal_iteratorINSA_10device_ptrIxEEEEPS6_NSA_18transform_iteratorINSB_9not_fun_tI7is_trueIxEEENSC_INSD_IbEEEENSA_11use_defaultESO_EENS0_5tupleIJNSA_16discard_iteratorISO_EES6_EEENSQ_IJSG_SG_EEES6_PlJS6_EEE10hipError_tPvRmT3_T4_T5_T6_T7_T9_mT8_P12ihipStream_tbDpT10_ENKUlT_T0_E_clISt17integral_constantIbLb1EES1E_IbLb0EEEEDaS1A_S1B_EUlS1A_E_NS1_11comp_targetILNS1_3genE8ELNS1_11target_archE1030ELNS1_3gpuE2ELNS1_3repE0EEENS1_30default_config_static_selectorELNS0_4arch9wavefront6targetE0EEEvT1_,comdat
.Lfunc_end2772:
	.size	_ZN7rocprim17ROCPRIM_400000_NS6detail17trampoline_kernelINS0_14default_configENS1_25partition_config_selectorILNS1_17partition_subalgoE5ExNS0_10empty_typeEbEEZZNS1_14partition_implILS5_5ELb0ES3_mN6thrust23THRUST_200600_302600_NS6detail15normal_iteratorINSA_10device_ptrIxEEEEPS6_NSA_18transform_iteratorINSB_9not_fun_tI7is_trueIxEEENSC_INSD_IbEEEENSA_11use_defaultESO_EENS0_5tupleIJNSA_16discard_iteratorISO_EES6_EEENSQ_IJSG_SG_EEES6_PlJS6_EEE10hipError_tPvRmT3_T4_T5_T6_T7_T9_mT8_P12ihipStream_tbDpT10_ENKUlT_T0_E_clISt17integral_constantIbLb1EES1E_IbLb0EEEEDaS1A_S1B_EUlS1A_E_NS1_11comp_targetILNS1_3genE8ELNS1_11target_archE1030ELNS1_3gpuE2ELNS1_3repE0EEENS1_30default_config_static_selectorELNS0_4arch9wavefront6targetE0EEEvT1_, .Lfunc_end2772-_ZN7rocprim17ROCPRIM_400000_NS6detail17trampoline_kernelINS0_14default_configENS1_25partition_config_selectorILNS1_17partition_subalgoE5ExNS0_10empty_typeEbEEZZNS1_14partition_implILS5_5ELb0ES3_mN6thrust23THRUST_200600_302600_NS6detail15normal_iteratorINSA_10device_ptrIxEEEEPS6_NSA_18transform_iteratorINSB_9not_fun_tI7is_trueIxEEENSC_INSD_IbEEEENSA_11use_defaultESO_EENS0_5tupleIJNSA_16discard_iteratorISO_EES6_EEENSQ_IJSG_SG_EEES6_PlJS6_EEE10hipError_tPvRmT3_T4_T5_T6_T7_T9_mT8_P12ihipStream_tbDpT10_ENKUlT_T0_E_clISt17integral_constantIbLb1EES1E_IbLb0EEEEDaS1A_S1B_EUlS1A_E_NS1_11comp_targetILNS1_3genE8ELNS1_11target_archE1030ELNS1_3gpuE2ELNS1_3repE0EEENS1_30default_config_static_selectorELNS0_4arch9wavefront6targetE0EEEvT1_
                                        ; -- End function
	.set _ZN7rocprim17ROCPRIM_400000_NS6detail17trampoline_kernelINS0_14default_configENS1_25partition_config_selectorILNS1_17partition_subalgoE5ExNS0_10empty_typeEbEEZZNS1_14partition_implILS5_5ELb0ES3_mN6thrust23THRUST_200600_302600_NS6detail15normal_iteratorINSA_10device_ptrIxEEEEPS6_NSA_18transform_iteratorINSB_9not_fun_tI7is_trueIxEEENSC_INSD_IbEEEENSA_11use_defaultESO_EENS0_5tupleIJNSA_16discard_iteratorISO_EES6_EEENSQ_IJSG_SG_EEES6_PlJS6_EEE10hipError_tPvRmT3_T4_T5_T6_T7_T9_mT8_P12ihipStream_tbDpT10_ENKUlT_T0_E_clISt17integral_constantIbLb1EES1E_IbLb0EEEEDaS1A_S1B_EUlS1A_E_NS1_11comp_targetILNS1_3genE8ELNS1_11target_archE1030ELNS1_3gpuE2ELNS1_3repE0EEENS1_30default_config_static_selectorELNS0_4arch9wavefront6targetE0EEEvT1_.num_vgpr, 0
	.set _ZN7rocprim17ROCPRIM_400000_NS6detail17trampoline_kernelINS0_14default_configENS1_25partition_config_selectorILNS1_17partition_subalgoE5ExNS0_10empty_typeEbEEZZNS1_14partition_implILS5_5ELb0ES3_mN6thrust23THRUST_200600_302600_NS6detail15normal_iteratorINSA_10device_ptrIxEEEEPS6_NSA_18transform_iteratorINSB_9not_fun_tI7is_trueIxEEENSC_INSD_IbEEEENSA_11use_defaultESO_EENS0_5tupleIJNSA_16discard_iteratorISO_EES6_EEENSQ_IJSG_SG_EEES6_PlJS6_EEE10hipError_tPvRmT3_T4_T5_T6_T7_T9_mT8_P12ihipStream_tbDpT10_ENKUlT_T0_E_clISt17integral_constantIbLb1EES1E_IbLb0EEEEDaS1A_S1B_EUlS1A_E_NS1_11comp_targetILNS1_3genE8ELNS1_11target_archE1030ELNS1_3gpuE2ELNS1_3repE0EEENS1_30default_config_static_selectorELNS0_4arch9wavefront6targetE0EEEvT1_.num_agpr, 0
	.set _ZN7rocprim17ROCPRIM_400000_NS6detail17trampoline_kernelINS0_14default_configENS1_25partition_config_selectorILNS1_17partition_subalgoE5ExNS0_10empty_typeEbEEZZNS1_14partition_implILS5_5ELb0ES3_mN6thrust23THRUST_200600_302600_NS6detail15normal_iteratorINSA_10device_ptrIxEEEEPS6_NSA_18transform_iteratorINSB_9not_fun_tI7is_trueIxEEENSC_INSD_IbEEEENSA_11use_defaultESO_EENS0_5tupleIJNSA_16discard_iteratorISO_EES6_EEENSQ_IJSG_SG_EEES6_PlJS6_EEE10hipError_tPvRmT3_T4_T5_T6_T7_T9_mT8_P12ihipStream_tbDpT10_ENKUlT_T0_E_clISt17integral_constantIbLb1EES1E_IbLb0EEEEDaS1A_S1B_EUlS1A_E_NS1_11comp_targetILNS1_3genE8ELNS1_11target_archE1030ELNS1_3gpuE2ELNS1_3repE0EEENS1_30default_config_static_selectorELNS0_4arch9wavefront6targetE0EEEvT1_.numbered_sgpr, 0
	.set _ZN7rocprim17ROCPRIM_400000_NS6detail17trampoline_kernelINS0_14default_configENS1_25partition_config_selectorILNS1_17partition_subalgoE5ExNS0_10empty_typeEbEEZZNS1_14partition_implILS5_5ELb0ES3_mN6thrust23THRUST_200600_302600_NS6detail15normal_iteratorINSA_10device_ptrIxEEEEPS6_NSA_18transform_iteratorINSB_9not_fun_tI7is_trueIxEEENSC_INSD_IbEEEENSA_11use_defaultESO_EENS0_5tupleIJNSA_16discard_iteratorISO_EES6_EEENSQ_IJSG_SG_EEES6_PlJS6_EEE10hipError_tPvRmT3_T4_T5_T6_T7_T9_mT8_P12ihipStream_tbDpT10_ENKUlT_T0_E_clISt17integral_constantIbLb1EES1E_IbLb0EEEEDaS1A_S1B_EUlS1A_E_NS1_11comp_targetILNS1_3genE8ELNS1_11target_archE1030ELNS1_3gpuE2ELNS1_3repE0EEENS1_30default_config_static_selectorELNS0_4arch9wavefront6targetE0EEEvT1_.num_named_barrier, 0
	.set _ZN7rocprim17ROCPRIM_400000_NS6detail17trampoline_kernelINS0_14default_configENS1_25partition_config_selectorILNS1_17partition_subalgoE5ExNS0_10empty_typeEbEEZZNS1_14partition_implILS5_5ELb0ES3_mN6thrust23THRUST_200600_302600_NS6detail15normal_iteratorINSA_10device_ptrIxEEEEPS6_NSA_18transform_iteratorINSB_9not_fun_tI7is_trueIxEEENSC_INSD_IbEEEENSA_11use_defaultESO_EENS0_5tupleIJNSA_16discard_iteratorISO_EES6_EEENSQ_IJSG_SG_EEES6_PlJS6_EEE10hipError_tPvRmT3_T4_T5_T6_T7_T9_mT8_P12ihipStream_tbDpT10_ENKUlT_T0_E_clISt17integral_constantIbLb1EES1E_IbLb0EEEEDaS1A_S1B_EUlS1A_E_NS1_11comp_targetILNS1_3genE8ELNS1_11target_archE1030ELNS1_3gpuE2ELNS1_3repE0EEENS1_30default_config_static_selectorELNS0_4arch9wavefront6targetE0EEEvT1_.private_seg_size, 0
	.set _ZN7rocprim17ROCPRIM_400000_NS6detail17trampoline_kernelINS0_14default_configENS1_25partition_config_selectorILNS1_17partition_subalgoE5ExNS0_10empty_typeEbEEZZNS1_14partition_implILS5_5ELb0ES3_mN6thrust23THRUST_200600_302600_NS6detail15normal_iteratorINSA_10device_ptrIxEEEEPS6_NSA_18transform_iteratorINSB_9not_fun_tI7is_trueIxEEENSC_INSD_IbEEEENSA_11use_defaultESO_EENS0_5tupleIJNSA_16discard_iteratorISO_EES6_EEENSQ_IJSG_SG_EEES6_PlJS6_EEE10hipError_tPvRmT3_T4_T5_T6_T7_T9_mT8_P12ihipStream_tbDpT10_ENKUlT_T0_E_clISt17integral_constantIbLb1EES1E_IbLb0EEEEDaS1A_S1B_EUlS1A_E_NS1_11comp_targetILNS1_3genE8ELNS1_11target_archE1030ELNS1_3gpuE2ELNS1_3repE0EEENS1_30default_config_static_selectorELNS0_4arch9wavefront6targetE0EEEvT1_.uses_vcc, 0
	.set _ZN7rocprim17ROCPRIM_400000_NS6detail17trampoline_kernelINS0_14default_configENS1_25partition_config_selectorILNS1_17partition_subalgoE5ExNS0_10empty_typeEbEEZZNS1_14partition_implILS5_5ELb0ES3_mN6thrust23THRUST_200600_302600_NS6detail15normal_iteratorINSA_10device_ptrIxEEEEPS6_NSA_18transform_iteratorINSB_9not_fun_tI7is_trueIxEEENSC_INSD_IbEEEENSA_11use_defaultESO_EENS0_5tupleIJNSA_16discard_iteratorISO_EES6_EEENSQ_IJSG_SG_EEES6_PlJS6_EEE10hipError_tPvRmT3_T4_T5_T6_T7_T9_mT8_P12ihipStream_tbDpT10_ENKUlT_T0_E_clISt17integral_constantIbLb1EES1E_IbLb0EEEEDaS1A_S1B_EUlS1A_E_NS1_11comp_targetILNS1_3genE8ELNS1_11target_archE1030ELNS1_3gpuE2ELNS1_3repE0EEENS1_30default_config_static_selectorELNS0_4arch9wavefront6targetE0EEEvT1_.uses_flat_scratch, 0
	.set _ZN7rocprim17ROCPRIM_400000_NS6detail17trampoline_kernelINS0_14default_configENS1_25partition_config_selectorILNS1_17partition_subalgoE5ExNS0_10empty_typeEbEEZZNS1_14partition_implILS5_5ELb0ES3_mN6thrust23THRUST_200600_302600_NS6detail15normal_iteratorINSA_10device_ptrIxEEEEPS6_NSA_18transform_iteratorINSB_9not_fun_tI7is_trueIxEEENSC_INSD_IbEEEENSA_11use_defaultESO_EENS0_5tupleIJNSA_16discard_iteratorISO_EES6_EEENSQ_IJSG_SG_EEES6_PlJS6_EEE10hipError_tPvRmT3_T4_T5_T6_T7_T9_mT8_P12ihipStream_tbDpT10_ENKUlT_T0_E_clISt17integral_constantIbLb1EES1E_IbLb0EEEEDaS1A_S1B_EUlS1A_E_NS1_11comp_targetILNS1_3genE8ELNS1_11target_archE1030ELNS1_3gpuE2ELNS1_3repE0EEENS1_30default_config_static_selectorELNS0_4arch9wavefront6targetE0EEEvT1_.has_dyn_sized_stack, 0
	.set _ZN7rocprim17ROCPRIM_400000_NS6detail17trampoline_kernelINS0_14default_configENS1_25partition_config_selectorILNS1_17partition_subalgoE5ExNS0_10empty_typeEbEEZZNS1_14partition_implILS5_5ELb0ES3_mN6thrust23THRUST_200600_302600_NS6detail15normal_iteratorINSA_10device_ptrIxEEEEPS6_NSA_18transform_iteratorINSB_9not_fun_tI7is_trueIxEEENSC_INSD_IbEEEENSA_11use_defaultESO_EENS0_5tupleIJNSA_16discard_iteratorISO_EES6_EEENSQ_IJSG_SG_EEES6_PlJS6_EEE10hipError_tPvRmT3_T4_T5_T6_T7_T9_mT8_P12ihipStream_tbDpT10_ENKUlT_T0_E_clISt17integral_constantIbLb1EES1E_IbLb0EEEEDaS1A_S1B_EUlS1A_E_NS1_11comp_targetILNS1_3genE8ELNS1_11target_archE1030ELNS1_3gpuE2ELNS1_3repE0EEENS1_30default_config_static_selectorELNS0_4arch9wavefront6targetE0EEEvT1_.has_recursion, 0
	.set _ZN7rocprim17ROCPRIM_400000_NS6detail17trampoline_kernelINS0_14default_configENS1_25partition_config_selectorILNS1_17partition_subalgoE5ExNS0_10empty_typeEbEEZZNS1_14partition_implILS5_5ELb0ES3_mN6thrust23THRUST_200600_302600_NS6detail15normal_iteratorINSA_10device_ptrIxEEEEPS6_NSA_18transform_iteratorINSB_9not_fun_tI7is_trueIxEEENSC_INSD_IbEEEENSA_11use_defaultESO_EENS0_5tupleIJNSA_16discard_iteratorISO_EES6_EEENSQ_IJSG_SG_EEES6_PlJS6_EEE10hipError_tPvRmT3_T4_T5_T6_T7_T9_mT8_P12ihipStream_tbDpT10_ENKUlT_T0_E_clISt17integral_constantIbLb1EES1E_IbLb0EEEEDaS1A_S1B_EUlS1A_E_NS1_11comp_targetILNS1_3genE8ELNS1_11target_archE1030ELNS1_3gpuE2ELNS1_3repE0EEENS1_30default_config_static_selectorELNS0_4arch9wavefront6targetE0EEEvT1_.has_indirect_call, 0
	.section	.AMDGPU.csdata,"",@progbits
; Kernel info:
; codeLenInByte = 0
; TotalNumSgprs: 0
; NumVgprs: 0
; ScratchSize: 0
; MemoryBound: 0
; FloatMode: 240
; IeeeMode: 1
; LDSByteSize: 0 bytes/workgroup (compile time only)
; SGPRBlocks: 0
; VGPRBlocks: 0
; NumSGPRsForWavesPerEU: 1
; NumVGPRsForWavesPerEU: 1
; Occupancy: 16
; WaveLimiterHint : 0
; COMPUTE_PGM_RSRC2:SCRATCH_EN: 0
; COMPUTE_PGM_RSRC2:USER_SGPR: 2
; COMPUTE_PGM_RSRC2:TRAP_HANDLER: 0
; COMPUTE_PGM_RSRC2:TGID_X_EN: 1
; COMPUTE_PGM_RSRC2:TGID_Y_EN: 0
; COMPUTE_PGM_RSRC2:TGID_Z_EN: 0
; COMPUTE_PGM_RSRC2:TIDIG_COMP_CNT: 0
	.section	.text._ZN7rocprim17ROCPRIM_400000_NS6detail17trampoline_kernelINS0_14default_configENS1_25partition_config_selectorILNS1_17partition_subalgoE5ExNS0_10empty_typeEbEEZZNS1_14partition_implILS5_5ELb0ES3_mN6thrust23THRUST_200600_302600_NS6detail15normal_iteratorINSA_10device_ptrIxEEEEPS6_NSA_18transform_iteratorINSB_9not_fun_tI7is_trueIxEEENSC_INSD_IbEEEENSA_11use_defaultESO_EENS0_5tupleIJNSA_16discard_iteratorISO_EES6_EEENSQ_IJSG_SG_EEES6_PlJS6_EEE10hipError_tPvRmT3_T4_T5_T6_T7_T9_mT8_P12ihipStream_tbDpT10_ENKUlT_T0_E_clISt17integral_constantIbLb0EES1E_IbLb1EEEEDaS1A_S1B_EUlS1A_E_NS1_11comp_targetILNS1_3genE0ELNS1_11target_archE4294967295ELNS1_3gpuE0ELNS1_3repE0EEENS1_30default_config_static_selectorELNS0_4arch9wavefront6targetE0EEEvT1_,"axG",@progbits,_ZN7rocprim17ROCPRIM_400000_NS6detail17trampoline_kernelINS0_14default_configENS1_25partition_config_selectorILNS1_17partition_subalgoE5ExNS0_10empty_typeEbEEZZNS1_14partition_implILS5_5ELb0ES3_mN6thrust23THRUST_200600_302600_NS6detail15normal_iteratorINSA_10device_ptrIxEEEEPS6_NSA_18transform_iteratorINSB_9not_fun_tI7is_trueIxEEENSC_INSD_IbEEEENSA_11use_defaultESO_EENS0_5tupleIJNSA_16discard_iteratorISO_EES6_EEENSQ_IJSG_SG_EEES6_PlJS6_EEE10hipError_tPvRmT3_T4_T5_T6_T7_T9_mT8_P12ihipStream_tbDpT10_ENKUlT_T0_E_clISt17integral_constantIbLb0EES1E_IbLb1EEEEDaS1A_S1B_EUlS1A_E_NS1_11comp_targetILNS1_3genE0ELNS1_11target_archE4294967295ELNS1_3gpuE0ELNS1_3repE0EEENS1_30default_config_static_selectorELNS0_4arch9wavefront6targetE0EEEvT1_,comdat
	.protected	_ZN7rocprim17ROCPRIM_400000_NS6detail17trampoline_kernelINS0_14default_configENS1_25partition_config_selectorILNS1_17partition_subalgoE5ExNS0_10empty_typeEbEEZZNS1_14partition_implILS5_5ELb0ES3_mN6thrust23THRUST_200600_302600_NS6detail15normal_iteratorINSA_10device_ptrIxEEEEPS6_NSA_18transform_iteratorINSB_9not_fun_tI7is_trueIxEEENSC_INSD_IbEEEENSA_11use_defaultESO_EENS0_5tupleIJNSA_16discard_iteratorISO_EES6_EEENSQ_IJSG_SG_EEES6_PlJS6_EEE10hipError_tPvRmT3_T4_T5_T6_T7_T9_mT8_P12ihipStream_tbDpT10_ENKUlT_T0_E_clISt17integral_constantIbLb0EES1E_IbLb1EEEEDaS1A_S1B_EUlS1A_E_NS1_11comp_targetILNS1_3genE0ELNS1_11target_archE4294967295ELNS1_3gpuE0ELNS1_3repE0EEENS1_30default_config_static_selectorELNS0_4arch9wavefront6targetE0EEEvT1_ ; -- Begin function _ZN7rocprim17ROCPRIM_400000_NS6detail17trampoline_kernelINS0_14default_configENS1_25partition_config_selectorILNS1_17partition_subalgoE5ExNS0_10empty_typeEbEEZZNS1_14partition_implILS5_5ELb0ES3_mN6thrust23THRUST_200600_302600_NS6detail15normal_iteratorINSA_10device_ptrIxEEEEPS6_NSA_18transform_iteratorINSB_9not_fun_tI7is_trueIxEEENSC_INSD_IbEEEENSA_11use_defaultESO_EENS0_5tupleIJNSA_16discard_iteratorISO_EES6_EEENSQ_IJSG_SG_EEES6_PlJS6_EEE10hipError_tPvRmT3_T4_T5_T6_T7_T9_mT8_P12ihipStream_tbDpT10_ENKUlT_T0_E_clISt17integral_constantIbLb0EES1E_IbLb1EEEEDaS1A_S1B_EUlS1A_E_NS1_11comp_targetILNS1_3genE0ELNS1_11target_archE4294967295ELNS1_3gpuE0ELNS1_3repE0EEENS1_30default_config_static_selectorELNS0_4arch9wavefront6targetE0EEEvT1_
	.globl	_ZN7rocprim17ROCPRIM_400000_NS6detail17trampoline_kernelINS0_14default_configENS1_25partition_config_selectorILNS1_17partition_subalgoE5ExNS0_10empty_typeEbEEZZNS1_14partition_implILS5_5ELb0ES3_mN6thrust23THRUST_200600_302600_NS6detail15normal_iteratorINSA_10device_ptrIxEEEEPS6_NSA_18transform_iteratorINSB_9not_fun_tI7is_trueIxEEENSC_INSD_IbEEEENSA_11use_defaultESO_EENS0_5tupleIJNSA_16discard_iteratorISO_EES6_EEENSQ_IJSG_SG_EEES6_PlJS6_EEE10hipError_tPvRmT3_T4_T5_T6_T7_T9_mT8_P12ihipStream_tbDpT10_ENKUlT_T0_E_clISt17integral_constantIbLb0EES1E_IbLb1EEEEDaS1A_S1B_EUlS1A_E_NS1_11comp_targetILNS1_3genE0ELNS1_11target_archE4294967295ELNS1_3gpuE0ELNS1_3repE0EEENS1_30default_config_static_selectorELNS0_4arch9wavefront6targetE0EEEvT1_
	.p2align	8
	.type	_ZN7rocprim17ROCPRIM_400000_NS6detail17trampoline_kernelINS0_14default_configENS1_25partition_config_selectorILNS1_17partition_subalgoE5ExNS0_10empty_typeEbEEZZNS1_14partition_implILS5_5ELb0ES3_mN6thrust23THRUST_200600_302600_NS6detail15normal_iteratorINSA_10device_ptrIxEEEEPS6_NSA_18transform_iteratorINSB_9not_fun_tI7is_trueIxEEENSC_INSD_IbEEEENSA_11use_defaultESO_EENS0_5tupleIJNSA_16discard_iteratorISO_EES6_EEENSQ_IJSG_SG_EEES6_PlJS6_EEE10hipError_tPvRmT3_T4_T5_T6_T7_T9_mT8_P12ihipStream_tbDpT10_ENKUlT_T0_E_clISt17integral_constantIbLb0EES1E_IbLb1EEEEDaS1A_S1B_EUlS1A_E_NS1_11comp_targetILNS1_3genE0ELNS1_11target_archE4294967295ELNS1_3gpuE0ELNS1_3repE0EEENS1_30default_config_static_selectorELNS0_4arch9wavefront6targetE0EEEvT1_,@function
_ZN7rocprim17ROCPRIM_400000_NS6detail17trampoline_kernelINS0_14default_configENS1_25partition_config_selectorILNS1_17partition_subalgoE5ExNS0_10empty_typeEbEEZZNS1_14partition_implILS5_5ELb0ES3_mN6thrust23THRUST_200600_302600_NS6detail15normal_iteratorINSA_10device_ptrIxEEEEPS6_NSA_18transform_iteratorINSB_9not_fun_tI7is_trueIxEEENSC_INSD_IbEEEENSA_11use_defaultESO_EENS0_5tupleIJNSA_16discard_iteratorISO_EES6_EEENSQ_IJSG_SG_EEES6_PlJS6_EEE10hipError_tPvRmT3_T4_T5_T6_T7_T9_mT8_P12ihipStream_tbDpT10_ENKUlT_T0_E_clISt17integral_constantIbLb0EES1E_IbLb1EEEEDaS1A_S1B_EUlS1A_E_NS1_11comp_targetILNS1_3genE0ELNS1_11target_archE4294967295ELNS1_3gpuE0ELNS1_3repE0EEENS1_30default_config_static_selectorELNS0_4arch9wavefront6targetE0EEEvT1_: ; @_ZN7rocprim17ROCPRIM_400000_NS6detail17trampoline_kernelINS0_14default_configENS1_25partition_config_selectorILNS1_17partition_subalgoE5ExNS0_10empty_typeEbEEZZNS1_14partition_implILS5_5ELb0ES3_mN6thrust23THRUST_200600_302600_NS6detail15normal_iteratorINSA_10device_ptrIxEEEEPS6_NSA_18transform_iteratorINSB_9not_fun_tI7is_trueIxEEENSC_INSD_IbEEEENSA_11use_defaultESO_EENS0_5tupleIJNSA_16discard_iteratorISO_EES6_EEENSQ_IJSG_SG_EEES6_PlJS6_EEE10hipError_tPvRmT3_T4_T5_T6_T7_T9_mT8_P12ihipStream_tbDpT10_ENKUlT_T0_E_clISt17integral_constantIbLb0EES1E_IbLb1EEEEDaS1A_S1B_EUlS1A_E_NS1_11comp_targetILNS1_3genE0ELNS1_11target_archE4294967295ELNS1_3gpuE0ELNS1_3repE0EEENS1_30default_config_static_selectorELNS0_4arch9wavefront6targetE0EEEvT1_
; %bb.0:
	.section	.rodata,"a",@progbits
	.p2align	6, 0x0
	.amdhsa_kernel _ZN7rocprim17ROCPRIM_400000_NS6detail17trampoline_kernelINS0_14default_configENS1_25partition_config_selectorILNS1_17partition_subalgoE5ExNS0_10empty_typeEbEEZZNS1_14partition_implILS5_5ELb0ES3_mN6thrust23THRUST_200600_302600_NS6detail15normal_iteratorINSA_10device_ptrIxEEEEPS6_NSA_18transform_iteratorINSB_9not_fun_tI7is_trueIxEEENSC_INSD_IbEEEENSA_11use_defaultESO_EENS0_5tupleIJNSA_16discard_iteratorISO_EES6_EEENSQ_IJSG_SG_EEES6_PlJS6_EEE10hipError_tPvRmT3_T4_T5_T6_T7_T9_mT8_P12ihipStream_tbDpT10_ENKUlT_T0_E_clISt17integral_constantIbLb0EES1E_IbLb1EEEEDaS1A_S1B_EUlS1A_E_NS1_11comp_targetILNS1_3genE0ELNS1_11target_archE4294967295ELNS1_3gpuE0ELNS1_3repE0EEENS1_30default_config_static_selectorELNS0_4arch9wavefront6targetE0EEEvT1_
		.amdhsa_group_segment_fixed_size 0
		.amdhsa_private_segment_fixed_size 0
		.amdhsa_kernarg_size 144
		.amdhsa_user_sgpr_count 2
		.amdhsa_user_sgpr_dispatch_ptr 0
		.amdhsa_user_sgpr_queue_ptr 0
		.amdhsa_user_sgpr_kernarg_segment_ptr 1
		.amdhsa_user_sgpr_dispatch_id 0
		.amdhsa_user_sgpr_private_segment_size 0
		.amdhsa_wavefront_size32 1
		.amdhsa_uses_dynamic_stack 0
		.amdhsa_enable_private_segment 0
		.amdhsa_system_sgpr_workgroup_id_x 1
		.amdhsa_system_sgpr_workgroup_id_y 0
		.amdhsa_system_sgpr_workgroup_id_z 0
		.amdhsa_system_sgpr_workgroup_info 0
		.amdhsa_system_vgpr_workitem_id 0
		.amdhsa_next_free_vgpr 1
		.amdhsa_next_free_sgpr 1
		.amdhsa_reserve_vcc 0
		.amdhsa_float_round_mode_32 0
		.amdhsa_float_round_mode_16_64 0
		.amdhsa_float_denorm_mode_32 3
		.amdhsa_float_denorm_mode_16_64 3
		.amdhsa_fp16_overflow 0
		.amdhsa_workgroup_processor_mode 1
		.amdhsa_memory_ordered 1
		.amdhsa_forward_progress 1
		.amdhsa_inst_pref_size 0
		.amdhsa_round_robin_scheduling 0
		.amdhsa_exception_fp_ieee_invalid_op 0
		.amdhsa_exception_fp_denorm_src 0
		.amdhsa_exception_fp_ieee_div_zero 0
		.amdhsa_exception_fp_ieee_overflow 0
		.amdhsa_exception_fp_ieee_underflow 0
		.amdhsa_exception_fp_ieee_inexact 0
		.amdhsa_exception_int_div_zero 0
	.end_amdhsa_kernel
	.section	.text._ZN7rocprim17ROCPRIM_400000_NS6detail17trampoline_kernelINS0_14default_configENS1_25partition_config_selectorILNS1_17partition_subalgoE5ExNS0_10empty_typeEbEEZZNS1_14partition_implILS5_5ELb0ES3_mN6thrust23THRUST_200600_302600_NS6detail15normal_iteratorINSA_10device_ptrIxEEEEPS6_NSA_18transform_iteratorINSB_9not_fun_tI7is_trueIxEEENSC_INSD_IbEEEENSA_11use_defaultESO_EENS0_5tupleIJNSA_16discard_iteratorISO_EES6_EEENSQ_IJSG_SG_EEES6_PlJS6_EEE10hipError_tPvRmT3_T4_T5_T6_T7_T9_mT8_P12ihipStream_tbDpT10_ENKUlT_T0_E_clISt17integral_constantIbLb0EES1E_IbLb1EEEEDaS1A_S1B_EUlS1A_E_NS1_11comp_targetILNS1_3genE0ELNS1_11target_archE4294967295ELNS1_3gpuE0ELNS1_3repE0EEENS1_30default_config_static_selectorELNS0_4arch9wavefront6targetE0EEEvT1_,"axG",@progbits,_ZN7rocprim17ROCPRIM_400000_NS6detail17trampoline_kernelINS0_14default_configENS1_25partition_config_selectorILNS1_17partition_subalgoE5ExNS0_10empty_typeEbEEZZNS1_14partition_implILS5_5ELb0ES3_mN6thrust23THRUST_200600_302600_NS6detail15normal_iteratorINSA_10device_ptrIxEEEEPS6_NSA_18transform_iteratorINSB_9not_fun_tI7is_trueIxEEENSC_INSD_IbEEEENSA_11use_defaultESO_EENS0_5tupleIJNSA_16discard_iteratorISO_EES6_EEENSQ_IJSG_SG_EEES6_PlJS6_EEE10hipError_tPvRmT3_T4_T5_T6_T7_T9_mT8_P12ihipStream_tbDpT10_ENKUlT_T0_E_clISt17integral_constantIbLb0EES1E_IbLb1EEEEDaS1A_S1B_EUlS1A_E_NS1_11comp_targetILNS1_3genE0ELNS1_11target_archE4294967295ELNS1_3gpuE0ELNS1_3repE0EEENS1_30default_config_static_selectorELNS0_4arch9wavefront6targetE0EEEvT1_,comdat
.Lfunc_end2773:
	.size	_ZN7rocprim17ROCPRIM_400000_NS6detail17trampoline_kernelINS0_14default_configENS1_25partition_config_selectorILNS1_17partition_subalgoE5ExNS0_10empty_typeEbEEZZNS1_14partition_implILS5_5ELb0ES3_mN6thrust23THRUST_200600_302600_NS6detail15normal_iteratorINSA_10device_ptrIxEEEEPS6_NSA_18transform_iteratorINSB_9not_fun_tI7is_trueIxEEENSC_INSD_IbEEEENSA_11use_defaultESO_EENS0_5tupleIJNSA_16discard_iteratorISO_EES6_EEENSQ_IJSG_SG_EEES6_PlJS6_EEE10hipError_tPvRmT3_T4_T5_T6_T7_T9_mT8_P12ihipStream_tbDpT10_ENKUlT_T0_E_clISt17integral_constantIbLb0EES1E_IbLb1EEEEDaS1A_S1B_EUlS1A_E_NS1_11comp_targetILNS1_3genE0ELNS1_11target_archE4294967295ELNS1_3gpuE0ELNS1_3repE0EEENS1_30default_config_static_selectorELNS0_4arch9wavefront6targetE0EEEvT1_, .Lfunc_end2773-_ZN7rocprim17ROCPRIM_400000_NS6detail17trampoline_kernelINS0_14default_configENS1_25partition_config_selectorILNS1_17partition_subalgoE5ExNS0_10empty_typeEbEEZZNS1_14partition_implILS5_5ELb0ES3_mN6thrust23THRUST_200600_302600_NS6detail15normal_iteratorINSA_10device_ptrIxEEEEPS6_NSA_18transform_iteratorINSB_9not_fun_tI7is_trueIxEEENSC_INSD_IbEEEENSA_11use_defaultESO_EENS0_5tupleIJNSA_16discard_iteratorISO_EES6_EEENSQ_IJSG_SG_EEES6_PlJS6_EEE10hipError_tPvRmT3_T4_T5_T6_T7_T9_mT8_P12ihipStream_tbDpT10_ENKUlT_T0_E_clISt17integral_constantIbLb0EES1E_IbLb1EEEEDaS1A_S1B_EUlS1A_E_NS1_11comp_targetILNS1_3genE0ELNS1_11target_archE4294967295ELNS1_3gpuE0ELNS1_3repE0EEENS1_30default_config_static_selectorELNS0_4arch9wavefront6targetE0EEEvT1_
                                        ; -- End function
	.set _ZN7rocprim17ROCPRIM_400000_NS6detail17trampoline_kernelINS0_14default_configENS1_25partition_config_selectorILNS1_17partition_subalgoE5ExNS0_10empty_typeEbEEZZNS1_14partition_implILS5_5ELb0ES3_mN6thrust23THRUST_200600_302600_NS6detail15normal_iteratorINSA_10device_ptrIxEEEEPS6_NSA_18transform_iteratorINSB_9not_fun_tI7is_trueIxEEENSC_INSD_IbEEEENSA_11use_defaultESO_EENS0_5tupleIJNSA_16discard_iteratorISO_EES6_EEENSQ_IJSG_SG_EEES6_PlJS6_EEE10hipError_tPvRmT3_T4_T5_T6_T7_T9_mT8_P12ihipStream_tbDpT10_ENKUlT_T0_E_clISt17integral_constantIbLb0EES1E_IbLb1EEEEDaS1A_S1B_EUlS1A_E_NS1_11comp_targetILNS1_3genE0ELNS1_11target_archE4294967295ELNS1_3gpuE0ELNS1_3repE0EEENS1_30default_config_static_selectorELNS0_4arch9wavefront6targetE0EEEvT1_.num_vgpr, 0
	.set _ZN7rocprim17ROCPRIM_400000_NS6detail17trampoline_kernelINS0_14default_configENS1_25partition_config_selectorILNS1_17partition_subalgoE5ExNS0_10empty_typeEbEEZZNS1_14partition_implILS5_5ELb0ES3_mN6thrust23THRUST_200600_302600_NS6detail15normal_iteratorINSA_10device_ptrIxEEEEPS6_NSA_18transform_iteratorINSB_9not_fun_tI7is_trueIxEEENSC_INSD_IbEEEENSA_11use_defaultESO_EENS0_5tupleIJNSA_16discard_iteratorISO_EES6_EEENSQ_IJSG_SG_EEES6_PlJS6_EEE10hipError_tPvRmT3_T4_T5_T6_T7_T9_mT8_P12ihipStream_tbDpT10_ENKUlT_T0_E_clISt17integral_constantIbLb0EES1E_IbLb1EEEEDaS1A_S1B_EUlS1A_E_NS1_11comp_targetILNS1_3genE0ELNS1_11target_archE4294967295ELNS1_3gpuE0ELNS1_3repE0EEENS1_30default_config_static_selectorELNS0_4arch9wavefront6targetE0EEEvT1_.num_agpr, 0
	.set _ZN7rocprim17ROCPRIM_400000_NS6detail17trampoline_kernelINS0_14default_configENS1_25partition_config_selectorILNS1_17partition_subalgoE5ExNS0_10empty_typeEbEEZZNS1_14partition_implILS5_5ELb0ES3_mN6thrust23THRUST_200600_302600_NS6detail15normal_iteratorINSA_10device_ptrIxEEEEPS6_NSA_18transform_iteratorINSB_9not_fun_tI7is_trueIxEEENSC_INSD_IbEEEENSA_11use_defaultESO_EENS0_5tupleIJNSA_16discard_iteratorISO_EES6_EEENSQ_IJSG_SG_EEES6_PlJS6_EEE10hipError_tPvRmT3_T4_T5_T6_T7_T9_mT8_P12ihipStream_tbDpT10_ENKUlT_T0_E_clISt17integral_constantIbLb0EES1E_IbLb1EEEEDaS1A_S1B_EUlS1A_E_NS1_11comp_targetILNS1_3genE0ELNS1_11target_archE4294967295ELNS1_3gpuE0ELNS1_3repE0EEENS1_30default_config_static_selectorELNS0_4arch9wavefront6targetE0EEEvT1_.numbered_sgpr, 0
	.set _ZN7rocprim17ROCPRIM_400000_NS6detail17trampoline_kernelINS0_14default_configENS1_25partition_config_selectorILNS1_17partition_subalgoE5ExNS0_10empty_typeEbEEZZNS1_14partition_implILS5_5ELb0ES3_mN6thrust23THRUST_200600_302600_NS6detail15normal_iteratorINSA_10device_ptrIxEEEEPS6_NSA_18transform_iteratorINSB_9not_fun_tI7is_trueIxEEENSC_INSD_IbEEEENSA_11use_defaultESO_EENS0_5tupleIJNSA_16discard_iteratorISO_EES6_EEENSQ_IJSG_SG_EEES6_PlJS6_EEE10hipError_tPvRmT3_T4_T5_T6_T7_T9_mT8_P12ihipStream_tbDpT10_ENKUlT_T0_E_clISt17integral_constantIbLb0EES1E_IbLb1EEEEDaS1A_S1B_EUlS1A_E_NS1_11comp_targetILNS1_3genE0ELNS1_11target_archE4294967295ELNS1_3gpuE0ELNS1_3repE0EEENS1_30default_config_static_selectorELNS0_4arch9wavefront6targetE0EEEvT1_.num_named_barrier, 0
	.set _ZN7rocprim17ROCPRIM_400000_NS6detail17trampoline_kernelINS0_14default_configENS1_25partition_config_selectorILNS1_17partition_subalgoE5ExNS0_10empty_typeEbEEZZNS1_14partition_implILS5_5ELb0ES3_mN6thrust23THRUST_200600_302600_NS6detail15normal_iteratorINSA_10device_ptrIxEEEEPS6_NSA_18transform_iteratorINSB_9not_fun_tI7is_trueIxEEENSC_INSD_IbEEEENSA_11use_defaultESO_EENS0_5tupleIJNSA_16discard_iteratorISO_EES6_EEENSQ_IJSG_SG_EEES6_PlJS6_EEE10hipError_tPvRmT3_T4_T5_T6_T7_T9_mT8_P12ihipStream_tbDpT10_ENKUlT_T0_E_clISt17integral_constantIbLb0EES1E_IbLb1EEEEDaS1A_S1B_EUlS1A_E_NS1_11comp_targetILNS1_3genE0ELNS1_11target_archE4294967295ELNS1_3gpuE0ELNS1_3repE0EEENS1_30default_config_static_selectorELNS0_4arch9wavefront6targetE0EEEvT1_.private_seg_size, 0
	.set _ZN7rocprim17ROCPRIM_400000_NS6detail17trampoline_kernelINS0_14default_configENS1_25partition_config_selectorILNS1_17partition_subalgoE5ExNS0_10empty_typeEbEEZZNS1_14partition_implILS5_5ELb0ES3_mN6thrust23THRUST_200600_302600_NS6detail15normal_iteratorINSA_10device_ptrIxEEEEPS6_NSA_18transform_iteratorINSB_9not_fun_tI7is_trueIxEEENSC_INSD_IbEEEENSA_11use_defaultESO_EENS0_5tupleIJNSA_16discard_iteratorISO_EES6_EEENSQ_IJSG_SG_EEES6_PlJS6_EEE10hipError_tPvRmT3_T4_T5_T6_T7_T9_mT8_P12ihipStream_tbDpT10_ENKUlT_T0_E_clISt17integral_constantIbLb0EES1E_IbLb1EEEEDaS1A_S1B_EUlS1A_E_NS1_11comp_targetILNS1_3genE0ELNS1_11target_archE4294967295ELNS1_3gpuE0ELNS1_3repE0EEENS1_30default_config_static_selectorELNS0_4arch9wavefront6targetE0EEEvT1_.uses_vcc, 0
	.set _ZN7rocprim17ROCPRIM_400000_NS6detail17trampoline_kernelINS0_14default_configENS1_25partition_config_selectorILNS1_17partition_subalgoE5ExNS0_10empty_typeEbEEZZNS1_14partition_implILS5_5ELb0ES3_mN6thrust23THRUST_200600_302600_NS6detail15normal_iteratorINSA_10device_ptrIxEEEEPS6_NSA_18transform_iteratorINSB_9not_fun_tI7is_trueIxEEENSC_INSD_IbEEEENSA_11use_defaultESO_EENS0_5tupleIJNSA_16discard_iteratorISO_EES6_EEENSQ_IJSG_SG_EEES6_PlJS6_EEE10hipError_tPvRmT3_T4_T5_T6_T7_T9_mT8_P12ihipStream_tbDpT10_ENKUlT_T0_E_clISt17integral_constantIbLb0EES1E_IbLb1EEEEDaS1A_S1B_EUlS1A_E_NS1_11comp_targetILNS1_3genE0ELNS1_11target_archE4294967295ELNS1_3gpuE0ELNS1_3repE0EEENS1_30default_config_static_selectorELNS0_4arch9wavefront6targetE0EEEvT1_.uses_flat_scratch, 0
	.set _ZN7rocprim17ROCPRIM_400000_NS6detail17trampoline_kernelINS0_14default_configENS1_25partition_config_selectorILNS1_17partition_subalgoE5ExNS0_10empty_typeEbEEZZNS1_14partition_implILS5_5ELb0ES3_mN6thrust23THRUST_200600_302600_NS6detail15normal_iteratorINSA_10device_ptrIxEEEEPS6_NSA_18transform_iteratorINSB_9not_fun_tI7is_trueIxEEENSC_INSD_IbEEEENSA_11use_defaultESO_EENS0_5tupleIJNSA_16discard_iteratorISO_EES6_EEENSQ_IJSG_SG_EEES6_PlJS6_EEE10hipError_tPvRmT3_T4_T5_T6_T7_T9_mT8_P12ihipStream_tbDpT10_ENKUlT_T0_E_clISt17integral_constantIbLb0EES1E_IbLb1EEEEDaS1A_S1B_EUlS1A_E_NS1_11comp_targetILNS1_3genE0ELNS1_11target_archE4294967295ELNS1_3gpuE0ELNS1_3repE0EEENS1_30default_config_static_selectorELNS0_4arch9wavefront6targetE0EEEvT1_.has_dyn_sized_stack, 0
	.set _ZN7rocprim17ROCPRIM_400000_NS6detail17trampoline_kernelINS0_14default_configENS1_25partition_config_selectorILNS1_17partition_subalgoE5ExNS0_10empty_typeEbEEZZNS1_14partition_implILS5_5ELb0ES3_mN6thrust23THRUST_200600_302600_NS6detail15normal_iteratorINSA_10device_ptrIxEEEEPS6_NSA_18transform_iteratorINSB_9not_fun_tI7is_trueIxEEENSC_INSD_IbEEEENSA_11use_defaultESO_EENS0_5tupleIJNSA_16discard_iteratorISO_EES6_EEENSQ_IJSG_SG_EEES6_PlJS6_EEE10hipError_tPvRmT3_T4_T5_T6_T7_T9_mT8_P12ihipStream_tbDpT10_ENKUlT_T0_E_clISt17integral_constantIbLb0EES1E_IbLb1EEEEDaS1A_S1B_EUlS1A_E_NS1_11comp_targetILNS1_3genE0ELNS1_11target_archE4294967295ELNS1_3gpuE0ELNS1_3repE0EEENS1_30default_config_static_selectorELNS0_4arch9wavefront6targetE0EEEvT1_.has_recursion, 0
	.set _ZN7rocprim17ROCPRIM_400000_NS6detail17trampoline_kernelINS0_14default_configENS1_25partition_config_selectorILNS1_17partition_subalgoE5ExNS0_10empty_typeEbEEZZNS1_14partition_implILS5_5ELb0ES3_mN6thrust23THRUST_200600_302600_NS6detail15normal_iteratorINSA_10device_ptrIxEEEEPS6_NSA_18transform_iteratorINSB_9not_fun_tI7is_trueIxEEENSC_INSD_IbEEEENSA_11use_defaultESO_EENS0_5tupleIJNSA_16discard_iteratorISO_EES6_EEENSQ_IJSG_SG_EEES6_PlJS6_EEE10hipError_tPvRmT3_T4_T5_T6_T7_T9_mT8_P12ihipStream_tbDpT10_ENKUlT_T0_E_clISt17integral_constantIbLb0EES1E_IbLb1EEEEDaS1A_S1B_EUlS1A_E_NS1_11comp_targetILNS1_3genE0ELNS1_11target_archE4294967295ELNS1_3gpuE0ELNS1_3repE0EEENS1_30default_config_static_selectorELNS0_4arch9wavefront6targetE0EEEvT1_.has_indirect_call, 0
	.section	.AMDGPU.csdata,"",@progbits
; Kernel info:
; codeLenInByte = 0
; TotalNumSgprs: 0
; NumVgprs: 0
; ScratchSize: 0
; MemoryBound: 0
; FloatMode: 240
; IeeeMode: 1
; LDSByteSize: 0 bytes/workgroup (compile time only)
; SGPRBlocks: 0
; VGPRBlocks: 0
; NumSGPRsForWavesPerEU: 1
; NumVGPRsForWavesPerEU: 1
; Occupancy: 16
; WaveLimiterHint : 0
; COMPUTE_PGM_RSRC2:SCRATCH_EN: 0
; COMPUTE_PGM_RSRC2:USER_SGPR: 2
; COMPUTE_PGM_RSRC2:TRAP_HANDLER: 0
; COMPUTE_PGM_RSRC2:TGID_X_EN: 1
; COMPUTE_PGM_RSRC2:TGID_Y_EN: 0
; COMPUTE_PGM_RSRC2:TGID_Z_EN: 0
; COMPUTE_PGM_RSRC2:TIDIG_COMP_CNT: 0
	.section	.text._ZN7rocprim17ROCPRIM_400000_NS6detail17trampoline_kernelINS0_14default_configENS1_25partition_config_selectorILNS1_17partition_subalgoE5ExNS0_10empty_typeEbEEZZNS1_14partition_implILS5_5ELb0ES3_mN6thrust23THRUST_200600_302600_NS6detail15normal_iteratorINSA_10device_ptrIxEEEEPS6_NSA_18transform_iteratorINSB_9not_fun_tI7is_trueIxEEENSC_INSD_IbEEEENSA_11use_defaultESO_EENS0_5tupleIJNSA_16discard_iteratorISO_EES6_EEENSQ_IJSG_SG_EEES6_PlJS6_EEE10hipError_tPvRmT3_T4_T5_T6_T7_T9_mT8_P12ihipStream_tbDpT10_ENKUlT_T0_E_clISt17integral_constantIbLb0EES1E_IbLb1EEEEDaS1A_S1B_EUlS1A_E_NS1_11comp_targetILNS1_3genE5ELNS1_11target_archE942ELNS1_3gpuE9ELNS1_3repE0EEENS1_30default_config_static_selectorELNS0_4arch9wavefront6targetE0EEEvT1_,"axG",@progbits,_ZN7rocprim17ROCPRIM_400000_NS6detail17trampoline_kernelINS0_14default_configENS1_25partition_config_selectorILNS1_17partition_subalgoE5ExNS0_10empty_typeEbEEZZNS1_14partition_implILS5_5ELb0ES3_mN6thrust23THRUST_200600_302600_NS6detail15normal_iteratorINSA_10device_ptrIxEEEEPS6_NSA_18transform_iteratorINSB_9not_fun_tI7is_trueIxEEENSC_INSD_IbEEEENSA_11use_defaultESO_EENS0_5tupleIJNSA_16discard_iteratorISO_EES6_EEENSQ_IJSG_SG_EEES6_PlJS6_EEE10hipError_tPvRmT3_T4_T5_T6_T7_T9_mT8_P12ihipStream_tbDpT10_ENKUlT_T0_E_clISt17integral_constantIbLb0EES1E_IbLb1EEEEDaS1A_S1B_EUlS1A_E_NS1_11comp_targetILNS1_3genE5ELNS1_11target_archE942ELNS1_3gpuE9ELNS1_3repE0EEENS1_30default_config_static_selectorELNS0_4arch9wavefront6targetE0EEEvT1_,comdat
	.protected	_ZN7rocprim17ROCPRIM_400000_NS6detail17trampoline_kernelINS0_14default_configENS1_25partition_config_selectorILNS1_17partition_subalgoE5ExNS0_10empty_typeEbEEZZNS1_14partition_implILS5_5ELb0ES3_mN6thrust23THRUST_200600_302600_NS6detail15normal_iteratorINSA_10device_ptrIxEEEEPS6_NSA_18transform_iteratorINSB_9not_fun_tI7is_trueIxEEENSC_INSD_IbEEEENSA_11use_defaultESO_EENS0_5tupleIJNSA_16discard_iteratorISO_EES6_EEENSQ_IJSG_SG_EEES6_PlJS6_EEE10hipError_tPvRmT3_T4_T5_T6_T7_T9_mT8_P12ihipStream_tbDpT10_ENKUlT_T0_E_clISt17integral_constantIbLb0EES1E_IbLb1EEEEDaS1A_S1B_EUlS1A_E_NS1_11comp_targetILNS1_3genE5ELNS1_11target_archE942ELNS1_3gpuE9ELNS1_3repE0EEENS1_30default_config_static_selectorELNS0_4arch9wavefront6targetE0EEEvT1_ ; -- Begin function _ZN7rocprim17ROCPRIM_400000_NS6detail17trampoline_kernelINS0_14default_configENS1_25partition_config_selectorILNS1_17partition_subalgoE5ExNS0_10empty_typeEbEEZZNS1_14partition_implILS5_5ELb0ES3_mN6thrust23THRUST_200600_302600_NS6detail15normal_iteratorINSA_10device_ptrIxEEEEPS6_NSA_18transform_iteratorINSB_9not_fun_tI7is_trueIxEEENSC_INSD_IbEEEENSA_11use_defaultESO_EENS0_5tupleIJNSA_16discard_iteratorISO_EES6_EEENSQ_IJSG_SG_EEES6_PlJS6_EEE10hipError_tPvRmT3_T4_T5_T6_T7_T9_mT8_P12ihipStream_tbDpT10_ENKUlT_T0_E_clISt17integral_constantIbLb0EES1E_IbLb1EEEEDaS1A_S1B_EUlS1A_E_NS1_11comp_targetILNS1_3genE5ELNS1_11target_archE942ELNS1_3gpuE9ELNS1_3repE0EEENS1_30default_config_static_selectorELNS0_4arch9wavefront6targetE0EEEvT1_
	.globl	_ZN7rocprim17ROCPRIM_400000_NS6detail17trampoline_kernelINS0_14default_configENS1_25partition_config_selectorILNS1_17partition_subalgoE5ExNS0_10empty_typeEbEEZZNS1_14partition_implILS5_5ELb0ES3_mN6thrust23THRUST_200600_302600_NS6detail15normal_iteratorINSA_10device_ptrIxEEEEPS6_NSA_18transform_iteratorINSB_9not_fun_tI7is_trueIxEEENSC_INSD_IbEEEENSA_11use_defaultESO_EENS0_5tupleIJNSA_16discard_iteratorISO_EES6_EEENSQ_IJSG_SG_EEES6_PlJS6_EEE10hipError_tPvRmT3_T4_T5_T6_T7_T9_mT8_P12ihipStream_tbDpT10_ENKUlT_T0_E_clISt17integral_constantIbLb0EES1E_IbLb1EEEEDaS1A_S1B_EUlS1A_E_NS1_11comp_targetILNS1_3genE5ELNS1_11target_archE942ELNS1_3gpuE9ELNS1_3repE0EEENS1_30default_config_static_selectorELNS0_4arch9wavefront6targetE0EEEvT1_
	.p2align	8
	.type	_ZN7rocprim17ROCPRIM_400000_NS6detail17trampoline_kernelINS0_14default_configENS1_25partition_config_selectorILNS1_17partition_subalgoE5ExNS0_10empty_typeEbEEZZNS1_14partition_implILS5_5ELb0ES3_mN6thrust23THRUST_200600_302600_NS6detail15normal_iteratorINSA_10device_ptrIxEEEEPS6_NSA_18transform_iteratorINSB_9not_fun_tI7is_trueIxEEENSC_INSD_IbEEEENSA_11use_defaultESO_EENS0_5tupleIJNSA_16discard_iteratorISO_EES6_EEENSQ_IJSG_SG_EEES6_PlJS6_EEE10hipError_tPvRmT3_T4_T5_T6_T7_T9_mT8_P12ihipStream_tbDpT10_ENKUlT_T0_E_clISt17integral_constantIbLb0EES1E_IbLb1EEEEDaS1A_S1B_EUlS1A_E_NS1_11comp_targetILNS1_3genE5ELNS1_11target_archE942ELNS1_3gpuE9ELNS1_3repE0EEENS1_30default_config_static_selectorELNS0_4arch9wavefront6targetE0EEEvT1_,@function
_ZN7rocprim17ROCPRIM_400000_NS6detail17trampoline_kernelINS0_14default_configENS1_25partition_config_selectorILNS1_17partition_subalgoE5ExNS0_10empty_typeEbEEZZNS1_14partition_implILS5_5ELb0ES3_mN6thrust23THRUST_200600_302600_NS6detail15normal_iteratorINSA_10device_ptrIxEEEEPS6_NSA_18transform_iteratorINSB_9not_fun_tI7is_trueIxEEENSC_INSD_IbEEEENSA_11use_defaultESO_EENS0_5tupleIJNSA_16discard_iteratorISO_EES6_EEENSQ_IJSG_SG_EEES6_PlJS6_EEE10hipError_tPvRmT3_T4_T5_T6_T7_T9_mT8_P12ihipStream_tbDpT10_ENKUlT_T0_E_clISt17integral_constantIbLb0EES1E_IbLb1EEEEDaS1A_S1B_EUlS1A_E_NS1_11comp_targetILNS1_3genE5ELNS1_11target_archE942ELNS1_3gpuE9ELNS1_3repE0EEENS1_30default_config_static_selectorELNS0_4arch9wavefront6targetE0EEEvT1_: ; @_ZN7rocprim17ROCPRIM_400000_NS6detail17trampoline_kernelINS0_14default_configENS1_25partition_config_selectorILNS1_17partition_subalgoE5ExNS0_10empty_typeEbEEZZNS1_14partition_implILS5_5ELb0ES3_mN6thrust23THRUST_200600_302600_NS6detail15normal_iteratorINSA_10device_ptrIxEEEEPS6_NSA_18transform_iteratorINSB_9not_fun_tI7is_trueIxEEENSC_INSD_IbEEEENSA_11use_defaultESO_EENS0_5tupleIJNSA_16discard_iteratorISO_EES6_EEENSQ_IJSG_SG_EEES6_PlJS6_EEE10hipError_tPvRmT3_T4_T5_T6_T7_T9_mT8_P12ihipStream_tbDpT10_ENKUlT_T0_E_clISt17integral_constantIbLb0EES1E_IbLb1EEEEDaS1A_S1B_EUlS1A_E_NS1_11comp_targetILNS1_3genE5ELNS1_11target_archE942ELNS1_3gpuE9ELNS1_3repE0EEENS1_30default_config_static_selectorELNS0_4arch9wavefront6targetE0EEEvT1_
; %bb.0:
	.section	.rodata,"a",@progbits
	.p2align	6, 0x0
	.amdhsa_kernel _ZN7rocprim17ROCPRIM_400000_NS6detail17trampoline_kernelINS0_14default_configENS1_25partition_config_selectorILNS1_17partition_subalgoE5ExNS0_10empty_typeEbEEZZNS1_14partition_implILS5_5ELb0ES3_mN6thrust23THRUST_200600_302600_NS6detail15normal_iteratorINSA_10device_ptrIxEEEEPS6_NSA_18transform_iteratorINSB_9not_fun_tI7is_trueIxEEENSC_INSD_IbEEEENSA_11use_defaultESO_EENS0_5tupleIJNSA_16discard_iteratorISO_EES6_EEENSQ_IJSG_SG_EEES6_PlJS6_EEE10hipError_tPvRmT3_T4_T5_T6_T7_T9_mT8_P12ihipStream_tbDpT10_ENKUlT_T0_E_clISt17integral_constantIbLb0EES1E_IbLb1EEEEDaS1A_S1B_EUlS1A_E_NS1_11comp_targetILNS1_3genE5ELNS1_11target_archE942ELNS1_3gpuE9ELNS1_3repE0EEENS1_30default_config_static_selectorELNS0_4arch9wavefront6targetE0EEEvT1_
		.amdhsa_group_segment_fixed_size 0
		.amdhsa_private_segment_fixed_size 0
		.amdhsa_kernarg_size 144
		.amdhsa_user_sgpr_count 2
		.amdhsa_user_sgpr_dispatch_ptr 0
		.amdhsa_user_sgpr_queue_ptr 0
		.amdhsa_user_sgpr_kernarg_segment_ptr 1
		.amdhsa_user_sgpr_dispatch_id 0
		.amdhsa_user_sgpr_private_segment_size 0
		.amdhsa_wavefront_size32 1
		.amdhsa_uses_dynamic_stack 0
		.amdhsa_enable_private_segment 0
		.amdhsa_system_sgpr_workgroup_id_x 1
		.amdhsa_system_sgpr_workgroup_id_y 0
		.amdhsa_system_sgpr_workgroup_id_z 0
		.amdhsa_system_sgpr_workgroup_info 0
		.amdhsa_system_vgpr_workitem_id 0
		.amdhsa_next_free_vgpr 1
		.amdhsa_next_free_sgpr 1
		.amdhsa_reserve_vcc 0
		.amdhsa_float_round_mode_32 0
		.amdhsa_float_round_mode_16_64 0
		.amdhsa_float_denorm_mode_32 3
		.amdhsa_float_denorm_mode_16_64 3
		.amdhsa_fp16_overflow 0
		.amdhsa_workgroup_processor_mode 1
		.amdhsa_memory_ordered 1
		.amdhsa_forward_progress 1
		.amdhsa_inst_pref_size 0
		.amdhsa_round_robin_scheduling 0
		.amdhsa_exception_fp_ieee_invalid_op 0
		.amdhsa_exception_fp_denorm_src 0
		.amdhsa_exception_fp_ieee_div_zero 0
		.amdhsa_exception_fp_ieee_overflow 0
		.amdhsa_exception_fp_ieee_underflow 0
		.amdhsa_exception_fp_ieee_inexact 0
		.amdhsa_exception_int_div_zero 0
	.end_amdhsa_kernel
	.section	.text._ZN7rocprim17ROCPRIM_400000_NS6detail17trampoline_kernelINS0_14default_configENS1_25partition_config_selectorILNS1_17partition_subalgoE5ExNS0_10empty_typeEbEEZZNS1_14partition_implILS5_5ELb0ES3_mN6thrust23THRUST_200600_302600_NS6detail15normal_iteratorINSA_10device_ptrIxEEEEPS6_NSA_18transform_iteratorINSB_9not_fun_tI7is_trueIxEEENSC_INSD_IbEEEENSA_11use_defaultESO_EENS0_5tupleIJNSA_16discard_iteratorISO_EES6_EEENSQ_IJSG_SG_EEES6_PlJS6_EEE10hipError_tPvRmT3_T4_T5_T6_T7_T9_mT8_P12ihipStream_tbDpT10_ENKUlT_T0_E_clISt17integral_constantIbLb0EES1E_IbLb1EEEEDaS1A_S1B_EUlS1A_E_NS1_11comp_targetILNS1_3genE5ELNS1_11target_archE942ELNS1_3gpuE9ELNS1_3repE0EEENS1_30default_config_static_selectorELNS0_4arch9wavefront6targetE0EEEvT1_,"axG",@progbits,_ZN7rocprim17ROCPRIM_400000_NS6detail17trampoline_kernelINS0_14default_configENS1_25partition_config_selectorILNS1_17partition_subalgoE5ExNS0_10empty_typeEbEEZZNS1_14partition_implILS5_5ELb0ES3_mN6thrust23THRUST_200600_302600_NS6detail15normal_iteratorINSA_10device_ptrIxEEEEPS6_NSA_18transform_iteratorINSB_9not_fun_tI7is_trueIxEEENSC_INSD_IbEEEENSA_11use_defaultESO_EENS0_5tupleIJNSA_16discard_iteratorISO_EES6_EEENSQ_IJSG_SG_EEES6_PlJS6_EEE10hipError_tPvRmT3_T4_T5_T6_T7_T9_mT8_P12ihipStream_tbDpT10_ENKUlT_T0_E_clISt17integral_constantIbLb0EES1E_IbLb1EEEEDaS1A_S1B_EUlS1A_E_NS1_11comp_targetILNS1_3genE5ELNS1_11target_archE942ELNS1_3gpuE9ELNS1_3repE0EEENS1_30default_config_static_selectorELNS0_4arch9wavefront6targetE0EEEvT1_,comdat
.Lfunc_end2774:
	.size	_ZN7rocprim17ROCPRIM_400000_NS6detail17trampoline_kernelINS0_14default_configENS1_25partition_config_selectorILNS1_17partition_subalgoE5ExNS0_10empty_typeEbEEZZNS1_14partition_implILS5_5ELb0ES3_mN6thrust23THRUST_200600_302600_NS6detail15normal_iteratorINSA_10device_ptrIxEEEEPS6_NSA_18transform_iteratorINSB_9not_fun_tI7is_trueIxEEENSC_INSD_IbEEEENSA_11use_defaultESO_EENS0_5tupleIJNSA_16discard_iteratorISO_EES6_EEENSQ_IJSG_SG_EEES6_PlJS6_EEE10hipError_tPvRmT3_T4_T5_T6_T7_T9_mT8_P12ihipStream_tbDpT10_ENKUlT_T0_E_clISt17integral_constantIbLb0EES1E_IbLb1EEEEDaS1A_S1B_EUlS1A_E_NS1_11comp_targetILNS1_3genE5ELNS1_11target_archE942ELNS1_3gpuE9ELNS1_3repE0EEENS1_30default_config_static_selectorELNS0_4arch9wavefront6targetE0EEEvT1_, .Lfunc_end2774-_ZN7rocprim17ROCPRIM_400000_NS6detail17trampoline_kernelINS0_14default_configENS1_25partition_config_selectorILNS1_17partition_subalgoE5ExNS0_10empty_typeEbEEZZNS1_14partition_implILS5_5ELb0ES3_mN6thrust23THRUST_200600_302600_NS6detail15normal_iteratorINSA_10device_ptrIxEEEEPS6_NSA_18transform_iteratorINSB_9not_fun_tI7is_trueIxEEENSC_INSD_IbEEEENSA_11use_defaultESO_EENS0_5tupleIJNSA_16discard_iteratorISO_EES6_EEENSQ_IJSG_SG_EEES6_PlJS6_EEE10hipError_tPvRmT3_T4_T5_T6_T7_T9_mT8_P12ihipStream_tbDpT10_ENKUlT_T0_E_clISt17integral_constantIbLb0EES1E_IbLb1EEEEDaS1A_S1B_EUlS1A_E_NS1_11comp_targetILNS1_3genE5ELNS1_11target_archE942ELNS1_3gpuE9ELNS1_3repE0EEENS1_30default_config_static_selectorELNS0_4arch9wavefront6targetE0EEEvT1_
                                        ; -- End function
	.set _ZN7rocprim17ROCPRIM_400000_NS6detail17trampoline_kernelINS0_14default_configENS1_25partition_config_selectorILNS1_17partition_subalgoE5ExNS0_10empty_typeEbEEZZNS1_14partition_implILS5_5ELb0ES3_mN6thrust23THRUST_200600_302600_NS6detail15normal_iteratorINSA_10device_ptrIxEEEEPS6_NSA_18transform_iteratorINSB_9not_fun_tI7is_trueIxEEENSC_INSD_IbEEEENSA_11use_defaultESO_EENS0_5tupleIJNSA_16discard_iteratorISO_EES6_EEENSQ_IJSG_SG_EEES6_PlJS6_EEE10hipError_tPvRmT3_T4_T5_T6_T7_T9_mT8_P12ihipStream_tbDpT10_ENKUlT_T0_E_clISt17integral_constantIbLb0EES1E_IbLb1EEEEDaS1A_S1B_EUlS1A_E_NS1_11comp_targetILNS1_3genE5ELNS1_11target_archE942ELNS1_3gpuE9ELNS1_3repE0EEENS1_30default_config_static_selectorELNS0_4arch9wavefront6targetE0EEEvT1_.num_vgpr, 0
	.set _ZN7rocprim17ROCPRIM_400000_NS6detail17trampoline_kernelINS0_14default_configENS1_25partition_config_selectorILNS1_17partition_subalgoE5ExNS0_10empty_typeEbEEZZNS1_14partition_implILS5_5ELb0ES3_mN6thrust23THRUST_200600_302600_NS6detail15normal_iteratorINSA_10device_ptrIxEEEEPS6_NSA_18transform_iteratorINSB_9not_fun_tI7is_trueIxEEENSC_INSD_IbEEEENSA_11use_defaultESO_EENS0_5tupleIJNSA_16discard_iteratorISO_EES6_EEENSQ_IJSG_SG_EEES6_PlJS6_EEE10hipError_tPvRmT3_T4_T5_T6_T7_T9_mT8_P12ihipStream_tbDpT10_ENKUlT_T0_E_clISt17integral_constantIbLb0EES1E_IbLb1EEEEDaS1A_S1B_EUlS1A_E_NS1_11comp_targetILNS1_3genE5ELNS1_11target_archE942ELNS1_3gpuE9ELNS1_3repE0EEENS1_30default_config_static_selectorELNS0_4arch9wavefront6targetE0EEEvT1_.num_agpr, 0
	.set _ZN7rocprim17ROCPRIM_400000_NS6detail17trampoline_kernelINS0_14default_configENS1_25partition_config_selectorILNS1_17partition_subalgoE5ExNS0_10empty_typeEbEEZZNS1_14partition_implILS5_5ELb0ES3_mN6thrust23THRUST_200600_302600_NS6detail15normal_iteratorINSA_10device_ptrIxEEEEPS6_NSA_18transform_iteratorINSB_9not_fun_tI7is_trueIxEEENSC_INSD_IbEEEENSA_11use_defaultESO_EENS0_5tupleIJNSA_16discard_iteratorISO_EES6_EEENSQ_IJSG_SG_EEES6_PlJS6_EEE10hipError_tPvRmT3_T4_T5_T6_T7_T9_mT8_P12ihipStream_tbDpT10_ENKUlT_T0_E_clISt17integral_constantIbLb0EES1E_IbLb1EEEEDaS1A_S1B_EUlS1A_E_NS1_11comp_targetILNS1_3genE5ELNS1_11target_archE942ELNS1_3gpuE9ELNS1_3repE0EEENS1_30default_config_static_selectorELNS0_4arch9wavefront6targetE0EEEvT1_.numbered_sgpr, 0
	.set _ZN7rocprim17ROCPRIM_400000_NS6detail17trampoline_kernelINS0_14default_configENS1_25partition_config_selectorILNS1_17partition_subalgoE5ExNS0_10empty_typeEbEEZZNS1_14partition_implILS5_5ELb0ES3_mN6thrust23THRUST_200600_302600_NS6detail15normal_iteratorINSA_10device_ptrIxEEEEPS6_NSA_18transform_iteratorINSB_9not_fun_tI7is_trueIxEEENSC_INSD_IbEEEENSA_11use_defaultESO_EENS0_5tupleIJNSA_16discard_iteratorISO_EES6_EEENSQ_IJSG_SG_EEES6_PlJS6_EEE10hipError_tPvRmT3_T4_T5_T6_T7_T9_mT8_P12ihipStream_tbDpT10_ENKUlT_T0_E_clISt17integral_constantIbLb0EES1E_IbLb1EEEEDaS1A_S1B_EUlS1A_E_NS1_11comp_targetILNS1_3genE5ELNS1_11target_archE942ELNS1_3gpuE9ELNS1_3repE0EEENS1_30default_config_static_selectorELNS0_4arch9wavefront6targetE0EEEvT1_.num_named_barrier, 0
	.set _ZN7rocprim17ROCPRIM_400000_NS6detail17trampoline_kernelINS0_14default_configENS1_25partition_config_selectorILNS1_17partition_subalgoE5ExNS0_10empty_typeEbEEZZNS1_14partition_implILS5_5ELb0ES3_mN6thrust23THRUST_200600_302600_NS6detail15normal_iteratorINSA_10device_ptrIxEEEEPS6_NSA_18transform_iteratorINSB_9not_fun_tI7is_trueIxEEENSC_INSD_IbEEEENSA_11use_defaultESO_EENS0_5tupleIJNSA_16discard_iteratorISO_EES6_EEENSQ_IJSG_SG_EEES6_PlJS6_EEE10hipError_tPvRmT3_T4_T5_T6_T7_T9_mT8_P12ihipStream_tbDpT10_ENKUlT_T0_E_clISt17integral_constantIbLb0EES1E_IbLb1EEEEDaS1A_S1B_EUlS1A_E_NS1_11comp_targetILNS1_3genE5ELNS1_11target_archE942ELNS1_3gpuE9ELNS1_3repE0EEENS1_30default_config_static_selectorELNS0_4arch9wavefront6targetE0EEEvT1_.private_seg_size, 0
	.set _ZN7rocprim17ROCPRIM_400000_NS6detail17trampoline_kernelINS0_14default_configENS1_25partition_config_selectorILNS1_17partition_subalgoE5ExNS0_10empty_typeEbEEZZNS1_14partition_implILS5_5ELb0ES3_mN6thrust23THRUST_200600_302600_NS6detail15normal_iteratorINSA_10device_ptrIxEEEEPS6_NSA_18transform_iteratorINSB_9not_fun_tI7is_trueIxEEENSC_INSD_IbEEEENSA_11use_defaultESO_EENS0_5tupleIJNSA_16discard_iteratorISO_EES6_EEENSQ_IJSG_SG_EEES6_PlJS6_EEE10hipError_tPvRmT3_T4_T5_T6_T7_T9_mT8_P12ihipStream_tbDpT10_ENKUlT_T0_E_clISt17integral_constantIbLb0EES1E_IbLb1EEEEDaS1A_S1B_EUlS1A_E_NS1_11comp_targetILNS1_3genE5ELNS1_11target_archE942ELNS1_3gpuE9ELNS1_3repE0EEENS1_30default_config_static_selectorELNS0_4arch9wavefront6targetE0EEEvT1_.uses_vcc, 0
	.set _ZN7rocprim17ROCPRIM_400000_NS6detail17trampoline_kernelINS0_14default_configENS1_25partition_config_selectorILNS1_17partition_subalgoE5ExNS0_10empty_typeEbEEZZNS1_14partition_implILS5_5ELb0ES3_mN6thrust23THRUST_200600_302600_NS6detail15normal_iteratorINSA_10device_ptrIxEEEEPS6_NSA_18transform_iteratorINSB_9not_fun_tI7is_trueIxEEENSC_INSD_IbEEEENSA_11use_defaultESO_EENS0_5tupleIJNSA_16discard_iteratorISO_EES6_EEENSQ_IJSG_SG_EEES6_PlJS6_EEE10hipError_tPvRmT3_T4_T5_T6_T7_T9_mT8_P12ihipStream_tbDpT10_ENKUlT_T0_E_clISt17integral_constantIbLb0EES1E_IbLb1EEEEDaS1A_S1B_EUlS1A_E_NS1_11comp_targetILNS1_3genE5ELNS1_11target_archE942ELNS1_3gpuE9ELNS1_3repE0EEENS1_30default_config_static_selectorELNS0_4arch9wavefront6targetE0EEEvT1_.uses_flat_scratch, 0
	.set _ZN7rocprim17ROCPRIM_400000_NS6detail17trampoline_kernelINS0_14default_configENS1_25partition_config_selectorILNS1_17partition_subalgoE5ExNS0_10empty_typeEbEEZZNS1_14partition_implILS5_5ELb0ES3_mN6thrust23THRUST_200600_302600_NS6detail15normal_iteratorINSA_10device_ptrIxEEEEPS6_NSA_18transform_iteratorINSB_9not_fun_tI7is_trueIxEEENSC_INSD_IbEEEENSA_11use_defaultESO_EENS0_5tupleIJNSA_16discard_iteratorISO_EES6_EEENSQ_IJSG_SG_EEES6_PlJS6_EEE10hipError_tPvRmT3_T4_T5_T6_T7_T9_mT8_P12ihipStream_tbDpT10_ENKUlT_T0_E_clISt17integral_constantIbLb0EES1E_IbLb1EEEEDaS1A_S1B_EUlS1A_E_NS1_11comp_targetILNS1_3genE5ELNS1_11target_archE942ELNS1_3gpuE9ELNS1_3repE0EEENS1_30default_config_static_selectorELNS0_4arch9wavefront6targetE0EEEvT1_.has_dyn_sized_stack, 0
	.set _ZN7rocprim17ROCPRIM_400000_NS6detail17trampoline_kernelINS0_14default_configENS1_25partition_config_selectorILNS1_17partition_subalgoE5ExNS0_10empty_typeEbEEZZNS1_14partition_implILS5_5ELb0ES3_mN6thrust23THRUST_200600_302600_NS6detail15normal_iteratorINSA_10device_ptrIxEEEEPS6_NSA_18transform_iteratorINSB_9not_fun_tI7is_trueIxEEENSC_INSD_IbEEEENSA_11use_defaultESO_EENS0_5tupleIJNSA_16discard_iteratorISO_EES6_EEENSQ_IJSG_SG_EEES6_PlJS6_EEE10hipError_tPvRmT3_T4_T5_T6_T7_T9_mT8_P12ihipStream_tbDpT10_ENKUlT_T0_E_clISt17integral_constantIbLb0EES1E_IbLb1EEEEDaS1A_S1B_EUlS1A_E_NS1_11comp_targetILNS1_3genE5ELNS1_11target_archE942ELNS1_3gpuE9ELNS1_3repE0EEENS1_30default_config_static_selectorELNS0_4arch9wavefront6targetE0EEEvT1_.has_recursion, 0
	.set _ZN7rocprim17ROCPRIM_400000_NS6detail17trampoline_kernelINS0_14default_configENS1_25partition_config_selectorILNS1_17partition_subalgoE5ExNS0_10empty_typeEbEEZZNS1_14partition_implILS5_5ELb0ES3_mN6thrust23THRUST_200600_302600_NS6detail15normal_iteratorINSA_10device_ptrIxEEEEPS6_NSA_18transform_iteratorINSB_9not_fun_tI7is_trueIxEEENSC_INSD_IbEEEENSA_11use_defaultESO_EENS0_5tupleIJNSA_16discard_iteratorISO_EES6_EEENSQ_IJSG_SG_EEES6_PlJS6_EEE10hipError_tPvRmT3_T4_T5_T6_T7_T9_mT8_P12ihipStream_tbDpT10_ENKUlT_T0_E_clISt17integral_constantIbLb0EES1E_IbLb1EEEEDaS1A_S1B_EUlS1A_E_NS1_11comp_targetILNS1_3genE5ELNS1_11target_archE942ELNS1_3gpuE9ELNS1_3repE0EEENS1_30default_config_static_selectorELNS0_4arch9wavefront6targetE0EEEvT1_.has_indirect_call, 0
	.section	.AMDGPU.csdata,"",@progbits
; Kernel info:
; codeLenInByte = 0
; TotalNumSgprs: 0
; NumVgprs: 0
; ScratchSize: 0
; MemoryBound: 0
; FloatMode: 240
; IeeeMode: 1
; LDSByteSize: 0 bytes/workgroup (compile time only)
; SGPRBlocks: 0
; VGPRBlocks: 0
; NumSGPRsForWavesPerEU: 1
; NumVGPRsForWavesPerEU: 1
; Occupancy: 16
; WaveLimiterHint : 0
; COMPUTE_PGM_RSRC2:SCRATCH_EN: 0
; COMPUTE_PGM_RSRC2:USER_SGPR: 2
; COMPUTE_PGM_RSRC2:TRAP_HANDLER: 0
; COMPUTE_PGM_RSRC2:TGID_X_EN: 1
; COMPUTE_PGM_RSRC2:TGID_Y_EN: 0
; COMPUTE_PGM_RSRC2:TGID_Z_EN: 0
; COMPUTE_PGM_RSRC2:TIDIG_COMP_CNT: 0
	.section	.text._ZN7rocprim17ROCPRIM_400000_NS6detail17trampoline_kernelINS0_14default_configENS1_25partition_config_selectorILNS1_17partition_subalgoE5ExNS0_10empty_typeEbEEZZNS1_14partition_implILS5_5ELb0ES3_mN6thrust23THRUST_200600_302600_NS6detail15normal_iteratorINSA_10device_ptrIxEEEEPS6_NSA_18transform_iteratorINSB_9not_fun_tI7is_trueIxEEENSC_INSD_IbEEEENSA_11use_defaultESO_EENS0_5tupleIJNSA_16discard_iteratorISO_EES6_EEENSQ_IJSG_SG_EEES6_PlJS6_EEE10hipError_tPvRmT3_T4_T5_T6_T7_T9_mT8_P12ihipStream_tbDpT10_ENKUlT_T0_E_clISt17integral_constantIbLb0EES1E_IbLb1EEEEDaS1A_S1B_EUlS1A_E_NS1_11comp_targetILNS1_3genE4ELNS1_11target_archE910ELNS1_3gpuE8ELNS1_3repE0EEENS1_30default_config_static_selectorELNS0_4arch9wavefront6targetE0EEEvT1_,"axG",@progbits,_ZN7rocprim17ROCPRIM_400000_NS6detail17trampoline_kernelINS0_14default_configENS1_25partition_config_selectorILNS1_17partition_subalgoE5ExNS0_10empty_typeEbEEZZNS1_14partition_implILS5_5ELb0ES3_mN6thrust23THRUST_200600_302600_NS6detail15normal_iteratorINSA_10device_ptrIxEEEEPS6_NSA_18transform_iteratorINSB_9not_fun_tI7is_trueIxEEENSC_INSD_IbEEEENSA_11use_defaultESO_EENS0_5tupleIJNSA_16discard_iteratorISO_EES6_EEENSQ_IJSG_SG_EEES6_PlJS6_EEE10hipError_tPvRmT3_T4_T5_T6_T7_T9_mT8_P12ihipStream_tbDpT10_ENKUlT_T0_E_clISt17integral_constantIbLb0EES1E_IbLb1EEEEDaS1A_S1B_EUlS1A_E_NS1_11comp_targetILNS1_3genE4ELNS1_11target_archE910ELNS1_3gpuE8ELNS1_3repE0EEENS1_30default_config_static_selectorELNS0_4arch9wavefront6targetE0EEEvT1_,comdat
	.protected	_ZN7rocprim17ROCPRIM_400000_NS6detail17trampoline_kernelINS0_14default_configENS1_25partition_config_selectorILNS1_17partition_subalgoE5ExNS0_10empty_typeEbEEZZNS1_14partition_implILS5_5ELb0ES3_mN6thrust23THRUST_200600_302600_NS6detail15normal_iteratorINSA_10device_ptrIxEEEEPS6_NSA_18transform_iteratorINSB_9not_fun_tI7is_trueIxEEENSC_INSD_IbEEEENSA_11use_defaultESO_EENS0_5tupleIJNSA_16discard_iteratorISO_EES6_EEENSQ_IJSG_SG_EEES6_PlJS6_EEE10hipError_tPvRmT3_T4_T5_T6_T7_T9_mT8_P12ihipStream_tbDpT10_ENKUlT_T0_E_clISt17integral_constantIbLb0EES1E_IbLb1EEEEDaS1A_S1B_EUlS1A_E_NS1_11comp_targetILNS1_3genE4ELNS1_11target_archE910ELNS1_3gpuE8ELNS1_3repE0EEENS1_30default_config_static_selectorELNS0_4arch9wavefront6targetE0EEEvT1_ ; -- Begin function _ZN7rocprim17ROCPRIM_400000_NS6detail17trampoline_kernelINS0_14default_configENS1_25partition_config_selectorILNS1_17partition_subalgoE5ExNS0_10empty_typeEbEEZZNS1_14partition_implILS5_5ELb0ES3_mN6thrust23THRUST_200600_302600_NS6detail15normal_iteratorINSA_10device_ptrIxEEEEPS6_NSA_18transform_iteratorINSB_9not_fun_tI7is_trueIxEEENSC_INSD_IbEEEENSA_11use_defaultESO_EENS0_5tupleIJNSA_16discard_iteratorISO_EES6_EEENSQ_IJSG_SG_EEES6_PlJS6_EEE10hipError_tPvRmT3_T4_T5_T6_T7_T9_mT8_P12ihipStream_tbDpT10_ENKUlT_T0_E_clISt17integral_constantIbLb0EES1E_IbLb1EEEEDaS1A_S1B_EUlS1A_E_NS1_11comp_targetILNS1_3genE4ELNS1_11target_archE910ELNS1_3gpuE8ELNS1_3repE0EEENS1_30default_config_static_selectorELNS0_4arch9wavefront6targetE0EEEvT1_
	.globl	_ZN7rocprim17ROCPRIM_400000_NS6detail17trampoline_kernelINS0_14default_configENS1_25partition_config_selectorILNS1_17partition_subalgoE5ExNS0_10empty_typeEbEEZZNS1_14partition_implILS5_5ELb0ES3_mN6thrust23THRUST_200600_302600_NS6detail15normal_iteratorINSA_10device_ptrIxEEEEPS6_NSA_18transform_iteratorINSB_9not_fun_tI7is_trueIxEEENSC_INSD_IbEEEENSA_11use_defaultESO_EENS0_5tupleIJNSA_16discard_iteratorISO_EES6_EEENSQ_IJSG_SG_EEES6_PlJS6_EEE10hipError_tPvRmT3_T4_T5_T6_T7_T9_mT8_P12ihipStream_tbDpT10_ENKUlT_T0_E_clISt17integral_constantIbLb0EES1E_IbLb1EEEEDaS1A_S1B_EUlS1A_E_NS1_11comp_targetILNS1_3genE4ELNS1_11target_archE910ELNS1_3gpuE8ELNS1_3repE0EEENS1_30default_config_static_selectorELNS0_4arch9wavefront6targetE0EEEvT1_
	.p2align	8
	.type	_ZN7rocprim17ROCPRIM_400000_NS6detail17trampoline_kernelINS0_14default_configENS1_25partition_config_selectorILNS1_17partition_subalgoE5ExNS0_10empty_typeEbEEZZNS1_14partition_implILS5_5ELb0ES3_mN6thrust23THRUST_200600_302600_NS6detail15normal_iteratorINSA_10device_ptrIxEEEEPS6_NSA_18transform_iteratorINSB_9not_fun_tI7is_trueIxEEENSC_INSD_IbEEEENSA_11use_defaultESO_EENS0_5tupleIJNSA_16discard_iteratorISO_EES6_EEENSQ_IJSG_SG_EEES6_PlJS6_EEE10hipError_tPvRmT3_T4_T5_T6_T7_T9_mT8_P12ihipStream_tbDpT10_ENKUlT_T0_E_clISt17integral_constantIbLb0EES1E_IbLb1EEEEDaS1A_S1B_EUlS1A_E_NS1_11comp_targetILNS1_3genE4ELNS1_11target_archE910ELNS1_3gpuE8ELNS1_3repE0EEENS1_30default_config_static_selectorELNS0_4arch9wavefront6targetE0EEEvT1_,@function
_ZN7rocprim17ROCPRIM_400000_NS6detail17trampoline_kernelINS0_14default_configENS1_25partition_config_selectorILNS1_17partition_subalgoE5ExNS0_10empty_typeEbEEZZNS1_14partition_implILS5_5ELb0ES3_mN6thrust23THRUST_200600_302600_NS6detail15normal_iteratorINSA_10device_ptrIxEEEEPS6_NSA_18transform_iteratorINSB_9not_fun_tI7is_trueIxEEENSC_INSD_IbEEEENSA_11use_defaultESO_EENS0_5tupleIJNSA_16discard_iteratorISO_EES6_EEENSQ_IJSG_SG_EEES6_PlJS6_EEE10hipError_tPvRmT3_T4_T5_T6_T7_T9_mT8_P12ihipStream_tbDpT10_ENKUlT_T0_E_clISt17integral_constantIbLb0EES1E_IbLb1EEEEDaS1A_S1B_EUlS1A_E_NS1_11comp_targetILNS1_3genE4ELNS1_11target_archE910ELNS1_3gpuE8ELNS1_3repE0EEENS1_30default_config_static_selectorELNS0_4arch9wavefront6targetE0EEEvT1_: ; @_ZN7rocprim17ROCPRIM_400000_NS6detail17trampoline_kernelINS0_14default_configENS1_25partition_config_selectorILNS1_17partition_subalgoE5ExNS0_10empty_typeEbEEZZNS1_14partition_implILS5_5ELb0ES3_mN6thrust23THRUST_200600_302600_NS6detail15normal_iteratorINSA_10device_ptrIxEEEEPS6_NSA_18transform_iteratorINSB_9not_fun_tI7is_trueIxEEENSC_INSD_IbEEEENSA_11use_defaultESO_EENS0_5tupleIJNSA_16discard_iteratorISO_EES6_EEENSQ_IJSG_SG_EEES6_PlJS6_EEE10hipError_tPvRmT3_T4_T5_T6_T7_T9_mT8_P12ihipStream_tbDpT10_ENKUlT_T0_E_clISt17integral_constantIbLb0EES1E_IbLb1EEEEDaS1A_S1B_EUlS1A_E_NS1_11comp_targetILNS1_3genE4ELNS1_11target_archE910ELNS1_3gpuE8ELNS1_3repE0EEENS1_30default_config_static_selectorELNS0_4arch9wavefront6targetE0EEEvT1_
; %bb.0:
	.section	.rodata,"a",@progbits
	.p2align	6, 0x0
	.amdhsa_kernel _ZN7rocprim17ROCPRIM_400000_NS6detail17trampoline_kernelINS0_14default_configENS1_25partition_config_selectorILNS1_17partition_subalgoE5ExNS0_10empty_typeEbEEZZNS1_14partition_implILS5_5ELb0ES3_mN6thrust23THRUST_200600_302600_NS6detail15normal_iteratorINSA_10device_ptrIxEEEEPS6_NSA_18transform_iteratorINSB_9not_fun_tI7is_trueIxEEENSC_INSD_IbEEEENSA_11use_defaultESO_EENS0_5tupleIJNSA_16discard_iteratorISO_EES6_EEENSQ_IJSG_SG_EEES6_PlJS6_EEE10hipError_tPvRmT3_T4_T5_T6_T7_T9_mT8_P12ihipStream_tbDpT10_ENKUlT_T0_E_clISt17integral_constantIbLb0EES1E_IbLb1EEEEDaS1A_S1B_EUlS1A_E_NS1_11comp_targetILNS1_3genE4ELNS1_11target_archE910ELNS1_3gpuE8ELNS1_3repE0EEENS1_30default_config_static_selectorELNS0_4arch9wavefront6targetE0EEEvT1_
		.amdhsa_group_segment_fixed_size 0
		.amdhsa_private_segment_fixed_size 0
		.amdhsa_kernarg_size 144
		.amdhsa_user_sgpr_count 2
		.amdhsa_user_sgpr_dispatch_ptr 0
		.amdhsa_user_sgpr_queue_ptr 0
		.amdhsa_user_sgpr_kernarg_segment_ptr 1
		.amdhsa_user_sgpr_dispatch_id 0
		.amdhsa_user_sgpr_private_segment_size 0
		.amdhsa_wavefront_size32 1
		.amdhsa_uses_dynamic_stack 0
		.amdhsa_enable_private_segment 0
		.amdhsa_system_sgpr_workgroup_id_x 1
		.amdhsa_system_sgpr_workgroup_id_y 0
		.amdhsa_system_sgpr_workgroup_id_z 0
		.amdhsa_system_sgpr_workgroup_info 0
		.amdhsa_system_vgpr_workitem_id 0
		.amdhsa_next_free_vgpr 1
		.amdhsa_next_free_sgpr 1
		.amdhsa_reserve_vcc 0
		.amdhsa_float_round_mode_32 0
		.amdhsa_float_round_mode_16_64 0
		.amdhsa_float_denorm_mode_32 3
		.amdhsa_float_denorm_mode_16_64 3
		.amdhsa_fp16_overflow 0
		.amdhsa_workgroup_processor_mode 1
		.amdhsa_memory_ordered 1
		.amdhsa_forward_progress 1
		.amdhsa_inst_pref_size 0
		.amdhsa_round_robin_scheduling 0
		.amdhsa_exception_fp_ieee_invalid_op 0
		.amdhsa_exception_fp_denorm_src 0
		.amdhsa_exception_fp_ieee_div_zero 0
		.amdhsa_exception_fp_ieee_overflow 0
		.amdhsa_exception_fp_ieee_underflow 0
		.amdhsa_exception_fp_ieee_inexact 0
		.amdhsa_exception_int_div_zero 0
	.end_amdhsa_kernel
	.section	.text._ZN7rocprim17ROCPRIM_400000_NS6detail17trampoline_kernelINS0_14default_configENS1_25partition_config_selectorILNS1_17partition_subalgoE5ExNS0_10empty_typeEbEEZZNS1_14partition_implILS5_5ELb0ES3_mN6thrust23THRUST_200600_302600_NS6detail15normal_iteratorINSA_10device_ptrIxEEEEPS6_NSA_18transform_iteratorINSB_9not_fun_tI7is_trueIxEEENSC_INSD_IbEEEENSA_11use_defaultESO_EENS0_5tupleIJNSA_16discard_iteratorISO_EES6_EEENSQ_IJSG_SG_EEES6_PlJS6_EEE10hipError_tPvRmT3_T4_T5_T6_T7_T9_mT8_P12ihipStream_tbDpT10_ENKUlT_T0_E_clISt17integral_constantIbLb0EES1E_IbLb1EEEEDaS1A_S1B_EUlS1A_E_NS1_11comp_targetILNS1_3genE4ELNS1_11target_archE910ELNS1_3gpuE8ELNS1_3repE0EEENS1_30default_config_static_selectorELNS0_4arch9wavefront6targetE0EEEvT1_,"axG",@progbits,_ZN7rocprim17ROCPRIM_400000_NS6detail17trampoline_kernelINS0_14default_configENS1_25partition_config_selectorILNS1_17partition_subalgoE5ExNS0_10empty_typeEbEEZZNS1_14partition_implILS5_5ELb0ES3_mN6thrust23THRUST_200600_302600_NS6detail15normal_iteratorINSA_10device_ptrIxEEEEPS6_NSA_18transform_iteratorINSB_9not_fun_tI7is_trueIxEEENSC_INSD_IbEEEENSA_11use_defaultESO_EENS0_5tupleIJNSA_16discard_iteratorISO_EES6_EEENSQ_IJSG_SG_EEES6_PlJS6_EEE10hipError_tPvRmT3_T4_T5_T6_T7_T9_mT8_P12ihipStream_tbDpT10_ENKUlT_T0_E_clISt17integral_constantIbLb0EES1E_IbLb1EEEEDaS1A_S1B_EUlS1A_E_NS1_11comp_targetILNS1_3genE4ELNS1_11target_archE910ELNS1_3gpuE8ELNS1_3repE0EEENS1_30default_config_static_selectorELNS0_4arch9wavefront6targetE0EEEvT1_,comdat
.Lfunc_end2775:
	.size	_ZN7rocprim17ROCPRIM_400000_NS6detail17trampoline_kernelINS0_14default_configENS1_25partition_config_selectorILNS1_17partition_subalgoE5ExNS0_10empty_typeEbEEZZNS1_14partition_implILS5_5ELb0ES3_mN6thrust23THRUST_200600_302600_NS6detail15normal_iteratorINSA_10device_ptrIxEEEEPS6_NSA_18transform_iteratorINSB_9not_fun_tI7is_trueIxEEENSC_INSD_IbEEEENSA_11use_defaultESO_EENS0_5tupleIJNSA_16discard_iteratorISO_EES6_EEENSQ_IJSG_SG_EEES6_PlJS6_EEE10hipError_tPvRmT3_T4_T5_T6_T7_T9_mT8_P12ihipStream_tbDpT10_ENKUlT_T0_E_clISt17integral_constantIbLb0EES1E_IbLb1EEEEDaS1A_S1B_EUlS1A_E_NS1_11comp_targetILNS1_3genE4ELNS1_11target_archE910ELNS1_3gpuE8ELNS1_3repE0EEENS1_30default_config_static_selectorELNS0_4arch9wavefront6targetE0EEEvT1_, .Lfunc_end2775-_ZN7rocprim17ROCPRIM_400000_NS6detail17trampoline_kernelINS0_14default_configENS1_25partition_config_selectorILNS1_17partition_subalgoE5ExNS0_10empty_typeEbEEZZNS1_14partition_implILS5_5ELb0ES3_mN6thrust23THRUST_200600_302600_NS6detail15normal_iteratorINSA_10device_ptrIxEEEEPS6_NSA_18transform_iteratorINSB_9not_fun_tI7is_trueIxEEENSC_INSD_IbEEEENSA_11use_defaultESO_EENS0_5tupleIJNSA_16discard_iteratorISO_EES6_EEENSQ_IJSG_SG_EEES6_PlJS6_EEE10hipError_tPvRmT3_T4_T5_T6_T7_T9_mT8_P12ihipStream_tbDpT10_ENKUlT_T0_E_clISt17integral_constantIbLb0EES1E_IbLb1EEEEDaS1A_S1B_EUlS1A_E_NS1_11comp_targetILNS1_3genE4ELNS1_11target_archE910ELNS1_3gpuE8ELNS1_3repE0EEENS1_30default_config_static_selectorELNS0_4arch9wavefront6targetE0EEEvT1_
                                        ; -- End function
	.set _ZN7rocprim17ROCPRIM_400000_NS6detail17trampoline_kernelINS0_14default_configENS1_25partition_config_selectorILNS1_17partition_subalgoE5ExNS0_10empty_typeEbEEZZNS1_14partition_implILS5_5ELb0ES3_mN6thrust23THRUST_200600_302600_NS6detail15normal_iteratorINSA_10device_ptrIxEEEEPS6_NSA_18transform_iteratorINSB_9not_fun_tI7is_trueIxEEENSC_INSD_IbEEEENSA_11use_defaultESO_EENS0_5tupleIJNSA_16discard_iteratorISO_EES6_EEENSQ_IJSG_SG_EEES6_PlJS6_EEE10hipError_tPvRmT3_T4_T5_T6_T7_T9_mT8_P12ihipStream_tbDpT10_ENKUlT_T0_E_clISt17integral_constantIbLb0EES1E_IbLb1EEEEDaS1A_S1B_EUlS1A_E_NS1_11comp_targetILNS1_3genE4ELNS1_11target_archE910ELNS1_3gpuE8ELNS1_3repE0EEENS1_30default_config_static_selectorELNS0_4arch9wavefront6targetE0EEEvT1_.num_vgpr, 0
	.set _ZN7rocprim17ROCPRIM_400000_NS6detail17trampoline_kernelINS0_14default_configENS1_25partition_config_selectorILNS1_17partition_subalgoE5ExNS0_10empty_typeEbEEZZNS1_14partition_implILS5_5ELb0ES3_mN6thrust23THRUST_200600_302600_NS6detail15normal_iteratorINSA_10device_ptrIxEEEEPS6_NSA_18transform_iteratorINSB_9not_fun_tI7is_trueIxEEENSC_INSD_IbEEEENSA_11use_defaultESO_EENS0_5tupleIJNSA_16discard_iteratorISO_EES6_EEENSQ_IJSG_SG_EEES6_PlJS6_EEE10hipError_tPvRmT3_T4_T5_T6_T7_T9_mT8_P12ihipStream_tbDpT10_ENKUlT_T0_E_clISt17integral_constantIbLb0EES1E_IbLb1EEEEDaS1A_S1B_EUlS1A_E_NS1_11comp_targetILNS1_3genE4ELNS1_11target_archE910ELNS1_3gpuE8ELNS1_3repE0EEENS1_30default_config_static_selectorELNS0_4arch9wavefront6targetE0EEEvT1_.num_agpr, 0
	.set _ZN7rocprim17ROCPRIM_400000_NS6detail17trampoline_kernelINS0_14default_configENS1_25partition_config_selectorILNS1_17partition_subalgoE5ExNS0_10empty_typeEbEEZZNS1_14partition_implILS5_5ELb0ES3_mN6thrust23THRUST_200600_302600_NS6detail15normal_iteratorINSA_10device_ptrIxEEEEPS6_NSA_18transform_iteratorINSB_9not_fun_tI7is_trueIxEEENSC_INSD_IbEEEENSA_11use_defaultESO_EENS0_5tupleIJNSA_16discard_iteratorISO_EES6_EEENSQ_IJSG_SG_EEES6_PlJS6_EEE10hipError_tPvRmT3_T4_T5_T6_T7_T9_mT8_P12ihipStream_tbDpT10_ENKUlT_T0_E_clISt17integral_constantIbLb0EES1E_IbLb1EEEEDaS1A_S1B_EUlS1A_E_NS1_11comp_targetILNS1_3genE4ELNS1_11target_archE910ELNS1_3gpuE8ELNS1_3repE0EEENS1_30default_config_static_selectorELNS0_4arch9wavefront6targetE0EEEvT1_.numbered_sgpr, 0
	.set _ZN7rocprim17ROCPRIM_400000_NS6detail17trampoline_kernelINS0_14default_configENS1_25partition_config_selectorILNS1_17partition_subalgoE5ExNS0_10empty_typeEbEEZZNS1_14partition_implILS5_5ELb0ES3_mN6thrust23THRUST_200600_302600_NS6detail15normal_iteratorINSA_10device_ptrIxEEEEPS6_NSA_18transform_iteratorINSB_9not_fun_tI7is_trueIxEEENSC_INSD_IbEEEENSA_11use_defaultESO_EENS0_5tupleIJNSA_16discard_iteratorISO_EES6_EEENSQ_IJSG_SG_EEES6_PlJS6_EEE10hipError_tPvRmT3_T4_T5_T6_T7_T9_mT8_P12ihipStream_tbDpT10_ENKUlT_T0_E_clISt17integral_constantIbLb0EES1E_IbLb1EEEEDaS1A_S1B_EUlS1A_E_NS1_11comp_targetILNS1_3genE4ELNS1_11target_archE910ELNS1_3gpuE8ELNS1_3repE0EEENS1_30default_config_static_selectorELNS0_4arch9wavefront6targetE0EEEvT1_.num_named_barrier, 0
	.set _ZN7rocprim17ROCPRIM_400000_NS6detail17trampoline_kernelINS0_14default_configENS1_25partition_config_selectorILNS1_17partition_subalgoE5ExNS0_10empty_typeEbEEZZNS1_14partition_implILS5_5ELb0ES3_mN6thrust23THRUST_200600_302600_NS6detail15normal_iteratorINSA_10device_ptrIxEEEEPS6_NSA_18transform_iteratorINSB_9not_fun_tI7is_trueIxEEENSC_INSD_IbEEEENSA_11use_defaultESO_EENS0_5tupleIJNSA_16discard_iteratorISO_EES6_EEENSQ_IJSG_SG_EEES6_PlJS6_EEE10hipError_tPvRmT3_T4_T5_T6_T7_T9_mT8_P12ihipStream_tbDpT10_ENKUlT_T0_E_clISt17integral_constantIbLb0EES1E_IbLb1EEEEDaS1A_S1B_EUlS1A_E_NS1_11comp_targetILNS1_3genE4ELNS1_11target_archE910ELNS1_3gpuE8ELNS1_3repE0EEENS1_30default_config_static_selectorELNS0_4arch9wavefront6targetE0EEEvT1_.private_seg_size, 0
	.set _ZN7rocprim17ROCPRIM_400000_NS6detail17trampoline_kernelINS0_14default_configENS1_25partition_config_selectorILNS1_17partition_subalgoE5ExNS0_10empty_typeEbEEZZNS1_14partition_implILS5_5ELb0ES3_mN6thrust23THRUST_200600_302600_NS6detail15normal_iteratorINSA_10device_ptrIxEEEEPS6_NSA_18transform_iteratorINSB_9not_fun_tI7is_trueIxEEENSC_INSD_IbEEEENSA_11use_defaultESO_EENS0_5tupleIJNSA_16discard_iteratorISO_EES6_EEENSQ_IJSG_SG_EEES6_PlJS6_EEE10hipError_tPvRmT3_T4_T5_T6_T7_T9_mT8_P12ihipStream_tbDpT10_ENKUlT_T0_E_clISt17integral_constantIbLb0EES1E_IbLb1EEEEDaS1A_S1B_EUlS1A_E_NS1_11comp_targetILNS1_3genE4ELNS1_11target_archE910ELNS1_3gpuE8ELNS1_3repE0EEENS1_30default_config_static_selectorELNS0_4arch9wavefront6targetE0EEEvT1_.uses_vcc, 0
	.set _ZN7rocprim17ROCPRIM_400000_NS6detail17trampoline_kernelINS0_14default_configENS1_25partition_config_selectorILNS1_17partition_subalgoE5ExNS0_10empty_typeEbEEZZNS1_14partition_implILS5_5ELb0ES3_mN6thrust23THRUST_200600_302600_NS6detail15normal_iteratorINSA_10device_ptrIxEEEEPS6_NSA_18transform_iteratorINSB_9not_fun_tI7is_trueIxEEENSC_INSD_IbEEEENSA_11use_defaultESO_EENS0_5tupleIJNSA_16discard_iteratorISO_EES6_EEENSQ_IJSG_SG_EEES6_PlJS6_EEE10hipError_tPvRmT3_T4_T5_T6_T7_T9_mT8_P12ihipStream_tbDpT10_ENKUlT_T0_E_clISt17integral_constantIbLb0EES1E_IbLb1EEEEDaS1A_S1B_EUlS1A_E_NS1_11comp_targetILNS1_3genE4ELNS1_11target_archE910ELNS1_3gpuE8ELNS1_3repE0EEENS1_30default_config_static_selectorELNS0_4arch9wavefront6targetE0EEEvT1_.uses_flat_scratch, 0
	.set _ZN7rocprim17ROCPRIM_400000_NS6detail17trampoline_kernelINS0_14default_configENS1_25partition_config_selectorILNS1_17partition_subalgoE5ExNS0_10empty_typeEbEEZZNS1_14partition_implILS5_5ELb0ES3_mN6thrust23THRUST_200600_302600_NS6detail15normal_iteratorINSA_10device_ptrIxEEEEPS6_NSA_18transform_iteratorINSB_9not_fun_tI7is_trueIxEEENSC_INSD_IbEEEENSA_11use_defaultESO_EENS0_5tupleIJNSA_16discard_iteratorISO_EES6_EEENSQ_IJSG_SG_EEES6_PlJS6_EEE10hipError_tPvRmT3_T4_T5_T6_T7_T9_mT8_P12ihipStream_tbDpT10_ENKUlT_T0_E_clISt17integral_constantIbLb0EES1E_IbLb1EEEEDaS1A_S1B_EUlS1A_E_NS1_11comp_targetILNS1_3genE4ELNS1_11target_archE910ELNS1_3gpuE8ELNS1_3repE0EEENS1_30default_config_static_selectorELNS0_4arch9wavefront6targetE0EEEvT1_.has_dyn_sized_stack, 0
	.set _ZN7rocprim17ROCPRIM_400000_NS6detail17trampoline_kernelINS0_14default_configENS1_25partition_config_selectorILNS1_17partition_subalgoE5ExNS0_10empty_typeEbEEZZNS1_14partition_implILS5_5ELb0ES3_mN6thrust23THRUST_200600_302600_NS6detail15normal_iteratorINSA_10device_ptrIxEEEEPS6_NSA_18transform_iteratorINSB_9not_fun_tI7is_trueIxEEENSC_INSD_IbEEEENSA_11use_defaultESO_EENS0_5tupleIJNSA_16discard_iteratorISO_EES6_EEENSQ_IJSG_SG_EEES6_PlJS6_EEE10hipError_tPvRmT3_T4_T5_T6_T7_T9_mT8_P12ihipStream_tbDpT10_ENKUlT_T0_E_clISt17integral_constantIbLb0EES1E_IbLb1EEEEDaS1A_S1B_EUlS1A_E_NS1_11comp_targetILNS1_3genE4ELNS1_11target_archE910ELNS1_3gpuE8ELNS1_3repE0EEENS1_30default_config_static_selectorELNS0_4arch9wavefront6targetE0EEEvT1_.has_recursion, 0
	.set _ZN7rocprim17ROCPRIM_400000_NS6detail17trampoline_kernelINS0_14default_configENS1_25partition_config_selectorILNS1_17partition_subalgoE5ExNS0_10empty_typeEbEEZZNS1_14partition_implILS5_5ELb0ES3_mN6thrust23THRUST_200600_302600_NS6detail15normal_iteratorINSA_10device_ptrIxEEEEPS6_NSA_18transform_iteratorINSB_9not_fun_tI7is_trueIxEEENSC_INSD_IbEEEENSA_11use_defaultESO_EENS0_5tupleIJNSA_16discard_iteratorISO_EES6_EEENSQ_IJSG_SG_EEES6_PlJS6_EEE10hipError_tPvRmT3_T4_T5_T6_T7_T9_mT8_P12ihipStream_tbDpT10_ENKUlT_T0_E_clISt17integral_constantIbLb0EES1E_IbLb1EEEEDaS1A_S1B_EUlS1A_E_NS1_11comp_targetILNS1_3genE4ELNS1_11target_archE910ELNS1_3gpuE8ELNS1_3repE0EEENS1_30default_config_static_selectorELNS0_4arch9wavefront6targetE0EEEvT1_.has_indirect_call, 0
	.section	.AMDGPU.csdata,"",@progbits
; Kernel info:
; codeLenInByte = 0
; TotalNumSgprs: 0
; NumVgprs: 0
; ScratchSize: 0
; MemoryBound: 0
; FloatMode: 240
; IeeeMode: 1
; LDSByteSize: 0 bytes/workgroup (compile time only)
; SGPRBlocks: 0
; VGPRBlocks: 0
; NumSGPRsForWavesPerEU: 1
; NumVGPRsForWavesPerEU: 1
; Occupancy: 16
; WaveLimiterHint : 0
; COMPUTE_PGM_RSRC2:SCRATCH_EN: 0
; COMPUTE_PGM_RSRC2:USER_SGPR: 2
; COMPUTE_PGM_RSRC2:TRAP_HANDLER: 0
; COMPUTE_PGM_RSRC2:TGID_X_EN: 1
; COMPUTE_PGM_RSRC2:TGID_Y_EN: 0
; COMPUTE_PGM_RSRC2:TGID_Z_EN: 0
; COMPUTE_PGM_RSRC2:TIDIG_COMP_CNT: 0
	.section	.text._ZN7rocprim17ROCPRIM_400000_NS6detail17trampoline_kernelINS0_14default_configENS1_25partition_config_selectorILNS1_17partition_subalgoE5ExNS0_10empty_typeEbEEZZNS1_14partition_implILS5_5ELb0ES3_mN6thrust23THRUST_200600_302600_NS6detail15normal_iteratorINSA_10device_ptrIxEEEEPS6_NSA_18transform_iteratorINSB_9not_fun_tI7is_trueIxEEENSC_INSD_IbEEEENSA_11use_defaultESO_EENS0_5tupleIJNSA_16discard_iteratorISO_EES6_EEENSQ_IJSG_SG_EEES6_PlJS6_EEE10hipError_tPvRmT3_T4_T5_T6_T7_T9_mT8_P12ihipStream_tbDpT10_ENKUlT_T0_E_clISt17integral_constantIbLb0EES1E_IbLb1EEEEDaS1A_S1B_EUlS1A_E_NS1_11comp_targetILNS1_3genE3ELNS1_11target_archE908ELNS1_3gpuE7ELNS1_3repE0EEENS1_30default_config_static_selectorELNS0_4arch9wavefront6targetE0EEEvT1_,"axG",@progbits,_ZN7rocprim17ROCPRIM_400000_NS6detail17trampoline_kernelINS0_14default_configENS1_25partition_config_selectorILNS1_17partition_subalgoE5ExNS0_10empty_typeEbEEZZNS1_14partition_implILS5_5ELb0ES3_mN6thrust23THRUST_200600_302600_NS6detail15normal_iteratorINSA_10device_ptrIxEEEEPS6_NSA_18transform_iteratorINSB_9not_fun_tI7is_trueIxEEENSC_INSD_IbEEEENSA_11use_defaultESO_EENS0_5tupleIJNSA_16discard_iteratorISO_EES6_EEENSQ_IJSG_SG_EEES6_PlJS6_EEE10hipError_tPvRmT3_T4_T5_T6_T7_T9_mT8_P12ihipStream_tbDpT10_ENKUlT_T0_E_clISt17integral_constantIbLb0EES1E_IbLb1EEEEDaS1A_S1B_EUlS1A_E_NS1_11comp_targetILNS1_3genE3ELNS1_11target_archE908ELNS1_3gpuE7ELNS1_3repE0EEENS1_30default_config_static_selectorELNS0_4arch9wavefront6targetE0EEEvT1_,comdat
	.protected	_ZN7rocprim17ROCPRIM_400000_NS6detail17trampoline_kernelINS0_14default_configENS1_25partition_config_selectorILNS1_17partition_subalgoE5ExNS0_10empty_typeEbEEZZNS1_14partition_implILS5_5ELb0ES3_mN6thrust23THRUST_200600_302600_NS6detail15normal_iteratorINSA_10device_ptrIxEEEEPS6_NSA_18transform_iteratorINSB_9not_fun_tI7is_trueIxEEENSC_INSD_IbEEEENSA_11use_defaultESO_EENS0_5tupleIJNSA_16discard_iteratorISO_EES6_EEENSQ_IJSG_SG_EEES6_PlJS6_EEE10hipError_tPvRmT3_T4_T5_T6_T7_T9_mT8_P12ihipStream_tbDpT10_ENKUlT_T0_E_clISt17integral_constantIbLb0EES1E_IbLb1EEEEDaS1A_S1B_EUlS1A_E_NS1_11comp_targetILNS1_3genE3ELNS1_11target_archE908ELNS1_3gpuE7ELNS1_3repE0EEENS1_30default_config_static_selectorELNS0_4arch9wavefront6targetE0EEEvT1_ ; -- Begin function _ZN7rocprim17ROCPRIM_400000_NS6detail17trampoline_kernelINS0_14default_configENS1_25partition_config_selectorILNS1_17partition_subalgoE5ExNS0_10empty_typeEbEEZZNS1_14partition_implILS5_5ELb0ES3_mN6thrust23THRUST_200600_302600_NS6detail15normal_iteratorINSA_10device_ptrIxEEEEPS6_NSA_18transform_iteratorINSB_9not_fun_tI7is_trueIxEEENSC_INSD_IbEEEENSA_11use_defaultESO_EENS0_5tupleIJNSA_16discard_iteratorISO_EES6_EEENSQ_IJSG_SG_EEES6_PlJS6_EEE10hipError_tPvRmT3_T4_T5_T6_T7_T9_mT8_P12ihipStream_tbDpT10_ENKUlT_T0_E_clISt17integral_constantIbLb0EES1E_IbLb1EEEEDaS1A_S1B_EUlS1A_E_NS1_11comp_targetILNS1_3genE3ELNS1_11target_archE908ELNS1_3gpuE7ELNS1_3repE0EEENS1_30default_config_static_selectorELNS0_4arch9wavefront6targetE0EEEvT1_
	.globl	_ZN7rocprim17ROCPRIM_400000_NS6detail17trampoline_kernelINS0_14default_configENS1_25partition_config_selectorILNS1_17partition_subalgoE5ExNS0_10empty_typeEbEEZZNS1_14partition_implILS5_5ELb0ES3_mN6thrust23THRUST_200600_302600_NS6detail15normal_iteratorINSA_10device_ptrIxEEEEPS6_NSA_18transform_iteratorINSB_9not_fun_tI7is_trueIxEEENSC_INSD_IbEEEENSA_11use_defaultESO_EENS0_5tupleIJNSA_16discard_iteratorISO_EES6_EEENSQ_IJSG_SG_EEES6_PlJS6_EEE10hipError_tPvRmT3_T4_T5_T6_T7_T9_mT8_P12ihipStream_tbDpT10_ENKUlT_T0_E_clISt17integral_constantIbLb0EES1E_IbLb1EEEEDaS1A_S1B_EUlS1A_E_NS1_11comp_targetILNS1_3genE3ELNS1_11target_archE908ELNS1_3gpuE7ELNS1_3repE0EEENS1_30default_config_static_selectorELNS0_4arch9wavefront6targetE0EEEvT1_
	.p2align	8
	.type	_ZN7rocprim17ROCPRIM_400000_NS6detail17trampoline_kernelINS0_14default_configENS1_25partition_config_selectorILNS1_17partition_subalgoE5ExNS0_10empty_typeEbEEZZNS1_14partition_implILS5_5ELb0ES3_mN6thrust23THRUST_200600_302600_NS6detail15normal_iteratorINSA_10device_ptrIxEEEEPS6_NSA_18transform_iteratorINSB_9not_fun_tI7is_trueIxEEENSC_INSD_IbEEEENSA_11use_defaultESO_EENS0_5tupleIJNSA_16discard_iteratorISO_EES6_EEENSQ_IJSG_SG_EEES6_PlJS6_EEE10hipError_tPvRmT3_T4_T5_T6_T7_T9_mT8_P12ihipStream_tbDpT10_ENKUlT_T0_E_clISt17integral_constantIbLb0EES1E_IbLb1EEEEDaS1A_S1B_EUlS1A_E_NS1_11comp_targetILNS1_3genE3ELNS1_11target_archE908ELNS1_3gpuE7ELNS1_3repE0EEENS1_30default_config_static_selectorELNS0_4arch9wavefront6targetE0EEEvT1_,@function
_ZN7rocprim17ROCPRIM_400000_NS6detail17trampoline_kernelINS0_14default_configENS1_25partition_config_selectorILNS1_17partition_subalgoE5ExNS0_10empty_typeEbEEZZNS1_14partition_implILS5_5ELb0ES3_mN6thrust23THRUST_200600_302600_NS6detail15normal_iteratorINSA_10device_ptrIxEEEEPS6_NSA_18transform_iteratorINSB_9not_fun_tI7is_trueIxEEENSC_INSD_IbEEEENSA_11use_defaultESO_EENS0_5tupleIJNSA_16discard_iteratorISO_EES6_EEENSQ_IJSG_SG_EEES6_PlJS6_EEE10hipError_tPvRmT3_T4_T5_T6_T7_T9_mT8_P12ihipStream_tbDpT10_ENKUlT_T0_E_clISt17integral_constantIbLb0EES1E_IbLb1EEEEDaS1A_S1B_EUlS1A_E_NS1_11comp_targetILNS1_3genE3ELNS1_11target_archE908ELNS1_3gpuE7ELNS1_3repE0EEENS1_30default_config_static_selectorELNS0_4arch9wavefront6targetE0EEEvT1_: ; @_ZN7rocprim17ROCPRIM_400000_NS6detail17trampoline_kernelINS0_14default_configENS1_25partition_config_selectorILNS1_17partition_subalgoE5ExNS0_10empty_typeEbEEZZNS1_14partition_implILS5_5ELb0ES3_mN6thrust23THRUST_200600_302600_NS6detail15normal_iteratorINSA_10device_ptrIxEEEEPS6_NSA_18transform_iteratorINSB_9not_fun_tI7is_trueIxEEENSC_INSD_IbEEEENSA_11use_defaultESO_EENS0_5tupleIJNSA_16discard_iteratorISO_EES6_EEENSQ_IJSG_SG_EEES6_PlJS6_EEE10hipError_tPvRmT3_T4_T5_T6_T7_T9_mT8_P12ihipStream_tbDpT10_ENKUlT_T0_E_clISt17integral_constantIbLb0EES1E_IbLb1EEEEDaS1A_S1B_EUlS1A_E_NS1_11comp_targetILNS1_3genE3ELNS1_11target_archE908ELNS1_3gpuE7ELNS1_3repE0EEENS1_30default_config_static_selectorELNS0_4arch9wavefront6targetE0EEEvT1_
; %bb.0:
	.section	.rodata,"a",@progbits
	.p2align	6, 0x0
	.amdhsa_kernel _ZN7rocprim17ROCPRIM_400000_NS6detail17trampoline_kernelINS0_14default_configENS1_25partition_config_selectorILNS1_17partition_subalgoE5ExNS0_10empty_typeEbEEZZNS1_14partition_implILS5_5ELb0ES3_mN6thrust23THRUST_200600_302600_NS6detail15normal_iteratorINSA_10device_ptrIxEEEEPS6_NSA_18transform_iteratorINSB_9not_fun_tI7is_trueIxEEENSC_INSD_IbEEEENSA_11use_defaultESO_EENS0_5tupleIJNSA_16discard_iteratorISO_EES6_EEENSQ_IJSG_SG_EEES6_PlJS6_EEE10hipError_tPvRmT3_T4_T5_T6_T7_T9_mT8_P12ihipStream_tbDpT10_ENKUlT_T0_E_clISt17integral_constantIbLb0EES1E_IbLb1EEEEDaS1A_S1B_EUlS1A_E_NS1_11comp_targetILNS1_3genE3ELNS1_11target_archE908ELNS1_3gpuE7ELNS1_3repE0EEENS1_30default_config_static_selectorELNS0_4arch9wavefront6targetE0EEEvT1_
		.amdhsa_group_segment_fixed_size 0
		.amdhsa_private_segment_fixed_size 0
		.amdhsa_kernarg_size 144
		.amdhsa_user_sgpr_count 2
		.amdhsa_user_sgpr_dispatch_ptr 0
		.amdhsa_user_sgpr_queue_ptr 0
		.amdhsa_user_sgpr_kernarg_segment_ptr 1
		.amdhsa_user_sgpr_dispatch_id 0
		.amdhsa_user_sgpr_private_segment_size 0
		.amdhsa_wavefront_size32 1
		.amdhsa_uses_dynamic_stack 0
		.amdhsa_enable_private_segment 0
		.amdhsa_system_sgpr_workgroup_id_x 1
		.amdhsa_system_sgpr_workgroup_id_y 0
		.amdhsa_system_sgpr_workgroup_id_z 0
		.amdhsa_system_sgpr_workgroup_info 0
		.amdhsa_system_vgpr_workitem_id 0
		.amdhsa_next_free_vgpr 1
		.amdhsa_next_free_sgpr 1
		.amdhsa_reserve_vcc 0
		.amdhsa_float_round_mode_32 0
		.amdhsa_float_round_mode_16_64 0
		.amdhsa_float_denorm_mode_32 3
		.amdhsa_float_denorm_mode_16_64 3
		.amdhsa_fp16_overflow 0
		.amdhsa_workgroup_processor_mode 1
		.amdhsa_memory_ordered 1
		.amdhsa_forward_progress 1
		.amdhsa_inst_pref_size 0
		.amdhsa_round_robin_scheduling 0
		.amdhsa_exception_fp_ieee_invalid_op 0
		.amdhsa_exception_fp_denorm_src 0
		.amdhsa_exception_fp_ieee_div_zero 0
		.amdhsa_exception_fp_ieee_overflow 0
		.amdhsa_exception_fp_ieee_underflow 0
		.amdhsa_exception_fp_ieee_inexact 0
		.amdhsa_exception_int_div_zero 0
	.end_amdhsa_kernel
	.section	.text._ZN7rocprim17ROCPRIM_400000_NS6detail17trampoline_kernelINS0_14default_configENS1_25partition_config_selectorILNS1_17partition_subalgoE5ExNS0_10empty_typeEbEEZZNS1_14partition_implILS5_5ELb0ES3_mN6thrust23THRUST_200600_302600_NS6detail15normal_iteratorINSA_10device_ptrIxEEEEPS6_NSA_18transform_iteratorINSB_9not_fun_tI7is_trueIxEEENSC_INSD_IbEEEENSA_11use_defaultESO_EENS0_5tupleIJNSA_16discard_iteratorISO_EES6_EEENSQ_IJSG_SG_EEES6_PlJS6_EEE10hipError_tPvRmT3_T4_T5_T6_T7_T9_mT8_P12ihipStream_tbDpT10_ENKUlT_T0_E_clISt17integral_constantIbLb0EES1E_IbLb1EEEEDaS1A_S1B_EUlS1A_E_NS1_11comp_targetILNS1_3genE3ELNS1_11target_archE908ELNS1_3gpuE7ELNS1_3repE0EEENS1_30default_config_static_selectorELNS0_4arch9wavefront6targetE0EEEvT1_,"axG",@progbits,_ZN7rocprim17ROCPRIM_400000_NS6detail17trampoline_kernelINS0_14default_configENS1_25partition_config_selectorILNS1_17partition_subalgoE5ExNS0_10empty_typeEbEEZZNS1_14partition_implILS5_5ELb0ES3_mN6thrust23THRUST_200600_302600_NS6detail15normal_iteratorINSA_10device_ptrIxEEEEPS6_NSA_18transform_iteratorINSB_9not_fun_tI7is_trueIxEEENSC_INSD_IbEEEENSA_11use_defaultESO_EENS0_5tupleIJNSA_16discard_iteratorISO_EES6_EEENSQ_IJSG_SG_EEES6_PlJS6_EEE10hipError_tPvRmT3_T4_T5_T6_T7_T9_mT8_P12ihipStream_tbDpT10_ENKUlT_T0_E_clISt17integral_constantIbLb0EES1E_IbLb1EEEEDaS1A_S1B_EUlS1A_E_NS1_11comp_targetILNS1_3genE3ELNS1_11target_archE908ELNS1_3gpuE7ELNS1_3repE0EEENS1_30default_config_static_selectorELNS0_4arch9wavefront6targetE0EEEvT1_,comdat
.Lfunc_end2776:
	.size	_ZN7rocprim17ROCPRIM_400000_NS6detail17trampoline_kernelINS0_14default_configENS1_25partition_config_selectorILNS1_17partition_subalgoE5ExNS0_10empty_typeEbEEZZNS1_14partition_implILS5_5ELb0ES3_mN6thrust23THRUST_200600_302600_NS6detail15normal_iteratorINSA_10device_ptrIxEEEEPS6_NSA_18transform_iteratorINSB_9not_fun_tI7is_trueIxEEENSC_INSD_IbEEEENSA_11use_defaultESO_EENS0_5tupleIJNSA_16discard_iteratorISO_EES6_EEENSQ_IJSG_SG_EEES6_PlJS6_EEE10hipError_tPvRmT3_T4_T5_T6_T7_T9_mT8_P12ihipStream_tbDpT10_ENKUlT_T0_E_clISt17integral_constantIbLb0EES1E_IbLb1EEEEDaS1A_S1B_EUlS1A_E_NS1_11comp_targetILNS1_3genE3ELNS1_11target_archE908ELNS1_3gpuE7ELNS1_3repE0EEENS1_30default_config_static_selectorELNS0_4arch9wavefront6targetE0EEEvT1_, .Lfunc_end2776-_ZN7rocprim17ROCPRIM_400000_NS6detail17trampoline_kernelINS0_14default_configENS1_25partition_config_selectorILNS1_17partition_subalgoE5ExNS0_10empty_typeEbEEZZNS1_14partition_implILS5_5ELb0ES3_mN6thrust23THRUST_200600_302600_NS6detail15normal_iteratorINSA_10device_ptrIxEEEEPS6_NSA_18transform_iteratorINSB_9not_fun_tI7is_trueIxEEENSC_INSD_IbEEEENSA_11use_defaultESO_EENS0_5tupleIJNSA_16discard_iteratorISO_EES6_EEENSQ_IJSG_SG_EEES6_PlJS6_EEE10hipError_tPvRmT3_T4_T5_T6_T7_T9_mT8_P12ihipStream_tbDpT10_ENKUlT_T0_E_clISt17integral_constantIbLb0EES1E_IbLb1EEEEDaS1A_S1B_EUlS1A_E_NS1_11comp_targetILNS1_3genE3ELNS1_11target_archE908ELNS1_3gpuE7ELNS1_3repE0EEENS1_30default_config_static_selectorELNS0_4arch9wavefront6targetE0EEEvT1_
                                        ; -- End function
	.set _ZN7rocprim17ROCPRIM_400000_NS6detail17trampoline_kernelINS0_14default_configENS1_25partition_config_selectorILNS1_17partition_subalgoE5ExNS0_10empty_typeEbEEZZNS1_14partition_implILS5_5ELb0ES3_mN6thrust23THRUST_200600_302600_NS6detail15normal_iteratorINSA_10device_ptrIxEEEEPS6_NSA_18transform_iteratorINSB_9not_fun_tI7is_trueIxEEENSC_INSD_IbEEEENSA_11use_defaultESO_EENS0_5tupleIJNSA_16discard_iteratorISO_EES6_EEENSQ_IJSG_SG_EEES6_PlJS6_EEE10hipError_tPvRmT3_T4_T5_T6_T7_T9_mT8_P12ihipStream_tbDpT10_ENKUlT_T0_E_clISt17integral_constantIbLb0EES1E_IbLb1EEEEDaS1A_S1B_EUlS1A_E_NS1_11comp_targetILNS1_3genE3ELNS1_11target_archE908ELNS1_3gpuE7ELNS1_3repE0EEENS1_30default_config_static_selectorELNS0_4arch9wavefront6targetE0EEEvT1_.num_vgpr, 0
	.set _ZN7rocprim17ROCPRIM_400000_NS6detail17trampoline_kernelINS0_14default_configENS1_25partition_config_selectorILNS1_17partition_subalgoE5ExNS0_10empty_typeEbEEZZNS1_14partition_implILS5_5ELb0ES3_mN6thrust23THRUST_200600_302600_NS6detail15normal_iteratorINSA_10device_ptrIxEEEEPS6_NSA_18transform_iteratorINSB_9not_fun_tI7is_trueIxEEENSC_INSD_IbEEEENSA_11use_defaultESO_EENS0_5tupleIJNSA_16discard_iteratorISO_EES6_EEENSQ_IJSG_SG_EEES6_PlJS6_EEE10hipError_tPvRmT3_T4_T5_T6_T7_T9_mT8_P12ihipStream_tbDpT10_ENKUlT_T0_E_clISt17integral_constantIbLb0EES1E_IbLb1EEEEDaS1A_S1B_EUlS1A_E_NS1_11comp_targetILNS1_3genE3ELNS1_11target_archE908ELNS1_3gpuE7ELNS1_3repE0EEENS1_30default_config_static_selectorELNS0_4arch9wavefront6targetE0EEEvT1_.num_agpr, 0
	.set _ZN7rocprim17ROCPRIM_400000_NS6detail17trampoline_kernelINS0_14default_configENS1_25partition_config_selectorILNS1_17partition_subalgoE5ExNS0_10empty_typeEbEEZZNS1_14partition_implILS5_5ELb0ES3_mN6thrust23THRUST_200600_302600_NS6detail15normal_iteratorINSA_10device_ptrIxEEEEPS6_NSA_18transform_iteratorINSB_9not_fun_tI7is_trueIxEEENSC_INSD_IbEEEENSA_11use_defaultESO_EENS0_5tupleIJNSA_16discard_iteratorISO_EES6_EEENSQ_IJSG_SG_EEES6_PlJS6_EEE10hipError_tPvRmT3_T4_T5_T6_T7_T9_mT8_P12ihipStream_tbDpT10_ENKUlT_T0_E_clISt17integral_constantIbLb0EES1E_IbLb1EEEEDaS1A_S1B_EUlS1A_E_NS1_11comp_targetILNS1_3genE3ELNS1_11target_archE908ELNS1_3gpuE7ELNS1_3repE0EEENS1_30default_config_static_selectorELNS0_4arch9wavefront6targetE0EEEvT1_.numbered_sgpr, 0
	.set _ZN7rocprim17ROCPRIM_400000_NS6detail17trampoline_kernelINS0_14default_configENS1_25partition_config_selectorILNS1_17partition_subalgoE5ExNS0_10empty_typeEbEEZZNS1_14partition_implILS5_5ELb0ES3_mN6thrust23THRUST_200600_302600_NS6detail15normal_iteratorINSA_10device_ptrIxEEEEPS6_NSA_18transform_iteratorINSB_9not_fun_tI7is_trueIxEEENSC_INSD_IbEEEENSA_11use_defaultESO_EENS0_5tupleIJNSA_16discard_iteratorISO_EES6_EEENSQ_IJSG_SG_EEES6_PlJS6_EEE10hipError_tPvRmT3_T4_T5_T6_T7_T9_mT8_P12ihipStream_tbDpT10_ENKUlT_T0_E_clISt17integral_constantIbLb0EES1E_IbLb1EEEEDaS1A_S1B_EUlS1A_E_NS1_11comp_targetILNS1_3genE3ELNS1_11target_archE908ELNS1_3gpuE7ELNS1_3repE0EEENS1_30default_config_static_selectorELNS0_4arch9wavefront6targetE0EEEvT1_.num_named_barrier, 0
	.set _ZN7rocprim17ROCPRIM_400000_NS6detail17trampoline_kernelINS0_14default_configENS1_25partition_config_selectorILNS1_17partition_subalgoE5ExNS0_10empty_typeEbEEZZNS1_14partition_implILS5_5ELb0ES3_mN6thrust23THRUST_200600_302600_NS6detail15normal_iteratorINSA_10device_ptrIxEEEEPS6_NSA_18transform_iteratorINSB_9not_fun_tI7is_trueIxEEENSC_INSD_IbEEEENSA_11use_defaultESO_EENS0_5tupleIJNSA_16discard_iteratorISO_EES6_EEENSQ_IJSG_SG_EEES6_PlJS6_EEE10hipError_tPvRmT3_T4_T5_T6_T7_T9_mT8_P12ihipStream_tbDpT10_ENKUlT_T0_E_clISt17integral_constantIbLb0EES1E_IbLb1EEEEDaS1A_S1B_EUlS1A_E_NS1_11comp_targetILNS1_3genE3ELNS1_11target_archE908ELNS1_3gpuE7ELNS1_3repE0EEENS1_30default_config_static_selectorELNS0_4arch9wavefront6targetE0EEEvT1_.private_seg_size, 0
	.set _ZN7rocprim17ROCPRIM_400000_NS6detail17trampoline_kernelINS0_14default_configENS1_25partition_config_selectorILNS1_17partition_subalgoE5ExNS0_10empty_typeEbEEZZNS1_14partition_implILS5_5ELb0ES3_mN6thrust23THRUST_200600_302600_NS6detail15normal_iteratorINSA_10device_ptrIxEEEEPS6_NSA_18transform_iteratorINSB_9not_fun_tI7is_trueIxEEENSC_INSD_IbEEEENSA_11use_defaultESO_EENS0_5tupleIJNSA_16discard_iteratorISO_EES6_EEENSQ_IJSG_SG_EEES6_PlJS6_EEE10hipError_tPvRmT3_T4_T5_T6_T7_T9_mT8_P12ihipStream_tbDpT10_ENKUlT_T0_E_clISt17integral_constantIbLb0EES1E_IbLb1EEEEDaS1A_S1B_EUlS1A_E_NS1_11comp_targetILNS1_3genE3ELNS1_11target_archE908ELNS1_3gpuE7ELNS1_3repE0EEENS1_30default_config_static_selectorELNS0_4arch9wavefront6targetE0EEEvT1_.uses_vcc, 0
	.set _ZN7rocprim17ROCPRIM_400000_NS6detail17trampoline_kernelINS0_14default_configENS1_25partition_config_selectorILNS1_17partition_subalgoE5ExNS0_10empty_typeEbEEZZNS1_14partition_implILS5_5ELb0ES3_mN6thrust23THRUST_200600_302600_NS6detail15normal_iteratorINSA_10device_ptrIxEEEEPS6_NSA_18transform_iteratorINSB_9not_fun_tI7is_trueIxEEENSC_INSD_IbEEEENSA_11use_defaultESO_EENS0_5tupleIJNSA_16discard_iteratorISO_EES6_EEENSQ_IJSG_SG_EEES6_PlJS6_EEE10hipError_tPvRmT3_T4_T5_T6_T7_T9_mT8_P12ihipStream_tbDpT10_ENKUlT_T0_E_clISt17integral_constantIbLb0EES1E_IbLb1EEEEDaS1A_S1B_EUlS1A_E_NS1_11comp_targetILNS1_3genE3ELNS1_11target_archE908ELNS1_3gpuE7ELNS1_3repE0EEENS1_30default_config_static_selectorELNS0_4arch9wavefront6targetE0EEEvT1_.uses_flat_scratch, 0
	.set _ZN7rocprim17ROCPRIM_400000_NS6detail17trampoline_kernelINS0_14default_configENS1_25partition_config_selectorILNS1_17partition_subalgoE5ExNS0_10empty_typeEbEEZZNS1_14partition_implILS5_5ELb0ES3_mN6thrust23THRUST_200600_302600_NS6detail15normal_iteratorINSA_10device_ptrIxEEEEPS6_NSA_18transform_iteratorINSB_9not_fun_tI7is_trueIxEEENSC_INSD_IbEEEENSA_11use_defaultESO_EENS0_5tupleIJNSA_16discard_iteratorISO_EES6_EEENSQ_IJSG_SG_EEES6_PlJS6_EEE10hipError_tPvRmT3_T4_T5_T6_T7_T9_mT8_P12ihipStream_tbDpT10_ENKUlT_T0_E_clISt17integral_constantIbLb0EES1E_IbLb1EEEEDaS1A_S1B_EUlS1A_E_NS1_11comp_targetILNS1_3genE3ELNS1_11target_archE908ELNS1_3gpuE7ELNS1_3repE0EEENS1_30default_config_static_selectorELNS0_4arch9wavefront6targetE0EEEvT1_.has_dyn_sized_stack, 0
	.set _ZN7rocprim17ROCPRIM_400000_NS6detail17trampoline_kernelINS0_14default_configENS1_25partition_config_selectorILNS1_17partition_subalgoE5ExNS0_10empty_typeEbEEZZNS1_14partition_implILS5_5ELb0ES3_mN6thrust23THRUST_200600_302600_NS6detail15normal_iteratorINSA_10device_ptrIxEEEEPS6_NSA_18transform_iteratorINSB_9not_fun_tI7is_trueIxEEENSC_INSD_IbEEEENSA_11use_defaultESO_EENS0_5tupleIJNSA_16discard_iteratorISO_EES6_EEENSQ_IJSG_SG_EEES6_PlJS6_EEE10hipError_tPvRmT3_T4_T5_T6_T7_T9_mT8_P12ihipStream_tbDpT10_ENKUlT_T0_E_clISt17integral_constantIbLb0EES1E_IbLb1EEEEDaS1A_S1B_EUlS1A_E_NS1_11comp_targetILNS1_3genE3ELNS1_11target_archE908ELNS1_3gpuE7ELNS1_3repE0EEENS1_30default_config_static_selectorELNS0_4arch9wavefront6targetE0EEEvT1_.has_recursion, 0
	.set _ZN7rocprim17ROCPRIM_400000_NS6detail17trampoline_kernelINS0_14default_configENS1_25partition_config_selectorILNS1_17partition_subalgoE5ExNS0_10empty_typeEbEEZZNS1_14partition_implILS5_5ELb0ES3_mN6thrust23THRUST_200600_302600_NS6detail15normal_iteratorINSA_10device_ptrIxEEEEPS6_NSA_18transform_iteratorINSB_9not_fun_tI7is_trueIxEEENSC_INSD_IbEEEENSA_11use_defaultESO_EENS0_5tupleIJNSA_16discard_iteratorISO_EES6_EEENSQ_IJSG_SG_EEES6_PlJS6_EEE10hipError_tPvRmT3_T4_T5_T6_T7_T9_mT8_P12ihipStream_tbDpT10_ENKUlT_T0_E_clISt17integral_constantIbLb0EES1E_IbLb1EEEEDaS1A_S1B_EUlS1A_E_NS1_11comp_targetILNS1_3genE3ELNS1_11target_archE908ELNS1_3gpuE7ELNS1_3repE0EEENS1_30default_config_static_selectorELNS0_4arch9wavefront6targetE0EEEvT1_.has_indirect_call, 0
	.section	.AMDGPU.csdata,"",@progbits
; Kernel info:
; codeLenInByte = 0
; TotalNumSgprs: 0
; NumVgprs: 0
; ScratchSize: 0
; MemoryBound: 0
; FloatMode: 240
; IeeeMode: 1
; LDSByteSize: 0 bytes/workgroup (compile time only)
; SGPRBlocks: 0
; VGPRBlocks: 0
; NumSGPRsForWavesPerEU: 1
; NumVGPRsForWavesPerEU: 1
; Occupancy: 16
; WaveLimiterHint : 0
; COMPUTE_PGM_RSRC2:SCRATCH_EN: 0
; COMPUTE_PGM_RSRC2:USER_SGPR: 2
; COMPUTE_PGM_RSRC2:TRAP_HANDLER: 0
; COMPUTE_PGM_RSRC2:TGID_X_EN: 1
; COMPUTE_PGM_RSRC2:TGID_Y_EN: 0
; COMPUTE_PGM_RSRC2:TGID_Z_EN: 0
; COMPUTE_PGM_RSRC2:TIDIG_COMP_CNT: 0
	.section	.text._ZN7rocprim17ROCPRIM_400000_NS6detail17trampoline_kernelINS0_14default_configENS1_25partition_config_selectorILNS1_17partition_subalgoE5ExNS0_10empty_typeEbEEZZNS1_14partition_implILS5_5ELb0ES3_mN6thrust23THRUST_200600_302600_NS6detail15normal_iteratorINSA_10device_ptrIxEEEEPS6_NSA_18transform_iteratorINSB_9not_fun_tI7is_trueIxEEENSC_INSD_IbEEEENSA_11use_defaultESO_EENS0_5tupleIJNSA_16discard_iteratorISO_EES6_EEENSQ_IJSG_SG_EEES6_PlJS6_EEE10hipError_tPvRmT3_T4_T5_T6_T7_T9_mT8_P12ihipStream_tbDpT10_ENKUlT_T0_E_clISt17integral_constantIbLb0EES1E_IbLb1EEEEDaS1A_S1B_EUlS1A_E_NS1_11comp_targetILNS1_3genE2ELNS1_11target_archE906ELNS1_3gpuE6ELNS1_3repE0EEENS1_30default_config_static_selectorELNS0_4arch9wavefront6targetE0EEEvT1_,"axG",@progbits,_ZN7rocprim17ROCPRIM_400000_NS6detail17trampoline_kernelINS0_14default_configENS1_25partition_config_selectorILNS1_17partition_subalgoE5ExNS0_10empty_typeEbEEZZNS1_14partition_implILS5_5ELb0ES3_mN6thrust23THRUST_200600_302600_NS6detail15normal_iteratorINSA_10device_ptrIxEEEEPS6_NSA_18transform_iteratorINSB_9not_fun_tI7is_trueIxEEENSC_INSD_IbEEEENSA_11use_defaultESO_EENS0_5tupleIJNSA_16discard_iteratorISO_EES6_EEENSQ_IJSG_SG_EEES6_PlJS6_EEE10hipError_tPvRmT3_T4_T5_T6_T7_T9_mT8_P12ihipStream_tbDpT10_ENKUlT_T0_E_clISt17integral_constantIbLb0EES1E_IbLb1EEEEDaS1A_S1B_EUlS1A_E_NS1_11comp_targetILNS1_3genE2ELNS1_11target_archE906ELNS1_3gpuE6ELNS1_3repE0EEENS1_30default_config_static_selectorELNS0_4arch9wavefront6targetE0EEEvT1_,comdat
	.protected	_ZN7rocprim17ROCPRIM_400000_NS6detail17trampoline_kernelINS0_14default_configENS1_25partition_config_selectorILNS1_17partition_subalgoE5ExNS0_10empty_typeEbEEZZNS1_14partition_implILS5_5ELb0ES3_mN6thrust23THRUST_200600_302600_NS6detail15normal_iteratorINSA_10device_ptrIxEEEEPS6_NSA_18transform_iteratorINSB_9not_fun_tI7is_trueIxEEENSC_INSD_IbEEEENSA_11use_defaultESO_EENS0_5tupleIJNSA_16discard_iteratorISO_EES6_EEENSQ_IJSG_SG_EEES6_PlJS6_EEE10hipError_tPvRmT3_T4_T5_T6_T7_T9_mT8_P12ihipStream_tbDpT10_ENKUlT_T0_E_clISt17integral_constantIbLb0EES1E_IbLb1EEEEDaS1A_S1B_EUlS1A_E_NS1_11comp_targetILNS1_3genE2ELNS1_11target_archE906ELNS1_3gpuE6ELNS1_3repE0EEENS1_30default_config_static_selectorELNS0_4arch9wavefront6targetE0EEEvT1_ ; -- Begin function _ZN7rocprim17ROCPRIM_400000_NS6detail17trampoline_kernelINS0_14default_configENS1_25partition_config_selectorILNS1_17partition_subalgoE5ExNS0_10empty_typeEbEEZZNS1_14partition_implILS5_5ELb0ES3_mN6thrust23THRUST_200600_302600_NS6detail15normal_iteratorINSA_10device_ptrIxEEEEPS6_NSA_18transform_iteratorINSB_9not_fun_tI7is_trueIxEEENSC_INSD_IbEEEENSA_11use_defaultESO_EENS0_5tupleIJNSA_16discard_iteratorISO_EES6_EEENSQ_IJSG_SG_EEES6_PlJS6_EEE10hipError_tPvRmT3_T4_T5_T6_T7_T9_mT8_P12ihipStream_tbDpT10_ENKUlT_T0_E_clISt17integral_constantIbLb0EES1E_IbLb1EEEEDaS1A_S1B_EUlS1A_E_NS1_11comp_targetILNS1_3genE2ELNS1_11target_archE906ELNS1_3gpuE6ELNS1_3repE0EEENS1_30default_config_static_selectorELNS0_4arch9wavefront6targetE0EEEvT1_
	.globl	_ZN7rocprim17ROCPRIM_400000_NS6detail17trampoline_kernelINS0_14default_configENS1_25partition_config_selectorILNS1_17partition_subalgoE5ExNS0_10empty_typeEbEEZZNS1_14partition_implILS5_5ELb0ES3_mN6thrust23THRUST_200600_302600_NS6detail15normal_iteratorINSA_10device_ptrIxEEEEPS6_NSA_18transform_iteratorINSB_9not_fun_tI7is_trueIxEEENSC_INSD_IbEEEENSA_11use_defaultESO_EENS0_5tupleIJNSA_16discard_iteratorISO_EES6_EEENSQ_IJSG_SG_EEES6_PlJS6_EEE10hipError_tPvRmT3_T4_T5_T6_T7_T9_mT8_P12ihipStream_tbDpT10_ENKUlT_T0_E_clISt17integral_constantIbLb0EES1E_IbLb1EEEEDaS1A_S1B_EUlS1A_E_NS1_11comp_targetILNS1_3genE2ELNS1_11target_archE906ELNS1_3gpuE6ELNS1_3repE0EEENS1_30default_config_static_selectorELNS0_4arch9wavefront6targetE0EEEvT1_
	.p2align	8
	.type	_ZN7rocprim17ROCPRIM_400000_NS6detail17trampoline_kernelINS0_14default_configENS1_25partition_config_selectorILNS1_17partition_subalgoE5ExNS0_10empty_typeEbEEZZNS1_14partition_implILS5_5ELb0ES3_mN6thrust23THRUST_200600_302600_NS6detail15normal_iteratorINSA_10device_ptrIxEEEEPS6_NSA_18transform_iteratorINSB_9not_fun_tI7is_trueIxEEENSC_INSD_IbEEEENSA_11use_defaultESO_EENS0_5tupleIJNSA_16discard_iteratorISO_EES6_EEENSQ_IJSG_SG_EEES6_PlJS6_EEE10hipError_tPvRmT3_T4_T5_T6_T7_T9_mT8_P12ihipStream_tbDpT10_ENKUlT_T0_E_clISt17integral_constantIbLb0EES1E_IbLb1EEEEDaS1A_S1B_EUlS1A_E_NS1_11comp_targetILNS1_3genE2ELNS1_11target_archE906ELNS1_3gpuE6ELNS1_3repE0EEENS1_30default_config_static_selectorELNS0_4arch9wavefront6targetE0EEEvT1_,@function
_ZN7rocprim17ROCPRIM_400000_NS6detail17trampoline_kernelINS0_14default_configENS1_25partition_config_selectorILNS1_17partition_subalgoE5ExNS0_10empty_typeEbEEZZNS1_14partition_implILS5_5ELb0ES3_mN6thrust23THRUST_200600_302600_NS6detail15normal_iteratorINSA_10device_ptrIxEEEEPS6_NSA_18transform_iteratorINSB_9not_fun_tI7is_trueIxEEENSC_INSD_IbEEEENSA_11use_defaultESO_EENS0_5tupleIJNSA_16discard_iteratorISO_EES6_EEENSQ_IJSG_SG_EEES6_PlJS6_EEE10hipError_tPvRmT3_T4_T5_T6_T7_T9_mT8_P12ihipStream_tbDpT10_ENKUlT_T0_E_clISt17integral_constantIbLb0EES1E_IbLb1EEEEDaS1A_S1B_EUlS1A_E_NS1_11comp_targetILNS1_3genE2ELNS1_11target_archE906ELNS1_3gpuE6ELNS1_3repE0EEENS1_30default_config_static_selectorELNS0_4arch9wavefront6targetE0EEEvT1_: ; @_ZN7rocprim17ROCPRIM_400000_NS6detail17trampoline_kernelINS0_14default_configENS1_25partition_config_selectorILNS1_17partition_subalgoE5ExNS0_10empty_typeEbEEZZNS1_14partition_implILS5_5ELb0ES3_mN6thrust23THRUST_200600_302600_NS6detail15normal_iteratorINSA_10device_ptrIxEEEEPS6_NSA_18transform_iteratorINSB_9not_fun_tI7is_trueIxEEENSC_INSD_IbEEEENSA_11use_defaultESO_EENS0_5tupleIJNSA_16discard_iteratorISO_EES6_EEENSQ_IJSG_SG_EEES6_PlJS6_EEE10hipError_tPvRmT3_T4_T5_T6_T7_T9_mT8_P12ihipStream_tbDpT10_ENKUlT_T0_E_clISt17integral_constantIbLb0EES1E_IbLb1EEEEDaS1A_S1B_EUlS1A_E_NS1_11comp_targetILNS1_3genE2ELNS1_11target_archE906ELNS1_3gpuE6ELNS1_3repE0EEENS1_30default_config_static_selectorELNS0_4arch9wavefront6targetE0EEEvT1_
; %bb.0:
	.section	.rodata,"a",@progbits
	.p2align	6, 0x0
	.amdhsa_kernel _ZN7rocprim17ROCPRIM_400000_NS6detail17trampoline_kernelINS0_14default_configENS1_25partition_config_selectorILNS1_17partition_subalgoE5ExNS0_10empty_typeEbEEZZNS1_14partition_implILS5_5ELb0ES3_mN6thrust23THRUST_200600_302600_NS6detail15normal_iteratorINSA_10device_ptrIxEEEEPS6_NSA_18transform_iteratorINSB_9not_fun_tI7is_trueIxEEENSC_INSD_IbEEEENSA_11use_defaultESO_EENS0_5tupleIJNSA_16discard_iteratorISO_EES6_EEENSQ_IJSG_SG_EEES6_PlJS6_EEE10hipError_tPvRmT3_T4_T5_T6_T7_T9_mT8_P12ihipStream_tbDpT10_ENKUlT_T0_E_clISt17integral_constantIbLb0EES1E_IbLb1EEEEDaS1A_S1B_EUlS1A_E_NS1_11comp_targetILNS1_3genE2ELNS1_11target_archE906ELNS1_3gpuE6ELNS1_3repE0EEENS1_30default_config_static_selectorELNS0_4arch9wavefront6targetE0EEEvT1_
		.amdhsa_group_segment_fixed_size 0
		.amdhsa_private_segment_fixed_size 0
		.amdhsa_kernarg_size 144
		.amdhsa_user_sgpr_count 2
		.amdhsa_user_sgpr_dispatch_ptr 0
		.amdhsa_user_sgpr_queue_ptr 0
		.amdhsa_user_sgpr_kernarg_segment_ptr 1
		.amdhsa_user_sgpr_dispatch_id 0
		.amdhsa_user_sgpr_private_segment_size 0
		.amdhsa_wavefront_size32 1
		.amdhsa_uses_dynamic_stack 0
		.amdhsa_enable_private_segment 0
		.amdhsa_system_sgpr_workgroup_id_x 1
		.amdhsa_system_sgpr_workgroup_id_y 0
		.amdhsa_system_sgpr_workgroup_id_z 0
		.amdhsa_system_sgpr_workgroup_info 0
		.amdhsa_system_vgpr_workitem_id 0
		.amdhsa_next_free_vgpr 1
		.amdhsa_next_free_sgpr 1
		.amdhsa_reserve_vcc 0
		.amdhsa_float_round_mode_32 0
		.amdhsa_float_round_mode_16_64 0
		.amdhsa_float_denorm_mode_32 3
		.amdhsa_float_denorm_mode_16_64 3
		.amdhsa_fp16_overflow 0
		.amdhsa_workgroup_processor_mode 1
		.amdhsa_memory_ordered 1
		.amdhsa_forward_progress 1
		.amdhsa_inst_pref_size 0
		.amdhsa_round_robin_scheduling 0
		.amdhsa_exception_fp_ieee_invalid_op 0
		.amdhsa_exception_fp_denorm_src 0
		.amdhsa_exception_fp_ieee_div_zero 0
		.amdhsa_exception_fp_ieee_overflow 0
		.amdhsa_exception_fp_ieee_underflow 0
		.amdhsa_exception_fp_ieee_inexact 0
		.amdhsa_exception_int_div_zero 0
	.end_amdhsa_kernel
	.section	.text._ZN7rocprim17ROCPRIM_400000_NS6detail17trampoline_kernelINS0_14default_configENS1_25partition_config_selectorILNS1_17partition_subalgoE5ExNS0_10empty_typeEbEEZZNS1_14partition_implILS5_5ELb0ES3_mN6thrust23THRUST_200600_302600_NS6detail15normal_iteratorINSA_10device_ptrIxEEEEPS6_NSA_18transform_iteratorINSB_9not_fun_tI7is_trueIxEEENSC_INSD_IbEEEENSA_11use_defaultESO_EENS0_5tupleIJNSA_16discard_iteratorISO_EES6_EEENSQ_IJSG_SG_EEES6_PlJS6_EEE10hipError_tPvRmT3_T4_T5_T6_T7_T9_mT8_P12ihipStream_tbDpT10_ENKUlT_T0_E_clISt17integral_constantIbLb0EES1E_IbLb1EEEEDaS1A_S1B_EUlS1A_E_NS1_11comp_targetILNS1_3genE2ELNS1_11target_archE906ELNS1_3gpuE6ELNS1_3repE0EEENS1_30default_config_static_selectorELNS0_4arch9wavefront6targetE0EEEvT1_,"axG",@progbits,_ZN7rocprim17ROCPRIM_400000_NS6detail17trampoline_kernelINS0_14default_configENS1_25partition_config_selectorILNS1_17partition_subalgoE5ExNS0_10empty_typeEbEEZZNS1_14partition_implILS5_5ELb0ES3_mN6thrust23THRUST_200600_302600_NS6detail15normal_iteratorINSA_10device_ptrIxEEEEPS6_NSA_18transform_iteratorINSB_9not_fun_tI7is_trueIxEEENSC_INSD_IbEEEENSA_11use_defaultESO_EENS0_5tupleIJNSA_16discard_iteratorISO_EES6_EEENSQ_IJSG_SG_EEES6_PlJS6_EEE10hipError_tPvRmT3_T4_T5_T6_T7_T9_mT8_P12ihipStream_tbDpT10_ENKUlT_T0_E_clISt17integral_constantIbLb0EES1E_IbLb1EEEEDaS1A_S1B_EUlS1A_E_NS1_11comp_targetILNS1_3genE2ELNS1_11target_archE906ELNS1_3gpuE6ELNS1_3repE0EEENS1_30default_config_static_selectorELNS0_4arch9wavefront6targetE0EEEvT1_,comdat
.Lfunc_end2777:
	.size	_ZN7rocprim17ROCPRIM_400000_NS6detail17trampoline_kernelINS0_14default_configENS1_25partition_config_selectorILNS1_17partition_subalgoE5ExNS0_10empty_typeEbEEZZNS1_14partition_implILS5_5ELb0ES3_mN6thrust23THRUST_200600_302600_NS6detail15normal_iteratorINSA_10device_ptrIxEEEEPS6_NSA_18transform_iteratorINSB_9not_fun_tI7is_trueIxEEENSC_INSD_IbEEEENSA_11use_defaultESO_EENS0_5tupleIJNSA_16discard_iteratorISO_EES6_EEENSQ_IJSG_SG_EEES6_PlJS6_EEE10hipError_tPvRmT3_T4_T5_T6_T7_T9_mT8_P12ihipStream_tbDpT10_ENKUlT_T0_E_clISt17integral_constantIbLb0EES1E_IbLb1EEEEDaS1A_S1B_EUlS1A_E_NS1_11comp_targetILNS1_3genE2ELNS1_11target_archE906ELNS1_3gpuE6ELNS1_3repE0EEENS1_30default_config_static_selectorELNS0_4arch9wavefront6targetE0EEEvT1_, .Lfunc_end2777-_ZN7rocprim17ROCPRIM_400000_NS6detail17trampoline_kernelINS0_14default_configENS1_25partition_config_selectorILNS1_17partition_subalgoE5ExNS0_10empty_typeEbEEZZNS1_14partition_implILS5_5ELb0ES3_mN6thrust23THRUST_200600_302600_NS6detail15normal_iteratorINSA_10device_ptrIxEEEEPS6_NSA_18transform_iteratorINSB_9not_fun_tI7is_trueIxEEENSC_INSD_IbEEEENSA_11use_defaultESO_EENS0_5tupleIJNSA_16discard_iteratorISO_EES6_EEENSQ_IJSG_SG_EEES6_PlJS6_EEE10hipError_tPvRmT3_T4_T5_T6_T7_T9_mT8_P12ihipStream_tbDpT10_ENKUlT_T0_E_clISt17integral_constantIbLb0EES1E_IbLb1EEEEDaS1A_S1B_EUlS1A_E_NS1_11comp_targetILNS1_3genE2ELNS1_11target_archE906ELNS1_3gpuE6ELNS1_3repE0EEENS1_30default_config_static_selectorELNS0_4arch9wavefront6targetE0EEEvT1_
                                        ; -- End function
	.set _ZN7rocprim17ROCPRIM_400000_NS6detail17trampoline_kernelINS0_14default_configENS1_25partition_config_selectorILNS1_17partition_subalgoE5ExNS0_10empty_typeEbEEZZNS1_14partition_implILS5_5ELb0ES3_mN6thrust23THRUST_200600_302600_NS6detail15normal_iteratorINSA_10device_ptrIxEEEEPS6_NSA_18transform_iteratorINSB_9not_fun_tI7is_trueIxEEENSC_INSD_IbEEEENSA_11use_defaultESO_EENS0_5tupleIJNSA_16discard_iteratorISO_EES6_EEENSQ_IJSG_SG_EEES6_PlJS6_EEE10hipError_tPvRmT3_T4_T5_T6_T7_T9_mT8_P12ihipStream_tbDpT10_ENKUlT_T0_E_clISt17integral_constantIbLb0EES1E_IbLb1EEEEDaS1A_S1B_EUlS1A_E_NS1_11comp_targetILNS1_3genE2ELNS1_11target_archE906ELNS1_3gpuE6ELNS1_3repE0EEENS1_30default_config_static_selectorELNS0_4arch9wavefront6targetE0EEEvT1_.num_vgpr, 0
	.set _ZN7rocprim17ROCPRIM_400000_NS6detail17trampoline_kernelINS0_14default_configENS1_25partition_config_selectorILNS1_17partition_subalgoE5ExNS0_10empty_typeEbEEZZNS1_14partition_implILS5_5ELb0ES3_mN6thrust23THRUST_200600_302600_NS6detail15normal_iteratorINSA_10device_ptrIxEEEEPS6_NSA_18transform_iteratorINSB_9not_fun_tI7is_trueIxEEENSC_INSD_IbEEEENSA_11use_defaultESO_EENS0_5tupleIJNSA_16discard_iteratorISO_EES6_EEENSQ_IJSG_SG_EEES6_PlJS6_EEE10hipError_tPvRmT3_T4_T5_T6_T7_T9_mT8_P12ihipStream_tbDpT10_ENKUlT_T0_E_clISt17integral_constantIbLb0EES1E_IbLb1EEEEDaS1A_S1B_EUlS1A_E_NS1_11comp_targetILNS1_3genE2ELNS1_11target_archE906ELNS1_3gpuE6ELNS1_3repE0EEENS1_30default_config_static_selectorELNS0_4arch9wavefront6targetE0EEEvT1_.num_agpr, 0
	.set _ZN7rocprim17ROCPRIM_400000_NS6detail17trampoline_kernelINS0_14default_configENS1_25partition_config_selectorILNS1_17partition_subalgoE5ExNS0_10empty_typeEbEEZZNS1_14partition_implILS5_5ELb0ES3_mN6thrust23THRUST_200600_302600_NS6detail15normal_iteratorINSA_10device_ptrIxEEEEPS6_NSA_18transform_iteratorINSB_9not_fun_tI7is_trueIxEEENSC_INSD_IbEEEENSA_11use_defaultESO_EENS0_5tupleIJNSA_16discard_iteratorISO_EES6_EEENSQ_IJSG_SG_EEES6_PlJS6_EEE10hipError_tPvRmT3_T4_T5_T6_T7_T9_mT8_P12ihipStream_tbDpT10_ENKUlT_T0_E_clISt17integral_constantIbLb0EES1E_IbLb1EEEEDaS1A_S1B_EUlS1A_E_NS1_11comp_targetILNS1_3genE2ELNS1_11target_archE906ELNS1_3gpuE6ELNS1_3repE0EEENS1_30default_config_static_selectorELNS0_4arch9wavefront6targetE0EEEvT1_.numbered_sgpr, 0
	.set _ZN7rocprim17ROCPRIM_400000_NS6detail17trampoline_kernelINS0_14default_configENS1_25partition_config_selectorILNS1_17partition_subalgoE5ExNS0_10empty_typeEbEEZZNS1_14partition_implILS5_5ELb0ES3_mN6thrust23THRUST_200600_302600_NS6detail15normal_iteratorINSA_10device_ptrIxEEEEPS6_NSA_18transform_iteratorINSB_9not_fun_tI7is_trueIxEEENSC_INSD_IbEEEENSA_11use_defaultESO_EENS0_5tupleIJNSA_16discard_iteratorISO_EES6_EEENSQ_IJSG_SG_EEES6_PlJS6_EEE10hipError_tPvRmT3_T4_T5_T6_T7_T9_mT8_P12ihipStream_tbDpT10_ENKUlT_T0_E_clISt17integral_constantIbLb0EES1E_IbLb1EEEEDaS1A_S1B_EUlS1A_E_NS1_11comp_targetILNS1_3genE2ELNS1_11target_archE906ELNS1_3gpuE6ELNS1_3repE0EEENS1_30default_config_static_selectorELNS0_4arch9wavefront6targetE0EEEvT1_.num_named_barrier, 0
	.set _ZN7rocprim17ROCPRIM_400000_NS6detail17trampoline_kernelINS0_14default_configENS1_25partition_config_selectorILNS1_17partition_subalgoE5ExNS0_10empty_typeEbEEZZNS1_14partition_implILS5_5ELb0ES3_mN6thrust23THRUST_200600_302600_NS6detail15normal_iteratorINSA_10device_ptrIxEEEEPS6_NSA_18transform_iteratorINSB_9not_fun_tI7is_trueIxEEENSC_INSD_IbEEEENSA_11use_defaultESO_EENS0_5tupleIJNSA_16discard_iteratorISO_EES6_EEENSQ_IJSG_SG_EEES6_PlJS6_EEE10hipError_tPvRmT3_T4_T5_T6_T7_T9_mT8_P12ihipStream_tbDpT10_ENKUlT_T0_E_clISt17integral_constantIbLb0EES1E_IbLb1EEEEDaS1A_S1B_EUlS1A_E_NS1_11comp_targetILNS1_3genE2ELNS1_11target_archE906ELNS1_3gpuE6ELNS1_3repE0EEENS1_30default_config_static_selectorELNS0_4arch9wavefront6targetE0EEEvT1_.private_seg_size, 0
	.set _ZN7rocprim17ROCPRIM_400000_NS6detail17trampoline_kernelINS0_14default_configENS1_25partition_config_selectorILNS1_17partition_subalgoE5ExNS0_10empty_typeEbEEZZNS1_14partition_implILS5_5ELb0ES3_mN6thrust23THRUST_200600_302600_NS6detail15normal_iteratorINSA_10device_ptrIxEEEEPS6_NSA_18transform_iteratorINSB_9not_fun_tI7is_trueIxEEENSC_INSD_IbEEEENSA_11use_defaultESO_EENS0_5tupleIJNSA_16discard_iteratorISO_EES6_EEENSQ_IJSG_SG_EEES6_PlJS6_EEE10hipError_tPvRmT3_T4_T5_T6_T7_T9_mT8_P12ihipStream_tbDpT10_ENKUlT_T0_E_clISt17integral_constantIbLb0EES1E_IbLb1EEEEDaS1A_S1B_EUlS1A_E_NS1_11comp_targetILNS1_3genE2ELNS1_11target_archE906ELNS1_3gpuE6ELNS1_3repE0EEENS1_30default_config_static_selectorELNS0_4arch9wavefront6targetE0EEEvT1_.uses_vcc, 0
	.set _ZN7rocprim17ROCPRIM_400000_NS6detail17trampoline_kernelINS0_14default_configENS1_25partition_config_selectorILNS1_17partition_subalgoE5ExNS0_10empty_typeEbEEZZNS1_14partition_implILS5_5ELb0ES3_mN6thrust23THRUST_200600_302600_NS6detail15normal_iteratorINSA_10device_ptrIxEEEEPS6_NSA_18transform_iteratorINSB_9not_fun_tI7is_trueIxEEENSC_INSD_IbEEEENSA_11use_defaultESO_EENS0_5tupleIJNSA_16discard_iteratorISO_EES6_EEENSQ_IJSG_SG_EEES6_PlJS6_EEE10hipError_tPvRmT3_T4_T5_T6_T7_T9_mT8_P12ihipStream_tbDpT10_ENKUlT_T0_E_clISt17integral_constantIbLb0EES1E_IbLb1EEEEDaS1A_S1B_EUlS1A_E_NS1_11comp_targetILNS1_3genE2ELNS1_11target_archE906ELNS1_3gpuE6ELNS1_3repE0EEENS1_30default_config_static_selectorELNS0_4arch9wavefront6targetE0EEEvT1_.uses_flat_scratch, 0
	.set _ZN7rocprim17ROCPRIM_400000_NS6detail17trampoline_kernelINS0_14default_configENS1_25partition_config_selectorILNS1_17partition_subalgoE5ExNS0_10empty_typeEbEEZZNS1_14partition_implILS5_5ELb0ES3_mN6thrust23THRUST_200600_302600_NS6detail15normal_iteratorINSA_10device_ptrIxEEEEPS6_NSA_18transform_iteratorINSB_9not_fun_tI7is_trueIxEEENSC_INSD_IbEEEENSA_11use_defaultESO_EENS0_5tupleIJNSA_16discard_iteratorISO_EES6_EEENSQ_IJSG_SG_EEES6_PlJS6_EEE10hipError_tPvRmT3_T4_T5_T6_T7_T9_mT8_P12ihipStream_tbDpT10_ENKUlT_T0_E_clISt17integral_constantIbLb0EES1E_IbLb1EEEEDaS1A_S1B_EUlS1A_E_NS1_11comp_targetILNS1_3genE2ELNS1_11target_archE906ELNS1_3gpuE6ELNS1_3repE0EEENS1_30default_config_static_selectorELNS0_4arch9wavefront6targetE0EEEvT1_.has_dyn_sized_stack, 0
	.set _ZN7rocprim17ROCPRIM_400000_NS6detail17trampoline_kernelINS0_14default_configENS1_25partition_config_selectorILNS1_17partition_subalgoE5ExNS0_10empty_typeEbEEZZNS1_14partition_implILS5_5ELb0ES3_mN6thrust23THRUST_200600_302600_NS6detail15normal_iteratorINSA_10device_ptrIxEEEEPS6_NSA_18transform_iteratorINSB_9not_fun_tI7is_trueIxEEENSC_INSD_IbEEEENSA_11use_defaultESO_EENS0_5tupleIJNSA_16discard_iteratorISO_EES6_EEENSQ_IJSG_SG_EEES6_PlJS6_EEE10hipError_tPvRmT3_T4_T5_T6_T7_T9_mT8_P12ihipStream_tbDpT10_ENKUlT_T0_E_clISt17integral_constantIbLb0EES1E_IbLb1EEEEDaS1A_S1B_EUlS1A_E_NS1_11comp_targetILNS1_3genE2ELNS1_11target_archE906ELNS1_3gpuE6ELNS1_3repE0EEENS1_30default_config_static_selectorELNS0_4arch9wavefront6targetE0EEEvT1_.has_recursion, 0
	.set _ZN7rocprim17ROCPRIM_400000_NS6detail17trampoline_kernelINS0_14default_configENS1_25partition_config_selectorILNS1_17partition_subalgoE5ExNS0_10empty_typeEbEEZZNS1_14partition_implILS5_5ELb0ES3_mN6thrust23THRUST_200600_302600_NS6detail15normal_iteratorINSA_10device_ptrIxEEEEPS6_NSA_18transform_iteratorINSB_9not_fun_tI7is_trueIxEEENSC_INSD_IbEEEENSA_11use_defaultESO_EENS0_5tupleIJNSA_16discard_iteratorISO_EES6_EEENSQ_IJSG_SG_EEES6_PlJS6_EEE10hipError_tPvRmT3_T4_T5_T6_T7_T9_mT8_P12ihipStream_tbDpT10_ENKUlT_T0_E_clISt17integral_constantIbLb0EES1E_IbLb1EEEEDaS1A_S1B_EUlS1A_E_NS1_11comp_targetILNS1_3genE2ELNS1_11target_archE906ELNS1_3gpuE6ELNS1_3repE0EEENS1_30default_config_static_selectorELNS0_4arch9wavefront6targetE0EEEvT1_.has_indirect_call, 0
	.section	.AMDGPU.csdata,"",@progbits
; Kernel info:
; codeLenInByte = 0
; TotalNumSgprs: 0
; NumVgprs: 0
; ScratchSize: 0
; MemoryBound: 0
; FloatMode: 240
; IeeeMode: 1
; LDSByteSize: 0 bytes/workgroup (compile time only)
; SGPRBlocks: 0
; VGPRBlocks: 0
; NumSGPRsForWavesPerEU: 1
; NumVGPRsForWavesPerEU: 1
; Occupancy: 16
; WaveLimiterHint : 0
; COMPUTE_PGM_RSRC2:SCRATCH_EN: 0
; COMPUTE_PGM_RSRC2:USER_SGPR: 2
; COMPUTE_PGM_RSRC2:TRAP_HANDLER: 0
; COMPUTE_PGM_RSRC2:TGID_X_EN: 1
; COMPUTE_PGM_RSRC2:TGID_Y_EN: 0
; COMPUTE_PGM_RSRC2:TGID_Z_EN: 0
; COMPUTE_PGM_RSRC2:TIDIG_COMP_CNT: 0
	.section	.text._ZN7rocprim17ROCPRIM_400000_NS6detail17trampoline_kernelINS0_14default_configENS1_25partition_config_selectorILNS1_17partition_subalgoE5ExNS0_10empty_typeEbEEZZNS1_14partition_implILS5_5ELb0ES3_mN6thrust23THRUST_200600_302600_NS6detail15normal_iteratorINSA_10device_ptrIxEEEEPS6_NSA_18transform_iteratorINSB_9not_fun_tI7is_trueIxEEENSC_INSD_IbEEEENSA_11use_defaultESO_EENS0_5tupleIJNSA_16discard_iteratorISO_EES6_EEENSQ_IJSG_SG_EEES6_PlJS6_EEE10hipError_tPvRmT3_T4_T5_T6_T7_T9_mT8_P12ihipStream_tbDpT10_ENKUlT_T0_E_clISt17integral_constantIbLb0EES1E_IbLb1EEEEDaS1A_S1B_EUlS1A_E_NS1_11comp_targetILNS1_3genE10ELNS1_11target_archE1200ELNS1_3gpuE4ELNS1_3repE0EEENS1_30default_config_static_selectorELNS0_4arch9wavefront6targetE0EEEvT1_,"axG",@progbits,_ZN7rocprim17ROCPRIM_400000_NS6detail17trampoline_kernelINS0_14default_configENS1_25partition_config_selectorILNS1_17partition_subalgoE5ExNS0_10empty_typeEbEEZZNS1_14partition_implILS5_5ELb0ES3_mN6thrust23THRUST_200600_302600_NS6detail15normal_iteratorINSA_10device_ptrIxEEEEPS6_NSA_18transform_iteratorINSB_9not_fun_tI7is_trueIxEEENSC_INSD_IbEEEENSA_11use_defaultESO_EENS0_5tupleIJNSA_16discard_iteratorISO_EES6_EEENSQ_IJSG_SG_EEES6_PlJS6_EEE10hipError_tPvRmT3_T4_T5_T6_T7_T9_mT8_P12ihipStream_tbDpT10_ENKUlT_T0_E_clISt17integral_constantIbLb0EES1E_IbLb1EEEEDaS1A_S1B_EUlS1A_E_NS1_11comp_targetILNS1_3genE10ELNS1_11target_archE1200ELNS1_3gpuE4ELNS1_3repE0EEENS1_30default_config_static_selectorELNS0_4arch9wavefront6targetE0EEEvT1_,comdat
	.protected	_ZN7rocprim17ROCPRIM_400000_NS6detail17trampoline_kernelINS0_14default_configENS1_25partition_config_selectorILNS1_17partition_subalgoE5ExNS0_10empty_typeEbEEZZNS1_14partition_implILS5_5ELb0ES3_mN6thrust23THRUST_200600_302600_NS6detail15normal_iteratorINSA_10device_ptrIxEEEEPS6_NSA_18transform_iteratorINSB_9not_fun_tI7is_trueIxEEENSC_INSD_IbEEEENSA_11use_defaultESO_EENS0_5tupleIJNSA_16discard_iteratorISO_EES6_EEENSQ_IJSG_SG_EEES6_PlJS6_EEE10hipError_tPvRmT3_T4_T5_T6_T7_T9_mT8_P12ihipStream_tbDpT10_ENKUlT_T0_E_clISt17integral_constantIbLb0EES1E_IbLb1EEEEDaS1A_S1B_EUlS1A_E_NS1_11comp_targetILNS1_3genE10ELNS1_11target_archE1200ELNS1_3gpuE4ELNS1_3repE0EEENS1_30default_config_static_selectorELNS0_4arch9wavefront6targetE0EEEvT1_ ; -- Begin function _ZN7rocprim17ROCPRIM_400000_NS6detail17trampoline_kernelINS0_14default_configENS1_25partition_config_selectorILNS1_17partition_subalgoE5ExNS0_10empty_typeEbEEZZNS1_14partition_implILS5_5ELb0ES3_mN6thrust23THRUST_200600_302600_NS6detail15normal_iteratorINSA_10device_ptrIxEEEEPS6_NSA_18transform_iteratorINSB_9not_fun_tI7is_trueIxEEENSC_INSD_IbEEEENSA_11use_defaultESO_EENS0_5tupleIJNSA_16discard_iteratorISO_EES6_EEENSQ_IJSG_SG_EEES6_PlJS6_EEE10hipError_tPvRmT3_T4_T5_T6_T7_T9_mT8_P12ihipStream_tbDpT10_ENKUlT_T0_E_clISt17integral_constantIbLb0EES1E_IbLb1EEEEDaS1A_S1B_EUlS1A_E_NS1_11comp_targetILNS1_3genE10ELNS1_11target_archE1200ELNS1_3gpuE4ELNS1_3repE0EEENS1_30default_config_static_selectorELNS0_4arch9wavefront6targetE0EEEvT1_
	.globl	_ZN7rocprim17ROCPRIM_400000_NS6detail17trampoline_kernelINS0_14default_configENS1_25partition_config_selectorILNS1_17partition_subalgoE5ExNS0_10empty_typeEbEEZZNS1_14partition_implILS5_5ELb0ES3_mN6thrust23THRUST_200600_302600_NS6detail15normal_iteratorINSA_10device_ptrIxEEEEPS6_NSA_18transform_iteratorINSB_9not_fun_tI7is_trueIxEEENSC_INSD_IbEEEENSA_11use_defaultESO_EENS0_5tupleIJNSA_16discard_iteratorISO_EES6_EEENSQ_IJSG_SG_EEES6_PlJS6_EEE10hipError_tPvRmT3_T4_T5_T6_T7_T9_mT8_P12ihipStream_tbDpT10_ENKUlT_T0_E_clISt17integral_constantIbLb0EES1E_IbLb1EEEEDaS1A_S1B_EUlS1A_E_NS1_11comp_targetILNS1_3genE10ELNS1_11target_archE1200ELNS1_3gpuE4ELNS1_3repE0EEENS1_30default_config_static_selectorELNS0_4arch9wavefront6targetE0EEEvT1_
	.p2align	8
	.type	_ZN7rocprim17ROCPRIM_400000_NS6detail17trampoline_kernelINS0_14default_configENS1_25partition_config_selectorILNS1_17partition_subalgoE5ExNS0_10empty_typeEbEEZZNS1_14partition_implILS5_5ELb0ES3_mN6thrust23THRUST_200600_302600_NS6detail15normal_iteratorINSA_10device_ptrIxEEEEPS6_NSA_18transform_iteratorINSB_9not_fun_tI7is_trueIxEEENSC_INSD_IbEEEENSA_11use_defaultESO_EENS0_5tupleIJNSA_16discard_iteratorISO_EES6_EEENSQ_IJSG_SG_EEES6_PlJS6_EEE10hipError_tPvRmT3_T4_T5_T6_T7_T9_mT8_P12ihipStream_tbDpT10_ENKUlT_T0_E_clISt17integral_constantIbLb0EES1E_IbLb1EEEEDaS1A_S1B_EUlS1A_E_NS1_11comp_targetILNS1_3genE10ELNS1_11target_archE1200ELNS1_3gpuE4ELNS1_3repE0EEENS1_30default_config_static_selectorELNS0_4arch9wavefront6targetE0EEEvT1_,@function
_ZN7rocprim17ROCPRIM_400000_NS6detail17trampoline_kernelINS0_14default_configENS1_25partition_config_selectorILNS1_17partition_subalgoE5ExNS0_10empty_typeEbEEZZNS1_14partition_implILS5_5ELb0ES3_mN6thrust23THRUST_200600_302600_NS6detail15normal_iteratorINSA_10device_ptrIxEEEEPS6_NSA_18transform_iteratorINSB_9not_fun_tI7is_trueIxEEENSC_INSD_IbEEEENSA_11use_defaultESO_EENS0_5tupleIJNSA_16discard_iteratorISO_EES6_EEENSQ_IJSG_SG_EEES6_PlJS6_EEE10hipError_tPvRmT3_T4_T5_T6_T7_T9_mT8_P12ihipStream_tbDpT10_ENKUlT_T0_E_clISt17integral_constantIbLb0EES1E_IbLb1EEEEDaS1A_S1B_EUlS1A_E_NS1_11comp_targetILNS1_3genE10ELNS1_11target_archE1200ELNS1_3gpuE4ELNS1_3repE0EEENS1_30default_config_static_selectorELNS0_4arch9wavefront6targetE0EEEvT1_: ; @_ZN7rocprim17ROCPRIM_400000_NS6detail17trampoline_kernelINS0_14default_configENS1_25partition_config_selectorILNS1_17partition_subalgoE5ExNS0_10empty_typeEbEEZZNS1_14partition_implILS5_5ELb0ES3_mN6thrust23THRUST_200600_302600_NS6detail15normal_iteratorINSA_10device_ptrIxEEEEPS6_NSA_18transform_iteratorINSB_9not_fun_tI7is_trueIxEEENSC_INSD_IbEEEENSA_11use_defaultESO_EENS0_5tupleIJNSA_16discard_iteratorISO_EES6_EEENSQ_IJSG_SG_EEES6_PlJS6_EEE10hipError_tPvRmT3_T4_T5_T6_T7_T9_mT8_P12ihipStream_tbDpT10_ENKUlT_T0_E_clISt17integral_constantIbLb0EES1E_IbLb1EEEEDaS1A_S1B_EUlS1A_E_NS1_11comp_targetILNS1_3genE10ELNS1_11target_archE1200ELNS1_3gpuE4ELNS1_3repE0EEENS1_30default_config_static_selectorELNS0_4arch9wavefront6targetE0EEEvT1_
; %bb.0:
	s_clause 0x2
	s_load_b64 s[16:17], s[0:1], 0x60
	s_load_b128 s[4:7], s[0:1], 0x50
	s_load_b64 s[12:13], s[0:1], 0x70
	v_cmp_eq_u32_e64 s2, 0, v0
	s_and_saveexec_b32 s3, s2
	s_cbranch_execz .LBB2778_4
; %bb.1:
	s_mov_b32 s9, exec_lo
	s_mov_b32 s8, exec_lo
	v_mbcnt_lo_u32_b32 v1, s9, 0
                                        ; implicit-def: $vgpr2
	s_delay_alu instid0(VALU_DEP_1)
	v_cmpx_eq_u32_e32 0, v1
	s_cbranch_execz .LBB2778_3
; %bb.2:
	s_load_b64 s[10:11], s[0:1], 0x80
	s_bcnt1_i32_b32 s9, s9
	s_wait_alu 0xfffe
	v_dual_mov_b32 v2, 0 :: v_dual_mov_b32 v3, s9
	s_wait_kmcnt 0x0
	global_atomic_add_u32 v2, v2, v3, s[10:11] th:TH_ATOMIC_RETURN scope:SCOPE_DEV
.LBB2778_3:
	s_or_b32 exec_lo, exec_lo, s8
	s_wait_loadcnt 0x0
	v_readfirstlane_b32 s8, v2
	s_wait_alu 0xf1ff
	s_delay_alu instid0(VALU_DEP_1)
	v_dual_mov_b32 v2, 0 :: v_dual_add_nc_u32 v1, s8, v1
	ds_store_b32 v2, v1
.LBB2778_4:
	s_or_b32 exec_lo, exec_lo, s3
	v_mov_b32_e32 v1, 0
	s_clause 0x2
	s_load_b128 s[8:11], s[0:1], 0x8
	s_load_b64 s[14:15], s[0:1], 0x20
	s_load_b32 s0, s[0:1], 0x78
	s_wait_dscnt 0x0
	s_barrier_signal -1
	s_barrier_wait -1
	global_inv scope:SCOPE_SE
	ds_load_b32 v2, v1
	s_wait_loadcnt_dscnt 0x0
	s_barrier_signal -1
	s_barrier_wait -1
	global_inv scope:SCOPE_SE
	s_wait_kmcnt 0x0
	global_load_b64 v[17:18], v1, s[6:7]
	v_lshrrev_b32_e32 v12, 2, v0
	v_or_b32_e32 v11, 0x100, v0
	v_or_b32_e32 v10, 0x200, v0
	;; [unrolled: 1-line block ×3, first 2 shown]
	s_lshl_b64 s[6:7], s[10:11], 3
	s_add_co_i32 s19, s0, -1
	s_add_nc_u64 s[8:9], s[8:9], s[6:7]
	s_lshl_b32 s1, s19, 10
	s_lshl_b32 s6, s0, 10
	s_add_co_i32 s1, s10, s1
	v_readfirstlane_b32 s18, v2
	s_mov_b32 s7, 0
	s_sub_co_i32 s3, s16, s1
	s_add_nc_u64 s[0:1], s[10:11], s[6:7]
	s_lshl_b32 s20, s18, 10
	s_cmp_eq_u32 s18, s19
	v_cmp_gt_u64_e64 s0, s[16:17], s[0:1]
	s_cselect_b32 s16, -1, 0
	s_cmp_lg_u32 s18, s19
	s_mov_b32 s6, s20
	s_cselect_b32 s17, -1, 0
	s_lshl_b64 s[20:21], s[6:7], 3
	s_wait_alu 0xfffe
	s_or_b32 s17, s0, s17
	s_mov_b32 s1, -1
	s_wait_alu 0xfffe
	s_and_b32 vcc_lo, exec_lo, s17
	s_add_nc_u64 s[8:9], s[8:9], s[20:21]
	s_cbranch_vccz .LBB2778_6
; %bb.5:
	v_lshlrev_b32_e32 v13, 3, v0
	v_lshrrev_b32_e32 v14, 2, v11
	v_lshrrev_b32_e32 v15, 2, v10
	;; [unrolled: 1-line block ×3, first 2 shown]
	v_and_b32_e32 v19, 56, v12
	s_wait_alu 0xfffe
	v_add_co_u32 v1, s0, s8, v13
	s_wait_alu 0xf1ff
	v_add_co_ci_u32_e64 v2, null, s9, 0, s0
	v_and_b32_e32 v14, 0x78, v14
	v_and_b32_e32 v15, 0xb8, v15
	;; [unrolled: 1-line block ×3, first 2 shown]
	s_clause 0x3
	flat_load_b64 v[3:4], v[1:2]
	flat_load_b64 v[5:6], v[1:2] offset:2048
	flat_load_b64 v[7:8], v[1:2] offset:4096
	;; [unrolled: 1-line block ×3, first 2 shown]
	v_add_nc_u32_e32 v19, v19, v13
	v_add_nc_u32_e32 v14, v14, v13
	;; [unrolled: 1-line block ×4, first 2 shown]
	s_mov_b32 s1, s7
	s_wait_loadcnt_dscnt 0x303
	ds_store_b64 v19, v[3:4]
	s_wait_loadcnt_dscnt 0x203
	ds_store_b64 v14, v[5:6] offset:2048
	s_wait_loadcnt_dscnt 0x103
	ds_store_b64 v15, v[7:8] offset:4096
	;; [unrolled: 2-line block ×3, first 2 shown]
	s_wait_dscnt 0x0
	s_barrier_signal -1
	s_barrier_wait -1
.LBB2778_6:
	v_cmp_gt_u32_e64 s0, s3, v0
	s_wait_alu 0xfffe
	s_and_not1_b32 vcc_lo, exec_lo, s1
	s_cbranch_vccnz .LBB2778_13
; %bb.7:
	v_mov_b32_e32 v1, 0
	s_delay_alu instid0(VALU_DEP_1)
	v_dual_mov_b32 v2, v1 :: v_dual_mov_b32 v3, v1
	v_dual_mov_b32 v4, v1 :: v_dual_mov_b32 v5, v1
	;; [unrolled: 1-line block ×3, first 2 shown]
	v_mov_b32_e32 v8, v1
	s_and_saveexec_b32 s1, s0
	s_cbranch_execnz .LBB2778_123
; %bb.8:
	s_wait_alu 0xfffe
	s_or_b32 exec_lo, exec_lo, s1
	s_delay_alu instid0(SALU_CYCLE_1)
	s_mov_b32 s0, exec_lo
	v_cmpx_gt_u32_e64 s3, v11
	s_cbranch_execnz .LBB2778_124
.LBB2778_9:
	s_wait_alu 0xfffe
	s_or_b32 exec_lo, exec_lo, s0
	s_delay_alu instid0(SALU_CYCLE_1)
	s_mov_b32 s0, exec_lo
	v_cmpx_gt_u32_e64 s3, v10
	s_cbranch_execnz .LBB2778_125
.LBB2778_10:
	s_wait_alu 0xfffe
	s_or_b32 exec_lo, exec_lo, s0
	s_delay_alu instid0(SALU_CYCLE_1)
	s_mov_b32 s0, exec_lo
	v_cmpx_gt_u32_e64 s3, v9
	s_cbranch_execz .LBB2778_12
.LBB2778_11:
	v_lshlrev_b32_e32 v7, 3, v0
	s_delay_alu instid0(VALU_DEP_1)
	v_add_co_u32 v7, s1, s8, v7
	s_wait_alu 0xf1ff
	v_add_co_ci_u32_e64 v8, null, s9, 0, s1
	flat_load_b64 v[7:8], v[7:8] offset:6144
.LBB2778_12:
	s_wait_alu 0xfffe
	s_or_b32 exec_lo, exec_lo, s0
	v_lshrrev_b32_e32 v13, 2, v11
	v_lshrrev_b32_e32 v14, 2, v10
	v_lshrrev_b32_e32 v15, 2, v9
	v_and_b32_e32 v12, 56, v12
	v_lshlrev_b32_e32 v16, 3, v0
	v_and_b32_e32 v13, 0x78, v13
	v_and_b32_e32 v14, 0xf8, v14
	;; [unrolled: 1-line block ×3, first 2 shown]
	s_delay_alu instid0(VALU_DEP_4) | instskip(NEXT) | instid1(VALU_DEP_4)
	v_add_nc_u32_e32 v12, v12, v16
	v_add_nc_u32_e32 v13, v13, v16
	s_delay_alu instid0(VALU_DEP_4) | instskip(NEXT) | instid1(VALU_DEP_4)
	v_add_nc_u32_e32 v14, v14, v16
	v_add_nc_u32_e32 v15, v15, v16
	ds_store_b64 v12, v[1:2]
	s_wait_loadcnt_dscnt 0x1
	ds_store_b64 v13, v[3:4] offset:2048
	ds_store_b64 v14, v[5:6] offset:4096
	;; [unrolled: 1-line block ×3, first 2 shown]
	s_wait_dscnt 0x0
	s_barrier_signal -1
	s_barrier_wait -1
.LBB2778_13:
	v_and_b32_e32 v1, 0xf8, v0
	s_wait_loadcnt 0x0
	global_inv scope:SCOPE_SE
	v_lshrrev_b32_e32 v27, 5, v0
	s_add_nc_u64 s[0:1], s[14:15], s[10:11]
	s_and_b32 vcc_lo, exec_lo, s17
	v_lshl_add_u32 v1, v0, 5, v1
	s_wait_alu 0xfffe
	s_add_nc_u64 s[0:1], s[0:1], s[6:7]
	s_mov_b32 s6, -1
	ds_load_2addr_b64 v[5:8], v1 offset1:1
	ds_load_2addr_b64 v[1:4], v1 offset0:2 offset1:3
	s_wait_loadcnt_dscnt 0x0
	s_barrier_signal -1
	s_barrier_wait -1
	global_inv scope:SCOPE_SE
	s_cbranch_vccz .LBB2778_15
; %bb.14:
	s_clause 0x3
	global_load_u8 v12, v0, s[0:1]
	global_load_u8 v13, v0, s[0:1] offset:256
	global_load_u8 v14, v0, s[0:1] offset:512
	;; [unrolled: 1-line block ×3, first 2 shown]
	v_lshrrev_b32_e32 v16, 5, v11
	v_lshrrev_b32_e32 v19, 5, v10
	;; [unrolled: 1-line block ×3, first 2 shown]
	v_and_b32_e32 v21, 4, v27
	s_mov_b32 s6, 0
	v_and_b32_e32 v16, 12, v16
	v_and_b32_e32 v19, 20, v19
	;; [unrolled: 1-line block ×3, first 2 shown]
	v_add_nc_u32_e32 v21, v21, v0
	s_delay_alu instid0(VALU_DEP_4) | instskip(NEXT) | instid1(VALU_DEP_4)
	v_add_nc_u32_e32 v16, v16, v0
	v_add_nc_u32_e32 v19, v19, v0
	s_delay_alu instid0(VALU_DEP_4)
	v_add_nc_u32_e32 v20, v20, v0
	s_wait_loadcnt 0x3
	v_xor_b32_e32 v12, 1, v12
	s_wait_loadcnt 0x2
	v_xor_b32_e32 v13, 1, v13
	;; [unrolled: 2-line block ×4, first 2 shown]
	ds_store_b8 v21, v12
	ds_store_b8 v16, v13 offset:256
	ds_store_b8 v19, v14 offset:512
	;; [unrolled: 1-line block ×3, first 2 shown]
	s_wait_dscnt 0x0
	s_barrier_signal -1
	s_barrier_wait -1
.LBB2778_15:
	v_lshlrev_b32_e32 v12, 2, v0
	v_lshrrev_b32_e32 v13, 3, v0
	s_and_not1_b32 vcc_lo, exec_lo, s6
	s_cbranch_vccnz .LBB2778_22
; %bb.16:
	v_dual_mov_b32 v14, 0 :: v_dual_mov_b32 v15, 0
	s_mov_b32 s6, exec_lo
	v_cmpx_gt_u32_e64 s3, v0
	s_cbranch_execnz .LBB2778_126
; %bb.17:
	s_or_b32 exec_lo, exec_lo, s6
	s_delay_alu instid0(SALU_CYCLE_1)
	s_mov_b32 s6, exec_lo
	v_cmpx_gt_u32_e64 s3, v11
	s_cbranch_execnz .LBB2778_127
.LBB2778_18:
	s_or_b32 exec_lo, exec_lo, s6
	s_delay_alu instid0(SALU_CYCLE_1)
	s_mov_b32 s6, exec_lo
	v_cmpx_gt_u32_e64 s3, v10
	s_cbranch_execnz .LBB2778_128
.LBB2778_19:
	s_or_b32 exec_lo, exec_lo, s6
	v_cmp_gt_u32_e32 vcc_lo, s3, v9
	s_and_saveexec_b32 s3, vcc_lo
	s_cbranch_execz .LBB2778_21
.LBB2778_20:
	global_load_u8 v16, v0, s[0:1] offset:768
	v_lshrrev_b32_e32 v19, 16, v15
	s_wait_loadcnt 0x0
	v_xor_b32_e32 v16, 1, v16
	s_delay_alu instid0(VALU_DEP_1) | instskip(NEXT) | instid1(VALU_DEP_1)
	v_lshlrev_b16 v16, 8, v16
	v_or_b32_e32 v16, v19, v16
	s_delay_alu instid0(VALU_DEP_1) | instskip(NEXT) | instid1(VALU_DEP_1)
	v_lshlrev_b32_e32 v16, 16, v16
	v_and_or_b32 v15, 0xffff, v15, v16
.LBB2778_21:
	s_wait_alu 0xfffe
	s_or_b32 exec_lo, exec_lo, s3
	v_lshrrev_b32_e32 v11, 5, v11
	v_lshrrev_b32_e32 v10, 5, v10
	;; [unrolled: 1-line block ×3, first 2 shown]
	v_and_b32_e32 v16, 4, v27
	v_lshrrev_b32_e32 v19, 8, v15
	v_and_b32_e32 v11, 12, v11
	v_and_b32_e32 v10, 28, v10
	;; [unrolled: 1-line block ×3, first 2 shown]
	v_add_nc_u32_e32 v16, v16, v0
	v_lshrrev_b32_e32 v20, 24, v15
	v_add_nc_u32_e32 v11, v11, v0
	v_add_nc_u32_e32 v10, v10, v0
	;; [unrolled: 1-line block ×3, first 2 shown]
	ds_store_b8 v16, v14
	ds_store_b8 v11, v19 offset:256
	ds_store_b8_d16_hi v10, v15 offset:512
	ds_store_b8 v9, v20 offset:768
	s_wait_loadcnt_dscnt 0x0
	s_barrier_signal -1
	s_barrier_wait -1
.LBB2778_22:
	s_delay_alu instid0(VALU_DEP_1)
	v_and_b32_e32 v9, 28, v13
	s_wait_loadcnt 0x0
	global_inv scope:SCOPE_SE
	v_mbcnt_lo_u32_b32 v33, -1, 0
	s_cmp_lg_u32 s18, 0
	s_mov_b32 s1, -1
	v_add_nc_u32_e32 v9, v9, v12
	s_delay_alu instid0(VALU_DEP_2)
	v_dual_mov_b32 v11, 0 :: v_dual_and_b32 v34, 15, v33
	ds_load_b32 v29, v9
	s_wait_loadcnt_dscnt 0x0
	s_barrier_signal -1
	s_barrier_wait -1
	global_inv scope:SCOPE_SE
	v_and_b32_e32 v32, 0xff, v29
	v_bfe_u32 v31, v29, 8, 8
	v_bfe_u32 v30, v29, 16, 8
	v_lshrrev_b32_e32 v28, 24, v29
	s_delay_alu instid0(VALU_DEP_2) | instskip(NEXT) | instid1(VALU_DEP_1)
	v_add3_u32 v9, v31, v32, v30
	v_add_co_u32 v19, s0, v9, v28
	s_wait_alu 0xf1fe
	v_add_co_ci_u32_e64 v20, null, 0, 0, s0
	v_cmp_ne_u32_e64 s0, 0, v34
	s_cbranch_scc0 .LBB2778_79
; %bb.23:
	v_dual_mov_b32 v12, v19 :: v_dual_mov_b32 v9, v19
	v_mov_b32_dpp v14, v19 row_shr:1 row_mask:0xf bank_mask:0xf
	v_mov_b32_dpp v13, v11 row_shr:1 row_mask:0xf bank_mask:0xf
	v_mov_b32_e32 v10, v20
	s_and_saveexec_b32 s1, s0
; %bb.24:
	s_delay_alu instid0(VALU_DEP_3) | instskip(NEXT) | instid1(VALU_DEP_1)
	v_add_co_u32 v12, vcc_lo, v19, v14
	v_add_co_ci_u32_e64 v9, null, 0, v20, vcc_lo
	s_delay_alu instid0(VALU_DEP_2) | instskip(SKIP_1) | instid1(VALU_DEP_2)
	v_add_co_u32 v10, vcc_lo, 0, v12
	s_wait_alu 0xfffd
	v_add_co_ci_u32_e64 v11, null, v13, v9, vcc_lo
	s_delay_alu instid0(VALU_DEP_2) | instskip(NEXT) | instid1(VALU_DEP_2)
	v_mov_b32_e32 v9, v10
	v_mov_b32_e32 v10, v11
; %bb.25:
	s_wait_alu 0xfffe
	s_or_b32 exec_lo, exec_lo, s1
	v_mov_b32_dpp v14, v12 row_shr:2 row_mask:0xf bank_mask:0xf
	v_mov_b32_dpp v13, v11 row_shr:2 row_mask:0xf bank_mask:0xf
	s_mov_b32 s1, exec_lo
	v_cmpx_lt_u32_e32 1, v34
; %bb.26:
	s_delay_alu instid0(VALU_DEP_3) | instskip(SKIP_2) | instid1(VALU_DEP_2)
	v_add_co_u32 v12, vcc_lo, v9, v14
	s_wait_alu 0xfffd
	v_add_co_ci_u32_e64 v9, null, 0, v10, vcc_lo
	v_add_co_u32 v10, vcc_lo, 0, v12
	s_wait_alu 0xfffd
	s_delay_alu instid0(VALU_DEP_2) | instskip(NEXT) | instid1(VALU_DEP_2)
	v_add_co_ci_u32_e64 v11, null, v13, v9, vcc_lo
	v_mov_b32_e32 v9, v10
	s_delay_alu instid0(VALU_DEP_2)
	v_mov_b32_e32 v10, v11
; %bb.27:
	s_wait_alu 0xfffe
	s_or_b32 exec_lo, exec_lo, s1
	v_mov_b32_dpp v14, v12 row_shr:4 row_mask:0xf bank_mask:0xf
	v_mov_b32_dpp v13, v11 row_shr:4 row_mask:0xf bank_mask:0xf
	s_mov_b32 s1, exec_lo
	v_cmpx_lt_u32_e32 3, v34
; %bb.28:
	s_delay_alu instid0(VALU_DEP_3) | instskip(SKIP_2) | instid1(VALU_DEP_2)
	v_add_co_u32 v12, vcc_lo, v9, v14
	s_wait_alu 0xfffd
	v_add_co_ci_u32_e64 v9, null, 0, v10, vcc_lo
	v_add_co_u32 v10, vcc_lo, 0, v12
	s_wait_alu 0xfffd
	s_delay_alu instid0(VALU_DEP_2) | instskip(NEXT) | instid1(VALU_DEP_2)
	v_add_co_ci_u32_e64 v11, null, v13, v9, vcc_lo
	v_mov_b32_e32 v9, v10
	s_delay_alu instid0(VALU_DEP_2)
	v_mov_b32_e32 v10, v11
; %bb.29:
	s_wait_alu 0xfffe
	s_or_b32 exec_lo, exec_lo, s1
	v_mov_b32_dpp v14, v12 row_shr:8 row_mask:0xf bank_mask:0xf
	v_mov_b32_dpp v13, v11 row_shr:8 row_mask:0xf bank_mask:0xf
	s_mov_b32 s1, exec_lo
	v_cmpx_lt_u32_e32 7, v34
; %bb.30:
	s_delay_alu instid0(VALU_DEP_3) | instskip(SKIP_2) | instid1(VALU_DEP_2)
	v_add_co_u32 v12, vcc_lo, v9, v14
	s_wait_alu 0xfffd
	v_add_co_ci_u32_e64 v10, null, 0, v10, vcc_lo
	v_add_co_u32 v9, vcc_lo, 0, v12
	s_wait_alu 0xfffd
	s_delay_alu instid0(VALU_DEP_2) | instskip(NEXT) | instid1(VALU_DEP_1)
	v_add_co_ci_u32_e64 v10, null, v13, v10, vcc_lo
	v_mov_b32_e32 v11, v10
; %bb.31:
	s_wait_alu 0xfffe
	s_or_b32 exec_lo, exec_lo, s1
	ds_swizzle_b32 v13, v12 offset:swizzle(BROADCAST,32,15)
	ds_swizzle_b32 v11, v11 offset:swizzle(BROADCAST,32,15)
	v_and_b32_e32 v14, 16, v33
	s_mov_b32 s1, exec_lo
	s_delay_alu instid0(VALU_DEP_1)
	v_cmpx_ne_u32_e32 0, v14
	s_cbranch_execz .LBB2778_33
; %bb.32:
	s_wait_dscnt 0x1
	v_add_co_u32 v12, vcc_lo, v9, v13
	s_wait_alu 0xfffd
	v_add_co_ci_u32_e64 v10, null, 0, v10, vcc_lo
	s_delay_alu instid0(VALU_DEP_2) | instskip(SKIP_2) | instid1(VALU_DEP_2)
	v_add_co_u32 v9, vcc_lo, 0, v12
	s_wait_dscnt 0x0
	s_wait_alu 0xfffd
	v_add_co_ci_u32_e64 v10, null, v11, v10, vcc_lo
.LBB2778_33:
	s_wait_alu 0xfffe
	s_or_b32 exec_lo, exec_lo, s1
	s_wait_dscnt 0x0
	v_or_b32_e32 v11, 31, v0
	s_mov_b32 s1, exec_lo
	s_delay_alu instid0(VALU_DEP_1)
	v_cmpx_eq_u32_e64 v0, v11
; %bb.34:
	v_lshlrev_b32_e32 v11, 3, v27
	ds_store_b64 v11, v[9:10]
; %bb.35:
	s_wait_alu 0xfffe
	s_or_b32 exec_lo, exec_lo, s1
	s_delay_alu instid0(SALU_CYCLE_1)
	s_mov_b32 s1, exec_lo
	s_wait_loadcnt_dscnt 0x0
	s_barrier_signal -1
	s_barrier_wait -1
	global_inv scope:SCOPE_SE
	v_cmpx_gt_u32_e32 8, v0
	s_cbranch_execz .LBB2778_43
; %bb.36:
	v_lshlrev_b32_e32 v11, 3, v0
	v_and_b32_e32 v13, 7, v33
	s_mov_b32 s3, exec_lo
	ds_load_b64 v[9:10], v11
	s_wait_dscnt 0x0
	v_mov_b32_dpp v16, v9 row_shr:1 row_mask:0xf bank_mask:0xf
	v_mov_b32_dpp v15, v10 row_shr:1 row_mask:0xf bank_mask:0xf
	v_mov_b32_e32 v14, v9
	v_cmpx_ne_u32_e32 0, v13
; %bb.37:
	s_delay_alu instid0(VALU_DEP_4) | instskip(SKIP_2) | instid1(VALU_DEP_2)
	v_add_co_u32 v14, vcc_lo, v9, v16
	s_wait_alu 0xfffd
	v_add_co_ci_u32_e64 v10, null, 0, v10, vcc_lo
	v_add_co_u32 v9, vcc_lo, 0, v14
	s_wait_alu 0xfffd
	s_delay_alu instid0(VALU_DEP_2)
	v_add_co_ci_u32_e64 v10, null, v15, v10, vcc_lo
; %bb.38:
	s_wait_alu 0xfffe
	s_or_b32 exec_lo, exec_lo, s3
	v_mov_b32_dpp v16, v14 row_shr:2 row_mask:0xf bank_mask:0xf
	s_delay_alu instid0(VALU_DEP_2)
	v_mov_b32_dpp v15, v10 row_shr:2 row_mask:0xf bank_mask:0xf
	s_mov_b32 s3, exec_lo
	v_cmpx_lt_u32_e32 1, v13
; %bb.39:
	s_delay_alu instid0(VALU_DEP_3) | instskip(SKIP_2) | instid1(VALU_DEP_2)
	v_add_co_u32 v14, vcc_lo, v9, v16
	s_wait_alu 0xfffd
	v_add_co_ci_u32_e64 v10, null, 0, v10, vcc_lo
	v_add_co_u32 v9, vcc_lo, 0, v14
	s_wait_alu 0xfffd
	s_delay_alu instid0(VALU_DEP_2)
	v_add_co_ci_u32_e64 v10, null, v15, v10, vcc_lo
; %bb.40:
	s_wait_alu 0xfffe
	s_or_b32 exec_lo, exec_lo, s3
	v_mov_b32_dpp v15, v14 row_shr:4 row_mask:0xf bank_mask:0xf
	s_delay_alu instid0(VALU_DEP_2)
	v_mov_b32_dpp v14, v10 row_shr:4 row_mask:0xf bank_mask:0xf
	s_mov_b32 s3, exec_lo
	v_cmpx_lt_u32_e32 3, v13
; %bb.41:
	s_delay_alu instid0(VALU_DEP_3) | instskip(SKIP_2) | instid1(VALU_DEP_2)
	v_add_co_u32 v9, vcc_lo, v9, v15
	s_wait_alu 0xfffd
	v_add_co_ci_u32_e64 v10, null, 0, v10, vcc_lo
	v_add_co_u32 v9, vcc_lo, v9, 0
	s_wait_alu 0xfffd
	s_delay_alu instid0(VALU_DEP_2)
	v_add_co_ci_u32_e64 v10, null, v10, v14, vcc_lo
; %bb.42:
	s_wait_alu 0xfffe
	s_or_b32 exec_lo, exec_lo, s3
	ds_store_b64 v11, v[9:10]
.LBB2778_43:
	s_wait_alu 0xfffe
	s_or_b32 exec_lo, exec_lo, s1
	s_delay_alu instid0(SALU_CYCLE_1)
	s_mov_b32 s3, exec_lo
	v_cmp_gt_u32_e32 vcc_lo, 32, v0
	s_wait_loadcnt_dscnt 0x0
	s_barrier_signal -1
	s_barrier_wait -1
	global_inv scope:SCOPE_SE
                                        ; implicit-def: $vgpr21_vgpr22
	v_cmpx_lt_u32_e32 31, v0
	s_cbranch_execz .LBB2778_45
; %bb.44:
	v_lshl_add_u32 v9, v27, 3, -8
	ds_load_b64 v[21:22], v9
	s_wait_dscnt 0x0
	v_add_nc_u32_e32 v12, v12, v21
.LBB2778_45:
	s_wait_alu 0xfffe
	s_or_b32 exec_lo, exec_lo, s3
	v_sub_co_u32 v9, s1, v33, 1
	s_delay_alu instid0(VALU_DEP_1) | instskip(SKIP_1) | instid1(VALU_DEP_1)
	v_cmp_gt_i32_e64 s3, 0, v9
	s_wait_alu 0xf1ff
	v_cndmask_b32_e64 v9, v9, v33, s3
	s_delay_alu instid0(VALU_DEP_1)
	v_lshlrev_b32_e32 v9, 2, v9
	ds_bpermute_b32 v35, v9, v12
	s_and_saveexec_b32 s3, vcc_lo
	s_cbranch_execz .LBB2778_84
; %bb.46:
	v_mov_b32_e32 v12, 0
	ds_load_b64 v[9:10], v12 offset:56
	s_and_saveexec_b32 s6, s1
	s_cbranch_execz .LBB2778_48
; %bb.47:
	s_add_co_i32 s8, s18, 32
	s_mov_b32 s9, 0
	s_wait_alu 0xfffe
	s_lshl_b64 s[8:9], s[8:9], 4
	s_wait_alu 0xfffe
	s_add_nc_u64 s[8:9], s[12:13], s[8:9]
	s_wait_alu 0xfffe
	v_dual_mov_b32 v11, 1 :: v_dual_mov_b32 v14, s9
	v_mov_b32_e32 v13, s8
	s_wait_dscnt 0x0
	;;#ASMSTART
	global_store_b128 v[13:14], v[9:12] off scope:SCOPE_DEV	
s_wait_storecnt 0x0
	;;#ASMEND
.LBB2778_48:
	s_or_b32 exec_lo, exec_lo, s6
	v_xad_u32 v23, v33, -1, s18
	s_mov_b32 s6, exec_lo
	s_delay_alu instid0(VALU_DEP_1) | instskip(NEXT) | instid1(VALU_DEP_1)
	v_add_nc_u32_e32 v11, 32, v23
	v_lshlrev_b64_e32 v[11:12], 4, v[11:12]
	s_delay_alu instid0(VALU_DEP_1) | instskip(SKIP_1) | instid1(VALU_DEP_2)
	v_add_co_u32 v11, vcc_lo, s12, v11
	s_wait_alu 0xfffd
	v_add_co_ci_u32_e64 v12, null, s13, v12, vcc_lo
	;;#ASMSTART
	global_load_b128 v[13:16], v[11:12] off scope:SCOPE_DEV	
s_wait_loadcnt 0x0
	;;#ASMEND
	v_and_b32_e32 v16, 0xff, v15
	s_delay_alu instid0(VALU_DEP_1)
	v_cmpx_eq_u16_e32 0, v16
	s_cbranch_execz .LBB2778_51
.LBB2778_49:                            ; =>This Inner Loop Header: Depth=1
	;;#ASMSTART
	global_load_b128 v[13:16], v[11:12] off scope:SCOPE_DEV	
s_wait_loadcnt 0x0
	;;#ASMEND
	v_and_b32_e32 v16, 0xff, v15
	s_delay_alu instid0(VALU_DEP_1) | instskip(SKIP_1) | instid1(SALU_CYCLE_1)
	v_cmp_ne_u16_e32 vcc_lo, 0, v16
	s_or_b32 s7, vcc_lo, s7
	s_and_not1_b32 exec_lo, exec_lo, s7
	s_cbranch_execnz .LBB2778_49
; %bb.50:
	s_or_b32 exec_lo, exec_lo, s7
.LBB2778_51:
	s_delay_alu instid0(SALU_CYCLE_1)
	s_or_b32 exec_lo, exec_lo, s6
	v_cmp_ne_u32_e32 vcc_lo, 31, v33
	v_and_b32_e32 v12, 0xff, v15
	v_lshlrev_b32_e64 v37, v33, -1
	s_mov_b32 s6, exec_lo
	s_wait_alu 0xfffd
	v_add_co_ci_u32_e64 v11, null, 0, v33, vcc_lo
	v_cmp_eq_u16_e32 vcc_lo, 2, v12
	v_mov_b32_e32 v12, v13
	s_delay_alu instid0(VALU_DEP_3)
	v_lshlrev_b32_e32 v36, 2, v11
	s_wait_alu 0xfffd
	v_and_or_b32 v11, vcc_lo, v37, 0x80000000
	ds_bpermute_b32 v24, v36, v13
	ds_bpermute_b32 v16, v36, v14
	v_ctz_i32_b32_e32 v11, v11
	s_delay_alu instid0(VALU_DEP_1)
	v_cmpx_lt_u32_e64 v33, v11
	s_cbranch_execz .LBB2778_53
; %bb.52:
	s_wait_dscnt 0x1
	v_add_co_u32 v12, vcc_lo, v13, v24
	s_wait_alu 0xfffd
	v_add_co_ci_u32_e64 v14, null, 0, v14, vcc_lo
	s_delay_alu instid0(VALU_DEP_2) | instskip(SKIP_2) | instid1(VALU_DEP_2)
	v_add_co_u32 v13, vcc_lo, 0, v12
	s_wait_dscnt 0x0
	s_wait_alu 0xfffd
	v_add_co_ci_u32_e64 v14, null, v16, v14, vcc_lo
.LBB2778_53:
	s_or_b32 exec_lo, exec_lo, s6
	v_cmp_gt_u32_e32 vcc_lo, 30, v33
	v_add_nc_u32_e32 v39, 2, v33
	s_mov_b32 s6, exec_lo
	s_wait_dscnt 0x0
	s_wait_alu 0xfffd
	v_cndmask_b32_e64 v16, 0, 2, vcc_lo
	s_delay_alu instid0(VALU_DEP_1)
	v_add_lshl_u32 v38, v16, v33, 2
	ds_bpermute_b32 v24, v38, v12
	ds_bpermute_b32 v16, v38, v14
	v_cmpx_le_u32_e64 v39, v11
	s_cbranch_execz .LBB2778_55
; %bb.54:
	s_wait_dscnt 0x1
	v_add_co_u32 v12, vcc_lo, v13, v24
	s_wait_alu 0xfffd
	v_add_co_ci_u32_e64 v14, null, 0, v14, vcc_lo
	s_delay_alu instid0(VALU_DEP_2) | instskip(SKIP_2) | instid1(VALU_DEP_2)
	v_add_co_u32 v13, vcc_lo, 0, v12
	s_wait_dscnt 0x0
	s_wait_alu 0xfffd
	v_add_co_ci_u32_e64 v14, null, v16, v14, vcc_lo
.LBB2778_55:
	s_or_b32 exec_lo, exec_lo, s6
	v_cmp_gt_u32_e32 vcc_lo, 28, v33
	v_add_nc_u32_e32 v41, 4, v33
	s_mov_b32 s6, exec_lo
	s_wait_dscnt 0x0
	s_wait_alu 0xfffd
	v_cndmask_b32_e64 v16, 0, 4, vcc_lo
	s_delay_alu instid0(VALU_DEP_1)
	v_add_lshl_u32 v40, v16, v33, 2
	ds_bpermute_b32 v24, v40, v12
	ds_bpermute_b32 v16, v40, v14
	v_cmpx_le_u32_e64 v41, v11
	;; [unrolled: 24-line block ×3, first 2 shown]
	s_cbranch_execz .LBB2778_59
; %bb.58:
	s_wait_dscnt 0x1
	v_add_co_u32 v12, vcc_lo, v13, v24
	s_wait_alu 0xfffd
	v_add_co_ci_u32_e64 v14, null, 0, v14, vcc_lo
	s_delay_alu instid0(VALU_DEP_2) | instskip(SKIP_2) | instid1(VALU_DEP_2)
	v_add_co_u32 v13, vcc_lo, 0, v12
	s_wait_dscnt 0x0
	s_wait_alu 0xfffd
	v_add_co_ci_u32_e64 v14, null, v16, v14, vcc_lo
.LBB2778_59:
	s_or_b32 exec_lo, exec_lo, s6
	v_lshl_or_b32 v44, v33, 2, 64
	v_add_nc_u32_e32 v45, 16, v33
	s_mov_b32 s6, exec_lo
	s_wait_dscnt 0x0
	ds_bpermute_b32 v16, v44, v12
	ds_bpermute_b32 v12, v44, v14
	v_cmpx_le_u32_e64 v45, v11
	s_cbranch_execz .LBB2778_61
; %bb.60:
	s_wait_dscnt 0x1
	v_add_co_u32 v11, vcc_lo, v13, v16
	s_wait_alu 0xfffd
	v_add_co_ci_u32_e64 v14, null, 0, v14, vcc_lo
	s_delay_alu instid0(VALU_DEP_2) | instskip(SKIP_2) | instid1(VALU_DEP_2)
	v_add_co_u32 v13, vcc_lo, v11, 0
	s_wait_dscnt 0x0
	s_wait_alu 0xfffd
	v_add_co_ci_u32_e64 v14, null, v14, v12, vcc_lo
.LBB2778_61:
	s_or_b32 exec_lo, exec_lo, s6
	v_mov_b32_e32 v24, 0
	s_branch .LBB2778_64
.LBB2778_62:                            ;   in Loop: Header=BB2778_64 Depth=1
	s_or_b32 exec_lo, exec_lo, s6
	v_add_co_u32 v13, vcc_lo, v13, v11
	v_subrev_nc_u32_e32 v23, 32, v23
	s_wait_alu 0xfffd
	v_add_co_ci_u32_e64 v14, null, v14, v12, vcc_lo
	s_mov_b32 s6, 0
.LBB2778_63:                            ;   in Loop: Header=BB2778_64 Depth=1
	s_delay_alu instid0(SALU_CYCLE_1)
	s_and_b32 vcc_lo, exec_lo, s6
	s_wait_alu 0xfffe
	s_cbranch_vccnz .LBB2778_80
.LBB2778_64:                            ; =>This Loop Header: Depth=1
                                        ;     Child Loop BB2778_67 Depth 2
	v_and_b32_e32 v11, 0xff, v15
	s_mov_b32 s6, -1
	s_delay_alu instid0(VALU_DEP_1)
	v_cmp_ne_u16_e32 vcc_lo, 2, v11
	s_wait_dscnt 0x0
	v_dual_mov_b32 v11, v13 :: v_dual_mov_b32 v12, v14
                                        ; implicit-def: $vgpr13_vgpr14
	s_cmp_lg_u32 vcc_lo, exec_lo
	s_cbranch_scc1 .LBB2778_63
; %bb.65:                               ;   in Loop: Header=BB2778_64 Depth=1
	v_lshlrev_b64_e32 v[13:14], 4, v[23:24]
	s_mov_b32 s6, exec_lo
	s_delay_alu instid0(VALU_DEP_1) | instskip(SKIP_1) | instid1(VALU_DEP_2)
	v_add_co_u32 v25, vcc_lo, s12, v13
	s_wait_alu 0xfffd
	v_add_co_ci_u32_e64 v26, null, s13, v14, vcc_lo
	;;#ASMSTART
	global_load_b128 v[13:16], v[25:26] off scope:SCOPE_DEV	
s_wait_loadcnt 0x0
	;;#ASMEND
	v_and_b32_e32 v16, 0xff, v15
	s_delay_alu instid0(VALU_DEP_1)
	v_cmpx_eq_u16_e32 0, v16
	s_cbranch_execz .LBB2778_69
; %bb.66:                               ;   in Loop: Header=BB2778_64 Depth=1
	s_mov_b32 s7, 0
.LBB2778_67:                            ;   Parent Loop BB2778_64 Depth=1
                                        ; =>  This Inner Loop Header: Depth=2
	;;#ASMSTART
	global_load_b128 v[13:16], v[25:26] off scope:SCOPE_DEV	
s_wait_loadcnt 0x0
	;;#ASMEND
	v_and_b32_e32 v16, 0xff, v15
	s_delay_alu instid0(VALU_DEP_1) | instskip(SKIP_1) | instid1(SALU_CYCLE_1)
	v_cmp_ne_u16_e32 vcc_lo, 0, v16
	s_or_b32 s7, vcc_lo, s7
	s_and_not1_b32 exec_lo, exec_lo, s7
	s_cbranch_execnz .LBB2778_67
; %bb.68:                               ;   in Loop: Header=BB2778_64 Depth=1
	s_or_b32 exec_lo, exec_lo, s7
.LBB2778_69:                            ;   in Loop: Header=BB2778_64 Depth=1
	s_delay_alu instid0(SALU_CYCLE_1)
	s_or_b32 exec_lo, exec_lo, s6
	v_dual_mov_b32 v25, v13 :: v_dual_and_b32 v16, 0xff, v15
	ds_bpermute_b32 v46, v36, v13
	ds_bpermute_b32 v26, v36, v14
	s_mov_b32 s6, exec_lo
	v_cmp_eq_u16_e32 vcc_lo, 2, v16
	s_wait_alu 0xfffd
	v_and_or_b32 v16, vcc_lo, v37, 0x80000000
	s_delay_alu instid0(VALU_DEP_1) | instskip(NEXT) | instid1(VALU_DEP_1)
	v_ctz_i32_b32_e32 v16, v16
	v_cmpx_lt_u32_e64 v33, v16
	s_cbranch_execz .LBB2778_71
; %bb.70:                               ;   in Loop: Header=BB2778_64 Depth=1
	s_wait_dscnt 0x1
	v_add_co_u32 v25, vcc_lo, v13, v46
	s_wait_alu 0xfffd
	v_add_co_ci_u32_e64 v14, null, 0, v14, vcc_lo
	s_delay_alu instid0(VALU_DEP_2) | instskip(SKIP_2) | instid1(VALU_DEP_2)
	v_add_co_u32 v13, vcc_lo, 0, v25
	s_wait_dscnt 0x0
	s_wait_alu 0xfffd
	v_add_co_ci_u32_e64 v14, null, v26, v14, vcc_lo
.LBB2778_71:                            ;   in Loop: Header=BB2778_64 Depth=1
	s_or_b32 exec_lo, exec_lo, s6
	s_wait_dscnt 0x1
	ds_bpermute_b32 v46, v38, v25
	s_wait_dscnt 0x1
	ds_bpermute_b32 v26, v38, v14
	s_mov_b32 s6, exec_lo
	v_cmpx_le_u32_e64 v39, v16
	s_cbranch_execz .LBB2778_73
; %bb.72:                               ;   in Loop: Header=BB2778_64 Depth=1
	s_wait_dscnt 0x1
	v_add_co_u32 v25, vcc_lo, v13, v46
	s_wait_alu 0xfffd
	v_add_co_ci_u32_e64 v14, null, 0, v14, vcc_lo
	s_delay_alu instid0(VALU_DEP_2) | instskip(SKIP_2) | instid1(VALU_DEP_2)
	v_add_co_u32 v13, vcc_lo, 0, v25
	s_wait_dscnt 0x0
	s_wait_alu 0xfffd
	v_add_co_ci_u32_e64 v14, null, v26, v14, vcc_lo
.LBB2778_73:                            ;   in Loop: Header=BB2778_64 Depth=1
	s_or_b32 exec_lo, exec_lo, s6
	s_wait_dscnt 0x1
	ds_bpermute_b32 v46, v40, v25
	s_wait_dscnt 0x1
	ds_bpermute_b32 v26, v40, v14
	s_mov_b32 s6, exec_lo
	v_cmpx_le_u32_e64 v41, v16
	;; [unrolled: 19-line block ×3, first 2 shown]
	s_cbranch_execz .LBB2778_77
; %bb.76:                               ;   in Loop: Header=BB2778_64 Depth=1
	s_wait_dscnt 0x1
	v_add_co_u32 v25, vcc_lo, v13, v46
	s_wait_alu 0xfffd
	v_add_co_ci_u32_e64 v14, null, 0, v14, vcc_lo
	s_delay_alu instid0(VALU_DEP_2) | instskip(SKIP_2) | instid1(VALU_DEP_2)
	v_add_co_u32 v13, vcc_lo, 0, v25
	s_wait_dscnt 0x0
	s_wait_alu 0xfffd
	v_add_co_ci_u32_e64 v14, null, v26, v14, vcc_lo
.LBB2778_77:                            ;   in Loop: Header=BB2778_64 Depth=1
	s_or_b32 exec_lo, exec_lo, s6
	s_wait_dscnt 0x0
	ds_bpermute_b32 v26, v44, v25
	ds_bpermute_b32 v25, v44, v14
	s_mov_b32 s6, exec_lo
	v_cmpx_le_u32_e64 v45, v16
	s_cbranch_execz .LBB2778_62
; %bb.78:                               ;   in Loop: Header=BB2778_64 Depth=1
	s_wait_dscnt 0x1
	v_add_co_u32 v13, vcc_lo, v13, v26
	s_wait_alu 0xfffd
	v_add_co_ci_u32_e64 v14, null, 0, v14, vcc_lo
	s_delay_alu instid0(VALU_DEP_2) | instskip(SKIP_2) | instid1(VALU_DEP_2)
	v_add_co_u32 v13, vcc_lo, v13, 0
	s_wait_dscnt 0x0
	s_wait_alu 0xfffd
	v_add_co_ci_u32_e64 v14, null, v14, v25, vcc_lo
	s_branch .LBB2778_62
.LBB2778_79:
                                        ; implicit-def: $vgpr13_vgpr14
                                        ; implicit-def: $vgpr21_vgpr22
                                        ; implicit-def: $vgpr11_vgpr12
                                        ; implicit-def: $vgpr14_vgpr15
                                        ; implicit-def: $vgpr15_vgpr16
	s_and_b32 vcc_lo, exec_lo, s1
	s_cbranch_vccnz .LBB2778_85
	s_branch .LBB2778_110
.LBB2778_80:
	s_and_saveexec_b32 s6, s1
	s_cbranch_execz .LBB2778_82
; %bb.81:
	s_add_co_i32 s8, s18, 32
	s_mov_b32 s9, 0
	v_add_co_u32 v13, vcc_lo, v11, v9
	s_wait_alu 0xfffe
	s_lshl_b64 s[8:9], s[8:9], 4
	v_dual_mov_b32 v15, 2 :: v_dual_mov_b32 v16, 0
	s_wait_alu 0xfffe
	s_add_nc_u64 s[8:9], s[12:13], s[8:9]
	s_wait_alu 0xfffd
	v_add_co_ci_u32_e64 v14, null, v12, v10, vcc_lo
	s_wait_alu 0xfffe
	v_dual_mov_b32 v24, s9 :: v_dual_mov_b32 v23, s8
	;;#ASMSTART
	global_store_b128 v[23:24], v[13:16] off scope:SCOPE_DEV	
s_wait_storecnt 0x0
	;;#ASMEND
	ds_store_b128 v16, v[9:12] offset:8448
.LBB2778_82:
	s_or_b32 exec_lo, exec_lo, s6
	s_delay_alu instid0(SALU_CYCLE_1)
	s_and_b32 exec_lo, exec_lo, s2
; %bb.83:
	v_mov_b32_e32 v9, 0
	ds_store_b64 v9, v[11:12] offset:56
.LBB2778_84:
	s_wait_alu 0xfffe
	s_or_b32 exec_lo, exec_lo, s3
	v_mov_b32_e32 v9, 0
	s_wait_loadcnt_dscnt 0x0
	s_barrier_signal -1
	s_barrier_wait -1
	global_inv scope:SCOPE_SE
	ds_load_b64 v[13:14], v9 offset:56
	v_cndmask_b32_e64 v11, v35, v21, s1
	v_cndmask_b32_e64 v10, 0, v22, s1
	s_wait_loadcnt_dscnt 0x0
	s_barrier_signal -1
	s_barrier_wait -1
	v_cndmask_b32_e64 v16, v11, 0, s2
	v_cndmask_b32_e64 v15, v10, 0, s2
	global_inv scope:SCOPE_SE
	ds_load_b128 v[9:12], v9 offset:8448
	v_add_co_u32 v21, vcc_lo, v13, v16
	s_wait_alu 0xfffd
	v_add_co_ci_u32_e64 v13, null, v14, v15, vcc_lo
	s_delay_alu instid0(VALU_DEP_2) | instskip(SKIP_1) | instid1(VALU_DEP_2)
	v_add_co_u32 v15, vcc_lo, v21, v32
	s_wait_alu 0xfffd
	v_add_co_ci_u32_e64 v13, null, 0, v13, vcc_lo
	s_delay_alu instid0(VALU_DEP_2) | instskip(SKIP_1) | instid1(VALU_DEP_2)
	;; [unrolled: 4-line block ×3, first 2 shown]
	v_add_co_u32 v13, vcc_lo, v14, v30
	s_wait_alu 0xfffd
	v_add_co_ci_u32_e64 v16, null, 0, v16, vcc_lo
	s_branch .LBB2778_110
.LBB2778_85:
	s_wait_dscnt 0x0
	v_dual_mov_b32 v10, 0 :: v_dual_mov_b32 v11, v19
	v_mov_b32_dpp v12, v19 row_shr:1 row_mask:0xf bank_mask:0xf
	s_delay_alu instid0(VALU_DEP_2)
	v_mov_b32_dpp v9, v10 row_shr:1 row_mask:0xf bank_mask:0xf
	s_and_saveexec_b32 s1, s0
; %bb.86:
	s_delay_alu instid0(VALU_DEP_2) | instskip(NEXT) | instid1(VALU_DEP_1)
	v_add_co_u32 v11, vcc_lo, v19, v12
	v_add_co_ci_u32_e64 v10, null, 0, v20, vcc_lo
	s_delay_alu instid0(VALU_DEP_2) | instskip(SKIP_1) | instid1(VALU_DEP_2)
	v_add_co_u32 v19, vcc_lo, 0, v11
	s_wait_alu 0xfffd
	v_add_co_ci_u32_e64 v20, null, v9, v10, vcc_lo
	s_delay_alu instid0(VALU_DEP_1)
	v_mov_b32_e32 v10, v20
; %bb.87:
	s_wait_alu 0xfffe
	s_or_b32 exec_lo, exec_lo, s1
	v_mov_b32_dpp v9, v11 row_shr:2 row_mask:0xf bank_mask:0xf
	s_delay_alu instid0(VALU_DEP_2)
	v_mov_b32_dpp v12, v10 row_shr:2 row_mask:0xf bank_mask:0xf
	s_mov_b32 s0, exec_lo
	v_cmpx_lt_u32_e32 1, v34
; %bb.88:
	s_delay_alu instid0(VALU_DEP_3) | instskip(SKIP_2) | instid1(VALU_DEP_2)
	v_add_co_u32 v11, vcc_lo, v19, v9
	s_wait_alu 0xfffd
	v_add_co_ci_u32_e64 v10, null, 0, v20, vcc_lo
	v_add_co_u32 v9, vcc_lo, 0, v11
	s_wait_alu 0xfffd
	s_delay_alu instid0(VALU_DEP_2) | instskip(NEXT) | instid1(VALU_DEP_1)
	v_add_co_ci_u32_e64 v10, null, v12, v10, vcc_lo
	v_dual_mov_b32 v20, v10 :: v_dual_mov_b32 v19, v9
; %bb.89:
	s_wait_alu 0xfffe
	s_or_b32 exec_lo, exec_lo, s0
	v_mov_b32_dpp v9, v11 row_shr:4 row_mask:0xf bank_mask:0xf
	v_mov_b32_dpp v12, v10 row_shr:4 row_mask:0xf bank_mask:0xf
	s_mov_b32 s0, exec_lo
	v_cmpx_lt_u32_e32 3, v34
; %bb.90:
	s_delay_alu instid0(VALU_DEP_3) | instskip(SKIP_2) | instid1(VALU_DEP_2)
	v_add_co_u32 v11, vcc_lo, v19, v9
	s_wait_alu 0xfffd
	v_add_co_ci_u32_e64 v10, null, 0, v20, vcc_lo
	v_add_co_u32 v9, vcc_lo, 0, v11
	s_wait_alu 0xfffd
	s_delay_alu instid0(VALU_DEP_2) | instskip(NEXT) | instid1(VALU_DEP_1)
	v_add_co_ci_u32_e64 v10, null, v12, v10, vcc_lo
	v_dual_mov_b32 v20, v10 :: v_dual_mov_b32 v19, v9
; %bb.91:
	s_wait_alu 0xfffe
	s_or_b32 exec_lo, exec_lo, s0
	v_mov_b32_dpp v12, v11 row_shr:8 row_mask:0xf bank_mask:0xf
	v_mov_b32_dpp v9, v10 row_shr:8 row_mask:0xf bank_mask:0xf
	s_mov_b32 s0, exec_lo
	v_cmpx_lt_u32_e32 7, v34
; %bb.92:
	s_delay_alu instid0(VALU_DEP_3) | instskip(SKIP_2) | instid1(VALU_DEP_2)
	v_add_co_u32 v11, vcc_lo, v19, v12
	s_wait_alu 0xfffd
	v_add_co_ci_u32_e64 v10, null, 0, v20, vcc_lo
	v_add_co_u32 v19, vcc_lo, 0, v11
	s_wait_alu 0xfffd
	s_delay_alu instid0(VALU_DEP_2) | instskip(NEXT) | instid1(VALU_DEP_1)
	v_add_co_ci_u32_e64 v20, null, v9, v10, vcc_lo
	v_mov_b32_e32 v10, v20
; %bb.93:
	s_wait_alu 0xfffe
	s_or_b32 exec_lo, exec_lo, s0
	ds_swizzle_b32 v11, v11 offset:swizzle(BROADCAST,32,15)
	ds_swizzle_b32 v9, v10 offset:swizzle(BROADCAST,32,15)
	v_and_b32_e32 v10, 16, v33
	s_mov_b32 s0, exec_lo
	s_delay_alu instid0(VALU_DEP_1)
	v_cmpx_ne_u32_e32 0, v10
	s_cbranch_execz .LBB2778_95
; %bb.94:
	s_wait_dscnt 0x1
	v_add_co_u32 v10, vcc_lo, v19, v11
	s_wait_alu 0xfffd
	v_add_co_ci_u32_e64 v11, null, 0, v20, vcc_lo
	s_delay_alu instid0(VALU_DEP_2) | instskip(SKIP_2) | instid1(VALU_DEP_2)
	v_add_co_u32 v19, vcc_lo, v10, 0
	s_wait_dscnt 0x0
	s_wait_alu 0xfffd
	v_add_co_ci_u32_e64 v20, null, v11, v9, vcc_lo
.LBB2778_95:
	s_wait_alu 0xfffe
	s_or_b32 exec_lo, exec_lo, s0
	s_wait_dscnt 0x0
	v_or_b32_e32 v9, 31, v0
	s_mov_b32 s0, exec_lo
	s_delay_alu instid0(VALU_DEP_1)
	v_cmpx_eq_u32_e64 v0, v9
; %bb.96:
	v_lshlrev_b32_e32 v9, 3, v27
	ds_store_b64 v9, v[19:20]
; %bb.97:
	s_wait_alu 0xfffe
	s_or_b32 exec_lo, exec_lo, s0
	s_delay_alu instid0(SALU_CYCLE_1)
	s_mov_b32 s0, exec_lo
	s_wait_loadcnt_dscnt 0x0
	s_barrier_signal -1
	s_barrier_wait -1
	global_inv scope:SCOPE_SE
	v_cmpx_gt_u32_e32 8, v0
	s_cbranch_execz .LBB2778_105
; %bb.98:
	v_lshlrev_b32_e32 v11, 3, v0
	s_mov_b32 s1, exec_lo
	ds_load_b64 v[9:10], v11
	s_wait_dscnt 0x0
	v_dual_mov_b32 v13, v9 :: v_dual_and_b32 v12, 7, v33
	v_mov_b32_dpp v15, v9 row_shr:1 row_mask:0xf bank_mask:0xf
	v_mov_b32_dpp v14, v10 row_shr:1 row_mask:0xf bank_mask:0xf
	s_delay_alu instid0(VALU_DEP_3)
	v_cmpx_ne_u32_e32 0, v12
; %bb.99:
	s_delay_alu instid0(VALU_DEP_3) | instskip(SKIP_2) | instid1(VALU_DEP_2)
	v_add_co_u32 v13, vcc_lo, v9, v15
	s_wait_alu 0xfffd
	v_add_co_ci_u32_e64 v10, null, 0, v10, vcc_lo
	v_add_co_u32 v9, vcc_lo, 0, v13
	s_wait_alu 0xfffd
	s_delay_alu instid0(VALU_DEP_2)
	v_add_co_ci_u32_e64 v10, null, v14, v10, vcc_lo
; %bb.100:
	s_wait_alu 0xfffe
	s_or_b32 exec_lo, exec_lo, s1
	v_mov_b32_dpp v15, v13 row_shr:2 row_mask:0xf bank_mask:0xf
	s_delay_alu instid0(VALU_DEP_2)
	v_mov_b32_dpp v14, v10 row_shr:2 row_mask:0xf bank_mask:0xf
	s_mov_b32 s1, exec_lo
	v_cmpx_lt_u32_e32 1, v12
; %bb.101:
	s_delay_alu instid0(VALU_DEP_3) | instskip(SKIP_2) | instid1(VALU_DEP_2)
	v_add_co_u32 v13, vcc_lo, v9, v15
	s_wait_alu 0xfffd
	v_add_co_ci_u32_e64 v10, null, 0, v10, vcc_lo
	v_add_co_u32 v9, vcc_lo, 0, v13
	s_wait_alu 0xfffd
	s_delay_alu instid0(VALU_DEP_2)
	v_add_co_ci_u32_e64 v10, null, v14, v10, vcc_lo
; %bb.102:
	s_wait_alu 0xfffe
	s_or_b32 exec_lo, exec_lo, s1
	v_mov_b32_dpp v14, v13 row_shr:4 row_mask:0xf bank_mask:0xf
	s_delay_alu instid0(VALU_DEP_2)
	v_mov_b32_dpp v13, v10 row_shr:4 row_mask:0xf bank_mask:0xf
	s_mov_b32 s1, exec_lo
	v_cmpx_lt_u32_e32 3, v12
; %bb.103:
	s_delay_alu instid0(VALU_DEP_3) | instskip(SKIP_2) | instid1(VALU_DEP_2)
	v_add_co_u32 v9, vcc_lo, v9, v14
	s_wait_alu 0xfffd
	v_add_co_ci_u32_e64 v10, null, 0, v10, vcc_lo
	v_add_co_u32 v9, vcc_lo, v9, 0
	s_wait_alu 0xfffd
	s_delay_alu instid0(VALU_DEP_2)
	v_add_co_ci_u32_e64 v10, null, v10, v13, vcc_lo
; %bb.104:
	s_wait_alu 0xfffe
	s_or_b32 exec_lo, exec_lo, s1
	ds_store_b64 v11, v[9:10]
.LBB2778_105:
	s_wait_alu 0xfffe
	s_or_b32 exec_lo, exec_lo, s0
	v_mov_b32_e32 v13, 0
	v_mov_b32_e32 v14, 0
	s_mov_b32 s0, exec_lo
	s_wait_loadcnt_dscnt 0x0
	s_barrier_signal -1
	s_barrier_wait -1
	global_inv scope:SCOPE_SE
	v_cmpx_lt_u32_e32 31, v0
; %bb.106:
	v_lshl_add_u32 v0, v27, 3, -8
	ds_load_b64 v[13:14], v0
; %bb.107:
	s_wait_alu 0xfffe
	s_or_b32 exec_lo, exec_lo, s0
	v_sub_co_u32 v0, vcc_lo, v33, 1
	s_wait_dscnt 0x0
	v_dual_mov_b32 v12, 0 :: v_dual_add_nc_u32 v9, v13, v19
	s_delay_alu instid0(VALU_DEP_2) | instskip(SKIP_1) | instid1(VALU_DEP_1)
	v_cmp_gt_i32_e64 s0, 0, v0
	s_wait_alu 0xf1ff
	v_cndmask_b32_e64 v0, v0, v33, s0
	s_delay_alu instid0(VALU_DEP_1)
	v_lshlrev_b32_e32 v0, 2, v0
	ds_bpermute_b32 v0, v0, v9
	ds_load_b64 v[9:10], v12 offset:56
	s_and_saveexec_b32 s0, s2
	s_cbranch_execz .LBB2778_109
; %bb.108:
	s_add_nc_u64 s[6:7], s[12:13], 0x200
	s_delay_alu instid0(SALU_CYCLE_1)
	v_dual_mov_b32 v11, 2 :: v_dual_mov_b32 v16, s7
	v_mov_b32_e32 v15, s6
	s_wait_dscnt 0x0
	;;#ASMSTART
	global_store_b128 v[15:16], v[9:12] off scope:SCOPE_DEV	
s_wait_storecnt 0x0
	;;#ASMEND
.LBB2778_109:
	s_wait_alu 0xfffe
	s_or_b32 exec_lo, exec_lo, s0
	s_wait_dscnt 0x1
	s_wait_alu 0xfffd
	v_dual_cndmask_b32 v0, v0, v13 :: v_dual_cndmask_b32 v11, 0, v14
	s_wait_loadcnt_dscnt 0x0
	s_barrier_signal -1
	s_barrier_wait -1
	s_delay_alu instid0(VALU_DEP_1)
	v_cndmask_b32_e64 v21, v0, 0, s2
	v_cndmask_b32_e64 v0, v11, 0, s2
	v_mov_b32_e32 v11, 0
	v_mov_b32_e32 v12, 0
	global_inv scope:SCOPE_SE
	v_add_co_u32 v15, vcc_lo, v21, v32
	s_wait_alu 0xfffd
	v_add_co_ci_u32_e64 v0, null, 0, v0, vcc_lo
	s_delay_alu instid0(VALU_DEP_2) | instskip(SKIP_1) | instid1(VALU_DEP_2)
	v_add_co_u32 v14, vcc_lo, v15, v31
	s_wait_alu 0xfffd
	v_add_co_ci_u32_e64 v0, null, 0, v0, vcc_lo
	s_delay_alu instid0(VALU_DEP_2) | instskip(SKIP_1) | instid1(VALU_DEP_2)
	v_add_co_u32 v13, vcc_lo, v14, v30
	s_wait_alu 0xfffd
	v_add_co_ci_u32_e64 v0, null, 0, v0, vcc_lo
.LBB2778_110:
	s_wait_dscnt 0x0
	v_cmp_gt_u64_e32 vcc_lo, 0x101, v[9:10]
	v_lshrrev_b32_e32 v0, 16, v29
	v_lshrrev_b32_e32 v16, 8, v29
	s_cbranch_vccz .LBB2778_113
; %bb.111:
	s_and_b32 s0, s2, s16
	s_wait_alu 0xfffe
	s_and_saveexec_b32 s1, s0
	s_cbranch_execnz .LBB2778_122
.LBB2778_112:
	s_endpgm
.LBB2778_113:
	v_and_b32_e32 v19, 1, v29
	s_mov_b32 s0, exec_lo
	s_delay_alu instid0(VALU_DEP_1)
	v_cmpx_eq_u32_e32 1, v19
; %bb.114:
	v_sub_nc_u32_e32 v19, v21, v11
	s_delay_alu instid0(VALU_DEP_1)
	v_lshlrev_b32_e32 v19, 3, v19
	ds_store_b64 v19, v[5:6]
; %bb.115:
	s_wait_alu 0xfffe
	s_or_b32 exec_lo, exec_lo, s0
	v_and_b32_e32 v5, 1, v16
	s_mov_b32 s0, exec_lo
	s_delay_alu instid0(VALU_DEP_1)
	v_cmpx_eq_u32_e32 1, v5
; %bb.116:
	v_sub_nc_u32_e32 v5, v15, v11
	s_delay_alu instid0(VALU_DEP_1)
	v_lshlrev_b32_e32 v5, 3, v5
	ds_store_b64 v5, v[7:8]
; %bb.117:
	s_wait_alu 0xfffe
	s_or_b32 exec_lo, exec_lo, s0
	v_and_b32_e32 v0, 1, v0
	s_mov_b32 s0, exec_lo
	s_delay_alu instid0(VALU_DEP_1)
	v_cmpx_eq_u32_e32 1, v0
; %bb.118:
	v_sub_nc_u32_e32 v0, v14, v11
	s_delay_alu instid0(VALU_DEP_1)
	v_lshlrev_b32_e32 v0, 3, v0
	ds_store_b64 v0, v[1:2]
; %bb.119:
	s_wait_alu 0xfffe
	s_or_b32 exec_lo, exec_lo, s0
	v_and_b32_e32 v0, 1, v28
	s_mov_b32 s0, exec_lo
	s_delay_alu instid0(VALU_DEP_1)
	v_cmpx_eq_u32_e32 1, v0
; %bb.120:
	v_sub_nc_u32_e32 v0, v13, v11
	s_delay_alu instid0(VALU_DEP_1)
	v_lshlrev_b32_e32 v0, 3, v0
	ds_store_b64 v0, v[3:4]
; %bb.121:
	s_wait_alu 0xfffe
	s_or_b32 exec_lo, exec_lo, s0
	s_wait_loadcnt_dscnt 0x0
	s_barrier_signal -1
	s_barrier_wait -1
	global_inv scope:SCOPE_SE
	s_and_b32 s0, s2, s16
	s_wait_alu 0xfffe
	s_and_saveexec_b32 s1, s0
	s_cbranch_execz .LBB2778_112
.LBB2778_122:
	v_add_co_u32 v0, vcc_lo, v9, v17
	s_wait_alu 0xfffd
	v_add_co_ci_u32_e64 v1, null, v10, v18, vcc_lo
	v_mov_b32_e32 v2, 0
	s_delay_alu instid0(VALU_DEP_3) | instskip(SKIP_1) | instid1(VALU_DEP_3)
	v_add_co_u32 v0, vcc_lo, v0, v11
	s_wait_alu 0xfffd
	v_add_co_ci_u32_e64 v1, null, v1, v12, vcc_lo
	global_store_b64 v2, v[0:1], s[4:5]
	s_endpgm
.LBB2778_123:
	v_dual_mov_b32 v21, v1 :: v_dual_lshlrev_b32 v2, 3, v0
	v_dual_mov_b32 v22, v1 :: v_dual_mov_b32 v23, v1
	v_dual_mov_b32 v24, v1 :: v_dual_mov_b32 v25, v1
	s_delay_alu instid0(VALU_DEP_3)
	v_add_co_u32 v2, s0, s8, v2
	s_wait_alu 0xf1ff
	v_add_co_ci_u32_e64 v3, null, s9, 0, s0
	v_mov_b32_e32 v26, v1
	flat_load_b64 v[19:20], v[2:3]
	s_wait_loadcnt_dscnt 0x0
	v_dual_mov_b32 v1, v19 :: v_dual_mov_b32 v2, v20
	v_dual_mov_b32 v3, v21 :: v_dual_mov_b32 v4, v22
	v_dual_mov_b32 v5, v23 :: v_dual_mov_b32 v6, v24
	v_dual_mov_b32 v7, v25 :: v_dual_mov_b32 v8, v26
	s_wait_alu 0xfffe
	s_or_b32 exec_lo, exec_lo, s1
	s_delay_alu instid0(SALU_CYCLE_1)
	s_mov_b32 s0, exec_lo
	v_cmpx_gt_u32_e64 s3, v11
	s_cbranch_execz .LBB2778_9
.LBB2778_124:
	v_lshlrev_b32_e32 v3, 3, v0
	s_delay_alu instid0(VALU_DEP_1)
	v_add_co_u32 v3, s1, s8, v3
	s_wait_alu 0xf1ff
	v_add_co_ci_u32_e64 v4, null, s9, 0, s1
	flat_load_b64 v[3:4], v[3:4] offset:2048
	s_wait_alu 0xfffe
	s_or_b32 exec_lo, exec_lo, s0
	s_delay_alu instid0(SALU_CYCLE_1)
	s_mov_b32 s0, exec_lo
	v_cmpx_gt_u32_e64 s3, v10
	s_cbranch_execz .LBB2778_10
.LBB2778_125:
	v_lshlrev_b32_e32 v5, 3, v0
	s_delay_alu instid0(VALU_DEP_1)
	v_add_co_u32 v5, s1, s8, v5
	s_wait_alu 0xf1ff
	v_add_co_ci_u32_e64 v6, null, s9, 0, s1
	flat_load_b64 v[5:6], v[5:6] offset:4096
	s_wait_alu 0xfffe
	s_or_b32 exec_lo, exec_lo, s0
	s_delay_alu instid0(SALU_CYCLE_1)
	s_mov_b32 s0, exec_lo
	v_cmpx_gt_u32_e64 s3, v9
	s_cbranch_execnz .LBB2778_11
	s_branch .LBB2778_12
.LBB2778_126:
	global_load_u8 v14, v0, s[0:1]
	s_wait_loadcnt 0x0
	v_xor_b32_e32 v14, 1, v14
	s_delay_alu instid0(VALU_DEP_1) | instskip(NEXT) | instid1(VALU_DEP_1)
	v_and_b32_e32 v15, 1, v14
	v_and_b32_e32 v15, 0xffff, v15
	s_or_b32 exec_lo, exec_lo, s6
	s_delay_alu instid0(SALU_CYCLE_1)
	s_mov_b32 s6, exec_lo
	v_cmpx_gt_u32_e64 s3, v11
	s_cbranch_execz .LBB2778_18
.LBB2778_127:
	global_load_u8 v16, v0, s[0:1] offset:256
	s_wait_loadcnt 0x0
	v_xor_b32_e32 v16, 1, v16
	s_delay_alu instid0(VALU_DEP_1) | instskip(NEXT) | instid1(VALU_DEP_1)
	v_lshlrev_b16 v16, 8, v16
	v_or_b32_e32 v15, v15, v16
	s_delay_alu instid0(VALU_DEP_1) | instskip(SKIP_1) | instid1(SALU_CYCLE_1)
	v_and_b32_e32 v15, 0xffff, v15
	s_or_b32 exec_lo, exec_lo, s6
	s_mov_b32 s6, exec_lo
	v_cmpx_gt_u32_e64 s3, v10
	s_cbranch_execz .LBB2778_19
.LBB2778_128:
	global_load_u8 v16, v0, s[0:1] offset:512
	s_wait_loadcnt 0x0
	v_xor_b32_e32 v16, 1, v16
	s_delay_alu instid0(VALU_DEP_1) | instskip(NEXT) | instid1(VALU_DEP_1)
	v_lshlrev_b32_e32 v16, 16, v16
	v_or_b32_e32 v15, v15, v16
	s_or_b32 exec_lo, exec_lo, s6
	v_cmp_gt_u32_e32 vcc_lo, s3, v9
	s_and_saveexec_b32 s3, vcc_lo
	s_cbranch_execnz .LBB2778_20
	s_branch .LBB2778_21
	.section	.rodata,"a",@progbits
	.p2align	6, 0x0
	.amdhsa_kernel _ZN7rocprim17ROCPRIM_400000_NS6detail17trampoline_kernelINS0_14default_configENS1_25partition_config_selectorILNS1_17partition_subalgoE5ExNS0_10empty_typeEbEEZZNS1_14partition_implILS5_5ELb0ES3_mN6thrust23THRUST_200600_302600_NS6detail15normal_iteratorINSA_10device_ptrIxEEEEPS6_NSA_18transform_iteratorINSB_9not_fun_tI7is_trueIxEEENSC_INSD_IbEEEENSA_11use_defaultESO_EENS0_5tupleIJNSA_16discard_iteratorISO_EES6_EEENSQ_IJSG_SG_EEES6_PlJS6_EEE10hipError_tPvRmT3_T4_T5_T6_T7_T9_mT8_P12ihipStream_tbDpT10_ENKUlT_T0_E_clISt17integral_constantIbLb0EES1E_IbLb1EEEEDaS1A_S1B_EUlS1A_E_NS1_11comp_targetILNS1_3genE10ELNS1_11target_archE1200ELNS1_3gpuE4ELNS1_3repE0EEENS1_30default_config_static_selectorELNS0_4arch9wavefront6targetE0EEEvT1_
		.amdhsa_group_segment_fixed_size 8464
		.amdhsa_private_segment_fixed_size 0
		.amdhsa_kernarg_size 144
		.amdhsa_user_sgpr_count 2
		.amdhsa_user_sgpr_dispatch_ptr 0
		.amdhsa_user_sgpr_queue_ptr 0
		.amdhsa_user_sgpr_kernarg_segment_ptr 1
		.amdhsa_user_sgpr_dispatch_id 0
		.amdhsa_user_sgpr_private_segment_size 0
		.amdhsa_wavefront_size32 1
		.amdhsa_uses_dynamic_stack 0
		.amdhsa_enable_private_segment 0
		.amdhsa_system_sgpr_workgroup_id_x 1
		.amdhsa_system_sgpr_workgroup_id_y 0
		.amdhsa_system_sgpr_workgroup_id_z 0
		.amdhsa_system_sgpr_workgroup_info 0
		.amdhsa_system_vgpr_workitem_id 0
		.amdhsa_next_free_vgpr 47
		.amdhsa_next_free_sgpr 22
		.amdhsa_reserve_vcc 1
		.amdhsa_float_round_mode_32 0
		.amdhsa_float_round_mode_16_64 0
		.amdhsa_float_denorm_mode_32 3
		.amdhsa_float_denorm_mode_16_64 3
		.amdhsa_fp16_overflow 0
		.amdhsa_workgroup_processor_mode 1
		.amdhsa_memory_ordered 1
		.amdhsa_forward_progress 1
		.amdhsa_inst_pref_size 50
		.amdhsa_round_robin_scheduling 0
		.amdhsa_exception_fp_ieee_invalid_op 0
		.amdhsa_exception_fp_denorm_src 0
		.amdhsa_exception_fp_ieee_div_zero 0
		.amdhsa_exception_fp_ieee_overflow 0
		.amdhsa_exception_fp_ieee_underflow 0
		.amdhsa_exception_fp_ieee_inexact 0
		.amdhsa_exception_int_div_zero 0
	.end_amdhsa_kernel
	.section	.text._ZN7rocprim17ROCPRIM_400000_NS6detail17trampoline_kernelINS0_14default_configENS1_25partition_config_selectorILNS1_17partition_subalgoE5ExNS0_10empty_typeEbEEZZNS1_14partition_implILS5_5ELb0ES3_mN6thrust23THRUST_200600_302600_NS6detail15normal_iteratorINSA_10device_ptrIxEEEEPS6_NSA_18transform_iteratorINSB_9not_fun_tI7is_trueIxEEENSC_INSD_IbEEEENSA_11use_defaultESO_EENS0_5tupleIJNSA_16discard_iteratorISO_EES6_EEENSQ_IJSG_SG_EEES6_PlJS6_EEE10hipError_tPvRmT3_T4_T5_T6_T7_T9_mT8_P12ihipStream_tbDpT10_ENKUlT_T0_E_clISt17integral_constantIbLb0EES1E_IbLb1EEEEDaS1A_S1B_EUlS1A_E_NS1_11comp_targetILNS1_3genE10ELNS1_11target_archE1200ELNS1_3gpuE4ELNS1_3repE0EEENS1_30default_config_static_selectorELNS0_4arch9wavefront6targetE0EEEvT1_,"axG",@progbits,_ZN7rocprim17ROCPRIM_400000_NS6detail17trampoline_kernelINS0_14default_configENS1_25partition_config_selectorILNS1_17partition_subalgoE5ExNS0_10empty_typeEbEEZZNS1_14partition_implILS5_5ELb0ES3_mN6thrust23THRUST_200600_302600_NS6detail15normal_iteratorINSA_10device_ptrIxEEEEPS6_NSA_18transform_iteratorINSB_9not_fun_tI7is_trueIxEEENSC_INSD_IbEEEENSA_11use_defaultESO_EENS0_5tupleIJNSA_16discard_iteratorISO_EES6_EEENSQ_IJSG_SG_EEES6_PlJS6_EEE10hipError_tPvRmT3_T4_T5_T6_T7_T9_mT8_P12ihipStream_tbDpT10_ENKUlT_T0_E_clISt17integral_constantIbLb0EES1E_IbLb1EEEEDaS1A_S1B_EUlS1A_E_NS1_11comp_targetILNS1_3genE10ELNS1_11target_archE1200ELNS1_3gpuE4ELNS1_3repE0EEENS1_30default_config_static_selectorELNS0_4arch9wavefront6targetE0EEEvT1_,comdat
.Lfunc_end2778:
	.size	_ZN7rocprim17ROCPRIM_400000_NS6detail17trampoline_kernelINS0_14default_configENS1_25partition_config_selectorILNS1_17partition_subalgoE5ExNS0_10empty_typeEbEEZZNS1_14partition_implILS5_5ELb0ES3_mN6thrust23THRUST_200600_302600_NS6detail15normal_iteratorINSA_10device_ptrIxEEEEPS6_NSA_18transform_iteratorINSB_9not_fun_tI7is_trueIxEEENSC_INSD_IbEEEENSA_11use_defaultESO_EENS0_5tupleIJNSA_16discard_iteratorISO_EES6_EEENSQ_IJSG_SG_EEES6_PlJS6_EEE10hipError_tPvRmT3_T4_T5_T6_T7_T9_mT8_P12ihipStream_tbDpT10_ENKUlT_T0_E_clISt17integral_constantIbLb0EES1E_IbLb1EEEEDaS1A_S1B_EUlS1A_E_NS1_11comp_targetILNS1_3genE10ELNS1_11target_archE1200ELNS1_3gpuE4ELNS1_3repE0EEENS1_30default_config_static_selectorELNS0_4arch9wavefront6targetE0EEEvT1_, .Lfunc_end2778-_ZN7rocprim17ROCPRIM_400000_NS6detail17trampoline_kernelINS0_14default_configENS1_25partition_config_selectorILNS1_17partition_subalgoE5ExNS0_10empty_typeEbEEZZNS1_14partition_implILS5_5ELb0ES3_mN6thrust23THRUST_200600_302600_NS6detail15normal_iteratorINSA_10device_ptrIxEEEEPS6_NSA_18transform_iteratorINSB_9not_fun_tI7is_trueIxEEENSC_INSD_IbEEEENSA_11use_defaultESO_EENS0_5tupleIJNSA_16discard_iteratorISO_EES6_EEENSQ_IJSG_SG_EEES6_PlJS6_EEE10hipError_tPvRmT3_T4_T5_T6_T7_T9_mT8_P12ihipStream_tbDpT10_ENKUlT_T0_E_clISt17integral_constantIbLb0EES1E_IbLb1EEEEDaS1A_S1B_EUlS1A_E_NS1_11comp_targetILNS1_3genE10ELNS1_11target_archE1200ELNS1_3gpuE4ELNS1_3repE0EEENS1_30default_config_static_selectorELNS0_4arch9wavefront6targetE0EEEvT1_
                                        ; -- End function
	.set _ZN7rocprim17ROCPRIM_400000_NS6detail17trampoline_kernelINS0_14default_configENS1_25partition_config_selectorILNS1_17partition_subalgoE5ExNS0_10empty_typeEbEEZZNS1_14partition_implILS5_5ELb0ES3_mN6thrust23THRUST_200600_302600_NS6detail15normal_iteratorINSA_10device_ptrIxEEEEPS6_NSA_18transform_iteratorINSB_9not_fun_tI7is_trueIxEEENSC_INSD_IbEEEENSA_11use_defaultESO_EENS0_5tupleIJNSA_16discard_iteratorISO_EES6_EEENSQ_IJSG_SG_EEES6_PlJS6_EEE10hipError_tPvRmT3_T4_T5_T6_T7_T9_mT8_P12ihipStream_tbDpT10_ENKUlT_T0_E_clISt17integral_constantIbLb0EES1E_IbLb1EEEEDaS1A_S1B_EUlS1A_E_NS1_11comp_targetILNS1_3genE10ELNS1_11target_archE1200ELNS1_3gpuE4ELNS1_3repE0EEENS1_30default_config_static_selectorELNS0_4arch9wavefront6targetE0EEEvT1_.num_vgpr, 47
	.set _ZN7rocprim17ROCPRIM_400000_NS6detail17trampoline_kernelINS0_14default_configENS1_25partition_config_selectorILNS1_17partition_subalgoE5ExNS0_10empty_typeEbEEZZNS1_14partition_implILS5_5ELb0ES3_mN6thrust23THRUST_200600_302600_NS6detail15normal_iteratorINSA_10device_ptrIxEEEEPS6_NSA_18transform_iteratorINSB_9not_fun_tI7is_trueIxEEENSC_INSD_IbEEEENSA_11use_defaultESO_EENS0_5tupleIJNSA_16discard_iteratorISO_EES6_EEENSQ_IJSG_SG_EEES6_PlJS6_EEE10hipError_tPvRmT3_T4_T5_T6_T7_T9_mT8_P12ihipStream_tbDpT10_ENKUlT_T0_E_clISt17integral_constantIbLb0EES1E_IbLb1EEEEDaS1A_S1B_EUlS1A_E_NS1_11comp_targetILNS1_3genE10ELNS1_11target_archE1200ELNS1_3gpuE4ELNS1_3repE0EEENS1_30default_config_static_selectorELNS0_4arch9wavefront6targetE0EEEvT1_.num_agpr, 0
	.set _ZN7rocprim17ROCPRIM_400000_NS6detail17trampoline_kernelINS0_14default_configENS1_25partition_config_selectorILNS1_17partition_subalgoE5ExNS0_10empty_typeEbEEZZNS1_14partition_implILS5_5ELb0ES3_mN6thrust23THRUST_200600_302600_NS6detail15normal_iteratorINSA_10device_ptrIxEEEEPS6_NSA_18transform_iteratorINSB_9not_fun_tI7is_trueIxEEENSC_INSD_IbEEEENSA_11use_defaultESO_EENS0_5tupleIJNSA_16discard_iteratorISO_EES6_EEENSQ_IJSG_SG_EEES6_PlJS6_EEE10hipError_tPvRmT3_T4_T5_T6_T7_T9_mT8_P12ihipStream_tbDpT10_ENKUlT_T0_E_clISt17integral_constantIbLb0EES1E_IbLb1EEEEDaS1A_S1B_EUlS1A_E_NS1_11comp_targetILNS1_3genE10ELNS1_11target_archE1200ELNS1_3gpuE4ELNS1_3repE0EEENS1_30default_config_static_selectorELNS0_4arch9wavefront6targetE0EEEvT1_.numbered_sgpr, 22
	.set _ZN7rocprim17ROCPRIM_400000_NS6detail17trampoline_kernelINS0_14default_configENS1_25partition_config_selectorILNS1_17partition_subalgoE5ExNS0_10empty_typeEbEEZZNS1_14partition_implILS5_5ELb0ES3_mN6thrust23THRUST_200600_302600_NS6detail15normal_iteratorINSA_10device_ptrIxEEEEPS6_NSA_18transform_iteratorINSB_9not_fun_tI7is_trueIxEEENSC_INSD_IbEEEENSA_11use_defaultESO_EENS0_5tupleIJNSA_16discard_iteratorISO_EES6_EEENSQ_IJSG_SG_EEES6_PlJS6_EEE10hipError_tPvRmT3_T4_T5_T6_T7_T9_mT8_P12ihipStream_tbDpT10_ENKUlT_T0_E_clISt17integral_constantIbLb0EES1E_IbLb1EEEEDaS1A_S1B_EUlS1A_E_NS1_11comp_targetILNS1_3genE10ELNS1_11target_archE1200ELNS1_3gpuE4ELNS1_3repE0EEENS1_30default_config_static_selectorELNS0_4arch9wavefront6targetE0EEEvT1_.num_named_barrier, 0
	.set _ZN7rocprim17ROCPRIM_400000_NS6detail17trampoline_kernelINS0_14default_configENS1_25partition_config_selectorILNS1_17partition_subalgoE5ExNS0_10empty_typeEbEEZZNS1_14partition_implILS5_5ELb0ES3_mN6thrust23THRUST_200600_302600_NS6detail15normal_iteratorINSA_10device_ptrIxEEEEPS6_NSA_18transform_iteratorINSB_9not_fun_tI7is_trueIxEEENSC_INSD_IbEEEENSA_11use_defaultESO_EENS0_5tupleIJNSA_16discard_iteratorISO_EES6_EEENSQ_IJSG_SG_EEES6_PlJS6_EEE10hipError_tPvRmT3_T4_T5_T6_T7_T9_mT8_P12ihipStream_tbDpT10_ENKUlT_T0_E_clISt17integral_constantIbLb0EES1E_IbLb1EEEEDaS1A_S1B_EUlS1A_E_NS1_11comp_targetILNS1_3genE10ELNS1_11target_archE1200ELNS1_3gpuE4ELNS1_3repE0EEENS1_30default_config_static_selectorELNS0_4arch9wavefront6targetE0EEEvT1_.private_seg_size, 0
	.set _ZN7rocprim17ROCPRIM_400000_NS6detail17trampoline_kernelINS0_14default_configENS1_25partition_config_selectorILNS1_17partition_subalgoE5ExNS0_10empty_typeEbEEZZNS1_14partition_implILS5_5ELb0ES3_mN6thrust23THRUST_200600_302600_NS6detail15normal_iteratorINSA_10device_ptrIxEEEEPS6_NSA_18transform_iteratorINSB_9not_fun_tI7is_trueIxEEENSC_INSD_IbEEEENSA_11use_defaultESO_EENS0_5tupleIJNSA_16discard_iteratorISO_EES6_EEENSQ_IJSG_SG_EEES6_PlJS6_EEE10hipError_tPvRmT3_T4_T5_T6_T7_T9_mT8_P12ihipStream_tbDpT10_ENKUlT_T0_E_clISt17integral_constantIbLb0EES1E_IbLb1EEEEDaS1A_S1B_EUlS1A_E_NS1_11comp_targetILNS1_3genE10ELNS1_11target_archE1200ELNS1_3gpuE4ELNS1_3repE0EEENS1_30default_config_static_selectorELNS0_4arch9wavefront6targetE0EEEvT1_.uses_vcc, 1
	.set _ZN7rocprim17ROCPRIM_400000_NS6detail17trampoline_kernelINS0_14default_configENS1_25partition_config_selectorILNS1_17partition_subalgoE5ExNS0_10empty_typeEbEEZZNS1_14partition_implILS5_5ELb0ES3_mN6thrust23THRUST_200600_302600_NS6detail15normal_iteratorINSA_10device_ptrIxEEEEPS6_NSA_18transform_iteratorINSB_9not_fun_tI7is_trueIxEEENSC_INSD_IbEEEENSA_11use_defaultESO_EENS0_5tupleIJNSA_16discard_iteratorISO_EES6_EEENSQ_IJSG_SG_EEES6_PlJS6_EEE10hipError_tPvRmT3_T4_T5_T6_T7_T9_mT8_P12ihipStream_tbDpT10_ENKUlT_T0_E_clISt17integral_constantIbLb0EES1E_IbLb1EEEEDaS1A_S1B_EUlS1A_E_NS1_11comp_targetILNS1_3genE10ELNS1_11target_archE1200ELNS1_3gpuE4ELNS1_3repE0EEENS1_30default_config_static_selectorELNS0_4arch9wavefront6targetE0EEEvT1_.uses_flat_scratch, 1
	.set _ZN7rocprim17ROCPRIM_400000_NS6detail17trampoline_kernelINS0_14default_configENS1_25partition_config_selectorILNS1_17partition_subalgoE5ExNS0_10empty_typeEbEEZZNS1_14partition_implILS5_5ELb0ES3_mN6thrust23THRUST_200600_302600_NS6detail15normal_iteratorINSA_10device_ptrIxEEEEPS6_NSA_18transform_iteratorINSB_9not_fun_tI7is_trueIxEEENSC_INSD_IbEEEENSA_11use_defaultESO_EENS0_5tupleIJNSA_16discard_iteratorISO_EES6_EEENSQ_IJSG_SG_EEES6_PlJS6_EEE10hipError_tPvRmT3_T4_T5_T6_T7_T9_mT8_P12ihipStream_tbDpT10_ENKUlT_T0_E_clISt17integral_constantIbLb0EES1E_IbLb1EEEEDaS1A_S1B_EUlS1A_E_NS1_11comp_targetILNS1_3genE10ELNS1_11target_archE1200ELNS1_3gpuE4ELNS1_3repE0EEENS1_30default_config_static_selectorELNS0_4arch9wavefront6targetE0EEEvT1_.has_dyn_sized_stack, 0
	.set _ZN7rocprim17ROCPRIM_400000_NS6detail17trampoline_kernelINS0_14default_configENS1_25partition_config_selectorILNS1_17partition_subalgoE5ExNS0_10empty_typeEbEEZZNS1_14partition_implILS5_5ELb0ES3_mN6thrust23THRUST_200600_302600_NS6detail15normal_iteratorINSA_10device_ptrIxEEEEPS6_NSA_18transform_iteratorINSB_9not_fun_tI7is_trueIxEEENSC_INSD_IbEEEENSA_11use_defaultESO_EENS0_5tupleIJNSA_16discard_iteratorISO_EES6_EEENSQ_IJSG_SG_EEES6_PlJS6_EEE10hipError_tPvRmT3_T4_T5_T6_T7_T9_mT8_P12ihipStream_tbDpT10_ENKUlT_T0_E_clISt17integral_constantIbLb0EES1E_IbLb1EEEEDaS1A_S1B_EUlS1A_E_NS1_11comp_targetILNS1_3genE10ELNS1_11target_archE1200ELNS1_3gpuE4ELNS1_3repE0EEENS1_30default_config_static_selectorELNS0_4arch9wavefront6targetE0EEEvT1_.has_recursion, 0
	.set _ZN7rocprim17ROCPRIM_400000_NS6detail17trampoline_kernelINS0_14default_configENS1_25partition_config_selectorILNS1_17partition_subalgoE5ExNS0_10empty_typeEbEEZZNS1_14partition_implILS5_5ELb0ES3_mN6thrust23THRUST_200600_302600_NS6detail15normal_iteratorINSA_10device_ptrIxEEEEPS6_NSA_18transform_iteratorINSB_9not_fun_tI7is_trueIxEEENSC_INSD_IbEEEENSA_11use_defaultESO_EENS0_5tupleIJNSA_16discard_iteratorISO_EES6_EEENSQ_IJSG_SG_EEES6_PlJS6_EEE10hipError_tPvRmT3_T4_T5_T6_T7_T9_mT8_P12ihipStream_tbDpT10_ENKUlT_T0_E_clISt17integral_constantIbLb0EES1E_IbLb1EEEEDaS1A_S1B_EUlS1A_E_NS1_11comp_targetILNS1_3genE10ELNS1_11target_archE1200ELNS1_3gpuE4ELNS1_3repE0EEENS1_30default_config_static_selectorELNS0_4arch9wavefront6targetE0EEEvT1_.has_indirect_call, 0
	.section	.AMDGPU.csdata,"",@progbits
; Kernel info:
; codeLenInByte = 6324
; TotalNumSgprs: 24
; NumVgprs: 47
; ScratchSize: 0
; MemoryBound: 0
; FloatMode: 240
; IeeeMode: 1
; LDSByteSize: 8464 bytes/workgroup (compile time only)
; SGPRBlocks: 0
; VGPRBlocks: 5
; NumSGPRsForWavesPerEU: 24
; NumVGPRsForWavesPerEU: 47
; Occupancy: 16
; WaveLimiterHint : 1
; COMPUTE_PGM_RSRC2:SCRATCH_EN: 0
; COMPUTE_PGM_RSRC2:USER_SGPR: 2
; COMPUTE_PGM_RSRC2:TRAP_HANDLER: 0
; COMPUTE_PGM_RSRC2:TGID_X_EN: 1
; COMPUTE_PGM_RSRC2:TGID_Y_EN: 0
; COMPUTE_PGM_RSRC2:TGID_Z_EN: 0
; COMPUTE_PGM_RSRC2:TIDIG_COMP_CNT: 0
	.section	.text._ZN7rocprim17ROCPRIM_400000_NS6detail17trampoline_kernelINS0_14default_configENS1_25partition_config_selectorILNS1_17partition_subalgoE5ExNS0_10empty_typeEbEEZZNS1_14partition_implILS5_5ELb0ES3_mN6thrust23THRUST_200600_302600_NS6detail15normal_iteratorINSA_10device_ptrIxEEEEPS6_NSA_18transform_iteratorINSB_9not_fun_tI7is_trueIxEEENSC_INSD_IbEEEENSA_11use_defaultESO_EENS0_5tupleIJNSA_16discard_iteratorISO_EES6_EEENSQ_IJSG_SG_EEES6_PlJS6_EEE10hipError_tPvRmT3_T4_T5_T6_T7_T9_mT8_P12ihipStream_tbDpT10_ENKUlT_T0_E_clISt17integral_constantIbLb0EES1E_IbLb1EEEEDaS1A_S1B_EUlS1A_E_NS1_11comp_targetILNS1_3genE9ELNS1_11target_archE1100ELNS1_3gpuE3ELNS1_3repE0EEENS1_30default_config_static_selectorELNS0_4arch9wavefront6targetE0EEEvT1_,"axG",@progbits,_ZN7rocprim17ROCPRIM_400000_NS6detail17trampoline_kernelINS0_14default_configENS1_25partition_config_selectorILNS1_17partition_subalgoE5ExNS0_10empty_typeEbEEZZNS1_14partition_implILS5_5ELb0ES3_mN6thrust23THRUST_200600_302600_NS6detail15normal_iteratorINSA_10device_ptrIxEEEEPS6_NSA_18transform_iteratorINSB_9not_fun_tI7is_trueIxEEENSC_INSD_IbEEEENSA_11use_defaultESO_EENS0_5tupleIJNSA_16discard_iteratorISO_EES6_EEENSQ_IJSG_SG_EEES6_PlJS6_EEE10hipError_tPvRmT3_T4_T5_T6_T7_T9_mT8_P12ihipStream_tbDpT10_ENKUlT_T0_E_clISt17integral_constantIbLb0EES1E_IbLb1EEEEDaS1A_S1B_EUlS1A_E_NS1_11comp_targetILNS1_3genE9ELNS1_11target_archE1100ELNS1_3gpuE3ELNS1_3repE0EEENS1_30default_config_static_selectorELNS0_4arch9wavefront6targetE0EEEvT1_,comdat
	.protected	_ZN7rocprim17ROCPRIM_400000_NS6detail17trampoline_kernelINS0_14default_configENS1_25partition_config_selectorILNS1_17partition_subalgoE5ExNS0_10empty_typeEbEEZZNS1_14partition_implILS5_5ELb0ES3_mN6thrust23THRUST_200600_302600_NS6detail15normal_iteratorINSA_10device_ptrIxEEEEPS6_NSA_18transform_iteratorINSB_9not_fun_tI7is_trueIxEEENSC_INSD_IbEEEENSA_11use_defaultESO_EENS0_5tupleIJNSA_16discard_iteratorISO_EES6_EEENSQ_IJSG_SG_EEES6_PlJS6_EEE10hipError_tPvRmT3_T4_T5_T6_T7_T9_mT8_P12ihipStream_tbDpT10_ENKUlT_T0_E_clISt17integral_constantIbLb0EES1E_IbLb1EEEEDaS1A_S1B_EUlS1A_E_NS1_11comp_targetILNS1_3genE9ELNS1_11target_archE1100ELNS1_3gpuE3ELNS1_3repE0EEENS1_30default_config_static_selectorELNS0_4arch9wavefront6targetE0EEEvT1_ ; -- Begin function _ZN7rocprim17ROCPRIM_400000_NS6detail17trampoline_kernelINS0_14default_configENS1_25partition_config_selectorILNS1_17partition_subalgoE5ExNS0_10empty_typeEbEEZZNS1_14partition_implILS5_5ELb0ES3_mN6thrust23THRUST_200600_302600_NS6detail15normal_iteratorINSA_10device_ptrIxEEEEPS6_NSA_18transform_iteratorINSB_9not_fun_tI7is_trueIxEEENSC_INSD_IbEEEENSA_11use_defaultESO_EENS0_5tupleIJNSA_16discard_iteratorISO_EES6_EEENSQ_IJSG_SG_EEES6_PlJS6_EEE10hipError_tPvRmT3_T4_T5_T6_T7_T9_mT8_P12ihipStream_tbDpT10_ENKUlT_T0_E_clISt17integral_constantIbLb0EES1E_IbLb1EEEEDaS1A_S1B_EUlS1A_E_NS1_11comp_targetILNS1_3genE9ELNS1_11target_archE1100ELNS1_3gpuE3ELNS1_3repE0EEENS1_30default_config_static_selectorELNS0_4arch9wavefront6targetE0EEEvT1_
	.globl	_ZN7rocprim17ROCPRIM_400000_NS6detail17trampoline_kernelINS0_14default_configENS1_25partition_config_selectorILNS1_17partition_subalgoE5ExNS0_10empty_typeEbEEZZNS1_14partition_implILS5_5ELb0ES3_mN6thrust23THRUST_200600_302600_NS6detail15normal_iteratorINSA_10device_ptrIxEEEEPS6_NSA_18transform_iteratorINSB_9not_fun_tI7is_trueIxEEENSC_INSD_IbEEEENSA_11use_defaultESO_EENS0_5tupleIJNSA_16discard_iteratorISO_EES6_EEENSQ_IJSG_SG_EEES6_PlJS6_EEE10hipError_tPvRmT3_T4_T5_T6_T7_T9_mT8_P12ihipStream_tbDpT10_ENKUlT_T0_E_clISt17integral_constantIbLb0EES1E_IbLb1EEEEDaS1A_S1B_EUlS1A_E_NS1_11comp_targetILNS1_3genE9ELNS1_11target_archE1100ELNS1_3gpuE3ELNS1_3repE0EEENS1_30default_config_static_selectorELNS0_4arch9wavefront6targetE0EEEvT1_
	.p2align	8
	.type	_ZN7rocprim17ROCPRIM_400000_NS6detail17trampoline_kernelINS0_14default_configENS1_25partition_config_selectorILNS1_17partition_subalgoE5ExNS0_10empty_typeEbEEZZNS1_14partition_implILS5_5ELb0ES3_mN6thrust23THRUST_200600_302600_NS6detail15normal_iteratorINSA_10device_ptrIxEEEEPS6_NSA_18transform_iteratorINSB_9not_fun_tI7is_trueIxEEENSC_INSD_IbEEEENSA_11use_defaultESO_EENS0_5tupleIJNSA_16discard_iteratorISO_EES6_EEENSQ_IJSG_SG_EEES6_PlJS6_EEE10hipError_tPvRmT3_T4_T5_T6_T7_T9_mT8_P12ihipStream_tbDpT10_ENKUlT_T0_E_clISt17integral_constantIbLb0EES1E_IbLb1EEEEDaS1A_S1B_EUlS1A_E_NS1_11comp_targetILNS1_3genE9ELNS1_11target_archE1100ELNS1_3gpuE3ELNS1_3repE0EEENS1_30default_config_static_selectorELNS0_4arch9wavefront6targetE0EEEvT1_,@function
_ZN7rocprim17ROCPRIM_400000_NS6detail17trampoline_kernelINS0_14default_configENS1_25partition_config_selectorILNS1_17partition_subalgoE5ExNS0_10empty_typeEbEEZZNS1_14partition_implILS5_5ELb0ES3_mN6thrust23THRUST_200600_302600_NS6detail15normal_iteratorINSA_10device_ptrIxEEEEPS6_NSA_18transform_iteratorINSB_9not_fun_tI7is_trueIxEEENSC_INSD_IbEEEENSA_11use_defaultESO_EENS0_5tupleIJNSA_16discard_iteratorISO_EES6_EEENSQ_IJSG_SG_EEES6_PlJS6_EEE10hipError_tPvRmT3_T4_T5_T6_T7_T9_mT8_P12ihipStream_tbDpT10_ENKUlT_T0_E_clISt17integral_constantIbLb0EES1E_IbLb1EEEEDaS1A_S1B_EUlS1A_E_NS1_11comp_targetILNS1_3genE9ELNS1_11target_archE1100ELNS1_3gpuE3ELNS1_3repE0EEENS1_30default_config_static_selectorELNS0_4arch9wavefront6targetE0EEEvT1_: ; @_ZN7rocprim17ROCPRIM_400000_NS6detail17trampoline_kernelINS0_14default_configENS1_25partition_config_selectorILNS1_17partition_subalgoE5ExNS0_10empty_typeEbEEZZNS1_14partition_implILS5_5ELb0ES3_mN6thrust23THRUST_200600_302600_NS6detail15normal_iteratorINSA_10device_ptrIxEEEEPS6_NSA_18transform_iteratorINSB_9not_fun_tI7is_trueIxEEENSC_INSD_IbEEEENSA_11use_defaultESO_EENS0_5tupleIJNSA_16discard_iteratorISO_EES6_EEENSQ_IJSG_SG_EEES6_PlJS6_EEE10hipError_tPvRmT3_T4_T5_T6_T7_T9_mT8_P12ihipStream_tbDpT10_ENKUlT_T0_E_clISt17integral_constantIbLb0EES1E_IbLb1EEEEDaS1A_S1B_EUlS1A_E_NS1_11comp_targetILNS1_3genE9ELNS1_11target_archE1100ELNS1_3gpuE3ELNS1_3repE0EEENS1_30default_config_static_selectorELNS0_4arch9wavefront6targetE0EEEvT1_
; %bb.0:
	.section	.rodata,"a",@progbits
	.p2align	6, 0x0
	.amdhsa_kernel _ZN7rocprim17ROCPRIM_400000_NS6detail17trampoline_kernelINS0_14default_configENS1_25partition_config_selectorILNS1_17partition_subalgoE5ExNS0_10empty_typeEbEEZZNS1_14partition_implILS5_5ELb0ES3_mN6thrust23THRUST_200600_302600_NS6detail15normal_iteratorINSA_10device_ptrIxEEEEPS6_NSA_18transform_iteratorINSB_9not_fun_tI7is_trueIxEEENSC_INSD_IbEEEENSA_11use_defaultESO_EENS0_5tupleIJNSA_16discard_iteratorISO_EES6_EEENSQ_IJSG_SG_EEES6_PlJS6_EEE10hipError_tPvRmT3_T4_T5_T6_T7_T9_mT8_P12ihipStream_tbDpT10_ENKUlT_T0_E_clISt17integral_constantIbLb0EES1E_IbLb1EEEEDaS1A_S1B_EUlS1A_E_NS1_11comp_targetILNS1_3genE9ELNS1_11target_archE1100ELNS1_3gpuE3ELNS1_3repE0EEENS1_30default_config_static_selectorELNS0_4arch9wavefront6targetE0EEEvT1_
		.amdhsa_group_segment_fixed_size 0
		.amdhsa_private_segment_fixed_size 0
		.amdhsa_kernarg_size 144
		.amdhsa_user_sgpr_count 2
		.amdhsa_user_sgpr_dispatch_ptr 0
		.amdhsa_user_sgpr_queue_ptr 0
		.amdhsa_user_sgpr_kernarg_segment_ptr 1
		.amdhsa_user_sgpr_dispatch_id 0
		.amdhsa_user_sgpr_private_segment_size 0
		.amdhsa_wavefront_size32 1
		.amdhsa_uses_dynamic_stack 0
		.amdhsa_enable_private_segment 0
		.amdhsa_system_sgpr_workgroup_id_x 1
		.amdhsa_system_sgpr_workgroup_id_y 0
		.amdhsa_system_sgpr_workgroup_id_z 0
		.amdhsa_system_sgpr_workgroup_info 0
		.amdhsa_system_vgpr_workitem_id 0
		.amdhsa_next_free_vgpr 1
		.amdhsa_next_free_sgpr 1
		.amdhsa_reserve_vcc 0
		.amdhsa_float_round_mode_32 0
		.amdhsa_float_round_mode_16_64 0
		.amdhsa_float_denorm_mode_32 3
		.amdhsa_float_denorm_mode_16_64 3
		.amdhsa_fp16_overflow 0
		.amdhsa_workgroup_processor_mode 1
		.amdhsa_memory_ordered 1
		.amdhsa_forward_progress 1
		.amdhsa_inst_pref_size 0
		.amdhsa_round_robin_scheduling 0
		.amdhsa_exception_fp_ieee_invalid_op 0
		.amdhsa_exception_fp_denorm_src 0
		.amdhsa_exception_fp_ieee_div_zero 0
		.amdhsa_exception_fp_ieee_overflow 0
		.amdhsa_exception_fp_ieee_underflow 0
		.amdhsa_exception_fp_ieee_inexact 0
		.amdhsa_exception_int_div_zero 0
	.end_amdhsa_kernel
	.section	.text._ZN7rocprim17ROCPRIM_400000_NS6detail17trampoline_kernelINS0_14default_configENS1_25partition_config_selectorILNS1_17partition_subalgoE5ExNS0_10empty_typeEbEEZZNS1_14partition_implILS5_5ELb0ES3_mN6thrust23THRUST_200600_302600_NS6detail15normal_iteratorINSA_10device_ptrIxEEEEPS6_NSA_18transform_iteratorINSB_9not_fun_tI7is_trueIxEEENSC_INSD_IbEEEENSA_11use_defaultESO_EENS0_5tupleIJNSA_16discard_iteratorISO_EES6_EEENSQ_IJSG_SG_EEES6_PlJS6_EEE10hipError_tPvRmT3_T4_T5_T6_T7_T9_mT8_P12ihipStream_tbDpT10_ENKUlT_T0_E_clISt17integral_constantIbLb0EES1E_IbLb1EEEEDaS1A_S1B_EUlS1A_E_NS1_11comp_targetILNS1_3genE9ELNS1_11target_archE1100ELNS1_3gpuE3ELNS1_3repE0EEENS1_30default_config_static_selectorELNS0_4arch9wavefront6targetE0EEEvT1_,"axG",@progbits,_ZN7rocprim17ROCPRIM_400000_NS6detail17trampoline_kernelINS0_14default_configENS1_25partition_config_selectorILNS1_17partition_subalgoE5ExNS0_10empty_typeEbEEZZNS1_14partition_implILS5_5ELb0ES3_mN6thrust23THRUST_200600_302600_NS6detail15normal_iteratorINSA_10device_ptrIxEEEEPS6_NSA_18transform_iteratorINSB_9not_fun_tI7is_trueIxEEENSC_INSD_IbEEEENSA_11use_defaultESO_EENS0_5tupleIJNSA_16discard_iteratorISO_EES6_EEENSQ_IJSG_SG_EEES6_PlJS6_EEE10hipError_tPvRmT3_T4_T5_T6_T7_T9_mT8_P12ihipStream_tbDpT10_ENKUlT_T0_E_clISt17integral_constantIbLb0EES1E_IbLb1EEEEDaS1A_S1B_EUlS1A_E_NS1_11comp_targetILNS1_3genE9ELNS1_11target_archE1100ELNS1_3gpuE3ELNS1_3repE0EEENS1_30default_config_static_selectorELNS0_4arch9wavefront6targetE0EEEvT1_,comdat
.Lfunc_end2779:
	.size	_ZN7rocprim17ROCPRIM_400000_NS6detail17trampoline_kernelINS0_14default_configENS1_25partition_config_selectorILNS1_17partition_subalgoE5ExNS0_10empty_typeEbEEZZNS1_14partition_implILS5_5ELb0ES3_mN6thrust23THRUST_200600_302600_NS6detail15normal_iteratorINSA_10device_ptrIxEEEEPS6_NSA_18transform_iteratorINSB_9not_fun_tI7is_trueIxEEENSC_INSD_IbEEEENSA_11use_defaultESO_EENS0_5tupleIJNSA_16discard_iteratorISO_EES6_EEENSQ_IJSG_SG_EEES6_PlJS6_EEE10hipError_tPvRmT3_T4_T5_T6_T7_T9_mT8_P12ihipStream_tbDpT10_ENKUlT_T0_E_clISt17integral_constantIbLb0EES1E_IbLb1EEEEDaS1A_S1B_EUlS1A_E_NS1_11comp_targetILNS1_3genE9ELNS1_11target_archE1100ELNS1_3gpuE3ELNS1_3repE0EEENS1_30default_config_static_selectorELNS0_4arch9wavefront6targetE0EEEvT1_, .Lfunc_end2779-_ZN7rocprim17ROCPRIM_400000_NS6detail17trampoline_kernelINS0_14default_configENS1_25partition_config_selectorILNS1_17partition_subalgoE5ExNS0_10empty_typeEbEEZZNS1_14partition_implILS5_5ELb0ES3_mN6thrust23THRUST_200600_302600_NS6detail15normal_iteratorINSA_10device_ptrIxEEEEPS6_NSA_18transform_iteratorINSB_9not_fun_tI7is_trueIxEEENSC_INSD_IbEEEENSA_11use_defaultESO_EENS0_5tupleIJNSA_16discard_iteratorISO_EES6_EEENSQ_IJSG_SG_EEES6_PlJS6_EEE10hipError_tPvRmT3_T4_T5_T6_T7_T9_mT8_P12ihipStream_tbDpT10_ENKUlT_T0_E_clISt17integral_constantIbLb0EES1E_IbLb1EEEEDaS1A_S1B_EUlS1A_E_NS1_11comp_targetILNS1_3genE9ELNS1_11target_archE1100ELNS1_3gpuE3ELNS1_3repE0EEENS1_30default_config_static_selectorELNS0_4arch9wavefront6targetE0EEEvT1_
                                        ; -- End function
	.set _ZN7rocprim17ROCPRIM_400000_NS6detail17trampoline_kernelINS0_14default_configENS1_25partition_config_selectorILNS1_17partition_subalgoE5ExNS0_10empty_typeEbEEZZNS1_14partition_implILS5_5ELb0ES3_mN6thrust23THRUST_200600_302600_NS6detail15normal_iteratorINSA_10device_ptrIxEEEEPS6_NSA_18transform_iteratorINSB_9not_fun_tI7is_trueIxEEENSC_INSD_IbEEEENSA_11use_defaultESO_EENS0_5tupleIJNSA_16discard_iteratorISO_EES6_EEENSQ_IJSG_SG_EEES6_PlJS6_EEE10hipError_tPvRmT3_T4_T5_T6_T7_T9_mT8_P12ihipStream_tbDpT10_ENKUlT_T0_E_clISt17integral_constantIbLb0EES1E_IbLb1EEEEDaS1A_S1B_EUlS1A_E_NS1_11comp_targetILNS1_3genE9ELNS1_11target_archE1100ELNS1_3gpuE3ELNS1_3repE0EEENS1_30default_config_static_selectorELNS0_4arch9wavefront6targetE0EEEvT1_.num_vgpr, 0
	.set _ZN7rocprim17ROCPRIM_400000_NS6detail17trampoline_kernelINS0_14default_configENS1_25partition_config_selectorILNS1_17partition_subalgoE5ExNS0_10empty_typeEbEEZZNS1_14partition_implILS5_5ELb0ES3_mN6thrust23THRUST_200600_302600_NS6detail15normal_iteratorINSA_10device_ptrIxEEEEPS6_NSA_18transform_iteratorINSB_9not_fun_tI7is_trueIxEEENSC_INSD_IbEEEENSA_11use_defaultESO_EENS0_5tupleIJNSA_16discard_iteratorISO_EES6_EEENSQ_IJSG_SG_EEES6_PlJS6_EEE10hipError_tPvRmT3_T4_T5_T6_T7_T9_mT8_P12ihipStream_tbDpT10_ENKUlT_T0_E_clISt17integral_constantIbLb0EES1E_IbLb1EEEEDaS1A_S1B_EUlS1A_E_NS1_11comp_targetILNS1_3genE9ELNS1_11target_archE1100ELNS1_3gpuE3ELNS1_3repE0EEENS1_30default_config_static_selectorELNS0_4arch9wavefront6targetE0EEEvT1_.num_agpr, 0
	.set _ZN7rocprim17ROCPRIM_400000_NS6detail17trampoline_kernelINS0_14default_configENS1_25partition_config_selectorILNS1_17partition_subalgoE5ExNS0_10empty_typeEbEEZZNS1_14partition_implILS5_5ELb0ES3_mN6thrust23THRUST_200600_302600_NS6detail15normal_iteratorINSA_10device_ptrIxEEEEPS6_NSA_18transform_iteratorINSB_9not_fun_tI7is_trueIxEEENSC_INSD_IbEEEENSA_11use_defaultESO_EENS0_5tupleIJNSA_16discard_iteratorISO_EES6_EEENSQ_IJSG_SG_EEES6_PlJS6_EEE10hipError_tPvRmT3_T4_T5_T6_T7_T9_mT8_P12ihipStream_tbDpT10_ENKUlT_T0_E_clISt17integral_constantIbLb0EES1E_IbLb1EEEEDaS1A_S1B_EUlS1A_E_NS1_11comp_targetILNS1_3genE9ELNS1_11target_archE1100ELNS1_3gpuE3ELNS1_3repE0EEENS1_30default_config_static_selectorELNS0_4arch9wavefront6targetE0EEEvT1_.numbered_sgpr, 0
	.set _ZN7rocprim17ROCPRIM_400000_NS6detail17trampoline_kernelINS0_14default_configENS1_25partition_config_selectorILNS1_17partition_subalgoE5ExNS0_10empty_typeEbEEZZNS1_14partition_implILS5_5ELb0ES3_mN6thrust23THRUST_200600_302600_NS6detail15normal_iteratorINSA_10device_ptrIxEEEEPS6_NSA_18transform_iteratorINSB_9not_fun_tI7is_trueIxEEENSC_INSD_IbEEEENSA_11use_defaultESO_EENS0_5tupleIJNSA_16discard_iteratorISO_EES6_EEENSQ_IJSG_SG_EEES6_PlJS6_EEE10hipError_tPvRmT3_T4_T5_T6_T7_T9_mT8_P12ihipStream_tbDpT10_ENKUlT_T0_E_clISt17integral_constantIbLb0EES1E_IbLb1EEEEDaS1A_S1B_EUlS1A_E_NS1_11comp_targetILNS1_3genE9ELNS1_11target_archE1100ELNS1_3gpuE3ELNS1_3repE0EEENS1_30default_config_static_selectorELNS0_4arch9wavefront6targetE0EEEvT1_.num_named_barrier, 0
	.set _ZN7rocprim17ROCPRIM_400000_NS6detail17trampoline_kernelINS0_14default_configENS1_25partition_config_selectorILNS1_17partition_subalgoE5ExNS0_10empty_typeEbEEZZNS1_14partition_implILS5_5ELb0ES3_mN6thrust23THRUST_200600_302600_NS6detail15normal_iteratorINSA_10device_ptrIxEEEEPS6_NSA_18transform_iteratorINSB_9not_fun_tI7is_trueIxEEENSC_INSD_IbEEEENSA_11use_defaultESO_EENS0_5tupleIJNSA_16discard_iteratorISO_EES6_EEENSQ_IJSG_SG_EEES6_PlJS6_EEE10hipError_tPvRmT3_T4_T5_T6_T7_T9_mT8_P12ihipStream_tbDpT10_ENKUlT_T0_E_clISt17integral_constantIbLb0EES1E_IbLb1EEEEDaS1A_S1B_EUlS1A_E_NS1_11comp_targetILNS1_3genE9ELNS1_11target_archE1100ELNS1_3gpuE3ELNS1_3repE0EEENS1_30default_config_static_selectorELNS0_4arch9wavefront6targetE0EEEvT1_.private_seg_size, 0
	.set _ZN7rocprim17ROCPRIM_400000_NS6detail17trampoline_kernelINS0_14default_configENS1_25partition_config_selectorILNS1_17partition_subalgoE5ExNS0_10empty_typeEbEEZZNS1_14partition_implILS5_5ELb0ES3_mN6thrust23THRUST_200600_302600_NS6detail15normal_iteratorINSA_10device_ptrIxEEEEPS6_NSA_18transform_iteratorINSB_9not_fun_tI7is_trueIxEEENSC_INSD_IbEEEENSA_11use_defaultESO_EENS0_5tupleIJNSA_16discard_iteratorISO_EES6_EEENSQ_IJSG_SG_EEES6_PlJS6_EEE10hipError_tPvRmT3_T4_T5_T6_T7_T9_mT8_P12ihipStream_tbDpT10_ENKUlT_T0_E_clISt17integral_constantIbLb0EES1E_IbLb1EEEEDaS1A_S1B_EUlS1A_E_NS1_11comp_targetILNS1_3genE9ELNS1_11target_archE1100ELNS1_3gpuE3ELNS1_3repE0EEENS1_30default_config_static_selectorELNS0_4arch9wavefront6targetE0EEEvT1_.uses_vcc, 0
	.set _ZN7rocprim17ROCPRIM_400000_NS6detail17trampoline_kernelINS0_14default_configENS1_25partition_config_selectorILNS1_17partition_subalgoE5ExNS0_10empty_typeEbEEZZNS1_14partition_implILS5_5ELb0ES3_mN6thrust23THRUST_200600_302600_NS6detail15normal_iteratorINSA_10device_ptrIxEEEEPS6_NSA_18transform_iteratorINSB_9not_fun_tI7is_trueIxEEENSC_INSD_IbEEEENSA_11use_defaultESO_EENS0_5tupleIJNSA_16discard_iteratorISO_EES6_EEENSQ_IJSG_SG_EEES6_PlJS6_EEE10hipError_tPvRmT3_T4_T5_T6_T7_T9_mT8_P12ihipStream_tbDpT10_ENKUlT_T0_E_clISt17integral_constantIbLb0EES1E_IbLb1EEEEDaS1A_S1B_EUlS1A_E_NS1_11comp_targetILNS1_3genE9ELNS1_11target_archE1100ELNS1_3gpuE3ELNS1_3repE0EEENS1_30default_config_static_selectorELNS0_4arch9wavefront6targetE0EEEvT1_.uses_flat_scratch, 0
	.set _ZN7rocprim17ROCPRIM_400000_NS6detail17trampoline_kernelINS0_14default_configENS1_25partition_config_selectorILNS1_17partition_subalgoE5ExNS0_10empty_typeEbEEZZNS1_14partition_implILS5_5ELb0ES3_mN6thrust23THRUST_200600_302600_NS6detail15normal_iteratorINSA_10device_ptrIxEEEEPS6_NSA_18transform_iteratorINSB_9not_fun_tI7is_trueIxEEENSC_INSD_IbEEEENSA_11use_defaultESO_EENS0_5tupleIJNSA_16discard_iteratorISO_EES6_EEENSQ_IJSG_SG_EEES6_PlJS6_EEE10hipError_tPvRmT3_T4_T5_T6_T7_T9_mT8_P12ihipStream_tbDpT10_ENKUlT_T0_E_clISt17integral_constantIbLb0EES1E_IbLb1EEEEDaS1A_S1B_EUlS1A_E_NS1_11comp_targetILNS1_3genE9ELNS1_11target_archE1100ELNS1_3gpuE3ELNS1_3repE0EEENS1_30default_config_static_selectorELNS0_4arch9wavefront6targetE0EEEvT1_.has_dyn_sized_stack, 0
	.set _ZN7rocprim17ROCPRIM_400000_NS6detail17trampoline_kernelINS0_14default_configENS1_25partition_config_selectorILNS1_17partition_subalgoE5ExNS0_10empty_typeEbEEZZNS1_14partition_implILS5_5ELb0ES3_mN6thrust23THRUST_200600_302600_NS6detail15normal_iteratorINSA_10device_ptrIxEEEEPS6_NSA_18transform_iteratorINSB_9not_fun_tI7is_trueIxEEENSC_INSD_IbEEEENSA_11use_defaultESO_EENS0_5tupleIJNSA_16discard_iteratorISO_EES6_EEENSQ_IJSG_SG_EEES6_PlJS6_EEE10hipError_tPvRmT3_T4_T5_T6_T7_T9_mT8_P12ihipStream_tbDpT10_ENKUlT_T0_E_clISt17integral_constantIbLb0EES1E_IbLb1EEEEDaS1A_S1B_EUlS1A_E_NS1_11comp_targetILNS1_3genE9ELNS1_11target_archE1100ELNS1_3gpuE3ELNS1_3repE0EEENS1_30default_config_static_selectorELNS0_4arch9wavefront6targetE0EEEvT1_.has_recursion, 0
	.set _ZN7rocprim17ROCPRIM_400000_NS6detail17trampoline_kernelINS0_14default_configENS1_25partition_config_selectorILNS1_17partition_subalgoE5ExNS0_10empty_typeEbEEZZNS1_14partition_implILS5_5ELb0ES3_mN6thrust23THRUST_200600_302600_NS6detail15normal_iteratorINSA_10device_ptrIxEEEEPS6_NSA_18transform_iteratorINSB_9not_fun_tI7is_trueIxEEENSC_INSD_IbEEEENSA_11use_defaultESO_EENS0_5tupleIJNSA_16discard_iteratorISO_EES6_EEENSQ_IJSG_SG_EEES6_PlJS6_EEE10hipError_tPvRmT3_T4_T5_T6_T7_T9_mT8_P12ihipStream_tbDpT10_ENKUlT_T0_E_clISt17integral_constantIbLb0EES1E_IbLb1EEEEDaS1A_S1B_EUlS1A_E_NS1_11comp_targetILNS1_3genE9ELNS1_11target_archE1100ELNS1_3gpuE3ELNS1_3repE0EEENS1_30default_config_static_selectorELNS0_4arch9wavefront6targetE0EEEvT1_.has_indirect_call, 0
	.section	.AMDGPU.csdata,"",@progbits
; Kernel info:
; codeLenInByte = 0
; TotalNumSgprs: 0
; NumVgprs: 0
; ScratchSize: 0
; MemoryBound: 0
; FloatMode: 240
; IeeeMode: 1
; LDSByteSize: 0 bytes/workgroup (compile time only)
; SGPRBlocks: 0
; VGPRBlocks: 0
; NumSGPRsForWavesPerEU: 1
; NumVGPRsForWavesPerEU: 1
; Occupancy: 16
; WaveLimiterHint : 0
; COMPUTE_PGM_RSRC2:SCRATCH_EN: 0
; COMPUTE_PGM_RSRC2:USER_SGPR: 2
; COMPUTE_PGM_RSRC2:TRAP_HANDLER: 0
; COMPUTE_PGM_RSRC2:TGID_X_EN: 1
; COMPUTE_PGM_RSRC2:TGID_Y_EN: 0
; COMPUTE_PGM_RSRC2:TGID_Z_EN: 0
; COMPUTE_PGM_RSRC2:TIDIG_COMP_CNT: 0
	.section	.text._ZN7rocprim17ROCPRIM_400000_NS6detail17trampoline_kernelINS0_14default_configENS1_25partition_config_selectorILNS1_17partition_subalgoE5ExNS0_10empty_typeEbEEZZNS1_14partition_implILS5_5ELb0ES3_mN6thrust23THRUST_200600_302600_NS6detail15normal_iteratorINSA_10device_ptrIxEEEEPS6_NSA_18transform_iteratorINSB_9not_fun_tI7is_trueIxEEENSC_INSD_IbEEEENSA_11use_defaultESO_EENS0_5tupleIJNSA_16discard_iteratorISO_EES6_EEENSQ_IJSG_SG_EEES6_PlJS6_EEE10hipError_tPvRmT3_T4_T5_T6_T7_T9_mT8_P12ihipStream_tbDpT10_ENKUlT_T0_E_clISt17integral_constantIbLb0EES1E_IbLb1EEEEDaS1A_S1B_EUlS1A_E_NS1_11comp_targetILNS1_3genE8ELNS1_11target_archE1030ELNS1_3gpuE2ELNS1_3repE0EEENS1_30default_config_static_selectorELNS0_4arch9wavefront6targetE0EEEvT1_,"axG",@progbits,_ZN7rocprim17ROCPRIM_400000_NS6detail17trampoline_kernelINS0_14default_configENS1_25partition_config_selectorILNS1_17partition_subalgoE5ExNS0_10empty_typeEbEEZZNS1_14partition_implILS5_5ELb0ES3_mN6thrust23THRUST_200600_302600_NS6detail15normal_iteratorINSA_10device_ptrIxEEEEPS6_NSA_18transform_iteratorINSB_9not_fun_tI7is_trueIxEEENSC_INSD_IbEEEENSA_11use_defaultESO_EENS0_5tupleIJNSA_16discard_iteratorISO_EES6_EEENSQ_IJSG_SG_EEES6_PlJS6_EEE10hipError_tPvRmT3_T4_T5_T6_T7_T9_mT8_P12ihipStream_tbDpT10_ENKUlT_T0_E_clISt17integral_constantIbLb0EES1E_IbLb1EEEEDaS1A_S1B_EUlS1A_E_NS1_11comp_targetILNS1_3genE8ELNS1_11target_archE1030ELNS1_3gpuE2ELNS1_3repE0EEENS1_30default_config_static_selectorELNS0_4arch9wavefront6targetE0EEEvT1_,comdat
	.protected	_ZN7rocprim17ROCPRIM_400000_NS6detail17trampoline_kernelINS0_14default_configENS1_25partition_config_selectorILNS1_17partition_subalgoE5ExNS0_10empty_typeEbEEZZNS1_14partition_implILS5_5ELb0ES3_mN6thrust23THRUST_200600_302600_NS6detail15normal_iteratorINSA_10device_ptrIxEEEEPS6_NSA_18transform_iteratorINSB_9not_fun_tI7is_trueIxEEENSC_INSD_IbEEEENSA_11use_defaultESO_EENS0_5tupleIJNSA_16discard_iteratorISO_EES6_EEENSQ_IJSG_SG_EEES6_PlJS6_EEE10hipError_tPvRmT3_T4_T5_T6_T7_T9_mT8_P12ihipStream_tbDpT10_ENKUlT_T0_E_clISt17integral_constantIbLb0EES1E_IbLb1EEEEDaS1A_S1B_EUlS1A_E_NS1_11comp_targetILNS1_3genE8ELNS1_11target_archE1030ELNS1_3gpuE2ELNS1_3repE0EEENS1_30default_config_static_selectorELNS0_4arch9wavefront6targetE0EEEvT1_ ; -- Begin function _ZN7rocprim17ROCPRIM_400000_NS6detail17trampoline_kernelINS0_14default_configENS1_25partition_config_selectorILNS1_17partition_subalgoE5ExNS0_10empty_typeEbEEZZNS1_14partition_implILS5_5ELb0ES3_mN6thrust23THRUST_200600_302600_NS6detail15normal_iteratorINSA_10device_ptrIxEEEEPS6_NSA_18transform_iteratorINSB_9not_fun_tI7is_trueIxEEENSC_INSD_IbEEEENSA_11use_defaultESO_EENS0_5tupleIJNSA_16discard_iteratorISO_EES6_EEENSQ_IJSG_SG_EEES6_PlJS6_EEE10hipError_tPvRmT3_T4_T5_T6_T7_T9_mT8_P12ihipStream_tbDpT10_ENKUlT_T0_E_clISt17integral_constantIbLb0EES1E_IbLb1EEEEDaS1A_S1B_EUlS1A_E_NS1_11comp_targetILNS1_3genE8ELNS1_11target_archE1030ELNS1_3gpuE2ELNS1_3repE0EEENS1_30default_config_static_selectorELNS0_4arch9wavefront6targetE0EEEvT1_
	.globl	_ZN7rocprim17ROCPRIM_400000_NS6detail17trampoline_kernelINS0_14default_configENS1_25partition_config_selectorILNS1_17partition_subalgoE5ExNS0_10empty_typeEbEEZZNS1_14partition_implILS5_5ELb0ES3_mN6thrust23THRUST_200600_302600_NS6detail15normal_iteratorINSA_10device_ptrIxEEEEPS6_NSA_18transform_iteratorINSB_9not_fun_tI7is_trueIxEEENSC_INSD_IbEEEENSA_11use_defaultESO_EENS0_5tupleIJNSA_16discard_iteratorISO_EES6_EEENSQ_IJSG_SG_EEES6_PlJS6_EEE10hipError_tPvRmT3_T4_T5_T6_T7_T9_mT8_P12ihipStream_tbDpT10_ENKUlT_T0_E_clISt17integral_constantIbLb0EES1E_IbLb1EEEEDaS1A_S1B_EUlS1A_E_NS1_11comp_targetILNS1_3genE8ELNS1_11target_archE1030ELNS1_3gpuE2ELNS1_3repE0EEENS1_30default_config_static_selectorELNS0_4arch9wavefront6targetE0EEEvT1_
	.p2align	8
	.type	_ZN7rocprim17ROCPRIM_400000_NS6detail17trampoline_kernelINS0_14default_configENS1_25partition_config_selectorILNS1_17partition_subalgoE5ExNS0_10empty_typeEbEEZZNS1_14partition_implILS5_5ELb0ES3_mN6thrust23THRUST_200600_302600_NS6detail15normal_iteratorINSA_10device_ptrIxEEEEPS6_NSA_18transform_iteratorINSB_9not_fun_tI7is_trueIxEEENSC_INSD_IbEEEENSA_11use_defaultESO_EENS0_5tupleIJNSA_16discard_iteratorISO_EES6_EEENSQ_IJSG_SG_EEES6_PlJS6_EEE10hipError_tPvRmT3_T4_T5_T6_T7_T9_mT8_P12ihipStream_tbDpT10_ENKUlT_T0_E_clISt17integral_constantIbLb0EES1E_IbLb1EEEEDaS1A_S1B_EUlS1A_E_NS1_11comp_targetILNS1_3genE8ELNS1_11target_archE1030ELNS1_3gpuE2ELNS1_3repE0EEENS1_30default_config_static_selectorELNS0_4arch9wavefront6targetE0EEEvT1_,@function
_ZN7rocprim17ROCPRIM_400000_NS6detail17trampoline_kernelINS0_14default_configENS1_25partition_config_selectorILNS1_17partition_subalgoE5ExNS0_10empty_typeEbEEZZNS1_14partition_implILS5_5ELb0ES3_mN6thrust23THRUST_200600_302600_NS6detail15normal_iteratorINSA_10device_ptrIxEEEEPS6_NSA_18transform_iteratorINSB_9not_fun_tI7is_trueIxEEENSC_INSD_IbEEEENSA_11use_defaultESO_EENS0_5tupleIJNSA_16discard_iteratorISO_EES6_EEENSQ_IJSG_SG_EEES6_PlJS6_EEE10hipError_tPvRmT3_T4_T5_T6_T7_T9_mT8_P12ihipStream_tbDpT10_ENKUlT_T0_E_clISt17integral_constantIbLb0EES1E_IbLb1EEEEDaS1A_S1B_EUlS1A_E_NS1_11comp_targetILNS1_3genE8ELNS1_11target_archE1030ELNS1_3gpuE2ELNS1_3repE0EEENS1_30default_config_static_selectorELNS0_4arch9wavefront6targetE0EEEvT1_: ; @_ZN7rocprim17ROCPRIM_400000_NS6detail17trampoline_kernelINS0_14default_configENS1_25partition_config_selectorILNS1_17partition_subalgoE5ExNS0_10empty_typeEbEEZZNS1_14partition_implILS5_5ELb0ES3_mN6thrust23THRUST_200600_302600_NS6detail15normal_iteratorINSA_10device_ptrIxEEEEPS6_NSA_18transform_iteratorINSB_9not_fun_tI7is_trueIxEEENSC_INSD_IbEEEENSA_11use_defaultESO_EENS0_5tupleIJNSA_16discard_iteratorISO_EES6_EEENSQ_IJSG_SG_EEES6_PlJS6_EEE10hipError_tPvRmT3_T4_T5_T6_T7_T9_mT8_P12ihipStream_tbDpT10_ENKUlT_T0_E_clISt17integral_constantIbLb0EES1E_IbLb1EEEEDaS1A_S1B_EUlS1A_E_NS1_11comp_targetILNS1_3genE8ELNS1_11target_archE1030ELNS1_3gpuE2ELNS1_3repE0EEENS1_30default_config_static_selectorELNS0_4arch9wavefront6targetE0EEEvT1_
; %bb.0:
	.section	.rodata,"a",@progbits
	.p2align	6, 0x0
	.amdhsa_kernel _ZN7rocprim17ROCPRIM_400000_NS6detail17trampoline_kernelINS0_14default_configENS1_25partition_config_selectorILNS1_17partition_subalgoE5ExNS0_10empty_typeEbEEZZNS1_14partition_implILS5_5ELb0ES3_mN6thrust23THRUST_200600_302600_NS6detail15normal_iteratorINSA_10device_ptrIxEEEEPS6_NSA_18transform_iteratorINSB_9not_fun_tI7is_trueIxEEENSC_INSD_IbEEEENSA_11use_defaultESO_EENS0_5tupleIJNSA_16discard_iteratorISO_EES6_EEENSQ_IJSG_SG_EEES6_PlJS6_EEE10hipError_tPvRmT3_T4_T5_T6_T7_T9_mT8_P12ihipStream_tbDpT10_ENKUlT_T0_E_clISt17integral_constantIbLb0EES1E_IbLb1EEEEDaS1A_S1B_EUlS1A_E_NS1_11comp_targetILNS1_3genE8ELNS1_11target_archE1030ELNS1_3gpuE2ELNS1_3repE0EEENS1_30default_config_static_selectorELNS0_4arch9wavefront6targetE0EEEvT1_
		.amdhsa_group_segment_fixed_size 0
		.amdhsa_private_segment_fixed_size 0
		.amdhsa_kernarg_size 144
		.amdhsa_user_sgpr_count 2
		.amdhsa_user_sgpr_dispatch_ptr 0
		.amdhsa_user_sgpr_queue_ptr 0
		.amdhsa_user_sgpr_kernarg_segment_ptr 1
		.amdhsa_user_sgpr_dispatch_id 0
		.amdhsa_user_sgpr_private_segment_size 0
		.amdhsa_wavefront_size32 1
		.amdhsa_uses_dynamic_stack 0
		.amdhsa_enable_private_segment 0
		.amdhsa_system_sgpr_workgroup_id_x 1
		.amdhsa_system_sgpr_workgroup_id_y 0
		.amdhsa_system_sgpr_workgroup_id_z 0
		.amdhsa_system_sgpr_workgroup_info 0
		.amdhsa_system_vgpr_workitem_id 0
		.amdhsa_next_free_vgpr 1
		.amdhsa_next_free_sgpr 1
		.amdhsa_reserve_vcc 0
		.amdhsa_float_round_mode_32 0
		.amdhsa_float_round_mode_16_64 0
		.amdhsa_float_denorm_mode_32 3
		.amdhsa_float_denorm_mode_16_64 3
		.amdhsa_fp16_overflow 0
		.amdhsa_workgroup_processor_mode 1
		.amdhsa_memory_ordered 1
		.amdhsa_forward_progress 1
		.amdhsa_inst_pref_size 0
		.amdhsa_round_robin_scheduling 0
		.amdhsa_exception_fp_ieee_invalid_op 0
		.amdhsa_exception_fp_denorm_src 0
		.amdhsa_exception_fp_ieee_div_zero 0
		.amdhsa_exception_fp_ieee_overflow 0
		.amdhsa_exception_fp_ieee_underflow 0
		.amdhsa_exception_fp_ieee_inexact 0
		.amdhsa_exception_int_div_zero 0
	.end_amdhsa_kernel
	.section	.text._ZN7rocprim17ROCPRIM_400000_NS6detail17trampoline_kernelINS0_14default_configENS1_25partition_config_selectorILNS1_17partition_subalgoE5ExNS0_10empty_typeEbEEZZNS1_14partition_implILS5_5ELb0ES3_mN6thrust23THRUST_200600_302600_NS6detail15normal_iteratorINSA_10device_ptrIxEEEEPS6_NSA_18transform_iteratorINSB_9not_fun_tI7is_trueIxEEENSC_INSD_IbEEEENSA_11use_defaultESO_EENS0_5tupleIJNSA_16discard_iteratorISO_EES6_EEENSQ_IJSG_SG_EEES6_PlJS6_EEE10hipError_tPvRmT3_T4_T5_T6_T7_T9_mT8_P12ihipStream_tbDpT10_ENKUlT_T0_E_clISt17integral_constantIbLb0EES1E_IbLb1EEEEDaS1A_S1B_EUlS1A_E_NS1_11comp_targetILNS1_3genE8ELNS1_11target_archE1030ELNS1_3gpuE2ELNS1_3repE0EEENS1_30default_config_static_selectorELNS0_4arch9wavefront6targetE0EEEvT1_,"axG",@progbits,_ZN7rocprim17ROCPRIM_400000_NS6detail17trampoline_kernelINS0_14default_configENS1_25partition_config_selectorILNS1_17partition_subalgoE5ExNS0_10empty_typeEbEEZZNS1_14partition_implILS5_5ELb0ES3_mN6thrust23THRUST_200600_302600_NS6detail15normal_iteratorINSA_10device_ptrIxEEEEPS6_NSA_18transform_iteratorINSB_9not_fun_tI7is_trueIxEEENSC_INSD_IbEEEENSA_11use_defaultESO_EENS0_5tupleIJNSA_16discard_iteratorISO_EES6_EEENSQ_IJSG_SG_EEES6_PlJS6_EEE10hipError_tPvRmT3_T4_T5_T6_T7_T9_mT8_P12ihipStream_tbDpT10_ENKUlT_T0_E_clISt17integral_constantIbLb0EES1E_IbLb1EEEEDaS1A_S1B_EUlS1A_E_NS1_11comp_targetILNS1_3genE8ELNS1_11target_archE1030ELNS1_3gpuE2ELNS1_3repE0EEENS1_30default_config_static_selectorELNS0_4arch9wavefront6targetE0EEEvT1_,comdat
.Lfunc_end2780:
	.size	_ZN7rocprim17ROCPRIM_400000_NS6detail17trampoline_kernelINS0_14default_configENS1_25partition_config_selectorILNS1_17partition_subalgoE5ExNS0_10empty_typeEbEEZZNS1_14partition_implILS5_5ELb0ES3_mN6thrust23THRUST_200600_302600_NS6detail15normal_iteratorINSA_10device_ptrIxEEEEPS6_NSA_18transform_iteratorINSB_9not_fun_tI7is_trueIxEEENSC_INSD_IbEEEENSA_11use_defaultESO_EENS0_5tupleIJNSA_16discard_iteratorISO_EES6_EEENSQ_IJSG_SG_EEES6_PlJS6_EEE10hipError_tPvRmT3_T4_T5_T6_T7_T9_mT8_P12ihipStream_tbDpT10_ENKUlT_T0_E_clISt17integral_constantIbLb0EES1E_IbLb1EEEEDaS1A_S1B_EUlS1A_E_NS1_11comp_targetILNS1_3genE8ELNS1_11target_archE1030ELNS1_3gpuE2ELNS1_3repE0EEENS1_30default_config_static_selectorELNS0_4arch9wavefront6targetE0EEEvT1_, .Lfunc_end2780-_ZN7rocprim17ROCPRIM_400000_NS6detail17trampoline_kernelINS0_14default_configENS1_25partition_config_selectorILNS1_17partition_subalgoE5ExNS0_10empty_typeEbEEZZNS1_14partition_implILS5_5ELb0ES3_mN6thrust23THRUST_200600_302600_NS6detail15normal_iteratorINSA_10device_ptrIxEEEEPS6_NSA_18transform_iteratorINSB_9not_fun_tI7is_trueIxEEENSC_INSD_IbEEEENSA_11use_defaultESO_EENS0_5tupleIJNSA_16discard_iteratorISO_EES6_EEENSQ_IJSG_SG_EEES6_PlJS6_EEE10hipError_tPvRmT3_T4_T5_T6_T7_T9_mT8_P12ihipStream_tbDpT10_ENKUlT_T0_E_clISt17integral_constantIbLb0EES1E_IbLb1EEEEDaS1A_S1B_EUlS1A_E_NS1_11comp_targetILNS1_3genE8ELNS1_11target_archE1030ELNS1_3gpuE2ELNS1_3repE0EEENS1_30default_config_static_selectorELNS0_4arch9wavefront6targetE0EEEvT1_
                                        ; -- End function
	.set _ZN7rocprim17ROCPRIM_400000_NS6detail17trampoline_kernelINS0_14default_configENS1_25partition_config_selectorILNS1_17partition_subalgoE5ExNS0_10empty_typeEbEEZZNS1_14partition_implILS5_5ELb0ES3_mN6thrust23THRUST_200600_302600_NS6detail15normal_iteratorINSA_10device_ptrIxEEEEPS6_NSA_18transform_iteratorINSB_9not_fun_tI7is_trueIxEEENSC_INSD_IbEEEENSA_11use_defaultESO_EENS0_5tupleIJNSA_16discard_iteratorISO_EES6_EEENSQ_IJSG_SG_EEES6_PlJS6_EEE10hipError_tPvRmT3_T4_T5_T6_T7_T9_mT8_P12ihipStream_tbDpT10_ENKUlT_T0_E_clISt17integral_constantIbLb0EES1E_IbLb1EEEEDaS1A_S1B_EUlS1A_E_NS1_11comp_targetILNS1_3genE8ELNS1_11target_archE1030ELNS1_3gpuE2ELNS1_3repE0EEENS1_30default_config_static_selectorELNS0_4arch9wavefront6targetE0EEEvT1_.num_vgpr, 0
	.set _ZN7rocprim17ROCPRIM_400000_NS6detail17trampoline_kernelINS0_14default_configENS1_25partition_config_selectorILNS1_17partition_subalgoE5ExNS0_10empty_typeEbEEZZNS1_14partition_implILS5_5ELb0ES3_mN6thrust23THRUST_200600_302600_NS6detail15normal_iteratorINSA_10device_ptrIxEEEEPS6_NSA_18transform_iteratorINSB_9not_fun_tI7is_trueIxEEENSC_INSD_IbEEEENSA_11use_defaultESO_EENS0_5tupleIJNSA_16discard_iteratorISO_EES6_EEENSQ_IJSG_SG_EEES6_PlJS6_EEE10hipError_tPvRmT3_T4_T5_T6_T7_T9_mT8_P12ihipStream_tbDpT10_ENKUlT_T0_E_clISt17integral_constantIbLb0EES1E_IbLb1EEEEDaS1A_S1B_EUlS1A_E_NS1_11comp_targetILNS1_3genE8ELNS1_11target_archE1030ELNS1_3gpuE2ELNS1_3repE0EEENS1_30default_config_static_selectorELNS0_4arch9wavefront6targetE0EEEvT1_.num_agpr, 0
	.set _ZN7rocprim17ROCPRIM_400000_NS6detail17trampoline_kernelINS0_14default_configENS1_25partition_config_selectorILNS1_17partition_subalgoE5ExNS0_10empty_typeEbEEZZNS1_14partition_implILS5_5ELb0ES3_mN6thrust23THRUST_200600_302600_NS6detail15normal_iteratorINSA_10device_ptrIxEEEEPS6_NSA_18transform_iteratorINSB_9not_fun_tI7is_trueIxEEENSC_INSD_IbEEEENSA_11use_defaultESO_EENS0_5tupleIJNSA_16discard_iteratorISO_EES6_EEENSQ_IJSG_SG_EEES6_PlJS6_EEE10hipError_tPvRmT3_T4_T5_T6_T7_T9_mT8_P12ihipStream_tbDpT10_ENKUlT_T0_E_clISt17integral_constantIbLb0EES1E_IbLb1EEEEDaS1A_S1B_EUlS1A_E_NS1_11comp_targetILNS1_3genE8ELNS1_11target_archE1030ELNS1_3gpuE2ELNS1_3repE0EEENS1_30default_config_static_selectorELNS0_4arch9wavefront6targetE0EEEvT1_.numbered_sgpr, 0
	.set _ZN7rocprim17ROCPRIM_400000_NS6detail17trampoline_kernelINS0_14default_configENS1_25partition_config_selectorILNS1_17partition_subalgoE5ExNS0_10empty_typeEbEEZZNS1_14partition_implILS5_5ELb0ES3_mN6thrust23THRUST_200600_302600_NS6detail15normal_iteratorINSA_10device_ptrIxEEEEPS6_NSA_18transform_iteratorINSB_9not_fun_tI7is_trueIxEEENSC_INSD_IbEEEENSA_11use_defaultESO_EENS0_5tupleIJNSA_16discard_iteratorISO_EES6_EEENSQ_IJSG_SG_EEES6_PlJS6_EEE10hipError_tPvRmT3_T4_T5_T6_T7_T9_mT8_P12ihipStream_tbDpT10_ENKUlT_T0_E_clISt17integral_constantIbLb0EES1E_IbLb1EEEEDaS1A_S1B_EUlS1A_E_NS1_11comp_targetILNS1_3genE8ELNS1_11target_archE1030ELNS1_3gpuE2ELNS1_3repE0EEENS1_30default_config_static_selectorELNS0_4arch9wavefront6targetE0EEEvT1_.num_named_barrier, 0
	.set _ZN7rocprim17ROCPRIM_400000_NS6detail17trampoline_kernelINS0_14default_configENS1_25partition_config_selectorILNS1_17partition_subalgoE5ExNS0_10empty_typeEbEEZZNS1_14partition_implILS5_5ELb0ES3_mN6thrust23THRUST_200600_302600_NS6detail15normal_iteratorINSA_10device_ptrIxEEEEPS6_NSA_18transform_iteratorINSB_9not_fun_tI7is_trueIxEEENSC_INSD_IbEEEENSA_11use_defaultESO_EENS0_5tupleIJNSA_16discard_iteratorISO_EES6_EEENSQ_IJSG_SG_EEES6_PlJS6_EEE10hipError_tPvRmT3_T4_T5_T6_T7_T9_mT8_P12ihipStream_tbDpT10_ENKUlT_T0_E_clISt17integral_constantIbLb0EES1E_IbLb1EEEEDaS1A_S1B_EUlS1A_E_NS1_11comp_targetILNS1_3genE8ELNS1_11target_archE1030ELNS1_3gpuE2ELNS1_3repE0EEENS1_30default_config_static_selectorELNS0_4arch9wavefront6targetE0EEEvT1_.private_seg_size, 0
	.set _ZN7rocprim17ROCPRIM_400000_NS6detail17trampoline_kernelINS0_14default_configENS1_25partition_config_selectorILNS1_17partition_subalgoE5ExNS0_10empty_typeEbEEZZNS1_14partition_implILS5_5ELb0ES3_mN6thrust23THRUST_200600_302600_NS6detail15normal_iteratorINSA_10device_ptrIxEEEEPS6_NSA_18transform_iteratorINSB_9not_fun_tI7is_trueIxEEENSC_INSD_IbEEEENSA_11use_defaultESO_EENS0_5tupleIJNSA_16discard_iteratorISO_EES6_EEENSQ_IJSG_SG_EEES6_PlJS6_EEE10hipError_tPvRmT3_T4_T5_T6_T7_T9_mT8_P12ihipStream_tbDpT10_ENKUlT_T0_E_clISt17integral_constantIbLb0EES1E_IbLb1EEEEDaS1A_S1B_EUlS1A_E_NS1_11comp_targetILNS1_3genE8ELNS1_11target_archE1030ELNS1_3gpuE2ELNS1_3repE0EEENS1_30default_config_static_selectorELNS0_4arch9wavefront6targetE0EEEvT1_.uses_vcc, 0
	.set _ZN7rocprim17ROCPRIM_400000_NS6detail17trampoline_kernelINS0_14default_configENS1_25partition_config_selectorILNS1_17partition_subalgoE5ExNS0_10empty_typeEbEEZZNS1_14partition_implILS5_5ELb0ES3_mN6thrust23THRUST_200600_302600_NS6detail15normal_iteratorINSA_10device_ptrIxEEEEPS6_NSA_18transform_iteratorINSB_9not_fun_tI7is_trueIxEEENSC_INSD_IbEEEENSA_11use_defaultESO_EENS0_5tupleIJNSA_16discard_iteratorISO_EES6_EEENSQ_IJSG_SG_EEES6_PlJS6_EEE10hipError_tPvRmT3_T4_T5_T6_T7_T9_mT8_P12ihipStream_tbDpT10_ENKUlT_T0_E_clISt17integral_constantIbLb0EES1E_IbLb1EEEEDaS1A_S1B_EUlS1A_E_NS1_11comp_targetILNS1_3genE8ELNS1_11target_archE1030ELNS1_3gpuE2ELNS1_3repE0EEENS1_30default_config_static_selectorELNS0_4arch9wavefront6targetE0EEEvT1_.uses_flat_scratch, 0
	.set _ZN7rocprim17ROCPRIM_400000_NS6detail17trampoline_kernelINS0_14default_configENS1_25partition_config_selectorILNS1_17partition_subalgoE5ExNS0_10empty_typeEbEEZZNS1_14partition_implILS5_5ELb0ES3_mN6thrust23THRUST_200600_302600_NS6detail15normal_iteratorINSA_10device_ptrIxEEEEPS6_NSA_18transform_iteratorINSB_9not_fun_tI7is_trueIxEEENSC_INSD_IbEEEENSA_11use_defaultESO_EENS0_5tupleIJNSA_16discard_iteratorISO_EES6_EEENSQ_IJSG_SG_EEES6_PlJS6_EEE10hipError_tPvRmT3_T4_T5_T6_T7_T9_mT8_P12ihipStream_tbDpT10_ENKUlT_T0_E_clISt17integral_constantIbLb0EES1E_IbLb1EEEEDaS1A_S1B_EUlS1A_E_NS1_11comp_targetILNS1_3genE8ELNS1_11target_archE1030ELNS1_3gpuE2ELNS1_3repE0EEENS1_30default_config_static_selectorELNS0_4arch9wavefront6targetE0EEEvT1_.has_dyn_sized_stack, 0
	.set _ZN7rocprim17ROCPRIM_400000_NS6detail17trampoline_kernelINS0_14default_configENS1_25partition_config_selectorILNS1_17partition_subalgoE5ExNS0_10empty_typeEbEEZZNS1_14partition_implILS5_5ELb0ES3_mN6thrust23THRUST_200600_302600_NS6detail15normal_iteratorINSA_10device_ptrIxEEEEPS6_NSA_18transform_iteratorINSB_9not_fun_tI7is_trueIxEEENSC_INSD_IbEEEENSA_11use_defaultESO_EENS0_5tupleIJNSA_16discard_iteratorISO_EES6_EEENSQ_IJSG_SG_EEES6_PlJS6_EEE10hipError_tPvRmT3_T4_T5_T6_T7_T9_mT8_P12ihipStream_tbDpT10_ENKUlT_T0_E_clISt17integral_constantIbLb0EES1E_IbLb1EEEEDaS1A_S1B_EUlS1A_E_NS1_11comp_targetILNS1_3genE8ELNS1_11target_archE1030ELNS1_3gpuE2ELNS1_3repE0EEENS1_30default_config_static_selectorELNS0_4arch9wavefront6targetE0EEEvT1_.has_recursion, 0
	.set _ZN7rocprim17ROCPRIM_400000_NS6detail17trampoline_kernelINS0_14default_configENS1_25partition_config_selectorILNS1_17partition_subalgoE5ExNS0_10empty_typeEbEEZZNS1_14partition_implILS5_5ELb0ES3_mN6thrust23THRUST_200600_302600_NS6detail15normal_iteratorINSA_10device_ptrIxEEEEPS6_NSA_18transform_iteratorINSB_9not_fun_tI7is_trueIxEEENSC_INSD_IbEEEENSA_11use_defaultESO_EENS0_5tupleIJNSA_16discard_iteratorISO_EES6_EEENSQ_IJSG_SG_EEES6_PlJS6_EEE10hipError_tPvRmT3_T4_T5_T6_T7_T9_mT8_P12ihipStream_tbDpT10_ENKUlT_T0_E_clISt17integral_constantIbLb0EES1E_IbLb1EEEEDaS1A_S1B_EUlS1A_E_NS1_11comp_targetILNS1_3genE8ELNS1_11target_archE1030ELNS1_3gpuE2ELNS1_3repE0EEENS1_30default_config_static_selectorELNS0_4arch9wavefront6targetE0EEEvT1_.has_indirect_call, 0
	.section	.AMDGPU.csdata,"",@progbits
; Kernel info:
; codeLenInByte = 0
; TotalNumSgprs: 0
; NumVgprs: 0
; ScratchSize: 0
; MemoryBound: 0
; FloatMode: 240
; IeeeMode: 1
; LDSByteSize: 0 bytes/workgroup (compile time only)
; SGPRBlocks: 0
; VGPRBlocks: 0
; NumSGPRsForWavesPerEU: 1
; NumVGPRsForWavesPerEU: 1
; Occupancy: 16
; WaveLimiterHint : 0
; COMPUTE_PGM_RSRC2:SCRATCH_EN: 0
; COMPUTE_PGM_RSRC2:USER_SGPR: 2
; COMPUTE_PGM_RSRC2:TRAP_HANDLER: 0
; COMPUTE_PGM_RSRC2:TGID_X_EN: 1
; COMPUTE_PGM_RSRC2:TGID_Y_EN: 0
; COMPUTE_PGM_RSRC2:TGID_Z_EN: 0
; COMPUTE_PGM_RSRC2:TIDIG_COMP_CNT: 0
	.section	.text._ZN7rocprim17ROCPRIM_400000_NS6detail17trampoline_kernelINS0_14default_configENS1_25partition_config_selectorILNS1_17partition_subalgoE5EiNS0_10empty_typeEbEEZZNS1_14partition_implILS5_5ELb0ES3_mN6thrust23THRUST_200600_302600_NS6detail15normal_iteratorINSA_10device_ptrIiEEEEPS6_NSA_18transform_iteratorINSB_9not_fun_tI7is_trueIiEEENSC_INSD_IbEEEENSA_11use_defaultESO_EENS0_5tupleIJNSA_16discard_iteratorISO_EES6_EEENSQ_IJSG_SG_EEES6_PlJS6_EEE10hipError_tPvRmT3_T4_T5_T6_T7_T9_mT8_P12ihipStream_tbDpT10_ENKUlT_T0_E_clISt17integral_constantIbLb0EES1F_EEDaS1A_S1B_EUlS1A_E_NS1_11comp_targetILNS1_3genE0ELNS1_11target_archE4294967295ELNS1_3gpuE0ELNS1_3repE0EEENS1_30default_config_static_selectorELNS0_4arch9wavefront6targetE0EEEvT1_,"axG",@progbits,_ZN7rocprim17ROCPRIM_400000_NS6detail17trampoline_kernelINS0_14default_configENS1_25partition_config_selectorILNS1_17partition_subalgoE5EiNS0_10empty_typeEbEEZZNS1_14partition_implILS5_5ELb0ES3_mN6thrust23THRUST_200600_302600_NS6detail15normal_iteratorINSA_10device_ptrIiEEEEPS6_NSA_18transform_iteratorINSB_9not_fun_tI7is_trueIiEEENSC_INSD_IbEEEENSA_11use_defaultESO_EENS0_5tupleIJNSA_16discard_iteratorISO_EES6_EEENSQ_IJSG_SG_EEES6_PlJS6_EEE10hipError_tPvRmT3_T4_T5_T6_T7_T9_mT8_P12ihipStream_tbDpT10_ENKUlT_T0_E_clISt17integral_constantIbLb0EES1F_EEDaS1A_S1B_EUlS1A_E_NS1_11comp_targetILNS1_3genE0ELNS1_11target_archE4294967295ELNS1_3gpuE0ELNS1_3repE0EEENS1_30default_config_static_selectorELNS0_4arch9wavefront6targetE0EEEvT1_,comdat
	.protected	_ZN7rocprim17ROCPRIM_400000_NS6detail17trampoline_kernelINS0_14default_configENS1_25partition_config_selectorILNS1_17partition_subalgoE5EiNS0_10empty_typeEbEEZZNS1_14partition_implILS5_5ELb0ES3_mN6thrust23THRUST_200600_302600_NS6detail15normal_iteratorINSA_10device_ptrIiEEEEPS6_NSA_18transform_iteratorINSB_9not_fun_tI7is_trueIiEEENSC_INSD_IbEEEENSA_11use_defaultESO_EENS0_5tupleIJNSA_16discard_iteratorISO_EES6_EEENSQ_IJSG_SG_EEES6_PlJS6_EEE10hipError_tPvRmT3_T4_T5_T6_T7_T9_mT8_P12ihipStream_tbDpT10_ENKUlT_T0_E_clISt17integral_constantIbLb0EES1F_EEDaS1A_S1B_EUlS1A_E_NS1_11comp_targetILNS1_3genE0ELNS1_11target_archE4294967295ELNS1_3gpuE0ELNS1_3repE0EEENS1_30default_config_static_selectorELNS0_4arch9wavefront6targetE0EEEvT1_ ; -- Begin function _ZN7rocprim17ROCPRIM_400000_NS6detail17trampoline_kernelINS0_14default_configENS1_25partition_config_selectorILNS1_17partition_subalgoE5EiNS0_10empty_typeEbEEZZNS1_14partition_implILS5_5ELb0ES3_mN6thrust23THRUST_200600_302600_NS6detail15normal_iteratorINSA_10device_ptrIiEEEEPS6_NSA_18transform_iteratorINSB_9not_fun_tI7is_trueIiEEENSC_INSD_IbEEEENSA_11use_defaultESO_EENS0_5tupleIJNSA_16discard_iteratorISO_EES6_EEENSQ_IJSG_SG_EEES6_PlJS6_EEE10hipError_tPvRmT3_T4_T5_T6_T7_T9_mT8_P12ihipStream_tbDpT10_ENKUlT_T0_E_clISt17integral_constantIbLb0EES1F_EEDaS1A_S1B_EUlS1A_E_NS1_11comp_targetILNS1_3genE0ELNS1_11target_archE4294967295ELNS1_3gpuE0ELNS1_3repE0EEENS1_30default_config_static_selectorELNS0_4arch9wavefront6targetE0EEEvT1_
	.globl	_ZN7rocprim17ROCPRIM_400000_NS6detail17trampoline_kernelINS0_14default_configENS1_25partition_config_selectorILNS1_17partition_subalgoE5EiNS0_10empty_typeEbEEZZNS1_14partition_implILS5_5ELb0ES3_mN6thrust23THRUST_200600_302600_NS6detail15normal_iteratorINSA_10device_ptrIiEEEEPS6_NSA_18transform_iteratorINSB_9not_fun_tI7is_trueIiEEENSC_INSD_IbEEEENSA_11use_defaultESO_EENS0_5tupleIJNSA_16discard_iteratorISO_EES6_EEENSQ_IJSG_SG_EEES6_PlJS6_EEE10hipError_tPvRmT3_T4_T5_T6_T7_T9_mT8_P12ihipStream_tbDpT10_ENKUlT_T0_E_clISt17integral_constantIbLb0EES1F_EEDaS1A_S1B_EUlS1A_E_NS1_11comp_targetILNS1_3genE0ELNS1_11target_archE4294967295ELNS1_3gpuE0ELNS1_3repE0EEENS1_30default_config_static_selectorELNS0_4arch9wavefront6targetE0EEEvT1_
	.p2align	8
	.type	_ZN7rocprim17ROCPRIM_400000_NS6detail17trampoline_kernelINS0_14default_configENS1_25partition_config_selectorILNS1_17partition_subalgoE5EiNS0_10empty_typeEbEEZZNS1_14partition_implILS5_5ELb0ES3_mN6thrust23THRUST_200600_302600_NS6detail15normal_iteratorINSA_10device_ptrIiEEEEPS6_NSA_18transform_iteratorINSB_9not_fun_tI7is_trueIiEEENSC_INSD_IbEEEENSA_11use_defaultESO_EENS0_5tupleIJNSA_16discard_iteratorISO_EES6_EEENSQ_IJSG_SG_EEES6_PlJS6_EEE10hipError_tPvRmT3_T4_T5_T6_T7_T9_mT8_P12ihipStream_tbDpT10_ENKUlT_T0_E_clISt17integral_constantIbLb0EES1F_EEDaS1A_S1B_EUlS1A_E_NS1_11comp_targetILNS1_3genE0ELNS1_11target_archE4294967295ELNS1_3gpuE0ELNS1_3repE0EEENS1_30default_config_static_selectorELNS0_4arch9wavefront6targetE0EEEvT1_,@function
_ZN7rocprim17ROCPRIM_400000_NS6detail17trampoline_kernelINS0_14default_configENS1_25partition_config_selectorILNS1_17partition_subalgoE5EiNS0_10empty_typeEbEEZZNS1_14partition_implILS5_5ELb0ES3_mN6thrust23THRUST_200600_302600_NS6detail15normal_iteratorINSA_10device_ptrIiEEEEPS6_NSA_18transform_iteratorINSB_9not_fun_tI7is_trueIiEEENSC_INSD_IbEEEENSA_11use_defaultESO_EENS0_5tupleIJNSA_16discard_iteratorISO_EES6_EEENSQ_IJSG_SG_EEES6_PlJS6_EEE10hipError_tPvRmT3_T4_T5_T6_T7_T9_mT8_P12ihipStream_tbDpT10_ENKUlT_T0_E_clISt17integral_constantIbLb0EES1F_EEDaS1A_S1B_EUlS1A_E_NS1_11comp_targetILNS1_3genE0ELNS1_11target_archE4294967295ELNS1_3gpuE0ELNS1_3repE0EEENS1_30default_config_static_selectorELNS0_4arch9wavefront6targetE0EEEvT1_: ; @_ZN7rocprim17ROCPRIM_400000_NS6detail17trampoline_kernelINS0_14default_configENS1_25partition_config_selectorILNS1_17partition_subalgoE5EiNS0_10empty_typeEbEEZZNS1_14partition_implILS5_5ELb0ES3_mN6thrust23THRUST_200600_302600_NS6detail15normal_iteratorINSA_10device_ptrIiEEEEPS6_NSA_18transform_iteratorINSB_9not_fun_tI7is_trueIiEEENSC_INSD_IbEEEENSA_11use_defaultESO_EENS0_5tupleIJNSA_16discard_iteratorISO_EES6_EEENSQ_IJSG_SG_EEES6_PlJS6_EEE10hipError_tPvRmT3_T4_T5_T6_T7_T9_mT8_P12ihipStream_tbDpT10_ENKUlT_T0_E_clISt17integral_constantIbLb0EES1F_EEDaS1A_S1B_EUlS1A_E_NS1_11comp_targetILNS1_3genE0ELNS1_11target_archE4294967295ELNS1_3gpuE0ELNS1_3repE0EEENS1_30default_config_static_selectorELNS0_4arch9wavefront6targetE0EEEvT1_
; %bb.0:
	.section	.rodata,"a",@progbits
	.p2align	6, 0x0
	.amdhsa_kernel _ZN7rocprim17ROCPRIM_400000_NS6detail17trampoline_kernelINS0_14default_configENS1_25partition_config_selectorILNS1_17partition_subalgoE5EiNS0_10empty_typeEbEEZZNS1_14partition_implILS5_5ELb0ES3_mN6thrust23THRUST_200600_302600_NS6detail15normal_iteratorINSA_10device_ptrIiEEEEPS6_NSA_18transform_iteratorINSB_9not_fun_tI7is_trueIiEEENSC_INSD_IbEEEENSA_11use_defaultESO_EENS0_5tupleIJNSA_16discard_iteratorISO_EES6_EEENSQ_IJSG_SG_EEES6_PlJS6_EEE10hipError_tPvRmT3_T4_T5_T6_T7_T9_mT8_P12ihipStream_tbDpT10_ENKUlT_T0_E_clISt17integral_constantIbLb0EES1F_EEDaS1A_S1B_EUlS1A_E_NS1_11comp_targetILNS1_3genE0ELNS1_11target_archE4294967295ELNS1_3gpuE0ELNS1_3repE0EEENS1_30default_config_static_selectorELNS0_4arch9wavefront6targetE0EEEvT1_
		.amdhsa_group_segment_fixed_size 0
		.amdhsa_private_segment_fixed_size 0
		.amdhsa_kernarg_size 128
		.amdhsa_user_sgpr_count 2
		.amdhsa_user_sgpr_dispatch_ptr 0
		.amdhsa_user_sgpr_queue_ptr 0
		.amdhsa_user_sgpr_kernarg_segment_ptr 1
		.amdhsa_user_sgpr_dispatch_id 0
		.amdhsa_user_sgpr_private_segment_size 0
		.amdhsa_wavefront_size32 1
		.amdhsa_uses_dynamic_stack 0
		.amdhsa_enable_private_segment 0
		.amdhsa_system_sgpr_workgroup_id_x 1
		.amdhsa_system_sgpr_workgroup_id_y 0
		.amdhsa_system_sgpr_workgroup_id_z 0
		.amdhsa_system_sgpr_workgroup_info 0
		.amdhsa_system_vgpr_workitem_id 0
		.amdhsa_next_free_vgpr 1
		.amdhsa_next_free_sgpr 1
		.amdhsa_reserve_vcc 0
		.amdhsa_float_round_mode_32 0
		.amdhsa_float_round_mode_16_64 0
		.amdhsa_float_denorm_mode_32 3
		.amdhsa_float_denorm_mode_16_64 3
		.amdhsa_fp16_overflow 0
		.amdhsa_workgroup_processor_mode 1
		.amdhsa_memory_ordered 1
		.amdhsa_forward_progress 1
		.amdhsa_inst_pref_size 0
		.amdhsa_round_robin_scheduling 0
		.amdhsa_exception_fp_ieee_invalid_op 0
		.amdhsa_exception_fp_denorm_src 0
		.amdhsa_exception_fp_ieee_div_zero 0
		.amdhsa_exception_fp_ieee_overflow 0
		.amdhsa_exception_fp_ieee_underflow 0
		.amdhsa_exception_fp_ieee_inexact 0
		.amdhsa_exception_int_div_zero 0
	.end_amdhsa_kernel
	.section	.text._ZN7rocprim17ROCPRIM_400000_NS6detail17trampoline_kernelINS0_14default_configENS1_25partition_config_selectorILNS1_17partition_subalgoE5EiNS0_10empty_typeEbEEZZNS1_14partition_implILS5_5ELb0ES3_mN6thrust23THRUST_200600_302600_NS6detail15normal_iteratorINSA_10device_ptrIiEEEEPS6_NSA_18transform_iteratorINSB_9not_fun_tI7is_trueIiEEENSC_INSD_IbEEEENSA_11use_defaultESO_EENS0_5tupleIJNSA_16discard_iteratorISO_EES6_EEENSQ_IJSG_SG_EEES6_PlJS6_EEE10hipError_tPvRmT3_T4_T5_T6_T7_T9_mT8_P12ihipStream_tbDpT10_ENKUlT_T0_E_clISt17integral_constantIbLb0EES1F_EEDaS1A_S1B_EUlS1A_E_NS1_11comp_targetILNS1_3genE0ELNS1_11target_archE4294967295ELNS1_3gpuE0ELNS1_3repE0EEENS1_30default_config_static_selectorELNS0_4arch9wavefront6targetE0EEEvT1_,"axG",@progbits,_ZN7rocprim17ROCPRIM_400000_NS6detail17trampoline_kernelINS0_14default_configENS1_25partition_config_selectorILNS1_17partition_subalgoE5EiNS0_10empty_typeEbEEZZNS1_14partition_implILS5_5ELb0ES3_mN6thrust23THRUST_200600_302600_NS6detail15normal_iteratorINSA_10device_ptrIiEEEEPS6_NSA_18transform_iteratorINSB_9not_fun_tI7is_trueIiEEENSC_INSD_IbEEEENSA_11use_defaultESO_EENS0_5tupleIJNSA_16discard_iteratorISO_EES6_EEENSQ_IJSG_SG_EEES6_PlJS6_EEE10hipError_tPvRmT3_T4_T5_T6_T7_T9_mT8_P12ihipStream_tbDpT10_ENKUlT_T0_E_clISt17integral_constantIbLb0EES1F_EEDaS1A_S1B_EUlS1A_E_NS1_11comp_targetILNS1_3genE0ELNS1_11target_archE4294967295ELNS1_3gpuE0ELNS1_3repE0EEENS1_30default_config_static_selectorELNS0_4arch9wavefront6targetE0EEEvT1_,comdat
.Lfunc_end2781:
	.size	_ZN7rocprim17ROCPRIM_400000_NS6detail17trampoline_kernelINS0_14default_configENS1_25partition_config_selectorILNS1_17partition_subalgoE5EiNS0_10empty_typeEbEEZZNS1_14partition_implILS5_5ELb0ES3_mN6thrust23THRUST_200600_302600_NS6detail15normal_iteratorINSA_10device_ptrIiEEEEPS6_NSA_18transform_iteratorINSB_9not_fun_tI7is_trueIiEEENSC_INSD_IbEEEENSA_11use_defaultESO_EENS0_5tupleIJNSA_16discard_iteratorISO_EES6_EEENSQ_IJSG_SG_EEES6_PlJS6_EEE10hipError_tPvRmT3_T4_T5_T6_T7_T9_mT8_P12ihipStream_tbDpT10_ENKUlT_T0_E_clISt17integral_constantIbLb0EES1F_EEDaS1A_S1B_EUlS1A_E_NS1_11comp_targetILNS1_3genE0ELNS1_11target_archE4294967295ELNS1_3gpuE0ELNS1_3repE0EEENS1_30default_config_static_selectorELNS0_4arch9wavefront6targetE0EEEvT1_, .Lfunc_end2781-_ZN7rocprim17ROCPRIM_400000_NS6detail17trampoline_kernelINS0_14default_configENS1_25partition_config_selectorILNS1_17partition_subalgoE5EiNS0_10empty_typeEbEEZZNS1_14partition_implILS5_5ELb0ES3_mN6thrust23THRUST_200600_302600_NS6detail15normal_iteratorINSA_10device_ptrIiEEEEPS6_NSA_18transform_iteratorINSB_9not_fun_tI7is_trueIiEEENSC_INSD_IbEEEENSA_11use_defaultESO_EENS0_5tupleIJNSA_16discard_iteratorISO_EES6_EEENSQ_IJSG_SG_EEES6_PlJS6_EEE10hipError_tPvRmT3_T4_T5_T6_T7_T9_mT8_P12ihipStream_tbDpT10_ENKUlT_T0_E_clISt17integral_constantIbLb0EES1F_EEDaS1A_S1B_EUlS1A_E_NS1_11comp_targetILNS1_3genE0ELNS1_11target_archE4294967295ELNS1_3gpuE0ELNS1_3repE0EEENS1_30default_config_static_selectorELNS0_4arch9wavefront6targetE0EEEvT1_
                                        ; -- End function
	.set _ZN7rocprim17ROCPRIM_400000_NS6detail17trampoline_kernelINS0_14default_configENS1_25partition_config_selectorILNS1_17partition_subalgoE5EiNS0_10empty_typeEbEEZZNS1_14partition_implILS5_5ELb0ES3_mN6thrust23THRUST_200600_302600_NS6detail15normal_iteratorINSA_10device_ptrIiEEEEPS6_NSA_18transform_iteratorINSB_9not_fun_tI7is_trueIiEEENSC_INSD_IbEEEENSA_11use_defaultESO_EENS0_5tupleIJNSA_16discard_iteratorISO_EES6_EEENSQ_IJSG_SG_EEES6_PlJS6_EEE10hipError_tPvRmT3_T4_T5_T6_T7_T9_mT8_P12ihipStream_tbDpT10_ENKUlT_T0_E_clISt17integral_constantIbLb0EES1F_EEDaS1A_S1B_EUlS1A_E_NS1_11comp_targetILNS1_3genE0ELNS1_11target_archE4294967295ELNS1_3gpuE0ELNS1_3repE0EEENS1_30default_config_static_selectorELNS0_4arch9wavefront6targetE0EEEvT1_.num_vgpr, 0
	.set _ZN7rocprim17ROCPRIM_400000_NS6detail17trampoline_kernelINS0_14default_configENS1_25partition_config_selectorILNS1_17partition_subalgoE5EiNS0_10empty_typeEbEEZZNS1_14partition_implILS5_5ELb0ES3_mN6thrust23THRUST_200600_302600_NS6detail15normal_iteratorINSA_10device_ptrIiEEEEPS6_NSA_18transform_iteratorINSB_9not_fun_tI7is_trueIiEEENSC_INSD_IbEEEENSA_11use_defaultESO_EENS0_5tupleIJNSA_16discard_iteratorISO_EES6_EEENSQ_IJSG_SG_EEES6_PlJS6_EEE10hipError_tPvRmT3_T4_T5_T6_T7_T9_mT8_P12ihipStream_tbDpT10_ENKUlT_T0_E_clISt17integral_constantIbLb0EES1F_EEDaS1A_S1B_EUlS1A_E_NS1_11comp_targetILNS1_3genE0ELNS1_11target_archE4294967295ELNS1_3gpuE0ELNS1_3repE0EEENS1_30default_config_static_selectorELNS0_4arch9wavefront6targetE0EEEvT1_.num_agpr, 0
	.set _ZN7rocprim17ROCPRIM_400000_NS6detail17trampoline_kernelINS0_14default_configENS1_25partition_config_selectorILNS1_17partition_subalgoE5EiNS0_10empty_typeEbEEZZNS1_14partition_implILS5_5ELb0ES3_mN6thrust23THRUST_200600_302600_NS6detail15normal_iteratorINSA_10device_ptrIiEEEEPS6_NSA_18transform_iteratorINSB_9not_fun_tI7is_trueIiEEENSC_INSD_IbEEEENSA_11use_defaultESO_EENS0_5tupleIJNSA_16discard_iteratorISO_EES6_EEENSQ_IJSG_SG_EEES6_PlJS6_EEE10hipError_tPvRmT3_T4_T5_T6_T7_T9_mT8_P12ihipStream_tbDpT10_ENKUlT_T0_E_clISt17integral_constantIbLb0EES1F_EEDaS1A_S1B_EUlS1A_E_NS1_11comp_targetILNS1_3genE0ELNS1_11target_archE4294967295ELNS1_3gpuE0ELNS1_3repE0EEENS1_30default_config_static_selectorELNS0_4arch9wavefront6targetE0EEEvT1_.numbered_sgpr, 0
	.set _ZN7rocprim17ROCPRIM_400000_NS6detail17trampoline_kernelINS0_14default_configENS1_25partition_config_selectorILNS1_17partition_subalgoE5EiNS0_10empty_typeEbEEZZNS1_14partition_implILS5_5ELb0ES3_mN6thrust23THRUST_200600_302600_NS6detail15normal_iteratorINSA_10device_ptrIiEEEEPS6_NSA_18transform_iteratorINSB_9not_fun_tI7is_trueIiEEENSC_INSD_IbEEEENSA_11use_defaultESO_EENS0_5tupleIJNSA_16discard_iteratorISO_EES6_EEENSQ_IJSG_SG_EEES6_PlJS6_EEE10hipError_tPvRmT3_T4_T5_T6_T7_T9_mT8_P12ihipStream_tbDpT10_ENKUlT_T0_E_clISt17integral_constantIbLb0EES1F_EEDaS1A_S1B_EUlS1A_E_NS1_11comp_targetILNS1_3genE0ELNS1_11target_archE4294967295ELNS1_3gpuE0ELNS1_3repE0EEENS1_30default_config_static_selectorELNS0_4arch9wavefront6targetE0EEEvT1_.num_named_barrier, 0
	.set _ZN7rocprim17ROCPRIM_400000_NS6detail17trampoline_kernelINS0_14default_configENS1_25partition_config_selectorILNS1_17partition_subalgoE5EiNS0_10empty_typeEbEEZZNS1_14partition_implILS5_5ELb0ES3_mN6thrust23THRUST_200600_302600_NS6detail15normal_iteratorINSA_10device_ptrIiEEEEPS6_NSA_18transform_iteratorINSB_9not_fun_tI7is_trueIiEEENSC_INSD_IbEEEENSA_11use_defaultESO_EENS0_5tupleIJNSA_16discard_iteratorISO_EES6_EEENSQ_IJSG_SG_EEES6_PlJS6_EEE10hipError_tPvRmT3_T4_T5_T6_T7_T9_mT8_P12ihipStream_tbDpT10_ENKUlT_T0_E_clISt17integral_constantIbLb0EES1F_EEDaS1A_S1B_EUlS1A_E_NS1_11comp_targetILNS1_3genE0ELNS1_11target_archE4294967295ELNS1_3gpuE0ELNS1_3repE0EEENS1_30default_config_static_selectorELNS0_4arch9wavefront6targetE0EEEvT1_.private_seg_size, 0
	.set _ZN7rocprim17ROCPRIM_400000_NS6detail17trampoline_kernelINS0_14default_configENS1_25partition_config_selectorILNS1_17partition_subalgoE5EiNS0_10empty_typeEbEEZZNS1_14partition_implILS5_5ELb0ES3_mN6thrust23THRUST_200600_302600_NS6detail15normal_iteratorINSA_10device_ptrIiEEEEPS6_NSA_18transform_iteratorINSB_9not_fun_tI7is_trueIiEEENSC_INSD_IbEEEENSA_11use_defaultESO_EENS0_5tupleIJNSA_16discard_iteratorISO_EES6_EEENSQ_IJSG_SG_EEES6_PlJS6_EEE10hipError_tPvRmT3_T4_T5_T6_T7_T9_mT8_P12ihipStream_tbDpT10_ENKUlT_T0_E_clISt17integral_constantIbLb0EES1F_EEDaS1A_S1B_EUlS1A_E_NS1_11comp_targetILNS1_3genE0ELNS1_11target_archE4294967295ELNS1_3gpuE0ELNS1_3repE0EEENS1_30default_config_static_selectorELNS0_4arch9wavefront6targetE0EEEvT1_.uses_vcc, 0
	.set _ZN7rocprim17ROCPRIM_400000_NS6detail17trampoline_kernelINS0_14default_configENS1_25partition_config_selectorILNS1_17partition_subalgoE5EiNS0_10empty_typeEbEEZZNS1_14partition_implILS5_5ELb0ES3_mN6thrust23THRUST_200600_302600_NS6detail15normal_iteratorINSA_10device_ptrIiEEEEPS6_NSA_18transform_iteratorINSB_9not_fun_tI7is_trueIiEEENSC_INSD_IbEEEENSA_11use_defaultESO_EENS0_5tupleIJNSA_16discard_iteratorISO_EES6_EEENSQ_IJSG_SG_EEES6_PlJS6_EEE10hipError_tPvRmT3_T4_T5_T6_T7_T9_mT8_P12ihipStream_tbDpT10_ENKUlT_T0_E_clISt17integral_constantIbLb0EES1F_EEDaS1A_S1B_EUlS1A_E_NS1_11comp_targetILNS1_3genE0ELNS1_11target_archE4294967295ELNS1_3gpuE0ELNS1_3repE0EEENS1_30default_config_static_selectorELNS0_4arch9wavefront6targetE0EEEvT1_.uses_flat_scratch, 0
	.set _ZN7rocprim17ROCPRIM_400000_NS6detail17trampoline_kernelINS0_14default_configENS1_25partition_config_selectorILNS1_17partition_subalgoE5EiNS0_10empty_typeEbEEZZNS1_14partition_implILS5_5ELb0ES3_mN6thrust23THRUST_200600_302600_NS6detail15normal_iteratorINSA_10device_ptrIiEEEEPS6_NSA_18transform_iteratorINSB_9not_fun_tI7is_trueIiEEENSC_INSD_IbEEEENSA_11use_defaultESO_EENS0_5tupleIJNSA_16discard_iteratorISO_EES6_EEENSQ_IJSG_SG_EEES6_PlJS6_EEE10hipError_tPvRmT3_T4_T5_T6_T7_T9_mT8_P12ihipStream_tbDpT10_ENKUlT_T0_E_clISt17integral_constantIbLb0EES1F_EEDaS1A_S1B_EUlS1A_E_NS1_11comp_targetILNS1_3genE0ELNS1_11target_archE4294967295ELNS1_3gpuE0ELNS1_3repE0EEENS1_30default_config_static_selectorELNS0_4arch9wavefront6targetE0EEEvT1_.has_dyn_sized_stack, 0
	.set _ZN7rocprim17ROCPRIM_400000_NS6detail17trampoline_kernelINS0_14default_configENS1_25partition_config_selectorILNS1_17partition_subalgoE5EiNS0_10empty_typeEbEEZZNS1_14partition_implILS5_5ELb0ES3_mN6thrust23THRUST_200600_302600_NS6detail15normal_iteratorINSA_10device_ptrIiEEEEPS6_NSA_18transform_iteratorINSB_9not_fun_tI7is_trueIiEEENSC_INSD_IbEEEENSA_11use_defaultESO_EENS0_5tupleIJNSA_16discard_iteratorISO_EES6_EEENSQ_IJSG_SG_EEES6_PlJS6_EEE10hipError_tPvRmT3_T4_T5_T6_T7_T9_mT8_P12ihipStream_tbDpT10_ENKUlT_T0_E_clISt17integral_constantIbLb0EES1F_EEDaS1A_S1B_EUlS1A_E_NS1_11comp_targetILNS1_3genE0ELNS1_11target_archE4294967295ELNS1_3gpuE0ELNS1_3repE0EEENS1_30default_config_static_selectorELNS0_4arch9wavefront6targetE0EEEvT1_.has_recursion, 0
	.set _ZN7rocprim17ROCPRIM_400000_NS6detail17trampoline_kernelINS0_14default_configENS1_25partition_config_selectorILNS1_17partition_subalgoE5EiNS0_10empty_typeEbEEZZNS1_14partition_implILS5_5ELb0ES3_mN6thrust23THRUST_200600_302600_NS6detail15normal_iteratorINSA_10device_ptrIiEEEEPS6_NSA_18transform_iteratorINSB_9not_fun_tI7is_trueIiEEENSC_INSD_IbEEEENSA_11use_defaultESO_EENS0_5tupleIJNSA_16discard_iteratorISO_EES6_EEENSQ_IJSG_SG_EEES6_PlJS6_EEE10hipError_tPvRmT3_T4_T5_T6_T7_T9_mT8_P12ihipStream_tbDpT10_ENKUlT_T0_E_clISt17integral_constantIbLb0EES1F_EEDaS1A_S1B_EUlS1A_E_NS1_11comp_targetILNS1_3genE0ELNS1_11target_archE4294967295ELNS1_3gpuE0ELNS1_3repE0EEENS1_30default_config_static_selectorELNS0_4arch9wavefront6targetE0EEEvT1_.has_indirect_call, 0
	.section	.AMDGPU.csdata,"",@progbits
; Kernel info:
; codeLenInByte = 0
; TotalNumSgprs: 0
; NumVgprs: 0
; ScratchSize: 0
; MemoryBound: 0
; FloatMode: 240
; IeeeMode: 1
; LDSByteSize: 0 bytes/workgroup (compile time only)
; SGPRBlocks: 0
; VGPRBlocks: 0
; NumSGPRsForWavesPerEU: 1
; NumVGPRsForWavesPerEU: 1
; Occupancy: 16
; WaveLimiterHint : 0
; COMPUTE_PGM_RSRC2:SCRATCH_EN: 0
; COMPUTE_PGM_RSRC2:USER_SGPR: 2
; COMPUTE_PGM_RSRC2:TRAP_HANDLER: 0
; COMPUTE_PGM_RSRC2:TGID_X_EN: 1
; COMPUTE_PGM_RSRC2:TGID_Y_EN: 0
; COMPUTE_PGM_RSRC2:TGID_Z_EN: 0
; COMPUTE_PGM_RSRC2:TIDIG_COMP_CNT: 0
	.section	.text._ZN7rocprim17ROCPRIM_400000_NS6detail17trampoline_kernelINS0_14default_configENS1_25partition_config_selectorILNS1_17partition_subalgoE5EiNS0_10empty_typeEbEEZZNS1_14partition_implILS5_5ELb0ES3_mN6thrust23THRUST_200600_302600_NS6detail15normal_iteratorINSA_10device_ptrIiEEEEPS6_NSA_18transform_iteratorINSB_9not_fun_tI7is_trueIiEEENSC_INSD_IbEEEENSA_11use_defaultESO_EENS0_5tupleIJNSA_16discard_iteratorISO_EES6_EEENSQ_IJSG_SG_EEES6_PlJS6_EEE10hipError_tPvRmT3_T4_T5_T6_T7_T9_mT8_P12ihipStream_tbDpT10_ENKUlT_T0_E_clISt17integral_constantIbLb0EES1F_EEDaS1A_S1B_EUlS1A_E_NS1_11comp_targetILNS1_3genE5ELNS1_11target_archE942ELNS1_3gpuE9ELNS1_3repE0EEENS1_30default_config_static_selectorELNS0_4arch9wavefront6targetE0EEEvT1_,"axG",@progbits,_ZN7rocprim17ROCPRIM_400000_NS6detail17trampoline_kernelINS0_14default_configENS1_25partition_config_selectorILNS1_17partition_subalgoE5EiNS0_10empty_typeEbEEZZNS1_14partition_implILS5_5ELb0ES3_mN6thrust23THRUST_200600_302600_NS6detail15normal_iteratorINSA_10device_ptrIiEEEEPS6_NSA_18transform_iteratorINSB_9not_fun_tI7is_trueIiEEENSC_INSD_IbEEEENSA_11use_defaultESO_EENS0_5tupleIJNSA_16discard_iteratorISO_EES6_EEENSQ_IJSG_SG_EEES6_PlJS6_EEE10hipError_tPvRmT3_T4_T5_T6_T7_T9_mT8_P12ihipStream_tbDpT10_ENKUlT_T0_E_clISt17integral_constantIbLb0EES1F_EEDaS1A_S1B_EUlS1A_E_NS1_11comp_targetILNS1_3genE5ELNS1_11target_archE942ELNS1_3gpuE9ELNS1_3repE0EEENS1_30default_config_static_selectorELNS0_4arch9wavefront6targetE0EEEvT1_,comdat
	.protected	_ZN7rocprim17ROCPRIM_400000_NS6detail17trampoline_kernelINS0_14default_configENS1_25partition_config_selectorILNS1_17partition_subalgoE5EiNS0_10empty_typeEbEEZZNS1_14partition_implILS5_5ELb0ES3_mN6thrust23THRUST_200600_302600_NS6detail15normal_iteratorINSA_10device_ptrIiEEEEPS6_NSA_18transform_iteratorINSB_9not_fun_tI7is_trueIiEEENSC_INSD_IbEEEENSA_11use_defaultESO_EENS0_5tupleIJNSA_16discard_iteratorISO_EES6_EEENSQ_IJSG_SG_EEES6_PlJS6_EEE10hipError_tPvRmT3_T4_T5_T6_T7_T9_mT8_P12ihipStream_tbDpT10_ENKUlT_T0_E_clISt17integral_constantIbLb0EES1F_EEDaS1A_S1B_EUlS1A_E_NS1_11comp_targetILNS1_3genE5ELNS1_11target_archE942ELNS1_3gpuE9ELNS1_3repE0EEENS1_30default_config_static_selectorELNS0_4arch9wavefront6targetE0EEEvT1_ ; -- Begin function _ZN7rocprim17ROCPRIM_400000_NS6detail17trampoline_kernelINS0_14default_configENS1_25partition_config_selectorILNS1_17partition_subalgoE5EiNS0_10empty_typeEbEEZZNS1_14partition_implILS5_5ELb0ES3_mN6thrust23THRUST_200600_302600_NS6detail15normal_iteratorINSA_10device_ptrIiEEEEPS6_NSA_18transform_iteratorINSB_9not_fun_tI7is_trueIiEEENSC_INSD_IbEEEENSA_11use_defaultESO_EENS0_5tupleIJNSA_16discard_iteratorISO_EES6_EEENSQ_IJSG_SG_EEES6_PlJS6_EEE10hipError_tPvRmT3_T4_T5_T6_T7_T9_mT8_P12ihipStream_tbDpT10_ENKUlT_T0_E_clISt17integral_constantIbLb0EES1F_EEDaS1A_S1B_EUlS1A_E_NS1_11comp_targetILNS1_3genE5ELNS1_11target_archE942ELNS1_3gpuE9ELNS1_3repE0EEENS1_30default_config_static_selectorELNS0_4arch9wavefront6targetE0EEEvT1_
	.globl	_ZN7rocprim17ROCPRIM_400000_NS6detail17trampoline_kernelINS0_14default_configENS1_25partition_config_selectorILNS1_17partition_subalgoE5EiNS0_10empty_typeEbEEZZNS1_14partition_implILS5_5ELb0ES3_mN6thrust23THRUST_200600_302600_NS6detail15normal_iteratorINSA_10device_ptrIiEEEEPS6_NSA_18transform_iteratorINSB_9not_fun_tI7is_trueIiEEENSC_INSD_IbEEEENSA_11use_defaultESO_EENS0_5tupleIJNSA_16discard_iteratorISO_EES6_EEENSQ_IJSG_SG_EEES6_PlJS6_EEE10hipError_tPvRmT3_T4_T5_T6_T7_T9_mT8_P12ihipStream_tbDpT10_ENKUlT_T0_E_clISt17integral_constantIbLb0EES1F_EEDaS1A_S1B_EUlS1A_E_NS1_11comp_targetILNS1_3genE5ELNS1_11target_archE942ELNS1_3gpuE9ELNS1_3repE0EEENS1_30default_config_static_selectorELNS0_4arch9wavefront6targetE0EEEvT1_
	.p2align	8
	.type	_ZN7rocprim17ROCPRIM_400000_NS6detail17trampoline_kernelINS0_14default_configENS1_25partition_config_selectorILNS1_17partition_subalgoE5EiNS0_10empty_typeEbEEZZNS1_14partition_implILS5_5ELb0ES3_mN6thrust23THRUST_200600_302600_NS6detail15normal_iteratorINSA_10device_ptrIiEEEEPS6_NSA_18transform_iteratorINSB_9not_fun_tI7is_trueIiEEENSC_INSD_IbEEEENSA_11use_defaultESO_EENS0_5tupleIJNSA_16discard_iteratorISO_EES6_EEENSQ_IJSG_SG_EEES6_PlJS6_EEE10hipError_tPvRmT3_T4_T5_T6_T7_T9_mT8_P12ihipStream_tbDpT10_ENKUlT_T0_E_clISt17integral_constantIbLb0EES1F_EEDaS1A_S1B_EUlS1A_E_NS1_11comp_targetILNS1_3genE5ELNS1_11target_archE942ELNS1_3gpuE9ELNS1_3repE0EEENS1_30default_config_static_selectorELNS0_4arch9wavefront6targetE0EEEvT1_,@function
_ZN7rocprim17ROCPRIM_400000_NS6detail17trampoline_kernelINS0_14default_configENS1_25partition_config_selectorILNS1_17partition_subalgoE5EiNS0_10empty_typeEbEEZZNS1_14partition_implILS5_5ELb0ES3_mN6thrust23THRUST_200600_302600_NS6detail15normal_iteratorINSA_10device_ptrIiEEEEPS6_NSA_18transform_iteratorINSB_9not_fun_tI7is_trueIiEEENSC_INSD_IbEEEENSA_11use_defaultESO_EENS0_5tupleIJNSA_16discard_iteratorISO_EES6_EEENSQ_IJSG_SG_EEES6_PlJS6_EEE10hipError_tPvRmT3_T4_T5_T6_T7_T9_mT8_P12ihipStream_tbDpT10_ENKUlT_T0_E_clISt17integral_constantIbLb0EES1F_EEDaS1A_S1B_EUlS1A_E_NS1_11comp_targetILNS1_3genE5ELNS1_11target_archE942ELNS1_3gpuE9ELNS1_3repE0EEENS1_30default_config_static_selectorELNS0_4arch9wavefront6targetE0EEEvT1_: ; @_ZN7rocprim17ROCPRIM_400000_NS6detail17trampoline_kernelINS0_14default_configENS1_25partition_config_selectorILNS1_17partition_subalgoE5EiNS0_10empty_typeEbEEZZNS1_14partition_implILS5_5ELb0ES3_mN6thrust23THRUST_200600_302600_NS6detail15normal_iteratorINSA_10device_ptrIiEEEEPS6_NSA_18transform_iteratorINSB_9not_fun_tI7is_trueIiEEENSC_INSD_IbEEEENSA_11use_defaultESO_EENS0_5tupleIJNSA_16discard_iteratorISO_EES6_EEENSQ_IJSG_SG_EEES6_PlJS6_EEE10hipError_tPvRmT3_T4_T5_T6_T7_T9_mT8_P12ihipStream_tbDpT10_ENKUlT_T0_E_clISt17integral_constantIbLb0EES1F_EEDaS1A_S1B_EUlS1A_E_NS1_11comp_targetILNS1_3genE5ELNS1_11target_archE942ELNS1_3gpuE9ELNS1_3repE0EEENS1_30default_config_static_selectorELNS0_4arch9wavefront6targetE0EEEvT1_
; %bb.0:
	.section	.rodata,"a",@progbits
	.p2align	6, 0x0
	.amdhsa_kernel _ZN7rocprim17ROCPRIM_400000_NS6detail17trampoline_kernelINS0_14default_configENS1_25partition_config_selectorILNS1_17partition_subalgoE5EiNS0_10empty_typeEbEEZZNS1_14partition_implILS5_5ELb0ES3_mN6thrust23THRUST_200600_302600_NS6detail15normal_iteratorINSA_10device_ptrIiEEEEPS6_NSA_18transform_iteratorINSB_9not_fun_tI7is_trueIiEEENSC_INSD_IbEEEENSA_11use_defaultESO_EENS0_5tupleIJNSA_16discard_iteratorISO_EES6_EEENSQ_IJSG_SG_EEES6_PlJS6_EEE10hipError_tPvRmT3_T4_T5_T6_T7_T9_mT8_P12ihipStream_tbDpT10_ENKUlT_T0_E_clISt17integral_constantIbLb0EES1F_EEDaS1A_S1B_EUlS1A_E_NS1_11comp_targetILNS1_3genE5ELNS1_11target_archE942ELNS1_3gpuE9ELNS1_3repE0EEENS1_30default_config_static_selectorELNS0_4arch9wavefront6targetE0EEEvT1_
		.amdhsa_group_segment_fixed_size 0
		.amdhsa_private_segment_fixed_size 0
		.amdhsa_kernarg_size 128
		.amdhsa_user_sgpr_count 2
		.amdhsa_user_sgpr_dispatch_ptr 0
		.amdhsa_user_sgpr_queue_ptr 0
		.amdhsa_user_sgpr_kernarg_segment_ptr 1
		.amdhsa_user_sgpr_dispatch_id 0
		.amdhsa_user_sgpr_private_segment_size 0
		.amdhsa_wavefront_size32 1
		.amdhsa_uses_dynamic_stack 0
		.amdhsa_enable_private_segment 0
		.amdhsa_system_sgpr_workgroup_id_x 1
		.amdhsa_system_sgpr_workgroup_id_y 0
		.amdhsa_system_sgpr_workgroup_id_z 0
		.amdhsa_system_sgpr_workgroup_info 0
		.amdhsa_system_vgpr_workitem_id 0
		.amdhsa_next_free_vgpr 1
		.amdhsa_next_free_sgpr 1
		.amdhsa_reserve_vcc 0
		.amdhsa_float_round_mode_32 0
		.amdhsa_float_round_mode_16_64 0
		.amdhsa_float_denorm_mode_32 3
		.amdhsa_float_denorm_mode_16_64 3
		.amdhsa_fp16_overflow 0
		.amdhsa_workgroup_processor_mode 1
		.amdhsa_memory_ordered 1
		.amdhsa_forward_progress 1
		.amdhsa_inst_pref_size 0
		.amdhsa_round_robin_scheduling 0
		.amdhsa_exception_fp_ieee_invalid_op 0
		.amdhsa_exception_fp_denorm_src 0
		.amdhsa_exception_fp_ieee_div_zero 0
		.amdhsa_exception_fp_ieee_overflow 0
		.amdhsa_exception_fp_ieee_underflow 0
		.amdhsa_exception_fp_ieee_inexact 0
		.amdhsa_exception_int_div_zero 0
	.end_amdhsa_kernel
	.section	.text._ZN7rocprim17ROCPRIM_400000_NS6detail17trampoline_kernelINS0_14default_configENS1_25partition_config_selectorILNS1_17partition_subalgoE5EiNS0_10empty_typeEbEEZZNS1_14partition_implILS5_5ELb0ES3_mN6thrust23THRUST_200600_302600_NS6detail15normal_iteratorINSA_10device_ptrIiEEEEPS6_NSA_18transform_iteratorINSB_9not_fun_tI7is_trueIiEEENSC_INSD_IbEEEENSA_11use_defaultESO_EENS0_5tupleIJNSA_16discard_iteratorISO_EES6_EEENSQ_IJSG_SG_EEES6_PlJS6_EEE10hipError_tPvRmT3_T4_T5_T6_T7_T9_mT8_P12ihipStream_tbDpT10_ENKUlT_T0_E_clISt17integral_constantIbLb0EES1F_EEDaS1A_S1B_EUlS1A_E_NS1_11comp_targetILNS1_3genE5ELNS1_11target_archE942ELNS1_3gpuE9ELNS1_3repE0EEENS1_30default_config_static_selectorELNS0_4arch9wavefront6targetE0EEEvT1_,"axG",@progbits,_ZN7rocprim17ROCPRIM_400000_NS6detail17trampoline_kernelINS0_14default_configENS1_25partition_config_selectorILNS1_17partition_subalgoE5EiNS0_10empty_typeEbEEZZNS1_14partition_implILS5_5ELb0ES3_mN6thrust23THRUST_200600_302600_NS6detail15normal_iteratorINSA_10device_ptrIiEEEEPS6_NSA_18transform_iteratorINSB_9not_fun_tI7is_trueIiEEENSC_INSD_IbEEEENSA_11use_defaultESO_EENS0_5tupleIJNSA_16discard_iteratorISO_EES6_EEENSQ_IJSG_SG_EEES6_PlJS6_EEE10hipError_tPvRmT3_T4_T5_T6_T7_T9_mT8_P12ihipStream_tbDpT10_ENKUlT_T0_E_clISt17integral_constantIbLb0EES1F_EEDaS1A_S1B_EUlS1A_E_NS1_11comp_targetILNS1_3genE5ELNS1_11target_archE942ELNS1_3gpuE9ELNS1_3repE0EEENS1_30default_config_static_selectorELNS0_4arch9wavefront6targetE0EEEvT1_,comdat
.Lfunc_end2782:
	.size	_ZN7rocprim17ROCPRIM_400000_NS6detail17trampoline_kernelINS0_14default_configENS1_25partition_config_selectorILNS1_17partition_subalgoE5EiNS0_10empty_typeEbEEZZNS1_14partition_implILS5_5ELb0ES3_mN6thrust23THRUST_200600_302600_NS6detail15normal_iteratorINSA_10device_ptrIiEEEEPS6_NSA_18transform_iteratorINSB_9not_fun_tI7is_trueIiEEENSC_INSD_IbEEEENSA_11use_defaultESO_EENS0_5tupleIJNSA_16discard_iteratorISO_EES6_EEENSQ_IJSG_SG_EEES6_PlJS6_EEE10hipError_tPvRmT3_T4_T5_T6_T7_T9_mT8_P12ihipStream_tbDpT10_ENKUlT_T0_E_clISt17integral_constantIbLb0EES1F_EEDaS1A_S1B_EUlS1A_E_NS1_11comp_targetILNS1_3genE5ELNS1_11target_archE942ELNS1_3gpuE9ELNS1_3repE0EEENS1_30default_config_static_selectorELNS0_4arch9wavefront6targetE0EEEvT1_, .Lfunc_end2782-_ZN7rocprim17ROCPRIM_400000_NS6detail17trampoline_kernelINS0_14default_configENS1_25partition_config_selectorILNS1_17partition_subalgoE5EiNS0_10empty_typeEbEEZZNS1_14partition_implILS5_5ELb0ES3_mN6thrust23THRUST_200600_302600_NS6detail15normal_iteratorINSA_10device_ptrIiEEEEPS6_NSA_18transform_iteratorINSB_9not_fun_tI7is_trueIiEEENSC_INSD_IbEEEENSA_11use_defaultESO_EENS0_5tupleIJNSA_16discard_iteratorISO_EES6_EEENSQ_IJSG_SG_EEES6_PlJS6_EEE10hipError_tPvRmT3_T4_T5_T6_T7_T9_mT8_P12ihipStream_tbDpT10_ENKUlT_T0_E_clISt17integral_constantIbLb0EES1F_EEDaS1A_S1B_EUlS1A_E_NS1_11comp_targetILNS1_3genE5ELNS1_11target_archE942ELNS1_3gpuE9ELNS1_3repE0EEENS1_30default_config_static_selectorELNS0_4arch9wavefront6targetE0EEEvT1_
                                        ; -- End function
	.set _ZN7rocprim17ROCPRIM_400000_NS6detail17trampoline_kernelINS0_14default_configENS1_25partition_config_selectorILNS1_17partition_subalgoE5EiNS0_10empty_typeEbEEZZNS1_14partition_implILS5_5ELb0ES3_mN6thrust23THRUST_200600_302600_NS6detail15normal_iteratorINSA_10device_ptrIiEEEEPS6_NSA_18transform_iteratorINSB_9not_fun_tI7is_trueIiEEENSC_INSD_IbEEEENSA_11use_defaultESO_EENS0_5tupleIJNSA_16discard_iteratorISO_EES6_EEENSQ_IJSG_SG_EEES6_PlJS6_EEE10hipError_tPvRmT3_T4_T5_T6_T7_T9_mT8_P12ihipStream_tbDpT10_ENKUlT_T0_E_clISt17integral_constantIbLb0EES1F_EEDaS1A_S1B_EUlS1A_E_NS1_11comp_targetILNS1_3genE5ELNS1_11target_archE942ELNS1_3gpuE9ELNS1_3repE0EEENS1_30default_config_static_selectorELNS0_4arch9wavefront6targetE0EEEvT1_.num_vgpr, 0
	.set _ZN7rocprim17ROCPRIM_400000_NS6detail17trampoline_kernelINS0_14default_configENS1_25partition_config_selectorILNS1_17partition_subalgoE5EiNS0_10empty_typeEbEEZZNS1_14partition_implILS5_5ELb0ES3_mN6thrust23THRUST_200600_302600_NS6detail15normal_iteratorINSA_10device_ptrIiEEEEPS6_NSA_18transform_iteratorINSB_9not_fun_tI7is_trueIiEEENSC_INSD_IbEEEENSA_11use_defaultESO_EENS0_5tupleIJNSA_16discard_iteratorISO_EES6_EEENSQ_IJSG_SG_EEES6_PlJS6_EEE10hipError_tPvRmT3_T4_T5_T6_T7_T9_mT8_P12ihipStream_tbDpT10_ENKUlT_T0_E_clISt17integral_constantIbLb0EES1F_EEDaS1A_S1B_EUlS1A_E_NS1_11comp_targetILNS1_3genE5ELNS1_11target_archE942ELNS1_3gpuE9ELNS1_3repE0EEENS1_30default_config_static_selectorELNS0_4arch9wavefront6targetE0EEEvT1_.num_agpr, 0
	.set _ZN7rocprim17ROCPRIM_400000_NS6detail17trampoline_kernelINS0_14default_configENS1_25partition_config_selectorILNS1_17partition_subalgoE5EiNS0_10empty_typeEbEEZZNS1_14partition_implILS5_5ELb0ES3_mN6thrust23THRUST_200600_302600_NS6detail15normal_iteratorINSA_10device_ptrIiEEEEPS6_NSA_18transform_iteratorINSB_9not_fun_tI7is_trueIiEEENSC_INSD_IbEEEENSA_11use_defaultESO_EENS0_5tupleIJNSA_16discard_iteratorISO_EES6_EEENSQ_IJSG_SG_EEES6_PlJS6_EEE10hipError_tPvRmT3_T4_T5_T6_T7_T9_mT8_P12ihipStream_tbDpT10_ENKUlT_T0_E_clISt17integral_constantIbLb0EES1F_EEDaS1A_S1B_EUlS1A_E_NS1_11comp_targetILNS1_3genE5ELNS1_11target_archE942ELNS1_3gpuE9ELNS1_3repE0EEENS1_30default_config_static_selectorELNS0_4arch9wavefront6targetE0EEEvT1_.numbered_sgpr, 0
	.set _ZN7rocprim17ROCPRIM_400000_NS6detail17trampoline_kernelINS0_14default_configENS1_25partition_config_selectorILNS1_17partition_subalgoE5EiNS0_10empty_typeEbEEZZNS1_14partition_implILS5_5ELb0ES3_mN6thrust23THRUST_200600_302600_NS6detail15normal_iteratorINSA_10device_ptrIiEEEEPS6_NSA_18transform_iteratorINSB_9not_fun_tI7is_trueIiEEENSC_INSD_IbEEEENSA_11use_defaultESO_EENS0_5tupleIJNSA_16discard_iteratorISO_EES6_EEENSQ_IJSG_SG_EEES6_PlJS6_EEE10hipError_tPvRmT3_T4_T5_T6_T7_T9_mT8_P12ihipStream_tbDpT10_ENKUlT_T0_E_clISt17integral_constantIbLb0EES1F_EEDaS1A_S1B_EUlS1A_E_NS1_11comp_targetILNS1_3genE5ELNS1_11target_archE942ELNS1_3gpuE9ELNS1_3repE0EEENS1_30default_config_static_selectorELNS0_4arch9wavefront6targetE0EEEvT1_.num_named_barrier, 0
	.set _ZN7rocprim17ROCPRIM_400000_NS6detail17trampoline_kernelINS0_14default_configENS1_25partition_config_selectorILNS1_17partition_subalgoE5EiNS0_10empty_typeEbEEZZNS1_14partition_implILS5_5ELb0ES3_mN6thrust23THRUST_200600_302600_NS6detail15normal_iteratorINSA_10device_ptrIiEEEEPS6_NSA_18transform_iteratorINSB_9not_fun_tI7is_trueIiEEENSC_INSD_IbEEEENSA_11use_defaultESO_EENS0_5tupleIJNSA_16discard_iteratorISO_EES6_EEENSQ_IJSG_SG_EEES6_PlJS6_EEE10hipError_tPvRmT3_T4_T5_T6_T7_T9_mT8_P12ihipStream_tbDpT10_ENKUlT_T0_E_clISt17integral_constantIbLb0EES1F_EEDaS1A_S1B_EUlS1A_E_NS1_11comp_targetILNS1_3genE5ELNS1_11target_archE942ELNS1_3gpuE9ELNS1_3repE0EEENS1_30default_config_static_selectorELNS0_4arch9wavefront6targetE0EEEvT1_.private_seg_size, 0
	.set _ZN7rocprim17ROCPRIM_400000_NS6detail17trampoline_kernelINS0_14default_configENS1_25partition_config_selectorILNS1_17partition_subalgoE5EiNS0_10empty_typeEbEEZZNS1_14partition_implILS5_5ELb0ES3_mN6thrust23THRUST_200600_302600_NS6detail15normal_iteratorINSA_10device_ptrIiEEEEPS6_NSA_18transform_iteratorINSB_9not_fun_tI7is_trueIiEEENSC_INSD_IbEEEENSA_11use_defaultESO_EENS0_5tupleIJNSA_16discard_iteratorISO_EES6_EEENSQ_IJSG_SG_EEES6_PlJS6_EEE10hipError_tPvRmT3_T4_T5_T6_T7_T9_mT8_P12ihipStream_tbDpT10_ENKUlT_T0_E_clISt17integral_constantIbLb0EES1F_EEDaS1A_S1B_EUlS1A_E_NS1_11comp_targetILNS1_3genE5ELNS1_11target_archE942ELNS1_3gpuE9ELNS1_3repE0EEENS1_30default_config_static_selectorELNS0_4arch9wavefront6targetE0EEEvT1_.uses_vcc, 0
	.set _ZN7rocprim17ROCPRIM_400000_NS6detail17trampoline_kernelINS0_14default_configENS1_25partition_config_selectorILNS1_17partition_subalgoE5EiNS0_10empty_typeEbEEZZNS1_14partition_implILS5_5ELb0ES3_mN6thrust23THRUST_200600_302600_NS6detail15normal_iteratorINSA_10device_ptrIiEEEEPS6_NSA_18transform_iteratorINSB_9not_fun_tI7is_trueIiEEENSC_INSD_IbEEEENSA_11use_defaultESO_EENS0_5tupleIJNSA_16discard_iteratorISO_EES6_EEENSQ_IJSG_SG_EEES6_PlJS6_EEE10hipError_tPvRmT3_T4_T5_T6_T7_T9_mT8_P12ihipStream_tbDpT10_ENKUlT_T0_E_clISt17integral_constantIbLb0EES1F_EEDaS1A_S1B_EUlS1A_E_NS1_11comp_targetILNS1_3genE5ELNS1_11target_archE942ELNS1_3gpuE9ELNS1_3repE0EEENS1_30default_config_static_selectorELNS0_4arch9wavefront6targetE0EEEvT1_.uses_flat_scratch, 0
	.set _ZN7rocprim17ROCPRIM_400000_NS6detail17trampoline_kernelINS0_14default_configENS1_25partition_config_selectorILNS1_17partition_subalgoE5EiNS0_10empty_typeEbEEZZNS1_14partition_implILS5_5ELb0ES3_mN6thrust23THRUST_200600_302600_NS6detail15normal_iteratorINSA_10device_ptrIiEEEEPS6_NSA_18transform_iteratorINSB_9not_fun_tI7is_trueIiEEENSC_INSD_IbEEEENSA_11use_defaultESO_EENS0_5tupleIJNSA_16discard_iteratorISO_EES6_EEENSQ_IJSG_SG_EEES6_PlJS6_EEE10hipError_tPvRmT3_T4_T5_T6_T7_T9_mT8_P12ihipStream_tbDpT10_ENKUlT_T0_E_clISt17integral_constantIbLb0EES1F_EEDaS1A_S1B_EUlS1A_E_NS1_11comp_targetILNS1_3genE5ELNS1_11target_archE942ELNS1_3gpuE9ELNS1_3repE0EEENS1_30default_config_static_selectorELNS0_4arch9wavefront6targetE0EEEvT1_.has_dyn_sized_stack, 0
	.set _ZN7rocprim17ROCPRIM_400000_NS6detail17trampoline_kernelINS0_14default_configENS1_25partition_config_selectorILNS1_17partition_subalgoE5EiNS0_10empty_typeEbEEZZNS1_14partition_implILS5_5ELb0ES3_mN6thrust23THRUST_200600_302600_NS6detail15normal_iteratorINSA_10device_ptrIiEEEEPS6_NSA_18transform_iteratorINSB_9not_fun_tI7is_trueIiEEENSC_INSD_IbEEEENSA_11use_defaultESO_EENS0_5tupleIJNSA_16discard_iteratorISO_EES6_EEENSQ_IJSG_SG_EEES6_PlJS6_EEE10hipError_tPvRmT3_T4_T5_T6_T7_T9_mT8_P12ihipStream_tbDpT10_ENKUlT_T0_E_clISt17integral_constantIbLb0EES1F_EEDaS1A_S1B_EUlS1A_E_NS1_11comp_targetILNS1_3genE5ELNS1_11target_archE942ELNS1_3gpuE9ELNS1_3repE0EEENS1_30default_config_static_selectorELNS0_4arch9wavefront6targetE0EEEvT1_.has_recursion, 0
	.set _ZN7rocprim17ROCPRIM_400000_NS6detail17trampoline_kernelINS0_14default_configENS1_25partition_config_selectorILNS1_17partition_subalgoE5EiNS0_10empty_typeEbEEZZNS1_14partition_implILS5_5ELb0ES3_mN6thrust23THRUST_200600_302600_NS6detail15normal_iteratorINSA_10device_ptrIiEEEEPS6_NSA_18transform_iteratorINSB_9not_fun_tI7is_trueIiEEENSC_INSD_IbEEEENSA_11use_defaultESO_EENS0_5tupleIJNSA_16discard_iteratorISO_EES6_EEENSQ_IJSG_SG_EEES6_PlJS6_EEE10hipError_tPvRmT3_T4_T5_T6_T7_T9_mT8_P12ihipStream_tbDpT10_ENKUlT_T0_E_clISt17integral_constantIbLb0EES1F_EEDaS1A_S1B_EUlS1A_E_NS1_11comp_targetILNS1_3genE5ELNS1_11target_archE942ELNS1_3gpuE9ELNS1_3repE0EEENS1_30default_config_static_selectorELNS0_4arch9wavefront6targetE0EEEvT1_.has_indirect_call, 0
	.section	.AMDGPU.csdata,"",@progbits
; Kernel info:
; codeLenInByte = 0
; TotalNumSgprs: 0
; NumVgprs: 0
; ScratchSize: 0
; MemoryBound: 0
; FloatMode: 240
; IeeeMode: 1
; LDSByteSize: 0 bytes/workgroup (compile time only)
; SGPRBlocks: 0
; VGPRBlocks: 0
; NumSGPRsForWavesPerEU: 1
; NumVGPRsForWavesPerEU: 1
; Occupancy: 16
; WaveLimiterHint : 0
; COMPUTE_PGM_RSRC2:SCRATCH_EN: 0
; COMPUTE_PGM_RSRC2:USER_SGPR: 2
; COMPUTE_PGM_RSRC2:TRAP_HANDLER: 0
; COMPUTE_PGM_RSRC2:TGID_X_EN: 1
; COMPUTE_PGM_RSRC2:TGID_Y_EN: 0
; COMPUTE_PGM_RSRC2:TGID_Z_EN: 0
; COMPUTE_PGM_RSRC2:TIDIG_COMP_CNT: 0
	.section	.text._ZN7rocprim17ROCPRIM_400000_NS6detail17trampoline_kernelINS0_14default_configENS1_25partition_config_selectorILNS1_17partition_subalgoE5EiNS0_10empty_typeEbEEZZNS1_14partition_implILS5_5ELb0ES3_mN6thrust23THRUST_200600_302600_NS6detail15normal_iteratorINSA_10device_ptrIiEEEEPS6_NSA_18transform_iteratorINSB_9not_fun_tI7is_trueIiEEENSC_INSD_IbEEEENSA_11use_defaultESO_EENS0_5tupleIJNSA_16discard_iteratorISO_EES6_EEENSQ_IJSG_SG_EEES6_PlJS6_EEE10hipError_tPvRmT3_T4_T5_T6_T7_T9_mT8_P12ihipStream_tbDpT10_ENKUlT_T0_E_clISt17integral_constantIbLb0EES1F_EEDaS1A_S1B_EUlS1A_E_NS1_11comp_targetILNS1_3genE4ELNS1_11target_archE910ELNS1_3gpuE8ELNS1_3repE0EEENS1_30default_config_static_selectorELNS0_4arch9wavefront6targetE0EEEvT1_,"axG",@progbits,_ZN7rocprim17ROCPRIM_400000_NS6detail17trampoline_kernelINS0_14default_configENS1_25partition_config_selectorILNS1_17partition_subalgoE5EiNS0_10empty_typeEbEEZZNS1_14partition_implILS5_5ELb0ES3_mN6thrust23THRUST_200600_302600_NS6detail15normal_iteratorINSA_10device_ptrIiEEEEPS6_NSA_18transform_iteratorINSB_9not_fun_tI7is_trueIiEEENSC_INSD_IbEEEENSA_11use_defaultESO_EENS0_5tupleIJNSA_16discard_iteratorISO_EES6_EEENSQ_IJSG_SG_EEES6_PlJS6_EEE10hipError_tPvRmT3_T4_T5_T6_T7_T9_mT8_P12ihipStream_tbDpT10_ENKUlT_T0_E_clISt17integral_constantIbLb0EES1F_EEDaS1A_S1B_EUlS1A_E_NS1_11comp_targetILNS1_3genE4ELNS1_11target_archE910ELNS1_3gpuE8ELNS1_3repE0EEENS1_30default_config_static_selectorELNS0_4arch9wavefront6targetE0EEEvT1_,comdat
	.protected	_ZN7rocprim17ROCPRIM_400000_NS6detail17trampoline_kernelINS0_14default_configENS1_25partition_config_selectorILNS1_17partition_subalgoE5EiNS0_10empty_typeEbEEZZNS1_14partition_implILS5_5ELb0ES3_mN6thrust23THRUST_200600_302600_NS6detail15normal_iteratorINSA_10device_ptrIiEEEEPS6_NSA_18transform_iteratorINSB_9not_fun_tI7is_trueIiEEENSC_INSD_IbEEEENSA_11use_defaultESO_EENS0_5tupleIJNSA_16discard_iteratorISO_EES6_EEENSQ_IJSG_SG_EEES6_PlJS6_EEE10hipError_tPvRmT3_T4_T5_T6_T7_T9_mT8_P12ihipStream_tbDpT10_ENKUlT_T0_E_clISt17integral_constantIbLb0EES1F_EEDaS1A_S1B_EUlS1A_E_NS1_11comp_targetILNS1_3genE4ELNS1_11target_archE910ELNS1_3gpuE8ELNS1_3repE0EEENS1_30default_config_static_selectorELNS0_4arch9wavefront6targetE0EEEvT1_ ; -- Begin function _ZN7rocprim17ROCPRIM_400000_NS6detail17trampoline_kernelINS0_14default_configENS1_25partition_config_selectorILNS1_17partition_subalgoE5EiNS0_10empty_typeEbEEZZNS1_14partition_implILS5_5ELb0ES3_mN6thrust23THRUST_200600_302600_NS6detail15normal_iteratorINSA_10device_ptrIiEEEEPS6_NSA_18transform_iteratorINSB_9not_fun_tI7is_trueIiEEENSC_INSD_IbEEEENSA_11use_defaultESO_EENS0_5tupleIJNSA_16discard_iteratorISO_EES6_EEENSQ_IJSG_SG_EEES6_PlJS6_EEE10hipError_tPvRmT3_T4_T5_T6_T7_T9_mT8_P12ihipStream_tbDpT10_ENKUlT_T0_E_clISt17integral_constantIbLb0EES1F_EEDaS1A_S1B_EUlS1A_E_NS1_11comp_targetILNS1_3genE4ELNS1_11target_archE910ELNS1_3gpuE8ELNS1_3repE0EEENS1_30default_config_static_selectorELNS0_4arch9wavefront6targetE0EEEvT1_
	.globl	_ZN7rocprim17ROCPRIM_400000_NS6detail17trampoline_kernelINS0_14default_configENS1_25partition_config_selectorILNS1_17partition_subalgoE5EiNS0_10empty_typeEbEEZZNS1_14partition_implILS5_5ELb0ES3_mN6thrust23THRUST_200600_302600_NS6detail15normal_iteratorINSA_10device_ptrIiEEEEPS6_NSA_18transform_iteratorINSB_9not_fun_tI7is_trueIiEEENSC_INSD_IbEEEENSA_11use_defaultESO_EENS0_5tupleIJNSA_16discard_iteratorISO_EES6_EEENSQ_IJSG_SG_EEES6_PlJS6_EEE10hipError_tPvRmT3_T4_T5_T6_T7_T9_mT8_P12ihipStream_tbDpT10_ENKUlT_T0_E_clISt17integral_constantIbLb0EES1F_EEDaS1A_S1B_EUlS1A_E_NS1_11comp_targetILNS1_3genE4ELNS1_11target_archE910ELNS1_3gpuE8ELNS1_3repE0EEENS1_30default_config_static_selectorELNS0_4arch9wavefront6targetE0EEEvT1_
	.p2align	8
	.type	_ZN7rocprim17ROCPRIM_400000_NS6detail17trampoline_kernelINS0_14default_configENS1_25partition_config_selectorILNS1_17partition_subalgoE5EiNS0_10empty_typeEbEEZZNS1_14partition_implILS5_5ELb0ES3_mN6thrust23THRUST_200600_302600_NS6detail15normal_iteratorINSA_10device_ptrIiEEEEPS6_NSA_18transform_iteratorINSB_9not_fun_tI7is_trueIiEEENSC_INSD_IbEEEENSA_11use_defaultESO_EENS0_5tupleIJNSA_16discard_iteratorISO_EES6_EEENSQ_IJSG_SG_EEES6_PlJS6_EEE10hipError_tPvRmT3_T4_T5_T6_T7_T9_mT8_P12ihipStream_tbDpT10_ENKUlT_T0_E_clISt17integral_constantIbLb0EES1F_EEDaS1A_S1B_EUlS1A_E_NS1_11comp_targetILNS1_3genE4ELNS1_11target_archE910ELNS1_3gpuE8ELNS1_3repE0EEENS1_30default_config_static_selectorELNS0_4arch9wavefront6targetE0EEEvT1_,@function
_ZN7rocprim17ROCPRIM_400000_NS6detail17trampoline_kernelINS0_14default_configENS1_25partition_config_selectorILNS1_17partition_subalgoE5EiNS0_10empty_typeEbEEZZNS1_14partition_implILS5_5ELb0ES3_mN6thrust23THRUST_200600_302600_NS6detail15normal_iteratorINSA_10device_ptrIiEEEEPS6_NSA_18transform_iteratorINSB_9not_fun_tI7is_trueIiEEENSC_INSD_IbEEEENSA_11use_defaultESO_EENS0_5tupleIJNSA_16discard_iteratorISO_EES6_EEENSQ_IJSG_SG_EEES6_PlJS6_EEE10hipError_tPvRmT3_T4_T5_T6_T7_T9_mT8_P12ihipStream_tbDpT10_ENKUlT_T0_E_clISt17integral_constantIbLb0EES1F_EEDaS1A_S1B_EUlS1A_E_NS1_11comp_targetILNS1_3genE4ELNS1_11target_archE910ELNS1_3gpuE8ELNS1_3repE0EEENS1_30default_config_static_selectorELNS0_4arch9wavefront6targetE0EEEvT1_: ; @_ZN7rocprim17ROCPRIM_400000_NS6detail17trampoline_kernelINS0_14default_configENS1_25partition_config_selectorILNS1_17partition_subalgoE5EiNS0_10empty_typeEbEEZZNS1_14partition_implILS5_5ELb0ES3_mN6thrust23THRUST_200600_302600_NS6detail15normal_iteratorINSA_10device_ptrIiEEEEPS6_NSA_18transform_iteratorINSB_9not_fun_tI7is_trueIiEEENSC_INSD_IbEEEENSA_11use_defaultESO_EENS0_5tupleIJNSA_16discard_iteratorISO_EES6_EEENSQ_IJSG_SG_EEES6_PlJS6_EEE10hipError_tPvRmT3_T4_T5_T6_T7_T9_mT8_P12ihipStream_tbDpT10_ENKUlT_T0_E_clISt17integral_constantIbLb0EES1F_EEDaS1A_S1B_EUlS1A_E_NS1_11comp_targetILNS1_3genE4ELNS1_11target_archE910ELNS1_3gpuE8ELNS1_3repE0EEENS1_30default_config_static_selectorELNS0_4arch9wavefront6targetE0EEEvT1_
; %bb.0:
	.section	.rodata,"a",@progbits
	.p2align	6, 0x0
	.amdhsa_kernel _ZN7rocprim17ROCPRIM_400000_NS6detail17trampoline_kernelINS0_14default_configENS1_25partition_config_selectorILNS1_17partition_subalgoE5EiNS0_10empty_typeEbEEZZNS1_14partition_implILS5_5ELb0ES3_mN6thrust23THRUST_200600_302600_NS6detail15normal_iteratorINSA_10device_ptrIiEEEEPS6_NSA_18transform_iteratorINSB_9not_fun_tI7is_trueIiEEENSC_INSD_IbEEEENSA_11use_defaultESO_EENS0_5tupleIJNSA_16discard_iteratorISO_EES6_EEENSQ_IJSG_SG_EEES6_PlJS6_EEE10hipError_tPvRmT3_T4_T5_T6_T7_T9_mT8_P12ihipStream_tbDpT10_ENKUlT_T0_E_clISt17integral_constantIbLb0EES1F_EEDaS1A_S1B_EUlS1A_E_NS1_11comp_targetILNS1_3genE4ELNS1_11target_archE910ELNS1_3gpuE8ELNS1_3repE0EEENS1_30default_config_static_selectorELNS0_4arch9wavefront6targetE0EEEvT1_
		.amdhsa_group_segment_fixed_size 0
		.amdhsa_private_segment_fixed_size 0
		.amdhsa_kernarg_size 128
		.amdhsa_user_sgpr_count 2
		.amdhsa_user_sgpr_dispatch_ptr 0
		.amdhsa_user_sgpr_queue_ptr 0
		.amdhsa_user_sgpr_kernarg_segment_ptr 1
		.amdhsa_user_sgpr_dispatch_id 0
		.amdhsa_user_sgpr_private_segment_size 0
		.amdhsa_wavefront_size32 1
		.amdhsa_uses_dynamic_stack 0
		.amdhsa_enable_private_segment 0
		.amdhsa_system_sgpr_workgroup_id_x 1
		.amdhsa_system_sgpr_workgroup_id_y 0
		.amdhsa_system_sgpr_workgroup_id_z 0
		.amdhsa_system_sgpr_workgroup_info 0
		.amdhsa_system_vgpr_workitem_id 0
		.amdhsa_next_free_vgpr 1
		.amdhsa_next_free_sgpr 1
		.amdhsa_reserve_vcc 0
		.amdhsa_float_round_mode_32 0
		.amdhsa_float_round_mode_16_64 0
		.amdhsa_float_denorm_mode_32 3
		.amdhsa_float_denorm_mode_16_64 3
		.amdhsa_fp16_overflow 0
		.amdhsa_workgroup_processor_mode 1
		.amdhsa_memory_ordered 1
		.amdhsa_forward_progress 1
		.amdhsa_inst_pref_size 0
		.amdhsa_round_robin_scheduling 0
		.amdhsa_exception_fp_ieee_invalid_op 0
		.amdhsa_exception_fp_denorm_src 0
		.amdhsa_exception_fp_ieee_div_zero 0
		.amdhsa_exception_fp_ieee_overflow 0
		.amdhsa_exception_fp_ieee_underflow 0
		.amdhsa_exception_fp_ieee_inexact 0
		.amdhsa_exception_int_div_zero 0
	.end_amdhsa_kernel
	.section	.text._ZN7rocprim17ROCPRIM_400000_NS6detail17trampoline_kernelINS0_14default_configENS1_25partition_config_selectorILNS1_17partition_subalgoE5EiNS0_10empty_typeEbEEZZNS1_14partition_implILS5_5ELb0ES3_mN6thrust23THRUST_200600_302600_NS6detail15normal_iteratorINSA_10device_ptrIiEEEEPS6_NSA_18transform_iteratorINSB_9not_fun_tI7is_trueIiEEENSC_INSD_IbEEEENSA_11use_defaultESO_EENS0_5tupleIJNSA_16discard_iteratorISO_EES6_EEENSQ_IJSG_SG_EEES6_PlJS6_EEE10hipError_tPvRmT3_T4_T5_T6_T7_T9_mT8_P12ihipStream_tbDpT10_ENKUlT_T0_E_clISt17integral_constantIbLb0EES1F_EEDaS1A_S1B_EUlS1A_E_NS1_11comp_targetILNS1_3genE4ELNS1_11target_archE910ELNS1_3gpuE8ELNS1_3repE0EEENS1_30default_config_static_selectorELNS0_4arch9wavefront6targetE0EEEvT1_,"axG",@progbits,_ZN7rocprim17ROCPRIM_400000_NS6detail17trampoline_kernelINS0_14default_configENS1_25partition_config_selectorILNS1_17partition_subalgoE5EiNS0_10empty_typeEbEEZZNS1_14partition_implILS5_5ELb0ES3_mN6thrust23THRUST_200600_302600_NS6detail15normal_iteratorINSA_10device_ptrIiEEEEPS6_NSA_18transform_iteratorINSB_9not_fun_tI7is_trueIiEEENSC_INSD_IbEEEENSA_11use_defaultESO_EENS0_5tupleIJNSA_16discard_iteratorISO_EES6_EEENSQ_IJSG_SG_EEES6_PlJS6_EEE10hipError_tPvRmT3_T4_T5_T6_T7_T9_mT8_P12ihipStream_tbDpT10_ENKUlT_T0_E_clISt17integral_constantIbLb0EES1F_EEDaS1A_S1B_EUlS1A_E_NS1_11comp_targetILNS1_3genE4ELNS1_11target_archE910ELNS1_3gpuE8ELNS1_3repE0EEENS1_30default_config_static_selectorELNS0_4arch9wavefront6targetE0EEEvT1_,comdat
.Lfunc_end2783:
	.size	_ZN7rocprim17ROCPRIM_400000_NS6detail17trampoline_kernelINS0_14default_configENS1_25partition_config_selectorILNS1_17partition_subalgoE5EiNS0_10empty_typeEbEEZZNS1_14partition_implILS5_5ELb0ES3_mN6thrust23THRUST_200600_302600_NS6detail15normal_iteratorINSA_10device_ptrIiEEEEPS6_NSA_18transform_iteratorINSB_9not_fun_tI7is_trueIiEEENSC_INSD_IbEEEENSA_11use_defaultESO_EENS0_5tupleIJNSA_16discard_iteratorISO_EES6_EEENSQ_IJSG_SG_EEES6_PlJS6_EEE10hipError_tPvRmT3_T4_T5_T6_T7_T9_mT8_P12ihipStream_tbDpT10_ENKUlT_T0_E_clISt17integral_constantIbLb0EES1F_EEDaS1A_S1B_EUlS1A_E_NS1_11comp_targetILNS1_3genE4ELNS1_11target_archE910ELNS1_3gpuE8ELNS1_3repE0EEENS1_30default_config_static_selectorELNS0_4arch9wavefront6targetE0EEEvT1_, .Lfunc_end2783-_ZN7rocprim17ROCPRIM_400000_NS6detail17trampoline_kernelINS0_14default_configENS1_25partition_config_selectorILNS1_17partition_subalgoE5EiNS0_10empty_typeEbEEZZNS1_14partition_implILS5_5ELb0ES3_mN6thrust23THRUST_200600_302600_NS6detail15normal_iteratorINSA_10device_ptrIiEEEEPS6_NSA_18transform_iteratorINSB_9not_fun_tI7is_trueIiEEENSC_INSD_IbEEEENSA_11use_defaultESO_EENS0_5tupleIJNSA_16discard_iteratorISO_EES6_EEENSQ_IJSG_SG_EEES6_PlJS6_EEE10hipError_tPvRmT3_T4_T5_T6_T7_T9_mT8_P12ihipStream_tbDpT10_ENKUlT_T0_E_clISt17integral_constantIbLb0EES1F_EEDaS1A_S1B_EUlS1A_E_NS1_11comp_targetILNS1_3genE4ELNS1_11target_archE910ELNS1_3gpuE8ELNS1_3repE0EEENS1_30default_config_static_selectorELNS0_4arch9wavefront6targetE0EEEvT1_
                                        ; -- End function
	.set _ZN7rocprim17ROCPRIM_400000_NS6detail17trampoline_kernelINS0_14default_configENS1_25partition_config_selectorILNS1_17partition_subalgoE5EiNS0_10empty_typeEbEEZZNS1_14partition_implILS5_5ELb0ES3_mN6thrust23THRUST_200600_302600_NS6detail15normal_iteratorINSA_10device_ptrIiEEEEPS6_NSA_18transform_iteratorINSB_9not_fun_tI7is_trueIiEEENSC_INSD_IbEEEENSA_11use_defaultESO_EENS0_5tupleIJNSA_16discard_iteratorISO_EES6_EEENSQ_IJSG_SG_EEES6_PlJS6_EEE10hipError_tPvRmT3_T4_T5_T6_T7_T9_mT8_P12ihipStream_tbDpT10_ENKUlT_T0_E_clISt17integral_constantIbLb0EES1F_EEDaS1A_S1B_EUlS1A_E_NS1_11comp_targetILNS1_3genE4ELNS1_11target_archE910ELNS1_3gpuE8ELNS1_3repE0EEENS1_30default_config_static_selectorELNS0_4arch9wavefront6targetE0EEEvT1_.num_vgpr, 0
	.set _ZN7rocprim17ROCPRIM_400000_NS6detail17trampoline_kernelINS0_14default_configENS1_25partition_config_selectorILNS1_17partition_subalgoE5EiNS0_10empty_typeEbEEZZNS1_14partition_implILS5_5ELb0ES3_mN6thrust23THRUST_200600_302600_NS6detail15normal_iteratorINSA_10device_ptrIiEEEEPS6_NSA_18transform_iteratorINSB_9not_fun_tI7is_trueIiEEENSC_INSD_IbEEEENSA_11use_defaultESO_EENS0_5tupleIJNSA_16discard_iteratorISO_EES6_EEENSQ_IJSG_SG_EEES6_PlJS6_EEE10hipError_tPvRmT3_T4_T5_T6_T7_T9_mT8_P12ihipStream_tbDpT10_ENKUlT_T0_E_clISt17integral_constantIbLb0EES1F_EEDaS1A_S1B_EUlS1A_E_NS1_11comp_targetILNS1_3genE4ELNS1_11target_archE910ELNS1_3gpuE8ELNS1_3repE0EEENS1_30default_config_static_selectorELNS0_4arch9wavefront6targetE0EEEvT1_.num_agpr, 0
	.set _ZN7rocprim17ROCPRIM_400000_NS6detail17trampoline_kernelINS0_14default_configENS1_25partition_config_selectorILNS1_17partition_subalgoE5EiNS0_10empty_typeEbEEZZNS1_14partition_implILS5_5ELb0ES3_mN6thrust23THRUST_200600_302600_NS6detail15normal_iteratorINSA_10device_ptrIiEEEEPS6_NSA_18transform_iteratorINSB_9not_fun_tI7is_trueIiEEENSC_INSD_IbEEEENSA_11use_defaultESO_EENS0_5tupleIJNSA_16discard_iteratorISO_EES6_EEENSQ_IJSG_SG_EEES6_PlJS6_EEE10hipError_tPvRmT3_T4_T5_T6_T7_T9_mT8_P12ihipStream_tbDpT10_ENKUlT_T0_E_clISt17integral_constantIbLb0EES1F_EEDaS1A_S1B_EUlS1A_E_NS1_11comp_targetILNS1_3genE4ELNS1_11target_archE910ELNS1_3gpuE8ELNS1_3repE0EEENS1_30default_config_static_selectorELNS0_4arch9wavefront6targetE0EEEvT1_.numbered_sgpr, 0
	.set _ZN7rocprim17ROCPRIM_400000_NS6detail17trampoline_kernelINS0_14default_configENS1_25partition_config_selectorILNS1_17partition_subalgoE5EiNS0_10empty_typeEbEEZZNS1_14partition_implILS5_5ELb0ES3_mN6thrust23THRUST_200600_302600_NS6detail15normal_iteratorINSA_10device_ptrIiEEEEPS6_NSA_18transform_iteratorINSB_9not_fun_tI7is_trueIiEEENSC_INSD_IbEEEENSA_11use_defaultESO_EENS0_5tupleIJNSA_16discard_iteratorISO_EES6_EEENSQ_IJSG_SG_EEES6_PlJS6_EEE10hipError_tPvRmT3_T4_T5_T6_T7_T9_mT8_P12ihipStream_tbDpT10_ENKUlT_T0_E_clISt17integral_constantIbLb0EES1F_EEDaS1A_S1B_EUlS1A_E_NS1_11comp_targetILNS1_3genE4ELNS1_11target_archE910ELNS1_3gpuE8ELNS1_3repE0EEENS1_30default_config_static_selectorELNS0_4arch9wavefront6targetE0EEEvT1_.num_named_barrier, 0
	.set _ZN7rocprim17ROCPRIM_400000_NS6detail17trampoline_kernelINS0_14default_configENS1_25partition_config_selectorILNS1_17partition_subalgoE5EiNS0_10empty_typeEbEEZZNS1_14partition_implILS5_5ELb0ES3_mN6thrust23THRUST_200600_302600_NS6detail15normal_iteratorINSA_10device_ptrIiEEEEPS6_NSA_18transform_iteratorINSB_9not_fun_tI7is_trueIiEEENSC_INSD_IbEEEENSA_11use_defaultESO_EENS0_5tupleIJNSA_16discard_iteratorISO_EES6_EEENSQ_IJSG_SG_EEES6_PlJS6_EEE10hipError_tPvRmT3_T4_T5_T6_T7_T9_mT8_P12ihipStream_tbDpT10_ENKUlT_T0_E_clISt17integral_constantIbLb0EES1F_EEDaS1A_S1B_EUlS1A_E_NS1_11comp_targetILNS1_3genE4ELNS1_11target_archE910ELNS1_3gpuE8ELNS1_3repE0EEENS1_30default_config_static_selectorELNS0_4arch9wavefront6targetE0EEEvT1_.private_seg_size, 0
	.set _ZN7rocprim17ROCPRIM_400000_NS6detail17trampoline_kernelINS0_14default_configENS1_25partition_config_selectorILNS1_17partition_subalgoE5EiNS0_10empty_typeEbEEZZNS1_14partition_implILS5_5ELb0ES3_mN6thrust23THRUST_200600_302600_NS6detail15normal_iteratorINSA_10device_ptrIiEEEEPS6_NSA_18transform_iteratorINSB_9not_fun_tI7is_trueIiEEENSC_INSD_IbEEEENSA_11use_defaultESO_EENS0_5tupleIJNSA_16discard_iteratorISO_EES6_EEENSQ_IJSG_SG_EEES6_PlJS6_EEE10hipError_tPvRmT3_T4_T5_T6_T7_T9_mT8_P12ihipStream_tbDpT10_ENKUlT_T0_E_clISt17integral_constantIbLb0EES1F_EEDaS1A_S1B_EUlS1A_E_NS1_11comp_targetILNS1_3genE4ELNS1_11target_archE910ELNS1_3gpuE8ELNS1_3repE0EEENS1_30default_config_static_selectorELNS0_4arch9wavefront6targetE0EEEvT1_.uses_vcc, 0
	.set _ZN7rocprim17ROCPRIM_400000_NS6detail17trampoline_kernelINS0_14default_configENS1_25partition_config_selectorILNS1_17partition_subalgoE5EiNS0_10empty_typeEbEEZZNS1_14partition_implILS5_5ELb0ES3_mN6thrust23THRUST_200600_302600_NS6detail15normal_iteratorINSA_10device_ptrIiEEEEPS6_NSA_18transform_iteratorINSB_9not_fun_tI7is_trueIiEEENSC_INSD_IbEEEENSA_11use_defaultESO_EENS0_5tupleIJNSA_16discard_iteratorISO_EES6_EEENSQ_IJSG_SG_EEES6_PlJS6_EEE10hipError_tPvRmT3_T4_T5_T6_T7_T9_mT8_P12ihipStream_tbDpT10_ENKUlT_T0_E_clISt17integral_constantIbLb0EES1F_EEDaS1A_S1B_EUlS1A_E_NS1_11comp_targetILNS1_3genE4ELNS1_11target_archE910ELNS1_3gpuE8ELNS1_3repE0EEENS1_30default_config_static_selectorELNS0_4arch9wavefront6targetE0EEEvT1_.uses_flat_scratch, 0
	.set _ZN7rocprim17ROCPRIM_400000_NS6detail17trampoline_kernelINS0_14default_configENS1_25partition_config_selectorILNS1_17partition_subalgoE5EiNS0_10empty_typeEbEEZZNS1_14partition_implILS5_5ELb0ES3_mN6thrust23THRUST_200600_302600_NS6detail15normal_iteratorINSA_10device_ptrIiEEEEPS6_NSA_18transform_iteratorINSB_9not_fun_tI7is_trueIiEEENSC_INSD_IbEEEENSA_11use_defaultESO_EENS0_5tupleIJNSA_16discard_iteratorISO_EES6_EEENSQ_IJSG_SG_EEES6_PlJS6_EEE10hipError_tPvRmT3_T4_T5_T6_T7_T9_mT8_P12ihipStream_tbDpT10_ENKUlT_T0_E_clISt17integral_constantIbLb0EES1F_EEDaS1A_S1B_EUlS1A_E_NS1_11comp_targetILNS1_3genE4ELNS1_11target_archE910ELNS1_3gpuE8ELNS1_3repE0EEENS1_30default_config_static_selectorELNS0_4arch9wavefront6targetE0EEEvT1_.has_dyn_sized_stack, 0
	.set _ZN7rocprim17ROCPRIM_400000_NS6detail17trampoline_kernelINS0_14default_configENS1_25partition_config_selectorILNS1_17partition_subalgoE5EiNS0_10empty_typeEbEEZZNS1_14partition_implILS5_5ELb0ES3_mN6thrust23THRUST_200600_302600_NS6detail15normal_iteratorINSA_10device_ptrIiEEEEPS6_NSA_18transform_iteratorINSB_9not_fun_tI7is_trueIiEEENSC_INSD_IbEEEENSA_11use_defaultESO_EENS0_5tupleIJNSA_16discard_iteratorISO_EES6_EEENSQ_IJSG_SG_EEES6_PlJS6_EEE10hipError_tPvRmT3_T4_T5_T6_T7_T9_mT8_P12ihipStream_tbDpT10_ENKUlT_T0_E_clISt17integral_constantIbLb0EES1F_EEDaS1A_S1B_EUlS1A_E_NS1_11comp_targetILNS1_3genE4ELNS1_11target_archE910ELNS1_3gpuE8ELNS1_3repE0EEENS1_30default_config_static_selectorELNS0_4arch9wavefront6targetE0EEEvT1_.has_recursion, 0
	.set _ZN7rocprim17ROCPRIM_400000_NS6detail17trampoline_kernelINS0_14default_configENS1_25partition_config_selectorILNS1_17partition_subalgoE5EiNS0_10empty_typeEbEEZZNS1_14partition_implILS5_5ELb0ES3_mN6thrust23THRUST_200600_302600_NS6detail15normal_iteratorINSA_10device_ptrIiEEEEPS6_NSA_18transform_iteratorINSB_9not_fun_tI7is_trueIiEEENSC_INSD_IbEEEENSA_11use_defaultESO_EENS0_5tupleIJNSA_16discard_iteratorISO_EES6_EEENSQ_IJSG_SG_EEES6_PlJS6_EEE10hipError_tPvRmT3_T4_T5_T6_T7_T9_mT8_P12ihipStream_tbDpT10_ENKUlT_T0_E_clISt17integral_constantIbLb0EES1F_EEDaS1A_S1B_EUlS1A_E_NS1_11comp_targetILNS1_3genE4ELNS1_11target_archE910ELNS1_3gpuE8ELNS1_3repE0EEENS1_30default_config_static_selectorELNS0_4arch9wavefront6targetE0EEEvT1_.has_indirect_call, 0
	.section	.AMDGPU.csdata,"",@progbits
; Kernel info:
; codeLenInByte = 0
; TotalNumSgprs: 0
; NumVgprs: 0
; ScratchSize: 0
; MemoryBound: 0
; FloatMode: 240
; IeeeMode: 1
; LDSByteSize: 0 bytes/workgroup (compile time only)
; SGPRBlocks: 0
; VGPRBlocks: 0
; NumSGPRsForWavesPerEU: 1
; NumVGPRsForWavesPerEU: 1
; Occupancy: 16
; WaveLimiterHint : 0
; COMPUTE_PGM_RSRC2:SCRATCH_EN: 0
; COMPUTE_PGM_RSRC2:USER_SGPR: 2
; COMPUTE_PGM_RSRC2:TRAP_HANDLER: 0
; COMPUTE_PGM_RSRC2:TGID_X_EN: 1
; COMPUTE_PGM_RSRC2:TGID_Y_EN: 0
; COMPUTE_PGM_RSRC2:TGID_Z_EN: 0
; COMPUTE_PGM_RSRC2:TIDIG_COMP_CNT: 0
	.section	.text._ZN7rocprim17ROCPRIM_400000_NS6detail17trampoline_kernelINS0_14default_configENS1_25partition_config_selectorILNS1_17partition_subalgoE5EiNS0_10empty_typeEbEEZZNS1_14partition_implILS5_5ELb0ES3_mN6thrust23THRUST_200600_302600_NS6detail15normal_iteratorINSA_10device_ptrIiEEEEPS6_NSA_18transform_iteratorINSB_9not_fun_tI7is_trueIiEEENSC_INSD_IbEEEENSA_11use_defaultESO_EENS0_5tupleIJNSA_16discard_iteratorISO_EES6_EEENSQ_IJSG_SG_EEES6_PlJS6_EEE10hipError_tPvRmT3_T4_T5_T6_T7_T9_mT8_P12ihipStream_tbDpT10_ENKUlT_T0_E_clISt17integral_constantIbLb0EES1F_EEDaS1A_S1B_EUlS1A_E_NS1_11comp_targetILNS1_3genE3ELNS1_11target_archE908ELNS1_3gpuE7ELNS1_3repE0EEENS1_30default_config_static_selectorELNS0_4arch9wavefront6targetE0EEEvT1_,"axG",@progbits,_ZN7rocprim17ROCPRIM_400000_NS6detail17trampoline_kernelINS0_14default_configENS1_25partition_config_selectorILNS1_17partition_subalgoE5EiNS0_10empty_typeEbEEZZNS1_14partition_implILS5_5ELb0ES3_mN6thrust23THRUST_200600_302600_NS6detail15normal_iteratorINSA_10device_ptrIiEEEEPS6_NSA_18transform_iteratorINSB_9not_fun_tI7is_trueIiEEENSC_INSD_IbEEEENSA_11use_defaultESO_EENS0_5tupleIJNSA_16discard_iteratorISO_EES6_EEENSQ_IJSG_SG_EEES6_PlJS6_EEE10hipError_tPvRmT3_T4_T5_T6_T7_T9_mT8_P12ihipStream_tbDpT10_ENKUlT_T0_E_clISt17integral_constantIbLb0EES1F_EEDaS1A_S1B_EUlS1A_E_NS1_11comp_targetILNS1_3genE3ELNS1_11target_archE908ELNS1_3gpuE7ELNS1_3repE0EEENS1_30default_config_static_selectorELNS0_4arch9wavefront6targetE0EEEvT1_,comdat
	.protected	_ZN7rocprim17ROCPRIM_400000_NS6detail17trampoline_kernelINS0_14default_configENS1_25partition_config_selectorILNS1_17partition_subalgoE5EiNS0_10empty_typeEbEEZZNS1_14partition_implILS5_5ELb0ES3_mN6thrust23THRUST_200600_302600_NS6detail15normal_iteratorINSA_10device_ptrIiEEEEPS6_NSA_18transform_iteratorINSB_9not_fun_tI7is_trueIiEEENSC_INSD_IbEEEENSA_11use_defaultESO_EENS0_5tupleIJNSA_16discard_iteratorISO_EES6_EEENSQ_IJSG_SG_EEES6_PlJS6_EEE10hipError_tPvRmT3_T4_T5_T6_T7_T9_mT8_P12ihipStream_tbDpT10_ENKUlT_T0_E_clISt17integral_constantIbLb0EES1F_EEDaS1A_S1B_EUlS1A_E_NS1_11comp_targetILNS1_3genE3ELNS1_11target_archE908ELNS1_3gpuE7ELNS1_3repE0EEENS1_30default_config_static_selectorELNS0_4arch9wavefront6targetE0EEEvT1_ ; -- Begin function _ZN7rocprim17ROCPRIM_400000_NS6detail17trampoline_kernelINS0_14default_configENS1_25partition_config_selectorILNS1_17partition_subalgoE5EiNS0_10empty_typeEbEEZZNS1_14partition_implILS5_5ELb0ES3_mN6thrust23THRUST_200600_302600_NS6detail15normal_iteratorINSA_10device_ptrIiEEEEPS6_NSA_18transform_iteratorINSB_9not_fun_tI7is_trueIiEEENSC_INSD_IbEEEENSA_11use_defaultESO_EENS0_5tupleIJNSA_16discard_iteratorISO_EES6_EEENSQ_IJSG_SG_EEES6_PlJS6_EEE10hipError_tPvRmT3_T4_T5_T6_T7_T9_mT8_P12ihipStream_tbDpT10_ENKUlT_T0_E_clISt17integral_constantIbLb0EES1F_EEDaS1A_S1B_EUlS1A_E_NS1_11comp_targetILNS1_3genE3ELNS1_11target_archE908ELNS1_3gpuE7ELNS1_3repE0EEENS1_30default_config_static_selectorELNS0_4arch9wavefront6targetE0EEEvT1_
	.globl	_ZN7rocprim17ROCPRIM_400000_NS6detail17trampoline_kernelINS0_14default_configENS1_25partition_config_selectorILNS1_17partition_subalgoE5EiNS0_10empty_typeEbEEZZNS1_14partition_implILS5_5ELb0ES3_mN6thrust23THRUST_200600_302600_NS6detail15normal_iteratorINSA_10device_ptrIiEEEEPS6_NSA_18transform_iteratorINSB_9not_fun_tI7is_trueIiEEENSC_INSD_IbEEEENSA_11use_defaultESO_EENS0_5tupleIJNSA_16discard_iteratorISO_EES6_EEENSQ_IJSG_SG_EEES6_PlJS6_EEE10hipError_tPvRmT3_T4_T5_T6_T7_T9_mT8_P12ihipStream_tbDpT10_ENKUlT_T0_E_clISt17integral_constantIbLb0EES1F_EEDaS1A_S1B_EUlS1A_E_NS1_11comp_targetILNS1_3genE3ELNS1_11target_archE908ELNS1_3gpuE7ELNS1_3repE0EEENS1_30default_config_static_selectorELNS0_4arch9wavefront6targetE0EEEvT1_
	.p2align	8
	.type	_ZN7rocprim17ROCPRIM_400000_NS6detail17trampoline_kernelINS0_14default_configENS1_25partition_config_selectorILNS1_17partition_subalgoE5EiNS0_10empty_typeEbEEZZNS1_14partition_implILS5_5ELb0ES3_mN6thrust23THRUST_200600_302600_NS6detail15normal_iteratorINSA_10device_ptrIiEEEEPS6_NSA_18transform_iteratorINSB_9not_fun_tI7is_trueIiEEENSC_INSD_IbEEEENSA_11use_defaultESO_EENS0_5tupleIJNSA_16discard_iteratorISO_EES6_EEENSQ_IJSG_SG_EEES6_PlJS6_EEE10hipError_tPvRmT3_T4_T5_T6_T7_T9_mT8_P12ihipStream_tbDpT10_ENKUlT_T0_E_clISt17integral_constantIbLb0EES1F_EEDaS1A_S1B_EUlS1A_E_NS1_11comp_targetILNS1_3genE3ELNS1_11target_archE908ELNS1_3gpuE7ELNS1_3repE0EEENS1_30default_config_static_selectorELNS0_4arch9wavefront6targetE0EEEvT1_,@function
_ZN7rocprim17ROCPRIM_400000_NS6detail17trampoline_kernelINS0_14default_configENS1_25partition_config_selectorILNS1_17partition_subalgoE5EiNS0_10empty_typeEbEEZZNS1_14partition_implILS5_5ELb0ES3_mN6thrust23THRUST_200600_302600_NS6detail15normal_iteratorINSA_10device_ptrIiEEEEPS6_NSA_18transform_iteratorINSB_9not_fun_tI7is_trueIiEEENSC_INSD_IbEEEENSA_11use_defaultESO_EENS0_5tupleIJNSA_16discard_iteratorISO_EES6_EEENSQ_IJSG_SG_EEES6_PlJS6_EEE10hipError_tPvRmT3_T4_T5_T6_T7_T9_mT8_P12ihipStream_tbDpT10_ENKUlT_T0_E_clISt17integral_constantIbLb0EES1F_EEDaS1A_S1B_EUlS1A_E_NS1_11comp_targetILNS1_3genE3ELNS1_11target_archE908ELNS1_3gpuE7ELNS1_3repE0EEENS1_30default_config_static_selectorELNS0_4arch9wavefront6targetE0EEEvT1_: ; @_ZN7rocprim17ROCPRIM_400000_NS6detail17trampoline_kernelINS0_14default_configENS1_25partition_config_selectorILNS1_17partition_subalgoE5EiNS0_10empty_typeEbEEZZNS1_14partition_implILS5_5ELb0ES3_mN6thrust23THRUST_200600_302600_NS6detail15normal_iteratorINSA_10device_ptrIiEEEEPS6_NSA_18transform_iteratorINSB_9not_fun_tI7is_trueIiEEENSC_INSD_IbEEEENSA_11use_defaultESO_EENS0_5tupleIJNSA_16discard_iteratorISO_EES6_EEENSQ_IJSG_SG_EEES6_PlJS6_EEE10hipError_tPvRmT3_T4_T5_T6_T7_T9_mT8_P12ihipStream_tbDpT10_ENKUlT_T0_E_clISt17integral_constantIbLb0EES1F_EEDaS1A_S1B_EUlS1A_E_NS1_11comp_targetILNS1_3genE3ELNS1_11target_archE908ELNS1_3gpuE7ELNS1_3repE0EEENS1_30default_config_static_selectorELNS0_4arch9wavefront6targetE0EEEvT1_
; %bb.0:
	.section	.rodata,"a",@progbits
	.p2align	6, 0x0
	.amdhsa_kernel _ZN7rocprim17ROCPRIM_400000_NS6detail17trampoline_kernelINS0_14default_configENS1_25partition_config_selectorILNS1_17partition_subalgoE5EiNS0_10empty_typeEbEEZZNS1_14partition_implILS5_5ELb0ES3_mN6thrust23THRUST_200600_302600_NS6detail15normal_iteratorINSA_10device_ptrIiEEEEPS6_NSA_18transform_iteratorINSB_9not_fun_tI7is_trueIiEEENSC_INSD_IbEEEENSA_11use_defaultESO_EENS0_5tupleIJNSA_16discard_iteratorISO_EES6_EEENSQ_IJSG_SG_EEES6_PlJS6_EEE10hipError_tPvRmT3_T4_T5_T6_T7_T9_mT8_P12ihipStream_tbDpT10_ENKUlT_T0_E_clISt17integral_constantIbLb0EES1F_EEDaS1A_S1B_EUlS1A_E_NS1_11comp_targetILNS1_3genE3ELNS1_11target_archE908ELNS1_3gpuE7ELNS1_3repE0EEENS1_30default_config_static_selectorELNS0_4arch9wavefront6targetE0EEEvT1_
		.amdhsa_group_segment_fixed_size 0
		.amdhsa_private_segment_fixed_size 0
		.amdhsa_kernarg_size 128
		.amdhsa_user_sgpr_count 2
		.amdhsa_user_sgpr_dispatch_ptr 0
		.amdhsa_user_sgpr_queue_ptr 0
		.amdhsa_user_sgpr_kernarg_segment_ptr 1
		.amdhsa_user_sgpr_dispatch_id 0
		.amdhsa_user_sgpr_private_segment_size 0
		.amdhsa_wavefront_size32 1
		.amdhsa_uses_dynamic_stack 0
		.amdhsa_enable_private_segment 0
		.amdhsa_system_sgpr_workgroup_id_x 1
		.amdhsa_system_sgpr_workgroup_id_y 0
		.amdhsa_system_sgpr_workgroup_id_z 0
		.amdhsa_system_sgpr_workgroup_info 0
		.amdhsa_system_vgpr_workitem_id 0
		.amdhsa_next_free_vgpr 1
		.amdhsa_next_free_sgpr 1
		.amdhsa_reserve_vcc 0
		.amdhsa_float_round_mode_32 0
		.amdhsa_float_round_mode_16_64 0
		.amdhsa_float_denorm_mode_32 3
		.amdhsa_float_denorm_mode_16_64 3
		.amdhsa_fp16_overflow 0
		.amdhsa_workgroup_processor_mode 1
		.amdhsa_memory_ordered 1
		.amdhsa_forward_progress 1
		.amdhsa_inst_pref_size 0
		.amdhsa_round_robin_scheduling 0
		.amdhsa_exception_fp_ieee_invalid_op 0
		.amdhsa_exception_fp_denorm_src 0
		.amdhsa_exception_fp_ieee_div_zero 0
		.amdhsa_exception_fp_ieee_overflow 0
		.amdhsa_exception_fp_ieee_underflow 0
		.amdhsa_exception_fp_ieee_inexact 0
		.amdhsa_exception_int_div_zero 0
	.end_amdhsa_kernel
	.section	.text._ZN7rocprim17ROCPRIM_400000_NS6detail17trampoline_kernelINS0_14default_configENS1_25partition_config_selectorILNS1_17partition_subalgoE5EiNS0_10empty_typeEbEEZZNS1_14partition_implILS5_5ELb0ES3_mN6thrust23THRUST_200600_302600_NS6detail15normal_iteratorINSA_10device_ptrIiEEEEPS6_NSA_18transform_iteratorINSB_9not_fun_tI7is_trueIiEEENSC_INSD_IbEEEENSA_11use_defaultESO_EENS0_5tupleIJNSA_16discard_iteratorISO_EES6_EEENSQ_IJSG_SG_EEES6_PlJS6_EEE10hipError_tPvRmT3_T4_T5_T6_T7_T9_mT8_P12ihipStream_tbDpT10_ENKUlT_T0_E_clISt17integral_constantIbLb0EES1F_EEDaS1A_S1B_EUlS1A_E_NS1_11comp_targetILNS1_3genE3ELNS1_11target_archE908ELNS1_3gpuE7ELNS1_3repE0EEENS1_30default_config_static_selectorELNS0_4arch9wavefront6targetE0EEEvT1_,"axG",@progbits,_ZN7rocprim17ROCPRIM_400000_NS6detail17trampoline_kernelINS0_14default_configENS1_25partition_config_selectorILNS1_17partition_subalgoE5EiNS0_10empty_typeEbEEZZNS1_14partition_implILS5_5ELb0ES3_mN6thrust23THRUST_200600_302600_NS6detail15normal_iteratorINSA_10device_ptrIiEEEEPS6_NSA_18transform_iteratorINSB_9not_fun_tI7is_trueIiEEENSC_INSD_IbEEEENSA_11use_defaultESO_EENS0_5tupleIJNSA_16discard_iteratorISO_EES6_EEENSQ_IJSG_SG_EEES6_PlJS6_EEE10hipError_tPvRmT3_T4_T5_T6_T7_T9_mT8_P12ihipStream_tbDpT10_ENKUlT_T0_E_clISt17integral_constantIbLb0EES1F_EEDaS1A_S1B_EUlS1A_E_NS1_11comp_targetILNS1_3genE3ELNS1_11target_archE908ELNS1_3gpuE7ELNS1_3repE0EEENS1_30default_config_static_selectorELNS0_4arch9wavefront6targetE0EEEvT1_,comdat
.Lfunc_end2784:
	.size	_ZN7rocprim17ROCPRIM_400000_NS6detail17trampoline_kernelINS0_14default_configENS1_25partition_config_selectorILNS1_17partition_subalgoE5EiNS0_10empty_typeEbEEZZNS1_14partition_implILS5_5ELb0ES3_mN6thrust23THRUST_200600_302600_NS6detail15normal_iteratorINSA_10device_ptrIiEEEEPS6_NSA_18transform_iteratorINSB_9not_fun_tI7is_trueIiEEENSC_INSD_IbEEEENSA_11use_defaultESO_EENS0_5tupleIJNSA_16discard_iteratorISO_EES6_EEENSQ_IJSG_SG_EEES6_PlJS6_EEE10hipError_tPvRmT3_T4_T5_T6_T7_T9_mT8_P12ihipStream_tbDpT10_ENKUlT_T0_E_clISt17integral_constantIbLb0EES1F_EEDaS1A_S1B_EUlS1A_E_NS1_11comp_targetILNS1_3genE3ELNS1_11target_archE908ELNS1_3gpuE7ELNS1_3repE0EEENS1_30default_config_static_selectorELNS0_4arch9wavefront6targetE0EEEvT1_, .Lfunc_end2784-_ZN7rocprim17ROCPRIM_400000_NS6detail17trampoline_kernelINS0_14default_configENS1_25partition_config_selectorILNS1_17partition_subalgoE5EiNS0_10empty_typeEbEEZZNS1_14partition_implILS5_5ELb0ES3_mN6thrust23THRUST_200600_302600_NS6detail15normal_iteratorINSA_10device_ptrIiEEEEPS6_NSA_18transform_iteratorINSB_9not_fun_tI7is_trueIiEEENSC_INSD_IbEEEENSA_11use_defaultESO_EENS0_5tupleIJNSA_16discard_iteratorISO_EES6_EEENSQ_IJSG_SG_EEES6_PlJS6_EEE10hipError_tPvRmT3_T4_T5_T6_T7_T9_mT8_P12ihipStream_tbDpT10_ENKUlT_T0_E_clISt17integral_constantIbLb0EES1F_EEDaS1A_S1B_EUlS1A_E_NS1_11comp_targetILNS1_3genE3ELNS1_11target_archE908ELNS1_3gpuE7ELNS1_3repE0EEENS1_30default_config_static_selectorELNS0_4arch9wavefront6targetE0EEEvT1_
                                        ; -- End function
	.set _ZN7rocprim17ROCPRIM_400000_NS6detail17trampoline_kernelINS0_14default_configENS1_25partition_config_selectorILNS1_17partition_subalgoE5EiNS0_10empty_typeEbEEZZNS1_14partition_implILS5_5ELb0ES3_mN6thrust23THRUST_200600_302600_NS6detail15normal_iteratorINSA_10device_ptrIiEEEEPS6_NSA_18transform_iteratorINSB_9not_fun_tI7is_trueIiEEENSC_INSD_IbEEEENSA_11use_defaultESO_EENS0_5tupleIJNSA_16discard_iteratorISO_EES6_EEENSQ_IJSG_SG_EEES6_PlJS6_EEE10hipError_tPvRmT3_T4_T5_T6_T7_T9_mT8_P12ihipStream_tbDpT10_ENKUlT_T0_E_clISt17integral_constantIbLb0EES1F_EEDaS1A_S1B_EUlS1A_E_NS1_11comp_targetILNS1_3genE3ELNS1_11target_archE908ELNS1_3gpuE7ELNS1_3repE0EEENS1_30default_config_static_selectorELNS0_4arch9wavefront6targetE0EEEvT1_.num_vgpr, 0
	.set _ZN7rocprim17ROCPRIM_400000_NS6detail17trampoline_kernelINS0_14default_configENS1_25partition_config_selectorILNS1_17partition_subalgoE5EiNS0_10empty_typeEbEEZZNS1_14partition_implILS5_5ELb0ES3_mN6thrust23THRUST_200600_302600_NS6detail15normal_iteratorINSA_10device_ptrIiEEEEPS6_NSA_18transform_iteratorINSB_9not_fun_tI7is_trueIiEEENSC_INSD_IbEEEENSA_11use_defaultESO_EENS0_5tupleIJNSA_16discard_iteratorISO_EES6_EEENSQ_IJSG_SG_EEES6_PlJS6_EEE10hipError_tPvRmT3_T4_T5_T6_T7_T9_mT8_P12ihipStream_tbDpT10_ENKUlT_T0_E_clISt17integral_constantIbLb0EES1F_EEDaS1A_S1B_EUlS1A_E_NS1_11comp_targetILNS1_3genE3ELNS1_11target_archE908ELNS1_3gpuE7ELNS1_3repE0EEENS1_30default_config_static_selectorELNS0_4arch9wavefront6targetE0EEEvT1_.num_agpr, 0
	.set _ZN7rocprim17ROCPRIM_400000_NS6detail17trampoline_kernelINS0_14default_configENS1_25partition_config_selectorILNS1_17partition_subalgoE5EiNS0_10empty_typeEbEEZZNS1_14partition_implILS5_5ELb0ES3_mN6thrust23THRUST_200600_302600_NS6detail15normal_iteratorINSA_10device_ptrIiEEEEPS6_NSA_18transform_iteratorINSB_9not_fun_tI7is_trueIiEEENSC_INSD_IbEEEENSA_11use_defaultESO_EENS0_5tupleIJNSA_16discard_iteratorISO_EES6_EEENSQ_IJSG_SG_EEES6_PlJS6_EEE10hipError_tPvRmT3_T4_T5_T6_T7_T9_mT8_P12ihipStream_tbDpT10_ENKUlT_T0_E_clISt17integral_constantIbLb0EES1F_EEDaS1A_S1B_EUlS1A_E_NS1_11comp_targetILNS1_3genE3ELNS1_11target_archE908ELNS1_3gpuE7ELNS1_3repE0EEENS1_30default_config_static_selectorELNS0_4arch9wavefront6targetE0EEEvT1_.numbered_sgpr, 0
	.set _ZN7rocprim17ROCPRIM_400000_NS6detail17trampoline_kernelINS0_14default_configENS1_25partition_config_selectorILNS1_17partition_subalgoE5EiNS0_10empty_typeEbEEZZNS1_14partition_implILS5_5ELb0ES3_mN6thrust23THRUST_200600_302600_NS6detail15normal_iteratorINSA_10device_ptrIiEEEEPS6_NSA_18transform_iteratorINSB_9not_fun_tI7is_trueIiEEENSC_INSD_IbEEEENSA_11use_defaultESO_EENS0_5tupleIJNSA_16discard_iteratorISO_EES6_EEENSQ_IJSG_SG_EEES6_PlJS6_EEE10hipError_tPvRmT3_T4_T5_T6_T7_T9_mT8_P12ihipStream_tbDpT10_ENKUlT_T0_E_clISt17integral_constantIbLb0EES1F_EEDaS1A_S1B_EUlS1A_E_NS1_11comp_targetILNS1_3genE3ELNS1_11target_archE908ELNS1_3gpuE7ELNS1_3repE0EEENS1_30default_config_static_selectorELNS0_4arch9wavefront6targetE0EEEvT1_.num_named_barrier, 0
	.set _ZN7rocprim17ROCPRIM_400000_NS6detail17trampoline_kernelINS0_14default_configENS1_25partition_config_selectorILNS1_17partition_subalgoE5EiNS0_10empty_typeEbEEZZNS1_14partition_implILS5_5ELb0ES3_mN6thrust23THRUST_200600_302600_NS6detail15normal_iteratorINSA_10device_ptrIiEEEEPS6_NSA_18transform_iteratorINSB_9not_fun_tI7is_trueIiEEENSC_INSD_IbEEEENSA_11use_defaultESO_EENS0_5tupleIJNSA_16discard_iteratorISO_EES6_EEENSQ_IJSG_SG_EEES6_PlJS6_EEE10hipError_tPvRmT3_T4_T5_T6_T7_T9_mT8_P12ihipStream_tbDpT10_ENKUlT_T0_E_clISt17integral_constantIbLb0EES1F_EEDaS1A_S1B_EUlS1A_E_NS1_11comp_targetILNS1_3genE3ELNS1_11target_archE908ELNS1_3gpuE7ELNS1_3repE0EEENS1_30default_config_static_selectorELNS0_4arch9wavefront6targetE0EEEvT1_.private_seg_size, 0
	.set _ZN7rocprim17ROCPRIM_400000_NS6detail17trampoline_kernelINS0_14default_configENS1_25partition_config_selectorILNS1_17partition_subalgoE5EiNS0_10empty_typeEbEEZZNS1_14partition_implILS5_5ELb0ES3_mN6thrust23THRUST_200600_302600_NS6detail15normal_iteratorINSA_10device_ptrIiEEEEPS6_NSA_18transform_iteratorINSB_9not_fun_tI7is_trueIiEEENSC_INSD_IbEEEENSA_11use_defaultESO_EENS0_5tupleIJNSA_16discard_iteratorISO_EES6_EEENSQ_IJSG_SG_EEES6_PlJS6_EEE10hipError_tPvRmT3_T4_T5_T6_T7_T9_mT8_P12ihipStream_tbDpT10_ENKUlT_T0_E_clISt17integral_constantIbLb0EES1F_EEDaS1A_S1B_EUlS1A_E_NS1_11comp_targetILNS1_3genE3ELNS1_11target_archE908ELNS1_3gpuE7ELNS1_3repE0EEENS1_30default_config_static_selectorELNS0_4arch9wavefront6targetE0EEEvT1_.uses_vcc, 0
	.set _ZN7rocprim17ROCPRIM_400000_NS6detail17trampoline_kernelINS0_14default_configENS1_25partition_config_selectorILNS1_17partition_subalgoE5EiNS0_10empty_typeEbEEZZNS1_14partition_implILS5_5ELb0ES3_mN6thrust23THRUST_200600_302600_NS6detail15normal_iteratorINSA_10device_ptrIiEEEEPS6_NSA_18transform_iteratorINSB_9not_fun_tI7is_trueIiEEENSC_INSD_IbEEEENSA_11use_defaultESO_EENS0_5tupleIJNSA_16discard_iteratorISO_EES6_EEENSQ_IJSG_SG_EEES6_PlJS6_EEE10hipError_tPvRmT3_T4_T5_T6_T7_T9_mT8_P12ihipStream_tbDpT10_ENKUlT_T0_E_clISt17integral_constantIbLb0EES1F_EEDaS1A_S1B_EUlS1A_E_NS1_11comp_targetILNS1_3genE3ELNS1_11target_archE908ELNS1_3gpuE7ELNS1_3repE0EEENS1_30default_config_static_selectorELNS0_4arch9wavefront6targetE0EEEvT1_.uses_flat_scratch, 0
	.set _ZN7rocprim17ROCPRIM_400000_NS6detail17trampoline_kernelINS0_14default_configENS1_25partition_config_selectorILNS1_17partition_subalgoE5EiNS0_10empty_typeEbEEZZNS1_14partition_implILS5_5ELb0ES3_mN6thrust23THRUST_200600_302600_NS6detail15normal_iteratorINSA_10device_ptrIiEEEEPS6_NSA_18transform_iteratorINSB_9not_fun_tI7is_trueIiEEENSC_INSD_IbEEEENSA_11use_defaultESO_EENS0_5tupleIJNSA_16discard_iteratorISO_EES6_EEENSQ_IJSG_SG_EEES6_PlJS6_EEE10hipError_tPvRmT3_T4_T5_T6_T7_T9_mT8_P12ihipStream_tbDpT10_ENKUlT_T0_E_clISt17integral_constantIbLb0EES1F_EEDaS1A_S1B_EUlS1A_E_NS1_11comp_targetILNS1_3genE3ELNS1_11target_archE908ELNS1_3gpuE7ELNS1_3repE0EEENS1_30default_config_static_selectorELNS0_4arch9wavefront6targetE0EEEvT1_.has_dyn_sized_stack, 0
	.set _ZN7rocprim17ROCPRIM_400000_NS6detail17trampoline_kernelINS0_14default_configENS1_25partition_config_selectorILNS1_17partition_subalgoE5EiNS0_10empty_typeEbEEZZNS1_14partition_implILS5_5ELb0ES3_mN6thrust23THRUST_200600_302600_NS6detail15normal_iteratorINSA_10device_ptrIiEEEEPS6_NSA_18transform_iteratorINSB_9not_fun_tI7is_trueIiEEENSC_INSD_IbEEEENSA_11use_defaultESO_EENS0_5tupleIJNSA_16discard_iteratorISO_EES6_EEENSQ_IJSG_SG_EEES6_PlJS6_EEE10hipError_tPvRmT3_T4_T5_T6_T7_T9_mT8_P12ihipStream_tbDpT10_ENKUlT_T0_E_clISt17integral_constantIbLb0EES1F_EEDaS1A_S1B_EUlS1A_E_NS1_11comp_targetILNS1_3genE3ELNS1_11target_archE908ELNS1_3gpuE7ELNS1_3repE0EEENS1_30default_config_static_selectorELNS0_4arch9wavefront6targetE0EEEvT1_.has_recursion, 0
	.set _ZN7rocprim17ROCPRIM_400000_NS6detail17trampoline_kernelINS0_14default_configENS1_25partition_config_selectorILNS1_17partition_subalgoE5EiNS0_10empty_typeEbEEZZNS1_14partition_implILS5_5ELb0ES3_mN6thrust23THRUST_200600_302600_NS6detail15normal_iteratorINSA_10device_ptrIiEEEEPS6_NSA_18transform_iteratorINSB_9not_fun_tI7is_trueIiEEENSC_INSD_IbEEEENSA_11use_defaultESO_EENS0_5tupleIJNSA_16discard_iteratorISO_EES6_EEENSQ_IJSG_SG_EEES6_PlJS6_EEE10hipError_tPvRmT3_T4_T5_T6_T7_T9_mT8_P12ihipStream_tbDpT10_ENKUlT_T0_E_clISt17integral_constantIbLb0EES1F_EEDaS1A_S1B_EUlS1A_E_NS1_11comp_targetILNS1_3genE3ELNS1_11target_archE908ELNS1_3gpuE7ELNS1_3repE0EEENS1_30default_config_static_selectorELNS0_4arch9wavefront6targetE0EEEvT1_.has_indirect_call, 0
	.section	.AMDGPU.csdata,"",@progbits
; Kernel info:
; codeLenInByte = 0
; TotalNumSgprs: 0
; NumVgprs: 0
; ScratchSize: 0
; MemoryBound: 0
; FloatMode: 240
; IeeeMode: 1
; LDSByteSize: 0 bytes/workgroup (compile time only)
; SGPRBlocks: 0
; VGPRBlocks: 0
; NumSGPRsForWavesPerEU: 1
; NumVGPRsForWavesPerEU: 1
; Occupancy: 16
; WaveLimiterHint : 0
; COMPUTE_PGM_RSRC2:SCRATCH_EN: 0
; COMPUTE_PGM_RSRC2:USER_SGPR: 2
; COMPUTE_PGM_RSRC2:TRAP_HANDLER: 0
; COMPUTE_PGM_RSRC2:TGID_X_EN: 1
; COMPUTE_PGM_RSRC2:TGID_Y_EN: 0
; COMPUTE_PGM_RSRC2:TGID_Z_EN: 0
; COMPUTE_PGM_RSRC2:TIDIG_COMP_CNT: 0
	.section	.text._ZN7rocprim17ROCPRIM_400000_NS6detail17trampoline_kernelINS0_14default_configENS1_25partition_config_selectorILNS1_17partition_subalgoE5EiNS0_10empty_typeEbEEZZNS1_14partition_implILS5_5ELb0ES3_mN6thrust23THRUST_200600_302600_NS6detail15normal_iteratorINSA_10device_ptrIiEEEEPS6_NSA_18transform_iteratorINSB_9not_fun_tI7is_trueIiEEENSC_INSD_IbEEEENSA_11use_defaultESO_EENS0_5tupleIJNSA_16discard_iteratorISO_EES6_EEENSQ_IJSG_SG_EEES6_PlJS6_EEE10hipError_tPvRmT3_T4_T5_T6_T7_T9_mT8_P12ihipStream_tbDpT10_ENKUlT_T0_E_clISt17integral_constantIbLb0EES1F_EEDaS1A_S1B_EUlS1A_E_NS1_11comp_targetILNS1_3genE2ELNS1_11target_archE906ELNS1_3gpuE6ELNS1_3repE0EEENS1_30default_config_static_selectorELNS0_4arch9wavefront6targetE0EEEvT1_,"axG",@progbits,_ZN7rocprim17ROCPRIM_400000_NS6detail17trampoline_kernelINS0_14default_configENS1_25partition_config_selectorILNS1_17partition_subalgoE5EiNS0_10empty_typeEbEEZZNS1_14partition_implILS5_5ELb0ES3_mN6thrust23THRUST_200600_302600_NS6detail15normal_iteratorINSA_10device_ptrIiEEEEPS6_NSA_18transform_iteratorINSB_9not_fun_tI7is_trueIiEEENSC_INSD_IbEEEENSA_11use_defaultESO_EENS0_5tupleIJNSA_16discard_iteratorISO_EES6_EEENSQ_IJSG_SG_EEES6_PlJS6_EEE10hipError_tPvRmT3_T4_T5_T6_T7_T9_mT8_P12ihipStream_tbDpT10_ENKUlT_T0_E_clISt17integral_constantIbLb0EES1F_EEDaS1A_S1B_EUlS1A_E_NS1_11comp_targetILNS1_3genE2ELNS1_11target_archE906ELNS1_3gpuE6ELNS1_3repE0EEENS1_30default_config_static_selectorELNS0_4arch9wavefront6targetE0EEEvT1_,comdat
	.protected	_ZN7rocprim17ROCPRIM_400000_NS6detail17trampoline_kernelINS0_14default_configENS1_25partition_config_selectorILNS1_17partition_subalgoE5EiNS0_10empty_typeEbEEZZNS1_14partition_implILS5_5ELb0ES3_mN6thrust23THRUST_200600_302600_NS6detail15normal_iteratorINSA_10device_ptrIiEEEEPS6_NSA_18transform_iteratorINSB_9not_fun_tI7is_trueIiEEENSC_INSD_IbEEEENSA_11use_defaultESO_EENS0_5tupleIJNSA_16discard_iteratorISO_EES6_EEENSQ_IJSG_SG_EEES6_PlJS6_EEE10hipError_tPvRmT3_T4_T5_T6_T7_T9_mT8_P12ihipStream_tbDpT10_ENKUlT_T0_E_clISt17integral_constantIbLb0EES1F_EEDaS1A_S1B_EUlS1A_E_NS1_11comp_targetILNS1_3genE2ELNS1_11target_archE906ELNS1_3gpuE6ELNS1_3repE0EEENS1_30default_config_static_selectorELNS0_4arch9wavefront6targetE0EEEvT1_ ; -- Begin function _ZN7rocprim17ROCPRIM_400000_NS6detail17trampoline_kernelINS0_14default_configENS1_25partition_config_selectorILNS1_17partition_subalgoE5EiNS0_10empty_typeEbEEZZNS1_14partition_implILS5_5ELb0ES3_mN6thrust23THRUST_200600_302600_NS6detail15normal_iteratorINSA_10device_ptrIiEEEEPS6_NSA_18transform_iteratorINSB_9not_fun_tI7is_trueIiEEENSC_INSD_IbEEEENSA_11use_defaultESO_EENS0_5tupleIJNSA_16discard_iteratorISO_EES6_EEENSQ_IJSG_SG_EEES6_PlJS6_EEE10hipError_tPvRmT3_T4_T5_T6_T7_T9_mT8_P12ihipStream_tbDpT10_ENKUlT_T0_E_clISt17integral_constantIbLb0EES1F_EEDaS1A_S1B_EUlS1A_E_NS1_11comp_targetILNS1_3genE2ELNS1_11target_archE906ELNS1_3gpuE6ELNS1_3repE0EEENS1_30default_config_static_selectorELNS0_4arch9wavefront6targetE0EEEvT1_
	.globl	_ZN7rocprim17ROCPRIM_400000_NS6detail17trampoline_kernelINS0_14default_configENS1_25partition_config_selectorILNS1_17partition_subalgoE5EiNS0_10empty_typeEbEEZZNS1_14partition_implILS5_5ELb0ES3_mN6thrust23THRUST_200600_302600_NS6detail15normal_iteratorINSA_10device_ptrIiEEEEPS6_NSA_18transform_iteratorINSB_9not_fun_tI7is_trueIiEEENSC_INSD_IbEEEENSA_11use_defaultESO_EENS0_5tupleIJNSA_16discard_iteratorISO_EES6_EEENSQ_IJSG_SG_EEES6_PlJS6_EEE10hipError_tPvRmT3_T4_T5_T6_T7_T9_mT8_P12ihipStream_tbDpT10_ENKUlT_T0_E_clISt17integral_constantIbLb0EES1F_EEDaS1A_S1B_EUlS1A_E_NS1_11comp_targetILNS1_3genE2ELNS1_11target_archE906ELNS1_3gpuE6ELNS1_3repE0EEENS1_30default_config_static_selectorELNS0_4arch9wavefront6targetE0EEEvT1_
	.p2align	8
	.type	_ZN7rocprim17ROCPRIM_400000_NS6detail17trampoline_kernelINS0_14default_configENS1_25partition_config_selectorILNS1_17partition_subalgoE5EiNS0_10empty_typeEbEEZZNS1_14partition_implILS5_5ELb0ES3_mN6thrust23THRUST_200600_302600_NS6detail15normal_iteratorINSA_10device_ptrIiEEEEPS6_NSA_18transform_iteratorINSB_9not_fun_tI7is_trueIiEEENSC_INSD_IbEEEENSA_11use_defaultESO_EENS0_5tupleIJNSA_16discard_iteratorISO_EES6_EEENSQ_IJSG_SG_EEES6_PlJS6_EEE10hipError_tPvRmT3_T4_T5_T6_T7_T9_mT8_P12ihipStream_tbDpT10_ENKUlT_T0_E_clISt17integral_constantIbLb0EES1F_EEDaS1A_S1B_EUlS1A_E_NS1_11comp_targetILNS1_3genE2ELNS1_11target_archE906ELNS1_3gpuE6ELNS1_3repE0EEENS1_30default_config_static_selectorELNS0_4arch9wavefront6targetE0EEEvT1_,@function
_ZN7rocprim17ROCPRIM_400000_NS6detail17trampoline_kernelINS0_14default_configENS1_25partition_config_selectorILNS1_17partition_subalgoE5EiNS0_10empty_typeEbEEZZNS1_14partition_implILS5_5ELb0ES3_mN6thrust23THRUST_200600_302600_NS6detail15normal_iteratorINSA_10device_ptrIiEEEEPS6_NSA_18transform_iteratorINSB_9not_fun_tI7is_trueIiEEENSC_INSD_IbEEEENSA_11use_defaultESO_EENS0_5tupleIJNSA_16discard_iteratorISO_EES6_EEENSQ_IJSG_SG_EEES6_PlJS6_EEE10hipError_tPvRmT3_T4_T5_T6_T7_T9_mT8_P12ihipStream_tbDpT10_ENKUlT_T0_E_clISt17integral_constantIbLb0EES1F_EEDaS1A_S1B_EUlS1A_E_NS1_11comp_targetILNS1_3genE2ELNS1_11target_archE906ELNS1_3gpuE6ELNS1_3repE0EEENS1_30default_config_static_selectorELNS0_4arch9wavefront6targetE0EEEvT1_: ; @_ZN7rocprim17ROCPRIM_400000_NS6detail17trampoline_kernelINS0_14default_configENS1_25partition_config_selectorILNS1_17partition_subalgoE5EiNS0_10empty_typeEbEEZZNS1_14partition_implILS5_5ELb0ES3_mN6thrust23THRUST_200600_302600_NS6detail15normal_iteratorINSA_10device_ptrIiEEEEPS6_NSA_18transform_iteratorINSB_9not_fun_tI7is_trueIiEEENSC_INSD_IbEEEENSA_11use_defaultESO_EENS0_5tupleIJNSA_16discard_iteratorISO_EES6_EEENSQ_IJSG_SG_EEES6_PlJS6_EEE10hipError_tPvRmT3_T4_T5_T6_T7_T9_mT8_P12ihipStream_tbDpT10_ENKUlT_T0_E_clISt17integral_constantIbLb0EES1F_EEDaS1A_S1B_EUlS1A_E_NS1_11comp_targetILNS1_3genE2ELNS1_11target_archE906ELNS1_3gpuE6ELNS1_3repE0EEENS1_30default_config_static_selectorELNS0_4arch9wavefront6targetE0EEEvT1_
; %bb.0:
	.section	.rodata,"a",@progbits
	.p2align	6, 0x0
	.amdhsa_kernel _ZN7rocprim17ROCPRIM_400000_NS6detail17trampoline_kernelINS0_14default_configENS1_25partition_config_selectorILNS1_17partition_subalgoE5EiNS0_10empty_typeEbEEZZNS1_14partition_implILS5_5ELb0ES3_mN6thrust23THRUST_200600_302600_NS6detail15normal_iteratorINSA_10device_ptrIiEEEEPS6_NSA_18transform_iteratorINSB_9not_fun_tI7is_trueIiEEENSC_INSD_IbEEEENSA_11use_defaultESO_EENS0_5tupleIJNSA_16discard_iteratorISO_EES6_EEENSQ_IJSG_SG_EEES6_PlJS6_EEE10hipError_tPvRmT3_T4_T5_T6_T7_T9_mT8_P12ihipStream_tbDpT10_ENKUlT_T0_E_clISt17integral_constantIbLb0EES1F_EEDaS1A_S1B_EUlS1A_E_NS1_11comp_targetILNS1_3genE2ELNS1_11target_archE906ELNS1_3gpuE6ELNS1_3repE0EEENS1_30default_config_static_selectorELNS0_4arch9wavefront6targetE0EEEvT1_
		.amdhsa_group_segment_fixed_size 0
		.amdhsa_private_segment_fixed_size 0
		.amdhsa_kernarg_size 128
		.amdhsa_user_sgpr_count 2
		.amdhsa_user_sgpr_dispatch_ptr 0
		.amdhsa_user_sgpr_queue_ptr 0
		.amdhsa_user_sgpr_kernarg_segment_ptr 1
		.amdhsa_user_sgpr_dispatch_id 0
		.amdhsa_user_sgpr_private_segment_size 0
		.amdhsa_wavefront_size32 1
		.amdhsa_uses_dynamic_stack 0
		.amdhsa_enable_private_segment 0
		.amdhsa_system_sgpr_workgroup_id_x 1
		.amdhsa_system_sgpr_workgroup_id_y 0
		.amdhsa_system_sgpr_workgroup_id_z 0
		.amdhsa_system_sgpr_workgroup_info 0
		.amdhsa_system_vgpr_workitem_id 0
		.amdhsa_next_free_vgpr 1
		.amdhsa_next_free_sgpr 1
		.amdhsa_reserve_vcc 0
		.amdhsa_float_round_mode_32 0
		.amdhsa_float_round_mode_16_64 0
		.amdhsa_float_denorm_mode_32 3
		.amdhsa_float_denorm_mode_16_64 3
		.amdhsa_fp16_overflow 0
		.amdhsa_workgroup_processor_mode 1
		.amdhsa_memory_ordered 1
		.amdhsa_forward_progress 1
		.amdhsa_inst_pref_size 0
		.amdhsa_round_robin_scheduling 0
		.amdhsa_exception_fp_ieee_invalid_op 0
		.amdhsa_exception_fp_denorm_src 0
		.amdhsa_exception_fp_ieee_div_zero 0
		.amdhsa_exception_fp_ieee_overflow 0
		.amdhsa_exception_fp_ieee_underflow 0
		.amdhsa_exception_fp_ieee_inexact 0
		.amdhsa_exception_int_div_zero 0
	.end_amdhsa_kernel
	.section	.text._ZN7rocprim17ROCPRIM_400000_NS6detail17trampoline_kernelINS0_14default_configENS1_25partition_config_selectorILNS1_17partition_subalgoE5EiNS0_10empty_typeEbEEZZNS1_14partition_implILS5_5ELb0ES3_mN6thrust23THRUST_200600_302600_NS6detail15normal_iteratorINSA_10device_ptrIiEEEEPS6_NSA_18transform_iteratorINSB_9not_fun_tI7is_trueIiEEENSC_INSD_IbEEEENSA_11use_defaultESO_EENS0_5tupleIJNSA_16discard_iteratorISO_EES6_EEENSQ_IJSG_SG_EEES6_PlJS6_EEE10hipError_tPvRmT3_T4_T5_T6_T7_T9_mT8_P12ihipStream_tbDpT10_ENKUlT_T0_E_clISt17integral_constantIbLb0EES1F_EEDaS1A_S1B_EUlS1A_E_NS1_11comp_targetILNS1_3genE2ELNS1_11target_archE906ELNS1_3gpuE6ELNS1_3repE0EEENS1_30default_config_static_selectorELNS0_4arch9wavefront6targetE0EEEvT1_,"axG",@progbits,_ZN7rocprim17ROCPRIM_400000_NS6detail17trampoline_kernelINS0_14default_configENS1_25partition_config_selectorILNS1_17partition_subalgoE5EiNS0_10empty_typeEbEEZZNS1_14partition_implILS5_5ELb0ES3_mN6thrust23THRUST_200600_302600_NS6detail15normal_iteratorINSA_10device_ptrIiEEEEPS6_NSA_18transform_iteratorINSB_9not_fun_tI7is_trueIiEEENSC_INSD_IbEEEENSA_11use_defaultESO_EENS0_5tupleIJNSA_16discard_iteratorISO_EES6_EEENSQ_IJSG_SG_EEES6_PlJS6_EEE10hipError_tPvRmT3_T4_T5_T6_T7_T9_mT8_P12ihipStream_tbDpT10_ENKUlT_T0_E_clISt17integral_constantIbLb0EES1F_EEDaS1A_S1B_EUlS1A_E_NS1_11comp_targetILNS1_3genE2ELNS1_11target_archE906ELNS1_3gpuE6ELNS1_3repE0EEENS1_30default_config_static_selectorELNS0_4arch9wavefront6targetE0EEEvT1_,comdat
.Lfunc_end2785:
	.size	_ZN7rocprim17ROCPRIM_400000_NS6detail17trampoline_kernelINS0_14default_configENS1_25partition_config_selectorILNS1_17partition_subalgoE5EiNS0_10empty_typeEbEEZZNS1_14partition_implILS5_5ELb0ES3_mN6thrust23THRUST_200600_302600_NS6detail15normal_iteratorINSA_10device_ptrIiEEEEPS6_NSA_18transform_iteratorINSB_9not_fun_tI7is_trueIiEEENSC_INSD_IbEEEENSA_11use_defaultESO_EENS0_5tupleIJNSA_16discard_iteratorISO_EES6_EEENSQ_IJSG_SG_EEES6_PlJS6_EEE10hipError_tPvRmT3_T4_T5_T6_T7_T9_mT8_P12ihipStream_tbDpT10_ENKUlT_T0_E_clISt17integral_constantIbLb0EES1F_EEDaS1A_S1B_EUlS1A_E_NS1_11comp_targetILNS1_3genE2ELNS1_11target_archE906ELNS1_3gpuE6ELNS1_3repE0EEENS1_30default_config_static_selectorELNS0_4arch9wavefront6targetE0EEEvT1_, .Lfunc_end2785-_ZN7rocprim17ROCPRIM_400000_NS6detail17trampoline_kernelINS0_14default_configENS1_25partition_config_selectorILNS1_17partition_subalgoE5EiNS0_10empty_typeEbEEZZNS1_14partition_implILS5_5ELb0ES3_mN6thrust23THRUST_200600_302600_NS6detail15normal_iteratorINSA_10device_ptrIiEEEEPS6_NSA_18transform_iteratorINSB_9not_fun_tI7is_trueIiEEENSC_INSD_IbEEEENSA_11use_defaultESO_EENS0_5tupleIJNSA_16discard_iteratorISO_EES6_EEENSQ_IJSG_SG_EEES6_PlJS6_EEE10hipError_tPvRmT3_T4_T5_T6_T7_T9_mT8_P12ihipStream_tbDpT10_ENKUlT_T0_E_clISt17integral_constantIbLb0EES1F_EEDaS1A_S1B_EUlS1A_E_NS1_11comp_targetILNS1_3genE2ELNS1_11target_archE906ELNS1_3gpuE6ELNS1_3repE0EEENS1_30default_config_static_selectorELNS0_4arch9wavefront6targetE0EEEvT1_
                                        ; -- End function
	.set _ZN7rocprim17ROCPRIM_400000_NS6detail17trampoline_kernelINS0_14default_configENS1_25partition_config_selectorILNS1_17partition_subalgoE5EiNS0_10empty_typeEbEEZZNS1_14partition_implILS5_5ELb0ES3_mN6thrust23THRUST_200600_302600_NS6detail15normal_iteratorINSA_10device_ptrIiEEEEPS6_NSA_18transform_iteratorINSB_9not_fun_tI7is_trueIiEEENSC_INSD_IbEEEENSA_11use_defaultESO_EENS0_5tupleIJNSA_16discard_iteratorISO_EES6_EEENSQ_IJSG_SG_EEES6_PlJS6_EEE10hipError_tPvRmT3_T4_T5_T6_T7_T9_mT8_P12ihipStream_tbDpT10_ENKUlT_T0_E_clISt17integral_constantIbLb0EES1F_EEDaS1A_S1B_EUlS1A_E_NS1_11comp_targetILNS1_3genE2ELNS1_11target_archE906ELNS1_3gpuE6ELNS1_3repE0EEENS1_30default_config_static_selectorELNS0_4arch9wavefront6targetE0EEEvT1_.num_vgpr, 0
	.set _ZN7rocprim17ROCPRIM_400000_NS6detail17trampoline_kernelINS0_14default_configENS1_25partition_config_selectorILNS1_17partition_subalgoE5EiNS0_10empty_typeEbEEZZNS1_14partition_implILS5_5ELb0ES3_mN6thrust23THRUST_200600_302600_NS6detail15normal_iteratorINSA_10device_ptrIiEEEEPS6_NSA_18transform_iteratorINSB_9not_fun_tI7is_trueIiEEENSC_INSD_IbEEEENSA_11use_defaultESO_EENS0_5tupleIJNSA_16discard_iteratorISO_EES6_EEENSQ_IJSG_SG_EEES6_PlJS6_EEE10hipError_tPvRmT3_T4_T5_T6_T7_T9_mT8_P12ihipStream_tbDpT10_ENKUlT_T0_E_clISt17integral_constantIbLb0EES1F_EEDaS1A_S1B_EUlS1A_E_NS1_11comp_targetILNS1_3genE2ELNS1_11target_archE906ELNS1_3gpuE6ELNS1_3repE0EEENS1_30default_config_static_selectorELNS0_4arch9wavefront6targetE0EEEvT1_.num_agpr, 0
	.set _ZN7rocprim17ROCPRIM_400000_NS6detail17trampoline_kernelINS0_14default_configENS1_25partition_config_selectorILNS1_17partition_subalgoE5EiNS0_10empty_typeEbEEZZNS1_14partition_implILS5_5ELb0ES3_mN6thrust23THRUST_200600_302600_NS6detail15normal_iteratorINSA_10device_ptrIiEEEEPS6_NSA_18transform_iteratorINSB_9not_fun_tI7is_trueIiEEENSC_INSD_IbEEEENSA_11use_defaultESO_EENS0_5tupleIJNSA_16discard_iteratorISO_EES6_EEENSQ_IJSG_SG_EEES6_PlJS6_EEE10hipError_tPvRmT3_T4_T5_T6_T7_T9_mT8_P12ihipStream_tbDpT10_ENKUlT_T0_E_clISt17integral_constantIbLb0EES1F_EEDaS1A_S1B_EUlS1A_E_NS1_11comp_targetILNS1_3genE2ELNS1_11target_archE906ELNS1_3gpuE6ELNS1_3repE0EEENS1_30default_config_static_selectorELNS0_4arch9wavefront6targetE0EEEvT1_.numbered_sgpr, 0
	.set _ZN7rocprim17ROCPRIM_400000_NS6detail17trampoline_kernelINS0_14default_configENS1_25partition_config_selectorILNS1_17partition_subalgoE5EiNS0_10empty_typeEbEEZZNS1_14partition_implILS5_5ELb0ES3_mN6thrust23THRUST_200600_302600_NS6detail15normal_iteratorINSA_10device_ptrIiEEEEPS6_NSA_18transform_iteratorINSB_9not_fun_tI7is_trueIiEEENSC_INSD_IbEEEENSA_11use_defaultESO_EENS0_5tupleIJNSA_16discard_iteratorISO_EES6_EEENSQ_IJSG_SG_EEES6_PlJS6_EEE10hipError_tPvRmT3_T4_T5_T6_T7_T9_mT8_P12ihipStream_tbDpT10_ENKUlT_T0_E_clISt17integral_constantIbLb0EES1F_EEDaS1A_S1B_EUlS1A_E_NS1_11comp_targetILNS1_3genE2ELNS1_11target_archE906ELNS1_3gpuE6ELNS1_3repE0EEENS1_30default_config_static_selectorELNS0_4arch9wavefront6targetE0EEEvT1_.num_named_barrier, 0
	.set _ZN7rocprim17ROCPRIM_400000_NS6detail17trampoline_kernelINS0_14default_configENS1_25partition_config_selectorILNS1_17partition_subalgoE5EiNS0_10empty_typeEbEEZZNS1_14partition_implILS5_5ELb0ES3_mN6thrust23THRUST_200600_302600_NS6detail15normal_iteratorINSA_10device_ptrIiEEEEPS6_NSA_18transform_iteratorINSB_9not_fun_tI7is_trueIiEEENSC_INSD_IbEEEENSA_11use_defaultESO_EENS0_5tupleIJNSA_16discard_iteratorISO_EES6_EEENSQ_IJSG_SG_EEES6_PlJS6_EEE10hipError_tPvRmT3_T4_T5_T6_T7_T9_mT8_P12ihipStream_tbDpT10_ENKUlT_T0_E_clISt17integral_constantIbLb0EES1F_EEDaS1A_S1B_EUlS1A_E_NS1_11comp_targetILNS1_3genE2ELNS1_11target_archE906ELNS1_3gpuE6ELNS1_3repE0EEENS1_30default_config_static_selectorELNS0_4arch9wavefront6targetE0EEEvT1_.private_seg_size, 0
	.set _ZN7rocprim17ROCPRIM_400000_NS6detail17trampoline_kernelINS0_14default_configENS1_25partition_config_selectorILNS1_17partition_subalgoE5EiNS0_10empty_typeEbEEZZNS1_14partition_implILS5_5ELb0ES3_mN6thrust23THRUST_200600_302600_NS6detail15normal_iteratorINSA_10device_ptrIiEEEEPS6_NSA_18transform_iteratorINSB_9not_fun_tI7is_trueIiEEENSC_INSD_IbEEEENSA_11use_defaultESO_EENS0_5tupleIJNSA_16discard_iteratorISO_EES6_EEENSQ_IJSG_SG_EEES6_PlJS6_EEE10hipError_tPvRmT3_T4_T5_T6_T7_T9_mT8_P12ihipStream_tbDpT10_ENKUlT_T0_E_clISt17integral_constantIbLb0EES1F_EEDaS1A_S1B_EUlS1A_E_NS1_11comp_targetILNS1_3genE2ELNS1_11target_archE906ELNS1_3gpuE6ELNS1_3repE0EEENS1_30default_config_static_selectorELNS0_4arch9wavefront6targetE0EEEvT1_.uses_vcc, 0
	.set _ZN7rocprim17ROCPRIM_400000_NS6detail17trampoline_kernelINS0_14default_configENS1_25partition_config_selectorILNS1_17partition_subalgoE5EiNS0_10empty_typeEbEEZZNS1_14partition_implILS5_5ELb0ES3_mN6thrust23THRUST_200600_302600_NS6detail15normal_iteratorINSA_10device_ptrIiEEEEPS6_NSA_18transform_iteratorINSB_9not_fun_tI7is_trueIiEEENSC_INSD_IbEEEENSA_11use_defaultESO_EENS0_5tupleIJNSA_16discard_iteratorISO_EES6_EEENSQ_IJSG_SG_EEES6_PlJS6_EEE10hipError_tPvRmT3_T4_T5_T6_T7_T9_mT8_P12ihipStream_tbDpT10_ENKUlT_T0_E_clISt17integral_constantIbLb0EES1F_EEDaS1A_S1B_EUlS1A_E_NS1_11comp_targetILNS1_3genE2ELNS1_11target_archE906ELNS1_3gpuE6ELNS1_3repE0EEENS1_30default_config_static_selectorELNS0_4arch9wavefront6targetE0EEEvT1_.uses_flat_scratch, 0
	.set _ZN7rocprim17ROCPRIM_400000_NS6detail17trampoline_kernelINS0_14default_configENS1_25partition_config_selectorILNS1_17partition_subalgoE5EiNS0_10empty_typeEbEEZZNS1_14partition_implILS5_5ELb0ES3_mN6thrust23THRUST_200600_302600_NS6detail15normal_iteratorINSA_10device_ptrIiEEEEPS6_NSA_18transform_iteratorINSB_9not_fun_tI7is_trueIiEEENSC_INSD_IbEEEENSA_11use_defaultESO_EENS0_5tupleIJNSA_16discard_iteratorISO_EES6_EEENSQ_IJSG_SG_EEES6_PlJS6_EEE10hipError_tPvRmT3_T4_T5_T6_T7_T9_mT8_P12ihipStream_tbDpT10_ENKUlT_T0_E_clISt17integral_constantIbLb0EES1F_EEDaS1A_S1B_EUlS1A_E_NS1_11comp_targetILNS1_3genE2ELNS1_11target_archE906ELNS1_3gpuE6ELNS1_3repE0EEENS1_30default_config_static_selectorELNS0_4arch9wavefront6targetE0EEEvT1_.has_dyn_sized_stack, 0
	.set _ZN7rocprim17ROCPRIM_400000_NS6detail17trampoline_kernelINS0_14default_configENS1_25partition_config_selectorILNS1_17partition_subalgoE5EiNS0_10empty_typeEbEEZZNS1_14partition_implILS5_5ELb0ES3_mN6thrust23THRUST_200600_302600_NS6detail15normal_iteratorINSA_10device_ptrIiEEEEPS6_NSA_18transform_iteratorINSB_9not_fun_tI7is_trueIiEEENSC_INSD_IbEEEENSA_11use_defaultESO_EENS0_5tupleIJNSA_16discard_iteratorISO_EES6_EEENSQ_IJSG_SG_EEES6_PlJS6_EEE10hipError_tPvRmT3_T4_T5_T6_T7_T9_mT8_P12ihipStream_tbDpT10_ENKUlT_T0_E_clISt17integral_constantIbLb0EES1F_EEDaS1A_S1B_EUlS1A_E_NS1_11comp_targetILNS1_3genE2ELNS1_11target_archE906ELNS1_3gpuE6ELNS1_3repE0EEENS1_30default_config_static_selectorELNS0_4arch9wavefront6targetE0EEEvT1_.has_recursion, 0
	.set _ZN7rocprim17ROCPRIM_400000_NS6detail17trampoline_kernelINS0_14default_configENS1_25partition_config_selectorILNS1_17partition_subalgoE5EiNS0_10empty_typeEbEEZZNS1_14partition_implILS5_5ELb0ES3_mN6thrust23THRUST_200600_302600_NS6detail15normal_iteratorINSA_10device_ptrIiEEEEPS6_NSA_18transform_iteratorINSB_9not_fun_tI7is_trueIiEEENSC_INSD_IbEEEENSA_11use_defaultESO_EENS0_5tupleIJNSA_16discard_iteratorISO_EES6_EEENSQ_IJSG_SG_EEES6_PlJS6_EEE10hipError_tPvRmT3_T4_T5_T6_T7_T9_mT8_P12ihipStream_tbDpT10_ENKUlT_T0_E_clISt17integral_constantIbLb0EES1F_EEDaS1A_S1B_EUlS1A_E_NS1_11comp_targetILNS1_3genE2ELNS1_11target_archE906ELNS1_3gpuE6ELNS1_3repE0EEENS1_30default_config_static_selectorELNS0_4arch9wavefront6targetE0EEEvT1_.has_indirect_call, 0
	.section	.AMDGPU.csdata,"",@progbits
; Kernel info:
; codeLenInByte = 0
; TotalNumSgprs: 0
; NumVgprs: 0
; ScratchSize: 0
; MemoryBound: 0
; FloatMode: 240
; IeeeMode: 1
; LDSByteSize: 0 bytes/workgroup (compile time only)
; SGPRBlocks: 0
; VGPRBlocks: 0
; NumSGPRsForWavesPerEU: 1
; NumVGPRsForWavesPerEU: 1
; Occupancy: 16
; WaveLimiterHint : 0
; COMPUTE_PGM_RSRC2:SCRATCH_EN: 0
; COMPUTE_PGM_RSRC2:USER_SGPR: 2
; COMPUTE_PGM_RSRC2:TRAP_HANDLER: 0
; COMPUTE_PGM_RSRC2:TGID_X_EN: 1
; COMPUTE_PGM_RSRC2:TGID_Y_EN: 0
; COMPUTE_PGM_RSRC2:TGID_Z_EN: 0
; COMPUTE_PGM_RSRC2:TIDIG_COMP_CNT: 0
	.section	.text._ZN7rocprim17ROCPRIM_400000_NS6detail17trampoline_kernelINS0_14default_configENS1_25partition_config_selectorILNS1_17partition_subalgoE5EiNS0_10empty_typeEbEEZZNS1_14partition_implILS5_5ELb0ES3_mN6thrust23THRUST_200600_302600_NS6detail15normal_iteratorINSA_10device_ptrIiEEEEPS6_NSA_18transform_iteratorINSB_9not_fun_tI7is_trueIiEEENSC_INSD_IbEEEENSA_11use_defaultESO_EENS0_5tupleIJNSA_16discard_iteratorISO_EES6_EEENSQ_IJSG_SG_EEES6_PlJS6_EEE10hipError_tPvRmT3_T4_T5_T6_T7_T9_mT8_P12ihipStream_tbDpT10_ENKUlT_T0_E_clISt17integral_constantIbLb0EES1F_EEDaS1A_S1B_EUlS1A_E_NS1_11comp_targetILNS1_3genE10ELNS1_11target_archE1200ELNS1_3gpuE4ELNS1_3repE0EEENS1_30default_config_static_selectorELNS0_4arch9wavefront6targetE0EEEvT1_,"axG",@progbits,_ZN7rocprim17ROCPRIM_400000_NS6detail17trampoline_kernelINS0_14default_configENS1_25partition_config_selectorILNS1_17partition_subalgoE5EiNS0_10empty_typeEbEEZZNS1_14partition_implILS5_5ELb0ES3_mN6thrust23THRUST_200600_302600_NS6detail15normal_iteratorINSA_10device_ptrIiEEEEPS6_NSA_18transform_iteratorINSB_9not_fun_tI7is_trueIiEEENSC_INSD_IbEEEENSA_11use_defaultESO_EENS0_5tupleIJNSA_16discard_iteratorISO_EES6_EEENSQ_IJSG_SG_EEES6_PlJS6_EEE10hipError_tPvRmT3_T4_T5_T6_T7_T9_mT8_P12ihipStream_tbDpT10_ENKUlT_T0_E_clISt17integral_constantIbLb0EES1F_EEDaS1A_S1B_EUlS1A_E_NS1_11comp_targetILNS1_3genE10ELNS1_11target_archE1200ELNS1_3gpuE4ELNS1_3repE0EEENS1_30default_config_static_selectorELNS0_4arch9wavefront6targetE0EEEvT1_,comdat
	.protected	_ZN7rocprim17ROCPRIM_400000_NS6detail17trampoline_kernelINS0_14default_configENS1_25partition_config_selectorILNS1_17partition_subalgoE5EiNS0_10empty_typeEbEEZZNS1_14partition_implILS5_5ELb0ES3_mN6thrust23THRUST_200600_302600_NS6detail15normal_iteratorINSA_10device_ptrIiEEEEPS6_NSA_18transform_iteratorINSB_9not_fun_tI7is_trueIiEEENSC_INSD_IbEEEENSA_11use_defaultESO_EENS0_5tupleIJNSA_16discard_iteratorISO_EES6_EEENSQ_IJSG_SG_EEES6_PlJS6_EEE10hipError_tPvRmT3_T4_T5_T6_T7_T9_mT8_P12ihipStream_tbDpT10_ENKUlT_T0_E_clISt17integral_constantIbLb0EES1F_EEDaS1A_S1B_EUlS1A_E_NS1_11comp_targetILNS1_3genE10ELNS1_11target_archE1200ELNS1_3gpuE4ELNS1_3repE0EEENS1_30default_config_static_selectorELNS0_4arch9wavefront6targetE0EEEvT1_ ; -- Begin function _ZN7rocprim17ROCPRIM_400000_NS6detail17trampoline_kernelINS0_14default_configENS1_25partition_config_selectorILNS1_17partition_subalgoE5EiNS0_10empty_typeEbEEZZNS1_14partition_implILS5_5ELb0ES3_mN6thrust23THRUST_200600_302600_NS6detail15normal_iteratorINSA_10device_ptrIiEEEEPS6_NSA_18transform_iteratorINSB_9not_fun_tI7is_trueIiEEENSC_INSD_IbEEEENSA_11use_defaultESO_EENS0_5tupleIJNSA_16discard_iteratorISO_EES6_EEENSQ_IJSG_SG_EEES6_PlJS6_EEE10hipError_tPvRmT3_T4_T5_T6_T7_T9_mT8_P12ihipStream_tbDpT10_ENKUlT_T0_E_clISt17integral_constantIbLb0EES1F_EEDaS1A_S1B_EUlS1A_E_NS1_11comp_targetILNS1_3genE10ELNS1_11target_archE1200ELNS1_3gpuE4ELNS1_3repE0EEENS1_30default_config_static_selectorELNS0_4arch9wavefront6targetE0EEEvT1_
	.globl	_ZN7rocprim17ROCPRIM_400000_NS6detail17trampoline_kernelINS0_14default_configENS1_25partition_config_selectorILNS1_17partition_subalgoE5EiNS0_10empty_typeEbEEZZNS1_14partition_implILS5_5ELb0ES3_mN6thrust23THRUST_200600_302600_NS6detail15normal_iteratorINSA_10device_ptrIiEEEEPS6_NSA_18transform_iteratorINSB_9not_fun_tI7is_trueIiEEENSC_INSD_IbEEEENSA_11use_defaultESO_EENS0_5tupleIJNSA_16discard_iteratorISO_EES6_EEENSQ_IJSG_SG_EEES6_PlJS6_EEE10hipError_tPvRmT3_T4_T5_T6_T7_T9_mT8_P12ihipStream_tbDpT10_ENKUlT_T0_E_clISt17integral_constantIbLb0EES1F_EEDaS1A_S1B_EUlS1A_E_NS1_11comp_targetILNS1_3genE10ELNS1_11target_archE1200ELNS1_3gpuE4ELNS1_3repE0EEENS1_30default_config_static_selectorELNS0_4arch9wavefront6targetE0EEEvT1_
	.p2align	8
	.type	_ZN7rocprim17ROCPRIM_400000_NS6detail17trampoline_kernelINS0_14default_configENS1_25partition_config_selectorILNS1_17partition_subalgoE5EiNS0_10empty_typeEbEEZZNS1_14partition_implILS5_5ELb0ES3_mN6thrust23THRUST_200600_302600_NS6detail15normal_iteratorINSA_10device_ptrIiEEEEPS6_NSA_18transform_iteratorINSB_9not_fun_tI7is_trueIiEEENSC_INSD_IbEEEENSA_11use_defaultESO_EENS0_5tupleIJNSA_16discard_iteratorISO_EES6_EEENSQ_IJSG_SG_EEES6_PlJS6_EEE10hipError_tPvRmT3_T4_T5_T6_T7_T9_mT8_P12ihipStream_tbDpT10_ENKUlT_T0_E_clISt17integral_constantIbLb0EES1F_EEDaS1A_S1B_EUlS1A_E_NS1_11comp_targetILNS1_3genE10ELNS1_11target_archE1200ELNS1_3gpuE4ELNS1_3repE0EEENS1_30default_config_static_selectorELNS0_4arch9wavefront6targetE0EEEvT1_,@function
_ZN7rocprim17ROCPRIM_400000_NS6detail17trampoline_kernelINS0_14default_configENS1_25partition_config_selectorILNS1_17partition_subalgoE5EiNS0_10empty_typeEbEEZZNS1_14partition_implILS5_5ELb0ES3_mN6thrust23THRUST_200600_302600_NS6detail15normal_iteratorINSA_10device_ptrIiEEEEPS6_NSA_18transform_iteratorINSB_9not_fun_tI7is_trueIiEEENSC_INSD_IbEEEENSA_11use_defaultESO_EENS0_5tupleIJNSA_16discard_iteratorISO_EES6_EEENSQ_IJSG_SG_EEES6_PlJS6_EEE10hipError_tPvRmT3_T4_T5_T6_T7_T9_mT8_P12ihipStream_tbDpT10_ENKUlT_T0_E_clISt17integral_constantIbLb0EES1F_EEDaS1A_S1B_EUlS1A_E_NS1_11comp_targetILNS1_3genE10ELNS1_11target_archE1200ELNS1_3gpuE4ELNS1_3repE0EEENS1_30default_config_static_selectorELNS0_4arch9wavefront6targetE0EEEvT1_: ; @_ZN7rocprim17ROCPRIM_400000_NS6detail17trampoline_kernelINS0_14default_configENS1_25partition_config_selectorILNS1_17partition_subalgoE5EiNS0_10empty_typeEbEEZZNS1_14partition_implILS5_5ELb0ES3_mN6thrust23THRUST_200600_302600_NS6detail15normal_iteratorINSA_10device_ptrIiEEEEPS6_NSA_18transform_iteratorINSB_9not_fun_tI7is_trueIiEEENSC_INSD_IbEEEENSA_11use_defaultESO_EENS0_5tupleIJNSA_16discard_iteratorISO_EES6_EEENSQ_IJSG_SG_EEES6_PlJS6_EEE10hipError_tPvRmT3_T4_T5_T6_T7_T9_mT8_P12ihipStream_tbDpT10_ENKUlT_T0_E_clISt17integral_constantIbLb0EES1F_EEDaS1A_S1B_EUlS1A_E_NS1_11comp_targetILNS1_3genE10ELNS1_11target_archE1200ELNS1_3gpuE4ELNS1_3repE0EEENS1_30default_config_static_selectorELNS0_4arch9wavefront6targetE0EEEvT1_
; %bb.0:
	s_clause 0x3
	s_load_b128 s[8:11], s[0:1], 0x8
	s_load_b32 s2, s[0:1], 0x78
	s_load_b128 s[4:7], s[0:1], 0x50
	s_load_b64 s[14:15], s[0:1], 0x60
	s_mov_b32 s13, 0
	s_mul_i32 s22, ttmp9, 0x600
	v_lshlrev_b32_e32 v9, 2, v0
	v_lshrrev_b32_e32 v10, 3, v0
	v_add_nc_u32_e32 v23, 0xc0, v0
	v_add_nc_u32_e32 v22, 0x180, v0
	;; [unrolled: 1-line block ×3, first 2 shown]
	v_or_b32_e32 v19, 0x300, v0
	v_add_nc_u32_e32 v18, 0x3c0, v0
	v_add_nc_u32_e32 v17, 0x480, v0
	;; [unrolled: 1-line block ×3, first 2 shown]
	s_mov_b32 s3, -1
	s_wait_kmcnt 0x0
	s_lshl_b64 s[18:19], s[10:11], 2
	s_mul_i32 s12, s2, 0x600
	s_load_b64 s[6:7], s[6:7], 0x0
	s_add_co_i32 s16, s12, s10
	s_add_co_i32 s2, s2, -1
	s_sub_co_i32 s17, s14, s16
	s_add_nc_u64 s[20:21], s[10:11], s[12:13]
	s_addk_co_i32 s17, 0x600
	s_cmp_eq_u32 ttmp9, s2
	v_cmp_gt_u64_e64 s14, s[14:15], s[20:21]
	s_cselect_b32 s16, -1, 0
	s_cmp_lg_u32 ttmp9, s2
	s_mov_b32 s12, s22
	s_cselect_b32 s2, -1, 0
	s_add_nc_u64 s[8:9], s[8:9], s[18:19]
	s_or_b32 s18, s2, s14
	s_lshl_b64 s[14:15], s[12:13], 2
	s_and_b32 vcc_lo, exec_lo, s18
	s_wait_alu 0xfffe
	s_add_nc_u64 s[8:9], s[8:9], s[14:15]
	s_cbranch_vccz .LBB2786_2
; %bb.1:
	v_add_co_u32 v1, s2, s8, v9
	s_delay_alu instid0(VALU_DEP_1)
	v_add_co_ci_u32_e64 v2, null, s9, 0, s2
	v_lshrrev_b32_e32 v12, 3, v23
	v_lshrrev_b32_e32 v13, 3, v22
	;; [unrolled: 1-line block ×3, first 2 shown]
	s_clause 0x7
	flat_load_b32 v3, v[1:2]
	flat_load_b32 v4, v[1:2] offset:768
	flat_load_b32 v5, v[1:2] offset:1536
	;; [unrolled: 1-line block ×7, first 2 shown]
	v_lshrrev_b32_e32 v15, 3, v19
	v_and_b32_e32 v2, 28, v10
	v_lshrrev_b32_e32 v16, 3, v18
	v_lshrrev_b32_e32 v24, 3, v17
	v_lshrrev_b32_e32 v25, 3, v20
	v_and_b32_e32 v12, 60, v12
	v_and_b32_e32 v13, 0x7c, v13
	;; [unrolled: 1-line block ×4, first 2 shown]
	v_add_nc_u32_e32 v2, v2, v9
	v_and_b32_e32 v16, 0xfc, v16
	v_and_b32_e32 v24, 0xbc, v24
	;; [unrolled: 1-line block ×3, first 2 shown]
	v_add_nc_u32_e32 v12, v12, v9
	v_add_nc_u32_e32 v13, v13, v9
	;; [unrolled: 1-line block ×4, first 2 shown]
	s_mov_b32 s3, s13
	v_add_nc_u32_e32 v16, v16, v9
	v_add_nc_u32_e32 v24, v24, v9
	;; [unrolled: 1-line block ×3, first 2 shown]
	s_wait_loadcnt_dscnt 0x707
	ds_store_b32 v2, v3
	s_wait_loadcnt_dscnt 0x607
	ds_store_b32 v12, v4 offset:768
	s_wait_loadcnt_dscnt 0x507
	ds_store_b32 v13, v5 offset:1536
	;; [unrolled: 2-line block ×7, first 2 shown]
	s_wait_dscnt 0x0
	s_barrier_signal -1
	s_barrier_wait -1
.LBB2786_2:
	s_load_b64 s[14:15], s[0:1], 0x20
	v_cmp_gt_u32_e64 s2, s17, v0
	s_and_not1_b32 vcc_lo, exec_lo, s3
	s_cbranch_vccnz .LBB2786_13
; %bb.3:
	v_mov_b32_e32 v1, 0
	s_delay_alu instid0(VALU_DEP_1)
	v_dual_mov_b32 v2, v1 :: v_dual_mov_b32 v3, v1
	v_dual_mov_b32 v4, v1 :: v_dual_mov_b32 v5, v1
	v_dual_mov_b32 v6, v1 :: v_dual_mov_b32 v7, v1
	v_mov_b32_e32 v8, v1
	s_and_saveexec_b32 s3, s2
	s_cbranch_execnz .LBB2786_135
; %bb.4:
	s_wait_alu 0xfffe
	s_or_b32 exec_lo, exec_lo, s3
	s_delay_alu instid0(SALU_CYCLE_1)
	s_mov_b32 s2, exec_lo
	v_cmpx_gt_u32_e64 s17, v23
	s_cbranch_execnz .LBB2786_136
.LBB2786_5:
	s_wait_alu 0xfffe
	s_or_b32 exec_lo, exec_lo, s2
	s_delay_alu instid0(SALU_CYCLE_1)
	s_mov_b32 s2, exec_lo
	v_cmpx_gt_u32_e64 s17, v22
	s_cbranch_execnz .LBB2786_137
.LBB2786_6:
	s_wait_alu 0xfffe
	s_or_b32 exec_lo, exec_lo, s2
	s_delay_alu instid0(SALU_CYCLE_1)
	s_mov_b32 s2, exec_lo
	v_cmpx_gt_u32_e64 s17, v21
	s_cbranch_execnz .LBB2786_138
.LBB2786_7:
	s_wait_alu 0xfffe
	s_or_b32 exec_lo, exec_lo, s2
	s_delay_alu instid0(SALU_CYCLE_1)
	s_mov_b32 s2, exec_lo
	v_cmpx_gt_u32_e64 s17, v19
	s_cbranch_execnz .LBB2786_139
.LBB2786_8:
	s_wait_alu 0xfffe
	s_or_b32 exec_lo, exec_lo, s2
	s_delay_alu instid0(SALU_CYCLE_1)
	s_mov_b32 s2, exec_lo
	v_cmpx_gt_u32_e64 s17, v18
	s_cbranch_execnz .LBB2786_140
.LBB2786_9:
	s_wait_alu 0xfffe
	s_or_b32 exec_lo, exec_lo, s2
	s_delay_alu instid0(SALU_CYCLE_1)
	s_mov_b32 s2, exec_lo
	v_cmpx_gt_u32_e64 s17, v17
	s_cbranch_execnz .LBB2786_141
.LBB2786_10:
	s_wait_alu 0xfffe
	s_or_b32 exec_lo, exec_lo, s2
	s_delay_alu instid0(SALU_CYCLE_1)
	s_mov_b32 s2, exec_lo
	v_cmpx_gt_u32_e64 s17, v20
	s_cbranch_execz .LBB2786_12
.LBB2786_11:
	v_add_co_u32 v11, s3, s8, v9
	s_wait_alu 0xf1ff
	v_add_co_ci_u32_e64 v12, null, s9, 0, s3
	flat_load_b32 v8, v[11:12] offset:5376
.LBB2786_12:
	s_wait_alu 0xfffe
	s_or_b32 exec_lo, exec_lo, s2
	v_lshrrev_b32_e32 v11, 3, v23
	v_lshrrev_b32_e32 v12, 3, v22
	;; [unrolled: 1-line block ×4, first 2 shown]
	v_and_b32_e32 v10, 28, v10
	v_lshrrev_b32_e32 v15, 3, v18
	v_lshrrev_b32_e32 v16, 3, v17
	;; [unrolled: 1-line block ×3, first 2 shown]
	v_and_b32_e32 v11, 60, v11
	v_and_b32_e32 v12, 0x7c, v12
	;; [unrolled: 1-line block ×4, first 2 shown]
	v_add_nc_u32_e32 v10, v10, v9
	v_and_b32_e32 v15, 0xfc, v15
	v_and_b32_e32 v16, 0xfc, v16
	;; [unrolled: 1-line block ×3, first 2 shown]
	v_add_nc_u32_e32 v11, v11, v9
	v_add_nc_u32_e32 v12, v12, v9
	;; [unrolled: 1-line block ×7, first 2 shown]
	ds_store_b32 v10, v1
	s_wait_loadcnt_dscnt 0x1
	ds_store_b32 v11, v2 offset:768
	ds_store_b32 v12, v3 offset:1536
	;; [unrolled: 1-line block ×7, first 2 shown]
	s_wait_dscnt 0x0
	s_barrier_signal -1
	s_barrier_wait -1
.LBB2786_13:
	v_and_b32_e32 v1, 0xfc, v0
	global_inv scope:SCOPE_SE
	v_lshrrev_b32_e32 v27, 5, v0
	s_wait_kmcnt 0x0
	s_add_nc_u64 s[2:3], s[14:15], s[10:11]
	s_and_b32 vcc_lo, exec_lo, s18
	v_lshl_add_u32 v1, v0, 5, v1
	s_wait_alu 0xfffe
	s_add_nc_u64 s[2:3], s[2:3], s[12:13]
	s_mov_b32 s8, -1
	ds_load_2addr_b32 v[15:16], v1 offset1:1
	ds_load_2addr_b32 v[13:14], v1 offset0:2 offset1:3
	ds_load_2addr_b32 v[11:12], v1 offset0:4 offset1:5
	;; [unrolled: 1-line block ×3, first 2 shown]
	s_wait_loadcnt_dscnt 0x0
	s_barrier_signal -1
	s_barrier_wait -1
	global_inv scope:SCOPE_SE
	s_cbranch_vccz .LBB2786_15
; %bb.14:
	s_clause 0x7
	global_load_u8 v1, v0, s[2:3]
	global_load_u8 v2, v0, s[2:3] offset:192
	global_load_u8 v3, v0, s[2:3] offset:384
	;; [unrolled: 1-line block ×7, first 2 shown]
	v_lshrrev_b32_e32 v25, 5, v23
	v_lshrrev_b32_e32 v26, 5, v22
	v_lshrrev_b32_e32 v28, 5, v21
	v_lshrrev_b32_e32 v29, 5, v19
	v_and_b32_e32 v24, 4, v27
	v_lshrrev_b32_e32 v30, 5, v18
	v_lshrrev_b32_e32 v31, 5, v17
	;; [unrolled: 1-line block ×3, first 2 shown]
	v_and_b32_e32 v25, 12, v25
	v_and_b32_e32 v26, 28, v26
	;; [unrolled: 1-line block ×4, first 2 shown]
	v_add_nc_u32_e32 v24, v24, v0
	v_and_b32_e32 v30, 60, v30
	v_and_b32_e32 v31, 44, v31
	;; [unrolled: 1-line block ×3, first 2 shown]
	v_add_nc_u32_e32 v25, v25, v0
	v_add_nc_u32_e32 v26, v26, v0
	;; [unrolled: 1-line block ×4, first 2 shown]
	s_mov_b32 s8, 0
	v_add_nc_u32_e32 v30, v30, v0
	v_add_nc_u32_e32 v31, v31, v0
	v_add_nc_u32_e32 v32, v32, v0
	s_wait_loadcnt 0x7
	v_xor_b32_e32 v1, 1, v1
	s_wait_loadcnt 0x6
	v_xor_b32_e32 v2, 1, v2
	;; [unrolled: 2-line block ×8, first 2 shown]
	ds_store_b8 v24, v1
	ds_store_b8 v25, v2 offset:192
	ds_store_b8 v26, v3 offset:384
	;; [unrolled: 1-line block ×7, first 2 shown]
	s_wait_dscnt 0x0
	s_barrier_signal -1
	s_barrier_wait -1
.LBB2786_15:
	v_lshlrev_b32_e32 v28, 3, v0
	v_lshrrev_b32_e32 v1, 2, v0
	s_wait_alu 0xfffe
	s_and_not1_b32 vcc_lo, exec_lo, s8
	s_cbranch_vccnz .LBB2786_26
; %bb.16:
	v_mov_b32_e32 v2, 0
	s_mov_b32 s9, 0
	s_mov_b32 s8, exec_lo
	s_delay_alu instid0(VALU_DEP_1)
	v_dual_mov_b32 v3, v2 :: v_dual_mov_b32 v4, v2
	v_cmpx_gt_u32_e64 s17, v0
	s_cbranch_execnz .LBB2786_142
; %bb.17:
	s_wait_alu 0xfffe
	s_or_b32 exec_lo, exec_lo, s8
	s_delay_alu instid0(SALU_CYCLE_1)
	s_mov_b32 s8, exec_lo
	v_cmpx_gt_u32_e64 s17, v23
	s_cbranch_execnz .LBB2786_143
.LBB2786_18:
	s_wait_alu 0xfffe
	s_or_b32 exec_lo, exec_lo, s8
	s_delay_alu instid0(SALU_CYCLE_1)
	s_mov_b32 s8, exec_lo
	v_cmpx_gt_u32_e64 s17, v22
	s_cbranch_execnz .LBB2786_144
.LBB2786_19:
	s_wait_alu 0xfffe
	s_or_b32 exec_lo, exec_lo, s8
	s_delay_alu instid0(SALU_CYCLE_1)
	s_mov_b32 s8, exec_lo
	v_cmpx_gt_u32_e64 s17, v21
	s_cbranch_execnz .LBB2786_145
.LBB2786_20:
	s_wait_alu 0xfffe
	s_or_b32 exec_lo, exec_lo, s8
	s_delay_alu instid0(SALU_CYCLE_1)
	s_mov_b32 s8, exec_lo
	v_cmpx_gt_u32_e64 s17, v19
	s_cbranch_execnz .LBB2786_146
.LBB2786_21:
	s_wait_alu 0xfffe
	s_or_b32 exec_lo, exec_lo, s8
	s_delay_alu instid0(SALU_CYCLE_1)
	s_mov_b32 s8, exec_lo
	v_cmpx_gt_u32_e64 s17, v18
	s_cbranch_execnz .LBB2786_147
.LBB2786_22:
	s_wait_alu 0xfffe
	s_or_b32 exec_lo, exec_lo, s8
	s_delay_alu instid0(SALU_CYCLE_1)
	s_mov_b32 s8, exec_lo
	v_cmpx_gt_u32_e64 s17, v17
	s_cbranch_execnz .LBB2786_148
.LBB2786_23:
	s_wait_alu 0xfffe
	s_or_b32 exec_lo, exec_lo, s8
	s_delay_alu instid0(SALU_CYCLE_1)
	s_mov_b32 s8, exec_lo
	v_cmpx_gt_u32_e64 s17, v20
	s_cbranch_execz .LBB2786_25
.LBB2786_24:
	global_load_u8 v5, v0, s[2:3] offset:1344
	v_lshrrev_b32_e32 v6, 16, v3
	s_delay_alu instid0(VALU_DEP_1) | instskip(SKIP_2) | instid1(VALU_DEP_1)
	v_and_b32_e32 v6, 0xff, v6
	s_wait_loadcnt 0x0
	v_xor_b32_e32 v5, 1, v5
	v_lshlrev_b16 v5, 8, v5
	s_delay_alu instid0(VALU_DEP_1) | instskip(NEXT) | instid1(VALU_DEP_1)
	v_or_b32_e32 v5, v6, v5
	v_lshlrev_b32_e32 v5, 16, v5
	s_delay_alu instid0(VALU_DEP_1)
	v_and_or_b32 v3, 0xffff, v3, v5
.LBB2786_25:
	s_wait_alu 0xfffe
	s_or_b32 exec_lo, exec_lo, s8
	v_lshrrev_b32_e32 v5, 5, v23
	v_lshrrev_b32_e32 v6, 5, v22
	;; [unrolled: 1-line block ×4, first 2 shown]
	v_and_b32_e32 v7, 4, v27
	v_lshrrev_b32_e32 v18, 5, v18
	v_lshrrev_b32_e32 v17, 5, v17
	;; [unrolled: 1-line block ×3, first 2 shown]
	v_and_b32_e32 v5, 12, v5
	v_and_b32_e32 v6, 28, v6
	;; [unrolled: 1-line block ×4, first 2 shown]
	v_add_nc_u32_e32 v7, v7, v0
	v_and_b32_e32 v18, 60, v18
	v_and_b32_e32 v17, 60, v17
	;; [unrolled: 1-line block ×3, first 2 shown]
	v_lshrrev_b32_e32 v8, 8, v2
	v_add_nc_u32_e32 v5, v5, v0
	v_add_nc_u32_e32 v6, v6, v0
	v_lshrrev_b32_e32 v22, 24, v2
	v_add_nc_u32_e32 v21, v21, v0
	v_add_nc_u32_e32 v19, v19, v0
	;; [unrolled: 3-line block ×3, first 2 shown]
	v_lshrrev_b32_e32 v24, 24, v3
	v_add_nc_u32_e32 v20, v20, v0
	ds_store_b8 v7, v4
	ds_store_b8 v5, v8 offset:192
	ds_store_b8_d16_hi v6, v2 offset:384
	ds_store_b8 v21, v22 offset:576
	ds_store_b8 v19, v3 offset:768
	;; [unrolled: 1-line block ×3, first 2 shown]
	ds_store_b8_d16_hi v17, v3 offset:1152
	ds_store_b8 v20, v24 offset:1344
	s_wait_loadcnt_dscnt 0x0
	s_barrier_signal -1
	s_barrier_wait -1
.LBB2786_26:
	s_delay_alu instid0(VALU_DEP_1)
	v_dual_mov_b32 v2, 0 :: v_dual_and_b32 v1, 60, v1
	s_wait_loadcnt 0x0
	global_inv scope:SCOPE_SE
	s_load_b64 s[8:9], s[0:1], 0x70
	v_mbcnt_lo_u32_b32 v37, -1, 0
	v_add_nc_u32_e32 v1, v1, v28
	s_cmp_lg_u32 ttmp9, 0
	s_mov_b32 s1, -1
	s_delay_alu instid0(VALU_DEP_2)
	v_and_b32_e32 v38, 15, v37
	ds_load_2addr_b32 v[17:18], v1 offset1:1
	s_wait_loadcnt_dscnt 0x0
	s_barrier_signal -1
	s_barrier_wait -1
	global_inv scope:SCOPE_SE
	v_and_b32_e32 v33, 0xff, v17
	v_bfe_u32 v32, v17, 8, 8
	v_bfe_u32 v31, v17, 16, 8
	v_lshrrev_b32_e32 v30, 24, v17
	v_and_b32_e32 v36, 0xff, v18
	v_bfe_u32 v35, v18, 8, 8
	v_bfe_u32 v34, v18, 16, 8
	v_add3_u32 v1, v32, v33, v31
	v_lshrrev_b32_e32 v29, 24, v18
	s_delay_alu instid0(VALU_DEP_2) | instskip(NEXT) | instid1(VALU_DEP_1)
	v_add_co_u32 v1, s0, v1, v30
	v_add_co_ci_u32_e64 v3, null, 0, 0, s0
	v_cmp_ne_u32_e64 s0, 0, v38
	s_delay_alu instid0(VALU_DEP_3) | instskip(NEXT) | instid1(VALU_DEP_1)
	v_add_co_u32 v1, vcc_lo, v1, v36
	v_add_co_ci_u32_e64 v3, null, 0, v3, vcc_lo
	s_delay_alu instid0(VALU_DEP_2) | instskip(SKIP_1) | instid1(VALU_DEP_2)
	v_add_co_u32 v1, vcc_lo, v1, v35
	s_wait_alu 0xfffd
	v_add_co_ci_u32_e64 v3, null, 0, v3, vcc_lo
	s_delay_alu instid0(VALU_DEP_2) | instskip(SKIP_1) | instid1(VALU_DEP_2)
	v_add_co_u32 v1, vcc_lo, v1, v34
	s_wait_alu 0xfffd
	;; [unrolled: 4-line block ×3, first 2 shown]
	v_add_co_ci_u32_e64 v20, null, 0, v3, vcc_lo
	s_cbranch_scc0 .LBB2786_83
; %bb.27:
	v_mov_b32_e32 v3, v19
	v_mov_b32_dpp v1, v19 row_shr:1 row_mask:0xf bank_mask:0xf
	v_mov_b32_dpp v6, v2 row_shr:1 row_mask:0xf bank_mask:0xf
	v_dual_mov_b32 v5, v19 :: v_dual_mov_b32 v4, v20
	s_and_saveexec_b32 s1, s0
; %bb.28:
	s_delay_alu instid0(VALU_DEP_3) | instskip(SKIP_2) | instid1(VALU_DEP_2)
	v_add_co_u32 v5, vcc_lo, v19, v1
	s_wait_alu 0xfffd
	v_add_co_ci_u32_e64 v2, null, 0, v20, vcc_lo
	v_add_co_u32 v1, vcc_lo, 0, v5
	s_wait_alu 0xfffd
	s_delay_alu instid0(VALU_DEP_2) | instskip(NEXT) | instid1(VALU_DEP_1)
	v_add_co_ci_u32_e64 v2, null, v6, v2, vcc_lo
	v_dual_mov_b32 v4, v2 :: v_dual_mov_b32 v3, v1
; %bb.29:
	s_wait_alu 0xfffe
	s_or_b32 exec_lo, exec_lo, s1
	v_mov_b32_dpp v1, v5 row_shr:2 row_mask:0xf bank_mask:0xf
	v_mov_b32_dpp v6, v2 row_shr:2 row_mask:0xf bank_mask:0xf
	s_mov_b32 s1, exec_lo
	v_cmpx_lt_u32_e32 1, v38
; %bb.30:
	s_delay_alu instid0(VALU_DEP_3) | instskip(SKIP_2) | instid1(VALU_DEP_2)
	v_add_co_u32 v5, vcc_lo, v3, v1
	s_wait_alu 0xfffd
	v_add_co_ci_u32_e64 v2, null, 0, v4, vcc_lo
	v_add_co_u32 v1, vcc_lo, 0, v5
	s_wait_alu 0xfffd
	s_delay_alu instid0(VALU_DEP_2) | instskip(NEXT) | instid1(VALU_DEP_1)
	v_add_co_ci_u32_e64 v2, null, v6, v2, vcc_lo
	v_dual_mov_b32 v4, v2 :: v_dual_mov_b32 v3, v1
; %bb.31:
	s_wait_alu 0xfffe
	s_or_b32 exec_lo, exec_lo, s1
	v_mov_b32_dpp v1, v5 row_shr:4 row_mask:0xf bank_mask:0xf
	v_mov_b32_dpp v6, v2 row_shr:4 row_mask:0xf bank_mask:0xf
	s_mov_b32 s1, exec_lo
	v_cmpx_lt_u32_e32 3, v38
	;; [unrolled: 17-line block ×3, first 2 shown]
; %bb.34:
	s_delay_alu instid0(VALU_DEP_3) | instskip(SKIP_2) | instid1(VALU_DEP_2)
	v_add_co_u32 v5, vcc_lo, v3, v6
	s_wait_alu 0xfffd
	v_add_co_ci_u32_e64 v2, null, 0, v4, vcc_lo
	v_add_co_u32 v3, vcc_lo, 0, v5
	s_wait_alu 0xfffd
	s_delay_alu instid0(VALU_DEP_2) | instskip(NEXT) | instid1(VALU_DEP_1)
	v_add_co_ci_u32_e64 v4, null, v1, v2, vcc_lo
	v_mov_b32_e32 v2, v4
; %bb.35:
	s_wait_alu 0xfffe
	s_or_b32 exec_lo, exec_lo, s1
	ds_swizzle_b32 v6, v5 offset:swizzle(BROADCAST,32,15)
	ds_swizzle_b32 v1, v2 offset:swizzle(BROADCAST,32,15)
	v_and_b32_e32 v2, 16, v37
	s_mov_b32 s1, exec_lo
	s_delay_alu instid0(VALU_DEP_1)
	v_cmpx_ne_u32_e32 0, v2
	s_cbranch_execz .LBB2786_37
; %bb.36:
	s_wait_dscnt 0x1
	v_add_co_u32 v5, vcc_lo, v3, v6
	s_wait_alu 0xfffd
	v_add_co_ci_u32_e64 v2, null, 0, v4, vcc_lo
	s_delay_alu instid0(VALU_DEP_2) | instskip(SKIP_2) | instid1(VALU_DEP_2)
	v_add_co_u32 v3, vcc_lo, 0, v5
	s_wait_dscnt 0x0
	s_wait_alu 0xfffd
	v_add_co_ci_u32_e64 v4, null, v1, v2, vcc_lo
.LBB2786_37:
	s_wait_alu 0xfffe
	s_or_b32 exec_lo, exec_lo, s1
	s_wait_dscnt 0x0
	v_and_b32_e32 v1, 0xe0, v0
	s_mov_b32 s1, exec_lo
	s_delay_alu instid0(VALU_DEP_1) | instskip(NEXT) | instid1(VALU_DEP_1)
	v_min_u32_e32 v1, 0xa0, v1
	v_or_b32_e32 v1, 31, v1
	s_delay_alu instid0(VALU_DEP_1)
	v_cmpx_eq_u32_e64 v0, v1
; %bb.38:
	v_lshlrev_b32_e32 v1, 3, v27
	ds_store_b64 v1, v[3:4]
; %bb.39:
	s_wait_alu 0xfffe
	s_or_b32 exec_lo, exec_lo, s1
	s_delay_alu instid0(SALU_CYCLE_1)
	s_mov_b32 s1, exec_lo
	s_wait_loadcnt_dscnt 0x0
	s_barrier_signal -1
	s_barrier_wait -1
	global_inv scope:SCOPE_SE
	v_cmpx_gt_u32_e32 6, v0
	s_cbranch_execz .LBB2786_47
; %bb.40:
	ds_load_b64 v[1:2], v28
	v_and_b32_e32 v3, 7, v37
	s_mov_b32 s2, exec_lo
	s_wait_dscnt 0x0
	v_mov_b32_dpp v7, v1 row_shr:1 row_mask:0xf bank_mask:0xf
	v_mov_b32_dpp v6, v2 row_shr:1 row_mask:0xf bank_mask:0xf
	v_mov_b32_e32 v4, v1
	v_cmpx_ne_u32_e32 0, v3
; %bb.41:
	s_delay_alu instid0(VALU_DEP_4) | instskip(SKIP_2) | instid1(VALU_DEP_2)
	v_add_co_u32 v4, vcc_lo, v1, v7
	s_wait_alu 0xfffd
	v_add_co_ci_u32_e64 v2, null, 0, v2, vcc_lo
	v_add_co_u32 v1, vcc_lo, 0, v4
	s_wait_alu 0xfffd
	s_delay_alu instid0(VALU_DEP_2)
	v_add_co_ci_u32_e64 v2, null, v6, v2, vcc_lo
; %bb.42:
	s_wait_alu 0xfffe
	s_or_b32 exec_lo, exec_lo, s2
	v_mov_b32_dpp v7, v4 row_shr:2 row_mask:0xf bank_mask:0xf
	s_delay_alu instid0(VALU_DEP_2)
	v_mov_b32_dpp v6, v2 row_shr:2 row_mask:0xf bank_mask:0xf
	s_mov_b32 s2, exec_lo
	v_cmpx_lt_u32_e32 1, v3
; %bb.43:
	s_delay_alu instid0(VALU_DEP_3) | instskip(SKIP_2) | instid1(VALU_DEP_2)
	v_add_co_u32 v4, vcc_lo, v1, v7
	s_wait_alu 0xfffd
	v_add_co_ci_u32_e64 v2, null, 0, v2, vcc_lo
	v_add_co_u32 v1, vcc_lo, 0, v4
	s_wait_alu 0xfffd
	s_delay_alu instid0(VALU_DEP_2)
	v_add_co_ci_u32_e64 v2, null, v6, v2, vcc_lo
; %bb.44:
	s_wait_alu 0xfffe
	s_or_b32 exec_lo, exec_lo, s2
	v_mov_b32_dpp v6, v4 row_shr:4 row_mask:0xf bank_mask:0xf
	s_delay_alu instid0(VALU_DEP_2)
	v_mov_b32_dpp v4, v2 row_shr:4 row_mask:0xf bank_mask:0xf
	s_mov_b32 s2, exec_lo
	v_cmpx_lt_u32_e32 3, v3
; %bb.45:
	s_delay_alu instid0(VALU_DEP_3) | instskip(SKIP_2) | instid1(VALU_DEP_2)
	v_add_co_u32 v1, vcc_lo, v1, v6
	s_wait_alu 0xfffd
	v_add_co_ci_u32_e64 v2, null, 0, v2, vcc_lo
	v_add_co_u32 v1, vcc_lo, v1, 0
	s_wait_alu 0xfffd
	s_delay_alu instid0(VALU_DEP_2)
	v_add_co_ci_u32_e64 v2, null, v2, v4, vcc_lo
; %bb.46:
	s_wait_alu 0xfffe
	s_or_b32 exec_lo, exec_lo, s2
	ds_store_b64 v28, v[1:2]
.LBB2786_47:
	s_wait_alu 0xfffe
	s_or_b32 exec_lo, exec_lo, s1
	s_delay_alu instid0(SALU_CYCLE_1)
	s_mov_b32 s2, exec_lo
	v_cmp_gt_u32_e32 vcc_lo, 32, v0
	s_wait_loadcnt_dscnt 0x0
	s_barrier_signal -1
	s_barrier_wait -1
	global_inv scope:SCOPE_SE
                                        ; implicit-def: $vgpr21_vgpr22
	v_cmpx_lt_u32_e32 31, v0
	s_cbranch_execz .LBB2786_49
; %bb.48:
	v_lshl_add_u32 v1, v27, 3, -8
	ds_load_b64 v[21:22], v1
	s_wait_dscnt 0x0
	v_add_nc_u32_e32 v5, v5, v21
.LBB2786_49:
	s_wait_alu 0xfffe
	s_or_b32 exec_lo, exec_lo, s2
	v_sub_co_u32 v1, s1, v37, 1
	s_delay_alu instid0(VALU_DEP_1) | instskip(SKIP_1) | instid1(VALU_DEP_1)
	v_cmp_gt_i32_e64 s2, 0, v1
	s_wait_alu 0xf1ff
	v_cndmask_b32_e64 v1, v1, v37, s2
	s_delay_alu instid0(VALU_DEP_1)
	v_lshlrev_b32_e32 v1, 2, v1
	ds_bpermute_b32 v39, v1, v5
	s_and_saveexec_b32 s2, vcc_lo
	s_cbranch_execz .LBB2786_88
; %bb.50:
	v_mov_b32_e32 v4, 0
	ds_load_b64 v[1:2], v4 offset:40
	s_and_saveexec_b32 s3, s1
	s_cbranch_execz .LBB2786_52
; %bb.51:
	s_add_co_i32 s10, ttmp9, 32
	s_mov_b32 s11, 0
	s_delay_alu instid0(SALU_CYCLE_1)
	s_lshl_b64 s[10:11], s[10:11], 4
	s_wait_kmcnt 0x0
	s_add_nc_u64 s[10:11], s[8:9], s[10:11]
	v_mov_b32_e32 v3, 1
	v_dual_mov_b32 v5, s10 :: v_dual_mov_b32 v6, s11
	s_wait_dscnt 0x0
	;;#ASMSTART
	global_store_b128 v[5:6], v[1:4] off scope:SCOPE_DEV	
s_wait_storecnt 0x0
	;;#ASMEND
.LBB2786_52:
	s_wait_alu 0xfffe
	s_or_b32 exec_lo, exec_lo, s3
	v_xad_u32 v23, v37, -1, ttmp9
	s_mov_b32 s10, 0
	s_mov_b32 s3, exec_lo
	s_delay_alu instid0(VALU_DEP_1) | instskip(NEXT) | instid1(VALU_DEP_1)
	v_add_nc_u32_e32 v3, 32, v23
	v_lshlrev_b64_e32 v[3:4], 4, v[3:4]
	s_wait_kmcnt 0x0
	s_delay_alu instid0(VALU_DEP_1) | instskip(SKIP_1) | instid1(VALU_DEP_2)
	v_add_co_u32 v3, vcc_lo, s8, v3
	s_wait_alu 0xfffd
	v_add_co_ci_u32_e64 v4, null, s9, v4, vcc_lo
	;;#ASMSTART
	global_load_b128 v[5:8], v[3:4] off scope:SCOPE_DEV	
s_wait_loadcnt 0x0
	;;#ASMEND
	v_and_b32_e32 v8, 0xff, v7
	s_delay_alu instid0(VALU_DEP_1)
	v_cmpx_eq_u16_e32 0, v8
	s_cbranch_execz .LBB2786_55
.LBB2786_53:                            ; =>This Inner Loop Header: Depth=1
	;;#ASMSTART
	global_load_b128 v[5:8], v[3:4] off scope:SCOPE_DEV	
s_wait_loadcnt 0x0
	;;#ASMEND
	v_and_b32_e32 v8, 0xff, v7
	s_delay_alu instid0(VALU_DEP_1)
	v_cmp_ne_u16_e32 vcc_lo, 0, v8
	s_wait_alu 0xfffe
	s_or_b32 s10, vcc_lo, s10
	s_wait_alu 0xfffe
	s_and_not1_b32 exec_lo, exec_lo, s10
	s_cbranch_execnz .LBB2786_53
; %bb.54:
	s_or_b32 exec_lo, exec_lo, s10
.LBB2786_55:
	s_wait_alu 0xfffe
	s_or_b32 exec_lo, exec_lo, s3
	v_cmp_ne_u32_e32 vcc_lo, 31, v37
	v_and_b32_e32 v4, 0xff, v7
	v_lshlrev_b32_e64 v41, v37, -1
	s_mov_b32 s3, exec_lo
	s_wait_alu 0xfffd
	v_add_co_ci_u32_e64 v3, null, 0, v37, vcc_lo
	v_cmp_eq_u16_e32 vcc_lo, 2, v4
	v_mov_b32_e32 v4, v5
	s_delay_alu instid0(VALU_DEP_3)
	v_lshlrev_b32_e32 v40, 2, v3
	s_wait_alu 0xfffd
	v_and_or_b32 v3, vcc_lo, v41, 0x80000000
	ds_bpermute_b32 v24, v40, v5
	ds_bpermute_b32 v8, v40, v6
	v_ctz_i32_b32_e32 v3, v3
	s_delay_alu instid0(VALU_DEP_1)
	v_cmpx_lt_u32_e64 v37, v3
	s_cbranch_execz .LBB2786_57
; %bb.56:
	s_wait_dscnt 0x1
	v_add_co_u32 v4, vcc_lo, v5, v24
	s_wait_alu 0xfffd
	v_add_co_ci_u32_e64 v6, null, 0, v6, vcc_lo
	s_delay_alu instid0(VALU_DEP_2) | instskip(SKIP_2) | instid1(VALU_DEP_2)
	v_add_co_u32 v5, vcc_lo, 0, v4
	s_wait_dscnt 0x0
	s_wait_alu 0xfffd
	v_add_co_ci_u32_e64 v6, null, v8, v6, vcc_lo
.LBB2786_57:
	s_wait_alu 0xfffe
	s_or_b32 exec_lo, exec_lo, s3
	v_cmp_gt_u32_e32 vcc_lo, 30, v37
	v_add_nc_u32_e32 v43, 2, v37
	s_mov_b32 s3, exec_lo
	s_wait_dscnt 0x0
	s_wait_alu 0xfffd
	v_cndmask_b32_e64 v8, 0, 2, vcc_lo
	s_delay_alu instid0(VALU_DEP_1)
	v_add_lshl_u32 v42, v8, v37, 2
	ds_bpermute_b32 v24, v42, v4
	ds_bpermute_b32 v8, v42, v6
	v_cmpx_le_u32_e64 v43, v3
	s_cbranch_execz .LBB2786_59
; %bb.58:
	s_wait_dscnt 0x1
	v_add_co_u32 v4, vcc_lo, v5, v24
	s_wait_alu 0xfffd
	v_add_co_ci_u32_e64 v6, null, 0, v6, vcc_lo
	s_delay_alu instid0(VALU_DEP_2) | instskip(SKIP_2) | instid1(VALU_DEP_2)
	v_add_co_u32 v5, vcc_lo, 0, v4
	s_wait_dscnt 0x0
	s_wait_alu 0xfffd
	v_add_co_ci_u32_e64 v6, null, v8, v6, vcc_lo
.LBB2786_59:
	s_wait_alu 0xfffe
	s_or_b32 exec_lo, exec_lo, s3
	v_cmp_gt_u32_e32 vcc_lo, 28, v37
	v_add_nc_u32_e32 v45, 4, v37
	s_mov_b32 s3, exec_lo
	s_wait_dscnt 0x0
	s_wait_alu 0xfffd
	v_cndmask_b32_e64 v8, 0, 4, vcc_lo
	s_delay_alu instid0(VALU_DEP_1)
	v_add_lshl_u32 v44, v8, v37, 2
	ds_bpermute_b32 v24, v44, v4
	ds_bpermute_b32 v8, v44, v6
	v_cmpx_le_u32_e64 v45, v3
	s_cbranch_execz .LBB2786_61
; %bb.60:
	s_wait_dscnt 0x1
	v_add_co_u32 v4, vcc_lo, v5, v24
	s_wait_alu 0xfffd
	v_add_co_ci_u32_e64 v6, null, 0, v6, vcc_lo
	s_delay_alu instid0(VALU_DEP_2) | instskip(SKIP_2) | instid1(VALU_DEP_2)
	v_add_co_u32 v5, vcc_lo, 0, v4
	s_wait_dscnt 0x0
	s_wait_alu 0xfffd
	v_add_co_ci_u32_e64 v6, null, v8, v6, vcc_lo
.LBB2786_61:
	s_wait_alu 0xfffe
	s_or_b32 exec_lo, exec_lo, s3
	v_cmp_gt_u32_e32 vcc_lo, 24, v37
	v_add_nc_u32_e32 v47, 8, v37
	s_mov_b32 s3, exec_lo
	s_wait_dscnt 0x0
	s_wait_alu 0xfffd
	v_cndmask_b32_e64 v8, 0, 8, vcc_lo
	s_delay_alu instid0(VALU_DEP_1)
	v_add_lshl_u32 v46, v8, v37, 2
	ds_bpermute_b32 v24, v46, v4
	ds_bpermute_b32 v8, v46, v6
	v_cmpx_le_u32_e64 v47, v3
	s_cbranch_execz .LBB2786_63
; %bb.62:
	s_wait_dscnt 0x1
	v_add_co_u32 v4, vcc_lo, v5, v24
	s_wait_alu 0xfffd
	v_add_co_ci_u32_e64 v6, null, 0, v6, vcc_lo
	s_delay_alu instid0(VALU_DEP_2) | instskip(SKIP_2) | instid1(VALU_DEP_2)
	v_add_co_u32 v5, vcc_lo, 0, v4
	s_wait_dscnt 0x0
	s_wait_alu 0xfffd
	v_add_co_ci_u32_e64 v6, null, v8, v6, vcc_lo
.LBB2786_63:
	s_wait_alu 0xfffe
	s_or_b32 exec_lo, exec_lo, s3
	v_lshl_or_b32 v48, v37, 2, 64
	v_add_nc_u32_e32 v49, 16, v37
	s_mov_b32 s3, exec_lo
	s_wait_dscnt 0x0
	ds_bpermute_b32 v8, v48, v4
	ds_bpermute_b32 v4, v48, v6
	v_cmpx_le_u32_e64 v49, v3
	s_cbranch_execz .LBB2786_65
; %bb.64:
	s_wait_dscnt 0x1
	v_add_co_u32 v3, vcc_lo, v5, v8
	s_wait_alu 0xfffd
	v_add_co_ci_u32_e64 v6, null, 0, v6, vcc_lo
	s_delay_alu instid0(VALU_DEP_2) | instskip(SKIP_2) | instid1(VALU_DEP_2)
	v_add_co_u32 v5, vcc_lo, v3, 0
	s_wait_dscnt 0x0
	s_wait_alu 0xfffd
	v_add_co_ci_u32_e64 v6, null, v6, v4, vcc_lo
.LBB2786_65:
	s_wait_alu 0xfffe
	s_or_b32 exec_lo, exec_lo, s3
	v_mov_b32_e32 v24, 0
	s_branch .LBB2786_68
.LBB2786_66:                            ;   in Loop: Header=BB2786_68 Depth=1
	s_wait_alu 0xfffe
	s_or_b32 exec_lo, exec_lo, s3
	v_add_co_u32 v5, vcc_lo, v5, v3
	v_subrev_nc_u32_e32 v23, 32, v23
	s_wait_alu 0xfffd
	v_add_co_ci_u32_e64 v6, null, v6, v4, vcc_lo
	s_mov_b32 s3, 0
.LBB2786_67:                            ;   in Loop: Header=BB2786_68 Depth=1
	s_wait_alu 0xfffe
	s_and_b32 vcc_lo, exec_lo, s3
	s_wait_alu 0xfffe
	s_cbranch_vccnz .LBB2786_84
.LBB2786_68:                            ; =>This Loop Header: Depth=1
                                        ;     Child Loop BB2786_71 Depth 2
	v_and_b32_e32 v3, 0xff, v7
	s_mov_b32 s3, -1
	s_delay_alu instid0(VALU_DEP_1)
	v_cmp_ne_u16_e32 vcc_lo, 2, v3
	s_wait_dscnt 0x0
	v_dual_mov_b32 v3, v5 :: v_dual_mov_b32 v4, v6
                                        ; implicit-def: $vgpr5_vgpr6
	s_cmp_lg_u32 vcc_lo, exec_lo
	s_cbranch_scc1 .LBB2786_67
; %bb.69:                               ;   in Loop: Header=BB2786_68 Depth=1
	v_lshlrev_b64_e32 v[5:6], 4, v[23:24]
	s_mov_b32 s3, exec_lo
	s_delay_alu instid0(VALU_DEP_1) | instskip(SKIP_1) | instid1(VALU_DEP_2)
	v_add_co_u32 v25, vcc_lo, s8, v5
	s_wait_alu 0xfffd
	v_add_co_ci_u32_e64 v26, null, s9, v6, vcc_lo
	;;#ASMSTART
	global_load_b128 v[5:8], v[25:26] off scope:SCOPE_DEV	
s_wait_loadcnt 0x0
	;;#ASMEND
	v_and_b32_e32 v8, 0xff, v7
	s_delay_alu instid0(VALU_DEP_1)
	v_cmpx_eq_u16_e32 0, v8
	s_cbranch_execz .LBB2786_73
; %bb.70:                               ;   in Loop: Header=BB2786_68 Depth=1
	s_mov_b32 s10, 0
.LBB2786_71:                            ;   Parent Loop BB2786_68 Depth=1
                                        ; =>  This Inner Loop Header: Depth=2
	;;#ASMSTART
	global_load_b128 v[5:8], v[25:26] off scope:SCOPE_DEV	
s_wait_loadcnt 0x0
	;;#ASMEND
	v_and_b32_e32 v8, 0xff, v7
	s_delay_alu instid0(VALU_DEP_1)
	v_cmp_ne_u16_e32 vcc_lo, 0, v8
	s_wait_alu 0xfffe
	s_or_b32 s10, vcc_lo, s10
	s_wait_alu 0xfffe
	s_and_not1_b32 exec_lo, exec_lo, s10
	s_cbranch_execnz .LBB2786_71
; %bb.72:                               ;   in Loop: Header=BB2786_68 Depth=1
	s_or_b32 exec_lo, exec_lo, s10
.LBB2786_73:                            ;   in Loop: Header=BB2786_68 Depth=1
	s_wait_alu 0xfffe
	s_or_b32 exec_lo, exec_lo, s3
	v_dual_mov_b32 v25, v5 :: v_dual_and_b32 v8, 0xff, v7
	ds_bpermute_b32 v50, v40, v5
	ds_bpermute_b32 v26, v40, v6
	s_mov_b32 s3, exec_lo
	v_cmp_eq_u16_e32 vcc_lo, 2, v8
	s_wait_alu 0xfffd
	v_and_or_b32 v8, vcc_lo, v41, 0x80000000
	s_delay_alu instid0(VALU_DEP_1) | instskip(NEXT) | instid1(VALU_DEP_1)
	v_ctz_i32_b32_e32 v8, v8
	v_cmpx_lt_u32_e64 v37, v8
	s_cbranch_execz .LBB2786_75
; %bb.74:                               ;   in Loop: Header=BB2786_68 Depth=1
	s_wait_dscnt 0x1
	v_add_co_u32 v25, vcc_lo, v5, v50
	s_wait_alu 0xfffd
	v_add_co_ci_u32_e64 v6, null, 0, v6, vcc_lo
	s_delay_alu instid0(VALU_DEP_2) | instskip(SKIP_2) | instid1(VALU_DEP_2)
	v_add_co_u32 v5, vcc_lo, 0, v25
	s_wait_dscnt 0x0
	s_wait_alu 0xfffd
	v_add_co_ci_u32_e64 v6, null, v26, v6, vcc_lo
.LBB2786_75:                            ;   in Loop: Header=BB2786_68 Depth=1
	s_wait_alu 0xfffe
	s_or_b32 exec_lo, exec_lo, s3
	s_wait_dscnt 0x1
	ds_bpermute_b32 v50, v42, v25
	s_wait_dscnt 0x1
	ds_bpermute_b32 v26, v42, v6
	s_mov_b32 s3, exec_lo
	v_cmpx_le_u32_e64 v43, v8
	s_cbranch_execz .LBB2786_77
; %bb.76:                               ;   in Loop: Header=BB2786_68 Depth=1
	s_wait_dscnt 0x1
	v_add_co_u32 v25, vcc_lo, v5, v50
	s_wait_alu 0xfffd
	v_add_co_ci_u32_e64 v6, null, 0, v6, vcc_lo
	s_delay_alu instid0(VALU_DEP_2) | instskip(SKIP_2) | instid1(VALU_DEP_2)
	v_add_co_u32 v5, vcc_lo, 0, v25
	s_wait_dscnt 0x0
	s_wait_alu 0xfffd
	v_add_co_ci_u32_e64 v6, null, v26, v6, vcc_lo
.LBB2786_77:                            ;   in Loop: Header=BB2786_68 Depth=1
	s_wait_alu 0xfffe
	s_or_b32 exec_lo, exec_lo, s3
	s_wait_dscnt 0x1
	ds_bpermute_b32 v50, v44, v25
	s_wait_dscnt 0x1
	ds_bpermute_b32 v26, v44, v6
	s_mov_b32 s3, exec_lo
	v_cmpx_le_u32_e64 v45, v8
	;; [unrolled: 20-line block ×3, first 2 shown]
	s_cbranch_execz .LBB2786_81
; %bb.80:                               ;   in Loop: Header=BB2786_68 Depth=1
	s_wait_dscnt 0x1
	v_add_co_u32 v25, vcc_lo, v5, v50
	s_wait_alu 0xfffd
	v_add_co_ci_u32_e64 v6, null, 0, v6, vcc_lo
	s_delay_alu instid0(VALU_DEP_2) | instskip(SKIP_2) | instid1(VALU_DEP_2)
	v_add_co_u32 v5, vcc_lo, 0, v25
	s_wait_dscnt 0x0
	s_wait_alu 0xfffd
	v_add_co_ci_u32_e64 v6, null, v26, v6, vcc_lo
.LBB2786_81:                            ;   in Loop: Header=BB2786_68 Depth=1
	s_wait_alu 0xfffe
	s_or_b32 exec_lo, exec_lo, s3
	s_wait_dscnt 0x0
	ds_bpermute_b32 v26, v48, v25
	ds_bpermute_b32 v25, v48, v6
	s_mov_b32 s3, exec_lo
	v_cmpx_le_u32_e64 v49, v8
	s_cbranch_execz .LBB2786_66
; %bb.82:                               ;   in Loop: Header=BB2786_68 Depth=1
	s_wait_dscnt 0x1
	v_add_co_u32 v5, vcc_lo, v5, v26
	s_wait_alu 0xfffd
	v_add_co_ci_u32_e64 v6, null, 0, v6, vcc_lo
	s_delay_alu instid0(VALU_DEP_2) | instskip(SKIP_2) | instid1(VALU_DEP_2)
	v_add_co_u32 v5, vcc_lo, v5, 0
	s_wait_dscnt 0x0
	s_wait_alu 0xfffd
	v_add_co_ci_u32_e64 v6, null, v6, v25, vcc_lo
	s_branch .LBB2786_66
.LBB2786_83:
                                        ; implicit-def: $vgpr21_vgpr22
                                        ; implicit-def: $vgpr5_vgpr6
                                        ; implicit-def: $vgpr3_vgpr4
                                        ; implicit-def: $vgpr22_vgpr23
                                        ; implicit-def: $vgpr6_vgpr7
                                        ; implicit-def: $vgpr23_vgpr24
                                        ; implicit-def: $vgpr7_vgpr8
                                        ; implicit-def: $vgpr24_vgpr25
                                        ; implicit-def: $vgpr25_vgpr26
	s_and_b32 vcc_lo, exec_lo, s1
	s_wait_alu 0xfffe
	s_cbranch_vccnz .LBB2786_89
	s_branch .LBB2786_114
.LBB2786_84:
	s_and_saveexec_b32 s3, s1
	s_cbranch_execz .LBB2786_86
; %bb.85:
	s_add_co_i32 s10, ttmp9, 32
	s_mov_b32 s11, 0
	v_add_co_u32 v5, vcc_lo, v3, v1
	s_wait_alu 0xfffe
	s_lshl_b64 s[10:11], s[10:11], 4
	v_dual_mov_b32 v7, 2 :: v_dual_mov_b32 v8, 0
	s_wait_alu 0xfffe
	s_add_nc_u64 s[10:11], s[8:9], s[10:11]
	s_wait_alu 0xfffd
	v_add_co_ci_u32_e64 v6, null, v4, v2, vcc_lo
	s_wait_alu 0xfffe
	v_dual_mov_b32 v24, s11 :: v_dual_mov_b32 v23, s10
	;;#ASMSTART
	global_store_b128 v[23:24], v[5:8] off scope:SCOPE_DEV	
s_wait_storecnt 0x0
	;;#ASMEND
	ds_store_b128 v8, v[1:4] offset:6336
.LBB2786_86:
	s_wait_alu 0xfffe
	s_or_b32 exec_lo, exec_lo, s3
	v_cmp_eq_u32_e32 vcc_lo, 0, v0
	s_and_b32 exec_lo, exec_lo, vcc_lo
; %bb.87:
	v_mov_b32_e32 v1, 0
	ds_store_b64 v1, v[3:4] offset:40
.LBB2786_88:
	s_wait_alu 0xfffe
	s_or_b32 exec_lo, exec_lo, s2
	s_wait_dscnt 0x0
	v_cndmask_b32_e64 v4, v39, v21, s1
	v_cmp_ne_u32_e32 vcc_lo, 0, v0
	v_mov_b32_e32 v3, 0
	s_wait_loadcnt 0x0
	s_barrier_signal -1
	s_barrier_wait -1
	global_inv scope:SCOPE_SE
	s_wait_alu 0xfffd
	v_cndmask_b32_e32 v4, 0, v4, vcc_lo
	ds_load_b64 v[1:2], v3 offset:40
	v_cndmask_b32_e64 v5, 0, v22, s1
	s_wait_loadcnt_dscnt 0x0
	s_barrier_signal -1
	s_barrier_wait -1
	global_inv scope:SCOPE_SE
	v_cndmask_b32_e32 v5, 0, v5, vcc_lo
	v_add_co_u32 v25, vcc_lo, v1, v4
	s_wait_alu 0xfffd
	s_delay_alu instid0(VALU_DEP_2) | instskip(NEXT) | instid1(VALU_DEP_2)
	v_add_co_ci_u32_e64 v1, null, v2, v5, vcc_lo
	v_add_co_u32 v24, vcc_lo, v25, v33
	s_wait_alu 0xfffd
	s_delay_alu instid0(VALU_DEP_2) | instskip(NEXT) | instid1(VALU_DEP_2)
	v_add_co_ci_u32_e64 v1, null, 0, v1, vcc_lo
	;; [unrolled: 4-line block ×3, first 2 shown]
	v_add_co_u32 v22, vcc_lo, v23, v31
	s_wait_alu 0xfffd
	s_delay_alu instid0(VALU_DEP_2) | instskip(SKIP_4) | instid1(VALU_DEP_2)
	v_add_co_ci_u32_e64 v5, null, 0, v1, vcc_lo
	ds_load_b128 v[1:4], v3 offset:6336
	v_add_co_u32 v21, vcc_lo, v22, v30
	s_wait_alu 0xfffd
	v_add_co_ci_u32_e64 v5, null, 0, v5, vcc_lo
	v_add_co_u32 v7, vcc_lo, v21, v36
	s_wait_alu 0xfffd
	s_delay_alu instid0(VALU_DEP_2) | instskip(NEXT) | instid1(VALU_DEP_2)
	v_add_co_ci_u32_e64 v5, null, 0, v5, vcc_lo
	v_add_co_u32 v6, vcc_lo, v7, v35
	s_wait_alu 0xfffd
	s_delay_alu instid0(VALU_DEP_2) | instskip(NEXT) | instid1(VALU_DEP_2)
	v_add_co_ci_u32_e64 v8, null, 0, v5, vcc_lo
	v_add_co_u32 v5, vcc_lo, v6, v34
	s_wait_alu 0xfffd
	s_delay_alu instid0(VALU_DEP_2)
	v_add_co_ci_u32_e64 v8, null, 0, v8, vcc_lo
	s_branch .LBB2786_114
.LBB2786_89:
	s_wait_dscnt 0x0
	v_dual_mov_b32 v2, 0 :: v_dual_mov_b32 v3, v19
	v_mov_b32_dpp v4, v19 row_shr:1 row_mask:0xf bank_mask:0xf
	s_delay_alu instid0(VALU_DEP_2)
	v_mov_b32_dpp v1, v2 row_shr:1 row_mask:0xf bank_mask:0xf
	s_and_saveexec_b32 s1, s0
; %bb.90:
	s_delay_alu instid0(VALU_DEP_2) | instskip(SKIP_2) | instid1(VALU_DEP_2)
	v_add_co_u32 v3, vcc_lo, v19, v4
	s_wait_alu 0xfffd
	v_add_co_ci_u32_e64 v2, null, 0, v20, vcc_lo
	v_add_co_u32 v19, vcc_lo, 0, v3
	s_wait_alu 0xfffd
	s_delay_alu instid0(VALU_DEP_2) | instskip(NEXT) | instid1(VALU_DEP_1)
	v_add_co_ci_u32_e64 v20, null, v1, v2, vcc_lo
	v_mov_b32_e32 v2, v20
; %bb.91:
	s_wait_alu 0xfffe
	s_or_b32 exec_lo, exec_lo, s1
	v_mov_b32_dpp v1, v3 row_shr:2 row_mask:0xf bank_mask:0xf
	s_delay_alu instid0(VALU_DEP_2)
	v_mov_b32_dpp v4, v2 row_shr:2 row_mask:0xf bank_mask:0xf
	s_mov_b32 s0, exec_lo
	v_cmpx_lt_u32_e32 1, v38
; %bb.92:
	s_delay_alu instid0(VALU_DEP_3) | instskip(SKIP_2) | instid1(VALU_DEP_2)
	v_add_co_u32 v3, vcc_lo, v19, v1
	s_wait_alu 0xfffd
	v_add_co_ci_u32_e64 v2, null, 0, v20, vcc_lo
	v_add_co_u32 v1, vcc_lo, 0, v3
	s_wait_alu 0xfffd
	s_delay_alu instid0(VALU_DEP_2) | instskip(NEXT) | instid1(VALU_DEP_1)
	v_add_co_ci_u32_e64 v2, null, v4, v2, vcc_lo
	v_dual_mov_b32 v20, v2 :: v_dual_mov_b32 v19, v1
; %bb.93:
	s_wait_alu 0xfffe
	s_or_b32 exec_lo, exec_lo, s0
	v_mov_b32_dpp v1, v3 row_shr:4 row_mask:0xf bank_mask:0xf
	v_mov_b32_dpp v4, v2 row_shr:4 row_mask:0xf bank_mask:0xf
	s_mov_b32 s0, exec_lo
	v_cmpx_lt_u32_e32 3, v38
; %bb.94:
	s_delay_alu instid0(VALU_DEP_3) | instskip(SKIP_2) | instid1(VALU_DEP_2)
	v_add_co_u32 v3, vcc_lo, v19, v1
	s_wait_alu 0xfffd
	v_add_co_ci_u32_e64 v2, null, 0, v20, vcc_lo
	v_add_co_u32 v1, vcc_lo, 0, v3
	s_wait_alu 0xfffd
	s_delay_alu instid0(VALU_DEP_2) | instskip(NEXT) | instid1(VALU_DEP_1)
	v_add_co_ci_u32_e64 v2, null, v4, v2, vcc_lo
	v_dual_mov_b32 v20, v2 :: v_dual_mov_b32 v19, v1
; %bb.95:
	s_wait_alu 0xfffe
	s_or_b32 exec_lo, exec_lo, s0
	v_mov_b32_dpp v4, v3 row_shr:8 row_mask:0xf bank_mask:0xf
	v_mov_b32_dpp v1, v2 row_shr:8 row_mask:0xf bank_mask:0xf
	s_mov_b32 s0, exec_lo
	v_cmpx_lt_u32_e32 7, v38
; %bb.96:
	s_delay_alu instid0(VALU_DEP_3) | instskip(SKIP_2) | instid1(VALU_DEP_2)
	v_add_co_u32 v3, vcc_lo, v19, v4
	s_wait_alu 0xfffd
	v_add_co_ci_u32_e64 v2, null, 0, v20, vcc_lo
	v_add_co_u32 v19, vcc_lo, 0, v3
	s_wait_alu 0xfffd
	s_delay_alu instid0(VALU_DEP_2) | instskip(NEXT) | instid1(VALU_DEP_1)
	v_add_co_ci_u32_e64 v20, null, v1, v2, vcc_lo
	v_mov_b32_e32 v2, v20
; %bb.97:
	s_wait_alu 0xfffe
	s_or_b32 exec_lo, exec_lo, s0
	ds_swizzle_b32 v3, v3 offset:swizzle(BROADCAST,32,15)
	ds_swizzle_b32 v1, v2 offset:swizzle(BROADCAST,32,15)
	v_and_b32_e32 v2, 16, v37
	s_mov_b32 s0, exec_lo
	s_delay_alu instid0(VALU_DEP_1)
	v_cmpx_ne_u32_e32 0, v2
	s_cbranch_execz .LBB2786_99
; %bb.98:
	s_wait_dscnt 0x1
	v_add_co_u32 v2, vcc_lo, v19, v3
	s_wait_alu 0xfffd
	v_add_co_ci_u32_e64 v3, null, 0, v20, vcc_lo
	s_delay_alu instid0(VALU_DEP_2) | instskip(SKIP_2) | instid1(VALU_DEP_2)
	v_add_co_u32 v19, vcc_lo, v2, 0
	s_wait_dscnt 0x0
	s_wait_alu 0xfffd
	v_add_co_ci_u32_e64 v20, null, v3, v1, vcc_lo
.LBB2786_99:
	s_wait_alu 0xfffe
	s_or_b32 exec_lo, exec_lo, s0
	s_wait_dscnt 0x0
	v_and_b32_e32 v1, 0xe0, v0
	s_mov_b32 s0, exec_lo
	s_delay_alu instid0(VALU_DEP_1) | instskip(NEXT) | instid1(VALU_DEP_1)
	v_min_u32_e32 v1, 0xa0, v1
	v_or_b32_e32 v1, 31, v1
	s_delay_alu instid0(VALU_DEP_1)
	v_cmpx_eq_u32_e64 v0, v1
; %bb.100:
	v_lshlrev_b32_e32 v1, 3, v27
	ds_store_b64 v1, v[19:20]
; %bb.101:
	s_wait_alu 0xfffe
	s_or_b32 exec_lo, exec_lo, s0
	s_delay_alu instid0(SALU_CYCLE_1)
	s_mov_b32 s0, exec_lo
	s_wait_loadcnt_dscnt 0x0
	s_barrier_signal -1
	s_barrier_wait -1
	global_inv scope:SCOPE_SE
	v_cmpx_gt_u32_e32 6, v0
	s_cbranch_execz .LBB2786_109
; %bb.102:
	ds_load_b64 v[1:2], v28
	v_and_b32_e32 v3, 7, v37
	s_mov_b32 s1, exec_lo
	s_wait_dscnt 0x0
	v_mov_b32_dpp v6, v1 row_shr:1 row_mask:0xf bank_mask:0xf
	v_mov_b32_dpp v5, v2 row_shr:1 row_mask:0xf bank_mask:0xf
	v_mov_b32_e32 v4, v1
	v_cmpx_ne_u32_e32 0, v3
; %bb.103:
	s_delay_alu instid0(VALU_DEP_4) | instskip(SKIP_2) | instid1(VALU_DEP_2)
	v_add_co_u32 v4, vcc_lo, v1, v6
	s_wait_alu 0xfffd
	v_add_co_ci_u32_e64 v2, null, 0, v2, vcc_lo
	v_add_co_u32 v1, vcc_lo, 0, v4
	s_wait_alu 0xfffd
	s_delay_alu instid0(VALU_DEP_2)
	v_add_co_ci_u32_e64 v2, null, v5, v2, vcc_lo
; %bb.104:
	s_wait_alu 0xfffe
	s_or_b32 exec_lo, exec_lo, s1
	v_mov_b32_dpp v6, v4 row_shr:2 row_mask:0xf bank_mask:0xf
	s_delay_alu instid0(VALU_DEP_2)
	v_mov_b32_dpp v5, v2 row_shr:2 row_mask:0xf bank_mask:0xf
	s_mov_b32 s1, exec_lo
	v_cmpx_lt_u32_e32 1, v3
; %bb.105:
	s_delay_alu instid0(VALU_DEP_3) | instskip(SKIP_2) | instid1(VALU_DEP_2)
	v_add_co_u32 v4, vcc_lo, v1, v6
	s_wait_alu 0xfffd
	v_add_co_ci_u32_e64 v2, null, 0, v2, vcc_lo
	v_add_co_u32 v1, vcc_lo, 0, v4
	s_wait_alu 0xfffd
	s_delay_alu instid0(VALU_DEP_2)
	v_add_co_ci_u32_e64 v2, null, v5, v2, vcc_lo
; %bb.106:
	s_wait_alu 0xfffe
	s_or_b32 exec_lo, exec_lo, s1
	v_mov_b32_dpp v5, v4 row_shr:4 row_mask:0xf bank_mask:0xf
	s_delay_alu instid0(VALU_DEP_2)
	v_mov_b32_dpp v4, v2 row_shr:4 row_mask:0xf bank_mask:0xf
	s_mov_b32 s1, exec_lo
	v_cmpx_lt_u32_e32 3, v3
; %bb.107:
	s_delay_alu instid0(VALU_DEP_3) | instskip(SKIP_2) | instid1(VALU_DEP_2)
	v_add_co_u32 v1, vcc_lo, v1, v5
	s_wait_alu 0xfffd
	v_add_co_ci_u32_e64 v2, null, 0, v2, vcc_lo
	v_add_co_u32 v1, vcc_lo, v1, 0
	s_wait_alu 0xfffd
	s_delay_alu instid0(VALU_DEP_2)
	v_add_co_ci_u32_e64 v2, null, v2, v4, vcc_lo
; %bb.108:
	s_wait_alu 0xfffe
	s_or_b32 exec_lo, exec_lo, s1
	ds_store_b64 v28, v[1:2]
.LBB2786_109:
	s_wait_alu 0xfffe
	s_or_b32 exec_lo, exec_lo, s0
	v_mov_b32_e32 v5, 0
	v_mov_b32_e32 v6, 0
	s_mov_b32 s0, exec_lo
	s_wait_loadcnt_dscnt 0x0
	s_barrier_signal -1
	s_barrier_wait -1
	global_inv scope:SCOPE_SE
	v_cmpx_lt_u32_e32 31, v0
; %bb.110:
	v_lshl_add_u32 v1, v27, 3, -8
	ds_load_b64 v[5:6], v1
; %bb.111:
	s_wait_alu 0xfffe
	s_or_b32 exec_lo, exec_lo, s0
	v_sub_co_u32 v1, vcc_lo, v37, 1
	s_wait_dscnt 0x0
	v_add_nc_u32_e32 v2, v5, v19
	v_mov_b32_e32 v4, 0
	s_delay_alu instid0(VALU_DEP_3) | instskip(SKIP_1) | instid1(VALU_DEP_1)
	v_cmp_gt_i32_e64 s0, 0, v1
	s_wait_alu 0xf1ff
	v_cndmask_b32_e64 v1, v1, v37, s0
	v_cmp_eq_u32_e64 s0, 0, v0
	s_delay_alu instid0(VALU_DEP_2)
	v_lshlrev_b32_e32 v1, 2, v1
	ds_bpermute_b32 v7, v1, v2
	ds_load_b64 v[1:2], v4 offset:40
	s_and_saveexec_b32 s1, s0
	s_cbranch_execz .LBB2786_113
; %bb.112:
	s_wait_kmcnt 0x0
	s_add_nc_u64 s[2:3], s[8:9], 0x200
	s_wait_alu 0xfffe
	v_dual_mov_b32 v3, 2 :: v_dual_mov_b32 v20, s3
	v_mov_b32_e32 v19, s2
	s_wait_dscnt 0x0
	;;#ASMSTART
	global_store_b128 v[19:20], v[1:4] off scope:SCOPE_DEV	
s_wait_storecnt 0x0
	;;#ASMEND
.LBB2786_113:
	s_wait_alu 0xfffe
	s_or_b32 exec_lo, exec_lo, s1
	s_wait_dscnt 0x1
	s_wait_alu 0xfffd
	v_dual_cndmask_b32 v3, v7, v5 :: v_dual_cndmask_b32 v4, 0, v6
	s_wait_loadcnt_dscnt 0x0
	s_barrier_signal -1
	s_barrier_wait -1
	s_delay_alu instid0(VALU_DEP_1)
	v_cndmask_b32_e64 v25, v3, 0, s0
	v_cndmask_b32_e64 v3, v4, 0, s0
	global_inv scope:SCOPE_SE
	v_add_co_u32 v24, vcc_lo, v25, v33
	s_wait_alu 0xfffd
	v_add_co_ci_u32_e64 v3, null, 0, v3, vcc_lo
	s_delay_alu instid0(VALU_DEP_2) | instskip(SKIP_1) | instid1(VALU_DEP_2)
	v_add_co_u32 v23, vcc_lo, v24, v32
	s_wait_alu 0xfffd
	v_add_co_ci_u32_e64 v3, null, 0, v3, vcc_lo
	s_delay_alu instid0(VALU_DEP_2) | instskip(SKIP_1) | instid1(VALU_DEP_2)
	;; [unrolled: 4-line block ×5, first 2 shown]
	v_add_co_u32 v6, vcc_lo, v7, v35
	s_wait_alu 0xfffd
	v_add_co_ci_u32_e64 v8, null, 0, v3, vcc_lo
	v_mov_b32_e32 v3, 0
	v_mov_b32_e32 v4, 0
	v_add_co_u32 v5, vcc_lo, v6, v34
	s_wait_alu 0xfffd
	v_add_co_ci_u32_e64 v8, null, 0, v8, vcc_lo
.LBB2786_114:
	s_wait_dscnt 0x0
	v_cmp_gt_u64_e32 vcc_lo, 0xc1, v[1:2]
	v_lshrrev_b32_e32 v26, 8, v17
	v_lshrrev_b32_e32 v20, 16, v17
	v_lshrrev_b32_e32 v19, 8, v18
	v_lshrrev_b32_e32 v8, 16, v18
	s_cbranch_vccz .LBB2786_117
; %bb.115:
	v_cmp_eq_u32_e32 vcc_lo, 0, v0
	s_and_b32 s0, vcc_lo, s16
	s_wait_alu 0xfffe
	s_and_saveexec_b32 s1, s0
	s_cbranch_execnz .LBB2786_134
.LBB2786_116:
	s_endpgm
.LBB2786_117:
	v_and_b32_e32 v17, 1, v17
	s_mov_b32 s0, exec_lo
	s_delay_alu instid0(VALU_DEP_1)
	v_cmpx_eq_u32_e32 1, v17
; %bb.118:
	v_sub_nc_u32_e32 v17, v25, v3
	s_delay_alu instid0(VALU_DEP_1)
	v_lshlrev_b32_e32 v17, 2, v17
	ds_store_b32 v17, v15
; %bb.119:
	s_wait_alu 0xfffe
	s_or_b32 exec_lo, exec_lo, s0
	v_and_b32_e32 v15, 1, v26
	s_mov_b32 s0, exec_lo
	s_delay_alu instid0(VALU_DEP_1)
	v_cmpx_eq_u32_e32 1, v15
; %bb.120:
	v_sub_nc_u32_e32 v15, v24, v3
	s_delay_alu instid0(VALU_DEP_1)
	v_lshlrev_b32_e32 v15, 2, v15
	ds_store_b32 v15, v16
; %bb.121:
	s_wait_alu 0xfffe
	s_or_b32 exec_lo, exec_lo, s0
	;; [unrolled: 12-line block ×8, first 2 shown]
	s_wait_loadcnt_dscnt 0x0
	s_barrier_signal -1
	s_barrier_wait -1
	global_inv scope:SCOPE_SE
	v_cmp_eq_u32_e32 vcc_lo, 0, v0
	s_and_b32 s0, vcc_lo, s16
	s_wait_alu 0xfffe
	s_and_saveexec_b32 s1, s0
	s_cbranch_execz .LBB2786_116
.LBB2786_134:
	v_add_co_u32 v0, vcc_lo, v1, s6
	s_wait_alu 0xfffd
	v_add_co_ci_u32_e64 v1, null, s7, v2, vcc_lo
	v_mov_b32_e32 v2, 0
	s_delay_alu instid0(VALU_DEP_3) | instskip(SKIP_1) | instid1(VALU_DEP_3)
	v_add_co_u32 v0, vcc_lo, v0, v3
	s_wait_alu 0xfffd
	v_add_co_ci_u32_e64 v1, null, v1, v4, vcc_lo
	global_store_b64 v2, v[0:1], s[4:5]
	s_endpgm
.LBB2786_135:
	v_add_co_u32 v2, s2, s8, v9
	s_wait_alu 0xf1ff
	v_add_co_ci_u32_e64 v3, null, s9, 0, s2
	v_dual_mov_b32 v25, v1 :: v_dual_mov_b32 v26, v1
	v_dual_mov_b32 v27, v1 :: v_dual_mov_b32 v28, v1
	flat_load_b32 v24, v[2:3]
	v_dual_mov_b32 v29, v1 :: v_dual_mov_b32 v30, v1
	v_mov_b32_e32 v31, v1
	s_wait_loadcnt_dscnt 0x0
	v_dual_mov_b32 v1, v24 :: v_dual_mov_b32 v2, v25
	v_dual_mov_b32 v3, v26 :: v_dual_mov_b32 v4, v27
	;; [unrolled: 1-line block ×4, first 2 shown]
	s_wait_alu 0xfffe
	s_or_b32 exec_lo, exec_lo, s3
	s_delay_alu instid0(SALU_CYCLE_1)
	s_mov_b32 s2, exec_lo
	v_cmpx_gt_u32_e64 s17, v23
	s_cbranch_execz .LBB2786_5
.LBB2786_136:
	v_add_co_u32 v11, s3, s8, v9
	s_wait_alu 0xf1ff
	v_add_co_ci_u32_e64 v12, null, s9, 0, s3
	flat_load_b32 v2, v[11:12] offset:768
	s_wait_alu 0xfffe
	s_or_b32 exec_lo, exec_lo, s2
	s_delay_alu instid0(SALU_CYCLE_1)
	s_mov_b32 s2, exec_lo
	v_cmpx_gt_u32_e64 s17, v22
	s_cbranch_execz .LBB2786_6
.LBB2786_137:
	v_add_co_u32 v11, s3, s8, v9
	s_wait_alu 0xf1ff
	v_add_co_ci_u32_e64 v12, null, s9, 0, s3
	flat_load_b32 v3, v[11:12] offset:1536
	s_wait_alu 0xfffe
	s_or_b32 exec_lo, exec_lo, s2
	s_delay_alu instid0(SALU_CYCLE_1)
	s_mov_b32 s2, exec_lo
	v_cmpx_gt_u32_e64 s17, v21
	s_cbranch_execz .LBB2786_7
.LBB2786_138:
	v_add_co_u32 v11, s3, s8, v9
	s_wait_alu 0xf1ff
	v_add_co_ci_u32_e64 v12, null, s9, 0, s3
	flat_load_b32 v4, v[11:12] offset:2304
	s_wait_alu 0xfffe
	s_or_b32 exec_lo, exec_lo, s2
	s_delay_alu instid0(SALU_CYCLE_1)
	s_mov_b32 s2, exec_lo
	v_cmpx_gt_u32_e64 s17, v19
	s_cbranch_execz .LBB2786_8
.LBB2786_139:
	v_add_co_u32 v11, s3, s8, v9
	s_wait_alu 0xf1ff
	v_add_co_ci_u32_e64 v12, null, s9, 0, s3
	flat_load_b32 v5, v[11:12] offset:3072
	s_wait_alu 0xfffe
	s_or_b32 exec_lo, exec_lo, s2
	s_delay_alu instid0(SALU_CYCLE_1)
	s_mov_b32 s2, exec_lo
	v_cmpx_gt_u32_e64 s17, v18
	s_cbranch_execz .LBB2786_9
.LBB2786_140:
	v_add_co_u32 v11, s3, s8, v9
	s_wait_alu 0xf1ff
	v_add_co_ci_u32_e64 v12, null, s9, 0, s3
	flat_load_b32 v6, v[11:12] offset:3840
	s_wait_alu 0xfffe
	s_or_b32 exec_lo, exec_lo, s2
	s_delay_alu instid0(SALU_CYCLE_1)
	s_mov_b32 s2, exec_lo
	v_cmpx_gt_u32_e64 s17, v17
	s_cbranch_execz .LBB2786_10
.LBB2786_141:
	v_add_co_u32 v11, s3, s8, v9
	s_wait_alu 0xf1ff
	v_add_co_ci_u32_e64 v12, null, s9, 0, s3
	flat_load_b32 v7, v[11:12] offset:4608
	s_wait_alu 0xfffe
	s_or_b32 exec_lo, exec_lo, s2
	s_delay_alu instid0(SALU_CYCLE_1)
	s_mov_b32 s2, exec_lo
	v_cmpx_gt_u32_e64 s17, v20
	s_cbranch_execnz .LBB2786_11
	s_branch .LBB2786_12
.LBB2786_142:
	global_load_u8 v2, v0, s[2:3]
	s_wait_alu 0xfffe
	v_mov_b32_e32 v3, s9
	s_wait_loadcnt 0x0
	v_xor_b32_e32 v4, 1, v2
	s_delay_alu instid0(VALU_DEP_1) | instskip(NEXT) | instid1(VALU_DEP_1)
	v_and_b32_e32 v2, 1, v4
	v_and_b32_e32 v2, 0xffff, v2
	s_or_b32 exec_lo, exec_lo, s8
	s_delay_alu instid0(SALU_CYCLE_1)
	s_mov_b32 s8, exec_lo
	v_cmpx_gt_u32_e64 s17, v23
	s_cbranch_execz .LBB2786_18
.LBB2786_143:
	global_load_u8 v5, v0, s[2:3] offset:192
	v_and_b32_e32 v6, 0xff, v2
	s_wait_loadcnt 0x0
	v_xor_b32_e32 v5, 1, v5
	s_delay_alu instid0(VALU_DEP_1) | instskip(NEXT) | instid1(VALU_DEP_1)
	v_lshlrev_b16 v5, 8, v5
	v_or_b32_e32 v5, v6, v5
	s_delay_alu instid0(VALU_DEP_1) | instskip(NEXT) | instid1(VALU_DEP_1)
	v_and_b32_e32 v5, 0xffff, v5
	v_and_or_b32 v2, 0xffff0000, v2, v5
	s_wait_alu 0xfffe
	s_or_b32 exec_lo, exec_lo, s8
	s_delay_alu instid0(SALU_CYCLE_1)
	s_mov_b32 s8, exec_lo
	v_cmpx_gt_u32_e64 s17, v22
	s_cbranch_execz .LBB2786_19
.LBB2786_144:
	global_load_u8 v5, v0, s[2:3] offset:384
	v_lshrrev_b32_e32 v6, 16, v2
	s_delay_alu instid0(VALU_DEP_1) | instskip(SKIP_2) | instid1(VALU_DEP_1)
	v_and_b32_e32 v6, 0xffffff00, v6
	s_wait_loadcnt 0x0
	v_xor_b32_e32 v5, 1, v5
	v_or_b32_e32 v5, v5, v6
	s_delay_alu instid0(VALU_DEP_1) | instskip(NEXT) | instid1(VALU_DEP_1)
	v_lshlrev_b32_e32 v5, 16, v5
	v_and_or_b32 v2, 0xffff, v2, v5
	s_wait_alu 0xfffe
	s_or_b32 exec_lo, exec_lo, s8
	s_delay_alu instid0(SALU_CYCLE_1)
	s_mov_b32 s8, exec_lo
	v_cmpx_gt_u32_e64 s17, v21
	s_cbranch_execz .LBB2786_20
.LBB2786_145:
	global_load_u8 v5, v0, s[2:3] offset:576
	v_lshrrev_b32_e32 v6, 16, v2
	s_delay_alu instid0(VALU_DEP_1) | instskip(SKIP_2) | instid1(VALU_DEP_1)
	v_and_b32_e32 v6, 0xff, v6
	s_wait_loadcnt 0x0
	v_xor_b32_e32 v5, 1, v5
	v_lshlrev_b16 v5, 8, v5
	s_delay_alu instid0(VALU_DEP_1) | instskip(NEXT) | instid1(VALU_DEP_1)
	v_or_b32_e32 v5, v6, v5
	v_lshlrev_b32_e32 v5, 16, v5
	s_delay_alu instid0(VALU_DEP_1) | instskip(SKIP_2) | instid1(SALU_CYCLE_1)
	v_and_or_b32 v2, 0xffff, v2, v5
	s_wait_alu 0xfffe
	s_or_b32 exec_lo, exec_lo, s8
	s_mov_b32 s8, exec_lo
	v_cmpx_gt_u32_e64 s17, v19
	s_cbranch_execz .LBB2786_21
.LBB2786_146:
	global_load_u8 v5, v0, s[2:3] offset:768
	v_and_b32_e32 v6, 0xffffff00, v3
	s_wait_loadcnt 0x0
	v_xor_b32_e32 v5, 1, v5
	s_delay_alu instid0(VALU_DEP_1) | instskip(NEXT) | instid1(VALU_DEP_1)
	v_or_b32_e32 v5, v5, v6
	v_and_b32_e32 v5, 0xffff, v5
	s_delay_alu instid0(VALU_DEP_1) | instskip(SKIP_2) | instid1(SALU_CYCLE_1)
	v_and_or_b32 v3, 0xffff0000, v3, v5
	s_wait_alu 0xfffe
	s_or_b32 exec_lo, exec_lo, s8
	s_mov_b32 s8, exec_lo
	v_cmpx_gt_u32_e64 s17, v18
	s_cbranch_execz .LBB2786_22
.LBB2786_147:
	global_load_u8 v5, v0, s[2:3] offset:960
	v_and_b32_e32 v6, 0xff, v3
	s_wait_loadcnt 0x0
	v_xor_b32_e32 v5, 1, v5
	s_delay_alu instid0(VALU_DEP_1) | instskip(NEXT) | instid1(VALU_DEP_1)
	v_lshlrev_b16 v5, 8, v5
	v_or_b32_e32 v5, v6, v5
	s_delay_alu instid0(VALU_DEP_1) | instskip(NEXT) | instid1(VALU_DEP_1)
	v_and_b32_e32 v5, 0xffff, v5
	v_and_or_b32 v3, 0xffff0000, v3, v5
	s_wait_alu 0xfffe
	s_or_b32 exec_lo, exec_lo, s8
	s_delay_alu instid0(SALU_CYCLE_1)
	s_mov_b32 s8, exec_lo
	v_cmpx_gt_u32_e64 s17, v17
	s_cbranch_execz .LBB2786_23
.LBB2786_148:
	global_load_u8 v5, v0, s[2:3] offset:1152
	v_lshrrev_b32_e32 v6, 16, v3
	s_delay_alu instid0(VALU_DEP_1) | instskip(SKIP_2) | instid1(VALU_DEP_1)
	v_and_b32_e32 v6, 0xffffff00, v6
	s_wait_loadcnt 0x0
	v_xor_b32_e32 v5, 1, v5
	v_or_b32_e32 v5, v5, v6
	s_delay_alu instid0(VALU_DEP_1) | instskip(NEXT) | instid1(VALU_DEP_1)
	v_lshlrev_b32_e32 v5, 16, v5
	v_and_or_b32 v3, 0xffff, v3, v5
	s_wait_alu 0xfffe
	s_or_b32 exec_lo, exec_lo, s8
	s_delay_alu instid0(SALU_CYCLE_1)
	s_mov_b32 s8, exec_lo
	v_cmpx_gt_u32_e64 s17, v20
	s_cbranch_execnz .LBB2786_24
	s_branch .LBB2786_25
	.section	.rodata,"a",@progbits
	.p2align	6, 0x0
	.amdhsa_kernel _ZN7rocprim17ROCPRIM_400000_NS6detail17trampoline_kernelINS0_14default_configENS1_25partition_config_selectorILNS1_17partition_subalgoE5EiNS0_10empty_typeEbEEZZNS1_14partition_implILS5_5ELb0ES3_mN6thrust23THRUST_200600_302600_NS6detail15normal_iteratorINSA_10device_ptrIiEEEEPS6_NSA_18transform_iteratorINSB_9not_fun_tI7is_trueIiEEENSC_INSD_IbEEEENSA_11use_defaultESO_EENS0_5tupleIJNSA_16discard_iteratorISO_EES6_EEENSQ_IJSG_SG_EEES6_PlJS6_EEE10hipError_tPvRmT3_T4_T5_T6_T7_T9_mT8_P12ihipStream_tbDpT10_ENKUlT_T0_E_clISt17integral_constantIbLb0EES1F_EEDaS1A_S1B_EUlS1A_E_NS1_11comp_targetILNS1_3genE10ELNS1_11target_archE1200ELNS1_3gpuE4ELNS1_3repE0EEENS1_30default_config_static_selectorELNS0_4arch9wavefront6targetE0EEEvT1_
		.amdhsa_group_segment_fixed_size 6352
		.amdhsa_private_segment_fixed_size 0
		.amdhsa_kernarg_size 128
		.amdhsa_user_sgpr_count 2
		.amdhsa_user_sgpr_dispatch_ptr 0
		.amdhsa_user_sgpr_queue_ptr 0
		.amdhsa_user_sgpr_kernarg_segment_ptr 1
		.amdhsa_user_sgpr_dispatch_id 0
		.amdhsa_user_sgpr_private_segment_size 0
		.amdhsa_wavefront_size32 1
		.amdhsa_uses_dynamic_stack 0
		.amdhsa_enable_private_segment 0
		.amdhsa_system_sgpr_workgroup_id_x 1
		.amdhsa_system_sgpr_workgroup_id_y 0
		.amdhsa_system_sgpr_workgroup_id_z 0
		.amdhsa_system_sgpr_workgroup_info 0
		.amdhsa_system_vgpr_workitem_id 0
		.amdhsa_next_free_vgpr 51
		.amdhsa_next_free_sgpr 23
		.amdhsa_reserve_vcc 1
		.amdhsa_float_round_mode_32 0
		.amdhsa_float_round_mode_16_64 0
		.amdhsa_float_denorm_mode_32 3
		.amdhsa_float_denorm_mode_16_64 3
		.amdhsa_fp16_overflow 0
		.amdhsa_workgroup_processor_mode 1
		.amdhsa_memory_ordered 1
		.amdhsa_forward_progress 1
		.amdhsa_inst_pref_size 64
		.amdhsa_round_robin_scheduling 0
		.amdhsa_exception_fp_ieee_invalid_op 0
		.amdhsa_exception_fp_denorm_src 0
		.amdhsa_exception_fp_ieee_div_zero 0
		.amdhsa_exception_fp_ieee_overflow 0
		.amdhsa_exception_fp_ieee_underflow 0
		.amdhsa_exception_fp_ieee_inexact 0
		.amdhsa_exception_int_div_zero 0
	.end_amdhsa_kernel
	.section	.text._ZN7rocprim17ROCPRIM_400000_NS6detail17trampoline_kernelINS0_14default_configENS1_25partition_config_selectorILNS1_17partition_subalgoE5EiNS0_10empty_typeEbEEZZNS1_14partition_implILS5_5ELb0ES3_mN6thrust23THRUST_200600_302600_NS6detail15normal_iteratorINSA_10device_ptrIiEEEEPS6_NSA_18transform_iteratorINSB_9not_fun_tI7is_trueIiEEENSC_INSD_IbEEEENSA_11use_defaultESO_EENS0_5tupleIJNSA_16discard_iteratorISO_EES6_EEENSQ_IJSG_SG_EEES6_PlJS6_EEE10hipError_tPvRmT3_T4_T5_T6_T7_T9_mT8_P12ihipStream_tbDpT10_ENKUlT_T0_E_clISt17integral_constantIbLb0EES1F_EEDaS1A_S1B_EUlS1A_E_NS1_11comp_targetILNS1_3genE10ELNS1_11target_archE1200ELNS1_3gpuE4ELNS1_3repE0EEENS1_30default_config_static_selectorELNS0_4arch9wavefront6targetE0EEEvT1_,"axG",@progbits,_ZN7rocprim17ROCPRIM_400000_NS6detail17trampoline_kernelINS0_14default_configENS1_25partition_config_selectorILNS1_17partition_subalgoE5EiNS0_10empty_typeEbEEZZNS1_14partition_implILS5_5ELb0ES3_mN6thrust23THRUST_200600_302600_NS6detail15normal_iteratorINSA_10device_ptrIiEEEEPS6_NSA_18transform_iteratorINSB_9not_fun_tI7is_trueIiEEENSC_INSD_IbEEEENSA_11use_defaultESO_EENS0_5tupleIJNSA_16discard_iteratorISO_EES6_EEENSQ_IJSG_SG_EEES6_PlJS6_EEE10hipError_tPvRmT3_T4_T5_T6_T7_T9_mT8_P12ihipStream_tbDpT10_ENKUlT_T0_E_clISt17integral_constantIbLb0EES1F_EEDaS1A_S1B_EUlS1A_E_NS1_11comp_targetILNS1_3genE10ELNS1_11target_archE1200ELNS1_3gpuE4ELNS1_3repE0EEENS1_30default_config_static_selectorELNS0_4arch9wavefront6targetE0EEEvT1_,comdat
.Lfunc_end2786:
	.size	_ZN7rocprim17ROCPRIM_400000_NS6detail17trampoline_kernelINS0_14default_configENS1_25partition_config_selectorILNS1_17partition_subalgoE5EiNS0_10empty_typeEbEEZZNS1_14partition_implILS5_5ELb0ES3_mN6thrust23THRUST_200600_302600_NS6detail15normal_iteratorINSA_10device_ptrIiEEEEPS6_NSA_18transform_iteratorINSB_9not_fun_tI7is_trueIiEEENSC_INSD_IbEEEENSA_11use_defaultESO_EENS0_5tupleIJNSA_16discard_iteratorISO_EES6_EEENSQ_IJSG_SG_EEES6_PlJS6_EEE10hipError_tPvRmT3_T4_T5_T6_T7_T9_mT8_P12ihipStream_tbDpT10_ENKUlT_T0_E_clISt17integral_constantIbLb0EES1F_EEDaS1A_S1B_EUlS1A_E_NS1_11comp_targetILNS1_3genE10ELNS1_11target_archE1200ELNS1_3gpuE4ELNS1_3repE0EEENS1_30default_config_static_selectorELNS0_4arch9wavefront6targetE0EEEvT1_, .Lfunc_end2786-_ZN7rocprim17ROCPRIM_400000_NS6detail17trampoline_kernelINS0_14default_configENS1_25partition_config_selectorILNS1_17partition_subalgoE5EiNS0_10empty_typeEbEEZZNS1_14partition_implILS5_5ELb0ES3_mN6thrust23THRUST_200600_302600_NS6detail15normal_iteratorINSA_10device_ptrIiEEEEPS6_NSA_18transform_iteratorINSB_9not_fun_tI7is_trueIiEEENSC_INSD_IbEEEENSA_11use_defaultESO_EENS0_5tupleIJNSA_16discard_iteratorISO_EES6_EEENSQ_IJSG_SG_EEES6_PlJS6_EEE10hipError_tPvRmT3_T4_T5_T6_T7_T9_mT8_P12ihipStream_tbDpT10_ENKUlT_T0_E_clISt17integral_constantIbLb0EES1F_EEDaS1A_S1B_EUlS1A_E_NS1_11comp_targetILNS1_3genE10ELNS1_11target_archE1200ELNS1_3gpuE4ELNS1_3repE0EEENS1_30default_config_static_selectorELNS0_4arch9wavefront6targetE0EEEvT1_
                                        ; -- End function
	.set _ZN7rocprim17ROCPRIM_400000_NS6detail17trampoline_kernelINS0_14default_configENS1_25partition_config_selectorILNS1_17partition_subalgoE5EiNS0_10empty_typeEbEEZZNS1_14partition_implILS5_5ELb0ES3_mN6thrust23THRUST_200600_302600_NS6detail15normal_iteratorINSA_10device_ptrIiEEEEPS6_NSA_18transform_iteratorINSB_9not_fun_tI7is_trueIiEEENSC_INSD_IbEEEENSA_11use_defaultESO_EENS0_5tupleIJNSA_16discard_iteratorISO_EES6_EEENSQ_IJSG_SG_EEES6_PlJS6_EEE10hipError_tPvRmT3_T4_T5_T6_T7_T9_mT8_P12ihipStream_tbDpT10_ENKUlT_T0_E_clISt17integral_constantIbLb0EES1F_EEDaS1A_S1B_EUlS1A_E_NS1_11comp_targetILNS1_3genE10ELNS1_11target_archE1200ELNS1_3gpuE4ELNS1_3repE0EEENS1_30default_config_static_selectorELNS0_4arch9wavefront6targetE0EEEvT1_.num_vgpr, 51
	.set _ZN7rocprim17ROCPRIM_400000_NS6detail17trampoline_kernelINS0_14default_configENS1_25partition_config_selectorILNS1_17partition_subalgoE5EiNS0_10empty_typeEbEEZZNS1_14partition_implILS5_5ELb0ES3_mN6thrust23THRUST_200600_302600_NS6detail15normal_iteratorINSA_10device_ptrIiEEEEPS6_NSA_18transform_iteratorINSB_9not_fun_tI7is_trueIiEEENSC_INSD_IbEEEENSA_11use_defaultESO_EENS0_5tupleIJNSA_16discard_iteratorISO_EES6_EEENSQ_IJSG_SG_EEES6_PlJS6_EEE10hipError_tPvRmT3_T4_T5_T6_T7_T9_mT8_P12ihipStream_tbDpT10_ENKUlT_T0_E_clISt17integral_constantIbLb0EES1F_EEDaS1A_S1B_EUlS1A_E_NS1_11comp_targetILNS1_3genE10ELNS1_11target_archE1200ELNS1_3gpuE4ELNS1_3repE0EEENS1_30default_config_static_selectorELNS0_4arch9wavefront6targetE0EEEvT1_.num_agpr, 0
	.set _ZN7rocprim17ROCPRIM_400000_NS6detail17trampoline_kernelINS0_14default_configENS1_25partition_config_selectorILNS1_17partition_subalgoE5EiNS0_10empty_typeEbEEZZNS1_14partition_implILS5_5ELb0ES3_mN6thrust23THRUST_200600_302600_NS6detail15normal_iteratorINSA_10device_ptrIiEEEEPS6_NSA_18transform_iteratorINSB_9not_fun_tI7is_trueIiEEENSC_INSD_IbEEEENSA_11use_defaultESO_EENS0_5tupleIJNSA_16discard_iteratorISO_EES6_EEENSQ_IJSG_SG_EEES6_PlJS6_EEE10hipError_tPvRmT3_T4_T5_T6_T7_T9_mT8_P12ihipStream_tbDpT10_ENKUlT_T0_E_clISt17integral_constantIbLb0EES1F_EEDaS1A_S1B_EUlS1A_E_NS1_11comp_targetILNS1_3genE10ELNS1_11target_archE1200ELNS1_3gpuE4ELNS1_3repE0EEENS1_30default_config_static_selectorELNS0_4arch9wavefront6targetE0EEEvT1_.numbered_sgpr, 23
	.set _ZN7rocprim17ROCPRIM_400000_NS6detail17trampoline_kernelINS0_14default_configENS1_25partition_config_selectorILNS1_17partition_subalgoE5EiNS0_10empty_typeEbEEZZNS1_14partition_implILS5_5ELb0ES3_mN6thrust23THRUST_200600_302600_NS6detail15normal_iteratorINSA_10device_ptrIiEEEEPS6_NSA_18transform_iteratorINSB_9not_fun_tI7is_trueIiEEENSC_INSD_IbEEEENSA_11use_defaultESO_EENS0_5tupleIJNSA_16discard_iteratorISO_EES6_EEENSQ_IJSG_SG_EEES6_PlJS6_EEE10hipError_tPvRmT3_T4_T5_T6_T7_T9_mT8_P12ihipStream_tbDpT10_ENKUlT_T0_E_clISt17integral_constantIbLb0EES1F_EEDaS1A_S1B_EUlS1A_E_NS1_11comp_targetILNS1_3genE10ELNS1_11target_archE1200ELNS1_3gpuE4ELNS1_3repE0EEENS1_30default_config_static_selectorELNS0_4arch9wavefront6targetE0EEEvT1_.num_named_barrier, 0
	.set _ZN7rocprim17ROCPRIM_400000_NS6detail17trampoline_kernelINS0_14default_configENS1_25partition_config_selectorILNS1_17partition_subalgoE5EiNS0_10empty_typeEbEEZZNS1_14partition_implILS5_5ELb0ES3_mN6thrust23THRUST_200600_302600_NS6detail15normal_iteratorINSA_10device_ptrIiEEEEPS6_NSA_18transform_iteratorINSB_9not_fun_tI7is_trueIiEEENSC_INSD_IbEEEENSA_11use_defaultESO_EENS0_5tupleIJNSA_16discard_iteratorISO_EES6_EEENSQ_IJSG_SG_EEES6_PlJS6_EEE10hipError_tPvRmT3_T4_T5_T6_T7_T9_mT8_P12ihipStream_tbDpT10_ENKUlT_T0_E_clISt17integral_constantIbLb0EES1F_EEDaS1A_S1B_EUlS1A_E_NS1_11comp_targetILNS1_3genE10ELNS1_11target_archE1200ELNS1_3gpuE4ELNS1_3repE0EEENS1_30default_config_static_selectorELNS0_4arch9wavefront6targetE0EEEvT1_.private_seg_size, 0
	.set _ZN7rocprim17ROCPRIM_400000_NS6detail17trampoline_kernelINS0_14default_configENS1_25partition_config_selectorILNS1_17partition_subalgoE5EiNS0_10empty_typeEbEEZZNS1_14partition_implILS5_5ELb0ES3_mN6thrust23THRUST_200600_302600_NS6detail15normal_iteratorINSA_10device_ptrIiEEEEPS6_NSA_18transform_iteratorINSB_9not_fun_tI7is_trueIiEEENSC_INSD_IbEEEENSA_11use_defaultESO_EENS0_5tupleIJNSA_16discard_iteratorISO_EES6_EEENSQ_IJSG_SG_EEES6_PlJS6_EEE10hipError_tPvRmT3_T4_T5_T6_T7_T9_mT8_P12ihipStream_tbDpT10_ENKUlT_T0_E_clISt17integral_constantIbLb0EES1F_EEDaS1A_S1B_EUlS1A_E_NS1_11comp_targetILNS1_3genE10ELNS1_11target_archE1200ELNS1_3gpuE4ELNS1_3repE0EEENS1_30default_config_static_selectorELNS0_4arch9wavefront6targetE0EEEvT1_.uses_vcc, 1
	.set _ZN7rocprim17ROCPRIM_400000_NS6detail17trampoline_kernelINS0_14default_configENS1_25partition_config_selectorILNS1_17partition_subalgoE5EiNS0_10empty_typeEbEEZZNS1_14partition_implILS5_5ELb0ES3_mN6thrust23THRUST_200600_302600_NS6detail15normal_iteratorINSA_10device_ptrIiEEEEPS6_NSA_18transform_iteratorINSB_9not_fun_tI7is_trueIiEEENSC_INSD_IbEEEENSA_11use_defaultESO_EENS0_5tupleIJNSA_16discard_iteratorISO_EES6_EEENSQ_IJSG_SG_EEES6_PlJS6_EEE10hipError_tPvRmT3_T4_T5_T6_T7_T9_mT8_P12ihipStream_tbDpT10_ENKUlT_T0_E_clISt17integral_constantIbLb0EES1F_EEDaS1A_S1B_EUlS1A_E_NS1_11comp_targetILNS1_3genE10ELNS1_11target_archE1200ELNS1_3gpuE4ELNS1_3repE0EEENS1_30default_config_static_selectorELNS0_4arch9wavefront6targetE0EEEvT1_.uses_flat_scratch, 1
	.set _ZN7rocprim17ROCPRIM_400000_NS6detail17trampoline_kernelINS0_14default_configENS1_25partition_config_selectorILNS1_17partition_subalgoE5EiNS0_10empty_typeEbEEZZNS1_14partition_implILS5_5ELb0ES3_mN6thrust23THRUST_200600_302600_NS6detail15normal_iteratorINSA_10device_ptrIiEEEEPS6_NSA_18transform_iteratorINSB_9not_fun_tI7is_trueIiEEENSC_INSD_IbEEEENSA_11use_defaultESO_EENS0_5tupleIJNSA_16discard_iteratorISO_EES6_EEENSQ_IJSG_SG_EEES6_PlJS6_EEE10hipError_tPvRmT3_T4_T5_T6_T7_T9_mT8_P12ihipStream_tbDpT10_ENKUlT_T0_E_clISt17integral_constantIbLb0EES1F_EEDaS1A_S1B_EUlS1A_E_NS1_11comp_targetILNS1_3genE10ELNS1_11target_archE1200ELNS1_3gpuE4ELNS1_3repE0EEENS1_30default_config_static_selectorELNS0_4arch9wavefront6targetE0EEEvT1_.has_dyn_sized_stack, 0
	.set _ZN7rocprim17ROCPRIM_400000_NS6detail17trampoline_kernelINS0_14default_configENS1_25partition_config_selectorILNS1_17partition_subalgoE5EiNS0_10empty_typeEbEEZZNS1_14partition_implILS5_5ELb0ES3_mN6thrust23THRUST_200600_302600_NS6detail15normal_iteratorINSA_10device_ptrIiEEEEPS6_NSA_18transform_iteratorINSB_9not_fun_tI7is_trueIiEEENSC_INSD_IbEEEENSA_11use_defaultESO_EENS0_5tupleIJNSA_16discard_iteratorISO_EES6_EEENSQ_IJSG_SG_EEES6_PlJS6_EEE10hipError_tPvRmT3_T4_T5_T6_T7_T9_mT8_P12ihipStream_tbDpT10_ENKUlT_T0_E_clISt17integral_constantIbLb0EES1F_EEDaS1A_S1B_EUlS1A_E_NS1_11comp_targetILNS1_3genE10ELNS1_11target_archE1200ELNS1_3gpuE4ELNS1_3repE0EEENS1_30default_config_static_selectorELNS0_4arch9wavefront6targetE0EEEvT1_.has_recursion, 0
	.set _ZN7rocprim17ROCPRIM_400000_NS6detail17trampoline_kernelINS0_14default_configENS1_25partition_config_selectorILNS1_17partition_subalgoE5EiNS0_10empty_typeEbEEZZNS1_14partition_implILS5_5ELb0ES3_mN6thrust23THRUST_200600_302600_NS6detail15normal_iteratorINSA_10device_ptrIiEEEEPS6_NSA_18transform_iteratorINSB_9not_fun_tI7is_trueIiEEENSC_INSD_IbEEEENSA_11use_defaultESO_EENS0_5tupleIJNSA_16discard_iteratorISO_EES6_EEENSQ_IJSG_SG_EEES6_PlJS6_EEE10hipError_tPvRmT3_T4_T5_T6_T7_T9_mT8_P12ihipStream_tbDpT10_ENKUlT_T0_E_clISt17integral_constantIbLb0EES1F_EEDaS1A_S1B_EUlS1A_E_NS1_11comp_targetILNS1_3genE10ELNS1_11target_archE1200ELNS1_3gpuE4ELNS1_3repE0EEENS1_30default_config_static_selectorELNS0_4arch9wavefront6targetE0EEEvT1_.has_indirect_call, 0
	.section	.AMDGPU.csdata,"",@progbits
; Kernel info:
; codeLenInByte = 8176
; TotalNumSgprs: 25
; NumVgprs: 51
; ScratchSize: 0
; MemoryBound: 0
; FloatMode: 240
; IeeeMode: 1
; LDSByteSize: 6352 bytes/workgroup (compile time only)
; SGPRBlocks: 0
; VGPRBlocks: 6
; NumSGPRsForWavesPerEU: 25
; NumVGPRsForWavesPerEU: 51
; Occupancy: 15
; WaveLimiterHint : 1
; COMPUTE_PGM_RSRC2:SCRATCH_EN: 0
; COMPUTE_PGM_RSRC2:USER_SGPR: 2
; COMPUTE_PGM_RSRC2:TRAP_HANDLER: 0
; COMPUTE_PGM_RSRC2:TGID_X_EN: 1
; COMPUTE_PGM_RSRC2:TGID_Y_EN: 0
; COMPUTE_PGM_RSRC2:TGID_Z_EN: 0
; COMPUTE_PGM_RSRC2:TIDIG_COMP_CNT: 0
	.section	.text._ZN7rocprim17ROCPRIM_400000_NS6detail17trampoline_kernelINS0_14default_configENS1_25partition_config_selectorILNS1_17partition_subalgoE5EiNS0_10empty_typeEbEEZZNS1_14partition_implILS5_5ELb0ES3_mN6thrust23THRUST_200600_302600_NS6detail15normal_iteratorINSA_10device_ptrIiEEEEPS6_NSA_18transform_iteratorINSB_9not_fun_tI7is_trueIiEEENSC_INSD_IbEEEENSA_11use_defaultESO_EENS0_5tupleIJNSA_16discard_iteratorISO_EES6_EEENSQ_IJSG_SG_EEES6_PlJS6_EEE10hipError_tPvRmT3_T4_T5_T6_T7_T9_mT8_P12ihipStream_tbDpT10_ENKUlT_T0_E_clISt17integral_constantIbLb0EES1F_EEDaS1A_S1B_EUlS1A_E_NS1_11comp_targetILNS1_3genE9ELNS1_11target_archE1100ELNS1_3gpuE3ELNS1_3repE0EEENS1_30default_config_static_selectorELNS0_4arch9wavefront6targetE0EEEvT1_,"axG",@progbits,_ZN7rocprim17ROCPRIM_400000_NS6detail17trampoline_kernelINS0_14default_configENS1_25partition_config_selectorILNS1_17partition_subalgoE5EiNS0_10empty_typeEbEEZZNS1_14partition_implILS5_5ELb0ES3_mN6thrust23THRUST_200600_302600_NS6detail15normal_iteratorINSA_10device_ptrIiEEEEPS6_NSA_18transform_iteratorINSB_9not_fun_tI7is_trueIiEEENSC_INSD_IbEEEENSA_11use_defaultESO_EENS0_5tupleIJNSA_16discard_iteratorISO_EES6_EEENSQ_IJSG_SG_EEES6_PlJS6_EEE10hipError_tPvRmT3_T4_T5_T6_T7_T9_mT8_P12ihipStream_tbDpT10_ENKUlT_T0_E_clISt17integral_constantIbLb0EES1F_EEDaS1A_S1B_EUlS1A_E_NS1_11comp_targetILNS1_3genE9ELNS1_11target_archE1100ELNS1_3gpuE3ELNS1_3repE0EEENS1_30default_config_static_selectorELNS0_4arch9wavefront6targetE0EEEvT1_,comdat
	.protected	_ZN7rocprim17ROCPRIM_400000_NS6detail17trampoline_kernelINS0_14default_configENS1_25partition_config_selectorILNS1_17partition_subalgoE5EiNS0_10empty_typeEbEEZZNS1_14partition_implILS5_5ELb0ES3_mN6thrust23THRUST_200600_302600_NS6detail15normal_iteratorINSA_10device_ptrIiEEEEPS6_NSA_18transform_iteratorINSB_9not_fun_tI7is_trueIiEEENSC_INSD_IbEEEENSA_11use_defaultESO_EENS0_5tupleIJNSA_16discard_iteratorISO_EES6_EEENSQ_IJSG_SG_EEES6_PlJS6_EEE10hipError_tPvRmT3_T4_T5_T6_T7_T9_mT8_P12ihipStream_tbDpT10_ENKUlT_T0_E_clISt17integral_constantIbLb0EES1F_EEDaS1A_S1B_EUlS1A_E_NS1_11comp_targetILNS1_3genE9ELNS1_11target_archE1100ELNS1_3gpuE3ELNS1_3repE0EEENS1_30default_config_static_selectorELNS0_4arch9wavefront6targetE0EEEvT1_ ; -- Begin function _ZN7rocprim17ROCPRIM_400000_NS6detail17trampoline_kernelINS0_14default_configENS1_25partition_config_selectorILNS1_17partition_subalgoE5EiNS0_10empty_typeEbEEZZNS1_14partition_implILS5_5ELb0ES3_mN6thrust23THRUST_200600_302600_NS6detail15normal_iteratorINSA_10device_ptrIiEEEEPS6_NSA_18transform_iteratorINSB_9not_fun_tI7is_trueIiEEENSC_INSD_IbEEEENSA_11use_defaultESO_EENS0_5tupleIJNSA_16discard_iteratorISO_EES6_EEENSQ_IJSG_SG_EEES6_PlJS6_EEE10hipError_tPvRmT3_T4_T5_T6_T7_T9_mT8_P12ihipStream_tbDpT10_ENKUlT_T0_E_clISt17integral_constantIbLb0EES1F_EEDaS1A_S1B_EUlS1A_E_NS1_11comp_targetILNS1_3genE9ELNS1_11target_archE1100ELNS1_3gpuE3ELNS1_3repE0EEENS1_30default_config_static_selectorELNS0_4arch9wavefront6targetE0EEEvT1_
	.globl	_ZN7rocprim17ROCPRIM_400000_NS6detail17trampoline_kernelINS0_14default_configENS1_25partition_config_selectorILNS1_17partition_subalgoE5EiNS0_10empty_typeEbEEZZNS1_14partition_implILS5_5ELb0ES3_mN6thrust23THRUST_200600_302600_NS6detail15normal_iteratorINSA_10device_ptrIiEEEEPS6_NSA_18transform_iteratorINSB_9not_fun_tI7is_trueIiEEENSC_INSD_IbEEEENSA_11use_defaultESO_EENS0_5tupleIJNSA_16discard_iteratorISO_EES6_EEENSQ_IJSG_SG_EEES6_PlJS6_EEE10hipError_tPvRmT3_T4_T5_T6_T7_T9_mT8_P12ihipStream_tbDpT10_ENKUlT_T0_E_clISt17integral_constantIbLb0EES1F_EEDaS1A_S1B_EUlS1A_E_NS1_11comp_targetILNS1_3genE9ELNS1_11target_archE1100ELNS1_3gpuE3ELNS1_3repE0EEENS1_30default_config_static_selectorELNS0_4arch9wavefront6targetE0EEEvT1_
	.p2align	8
	.type	_ZN7rocprim17ROCPRIM_400000_NS6detail17trampoline_kernelINS0_14default_configENS1_25partition_config_selectorILNS1_17partition_subalgoE5EiNS0_10empty_typeEbEEZZNS1_14partition_implILS5_5ELb0ES3_mN6thrust23THRUST_200600_302600_NS6detail15normal_iteratorINSA_10device_ptrIiEEEEPS6_NSA_18transform_iteratorINSB_9not_fun_tI7is_trueIiEEENSC_INSD_IbEEEENSA_11use_defaultESO_EENS0_5tupleIJNSA_16discard_iteratorISO_EES6_EEENSQ_IJSG_SG_EEES6_PlJS6_EEE10hipError_tPvRmT3_T4_T5_T6_T7_T9_mT8_P12ihipStream_tbDpT10_ENKUlT_T0_E_clISt17integral_constantIbLb0EES1F_EEDaS1A_S1B_EUlS1A_E_NS1_11comp_targetILNS1_3genE9ELNS1_11target_archE1100ELNS1_3gpuE3ELNS1_3repE0EEENS1_30default_config_static_selectorELNS0_4arch9wavefront6targetE0EEEvT1_,@function
_ZN7rocprim17ROCPRIM_400000_NS6detail17trampoline_kernelINS0_14default_configENS1_25partition_config_selectorILNS1_17partition_subalgoE5EiNS0_10empty_typeEbEEZZNS1_14partition_implILS5_5ELb0ES3_mN6thrust23THRUST_200600_302600_NS6detail15normal_iteratorINSA_10device_ptrIiEEEEPS6_NSA_18transform_iteratorINSB_9not_fun_tI7is_trueIiEEENSC_INSD_IbEEEENSA_11use_defaultESO_EENS0_5tupleIJNSA_16discard_iteratorISO_EES6_EEENSQ_IJSG_SG_EEES6_PlJS6_EEE10hipError_tPvRmT3_T4_T5_T6_T7_T9_mT8_P12ihipStream_tbDpT10_ENKUlT_T0_E_clISt17integral_constantIbLb0EES1F_EEDaS1A_S1B_EUlS1A_E_NS1_11comp_targetILNS1_3genE9ELNS1_11target_archE1100ELNS1_3gpuE3ELNS1_3repE0EEENS1_30default_config_static_selectorELNS0_4arch9wavefront6targetE0EEEvT1_: ; @_ZN7rocprim17ROCPRIM_400000_NS6detail17trampoline_kernelINS0_14default_configENS1_25partition_config_selectorILNS1_17partition_subalgoE5EiNS0_10empty_typeEbEEZZNS1_14partition_implILS5_5ELb0ES3_mN6thrust23THRUST_200600_302600_NS6detail15normal_iteratorINSA_10device_ptrIiEEEEPS6_NSA_18transform_iteratorINSB_9not_fun_tI7is_trueIiEEENSC_INSD_IbEEEENSA_11use_defaultESO_EENS0_5tupleIJNSA_16discard_iteratorISO_EES6_EEENSQ_IJSG_SG_EEES6_PlJS6_EEE10hipError_tPvRmT3_T4_T5_T6_T7_T9_mT8_P12ihipStream_tbDpT10_ENKUlT_T0_E_clISt17integral_constantIbLb0EES1F_EEDaS1A_S1B_EUlS1A_E_NS1_11comp_targetILNS1_3genE9ELNS1_11target_archE1100ELNS1_3gpuE3ELNS1_3repE0EEENS1_30default_config_static_selectorELNS0_4arch9wavefront6targetE0EEEvT1_
; %bb.0:
	.section	.rodata,"a",@progbits
	.p2align	6, 0x0
	.amdhsa_kernel _ZN7rocprim17ROCPRIM_400000_NS6detail17trampoline_kernelINS0_14default_configENS1_25partition_config_selectorILNS1_17partition_subalgoE5EiNS0_10empty_typeEbEEZZNS1_14partition_implILS5_5ELb0ES3_mN6thrust23THRUST_200600_302600_NS6detail15normal_iteratorINSA_10device_ptrIiEEEEPS6_NSA_18transform_iteratorINSB_9not_fun_tI7is_trueIiEEENSC_INSD_IbEEEENSA_11use_defaultESO_EENS0_5tupleIJNSA_16discard_iteratorISO_EES6_EEENSQ_IJSG_SG_EEES6_PlJS6_EEE10hipError_tPvRmT3_T4_T5_T6_T7_T9_mT8_P12ihipStream_tbDpT10_ENKUlT_T0_E_clISt17integral_constantIbLb0EES1F_EEDaS1A_S1B_EUlS1A_E_NS1_11comp_targetILNS1_3genE9ELNS1_11target_archE1100ELNS1_3gpuE3ELNS1_3repE0EEENS1_30default_config_static_selectorELNS0_4arch9wavefront6targetE0EEEvT1_
		.amdhsa_group_segment_fixed_size 0
		.amdhsa_private_segment_fixed_size 0
		.amdhsa_kernarg_size 128
		.amdhsa_user_sgpr_count 2
		.amdhsa_user_sgpr_dispatch_ptr 0
		.amdhsa_user_sgpr_queue_ptr 0
		.amdhsa_user_sgpr_kernarg_segment_ptr 1
		.amdhsa_user_sgpr_dispatch_id 0
		.amdhsa_user_sgpr_private_segment_size 0
		.amdhsa_wavefront_size32 1
		.amdhsa_uses_dynamic_stack 0
		.amdhsa_enable_private_segment 0
		.amdhsa_system_sgpr_workgroup_id_x 1
		.amdhsa_system_sgpr_workgroup_id_y 0
		.amdhsa_system_sgpr_workgroup_id_z 0
		.amdhsa_system_sgpr_workgroup_info 0
		.amdhsa_system_vgpr_workitem_id 0
		.amdhsa_next_free_vgpr 1
		.amdhsa_next_free_sgpr 1
		.amdhsa_reserve_vcc 0
		.amdhsa_float_round_mode_32 0
		.amdhsa_float_round_mode_16_64 0
		.amdhsa_float_denorm_mode_32 3
		.amdhsa_float_denorm_mode_16_64 3
		.amdhsa_fp16_overflow 0
		.amdhsa_workgroup_processor_mode 1
		.amdhsa_memory_ordered 1
		.amdhsa_forward_progress 1
		.amdhsa_inst_pref_size 0
		.amdhsa_round_robin_scheduling 0
		.amdhsa_exception_fp_ieee_invalid_op 0
		.amdhsa_exception_fp_denorm_src 0
		.amdhsa_exception_fp_ieee_div_zero 0
		.amdhsa_exception_fp_ieee_overflow 0
		.amdhsa_exception_fp_ieee_underflow 0
		.amdhsa_exception_fp_ieee_inexact 0
		.amdhsa_exception_int_div_zero 0
	.end_amdhsa_kernel
	.section	.text._ZN7rocprim17ROCPRIM_400000_NS6detail17trampoline_kernelINS0_14default_configENS1_25partition_config_selectorILNS1_17partition_subalgoE5EiNS0_10empty_typeEbEEZZNS1_14partition_implILS5_5ELb0ES3_mN6thrust23THRUST_200600_302600_NS6detail15normal_iteratorINSA_10device_ptrIiEEEEPS6_NSA_18transform_iteratorINSB_9not_fun_tI7is_trueIiEEENSC_INSD_IbEEEENSA_11use_defaultESO_EENS0_5tupleIJNSA_16discard_iteratorISO_EES6_EEENSQ_IJSG_SG_EEES6_PlJS6_EEE10hipError_tPvRmT3_T4_T5_T6_T7_T9_mT8_P12ihipStream_tbDpT10_ENKUlT_T0_E_clISt17integral_constantIbLb0EES1F_EEDaS1A_S1B_EUlS1A_E_NS1_11comp_targetILNS1_3genE9ELNS1_11target_archE1100ELNS1_3gpuE3ELNS1_3repE0EEENS1_30default_config_static_selectorELNS0_4arch9wavefront6targetE0EEEvT1_,"axG",@progbits,_ZN7rocprim17ROCPRIM_400000_NS6detail17trampoline_kernelINS0_14default_configENS1_25partition_config_selectorILNS1_17partition_subalgoE5EiNS0_10empty_typeEbEEZZNS1_14partition_implILS5_5ELb0ES3_mN6thrust23THRUST_200600_302600_NS6detail15normal_iteratorINSA_10device_ptrIiEEEEPS6_NSA_18transform_iteratorINSB_9not_fun_tI7is_trueIiEEENSC_INSD_IbEEEENSA_11use_defaultESO_EENS0_5tupleIJNSA_16discard_iteratorISO_EES6_EEENSQ_IJSG_SG_EEES6_PlJS6_EEE10hipError_tPvRmT3_T4_T5_T6_T7_T9_mT8_P12ihipStream_tbDpT10_ENKUlT_T0_E_clISt17integral_constantIbLb0EES1F_EEDaS1A_S1B_EUlS1A_E_NS1_11comp_targetILNS1_3genE9ELNS1_11target_archE1100ELNS1_3gpuE3ELNS1_3repE0EEENS1_30default_config_static_selectorELNS0_4arch9wavefront6targetE0EEEvT1_,comdat
.Lfunc_end2787:
	.size	_ZN7rocprim17ROCPRIM_400000_NS6detail17trampoline_kernelINS0_14default_configENS1_25partition_config_selectorILNS1_17partition_subalgoE5EiNS0_10empty_typeEbEEZZNS1_14partition_implILS5_5ELb0ES3_mN6thrust23THRUST_200600_302600_NS6detail15normal_iteratorINSA_10device_ptrIiEEEEPS6_NSA_18transform_iteratorINSB_9not_fun_tI7is_trueIiEEENSC_INSD_IbEEEENSA_11use_defaultESO_EENS0_5tupleIJNSA_16discard_iteratorISO_EES6_EEENSQ_IJSG_SG_EEES6_PlJS6_EEE10hipError_tPvRmT3_T4_T5_T6_T7_T9_mT8_P12ihipStream_tbDpT10_ENKUlT_T0_E_clISt17integral_constantIbLb0EES1F_EEDaS1A_S1B_EUlS1A_E_NS1_11comp_targetILNS1_3genE9ELNS1_11target_archE1100ELNS1_3gpuE3ELNS1_3repE0EEENS1_30default_config_static_selectorELNS0_4arch9wavefront6targetE0EEEvT1_, .Lfunc_end2787-_ZN7rocprim17ROCPRIM_400000_NS6detail17trampoline_kernelINS0_14default_configENS1_25partition_config_selectorILNS1_17partition_subalgoE5EiNS0_10empty_typeEbEEZZNS1_14partition_implILS5_5ELb0ES3_mN6thrust23THRUST_200600_302600_NS6detail15normal_iteratorINSA_10device_ptrIiEEEEPS6_NSA_18transform_iteratorINSB_9not_fun_tI7is_trueIiEEENSC_INSD_IbEEEENSA_11use_defaultESO_EENS0_5tupleIJNSA_16discard_iteratorISO_EES6_EEENSQ_IJSG_SG_EEES6_PlJS6_EEE10hipError_tPvRmT3_T4_T5_T6_T7_T9_mT8_P12ihipStream_tbDpT10_ENKUlT_T0_E_clISt17integral_constantIbLb0EES1F_EEDaS1A_S1B_EUlS1A_E_NS1_11comp_targetILNS1_3genE9ELNS1_11target_archE1100ELNS1_3gpuE3ELNS1_3repE0EEENS1_30default_config_static_selectorELNS0_4arch9wavefront6targetE0EEEvT1_
                                        ; -- End function
	.set _ZN7rocprim17ROCPRIM_400000_NS6detail17trampoline_kernelINS0_14default_configENS1_25partition_config_selectorILNS1_17partition_subalgoE5EiNS0_10empty_typeEbEEZZNS1_14partition_implILS5_5ELb0ES3_mN6thrust23THRUST_200600_302600_NS6detail15normal_iteratorINSA_10device_ptrIiEEEEPS6_NSA_18transform_iteratorINSB_9not_fun_tI7is_trueIiEEENSC_INSD_IbEEEENSA_11use_defaultESO_EENS0_5tupleIJNSA_16discard_iteratorISO_EES6_EEENSQ_IJSG_SG_EEES6_PlJS6_EEE10hipError_tPvRmT3_T4_T5_T6_T7_T9_mT8_P12ihipStream_tbDpT10_ENKUlT_T0_E_clISt17integral_constantIbLb0EES1F_EEDaS1A_S1B_EUlS1A_E_NS1_11comp_targetILNS1_3genE9ELNS1_11target_archE1100ELNS1_3gpuE3ELNS1_3repE0EEENS1_30default_config_static_selectorELNS0_4arch9wavefront6targetE0EEEvT1_.num_vgpr, 0
	.set _ZN7rocprim17ROCPRIM_400000_NS6detail17trampoline_kernelINS0_14default_configENS1_25partition_config_selectorILNS1_17partition_subalgoE5EiNS0_10empty_typeEbEEZZNS1_14partition_implILS5_5ELb0ES3_mN6thrust23THRUST_200600_302600_NS6detail15normal_iteratorINSA_10device_ptrIiEEEEPS6_NSA_18transform_iteratorINSB_9not_fun_tI7is_trueIiEEENSC_INSD_IbEEEENSA_11use_defaultESO_EENS0_5tupleIJNSA_16discard_iteratorISO_EES6_EEENSQ_IJSG_SG_EEES6_PlJS6_EEE10hipError_tPvRmT3_T4_T5_T6_T7_T9_mT8_P12ihipStream_tbDpT10_ENKUlT_T0_E_clISt17integral_constantIbLb0EES1F_EEDaS1A_S1B_EUlS1A_E_NS1_11comp_targetILNS1_3genE9ELNS1_11target_archE1100ELNS1_3gpuE3ELNS1_3repE0EEENS1_30default_config_static_selectorELNS0_4arch9wavefront6targetE0EEEvT1_.num_agpr, 0
	.set _ZN7rocprim17ROCPRIM_400000_NS6detail17trampoline_kernelINS0_14default_configENS1_25partition_config_selectorILNS1_17partition_subalgoE5EiNS0_10empty_typeEbEEZZNS1_14partition_implILS5_5ELb0ES3_mN6thrust23THRUST_200600_302600_NS6detail15normal_iteratorINSA_10device_ptrIiEEEEPS6_NSA_18transform_iteratorINSB_9not_fun_tI7is_trueIiEEENSC_INSD_IbEEEENSA_11use_defaultESO_EENS0_5tupleIJNSA_16discard_iteratorISO_EES6_EEENSQ_IJSG_SG_EEES6_PlJS6_EEE10hipError_tPvRmT3_T4_T5_T6_T7_T9_mT8_P12ihipStream_tbDpT10_ENKUlT_T0_E_clISt17integral_constantIbLb0EES1F_EEDaS1A_S1B_EUlS1A_E_NS1_11comp_targetILNS1_3genE9ELNS1_11target_archE1100ELNS1_3gpuE3ELNS1_3repE0EEENS1_30default_config_static_selectorELNS0_4arch9wavefront6targetE0EEEvT1_.numbered_sgpr, 0
	.set _ZN7rocprim17ROCPRIM_400000_NS6detail17trampoline_kernelINS0_14default_configENS1_25partition_config_selectorILNS1_17partition_subalgoE5EiNS0_10empty_typeEbEEZZNS1_14partition_implILS5_5ELb0ES3_mN6thrust23THRUST_200600_302600_NS6detail15normal_iteratorINSA_10device_ptrIiEEEEPS6_NSA_18transform_iteratorINSB_9not_fun_tI7is_trueIiEEENSC_INSD_IbEEEENSA_11use_defaultESO_EENS0_5tupleIJNSA_16discard_iteratorISO_EES6_EEENSQ_IJSG_SG_EEES6_PlJS6_EEE10hipError_tPvRmT3_T4_T5_T6_T7_T9_mT8_P12ihipStream_tbDpT10_ENKUlT_T0_E_clISt17integral_constantIbLb0EES1F_EEDaS1A_S1B_EUlS1A_E_NS1_11comp_targetILNS1_3genE9ELNS1_11target_archE1100ELNS1_3gpuE3ELNS1_3repE0EEENS1_30default_config_static_selectorELNS0_4arch9wavefront6targetE0EEEvT1_.num_named_barrier, 0
	.set _ZN7rocprim17ROCPRIM_400000_NS6detail17trampoline_kernelINS0_14default_configENS1_25partition_config_selectorILNS1_17partition_subalgoE5EiNS0_10empty_typeEbEEZZNS1_14partition_implILS5_5ELb0ES3_mN6thrust23THRUST_200600_302600_NS6detail15normal_iteratorINSA_10device_ptrIiEEEEPS6_NSA_18transform_iteratorINSB_9not_fun_tI7is_trueIiEEENSC_INSD_IbEEEENSA_11use_defaultESO_EENS0_5tupleIJNSA_16discard_iteratorISO_EES6_EEENSQ_IJSG_SG_EEES6_PlJS6_EEE10hipError_tPvRmT3_T4_T5_T6_T7_T9_mT8_P12ihipStream_tbDpT10_ENKUlT_T0_E_clISt17integral_constantIbLb0EES1F_EEDaS1A_S1B_EUlS1A_E_NS1_11comp_targetILNS1_3genE9ELNS1_11target_archE1100ELNS1_3gpuE3ELNS1_3repE0EEENS1_30default_config_static_selectorELNS0_4arch9wavefront6targetE0EEEvT1_.private_seg_size, 0
	.set _ZN7rocprim17ROCPRIM_400000_NS6detail17trampoline_kernelINS0_14default_configENS1_25partition_config_selectorILNS1_17partition_subalgoE5EiNS0_10empty_typeEbEEZZNS1_14partition_implILS5_5ELb0ES3_mN6thrust23THRUST_200600_302600_NS6detail15normal_iteratorINSA_10device_ptrIiEEEEPS6_NSA_18transform_iteratorINSB_9not_fun_tI7is_trueIiEEENSC_INSD_IbEEEENSA_11use_defaultESO_EENS0_5tupleIJNSA_16discard_iteratorISO_EES6_EEENSQ_IJSG_SG_EEES6_PlJS6_EEE10hipError_tPvRmT3_T4_T5_T6_T7_T9_mT8_P12ihipStream_tbDpT10_ENKUlT_T0_E_clISt17integral_constantIbLb0EES1F_EEDaS1A_S1B_EUlS1A_E_NS1_11comp_targetILNS1_3genE9ELNS1_11target_archE1100ELNS1_3gpuE3ELNS1_3repE0EEENS1_30default_config_static_selectorELNS0_4arch9wavefront6targetE0EEEvT1_.uses_vcc, 0
	.set _ZN7rocprim17ROCPRIM_400000_NS6detail17trampoline_kernelINS0_14default_configENS1_25partition_config_selectorILNS1_17partition_subalgoE5EiNS0_10empty_typeEbEEZZNS1_14partition_implILS5_5ELb0ES3_mN6thrust23THRUST_200600_302600_NS6detail15normal_iteratorINSA_10device_ptrIiEEEEPS6_NSA_18transform_iteratorINSB_9not_fun_tI7is_trueIiEEENSC_INSD_IbEEEENSA_11use_defaultESO_EENS0_5tupleIJNSA_16discard_iteratorISO_EES6_EEENSQ_IJSG_SG_EEES6_PlJS6_EEE10hipError_tPvRmT3_T4_T5_T6_T7_T9_mT8_P12ihipStream_tbDpT10_ENKUlT_T0_E_clISt17integral_constantIbLb0EES1F_EEDaS1A_S1B_EUlS1A_E_NS1_11comp_targetILNS1_3genE9ELNS1_11target_archE1100ELNS1_3gpuE3ELNS1_3repE0EEENS1_30default_config_static_selectorELNS0_4arch9wavefront6targetE0EEEvT1_.uses_flat_scratch, 0
	.set _ZN7rocprim17ROCPRIM_400000_NS6detail17trampoline_kernelINS0_14default_configENS1_25partition_config_selectorILNS1_17partition_subalgoE5EiNS0_10empty_typeEbEEZZNS1_14partition_implILS5_5ELb0ES3_mN6thrust23THRUST_200600_302600_NS6detail15normal_iteratorINSA_10device_ptrIiEEEEPS6_NSA_18transform_iteratorINSB_9not_fun_tI7is_trueIiEEENSC_INSD_IbEEEENSA_11use_defaultESO_EENS0_5tupleIJNSA_16discard_iteratorISO_EES6_EEENSQ_IJSG_SG_EEES6_PlJS6_EEE10hipError_tPvRmT3_T4_T5_T6_T7_T9_mT8_P12ihipStream_tbDpT10_ENKUlT_T0_E_clISt17integral_constantIbLb0EES1F_EEDaS1A_S1B_EUlS1A_E_NS1_11comp_targetILNS1_3genE9ELNS1_11target_archE1100ELNS1_3gpuE3ELNS1_3repE0EEENS1_30default_config_static_selectorELNS0_4arch9wavefront6targetE0EEEvT1_.has_dyn_sized_stack, 0
	.set _ZN7rocprim17ROCPRIM_400000_NS6detail17trampoline_kernelINS0_14default_configENS1_25partition_config_selectorILNS1_17partition_subalgoE5EiNS0_10empty_typeEbEEZZNS1_14partition_implILS5_5ELb0ES3_mN6thrust23THRUST_200600_302600_NS6detail15normal_iteratorINSA_10device_ptrIiEEEEPS6_NSA_18transform_iteratorINSB_9not_fun_tI7is_trueIiEEENSC_INSD_IbEEEENSA_11use_defaultESO_EENS0_5tupleIJNSA_16discard_iteratorISO_EES6_EEENSQ_IJSG_SG_EEES6_PlJS6_EEE10hipError_tPvRmT3_T4_T5_T6_T7_T9_mT8_P12ihipStream_tbDpT10_ENKUlT_T0_E_clISt17integral_constantIbLb0EES1F_EEDaS1A_S1B_EUlS1A_E_NS1_11comp_targetILNS1_3genE9ELNS1_11target_archE1100ELNS1_3gpuE3ELNS1_3repE0EEENS1_30default_config_static_selectorELNS0_4arch9wavefront6targetE0EEEvT1_.has_recursion, 0
	.set _ZN7rocprim17ROCPRIM_400000_NS6detail17trampoline_kernelINS0_14default_configENS1_25partition_config_selectorILNS1_17partition_subalgoE5EiNS0_10empty_typeEbEEZZNS1_14partition_implILS5_5ELb0ES3_mN6thrust23THRUST_200600_302600_NS6detail15normal_iteratorINSA_10device_ptrIiEEEEPS6_NSA_18transform_iteratorINSB_9not_fun_tI7is_trueIiEEENSC_INSD_IbEEEENSA_11use_defaultESO_EENS0_5tupleIJNSA_16discard_iteratorISO_EES6_EEENSQ_IJSG_SG_EEES6_PlJS6_EEE10hipError_tPvRmT3_T4_T5_T6_T7_T9_mT8_P12ihipStream_tbDpT10_ENKUlT_T0_E_clISt17integral_constantIbLb0EES1F_EEDaS1A_S1B_EUlS1A_E_NS1_11comp_targetILNS1_3genE9ELNS1_11target_archE1100ELNS1_3gpuE3ELNS1_3repE0EEENS1_30default_config_static_selectorELNS0_4arch9wavefront6targetE0EEEvT1_.has_indirect_call, 0
	.section	.AMDGPU.csdata,"",@progbits
; Kernel info:
; codeLenInByte = 0
; TotalNumSgprs: 0
; NumVgprs: 0
; ScratchSize: 0
; MemoryBound: 0
; FloatMode: 240
; IeeeMode: 1
; LDSByteSize: 0 bytes/workgroup (compile time only)
; SGPRBlocks: 0
; VGPRBlocks: 0
; NumSGPRsForWavesPerEU: 1
; NumVGPRsForWavesPerEU: 1
; Occupancy: 16
; WaveLimiterHint : 0
; COMPUTE_PGM_RSRC2:SCRATCH_EN: 0
; COMPUTE_PGM_RSRC2:USER_SGPR: 2
; COMPUTE_PGM_RSRC2:TRAP_HANDLER: 0
; COMPUTE_PGM_RSRC2:TGID_X_EN: 1
; COMPUTE_PGM_RSRC2:TGID_Y_EN: 0
; COMPUTE_PGM_RSRC2:TGID_Z_EN: 0
; COMPUTE_PGM_RSRC2:TIDIG_COMP_CNT: 0
	.section	.text._ZN7rocprim17ROCPRIM_400000_NS6detail17trampoline_kernelINS0_14default_configENS1_25partition_config_selectorILNS1_17partition_subalgoE5EiNS0_10empty_typeEbEEZZNS1_14partition_implILS5_5ELb0ES3_mN6thrust23THRUST_200600_302600_NS6detail15normal_iteratorINSA_10device_ptrIiEEEEPS6_NSA_18transform_iteratorINSB_9not_fun_tI7is_trueIiEEENSC_INSD_IbEEEENSA_11use_defaultESO_EENS0_5tupleIJNSA_16discard_iteratorISO_EES6_EEENSQ_IJSG_SG_EEES6_PlJS6_EEE10hipError_tPvRmT3_T4_T5_T6_T7_T9_mT8_P12ihipStream_tbDpT10_ENKUlT_T0_E_clISt17integral_constantIbLb0EES1F_EEDaS1A_S1B_EUlS1A_E_NS1_11comp_targetILNS1_3genE8ELNS1_11target_archE1030ELNS1_3gpuE2ELNS1_3repE0EEENS1_30default_config_static_selectorELNS0_4arch9wavefront6targetE0EEEvT1_,"axG",@progbits,_ZN7rocprim17ROCPRIM_400000_NS6detail17trampoline_kernelINS0_14default_configENS1_25partition_config_selectorILNS1_17partition_subalgoE5EiNS0_10empty_typeEbEEZZNS1_14partition_implILS5_5ELb0ES3_mN6thrust23THRUST_200600_302600_NS6detail15normal_iteratorINSA_10device_ptrIiEEEEPS6_NSA_18transform_iteratorINSB_9not_fun_tI7is_trueIiEEENSC_INSD_IbEEEENSA_11use_defaultESO_EENS0_5tupleIJNSA_16discard_iteratorISO_EES6_EEENSQ_IJSG_SG_EEES6_PlJS6_EEE10hipError_tPvRmT3_T4_T5_T6_T7_T9_mT8_P12ihipStream_tbDpT10_ENKUlT_T0_E_clISt17integral_constantIbLb0EES1F_EEDaS1A_S1B_EUlS1A_E_NS1_11comp_targetILNS1_3genE8ELNS1_11target_archE1030ELNS1_3gpuE2ELNS1_3repE0EEENS1_30default_config_static_selectorELNS0_4arch9wavefront6targetE0EEEvT1_,comdat
	.protected	_ZN7rocprim17ROCPRIM_400000_NS6detail17trampoline_kernelINS0_14default_configENS1_25partition_config_selectorILNS1_17partition_subalgoE5EiNS0_10empty_typeEbEEZZNS1_14partition_implILS5_5ELb0ES3_mN6thrust23THRUST_200600_302600_NS6detail15normal_iteratorINSA_10device_ptrIiEEEEPS6_NSA_18transform_iteratorINSB_9not_fun_tI7is_trueIiEEENSC_INSD_IbEEEENSA_11use_defaultESO_EENS0_5tupleIJNSA_16discard_iteratorISO_EES6_EEENSQ_IJSG_SG_EEES6_PlJS6_EEE10hipError_tPvRmT3_T4_T5_T6_T7_T9_mT8_P12ihipStream_tbDpT10_ENKUlT_T0_E_clISt17integral_constantIbLb0EES1F_EEDaS1A_S1B_EUlS1A_E_NS1_11comp_targetILNS1_3genE8ELNS1_11target_archE1030ELNS1_3gpuE2ELNS1_3repE0EEENS1_30default_config_static_selectorELNS0_4arch9wavefront6targetE0EEEvT1_ ; -- Begin function _ZN7rocprim17ROCPRIM_400000_NS6detail17trampoline_kernelINS0_14default_configENS1_25partition_config_selectorILNS1_17partition_subalgoE5EiNS0_10empty_typeEbEEZZNS1_14partition_implILS5_5ELb0ES3_mN6thrust23THRUST_200600_302600_NS6detail15normal_iteratorINSA_10device_ptrIiEEEEPS6_NSA_18transform_iteratorINSB_9not_fun_tI7is_trueIiEEENSC_INSD_IbEEEENSA_11use_defaultESO_EENS0_5tupleIJNSA_16discard_iteratorISO_EES6_EEENSQ_IJSG_SG_EEES6_PlJS6_EEE10hipError_tPvRmT3_T4_T5_T6_T7_T9_mT8_P12ihipStream_tbDpT10_ENKUlT_T0_E_clISt17integral_constantIbLb0EES1F_EEDaS1A_S1B_EUlS1A_E_NS1_11comp_targetILNS1_3genE8ELNS1_11target_archE1030ELNS1_3gpuE2ELNS1_3repE0EEENS1_30default_config_static_selectorELNS0_4arch9wavefront6targetE0EEEvT1_
	.globl	_ZN7rocprim17ROCPRIM_400000_NS6detail17trampoline_kernelINS0_14default_configENS1_25partition_config_selectorILNS1_17partition_subalgoE5EiNS0_10empty_typeEbEEZZNS1_14partition_implILS5_5ELb0ES3_mN6thrust23THRUST_200600_302600_NS6detail15normal_iteratorINSA_10device_ptrIiEEEEPS6_NSA_18transform_iteratorINSB_9not_fun_tI7is_trueIiEEENSC_INSD_IbEEEENSA_11use_defaultESO_EENS0_5tupleIJNSA_16discard_iteratorISO_EES6_EEENSQ_IJSG_SG_EEES6_PlJS6_EEE10hipError_tPvRmT3_T4_T5_T6_T7_T9_mT8_P12ihipStream_tbDpT10_ENKUlT_T0_E_clISt17integral_constantIbLb0EES1F_EEDaS1A_S1B_EUlS1A_E_NS1_11comp_targetILNS1_3genE8ELNS1_11target_archE1030ELNS1_3gpuE2ELNS1_3repE0EEENS1_30default_config_static_selectorELNS0_4arch9wavefront6targetE0EEEvT1_
	.p2align	8
	.type	_ZN7rocprim17ROCPRIM_400000_NS6detail17trampoline_kernelINS0_14default_configENS1_25partition_config_selectorILNS1_17partition_subalgoE5EiNS0_10empty_typeEbEEZZNS1_14partition_implILS5_5ELb0ES3_mN6thrust23THRUST_200600_302600_NS6detail15normal_iteratorINSA_10device_ptrIiEEEEPS6_NSA_18transform_iteratorINSB_9not_fun_tI7is_trueIiEEENSC_INSD_IbEEEENSA_11use_defaultESO_EENS0_5tupleIJNSA_16discard_iteratorISO_EES6_EEENSQ_IJSG_SG_EEES6_PlJS6_EEE10hipError_tPvRmT3_T4_T5_T6_T7_T9_mT8_P12ihipStream_tbDpT10_ENKUlT_T0_E_clISt17integral_constantIbLb0EES1F_EEDaS1A_S1B_EUlS1A_E_NS1_11comp_targetILNS1_3genE8ELNS1_11target_archE1030ELNS1_3gpuE2ELNS1_3repE0EEENS1_30default_config_static_selectorELNS0_4arch9wavefront6targetE0EEEvT1_,@function
_ZN7rocprim17ROCPRIM_400000_NS6detail17trampoline_kernelINS0_14default_configENS1_25partition_config_selectorILNS1_17partition_subalgoE5EiNS0_10empty_typeEbEEZZNS1_14partition_implILS5_5ELb0ES3_mN6thrust23THRUST_200600_302600_NS6detail15normal_iteratorINSA_10device_ptrIiEEEEPS6_NSA_18transform_iteratorINSB_9not_fun_tI7is_trueIiEEENSC_INSD_IbEEEENSA_11use_defaultESO_EENS0_5tupleIJNSA_16discard_iteratorISO_EES6_EEENSQ_IJSG_SG_EEES6_PlJS6_EEE10hipError_tPvRmT3_T4_T5_T6_T7_T9_mT8_P12ihipStream_tbDpT10_ENKUlT_T0_E_clISt17integral_constantIbLb0EES1F_EEDaS1A_S1B_EUlS1A_E_NS1_11comp_targetILNS1_3genE8ELNS1_11target_archE1030ELNS1_3gpuE2ELNS1_3repE0EEENS1_30default_config_static_selectorELNS0_4arch9wavefront6targetE0EEEvT1_: ; @_ZN7rocprim17ROCPRIM_400000_NS6detail17trampoline_kernelINS0_14default_configENS1_25partition_config_selectorILNS1_17partition_subalgoE5EiNS0_10empty_typeEbEEZZNS1_14partition_implILS5_5ELb0ES3_mN6thrust23THRUST_200600_302600_NS6detail15normal_iteratorINSA_10device_ptrIiEEEEPS6_NSA_18transform_iteratorINSB_9not_fun_tI7is_trueIiEEENSC_INSD_IbEEEENSA_11use_defaultESO_EENS0_5tupleIJNSA_16discard_iteratorISO_EES6_EEENSQ_IJSG_SG_EEES6_PlJS6_EEE10hipError_tPvRmT3_T4_T5_T6_T7_T9_mT8_P12ihipStream_tbDpT10_ENKUlT_T0_E_clISt17integral_constantIbLb0EES1F_EEDaS1A_S1B_EUlS1A_E_NS1_11comp_targetILNS1_3genE8ELNS1_11target_archE1030ELNS1_3gpuE2ELNS1_3repE0EEENS1_30default_config_static_selectorELNS0_4arch9wavefront6targetE0EEEvT1_
; %bb.0:
	.section	.rodata,"a",@progbits
	.p2align	6, 0x0
	.amdhsa_kernel _ZN7rocprim17ROCPRIM_400000_NS6detail17trampoline_kernelINS0_14default_configENS1_25partition_config_selectorILNS1_17partition_subalgoE5EiNS0_10empty_typeEbEEZZNS1_14partition_implILS5_5ELb0ES3_mN6thrust23THRUST_200600_302600_NS6detail15normal_iteratorINSA_10device_ptrIiEEEEPS6_NSA_18transform_iteratorINSB_9not_fun_tI7is_trueIiEEENSC_INSD_IbEEEENSA_11use_defaultESO_EENS0_5tupleIJNSA_16discard_iteratorISO_EES6_EEENSQ_IJSG_SG_EEES6_PlJS6_EEE10hipError_tPvRmT3_T4_T5_T6_T7_T9_mT8_P12ihipStream_tbDpT10_ENKUlT_T0_E_clISt17integral_constantIbLb0EES1F_EEDaS1A_S1B_EUlS1A_E_NS1_11comp_targetILNS1_3genE8ELNS1_11target_archE1030ELNS1_3gpuE2ELNS1_3repE0EEENS1_30default_config_static_selectorELNS0_4arch9wavefront6targetE0EEEvT1_
		.amdhsa_group_segment_fixed_size 0
		.amdhsa_private_segment_fixed_size 0
		.amdhsa_kernarg_size 128
		.amdhsa_user_sgpr_count 2
		.amdhsa_user_sgpr_dispatch_ptr 0
		.amdhsa_user_sgpr_queue_ptr 0
		.amdhsa_user_sgpr_kernarg_segment_ptr 1
		.amdhsa_user_sgpr_dispatch_id 0
		.amdhsa_user_sgpr_private_segment_size 0
		.amdhsa_wavefront_size32 1
		.amdhsa_uses_dynamic_stack 0
		.amdhsa_enable_private_segment 0
		.amdhsa_system_sgpr_workgroup_id_x 1
		.amdhsa_system_sgpr_workgroup_id_y 0
		.amdhsa_system_sgpr_workgroup_id_z 0
		.amdhsa_system_sgpr_workgroup_info 0
		.amdhsa_system_vgpr_workitem_id 0
		.amdhsa_next_free_vgpr 1
		.amdhsa_next_free_sgpr 1
		.amdhsa_reserve_vcc 0
		.amdhsa_float_round_mode_32 0
		.amdhsa_float_round_mode_16_64 0
		.amdhsa_float_denorm_mode_32 3
		.amdhsa_float_denorm_mode_16_64 3
		.amdhsa_fp16_overflow 0
		.amdhsa_workgroup_processor_mode 1
		.amdhsa_memory_ordered 1
		.amdhsa_forward_progress 1
		.amdhsa_inst_pref_size 0
		.amdhsa_round_robin_scheduling 0
		.amdhsa_exception_fp_ieee_invalid_op 0
		.amdhsa_exception_fp_denorm_src 0
		.amdhsa_exception_fp_ieee_div_zero 0
		.amdhsa_exception_fp_ieee_overflow 0
		.amdhsa_exception_fp_ieee_underflow 0
		.amdhsa_exception_fp_ieee_inexact 0
		.amdhsa_exception_int_div_zero 0
	.end_amdhsa_kernel
	.section	.text._ZN7rocprim17ROCPRIM_400000_NS6detail17trampoline_kernelINS0_14default_configENS1_25partition_config_selectorILNS1_17partition_subalgoE5EiNS0_10empty_typeEbEEZZNS1_14partition_implILS5_5ELb0ES3_mN6thrust23THRUST_200600_302600_NS6detail15normal_iteratorINSA_10device_ptrIiEEEEPS6_NSA_18transform_iteratorINSB_9not_fun_tI7is_trueIiEEENSC_INSD_IbEEEENSA_11use_defaultESO_EENS0_5tupleIJNSA_16discard_iteratorISO_EES6_EEENSQ_IJSG_SG_EEES6_PlJS6_EEE10hipError_tPvRmT3_T4_T5_T6_T7_T9_mT8_P12ihipStream_tbDpT10_ENKUlT_T0_E_clISt17integral_constantIbLb0EES1F_EEDaS1A_S1B_EUlS1A_E_NS1_11comp_targetILNS1_3genE8ELNS1_11target_archE1030ELNS1_3gpuE2ELNS1_3repE0EEENS1_30default_config_static_selectorELNS0_4arch9wavefront6targetE0EEEvT1_,"axG",@progbits,_ZN7rocprim17ROCPRIM_400000_NS6detail17trampoline_kernelINS0_14default_configENS1_25partition_config_selectorILNS1_17partition_subalgoE5EiNS0_10empty_typeEbEEZZNS1_14partition_implILS5_5ELb0ES3_mN6thrust23THRUST_200600_302600_NS6detail15normal_iteratorINSA_10device_ptrIiEEEEPS6_NSA_18transform_iteratorINSB_9not_fun_tI7is_trueIiEEENSC_INSD_IbEEEENSA_11use_defaultESO_EENS0_5tupleIJNSA_16discard_iteratorISO_EES6_EEENSQ_IJSG_SG_EEES6_PlJS6_EEE10hipError_tPvRmT3_T4_T5_T6_T7_T9_mT8_P12ihipStream_tbDpT10_ENKUlT_T0_E_clISt17integral_constantIbLb0EES1F_EEDaS1A_S1B_EUlS1A_E_NS1_11comp_targetILNS1_3genE8ELNS1_11target_archE1030ELNS1_3gpuE2ELNS1_3repE0EEENS1_30default_config_static_selectorELNS0_4arch9wavefront6targetE0EEEvT1_,comdat
.Lfunc_end2788:
	.size	_ZN7rocprim17ROCPRIM_400000_NS6detail17trampoline_kernelINS0_14default_configENS1_25partition_config_selectorILNS1_17partition_subalgoE5EiNS0_10empty_typeEbEEZZNS1_14partition_implILS5_5ELb0ES3_mN6thrust23THRUST_200600_302600_NS6detail15normal_iteratorINSA_10device_ptrIiEEEEPS6_NSA_18transform_iteratorINSB_9not_fun_tI7is_trueIiEEENSC_INSD_IbEEEENSA_11use_defaultESO_EENS0_5tupleIJNSA_16discard_iteratorISO_EES6_EEENSQ_IJSG_SG_EEES6_PlJS6_EEE10hipError_tPvRmT3_T4_T5_T6_T7_T9_mT8_P12ihipStream_tbDpT10_ENKUlT_T0_E_clISt17integral_constantIbLb0EES1F_EEDaS1A_S1B_EUlS1A_E_NS1_11comp_targetILNS1_3genE8ELNS1_11target_archE1030ELNS1_3gpuE2ELNS1_3repE0EEENS1_30default_config_static_selectorELNS0_4arch9wavefront6targetE0EEEvT1_, .Lfunc_end2788-_ZN7rocprim17ROCPRIM_400000_NS6detail17trampoline_kernelINS0_14default_configENS1_25partition_config_selectorILNS1_17partition_subalgoE5EiNS0_10empty_typeEbEEZZNS1_14partition_implILS5_5ELb0ES3_mN6thrust23THRUST_200600_302600_NS6detail15normal_iteratorINSA_10device_ptrIiEEEEPS6_NSA_18transform_iteratorINSB_9not_fun_tI7is_trueIiEEENSC_INSD_IbEEEENSA_11use_defaultESO_EENS0_5tupleIJNSA_16discard_iteratorISO_EES6_EEENSQ_IJSG_SG_EEES6_PlJS6_EEE10hipError_tPvRmT3_T4_T5_T6_T7_T9_mT8_P12ihipStream_tbDpT10_ENKUlT_T0_E_clISt17integral_constantIbLb0EES1F_EEDaS1A_S1B_EUlS1A_E_NS1_11comp_targetILNS1_3genE8ELNS1_11target_archE1030ELNS1_3gpuE2ELNS1_3repE0EEENS1_30default_config_static_selectorELNS0_4arch9wavefront6targetE0EEEvT1_
                                        ; -- End function
	.set _ZN7rocprim17ROCPRIM_400000_NS6detail17trampoline_kernelINS0_14default_configENS1_25partition_config_selectorILNS1_17partition_subalgoE5EiNS0_10empty_typeEbEEZZNS1_14partition_implILS5_5ELb0ES3_mN6thrust23THRUST_200600_302600_NS6detail15normal_iteratorINSA_10device_ptrIiEEEEPS6_NSA_18transform_iteratorINSB_9not_fun_tI7is_trueIiEEENSC_INSD_IbEEEENSA_11use_defaultESO_EENS0_5tupleIJNSA_16discard_iteratorISO_EES6_EEENSQ_IJSG_SG_EEES6_PlJS6_EEE10hipError_tPvRmT3_T4_T5_T6_T7_T9_mT8_P12ihipStream_tbDpT10_ENKUlT_T0_E_clISt17integral_constantIbLb0EES1F_EEDaS1A_S1B_EUlS1A_E_NS1_11comp_targetILNS1_3genE8ELNS1_11target_archE1030ELNS1_3gpuE2ELNS1_3repE0EEENS1_30default_config_static_selectorELNS0_4arch9wavefront6targetE0EEEvT1_.num_vgpr, 0
	.set _ZN7rocprim17ROCPRIM_400000_NS6detail17trampoline_kernelINS0_14default_configENS1_25partition_config_selectorILNS1_17partition_subalgoE5EiNS0_10empty_typeEbEEZZNS1_14partition_implILS5_5ELb0ES3_mN6thrust23THRUST_200600_302600_NS6detail15normal_iteratorINSA_10device_ptrIiEEEEPS6_NSA_18transform_iteratorINSB_9not_fun_tI7is_trueIiEEENSC_INSD_IbEEEENSA_11use_defaultESO_EENS0_5tupleIJNSA_16discard_iteratorISO_EES6_EEENSQ_IJSG_SG_EEES6_PlJS6_EEE10hipError_tPvRmT3_T4_T5_T6_T7_T9_mT8_P12ihipStream_tbDpT10_ENKUlT_T0_E_clISt17integral_constantIbLb0EES1F_EEDaS1A_S1B_EUlS1A_E_NS1_11comp_targetILNS1_3genE8ELNS1_11target_archE1030ELNS1_3gpuE2ELNS1_3repE0EEENS1_30default_config_static_selectorELNS0_4arch9wavefront6targetE0EEEvT1_.num_agpr, 0
	.set _ZN7rocprim17ROCPRIM_400000_NS6detail17trampoline_kernelINS0_14default_configENS1_25partition_config_selectorILNS1_17partition_subalgoE5EiNS0_10empty_typeEbEEZZNS1_14partition_implILS5_5ELb0ES3_mN6thrust23THRUST_200600_302600_NS6detail15normal_iteratorINSA_10device_ptrIiEEEEPS6_NSA_18transform_iteratorINSB_9not_fun_tI7is_trueIiEEENSC_INSD_IbEEEENSA_11use_defaultESO_EENS0_5tupleIJNSA_16discard_iteratorISO_EES6_EEENSQ_IJSG_SG_EEES6_PlJS6_EEE10hipError_tPvRmT3_T4_T5_T6_T7_T9_mT8_P12ihipStream_tbDpT10_ENKUlT_T0_E_clISt17integral_constantIbLb0EES1F_EEDaS1A_S1B_EUlS1A_E_NS1_11comp_targetILNS1_3genE8ELNS1_11target_archE1030ELNS1_3gpuE2ELNS1_3repE0EEENS1_30default_config_static_selectorELNS0_4arch9wavefront6targetE0EEEvT1_.numbered_sgpr, 0
	.set _ZN7rocprim17ROCPRIM_400000_NS6detail17trampoline_kernelINS0_14default_configENS1_25partition_config_selectorILNS1_17partition_subalgoE5EiNS0_10empty_typeEbEEZZNS1_14partition_implILS5_5ELb0ES3_mN6thrust23THRUST_200600_302600_NS6detail15normal_iteratorINSA_10device_ptrIiEEEEPS6_NSA_18transform_iteratorINSB_9not_fun_tI7is_trueIiEEENSC_INSD_IbEEEENSA_11use_defaultESO_EENS0_5tupleIJNSA_16discard_iteratorISO_EES6_EEENSQ_IJSG_SG_EEES6_PlJS6_EEE10hipError_tPvRmT3_T4_T5_T6_T7_T9_mT8_P12ihipStream_tbDpT10_ENKUlT_T0_E_clISt17integral_constantIbLb0EES1F_EEDaS1A_S1B_EUlS1A_E_NS1_11comp_targetILNS1_3genE8ELNS1_11target_archE1030ELNS1_3gpuE2ELNS1_3repE0EEENS1_30default_config_static_selectorELNS0_4arch9wavefront6targetE0EEEvT1_.num_named_barrier, 0
	.set _ZN7rocprim17ROCPRIM_400000_NS6detail17trampoline_kernelINS0_14default_configENS1_25partition_config_selectorILNS1_17partition_subalgoE5EiNS0_10empty_typeEbEEZZNS1_14partition_implILS5_5ELb0ES3_mN6thrust23THRUST_200600_302600_NS6detail15normal_iteratorINSA_10device_ptrIiEEEEPS6_NSA_18transform_iteratorINSB_9not_fun_tI7is_trueIiEEENSC_INSD_IbEEEENSA_11use_defaultESO_EENS0_5tupleIJNSA_16discard_iteratorISO_EES6_EEENSQ_IJSG_SG_EEES6_PlJS6_EEE10hipError_tPvRmT3_T4_T5_T6_T7_T9_mT8_P12ihipStream_tbDpT10_ENKUlT_T0_E_clISt17integral_constantIbLb0EES1F_EEDaS1A_S1B_EUlS1A_E_NS1_11comp_targetILNS1_3genE8ELNS1_11target_archE1030ELNS1_3gpuE2ELNS1_3repE0EEENS1_30default_config_static_selectorELNS0_4arch9wavefront6targetE0EEEvT1_.private_seg_size, 0
	.set _ZN7rocprim17ROCPRIM_400000_NS6detail17trampoline_kernelINS0_14default_configENS1_25partition_config_selectorILNS1_17partition_subalgoE5EiNS0_10empty_typeEbEEZZNS1_14partition_implILS5_5ELb0ES3_mN6thrust23THRUST_200600_302600_NS6detail15normal_iteratorINSA_10device_ptrIiEEEEPS6_NSA_18transform_iteratorINSB_9not_fun_tI7is_trueIiEEENSC_INSD_IbEEEENSA_11use_defaultESO_EENS0_5tupleIJNSA_16discard_iteratorISO_EES6_EEENSQ_IJSG_SG_EEES6_PlJS6_EEE10hipError_tPvRmT3_T4_T5_T6_T7_T9_mT8_P12ihipStream_tbDpT10_ENKUlT_T0_E_clISt17integral_constantIbLb0EES1F_EEDaS1A_S1B_EUlS1A_E_NS1_11comp_targetILNS1_3genE8ELNS1_11target_archE1030ELNS1_3gpuE2ELNS1_3repE0EEENS1_30default_config_static_selectorELNS0_4arch9wavefront6targetE0EEEvT1_.uses_vcc, 0
	.set _ZN7rocprim17ROCPRIM_400000_NS6detail17trampoline_kernelINS0_14default_configENS1_25partition_config_selectorILNS1_17partition_subalgoE5EiNS0_10empty_typeEbEEZZNS1_14partition_implILS5_5ELb0ES3_mN6thrust23THRUST_200600_302600_NS6detail15normal_iteratorINSA_10device_ptrIiEEEEPS6_NSA_18transform_iteratorINSB_9not_fun_tI7is_trueIiEEENSC_INSD_IbEEEENSA_11use_defaultESO_EENS0_5tupleIJNSA_16discard_iteratorISO_EES6_EEENSQ_IJSG_SG_EEES6_PlJS6_EEE10hipError_tPvRmT3_T4_T5_T6_T7_T9_mT8_P12ihipStream_tbDpT10_ENKUlT_T0_E_clISt17integral_constantIbLb0EES1F_EEDaS1A_S1B_EUlS1A_E_NS1_11comp_targetILNS1_3genE8ELNS1_11target_archE1030ELNS1_3gpuE2ELNS1_3repE0EEENS1_30default_config_static_selectorELNS0_4arch9wavefront6targetE0EEEvT1_.uses_flat_scratch, 0
	.set _ZN7rocprim17ROCPRIM_400000_NS6detail17trampoline_kernelINS0_14default_configENS1_25partition_config_selectorILNS1_17partition_subalgoE5EiNS0_10empty_typeEbEEZZNS1_14partition_implILS5_5ELb0ES3_mN6thrust23THRUST_200600_302600_NS6detail15normal_iteratorINSA_10device_ptrIiEEEEPS6_NSA_18transform_iteratorINSB_9not_fun_tI7is_trueIiEEENSC_INSD_IbEEEENSA_11use_defaultESO_EENS0_5tupleIJNSA_16discard_iteratorISO_EES6_EEENSQ_IJSG_SG_EEES6_PlJS6_EEE10hipError_tPvRmT3_T4_T5_T6_T7_T9_mT8_P12ihipStream_tbDpT10_ENKUlT_T0_E_clISt17integral_constantIbLb0EES1F_EEDaS1A_S1B_EUlS1A_E_NS1_11comp_targetILNS1_3genE8ELNS1_11target_archE1030ELNS1_3gpuE2ELNS1_3repE0EEENS1_30default_config_static_selectorELNS0_4arch9wavefront6targetE0EEEvT1_.has_dyn_sized_stack, 0
	.set _ZN7rocprim17ROCPRIM_400000_NS6detail17trampoline_kernelINS0_14default_configENS1_25partition_config_selectorILNS1_17partition_subalgoE5EiNS0_10empty_typeEbEEZZNS1_14partition_implILS5_5ELb0ES3_mN6thrust23THRUST_200600_302600_NS6detail15normal_iteratorINSA_10device_ptrIiEEEEPS6_NSA_18transform_iteratorINSB_9not_fun_tI7is_trueIiEEENSC_INSD_IbEEEENSA_11use_defaultESO_EENS0_5tupleIJNSA_16discard_iteratorISO_EES6_EEENSQ_IJSG_SG_EEES6_PlJS6_EEE10hipError_tPvRmT3_T4_T5_T6_T7_T9_mT8_P12ihipStream_tbDpT10_ENKUlT_T0_E_clISt17integral_constantIbLb0EES1F_EEDaS1A_S1B_EUlS1A_E_NS1_11comp_targetILNS1_3genE8ELNS1_11target_archE1030ELNS1_3gpuE2ELNS1_3repE0EEENS1_30default_config_static_selectorELNS0_4arch9wavefront6targetE0EEEvT1_.has_recursion, 0
	.set _ZN7rocprim17ROCPRIM_400000_NS6detail17trampoline_kernelINS0_14default_configENS1_25partition_config_selectorILNS1_17partition_subalgoE5EiNS0_10empty_typeEbEEZZNS1_14partition_implILS5_5ELb0ES3_mN6thrust23THRUST_200600_302600_NS6detail15normal_iteratorINSA_10device_ptrIiEEEEPS6_NSA_18transform_iteratorINSB_9not_fun_tI7is_trueIiEEENSC_INSD_IbEEEENSA_11use_defaultESO_EENS0_5tupleIJNSA_16discard_iteratorISO_EES6_EEENSQ_IJSG_SG_EEES6_PlJS6_EEE10hipError_tPvRmT3_T4_T5_T6_T7_T9_mT8_P12ihipStream_tbDpT10_ENKUlT_T0_E_clISt17integral_constantIbLb0EES1F_EEDaS1A_S1B_EUlS1A_E_NS1_11comp_targetILNS1_3genE8ELNS1_11target_archE1030ELNS1_3gpuE2ELNS1_3repE0EEENS1_30default_config_static_selectorELNS0_4arch9wavefront6targetE0EEEvT1_.has_indirect_call, 0
	.section	.AMDGPU.csdata,"",@progbits
; Kernel info:
; codeLenInByte = 0
; TotalNumSgprs: 0
; NumVgprs: 0
; ScratchSize: 0
; MemoryBound: 0
; FloatMode: 240
; IeeeMode: 1
; LDSByteSize: 0 bytes/workgroup (compile time only)
; SGPRBlocks: 0
; VGPRBlocks: 0
; NumSGPRsForWavesPerEU: 1
; NumVGPRsForWavesPerEU: 1
; Occupancy: 16
; WaveLimiterHint : 0
; COMPUTE_PGM_RSRC2:SCRATCH_EN: 0
; COMPUTE_PGM_RSRC2:USER_SGPR: 2
; COMPUTE_PGM_RSRC2:TRAP_HANDLER: 0
; COMPUTE_PGM_RSRC2:TGID_X_EN: 1
; COMPUTE_PGM_RSRC2:TGID_Y_EN: 0
; COMPUTE_PGM_RSRC2:TGID_Z_EN: 0
; COMPUTE_PGM_RSRC2:TIDIG_COMP_CNT: 0
	.section	.text._ZN7rocprim17ROCPRIM_400000_NS6detail17trampoline_kernelINS0_14default_configENS1_25partition_config_selectorILNS1_17partition_subalgoE5EiNS0_10empty_typeEbEEZZNS1_14partition_implILS5_5ELb0ES3_mN6thrust23THRUST_200600_302600_NS6detail15normal_iteratorINSA_10device_ptrIiEEEEPS6_NSA_18transform_iteratorINSB_9not_fun_tI7is_trueIiEEENSC_INSD_IbEEEENSA_11use_defaultESO_EENS0_5tupleIJNSA_16discard_iteratorISO_EES6_EEENSQ_IJSG_SG_EEES6_PlJS6_EEE10hipError_tPvRmT3_T4_T5_T6_T7_T9_mT8_P12ihipStream_tbDpT10_ENKUlT_T0_E_clISt17integral_constantIbLb1EES1F_EEDaS1A_S1B_EUlS1A_E_NS1_11comp_targetILNS1_3genE0ELNS1_11target_archE4294967295ELNS1_3gpuE0ELNS1_3repE0EEENS1_30default_config_static_selectorELNS0_4arch9wavefront6targetE0EEEvT1_,"axG",@progbits,_ZN7rocprim17ROCPRIM_400000_NS6detail17trampoline_kernelINS0_14default_configENS1_25partition_config_selectorILNS1_17partition_subalgoE5EiNS0_10empty_typeEbEEZZNS1_14partition_implILS5_5ELb0ES3_mN6thrust23THRUST_200600_302600_NS6detail15normal_iteratorINSA_10device_ptrIiEEEEPS6_NSA_18transform_iteratorINSB_9not_fun_tI7is_trueIiEEENSC_INSD_IbEEEENSA_11use_defaultESO_EENS0_5tupleIJNSA_16discard_iteratorISO_EES6_EEENSQ_IJSG_SG_EEES6_PlJS6_EEE10hipError_tPvRmT3_T4_T5_T6_T7_T9_mT8_P12ihipStream_tbDpT10_ENKUlT_T0_E_clISt17integral_constantIbLb1EES1F_EEDaS1A_S1B_EUlS1A_E_NS1_11comp_targetILNS1_3genE0ELNS1_11target_archE4294967295ELNS1_3gpuE0ELNS1_3repE0EEENS1_30default_config_static_selectorELNS0_4arch9wavefront6targetE0EEEvT1_,comdat
	.protected	_ZN7rocprim17ROCPRIM_400000_NS6detail17trampoline_kernelINS0_14default_configENS1_25partition_config_selectorILNS1_17partition_subalgoE5EiNS0_10empty_typeEbEEZZNS1_14partition_implILS5_5ELb0ES3_mN6thrust23THRUST_200600_302600_NS6detail15normal_iteratorINSA_10device_ptrIiEEEEPS6_NSA_18transform_iteratorINSB_9not_fun_tI7is_trueIiEEENSC_INSD_IbEEEENSA_11use_defaultESO_EENS0_5tupleIJNSA_16discard_iteratorISO_EES6_EEENSQ_IJSG_SG_EEES6_PlJS6_EEE10hipError_tPvRmT3_T4_T5_T6_T7_T9_mT8_P12ihipStream_tbDpT10_ENKUlT_T0_E_clISt17integral_constantIbLb1EES1F_EEDaS1A_S1B_EUlS1A_E_NS1_11comp_targetILNS1_3genE0ELNS1_11target_archE4294967295ELNS1_3gpuE0ELNS1_3repE0EEENS1_30default_config_static_selectorELNS0_4arch9wavefront6targetE0EEEvT1_ ; -- Begin function _ZN7rocprim17ROCPRIM_400000_NS6detail17trampoline_kernelINS0_14default_configENS1_25partition_config_selectorILNS1_17partition_subalgoE5EiNS0_10empty_typeEbEEZZNS1_14partition_implILS5_5ELb0ES3_mN6thrust23THRUST_200600_302600_NS6detail15normal_iteratorINSA_10device_ptrIiEEEEPS6_NSA_18transform_iteratorINSB_9not_fun_tI7is_trueIiEEENSC_INSD_IbEEEENSA_11use_defaultESO_EENS0_5tupleIJNSA_16discard_iteratorISO_EES6_EEENSQ_IJSG_SG_EEES6_PlJS6_EEE10hipError_tPvRmT3_T4_T5_T6_T7_T9_mT8_P12ihipStream_tbDpT10_ENKUlT_T0_E_clISt17integral_constantIbLb1EES1F_EEDaS1A_S1B_EUlS1A_E_NS1_11comp_targetILNS1_3genE0ELNS1_11target_archE4294967295ELNS1_3gpuE0ELNS1_3repE0EEENS1_30default_config_static_selectorELNS0_4arch9wavefront6targetE0EEEvT1_
	.globl	_ZN7rocprim17ROCPRIM_400000_NS6detail17trampoline_kernelINS0_14default_configENS1_25partition_config_selectorILNS1_17partition_subalgoE5EiNS0_10empty_typeEbEEZZNS1_14partition_implILS5_5ELb0ES3_mN6thrust23THRUST_200600_302600_NS6detail15normal_iteratorINSA_10device_ptrIiEEEEPS6_NSA_18transform_iteratorINSB_9not_fun_tI7is_trueIiEEENSC_INSD_IbEEEENSA_11use_defaultESO_EENS0_5tupleIJNSA_16discard_iteratorISO_EES6_EEENSQ_IJSG_SG_EEES6_PlJS6_EEE10hipError_tPvRmT3_T4_T5_T6_T7_T9_mT8_P12ihipStream_tbDpT10_ENKUlT_T0_E_clISt17integral_constantIbLb1EES1F_EEDaS1A_S1B_EUlS1A_E_NS1_11comp_targetILNS1_3genE0ELNS1_11target_archE4294967295ELNS1_3gpuE0ELNS1_3repE0EEENS1_30default_config_static_selectorELNS0_4arch9wavefront6targetE0EEEvT1_
	.p2align	8
	.type	_ZN7rocprim17ROCPRIM_400000_NS6detail17trampoline_kernelINS0_14default_configENS1_25partition_config_selectorILNS1_17partition_subalgoE5EiNS0_10empty_typeEbEEZZNS1_14partition_implILS5_5ELb0ES3_mN6thrust23THRUST_200600_302600_NS6detail15normal_iteratorINSA_10device_ptrIiEEEEPS6_NSA_18transform_iteratorINSB_9not_fun_tI7is_trueIiEEENSC_INSD_IbEEEENSA_11use_defaultESO_EENS0_5tupleIJNSA_16discard_iteratorISO_EES6_EEENSQ_IJSG_SG_EEES6_PlJS6_EEE10hipError_tPvRmT3_T4_T5_T6_T7_T9_mT8_P12ihipStream_tbDpT10_ENKUlT_T0_E_clISt17integral_constantIbLb1EES1F_EEDaS1A_S1B_EUlS1A_E_NS1_11comp_targetILNS1_3genE0ELNS1_11target_archE4294967295ELNS1_3gpuE0ELNS1_3repE0EEENS1_30default_config_static_selectorELNS0_4arch9wavefront6targetE0EEEvT1_,@function
_ZN7rocprim17ROCPRIM_400000_NS6detail17trampoline_kernelINS0_14default_configENS1_25partition_config_selectorILNS1_17partition_subalgoE5EiNS0_10empty_typeEbEEZZNS1_14partition_implILS5_5ELb0ES3_mN6thrust23THRUST_200600_302600_NS6detail15normal_iteratorINSA_10device_ptrIiEEEEPS6_NSA_18transform_iteratorINSB_9not_fun_tI7is_trueIiEEENSC_INSD_IbEEEENSA_11use_defaultESO_EENS0_5tupleIJNSA_16discard_iteratorISO_EES6_EEENSQ_IJSG_SG_EEES6_PlJS6_EEE10hipError_tPvRmT3_T4_T5_T6_T7_T9_mT8_P12ihipStream_tbDpT10_ENKUlT_T0_E_clISt17integral_constantIbLb1EES1F_EEDaS1A_S1B_EUlS1A_E_NS1_11comp_targetILNS1_3genE0ELNS1_11target_archE4294967295ELNS1_3gpuE0ELNS1_3repE0EEENS1_30default_config_static_selectorELNS0_4arch9wavefront6targetE0EEEvT1_: ; @_ZN7rocprim17ROCPRIM_400000_NS6detail17trampoline_kernelINS0_14default_configENS1_25partition_config_selectorILNS1_17partition_subalgoE5EiNS0_10empty_typeEbEEZZNS1_14partition_implILS5_5ELb0ES3_mN6thrust23THRUST_200600_302600_NS6detail15normal_iteratorINSA_10device_ptrIiEEEEPS6_NSA_18transform_iteratorINSB_9not_fun_tI7is_trueIiEEENSC_INSD_IbEEEENSA_11use_defaultESO_EENS0_5tupleIJNSA_16discard_iteratorISO_EES6_EEENSQ_IJSG_SG_EEES6_PlJS6_EEE10hipError_tPvRmT3_T4_T5_T6_T7_T9_mT8_P12ihipStream_tbDpT10_ENKUlT_T0_E_clISt17integral_constantIbLb1EES1F_EEDaS1A_S1B_EUlS1A_E_NS1_11comp_targetILNS1_3genE0ELNS1_11target_archE4294967295ELNS1_3gpuE0ELNS1_3repE0EEENS1_30default_config_static_selectorELNS0_4arch9wavefront6targetE0EEEvT1_
; %bb.0:
	.section	.rodata,"a",@progbits
	.p2align	6, 0x0
	.amdhsa_kernel _ZN7rocprim17ROCPRIM_400000_NS6detail17trampoline_kernelINS0_14default_configENS1_25partition_config_selectorILNS1_17partition_subalgoE5EiNS0_10empty_typeEbEEZZNS1_14partition_implILS5_5ELb0ES3_mN6thrust23THRUST_200600_302600_NS6detail15normal_iteratorINSA_10device_ptrIiEEEEPS6_NSA_18transform_iteratorINSB_9not_fun_tI7is_trueIiEEENSC_INSD_IbEEEENSA_11use_defaultESO_EENS0_5tupleIJNSA_16discard_iteratorISO_EES6_EEENSQ_IJSG_SG_EEES6_PlJS6_EEE10hipError_tPvRmT3_T4_T5_T6_T7_T9_mT8_P12ihipStream_tbDpT10_ENKUlT_T0_E_clISt17integral_constantIbLb1EES1F_EEDaS1A_S1B_EUlS1A_E_NS1_11comp_targetILNS1_3genE0ELNS1_11target_archE4294967295ELNS1_3gpuE0ELNS1_3repE0EEENS1_30default_config_static_selectorELNS0_4arch9wavefront6targetE0EEEvT1_
		.amdhsa_group_segment_fixed_size 0
		.amdhsa_private_segment_fixed_size 0
		.amdhsa_kernarg_size 144
		.amdhsa_user_sgpr_count 2
		.amdhsa_user_sgpr_dispatch_ptr 0
		.amdhsa_user_sgpr_queue_ptr 0
		.amdhsa_user_sgpr_kernarg_segment_ptr 1
		.amdhsa_user_sgpr_dispatch_id 0
		.amdhsa_user_sgpr_private_segment_size 0
		.amdhsa_wavefront_size32 1
		.amdhsa_uses_dynamic_stack 0
		.amdhsa_enable_private_segment 0
		.amdhsa_system_sgpr_workgroup_id_x 1
		.amdhsa_system_sgpr_workgroup_id_y 0
		.amdhsa_system_sgpr_workgroup_id_z 0
		.amdhsa_system_sgpr_workgroup_info 0
		.amdhsa_system_vgpr_workitem_id 0
		.amdhsa_next_free_vgpr 1
		.amdhsa_next_free_sgpr 1
		.amdhsa_reserve_vcc 0
		.amdhsa_float_round_mode_32 0
		.amdhsa_float_round_mode_16_64 0
		.amdhsa_float_denorm_mode_32 3
		.amdhsa_float_denorm_mode_16_64 3
		.amdhsa_fp16_overflow 0
		.amdhsa_workgroup_processor_mode 1
		.amdhsa_memory_ordered 1
		.amdhsa_forward_progress 1
		.amdhsa_inst_pref_size 0
		.amdhsa_round_robin_scheduling 0
		.amdhsa_exception_fp_ieee_invalid_op 0
		.amdhsa_exception_fp_denorm_src 0
		.amdhsa_exception_fp_ieee_div_zero 0
		.amdhsa_exception_fp_ieee_overflow 0
		.amdhsa_exception_fp_ieee_underflow 0
		.amdhsa_exception_fp_ieee_inexact 0
		.amdhsa_exception_int_div_zero 0
	.end_amdhsa_kernel
	.section	.text._ZN7rocprim17ROCPRIM_400000_NS6detail17trampoline_kernelINS0_14default_configENS1_25partition_config_selectorILNS1_17partition_subalgoE5EiNS0_10empty_typeEbEEZZNS1_14partition_implILS5_5ELb0ES3_mN6thrust23THRUST_200600_302600_NS6detail15normal_iteratorINSA_10device_ptrIiEEEEPS6_NSA_18transform_iteratorINSB_9not_fun_tI7is_trueIiEEENSC_INSD_IbEEEENSA_11use_defaultESO_EENS0_5tupleIJNSA_16discard_iteratorISO_EES6_EEENSQ_IJSG_SG_EEES6_PlJS6_EEE10hipError_tPvRmT3_T4_T5_T6_T7_T9_mT8_P12ihipStream_tbDpT10_ENKUlT_T0_E_clISt17integral_constantIbLb1EES1F_EEDaS1A_S1B_EUlS1A_E_NS1_11comp_targetILNS1_3genE0ELNS1_11target_archE4294967295ELNS1_3gpuE0ELNS1_3repE0EEENS1_30default_config_static_selectorELNS0_4arch9wavefront6targetE0EEEvT1_,"axG",@progbits,_ZN7rocprim17ROCPRIM_400000_NS6detail17trampoline_kernelINS0_14default_configENS1_25partition_config_selectorILNS1_17partition_subalgoE5EiNS0_10empty_typeEbEEZZNS1_14partition_implILS5_5ELb0ES3_mN6thrust23THRUST_200600_302600_NS6detail15normal_iteratorINSA_10device_ptrIiEEEEPS6_NSA_18transform_iteratorINSB_9not_fun_tI7is_trueIiEEENSC_INSD_IbEEEENSA_11use_defaultESO_EENS0_5tupleIJNSA_16discard_iteratorISO_EES6_EEENSQ_IJSG_SG_EEES6_PlJS6_EEE10hipError_tPvRmT3_T4_T5_T6_T7_T9_mT8_P12ihipStream_tbDpT10_ENKUlT_T0_E_clISt17integral_constantIbLb1EES1F_EEDaS1A_S1B_EUlS1A_E_NS1_11comp_targetILNS1_3genE0ELNS1_11target_archE4294967295ELNS1_3gpuE0ELNS1_3repE0EEENS1_30default_config_static_selectorELNS0_4arch9wavefront6targetE0EEEvT1_,comdat
.Lfunc_end2789:
	.size	_ZN7rocprim17ROCPRIM_400000_NS6detail17trampoline_kernelINS0_14default_configENS1_25partition_config_selectorILNS1_17partition_subalgoE5EiNS0_10empty_typeEbEEZZNS1_14partition_implILS5_5ELb0ES3_mN6thrust23THRUST_200600_302600_NS6detail15normal_iteratorINSA_10device_ptrIiEEEEPS6_NSA_18transform_iteratorINSB_9not_fun_tI7is_trueIiEEENSC_INSD_IbEEEENSA_11use_defaultESO_EENS0_5tupleIJNSA_16discard_iteratorISO_EES6_EEENSQ_IJSG_SG_EEES6_PlJS6_EEE10hipError_tPvRmT3_T4_T5_T6_T7_T9_mT8_P12ihipStream_tbDpT10_ENKUlT_T0_E_clISt17integral_constantIbLb1EES1F_EEDaS1A_S1B_EUlS1A_E_NS1_11comp_targetILNS1_3genE0ELNS1_11target_archE4294967295ELNS1_3gpuE0ELNS1_3repE0EEENS1_30default_config_static_selectorELNS0_4arch9wavefront6targetE0EEEvT1_, .Lfunc_end2789-_ZN7rocprim17ROCPRIM_400000_NS6detail17trampoline_kernelINS0_14default_configENS1_25partition_config_selectorILNS1_17partition_subalgoE5EiNS0_10empty_typeEbEEZZNS1_14partition_implILS5_5ELb0ES3_mN6thrust23THRUST_200600_302600_NS6detail15normal_iteratorINSA_10device_ptrIiEEEEPS6_NSA_18transform_iteratorINSB_9not_fun_tI7is_trueIiEEENSC_INSD_IbEEEENSA_11use_defaultESO_EENS0_5tupleIJNSA_16discard_iteratorISO_EES6_EEENSQ_IJSG_SG_EEES6_PlJS6_EEE10hipError_tPvRmT3_T4_T5_T6_T7_T9_mT8_P12ihipStream_tbDpT10_ENKUlT_T0_E_clISt17integral_constantIbLb1EES1F_EEDaS1A_S1B_EUlS1A_E_NS1_11comp_targetILNS1_3genE0ELNS1_11target_archE4294967295ELNS1_3gpuE0ELNS1_3repE0EEENS1_30default_config_static_selectorELNS0_4arch9wavefront6targetE0EEEvT1_
                                        ; -- End function
	.set _ZN7rocprim17ROCPRIM_400000_NS6detail17trampoline_kernelINS0_14default_configENS1_25partition_config_selectorILNS1_17partition_subalgoE5EiNS0_10empty_typeEbEEZZNS1_14partition_implILS5_5ELb0ES3_mN6thrust23THRUST_200600_302600_NS6detail15normal_iteratorINSA_10device_ptrIiEEEEPS6_NSA_18transform_iteratorINSB_9not_fun_tI7is_trueIiEEENSC_INSD_IbEEEENSA_11use_defaultESO_EENS0_5tupleIJNSA_16discard_iteratorISO_EES6_EEENSQ_IJSG_SG_EEES6_PlJS6_EEE10hipError_tPvRmT3_T4_T5_T6_T7_T9_mT8_P12ihipStream_tbDpT10_ENKUlT_T0_E_clISt17integral_constantIbLb1EES1F_EEDaS1A_S1B_EUlS1A_E_NS1_11comp_targetILNS1_3genE0ELNS1_11target_archE4294967295ELNS1_3gpuE0ELNS1_3repE0EEENS1_30default_config_static_selectorELNS0_4arch9wavefront6targetE0EEEvT1_.num_vgpr, 0
	.set _ZN7rocprim17ROCPRIM_400000_NS6detail17trampoline_kernelINS0_14default_configENS1_25partition_config_selectorILNS1_17partition_subalgoE5EiNS0_10empty_typeEbEEZZNS1_14partition_implILS5_5ELb0ES3_mN6thrust23THRUST_200600_302600_NS6detail15normal_iteratorINSA_10device_ptrIiEEEEPS6_NSA_18transform_iteratorINSB_9not_fun_tI7is_trueIiEEENSC_INSD_IbEEEENSA_11use_defaultESO_EENS0_5tupleIJNSA_16discard_iteratorISO_EES6_EEENSQ_IJSG_SG_EEES6_PlJS6_EEE10hipError_tPvRmT3_T4_T5_T6_T7_T9_mT8_P12ihipStream_tbDpT10_ENKUlT_T0_E_clISt17integral_constantIbLb1EES1F_EEDaS1A_S1B_EUlS1A_E_NS1_11comp_targetILNS1_3genE0ELNS1_11target_archE4294967295ELNS1_3gpuE0ELNS1_3repE0EEENS1_30default_config_static_selectorELNS0_4arch9wavefront6targetE0EEEvT1_.num_agpr, 0
	.set _ZN7rocprim17ROCPRIM_400000_NS6detail17trampoline_kernelINS0_14default_configENS1_25partition_config_selectorILNS1_17partition_subalgoE5EiNS0_10empty_typeEbEEZZNS1_14partition_implILS5_5ELb0ES3_mN6thrust23THRUST_200600_302600_NS6detail15normal_iteratorINSA_10device_ptrIiEEEEPS6_NSA_18transform_iteratorINSB_9not_fun_tI7is_trueIiEEENSC_INSD_IbEEEENSA_11use_defaultESO_EENS0_5tupleIJNSA_16discard_iteratorISO_EES6_EEENSQ_IJSG_SG_EEES6_PlJS6_EEE10hipError_tPvRmT3_T4_T5_T6_T7_T9_mT8_P12ihipStream_tbDpT10_ENKUlT_T0_E_clISt17integral_constantIbLb1EES1F_EEDaS1A_S1B_EUlS1A_E_NS1_11comp_targetILNS1_3genE0ELNS1_11target_archE4294967295ELNS1_3gpuE0ELNS1_3repE0EEENS1_30default_config_static_selectorELNS0_4arch9wavefront6targetE0EEEvT1_.numbered_sgpr, 0
	.set _ZN7rocprim17ROCPRIM_400000_NS6detail17trampoline_kernelINS0_14default_configENS1_25partition_config_selectorILNS1_17partition_subalgoE5EiNS0_10empty_typeEbEEZZNS1_14partition_implILS5_5ELb0ES3_mN6thrust23THRUST_200600_302600_NS6detail15normal_iteratorINSA_10device_ptrIiEEEEPS6_NSA_18transform_iteratorINSB_9not_fun_tI7is_trueIiEEENSC_INSD_IbEEEENSA_11use_defaultESO_EENS0_5tupleIJNSA_16discard_iteratorISO_EES6_EEENSQ_IJSG_SG_EEES6_PlJS6_EEE10hipError_tPvRmT3_T4_T5_T6_T7_T9_mT8_P12ihipStream_tbDpT10_ENKUlT_T0_E_clISt17integral_constantIbLb1EES1F_EEDaS1A_S1B_EUlS1A_E_NS1_11comp_targetILNS1_3genE0ELNS1_11target_archE4294967295ELNS1_3gpuE0ELNS1_3repE0EEENS1_30default_config_static_selectorELNS0_4arch9wavefront6targetE0EEEvT1_.num_named_barrier, 0
	.set _ZN7rocprim17ROCPRIM_400000_NS6detail17trampoline_kernelINS0_14default_configENS1_25partition_config_selectorILNS1_17partition_subalgoE5EiNS0_10empty_typeEbEEZZNS1_14partition_implILS5_5ELb0ES3_mN6thrust23THRUST_200600_302600_NS6detail15normal_iteratorINSA_10device_ptrIiEEEEPS6_NSA_18transform_iteratorINSB_9not_fun_tI7is_trueIiEEENSC_INSD_IbEEEENSA_11use_defaultESO_EENS0_5tupleIJNSA_16discard_iteratorISO_EES6_EEENSQ_IJSG_SG_EEES6_PlJS6_EEE10hipError_tPvRmT3_T4_T5_T6_T7_T9_mT8_P12ihipStream_tbDpT10_ENKUlT_T0_E_clISt17integral_constantIbLb1EES1F_EEDaS1A_S1B_EUlS1A_E_NS1_11comp_targetILNS1_3genE0ELNS1_11target_archE4294967295ELNS1_3gpuE0ELNS1_3repE0EEENS1_30default_config_static_selectorELNS0_4arch9wavefront6targetE0EEEvT1_.private_seg_size, 0
	.set _ZN7rocprim17ROCPRIM_400000_NS6detail17trampoline_kernelINS0_14default_configENS1_25partition_config_selectorILNS1_17partition_subalgoE5EiNS0_10empty_typeEbEEZZNS1_14partition_implILS5_5ELb0ES3_mN6thrust23THRUST_200600_302600_NS6detail15normal_iteratorINSA_10device_ptrIiEEEEPS6_NSA_18transform_iteratorINSB_9not_fun_tI7is_trueIiEEENSC_INSD_IbEEEENSA_11use_defaultESO_EENS0_5tupleIJNSA_16discard_iteratorISO_EES6_EEENSQ_IJSG_SG_EEES6_PlJS6_EEE10hipError_tPvRmT3_T4_T5_T6_T7_T9_mT8_P12ihipStream_tbDpT10_ENKUlT_T0_E_clISt17integral_constantIbLb1EES1F_EEDaS1A_S1B_EUlS1A_E_NS1_11comp_targetILNS1_3genE0ELNS1_11target_archE4294967295ELNS1_3gpuE0ELNS1_3repE0EEENS1_30default_config_static_selectorELNS0_4arch9wavefront6targetE0EEEvT1_.uses_vcc, 0
	.set _ZN7rocprim17ROCPRIM_400000_NS6detail17trampoline_kernelINS0_14default_configENS1_25partition_config_selectorILNS1_17partition_subalgoE5EiNS0_10empty_typeEbEEZZNS1_14partition_implILS5_5ELb0ES3_mN6thrust23THRUST_200600_302600_NS6detail15normal_iteratorINSA_10device_ptrIiEEEEPS6_NSA_18transform_iteratorINSB_9not_fun_tI7is_trueIiEEENSC_INSD_IbEEEENSA_11use_defaultESO_EENS0_5tupleIJNSA_16discard_iteratorISO_EES6_EEENSQ_IJSG_SG_EEES6_PlJS6_EEE10hipError_tPvRmT3_T4_T5_T6_T7_T9_mT8_P12ihipStream_tbDpT10_ENKUlT_T0_E_clISt17integral_constantIbLb1EES1F_EEDaS1A_S1B_EUlS1A_E_NS1_11comp_targetILNS1_3genE0ELNS1_11target_archE4294967295ELNS1_3gpuE0ELNS1_3repE0EEENS1_30default_config_static_selectorELNS0_4arch9wavefront6targetE0EEEvT1_.uses_flat_scratch, 0
	.set _ZN7rocprim17ROCPRIM_400000_NS6detail17trampoline_kernelINS0_14default_configENS1_25partition_config_selectorILNS1_17partition_subalgoE5EiNS0_10empty_typeEbEEZZNS1_14partition_implILS5_5ELb0ES3_mN6thrust23THRUST_200600_302600_NS6detail15normal_iteratorINSA_10device_ptrIiEEEEPS6_NSA_18transform_iteratorINSB_9not_fun_tI7is_trueIiEEENSC_INSD_IbEEEENSA_11use_defaultESO_EENS0_5tupleIJNSA_16discard_iteratorISO_EES6_EEENSQ_IJSG_SG_EEES6_PlJS6_EEE10hipError_tPvRmT3_T4_T5_T6_T7_T9_mT8_P12ihipStream_tbDpT10_ENKUlT_T0_E_clISt17integral_constantIbLb1EES1F_EEDaS1A_S1B_EUlS1A_E_NS1_11comp_targetILNS1_3genE0ELNS1_11target_archE4294967295ELNS1_3gpuE0ELNS1_3repE0EEENS1_30default_config_static_selectorELNS0_4arch9wavefront6targetE0EEEvT1_.has_dyn_sized_stack, 0
	.set _ZN7rocprim17ROCPRIM_400000_NS6detail17trampoline_kernelINS0_14default_configENS1_25partition_config_selectorILNS1_17partition_subalgoE5EiNS0_10empty_typeEbEEZZNS1_14partition_implILS5_5ELb0ES3_mN6thrust23THRUST_200600_302600_NS6detail15normal_iteratorINSA_10device_ptrIiEEEEPS6_NSA_18transform_iteratorINSB_9not_fun_tI7is_trueIiEEENSC_INSD_IbEEEENSA_11use_defaultESO_EENS0_5tupleIJNSA_16discard_iteratorISO_EES6_EEENSQ_IJSG_SG_EEES6_PlJS6_EEE10hipError_tPvRmT3_T4_T5_T6_T7_T9_mT8_P12ihipStream_tbDpT10_ENKUlT_T0_E_clISt17integral_constantIbLb1EES1F_EEDaS1A_S1B_EUlS1A_E_NS1_11comp_targetILNS1_3genE0ELNS1_11target_archE4294967295ELNS1_3gpuE0ELNS1_3repE0EEENS1_30default_config_static_selectorELNS0_4arch9wavefront6targetE0EEEvT1_.has_recursion, 0
	.set _ZN7rocprim17ROCPRIM_400000_NS6detail17trampoline_kernelINS0_14default_configENS1_25partition_config_selectorILNS1_17partition_subalgoE5EiNS0_10empty_typeEbEEZZNS1_14partition_implILS5_5ELb0ES3_mN6thrust23THRUST_200600_302600_NS6detail15normal_iteratorINSA_10device_ptrIiEEEEPS6_NSA_18transform_iteratorINSB_9not_fun_tI7is_trueIiEEENSC_INSD_IbEEEENSA_11use_defaultESO_EENS0_5tupleIJNSA_16discard_iteratorISO_EES6_EEENSQ_IJSG_SG_EEES6_PlJS6_EEE10hipError_tPvRmT3_T4_T5_T6_T7_T9_mT8_P12ihipStream_tbDpT10_ENKUlT_T0_E_clISt17integral_constantIbLb1EES1F_EEDaS1A_S1B_EUlS1A_E_NS1_11comp_targetILNS1_3genE0ELNS1_11target_archE4294967295ELNS1_3gpuE0ELNS1_3repE0EEENS1_30default_config_static_selectorELNS0_4arch9wavefront6targetE0EEEvT1_.has_indirect_call, 0
	.section	.AMDGPU.csdata,"",@progbits
; Kernel info:
; codeLenInByte = 0
; TotalNumSgprs: 0
; NumVgprs: 0
; ScratchSize: 0
; MemoryBound: 0
; FloatMode: 240
; IeeeMode: 1
; LDSByteSize: 0 bytes/workgroup (compile time only)
; SGPRBlocks: 0
; VGPRBlocks: 0
; NumSGPRsForWavesPerEU: 1
; NumVGPRsForWavesPerEU: 1
; Occupancy: 16
; WaveLimiterHint : 0
; COMPUTE_PGM_RSRC2:SCRATCH_EN: 0
; COMPUTE_PGM_RSRC2:USER_SGPR: 2
; COMPUTE_PGM_RSRC2:TRAP_HANDLER: 0
; COMPUTE_PGM_RSRC2:TGID_X_EN: 1
; COMPUTE_PGM_RSRC2:TGID_Y_EN: 0
; COMPUTE_PGM_RSRC2:TGID_Z_EN: 0
; COMPUTE_PGM_RSRC2:TIDIG_COMP_CNT: 0
	.section	.text._ZN7rocprim17ROCPRIM_400000_NS6detail17trampoline_kernelINS0_14default_configENS1_25partition_config_selectorILNS1_17partition_subalgoE5EiNS0_10empty_typeEbEEZZNS1_14partition_implILS5_5ELb0ES3_mN6thrust23THRUST_200600_302600_NS6detail15normal_iteratorINSA_10device_ptrIiEEEEPS6_NSA_18transform_iteratorINSB_9not_fun_tI7is_trueIiEEENSC_INSD_IbEEEENSA_11use_defaultESO_EENS0_5tupleIJNSA_16discard_iteratorISO_EES6_EEENSQ_IJSG_SG_EEES6_PlJS6_EEE10hipError_tPvRmT3_T4_T5_T6_T7_T9_mT8_P12ihipStream_tbDpT10_ENKUlT_T0_E_clISt17integral_constantIbLb1EES1F_EEDaS1A_S1B_EUlS1A_E_NS1_11comp_targetILNS1_3genE5ELNS1_11target_archE942ELNS1_3gpuE9ELNS1_3repE0EEENS1_30default_config_static_selectorELNS0_4arch9wavefront6targetE0EEEvT1_,"axG",@progbits,_ZN7rocprim17ROCPRIM_400000_NS6detail17trampoline_kernelINS0_14default_configENS1_25partition_config_selectorILNS1_17partition_subalgoE5EiNS0_10empty_typeEbEEZZNS1_14partition_implILS5_5ELb0ES3_mN6thrust23THRUST_200600_302600_NS6detail15normal_iteratorINSA_10device_ptrIiEEEEPS6_NSA_18transform_iteratorINSB_9not_fun_tI7is_trueIiEEENSC_INSD_IbEEEENSA_11use_defaultESO_EENS0_5tupleIJNSA_16discard_iteratorISO_EES6_EEENSQ_IJSG_SG_EEES6_PlJS6_EEE10hipError_tPvRmT3_T4_T5_T6_T7_T9_mT8_P12ihipStream_tbDpT10_ENKUlT_T0_E_clISt17integral_constantIbLb1EES1F_EEDaS1A_S1B_EUlS1A_E_NS1_11comp_targetILNS1_3genE5ELNS1_11target_archE942ELNS1_3gpuE9ELNS1_3repE0EEENS1_30default_config_static_selectorELNS0_4arch9wavefront6targetE0EEEvT1_,comdat
	.protected	_ZN7rocprim17ROCPRIM_400000_NS6detail17trampoline_kernelINS0_14default_configENS1_25partition_config_selectorILNS1_17partition_subalgoE5EiNS0_10empty_typeEbEEZZNS1_14partition_implILS5_5ELb0ES3_mN6thrust23THRUST_200600_302600_NS6detail15normal_iteratorINSA_10device_ptrIiEEEEPS6_NSA_18transform_iteratorINSB_9not_fun_tI7is_trueIiEEENSC_INSD_IbEEEENSA_11use_defaultESO_EENS0_5tupleIJNSA_16discard_iteratorISO_EES6_EEENSQ_IJSG_SG_EEES6_PlJS6_EEE10hipError_tPvRmT3_T4_T5_T6_T7_T9_mT8_P12ihipStream_tbDpT10_ENKUlT_T0_E_clISt17integral_constantIbLb1EES1F_EEDaS1A_S1B_EUlS1A_E_NS1_11comp_targetILNS1_3genE5ELNS1_11target_archE942ELNS1_3gpuE9ELNS1_3repE0EEENS1_30default_config_static_selectorELNS0_4arch9wavefront6targetE0EEEvT1_ ; -- Begin function _ZN7rocprim17ROCPRIM_400000_NS6detail17trampoline_kernelINS0_14default_configENS1_25partition_config_selectorILNS1_17partition_subalgoE5EiNS0_10empty_typeEbEEZZNS1_14partition_implILS5_5ELb0ES3_mN6thrust23THRUST_200600_302600_NS6detail15normal_iteratorINSA_10device_ptrIiEEEEPS6_NSA_18transform_iteratorINSB_9not_fun_tI7is_trueIiEEENSC_INSD_IbEEEENSA_11use_defaultESO_EENS0_5tupleIJNSA_16discard_iteratorISO_EES6_EEENSQ_IJSG_SG_EEES6_PlJS6_EEE10hipError_tPvRmT3_T4_T5_T6_T7_T9_mT8_P12ihipStream_tbDpT10_ENKUlT_T0_E_clISt17integral_constantIbLb1EES1F_EEDaS1A_S1B_EUlS1A_E_NS1_11comp_targetILNS1_3genE5ELNS1_11target_archE942ELNS1_3gpuE9ELNS1_3repE0EEENS1_30default_config_static_selectorELNS0_4arch9wavefront6targetE0EEEvT1_
	.globl	_ZN7rocprim17ROCPRIM_400000_NS6detail17trampoline_kernelINS0_14default_configENS1_25partition_config_selectorILNS1_17partition_subalgoE5EiNS0_10empty_typeEbEEZZNS1_14partition_implILS5_5ELb0ES3_mN6thrust23THRUST_200600_302600_NS6detail15normal_iteratorINSA_10device_ptrIiEEEEPS6_NSA_18transform_iteratorINSB_9not_fun_tI7is_trueIiEEENSC_INSD_IbEEEENSA_11use_defaultESO_EENS0_5tupleIJNSA_16discard_iteratorISO_EES6_EEENSQ_IJSG_SG_EEES6_PlJS6_EEE10hipError_tPvRmT3_T4_T5_T6_T7_T9_mT8_P12ihipStream_tbDpT10_ENKUlT_T0_E_clISt17integral_constantIbLb1EES1F_EEDaS1A_S1B_EUlS1A_E_NS1_11comp_targetILNS1_3genE5ELNS1_11target_archE942ELNS1_3gpuE9ELNS1_3repE0EEENS1_30default_config_static_selectorELNS0_4arch9wavefront6targetE0EEEvT1_
	.p2align	8
	.type	_ZN7rocprim17ROCPRIM_400000_NS6detail17trampoline_kernelINS0_14default_configENS1_25partition_config_selectorILNS1_17partition_subalgoE5EiNS0_10empty_typeEbEEZZNS1_14partition_implILS5_5ELb0ES3_mN6thrust23THRUST_200600_302600_NS6detail15normal_iteratorINSA_10device_ptrIiEEEEPS6_NSA_18transform_iteratorINSB_9not_fun_tI7is_trueIiEEENSC_INSD_IbEEEENSA_11use_defaultESO_EENS0_5tupleIJNSA_16discard_iteratorISO_EES6_EEENSQ_IJSG_SG_EEES6_PlJS6_EEE10hipError_tPvRmT3_T4_T5_T6_T7_T9_mT8_P12ihipStream_tbDpT10_ENKUlT_T0_E_clISt17integral_constantIbLb1EES1F_EEDaS1A_S1B_EUlS1A_E_NS1_11comp_targetILNS1_3genE5ELNS1_11target_archE942ELNS1_3gpuE9ELNS1_3repE0EEENS1_30default_config_static_selectorELNS0_4arch9wavefront6targetE0EEEvT1_,@function
_ZN7rocprim17ROCPRIM_400000_NS6detail17trampoline_kernelINS0_14default_configENS1_25partition_config_selectorILNS1_17partition_subalgoE5EiNS0_10empty_typeEbEEZZNS1_14partition_implILS5_5ELb0ES3_mN6thrust23THRUST_200600_302600_NS6detail15normal_iteratorINSA_10device_ptrIiEEEEPS6_NSA_18transform_iteratorINSB_9not_fun_tI7is_trueIiEEENSC_INSD_IbEEEENSA_11use_defaultESO_EENS0_5tupleIJNSA_16discard_iteratorISO_EES6_EEENSQ_IJSG_SG_EEES6_PlJS6_EEE10hipError_tPvRmT3_T4_T5_T6_T7_T9_mT8_P12ihipStream_tbDpT10_ENKUlT_T0_E_clISt17integral_constantIbLb1EES1F_EEDaS1A_S1B_EUlS1A_E_NS1_11comp_targetILNS1_3genE5ELNS1_11target_archE942ELNS1_3gpuE9ELNS1_3repE0EEENS1_30default_config_static_selectorELNS0_4arch9wavefront6targetE0EEEvT1_: ; @_ZN7rocprim17ROCPRIM_400000_NS6detail17trampoline_kernelINS0_14default_configENS1_25partition_config_selectorILNS1_17partition_subalgoE5EiNS0_10empty_typeEbEEZZNS1_14partition_implILS5_5ELb0ES3_mN6thrust23THRUST_200600_302600_NS6detail15normal_iteratorINSA_10device_ptrIiEEEEPS6_NSA_18transform_iteratorINSB_9not_fun_tI7is_trueIiEEENSC_INSD_IbEEEENSA_11use_defaultESO_EENS0_5tupleIJNSA_16discard_iteratorISO_EES6_EEENSQ_IJSG_SG_EEES6_PlJS6_EEE10hipError_tPvRmT3_T4_T5_T6_T7_T9_mT8_P12ihipStream_tbDpT10_ENKUlT_T0_E_clISt17integral_constantIbLb1EES1F_EEDaS1A_S1B_EUlS1A_E_NS1_11comp_targetILNS1_3genE5ELNS1_11target_archE942ELNS1_3gpuE9ELNS1_3repE0EEENS1_30default_config_static_selectorELNS0_4arch9wavefront6targetE0EEEvT1_
; %bb.0:
	.section	.rodata,"a",@progbits
	.p2align	6, 0x0
	.amdhsa_kernel _ZN7rocprim17ROCPRIM_400000_NS6detail17trampoline_kernelINS0_14default_configENS1_25partition_config_selectorILNS1_17partition_subalgoE5EiNS0_10empty_typeEbEEZZNS1_14partition_implILS5_5ELb0ES3_mN6thrust23THRUST_200600_302600_NS6detail15normal_iteratorINSA_10device_ptrIiEEEEPS6_NSA_18transform_iteratorINSB_9not_fun_tI7is_trueIiEEENSC_INSD_IbEEEENSA_11use_defaultESO_EENS0_5tupleIJNSA_16discard_iteratorISO_EES6_EEENSQ_IJSG_SG_EEES6_PlJS6_EEE10hipError_tPvRmT3_T4_T5_T6_T7_T9_mT8_P12ihipStream_tbDpT10_ENKUlT_T0_E_clISt17integral_constantIbLb1EES1F_EEDaS1A_S1B_EUlS1A_E_NS1_11comp_targetILNS1_3genE5ELNS1_11target_archE942ELNS1_3gpuE9ELNS1_3repE0EEENS1_30default_config_static_selectorELNS0_4arch9wavefront6targetE0EEEvT1_
		.amdhsa_group_segment_fixed_size 0
		.amdhsa_private_segment_fixed_size 0
		.amdhsa_kernarg_size 144
		.amdhsa_user_sgpr_count 2
		.amdhsa_user_sgpr_dispatch_ptr 0
		.amdhsa_user_sgpr_queue_ptr 0
		.amdhsa_user_sgpr_kernarg_segment_ptr 1
		.amdhsa_user_sgpr_dispatch_id 0
		.amdhsa_user_sgpr_private_segment_size 0
		.amdhsa_wavefront_size32 1
		.amdhsa_uses_dynamic_stack 0
		.amdhsa_enable_private_segment 0
		.amdhsa_system_sgpr_workgroup_id_x 1
		.amdhsa_system_sgpr_workgroup_id_y 0
		.amdhsa_system_sgpr_workgroup_id_z 0
		.amdhsa_system_sgpr_workgroup_info 0
		.amdhsa_system_vgpr_workitem_id 0
		.amdhsa_next_free_vgpr 1
		.amdhsa_next_free_sgpr 1
		.amdhsa_reserve_vcc 0
		.amdhsa_float_round_mode_32 0
		.amdhsa_float_round_mode_16_64 0
		.amdhsa_float_denorm_mode_32 3
		.amdhsa_float_denorm_mode_16_64 3
		.amdhsa_fp16_overflow 0
		.amdhsa_workgroup_processor_mode 1
		.amdhsa_memory_ordered 1
		.amdhsa_forward_progress 1
		.amdhsa_inst_pref_size 0
		.amdhsa_round_robin_scheduling 0
		.amdhsa_exception_fp_ieee_invalid_op 0
		.amdhsa_exception_fp_denorm_src 0
		.amdhsa_exception_fp_ieee_div_zero 0
		.amdhsa_exception_fp_ieee_overflow 0
		.amdhsa_exception_fp_ieee_underflow 0
		.amdhsa_exception_fp_ieee_inexact 0
		.amdhsa_exception_int_div_zero 0
	.end_amdhsa_kernel
	.section	.text._ZN7rocprim17ROCPRIM_400000_NS6detail17trampoline_kernelINS0_14default_configENS1_25partition_config_selectorILNS1_17partition_subalgoE5EiNS0_10empty_typeEbEEZZNS1_14partition_implILS5_5ELb0ES3_mN6thrust23THRUST_200600_302600_NS6detail15normal_iteratorINSA_10device_ptrIiEEEEPS6_NSA_18transform_iteratorINSB_9not_fun_tI7is_trueIiEEENSC_INSD_IbEEEENSA_11use_defaultESO_EENS0_5tupleIJNSA_16discard_iteratorISO_EES6_EEENSQ_IJSG_SG_EEES6_PlJS6_EEE10hipError_tPvRmT3_T4_T5_T6_T7_T9_mT8_P12ihipStream_tbDpT10_ENKUlT_T0_E_clISt17integral_constantIbLb1EES1F_EEDaS1A_S1B_EUlS1A_E_NS1_11comp_targetILNS1_3genE5ELNS1_11target_archE942ELNS1_3gpuE9ELNS1_3repE0EEENS1_30default_config_static_selectorELNS0_4arch9wavefront6targetE0EEEvT1_,"axG",@progbits,_ZN7rocprim17ROCPRIM_400000_NS6detail17trampoline_kernelINS0_14default_configENS1_25partition_config_selectorILNS1_17partition_subalgoE5EiNS0_10empty_typeEbEEZZNS1_14partition_implILS5_5ELb0ES3_mN6thrust23THRUST_200600_302600_NS6detail15normal_iteratorINSA_10device_ptrIiEEEEPS6_NSA_18transform_iteratorINSB_9not_fun_tI7is_trueIiEEENSC_INSD_IbEEEENSA_11use_defaultESO_EENS0_5tupleIJNSA_16discard_iteratorISO_EES6_EEENSQ_IJSG_SG_EEES6_PlJS6_EEE10hipError_tPvRmT3_T4_T5_T6_T7_T9_mT8_P12ihipStream_tbDpT10_ENKUlT_T0_E_clISt17integral_constantIbLb1EES1F_EEDaS1A_S1B_EUlS1A_E_NS1_11comp_targetILNS1_3genE5ELNS1_11target_archE942ELNS1_3gpuE9ELNS1_3repE0EEENS1_30default_config_static_selectorELNS0_4arch9wavefront6targetE0EEEvT1_,comdat
.Lfunc_end2790:
	.size	_ZN7rocprim17ROCPRIM_400000_NS6detail17trampoline_kernelINS0_14default_configENS1_25partition_config_selectorILNS1_17partition_subalgoE5EiNS0_10empty_typeEbEEZZNS1_14partition_implILS5_5ELb0ES3_mN6thrust23THRUST_200600_302600_NS6detail15normal_iteratorINSA_10device_ptrIiEEEEPS6_NSA_18transform_iteratorINSB_9not_fun_tI7is_trueIiEEENSC_INSD_IbEEEENSA_11use_defaultESO_EENS0_5tupleIJNSA_16discard_iteratorISO_EES6_EEENSQ_IJSG_SG_EEES6_PlJS6_EEE10hipError_tPvRmT3_T4_T5_T6_T7_T9_mT8_P12ihipStream_tbDpT10_ENKUlT_T0_E_clISt17integral_constantIbLb1EES1F_EEDaS1A_S1B_EUlS1A_E_NS1_11comp_targetILNS1_3genE5ELNS1_11target_archE942ELNS1_3gpuE9ELNS1_3repE0EEENS1_30default_config_static_selectorELNS0_4arch9wavefront6targetE0EEEvT1_, .Lfunc_end2790-_ZN7rocprim17ROCPRIM_400000_NS6detail17trampoline_kernelINS0_14default_configENS1_25partition_config_selectorILNS1_17partition_subalgoE5EiNS0_10empty_typeEbEEZZNS1_14partition_implILS5_5ELb0ES3_mN6thrust23THRUST_200600_302600_NS6detail15normal_iteratorINSA_10device_ptrIiEEEEPS6_NSA_18transform_iteratorINSB_9not_fun_tI7is_trueIiEEENSC_INSD_IbEEEENSA_11use_defaultESO_EENS0_5tupleIJNSA_16discard_iteratorISO_EES6_EEENSQ_IJSG_SG_EEES6_PlJS6_EEE10hipError_tPvRmT3_T4_T5_T6_T7_T9_mT8_P12ihipStream_tbDpT10_ENKUlT_T0_E_clISt17integral_constantIbLb1EES1F_EEDaS1A_S1B_EUlS1A_E_NS1_11comp_targetILNS1_3genE5ELNS1_11target_archE942ELNS1_3gpuE9ELNS1_3repE0EEENS1_30default_config_static_selectorELNS0_4arch9wavefront6targetE0EEEvT1_
                                        ; -- End function
	.set _ZN7rocprim17ROCPRIM_400000_NS6detail17trampoline_kernelINS0_14default_configENS1_25partition_config_selectorILNS1_17partition_subalgoE5EiNS0_10empty_typeEbEEZZNS1_14partition_implILS5_5ELb0ES3_mN6thrust23THRUST_200600_302600_NS6detail15normal_iteratorINSA_10device_ptrIiEEEEPS6_NSA_18transform_iteratorINSB_9not_fun_tI7is_trueIiEEENSC_INSD_IbEEEENSA_11use_defaultESO_EENS0_5tupleIJNSA_16discard_iteratorISO_EES6_EEENSQ_IJSG_SG_EEES6_PlJS6_EEE10hipError_tPvRmT3_T4_T5_T6_T7_T9_mT8_P12ihipStream_tbDpT10_ENKUlT_T0_E_clISt17integral_constantIbLb1EES1F_EEDaS1A_S1B_EUlS1A_E_NS1_11comp_targetILNS1_3genE5ELNS1_11target_archE942ELNS1_3gpuE9ELNS1_3repE0EEENS1_30default_config_static_selectorELNS0_4arch9wavefront6targetE0EEEvT1_.num_vgpr, 0
	.set _ZN7rocprim17ROCPRIM_400000_NS6detail17trampoline_kernelINS0_14default_configENS1_25partition_config_selectorILNS1_17partition_subalgoE5EiNS0_10empty_typeEbEEZZNS1_14partition_implILS5_5ELb0ES3_mN6thrust23THRUST_200600_302600_NS6detail15normal_iteratorINSA_10device_ptrIiEEEEPS6_NSA_18transform_iteratorINSB_9not_fun_tI7is_trueIiEEENSC_INSD_IbEEEENSA_11use_defaultESO_EENS0_5tupleIJNSA_16discard_iteratorISO_EES6_EEENSQ_IJSG_SG_EEES6_PlJS6_EEE10hipError_tPvRmT3_T4_T5_T6_T7_T9_mT8_P12ihipStream_tbDpT10_ENKUlT_T0_E_clISt17integral_constantIbLb1EES1F_EEDaS1A_S1B_EUlS1A_E_NS1_11comp_targetILNS1_3genE5ELNS1_11target_archE942ELNS1_3gpuE9ELNS1_3repE0EEENS1_30default_config_static_selectorELNS0_4arch9wavefront6targetE0EEEvT1_.num_agpr, 0
	.set _ZN7rocprim17ROCPRIM_400000_NS6detail17trampoline_kernelINS0_14default_configENS1_25partition_config_selectorILNS1_17partition_subalgoE5EiNS0_10empty_typeEbEEZZNS1_14partition_implILS5_5ELb0ES3_mN6thrust23THRUST_200600_302600_NS6detail15normal_iteratorINSA_10device_ptrIiEEEEPS6_NSA_18transform_iteratorINSB_9not_fun_tI7is_trueIiEEENSC_INSD_IbEEEENSA_11use_defaultESO_EENS0_5tupleIJNSA_16discard_iteratorISO_EES6_EEENSQ_IJSG_SG_EEES6_PlJS6_EEE10hipError_tPvRmT3_T4_T5_T6_T7_T9_mT8_P12ihipStream_tbDpT10_ENKUlT_T0_E_clISt17integral_constantIbLb1EES1F_EEDaS1A_S1B_EUlS1A_E_NS1_11comp_targetILNS1_3genE5ELNS1_11target_archE942ELNS1_3gpuE9ELNS1_3repE0EEENS1_30default_config_static_selectorELNS0_4arch9wavefront6targetE0EEEvT1_.numbered_sgpr, 0
	.set _ZN7rocprim17ROCPRIM_400000_NS6detail17trampoline_kernelINS0_14default_configENS1_25partition_config_selectorILNS1_17partition_subalgoE5EiNS0_10empty_typeEbEEZZNS1_14partition_implILS5_5ELb0ES3_mN6thrust23THRUST_200600_302600_NS6detail15normal_iteratorINSA_10device_ptrIiEEEEPS6_NSA_18transform_iteratorINSB_9not_fun_tI7is_trueIiEEENSC_INSD_IbEEEENSA_11use_defaultESO_EENS0_5tupleIJNSA_16discard_iteratorISO_EES6_EEENSQ_IJSG_SG_EEES6_PlJS6_EEE10hipError_tPvRmT3_T4_T5_T6_T7_T9_mT8_P12ihipStream_tbDpT10_ENKUlT_T0_E_clISt17integral_constantIbLb1EES1F_EEDaS1A_S1B_EUlS1A_E_NS1_11comp_targetILNS1_3genE5ELNS1_11target_archE942ELNS1_3gpuE9ELNS1_3repE0EEENS1_30default_config_static_selectorELNS0_4arch9wavefront6targetE0EEEvT1_.num_named_barrier, 0
	.set _ZN7rocprim17ROCPRIM_400000_NS6detail17trampoline_kernelINS0_14default_configENS1_25partition_config_selectorILNS1_17partition_subalgoE5EiNS0_10empty_typeEbEEZZNS1_14partition_implILS5_5ELb0ES3_mN6thrust23THRUST_200600_302600_NS6detail15normal_iteratorINSA_10device_ptrIiEEEEPS6_NSA_18transform_iteratorINSB_9not_fun_tI7is_trueIiEEENSC_INSD_IbEEEENSA_11use_defaultESO_EENS0_5tupleIJNSA_16discard_iteratorISO_EES6_EEENSQ_IJSG_SG_EEES6_PlJS6_EEE10hipError_tPvRmT3_T4_T5_T6_T7_T9_mT8_P12ihipStream_tbDpT10_ENKUlT_T0_E_clISt17integral_constantIbLb1EES1F_EEDaS1A_S1B_EUlS1A_E_NS1_11comp_targetILNS1_3genE5ELNS1_11target_archE942ELNS1_3gpuE9ELNS1_3repE0EEENS1_30default_config_static_selectorELNS0_4arch9wavefront6targetE0EEEvT1_.private_seg_size, 0
	.set _ZN7rocprim17ROCPRIM_400000_NS6detail17trampoline_kernelINS0_14default_configENS1_25partition_config_selectorILNS1_17partition_subalgoE5EiNS0_10empty_typeEbEEZZNS1_14partition_implILS5_5ELb0ES3_mN6thrust23THRUST_200600_302600_NS6detail15normal_iteratorINSA_10device_ptrIiEEEEPS6_NSA_18transform_iteratorINSB_9not_fun_tI7is_trueIiEEENSC_INSD_IbEEEENSA_11use_defaultESO_EENS0_5tupleIJNSA_16discard_iteratorISO_EES6_EEENSQ_IJSG_SG_EEES6_PlJS6_EEE10hipError_tPvRmT3_T4_T5_T6_T7_T9_mT8_P12ihipStream_tbDpT10_ENKUlT_T0_E_clISt17integral_constantIbLb1EES1F_EEDaS1A_S1B_EUlS1A_E_NS1_11comp_targetILNS1_3genE5ELNS1_11target_archE942ELNS1_3gpuE9ELNS1_3repE0EEENS1_30default_config_static_selectorELNS0_4arch9wavefront6targetE0EEEvT1_.uses_vcc, 0
	.set _ZN7rocprim17ROCPRIM_400000_NS6detail17trampoline_kernelINS0_14default_configENS1_25partition_config_selectorILNS1_17partition_subalgoE5EiNS0_10empty_typeEbEEZZNS1_14partition_implILS5_5ELb0ES3_mN6thrust23THRUST_200600_302600_NS6detail15normal_iteratorINSA_10device_ptrIiEEEEPS6_NSA_18transform_iteratorINSB_9not_fun_tI7is_trueIiEEENSC_INSD_IbEEEENSA_11use_defaultESO_EENS0_5tupleIJNSA_16discard_iteratorISO_EES6_EEENSQ_IJSG_SG_EEES6_PlJS6_EEE10hipError_tPvRmT3_T4_T5_T6_T7_T9_mT8_P12ihipStream_tbDpT10_ENKUlT_T0_E_clISt17integral_constantIbLb1EES1F_EEDaS1A_S1B_EUlS1A_E_NS1_11comp_targetILNS1_3genE5ELNS1_11target_archE942ELNS1_3gpuE9ELNS1_3repE0EEENS1_30default_config_static_selectorELNS0_4arch9wavefront6targetE0EEEvT1_.uses_flat_scratch, 0
	.set _ZN7rocprim17ROCPRIM_400000_NS6detail17trampoline_kernelINS0_14default_configENS1_25partition_config_selectorILNS1_17partition_subalgoE5EiNS0_10empty_typeEbEEZZNS1_14partition_implILS5_5ELb0ES3_mN6thrust23THRUST_200600_302600_NS6detail15normal_iteratorINSA_10device_ptrIiEEEEPS6_NSA_18transform_iteratorINSB_9not_fun_tI7is_trueIiEEENSC_INSD_IbEEEENSA_11use_defaultESO_EENS0_5tupleIJNSA_16discard_iteratorISO_EES6_EEENSQ_IJSG_SG_EEES6_PlJS6_EEE10hipError_tPvRmT3_T4_T5_T6_T7_T9_mT8_P12ihipStream_tbDpT10_ENKUlT_T0_E_clISt17integral_constantIbLb1EES1F_EEDaS1A_S1B_EUlS1A_E_NS1_11comp_targetILNS1_3genE5ELNS1_11target_archE942ELNS1_3gpuE9ELNS1_3repE0EEENS1_30default_config_static_selectorELNS0_4arch9wavefront6targetE0EEEvT1_.has_dyn_sized_stack, 0
	.set _ZN7rocprim17ROCPRIM_400000_NS6detail17trampoline_kernelINS0_14default_configENS1_25partition_config_selectorILNS1_17partition_subalgoE5EiNS0_10empty_typeEbEEZZNS1_14partition_implILS5_5ELb0ES3_mN6thrust23THRUST_200600_302600_NS6detail15normal_iteratorINSA_10device_ptrIiEEEEPS6_NSA_18transform_iteratorINSB_9not_fun_tI7is_trueIiEEENSC_INSD_IbEEEENSA_11use_defaultESO_EENS0_5tupleIJNSA_16discard_iteratorISO_EES6_EEENSQ_IJSG_SG_EEES6_PlJS6_EEE10hipError_tPvRmT3_T4_T5_T6_T7_T9_mT8_P12ihipStream_tbDpT10_ENKUlT_T0_E_clISt17integral_constantIbLb1EES1F_EEDaS1A_S1B_EUlS1A_E_NS1_11comp_targetILNS1_3genE5ELNS1_11target_archE942ELNS1_3gpuE9ELNS1_3repE0EEENS1_30default_config_static_selectorELNS0_4arch9wavefront6targetE0EEEvT1_.has_recursion, 0
	.set _ZN7rocprim17ROCPRIM_400000_NS6detail17trampoline_kernelINS0_14default_configENS1_25partition_config_selectorILNS1_17partition_subalgoE5EiNS0_10empty_typeEbEEZZNS1_14partition_implILS5_5ELb0ES3_mN6thrust23THRUST_200600_302600_NS6detail15normal_iteratorINSA_10device_ptrIiEEEEPS6_NSA_18transform_iteratorINSB_9not_fun_tI7is_trueIiEEENSC_INSD_IbEEEENSA_11use_defaultESO_EENS0_5tupleIJNSA_16discard_iteratorISO_EES6_EEENSQ_IJSG_SG_EEES6_PlJS6_EEE10hipError_tPvRmT3_T4_T5_T6_T7_T9_mT8_P12ihipStream_tbDpT10_ENKUlT_T0_E_clISt17integral_constantIbLb1EES1F_EEDaS1A_S1B_EUlS1A_E_NS1_11comp_targetILNS1_3genE5ELNS1_11target_archE942ELNS1_3gpuE9ELNS1_3repE0EEENS1_30default_config_static_selectorELNS0_4arch9wavefront6targetE0EEEvT1_.has_indirect_call, 0
	.section	.AMDGPU.csdata,"",@progbits
; Kernel info:
; codeLenInByte = 0
; TotalNumSgprs: 0
; NumVgprs: 0
; ScratchSize: 0
; MemoryBound: 0
; FloatMode: 240
; IeeeMode: 1
; LDSByteSize: 0 bytes/workgroup (compile time only)
; SGPRBlocks: 0
; VGPRBlocks: 0
; NumSGPRsForWavesPerEU: 1
; NumVGPRsForWavesPerEU: 1
; Occupancy: 16
; WaveLimiterHint : 0
; COMPUTE_PGM_RSRC2:SCRATCH_EN: 0
; COMPUTE_PGM_RSRC2:USER_SGPR: 2
; COMPUTE_PGM_RSRC2:TRAP_HANDLER: 0
; COMPUTE_PGM_RSRC2:TGID_X_EN: 1
; COMPUTE_PGM_RSRC2:TGID_Y_EN: 0
; COMPUTE_PGM_RSRC2:TGID_Z_EN: 0
; COMPUTE_PGM_RSRC2:TIDIG_COMP_CNT: 0
	.section	.text._ZN7rocprim17ROCPRIM_400000_NS6detail17trampoline_kernelINS0_14default_configENS1_25partition_config_selectorILNS1_17partition_subalgoE5EiNS0_10empty_typeEbEEZZNS1_14partition_implILS5_5ELb0ES3_mN6thrust23THRUST_200600_302600_NS6detail15normal_iteratorINSA_10device_ptrIiEEEEPS6_NSA_18transform_iteratorINSB_9not_fun_tI7is_trueIiEEENSC_INSD_IbEEEENSA_11use_defaultESO_EENS0_5tupleIJNSA_16discard_iteratorISO_EES6_EEENSQ_IJSG_SG_EEES6_PlJS6_EEE10hipError_tPvRmT3_T4_T5_T6_T7_T9_mT8_P12ihipStream_tbDpT10_ENKUlT_T0_E_clISt17integral_constantIbLb1EES1F_EEDaS1A_S1B_EUlS1A_E_NS1_11comp_targetILNS1_3genE4ELNS1_11target_archE910ELNS1_3gpuE8ELNS1_3repE0EEENS1_30default_config_static_selectorELNS0_4arch9wavefront6targetE0EEEvT1_,"axG",@progbits,_ZN7rocprim17ROCPRIM_400000_NS6detail17trampoline_kernelINS0_14default_configENS1_25partition_config_selectorILNS1_17partition_subalgoE5EiNS0_10empty_typeEbEEZZNS1_14partition_implILS5_5ELb0ES3_mN6thrust23THRUST_200600_302600_NS6detail15normal_iteratorINSA_10device_ptrIiEEEEPS6_NSA_18transform_iteratorINSB_9not_fun_tI7is_trueIiEEENSC_INSD_IbEEEENSA_11use_defaultESO_EENS0_5tupleIJNSA_16discard_iteratorISO_EES6_EEENSQ_IJSG_SG_EEES6_PlJS6_EEE10hipError_tPvRmT3_T4_T5_T6_T7_T9_mT8_P12ihipStream_tbDpT10_ENKUlT_T0_E_clISt17integral_constantIbLb1EES1F_EEDaS1A_S1B_EUlS1A_E_NS1_11comp_targetILNS1_3genE4ELNS1_11target_archE910ELNS1_3gpuE8ELNS1_3repE0EEENS1_30default_config_static_selectorELNS0_4arch9wavefront6targetE0EEEvT1_,comdat
	.protected	_ZN7rocprim17ROCPRIM_400000_NS6detail17trampoline_kernelINS0_14default_configENS1_25partition_config_selectorILNS1_17partition_subalgoE5EiNS0_10empty_typeEbEEZZNS1_14partition_implILS5_5ELb0ES3_mN6thrust23THRUST_200600_302600_NS6detail15normal_iteratorINSA_10device_ptrIiEEEEPS6_NSA_18transform_iteratorINSB_9not_fun_tI7is_trueIiEEENSC_INSD_IbEEEENSA_11use_defaultESO_EENS0_5tupleIJNSA_16discard_iteratorISO_EES6_EEENSQ_IJSG_SG_EEES6_PlJS6_EEE10hipError_tPvRmT3_T4_T5_T6_T7_T9_mT8_P12ihipStream_tbDpT10_ENKUlT_T0_E_clISt17integral_constantIbLb1EES1F_EEDaS1A_S1B_EUlS1A_E_NS1_11comp_targetILNS1_3genE4ELNS1_11target_archE910ELNS1_3gpuE8ELNS1_3repE0EEENS1_30default_config_static_selectorELNS0_4arch9wavefront6targetE0EEEvT1_ ; -- Begin function _ZN7rocprim17ROCPRIM_400000_NS6detail17trampoline_kernelINS0_14default_configENS1_25partition_config_selectorILNS1_17partition_subalgoE5EiNS0_10empty_typeEbEEZZNS1_14partition_implILS5_5ELb0ES3_mN6thrust23THRUST_200600_302600_NS6detail15normal_iteratorINSA_10device_ptrIiEEEEPS6_NSA_18transform_iteratorINSB_9not_fun_tI7is_trueIiEEENSC_INSD_IbEEEENSA_11use_defaultESO_EENS0_5tupleIJNSA_16discard_iteratorISO_EES6_EEENSQ_IJSG_SG_EEES6_PlJS6_EEE10hipError_tPvRmT3_T4_T5_T6_T7_T9_mT8_P12ihipStream_tbDpT10_ENKUlT_T0_E_clISt17integral_constantIbLb1EES1F_EEDaS1A_S1B_EUlS1A_E_NS1_11comp_targetILNS1_3genE4ELNS1_11target_archE910ELNS1_3gpuE8ELNS1_3repE0EEENS1_30default_config_static_selectorELNS0_4arch9wavefront6targetE0EEEvT1_
	.globl	_ZN7rocprim17ROCPRIM_400000_NS6detail17trampoline_kernelINS0_14default_configENS1_25partition_config_selectorILNS1_17partition_subalgoE5EiNS0_10empty_typeEbEEZZNS1_14partition_implILS5_5ELb0ES3_mN6thrust23THRUST_200600_302600_NS6detail15normal_iteratorINSA_10device_ptrIiEEEEPS6_NSA_18transform_iteratorINSB_9not_fun_tI7is_trueIiEEENSC_INSD_IbEEEENSA_11use_defaultESO_EENS0_5tupleIJNSA_16discard_iteratorISO_EES6_EEENSQ_IJSG_SG_EEES6_PlJS6_EEE10hipError_tPvRmT3_T4_T5_T6_T7_T9_mT8_P12ihipStream_tbDpT10_ENKUlT_T0_E_clISt17integral_constantIbLb1EES1F_EEDaS1A_S1B_EUlS1A_E_NS1_11comp_targetILNS1_3genE4ELNS1_11target_archE910ELNS1_3gpuE8ELNS1_3repE0EEENS1_30default_config_static_selectorELNS0_4arch9wavefront6targetE0EEEvT1_
	.p2align	8
	.type	_ZN7rocprim17ROCPRIM_400000_NS6detail17trampoline_kernelINS0_14default_configENS1_25partition_config_selectorILNS1_17partition_subalgoE5EiNS0_10empty_typeEbEEZZNS1_14partition_implILS5_5ELb0ES3_mN6thrust23THRUST_200600_302600_NS6detail15normal_iteratorINSA_10device_ptrIiEEEEPS6_NSA_18transform_iteratorINSB_9not_fun_tI7is_trueIiEEENSC_INSD_IbEEEENSA_11use_defaultESO_EENS0_5tupleIJNSA_16discard_iteratorISO_EES6_EEENSQ_IJSG_SG_EEES6_PlJS6_EEE10hipError_tPvRmT3_T4_T5_T6_T7_T9_mT8_P12ihipStream_tbDpT10_ENKUlT_T0_E_clISt17integral_constantIbLb1EES1F_EEDaS1A_S1B_EUlS1A_E_NS1_11comp_targetILNS1_3genE4ELNS1_11target_archE910ELNS1_3gpuE8ELNS1_3repE0EEENS1_30default_config_static_selectorELNS0_4arch9wavefront6targetE0EEEvT1_,@function
_ZN7rocprim17ROCPRIM_400000_NS6detail17trampoline_kernelINS0_14default_configENS1_25partition_config_selectorILNS1_17partition_subalgoE5EiNS0_10empty_typeEbEEZZNS1_14partition_implILS5_5ELb0ES3_mN6thrust23THRUST_200600_302600_NS6detail15normal_iteratorINSA_10device_ptrIiEEEEPS6_NSA_18transform_iteratorINSB_9not_fun_tI7is_trueIiEEENSC_INSD_IbEEEENSA_11use_defaultESO_EENS0_5tupleIJNSA_16discard_iteratorISO_EES6_EEENSQ_IJSG_SG_EEES6_PlJS6_EEE10hipError_tPvRmT3_T4_T5_T6_T7_T9_mT8_P12ihipStream_tbDpT10_ENKUlT_T0_E_clISt17integral_constantIbLb1EES1F_EEDaS1A_S1B_EUlS1A_E_NS1_11comp_targetILNS1_3genE4ELNS1_11target_archE910ELNS1_3gpuE8ELNS1_3repE0EEENS1_30default_config_static_selectorELNS0_4arch9wavefront6targetE0EEEvT1_: ; @_ZN7rocprim17ROCPRIM_400000_NS6detail17trampoline_kernelINS0_14default_configENS1_25partition_config_selectorILNS1_17partition_subalgoE5EiNS0_10empty_typeEbEEZZNS1_14partition_implILS5_5ELb0ES3_mN6thrust23THRUST_200600_302600_NS6detail15normal_iteratorINSA_10device_ptrIiEEEEPS6_NSA_18transform_iteratorINSB_9not_fun_tI7is_trueIiEEENSC_INSD_IbEEEENSA_11use_defaultESO_EENS0_5tupleIJNSA_16discard_iteratorISO_EES6_EEENSQ_IJSG_SG_EEES6_PlJS6_EEE10hipError_tPvRmT3_T4_T5_T6_T7_T9_mT8_P12ihipStream_tbDpT10_ENKUlT_T0_E_clISt17integral_constantIbLb1EES1F_EEDaS1A_S1B_EUlS1A_E_NS1_11comp_targetILNS1_3genE4ELNS1_11target_archE910ELNS1_3gpuE8ELNS1_3repE0EEENS1_30default_config_static_selectorELNS0_4arch9wavefront6targetE0EEEvT1_
; %bb.0:
	.section	.rodata,"a",@progbits
	.p2align	6, 0x0
	.amdhsa_kernel _ZN7rocprim17ROCPRIM_400000_NS6detail17trampoline_kernelINS0_14default_configENS1_25partition_config_selectorILNS1_17partition_subalgoE5EiNS0_10empty_typeEbEEZZNS1_14partition_implILS5_5ELb0ES3_mN6thrust23THRUST_200600_302600_NS6detail15normal_iteratorINSA_10device_ptrIiEEEEPS6_NSA_18transform_iteratorINSB_9not_fun_tI7is_trueIiEEENSC_INSD_IbEEEENSA_11use_defaultESO_EENS0_5tupleIJNSA_16discard_iteratorISO_EES6_EEENSQ_IJSG_SG_EEES6_PlJS6_EEE10hipError_tPvRmT3_T4_T5_T6_T7_T9_mT8_P12ihipStream_tbDpT10_ENKUlT_T0_E_clISt17integral_constantIbLb1EES1F_EEDaS1A_S1B_EUlS1A_E_NS1_11comp_targetILNS1_3genE4ELNS1_11target_archE910ELNS1_3gpuE8ELNS1_3repE0EEENS1_30default_config_static_selectorELNS0_4arch9wavefront6targetE0EEEvT1_
		.amdhsa_group_segment_fixed_size 0
		.amdhsa_private_segment_fixed_size 0
		.amdhsa_kernarg_size 144
		.amdhsa_user_sgpr_count 2
		.amdhsa_user_sgpr_dispatch_ptr 0
		.amdhsa_user_sgpr_queue_ptr 0
		.amdhsa_user_sgpr_kernarg_segment_ptr 1
		.amdhsa_user_sgpr_dispatch_id 0
		.amdhsa_user_sgpr_private_segment_size 0
		.amdhsa_wavefront_size32 1
		.amdhsa_uses_dynamic_stack 0
		.amdhsa_enable_private_segment 0
		.amdhsa_system_sgpr_workgroup_id_x 1
		.amdhsa_system_sgpr_workgroup_id_y 0
		.amdhsa_system_sgpr_workgroup_id_z 0
		.amdhsa_system_sgpr_workgroup_info 0
		.amdhsa_system_vgpr_workitem_id 0
		.amdhsa_next_free_vgpr 1
		.amdhsa_next_free_sgpr 1
		.amdhsa_reserve_vcc 0
		.amdhsa_float_round_mode_32 0
		.amdhsa_float_round_mode_16_64 0
		.amdhsa_float_denorm_mode_32 3
		.amdhsa_float_denorm_mode_16_64 3
		.amdhsa_fp16_overflow 0
		.amdhsa_workgroup_processor_mode 1
		.amdhsa_memory_ordered 1
		.amdhsa_forward_progress 1
		.amdhsa_inst_pref_size 0
		.amdhsa_round_robin_scheduling 0
		.amdhsa_exception_fp_ieee_invalid_op 0
		.amdhsa_exception_fp_denorm_src 0
		.amdhsa_exception_fp_ieee_div_zero 0
		.amdhsa_exception_fp_ieee_overflow 0
		.amdhsa_exception_fp_ieee_underflow 0
		.amdhsa_exception_fp_ieee_inexact 0
		.amdhsa_exception_int_div_zero 0
	.end_amdhsa_kernel
	.section	.text._ZN7rocprim17ROCPRIM_400000_NS6detail17trampoline_kernelINS0_14default_configENS1_25partition_config_selectorILNS1_17partition_subalgoE5EiNS0_10empty_typeEbEEZZNS1_14partition_implILS5_5ELb0ES3_mN6thrust23THRUST_200600_302600_NS6detail15normal_iteratorINSA_10device_ptrIiEEEEPS6_NSA_18transform_iteratorINSB_9not_fun_tI7is_trueIiEEENSC_INSD_IbEEEENSA_11use_defaultESO_EENS0_5tupleIJNSA_16discard_iteratorISO_EES6_EEENSQ_IJSG_SG_EEES6_PlJS6_EEE10hipError_tPvRmT3_T4_T5_T6_T7_T9_mT8_P12ihipStream_tbDpT10_ENKUlT_T0_E_clISt17integral_constantIbLb1EES1F_EEDaS1A_S1B_EUlS1A_E_NS1_11comp_targetILNS1_3genE4ELNS1_11target_archE910ELNS1_3gpuE8ELNS1_3repE0EEENS1_30default_config_static_selectorELNS0_4arch9wavefront6targetE0EEEvT1_,"axG",@progbits,_ZN7rocprim17ROCPRIM_400000_NS6detail17trampoline_kernelINS0_14default_configENS1_25partition_config_selectorILNS1_17partition_subalgoE5EiNS0_10empty_typeEbEEZZNS1_14partition_implILS5_5ELb0ES3_mN6thrust23THRUST_200600_302600_NS6detail15normal_iteratorINSA_10device_ptrIiEEEEPS6_NSA_18transform_iteratorINSB_9not_fun_tI7is_trueIiEEENSC_INSD_IbEEEENSA_11use_defaultESO_EENS0_5tupleIJNSA_16discard_iteratorISO_EES6_EEENSQ_IJSG_SG_EEES6_PlJS6_EEE10hipError_tPvRmT3_T4_T5_T6_T7_T9_mT8_P12ihipStream_tbDpT10_ENKUlT_T0_E_clISt17integral_constantIbLb1EES1F_EEDaS1A_S1B_EUlS1A_E_NS1_11comp_targetILNS1_3genE4ELNS1_11target_archE910ELNS1_3gpuE8ELNS1_3repE0EEENS1_30default_config_static_selectorELNS0_4arch9wavefront6targetE0EEEvT1_,comdat
.Lfunc_end2791:
	.size	_ZN7rocprim17ROCPRIM_400000_NS6detail17trampoline_kernelINS0_14default_configENS1_25partition_config_selectorILNS1_17partition_subalgoE5EiNS0_10empty_typeEbEEZZNS1_14partition_implILS5_5ELb0ES3_mN6thrust23THRUST_200600_302600_NS6detail15normal_iteratorINSA_10device_ptrIiEEEEPS6_NSA_18transform_iteratorINSB_9not_fun_tI7is_trueIiEEENSC_INSD_IbEEEENSA_11use_defaultESO_EENS0_5tupleIJNSA_16discard_iteratorISO_EES6_EEENSQ_IJSG_SG_EEES6_PlJS6_EEE10hipError_tPvRmT3_T4_T5_T6_T7_T9_mT8_P12ihipStream_tbDpT10_ENKUlT_T0_E_clISt17integral_constantIbLb1EES1F_EEDaS1A_S1B_EUlS1A_E_NS1_11comp_targetILNS1_3genE4ELNS1_11target_archE910ELNS1_3gpuE8ELNS1_3repE0EEENS1_30default_config_static_selectorELNS0_4arch9wavefront6targetE0EEEvT1_, .Lfunc_end2791-_ZN7rocprim17ROCPRIM_400000_NS6detail17trampoline_kernelINS0_14default_configENS1_25partition_config_selectorILNS1_17partition_subalgoE5EiNS0_10empty_typeEbEEZZNS1_14partition_implILS5_5ELb0ES3_mN6thrust23THRUST_200600_302600_NS6detail15normal_iteratorINSA_10device_ptrIiEEEEPS6_NSA_18transform_iteratorINSB_9not_fun_tI7is_trueIiEEENSC_INSD_IbEEEENSA_11use_defaultESO_EENS0_5tupleIJNSA_16discard_iteratorISO_EES6_EEENSQ_IJSG_SG_EEES6_PlJS6_EEE10hipError_tPvRmT3_T4_T5_T6_T7_T9_mT8_P12ihipStream_tbDpT10_ENKUlT_T0_E_clISt17integral_constantIbLb1EES1F_EEDaS1A_S1B_EUlS1A_E_NS1_11comp_targetILNS1_3genE4ELNS1_11target_archE910ELNS1_3gpuE8ELNS1_3repE0EEENS1_30default_config_static_selectorELNS0_4arch9wavefront6targetE0EEEvT1_
                                        ; -- End function
	.set _ZN7rocprim17ROCPRIM_400000_NS6detail17trampoline_kernelINS0_14default_configENS1_25partition_config_selectorILNS1_17partition_subalgoE5EiNS0_10empty_typeEbEEZZNS1_14partition_implILS5_5ELb0ES3_mN6thrust23THRUST_200600_302600_NS6detail15normal_iteratorINSA_10device_ptrIiEEEEPS6_NSA_18transform_iteratorINSB_9not_fun_tI7is_trueIiEEENSC_INSD_IbEEEENSA_11use_defaultESO_EENS0_5tupleIJNSA_16discard_iteratorISO_EES6_EEENSQ_IJSG_SG_EEES6_PlJS6_EEE10hipError_tPvRmT3_T4_T5_T6_T7_T9_mT8_P12ihipStream_tbDpT10_ENKUlT_T0_E_clISt17integral_constantIbLb1EES1F_EEDaS1A_S1B_EUlS1A_E_NS1_11comp_targetILNS1_3genE4ELNS1_11target_archE910ELNS1_3gpuE8ELNS1_3repE0EEENS1_30default_config_static_selectorELNS0_4arch9wavefront6targetE0EEEvT1_.num_vgpr, 0
	.set _ZN7rocprim17ROCPRIM_400000_NS6detail17trampoline_kernelINS0_14default_configENS1_25partition_config_selectorILNS1_17partition_subalgoE5EiNS0_10empty_typeEbEEZZNS1_14partition_implILS5_5ELb0ES3_mN6thrust23THRUST_200600_302600_NS6detail15normal_iteratorINSA_10device_ptrIiEEEEPS6_NSA_18transform_iteratorINSB_9not_fun_tI7is_trueIiEEENSC_INSD_IbEEEENSA_11use_defaultESO_EENS0_5tupleIJNSA_16discard_iteratorISO_EES6_EEENSQ_IJSG_SG_EEES6_PlJS6_EEE10hipError_tPvRmT3_T4_T5_T6_T7_T9_mT8_P12ihipStream_tbDpT10_ENKUlT_T0_E_clISt17integral_constantIbLb1EES1F_EEDaS1A_S1B_EUlS1A_E_NS1_11comp_targetILNS1_3genE4ELNS1_11target_archE910ELNS1_3gpuE8ELNS1_3repE0EEENS1_30default_config_static_selectorELNS0_4arch9wavefront6targetE0EEEvT1_.num_agpr, 0
	.set _ZN7rocprim17ROCPRIM_400000_NS6detail17trampoline_kernelINS0_14default_configENS1_25partition_config_selectorILNS1_17partition_subalgoE5EiNS0_10empty_typeEbEEZZNS1_14partition_implILS5_5ELb0ES3_mN6thrust23THRUST_200600_302600_NS6detail15normal_iteratorINSA_10device_ptrIiEEEEPS6_NSA_18transform_iteratorINSB_9not_fun_tI7is_trueIiEEENSC_INSD_IbEEEENSA_11use_defaultESO_EENS0_5tupleIJNSA_16discard_iteratorISO_EES6_EEENSQ_IJSG_SG_EEES6_PlJS6_EEE10hipError_tPvRmT3_T4_T5_T6_T7_T9_mT8_P12ihipStream_tbDpT10_ENKUlT_T0_E_clISt17integral_constantIbLb1EES1F_EEDaS1A_S1B_EUlS1A_E_NS1_11comp_targetILNS1_3genE4ELNS1_11target_archE910ELNS1_3gpuE8ELNS1_3repE0EEENS1_30default_config_static_selectorELNS0_4arch9wavefront6targetE0EEEvT1_.numbered_sgpr, 0
	.set _ZN7rocprim17ROCPRIM_400000_NS6detail17trampoline_kernelINS0_14default_configENS1_25partition_config_selectorILNS1_17partition_subalgoE5EiNS0_10empty_typeEbEEZZNS1_14partition_implILS5_5ELb0ES3_mN6thrust23THRUST_200600_302600_NS6detail15normal_iteratorINSA_10device_ptrIiEEEEPS6_NSA_18transform_iteratorINSB_9not_fun_tI7is_trueIiEEENSC_INSD_IbEEEENSA_11use_defaultESO_EENS0_5tupleIJNSA_16discard_iteratorISO_EES6_EEENSQ_IJSG_SG_EEES6_PlJS6_EEE10hipError_tPvRmT3_T4_T5_T6_T7_T9_mT8_P12ihipStream_tbDpT10_ENKUlT_T0_E_clISt17integral_constantIbLb1EES1F_EEDaS1A_S1B_EUlS1A_E_NS1_11comp_targetILNS1_3genE4ELNS1_11target_archE910ELNS1_3gpuE8ELNS1_3repE0EEENS1_30default_config_static_selectorELNS0_4arch9wavefront6targetE0EEEvT1_.num_named_barrier, 0
	.set _ZN7rocprim17ROCPRIM_400000_NS6detail17trampoline_kernelINS0_14default_configENS1_25partition_config_selectorILNS1_17partition_subalgoE5EiNS0_10empty_typeEbEEZZNS1_14partition_implILS5_5ELb0ES3_mN6thrust23THRUST_200600_302600_NS6detail15normal_iteratorINSA_10device_ptrIiEEEEPS6_NSA_18transform_iteratorINSB_9not_fun_tI7is_trueIiEEENSC_INSD_IbEEEENSA_11use_defaultESO_EENS0_5tupleIJNSA_16discard_iteratorISO_EES6_EEENSQ_IJSG_SG_EEES6_PlJS6_EEE10hipError_tPvRmT3_T4_T5_T6_T7_T9_mT8_P12ihipStream_tbDpT10_ENKUlT_T0_E_clISt17integral_constantIbLb1EES1F_EEDaS1A_S1B_EUlS1A_E_NS1_11comp_targetILNS1_3genE4ELNS1_11target_archE910ELNS1_3gpuE8ELNS1_3repE0EEENS1_30default_config_static_selectorELNS0_4arch9wavefront6targetE0EEEvT1_.private_seg_size, 0
	.set _ZN7rocprim17ROCPRIM_400000_NS6detail17trampoline_kernelINS0_14default_configENS1_25partition_config_selectorILNS1_17partition_subalgoE5EiNS0_10empty_typeEbEEZZNS1_14partition_implILS5_5ELb0ES3_mN6thrust23THRUST_200600_302600_NS6detail15normal_iteratorINSA_10device_ptrIiEEEEPS6_NSA_18transform_iteratorINSB_9not_fun_tI7is_trueIiEEENSC_INSD_IbEEEENSA_11use_defaultESO_EENS0_5tupleIJNSA_16discard_iteratorISO_EES6_EEENSQ_IJSG_SG_EEES6_PlJS6_EEE10hipError_tPvRmT3_T4_T5_T6_T7_T9_mT8_P12ihipStream_tbDpT10_ENKUlT_T0_E_clISt17integral_constantIbLb1EES1F_EEDaS1A_S1B_EUlS1A_E_NS1_11comp_targetILNS1_3genE4ELNS1_11target_archE910ELNS1_3gpuE8ELNS1_3repE0EEENS1_30default_config_static_selectorELNS0_4arch9wavefront6targetE0EEEvT1_.uses_vcc, 0
	.set _ZN7rocprim17ROCPRIM_400000_NS6detail17trampoline_kernelINS0_14default_configENS1_25partition_config_selectorILNS1_17partition_subalgoE5EiNS0_10empty_typeEbEEZZNS1_14partition_implILS5_5ELb0ES3_mN6thrust23THRUST_200600_302600_NS6detail15normal_iteratorINSA_10device_ptrIiEEEEPS6_NSA_18transform_iteratorINSB_9not_fun_tI7is_trueIiEEENSC_INSD_IbEEEENSA_11use_defaultESO_EENS0_5tupleIJNSA_16discard_iteratorISO_EES6_EEENSQ_IJSG_SG_EEES6_PlJS6_EEE10hipError_tPvRmT3_T4_T5_T6_T7_T9_mT8_P12ihipStream_tbDpT10_ENKUlT_T0_E_clISt17integral_constantIbLb1EES1F_EEDaS1A_S1B_EUlS1A_E_NS1_11comp_targetILNS1_3genE4ELNS1_11target_archE910ELNS1_3gpuE8ELNS1_3repE0EEENS1_30default_config_static_selectorELNS0_4arch9wavefront6targetE0EEEvT1_.uses_flat_scratch, 0
	.set _ZN7rocprim17ROCPRIM_400000_NS6detail17trampoline_kernelINS0_14default_configENS1_25partition_config_selectorILNS1_17partition_subalgoE5EiNS0_10empty_typeEbEEZZNS1_14partition_implILS5_5ELb0ES3_mN6thrust23THRUST_200600_302600_NS6detail15normal_iteratorINSA_10device_ptrIiEEEEPS6_NSA_18transform_iteratorINSB_9not_fun_tI7is_trueIiEEENSC_INSD_IbEEEENSA_11use_defaultESO_EENS0_5tupleIJNSA_16discard_iteratorISO_EES6_EEENSQ_IJSG_SG_EEES6_PlJS6_EEE10hipError_tPvRmT3_T4_T5_T6_T7_T9_mT8_P12ihipStream_tbDpT10_ENKUlT_T0_E_clISt17integral_constantIbLb1EES1F_EEDaS1A_S1B_EUlS1A_E_NS1_11comp_targetILNS1_3genE4ELNS1_11target_archE910ELNS1_3gpuE8ELNS1_3repE0EEENS1_30default_config_static_selectorELNS0_4arch9wavefront6targetE0EEEvT1_.has_dyn_sized_stack, 0
	.set _ZN7rocprim17ROCPRIM_400000_NS6detail17trampoline_kernelINS0_14default_configENS1_25partition_config_selectorILNS1_17partition_subalgoE5EiNS0_10empty_typeEbEEZZNS1_14partition_implILS5_5ELb0ES3_mN6thrust23THRUST_200600_302600_NS6detail15normal_iteratorINSA_10device_ptrIiEEEEPS6_NSA_18transform_iteratorINSB_9not_fun_tI7is_trueIiEEENSC_INSD_IbEEEENSA_11use_defaultESO_EENS0_5tupleIJNSA_16discard_iteratorISO_EES6_EEENSQ_IJSG_SG_EEES6_PlJS6_EEE10hipError_tPvRmT3_T4_T5_T6_T7_T9_mT8_P12ihipStream_tbDpT10_ENKUlT_T0_E_clISt17integral_constantIbLb1EES1F_EEDaS1A_S1B_EUlS1A_E_NS1_11comp_targetILNS1_3genE4ELNS1_11target_archE910ELNS1_3gpuE8ELNS1_3repE0EEENS1_30default_config_static_selectorELNS0_4arch9wavefront6targetE0EEEvT1_.has_recursion, 0
	.set _ZN7rocprim17ROCPRIM_400000_NS6detail17trampoline_kernelINS0_14default_configENS1_25partition_config_selectorILNS1_17partition_subalgoE5EiNS0_10empty_typeEbEEZZNS1_14partition_implILS5_5ELb0ES3_mN6thrust23THRUST_200600_302600_NS6detail15normal_iteratorINSA_10device_ptrIiEEEEPS6_NSA_18transform_iteratorINSB_9not_fun_tI7is_trueIiEEENSC_INSD_IbEEEENSA_11use_defaultESO_EENS0_5tupleIJNSA_16discard_iteratorISO_EES6_EEENSQ_IJSG_SG_EEES6_PlJS6_EEE10hipError_tPvRmT3_T4_T5_T6_T7_T9_mT8_P12ihipStream_tbDpT10_ENKUlT_T0_E_clISt17integral_constantIbLb1EES1F_EEDaS1A_S1B_EUlS1A_E_NS1_11comp_targetILNS1_3genE4ELNS1_11target_archE910ELNS1_3gpuE8ELNS1_3repE0EEENS1_30default_config_static_selectorELNS0_4arch9wavefront6targetE0EEEvT1_.has_indirect_call, 0
	.section	.AMDGPU.csdata,"",@progbits
; Kernel info:
; codeLenInByte = 0
; TotalNumSgprs: 0
; NumVgprs: 0
; ScratchSize: 0
; MemoryBound: 0
; FloatMode: 240
; IeeeMode: 1
; LDSByteSize: 0 bytes/workgroup (compile time only)
; SGPRBlocks: 0
; VGPRBlocks: 0
; NumSGPRsForWavesPerEU: 1
; NumVGPRsForWavesPerEU: 1
; Occupancy: 16
; WaveLimiterHint : 0
; COMPUTE_PGM_RSRC2:SCRATCH_EN: 0
; COMPUTE_PGM_RSRC2:USER_SGPR: 2
; COMPUTE_PGM_RSRC2:TRAP_HANDLER: 0
; COMPUTE_PGM_RSRC2:TGID_X_EN: 1
; COMPUTE_PGM_RSRC2:TGID_Y_EN: 0
; COMPUTE_PGM_RSRC2:TGID_Z_EN: 0
; COMPUTE_PGM_RSRC2:TIDIG_COMP_CNT: 0
	.section	.text._ZN7rocprim17ROCPRIM_400000_NS6detail17trampoline_kernelINS0_14default_configENS1_25partition_config_selectorILNS1_17partition_subalgoE5EiNS0_10empty_typeEbEEZZNS1_14partition_implILS5_5ELb0ES3_mN6thrust23THRUST_200600_302600_NS6detail15normal_iteratorINSA_10device_ptrIiEEEEPS6_NSA_18transform_iteratorINSB_9not_fun_tI7is_trueIiEEENSC_INSD_IbEEEENSA_11use_defaultESO_EENS0_5tupleIJNSA_16discard_iteratorISO_EES6_EEENSQ_IJSG_SG_EEES6_PlJS6_EEE10hipError_tPvRmT3_T4_T5_T6_T7_T9_mT8_P12ihipStream_tbDpT10_ENKUlT_T0_E_clISt17integral_constantIbLb1EES1F_EEDaS1A_S1B_EUlS1A_E_NS1_11comp_targetILNS1_3genE3ELNS1_11target_archE908ELNS1_3gpuE7ELNS1_3repE0EEENS1_30default_config_static_selectorELNS0_4arch9wavefront6targetE0EEEvT1_,"axG",@progbits,_ZN7rocprim17ROCPRIM_400000_NS6detail17trampoline_kernelINS0_14default_configENS1_25partition_config_selectorILNS1_17partition_subalgoE5EiNS0_10empty_typeEbEEZZNS1_14partition_implILS5_5ELb0ES3_mN6thrust23THRUST_200600_302600_NS6detail15normal_iteratorINSA_10device_ptrIiEEEEPS6_NSA_18transform_iteratorINSB_9not_fun_tI7is_trueIiEEENSC_INSD_IbEEEENSA_11use_defaultESO_EENS0_5tupleIJNSA_16discard_iteratorISO_EES6_EEENSQ_IJSG_SG_EEES6_PlJS6_EEE10hipError_tPvRmT3_T4_T5_T6_T7_T9_mT8_P12ihipStream_tbDpT10_ENKUlT_T0_E_clISt17integral_constantIbLb1EES1F_EEDaS1A_S1B_EUlS1A_E_NS1_11comp_targetILNS1_3genE3ELNS1_11target_archE908ELNS1_3gpuE7ELNS1_3repE0EEENS1_30default_config_static_selectorELNS0_4arch9wavefront6targetE0EEEvT1_,comdat
	.protected	_ZN7rocprim17ROCPRIM_400000_NS6detail17trampoline_kernelINS0_14default_configENS1_25partition_config_selectorILNS1_17partition_subalgoE5EiNS0_10empty_typeEbEEZZNS1_14partition_implILS5_5ELb0ES3_mN6thrust23THRUST_200600_302600_NS6detail15normal_iteratorINSA_10device_ptrIiEEEEPS6_NSA_18transform_iteratorINSB_9not_fun_tI7is_trueIiEEENSC_INSD_IbEEEENSA_11use_defaultESO_EENS0_5tupleIJNSA_16discard_iteratorISO_EES6_EEENSQ_IJSG_SG_EEES6_PlJS6_EEE10hipError_tPvRmT3_T4_T5_T6_T7_T9_mT8_P12ihipStream_tbDpT10_ENKUlT_T0_E_clISt17integral_constantIbLb1EES1F_EEDaS1A_S1B_EUlS1A_E_NS1_11comp_targetILNS1_3genE3ELNS1_11target_archE908ELNS1_3gpuE7ELNS1_3repE0EEENS1_30default_config_static_selectorELNS0_4arch9wavefront6targetE0EEEvT1_ ; -- Begin function _ZN7rocprim17ROCPRIM_400000_NS6detail17trampoline_kernelINS0_14default_configENS1_25partition_config_selectorILNS1_17partition_subalgoE5EiNS0_10empty_typeEbEEZZNS1_14partition_implILS5_5ELb0ES3_mN6thrust23THRUST_200600_302600_NS6detail15normal_iteratorINSA_10device_ptrIiEEEEPS6_NSA_18transform_iteratorINSB_9not_fun_tI7is_trueIiEEENSC_INSD_IbEEEENSA_11use_defaultESO_EENS0_5tupleIJNSA_16discard_iteratorISO_EES6_EEENSQ_IJSG_SG_EEES6_PlJS6_EEE10hipError_tPvRmT3_T4_T5_T6_T7_T9_mT8_P12ihipStream_tbDpT10_ENKUlT_T0_E_clISt17integral_constantIbLb1EES1F_EEDaS1A_S1B_EUlS1A_E_NS1_11comp_targetILNS1_3genE3ELNS1_11target_archE908ELNS1_3gpuE7ELNS1_3repE0EEENS1_30default_config_static_selectorELNS0_4arch9wavefront6targetE0EEEvT1_
	.globl	_ZN7rocprim17ROCPRIM_400000_NS6detail17trampoline_kernelINS0_14default_configENS1_25partition_config_selectorILNS1_17partition_subalgoE5EiNS0_10empty_typeEbEEZZNS1_14partition_implILS5_5ELb0ES3_mN6thrust23THRUST_200600_302600_NS6detail15normal_iteratorINSA_10device_ptrIiEEEEPS6_NSA_18transform_iteratorINSB_9not_fun_tI7is_trueIiEEENSC_INSD_IbEEEENSA_11use_defaultESO_EENS0_5tupleIJNSA_16discard_iteratorISO_EES6_EEENSQ_IJSG_SG_EEES6_PlJS6_EEE10hipError_tPvRmT3_T4_T5_T6_T7_T9_mT8_P12ihipStream_tbDpT10_ENKUlT_T0_E_clISt17integral_constantIbLb1EES1F_EEDaS1A_S1B_EUlS1A_E_NS1_11comp_targetILNS1_3genE3ELNS1_11target_archE908ELNS1_3gpuE7ELNS1_3repE0EEENS1_30default_config_static_selectorELNS0_4arch9wavefront6targetE0EEEvT1_
	.p2align	8
	.type	_ZN7rocprim17ROCPRIM_400000_NS6detail17trampoline_kernelINS0_14default_configENS1_25partition_config_selectorILNS1_17partition_subalgoE5EiNS0_10empty_typeEbEEZZNS1_14partition_implILS5_5ELb0ES3_mN6thrust23THRUST_200600_302600_NS6detail15normal_iteratorINSA_10device_ptrIiEEEEPS6_NSA_18transform_iteratorINSB_9not_fun_tI7is_trueIiEEENSC_INSD_IbEEEENSA_11use_defaultESO_EENS0_5tupleIJNSA_16discard_iteratorISO_EES6_EEENSQ_IJSG_SG_EEES6_PlJS6_EEE10hipError_tPvRmT3_T4_T5_T6_T7_T9_mT8_P12ihipStream_tbDpT10_ENKUlT_T0_E_clISt17integral_constantIbLb1EES1F_EEDaS1A_S1B_EUlS1A_E_NS1_11comp_targetILNS1_3genE3ELNS1_11target_archE908ELNS1_3gpuE7ELNS1_3repE0EEENS1_30default_config_static_selectorELNS0_4arch9wavefront6targetE0EEEvT1_,@function
_ZN7rocprim17ROCPRIM_400000_NS6detail17trampoline_kernelINS0_14default_configENS1_25partition_config_selectorILNS1_17partition_subalgoE5EiNS0_10empty_typeEbEEZZNS1_14partition_implILS5_5ELb0ES3_mN6thrust23THRUST_200600_302600_NS6detail15normal_iteratorINSA_10device_ptrIiEEEEPS6_NSA_18transform_iteratorINSB_9not_fun_tI7is_trueIiEEENSC_INSD_IbEEEENSA_11use_defaultESO_EENS0_5tupleIJNSA_16discard_iteratorISO_EES6_EEENSQ_IJSG_SG_EEES6_PlJS6_EEE10hipError_tPvRmT3_T4_T5_T6_T7_T9_mT8_P12ihipStream_tbDpT10_ENKUlT_T0_E_clISt17integral_constantIbLb1EES1F_EEDaS1A_S1B_EUlS1A_E_NS1_11comp_targetILNS1_3genE3ELNS1_11target_archE908ELNS1_3gpuE7ELNS1_3repE0EEENS1_30default_config_static_selectorELNS0_4arch9wavefront6targetE0EEEvT1_: ; @_ZN7rocprim17ROCPRIM_400000_NS6detail17trampoline_kernelINS0_14default_configENS1_25partition_config_selectorILNS1_17partition_subalgoE5EiNS0_10empty_typeEbEEZZNS1_14partition_implILS5_5ELb0ES3_mN6thrust23THRUST_200600_302600_NS6detail15normal_iteratorINSA_10device_ptrIiEEEEPS6_NSA_18transform_iteratorINSB_9not_fun_tI7is_trueIiEEENSC_INSD_IbEEEENSA_11use_defaultESO_EENS0_5tupleIJNSA_16discard_iteratorISO_EES6_EEENSQ_IJSG_SG_EEES6_PlJS6_EEE10hipError_tPvRmT3_T4_T5_T6_T7_T9_mT8_P12ihipStream_tbDpT10_ENKUlT_T0_E_clISt17integral_constantIbLb1EES1F_EEDaS1A_S1B_EUlS1A_E_NS1_11comp_targetILNS1_3genE3ELNS1_11target_archE908ELNS1_3gpuE7ELNS1_3repE0EEENS1_30default_config_static_selectorELNS0_4arch9wavefront6targetE0EEEvT1_
; %bb.0:
	.section	.rodata,"a",@progbits
	.p2align	6, 0x0
	.amdhsa_kernel _ZN7rocprim17ROCPRIM_400000_NS6detail17trampoline_kernelINS0_14default_configENS1_25partition_config_selectorILNS1_17partition_subalgoE5EiNS0_10empty_typeEbEEZZNS1_14partition_implILS5_5ELb0ES3_mN6thrust23THRUST_200600_302600_NS6detail15normal_iteratorINSA_10device_ptrIiEEEEPS6_NSA_18transform_iteratorINSB_9not_fun_tI7is_trueIiEEENSC_INSD_IbEEEENSA_11use_defaultESO_EENS0_5tupleIJNSA_16discard_iteratorISO_EES6_EEENSQ_IJSG_SG_EEES6_PlJS6_EEE10hipError_tPvRmT3_T4_T5_T6_T7_T9_mT8_P12ihipStream_tbDpT10_ENKUlT_T0_E_clISt17integral_constantIbLb1EES1F_EEDaS1A_S1B_EUlS1A_E_NS1_11comp_targetILNS1_3genE3ELNS1_11target_archE908ELNS1_3gpuE7ELNS1_3repE0EEENS1_30default_config_static_selectorELNS0_4arch9wavefront6targetE0EEEvT1_
		.amdhsa_group_segment_fixed_size 0
		.amdhsa_private_segment_fixed_size 0
		.amdhsa_kernarg_size 144
		.amdhsa_user_sgpr_count 2
		.amdhsa_user_sgpr_dispatch_ptr 0
		.amdhsa_user_sgpr_queue_ptr 0
		.amdhsa_user_sgpr_kernarg_segment_ptr 1
		.amdhsa_user_sgpr_dispatch_id 0
		.amdhsa_user_sgpr_private_segment_size 0
		.amdhsa_wavefront_size32 1
		.amdhsa_uses_dynamic_stack 0
		.amdhsa_enable_private_segment 0
		.amdhsa_system_sgpr_workgroup_id_x 1
		.amdhsa_system_sgpr_workgroup_id_y 0
		.amdhsa_system_sgpr_workgroup_id_z 0
		.amdhsa_system_sgpr_workgroup_info 0
		.amdhsa_system_vgpr_workitem_id 0
		.amdhsa_next_free_vgpr 1
		.amdhsa_next_free_sgpr 1
		.amdhsa_reserve_vcc 0
		.amdhsa_float_round_mode_32 0
		.amdhsa_float_round_mode_16_64 0
		.amdhsa_float_denorm_mode_32 3
		.amdhsa_float_denorm_mode_16_64 3
		.amdhsa_fp16_overflow 0
		.amdhsa_workgroup_processor_mode 1
		.amdhsa_memory_ordered 1
		.amdhsa_forward_progress 1
		.amdhsa_inst_pref_size 0
		.amdhsa_round_robin_scheduling 0
		.amdhsa_exception_fp_ieee_invalid_op 0
		.amdhsa_exception_fp_denorm_src 0
		.amdhsa_exception_fp_ieee_div_zero 0
		.amdhsa_exception_fp_ieee_overflow 0
		.amdhsa_exception_fp_ieee_underflow 0
		.amdhsa_exception_fp_ieee_inexact 0
		.amdhsa_exception_int_div_zero 0
	.end_amdhsa_kernel
	.section	.text._ZN7rocprim17ROCPRIM_400000_NS6detail17trampoline_kernelINS0_14default_configENS1_25partition_config_selectorILNS1_17partition_subalgoE5EiNS0_10empty_typeEbEEZZNS1_14partition_implILS5_5ELb0ES3_mN6thrust23THRUST_200600_302600_NS6detail15normal_iteratorINSA_10device_ptrIiEEEEPS6_NSA_18transform_iteratorINSB_9not_fun_tI7is_trueIiEEENSC_INSD_IbEEEENSA_11use_defaultESO_EENS0_5tupleIJNSA_16discard_iteratorISO_EES6_EEENSQ_IJSG_SG_EEES6_PlJS6_EEE10hipError_tPvRmT3_T4_T5_T6_T7_T9_mT8_P12ihipStream_tbDpT10_ENKUlT_T0_E_clISt17integral_constantIbLb1EES1F_EEDaS1A_S1B_EUlS1A_E_NS1_11comp_targetILNS1_3genE3ELNS1_11target_archE908ELNS1_3gpuE7ELNS1_3repE0EEENS1_30default_config_static_selectorELNS0_4arch9wavefront6targetE0EEEvT1_,"axG",@progbits,_ZN7rocprim17ROCPRIM_400000_NS6detail17trampoline_kernelINS0_14default_configENS1_25partition_config_selectorILNS1_17partition_subalgoE5EiNS0_10empty_typeEbEEZZNS1_14partition_implILS5_5ELb0ES3_mN6thrust23THRUST_200600_302600_NS6detail15normal_iteratorINSA_10device_ptrIiEEEEPS6_NSA_18transform_iteratorINSB_9not_fun_tI7is_trueIiEEENSC_INSD_IbEEEENSA_11use_defaultESO_EENS0_5tupleIJNSA_16discard_iteratorISO_EES6_EEENSQ_IJSG_SG_EEES6_PlJS6_EEE10hipError_tPvRmT3_T4_T5_T6_T7_T9_mT8_P12ihipStream_tbDpT10_ENKUlT_T0_E_clISt17integral_constantIbLb1EES1F_EEDaS1A_S1B_EUlS1A_E_NS1_11comp_targetILNS1_3genE3ELNS1_11target_archE908ELNS1_3gpuE7ELNS1_3repE0EEENS1_30default_config_static_selectorELNS0_4arch9wavefront6targetE0EEEvT1_,comdat
.Lfunc_end2792:
	.size	_ZN7rocprim17ROCPRIM_400000_NS6detail17trampoline_kernelINS0_14default_configENS1_25partition_config_selectorILNS1_17partition_subalgoE5EiNS0_10empty_typeEbEEZZNS1_14partition_implILS5_5ELb0ES3_mN6thrust23THRUST_200600_302600_NS6detail15normal_iteratorINSA_10device_ptrIiEEEEPS6_NSA_18transform_iteratorINSB_9not_fun_tI7is_trueIiEEENSC_INSD_IbEEEENSA_11use_defaultESO_EENS0_5tupleIJNSA_16discard_iteratorISO_EES6_EEENSQ_IJSG_SG_EEES6_PlJS6_EEE10hipError_tPvRmT3_T4_T5_T6_T7_T9_mT8_P12ihipStream_tbDpT10_ENKUlT_T0_E_clISt17integral_constantIbLb1EES1F_EEDaS1A_S1B_EUlS1A_E_NS1_11comp_targetILNS1_3genE3ELNS1_11target_archE908ELNS1_3gpuE7ELNS1_3repE0EEENS1_30default_config_static_selectorELNS0_4arch9wavefront6targetE0EEEvT1_, .Lfunc_end2792-_ZN7rocprim17ROCPRIM_400000_NS6detail17trampoline_kernelINS0_14default_configENS1_25partition_config_selectorILNS1_17partition_subalgoE5EiNS0_10empty_typeEbEEZZNS1_14partition_implILS5_5ELb0ES3_mN6thrust23THRUST_200600_302600_NS6detail15normal_iteratorINSA_10device_ptrIiEEEEPS6_NSA_18transform_iteratorINSB_9not_fun_tI7is_trueIiEEENSC_INSD_IbEEEENSA_11use_defaultESO_EENS0_5tupleIJNSA_16discard_iteratorISO_EES6_EEENSQ_IJSG_SG_EEES6_PlJS6_EEE10hipError_tPvRmT3_T4_T5_T6_T7_T9_mT8_P12ihipStream_tbDpT10_ENKUlT_T0_E_clISt17integral_constantIbLb1EES1F_EEDaS1A_S1B_EUlS1A_E_NS1_11comp_targetILNS1_3genE3ELNS1_11target_archE908ELNS1_3gpuE7ELNS1_3repE0EEENS1_30default_config_static_selectorELNS0_4arch9wavefront6targetE0EEEvT1_
                                        ; -- End function
	.set _ZN7rocprim17ROCPRIM_400000_NS6detail17trampoline_kernelINS0_14default_configENS1_25partition_config_selectorILNS1_17partition_subalgoE5EiNS0_10empty_typeEbEEZZNS1_14partition_implILS5_5ELb0ES3_mN6thrust23THRUST_200600_302600_NS6detail15normal_iteratorINSA_10device_ptrIiEEEEPS6_NSA_18transform_iteratorINSB_9not_fun_tI7is_trueIiEEENSC_INSD_IbEEEENSA_11use_defaultESO_EENS0_5tupleIJNSA_16discard_iteratorISO_EES6_EEENSQ_IJSG_SG_EEES6_PlJS6_EEE10hipError_tPvRmT3_T4_T5_T6_T7_T9_mT8_P12ihipStream_tbDpT10_ENKUlT_T0_E_clISt17integral_constantIbLb1EES1F_EEDaS1A_S1B_EUlS1A_E_NS1_11comp_targetILNS1_3genE3ELNS1_11target_archE908ELNS1_3gpuE7ELNS1_3repE0EEENS1_30default_config_static_selectorELNS0_4arch9wavefront6targetE0EEEvT1_.num_vgpr, 0
	.set _ZN7rocprim17ROCPRIM_400000_NS6detail17trampoline_kernelINS0_14default_configENS1_25partition_config_selectorILNS1_17partition_subalgoE5EiNS0_10empty_typeEbEEZZNS1_14partition_implILS5_5ELb0ES3_mN6thrust23THRUST_200600_302600_NS6detail15normal_iteratorINSA_10device_ptrIiEEEEPS6_NSA_18transform_iteratorINSB_9not_fun_tI7is_trueIiEEENSC_INSD_IbEEEENSA_11use_defaultESO_EENS0_5tupleIJNSA_16discard_iteratorISO_EES6_EEENSQ_IJSG_SG_EEES6_PlJS6_EEE10hipError_tPvRmT3_T4_T5_T6_T7_T9_mT8_P12ihipStream_tbDpT10_ENKUlT_T0_E_clISt17integral_constantIbLb1EES1F_EEDaS1A_S1B_EUlS1A_E_NS1_11comp_targetILNS1_3genE3ELNS1_11target_archE908ELNS1_3gpuE7ELNS1_3repE0EEENS1_30default_config_static_selectorELNS0_4arch9wavefront6targetE0EEEvT1_.num_agpr, 0
	.set _ZN7rocprim17ROCPRIM_400000_NS6detail17trampoline_kernelINS0_14default_configENS1_25partition_config_selectorILNS1_17partition_subalgoE5EiNS0_10empty_typeEbEEZZNS1_14partition_implILS5_5ELb0ES3_mN6thrust23THRUST_200600_302600_NS6detail15normal_iteratorINSA_10device_ptrIiEEEEPS6_NSA_18transform_iteratorINSB_9not_fun_tI7is_trueIiEEENSC_INSD_IbEEEENSA_11use_defaultESO_EENS0_5tupleIJNSA_16discard_iteratorISO_EES6_EEENSQ_IJSG_SG_EEES6_PlJS6_EEE10hipError_tPvRmT3_T4_T5_T6_T7_T9_mT8_P12ihipStream_tbDpT10_ENKUlT_T0_E_clISt17integral_constantIbLb1EES1F_EEDaS1A_S1B_EUlS1A_E_NS1_11comp_targetILNS1_3genE3ELNS1_11target_archE908ELNS1_3gpuE7ELNS1_3repE0EEENS1_30default_config_static_selectorELNS0_4arch9wavefront6targetE0EEEvT1_.numbered_sgpr, 0
	.set _ZN7rocprim17ROCPRIM_400000_NS6detail17trampoline_kernelINS0_14default_configENS1_25partition_config_selectorILNS1_17partition_subalgoE5EiNS0_10empty_typeEbEEZZNS1_14partition_implILS5_5ELb0ES3_mN6thrust23THRUST_200600_302600_NS6detail15normal_iteratorINSA_10device_ptrIiEEEEPS6_NSA_18transform_iteratorINSB_9not_fun_tI7is_trueIiEEENSC_INSD_IbEEEENSA_11use_defaultESO_EENS0_5tupleIJNSA_16discard_iteratorISO_EES6_EEENSQ_IJSG_SG_EEES6_PlJS6_EEE10hipError_tPvRmT3_T4_T5_T6_T7_T9_mT8_P12ihipStream_tbDpT10_ENKUlT_T0_E_clISt17integral_constantIbLb1EES1F_EEDaS1A_S1B_EUlS1A_E_NS1_11comp_targetILNS1_3genE3ELNS1_11target_archE908ELNS1_3gpuE7ELNS1_3repE0EEENS1_30default_config_static_selectorELNS0_4arch9wavefront6targetE0EEEvT1_.num_named_barrier, 0
	.set _ZN7rocprim17ROCPRIM_400000_NS6detail17trampoline_kernelINS0_14default_configENS1_25partition_config_selectorILNS1_17partition_subalgoE5EiNS0_10empty_typeEbEEZZNS1_14partition_implILS5_5ELb0ES3_mN6thrust23THRUST_200600_302600_NS6detail15normal_iteratorINSA_10device_ptrIiEEEEPS6_NSA_18transform_iteratorINSB_9not_fun_tI7is_trueIiEEENSC_INSD_IbEEEENSA_11use_defaultESO_EENS0_5tupleIJNSA_16discard_iteratorISO_EES6_EEENSQ_IJSG_SG_EEES6_PlJS6_EEE10hipError_tPvRmT3_T4_T5_T6_T7_T9_mT8_P12ihipStream_tbDpT10_ENKUlT_T0_E_clISt17integral_constantIbLb1EES1F_EEDaS1A_S1B_EUlS1A_E_NS1_11comp_targetILNS1_3genE3ELNS1_11target_archE908ELNS1_3gpuE7ELNS1_3repE0EEENS1_30default_config_static_selectorELNS0_4arch9wavefront6targetE0EEEvT1_.private_seg_size, 0
	.set _ZN7rocprim17ROCPRIM_400000_NS6detail17trampoline_kernelINS0_14default_configENS1_25partition_config_selectorILNS1_17partition_subalgoE5EiNS0_10empty_typeEbEEZZNS1_14partition_implILS5_5ELb0ES3_mN6thrust23THRUST_200600_302600_NS6detail15normal_iteratorINSA_10device_ptrIiEEEEPS6_NSA_18transform_iteratorINSB_9not_fun_tI7is_trueIiEEENSC_INSD_IbEEEENSA_11use_defaultESO_EENS0_5tupleIJNSA_16discard_iteratorISO_EES6_EEENSQ_IJSG_SG_EEES6_PlJS6_EEE10hipError_tPvRmT3_T4_T5_T6_T7_T9_mT8_P12ihipStream_tbDpT10_ENKUlT_T0_E_clISt17integral_constantIbLb1EES1F_EEDaS1A_S1B_EUlS1A_E_NS1_11comp_targetILNS1_3genE3ELNS1_11target_archE908ELNS1_3gpuE7ELNS1_3repE0EEENS1_30default_config_static_selectorELNS0_4arch9wavefront6targetE0EEEvT1_.uses_vcc, 0
	.set _ZN7rocprim17ROCPRIM_400000_NS6detail17trampoline_kernelINS0_14default_configENS1_25partition_config_selectorILNS1_17partition_subalgoE5EiNS0_10empty_typeEbEEZZNS1_14partition_implILS5_5ELb0ES3_mN6thrust23THRUST_200600_302600_NS6detail15normal_iteratorINSA_10device_ptrIiEEEEPS6_NSA_18transform_iteratorINSB_9not_fun_tI7is_trueIiEEENSC_INSD_IbEEEENSA_11use_defaultESO_EENS0_5tupleIJNSA_16discard_iteratorISO_EES6_EEENSQ_IJSG_SG_EEES6_PlJS6_EEE10hipError_tPvRmT3_T4_T5_T6_T7_T9_mT8_P12ihipStream_tbDpT10_ENKUlT_T0_E_clISt17integral_constantIbLb1EES1F_EEDaS1A_S1B_EUlS1A_E_NS1_11comp_targetILNS1_3genE3ELNS1_11target_archE908ELNS1_3gpuE7ELNS1_3repE0EEENS1_30default_config_static_selectorELNS0_4arch9wavefront6targetE0EEEvT1_.uses_flat_scratch, 0
	.set _ZN7rocprim17ROCPRIM_400000_NS6detail17trampoline_kernelINS0_14default_configENS1_25partition_config_selectorILNS1_17partition_subalgoE5EiNS0_10empty_typeEbEEZZNS1_14partition_implILS5_5ELb0ES3_mN6thrust23THRUST_200600_302600_NS6detail15normal_iteratorINSA_10device_ptrIiEEEEPS6_NSA_18transform_iteratorINSB_9not_fun_tI7is_trueIiEEENSC_INSD_IbEEEENSA_11use_defaultESO_EENS0_5tupleIJNSA_16discard_iteratorISO_EES6_EEENSQ_IJSG_SG_EEES6_PlJS6_EEE10hipError_tPvRmT3_T4_T5_T6_T7_T9_mT8_P12ihipStream_tbDpT10_ENKUlT_T0_E_clISt17integral_constantIbLb1EES1F_EEDaS1A_S1B_EUlS1A_E_NS1_11comp_targetILNS1_3genE3ELNS1_11target_archE908ELNS1_3gpuE7ELNS1_3repE0EEENS1_30default_config_static_selectorELNS0_4arch9wavefront6targetE0EEEvT1_.has_dyn_sized_stack, 0
	.set _ZN7rocprim17ROCPRIM_400000_NS6detail17trampoline_kernelINS0_14default_configENS1_25partition_config_selectorILNS1_17partition_subalgoE5EiNS0_10empty_typeEbEEZZNS1_14partition_implILS5_5ELb0ES3_mN6thrust23THRUST_200600_302600_NS6detail15normal_iteratorINSA_10device_ptrIiEEEEPS6_NSA_18transform_iteratorINSB_9not_fun_tI7is_trueIiEEENSC_INSD_IbEEEENSA_11use_defaultESO_EENS0_5tupleIJNSA_16discard_iteratorISO_EES6_EEENSQ_IJSG_SG_EEES6_PlJS6_EEE10hipError_tPvRmT3_T4_T5_T6_T7_T9_mT8_P12ihipStream_tbDpT10_ENKUlT_T0_E_clISt17integral_constantIbLb1EES1F_EEDaS1A_S1B_EUlS1A_E_NS1_11comp_targetILNS1_3genE3ELNS1_11target_archE908ELNS1_3gpuE7ELNS1_3repE0EEENS1_30default_config_static_selectorELNS0_4arch9wavefront6targetE0EEEvT1_.has_recursion, 0
	.set _ZN7rocprim17ROCPRIM_400000_NS6detail17trampoline_kernelINS0_14default_configENS1_25partition_config_selectorILNS1_17partition_subalgoE5EiNS0_10empty_typeEbEEZZNS1_14partition_implILS5_5ELb0ES3_mN6thrust23THRUST_200600_302600_NS6detail15normal_iteratorINSA_10device_ptrIiEEEEPS6_NSA_18transform_iteratorINSB_9not_fun_tI7is_trueIiEEENSC_INSD_IbEEEENSA_11use_defaultESO_EENS0_5tupleIJNSA_16discard_iteratorISO_EES6_EEENSQ_IJSG_SG_EEES6_PlJS6_EEE10hipError_tPvRmT3_T4_T5_T6_T7_T9_mT8_P12ihipStream_tbDpT10_ENKUlT_T0_E_clISt17integral_constantIbLb1EES1F_EEDaS1A_S1B_EUlS1A_E_NS1_11comp_targetILNS1_3genE3ELNS1_11target_archE908ELNS1_3gpuE7ELNS1_3repE0EEENS1_30default_config_static_selectorELNS0_4arch9wavefront6targetE0EEEvT1_.has_indirect_call, 0
	.section	.AMDGPU.csdata,"",@progbits
; Kernel info:
; codeLenInByte = 0
; TotalNumSgprs: 0
; NumVgprs: 0
; ScratchSize: 0
; MemoryBound: 0
; FloatMode: 240
; IeeeMode: 1
; LDSByteSize: 0 bytes/workgroup (compile time only)
; SGPRBlocks: 0
; VGPRBlocks: 0
; NumSGPRsForWavesPerEU: 1
; NumVGPRsForWavesPerEU: 1
; Occupancy: 16
; WaveLimiterHint : 0
; COMPUTE_PGM_RSRC2:SCRATCH_EN: 0
; COMPUTE_PGM_RSRC2:USER_SGPR: 2
; COMPUTE_PGM_RSRC2:TRAP_HANDLER: 0
; COMPUTE_PGM_RSRC2:TGID_X_EN: 1
; COMPUTE_PGM_RSRC2:TGID_Y_EN: 0
; COMPUTE_PGM_RSRC2:TGID_Z_EN: 0
; COMPUTE_PGM_RSRC2:TIDIG_COMP_CNT: 0
	.section	.text._ZN7rocprim17ROCPRIM_400000_NS6detail17trampoline_kernelINS0_14default_configENS1_25partition_config_selectorILNS1_17partition_subalgoE5EiNS0_10empty_typeEbEEZZNS1_14partition_implILS5_5ELb0ES3_mN6thrust23THRUST_200600_302600_NS6detail15normal_iteratorINSA_10device_ptrIiEEEEPS6_NSA_18transform_iteratorINSB_9not_fun_tI7is_trueIiEEENSC_INSD_IbEEEENSA_11use_defaultESO_EENS0_5tupleIJNSA_16discard_iteratorISO_EES6_EEENSQ_IJSG_SG_EEES6_PlJS6_EEE10hipError_tPvRmT3_T4_T5_T6_T7_T9_mT8_P12ihipStream_tbDpT10_ENKUlT_T0_E_clISt17integral_constantIbLb1EES1F_EEDaS1A_S1B_EUlS1A_E_NS1_11comp_targetILNS1_3genE2ELNS1_11target_archE906ELNS1_3gpuE6ELNS1_3repE0EEENS1_30default_config_static_selectorELNS0_4arch9wavefront6targetE0EEEvT1_,"axG",@progbits,_ZN7rocprim17ROCPRIM_400000_NS6detail17trampoline_kernelINS0_14default_configENS1_25partition_config_selectorILNS1_17partition_subalgoE5EiNS0_10empty_typeEbEEZZNS1_14partition_implILS5_5ELb0ES3_mN6thrust23THRUST_200600_302600_NS6detail15normal_iteratorINSA_10device_ptrIiEEEEPS6_NSA_18transform_iteratorINSB_9not_fun_tI7is_trueIiEEENSC_INSD_IbEEEENSA_11use_defaultESO_EENS0_5tupleIJNSA_16discard_iteratorISO_EES6_EEENSQ_IJSG_SG_EEES6_PlJS6_EEE10hipError_tPvRmT3_T4_T5_T6_T7_T9_mT8_P12ihipStream_tbDpT10_ENKUlT_T0_E_clISt17integral_constantIbLb1EES1F_EEDaS1A_S1B_EUlS1A_E_NS1_11comp_targetILNS1_3genE2ELNS1_11target_archE906ELNS1_3gpuE6ELNS1_3repE0EEENS1_30default_config_static_selectorELNS0_4arch9wavefront6targetE0EEEvT1_,comdat
	.protected	_ZN7rocprim17ROCPRIM_400000_NS6detail17trampoline_kernelINS0_14default_configENS1_25partition_config_selectorILNS1_17partition_subalgoE5EiNS0_10empty_typeEbEEZZNS1_14partition_implILS5_5ELb0ES3_mN6thrust23THRUST_200600_302600_NS6detail15normal_iteratorINSA_10device_ptrIiEEEEPS6_NSA_18transform_iteratorINSB_9not_fun_tI7is_trueIiEEENSC_INSD_IbEEEENSA_11use_defaultESO_EENS0_5tupleIJNSA_16discard_iteratorISO_EES6_EEENSQ_IJSG_SG_EEES6_PlJS6_EEE10hipError_tPvRmT3_T4_T5_T6_T7_T9_mT8_P12ihipStream_tbDpT10_ENKUlT_T0_E_clISt17integral_constantIbLb1EES1F_EEDaS1A_S1B_EUlS1A_E_NS1_11comp_targetILNS1_3genE2ELNS1_11target_archE906ELNS1_3gpuE6ELNS1_3repE0EEENS1_30default_config_static_selectorELNS0_4arch9wavefront6targetE0EEEvT1_ ; -- Begin function _ZN7rocprim17ROCPRIM_400000_NS6detail17trampoline_kernelINS0_14default_configENS1_25partition_config_selectorILNS1_17partition_subalgoE5EiNS0_10empty_typeEbEEZZNS1_14partition_implILS5_5ELb0ES3_mN6thrust23THRUST_200600_302600_NS6detail15normal_iteratorINSA_10device_ptrIiEEEEPS6_NSA_18transform_iteratorINSB_9not_fun_tI7is_trueIiEEENSC_INSD_IbEEEENSA_11use_defaultESO_EENS0_5tupleIJNSA_16discard_iteratorISO_EES6_EEENSQ_IJSG_SG_EEES6_PlJS6_EEE10hipError_tPvRmT3_T4_T5_T6_T7_T9_mT8_P12ihipStream_tbDpT10_ENKUlT_T0_E_clISt17integral_constantIbLb1EES1F_EEDaS1A_S1B_EUlS1A_E_NS1_11comp_targetILNS1_3genE2ELNS1_11target_archE906ELNS1_3gpuE6ELNS1_3repE0EEENS1_30default_config_static_selectorELNS0_4arch9wavefront6targetE0EEEvT1_
	.globl	_ZN7rocprim17ROCPRIM_400000_NS6detail17trampoline_kernelINS0_14default_configENS1_25partition_config_selectorILNS1_17partition_subalgoE5EiNS0_10empty_typeEbEEZZNS1_14partition_implILS5_5ELb0ES3_mN6thrust23THRUST_200600_302600_NS6detail15normal_iteratorINSA_10device_ptrIiEEEEPS6_NSA_18transform_iteratorINSB_9not_fun_tI7is_trueIiEEENSC_INSD_IbEEEENSA_11use_defaultESO_EENS0_5tupleIJNSA_16discard_iteratorISO_EES6_EEENSQ_IJSG_SG_EEES6_PlJS6_EEE10hipError_tPvRmT3_T4_T5_T6_T7_T9_mT8_P12ihipStream_tbDpT10_ENKUlT_T0_E_clISt17integral_constantIbLb1EES1F_EEDaS1A_S1B_EUlS1A_E_NS1_11comp_targetILNS1_3genE2ELNS1_11target_archE906ELNS1_3gpuE6ELNS1_3repE0EEENS1_30default_config_static_selectorELNS0_4arch9wavefront6targetE0EEEvT1_
	.p2align	8
	.type	_ZN7rocprim17ROCPRIM_400000_NS6detail17trampoline_kernelINS0_14default_configENS1_25partition_config_selectorILNS1_17partition_subalgoE5EiNS0_10empty_typeEbEEZZNS1_14partition_implILS5_5ELb0ES3_mN6thrust23THRUST_200600_302600_NS6detail15normal_iteratorINSA_10device_ptrIiEEEEPS6_NSA_18transform_iteratorINSB_9not_fun_tI7is_trueIiEEENSC_INSD_IbEEEENSA_11use_defaultESO_EENS0_5tupleIJNSA_16discard_iteratorISO_EES6_EEENSQ_IJSG_SG_EEES6_PlJS6_EEE10hipError_tPvRmT3_T4_T5_T6_T7_T9_mT8_P12ihipStream_tbDpT10_ENKUlT_T0_E_clISt17integral_constantIbLb1EES1F_EEDaS1A_S1B_EUlS1A_E_NS1_11comp_targetILNS1_3genE2ELNS1_11target_archE906ELNS1_3gpuE6ELNS1_3repE0EEENS1_30default_config_static_selectorELNS0_4arch9wavefront6targetE0EEEvT1_,@function
_ZN7rocprim17ROCPRIM_400000_NS6detail17trampoline_kernelINS0_14default_configENS1_25partition_config_selectorILNS1_17partition_subalgoE5EiNS0_10empty_typeEbEEZZNS1_14partition_implILS5_5ELb0ES3_mN6thrust23THRUST_200600_302600_NS6detail15normal_iteratorINSA_10device_ptrIiEEEEPS6_NSA_18transform_iteratorINSB_9not_fun_tI7is_trueIiEEENSC_INSD_IbEEEENSA_11use_defaultESO_EENS0_5tupleIJNSA_16discard_iteratorISO_EES6_EEENSQ_IJSG_SG_EEES6_PlJS6_EEE10hipError_tPvRmT3_T4_T5_T6_T7_T9_mT8_P12ihipStream_tbDpT10_ENKUlT_T0_E_clISt17integral_constantIbLb1EES1F_EEDaS1A_S1B_EUlS1A_E_NS1_11comp_targetILNS1_3genE2ELNS1_11target_archE906ELNS1_3gpuE6ELNS1_3repE0EEENS1_30default_config_static_selectorELNS0_4arch9wavefront6targetE0EEEvT1_: ; @_ZN7rocprim17ROCPRIM_400000_NS6detail17trampoline_kernelINS0_14default_configENS1_25partition_config_selectorILNS1_17partition_subalgoE5EiNS0_10empty_typeEbEEZZNS1_14partition_implILS5_5ELb0ES3_mN6thrust23THRUST_200600_302600_NS6detail15normal_iteratorINSA_10device_ptrIiEEEEPS6_NSA_18transform_iteratorINSB_9not_fun_tI7is_trueIiEEENSC_INSD_IbEEEENSA_11use_defaultESO_EENS0_5tupleIJNSA_16discard_iteratorISO_EES6_EEENSQ_IJSG_SG_EEES6_PlJS6_EEE10hipError_tPvRmT3_T4_T5_T6_T7_T9_mT8_P12ihipStream_tbDpT10_ENKUlT_T0_E_clISt17integral_constantIbLb1EES1F_EEDaS1A_S1B_EUlS1A_E_NS1_11comp_targetILNS1_3genE2ELNS1_11target_archE906ELNS1_3gpuE6ELNS1_3repE0EEENS1_30default_config_static_selectorELNS0_4arch9wavefront6targetE0EEEvT1_
; %bb.0:
	.section	.rodata,"a",@progbits
	.p2align	6, 0x0
	.amdhsa_kernel _ZN7rocprim17ROCPRIM_400000_NS6detail17trampoline_kernelINS0_14default_configENS1_25partition_config_selectorILNS1_17partition_subalgoE5EiNS0_10empty_typeEbEEZZNS1_14partition_implILS5_5ELb0ES3_mN6thrust23THRUST_200600_302600_NS6detail15normal_iteratorINSA_10device_ptrIiEEEEPS6_NSA_18transform_iteratorINSB_9not_fun_tI7is_trueIiEEENSC_INSD_IbEEEENSA_11use_defaultESO_EENS0_5tupleIJNSA_16discard_iteratorISO_EES6_EEENSQ_IJSG_SG_EEES6_PlJS6_EEE10hipError_tPvRmT3_T4_T5_T6_T7_T9_mT8_P12ihipStream_tbDpT10_ENKUlT_T0_E_clISt17integral_constantIbLb1EES1F_EEDaS1A_S1B_EUlS1A_E_NS1_11comp_targetILNS1_3genE2ELNS1_11target_archE906ELNS1_3gpuE6ELNS1_3repE0EEENS1_30default_config_static_selectorELNS0_4arch9wavefront6targetE0EEEvT1_
		.amdhsa_group_segment_fixed_size 0
		.amdhsa_private_segment_fixed_size 0
		.amdhsa_kernarg_size 144
		.amdhsa_user_sgpr_count 2
		.amdhsa_user_sgpr_dispatch_ptr 0
		.amdhsa_user_sgpr_queue_ptr 0
		.amdhsa_user_sgpr_kernarg_segment_ptr 1
		.amdhsa_user_sgpr_dispatch_id 0
		.amdhsa_user_sgpr_private_segment_size 0
		.amdhsa_wavefront_size32 1
		.amdhsa_uses_dynamic_stack 0
		.amdhsa_enable_private_segment 0
		.amdhsa_system_sgpr_workgroup_id_x 1
		.amdhsa_system_sgpr_workgroup_id_y 0
		.amdhsa_system_sgpr_workgroup_id_z 0
		.amdhsa_system_sgpr_workgroup_info 0
		.amdhsa_system_vgpr_workitem_id 0
		.amdhsa_next_free_vgpr 1
		.amdhsa_next_free_sgpr 1
		.amdhsa_reserve_vcc 0
		.amdhsa_float_round_mode_32 0
		.amdhsa_float_round_mode_16_64 0
		.amdhsa_float_denorm_mode_32 3
		.amdhsa_float_denorm_mode_16_64 3
		.amdhsa_fp16_overflow 0
		.amdhsa_workgroup_processor_mode 1
		.amdhsa_memory_ordered 1
		.amdhsa_forward_progress 1
		.amdhsa_inst_pref_size 0
		.amdhsa_round_robin_scheduling 0
		.amdhsa_exception_fp_ieee_invalid_op 0
		.amdhsa_exception_fp_denorm_src 0
		.amdhsa_exception_fp_ieee_div_zero 0
		.amdhsa_exception_fp_ieee_overflow 0
		.amdhsa_exception_fp_ieee_underflow 0
		.amdhsa_exception_fp_ieee_inexact 0
		.amdhsa_exception_int_div_zero 0
	.end_amdhsa_kernel
	.section	.text._ZN7rocprim17ROCPRIM_400000_NS6detail17trampoline_kernelINS0_14default_configENS1_25partition_config_selectorILNS1_17partition_subalgoE5EiNS0_10empty_typeEbEEZZNS1_14partition_implILS5_5ELb0ES3_mN6thrust23THRUST_200600_302600_NS6detail15normal_iteratorINSA_10device_ptrIiEEEEPS6_NSA_18transform_iteratorINSB_9not_fun_tI7is_trueIiEEENSC_INSD_IbEEEENSA_11use_defaultESO_EENS0_5tupleIJNSA_16discard_iteratorISO_EES6_EEENSQ_IJSG_SG_EEES6_PlJS6_EEE10hipError_tPvRmT3_T4_T5_T6_T7_T9_mT8_P12ihipStream_tbDpT10_ENKUlT_T0_E_clISt17integral_constantIbLb1EES1F_EEDaS1A_S1B_EUlS1A_E_NS1_11comp_targetILNS1_3genE2ELNS1_11target_archE906ELNS1_3gpuE6ELNS1_3repE0EEENS1_30default_config_static_selectorELNS0_4arch9wavefront6targetE0EEEvT1_,"axG",@progbits,_ZN7rocprim17ROCPRIM_400000_NS6detail17trampoline_kernelINS0_14default_configENS1_25partition_config_selectorILNS1_17partition_subalgoE5EiNS0_10empty_typeEbEEZZNS1_14partition_implILS5_5ELb0ES3_mN6thrust23THRUST_200600_302600_NS6detail15normal_iteratorINSA_10device_ptrIiEEEEPS6_NSA_18transform_iteratorINSB_9not_fun_tI7is_trueIiEEENSC_INSD_IbEEEENSA_11use_defaultESO_EENS0_5tupleIJNSA_16discard_iteratorISO_EES6_EEENSQ_IJSG_SG_EEES6_PlJS6_EEE10hipError_tPvRmT3_T4_T5_T6_T7_T9_mT8_P12ihipStream_tbDpT10_ENKUlT_T0_E_clISt17integral_constantIbLb1EES1F_EEDaS1A_S1B_EUlS1A_E_NS1_11comp_targetILNS1_3genE2ELNS1_11target_archE906ELNS1_3gpuE6ELNS1_3repE0EEENS1_30default_config_static_selectorELNS0_4arch9wavefront6targetE0EEEvT1_,comdat
.Lfunc_end2793:
	.size	_ZN7rocprim17ROCPRIM_400000_NS6detail17trampoline_kernelINS0_14default_configENS1_25partition_config_selectorILNS1_17partition_subalgoE5EiNS0_10empty_typeEbEEZZNS1_14partition_implILS5_5ELb0ES3_mN6thrust23THRUST_200600_302600_NS6detail15normal_iteratorINSA_10device_ptrIiEEEEPS6_NSA_18transform_iteratorINSB_9not_fun_tI7is_trueIiEEENSC_INSD_IbEEEENSA_11use_defaultESO_EENS0_5tupleIJNSA_16discard_iteratorISO_EES6_EEENSQ_IJSG_SG_EEES6_PlJS6_EEE10hipError_tPvRmT3_T4_T5_T6_T7_T9_mT8_P12ihipStream_tbDpT10_ENKUlT_T0_E_clISt17integral_constantIbLb1EES1F_EEDaS1A_S1B_EUlS1A_E_NS1_11comp_targetILNS1_3genE2ELNS1_11target_archE906ELNS1_3gpuE6ELNS1_3repE0EEENS1_30default_config_static_selectorELNS0_4arch9wavefront6targetE0EEEvT1_, .Lfunc_end2793-_ZN7rocprim17ROCPRIM_400000_NS6detail17trampoline_kernelINS0_14default_configENS1_25partition_config_selectorILNS1_17partition_subalgoE5EiNS0_10empty_typeEbEEZZNS1_14partition_implILS5_5ELb0ES3_mN6thrust23THRUST_200600_302600_NS6detail15normal_iteratorINSA_10device_ptrIiEEEEPS6_NSA_18transform_iteratorINSB_9not_fun_tI7is_trueIiEEENSC_INSD_IbEEEENSA_11use_defaultESO_EENS0_5tupleIJNSA_16discard_iteratorISO_EES6_EEENSQ_IJSG_SG_EEES6_PlJS6_EEE10hipError_tPvRmT3_T4_T5_T6_T7_T9_mT8_P12ihipStream_tbDpT10_ENKUlT_T0_E_clISt17integral_constantIbLb1EES1F_EEDaS1A_S1B_EUlS1A_E_NS1_11comp_targetILNS1_3genE2ELNS1_11target_archE906ELNS1_3gpuE6ELNS1_3repE0EEENS1_30default_config_static_selectorELNS0_4arch9wavefront6targetE0EEEvT1_
                                        ; -- End function
	.set _ZN7rocprim17ROCPRIM_400000_NS6detail17trampoline_kernelINS0_14default_configENS1_25partition_config_selectorILNS1_17partition_subalgoE5EiNS0_10empty_typeEbEEZZNS1_14partition_implILS5_5ELb0ES3_mN6thrust23THRUST_200600_302600_NS6detail15normal_iteratorINSA_10device_ptrIiEEEEPS6_NSA_18transform_iteratorINSB_9not_fun_tI7is_trueIiEEENSC_INSD_IbEEEENSA_11use_defaultESO_EENS0_5tupleIJNSA_16discard_iteratorISO_EES6_EEENSQ_IJSG_SG_EEES6_PlJS6_EEE10hipError_tPvRmT3_T4_T5_T6_T7_T9_mT8_P12ihipStream_tbDpT10_ENKUlT_T0_E_clISt17integral_constantIbLb1EES1F_EEDaS1A_S1B_EUlS1A_E_NS1_11comp_targetILNS1_3genE2ELNS1_11target_archE906ELNS1_3gpuE6ELNS1_3repE0EEENS1_30default_config_static_selectorELNS0_4arch9wavefront6targetE0EEEvT1_.num_vgpr, 0
	.set _ZN7rocprim17ROCPRIM_400000_NS6detail17trampoline_kernelINS0_14default_configENS1_25partition_config_selectorILNS1_17partition_subalgoE5EiNS0_10empty_typeEbEEZZNS1_14partition_implILS5_5ELb0ES3_mN6thrust23THRUST_200600_302600_NS6detail15normal_iteratorINSA_10device_ptrIiEEEEPS6_NSA_18transform_iteratorINSB_9not_fun_tI7is_trueIiEEENSC_INSD_IbEEEENSA_11use_defaultESO_EENS0_5tupleIJNSA_16discard_iteratorISO_EES6_EEENSQ_IJSG_SG_EEES6_PlJS6_EEE10hipError_tPvRmT3_T4_T5_T6_T7_T9_mT8_P12ihipStream_tbDpT10_ENKUlT_T0_E_clISt17integral_constantIbLb1EES1F_EEDaS1A_S1B_EUlS1A_E_NS1_11comp_targetILNS1_3genE2ELNS1_11target_archE906ELNS1_3gpuE6ELNS1_3repE0EEENS1_30default_config_static_selectorELNS0_4arch9wavefront6targetE0EEEvT1_.num_agpr, 0
	.set _ZN7rocprim17ROCPRIM_400000_NS6detail17trampoline_kernelINS0_14default_configENS1_25partition_config_selectorILNS1_17partition_subalgoE5EiNS0_10empty_typeEbEEZZNS1_14partition_implILS5_5ELb0ES3_mN6thrust23THRUST_200600_302600_NS6detail15normal_iteratorINSA_10device_ptrIiEEEEPS6_NSA_18transform_iteratorINSB_9not_fun_tI7is_trueIiEEENSC_INSD_IbEEEENSA_11use_defaultESO_EENS0_5tupleIJNSA_16discard_iteratorISO_EES6_EEENSQ_IJSG_SG_EEES6_PlJS6_EEE10hipError_tPvRmT3_T4_T5_T6_T7_T9_mT8_P12ihipStream_tbDpT10_ENKUlT_T0_E_clISt17integral_constantIbLb1EES1F_EEDaS1A_S1B_EUlS1A_E_NS1_11comp_targetILNS1_3genE2ELNS1_11target_archE906ELNS1_3gpuE6ELNS1_3repE0EEENS1_30default_config_static_selectorELNS0_4arch9wavefront6targetE0EEEvT1_.numbered_sgpr, 0
	.set _ZN7rocprim17ROCPRIM_400000_NS6detail17trampoline_kernelINS0_14default_configENS1_25partition_config_selectorILNS1_17partition_subalgoE5EiNS0_10empty_typeEbEEZZNS1_14partition_implILS5_5ELb0ES3_mN6thrust23THRUST_200600_302600_NS6detail15normal_iteratorINSA_10device_ptrIiEEEEPS6_NSA_18transform_iteratorINSB_9not_fun_tI7is_trueIiEEENSC_INSD_IbEEEENSA_11use_defaultESO_EENS0_5tupleIJNSA_16discard_iteratorISO_EES6_EEENSQ_IJSG_SG_EEES6_PlJS6_EEE10hipError_tPvRmT3_T4_T5_T6_T7_T9_mT8_P12ihipStream_tbDpT10_ENKUlT_T0_E_clISt17integral_constantIbLb1EES1F_EEDaS1A_S1B_EUlS1A_E_NS1_11comp_targetILNS1_3genE2ELNS1_11target_archE906ELNS1_3gpuE6ELNS1_3repE0EEENS1_30default_config_static_selectorELNS0_4arch9wavefront6targetE0EEEvT1_.num_named_barrier, 0
	.set _ZN7rocprim17ROCPRIM_400000_NS6detail17trampoline_kernelINS0_14default_configENS1_25partition_config_selectorILNS1_17partition_subalgoE5EiNS0_10empty_typeEbEEZZNS1_14partition_implILS5_5ELb0ES3_mN6thrust23THRUST_200600_302600_NS6detail15normal_iteratorINSA_10device_ptrIiEEEEPS6_NSA_18transform_iteratorINSB_9not_fun_tI7is_trueIiEEENSC_INSD_IbEEEENSA_11use_defaultESO_EENS0_5tupleIJNSA_16discard_iteratorISO_EES6_EEENSQ_IJSG_SG_EEES6_PlJS6_EEE10hipError_tPvRmT3_T4_T5_T6_T7_T9_mT8_P12ihipStream_tbDpT10_ENKUlT_T0_E_clISt17integral_constantIbLb1EES1F_EEDaS1A_S1B_EUlS1A_E_NS1_11comp_targetILNS1_3genE2ELNS1_11target_archE906ELNS1_3gpuE6ELNS1_3repE0EEENS1_30default_config_static_selectorELNS0_4arch9wavefront6targetE0EEEvT1_.private_seg_size, 0
	.set _ZN7rocprim17ROCPRIM_400000_NS6detail17trampoline_kernelINS0_14default_configENS1_25partition_config_selectorILNS1_17partition_subalgoE5EiNS0_10empty_typeEbEEZZNS1_14partition_implILS5_5ELb0ES3_mN6thrust23THRUST_200600_302600_NS6detail15normal_iteratorINSA_10device_ptrIiEEEEPS6_NSA_18transform_iteratorINSB_9not_fun_tI7is_trueIiEEENSC_INSD_IbEEEENSA_11use_defaultESO_EENS0_5tupleIJNSA_16discard_iteratorISO_EES6_EEENSQ_IJSG_SG_EEES6_PlJS6_EEE10hipError_tPvRmT3_T4_T5_T6_T7_T9_mT8_P12ihipStream_tbDpT10_ENKUlT_T0_E_clISt17integral_constantIbLb1EES1F_EEDaS1A_S1B_EUlS1A_E_NS1_11comp_targetILNS1_3genE2ELNS1_11target_archE906ELNS1_3gpuE6ELNS1_3repE0EEENS1_30default_config_static_selectorELNS0_4arch9wavefront6targetE0EEEvT1_.uses_vcc, 0
	.set _ZN7rocprim17ROCPRIM_400000_NS6detail17trampoline_kernelINS0_14default_configENS1_25partition_config_selectorILNS1_17partition_subalgoE5EiNS0_10empty_typeEbEEZZNS1_14partition_implILS5_5ELb0ES3_mN6thrust23THRUST_200600_302600_NS6detail15normal_iteratorINSA_10device_ptrIiEEEEPS6_NSA_18transform_iteratorINSB_9not_fun_tI7is_trueIiEEENSC_INSD_IbEEEENSA_11use_defaultESO_EENS0_5tupleIJNSA_16discard_iteratorISO_EES6_EEENSQ_IJSG_SG_EEES6_PlJS6_EEE10hipError_tPvRmT3_T4_T5_T6_T7_T9_mT8_P12ihipStream_tbDpT10_ENKUlT_T0_E_clISt17integral_constantIbLb1EES1F_EEDaS1A_S1B_EUlS1A_E_NS1_11comp_targetILNS1_3genE2ELNS1_11target_archE906ELNS1_3gpuE6ELNS1_3repE0EEENS1_30default_config_static_selectorELNS0_4arch9wavefront6targetE0EEEvT1_.uses_flat_scratch, 0
	.set _ZN7rocprim17ROCPRIM_400000_NS6detail17trampoline_kernelINS0_14default_configENS1_25partition_config_selectorILNS1_17partition_subalgoE5EiNS0_10empty_typeEbEEZZNS1_14partition_implILS5_5ELb0ES3_mN6thrust23THRUST_200600_302600_NS6detail15normal_iteratorINSA_10device_ptrIiEEEEPS6_NSA_18transform_iteratorINSB_9not_fun_tI7is_trueIiEEENSC_INSD_IbEEEENSA_11use_defaultESO_EENS0_5tupleIJNSA_16discard_iteratorISO_EES6_EEENSQ_IJSG_SG_EEES6_PlJS6_EEE10hipError_tPvRmT3_T4_T5_T6_T7_T9_mT8_P12ihipStream_tbDpT10_ENKUlT_T0_E_clISt17integral_constantIbLb1EES1F_EEDaS1A_S1B_EUlS1A_E_NS1_11comp_targetILNS1_3genE2ELNS1_11target_archE906ELNS1_3gpuE6ELNS1_3repE0EEENS1_30default_config_static_selectorELNS0_4arch9wavefront6targetE0EEEvT1_.has_dyn_sized_stack, 0
	.set _ZN7rocprim17ROCPRIM_400000_NS6detail17trampoline_kernelINS0_14default_configENS1_25partition_config_selectorILNS1_17partition_subalgoE5EiNS0_10empty_typeEbEEZZNS1_14partition_implILS5_5ELb0ES3_mN6thrust23THRUST_200600_302600_NS6detail15normal_iteratorINSA_10device_ptrIiEEEEPS6_NSA_18transform_iteratorINSB_9not_fun_tI7is_trueIiEEENSC_INSD_IbEEEENSA_11use_defaultESO_EENS0_5tupleIJNSA_16discard_iteratorISO_EES6_EEENSQ_IJSG_SG_EEES6_PlJS6_EEE10hipError_tPvRmT3_T4_T5_T6_T7_T9_mT8_P12ihipStream_tbDpT10_ENKUlT_T0_E_clISt17integral_constantIbLb1EES1F_EEDaS1A_S1B_EUlS1A_E_NS1_11comp_targetILNS1_3genE2ELNS1_11target_archE906ELNS1_3gpuE6ELNS1_3repE0EEENS1_30default_config_static_selectorELNS0_4arch9wavefront6targetE0EEEvT1_.has_recursion, 0
	.set _ZN7rocprim17ROCPRIM_400000_NS6detail17trampoline_kernelINS0_14default_configENS1_25partition_config_selectorILNS1_17partition_subalgoE5EiNS0_10empty_typeEbEEZZNS1_14partition_implILS5_5ELb0ES3_mN6thrust23THRUST_200600_302600_NS6detail15normal_iteratorINSA_10device_ptrIiEEEEPS6_NSA_18transform_iteratorINSB_9not_fun_tI7is_trueIiEEENSC_INSD_IbEEEENSA_11use_defaultESO_EENS0_5tupleIJNSA_16discard_iteratorISO_EES6_EEENSQ_IJSG_SG_EEES6_PlJS6_EEE10hipError_tPvRmT3_T4_T5_T6_T7_T9_mT8_P12ihipStream_tbDpT10_ENKUlT_T0_E_clISt17integral_constantIbLb1EES1F_EEDaS1A_S1B_EUlS1A_E_NS1_11comp_targetILNS1_3genE2ELNS1_11target_archE906ELNS1_3gpuE6ELNS1_3repE0EEENS1_30default_config_static_selectorELNS0_4arch9wavefront6targetE0EEEvT1_.has_indirect_call, 0
	.section	.AMDGPU.csdata,"",@progbits
; Kernel info:
; codeLenInByte = 0
; TotalNumSgprs: 0
; NumVgprs: 0
; ScratchSize: 0
; MemoryBound: 0
; FloatMode: 240
; IeeeMode: 1
; LDSByteSize: 0 bytes/workgroup (compile time only)
; SGPRBlocks: 0
; VGPRBlocks: 0
; NumSGPRsForWavesPerEU: 1
; NumVGPRsForWavesPerEU: 1
; Occupancy: 16
; WaveLimiterHint : 0
; COMPUTE_PGM_RSRC2:SCRATCH_EN: 0
; COMPUTE_PGM_RSRC2:USER_SGPR: 2
; COMPUTE_PGM_RSRC2:TRAP_HANDLER: 0
; COMPUTE_PGM_RSRC2:TGID_X_EN: 1
; COMPUTE_PGM_RSRC2:TGID_Y_EN: 0
; COMPUTE_PGM_RSRC2:TGID_Z_EN: 0
; COMPUTE_PGM_RSRC2:TIDIG_COMP_CNT: 0
	.section	.text._ZN7rocprim17ROCPRIM_400000_NS6detail17trampoline_kernelINS0_14default_configENS1_25partition_config_selectorILNS1_17partition_subalgoE5EiNS0_10empty_typeEbEEZZNS1_14partition_implILS5_5ELb0ES3_mN6thrust23THRUST_200600_302600_NS6detail15normal_iteratorINSA_10device_ptrIiEEEEPS6_NSA_18transform_iteratorINSB_9not_fun_tI7is_trueIiEEENSC_INSD_IbEEEENSA_11use_defaultESO_EENS0_5tupleIJNSA_16discard_iteratorISO_EES6_EEENSQ_IJSG_SG_EEES6_PlJS6_EEE10hipError_tPvRmT3_T4_T5_T6_T7_T9_mT8_P12ihipStream_tbDpT10_ENKUlT_T0_E_clISt17integral_constantIbLb1EES1F_EEDaS1A_S1B_EUlS1A_E_NS1_11comp_targetILNS1_3genE10ELNS1_11target_archE1200ELNS1_3gpuE4ELNS1_3repE0EEENS1_30default_config_static_selectorELNS0_4arch9wavefront6targetE0EEEvT1_,"axG",@progbits,_ZN7rocprim17ROCPRIM_400000_NS6detail17trampoline_kernelINS0_14default_configENS1_25partition_config_selectorILNS1_17partition_subalgoE5EiNS0_10empty_typeEbEEZZNS1_14partition_implILS5_5ELb0ES3_mN6thrust23THRUST_200600_302600_NS6detail15normal_iteratorINSA_10device_ptrIiEEEEPS6_NSA_18transform_iteratorINSB_9not_fun_tI7is_trueIiEEENSC_INSD_IbEEEENSA_11use_defaultESO_EENS0_5tupleIJNSA_16discard_iteratorISO_EES6_EEENSQ_IJSG_SG_EEES6_PlJS6_EEE10hipError_tPvRmT3_T4_T5_T6_T7_T9_mT8_P12ihipStream_tbDpT10_ENKUlT_T0_E_clISt17integral_constantIbLb1EES1F_EEDaS1A_S1B_EUlS1A_E_NS1_11comp_targetILNS1_3genE10ELNS1_11target_archE1200ELNS1_3gpuE4ELNS1_3repE0EEENS1_30default_config_static_selectorELNS0_4arch9wavefront6targetE0EEEvT1_,comdat
	.protected	_ZN7rocprim17ROCPRIM_400000_NS6detail17trampoline_kernelINS0_14default_configENS1_25partition_config_selectorILNS1_17partition_subalgoE5EiNS0_10empty_typeEbEEZZNS1_14partition_implILS5_5ELb0ES3_mN6thrust23THRUST_200600_302600_NS6detail15normal_iteratorINSA_10device_ptrIiEEEEPS6_NSA_18transform_iteratorINSB_9not_fun_tI7is_trueIiEEENSC_INSD_IbEEEENSA_11use_defaultESO_EENS0_5tupleIJNSA_16discard_iteratorISO_EES6_EEENSQ_IJSG_SG_EEES6_PlJS6_EEE10hipError_tPvRmT3_T4_T5_T6_T7_T9_mT8_P12ihipStream_tbDpT10_ENKUlT_T0_E_clISt17integral_constantIbLb1EES1F_EEDaS1A_S1B_EUlS1A_E_NS1_11comp_targetILNS1_3genE10ELNS1_11target_archE1200ELNS1_3gpuE4ELNS1_3repE0EEENS1_30default_config_static_selectorELNS0_4arch9wavefront6targetE0EEEvT1_ ; -- Begin function _ZN7rocprim17ROCPRIM_400000_NS6detail17trampoline_kernelINS0_14default_configENS1_25partition_config_selectorILNS1_17partition_subalgoE5EiNS0_10empty_typeEbEEZZNS1_14partition_implILS5_5ELb0ES3_mN6thrust23THRUST_200600_302600_NS6detail15normal_iteratorINSA_10device_ptrIiEEEEPS6_NSA_18transform_iteratorINSB_9not_fun_tI7is_trueIiEEENSC_INSD_IbEEEENSA_11use_defaultESO_EENS0_5tupleIJNSA_16discard_iteratorISO_EES6_EEENSQ_IJSG_SG_EEES6_PlJS6_EEE10hipError_tPvRmT3_T4_T5_T6_T7_T9_mT8_P12ihipStream_tbDpT10_ENKUlT_T0_E_clISt17integral_constantIbLb1EES1F_EEDaS1A_S1B_EUlS1A_E_NS1_11comp_targetILNS1_3genE10ELNS1_11target_archE1200ELNS1_3gpuE4ELNS1_3repE0EEENS1_30default_config_static_selectorELNS0_4arch9wavefront6targetE0EEEvT1_
	.globl	_ZN7rocprim17ROCPRIM_400000_NS6detail17trampoline_kernelINS0_14default_configENS1_25partition_config_selectorILNS1_17partition_subalgoE5EiNS0_10empty_typeEbEEZZNS1_14partition_implILS5_5ELb0ES3_mN6thrust23THRUST_200600_302600_NS6detail15normal_iteratorINSA_10device_ptrIiEEEEPS6_NSA_18transform_iteratorINSB_9not_fun_tI7is_trueIiEEENSC_INSD_IbEEEENSA_11use_defaultESO_EENS0_5tupleIJNSA_16discard_iteratorISO_EES6_EEENSQ_IJSG_SG_EEES6_PlJS6_EEE10hipError_tPvRmT3_T4_T5_T6_T7_T9_mT8_P12ihipStream_tbDpT10_ENKUlT_T0_E_clISt17integral_constantIbLb1EES1F_EEDaS1A_S1B_EUlS1A_E_NS1_11comp_targetILNS1_3genE10ELNS1_11target_archE1200ELNS1_3gpuE4ELNS1_3repE0EEENS1_30default_config_static_selectorELNS0_4arch9wavefront6targetE0EEEvT1_
	.p2align	8
	.type	_ZN7rocprim17ROCPRIM_400000_NS6detail17trampoline_kernelINS0_14default_configENS1_25partition_config_selectorILNS1_17partition_subalgoE5EiNS0_10empty_typeEbEEZZNS1_14partition_implILS5_5ELb0ES3_mN6thrust23THRUST_200600_302600_NS6detail15normal_iteratorINSA_10device_ptrIiEEEEPS6_NSA_18transform_iteratorINSB_9not_fun_tI7is_trueIiEEENSC_INSD_IbEEEENSA_11use_defaultESO_EENS0_5tupleIJNSA_16discard_iteratorISO_EES6_EEENSQ_IJSG_SG_EEES6_PlJS6_EEE10hipError_tPvRmT3_T4_T5_T6_T7_T9_mT8_P12ihipStream_tbDpT10_ENKUlT_T0_E_clISt17integral_constantIbLb1EES1F_EEDaS1A_S1B_EUlS1A_E_NS1_11comp_targetILNS1_3genE10ELNS1_11target_archE1200ELNS1_3gpuE4ELNS1_3repE0EEENS1_30default_config_static_selectorELNS0_4arch9wavefront6targetE0EEEvT1_,@function
_ZN7rocprim17ROCPRIM_400000_NS6detail17trampoline_kernelINS0_14default_configENS1_25partition_config_selectorILNS1_17partition_subalgoE5EiNS0_10empty_typeEbEEZZNS1_14partition_implILS5_5ELb0ES3_mN6thrust23THRUST_200600_302600_NS6detail15normal_iteratorINSA_10device_ptrIiEEEEPS6_NSA_18transform_iteratorINSB_9not_fun_tI7is_trueIiEEENSC_INSD_IbEEEENSA_11use_defaultESO_EENS0_5tupleIJNSA_16discard_iteratorISO_EES6_EEENSQ_IJSG_SG_EEES6_PlJS6_EEE10hipError_tPvRmT3_T4_T5_T6_T7_T9_mT8_P12ihipStream_tbDpT10_ENKUlT_T0_E_clISt17integral_constantIbLb1EES1F_EEDaS1A_S1B_EUlS1A_E_NS1_11comp_targetILNS1_3genE10ELNS1_11target_archE1200ELNS1_3gpuE4ELNS1_3repE0EEENS1_30default_config_static_selectorELNS0_4arch9wavefront6targetE0EEEvT1_: ; @_ZN7rocprim17ROCPRIM_400000_NS6detail17trampoline_kernelINS0_14default_configENS1_25partition_config_selectorILNS1_17partition_subalgoE5EiNS0_10empty_typeEbEEZZNS1_14partition_implILS5_5ELb0ES3_mN6thrust23THRUST_200600_302600_NS6detail15normal_iteratorINSA_10device_ptrIiEEEEPS6_NSA_18transform_iteratorINSB_9not_fun_tI7is_trueIiEEENSC_INSD_IbEEEENSA_11use_defaultESO_EENS0_5tupleIJNSA_16discard_iteratorISO_EES6_EEENSQ_IJSG_SG_EEES6_PlJS6_EEE10hipError_tPvRmT3_T4_T5_T6_T7_T9_mT8_P12ihipStream_tbDpT10_ENKUlT_T0_E_clISt17integral_constantIbLb1EES1F_EEDaS1A_S1B_EUlS1A_E_NS1_11comp_targetILNS1_3genE10ELNS1_11target_archE1200ELNS1_3gpuE4ELNS1_3repE0EEENS1_30default_config_static_selectorELNS0_4arch9wavefront6targetE0EEEvT1_
; %bb.0:
	s_endpgm
	.section	.rodata,"a",@progbits
	.p2align	6, 0x0
	.amdhsa_kernel _ZN7rocprim17ROCPRIM_400000_NS6detail17trampoline_kernelINS0_14default_configENS1_25partition_config_selectorILNS1_17partition_subalgoE5EiNS0_10empty_typeEbEEZZNS1_14partition_implILS5_5ELb0ES3_mN6thrust23THRUST_200600_302600_NS6detail15normal_iteratorINSA_10device_ptrIiEEEEPS6_NSA_18transform_iteratorINSB_9not_fun_tI7is_trueIiEEENSC_INSD_IbEEEENSA_11use_defaultESO_EENS0_5tupleIJNSA_16discard_iteratorISO_EES6_EEENSQ_IJSG_SG_EEES6_PlJS6_EEE10hipError_tPvRmT3_T4_T5_T6_T7_T9_mT8_P12ihipStream_tbDpT10_ENKUlT_T0_E_clISt17integral_constantIbLb1EES1F_EEDaS1A_S1B_EUlS1A_E_NS1_11comp_targetILNS1_3genE10ELNS1_11target_archE1200ELNS1_3gpuE4ELNS1_3repE0EEENS1_30default_config_static_selectorELNS0_4arch9wavefront6targetE0EEEvT1_
		.amdhsa_group_segment_fixed_size 0
		.amdhsa_private_segment_fixed_size 0
		.amdhsa_kernarg_size 144
		.amdhsa_user_sgpr_count 2
		.amdhsa_user_sgpr_dispatch_ptr 0
		.amdhsa_user_sgpr_queue_ptr 0
		.amdhsa_user_sgpr_kernarg_segment_ptr 1
		.amdhsa_user_sgpr_dispatch_id 0
		.amdhsa_user_sgpr_private_segment_size 0
		.amdhsa_wavefront_size32 1
		.amdhsa_uses_dynamic_stack 0
		.amdhsa_enable_private_segment 0
		.amdhsa_system_sgpr_workgroup_id_x 1
		.amdhsa_system_sgpr_workgroup_id_y 0
		.amdhsa_system_sgpr_workgroup_id_z 0
		.amdhsa_system_sgpr_workgroup_info 0
		.amdhsa_system_vgpr_workitem_id 0
		.amdhsa_next_free_vgpr 1
		.amdhsa_next_free_sgpr 1
		.amdhsa_reserve_vcc 0
		.amdhsa_float_round_mode_32 0
		.amdhsa_float_round_mode_16_64 0
		.amdhsa_float_denorm_mode_32 3
		.amdhsa_float_denorm_mode_16_64 3
		.amdhsa_fp16_overflow 0
		.amdhsa_workgroup_processor_mode 1
		.amdhsa_memory_ordered 1
		.amdhsa_forward_progress 1
		.amdhsa_inst_pref_size 1
		.amdhsa_round_robin_scheduling 0
		.amdhsa_exception_fp_ieee_invalid_op 0
		.amdhsa_exception_fp_denorm_src 0
		.amdhsa_exception_fp_ieee_div_zero 0
		.amdhsa_exception_fp_ieee_overflow 0
		.amdhsa_exception_fp_ieee_underflow 0
		.amdhsa_exception_fp_ieee_inexact 0
		.amdhsa_exception_int_div_zero 0
	.end_amdhsa_kernel
	.section	.text._ZN7rocprim17ROCPRIM_400000_NS6detail17trampoline_kernelINS0_14default_configENS1_25partition_config_selectorILNS1_17partition_subalgoE5EiNS0_10empty_typeEbEEZZNS1_14partition_implILS5_5ELb0ES3_mN6thrust23THRUST_200600_302600_NS6detail15normal_iteratorINSA_10device_ptrIiEEEEPS6_NSA_18transform_iteratorINSB_9not_fun_tI7is_trueIiEEENSC_INSD_IbEEEENSA_11use_defaultESO_EENS0_5tupleIJNSA_16discard_iteratorISO_EES6_EEENSQ_IJSG_SG_EEES6_PlJS6_EEE10hipError_tPvRmT3_T4_T5_T6_T7_T9_mT8_P12ihipStream_tbDpT10_ENKUlT_T0_E_clISt17integral_constantIbLb1EES1F_EEDaS1A_S1B_EUlS1A_E_NS1_11comp_targetILNS1_3genE10ELNS1_11target_archE1200ELNS1_3gpuE4ELNS1_3repE0EEENS1_30default_config_static_selectorELNS0_4arch9wavefront6targetE0EEEvT1_,"axG",@progbits,_ZN7rocprim17ROCPRIM_400000_NS6detail17trampoline_kernelINS0_14default_configENS1_25partition_config_selectorILNS1_17partition_subalgoE5EiNS0_10empty_typeEbEEZZNS1_14partition_implILS5_5ELb0ES3_mN6thrust23THRUST_200600_302600_NS6detail15normal_iteratorINSA_10device_ptrIiEEEEPS6_NSA_18transform_iteratorINSB_9not_fun_tI7is_trueIiEEENSC_INSD_IbEEEENSA_11use_defaultESO_EENS0_5tupleIJNSA_16discard_iteratorISO_EES6_EEENSQ_IJSG_SG_EEES6_PlJS6_EEE10hipError_tPvRmT3_T4_T5_T6_T7_T9_mT8_P12ihipStream_tbDpT10_ENKUlT_T0_E_clISt17integral_constantIbLb1EES1F_EEDaS1A_S1B_EUlS1A_E_NS1_11comp_targetILNS1_3genE10ELNS1_11target_archE1200ELNS1_3gpuE4ELNS1_3repE0EEENS1_30default_config_static_selectorELNS0_4arch9wavefront6targetE0EEEvT1_,comdat
.Lfunc_end2794:
	.size	_ZN7rocprim17ROCPRIM_400000_NS6detail17trampoline_kernelINS0_14default_configENS1_25partition_config_selectorILNS1_17partition_subalgoE5EiNS0_10empty_typeEbEEZZNS1_14partition_implILS5_5ELb0ES3_mN6thrust23THRUST_200600_302600_NS6detail15normal_iteratorINSA_10device_ptrIiEEEEPS6_NSA_18transform_iteratorINSB_9not_fun_tI7is_trueIiEEENSC_INSD_IbEEEENSA_11use_defaultESO_EENS0_5tupleIJNSA_16discard_iteratorISO_EES6_EEENSQ_IJSG_SG_EEES6_PlJS6_EEE10hipError_tPvRmT3_T4_T5_T6_T7_T9_mT8_P12ihipStream_tbDpT10_ENKUlT_T0_E_clISt17integral_constantIbLb1EES1F_EEDaS1A_S1B_EUlS1A_E_NS1_11comp_targetILNS1_3genE10ELNS1_11target_archE1200ELNS1_3gpuE4ELNS1_3repE0EEENS1_30default_config_static_selectorELNS0_4arch9wavefront6targetE0EEEvT1_, .Lfunc_end2794-_ZN7rocprim17ROCPRIM_400000_NS6detail17trampoline_kernelINS0_14default_configENS1_25partition_config_selectorILNS1_17partition_subalgoE5EiNS0_10empty_typeEbEEZZNS1_14partition_implILS5_5ELb0ES3_mN6thrust23THRUST_200600_302600_NS6detail15normal_iteratorINSA_10device_ptrIiEEEEPS6_NSA_18transform_iteratorINSB_9not_fun_tI7is_trueIiEEENSC_INSD_IbEEEENSA_11use_defaultESO_EENS0_5tupleIJNSA_16discard_iteratorISO_EES6_EEENSQ_IJSG_SG_EEES6_PlJS6_EEE10hipError_tPvRmT3_T4_T5_T6_T7_T9_mT8_P12ihipStream_tbDpT10_ENKUlT_T0_E_clISt17integral_constantIbLb1EES1F_EEDaS1A_S1B_EUlS1A_E_NS1_11comp_targetILNS1_3genE10ELNS1_11target_archE1200ELNS1_3gpuE4ELNS1_3repE0EEENS1_30default_config_static_selectorELNS0_4arch9wavefront6targetE0EEEvT1_
                                        ; -- End function
	.set _ZN7rocprim17ROCPRIM_400000_NS6detail17trampoline_kernelINS0_14default_configENS1_25partition_config_selectorILNS1_17partition_subalgoE5EiNS0_10empty_typeEbEEZZNS1_14partition_implILS5_5ELb0ES3_mN6thrust23THRUST_200600_302600_NS6detail15normal_iteratorINSA_10device_ptrIiEEEEPS6_NSA_18transform_iteratorINSB_9not_fun_tI7is_trueIiEEENSC_INSD_IbEEEENSA_11use_defaultESO_EENS0_5tupleIJNSA_16discard_iteratorISO_EES6_EEENSQ_IJSG_SG_EEES6_PlJS6_EEE10hipError_tPvRmT3_T4_T5_T6_T7_T9_mT8_P12ihipStream_tbDpT10_ENKUlT_T0_E_clISt17integral_constantIbLb1EES1F_EEDaS1A_S1B_EUlS1A_E_NS1_11comp_targetILNS1_3genE10ELNS1_11target_archE1200ELNS1_3gpuE4ELNS1_3repE0EEENS1_30default_config_static_selectorELNS0_4arch9wavefront6targetE0EEEvT1_.num_vgpr, 0
	.set _ZN7rocprim17ROCPRIM_400000_NS6detail17trampoline_kernelINS0_14default_configENS1_25partition_config_selectorILNS1_17partition_subalgoE5EiNS0_10empty_typeEbEEZZNS1_14partition_implILS5_5ELb0ES3_mN6thrust23THRUST_200600_302600_NS6detail15normal_iteratorINSA_10device_ptrIiEEEEPS6_NSA_18transform_iteratorINSB_9not_fun_tI7is_trueIiEEENSC_INSD_IbEEEENSA_11use_defaultESO_EENS0_5tupleIJNSA_16discard_iteratorISO_EES6_EEENSQ_IJSG_SG_EEES6_PlJS6_EEE10hipError_tPvRmT3_T4_T5_T6_T7_T9_mT8_P12ihipStream_tbDpT10_ENKUlT_T0_E_clISt17integral_constantIbLb1EES1F_EEDaS1A_S1B_EUlS1A_E_NS1_11comp_targetILNS1_3genE10ELNS1_11target_archE1200ELNS1_3gpuE4ELNS1_3repE0EEENS1_30default_config_static_selectorELNS0_4arch9wavefront6targetE0EEEvT1_.num_agpr, 0
	.set _ZN7rocprim17ROCPRIM_400000_NS6detail17trampoline_kernelINS0_14default_configENS1_25partition_config_selectorILNS1_17partition_subalgoE5EiNS0_10empty_typeEbEEZZNS1_14partition_implILS5_5ELb0ES3_mN6thrust23THRUST_200600_302600_NS6detail15normal_iteratorINSA_10device_ptrIiEEEEPS6_NSA_18transform_iteratorINSB_9not_fun_tI7is_trueIiEEENSC_INSD_IbEEEENSA_11use_defaultESO_EENS0_5tupleIJNSA_16discard_iteratorISO_EES6_EEENSQ_IJSG_SG_EEES6_PlJS6_EEE10hipError_tPvRmT3_T4_T5_T6_T7_T9_mT8_P12ihipStream_tbDpT10_ENKUlT_T0_E_clISt17integral_constantIbLb1EES1F_EEDaS1A_S1B_EUlS1A_E_NS1_11comp_targetILNS1_3genE10ELNS1_11target_archE1200ELNS1_3gpuE4ELNS1_3repE0EEENS1_30default_config_static_selectorELNS0_4arch9wavefront6targetE0EEEvT1_.numbered_sgpr, 0
	.set _ZN7rocprim17ROCPRIM_400000_NS6detail17trampoline_kernelINS0_14default_configENS1_25partition_config_selectorILNS1_17partition_subalgoE5EiNS0_10empty_typeEbEEZZNS1_14partition_implILS5_5ELb0ES3_mN6thrust23THRUST_200600_302600_NS6detail15normal_iteratorINSA_10device_ptrIiEEEEPS6_NSA_18transform_iteratorINSB_9not_fun_tI7is_trueIiEEENSC_INSD_IbEEEENSA_11use_defaultESO_EENS0_5tupleIJNSA_16discard_iteratorISO_EES6_EEENSQ_IJSG_SG_EEES6_PlJS6_EEE10hipError_tPvRmT3_T4_T5_T6_T7_T9_mT8_P12ihipStream_tbDpT10_ENKUlT_T0_E_clISt17integral_constantIbLb1EES1F_EEDaS1A_S1B_EUlS1A_E_NS1_11comp_targetILNS1_3genE10ELNS1_11target_archE1200ELNS1_3gpuE4ELNS1_3repE0EEENS1_30default_config_static_selectorELNS0_4arch9wavefront6targetE0EEEvT1_.num_named_barrier, 0
	.set _ZN7rocprim17ROCPRIM_400000_NS6detail17trampoline_kernelINS0_14default_configENS1_25partition_config_selectorILNS1_17partition_subalgoE5EiNS0_10empty_typeEbEEZZNS1_14partition_implILS5_5ELb0ES3_mN6thrust23THRUST_200600_302600_NS6detail15normal_iteratorINSA_10device_ptrIiEEEEPS6_NSA_18transform_iteratorINSB_9not_fun_tI7is_trueIiEEENSC_INSD_IbEEEENSA_11use_defaultESO_EENS0_5tupleIJNSA_16discard_iteratorISO_EES6_EEENSQ_IJSG_SG_EEES6_PlJS6_EEE10hipError_tPvRmT3_T4_T5_T6_T7_T9_mT8_P12ihipStream_tbDpT10_ENKUlT_T0_E_clISt17integral_constantIbLb1EES1F_EEDaS1A_S1B_EUlS1A_E_NS1_11comp_targetILNS1_3genE10ELNS1_11target_archE1200ELNS1_3gpuE4ELNS1_3repE0EEENS1_30default_config_static_selectorELNS0_4arch9wavefront6targetE0EEEvT1_.private_seg_size, 0
	.set _ZN7rocprim17ROCPRIM_400000_NS6detail17trampoline_kernelINS0_14default_configENS1_25partition_config_selectorILNS1_17partition_subalgoE5EiNS0_10empty_typeEbEEZZNS1_14partition_implILS5_5ELb0ES3_mN6thrust23THRUST_200600_302600_NS6detail15normal_iteratorINSA_10device_ptrIiEEEEPS6_NSA_18transform_iteratorINSB_9not_fun_tI7is_trueIiEEENSC_INSD_IbEEEENSA_11use_defaultESO_EENS0_5tupleIJNSA_16discard_iteratorISO_EES6_EEENSQ_IJSG_SG_EEES6_PlJS6_EEE10hipError_tPvRmT3_T4_T5_T6_T7_T9_mT8_P12ihipStream_tbDpT10_ENKUlT_T0_E_clISt17integral_constantIbLb1EES1F_EEDaS1A_S1B_EUlS1A_E_NS1_11comp_targetILNS1_3genE10ELNS1_11target_archE1200ELNS1_3gpuE4ELNS1_3repE0EEENS1_30default_config_static_selectorELNS0_4arch9wavefront6targetE0EEEvT1_.uses_vcc, 0
	.set _ZN7rocprim17ROCPRIM_400000_NS6detail17trampoline_kernelINS0_14default_configENS1_25partition_config_selectorILNS1_17partition_subalgoE5EiNS0_10empty_typeEbEEZZNS1_14partition_implILS5_5ELb0ES3_mN6thrust23THRUST_200600_302600_NS6detail15normal_iteratorINSA_10device_ptrIiEEEEPS6_NSA_18transform_iteratorINSB_9not_fun_tI7is_trueIiEEENSC_INSD_IbEEEENSA_11use_defaultESO_EENS0_5tupleIJNSA_16discard_iteratorISO_EES6_EEENSQ_IJSG_SG_EEES6_PlJS6_EEE10hipError_tPvRmT3_T4_T5_T6_T7_T9_mT8_P12ihipStream_tbDpT10_ENKUlT_T0_E_clISt17integral_constantIbLb1EES1F_EEDaS1A_S1B_EUlS1A_E_NS1_11comp_targetILNS1_3genE10ELNS1_11target_archE1200ELNS1_3gpuE4ELNS1_3repE0EEENS1_30default_config_static_selectorELNS0_4arch9wavefront6targetE0EEEvT1_.uses_flat_scratch, 0
	.set _ZN7rocprim17ROCPRIM_400000_NS6detail17trampoline_kernelINS0_14default_configENS1_25partition_config_selectorILNS1_17partition_subalgoE5EiNS0_10empty_typeEbEEZZNS1_14partition_implILS5_5ELb0ES3_mN6thrust23THRUST_200600_302600_NS6detail15normal_iteratorINSA_10device_ptrIiEEEEPS6_NSA_18transform_iteratorINSB_9not_fun_tI7is_trueIiEEENSC_INSD_IbEEEENSA_11use_defaultESO_EENS0_5tupleIJNSA_16discard_iteratorISO_EES6_EEENSQ_IJSG_SG_EEES6_PlJS6_EEE10hipError_tPvRmT3_T4_T5_T6_T7_T9_mT8_P12ihipStream_tbDpT10_ENKUlT_T0_E_clISt17integral_constantIbLb1EES1F_EEDaS1A_S1B_EUlS1A_E_NS1_11comp_targetILNS1_3genE10ELNS1_11target_archE1200ELNS1_3gpuE4ELNS1_3repE0EEENS1_30default_config_static_selectorELNS0_4arch9wavefront6targetE0EEEvT1_.has_dyn_sized_stack, 0
	.set _ZN7rocprim17ROCPRIM_400000_NS6detail17trampoline_kernelINS0_14default_configENS1_25partition_config_selectorILNS1_17partition_subalgoE5EiNS0_10empty_typeEbEEZZNS1_14partition_implILS5_5ELb0ES3_mN6thrust23THRUST_200600_302600_NS6detail15normal_iteratorINSA_10device_ptrIiEEEEPS6_NSA_18transform_iteratorINSB_9not_fun_tI7is_trueIiEEENSC_INSD_IbEEEENSA_11use_defaultESO_EENS0_5tupleIJNSA_16discard_iteratorISO_EES6_EEENSQ_IJSG_SG_EEES6_PlJS6_EEE10hipError_tPvRmT3_T4_T5_T6_T7_T9_mT8_P12ihipStream_tbDpT10_ENKUlT_T0_E_clISt17integral_constantIbLb1EES1F_EEDaS1A_S1B_EUlS1A_E_NS1_11comp_targetILNS1_3genE10ELNS1_11target_archE1200ELNS1_3gpuE4ELNS1_3repE0EEENS1_30default_config_static_selectorELNS0_4arch9wavefront6targetE0EEEvT1_.has_recursion, 0
	.set _ZN7rocprim17ROCPRIM_400000_NS6detail17trampoline_kernelINS0_14default_configENS1_25partition_config_selectorILNS1_17partition_subalgoE5EiNS0_10empty_typeEbEEZZNS1_14partition_implILS5_5ELb0ES3_mN6thrust23THRUST_200600_302600_NS6detail15normal_iteratorINSA_10device_ptrIiEEEEPS6_NSA_18transform_iteratorINSB_9not_fun_tI7is_trueIiEEENSC_INSD_IbEEEENSA_11use_defaultESO_EENS0_5tupleIJNSA_16discard_iteratorISO_EES6_EEENSQ_IJSG_SG_EEES6_PlJS6_EEE10hipError_tPvRmT3_T4_T5_T6_T7_T9_mT8_P12ihipStream_tbDpT10_ENKUlT_T0_E_clISt17integral_constantIbLb1EES1F_EEDaS1A_S1B_EUlS1A_E_NS1_11comp_targetILNS1_3genE10ELNS1_11target_archE1200ELNS1_3gpuE4ELNS1_3repE0EEENS1_30default_config_static_selectorELNS0_4arch9wavefront6targetE0EEEvT1_.has_indirect_call, 0
	.section	.AMDGPU.csdata,"",@progbits
; Kernel info:
; codeLenInByte = 4
; TotalNumSgprs: 0
; NumVgprs: 0
; ScratchSize: 0
; MemoryBound: 0
; FloatMode: 240
; IeeeMode: 1
; LDSByteSize: 0 bytes/workgroup (compile time only)
; SGPRBlocks: 0
; VGPRBlocks: 0
; NumSGPRsForWavesPerEU: 1
; NumVGPRsForWavesPerEU: 1
; Occupancy: 16
; WaveLimiterHint : 0
; COMPUTE_PGM_RSRC2:SCRATCH_EN: 0
; COMPUTE_PGM_RSRC2:USER_SGPR: 2
; COMPUTE_PGM_RSRC2:TRAP_HANDLER: 0
; COMPUTE_PGM_RSRC2:TGID_X_EN: 1
; COMPUTE_PGM_RSRC2:TGID_Y_EN: 0
; COMPUTE_PGM_RSRC2:TGID_Z_EN: 0
; COMPUTE_PGM_RSRC2:TIDIG_COMP_CNT: 0
	.section	.text._ZN7rocprim17ROCPRIM_400000_NS6detail17trampoline_kernelINS0_14default_configENS1_25partition_config_selectorILNS1_17partition_subalgoE5EiNS0_10empty_typeEbEEZZNS1_14partition_implILS5_5ELb0ES3_mN6thrust23THRUST_200600_302600_NS6detail15normal_iteratorINSA_10device_ptrIiEEEEPS6_NSA_18transform_iteratorINSB_9not_fun_tI7is_trueIiEEENSC_INSD_IbEEEENSA_11use_defaultESO_EENS0_5tupleIJNSA_16discard_iteratorISO_EES6_EEENSQ_IJSG_SG_EEES6_PlJS6_EEE10hipError_tPvRmT3_T4_T5_T6_T7_T9_mT8_P12ihipStream_tbDpT10_ENKUlT_T0_E_clISt17integral_constantIbLb1EES1F_EEDaS1A_S1B_EUlS1A_E_NS1_11comp_targetILNS1_3genE9ELNS1_11target_archE1100ELNS1_3gpuE3ELNS1_3repE0EEENS1_30default_config_static_selectorELNS0_4arch9wavefront6targetE0EEEvT1_,"axG",@progbits,_ZN7rocprim17ROCPRIM_400000_NS6detail17trampoline_kernelINS0_14default_configENS1_25partition_config_selectorILNS1_17partition_subalgoE5EiNS0_10empty_typeEbEEZZNS1_14partition_implILS5_5ELb0ES3_mN6thrust23THRUST_200600_302600_NS6detail15normal_iteratorINSA_10device_ptrIiEEEEPS6_NSA_18transform_iteratorINSB_9not_fun_tI7is_trueIiEEENSC_INSD_IbEEEENSA_11use_defaultESO_EENS0_5tupleIJNSA_16discard_iteratorISO_EES6_EEENSQ_IJSG_SG_EEES6_PlJS6_EEE10hipError_tPvRmT3_T4_T5_T6_T7_T9_mT8_P12ihipStream_tbDpT10_ENKUlT_T0_E_clISt17integral_constantIbLb1EES1F_EEDaS1A_S1B_EUlS1A_E_NS1_11comp_targetILNS1_3genE9ELNS1_11target_archE1100ELNS1_3gpuE3ELNS1_3repE0EEENS1_30default_config_static_selectorELNS0_4arch9wavefront6targetE0EEEvT1_,comdat
	.protected	_ZN7rocprim17ROCPRIM_400000_NS6detail17trampoline_kernelINS0_14default_configENS1_25partition_config_selectorILNS1_17partition_subalgoE5EiNS0_10empty_typeEbEEZZNS1_14partition_implILS5_5ELb0ES3_mN6thrust23THRUST_200600_302600_NS6detail15normal_iteratorINSA_10device_ptrIiEEEEPS6_NSA_18transform_iteratorINSB_9not_fun_tI7is_trueIiEEENSC_INSD_IbEEEENSA_11use_defaultESO_EENS0_5tupleIJNSA_16discard_iteratorISO_EES6_EEENSQ_IJSG_SG_EEES6_PlJS6_EEE10hipError_tPvRmT3_T4_T5_T6_T7_T9_mT8_P12ihipStream_tbDpT10_ENKUlT_T0_E_clISt17integral_constantIbLb1EES1F_EEDaS1A_S1B_EUlS1A_E_NS1_11comp_targetILNS1_3genE9ELNS1_11target_archE1100ELNS1_3gpuE3ELNS1_3repE0EEENS1_30default_config_static_selectorELNS0_4arch9wavefront6targetE0EEEvT1_ ; -- Begin function _ZN7rocprim17ROCPRIM_400000_NS6detail17trampoline_kernelINS0_14default_configENS1_25partition_config_selectorILNS1_17partition_subalgoE5EiNS0_10empty_typeEbEEZZNS1_14partition_implILS5_5ELb0ES3_mN6thrust23THRUST_200600_302600_NS6detail15normal_iteratorINSA_10device_ptrIiEEEEPS6_NSA_18transform_iteratorINSB_9not_fun_tI7is_trueIiEEENSC_INSD_IbEEEENSA_11use_defaultESO_EENS0_5tupleIJNSA_16discard_iteratorISO_EES6_EEENSQ_IJSG_SG_EEES6_PlJS6_EEE10hipError_tPvRmT3_T4_T5_T6_T7_T9_mT8_P12ihipStream_tbDpT10_ENKUlT_T0_E_clISt17integral_constantIbLb1EES1F_EEDaS1A_S1B_EUlS1A_E_NS1_11comp_targetILNS1_3genE9ELNS1_11target_archE1100ELNS1_3gpuE3ELNS1_3repE0EEENS1_30default_config_static_selectorELNS0_4arch9wavefront6targetE0EEEvT1_
	.globl	_ZN7rocprim17ROCPRIM_400000_NS6detail17trampoline_kernelINS0_14default_configENS1_25partition_config_selectorILNS1_17partition_subalgoE5EiNS0_10empty_typeEbEEZZNS1_14partition_implILS5_5ELb0ES3_mN6thrust23THRUST_200600_302600_NS6detail15normal_iteratorINSA_10device_ptrIiEEEEPS6_NSA_18transform_iteratorINSB_9not_fun_tI7is_trueIiEEENSC_INSD_IbEEEENSA_11use_defaultESO_EENS0_5tupleIJNSA_16discard_iteratorISO_EES6_EEENSQ_IJSG_SG_EEES6_PlJS6_EEE10hipError_tPvRmT3_T4_T5_T6_T7_T9_mT8_P12ihipStream_tbDpT10_ENKUlT_T0_E_clISt17integral_constantIbLb1EES1F_EEDaS1A_S1B_EUlS1A_E_NS1_11comp_targetILNS1_3genE9ELNS1_11target_archE1100ELNS1_3gpuE3ELNS1_3repE0EEENS1_30default_config_static_selectorELNS0_4arch9wavefront6targetE0EEEvT1_
	.p2align	8
	.type	_ZN7rocprim17ROCPRIM_400000_NS6detail17trampoline_kernelINS0_14default_configENS1_25partition_config_selectorILNS1_17partition_subalgoE5EiNS0_10empty_typeEbEEZZNS1_14partition_implILS5_5ELb0ES3_mN6thrust23THRUST_200600_302600_NS6detail15normal_iteratorINSA_10device_ptrIiEEEEPS6_NSA_18transform_iteratorINSB_9not_fun_tI7is_trueIiEEENSC_INSD_IbEEEENSA_11use_defaultESO_EENS0_5tupleIJNSA_16discard_iteratorISO_EES6_EEENSQ_IJSG_SG_EEES6_PlJS6_EEE10hipError_tPvRmT3_T4_T5_T6_T7_T9_mT8_P12ihipStream_tbDpT10_ENKUlT_T0_E_clISt17integral_constantIbLb1EES1F_EEDaS1A_S1B_EUlS1A_E_NS1_11comp_targetILNS1_3genE9ELNS1_11target_archE1100ELNS1_3gpuE3ELNS1_3repE0EEENS1_30default_config_static_selectorELNS0_4arch9wavefront6targetE0EEEvT1_,@function
_ZN7rocprim17ROCPRIM_400000_NS6detail17trampoline_kernelINS0_14default_configENS1_25partition_config_selectorILNS1_17partition_subalgoE5EiNS0_10empty_typeEbEEZZNS1_14partition_implILS5_5ELb0ES3_mN6thrust23THRUST_200600_302600_NS6detail15normal_iteratorINSA_10device_ptrIiEEEEPS6_NSA_18transform_iteratorINSB_9not_fun_tI7is_trueIiEEENSC_INSD_IbEEEENSA_11use_defaultESO_EENS0_5tupleIJNSA_16discard_iteratorISO_EES6_EEENSQ_IJSG_SG_EEES6_PlJS6_EEE10hipError_tPvRmT3_T4_T5_T6_T7_T9_mT8_P12ihipStream_tbDpT10_ENKUlT_T0_E_clISt17integral_constantIbLb1EES1F_EEDaS1A_S1B_EUlS1A_E_NS1_11comp_targetILNS1_3genE9ELNS1_11target_archE1100ELNS1_3gpuE3ELNS1_3repE0EEENS1_30default_config_static_selectorELNS0_4arch9wavefront6targetE0EEEvT1_: ; @_ZN7rocprim17ROCPRIM_400000_NS6detail17trampoline_kernelINS0_14default_configENS1_25partition_config_selectorILNS1_17partition_subalgoE5EiNS0_10empty_typeEbEEZZNS1_14partition_implILS5_5ELb0ES3_mN6thrust23THRUST_200600_302600_NS6detail15normal_iteratorINSA_10device_ptrIiEEEEPS6_NSA_18transform_iteratorINSB_9not_fun_tI7is_trueIiEEENSC_INSD_IbEEEENSA_11use_defaultESO_EENS0_5tupleIJNSA_16discard_iteratorISO_EES6_EEENSQ_IJSG_SG_EEES6_PlJS6_EEE10hipError_tPvRmT3_T4_T5_T6_T7_T9_mT8_P12ihipStream_tbDpT10_ENKUlT_T0_E_clISt17integral_constantIbLb1EES1F_EEDaS1A_S1B_EUlS1A_E_NS1_11comp_targetILNS1_3genE9ELNS1_11target_archE1100ELNS1_3gpuE3ELNS1_3repE0EEENS1_30default_config_static_selectorELNS0_4arch9wavefront6targetE0EEEvT1_
; %bb.0:
	.section	.rodata,"a",@progbits
	.p2align	6, 0x0
	.amdhsa_kernel _ZN7rocprim17ROCPRIM_400000_NS6detail17trampoline_kernelINS0_14default_configENS1_25partition_config_selectorILNS1_17partition_subalgoE5EiNS0_10empty_typeEbEEZZNS1_14partition_implILS5_5ELb0ES3_mN6thrust23THRUST_200600_302600_NS6detail15normal_iteratorINSA_10device_ptrIiEEEEPS6_NSA_18transform_iteratorINSB_9not_fun_tI7is_trueIiEEENSC_INSD_IbEEEENSA_11use_defaultESO_EENS0_5tupleIJNSA_16discard_iteratorISO_EES6_EEENSQ_IJSG_SG_EEES6_PlJS6_EEE10hipError_tPvRmT3_T4_T5_T6_T7_T9_mT8_P12ihipStream_tbDpT10_ENKUlT_T0_E_clISt17integral_constantIbLb1EES1F_EEDaS1A_S1B_EUlS1A_E_NS1_11comp_targetILNS1_3genE9ELNS1_11target_archE1100ELNS1_3gpuE3ELNS1_3repE0EEENS1_30default_config_static_selectorELNS0_4arch9wavefront6targetE0EEEvT1_
		.amdhsa_group_segment_fixed_size 0
		.amdhsa_private_segment_fixed_size 0
		.amdhsa_kernarg_size 144
		.amdhsa_user_sgpr_count 2
		.amdhsa_user_sgpr_dispatch_ptr 0
		.amdhsa_user_sgpr_queue_ptr 0
		.amdhsa_user_sgpr_kernarg_segment_ptr 1
		.amdhsa_user_sgpr_dispatch_id 0
		.amdhsa_user_sgpr_private_segment_size 0
		.amdhsa_wavefront_size32 1
		.amdhsa_uses_dynamic_stack 0
		.amdhsa_enable_private_segment 0
		.amdhsa_system_sgpr_workgroup_id_x 1
		.amdhsa_system_sgpr_workgroup_id_y 0
		.amdhsa_system_sgpr_workgroup_id_z 0
		.amdhsa_system_sgpr_workgroup_info 0
		.amdhsa_system_vgpr_workitem_id 0
		.amdhsa_next_free_vgpr 1
		.amdhsa_next_free_sgpr 1
		.amdhsa_reserve_vcc 0
		.amdhsa_float_round_mode_32 0
		.amdhsa_float_round_mode_16_64 0
		.amdhsa_float_denorm_mode_32 3
		.amdhsa_float_denorm_mode_16_64 3
		.amdhsa_fp16_overflow 0
		.amdhsa_workgroup_processor_mode 1
		.amdhsa_memory_ordered 1
		.amdhsa_forward_progress 1
		.amdhsa_inst_pref_size 0
		.amdhsa_round_robin_scheduling 0
		.amdhsa_exception_fp_ieee_invalid_op 0
		.amdhsa_exception_fp_denorm_src 0
		.amdhsa_exception_fp_ieee_div_zero 0
		.amdhsa_exception_fp_ieee_overflow 0
		.amdhsa_exception_fp_ieee_underflow 0
		.amdhsa_exception_fp_ieee_inexact 0
		.amdhsa_exception_int_div_zero 0
	.end_amdhsa_kernel
	.section	.text._ZN7rocprim17ROCPRIM_400000_NS6detail17trampoline_kernelINS0_14default_configENS1_25partition_config_selectorILNS1_17partition_subalgoE5EiNS0_10empty_typeEbEEZZNS1_14partition_implILS5_5ELb0ES3_mN6thrust23THRUST_200600_302600_NS6detail15normal_iteratorINSA_10device_ptrIiEEEEPS6_NSA_18transform_iteratorINSB_9not_fun_tI7is_trueIiEEENSC_INSD_IbEEEENSA_11use_defaultESO_EENS0_5tupleIJNSA_16discard_iteratorISO_EES6_EEENSQ_IJSG_SG_EEES6_PlJS6_EEE10hipError_tPvRmT3_T4_T5_T6_T7_T9_mT8_P12ihipStream_tbDpT10_ENKUlT_T0_E_clISt17integral_constantIbLb1EES1F_EEDaS1A_S1B_EUlS1A_E_NS1_11comp_targetILNS1_3genE9ELNS1_11target_archE1100ELNS1_3gpuE3ELNS1_3repE0EEENS1_30default_config_static_selectorELNS0_4arch9wavefront6targetE0EEEvT1_,"axG",@progbits,_ZN7rocprim17ROCPRIM_400000_NS6detail17trampoline_kernelINS0_14default_configENS1_25partition_config_selectorILNS1_17partition_subalgoE5EiNS0_10empty_typeEbEEZZNS1_14partition_implILS5_5ELb0ES3_mN6thrust23THRUST_200600_302600_NS6detail15normal_iteratorINSA_10device_ptrIiEEEEPS6_NSA_18transform_iteratorINSB_9not_fun_tI7is_trueIiEEENSC_INSD_IbEEEENSA_11use_defaultESO_EENS0_5tupleIJNSA_16discard_iteratorISO_EES6_EEENSQ_IJSG_SG_EEES6_PlJS6_EEE10hipError_tPvRmT3_T4_T5_T6_T7_T9_mT8_P12ihipStream_tbDpT10_ENKUlT_T0_E_clISt17integral_constantIbLb1EES1F_EEDaS1A_S1B_EUlS1A_E_NS1_11comp_targetILNS1_3genE9ELNS1_11target_archE1100ELNS1_3gpuE3ELNS1_3repE0EEENS1_30default_config_static_selectorELNS0_4arch9wavefront6targetE0EEEvT1_,comdat
.Lfunc_end2795:
	.size	_ZN7rocprim17ROCPRIM_400000_NS6detail17trampoline_kernelINS0_14default_configENS1_25partition_config_selectorILNS1_17partition_subalgoE5EiNS0_10empty_typeEbEEZZNS1_14partition_implILS5_5ELb0ES3_mN6thrust23THRUST_200600_302600_NS6detail15normal_iteratorINSA_10device_ptrIiEEEEPS6_NSA_18transform_iteratorINSB_9not_fun_tI7is_trueIiEEENSC_INSD_IbEEEENSA_11use_defaultESO_EENS0_5tupleIJNSA_16discard_iteratorISO_EES6_EEENSQ_IJSG_SG_EEES6_PlJS6_EEE10hipError_tPvRmT3_T4_T5_T6_T7_T9_mT8_P12ihipStream_tbDpT10_ENKUlT_T0_E_clISt17integral_constantIbLb1EES1F_EEDaS1A_S1B_EUlS1A_E_NS1_11comp_targetILNS1_3genE9ELNS1_11target_archE1100ELNS1_3gpuE3ELNS1_3repE0EEENS1_30default_config_static_selectorELNS0_4arch9wavefront6targetE0EEEvT1_, .Lfunc_end2795-_ZN7rocprim17ROCPRIM_400000_NS6detail17trampoline_kernelINS0_14default_configENS1_25partition_config_selectorILNS1_17partition_subalgoE5EiNS0_10empty_typeEbEEZZNS1_14partition_implILS5_5ELb0ES3_mN6thrust23THRUST_200600_302600_NS6detail15normal_iteratorINSA_10device_ptrIiEEEEPS6_NSA_18transform_iteratorINSB_9not_fun_tI7is_trueIiEEENSC_INSD_IbEEEENSA_11use_defaultESO_EENS0_5tupleIJNSA_16discard_iteratorISO_EES6_EEENSQ_IJSG_SG_EEES6_PlJS6_EEE10hipError_tPvRmT3_T4_T5_T6_T7_T9_mT8_P12ihipStream_tbDpT10_ENKUlT_T0_E_clISt17integral_constantIbLb1EES1F_EEDaS1A_S1B_EUlS1A_E_NS1_11comp_targetILNS1_3genE9ELNS1_11target_archE1100ELNS1_3gpuE3ELNS1_3repE0EEENS1_30default_config_static_selectorELNS0_4arch9wavefront6targetE0EEEvT1_
                                        ; -- End function
	.set _ZN7rocprim17ROCPRIM_400000_NS6detail17trampoline_kernelINS0_14default_configENS1_25partition_config_selectorILNS1_17partition_subalgoE5EiNS0_10empty_typeEbEEZZNS1_14partition_implILS5_5ELb0ES3_mN6thrust23THRUST_200600_302600_NS6detail15normal_iteratorINSA_10device_ptrIiEEEEPS6_NSA_18transform_iteratorINSB_9not_fun_tI7is_trueIiEEENSC_INSD_IbEEEENSA_11use_defaultESO_EENS0_5tupleIJNSA_16discard_iteratorISO_EES6_EEENSQ_IJSG_SG_EEES6_PlJS6_EEE10hipError_tPvRmT3_T4_T5_T6_T7_T9_mT8_P12ihipStream_tbDpT10_ENKUlT_T0_E_clISt17integral_constantIbLb1EES1F_EEDaS1A_S1B_EUlS1A_E_NS1_11comp_targetILNS1_3genE9ELNS1_11target_archE1100ELNS1_3gpuE3ELNS1_3repE0EEENS1_30default_config_static_selectorELNS0_4arch9wavefront6targetE0EEEvT1_.num_vgpr, 0
	.set _ZN7rocprim17ROCPRIM_400000_NS6detail17trampoline_kernelINS0_14default_configENS1_25partition_config_selectorILNS1_17partition_subalgoE5EiNS0_10empty_typeEbEEZZNS1_14partition_implILS5_5ELb0ES3_mN6thrust23THRUST_200600_302600_NS6detail15normal_iteratorINSA_10device_ptrIiEEEEPS6_NSA_18transform_iteratorINSB_9not_fun_tI7is_trueIiEEENSC_INSD_IbEEEENSA_11use_defaultESO_EENS0_5tupleIJNSA_16discard_iteratorISO_EES6_EEENSQ_IJSG_SG_EEES6_PlJS6_EEE10hipError_tPvRmT3_T4_T5_T6_T7_T9_mT8_P12ihipStream_tbDpT10_ENKUlT_T0_E_clISt17integral_constantIbLb1EES1F_EEDaS1A_S1B_EUlS1A_E_NS1_11comp_targetILNS1_3genE9ELNS1_11target_archE1100ELNS1_3gpuE3ELNS1_3repE0EEENS1_30default_config_static_selectorELNS0_4arch9wavefront6targetE0EEEvT1_.num_agpr, 0
	.set _ZN7rocprim17ROCPRIM_400000_NS6detail17trampoline_kernelINS0_14default_configENS1_25partition_config_selectorILNS1_17partition_subalgoE5EiNS0_10empty_typeEbEEZZNS1_14partition_implILS5_5ELb0ES3_mN6thrust23THRUST_200600_302600_NS6detail15normal_iteratorINSA_10device_ptrIiEEEEPS6_NSA_18transform_iteratorINSB_9not_fun_tI7is_trueIiEEENSC_INSD_IbEEEENSA_11use_defaultESO_EENS0_5tupleIJNSA_16discard_iteratorISO_EES6_EEENSQ_IJSG_SG_EEES6_PlJS6_EEE10hipError_tPvRmT3_T4_T5_T6_T7_T9_mT8_P12ihipStream_tbDpT10_ENKUlT_T0_E_clISt17integral_constantIbLb1EES1F_EEDaS1A_S1B_EUlS1A_E_NS1_11comp_targetILNS1_3genE9ELNS1_11target_archE1100ELNS1_3gpuE3ELNS1_3repE0EEENS1_30default_config_static_selectorELNS0_4arch9wavefront6targetE0EEEvT1_.numbered_sgpr, 0
	.set _ZN7rocprim17ROCPRIM_400000_NS6detail17trampoline_kernelINS0_14default_configENS1_25partition_config_selectorILNS1_17partition_subalgoE5EiNS0_10empty_typeEbEEZZNS1_14partition_implILS5_5ELb0ES3_mN6thrust23THRUST_200600_302600_NS6detail15normal_iteratorINSA_10device_ptrIiEEEEPS6_NSA_18transform_iteratorINSB_9not_fun_tI7is_trueIiEEENSC_INSD_IbEEEENSA_11use_defaultESO_EENS0_5tupleIJNSA_16discard_iteratorISO_EES6_EEENSQ_IJSG_SG_EEES6_PlJS6_EEE10hipError_tPvRmT3_T4_T5_T6_T7_T9_mT8_P12ihipStream_tbDpT10_ENKUlT_T0_E_clISt17integral_constantIbLb1EES1F_EEDaS1A_S1B_EUlS1A_E_NS1_11comp_targetILNS1_3genE9ELNS1_11target_archE1100ELNS1_3gpuE3ELNS1_3repE0EEENS1_30default_config_static_selectorELNS0_4arch9wavefront6targetE0EEEvT1_.num_named_barrier, 0
	.set _ZN7rocprim17ROCPRIM_400000_NS6detail17trampoline_kernelINS0_14default_configENS1_25partition_config_selectorILNS1_17partition_subalgoE5EiNS0_10empty_typeEbEEZZNS1_14partition_implILS5_5ELb0ES3_mN6thrust23THRUST_200600_302600_NS6detail15normal_iteratorINSA_10device_ptrIiEEEEPS6_NSA_18transform_iteratorINSB_9not_fun_tI7is_trueIiEEENSC_INSD_IbEEEENSA_11use_defaultESO_EENS0_5tupleIJNSA_16discard_iteratorISO_EES6_EEENSQ_IJSG_SG_EEES6_PlJS6_EEE10hipError_tPvRmT3_T4_T5_T6_T7_T9_mT8_P12ihipStream_tbDpT10_ENKUlT_T0_E_clISt17integral_constantIbLb1EES1F_EEDaS1A_S1B_EUlS1A_E_NS1_11comp_targetILNS1_3genE9ELNS1_11target_archE1100ELNS1_3gpuE3ELNS1_3repE0EEENS1_30default_config_static_selectorELNS0_4arch9wavefront6targetE0EEEvT1_.private_seg_size, 0
	.set _ZN7rocprim17ROCPRIM_400000_NS6detail17trampoline_kernelINS0_14default_configENS1_25partition_config_selectorILNS1_17partition_subalgoE5EiNS0_10empty_typeEbEEZZNS1_14partition_implILS5_5ELb0ES3_mN6thrust23THRUST_200600_302600_NS6detail15normal_iteratorINSA_10device_ptrIiEEEEPS6_NSA_18transform_iteratorINSB_9not_fun_tI7is_trueIiEEENSC_INSD_IbEEEENSA_11use_defaultESO_EENS0_5tupleIJNSA_16discard_iteratorISO_EES6_EEENSQ_IJSG_SG_EEES6_PlJS6_EEE10hipError_tPvRmT3_T4_T5_T6_T7_T9_mT8_P12ihipStream_tbDpT10_ENKUlT_T0_E_clISt17integral_constantIbLb1EES1F_EEDaS1A_S1B_EUlS1A_E_NS1_11comp_targetILNS1_3genE9ELNS1_11target_archE1100ELNS1_3gpuE3ELNS1_3repE0EEENS1_30default_config_static_selectorELNS0_4arch9wavefront6targetE0EEEvT1_.uses_vcc, 0
	.set _ZN7rocprim17ROCPRIM_400000_NS6detail17trampoline_kernelINS0_14default_configENS1_25partition_config_selectorILNS1_17partition_subalgoE5EiNS0_10empty_typeEbEEZZNS1_14partition_implILS5_5ELb0ES3_mN6thrust23THRUST_200600_302600_NS6detail15normal_iteratorINSA_10device_ptrIiEEEEPS6_NSA_18transform_iteratorINSB_9not_fun_tI7is_trueIiEEENSC_INSD_IbEEEENSA_11use_defaultESO_EENS0_5tupleIJNSA_16discard_iteratorISO_EES6_EEENSQ_IJSG_SG_EEES6_PlJS6_EEE10hipError_tPvRmT3_T4_T5_T6_T7_T9_mT8_P12ihipStream_tbDpT10_ENKUlT_T0_E_clISt17integral_constantIbLb1EES1F_EEDaS1A_S1B_EUlS1A_E_NS1_11comp_targetILNS1_3genE9ELNS1_11target_archE1100ELNS1_3gpuE3ELNS1_3repE0EEENS1_30default_config_static_selectorELNS0_4arch9wavefront6targetE0EEEvT1_.uses_flat_scratch, 0
	.set _ZN7rocprim17ROCPRIM_400000_NS6detail17trampoline_kernelINS0_14default_configENS1_25partition_config_selectorILNS1_17partition_subalgoE5EiNS0_10empty_typeEbEEZZNS1_14partition_implILS5_5ELb0ES3_mN6thrust23THRUST_200600_302600_NS6detail15normal_iteratorINSA_10device_ptrIiEEEEPS6_NSA_18transform_iteratorINSB_9not_fun_tI7is_trueIiEEENSC_INSD_IbEEEENSA_11use_defaultESO_EENS0_5tupleIJNSA_16discard_iteratorISO_EES6_EEENSQ_IJSG_SG_EEES6_PlJS6_EEE10hipError_tPvRmT3_T4_T5_T6_T7_T9_mT8_P12ihipStream_tbDpT10_ENKUlT_T0_E_clISt17integral_constantIbLb1EES1F_EEDaS1A_S1B_EUlS1A_E_NS1_11comp_targetILNS1_3genE9ELNS1_11target_archE1100ELNS1_3gpuE3ELNS1_3repE0EEENS1_30default_config_static_selectorELNS0_4arch9wavefront6targetE0EEEvT1_.has_dyn_sized_stack, 0
	.set _ZN7rocprim17ROCPRIM_400000_NS6detail17trampoline_kernelINS0_14default_configENS1_25partition_config_selectorILNS1_17partition_subalgoE5EiNS0_10empty_typeEbEEZZNS1_14partition_implILS5_5ELb0ES3_mN6thrust23THRUST_200600_302600_NS6detail15normal_iteratorINSA_10device_ptrIiEEEEPS6_NSA_18transform_iteratorINSB_9not_fun_tI7is_trueIiEEENSC_INSD_IbEEEENSA_11use_defaultESO_EENS0_5tupleIJNSA_16discard_iteratorISO_EES6_EEENSQ_IJSG_SG_EEES6_PlJS6_EEE10hipError_tPvRmT3_T4_T5_T6_T7_T9_mT8_P12ihipStream_tbDpT10_ENKUlT_T0_E_clISt17integral_constantIbLb1EES1F_EEDaS1A_S1B_EUlS1A_E_NS1_11comp_targetILNS1_3genE9ELNS1_11target_archE1100ELNS1_3gpuE3ELNS1_3repE0EEENS1_30default_config_static_selectorELNS0_4arch9wavefront6targetE0EEEvT1_.has_recursion, 0
	.set _ZN7rocprim17ROCPRIM_400000_NS6detail17trampoline_kernelINS0_14default_configENS1_25partition_config_selectorILNS1_17partition_subalgoE5EiNS0_10empty_typeEbEEZZNS1_14partition_implILS5_5ELb0ES3_mN6thrust23THRUST_200600_302600_NS6detail15normal_iteratorINSA_10device_ptrIiEEEEPS6_NSA_18transform_iteratorINSB_9not_fun_tI7is_trueIiEEENSC_INSD_IbEEEENSA_11use_defaultESO_EENS0_5tupleIJNSA_16discard_iteratorISO_EES6_EEENSQ_IJSG_SG_EEES6_PlJS6_EEE10hipError_tPvRmT3_T4_T5_T6_T7_T9_mT8_P12ihipStream_tbDpT10_ENKUlT_T0_E_clISt17integral_constantIbLb1EES1F_EEDaS1A_S1B_EUlS1A_E_NS1_11comp_targetILNS1_3genE9ELNS1_11target_archE1100ELNS1_3gpuE3ELNS1_3repE0EEENS1_30default_config_static_selectorELNS0_4arch9wavefront6targetE0EEEvT1_.has_indirect_call, 0
	.section	.AMDGPU.csdata,"",@progbits
; Kernel info:
; codeLenInByte = 0
; TotalNumSgprs: 0
; NumVgprs: 0
; ScratchSize: 0
; MemoryBound: 0
; FloatMode: 240
; IeeeMode: 1
; LDSByteSize: 0 bytes/workgroup (compile time only)
; SGPRBlocks: 0
; VGPRBlocks: 0
; NumSGPRsForWavesPerEU: 1
; NumVGPRsForWavesPerEU: 1
; Occupancy: 16
; WaveLimiterHint : 0
; COMPUTE_PGM_RSRC2:SCRATCH_EN: 0
; COMPUTE_PGM_RSRC2:USER_SGPR: 2
; COMPUTE_PGM_RSRC2:TRAP_HANDLER: 0
; COMPUTE_PGM_RSRC2:TGID_X_EN: 1
; COMPUTE_PGM_RSRC2:TGID_Y_EN: 0
; COMPUTE_PGM_RSRC2:TGID_Z_EN: 0
; COMPUTE_PGM_RSRC2:TIDIG_COMP_CNT: 0
	.section	.text._ZN7rocprim17ROCPRIM_400000_NS6detail17trampoline_kernelINS0_14default_configENS1_25partition_config_selectorILNS1_17partition_subalgoE5EiNS0_10empty_typeEbEEZZNS1_14partition_implILS5_5ELb0ES3_mN6thrust23THRUST_200600_302600_NS6detail15normal_iteratorINSA_10device_ptrIiEEEEPS6_NSA_18transform_iteratorINSB_9not_fun_tI7is_trueIiEEENSC_INSD_IbEEEENSA_11use_defaultESO_EENS0_5tupleIJNSA_16discard_iteratorISO_EES6_EEENSQ_IJSG_SG_EEES6_PlJS6_EEE10hipError_tPvRmT3_T4_T5_T6_T7_T9_mT8_P12ihipStream_tbDpT10_ENKUlT_T0_E_clISt17integral_constantIbLb1EES1F_EEDaS1A_S1B_EUlS1A_E_NS1_11comp_targetILNS1_3genE8ELNS1_11target_archE1030ELNS1_3gpuE2ELNS1_3repE0EEENS1_30default_config_static_selectorELNS0_4arch9wavefront6targetE0EEEvT1_,"axG",@progbits,_ZN7rocprim17ROCPRIM_400000_NS6detail17trampoline_kernelINS0_14default_configENS1_25partition_config_selectorILNS1_17partition_subalgoE5EiNS0_10empty_typeEbEEZZNS1_14partition_implILS5_5ELb0ES3_mN6thrust23THRUST_200600_302600_NS6detail15normal_iteratorINSA_10device_ptrIiEEEEPS6_NSA_18transform_iteratorINSB_9not_fun_tI7is_trueIiEEENSC_INSD_IbEEEENSA_11use_defaultESO_EENS0_5tupleIJNSA_16discard_iteratorISO_EES6_EEENSQ_IJSG_SG_EEES6_PlJS6_EEE10hipError_tPvRmT3_T4_T5_T6_T7_T9_mT8_P12ihipStream_tbDpT10_ENKUlT_T0_E_clISt17integral_constantIbLb1EES1F_EEDaS1A_S1B_EUlS1A_E_NS1_11comp_targetILNS1_3genE8ELNS1_11target_archE1030ELNS1_3gpuE2ELNS1_3repE0EEENS1_30default_config_static_selectorELNS0_4arch9wavefront6targetE0EEEvT1_,comdat
	.protected	_ZN7rocprim17ROCPRIM_400000_NS6detail17trampoline_kernelINS0_14default_configENS1_25partition_config_selectorILNS1_17partition_subalgoE5EiNS0_10empty_typeEbEEZZNS1_14partition_implILS5_5ELb0ES3_mN6thrust23THRUST_200600_302600_NS6detail15normal_iteratorINSA_10device_ptrIiEEEEPS6_NSA_18transform_iteratorINSB_9not_fun_tI7is_trueIiEEENSC_INSD_IbEEEENSA_11use_defaultESO_EENS0_5tupleIJNSA_16discard_iteratorISO_EES6_EEENSQ_IJSG_SG_EEES6_PlJS6_EEE10hipError_tPvRmT3_T4_T5_T6_T7_T9_mT8_P12ihipStream_tbDpT10_ENKUlT_T0_E_clISt17integral_constantIbLb1EES1F_EEDaS1A_S1B_EUlS1A_E_NS1_11comp_targetILNS1_3genE8ELNS1_11target_archE1030ELNS1_3gpuE2ELNS1_3repE0EEENS1_30default_config_static_selectorELNS0_4arch9wavefront6targetE0EEEvT1_ ; -- Begin function _ZN7rocprim17ROCPRIM_400000_NS6detail17trampoline_kernelINS0_14default_configENS1_25partition_config_selectorILNS1_17partition_subalgoE5EiNS0_10empty_typeEbEEZZNS1_14partition_implILS5_5ELb0ES3_mN6thrust23THRUST_200600_302600_NS6detail15normal_iteratorINSA_10device_ptrIiEEEEPS6_NSA_18transform_iteratorINSB_9not_fun_tI7is_trueIiEEENSC_INSD_IbEEEENSA_11use_defaultESO_EENS0_5tupleIJNSA_16discard_iteratorISO_EES6_EEENSQ_IJSG_SG_EEES6_PlJS6_EEE10hipError_tPvRmT3_T4_T5_T6_T7_T9_mT8_P12ihipStream_tbDpT10_ENKUlT_T0_E_clISt17integral_constantIbLb1EES1F_EEDaS1A_S1B_EUlS1A_E_NS1_11comp_targetILNS1_3genE8ELNS1_11target_archE1030ELNS1_3gpuE2ELNS1_3repE0EEENS1_30default_config_static_selectorELNS0_4arch9wavefront6targetE0EEEvT1_
	.globl	_ZN7rocprim17ROCPRIM_400000_NS6detail17trampoline_kernelINS0_14default_configENS1_25partition_config_selectorILNS1_17partition_subalgoE5EiNS0_10empty_typeEbEEZZNS1_14partition_implILS5_5ELb0ES3_mN6thrust23THRUST_200600_302600_NS6detail15normal_iteratorINSA_10device_ptrIiEEEEPS6_NSA_18transform_iteratorINSB_9not_fun_tI7is_trueIiEEENSC_INSD_IbEEEENSA_11use_defaultESO_EENS0_5tupleIJNSA_16discard_iteratorISO_EES6_EEENSQ_IJSG_SG_EEES6_PlJS6_EEE10hipError_tPvRmT3_T4_T5_T6_T7_T9_mT8_P12ihipStream_tbDpT10_ENKUlT_T0_E_clISt17integral_constantIbLb1EES1F_EEDaS1A_S1B_EUlS1A_E_NS1_11comp_targetILNS1_3genE8ELNS1_11target_archE1030ELNS1_3gpuE2ELNS1_3repE0EEENS1_30default_config_static_selectorELNS0_4arch9wavefront6targetE0EEEvT1_
	.p2align	8
	.type	_ZN7rocprim17ROCPRIM_400000_NS6detail17trampoline_kernelINS0_14default_configENS1_25partition_config_selectorILNS1_17partition_subalgoE5EiNS0_10empty_typeEbEEZZNS1_14partition_implILS5_5ELb0ES3_mN6thrust23THRUST_200600_302600_NS6detail15normal_iteratorINSA_10device_ptrIiEEEEPS6_NSA_18transform_iteratorINSB_9not_fun_tI7is_trueIiEEENSC_INSD_IbEEEENSA_11use_defaultESO_EENS0_5tupleIJNSA_16discard_iteratorISO_EES6_EEENSQ_IJSG_SG_EEES6_PlJS6_EEE10hipError_tPvRmT3_T4_T5_T6_T7_T9_mT8_P12ihipStream_tbDpT10_ENKUlT_T0_E_clISt17integral_constantIbLb1EES1F_EEDaS1A_S1B_EUlS1A_E_NS1_11comp_targetILNS1_3genE8ELNS1_11target_archE1030ELNS1_3gpuE2ELNS1_3repE0EEENS1_30default_config_static_selectorELNS0_4arch9wavefront6targetE0EEEvT1_,@function
_ZN7rocprim17ROCPRIM_400000_NS6detail17trampoline_kernelINS0_14default_configENS1_25partition_config_selectorILNS1_17partition_subalgoE5EiNS0_10empty_typeEbEEZZNS1_14partition_implILS5_5ELb0ES3_mN6thrust23THRUST_200600_302600_NS6detail15normal_iteratorINSA_10device_ptrIiEEEEPS6_NSA_18transform_iteratorINSB_9not_fun_tI7is_trueIiEEENSC_INSD_IbEEEENSA_11use_defaultESO_EENS0_5tupleIJNSA_16discard_iteratorISO_EES6_EEENSQ_IJSG_SG_EEES6_PlJS6_EEE10hipError_tPvRmT3_T4_T5_T6_T7_T9_mT8_P12ihipStream_tbDpT10_ENKUlT_T0_E_clISt17integral_constantIbLb1EES1F_EEDaS1A_S1B_EUlS1A_E_NS1_11comp_targetILNS1_3genE8ELNS1_11target_archE1030ELNS1_3gpuE2ELNS1_3repE0EEENS1_30default_config_static_selectorELNS0_4arch9wavefront6targetE0EEEvT1_: ; @_ZN7rocprim17ROCPRIM_400000_NS6detail17trampoline_kernelINS0_14default_configENS1_25partition_config_selectorILNS1_17partition_subalgoE5EiNS0_10empty_typeEbEEZZNS1_14partition_implILS5_5ELb0ES3_mN6thrust23THRUST_200600_302600_NS6detail15normal_iteratorINSA_10device_ptrIiEEEEPS6_NSA_18transform_iteratorINSB_9not_fun_tI7is_trueIiEEENSC_INSD_IbEEEENSA_11use_defaultESO_EENS0_5tupleIJNSA_16discard_iteratorISO_EES6_EEENSQ_IJSG_SG_EEES6_PlJS6_EEE10hipError_tPvRmT3_T4_T5_T6_T7_T9_mT8_P12ihipStream_tbDpT10_ENKUlT_T0_E_clISt17integral_constantIbLb1EES1F_EEDaS1A_S1B_EUlS1A_E_NS1_11comp_targetILNS1_3genE8ELNS1_11target_archE1030ELNS1_3gpuE2ELNS1_3repE0EEENS1_30default_config_static_selectorELNS0_4arch9wavefront6targetE0EEEvT1_
; %bb.0:
	.section	.rodata,"a",@progbits
	.p2align	6, 0x0
	.amdhsa_kernel _ZN7rocprim17ROCPRIM_400000_NS6detail17trampoline_kernelINS0_14default_configENS1_25partition_config_selectorILNS1_17partition_subalgoE5EiNS0_10empty_typeEbEEZZNS1_14partition_implILS5_5ELb0ES3_mN6thrust23THRUST_200600_302600_NS6detail15normal_iteratorINSA_10device_ptrIiEEEEPS6_NSA_18transform_iteratorINSB_9not_fun_tI7is_trueIiEEENSC_INSD_IbEEEENSA_11use_defaultESO_EENS0_5tupleIJNSA_16discard_iteratorISO_EES6_EEENSQ_IJSG_SG_EEES6_PlJS6_EEE10hipError_tPvRmT3_T4_T5_T6_T7_T9_mT8_P12ihipStream_tbDpT10_ENKUlT_T0_E_clISt17integral_constantIbLb1EES1F_EEDaS1A_S1B_EUlS1A_E_NS1_11comp_targetILNS1_3genE8ELNS1_11target_archE1030ELNS1_3gpuE2ELNS1_3repE0EEENS1_30default_config_static_selectorELNS0_4arch9wavefront6targetE0EEEvT1_
		.amdhsa_group_segment_fixed_size 0
		.amdhsa_private_segment_fixed_size 0
		.amdhsa_kernarg_size 144
		.amdhsa_user_sgpr_count 2
		.amdhsa_user_sgpr_dispatch_ptr 0
		.amdhsa_user_sgpr_queue_ptr 0
		.amdhsa_user_sgpr_kernarg_segment_ptr 1
		.amdhsa_user_sgpr_dispatch_id 0
		.amdhsa_user_sgpr_private_segment_size 0
		.amdhsa_wavefront_size32 1
		.amdhsa_uses_dynamic_stack 0
		.amdhsa_enable_private_segment 0
		.amdhsa_system_sgpr_workgroup_id_x 1
		.amdhsa_system_sgpr_workgroup_id_y 0
		.amdhsa_system_sgpr_workgroup_id_z 0
		.amdhsa_system_sgpr_workgroup_info 0
		.amdhsa_system_vgpr_workitem_id 0
		.amdhsa_next_free_vgpr 1
		.amdhsa_next_free_sgpr 1
		.amdhsa_reserve_vcc 0
		.amdhsa_float_round_mode_32 0
		.amdhsa_float_round_mode_16_64 0
		.amdhsa_float_denorm_mode_32 3
		.amdhsa_float_denorm_mode_16_64 3
		.amdhsa_fp16_overflow 0
		.amdhsa_workgroup_processor_mode 1
		.amdhsa_memory_ordered 1
		.amdhsa_forward_progress 1
		.amdhsa_inst_pref_size 0
		.amdhsa_round_robin_scheduling 0
		.amdhsa_exception_fp_ieee_invalid_op 0
		.amdhsa_exception_fp_denorm_src 0
		.amdhsa_exception_fp_ieee_div_zero 0
		.amdhsa_exception_fp_ieee_overflow 0
		.amdhsa_exception_fp_ieee_underflow 0
		.amdhsa_exception_fp_ieee_inexact 0
		.amdhsa_exception_int_div_zero 0
	.end_amdhsa_kernel
	.section	.text._ZN7rocprim17ROCPRIM_400000_NS6detail17trampoline_kernelINS0_14default_configENS1_25partition_config_selectorILNS1_17partition_subalgoE5EiNS0_10empty_typeEbEEZZNS1_14partition_implILS5_5ELb0ES3_mN6thrust23THRUST_200600_302600_NS6detail15normal_iteratorINSA_10device_ptrIiEEEEPS6_NSA_18transform_iteratorINSB_9not_fun_tI7is_trueIiEEENSC_INSD_IbEEEENSA_11use_defaultESO_EENS0_5tupleIJNSA_16discard_iteratorISO_EES6_EEENSQ_IJSG_SG_EEES6_PlJS6_EEE10hipError_tPvRmT3_T4_T5_T6_T7_T9_mT8_P12ihipStream_tbDpT10_ENKUlT_T0_E_clISt17integral_constantIbLb1EES1F_EEDaS1A_S1B_EUlS1A_E_NS1_11comp_targetILNS1_3genE8ELNS1_11target_archE1030ELNS1_3gpuE2ELNS1_3repE0EEENS1_30default_config_static_selectorELNS0_4arch9wavefront6targetE0EEEvT1_,"axG",@progbits,_ZN7rocprim17ROCPRIM_400000_NS6detail17trampoline_kernelINS0_14default_configENS1_25partition_config_selectorILNS1_17partition_subalgoE5EiNS0_10empty_typeEbEEZZNS1_14partition_implILS5_5ELb0ES3_mN6thrust23THRUST_200600_302600_NS6detail15normal_iteratorINSA_10device_ptrIiEEEEPS6_NSA_18transform_iteratorINSB_9not_fun_tI7is_trueIiEEENSC_INSD_IbEEEENSA_11use_defaultESO_EENS0_5tupleIJNSA_16discard_iteratorISO_EES6_EEENSQ_IJSG_SG_EEES6_PlJS6_EEE10hipError_tPvRmT3_T4_T5_T6_T7_T9_mT8_P12ihipStream_tbDpT10_ENKUlT_T0_E_clISt17integral_constantIbLb1EES1F_EEDaS1A_S1B_EUlS1A_E_NS1_11comp_targetILNS1_3genE8ELNS1_11target_archE1030ELNS1_3gpuE2ELNS1_3repE0EEENS1_30default_config_static_selectorELNS0_4arch9wavefront6targetE0EEEvT1_,comdat
.Lfunc_end2796:
	.size	_ZN7rocprim17ROCPRIM_400000_NS6detail17trampoline_kernelINS0_14default_configENS1_25partition_config_selectorILNS1_17partition_subalgoE5EiNS0_10empty_typeEbEEZZNS1_14partition_implILS5_5ELb0ES3_mN6thrust23THRUST_200600_302600_NS6detail15normal_iteratorINSA_10device_ptrIiEEEEPS6_NSA_18transform_iteratorINSB_9not_fun_tI7is_trueIiEEENSC_INSD_IbEEEENSA_11use_defaultESO_EENS0_5tupleIJNSA_16discard_iteratorISO_EES6_EEENSQ_IJSG_SG_EEES6_PlJS6_EEE10hipError_tPvRmT3_T4_T5_T6_T7_T9_mT8_P12ihipStream_tbDpT10_ENKUlT_T0_E_clISt17integral_constantIbLb1EES1F_EEDaS1A_S1B_EUlS1A_E_NS1_11comp_targetILNS1_3genE8ELNS1_11target_archE1030ELNS1_3gpuE2ELNS1_3repE0EEENS1_30default_config_static_selectorELNS0_4arch9wavefront6targetE0EEEvT1_, .Lfunc_end2796-_ZN7rocprim17ROCPRIM_400000_NS6detail17trampoline_kernelINS0_14default_configENS1_25partition_config_selectorILNS1_17partition_subalgoE5EiNS0_10empty_typeEbEEZZNS1_14partition_implILS5_5ELb0ES3_mN6thrust23THRUST_200600_302600_NS6detail15normal_iteratorINSA_10device_ptrIiEEEEPS6_NSA_18transform_iteratorINSB_9not_fun_tI7is_trueIiEEENSC_INSD_IbEEEENSA_11use_defaultESO_EENS0_5tupleIJNSA_16discard_iteratorISO_EES6_EEENSQ_IJSG_SG_EEES6_PlJS6_EEE10hipError_tPvRmT3_T4_T5_T6_T7_T9_mT8_P12ihipStream_tbDpT10_ENKUlT_T0_E_clISt17integral_constantIbLb1EES1F_EEDaS1A_S1B_EUlS1A_E_NS1_11comp_targetILNS1_3genE8ELNS1_11target_archE1030ELNS1_3gpuE2ELNS1_3repE0EEENS1_30default_config_static_selectorELNS0_4arch9wavefront6targetE0EEEvT1_
                                        ; -- End function
	.set _ZN7rocprim17ROCPRIM_400000_NS6detail17trampoline_kernelINS0_14default_configENS1_25partition_config_selectorILNS1_17partition_subalgoE5EiNS0_10empty_typeEbEEZZNS1_14partition_implILS5_5ELb0ES3_mN6thrust23THRUST_200600_302600_NS6detail15normal_iteratorINSA_10device_ptrIiEEEEPS6_NSA_18transform_iteratorINSB_9not_fun_tI7is_trueIiEEENSC_INSD_IbEEEENSA_11use_defaultESO_EENS0_5tupleIJNSA_16discard_iteratorISO_EES6_EEENSQ_IJSG_SG_EEES6_PlJS6_EEE10hipError_tPvRmT3_T4_T5_T6_T7_T9_mT8_P12ihipStream_tbDpT10_ENKUlT_T0_E_clISt17integral_constantIbLb1EES1F_EEDaS1A_S1B_EUlS1A_E_NS1_11comp_targetILNS1_3genE8ELNS1_11target_archE1030ELNS1_3gpuE2ELNS1_3repE0EEENS1_30default_config_static_selectorELNS0_4arch9wavefront6targetE0EEEvT1_.num_vgpr, 0
	.set _ZN7rocprim17ROCPRIM_400000_NS6detail17trampoline_kernelINS0_14default_configENS1_25partition_config_selectorILNS1_17partition_subalgoE5EiNS0_10empty_typeEbEEZZNS1_14partition_implILS5_5ELb0ES3_mN6thrust23THRUST_200600_302600_NS6detail15normal_iteratorINSA_10device_ptrIiEEEEPS6_NSA_18transform_iteratorINSB_9not_fun_tI7is_trueIiEEENSC_INSD_IbEEEENSA_11use_defaultESO_EENS0_5tupleIJNSA_16discard_iteratorISO_EES6_EEENSQ_IJSG_SG_EEES6_PlJS6_EEE10hipError_tPvRmT3_T4_T5_T6_T7_T9_mT8_P12ihipStream_tbDpT10_ENKUlT_T0_E_clISt17integral_constantIbLb1EES1F_EEDaS1A_S1B_EUlS1A_E_NS1_11comp_targetILNS1_3genE8ELNS1_11target_archE1030ELNS1_3gpuE2ELNS1_3repE0EEENS1_30default_config_static_selectorELNS0_4arch9wavefront6targetE0EEEvT1_.num_agpr, 0
	.set _ZN7rocprim17ROCPRIM_400000_NS6detail17trampoline_kernelINS0_14default_configENS1_25partition_config_selectorILNS1_17partition_subalgoE5EiNS0_10empty_typeEbEEZZNS1_14partition_implILS5_5ELb0ES3_mN6thrust23THRUST_200600_302600_NS6detail15normal_iteratorINSA_10device_ptrIiEEEEPS6_NSA_18transform_iteratorINSB_9not_fun_tI7is_trueIiEEENSC_INSD_IbEEEENSA_11use_defaultESO_EENS0_5tupleIJNSA_16discard_iteratorISO_EES6_EEENSQ_IJSG_SG_EEES6_PlJS6_EEE10hipError_tPvRmT3_T4_T5_T6_T7_T9_mT8_P12ihipStream_tbDpT10_ENKUlT_T0_E_clISt17integral_constantIbLb1EES1F_EEDaS1A_S1B_EUlS1A_E_NS1_11comp_targetILNS1_3genE8ELNS1_11target_archE1030ELNS1_3gpuE2ELNS1_3repE0EEENS1_30default_config_static_selectorELNS0_4arch9wavefront6targetE0EEEvT1_.numbered_sgpr, 0
	.set _ZN7rocprim17ROCPRIM_400000_NS6detail17trampoline_kernelINS0_14default_configENS1_25partition_config_selectorILNS1_17partition_subalgoE5EiNS0_10empty_typeEbEEZZNS1_14partition_implILS5_5ELb0ES3_mN6thrust23THRUST_200600_302600_NS6detail15normal_iteratorINSA_10device_ptrIiEEEEPS6_NSA_18transform_iteratorINSB_9not_fun_tI7is_trueIiEEENSC_INSD_IbEEEENSA_11use_defaultESO_EENS0_5tupleIJNSA_16discard_iteratorISO_EES6_EEENSQ_IJSG_SG_EEES6_PlJS6_EEE10hipError_tPvRmT3_T4_T5_T6_T7_T9_mT8_P12ihipStream_tbDpT10_ENKUlT_T0_E_clISt17integral_constantIbLb1EES1F_EEDaS1A_S1B_EUlS1A_E_NS1_11comp_targetILNS1_3genE8ELNS1_11target_archE1030ELNS1_3gpuE2ELNS1_3repE0EEENS1_30default_config_static_selectorELNS0_4arch9wavefront6targetE0EEEvT1_.num_named_barrier, 0
	.set _ZN7rocprim17ROCPRIM_400000_NS6detail17trampoline_kernelINS0_14default_configENS1_25partition_config_selectorILNS1_17partition_subalgoE5EiNS0_10empty_typeEbEEZZNS1_14partition_implILS5_5ELb0ES3_mN6thrust23THRUST_200600_302600_NS6detail15normal_iteratorINSA_10device_ptrIiEEEEPS6_NSA_18transform_iteratorINSB_9not_fun_tI7is_trueIiEEENSC_INSD_IbEEEENSA_11use_defaultESO_EENS0_5tupleIJNSA_16discard_iteratorISO_EES6_EEENSQ_IJSG_SG_EEES6_PlJS6_EEE10hipError_tPvRmT3_T4_T5_T6_T7_T9_mT8_P12ihipStream_tbDpT10_ENKUlT_T0_E_clISt17integral_constantIbLb1EES1F_EEDaS1A_S1B_EUlS1A_E_NS1_11comp_targetILNS1_3genE8ELNS1_11target_archE1030ELNS1_3gpuE2ELNS1_3repE0EEENS1_30default_config_static_selectorELNS0_4arch9wavefront6targetE0EEEvT1_.private_seg_size, 0
	.set _ZN7rocprim17ROCPRIM_400000_NS6detail17trampoline_kernelINS0_14default_configENS1_25partition_config_selectorILNS1_17partition_subalgoE5EiNS0_10empty_typeEbEEZZNS1_14partition_implILS5_5ELb0ES3_mN6thrust23THRUST_200600_302600_NS6detail15normal_iteratorINSA_10device_ptrIiEEEEPS6_NSA_18transform_iteratorINSB_9not_fun_tI7is_trueIiEEENSC_INSD_IbEEEENSA_11use_defaultESO_EENS0_5tupleIJNSA_16discard_iteratorISO_EES6_EEENSQ_IJSG_SG_EEES6_PlJS6_EEE10hipError_tPvRmT3_T4_T5_T6_T7_T9_mT8_P12ihipStream_tbDpT10_ENKUlT_T0_E_clISt17integral_constantIbLb1EES1F_EEDaS1A_S1B_EUlS1A_E_NS1_11comp_targetILNS1_3genE8ELNS1_11target_archE1030ELNS1_3gpuE2ELNS1_3repE0EEENS1_30default_config_static_selectorELNS0_4arch9wavefront6targetE0EEEvT1_.uses_vcc, 0
	.set _ZN7rocprim17ROCPRIM_400000_NS6detail17trampoline_kernelINS0_14default_configENS1_25partition_config_selectorILNS1_17partition_subalgoE5EiNS0_10empty_typeEbEEZZNS1_14partition_implILS5_5ELb0ES3_mN6thrust23THRUST_200600_302600_NS6detail15normal_iteratorINSA_10device_ptrIiEEEEPS6_NSA_18transform_iteratorINSB_9not_fun_tI7is_trueIiEEENSC_INSD_IbEEEENSA_11use_defaultESO_EENS0_5tupleIJNSA_16discard_iteratorISO_EES6_EEENSQ_IJSG_SG_EEES6_PlJS6_EEE10hipError_tPvRmT3_T4_T5_T6_T7_T9_mT8_P12ihipStream_tbDpT10_ENKUlT_T0_E_clISt17integral_constantIbLb1EES1F_EEDaS1A_S1B_EUlS1A_E_NS1_11comp_targetILNS1_3genE8ELNS1_11target_archE1030ELNS1_3gpuE2ELNS1_3repE0EEENS1_30default_config_static_selectorELNS0_4arch9wavefront6targetE0EEEvT1_.uses_flat_scratch, 0
	.set _ZN7rocprim17ROCPRIM_400000_NS6detail17trampoline_kernelINS0_14default_configENS1_25partition_config_selectorILNS1_17partition_subalgoE5EiNS0_10empty_typeEbEEZZNS1_14partition_implILS5_5ELb0ES3_mN6thrust23THRUST_200600_302600_NS6detail15normal_iteratorINSA_10device_ptrIiEEEEPS6_NSA_18transform_iteratorINSB_9not_fun_tI7is_trueIiEEENSC_INSD_IbEEEENSA_11use_defaultESO_EENS0_5tupleIJNSA_16discard_iteratorISO_EES6_EEENSQ_IJSG_SG_EEES6_PlJS6_EEE10hipError_tPvRmT3_T4_T5_T6_T7_T9_mT8_P12ihipStream_tbDpT10_ENKUlT_T0_E_clISt17integral_constantIbLb1EES1F_EEDaS1A_S1B_EUlS1A_E_NS1_11comp_targetILNS1_3genE8ELNS1_11target_archE1030ELNS1_3gpuE2ELNS1_3repE0EEENS1_30default_config_static_selectorELNS0_4arch9wavefront6targetE0EEEvT1_.has_dyn_sized_stack, 0
	.set _ZN7rocprim17ROCPRIM_400000_NS6detail17trampoline_kernelINS0_14default_configENS1_25partition_config_selectorILNS1_17partition_subalgoE5EiNS0_10empty_typeEbEEZZNS1_14partition_implILS5_5ELb0ES3_mN6thrust23THRUST_200600_302600_NS6detail15normal_iteratorINSA_10device_ptrIiEEEEPS6_NSA_18transform_iteratorINSB_9not_fun_tI7is_trueIiEEENSC_INSD_IbEEEENSA_11use_defaultESO_EENS0_5tupleIJNSA_16discard_iteratorISO_EES6_EEENSQ_IJSG_SG_EEES6_PlJS6_EEE10hipError_tPvRmT3_T4_T5_T6_T7_T9_mT8_P12ihipStream_tbDpT10_ENKUlT_T0_E_clISt17integral_constantIbLb1EES1F_EEDaS1A_S1B_EUlS1A_E_NS1_11comp_targetILNS1_3genE8ELNS1_11target_archE1030ELNS1_3gpuE2ELNS1_3repE0EEENS1_30default_config_static_selectorELNS0_4arch9wavefront6targetE0EEEvT1_.has_recursion, 0
	.set _ZN7rocprim17ROCPRIM_400000_NS6detail17trampoline_kernelINS0_14default_configENS1_25partition_config_selectorILNS1_17partition_subalgoE5EiNS0_10empty_typeEbEEZZNS1_14partition_implILS5_5ELb0ES3_mN6thrust23THRUST_200600_302600_NS6detail15normal_iteratorINSA_10device_ptrIiEEEEPS6_NSA_18transform_iteratorINSB_9not_fun_tI7is_trueIiEEENSC_INSD_IbEEEENSA_11use_defaultESO_EENS0_5tupleIJNSA_16discard_iteratorISO_EES6_EEENSQ_IJSG_SG_EEES6_PlJS6_EEE10hipError_tPvRmT3_T4_T5_T6_T7_T9_mT8_P12ihipStream_tbDpT10_ENKUlT_T0_E_clISt17integral_constantIbLb1EES1F_EEDaS1A_S1B_EUlS1A_E_NS1_11comp_targetILNS1_3genE8ELNS1_11target_archE1030ELNS1_3gpuE2ELNS1_3repE0EEENS1_30default_config_static_selectorELNS0_4arch9wavefront6targetE0EEEvT1_.has_indirect_call, 0
	.section	.AMDGPU.csdata,"",@progbits
; Kernel info:
; codeLenInByte = 0
; TotalNumSgprs: 0
; NumVgprs: 0
; ScratchSize: 0
; MemoryBound: 0
; FloatMode: 240
; IeeeMode: 1
; LDSByteSize: 0 bytes/workgroup (compile time only)
; SGPRBlocks: 0
; VGPRBlocks: 0
; NumSGPRsForWavesPerEU: 1
; NumVGPRsForWavesPerEU: 1
; Occupancy: 16
; WaveLimiterHint : 0
; COMPUTE_PGM_RSRC2:SCRATCH_EN: 0
; COMPUTE_PGM_RSRC2:USER_SGPR: 2
; COMPUTE_PGM_RSRC2:TRAP_HANDLER: 0
; COMPUTE_PGM_RSRC2:TGID_X_EN: 1
; COMPUTE_PGM_RSRC2:TGID_Y_EN: 0
; COMPUTE_PGM_RSRC2:TGID_Z_EN: 0
; COMPUTE_PGM_RSRC2:TIDIG_COMP_CNT: 0
	.section	.text._ZN7rocprim17ROCPRIM_400000_NS6detail17trampoline_kernelINS0_14default_configENS1_25partition_config_selectorILNS1_17partition_subalgoE5EiNS0_10empty_typeEbEEZZNS1_14partition_implILS5_5ELb0ES3_mN6thrust23THRUST_200600_302600_NS6detail15normal_iteratorINSA_10device_ptrIiEEEEPS6_NSA_18transform_iteratorINSB_9not_fun_tI7is_trueIiEEENSC_INSD_IbEEEENSA_11use_defaultESO_EENS0_5tupleIJNSA_16discard_iteratorISO_EES6_EEENSQ_IJSG_SG_EEES6_PlJS6_EEE10hipError_tPvRmT3_T4_T5_T6_T7_T9_mT8_P12ihipStream_tbDpT10_ENKUlT_T0_E_clISt17integral_constantIbLb1EES1E_IbLb0EEEEDaS1A_S1B_EUlS1A_E_NS1_11comp_targetILNS1_3genE0ELNS1_11target_archE4294967295ELNS1_3gpuE0ELNS1_3repE0EEENS1_30default_config_static_selectorELNS0_4arch9wavefront6targetE0EEEvT1_,"axG",@progbits,_ZN7rocprim17ROCPRIM_400000_NS6detail17trampoline_kernelINS0_14default_configENS1_25partition_config_selectorILNS1_17partition_subalgoE5EiNS0_10empty_typeEbEEZZNS1_14partition_implILS5_5ELb0ES3_mN6thrust23THRUST_200600_302600_NS6detail15normal_iteratorINSA_10device_ptrIiEEEEPS6_NSA_18transform_iteratorINSB_9not_fun_tI7is_trueIiEEENSC_INSD_IbEEEENSA_11use_defaultESO_EENS0_5tupleIJNSA_16discard_iteratorISO_EES6_EEENSQ_IJSG_SG_EEES6_PlJS6_EEE10hipError_tPvRmT3_T4_T5_T6_T7_T9_mT8_P12ihipStream_tbDpT10_ENKUlT_T0_E_clISt17integral_constantIbLb1EES1E_IbLb0EEEEDaS1A_S1B_EUlS1A_E_NS1_11comp_targetILNS1_3genE0ELNS1_11target_archE4294967295ELNS1_3gpuE0ELNS1_3repE0EEENS1_30default_config_static_selectorELNS0_4arch9wavefront6targetE0EEEvT1_,comdat
	.protected	_ZN7rocprim17ROCPRIM_400000_NS6detail17trampoline_kernelINS0_14default_configENS1_25partition_config_selectorILNS1_17partition_subalgoE5EiNS0_10empty_typeEbEEZZNS1_14partition_implILS5_5ELb0ES3_mN6thrust23THRUST_200600_302600_NS6detail15normal_iteratorINSA_10device_ptrIiEEEEPS6_NSA_18transform_iteratorINSB_9not_fun_tI7is_trueIiEEENSC_INSD_IbEEEENSA_11use_defaultESO_EENS0_5tupleIJNSA_16discard_iteratorISO_EES6_EEENSQ_IJSG_SG_EEES6_PlJS6_EEE10hipError_tPvRmT3_T4_T5_T6_T7_T9_mT8_P12ihipStream_tbDpT10_ENKUlT_T0_E_clISt17integral_constantIbLb1EES1E_IbLb0EEEEDaS1A_S1B_EUlS1A_E_NS1_11comp_targetILNS1_3genE0ELNS1_11target_archE4294967295ELNS1_3gpuE0ELNS1_3repE0EEENS1_30default_config_static_selectorELNS0_4arch9wavefront6targetE0EEEvT1_ ; -- Begin function _ZN7rocprim17ROCPRIM_400000_NS6detail17trampoline_kernelINS0_14default_configENS1_25partition_config_selectorILNS1_17partition_subalgoE5EiNS0_10empty_typeEbEEZZNS1_14partition_implILS5_5ELb0ES3_mN6thrust23THRUST_200600_302600_NS6detail15normal_iteratorINSA_10device_ptrIiEEEEPS6_NSA_18transform_iteratorINSB_9not_fun_tI7is_trueIiEEENSC_INSD_IbEEEENSA_11use_defaultESO_EENS0_5tupleIJNSA_16discard_iteratorISO_EES6_EEENSQ_IJSG_SG_EEES6_PlJS6_EEE10hipError_tPvRmT3_T4_T5_T6_T7_T9_mT8_P12ihipStream_tbDpT10_ENKUlT_T0_E_clISt17integral_constantIbLb1EES1E_IbLb0EEEEDaS1A_S1B_EUlS1A_E_NS1_11comp_targetILNS1_3genE0ELNS1_11target_archE4294967295ELNS1_3gpuE0ELNS1_3repE0EEENS1_30default_config_static_selectorELNS0_4arch9wavefront6targetE0EEEvT1_
	.globl	_ZN7rocprim17ROCPRIM_400000_NS6detail17trampoline_kernelINS0_14default_configENS1_25partition_config_selectorILNS1_17partition_subalgoE5EiNS0_10empty_typeEbEEZZNS1_14partition_implILS5_5ELb0ES3_mN6thrust23THRUST_200600_302600_NS6detail15normal_iteratorINSA_10device_ptrIiEEEEPS6_NSA_18transform_iteratorINSB_9not_fun_tI7is_trueIiEEENSC_INSD_IbEEEENSA_11use_defaultESO_EENS0_5tupleIJNSA_16discard_iteratorISO_EES6_EEENSQ_IJSG_SG_EEES6_PlJS6_EEE10hipError_tPvRmT3_T4_T5_T6_T7_T9_mT8_P12ihipStream_tbDpT10_ENKUlT_T0_E_clISt17integral_constantIbLb1EES1E_IbLb0EEEEDaS1A_S1B_EUlS1A_E_NS1_11comp_targetILNS1_3genE0ELNS1_11target_archE4294967295ELNS1_3gpuE0ELNS1_3repE0EEENS1_30default_config_static_selectorELNS0_4arch9wavefront6targetE0EEEvT1_
	.p2align	8
	.type	_ZN7rocprim17ROCPRIM_400000_NS6detail17trampoline_kernelINS0_14default_configENS1_25partition_config_selectorILNS1_17partition_subalgoE5EiNS0_10empty_typeEbEEZZNS1_14partition_implILS5_5ELb0ES3_mN6thrust23THRUST_200600_302600_NS6detail15normal_iteratorINSA_10device_ptrIiEEEEPS6_NSA_18transform_iteratorINSB_9not_fun_tI7is_trueIiEEENSC_INSD_IbEEEENSA_11use_defaultESO_EENS0_5tupleIJNSA_16discard_iteratorISO_EES6_EEENSQ_IJSG_SG_EEES6_PlJS6_EEE10hipError_tPvRmT3_T4_T5_T6_T7_T9_mT8_P12ihipStream_tbDpT10_ENKUlT_T0_E_clISt17integral_constantIbLb1EES1E_IbLb0EEEEDaS1A_S1B_EUlS1A_E_NS1_11comp_targetILNS1_3genE0ELNS1_11target_archE4294967295ELNS1_3gpuE0ELNS1_3repE0EEENS1_30default_config_static_selectorELNS0_4arch9wavefront6targetE0EEEvT1_,@function
_ZN7rocprim17ROCPRIM_400000_NS6detail17trampoline_kernelINS0_14default_configENS1_25partition_config_selectorILNS1_17partition_subalgoE5EiNS0_10empty_typeEbEEZZNS1_14partition_implILS5_5ELb0ES3_mN6thrust23THRUST_200600_302600_NS6detail15normal_iteratorINSA_10device_ptrIiEEEEPS6_NSA_18transform_iteratorINSB_9not_fun_tI7is_trueIiEEENSC_INSD_IbEEEENSA_11use_defaultESO_EENS0_5tupleIJNSA_16discard_iteratorISO_EES6_EEENSQ_IJSG_SG_EEES6_PlJS6_EEE10hipError_tPvRmT3_T4_T5_T6_T7_T9_mT8_P12ihipStream_tbDpT10_ENKUlT_T0_E_clISt17integral_constantIbLb1EES1E_IbLb0EEEEDaS1A_S1B_EUlS1A_E_NS1_11comp_targetILNS1_3genE0ELNS1_11target_archE4294967295ELNS1_3gpuE0ELNS1_3repE0EEENS1_30default_config_static_selectorELNS0_4arch9wavefront6targetE0EEEvT1_: ; @_ZN7rocprim17ROCPRIM_400000_NS6detail17trampoline_kernelINS0_14default_configENS1_25partition_config_selectorILNS1_17partition_subalgoE5EiNS0_10empty_typeEbEEZZNS1_14partition_implILS5_5ELb0ES3_mN6thrust23THRUST_200600_302600_NS6detail15normal_iteratorINSA_10device_ptrIiEEEEPS6_NSA_18transform_iteratorINSB_9not_fun_tI7is_trueIiEEENSC_INSD_IbEEEENSA_11use_defaultESO_EENS0_5tupleIJNSA_16discard_iteratorISO_EES6_EEENSQ_IJSG_SG_EEES6_PlJS6_EEE10hipError_tPvRmT3_T4_T5_T6_T7_T9_mT8_P12ihipStream_tbDpT10_ENKUlT_T0_E_clISt17integral_constantIbLb1EES1E_IbLb0EEEEDaS1A_S1B_EUlS1A_E_NS1_11comp_targetILNS1_3genE0ELNS1_11target_archE4294967295ELNS1_3gpuE0ELNS1_3repE0EEENS1_30default_config_static_selectorELNS0_4arch9wavefront6targetE0EEEvT1_
; %bb.0:
	.section	.rodata,"a",@progbits
	.p2align	6, 0x0
	.amdhsa_kernel _ZN7rocprim17ROCPRIM_400000_NS6detail17trampoline_kernelINS0_14default_configENS1_25partition_config_selectorILNS1_17partition_subalgoE5EiNS0_10empty_typeEbEEZZNS1_14partition_implILS5_5ELb0ES3_mN6thrust23THRUST_200600_302600_NS6detail15normal_iteratorINSA_10device_ptrIiEEEEPS6_NSA_18transform_iteratorINSB_9not_fun_tI7is_trueIiEEENSC_INSD_IbEEEENSA_11use_defaultESO_EENS0_5tupleIJNSA_16discard_iteratorISO_EES6_EEENSQ_IJSG_SG_EEES6_PlJS6_EEE10hipError_tPvRmT3_T4_T5_T6_T7_T9_mT8_P12ihipStream_tbDpT10_ENKUlT_T0_E_clISt17integral_constantIbLb1EES1E_IbLb0EEEEDaS1A_S1B_EUlS1A_E_NS1_11comp_targetILNS1_3genE0ELNS1_11target_archE4294967295ELNS1_3gpuE0ELNS1_3repE0EEENS1_30default_config_static_selectorELNS0_4arch9wavefront6targetE0EEEvT1_
		.amdhsa_group_segment_fixed_size 0
		.amdhsa_private_segment_fixed_size 0
		.amdhsa_kernarg_size 128
		.amdhsa_user_sgpr_count 2
		.amdhsa_user_sgpr_dispatch_ptr 0
		.amdhsa_user_sgpr_queue_ptr 0
		.amdhsa_user_sgpr_kernarg_segment_ptr 1
		.amdhsa_user_sgpr_dispatch_id 0
		.amdhsa_user_sgpr_private_segment_size 0
		.amdhsa_wavefront_size32 1
		.amdhsa_uses_dynamic_stack 0
		.amdhsa_enable_private_segment 0
		.amdhsa_system_sgpr_workgroup_id_x 1
		.amdhsa_system_sgpr_workgroup_id_y 0
		.amdhsa_system_sgpr_workgroup_id_z 0
		.amdhsa_system_sgpr_workgroup_info 0
		.amdhsa_system_vgpr_workitem_id 0
		.amdhsa_next_free_vgpr 1
		.amdhsa_next_free_sgpr 1
		.amdhsa_reserve_vcc 0
		.amdhsa_float_round_mode_32 0
		.amdhsa_float_round_mode_16_64 0
		.amdhsa_float_denorm_mode_32 3
		.amdhsa_float_denorm_mode_16_64 3
		.amdhsa_fp16_overflow 0
		.amdhsa_workgroup_processor_mode 1
		.amdhsa_memory_ordered 1
		.amdhsa_forward_progress 1
		.amdhsa_inst_pref_size 0
		.amdhsa_round_robin_scheduling 0
		.amdhsa_exception_fp_ieee_invalid_op 0
		.amdhsa_exception_fp_denorm_src 0
		.amdhsa_exception_fp_ieee_div_zero 0
		.amdhsa_exception_fp_ieee_overflow 0
		.amdhsa_exception_fp_ieee_underflow 0
		.amdhsa_exception_fp_ieee_inexact 0
		.amdhsa_exception_int_div_zero 0
	.end_amdhsa_kernel
	.section	.text._ZN7rocprim17ROCPRIM_400000_NS6detail17trampoline_kernelINS0_14default_configENS1_25partition_config_selectorILNS1_17partition_subalgoE5EiNS0_10empty_typeEbEEZZNS1_14partition_implILS5_5ELb0ES3_mN6thrust23THRUST_200600_302600_NS6detail15normal_iteratorINSA_10device_ptrIiEEEEPS6_NSA_18transform_iteratorINSB_9not_fun_tI7is_trueIiEEENSC_INSD_IbEEEENSA_11use_defaultESO_EENS0_5tupleIJNSA_16discard_iteratorISO_EES6_EEENSQ_IJSG_SG_EEES6_PlJS6_EEE10hipError_tPvRmT3_T4_T5_T6_T7_T9_mT8_P12ihipStream_tbDpT10_ENKUlT_T0_E_clISt17integral_constantIbLb1EES1E_IbLb0EEEEDaS1A_S1B_EUlS1A_E_NS1_11comp_targetILNS1_3genE0ELNS1_11target_archE4294967295ELNS1_3gpuE0ELNS1_3repE0EEENS1_30default_config_static_selectorELNS0_4arch9wavefront6targetE0EEEvT1_,"axG",@progbits,_ZN7rocprim17ROCPRIM_400000_NS6detail17trampoline_kernelINS0_14default_configENS1_25partition_config_selectorILNS1_17partition_subalgoE5EiNS0_10empty_typeEbEEZZNS1_14partition_implILS5_5ELb0ES3_mN6thrust23THRUST_200600_302600_NS6detail15normal_iteratorINSA_10device_ptrIiEEEEPS6_NSA_18transform_iteratorINSB_9not_fun_tI7is_trueIiEEENSC_INSD_IbEEEENSA_11use_defaultESO_EENS0_5tupleIJNSA_16discard_iteratorISO_EES6_EEENSQ_IJSG_SG_EEES6_PlJS6_EEE10hipError_tPvRmT3_T4_T5_T6_T7_T9_mT8_P12ihipStream_tbDpT10_ENKUlT_T0_E_clISt17integral_constantIbLb1EES1E_IbLb0EEEEDaS1A_S1B_EUlS1A_E_NS1_11comp_targetILNS1_3genE0ELNS1_11target_archE4294967295ELNS1_3gpuE0ELNS1_3repE0EEENS1_30default_config_static_selectorELNS0_4arch9wavefront6targetE0EEEvT1_,comdat
.Lfunc_end2797:
	.size	_ZN7rocprim17ROCPRIM_400000_NS6detail17trampoline_kernelINS0_14default_configENS1_25partition_config_selectorILNS1_17partition_subalgoE5EiNS0_10empty_typeEbEEZZNS1_14partition_implILS5_5ELb0ES3_mN6thrust23THRUST_200600_302600_NS6detail15normal_iteratorINSA_10device_ptrIiEEEEPS6_NSA_18transform_iteratorINSB_9not_fun_tI7is_trueIiEEENSC_INSD_IbEEEENSA_11use_defaultESO_EENS0_5tupleIJNSA_16discard_iteratorISO_EES6_EEENSQ_IJSG_SG_EEES6_PlJS6_EEE10hipError_tPvRmT3_T4_T5_T6_T7_T9_mT8_P12ihipStream_tbDpT10_ENKUlT_T0_E_clISt17integral_constantIbLb1EES1E_IbLb0EEEEDaS1A_S1B_EUlS1A_E_NS1_11comp_targetILNS1_3genE0ELNS1_11target_archE4294967295ELNS1_3gpuE0ELNS1_3repE0EEENS1_30default_config_static_selectorELNS0_4arch9wavefront6targetE0EEEvT1_, .Lfunc_end2797-_ZN7rocprim17ROCPRIM_400000_NS6detail17trampoline_kernelINS0_14default_configENS1_25partition_config_selectorILNS1_17partition_subalgoE5EiNS0_10empty_typeEbEEZZNS1_14partition_implILS5_5ELb0ES3_mN6thrust23THRUST_200600_302600_NS6detail15normal_iteratorINSA_10device_ptrIiEEEEPS6_NSA_18transform_iteratorINSB_9not_fun_tI7is_trueIiEEENSC_INSD_IbEEEENSA_11use_defaultESO_EENS0_5tupleIJNSA_16discard_iteratorISO_EES6_EEENSQ_IJSG_SG_EEES6_PlJS6_EEE10hipError_tPvRmT3_T4_T5_T6_T7_T9_mT8_P12ihipStream_tbDpT10_ENKUlT_T0_E_clISt17integral_constantIbLb1EES1E_IbLb0EEEEDaS1A_S1B_EUlS1A_E_NS1_11comp_targetILNS1_3genE0ELNS1_11target_archE4294967295ELNS1_3gpuE0ELNS1_3repE0EEENS1_30default_config_static_selectorELNS0_4arch9wavefront6targetE0EEEvT1_
                                        ; -- End function
	.set _ZN7rocprim17ROCPRIM_400000_NS6detail17trampoline_kernelINS0_14default_configENS1_25partition_config_selectorILNS1_17partition_subalgoE5EiNS0_10empty_typeEbEEZZNS1_14partition_implILS5_5ELb0ES3_mN6thrust23THRUST_200600_302600_NS6detail15normal_iteratorINSA_10device_ptrIiEEEEPS6_NSA_18transform_iteratorINSB_9not_fun_tI7is_trueIiEEENSC_INSD_IbEEEENSA_11use_defaultESO_EENS0_5tupleIJNSA_16discard_iteratorISO_EES6_EEENSQ_IJSG_SG_EEES6_PlJS6_EEE10hipError_tPvRmT3_T4_T5_T6_T7_T9_mT8_P12ihipStream_tbDpT10_ENKUlT_T0_E_clISt17integral_constantIbLb1EES1E_IbLb0EEEEDaS1A_S1B_EUlS1A_E_NS1_11comp_targetILNS1_3genE0ELNS1_11target_archE4294967295ELNS1_3gpuE0ELNS1_3repE0EEENS1_30default_config_static_selectorELNS0_4arch9wavefront6targetE0EEEvT1_.num_vgpr, 0
	.set _ZN7rocprim17ROCPRIM_400000_NS6detail17trampoline_kernelINS0_14default_configENS1_25partition_config_selectorILNS1_17partition_subalgoE5EiNS0_10empty_typeEbEEZZNS1_14partition_implILS5_5ELb0ES3_mN6thrust23THRUST_200600_302600_NS6detail15normal_iteratorINSA_10device_ptrIiEEEEPS6_NSA_18transform_iteratorINSB_9not_fun_tI7is_trueIiEEENSC_INSD_IbEEEENSA_11use_defaultESO_EENS0_5tupleIJNSA_16discard_iteratorISO_EES6_EEENSQ_IJSG_SG_EEES6_PlJS6_EEE10hipError_tPvRmT3_T4_T5_T6_T7_T9_mT8_P12ihipStream_tbDpT10_ENKUlT_T0_E_clISt17integral_constantIbLb1EES1E_IbLb0EEEEDaS1A_S1B_EUlS1A_E_NS1_11comp_targetILNS1_3genE0ELNS1_11target_archE4294967295ELNS1_3gpuE0ELNS1_3repE0EEENS1_30default_config_static_selectorELNS0_4arch9wavefront6targetE0EEEvT1_.num_agpr, 0
	.set _ZN7rocprim17ROCPRIM_400000_NS6detail17trampoline_kernelINS0_14default_configENS1_25partition_config_selectorILNS1_17partition_subalgoE5EiNS0_10empty_typeEbEEZZNS1_14partition_implILS5_5ELb0ES3_mN6thrust23THRUST_200600_302600_NS6detail15normal_iteratorINSA_10device_ptrIiEEEEPS6_NSA_18transform_iteratorINSB_9not_fun_tI7is_trueIiEEENSC_INSD_IbEEEENSA_11use_defaultESO_EENS0_5tupleIJNSA_16discard_iteratorISO_EES6_EEENSQ_IJSG_SG_EEES6_PlJS6_EEE10hipError_tPvRmT3_T4_T5_T6_T7_T9_mT8_P12ihipStream_tbDpT10_ENKUlT_T0_E_clISt17integral_constantIbLb1EES1E_IbLb0EEEEDaS1A_S1B_EUlS1A_E_NS1_11comp_targetILNS1_3genE0ELNS1_11target_archE4294967295ELNS1_3gpuE0ELNS1_3repE0EEENS1_30default_config_static_selectorELNS0_4arch9wavefront6targetE0EEEvT1_.numbered_sgpr, 0
	.set _ZN7rocprim17ROCPRIM_400000_NS6detail17trampoline_kernelINS0_14default_configENS1_25partition_config_selectorILNS1_17partition_subalgoE5EiNS0_10empty_typeEbEEZZNS1_14partition_implILS5_5ELb0ES3_mN6thrust23THRUST_200600_302600_NS6detail15normal_iteratorINSA_10device_ptrIiEEEEPS6_NSA_18transform_iteratorINSB_9not_fun_tI7is_trueIiEEENSC_INSD_IbEEEENSA_11use_defaultESO_EENS0_5tupleIJNSA_16discard_iteratorISO_EES6_EEENSQ_IJSG_SG_EEES6_PlJS6_EEE10hipError_tPvRmT3_T4_T5_T6_T7_T9_mT8_P12ihipStream_tbDpT10_ENKUlT_T0_E_clISt17integral_constantIbLb1EES1E_IbLb0EEEEDaS1A_S1B_EUlS1A_E_NS1_11comp_targetILNS1_3genE0ELNS1_11target_archE4294967295ELNS1_3gpuE0ELNS1_3repE0EEENS1_30default_config_static_selectorELNS0_4arch9wavefront6targetE0EEEvT1_.num_named_barrier, 0
	.set _ZN7rocprim17ROCPRIM_400000_NS6detail17trampoline_kernelINS0_14default_configENS1_25partition_config_selectorILNS1_17partition_subalgoE5EiNS0_10empty_typeEbEEZZNS1_14partition_implILS5_5ELb0ES3_mN6thrust23THRUST_200600_302600_NS6detail15normal_iteratorINSA_10device_ptrIiEEEEPS6_NSA_18transform_iteratorINSB_9not_fun_tI7is_trueIiEEENSC_INSD_IbEEEENSA_11use_defaultESO_EENS0_5tupleIJNSA_16discard_iteratorISO_EES6_EEENSQ_IJSG_SG_EEES6_PlJS6_EEE10hipError_tPvRmT3_T4_T5_T6_T7_T9_mT8_P12ihipStream_tbDpT10_ENKUlT_T0_E_clISt17integral_constantIbLb1EES1E_IbLb0EEEEDaS1A_S1B_EUlS1A_E_NS1_11comp_targetILNS1_3genE0ELNS1_11target_archE4294967295ELNS1_3gpuE0ELNS1_3repE0EEENS1_30default_config_static_selectorELNS0_4arch9wavefront6targetE0EEEvT1_.private_seg_size, 0
	.set _ZN7rocprim17ROCPRIM_400000_NS6detail17trampoline_kernelINS0_14default_configENS1_25partition_config_selectorILNS1_17partition_subalgoE5EiNS0_10empty_typeEbEEZZNS1_14partition_implILS5_5ELb0ES3_mN6thrust23THRUST_200600_302600_NS6detail15normal_iteratorINSA_10device_ptrIiEEEEPS6_NSA_18transform_iteratorINSB_9not_fun_tI7is_trueIiEEENSC_INSD_IbEEEENSA_11use_defaultESO_EENS0_5tupleIJNSA_16discard_iteratorISO_EES6_EEENSQ_IJSG_SG_EEES6_PlJS6_EEE10hipError_tPvRmT3_T4_T5_T6_T7_T9_mT8_P12ihipStream_tbDpT10_ENKUlT_T0_E_clISt17integral_constantIbLb1EES1E_IbLb0EEEEDaS1A_S1B_EUlS1A_E_NS1_11comp_targetILNS1_3genE0ELNS1_11target_archE4294967295ELNS1_3gpuE0ELNS1_3repE0EEENS1_30default_config_static_selectorELNS0_4arch9wavefront6targetE0EEEvT1_.uses_vcc, 0
	.set _ZN7rocprim17ROCPRIM_400000_NS6detail17trampoline_kernelINS0_14default_configENS1_25partition_config_selectorILNS1_17partition_subalgoE5EiNS0_10empty_typeEbEEZZNS1_14partition_implILS5_5ELb0ES3_mN6thrust23THRUST_200600_302600_NS6detail15normal_iteratorINSA_10device_ptrIiEEEEPS6_NSA_18transform_iteratorINSB_9not_fun_tI7is_trueIiEEENSC_INSD_IbEEEENSA_11use_defaultESO_EENS0_5tupleIJNSA_16discard_iteratorISO_EES6_EEENSQ_IJSG_SG_EEES6_PlJS6_EEE10hipError_tPvRmT3_T4_T5_T6_T7_T9_mT8_P12ihipStream_tbDpT10_ENKUlT_T0_E_clISt17integral_constantIbLb1EES1E_IbLb0EEEEDaS1A_S1B_EUlS1A_E_NS1_11comp_targetILNS1_3genE0ELNS1_11target_archE4294967295ELNS1_3gpuE0ELNS1_3repE0EEENS1_30default_config_static_selectorELNS0_4arch9wavefront6targetE0EEEvT1_.uses_flat_scratch, 0
	.set _ZN7rocprim17ROCPRIM_400000_NS6detail17trampoline_kernelINS0_14default_configENS1_25partition_config_selectorILNS1_17partition_subalgoE5EiNS0_10empty_typeEbEEZZNS1_14partition_implILS5_5ELb0ES3_mN6thrust23THRUST_200600_302600_NS6detail15normal_iteratorINSA_10device_ptrIiEEEEPS6_NSA_18transform_iteratorINSB_9not_fun_tI7is_trueIiEEENSC_INSD_IbEEEENSA_11use_defaultESO_EENS0_5tupleIJNSA_16discard_iteratorISO_EES6_EEENSQ_IJSG_SG_EEES6_PlJS6_EEE10hipError_tPvRmT3_T4_T5_T6_T7_T9_mT8_P12ihipStream_tbDpT10_ENKUlT_T0_E_clISt17integral_constantIbLb1EES1E_IbLb0EEEEDaS1A_S1B_EUlS1A_E_NS1_11comp_targetILNS1_3genE0ELNS1_11target_archE4294967295ELNS1_3gpuE0ELNS1_3repE0EEENS1_30default_config_static_selectorELNS0_4arch9wavefront6targetE0EEEvT1_.has_dyn_sized_stack, 0
	.set _ZN7rocprim17ROCPRIM_400000_NS6detail17trampoline_kernelINS0_14default_configENS1_25partition_config_selectorILNS1_17partition_subalgoE5EiNS0_10empty_typeEbEEZZNS1_14partition_implILS5_5ELb0ES3_mN6thrust23THRUST_200600_302600_NS6detail15normal_iteratorINSA_10device_ptrIiEEEEPS6_NSA_18transform_iteratorINSB_9not_fun_tI7is_trueIiEEENSC_INSD_IbEEEENSA_11use_defaultESO_EENS0_5tupleIJNSA_16discard_iteratorISO_EES6_EEENSQ_IJSG_SG_EEES6_PlJS6_EEE10hipError_tPvRmT3_T4_T5_T6_T7_T9_mT8_P12ihipStream_tbDpT10_ENKUlT_T0_E_clISt17integral_constantIbLb1EES1E_IbLb0EEEEDaS1A_S1B_EUlS1A_E_NS1_11comp_targetILNS1_3genE0ELNS1_11target_archE4294967295ELNS1_3gpuE0ELNS1_3repE0EEENS1_30default_config_static_selectorELNS0_4arch9wavefront6targetE0EEEvT1_.has_recursion, 0
	.set _ZN7rocprim17ROCPRIM_400000_NS6detail17trampoline_kernelINS0_14default_configENS1_25partition_config_selectorILNS1_17partition_subalgoE5EiNS0_10empty_typeEbEEZZNS1_14partition_implILS5_5ELb0ES3_mN6thrust23THRUST_200600_302600_NS6detail15normal_iteratorINSA_10device_ptrIiEEEEPS6_NSA_18transform_iteratorINSB_9not_fun_tI7is_trueIiEEENSC_INSD_IbEEEENSA_11use_defaultESO_EENS0_5tupleIJNSA_16discard_iteratorISO_EES6_EEENSQ_IJSG_SG_EEES6_PlJS6_EEE10hipError_tPvRmT3_T4_T5_T6_T7_T9_mT8_P12ihipStream_tbDpT10_ENKUlT_T0_E_clISt17integral_constantIbLb1EES1E_IbLb0EEEEDaS1A_S1B_EUlS1A_E_NS1_11comp_targetILNS1_3genE0ELNS1_11target_archE4294967295ELNS1_3gpuE0ELNS1_3repE0EEENS1_30default_config_static_selectorELNS0_4arch9wavefront6targetE0EEEvT1_.has_indirect_call, 0
	.section	.AMDGPU.csdata,"",@progbits
; Kernel info:
; codeLenInByte = 0
; TotalNumSgprs: 0
; NumVgprs: 0
; ScratchSize: 0
; MemoryBound: 0
; FloatMode: 240
; IeeeMode: 1
; LDSByteSize: 0 bytes/workgroup (compile time only)
; SGPRBlocks: 0
; VGPRBlocks: 0
; NumSGPRsForWavesPerEU: 1
; NumVGPRsForWavesPerEU: 1
; Occupancy: 16
; WaveLimiterHint : 0
; COMPUTE_PGM_RSRC2:SCRATCH_EN: 0
; COMPUTE_PGM_RSRC2:USER_SGPR: 2
; COMPUTE_PGM_RSRC2:TRAP_HANDLER: 0
; COMPUTE_PGM_RSRC2:TGID_X_EN: 1
; COMPUTE_PGM_RSRC2:TGID_Y_EN: 0
; COMPUTE_PGM_RSRC2:TGID_Z_EN: 0
; COMPUTE_PGM_RSRC2:TIDIG_COMP_CNT: 0
	.section	.text._ZN7rocprim17ROCPRIM_400000_NS6detail17trampoline_kernelINS0_14default_configENS1_25partition_config_selectorILNS1_17partition_subalgoE5EiNS0_10empty_typeEbEEZZNS1_14partition_implILS5_5ELb0ES3_mN6thrust23THRUST_200600_302600_NS6detail15normal_iteratorINSA_10device_ptrIiEEEEPS6_NSA_18transform_iteratorINSB_9not_fun_tI7is_trueIiEEENSC_INSD_IbEEEENSA_11use_defaultESO_EENS0_5tupleIJNSA_16discard_iteratorISO_EES6_EEENSQ_IJSG_SG_EEES6_PlJS6_EEE10hipError_tPvRmT3_T4_T5_T6_T7_T9_mT8_P12ihipStream_tbDpT10_ENKUlT_T0_E_clISt17integral_constantIbLb1EES1E_IbLb0EEEEDaS1A_S1B_EUlS1A_E_NS1_11comp_targetILNS1_3genE5ELNS1_11target_archE942ELNS1_3gpuE9ELNS1_3repE0EEENS1_30default_config_static_selectorELNS0_4arch9wavefront6targetE0EEEvT1_,"axG",@progbits,_ZN7rocprim17ROCPRIM_400000_NS6detail17trampoline_kernelINS0_14default_configENS1_25partition_config_selectorILNS1_17partition_subalgoE5EiNS0_10empty_typeEbEEZZNS1_14partition_implILS5_5ELb0ES3_mN6thrust23THRUST_200600_302600_NS6detail15normal_iteratorINSA_10device_ptrIiEEEEPS6_NSA_18transform_iteratorINSB_9not_fun_tI7is_trueIiEEENSC_INSD_IbEEEENSA_11use_defaultESO_EENS0_5tupleIJNSA_16discard_iteratorISO_EES6_EEENSQ_IJSG_SG_EEES6_PlJS6_EEE10hipError_tPvRmT3_T4_T5_T6_T7_T9_mT8_P12ihipStream_tbDpT10_ENKUlT_T0_E_clISt17integral_constantIbLb1EES1E_IbLb0EEEEDaS1A_S1B_EUlS1A_E_NS1_11comp_targetILNS1_3genE5ELNS1_11target_archE942ELNS1_3gpuE9ELNS1_3repE0EEENS1_30default_config_static_selectorELNS0_4arch9wavefront6targetE0EEEvT1_,comdat
	.protected	_ZN7rocprim17ROCPRIM_400000_NS6detail17trampoline_kernelINS0_14default_configENS1_25partition_config_selectorILNS1_17partition_subalgoE5EiNS0_10empty_typeEbEEZZNS1_14partition_implILS5_5ELb0ES3_mN6thrust23THRUST_200600_302600_NS6detail15normal_iteratorINSA_10device_ptrIiEEEEPS6_NSA_18transform_iteratorINSB_9not_fun_tI7is_trueIiEEENSC_INSD_IbEEEENSA_11use_defaultESO_EENS0_5tupleIJNSA_16discard_iteratorISO_EES6_EEENSQ_IJSG_SG_EEES6_PlJS6_EEE10hipError_tPvRmT3_T4_T5_T6_T7_T9_mT8_P12ihipStream_tbDpT10_ENKUlT_T0_E_clISt17integral_constantIbLb1EES1E_IbLb0EEEEDaS1A_S1B_EUlS1A_E_NS1_11comp_targetILNS1_3genE5ELNS1_11target_archE942ELNS1_3gpuE9ELNS1_3repE0EEENS1_30default_config_static_selectorELNS0_4arch9wavefront6targetE0EEEvT1_ ; -- Begin function _ZN7rocprim17ROCPRIM_400000_NS6detail17trampoline_kernelINS0_14default_configENS1_25partition_config_selectorILNS1_17partition_subalgoE5EiNS0_10empty_typeEbEEZZNS1_14partition_implILS5_5ELb0ES3_mN6thrust23THRUST_200600_302600_NS6detail15normal_iteratorINSA_10device_ptrIiEEEEPS6_NSA_18transform_iteratorINSB_9not_fun_tI7is_trueIiEEENSC_INSD_IbEEEENSA_11use_defaultESO_EENS0_5tupleIJNSA_16discard_iteratorISO_EES6_EEENSQ_IJSG_SG_EEES6_PlJS6_EEE10hipError_tPvRmT3_T4_T5_T6_T7_T9_mT8_P12ihipStream_tbDpT10_ENKUlT_T0_E_clISt17integral_constantIbLb1EES1E_IbLb0EEEEDaS1A_S1B_EUlS1A_E_NS1_11comp_targetILNS1_3genE5ELNS1_11target_archE942ELNS1_3gpuE9ELNS1_3repE0EEENS1_30default_config_static_selectorELNS0_4arch9wavefront6targetE0EEEvT1_
	.globl	_ZN7rocprim17ROCPRIM_400000_NS6detail17trampoline_kernelINS0_14default_configENS1_25partition_config_selectorILNS1_17partition_subalgoE5EiNS0_10empty_typeEbEEZZNS1_14partition_implILS5_5ELb0ES3_mN6thrust23THRUST_200600_302600_NS6detail15normal_iteratorINSA_10device_ptrIiEEEEPS6_NSA_18transform_iteratorINSB_9not_fun_tI7is_trueIiEEENSC_INSD_IbEEEENSA_11use_defaultESO_EENS0_5tupleIJNSA_16discard_iteratorISO_EES6_EEENSQ_IJSG_SG_EEES6_PlJS6_EEE10hipError_tPvRmT3_T4_T5_T6_T7_T9_mT8_P12ihipStream_tbDpT10_ENKUlT_T0_E_clISt17integral_constantIbLb1EES1E_IbLb0EEEEDaS1A_S1B_EUlS1A_E_NS1_11comp_targetILNS1_3genE5ELNS1_11target_archE942ELNS1_3gpuE9ELNS1_3repE0EEENS1_30default_config_static_selectorELNS0_4arch9wavefront6targetE0EEEvT1_
	.p2align	8
	.type	_ZN7rocprim17ROCPRIM_400000_NS6detail17trampoline_kernelINS0_14default_configENS1_25partition_config_selectorILNS1_17partition_subalgoE5EiNS0_10empty_typeEbEEZZNS1_14partition_implILS5_5ELb0ES3_mN6thrust23THRUST_200600_302600_NS6detail15normal_iteratorINSA_10device_ptrIiEEEEPS6_NSA_18transform_iteratorINSB_9not_fun_tI7is_trueIiEEENSC_INSD_IbEEEENSA_11use_defaultESO_EENS0_5tupleIJNSA_16discard_iteratorISO_EES6_EEENSQ_IJSG_SG_EEES6_PlJS6_EEE10hipError_tPvRmT3_T4_T5_T6_T7_T9_mT8_P12ihipStream_tbDpT10_ENKUlT_T0_E_clISt17integral_constantIbLb1EES1E_IbLb0EEEEDaS1A_S1B_EUlS1A_E_NS1_11comp_targetILNS1_3genE5ELNS1_11target_archE942ELNS1_3gpuE9ELNS1_3repE0EEENS1_30default_config_static_selectorELNS0_4arch9wavefront6targetE0EEEvT1_,@function
_ZN7rocprim17ROCPRIM_400000_NS6detail17trampoline_kernelINS0_14default_configENS1_25partition_config_selectorILNS1_17partition_subalgoE5EiNS0_10empty_typeEbEEZZNS1_14partition_implILS5_5ELb0ES3_mN6thrust23THRUST_200600_302600_NS6detail15normal_iteratorINSA_10device_ptrIiEEEEPS6_NSA_18transform_iteratorINSB_9not_fun_tI7is_trueIiEEENSC_INSD_IbEEEENSA_11use_defaultESO_EENS0_5tupleIJNSA_16discard_iteratorISO_EES6_EEENSQ_IJSG_SG_EEES6_PlJS6_EEE10hipError_tPvRmT3_T4_T5_T6_T7_T9_mT8_P12ihipStream_tbDpT10_ENKUlT_T0_E_clISt17integral_constantIbLb1EES1E_IbLb0EEEEDaS1A_S1B_EUlS1A_E_NS1_11comp_targetILNS1_3genE5ELNS1_11target_archE942ELNS1_3gpuE9ELNS1_3repE0EEENS1_30default_config_static_selectorELNS0_4arch9wavefront6targetE0EEEvT1_: ; @_ZN7rocprim17ROCPRIM_400000_NS6detail17trampoline_kernelINS0_14default_configENS1_25partition_config_selectorILNS1_17partition_subalgoE5EiNS0_10empty_typeEbEEZZNS1_14partition_implILS5_5ELb0ES3_mN6thrust23THRUST_200600_302600_NS6detail15normal_iteratorINSA_10device_ptrIiEEEEPS6_NSA_18transform_iteratorINSB_9not_fun_tI7is_trueIiEEENSC_INSD_IbEEEENSA_11use_defaultESO_EENS0_5tupleIJNSA_16discard_iteratorISO_EES6_EEENSQ_IJSG_SG_EEES6_PlJS6_EEE10hipError_tPvRmT3_T4_T5_T6_T7_T9_mT8_P12ihipStream_tbDpT10_ENKUlT_T0_E_clISt17integral_constantIbLb1EES1E_IbLb0EEEEDaS1A_S1B_EUlS1A_E_NS1_11comp_targetILNS1_3genE5ELNS1_11target_archE942ELNS1_3gpuE9ELNS1_3repE0EEENS1_30default_config_static_selectorELNS0_4arch9wavefront6targetE0EEEvT1_
; %bb.0:
	.section	.rodata,"a",@progbits
	.p2align	6, 0x0
	.amdhsa_kernel _ZN7rocprim17ROCPRIM_400000_NS6detail17trampoline_kernelINS0_14default_configENS1_25partition_config_selectorILNS1_17partition_subalgoE5EiNS0_10empty_typeEbEEZZNS1_14partition_implILS5_5ELb0ES3_mN6thrust23THRUST_200600_302600_NS6detail15normal_iteratorINSA_10device_ptrIiEEEEPS6_NSA_18transform_iteratorINSB_9not_fun_tI7is_trueIiEEENSC_INSD_IbEEEENSA_11use_defaultESO_EENS0_5tupleIJNSA_16discard_iteratorISO_EES6_EEENSQ_IJSG_SG_EEES6_PlJS6_EEE10hipError_tPvRmT3_T4_T5_T6_T7_T9_mT8_P12ihipStream_tbDpT10_ENKUlT_T0_E_clISt17integral_constantIbLb1EES1E_IbLb0EEEEDaS1A_S1B_EUlS1A_E_NS1_11comp_targetILNS1_3genE5ELNS1_11target_archE942ELNS1_3gpuE9ELNS1_3repE0EEENS1_30default_config_static_selectorELNS0_4arch9wavefront6targetE0EEEvT1_
		.amdhsa_group_segment_fixed_size 0
		.amdhsa_private_segment_fixed_size 0
		.amdhsa_kernarg_size 128
		.amdhsa_user_sgpr_count 2
		.amdhsa_user_sgpr_dispatch_ptr 0
		.amdhsa_user_sgpr_queue_ptr 0
		.amdhsa_user_sgpr_kernarg_segment_ptr 1
		.amdhsa_user_sgpr_dispatch_id 0
		.amdhsa_user_sgpr_private_segment_size 0
		.amdhsa_wavefront_size32 1
		.amdhsa_uses_dynamic_stack 0
		.amdhsa_enable_private_segment 0
		.amdhsa_system_sgpr_workgroup_id_x 1
		.amdhsa_system_sgpr_workgroup_id_y 0
		.amdhsa_system_sgpr_workgroup_id_z 0
		.amdhsa_system_sgpr_workgroup_info 0
		.amdhsa_system_vgpr_workitem_id 0
		.amdhsa_next_free_vgpr 1
		.amdhsa_next_free_sgpr 1
		.amdhsa_reserve_vcc 0
		.amdhsa_float_round_mode_32 0
		.amdhsa_float_round_mode_16_64 0
		.amdhsa_float_denorm_mode_32 3
		.amdhsa_float_denorm_mode_16_64 3
		.amdhsa_fp16_overflow 0
		.amdhsa_workgroup_processor_mode 1
		.amdhsa_memory_ordered 1
		.amdhsa_forward_progress 1
		.amdhsa_inst_pref_size 0
		.amdhsa_round_robin_scheduling 0
		.amdhsa_exception_fp_ieee_invalid_op 0
		.amdhsa_exception_fp_denorm_src 0
		.amdhsa_exception_fp_ieee_div_zero 0
		.amdhsa_exception_fp_ieee_overflow 0
		.amdhsa_exception_fp_ieee_underflow 0
		.amdhsa_exception_fp_ieee_inexact 0
		.amdhsa_exception_int_div_zero 0
	.end_amdhsa_kernel
	.section	.text._ZN7rocprim17ROCPRIM_400000_NS6detail17trampoline_kernelINS0_14default_configENS1_25partition_config_selectorILNS1_17partition_subalgoE5EiNS0_10empty_typeEbEEZZNS1_14partition_implILS5_5ELb0ES3_mN6thrust23THRUST_200600_302600_NS6detail15normal_iteratorINSA_10device_ptrIiEEEEPS6_NSA_18transform_iteratorINSB_9not_fun_tI7is_trueIiEEENSC_INSD_IbEEEENSA_11use_defaultESO_EENS0_5tupleIJNSA_16discard_iteratorISO_EES6_EEENSQ_IJSG_SG_EEES6_PlJS6_EEE10hipError_tPvRmT3_T4_T5_T6_T7_T9_mT8_P12ihipStream_tbDpT10_ENKUlT_T0_E_clISt17integral_constantIbLb1EES1E_IbLb0EEEEDaS1A_S1B_EUlS1A_E_NS1_11comp_targetILNS1_3genE5ELNS1_11target_archE942ELNS1_3gpuE9ELNS1_3repE0EEENS1_30default_config_static_selectorELNS0_4arch9wavefront6targetE0EEEvT1_,"axG",@progbits,_ZN7rocprim17ROCPRIM_400000_NS6detail17trampoline_kernelINS0_14default_configENS1_25partition_config_selectorILNS1_17partition_subalgoE5EiNS0_10empty_typeEbEEZZNS1_14partition_implILS5_5ELb0ES3_mN6thrust23THRUST_200600_302600_NS6detail15normal_iteratorINSA_10device_ptrIiEEEEPS6_NSA_18transform_iteratorINSB_9not_fun_tI7is_trueIiEEENSC_INSD_IbEEEENSA_11use_defaultESO_EENS0_5tupleIJNSA_16discard_iteratorISO_EES6_EEENSQ_IJSG_SG_EEES6_PlJS6_EEE10hipError_tPvRmT3_T4_T5_T6_T7_T9_mT8_P12ihipStream_tbDpT10_ENKUlT_T0_E_clISt17integral_constantIbLb1EES1E_IbLb0EEEEDaS1A_S1B_EUlS1A_E_NS1_11comp_targetILNS1_3genE5ELNS1_11target_archE942ELNS1_3gpuE9ELNS1_3repE0EEENS1_30default_config_static_selectorELNS0_4arch9wavefront6targetE0EEEvT1_,comdat
.Lfunc_end2798:
	.size	_ZN7rocprim17ROCPRIM_400000_NS6detail17trampoline_kernelINS0_14default_configENS1_25partition_config_selectorILNS1_17partition_subalgoE5EiNS0_10empty_typeEbEEZZNS1_14partition_implILS5_5ELb0ES3_mN6thrust23THRUST_200600_302600_NS6detail15normal_iteratorINSA_10device_ptrIiEEEEPS6_NSA_18transform_iteratorINSB_9not_fun_tI7is_trueIiEEENSC_INSD_IbEEEENSA_11use_defaultESO_EENS0_5tupleIJNSA_16discard_iteratorISO_EES6_EEENSQ_IJSG_SG_EEES6_PlJS6_EEE10hipError_tPvRmT3_T4_T5_T6_T7_T9_mT8_P12ihipStream_tbDpT10_ENKUlT_T0_E_clISt17integral_constantIbLb1EES1E_IbLb0EEEEDaS1A_S1B_EUlS1A_E_NS1_11comp_targetILNS1_3genE5ELNS1_11target_archE942ELNS1_3gpuE9ELNS1_3repE0EEENS1_30default_config_static_selectorELNS0_4arch9wavefront6targetE0EEEvT1_, .Lfunc_end2798-_ZN7rocprim17ROCPRIM_400000_NS6detail17trampoline_kernelINS0_14default_configENS1_25partition_config_selectorILNS1_17partition_subalgoE5EiNS0_10empty_typeEbEEZZNS1_14partition_implILS5_5ELb0ES3_mN6thrust23THRUST_200600_302600_NS6detail15normal_iteratorINSA_10device_ptrIiEEEEPS6_NSA_18transform_iteratorINSB_9not_fun_tI7is_trueIiEEENSC_INSD_IbEEEENSA_11use_defaultESO_EENS0_5tupleIJNSA_16discard_iteratorISO_EES6_EEENSQ_IJSG_SG_EEES6_PlJS6_EEE10hipError_tPvRmT3_T4_T5_T6_T7_T9_mT8_P12ihipStream_tbDpT10_ENKUlT_T0_E_clISt17integral_constantIbLb1EES1E_IbLb0EEEEDaS1A_S1B_EUlS1A_E_NS1_11comp_targetILNS1_3genE5ELNS1_11target_archE942ELNS1_3gpuE9ELNS1_3repE0EEENS1_30default_config_static_selectorELNS0_4arch9wavefront6targetE0EEEvT1_
                                        ; -- End function
	.set _ZN7rocprim17ROCPRIM_400000_NS6detail17trampoline_kernelINS0_14default_configENS1_25partition_config_selectorILNS1_17partition_subalgoE5EiNS0_10empty_typeEbEEZZNS1_14partition_implILS5_5ELb0ES3_mN6thrust23THRUST_200600_302600_NS6detail15normal_iteratorINSA_10device_ptrIiEEEEPS6_NSA_18transform_iteratorINSB_9not_fun_tI7is_trueIiEEENSC_INSD_IbEEEENSA_11use_defaultESO_EENS0_5tupleIJNSA_16discard_iteratorISO_EES6_EEENSQ_IJSG_SG_EEES6_PlJS6_EEE10hipError_tPvRmT3_T4_T5_T6_T7_T9_mT8_P12ihipStream_tbDpT10_ENKUlT_T0_E_clISt17integral_constantIbLb1EES1E_IbLb0EEEEDaS1A_S1B_EUlS1A_E_NS1_11comp_targetILNS1_3genE5ELNS1_11target_archE942ELNS1_3gpuE9ELNS1_3repE0EEENS1_30default_config_static_selectorELNS0_4arch9wavefront6targetE0EEEvT1_.num_vgpr, 0
	.set _ZN7rocprim17ROCPRIM_400000_NS6detail17trampoline_kernelINS0_14default_configENS1_25partition_config_selectorILNS1_17partition_subalgoE5EiNS0_10empty_typeEbEEZZNS1_14partition_implILS5_5ELb0ES3_mN6thrust23THRUST_200600_302600_NS6detail15normal_iteratorINSA_10device_ptrIiEEEEPS6_NSA_18transform_iteratorINSB_9not_fun_tI7is_trueIiEEENSC_INSD_IbEEEENSA_11use_defaultESO_EENS0_5tupleIJNSA_16discard_iteratorISO_EES6_EEENSQ_IJSG_SG_EEES6_PlJS6_EEE10hipError_tPvRmT3_T4_T5_T6_T7_T9_mT8_P12ihipStream_tbDpT10_ENKUlT_T0_E_clISt17integral_constantIbLb1EES1E_IbLb0EEEEDaS1A_S1B_EUlS1A_E_NS1_11comp_targetILNS1_3genE5ELNS1_11target_archE942ELNS1_3gpuE9ELNS1_3repE0EEENS1_30default_config_static_selectorELNS0_4arch9wavefront6targetE0EEEvT1_.num_agpr, 0
	.set _ZN7rocprim17ROCPRIM_400000_NS6detail17trampoline_kernelINS0_14default_configENS1_25partition_config_selectorILNS1_17partition_subalgoE5EiNS0_10empty_typeEbEEZZNS1_14partition_implILS5_5ELb0ES3_mN6thrust23THRUST_200600_302600_NS6detail15normal_iteratorINSA_10device_ptrIiEEEEPS6_NSA_18transform_iteratorINSB_9not_fun_tI7is_trueIiEEENSC_INSD_IbEEEENSA_11use_defaultESO_EENS0_5tupleIJNSA_16discard_iteratorISO_EES6_EEENSQ_IJSG_SG_EEES6_PlJS6_EEE10hipError_tPvRmT3_T4_T5_T6_T7_T9_mT8_P12ihipStream_tbDpT10_ENKUlT_T0_E_clISt17integral_constantIbLb1EES1E_IbLb0EEEEDaS1A_S1B_EUlS1A_E_NS1_11comp_targetILNS1_3genE5ELNS1_11target_archE942ELNS1_3gpuE9ELNS1_3repE0EEENS1_30default_config_static_selectorELNS0_4arch9wavefront6targetE0EEEvT1_.numbered_sgpr, 0
	.set _ZN7rocprim17ROCPRIM_400000_NS6detail17trampoline_kernelINS0_14default_configENS1_25partition_config_selectorILNS1_17partition_subalgoE5EiNS0_10empty_typeEbEEZZNS1_14partition_implILS5_5ELb0ES3_mN6thrust23THRUST_200600_302600_NS6detail15normal_iteratorINSA_10device_ptrIiEEEEPS6_NSA_18transform_iteratorINSB_9not_fun_tI7is_trueIiEEENSC_INSD_IbEEEENSA_11use_defaultESO_EENS0_5tupleIJNSA_16discard_iteratorISO_EES6_EEENSQ_IJSG_SG_EEES6_PlJS6_EEE10hipError_tPvRmT3_T4_T5_T6_T7_T9_mT8_P12ihipStream_tbDpT10_ENKUlT_T0_E_clISt17integral_constantIbLb1EES1E_IbLb0EEEEDaS1A_S1B_EUlS1A_E_NS1_11comp_targetILNS1_3genE5ELNS1_11target_archE942ELNS1_3gpuE9ELNS1_3repE0EEENS1_30default_config_static_selectorELNS0_4arch9wavefront6targetE0EEEvT1_.num_named_barrier, 0
	.set _ZN7rocprim17ROCPRIM_400000_NS6detail17trampoline_kernelINS0_14default_configENS1_25partition_config_selectorILNS1_17partition_subalgoE5EiNS0_10empty_typeEbEEZZNS1_14partition_implILS5_5ELb0ES3_mN6thrust23THRUST_200600_302600_NS6detail15normal_iteratorINSA_10device_ptrIiEEEEPS6_NSA_18transform_iteratorINSB_9not_fun_tI7is_trueIiEEENSC_INSD_IbEEEENSA_11use_defaultESO_EENS0_5tupleIJNSA_16discard_iteratorISO_EES6_EEENSQ_IJSG_SG_EEES6_PlJS6_EEE10hipError_tPvRmT3_T4_T5_T6_T7_T9_mT8_P12ihipStream_tbDpT10_ENKUlT_T0_E_clISt17integral_constantIbLb1EES1E_IbLb0EEEEDaS1A_S1B_EUlS1A_E_NS1_11comp_targetILNS1_3genE5ELNS1_11target_archE942ELNS1_3gpuE9ELNS1_3repE0EEENS1_30default_config_static_selectorELNS0_4arch9wavefront6targetE0EEEvT1_.private_seg_size, 0
	.set _ZN7rocprim17ROCPRIM_400000_NS6detail17trampoline_kernelINS0_14default_configENS1_25partition_config_selectorILNS1_17partition_subalgoE5EiNS0_10empty_typeEbEEZZNS1_14partition_implILS5_5ELb0ES3_mN6thrust23THRUST_200600_302600_NS6detail15normal_iteratorINSA_10device_ptrIiEEEEPS6_NSA_18transform_iteratorINSB_9not_fun_tI7is_trueIiEEENSC_INSD_IbEEEENSA_11use_defaultESO_EENS0_5tupleIJNSA_16discard_iteratorISO_EES6_EEENSQ_IJSG_SG_EEES6_PlJS6_EEE10hipError_tPvRmT3_T4_T5_T6_T7_T9_mT8_P12ihipStream_tbDpT10_ENKUlT_T0_E_clISt17integral_constantIbLb1EES1E_IbLb0EEEEDaS1A_S1B_EUlS1A_E_NS1_11comp_targetILNS1_3genE5ELNS1_11target_archE942ELNS1_3gpuE9ELNS1_3repE0EEENS1_30default_config_static_selectorELNS0_4arch9wavefront6targetE0EEEvT1_.uses_vcc, 0
	.set _ZN7rocprim17ROCPRIM_400000_NS6detail17trampoline_kernelINS0_14default_configENS1_25partition_config_selectorILNS1_17partition_subalgoE5EiNS0_10empty_typeEbEEZZNS1_14partition_implILS5_5ELb0ES3_mN6thrust23THRUST_200600_302600_NS6detail15normal_iteratorINSA_10device_ptrIiEEEEPS6_NSA_18transform_iteratorINSB_9not_fun_tI7is_trueIiEEENSC_INSD_IbEEEENSA_11use_defaultESO_EENS0_5tupleIJNSA_16discard_iteratorISO_EES6_EEENSQ_IJSG_SG_EEES6_PlJS6_EEE10hipError_tPvRmT3_T4_T5_T6_T7_T9_mT8_P12ihipStream_tbDpT10_ENKUlT_T0_E_clISt17integral_constantIbLb1EES1E_IbLb0EEEEDaS1A_S1B_EUlS1A_E_NS1_11comp_targetILNS1_3genE5ELNS1_11target_archE942ELNS1_3gpuE9ELNS1_3repE0EEENS1_30default_config_static_selectorELNS0_4arch9wavefront6targetE0EEEvT1_.uses_flat_scratch, 0
	.set _ZN7rocprim17ROCPRIM_400000_NS6detail17trampoline_kernelINS0_14default_configENS1_25partition_config_selectorILNS1_17partition_subalgoE5EiNS0_10empty_typeEbEEZZNS1_14partition_implILS5_5ELb0ES3_mN6thrust23THRUST_200600_302600_NS6detail15normal_iteratorINSA_10device_ptrIiEEEEPS6_NSA_18transform_iteratorINSB_9not_fun_tI7is_trueIiEEENSC_INSD_IbEEEENSA_11use_defaultESO_EENS0_5tupleIJNSA_16discard_iteratorISO_EES6_EEENSQ_IJSG_SG_EEES6_PlJS6_EEE10hipError_tPvRmT3_T4_T5_T6_T7_T9_mT8_P12ihipStream_tbDpT10_ENKUlT_T0_E_clISt17integral_constantIbLb1EES1E_IbLb0EEEEDaS1A_S1B_EUlS1A_E_NS1_11comp_targetILNS1_3genE5ELNS1_11target_archE942ELNS1_3gpuE9ELNS1_3repE0EEENS1_30default_config_static_selectorELNS0_4arch9wavefront6targetE0EEEvT1_.has_dyn_sized_stack, 0
	.set _ZN7rocprim17ROCPRIM_400000_NS6detail17trampoline_kernelINS0_14default_configENS1_25partition_config_selectorILNS1_17partition_subalgoE5EiNS0_10empty_typeEbEEZZNS1_14partition_implILS5_5ELb0ES3_mN6thrust23THRUST_200600_302600_NS6detail15normal_iteratorINSA_10device_ptrIiEEEEPS6_NSA_18transform_iteratorINSB_9not_fun_tI7is_trueIiEEENSC_INSD_IbEEEENSA_11use_defaultESO_EENS0_5tupleIJNSA_16discard_iteratorISO_EES6_EEENSQ_IJSG_SG_EEES6_PlJS6_EEE10hipError_tPvRmT3_T4_T5_T6_T7_T9_mT8_P12ihipStream_tbDpT10_ENKUlT_T0_E_clISt17integral_constantIbLb1EES1E_IbLb0EEEEDaS1A_S1B_EUlS1A_E_NS1_11comp_targetILNS1_3genE5ELNS1_11target_archE942ELNS1_3gpuE9ELNS1_3repE0EEENS1_30default_config_static_selectorELNS0_4arch9wavefront6targetE0EEEvT1_.has_recursion, 0
	.set _ZN7rocprim17ROCPRIM_400000_NS6detail17trampoline_kernelINS0_14default_configENS1_25partition_config_selectorILNS1_17partition_subalgoE5EiNS0_10empty_typeEbEEZZNS1_14partition_implILS5_5ELb0ES3_mN6thrust23THRUST_200600_302600_NS6detail15normal_iteratorINSA_10device_ptrIiEEEEPS6_NSA_18transform_iteratorINSB_9not_fun_tI7is_trueIiEEENSC_INSD_IbEEEENSA_11use_defaultESO_EENS0_5tupleIJNSA_16discard_iteratorISO_EES6_EEENSQ_IJSG_SG_EEES6_PlJS6_EEE10hipError_tPvRmT3_T4_T5_T6_T7_T9_mT8_P12ihipStream_tbDpT10_ENKUlT_T0_E_clISt17integral_constantIbLb1EES1E_IbLb0EEEEDaS1A_S1B_EUlS1A_E_NS1_11comp_targetILNS1_3genE5ELNS1_11target_archE942ELNS1_3gpuE9ELNS1_3repE0EEENS1_30default_config_static_selectorELNS0_4arch9wavefront6targetE0EEEvT1_.has_indirect_call, 0
	.section	.AMDGPU.csdata,"",@progbits
; Kernel info:
; codeLenInByte = 0
; TotalNumSgprs: 0
; NumVgprs: 0
; ScratchSize: 0
; MemoryBound: 0
; FloatMode: 240
; IeeeMode: 1
; LDSByteSize: 0 bytes/workgroup (compile time only)
; SGPRBlocks: 0
; VGPRBlocks: 0
; NumSGPRsForWavesPerEU: 1
; NumVGPRsForWavesPerEU: 1
; Occupancy: 16
; WaveLimiterHint : 0
; COMPUTE_PGM_RSRC2:SCRATCH_EN: 0
; COMPUTE_PGM_RSRC2:USER_SGPR: 2
; COMPUTE_PGM_RSRC2:TRAP_HANDLER: 0
; COMPUTE_PGM_RSRC2:TGID_X_EN: 1
; COMPUTE_PGM_RSRC2:TGID_Y_EN: 0
; COMPUTE_PGM_RSRC2:TGID_Z_EN: 0
; COMPUTE_PGM_RSRC2:TIDIG_COMP_CNT: 0
	.section	.text._ZN7rocprim17ROCPRIM_400000_NS6detail17trampoline_kernelINS0_14default_configENS1_25partition_config_selectorILNS1_17partition_subalgoE5EiNS0_10empty_typeEbEEZZNS1_14partition_implILS5_5ELb0ES3_mN6thrust23THRUST_200600_302600_NS6detail15normal_iteratorINSA_10device_ptrIiEEEEPS6_NSA_18transform_iteratorINSB_9not_fun_tI7is_trueIiEEENSC_INSD_IbEEEENSA_11use_defaultESO_EENS0_5tupleIJNSA_16discard_iteratorISO_EES6_EEENSQ_IJSG_SG_EEES6_PlJS6_EEE10hipError_tPvRmT3_T4_T5_T6_T7_T9_mT8_P12ihipStream_tbDpT10_ENKUlT_T0_E_clISt17integral_constantIbLb1EES1E_IbLb0EEEEDaS1A_S1B_EUlS1A_E_NS1_11comp_targetILNS1_3genE4ELNS1_11target_archE910ELNS1_3gpuE8ELNS1_3repE0EEENS1_30default_config_static_selectorELNS0_4arch9wavefront6targetE0EEEvT1_,"axG",@progbits,_ZN7rocprim17ROCPRIM_400000_NS6detail17trampoline_kernelINS0_14default_configENS1_25partition_config_selectorILNS1_17partition_subalgoE5EiNS0_10empty_typeEbEEZZNS1_14partition_implILS5_5ELb0ES3_mN6thrust23THRUST_200600_302600_NS6detail15normal_iteratorINSA_10device_ptrIiEEEEPS6_NSA_18transform_iteratorINSB_9not_fun_tI7is_trueIiEEENSC_INSD_IbEEEENSA_11use_defaultESO_EENS0_5tupleIJNSA_16discard_iteratorISO_EES6_EEENSQ_IJSG_SG_EEES6_PlJS6_EEE10hipError_tPvRmT3_T4_T5_T6_T7_T9_mT8_P12ihipStream_tbDpT10_ENKUlT_T0_E_clISt17integral_constantIbLb1EES1E_IbLb0EEEEDaS1A_S1B_EUlS1A_E_NS1_11comp_targetILNS1_3genE4ELNS1_11target_archE910ELNS1_3gpuE8ELNS1_3repE0EEENS1_30default_config_static_selectorELNS0_4arch9wavefront6targetE0EEEvT1_,comdat
	.protected	_ZN7rocprim17ROCPRIM_400000_NS6detail17trampoline_kernelINS0_14default_configENS1_25partition_config_selectorILNS1_17partition_subalgoE5EiNS0_10empty_typeEbEEZZNS1_14partition_implILS5_5ELb0ES3_mN6thrust23THRUST_200600_302600_NS6detail15normal_iteratorINSA_10device_ptrIiEEEEPS6_NSA_18transform_iteratorINSB_9not_fun_tI7is_trueIiEEENSC_INSD_IbEEEENSA_11use_defaultESO_EENS0_5tupleIJNSA_16discard_iteratorISO_EES6_EEENSQ_IJSG_SG_EEES6_PlJS6_EEE10hipError_tPvRmT3_T4_T5_T6_T7_T9_mT8_P12ihipStream_tbDpT10_ENKUlT_T0_E_clISt17integral_constantIbLb1EES1E_IbLb0EEEEDaS1A_S1B_EUlS1A_E_NS1_11comp_targetILNS1_3genE4ELNS1_11target_archE910ELNS1_3gpuE8ELNS1_3repE0EEENS1_30default_config_static_selectorELNS0_4arch9wavefront6targetE0EEEvT1_ ; -- Begin function _ZN7rocprim17ROCPRIM_400000_NS6detail17trampoline_kernelINS0_14default_configENS1_25partition_config_selectorILNS1_17partition_subalgoE5EiNS0_10empty_typeEbEEZZNS1_14partition_implILS5_5ELb0ES3_mN6thrust23THRUST_200600_302600_NS6detail15normal_iteratorINSA_10device_ptrIiEEEEPS6_NSA_18transform_iteratorINSB_9not_fun_tI7is_trueIiEEENSC_INSD_IbEEEENSA_11use_defaultESO_EENS0_5tupleIJNSA_16discard_iteratorISO_EES6_EEENSQ_IJSG_SG_EEES6_PlJS6_EEE10hipError_tPvRmT3_T4_T5_T6_T7_T9_mT8_P12ihipStream_tbDpT10_ENKUlT_T0_E_clISt17integral_constantIbLb1EES1E_IbLb0EEEEDaS1A_S1B_EUlS1A_E_NS1_11comp_targetILNS1_3genE4ELNS1_11target_archE910ELNS1_3gpuE8ELNS1_3repE0EEENS1_30default_config_static_selectorELNS0_4arch9wavefront6targetE0EEEvT1_
	.globl	_ZN7rocprim17ROCPRIM_400000_NS6detail17trampoline_kernelINS0_14default_configENS1_25partition_config_selectorILNS1_17partition_subalgoE5EiNS0_10empty_typeEbEEZZNS1_14partition_implILS5_5ELb0ES3_mN6thrust23THRUST_200600_302600_NS6detail15normal_iteratorINSA_10device_ptrIiEEEEPS6_NSA_18transform_iteratorINSB_9not_fun_tI7is_trueIiEEENSC_INSD_IbEEEENSA_11use_defaultESO_EENS0_5tupleIJNSA_16discard_iteratorISO_EES6_EEENSQ_IJSG_SG_EEES6_PlJS6_EEE10hipError_tPvRmT3_T4_T5_T6_T7_T9_mT8_P12ihipStream_tbDpT10_ENKUlT_T0_E_clISt17integral_constantIbLb1EES1E_IbLb0EEEEDaS1A_S1B_EUlS1A_E_NS1_11comp_targetILNS1_3genE4ELNS1_11target_archE910ELNS1_3gpuE8ELNS1_3repE0EEENS1_30default_config_static_selectorELNS0_4arch9wavefront6targetE0EEEvT1_
	.p2align	8
	.type	_ZN7rocprim17ROCPRIM_400000_NS6detail17trampoline_kernelINS0_14default_configENS1_25partition_config_selectorILNS1_17partition_subalgoE5EiNS0_10empty_typeEbEEZZNS1_14partition_implILS5_5ELb0ES3_mN6thrust23THRUST_200600_302600_NS6detail15normal_iteratorINSA_10device_ptrIiEEEEPS6_NSA_18transform_iteratorINSB_9not_fun_tI7is_trueIiEEENSC_INSD_IbEEEENSA_11use_defaultESO_EENS0_5tupleIJNSA_16discard_iteratorISO_EES6_EEENSQ_IJSG_SG_EEES6_PlJS6_EEE10hipError_tPvRmT3_T4_T5_T6_T7_T9_mT8_P12ihipStream_tbDpT10_ENKUlT_T0_E_clISt17integral_constantIbLb1EES1E_IbLb0EEEEDaS1A_S1B_EUlS1A_E_NS1_11comp_targetILNS1_3genE4ELNS1_11target_archE910ELNS1_3gpuE8ELNS1_3repE0EEENS1_30default_config_static_selectorELNS0_4arch9wavefront6targetE0EEEvT1_,@function
_ZN7rocprim17ROCPRIM_400000_NS6detail17trampoline_kernelINS0_14default_configENS1_25partition_config_selectorILNS1_17partition_subalgoE5EiNS0_10empty_typeEbEEZZNS1_14partition_implILS5_5ELb0ES3_mN6thrust23THRUST_200600_302600_NS6detail15normal_iteratorINSA_10device_ptrIiEEEEPS6_NSA_18transform_iteratorINSB_9not_fun_tI7is_trueIiEEENSC_INSD_IbEEEENSA_11use_defaultESO_EENS0_5tupleIJNSA_16discard_iteratorISO_EES6_EEENSQ_IJSG_SG_EEES6_PlJS6_EEE10hipError_tPvRmT3_T4_T5_T6_T7_T9_mT8_P12ihipStream_tbDpT10_ENKUlT_T0_E_clISt17integral_constantIbLb1EES1E_IbLb0EEEEDaS1A_S1B_EUlS1A_E_NS1_11comp_targetILNS1_3genE4ELNS1_11target_archE910ELNS1_3gpuE8ELNS1_3repE0EEENS1_30default_config_static_selectorELNS0_4arch9wavefront6targetE0EEEvT1_: ; @_ZN7rocprim17ROCPRIM_400000_NS6detail17trampoline_kernelINS0_14default_configENS1_25partition_config_selectorILNS1_17partition_subalgoE5EiNS0_10empty_typeEbEEZZNS1_14partition_implILS5_5ELb0ES3_mN6thrust23THRUST_200600_302600_NS6detail15normal_iteratorINSA_10device_ptrIiEEEEPS6_NSA_18transform_iteratorINSB_9not_fun_tI7is_trueIiEEENSC_INSD_IbEEEENSA_11use_defaultESO_EENS0_5tupleIJNSA_16discard_iteratorISO_EES6_EEENSQ_IJSG_SG_EEES6_PlJS6_EEE10hipError_tPvRmT3_T4_T5_T6_T7_T9_mT8_P12ihipStream_tbDpT10_ENKUlT_T0_E_clISt17integral_constantIbLb1EES1E_IbLb0EEEEDaS1A_S1B_EUlS1A_E_NS1_11comp_targetILNS1_3genE4ELNS1_11target_archE910ELNS1_3gpuE8ELNS1_3repE0EEENS1_30default_config_static_selectorELNS0_4arch9wavefront6targetE0EEEvT1_
; %bb.0:
	.section	.rodata,"a",@progbits
	.p2align	6, 0x0
	.amdhsa_kernel _ZN7rocprim17ROCPRIM_400000_NS6detail17trampoline_kernelINS0_14default_configENS1_25partition_config_selectorILNS1_17partition_subalgoE5EiNS0_10empty_typeEbEEZZNS1_14partition_implILS5_5ELb0ES3_mN6thrust23THRUST_200600_302600_NS6detail15normal_iteratorINSA_10device_ptrIiEEEEPS6_NSA_18transform_iteratorINSB_9not_fun_tI7is_trueIiEEENSC_INSD_IbEEEENSA_11use_defaultESO_EENS0_5tupleIJNSA_16discard_iteratorISO_EES6_EEENSQ_IJSG_SG_EEES6_PlJS6_EEE10hipError_tPvRmT3_T4_T5_T6_T7_T9_mT8_P12ihipStream_tbDpT10_ENKUlT_T0_E_clISt17integral_constantIbLb1EES1E_IbLb0EEEEDaS1A_S1B_EUlS1A_E_NS1_11comp_targetILNS1_3genE4ELNS1_11target_archE910ELNS1_3gpuE8ELNS1_3repE0EEENS1_30default_config_static_selectorELNS0_4arch9wavefront6targetE0EEEvT1_
		.amdhsa_group_segment_fixed_size 0
		.amdhsa_private_segment_fixed_size 0
		.amdhsa_kernarg_size 128
		.amdhsa_user_sgpr_count 2
		.amdhsa_user_sgpr_dispatch_ptr 0
		.amdhsa_user_sgpr_queue_ptr 0
		.amdhsa_user_sgpr_kernarg_segment_ptr 1
		.amdhsa_user_sgpr_dispatch_id 0
		.amdhsa_user_sgpr_private_segment_size 0
		.amdhsa_wavefront_size32 1
		.amdhsa_uses_dynamic_stack 0
		.amdhsa_enable_private_segment 0
		.amdhsa_system_sgpr_workgroup_id_x 1
		.amdhsa_system_sgpr_workgroup_id_y 0
		.amdhsa_system_sgpr_workgroup_id_z 0
		.amdhsa_system_sgpr_workgroup_info 0
		.amdhsa_system_vgpr_workitem_id 0
		.amdhsa_next_free_vgpr 1
		.amdhsa_next_free_sgpr 1
		.amdhsa_reserve_vcc 0
		.amdhsa_float_round_mode_32 0
		.amdhsa_float_round_mode_16_64 0
		.amdhsa_float_denorm_mode_32 3
		.amdhsa_float_denorm_mode_16_64 3
		.amdhsa_fp16_overflow 0
		.amdhsa_workgroup_processor_mode 1
		.amdhsa_memory_ordered 1
		.amdhsa_forward_progress 1
		.amdhsa_inst_pref_size 0
		.amdhsa_round_robin_scheduling 0
		.amdhsa_exception_fp_ieee_invalid_op 0
		.amdhsa_exception_fp_denorm_src 0
		.amdhsa_exception_fp_ieee_div_zero 0
		.amdhsa_exception_fp_ieee_overflow 0
		.amdhsa_exception_fp_ieee_underflow 0
		.amdhsa_exception_fp_ieee_inexact 0
		.amdhsa_exception_int_div_zero 0
	.end_amdhsa_kernel
	.section	.text._ZN7rocprim17ROCPRIM_400000_NS6detail17trampoline_kernelINS0_14default_configENS1_25partition_config_selectorILNS1_17partition_subalgoE5EiNS0_10empty_typeEbEEZZNS1_14partition_implILS5_5ELb0ES3_mN6thrust23THRUST_200600_302600_NS6detail15normal_iteratorINSA_10device_ptrIiEEEEPS6_NSA_18transform_iteratorINSB_9not_fun_tI7is_trueIiEEENSC_INSD_IbEEEENSA_11use_defaultESO_EENS0_5tupleIJNSA_16discard_iteratorISO_EES6_EEENSQ_IJSG_SG_EEES6_PlJS6_EEE10hipError_tPvRmT3_T4_T5_T6_T7_T9_mT8_P12ihipStream_tbDpT10_ENKUlT_T0_E_clISt17integral_constantIbLb1EES1E_IbLb0EEEEDaS1A_S1B_EUlS1A_E_NS1_11comp_targetILNS1_3genE4ELNS1_11target_archE910ELNS1_3gpuE8ELNS1_3repE0EEENS1_30default_config_static_selectorELNS0_4arch9wavefront6targetE0EEEvT1_,"axG",@progbits,_ZN7rocprim17ROCPRIM_400000_NS6detail17trampoline_kernelINS0_14default_configENS1_25partition_config_selectorILNS1_17partition_subalgoE5EiNS0_10empty_typeEbEEZZNS1_14partition_implILS5_5ELb0ES3_mN6thrust23THRUST_200600_302600_NS6detail15normal_iteratorINSA_10device_ptrIiEEEEPS6_NSA_18transform_iteratorINSB_9not_fun_tI7is_trueIiEEENSC_INSD_IbEEEENSA_11use_defaultESO_EENS0_5tupleIJNSA_16discard_iteratorISO_EES6_EEENSQ_IJSG_SG_EEES6_PlJS6_EEE10hipError_tPvRmT3_T4_T5_T6_T7_T9_mT8_P12ihipStream_tbDpT10_ENKUlT_T0_E_clISt17integral_constantIbLb1EES1E_IbLb0EEEEDaS1A_S1B_EUlS1A_E_NS1_11comp_targetILNS1_3genE4ELNS1_11target_archE910ELNS1_3gpuE8ELNS1_3repE0EEENS1_30default_config_static_selectorELNS0_4arch9wavefront6targetE0EEEvT1_,comdat
.Lfunc_end2799:
	.size	_ZN7rocprim17ROCPRIM_400000_NS6detail17trampoline_kernelINS0_14default_configENS1_25partition_config_selectorILNS1_17partition_subalgoE5EiNS0_10empty_typeEbEEZZNS1_14partition_implILS5_5ELb0ES3_mN6thrust23THRUST_200600_302600_NS6detail15normal_iteratorINSA_10device_ptrIiEEEEPS6_NSA_18transform_iteratorINSB_9not_fun_tI7is_trueIiEEENSC_INSD_IbEEEENSA_11use_defaultESO_EENS0_5tupleIJNSA_16discard_iteratorISO_EES6_EEENSQ_IJSG_SG_EEES6_PlJS6_EEE10hipError_tPvRmT3_T4_T5_T6_T7_T9_mT8_P12ihipStream_tbDpT10_ENKUlT_T0_E_clISt17integral_constantIbLb1EES1E_IbLb0EEEEDaS1A_S1B_EUlS1A_E_NS1_11comp_targetILNS1_3genE4ELNS1_11target_archE910ELNS1_3gpuE8ELNS1_3repE0EEENS1_30default_config_static_selectorELNS0_4arch9wavefront6targetE0EEEvT1_, .Lfunc_end2799-_ZN7rocprim17ROCPRIM_400000_NS6detail17trampoline_kernelINS0_14default_configENS1_25partition_config_selectorILNS1_17partition_subalgoE5EiNS0_10empty_typeEbEEZZNS1_14partition_implILS5_5ELb0ES3_mN6thrust23THRUST_200600_302600_NS6detail15normal_iteratorINSA_10device_ptrIiEEEEPS6_NSA_18transform_iteratorINSB_9not_fun_tI7is_trueIiEEENSC_INSD_IbEEEENSA_11use_defaultESO_EENS0_5tupleIJNSA_16discard_iteratorISO_EES6_EEENSQ_IJSG_SG_EEES6_PlJS6_EEE10hipError_tPvRmT3_T4_T5_T6_T7_T9_mT8_P12ihipStream_tbDpT10_ENKUlT_T0_E_clISt17integral_constantIbLb1EES1E_IbLb0EEEEDaS1A_S1B_EUlS1A_E_NS1_11comp_targetILNS1_3genE4ELNS1_11target_archE910ELNS1_3gpuE8ELNS1_3repE0EEENS1_30default_config_static_selectorELNS0_4arch9wavefront6targetE0EEEvT1_
                                        ; -- End function
	.set _ZN7rocprim17ROCPRIM_400000_NS6detail17trampoline_kernelINS0_14default_configENS1_25partition_config_selectorILNS1_17partition_subalgoE5EiNS0_10empty_typeEbEEZZNS1_14partition_implILS5_5ELb0ES3_mN6thrust23THRUST_200600_302600_NS6detail15normal_iteratorINSA_10device_ptrIiEEEEPS6_NSA_18transform_iteratorINSB_9not_fun_tI7is_trueIiEEENSC_INSD_IbEEEENSA_11use_defaultESO_EENS0_5tupleIJNSA_16discard_iteratorISO_EES6_EEENSQ_IJSG_SG_EEES6_PlJS6_EEE10hipError_tPvRmT3_T4_T5_T6_T7_T9_mT8_P12ihipStream_tbDpT10_ENKUlT_T0_E_clISt17integral_constantIbLb1EES1E_IbLb0EEEEDaS1A_S1B_EUlS1A_E_NS1_11comp_targetILNS1_3genE4ELNS1_11target_archE910ELNS1_3gpuE8ELNS1_3repE0EEENS1_30default_config_static_selectorELNS0_4arch9wavefront6targetE0EEEvT1_.num_vgpr, 0
	.set _ZN7rocprim17ROCPRIM_400000_NS6detail17trampoline_kernelINS0_14default_configENS1_25partition_config_selectorILNS1_17partition_subalgoE5EiNS0_10empty_typeEbEEZZNS1_14partition_implILS5_5ELb0ES3_mN6thrust23THRUST_200600_302600_NS6detail15normal_iteratorINSA_10device_ptrIiEEEEPS6_NSA_18transform_iteratorINSB_9not_fun_tI7is_trueIiEEENSC_INSD_IbEEEENSA_11use_defaultESO_EENS0_5tupleIJNSA_16discard_iteratorISO_EES6_EEENSQ_IJSG_SG_EEES6_PlJS6_EEE10hipError_tPvRmT3_T4_T5_T6_T7_T9_mT8_P12ihipStream_tbDpT10_ENKUlT_T0_E_clISt17integral_constantIbLb1EES1E_IbLb0EEEEDaS1A_S1B_EUlS1A_E_NS1_11comp_targetILNS1_3genE4ELNS1_11target_archE910ELNS1_3gpuE8ELNS1_3repE0EEENS1_30default_config_static_selectorELNS0_4arch9wavefront6targetE0EEEvT1_.num_agpr, 0
	.set _ZN7rocprim17ROCPRIM_400000_NS6detail17trampoline_kernelINS0_14default_configENS1_25partition_config_selectorILNS1_17partition_subalgoE5EiNS0_10empty_typeEbEEZZNS1_14partition_implILS5_5ELb0ES3_mN6thrust23THRUST_200600_302600_NS6detail15normal_iteratorINSA_10device_ptrIiEEEEPS6_NSA_18transform_iteratorINSB_9not_fun_tI7is_trueIiEEENSC_INSD_IbEEEENSA_11use_defaultESO_EENS0_5tupleIJNSA_16discard_iteratorISO_EES6_EEENSQ_IJSG_SG_EEES6_PlJS6_EEE10hipError_tPvRmT3_T4_T5_T6_T7_T9_mT8_P12ihipStream_tbDpT10_ENKUlT_T0_E_clISt17integral_constantIbLb1EES1E_IbLb0EEEEDaS1A_S1B_EUlS1A_E_NS1_11comp_targetILNS1_3genE4ELNS1_11target_archE910ELNS1_3gpuE8ELNS1_3repE0EEENS1_30default_config_static_selectorELNS0_4arch9wavefront6targetE0EEEvT1_.numbered_sgpr, 0
	.set _ZN7rocprim17ROCPRIM_400000_NS6detail17trampoline_kernelINS0_14default_configENS1_25partition_config_selectorILNS1_17partition_subalgoE5EiNS0_10empty_typeEbEEZZNS1_14partition_implILS5_5ELb0ES3_mN6thrust23THRUST_200600_302600_NS6detail15normal_iteratorINSA_10device_ptrIiEEEEPS6_NSA_18transform_iteratorINSB_9not_fun_tI7is_trueIiEEENSC_INSD_IbEEEENSA_11use_defaultESO_EENS0_5tupleIJNSA_16discard_iteratorISO_EES6_EEENSQ_IJSG_SG_EEES6_PlJS6_EEE10hipError_tPvRmT3_T4_T5_T6_T7_T9_mT8_P12ihipStream_tbDpT10_ENKUlT_T0_E_clISt17integral_constantIbLb1EES1E_IbLb0EEEEDaS1A_S1B_EUlS1A_E_NS1_11comp_targetILNS1_3genE4ELNS1_11target_archE910ELNS1_3gpuE8ELNS1_3repE0EEENS1_30default_config_static_selectorELNS0_4arch9wavefront6targetE0EEEvT1_.num_named_barrier, 0
	.set _ZN7rocprim17ROCPRIM_400000_NS6detail17trampoline_kernelINS0_14default_configENS1_25partition_config_selectorILNS1_17partition_subalgoE5EiNS0_10empty_typeEbEEZZNS1_14partition_implILS5_5ELb0ES3_mN6thrust23THRUST_200600_302600_NS6detail15normal_iteratorINSA_10device_ptrIiEEEEPS6_NSA_18transform_iteratorINSB_9not_fun_tI7is_trueIiEEENSC_INSD_IbEEEENSA_11use_defaultESO_EENS0_5tupleIJNSA_16discard_iteratorISO_EES6_EEENSQ_IJSG_SG_EEES6_PlJS6_EEE10hipError_tPvRmT3_T4_T5_T6_T7_T9_mT8_P12ihipStream_tbDpT10_ENKUlT_T0_E_clISt17integral_constantIbLb1EES1E_IbLb0EEEEDaS1A_S1B_EUlS1A_E_NS1_11comp_targetILNS1_3genE4ELNS1_11target_archE910ELNS1_3gpuE8ELNS1_3repE0EEENS1_30default_config_static_selectorELNS0_4arch9wavefront6targetE0EEEvT1_.private_seg_size, 0
	.set _ZN7rocprim17ROCPRIM_400000_NS6detail17trampoline_kernelINS0_14default_configENS1_25partition_config_selectorILNS1_17partition_subalgoE5EiNS0_10empty_typeEbEEZZNS1_14partition_implILS5_5ELb0ES3_mN6thrust23THRUST_200600_302600_NS6detail15normal_iteratorINSA_10device_ptrIiEEEEPS6_NSA_18transform_iteratorINSB_9not_fun_tI7is_trueIiEEENSC_INSD_IbEEEENSA_11use_defaultESO_EENS0_5tupleIJNSA_16discard_iteratorISO_EES6_EEENSQ_IJSG_SG_EEES6_PlJS6_EEE10hipError_tPvRmT3_T4_T5_T6_T7_T9_mT8_P12ihipStream_tbDpT10_ENKUlT_T0_E_clISt17integral_constantIbLb1EES1E_IbLb0EEEEDaS1A_S1B_EUlS1A_E_NS1_11comp_targetILNS1_3genE4ELNS1_11target_archE910ELNS1_3gpuE8ELNS1_3repE0EEENS1_30default_config_static_selectorELNS0_4arch9wavefront6targetE0EEEvT1_.uses_vcc, 0
	.set _ZN7rocprim17ROCPRIM_400000_NS6detail17trampoline_kernelINS0_14default_configENS1_25partition_config_selectorILNS1_17partition_subalgoE5EiNS0_10empty_typeEbEEZZNS1_14partition_implILS5_5ELb0ES3_mN6thrust23THRUST_200600_302600_NS6detail15normal_iteratorINSA_10device_ptrIiEEEEPS6_NSA_18transform_iteratorINSB_9not_fun_tI7is_trueIiEEENSC_INSD_IbEEEENSA_11use_defaultESO_EENS0_5tupleIJNSA_16discard_iteratorISO_EES6_EEENSQ_IJSG_SG_EEES6_PlJS6_EEE10hipError_tPvRmT3_T4_T5_T6_T7_T9_mT8_P12ihipStream_tbDpT10_ENKUlT_T0_E_clISt17integral_constantIbLb1EES1E_IbLb0EEEEDaS1A_S1B_EUlS1A_E_NS1_11comp_targetILNS1_3genE4ELNS1_11target_archE910ELNS1_3gpuE8ELNS1_3repE0EEENS1_30default_config_static_selectorELNS0_4arch9wavefront6targetE0EEEvT1_.uses_flat_scratch, 0
	.set _ZN7rocprim17ROCPRIM_400000_NS6detail17trampoline_kernelINS0_14default_configENS1_25partition_config_selectorILNS1_17partition_subalgoE5EiNS0_10empty_typeEbEEZZNS1_14partition_implILS5_5ELb0ES3_mN6thrust23THRUST_200600_302600_NS6detail15normal_iteratorINSA_10device_ptrIiEEEEPS6_NSA_18transform_iteratorINSB_9not_fun_tI7is_trueIiEEENSC_INSD_IbEEEENSA_11use_defaultESO_EENS0_5tupleIJNSA_16discard_iteratorISO_EES6_EEENSQ_IJSG_SG_EEES6_PlJS6_EEE10hipError_tPvRmT3_T4_T5_T6_T7_T9_mT8_P12ihipStream_tbDpT10_ENKUlT_T0_E_clISt17integral_constantIbLb1EES1E_IbLb0EEEEDaS1A_S1B_EUlS1A_E_NS1_11comp_targetILNS1_3genE4ELNS1_11target_archE910ELNS1_3gpuE8ELNS1_3repE0EEENS1_30default_config_static_selectorELNS0_4arch9wavefront6targetE0EEEvT1_.has_dyn_sized_stack, 0
	.set _ZN7rocprim17ROCPRIM_400000_NS6detail17trampoline_kernelINS0_14default_configENS1_25partition_config_selectorILNS1_17partition_subalgoE5EiNS0_10empty_typeEbEEZZNS1_14partition_implILS5_5ELb0ES3_mN6thrust23THRUST_200600_302600_NS6detail15normal_iteratorINSA_10device_ptrIiEEEEPS6_NSA_18transform_iteratorINSB_9not_fun_tI7is_trueIiEEENSC_INSD_IbEEEENSA_11use_defaultESO_EENS0_5tupleIJNSA_16discard_iteratorISO_EES6_EEENSQ_IJSG_SG_EEES6_PlJS6_EEE10hipError_tPvRmT3_T4_T5_T6_T7_T9_mT8_P12ihipStream_tbDpT10_ENKUlT_T0_E_clISt17integral_constantIbLb1EES1E_IbLb0EEEEDaS1A_S1B_EUlS1A_E_NS1_11comp_targetILNS1_3genE4ELNS1_11target_archE910ELNS1_3gpuE8ELNS1_3repE0EEENS1_30default_config_static_selectorELNS0_4arch9wavefront6targetE0EEEvT1_.has_recursion, 0
	.set _ZN7rocprim17ROCPRIM_400000_NS6detail17trampoline_kernelINS0_14default_configENS1_25partition_config_selectorILNS1_17partition_subalgoE5EiNS0_10empty_typeEbEEZZNS1_14partition_implILS5_5ELb0ES3_mN6thrust23THRUST_200600_302600_NS6detail15normal_iteratorINSA_10device_ptrIiEEEEPS6_NSA_18transform_iteratorINSB_9not_fun_tI7is_trueIiEEENSC_INSD_IbEEEENSA_11use_defaultESO_EENS0_5tupleIJNSA_16discard_iteratorISO_EES6_EEENSQ_IJSG_SG_EEES6_PlJS6_EEE10hipError_tPvRmT3_T4_T5_T6_T7_T9_mT8_P12ihipStream_tbDpT10_ENKUlT_T0_E_clISt17integral_constantIbLb1EES1E_IbLb0EEEEDaS1A_S1B_EUlS1A_E_NS1_11comp_targetILNS1_3genE4ELNS1_11target_archE910ELNS1_3gpuE8ELNS1_3repE0EEENS1_30default_config_static_selectorELNS0_4arch9wavefront6targetE0EEEvT1_.has_indirect_call, 0
	.section	.AMDGPU.csdata,"",@progbits
; Kernel info:
; codeLenInByte = 0
; TotalNumSgprs: 0
; NumVgprs: 0
; ScratchSize: 0
; MemoryBound: 0
; FloatMode: 240
; IeeeMode: 1
; LDSByteSize: 0 bytes/workgroup (compile time only)
; SGPRBlocks: 0
; VGPRBlocks: 0
; NumSGPRsForWavesPerEU: 1
; NumVGPRsForWavesPerEU: 1
; Occupancy: 16
; WaveLimiterHint : 0
; COMPUTE_PGM_RSRC2:SCRATCH_EN: 0
; COMPUTE_PGM_RSRC2:USER_SGPR: 2
; COMPUTE_PGM_RSRC2:TRAP_HANDLER: 0
; COMPUTE_PGM_RSRC2:TGID_X_EN: 1
; COMPUTE_PGM_RSRC2:TGID_Y_EN: 0
; COMPUTE_PGM_RSRC2:TGID_Z_EN: 0
; COMPUTE_PGM_RSRC2:TIDIG_COMP_CNT: 0
	.section	.text._ZN7rocprim17ROCPRIM_400000_NS6detail17trampoline_kernelINS0_14default_configENS1_25partition_config_selectorILNS1_17partition_subalgoE5EiNS0_10empty_typeEbEEZZNS1_14partition_implILS5_5ELb0ES3_mN6thrust23THRUST_200600_302600_NS6detail15normal_iteratorINSA_10device_ptrIiEEEEPS6_NSA_18transform_iteratorINSB_9not_fun_tI7is_trueIiEEENSC_INSD_IbEEEENSA_11use_defaultESO_EENS0_5tupleIJNSA_16discard_iteratorISO_EES6_EEENSQ_IJSG_SG_EEES6_PlJS6_EEE10hipError_tPvRmT3_T4_T5_T6_T7_T9_mT8_P12ihipStream_tbDpT10_ENKUlT_T0_E_clISt17integral_constantIbLb1EES1E_IbLb0EEEEDaS1A_S1B_EUlS1A_E_NS1_11comp_targetILNS1_3genE3ELNS1_11target_archE908ELNS1_3gpuE7ELNS1_3repE0EEENS1_30default_config_static_selectorELNS0_4arch9wavefront6targetE0EEEvT1_,"axG",@progbits,_ZN7rocprim17ROCPRIM_400000_NS6detail17trampoline_kernelINS0_14default_configENS1_25partition_config_selectorILNS1_17partition_subalgoE5EiNS0_10empty_typeEbEEZZNS1_14partition_implILS5_5ELb0ES3_mN6thrust23THRUST_200600_302600_NS6detail15normal_iteratorINSA_10device_ptrIiEEEEPS6_NSA_18transform_iteratorINSB_9not_fun_tI7is_trueIiEEENSC_INSD_IbEEEENSA_11use_defaultESO_EENS0_5tupleIJNSA_16discard_iteratorISO_EES6_EEENSQ_IJSG_SG_EEES6_PlJS6_EEE10hipError_tPvRmT3_T4_T5_T6_T7_T9_mT8_P12ihipStream_tbDpT10_ENKUlT_T0_E_clISt17integral_constantIbLb1EES1E_IbLb0EEEEDaS1A_S1B_EUlS1A_E_NS1_11comp_targetILNS1_3genE3ELNS1_11target_archE908ELNS1_3gpuE7ELNS1_3repE0EEENS1_30default_config_static_selectorELNS0_4arch9wavefront6targetE0EEEvT1_,comdat
	.protected	_ZN7rocprim17ROCPRIM_400000_NS6detail17trampoline_kernelINS0_14default_configENS1_25partition_config_selectorILNS1_17partition_subalgoE5EiNS0_10empty_typeEbEEZZNS1_14partition_implILS5_5ELb0ES3_mN6thrust23THRUST_200600_302600_NS6detail15normal_iteratorINSA_10device_ptrIiEEEEPS6_NSA_18transform_iteratorINSB_9not_fun_tI7is_trueIiEEENSC_INSD_IbEEEENSA_11use_defaultESO_EENS0_5tupleIJNSA_16discard_iteratorISO_EES6_EEENSQ_IJSG_SG_EEES6_PlJS6_EEE10hipError_tPvRmT3_T4_T5_T6_T7_T9_mT8_P12ihipStream_tbDpT10_ENKUlT_T0_E_clISt17integral_constantIbLb1EES1E_IbLb0EEEEDaS1A_S1B_EUlS1A_E_NS1_11comp_targetILNS1_3genE3ELNS1_11target_archE908ELNS1_3gpuE7ELNS1_3repE0EEENS1_30default_config_static_selectorELNS0_4arch9wavefront6targetE0EEEvT1_ ; -- Begin function _ZN7rocprim17ROCPRIM_400000_NS6detail17trampoline_kernelINS0_14default_configENS1_25partition_config_selectorILNS1_17partition_subalgoE5EiNS0_10empty_typeEbEEZZNS1_14partition_implILS5_5ELb0ES3_mN6thrust23THRUST_200600_302600_NS6detail15normal_iteratorINSA_10device_ptrIiEEEEPS6_NSA_18transform_iteratorINSB_9not_fun_tI7is_trueIiEEENSC_INSD_IbEEEENSA_11use_defaultESO_EENS0_5tupleIJNSA_16discard_iteratorISO_EES6_EEENSQ_IJSG_SG_EEES6_PlJS6_EEE10hipError_tPvRmT3_T4_T5_T6_T7_T9_mT8_P12ihipStream_tbDpT10_ENKUlT_T0_E_clISt17integral_constantIbLb1EES1E_IbLb0EEEEDaS1A_S1B_EUlS1A_E_NS1_11comp_targetILNS1_3genE3ELNS1_11target_archE908ELNS1_3gpuE7ELNS1_3repE0EEENS1_30default_config_static_selectorELNS0_4arch9wavefront6targetE0EEEvT1_
	.globl	_ZN7rocprim17ROCPRIM_400000_NS6detail17trampoline_kernelINS0_14default_configENS1_25partition_config_selectorILNS1_17partition_subalgoE5EiNS0_10empty_typeEbEEZZNS1_14partition_implILS5_5ELb0ES3_mN6thrust23THRUST_200600_302600_NS6detail15normal_iteratorINSA_10device_ptrIiEEEEPS6_NSA_18transform_iteratorINSB_9not_fun_tI7is_trueIiEEENSC_INSD_IbEEEENSA_11use_defaultESO_EENS0_5tupleIJNSA_16discard_iteratorISO_EES6_EEENSQ_IJSG_SG_EEES6_PlJS6_EEE10hipError_tPvRmT3_T4_T5_T6_T7_T9_mT8_P12ihipStream_tbDpT10_ENKUlT_T0_E_clISt17integral_constantIbLb1EES1E_IbLb0EEEEDaS1A_S1B_EUlS1A_E_NS1_11comp_targetILNS1_3genE3ELNS1_11target_archE908ELNS1_3gpuE7ELNS1_3repE0EEENS1_30default_config_static_selectorELNS0_4arch9wavefront6targetE0EEEvT1_
	.p2align	8
	.type	_ZN7rocprim17ROCPRIM_400000_NS6detail17trampoline_kernelINS0_14default_configENS1_25partition_config_selectorILNS1_17partition_subalgoE5EiNS0_10empty_typeEbEEZZNS1_14partition_implILS5_5ELb0ES3_mN6thrust23THRUST_200600_302600_NS6detail15normal_iteratorINSA_10device_ptrIiEEEEPS6_NSA_18transform_iteratorINSB_9not_fun_tI7is_trueIiEEENSC_INSD_IbEEEENSA_11use_defaultESO_EENS0_5tupleIJNSA_16discard_iteratorISO_EES6_EEENSQ_IJSG_SG_EEES6_PlJS6_EEE10hipError_tPvRmT3_T4_T5_T6_T7_T9_mT8_P12ihipStream_tbDpT10_ENKUlT_T0_E_clISt17integral_constantIbLb1EES1E_IbLb0EEEEDaS1A_S1B_EUlS1A_E_NS1_11comp_targetILNS1_3genE3ELNS1_11target_archE908ELNS1_3gpuE7ELNS1_3repE0EEENS1_30default_config_static_selectorELNS0_4arch9wavefront6targetE0EEEvT1_,@function
_ZN7rocprim17ROCPRIM_400000_NS6detail17trampoline_kernelINS0_14default_configENS1_25partition_config_selectorILNS1_17partition_subalgoE5EiNS0_10empty_typeEbEEZZNS1_14partition_implILS5_5ELb0ES3_mN6thrust23THRUST_200600_302600_NS6detail15normal_iteratorINSA_10device_ptrIiEEEEPS6_NSA_18transform_iteratorINSB_9not_fun_tI7is_trueIiEEENSC_INSD_IbEEEENSA_11use_defaultESO_EENS0_5tupleIJNSA_16discard_iteratorISO_EES6_EEENSQ_IJSG_SG_EEES6_PlJS6_EEE10hipError_tPvRmT3_T4_T5_T6_T7_T9_mT8_P12ihipStream_tbDpT10_ENKUlT_T0_E_clISt17integral_constantIbLb1EES1E_IbLb0EEEEDaS1A_S1B_EUlS1A_E_NS1_11comp_targetILNS1_3genE3ELNS1_11target_archE908ELNS1_3gpuE7ELNS1_3repE0EEENS1_30default_config_static_selectorELNS0_4arch9wavefront6targetE0EEEvT1_: ; @_ZN7rocprim17ROCPRIM_400000_NS6detail17trampoline_kernelINS0_14default_configENS1_25partition_config_selectorILNS1_17partition_subalgoE5EiNS0_10empty_typeEbEEZZNS1_14partition_implILS5_5ELb0ES3_mN6thrust23THRUST_200600_302600_NS6detail15normal_iteratorINSA_10device_ptrIiEEEEPS6_NSA_18transform_iteratorINSB_9not_fun_tI7is_trueIiEEENSC_INSD_IbEEEENSA_11use_defaultESO_EENS0_5tupleIJNSA_16discard_iteratorISO_EES6_EEENSQ_IJSG_SG_EEES6_PlJS6_EEE10hipError_tPvRmT3_T4_T5_T6_T7_T9_mT8_P12ihipStream_tbDpT10_ENKUlT_T0_E_clISt17integral_constantIbLb1EES1E_IbLb0EEEEDaS1A_S1B_EUlS1A_E_NS1_11comp_targetILNS1_3genE3ELNS1_11target_archE908ELNS1_3gpuE7ELNS1_3repE0EEENS1_30default_config_static_selectorELNS0_4arch9wavefront6targetE0EEEvT1_
; %bb.0:
	.section	.rodata,"a",@progbits
	.p2align	6, 0x0
	.amdhsa_kernel _ZN7rocprim17ROCPRIM_400000_NS6detail17trampoline_kernelINS0_14default_configENS1_25partition_config_selectorILNS1_17partition_subalgoE5EiNS0_10empty_typeEbEEZZNS1_14partition_implILS5_5ELb0ES3_mN6thrust23THRUST_200600_302600_NS6detail15normal_iteratorINSA_10device_ptrIiEEEEPS6_NSA_18transform_iteratorINSB_9not_fun_tI7is_trueIiEEENSC_INSD_IbEEEENSA_11use_defaultESO_EENS0_5tupleIJNSA_16discard_iteratorISO_EES6_EEENSQ_IJSG_SG_EEES6_PlJS6_EEE10hipError_tPvRmT3_T4_T5_T6_T7_T9_mT8_P12ihipStream_tbDpT10_ENKUlT_T0_E_clISt17integral_constantIbLb1EES1E_IbLb0EEEEDaS1A_S1B_EUlS1A_E_NS1_11comp_targetILNS1_3genE3ELNS1_11target_archE908ELNS1_3gpuE7ELNS1_3repE0EEENS1_30default_config_static_selectorELNS0_4arch9wavefront6targetE0EEEvT1_
		.amdhsa_group_segment_fixed_size 0
		.amdhsa_private_segment_fixed_size 0
		.amdhsa_kernarg_size 128
		.amdhsa_user_sgpr_count 2
		.amdhsa_user_sgpr_dispatch_ptr 0
		.amdhsa_user_sgpr_queue_ptr 0
		.amdhsa_user_sgpr_kernarg_segment_ptr 1
		.amdhsa_user_sgpr_dispatch_id 0
		.amdhsa_user_sgpr_private_segment_size 0
		.amdhsa_wavefront_size32 1
		.amdhsa_uses_dynamic_stack 0
		.amdhsa_enable_private_segment 0
		.amdhsa_system_sgpr_workgroup_id_x 1
		.amdhsa_system_sgpr_workgroup_id_y 0
		.amdhsa_system_sgpr_workgroup_id_z 0
		.amdhsa_system_sgpr_workgroup_info 0
		.amdhsa_system_vgpr_workitem_id 0
		.amdhsa_next_free_vgpr 1
		.amdhsa_next_free_sgpr 1
		.amdhsa_reserve_vcc 0
		.amdhsa_float_round_mode_32 0
		.amdhsa_float_round_mode_16_64 0
		.amdhsa_float_denorm_mode_32 3
		.amdhsa_float_denorm_mode_16_64 3
		.amdhsa_fp16_overflow 0
		.amdhsa_workgroup_processor_mode 1
		.amdhsa_memory_ordered 1
		.amdhsa_forward_progress 1
		.amdhsa_inst_pref_size 0
		.amdhsa_round_robin_scheduling 0
		.amdhsa_exception_fp_ieee_invalid_op 0
		.amdhsa_exception_fp_denorm_src 0
		.amdhsa_exception_fp_ieee_div_zero 0
		.amdhsa_exception_fp_ieee_overflow 0
		.amdhsa_exception_fp_ieee_underflow 0
		.amdhsa_exception_fp_ieee_inexact 0
		.amdhsa_exception_int_div_zero 0
	.end_amdhsa_kernel
	.section	.text._ZN7rocprim17ROCPRIM_400000_NS6detail17trampoline_kernelINS0_14default_configENS1_25partition_config_selectorILNS1_17partition_subalgoE5EiNS0_10empty_typeEbEEZZNS1_14partition_implILS5_5ELb0ES3_mN6thrust23THRUST_200600_302600_NS6detail15normal_iteratorINSA_10device_ptrIiEEEEPS6_NSA_18transform_iteratorINSB_9not_fun_tI7is_trueIiEEENSC_INSD_IbEEEENSA_11use_defaultESO_EENS0_5tupleIJNSA_16discard_iteratorISO_EES6_EEENSQ_IJSG_SG_EEES6_PlJS6_EEE10hipError_tPvRmT3_T4_T5_T6_T7_T9_mT8_P12ihipStream_tbDpT10_ENKUlT_T0_E_clISt17integral_constantIbLb1EES1E_IbLb0EEEEDaS1A_S1B_EUlS1A_E_NS1_11comp_targetILNS1_3genE3ELNS1_11target_archE908ELNS1_3gpuE7ELNS1_3repE0EEENS1_30default_config_static_selectorELNS0_4arch9wavefront6targetE0EEEvT1_,"axG",@progbits,_ZN7rocprim17ROCPRIM_400000_NS6detail17trampoline_kernelINS0_14default_configENS1_25partition_config_selectorILNS1_17partition_subalgoE5EiNS0_10empty_typeEbEEZZNS1_14partition_implILS5_5ELb0ES3_mN6thrust23THRUST_200600_302600_NS6detail15normal_iteratorINSA_10device_ptrIiEEEEPS6_NSA_18transform_iteratorINSB_9not_fun_tI7is_trueIiEEENSC_INSD_IbEEEENSA_11use_defaultESO_EENS0_5tupleIJNSA_16discard_iteratorISO_EES6_EEENSQ_IJSG_SG_EEES6_PlJS6_EEE10hipError_tPvRmT3_T4_T5_T6_T7_T9_mT8_P12ihipStream_tbDpT10_ENKUlT_T0_E_clISt17integral_constantIbLb1EES1E_IbLb0EEEEDaS1A_S1B_EUlS1A_E_NS1_11comp_targetILNS1_3genE3ELNS1_11target_archE908ELNS1_3gpuE7ELNS1_3repE0EEENS1_30default_config_static_selectorELNS0_4arch9wavefront6targetE0EEEvT1_,comdat
.Lfunc_end2800:
	.size	_ZN7rocprim17ROCPRIM_400000_NS6detail17trampoline_kernelINS0_14default_configENS1_25partition_config_selectorILNS1_17partition_subalgoE5EiNS0_10empty_typeEbEEZZNS1_14partition_implILS5_5ELb0ES3_mN6thrust23THRUST_200600_302600_NS6detail15normal_iteratorINSA_10device_ptrIiEEEEPS6_NSA_18transform_iteratorINSB_9not_fun_tI7is_trueIiEEENSC_INSD_IbEEEENSA_11use_defaultESO_EENS0_5tupleIJNSA_16discard_iteratorISO_EES6_EEENSQ_IJSG_SG_EEES6_PlJS6_EEE10hipError_tPvRmT3_T4_T5_T6_T7_T9_mT8_P12ihipStream_tbDpT10_ENKUlT_T0_E_clISt17integral_constantIbLb1EES1E_IbLb0EEEEDaS1A_S1B_EUlS1A_E_NS1_11comp_targetILNS1_3genE3ELNS1_11target_archE908ELNS1_3gpuE7ELNS1_3repE0EEENS1_30default_config_static_selectorELNS0_4arch9wavefront6targetE0EEEvT1_, .Lfunc_end2800-_ZN7rocprim17ROCPRIM_400000_NS6detail17trampoline_kernelINS0_14default_configENS1_25partition_config_selectorILNS1_17partition_subalgoE5EiNS0_10empty_typeEbEEZZNS1_14partition_implILS5_5ELb0ES3_mN6thrust23THRUST_200600_302600_NS6detail15normal_iteratorINSA_10device_ptrIiEEEEPS6_NSA_18transform_iteratorINSB_9not_fun_tI7is_trueIiEEENSC_INSD_IbEEEENSA_11use_defaultESO_EENS0_5tupleIJNSA_16discard_iteratorISO_EES6_EEENSQ_IJSG_SG_EEES6_PlJS6_EEE10hipError_tPvRmT3_T4_T5_T6_T7_T9_mT8_P12ihipStream_tbDpT10_ENKUlT_T0_E_clISt17integral_constantIbLb1EES1E_IbLb0EEEEDaS1A_S1B_EUlS1A_E_NS1_11comp_targetILNS1_3genE3ELNS1_11target_archE908ELNS1_3gpuE7ELNS1_3repE0EEENS1_30default_config_static_selectorELNS0_4arch9wavefront6targetE0EEEvT1_
                                        ; -- End function
	.set _ZN7rocprim17ROCPRIM_400000_NS6detail17trampoline_kernelINS0_14default_configENS1_25partition_config_selectorILNS1_17partition_subalgoE5EiNS0_10empty_typeEbEEZZNS1_14partition_implILS5_5ELb0ES3_mN6thrust23THRUST_200600_302600_NS6detail15normal_iteratorINSA_10device_ptrIiEEEEPS6_NSA_18transform_iteratorINSB_9not_fun_tI7is_trueIiEEENSC_INSD_IbEEEENSA_11use_defaultESO_EENS0_5tupleIJNSA_16discard_iteratorISO_EES6_EEENSQ_IJSG_SG_EEES6_PlJS6_EEE10hipError_tPvRmT3_T4_T5_T6_T7_T9_mT8_P12ihipStream_tbDpT10_ENKUlT_T0_E_clISt17integral_constantIbLb1EES1E_IbLb0EEEEDaS1A_S1B_EUlS1A_E_NS1_11comp_targetILNS1_3genE3ELNS1_11target_archE908ELNS1_3gpuE7ELNS1_3repE0EEENS1_30default_config_static_selectorELNS0_4arch9wavefront6targetE0EEEvT1_.num_vgpr, 0
	.set _ZN7rocprim17ROCPRIM_400000_NS6detail17trampoline_kernelINS0_14default_configENS1_25partition_config_selectorILNS1_17partition_subalgoE5EiNS0_10empty_typeEbEEZZNS1_14partition_implILS5_5ELb0ES3_mN6thrust23THRUST_200600_302600_NS6detail15normal_iteratorINSA_10device_ptrIiEEEEPS6_NSA_18transform_iteratorINSB_9not_fun_tI7is_trueIiEEENSC_INSD_IbEEEENSA_11use_defaultESO_EENS0_5tupleIJNSA_16discard_iteratorISO_EES6_EEENSQ_IJSG_SG_EEES6_PlJS6_EEE10hipError_tPvRmT3_T4_T5_T6_T7_T9_mT8_P12ihipStream_tbDpT10_ENKUlT_T0_E_clISt17integral_constantIbLb1EES1E_IbLb0EEEEDaS1A_S1B_EUlS1A_E_NS1_11comp_targetILNS1_3genE3ELNS1_11target_archE908ELNS1_3gpuE7ELNS1_3repE0EEENS1_30default_config_static_selectorELNS0_4arch9wavefront6targetE0EEEvT1_.num_agpr, 0
	.set _ZN7rocprim17ROCPRIM_400000_NS6detail17trampoline_kernelINS0_14default_configENS1_25partition_config_selectorILNS1_17partition_subalgoE5EiNS0_10empty_typeEbEEZZNS1_14partition_implILS5_5ELb0ES3_mN6thrust23THRUST_200600_302600_NS6detail15normal_iteratorINSA_10device_ptrIiEEEEPS6_NSA_18transform_iteratorINSB_9not_fun_tI7is_trueIiEEENSC_INSD_IbEEEENSA_11use_defaultESO_EENS0_5tupleIJNSA_16discard_iteratorISO_EES6_EEENSQ_IJSG_SG_EEES6_PlJS6_EEE10hipError_tPvRmT3_T4_T5_T6_T7_T9_mT8_P12ihipStream_tbDpT10_ENKUlT_T0_E_clISt17integral_constantIbLb1EES1E_IbLb0EEEEDaS1A_S1B_EUlS1A_E_NS1_11comp_targetILNS1_3genE3ELNS1_11target_archE908ELNS1_3gpuE7ELNS1_3repE0EEENS1_30default_config_static_selectorELNS0_4arch9wavefront6targetE0EEEvT1_.numbered_sgpr, 0
	.set _ZN7rocprim17ROCPRIM_400000_NS6detail17trampoline_kernelINS0_14default_configENS1_25partition_config_selectorILNS1_17partition_subalgoE5EiNS0_10empty_typeEbEEZZNS1_14partition_implILS5_5ELb0ES3_mN6thrust23THRUST_200600_302600_NS6detail15normal_iteratorINSA_10device_ptrIiEEEEPS6_NSA_18transform_iteratorINSB_9not_fun_tI7is_trueIiEEENSC_INSD_IbEEEENSA_11use_defaultESO_EENS0_5tupleIJNSA_16discard_iteratorISO_EES6_EEENSQ_IJSG_SG_EEES6_PlJS6_EEE10hipError_tPvRmT3_T4_T5_T6_T7_T9_mT8_P12ihipStream_tbDpT10_ENKUlT_T0_E_clISt17integral_constantIbLb1EES1E_IbLb0EEEEDaS1A_S1B_EUlS1A_E_NS1_11comp_targetILNS1_3genE3ELNS1_11target_archE908ELNS1_3gpuE7ELNS1_3repE0EEENS1_30default_config_static_selectorELNS0_4arch9wavefront6targetE0EEEvT1_.num_named_barrier, 0
	.set _ZN7rocprim17ROCPRIM_400000_NS6detail17trampoline_kernelINS0_14default_configENS1_25partition_config_selectorILNS1_17partition_subalgoE5EiNS0_10empty_typeEbEEZZNS1_14partition_implILS5_5ELb0ES3_mN6thrust23THRUST_200600_302600_NS6detail15normal_iteratorINSA_10device_ptrIiEEEEPS6_NSA_18transform_iteratorINSB_9not_fun_tI7is_trueIiEEENSC_INSD_IbEEEENSA_11use_defaultESO_EENS0_5tupleIJNSA_16discard_iteratorISO_EES6_EEENSQ_IJSG_SG_EEES6_PlJS6_EEE10hipError_tPvRmT3_T4_T5_T6_T7_T9_mT8_P12ihipStream_tbDpT10_ENKUlT_T0_E_clISt17integral_constantIbLb1EES1E_IbLb0EEEEDaS1A_S1B_EUlS1A_E_NS1_11comp_targetILNS1_3genE3ELNS1_11target_archE908ELNS1_3gpuE7ELNS1_3repE0EEENS1_30default_config_static_selectorELNS0_4arch9wavefront6targetE0EEEvT1_.private_seg_size, 0
	.set _ZN7rocprim17ROCPRIM_400000_NS6detail17trampoline_kernelINS0_14default_configENS1_25partition_config_selectorILNS1_17partition_subalgoE5EiNS0_10empty_typeEbEEZZNS1_14partition_implILS5_5ELb0ES3_mN6thrust23THRUST_200600_302600_NS6detail15normal_iteratorINSA_10device_ptrIiEEEEPS6_NSA_18transform_iteratorINSB_9not_fun_tI7is_trueIiEEENSC_INSD_IbEEEENSA_11use_defaultESO_EENS0_5tupleIJNSA_16discard_iteratorISO_EES6_EEENSQ_IJSG_SG_EEES6_PlJS6_EEE10hipError_tPvRmT3_T4_T5_T6_T7_T9_mT8_P12ihipStream_tbDpT10_ENKUlT_T0_E_clISt17integral_constantIbLb1EES1E_IbLb0EEEEDaS1A_S1B_EUlS1A_E_NS1_11comp_targetILNS1_3genE3ELNS1_11target_archE908ELNS1_3gpuE7ELNS1_3repE0EEENS1_30default_config_static_selectorELNS0_4arch9wavefront6targetE0EEEvT1_.uses_vcc, 0
	.set _ZN7rocprim17ROCPRIM_400000_NS6detail17trampoline_kernelINS0_14default_configENS1_25partition_config_selectorILNS1_17partition_subalgoE5EiNS0_10empty_typeEbEEZZNS1_14partition_implILS5_5ELb0ES3_mN6thrust23THRUST_200600_302600_NS6detail15normal_iteratorINSA_10device_ptrIiEEEEPS6_NSA_18transform_iteratorINSB_9not_fun_tI7is_trueIiEEENSC_INSD_IbEEEENSA_11use_defaultESO_EENS0_5tupleIJNSA_16discard_iteratorISO_EES6_EEENSQ_IJSG_SG_EEES6_PlJS6_EEE10hipError_tPvRmT3_T4_T5_T6_T7_T9_mT8_P12ihipStream_tbDpT10_ENKUlT_T0_E_clISt17integral_constantIbLb1EES1E_IbLb0EEEEDaS1A_S1B_EUlS1A_E_NS1_11comp_targetILNS1_3genE3ELNS1_11target_archE908ELNS1_3gpuE7ELNS1_3repE0EEENS1_30default_config_static_selectorELNS0_4arch9wavefront6targetE0EEEvT1_.uses_flat_scratch, 0
	.set _ZN7rocprim17ROCPRIM_400000_NS6detail17trampoline_kernelINS0_14default_configENS1_25partition_config_selectorILNS1_17partition_subalgoE5EiNS0_10empty_typeEbEEZZNS1_14partition_implILS5_5ELb0ES3_mN6thrust23THRUST_200600_302600_NS6detail15normal_iteratorINSA_10device_ptrIiEEEEPS6_NSA_18transform_iteratorINSB_9not_fun_tI7is_trueIiEEENSC_INSD_IbEEEENSA_11use_defaultESO_EENS0_5tupleIJNSA_16discard_iteratorISO_EES6_EEENSQ_IJSG_SG_EEES6_PlJS6_EEE10hipError_tPvRmT3_T4_T5_T6_T7_T9_mT8_P12ihipStream_tbDpT10_ENKUlT_T0_E_clISt17integral_constantIbLb1EES1E_IbLb0EEEEDaS1A_S1B_EUlS1A_E_NS1_11comp_targetILNS1_3genE3ELNS1_11target_archE908ELNS1_3gpuE7ELNS1_3repE0EEENS1_30default_config_static_selectorELNS0_4arch9wavefront6targetE0EEEvT1_.has_dyn_sized_stack, 0
	.set _ZN7rocprim17ROCPRIM_400000_NS6detail17trampoline_kernelINS0_14default_configENS1_25partition_config_selectorILNS1_17partition_subalgoE5EiNS0_10empty_typeEbEEZZNS1_14partition_implILS5_5ELb0ES3_mN6thrust23THRUST_200600_302600_NS6detail15normal_iteratorINSA_10device_ptrIiEEEEPS6_NSA_18transform_iteratorINSB_9not_fun_tI7is_trueIiEEENSC_INSD_IbEEEENSA_11use_defaultESO_EENS0_5tupleIJNSA_16discard_iteratorISO_EES6_EEENSQ_IJSG_SG_EEES6_PlJS6_EEE10hipError_tPvRmT3_T4_T5_T6_T7_T9_mT8_P12ihipStream_tbDpT10_ENKUlT_T0_E_clISt17integral_constantIbLb1EES1E_IbLb0EEEEDaS1A_S1B_EUlS1A_E_NS1_11comp_targetILNS1_3genE3ELNS1_11target_archE908ELNS1_3gpuE7ELNS1_3repE0EEENS1_30default_config_static_selectorELNS0_4arch9wavefront6targetE0EEEvT1_.has_recursion, 0
	.set _ZN7rocprim17ROCPRIM_400000_NS6detail17trampoline_kernelINS0_14default_configENS1_25partition_config_selectorILNS1_17partition_subalgoE5EiNS0_10empty_typeEbEEZZNS1_14partition_implILS5_5ELb0ES3_mN6thrust23THRUST_200600_302600_NS6detail15normal_iteratorINSA_10device_ptrIiEEEEPS6_NSA_18transform_iteratorINSB_9not_fun_tI7is_trueIiEEENSC_INSD_IbEEEENSA_11use_defaultESO_EENS0_5tupleIJNSA_16discard_iteratorISO_EES6_EEENSQ_IJSG_SG_EEES6_PlJS6_EEE10hipError_tPvRmT3_T4_T5_T6_T7_T9_mT8_P12ihipStream_tbDpT10_ENKUlT_T0_E_clISt17integral_constantIbLb1EES1E_IbLb0EEEEDaS1A_S1B_EUlS1A_E_NS1_11comp_targetILNS1_3genE3ELNS1_11target_archE908ELNS1_3gpuE7ELNS1_3repE0EEENS1_30default_config_static_selectorELNS0_4arch9wavefront6targetE0EEEvT1_.has_indirect_call, 0
	.section	.AMDGPU.csdata,"",@progbits
; Kernel info:
; codeLenInByte = 0
; TotalNumSgprs: 0
; NumVgprs: 0
; ScratchSize: 0
; MemoryBound: 0
; FloatMode: 240
; IeeeMode: 1
; LDSByteSize: 0 bytes/workgroup (compile time only)
; SGPRBlocks: 0
; VGPRBlocks: 0
; NumSGPRsForWavesPerEU: 1
; NumVGPRsForWavesPerEU: 1
; Occupancy: 16
; WaveLimiterHint : 0
; COMPUTE_PGM_RSRC2:SCRATCH_EN: 0
; COMPUTE_PGM_RSRC2:USER_SGPR: 2
; COMPUTE_PGM_RSRC2:TRAP_HANDLER: 0
; COMPUTE_PGM_RSRC2:TGID_X_EN: 1
; COMPUTE_PGM_RSRC2:TGID_Y_EN: 0
; COMPUTE_PGM_RSRC2:TGID_Z_EN: 0
; COMPUTE_PGM_RSRC2:TIDIG_COMP_CNT: 0
	.section	.text._ZN7rocprim17ROCPRIM_400000_NS6detail17trampoline_kernelINS0_14default_configENS1_25partition_config_selectorILNS1_17partition_subalgoE5EiNS0_10empty_typeEbEEZZNS1_14partition_implILS5_5ELb0ES3_mN6thrust23THRUST_200600_302600_NS6detail15normal_iteratorINSA_10device_ptrIiEEEEPS6_NSA_18transform_iteratorINSB_9not_fun_tI7is_trueIiEEENSC_INSD_IbEEEENSA_11use_defaultESO_EENS0_5tupleIJNSA_16discard_iteratorISO_EES6_EEENSQ_IJSG_SG_EEES6_PlJS6_EEE10hipError_tPvRmT3_T4_T5_T6_T7_T9_mT8_P12ihipStream_tbDpT10_ENKUlT_T0_E_clISt17integral_constantIbLb1EES1E_IbLb0EEEEDaS1A_S1B_EUlS1A_E_NS1_11comp_targetILNS1_3genE2ELNS1_11target_archE906ELNS1_3gpuE6ELNS1_3repE0EEENS1_30default_config_static_selectorELNS0_4arch9wavefront6targetE0EEEvT1_,"axG",@progbits,_ZN7rocprim17ROCPRIM_400000_NS6detail17trampoline_kernelINS0_14default_configENS1_25partition_config_selectorILNS1_17partition_subalgoE5EiNS0_10empty_typeEbEEZZNS1_14partition_implILS5_5ELb0ES3_mN6thrust23THRUST_200600_302600_NS6detail15normal_iteratorINSA_10device_ptrIiEEEEPS6_NSA_18transform_iteratorINSB_9not_fun_tI7is_trueIiEEENSC_INSD_IbEEEENSA_11use_defaultESO_EENS0_5tupleIJNSA_16discard_iteratorISO_EES6_EEENSQ_IJSG_SG_EEES6_PlJS6_EEE10hipError_tPvRmT3_T4_T5_T6_T7_T9_mT8_P12ihipStream_tbDpT10_ENKUlT_T0_E_clISt17integral_constantIbLb1EES1E_IbLb0EEEEDaS1A_S1B_EUlS1A_E_NS1_11comp_targetILNS1_3genE2ELNS1_11target_archE906ELNS1_3gpuE6ELNS1_3repE0EEENS1_30default_config_static_selectorELNS0_4arch9wavefront6targetE0EEEvT1_,comdat
	.protected	_ZN7rocprim17ROCPRIM_400000_NS6detail17trampoline_kernelINS0_14default_configENS1_25partition_config_selectorILNS1_17partition_subalgoE5EiNS0_10empty_typeEbEEZZNS1_14partition_implILS5_5ELb0ES3_mN6thrust23THRUST_200600_302600_NS6detail15normal_iteratorINSA_10device_ptrIiEEEEPS6_NSA_18transform_iteratorINSB_9not_fun_tI7is_trueIiEEENSC_INSD_IbEEEENSA_11use_defaultESO_EENS0_5tupleIJNSA_16discard_iteratorISO_EES6_EEENSQ_IJSG_SG_EEES6_PlJS6_EEE10hipError_tPvRmT3_T4_T5_T6_T7_T9_mT8_P12ihipStream_tbDpT10_ENKUlT_T0_E_clISt17integral_constantIbLb1EES1E_IbLb0EEEEDaS1A_S1B_EUlS1A_E_NS1_11comp_targetILNS1_3genE2ELNS1_11target_archE906ELNS1_3gpuE6ELNS1_3repE0EEENS1_30default_config_static_selectorELNS0_4arch9wavefront6targetE0EEEvT1_ ; -- Begin function _ZN7rocprim17ROCPRIM_400000_NS6detail17trampoline_kernelINS0_14default_configENS1_25partition_config_selectorILNS1_17partition_subalgoE5EiNS0_10empty_typeEbEEZZNS1_14partition_implILS5_5ELb0ES3_mN6thrust23THRUST_200600_302600_NS6detail15normal_iteratorINSA_10device_ptrIiEEEEPS6_NSA_18transform_iteratorINSB_9not_fun_tI7is_trueIiEEENSC_INSD_IbEEEENSA_11use_defaultESO_EENS0_5tupleIJNSA_16discard_iteratorISO_EES6_EEENSQ_IJSG_SG_EEES6_PlJS6_EEE10hipError_tPvRmT3_T4_T5_T6_T7_T9_mT8_P12ihipStream_tbDpT10_ENKUlT_T0_E_clISt17integral_constantIbLb1EES1E_IbLb0EEEEDaS1A_S1B_EUlS1A_E_NS1_11comp_targetILNS1_3genE2ELNS1_11target_archE906ELNS1_3gpuE6ELNS1_3repE0EEENS1_30default_config_static_selectorELNS0_4arch9wavefront6targetE0EEEvT1_
	.globl	_ZN7rocprim17ROCPRIM_400000_NS6detail17trampoline_kernelINS0_14default_configENS1_25partition_config_selectorILNS1_17partition_subalgoE5EiNS0_10empty_typeEbEEZZNS1_14partition_implILS5_5ELb0ES3_mN6thrust23THRUST_200600_302600_NS6detail15normal_iteratorINSA_10device_ptrIiEEEEPS6_NSA_18transform_iteratorINSB_9not_fun_tI7is_trueIiEEENSC_INSD_IbEEEENSA_11use_defaultESO_EENS0_5tupleIJNSA_16discard_iteratorISO_EES6_EEENSQ_IJSG_SG_EEES6_PlJS6_EEE10hipError_tPvRmT3_T4_T5_T6_T7_T9_mT8_P12ihipStream_tbDpT10_ENKUlT_T0_E_clISt17integral_constantIbLb1EES1E_IbLb0EEEEDaS1A_S1B_EUlS1A_E_NS1_11comp_targetILNS1_3genE2ELNS1_11target_archE906ELNS1_3gpuE6ELNS1_3repE0EEENS1_30default_config_static_selectorELNS0_4arch9wavefront6targetE0EEEvT1_
	.p2align	8
	.type	_ZN7rocprim17ROCPRIM_400000_NS6detail17trampoline_kernelINS0_14default_configENS1_25partition_config_selectorILNS1_17partition_subalgoE5EiNS0_10empty_typeEbEEZZNS1_14partition_implILS5_5ELb0ES3_mN6thrust23THRUST_200600_302600_NS6detail15normal_iteratorINSA_10device_ptrIiEEEEPS6_NSA_18transform_iteratorINSB_9not_fun_tI7is_trueIiEEENSC_INSD_IbEEEENSA_11use_defaultESO_EENS0_5tupleIJNSA_16discard_iteratorISO_EES6_EEENSQ_IJSG_SG_EEES6_PlJS6_EEE10hipError_tPvRmT3_T4_T5_T6_T7_T9_mT8_P12ihipStream_tbDpT10_ENKUlT_T0_E_clISt17integral_constantIbLb1EES1E_IbLb0EEEEDaS1A_S1B_EUlS1A_E_NS1_11comp_targetILNS1_3genE2ELNS1_11target_archE906ELNS1_3gpuE6ELNS1_3repE0EEENS1_30default_config_static_selectorELNS0_4arch9wavefront6targetE0EEEvT1_,@function
_ZN7rocprim17ROCPRIM_400000_NS6detail17trampoline_kernelINS0_14default_configENS1_25partition_config_selectorILNS1_17partition_subalgoE5EiNS0_10empty_typeEbEEZZNS1_14partition_implILS5_5ELb0ES3_mN6thrust23THRUST_200600_302600_NS6detail15normal_iteratorINSA_10device_ptrIiEEEEPS6_NSA_18transform_iteratorINSB_9not_fun_tI7is_trueIiEEENSC_INSD_IbEEEENSA_11use_defaultESO_EENS0_5tupleIJNSA_16discard_iteratorISO_EES6_EEENSQ_IJSG_SG_EEES6_PlJS6_EEE10hipError_tPvRmT3_T4_T5_T6_T7_T9_mT8_P12ihipStream_tbDpT10_ENKUlT_T0_E_clISt17integral_constantIbLb1EES1E_IbLb0EEEEDaS1A_S1B_EUlS1A_E_NS1_11comp_targetILNS1_3genE2ELNS1_11target_archE906ELNS1_3gpuE6ELNS1_3repE0EEENS1_30default_config_static_selectorELNS0_4arch9wavefront6targetE0EEEvT1_: ; @_ZN7rocprim17ROCPRIM_400000_NS6detail17trampoline_kernelINS0_14default_configENS1_25partition_config_selectorILNS1_17partition_subalgoE5EiNS0_10empty_typeEbEEZZNS1_14partition_implILS5_5ELb0ES3_mN6thrust23THRUST_200600_302600_NS6detail15normal_iteratorINSA_10device_ptrIiEEEEPS6_NSA_18transform_iteratorINSB_9not_fun_tI7is_trueIiEEENSC_INSD_IbEEEENSA_11use_defaultESO_EENS0_5tupleIJNSA_16discard_iteratorISO_EES6_EEENSQ_IJSG_SG_EEES6_PlJS6_EEE10hipError_tPvRmT3_T4_T5_T6_T7_T9_mT8_P12ihipStream_tbDpT10_ENKUlT_T0_E_clISt17integral_constantIbLb1EES1E_IbLb0EEEEDaS1A_S1B_EUlS1A_E_NS1_11comp_targetILNS1_3genE2ELNS1_11target_archE906ELNS1_3gpuE6ELNS1_3repE0EEENS1_30default_config_static_selectorELNS0_4arch9wavefront6targetE0EEEvT1_
; %bb.0:
	.section	.rodata,"a",@progbits
	.p2align	6, 0x0
	.amdhsa_kernel _ZN7rocprim17ROCPRIM_400000_NS6detail17trampoline_kernelINS0_14default_configENS1_25partition_config_selectorILNS1_17partition_subalgoE5EiNS0_10empty_typeEbEEZZNS1_14partition_implILS5_5ELb0ES3_mN6thrust23THRUST_200600_302600_NS6detail15normal_iteratorINSA_10device_ptrIiEEEEPS6_NSA_18transform_iteratorINSB_9not_fun_tI7is_trueIiEEENSC_INSD_IbEEEENSA_11use_defaultESO_EENS0_5tupleIJNSA_16discard_iteratorISO_EES6_EEENSQ_IJSG_SG_EEES6_PlJS6_EEE10hipError_tPvRmT3_T4_T5_T6_T7_T9_mT8_P12ihipStream_tbDpT10_ENKUlT_T0_E_clISt17integral_constantIbLb1EES1E_IbLb0EEEEDaS1A_S1B_EUlS1A_E_NS1_11comp_targetILNS1_3genE2ELNS1_11target_archE906ELNS1_3gpuE6ELNS1_3repE0EEENS1_30default_config_static_selectorELNS0_4arch9wavefront6targetE0EEEvT1_
		.amdhsa_group_segment_fixed_size 0
		.amdhsa_private_segment_fixed_size 0
		.amdhsa_kernarg_size 128
		.amdhsa_user_sgpr_count 2
		.amdhsa_user_sgpr_dispatch_ptr 0
		.amdhsa_user_sgpr_queue_ptr 0
		.amdhsa_user_sgpr_kernarg_segment_ptr 1
		.amdhsa_user_sgpr_dispatch_id 0
		.amdhsa_user_sgpr_private_segment_size 0
		.amdhsa_wavefront_size32 1
		.amdhsa_uses_dynamic_stack 0
		.amdhsa_enable_private_segment 0
		.amdhsa_system_sgpr_workgroup_id_x 1
		.amdhsa_system_sgpr_workgroup_id_y 0
		.amdhsa_system_sgpr_workgroup_id_z 0
		.amdhsa_system_sgpr_workgroup_info 0
		.amdhsa_system_vgpr_workitem_id 0
		.amdhsa_next_free_vgpr 1
		.amdhsa_next_free_sgpr 1
		.amdhsa_reserve_vcc 0
		.amdhsa_float_round_mode_32 0
		.amdhsa_float_round_mode_16_64 0
		.amdhsa_float_denorm_mode_32 3
		.amdhsa_float_denorm_mode_16_64 3
		.amdhsa_fp16_overflow 0
		.amdhsa_workgroup_processor_mode 1
		.amdhsa_memory_ordered 1
		.amdhsa_forward_progress 1
		.amdhsa_inst_pref_size 0
		.amdhsa_round_robin_scheduling 0
		.amdhsa_exception_fp_ieee_invalid_op 0
		.amdhsa_exception_fp_denorm_src 0
		.amdhsa_exception_fp_ieee_div_zero 0
		.amdhsa_exception_fp_ieee_overflow 0
		.amdhsa_exception_fp_ieee_underflow 0
		.amdhsa_exception_fp_ieee_inexact 0
		.amdhsa_exception_int_div_zero 0
	.end_amdhsa_kernel
	.section	.text._ZN7rocprim17ROCPRIM_400000_NS6detail17trampoline_kernelINS0_14default_configENS1_25partition_config_selectorILNS1_17partition_subalgoE5EiNS0_10empty_typeEbEEZZNS1_14partition_implILS5_5ELb0ES3_mN6thrust23THRUST_200600_302600_NS6detail15normal_iteratorINSA_10device_ptrIiEEEEPS6_NSA_18transform_iteratorINSB_9not_fun_tI7is_trueIiEEENSC_INSD_IbEEEENSA_11use_defaultESO_EENS0_5tupleIJNSA_16discard_iteratorISO_EES6_EEENSQ_IJSG_SG_EEES6_PlJS6_EEE10hipError_tPvRmT3_T4_T5_T6_T7_T9_mT8_P12ihipStream_tbDpT10_ENKUlT_T0_E_clISt17integral_constantIbLb1EES1E_IbLb0EEEEDaS1A_S1B_EUlS1A_E_NS1_11comp_targetILNS1_3genE2ELNS1_11target_archE906ELNS1_3gpuE6ELNS1_3repE0EEENS1_30default_config_static_selectorELNS0_4arch9wavefront6targetE0EEEvT1_,"axG",@progbits,_ZN7rocprim17ROCPRIM_400000_NS6detail17trampoline_kernelINS0_14default_configENS1_25partition_config_selectorILNS1_17partition_subalgoE5EiNS0_10empty_typeEbEEZZNS1_14partition_implILS5_5ELb0ES3_mN6thrust23THRUST_200600_302600_NS6detail15normal_iteratorINSA_10device_ptrIiEEEEPS6_NSA_18transform_iteratorINSB_9not_fun_tI7is_trueIiEEENSC_INSD_IbEEEENSA_11use_defaultESO_EENS0_5tupleIJNSA_16discard_iteratorISO_EES6_EEENSQ_IJSG_SG_EEES6_PlJS6_EEE10hipError_tPvRmT3_T4_T5_T6_T7_T9_mT8_P12ihipStream_tbDpT10_ENKUlT_T0_E_clISt17integral_constantIbLb1EES1E_IbLb0EEEEDaS1A_S1B_EUlS1A_E_NS1_11comp_targetILNS1_3genE2ELNS1_11target_archE906ELNS1_3gpuE6ELNS1_3repE0EEENS1_30default_config_static_selectorELNS0_4arch9wavefront6targetE0EEEvT1_,comdat
.Lfunc_end2801:
	.size	_ZN7rocprim17ROCPRIM_400000_NS6detail17trampoline_kernelINS0_14default_configENS1_25partition_config_selectorILNS1_17partition_subalgoE5EiNS0_10empty_typeEbEEZZNS1_14partition_implILS5_5ELb0ES3_mN6thrust23THRUST_200600_302600_NS6detail15normal_iteratorINSA_10device_ptrIiEEEEPS6_NSA_18transform_iteratorINSB_9not_fun_tI7is_trueIiEEENSC_INSD_IbEEEENSA_11use_defaultESO_EENS0_5tupleIJNSA_16discard_iteratorISO_EES6_EEENSQ_IJSG_SG_EEES6_PlJS6_EEE10hipError_tPvRmT3_T4_T5_T6_T7_T9_mT8_P12ihipStream_tbDpT10_ENKUlT_T0_E_clISt17integral_constantIbLb1EES1E_IbLb0EEEEDaS1A_S1B_EUlS1A_E_NS1_11comp_targetILNS1_3genE2ELNS1_11target_archE906ELNS1_3gpuE6ELNS1_3repE0EEENS1_30default_config_static_selectorELNS0_4arch9wavefront6targetE0EEEvT1_, .Lfunc_end2801-_ZN7rocprim17ROCPRIM_400000_NS6detail17trampoline_kernelINS0_14default_configENS1_25partition_config_selectorILNS1_17partition_subalgoE5EiNS0_10empty_typeEbEEZZNS1_14partition_implILS5_5ELb0ES3_mN6thrust23THRUST_200600_302600_NS6detail15normal_iteratorINSA_10device_ptrIiEEEEPS6_NSA_18transform_iteratorINSB_9not_fun_tI7is_trueIiEEENSC_INSD_IbEEEENSA_11use_defaultESO_EENS0_5tupleIJNSA_16discard_iteratorISO_EES6_EEENSQ_IJSG_SG_EEES6_PlJS6_EEE10hipError_tPvRmT3_T4_T5_T6_T7_T9_mT8_P12ihipStream_tbDpT10_ENKUlT_T0_E_clISt17integral_constantIbLb1EES1E_IbLb0EEEEDaS1A_S1B_EUlS1A_E_NS1_11comp_targetILNS1_3genE2ELNS1_11target_archE906ELNS1_3gpuE6ELNS1_3repE0EEENS1_30default_config_static_selectorELNS0_4arch9wavefront6targetE0EEEvT1_
                                        ; -- End function
	.set _ZN7rocprim17ROCPRIM_400000_NS6detail17trampoline_kernelINS0_14default_configENS1_25partition_config_selectorILNS1_17partition_subalgoE5EiNS0_10empty_typeEbEEZZNS1_14partition_implILS5_5ELb0ES3_mN6thrust23THRUST_200600_302600_NS6detail15normal_iteratorINSA_10device_ptrIiEEEEPS6_NSA_18transform_iteratorINSB_9not_fun_tI7is_trueIiEEENSC_INSD_IbEEEENSA_11use_defaultESO_EENS0_5tupleIJNSA_16discard_iteratorISO_EES6_EEENSQ_IJSG_SG_EEES6_PlJS6_EEE10hipError_tPvRmT3_T4_T5_T6_T7_T9_mT8_P12ihipStream_tbDpT10_ENKUlT_T0_E_clISt17integral_constantIbLb1EES1E_IbLb0EEEEDaS1A_S1B_EUlS1A_E_NS1_11comp_targetILNS1_3genE2ELNS1_11target_archE906ELNS1_3gpuE6ELNS1_3repE0EEENS1_30default_config_static_selectorELNS0_4arch9wavefront6targetE0EEEvT1_.num_vgpr, 0
	.set _ZN7rocprim17ROCPRIM_400000_NS6detail17trampoline_kernelINS0_14default_configENS1_25partition_config_selectorILNS1_17partition_subalgoE5EiNS0_10empty_typeEbEEZZNS1_14partition_implILS5_5ELb0ES3_mN6thrust23THRUST_200600_302600_NS6detail15normal_iteratorINSA_10device_ptrIiEEEEPS6_NSA_18transform_iteratorINSB_9not_fun_tI7is_trueIiEEENSC_INSD_IbEEEENSA_11use_defaultESO_EENS0_5tupleIJNSA_16discard_iteratorISO_EES6_EEENSQ_IJSG_SG_EEES6_PlJS6_EEE10hipError_tPvRmT3_T4_T5_T6_T7_T9_mT8_P12ihipStream_tbDpT10_ENKUlT_T0_E_clISt17integral_constantIbLb1EES1E_IbLb0EEEEDaS1A_S1B_EUlS1A_E_NS1_11comp_targetILNS1_3genE2ELNS1_11target_archE906ELNS1_3gpuE6ELNS1_3repE0EEENS1_30default_config_static_selectorELNS0_4arch9wavefront6targetE0EEEvT1_.num_agpr, 0
	.set _ZN7rocprim17ROCPRIM_400000_NS6detail17trampoline_kernelINS0_14default_configENS1_25partition_config_selectorILNS1_17partition_subalgoE5EiNS0_10empty_typeEbEEZZNS1_14partition_implILS5_5ELb0ES3_mN6thrust23THRUST_200600_302600_NS6detail15normal_iteratorINSA_10device_ptrIiEEEEPS6_NSA_18transform_iteratorINSB_9not_fun_tI7is_trueIiEEENSC_INSD_IbEEEENSA_11use_defaultESO_EENS0_5tupleIJNSA_16discard_iteratorISO_EES6_EEENSQ_IJSG_SG_EEES6_PlJS6_EEE10hipError_tPvRmT3_T4_T5_T6_T7_T9_mT8_P12ihipStream_tbDpT10_ENKUlT_T0_E_clISt17integral_constantIbLb1EES1E_IbLb0EEEEDaS1A_S1B_EUlS1A_E_NS1_11comp_targetILNS1_3genE2ELNS1_11target_archE906ELNS1_3gpuE6ELNS1_3repE0EEENS1_30default_config_static_selectorELNS0_4arch9wavefront6targetE0EEEvT1_.numbered_sgpr, 0
	.set _ZN7rocprim17ROCPRIM_400000_NS6detail17trampoline_kernelINS0_14default_configENS1_25partition_config_selectorILNS1_17partition_subalgoE5EiNS0_10empty_typeEbEEZZNS1_14partition_implILS5_5ELb0ES3_mN6thrust23THRUST_200600_302600_NS6detail15normal_iteratorINSA_10device_ptrIiEEEEPS6_NSA_18transform_iteratorINSB_9not_fun_tI7is_trueIiEEENSC_INSD_IbEEEENSA_11use_defaultESO_EENS0_5tupleIJNSA_16discard_iteratorISO_EES6_EEENSQ_IJSG_SG_EEES6_PlJS6_EEE10hipError_tPvRmT3_T4_T5_T6_T7_T9_mT8_P12ihipStream_tbDpT10_ENKUlT_T0_E_clISt17integral_constantIbLb1EES1E_IbLb0EEEEDaS1A_S1B_EUlS1A_E_NS1_11comp_targetILNS1_3genE2ELNS1_11target_archE906ELNS1_3gpuE6ELNS1_3repE0EEENS1_30default_config_static_selectorELNS0_4arch9wavefront6targetE0EEEvT1_.num_named_barrier, 0
	.set _ZN7rocprim17ROCPRIM_400000_NS6detail17trampoline_kernelINS0_14default_configENS1_25partition_config_selectorILNS1_17partition_subalgoE5EiNS0_10empty_typeEbEEZZNS1_14partition_implILS5_5ELb0ES3_mN6thrust23THRUST_200600_302600_NS6detail15normal_iteratorINSA_10device_ptrIiEEEEPS6_NSA_18transform_iteratorINSB_9not_fun_tI7is_trueIiEEENSC_INSD_IbEEEENSA_11use_defaultESO_EENS0_5tupleIJNSA_16discard_iteratorISO_EES6_EEENSQ_IJSG_SG_EEES6_PlJS6_EEE10hipError_tPvRmT3_T4_T5_T6_T7_T9_mT8_P12ihipStream_tbDpT10_ENKUlT_T0_E_clISt17integral_constantIbLb1EES1E_IbLb0EEEEDaS1A_S1B_EUlS1A_E_NS1_11comp_targetILNS1_3genE2ELNS1_11target_archE906ELNS1_3gpuE6ELNS1_3repE0EEENS1_30default_config_static_selectorELNS0_4arch9wavefront6targetE0EEEvT1_.private_seg_size, 0
	.set _ZN7rocprim17ROCPRIM_400000_NS6detail17trampoline_kernelINS0_14default_configENS1_25partition_config_selectorILNS1_17partition_subalgoE5EiNS0_10empty_typeEbEEZZNS1_14partition_implILS5_5ELb0ES3_mN6thrust23THRUST_200600_302600_NS6detail15normal_iteratorINSA_10device_ptrIiEEEEPS6_NSA_18transform_iteratorINSB_9not_fun_tI7is_trueIiEEENSC_INSD_IbEEEENSA_11use_defaultESO_EENS0_5tupleIJNSA_16discard_iteratorISO_EES6_EEENSQ_IJSG_SG_EEES6_PlJS6_EEE10hipError_tPvRmT3_T4_T5_T6_T7_T9_mT8_P12ihipStream_tbDpT10_ENKUlT_T0_E_clISt17integral_constantIbLb1EES1E_IbLb0EEEEDaS1A_S1B_EUlS1A_E_NS1_11comp_targetILNS1_3genE2ELNS1_11target_archE906ELNS1_3gpuE6ELNS1_3repE0EEENS1_30default_config_static_selectorELNS0_4arch9wavefront6targetE0EEEvT1_.uses_vcc, 0
	.set _ZN7rocprim17ROCPRIM_400000_NS6detail17trampoline_kernelINS0_14default_configENS1_25partition_config_selectorILNS1_17partition_subalgoE5EiNS0_10empty_typeEbEEZZNS1_14partition_implILS5_5ELb0ES3_mN6thrust23THRUST_200600_302600_NS6detail15normal_iteratorINSA_10device_ptrIiEEEEPS6_NSA_18transform_iteratorINSB_9not_fun_tI7is_trueIiEEENSC_INSD_IbEEEENSA_11use_defaultESO_EENS0_5tupleIJNSA_16discard_iteratorISO_EES6_EEENSQ_IJSG_SG_EEES6_PlJS6_EEE10hipError_tPvRmT3_T4_T5_T6_T7_T9_mT8_P12ihipStream_tbDpT10_ENKUlT_T0_E_clISt17integral_constantIbLb1EES1E_IbLb0EEEEDaS1A_S1B_EUlS1A_E_NS1_11comp_targetILNS1_3genE2ELNS1_11target_archE906ELNS1_3gpuE6ELNS1_3repE0EEENS1_30default_config_static_selectorELNS0_4arch9wavefront6targetE0EEEvT1_.uses_flat_scratch, 0
	.set _ZN7rocprim17ROCPRIM_400000_NS6detail17trampoline_kernelINS0_14default_configENS1_25partition_config_selectorILNS1_17partition_subalgoE5EiNS0_10empty_typeEbEEZZNS1_14partition_implILS5_5ELb0ES3_mN6thrust23THRUST_200600_302600_NS6detail15normal_iteratorINSA_10device_ptrIiEEEEPS6_NSA_18transform_iteratorINSB_9not_fun_tI7is_trueIiEEENSC_INSD_IbEEEENSA_11use_defaultESO_EENS0_5tupleIJNSA_16discard_iteratorISO_EES6_EEENSQ_IJSG_SG_EEES6_PlJS6_EEE10hipError_tPvRmT3_T4_T5_T6_T7_T9_mT8_P12ihipStream_tbDpT10_ENKUlT_T0_E_clISt17integral_constantIbLb1EES1E_IbLb0EEEEDaS1A_S1B_EUlS1A_E_NS1_11comp_targetILNS1_3genE2ELNS1_11target_archE906ELNS1_3gpuE6ELNS1_3repE0EEENS1_30default_config_static_selectorELNS0_4arch9wavefront6targetE0EEEvT1_.has_dyn_sized_stack, 0
	.set _ZN7rocprim17ROCPRIM_400000_NS6detail17trampoline_kernelINS0_14default_configENS1_25partition_config_selectorILNS1_17partition_subalgoE5EiNS0_10empty_typeEbEEZZNS1_14partition_implILS5_5ELb0ES3_mN6thrust23THRUST_200600_302600_NS6detail15normal_iteratorINSA_10device_ptrIiEEEEPS6_NSA_18transform_iteratorINSB_9not_fun_tI7is_trueIiEEENSC_INSD_IbEEEENSA_11use_defaultESO_EENS0_5tupleIJNSA_16discard_iteratorISO_EES6_EEENSQ_IJSG_SG_EEES6_PlJS6_EEE10hipError_tPvRmT3_T4_T5_T6_T7_T9_mT8_P12ihipStream_tbDpT10_ENKUlT_T0_E_clISt17integral_constantIbLb1EES1E_IbLb0EEEEDaS1A_S1B_EUlS1A_E_NS1_11comp_targetILNS1_3genE2ELNS1_11target_archE906ELNS1_3gpuE6ELNS1_3repE0EEENS1_30default_config_static_selectorELNS0_4arch9wavefront6targetE0EEEvT1_.has_recursion, 0
	.set _ZN7rocprim17ROCPRIM_400000_NS6detail17trampoline_kernelINS0_14default_configENS1_25partition_config_selectorILNS1_17partition_subalgoE5EiNS0_10empty_typeEbEEZZNS1_14partition_implILS5_5ELb0ES3_mN6thrust23THRUST_200600_302600_NS6detail15normal_iteratorINSA_10device_ptrIiEEEEPS6_NSA_18transform_iteratorINSB_9not_fun_tI7is_trueIiEEENSC_INSD_IbEEEENSA_11use_defaultESO_EENS0_5tupleIJNSA_16discard_iteratorISO_EES6_EEENSQ_IJSG_SG_EEES6_PlJS6_EEE10hipError_tPvRmT3_T4_T5_T6_T7_T9_mT8_P12ihipStream_tbDpT10_ENKUlT_T0_E_clISt17integral_constantIbLb1EES1E_IbLb0EEEEDaS1A_S1B_EUlS1A_E_NS1_11comp_targetILNS1_3genE2ELNS1_11target_archE906ELNS1_3gpuE6ELNS1_3repE0EEENS1_30default_config_static_selectorELNS0_4arch9wavefront6targetE0EEEvT1_.has_indirect_call, 0
	.section	.AMDGPU.csdata,"",@progbits
; Kernel info:
; codeLenInByte = 0
; TotalNumSgprs: 0
; NumVgprs: 0
; ScratchSize: 0
; MemoryBound: 0
; FloatMode: 240
; IeeeMode: 1
; LDSByteSize: 0 bytes/workgroup (compile time only)
; SGPRBlocks: 0
; VGPRBlocks: 0
; NumSGPRsForWavesPerEU: 1
; NumVGPRsForWavesPerEU: 1
; Occupancy: 16
; WaveLimiterHint : 0
; COMPUTE_PGM_RSRC2:SCRATCH_EN: 0
; COMPUTE_PGM_RSRC2:USER_SGPR: 2
; COMPUTE_PGM_RSRC2:TRAP_HANDLER: 0
; COMPUTE_PGM_RSRC2:TGID_X_EN: 1
; COMPUTE_PGM_RSRC2:TGID_Y_EN: 0
; COMPUTE_PGM_RSRC2:TGID_Z_EN: 0
; COMPUTE_PGM_RSRC2:TIDIG_COMP_CNT: 0
	.section	.text._ZN7rocprim17ROCPRIM_400000_NS6detail17trampoline_kernelINS0_14default_configENS1_25partition_config_selectorILNS1_17partition_subalgoE5EiNS0_10empty_typeEbEEZZNS1_14partition_implILS5_5ELb0ES3_mN6thrust23THRUST_200600_302600_NS6detail15normal_iteratorINSA_10device_ptrIiEEEEPS6_NSA_18transform_iteratorINSB_9not_fun_tI7is_trueIiEEENSC_INSD_IbEEEENSA_11use_defaultESO_EENS0_5tupleIJNSA_16discard_iteratorISO_EES6_EEENSQ_IJSG_SG_EEES6_PlJS6_EEE10hipError_tPvRmT3_T4_T5_T6_T7_T9_mT8_P12ihipStream_tbDpT10_ENKUlT_T0_E_clISt17integral_constantIbLb1EES1E_IbLb0EEEEDaS1A_S1B_EUlS1A_E_NS1_11comp_targetILNS1_3genE10ELNS1_11target_archE1200ELNS1_3gpuE4ELNS1_3repE0EEENS1_30default_config_static_selectorELNS0_4arch9wavefront6targetE0EEEvT1_,"axG",@progbits,_ZN7rocprim17ROCPRIM_400000_NS6detail17trampoline_kernelINS0_14default_configENS1_25partition_config_selectorILNS1_17partition_subalgoE5EiNS0_10empty_typeEbEEZZNS1_14partition_implILS5_5ELb0ES3_mN6thrust23THRUST_200600_302600_NS6detail15normal_iteratorINSA_10device_ptrIiEEEEPS6_NSA_18transform_iteratorINSB_9not_fun_tI7is_trueIiEEENSC_INSD_IbEEEENSA_11use_defaultESO_EENS0_5tupleIJNSA_16discard_iteratorISO_EES6_EEENSQ_IJSG_SG_EEES6_PlJS6_EEE10hipError_tPvRmT3_T4_T5_T6_T7_T9_mT8_P12ihipStream_tbDpT10_ENKUlT_T0_E_clISt17integral_constantIbLb1EES1E_IbLb0EEEEDaS1A_S1B_EUlS1A_E_NS1_11comp_targetILNS1_3genE10ELNS1_11target_archE1200ELNS1_3gpuE4ELNS1_3repE0EEENS1_30default_config_static_selectorELNS0_4arch9wavefront6targetE0EEEvT1_,comdat
	.protected	_ZN7rocprim17ROCPRIM_400000_NS6detail17trampoline_kernelINS0_14default_configENS1_25partition_config_selectorILNS1_17partition_subalgoE5EiNS0_10empty_typeEbEEZZNS1_14partition_implILS5_5ELb0ES3_mN6thrust23THRUST_200600_302600_NS6detail15normal_iteratorINSA_10device_ptrIiEEEEPS6_NSA_18transform_iteratorINSB_9not_fun_tI7is_trueIiEEENSC_INSD_IbEEEENSA_11use_defaultESO_EENS0_5tupleIJNSA_16discard_iteratorISO_EES6_EEENSQ_IJSG_SG_EEES6_PlJS6_EEE10hipError_tPvRmT3_T4_T5_T6_T7_T9_mT8_P12ihipStream_tbDpT10_ENKUlT_T0_E_clISt17integral_constantIbLb1EES1E_IbLb0EEEEDaS1A_S1B_EUlS1A_E_NS1_11comp_targetILNS1_3genE10ELNS1_11target_archE1200ELNS1_3gpuE4ELNS1_3repE0EEENS1_30default_config_static_selectorELNS0_4arch9wavefront6targetE0EEEvT1_ ; -- Begin function _ZN7rocprim17ROCPRIM_400000_NS6detail17trampoline_kernelINS0_14default_configENS1_25partition_config_selectorILNS1_17partition_subalgoE5EiNS0_10empty_typeEbEEZZNS1_14partition_implILS5_5ELb0ES3_mN6thrust23THRUST_200600_302600_NS6detail15normal_iteratorINSA_10device_ptrIiEEEEPS6_NSA_18transform_iteratorINSB_9not_fun_tI7is_trueIiEEENSC_INSD_IbEEEENSA_11use_defaultESO_EENS0_5tupleIJNSA_16discard_iteratorISO_EES6_EEENSQ_IJSG_SG_EEES6_PlJS6_EEE10hipError_tPvRmT3_T4_T5_T6_T7_T9_mT8_P12ihipStream_tbDpT10_ENKUlT_T0_E_clISt17integral_constantIbLb1EES1E_IbLb0EEEEDaS1A_S1B_EUlS1A_E_NS1_11comp_targetILNS1_3genE10ELNS1_11target_archE1200ELNS1_3gpuE4ELNS1_3repE0EEENS1_30default_config_static_selectorELNS0_4arch9wavefront6targetE0EEEvT1_
	.globl	_ZN7rocprim17ROCPRIM_400000_NS6detail17trampoline_kernelINS0_14default_configENS1_25partition_config_selectorILNS1_17partition_subalgoE5EiNS0_10empty_typeEbEEZZNS1_14partition_implILS5_5ELb0ES3_mN6thrust23THRUST_200600_302600_NS6detail15normal_iteratorINSA_10device_ptrIiEEEEPS6_NSA_18transform_iteratorINSB_9not_fun_tI7is_trueIiEEENSC_INSD_IbEEEENSA_11use_defaultESO_EENS0_5tupleIJNSA_16discard_iteratorISO_EES6_EEENSQ_IJSG_SG_EEES6_PlJS6_EEE10hipError_tPvRmT3_T4_T5_T6_T7_T9_mT8_P12ihipStream_tbDpT10_ENKUlT_T0_E_clISt17integral_constantIbLb1EES1E_IbLb0EEEEDaS1A_S1B_EUlS1A_E_NS1_11comp_targetILNS1_3genE10ELNS1_11target_archE1200ELNS1_3gpuE4ELNS1_3repE0EEENS1_30default_config_static_selectorELNS0_4arch9wavefront6targetE0EEEvT1_
	.p2align	8
	.type	_ZN7rocprim17ROCPRIM_400000_NS6detail17trampoline_kernelINS0_14default_configENS1_25partition_config_selectorILNS1_17partition_subalgoE5EiNS0_10empty_typeEbEEZZNS1_14partition_implILS5_5ELb0ES3_mN6thrust23THRUST_200600_302600_NS6detail15normal_iteratorINSA_10device_ptrIiEEEEPS6_NSA_18transform_iteratorINSB_9not_fun_tI7is_trueIiEEENSC_INSD_IbEEEENSA_11use_defaultESO_EENS0_5tupleIJNSA_16discard_iteratorISO_EES6_EEENSQ_IJSG_SG_EEES6_PlJS6_EEE10hipError_tPvRmT3_T4_T5_T6_T7_T9_mT8_P12ihipStream_tbDpT10_ENKUlT_T0_E_clISt17integral_constantIbLb1EES1E_IbLb0EEEEDaS1A_S1B_EUlS1A_E_NS1_11comp_targetILNS1_3genE10ELNS1_11target_archE1200ELNS1_3gpuE4ELNS1_3repE0EEENS1_30default_config_static_selectorELNS0_4arch9wavefront6targetE0EEEvT1_,@function
_ZN7rocprim17ROCPRIM_400000_NS6detail17trampoline_kernelINS0_14default_configENS1_25partition_config_selectorILNS1_17partition_subalgoE5EiNS0_10empty_typeEbEEZZNS1_14partition_implILS5_5ELb0ES3_mN6thrust23THRUST_200600_302600_NS6detail15normal_iteratorINSA_10device_ptrIiEEEEPS6_NSA_18transform_iteratorINSB_9not_fun_tI7is_trueIiEEENSC_INSD_IbEEEENSA_11use_defaultESO_EENS0_5tupleIJNSA_16discard_iteratorISO_EES6_EEENSQ_IJSG_SG_EEES6_PlJS6_EEE10hipError_tPvRmT3_T4_T5_T6_T7_T9_mT8_P12ihipStream_tbDpT10_ENKUlT_T0_E_clISt17integral_constantIbLb1EES1E_IbLb0EEEEDaS1A_S1B_EUlS1A_E_NS1_11comp_targetILNS1_3genE10ELNS1_11target_archE1200ELNS1_3gpuE4ELNS1_3repE0EEENS1_30default_config_static_selectorELNS0_4arch9wavefront6targetE0EEEvT1_: ; @_ZN7rocprim17ROCPRIM_400000_NS6detail17trampoline_kernelINS0_14default_configENS1_25partition_config_selectorILNS1_17partition_subalgoE5EiNS0_10empty_typeEbEEZZNS1_14partition_implILS5_5ELb0ES3_mN6thrust23THRUST_200600_302600_NS6detail15normal_iteratorINSA_10device_ptrIiEEEEPS6_NSA_18transform_iteratorINSB_9not_fun_tI7is_trueIiEEENSC_INSD_IbEEEENSA_11use_defaultESO_EENS0_5tupleIJNSA_16discard_iteratorISO_EES6_EEENSQ_IJSG_SG_EEES6_PlJS6_EEE10hipError_tPvRmT3_T4_T5_T6_T7_T9_mT8_P12ihipStream_tbDpT10_ENKUlT_T0_E_clISt17integral_constantIbLb1EES1E_IbLb0EEEEDaS1A_S1B_EUlS1A_E_NS1_11comp_targetILNS1_3genE10ELNS1_11target_archE1200ELNS1_3gpuE4ELNS1_3repE0EEENS1_30default_config_static_selectorELNS0_4arch9wavefront6targetE0EEEvT1_
; %bb.0:
	s_endpgm
	.section	.rodata,"a",@progbits
	.p2align	6, 0x0
	.amdhsa_kernel _ZN7rocprim17ROCPRIM_400000_NS6detail17trampoline_kernelINS0_14default_configENS1_25partition_config_selectorILNS1_17partition_subalgoE5EiNS0_10empty_typeEbEEZZNS1_14partition_implILS5_5ELb0ES3_mN6thrust23THRUST_200600_302600_NS6detail15normal_iteratorINSA_10device_ptrIiEEEEPS6_NSA_18transform_iteratorINSB_9not_fun_tI7is_trueIiEEENSC_INSD_IbEEEENSA_11use_defaultESO_EENS0_5tupleIJNSA_16discard_iteratorISO_EES6_EEENSQ_IJSG_SG_EEES6_PlJS6_EEE10hipError_tPvRmT3_T4_T5_T6_T7_T9_mT8_P12ihipStream_tbDpT10_ENKUlT_T0_E_clISt17integral_constantIbLb1EES1E_IbLb0EEEEDaS1A_S1B_EUlS1A_E_NS1_11comp_targetILNS1_3genE10ELNS1_11target_archE1200ELNS1_3gpuE4ELNS1_3repE0EEENS1_30default_config_static_selectorELNS0_4arch9wavefront6targetE0EEEvT1_
		.amdhsa_group_segment_fixed_size 0
		.amdhsa_private_segment_fixed_size 0
		.amdhsa_kernarg_size 128
		.amdhsa_user_sgpr_count 2
		.amdhsa_user_sgpr_dispatch_ptr 0
		.amdhsa_user_sgpr_queue_ptr 0
		.amdhsa_user_sgpr_kernarg_segment_ptr 1
		.amdhsa_user_sgpr_dispatch_id 0
		.amdhsa_user_sgpr_private_segment_size 0
		.amdhsa_wavefront_size32 1
		.amdhsa_uses_dynamic_stack 0
		.amdhsa_enable_private_segment 0
		.amdhsa_system_sgpr_workgroup_id_x 1
		.amdhsa_system_sgpr_workgroup_id_y 0
		.amdhsa_system_sgpr_workgroup_id_z 0
		.amdhsa_system_sgpr_workgroup_info 0
		.amdhsa_system_vgpr_workitem_id 0
		.amdhsa_next_free_vgpr 1
		.amdhsa_next_free_sgpr 1
		.amdhsa_reserve_vcc 0
		.amdhsa_float_round_mode_32 0
		.amdhsa_float_round_mode_16_64 0
		.amdhsa_float_denorm_mode_32 3
		.amdhsa_float_denorm_mode_16_64 3
		.amdhsa_fp16_overflow 0
		.amdhsa_workgroup_processor_mode 1
		.amdhsa_memory_ordered 1
		.amdhsa_forward_progress 1
		.amdhsa_inst_pref_size 1
		.amdhsa_round_robin_scheduling 0
		.amdhsa_exception_fp_ieee_invalid_op 0
		.amdhsa_exception_fp_denorm_src 0
		.amdhsa_exception_fp_ieee_div_zero 0
		.amdhsa_exception_fp_ieee_overflow 0
		.amdhsa_exception_fp_ieee_underflow 0
		.amdhsa_exception_fp_ieee_inexact 0
		.amdhsa_exception_int_div_zero 0
	.end_amdhsa_kernel
	.section	.text._ZN7rocprim17ROCPRIM_400000_NS6detail17trampoline_kernelINS0_14default_configENS1_25partition_config_selectorILNS1_17partition_subalgoE5EiNS0_10empty_typeEbEEZZNS1_14partition_implILS5_5ELb0ES3_mN6thrust23THRUST_200600_302600_NS6detail15normal_iteratorINSA_10device_ptrIiEEEEPS6_NSA_18transform_iteratorINSB_9not_fun_tI7is_trueIiEEENSC_INSD_IbEEEENSA_11use_defaultESO_EENS0_5tupleIJNSA_16discard_iteratorISO_EES6_EEENSQ_IJSG_SG_EEES6_PlJS6_EEE10hipError_tPvRmT3_T4_T5_T6_T7_T9_mT8_P12ihipStream_tbDpT10_ENKUlT_T0_E_clISt17integral_constantIbLb1EES1E_IbLb0EEEEDaS1A_S1B_EUlS1A_E_NS1_11comp_targetILNS1_3genE10ELNS1_11target_archE1200ELNS1_3gpuE4ELNS1_3repE0EEENS1_30default_config_static_selectorELNS0_4arch9wavefront6targetE0EEEvT1_,"axG",@progbits,_ZN7rocprim17ROCPRIM_400000_NS6detail17trampoline_kernelINS0_14default_configENS1_25partition_config_selectorILNS1_17partition_subalgoE5EiNS0_10empty_typeEbEEZZNS1_14partition_implILS5_5ELb0ES3_mN6thrust23THRUST_200600_302600_NS6detail15normal_iteratorINSA_10device_ptrIiEEEEPS6_NSA_18transform_iteratorINSB_9not_fun_tI7is_trueIiEEENSC_INSD_IbEEEENSA_11use_defaultESO_EENS0_5tupleIJNSA_16discard_iteratorISO_EES6_EEENSQ_IJSG_SG_EEES6_PlJS6_EEE10hipError_tPvRmT3_T4_T5_T6_T7_T9_mT8_P12ihipStream_tbDpT10_ENKUlT_T0_E_clISt17integral_constantIbLb1EES1E_IbLb0EEEEDaS1A_S1B_EUlS1A_E_NS1_11comp_targetILNS1_3genE10ELNS1_11target_archE1200ELNS1_3gpuE4ELNS1_3repE0EEENS1_30default_config_static_selectorELNS0_4arch9wavefront6targetE0EEEvT1_,comdat
.Lfunc_end2802:
	.size	_ZN7rocprim17ROCPRIM_400000_NS6detail17trampoline_kernelINS0_14default_configENS1_25partition_config_selectorILNS1_17partition_subalgoE5EiNS0_10empty_typeEbEEZZNS1_14partition_implILS5_5ELb0ES3_mN6thrust23THRUST_200600_302600_NS6detail15normal_iteratorINSA_10device_ptrIiEEEEPS6_NSA_18transform_iteratorINSB_9not_fun_tI7is_trueIiEEENSC_INSD_IbEEEENSA_11use_defaultESO_EENS0_5tupleIJNSA_16discard_iteratorISO_EES6_EEENSQ_IJSG_SG_EEES6_PlJS6_EEE10hipError_tPvRmT3_T4_T5_T6_T7_T9_mT8_P12ihipStream_tbDpT10_ENKUlT_T0_E_clISt17integral_constantIbLb1EES1E_IbLb0EEEEDaS1A_S1B_EUlS1A_E_NS1_11comp_targetILNS1_3genE10ELNS1_11target_archE1200ELNS1_3gpuE4ELNS1_3repE0EEENS1_30default_config_static_selectorELNS0_4arch9wavefront6targetE0EEEvT1_, .Lfunc_end2802-_ZN7rocprim17ROCPRIM_400000_NS6detail17trampoline_kernelINS0_14default_configENS1_25partition_config_selectorILNS1_17partition_subalgoE5EiNS0_10empty_typeEbEEZZNS1_14partition_implILS5_5ELb0ES3_mN6thrust23THRUST_200600_302600_NS6detail15normal_iteratorINSA_10device_ptrIiEEEEPS6_NSA_18transform_iteratorINSB_9not_fun_tI7is_trueIiEEENSC_INSD_IbEEEENSA_11use_defaultESO_EENS0_5tupleIJNSA_16discard_iteratorISO_EES6_EEENSQ_IJSG_SG_EEES6_PlJS6_EEE10hipError_tPvRmT3_T4_T5_T6_T7_T9_mT8_P12ihipStream_tbDpT10_ENKUlT_T0_E_clISt17integral_constantIbLb1EES1E_IbLb0EEEEDaS1A_S1B_EUlS1A_E_NS1_11comp_targetILNS1_3genE10ELNS1_11target_archE1200ELNS1_3gpuE4ELNS1_3repE0EEENS1_30default_config_static_selectorELNS0_4arch9wavefront6targetE0EEEvT1_
                                        ; -- End function
	.set _ZN7rocprim17ROCPRIM_400000_NS6detail17trampoline_kernelINS0_14default_configENS1_25partition_config_selectorILNS1_17partition_subalgoE5EiNS0_10empty_typeEbEEZZNS1_14partition_implILS5_5ELb0ES3_mN6thrust23THRUST_200600_302600_NS6detail15normal_iteratorINSA_10device_ptrIiEEEEPS6_NSA_18transform_iteratorINSB_9not_fun_tI7is_trueIiEEENSC_INSD_IbEEEENSA_11use_defaultESO_EENS0_5tupleIJNSA_16discard_iteratorISO_EES6_EEENSQ_IJSG_SG_EEES6_PlJS6_EEE10hipError_tPvRmT3_T4_T5_T6_T7_T9_mT8_P12ihipStream_tbDpT10_ENKUlT_T0_E_clISt17integral_constantIbLb1EES1E_IbLb0EEEEDaS1A_S1B_EUlS1A_E_NS1_11comp_targetILNS1_3genE10ELNS1_11target_archE1200ELNS1_3gpuE4ELNS1_3repE0EEENS1_30default_config_static_selectorELNS0_4arch9wavefront6targetE0EEEvT1_.num_vgpr, 0
	.set _ZN7rocprim17ROCPRIM_400000_NS6detail17trampoline_kernelINS0_14default_configENS1_25partition_config_selectorILNS1_17partition_subalgoE5EiNS0_10empty_typeEbEEZZNS1_14partition_implILS5_5ELb0ES3_mN6thrust23THRUST_200600_302600_NS6detail15normal_iteratorINSA_10device_ptrIiEEEEPS6_NSA_18transform_iteratorINSB_9not_fun_tI7is_trueIiEEENSC_INSD_IbEEEENSA_11use_defaultESO_EENS0_5tupleIJNSA_16discard_iteratorISO_EES6_EEENSQ_IJSG_SG_EEES6_PlJS6_EEE10hipError_tPvRmT3_T4_T5_T6_T7_T9_mT8_P12ihipStream_tbDpT10_ENKUlT_T0_E_clISt17integral_constantIbLb1EES1E_IbLb0EEEEDaS1A_S1B_EUlS1A_E_NS1_11comp_targetILNS1_3genE10ELNS1_11target_archE1200ELNS1_3gpuE4ELNS1_3repE0EEENS1_30default_config_static_selectorELNS0_4arch9wavefront6targetE0EEEvT1_.num_agpr, 0
	.set _ZN7rocprim17ROCPRIM_400000_NS6detail17trampoline_kernelINS0_14default_configENS1_25partition_config_selectorILNS1_17partition_subalgoE5EiNS0_10empty_typeEbEEZZNS1_14partition_implILS5_5ELb0ES3_mN6thrust23THRUST_200600_302600_NS6detail15normal_iteratorINSA_10device_ptrIiEEEEPS6_NSA_18transform_iteratorINSB_9not_fun_tI7is_trueIiEEENSC_INSD_IbEEEENSA_11use_defaultESO_EENS0_5tupleIJNSA_16discard_iteratorISO_EES6_EEENSQ_IJSG_SG_EEES6_PlJS6_EEE10hipError_tPvRmT3_T4_T5_T6_T7_T9_mT8_P12ihipStream_tbDpT10_ENKUlT_T0_E_clISt17integral_constantIbLb1EES1E_IbLb0EEEEDaS1A_S1B_EUlS1A_E_NS1_11comp_targetILNS1_3genE10ELNS1_11target_archE1200ELNS1_3gpuE4ELNS1_3repE0EEENS1_30default_config_static_selectorELNS0_4arch9wavefront6targetE0EEEvT1_.numbered_sgpr, 0
	.set _ZN7rocprim17ROCPRIM_400000_NS6detail17trampoline_kernelINS0_14default_configENS1_25partition_config_selectorILNS1_17partition_subalgoE5EiNS0_10empty_typeEbEEZZNS1_14partition_implILS5_5ELb0ES3_mN6thrust23THRUST_200600_302600_NS6detail15normal_iteratorINSA_10device_ptrIiEEEEPS6_NSA_18transform_iteratorINSB_9not_fun_tI7is_trueIiEEENSC_INSD_IbEEEENSA_11use_defaultESO_EENS0_5tupleIJNSA_16discard_iteratorISO_EES6_EEENSQ_IJSG_SG_EEES6_PlJS6_EEE10hipError_tPvRmT3_T4_T5_T6_T7_T9_mT8_P12ihipStream_tbDpT10_ENKUlT_T0_E_clISt17integral_constantIbLb1EES1E_IbLb0EEEEDaS1A_S1B_EUlS1A_E_NS1_11comp_targetILNS1_3genE10ELNS1_11target_archE1200ELNS1_3gpuE4ELNS1_3repE0EEENS1_30default_config_static_selectorELNS0_4arch9wavefront6targetE0EEEvT1_.num_named_barrier, 0
	.set _ZN7rocprim17ROCPRIM_400000_NS6detail17trampoline_kernelINS0_14default_configENS1_25partition_config_selectorILNS1_17partition_subalgoE5EiNS0_10empty_typeEbEEZZNS1_14partition_implILS5_5ELb0ES3_mN6thrust23THRUST_200600_302600_NS6detail15normal_iteratorINSA_10device_ptrIiEEEEPS6_NSA_18transform_iteratorINSB_9not_fun_tI7is_trueIiEEENSC_INSD_IbEEEENSA_11use_defaultESO_EENS0_5tupleIJNSA_16discard_iteratorISO_EES6_EEENSQ_IJSG_SG_EEES6_PlJS6_EEE10hipError_tPvRmT3_T4_T5_T6_T7_T9_mT8_P12ihipStream_tbDpT10_ENKUlT_T0_E_clISt17integral_constantIbLb1EES1E_IbLb0EEEEDaS1A_S1B_EUlS1A_E_NS1_11comp_targetILNS1_3genE10ELNS1_11target_archE1200ELNS1_3gpuE4ELNS1_3repE0EEENS1_30default_config_static_selectorELNS0_4arch9wavefront6targetE0EEEvT1_.private_seg_size, 0
	.set _ZN7rocprim17ROCPRIM_400000_NS6detail17trampoline_kernelINS0_14default_configENS1_25partition_config_selectorILNS1_17partition_subalgoE5EiNS0_10empty_typeEbEEZZNS1_14partition_implILS5_5ELb0ES3_mN6thrust23THRUST_200600_302600_NS6detail15normal_iteratorINSA_10device_ptrIiEEEEPS6_NSA_18transform_iteratorINSB_9not_fun_tI7is_trueIiEEENSC_INSD_IbEEEENSA_11use_defaultESO_EENS0_5tupleIJNSA_16discard_iteratorISO_EES6_EEENSQ_IJSG_SG_EEES6_PlJS6_EEE10hipError_tPvRmT3_T4_T5_T6_T7_T9_mT8_P12ihipStream_tbDpT10_ENKUlT_T0_E_clISt17integral_constantIbLb1EES1E_IbLb0EEEEDaS1A_S1B_EUlS1A_E_NS1_11comp_targetILNS1_3genE10ELNS1_11target_archE1200ELNS1_3gpuE4ELNS1_3repE0EEENS1_30default_config_static_selectorELNS0_4arch9wavefront6targetE0EEEvT1_.uses_vcc, 0
	.set _ZN7rocprim17ROCPRIM_400000_NS6detail17trampoline_kernelINS0_14default_configENS1_25partition_config_selectorILNS1_17partition_subalgoE5EiNS0_10empty_typeEbEEZZNS1_14partition_implILS5_5ELb0ES3_mN6thrust23THRUST_200600_302600_NS6detail15normal_iteratorINSA_10device_ptrIiEEEEPS6_NSA_18transform_iteratorINSB_9not_fun_tI7is_trueIiEEENSC_INSD_IbEEEENSA_11use_defaultESO_EENS0_5tupleIJNSA_16discard_iteratorISO_EES6_EEENSQ_IJSG_SG_EEES6_PlJS6_EEE10hipError_tPvRmT3_T4_T5_T6_T7_T9_mT8_P12ihipStream_tbDpT10_ENKUlT_T0_E_clISt17integral_constantIbLb1EES1E_IbLb0EEEEDaS1A_S1B_EUlS1A_E_NS1_11comp_targetILNS1_3genE10ELNS1_11target_archE1200ELNS1_3gpuE4ELNS1_3repE0EEENS1_30default_config_static_selectorELNS0_4arch9wavefront6targetE0EEEvT1_.uses_flat_scratch, 0
	.set _ZN7rocprim17ROCPRIM_400000_NS6detail17trampoline_kernelINS0_14default_configENS1_25partition_config_selectorILNS1_17partition_subalgoE5EiNS0_10empty_typeEbEEZZNS1_14partition_implILS5_5ELb0ES3_mN6thrust23THRUST_200600_302600_NS6detail15normal_iteratorINSA_10device_ptrIiEEEEPS6_NSA_18transform_iteratorINSB_9not_fun_tI7is_trueIiEEENSC_INSD_IbEEEENSA_11use_defaultESO_EENS0_5tupleIJNSA_16discard_iteratorISO_EES6_EEENSQ_IJSG_SG_EEES6_PlJS6_EEE10hipError_tPvRmT3_T4_T5_T6_T7_T9_mT8_P12ihipStream_tbDpT10_ENKUlT_T0_E_clISt17integral_constantIbLb1EES1E_IbLb0EEEEDaS1A_S1B_EUlS1A_E_NS1_11comp_targetILNS1_3genE10ELNS1_11target_archE1200ELNS1_3gpuE4ELNS1_3repE0EEENS1_30default_config_static_selectorELNS0_4arch9wavefront6targetE0EEEvT1_.has_dyn_sized_stack, 0
	.set _ZN7rocprim17ROCPRIM_400000_NS6detail17trampoline_kernelINS0_14default_configENS1_25partition_config_selectorILNS1_17partition_subalgoE5EiNS0_10empty_typeEbEEZZNS1_14partition_implILS5_5ELb0ES3_mN6thrust23THRUST_200600_302600_NS6detail15normal_iteratorINSA_10device_ptrIiEEEEPS6_NSA_18transform_iteratorINSB_9not_fun_tI7is_trueIiEEENSC_INSD_IbEEEENSA_11use_defaultESO_EENS0_5tupleIJNSA_16discard_iteratorISO_EES6_EEENSQ_IJSG_SG_EEES6_PlJS6_EEE10hipError_tPvRmT3_T4_T5_T6_T7_T9_mT8_P12ihipStream_tbDpT10_ENKUlT_T0_E_clISt17integral_constantIbLb1EES1E_IbLb0EEEEDaS1A_S1B_EUlS1A_E_NS1_11comp_targetILNS1_3genE10ELNS1_11target_archE1200ELNS1_3gpuE4ELNS1_3repE0EEENS1_30default_config_static_selectorELNS0_4arch9wavefront6targetE0EEEvT1_.has_recursion, 0
	.set _ZN7rocprim17ROCPRIM_400000_NS6detail17trampoline_kernelINS0_14default_configENS1_25partition_config_selectorILNS1_17partition_subalgoE5EiNS0_10empty_typeEbEEZZNS1_14partition_implILS5_5ELb0ES3_mN6thrust23THRUST_200600_302600_NS6detail15normal_iteratorINSA_10device_ptrIiEEEEPS6_NSA_18transform_iteratorINSB_9not_fun_tI7is_trueIiEEENSC_INSD_IbEEEENSA_11use_defaultESO_EENS0_5tupleIJNSA_16discard_iteratorISO_EES6_EEENSQ_IJSG_SG_EEES6_PlJS6_EEE10hipError_tPvRmT3_T4_T5_T6_T7_T9_mT8_P12ihipStream_tbDpT10_ENKUlT_T0_E_clISt17integral_constantIbLb1EES1E_IbLb0EEEEDaS1A_S1B_EUlS1A_E_NS1_11comp_targetILNS1_3genE10ELNS1_11target_archE1200ELNS1_3gpuE4ELNS1_3repE0EEENS1_30default_config_static_selectorELNS0_4arch9wavefront6targetE0EEEvT1_.has_indirect_call, 0
	.section	.AMDGPU.csdata,"",@progbits
; Kernel info:
; codeLenInByte = 4
; TotalNumSgprs: 0
; NumVgprs: 0
; ScratchSize: 0
; MemoryBound: 0
; FloatMode: 240
; IeeeMode: 1
; LDSByteSize: 0 bytes/workgroup (compile time only)
; SGPRBlocks: 0
; VGPRBlocks: 0
; NumSGPRsForWavesPerEU: 1
; NumVGPRsForWavesPerEU: 1
; Occupancy: 16
; WaveLimiterHint : 0
; COMPUTE_PGM_RSRC2:SCRATCH_EN: 0
; COMPUTE_PGM_RSRC2:USER_SGPR: 2
; COMPUTE_PGM_RSRC2:TRAP_HANDLER: 0
; COMPUTE_PGM_RSRC2:TGID_X_EN: 1
; COMPUTE_PGM_RSRC2:TGID_Y_EN: 0
; COMPUTE_PGM_RSRC2:TGID_Z_EN: 0
; COMPUTE_PGM_RSRC2:TIDIG_COMP_CNT: 0
	.section	.text._ZN7rocprim17ROCPRIM_400000_NS6detail17trampoline_kernelINS0_14default_configENS1_25partition_config_selectorILNS1_17partition_subalgoE5EiNS0_10empty_typeEbEEZZNS1_14partition_implILS5_5ELb0ES3_mN6thrust23THRUST_200600_302600_NS6detail15normal_iteratorINSA_10device_ptrIiEEEEPS6_NSA_18transform_iteratorINSB_9not_fun_tI7is_trueIiEEENSC_INSD_IbEEEENSA_11use_defaultESO_EENS0_5tupleIJNSA_16discard_iteratorISO_EES6_EEENSQ_IJSG_SG_EEES6_PlJS6_EEE10hipError_tPvRmT3_T4_T5_T6_T7_T9_mT8_P12ihipStream_tbDpT10_ENKUlT_T0_E_clISt17integral_constantIbLb1EES1E_IbLb0EEEEDaS1A_S1B_EUlS1A_E_NS1_11comp_targetILNS1_3genE9ELNS1_11target_archE1100ELNS1_3gpuE3ELNS1_3repE0EEENS1_30default_config_static_selectorELNS0_4arch9wavefront6targetE0EEEvT1_,"axG",@progbits,_ZN7rocprim17ROCPRIM_400000_NS6detail17trampoline_kernelINS0_14default_configENS1_25partition_config_selectorILNS1_17partition_subalgoE5EiNS0_10empty_typeEbEEZZNS1_14partition_implILS5_5ELb0ES3_mN6thrust23THRUST_200600_302600_NS6detail15normal_iteratorINSA_10device_ptrIiEEEEPS6_NSA_18transform_iteratorINSB_9not_fun_tI7is_trueIiEEENSC_INSD_IbEEEENSA_11use_defaultESO_EENS0_5tupleIJNSA_16discard_iteratorISO_EES6_EEENSQ_IJSG_SG_EEES6_PlJS6_EEE10hipError_tPvRmT3_T4_T5_T6_T7_T9_mT8_P12ihipStream_tbDpT10_ENKUlT_T0_E_clISt17integral_constantIbLb1EES1E_IbLb0EEEEDaS1A_S1B_EUlS1A_E_NS1_11comp_targetILNS1_3genE9ELNS1_11target_archE1100ELNS1_3gpuE3ELNS1_3repE0EEENS1_30default_config_static_selectorELNS0_4arch9wavefront6targetE0EEEvT1_,comdat
	.protected	_ZN7rocprim17ROCPRIM_400000_NS6detail17trampoline_kernelINS0_14default_configENS1_25partition_config_selectorILNS1_17partition_subalgoE5EiNS0_10empty_typeEbEEZZNS1_14partition_implILS5_5ELb0ES3_mN6thrust23THRUST_200600_302600_NS6detail15normal_iteratorINSA_10device_ptrIiEEEEPS6_NSA_18transform_iteratorINSB_9not_fun_tI7is_trueIiEEENSC_INSD_IbEEEENSA_11use_defaultESO_EENS0_5tupleIJNSA_16discard_iteratorISO_EES6_EEENSQ_IJSG_SG_EEES6_PlJS6_EEE10hipError_tPvRmT3_T4_T5_T6_T7_T9_mT8_P12ihipStream_tbDpT10_ENKUlT_T0_E_clISt17integral_constantIbLb1EES1E_IbLb0EEEEDaS1A_S1B_EUlS1A_E_NS1_11comp_targetILNS1_3genE9ELNS1_11target_archE1100ELNS1_3gpuE3ELNS1_3repE0EEENS1_30default_config_static_selectorELNS0_4arch9wavefront6targetE0EEEvT1_ ; -- Begin function _ZN7rocprim17ROCPRIM_400000_NS6detail17trampoline_kernelINS0_14default_configENS1_25partition_config_selectorILNS1_17partition_subalgoE5EiNS0_10empty_typeEbEEZZNS1_14partition_implILS5_5ELb0ES3_mN6thrust23THRUST_200600_302600_NS6detail15normal_iteratorINSA_10device_ptrIiEEEEPS6_NSA_18transform_iteratorINSB_9not_fun_tI7is_trueIiEEENSC_INSD_IbEEEENSA_11use_defaultESO_EENS0_5tupleIJNSA_16discard_iteratorISO_EES6_EEENSQ_IJSG_SG_EEES6_PlJS6_EEE10hipError_tPvRmT3_T4_T5_T6_T7_T9_mT8_P12ihipStream_tbDpT10_ENKUlT_T0_E_clISt17integral_constantIbLb1EES1E_IbLb0EEEEDaS1A_S1B_EUlS1A_E_NS1_11comp_targetILNS1_3genE9ELNS1_11target_archE1100ELNS1_3gpuE3ELNS1_3repE0EEENS1_30default_config_static_selectorELNS0_4arch9wavefront6targetE0EEEvT1_
	.globl	_ZN7rocprim17ROCPRIM_400000_NS6detail17trampoline_kernelINS0_14default_configENS1_25partition_config_selectorILNS1_17partition_subalgoE5EiNS0_10empty_typeEbEEZZNS1_14partition_implILS5_5ELb0ES3_mN6thrust23THRUST_200600_302600_NS6detail15normal_iteratorINSA_10device_ptrIiEEEEPS6_NSA_18transform_iteratorINSB_9not_fun_tI7is_trueIiEEENSC_INSD_IbEEEENSA_11use_defaultESO_EENS0_5tupleIJNSA_16discard_iteratorISO_EES6_EEENSQ_IJSG_SG_EEES6_PlJS6_EEE10hipError_tPvRmT3_T4_T5_T6_T7_T9_mT8_P12ihipStream_tbDpT10_ENKUlT_T0_E_clISt17integral_constantIbLb1EES1E_IbLb0EEEEDaS1A_S1B_EUlS1A_E_NS1_11comp_targetILNS1_3genE9ELNS1_11target_archE1100ELNS1_3gpuE3ELNS1_3repE0EEENS1_30default_config_static_selectorELNS0_4arch9wavefront6targetE0EEEvT1_
	.p2align	8
	.type	_ZN7rocprim17ROCPRIM_400000_NS6detail17trampoline_kernelINS0_14default_configENS1_25partition_config_selectorILNS1_17partition_subalgoE5EiNS0_10empty_typeEbEEZZNS1_14partition_implILS5_5ELb0ES3_mN6thrust23THRUST_200600_302600_NS6detail15normal_iteratorINSA_10device_ptrIiEEEEPS6_NSA_18transform_iteratorINSB_9not_fun_tI7is_trueIiEEENSC_INSD_IbEEEENSA_11use_defaultESO_EENS0_5tupleIJNSA_16discard_iteratorISO_EES6_EEENSQ_IJSG_SG_EEES6_PlJS6_EEE10hipError_tPvRmT3_T4_T5_T6_T7_T9_mT8_P12ihipStream_tbDpT10_ENKUlT_T0_E_clISt17integral_constantIbLb1EES1E_IbLb0EEEEDaS1A_S1B_EUlS1A_E_NS1_11comp_targetILNS1_3genE9ELNS1_11target_archE1100ELNS1_3gpuE3ELNS1_3repE0EEENS1_30default_config_static_selectorELNS0_4arch9wavefront6targetE0EEEvT1_,@function
_ZN7rocprim17ROCPRIM_400000_NS6detail17trampoline_kernelINS0_14default_configENS1_25partition_config_selectorILNS1_17partition_subalgoE5EiNS0_10empty_typeEbEEZZNS1_14partition_implILS5_5ELb0ES3_mN6thrust23THRUST_200600_302600_NS6detail15normal_iteratorINSA_10device_ptrIiEEEEPS6_NSA_18transform_iteratorINSB_9not_fun_tI7is_trueIiEEENSC_INSD_IbEEEENSA_11use_defaultESO_EENS0_5tupleIJNSA_16discard_iteratorISO_EES6_EEENSQ_IJSG_SG_EEES6_PlJS6_EEE10hipError_tPvRmT3_T4_T5_T6_T7_T9_mT8_P12ihipStream_tbDpT10_ENKUlT_T0_E_clISt17integral_constantIbLb1EES1E_IbLb0EEEEDaS1A_S1B_EUlS1A_E_NS1_11comp_targetILNS1_3genE9ELNS1_11target_archE1100ELNS1_3gpuE3ELNS1_3repE0EEENS1_30default_config_static_selectorELNS0_4arch9wavefront6targetE0EEEvT1_: ; @_ZN7rocprim17ROCPRIM_400000_NS6detail17trampoline_kernelINS0_14default_configENS1_25partition_config_selectorILNS1_17partition_subalgoE5EiNS0_10empty_typeEbEEZZNS1_14partition_implILS5_5ELb0ES3_mN6thrust23THRUST_200600_302600_NS6detail15normal_iteratorINSA_10device_ptrIiEEEEPS6_NSA_18transform_iteratorINSB_9not_fun_tI7is_trueIiEEENSC_INSD_IbEEEENSA_11use_defaultESO_EENS0_5tupleIJNSA_16discard_iteratorISO_EES6_EEENSQ_IJSG_SG_EEES6_PlJS6_EEE10hipError_tPvRmT3_T4_T5_T6_T7_T9_mT8_P12ihipStream_tbDpT10_ENKUlT_T0_E_clISt17integral_constantIbLb1EES1E_IbLb0EEEEDaS1A_S1B_EUlS1A_E_NS1_11comp_targetILNS1_3genE9ELNS1_11target_archE1100ELNS1_3gpuE3ELNS1_3repE0EEENS1_30default_config_static_selectorELNS0_4arch9wavefront6targetE0EEEvT1_
; %bb.0:
	.section	.rodata,"a",@progbits
	.p2align	6, 0x0
	.amdhsa_kernel _ZN7rocprim17ROCPRIM_400000_NS6detail17trampoline_kernelINS0_14default_configENS1_25partition_config_selectorILNS1_17partition_subalgoE5EiNS0_10empty_typeEbEEZZNS1_14partition_implILS5_5ELb0ES3_mN6thrust23THRUST_200600_302600_NS6detail15normal_iteratorINSA_10device_ptrIiEEEEPS6_NSA_18transform_iteratorINSB_9not_fun_tI7is_trueIiEEENSC_INSD_IbEEEENSA_11use_defaultESO_EENS0_5tupleIJNSA_16discard_iteratorISO_EES6_EEENSQ_IJSG_SG_EEES6_PlJS6_EEE10hipError_tPvRmT3_T4_T5_T6_T7_T9_mT8_P12ihipStream_tbDpT10_ENKUlT_T0_E_clISt17integral_constantIbLb1EES1E_IbLb0EEEEDaS1A_S1B_EUlS1A_E_NS1_11comp_targetILNS1_3genE9ELNS1_11target_archE1100ELNS1_3gpuE3ELNS1_3repE0EEENS1_30default_config_static_selectorELNS0_4arch9wavefront6targetE0EEEvT1_
		.amdhsa_group_segment_fixed_size 0
		.amdhsa_private_segment_fixed_size 0
		.amdhsa_kernarg_size 128
		.amdhsa_user_sgpr_count 2
		.amdhsa_user_sgpr_dispatch_ptr 0
		.amdhsa_user_sgpr_queue_ptr 0
		.amdhsa_user_sgpr_kernarg_segment_ptr 1
		.amdhsa_user_sgpr_dispatch_id 0
		.amdhsa_user_sgpr_private_segment_size 0
		.amdhsa_wavefront_size32 1
		.amdhsa_uses_dynamic_stack 0
		.amdhsa_enable_private_segment 0
		.amdhsa_system_sgpr_workgroup_id_x 1
		.amdhsa_system_sgpr_workgroup_id_y 0
		.amdhsa_system_sgpr_workgroup_id_z 0
		.amdhsa_system_sgpr_workgroup_info 0
		.amdhsa_system_vgpr_workitem_id 0
		.amdhsa_next_free_vgpr 1
		.amdhsa_next_free_sgpr 1
		.amdhsa_reserve_vcc 0
		.amdhsa_float_round_mode_32 0
		.amdhsa_float_round_mode_16_64 0
		.amdhsa_float_denorm_mode_32 3
		.amdhsa_float_denorm_mode_16_64 3
		.amdhsa_fp16_overflow 0
		.amdhsa_workgroup_processor_mode 1
		.amdhsa_memory_ordered 1
		.amdhsa_forward_progress 1
		.amdhsa_inst_pref_size 0
		.amdhsa_round_robin_scheduling 0
		.amdhsa_exception_fp_ieee_invalid_op 0
		.amdhsa_exception_fp_denorm_src 0
		.amdhsa_exception_fp_ieee_div_zero 0
		.amdhsa_exception_fp_ieee_overflow 0
		.amdhsa_exception_fp_ieee_underflow 0
		.amdhsa_exception_fp_ieee_inexact 0
		.amdhsa_exception_int_div_zero 0
	.end_amdhsa_kernel
	.section	.text._ZN7rocprim17ROCPRIM_400000_NS6detail17trampoline_kernelINS0_14default_configENS1_25partition_config_selectorILNS1_17partition_subalgoE5EiNS0_10empty_typeEbEEZZNS1_14partition_implILS5_5ELb0ES3_mN6thrust23THRUST_200600_302600_NS6detail15normal_iteratorINSA_10device_ptrIiEEEEPS6_NSA_18transform_iteratorINSB_9not_fun_tI7is_trueIiEEENSC_INSD_IbEEEENSA_11use_defaultESO_EENS0_5tupleIJNSA_16discard_iteratorISO_EES6_EEENSQ_IJSG_SG_EEES6_PlJS6_EEE10hipError_tPvRmT3_T4_T5_T6_T7_T9_mT8_P12ihipStream_tbDpT10_ENKUlT_T0_E_clISt17integral_constantIbLb1EES1E_IbLb0EEEEDaS1A_S1B_EUlS1A_E_NS1_11comp_targetILNS1_3genE9ELNS1_11target_archE1100ELNS1_3gpuE3ELNS1_3repE0EEENS1_30default_config_static_selectorELNS0_4arch9wavefront6targetE0EEEvT1_,"axG",@progbits,_ZN7rocprim17ROCPRIM_400000_NS6detail17trampoline_kernelINS0_14default_configENS1_25partition_config_selectorILNS1_17partition_subalgoE5EiNS0_10empty_typeEbEEZZNS1_14partition_implILS5_5ELb0ES3_mN6thrust23THRUST_200600_302600_NS6detail15normal_iteratorINSA_10device_ptrIiEEEEPS6_NSA_18transform_iteratorINSB_9not_fun_tI7is_trueIiEEENSC_INSD_IbEEEENSA_11use_defaultESO_EENS0_5tupleIJNSA_16discard_iteratorISO_EES6_EEENSQ_IJSG_SG_EEES6_PlJS6_EEE10hipError_tPvRmT3_T4_T5_T6_T7_T9_mT8_P12ihipStream_tbDpT10_ENKUlT_T0_E_clISt17integral_constantIbLb1EES1E_IbLb0EEEEDaS1A_S1B_EUlS1A_E_NS1_11comp_targetILNS1_3genE9ELNS1_11target_archE1100ELNS1_3gpuE3ELNS1_3repE0EEENS1_30default_config_static_selectorELNS0_4arch9wavefront6targetE0EEEvT1_,comdat
.Lfunc_end2803:
	.size	_ZN7rocprim17ROCPRIM_400000_NS6detail17trampoline_kernelINS0_14default_configENS1_25partition_config_selectorILNS1_17partition_subalgoE5EiNS0_10empty_typeEbEEZZNS1_14partition_implILS5_5ELb0ES3_mN6thrust23THRUST_200600_302600_NS6detail15normal_iteratorINSA_10device_ptrIiEEEEPS6_NSA_18transform_iteratorINSB_9not_fun_tI7is_trueIiEEENSC_INSD_IbEEEENSA_11use_defaultESO_EENS0_5tupleIJNSA_16discard_iteratorISO_EES6_EEENSQ_IJSG_SG_EEES6_PlJS6_EEE10hipError_tPvRmT3_T4_T5_T6_T7_T9_mT8_P12ihipStream_tbDpT10_ENKUlT_T0_E_clISt17integral_constantIbLb1EES1E_IbLb0EEEEDaS1A_S1B_EUlS1A_E_NS1_11comp_targetILNS1_3genE9ELNS1_11target_archE1100ELNS1_3gpuE3ELNS1_3repE0EEENS1_30default_config_static_selectorELNS0_4arch9wavefront6targetE0EEEvT1_, .Lfunc_end2803-_ZN7rocprim17ROCPRIM_400000_NS6detail17trampoline_kernelINS0_14default_configENS1_25partition_config_selectorILNS1_17partition_subalgoE5EiNS0_10empty_typeEbEEZZNS1_14partition_implILS5_5ELb0ES3_mN6thrust23THRUST_200600_302600_NS6detail15normal_iteratorINSA_10device_ptrIiEEEEPS6_NSA_18transform_iteratorINSB_9not_fun_tI7is_trueIiEEENSC_INSD_IbEEEENSA_11use_defaultESO_EENS0_5tupleIJNSA_16discard_iteratorISO_EES6_EEENSQ_IJSG_SG_EEES6_PlJS6_EEE10hipError_tPvRmT3_T4_T5_T6_T7_T9_mT8_P12ihipStream_tbDpT10_ENKUlT_T0_E_clISt17integral_constantIbLb1EES1E_IbLb0EEEEDaS1A_S1B_EUlS1A_E_NS1_11comp_targetILNS1_3genE9ELNS1_11target_archE1100ELNS1_3gpuE3ELNS1_3repE0EEENS1_30default_config_static_selectorELNS0_4arch9wavefront6targetE0EEEvT1_
                                        ; -- End function
	.set _ZN7rocprim17ROCPRIM_400000_NS6detail17trampoline_kernelINS0_14default_configENS1_25partition_config_selectorILNS1_17partition_subalgoE5EiNS0_10empty_typeEbEEZZNS1_14partition_implILS5_5ELb0ES3_mN6thrust23THRUST_200600_302600_NS6detail15normal_iteratorINSA_10device_ptrIiEEEEPS6_NSA_18transform_iteratorINSB_9not_fun_tI7is_trueIiEEENSC_INSD_IbEEEENSA_11use_defaultESO_EENS0_5tupleIJNSA_16discard_iteratorISO_EES6_EEENSQ_IJSG_SG_EEES6_PlJS6_EEE10hipError_tPvRmT3_T4_T5_T6_T7_T9_mT8_P12ihipStream_tbDpT10_ENKUlT_T0_E_clISt17integral_constantIbLb1EES1E_IbLb0EEEEDaS1A_S1B_EUlS1A_E_NS1_11comp_targetILNS1_3genE9ELNS1_11target_archE1100ELNS1_3gpuE3ELNS1_3repE0EEENS1_30default_config_static_selectorELNS0_4arch9wavefront6targetE0EEEvT1_.num_vgpr, 0
	.set _ZN7rocprim17ROCPRIM_400000_NS6detail17trampoline_kernelINS0_14default_configENS1_25partition_config_selectorILNS1_17partition_subalgoE5EiNS0_10empty_typeEbEEZZNS1_14partition_implILS5_5ELb0ES3_mN6thrust23THRUST_200600_302600_NS6detail15normal_iteratorINSA_10device_ptrIiEEEEPS6_NSA_18transform_iteratorINSB_9not_fun_tI7is_trueIiEEENSC_INSD_IbEEEENSA_11use_defaultESO_EENS0_5tupleIJNSA_16discard_iteratorISO_EES6_EEENSQ_IJSG_SG_EEES6_PlJS6_EEE10hipError_tPvRmT3_T4_T5_T6_T7_T9_mT8_P12ihipStream_tbDpT10_ENKUlT_T0_E_clISt17integral_constantIbLb1EES1E_IbLb0EEEEDaS1A_S1B_EUlS1A_E_NS1_11comp_targetILNS1_3genE9ELNS1_11target_archE1100ELNS1_3gpuE3ELNS1_3repE0EEENS1_30default_config_static_selectorELNS0_4arch9wavefront6targetE0EEEvT1_.num_agpr, 0
	.set _ZN7rocprim17ROCPRIM_400000_NS6detail17trampoline_kernelINS0_14default_configENS1_25partition_config_selectorILNS1_17partition_subalgoE5EiNS0_10empty_typeEbEEZZNS1_14partition_implILS5_5ELb0ES3_mN6thrust23THRUST_200600_302600_NS6detail15normal_iteratorINSA_10device_ptrIiEEEEPS6_NSA_18transform_iteratorINSB_9not_fun_tI7is_trueIiEEENSC_INSD_IbEEEENSA_11use_defaultESO_EENS0_5tupleIJNSA_16discard_iteratorISO_EES6_EEENSQ_IJSG_SG_EEES6_PlJS6_EEE10hipError_tPvRmT3_T4_T5_T6_T7_T9_mT8_P12ihipStream_tbDpT10_ENKUlT_T0_E_clISt17integral_constantIbLb1EES1E_IbLb0EEEEDaS1A_S1B_EUlS1A_E_NS1_11comp_targetILNS1_3genE9ELNS1_11target_archE1100ELNS1_3gpuE3ELNS1_3repE0EEENS1_30default_config_static_selectorELNS0_4arch9wavefront6targetE0EEEvT1_.numbered_sgpr, 0
	.set _ZN7rocprim17ROCPRIM_400000_NS6detail17trampoline_kernelINS0_14default_configENS1_25partition_config_selectorILNS1_17partition_subalgoE5EiNS0_10empty_typeEbEEZZNS1_14partition_implILS5_5ELb0ES3_mN6thrust23THRUST_200600_302600_NS6detail15normal_iteratorINSA_10device_ptrIiEEEEPS6_NSA_18transform_iteratorINSB_9not_fun_tI7is_trueIiEEENSC_INSD_IbEEEENSA_11use_defaultESO_EENS0_5tupleIJNSA_16discard_iteratorISO_EES6_EEENSQ_IJSG_SG_EEES6_PlJS6_EEE10hipError_tPvRmT3_T4_T5_T6_T7_T9_mT8_P12ihipStream_tbDpT10_ENKUlT_T0_E_clISt17integral_constantIbLb1EES1E_IbLb0EEEEDaS1A_S1B_EUlS1A_E_NS1_11comp_targetILNS1_3genE9ELNS1_11target_archE1100ELNS1_3gpuE3ELNS1_3repE0EEENS1_30default_config_static_selectorELNS0_4arch9wavefront6targetE0EEEvT1_.num_named_barrier, 0
	.set _ZN7rocprim17ROCPRIM_400000_NS6detail17trampoline_kernelINS0_14default_configENS1_25partition_config_selectorILNS1_17partition_subalgoE5EiNS0_10empty_typeEbEEZZNS1_14partition_implILS5_5ELb0ES3_mN6thrust23THRUST_200600_302600_NS6detail15normal_iteratorINSA_10device_ptrIiEEEEPS6_NSA_18transform_iteratorINSB_9not_fun_tI7is_trueIiEEENSC_INSD_IbEEEENSA_11use_defaultESO_EENS0_5tupleIJNSA_16discard_iteratorISO_EES6_EEENSQ_IJSG_SG_EEES6_PlJS6_EEE10hipError_tPvRmT3_T4_T5_T6_T7_T9_mT8_P12ihipStream_tbDpT10_ENKUlT_T0_E_clISt17integral_constantIbLb1EES1E_IbLb0EEEEDaS1A_S1B_EUlS1A_E_NS1_11comp_targetILNS1_3genE9ELNS1_11target_archE1100ELNS1_3gpuE3ELNS1_3repE0EEENS1_30default_config_static_selectorELNS0_4arch9wavefront6targetE0EEEvT1_.private_seg_size, 0
	.set _ZN7rocprim17ROCPRIM_400000_NS6detail17trampoline_kernelINS0_14default_configENS1_25partition_config_selectorILNS1_17partition_subalgoE5EiNS0_10empty_typeEbEEZZNS1_14partition_implILS5_5ELb0ES3_mN6thrust23THRUST_200600_302600_NS6detail15normal_iteratorINSA_10device_ptrIiEEEEPS6_NSA_18transform_iteratorINSB_9not_fun_tI7is_trueIiEEENSC_INSD_IbEEEENSA_11use_defaultESO_EENS0_5tupleIJNSA_16discard_iteratorISO_EES6_EEENSQ_IJSG_SG_EEES6_PlJS6_EEE10hipError_tPvRmT3_T4_T5_T6_T7_T9_mT8_P12ihipStream_tbDpT10_ENKUlT_T0_E_clISt17integral_constantIbLb1EES1E_IbLb0EEEEDaS1A_S1B_EUlS1A_E_NS1_11comp_targetILNS1_3genE9ELNS1_11target_archE1100ELNS1_3gpuE3ELNS1_3repE0EEENS1_30default_config_static_selectorELNS0_4arch9wavefront6targetE0EEEvT1_.uses_vcc, 0
	.set _ZN7rocprim17ROCPRIM_400000_NS6detail17trampoline_kernelINS0_14default_configENS1_25partition_config_selectorILNS1_17partition_subalgoE5EiNS0_10empty_typeEbEEZZNS1_14partition_implILS5_5ELb0ES3_mN6thrust23THRUST_200600_302600_NS6detail15normal_iteratorINSA_10device_ptrIiEEEEPS6_NSA_18transform_iteratorINSB_9not_fun_tI7is_trueIiEEENSC_INSD_IbEEEENSA_11use_defaultESO_EENS0_5tupleIJNSA_16discard_iteratorISO_EES6_EEENSQ_IJSG_SG_EEES6_PlJS6_EEE10hipError_tPvRmT3_T4_T5_T6_T7_T9_mT8_P12ihipStream_tbDpT10_ENKUlT_T0_E_clISt17integral_constantIbLb1EES1E_IbLb0EEEEDaS1A_S1B_EUlS1A_E_NS1_11comp_targetILNS1_3genE9ELNS1_11target_archE1100ELNS1_3gpuE3ELNS1_3repE0EEENS1_30default_config_static_selectorELNS0_4arch9wavefront6targetE0EEEvT1_.uses_flat_scratch, 0
	.set _ZN7rocprim17ROCPRIM_400000_NS6detail17trampoline_kernelINS0_14default_configENS1_25partition_config_selectorILNS1_17partition_subalgoE5EiNS0_10empty_typeEbEEZZNS1_14partition_implILS5_5ELb0ES3_mN6thrust23THRUST_200600_302600_NS6detail15normal_iteratorINSA_10device_ptrIiEEEEPS6_NSA_18transform_iteratorINSB_9not_fun_tI7is_trueIiEEENSC_INSD_IbEEEENSA_11use_defaultESO_EENS0_5tupleIJNSA_16discard_iteratorISO_EES6_EEENSQ_IJSG_SG_EEES6_PlJS6_EEE10hipError_tPvRmT3_T4_T5_T6_T7_T9_mT8_P12ihipStream_tbDpT10_ENKUlT_T0_E_clISt17integral_constantIbLb1EES1E_IbLb0EEEEDaS1A_S1B_EUlS1A_E_NS1_11comp_targetILNS1_3genE9ELNS1_11target_archE1100ELNS1_3gpuE3ELNS1_3repE0EEENS1_30default_config_static_selectorELNS0_4arch9wavefront6targetE0EEEvT1_.has_dyn_sized_stack, 0
	.set _ZN7rocprim17ROCPRIM_400000_NS6detail17trampoline_kernelINS0_14default_configENS1_25partition_config_selectorILNS1_17partition_subalgoE5EiNS0_10empty_typeEbEEZZNS1_14partition_implILS5_5ELb0ES3_mN6thrust23THRUST_200600_302600_NS6detail15normal_iteratorINSA_10device_ptrIiEEEEPS6_NSA_18transform_iteratorINSB_9not_fun_tI7is_trueIiEEENSC_INSD_IbEEEENSA_11use_defaultESO_EENS0_5tupleIJNSA_16discard_iteratorISO_EES6_EEENSQ_IJSG_SG_EEES6_PlJS6_EEE10hipError_tPvRmT3_T4_T5_T6_T7_T9_mT8_P12ihipStream_tbDpT10_ENKUlT_T0_E_clISt17integral_constantIbLb1EES1E_IbLb0EEEEDaS1A_S1B_EUlS1A_E_NS1_11comp_targetILNS1_3genE9ELNS1_11target_archE1100ELNS1_3gpuE3ELNS1_3repE0EEENS1_30default_config_static_selectorELNS0_4arch9wavefront6targetE0EEEvT1_.has_recursion, 0
	.set _ZN7rocprim17ROCPRIM_400000_NS6detail17trampoline_kernelINS0_14default_configENS1_25partition_config_selectorILNS1_17partition_subalgoE5EiNS0_10empty_typeEbEEZZNS1_14partition_implILS5_5ELb0ES3_mN6thrust23THRUST_200600_302600_NS6detail15normal_iteratorINSA_10device_ptrIiEEEEPS6_NSA_18transform_iteratorINSB_9not_fun_tI7is_trueIiEEENSC_INSD_IbEEEENSA_11use_defaultESO_EENS0_5tupleIJNSA_16discard_iteratorISO_EES6_EEENSQ_IJSG_SG_EEES6_PlJS6_EEE10hipError_tPvRmT3_T4_T5_T6_T7_T9_mT8_P12ihipStream_tbDpT10_ENKUlT_T0_E_clISt17integral_constantIbLb1EES1E_IbLb0EEEEDaS1A_S1B_EUlS1A_E_NS1_11comp_targetILNS1_3genE9ELNS1_11target_archE1100ELNS1_3gpuE3ELNS1_3repE0EEENS1_30default_config_static_selectorELNS0_4arch9wavefront6targetE0EEEvT1_.has_indirect_call, 0
	.section	.AMDGPU.csdata,"",@progbits
; Kernel info:
; codeLenInByte = 0
; TotalNumSgprs: 0
; NumVgprs: 0
; ScratchSize: 0
; MemoryBound: 0
; FloatMode: 240
; IeeeMode: 1
; LDSByteSize: 0 bytes/workgroup (compile time only)
; SGPRBlocks: 0
; VGPRBlocks: 0
; NumSGPRsForWavesPerEU: 1
; NumVGPRsForWavesPerEU: 1
; Occupancy: 16
; WaveLimiterHint : 0
; COMPUTE_PGM_RSRC2:SCRATCH_EN: 0
; COMPUTE_PGM_RSRC2:USER_SGPR: 2
; COMPUTE_PGM_RSRC2:TRAP_HANDLER: 0
; COMPUTE_PGM_RSRC2:TGID_X_EN: 1
; COMPUTE_PGM_RSRC2:TGID_Y_EN: 0
; COMPUTE_PGM_RSRC2:TGID_Z_EN: 0
; COMPUTE_PGM_RSRC2:TIDIG_COMP_CNT: 0
	.section	.text._ZN7rocprim17ROCPRIM_400000_NS6detail17trampoline_kernelINS0_14default_configENS1_25partition_config_selectorILNS1_17partition_subalgoE5EiNS0_10empty_typeEbEEZZNS1_14partition_implILS5_5ELb0ES3_mN6thrust23THRUST_200600_302600_NS6detail15normal_iteratorINSA_10device_ptrIiEEEEPS6_NSA_18transform_iteratorINSB_9not_fun_tI7is_trueIiEEENSC_INSD_IbEEEENSA_11use_defaultESO_EENS0_5tupleIJNSA_16discard_iteratorISO_EES6_EEENSQ_IJSG_SG_EEES6_PlJS6_EEE10hipError_tPvRmT3_T4_T5_T6_T7_T9_mT8_P12ihipStream_tbDpT10_ENKUlT_T0_E_clISt17integral_constantIbLb1EES1E_IbLb0EEEEDaS1A_S1B_EUlS1A_E_NS1_11comp_targetILNS1_3genE8ELNS1_11target_archE1030ELNS1_3gpuE2ELNS1_3repE0EEENS1_30default_config_static_selectorELNS0_4arch9wavefront6targetE0EEEvT1_,"axG",@progbits,_ZN7rocprim17ROCPRIM_400000_NS6detail17trampoline_kernelINS0_14default_configENS1_25partition_config_selectorILNS1_17partition_subalgoE5EiNS0_10empty_typeEbEEZZNS1_14partition_implILS5_5ELb0ES3_mN6thrust23THRUST_200600_302600_NS6detail15normal_iteratorINSA_10device_ptrIiEEEEPS6_NSA_18transform_iteratorINSB_9not_fun_tI7is_trueIiEEENSC_INSD_IbEEEENSA_11use_defaultESO_EENS0_5tupleIJNSA_16discard_iteratorISO_EES6_EEENSQ_IJSG_SG_EEES6_PlJS6_EEE10hipError_tPvRmT3_T4_T5_T6_T7_T9_mT8_P12ihipStream_tbDpT10_ENKUlT_T0_E_clISt17integral_constantIbLb1EES1E_IbLb0EEEEDaS1A_S1B_EUlS1A_E_NS1_11comp_targetILNS1_3genE8ELNS1_11target_archE1030ELNS1_3gpuE2ELNS1_3repE0EEENS1_30default_config_static_selectorELNS0_4arch9wavefront6targetE0EEEvT1_,comdat
	.protected	_ZN7rocprim17ROCPRIM_400000_NS6detail17trampoline_kernelINS0_14default_configENS1_25partition_config_selectorILNS1_17partition_subalgoE5EiNS0_10empty_typeEbEEZZNS1_14partition_implILS5_5ELb0ES3_mN6thrust23THRUST_200600_302600_NS6detail15normal_iteratorINSA_10device_ptrIiEEEEPS6_NSA_18transform_iteratorINSB_9not_fun_tI7is_trueIiEEENSC_INSD_IbEEEENSA_11use_defaultESO_EENS0_5tupleIJNSA_16discard_iteratorISO_EES6_EEENSQ_IJSG_SG_EEES6_PlJS6_EEE10hipError_tPvRmT3_T4_T5_T6_T7_T9_mT8_P12ihipStream_tbDpT10_ENKUlT_T0_E_clISt17integral_constantIbLb1EES1E_IbLb0EEEEDaS1A_S1B_EUlS1A_E_NS1_11comp_targetILNS1_3genE8ELNS1_11target_archE1030ELNS1_3gpuE2ELNS1_3repE0EEENS1_30default_config_static_selectorELNS0_4arch9wavefront6targetE0EEEvT1_ ; -- Begin function _ZN7rocprim17ROCPRIM_400000_NS6detail17trampoline_kernelINS0_14default_configENS1_25partition_config_selectorILNS1_17partition_subalgoE5EiNS0_10empty_typeEbEEZZNS1_14partition_implILS5_5ELb0ES3_mN6thrust23THRUST_200600_302600_NS6detail15normal_iteratorINSA_10device_ptrIiEEEEPS6_NSA_18transform_iteratorINSB_9not_fun_tI7is_trueIiEEENSC_INSD_IbEEEENSA_11use_defaultESO_EENS0_5tupleIJNSA_16discard_iteratorISO_EES6_EEENSQ_IJSG_SG_EEES6_PlJS6_EEE10hipError_tPvRmT3_T4_T5_T6_T7_T9_mT8_P12ihipStream_tbDpT10_ENKUlT_T0_E_clISt17integral_constantIbLb1EES1E_IbLb0EEEEDaS1A_S1B_EUlS1A_E_NS1_11comp_targetILNS1_3genE8ELNS1_11target_archE1030ELNS1_3gpuE2ELNS1_3repE0EEENS1_30default_config_static_selectorELNS0_4arch9wavefront6targetE0EEEvT1_
	.globl	_ZN7rocprim17ROCPRIM_400000_NS6detail17trampoline_kernelINS0_14default_configENS1_25partition_config_selectorILNS1_17partition_subalgoE5EiNS0_10empty_typeEbEEZZNS1_14partition_implILS5_5ELb0ES3_mN6thrust23THRUST_200600_302600_NS6detail15normal_iteratorINSA_10device_ptrIiEEEEPS6_NSA_18transform_iteratorINSB_9not_fun_tI7is_trueIiEEENSC_INSD_IbEEEENSA_11use_defaultESO_EENS0_5tupleIJNSA_16discard_iteratorISO_EES6_EEENSQ_IJSG_SG_EEES6_PlJS6_EEE10hipError_tPvRmT3_T4_T5_T6_T7_T9_mT8_P12ihipStream_tbDpT10_ENKUlT_T0_E_clISt17integral_constantIbLb1EES1E_IbLb0EEEEDaS1A_S1B_EUlS1A_E_NS1_11comp_targetILNS1_3genE8ELNS1_11target_archE1030ELNS1_3gpuE2ELNS1_3repE0EEENS1_30default_config_static_selectorELNS0_4arch9wavefront6targetE0EEEvT1_
	.p2align	8
	.type	_ZN7rocprim17ROCPRIM_400000_NS6detail17trampoline_kernelINS0_14default_configENS1_25partition_config_selectorILNS1_17partition_subalgoE5EiNS0_10empty_typeEbEEZZNS1_14partition_implILS5_5ELb0ES3_mN6thrust23THRUST_200600_302600_NS6detail15normal_iteratorINSA_10device_ptrIiEEEEPS6_NSA_18transform_iteratorINSB_9not_fun_tI7is_trueIiEEENSC_INSD_IbEEEENSA_11use_defaultESO_EENS0_5tupleIJNSA_16discard_iteratorISO_EES6_EEENSQ_IJSG_SG_EEES6_PlJS6_EEE10hipError_tPvRmT3_T4_T5_T6_T7_T9_mT8_P12ihipStream_tbDpT10_ENKUlT_T0_E_clISt17integral_constantIbLb1EES1E_IbLb0EEEEDaS1A_S1B_EUlS1A_E_NS1_11comp_targetILNS1_3genE8ELNS1_11target_archE1030ELNS1_3gpuE2ELNS1_3repE0EEENS1_30default_config_static_selectorELNS0_4arch9wavefront6targetE0EEEvT1_,@function
_ZN7rocprim17ROCPRIM_400000_NS6detail17trampoline_kernelINS0_14default_configENS1_25partition_config_selectorILNS1_17partition_subalgoE5EiNS0_10empty_typeEbEEZZNS1_14partition_implILS5_5ELb0ES3_mN6thrust23THRUST_200600_302600_NS6detail15normal_iteratorINSA_10device_ptrIiEEEEPS6_NSA_18transform_iteratorINSB_9not_fun_tI7is_trueIiEEENSC_INSD_IbEEEENSA_11use_defaultESO_EENS0_5tupleIJNSA_16discard_iteratorISO_EES6_EEENSQ_IJSG_SG_EEES6_PlJS6_EEE10hipError_tPvRmT3_T4_T5_T6_T7_T9_mT8_P12ihipStream_tbDpT10_ENKUlT_T0_E_clISt17integral_constantIbLb1EES1E_IbLb0EEEEDaS1A_S1B_EUlS1A_E_NS1_11comp_targetILNS1_3genE8ELNS1_11target_archE1030ELNS1_3gpuE2ELNS1_3repE0EEENS1_30default_config_static_selectorELNS0_4arch9wavefront6targetE0EEEvT1_: ; @_ZN7rocprim17ROCPRIM_400000_NS6detail17trampoline_kernelINS0_14default_configENS1_25partition_config_selectorILNS1_17partition_subalgoE5EiNS0_10empty_typeEbEEZZNS1_14partition_implILS5_5ELb0ES3_mN6thrust23THRUST_200600_302600_NS6detail15normal_iteratorINSA_10device_ptrIiEEEEPS6_NSA_18transform_iteratorINSB_9not_fun_tI7is_trueIiEEENSC_INSD_IbEEEENSA_11use_defaultESO_EENS0_5tupleIJNSA_16discard_iteratorISO_EES6_EEENSQ_IJSG_SG_EEES6_PlJS6_EEE10hipError_tPvRmT3_T4_T5_T6_T7_T9_mT8_P12ihipStream_tbDpT10_ENKUlT_T0_E_clISt17integral_constantIbLb1EES1E_IbLb0EEEEDaS1A_S1B_EUlS1A_E_NS1_11comp_targetILNS1_3genE8ELNS1_11target_archE1030ELNS1_3gpuE2ELNS1_3repE0EEENS1_30default_config_static_selectorELNS0_4arch9wavefront6targetE0EEEvT1_
; %bb.0:
	.section	.rodata,"a",@progbits
	.p2align	6, 0x0
	.amdhsa_kernel _ZN7rocprim17ROCPRIM_400000_NS6detail17trampoline_kernelINS0_14default_configENS1_25partition_config_selectorILNS1_17partition_subalgoE5EiNS0_10empty_typeEbEEZZNS1_14partition_implILS5_5ELb0ES3_mN6thrust23THRUST_200600_302600_NS6detail15normal_iteratorINSA_10device_ptrIiEEEEPS6_NSA_18transform_iteratorINSB_9not_fun_tI7is_trueIiEEENSC_INSD_IbEEEENSA_11use_defaultESO_EENS0_5tupleIJNSA_16discard_iteratorISO_EES6_EEENSQ_IJSG_SG_EEES6_PlJS6_EEE10hipError_tPvRmT3_T4_T5_T6_T7_T9_mT8_P12ihipStream_tbDpT10_ENKUlT_T0_E_clISt17integral_constantIbLb1EES1E_IbLb0EEEEDaS1A_S1B_EUlS1A_E_NS1_11comp_targetILNS1_3genE8ELNS1_11target_archE1030ELNS1_3gpuE2ELNS1_3repE0EEENS1_30default_config_static_selectorELNS0_4arch9wavefront6targetE0EEEvT1_
		.amdhsa_group_segment_fixed_size 0
		.amdhsa_private_segment_fixed_size 0
		.amdhsa_kernarg_size 128
		.amdhsa_user_sgpr_count 2
		.amdhsa_user_sgpr_dispatch_ptr 0
		.amdhsa_user_sgpr_queue_ptr 0
		.amdhsa_user_sgpr_kernarg_segment_ptr 1
		.amdhsa_user_sgpr_dispatch_id 0
		.amdhsa_user_sgpr_private_segment_size 0
		.amdhsa_wavefront_size32 1
		.amdhsa_uses_dynamic_stack 0
		.amdhsa_enable_private_segment 0
		.amdhsa_system_sgpr_workgroup_id_x 1
		.amdhsa_system_sgpr_workgroup_id_y 0
		.amdhsa_system_sgpr_workgroup_id_z 0
		.amdhsa_system_sgpr_workgroup_info 0
		.amdhsa_system_vgpr_workitem_id 0
		.amdhsa_next_free_vgpr 1
		.amdhsa_next_free_sgpr 1
		.amdhsa_reserve_vcc 0
		.amdhsa_float_round_mode_32 0
		.amdhsa_float_round_mode_16_64 0
		.amdhsa_float_denorm_mode_32 3
		.amdhsa_float_denorm_mode_16_64 3
		.amdhsa_fp16_overflow 0
		.amdhsa_workgroup_processor_mode 1
		.amdhsa_memory_ordered 1
		.amdhsa_forward_progress 1
		.amdhsa_inst_pref_size 0
		.amdhsa_round_robin_scheduling 0
		.amdhsa_exception_fp_ieee_invalid_op 0
		.amdhsa_exception_fp_denorm_src 0
		.amdhsa_exception_fp_ieee_div_zero 0
		.amdhsa_exception_fp_ieee_overflow 0
		.amdhsa_exception_fp_ieee_underflow 0
		.amdhsa_exception_fp_ieee_inexact 0
		.amdhsa_exception_int_div_zero 0
	.end_amdhsa_kernel
	.section	.text._ZN7rocprim17ROCPRIM_400000_NS6detail17trampoline_kernelINS0_14default_configENS1_25partition_config_selectorILNS1_17partition_subalgoE5EiNS0_10empty_typeEbEEZZNS1_14partition_implILS5_5ELb0ES3_mN6thrust23THRUST_200600_302600_NS6detail15normal_iteratorINSA_10device_ptrIiEEEEPS6_NSA_18transform_iteratorINSB_9not_fun_tI7is_trueIiEEENSC_INSD_IbEEEENSA_11use_defaultESO_EENS0_5tupleIJNSA_16discard_iteratorISO_EES6_EEENSQ_IJSG_SG_EEES6_PlJS6_EEE10hipError_tPvRmT3_T4_T5_T6_T7_T9_mT8_P12ihipStream_tbDpT10_ENKUlT_T0_E_clISt17integral_constantIbLb1EES1E_IbLb0EEEEDaS1A_S1B_EUlS1A_E_NS1_11comp_targetILNS1_3genE8ELNS1_11target_archE1030ELNS1_3gpuE2ELNS1_3repE0EEENS1_30default_config_static_selectorELNS0_4arch9wavefront6targetE0EEEvT1_,"axG",@progbits,_ZN7rocprim17ROCPRIM_400000_NS6detail17trampoline_kernelINS0_14default_configENS1_25partition_config_selectorILNS1_17partition_subalgoE5EiNS0_10empty_typeEbEEZZNS1_14partition_implILS5_5ELb0ES3_mN6thrust23THRUST_200600_302600_NS6detail15normal_iteratorINSA_10device_ptrIiEEEEPS6_NSA_18transform_iteratorINSB_9not_fun_tI7is_trueIiEEENSC_INSD_IbEEEENSA_11use_defaultESO_EENS0_5tupleIJNSA_16discard_iteratorISO_EES6_EEENSQ_IJSG_SG_EEES6_PlJS6_EEE10hipError_tPvRmT3_T4_T5_T6_T7_T9_mT8_P12ihipStream_tbDpT10_ENKUlT_T0_E_clISt17integral_constantIbLb1EES1E_IbLb0EEEEDaS1A_S1B_EUlS1A_E_NS1_11comp_targetILNS1_3genE8ELNS1_11target_archE1030ELNS1_3gpuE2ELNS1_3repE0EEENS1_30default_config_static_selectorELNS0_4arch9wavefront6targetE0EEEvT1_,comdat
.Lfunc_end2804:
	.size	_ZN7rocprim17ROCPRIM_400000_NS6detail17trampoline_kernelINS0_14default_configENS1_25partition_config_selectorILNS1_17partition_subalgoE5EiNS0_10empty_typeEbEEZZNS1_14partition_implILS5_5ELb0ES3_mN6thrust23THRUST_200600_302600_NS6detail15normal_iteratorINSA_10device_ptrIiEEEEPS6_NSA_18transform_iteratorINSB_9not_fun_tI7is_trueIiEEENSC_INSD_IbEEEENSA_11use_defaultESO_EENS0_5tupleIJNSA_16discard_iteratorISO_EES6_EEENSQ_IJSG_SG_EEES6_PlJS6_EEE10hipError_tPvRmT3_T4_T5_T6_T7_T9_mT8_P12ihipStream_tbDpT10_ENKUlT_T0_E_clISt17integral_constantIbLb1EES1E_IbLb0EEEEDaS1A_S1B_EUlS1A_E_NS1_11comp_targetILNS1_3genE8ELNS1_11target_archE1030ELNS1_3gpuE2ELNS1_3repE0EEENS1_30default_config_static_selectorELNS0_4arch9wavefront6targetE0EEEvT1_, .Lfunc_end2804-_ZN7rocprim17ROCPRIM_400000_NS6detail17trampoline_kernelINS0_14default_configENS1_25partition_config_selectorILNS1_17partition_subalgoE5EiNS0_10empty_typeEbEEZZNS1_14partition_implILS5_5ELb0ES3_mN6thrust23THRUST_200600_302600_NS6detail15normal_iteratorINSA_10device_ptrIiEEEEPS6_NSA_18transform_iteratorINSB_9not_fun_tI7is_trueIiEEENSC_INSD_IbEEEENSA_11use_defaultESO_EENS0_5tupleIJNSA_16discard_iteratorISO_EES6_EEENSQ_IJSG_SG_EEES6_PlJS6_EEE10hipError_tPvRmT3_T4_T5_T6_T7_T9_mT8_P12ihipStream_tbDpT10_ENKUlT_T0_E_clISt17integral_constantIbLb1EES1E_IbLb0EEEEDaS1A_S1B_EUlS1A_E_NS1_11comp_targetILNS1_3genE8ELNS1_11target_archE1030ELNS1_3gpuE2ELNS1_3repE0EEENS1_30default_config_static_selectorELNS0_4arch9wavefront6targetE0EEEvT1_
                                        ; -- End function
	.set _ZN7rocprim17ROCPRIM_400000_NS6detail17trampoline_kernelINS0_14default_configENS1_25partition_config_selectorILNS1_17partition_subalgoE5EiNS0_10empty_typeEbEEZZNS1_14partition_implILS5_5ELb0ES3_mN6thrust23THRUST_200600_302600_NS6detail15normal_iteratorINSA_10device_ptrIiEEEEPS6_NSA_18transform_iteratorINSB_9not_fun_tI7is_trueIiEEENSC_INSD_IbEEEENSA_11use_defaultESO_EENS0_5tupleIJNSA_16discard_iteratorISO_EES6_EEENSQ_IJSG_SG_EEES6_PlJS6_EEE10hipError_tPvRmT3_T4_T5_T6_T7_T9_mT8_P12ihipStream_tbDpT10_ENKUlT_T0_E_clISt17integral_constantIbLb1EES1E_IbLb0EEEEDaS1A_S1B_EUlS1A_E_NS1_11comp_targetILNS1_3genE8ELNS1_11target_archE1030ELNS1_3gpuE2ELNS1_3repE0EEENS1_30default_config_static_selectorELNS0_4arch9wavefront6targetE0EEEvT1_.num_vgpr, 0
	.set _ZN7rocprim17ROCPRIM_400000_NS6detail17trampoline_kernelINS0_14default_configENS1_25partition_config_selectorILNS1_17partition_subalgoE5EiNS0_10empty_typeEbEEZZNS1_14partition_implILS5_5ELb0ES3_mN6thrust23THRUST_200600_302600_NS6detail15normal_iteratorINSA_10device_ptrIiEEEEPS6_NSA_18transform_iteratorINSB_9not_fun_tI7is_trueIiEEENSC_INSD_IbEEEENSA_11use_defaultESO_EENS0_5tupleIJNSA_16discard_iteratorISO_EES6_EEENSQ_IJSG_SG_EEES6_PlJS6_EEE10hipError_tPvRmT3_T4_T5_T6_T7_T9_mT8_P12ihipStream_tbDpT10_ENKUlT_T0_E_clISt17integral_constantIbLb1EES1E_IbLb0EEEEDaS1A_S1B_EUlS1A_E_NS1_11comp_targetILNS1_3genE8ELNS1_11target_archE1030ELNS1_3gpuE2ELNS1_3repE0EEENS1_30default_config_static_selectorELNS0_4arch9wavefront6targetE0EEEvT1_.num_agpr, 0
	.set _ZN7rocprim17ROCPRIM_400000_NS6detail17trampoline_kernelINS0_14default_configENS1_25partition_config_selectorILNS1_17partition_subalgoE5EiNS0_10empty_typeEbEEZZNS1_14partition_implILS5_5ELb0ES3_mN6thrust23THRUST_200600_302600_NS6detail15normal_iteratorINSA_10device_ptrIiEEEEPS6_NSA_18transform_iteratorINSB_9not_fun_tI7is_trueIiEEENSC_INSD_IbEEEENSA_11use_defaultESO_EENS0_5tupleIJNSA_16discard_iteratorISO_EES6_EEENSQ_IJSG_SG_EEES6_PlJS6_EEE10hipError_tPvRmT3_T4_T5_T6_T7_T9_mT8_P12ihipStream_tbDpT10_ENKUlT_T0_E_clISt17integral_constantIbLb1EES1E_IbLb0EEEEDaS1A_S1B_EUlS1A_E_NS1_11comp_targetILNS1_3genE8ELNS1_11target_archE1030ELNS1_3gpuE2ELNS1_3repE0EEENS1_30default_config_static_selectorELNS0_4arch9wavefront6targetE0EEEvT1_.numbered_sgpr, 0
	.set _ZN7rocprim17ROCPRIM_400000_NS6detail17trampoline_kernelINS0_14default_configENS1_25partition_config_selectorILNS1_17partition_subalgoE5EiNS0_10empty_typeEbEEZZNS1_14partition_implILS5_5ELb0ES3_mN6thrust23THRUST_200600_302600_NS6detail15normal_iteratorINSA_10device_ptrIiEEEEPS6_NSA_18transform_iteratorINSB_9not_fun_tI7is_trueIiEEENSC_INSD_IbEEEENSA_11use_defaultESO_EENS0_5tupleIJNSA_16discard_iteratorISO_EES6_EEENSQ_IJSG_SG_EEES6_PlJS6_EEE10hipError_tPvRmT3_T4_T5_T6_T7_T9_mT8_P12ihipStream_tbDpT10_ENKUlT_T0_E_clISt17integral_constantIbLb1EES1E_IbLb0EEEEDaS1A_S1B_EUlS1A_E_NS1_11comp_targetILNS1_3genE8ELNS1_11target_archE1030ELNS1_3gpuE2ELNS1_3repE0EEENS1_30default_config_static_selectorELNS0_4arch9wavefront6targetE0EEEvT1_.num_named_barrier, 0
	.set _ZN7rocprim17ROCPRIM_400000_NS6detail17trampoline_kernelINS0_14default_configENS1_25partition_config_selectorILNS1_17partition_subalgoE5EiNS0_10empty_typeEbEEZZNS1_14partition_implILS5_5ELb0ES3_mN6thrust23THRUST_200600_302600_NS6detail15normal_iteratorINSA_10device_ptrIiEEEEPS6_NSA_18transform_iteratorINSB_9not_fun_tI7is_trueIiEEENSC_INSD_IbEEEENSA_11use_defaultESO_EENS0_5tupleIJNSA_16discard_iteratorISO_EES6_EEENSQ_IJSG_SG_EEES6_PlJS6_EEE10hipError_tPvRmT3_T4_T5_T6_T7_T9_mT8_P12ihipStream_tbDpT10_ENKUlT_T0_E_clISt17integral_constantIbLb1EES1E_IbLb0EEEEDaS1A_S1B_EUlS1A_E_NS1_11comp_targetILNS1_3genE8ELNS1_11target_archE1030ELNS1_3gpuE2ELNS1_3repE0EEENS1_30default_config_static_selectorELNS0_4arch9wavefront6targetE0EEEvT1_.private_seg_size, 0
	.set _ZN7rocprim17ROCPRIM_400000_NS6detail17trampoline_kernelINS0_14default_configENS1_25partition_config_selectorILNS1_17partition_subalgoE5EiNS0_10empty_typeEbEEZZNS1_14partition_implILS5_5ELb0ES3_mN6thrust23THRUST_200600_302600_NS6detail15normal_iteratorINSA_10device_ptrIiEEEEPS6_NSA_18transform_iteratorINSB_9not_fun_tI7is_trueIiEEENSC_INSD_IbEEEENSA_11use_defaultESO_EENS0_5tupleIJNSA_16discard_iteratorISO_EES6_EEENSQ_IJSG_SG_EEES6_PlJS6_EEE10hipError_tPvRmT3_T4_T5_T6_T7_T9_mT8_P12ihipStream_tbDpT10_ENKUlT_T0_E_clISt17integral_constantIbLb1EES1E_IbLb0EEEEDaS1A_S1B_EUlS1A_E_NS1_11comp_targetILNS1_3genE8ELNS1_11target_archE1030ELNS1_3gpuE2ELNS1_3repE0EEENS1_30default_config_static_selectorELNS0_4arch9wavefront6targetE0EEEvT1_.uses_vcc, 0
	.set _ZN7rocprim17ROCPRIM_400000_NS6detail17trampoline_kernelINS0_14default_configENS1_25partition_config_selectorILNS1_17partition_subalgoE5EiNS0_10empty_typeEbEEZZNS1_14partition_implILS5_5ELb0ES3_mN6thrust23THRUST_200600_302600_NS6detail15normal_iteratorINSA_10device_ptrIiEEEEPS6_NSA_18transform_iteratorINSB_9not_fun_tI7is_trueIiEEENSC_INSD_IbEEEENSA_11use_defaultESO_EENS0_5tupleIJNSA_16discard_iteratorISO_EES6_EEENSQ_IJSG_SG_EEES6_PlJS6_EEE10hipError_tPvRmT3_T4_T5_T6_T7_T9_mT8_P12ihipStream_tbDpT10_ENKUlT_T0_E_clISt17integral_constantIbLb1EES1E_IbLb0EEEEDaS1A_S1B_EUlS1A_E_NS1_11comp_targetILNS1_3genE8ELNS1_11target_archE1030ELNS1_3gpuE2ELNS1_3repE0EEENS1_30default_config_static_selectorELNS0_4arch9wavefront6targetE0EEEvT1_.uses_flat_scratch, 0
	.set _ZN7rocprim17ROCPRIM_400000_NS6detail17trampoline_kernelINS0_14default_configENS1_25partition_config_selectorILNS1_17partition_subalgoE5EiNS0_10empty_typeEbEEZZNS1_14partition_implILS5_5ELb0ES3_mN6thrust23THRUST_200600_302600_NS6detail15normal_iteratorINSA_10device_ptrIiEEEEPS6_NSA_18transform_iteratorINSB_9not_fun_tI7is_trueIiEEENSC_INSD_IbEEEENSA_11use_defaultESO_EENS0_5tupleIJNSA_16discard_iteratorISO_EES6_EEENSQ_IJSG_SG_EEES6_PlJS6_EEE10hipError_tPvRmT3_T4_T5_T6_T7_T9_mT8_P12ihipStream_tbDpT10_ENKUlT_T0_E_clISt17integral_constantIbLb1EES1E_IbLb0EEEEDaS1A_S1B_EUlS1A_E_NS1_11comp_targetILNS1_3genE8ELNS1_11target_archE1030ELNS1_3gpuE2ELNS1_3repE0EEENS1_30default_config_static_selectorELNS0_4arch9wavefront6targetE0EEEvT1_.has_dyn_sized_stack, 0
	.set _ZN7rocprim17ROCPRIM_400000_NS6detail17trampoline_kernelINS0_14default_configENS1_25partition_config_selectorILNS1_17partition_subalgoE5EiNS0_10empty_typeEbEEZZNS1_14partition_implILS5_5ELb0ES3_mN6thrust23THRUST_200600_302600_NS6detail15normal_iteratorINSA_10device_ptrIiEEEEPS6_NSA_18transform_iteratorINSB_9not_fun_tI7is_trueIiEEENSC_INSD_IbEEEENSA_11use_defaultESO_EENS0_5tupleIJNSA_16discard_iteratorISO_EES6_EEENSQ_IJSG_SG_EEES6_PlJS6_EEE10hipError_tPvRmT3_T4_T5_T6_T7_T9_mT8_P12ihipStream_tbDpT10_ENKUlT_T0_E_clISt17integral_constantIbLb1EES1E_IbLb0EEEEDaS1A_S1B_EUlS1A_E_NS1_11comp_targetILNS1_3genE8ELNS1_11target_archE1030ELNS1_3gpuE2ELNS1_3repE0EEENS1_30default_config_static_selectorELNS0_4arch9wavefront6targetE0EEEvT1_.has_recursion, 0
	.set _ZN7rocprim17ROCPRIM_400000_NS6detail17trampoline_kernelINS0_14default_configENS1_25partition_config_selectorILNS1_17partition_subalgoE5EiNS0_10empty_typeEbEEZZNS1_14partition_implILS5_5ELb0ES3_mN6thrust23THRUST_200600_302600_NS6detail15normal_iteratorINSA_10device_ptrIiEEEEPS6_NSA_18transform_iteratorINSB_9not_fun_tI7is_trueIiEEENSC_INSD_IbEEEENSA_11use_defaultESO_EENS0_5tupleIJNSA_16discard_iteratorISO_EES6_EEENSQ_IJSG_SG_EEES6_PlJS6_EEE10hipError_tPvRmT3_T4_T5_T6_T7_T9_mT8_P12ihipStream_tbDpT10_ENKUlT_T0_E_clISt17integral_constantIbLb1EES1E_IbLb0EEEEDaS1A_S1B_EUlS1A_E_NS1_11comp_targetILNS1_3genE8ELNS1_11target_archE1030ELNS1_3gpuE2ELNS1_3repE0EEENS1_30default_config_static_selectorELNS0_4arch9wavefront6targetE0EEEvT1_.has_indirect_call, 0
	.section	.AMDGPU.csdata,"",@progbits
; Kernel info:
; codeLenInByte = 0
; TotalNumSgprs: 0
; NumVgprs: 0
; ScratchSize: 0
; MemoryBound: 0
; FloatMode: 240
; IeeeMode: 1
; LDSByteSize: 0 bytes/workgroup (compile time only)
; SGPRBlocks: 0
; VGPRBlocks: 0
; NumSGPRsForWavesPerEU: 1
; NumVGPRsForWavesPerEU: 1
; Occupancy: 16
; WaveLimiterHint : 0
; COMPUTE_PGM_RSRC2:SCRATCH_EN: 0
; COMPUTE_PGM_RSRC2:USER_SGPR: 2
; COMPUTE_PGM_RSRC2:TRAP_HANDLER: 0
; COMPUTE_PGM_RSRC2:TGID_X_EN: 1
; COMPUTE_PGM_RSRC2:TGID_Y_EN: 0
; COMPUTE_PGM_RSRC2:TGID_Z_EN: 0
; COMPUTE_PGM_RSRC2:TIDIG_COMP_CNT: 0
	.section	.text._ZN7rocprim17ROCPRIM_400000_NS6detail17trampoline_kernelINS0_14default_configENS1_25partition_config_selectorILNS1_17partition_subalgoE5EiNS0_10empty_typeEbEEZZNS1_14partition_implILS5_5ELb0ES3_mN6thrust23THRUST_200600_302600_NS6detail15normal_iteratorINSA_10device_ptrIiEEEEPS6_NSA_18transform_iteratorINSB_9not_fun_tI7is_trueIiEEENSC_INSD_IbEEEENSA_11use_defaultESO_EENS0_5tupleIJNSA_16discard_iteratorISO_EES6_EEENSQ_IJSG_SG_EEES6_PlJS6_EEE10hipError_tPvRmT3_T4_T5_T6_T7_T9_mT8_P12ihipStream_tbDpT10_ENKUlT_T0_E_clISt17integral_constantIbLb0EES1E_IbLb1EEEEDaS1A_S1B_EUlS1A_E_NS1_11comp_targetILNS1_3genE0ELNS1_11target_archE4294967295ELNS1_3gpuE0ELNS1_3repE0EEENS1_30default_config_static_selectorELNS0_4arch9wavefront6targetE0EEEvT1_,"axG",@progbits,_ZN7rocprim17ROCPRIM_400000_NS6detail17trampoline_kernelINS0_14default_configENS1_25partition_config_selectorILNS1_17partition_subalgoE5EiNS0_10empty_typeEbEEZZNS1_14partition_implILS5_5ELb0ES3_mN6thrust23THRUST_200600_302600_NS6detail15normal_iteratorINSA_10device_ptrIiEEEEPS6_NSA_18transform_iteratorINSB_9not_fun_tI7is_trueIiEEENSC_INSD_IbEEEENSA_11use_defaultESO_EENS0_5tupleIJNSA_16discard_iteratorISO_EES6_EEENSQ_IJSG_SG_EEES6_PlJS6_EEE10hipError_tPvRmT3_T4_T5_T6_T7_T9_mT8_P12ihipStream_tbDpT10_ENKUlT_T0_E_clISt17integral_constantIbLb0EES1E_IbLb1EEEEDaS1A_S1B_EUlS1A_E_NS1_11comp_targetILNS1_3genE0ELNS1_11target_archE4294967295ELNS1_3gpuE0ELNS1_3repE0EEENS1_30default_config_static_selectorELNS0_4arch9wavefront6targetE0EEEvT1_,comdat
	.protected	_ZN7rocprim17ROCPRIM_400000_NS6detail17trampoline_kernelINS0_14default_configENS1_25partition_config_selectorILNS1_17partition_subalgoE5EiNS0_10empty_typeEbEEZZNS1_14partition_implILS5_5ELb0ES3_mN6thrust23THRUST_200600_302600_NS6detail15normal_iteratorINSA_10device_ptrIiEEEEPS6_NSA_18transform_iteratorINSB_9not_fun_tI7is_trueIiEEENSC_INSD_IbEEEENSA_11use_defaultESO_EENS0_5tupleIJNSA_16discard_iteratorISO_EES6_EEENSQ_IJSG_SG_EEES6_PlJS6_EEE10hipError_tPvRmT3_T4_T5_T6_T7_T9_mT8_P12ihipStream_tbDpT10_ENKUlT_T0_E_clISt17integral_constantIbLb0EES1E_IbLb1EEEEDaS1A_S1B_EUlS1A_E_NS1_11comp_targetILNS1_3genE0ELNS1_11target_archE4294967295ELNS1_3gpuE0ELNS1_3repE0EEENS1_30default_config_static_selectorELNS0_4arch9wavefront6targetE0EEEvT1_ ; -- Begin function _ZN7rocprim17ROCPRIM_400000_NS6detail17trampoline_kernelINS0_14default_configENS1_25partition_config_selectorILNS1_17partition_subalgoE5EiNS0_10empty_typeEbEEZZNS1_14partition_implILS5_5ELb0ES3_mN6thrust23THRUST_200600_302600_NS6detail15normal_iteratorINSA_10device_ptrIiEEEEPS6_NSA_18transform_iteratorINSB_9not_fun_tI7is_trueIiEEENSC_INSD_IbEEEENSA_11use_defaultESO_EENS0_5tupleIJNSA_16discard_iteratorISO_EES6_EEENSQ_IJSG_SG_EEES6_PlJS6_EEE10hipError_tPvRmT3_T4_T5_T6_T7_T9_mT8_P12ihipStream_tbDpT10_ENKUlT_T0_E_clISt17integral_constantIbLb0EES1E_IbLb1EEEEDaS1A_S1B_EUlS1A_E_NS1_11comp_targetILNS1_3genE0ELNS1_11target_archE4294967295ELNS1_3gpuE0ELNS1_3repE0EEENS1_30default_config_static_selectorELNS0_4arch9wavefront6targetE0EEEvT1_
	.globl	_ZN7rocprim17ROCPRIM_400000_NS6detail17trampoline_kernelINS0_14default_configENS1_25partition_config_selectorILNS1_17partition_subalgoE5EiNS0_10empty_typeEbEEZZNS1_14partition_implILS5_5ELb0ES3_mN6thrust23THRUST_200600_302600_NS6detail15normal_iteratorINSA_10device_ptrIiEEEEPS6_NSA_18transform_iteratorINSB_9not_fun_tI7is_trueIiEEENSC_INSD_IbEEEENSA_11use_defaultESO_EENS0_5tupleIJNSA_16discard_iteratorISO_EES6_EEENSQ_IJSG_SG_EEES6_PlJS6_EEE10hipError_tPvRmT3_T4_T5_T6_T7_T9_mT8_P12ihipStream_tbDpT10_ENKUlT_T0_E_clISt17integral_constantIbLb0EES1E_IbLb1EEEEDaS1A_S1B_EUlS1A_E_NS1_11comp_targetILNS1_3genE0ELNS1_11target_archE4294967295ELNS1_3gpuE0ELNS1_3repE0EEENS1_30default_config_static_selectorELNS0_4arch9wavefront6targetE0EEEvT1_
	.p2align	8
	.type	_ZN7rocprim17ROCPRIM_400000_NS6detail17trampoline_kernelINS0_14default_configENS1_25partition_config_selectorILNS1_17partition_subalgoE5EiNS0_10empty_typeEbEEZZNS1_14partition_implILS5_5ELb0ES3_mN6thrust23THRUST_200600_302600_NS6detail15normal_iteratorINSA_10device_ptrIiEEEEPS6_NSA_18transform_iteratorINSB_9not_fun_tI7is_trueIiEEENSC_INSD_IbEEEENSA_11use_defaultESO_EENS0_5tupleIJNSA_16discard_iteratorISO_EES6_EEENSQ_IJSG_SG_EEES6_PlJS6_EEE10hipError_tPvRmT3_T4_T5_T6_T7_T9_mT8_P12ihipStream_tbDpT10_ENKUlT_T0_E_clISt17integral_constantIbLb0EES1E_IbLb1EEEEDaS1A_S1B_EUlS1A_E_NS1_11comp_targetILNS1_3genE0ELNS1_11target_archE4294967295ELNS1_3gpuE0ELNS1_3repE0EEENS1_30default_config_static_selectorELNS0_4arch9wavefront6targetE0EEEvT1_,@function
_ZN7rocprim17ROCPRIM_400000_NS6detail17trampoline_kernelINS0_14default_configENS1_25partition_config_selectorILNS1_17partition_subalgoE5EiNS0_10empty_typeEbEEZZNS1_14partition_implILS5_5ELb0ES3_mN6thrust23THRUST_200600_302600_NS6detail15normal_iteratorINSA_10device_ptrIiEEEEPS6_NSA_18transform_iteratorINSB_9not_fun_tI7is_trueIiEEENSC_INSD_IbEEEENSA_11use_defaultESO_EENS0_5tupleIJNSA_16discard_iteratorISO_EES6_EEENSQ_IJSG_SG_EEES6_PlJS6_EEE10hipError_tPvRmT3_T4_T5_T6_T7_T9_mT8_P12ihipStream_tbDpT10_ENKUlT_T0_E_clISt17integral_constantIbLb0EES1E_IbLb1EEEEDaS1A_S1B_EUlS1A_E_NS1_11comp_targetILNS1_3genE0ELNS1_11target_archE4294967295ELNS1_3gpuE0ELNS1_3repE0EEENS1_30default_config_static_selectorELNS0_4arch9wavefront6targetE0EEEvT1_: ; @_ZN7rocprim17ROCPRIM_400000_NS6detail17trampoline_kernelINS0_14default_configENS1_25partition_config_selectorILNS1_17partition_subalgoE5EiNS0_10empty_typeEbEEZZNS1_14partition_implILS5_5ELb0ES3_mN6thrust23THRUST_200600_302600_NS6detail15normal_iteratorINSA_10device_ptrIiEEEEPS6_NSA_18transform_iteratorINSB_9not_fun_tI7is_trueIiEEENSC_INSD_IbEEEENSA_11use_defaultESO_EENS0_5tupleIJNSA_16discard_iteratorISO_EES6_EEENSQ_IJSG_SG_EEES6_PlJS6_EEE10hipError_tPvRmT3_T4_T5_T6_T7_T9_mT8_P12ihipStream_tbDpT10_ENKUlT_T0_E_clISt17integral_constantIbLb0EES1E_IbLb1EEEEDaS1A_S1B_EUlS1A_E_NS1_11comp_targetILNS1_3genE0ELNS1_11target_archE4294967295ELNS1_3gpuE0ELNS1_3repE0EEENS1_30default_config_static_selectorELNS0_4arch9wavefront6targetE0EEEvT1_
; %bb.0:
	.section	.rodata,"a",@progbits
	.p2align	6, 0x0
	.amdhsa_kernel _ZN7rocprim17ROCPRIM_400000_NS6detail17trampoline_kernelINS0_14default_configENS1_25partition_config_selectorILNS1_17partition_subalgoE5EiNS0_10empty_typeEbEEZZNS1_14partition_implILS5_5ELb0ES3_mN6thrust23THRUST_200600_302600_NS6detail15normal_iteratorINSA_10device_ptrIiEEEEPS6_NSA_18transform_iteratorINSB_9not_fun_tI7is_trueIiEEENSC_INSD_IbEEEENSA_11use_defaultESO_EENS0_5tupleIJNSA_16discard_iteratorISO_EES6_EEENSQ_IJSG_SG_EEES6_PlJS6_EEE10hipError_tPvRmT3_T4_T5_T6_T7_T9_mT8_P12ihipStream_tbDpT10_ENKUlT_T0_E_clISt17integral_constantIbLb0EES1E_IbLb1EEEEDaS1A_S1B_EUlS1A_E_NS1_11comp_targetILNS1_3genE0ELNS1_11target_archE4294967295ELNS1_3gpuE0ELNS1_3repE0EEENS1_30default_config_static_selectorELNS0_4arch9wavefront6targetE0EEEvT1_
		.amdhsa_group_segment_fixed_size 0
		.amdhsa_private_segment_fixed_size 0
		.amdhsa_kernarg_size 144
		.amdhsa_user_sgpr_count 2
		.amdhsa_user_sgpr_dispatch_ptr 0
		.amdhsa_user_sgpr_queue_ptr 0
		.amdhsa_user_sgpr_kernarg_segment_ptr 1
		.amdhsa_user_sgpr_dispatch_id 0
		.amdhsa_user_sgpr_private_segment_size 0
		.amdhsa_wavefront_size32 1
		.amdhsa_uses_dynamic_stack 0
		.amdhsa_enable_private_segment 0
		.amdhsa_system_sgpr_workgroup_id_x 1
		.amdhsa_system_sgpr_workgroup_id_y 0
		.amdhsa_system_sgpr_workgroup_id_z 0
		.amdhsa_system_sgpr_workgroup_info 0
		.amdhsa_system_vgpr_workitem_id 0
		.amdhsa_next_free_vgpr 1
		.amdhsa_next_free_sgpr 1
		.amdhsa_reserve_vcc 0
		.amdhsa_float_round_mode_32 0
		.amdhsa_float_round_mode_16_64 0
		.amdhsa_float_denorm_mode_32 3
		.amdhsa_float_denorm_mode_16_64 3
		.amdhsa_fp16_overflow 0
		.amdhsa_workgroup_processor_mode 1
		.amdhsa_memory_ordered 1
		.amdhsa_forward_progress 1
		.amdhsa_inst_pref_size 0
		.amdhsa_round_robin_scheduling 0
		.amdhsa_exception_fp_ieee_invalid_op 0
		.amdhsa_exception_fp_denorm_src 0
		.amdhsa_exception_fp_ieee_div_zero 0
		.amdhsa_exception_fp_ieee_overflow 0
		.amdhsa_exception_fp_ieee_underflow 0
		.amdhsa_exception_fp_ieee_inexact 0
		.amdhsa_exception_int_div_zero 0
	.end_amdhsa_kernel
	.section	.text._ZN7rocprim17ROCPRIM_400000_NS6detail17trampoline_kernelINS0_14default_configENS1_25partition_config_selectorILNS1_17partition_subalgoE5EiNS0_10empty_typeEbEEZZNS1_14partition_implILS5_5ELb0ES3_mN6thrust23THRUST_200600_302600_NS6detail15normal_iteratorINSA_10device_ptrIiEEEEPS6_NSA_18transform_iteratorINSB_9not_fun_tI7is_trueIiEEENSC_INSD_IbEEEENSA_11use_defaultESO_EENS0_5tupleIJNSA_16discard_iteratorISO_EES6_EEENSQ_IJSG_SG_EEES6_PlJS6_EEE10hipError_tPvRmT3_T4_T5_T6_T7_T9_mT8_P12ihipStream_tbDpT10_ENKUlT_T0_E_clISt17integral_constantIbLb0EES1E_IbLb1EEEEDaS1A_S1B_EUlS1A_E_NS1_11comp_targetILNS1_3genE0ELNS1_11target_archE4294967295ELNS1_3gpuE0ELNS1_3repE0EEENS1_30default_config_static_selectorELNS0_4arch9wavefront6targetE0EEEvT1_,"axG",@progbits,_ZN7rocprim17ROCPRIM_400000_NS6detail17trampoline_kernelINS0_14default_configENS1_25partition_config_selectorILNS1_17partition_subalgoE5EiNS0_10empty_typeEbEEZZNS1_14partition_implILS5_5ELb0ES3_mN6thrust23THRUST_200600_302600_NS6detail15normal_iteratorINSA_10device_ptrIiEEEEPS6_NSA_18transform_iteratorINSB_9not_fun_tI7is_trueIiEEENSC_INSD_IbEEEENSA_11use_defaultESO_EENS0_5tupleIJNSA_16discard_iteratorISO_EES6_EEENSQ_IJSG_SG_EEES6_PlJS6_EEE10hipError_tPvRmT3_T4_T5_T6_T7_T9_mT8_P12ihipStream_tbDpT10_ENKUlT_T0_E_clISt17integral_constantIbLb0EES1E_IbLb1EEEEDaS1A_S1B_EUlS1A_E_NS1_11comp_targetILNS1_3genE0ELNS1_11target_archE4294967295ELNS1_3gpuE0ELNS1_3repE0EEENS1_30default_config_static_selectorELNS0_4arch9wavefront6targetE0EEEvT1_,comdat
.Lfunc_end2805:
	.size	_ZN7rocprim17ROCPRIM_400000_NS6detail17trampoline_kernelINS0_14default_configENS1_25partition_config_selectorILNS1_17partition_subalgoE5EiNS0_10empty_typeEbEEZZNS1_14partition_implILS5_5ELb0ES3_mN6thrust23THRUST_200600_302600_NS6detail15normal_iteratorINSA_10device_ptrIiEEEEPS6_NSA_18transform_iteratorINSB_9not_fun_tI7is_trueIiEEENSC_INSD_IbEEEENSA_11use_defaultESO_EENS0_5tupleIJNSA_16discard_iteratorISO_EES6_EEENSQ_IJSG_SG_EEES6_PlJS6_EEE10hipError_tPvRmT3_T4_T5_T6_T7_T9_mT8_P12ihipStream_tbDpT10_ENKUlT_T0_E_clISt17integral_constantIbLb0EES1E_IbLb1EEEEDaS1A_S1B_EUlS1A_E_NS1_11comp_targetILNS1_3genE0ELNS1_11target_archE4294967295ELNS1_3gpuE0ELNS1_3repE0EEENS1_30default_config_static_selectorELNS0_4arch9wavefront6targetE0EEEvT1_, .Lfunc_end2805-_ZN7rocprim17ROCPRIM_400000_NS6detail17trampoline_kernelINS0_14default_configENS1_25partition_config_selectorILNS1_17partition_subalgoE5EiNS0_10empty_typeEbEEZZNS1_14partition_implILS5_5ELb0ES3_mN6thrust23THRUST_200600_302600_NS6detail15normal_iteratorINSA_10device_ptrIiEEEEPS6_NSA_18transform_iteratorINSB_9not_fun_tI7is_trueIiEEENSC_INSD_IbEEEENSA_11use_defaultESO_EENS0_5tupleIJNSA_16discard_iteratorISO_EES6_EEENSQ_IJSG_SG_EEES6_PlJS6_EEE10hipError_tPvRmT3_T4_T5_T6_T7_T9_mT8_P12ihipStream_tbDpT10_ENKUlT_T0_E_clISt17integral_constantIbLb0EES1E_IbLb1EEEEDaS1A_S1B_EUlS1A_E_NS1_11comp_targetILNS1_3genE0ELNS1_11target_archE4294967295ELNS1_3gpuE0ELNS1_3repE0EEENS1_30default_config_static_selectorELNS0_4arch9wavefront6targetE0EEEvT1_
                                        ; -- End function
	.set _ZN7rocprim17ROCPRIM_400000_NS6detail17trampoline_kernelINS0_14default_configENS1_25partition_config_selectorILNS1_17partition_subalgoE5EiNS0_10empty_typeEbEEZZNS1_14partition_implILS5_5ELb0ES3_mN6thrust23THRUST_200600_302600_NS6detail15normal_iteratorINSA_10device_ptrIiEEEEPS6_NSA_18transform_iteratorINSB_9not_fun_tI7is_trueIiEEENSC_INSD_IbEEEENSA_11use_defaultESO_EENS0_5tupleIJNSA_16discard_iteratorISO_EES6_EEENSQ_IJSG_SG_EEES6_PlJS6_EEE10hipError_tPvRmT3_T4_T5_T6_T7_T9_mT8_P12ihipStream_tbDpT10_ENKUlT_T0_E_clISt17integral_constantIbLb0EES1E_IbLb1EEEEDaS1A_S1B_EUlS1A_E_NS1_11comp_targetILNS1_3genE0ELNS1_11target_archE4294967295ELNS1_3gpuE0ELNS1_3repE0EEENS1_30default_config_static_selectorELNS0_4arch9wavefront6targetE0EEEvT1_.num_vgpr, 0
	.set _ZN7rocprim17ROCPRIM_400000_NS6detail17trampoline_kernelINS0_14default_configENS1_25partition_config_selectorILNS1_17partition_subalgoE5EiNS0_10empty_typeEbEEZZNS1_14partition_implILS5_5ELb0ES3_mN6thrust23THRUST_200600_302600_NS6detail15normal_iteratorINSA_10device_ptrIiEEEEPS6_NSA_18transform_iteratorINSB_9not_fun_tI7is_trueIiEEENSC_INSD_IbEEEENSA_11use_defaultESO_EENS0_5tupleIJNSA_16discard_iteratorISO_EES6_EEENSQ_IJSG_SG_EEES6_PlJS6_EEE10hipError_tPvRmT3_T4_T5_T6_T7_T9_mT8_P12ihipStream_tbDpT10_ENKUlT_T0_E_clISt17integral_constantIbLb0EES1E_IbLb1EEEEDaS1A_S1B_EUlS1A_E_NS1_11comp_targetILNS1_3genE0ELNS1_11target_archE4294967295ELNS1_3gpuE0ELNS1_3repE0EEENS1_30default_config_static_selectorELNS0_4arch9wavefront6targetE0EEEvT1_.num_agpr, 0
	.set _ZN7rocprim17ROCPRIM_400000_NS6detail17trampoline_kernelINS0_14default_configENS1_25partition_config_selectorILNS1_17partition_subalgoE5EiNS0_10empty_typeEbEEZZNS1_14partition_implILS5_5ELb0ES3_mN6thrust23THRUST_200600_302600_NS6detail15normal_iteratorINSA_10device_ptrIiEEEEPS6_NSA_18transform_iteratorINSB_9not_fun_tI7is_trueIiEEENSC_INSD_IbEEEENSA_11use_defaultESO_EENS0_5tupleIJNSA_16discard_iteratorISO_EES6_EEENSQ_IJSG_SG_EEES6_PlJS6_EEE10hipError_tPvRmT3_T4_T5_T6_T7_T9_mT8_P12ihipStream_tbDpT10_ENKUlT_T0_E_clISt17integral_constantIbLb0EES1E_IbLb1EEEEDaS1A_S1B_EUlS1A_E_NS1_11comp_targetILNS1_3genE0ELNS1_11target_archE4294967295ELNS1_3gpuE0ELNS1_3repE0EEENS1_30default_config_static_selectorELNS0_4arch9wavefront6targetE0EEEvT1_.numbered_sgpr, 0
	.set _ZN7rocprim17ROCPRIM_400000_NS6detail17trampoline_kernelINS0_14default_configENS1_25partition_config_selectorILNS1_17partition_subalgoE5EiNS0_10empty_typeEbEEZZNS1_14partition_implILS5_5ELb0ES3_mN6thrust23THRUST_200600_302600_NS6detail15normal_iteratorINSA_10device_ptrIiEEEEPS6_NSA_18transform_iteratorINSB_9not_fun_tI7is_trueIiEEENSC_INSD_IbEEEENSA_11use_defaultESO_EENS0_5tupleIJNSA_16discard_iteratorISO_EES6_EEENSQ_IJSG_SG_EEES6_PlJS6_EEE10hipError_tPvRmT3_T4_T5_T6_T7_T9_mT8_P12ihipStream_tbDpT10_ENKUlT_T0_E_clISt17integral_constantIbLb0EES1E_IbLb1EEEEDaS1A_S1B_EUlS1A_E_NS1_11comp_targetILNS1_3genE0ELNS1_11target_archE4294967295ELNS1_3gpuE0ELNS1_3repE0EEENS1_30default_config_static_selectorELNS0_4arch9wavefront6targetE0EEEvT1_.num_named_barrier, 0
	.set _ZN7rocprim17ROCPRIM_400000_NS6detail17trampoline_kernelINS0_14default_configENS1_25partition_config_selectorILNS1_17partition_subalgoE5EiNS0_10empty_typeEbEEZZNS1_14partition_implILS5_5ELb0ES3_mN6thrust23THRUST_200600_302600_NS6detail15normal_iteratorINSA_10device_ptrIiEEEEPS6_NSA_18transform_iteratorINSB_9not_fun_tI7is_trueIiEEENSC_INSD_IbEEEENSA_11use_defaultESO_EENS0_5tupleIJNSA_16discard_iteratorISO_EES6_EEENSQ_IJSG_SG_EEES6_PlJS6_EEE10hipError_tPvRmT3_T4_T5_T6_T7_T9_mT8_P12ihipStream_tbDpT10_ENKUlT_T0_E_clISt17integral_constantIbLb0EES1E_IbLb1EEEEDaS1A_S1B_EUlS1A_E_NS1_11comp_targetILNS1_3genE0ELNS1_11target_archE4294967295ELNS1_3gpuE0ELNS1_3repE0EEENS1_30default_config_static_selectorELNS0_4arch9wavefront6targetE0EEEvT1_.private_seg_size, 0
	.set _ZN7rocprim17ROCPRIM_400000_NS6detail17trampoline_kernelINS0_14default_configENS1_25partition_config_selectorILNS1_17partition_subalgoE5EiNS0_10empty_typeEbEEZZNS1_14partition_implILS5_5ELb0ES3_mN6thrust23THRUST_200600_302600_NS6detail15normal_iteratorINSA_10device_ptrIiEEEEPS6_NSA_18transform_iteratorINSB_9not_fun_tI7is_trueIiEEENSC_INSD_IbEEEENSA_11use_defaultESO_EENS0_5tupleIJNSA_16discard_iteratorISO_EES6_EEENSQ_IJSG_SG_EEES6_PlJS6_EEE10hipError_tPvRmT3_T4_T5_T6_T7_T9_mT8_P12ihipStream_tbDpT10_ENKUlT_T0_E_clISt17integral_constantIbLb0EES1E_IbLb1EEEEDaS1A_S1B_EUlS1A_E_NS1_11comp_targetILNS1_3genE0ELNS1_11target_archE4294967295ELNS1_3gpuE0ELNS1_3repE0EEENS1_30default_config_static_selectorELNS0_4arch9wavefront6targetE0EEEvT1_.uses_vcc, 0
	.set _ZN7rocprim17ROCPRIM_400000_NS6detail17trampoline_kernelINS0_14default_configENS1_25partition_config_selectorILNS1_17partition_subalgoE5EiNS0_10empty_typeEbEEZZNS1_14partition_implILS5_5ELb0ES3_mN6thrust23THRUST_200600_302600_NS6detail15normal_iteratorINSA_10device_ptrIiEEEEPS6_NSA_18transform_iteratorINSB_9not_fun_tI7is_trueIiEEENSC_INSD_IbEEEENSA_11use_defaultESO_EENS0_5tupleIJNSA_16discard_iteratorISO_EES6_EEENSQ_IJSG_SG_EEES6_PlJS6_EEE10hipError_tPvRmT3_T4_T5_T6_T7_T9_mT8_P12ihipStream_tbDpT10_ENKUlT_T0_E_clISt17integral_constantIbLb0EES1E_IbLb1EEEEDaS1A_S1B_EUlS1A_E_NS1_11comp_targetILNS1_3genE0ELNS1_11target_archE4294967295ELNS1_3gpuE0ELNS1_3repE0EEENS1_30default_config_static_selectorELNS0_4arch9wavefront6targetE0EEEvT1_.uses_flat_scratch, 0
	.set _ZN7rocprim17ROCPRIM_400000_NS6detail17trampoline_kernelINS0_14default_configENS1_25partition_config_selectorILNS1_17partition_subalgoE5EiNS0_10empty_typeEbEEZZNS1_14partition_implILS5_5ELb0ES3_mN6thrust23THRUST_200600_302600_NS6detail15normal_iteratorINSA_10device_ptrIiEEEEPS6_NSA_18transform_iteratorINSB_9not_fun_tI7is_trueIiEEENSC_INSD_IbEEEENSA_11use_defaultESO_EENS0_5tupleIJNSA_16discard_iteratorISO_EES6_EEENSQ_IJSG_SG_EEES6_PlJS6_EEE10hipError_tPvRmT3_T4_T5_T6_T7_T9_mT8_P12ihipStream_tbDpT10_ENKUlT_T0_E_clISt17integral_constantIbLb0EES1E_IbLb1EEEEDaS1A_S1B_EUlS1A_E_NS1_11comp_targetILNS1_3genE0ELNS1_11target_archE4294967295ELNS1_3gpuE0ELNS1_3repE0EEENS1_30default_config_static_selectorELNS0_4arch9wavefront6targetE0EEEvT1_.has_dyn_sized_stack, 0
	.set _ZN7rocprim17ROCPRIM_400000_NS6detail17trampoline_kernelINS0_14default_configENS1_25partition_config_selectorILNS1_17partition_subalgoE5EiNS0_10empty_typeEbEEZZNS1_14partition_implILS5_5ELb0ES3_mN6thrust23THRUST_200600_302600_NS6detail15normal_iteratorINSA_10device_ptrIiEEEEPS6_NSA_18transform_iteratorINSB_9not_fun_tI7is_trueIiEEENSC_INSD_IbEEEENSA_11use_defaultESO_EENS0_5tupleIJNSA_16discard_iteratorISO_EES6_EEENSQ_IJSG_SG_EEES6_PlJS6_EEE10hipError_tPvRmT3_T4_T5_T6_T7_T9_mT8_P12ihipStream_tbDpT10_ENKUlT_T0_E_clISt17integral_constantIbLb0EES1E_IbLb1EEEEDaS1A_S1B_EUlS1A_E_NS1_11comp_targetILNS1_3genE0ELNS1_11target_archE4294967295ELNS1_3gpuE0ELNS1_3repE0EEENS1_30default_config_static_selectorELNS0_4arch9wavefront6targetE0EEEvT1_.has_recursion, 0
	.set _ZN7rocprim17ROCPRIM_400000_NS6detail17trampoline_kernelINS0_14default_configENS1_25partition_config_selectorILNS1_17partition_subalgoE5EiNS0_10empty_typeEbEEZZNS1_14partition_implILS5_5ELb0ES3_mN6thrust23THRUST_200600_302600_NS6detail15normal_iteratorINSA_10device_ptrIiEEEEPS6_NSA_18transform_iteratorINSB_9not_fun_tI7is_trueIiEEENSC_INSD_IbEEEENSA_11use_defaultESO_EENS0_5tupleIJNSA_16discard_iteratorISO_EES6_EEENSQ_IJSG_SG_EEES6_PlJS6_EEE10hipError_tPvRmT3_T4_T5_T6_T7_T9_mT8_P12ihipStream_tbDpT10_ENKUlT_T0_E_clISt17integral_constantIbLb0EES1E_IbLb1EEEEDaS1A_S1B_EUlS1A_E_NS1_11comp_targetILNS1_3genE0ELNS1_11target_archE4294967295ELNS1_3gpuE0ELNS1_3repE0EEENS1_30default_config_static_selectorELNS0_4arch9wavefront6targetE0EEEvT1_.has_indirect_call, 0
	.section	.AMDGPU.csdata,"",@progbits
; Kernel info:
; codeLenInByte = 0
; TotalNumSgprs: 0
; NumVgprs: 0
; ScratchSize: 0
; MemoryBound: 0
; FloatMode: 240
; IeeeMode: 1
; LDSByteSize: 0 bytes/workgroup (compile time only)
; SGPRBlocks: 0
; VGPRBlocks: 0
; NumSGPRsForWavesPerEU: 1
; NumVGPRsForWavesPerEU: 1
; Occupancy: 16
; WaveLimiterHint : 0
; COMPUTE_PGM_RSRC2:SCRATCH_EN: 0
; COMPUTE_PGM_RSRC2:USER_SGPR: 2
; COMPUTE_PGM_RSRC2:TRAP_HANDLER: 0
; COMPUTE_PGM_RSRC2:TGID_X_EN: 1
; COMPUTE_PGM_RSRC2:TGID_Y_EN: 0
; COMPUTE_PGM_RSRC2:TGID_Z_EN: 0
; COMPUTE_PGM_RSRC2:TIDIG_COMP_CNT: 0
	.section	.text._ZN7rocprim17ROCPRIM_400000_NS6detail17trampoline_kernelINS0_14default_configENS1_25partition_config_selectorILNS1_17partition_subalgoE5EiNS0_10empty_typeEbEEZZNS1_14partition_implILS5_5ELb0ES3_mN6thrust23THRUST_200600_302600_NS6detail15normal_iteratorINSA_10device_ptrIiEEEEPS6_NSA_18transform_iteratorINSB_9not_fun_tI7is_trueIiEEENSC_INSD_IbEEEENSA_11use_defaultESO_EENS0_5tupleIJNSA_16discard_iteratorISO_EES6_EEENSQ_IJSG_SG_EEES6_PlJS6_EEE10hipError_tPvRmT3_T4_T5_T6_T7_T9_mT8_P12ihipStream_tbDpT10_ENKUlT_T0_E_clISt17integral_constantIbLb0EES1E_IbLb1EEEEDaS1A_S1B_EUlS1A_E_NS1_11comp_targetILNS1_3genE5ELNS1_11target_archE942ELNS1_3gpuE9ELNS1_3repE0EEENS1_30default_config_static_selectorELNS0_4arch9wavefront6targetE0EEEvT1_,"axG",@progbits,_ZN7rocprim17ROCPRIM_400000_NS6detail17trampoline_kernelINS0_14default_configENS1_25partition_config_selectorILNS1_17partition_subalgoE5EiNS0_10empty_typeEbEEZZNS1_14partition_implILS5_5ELb0ES3_mN6thrust23THRUST_200600_302600_NS6detail15normal_iteratorINSA_10device_ptrIiEEEEPS6_NSA_18transform_iteratorINSB_9not_fun_tI7is_trueIiEEENSC_INSD_IbEEEENSA_11use_defaultESO_EENS0_5tupleIJNSA_16discard_iteratorISO_EES6_EEENSQ_IJSG_SG_EEES6_PlJS6_EEE10hipError_tPvRmT3_T4_T5_T6_T7_T9_mT8_P12ihipStream_tbDpT10_ENKUlT_T0_E_clISt17integral_constantIbLb0EES1E_IbLb1EEEEDaS1A_S1B_EUlS1A_E_NS1_11comp_targetILNS1_3genE5ELNS1_11target_archE942ELNS1_3gpuE9ELNS1_3repE0EEENS1_30default_config_static_selectorELNS0_4arch9wavefront6targetE0EEEvT1_,comdat
	.protected	_ZN7rocprim17ROCPRIM_400000_NS6detail17trampoline_kernelINS0_14default_configENS1_25partition_config_selectorILNS1_17partition_subalgoE5EiNS0_10empty_typeEbEEZZNS1_14partition_implILS5_5ELb0ES3_mN6thrust23THRUST_200600_302600_NS6detail15normal_iteratorINSA_10device_ptrIiEEEEPS6_NSA_18transform_iteratorINSB_9not_fun_tI7is_trueIiEEENSC_INSD_IbEEEENSA_11use_defaultESO_EENS0_5tupleIJNSA_16discard_iteratorISO_EES6_EEENSQ_IJSG_SG_EEES6_PlJS6_EEE10hipError_tPvRmT3_T4_T5_T6_T7_T9_mT8_P12ihipStream_tbDpT10_ENKUlT_T0_E_clISt17integral_constantIbLb0EES1E_IbLb1EEEEDaS1A_S1B_EUlS1A_E_NS1_11comp_targetILNS1_3genE5ELNS1_11target_archE942ELNS1_3gpuE9ELNS1_3repE0EEENS1_30default_config_static_selectorELNS0_4arch9wavefront6targetE0EEEvT1_ ; -- Begin function _ZN7rocprim17ROCPRIM_400000_NS6detail17trampoline_kernelINS0_14default_configENS1_25partition_config_selectorILNS1_17partition_subalgoE5EiNS0_10empty_typeEbEEZZNS1_14partition_implILS5_5ELb0ES3_mN6thrust23THRUST_200600_302600_NS6detail15normal_iteratorINSA_10device_ptrIiEEEEPS6_NSA_18transform_iteratorINSB_9not_fun_tI7is_trueIiEEENSC_INSD_IbEEEENSA_11use_defaultESO_EENS0_5tupleIJNSA_16discard_iteratorISO_EES6_EEENSQ_IJSG_SG_EEES6_PlJS6_EEE10hipError_tPvRmT3_T4_T5_T6_T7_T9_mT8_P12ihipStream_tbDpT10_ENKUlT_T0_E_clISt17integral_constantIbLb0EES1E_IbLb1EEEEDaS1A_S1B_EUlS1A_E_NS1_11comp_targetILNS1_3genE5ELNS1_11target_archE942ELNS1_3gpuE9ELNS1_3repE0EEENS1_30default_config_static_selectorELNS0_4arch9wavefront6targetE0EEEvT1_
	.globl	_ZN7rocprim17ROCPRIM_400000_NS6detail17trampoline_kernelINS0_14default_configENS1_25partition_config_selectorILNS1_17partition_subalgoE5EiNS0_10empty_typeEbEEZZNS1_14partition_implILS5_5ELb0ES3_mN6thrust23THRUST_200600_302600_NS6detail15normal_iteratorINSA_10device_ptrIiEEEEPS6_NSA_18transform_iteratorINSB_9not_fun_tI7is_trueIiEEENSC_INSD_IbEEEENSA_11use_defaultESO_EENS0_5tupleIJNSA_16discard_iteratorISO_EES6_EEENSQ_IJSG_SG_EEES6_PlJS6_EEE10hipError_tPvRmT3_T4_T5_T6_T7_T9_mT8_P12ihipStream_tbDpT10_ENKUlT_T0_E_clISt17integral_constantIbLb0EES1E_IbLb1EEEEDaS1A_S1B_EUlS1A_E_NS1_11comp_targetILNS1_3genE5ELNS1_11target_archE942ELNS1_3gpuE9ELNS1_3repE0EEENS1_30default_config_static_selectorELNS0_4arch9wavefront6targetE0EEEvT1_
	.p2align	8
	.type	_ZN7rocprim17ROCPRIM_400000_NS6detail17trampoline_kernelINS0_14default_configENS1_25partition_config_selectorILNS1_17partition_subalgoE5EiNS0_10empty_typeEbEEZZNS1_14partition_implILS5_5ELb0ES3_mN6thrust23THRUST_200600_302600_NS6detail15normal_iteratorINSA_10device_ptrIiEEEEPS6_NSA_18transform_iteratorINSB_9not_fun_tI7is_trueIiEEENSC_INSD_IbEEEENSA_11use_defaultESO_EENS0_5tupleIJNSA_16discard_iteratorISO_EES6_EEENSQ_IJSG_SG_EEES6_PlJS6_EEE10hipError_tPvRmT3_T4_T5_T6_T7_T9_mT8_P12ihipStream_tbDpT10_ENKUlT_T0_E_clISt17integral_constantIbLb0EES1E_IbLb1EEEEDaS1A_S1B_EUlS1A_E_NS1_11comp_targetILNS1_3genE5ELNS1_11target_archE942ELNS1_3gpuE9ELNS1_3repE0EEENS1_30default_config_static_selectorELNS0_4arch9wavefront6targetE0EEEvT1_,@function
_ZN7rocprim17ROCPRIM_400000_NS6detail17trampoline_kernelINS0_14default_configENS1_25partition_config_selectorILNS1_17partition_subalgoE5EiNS0_10empty_typeEbEEZZNS1_14partition_implILS5_5ELb0ES3_mN6thrust23THRUST_200600_302600_NS6detail15normal_iteratorINSA_10device_ptrIiEEEEPS6_NSA_18transform_iteratorINSB_9not_fun_tI7is_trueIiEEENSC_INSD_IbEEEENSA_11use_defaultESO_EENS0_5tupleIJNSA_16discard_iteratorISO_EES6_EEENSQ_IJSG_SG_EEES6_PlJS6_EEE10hipError_tPvRmT3_T4_T5_T6_T7_T9_mT8_P12ihipStream_tbDpT10_ENKUlT_T0_E_clISt17integral_constantIbLb0EES1E_IbLb1EEEEDaS1A_S1B_EUlS1A_E_NS1_11comp_targetILNS1_3genE5ELNS1_11target_archE942ELNS1_3gpuE9ELNS1_3repE0EEENS1_30default_config_static_selectorELNS0_4arch9wavefront6targetE0EEEvT1_: ; @_ZN7rocprim17ROCPRIM_400000_NS6detail17trampoline_kernelINS0_14default_configENS1_25partition_config_selectorILNS1_17partition_subalgoE5EiNS0_10empty_typeEbEEZZNS1_14partition_implILS5_5ELb0ES3_mN6thrust23THRUST_200600_302600_NS6detail15normal_iteratorINSA_10device_ptrIiEEEEPS6_NSA_18transform_iteratorINSB_9not_fun_tI7is_trueIiEEENSC_INSD_IbEEEENSA_11use_defaultESO_EENS0_5tupleIJNSA_16discard_iteratorISO_EES6_EEENSQ_IJSG_SG_EEES6_PlJS6_EEE10hipError_tPvRmT3_T4_T5_T6_T7_T9_mT8_P12ihipStream_tbDpT10_ENKUlT_T0_E_clISt17integral_constantIbLb0EES1E_IbLb1EEEEDaS1A_S1B_EUlS1A_E_NS1_11comp_targetILNS1_3genE5ELNS1_11target_archE942ELNS1_3gpuE9ELNS1_3repE0EEENS1_30default_config_static_selectorELNS0_4arch9wavefront6targetE0EEEvT1_
; %bb.0:
	.section	.rodata,"a",@progbits
	.p2align	6, 0x0
	.amdhsa_kernel _ZN7rocprim17ROCPRIM_400000_NS6detail17trampoline_kernelINS0_14default_configENS1_25partition_config_selectorILNS1_17partition_subalgoE5EiNS0_10empty_typeEbEEZZNS1_14partition_implILS5_5ELb0ES3_mN6thrust23THRUST_200600_302600_NS6detail15normal_iteratorINSA_10device_ptrIiEEEEPS6_NSA_18transform_iteratorINSB_9not_fun_tI7is_trueIiEEENSC_INSD_IbEEEENSA_11use_defaultESO_EENS0_5tupleIJNSA_16discard_iteratorISO_EES6_EEENSQ_IJSG_SG_EEES6_PlJS6_EEE10hipError_tPvRmT3_T4_T5_T6_T7_T9_mT8_P12ihipStream_tbDpT10_ENKUlT_T0_E_clISt17integral_constantIbLb0EES1E_IbLb1EEEEDaS1A_S1B_EUlS1A_E_NS1_11comp_targetILNS1_3genE5ELNS1_11target_archE942ELNS1_3gpuE9ELNS1_3repE0EEENS1_30default_config_static_selectorELNS0_4arch9wavefront6targetE0EEEvT1_
		.amdhsa_group_segment_fixed_size 0
		.amdhsa_private_segment_fixed_size 0
		.amdhsa_kernarg_size 144
		.amdhsa_user_sgpr_count 2
		.amdhsa_user_sgpr_dispatch_ptr 0
		.amdhsa_user_sgpr_queue_ptr 0
		.amdhsa_user_sgpr_kernarg_segment_ptr 1
		.amdhsa_user_sgpr_dispatch_id 0
		.amdhsa_user_sgpr_private_segment_size 0
		.amdhsa_wavefront_size32 1
		.amdhsa_uses_dynamic_stack 0
		.amdhsa_enable_private_segment 0
		.amdhsa_system_sgpr_workgroup_id_x 1
		.amdhsa_system_sgpr_workgroup_id_y 0
		.amdhsa_system_sgpr_workgroup_id_z 0
		.amdhsa_system_sgpr_workgroup_info 0
		.amdhsa_system_vgpr_workitem_id 0
		.amdhsa_next_free_vgpr 1
		.amdhsa_next_free_sgpr 1
		.amdhsa_reserve_vcc 0
		.amdhsa_float_round_mode_32 0
		.amdhsa_float_round_mode_16_64 0
		.amdhsa_float_denorm_mode_32 3
		.amdhsa_float_denorm_mode_16_64 3
		.amdhsa_fp16_overflow 0
		.amdhsa_workgroup_processor_mode 1
		.amdhsa_memory_ordered 1
		.amdhsa_forward_progress 1
		.amdhsa_inst_pref_size 0
		.amdhsa_round_robin_scheduling 0
		.amdhsa_exception_fp_ieee_invalid_op 0
		.amdhsa_exception_fp_denorm_src 0
		.amdhsa_exception_fp_ieee_div_zero 0
		.amdhsa_exception_fp_ieee_overflow 0
		.amdhsa_exception_fp_ieee_underflow 0
		.amdhsa_exception_fp_ieee_inexact 0
		.amdhsa_exception_int_div_zero 0
	.end_amdhsa_kernel
	.section	.text._ZN7rocprim17ROCPRIM_400000_NS6detail17trampoline_kernelINS0_14default_configENS1_25partition_config_selectorILNS1_17partition_subalgoE5EiNS0_10empty_typeEbEEZZNS1_14partition_implILS5_5ELb0ES3_mN6thrust23THRUST_200600_302600_NS6detail15normal_iteratorINSA_10device_ptrIiEEEEPS6_NSA_18transform_iteratorINSB_9not_fun_tI7is_trueIiEEENSC_INSD_IbEEEENSA_11use_defaultESO_EENS0_5tupleIJNSA_16discard_iteratorISO_EES6_EEENSQ_IJSG_SG_EEES6_PlJS6_EEE10hipError_tPvRmT3_T4_T5_T6_T7_T9_mT8_P12ihipStream_tbDpT10_ENKUlT_T0_E_clISt17integral_constantIbLb0EES1E_IbLb1EEEEDaS1A_S1B_EUlS1A_E_NS1_11comp_targetILNS1_3genE5ELNS1_11target_archE942ELNS1_3gpuE9ELNS1_3repE0EEENS1_30default_config_static_selectorELNS0_4arch9wavefront6targetE0EEEvT1_,"axG",@progbits,_ZN7rocprim17ROCPRIM_400000_NS6detail17trampoline_kernelINS0_14default_configENS1_25partition_config_selectorILNS1_17partition_subalgoE5EiNS0_10empty_typeEbEEZZNS1_14partition_implILS5_5ELb0ES3_mN6thrust23THRUST_200600_302600_NS6detail15normal_iteratorINSA_10device_ptrIiEEEEPS6_NSA_18transform_iteratorINSB_9not_fun_tI7is_trueIiEEENSC_INSD_IbEEEENSA_11use_defaultESO_EENS0_5tupleIJNSA_16discard_iteratorISO_EES6_EEENSQ_IJSG_SG_EEES6_PlJS6_EEE10hipError_tPvRmT3_T4_T5_T6_T7_T9_mT8_P12ihipStream_tbDpT10_ENKUlT_T0_E_clISt17integral_constantIbLb0EES1E_IbLb1EEEEDaS1A_S1B_EUlS1A_E_NS1_11comp_targetILNS1_3genE5ELNS1_11target_archE942ELNS1_3gpuE9ELNS1_3repE0EEENS1_30default_config_static_selectorELNS0_4arch9wavefront6targetE0EEEvT1_,comdat
.Lfunc_end2806:
	.size	_ZN7rocprim17ROCPRIM_400000_NS6detail17trampoline_kernelINS0_14default_configENS1_25partition_config_selectorILNS1_17partition_subalgoE5EiNS0_10empty_typeEbEEZZNS1_14partition_implILS5_5ELb0ES3_mN6thrust23THRUST_200600_302600_NS6detail15normal_iteratorINSA_10device_ptrIiEEEEPS6_NSA_18transform_iteratorINSB_9not_fun_tI7is_trueIiEEENSC_INSD_IbEEEENSA_11use_defaultESO_EENS0_5tupleIJNSA_16discard_iteratorISO_EES6_EEENSQ_IJSG_SG_EEES6_PlJS6_EEE10hipError_tPvRmT3_T4_T5_T6_T7_T9_mT8_P12ihipStream_tbDpT10_ENKUlT_T0_E_clISt17integral_constantIbLb0EES1E_IbLb1EEEEDaS1A_S1B_EUlS1A_E_NS1_11comp_targetILNS1_3genE5ELNS1_11target_archE942ELNS1_3gpuE9ELNS1_3repE0EEENS1_30default_config_static_selectorELNS0_4arch9wavefront6targetE0EEEvT1_, .Lfunc_end2806-_ZN7rocprim17ROCPRIM_400000_NS6detail17trampoline_kernelINS0_14default_configENS1_25partition_config_selectorILNS1_17partition_subalgoE5EiNS0_10empty_typeEbEEZZNS1_14partition_implILS5_5ELb0ES3_mN6thrust23THRUST_200600_302600_NS6detail15normal_iteratorINSA_10device_ptrIiEEEEPS6_NSA_18transform_iteratorINSB_9not_fun_tI7is_trueIiEEENSC_INSD_IbEEEENSA_11use_defaultESO_EENS0_5tupleIJNSA_16discard_iteratorISO_EES6_EEENSQ_IJSG_SG_EEES6_PlJS6_EEE10hipError_tPvRmT3_T4_T5_T6_T7_T9_mT8_P12ihipStream_tbDpT10_ENKUlT_T0_E_clISt17integral_constantIbLb0EES1E_IbLb1EEEEDaS1A_S1B_EUlS1A_E_NS1_11comp_targetILNS1_3genE5ELNS1_11target_archE942ELNS1_3gpuE9ELNS1_3repE0EEENS1_30default_config_static_selectorELNS0_4arch9wavefront6targetE0EEEvT1_
                                        ; -- End function
	.set _ZN7rocprim17ROCPRIM_400000_NS6detail17trampoline_kernelINS0_14default_configENS1_25partition_config_selectorILNS1_17partition_subalgoE5EiNS0_10empty_typeEbEEZZNS1_14partition_implILS5_5ELb0ES3_mN6thrust23THRUST_200600_302600_NS6detail15normal_iteratorINSA_10device_ptrIiEEEEPS6_NSA_18transform_iteratorINSB_9not_fun_tI7is_trueIiEEENSC_INSD_IbEEEENSA_11use_defaultESO_EENS0_5tupleIJNSA_16discard_iteratorISO_EES6_EEENSQ_IJSG_SG_EEES6_PlJS6_EEE10hipError_tPvRmT3_T4_T5_T6_T7_T9_mT8_P12ihipStream_tbDpT10_ENKUlT_T0_E_clISt17integral_constantIbLb0EES1E_IbLb1EEEEDaS1A_S1B_EUlS1A_E_NS1_11comp_targetILNS1_3genE5ELNS1_11target_archE942ELNS1_3gpuE9ELNS1_3repE0EEENS1_30default_config_static_selectorELNS0_4arch9wavefront6targetE0EEEvT1_.num_vgpr, 0
	.set _ZN7rocprim17ROCPRIM_400000_NS6detail17trampoline_kernelINS0_14default_configENS1_25partition_config_selectorILNS1_17partition_subalgoE5EiNS0_10empty_typeEbEEZZNS1_14partition_implILS5_5ELb0ES3_mN6thrust23THRUST_200600_302600_NS6detail15normal_iteratorINSA_10device_ptrIiEEEEPS6_NSA_18transform_iteratorINSB_9not_fun_tI7is_trueIiEEENSC_INSD_IbEEEENSA_11use_defaultESO_EENS0_5tupleIJNSA_16discard_iteratorISO_EES6_EEENSQ_IJSG_SG_EEES6_PlJS6_EEE10hipError_tPvRmT3_T4_T5_T6_T7_T9_mT8_P12ihipStream_tbDpT10_ENKUlT_T0_E_clISt17integral_constantIbLb0EES1E_IbLb1EEEEDaS1A_S1B_EUlS1A_E_NS1_11comp_targetILNS1_3genE5ELNS1_11target_archE942ELNS1_3gpuE9ELNS1_3repE0EEENS1_30default_config_static_selectorELNS0_4arch9wavefront6targetE0EEEvT1_.num_agpr, 0
	.set _ZN7rocprim17ROCPRIM_400000_NS6detail17trampoline_kernelINS0_14default_configENS1_25partition_config_selectorILNS1_17partition_subalgoE5EiNS0_10empty_typeEbEEZZNS1_14partition_implILS5_5ELb0ES3_mN6thrust23THRUST_200600_302600_NS6detail15normal_iteratorINSA_10device_ptrIiEEEEPS6_NSA_18transform_iteratorINSB_9not_fun_tI7is_trueIiEEENSC_INSD_IbEEEENSA_11use_defaultESO_EENS0_5tupleIJNSA_16discard_iteratorISO_EES6_EEENSQ_IJSG_SG_EEES6_PlJS6_EEE10hipError_tPvRmT3_T4_T5_T6_T7_T9_mT8_P12ihipStream_tbDpT10_ENKUlT_T0_E_clISt17integral_constantIbLb0EES1E_IbLb1EEEEDaS1A_S1B_EUlS1A_E_NS1_11comp_targetILNS1_3genE5ELNS1_11target_archE942ELNS1_3gpuE9ELNS1_3repE0EEENS1_30default_config_static_selectorELNS0_4arch9wavefront6targetE0EEEvT1_.numbered_sgpr, 0
	.set _ZN7rocprim17ROCPRIM_400000_NS6detail17trampoline_kernelINS0_14default_configENS1_25partition_config_selectorILNS1_17partition_subalgoE5EiNS0_10empty_typeEbEEZZNS1_14partition_implILS5_5ELb0ES3_mN6thrust23THRUST_200600_302600_NS6detail15normal_iteratorINSA_10device_ptrIiEEEEPS6_NSA_18transform_iteratorINSB_9not_fun_tI7is_trueIiEEENSC_INSD_IbEEEENSA_11use_defaultESO_EENS0_5tupleIJNSA_16discard_iteratorISO_EES6_EEENSQ_IJSG_SG_EEES6_PlJS6_EEE10hipError_tPvRmT3_T4_T5_T6_T7_T9_mT8_P12ihipStream_tbDpT10_ENKUlT_T0_E_clISt17integral_constantIbLb0EES1E_IbLb1EEEEDaS1A_S1B_EUlS1A_E_NS1_11comp_targetILNS1_3genE5ELNS1_11target_archE942ELNS1_3gpuE9ELNS1_3repE0EEENS1_30default_config_static_selectorELNS0_4arch9wavefront6targetE0EEEvT1_.num_named_barrier, 0
	.set _ZN7rocprim17ROCPRIM_400000_NS6detail17trampoline_kernelINS0_14default_configENS1_25partition_config_selectorILNS1_17partition_subalgoE5EiNS0_10empty_typeEbEEZZNS1_14partition_implILS5_5ELb0ES3_mN6thrust23THRUST_200600_302600_NS6detail15normal_iteratorINSA_10device_ptrIiEEEEPS6_NSA_18transform_iteratorINSB_9not_fun_tI7is_trueIiEEENSC_INSD_IbEEEENSA_11use_defaultESO_EENS0_5tupleIJNSA_16discard_iteratorISO_EES6_EEENSQ_IJSG_SG_EEES6_PlJS6_EEE10hipError_tPvRmT3_T4_T5_T6_T7_T9_mT8_P12ihipStream_tbDpT10_ENKUlT_T0_E_clISt17integral_constantIbLb0EES1E_IbLb1EEEEDaS1A_S1B_EUlS1A_E_NS1_11comp_targetILNS1_3genE5ELNS1_11target_archE942ELNS1_3gpuE9ELNS1_3repE0EEENS1_30default_config_static_selectorELNS0_4arch9wavefront6targetE0EEEvT1_.private_seg_size, 0
	.set _ZN7rocprim17ROCPRIM_400000_NS6detail17trampoline_kernelINS0_14default_configENS1_25partition_config_selectorILNS1_17partition_subalgoE5EiNS0_10empty_typeEbEEZZNS1_14partition_implILS5_5ELb0ES3_mN6thrust23THRUST_200600_302600_NS6detail15normal_iteratorINSA_10device_ptrIiEEEEPS6_NSA_18transform_iteratorINSB_9not_fun_tI7is_trueIiEEENSC_INSD_IbEEEENSA_11use_defaultESO_EENS0_5tupleIJNSA_16discard_iteratorISO_EES6_EEENSQ_IJSG_SG_EEES6_PlJS6_EEE10hipError_tPvRmT3_T4_T5_T6_T7_T9_mT8_P12ihipStream_tbDpT10_ENKUlT_T0_E_clISt17integral_constantIbLb0EES1E_IbLb1EEEEDaS1A_S1B_EUlS1A_E_NS1_11comp_targetILNS1_3genE5ELNS1_11target_archE942ELNS1_3gpuE9ELNS1_3repE0EEENS1_30default_config_static_selectorELNS0_4arch9wavefront6targetE0EEEvT1_.uses_vcc, 0
	.set _ZN7rocprim17ROCPRIM_400000_NS6detail17trampoline_kernelINS0_14default_configENS1_25partition_config_selectorILNS1_17partition_subalgoE5EiNS0_10empty_typeEbEEZZNS1_14partition_implILS5_5ELb0ES3_mN6thrust23THRUST_200600_302600_NS6detail15normal_iteratorINSA_10device_ptrIiEEEEPS6_NSA_18transform_iteratorINSB_9not_fun_tI7is_trueIiEEENSC_INSD_IbEEEENSA_11use_defaultESO_EENS0_5tupleIJNSA_16discard_iteratorISO_EES6_EEENSQ_IJSG_SG_EEES6_PlJS6_EEE10hipError_tPvRmT3_T4_T5_T6_T7_T9_mT8_P12ihipStream_tbDpT10_ENKUlT_T0_E_clISt17integral_constantIbLb0EES1E_IbLb1EEEEDaS1A_S1B_EUlS1A_E_NS1_11comp_targetILNS1_3genE5ELNS1_11target_archE942ELNS1_3gpuE9ELNS1_3repE0EEENS1_30default_config_static_selectorELNS0_4arch9wavefront6targetE0EEEvT1_.uses_flat_scratch, 0
	.set _ZN7rocprim17ROCPRIM_400000_NS6detail17trampoline_kernelINS0_14default_configENS1_25partition_config_selectorILNS1_17partition_subalgoE5EiNS0_10empty_typeEbEEZZNS1_14partition_implILS5_5ELb0ES3_mN6thrust23THRUST_200600_302600_NS6detail15normal_iteratorINSA_10device_ptrIiEEEEPS6_NSA_18transform_iteratorINSB_9not_fun_tI7is_trueIiEEENSC_INSD_IbEEEENSA_11use_defaultESO_EENS0_5tupleIJNSA_16discard_iteratorISO_EES6_EEENSQ_IJSG_SG_EEES6_PlJS6_EEE10hipError_tPvRmT3_T4_T5_T6_T7_T9_mT8_P12ihipStream_tbDpT10_ENKUlT_T0_E_clISt17integral_constantIbLb0EES1E_IbLb1EEEEDaS1A_S1B_EUlS1A_E_NS1_11comp_targetILNS1_3genE5ELNS1_11target_archE942ELNS1_3gpuE9ELNS1_3repE0EEENS1_30default_config_static_selectorELNS0_4arch9wavefront6targetE0EEEvT1_.has_dyn_sized_stack, 0
	.set _ZN7rocprim17ROCPRIM_400000_NS6detail17trampoline_kernelINS0_14default_configENS1_25partition_config_selectorILNS1_17partition_subalgoE5EiNS0_10empty_typeEbEEZZNS1_14partition_implILS5_5ELb0ES3_mN6thrust23THRUST_200600_302600_NS6detail15normal_iteratorINSA_10device_ptrIiEEEEPS6_NSA_18transform_iteratorINSB_9not_fun_tI7is_trueIiEEENSC_INSD_IbEEEENSA_11use_defaultESO_EENS0_5tupleIJNSA_16discard_iteratorISO_EES6_EEENSQ_IJSG_SG_EEES6_PlJS6_EEE10hipError_tPvRmT3_T4_T5_T6_T7_T9_mT8_P12ihipStream_tbDpT10_ENKUlT_T0_E_clISt17integral_constantIbLb0EES1E_IbLb1EEEEDaS1A_S1B_EUlS1A_E_NS1_11comp_targetILNS1_3genE5ELNS1_11target_archE942ELNS1_3gpuE9ELNS1_3repE0EEENS1_30default_config_static_selectorELNS0_4arch9wavefront6targetE0EEEvT1_.has_recursion, 0
	.set _ZN7rocprim17ROCPRIM_400000_NS6detail17trampoline_kernelINS0_14default_configENS1_25partition_config_selectorILNS1_17partition_subalgoE5EiNS0_10empty_typeEbEEZZNS1_14partition_implILS5_5ELb0ES3_mN6thrust23THRUST_200600_302600_NS6detail15normal_iteratorINSA_10device_ptrIiEEEEPS6_NSA_18transform_iteratorINSB_9not_fun_tI7is_trueIiEEENSC_INSD_IbEEEENSA_11use_defaultESO_EENS0_5tupleIJNSA_16discard_iteratorISO_EES6_EEENSQ_IJSG_SG_EEES6_PlJS6_EEE10hipError_tPvRmT3_T4_T5_T6_T7_T9_mT8_P12ihipStream_tbDpT10_ENKUlT_T0_E_clISt17integral_constantIbLb0EES1E_IbLb1EEEEDaS1A_S1B_EUlS1A_E_NS1_11comp_targetILNS1_3genE5ELNS1_11target_archE942ELNS1_3gpuE9ELNS1_3repE0EEENS1_30default_config_static_selectorELNS0_4arch9wavefront6targetE0EEEvT1_.has_indirect_call, 0
	.section	.AMDGPU.csdata,"",@progbits
; Kernel info:
; codeLenInByte = 0
; TotalNumSgprs: 0
; NumVgprs: 0
; ScratchSize: 0
; MemoryBound: 0
; FloatMode: 240
; IeeeMode: 1
; LDSByteSize: 0 bytes/workgroup (compile time only)
; SGPRBlocks: 0
; VGPRBlocks: 0
; NumSGPRsForWavesPerEU: 1
; NumVGPRsForWavesPerEU: 1
; Occupancy: 16
; WaveLimiterHint : 0
; COMPUTE_PGM_RSRC2:SCRATCH_EN: 0
; COMPUTE_PGM_RSRC2:USER_SGPR: 2
; COMPUTE_PGM_RSRC2:TRAP_HANDLER: 0
; COMPUTE_PGM_RSRC2:TGID_X_EN: 1
; COMPUTE_PGM_RSRC2:TGID_Y_EN: 0
; COMPUTE_PGM_RSRC2:TGID_Z_EN: 0
; COMPUTE_PGM_RSRC2:TIDIG_COMP_CNT: 0
	.section	.text._ZN7rocprim17ROCPRIM_400000_NS6detail17trampoline_kernelINS0_14default_configENS1_25partition_config_selectorILNS1_17partition_subalgoE5EiNS0_10empty_typeEbEEZZNS1_14partition_implILS5_5ELb0ES3_mN6thrust23THRUST_200600_302600_NS6detail15normal_iteratorINSA_10device_ptrIiEEEEPS6_NSA_18transform_iteratorINSB_9not_fun_tI7is_trueIiEEENSC_INSD_IbEEEENSA_11use_defaultESO_EENS0_5tupleIJNSA_16discard_iteratorISO_EES6_EEENSQ_IJSG_SG_EEES6_PlJS6_EEE10hipError_tPvRmT3_T4_T5_T6_T7_T9_mT8_P12ihipStream_tbDpT10_ENKUlT_T0_E_clISt17integral_constantIbLb0EES1E_IbLb1EEEEDaS1A_S1B_EUlS1A_E_NS1_11comp_targetILNS1_3genE4ELNS1_11target_archE910ELNS1_3gpuE8ELNS1_3repE0EEENS1_30default_config_static_selectorELNS0_4arch9wavefront6targetE0EEEvT1_,"axG",@progbits,_ZN7rocprim17ROCPRIM_400000_NS6detail17trampoline_kernelINS0_14default_configENS1_25partition_config_selectorILNS1_17partition_subalgoE5EiNS0_10empty_typeEbEEZZNS1_14partition_implILS5_5ELb0ES3_mN6thrust23THRUST_200600_302600_NS6detail15normal_iteratorINSA_10device_ptrIiEEEEPS6_NSA_18transform_iteratorINSB_9not_fun_tI7is_trueIiEEENSC_INSD_IbEEEENSA_11use_defaultESO_EENS0_5tupleIJNSA_16discard_iteratorISO_EES6_EEENSQ_IJSG_SG_EEES6_PlJS6_EEE10hipError_tPvRmT3_T4_T5_T6_T7_T9_mT8_P12ihipStream_tbDpT10_ENKUlT_T0_E_clISt17integral_constantIbLb0EES1E_IbLb1EEEEDaS1A_S1B_EUlS1A_E_NS1_11comp_targetILNS1_3genE4ELNS1_11target_archE910ELNS1_3gpuE8ELNS1_3repE0EEENS1_30default_config_static_selectorELNS0_4arch9wavefront6targetE0EEEvT1_,comdat
	.protected	_ZN7rocprim17ROCPRIM_400000_NS6detail17trampoline_kernelINS0_14default_configENS1_25partition_config_selectorILNS1_17partition_subalgoE5EiNS0_10empty_typeEbEEZZNS1_14partition_implILS5_5ELb0ES3_mN6thrust23THRUST_200600_302600_NS6detail15normal_iteratorINSA_10device_ptrIiEEEEPS6_NSA_18transform_iteratorINSB_9not_fun_tI7is_trueIiEEENSC_INSD_IbEEEENSA_11use_defaultESO_EENS0_5tupleIJNSA_16discard_iteratorISO_EES6_EEENSQ_IJSG_SG_EEES6_PlJS6_EEE10hipError_tPvRmT3_T4_T5_T6_T7_T9_mT8_P12ihipStream_tbDpT10_ENKUlT_T0_E_clISt17integral_constantIbLb0EES1E_IbLb1EEEEDaS1A_S1B_EUlS1A_E_NS1_11comp_targetILNS1_3genE4ELNS1_11target_archE910ELNS1_3gpuE8ELNS1_3repE0EEENS1_30default_config_static_selectorELNS0_4arch9wavefront6targetE0EEEvT1_ ; -- Begin function _ZN7rocprim17ROCPRIM_400000_NS6detail17trampoline_kernelINS0_14default_configENS1_25partition_config_selectorILNS1_17partition_subalgoE5EiNS0_10empty_typeEbEEZZNS1_14partition_implILS5_5ELb0ES3_mN6thrust23THRUST_200600_302600_NS6detail15normal_iteratorINSA_10device_ptrIiEEEEPS6_NSA_18transform_iteratorINSB_9not_fun_tI7is_trueIiEEENSC_INSD_IbEEEENSA_11use_defaultESO_EENS0_5tupleIJNSA_16discard_iteratorISO_EES6_EEENSQ_IJSG_SG_EEES6_PlJS6_EEE10hipError_tPvRmT3_T4_T5_T6_T7_T9_mT8_P12ihipStream_tbDpT10_ENKUlT_T0_E_clISt17integral_constantIbLb0EES1E_IbLb1EEEEDaS1A_S1B_EUlS1A_E_NS1_11comp_targetILNS1_3genE4ELNS1_11target_archE910ELNS1_3gpuE8ELNS1_3repE0EEENS1_30default_config_static_selectorELNS0_4arch9wavefront6targetE0EEEvT1_
	.globl	_ZN7rocprim17ROCPRIM_400000_NS6detail17trampoline_kernelINS0_14default_configENS1_25partition_config_selectorILNS1_17partition_subalgoE5EiNS0_10empty_typeEbEEZZNS1_14partition_implILS5_5ELb0ES3_mN6thrust23THRUST_200600_302600_NS6detail15normal_iteratorINSA_10device_ptrIiEEEEPS6_NSA_18transform_iteratorINSB_9not_fun_tI7is_trueIiEEENSC_INSD_IbEEEENSA_11use_defaultESO_EENS0_5tupleIJNSA_16discard_iteratorISO_EES6_EEENSQ_IJSG_SG_EEES6_PlJS6_EEE10hipError_tPvRmT3_T4_T5_T6_T7_T9_mT8_P12ihipStream_tbDpT10_ENKUlT_T0_E_clISt17integral_constantIbLb0EES1E_IbLb1EEEEDaS1A_S1B_EUlS1A_E_NS1_11comp_targetILNS1_3genE4ELNS1_11target_archE910ELNS1_3gpuE8ELNS1_3repE0EEENS1_30default_config_static_selectorELNS0_4arch9wavefront6targetE0EEEvT1_
	.p2align	8
	.type	_ZN7rocprim17ROCPRIM_400000_NS6detail17trampoline_kernelINS0_14default_configENS1_25partition_config_selectorILNS1_17partition_subalgoE5EiNS0_10empty_typeEbEEZZNS1_14partition_implILS5_5ELb0ES3_mN6thrust23THRUST_200600_302600_NS6detail15normal_iteratorINSA_10device_ptrIiEEEEPS6_NSA_18transform_iteratorINSB_9not_fun_tI7is_trueIiEEENSC_INSD_IbEEEENSA_11use_defaultESO_EENS0_5tupleIJNSA_16discard_iteratorISO_EES6_EEENSQ_IJSG_SG_EEES6_PlJS6_EEE10hipError_tPvRmT3_T4_T5_T6_T7_T9_mT8_P12ihipStream_tbDpT10_ENKUlT_T0_E_clISt17integral_constantIbLb0EES1E_IbLb1EEEEDaS1A_S1B_EUlS1A_E_NS1_11comp_targetILNS1_3genE4ELNS1_11target_archE910ELNS1_3gpuE8ELNS1_3repE0EEENS1_30default_config_static_selectorELNS0_4arch9wavefront6targetE0EEEvT1_,@function
_ZN7rocprim17ROCPRIM_400000_NS6detail17trampoline_kernelINS0_14default_configENS1_25partition_config_selectorILNS1_17partition_subalgoE5EiNS0_10empty_typeEbEEZZNS1_14partition_implILS5_5ELb0ES3_mN6thrust23THRUST_200600_302600_NS6detail15normal_iteratorINSA_10device_ptrIiEEEEPS6_NSA_18transform_iteratorINSB_9not_fun_tI7is_trueIiEEENSC_INSD_IbEEEENSA_11use_defaultESO_EENS0_5tupleIJNSA_16discard_iteratorISO_EES6_EEENSQ_IJSG_SG_EEES6_PlJS6_EEE10hipError_tPvRmT3_T4_T5_T6_T7_T9_mT8_P12ihipStream_tbDpT10_ENKUlT_T0_E_clISt17integral_constantIbLb0EES1E_IbLb1EEEEDaS1A_S1B_EUlS1A_E_NS1_11comp_targetILNS1_3genE4ELNS1_11target_archE910ELNS1_3gpuE8ELNS1_3repE0EEENS1_30default_config_static_selectorELNS0_4arch9wavefront6targetE0EEEvT1_: ; @_ZN7rocprim17ROCPRIM_400000_NS6detail17trampoline_kernelINS0_14default_configENS1_25partition_config_selectorILNS1_17partition_subalgoE5EiNS0_10empty_typeEbEEZZNS1_14partition_implILS5_5ELb0ES3_mN6thrust23THRUST_200600_302600_NS6detail15normal_iteratorINSA_10device_ptrIiEEEEPS6_NSA_18transform_iteratorINSB_9not_fun_tI7is_trueIiEEENSC_INSD_IbEEEENSA_11use_defaultESO_EENS0_5tupleIJNSA_16discard_iteratorISO_EES6_EEENSQ_IJSG_SG_EEES6_PlJS6_EEE10hipError_tPvRmT3_T4_T5_T6_T7_T9_mT8_P12ihipStream_tbDpT10_ENKUlT_T0_E_clISt17integral_constantIbLb0EES1E_IbLb1EEEEDaS1A_S1B_EUlS1A_E_NS1_11comp_targetILNS1_3genE4ELNS1_11target_archE910ELNS1_3gpuE8ELNS1_3repE0EEENS1_30default_config_static_selectorELNS0_4arch9wavefront6targetE0EEEvT1_
; %bb.0:
	.section	.rodata,"a",@progbits
	.p2align	6, 0x0
	.amdhsa_kernel _ZN7rocprim17ROCPRIM_400000_NS6detail17trampoline_kernelINS0_14default_configENS1_25partition_config_selectorILNS1_17partition_subalgoE5EiNS0_10empty_typeEbEEZZNS1_14partition_implILS5_5ELb0ES3_mN6thrust23THRUST_200600_302600_NS6detail15normal_iteratorINSA_10device_ptrIiEEEEPS6_NSA_18transform_iteratorINSB_9not_fun_tI7is_trueIiEEENSC_INSD_IbEEEENSA_11use_defaultESO_EENS0_5tupleIJNSA_16discard_iteratorISO_EES6_EEENSQ_IJSG_SG_EEES6_PlJS6_EEE10hipError_tPvRmT3_T4_T5_T6_T7_T9_mT8_P12ihipStream_tbDpT10_ENKUlT_T0_E_clISt17integral_constantIbLb0EES1E_IbLb1EEEEDaS1A_S1B_EUlS1A_E_NS1_11comp_targetILNS1_3genE4ELNS1_11target_archE910ELNS1_3gpuE8ELNS1_3repE0EEENS1_30default_config_static_selectorELNS0_4arch9wavefront6targetE0EEEvT1_
		.amdhsa_group_segment_fixed_size 0
		.amdhsa_private_segment_fixed_size 0
		.amdhsa_kernarg_size 144
		.amdhsa_user_sgpr_count 2
		.amdhsa_user_sgpr_dispatch_ptr 0
		.amdhsa_user_sgpr_queue_ptr 0
		.amdhsa_user_sgpr_kernarg_segment_ptr 1
		.amdhsa_user_sgpr_dispatch_id 0
		.amdhsa_user_sgpr_private_segment_size 0
		.amdhsa_wavefront_size32 1
		.amdhsa_uses_dynamic_stack 0
		.amdhsa_enable_private_segment 0
		.amdhsa_system_sgpr_workgroup_id_x 1
		.amdhsa_system_sgpr_workgroup_id_y 0
		.amdhsa_system_sgpr_workgroup_id_z 0
		.amdhsa_system_sgpr_workgroup_info 0
		.amdhsa_system_vgpr_workitem_id 0
		.amdhsa_next_free_vgpr 1
		.amdhsa_next_free_sgpr 1
		.amdhsa_reserve_vcc 0
		.amdhsa_float_round_mode_32 0
		.amdhsa_float_round_mode_16_64 0
		.amdhsa_float_denorm_mode_32 3
		.amdhsa_float_denorm_mode_16_64 3
		.amdhsa_fp16_overflow 0
		.amdhsa_workgroup_processor_mode 1
		.amdhsa_memory_ordered 1
		.amdhsa_forward_progress 1
		.amdhsa_inst_pref_size 0
		.amdhsa_round_robin_scheduling 0
		.amdhsa_exception_fp_ieee_invalid_op 0
		.amdhsa_exception_fp_denorm_src 0
		.amdhsa_exception_fp_ieee_div_zero 0
		.amdhsa_exception_fp_ieee_overflow 0
		.amdhsa_exception_fp_ieee_underflow 0
		.amdhsa_exception_fp_ieee_inexact 0
		.amdhsa_exception_int_div_zero 0
	.end_amdhsa_kernel
	.section	.text._ZN7rocprim17ROCPRIM_400000_NS6detail17trampoline_kernelINS0_14default_configENS1_25partition_config_selectorILNS1_17partition_subalgoE5EiNS0_10empty_typeEbEEZZNS1_14partition_implILS5_5ELb0ES3_mN6thrust23THRUST_200600_302600_NS6detail15normal_iteratorINSA_10device_ptrIiEEEEPS6_NSA_18transform_iteratorINSB_9not_fun_tI7is_trueIiEEENSC_INSD_IbEEEENSA_11use_defaultESO_EENS0_5tupleIJNSA_16discard_iteratorISO_EES6_EEENSQ_IJSG_SG_EEES6_PlJS6_EEE10hipError_tPvRmT3_T4_T5_T6_T7_T9_mT8_P12ihipStream_tbDpT10_ENKUlT_T0_E_clISt17integral_constantIbLb0EES1E_IbLb1EEEEDaS1A_S1B_EUlS1A_E_NS1_11comp_targetILNS1_3genE4ELNS1_11target_archE910ELNS1_3gpuE8ELNS1_3repE0EEENS1_30default_config_static_selectorELNS0_4arch9wavefront6targetE0EEEvT1_,"axG",@progbits,_ZN7rocprim17ROCPRIM_400000_NS6detail17trampoline_kernelINS0_14default_configENS1_25partition_config_selectorILNS1_17partition_subalgoE5EiNS0_10empty_typeEbEEZZNS1_14partition_implILS5_5ELb0ES3_mN6thrust23THRUST_200600_302600_NS6detail15normal_iteratorINSA_10device_ptrIiEEEEPS6_NSA_18transform_iteratorINSB_9not_fun_tI7is_trueIiEEENSC_INSD_IbEEEENSA_11use_defaultESO_EENS0_5tupleIJNSA_16discard_iteratorISO_EES6_EEENSQ_IJSG_SG_EEES6_PlJS6_EEE10hipError_tPvRmT3_T4_T5_T6_T7_T9_mT8_P12ihipStream_tbDpT10_ENKUlT_T0_E_clISt17integral_constantIbLb0EES1E_IbLb1EEEEDaS1A_S1B_EUlS1A_E_NS1_11comp_targetILNS1_3genE4ELNS1_11target_archE910ELNS1_3gpuE8ELNS1_3repE0EEENS1_30default_config_static_selectorELNS0_4arch9wavefront6targetE0EEEvT1_,comdat
.Lfunc_end2807:
	.size	_ZN7rocprim17ROCPRIM_400000_NS6detail17trampoline_kernelINS0_14default_configENS1_25partition_config_selectorILNS1_17partition_subalgoE5EiNS0_10empty_typeEbEEZZNS1_14partition_implILS5_5ELb0ES3_mN6thrust23THRUST_200600_302600_NS6detail15normal_iteratorINSA_10device_ptrIiEEEEPS6_NSA_18transform_iteratorINSB_9not_fun_tI7is_trueIiEEENSC_INSD_IbEEEENSA_11use_defaultESO_EENS0_5tupleIJNSA_16discard_iteratorISO_EES6_EEENSQ_IJSG_SG_EEES6_PlJS6_EEE10hipError_tPvRmT3_T4_T5_T6_T7_T9_mT8_P12ihipStream_tbDpT10_ENKUlT_T0_E_clISt17integral_constantIbLb0EES1E_IbLb1EEEEDaS1A_S1B_EUlS1A_E_NS1_11comp_targetILNS1_3genE4ELNS1_11target_archE910ELNS1_3gpuE8ELNS1_3repE0EEENS1_30default_config_static_selectorELNS0_4arch9wavefront6targetE0EEEvT1_, .Lfunc_end2807-_ZN7rocprim17ROCPRIM_400000_NS6detail17trampoline_kernelINS0_14default_configENS1_25partition_config_selectorILNS1_17partition_subalgoE5EiNS0_10empty_typeEbEEZZNS1_14partition_implILS5_5ELb0ES3_mN6thrust23THRUST_200600_302600_NS6detail15normal_iteratorINSA_10device_ptrIiEEEEPS6_NSA_18transform_iteratorINSB_9not_fun_tI7is_trueIiEEENSC_INSD_IbEEEENSA_11use_defaultESO_EENS0_5tupleIJNSA_16discard_iteratorISO_EES6_EEENSQ_IJSG_SG_EEES6_PlJS6_EEE10hipError_tPvRmT3_T4_T5_T6_T7_T9_mT8_P12ihipStream_tbDpT10_ENKUlT_T0_E_clISt17integral_constantIbLb0EES1E_IbLb1EEEEDaS1A_S1B_EUlS1A_E_NS1_11comp_targetILNS1_3genE4ELNS1_11target_archE910ELNS1_3gpuE8ELNS1_3repE0EEENS1_30default_config_static_selectorELNS0_4arch9wavefront6targetE0EEEvT1_
                                        ; -- End function
	.set _ZN7rocprim17ROCPRIM_400000_NS6detail17trampoline_kernelINS0_14default_configENS1_25partition_config_selectorILNS1_17partition_subalgoE5EiNS0_10empty_typeEbEEZZNS1_14partition_implILS5_5ELb0ES3_mN6thrust23THRUST_200600_302600_NS6detail15normal_iteratorINSA_10device_ptrIiEEEEPS6_NSA_18transform_iteratorINSB_9not_fun_tI7is_trueIiEEENSC_INSD_IbEEEENSA_11use_defaultESO_EENS0_5tupleIJNSA_16discard_iteratorISO_EES6_EEENSQ_IJSG_SG_EEES6_PlJS6_EEE10hipError_tPvRmT3_T4_T5_T6_T7_T9_mT8_P12ihipStream_tbDpT10_ENKUlT_T0_E_clISt17integral_constantIbLb0EES1E_IbLb1EEEEDaS1A_S1B_EUlS1A_E_NS1_11comp_targetILNS1_3genE4ELNS1_11target_archE910ELNS1_3gpuE8ELNS1_3repE0EEENS1_30default_config_static_selectorELNS0_4arch9wavefront6targetE0EEEvT1_.num_vgpr, 0
	.set _ZN7rocprim17ROCPRIM_400000_NS6detail17trampoline_kernelINS0_14default_configENS1_25partition_config_selectorILNS1_17partition_subalgoE5EiNS0_10empty_typeEbEEZZNS1_14partition_implILS5_5ELb0ES3_mN6thrust23THRUST_200600_302600_NS6detail15normal_iteratorINSA_10device_ptrIiEEEEPS6_NSA_18transform_iteratorINSB_9not_fun_tI7is_trueIiEEENSC_INSD_IbEEEENSA_11use_defaultESO_EENS0_5tupleIJNSA_16discard_iteratorISO_EES6_EEENSQ_IJSG_SG_EEES6_PlJS6_EEE10hipError_tPvRmT3_T4_T5_T6_T7_T9_mT8_P12ihipStream_tbDpT10_ENKUlT_T0_E_clISt17integral_constantIbLb0EES1E_IbLb1EEEEDaS1A_S1B_EUlS1A_E_NS1_11comp_targetILNS1_3genE4ELNS1_11target_archE910ELNS1_3gpuE8ELNS1_3repE0EEENS1_30default_config_static_selectorELNS0_4arch9wavefront6targetE0EEEvT1_.num_agpr, 0
	.set _ZN7rocprim17ROCPRIM_400000_NS6detail17trampoline_kernelINS0_14default_configENS1_25partition_config_selectorILNS1_17partition_subalgoE5EiNS0_10empty_typeEbEEZZNS1_14partition_implILS5_5ELb0ES3_mN6thrust23THRUST_200600_302600_NS6detail15normal_iteratorINSA_10device_ptrIiEEEEPS6_NSA_18transform_iteratorINSB_9not_fun_tI7is_trueIiEEENSC_INSD_IbEEEENSA_11use_defaultESO_EENS0_5tupleIJNSA_16discard_iteratorISO_EES6_EEENSQ_IJSG_SG_EEES6_PlJS6_EEE10hipError_tPvRmT3_T4_T5_T6_T7_T9_mT8_P12ihipStream_tbDpT10_ENKUlT_T0_E_clISt17integral_constantIbLb0EES1E_IbLb1EEEEDaS1A_S1B_EUlS1A_E_NS1_11comp_targetILNS1_3genE4ELNS1_11target_archE910ELNS1_3gpuE8ELNS1_3repE0EEENS1_30default_config_static_selectorELNS0_4arch9wavefront6targetE0EEEvT1_.numbered_sgpr, 0
	.set _ZN7rocprim17ROCPRIM_400000_NS6detail17trampoline_kernelINS0_14default_configENS1_25partition_config_selectorILNS1_17partition_subalgoE5EiNS0_10empty_typeEbEEZZNS1_14partition_implILS5_5ELb0ES3_mN6thrust23THRUST_200600_302600_NS6detail15normal_iteratorINSA_10device_ptrIiEEEEPS6_NSA_18transform_iteratorINSB_9not_fun_tI7is_trueIiEEENSC_INSD_IbEEEENSA_11use_defaultESO_EENS0_5tupleIJNSA_16discard_iteratorISO_EES6_EEENSQ_IJSG_SG_EEES6_PlJS6_EEE10hipError_tPvRmT3_T4_T5_T6_T7_T9_mT8_P12ihipStream_tbDpT10_ENKUlT_T0_E_clISt17integral_constantIbLb0EES1E_IbLb1EEEEDaS1A_S1B_EUlS1A_E_NS1_11comp_targetILNS1_3genE4ELNS1_11target_archE910ELNS1_3gpuE8ELNS1_3repE0EEENS1_30default_config_static_selectorELNS0_4arch9wavefront6targetE0EEEvT1_.num_named_barrier, 0
	.set _ZN7rocprim17ROCPRIM_400000_NS6detail17trampoline_kernelINS0_14default_configENS1_25partition_config_selectorILNS1_17partition_subalgoE5EiNS0_10empty_typeEbEEZZNS1_14partition_implILS5_5ELb0ES3_mN6thrust23THRUST_200600_302600_NS6detail15normal_iteratorINSA_10device_ptrIiEEEEPS6_NSA_18transform_iteratorINSB_9not_fun_tI7is_trueIiEEENSC_INSD_IbEEEENSA_11use_defaultESO_EENS0_5tupleIJNSA_16discard_iteratorISO_EES6_EEENSQ_IJSG_SG_EEES6_PlJS6_EEE10hipError_tPvRmT3_T4_T5_T6_T7_T9_mT8_P12ihipStream_tbDpT10_ENKUlT_T0_E_clISt17integral_constantIbLb0EES1E_IbLb1EEEEDaS1A_S1B_EUlS1A_E_NS1_11comp_targetILNS1_3genE4ELNS1_11target_archE910ELNS1_3gpuE8ELNS1_3repE0EEENS1_30default_config_static_selectorELNS0_4arch9wavefront6targetE0EEEvT1_.private_seg_size, 0
	.set _ZN7rocprim17ROCPRIM_400000_NS6detail17trampoline_kernelINS0_14default_configENS1_25partition_config_selectorILNS1_17partition_subalgoE5EiNS0_10empty_typeEbEEZZNS1_14partition_implILS5_5ELb0ES3_mN6thrust23THRUST_200600_302600_NS6detail15normal_iteratorINSA_10device_ptrIiEEEEPS6_NSA_18transform_iteratorINSB_9not_fun_tI7is_trueIiEEENSC_INSD_IbEEEENSA_11use_defaultESO_EENS0_5tupleIJNSA_16discard_iteratorISO_EES6_EEENSQ_IJSG_SG_EEES6_PlJS6_EEE10hipError_tPvRmT3_T4_T5_T6_T7_T9_mT8_P12ihipStream_tbDpT10_ENKUlT_T0_E_clISt17integral_constantIbLb0EES1E_IbLb1EEEEDaS1A_S1B_EUlS1A_E_NS1_11comp_targetILNS1_3genE4ELNS1_11target_archE910ELNS1_3gpuE8ELNS1_3repE0EEENS1_30default_config_static_selectorELNS0_4arch9wavefront6targetE0EEEvT1_.uses_vcc, 0
	.set _ZN7rocprim17ROCPRIM_400000_NS6detail17trampoline_kernelINS0_14default_configENS1_25partition_config_selectorILNS1_17partition_subalgoE5EiNS0_10empty_typeEbEEZZNS1_14partition_implILS5_5ELb0ES3_mN6thrust23THRUST_200600_302600_NS6detail15normal_iteratorINSA_10device_ptrIiEEEEPS6_NSA_18transform_iteratorINSB_9not_fun_tI7is_trueIiEEENSC_INSD_IbEEEENSA_11use_defaultESO_EENS0_5tupleIJNSA_16discard_iteratorISO_EES6_EEENSQ_IJSG_SG_EEES6_PlJS6_EEE10hipError_tPvRmT3_T4_T5_T6_T7_T9_mT8_P12ihipStream_tbDpT10_ENKUlT_T0_E_clISt17integral_constantIbLb0EES1E_IbLb1EEEEDaS1A_S1B_EUlS1A_E_NS1_11comp_targetILNS1_3genE4ELNS1_11target_archE910ELNS1_3gpuE8ELNS1_3repE0EEENS1_30default_config_static_selectorELNS0_4arch9wavefront6targetE0EEEvT1_.uses_flat_scratch, 0
	.set _ZN7rocprim17ROCPRIM_400000_NS6detail17trampoline_kernelINS0_14default_configENS1_25partition_config_selectorILNS1_17partition_subalgoE5EiNS0_10empty_typeEbEEZZNS1_14partition_implILS5_5ELb0ES3_mN6thrust23THRUST_200600_302600_NS6detail15normal_iteratorINSA_10device_ptrIiEEEEPS6_NSA_18transform_iteratorINSB_9not_fun_tI7is_trueIiEEENSC_INSD_IbEEEENSA_11use_defaultESO_EENS0_5tupleIJNSA_16discard_iteratorISO_EES6_EEENSQ_IJSG_SG_EEES6_PlJS6_EEE10hipError_tPvRmT3_T4_T5_T6_T7_T9_mT8_P12ihipStream_tbDpT10_ENKUlT_T0_E_clISt17integral_constantIbLb0EES1E_IbLb1EEEEDaS1A_S1B_EUlS1A_E_NS1_11comp_targetILNS1_3genE4ELNS1_11target_archE910ELNS1_3gpuE8ELNS1_3repE0EEENS1_30default_config_static_selectorELNS0_4arch9wavefront6targetE0EEEvT1_.has_dyn_sized_stack, 0
	.set _ZN7rocprim17ROCPRIM_400000_NS6detail17trampoline_kernelINS0_14default_configENS1_25partition_config_selectorILNS1_17partition_subalgoE5EiNS0_10empty_typeEbEEZZNS1_14partition_implILS5_5ELb0ES3_mN6thrust23THRUST_200600_302600_NS6detail15normal_iteratorINSA_10device_ptrIiEEEEPS6_NSA_18transform_iteratorINSB_9not_fun_tI7is_trueIiEEENSC_INSD_IbEEEENSA_11use_defaultESO_EENS0_5tupleIJNSA_16discard_iteratorISO_EES6_EEENSQ_IJSG_SG_EEES6_PlJS6_EEE10hipError_tPvRmT3_T4_T5_T6_T7_T9_mT8_P12ihipStream_tbDpT10_ENKUlT_T0_E_clISt17integral_constantIbLb0EES1E_IbLb1EEEEDaS1A_S1B_EUlS1A_E_NS1_11comp_targetILNS1_3genE4ELNS1_11target_archE910ELNS1_3gpuE8ELNS1_3repE0EEENS1_30default_config_static_selectorELNS0_4arch9wavefront6targetE0EEEvT1_.has_recursion, 0
	.set _ZN7rocprim17ROCPRIM_400000_NS6detail17trampoline_kernelINS0_14default_configENS1_25partition_config_selectorILNS1_17partition_subalgoE5EiNS0_10empty_typeEbEEZZNS1_14partition_implILS5_5ELb0ES3_mN6thrust23THRUST_200600_302600_NS6detail15normal_iteratorINSA_10device_ptrIiEEEEPS6_NSA_18transform_iteratorINSB_9not_fun_tI7is_trueIiEEENSC_INSD_IbEEEENSA_11use_defaultESO_EENS0_5tupleIJNSA_16discard_iteratorISO_EES6_EEENSQ_IJSG_SG_EEES6_PlJS6_EEE10hipError_tPvRmT3_T4_T5_T6_T7_T9_mT8_P12ihipStream_tbDpT10_ENKUlT_T0_E_clISt17integral_constantIbLb0EES1E_IbLb1EEEEDaS1A_S1B_EUlS1A_E_NS1_11comp_targetILNS1_3genE4ELNS1_11target_archE910ELNS1_3gpuE8ELNS1_3repE0EEENS1_30default_config_static_selectorELNS0_4arch9wavefront6targetE0EEEvT1_.has_indirect_call, 0
	.section	.AMDGPU.csdata,"",@progbits
; Kernel info:
; codeLenInByte = 0
; TotalNumSgprs: 0
; NumVgprs: 0
; ScratchSize: 0
; MemoryBound: 0
; FloatMode: 240
; IeeeMode: 1
; LDSByteSize: 0 bytes/workgroup (compile time only)
; SGPRBlocks: 0
; VGPRBlocks: 0
; NumSGPRsForWavesPerEU: 1
; NumVGPRsForWavesPerEU: 1
; Occupancy: 16
; WaveLimiterHint : 0
; COMPUTE_PGM_RSRC2:SCRATCH_EN: 0
; COMPUTE_PGM_RSRC2:USER_SGPR: 2
; COMPUTE_PGM_RSRC2:TRAP_HANDLER: 0
; COMPUTE_PGM_RSRC2:TGID_X_EN: 1
; COMPUTE_PGM_RSRC2:TGID_Y_EN: 0
; COMPUTE_PGM_RSRC2:TGID_Z_EN: 0
; COMPUTE_PGM_RSRC2:TIDIG_COMP_CNT: 0
	.section	.text._ZN7rocprim17ROCPRIM_400000_NS6detail17trampoline_kernelINS0_14default_configENS1_25partition_config_selectorILNS1_17partition_subalgoE5EiNS0_10empty_typeEbEEZZNS1_14partition_implILS5_5ELb0ES3_mN6thrust23THRUST_200600_302600_NS6detail15normal_iteratorINSA_10device_ptrIiEEEEPS6_NSA_18transform_iteratorINSB_9not_fun_tI7is_trueIiEEENSC_INSD_IbEEEENSA_11use_defaultESO_EENS0_5tupleIJNSA_16discard_iteratorISO_EES6_EEENSQ_IJSG_SG_EEES6_PlJS6_EEE10hipError_tPvRmT3_T4_T5_T6_T7_T9_mT8_P12ihipStream_tbDpT10_ENKUlT_T0_E_clISt17integral_constantIbLb0EES1E_IbLb1EEEEDaS1A_S1B_EUlS1A_E_NS1_11comp_targetILNS1_3genE3ELNS1_11target_archE908ELNS1_3gpuE7ELNS1_3repE0EEENS1_30default_config_static_selectorELNS0_4arch9wavefront6targetE0EEEvT1_,"axG",@progbits,_ZN7rocprim17ROCPRIM_400000_NS6detail17trampoline_kernelINS0_14default_configENS1_25partition_config_selectorILNS1_17partition_subalgoE5EiNS0_10empty_typeEbEEZZNS1_14partition_implILS5_5ELb0ES3_mN6thrust23THRUST_200600_302600_NS6detail15normal_iteratorINSA_10device_ptrIiEEEEPS6_NSA_18transform_iteratorINSB_9not_fun_tI7is_trueIiEEENSC_INSD_IbEEEENSA_11use_defaultESO_EENS0_5tupleIJNSA_16discard_iteratorISO_EES6_EEENSQ_IJSG_SG_EEES6_PlJS6_EEE10hipError_tPvRmT3_T4_T5_T6_T7_T9_mT8_P12ihipStream_tbDpT10_ENKUlT_T0_E_clISt17integral_constantIbLb0EES1E_IbLb1EEEEDaS1A_S1B_EUlS1A_E_NS1_11comp_targetILNS1_3genE3ELNS1_11target_archE908ELNS1_3gpuE7ELNS1_3repE0EEENS1_30default_config_static_selectorELNS0_4arch9wavefront6targetE0EEEvT1_,comdat
	.protected	_ZN7rocprim17ROCPRIM_400000_NS6detail17trampoline_kernelINS0_14default_configENS1_25partition_config_selectorILNS1_17partition_subalgoE5EiNS0_10empty_typeEbEEZZNS1_14partition_implILS5_5ELb0ES3_mN6thrust23THRUST_200600_302600_NS6detail15normal_iteratorINSA_10device_ptrIiEEEEPS6_NSA_18transform_iteratorINSB_9not_fun_tI7is_trueIiEEENSC_INSD_IbEEEENSA_11use_defaultESO_EENS0_5tupleIJNSA_16discard_iteratorISO_EES6_EEENSQ_IJSG_SG_EEES6_PlJS6_EEE10hipError_tPvRmT3_T4_T5_T6_T7_T9_mT8_P12ihipStream_tbDpT10_ENKUlT_T0_E_clISt17integral_constantIbLb0EES1E_IbLb1EEEEDaS1A_S1B_EUlS1A_E_NS1_11comp_targetILNS1_3genE3ELNS1_11target_archE908ELNS1_3gpuE7ELNS1_3repE0EEENS1_30default_config_static_selectorELNS0_4arch9wavefront6targetE0EEEvT1_ ; -- Begin function _ZN7rocprim17ROCPRIM_400000_NS6detail17trampoline_kernelINS0_14default_configENS1_25partition_config_selectorILNS1_17partition_subalgoE5EiNS0_10empty_typeEbEEZZNS1_14partition_implILS5_5ELb0ES3_mN6thrust23THRUST_200600_302600_NS6detail15normal_iteratorINSA_10device_ptrIiEEEEPS6_NSA_18transform_iteratorINSB_9not_fun_tI7is_trueIiEEENSC_INSD_IbEEEENSA_11use_defaultESO_EENS0_5tupleIJNSA_16discard_iteratorISO_EES6_EEENSQ_IJSG_SG_EEES6_PlJS6_EEE10hipError_tPvRmT3_T4_T5_T6_T7_T9_mT8_P12ihipStream_tbDpT10_ENKUlT_T0_E_clISt17integral_constantIbLb0EES1E_IbLb1EEEEDaS1A_S1B_EUlS1A_E_NS1_11comp_targetILNS1_3genE3ELNS1_11target_archE908ELNS1_3gpuE7ELNS1_3repE0EEENS1_30default_config_static_selectorELNS0_4arch9wavefront6targetE0EEEvT1_
	.globl	_ZN7rocprim17ROCPRIM_400000_NS6detail17trampoline_kernelINS0_14default_configENS1_25partition_config_selectorILNS1_17partition_subalgoE5EiNS0_10empty_typeEbEEZZNS1_14partition_implILS5_5ELb0ES3_mN6thrust23THRUST_200600_302600_NS6detail15normal_iteratorINSA_10device_ptrIiEEEEPS6_NSA_18transform_iteratorINSB_9not_fun_tI7is_trueIiEEENSC_INSD_IbEEEENSA_11use_defaultESO_EENS0_5tupleIJNSA_16discard_iteratorISO_EES6_EEENSQ_IJSG_SG_EEES6_PlJS6_EEE10hipError_tPvRmT3_T4_T5_T6_T7_T9_mT8_P12ihipStream_tbDpT10_ENKUlT_T0_E_clISt17integral_constantIbLb0EES1E_IbLb1EEEEDaS1A_S1B_EUlS1A_E_NS1_11comp_targetILNS1_3genE3ELNS1_11target_archE908ELNS1_3gpuE7ELNS1_3repE0EEENS1_30default_config_static_selectorELNS0_4arch9wavefront6targetE0EEEvT1_
	.p2align	8
	.type	_ZN7rocprim17ROCPRIM_400000_NS6detail17trampoline_kernelINS0_14default_configENS1_25partition_config_selectorILNS1_17partition_subalgoE5EiNS0_10empty_typeEbEEZZNS1_14partition_implILS5_5ELb0ES3_mN6thrust23THRUST_200600_302600_NS6detail15normal_iteratorINSA_10device_ptrIiEEEEPS6_NSA_18transform_iteratorINSB_9not_fun_tI7is_trueIiEEENSC_INSD_IbEEEENSA_11use_defaultESO_EENS0_5tupleIJNSA_16discard_iteratorISO_EES6_EEENSQ_IJSG_SG_EEES6_PlJS6_EEE10hipError_tPvRmT3_T4_T5_T6_T7_T9_mT8_P12ihipStream_tbDpT10_ENKUlT_T0_E_clISt17integral_constantIbLb0EES1E_IbLb1EEEEDaS1A_S1B_EUlS1A_E_NS1_11comp_targetILNS1_3genE3ELNS1_11target_archE908ELNS1_3gpuE7ELNS1_3repE0EEENS1_30default_config_static_selectorELNS0_4arch9wavefront6targetE0EEEvT1_,@function
_ZN7rocprim17ROCPRIM_400000_NS6detail17trampoline_kernelINS0_14default_configENS1_25partition_config_selectorILNS1_17partition_subalgoE5EiNS0_10empty_typeEbEEZZNS1_14partition_implILS5_5ELb0ES3_mN6thrust23THRUST_200600_302600_NS6detail15normal_iteratorINSA_10device_ptrIiEEEEPS6_NSA_18transform_iteratorINSB_9not_fun_tI7is_trueIiEEENSC_INSD_IbEEEENSA_11use_defaultESO_EENS0_5tupleIJNSA_16discard_iteratorISO_EES6_EEENSQ_IJSG_SG_EEES6_PlJS6_EEE10hipError_tPvRmT3_T4_T5_T6_T7_T9_mT8_P12ihipStream_tbDpT10_ENKUlT_T0_E_clISt17integral_constantIbLb0EES1E_IbLb1EEEEDaS1A_S1B_EUlS1A_E_NS1_11comp_targetILNS1_3genE3ELNS1_11target_archE908ELNS1_3gpuE7ELNS1_3repE0EEENS1_30default_config_static_selectorELNS0_4arch9wavefront6targetE0EEEvT1_: ; @_ZN7rocprim17ROCPRIM_400000_NS6detail17trampoline_kernelINS0_14default_configENS1_25partition_config_selectorILNS1_17partition_subalgoE5EiNS0_10empty_typeEbEEZZNS1_14partition_implILS5_5ELb0ES3_mN6thrust23THRUST_200600_302600_NS6detail15normal_iteratorINSA_10device_ptrIiEEEEPS6_NSA_18transform_iteratorINSB_9not_fun_tI7is_trueIiEEENSC_INSD_IbEEEENSA_11use_defaultESO_EENS0_5tupleIJNSA_16discard_iteratorISO_EES6_EEENSQ_IJSG_SG_EEES6_PlJS6_EEE10hipError_tPvRmT3_T4_T5_T6_T7_T9_mT8_P12ihipStream_tbDpT10_ENKUlT_T0_E_clISt17integral_constantIbLb0EES1E_IbLb1EEEEDaS1A_S1B_EUlS1A_E_NS1_11comp_targetILNS1_3genE3ELNS1_11target_archE908ELNS1_3gpuE7ELNS1_3repE0EEENS1_30default_config_static_selectorELNS0_4arch9wavefront6targetE0EEEvT1_
; %bb.0:
	.section	.rodata,"a",@progbits
	.p2align	6, 0x0
	.amdhsa_kernel _ZN7rocprim17ROCPRIM_400000_NS6detail17trampoline_kernelINS0_14default_configENS1_25partition_config_selectorILNS1_17partition_subalgoE5EiNS0_10empty_typeEbEEZZNS1_14partition_implILS5_5ELb0ES3_mN6thrust23THRUST_200600_302600_NS6detail15normal_iteratorINSA_10device_ptrIiEEEEPS6_NSA_18transform_iteratorINSB_9not_fun_tI7is_trueIiEEENSC_INSD_IbEEEENSA_11use_defaultESO_EENS0_5tupleIJNSA_16discard_iteratorISO_EES6_EEENSQ_IJSG_SG_EEES6_PlJS6_EEE10hipError_tPvRmT3_T4_T5_T6_T7_T9_mT8_P12ihipStream_tbDpT10_ENKUlT_T0_E_clISt17integral_constantIbLb0EES1E_IbLb1EEEEDaS1A_S1B_EUlS1A_E_NS1_11comp_targetILNS1_3genE3ELNS1_11target_archE908ELNS1_3gpuE7ELNS1_3repE0EEENS1_30default_config_static_selectorELNS0_4arch9wavefront6targetE0EEEvT1_
		.amdhsa_group_segment_fixed_size 0
		.amdhsa_private_segment_fixed_size 0
		.amdhsa_kernarg_size 144
		.amdhsa_user_sgpr_count 2
		.amdhsa_user_sgpr_dispatch_ptr 0
		.amdhsa_user_sgpr_queue_ptr 0
		.amdhsa_user_sgpr_kernarg_segment_ptr 1
		.amdhsa_user_sgpr_dispatch_id 0
		.amdhsa_user_sgpr_private_segment_size 0
		.amdhsa_wavefront_size32 1
		.amdhsa_uses_dynamic_stack 0
		.amdhsa_enable_private_segment 0
		.amdhsa_system_sgpr_workgroup_id_x 1
		.amdhsa_system_sgpr_workgroup_id_y 0
		.amdhsa_system_sgpr_workgroup_id_z 0
		.amdhsa_system_sgpr_workgroup_info 0
		.amdhsa_system_vgpr_workitem_id 0
		.amdhsa_next_free_vgpr 1
		.amdhsa_next_free_sgpr 1
		.amdhsa_reserve_vcc 0
		.amdhsa_float_round_mode_32 0
		.amdhsa_float_round_mode_16_64 0
		.amdhsa_float_denorm_mode_32 3
		.amdhsa_float_denorm_mode_16_64 3
		.amdhsa_fp16_overflow 0
		.amdhsa_workgroup_processor_mode 1
		.amdhsa_memory_ordered 1
		.amdhsa_forward_progress 1
		.amdhsa_inst_pref_size 0
		.amdhsa_round_robin_scheduling 0
		.amdhsa_exception_fp_ieee_invalid_op 0
		.amdhsa_exception_fp_denorm_src 0
		.amdhsa_exception_fp_ieee_div_zero 0
		.amdhsa_exception_fp_ieee_overflow 0
		.amdhsa_exception_fp_ieee_underflow 0
		.amdhsa_exception_fp_ieee_inexact 0
		.amdhsa_exception_int_div_zero 0
	.end_amdhsa_kernel
	.section	.text._ZN7rocprim17ROCPRIM_400000_NS6detail17trampoline_kernelINS0_14default_configENS1_25partition_config_selectorILNS1_17partition_subalgoE5EiNS0_10empty_typeEbEEZZNS1_14partition_implILS5_5ELb0ES3_mN6thrust23THRUST_200600_302600_NS6detail15normal_iteratorINSA_10device_ptrIiEEEEPS6_NSA_18transform_iteratorINSB_9not_fun_tI7is_trueIiEEENSC_INSD_IbEEEENSA_11use_defaultESO_EENS0_5tupleIJNSA_16discard_iteratorISO_EES6_EEENSQ_IJSG_SG_EEES6_PlJS6_EEE10hipError_tPvRmT3_T4_T5_T6_T7_T9_mT8_P12ihipStream_tbDpT10_ENKUlT_T0_E_clISt17integral_constantIbLb0EES1E_IbLb1EEEEDaS1A_S1B_EUlS1A_E_NS1_11comp_targetILNS1_3genE3ELNS1_11target_archE908ELNS1_3gpuE7ELNS1_3repE0EEENS1_30default_config_static_selectorELNS0_4arch9wavefront6targetE0EEEvT1_,"axG",@progbits,_ZN7rocprim17ROCPRIM_400000_NS6detail17trampoline_kernelINS0_14default_configENS1_25partition_config_selectorILNS1_17partition_subalgoE5EiNS0_10empty_typeEbEEZZNS1_14partition_implILS5_5ELb0ES3_mN6thrust23THRUST_200600_302600_NS6detail15normal_iteratorINSA_10device_ptrIiEEEEPS6_NSA_18transform_iteratorINSB_9not_fun_tI7is_trueIiEEENSC_INSD_IbEEEENSA_11use_defaultESO_EENS0_5tupleIJNSA_16discard_iteratorISO_EES6_EEENSQ_IJSG_SG_EEES6_PlJS6_EEE10hipError_tPvRmT3_T4_T5_T6_T7_T9_mT8_P12ihipStream_tbDpT10_ENKUlT_T0_E_clISt17integral_constantIbLb0EES1E_IbLb1EEEEDaS1A_S1B_EUlS1A_E_NS1_11comp_targetILNS1_3genE3ELNS1_11target_archE908ELNS1_3gpuE7ELNS1_3repE0EEENS1_30default_config_static_selectorELNS0_4arch9wavefront6targetE0EEEvT1_,comdat
.Lfunc_end2808:
	.size	_ZN7rocprim17ROCPRIM_400000_NS6detail17trampoline_kernelINS0_14default_configENS1_25partition_config_selectorILNS1_17partition_subalgoE5EiNS0_10empty_typeEbEEZZNS1_14partition_implILS5_5ELb0ES3_mN6thrust23THRUST_200600_302600_NS6detail15normal_iteratorINSA_10device_ptrIiEEEEPS6_NSA_18transform_iteratorINSB_9not_fun_tI7is_trueIiEEENSC_INSD_IbEEEENSA_11use_defaultESO_EENS0_5tupleIJNSA_16discard_iteratorISO_EES6_EEENSQ_IJSG_SG_EEES6_PlJS6_EEE10hipError_tPvRmT3_T4_T5_T6_T7_T9_mT8_P12ihipStream_tbDpT10_ENKUlT_T0_E_clISt17integral_constantIbLb0EES1E_IbLb1EEEEDaS1A_S1B_EUlS1A_E_NS1_11comp_targetILNS1_3genE3ELNS1_11target_archE908ELNS1_3gpuE7ELNS1_3repE0EEENS1_30default_config_static_selectorELNS0_4arch9wavefront6targetE0EEEvT1_, .Lfunc_end2808-_ZN7rocprim17ROCPRIM_400000_NS6detail17trampoline_kernelINS0_14default_configENS1_25partition_config_selectorILNS1_17partition_subalgoE5EiNS0_10empty_typeEbEEZZNS1_14partition_implILS5_5ELb0ES3_mN6thrust23THRUST_200600_302600_NS6detail15normal_iteratorINSA_10device_ptrIiEEEEPS6_NSA_18transform_iteratorINSB_9not_fun_tI7is_trueIiEEENSC_INSD_IbEEEENSA_11use_defaultESO_EENS0_5tupleIJNSA_16discard_iteratorISO_EES6_EEENSQ_IJSG_SG_EEES6_PlJS6_EEE10hipError_tPvRmT3_T4_T5_T6_T7_T9_mT8_P12ihipStream_tbDpT10_ENKUlT_T0_E_clISt17integral_constantIbLb0EES1E_IbLb1EEEEDaS1A_S1B_EUlS1A_E_NS1_11comp_targetILNS1_3genE3ELNS1_11target_archE908ELNS1_3gpuE7ELNS1_3repE0EEENS1_30default_config_static_selectorELNS0_4arch9wavefront6targetE0EEEvT1_
                                        ; -- End function
	.set _ZN7rocprim17ROCPRIM_400000_NS6detail17trampoline_kernelINS0_14default_configENS1_25partition_config_selectorILNS1_17partition_subalgoE5EiNS0_10empty_typeEbEEZZNS1_14partition_implILS5_5ELb0ES3_mN6thrust23THRUST_200600_302600_NS6detail15normal_iteratorINSA_10device_ptrIiEEEEPS6_NSA_18transform_iteratorINSB_9not_fun_tI7is_trueIiEEENSC_INSD_IbEEEENSA_11use_defaultESO_EENS0_5tupleIJNSA_16discard_iteratorISO_EES6_EEENSQ_IJSG_SG_EEES6_PlJS6_EEE10hipError_tPvRmT3_T4_T5_T6_T7_T9_mT8_P12ihipStream_tbDpT10_ENKUlT_T0_E_clISt17integral_constantIbLb0EES1E_IbLb1EEEEDaS1A_S1B_EUlS1A_E_NS1_11comp_targetILNS1_3genE3ELNS1_11target_archE908ELNS1_3gpuE7ELNS1_3repE0EEENS1_30default_config_static_selectorELNS0_4arch9wavefront6targetE0EEEvT1_.num_vgpr, 0
	.set _ZN7rocprim17ROCPRIM_400000_NS6detail17trampoline_kernelINS0_14default_configENS1_25partition_config_selectorILNS1_17partition_subalgoE5EiNS0_10empty_typeEbEEZZNS1_14partition_implILS5_5ELb0ES3_mN6thrust23THRUST_200600_302600_NS6detail15normal_iteratorINSA_10device_ptrIiEEEEPS6_NSA_18transform_iteratorINSB_9not_fun_tI7is_trueIiEEENSC_INSD_IbEEEENSA_11use_defaultESO_EENS0_5tupleIJNSA_16discard_iteratorISO_EES6_EEENSQ_IJSG_SG_EEES6_PlJS6_EEE10hipError_tPvRmT3_T4_T5_T6_T7_T9_mT8_P12ihipStream_tbDpT10_ENKUlT_T0_E_clISt17integral_constantIbLb0EES1E_IbLb1EEEEDaS1A_S1B_EUlS1A_E_NS1_11comp_targetILNS1_3genE3ELNS1_11target_archE908ELNS1_3gpuE7ELNS1_3repE0EEENS1_30default_config_static_selectorELNS0_4arch9wavefront6targetE0EEEvT1_.num_agpr, 0
	.set _ZN7rocprim17ROCPRIM_400000_NS6detail17trampoline_kernelINS0_14default_configENS1_25partition_config_selectorILNS1_17partition_subalgoE5EiNS0_10empty_typeEbEEZZNS1_14partition_implILS5_5ELb0ES3_mN6thrust23THRUST_200600_302600_NS6detail15normal_iteratorINSA_10device_ptrIiEEEEPS6_NSA_18transform_iteratorINSB_9not_fun_tI7is_trueIiEEENSC_INSD_IbEEEENSA_11use_defaultESO_EENS0_5tupleIJNSA_16discard_iteratorISO_EES6_EEENSQ_IJSG_SG_EEES6_PlJS6_EEE10hipError_tPvRmT3_T4_T5_T6_T7_T9_mT8_P12ihipStream_tbDpT10_ENKUlT_T0_E_clISt17integral_constantIbLb0EES1E_IbLb1EEEEDaS1A_S1B_EUlS1A_E_NS1_11comp_targetILNS1_3genE3ELNS1_11target_archE908ELNS1_3gpuE7ELNS1_3repE0EEENS1_30default_config_static_selectorELNS0_4arch9wavefront6targetE0EEEvT1_.numbered_sgpr, 0
	.set _ZN7rocprim17ROCPRIM_400000_NS6detail17trampoline_kernelINS0_14default_configENS1_25partition_config_selectorILNS1_17partition_subalgoE5EiNS0_10empty_typeEbEEZZNS1_14partition_implILS5_5ELb0ES3_mN6thrust23THRUST_200600_302600_NS6detail15normal_iteratorINSA_10device_ptrIiEEEEPS6_NSA_18transform_iteratorINSB_9not_fun_tI7is_trueIiEEENSC_INSD_IbEEEENSA_11use_defaultESO_EENS0_5tupleIJNSA_16discard_iteratorISO_EES6_EEENSQ_IJSG_SG_EEES6_PlJS6_EEE10hipError_tPvRmT3_T4_T5_T6_T7_T9_mT8_P12ihipStream_tbDpT10_ENKUlT_T0_E_clISt17integral_constantIbLb0EES1E_IbLb1EEEEDaS1A_S1B_EUlS1A_E_NS1_11comp_targetILNS1_3genE3ELNS1_11target_archE908ELNS1_3gpuE7ELNS1_3repE0EEENS1_30default_config_static_selectorELNS0_4arch9wavefront6targetE0EEEvT1_.num_named_barrier, 0
	.set _ZN7rocprim17ROCPRIM_400000_NS6detail17trampoline_kernelINS0_14default_configENS1_25partition_config_selectorILNS1_17partition_subalgoE5EiNS0_10empty_typeEbEEZZNS1_14partition_implILS5_5ELb0ES3_mN6thrust23THRUST_200600_302600_NS6detail15normal_iteratorINSA_10device_ptrIiEEEEPS6_NSA_18transform_iteratorINSB_9not_fun_tI7is_trueIiEEENSC_INSD_IbEEEENSA_11use_defaultESO_EENS0_5tupleIJNSA_16discard_iteratorISO_EES6_EEENSQ_IJSG_SG_EEES6_PlJS6_EEE10hipError_tPvRmT3_T4_T5_T6_T7_T9_mT8_P12ihipStream_tbDpT10_ENKUlT_T0_E_clISt17integral_constantIbLb0EES1E_IbLb1EEEEDaS1A_S1B_EUlS1A_E_NS1_11comp_targetILNS1_3genE3ELNS1_11target_archE908ELNS1_3gpuE7ELNS1_3repE0EEENS1_30default_config_static_selectorELNS0_4arch9wavefront6targetE0EEEvT1_.private_seg_size, 0
	.set _ZN7rocprim17ROCPRIM_400000_NS6detail17trampoline_kernelINS0_14default_configENS1_25partition_config_selectorILNS1_17partition_subalgoE5EiNS0_10empty_typeEbEEZZNS1_14partition_implILS5_5ELb0ES3_mN6thrust23THRUST_200600_302600_NS6detail15normal_iteratorINSA_10device_ptrIiEEEEPS6_NSA_18transform_iteratorINSB_9not_fun_tI7is_trueIiEEENSC_INSD_IbEEEENSA_11use_defaultESO_EENS0_5tupleIJNSA_16discard_iteratorISO_EES6_EEENSQ_IJSG_SG_EEES6_PlJS6_EEE10hipError_tPvRmT3_T4_T5_T6_T7_T9_mT8_P12ihipStream_tbDpT10_ENKUlT_T0_E_clISt17integral_constantIbLb0EES1E_IbLb1EEEEDaS1A_S1B_EUlS1A_E_NS1_11comp_targetILNS1_3genE3ELNS1_11target_archE908ELNS1_3gpuE7ELNS1_3repE0EEENS1_30default_config_static_selectorELNS0_4arch9wavefront6targetE0EEEvT1_.uses_vcc, 0
	.set _ZN7rocprim17ROCPRIM_400000_NS6detail17trampoline_kernelINS0_14default_configENS1_25partition_config_selectorILNS1_17partition_subalgoE5EiNS0_10empty_typeEbEEZZNS1_14partition_implILS5_5ELb0ES3_mN6thrust23THRUST_200600_302600_NS6detail15normal_iteratorINSA_10device_ptrIiEEEEPS6_NSA_18transform_iteratorINSB_9not_fun_tI7is_trueIiEEENSC_INSD_IbEEEENSA_11use_defaultESO_EENS0_5tupleIJNSA_16discard_iteratorISO_EES6_EEENSQ_IJSG_SG_EEES6_PlJS6_EEE10hipError_tPvRmT3_T4_T5_T6_T7_T9_mT8_P12ihipStream_tbDpT10_ENKUlT_T0_E_clISt17integral_constantIbLb0EES1E_IbLb1EEEEDaS1A_S1B_EUlS1A_E_NS1_11comp_targetILNS1_3genE3ELNS1_11target_archE908ELNS1_3gpuE7ELNS1_3repE0EEENS1_30default_config_static_selectorELNS0_4arch9wavefront6targetE0EEEvT1_.uses_flat_scratch, 0
	.set _ZN7rocprim17ROCPRIM_400000_NS6detail17trampoline_kernelINS0_14default_configENS1_25partition_config_selectorILNS1_17partition_subalgoE5EiNS0_10empty_typeEbEEZZNS1_14partition_implILS5_5ELb0ES3_mN6thrust23THRUST_200600_302600_NS6detail15normal_iteratorINSA_10device_ptrIiEEEEPS6_NSA_18transform_iteratorINSB_9not_fun_tI7is_trueIiEEENSC_INSD_IbEEEENSA_11use_defaultESO_EENS0_5tupleIJNSA_16discard_iteratorISO_EES6_EEENSQ_IJSG_SG_EEES6_PlJS6_EEE10hipError_tPvRmT3_T4_T5_T6_T7_T9_mT8_P12ihipStream_tbDpT10_ENKUlT_T0_E_clISt17integral_constantIbLb0EES1E_IbLb1EEEEDaS1A_S1B_EUlS1A_E_NS1_11comp_targetILNS1_3genE3ELNS1_11target_archE908ELNS1_3gpuE7ELNS1_3repE0EEENS1_30default_config_static_selectorELNS0_4arch9wavefront6targetE0EEEvT1_.has_dyn_sized_stack, 0
	.set _ZN7rocprim17ROCPRIM_400000_NS6detail17trampoline_kernelINS0_14default_configENS1_25partition_config_selectorILNS1_17partition_subalgoE5EiNS0_10empty_typeEbEEZZNS1_14partition_implILS5_5ELb0ES3_mN6thrust23THRUST_200600_302600_NS6detail15normal_iteratorINSA_10device_ptrIiEEEEPS6_NSA_18transform_iteratorINSB_9not_fun_tI7is_trueIiEEENSC_INSD_IbEEEENSA_11use_defaultESO_EENS0_5tupleIJNSA_16discard_iteratorISO_EES6_EEENSQ_IJSG_SG_EEES6_PlJS6_EEE10hipError_tPvRmT3_T4_T5_T6_T7_T9_mT8_P12ihipStream_tbDpT10_ENKUlT_T0_E_clISt17integral_constantIbLb0EES1E_IbLb1EEEEDaS1A_S1B_EUlS1A_E_NS1_11comp_targetILNS1_3genE3ELNS1_11target_archE908ELNS1_3gpuE7ELNS1_3repE0EEENS1_30default_config_static_selectorELNS0_4arch9wavefront6targetE0EEEvT1_.has_recursion, 0
	.set _ZN7rocprim17ROCPRIM_400000_NS6detail17trampoline_kernelINS0_14default_configENS1_25partition_config_selectorILNS1_17partition_subalgoE5EiNS0_10empty_typeEbEEZZNS1_14partition_implILS5_5ELb0ES3_mN6thrust23THRUST_200600_302600_NS6detail15normal_iteratorINSA_10device_ptrIiEEEEPS6_NSA_18transform_iteratorINSB_9not_fun_tI7is_trueIiEEENSC_INSD_IbEEEENSA_11use_defaultESO_EENS0_5tupleIJNSA_16discard_iteratorISO_EES6_EEENSQ_IJSG_SG_EEES6_PlJS6_EEE10hipError_tPvRmT3_T4_T5_T6_T7_T9_mT8_P12ihipStream_tbDpT10_ENKUlT_T0_E_clISt17integral_constantIbLb0EES1E_IbLb1EEEEDaS1A_S1B_EUlS1A_E_NS1_11comp_targetILNS1_3genE3ELNS1_11target_archE908ELNS1_3gpuE7ELNS1_3repE0EEENS1_30default_config_static_selectorELNS0_4arch9wavefront6targetE0EEEvT1_.has_indirect_call, 0
	.section	.AMDGPU.csdata,"",@progbits
; Kernel info:
; codeLenInByte = 0
; TotalNumSgprs: 0
; NumVgprs: 0
; ScratchSize: 0
; MemoryBound: 0
; FloatMode: 240
; IeeeMode: 1
; LDSByteSize: 0 bytes/workgroup (compile time only)
; SGPRBlocks: 0
; VGPRBlocks: 0
; NumSGPRsForWavesPerEU: 1
; NumVGPRsForWavesPerEU: 1
; Occupancy: 16
; WaveLimiterHint : 0
; COMPUTE_PGM_RSRC2:SCRATCH_EN: 0
; COMPUTE_PGM_RSRC2:USER_SGPR: 2
; COMPUTE_PGM_RSRC2:TRAP_HANDLER: 0
; COMPUTE_PGM_RSRC2:TGID_X_EN: 1
; COMPUTE_PGM_RSRC2:TGID_Y_EN: 0
; COMPUTE_PGM_RSRC2:TGID_Z_EN: 0
; COMPUTE_PGM_RSRC2:TIDIG_COMP_CNT: 0
	.section	.text._ZN7rocprim17ROCPRIM_400000_NS6detail17trampoline_kernelINS0_14default_configENS1_25partition_config_selectorILNS1_17partition_subalgoE5EiNS0_10empty_typeEbEEZZNS1_14partition_implILS5_5ELb0ES3_mN6thrust23THRUST_200600_302600_NS6detail15normal_iteratorINSA_10device_ptrIiEEEEPS6_NSA_18transform_iteratorINSB_9not_fun_tI7is_trueIiEEENSC_INSD_IbEEEENSA_11use_defaultESO_EENS0_5tupleIJNSA_16discard_iteratorISO_EES6_EEENSQ_IJSG_SG_EEES6_PlJS6_EEE10hipError_tPvRmT3_T4_T5_T6_T7_T9_mT8_P12ihipStream_tbDpT10_ENKUlT_T0_E_clISt17integral_constantIbLb0EES1E_IbLb1EEEEDaS1A_S1B_EUlS1A_E_NS1_11comp_targetILNS1_3genE2ELNS1_11target_archE906ELNS1_3gpuE6ELNS1_3repE0EEENS1_30default_config_static_selectorELNS0_4arch9wavefront6targetE0EEEvT1_,"axG",@progbits,_ZN7rocprim17ROCPRIM_400000_NS6detail17trampoline_kernelINS0_14default_configENS1_25partition_config_selectorILNS1_17partition_subalgoE5EiNS0_10empty_typeEbEEZZNS1_14partition_implILS5_5ELb0ES3_mN6thrust23THRUST_200600_302600_NS6detail15normal_iteratorINSA_10device_ptrIiEEEEPS6_NSA_18transform_iteratorINSB_9not_fun_tI7is_trueIiEEENSC_INSD_IbEEEENSA_11use_defaultESO_EENS0_5tupleIJNSA_16discard_iteratorISO_EES6_EEENSQ_IJSG_SG_EEES6_PlJS6_EEE10hipError_tPvRmT3_T4_T5_T6_T7_T9_mT8_P12ihipStream_tbDpT10_ENKUlT_T0_E_clISt17integral_constantIbLb0EES1E_IbLb1EEEEDaS1A_S1B_EUlS1A_E_NS1_11comp_targetILNS1_3genE2ELNS1_11target_archE906ELNS1_3gpuE6ELNS1_3repE0EEENS1_30default_config_static_selectorELNS0_4arch9wavefront6targetE0EEEvT1_,comdat
	.protected	_ZN7rocprim17ROCPRIM_400000_NS6detail17trampoline_kernelINS0_14default_configENS1_25partition_config_selectorILNS1_17partition_subalgoE5EiNS0_10empty_typeEbEEZZNS1_14partition_implILS5_5ELb0ES3_mN6thrust23THRUST_200600_302600_NS6detail15normal_iteratorINSA_10device_ptrIiEEEEPS6_NSA_18transform_iteratorINSB_9not_fun_tI7is_trueIiEEENSC_INSD_IbEEEENSA_11use_defaultESO_EENS0_5tupleIJNSA_16discard_iteratorISO_EES6_EEENSQ_IJSG_SG_EEES6_PlJS6_EEE10hipError_tPvRmT3_T4_T5_T6_T7_T9_mT8_P12ihipStream_tbDpT10_ENKUlT_T0_E_clISt17integral_constantIbLb0EES1E_IbLb1EEEEDaS1A_S1B_EUlS1A_E_NS1_11comp_targetILNS1_3genE2ELNS1_11target_archE906ELNS1_3gpuE6ELNS1_3repE0EEENS1_30default_config_static_selectorELNS0_4arch9wavefront6targetE0EEEvT1_ ; -- Begin function _ZN7rocprim17ROCPRIM_400000_NS6detail17trampoline_kernelINS0_14default_configENS1_25partition_config_selectorILNS1_17partition_subalgoE5EiNS0_10empty_typeEbEEZZNS1_14partition_implILS5_5ELb0ES3_mN6thrust23THRUST_200600_302600_NS6detail15normal_iteratorINSA_10device_ptrIiEEEEPS6_NSA_18transform_iteratorINSB_9not_fun_tI7is_trueIiEEENSC_INSD_IbEEEENSA_11use_defaultESO_EENS0_5tupleIJNSA_16discard_iteratorISO_EES6_EEENSQ_IJSG_SG_EEES6_PlJS6_EEE10hipError_tPvRmT3_T4_T5_T6_T7_T9_mT8_P12ihipStream_tbDpT10_ENKUlT_T0_E_clISt17integral_constantIbLb0EES1E_IbLb1EEEEDaS1A_S1B_EUlS1A_E_NS1_11comp_targetILNS1_3genE2ELNS1_11target_archE906ELNS1_3gpuE6ELNS1_3repE0EEENS1_30default_config_static_selectorELNS0_4arch9wavefront6targetE0EEEvT1_
	.globl	_ZN7rocprim17ROCPRIM_400000_NS6detail17trampoline_kernelINS0_14default_configENS1_25partition_config_selectorILNS1_17partition_subalgoE5EiNS0_10empty_typeEbEEZZNS1_14partition_implILS5_5ELb0ES3_mN6thrust23THRUST_200600_302600_NS6detail15normal_iteratorINSA_10device_ptrIiEEEEPS6_NSA_18transform_iteratorINSB_9not_fun_tI7is_trueIiEEENSC_INSD_IbEEEENSA_11use_defaultESO_EENS0_5tupleIJNSA_16discard_iteratorISO_EES6_EEENSQ_IJSG_SG_EEES6_PlJS6_EEE10hipError_tPvRmT3_T4_T5_T6_T7_T9_mT8_P12ihipStream_tbDpT10_ENKUlT_T0_E_clISt17integral_constantIbLb0EES1E_IbLb1EEEEDaS1A_S1B_EUlS1A_E_NS1_11comp_targetILNS1_3genE2ELNS1_11target_archE906ELNS1_3gpuE6ELNS1_3repE0EEENS1_30default_config_static_selectorELNS0_4arch9wavefront6targetE0EEEvT1_
	.p2align	8
	.type	_ZN7rocprim17ROCPRIM_400000_NS6detail17trampoline_kernelINS0_14default_configENS1_25partition_config_selectorILNS1_17partition_subalgoE5EiNS0_10empty_typeEbEEZZNS1_14partition_implILS5_5ELb0ES3_mN6thrust23THRUST_200600_302600_NS6detail15normal_iteratorINSA_10device_ptrIiEEEEPS6_NSA_18transform_iteratorINSB_9not_fun_tI7is_trueIiEEENSC_INSD_IbEEEENSA_11use_defaultESO_EENS0_5tupleIJNSA_16discard_iteratorISO_EES6_EEENSQ_IJSG_SG_EEES6_PlJS6_EEE10hipError_tPvRmT3_T4_T5_T6_T7_T9_mT8_P12ihipStream_tbDpT10_ENKUlT_T0_E_clISt17integral_constantIbLb0EES1E_IbLb1EEEEDaS1A_S1B_EUlS1A_E_NS1_11comp_targetILNS1_3genE2ELNS1_11target_archE906ELNS1_3gpuE6ELNS1_3repE0EEENS1_30default_config_static_selectorELNS0_4arch9wavefront6targetE0EEEvT1_,@function
_ZN7rocprim17ROCPRIM_400000_NS6detail17trampoline_kernelINS0_14default_configENS1_25partition_config_selectorILNS1_17partition_subalgoE5EiNS0_10empty_typeEbEEZZNS1_14partition_implILS5_5ELb0ES3_mN6thrust23THRUST_200600_302600_NS6detail15normal_iteratorINSA_10device_ptrIiEEEEPS6_NSA_18transform_iteratorINSB_9not_fun_tI7is_trueIiEEENSC_INSD_IbEEEENSA_11use_defaultESO_EENS0_5tupleIJNSA_16discard_iteratorISO_EES6_EEENSQ_IJSG_SG_EEES6_PlJS6_EEE10hipError_tPvRmT3_T4_T5_T6_T7_T9_mT8_P12ihipStream_tbDpT10_ENKUlT_T0_E_clISt17integral_constantIbLb0EES1E_IbLb1EEEEDaS1A_S1B_EUlS1A_E_NS1_11comp_targetILNS1_3genE2ELNS1_11target_archE906ELNS1_3gpuE6ELNS1_3repE0EEENS1_30default_config_static_selectorELNS0_4arch9wavefront6targetE0EEEvT1_: ; @_ZN7rocprim17ROCPRIM_400000_NS6detail17trampoline_kernelINS0_14default_configENS1_25partition_config_selectorILNS1_17partition_subalgoE5EiNS0_10empty_typeEbEEZZNS1_14partition_implILS5_5ELb0ES3_mN6thrust23THRUST_200600_302600_NS6detail15normal_iteratorINSA_10device_ptrIiEEEEPS6_NSA_18transform_iteratorINSB_9not_fun_tI7is_trueIiEEENSC_INSD_IbEEEENSA_11use_defaultESO_EENS0_5tupleIJNSA_16discard_iteratorISO_EES6_EEENSQ_IJSG_SG_EEES6_PlJS6_EEE10hipError_tPvRmT3_T4_T5_T6_T7_T9_mT8_P12ihipStream_tbDpT10_ENKUlT_T0_E_clISt17integral_constantIbLb0EES1E_IbLb1EEEEDaS1A_S1B_EUlS1A_E_NS1_11comp_targetILNS1_3genE2ELNS1_11target_archE906ELNS1_3gpuE6ELNS1_3repE0EEENS1_30default_config_static_selectorELNS0_4arch9wavefront6targetE0EEEvT1_
; %bb.0:
	.section	.rodata,"a",@progbits
	.p2align	6, 0x0
	.amdhsa_kernel _ZN7rocprim17ROCPRIM_400000_NS6detail17trampoline_kernelINS0_14default_configENS1_25partition_config_selectorILNS1_17partition_subalgoE5EiNS0_10empty_typeEbEEZZNS1_14partition_implILS5_5ELb0ES3_mN6thrust23THRUST_200600_302600_NS6detail15normal_iteratorINSA_10device_ptrIiEEEEPS6_NSA_18transform_iteratorINSB_9not_fun_tI7is_trueIiEEENSC_INSD_IbEEEENSA_11use_defaultESO_EENS0_5tupleIJNSA_16discard_iteratorISO_EES6_EEENSQ_IJSG_SG_EEES6_PlJS6_EEE10hipError_tPvRmT3_T4_T5_T6_T7_T9_mT8_P12ihipStream_tbDpT10_ENKUlT_T0_E_clISt17integral_constantIbLb0EES1E_IbLb1EEEEDaS1A_S1B_EUlS1A_E_NS1_11comp_targetILNS1_3genE2ELNS1_11target_archE906ELNS1_3gpuE6ELNS1_3repE0EEENS1_30default_config_static_selectorELNS0_4arch9wavefront6targetE0EEEvT1_
		.amdhsa_group_segment_fixed_size 0
		.amdhsa_private_segment_fixed_size 0
		.amdhsa_kernarg_size 144
		.amdhsa_user_sgpr_count 2
		.amdhsa_user_sgpr_dispatch_ptr 0
		.amdhsa_user_sgpr_queue_ptr 0
		.amdhsa_user_sgpr_kernarg_segment_ptr 1
		.amdhsa_user_sgpr_dispatch_id 0
		.amdhsa_user_sgpr_private_segment_size 0
		.amdhsa_wavefront_size32 1
		.amdhsa_uses_dynamic_stack 0
		.amdhsa_enable_private_segment 0
		.amdhsa_system_sgpr_workgroup_id_x 1
		.amdhsa_system_sgpr_workgroup_id_y 0
		.amdhsa_system_sgpr_workgroup_id_z 0
		.amdhsa_system_sgpr_workgroup_info 0
		.amdhsa_system_vgpr_workitem_id 0
		.amdhsa_next_free_vgpr 1
		.amdhsa_next_free_sgpr 1
		.amdhsa_reserve_vcc 0
		.amdhsa_float_round_mode_32 0
		.amdhsa_float_round_mode_16_64 0
		.amdhsa_float_denorm_mode_32 3
		.amdhsa_float_denorm_mode_16_64 3
		.amdhsa_fp16_overflow 0
		.amdhsa_workgroup_processor_mode 1
		.amdhsa_memory_ordered 1
		.amdhsa_forward_progress 1
		.amdhsa_inst_pref_size 0
		.amdhsa_round_robin_scheduling 0
		.amdhsa_exception_fp_ieee_invalid_op 0
		.amdhsa_exception_fp_denorm_src 0
		.amdhsa_exception_fp_ieee_div_zero 0
		.amdhsa_exception_fp_ieee_overflow 0
		.amdhsa_exception_fp_ieee_underflow 0
		.amdhsa_exception_fp_ieee_inexact 0
		.amdhsa_exception_int_div_zero 0
	.end_amdhsa_kernel
	.section	.text._ZN7rocprim17ROCPRIM_400000_NS6detail17trampoline_kernelINS0_14default_configENS1_25partition_config_selectorILNS1_17partition_subalgoE5EiNS0_10empty_typeEbEEZZNS1_14partition_implILS5_5ELb0ES3_mN6thrust23THRUST_200600_302600_NS6detail15normal_iteratorINSA_10device_ptrIiEEEEPS6_NSA_18transform_iteratorINSB_9not_fun_tI7is_trueIiEEENSC_INSD_IbEEEENSA_11use_defaultESO_EENS0_5tupleIJNSA_16discard_iteratorISO_EES6_EEENSQ_IJSG_SG_EEES6_PlJS6_EEE10hipError_tPvRmT3_T4_T5_T6_T7_T9_mT8_P12ihipStream_tbDpT10_ENKUlT_T0_E_clISt17integral_constantIbLb0EES1E_IbLb1EEEEDaS1A_S1B_EUlS1A_E_NS1_11comp_targetILNS1_3genE2ELNS1_11target_archE906ELNS1_3gpuE6ELNS1_3repE0EEENS1_30default_config_static_selectorELNS0_4arch9wavefront6targetE0EEEvT1_,"axG",@progbits,_ZN7rocprim17ROCPRIM_400000_NS6detail17trampoline_kernelINS0_14default_configENS1_25partition_config_selectorILNS1_17partition_subalgoE5EiNS0_10empty_typeEbEEZZNS1_14partition_implILS5_5ELb0ES3_mN6thrust23THRUST_200600_302600_NS6detail15normal_iteratorINSA_10device_ptrIiEEEEPS6_NSA_18transform_iteratorINSB_9not_fun_tI7is_trueIiEEENSC_INSD_IbEEEENSA_11use_defaultESO_EENS0_5tupleIJNSA_16discard_iteratorISO_EES6_EEENSQ_IJSG_SG_EEES6_PlJS6_EEE10hipError_tPvRmT3_T4_T5_T6_T7_T9_mT8_P12ihipStream_tbDpT10_ENKUlT_T0_E_clISt17integral_constantIbLb0EES1E_IbLb1EEEEDaS1A_S1B_EUlS1A_E_NS1_11comp_targetILNS1_3genE2ELNS1_11target_archE906ELNS1_3gpuE6ELNS1_3repE0EEENS1_30default_config_static_selectorELNS0_4arch9wavefront6targetE0EEEvT1_,comdat
.Lfunc_end2809:
	.size	_ZN7rocprim17ROCPRIM_400000_NS6detail17trampoline_kernelINS0_14default_configENS1_25partition_config_selectorILNS1_17partition_subalgoE5EiNS0_10empty_typeEbEEZZNS1_14partition_implILS5_5ELb0ES3_mN6thrust23THRUST_200600_302600_NS6detail15normal_iteratorINSA_10device_ptrIiEEEEPS6_NSA_18transform_iteratorINSB_9not_fun_tI7is_trueIiEEENSC_INSD_IbEEEENSA_11use_defaultESO_EENS0_5tupleIJNSA_16discard_iteratorISO_EES6_EEENSQ_IJSG_SG_EEES6_PlJS6_EEE10hipError_tPvRmT3_T4_T5_T6_T7_T9_mT8_P12ihipStream_tbDpT10_ENKUlT_T0_E_clISt17integral_constantIbLb0EES1E_IbLb1EEEEDaS1A_S1B_EUlS1A_E_NS1_11comp_targetILNS1_3genE2ELNS1_11target_archE906ELNS1_3gpuE6ELNS1_3repE0EEENS1_30default_config_static_selectorELNS0_4arch9wavefront6targetE0EEEvT1_, .Lfunc_end2809-_ZN7rocprim17ROCPRIM_400000_NS6detail17trampoline_kernelINS0_14default_configENS1_25partition_config_selectorILNS1_17partition_subalgoE5EiNS0_10empty_typeEbEEZZNS1_14partition_implILS5_5ELb0ES3_mN6thrust23THRUST_200600_302600_NS6detail15normal_iteratorINSA_10device_ptrIiEEEEPS6_NSA_18transform_iteratorINSB_9not_fun_tI7is_trueIiEEENSC_INSD_IbEEEENSA_11use_defaultESO_EENS0_5tupleIJNSA_16discard_iteratorISO_EES6_EEENSQ_IJSG_SG_EEES6_PlJS6_EEE10hipError_tPvRmT3_T4_T5_T6_T7_T9_mT8_P12ihipStream_tbDpT10_ENKUlT_T0_E_clISt17integral_constantIbLb0EES1E_IbLb1EEEEDaS1A_S1B_EUlS1A_E_NS1_11comp_targetILNS1_3genE2ELNS1_11target_archE906ELNS1_3gpuE6ELNS1_3repE0EEENS1_30default_config_static_selectorELNS0_4arch9wavefront6targetE0EEEvT1_
                                        ; -- End function
	.set _ZN7rocprim17ROCPRIM_400000_NS6detail17trampoline_kernelINS0_14default_configENS1_25partition_config_selectorILNS1_17partition_subalgoE5EiNS0_10empty_typeEbEEZZNS1_14partition_implILS5_5ELb0ES3_mN6thrust23THRUST_200600_302600_NS6detail15normal_iteratorINSA_10device_ptrIiEEEEPS6_NSA_18transform_iteratorINSB_9not_fun_tI7is_trueIiEEENSC_INSD_IbEEEENSA_11use_defaultESO_EENS0_5tupleIJNSA_16discard_iteratorISO_EES6_EEENSQ_IJSG_SG_EEES6_PlJS6_EEE10hipError_tPvRmT3_T4_T5_T6_T7_T9_mT8_P12ihipStream_tbDpT10_ENKUlT_T0_E_clISt17integral_constantIbLb0EES1E_IbLb1EEEEDaS1A_S1B_EUlS1A_E_NS1_11comp_targetILNS1_3genE2ELNS1_11target_archE906ELNS1_3gpuE6ELNS1_3repE0EEENS1_30default_config_static_selectorELNS0_4arch9wavefront6targetE0EEEvT1_.num_vgpr, 0
	.set _ZN7rocprim17ROCPRIM_400000_NS6detail17trampoline_kernelINS0_14default_configENS1_25partition_config_selectorILNS1_17partition_subalgoE5EiNS0_10empty_typeEbEEZZNS1_14partition_implILS5_5ELb0ES3_mN6thrust23THRUST_200600_302600_NS6detail15normal_iteratorINSA_10device_ptrIiEEEEPS6_NSA_18transform_iteratorINSB_9not_fun_tI7is_trueIiEEENSC_INSD_IbEEEENSA_11use_defaultESO_EENS0_5tupleIJNSA_16discard_iteratorISO_EES6_EEENSQ_IJSG_SG_EEES6_PlJS6_EEE10hipError_tPvRmT3_T4_T5_T6_T7_T9_mT8_P12ihipStream_tbDpT10_ENKUlT_T0_E_clISt17integral_constantIbLb0EES1E_IbLb1EEEEDaS1A_S1B_EUlS1A_E_NS1_11comp_targetILNS1_3genE2ELNS1_11target_archE906ELNS1_3gpuE6ELNS1_3repE0EEENS1_30default_config_static_selectorELNS0_4arch9wavefront6targetE0EEEvT1_.num_agpr, 0
	.set _ZN7rocprim17ROCPRIM_400000_NS6detail17trampoline_kernelINS0_14default_configENS1_25partition_config_selectorILNS1_17partition_subalgoE5EiNS0_10empty_typeEbEEZZNS1_14partition_implILS5_5ELb0ES3_mN6thrust23THRUST_200600_302600_NS6detail15normal_iteratorINSA_10device_ptrIiEEEEPS6_NSA_18transform_iteratorINSB_9not_fun_tI7is_trueIiEEENSC_INSD_IbEEEENSA_11use_defaultESO_EENS0_5tupleIJNSA_16discard_iteratorISO_EES6_EEENSQ_IJSG_SG_EEES6_PlJS6_EEE10hipError_tPvRmT3_T4_T5_T6_T7_T9_mT8_P12ihipStream_tbDpT10_ENKUlT_T0_E_clISt17integral_constantIbLb0EES1E_IbLb1EEEEDaS1A_S1B_EUlS1A_E_NS1_11comp_targetILNS1_3genE2ELNS1_11target_archE906ELNS1_3gpuE6ELNS1_3repE0EEENS1_30default_config_static_selectorELNS0_4arch9wavefront6targetE0EEEvT1_.numbered_sgpr, 0
	.set _ZN7rocprim17ROCPRIM_400000_NS6detail17trampoline_kernelINS0_14default_configENS1_25partition_config_selectorILNS1_17partition_subalgoE5EiNS0_10empty_typeEbEEZZNS1_14partition_implILS5_5ELb0ES3_mN6thrust23THRUST_200600_302600_NS6detail15normal_iteratorINSA_10device_ptrIiEEEEPS6_NSA_18transform_iteratorINSB_9not_fun_tI7is_trueIiEEENSC_INSD_IbEEEENSA_11use_defaultESO_EENS0_5tupleIJNSA_16discard_iteratorISO_EES6_EEENSQ_IJSG_SG_EEES6_PlJS6_EEE10hipError_tPvRmT3_T4_T5_T6_T7_T9_mT8_P12ihipStream_tbDpT10_ENKUlT_T0_E_clISt17integral_constantIbLb0EES1E_IbLb1EEEEDaS1A_S1B_EUlS1A_E_NS1_11comp_targetILNS1_3genE2ELNS1_11target_archE906ELNS1_3gpuE6ELNS1_3repE0EEENS1_30default_config_static_selectorELNS0_4arch9wavefront6targetE0EEEvT1_.num_named_barrier, 0
	.set _ZN7rocprim17ROCPRIM_400000_NS6detail17trampoline_kernelINS0_14default_configENS1_25partition_config_selectorILNS1_17partition_subalgoE5EiNS0_10empty_typeEbEEZZNS1_14partition_implILS5_5ELb0ES3_mN6thrust23THRUST_200600_302600_NS6detail15normal_iteratorINSA_10device_ptrIiEEEEPS6_NSA_18transform_iteratorINSB_9not_fun_tI7is_trueIiEEENSC_INSD_IbEEEENSA_11use_defaultESO_EENS0_5tupleIJNSA_16discard_iteratorISO_EES6_EEENSQ_IJSG_SG_EEES6_PlJS6_EEE10hipError_tPvRmT3_T4_T5_T6_T7_T9_mT8_P12ihipStream_tbDpT10_ENKUlT_T0_E_clISt17integral_constantIbLb0EES1E_IbLb1EEEEDaS1A_S1B_EUlS1A_E_NS1_11comp_targetILNS1_3genE2ELNS1_11target_archE906ELNS1_3gpuE6ELNS1_3repE0EEENS1_30default_config_static_selectorELNS0_4arch9wavefront6targetE0EEEvT1_.private_seg_size, 0
	.set _ZN7rocprim17ROCPRIM_400000_NS6detail17trampoline_kernelINS0_14default_configENS1_25partition_config_selectorILNS1_17partition_subalgoE5EiNS0_10empty_typeEbEEZZNS1_14partition_implILS5_5ELb0ES3_mN6thrust23THRUST_200600_302600_NS6detail15normal_iteratorINSA_10device_ptrIiEEEEPS6_NSA_18transform_iteratorINSB_9not_fun_tI7is_trueIiEEENSC_INSD_IbEEEENSA_11use_defaultESO_EENS0_5tupleIJNSA_16discard_iteratorISO_EES6_EEENSQ_IJSG_SG_EEES6_PlJS6_EEE10hipError_tPvRmT3_T4_T5_T6_T7_T9_mT8_P12ihipStream_tbDpT10_ENKUlT_T0_E_clISt17integral_constantIbLb0EES1E_IbLb1EEEEDaS1A_S1B_EUlS1A_E_NS1_11comp_targetILNS1_3genE2ELNS1_11target_archE906ELNS1_3gpuE6ELNS1_3repE0EEENS1_30default_config_static_selectorELNS0_4arch9wavefront6targetE0EEEvT1_.uses_vcc, 0
	.set _ZN7rocprim17ROCPRIM_400000_NS6detail17trampoline_kernelINS0_14default_configENS1_25partition_config_selectorILNS1_17partition_subalgoE5EiNS0_10empty_typeEbEEZZNS1_14partition_implILS5_5ELb0ES3_mN6thrust23THRUST_200600_302600_NS6detail15normal_iteratorINSA_10device_ptrIiEEEEPS6_NSA_18transform_iteratorINSB_9not_fun_tI7is_trueIiEEENSC_INSD_IbEEEENSA_11use_defaultESO_EENS0_5tupleIJNSA_16discard_iteratorISO_EES6_EEENSQ_IJSG_SG_EEES6_PlJS6_EEE10hipError_tPvRmT3_T4_T5_T6_T7_T9_mT8_P12ihipStream_tbDpT10_ENKUlT_T0_E_clISt17integral_constantIbLb0EES1E_IbLb1EEEEDaS1A_S1B_EUlS1A_E_NS1_11comp_targetILNS1_3genE2ELNS1_11target_archE906ELNS1_3gpuE6ELNS1_3repE0EEENS1_30default_config_static_selectorELNS0_4arch9wavefront6targetE0EEEvT1_.uses_flat_scratch, 0
	.set _ZN7rocprim17ROCPRIM_400000_NS6detail17trampoline_kernelINS0_14default_configENS1_25partition_config_selectorILNS1_17partition_subalgoE5EiNS0_10empty_typeEbEEZZNS1_14partition_implILS5_5ELb0ES3_mN6thrust23THRUST_200600_302600_NS6detail15normal_iteratorINSA_10device_ptrIiEEEEPS6_NSA_18transform_iteratorINSB_9not_fun_tI7is_trueIiEEENSC_INSD_IbEEEENSA_11use_defaultESO_EENS0_5tupleIJNSA_16discard_iteratorISO_EES6_EEENSQ_IJSG_SG_EEES6_PlJS6_EEE10hipError_tPvRmT3_T4_T5_T6_T7_T9_mT8_P12ihipStream_tbDpT10_ENKUlT_T0_E_clISt17integral_constantIbLb0EES1E_IbLb1EEEEDaS1A_S1B_EUlS1A_E_NS1_11comp_targetILNS1_3genE2ELNS1_11target_archE906ELNS1_3gpuE6ELNS1_3repE0EEENS1_30default_config_static_selectorELNS0_4arch9wavefront6targetE0EEEvT1_.has_dyn_sized_stack, 0
	.set _ZN7rocprim17ROCPRIM_400000_NS6detail17trampoline_kernelINS0_14default_configENS1_25partition_config_selectorILNS1_17partition_subalgoE5EiNS0_10empty_typeEbEEZZNS1_14partition_implILS5_5ELb0ES3_mN6thrust23THRUST_200600_302600_NS6detail15normal_iteratorINSA_10device_ptrIiEEEEPS6_NSA_18transform_iteratorINSB_9not_fun_tI7is_trueIiEEENSC_INSD_IbEEEENSA_11use_defaultESO_EENS0_5tupleIJNSA_16discard_iteratorISO_EES6_EEENSQ_IJSG_SG_EEES6_PlJS6_EEE10hipError_tPvRmT3_T4_T5_T6_T7_T9_mT8_P12ihipStream_tbDpT10_ENKUlT_T0_E_clISt17integral_constantIbLb0EES1E_IbLb1EEEEDaS1A_S1B_EUlS1A_E_NS1_11comp_targetILNS1_3genE2ELNS1_11target_archE906ELNS1_3gpuE6ELNS1_3repE0EEENS1_30default_config_static_selectorELNS0_4arch9wavefront6targetE0EEEvT1_.has_recursion, 0
	.set _ZN7rocprim17ROCPRIM_400000_NS6detail17trampoline_kernelINS0_14default_configENS1_25partition_config_selectorILNS1_17partition_subalgoE5EiNS0_10empty_typeEbEEZZNS1_14partition_implILS5_5ELb0ES3_mN6thrust23THRUST_200600_302600_NS6detail15normal_iteratorINSA_10device_ptrIiEEEEPS6_NSA_18transform_iteratorINSB_9not_fun_tI7is_trueIiEEENSC_INSD_IbEEEENSA_11use_defaultESO_EENS0_5tupleIJNSA_16discard_iteratorISO_EES6_EEENSQ_IJSG_SG_EEES6_PlJS6_EEE10hipError_tPvRmT3_T4_T5_T6_T7_T9_mT8_P12ihipStream_tbDpT10_ENKUlT_T0_E_clISt17integral_constantIbLb0EES1E_IbLb1EEEEDaS1A_S1B_EUlS1A_E_NS1_11comp_targetILNS1_3genE2ELNS1_11target_archE906ELNS1_3gpuE6ELNS1_3repE0EEENS1_30default_config_static_selectorELNS0_4arch9wavefront6targetE0EEEvT1_.has_indirect_call, 0
	.section	.AMDGPU.csdata,"",@progbits
; Kernel info:
; codeLenInByte = 0
; TotalNumSgprs: 0
; NumVgprs: 0
; ScratchSize: 0
; MemoryBound: 0
; FloatMode: 240
; IeeeMode: 1
; LDSByteSize: 0 bytes/workgroup (compile time only)
; SGPRBlocks: 0
; VGPRBlocks: 0
; NumSGPRsForWavesPerEU: 1
; NumVGPRsForWavesPerEU: 1
; Occupancy: 16
; WaveLimiterHint : 0
; COMPUTE_PGM_RSRC2:SCRATCH_EN: 0
; COMPUTE_PGM_RSRC2:USER_SGPR: 2
; COMPUTE_PGM_RSRC2:TRAP_HANDLER: 0
; COMPUTE_PGM_RSRC2:TGID_X_EN: 1
; COMPUTE_PGM_RSRC2:TGID_Y_EN: 0
; COMPUTE_PGM_RSRC2:TGID_Z_EN: 0
; COMPUTE_PGM_RSRC2:TIDIG_COMP_CNT: 0
	.section	.text._ZN7rocprim17ROCPRIM_400000_NS6detail17trampoline_kernelINS0_14default_configENS1_25partition_config_selectorILNS1_17partition_subalgoE5EiNS0_10empty_typeEbEEZZNS1_14partition_implILS5_5ELb0ES3_mN6thrust23THRUST_200600_302600_NS6detail15normal_iteratorINSA_10device_ptrIiEEEEPS6_NSA_18transform_iteratorINSB_9not_fun_tI7is_trueIiEEENSC_INSD_IbEEEENSA_11use_defaultESO_EENS0_5tupleIJNSA_16discard_iteratorISO_EES6_EEENSQ_IJSG_SG_EEES6_PlJS6_EEE10hipError_tPvRmT3_T4_T5_T6_T7_T9_mT8_P12ihipStream_tbDpT10_ENKUlT_T0_E_clISt17integral_constantIbLb0EES1E_IbLb1EEEEDaS1A_S1B_EUlS1A_E_NS1_11comp_targetILNS1_3genE10ELNS1_11target_archE1200ELNS1_3gpuE4ELNS1_3repE0EEENS1_30default_config_static_selectorELNS0_4arch9wavefront6targetE0EEEvT1_,"axG",@progbits,_ZN7rocprim17ROCPRIM_400000_NS6detail17trampoline_kernelINS0_14default_configENS1_25partition_config_selectorILNS1_17partition_subalgoE5EiNS0_10empty_typeEbEEZZNS1_14partition_implILS5_5ELb0ES3_mN6thrust23THRUST_200600_302600_NS6detail15normal_iteratorINSA_10device_ptrIiEEEEPS6_NSA_18transform_iteratorINSB_9not_fun_tI7is_trueIiEEENSC_INSD_IbEEEENSA_11use_defaultESO_EENS0_5tupleIJNSA_16discard_iteratorISO_EES6_EEENSQ_IJSG_SG_EEES6_PlJS6_EEE10hipError_tPvRmT3_T4_T5_T6_T7_T9_mT8_P12ihipStream_tbDpT10_ENKUlT_T0_E_clISt17integral_constantIbLb0EES1E_IbLb1EEEEDaS1A_S1B_EUlS1A_E_NS1_11comp_targetILNS1_3genE10ELNS1_11target_archE1200ELNS1_3gpuE4ELNS1_3repE0EEENS1_30default_config_static_selectorELNS0_4arch9wavefront6targetE0EEEvT1_,comdat
	.protected	_ZN7rocprim17ROCPRIM_400000_NS6detail17trampoline_kernelINS0_14default_configENS1_25partition_config_selectorILNS1_17partition_subalgoE5EiNS0_10empty_typeEbEEZZNS1_14partition_implILS5_5ELb0ES3_mN6thrust23THRUST_200600_302600_NS6detail15normal_iteratorINSA_10device_ptrIiEEEEPS6_NSA_18transform_iteratorINSB_9not_fun_tI7is_trueIiEEENSC_INSD_IbEEEENSA_11use_defaultESO_EENS0_5tupleIJNSA_16discard_iteratorISO_EES6_EEENSQ_IJSG_SG_EEES6_PlJS6_EEE10hipError_tPvRmT3_T4_T5_T6_T7_T9_mT8_P12ihipStream_tbDpT10_ENKUlT_T0_E_clISt17integral_constantIbLb0EES1E_IbLb1EEEEDaS1A_S1B_EUlS1A_E_NS1_11comp_targetILNS1_3genE10ELNS1_11target_archE1200ELNS1_3gpuE4ELNS1_3repE0EEENS1_30default_config_static_selectorELNS0_4arch9wavefront6targetE0EEEvT1_ ; -- Begin function _ZN7rocprim17ROCPRIM_400000_NS6detail17trampoline_kernelINS0_14default_configENS1_25partition_config_selectorILNS1_17partition_subalgoE5EiNS0_10empty_typeEbEEZZNS1_14partition_implILS5_5ELb0ES3_mN6thrust23THRUST_200600_302600_NS6detail15normal_iteratorINSA_10device_ptrIiEEEEPS6_NSA_18transform_iteratorINSB_9not_fun_tI7is_trueIiEEENSC_INSD_IbEEEENSA_11use_defaultESO_EENS0_5tupleIJNSA_16discard_iteratorISO_EES6_EEENSQ_IJSG_SG_EEES6_PlJS6_EEE10hipError_tPvRmT3_T4_T5_T6_T7_T9_mT8_P12ihipStream_tbDpT10_ENKUlT_T0_E_clISt17integral_constantIbLb0EES1E_IbLb1EEEEDaS1A_S1B_EUlS1A_E_NS1_11comp_targetILNS1_3genE10ELNS1_11target_archE1200ELNS1_3gpuE4ELNS1_3repE0EEENS1_30default_config_static_selectorELNS0_4arch9wavefront6targetE0EEEvT1_
	.globl	_ZN7rocprim17ROCPRIM_400000_NS6detail17trampoline_kernelINS0_14default_configENS1_25partition_config_selectorILNS1_17partition_subalgoE5EiNS0_10empty_typeEbEEZZNS1_14partition_implILS5_5ELb0ES3_mN6thrust23THRUST_200600_302600_NS6detail15normal_iteratorINSA_10device_ptrIiEEEEPS6_NSA_18transform_iteratorINSB_9not_fun_tI7is_trueIiEEENSC_INSD_IbEEEENSA_11use_defaultESO_EENS0_5tupleIJNSA_16discard_iteratorISO_EES6_EEENSQ_IJSG_SG_EEES6_PlJS6_EEE10hipError_tPvRmT3_T4_T5_T6_T7_T9_mT8_P12ihipStream_tbDpT10_ENKUlT_T0_E_clISt17integral_constantIbLb0EES1E_IbLb1EEEEDaS1A_S1B_EUlS1A_E_NS1_11comp_targetILNS1_3genE10ELNS1_11target_archE1200ELNS1_3gpuE4ELNS1_3repE0EEENS1_30default_config_static_selectorELNS0_4arch9wavefront6targetE0EEEvT1_
	.p2align	8
	.type	_ZN7rocprim17ROCPRIM_400000_NS6detail17trampoline_kernelINS0_14default_configENS1_25partition_config_selectorILNS1_17partition_subalgoE5EiNS0_10empty_typeEbEEZZNS1_14partition_implILS5_5ELb0ES3_mN6thrust23THRUST_200600_302600_NS6detail15normal_iteratorINSA_10device_ptrIiEEEEPS6_NSA_18transform_iteratorINSB_9not_fun_tI7is_trueIiEEENSC_INSD_IbEEEENSA_11use_defaultESO_EENS0_5tupleIJNSA_16discard_iteratorISO_EES6_EEENSQ_IJSG_SG_EEES6_PlJS6_EEE10hipError_tPvRmT3_T4_T5_T6_T7_T9_mT8_P12ihipStream_tbDpT10_ENKUlT_T0_E_clISt17integral_constantIbLb0EES1E_IbLb1EEEEDaS1A_S1B_EUlS1A_E_NS1_11comp_targetILNS1_3genE10ELNS1_11target_archE1200ELNS1_3gpuE4ELNS1_3repE0EEENS1_30default_config_static_selectorELNS0_4arch9wavefront6targetE0EEEvT1_,@function
_ZN7rocprim17ROCPRIM_400000_NS6detail17trampoline_kernelINS0_14default_configENS1_25partition_config_selectorILNS1_17partition_subalgoE5EiNS0_10empty_typeEbEEZZNS1_14partition_implILS5_5ELb0ES3_mN6thrust23THRUST_200600_302600_NS6detail15normal_iteratorINSA_10device_ptrIiEEEEPS6_NSA_18transform_iteratorINSB_9not_fun_tI7is_trueIiEEENSC_INSD_IbEEEENSA_11use_defaultESO_EENS0_5tupleIJNSA_16discard_iteratorISO_EES6_EEENSQ_IJSG_SG_EEES6_PlJS6_EEE10hipError_tPvRmT3_T4_T5_T6_T7_T9_mT8_P12ihipStream_tbDpT10_ENKUlT_T0_E_clISt17integral_constantIbLb0EES1E_IbLb1EEEEDaS1A_S1B_EUlS1A_E_NS1_11comp_targetILNS1_3genE10ELNS1_11target_archE1200ELNS1_3gpuE4ELNS1_3repE0EEENS1_30default_config_static_selectorELNS0_4arch9wavefront6targetE0EEEvT1_: ; @_ZN7rocprim17ROCPRIM_400000_NS6detail17trampoline_kernelINS0_14default_configENS1_25partition_config_selectorILNS1_17partition_subalgoE5EiNS0_10empty_typeEbEEZZNS1_14partition_implILS5_5ELb0ES3_mN6thrust23THRUST_200600_302600_NS6detail15normal_iteratorINSA_10device_ptrIiEEEEPS6_NSA_18transform_iteratorINSB_9not_fun_tI7is_trueIiEEENSC_INSD_IbEEEENSA_11use_defaultESO_EENS0_5tupleIJNSA_16discard_iteratorISO_EES6_EEENSQ_IJSG_SG_EEES6_PlJS6_EEE10hipError_tPvRmT3_T4_T5_T6_T7_T9_mT8_P12ihipStream_tbDpT10_ENKUlT_T0_E_clISt17integral_constantIbLb0EES1E_IbLb1EEEEDaS1A_S1B_EUlS1A_E_NS1_11comp_targetILNS1_3genE10ELNS1_11target_archE1200ELNS1_3gpuE4ELNS1_3repE0EEENS1_30default_config_static_selectorELNS0_4arch9wavefront6targetE0EEEvT1_
; %bb.0:
	s_clause 0x2
	s_load_b64 s[16:17], s[0:1], 0x60
	s_load_b128 s[4:7], s[0:1], 0x50
	s_load_b64 s[12:13], s[0:1], 0x70
	v_cmp_eq_u32_e64 s2, 0, v0
	s_and_saveexec_b32 s3, s2
	s_cbranch_execz .LBB2810_4
; %bb.1:
	s_mov_b32 s9, exec_lo
	s_mov_b32 s8, exec_lo
	v_mbcnt_lo_u32_b32 v1, s9, 0
                                        ; implicit-def: $vgpr2
	s_delay_alu instid0(VALU_DEP_1)
	v_cmpx_eq_u32_e32 0, v1
	s_cbranch_execz .LBB2810_3
; %bb.2:
	s_load_b64 s[10:11], s[0:1], 0x80
	s_bcnt1_i32_b32 s9, s9
	s_wait_alu 0xfffe
	v_dual_mov_b32 v2, 0 :: v_dual_mov_b32 v3, s9
	s_wait_kmcnt 0x0
	global_atomic_add_u32 v2, v2, v3, s[10:11] th:TH_ATOMIC_RETURN scope:SCOPE_DEV
.LBB2810_3:
	s_or_b32 exec_lo, exec_lo, s8
	s_wait_loadcnt 0x0
	v_readfirstlane_b32 s8, v2
	s_wait_alu 0xf1ff
	s_delay_alu instid0(VALU_DEP_1)
	v_dual_mov_b32 v2, 0 :: v_dual_add_nc_u32 v1, s8, v1
	ds_store_b32 v2, v1
.LBB2810_4:
	s_or_b32 exec_lo, exec_lo, s3
	v_dual_mov_b32 v1, 0 :: v_dual_add_nc_u32 v24, 0x180, v0
	s_clause 0x2
	s_load_b128 s[8:11], s[0:1], 0x8
	s_load_b64 s[14:15], s[0:1], 0x20
	s_load_b32 s0, s[0:1], 0x78
	s_wait_dscnt 0x0
	s_barrier_signal -1
	s_barrier_wait -1
	global_inv scope:SCOPE_SE
	ds_load_b32 v2, v1
	s_wait_loadcnt_dscnt 0x0
	s_barrier_signal -1
	s_barrier_wait -1
	global_inv scope:SCOPE_SE
	s_wait_kmcnt 0x0
	global_load_b64 v[9:10], v1, s[6:7]
	v_lshlrev_b32_e32 v11, 2, v0
	v_lshrrev_b32_e32 v12, 3, v0
	v_add_nc_u32_e32 v25, 0xc0, v0
	v_add_nc_u32_e32 v23, 0x240, v0
	v_or_b32_e32 v22, 0x300, v0
	v_add_nc_u32_e32 v21, 0x3c0, v0
	v_add_nc_u32_e32 v20, 0x480, v0
	s_lshl_b64 s[6:7], s[10:11], 2
	v_add_nc_u32_e32 v19, 0x540, v0
	s_add_nc_u64 s[8:9], s[8:9], s[6:7]
	s_mul_i32 s6, s0, 0x600
	s_mov_b32 s7, 0
	s_add_co_i32 s1, s6, s10
	s_add_co_i32 s20, s0, -1
	v_readfirstlane_b32 s18, v2
	s_sub_co_i32 s3, s16, s1
	s_add_nc_u64 s[0:1], s[10:11], s[6:7]
	s_addk_co_i32 s3, 0x600
	v_cmp_gt_u64_e64 s0, s[16:17], s[0:1]
	s_cmp_eq_u32 s18, s20
	s_mul_i32 s19, s18, 0x600
	s_cselect_b32 s16, -1, 0
	s_cmp_lg_u32 s18, s20
	s_mov_b32 s6, s19
	s_cselect_b32 s17, -1, 0
	s_lshl_b64 s[20:21], s[6:7], 2
	s_wait_alu 0xfffe
	s_or_b32 s17, s0, s17
	s_mov_b32 s1, -1
	s_wait_alu 0xfffe
	s_and_b32 vcc_lo, exec_lo, s17
	s_add_nc_u64 s[8:9], s[8:9], s[20:21]
	s_cbranch_vccz .LBB2810_6
; %bb.5:
	s_wait_alu 0xfffe
	v_add_co_u32 v1, s0, s8, v11
	s_wait_alu 0xf1ff
	v_add_co_ci_u32_e64 v2, null, s9, 0, s0
	v_lshrrev_b32_e32 v14, 3, v25
	v_lshrrev_b32_e32 v15, 3, v24
	;; [unrolled: 1-line block ×3, first 2 shown]
	s_clause 0x7
	flat_load_b32 v3, v[1:2]
	flat_load_b32 v4, v[1:2] offset:768
	flat_load_b32 v5, v[1:2] offset:1536
	;; [unrolled: 1-line block ×7, first 2 shown]
	v_lshrrev_b32_e32 v17, 3, v22
	v_and_b32_e32 v2, 28, v12
	v_lshrrev_b32_e32 v18, 3, v21
	v_lshrrev_b32_e32 v26, 3, v20
	;; [unrolled: 1-line block ×3, first 2 shown]
	v_and_b32_e32 v14, 60, v14
	v_and_b32_e32 v15, 0x7c, v15
	;; [unrolled: 1-line block ×4, first 2 shown]
	v_add_nc_u32_e32 v2, v2, v11
	v_and_b32_e32 v18, 0xfc, v18
	v_and_b32_e32 v26, 0xbc, v26
	;; [unrolled: 1-line block ×3, first 2 shown]
	v_add_nc_u32_e32 v14, v14, v11
	v_add_nc_u32_e32 v15, v15, v11
	;; [unrolled: 1-line block ×4, first 2 shown]
	s_mov_b32 s1, s7
	v_add_nc_u32_e32 v18, v18, v11
	v_add_nc_u32_e32 v26, v26, v11
	;; [unrolled: 1-line block ×3, first 2 shown]
	s_wait_loadcnt_dscnt 0x707
	ds_store_b32 v2, v3
	s_wait_loadcnt_dscnt 0x607
	ds_store_b32 v14, v4 offset:768
	s_wait_loadcnt_dscnt 0x507
	ds_store_b32 v15, v5 offset:1536
	;; [unrolled: 2-line block ×7, first 2 shown]
	s_wait_dscnt 0x0
	s_barrier_signal -1
	s_barrier_wait -1
.LBB2810_6:
	v_cmp_gt_u32_e64 s0, s3, v0
	s_wait_alu 0xfffe
	s_and_not1_b32 vcc_lo, exec_lo, s1
	s_cbranch_vccnz .LBB2810_17
; %bb.7:
	v_mov_b32_e32 v1, 0
	s_delay_alu instid0(VALU_DEP_1)
	v_dual_mov_b32 v2, v1 :: v_dual_mov_b32 v3, v1
	v_dual_mov_b32 v4, v1 :: v_dual_mov_b32 v5, v1
	;; [unrolled: 1-line block ×3, first 2 shown]
	v_mov_b32_e32 v8, v1
	s_and_saveexec_b32 s1, s0
	s_cbranch_execnz .LBB2810_139
; %bb.8:
	s_wait_alu 0xfffe
	s_or_b32 exec_lo, exec_lo, s1
	s_delay_alu instid0(SALU_CYCLE_1)
	s_mov_b32 s0, exec_lo
	v_cmpx_gt_u32_e64 s3, v25
	s_cbranch_execnz .LBB2810_140
.LBB2810_9:
	s_wait_alu 0xfffe
	s_or_b32 exec_lo, exec_lo, s0
	s_delay_alu instid0(SALU_CYCLE_1)
	s_mov_b32 s0, exec_lo
	v_cmpx_gt_u32_e64 s3, v24
	s_cbranch_execnz .LBB2810_141
.LBB2810_10:
	s_wait_alu 0xfffe
	s_or_b32 exec_lo, exec_lo, s0
	s_delay_alu instid0(SALU_CYCLE_1)
	s_mov_b32 s0, exec_lo
	v_cmpx_gt_u32_e64 s3, v23
	s_cbranch_execnz .LBB2810_142
.LBB2810_11:
	s_wait_alu 0xfffe
	s_or_b32 exec_lo, exec_lo, s0
	s_delay_alu instid0(SALU_CYCLE_1)
	s_mov_b32 s0, exec_lo
	v_cmpx_gt_u32_e64 s3, v22
	s_cbranch_execnz .LBB2810_143
.LBB2810_12:
	s_wait_alu 0xfffe
	s_or_b32 exec_lo, exec_lo, s0
	s_delay_alu instid0(SALU_CYCLE_1)
	s_mov_b32 s0, exec_lo
	v_cmpx_gt_u32_e64 s3, v21
	s_cbranch_execnz .LBB2810_144
.LBB2810_13:
	s_wait_alu 0xfffe
	s_or_b32 exec_lo, exec_lo, s0
	s_delay_alu instid0(SALU_CYCLE_1)
	s_mov_b32 s0, exec_lo
	v_cmpx_gt_u32_e64 s3, v20
	s_cbranch_execnz .LBB2810_145
.LBB2810_14:
	s_wait_alu 0xfffe
	s_or_b32 exec_lo, exec_lo, s0
	s_delay_alu instid0(SALU_CYCLE_1)
	s_mov_b32 s0, exec_lo
	v_cmpx_gt_u32_e64 s3, v19
	s_cbranch_execz .LBB2810_16
.LBB2810_15:
	v_add_co_u32 v13, s1, s8, v11
	s_wait_alu 0xf1ff
	v_add_co_ci_u32_e64 v14, null, s9, 0, s1
	flat_load_b32 v8, v[13:14] offset:5376
.LBB2810_16:
	s_wait_alu 0xfffe
	s_or_b32 exec_lo, exec_lo, s0
	v_lshrrev_b32_e32 v13, 3, v25
	v_lshrrev_b32_e32 v14, 3, v24
	;; [unrolled: 1-line block ×4, first 2 shown]
	v_and_b32_e32 v12, 28, v12
	v_lshrrev_b32_e32 v17, 3, v21
	v_lshrrev_b32_e32 v18, 3, v20
	;; [unrolled: 1-line block ×3, first 2 shown]
	v_and_b32_e32 v13, 60, v13
	v_and_b32_e32 v14, 0x7c, v14
	;; [unrolled: 1-line block ×4, first 2 shown]
	v_add_nc_u32_e32 v12, v12, v11
	v_and_b32_e32 v17, 0xfc, v17
	v_and_b32_e32 v18, 0xfc, v18
	;; [unrolled: 1-line block ×3, first 2 shown]
	v_add_nc_u32_e32 v13, v13, v11
	v_add_nc_u32_e32 v14, v14, v11
	;; [unrolled: 1-line block ×7, first 2 shown]
	ds_store_b32 v12, v1
	s_wait_loadcnt_dscnt 0x1
	ds_store_b32 v13, v2 offset:768
	ds_store_b32 v14, v3 offset:1536
	;; [unrolled: 1-line block ×7, first 2 shown]
	s_wait_dscnt 0x0
	s_barrier_signal -1
	s_barrier_wait -1
.LBB2810_17:
	v_and_b32_e32 v1, 0xfc, v0
	s_wait_loadcnt 0x0
	global_inv scope:SCOPE_SE
	v_lshrrev_b32_e32 v29, 5, v0
	s_add_nc_u64 s[0:1], s[14:15], s[10:11]
	s_and_b32 vcc_lo, exec_lo, s17
	v_lshl_add_u32 v1, v0, 5, v1
	s_wait_alu 0xfffe
	s_add_nc_u64 s[0:1], s[0:1], s[6:7]
	s_mov_b32 s6, -1
	ds_load_2addr_b32 v[17:18], v1 offset1:1
	ds_load_2addr_b32 v[15:16], v1 offset0:2 offset1:3
	ds_load_2addr_b32 v[13:14], v1 offset0:4 offset1:5
	;; [unrolled: 1-line block ×3, first 2 shown]
	s_wait_loadcnt_dscnt 0x0
	s_barrier_signal -1
	s_barrier_wait -1
	global_inv scope:SCOPE_SE
	s_cbranch_vccz .LBB2810_19
; %bb.18:
	s_clause 0x7
	global_load_u8 v1, v0, s[0:1]
	global_load_u8 v2, v0, s[0:1] offset:192
	global_load_u8 v3, v0, s[0:1] offset:384
	;; [unrolled: 1-line block ×7, first 2 shown]
	v_lshrrev_b32_e32 v27, 5, v25
	v_lshrrev_b32_e32 v28, 5, v24
	;; [unrolled: 1-line block ×4, first 2 shown]
	v_and_b32_e32 v26, 4, v29
	v_lshrrev_b32_e32 v32, 5, v21
	v_lshrrev_b32_e32 v33, 5, v20
	;; [unrolled: 1-line block ×3, first 2 shown]
	v_and_b32_e32 v27, 12, v27
	v_and_b32_e32 v28, 28, v28
	;; [unrolled: 1-line block ×4, first 2 shown]
	v_add_nc_u32_e32 v26, v26, v0
	v_and_b32_e32 v32, 60, v32
	v_and_b32_e32 v33, 44, v33
	;; [unrolled: 1-line block ×3, first 2 shown]
	v_add_nc_u32_e32 v27, v27, v0
	v_add_nc_u32_e32 v28, v28, v0
	;; [unrolled: 1-line block ×4, first 2 shown]
	s_mov_b32 s6, 0
	v_add_nc_u32_e32 v32, v32, v0
	v_add_nc_u32_e32 v33, v33, v0
	;; [unrolled: 1-line block ×3, first 2 shown]
	s_wait_loadcnt 0x7
	v_xor_b32_e32 v1, 1, v1
	s_wait_loadcnt 0x6
	v_xor_b32_e32 v2, 1, v2
	;; [unrolled: 2-line block ×8, first 2 shown]
	ds_store_b8 v26, v1
	ds_store_b8 v27, v2 offset:192
	ds_store_b8 v28, v3 offset:384
	;; [unrolled: 1-line block ×7, first 2 shown]
	s_wait_dscnt 0x0
	s_barrier_signal -1
	s_barrier_wait -1
.LBB2810_19:
	v_lshlrev_b32_e32 v30, 3, v0
	v_lshrrev_b32_e32 v1, 2, v0
	s_and_not1_b32 vcc_lo, exec_lo, s6
	s_cbranch_vccnz .LBB2810_30
; %bb.20:
	v_mov_b32_e32 v2, 0
	s_mov_b32 s6, exec_lo
	s_delay_alu instid0(VALU_DEP_1)
	v_dual_mov_b32 v3, v2 :: v_dual_mov_b32 v4, v2
	v_cmpx_gt_u32_e64 s3, v0
	s_cbranch_execnz .LBB2810_146
; %bb.21:
	s_or_b32 exec_lo, exec_lo, s6
	s_delay_alu instid0(SALU_CYCLE_1)
	s_mov_b32 s6, exec_lo
	v_cmpx_gt_u32_e64 s3, v25
	s_cbranch_execnz .LBB2810_147
.LBB2810_22:
	s_wait_alu 0xfffe
	s_or_b32 exec_lo, exec_lo, s6
	s_delay_alu instid0(SALU_CYCLE_1)
	s_mov_b32 s6, exec_lo
	v_cmpx_gt_u32_e64 s3, v24
	s_cbranch_execnz .LBB2810_148
.LBB2810_23:
	s_wait_alu 0xfffe
	s_or_b32 exec_lo, exec_lo, s6
	s_delay_alu instid0(SALU_CYCLE_1)
	s_mov_b32 s6, exec_lo
	v_cmpx_gt_u32_e64 s3, v23
	s_cbranch_execnz .LBB2810_149
.LBB2810_24:
	s_wait_alu 0xfffe
	s_or_b32 exec_lo, exec_lo, s6
	s_delay_alu instid0(SALU_CYCLE_1)
	s_mov_b32 s6, exec_lo
	v_cmpx_gt_u32_e64 s3, v22
	s_cbranch_execnz .LBB2810_150
.LBB2810_25:
	s_wait_alu 0xfffe
	s_or_b32 exec_lo, exec_lo, s6
	s_delay_alu instid0(SALU_CYCLE_1)
	s_mov_b32 s6, exec_lo
	v_cmpx_gt_u32_e64 s3, v21
	s_cbranch_execnz .LBB2810_151
.LBB2810_26:
	s_wait_alu 0xfffe
	s_or_b32 exec_lo, exec_lo, s6
	s_delay_alu instid0(SALU_CYCLE_1)
	s_mov_b32 s6, exec_lo
	v_cmpx_gt_u32_e64 s3, v20
	s_cbranch_execnz .LBB2810_152
.LBB2810_27:
	s_wait_alu 0xfffe
	s_or_b32 exec_lo, exec_lo, s6
	v_cmp_gt_u32_e32 vcc_lo, s3, v19
	s_and_saveexec_b32 s3, vcc_lo
	s_cbranch_execz .LBB2810_29
.LBB2810_28:
	global_load_u8 v5, v0, s[0:1] offset:1344
	v_lshrrev_b32_e32 v6, 16, v3
	s_delay_alu instid0(VALU_DEP_1) | instskip(SKIP_2) | instid1(VALU_DEP_1)
	v_and_b32_e32 v6, 0xff, v6
	s_wait_loadcnt 0x0
	v_xor_b32_e32 v5, 1, v5
	v_lshlrev_b16 v5, 8, v5
	s_delay_alu instid0(VALU_DEP_1) | instskip(NEXT) | instid1(VALU_DEP_1)
	v_or_b32_e32 v5, v6, v5
	v_lshlrev_b32_e32 v5, 16, v5
	s_delay_alu instid0(VALU_DEP_1)
	v_and_or_b32 v3, 0xffff, v3, v5
.LBB2810_29:
	s_wait_alu 0xfffe
	s_or_b32 exec_lo, exec_lo, s3
	v_lshrrev_b32_e32 v5, 5, v25
	v_lshrrev_b32_e32 v6, 5, v24
	;; [unrolled: 1-line block ×4, first 2 shown]
	v_and_b32_e32 v7, 4, v29
	v_lshrrev_b32_e32 v21, 5, v21
	v_lshrrev_b32_e32 v20, 5, v20
	v_lshrrev_b32_e32 v19, 5, v19
	v_and_b32_e32 v5, 12, v5
	v_and_b32_e32 v6, 28, v6
	;; [unrolled: 1-line block ×4, first 2 shown]
	v_add_nc_u32_e32 v7, v7, v0
	v_and_b32_e32 v21, 60, v21
	v_and_b32_e32 v20, 60, v20
	;; [unrolled: 1-line block ×3, first 2 shown]
	v_lshrrev_b32_e32 v8, 8, v2
	v_add_nc_u32_e32 v5, v5, v0
	v_add_nc_u32_e32 v6, v6, v0
	v_lshrrev_b32_e32 v24, 24, v2
	v_add_nc_u32_e32 v23, v23, v0
	v_add_nc_u32_e32 v22, v22, v0
	v_lshrrev_b32_e32 v25, 8, v3
	v_add_nc_u32_e32 v21, v21, v0
	v_add_nc_u32_e32 v20, v20, v0
	v_lshrrev_b32_e32 v26, 24, v3
	v_add_nc_u32_e32 v19, v19, v0
	ds_store_b8 v7, v4
	ds_store_b8 v5, v8 offset:192
	ds_store_b8_d16_hi v6, v2 offset:384
	ds_store_b8 v23, v24 offset:576
	ds_store_b8 v22, v3 offset:768
	ds_store_b8 v21, v25 offset:960
	ds_store_b8_d16_hi v20, v3 offset:1152
	ds_store_b8 v19, v26 offset:1344
	s_wait_loadcnt_dscnt 0x0
	s_barrier_signal -1
	s_barrier_wait -1
.LBB2810_30:
	s_delay_alu instid0(VALU_DEP_1)
	v_dual_mov_b32 v2, 0 :: v_dual_and_b32 v1, 60, v1
	s_wait_loadcnt 0x0
	global_inv scope:SCOPE_SE
	v_mbcnt_lo_u32_b32 v39, -1, 0
	s_cmp_lg_u32 s18, 0
	v_add_nc_u32_e32 v1, v1, v30
	s_mov_b32 s1, -1
	s_delay_alu instid0(VALU_DEP_2)
	v_and_b32_e32 v40, 15, v39
	ds_load_2addr_b32 v[19:20], v1 offset1:1
	s_wait_loadcnt_dscnt 0x0
	s_barrier_signal -1
	s_barrier_wait -1
	global_inv scope:SCOPE_SE
	v_and_b32_e32 v35, 0xff, v19
	v_bfe_u32 v34, v19, 8, 8
	v_bfe_u32 v33, v19, 16, 8
	v_lshrrev_b32_e32 v32, 24, v19
	v_and_b32_e32 v38, 0xff, v20
	v_bfe_u32 v37, v20, 8, 8
	v_bfe_u32 v36, v20, 16, 8
	v_add3_u32 v1, v34, v35, v33
	v_lshrrev_b32_e32 v31, 24, v20
	s_delay_alu instid0(VALU_DEP_2) | instskip(SKIP_3) | instid1(VALU_DEP_3)
	v_add_co_u32 v1, s0, v1, v32
	s_wait_alu 0xf1fe
	v_add_co_ci_u32_e64 v3, null, 0, 0, s0
	v_cmp_ne_u32_e64 s0, 0, v40
	v_add_co_u32 v1, vcc_lo, v1, v38
	s_delay_alu instid0(VALU_DEP_1) | instskip(NEXT) | instid1(VALU_DEP_2)
	v_add_co_ci_u32_e64 v3, null, 0, v3, vcc_lo
	v_add_co_u32 v1, vcc_lo, v1, v37
	s_wait_alu 0xfffd
	s_delay_alu instid0(VALU_DEP_2) | instskip(NEXT) | instid1(VALU_DEP_2)
	v_add_co_ci_u32_e64 v3, null, 0, v3, vcc_lo
	v_add_co_u32 v1, vcc_lo, v1, v36
	s_wait_alu 0xfffd
	s_delay_alu instid0(VALU_DEP_2) | instskip(NEXT) | instid1(VALU_DEP_2)
	v_add_co_ci_u32_e64 v3, null, 0, v3, vcc_lo
	v_add_co_u32 v21, vcc_lo, v1, v31
	s_wait_alu 0xfffd
	s_delay_alu instid0(VALU_DEP_2)
	v_add_co_ci_u32_e64 v22, null, 0, v3, vcc_lo
	s_cbranch_scc0 .LBB2810_87
; %bb.31:
	v_mov_b32_e32 v3, v21
	v_mov_b32_dpp v1, v21 row_shr:1 row_mask:0xf bank_mask:0xf
	v_mov_b32_dpp v6, v2 row_shr:1 row_mask:0xf bank_mask:0xf
	v_dual_mov_b32 v5, v21 :: v_dual_mov_b32 v4, v22
	s_and_saveexec_b32 s1, s0
; %bb.32:
	s_delay_alu instid0(VALU_DEP_3) | instskip(SKIP_2) | instid1(VALU_DEP_2)
	v_add_co_u32 v5, vcc_lo, v21, v1
	s_wait_alu 0xfffd
	v_add_co_ci_u32_e64 v2, null, 0, v22, vcc_lo
	v_add_co_u32 v1, vcc_lo, 0, v5
	s_wait_alu 0xfffd
	s_delay_alu instid0(VALU_DEP_2) | instskip(NEXT) | instid1(VALU_DEP_1)
	v_add_co_ci_u32_e64 v2, null, v6, v2, vcc_lo
	v_dual_mov_b32 v4, v2 :: v_dual_mov_b32 v3, v1
; %bb.33:
	s_wait_alu 0xfffe
	s_or_b32 exec_lo, exec_lo, s1
	v_mov_b32_dpp v1, v5 row_shr:2 row_mask:0xf bank_mask:0xf
	v_mov_b32_dpp v6, v2 row_shr:2 row_mask:0xf bank_mask:0xf
	s_mov_b32 s1, exec_lo
	v_cmpx_lt_u32_e32 1, v40
; %bb.34:
	s_delay_alu instid0(VALU_DEP_3) | instskip(SKIP_2) | instid1(VALU_DEP_2)
	v_add_co_u32 v5, vcc_lo, v3, v1
	s_wait_alu 0xfffd
	v_add_co_ci_u32_e64 v2, null, 0, v4, vcc_lo
	v_add_co_u32 v1, vcc_lo, 0, v5
	s_wait_alu 0xfffd
	s_delay_alu instid0(VALU_DEP_2) | instskip(NEXT) | instid1(VALU_DEP_1)
	v_add_co_ci_u32_e64 v2, null, v6, v2, vcc_lo
	v_dual_mov_b32 v4, v2 :: v_dual_mov_b32 v3, v1
; %bb.35:
	s_wait_alu 0xfffe
	s_or_b32 exec_lo, exec_lo, s1
	v_mov_b32_dpp v1, v5 row_shr:4 row_mask:0xf bank_mask:0xf
	v_mov_b32_dpp v6, v2 row_shr:4 row_mask:0xf bank_mask:0xf
	s_mov_b32 s1, exec_lo
	v_cmpx_lt_u32_e32 3, v40
	;; [unrolled: 17-line block ×3, first 2 shown]
; %bb.38:
	s_delay_alu instid0(VALU_DEP_3) | instskip(SKIP_2) | instid1(VALU_DEP_2)
	v_add_co_u32 v5, vcc_lo, v3, v6
	s_wait_alu 0xfffd
	v_add_co_ci_u32_e64 v2, null, 0, v4, vcc_lo
	v_add_co_u32 v3, vcc_lo, 0, v5
	s_wait_alu 0xfffd
	s_delay_alu instid0(VALU_DEP_2) | instskip(NEXT) | instid1(VALU_DEP_1)
	v_add_co_ci_u32_e64 v4, null, v1, v2, vcc_lo
	v_mov_b32_e32 v2, v4
; %bb.39:
	s_wait_alu 0xfffe
	s_or_b32 exec_lo, exec_lo, s1
	ds_swizzle_b32 v6, v5 offset:swizzle(BROADCAST,32,15)
	ds_swizzle_b32 v1, v2 offset:swizzle(BROADCAST,32,15)
	v_and_b32_e32 v2, 16, v39
	s_mov_b32 s1, exec_lo
	s_delay_alu instid0(VALU_DEP_1)
	v_cmpx_ne_u32_e32 0, v2
	s_cbranch_execz .LBB2810_41
; %bb.40:
	s_wait_dscnt 0x1
	v_add_co_u32 v5, vcc_lo, v3, v6
	s_wait_alu 0xfffd
	v_add_co_ci_u32_e64 v2, null, 0, v4, vcc_lo
	s_delay_alu instid0(VALU_DEP_2) | instskip(SKIP_2) | instid1(VALU_DEP_2)
	v_add_co_u32 v3, vcc_lo, 0, v5
	s_wait_dscnt 0x0
	s_wait_alu 0xfffd
	v_add_co_ci_u32_e64 v4, null, v1, v2, vcc_lo
.LBB2810_41:
	s_wait_alu 0xfffe
	s_or_b32 exec_lo, exec_lo, s1
	s_wait_dscnt 0x0
	v_and_b32_e32 v1, 0xe0, v0
	s_mov_b32 s1, exec_lo
	s_delay_alu instid0(VALU_DEP_1) | instskip(NEXT) | instid1(VALU_DEP_1)
	v_min_u32_e32 v1, 0xa0, v1
	v_or_b32_e32 v1, 31, v1
	s_delay_alu instid0(VALU_DEP_1)
	v_cmpx_eq_u32_e64 v0, v1
; %bb.42:
	v_lshlrev_b32_e32 v1, 3, v29
	ds_store_b64 v1, v[3:4]
; %bb.43:
	s_wait_alu 0xfffe
	s_or_b32 exec_lo, exec_lo, s1
	s_delay_alu instid0(SALU_CYCLE_1)
	s_mov_b32 s1, exec_lo
	s_wait_loadcnt_dscnt 0x0
	s_barrier_signal -1
	s_barrier_wait -1
	global_inv scope:SCOPE_SE
	v_cmpx_gt_u32_e32 6, v0
	s_cbranch_execz .LBB2810_51
; %bb.44:
	ds_load_b64 v[1:2], v30
	v_and_b32_e32 v3, 7, v39
	s_mov_b32 s3, exec_lo
	s_wait_dscnt 0x0
	v_mov_b32_dpp v7, v1 row_shr:1 row_mask:0xf bank_mask:0xf
	v_mov_b32_dpp v6, v2 row_shr:1 row_mask:0xf bank_mask:0xf
	v_mov_b32_e32 v4, v1
	v_cmpx_ne_u32_e32 0, v3
; %bb.45:
	s_delay_alu instid0(VALU_DEP_4) | instskip(SKIP_2) | instid1(VALU_DEP_2)
	v_add_co_u32 v4, vcc_lo, v1, v7
	s_wait_alu 0xfffd
	v_add_co_ci_u32_e64 v2, null, 0, v2, vcc_lo
	v_add_co_u32 v1, vcc_lo, 0, v4
	s_wait_alu 0xfffd
	s_delay_alu instid0(VALU_DEP_2)
	v_add_co_ci_u32_e64 v2, null, v6, v2, vcc_lo
; %bb.46:
	s_wait_alu 0xfffe
	s_or_b32 exec_lo, exec_lo, s3
	v_mov_b32_dpp v7, v4 row_shr:2 row_mask:0xf bank_mask:0xf
	s_delay_alu instid0(VALU_DEP_2)
	v_mov_b32_dpp v6, v2 row_shr:2 row_mask:0xf bank_mask:0xf
	s_mov_b32 s3, exec_lo
	v_cmpx_lt_u32_e32 1, v3
; %bb.47:
	s_delay_alu instid0(VALU_DEP_3) | instskip(SKIP_2) | instid1(VALU_DEP_2)
	v_add_co_u32 v4, vcc_lo, v1, v7
	s_wait_alu 0xfffd
	v_add_co_ci_u32_e64 v2, null, 0, v2, vcc_lo
	v_add_co_u32 v1, vcc_lo, 0, v4
	s_wait_alu 0xfffd
	s_delay_alu instid0(VALU_DEP_2)
	v_add_co_ci_u32_e64 v2, null, v6, v2, vcc_lo
; %bb.48:
	s_wait_alu 0xfffe
	s_or_b32 exec_lo, exec_lo, s3
	v_mov_b32_dpp v6, v4 row_shr:4 row_mask:0xf bank_mask:0xf
	s_delay_alu instid0(VALU_DEP_2)
	v_mov_b32_dpp v4, v2 row_shr:4 row_mask:0xf bank_mask:0xf
	s_mov_b32 s3, exec_lo
	v_cmpx_lt_u32_e32 3, v3
; %bb.49:
	s_delay_alu instid0(VALU_DEP_3) | instskip(SKIP_2) | instid1(VALU_DEP_2)
	v_add_co_u32 v1, vcc_lo, v1, v6
	s_wait_alu 0xfffd
	v_add_co_ci_u32_e64 v2, null, 0, v2, vcc_lo
	v_add_co_u32 v1, vcc_lo, v1, 0
	s_wait_alu 0xfffd
	s_delay_alu instid0(VALU_DEP_2)
	v_add_co_ci_u32_e64 v2, null, v2, v4, vcc_lo
; %bb.50:
	s_wait_alu 0xfffe
	s_or_b32 exec_lo, exec_lo, s3
	ds_store_b64 v30, v[1:2]
.LBB2810_51:
	s_wait_alu 0xfffe
	s_or_b32 exec_lo, exec_lo, s1
	s_delay_alu instid0(SALU_CYCLE_1)
	s_mov_b32 s3, exec_lo
	v_cmp_gt_u32_e32 vcc_lo, 32, v0
	s_wait_loadcnt_dscnt 0x0
	s_barrier_signal -1
	s_barrier_wait -1
	global_inv scope:SCOPE_SE
                                        ; implicit-def: $vgpr23_vgpr24
	v_cmpx_lt_u32_e32 31, v0
	s_cbranch_execz .LBB2810_53
; %bb.52:
	v_lshl_add_u32 v1, v29, 3, -8
	ds_load_b64 v[23:24], v1
	s_wait_dscnt 0x0
	v_add_nc_u32_e32 v5, v5, v23
.LBB2810_53:
	s_wait_alu 0xfffe
	s_or_b32 exec_lo, exec_lo, s3
	v_sub_co_u32 v1, s1, v39, 1
	s_delay_alu instid0(VALU_DEP_1) | instskip(SKIP_1) | instid1(VALU_DEP_1)
	v_cmp_gt_i32_e64 s3, 0, v1
	s_wait_alu 0xf1ff
	v_cndmask_b32_e64 v1, v1, v39, s3
	s_delay_alu instid0(VALU_DEP_1)
	v_lshlrev_b32_e32 v1, 2, v1
	ds_bpermute_b32 v41, v1, v5
	s_and_saveexec_b32 s3, vcc_lo
	s_cbranch_execz .LBB2810_92
; %bb.54:
	v_mov_b32_e32 v4, 0
	ds_load_b64 v[1:2], v4 offset:40
	s_and_saveexec_b32 s6, s1
	s_cbranch_execz .LBB2810_56
; %bb.55:
	s_add_co_i32 s8, s18, 32
	s_mov_b32 s9, 0
	s_wait_alu 0xfffe
	s_lshl_b64 s[8:9], s[8:9], 4
	s_wait_alu 0xfffe
	s_add_nc_u64 s[8:9], s[12:13], s[8:9]
	v_mov_b32_e32 v3, 1
	s_wait_alu 0xfffe
	v_dual_mov_b32 v5, s8 :: v_dual_mov_b32 v6, s9
	s_wait_dscnt 0x0
	;;#ASMSTART
	global_store_b128 v[5:6], v[1:4] off scope:SCOPE_DEV	
s_wait_storecnt 0x0
	;;#ASMEND
.LBB2810_56:
	s_wait_alu 0xfffe
	s_or_b32 exec_lo, exec_lo, s6
	v_xad_u32 v25, v39, -1, s18
	s_mov_b32 s6, exec_lo
	s_delay_alu instid0(VALU_DEP_1) | instskip(NEXT) | instid1(VALU_DEP_1)
	v_add_nc_u32_e32 v3, 32, v25
	v_lshlrev_b64_e32 v[3:4], 4, v[3:4]
	s_delay_alu instid0(VALU_DEP_1) | instskip(SKIP_1) | instid1(VALU_DEP_2)
	v_add_co_u32 v3, vcc_lo, s12, v3
	s_wait_alu 0xfffd
	v_add_co_ci_u32_e64 v4, null, s13, v4, vcc_lo
	;;#ASMSTART
	global_load_b128 v[5:8], v[3:4] off scope:SCOPE_DEV	
s_wait_loadcnt 0x0
	;;#ASMEND
	v_and_b32_e32 v8, 0xff, v7
	s_delay_alu instid0(VALU_DEP_1)
	v_cmpx_eq_u16_e32 0, v8
	s_cbranch_execz .LBB2810_59
.LBB2810_57:                            ; =>This Inner Loop Header: Depth=1
	;;#ASMSTART
	global_load_b128 v[5:8], v[3:4] off scope:SCOPE_DEV	
s_wait_loadcnt 0x0
	;;#ASMEND
	v_and_b32_e32 v8, 0xff, v7
	s_delay_alu instid0(VALU_DEP_1)
	v_cmp_ne_u16_e32 vcc_lo, 0, v8
	s_or_b32 s7, vcc_lo, s7
	s_wait_alu 0xfffe
	s_and_not1_b32 exec_lo, exec_lo, s7
	s_cbranch_execnz .LBB2810_57
; %bb.58:
	s_or_b32 exec_lo, exec_lo, s7
.LBB2810_59:
	s_wait_alu 0xfffe
	s_or_b32 exec_lo, exec_lo, s6
	v_cmp_ne_u32_e32 vcc_lo, 31, v39
	v_and_b32_e32 v4, 0xff, v7
	v_lshlrev_b32_e64 v43, v39, -1
	s_mov_b32 s6, exec_lo
	s_wait_alu 0xfffd
	v_add_co_ci_u32_e64 v3, null, 0, v39, vcc_lo
	v_cmp_eq_u16_e32 vcc_lo, 2, v4
	v_mov_b32_e32 v4, v5
	s_delay_alu instid0(VALU_DEP_3)
	v_lshlrev_b32_e32 v42, 2, v3
	s_wait_alu 0xfffd
	v_and_or_b32 v3, vcc_lo, v43, 0x80000000
	ds_bpermute_b32 v26, v42, v5
	ds_bpermute_b32 v8, v42, v6
	v_ctz_i32_b32_e32 v3, v3
	s_delay_alu instid0(VALU_DEP_1)
	v_cmpx_lt_u32_e64 v39, v3
	s_cbranch_execz .LBB2810_61
; %bb.60:
	s_wait_dscnt 0x1
	v_add_co_u32 v4, vcc_lo, v5, v26
	s_wait_alu 0xfffd
	v_add_co_ci_u32_e64 v6, null, 0, v6, vcc_lo
	s_delay_alu instid0(VALU_DEP_2) | instskip(SKIP_2) | instid1(VALU_DEP_2)
	v_add_co_u32 v5, vcc_lo, 0, v4
	s_wait_dscnt 0x0
	s_wait_alu 0xfffd
	v_add_co_ci_u32_e64 v6, null, v8, v6, vcc_lo
.LBB2810_61:
	s_wait_alu 0xfffe
	s_or_b32 exec_lo, exec_lo, s6
	v_cmp_gt_u32_e32 vcc_lo, 30, v39
	v_add_nc_u32_e32 v45, 2, v39
	s_mov_b32 s6, exec_lo
	s_wait_dscnt 0x0
	s_wait_alu 0xfffd
	v_cndmask_b32_e64 v8, 0, 2, vcc_lo
	s_delay_alu instid0(VALU_DEP_1)
	v_add_lshl_u32 v44, v8, v39, 2
	ds_bpermute_b32 v26, v44, v4
	ds_bpermute_b32 v8, v44, v6
	v_cmpx_le_u32_e64 v45, v3
	s_cbranch_execz .LBB2810_63
; %bb.62:
	s_wait_dscnt 0x1
	v_add_co_u32 v4, vcc_lo, v5, v26
	s_wait_alu 0xfffd
	v_add_co_ci_u32_e64 v6, null, 0, v6, vcc_lo
	s_delay_alu instid0(VALU_DEP_2) | instskip(SKIP_2) | instid1(VALU_DEP_2)
	v_add_co_u32 v5, vcc_lo, 0, v4
	s_wait_dscnt 0x0
	s_wait_alu 0xfffd
	v_add_co_ci_u32_e64 v6, null, v8, v6, vcc_lo
.LBB2810_63:
	s_wait_alu 0xfffe
	s_or_b32 exec_lo, exec_lo, s6
	v_cmp_gt_u32_e32 vcc_lo, 28, v39
	v_add_nc_u32_e32 v47, 4, v39
	s_mov_b32 s6, exec_lo
	s_wait_dscnt 0x0
	s_wait_alu 0xfffd
	v_cndmask_b32_e64 v8, 0, 4, vcc_lo
	s_delay_alu instid0(VALU_DEP_1)
	v_add_lshl_u32 v46, v8, v39, 2
	ds_bpermute_b32 v26, v46, v4
	ds_bpermute_b32 v8, v46, v6
	v_cmpx_le_u32_e64 v47, v3
	;; [unrolled: 25-line block ×3, first 2 shown]
	s_cbranch_execz .LBB2810_67
; %bb.66:
	s_wait_dscnt 0x1
	v_add_co_u32 v4, vcc_lo, v5, v26
	s_wait_alu 0xfffd
	v_add_co_ci_u32_e64 v6, null, 0, v6, vcc_lo
	s_delay_alu instid0(VALU_DEP_2) | instskip(SKIP_2) | instid1(VALU_DEP_2)
	v_add_co_u32 v5, vcc_lo, 0, v4
	s_wait_dscnt 0x0
	s_wait_alu 0xfffd
	v_add_co_ci_u32_e64 v6, null, v8, v6, vcc_lo
.LBB2810_67:
	s_wait_alu 0xfffe
	s_or_b32 exec_lo, exec_lo, s6
	v_lshl_or_b32 v50, v39, 2, 64
	v_add_nc_u32_e32 v51, 16, v39
	s_mov_b32 s6, exec_lo
	s_wait_dscnt 0x0
	ds_bpermute_b32 v8, v50, v4
	ds_bpermute_b32 v4, v50, v6
	v_cmpx_le_u32_e64 v51, v3
	s_cbranch_execz .LBB2810_69
; %bb.68:
	s_wait_dscnt 0x1
	v_add_co_u32 v3, vcc_lo, v5, v8
	s_wait_alu 0xfffd
	v_add_co_ci_u32_e64 v6, null, 0, v6, vcc_lo
	s_delay_alu instid0(VALU_DEP_2) | instskip(SKIP_2) | instid1(VALU_DEP_2)
	v_add_co_u32 v5, vcc_lo, v3, 0
	s_wait_dscnt 0x0
	s_wait_alu 0xfffd
	v_add_co_ci_u32_e64 v6, null, v6, v4, vcc_lo
.LBB2810_69:
	s_wait_alu 0xfffe
	s_or_b32 exec_lo, exec_lo, s6
	v_mov_b32_e32 v26, 0
	s_branch .LBB2810_72
.LBB2810_70:                            ;   in Loop: Header=BB2810_72 Depth=1
	s_wait_alu 0xfffe
	s_or_b32 exec_lo, exec_lo, s6
	v_add_co_u32 v5, vcc_lo, v5, v3
	v_subrev_nc_u32_e32 v25, 32, v25
	s_wait_alu 0xfffd
	v_add_co_ci_u32_e64 v6, null, v6, v4, vcc_lo
	s_mov_b32 s6, 0
.LBB2810_71:                            ;   in Loop: Header=BB2810_72 Depth=1
	s_wait_alu 0xfffe
	s_and_b32 vcc_lo, exec_lo, s6
	s_wait_alu 0xfffe
	s_cbranch_vccnz .LBB2810_88
.LBB2810_72:                            ; =>This Loop Header: Depth=1
                                        ;     Child Loop BB2810_75 Depth 2
	v_and_b32_e32 v3, 0xff, v7
	s_mov_b32 s6, -1
	s_delay_alu instid0(VALU_DEP_1)
	v_cmp_ne_u16_e32 vcc_lo, 2, v3
	s_wait_dscnt 0x0
	v_dual_mov_b32 v3, v5 :: v_dual_mov_b32 v4, v6
                                        ; implicit-def: $vgpr5_vgpr6
	s_cmp_lg_u32 vcc_lo, exec_lo
	s_cbranch_scc1 .LBB2810_71
; %bb.73:                               ;   in Loop: Header=BB2810_72 Depth=1
	v_lshlrev_b64_e32 v[5:6], 4, v[25:26]
	s_mov_b32 s6, exec_lo
	s_delay_alu instid0(VALU_DEP_1) | instskip(SKIP_1) | instid1(VALU_DEP_2)
	v_add_co_u32 v27, vcc_lo, s12, v5
	s_wait_alu 0xfffd
	v_add_co_ci_u32_e64 v28, null, s13, v6, vcc_lo
	;;#ASMSTART
	global_load_b128 v[5:8], v[27:28] off scope:SCOPE_DEV	
s_wait_loadcnt 0x0
	;;#ASMEND
	v_and_b32_e32 v8, 0xff, v7
	s_delay_alu instid0(VALU_DEP_1)
	v_cmpx_eq_u16_e32 0, v8
	s_cbranch_execz .LBB2810_77
; %bb.74:                               ;   in Loop: Header=BB2810_72 Depth=1
	s_mov_b32 s7, 0
.LBB2810_75:                            ;   Parent Loop BB2810_72 Depth=1
                                        ; =>  This Inner Loop Header: Depth=2
	;;#ASMSTART
	global_load_b128 v[5:8], v[27:28] off scope:SCOPE_DEV	
s_wait_loadcnt 0x0
	;;#ASMEND
	v_and_b32_e32 v8, 0xff, v7
	s_delay_alu instid0(VALU_DEP_1)
	v_cmp_ne_u16_e32 vcc_lo, 0, v8
	s_wait_alu 0xfffe
	s_or_b32 s7, vcc_lo, s7
	s_wait_alu 0xfffe
	s_and_not1_b32 exec_lo, exec_lo, s7
	s_cbranch_execnz .LBB2810_75
; %bb.76:                               ;   in Loop: Header=BB2810_72 Depth=1
	s_or_b32 exec_lo, exec_lo, s7
.LBB2810_77:                            ;   in Loop: Header=BB2810_72 Depth=1
	s_wait_alu 0xfffe
	s_or_b32 exec_lo, exec_lo, s6
	v_dual_mov_b32 v27, v5 :: v_dual_and_b32 v8, 0xff, v7
	ds_bpermute_b32 v52, v42, v5
	ds_bpermute_b32 v28, v42, v6
	s_mov_b32 s6, exec_lo
	v_cmp_eq_u16_e32 vcc_lo, 2, v8
	s_wait_alu 0xfffd
	v_and_or_b32 v8, vcc_lo, v43, 0x80000000
	s_delay_alu instid0(VALU_DEP_1) | instskip(NEXT) | instid1(VALU_DEP_1)
	v_ctz_i32_b32_e32 v8, v8
	v_cmpx_lt_u32_e64 v39, v8
	s_cbranch_execz .LBB2810_79
; %bb.78:                               ;   in Loop: Header=BB2810_72 Depth=1
	s_wait_dscnt 0x1
	v_add_co_u32 v27, vcc_lo, v5, v52
	s_wait_alu 0xfffd
	v_add_co_ci_u32_e64 v6, null, 0, v6, vcc_lo
	s_delay_alu instid0(VALU_DEP_2) | instskip(SKIP_2) | instid1(VALU_DEP_2)
	v_add_co_u32 v5, vcc_lo, 0, v27
	s_wait_dscnt 0x0
	s_wait_alu 0xfffd
	v_add_co_ci_u32_e64 v6, null, v28, v6, vcc_lo
.LBB2810_79:                            ;   in Loop: Header=BB2810_72 Depth=1
	s_wait_alu 0xfffe
	s_or_b32 exec_lo, exec_lo, s6
	s_wait_dscnt 0x1
	ds_bpermute_b32 v52, v44, v27
	s_wait_dscnt 0x1
	ds_bpermute_b32 v28, v44, v6
	s_mov_b32 s6, exec_lo
	v_cmpx_le_u32_e64 v45, v8
	s_cbranch_execz .LBB2810_81
; %bb.80:                               ;   in Loop: Header=BB2810_72 Depth=1
	s_wait_dscnt 0x1
	v_add_co_u32 v27, vcc_lo, v5, v52
	s_wait_alu 0xfffd
	v_add_co_ci_u32_e64 v6, null, 0, v6, vcc_lo
	s_delay_alu instid0(VALU_DEP_2) | instskip(SKIP_2) | instid1(VALU_DEP_2)
	v_add_co_u32 v5, vcc_lo, 0, v27
	s_wait_dscnt 0x0
	s_wait_alu 0xfffd
	v_add_co_ci_u32_e64 v6, null, v28, v6, vcc_lo
.LBB2810_81:                            ;   in Loop: Header=BB2810_72 Depth=1
	s_wait_alu 0xfffe
	s_or_b32 exec_lo, exec_lo, s6
	s_wait_dscnt 0x1
	ds_bpermute_b32 v52, v46, v27
	s_wait_dscnt 0x1
	ds_bpermute_b32 v28, v46, v6
	s_mov_b32 s6, exec_lo
	v_cmpx_le_u32_e64 v47, v8
	;; [unrolled: 20-line block ×3, first 2 shown]
	s_cbranch_execz .LBB2810_85
; %bb.84:                               ;   in Loop: Header=BB2810_72 Depth=1
	s_wait_dscnt 0x1
	v_add_co_u32 v27, vcc_lo, v5, v52
	s_wait_alu 0xfffd
	v_add_co_ci_u32_e64 v6, null, 0, v6, vcc_lo
	s_delay_alu instid0(VALU_DEP_2) | instskip(SKIP_2) | instid1(VALU_DEP_2)
	v_add_co_u32 v5, vcc_lo, 0, v27
	s_wait_dscnt 0x0
	s_wait_alu 0xfffd
	v_add_co_ci_u32_e64 v6, null, v28, v6, vcc_lo
.LBB2810_85:                            ;   in Loop: Header=BB2810_72 Depth=1
	s_wait_alu 0xfffe
	s_or_b32 exec_lo, exec_lo, s6
	s_wait_dscnt 0x0
	ds_bpermute_b32 v28, v50, v27
	ds_bpermute_b32 v27, v50, v6
	s_mov_b32 s6, exec_lo
	v_cmpx_le_u32_e64 v51, v8
	s_cbranch_execz .LBB2810_70
; %bb.86:                               ;   in Loop: Header=BB2810_72 Depth=1
	s_wait_dscnt 0x1
	v_add_co_u32 v5, vcc_lo, v5, v28
	s_wait_alu 0xfffd
	v_add_co_ci_u32_e64 v6, null, 0, v6, vcc_lo
	s_delay_alu instid0(VALU_DEP_2) | instskip(SKIP_2) | instid1(VALU_DEP_2)
	v_add_co_u32 v5, vcc_lo, v5, 0
	s_wait_dscnt 0x0
	s_wait_alu 0xfffd
	v_add_co_ci_u32_e64 v6, null, v6, v27, vcc_lo
	s_branch .LBB2810_70
.LBB2810_87:
                                        ; implicit-def: $vgpr23_vgpr24
                                        ; implicit-def: $vgpr5_vgpr6
                                        ; implicit-def: $vgpr3_vgpr4
                                        ; implicit-def: $vgpr24_vgpr25
                                        ; implicit-def: $vgpr6_vgpr7
                                        ; implicit-def: $vgpr25_vgpr26
                                        ; implicit-def: $vgpr7_vgpr8
                                        ; implicit-def: $vgpr26_vgpr27
                                        ; implicit-def: $vgpr27_vgpr28
	s_and_b32 vcc_lo, exec_lo, s1
	s_wait_alu 0xfffe
	s_cbranch_vccnz .LBB2810_93
	s_branch .LBB2810_118
.LBB2810_88:
	s_and_saveexec_b32 s6, s1
	s_cbranch_execz .LBB2810_90
; %bb.89:
	s_add_co_i32 s8, s18, 32
	s_mov_b32 s9, 0
	v_add_co_u32 v5, vcc_lo, v3, v1
	s_wait_alu 0xfffe
	s_lshl_b64 s[8:9], s[8:9], 4
	v_dual_mov_b32 v7, 2 :: v_dual_mov_b32 v8, 0
	s_wait_alu 0xfffe
	s_add_nc_u64 s[8:9], s[12:13], s[8:9]
	s_wait_alu 0xfffd
	v_add_co_ci_u32_e64 v6, null, v4, v2, vcc_lo
	s_wait_alu 0xfffe
	v_dual_mov_b32 v26, s9 :: v_dual_mov_b32 v25, s8
	;;#ASMSTART
	global_store_b128 v[25:26], v[5:8] off scope:SCOPE_DEV	
s_wait_storecnt 0x0
	;;#ASMEND
	ds_store_b128 v8, v[1:4] offset:6336
.LBB2810_90:
	s_wait_alu 0xfffe
	s_or_b32 exec_lo, exec_lo, s6
	s_delay_alu instid0(SALU_CYCLE_1)
	s_and_b32 exec_lo, exec_lo, s2
; %bb.91:
	v_mov_b32_e32 v1, 0
	ds_store_b64 v1, v[3:4] offset:40
.LBB2810_92:
	s_wait_alu 0xfffe
	s_or_b32 exec_lo, exec_lo, s3
	v_mov_b32_e32 v3, 0
	s_wait_loadcnt_dscnt 0x0
	s_barrier_signal -1
	s_barrier_wait -1
	global_inv scope:SCOPE_SE
	ds_load_b64 v[1:2], v3 offset:40
	v_cndmask_b32_e64 v4, v41, v23, s1
	v_cndmask_b32_e64 v5, 0, v24, s1
	s_wait_loadcnt_dscnt 0x0
	s_barrier_signal -1
	s_barrier_wait -1
	v_cndmask_b32_e64 v4, v4, 0, s2
	v_cndmask_b32_e64 v5, v5, 0, s2
	global_inv scope:SCOPE_SE
	v_add_co_u32 v27, vcc_lo, v1, v4
	s_wait_alu 0xfffd
	v_add_co_ci_u32_e64 v1, null, v2, v5, vcc_lo
	s_delay_alu instid0(VALU_DEP_2) | instskip(SKIP_1) | instid1(VALU_DEP_2)
	v_add_co_u32 v26, vcc_lo, v27, v35
	s_wait_alu 0xfffd
	v_add_co_ci_u32_e64 v1, null, 0, v1, vcc_lo
	s_delay_alu instid0(VALU_DEP_2) | instskip(SKIP_1) | instid1(VALU_DEP_2)
	;; [unrolled: 4-line block ×3, first 2 shown]
	v_add_co_u32 v24, vcc_lo, v25, v33
	s_wait_alu 0xfffd
	v_add_co_ci_u32_e64 v5, null, 0, v1, vcc_lo
	ds_load_b128 v[1:4], v3 offset:6336
	v_add_co_u32 v23, vcc_lo, v24, v32
	s_wait_alu 0xfffd
	v_add_co_ci_u32_e64 v5, null, 0, v5, vcc_lo
	s_delay_alu instid0(VALU_DEP_2) | instskip(SKIP_1) | instid1(VALU_DEP_2)
	v_add_co_u32 v7, vcc_lo, v23, v38
	s_wait_alu 0xfffd
	v_add_co_ci_u32_e64 v5, null, 0, v5, vcc_lo
	s_delay_alu instid0(VALU_DEP_2) | instskip(SKIP_1) | instid1(VALU_DEP_2)
	;; [unrolled: 4-line block ×3, first 2 shown]
	v_add_co_u32 v5, vcc_lo, v6, v36
	s_wait_alu 0xfffd
	v_add_co_ci_u32_e64 v8, null, 0, v8, vcc_lo
	s_branch .LBB2810_118
.LBB2810_93:
	s_wait_dscnt 0x0
	v_dual_mov_b32 v2, 0 :: v_dual_mov_b32 v3, v21
	v_mov_b32_dpp v4, v21 row_shr:1 row_mask:0xf bank_mask:0xf
	s_delay_alu instid0(VALU_DEP_2)
	v_mov_b32_dpp v1, v2 row_shr:1 row_mask:0xf bank_mask:0xf
	s_and_saveexec_b32 s1, s0
; %bb.94:
	s_delay_alu instid0(VALU_DEP_2) | instskip(SKIP_2) | instid1(VALU_DEP_2)
	v_add_co_u32 v3, vcc_lo, v21, v4
	s_wait_alu 0xfffd
	v_add_co_ci_u32_e64 v2, null, 0, v22, vcc_lo
	v_add_co_u32 v21, vcc_lo, 0, v3
	s_wait_alu 0xfffd
	s_delay_alu instid0(VALU_DEP_2) | instskip(NEXT) | instid1(VALU_DEP_1)
	v_add_co_ci_u32_e64 v22, null, v1, v2, vcc_lo
	v_mov_b32_e32 v2, v22
; %bb.95:
	s_wait_alu 0xfffe
	s_or_b32 exec_lo, exec_lo, s1
	v_mov_b32_dpp v1, v3 row_shr:2 row_mask:0xf bank_mask:0xf
	s_delay_alu instid0(VALU_DEP_2)
	v_mov_b32_dpp v4, v2 row_shr:2 row_mask:0xf bank_mask:0xf
	s_mov_b32 s0, exec_lo
	v_cmpx_lt_u32_e32 1, v40
; %bb.96:
	s_delay_alu instid0(VALU_DEP_3) | instskip(SKIP_2) | instid1(VALU_DEP_2)
	v_add_co_u32 v3, vcc_lo, v21, v1
	s_wait_alu 0xfffd
	v_add_co_ci_u32_e64 v2, null, 0, v22, vcc_lo
	v_add_co_u32 v1, vcc_lo, 0, v3
	s_wait_alu 0xfffd
	s_delay_alu instid0(VALU_DEP_2) | instskip(NEXT) | instid1(VALU_DEP_1)
	v_add_co_ci_u32_e64 v2, null, v4, v2, vcc_lo
	v_dual_mov_b32 v22, v2 :: v_dual_mov_b32 v21, v1
; %bb.97:
	s_wait_alu 0xfffe
	s_or_b32 exec_lo, exec_lo, s0
	v_mov_b32_dpp v1, v3 row_shr:4 row_mask:0xf bank_mask:0xf
	v_mov_b32_dpp v4, v2 row_shr:4 row_mask:0xf bank_mask:0xf
	s_mov_b32 s0, exec_lo
	v_cmpx_lt_u32_e32 3, v40
; %bb.98:
	s_delay_alu instid0(VALU_DEP_3) | instskip(SKIP_2) | instid1(VALU_DEP_2)
	v_add_co_u32 v3, vcc_lo, v21, v1
	s_wait_alu 0xfffd
	v_add_co_ci_u32_e64 v2, null, 0, v22, vcc_lo
	v_add_co_u32 v1, vcc_lo, 0, v3
	s_wait_alu 0xfffd
	s_delay_alu instid0(VALU_DEP_2) | instskip(NEXT) | instid1(VALU_DEP_1)
	v_add_co_ci_u32_e64 v2, null, v4, v2, vcc_lo
	v_dual_mov_b32 v22, v2 :: v_dual_mov_b32 v21, v1
; %bb.99:
	s_wait_alu 0xfffe
	s_or_b32 exec_lo, exec_lo, s0
	v_mov_b32_dpp v4, v3 row_shr:8 row_mask:0xf bank_mask:0xf
	v_mov_b32_dpp v1, v2 row_shr:8 row_mask:0xf bank_mask:0xf
	s_mov_b32 s0, exec_lo
	v_cmpx_lt_u32_e32 7, v40
; %bb.100:
	s_delay_alu instid0(VALU_DEP_3) | instskip(SKIP_2) | instid1(VALU_DEP_2)
	v_add_co_u32 v3, vcc_lo, v21, v4
	s_wait_alu 0xfffd
	v_add_co_ci_u32_e64 v2, null, 0, v22, vcc_lo
	v_add_co_u32 v21, vcc_lo, 0, v3
	s_wait_alu 0xfffd
	s_delay_alu instid0(VALU_DEP_2) | instskip(NEXT) | instid1(VALU_DEP_1)
	v_add_co_ci_u32_e64 v22, null, v1, v2, vcc_lo
	v_mov_b32_e32 v2, v22
; %bb.101:
	s_wait_alu 0xfffe
	s_or_b32 exec_lo, exec_lo, s0
	ds_swizzle_b32 v3, v3 offset:swizzle(BROADCAST,32,15)
	ds_swizzle_b32 v1, v2 offset:swizzle(BROADCAST,32,15)
	v_and_b32_e32 v2, 16, v39
	s_mov_b32 s0, exec_lo
	s_delay_alu instid0(VALU_DEP_1)
	v_cmpx_ne_u32_e32 0, v2
	s_cbranch_execz .LBB2810_103
; %bb.102:
	s_wait_dscnt 0x1
	v_add_co_u32 v2, vcc_lo, v21, v3
	s_wait_alu 0xfffd
	v_add_co_ci_u32_e64 v3, null, 0, v22, vcc_lo
	s_delay_alu instid0(VALU_DEP_2) | instskip(SKIP_2) | instid1(VALU_DEP_2)
	v_add_co_u32 v21, vcc_lo, v2, 0
	s_wait_dscnt 0x0
	s_wait_alu 0xfffd
	v_add_co_ci_u32_e64 v22, null, v3, v1, vcc_lo
.LBB2810_103:
	s_wait_alu 0xfffe
	s_or_b32 exec_lo, exec_lo, s0
	s_wait_dscnt 0x0
	v_and_b32_e32 v1, 0xe0, v0
	s_mov_b32 s0, exec_lo
	s_delay_alu instid0(VALU_DEP_1) | instskip(NEXT) | instid1(VALU_DEP_1)
	v_min_u32_e32 v1, 0xa0, v1
	v_or_b32_e32 v1, 31, v1
	s_delay_alu instid0(VALU_DEP_1)
	v_cmpx_eq_u32_e64 v0, v1
; %bb.104:
	v_lshlrev_b32_e32 v1, 3, v29
	ds_store_b64 v1, v[21:22]
; %bb.105:
	s_wait_alu 0xfffe
	s_or_b32 exec_lo, exec_lo, s0
	s_delay_alu instid0(SALU_CYCLE_1)
	s_mov_b32 s0, exec_lo
	s_wait_loadcnt_dscnt 0x0
	s_barrier_signal -1
	s_barrier_wait -1
	global_inv scope:SCOPE_SE
	v_cmpx_gt_u32_e32 6, v0
	s_cbranch_execz .LBB2810_113
; %bb.106:
	ds_load_b64 v[1:2], v30
	v_and_b32_e32 v3, 7, v39
	s_mov_b32 s1, exec_lo
	s_wait_dscnt 0x0
	v_mov_b32_dpp v6, v1 row_shr:1 row_mask:0xf bank_mask:0xf
	v_mov_b32_dpp v5, v2 row_shr:1 row_mask:0xf bank_mask:0xf
	v_mov_b32_e32 v4, v1
	v_cmpx_ne_u32_e32 0, v3
; %bb.107:
	s_delay_alu instid0(VALU_DEP_4) | instskip(SKIP_2) | instid1(VALU_DEP_2)
	v_add_co_u32 v4, vcc_lo, v1, v6
	s_wait_alu 0xfffd
	v_add_co_ci_u32_e64 v2, null, 0, v2, vcc_lo
	v_add_co_u32 v1, vcc_lo, 0, v4
	s_wait_alu 0xfffd
	s_delay_alu instid0(VALU_DEP_2)
	v_add_co_ci_u32_e64 v2, null, v5, v2, vcc_lo
; %bb.108:
	s_wait_alu 0xfffe
	s_or_b32 exec_lo, exec_lo, s1
	v_mov_b32_dpp v6, v4 row_shr:2 row_mask:0xf bank_mask:0xf
	s_delay_alu instid0(VALU_DEP_2)
	v_mov_b32_dpp v5, v2 row_shr:2 row_mask:0xf bank_mask:0xf
	s_mov_b32 s1, exec_lo
	v_cmpx_lt_u32_e32 1, v3
; %bb.109:
	s_delay_alu instid0(VALU_DEP_3) | instskip(SKIP_2) | instid1(VALU_DEP_2)
	v_add_co_u32 v4, vcc_lo, v1, v6
	s_wait_alu 0xfffd
	v_add_co_ci_u32_e64 v2, null, 0, v2, vcc_lo
	v_add_co_u32 v1, vcc_lo, 0, v4
	s_wait_alu 0xfffd
	s_delay_alu instid0(VALU_DEP_2)
	v_add_co_ci_u32_e64 v2, null, v5, v2, vcc_lo
; %bb.110:
	s_wait_alu 0xfffe
	s_or_b32 exec_lo, exec_lo, s1
	v_mov_b32_dpp v5, v4 row_shr:4 row_mask:0xf bank_mask:0xf
	s_delay_alu instid0(VALU_DEP_2)
	v_mov_b32_dpp v4, v2 row_shr:4 row_mask:0xf bank_mask:0xf
	s_mov_b32 s1, exec_lo
	v_cmpx_lt_u32_e32 3, v3
; %bb.111:
	s_delay_alu instid0(VALU_DEP_3) | instskip(SKIP_2) | instid1(VALU_DEP_2)
	v_add_co_u32 v1, vcc_lo, v1, v5
	s_wait_alu 0xfffd
	v_add_co_ci_u32_e64 v2, null, 0, v2, vcc_lo
	v_add_co_u32 v1, vcc_lo, v1, 0
	s_wait_alu 0xfffd
	s_delay_alu instid0(VALU_DEP_2)
	v_add_co_ci_u32_e64 v2, null, v2, v4, vcc_lo
; %bb.112:
	s_wait_alu 0xfffe
	s_or_b32 exec_lo, exec_lo, s1
	ds_store_b64 v30, v[1:2]
.LBB2810_113:
	s_wait_alu 0xfffe
	s_or_b32 exec_lo, exec_lo, s0
	v_mov_b32_e32 v5, 0
	v_mov_b32_e32 v6, 0
	s_mov_b32 s0, exec_lo
	s_wait_loadcnt_dscnt 0x0
	s_barrier_signal -1
	s_barrier_wait -1
	global_inv scope:SCOPE_SE
	v_cmpx_lt_u32_e32 31, v0
; %bb.114:
	v_lshl_add_u32 v0, v29, 3, -8
	ds_load_b64 v[5:6], v0
; %bb.115:
	s_wait_alu 0xfffe
	s_or_b32 exec_lo, exec_lo, s0
	v_sub_co_u32 v0, vcc_lo, v39, 1
	s_wait_dscnt 0x0
	v_dual_mov_b32 v4, 0 :: v_dual_add_nc_u32 v1, v5, v21
	s_delay_alu instid0(VALU_DEP_2) | instskip(SKIP_1) | instid1(VALU_DEP_1)
	v_cmp_gt_i32_e64 s0, 0, v0
	s_wait_alu 0xf1ff
	v_cndmask_b32_e64 v0, v0, v39, s0
	s_delay_alu instid0(VALU_DEP_1)
	v_lshlrev_b32_e32 v0, 2, v0
	ds_bpermute_b32 v0, v0, v1
	ds_load_b64 v[1:2], v4 offset:40
	s_and_saveexec_b32 s0, s2
	s_cbranch_execz .LBB2810_117
; %bb.116:
	s_add_nc_u64 s[6:7], s[12:13], 0x200
	s_wait_alu 0xfffe
	v_dual_mov_b32 v3, 2 :: v_dual_mov_b32 v8, s7
	v_mov_b32_e32 v7, s6
	s_wait_dscnt 0x0
	;;#ASMSTART
	global_store_b128 v[7:8], v[1:4] off scope:SCOPE_DEV	
s_wait_storecnt 0x0
	;;#ASMEND
.LBB2810_117:
	s_wait_alu 0xfffe
	s_or_b32 exec_lo, exec_lo, s0
	s_wait_dscnt 0x1
	s_wait_alu 0xfffd
	v_dual_cndmask_b32 v0, v0, v5 :: v_dual_cndmask_b32 v3, 0, v6
	s_wait_loadcnt_dscnt 0x0
	s_barrier_signal -1
	s_barrier_wait -1
	s_delay_alu instid0(VALU_DEP_1)
	v_cndmask_b32_e64 v27, v0, 0, s2
	v_cndmask_b32_e64 v0, v3, 0, s2
	v_mov_b32_e32 v3, 0
	v_mov_b32_e32 v4, 0
	global_inv scope:SCOPE_SE
	v_add_co_u32 v26, vcc_lo, v27, v35
	s_wait_alu 0xfffd
	v_add_co_ci_u32_e64 v0, null, 0, v0, vcc_lo
	s_delay_alu instid0(VALU_DEP_2) | instskip(SKIP_1) | instid1(VALU_DEP_2)
	v_add_co_u32 v25, vcc_lo, v26, v34
	s_wait_alu 0xfffd
	v_add_co_ci_u32_e64 v0, null, 0, v0, vcc_lo
	s_delay_alu instid0(VALU_DEP_2) | instskip(SKIP_1) | instid1(VALU_DEP_2)
	;; [unrolled: 4-line block ×6, first 2 shown]
	v_add_co_u32 v5, vcc_lo, v6, v36
	s_wait_alu 0xfffd
	v_add_co_ci_u32_e64 v0, null, 0, v0, vcc_lo
.LBB2810_118:
	s_wait_dscnt 0x0
	v_cmp_gt_u64_e32 vcc_lo, 0xc1, v[1:2]
	v_lshrrev_b32_e32 v22, 8, v19
	v_lshrrev_b32_e32 v21, 16, v19
	v_lshrrev_b32_e32 v8, 8, v20
	v_lshrrev_b32_e32 v0, 16, v20
	s_cbranch_vccz .LBB2810_121
; %bb.119:
	s_and_b32 s0, s2, s16
	s_wait_alu 0xfffe
	s_and_saveexec_b32 s1, s0
	s_cbranch_execnz .LBB2810_138
.LBB2810_120:
	s_endpgm
.LBB2810_121:
	v_and_b32_e32 v19, 1, v19
	s_mov_b32 s0, exec_lo
	s_delay_alu instid0(VALU_DEP_1)
	v_cmpx_eq_u32_e32 1, v19
; %bb.122:
	v_sub_nc_u32_e32 v19, v27, v3
	s_delay_alu instid0(VALU_DEP_1)
	v_lshlrev_b32_e32 v19, 2, v19
	ds_store_b32 v19, v17
; %bb.123:
	s_wait_alu 0xfffe
	s_or_b32 exec_lo, exec_lo, s0
	v_and_b32_e32 v17, 1, v22
	s_mov_b32 s0, exec_lo
	s_delay_alu instid0(VALU_DEP_1)
	v_cmpx_eq_u32_e32 1, v17
; %bb.124:
	v_sub_nc_u32_e32 v17, v26, v3
	s_delay_alu instid0(VALU_DEP_1)
	v_lshlrev_b32_e32 v17, 2, v17
	ds_store_b32 v17, v18
; %bb.125:
	s_wait_alu 0xfffe
	s_or_b32 exec_lo, exec_lo, s0
	;; [unrolled: 12-line block ×8, first 2 shown]
	s_wait_loadcnt_dscnt 0x0
	s_barrier_signal -1
	s_barrier_wait -1
	global_inv scope:SCOPE_SE
	s_and_b32 s0, s2, s16
	s_wait_alu 0xfffe
	s_and_saveexec_b32 s1, s0
	s_cbranch_execz .LBB2810_120
.LBB2810_138:
	v_add_co_u32 v0, vcc_lo, v1, v9
	s_wait_alu 0xfffd
	v_add_co_ci_u32_e64 v1, null, v2, v10, vcc_lo
	v_mov_b32_e32 v2, 0
	s_delay_alu instid0(VALU_DEP_3) | instskip(SKIP_1) | instid1(VALU_DEP_3)
	v_add_co_u32 v0, vcc_lo, v0, v3
	s_wait_alu 0xfffd
	v_add_co_ci_u32_e64 v1, null, v1, v4, vcc_lo
	global_store_b64 v2, v[0:1], s[4:5]
	s_endpgm
.LBB2810_139:
	v_add_co_u32 v2, s0, s8, v11
	s_wait_alu 0xf1ff
	v_add_co_ci_u32_e64 v3, null, s9, 0, s0
	v_dual_mov_b32 v27, v1 :: v_dual_mov_b32 v28, v1
	v_dual_mov_b32 v29, v1 :: v_dual_mov_b32 v30, v1
	flat_load_b32 v26, v[2:3]
	v_dual_mov_b32 v31, v1 :: v_dual_mov_b32 v32, v1
	v_mov_b32_e32 v33, v1
	s_wait_loadcnt_dscnt 0x0
	v_dual_mov_b32 v1, v26 :: v_dual_mov_b32 v2, v27
	v_dual_mov_b32 v3, v28 :: v_dual_mov_b32 v4, v29
	;; [unrolled: 1-line block ×4, first 2 shown]
	s_wait_alu 0xfffe
	s_or_b32 exec_lo, exec_lo, s1
	s_delay_alu instid0(SALU_CYCLE_1)
	s_mov_b32 s0, exec_lo
	v_cmpx_gt_u32_e64 s3, v25
	s_cbranch_execz .LBB2810_9
.LBB2810_140:
	v_add_co_u32 v13, s1, s8, v11
	s_wait_alu 0xf1ff
	v_add_co_ci_u32_e64 v14, null, s9, 0, s1
	flat_load_b32 v2, v[13:14] offset:768
	s_wait_alu 0xfffe
	s_or_b32 exec_lo, exec_lo, s0
	s_delay_alu instid0(SALU_CYCLE_1)
	s_mov_b32 s0, exec_lo
	v_cmpx_gt_u32_e64 s3, v24
	s_cbranch_execz .LBB2810_10
.LBB2810_141:
	v_add_co_u32 v13, s1, s8, v11
	s_wait_alu 0xf1ff
	v_add_co_ci_u32_e64 v14, null, s9, 0, s1
	flat_load_b32 v3, v[13:14] offset:1536
	s_wait_alu 0xfffe
	s_or_b32 exec_lo, exec_lo, s0
	s_delay_alu instid0(SALU_CYCLE_1)
	s_mov_b32 s0, exec_lo
	v_cmpx_gt_u32_e64 s3, v23
	s_cbranch_execz .LBB2810_11
.LBB2810_142:
	v_add_co_u32 v13, s1, s8, v11
	s_wait_alu 0xf1ff
	v_add_co_ci_u32_e64 v14, null, s9, 0, s1
	flat_load_b32 v4, v[13:14] offset:2304
	s_wait_alu 0xfffe
	s_or_b32 exec_lo, exec_lo, s0
	s_delay_alu instid0(SALU_CYCLE_1)
	s_mov_b32 s0, exec_lo
	v_cmpx_gt_u32_e64 s3, v22
	s_cbranch_execz .LBB2810_12
.LBB2810_143:
	v_add_co_u32 v13, s1, s8, v11
	s_wait_alu 0xf1ff
	v_add_co_ci_u32_e64 v14, null, s9, 0, s1
	flat_load_b32 v5, v[13:14] offset:3072
	s_wait_alu 0xfffe
	s_or_b32 exec_lo, exec_lo, s0
	s_delay_alu instid0(SALU_CYCLE_1)
	s_mov_b32 s0, exec_lo
	v_cmpx_gt_u32_e64 s3, v21
	s_cbranch_execz .LBB2810_13
.LBB2810_144:
	v_add_co_u32 v13, s1, s8, v11
	s_wait_alu 0xf1ff
	v_add_co_ci_u32_e64 v14, null, s9, 0, s1
	flat_load_b32 v6, v[13:14] offset:3840
	s_wait_alu 0xfffe
	s_or_b32 exec_lo, exec_lo, s0
	s_delay_alu instid0(SALU_CYCLE_1)
	s_mov_b32 s0, exec_lo
	v_cmpx_gt_u32_e64 s3, v20
	s_cbranch_execz .LBB2810_14
.LBB2810_145:
	v_add_co_u32 v13, s1, s8, v11
	s_wait_alu 0xf1ff
	v_add_co_ci_u32_e64 v14, null, s9, 0, s1
	flat_load_b32 v7, v[13:14] offset:4608
	s_wait_alu 0xfffe
	s_or_b32 exec_lo, exec_lo, s0
	s_delay_alu instid0(SALU_CYCLE_1)
	s_mov_b32 s0, exec_lo
	v_cmpx_gt_u32_e64 s3, v19
	s_cbranch_execnz .LBB2810_15
	s_branch .LBB2810_16
.LBB2810_146:
	global_load_u8 v2, v0, s[0:1]
	v_mov_b32_e32 v3, s7
	s_wait_loadcnt 0x0
	v_xor_b32_e32 v4, 1, v2
	s_delay_alu instid0(VALU_DEP_1) | instskip(NEXT) | instid1(VALU_DEP_1)
	v_and_b32_e32 v2, 1, v4
	v_and_b32_e32 v2, 0xffff, v2
	s_or_b32 exec_lo, exec_lo, s6
	s_delay_alu instid0(SALU_CYCLE_1)
	s_mov_b32 s6, exec_lo
	v_cmpx_gt_u32_e64 s3, v25
	s_cbranch_execz .LBB2810_22
.LBB2810_147:
	global_load_u8 v5, v0, s[0:1] offset:192
	v_and_b32_e32 v6, 0xff, v2
	s_wait_loadcnt 0x0
	v_xor_b32_e32 v5, 1, v5
	s_delay_alu instid0(VALU_DEP_1) | instskip(NEXT) | instid1(VALU_DEP_1)
	v_lshlrev_b16 v5, 8, v5
	v_or_b32_e32 v5, v6, v5
	s_delay_alu instid0(VALU_DEP_1) | instskip(NEXT) | instid1(VALU_DEP_1)
	v_and_b32_e32 v5, 0xffff, v5
	v_and_or_b32 v2, 0xffff0000, v2, v5
	s_wait_alu 0xfffe
	s_or_b32 exec_lo, exec_lo, s6
	s_delay_alu instid0(SALU_CYCLE_1)
	s_mov_b32 s6, exec_lo
	v_cmpx_gt_u32_e64 s3, v24
	s_cbranch_execz .LBB2810_23
.LBB2810_148:
	global_load_u8 v5, v0, s[0:1] offset:384
	v_lshrrev_b32_e32 v6, 16, v2
	s_delay_alu instid0(VALU_DEP_1) | instskip(SKIP_2) | instid1(VALU_DEP_1)
	v_and_b32_e32 v6, 0xffffff00, v6
	s_wait_loadcnt 0x0
	v_xor_b32_e32 v5, 1, v5
	v_or_b32_e32 v5, v5, v6
	s_delay_alu instid0(VALU_DEP_1) | instskip(NEXT) | instid1(VALU_DEP_1)
	v_lshlrev_b32_e32 v5, 16, v5
	v_and_or_b32 v2, 0xffff, v2, v5
	s_wait_alu 0xfffe
	s_or_b32 exec_lo, exec_lo, s6
	s_delay_alu instid0(SALU_CYCLE_1)
	s_mov_b32 s6, exec_lo
	v_cmpx_gt_u32_e64 s3, v23
	s_cbranch_execz .LBB2810_24
.LBB2810_149:
	global_load_u8 v5, v0, s[0:1] offset:576
	v_lshrrev_b32_e32 v6, 16, v2
	s_delay_alu instid0(VALU_DEP_1) | instskip(SKIP_2) | instid1(VALU_DEP_1)
	v_and_b32_e32 v6, 0xff, v6
	s_wait_loadcnt 0x0
	v_xor_b32_e32 v5, 1, v5
	v_lshlrev_b16 v5, 8, v5
	s_delay_alu instid0(VALU_DEP_1) | instskip(NEXT) | instid1(VALU_DEP_1)
	v_or_b32_e32 v5, v6, v5
	v_lshlrev_b32_e32 v5, 16, v5
	s_delay_alu instid0(VALU_DEP_1) | instskip(SKIP_2) | instid1(SALU_CYCLE_1)
	v_and_or_b32 v2, 0xffff, v2, v5
	s_wait_alu 0xfffe
	s_or_b32 exec_lo, exec_lo, s6
	s_mov_b32 s6, exec_lo
	v_cmpx_gt_u32_e64 s3, v22
	s_cbranch_execz .LBB2810_25
.LBB2810_150:
	global_load_u8 v5, v0, s[0:1] offset:768
	v_and_b32_e32 v6, 0xffffff00, v3
	s_wait_loadcnt 0x0
	v_xor_b32_e32 v5, 1, v5
	s_delay_alu instid0(VALU_DEP_1) | instskip(NEXT) | instid1(VALU_DEP_1)
	v_or_b32_e32 v5, v5, v6
	v_and_b32_e32 v5, 0xffff, v5
	s_delay_alu instid0(VALU_DEP_1) | instskip(SKIP_2) | instid1(SALU_CYCLE_1)
	v_and_or_b32 v3, 0xffff0000, v3, v5
	s_wait_alu 0xfffe
	s_or_b32 exec_lo, exec_lo, s6
	s_mov_b32 s6, exec_lo
	v_cmpx_gt_u32_e64 s3, v21
	s_cbranch_execz .LBB2810_26
.LBB2810_151:
	global_load_u8 v5, v0, s[0:1] offset:960
	v_and_b32_e32 v6, 0xff, v3
	s_wait_loadcnt 0x0
	v_xor_b32_e32 v5, 1, v5
	s_delay_alu instid0(VALU_DEP_1) | instskip(NEXT) | instid1(VALU_DEP_1)
	v_lshlrev_b16 v5, 8, v5
	v_or_b32_e32 v5, v6, v5
	s_delay_alu instid0(VALU_DEP_1) | instskip(NEXT) | instid1(VALU_DEP_1)
	v_and_b32_e32 v5, 0xffff, v5
	v_and_or_b32 v3, 0xffff0000, v3, v5
	s_wait_alu 0xfffe
	s_or_b32 exec_lo, exec_lo, s6
	s_delay_alu instid0(SALU_CYCLE_1)
	s_mov_b32 s6, exec_lo
	v_cmpx_gt_u32_e64 s3, v20
	s_cbranch_execz .LBB2810_27
.LBB2810_152:
	global_load_u8 v5, v0, s[0:1] offset:1152
	v_lshrrev_b32_e32 v6, 16, v3
	s_delay_alu instid0(VALU_DEP_1) | instskip(SKIP_2) | instid1(VALU_DEP_1)
	v_and_b32_e32 v6, 0xffffff00, v6
	s_wait_loadcnt 0x0
	v_xor_b32_e32 v5, 1, v5
	v_or_b32_e32 v5, v5, v6
	s_delay_alu instid0(VALU_DEP_1) | instskip(NEXT) | instid1(VALU_DEP_1)
	v_lshlrev_b32_e32 v5, 16, v5
	v_and_or_b32 v3, 0xffff, v3, v5
	s_wait_alu 0xfffe
	s_or_b32 exec_lo, exec_lo, s6
	v_cmp_gt_u32_e32 vcc_lo, s3, v19
	s_and_saveexec_b32 s3, vcc_lo
	s_cbranch_execnz .LBB2810_28
	s_branch .LBB2810_29
	.section	.rodata,"a",@progbits
	.p2align	6, 0x0
	.amdhsa_kernel _ZN7rocprim17ROCPRIM_400000_NS6detail17trampoline_kernelINS0_14default_configENS1_25partition_config_selectorILNS1_17partition_subalgoE5EiNS0_10empty_typeEbEEZZNS1_14partition_implILS5_5ELb0ES3_mN6thrust23THRUST_200600_302600_NS6detail15normal_iteratorINSA_10device_ptrIiEEEEPS6_NSA_18transform_iteratorINSB_9not_fun_tI7is_trueIiEEENSC_INSD_IbEEEENSA_11use_defaultESO_EENS0_5tupleIJNSA_16discard_iteratorISO_EES6_EEENSQ_IJSG_SG_EEES6_PlJS6_EEE10hipError_tPvRmT3_T4_T5_T6_T7_T9_mT8_P12ihipStream_tbDpT10_ENKUlT_T0_E_clISt17integral_constantIbLb0EES1E_IbLb1EEEEDaS1A_S1B_EUlS1A_E_NS1_11comp_targetILNS1_3genE10ELNS1_11target_archE1200ELNS1_3gpuE4ELNS1_3repE0EEENS1_30default_config_static_selectorELNS0_4arch9wavefront6targetE0EEEvT1_
		.amdhsa_group_segment_fixed_size 6352
		.amdhsa_private_segment_fixed_size 0
		.amdhsa_kernarg_size 144
		.amdhsa_user_sgpr_count 2
		.amdhsa_user_sgpr_dispatch_ptr 0
		.amdhsa_user_sgpr_queue_ptr 0
		.amdhsa_user_sgpr_kernarg_segment_ptr 1
		.amdhsa_user_sgpr_dispatch_id 0
		.amdhsa_user_sgpr_private_segment_size 0
		.amdhsa_wavefront_size32 1
		.amdhsa_uses_dynamic_stack 0
		.amdhsa_enable_private_segment 0
		.amdhsa_system_sgpr_workgroup_id_x 1
		.amdhsa_system_sgpr_workgroup_id_y 0
		.amdhsa_system_sgpr_workgroup_id_z 0
		.amdhsa_system_sgpr_workgroup_info 0
		.amdhsa_system_vgpr_workitem_id 0
		.amdhsa_next_free_vgpr 53
		.amdhsa_next_free_sgpr 22
		.amdhsa_reserve_vcc 1
		.amdhsa_float_round_mode_32 0
		.amdhsa_float_round_mode_16_64 0
		.amdhsa_float_denorm_mode_32 3
		.amdhsa_float_denorm_mode_16_64 3
		.amdhsa_fp16_overflow 0
		.amdhsa_workgroup_processor_mode 1
		.amdhsa_memory_ordered 1
		.amdhsa_forward_progress 1
		.amdhsa_inst_pref_size 66
		.amdhsa_round_robin_scheduling 0
		.amdhsa_exception_fp_ieee_invalid_op 0
		.amdhsa_exception_fp_denorm_src 0
		.amdhsa_exception_fp_ieee_div_zero 0
		.amdhsa_exception_fp_ieee_overflow 0
		.amdhsa_exception_fp_ieee_underflow 0
		.amdhsa_exception_fp_ieee_inexact 0
		.amdhsa_exception_int_div_zero 0
	.end_amdhsa_kernel
	.section	.text._ZN7rocprim17ROCPRIM_400000_NS6detail17trampoline_kernelINS0_14default_configENS1_25partition_config_selectorILNS1_17partition_subalgoE5EiNS0_10empty_typeEbEEZZNS1_14partition_implILS5_5ELb0ES3_mN6thrust23THRUST_200600_302600_NS6detail15normal_iteratorINSA_10device_ptrIiEEEEPS6_NSA_18transform_iteratorINSB_9not_fun_tI7is_trueIiEEENSC_INSD_IbEEEENSA_11use_defaultESO_EENS0_5tupleIJNSA_16discard_iteratorISO_EES6_EEENSQ_IJSG_SG_EEES6_PlJS6_EEE10hipError_tPvRmT3_T4_T5_T6_T7_T9_mT8_P12ihipStream_tbDpT10_ENKUlT_T0_E_clISt17integral_constantIbLb0EES1E_IbLb1EEEEDaS1A_S1B_EUlS1A_E_NS1_11comp_targetILNS1_3genE10ELNS1_11target_archE1200ELNS1_3gpuE4ELNS1_3repE0EEENS1_30default_config_static_selectorELNS0_4arch9wavefront6targetE0EEEvT1_,"axG",@progbits,_ZN7rocprim17ROCPRIM_400000_NS6detail17trampoline_kernelINS0_14default_configENS1_25partition_config_selectorILNS1_17partition_subalgoE5EiNS0_10empty_typeEbEEZZNS1_14partition_implILS5_5ELb0ES3_mN6thrust23THRUST_200600_302600_NS6detail15normal_iteratorINSA_10device_ptrIiEEEEPS6_NSA_18transform_iteratorINSB_9not_fun_tI7is_trueIiEEENSC_INSD_IbEEEENSA_11use_defaultESO_EENS0_5tupleIJNSA_16discard_iteratorISO_EES6_EEENSQ_IJSG_SG_EEES6_PlJS6_EEE10hipError_tPvRmT3_T4_T5_T6_T7_T9_mT8_P12ihipStream_tbDpT10_ENKUlT_T0_E_clISt17integral_constantIbLb0EES1E_IbLb1EEEEDaS1A_S1B_EUlS1A_E_NS1_11comp_targetILNS1_3genE10ELNS1_11target_archE1200ELNS1_3gpuE4ELNS1_3repE0EEENS1_30default_config_static_selectorELNS0_4arch9wavefront6targetE0EEEvT1_,comdat
.Lfunc_end2810:
	.size	_ZN7rocprim17ROCPRIM_400000_NS6detail17trampoline_kernelINS0_14default_configENS1_25partition_config_selectorILNS1_17partition_subalgoE5EiNS0_10empty_typeEbEEZZNS1_14partition_implILS5_5ELb0ES3_mN6thrust23THRUST_200600_302600_NS6detail15normal_iteratorINSA_10device_ptrIiEEEEPS6_NSA_18transform_iteratorINSB_9not_fun_tI7is_trueIiEEENSC_INSD_IbEEEENSA_11use_defaultESO_EENS0_5tupleIJNSA_16discard_iteratorISO_EES6_EEENSQ_IJSG_SG_EEES6_PlJS6_EEE10hipError_tPvRmT3_T4_T5_T6_T7_T9_mT8_P12ihipStream_tbDpT10_ENKUlT_T0_E_clISt17integral_constantIbLb0EES1E_IbLb1EEEEDaS1A_S1B_EUlS1A_E_NS1_11comp_targetILNS1_3genE10ELNS1_11target_archE1200ELNS1_3gpuE4ELNS1_3repE0EEENS1_30default_config_static_selectorELNS0_4arch9wavefront6targetE0EEEvT1_, .Lfunc_end2810-_ZN7rocprim17ROCPRIM_400000_NS6detail17trampoline_kernelINS0_14default_configENS1_25partition_config_selectorILNS1_17partition_subalgoE5EiNS0_10empty_typeEbEEZZNS1_14partition_implILS5_5ELb0ES3_mN6thrust23THRUST_200600_302600_NS6detail15normal_iteratorINSA_10device_ptrIiEEEEPS6_NSA_18transform_iteratorINSB_9not_fun_tI7is_trueIiEEENSC_INSD_IbEEEENSA_11use_defaultESO_EENS0_5tupleIJNSA_16discard_iteratorISO_EES6_EEENSQ_IJSG_SG_EEES6_PlJS6_EEE10hipError_tPvRmT3_T4_T5_T6_T7_T9_mT8_P12ihipStream_tbDpT10_ENKUlT_T0_E_clISt17integral_constantIbLb0EES1E_IbLb1EEEEDaS1A_S1B_EUlS1A_E_NS1_11comp_targetILNS1_3genE10ELNS1_11target_archE1200ELNS1_3gpuE4ELNS1_3repE0EEENS1_30default_config_static_selectorELNS0_4arch9wavefront6targetE0EEEvT1_
                                        ; -- End function
	.set _ZN7rocprim17ROCPRIM_400000_NS6detail17trampoline_kernelINS0_14default_configENS1_25partition_config_selectorILNS1_17partition_subalgoE5EiNS0_10empty_typeEbEEZZNS1_14partition_implILS5_5ELb0ES3_mN6thrust23THRUST_200600_302600_NS6detail15normal_iteratorINSA_10device_ptrIiEEEEPS6_NSA_18transform_iteratorINSB_9not_fun_tI7is_trueIiEEENSC_INSD_IbEEEENSA_11use_defaultESO_EENS0_5tupleIJNSA_16discard_iteratorISO_EES6_EEENSQ_IJSG_SG_EEES6_PlJS6_EEE10hipError_tPvRmT3_T4_T5_T6_T7_T9_mT8_P12ihipStream_tbDpT10_ENKUlT_T0_E_clISt17integral_constantIbLb0EES1E_IbLb1EEEEDaS1A_S1B_EUlS1A_E_NS1_11comp_targetILNS1_3genE10ELNS1_11target_archE1200ELNS1_3gpuE4ELNS1_3repE0EEENS1_30default_config_static_selectorELNS0_4arch9wavefront6targetE0EEEvT1_.num_vgpr, 53
	.set _ZN7rocprim17ROCPRIM_400000_NS6detail17trampoline_kernelINS0_14default_configENS1_25partition_config_selectorILNS1_17partition_subalgoE5EiNS0_10empty_typeEbEEZZNS1_14partition_implILS5_5ELb0ES3_mN6thrust23THRUST_200600_302600_NS6detail15normal_iteratorINSA_10device_ptrIiEEEEPS6_NSA_18transform_iteratorINSB_9not_fun_tI7is_trueIiEEENSC_INSD_IbEEEENSA_11use_defaultESO_EENS0_5tupleIJNSA_16discard_iteratorISO_EES6_EEENSQ_IJSG_SG_EEES6_PlJS6_EEE10hipError_tPvRmT3_T4_T5_T6_T7_T9_mT8_P12ihipStream_tbDpT10_ENKUlT_T0_E_clISt17integral_constantIbLb0EES1E_IbLb1EEEEDaS1A_S1B_EUlS1A_E_NS1_11comp_targetILNS1_3genE10ELNS1_11target_archE1200ELNS1_3gpuE4ELNS1_3repE0EEENS1_30default_config_static_selectorELNS0_4arch9wavefront6targetE0EEEvT1_.num_agpr, 0
	.set _ZN7rocprim17ROCPRIM_400000_NS6detail17trampoline_kernelINS0_14default_configENS1_25partition_config_selectorILNS1_17partition_subalgoE5EiNS0_10empty_typeEbEEZZNS1_14partition_implILS5_5ELb0ES3_mN6thrust23THRUST_200600_302600_NS6detail15normal_iteratorINSA_10device_ptrIiEEEEPS6_NSA_18transform_iteratorINSB_9not_fun_tI7is_trueIiEEENSC_INSD_IbEEEENSA_11use_defaultESO_EENS0_5tupleIJNSA_16discard_iteratorISO_EES6_EEENSQ_IJSG_SG_EEES6_PlJS6_EEE10hipError_tPvRmT3_T4_T5_T6_T7_T9_mT8_P12ihipStream_tbDpT10_ENKUlT_T0_E_clISt17integral_constantIbLb0EES1E_IbLb1EEEEDaS1A_S1B_EUlS1A_E_NS1_11comp_targetILNS1_3genE10ELNS1_11target_archE1200ELNS1_3gpuE4ELNS1_3repE0EEENS1_30default_config_static_selectorELNS0_4arch9wavefront6targetE0EEEvT1_.numbered_sgpr, 22
	.set _ZN7rocprim17ROCPRIM_400000_NS6detail17trampoline_kernelINS0_14default_configENS1_25partition_config_selectorILNS1_17partition_subalgoE5EiNS0_10empty_typeEbEEZZNS1_14partition_implILS5_5ELb0ES3_mN6thrust23THRUST_200600_302600_NS6detail15normal_iteratorINSA_10device_ptrIiEEEEPS6_NSA_18transform_iteratorINSB_9not_fun_tI7is_trueIiEEENSC_INSD_IbEEEENSA_11use_defaultESO_EENS0_5tupleIJNSA_16discard_iteratorISO_EES6_EEENSQ_IJSG_SG_EEES6_PlJS6_EEE10hipError_tPvRmT3_T4_T5_T6_T7_T9_mT8_P12ihipStream_tbDpT10_ENKUlT_T0_E_clISt17integral_constantIbLb0EES1E_IbLb1EEEEDaS1A_S1B_EUlS1A_E_NS1_11comp_targetILNS1_3genE10ELNS1_11target_archE1200ELNS1_3gpuE4ELNS1_3repE0EEENS1_30default_config_static_selectorELNS0_4arch9wavefront6targetE0EEEvT1_.num_named_barrier, 0
	.set _ZN7rocprim17ROCPRIM_400000_NS6detail17trampoline_kernelINS0_14default_configENS1_25partition_config_selectorILNS1_17partition_subalgoE5EiNS0_10empty_typeEbEEZZNS1_14partition_implILS5_5ELb0ES3_mN6thrust23THRUST_200600_302600_NS6detail15normal_iteratorINSA_10device_ptrIiEEEEPS6_NSA_18transform_iteratorINSB_9not_fun_tI7is_trueIiEEENSC_INSD_IbEEEENSA_11use_defaultESO_EENS0_5tupleIJNSA_16discard_iteratorISO_EES6_EEENSQ_IJSG_SG_EEES6_PlJS6_EEE10hipError_tPvRmT3_T4_T5_T6_T7_T9_mT8_P12ihipStream_tbDpT10_ENKUlT_T0_E_clISt17integral_constantIbLb0EES1E_IbLb1EEEEDaS1A_S1B_EUlS1A_E_NS1_11comp_targetILNS1_3genE10ELNS1_11target_archE1200ELNS1_3gpuE4ELNS1_3repE0EEENS1_30default_config_static_selectorELNS0_4arch9wavefront6targetE0EEEvT1_.private_seg_size, 0
	.set _ZN7rocprim17ROCPRIM_400000_NS6detail17trampoline_kernelINS0_14default_configENS1_25partition_config_selectorILNS1_17partition_subalgoE5EiNS0_10empty_typeEbEEZZNS1_14partition_implILS5_5ELb0ES3_mN6thrust23THRUST_200600_302600_NS6detail15normal_iteratorINSA_10device_ptrIiEEEEPS6_NSA_18transform_iteratorINSB_9not_fun_tI7is_trueIiEEENSC_INSD_IbEEEENSA_11use_defaultESO_EENS0_5tupleIJNSA_16discard_iteratorISO_EES6_EEENSQ_IJSG_SG_EEES6_PlJS6_EEE10hipError_tPvRmT3_T4_T5_T6_T7_T9_mT8_P12ihipStream_tbDpT10_ENKUlT_T0_E_clISt17integral_constantIbLb0EES1E_IbLb1EEEEDaS1A_S1B_EUlS1A_E_NS1_11comp_targetILNS1_3genE10ELNS1_11target_archE1200ELNS1_3gpuE4ELNS1_3repE0EEENS1_30default_config_static_selectorELNS0_4arch9wavefront6targetE0EEEvT1_.uses_vcc, 1
	.set _ZN7rocprim17ROCPRIM_400000_NS6detail17trampoline_kernelINS0_14default_configENS1_25partition_config_selectorILNS1_17partition_subalgoE5EiNS0_10empty_typeEbEEZZNS1_14partition_implILS5_5ELb0ES3_mN6thrust23THRUST_200600_302600_NS6detail15normal_iteratorINSA_10device_ptrIiEEEEPS6_NSA_18transform_iteratorINSB_9not_fun_tI7is_trueIiEEENSC_INSD_IbEEEENSA_11use_defaultESO_EENS0_5tupleIJNSA_16discard_iteratorISO_EES6_EEENSQ_IJSG_SG_EEES6_PlJS6_EEE10hipError_tPvRmT3_T4_T5_T6_T7_T9_mT8_P12ihipStream_tbDpT10_ENKUlT_T0_E_clISt17integral_constantIbLb0EES1E_IbLb1EEEEDaS1A_S1B_EUlS1A_E_NS1_11comp_targetILNS1_3genE10ELNS1_11target_archE1200ELNS1_3gpuE4ELNS1_3repE0EEENS1_30default_config_static_selectorELNS0_4arch9wavefront6targetE0EEEvT1_.uses_flat_scratch, 1
	.set _ZN7rocprim17ROCPRIM_400000_NS6detail17trampoline_kernelINS0_14default_configENS1_25partition_config_selectorILNS1_17partition_subalgoE5EiNS0_10empty_typeEbEEZZNS1_14partition_implILS5_5ELb0ES3_mN6thrust23THRUST_200600_302600_NS6detail15normal_iteratorINSA_10device_ptrIiEEEEPS6_NSA_18transform_iteratorINSB_9not_fun_tI7is_trueIiEEENSC_INSD_IbEEEENSA_11use_defaultESO_EENS0_5tupleIJNSA_16discard_iteratorISO_EES6_EEENSQ_IJSG_SG_EEES6_PlJS6_EEE10hipError_tPvRmT3_T4_T5_T6_T7_T9_mT8_P12ihipStream_tbDpT10_ENKUlT_T0_E_clISt17integral_constantIbLb0EES1E_IbLb1EEEEDaS1A_S1B_EUlS1A_E_NS1_11comp_targetILNS1_3genE10ELNS1_11target_archE1200ELNS1_3gpuE4ELNS1_3repE0EEENS1_30default_config_static_selectorELNS0_4arch9wavefront6targetE0EEEvT1_.has_dyn_sized_stack, 0
	.set _ZN7rocprim17ROCPRIM_400000_NS6detail17trampoline_kernelINS0_14default_configENS1_25partition_config_selectorILNS1_17partition_subalgoE5EiNS0_10empty_typeEbEEZZNS1_14partition_implILS5_5ELb0ES3_mN6thrust23THRUST_200600_302600_NS6detail15normal_iteratorINSA_10device_ptrIiEEEEPS6_NSA_18transform_iteratorINSB_9not_fun_tI7is_trueIiEEENSC_INSD_IbEEEENSA_11use_defaultESO_EENS0_5tupleIJNSA_16discard_iteratorISO_EES6_EEENSQ_IJSG_SG_EEES6_PlJS6_EEE10hipError_tPvRmT3_T4_T5_T6_T7_T9_mT8_P12ihipStream_tbDpT10_ENKUlT_T0_E_clISt17integral_constantIbLb0EES1E_IbLb1EEEEDaS1A_S1B_EUlS1A_E_NS1_11comp_targetILNS1_3genE10ELNS1_11target_archE1200ELNS1_3gpuE4ELNS1_3repE0EEENS1_30default_config_static_selectorELNS0_4arch9wavefront6targetE0EEEvT1_.has_recursion, 0
	.set _ZN7rocprim17ROCPRIM_400000_NS6detail17trampoline_kernelINS0_14default_configENS1_25partition_config_selectorILNS1_17partition_subalgoE5EiNS0_10empty_typeEbEEZZNS1_14partition_implILS5_5ELb0ES3_mN6thrust23THRUST_200600_302600_NS6detail15normal_iteratorINSA_10device_ptrIiEEEEPS6_NSA_18transform_iteratorINSB_9not_fun_tI7is_trueIiEEENSC_INSD_IbEEEENSA_11use_defaultESO_EENS0_5tupleIJNSA_16discard_iteratorISO_EES6_EEENSQ_IJSG_SG_EEES6_PlJS6_EEE10hipError_tPvRmT3_T4_T5_T6_T7_T9_mT8_P12ihipStream_tbDpT10_ENKUlT_T0_E_clISt17integral_constantIbLb0EES1E_IbLb1EEEEDaS1A_S1B_EUlS1A_E_NS1_11comp_targetILNS1_3genE10ELNS1_11target_archE1200ELNS1_3gpuE4ELNS1_3repE0EEENS1_30default_config_static_selectorELNS0_4arch9wavefront6targetE0EEEvT1_.has_indirect_call, 0
	.section	.AMDGPU.csdata,"",@progbits
; Kernel info:
; codeLenInByte = 8324
; TotalNumSgprs: 24
; NumVgprs: 53
; ScratchSize: 0
; MemoryBound: 0
; FloatMode: 240
; IeeeMode: 1
; LDSByteSize: 6352 bytes/workgroup (compile time only)
; SGPRBlocks: 0
; VGPRBlocks: 6
; NumSGPRsForWavesPerEU: 24
; NumVGPRsForWavesPerEU: 53
; Occupancy: 15
; WaveLimiterHint : 1
; COMPUTE_PGM_RSRC2:SCRATCH_EN: 0
; COMPUTE_PGM_RSRC2:USER_SGPR: 2
; COMPUTE_PGM_RSRC2:TRAP_HANDLER: 0
; COMPUTE_PGM_RSRC2:TGID_X_EN: 1
; COMPUTE_PGM_RSRC2:TGID_Y_EN: 0
; COMPUTE_PGM_RSRC2:TGID_Z_EN: 0
; COMPUTE_PGM_RSRC2:TIDIG_COMP_CNT: 0
	.section	.text._ZN7rocprim17ROCPRIM_400000_NS6detail17trampoline_kernelINS0_14default_configENS1_25partition_config_selectorILNS1_17partition_subalgoE5EiNS0_10empty_typeEbEEZZNS1_14partition_implILS5_5ELb0ES3_mN6thrust23THRUST_200600_302600_NS6detail15normal_iteratorINSA_10device_ptrIiEEEEPS6_NSA_18transform_iteratorINSB_9not_fun_tI7is_trueIiEEENSC_INSD_IbEEEENSA_11use_defaultESO_EENS0_5tupleIJNSA_16discard_iteratorISO_EES6_EEENSQ_IJSG_SG_EEES6_PlJS6_EEE10hipError_tPvRmT3_T4_T5_T6_T7_T9_mT8_P12ihipStream_tbDpT10_ENKUlT_T0_E_clISt17integral_constantIbLb0EES1E_IbLb1EEEEDaS1A_S1B_EUlS1A_E_NS1_11comp_targetILNS1_3genE9ELNS1_11target_archE1100ELNS1_3gpuE3ELNS1_3repE0EEENS1_30default_config_static_selectorELNS0_4arch9wavefront6targetE0EEEvT1_,"axG",@progbits,_ZN7rocprim17ROCPRIM_400000_NS6detail17trampoline_kernelINS0_14default_configENS1_25partition_config_selectorILNS1_17partition_subalgoE5EiNS0_10empty_typeEbEEZZNS1_14partition_implILS5_5ELb0ES3_mN6thrust23THRUST_200600_302600_NS6detail15normal_iteratorINSA_10device_ptrIiEEEEPS6_NSA_18transform_iteratorINSB_9not_fun_tI7is_trueIiEEENSC_INSD_IbEEEENSA_11use_defaultESO_EENS0_5tupleIJNSA_16discard_iteratorISO_EES6_EEENSQ_IJSG_SG_EEES6_PlJS6_EEE10hipError_tPvRmT3_T4_T5_T6_T7_T9_mT8_P12ihipStream_tbDpT10_ENKUlT_T0_E_clISt17integral_constantIbLb0EES1E_IbLb1EEEEDaS1A_S1B_EUlS1A_E_NS1_11comp_targetILNS1_3genE9ELNS1_11target_archE1100ELNS1_3gpuE3ELNS1_3repE0EEENS1_30default_config_static_selectorELNS0_4arch9wavefront6targetE0EEEvT1_,comdat
	.protected	_ZN7rocprim17ROCPRIM_400000_NS6detail17trampoline_kernelINS0_14default_configENS1_25partition_config_selectorILNS1_17partition_subalgoE5EiNS0_10empty_typeEbEEZZNS1_14partition_implILS5_5ELb0ES3_mN6thrust23THRUST_200600_302600_NS6detail15normal_iteratorINSA_10device_ptrIiEEEEPS6_NSA_18transform_iteratorINSB_9not_fun_tI7is_trueIiEEENSC_INSD_IbEEEENSA_11use_defaultESO_EENS0_5tupleIJNSA_16discard_iteratorISO_EES6_EEENSQ_IJSG_SG_EEES6_PlJS6_EEE10hipError_tPvRmT3_T4_T5_T6_T7_T9_mT8_P12ihipStream_tbDpT10_ENKUlT_T0_E_clISt17integral_constantIbLb0EES1E_IbLb1EEEEDaS1A_S1B_EUlS1A_E_NS1_11comp_targetILNS1_3genE9ELNS1_11target_archE1100ELNS1_3gpuE3ELNS1_3repE0EEENS1_30default_config_static_selectorELNS0_4arch9wavefront6targetE0EEEvT1_ ; -- Begin function _ZN7rocprim17ROCPRIM_400000_NS6detail17trampoline_kernelINS0_14default_configENS1_25partition_config_selectorILNS1_17partition_subalgoE5EiNS0_10empty_typeEbEEZZNS1_14partition_implILS5_5ELb0ES3_mN6thrust23THRUST_200600_302600_NS6detail15normal_iteratorINSA_10device_ptrIiEEEEPS6_NSA_18transform_iteratorINSB_9not_fun_tI7is_trueIiEEENSC_INSD_IbEEEENSA_11use_defaultESO_EENS0_5tupleIJNSA_16discard_iteratorISO_EES6_EEENSQ_IJSG_SG_EEES6_PlJS6_EEE10hipError_tPvRmT3_T4_T5_T6_T7_T9_mT8_P12ihipStream_tbDpT10_ENKUlT_T0_E_clISt17integral_constantIbLb0EES1E_IbLb1EEEEDaS1A_S1B_EUlS1A_E_NS1_11comp_targetILNS1_3genE9ELNS1_11target_archE1100ELNS1_3gpuE3ELNS1_3repE0EEENS1_30default_config_static_selectorELNS0_4arch9wavefront6targetE0EEEvT1_
	.globl	_ZN7rocprim17ROCPRIM_400000_NS6detail17trampoline_kernelINS0_14default_configENS1_25partition_config_selectorILNS1_17partition_subalgoE5EiNS0_10empty_typeEbEEZZNS1_14partition_implILS5_5ELb0ES3_mN6thrust23THRUST_200600_302600_NS6detail15normal_iteratorINSA_10device_ptrIiEEEEPS6_NSA_18transform_iteratorINSB_9not_fun_tI7is_trueIiEEENSC_INSD_IbEEEENSA_11use_defaultESO_EENS0_5tupleIJNSA_16discard_iteratorISO_EES6_EEENSQ_IJSG_SG_EEES6_PlJS6_EEE10hipError_tPvRmT3_T4_T5_T6_T7_T9_mT8_P12ihipStream_tbDpT10_ENKUlT_T0_E_clISt17integral_constantIbLb0EES1E_IbLb1EEEEDaS1A_S1B_EUlS1A_E_NS1_11comp_targetILNS1_3genE9ELNS1_11target_archE1100ELNS1_3gpuE3ELNS1_3repE0EEENS1_30default_config_static_selectorELNS0_4arch9wavefront6targetE0EEEvT1_
	.p2align	8
	.type	_ZN7rocprim17ROCPRIM_400000_NS6detail17trampoline_kernelINS0_14default_configENS1_25partition_config_selectorILNS1_17partition_subalgoE5EiNS0_10empty_typeEbEEZZNS1_14partition_implILS5_5ELb0ES3_mN6thrust23THRUST_200600_302600_NS6detail15normal_iteratorINSA_10device_ptrIiEEEEPS6_NSA_18transform_iteratorINSB_9not_fun_tI7is_trueIiEEENSC_INSD_IbEEEENSA_11use_defaultESO_EENS0_5tupleIJNSA_16discard_iteratorISO_EES6_EEENSQ_IJSG_SG_EEES6_PlJS6_EEE10hipError_tPvRmT3_T4_T5_T6_T7_T9_mT8_P12ihipStream_tbDpT10_ENKUlT_T0_E_clISt17integral_constantIbLb0EES1E_IbLb1EEEEDaS1A_S1B_EUlS1A_E_NS1_11comp_targetILNS1_3genE9ELNS1_11target_archE1100ELNS1_3gpuE3ELNS1_3repE0EEENS1_30default_config_static_selectorELNS0_4arch9wavefront6targetE0EEEvT1_,@function
_ZN7rocprim17ROCPRIM_400000_NS6detail17trampoline_kernelINS0_14default_configENS1_25partition_config_selectorILNS1_17partition_subalgoE5EiNS0_10empty_typeEbEEZZNS1_14partition_implILS5_5ELb0ES3_mN6thrust23THRUST_200600_302600_NS6detail15normal_iteratorINSA_10device_ptrIiEEEEPS6_NSA_18transform_iteratorINSB_9not_fun_tI7is_trueIiEEENSC_INSD_IbEEEENSA_11use_defaultESO_EENS0_5tupleIJNSA_16discard_iteratorISO_EES6_EEENSQ_IJSG_SG_EEES6_PlJS6_EEE10hipError_tPvRmT3_T4_T5_T6_T7_T9_mT8_P12ihipStream_tbDpT10_ENKUlT_T0_E_clISt17integral_constantIbLb0EES1E_IbLb1EEEEDaS1A_S1B_EUlS1A_E_NS1_11comp_targetILNS1_3genE9ELNS1_11target_archE1100ELNS1_3gpuE3ELNS1_3repE0EEENS1_30default_config_static_selectorELNS0_4arch9wavefront6targetE0EEEvT1_: ; @_ZN7rocprim17ROCPRIM_400000_NS6detail17trampoline_kernelINS0_14default_configENS1_25partition_config_selectorILNS1_17partition_subalgoE5EiNS0_10empty_typeEbEEZZNS1_14partition_implILS5_5ELb0ES3_mN6thrust23THRUST_200600_302600_NS6detail15normal_iteratorINSA_10device_ptrIiEEEEPS6_NSA_18transform_iteratorINSB_9not_fun_tI7is_trueIiEEENSC_INSD_IbEEEENSA_11use_defaultESO_EENS0_5tupleIJNSA_16discard_iteratorISO_EES6_EEENSQ_IJSG_SG_EEES6_PlJS6_EEE10hipError_tPvRmT3_T4_T5_T6_T7_T9_mT8_P12ihipStream_tbDpT10_ENKUlT_T0_E_clISt17integral_constantIbLb0EES1E_IbLb1EEEEDaS1A_S1B_EUlS1A_E_NS1_11comp_targetILNS1_3genE9ELNS1_11target_archE1100ELNS1_3gpuE3ELNS1_3repE0EEENS1_30default_config_static_selectorELNS0_4arch9wavefront6targetE0EEEvT1_
; %bb.0:
	.section	.rodata,"a",@progbits
	.p2align	6, 0x0
	.amdhsa_kernel _ZN7rocprim17ROCPRIM_400000_NS6detail17trampoline_kernelINS0_14default_configENS1_25partition_config_selectorILNS1_17partition_subalgoE5EiNS0_10empty_typeEbEEZZNS1_14partition_implILS5_5ELb0ES3_mN6thrust23THRUST_200600_302600_NS6detail15normal_iteratorINSA_10device_ptrIiEEEEPS6_NSA_18transform_iteratorINSB_9not_fun_tI7is_trueIiEEENSC_INSD_IbEEEENSA_11use_defaultESO_EENS0_5tupleIJNSA_16discard_iteratorISO_EES6_EEENSQ_IJSG_SG_EEES6_PlJS6_EEE10hipError_tPvRmT3_T4_T5_T6_T7_T9_mT8_P12ihipStream_tbDpT10_ENKUlT_T0_E_clISt17integral_constantIbLb0EES1E_IbLb1EEEEDaS1A_S1B_EUlS1A_E_NS1_11comp_targetILNS1_3genE9ELNS1_11target_archE1100ELNS1_3gpuE3ELNS1_3repE0EEENS1_30default_config_static_selectorELNS0_4arch9wavefront6targetE0EEEvT1_
		.amdhsa_group_segment_fixed_size 0
		.amdhsa_private_segment_fixed_size 0
		.amdhsa_kernarg_size 144
		.amdhsa_user_sgpr_count 2
		.amdhsa_user_sgpr_dispatch_ptr 0
		.amdhsa_user_sgpr_queue_ptr 0
		.amdhsa_user_sgpr_kernarg_segment_ptr 1
		.amdhsa_user_sgpr_dispatch_id 0
		.amdhsa_user_sgpr_private_segment_size 0
		.amdhsa_wavefront_size32 1
		.amdhsa_uses_dynamic_stack 0
		.amdhsa_enable_private_segment 0
		.amdhsa_system_sgpr_workgroup_id_x 1
		.amdhsa_system_sgpr_workgroup_id_y 0
		.amdhsa_system_sgpr_workgroup_id_z 0
		.amdhsa_system_sgpr_workgroup_info 0
		.amdhsa_system_vgpr_workitem_id 0
		.amdhsa_next_free_vgpr 1
		.amdhsa_next_free_sgpr 1
		.amdhsa_reserve_vcc 0
		.amdhsa_float_round_mode_32 0
		.amdhsa_float_round_mode_16_64 0
		.amdhsa_float_denorm_mode_32 3
		.amdhsa_float_denorm_mode_16_64 3
		.amdhsa_fp16_overflow 0
		.amdhsa_workgroup_processor_mode 1
		.amdhsa_memory_ordered 1
		.amdhsa_forward_progress 1
		.amdhsa_inst_pref_size 0
		.amdhsa_round_robin_scheduling 0
		.amdhsa_exception_fp_ieee_invalid_op 0
		.amdhsa_exception_fp_denorm_src 0
		.amdhsa_exception_fp_ieee_div_zero 0
		.amdhsa_exception_fp_ieee_overflow 0
		.amdhsa_exception_fp_ieee_underflow 0
		.amdhsa_exception_fp_ieee_inexact 0
		.amdhsa_exception_int_div_zero 0
	.end_amdhsa_kernel
	.section	.text._ZN7rocprim17ROCPRIM_400000_NS6detail17trampoline_kernelINS0_14default_configENS1_25partition_config_selectorILNS1_17partition_subalgoE5EiNS0_10empty_typeEbEEZZNS1_14partition_implILS5_5ELb0ES3_mN6thrust23THRUST_200600_302600_NS6detail15normal_iteratorINSA_10device_ptrIiEEEEPS6_NSA_18transform_iteratorINSB_9not_fun_tI7is_trueIiEEENSC_INSD_IbEEEENSA_11use_defaultESO_EENS0_5tupleIJNSA_16discard_iteratorISO_EES6_EEENSQ_IJSG_SG_EEES6_PlJS6_EEE10hipError_tPvRmT3_T4_T5_T6_T7_T9_mT8_P12ihipStream_tbDpT10_ENKUlT_T0_E_clISt17integral_constantIbLb0EES1E_IbLb1EEEEDaS1A_S1B_EUlS1A_E_NS1_11comp_targetILNS1_3genE9ELNS1_11target_archE1100ELNS1_3gpuE3ELNS1_3repE0EEENS1_30default_config_static_selectorELNS0_4arch9wavefront6targetE0EEEvT1_,"axG",@progbits,_ZN7rocprim17ROCPRIM_400000_NS6detail17trampoline_kernelINS0_14default_configENS1_25partition_config_selectorILNS1_17partition_subalgoE5EiNS0_10empty_typeEbEEZZNS1_14partition_implILS5_5ELb0ES3_mN6thrust23THRUST_200600_302600_NS6detail15normal_iteratorINSA_10device_ptrIiEEEEPS6_NSA_18transform_iteratorINSB_9not_fun_tI7is_trueIiEEENSC_INSD_IbEEEENSA_11use_defaultESO_EENS0_5tupleIJNSA_16discard_iteratorISO_EES6_EEENSQ_IJSG_SG_EEES6_PlJS6_EEE10hipError_tPvRmT3_T4_T5_T6_T7_T9_mT8_P12ihipStream_tbDpT10_ENKUlT_T0_E_clISt17integral_constantIbLb0EES1E_IbLb1EEEEDaS1A_S1B_EUlS1A_E_NS1_11comp_targetILNS1_3genE9ELNS1_11target_archE1100ELNS1_3gpuE3ELNS1_3repE0EEENS1_30default_config_static_selectorELNS0_4arch9wavefront6targetE0EEEvT1_,comdat
.Lfunc_end2811:
	.size	_ZN7rocprim17ROCPRIM_400000_NS6detail17trampoline_kernelINS0_14default_configENS1_25partition_config_selectorILNS1_17partition_subalgoE5EiNS0_10empty_typeEbEEZZNS1_14partition_implILS5_5ELb0ES3_mN6thrust23THRUST_200600_302600_NS6detail15normal_iteratorINSA_10device_ptrIiEEEEPS6_NSA_18transform_iteratorINSB_9not_fun_tI7is_trueIiEEENSC_INSD_IbEEEENSA_11use_defaultESO_EENS0_5tupleIJNSA_16discard_iteratorISO_EES6_EEENSQ_IJSG_SG_EEES6_PlJS6_EEE10hipError_tPvRmT3_T4_T5_T6_T7_T9_mT8_P12ihipStream_tbDpT10_ENKUlT_T0_E_clISt17integral_constantIbLb0EES1E_IbLb1EEEEDaS1A_S1B_EUlS1A_E_NS1_11comp_targetILNS1_3genE9ELNS1_11target_archE1100ELNS1_3gpuE3ELNS1_3repE0EEENS1_30default_config_static_selectorELNS0_4arch9wavefront6targetE0EEEvT1_, .Lfunc_end2811-_ZN7rocprim17ROCPRIM_400000_NS6detail17trampoline_kernelINS0_14default_configENS1_25partition_config_selectorILNS1_17partition_subalgoE5EiNS0_10empty_typeEbEEZZNS1_14partition_implILS5_5ELb0ES3_mN6thrust23THRUST_200600_302600_NS6detail15normal_iteratorINSA_10device_ptrIiEEEEPS6_NSA_18transform_iteratorINSB_9not_fun_tI7is_trueIiEEENSC_INSD_IbEEEENSA_11use_defaultESO_EENS0_5tupleIJNSA_16discard_iteratorISO_EES6_EEENSQ_IJSG_SG_EEES6_PlJS6_EEE10hipError_tPvRmT3_T4_T5_T6_T7_T9_mT8_P12ihipStream_tbDpT10_ENKUlT_T0_E_clISt17integral_constantIbLb0EES1E_IbLb1EEEEDaS1A_S1B_EUlS1A_E_NS1_11comp_targetILNS1_3genE9ELNS1_11target_archE1100ELNS1_3gpuE3ELNS1_3repE0EEENS1_30default_config_static_selectorELNS0_4arch9wavefront6targetE0EEEvT1_
                                        ; -- End function
	.set _ZN7rocprim17ROCPRIM_400000_NS6detail17trampoline_kernelINS0_14default_configENS1_25partition_config_selectorILNS1_17partition_subalgoE5EiNS0_10empty_typeEbEEZZNS1_14partition_implILS5_5ELb0ES3_mN6thrust23THRUST_200600_302600_NS6detail15normal_iteratorINSA_10device_ptrIiEEEEPS6_NSA_18transform_iteratorINSB_9not_fun_tI7is_trueIiEEENSC_INSD_IbEEEENSA_11use_defaultESO_EENS0_5tupleIJNSA_16discard_iteratorISO_EES6_EEENSQ_IJSG_SG_EEES6_PlJS6_EEE10hipError_tPvRmT3_T4_T5_T6_T7_T9_mT8_P12ihipStream_tbDpT10_ENKUlT_T0_E_clISt17integral_constantIbLb0EES1E_IbLb1EEEEDaS1A_S1B_EUlS1A_E_NS1_11comp_targetILNS1_3genE9ELNS1_11target_archE1100ELNS1_3gpuE3ELNS1_3repE0EEENS1_30default_config_static_selectorELNS0_4arch9wavefront6targetE0EEEvT1_.num_vgpr, 0
	.set _ZN7rocprim17ROCPRIM_400000_NS6detail17trampoline_kernelINS0_14default_configENS1_25partition_config_selectorILNS1_17partition_subalgoE5EiNS0_10empty_typeEbEEZZNS1_14partition_implILS5_5ELb0ES3_mN6thrust23THRUST_200600_302600_NS6detail15normal_iteratorINSA_10device_ptrIiEEEEPS6_NSA_18transform_iteratorINSB_9not_fun_tI7is_trueIiEEENSC_INSD_IbEEEENSA_11use_defaultESO_EENS0_5tupleIJNSA_16discard_iteratorISO_EES6_EEENSQ_IJSG_SG_EEES6_PlJS6_EEE10hipError_tPvRmT3_T4_T5_T6_T7_T9_mT8_P12ihipStream_tbDpT10_ENKUlT_T0_E_clISt17integral_constantIbLb0EES1E_IbLb1EEEEDaS1A_S1B_EUlS1A_E_NS1_11comp_targetILNS1_3genE9ELNS1_11target_archE1100ELNS1_3gpuE3ELNS1_3repE0EEENS1_30default_config_static_selectorELNS0_4arch9wavefront6targetE0EEEvT1_.num_agpr, 0
	.set _ZN7rocprim17ROCPRIM_400000_NS6detail17trampoline_kernelINS0_14default_configENS1_25partition_config_selectorILNS1_17partition_subalgoE5EiNS0_10empty_typeEbEEZZNS1_14partition_implILS5_5ELb0ES3_mN6thrust23THRUST_200600_302600_NS6detail15normal_iteratorINSA_10device_ptrIiEEEEPS6_NSA_18transform_iteratorINSB_9not_fun_tI7is_trueIiEEENSC_INSD_IbEEEENSA_11use_defaultESO_EENS0_5tupleIJNSA_16discard_iteratorISO_EES6_EEENSQ_IJSG_SG_EEES6_PlJS6_EEE10hipError_tPvRmT3_T4_T5_T6_T7_T9_mT8_P12ihipStream_tbDpT10_ENKUlT_T0_E_clISt17integral_constantIbLb0EES1E_IbLb1EEEEDaS1A_S1B_EUlS1A_E_NS1_11comp_targetILNS1_3genE9ELNS1_11target_archE1100ELNS1_3gpuE3ELNS1_3repE0EEENS1_30default_config_static_selectorELNS0_4arch9wavefront6targetE0EEEvT1_.numbered_sgpr, 0
	.set _ZN7rocprim17ROCPRIM_400000_NS6detail17trampoline_kernelINS0_14default_configENS1_25partition_config_selectorILNS1_17partition_subalgoE5EiNS0_10empty_typeEbEEZZNS1_14partition_implILS5_5ELb0ES3_mN6thrust23THRUST_200600_302600_NS6detail15normal_iteratorINSA_10device_ptrIiEEEEPS6_NSA_18transform_iteratorINSB_9not_fun_tI7is_trueIiEEENSC_INSD_IbEEEENSA_11use_defaultESO_EENS0_5tupleIJNSA_16discard_iteratorISO_EES6_EEENSQ_IJSG_SG_EEES6_PlJS6_EEE10hipError_tPvRmT3_T4_T5_T6_T7_T9_mT8_P12ihipStream_tbDpT10_ENKUlT_T0_E_clISt17integral_constantIbLb0EES1E_IbLb1EEEEDaS1A_S1B_EUlS1A_E_NS1_11comp_targetILNS1_3genE9ELNS1_11target_archE1100ELNS1_3gpuE3ELNS1_3repE0EEENS1_30default_config_static_selectorELNS0_4arch9wavefront6targetE0EEEvT1_.num_named_barrier, 0
	.set _ZN7rocprim17ROCPRIM_400000_NS6detail17trampoline_kernelINS0_14default_configENS1_25partition_config_selectorILNS1_17partition_subalgoE5EiNS0_10empty_typeEbEEZZNS1_14partition_implILS5_5ELb0ES3_mN6thrust23THRUST_200600_302600_NS6detail15normal_iteratorINSA_10device_ptrIiEEEEPS6_NSA_18transform_iteratorINSB_9not_fun_tI7is_trueIiEEENSC_INSD_IbEEEENSA_11use_defaultESO_EENS0_5tupleIJNSA_16discard_iteratorISO_EES6_EEENSQ_IJSG_SG_EEES6_PlJS6_EEE10hipError_tPvRmT3_T4_T5_T6_T7_T9_mT8_P12ihipStream_tbDpT10_ENKUlT_T0_E_clISt17integral_constantIbLb0EES1E_IbLb1EEEEDaS1A_S1B_EUlS1A_E_NS1_11comp_targetILNS1_3genE9ELNS1_11target_archE1100ELNS1_3gpuE3ELNS1_3repE0EEENS1_30default_config_static_selectorELNS0_4arch9wavefront6targetE0EEEvT1_.private_seg_size, 0
	.set _ZN7rocprim17ROCPRIM_400000_NS6detail17trampoline_kernelINS0_14default_configENS1_25partition_config_selectorILNS1_17partition_subalgoE5EiNS0_10empty_typeEbEEZZNS1_14partition_implILS5_5ELb0ES3_mN6thrust23THRUST_200600_302600_NS6detail15normal_iteratorINSA_10device_ptrIiEEEEPS6_NSA_18transform_iteratorINSB_9not_fun_tI7is_trueIiEEENSC_INSD_IbEEEENSA_11use_defaultESO_EENS0_5tupleIJNSA_16discard_iteratorISO_EES6_EEENSQ_IJSG_SG_EEES6_PlJS6_EEE10hipError_tPvRmT3_T4_T5_T6_T7_T9_mT8_P12ihipStream_tbDpT10_ENKUlT_T0_E_clISt17integral_constantIbLb0EES1E_IbLb1EEEEDaS1A_S1B_EUlS1A_E_NS1_11comp_targetILNS1_3genE9ELNS1_11target_archE1100ELNS1_3gpuE3ELNS1_3repE0EEENS1_30default_config_static_selectorELNS0_4arch9wavefront6targetE0EEEvT1_.uses_vcc, 0
	.set _ZN7rocprim17ROCPRIM_400000_NS6detail17trampoline_kernelINS0_14default_configENS1_25partition_config_selectorILNS1_17partition_subalgoE5EiNS0_10empty_typeEbEEZZNS1_14partition_implILS5_5ELb0ES3_mN6thrust23THRUST_200600_302600_NS6detail15normal_iteratorINSA_10device_ptrIiEEEEPS6_NSA_18transform_iteratorINSB_9not_fun_tI7is_trueIiEEENSC_INSD_IbEEEENSA_11use_defaultESO_EENS0_5tupleIJNSA_16discard_iteratorISO_EES6_EEENSQ_IJSG_SG_EEES6_PlJS6_EEE10hipError_tPvRmT3_T4_T5_T6_T7_T9_mT8_P12ihipStream_tbDpT10_ENKUlT_T0_E_clISt17integral_constantIbLb0EES1E_IbLb1EEEEDaS1A_S1B_EUlS1A_E_NS1_11comp_targetILNS1_3genE9ELNS1_11target_archE1100ELNS1_3gpuE3ELNS1_3repE0EEENS1_30default_config_static_selectorELNS0_4arch9wavefront6targetE0EEEvT1_.uses_flat_scratch, 0
	.set _ZN7rocprim17ROCPRIM_400000_NS6detail17trampoline_kernelINS0_14default_configENS1_25partition_config_selectorILNS1_17partition_subalgoE5EiNS0_10empty_typeEbEEZZNS1_14partition_implILS5_5ELb0ES3_mN6thrust23THRUST_200600_302600_NS6detail15normal_iteratorINSA_10device_ptrIiEEEEPS6_NSA_18transform_iteratorINSB_9not_fun_tI7is_trueIiEEENSC_INSD_IbEEEENSA_11use_defaultESO_EENS0_5tupleIJNSA_16discard_iteratorISO_EES6_EEENSQ_IJSG_SG_EEES6_PlJS6_EEE10hipError_tPvRmT3_T4_T5_T6_T7_T9_mT8_P12ihipStream_tbDpT10_ENKUlT_T0_E_clISt17integral_constantIbLb0EES1E_IbLb1EEEEDaS1A_S1B_EUlS1A_E_NS1_11comp_targetILNS1_3genE9ELNS1_11target_archE1100ELNS1_3gpuE3ELNS1_3repE0EEENS1_30default_config_static_selectorELNS0_4arch9wavefront6targetE0EEEvT1_.has_dyn_sized_stack, 0
	.set _ZN7rocprim17ROCPRIM_400000_NS6detail17trampoline_kernelINS0_14default_configENS1_25partition_config_selectorILNS1_17partition_subalgoE5EiNS0_10empty_typeEbEEZZNS1_14partition_implILS5_5ELb0ES3_mN6thrust23THRUST_200600_302600_NS6detail15normal_iteratorINSA_10device_ptrIiEEEEPS6_NSA_18transform_iteratorINSB_9not_fun_tI7is_trueIiEEENSC_INSD_IbEEEENSA_11use_defaultESO_EENS0_5tupleIJNSA_16discard_iteratorISO_EES6_EEENSQ_IJSG_SG_EEES6_PlJS6_EEE10hipError_tPvRmT3_T4_T5_T6_T7_T9_mT8_P12ihipStream_tbDpT10_ENKUlT_T0_E_clISt17integral_constantIbLb0EES1E_IbLb1EEEEDaS1A_S1B_EUlS1A_E_NS1_11comp_targetILNS1_3genE9ELNS1_11target_archE1100ELNS1_3gpuE3ELNS1_3repE0EEENS1_30default_config_static_selectorELNS0_4arch9wavefront6targetE0EEEvT1_.has_recursion, 0
	.set _ZN7rocprim17ROCPRIM_400000_NS6detail17trampoline_kernelINS0_14default_configENS1_25partition_config_selectorILNS1_17partition_subalgoE5EiNS0_10empty_typeEbEEZZNS1_14partition_implILS5_5ELb0ES3_mN6thrust23THRUST_200600_302600_NS6detail15normal_iteratorINSA_10device_ptrIiEEEEPS6_NSA_18transform_iteratorINSB_9not_fun_tI7is_trueIiEEENSC_INSD_IbEEEENSA_11use_defaultESO_EENS0_5tupleIJNSA_16discard_iteratorISO_EES6_EEENSQ_IJSG_SG_EEES6_PlJS6_EEE10hipError_tPvRmT3_T4_T5_T6_T7_T9_mT8_P12ihipStream_tbDpT10_ENKUlT_T0_E_clISt17integral_constantIbLb0EES1E_IbLb1EEEEDaS1A_S1B_EUlS1A_E_NS1_11comp_targetILNS1_3genE9ELNS1_11target_archE1100ELNS1_3gpuE3ELNS1_3repE0EEENS1_30default_config_static_selectorELNS0_4arch9wavefront6targetE0EEEvT1_.has_indirect_call, 0
	.section	.AMDGPU.csdata,"",@progbits
; Kernel info:
; codeLenInByte = 0
; TotalNumSgprs: 0
; NumVgprs: 0
; ScratchSize: 0
; MemoryBound: 0
; FloatMode: 240
; IeeeMode: 1
; LDSByteSize: 0 bytes/workgroup (compile time only)
; SGPRBlocks: 0
; VGPRBlocks: 0
; NumSGPRsForWavesPerEU: 1
; NumVGPRsForWavesPerEU: 1
; Occupancy: 16
; WaveLimiterHint : 0
; COMPUTE_PGM_RSRC2:SCRATCH_EN: 0
; COMPUTE_PGM_RSRC2:USER_SGPR: 2
; COMPUTE_PGM_RSRC2:TRAP_HANDLER: 0
; COMPUTE_PGM_RSRC2:TGID_X_EN: 1
; COMPUTE_PGM_RSRC2:TGID_Y_EN: 0
; COMPUTE_PGM_RSRC2:TGID_Z_EN: 0
; COMPUTE_PGM_RSRC2:TIDIG_COMP_CNT: 0
	.section	.text._ZN7rocprim17ROCPRIM_400000_NS6detail17trampoline_kernelINS0_14default_configENS1_25partition_config_selectorILNS1_17partition_subalgoE5EiNS0_10empty_typeEbEEZZNS1_14partition_implILS5_5ELb0ES3_mN6thrust23THRUST_200600_302600_NS6detail15normal_iteratorINSA_10device_ptrIiEEEEPS6_NSA_18transform_iteratorINSB_9not_fun_tI7is_trueIiEEENSC_INSD_IbEEEENSA_11use_defaultESO_EENS0_5tupleIJNSA_16discard_iteratorISO_EES6_EEENSQ_IJSG_SG_EEES6_PlJS6_EEE10hipError_tPvRmT3_T4_T5_T6_T7_T9_mT8_P12ihipStream_tbDpT10_ENKUlT_T0_E_clISt17integral_constantIbLb0EES1E_IbLb1EEEEDaS1A_S1B_EUlS1A_E_NS1_11comp_targetILNS1_3genE8ELNS1_11target_archE1030ELNS1_3gpuE2ELNS1_3repE0EEENS1_30default_config_static_selectorELNS0_4arch9wavefront6targetE0EEEvT1_,"axG",@progbits,_ZN7rocprim17ROCPRIM_400000_NS6detail17trampoline_kernelINS0_14default_configENS1_25partition_config_selectorILNS1_17partition_subalgoE5EiNS0_10empty_typeEbEEZZNS1_14partition_implILS5_5ELb0ES3_mN6thrust23THRUST_200600_302600_NS6detail15normal_iteratorINSA_10device_ptrIiEEEEPS6_NSA_18transform_iteratorINSB_9not_fun_tI7is_trueIiEEENSC_INSD_IbEEEENSA_11use_defaultESO_EENS0_5tupleIJNSA_16discard_iteratorISO_EES6_EEENSQ_IJSG_SG_EEES6_PlJS6_EEE10hipError_tPvRmT3_T4_T5_T6_T7_T9_mT8_P12ihipStream_tbDpT10_ENKUlT_T0_E_clISt17integral_constantIbLb0EES1E_IbLb1EEEEDaS1A_S1B_EUlS1A_E_NS1_11comp_targetILNS1_3genE8ELNS1_11target_archE1030ELNS1_3gpuE2ELNS1_3repE0EEENS1_30default_config_static_selectorELNS0_4arch9wavefront6targetE0EEEvT1_,comdat
	.protected	_ZN7rocprim17ROCPRIM_400000_NS6detail17trampoline_kernelINS0_14default_configENS1_25partition_config_selectorILNS1_17partition_subalgoE5EiNS0_10empty_typeEbEEZZNS1_14partition_implILS5_5ELb0ES3_mN6thrust23THRUST_200600_302600_NS6detail15normal_iteratorINSA_10device_ptrIiEEEEPS6_NSA_18transform_iteratorINSB_9not_fun_tI7is_trueIiEEENSC_INSD_IbEEEENSA_11use_defaultESO_EENS0_5tupleIJNSA_16discard_iteratorISO_EES6_EEENSQ_IJSG_SG_EEES6_PlJS6_EEE10hipError_tPvRmT3_T4_T5_T6_T7_T9_mT8_P12ihipStream_tbDpT10_ENKUlT_T0_E_clISt17integral_constantIbLb0EES1E_IbLb1EEEEDaS1A_S1B_EUlS1A_E_NS1_11comp_targetILNS1_3genE8ELNS1_11target_archE1030ELNS1_3gpuE2ELNS1_3repE0EEENS1_30default_config_static_selectorELNS0_4arch9wavefront6targetE0EEEvT1_ ; -- Begin function _ZN7rocprim17ROCPRIM_400000_NS6detail17trampoline_kernelINS0_14default_configENS1_25partition_config_selectorILNS1_17partition_subalgoE5EiNS0_10empty_typeEbEEZZNS1_14partition_implILS5_5ELb0ES3_mN6thrust23THRUST_200600_302600_NS6detail15normal_iteratorINSA_10device_ptrIiEEEEPS6_NSA_18transform_iteratorINSB_9not_fun_tI7is_trueIiEEENSC_INSD_IbEEEENSA_11use_defaultESO_EENS0_5tupleIJNSA_16discard_iteratorISO_EES6_EEENSQ_IJSG_SG_EEES6_PlJS6_EEE10hipError_tPvRmT3_T4_T5_T6_T7_T9_mT8_P12ihipStream_tbDpT10_ENKUlT_T0_E_clISt17integral_constantIbLb0EES1E_IbLb1EEEEDaS1A_S1B_EUlS1A_E_NS1_11comp_targetILNS1_3genE8ELNS1_11target_archE1030ELNS1_3gpuE2ELNS1_3repE0EEENS1_30default_config_static_selectorELNS0_4arch9wavefront6targetE0EEEvT1_
	.globl	_ZN7rocprim17ROCPRIM_400000_NS6detail17trampoline_kernelINS0_14default_configENS1_25partition_config_selectorILNS1_17partition_subalgoE5EiNS0_10empty_typeEbEEZZNS1_14partition_implILS5_5ELb0ES3_mN6thrust23THRUST_200600_302600_NS6detail15normal_iteratorINSA_10device_ptrIiEEEEPS6_NSA_18transform_iteratorINSB_9not_fun_tI7is_trueIiEEENSC_INSD_IbEEEENSA_11use_defaultESO_EENS0_5tupleIJNSA_16discard_iteratorISO_EES6_EEENSQ_IJSG_SG_EEES6_PlJS6_EEE10hipError_tPvRmT3_T4_T5_T6_T7_T9_mT8_P12ihipStream_tbDpT10_ENKUlT_T0_E_clISt17integral_constantIbLb0EES1E_IbLb1EEEEDaS1A_S1B_EUlS1A_E_NS1_11comp_targetILNS1_3genE8ELNS1_11target_archE1030ELNS1_3gpuE2ELNS1_3repE0EEENS1_30default_config_static_selectorELNS0_4arch9wavefront6targetE0EEEvT1_
	.p2align	8
	.type	_ZN7rocprim17ROCPRIM_400000_NS6detail17trampoline_kernelINS0_14default_configENS1_25partition_config_selectorILNS1_17partition_subalgoE5EiNS0_10empty_typeEbEEZZNS1_14partition_implILS5_5ELb0ES3_mN6thrust23THRUST_200600_302600_NS6detail15normal_iteratorINSA_10device_ptrIiEEEEPS6_NSA_18transform_iteratorINSB_9not_fun_tI7is_trueIiEEENSC_INSD_IbEEEENSA_11use_defaultESO_EENS0_5tupleIJNSA_16discard_iteratorISO_EES6_EEENSQ_IJSG_SG_EEES6_PlJS6_EEE10hipError_tPvRmT3_T4_T5_T6_T7_T9_mT8_P12ihipStream_tbDpT10_ENKUlT_T0_E_clISt17integral_constantIbLb0EES1E_IbLb1EEEEDaS1A_S1B_EUlS1A_E_NS1_11comp_targetILNS1_3genE8ELNS1_11target_archE1030ELNS1_3gpuE2ELNS1_3repE0EEENS1_30default_config_static_selectorELNS0_4arch9wavefront6targetE0EEEvT1_,@function
_ZN7rocprim17ROCPRIM_400000_NS6detail17trampoline_kernelINS0_14default_configENS1_25partition_config_selectorILNS1_17partition_subalgoE5EiNS0_10empty_typeEbEEZZNS1_14partition_implILS5_5ELb0ES3_mN6thrust23THRUST_200600_302600_NS6detail15normal_iteratorINSA_10device_ptrIiEEEEPS6_NSA_18transform_iteratorINSB_9not_fun_tI7is_trueIiEEENSC_INSD_IbEEEENSA_11use_defaultESO_EENS0_5tupleIJNSA_16discard_iteratorISO_EES6_EEENSQ_IJSG_SG_EEES6_PlJS6_EEE10hipError_tPvRmT3_T4_T5_T6_T7_T9_mT8_P12ihipStream_tbDpT10_ENKUlT_T0_E_clISt17integral_constantIbLb0EES1E_IbLb1EEEEDaS1A_S1B_EUlS1A_E_NS1_11comp_targetILNS1_3genE8ELNS1_11target_archE1030ELNS1_3gpuE2ELNS1_3repE0EEENS1_30default_config_static_selectorELNS0_4arch9wavefront6targetE0EEEvT1_: ; @_ZN7rocprim17ROCPRIM_400000_NS6detail17trampoline_kernelINS0_14default_configENS1_25partition_config_selectorILNS1_17partition_subalgoE5EiNS0_10empty_typeEbEEZZNS1_14partition_implILS5_5ELb0ES3_mN6thrust23THRUST_200600_302600_NS6detail15normal_iteratorINSA_10device_ptrIiEEEEPS6_NSA_18transform_iteratorINSB_9not_fun_tI7is_trueIiEEENSC_INSD_IbEEEENSA_11use_defaultESO_EENS0_5tupleIJNSA_16discard_iteratorISO_EES6_EEENSQ_IJSG_SG_EEES6_PlJS6_EEE10hipError_tPvRmT3_T4_T5_T6_T7_T9_mT8_P12ihipStream_tbDpT10_ENKUlT_T0_E_clISt17integral_constantIbLb0EES1E_IbLb1EEEEDaS1A_S1B_EUlS1A_E_NS1_11comp_targetILNS1_3genE8ELNS1_11target_archE1030ELNS1_3gpuE2ELNS1_3repE0EEENS1_30default_config_static_selectorELNS0_4arch9wavefront6targetE0EEEvT1_
; %bb.0:
	.section	.rodata,"a",@progbits
	.p2align	6, 0x0
	.amdhsa_kernel _ZN7rocprim17ROCPRIM_400000_NS6detail17trampoline_kernelINS0_14default_configENS1_25partition_config_selectorILNS1_17partition_subalgoE5EiNS0_10empty_typeEbEEZZNS1_14partition_implILS5_5ELb0ES3_mN6thrust23THRUST_200600_302600_NS6detail15normal_iteratorINSA_10device_ptrIiEEEEPS6_NSA_18transform_iteratorINSB_9not_fun_tI7is_trueIiEEENSC_INSD_IbEEEENSA_11use_defaultESO_EENS0_5tupleIJNSA_16discard_iteratorISO_EES6_EEENSQ_IJSG_SG_EEES6_PlJS6_EEE10hipError_tPvRmT3_T4_T5_T6_T7_T9_mT8_P12ihipStream_tbDpT10_ENKUlT_T0_E_clISt17integral_constantIbLb0EES1E_IbLb1EEEEDaS1A_S1B_EUlS1A_E_NS1_11comp_targetILNS1_3genE8ELNS1_11target_archE1030ELNS1_3gpuE2ELNS1_3repE0EEENS1_30default_config_static_selectorELNS0_4arch9wavefront6targetE0EEEvT1_
		.amdhsa_group_segment_fixed_size 0
		.amdhsa_private_segment_fixed_size 0
		.amdhsa_kernarg_size 144
		.amdhsa_user_sgpr_count 2
		.amdhsa_user_sgpr_dispatch_ptr 0
		.amdhsa_user_sgpr_queue_ptr 0
		.amdhsa_user_sgpr_kernarg_segment_ptr 1
		.amdhsa_user_sgpr_dispatch_id 0
		.amdhsa_user_sgpr_private_segment_size 0
		.amdhsa_wavefront_size32 1
		.amdhsa_uses_dynamic_stack 0
		.amdhsa_enable_private_segment 0
		.amdhsa_system_sgpr_workgroup_id_x 1
		.amdhsa_system_sgpr_workgroup_id_y 0
		.amdhsa_system_sgpr_workgroup_id_z 0
		.amdhsa_system_sgpr_workgroup_info 0
		.amdhsa_system_vgpr_workitem_id 0
		.amdhsa_next_free_vgpr 1
		.amdhsa_next_free_sgpr 1
		.amdhsa_reserve_vcc 0
		.amdhsa_float_round_mode_32 0
		.amdhsa_float_round_mode_16_64 0
		.amdhsa_float_denorm_mode_32 3
		.amdhsa_float_denorm_mode_16_64 3
		.amdhsa_fp16_overflow 0
		.amdhsa_workgroup_processor_mode 1
		.amdhsa_memory_ordered 1
		.amdhsa_forward_progress 1
		.amdhsa_inst_pref_size 0
		.amdhsa_round_robin_scheduling 0
		.amdhsa_exception_fp_ieee_invalid_op 0
		.amdhsa_exception_fp_denorm_src 0
		.amdhsa_exception_fp_ieee_div_zero 0
		.amdhsa_exception_fp_ieee_overflow 0
		.amdhsa_exception_fp_ieee_underflow 0
		.amdhsa_exception_fp_ieee_inexact 0
		.amdhsa_exception_int_div_zero 0
	.end_amdhsa_kernel
	.section	.text._ZN7rocprim17ROCPRIM_400000_NS6detail17trampoline_kernelINS0_14default_configENS1_25partition_config_selectorILNS1_17partition_subalgoE5EiNS0_10empty_typeEbEEZZNS1_14partition_implILS5_5ELb0ES3_mN6thrust23THRUST_200600_302600_NS6detail15normal_iteratorINSA_10device_ptrIiEEEEPS6_NSA_18transform_iteratorINSB_9not_fun_tI7is_trueIiEEENSC_INSD_IbEEEENSA_11use_defaultESO_EENS0_5tupleIJNSA_16discard_iteratorISO_EES6_EEENSQ_IJSG_SG_EEES6_PlJS6_EEE10hipError_tPvRmT3_T4_T5_T6_T7_T9_mT8_P12ihipStream_tbDpT10_ENKUlT_T0_E_clISt17integral_constantIbLb0EES1E_IbLb1EEEEDaS1A_S1B_EUlS1A_E_NS1_11comp_targetILNS1_3genE8ELNS1_11target_archE1030ELNS1_3gpuE2ELNS1_3repE0EEENS1_30default_config_static_selectorELNS0_4arch9wavefront6targetE0EEEvT1_,"axG",@progbits,_ZN7rocprim17ROCPRIM_400000_NS6detail17trampoline_kernelINS0_14default_configENS1_25partition_config_selectorILNS1_17partition_subalgoE5EiNS0_10empty_typeEbEEZZNS1_14partition_implILS5_5ELb0ES3_mN6thrust23THRUST_200600_302600_NS6detail15normal_iteratorINSA_10device_ptrIiEEEEPS6_NSA_18transform_iteratorINSB_9not_fun_tI7is_trueIiEEENSC_INSD_IbEEEENSA_11use_defaultESO_EENS0_5tupleIJNSA_16discard_iteratorISO_EES6_EEENSQ_IJSG_SG_EEES6_PlJS6_EEE10hipError_tPvRmT3_T4_T5_T6_T7_T9_mT8_P12ihipStream_tbDpT10_ENKUlT_T0_E_clISt17integral_constantIbLb0EES1E_IbLb1EEEEDaS1A_S1B_EUlS1A_E_NS1_11comp_targetILNS1_3genE8ELNS1_11target_archE1030ELNS1_3gpuE2ELNS1_3repE0EEENS1_30default_config_static_selectorELNS0_4arch9wavefront6targetE0EEEvT1_,comdat
.Lfunc_end2812:
	.size	_ZN7rocprim17ROCPRIM_400000_NS6detail17trampoline_kernelINS0_14default_configENS1_25partition_config_selectorILNS1_17partition_subalgoE5EiNS0_10empty_typeEbEEZZNS1_14partition_implILS5_5ELb0ES3_mN6thrust23THRUST_200600_302600_NS6detail15normal_iteratorINSA_10device_ptrIiEEEEPS6_NSA_18transform_iteratorINSB_9not_fun_tI7is_trueIiEEENSC_INSD_IbEEEENSA_11use_defaultESO_EENS0_5tupleIJNSA_16discard_iteratorISO_EES6_EEENSQ_IJSG_SG_EEES6_PlJS6_EEE10hipError_tPvRmT3_T4_T5_T6_T7_T9_mT8_P12ihipStream_tbDpT10_ENKUlT_T0_E_clISt17integral_constantIbLb0EES1E_IbLb1EEEEDaS1A_S1B_EUlS1A_E_NS1_11comp_targetILNS1_3genE8ELNS1_11target_archE1030ELNS1_3gpuE2ELNS1_3repE0EEENS1_30default_config_static_selectorELNS0_4arch9wavefront6targetE0EEEvT1_, .Lfunc_end2812-_ZN7rocprim17ROCPRIM_400000_NS6detail17trampoline_kernelINS0_14default_configENS1_25partition_config_selectorILNS1_17partition_subalgoE5EiNS0_10empty_typeEbEEZZNS1_14partition_implILS5_5ELb0ES3_mN6thrust23THRUST_200600_302600_NS6detail15normal_iteratorINSA_10device_ptrIiEEEEPS6_NSA_18transform_iteratorINSB_9not_fun_tI7is_trueIiEEENSC_INSD_IbEEEENSA_11use_defaultESO_EENS0_5tupleIJNSA_16discard_iteratorISO_EES6_EEENSQ_IJSG_SG_EEES6_PlJS6_EEE10hipError_tPvRmT3_T4_T5_T6_T7_T9_mT8_P12ihipStream_tbDpT10_ENKUlT_T0_E_clISt17integral_constantIbLb0EES1E_IbLb1EEEEDaS1A_S1B_EUlS1A_E_NS1_11comp_targetILNS1_3genE8ELNS1_11target_archE1030ELNS1_3gpuE2ELNS1_3repE0EEENS1_30default_config_static_selectorELNS0_4arch9wavefront6targetE0EEEvT1_
                                        ; -- End function
	.set _ZN7rocprim17ROCPRIM_400000_NS6detail17trampoline_kernelINS0_14default_configENS1_25partition_config_selectorILNS1_17partition_subalgoE5EiNS0_10empty_typeEbEEZZNS1_14partition_implILS5_5ELb0ES3_mN6thrust23THRUST_200600_302600_NS6detail15normal_iteratorINSA_10device_ptrIiEEEEPS6_NSA_18transform_iteratorINSB_9not_fun_tI7is_trueIiEEENSC_INSD_IbEEEENSA_11use_defaultESO_EENS0_5tupleIJNSA_16discard_iteratorISO_EES6_EEENSQ_IJSG_SG_EEES6_PlJS6_EEE10hipError_tPvRmT3_T4_T5_T6_T7_T9_mT8_P12ihipStream_tbDpT10_ENKUlT_T0_E_clISt17integral_constantIbLb0EES1E_IbLb1EEEEDaS1A_S1B_EUlS1A_E_NS1_11comp_targetILNS1_3genE8ELNS1_11target_archE1030ELNS1_3gpuE2ELNS1_3repE0EEENS1_30default_config_static_selectorELNS0_4arch9wavefront6targetE0EEEvT1_.num_vgpr, 0
	.set _ZN7rocprim17ROCPRIM_400000_NS6detail17trampoline_kernelINS0_14default_configENS1_25partition_config_selectorILNS1_17partition_subalgoE5EiNS0_10empty_typeEbEEZZNS1_14partition_implILS5_5ELb0ES3_mN6thrust23THRUST_200600_302600_NS6detail15normal_iteratorINSA_10device_ptrIiEEEEPS6_NSA_18transform_iteratorINSB_9not_fun_tI7is_trueIiEEENSC_INSD_IbEEEENSA_11use_defaultESO_EENS0_5tupleIJNSA_16discard_iteratorISO_EES6_EEENSQ_IJSG_SG_EEES6_PlJS6_EEE10hipError_tPvRmT3_T4_T5_T6_T7_T9_mT8_P12ihipStream_tbDpT10_ENKUlT_T0_E_clISt17integral_constantIbLb0EES1E_IbLb1EEEEDaS1A_S1B_EUlS1A_E_NS1_11comp_targetILNS1_3genE8ELNS1_11target_archE1030ELNS1_3gpuE2ELNS1_3repE0EEENS1_30default_config_static_selectorELNS0_4arch9wavefront6targetE0EEEvT1_.num_agpr, 0
	.set _ZN7rocprim17ROCPRIM_400000_NS6detail17trampoline_kernelINS0_14default_configENS1_25partition_config_selectorILNS1_17partition_subalgoE5EiNS0_10empty_typeEbEEZZNS1_14partition_implILS5_5ELb0ES3_mN6thrust23THRUST_200600_302600_NS6detail15normal_iteratorINSA_10device_ptrIiEEEEPS6_NSA_18transform_iteratorINSB_9not_fun_tI7is_trueIiEEENSC_INSD_IbEEEENSA_11use_defaultESO_EENS0_5tupleIJNSA_16discard_iteratorISO_EES6_EEENSQ_IJSG_SG_EEES6_PlJS6_EEE10hipError_tPvRmT3_T4_T5_T6_T7_T9_mT8_P12ihipStream_tbDpT10_ENKUlT_T0_E_clISt17integral_constantIbLb0EES1E_IbLb1EEEEDaS1A_S1B_EUlS1A_E_NS1_11comp_targetILNS1_3genE8ELNS1_11target_archE1030ELNS1_3gpuE2ELNS1_3repE0EEENS1_30default_config_static_selectorELNS0_4arch9wavefront6targetE0EEEvT1_.numbered_sgpr, 0
	.set _ZN7rocprim17ROCPRIM_400000_NS6detail17trampoline_kernelINS0_14default_configENS1_25partition_config_selectorILNS1_17partition_subalgoE5EiNS0_10empty_typeEbEEZZNS1_14partition_implILS5_5ELb0ES3_mN6thrust23THRUST_200600_302600_NS6detail15normal_iteratorINSA_10device_ptrIiEEEEPS6_NSA_18transform_iteratorINSB_9not_fun_tI7is_trueIiEEENSC_INSD_IbEEEENSA_11use_defaultESO_EENS0_5tupleIJNSA_16discard_iteratorISO_EES6_EEENSQ_IJSG_SG_EEES6_PlJS6_EEE10hipError_tPvRmT3_T4_T5_T6_T7_T9_mT8_P12ihipStream_tbDpT10_ENKUlT_T0_E_clISt17integral_constantIbLb0EES1E_IbLb1EEEEDaS1A_S1B_EUlS1A_E_NS1_11comp_targetILNS1_3genE8ELNS1_11target_archE1030ELNS1_3gpuE2ELNS1_3repE0EEENS1_30default_config_static_selectorELNS0_4arch9wavefront6targetE0EEEvT1_.num_named_barrier, 0
	.set _ZN7rocprim17ROCPRIM_400000_NS6detail17trampoline_kernelINS0_14default_configENS1_25partition_config_selectorILNS1_17partition_subalgoE5EiNS0_10empty_typeEbEEZZNS1_14partition_implILS5_5ELb0ES3_mN6thrust23THRUST_200600_302600_NS6detail15normal_iteratorINSA_10device_ptrIiEEEEPS6_NSA_18transform_iteratorINSB_9not_fun_tI7is_trueIiEEENSC_INSD_IbEEEENSA_11use_defaultESO_EENS0_5tupleIJNSA_16discard_iteratorISO_EES6_EEENSQ_IJSG_SG_EEES6_PlJS6_EEE10hipError_tPvRmT3_T4_T5_T6_T7_T9_mT8_P12ihipStream_tbDpT10_ENKUlT_T0_E_clISt17integral_constantIbLb0EES1E_IbLb1EEEEDaS1A_S1B_EUlS1A_E_NS1_11comp_targetILNS1_3genE8ELNS1_11target_archE1030ELNS1_3gpuE2ELNS1_3repE0EEENS1_30default_config_static_selectorELNS0_4arch9wavefront6targetE0EEEvT1_.private_seg_size, 0
	.set _ZN7rocprim17ROCPRIM_400000_NS6detail17trampoline_kernelINS0_14default_configENS1_25partition_config_selectorILNS1_17partition_subalgoE5EiNS0_10empty_typeEbEEZZNS1_14partition_implILS5_5ELb0ES3_mN6thrust23THRUST_200600_302600_NS6detail15normal_iteratorINSA_10device_ptrIiEEEEPS6_NSA_18transform_iteratorINSB_9not_fun_tI7is_trueIiEEENSC_INSD_IbEEEENSA_11use_defaultESO_EENS0_5tupleIJNSA_16discard_iteratorISO_EES6_EEENSQ_IJSG_SG_EEES6_PlJS6_EEE10hipError_tPvRmT3_T4_T5_T6_T7_T9_mT8_P12ihipStream_tbDpT10_ENKUlT_T0_E_clISt17integral_constantIbLb0EES1E_IbLb1EEEEDaS1A_S1B_EUlS1A_E_NS1_11comp_targetILNS1_3genE8ELNS1_11target_archE1030ELNS1_3gpuE2ELNS1_3repE0EEENS1_30default_config_static_selectorELNS0_4arch9wavefront6targetE0EEEvT1_.uses_vcc, 0
	.set _ZN7rocprim17ROCPRIM_400000_NS6detail17trampoline_kernelINS0_14default_configENS1_25partition_config_selectorILNS1_17partition_subalgoE5EiNS0_10empty_typeEbEEZZNS1_14partition_implILS5_5ELb0ES3_mN6thrust23THRUST_200600_302600_NS6detail15normal_iteratorINSA_10device_ptrIiEEEEPS6_NSA_18transform_iteratorINSB_9not_fun_tI7is_trueIiEEENSC_INSD_IbEEEENSA_11use_defaultESO_EENS0_5tupleIJNSA_16discard_iteratorISO_EES6_EEENSQ_IJSG_SG_EEES6_PlJS6_EEE10hipError_tPvRmT3_T4_T5_T6_T7_T9_mT8_P12ihipStream_tbDpT10_ENKUlT_T0_E_clISt17integral_constantIbLb0EES1E_IbLb1EEEEDaS1A_S1B_EUlS1A_E_NS1_11comp_targetILNS1_3genE8ELNS1_11target_archE1030ELNS1_3gpuE2ELNS1_3repE0EEENS1_30default_config_static_selectorELNS0_4arch9wavefront6targetE0EEEvT1_.uses_flat_scratch, 0
	.set _ZN7rocprim17ROCPRIM_400000_NS6detail17trampoline_kernelINS0_14default_configENS1_25partition_config_selectorILNS1_17partition_subalgoE5EiNS0_10empty_typeEbEEZZNS1_14partition_implILS5_5ELb0ES3_mN6thrust23THRUST_200600_302600_NS6detail15normal_iteratorINSA_10device_ptrIiEEEEPS6_NSA_18transform_iteratorINSB_9not_fun_tI7is_trueIiEEENSC_INSD_IbEEEENSA_11use_defaultESO_EENS0_5tupleIJNSA_16discard_iteratorISO_EES6_EEENSQ_IJSG_SG_EEES6_PlJS6_EEE10hipError_tPvRmT3_T4_T5_T6_T7_T9_mT8_P12ihipStream_tbDpT10_ENKUlT_T0_E_clISt17integral_constantIbLb0EES1E_IbLb1EEEEDaS1A_S1B_EUlS1A_E_NS1_11comp_targetILNS1_3genE8ELNS1_11target_archE1030ELNS1_3gpuE2ELNS1_3repE0EEENS1_30default_config_static_selectorELNS0_4arch9wavefront6targetE0EEEvT1_.has_dyn_sized_stack, 0
	.set _ZN7rocprim17ROCPRIM_400000_NS6detail17trampoline_kernelINS0_14default_configENS1_25partition_config_selectorILNS1_17partition_subalgoE5EiNS0_10empty_typeEbEEZZNS1_14partition_implILS5_5ELb0ES3_mN6thrust23THRUST_200600_302600_NS6detail15normal_iteratorINSA_10device_ptrIiEEEEPS6_NSA_18transform_iteratorINSB_9not_fun_tI7is_trueIiEEENSC_INSD_IbEEEENSA_11use_defaultESO_EENS0_5tupleIJNSA_16discard_iteratorISO_EES6_EEENSQ_IJSG_SG_EEES6_PlJS6_EEE10hipError_tPvRmT3_T4_T5_T6_T7_T9_mT8_P12ihipStream_tbDpT10_ENKUlT_T0_E_clISt17integral_constantIbLb0EES1E_IbLb1EEEEDaS1A_S1B_EUlS1A_E_NS1_11comp_targetILNS1_3genE8ELNS1_11target_archE1030ELNS1_3gpuE2ELNS1_3repE0EEENS1_30default_config_static_selectorELNS0_4arch9wavefront6targetE0EEEvT1_.has_recursion, 0
	.set _ZN7rocprim17ROCPRIM_400000_NS6detail17trampoline_kernelINS0_14default_configENS1_25partition_config_selectorILNS1_17partition_subalgoE5EiNS0_10empty_typeEbEEZZNS1_14partition_implILS5_5ELb0ES3_mN6thrust23THRUST_200600_302600_NS6detail15normal_iteratorINSA_10device_ptrIiEEEEPS6_NSA_18transform_iteratorINSB_9not_fun_tI7is_trueIiEEENSC_INSD_IbEEEENSA_11use_defaultESO_EENS0_5tupleIJNSA_16discard_iteratorISO_EES6_EEENSQ_IJSG_SG_EEES6_PlJS6_EEE10hipError_tPvRmT3_T4_T5_T6_T7_T9_mT8_P12ihipStream_tbDpT10_ENKUlT_T0_E_clISt17integral_constantIbLb0EES1E_IbLb1EEEEDaS1A_S1B_EUlS1A_E_NS1_11comp_targetILNS1_3genE8ELNS1_11target_archE1030ELNS1_3gpuE2ELNS1_3repE0EEENS1_30default_config_static_selectorELNS0_4arch9wavefront6targetE0EEEvT1_.has_indirect_call, 0
	.section	.AMDGPU.csdata,"",@progbits
; Kernel info:
; codeLenInByte = 0
; TotalNumSgprs: 0
; NumVgprs: 0
; ScratchSize: 0
; MemoryBound: 0
; FloatMode: 240
; IeeeMode: 1
; LDSByteSize: 0 bytes/workgroup (compile time only)
; SGPRBlocks: 0
; VGPRBlocks: 0
; NumSGPRsForWavesPerEU: 1
; NumVGPRsForWavesPerEU: 1
; Occupancy: 16
; WaveLimiterHint : 0
; COMPUTE_PGM_RSRC2:SCRATCH_EN: 0
; COMPUTE_PGM_RSRC2:USER_SGPR: 2
; COMPUTE_PGM_RSRC2:TRAP_HANDLER: 0
; COMPUTE_PGM_RSRC2:TGID_X_EN: 1
; COMPUTE_PGM_RSRC2:TGID_Y_EN: 0
; COMPUTE_PGM_RSRC2:TGID_Z_EN: 0
; COMPUTE_PGM_RSRC2:TIDIG_COMP_CNT: 0
	.section	.text._ZN7rocprim17ROCPRIM_400000_NS6detail17trampoline_kernelINS0_14default_configENS1_25partition_config_selectorILNS1_17partition_subalgoE5EsNS0_10empty_typeEbEEZZNS1_14partition_implILS5_5ELb0ES3_mN6thrust23THRUST_200600_302600_NS6detail15normal_iteratorINSA_10device_ptrIsEEEEPS6_NSA_18transform_iteratorINSB_9not_fun_tI7is_trueIsEEENSC_INSD_IbEEEENSA_11use_defaultESO_EENS0_5tupleIJNSA_16discard_iteratorISO_EES6_EEENSQ_IJSG_SG_EEES6_PlJS6_EEE10hipError_tPvRmT3_T4_T5_T6_T7_T9_mT8_P12ihipStream_tbDpT10_ENKUlT_T0_E_clISt17integral_constantIbLb0EES1F_EEDaS1A_S1B_EUlS1A_E_NS1_11comp_targetILNS1_3genE0ELNS1_11target_archE4294967295ELNS1_3gpuE0ELNS1_3repE0EEENS1_30default_config_static_selectorELNS0_4arch9wavefront6targetE0EEEvT1_,"axG",@progbits,_ZN7rocprim17ROCPRIM_400000_NS6detail17trampoline_kernelINS0_14default_configENS1_25partition_config_selectorILNS1_17partition_subalgoE5EsNS0_10empty_typeEbEEZZNS1_14partition_implILS5_5ELb0ES3_mN6thrust23THRUST_200600_302600_NS6detail15normal_iteratorINSA_10device_ptrIsEEEEPS6_NSA_18transform_iteratorINSB_9not_fun_tI7is_trueIsEEENSC_INSD_IbEEEENSA_11use_defaultESO_EENS0_5tupleIJNSA_16discard_iteratorISO_EES6_EEENSQ_IJSG_SG_EEES6_PlJS6_EEE10hipError_tPvRmT3_T4_T5_T6_T7_T9_mT8_P12ihipStream_tbDpT10_ENKUlT_T0_E_clISt17integral_constantIbLb0EES1F_EEDaS1A_S1B_EUlS1A_E_NS1_11comp_targetILNS1_3genE0ELNS1_11target_archE4294967295ELNS1_3gpuE0ELNS1_3repE0EEENS1_30default_config_static_selectorELNS0_4arch9wavefront6targetE0EEEvT1_,comdat
	.protected	_ZN7rocprim17ROCPRIM_400000_NS6detail17trampoline_kernelINS0_14default_configENS1_25partition_config_selectorILNS1_17partition_subalgoE5EsNS0_10empty_typeEbEEZZNS1_14partition_implILS5_5ELb0ES3_mN6thrust23THRUST_200600_302600_NS6detail15normal_iteratorINSA_10device_ptrIsEEEEPS6_NSA_18transform_iteratorINSB_9not_fun_tI7is_trueIsEEENSC_INSD_IbEEEENSA_11use_defaultESO_EENS0_5tupleIJNSA_16discard_iteratorISO_EES6_EEENSQ_IJSG_SG_EEES6_PlJS6_EEE10hipError_tPvRmT3_T4_T5_T6_T7_T9_mT8_P12ihipStream_tbDpT10_ENKUlT_T0_E_clISt17integral_constantIbLb0EES1F_EEDaS1A_S1B_EUlS1A_E_NS1_11comp_targetILNS1_3genE0ELNS1_11target_archE4294967295ELNS1_3gpuE0ELNS1_3repE0EEENS1_30default_config_static_selectorELNS0_4arch9wavefront6targetE0EEEvT1_ ; -- Begin function _ZN7rocprim17ROCPRIM_400000_NS6detail17trampoline_kernelINS0_14default_configENS1_25partition_config_selectorILNS1_17partition_subalgoE5EsNS0_10empty_typeEbEEZZNS1_14partition_implILS5_5ELb0ES3_mN6thrust23THRUST_200600_302600_NS6detail15normal_iteratorINSA_10device_ptrIsEEEEPS6_NSA_18transform_iteratorINSB_9not_fun_tI7is_trueIsEEENSC_INSD_IbEEEENSA_11use_defaultESO_EENS0_5tupleIJNSA_16discard_iteratorISO_EES6_EEENSQ_IJSG_SG_EEES6_PlJS6_EEE10hipError_tPvRmT3_T4_T5_T6_T7_T9_mT8_P12ihipStream_tbDpT10_ENKUlT_T0_E_clISt17integral_constantIbLb0EES1F_EEDaS1A_S1B_EUlS1A_E_NS1_11comp_targetILNS1_3genE0ELNS1_11target_archE4294967295ELNS1_3gpuE0ELNS1_3repE0EEENS1_30default_config_static_selectorELNS0_4arch9wavefront6targetE0EEEvT1_
	.globl	_ZN7rocprim17ROCPRIM_400000_NS6detail17trampoline_kernelINS0_14default_configENS1_25partition_config_selectorILNS1_17partition_subalgoE5EsNS0_10empty_typeEbEEZZNS1_14partition_implILS5_5ELb0ES3_mN6thrust23THRUST_200600_302600_NS6detail15normal_iteratorINSA_10device_ptrIsEEEEPS6_NSA_18transform_iteratorINSB_9not_fun_tI7is_trueIsEEENSC_INSD_IbEEEENSA_11use_defaultESO_EENS0_5tupleIJNSA_16discard_iteratorISO_EES6_EEENSQ_IJSG_SG_EEES6_PlJS6_EEE10hipError_tPvRmT3_T4_T5_T6_T7_T9_mT8_P12ihipStream_tbDpT10_ENKUlT_T0_E_clISt17integral_constantIbLb0EES1F_EEDaS1A_S1B_EUlS1A_E_NS1_11comp_targetILNS1_3genE0ELNS1_11target_archE4294967295ELNS1_3gpuE0ELNS1_3repE0EEENS1_30default_config_static_selectorELNS0_4arch9wavefront6targetE0EEEvT1_
	.p2align	8
	.type	_ZN7rocprim17ROCPRIM_400000_NS6detail17trampoline_kernelINS0_14default_configENS1_25partition_config_selectorILNS1_17partition_subalgoE5EsNS0_10empty_typeEbEEZZNS1_14partition_implILS5_5ELb0ES3_mN6thrust23THRUST_200600_302600_NS6detail15normal_iteratorINSA_10device_ptrIsEEEEPS6_NSA_18transform_iteratorINSB_9not_fun_tI7is_trueIsEEENSC_INSD_IbEEEENSA_11use_defaultESO_EENS0_5tupleIJNSA_16discard_iteratorISO_EES6_EEENSQ_IJSG_SG_EEES6_PlJS6_EEE10hipError_tPvRmT3_T4_T5_T6_T7_T9_mT8_P12ihipStream_tbDpT10_ENKUlT_T0_E_clISt17integral_constantIbLb0EES1F_EEDaS1A_S1B_EUlS1A_E_NS1_11comp_targetILNS1_3genE0ELNS1_11target_archE4294967295ELNS1_3gpuE0ELNS1_3repE0EEENS1_30default_config_static_selectorELNS0_4arch9wavefront6targetE0EEEvT1_,@function
_ZN7rocprim17ROCPRIM_400000_NS6detail17trampoline_kernelINS0_14default_configENS1_25partition_config_selectorILNS1_17partition_subalgoE5EsNS0_10empty_typeEbEEZZNS1_14partition_implILS5_5ELb0ES3_mN6thrust23THRUST_200600_302600_NS6detail15normal_iteratorINSA_10device_ptrIsEEEEPS6_NSA_18transform_iteratorINSB_9not_fun_tI7is_trueIsEEENSC_INSD_IbEEEENSA_11use_defaultESO_EENS0_5tupleIJNSA_16discard_iteratorISO_EES6_EEENSQ_IJSG_SG_EEES6_PlJS6_EEE10hipError_tPvRmT3_T4_T5_T6_T7_T9_mT8_P12ihipStream_tbDpT10_ENKUlT_T0_E_clISt17integral_constantIbLb0EES1F_EEDaS1A_S1B_EUlS1A_E_NS1_11comp_targetILNS1_3genE0ELNS1_11target_archE4294967295ELNS1_3gpuE0ELNS1_3repE0EEENS1_30default_config_static_selectorELNS0_4arch9wavefront6targetE0EEEvT1_: ; @_ZN7rocprim17ROCPRIM_400000_NS6detail17trampoline_kernelINS0_14default_configENS1_25partition_config_selectorILNS1_17partition_subalgoE5EsNS0_10empty_typeEbEEZZNS1_14partition_implILS5_5ELb0ES3_mN6thrust23THRUST_200600_302600_NS6detail15normal_iteratorINSA_10device_ptrIsEEEEPS6_NSA_18transform_iteratorINSB_9not_fun_tI7is_trueIsEEENSC_INSD_IbEEEENSA_11use_defaultESO_EENS0_5tupleIJNSA_16discard_iteratorISO_EES6_EEENSQ_IJSG_SG_EEES6_PlJS6_EEE10hipError_tPvRmT3_T4_T5_T6_T7_T9_mT8_P12ihipStream_tbDpT10_ENKUlT_T0_E_clISt17integral_constantIbLb0EES1F_EEDaS1A_S1B_EUlS1A_E_NS1_11comp_targetILNS1_3genE0ELNS1_11target_archE4294967295ELNS1_3gpuE0ELNS1_3repE0EEENS1_30default_config_static_selectorELNS0_4arch9wavefront6targetE0EEEvT1_
; %bb.0:
	.section	.rodata,"a",@progbits
	.p2align	6, 0x0
	.amdhsa_kernel _ZN7rocprim17ROCPRIM_400000_NS6detail17trampoline_kernelINS0_14default_configENS1_25partition_config_selectorILNS1_17partition_subalgoE5EsNS0_10empty_typeEbEEZZNS1_14partition_implILS5_5ELb0ES3_mN6thrust23THRUST_200600_302600_NS6detail15normal_iteratorINSA_10device_ptrIsEEEEPS6_NSA_18transform_iteratorINSB_9not_fun_tI7is_trueIsEEENSC_INSD_IbEEEENSA_11use_defaultESO_EENS0_5tupleIJNSA_16discard_iteratorISO_EES6_EEENSQ_IJSG_SG_EEES6_PlJS6_EEE10hipError_tPvRmT3_T4_T5_T6_T7_T9_mT8_P12ihipStream_tbDpT10_ENKUlT_T0_E_clISt17integral_constantIbLb0EES1F_EEDaS1A_S1B_EUlS1A_E_NS1_11comp_targetILNS1_3genE0ELNS1_11target_archE4294967295ELNS1_3gpuE0ELNS1_3repE0EEENS1_30default_config_static_selectorELNS0_4arch9wavefront6targetE0EEEvT1_
		.amdhsa_group_segment_fixed_size 0
		.amdhsa_private_segment_fixed_size 0
		.amdhsa_kernarg_size 128
		.amdhsa_user_sgpr_count 2
		.amdhsa_user_sgpr_dispatch_ptr 0
		.amdhsa_user_sgpr_queue_ptr 0
		.amdhsa_user_sgpr_kernarg_segment_ptr 1
		.amdhsa_user_sgpr_dispatch_id 0
		.amdhsa_user_sgpr_private_segment_size 0
		.amdhsa_wavefront_size32 1
		.amdhsa_uses_dynamic_stack 0
		.amdhsa_enable_private_segment 0
		.amdhsa_system_sgpr_workgroup_id_x 1
		.amdhsa_system_sgpr_workgroup_id_y 0
		.amdhsa_system_sgpr_workgroup_id_z 0
		.amdhsa_system_sgpr_workgroup_info 0
		.amdhsa_system_vgpr_workitem_id 0
		.amdhsa_next_free_vgpr 1
		.amdhsa_next_free_sgpr 1
		.amdhsa_reserve_vcc 0
		.amdhsa_float_round_mode_32 0
		.amdhsa_float_round_mode_16_64 0
		.amdhsa_float_denorm_mode_32 3
		.amdhsa_float_denorm_mode_16_64 3
		.amdhsa_fp16_overflow 0
		.amdhsa_workgroup_processor_mode 1
		.amdhsa_memory_ordered 1
		.amdhsa_forward_progress 1
		.amdhsa_inst_pref_size 0
		.amdhsa_round_robin_scheduling 0
		.amdhsa_exception_fp_ieee_invalid_op 0
		.amdhsa_exception_fp_denorm_src 0
		.amdhsa_exception_fp_ieee_div_zero 0
		.amdhsa_exception_fp_ieee_overflow 0
		.amdhsa_exception_fp_ieee_underflow 0
		.amdhsa_exception_fp_ieee_inexact 0
		.amdhsa_exception_int_div_zero 0
	.end_amdhsa_kernel
	.section	.text._ZN7rocprim17ROCPRIM_400000_NS6detail17trampoline_kernelINS0_14default_configENS1_25partition_config_selectorILNS1_17partition_subalgoE5EsNS0_10empty_typeEbEEZZNS1_14partition_implILS5_5ELb0ES3_mN6thrust23THRUST_200600_302600_NS6detail15normal_iteratorINSA_10device_ptrIsEEEEPS6_NSA_18transform_iteratorINSB_9not_fun_tI7is_trueIsEEENSC_INSD_IbEEEENSA_11use_defaultESO_EENS0_5tupleIJNSA_16discard_iteratorISO_EES6_EEENSQ_IJSG_SG_EEES6_PlJS6_EEE10hipError_tPvRmT3_T4_T5_T6_T7_T9_mT8_P12ihipStream_tbDpT10_ENKUlT_T0_E_clISt17integral_constantIbLb0EES1F_EEDaS1A_S1B_EUlS1A_E_NS1_11comp_targetILNS1_3genE0ELNS1_11target_archE4294967295ELNS1_3gpuE0ELNS1_3repE0EEENS1_30default_config_static_selectorELNS0_4arch9wavefront6targetE0EEEvT1_,"axG",@progbits,_ZN7rocprim17ROCPRIM_400000_NS6detail17trampoline_kernelINS0_14default_configENS1_25partition_config_selectorILNS1_17partition_subalgoE5EsNS0_10empty_typeEbEEZZNS1_14partition_implILS5_5ELb0ES3_mN6thrust23THRUST_200600_302600_NS6detail15normal_iteratorINSA_10device_ptrIsEEEEPS6_NSA_18transform_iteratorINSB_9not_fun_tI7is_trueIsEEENSC_INSD_IbEEEENSA_11use_defaultESO_EENS0_5tupleIJNSA_16discard_iteratorISO_EES6_EEENSQ_IJSG_SG_EEES6_PlJS6_EEE10hipError_tPvRmT3_T4_T5_T6_T7_T9_mT8_P12ihipStream_tbDpT10_ENKUlT_T0_E_clISt17integral_constantIbLb0EES1F_EEDaS1A_S1B_EUlS1A_E_NS1_11comp_targetILNS1_3genE0ELNS1_11target_archE4294967295ELNS1_3gpuE0ELNS1_3repE0EEENS1_30default_config_static_selectorELNS0_4arch9wavefront6targetE0EEEvT1_,comdat
.Lfunc_end2813:
	.size	_ZN7rocprim17ROCPRIM_400000_NS6detail17trampoline_kernelINS0_14default_configENS1_25partition_config_selectorILNS1_17partition_subalgoE5EsNS0_10empty_typeEbEEZZNS1_14partition_implILS5_5ELb0ES3_mN6thrust23THRUST_200600_302600_NS6detail15normal_iteratorINSA_10device_ptrIsEEEEPS6_NSA_18transform_iteratorINSB_9not_fun_tI7is_trueIsEEENSC_INSD_IbEEEENSA_11use_defaultESO_EENS0_5tupleIJNSA_16discard_iteratorISO_EES6_EEENSQ_IJSG_SG_EEES6_PlJS6_EEE10hipError_tPvRmT3_T4_T5_T6_T7_T9_mT8_P12ihipStream_tbDpT10_ENKUlT_T0_E_clISt17integral_constantIbLb0EES1F_EEDaS1A_S1B_EUlS1A_E_NS1_11comp_targetILNS1_3genE0ELNS1_11target_archE4294967295ELNS1_3gpuE0ELNS1_3repE0EEENS1_30default_config_static_selectorELNS0_4arch9wavefront6targetE0EEEvT1_, .Lfunc_end2813-_ZN7rocprim17ROCPRIM_400000_NS6detail17trampoline_kernelINS0_14default_configENS1_25partition_config_selectorILNS1_17partition_subalgoE5EsNS0_10empty_typeEbEEZZNS1_14partition_implILS5_5ELb0ES3_mN6thrust23THRUST_200600_302600_NS6detail15normal_iteratorINSA_10device_ptrIsEEEEPS6_NSA_18transform_iteratorINSB_9not_fun_tI7is_trueIsEEENSC_INSD_IbEEEENSA_11use_defaultESO_EENS0_5tupleIJNSA_16discard_iteratorISO_EES6_EEENSQ_IJSG_SG_EEES6_PlJS6_EEE10hipError_tPvRmT3_T4_T5_T6_T7_T9_mT8_P12ihipStream_tbDpT10_ENKUlT_T0_E_clISt17integral_constantIbLb0EES1F_EEDaS1A_S1B_EUlS1A_E_NS1_11comp_targetILNS1_3genE0ELNS1_11target_archE4294967295ELNS1_3gpuE0ELNS1_3repE0EEENS1_30default_config_static_selectorELNS0_4arch9wavefront6targetE0EEEvT1_
                                        ; -- End function
	.set _ZN7rocprim17ROCPRIM_400000_NS6detail17trampoline_kernelINS0_14default_configENS1_25partition_config_selectorILNS1_17partition_subalgoE5EsNS0_10empty_typeEbEEZZNS1_14partition_implILS5_5ELb0ES3_mN6thrust23THRUST_200600_302600_NS6detail15normal_iteratorINSA_10device_ptrIsEEEEPS6_NSA_18transform_iteratorINSB_9not_fun_tI7is_trueIsEEENSC_INSD_IbEEEENSA_11use_defaultESO_EENS0_5tupleIJNSA_16discard_iteratorISO_EES6_EEENSQ_IJSG_SG_EEES6_PlJS6_EEE10hipError_tPvRmT3_T4_T5_T6_T7_T9_mT8_P12ihipStream_tbDpT10_ENKUlT_T0_E_clISt17integral_constantIbLb0EES1F_EEDaS1A_S1B_EUlS1A_E_NS1_11comp_targetILNS1_3genE0ELNS1_11target_archE4294967295ELNS1_3gpuE0ELNS1_3repE0EEENS1_30default_config_static_selectorELNS0_4arch9wavefront6targetE0EEEvT1_.num_vgpr, 0
	.set _ZN7rocprim17ROCPRIM_400000_NS6detail17trampoline_kernelINS0_14default_configENS1_25partition_config_selectorILNS1_17partition_subalgoE5EsNS0_10empty_typeEbEEZZNS1_14partition_implILS5_5ELb0ES3_mN6thrust23THRUST_200600_302600_NS6detail15normal_iteratorINSA_10device_ptrIsEEEEPS6_NSA_18transform_iteratorINSB_9not_fun_tI7is_trueIsEEENSC_INSD_IbEEEENSA_11use_defaultESO_EENS0_5tupleIJNSA_16discard_iteratorISO_EES6_EEENSQ_IJSG_SG_EEES6_PlJS6_EEE10hipError_tPvRmT3_T4_T5_T6_T7_T9_mT8_P12ihipStream_tbDpT10_ENKUlT_T0_E_clISt17integral_constantIbLb0EES1F_EEDaS1A_S1B_EUlS1A_E_NS1_11comp_targetILNS1_3genE0ELNS1_11target_archE4294967295ELNS1_3gpuE0ELNS1_3repE0EEENS1_30default_config_static_selectorELNS0_4arch9wavefront6targetE0EEEvT1_.num_agpr, 0
	.set _ZN7rocprim17ROCPRIM_400000_NS6detail17trampoline_kernelINS0_14default_configENS1_25partition_config_selectorILNS1_17partition_subalgoE5EsNS0_10empty_typeEbEEZZNS1_14partition_implILS5_5ELb0ES3_mN6thrust23THRUST_200600_302600_NS6detail15normal_iteratorINSA_10device_ptrIsEEEEPS6_NSA_18transform_iteratorINSB_9not_fun_tI7is_trueIsEEENSC_INSD_IbEEEENSA_11use_defaultESO_EENS0_5tupleIJNSA_16discard_iteratorISO_EES6_EEENSQ_IJSG_SG_EEES6_PlJS6_EEE10hipError_tPvRmT3_T4_T5_T6_T7_T9_mT8_P12ihipStream_tbDpT10_ENKUlT_T0_E_clISt17integral_constantIbLb0EES1F_EEDaS1A_S1B_EUlS1A_E_NS1_11comp_targetILNS1_3genE0ELNS1_11target_archE4294967295ELNS1_3gpuE0ELNS1_3repE0EEENS1_30default_config_static_selectorELNS0_4arch9wavefront6targetE0EEEvT1_.numbered_sgpr, 0
	.set _ZN7rocprim17ROCPRIM_400000_NS6detail17trampoline_kernelINS0_14default_configENS1_25partition_config_selectorILNS1_17partition_subalgoE5EsNS0_10empty_typeEbEEZZNS1_14partition_implILS5_5ELb0ES3_mN6thrust23THRUST_200600_302600_NS6detail15normal_iteratorINSA_10device_ptrIsEEEEPS6_NSA_18transform_iteratorINSB_9not_fun_tI7is_trueIsEEENSC_INSD_IbEEEENSA_11use_defaultESO_EENS0_5tupleIJNSA_16discard_iteratorISO_EES6_EEENSQ_IJSG_SG_EEES6_PlJS6_EEE10hipError_tPvRmT3_T4_T5_T6_T7_T9_mT8_P12ihipStream_tbDpT10_ENKUlT_T0_E_clISt17integral_constantIbLb0EES1F_EEDaS1A_S1B_EUlS1A_E_NS1_11comp_targetILNS1_3genE0ELNS1_11target_archE4294967295ELNS1_3gpuE0ELNS1_3repE0EEENS1_30default_config_static_selectorELNS0_4arch9wavefront6targetE0EEEvT1_.num_named_barrier, 0
	.set _ZN7rocprim17ROCPRIM_400000_NS6detail17trampoline_kernelINS0_14default_configENS1_25partition_config_selectorILNS1_17partition_subalgoE5EsNS0_10empty_typeEbEEZZNS1_14partition_implILS5_5ELb0ES3_mN6thrust23THRUST_200600_302600_NS6detail15normal_iteratorINSA_10device_ptrIsEEEEPS6_NSA_18transform_iteratorINSB_9not_fun_tI7is_trueIsEEENSC_INSD_IbEEEENSA_11use_defaultESO_EENS0_5tupleIJNSA_16discard_iteratorISO_EES6_EEENSQ_IJSG_SG_EEES6_PlJS6_EEE10hipError_tPvRmT3_T4_T5_T6_T7_T9_mT8_P12ihipStream_tbDpT10_ENKUlT_T0_E_clISt17integral_constantIbLb0EES1F_EEDaS1A_S1B_EUlS1A_E_NS1_11comp_targetILNS1_3genE0ELNS1_11target_archE4294967295ELNS1_3gpuE0ELNS1_3repE0EEENS1_30default_config_static_selectorELNS0_4arch9wavefront6targetE0EEEvT1_.private_seg_size, 0
	.set _ZN7rocprim17ROCPRIM_400000_NS6detail17trampoline_kernelINS0_14default_configENS1_25partition_config_selectorILNS1_17partition_subalgoE5EsNS0_10empty_typeEbEEZZNS1_14partition_implILS5_5ELb0ES3_mN6thrust23THRUST_200600_302600_NS6detail15normal_iteratorINSA_10device_ptrIsEEEEPS6_NSA_18transform_iteratorINSB_9not_fun_tI7is_trueIsEEENSC_INSD_IbEEEENSA_11use_defaultESO_EENS0_5tupleIJNSA_16discard_iteratorISO_EES6_EEENSQ_IJSG_SG_EEES6_PlJS6_EEE10hipError_tPvRmT3_T4_T5_T6_T7_T9_mT8_P12ihipStream_tbDpT10_ENKUlT_T0_E_clISt17integral_constantIbLb0EES1F_EEDaS1A_S1B_EUlS1A_E_NS1_11comp_targetILNS1_3genE0ELNS1_11target_archE4294967295ELNS1_3gpuE0ELNS1_3repE0EEENS1_30default_config_static_selectorELNS0_4arch9wavefront6targetE0EEEvT1_.uses_vcc, 0
	.set _ZN7rocprim17ROCPRIM_400000_NS6detail17trampoline_kernelINS0_14default_configENS1_25partition_config_selectorILNS1_17partition_subalgoE5EsNS0_10empty_typeEbEEZZNS1_14partition_implILS5_5ELb0ES3_mN6thrust23THRUST_200600_302600_NS6detail15normal_iteratorINSA_10device_ptrIsEEEEPS6_NSA_18transform_iteratorINSB_9not_fun_tI7is_trueIsEEENSC_INSD_IbEEEENSA_11use_defaultESO_EENS0_5tupleIJNSA_16discard_iteratorISO_EES6_EEENSQ_IJSG_SG_EEES6_PlJS6_EEE10hipError_tPvRmT3_T4_T5_T6_T7_T9_mT8_P12ihipStream_tbDpT10_ENKUlT_T0_E_clISt17integral_constantIbLb0EES1F_EEDaS1A_S1B_EUlS1A_E_NS1_11comp_targetILNS1_3genE0ELNS1_11target_archE4294967295ELNS1_3gpuE0ELNS1_3repE0EEENS1_30default_config_static_selectorELNS0_4arch9wavefront6targetE0EEEvT1_.uses_flat_scratch, 0
	.set _ZN7rocprim17ROCPRIM_400000_NS6detail17trampoline_kernelINS0_14default_configENS1_25partition_config_selectorILNS1_17partition_subalgoE5EsNS0_10empty_typeEbEEZZNS1_14partition_implILS5_5ELb0ES3_mN6thrust23THRUST_200600_302600_NS6detail15normal_iteratorINSA_10device_ptrIsEEEEPS6_NSA_18transform_iteratorINSB_9not_fun_tI7is_trueIsEEENSC_INSD_IbEEEENSA_11use_defaultESO_EENS0_5tupleIJNSA_16discard_iteratorISO_EES6_EEENSQ_IJSG_SG_EEES6_PlJS6_EEE10hipError_tPvRmT3_T4_T5_T6_T7_T9_mT8_P12ihipStream_tbDpT10_ENKUlT_T0_E_clISt17integral_constantIbLb0EES1F_EEDaS1A_S1B_EUlS1A_E_NS1_11comp_targetILNS1_3genE0ELNS1_11target_archE4294967295ELNS1_3gpuE0ELNS1_3repE0EEENS1_30default_config_static_selectorELNS0_4arch9wavefront6targetE0EEEvT1_.has_dyn_sized_stack, 0
	.set _ZN7rocprim17ROCPRIM_400000_NS6detail17trampoline_kernelINS0_14default_configENS1_25partition_config_selectorILNS1_17partition_subalgoE5EsNS0_10empty_typeEbEEZZNS1_14partition_implILS5_5ELb0ES3_mN6thrust23THRUST_200600_302600_NS6detail15normal_iteratorINSA_10device_ptrIsEEEEPS6_NSA_18transform_iteratorINSB_9not_fun_tI7is_trueIsEEENSC_INSD_IbEEEENSA_11use_defaultESO_EENS0_5tupleIJNSA_16discard_iteratorISO_EES6_EEENSQ_IJSG_SG_EEES6_PlJS6_EEE10hipError_tPvRmT3_T4_T5_T6_T7_T9_mT8_P12ihipStream_tbDpT10_ENKUlT_T0_E_clISt17integral_constantIbLb0EES1F_EEDaS1A_S1B_EUlS1A_E_NS1_11comp_targetILNS1_3genE0ELNS1_11target_archE4294967295ELNS1_3gpuE0ELNS1_3repE0EEENS1_30default_config_static_selectorELNS0_4arch9wavefront6targetE0EEEvT1_.has_recursion, 0
	.set _ZN7rocprim17ROCPRIM_400000_NS6detail17trampoline_kernelINS0_14default_configENS1_25partition_config_selectorILNS1_17partition_subalgoE5EsNS0_10empty_typeEbEEZZNS1_14partition_implILS5_5ELb0ES3_mN6thrust23THRUST_200600_302600_NS6detail15normal_iteratorINSA_10device_ptrIsEEEEPS6_NSA_18transform_iteratorINSB_9not_fun_tI7is_trueIsEEENSC_INSD_IbEEEENSA_11use_defaultESO_EENS0_5tupleIJNSA_16discard_iteratorISO_EES6_EEENSQ_IJSG_SG_EEES6_PlJS6_EEE10hipError_tPvRmT3_T4_T5_T6_T7_T9_mT8_P12ihipStream_tbDpT10_ENKUlT_T0_E_clISt17integral_constantIbLb0EES1F_EEDaS1A_S1B_EUlS1A_E_NS1_11comp_targetILNS1_3genE0ELNS1_11target_archE4294967295ELNS1_3gpuE0ELNS1_3repE0EEENS1_30default_config_static_selectorELNS0_4arch9wavefront6targetE0EEEvT1_.has_indirect_call, 0
	.section	.AMDGPU.csdata,"",@progbits
; Kernel info:
; codeLenInByte = 0
; TotalNumSgprs: 0
; NumVgprs: 0
; ScratchSize: 0
; MemoryBound: 0
; FloatMode: 240
; IeeeMode: 1
; LDSByteSize: 0 bytes/workgroup (compile time only)
; SGPRBlocks: 0
; VGPRBlocks: 0
; NumSGPRsForWavesPerEU: 1
; NumVGPRsForWavesPerEU: 1
; Occupancy: 16
; WaveLimiterHint : 0
; COMPUTE_PGM_RSRC2:SCRATCH_EN: 0
; COMPUTE_PGM_RSRC2:USER_SGPR: 2
; COMPUTE_PGM_RSRC2:TRAP_HANDLER: 0
; COMPUTE_PGM_RSRC2:TGID_X_EN: 1
; COMPUTE_PGM_RSRC2:TGID_Y_EN: 0
; COMPUTE_PGM_RSRC2:TGID_Z_EN: 0
; COMPUTE_PGM_RSRC2:TIDIG_COMP_CNT: 0
	.section	.text._ZN7rocprim17ROCPRIM_400000_NS6detail17trampoline_kernelINS0_14default_configENS1_25partition_config_selectorILNS1_17partition_subalgoE5EsNS0_10empty_typeEbEEZZNS1_14partition_implILS5_5ELb0ES3_mN6thrust23THRUST_200600_302600_NS6detail15normal_iteratorINSA_10device_ptrIsEEEEPS6_NSA_18transform_iteratorINSB_9not_fun_tI7is_trueIsEEENSC_INSD_IbEEEENSA_11use_defaultESO_EENS0_5tupleIJNSA_16discard_iteratorISO_EES6_EEENSQ_IJSG_SG_EEES6_PlJS6_EEE10hipError_tPvRmT3_T4_T5_T6_T7_T9_mT8_P12ihipStream_tbDpT10_ENKUlT_T0_E_clISt17integral_constantIbLb0EES1F_EEDaS1A_S1B_EUlS1A_E_NS1_11comp_targetILNS1_3genE5ELNS1_11target_archE942ELNS1_3gpuE9ELNS1_3repE0EEENS1_30default_config_static_selectorELNS0_4arch9wavefront6targetE0EEEvT1_,"axG",@progbits,_ZN7rocprim17ROCPRIM_400000_NS6detail17trampoline_kernelINS0_14default_configENS1_25partition_config_selectorILNS1_17partition_subalgoE5EsNS0_10empty_typeEbEEZZNS1_14partition_implILS5_5ELb0ES3_mN6thrust23THRUST_200600_302600_NS6detail15normal_iteratorINSA_10device_ptrIsEEEEPS6_NSA_18transform_iteratorINSB_9not_fun_tI7is_trueIsEEENSC_INSD_IbEEEENSA_11use_defaultESO_EENS0_5tupleIJNSA_16discard_iteratorISO_EES6_EEENSQ_IJSG_SG_EEES6_PlJS6_EEE10hipError_tPvRmT3_T4_T5_T6_T7_T9_mT8_P12ihipStream_tbDpT10_ENKUlT_T0_E_clISt17integral_constantIbLb0EES1F_EEDaS1A_S1B_EUlS1A_E_NS1_11comp_targetILNS1_3genE5ELNS1_11target_archE942ELNS1_3gpuE9ELNS1_3repE0EEENS1_30default_config_static_selectorELNS0_4arch9wavefront6targetE0EEEvT1_,comdat
	.protected	_ZN7rocprim17ROCPRIM_400000_NS6detail17trampoline_kernelINS0_14default_configENS1_25partition_config_selectorILNS1_17partition_subalgoE5EsNS0_10empty_typeEbEEZZNS1_14partition_implILS5_5ELb0ES3_mN6thrust23THRUST_200600_302600_NS6detail15normal_iteratorINSA_10device_ptrIsEEEEPS6_NSA_18transform_iteratorINSB_9not_fun_tI7is_trueIsEEENSC_INSD_IbEEEENSA_11use_defaultESO_EENS0_5tupleIJNSA_16discard_iteratorISO_EES6_EEENSQ_IJSG_SG_EEES6_PlJS6_EEE10hipError_tPvRmT3_T4_T5_T6_T7_T9_mT8_P12ihipStream_tbDpT10_ENKUlT_T0_E_clISt17integral_constantIbLb0EES1F_EEDaS1A_S1B_EUlS1A_E_NS1_11comp_targetILNS1_3genE5ELNS1_11target_archE942ELNS1_3gpuE9ELNS1_3repE0EEENS1_30default_config_static_selectorELNS0_4arch9wavefront6targetE0EEEvT1_ ; -- Begin function _ZN7rocprim17ROCPRIM_400000_NS6detail17trampoline_kernelINS0_14default_configENS1_25partition_config_selectorILNS1_17partition_subalgoE5EsNS0_10empty_typeEbEEZZNS1_14partition_implILS5_5ELb0ES3_mN6thrust23THRUST_200600_302600_NS6detail15normal_iteratorINSA_10device_ptrIsEEEEPS6_NSA_18transform_iteratorINSB_9not_fun_tI7is_trueIsEEENSC_INSD_IbEEEENSA_11use_defaultESO_EENS0_5tupleIJNSA_16discard_iteratorISO_EES6_EEENSQ_IJSG_SG_EEES6_PlJS6_EEE10hipError_tPvRmT3_T4_T5_T6_T7_T9_mT8_P12ihipStream_tbDpT10_ENKUlT_T0_E_clISt17integral_constantIbLb0EES1F_EEDaS1A_S1B_EUlS1A_E_NS1_11comp_targetILNS1_3genE5ELNS1_11target_archE942ELNS1_3gpuE9ELNS1_3repE0EEENS1_30default_config_static_selectorELNS0_4arch9wavefront6targetE0EEEvT1_
	.globl	_ZN7rocprim17ROCPRIM_400000_NS6detail17trampoline_kernelINS0_14default_configENS1_25partition_config_selectorILNS1_17partition_subalgoE5EsNS0_10empty_typeEbEEZZNS1_14partition_implILS5_5ELb0ES3_mN6thrust23THRUST_200600_302600_NS6detail15normal_iteratorINSA_10device_ptrIsEEEEPS6_NSA_18transform_iteratorINSB_9not_fun_tI7is_trueIsEEENSC_INSD_IbEEEENSA_11use_defaultESO_EENS0_5tupleIJNSA_16discard_iteratorISO_EES6_EEENSQ_IJSG_SG_EEES6_PlJS6_EEE10hipError_tPvRmT3_T4_T5_T6_T7_T9_mT8_P12ihipStream_tbDpT10_ENKUlT_T0_E_clISt17integral_constantIbLb0EES1F_EEDaS1A_S1B_EUlS1A_E_NS1_11comp_targetILNS1_3genE5ELNS1_11target_archE942ELNS1_3gpuE9ELNS1_3repE0EEENS1_30default_config_static_selectorELNS0_4arch9wavefront6targetE0EEEvT1_
	.p2align	8
	.type	_ZN7rocprim17ROCPRIM_400000_NS6detail17trampoline_kernelINS0_14default_configENS1_25partition_config_selectorILNS1_17partition_subalgoE5EsNS0_10empty_typeEbEEZZNS1_14partition_implILS5_5ELb0ES3_mN6thrust23THRUST_200600_302600_NS6detail15normal_iteratorINSA_10device_ptrIsEEEEPS6_NSA_18transform_iteratorINSB_9not_fun_tI7is_trueIsEEENSC_INSD_IbEEEENSA_11use_defaultESO_EENS0_5tupleIJNSA_16discard_iteratorISO_EES6_EEENSQ_IJSG_SG_EEES6_PlJS6_EEE10hipError_tPvRmT3_T4_T5_T6_T7_T9_mT8_P12ihipStream_tbDpT10_ENKUlT_T0_E_clISt17integral_constantIbLb0EES1F_EEDaS1A_S1B_EUlS1A_E_NS1_11comp_targetILNS1_3genE5ELNS1_11target_archE942ELNS1_3gpuE9ELNS1_3repE0EEENS1_30default_config_static_selectorELNS0_4arch9wavefront6targetE0EEEvT1_,@function
_ZN7rocprim17ROCPRIM_400000_NS6detail17trampoline_kernelINS0_14default_configENS1_25partition_config_selectorILNS1_17partition_subalgoE5EsNS0_10empty_typeEbEEZZNS1_14partition_implILS5_5ELb0ES3_mN6thrust23THRUST_200600_302600_NS6detail15normal_iteratorINSA_10device_ptrIsEEEEPS6_NSA_18transform_iteratorINSB_9not_fun_tI7is_trueIsEEENSC_INSD_IbEEEENSA_11use_defaultESO_EENS0_5tupleIJNSA_16discard_iteratorISO_EES6_EEENSQ_IJSG_SG_EEES6_PlJS6_EEE10hipError_tPvRmT3_T4_T5_T6_T7_T9_mT8_P12ihipStream_tbDpT10_ENKUlT_T0_E_clISt17integral_constantIbLb0EES1F_EEDaS1A_S1B_EUlS1A_E_NS1_11comp_targetILNS1_3genE5ELNS1_11target_archE942ELNS1_3gpuE9ELNS1_3repE0EEENS1_30default_config_static_selectorELNS0_4arch9wavefront6targetE0EEEvT1_: ; @_ZN7rocprim17ROCPRIM_400000_NS6detail17trampoline_kernelINS0_14default_configENS1_25partition_config_selectorILNS1_17partition_subalgoE5EsNS0_10empty_typeEbEEZZNS1_14partition_implILS5_5ELb0ES3_mN6thrust23THRUST_200600_302600_NS6detail15normal_iteratorINSA_10device_ptrIsEEEEPS6_NSA_18transform_iteratorINSB_9not_fun_tI7is_trueIsEEENSC_INSD_IbEEEENSA_11use_defaultESO_EENS0_5tupleIJNSA_16discard_iteratorISO_EES6_EEENSQ_IJSG_SG_EEES6_PlJS6_EEE10hipError_tPvRmT3_T4_T5_T6_T7_T9_mT8_P12ihipStream_tbDpT10_ENKUlT_T0_E_clISt17integral_constantIbLb0EES1F_EEDaS1A_S1B_EUlS1A_E_NS1_11comp_targetILNS1_3genE5ELNS1_11target_archE942ELNS1_3gpuE9ELNS1_3repE0EEENS1_30default_config_static_selectorELNS0_4arch9wavefront6targetE0EEEvT1_
; %bb.0:
	.section	.rodata,"a",@progbits
	.p2align	6, 0x0
	.amdhsa_kernel _ZN7rocprim17ROCPRIM_400000_NS6detail17trampoline_kernelINS0_14default_configENS1_25partition_config_selectorILNS1_17partition_subalgoE5EsNS0_10empty_typeEbEEZZNS1_14partition_implILS5_5ELb0ES3_mN6thrust23THRUST_200600_302600_NS6detail15normal_iteratorINSA_10device_ptrIsEEEEPS6_NSA_18transform_iteratorINSB_9not_fun_tI7is_trueIsEEENSC_INSD_IbEEEENSA_11use_defaultESO_EENS0_5tupleIJNSA_16discard_iteratorISO_EES6_EEENSQ_IJSG_SG_EEES6_PlJS6_EEE10hipError_tPvRmT3_T4_T5_T6_T7_T9_mT8_P12ihipStream_tbDpT10_ENKUlT_T0_E_clISt17integral_constantIbLb0EES1F_EEDaS1A_S1B_EUlS1A_E_NS1_11comp_targetILNS1_3genE5ELNS1_11target_archE942ELNS1_3gpuE9ELNS1_3repE0EEENS1_30default_config_static_selectorELNS0_4arch9wavefront6targetE0EEEvT1_
		.amdhsa_group_segment_fixed_size 0
		.amdhsa_private_segment_fixed_size 0
		.amdhsa_kernarg_size 128
		.amdhsa_user_sgpr_count 2
		.amdhsa_user_sgpr_dispatch_ptr 0
		.amdhsa_user_sgpr_queue_ptr 0
		.amdhsa_user_sgpr_kernarg_segment_ptr 1
		.amdhsa_user_sgpr_dispatch_id 0
		.amdhsa_user_sgpr_private_segment_size 0
		.amdhsa_wavefront_size32 1
		.amdhsa_uses_dynamic_stack 0
		.amdhsa_enable_private_segment 0
		.amdhsa_system_sgpr_workgroup_id_x 1
		.amdhsa_system_sgpr_workgroup_id_y 0
		.amdhsa_system_sgpr_workgroup_id_z 0
		.amdhsa_system_sgpr_workgroup_info 0
		.amdhsa_system_vgpr_workitem_id 0
		.amdhsa_next_free_vgpr 1
		.amdhsa_next_free_sgpr 1
		.amdhsa_reserve_vcc 0
		.amdhsa_float_round_mode_32 0
		.amdhsa_float_round_mode_16_64 0
		.amdhsa_float_denorm_mode_32 3
		.amdhsa_float_denorm_mode_16_64 3
		.amdhsa_fp16_overflow 0
		.amdhsa_workgroup_processor_mode 1
		.amdhsa_memory_ordered 1
		.amdhsa_forward_progress 1
		.amdhsa_inst_pref_size 0
		.amdhsa_round_robin_scheduling 0
		.amdhsa_exception_fp_ieee_invalid_op 0
		.amdhsa_exception_fp_denorm_src 0
		.amdhsa_exception_fp_ieee_div_zero 0
		.amdhsa_exception_fp_ieee_overflow 0
		.amdhsa_exception_fp_ieee_underflow 0
		.amdhsa_exception_fp_ieee_inexact 0
		.amdhsa_exception_int_div_zero 0
	.end_amdhsa_kernel
	.section	.text._ZN7rocprim17ROCPRIM_400000_NS6detail17trampoline_kernelINS0_14default_configENS1_25partition_config_selectorILNS1_17partition_subalgoE5EsNS0_10empty_typeEbEEZZNS1_14partition_implILS5_5ELb0ES3_mN6thrust23THRUST_200600_302600_NS6detail15normal_iteratorINSA_10device_ptrIsEEEEPS6_NSA_18transform_iteratorINSB_9not_fun_tI7is_trueIsEEENSC_INSD_IbEEEENSA_11use_defaultESO_EENS0_5tupleIJNSA_16discard_iteratorISO_EES6_EEENSQ_IJSG_SG_EEES6_PlJS6_EEE10hipError_tPvRmT3_T4_T5_T6_T7_T9_mT8_P12ihipStream_tbDpT10_ENKUlT_T0_E_clISt17integral_constantIbLb0EES1F_EEDaS1A_S1B_EUlS1A_E_NS1_11comp_targetILNS1_3genE5ELNS1_11target_archE942ELNS1_3gpuE9ELNS1_3repE0EEENS1_30default_config_static_selectorELNS0_4arch9wavefront6targetE0EEEvT1_,"axG",@progbits,_ZN7rocprim17ROCPRIM_400000_NS6detail17trampoline_kernelINS0_14default_configENS1_25partition_config_selectorILNS1_17partition_subalgoE5EsNS0_10empty_typeEbEEZZNS1_14partition_implILS5_5ELb0ES3_mN6thrust23THRUST_200600_302600_NS6detail15normal_iteratorINSA_10device_ptrIsEEEEPS6_NSA_18transform_iteratorINSB_9not_fun_tI7is_trueIsEEENSC_INSD_IbEEEENSA_11use_defaultESO_EENS0_5tupleIJNSA_16discard_iteratorISO_EES6_EEENSQ_IJSG_SG_EEES6_PlJS6_EEE10hipError_tPvRmT3_T4_T5_T6_T7_T9_mT8_P12ihipStream_tbDpT10_ENKUlT_T0_E_clISt17integral_constantIbLb0EES1F_EEDaS1A_S1B_EUlS1A_E_NS1_11comp_targetILNS1_3genE5ELNS1_11target_archE942ELNS1_3gpuE9ELNS1_3repE0EEENS1_30default_config_static_selectorELNS0_4arch9wavefront6targetE0EEEvT1_,comdat
.Lfunc_end2814:
	.size	_ZN7rocprim17ROCPRIM_400000_NS6detail17trampoline_kernelINS0_14default_configENS1_25partition_config_selectorILNS1_17partition_subalgoE5EsNS0_10empty_typeEbEEZZNS1_14partition_implILS5_5ELb0ES3_mN6thrust23THRUST_200600_302600_NS6detail15normal_iteratorINSA_10device_ptrIsEEEEPS6_NSA_18transform_iteratorINSB_9not_fun_tI7is_trueIsEEENSC_INSD_IbEEEENSA_11use_defaultESO_EENS0_5tupleIJNSA_16discard_iteratorISO_EES6_EEENSQ_IJSG_SG_EEES6_PlJS6_EEE10hipError_tPvRmT3_T4_T5_T6_T7_T9_mT8_P12ihipStream_tbDpT10_ENKUlT_T0_E_clISt17integral_constantIbLb0EES1F_EEDaS1A_S1B_EUlS1A_E_NS1_11comp_targetILNS1_3genE5ELNS1_11target_archE942ELNS1_3gpuE9ELNS1_3repE0EEENS1_30default_config_static_selectorELNS0_4arch9wavefront6targetE0EEEvT1_, .Lfunc_end2814-_ZN7rocprim17ROCPRIM_400000_NS6detail17trampoline_kernelINS0_14default_configENS1_25partition_config_selectorILNS1_17partition_subalgoE5EsNS0_10empty_typeEbEEZZNS1_14partition_implILS5_5ELb0ES3_mN6thrust23THRUST_200600_302600_NS6detail15normal_iteratorINSA_10device_ptrIsEEEEPS6_NSA_18transform_iteratorINSB_9not_fun_tI7is_trueIsEEENSC_INSD_IbEEEENSA_11use_defaultESO_EENS0_5tupleIJNSA_16discard_iteratorISO_EES6_EEENSQ_IJSG_SG_EEES6_PlJS6_EEE10hipError_tPvRmT3_T4_T5_T6_T7_T9_mT8_P12ihipStream_tbDpT10_ENKUlT_T0_E_clISt17integral_constantIbLb0EES1F_EEDaS1A_S1B_EUlS1A_E_NS1_11comp_targetILNS1_3genE5ELNS1_11target_archE942ELNS1_3gpuE9ELNS1_3repE0EEENS1_30default_config_static_selectorELNS0_4arch9wavefront6targetE0EEEvT1_
                                        ; -- End function
	.set _ZN7rocprim17ROCPRIM_400000_NS6detail17trampoline_kernelINS0_14default_configENS1_25partition_config_selectorILNS1_17partition_subalgoE5EsNS0_10empty_typeEbEEZZNS1_14partition_implILS5_5ELb0ES3_mN6thrust23THRUST_200600_302600_NS6detail15normal_iteratorINSA_10device_ptrIsEEEEPS6_NSA_18transform_iteratorINSB_9not_fun_tI7is_trueIsEEENSC_INSD_IbEEEENSA_11use_defaultESO_EENS0_5tupleIJNSA_16discard_iteratorISO_EES6_EEENSQ_IJSG_SG_EEES6_PlJS6_EEE10hipError_tPvRmT3_T4_T5_T6_T7_T9_mT8_P12ihipStream_tbDpT10_ENKUlT_T0_E_clISt17integral_constantIbLb0EES1F_EEDaS1A_S1B_EUlS1A_E_NS1_11comp_targetILNS1_3genE5ELNS1_11target_archE942ELNS1_3gpuE9ELNS1_3repE0EEENS1_30default_config_static_selectorELNS0_4arch9wavefront6targetE0EEEvT1_.num_vgpr, 0
	.set _ZN7rocprim17ROCPRIM_400000_NS6detail17trampoline_kernelINS0_14default_configENS1_25partition_config_selectorILNS1_17partition_subalgoE5EsNS0_10empty_typeEbEEZZNS1_14partition_implILS5_5ELb0ES3_mN6thrust23THRUST_200600_302600_NS6detail15normal_iteratorINSA_10device_ptrIsEEEEPS6_NSA_18transform_iteratorINSB_9not_fun_tI7is_trueIsEEENSC_INSD_IbEEEENSA_11use_defaultESO_EENS0_5tupleIJNSA_16discard_iteratorISO_EES6_EEENSQ_IJSG_SG_EEES6_PlJS6_EEE10hipError_tPvRmT3_T4_T5_T6_T7_T9_mT8_P12ihipStream_tbDpT10_ENKUlT_T0_E_clISt17integral_constantIbLb0EES1F_EEDaS1A_S1B_EUlS1A_E_NS1_11comp_targetILNS1_3genE5ELNS1_11target_archE942ELNS1_3gpuE9ELNS1_3repE0EEENS1_30default_config_static_selectorELNS0_4arch9wavefront6targetE0EEEvT1_.num_agpr, 0
	.set _ZN7rocprim17ROCPRIM_400000_NS6detail17trampoline_kernelINS0_14default_configENS1_25partition_config_selectorILNS1_17partition_subalgoE5EsNS0_10empty_typeEbEEZZNS1_14partition_implILS5_5ELb0ES3_mN6thrust23THRUST_200600_302600_NS6detail15normal_iteratorINSA_10device_ptrIsEEEEPS6_NSA_18transform_iteratorINSB_9not_fun_tI7is_trueIsEEENSC_INSD_IbEEEENSA_11use_defaultESO_EENS0_5tupleIJNSA_16discard_iteratorISO_EES6_EEENSQ_IJSG_SG_EEES6_PlJS6_EEE10hipError_tPvRmT3_T4_T5_T6_T7_T9_mT8_P12ihipStream_tbDpT10_ENKUlT_T0_E_clISt17integral_constantIbLb0EES1F_EEDaS1A_S1B_EUlS1A_E_NS1_11comp_targetILNS1_3genE5ELNS1_11target_archE942ELNS1_3gpuE9ELNS1_3repE0EEENS1_30default_config_static_selectorELNS0_4arch9wavefront6targetE0EEEvT1_.numbered_sgpr, 0
	.set _ZN7rocprim17ROCPRIM_400000_NS6detail17trampoline_kernelINS0_14default_configENS1_25partition_config_selectorILNS1_17partition_subalgoE5EsNS0_10empty_typeEbEEZZNS1_14partition_implILS5_5ELb0ES3_mN6thrust23THRUST_200600_302600_NS6detail15normal_iteratorINSA_10device_ptrIsEEEEPS6_NSA_18transform_iteratorINSB_9not_fun_tI7is_trueIsEEENSC_INSD_IbEEEENSA_11use_defaultESO_EENS0_5tupleIJNSA_16discard_iteratorISO_EES6_EEENSQ_IJSG_SG_EEES6_PlJS6_EEE10hipError_tPvRmT3_T4_T5_T6_T7_T9_mT8_P12ihipStream_tbDpT10_ENKUlT_T0_E_clISt17integral_constantIbLb0EES1F_EEDaS1A_S1B_EUlS1A_E_NS1_11comp_targetILNS1_3genE5ELNS1_11target_archE942ELNS1_3gpuE9ELNS1_3repE0EEENS1_30default_config_static_selectorELNS0_4arch9wavefront6targetE0EEEvT1_.num_named_barrier, 0
	.set _ZN7rocprim17ROCPRIM_400000_NS6detail17trampoline_kernelINS0_14default_configENS1_25partition_config_selectorILNS1_17partition_subalgoE5EsNS0_10empty_typeEbEEZZNS1_14partition_implILS5_5ELb0ES3_mN6thrust23THRUST_200600_302600_NS6detail15normal_iteratorINSA_10device_ptrIsEEEEPS6_NSA_18transform_iteratorINSB_9not_fun_tI7is_trueIsEEENSC_INSD_IbEEEENSA_11use_defaultESO_EENS0_5tupleIJNSA_16discard_iteratorISO_EES6_EEENSQ_IJSG_SG_EEES6_PlJS6_EEE10hipError_tPvRmT3_T4_T5_T6_T7_T9_mT8_P12ihipStream_tbDpT10_ENKUlT_T0_E_clISt17integral_constantIbLb0EES1F_EEDaS1A_S1B_EUlS1A_E_NS1_11comp_targetILNS1_3genE5ELNS1_11target_archE942ELNS1_3gpuE9ELNS1_3repE0EEENS1_30default_config_static_selectorELNS0_4arch9wavefront6targetE0EEEvT1_.private_seg_size, 0
	.set _ZN7rocprim17ROCPRIM_400000_NS6detail17trampoline_kernelINS0_14default_configENS1_25partition_config_selectorILNS1_17partition_subalgoE5EsNS0_10empty_typeEbEEZZNS1_14partition_implILS5_5ELb0ES3_mN6thrust23THRUST_200600_302600_NS6detail15normal_iteratorINSA_10device_ptrIsEEEEPS6_NSA_18transform_iteratorINSB_9not_fun_tI7is_trueIsEEENSC_INSD_IbEEEENSA_11use_defaultESO_EENS0_5tupleIJNSA_16discard_iteratorISO_EES6_EEENSQ_IJSG_SG_EEES6_PlJS6_EEE10hipError_tPvRmT3_T4_T5_T6_T7_T9_mT8_P12ihipStream_tbDpT10_ENKUlT_T0_E_clISt17integral_constantIbLb0EES1F_EEDaS1A_S1B_EUlS1A_E_NS1_11comp_targetILNS1_3genE5ELNS1_11target_archE942ELNS1_3gpuE9ELNS1_3repE0EEENS1_30default_config_static_selectorELNS0_4arch9wavefront6targetE0EEEvT1_.uses_vcc, 0
	.set _ZN7rocprim17ROCPRIM_400000_NS6detail17trampoline_kernelINS0_14default_configENS1_25partition_config_selectorILNS1_17partition_subalgoE5EsNS0_10empty_typeEbEEZZNS1_14partition_implILS5_5ELb0ES3_mN6thrust23THRUST_200600_302600_NS6detail15normal_iteratorINSA_10device_ptrIsEEEEPS6_NSA_18transform_iteratorINSB_9not_fun_tI7is_trueIsEEENSC_INSD_IbEEEENSA_11use_defaultESO_EENS0_5tupleIJNSA_16discard_iteratorISO_EES6_EEENSQ_IJSG_SG_EEES6_PlJS6_EEE10hipError_tPvRmT3_T4_T5_T6_T7_T9_mT8_P12ihipStream_tbDpT10_ENKUlT_T0_E_clISt17integral_constantIbLb0EES1F_EEDaS1A_S1B_EUlS1A_E_NS1_11comp_targetILNS1_3genE5ELNS1_11target_archE942ELNS1_3gpuE9ELNS1_3repE0EEENS1_30default_config_static_selectorELNS0_4arch9wavefront6targetE0EEEvT1_.uses_flat_scratch, 0
	.set _ZN7rocprim17ROCPRIM_400000_NS6detail17trampoline_kernelINS0_14default_configENS1_25partition_config_selectorILNS1_17partition_subalgoE5EsNS0_10empty_typeEbEEZZNS1_14partition_implILS5_5ELb0ES3_mN6thrust23THRUST_200600_302600_NS6detail15normal_iteratorINSA_10device_ptrIsEEEEPS6_NSA_18transform_iteratorINSB_9not_fun_tI7is_trueIsEEENSC_INSD_IbEEEENSA_11use_defaultESO_EENS0_5tupleIJNSA_16discard_iteratorISO_EES6_EEENSQ_IJSG_SG_EEES6_PlJS6_EEE10hipError_tPvRmT3_T4_T5_T6_T7_T9_mT8_P12ihipStream_tbDpT10_ENKUlT_T0_E_clISt17integral_constantIbLb0EES1F_EEDaS1A_S1B_EUlS1A_E_NS1_11comp_targetILNS1_3genE5ELNS1_11target_archE942ELNS1_3gpuE9ELNS1_3repE0EEENS1_30default_config_static_selectorELNS0_4arch9wavefront6targetE0EEEvT1_.has_dyn_sized_stack, 0
	.set _ZN7rocprim17ROCPRIM_400000_NS6detail17trampoline_kernelINS0_14default_configENS1_25partition_config_selectorILNS1_17partition_subalgoE5EsNS0_10empty_typeEbEEZZNS1_14partition_implILS5_5ELb0ES3_mN6thrust23THRUST_200600_302600_NS6detail15normal_iteratorINSA_10device_ptrIsEEEEPS6_NSA_18transform_iteratorINSB_9not_fun_tI7is_trueIsEEENSC_INSD_IbEEEENSA_11use_defaultESO_EENS0_5tupleIJNSA_16discard_iteratorISO_EES6_EEENSQ_IJSG_SG_EEES6_PlJS6_EEE10hipError_tPvRmT3_T4_T5_T6_T7_T9_mT8_P12ihipStream_tbDpT10_ENKUlT_T0_E_clISt17integral_constantIbLb0EES1F_EEDaS1A_S1B_EUlS1A_E_NS1_11comp_targetILNS1_3genE5ELNS1_11target_archE942ELNS1_3gpuE9ELNS1_3repE0EEENS1_30default_config_static_selectorELNS0_4arch9wavefront6targetE0EEEvT1_.has_recursion, 0
	.set _ZN7rocprim17ROCPRIM_400000_NS6detail17trampoline_kernelINS0_14default_configENS1_25partition_config_selectorILNS1_17partition_subalgoE5EsNS0_10empty_typeEbEEZZNS1_14partition_implILS5_5ELb0ES3_mN6thrust23THRUST_200600_302600_NS6detail15normal_iteratorINSA_10device_ptrIsEEEEPS6_NSA_18transform_iteratorINSB_9not_fun_tI7is_trueIsEEENSC_INSD_IbEEEENSA_11use_defaultESO_EENS0_5tupleIJNSA_16discard_iteratorISO_EES6_EEENSQ_IJSG_SG_EEES6_PlJS6_EEE10hipError_tPvRmT3_T4_T5_T6_T7_T9_mT8_P12ihipStream_tbDpT10_ENKUlT_T0_E_clISt17integral_constantIbLb0EES1F_EEDaS1A_S1B_EUlS1A_E_NS1_11comp_targetILNS1_3genE5ELNS1_11target_archE942ELNS1_3gpuE9ELNS1_3repE0EEENS1_30default_config_static_selectorELNS0_4arch9wavefront6targetE0EEEvT1_.has_indirect_call, 0
	.section	.AMDGPU.csdata,"",@progbits
; Kernel info:
; codeLenInByte = 0
; TotalNumSgprs: 0
; NumVgprs: 0
; ScratchSize: 0
; MemoryBound: 0
; FloatMode: 240
; IeeeMode: 1
; LDSByteSize: 0 bytes/workgroup (compile time only)
; SGPRBlocks: 0
; VGPRBlocks: 0
; NumSGPRsForWavesPerEU: 1
; NumVGPRsForWavesPerEU: 1
; Occupancy: 16
; WaveLimiterHint : 0
; COMPUTE_PGM_RSRC2:SCRATCH_EN: 0
; COMPUTE_PGM_RSRC2:USER_SGPR: 2
; COMPUTE_PGM_RSRC2:TRAP_HANDLER: 0
; COMPUTE_PGM_RSRC2:TGID_X_EN: 1
; COMPUTE_PGM_RSRC2:TGID_Y_EN: 0
; COMPUTE_PGM_RSRC2:TGID_Z_EN: 0
; COMPUTE_PGM_RSRC2:TIDIG_COMP_CNT: 0
	.section	.text._ZN7rocprim17ROCPRIM_400000_NS6detail17trampoline_kernelINS0_14default_configENS1_25partition_config_selectorILNS1_17partition_subalgoE5EsNS0_10empty_typeEbEEZZNS1_14partition_implILS5_5ELb0ES3_mN6thrust23THRUST_200600_302600_NS6detail15normal_iteratorINSA_10device_ptrIsEEEEPS6_NSA_18transform_iteratorINSB_9not_fun_tI7is_trueIsEEENSC_INSD_IbEEEENSA_11use_defaultESO_EENS0_5tupleIJNSA_16discard_iteratorISO_EES6_EEENSQ_IJSG_SG_EEES6_PlJS6_EEE10hipError_tPvRmT3_T4_T5_T6_T7_T9_mT8_P12ihipStream_tbDpT10_ENKUlT_T0_E_clISt17integral_constantIbLb0EES1F_EEDaS1A_S1B_EUlS1A_E_NS1_11comp_targetILNS1_3genE4ELNS1_11target_archE910ELNS1_3gpuE8ELNS1_3repE0EEENS1_30default_config_static_selectorELNS0_4arch9wavefront6targetE0EEEvT1_,"axG",@progbits,_ZN7rocprim17ROCPRIM_400000_NS6detail17trampoline_kernelINS0_14default_configENS1_25partition_config_selectorILNS1_17partition_subalgoE5EsNS0_10empty_typeEbEEZZNS1_14partition_implILS5_5ELb0ES3_mN6thrust23THRUST_200600_302600_NS6detail15normal_iteratorINSA_10device_ptrIsEEEEPS6_NSA_18transform_iteratorINSB_9not_fun_tI7is_trueIsEEENSC_INSD_IbEEEENSA_11use_defaultESO_EENS0_5tupleIJNSA_16discard_iteratorISO_EES6_EEENSQ_IJSG_SG_EEES6_PlJS6_EEE10hipError_tPvRmT3_T4_T5_T6_T7_T9_mT8_P12ihipStream_tbDpT10_ENKUlT_T0_E_clISt17integral_constantIbLb0EES1F_EEDaS1A_S1B_EUlS1A_E_NS1_11comp_targetILNS1_3genE4ELNS1_11target_archE910ELNS1_3gpuE8ELNS1_3repE0EEENS1_30default_config_static_selectorELNS0_4arch9wavefront6targetE0EEEvT1_,comdat
	.protected	_ZN7rocprim17ROCPRIM_400000_NS6detail17trampoline_kernelINS0_14default_configENS1_25partition_config_selectorILNS1_17partition_subalgoE5EsNS0_10empty_typeEbEEZZNS1_14partition_implILS5_5ELb0ES3_mN6thrust23THRUST_200600_302600_NS6detail15normal_iteratorINSA_10device_ptrIsEEEEPS6_NSA_18transform_iteratorINSB_9not_fun_tI7is_trueIsEEENSC_INSD_IbEEEENSA_11use_defaultESO_EENS0_5tupleIJNSA_16discard_iteratorISO_EES6_EEENSQ_IJSG_SG_EEES6_PlJS6_EEE10hipError_tPvRmT3_T4_T5_T6_T7_T9_mT8_P12ihipStream_tbDpT10_ENKUlT_T0_E_clISt17integral_constantIbLb0EES1F_EEDaS1A_S1B_EUlS1A_E_NS1_11comp_targetILNS1_3genE4ELNS1_11target_archE910ELNS1_3gpuE8ELNS1_3repE0EEENS1_30default_config_static_selectorELNS0_4arch9wavefront6targetE0EEEvT1_ ; -- Begin function _ZN7rocprim17ROCPRIM_400000_NS6detail17trampoline_kernelINS0_14default_configENS1_25partition_config_selectorILNS1_17partition_subalgoE5EsNS0_10empty_typeEbEEZZNS1_14partition_implILS5_5ELb0ES3_mN6thrust23THRUST_200600_302600_NS6detail15normal_iteratorINSA_10device_ptrIsEEEEPS6_NSA_18transform_iteratorINSB_9not_fun_tI7is_trueIsEEENSC_INSD_IbEEEENSA_11use_defaultESO_EENS0_5tupleIJNSA_16discard_iteratorISO_EES6_EEENSQ_IJSG_SG_EEES6_PlJS6_EEE10hipError_tPvRmT3_T4_T5_T6_T7_T9_mT8_P12ihipStream_tbDpT10_ENKUlT_T0_E_clISt17integral_constantIbLb0EES1F_EEDaS1A_S1B_EUlS1A_E_NS1_11comp_targetILNS1_3genE4ELNS1_11target_archE910ELNS1_3gpuE8ELNS1_3repE0EEENS1_30default_config_static_selectorELNS0_4arch9wavefront6targetE0EEEvT1_
	.globl	_ZN7rocprim17ROCPRIM_400000_NS6detail17trampoline_kernelINS0_14default_configENS1_25partition_config_selectorILNS1_17partition_subalgoE5EsNS0_10empty_typeEbEEZZNS1_14partition_implILS5_5ELb0ES3_mN6thrust23THRUST_200600_302600_NS6detail15normal_iteratorINSA_10device_ptrIsEEEEPS6_NSA_18transform_iteratorINSB_9not_fun_tI7is_trueIsEEENSC_INSD_IbEEEENSA_11use_defaultESO_EENS0_5tupleIJNSA_16discard_iteratorISO_EES6_EEENSQ_IJSG_SG_EEES6_PlJS6_EEE10hipError_tPvRmT3_T4_T5_T6_T7_T9_mT8_P12ihipStream_tbDpT10_ENKUlT_T0_E_clISt17integral_constantIbLb0EES1F_EEDaS1A_S1B_EUlS1A_E_NS1_11comp_targetILNS1_3genE4ELNS1_11target_archE910ELNS1_3gpuE8ELNS1_3repE0EEENS1_30default_config_static_selectorELNS0_4arch9wavefront6targetE0EEEvT1_
	.p2align	8
	.type	_ZN7rocprim17ROCPRIM_400000_NS6detail17trampoline_kernelINS0_14default_configENS1_25partition_config_selectorILNS1_17partition_subalgoE5EsNS0_10empty_typeEbEEZZNS1_14partition_implILS5_5ELb0ES3_mN6thrust23THRUST_200600_302600_NS6detail15normal_iteratorINSA_10device_ptrIsEEEEPS6_NSA_18transform_iteratorINSB_9not_fun_tI7is_trueIsEEENSC_INSD_IbEEEENSA_11use_defaultESO_EENS0_5tupleIJNSA_16discard_iteratorISO_EES6_EEENSQ_IJSG_SG_EEES6_PlJS6_EEE10hipError_tPvRmT3_T4_T5_T6_T7_T9_mT8_P12ihipStream_tbDpT10_ENKUlT_T0_E_clISt17integral_constantIbLb0EES1F_EEDaS1A_S1B_EUlS1A_E_NS1_11comp_targetILNS1_3genE4ELNS1_11target_archE910ELNS1_3gpuE8ELNS1_3repE0EEENS1_30default_config_static_selectorELNS0_4arch9wavefront6targetE0EEEvT1_,@function
_ZN7rocprim17ROCPRIM_400000_NS6detail17trampoline_kernelINS0_14default_configENS1_25partition_config_selectorILNS1_17partition_subalgoE5EsNS0_10empty_typeEbEEZZNS1_14partition_implILS5_5ELb0ES3_mN6thrust23THRUST_200600_302600_NS6detail15normal_iteratorINSA_10device_ptrIsEEEEPS6_NSA_18transform_iteratorINSB_9not_fun_tI7is_trueIsEEENSC_INSD_IbEEEENSA_11use_defaultESO_EENS0_5tupleIJNSA_16discard_iteratorISO_EES6_EEENSQ_IJSG_SG_EEES6_PlJS6_EEE10hipError_tPvRmT3_T4_T5_T6_T7_T9_mT8_P12ihipStream_tbDpT10_ENKUlT_T0_E_clISt17integral_constantIbLb0EES1F_EEDaS1A_S1B_EUlS1A_E_NS1_11comp_targetILNS1_3genE4ELNS1_11target_archE910ELNS1_3gpuE8ELNS1_3repE0EEENS1_30default_config_static_selectorELNS0_4arch9wavefront6targetE0EEEvT1_: ; @_ZN7rocprim17ROCPRIM_400000_NS6detail17trampoline_kernelINS0_14default_configENS1_25partition_config_selectorILNS1_17partition_subalgoE5EsNS0_10empty_typeEbEEZZNS1_14partition_implILS5_5ELb0ES3_mN6thrust23THRUST_200600_302600_NS6detail15normal_iteratorINSA_10device_ptrIsEEEEPS6_NSA_18transform_iteratorINSB_9not_fun_tI7is_trueIsEEENSC_INSD_IbEEEENSA_11use_defaultESO_EENS0_5tupleIJNSA_16discard_iteratorISO_EES6_EEENSQ_IJSG_SG_EEES6_PlJS6_EEE10hipError_tPvRmT3_T4_T5_T6_T7_T9_mT8_P12ihipStream_tbDpT10_ENKUlT_T0_E_clISt17integral_constantIbLb0EES1F_EEDaS1A_S1B_EUlS1A_E_NS1_11comp_targetILNS1_3genE4ELNS1_11target_archE910ELNS1_3gpuE8ELNS1_3repE0EEENS1_30default_config_static_selectorELNS0_4arch9wavefront6targetE0EEEvT1_
; %bb.0:
	.section	.rodata,"a",@progbits
	.p2align	6, 0x0
	.amdhsa_kernel _ZN7rocprim17ROCPRIM_400000_NS6detail17trampoline_kernelINS0_14default_configENS1_25partition_config_selectorILNS1_17partition_subalgoE5EsNS0_10empty_typeEbEEZZNS1_14partition_implILS5_5ELb0ES3_mN6thrust23THRUST_200600_302600_NS6detail15normal_iteratorINSA_10device_ptrIsEEEEPS6_NSA_18transform_iteratorINSB_9not_fun_tI7is_trueIsEEENSC_INSD_IbEEEENSA_11use_defaultESO_EENS0_5tupleIJNSA_16discard_iteratorISO_EES6_EEENSQ_IJSG_SG_EEES6_PlJS6_EEE10hipError_tPvRmT3_T4_T5_T6_T7_T9_mT8_P12ihipStream_tbDpT10_ENKUlT_T0_E_clISt17integral_constantIbLb0EES1F_EEDaS1A_S1B_EUlS1A_E_NS1_11comp_targetILNS1_3genE4ELNS1_11target_archE910ELNS1_3gpuE8ELNS1_3repE0EEENS1_30default_config_static_selectorELNS0_4arch9wavefront6targetE0EEEvT1_
		.amdhsa_group_segment_fixed_size 0
		.amdhsa_private_segment_fixed_size 0
		.amdhsa_kernarg_size 128
		.amdhsa_user_sgpr_count 2
		.amdhsa_user_sgpr_dispatch_ptr 0
		.amdhsa_user_sgpr_queue_ptr 0
		.amdhsa_user_sgpr_kernarg_segment_ptr 1
		.amdhsa_user_sgpr_dispatch_id 0
		.amdhsa_user_sgpr_private_segment_size 0
		.amdhsa_wavefront_size32 1
		.amdhsa_uses_dynamic_stack 0
		.amdhsa_enable_private_segment 0
		.amdhsa_system_sgpr_workgroup_id_x 1
		.amdhsa_system_sgpr_workgroup_id_y 0
		.amdhsa_system_sgpr_workgroup_id_z 0
		.amdhsa_system_sgpr_workgroup_info 0
		.amdhsa_system_vgpr_workitem_id 0
		.amdhsa_next_free_vgpr 1
		.amdhsa_next_free_sgpr 1
		.amdhsa_reserve_vcc 0
		.amdhsa_float_round_mode_32 0
		.amdhsa_float_round_mode_16_64 0
		.amdhsa_float_denorm_mode_32 3
		.amdhsa_float_denorm_mode_16_64 3
		.amdhsa_fp16_overflow 0
		.amdhsa_workgroup_processor_mode 1
		.amdhsa_memory_ordered 1
		.amdhsa_forward_progress 1
		.amdhsa_inst_pref_size 0
		.amdhsa_round_robin_scheduling 0
		.amdhsa_exception_fp_ieee_invalid_op 0
		.amdhsa_exception_fp_denorm_src 0
		.amdhsa_exception_fp_ieee_div_zero 0
		.amdhsa_exception_fp_ieee_overflow 0
		.amdhsa_exception_fp_ieee_underflow 0
		.amdhsa_exception_fp_ieee_inexact 0
		.amdhsa_exception_int_div_zero 0
	.end_amdhsa_kernel
	.section	.text._ZN7rocprim17ROCPRIM_400000_NS6detail17trampoline_kernelINS0_14default_configENS1_25partition_config_selectorILNS1_17partition_subalgoE5EsNS0_10empty_typeEbEEZZNS1_14partition_implILS5_5ELb0ES3_mN6thrust23THRUST_200600_302600_NS6detail15normal_iteratorINSA_10device_ptrIsEEEEPS6_NSA_18transform_iteratorINSB_9not_fun_tI7is_trueIsEEENSC_INSD_IbEEEENSA_11use_defaultESO_EENS0_5tupleIJNSA_16discard_iteratorISO_EES6_EEENSQ_IJSG_SG_EEES6_PlJS6_EEE10hipError_tPvRmT3_T4_T5_T6_T7_T9_mT8_P12ihipStream_tbDpT10_ENKUlT_T0_E_clISt17integral_constantIbLb0EES1F_EEDaS1A_S1B_EUlS1A_E_NS1_11comp_targetILNS1_3genE4ELNS1_11target_archE910ELNS1_3gpuE8ELNS1_3repE0EEENS1_30default_config_static_selectorELNS0_4arch9wavefront6targetE0EEEvT1_,"axG",@progbits,_ZN7rocprim17ROCPRIM_400000_NS6detail17trampoline_kernelINS0_14default_configENS1_25partition_config_selectorILNS1_17partition_subalgoE5EsNS0_10empty_typeEbEEZZNS1_14partition_implILS5_5ELb0ES3_mN6thrust23THRUST_200600_302600_NS6detail15normal_iteratorINSA_10device_ptrIsEEEEPS6_NSA_18transform_iteratorINSB_9not_fun_tI7is_trueIsEEENSC_INSD_IbEEEENSA_11use_defaultESO_EENS0_5tupleIJNSA_16discard_iteratorISO_EES6_EEENSQ_IJSG_SG_EEES6_PlJS6_EEE10hipError_tPvRmT3_T4_T5_T6_T7_T9_mT8_P12ihipStream_tbDpT10_ENKUlT_T0_E_clISt17integral_constantIbLb0EES1F_EEDaS1A_S1B_EUlS1A_E_NS1_11comp_targetILNS1_3genE4ELNS1_11target_archE910ELNS1_3gpuE8ELNS1_3repE0EEENS1_30default_config_static_selectorELNS0_4arch9wavefront6targetE0EEEvT1_,comdat
.Lfunc_end2815:
	.size	_ZN7rocprim17ROCPRIM_400000_NS6detail17trampoline_kernelINS0_14default_configENS1_25partition_config_selectorILNS1_17partition_subalgoE5EsNS0_10empty_typeEbEEZZNS1_14partition_implILS5_5ELb0ES3_mN6thrust23THRUST_200600_302600_NS6detail15normal_iteratorINSA_10device_ptrIsEEEEPS6_NSA_18transform_iteratorINSB_9not_fun_tI7is_trueIsEEENSC_INSD_IbEEEENSA_11use_defaultESO_EENS0_5tupleIJNSA_16discard_iteratorISO_EES6_EEENSQ_IJSG_SG_EEES6_PlJS6_EEE10hipError_tPvRmT3_T4_T5_T6_T7_T9_mT8_P12ihipStream_tbDpT10_ENKUlT_T0_E_clISt17integral_constantIbLb0EES1F_EEDaS1A_S1B_EUlS1A_E_NS1_11comp_targetILNS1_3genE4ELNS1_11target_archE910ELNS1_3gpuE8ELNS1_3repE0EEENS1_30default_config_static_selectorELNS0_4arch9wavefront6targetE0EEEvT1_, .Lfunc_end2815-_ZN7rocprim17ROCPRIM_400000_NS6detail17trampoline_kernelINS0_14default_configENS1_25partition_config_selectorILNS1_17partition_subalgoE5EsNS0_10empty_typeEbEEZZNS1_14partition_implILS5_5ELb0ES3_mN6thrust23THRUST_200600_302600_NS6detail15normal_iteratorINSA_10device_ptrIsEEEEPS6_NSA_18transform_iteratorINSB_9not_fun_tI7is_trueIsEEENSC_INSD_IbEEEENSA_11use_defaultESO_EENS0_5tupleIJNSA_16discard_iteratorISO_EES6_EEENSQ_IJSG_SG_EEES6_PlJS6_EEE10hipError_tPvRmT3_T4_T5_T6_T7_T9_mT8_P12ihipStream_tbDpT10_ENKUlT_T0_E_clISt17integral_constantIbLb0EES1F_EEDaS1A_S1B_EUlS1A_E_NS1_11comp_targetILNS1_3genE4ELNS1_11target_archE910ELNS1_3gpuE8ELNS1_3repE0EEENS1_30default_config_static_selectorELNS0_4arch9wavefront6targetE0EEEvT1_
                                        ; -- End function
	.set _ZN7rocprim17ROCPRIM_400000_NS6detail17trampoline_kernelINS0_14default_configENS1_25partition_config_selectorILNS1_17partition_subalgoE5EsNS0_10empty_typeEbEEZZNS1_14partition_implILS5_5ELb0ES3_mN6thrust23THRUST_200600_302600_NS6detail15normal_iteratorINSA_10device_ptrIsEEEEPS6_NSA_18transform_iteratorINSB_9not_fun_tI7is_trueIsEEENSC_INSD_IbEEEENSA_11use_defaultESO_EENS0_5tupleIJNSA_16discard_iteratorISO_EES6_EEENSQ_IJSG_SG_EEES6_PlJS6_EEE10hipError_tPvRmT3_T4_T5_T6_T7_T9_mT8_P12ihipStream_tbDpT10_ENKUlT_T0_E_clISt17integral_constantIbLb0EES1F_EEDaS1A_S1B_EUlS1A_E_NS1_11comp_targetILNS1_3genE4ELNS1_11target_archE910ELNS1_3gpuE8ELNS1_3repE0EEENS1_30default_config_static_selectorELNS0_4arch9wavefront6targetE0EEEvT1_.num_vgpr, 0
	.set _ZN7rocprim17ROCPRIM_400000_NS6detail17trampoline_kernelINS0_14default_configENS1_25partition_config_selectorILNS1_17partition_subalgoE5EsNS0_10empty_typeEbEEZZNS1_14partition_implILS5_5ELb0ES3_mN6thrust23THRUST_200600_302600_NS6detail15normal_iteratorINSA_10device_ptrIsEEEEPS6_NSA_18transform_iteratorINSB_9not_fun_tI7is_trueIsEEENSC_INSD_IbEEEENSA_11use_defaultESO_EENS0_5tupleIJNSA_16discard_iteratorISO_EES6_EEENSQ_IJSG_SG_EEES6_PlJS6_EEE10hipError_tPvRmT3_T4_T5_T6_T7_T9_mT8_P12ihipStream_tbDpT10_ENKUlT_T0_E_clISt17integral_constantIbLb0EES1F_EEDaS1A_S1B_EUlS1A_E_NS1_11comp_targetILNS1_3genE4ELNS1_11target_archE910ELNS1_3gpuE8ELNS1_3repE0EEENS1_30default_config_static_selectorELNS0_4arch9wavefront6targetE0EEEvT1_.num_agpr, 0
	.set _ZN7rocprim17ROCPRIM_400000_NS6detail17trampoline_kernelINS0_14default_configENS1_25partition_config_selectorILNS1_17partition_subalgoE5EsNS0_10empty_typeEbEEZZNS1_14partition_implILS5_5ELb0ES3_mN6thrust23THRUST_200600_302600_NS6detail15normal_iteratorINSA_10device_ptrIsEEEEPS6_NSA_18transform_iteratorINSB_9not_fun_tI7is_trueIsEEENSC_INSD_IbEEEENSA_11use_defaultESO_EENS0_5tupleIJNSA_16discard_iteratorISO_EES6_EEENSQ_IJSG_SG_EEES6_PlJS6_EEE10hipError_tPvRmT3_T4_T5_T6_T7_T9_mT8_P12ihipStream_tbDpT10_ENKUlT_T0_E_clISt17integral_constantIbLb0EES1F_EEDaS1A_S1B_EUlS1A_E_NS1_11comp_targetILNS1_3genE4ELNS1_11target_archE910ELNS1_3gpuE8ELNS1_3repE0EEENS1_30default_config_static_selectorELNS0_4arch9wavefront6targetE0EEEvT1_.numbered_sgpr, 0
	.set _ZN7rocprim17ROCPRIM_400000_NS6detail17trampoline_kernelINS0_14default_configENS1_25partition_config_selectorILNS1_17partition_subalgoE5EsNS0_10empty_typeEbEEZZNS1_14partition_implILS5_5ELb0ES3_mN6thrust23THRUST_200600_302600_NS6detail15normal_iteratorINSA_10device_ptrIsEEEEPS6_NSA_18transform_iteratorINSB_9not_fun_tI7is_trueIsEEENSC_INSD_IbEEEENSA_11use_defaultESO_EENS0_5tupleIJNSA_16discard_iteratorISO_EES6_EEENSQ_IJSG_SG_EEES6_PlJS6_EEE10hipError_tPvRmT3_T4_T5_T6_T7_T9_mT8_P12ihipStream_tbDpT10_ENKUlT_T0_E_clISt17integral_constantIbLb0EES1F_EEDaS1A_S1B_EUlS1A_E_NS1_11comp_targetILNS1_3genE4ELNS1_11target_archE910ELNS1_3gpuE8ELNS1_3repE0EEENS1_30default_config_static_selectorELNS0_4arch9wavefront6targetE0EEEvT1_.num_named_barrier, 0
	.set _ZN7rocprim17ROCPRIM_400000_NS6detail17trampoline_kernelINS0_14default_configENS1_25partition_config_selectorILNS1_17partition_subalgoE5EsNS0_10empty_typeEbEEZZNS1_14partition_implILS5_5ELb0ES3_mN6thrust23THRUST_200600_302600_NS6detail15normal_iteratorINSA_10device_ptrIsEEEEPS6_NSA_18transform_iteratorINSB_9not_fun_tI7is_trueIsEEENSC_INSD_IbEEEENSA_11use_defaultESO_EENS0_5tupleIJNSA_16discard_iteratorISO_EES6_EEENSQ_IJSG_SG_EEES6_PlJS6_EEE10hipError_tPvRmT3_T4_T5_T6_T7_T9_mT8_P12ihipStream_tbDpT10_ENKUlT_T0_E_clISt17integral_constantIbLb0EES1F_EEDaS1A_S1B_EUlS1A_E_NS1_11comp_targetILNS1_3genE4ELNS1_11target_archE910ELNS1_3gpuE8ELNS1_3repE0EEENS1_30default_config_static_selectorELNS0_4arch9wavefront6targetE0EEEvT1_.private_seg_size, 0
	.set _ZN7rocprim17ROCPRIM_400000_NS6detail17trampoline_kernelINS0_14default_configENS1_25partition_config_selectorILNS1_17partition_subalgoE5EsNS0_10empty_typeEbEEZZNS1_14partition_implILS5_5ELb0ES3_mN6thrust23THRUST_200600_302600_NS6detail15normal_iteratorINSA_10device_ptrIsEEEEPS6_NSA_18transform_iteratorINSB_9not_fun_tI7is_trueIsEEENSC_INSD_IbEEEENSA_11use_defaultESO_EENS0_5tupleIJNSA_16discard_iteratorISO_EES6_EEENSQ_IJSG_SG_EEES6_PlJS6_EEE10hipError_tPvRmT3_T4_T5_T6_T7_T9_mT8_P12ihipStream_tbDpT10_ENKUlT_T0_E_clISt17integral_constantIbLb0EES1F_EEDaS1A_S1B_EUlS1A_E_NS1_11comp_targetILNS1_3genE4ELNS1_11target_archE910ELNS1_3gpuE8ELNS1_3repE0EEENS1_30default_config_static_selectorELNS0_4arch9wavefront6targetE0EEEvT1_.uses_vcc, 0
	.set _ZN7rocprim17ROCPRIM_400000_NS6detail17trampoline_kernelINS0_14default_configENS1_25partition_config_selectorILNS1_17partition_subalgoE5EsNS0_10empty_typeEbEEZZNS1_14partition_implILS5_5ELb0ES3_mN6thrust23THRUST_200600_302600_NS6detail15normal_iteratorINSA_10device_ptrIsEEEEPS6_NSA_18transform_iteratorINSB_9not_fun_tI7is_trueIsEEENSC_INSD_IbEEEENSA_11use_defaultESO_EENS0_5tupleIJNSA_16discard_iteratorISO_EES6_EEENSQ_IJSG_SG_EEES6_PlJS6_EEE10hipError_tPvRmT3_T4_T5_T6_T7_T9_mT8_P12ihipStream_tbDpT10_ENKUlT_T0_E_clISt17integral_constantIbLb0EES1F_EEDaS1A_S1B_EUlS1A_E_NS1_11comp_targetILNS1_3genE4ELNS1_11target_archE910ELNS1_3gpuE8ELNS1_3repE0EEENS1_30default_config_static_selectorELNS0_4arch9wavefront6targetE0EEEvT1_.uses_flat_scratch, 0
	.set _ZN7rocprim17ROCPRIM_400000_NS6detail17trampoline_kernelINS0_14default_configENS1_25partition_config_selectorILNS1_17partition_subalgoE5EsNS0_10empty_typeEbEEZZNS1_14partition_implILS5_5ELb0ES3_mN6thrust23THRUST_200600_302600_NS6detail15normal_iteratorINSA_10device_ptrIsEEEEPS6_NSA_18transform_iteratorINSB_9not_fun_tI7is_trueIsEEENSC_INSD_IbEEEENSA_11use_defaultESO_EENS0_5tupleIJNSA_16discard_iteratorISO_EES6_EEENSQ_IJSG_SG_EEES6_PlJS6_EEE10hipError_tPvRmT3_T4_T5_T6_T7_T9_mT8_P12ihipStream_tbDpT10_ENKUlT_T0_E_clISt17integral_constantIbLb0EES1F_EEDaS1A_S1B_EUlS1A_E_NS1_11comp_targetILNS1_3genE4ELNS1_11target_archE910ELNS1_3gpuE8ELNS1_3repE0EEENS1_30default_config_static_selectorELNS0_4arch9wavefront6targetE0EEEvT1_.has_dyn_sized_stack, 0
	.set _ZN7rocprim17ROCPRIM_400000_NS6detail17trampoline_kernelINS0_14default_configENS1_25partition_config_selectorILNS1_17partition_subalgoE5EsNS0_10empty_typeEbEEZZNS1_14partition_implILS5_5ELb0ES3_mN6thrust23THRUST_200600_302600_NS6detail15normal_iteratorINSA_10device_ptrIsEEEEPS6_NSA_18transform_iteratorINSB_9not_fun_tI7is_trueIsEEENSC_INSD_IbEEEENSA_11use_defaultESO_EENS0_5tupleIJNSA_16discard_iteratorISO_EES6_EEENSQ_IJSG_SG_EEES6_PlJS6_EEE10hipError_tPvRmT3_T4_T5_T6_T7_T9_mT8_P12ihipStream_tbDpT10_ENKUlT_T0_E_clISt17integral_constantIbLb0EES1F_EEDaS1A_S1B_EUlS1A_E_NS1_11comp_targetILNS1_3genE4ELNS1_11target_archE910ELNS1_3gpuE8ELNS1_3repE0EEENS1_30default_config_static_selectorELNS0_4arch9wavefront6targetE0EEEvT1_.has_recursion, 0
	.set _ZN7rocprim17ROCPRIM_400000_NS6detail17trampoline_kernelINS0_14default_configENS1_25partition_config_selectorILNS1_17partition_subalgoE5EsNS0_10empty_typeEbEEZZNS1_14partition_implILS5_5ELb0ES3_mN6thrust23THRUST_200600_302600_NS6detail15normal_iteratorINSA_10device_ptrIsEEEEPS6_NSA_18transform_iteratorINSB_9not_fun_tI7is_trueIsEEENSC_INSD_IbEEEENSA_11use_defaultESO_EENS0_5tupleIJNSA_16discard_iteratorISO_EES6_EEENSQ_IJSG_SG_EEES6_PlJS6_EEE10hipError_tPvRmT3_T4_T5_T6_T7_T9_mT8_P12ihipStream_tbDpT10_ENKUlT_T0_E_clISt17integral_constantIbLb0EES1F_EEDaS1A_S1B_EUlS1A_E_NS1_11comp_targetILNS1_3genE4ELNS1_11target_archE910ELNS1_3gpuE8ELNS1_3repE0EEENS1_30default_config_static_selectorELNS0_4arch9wavefront6targetE0EEEvT1_.has_indirect_call, 0
	.section	.AMDGPU.csdata,"",@progbits
; Kernel info:
; codeLenInByte = 0
; TotalNumSgprs: 0
; NumVgprs: 0
; ScratchSize: 0
; MemoryBound: 0
; FloatMode: 240
; IeeeMode: 1
; LDSByteSize: 0 bytes/workgroup (compile time only)
; SGPRBlocks: 0
; VGPRBlocks: 0
; NumSGPRsForWavesPerEU: 1
; NumVGPRsForWavesPerEU: 1
; Occupancy: 16
; WaveLimiterHint : 0
; COMPUTE_PGM_RSRC2:SCRATCH_EN: 0
; COMPUTE_PGM_RSRC2:USER_SGPR: 2
; COMPUTE_PGM_RSRC2:TRAP_HANDLER: 0
; COMPUTE_PGM_RSRC2:TGID_X_EN: 1
; COMPUTE_PGM_RSRC2:TGID_Y_EN: 0
; COMPUTE_PGM_RSRC2:TGID_Z_EN: 0
; COMPUTE_PGM_RSRC2:TIDIG_COMP_CNT: 0
	.section	.text._ZN7rocprim17ROCPRIM_400000_NS6detail17trampoline_kernelINS0_14default_configENS1_25partition_config_selectorILNS1_17partition_subalgoE5EsNS0_10empty_typeEbEEZZNS1_14partition_implILS5_5ELb0ES3_mN6thrust23THRUST_200600_302600_NS6detail15normal_iteratorINSA_10device_ptrIsEEEEPS6_NSA_18transform_iteratorINSB_9not_fun_tI7is_trueIsEEENSC_INSD_IbEEEENSA_11use_defaultESO_EENS0_5tupleIJNSA_16discard_iteratorISO_EES6_EEENSQ_IJSG_SG_EEES6_PlJS6_EEE10hipError_tPvRmT3_T4_T5_T6_T7_T9_mT8_P12ihipStream_tbDpT10_ENKUlT_T0_E_clISt17integral_constantIbLb0EES1F_EEDaS1A_S1B_EUlS1A_E_NS1_11comp_targetILNS1_3genE3ELNS1_11target_archE908ELNS1_3gpuE7ELNS1_3repE0EEENS1_30default_config_static_selectorELNS0_4arch9wavefront6targetE0EEEvT1_,"axG",@progbits,_ZN7rocprim17ROCPRIM_400000_NS6detail17trampoline_kernelINS0_14default_configENS1_25partition_config_selectorILNS1_17partition_subalgoE5EsNS0_10empty_typeEbEEZZNS1_14partition_implILS5_5ELb0ES3_mN6thrust23THRUST_200600_302600_NS6detail15normal_iteratorINSA_10device_ptrIsEEEEPS6_NSA_18transform_iteratorINSB_9not_fun_tI7is_trueIsEEENSC_INSD_IbEEEENSA_11use_defaultESO_EENS0_5tupleIJNSA_16discard_iteratorISO_EES6_EEENSQ_IJSG_SG_EEES6_PlJS6_EEE10hipError_tPvRmT3_T4_T5_T6_T7_T9_mT8_P12ihipStream_tbDpT10_ENKUlT_T0_E_clISt17integral_constantIbLb0EES1F_EEDaS1A_S1B_EUlS1A_E_NS1_11comp_targetILNS1_3genE3ELNS1_11target_archE908ELNS1_3gpuE7ELNS1_3repE0EEENS1_30default_config_static_selectorELNS0_4arch9wavefront6targetE0EEEvT1_,comdat
	.protected	_ZN7rocprim17ROCPRIM_400000_NS6detail17trampoline_kernelINS0_14default_configENS1_25partition_config_selectorILNS1_17partition_subalgoE5EsNS0_10empty_typeEbEEZZNS1_14partition_implILS5_5ELb0ES3_mN6thrust23THRUST_200600_302600_NS6detail15normal_iteratorINSA_10device_ptrIsEEEEPS6_NSA_18transform_iteratorINSB_9not_fun_tI7is_trueIsEEENSC_INSD_IbEEEENSA_11use_defaultESO_EENS0_5tupleIJNSA_16discard_iteratorISO_EES6_EEENSQ_IJSG_SG_EEES6_PlJS6_EEE10hipError_tPvRmT3_T4_T5_T6_T7_T9_mT8_P12ihipStream_tbDpT10_ENKUlT_T0_E_clISt17integral_constantIbLb0EES1F_EEDaS1A_S1B_EUlS1A_E_NS1_11comp_targetILNS1_3genE3ELNS1_11target_archE908ELNS1_3gpuE7ELNS1_3repE0EEENS1_30default_config_static_selectorELNS0_4arch9wavefront6targetE0EEEvT1_ ; -- Begin function _ZN7rocprim17ROCPRIM_400000_NS6detail17trampoline_kernelINS0_14default_configENS1_25partition_config_selectorILNS1_17partition_subalgoE5EsNS0_10empty_typeEbEEZZNS1_14partition_implILS5_5ELb0ES3_mN6thrust23THRUST_200600_302600_NS6detail15normal_iteratorINSA_10device_ptrIsEEEEPS6_NSA_18transform_iteratorINSB_9not_fun_tI7is_trueIsEEENSC_INSD_IbEEEENSA_11use_defaultESO_EENS0_5tupleIJNSA_16discard_iteratorISO_EES6_EEENSQ_IJSG_SG_EEES6_PlJS6_EEE10hipError_tPvRmT3_T4_T5_T6_T7_T9_mT8_P12ihipStream_tbDpT10_ENKUlT_T0_E_clISt17integral_constantIbLb0EES1F_EEDaS1A_S1B_EUlS1A_E_NS1_11comp_targetILNS1_3genE3ELNS1_11target_archE908ELNS1_3gpuE7ELNS1_3repE0EEENS1_30default_config_static_selectorELNS0_4arch9wavefront6targetE0EEEvT1_
	.globl	_ZN7rocprim17ROCPRIM_400000_NS6detail17trampoline_kernelINS0_14default_configENS1_25partition_config_selectorILNS1_17partition_subalgoE5EsNS0_10empty_typeEbEEZZNS1_14partition_implILS5_5ELb0ES3_mN6thrust23THRUST_200600_302600_NS6detail15normal_iteratorINSA_10device_ptrIsEEEEPS6_NSA_18transform_iteratorINSB_9not_fun_tI7is_trueIsEEENSC_INSD_IbEEEENSA_11use_defaultESO_EENS0_5tupleIJNSA_16discard_iteratorISO_EES6_EEENSQ_IJSG_SG_EEES6_PlJS6_EEE10hipError_tPvRmT3_T4_T5_T6_T7_T9_mT8_P12ihipStream_tbDpT10_ENKUlT_T0_E_clISt17integral_constantIbLb0EES1F_EEDaS1A_S1B_EUlS1A_E_NS1_11comp_targetILNS1_3genE3ELNS1_11target_archE908ELNS1_3gpuE7ELNS1_3repE0EEENS1_30default_config_static_selectorELNS0_4arch9wavefront6targetE0EEEvT1_
	.p2align	8
	.type	_ZN7rocprim17ROCPRIM_400000_NS6detail17trampoline_kernelINS0_14default_configENS1_25partition_config_selectorILNS1_17partition_subalgoE5EsNS0_10empty_typeEbEEZZNS1_14partition_implILS5_5ELb0ES3_mN6thrust23THRUST_200600_302600_NS6detail15normal_iteratorINSA_10device_ptrIsEEEEPS6_NSA_18transform_iteratorINSB_9not_fun_tI7is_trueIsEEENSC_INSD_IbEEEENSA_11use_defaultESO_EENS0_5tupleIJNSA_16discard_iteratorISO_EES6_EEENSQ_IJSG_SG_EEES6_PlJS6_EEE10hipError_tPvRmT3_T4_T5_T6_T7_T9_mT8_P12ihipStream_tbDpT10_ENKUlT_T0_E_clISt17integral_constantIbLb0EES1F_EEDaS1A_S1B_EUlS1A_E_NS1_11comp_targetILNS1_3genE3ELNS1_11target_archE908ELNS1_3gpuE7ELNS1_3repE0EEENS1_30default_config_static_selectorELNS0_4arch9wavefront6targetE0EEEvT1_,@function
_ZN7rocprim17ROCPRIM_400000_NS6detail17trampoline_kernelINS0_14default_configENS1_25partition_config_selectorILNS1_17partition_subalgoE5EsNS0_10empty_typeEbEEZZNS1_14partition_implILS5_5ELb0ES3_mN6thrust23THRUST_200600_302600_NS6detail15normal_iteratorINSA_10device_ptrIsEEEEPS6_NSA_18transform_iteratorINSB_9not_fun_tI7is_trueIsEEENSC_INSD_IbEEEENSA_11use_defaultESO_EENS0_5tupleIJNSA_16discard_iteratorISO_EES6_EEENSQ_IJSG_SG_EEES6_PlJS6_EEE10hipError_tPvRmT3_T4_T5_T6_T7_T9_mT8_P12ihipStream_tbDpT10_ENKUlT_T0_E_clISt17integral_constantIbLb0EES1F_EEDaS1A_S1B_EUlS1A_E_NS1_11comp_targetILNS1_3genE3ELNS1_11target_archE908ELNS1_3gpuE7ELNS1_3repE0EEENS1_30default_config_static_selectorELNS0_4arch9wavefront6targetE0EEEvT1_: ; @_ZN7rocprim17ROCPRIM_400000_NS6detail17trampoline_kernelINS0_14default_configENS1_25partition_config_selectorILNS1_17partition_subalgoE5EsNS0_10empty_typeEbEEZZNS1_14partition_implILS5_5ELb0ES3_mN6thrust23THRUST_200600_302600_NS6detail15normal_iteratorINSA_10device_ptrIsEEEEPS6_NSA_18transform_iteratorINSB_9not_fun_tI7is_trueIsEEENSC_INSD_IbEEEENSA_11use_defaultESO_EENS0_5tupleIJNSA_16discard_iteratorISO_EES6_EEENSQ_IJSG_SG_EEES6_PlJS6_EEE10hipError_tPvRmT3_T4_T5_T6_T7_T9_mT8_P12ihipStream_tbDpT10_ENKUlT_T0_E_clISt17integral_constantIbLb0EES1F_EEDaS1A_S1B_EUlS1A_E_NS1_11comp_targetILNS1_3genE3ELNS1_11target_archE908ELNS1_3gpuE7ELNS1_3repE0EEENS1_30default_config_static_selectorELNS0_4arch9wavefront6targetE0EEEvT1_
; %bb.0:
	.section	.rodata,"a",@progbits
	.p2align	6, 0x0
	.amdhsa_kernel _ZN7rocprim17ROCPRIM_400000_NS6detail17trampoline_kernelINS0_14default_configENS1_25partition_config_selectorILNS1_17partition_subalgoE5EsNS0_10empty_typeEbEEZZNS1_14partition_implILS5_5ELb0ES3_mN6thrust23THRUST_200600_302600_NS6detail15normal_iteratorINSA_10device_ptrIsEEEEPS6_NSA_18transform_iteratorINSB_9not_fun_tI7is_trueIsEEENSC_INSD_IbEEEENSA_11use_defaultESO_EENS0_5tupleIJNSA_16discard_iteratorISO_EES6_EEENSQ_IJSG_SG_EEES6_PlJS6_EEE10hipError_tPvRmT3_T4_T5_T6_T7_T9_mT8_P12ihipStream_tbDpT10_ENKUlT_T0_E_clISt17integral_constantIbLb0EES1F_EEDaS1A_S1B_EUlS1A_E_NS1_11comp_targetILNS1_3genE3ELNS1_11target_archE908ELNS1_3gpuE7ELNS1_3repE0EEENS1_30default_config_static_selectorELNS0_4arch9wavefront6targetE0EEEvT1_
		.amdhsa_group_segment_fixed_size 0
		.amdhsa_private_segment_fixed_size 0
		.amdhsa_kernarg_size 128
		.amdhsa_user_sgpr_count 2
		.amdhsa_user_sgpr_dispatch_ptr 0
		.amdhsa_user_sgpr_queue_ptr 0
		.amdhsa_user_sgpr_kernarg_segment_ptr 1
		.amdhsa_user_sgpr_dispatch_id 0
		.amdhsa_user_sgpr_private_segment_size 0
		.amdhsa_wavefront_size32 1
		.amdhsa_uses_dynamic_stack 0
		.amdhsa_enable_private_segment 0
		.amdhsa_system_sgpr_workgroup_id_x 1
		.amdhsa_system_sgpr_workgroup_id_y 0
		.amdhsa_system_sgpr_workgroup_id_z 0
		.amdhsa_system_sgpr_workgroup_info 0
		.amdhsa_system_vgpr_workitem_id 0
		.amdhsa_next_free_vgpr 1
		.amdhsa_next_free_sgpr 1
		.amdhsa_reserve_vcc 0
		.amdhsa_float_round_mode_32 0
		.amdhsa_float_round_mode_16_64 0
		.amdhsa_float_denorm_mode_32 3
		.amdhsa_float_denorm_mode_16_64 3
		.amdhsa_fp16_overflow 0
		.amdhsa_workgroup_processor_mode 1
		.amdhsa_memory_ordered 1
		.amdhsa_forward_progress 1
		.amdhsa_inst_pref_size 0
		.amdhsa_round_robin_scheduling 0
		.amdhsa_exception_fp_ieee_invalid_op 0
		.amdhsa_exception_fp_denorm_src 0
		.amdhsa_exception_fp_ieee_div_zero 0
		.amdhsa_exception_fp_ieee_overflow 0
		.amdhsa_exception_fp_ieee_underflow 0
		.amdhsa_exception_fp_ieee_inexact 0
		.amdhsa_exception_int_div_zero 0
	.end_amdhsa_kernel
	.section	.text._ZN7rocprim17ROCPRIM_400000_NS6detail17trampoline_kernelINS0_14default_configENS1_25partition_config_selectorILNS1_17partition_subalgoE5EsNS0_10empty_typeEbEEZZNS1_14partition_implILS5_5ELb0ES3_mN6thrust23THRUST_200600_302600_NS6detail15normal_iteratorINSA_10device_ptrIsEEEEPS6_NSA_18transform_iteratorINSB_9not_fun_tI7is_trueIsEEENSC_INSD_IbEEEENSA_11use_defaultESO_EENS0_5tupleIJNSA_16discard_iteratorISO_EES6_EEENSQ_IJSG_SG_EEES6_PlJS6_EEE10hipError_tPvRmT3_T4_T5_T6_T7_T9_mT8_P12ihipStream_tbDpT10_ENKUlT_T0_E_clISt17integral_constantIbLb0EES1F_EEDaS1A_S1B_EUlS1A_E_NS1_11comp_targetILNS1_3genE3ELNS1_11target_archE908ELNS1_3gpuE7ELNS1_3repE0EEENS1_30default_config_static_selectorELNS0_4arch9wavefront6targetE0EEEvT1_,"axG",@progbits,_ZN7rocprim17ROCPRIM_400000_NS6detail17trampoline_kernelINS0_14default_configENS1_25partition_config_selectorILNS1_17partition_subalgoE5EsNS0_10empty_typeEbEEZZNS1_14partition_implILS5_5ELb0ES3_mN6thrust23THRUST_200600_302600_NS6detail15normal_iteratorINSA_10device_ptrIsEEEEPS6_NSA_18transform_iteratorINSB_9not_fun_tI7is_trueIsEEENSC_INSD_IbEEEENSA_11use_defaultESO_EENS0_5tupleIJNSA_16discard_iteratorISO_EES6_EEENSQ_IJSG_SG_EEES6_PlJS6_EEE10hipError_tPvRmT3_T4_T5_T6_T7_T9_mT8_P12ihipStream_tbDpT10_ENKUlT_T0_E_clISt17integral_constantIbLb0EES1F_EEDaS1A_S1B_EUlS1A_E_NS1_11comp_targetILNS1_3genE3ELNS1_11target_archE908ELNS1_3gpuE7ELNS1_3repE0EEENS1_30default_config_static_selectorELNS0_4arch9wavefront6targetE0EEEvT1_,comdat
.Lfunc_end2816:
	.size	_ZN7rocprim17ROCPRIM_400000_NS6detail17trampoline_kernelINS0_14default_configENS1_25partition_config_selectorILNS1_17partition_subalgoE5EsNS0_10empty_typeEbEEZZNS1_14partition_implILS5_5ELb0ES3_mN6thrust23THRUST_200600_302600_NS6detail15normal_iteratorINSA_10device_ptrIsEEEEPS6_NSA_18transform_iteratorINSB_9not_fun_tI7is_trueIsEEENSC_INSD_IbEEEENSA_11use_defaultESO_EENS0_5tupleIJNSA_16discard_iteratorISO_EES6_EEENSQ_IJSG_SG_EEES6_PlJS6_EEE10hipError_tPvRmT3_T4_T5_T6_T7_T9_mT8_P12ihipStream_tbDpT10_ENKUlT_T0_E_clISt17integral_constantIbLb0EES1F_EEDaS1A_S1B_EUlS1A_E_NS1_11comp_targetILNS1_3genE3ELNS1_11target_archE908ELNS1_3gpuE7ELNS1_3repE0EEENS1_30default_config_static_selectorELNS0_4arch9wavefront6targetE0EEEvT1_, .Lfunc_end2816-_ZN7rocprim17ROCPRIM_400000_NS6detail17trampoline_kernelINS0_14default_configENS1_25partition_config_selectorILNS1_17partition_subalgoE5EsNS0_10empty_typeEbEEZZNS1_14partition_implILS5_5ELb0ES3_mN6thrust23THRUST_200600_302600_NS6detail15normal_iteratorINSA_10device_ptrIsEEEEPS6_NSA_18transform_iteratorINSB_9not_fun_tI7is_trueIsEEENSC_INSD_IbEEEENSA_11use_defaultESO_EENS0_5tupleIJNSA_16discard_iteratorISO_EES6_EEENSQ_IJSG_SG_EEES6_PlJS6_EEE10hipError_tPvRmT3_T4_T5_T6_T7_T9_mT8_P12ihipStream_tbDpT10_ENKUlT_T0_E_clISt17integral_constantIbLb0EES1F_EEDaS1A_S1B_EUlS1A_E_NS1_11comp_targetILNS1_3genE3ELNS1_11target_archE908ELNS1_3gpuE7ELNS1_3repE0EEENS1_30default_config_static_selectorELNS0_4arch9wavefront6targetE0EEEvT1_
                                        ; -- End function
	.set _ZN7rocprim17ROCPRIM_400000_NS6detail17trampoline_kernelINS0_14default_configENS1_25partition_config_selectorILNS1_17partition_subalgoE5EsNS0_10empty_typeEbEEZZNS1_14partition_implILS5_5ELb0ES3_mN6thrust23THRUST_200600_302600_NS6detail15normal_iteratorINSA_10device_ptrIsEEEEPS6_NSA_18transform_iteratorINSB_9not_fun_tI7is_trueIsEEENSC_INSD_IbEEEENSA_11use_defaultESO_EENS0_5tupleIJNSA_16discard_iteratorISO_EES6_EEENSQ_IJSG_SG_EEES6_PlJS6_EEE10hipError_tPvRmT3_T4_T5_T6_T7_T9_mT8_P12ihipStream_tbDpT10_ENKUlT_T0_E_clISt17integral_constantIbLb0EES1F_EEDaS1A_S1B_EUlS1A_E_NS1_11comp_targetILNS1_3genE3ELNS1_11target_archE908ELNS1_3gpuE7ELNS1_3repE0EEENS1_30default_config_static_selectorELNS0_4arch9wavefront6targetE0EEEvT1_.num_vgpr, 0
	.set _ZN7rocprim17ROCPRIM_400000_NS6detail17trampoline_kernelINS0_14default_configENS1_25partition_config_selectorILNS1_17partition_subalgoE5EsNS0_10empty_typeEbEEZZNS1_14partition_implILS5_5ELb0ES3_mN6thrust23THRUST_200600_302600_NS6detail15normal_iteratorINSA_10device_ptrIsEEEEPS6_NSA_18transform_iteratorINSB_9not_fun_tI7is_trueIsEEENSC_INSD_IbEEEENSA_11use_defaultESO_EENS0_5tupleIJNSA_16discard_iteratorISO_EES6_EEENSQ_IJSG_SG_EEES6_PlJS6_EEE10hipError_tPvRmT3_T4_T5_T6_T7_T9_mT8_P12ihipStream_tbDpT10_ENKUlT_T0_E_clISt17integral_constantIbLb0EES1F_EEDaS1A_S1B_EUlS1A_E_NS1_11comp_targetILNS1_3genE3ELNS1_11target_archE908ELNS1_3gpuE7ELNS1_3repE0EEENS1_30default_config_static_selectorELNS0_4arch9wavefront6targetE0EEEvT1_.num_agpr, 0
	.set _ZN7rocprim17ROCPRIM_400000_NS6detail17trampoline_kernelINS0_14default_configENS1_25partition_config_selectorILNS1_17partition_subalgoE5EsNS0_10empty_typeEbEEZZNS1_14partition_implILS5_5ELb0ES3_mN6thrust23THRUST_200600_302600_NS6detail15normal_iteratorINSA_10device_ptrIsEEEEPS6_NSA_18transform_iteratorINSB_9not_fun_tI7is_trueIsEEENSC_INSD_IbEEEENSA_11use_defaultESO_EENS0_5tupleIJNSA_16discard_iteratorISO_EES6_EEENSQ_IJSG_SG_EEES6_PlJS6_EEE10hipError_tPvRmT3_T4_T5_T6_T7_T9_mT8_P12ihipStream_tbDpT10_ENKUlT_T0_E_clISt17integral_constantIbLb0EES1F_EEDaS1A_S1B_EUlS1A_E_NS1_11comp_targetILNS1_3genE3ELNS1_11target_archE908ELNS1_3gpuE7ELNS1_3repE0EEENS1_30default_config_static_selectorELNS0_4arch9wavefront6targetE0EEEvT1_.numbered_sgpr, 0
	.set _ZN7rocprim17ROCPRIM_400000_NS6detail17trampoline_kernelINS0_14default_configENS1_25partition_config_selectorILNS1_17partition_subalgoE5EsNS0_10empty_typeEbEEZZNS1_14partition_implILS5_5ELb0ES3_mN6thrust23THRUST_200600_302600_NS6detail15normal_iteratorINSA_10device_ptrIsEEEEPS6_NSA_18transform_iteratorINSB_9not_fun_tI7is_trueIsEEENSC_INSD_IbEEEENSA_11use_defaultESO_EENS0_5tupleIJNSA_16discard_iteratorISO_EES6_EEENSQ_IJSG_SG_EEES6_PlJS6_EEE10hipError_tPvRmT3_T4_T5_T6_T7_T9_mT8_P12ihipStream_tbDpT10_ENKUlT_T0_E_clISt17integral_constantIbLb0EES1F_EEDaS1A_S1B_EUlS1A_E_NS1_11comp_targetILNS1_3genE3ELNS1_11target_archE908ELNS1_3gpuE7ELNS1_3repE0EEENS1_30default_config_static_selectorELNS0_4arch9wavefront6targetE0EEEvT1_.num_named_barrier, 0
	.set _ZN7rocprim17ROCPRIM_400000_NS6detail17trampoline_kernelINS0_14default_configENS1_25partition_config_selectorILNS1_17partition_subalgoE5EsNS0_10empty_typeEbEEZZNS1_14partition_implILS5_5ELb0ES3_mN6thrust23THRUST_200600_302600_NS6detail15normal_iteratorINSA_10device_ptrIsEEEEPS6_NSA_18transform_iteratorINSB_9not_fun_tI7is_trueIsEEENSC_INSD_IbEEEENSA_11use_defaultESO_EENS0_5tupleIJNSA_16discard_iteratorISO_EES6_EEENSQ_IJSG_SG_EEES6_PlJS6_EEE10hipError_tPvRmT3_T4_T5_T6_T7_T9_mT8_P12ihipStream_tbDpT10_ENKUlT_T0_E_clISt17integral_constantIbLb0EES1F_EEDaS1A_S1B_EUlS1A_E_NS1_11comp_targetILNS1_3genE3ELNS1_11target_archE908ELNS1_3gpuE7ELNS1_3repE0EEENS1_30default_config_static_selectorELNS0_4arch9wavefront6targetE0EEEvT1_.private_seg_size, 0
	.set _ZN7rocprim17ROCPRIM_400000_NS6detail17trampoline_kernelINS0_14default_configENS1_25partition_config_selectorILNS1_17partition_subalgoE5EsNS0_10empty_typeEbEEZZNS1_14partition_implILS5_5ELb0ES3_mN6thrust23THRUST_200600_302600_NS6detail15normal_iteratorINSA_10device_ptrIsEEEEPS6_NSA_18transform_iteratorINSB_9not_fun_tI7is_trueIsEEENSC_INSD_IbEEEENSA_11use_defaultESO_EENS0_5tupleIJNSA_16discard_iteratorISO_EES6_EEENSQ_IJSG_SG_EEES6_PlJS6_EEE10hipError_tPvRmT3_T4_T5_T6_T7_T9_mT8_P12ihipStream_tbDpT10_ENKUlT_T0_E_clISt17integral_constantIbLb0EES1F_EEDaS1A_S1B_EUlS1A_E_NS1_11comp_targetILNS1_3genE3ELNS1_11target_archE908ELNS1_3gpuE7ELNS1_3repE0EEENS1_30default_config_static_selectorELNS0_4arch9wavefront6targetE0EEEvT1_.uses_vcc, 0
	.set _ZN7rocprim17ROCPRIM_400000_NS6detail17trampoline_kernelINS0_14default_configENS1_25partition_config_selectorILNS1_17partition_subalgoE5EsNS0_10empty_typeEbEEZZNS1_14partition_implILS5_5ELb0ES3_mN6thrust23THRUST_200600_302600_NS6detail15normal_iteratorINSA_10device_ptrIsEEEEPS6_NSA_18transform_iteratorINSB_9not_fun_tI7is_trueIsEEENSC_INSD_IbEEEENSA_11use_defaultESO_EENS0_5tupleIJNSA_16discard_iteratorISO_EES6_EEENSQ_IJSG_SG_EEES6_PlJS6_EEE10hipError_tPvRmT3_T4_T5_T6_T7_T9_mT8_P12ihipStream_tbDpT10_ENKUlT_T0_E_clISt17integral_constantIbLb0EES1F_EEDaS1A_S1B_EUlS1A_E_NS1_11comp_targetILNS1_3genE3ELNS1_11target_archE908ELNS1_3gpuE7ELNS1_3repE0EEENS1_30default_config_static_selectorELNS0_4arch9wavefront6targetE0EEEvT1_.uses_flat_scratch, 0
	.set _ZN7rocprim17ROCPRIM_400000_NS6detail17trampoline_kernelINS0_14default_configENS1_25partition_config_selectorILNS1_17partition_subalgoE5EsNS0_10empty_typeEbEEZZNS1_14partition_implILS5_5ELb0ES3_mN6thrust23THRUST_200600_302600_NS6detail15normal_iteratorINSA_10device_ptrIsEEEEPS6_NSA_18transform_iteratorINSB_9not_fun_tI7is_trueIsEEENSC_INSD_IbEEEENSA_11use_defaultESO_EENS0_5tupleIJNSA_16discard_iteratorISO_EES6_EEENSQ_IJSG_SG_EEES6_PlJS6_EEE10hipError_tPvRmT3_T4_T5_T6_T7_T9_mT8_P12ihipStream_tbDpT10_ENKUlT_T0_E_clISt17integral_constantIbLb0EES1F_EEDaS1A_S1B_EUlS1A_E_NS1_11comp_targetILNS1_3genE3ELNS1_11target_archE908ELNS1_3gpuE7ELNS1_3repE0EEENS1_30default_config_static_selectorELNS0_4arch9wavefront6targetE0EEEvT1_.has_dyn_sized_stack, 0
	.set _ZN7rocprim17ROCPRIM_400000_NS6detail17trampoline_kernelINS0_14default_configENS1_25partition_config_selectorILNS1_17partition_subalgoE5EsNS0_10empty_typeEbEEZZNS1_14partition_implILS5_5ELb0ES3_mN6thrust23THRUST_200600_302600_NS6detail15normal_iteratorINSA_10device_ptrIsEEEEPS6_NSA_18transform_iteratorINSB_9not_fun_tI7is_trueIsEEENSC_INSD_IbEEEENSA_11use_defaultESO_EENS0_5tupleIJNSA_16discard_iteratorISO_EES6_EEENSQ_IJSG_SG_EEES6_PlJS6_EEE10hipError_tPvRmT3_T4_T5_T6_T7_T9_mT8_P12ihipStream_tbDpT10_ENKUlT_T0_E_clISt17integral_constantIbLb0EES1F_EEDaS1A_S1B_EUlS1A_E_NS1_11comp_targetILNS1_3genE3ELNS1_11target_archE908ELNS1_3gpuE7ELNS1_3repE0EEENS1_30default_config_static_selectorELNS0_4arch9wavefront6targetE0EEEvT1_.has_recursion, 0
	.set _ZN7rocprim17ROCPRIM_400000_NS6detail17trampoline_kernelINS0_14default_configENS1_25partition_config_selectorILNS1_17partition_subalgoE5EsNS0_10empty_typeEbEEZZNS1_14partition_implILS5_5ELb0ES3_mN6thrust23THRUST_200600_302600_NS6detail15normal_iteratorINSA_10device_ptrIsEEEEPS6_NSA_18transform_iteratorINSB_9not_fun_tI7is_trueIsEEENSC_INSD_IbEEEENSA_11use_defaultESO_EENS0_5tupleIJNSA_16discard_iteratorISO_EES6_EEENSQ_IJSG_SG_EEES6_PlJS6_EEE10hipError_tPvRmT3_T4_T5_T6_T7_T9_mT8_P12ihipStream_tbDpT10_ENKUlT_T0_E_clISt17integral_constantIbLb0EES1F_EEDaS1A_S1B_EUlS1A_E_NS1_11comp_targetILNS1_3genE3ELNS1_11target_archE908ELNS1_3gpuE7ELNS1_3repE0EEENS1_30default_config_static_selectorELNS0_4arch9wavefront6targetE0EEEvT1_.has_indirect_call, 0
	.section	.AMDGPU.csdata,"",@progbits
; Kernel info:
; codeLenInByte = 0
; TotalNumSgprs: 0
; NumVgprs: 0
; ScratchSize: 0
; MemoryBound: 0
; FloatMode: 240
; IeeeMode: 1
; LDSByteSize: 0 bytes/workgroup (compile time only)
; SGPRBlocks: 0
; VGPRBlocks: 0
; NumSGPRsForWavesPerEU: 1
; NumVGPRsForWavesPerEU: 1
; Occupancy: 16
; WaveLimiterHint : 0
; COMPUTE_PGM_RSRC2:SCRATCH_EN: 0
; COMPUTE_PGM_RSRC2:USER_SGPR: 2
; COMPUTE_PGM_RSRC2:TRAP_HANDLER: 0
; COMPUTE_PGM_RSRC2:TGID_X_EN: 1
; COMPUTE_PGM_RSRC2:TGID_Y_EN: 0
; COMPUTE_PGM_RSRC2:TGID_Z_EN: 0
; COMPUTE_PGM_RSRC2:TIDIG_COMP_CNT: 0
	.section	.text._ZN7rocprim17ROCPRIM_400000_NS6detail17trampoline_kernelINS0_14default_configENS1_25partition_config_selectorILNS1_17partition_subalgoE5EsNS0_10empty_typeEbEEZZNS1_14partition_implILS5_5ELb0ES3_mN6thrust23THRUST_200600_302600_NS6detail15normal_iteratorINSA_10device_ptrIsEEEEPS6_NSA_18transform_iteratorINSB_9not_fun_tI7is_trueIsEEENSC_INSD_IbEEEENSA_11use_defaultESO_EENS0_5tupleIJNSA_16discard_iteratorISO_EES6_EEENSQ_IJSG_SG_EEES6_PlJS6_EEE10hipError_tPvRmT3_T4_T5_T6_T7_T9_mT8_P12ihipStream_tbDpT10_ENKUlT_T0_E_clISt17integral_constantIbLb0EES1F_EEDaS1A_S1B_EUlS1A_E_NS1_11comp_targetILNS1_3genE2ELNS1_11target_archE906ELNS1_3gpuE6ELNS1_3repE0EEENS1_30default_config_static_selectorELNS0_4arch9wavefront6targetE0EEEvT1_,"axG",@progbits,_ZN7rocprim17ROCPRIM_400000_NS6detail17trampoline_kernelINS0_14default_configENS1_25partition_config_selectorILNS1_17partition_subalgoE5EsNS0_10empty_typeEbEEZZNS1_14partition_implILS5_5ELb0ES3_mN6thrust23THRUST_200600_302600_NS6detail15normal_iteratorINSA_10device_ptrIsEEEEPS6_NSA_18transform_iteratorINSB_9not_fun_tI7is_trueIsEEENSC_INSD_IbEEEENSA_11use_defaultESO_EENS0_5tupleIJNSA_16discard_iteratorISO_EES6_EEENSQ_IJSG_SG_EEES6_PlJS6_EEE10hipError_tPvRmT3_T4_T5_T6_T7_T9_mT8_P12ihipStream_tbDpT10_ENKUlT_T0_E_clISt17integral_constantIbLb0EES1F_EEDaS1A_S1B_EUlS1A_E_NS1_11comp_targetILNS1_3genE2ELNS1_11target_archE906ELNS1_3gpuE6ELNS1_3repE0EEENS1_30default_config_static_selectorELNS0_4arch9wavefront6targetE0EEEvT1_,comdat
	.protected	_ZN7rocprim17ROCPRIM_400000_NS6detail17trampoline_kernelINS0_14default_configENS1_25partition_config_selectorILNS1_17partition_subalgoE5EsNS0_10empty_typeEbEEZZNS1_14partition_implILS5_5ELb0ES3_mN6thrust23THRUST_200600_302600_NS6detail15normal_iteratorINSA_10device_ptrIsEEEEPS6_NSA_18transform_iteratorINSB_9not_fun_tI7is_trueIsEEENSC_INSD_IbEEEENSA_11use_defaultESO_EENS0_5tupleIJNSA_16discard_iteratorISO_EES6_EEENSQ_IJSG_SG_EEES6_PlJS6_EEE10hipError_tPvRmT3_T4_T5_T6_T7_T9_mT8_P12ihipStream_tbDpT10_ENKUlT_T0_E_clISt17integral_constantIbLb0EES1F_EEDaS1A_S1B_EUlS1A_E_NS1_11comp_targetILNS1_3genE2ELNS1_11target_archE906ELNS1_3gpuE6ELNS1_3repE0EEENS1_30default_config_static_selectorELNS0_4arch9wavefront6targetE0EEEvT1_ ; -- Begin function _ZN7rocprim17ROCPRIM_400000_NS6detail17trampoline_kernelINS0_14default_configENS1_25partition_config_selectorILNS1_17partition_subalgoE5EsNS0_10empty_typeEbEEZZNS1_14partition_implILS5_5ELb0ES3_mN6thrust23THRUST_200600_302600_NS6detail15normal_iteratorINSA_10device_ptrIsEEEEPS6_NSA_18transform_iteratorINSB_9not_fun_tI7is_trueIsEEENSC_INSD_IbEEEENSA_11use_defaultESO_EENS0_5tupleIJNSA_16discard_iteratorISO_EES6_EEENSQ_IJSG_SG_EEES6_PlJS6_EEE10hipError_tPvRmT3_T4_T5_T6_T7_T9_mT8_P12ihipStream_tbDpT10_ENKUlT_T0_E_clISt17integral_constantIbLb0EES1F_EEDaS1A_S1B_EUlS1A_E_NS1_11comp_targetILNS1_3genE2ELNS1_11target_archE906ELNS1_3gpuE6ELNS1_3repE0EEENS1_30default_config_static_selectorELNS0_4arch9wavefront6targetE0EEEvT1_
	.globl	_ZN7rocprim17ROCPRIM_400000_NS6detail17trampoline_kernelINS0_14default_configENS1_25partition_config_selectorILNS1_17partition_subalgoE5EsNS0_10empty_typeEbEEZZNS1_14partition_implILS5_5ELb0ES3_mN6thrust23THRUST_200600_302600_NS6detail15normal_iteratorINSA_10device_ptrIsEEEEPS6_NSA_18transform_iteratorINSB_9not_fun_tI7is_trueIsEEENSC_INSD_IbEEEENSA_11use_defaultESO_EENS0_5tupleIJNSA_16discard_iteratorISO_EES6_EEENSQ_IJSG_SG_EEES6_PlJS6_EEE10hipError_tPvRmT3_T4_T5_T6_T7_T9_mT8_P12ihipStream_tbDpT10_ENKUlT_T0_E_clISt17integral_constantIbLb0EES1F_EEDaS1A_S1B_EUlS1A_E_NS1_11comp_targetILNS1_3genE2ELNS1_11target_archE906ELNS1_3gpuE6ELNS1_3repE0EEENS1_30default_config_static_selectorELNS0_4arch9wavefront6targetE0EEEvT1_
	.p2align	8
	.type	_ZN7rocprim17ROCPRIM_400000_NS6detail17trampoline_kernelINS0_14default_configENS1_25partition_config_selectorILNS1_17partition_subalgoE5EsNS0_10empty_typeEbEEZZNS1_14partition_implILS5_5ELb0ES3_mN6thrust23THRUST_200600_302600_NS6detail15normal_iteratorINSA_10device_ptrIsEEEEPS6_NSA_18transform_iteratorINSB_9not_fun_tI7is_trueIsEEENSC_INSD_IbEEEENSA_11use_defaultESO_EENS0_5tupleIJNSA_16discard_iteratorISO_EES6_EEENSQ_IJSG_SG_EEES6_PlJS6_EEE10hipError_tPvRmT3_T4_T5_T6_T7_T9_mT8_P12ihipStream_tbDpT10_ENKUlT_T0_E_clISt17integral_constantIbLb0EES1F_EEDaS1A_S1B_EUlS1A_E_NS1_11comp_targetILNS1_3genE2ELNS1_11target_archE906ELNS1_3gpuE6ELNS1_3repE0EEENS1_30default_config_static_selectorELNS0_4arch9wavefront6targetE0EEEvT1_,@function
_ZN7rocprim17ROCPRIM_400000_NS6detail17trampoline_kernelINS0_14default_configENS1_25partition_config_selectorILNS1_17partition_subalgoE5EsNS0_10empty_typeEbEEZZNS1_14partition_implILS5_5ELb0ES3_mN6thrust23THRUST_200600_302600_NS6detail15normal_iteratorINSA_10device_ptrIsEEEEPS6_NSA_18transform_iteratorINSB_9not_fun_tI7is_trueIsEEENSC_INSD_IbEEEENSA_11use_defaultESO_EENS0_5tupleIJNSA_16discard_iteratorISO_EES6_EEENSQ_IJSG_SG_EEES6_PlJS6_EEE10hipError_tPvRmT3_T4_T5_T6_T7_T9_mT8_P12ihipStream_tbDpT10_ENKUlT_T0_E_clISt17integral_constantIbLb0EES1F_EEDaS1A_S1B_EUlS1A_E_NS1_11comp_targetILNS1_3genE2ELNS1_11target_archE906ELNS1_3gpuE6ELNS1_3repE0EEENS1_30default_config_static_selectorELNS0_4arch9wavefront6targetE0EEEvT1_: ; @_ZN7rocprim17ROCPRIM_400000_NS6detail17trampoline_kernelINS0_14default_configENS1_25partition_config_selectorILNS1_17partition_subalgoE5EsNS0_10empty_typeEbEEZZNS1_14partition_implILS5_5ELb0ES3_mN6thrust23THRUST_200600_302600_NS6detail15normal_iteratorINSA_10device_ptrIsEEEEPS6_NSA_18transform_iteratorINSB_9not_fun_tI7is_trueIsEEENSC_INSD_IbEEEENSA_11use_defaultESO_EENS0_5tupleIJNSA_16discard_iteratorISO_EES6_EEENSQ_IJSG_SG_EEES6_PlJS6_EEE10hipError_tPvRmT3_T4_T5_T6_T7_T9_mT8_P12ihipStream_tbDpT10_ENKUlT_T0_E_clISt17integral_constantIbLb0EES1F_EEDaS1A_S1B_EUlS1A_E_NS1_11comp_targetILNS1_3genE2ELNS1_11target_archE906ELNS1_3gpuE6ELNS1_3repE0EEENS1_30default_config_static_selectorELNS0_4arch9wavefront6targetE0EEEvT1_
; %bb.0:
	.section	.rodata,"a",@progbits
	.p2align	6, 0x0
	.amdhsa_kernel _ZN7rocprim17ROCPRIM_400000_NS6detail17trampoline_kernelINS0_14default_configENS1_25partition_config_selectorILNS1_17partition_subalgoE5EsNS0_10empty_typeEbEEZZNS1_14partition_implILS5_5ELb0ES3_mN6thrust23THRUST_200600_302600_NS6detail15normal_iteratorINSA_10device_ptrIsEEEEPS6_NSA_18transform_iteratorINSB_9not_fun_tI7is_trueIsEEENSC_INSD_IbEEEENSA_11use_defaultESO_EENS0_5tupleIJNSA_16discard_iteratorISO_EES6_EEENSQ_IJSG_SG_EEES6_PlJS6_EEE10hipError_tPvRmT3_T4_T5_T6_T7_T9_mT8_P12ihipStream_tbDpT10_ENKUlT_T0_E_clISt17integral_constantIbLb0EES1F_EEDaS1A_S1B_EUlS1A_E_NS1_11comp_targetILNS1_3genE2ELNS1_11target_archE906ELNS1_3gpuE6ELNS1_3repE0EEENS1_30default_config_static_selectorELNS0_4arch9wavefront6targetE0EEEvT1_
		.amdhsa_group_segment_fixed_size 0
		.amdhsa_private_segment_fixed_size 0
		.amdhsa_kernarg_size 128
		.amdhsa_user_sgpr_count 2
		.amdhsa_user_sgpr_dispatch_ptr 0
		.amdhsa_user_sgpr_queue_ptr 0
		.amdhsa_user_sgpr_kernarg_segment_ptr 1
		.amdhsa_user_sgpr_dispatch_id 0
		.amdhsa_user_sgpr_private_segment_size 0
		.amdhsa_wavefront_size32 1
		.amdhsa_uses_dynamic_stack 0
		.amdhsa_enable_private_segment 0
		.amdhsa_system_sgpr_workgroup_id_x 1
		.amdhsa_system_sgpr_workgroup_id_y 0
		.amdhsa_system_sgpr_workgroup_id_z 0
		.amdhsa_system_sgpr_workgroup_info 0
		.amdhsa_system_vgpr_workitem_id 0
		.amdhsa_next_free_vgpr 1
		.amdhsa_next_free_sgpr 1
		.amdhsa_reserve_vcc 0
		.amdhsa_float_round_mode_32 0
		.amdhsa_float_round_mode_16_64 0
		.amdhsa_float_denorm_mode_32 3
		.amdhsa_float_denorm_mode_16_64 3
		.amdhsa_fp16_overflow 0
		.amdhsa_workgroup_processor_mode 1
		.amdhsa_memory_ordered 1
		.amdhsa_forward_progress 1
		.amdhsa_inst_pref_size 0
		.amdhsa_round_robin_scheduling 0
		.amdhsa_exception_fp_ieee_invalid_op 0
		.amdhsa_exception_fp_denorm_src 0
		.amdhsa_exception_fp_ieee_div_zero 0
		.amdhsa_exception_fp_ieee_overflow 0
		.amdhsa_exception_fp_ieee_underflow 0
		.amdhsa_exception_fp_ieee_inexact 0
		.amdhsa_exception_int_div_zero 0
	.end_amdhsa_kernel
	.section	.text._ZN7rocprim17ROCPRIM_400000_NS6detail17trampoline_kernelINS0_14default_configENS1_25partition_config_selectorILNS1_17partition_subalgoE5EsNS0_10empty_typeEbEEZZNS1_14partition_implILS5_5ELb0ES3_mN6thrust23THRUST_200600_302600_NS6detail15normal_iteratorINSA_10device_ptrIsEEEEPS6_NSA_18transform_iteratorINSB_9not_fun_tI7is_trueIsEEENSC_INSD_IbEEEENSA_11use_defaultESO_EENS0_5tupleIJNSA_16discard_iteratorISO_EES6_EEENSQ_IJSG_SG_EEES6_PlJS6_EEE10hipError_tPvRmT3_T4_T5_T6_T7_T9_mT8_P12ihipStream_tbDpT10_ENKUlT_T0_E_clISt17integral_constantIbLb0EES1F_EEDaS1A_S1B_EUlS1A_E_NS1_11comp_targetILNS1_3genE2ELNS1_11target_archE906ELNS1_3gpuE6ELNS1_3repE0EEENS1_30default_config_static_selectorELNS0_4arch9wavefront6targetE0EEEvT1_,"axG",@progbits,_ZN7rocprim17ROCPRIM_400000_NS6detail17trampoline_kernelINS0_14default_configENS1_25partition_config_selectorILNS1_17partition_subalgoE5EsNS0_10empty_typeEbEEZZNS1_14partition_implILS5_5ELb0ES3_mN6thrust23THRUST_200600_302600_NS6detail15normal_iteratorINSA_10device_ptrIsEEEEPS6_NSA_18transform_iteratorINSB_9not_fun_tI7is_trueIsEEENSC_INSD_IbEEEENSA_11use_defaultESO_EENS0_5tupleIJNSA_16discard_iteratorISO_EES6_EEENSQ_IJSG_SG_EEES6_PlJS6_EEE10hipError_tPvRmT3_T4_T5_T6_T7_T9_mT8_P12ihipStream_tbDpT10_ENKUlT_T0_E_clISt17integral_constantIbLb0EES1F_EEDaS1A_S1B_EUlS1A_E_NS1_11comp_targetILNS1_3genE2ELNS1_11target_archE906ELNS1_3gpuE6ELNS1_3repE0EEENS1_30default_config_static_selectorELNS0_4arch9wavefront6targetE0EEEvT1_,comdat
.Lfunc_end2817:
	.size	_ZN7rocprim17ROCPRIM_400000_NS6detail17trampoline_kernelINS0_14default_configENS1_25partition_config_selectorILNS1_17partition_subalgoE5EsNS0_10empty_typeEbEEZZNS1_14partition_implILS5_5ELb0ES3_mN6thrust23THRUST_200600_302600_NS6detail15normal_iteratorINSA_10device_ptrIsEEEEPS6_NSA_18transform_iteratorINSB_9not_fun_tI7is_trueIsEEENSC_INSD_IbEEEENSA_11use_defaultESO_EENS0_5tupleIJNSA_16discard_iteratorISO_EES6_EEENSQ_IJSG_SG_EEES6_PlJS6_EEE10hipError_tPvRmT3_T4_T5_T6_T7_T9_mT8_P12ihipStream_tbDpT10_ENKUlT_T0_E_clISt17integral_constantIbLb0EES1F_EEDaS1A_S1B_EUlS1A_E_NS1_11comp_targetILNS1_3genE2ELNS1_11target_archE906ELNS1_3gpuE6ELNS1_3repE0EEENS1_30default_config_static_selectorELNS0_4arch9wavefront6targetE0EEEvT1_, .Lfunc_end2817-_ZN7rocprim17ROCPRIM_400000_NS6detail17trampoline_kernelINS0_14default_configENS1_25partition_config_selectorILNS1_17partition_subalgoE5EsNS0_10empty_typeEbEEZZNS1_14partition_implILS5_5ELb0ES3_mN6thrust23THRUST_200600_302600_NS6detail15normal_iteratorINSA_10device_ptrIsEEEEPS6_NSA_18transform_iteratorINSB_9not_fun_tI7is_trueIsEEENSC_INSD_IbEEEENSA_11use_defaultESO_EENS0_5tupleIJNSA_16discard_iteratorISO_EES6_EEENSQ_IJSG_SG_EEES6_PlJS6_EEE10hipError_tPvRmT3_T4_T5_T6_T7_T9_mT8_P12ihipStream_tbDpT10_ENKUlT_T0_E_clISt17integral_constantIbLb0EES1F_EEDaS1A_S1B_EUlS1A_E_NS1_11comp_targetILNS1_3genE2ELNS1_11target_archE906ELNS1_3gpuE6ELNS1_3repE0EEENS1_30default_config_static_selectorELNS0_4arch9wavefront6targetE0EEEvT1_
                                        ; -- End function
	.set _ZN7rocprim17ROCPRIM_400000_NS6detail17trampoline_kernelINS0_14default_configENS1_25partition_config_selectorILNS1_17partition_subalgoE5EsNS0_10empty_typeEbEEZZNS1_14partition_implILS5_5ELb0ES3_mN6thrust23THRUST_200600_302600_NS6detail15normal_iteratorINSA_10device_ptrIsEEEEPS6_NSA_18transform_iteratorINSB_9not_fun_tI7is_trueIsEEENSC_INSD_IbEEEENSA_11use_defaultESO_EENS0_5tupleIJNSA_16discard_iteratorISO_EES6_EEENSQ_IJSG_SG_EEES6_PlJS6_EEE10hipError_tPvRmT3_T4_T5_T6_T7_T9_mT8_P12ihipStream_tbDpT10_ENKUlT_T0_E_clISt17integral_constantIbLb0EES1F_EEDaS1A_S1B_EUlS1A_E_NS1_11comp_targetILNS1_3genE2ELNS1_11target_archE906ELNS1_3gpuE6ELNS1_3repE0EEENS1_30default_config_static_selectorELNS0_4arch9wavefront6targetE0EEEvT1_.num_vgpr, 0
	.set _ZN7rocprim17ROCPRIM_400000_NS6detail17trampoline_kernelINS0_14default_configENS1_25partition_config_selectorILNS1_17partition_subalgoE5EsNS0_10empty_typeEbEEZZNS1_14partition_implILS5_5ELb0ES3_mN6thrust23THRUST_200600_302600_NS6detail15normal_iteratorINSA_10device_ptrIsEEEEPS6_NSA_18transform_iteratorINSB_9not_fun_tI7is_trueIsEEENSC_INSD_IbEEEENSA_11use_defaultESO_EENS0_5tupleIJNSA_16discard_iteratorISO_EES6_EEENSQ_IJSG_SG_EEES6_PlJS6_EEE10hipError_tPvRmT3_T4_T5_T6_T7_T9_mT8_P12ihipStream_tbDpT10_ENKUlT_T0_E_clISt17integral_constantIbLb0EES1F_EEDaS1A_S1B_EUlS1A_E_NS1_11comp_targetILNS1_3genE2ELNS1_11target_archE906ELNS1_3gpuE6ELNS1_3repE0EEENS1_30default_config_static_selectorELNS0_4arch9wavefront6targetE0EEEvT1_.num_agpr, 0
	.set _ZN7rocprim17ROCPRIM_400000_NS6detail17trampoline_kernelINS0_14default_configENS1_25partition_config_selectorILNS1_17partition_subalgoE5EsNS0_10empty_typeEbEEZZNS1_14partition_implILS5_5ELb0ES3_mN6thrust23THRUST_200600_302600_NS6detail15normal_iteratorINSA_10device_ptrIsEEEEPS6_NSA_18transform_iteratorINSB_9not_fun_tI7is_trueIsEEENSC_INSD_IbEEEENSA_11use_defaultESO_EENS0_5tupleIJNSA_16discard_iteratorISO_EES6_EEENSQ_IJSG_SG_EEES6_PlJS6_EEE10hipError_tPvRmT3_T4_T5_T6_T7_T9_mT8_P12ihipStream_tbDpT10_ENKUlT_T0_E_clISt17integral_constantIbLb0EES1F_EEDaS1A_S1B_EUlS1A_E_NS1_11comp_targetILNS1_3genE2ELNS1_11target_archE906ELNS1_3gpuE6ELNS1_3repE0EEENS1_30default_config_static_selectorELNS0_4arch9wavefront6targetE0EEEvT1_.numbered_sgpr, 0
	.set _ZN7rocprim17ROCPRIM_400000_NS6detail17trampoline_kernelINS0_14default_configENS1_25partition_config_selectorILNS1_17partition_subalgoE5EsNS0_10empty_typeEbEEZZNS1_14partition_implILS5_5ELb0ES3_mN6thrust23THRUST_200600_302600_NS6detail15normal_iteratorINSA_10device_ptrIsEEEEPS6_NSA_18transform_iteratorINSB_9not_fun_tI7is_trueIsEEENSC_INSD_IbEEEENSA_11use_defaultESO_EENS0_5tupleIJNSA_16discard_iteratorISO_EES6_EEENSQ_IJSG_SG_EEES6_PlJS6_EEE10hipError_tPvRmT3_T4_T5_T6_T7_T9_mT8_P12ihipStream_tbDpT10_ENKUlT_T0_E_clISt17integral_constantIbLb0EES1F_EEDaS1A_S1B_EUlS1A_E_NS1_11comp_targetILNS1_3genE2ELNS1_11target_archE906ELNS1_3gpuE6ELNS1_3repE0EEENS1_30default_config_static_selectorELNS0_4arch9wavefront6targetE0EEEvT1_.num_named_barrier, 0
	.set _ZN7rocprim17ROCPRIM_400000_NS6detail17trampoline_kernelINS0_14default_configENS1_25partition_config_selectorILNS1_17partition_subalgoE5EsNS0_10empty_typeEbEEZZNS1_14partition_implILS5_5ELb0ES3_mN6thrust23THRUST_200600_302600_NS6detail15normal_iteratorINSA_10device_ptrIsEEEEPS6_NSA_18transform_iteratorINSB_9not_fun_tI7is_trueIsEEENSC_INSD_IbEEEENSA_11use_defaultESO_EENS0_5tupleIJNSA_16discard_iteratorISO_EES6_EEENSQ_IJSG_SG_EEES6_PlJS6_EEE10hipError_tPvRmT3_T4_T5_T6_T7_T9_mT8_P12ihipStream_tbDpT10_ENKUlT_T0_E_clISt17integral_constantIbLb0EES1F_EEDaS1A_S1B_EUlS1A_E_NS1_11comp_targetILNS1_3genE2ELNS1_11target_archE906ELNS1_3gpuE6ELNS1_3repE0EEENS1_30default_config_static_selectorELNS0_4arch9wavefront6targetE0EEEvT1_.private_seg_size, 0
	.set _ZN7rocprim17ROCPRIM_400000_NS6detail17trampoline_kernelINS0_14default_configENS1_25partition_config_selectorILNS1_17partition_subalgoE5EsNS0_10empty_typeEbEEZZNS1_14partition_implILS5_5ELb0ES3_mN6thrust23THRUST_200600_302600_NS6detail15normal_iteratorINSA_10device_ptrIsEEEEPS6_NSA_18transform_iteratorINSB_9not_fun_tI7is_trueIsEEENSC_INSD_IbEEEENSA_11use_defaultESO_EENS0_5tupleIJNSA_16discard_iteratorISO_EES6_EEENSQ_IJSG_SG_EEES6_PlJS6_EEE10hipError_tPvRmT3_T4_T5_T6_T7_T9_mT8_P12ihipStream_tbDpT10_ENKUlT_T0_E_clISt17integral_constantIbLb0EES1F_EEDaS1A_S1B_EUlS1A_E_NS1_11comp_targetILNS1_3genE2ELNS1_11target_archE906ELNS1_3gpuE6ELNS1_3repE0EEENS1_30default_config_static_selectorELNS0_4arch9wavefront6targetE0EEEvT1_.uses_vcc, 0
	.set _ZN7rocprim17ROCPRIM_400000_NS6detail17trampoline_kernelINS0_14default_configENS1_25partition_config_selectorILNS1_17partition_subalgoE5EsNS0_10empty_typeEbEEZZNS1_14partition_implILS5_5ELb0ES3_mN6thrust23THRUST_200600_302600_NS6detail15normal_iteratorINSA_10device_ptrIsEEEEPS6_NSA_18transform_iteratorINSB_9not_fun_tI7is_trueIsEEENSC_INSD_IbEEEENSA_11use_defaultESO_EENS0_5tupleIJNSA_16discard_iteratorISO_EES6_EEENSQ_IJSG_SG_EEES6_PlJS6_EEE10hipError_tPvRmT3_T4_T5_T6_T7_T9_mT8_P12ihipStream_tbDpT10_ENKUlT_T0_E_clISt17integral_constantIbLb0EES1F_EEDaS1A_S1B_EUlS1A_E_NS1_11comp_targetILNS1_3genE2ELNS1_11target_archE906ELNS1_3gpuE6ELNS1_3repE0EEENS1_30default_config_static_selectorELNS0_4arch9wavefront6targetE0EEEvT1_.uses_flat_scratch, 0
	.set _ZN7rocprim17ROCPRIM_400000_NS6detail17trampoline_kernelINS0_14default_configENS1_25partition_config_selectorILNS1_17partition_subalgoE5EsNS0_10empty_typeEbEEZZNS1_14partition_implILS5_5ELb0ES3_mN6thrust23THRUST_200600_302600_NS6detail15normal_iteratorINSA_10device_ptrIsEEEEPS6_NSA_18transform_iteratorINSB_9not_fun_tI7is_trueIsEEENSC_INSD_IbEEEENSA_11use_defaultESO_EENS0_5tupleIJNSA_16discard_iteratorISO_EES6_EEENSQ_IJSG_SG_EEES6_PlJS6_EEE10hipError_tPvRmT3_T4_T5_T6_T7_T9_mT8_P12ihipStream_tbDpT10_ENKUlT_T0_E_clISt17integral_constantIbLb0EES1F_EEDaS1A_S1B_EUlS1A_E_NS1_11comp_targetILNS1_3genE2ELNS1_11target_archE906ELNS1_3gpuE6ELNS1_3repE0EEENS1_30default_config_static_selectorELNS0_4arch9wavefront6targetE0EEEvT1_.has_dyn_sized_stack, 0
	.set _ZN7rocprim17ROCPRIM_400000_NS6detail17trampoline_kernelINS0_14default_configENS1_25partition_config_selectorILNS1_17partition_subalgoE5EsNS0_10empty_typeEbEEZZNS1_14partition_implILS5_5ELb0ES3_mN6thrust23THRUST_200600_302600_NS6detail15normal_iteratorINSA_10device_ptrIsEEEEPS6_NSA_18transform_iteratorINSB_9not_fun_tI7is_trueIsEEENSC_INSD_IbEEEENSA_11use_defaultESO_EENS0_5tupleIJNSA_16discard_iteratorISO_EES6_EEENSQ_IJSG_SG_EEES6_PlJS6_EEE10hipError_tPvRmT3_T4_T5_T6_T7_T9_mT8_P12ihipStream_tbDpT10_ENKUlT_T0_E_clISt17integral_constantIbLb0EES1F_EEDaS1A_S1B_EUlS1A_E_NS1_11comp_targetILNS1_3genE2ELNS1_11target_archE906ELNS1_3gpuE6ELNS1_3repE0EEENS1_30default_config_static_selectorELNS0_4arch9wavefront6targetE0EEEvT1_.has_recursion, 0
	.set _ZN7rocprim17ROCPRIM_400000_NS6detail17trampoline_kernelINS0_14default_configENS1_25partition_config_selectorILNS1_17partition_subalgoE5EsNS0_10empty_typeEbEEZZNS1_14partition_implILS5_5ELb0ES3_mN6thrust23THRUST_200600_302600_NS6detail15normal_iteratorINSA_10device_ptrIsEEEEPS6_NSA_18transform_iteratorINSB_9not_fun_tI7is_trueIsEEENSC_INSD_IbEEEENSA_11use_defaultESO_EENS0_5tupleIJNSA_16discard_iteratorISO_EES6_EEENSQ_IJSG_SG_EEES6_PlJS6_EEE10hipError_tPvRmT3_T4_T5_T6_T7_T9_mT8_P12ihipStream_tbDpT10_ENKUlT_T0_E_clISt17integral_constantIbLb0EES1F_EEDaS1A_S1B_EUlS1A_E_NS1_11comp_targetILNS1_3genE2ELNS1_11target_archE906ELNS1_3gpuE6ELNS1_3repE0EEENS1_30default_config_static_selectorELNS0_4arch9wavefront6targetE0EEEvT1_.has_indirect_call, 0
	.section	.AMDGPU.csdata,"",@progbits
; Kernel info:
; codeLenInByte = 0
; TotalNumSgprs: 0
; NumVgprs: 0
; ScratchSize: 0
; MemoryBound: 0
; FloatMode: 240
; IeeeMode: 1
; LDSByteSize: 0 bytes/workgroup (compile time only)
; SGPRBlocks: 0
; VGPRBlocks: 0
; NumSGPRsForWavesPerEU: 1
; NumVGPRsForWavesPerEU: 1
; Occupancy: 16
; WaveLimiterHint : 0
; COMPUTE_PGM_RSRC2:SCRATCH_EN: 0
; COMPUTE_PGM_RSRC2:USER_SGPR: 2
; COMPUTE_PGM_RSRC2:TRAP_HANDLER: 0
; COMPUTE_PGM_RSRC2:TGID_X_EN: 1
; COMPUTE_PGM_RSRC2:TGID_Y_EN: 0
; COMPUTE_PGM_RSRC2:TGID_Z_EN: 0
; COMPUTE_PGM_RSRC2:TIDIG_COMP_CNT: 0
	.section	.text._ZN7rocprim17ROCPRIM_400000_NS6detail17trampoline_kernelINS0_14default_configENS1_25partition_config_selectorILNS1_17partition_subalgoE5EsNS0_10empty_typeEbEEZZNS1_14partition_implILS5_5ELb0ES3_mN6thrust23THRUST_200600_302600_NS6detail15normal_iteratorINSA_10device_ptrIsEEEEPS6_NSA_18transform_iteratorINSB_9not_fun_tI7is_trueIsEEENSC_INSD_IbEEEENSA_11use_defaultESO_EENS0_5tupleIJNSA_16discard_iteratorISO_EES6_EEENSQ_IJSG_SG_EEES6_PlJS6_EEE10hipError_tPvRmT3_T4_T5_T6_T7_T9_mT8_P12ihipStream_tbDpT10_ENKUlT_T0_E_clISt17integral_constantIbLb0EES1F_EEDaS1A_S1B_EUlS1A_E_NS1_11comp_targetILNS1_3genE10ELNS1_11target_archE1200ELNS1_3gpuE4ELNS1_3repE0EEENS1_30default_config_static_selectorELNS0_4arch9wavefront6targetE0EEEvT1_,"axG",@progbits,_ZN7rocprim17ROCPRIM_400000_NS6detail17trampoline_kernelINS0_14default_configENS1_25partition_config_selectorILNS1_17partition_subalgoE5EsNS0_10empty_typeEbEEZZNS1_14partition_implILS5_5ELb0ES3_mN6thrust23THRUST_200600_302600_NS6detail15normal_iteratorINSA_10device_ptrIsEEEEPS6_NSA_18transform_iteratorINSB_9not_fun_tI7is_trueIsEEENSC_INSD_IbEEEENSA_11use_defaultESO_EENS0_5tupleIJNSA_16discard_iteratorISO_EES6_EEENSQ_IJSG_SG_EEES6_PlJS6_EEE10hipError_tPvRmT3_T4_T5_T6_T7_T9_mT8_P12ihipStream_tbDpT10_ENKUlT_T0_E_clISt17integral_constantIbLb0EES1F_EEDaS1A_S1B_EUlS1A_E_NS1_11comp_targetILNS1_3genE10ELNS1_11target_archE1200ELNS1_3gpuE4ELNS1_3repE0EEENS1_30default_config_static_selectorELNS0_4arch9wavefront6targetE0EEEvT1_,comdat
	.protected	_ZN7rocprim17ROCPRIM_400000_NS6detail17trampoline_kernelINS0_14default_configENS1_25partition_config_selectorILNS1_17partition_subalgoE5EsNS0_10empty_typeEbEEZZNS1_14partition_implILS5_5ELb0ES3_mN6thrust23THRUST_200600_302600_NS6detail15normal_iteratorINSA_10device_ptrIsEEEEPS6_NSA_18transform_iteratorINSB_9not_fun_tI7is_trueIsEEENSC_INSD_IbEEEENSA_11use_defaultESO_EENS0_5tupleIJNSA_16discard_iteratorISO_EES6_EEENSQ_IJSG_SG_EEES6_PlJS6_EEE10hipError_tPvRmT3_T4_T5_T6_T7_T9_mT8_P12ihipStream_tbDpT10_ENKUlT_T0_E_clISt17integral_constantIbLb0EES1F_EEDaS1A_S1B_EUlS1A_E_NS1_11comp_targetILNS1_3genE10ELNS1_11target_archE1200ELNS1_3gpuE4ELNS1_3repE0EEENS1_30default_config_static_selectorELNS0_4arch9wavefront6targetE0EEEvT1_ ; -- Begin function _ZN7rocprim17ROCPRIM_400000_NS6detail17trampoline_kernelINS0_14default_configENS1_25partition_config_selectorILNS1_17partition_subalgoE5EsNS0_10empty_typeEbEEZZNS1_14partition_implILS5_5ELb0ES3_mN6thrust23THRUST_200600_302600_NS6detail15normal_iteratorINSA_10device_ptrIsEEEEPS6_NSA_18transform_iteratorINSB_9not_fun_tI7is_trueIsEEENSC_INSD_IbEEEENSA_11use_defaultESO_EENS0_5tupleIJNSA_16discard_iteratorISO_EES6_EEENSQ_IJSG_SG_EEES6_PlJS6_EEE10hipError_tPvRmT3_T4_T5_T6_T7_T9_mT8_P12ihipStream_tbDpT10_ENKUlT_T0_E_clISt17integral_constantIbLb0EES1F_EEDaS1A_S1B_EUlS1A_E_NS1_11comp_targetILNS1_3genE10ELNS1_11target_archE1200ELNS1_3gpuE4ELNS1_3repE0EEENS1_30default_config_static_selectorELNS0_4arch9wavefront6targetE0EEEvT1_
	.globl	_ZN7rocprim17ROCPRIM_400000_NS6detail17trampoline_kernelINS0_14default_configENS1_25partition_config_selectorILNS1_17partition_subalgoE5EsNS0_10empty_typeEbEEZZNS1_14partition_implILS5_5ELb0ES3_mN6thrust23THRUST_200600_302600_NS6detail15normal_iteratorINSA_10device_ptrIsEEEEPS6_NSA_18transform_iteratorINSB_9not_fun_tI7is_trueIsEEENSC_INSD_IbEEEENSA_11use_defaultESO_EENS0_5tupleIJNSA_16discard_iteratorISO_EES6_EEENSQ_IJSG_SG_EEES6_PlJS6_EEE10hipError_tPvRmT3_T4_T5_T6_T7_T9_mT8_P12ihipStream_tbDpT10_ENKUlT_T0_E_clISt17integral_constantIbLb0EES1F_EEDaS1A_S1B_EUlS1A_E_NS1_11comp_targetILNS1_3genE10ELNS1_11target_archE1200ELNS1_3gpuE4ELNS1_3repE0EEENS1_30default_config_static_selectorELNS0_4arch9wavefront6targetE0EEEvT1_
	.p2align	8
	.type	_ZN7rocprim17ROCPRIM_400000_NS6detail17trampoline_kernelINS0_14default_configENS1_25partition_config_selectorILNS1_17partition_subalgoE5EsNS0_10empty_typeEbEEZZNS1_14partition_implILS5_5ELb0ES3_mN6thrust23THRUST_200600_302600_NS6detail15normal_iteratorINSA_10device_ptrIsEEEEPS6_NSA_18transform_iteratorINSB_9not_fun_tI7is_trueIsEEENSC_INSD_IbEEEENSA_11use_defaultESO_EENS0_5tupleIJNSA_16discard_iteratorISO_EES6_EEENSQ_IJSG_SG_EEES6_PlJS6_EEE10hipError_tPvRmT3_T4_T5_T6_T7_T9_mT8_P12ihipStream_tbDpT10_ENKUlT_T0_E_clISt17integral_constantIbLb0EES1F_EEDaS1A_S1B_EUlS1A_E_NS1_11comp_targetILNS1_3genE10ELNS1_11target_archE1200ELNS1_3gpuE4ELNS1_3repE0EEENS1_30default_config_static_selectorELNS0_4arch9wavefront6targetE0EEEvT1_,@function
_ZN7rocprim17ROCPRIM_400000_NS6detail17trampoline_kernelINS0_14default_configENS1_25partition_config_selectorILNS1_17partition_subalgoE5EsNS0_10empty_typeEbEEZZNS1_14partition_implILS5_5ELb0ES3_mN6thrust23THRUST_200600_302600_NS6detail15normal_iteratorINSA_10device_ptrIsEEEEPS6_NSA_18transform_iteratorINSB_9not_fun_tI7is_trueIsEEENSC_INSD_IbEEEENSA_11use_defaultESO_EENS0_5tupleIJNSA_16discard_iteratorISO_EES6_EEENSQ_IJSG_SG_EEES6_PlJS6_EEE10hipError_tPvRmT3_T4_T5_T6_T7_T9_mT8_P12ihipStream_tbDpT10_ENKUlT_T0_E_clISt17integral_constantIbLb0EES1F_EEDaS1A_S1B_EUlS1A_E_NS1_11comp_targetILNS1_3genE10ELNS1_11target_archE1200ELNS1_3gpuE4ELNS1_3repE0EEENS1_30default_config_static_selectorELNS0_4arch9wavefront6targetE0EEEvT1_: ; @_ZN7rocprim17ROCPRIM_400000_NS6detail17trampoline_kernelINS0_14default_configENS1_25partition_config_selectorILNS1_17partition_subalgoE5EsNS0_10empty_typeEbEEZZNS1_14partition_implILS5_5ELb0ES3_mN6thrust23THRUST_200600_302600_NS6detail15normal_iteratorINSA_10device_ptrIsEEEEPS6_NSA_18transform_iteratorINSB_9not_fun_tI7is_trueIsEEENSC_INSD_IbEEEENSA_11use_defaultESO_EENS0_5tupleIJNSA_16discard_iteratorISO_EES6_EEENSQ_IJSG_SG_EEES6_PlJS6_EEE10hipError_tPvRmT3_T4_T5_T6_T7_T9_mT8_P12ihipStream_tbDpT10_ENKUlT_T0_E_clISt17integral_constantIbLb0EES1F_EEDaS1A_S1B_EUlS1A_E_NS1_11comp_targetILNS1_3genE10ELNS1_11target_archE1200ELNS1_3gpuE4ELNS1_3repE0EEENS1_30default_config_static_selectorELNS0_4arch9wavefront6targetE0EEEvT1_
; %bb.0:
	s_clause 0x3
	s_load_b128 s[8:11], s[0:1], 0x8
	s_load_b32 s2, s[0:1], 0x78
	s_load_b128 s[4:7], s[0:1], 0x50
	s_load_b64 s[14:15], s[0:1], 0x60
	s_mov_b32 s13, 0
	s_mul_i32 s22, ttmp9, 0xc00
	v_lshlrev_b32_e32 v9, 1, v0
	s_mov_b32 s3, -1
	s_wait_kmcnt 0x0
	s_lshl_b64 s[18:19], s[10:11], 1
	s_mul_i32 s12, s2, 0xc00
	s_load_b64 s[6:7], s[6:7], 0x0
	s_add_co_i32 s16, s12, s10
	s_add_co_i32 s2, s2, -1
	s_sub_co_i32 s17, s14, s16
	s_add_nc_u64 s[20:21], s[10:11], s[12:13]
	s_addk_co_i32 s17, 0xc00
	s_cmp_eq_u32 ttmp9, s2
	v_cmp_gt_u64_e64 s14, s[14:15], s[20:21]
	s_cselect_b32 s16, -1, 0
	s_cmp_lg_u32 ttmp9, s2
	s_mov_b32 s12, s22
	s_cselect_b32 s2, -1, 0
	s_add_nc_u64 s[8:9], s[8:9], s[18:19]
	s_or_b32 s18, s2, s14
	s_lshl_b64 s[14:15], s[12:13], 1
	s_and_b32 vcc_lo, exec_lo, s18
	s_wait_alu 0xfffe
	s_add_nc_u64 s[8:9], s[8:9], s[14:15]
	s_cbranch_vccz .LBB2818_2
; %bb.1:
	v_add_co_u32 v1, s2, s8, v9
	s_delay_alu instid0(VALU_DEP_1)
	v_add_co_ci_u32_e64 v2, null, s9, 0, s2
	s_mov_b32 s3, s13
	s_clause 0xb
	flat_load_u16 v3, v[1:2]
	flat_load_u16 v4, v[1:2] offset:512
	flat_load_u16 v5, v[1:2] offset:1024
	;; [unrolled: 1-line block ×11, first 2 shown]
	s_wait_loadcnt_dscnt 0xb0b
	ds_store_b16 v9, v3
	s_wait_loadcnt_dscnt 0xa0b
	ds_store_b16 v9, v4 offset:512
	s_wait_loadcnt_dscnt 0x90b
	ds_store_b16 v9, v5 offset:1024
	;; [unrolled: 2-line block ×11, first 2 shown]
	s_wait_dscnt 0x0
	s_barrier_signal -1
	s_barrier_wait -1
.LBB2818_2:
	s_load_b64 s[14:15], s[0:1], 0x20
	v_cmp_gt_u32_e64 s2, s17, v0
	s_and_not1_b32 vcc_lo, exec_lo, s3
	s_cbranch_vccnz .LBB2818_28
; %bb.3:
	v_mov_b32_e32 v1, 0
	s_delay_alu instid0(VALU_DEP_1)
	v_dual_mov_b32 v2, v1 :: v_dual_mov_b32 v3, v1
	v_dual_mov_b32 v4, v1 :: v_dual_mov_b32 v5, v1
	v_mov_b32_e32 v6, v1
	s_and_saveexec_b32 s3, s2
	s_cbranch_execz .LBB2818_5
; %bb.4:
	v_add_co_u32 v3, s2, s8, v9
	s_wait_alu 0xf1ff
	v_add_co_ci_u32_e64 v4, null, s9, 0, s2
	v_mov_b32_e32 v2, v1
	v_dual_mov_b32 v6, v1 :: v_dual_mov_b32 v7, v1
	v_mov_b32_e32 v5, v1
	flat_load_d16_b16 v2, v[3:4]
	v_dual_mov_b32 v3, v1 :: v_dual_mov_b32 v4, v1
	s_wait_loadcnt_dscnt 0x0
	v_mov_b32_e32 v1, v2
	s_delay_alu instid0(VALU_DEP_2) | instskip(NEXT) | instid1(VALU_DEP_3)
	v_mov_b32_e32 v2, v3
	v_mov_b32_e32 v3, v4
	;; [unrolled: 1-line block ×7, first 2 shown]
.LBB2818_5:
	s_wait_alu 0xfffe
	s_or_b32 exec_lo, exec_lo, s3
	v_or_b32_e32 v7, 0x100, v0
	s_mov_b32 s2, exec_lo
	s_delay_alu instid0(VALU_DEP_1)
	v_cmpx_gt_u32_e64 s17, v7
	s_cbranch_execz .LBB2818_7
; %bb.6:
	v_add_co_u32 v7, s3, s8, v9
	s_wait_alu 0xf1ff
	v_add_co_ci_u32_e64 v8, null, s9, 0, s3
	flat_load_d16_hi_b16 v1, v[7:8] offset:512
.LBB2818_7:
	s_wait_alu 0xfffe
	s_or_b32 exec_lo, exec_lo, s2
	v_or_b32_e32 v7, 0x200, v0
	s_mov_b32 s2, exec_lo
	s_delay_alu instid0(VALU_DEP_1)
	v_cmpx_gt_u32_e64 s17, v7
	s_cbranch_execz .LBB2818_9
; %bb.8:
	v_add_co_u32 v7, s3, s8, v9
	s_wait_alu 0xf1ff
	v_add_co_ci_u32_e64 v8, null, s9, 0, s3
	flat_load_d16_b16 v2, v[7:8] offset:1024
.LBB2818_9:
	s_wait_alu 0xfffe
	s_or_b32 exec_lo, exec_lo, s2
	v_or_b32_e32 v7, 0x300, v0
	s_mov_b32 s2, exec_lo
	s_delay_alu instid0(VALU_DEP_1)
	v_cmpx_gt_u32_e64 s17, v7
	s_cbranch_execz .LBB2818_11
; %bb.10:
	v_add_co_u32 v7, s3, s8, v9
	s_wait_alu 0xf1ff
	v_add_co_ci_u32_e64 v8, null, s9, 0, s3
	s_wait_loadcnt_dscnt 0x0
	flat_load_d16_hi_b16 v2, v[7:8] offset:1536
.LBB2818_11:
	s_wait_alu 0xfffe
	s_or_b32 exec_lo, exec_lo, s2
	v_or_b32_e32 v7, 0x400, v0
	s_mov_b32 s2, exec_lo
	s_delay_alu instid0(VALU_DEP_1)
	v_cmpx_gt_u32_e64 s17, v7
	s_cbranch_execz .LBB2818_13
; %bb.12:
	v_add_co_u32 v7, s3, s8, v9
	s_wait_alu 0xf1ff
	v_add_co_ci_u32_e64 v8, null, s9, 0, s3
	flat_load_d16_b16 v3, v[7:8] offset:2048
.LBB2818_13:
	s_wait_alu 0xfffe
	s_or_b32 exec_lo, exec_lo, s2
	v_or_b32_e32 v7, 0x500, v0
	s_mov_b32 s2, exec_lo
	s_delay_alu instid0(VALU_DEP_1)
	v_cmpx_gt_u32_e64 s17, v7
	s_cbranch_execz .LBB2818_15
; %bb.14:
	v_add_co_u32 v7, s3, s8, v9
	s_wait_alu 0xf1ff
	v_add_co_ci_u32_e64 v8, null, s9, 0, s3
	s_wait_loadcnt_dscnt 0x0
	flat_load_d16_hi_b16 v3, v[7:8] offset:2560
.LBB2818_15:
	;; [unrolled: 27-line block ×5, first 2 shown]
	s_wait_alu 0xfffe
	s_or_b32 exec_lo, exec_lo, s2
	s_wait_loadcnt_dscnt 0x0
	ds_store_b16 v9, v1
	ds_store_b16_d16_hi v9, v1 offset:512
	ds_store_b16 v9, v2 offset:1024
	ds_store_b16_d16_hi v9, v2 offset:1536
	ds_store_b16 v9, v3 offset:2048
	;; [unrolled: 2-line block ×5, first 2 shown]
	ds_store_b16_d16_hi v9, v6 offset:5632
	s_wait_dscnt 0x0
	s_barrier_signal -1
	s_barrier_wait -1
.LBB2818_28:
	v_mul_u32_u24_e32 v47, 12, v0
	global_inv scope:SCOPE_SE
	s_wait_kmcnt 0x0
	s_add_nc_u64 s[2:3], s[14:15], s[10:11]
	s_and_b32 vcc_lo, exec_lo, s18
	s_wait_alu 0xfffe
	s_add_nc_u64 s[2:3], s[2:3], s[12:13]
	v_lshlrev_b32_e32 v1, 1, v47
	s_mov_b32 s8, -1
	ds_load_2addr_b64 v[33:36], v1 offset1:1
	ds_load_b64 v[41:42], v1 offset:16
	s_wait_loadcnt_dscnt 0x0
	s_barrier_signal -1
	s_barrier_wait -1
	global_inv scope:SCOPE_SE
	s_cbranch_vccz .LBB2818_30
; %bb.29:
	s_clause 0xb
	global_load_u8 v1, v0, s[2:3]
	global_load_u8 v2, v0, s[2:3] offset:256
	global_load_u8 v3, v0, s[2:3] offset:512
	;; [unrolled: 1-line block ×11, first 2 shown]
	s_mov_b32 s8, 0
	s_wait_loadcnt 0xb
	v_xor_b32_e32 v1, 1, v1
	s_wait_loadcnt 0xa
	v_xor_b32_e32 v2, 1, v2
	;; [unrolled: 2-line block ×12, first 2 shown]
	ds_store_b8 v0, v1
	ds_store_b8 v0, v2 offset:256
	ds_store_b8 v0, v3 offset:512
	;; [unrolled: 1-line block ×11, first 2 shown]
	s_wait_dscnt 0x0
	s_barrier_signal -1
	s_barrier_wait -1
.LBB2818_30:
	s_wait_alu 0xfffe
	s_and_not1_b32 vcc_lo, exec_lo, s8
	s_cbranch_vccnz .LBB2818_56
; %bb.31:
	v_mov_b32_e32 v3, 0
	s_mov_b32 s8, exec_lo
	s_delay_alu instid0(VALU_DEP_1)
	v_dual_mov_b32 v1, v3 :: v_dual_mov_b32 v2, v3
	v_mov_b32_e32 v4, v3
	v_cmpx_gt_u32_e64 s17, v0
	s_cbranch_execz .LBB2818_33
; %bb.32:
	global_load_u8 v1, v0, s[2:3]
	s_wait_loadcnt 0x0
	v_xor_b32_e32 v4, 1, v1
	s_delay_alu instid0(VALU_DEP_1) | instskip(NEXT) | instid1(VALU_DEP_1)
	v_dual_mov_b32 v1, 0 :: v_dual_and_b32 v2, 1, v4
	v_dual_mov_b32 v2, v1 :: v_dual_and_b32 v3, 0xffff, v2
.LBB2818_33:
	s_wait_alu 0xfffe
	s_or_b32 exec_lo, exec_lo, s8
	v_or_b32_e32 v5, 0x100, v0
	s_mov_b32 s8, exec_lo
	s_delay_alu instid0(VALU_DEP_1)
	v_cmpx_gt_u32_e64 s17, v5
	s_cbranch_execz .LBB2818_35
; %bb.34:
	global_load_u8 v5, v0, s[2:3] offset:256
	v_and_b32_e32 v6, 0xff, v3
	s_wait_loadcnt 0x0
	v_xor_b32_e32 v5, 1, v5
	s_delay_alu instid0(VALU_DEP_1) | instskip(NEXT) | instid1(VALU_DEP_1)
	v_lshlrev_b16 v5, 8, v5
	v_or_b32_e32 v5, v6, v5
	s_delay_alu instid0(VALU_DEP_1) | instskip(NEXT) | instid1(VALU_DEP_1)
	v_and_b32_e32 v5, 0xffff, v5
	v_and_or_b32 v3, 0xffff0000, v3, v5
.LBB2818_35:
	s_wait_alu 0xfffe
	s_or_b32 exec_lo, exec_lo, s8
	v_or_b32_e32 v5, 0x200, v0
	s_mov_b32 s8, exec_lo
	s_delay_alu instid0(VALU_DEP_1)
	v_cmpx_gt_u32_e64 s17, v5
	s_cbranch_execz .LBB2818_37
; %bb.36:
	global_load_u8 v5, v0, s[2:3] offset:512
	v_lshrrev_b32_e32 v6, 16, v3
	s_delay_alu instid0(VALU_DEP_1) | instskip(SKIP_2) | instid1(VALU_DEP_1)
	v_and_b32_e32 v6, 0xffffff00, v6
	s_wait_loadcnt 0x0
	v_xor_b32_e32 v5, 1, v5
	v_or_b32_e32 v5, v5, v6
	s_delay_alu instid0(VALU_DEP_1) | instskip(NEXT) | instid1(VALU_DEP_1)
	v_lshlrev_b32_e32 v5, 16, v5
	v_and_or_b32 v3, 0xffff, v3, v5
.LBB2818_37:
	s_wait_alu 0xfffe
	s_or_b32 exec_lo, exec_lo, s8
	v_or_b32_e32 v5, 0x300, v0
	s_mov_b32 s8, exec_lo
	s_delay_alu instid0(VALU_DEP_1)
	v_cmpx_gt_u32_e64 s17, v5
	s_cbranch_execz .LBB2818_39
; %bb.38:
	global_load_u8 v5, v0, s[2:3] offset:768
	v_lshrrev_b32_e32 v6, 16, v3
	s_delay_alu instid0(VALU_DEP_1) | instskip(SKIP_2) | instid1(VALU_DEP_1)
	v_and_b32_e32 v6, 0xff, v6
	s_wait_loadcnt 0x0
	v_xor_b32_e32 v5, 1, v5
	v_lshlrev_b16 v5, 8, v5
	s_delay_alu instid0(VALU_DEP_1) | instskip(NEXT) | instid1(VALU_DEP_1)
	v_or_b32_e32 v5, v6, v5
	v_lshlrev_b32_e32 v5, 16, v5
	s_delay_alu instid0(VALU_DEP_1)
	v_and_or_b32 v3, 0xffff, v3, v5
.LBB2818_39:
	s_wait_alu 0xfffe
	s_or_b32 exec_lo, exec_lo, s8
	v_or_b32_e32 v5, 0x400, v0
	s_mov_b32 s8, exec_lo
	s_delay_alu instid0(VALU_DEP_1)
	v_cmpx_gt_u32_e64 s17, v5
	s_cbranch_execz .LBB2818_41
; %bb.40:
	global_load_u8 v5, v0, s[2:3] offset:1024
	v_and_b32_e32 v6, 0xffffff00, v1
	s_wait_loadcnt 0x0
	v_xor_b32_e32 v5, 1, v5
	s_delay_alu instid0(VALU_DEP_1) | instskip(NEXT) | instid1(VALU_DEP_1)
	v_or_b32_e32 v5, v5, v6
	v_and_b32_e32 v5, 0xffff, v5
	s_delay_alu instid0(VALU_DEP_1)
	v_and_or_b32 v1, 0xffff0000, v1, v5
.LBB2818_41:
	s_wait_alu 0xfffe
	s_or_b32 exec_lo, exec_lo, s8
	v_or_b32_e32 v5, 0x500, v0
	s_mov_b32 s8, exec_lo
	s_delay_alu instid0(VALU_DEP_1)
	v_cmpx_gt_u32_e64 s17, v5
	s_cbranch_execz .LBB2818_43
; %bb.42:
	global_load_u8 v5, v0, s[2:3] offset:1280
	v_and_b32_e32 v6, 0xff, v1
	s_wait_loadcnt 0x0
	v_xor_b32_e32 v5, 1, v5
	s_delay_alu instid0(VALU_DEP_1) | instskip(NEXT) | instid1(VALU_DEP_1)
	v_lshlrev_b16 v5, 8, v5
	v_or_b32_e32 v5, v6, v5
	s_delay_alu instid0(VALU_DEP_1) | instskip(NEXT) | instid1(VALU_DEP_1)
	v_and_b32_e32 v5, 0xffff, v5
	v_and_or_b32 v1, 0xffff0000, v1, v5
.LBB2818_43:
	s_wait_alu 0xfffe
	s_or_b32 exec_lo, exec_lo, s8
	v_or_b32_e32 v5, 0x600, v0
	s_mov_b32 s8, exec_lo
	s_delay_alu instid0(VALU_DEP_1)
	v_cmpx_gt_u32_e64 s17, v5
	s_cbranch_execz .LBB2818_45
; %bb.44:
	global_load_u8 v5, v0, s[2:3] offset:1536
	v_lshrrev_b32_e32 v6, 16, v1
	s_delay_alu instid0(VALU_DEP_1) | instskip(SKIP_2) | instid1(VALU_DEP_1)
	v_and_b32_e32 v6, 0xffffff00, v6
	s_wait_loadcnt 0x0
	v_xor_b32_e32 v5, 1, v5
	v_or_b32_e32 v5, v5, v6
	s_delay_alu instid0(VALU_DEP_1) | instskip(NEXT) | instid1(VALU_DEP_1)
	v_lshlrev_b32_e32 v5, 16, v5
	v_and_or_b32 v1, 0xffff, v1, v5
.LBB2818_45:
	s_wait_alu 0xfffe
	s_or_b32 exec_lo, exec_lo, s8
	v_or_b32_e32 v5, 0x700, v0
	s_mov_b32 s8, exec_lo
	s_delay_alu instid0(VALU_DEP_1)
	v_cmpx_gt_u32_e64 s17, v5
	s_cbranch_execz .LBB2818_47
; %bb.46:
	global_load_u8 v5, v0, s[2:3] offset:1792
	v_lshrrev_b32_e32 v6, 16, v1
	s_delay_alu instid0(VALU_DEP_1) | instskip(SKIP_2) | instid1(VALU_DEP_1)
	v_and_b32_e32 v6, 0xff, v6
	s_wait_loadcnt 0x0
	v_xor_b32_e32 v5, 1, v5
	v_lshlrev_b16 v5, 8, v5
	s_delay_alu instid0(VALU_DEP_1) | instskip(NEXT) | instid1(VALU_DEP_1)
	v_or_b32_e32 v5, v6, v5
	v_lshlrev_b32_e32 v5, 16, v5
	s_delay_alu instid0(VALU_DEP_1)
	v_and_or_b32 v1, 0xffff, v1, v5
.LBB2818_47:
	s_wait_alu 0xfffe
	s_or_b32 exec_lo, exec_lo, s8
	v_or_b32_e32 v5, 0x800, v0
	s_mov_b32 s8, exec_lo
	s_delay_alu instid0(VALU_DEP_1)
	v_cmpx_gt_u32_e64 s17, v5
	s_cbranch_execz .LBB2818_49
; %bb.48:
	global_load_u8 v5, v0, s[2:3] offset:2048
	v_and_b32_e32 v6, 0xffffff00, v2
	s_wait_loadcnt 0x0
	v_xor_b32_e32 v5, 1, v5
	s_delay_alu instid0(VALU_DEP_1) | instskip(NEXT) | instid1(VALU_DEP_1)
	v_or_b32_e32 v5, v5, v6
	v_and_b32_e32 v5, 0xffff, v5
	s_delay_alu instid0(VALU_DEP_1)
	v_and_or_b32 v2, 0xffff0000, v2, v5
.LBB2818_49:
	s_wait_alu 0xfffe
	s_or_b32 exec_lo, exec_lo, s8
	v_or_b32_e32 v5, 0x900, v0
	s_mov_b32 s8, exec_lo
	s_delay_alu instid0(VALU_DEP_1)
	v_cmpx_gt_u32_e64 s17, v5
	s_cbranch_execz .LBB2818_51
; %bb.50:
	global_load_u8 v5, v0, s[2:3] offset:2304
	v_and_b32_e32 v6, 0xff, v2
	s_wait_loadcnt 0x0
	v_xor_b32_e32 v5, 1, v5
	s_delay_alu instid0(VALU_DEP_1) | instskip(NEXT) | instid1(VALU_DEP_1)
	v_lshlrev_b16 v5, 8, v5
	v_or_b32_e32 v5, v6, v5
	s_delay_alu instid0(VALU_DEP_1) | instskip(NEXT) | instid1(VALU_DEP_1)
	v_and_b32_e32 v5, 0xffff, v5
	v_and_or_b32 v2, 0xffff0000, v2, v5
.LBB2818_51:
	s_wait_alu 0xfffe
	s_or_b32 exec_lo, exec_lo, s8
	v_or_b32_e32 v5, 0xa00, v0
	s_mov_b32 s8, exec_lo
	s_delay_alu instid0(VALU_DEP_1)
	v_cmpx_gt_u32_e64 s17, v5
	s_cbranch_execz .LBB2818_53
; %bb.52:
	global_load_u8 v5, v0, s[2:3] offset:2560
	v_lshrrev_b32_e32 v6, 16, v2
	s_delay_alu instid0(VALU_DEP_1) | instskip(SKIP_2) | instid1(VALU_DEP_1)
	v_and_b32_e32 v6, 0xffffff00, v6
	s_wait_loadcnt 0x0
	v_xor_b32_e32 v5, 1, v5
	v_or_b32_e32 v5, v5, v6
	s_delay_alu instid0(VALU_DEP_1) | instskip(NEXT) | instid1(VALU_DEP_1)
	v_lshlrev_b32_e32 v5, 16, v5
	v_and_or_b32 v2, 0xffff, v2, v5
.LBB2818_53:
	s_wait_alu 0xfffe
	s_or_b32 exec_lo, exec_lo, s8
	v_or_b32_e32 v5, 0xb00, v0
	s_mov_b32 s8, exec_lo
	s_delay_alu instid0(VALU_DEP_1)
	v_cmpx_gt_u32_e64 s17, v5
	s_cbranch_execz .LBB2818_55
; %bb.54:
	global_load_u8 v5, v0, s[2:3] offset:2816
	v_lshrrev_b32_e32 v6, 16, v2
	s_delay_alu instid0(VALU_DEP_1) | instskip(SKIP_2) | instid1(VALU_DEP_1)
	v_and_b32_e32 v6, 0xff, v6
	s_wait_loadcnt 0x0
	v_xor_b32_e32 v5, 1, v5
	v_lshlrev_b16 v5, 8, v5
	s_delay_alu instid0(VALU_DEP_1) | instskip(NEXT) | instid1(VALU_DEP_1)
	v_or_b32_e32 v5, v6, v5
	v_lshlrev_b32_e32 v5, 16, v5
	s_delay_alu instid0(VALU_DEP_1)
	v_and_or_b32 v2, 0xffff, v2, v5
.LBB2818_55:
	s_wait_alu 0xfffe
	s_or_b32 exec_lo, exec_lo, s8
	v_lshrrev_b32_e32 v5, 8, v3
	v_lshrrev_b32_e32 v6, 24, v3
	;; [unrolled: 1-line block ×6, first 2 shown]
	ds_store_b8 v0, v4
	ds_store_b8 v0, v5 offset:256
	ds_store_b8_d16_hi v0, v3 offset:512
	ds_store_b8 v0, v6 offset:768
	ds_store_b8 v0, v1 offset:1024
	;; [unrolled: 1-line block ×3, first 2 shown]
	ds_store_b8_d16_hi v0, v1 offset:1536
	ds_store_b8 v0, v8 offset:1792
	ds_store_b8 v0, v2 offset:2048
	;; [unrolled: 1-line block ×3, first 2 shown]
	ds_store_b8_d16_hi v0, v2 offset:2560
	ds_store_b8 v0, v10 offset:2816
	s_wait_loadcnt_dscnt 0x0
	s_barrier_signal -1
	s_barrier_wait -1
.LBB2818_56:
	s_wait_loadcnt 0x0
	global_inv scope:SCOPE_SE
	ds_load_2addr_b32 v[43:44], v47 offset1:1
	ds_load_b32 v48, v47 offset:8
	s_load_b64 s[8:9], s[0:1], 0x70
	v_mbcnt_lo_u32_b32 v61, -1, 0
	s_cmp_lg_u32 ttmp9, 0
	s_mov_b32 s1, -1
	s_wait_loadcnt_dscnt 0x0
	s_barrier_signal -1
	v_and_b32_e32 v62, 15, v61
	s_barrier_wait -1
	global_inv scope:SCOPE_SE
	v_dual_mov_b32 v2, 0 :: v_dual_and_b32 v53, 0xff, v43
	v_bfe_u32 v54, v43, 8, 8
	v_bfe_u32 v52, v43, 16, 8
	v_lshrrev_b32_e32 v51, 24, v43
	v_and_b32_e32 v56, 0xff, v44
	v_bfe_u32 v57, v44, 8, 8
	v_bfe_u32 v58, v44, 16, 8
	v_add3_u32 v1, v54, v53, v52
	v_lshrrev_b32_e32 v50, 24, v44
	v_and_b32_e32 v59, 0xff, v48
	v_bfe_u32 v60, v48, 8, 8
	v_bfe_u32 v55, v48, 16, 8
	v_add_co_u32 v1, s0, v1, v51
	s_delay_alu instid0(VALU_DEP_1) | instskip(SKIP_1) | instid1(VALU_DEP_3)
	v_add_co_ci_u32_e64 v3, null, 0, 0, s0
	v_lshrrev_b32_e32 v49, 24, v48
	v_add_co_u32 v1, vcc_lo, v1, v56
	s_delay_alu instid0(VALU_DEP_1) | instskip(SKIP_1) | instid1(VALU_DEP_3)
	v_add_co_ci_u32_e64 v3, null, 0, v3, vcc_lo
	v_cmp_ne_u32_e64 s0, 0, v62
	v_add_co_u32 v1, vcc_lo, v1, v57
	s_wait_alu 0xfffd
	s_delay_alu instid0(VALU_DEP_3) | instskip(NEXT) | instid1(VALU_DEP_2)
	v_add_co_ci_u32_e64 v3, null, 0, v3, vcc_lo
	v_add_co_u32 v1, vcc_lo, v1, v58
	s_wait_alu 0xfffd
	s_delay_alu instid0(VALU_DEP_2) | instskip(NEXT) | instid1(VALU_DEP_2)
	v_add_co_ci_u32_e64 v3, null, 0, v3, vcc_lo
	v_add_co_u32 v1, vcc_lo, v1, v50
	s_wait_alu 0xfffd
	s_delay_alu instid0(VALU_DEP_2) | instskip(NEXT) | instid1(VALU_DEP_2)
	;; [unrolled: 4-line block ×5, first 2 shown]
	v_add_co_ci_u32_e64 v3, null, 0, v3, vcc_lo
	v_add_co_u32 v45, vcc_lo, v1, v49
	s_wait_alu 0xfffd
	s_delay_alu instid0(VALU_DEP_2)
	v_add_co_ci_u32_e64 v46, null, 0, v3, vcc_lo
	s_cbranch_scc0 .LBB2818_113
; %bb.57:
	v_mov_b32_e32 v3, v45
	v_mov_b32_dpp v1, v45 row_shr:1 row_mask:0xf bank_mask:0xf
	v_mov_b32_dpp v6, v2 row_shr:1 row_mask:0xf bank_mask:0xf
	v_dual_mov_b32 v5, v45 :: v_dual_mov_b32 v4, v46
	s_and_saveexec_b32 s1, s0
; %bb.58:
	s_delay_alu instid0(VALU_DEP_3) | instskip(SKIP_2) | instid1(VALU_DEP_2)
	v_add_co_u32 v5, vcc_lo, v45, v1
	s_wait_alu 0xfffd
	v_add_co_ci_u32_e64 v2, null, 0, v46, vcc_lo
	v_add_co_u32 v1, vcc_lo, 0, v5
	s_wait_alu 0xfffd
	s_delay_alu instid0(VALU_DEP_2) | instskip(NEXT) | instid1(VALU_DEP_1)
	v_add_co_ci_u32_e64 v2, null, v6, v2, vcc_lo
	v_dual_mov_b32 v4, v2 :: v_dual_mov_b32 v3, v1
; %bb.59:
	s_wait_alu 0xfffe
	s_or_b32 exec_lo, exec_lo, s1
	v_mov_b32_dpp v1, v5 row_shr:2 row_mask:0xf bank_mask:0xf
	v_mov_b32_dpp v6, v2 row_shr:2 row_mask:0xf bank_mask:0xf
	s_mov_b32 s1, exec_lo
	v_cmpx_lt_u32_e32 1, v62
; %bb.60:
	s_delay_alu instid0(VALU_DEP_3) | instskip(SKIP_2) | instid1(VALU_DEP_2)
	v_add_co_u32 v5, vcc_lo, v3, v1
	s_wait_alu 0xfffd
	v_add_co_ci_u32_e64 v2, null, 0, v4, vcc_lo
	v_add_co_u32 v1, vcc_lo, 0, v5
	s_wait_alu 0xfffd
	s_delay_alu instid0(VALU_DEP_2) | instskip(NEXT) | instid1(VALU_DEP_1)
	v_add_co_ci_u32_e64 v2, null, v6, v2, vcc_lo
	v_dual_mov_b32 v4, v2 :: v_dual_mov_b32 v3, v1
; %bb.61:
	s_wait_alu 0xfffe
	s_or_b32 exec_lo, exec_lo, s1
	v_mov_b32_dpp v1, v5 row_shr:4 row_mask:0xf bank_mask:0xf
	v_mov_b32_dpp v6, v2 row_shr:4 row_mask:0xf bank_mask:0xf
	s_mov_b32 s1, exec_lo
	v_cmpx_lt_u32_e32 3, v62
	;; [unrolled: 17-line block ×3, first 2 shown]
; %bb.64:
	s_delay_alu instid0(VALU_DEP_3) | instskip(SKIP_2) | instid1(VALU_DEP_2)
	v_add_co_u32 v5, vcc_lo, v3, v6
	s_wait_alu 0xfffd
	v_add_co_ci_u32_e64 v2, null, 0, v4, vcc_lo
	v_add_co_u32 v3, vcc_lo, 0, v5
	s_wait_alu 0xfffd
	s_delay_alu instid0(VALU_DEP_2) | instskip(NEXT) | instid1(VALU_DEP_1)
	v_add_co_ci_u32_e64 v4, null, v1, v2, vcc_lo
	v_mov_b32_e32 v2, v4
; %bb.65:
	s_wait_alu 0xfffe
	s_or_b32 exec_lo, exec_lo, s1
	ds_swizzle_b32 v6, v5 offset:swizzle(BROADCAST,32,15)
	ds_swizzle_b32 v1, v2 offset:swizzle(BROADCAST,32,15)
	v_and_b32_e32 v2, 16, v61
	s_mov_b32 s1, exec_lo
	s_delay_alu instid0(VALU_DEP_1)
	v_cmpx_ne_u32_e32 0, v2
	s_cbranch_execz .LBB2818_67
; %bb.66:
	s_wait_dscnt 0x1
	v_add_co_u32 v5, vcc_lo, v3, v6
	s_wait_alu 0xfffd
	v_add_co_ci_u32_e64 v2, null, 0, v4, vcc_lo
	s_delay_alu instid0(VALU_DEP_2) | instskip(SKIP_2) | instid1(VALU_DEP_2)
	v_add_co_u32 v3, vcc_lo, 0, v5
	s_wait_dscnt 0x0
	s_wait_alu 0xfffd
	v_add_co_ci_u32_e64 v4, null, v1, v2, vcc_lo
.LBB2818_67:
	s_wait_alu 0xfffe
	s_or_b32 exec_lo, exec_lo, s1
	s_wait_dscnt 0x0
	v_or_b32_e32 v1, 31, v0
	v_lshrrev_b32_e32 v6, 5, v0
	s_mov_b32 s1, exec_lo
	s_delay_alu instid0(VALU_DEP_2)
	v_cmpx_eq_u32_e64 v0, v1
; %bb.68:
	s_delay_alu instid0(VALU_DEP_2)
	v_lshlrev_b32_e32 v1, 3, v6
	ds_store_b64 v1, v[3:4]
; %bb.69:
	s_wait_alu 0xfffe
	s_or_b32 exec_lo, exec_lo, s1
	s_delay_alu instid0(SALU_CYCLE_1)
	s_mov_b32 s1, exec_lo
	s_wait_loadcnt_dscnt 0x0
	s_barrier_signal -1
	s_barrier_wait -1
	global_inv scope:SCOPE_SE
	v_cmpx_gt_u32_e32 8, v0
	s_cbranch_execz .LBB2818_77
; %bb.70:
	v_lshlrev_b32_e32 v3, 3, v0
	s_mov_b32 s2, exec_lo
	ds_load_b64 v[1:2], v3
	s_wait_dscnt 0x0
	v_dual_mov_b32 v7, v1 :: v_dual_and_b32 v4, 7, v61
	v_mov_b32_dpp v9, v1 row_shr:1 row_mask:0xf bank_mask:0xf
	v_mov_b32_dpp v8, v2 row_shr:1 row_mask:0xf bank_mask:0xf
	s_delay_alu instid0(VALU_DEP_3)
	v_cmpx_ne_u32_e32 0, v4
; %bb.71:
	s_delay_alu instid0(VALU_DEP_3) | instskip(SKIP_2) | instid1(VALU_DEP_2)
	v_add_co_u32 v7, vcc_lo, v1, v9
	s_wait_alu 0xfffd
	v_add_co_ci_u32_e64 v2, null, 0, v2, vcc_lo
	v_add_co_u32 v1, vcc_lo, 0, v7
	s_wait_alu 0xfffd
	s_delay_alu instid0(VALU_DEP_2)
	v_add_co_ci_u32_e64 v2, null, v8, v2, vcc_lo
; %bb.72:
	s_wait_alu 0xfffe
	s_or_b32 exec_lo, exec_lo, s2
	v_mov_b32_dpp v9, v7 row_shr:2 row_mask:0xf bank_mask:0xf
	s_delay_alu instid0(VALU_DEP_2)
	v_mov_b32_dpp v8, v2 row_shr:2 row_mask:0xf bank_mask:0xf
	s_mov_b32 s2, exec_lo
	v_cmpx_lt_u32_e32 1, v4
; %bb.73:
	s_delay_alu instid0(VALU_DEP_3) | instskip(SKIP_2) | instid1(VALU_DEP_2)
	v_add_co_u32 v7, vcc_lo, v1, v9
	s_wait_alu 0xfffd
	v_add_co_ci_u32_e64 v2, null, 0, v2, vcc_lo
	v_add_co_u32 v1, vcc_lo, 0, v7
	s_wait_alu 0xfffd
	s_delay_alu instid0(VALU_DEP_2)
	v_add_co_ci_u32_e64 v2, null, v8, v2, vcc_lo
; %bb.74:
	s_wait_alu 0xfffe
	s_or_b32 exec_lo, exec_lo, s2
	v_mov_b32_dpp v8, v7 row_shr:4 row_mask:0xf bank_mask:0xf
	s_delay_alu instid0(VALU_DEP_2)
	v_mov_b32_dpp v7, v2 row_shr:4 row_mask:0xf bank_mask:0xf
	s_mov_b32 s2, exec_lo
	v_cmpx_lt_u32_e32 3, v4
; %bb.75:
	s_delay_alu instid0(VALU_DEP_3) | instskip(SKIP_2) | instid1(VALU_DEP_2)
	v_add_co_u32 v1, vcc_lo, v1, v8
	s_wait_alu 0xfffd
	v_add_co_ci_u32_e64 v2, null, 0, v2, vcc_lo
	v_add_co_u32 v1, vcc_lo, v1, 0
	s_wait_alu 0xfffd
	s_delay_alu instid0(VALU_DEP_2)
	v_add_co_ci_u32_e64 v2, null, v2, v7, vcc_lo
; %bb.76:
	s_wait_alu 0xfffe
	s_or_b32 exec_lo, exec_lo, s2
	ds_store_b64 v3, v[1:2]
.LBB2818_77:
	s_wait_alu 0xfffe
	s_or_b32 exec_lo, exec_lo, s1
	s_delay_alu instid0(SALU_CYCLE_1)
	s_mov_b32 s2, exec_lo
	v_cmp_gt_u32_e32 vcc_lo, 32, v0
	s_wait_loadcnt_dscnt 0x0
	s_barrier_signal -1
	s_barrier_wait -1
	global_inv scope:SCOPE_SE
                                        ; implicit-def: $vgpr9_vgpr10
	v_cmpx_lt_u32_e32 31, v0
	s_cbranch_execz .LBB2818_79
; %bb.78:
	v_lshl_add_u32 v1, v6, 3, -8
	ds_load_b64 v[9:10], v1
	s_wait_dscnt 0x0
	v_add_nc_u32_e32 v5, v5, v9
.LBB2818_79:
	s_wait_alu 0xfffe
	s_or_b32 exec_lo, exec_lo, s2
	v_sub_co_u32 v1, s1, v61, 1
	s_delay_alu instid0(VALU_DEP_1) | instskip(SKIP_1) | instid1(VALU_DEP_1)
	v_cmp_gt_i32_e64 s2, 0, v1
	s_wait_alu 0xf1ff
	v_cndmask_b32_e64 v1, v1, v61, s2
	s_delay_alu instid0(VALU_DEP_1)
	v_lshlrev_b32_e32 v1, 2, v1
	ds_bpermute_b32 v15, v1, v5
	s_and_saveexec_b32 s2, vcc_lo
	s_cbranch_execz .LBB2818_118
; %bb.80:
	v_mov_b32_e32 v4, 0
	ds_load_b64 v[1:2], v4 offset:56
	s_and_saveexec_b32 s3, s1
	s_cbranch_execz .LBB2818_82
; %bb.81:
	s_add_co_i32 s10, ttmp9, 32
	s_mov_b32 s11, 0
	s_delay_alu instid0(SALU_CYCLE_1)
	s_lshl_b64 s[10:11], s[10:11], 4
	s_wait_kmcnt 0x0
	s_add_nc_u64 s[10:11], s[8:9], s[10:11]
	v_mov_b32_e32 v3, 1
	v_dual_mov_b32 v5, s10 :: v_dual_mov_b32 v6, s11
	s_wait_dscnt 0x0
	;;#ASMSTART
	global_store_b128 v[5:6], v[1:4] off scope:SCOPE_DEV	
s_wait_storecnt 0x0
	;;#ASMEND
.LBB2818_82:
	s_wait_alu 0xfffe
	s_or_b32 exec_lo, exec_lo, s3
	v_xad_u32 v11, v61, -1, ttmp9
	s_mov_b32 s10, 0
	s_mov_b32 s3, exec_lo
	s_delay_alu instid0(VALU_DEP_1) | instskip(NEXT) | instid1(VALU_DEP_1)
	v_add_nc_u32_e32 v3, 32, v11
	v_lshlrev_b64_e32 v[3:4], 4, v[3:4]
	s_wait_kmcnt 0x0
	s_delay_alu instid0(VALU_DEP_1) | instskip(SKIP_1) | instid1(VALU_DEP_2)
	v_add_co_u32 v3, vcc_lo, s8, v3
	s_wait_alu 0xfffd
	v_add_co_ci_u32_e64 v4, null, s9, v4, vcc_lo
	;;#ASMSTART
	global_load_b128 v[5:8], v[3:4] off scope:SCOPE_DEV	
s_wait_loadcnt 0x0
	;;#ASMEND
	v_and_b32_e32 v8, 0xff, v7
	s_delay_alu instid0(VALU_DEP_1)
	v_cmpx_eq_u16_e32 0, v8
	s_cbranch_execz .LBB2818_85
.LBB2818_83:                            ; =>This Inner Loop Header: Depth=1
	;;#ASMSTART
	global_load_b128 v[5:8], v[3:4] off scope:SCOPE_DEV	
s_wait_loadcnt 0x0
	;;#ASMEND
	v_and_b32_e32 v8, 0xff, v7
	s_delay_alu instid0(VALU_DEP_1)
	v_cmp_ne_u16_e32 vcc_lo, 0, v8
	s_wait_alu 0xfffe
	s_or_b32 s10, vcc_lo, s10
	s_wait_alu 0xfffe
	s_and_not1_b32 exec_lo, exec_lo, s10
	s_cbranch_execnz .LBB2818_83
; %bb.84:
	s_or_b32 exec_lo, exec_lo, s10
.LBB2818_85:
	s_wait_alu 0xfffe
	s_or_b32 exec_lo, exec_lo, s3
	v_cmp_ne_u32_e32 vcc_lo, 31, v61
	v_and_b32_e32 v4, 0xff, v7
	v_lshlrev_b32_e64 v17, v61, -1
	s_mov_b32 s3, exec_lo
	s_wait_alu 0xfffd
	v_add_co_ci_u32_e64 v3, null, 0, v61, vcc_lo
	v_cmp_eq_u16_e32 vcc_lo, 2, v4
	v_mov_b32_e32 v4, v5
	s_delay_alu instid0(VALU_DEP_3)
	v_lshlrev_b32_e32 v16, 2, v3
	s_wait_alu 0xfffd
	v_and_or_b32 v3, vcc_lo, v17, 0x80000000
	ds_bpermute_b32 v12, v16, v5
	ds_bpermute_b32 v8, v16, v6
	v_ctz_i32_b32_e32 v3, v3
	s_delay_alu instid0(VALU_DEP_1)
	v_cmpx_lt_u32_e64 v61, v3
	s_cbranch_execz .LBB2818_87
; %bb.86:
	s_wait_dscnt 0x1
	v_add_co_u32 v4, vcc_lo, v5, v12
	s_wait_alu 0xfffd
	v_add_co_ci_u32_e64 v6, null, 0, v6, vcc_lo
	s_delay_alu instid0(VALU_DEP_2) | instskip(SKIP_2) | instid1(VALU_DEP_2)
	v_add_co_u32 v5, vcc_lo, 0, v4
	s_wait_dscnt 0x0
	s_wait_alu 0xfffd
	v_add_co_ci_u32_e64 v6, null, v8, v6, vcc_lo
.LBB2818_87:
	s_wait_alu 0xfffe
	s_or_b32 exec_lo, exec_lo, s3
	v_cmp_gt_u32_e32 vcc_lo, 30, v61
	v_add_nc_u32_e32 v19, 2, v61
	s_mov_b32 s3, exec_lo
	s_wait_dscnt 0x0
	s_wait_alu 0xfffd
	v_cndmask_b32_e64 v8, 0, 2, vcc_lo
	s_delay_alu instid0(VALU_DEP_1)
	v_add_lshl_u32 v18, v8, v61, 2
	ds_bpermute_b32 v12, v18, v4
	ds_bpermute_b32 v8, v18, v6
	v_cmpx_le_u32_e64 v19, v3
	s_cbranch_execz .LBB2818_89
; %bb.88:
	s_wait_dscnt 0x1
	v_add_co_u32 v4, vcc_lo, v5, v12
	s_wait_alu 0xfffd
	v_add_co_ci_u32_e64 v6, null, 0, v6, vcc_lo
	s_delay_alu instid0(VALU_DEP_2) | instskip(SKIP_2) | instid1(VALU_DEP_2)
	v_add_co_u32 v5, vcc_lo, 0, v4
	s_wait_dscnt 0x0
	s_wait_alu 0xfffd
	v_add_co_ci_u32_e64 v6, null, v8, v6, vcc_lo
.LBB2818_89:
	s_wait_alu 0xfffe
	s_or_b32 exec_lo, exec_lo, s3
	v_cmp_gt_u32_e32 vcc_lo, 28, v61
	v_add_nc_u32_e32 v21, 4, v61
	s_mov_b32 s3, exec_lo
	s_wait_dscnt 0x0
	s_wait_alu 0xfffd
	v_cndmask_b32_e64 v8, 0, 4, vcc_lo
	s_delay_alu instid0(VALU_DEP_1)
	v_add_lshl_u32 v20, v8, v61, 2
	ds_bpermute_b32 v12, v20, v4
	ds_bpermute_b32 v8, v20, v6
	v_cmpx_le_u32_e64 v21, v3
	;; [unrolled: 25-line block ×3, first 2 shown]
	s_cbranch_execz .LBB2818_93
; %bb.92:
	s_wait_dscnt 0x1
	v_add_co_u32 v4, vcc_lo, v5, v12
	s_wait_alu 0xfffd
	v_add_co_ci_u32_e64 v6, null, 0, v6, vcc_lo
	s_delay_alu instid0(VALU_DEP_2) | instskip(SKIP_2) | instid1(VALU_DEP_2)
	v_add_co_u32 v5, vcc_lo, 0, v4
	s_wait_dscnt 0x0
	s_wait_alu 0xfffd
	v_add_co_ci_u32_e64 v6, null, v8, v6, vcc_lo
.LBB2818_93:
	s_wait_alu 0xfffe
	s_or_b32 exec_lo, exec_lo, s3
	v_lshl_or_b32 v24, v61, 2, 64
	v_add_nc_u32_e32 v25, 16, v61
	s_mov_b32 s3, exec_lo
	s_wait_dscnt 0x0
	ds_bpermute_b32 v8, v24, v4
	ds_bpermute_b32 v4, v24, v6
	v_cmpx_le_u32_e64 v25, v3
	s_cbranch_execz .LBB2818_95
; %bb.94:
	s_wait_dscnt 0x1
	v_add_co_u32 v3, vcc_lo, v5, v8
	s_wait_alu 0xfffd
	v_add_co_ci_u32_e64 v6, null, 0, v6, vcc_lo
	s_delay_alu instid0(VALU_DEP_2) | instskip(SKIP_2) | instid1(VALU_DEP_2)
	v_add_co_u32 v5, vcc_lo, v3, 0
	s_wait_dscnt 0x0
	s_wait_alu 0xfffd
	v_add_co_ci_u32_e64 v6, null, v6, v4, vcc_lo
.LBB2818_95:
	s_wait_alu 0xfffe
	s_or_b32 exec_lo, exec_lo, s3
	v_mov_b32_e32 v12, 0
	s_branch .LBB2818_98
.LBB2818_96:                            ;   in Loop: Header=BB2818_98 Depth=1
	s_wait_alu 0xfffe
	s_or_b32 exec_lo, exec_lo, s3
	v_add_co_u32 v5, vcc_lo, v5, v3
	v_subrev_nc_u32_e32 v11, 32, v11
	s_wait_alu 0xfffd
	v_add_co_ci_u32_e64 v6, null, v6, v4, vcc_lo
	s_mov_b32 s3, 0
.LBB2818_97:                            ;   in Loop: Header=BB2818_98 Depth=1
	s_wait_alu 0xfffe
	s_and_b32 vcc_lo, exec_lo, s3
	s_wait_alu 0xfffe
	s_cbranch_vccnz .LBB2818_114
.LBB2818_98:                            ; =>This Loop Header: Depth=1
                                        ;     Child Loop BB2818_101 Depth 2
	v_and_b32_e32 v3, 0xff, v7
	s_mov_b32 s3, -1
	s_delay_alu instid0(VALU_DEP_1)
	v_cmp_ne_u16_e32 vcc_lo, 2, v3
	s_wait_dscnt 0x0
	v_dual_mov_b32 v3, v5 :: v_dual_mov_b32 v4, v6
                                        ; implicit-def: $vgpr5_vgpr6
	s_cmp_lg_u32 vcc_lo, exec_lo
	s_cbranch_scc1 .LBB2818_97
; %bb.99:                               ;   in Loop: Header=BB2818_98 Depth=1
	v_lshlrev_b64_e32 v[5:6], 4, v[11:12]
	s_mov_b32 s3, exec_lo
	s_delay_alu instid0(VALU_DEP_1) | instskip(SKIP_1) | instid1(VALU_DEP_2)
	v_add_co_u32 v13, vcc_lo, s8, v5
	s_wait_alu 0xfffd
	v_add_co_ci_u32_e64 v14, null, s9, v6, vcc_lo
	;;#ASMSTART
	global_load_b128 v[5:8], v[13:14] off scope:SCOPE_DEV	
s_wait_loadcnt 0x0
	;;#ASMEND
	v_and_b32_e32 v8, 0xff, v7
	s_delay_alu instid0(VALU_DEP_1)
	v_cmpx_eq_u16_e32 0, v8
	s_cbranch_execz .LBB2818_103
; %bb.100:                              ;   in Loop: Header=BB2818_98 Depth=1
	s_mov_b32 s10, 0
.LBB2818_101:                           ;   Parent Loop BB2818_98 Depth=1
                                        ; =>  This Inner Loop Header: Depth=2
	;;#ASMSTART
	global_load_b128 v[5:8], v[13:14] off scope:SCOPE_DEV	
s_wait_loadcnt 0x0
	;;#ASMEND
	v_and_b32_e32 v8, 0xff, v7
	s_delay_alu instid0(VALU_DEP_1)
	v_cmp_ne_u16_e32 vcc_lo, 0, v8
	s_wait_alu 0xfffe
	s_or_b32 s10, vcc_lo, s10
	s_wait_alu 0xfffe
	s_and_not1_b32 exec_lo, exec_lo, s10
	s_cbranch_execnz .LBB2818_101
; %bb.102:                              ;   in Loop: Header=BB2818_98 Depth=1
	s_or_b32 exec_lo, exec_lo, s10
.LBB2818_103:                           ;   in Loop: Header=BB2818_98 Depth=1
	s_wait_alu 0xfffe
	s_or_b32 exec_lo, exec_lo, s3
	v_dual_mov_b32 v13, v5 :: v_dual_and_b32 v8, 0xff, v7
	ds_bpermute_b32 v26, v16, v5
	ds_bpermute_b32 v14, v16, v6
	s_mov_b32 s3, exec_lo
	v_cmp_eq_u16_e32 vcc_lo, 2, v8
	s_wait_alu 0xfffd
	v_and_or_b32 v8, vcc_lo, v17, 0x80000000
	s_delay_alu instid0(VALU_DEP_1) | instskip(NEXT) | instid1(VALU_DEP_1)
	v_ctz_i32_b32_e32 v8, v8
	v_cmpx_lt_u32_e64 v61, v8
	s_cbranch_execz .LBB2818_105
; %bb.104:                              ;   in Loop: Header=BB2818_98 Depth=1
	s_wait_dscnt 0x1
	v_add_co_u32 v13, vcc_lo, v5, v26
	s_wait_alu 0xfffd
	v_add_co_ci_u32_e64 v6, null, 0, v6, vcc_lo
	s_delay_alu instid0(VALU_DEP_2) | instskip(SKIP_2) | instid1(VALU_DEP_2)
	v_add_co_u32 v5, vcc_lo, 0, v13
	s_wait_dscnt 0x0
	s_wait_alu 0xfffd
	v_add_co_ci_u32_e64 v6, null, v14, v6, vcc_lo
.LBB2818_105:                           ;   in Loop: Header=BB2818_98 Depth=1
	s_wait_alu 0xfffe
	s_or_b32 exec_lo, exec_lo, s3
	s_wait_dscnt 0x1
	ds_bpermute_b32 v26, v18, v13
	s_wait_dscnt 0x1
	ds_bpermute_b32 v14, v18, v6
	s_mov_b32 s3, exec_lo
	v_cmpx_le_u32_e64 v19, v8
	s_cbranch_execz .LBB2818_107
; %bb.106:                              ;   in Loop: Header=BB2818_98 Depth=1
	s_wait_dscnt 0x1
	v_add_co_u32 v13, vcc_lo, v5, v26
	s_wait_alu 0xfffd
	v_add_co_ci_u32_e64 v6, null, 0, v6, vcc_lo
	s_delay_alu instid0(VALU_DEP_2) | instskip(SKIP_2) | instid1(VALU_DEP_2)
	v_add_co_u32 v5, vcc_lo, 0, v13
	s_wait_dscnt 0x0
	s_wait_alu 0xfffd
	v_add_co_ci_u32_e64 v6, null, v14, v6, vcc_lo
.LBB2818_107:                           ;   in Loop: Header=BB2818_98 Depth=1
	s_wait_alu 0xfffe
	s_or_b32 exec_lo, exec_lo, s3
	s_wait_dscnt 0x1
	ds_bpermute_b32 v26, v20, v13
	s_wait_dscnt 0x1
	ds_bpermute_b32 v14, v20, v6
	s_mov_b32 s3, exec_lo
	v_cmpx_le_u32_e64 v21, v8
	;; [unrolled: 20-line block ×3, first 2 shown]
	s_cbranch_execz .LBB2818_111
; %bb.110:                              ;   in Loop: Header=BB2818_98 Depth=1
	s_wait_dscnt 0x1
	v_add_co_u32 v13, vcc_lo, v5, v26
	s_wait_alu 0xfffd
	v_add_co_ci_u32_e64 v6, null, 0, v6, vcc_lo
	s_delay_alu instid0(VALU_DEP_2) | instskip(SKIP_2) | instid1(VALU_DEP_2)
	v_add_co_u32 v5, vcc_lo, 0, v13
	s_wait_dscnt 0x0
	s_wait_alu 0xfffd
	v_add_co_ci_u32_e64 v6, null, v14, v6, vcc_lo
.LBB2818_111:                           ;   in Loop: Header=BB2818_98 Depth=1
	s_wait_alu 0xfffe
	s_or_b32 exec_lo, exec_lo, s3
	s_wait_dscnt 0x0
	ds_bpermute_b32 v14, v24, v13
	ds_bpermute_b32 v13, v24, v6
	s_mov_b32 s3, exec_lo
	v_cmpx_le_u32_e64 v25, v8
	s_cbranch_execz .LBB2818_96
; %bb.112:                              ;   in Loop: Header=BB2818_98 Depth=1
	s_wait_dscnt 0x1
	v_add_co_u32 v5, vcc_lo, v5, v14
	s_wait_alu 0xfffd
	v_add_co_ci_u32_e64 v6, null, 0, v6, vcc_lo
	s_delay_alu instid0(VALU_DEP_2) | instskip(SKIP_2) | instid1(VALU_DEP_2)
	v_add_co_u32 v5, vcc_lo, v5, 0
	s_wait_dscnt 0x0
	s_wait_alu 0xfffd
	v_add_co_ci_u32_e64 v6, null, v6, v13, vcc_lo
	s_branch .LBB2818_96
.LBB2818_113:
                                        ; implicit-def: $vgpr39_vgpr40
                                        ; implicit-def: $vgpr1_vgpr2_vgpr3_vgpr4_vgpr5_vgpr6_vgpr7_vgpr8_vgpr9_vgpr10_vgpr11_vgpr12_vgpr13_vgpr14_vgpr15_vgpr16_vgpr17_vgpr18_vgpr19_vgpr20_vgpr21_vgpr22_vgpr23_vgpr24_vgpr25_vgpr26_vgpr27_vgpr28_vgpr29_vgpr30_vgpr31_vgpr32
	s_and_b32 vcc_lo, exec_lo, s1
	s_wait_alu 0xfffe
	s_cbranch_vccnz .LBB2818_119
	s_branch .LBB2818_144
.LBB2818_114:
	s_and_saveexec_b32 s3, s1
	s_cbranch_execz .LBB2818_116
; %bb.115:
	s_add_co_i32 s10, ttmp9, 32
	s_mov_b32 s11, 0
	v_add_co_u32 v5, vcc_lo, v3, v1
	s_wait_alu 0xfffe
	s_lshl_b64 s[10:11], s[10:11], 4
	v_dual_mov_b32 v7, 2 :: v_dual_mov_b32 v8, 0
	s_wait_alu 0xfffe
	s_add_nc_u64 s[10:11], s[8:9], s[10:11]
	s_wait_alu 0xfffd
	v_add_co_ci_u32_e64 v6, null, v4, v2, vcc_lo
	s_wait_alu 0xfffe
	v_dual_mov_b32 v12, s11 :: v_dual_mov_b32 v11, s10
	;;#ASMSTART
	global_store_b128 v[11:12], v[5:8] off scope:SCOPE_DEV	
s_wait_storecnt 0x0
	;;#ASMEND
	ds_store_b128 v8, v[1:4] offset:6144
.LBB2818_116:
	s_wait_alu 0xfffe
	s_or_b32 exec_lo, exec_lo, s3
	v_cmp_eq_u32_e32 vcc_lo, 0, v0
	s_and_b32 exec_lo, exec_lo, vcc_lo
; %bb.117:
	v_mov_b32_e32 v1, 0
	ds_store_b64 v1, v[3:4] offset:56
.LBB2818_118:
	s_wait_alu 0xfffe
	s_or_b32 exec_lo, exec_lo, s2
	v_cndmask_b32_e64 v5, 0, v10, s1
	v_cmp_ne_u32_e32 vcc_lo, 0, v0
	v_mov_b32_e32 v4, 0
	s_wait_loadcnt_dscnt 0x0
	s_barrier_signal -1
	s_barrier_wait -1
	global_inv scope:SCOPE_SE
	s_wait_alu 0xfffd
	v_cndmask_b32_e32 v5, 0, v5, vcc_lo
	ds_load_b64 v[1:2], v4 offset:56
	v_cndmask_b32_e64 v3, v15, v9, s1
	s_wait_loadcnt_dscnt 0x0
	s_barrier_signal -1
	s_barrier_wait -1
	global_inv scope:SCOPE_SE
	v_cndmask_b32_e32 v3, 0, v3, vcc_lo
	ds_load_b128 v[37:40], v4 offset:6144
	v_add_co_u32 v1, vcc_lo, v1, v3
	s_wait_alu 0xfffd
	v_add_co_ci_u32_e64 v2, null, v2, v5, vcc_lo
	s_delay_alu instid0(VALU_DEP_2) | instskip(SKIP_1) | instid1(VALU_DEP_2)
	v_add_co_u32 v3, vcc_lo, v1, v53
	s_wait_alu 0xfffd
	v_add_co_ci_u32_e64 v2, null, 0, v2, vcc_lo
	s_delay_alu instid0(VALU_DEP_2) | instskip(SKIP_1) | instid1(VALU_DEP_2)
	;; [unrolled: 4-line block ×11, first 2 shown]
	v_add_co_u32 v23, vcc_lo, v21, v55
	s_wait_alu 0xfffd
	v_add_co_ci_u32_e64 v2, null, 0, v2, vcc_lo
	s_branch .LBB2818_144
.LBB2818_119:
	v_dual_mov_b32 v2, 0 :: v_dual_mov_b32 v3, v45
	v_mov_b32_dpp v4, v45 row_shr:1 row_mask:0xf bank_mask:0xf
	s_delay_alu instid0(VALU_DEP_2)
	v_mov_b32_dpp v1, v2 row_shr:1 row_mask:0xf bank_mask:0xf
	s_and_saveexec_b32 s1, s0
; %bb.120:
	s_delay_alu instid0(VALU_DEP_2) | instskip(SKIP_2) | instid1(VALU_DEP_2)
	v_add_co_u32 v3, vcc_lo, v45, v4
	s_wait_alu 0xfffd
	v_add_co_ci_u32_e64 v2, null, 0, v46, vcc_lo
	v_add_co_u32 v45, vcc_lo, 0, v3
	s_wait_alu 0xfffd
	s_delay_alu instid0(VALU_DEP_2) | instskip(NEXT) | instid1(VALU_DEP_1)
	v_add_co_ci_u32_e64 v46, null, v1, v2, vcc_lo
	v_mov_b32_e32 v2, v46
; %bb.121:
	s_wait_alu 0xfffe
	s_or_b32 exec_lo, exec_lo, s1
	v_mov_b32_dpp v1, v3 row_shr:2 row_mask:0xf bank_mask:0xf
	s_delay_alu instid0(VALU_DEP_2)
	v_mov_b32_dpp v4, v2 row_shr:2 row_mask:0xf bank_mask:0xf
	s_mov_b32 s0, exec_lo
	v_cmpx_lt_u32_e32 1, v62
; %bb.122:
	s_delay_alu instid0(VALU_DEP_3) | instskip(SKIP_2) | instid1(VALU_DEP_2)
	v_add_co_u32 v3, vcc_lo, v45, v1
	s_wait_alu 0xfffd
	v_add_co_ci_u32_e64 v2, null, 0, v46, vcc_lo
	v_add_co_u32 v1, vcc_lo, 0, v3
	s_wait_alu 0xfffd
	s_delay_alu instid0(VALU_DEP_2) | instskip(NEXT) | instid1(VALU_DEP_1)
	v_add_co_ci_u32_e64 v2, null, v4, v2, vcc_lo
	v_dual_mov_b32 v46, v2 :: v_dual_mov_b32 v45, v1
; %bb.123:
	s_wait_alu 0xfffe
	s_or_b32 exec_lo, exec_lo, s0
	v_mov_b32_dpp v1, v3 row_shr:4 row_mask:0xf bank_mask:0xf
	v_mov_b32_dpp v4, v2 row_shr:4 row_mask:0xf bank_mask:0xf
	s_mov_b32 s0, exec_lo
	v_cmpx_lt_u32_e32 3, v62
; %bb.124:
	s_delay_alu instid0(VALU_DEP_3) | instskip(SKIP_2) | instid1(VALU_DEP_2)
	v_add_co_u32 v3, vcc_lo, v45, v1
	s_wait_alu 0xfffd
	v_add_co_ci_u32_e64 v2, null, 0, v46, vcc_lo
	v_add_co_u32 v1, vcc_lo, 0, v3
	s_wait_alu 0xfffd
	s_delay_alu instid0(VALU_DEP_2) | instskip(NEXT) | instid1(VALU_DEP_1)
	v_add_co_ci_u32_e64 v2, null, v4, v2, vcc_lo
	v_dual_mov_b32 v46, v2 :: v_dual_mov_b32 v45, v1
; %bb.125:
	s_wait_alu 0xfffe
	s_or_b32 exec_lo, exec_lo, s0
	v_mov_b32_dpp v4, v3 row_shr:8 row_mask:0xf bank_mask:0xf
	v_mov_b32_dpp v1, v2 row_shr:8 row_mask:0xf bank_mask:0xf
	s_mov_b32 s0, exec_lo
	v_cmpx_lt_u32_e32 7, v62
; %bb.126:
	s_delay_alu instid0(VALU_DEP_3) | instskip(SKIP_2) | instid1(VALU_DEP_2)
	v_add_co_u32 v3, vcc_lo, v45, v4
	s_wait_alu 0xfffd
	v_add_co_ci_u32_e64 v2, null, 0, v46, vcc_lo
	v_add_co_u32 v45, vcc_lo, 0, v3
	s_wait_alu 0xfffd
	s_delay_alu instid0(VALU_DEP_2) | instskip(NEXT) | instid1(VALU_DEP_1)
	v_add_co_ci_u32_e64 v46, null, v1, v2, vcc_lo
	v_mov_b32_e32 v2, v46
; %bb.127:
	s_wait_alu 0xfffe
	s_or_b32 exec_lo, exec_lo, s0
	ds_swizzle_b32 v3, v3 offset:swizzle(BROADCAST,32,15)
	ds_swizzle_b32 v1, v2 offset:swizzle(BROADCAST,32,15)
	v_and_b32_e32 v2, 16, v61
	s_mov_b32 s0, exec_lo
	s_delay_alu instid0(VALU_DEP_1)
	v_cmpx_ne_u32_e32 0, v2
	s_cbranch_execz .LBB2818_129
; %bb.128:
	s_wait_dscnt 0x1
	v_add_co_u32 v2, vcc_lo, v45, v3
	s_wait_alu 0xfffd
	v_add_co_ci_u32_e64 v3, null, 0, v46, vcc_lo
	s_delay_alu instid0(VALU_DEP_2) | instskip(SKIP_2) | instid1(VALU_DEP_2)
	v_add_co_u32 v45, vcc_lo, v2, 0
	s_wait_dscnt 0x0
	s_wait_alu 0xfffd
	v_add_co_ci_u32_e64 v46, null, v3, v1, vcc_lo
.LBB2818_129:
	s_wait_alu 0xfffe
	s_or_b32 exec_lo, exec_lo, s0
	s_wait_dscnt 0x0
	v_or_b32_e32 v1, 31, v0
	v_lshrrev_b32_e32 v3, 5, v0
	s_mov_b32 s0, exec_lo
	s_delay_alu instid0(VALU_DEP_2)
	v_cmpx_eq_u32_e64 v0, v1
; %bb.130:
	s_delay_alu instid0(VALU_DEP_2)
	v_lshlrev_b32_e32 v1, 3, v3
	ds_store_b64 v1, v[45:46]
; %bb.131:
	s_wait_alu 0xfffe
	s_or_b32 exec_lo, exec_lo, s0
	s_delay_alu instid0(SALU_CYCLE_1)
	s_mov_b32 s0, exec_lo
	s_wait_loadcnt_dscnt 0x0
	s_barrier_signal -1
	s_barrier_wait -1
	global_inv scope:SCOPE_SE
	v_cmpx_gt_u32_e32 8, v0
	s_cbranch_execz .LBB2818_139
; %bb.132:
	v_lshlrev_b32_e32 v4, 2, v0
	s_mov_b32 s1, exec_lo
	s_delay_alu instid0(VALU_DEP_1)
	v_sub_nc_u32_e32 v1, v47, v4
	ds_load_b64 v[1:2], v1
	s_wait_dscnt 0x0
	v_dual_mov_b32 v6, v1 :: v_dual_and_b32 v5, 7, v61
	v_mov_b32_dpp v8, v1 row_shr:1 row_mask:0xf bank_mask:0xf
	v_mov_b32_dpp v7, v2 row_shr:1 row_mask:0xf bank_mask:0xf
	s_delay_alu instid0(VALU_DEP_3)
	v_cmpx_ne_u32_e32 0, v5
; %bb.133:
	s_delay_alu instid0(VALU_DEP_3) | instskip(SKIP_2) | instid1(VALU_DEP_2)
	v_add_co_u32 v6, vcc_lo, v1, v8
	s_wait_alu 0xfffd
	v_add_co_ci_u32_e64 v2, null, 0, v2, vcc_lo
	v_add_co_u32 v1, vcc_lo, 0, v6
	s_wait_alu 0xfffd
	s_delay_alu instid0(VALU_DEP_2)
	v_add_co_ci_u32_e64 v2, null, v7, v2, vcc_lo
; %bb.134:
	s_wait_alu 0xfffe
	s_or_b32 exec_lo, exec_lo, s1
	v_mov_b32_dpp v8, v6 row_shr:2 row_mask:0xf bank_mask:0xf
	s_delay_alu instid0(VALU_DEP_2)
	v_mov_b32_dpp v7, v2 row_shr:2 row_mask:0xf bank_mask:0xf
	s_mov_b32 s1, exec_lo
	v_cmpx_lt_u32_e32 1, v5
; %bb.135:
	s_delay_alu instid0(VALU_DEP_3) | instskip(SKIP_2) | instid1(VALU_DEP_2)
	v_add_co_u32 v6, vcc_lo, v1, v8
	s_wait_alu 0xfffd
	v_add_co_ci_u32_e64 v2, null, 0, v2, vcc_lo
	v_add_co_u32 v1, vcc_lo, 0, v6
	s_wait_alu 0xfffd
	s_delay_alu instid0(VALU_DEP_2)
	v_add_co_ci_u32_e64 v2, null, v7, v2, vcc_lo
; %bb.136:
	s_wait_alu 0xfffe
	s_or_b32 exec_lo, exec_lo, s1
	v_sub_nc_u32_e32 v4, 0, v4
	v_mov_b32_dpp v7, v6 row_shr:4 row_mask:0xf bank_mask:0xf
	v_mov_b32_dpp v6, v2 row_shr:4 row_mask:0xf bank_mask:0xf
	s_mov_b32 s1, exec_lo
	v_cmpx_lt_u32_e32 3, v5
; %bb.137:
	s_delay_alu instid0(VALU_DEP_3) | instskip(SKIP_2) | instid1(VALU_DEP_2)
	v_add_co_u32 v1, vcc_lo, v1, v7
	s_wait_alu 0xfffd
	v_add_co_ci_u32_e64 v2, null, 0, v2, vcc_lo
	v_add_co_u32 v1, vcc_lo, v1, 0
	s_wait_alu 0xfffd
	s_delay_alu instid0(VALU_DEP_2)
	v_add_co_ci_u32_e64 v2, null, v2, v6, vcc_lo
; %bb.138:
	s_wait_alu 0xfffe
	s_or_b32 exec_lo, exec_lo, s1
	v_add_nc_u32_e32 v4, v47, v4
	ds_store_b64 v4, v[1:2]
.LBB2818_139:
	s_wait_alu 0xfffe
	s_or_b32 exec_lo, exec_lo, s0
	v_mov_b32_e32 v1, 0
	v_mov_b32_e32 v2, 0
	s_mov_b32 s0, exec_lo
	s_wait_loadcnt_dscnt 0x0
	s_barrier_signal -1
	s_barrier_wait -1
	global_inv scope:SCOPE_SE
	v_cmpx_lt_u32_e32 31, v0
; %bb.140:
	v_lshl_add_u32 v1, v3, 3, -8
	ds_load_b64 v[1:2], v1
; %bb.141:
	s_wait_alu 0xfffe
	s_or_b32 exec_lo, exec_lo, s0
	v_sub_co_u32 v3, vcc_lo, v61, 1
	s_wait_dscnt 0x0
	v_add_nc_u32_e32 v4, v1, v45
	v_mov_b32_e32 v40, 0
	s_delay_alu instid0(VALU_DEP_3) | instskip(SKIP_4) | instid1(VALU_DEP_2)
	v_cmp_gt_i32_e64 s0, 0, v3
	ds_load_b64 v[37:38], v40 offset:56
	s_wait_alu 0xf1ff
	v_cndmask_b32_e64 v3, v3, v61, s0
	v_cmp_eq_u32_e64 s0, 0, v0
	v_lshlrev_b32_e32 v3, 2, v3
	ds_bpermute_b32 v3, v3, v4
	s_and_saveexec_b32 s1, s0
	s_cbranch_execz .LBB2818_143
; %bb.142:
	s_wait_kmcnt 0x0
	s_add_nc_u64 s[2:3], s[8:9], 0x200
	v_mov_b32_e32 v39, 2
	s_wait_alu 0xfffe
	v_dual_mov_b32 v5, s3 :: v_dual_mov_b32 v4, s2
	s_wait_dscnt 0x1
	;;#ASMSTART
	global_store_b128 v[4:5], v[37:40] off scope:SCOPE_DEV	
s_wait_storecnt 0x0
	;;#ASMEND
.LBB2818_143:
	s_wait_alu 0xfffe
	s_or_b32 exec_lo, exec_lo, s1
	s_wait_dscnt 0x0
	s_wait_alu 0xfffd
	v_dual_cndmask_b32 v1, v3, v1 :: v_dual_cndmask_b32 v2, 0, v2
	v_mov_b32_e32 v39, 0
	v_mov_b32_e32 v40, 0
	s_wait_loadcnt 0x0
	s_delay_alu instid0(VALU_DEP_3)
	v_cndmask_b32_e64 v1, v1, 0, s0
	v_cndmask_b32_e64 v2, v2, 0, s0
	s_barrier_signal -1
	s_barrier_wait -1
	global_inv scope:SCOPE_SE
	v_add_co_u32 v3, vcc_lo, v1, v53
	s_wait_alu 0xfffd
	v_add_co_ci_u32_e64 v2, null, 0, v2, vcc_lo
	s_delay_alu instid0(VALU_DEP_2) | instskip(SKIP_1) | instid1(VALU_DEP_2)
	v_add_co_u32 v5, vcc_lo, v3, v54
	s_wait_alu 0xfffd
	v_add_co_ci_u32_e64 v2, null, 0, v2, vcc_lo
	s_delay_alu instid0(VALU_DEP_2) | instskip(SKIP_1) | instid1(VALU_DEP_2)
	;; [unrolled: 4-line block ×10, first 2 shown]
	v_add_co_u32 v23, vcc_lo, v21, v55
	s_wait_alu 0xfffd
	v_add_co_ci_u32_e64 v2, null, 0, v2, vcc_lo
.LBB2818_144:
	s_wait_dscnt 0x0
	v_cmp_gt_u64_e32 vcc_lo, 0x101, v[37:38]
	v_lshrrev_b32_e32 v12, 8, v43
	v_lshrrev_b32_e32 v10, 16, v43
	v_lshrrev_b32_e32 v8, 8, v44
	v_lshrrev_b32_e32 v6, 16, v44
	v_lshrrev_b32_e32 v2, 16, v48
	v_lshrrev_b32_e32 v4, 8, v48
	s_cbranch_vccz .LBB2818_147
; %bb.145:
	v_cmp_eq_u32_e32 vcc_lo, 0, v0
	s_and_b32 s0, vcc_lo, s16
	s_wait_alu 0xfffe
	s_and_saveexec_b32 s1, s0
	s_cbranch_execnz .LBB2818_172
.LBB2818_146:
	s_endpgm
.LBB2818_147:
	v_and_b32_e32 v14, 1, v43
	s_mov_b32 s0, exec_lo
	s_delay_alu instid0(VALU_DEP_1)
	v_cmpx_eq_u32_e32 1, v14
; %bb.148:
	v_sub_nc_u32_e32 v1, v1, v39
	s_delay_alu instid0(VALU_DEP_1)
	v_lshlrev_b32_e32 v1, 1, v1
	ds_store_b16 v1, v33
; %bb.149:
	s_wait_alu 0xfffe
	s_or_b32 exec_lo, exec_lo, s0
	v_and_b32_e32 v1, 1, v12
	s_mov_b32 s0, exec_lo
	s_delay_alu instid0(VALU_DEP_1)
	v_cmpx_eq_u32_e32 1, v1
; %bb.150:
	v_sub_nc_u32_e32 v1, v3, v39
	s_delay_alu instid0(VALU_DEP_1)
	v_lshlrev_b32_e32 v1, 1, v1
	ds_store_b16_d16_hi v1, v33
; %bb.151:
	s_wait_alu 0xfffe
	s_or_b32 exec_lo, exec_lo, s0
	v_and_b32_e32 v1, 1, v10
	s_mov_b32 s0, exec_lo
	s_delay_alu instid0(VALU_DEP_1)
	v_cmpx_eq_u32_e32 1, v1
; %bb.152:
	v_sub_nc_u32_e32 v1, v5, v39
	s_delay_alu instid0(VALU_DEP_1)
	v_lshlrev_b32_e32 v1, 1, v1
	ds_store_b16 v1, v34
; %bb.153:
	s_wait_alu 0xfffe
	s_or_b32 exec_lo, exec_lo, s0
	v_and_b32_e32 v1, 1, v51
	s_mov_b32 s0, exec_lo
	s_delay_alu instid0(VALU_DEP_1)
	v_cmpx_eq_u32_e32 1, v1
; %bb.154:
	v_sub_nc_u32_e32 v1, v7, v39
	s_delay_alu instid0(VALU_DEP_1)
	v_lshlrev_b32_e32 v1, 1, v1
	ds_store_b16_d16_hi v1, v34
; %bb.155:
	s_wait_alu 0xfffe
	s_or_b32 exec_lo, exec_lo, s0
	;; [unrolled: 24-line block ×6, first 2 shown]
	s_wait_loadcnt_dscnt 0x0
	s_barrier_signal -1
	s_barrier_wait -1
	global_inv scope:SCOPE_SE
	v_cmp_eq_u32_e32 vcc_lo, 0, v0
	s_and_b32 s0, vcc_lo, s16
	s_wait_alu 0xfffe
	s_and_saveexec_b32 s1, s0
	s_cbranch_execz .LBB2818_146
.LBB2818_172:
	v_add_co_u32 v0, vcc_lo, v37, s6
	s_wait_alu 0xfffd
	v_add_co_ci_u32_e64 v1, null, s7, v38, vcc_lo
	v_mov_b32_e32 v2, 0
	s_delay_alu instid0(VALU_DEP_3) | instskip(SKIP_1) | instid1(VALU_DEP_3)
	v_add_co_u32 v0, vcc_lo, v0, v39
	s_wait_alu 0xfffd
	v_add_co_ci_u32_e64 v1, null, v1, v40, vcc_lo
	global_store_b64 v2, v[0:1], s[4:5]
	s_endpgm
	.section	.rodata,"a",@progbits
	.p2align	6, 0x0
	.amdhsa_kernel _ZN7rocprim17ROCPRIM_400000_NS6detail17trampoline_kernelINS0_14default_configENS1_25partition_config_selectorILNS1_17partition_subalgoE5EsNS0_10empty_typeEbEEZZNS1_14partition_implILS5_5ELb0ES3_mN6thrust23THRUST_200600_302600_NS6detail15normal_iteratorINSA_10device_ptrIsEEEEPS6_NSA_18transform_iteratorINSB_9not_fun_tI7is_trueIsEEENSC_INSD_IbEEEENSA_11use_defaultESO_EENS0_5tupleIJNSA_16discard_iteratorISO_EES6_EEENSQ_IJSG_SG_EEES6_PlJS6_EEE10hipError_tPvRmT3_T4_T5_T6_T7_T9_mT8_P12ihipStream_tbDpT10_ENKUlT_T0_E_clISt17integral_constantIbLb0EES1F_EEDaS1A_S1B_EUlS1A_E_NS1_11comp_targetILNS1_3genE10ELNS1_11target_archE1200ELNS1_3gpuE4ELNS1_3repE0EEENS1_30default_config_static_selectorELNS0_4arch9wavefront6targetE0EEEvT1_
		.amdhsa_group_segment_fixed_size 6160
		.amdhsa_private_segment_fixed_size 0
		.amdhsa_kernarg_size 128
		.amdhsa_user_sgpr_count 2
		.amdhsa_user_sgpr_dispatch_ptr 0
		.amdhsa_user_sgpr_queue_ptr 0
		.amdhsa_user_sgpr_kernarg_segment_ptr 1
		.amdhsa_user_sgpr_dispatch_id 0
		.amdhsa_user_sgpr_private_segment_size 0
		.amdhsa_wavefront_size32 1
		.amdhsa_uses_dynamic_stack 0
		.amdhsa_enable_private_segment 0
		.amdhsa_system_sgpr_workgroup_id_x 1
		.amdhsa_system_sgpr_workgroup_id_y 0
		.amdhsa_system_sgpr_workgroup_id_z 0
		.amdhsa_system_sgpr_workgroup_info 0
		.amdhsa_system_vgpr_workitem_id 0
		.amdhsa_next_free_vgpr 63
		.amdhsa_next_free_sgpr 23
		.amdhsa_reserve_vcc 1
		.amdhsa_float_round_mode_32 0
		.amdhsa_float_round_mode_16_64 0
		.amdhsa_float_denorm_mode_32 3
		.amdhsa_float_denorm_mode_16_64 3
		.amdhsa_fp16_overflow 0
		.amdhsa_workgroup_processor_mode 1
		.amdhsa_memory_ordered 1
		.amdhsa_forward_progress 1
		.amdhsa_inst_pref_size 70
		.amdhsa_round_robin_scheduling 0
		.amdhsa_exception_fp_ieee_invalid_op 0
		.amdhsa_exception_fp_denorm_src 0
		.amdhsa_exception_fp_ieee_div_zero 0
		.amdhsa_exception_fp_ieee_overflow 0
		.amdhsa_exception_fp_ieee_underflow 0
		.amdhsa_exception_fp_ieee_inexact 0
		.amdhsa_exception_int_div_zero 0
	.end_amdhsa_kernel
	.section	.text._ZN7rocprim17ROCPRIM_400000_NS6detail17trampoline_kernelINS0_14default_configENS1_25partition_config_selectorILNS1_17partition_subalgoE5EsNS0_10empty_typeEbEEZZNS1_14partition_implILS5_5ELb0ES3_mN6thrust23THRUST_200600_302600_NS6detail15normal_iteratorINSA_10device_ptrIsEEEEPS6_NSA_18transform_iteratorINSB_9not_fun_tI7is_trueIsEEENSC_INSD_IbEEEENSA_11use_defaultESO_EENS0_5tupleIJNSA_16discard_iteratorISO_EES6_EEENSQ_IJSG_SG_EEES6_PlJS6_EEE10hipError_tPvRmT3_T4_T5_T6_T7_T9_mT8_P12ihipStream_tbDpT10_ENKUlT_T0_E_clISt17integral_constantIbLb0EES1F_EEDaS1A_S1B_EUlS1A_E_NS1_11comp_targetILNS1_3genE10ELNS1_11target_archE1200ELNS1_3gpuE4ELNS1_3repE0EEENS1_30default_config_static_selectorELNS0_4arch9wavefront6targetE0EEEvT1_,"axG",@progbits,_ZN7rocprim17ROCPRIM_400000_NS6detail17trampoline_kernelINS0_14default_configENS1_25partition_config_selectorILNS1_17partition_subalgoE5EsNS0_10empty_typeEbEEZZNS1_14partition_implILS5_5ELb0ES3_mN6thrust23THRUST_200600_302600_NS6detail15normal_iteratorINSA_10device_ptrIsEEEEPS6_NSA_18transform_iteratorINSB_9not_fun_tI7is_trueIsEEENSC_INSD_IbEEEENSA_11use_defaultESO_EENS0_5tupleIJNSA_16discard_iteratorISO_EES6_EEENSQ_IJSG_SG_EEES6_PlJS6_EEE10hipError_tPvRmT3_T4_T5_T6_T7_T9_mT8_P12ihipStream_tbDpT10_ENKUlT_T0_E_clISt17integral_constantIbLb0EES1F_EEDaS1A_S1B_EUlS1A_E_NS1_11comp_targetILNS1_3genE10ELNS1_11target_archE1200ELNS1_3gpuE4ELNS1_3repE0EEENS1_30default_config_static_selectorELNS0_4arch9wavefront6targetE0EEEvT1_,comdat
.Lfunc_end2818:
	.size	_ZN7rocprim17ROCPRIM_400000_NS6detail17trampoline_kernelINS0_14default_configENS1_25partition_config_selectorILNS1_17partition_subalgoE5EsNS0_10empty_typeEbEEZZNS1_14partition_implILS5_5ELb0ES3_mN6thrust23THRUST_200600_302600_NS6detail15normal_iteratorINSA_10device_ptrIsEEEEPS6_NSA_18transform_iteratorINSB_9not_fun_tI7is_trueIsEEENSC_INSD_IbEEEENSA_11use_defaultESO_EENS0_5tupleIJNSA_16discard_iteratorISO_EES6_EEENSQ_IJSG_SG_EEES6_PlJS6_EEE10hipError_tPvRmT3_T4_T5_T6_T7_T9_mT8_P12ihipStream_tbDpT10_ENKUlT_T0_E_clISt17integral_constantIbLb0EES1F_EEDaS1A_S1B_EUlS1A_E_NS1_11comp_targetILNS1_3genE10ELNS1_11target_archE1200ELNS1_3gpuE4ELNS1_3repE0EEENS1_30default_config_static_selectorELNS0_4arch9wavefront6targetE0EEEvT1_, .Lfunc_end2818-_ZN7rocprim17ROCPRIM_400000_NS6detail17trampoline_kernelINS0_14default_configENS1_25partition_config_selectorILNS1_17partition_subalgoE5EsNS0_10empty_typeEbEEZZNS1_14partition_implILS5_5ELb0ES3_mN6thrust23THRUST_200600_302600_NS6detail15normal_iteratorINSA_10device_ptrIsEEEEPS6_NSA_18transform_iteratorINSB_9not_fun_tI7is_trueIsEEENSC_INSD_IbEEEENSA_11use_defaultESO_EENS0_5tupleIJNSA_16discard_iteratorISO_EES6_EEENSQ_IJSG_SG_EEES6_PlJS6_EEE10hipError_tPvRmT3_T4_T5_T6_T7_T9_mT8_P12ihipStream_tbDpT10_ENKUlT_T0_E_clISt17integral_constantIbLb0EES1F_EEDaS1A_S1B_EUlS1A_E_NS1_11comp_targetILNS1_3genE10ELNS1_11target_archE1200ELNS1_3gpuE4ELNS1_3repE0EEENS1_30default_config_static_selectorELNS0_4arch9wavefront6targetE0EEEvT1_
                                        ; -- End function
	.set _ZN7rocprim17ROCPRIM_400000_NS6detail17trampoline_kernelINS0_14default_configENS1_25partition_config_selectorILNS1_17partition_subalgoE5EsNS0_10empty_typeEbEEZZNS1_14partition_implILS5_5ELb0ES3_mN6thrust23THRUST_200600_302600_NS6detail15normal_iteratorINSA_10device_ptrIsEEEEPS6_NSA_18transform_iteratorINSB_9not_fun_tI7is_trueIsEEENSC_INSD_IbEEEENSA_11use_defaultESO_EENS0_5tupleIJNSA_16discard_iteratorISO_EES6_EEENSQ_IJSG_SG_EEES6_PlJS6_EEE10hipError_tPvRmT3_T4_T5_T6_T7_T9_mT8_P12ihipStream_tbDpT10_ENKUlT_T0_E_clISt17integral_constantIbLb0EES1F_EEDaS1A_S1B_EUlS1A_E_NS1_11comp_targetILNS1_3genE10ELNS1_11target_archE1200ELNS1_3gpuE4ELNS1_3repE0EEENS1_30default_config_static_selectorELNS0_4arch9wavefront6targetE0EEEvT1_.num_vgpr, 63
	.set _ZN7rocprim17ROCPRIM_400000_NS6detail17trampoline_kernelINS0_14default_configENS1_25partition_config_selectorILNS1_17partition_subalgoE5EsNS0_10empty_typeEbEEZZNS1_14partition_implILS5_5ELb0ES3_mN6thrust23THRUST_200600_302600_NS6detail15normal_iteratorINSA_10device_ptrIsEEEEPS6_NSA_18transform_iteratorINSB_9not_fun_tI7is_trueIsEEENSC_INSD_IbEEEENSA_11use_defaultESO_EENS0_5tupleIJNSA_16discard_iteratorISO_EES6_EEENSQ_IJSG_SG_EEES6_PlJS6_EEE10hipError_tPvRmT3_T4_T5_T6_T7_T9_mT8_P12ihipStream_tbDpT10_ENKUlT_T0_E_clISt17integral_constantIbLb0EES1F_EEDaS1A_S1B_EUlS1A_E_NS1_11comp_targetILNS1_3genE10ELNS1_11target_archE1200ELNS1_3gpuE4ELNS1_3repE0EEENS1_30default_config_static_selectorELNS0_4arch9wavefront6targetE0EEEvT1_.num_agpr, 0
	.set _ZN7rocprim17ROCPRIM_400000_NS6detail17trampoline_kernelINS0_14default_configENS1_25partition_config_selectorILNS1_17partition_subalgoE5EsNS0_10empty_typeEbEEZZNS1_14partition_implILS5_5ELb0ES3_mN6thrust23THRUST_200600_302600_NS6detail15normal_iteratorINSA_10device_ptrIsEEEEPS6_NSA_18transform_iteratorINSB_9not_fun_tI7is_trueIsEEENSC_INSD_IbEEEENSA_11use_defaultESO_EENS0_5tupleIJNSA_16discard_iteratorISO_EES6_EEENSQ_IJSG_SG_EEES6_PlJS6_EEE10hipError_tPvRmT3_T4_T5_T6_T7_T9_mT8_P12ihipStream_tbDpT10_ENKUlT_T0_E_clISt17integral_constantIbLb0EES1F_EEDaS1A_S1B_EUlS1A_E_NS1_11comp_targetILNS1_3genE10ELNS1_11target_archE1200ELNS1_3gpuE4ELNS1_3repE0EEENS1_30default_config_static_selectorELNS0_4arch9wavefront6targetE0EEEvT1_.numbered_sgpr, 23
	.set _ZN7rocprim17ROCPRIM_400000_NS6detail17trampoline_kernelINS0_14default_configENS1_25partition_config_selectorILNS1_17partition_subalgoE5EsNS0_10empty_typeEbEEZZNS1_14partition_implILS5_5ELb0ES3_mN6thrust23THRUST_200600_302600_NS6detail15normal_iteratorINSA_10device_ptrIsEEEEPS6_NSA_18transform_iteratorINSB_9not_fun_tI7is_trueIsEEENSC_INSD_IbEEEENSA_11use_defaultESO_EENS0_5tupleIJNSA_16discard_iteratorISO_EES6_EEENSQ_IJSG_SG_EEES6_PlJS6_EEE10hipError_tPvRmT3_T4_T5_T6_T7_T9_mT8_P12ihipStream_tbDpT10_ENKUlT_T0_E_clISt17integral_constantIbLb0EES1F_EEDaS1A_S1B_EUlS1A_E_NS1_11comp_targetILNS1_3genE10ELNS1_11target_archE1200ELNS1_3gpuE4ELNS1_3repE0EEENS1_30default_config_static_selectorELNS0_4arch9wavefront6targetE0EEEvT1_.num_named_barrier, 0
	.set _ZN7rocprim17ROCPRIM_400000_NS6detail17trampoline_kernelINS0_14default_configENS1_25partition_config_selectorILNS1_17partition_subalgoE5EsNS0_10empty_typeEbEEZZNS1_14partition_implILS5_5ELb0ES3_mN6thrust23THRUST_200600_302600_NS6detail15normal_iteratorINSA_10device_ptrIsEEEEPS6_NSA_18transform_iteratorINSB_9not_fun_tI7is_trueIsEEENSC_INSD_IbEEEENSA_11use_defaultESO_EENS0_5tupleIJNSA_16discard_iteratorISO_EES6_EEENSQ_IJSG_SG_EEES6_PlJS6_EEE10hipError_tPvRmT3_T4_T5_T6_T7_T9_mT8_P12ihipStream_tbDpT10_ENKUlT_T0_E_clISt17integral_constantIbLb0EES1F_EEDaS1A_S1B_EUlS1A_E_NS1_11comp_targetILNS1_3genE10ELNS1_11target_archE1200ELNS1_3gpuE4ELNS1_3repE0EEENS1_30default_config_static_selectorELNS0_4arch9wavefront6targetE0EEEvT1_.private_seg_size, 0
	.set _ZN7rocprim17ROCPRIM_400000_NS6detail17trampoline_kernelINS0_14default_configENS1_25partition_config_selectorILNS1_17partition_subalgoE5EsNS0_10empty_typeEbEEZZNS1_14partition_implILS5_5ELb0ES3_mN6thrust23THRUST_200600_302600_NS6detail15normal_iteratorINSA_10device_ptrIsEEEEPS6_NSA_18transform_iteratorINSB_9not_fun_tI7is_trueIsEEENSC_INSD_IbEEEENSA_11use_defaultESO_EENS0_5tupleIJNSA_16discard_iteratorISO_EES6_EEENSQ_IJSG_SG_EEES6_PlJS6_EEE10hipError_tPvRmT3_T4_T5_T6_T7_T9_mT8_P12ihipStream_tbDpT10_ENKUlT_T0_E_clISt17integral_constantIbLb0EES1F_EEDaS1A_S1B_EUlS1A_E_NS1_11comp_targetILNS1_3genE10ELNS1_11target_archE1200ELNS1_3gpuE4ELNS1_3repE0EEENS1_30default_config_static_selectorELNS0_4arch9wavefront6targetE0EEEvT1_.uses_vcc, 1
	.set _ZN7rocprim17ROCPRIM_400000_NS6detail17trampoline_kernelINS0_14default_configENS1_25partition_config_selectorILNS1_17partition_subalgoE5EsNS0_10empty_typeEbEEZZNS1_14partition_implILS5_5ELb0ES3_mN6thrust23THRUST_200600_302600_NS6detail15normal_iteratorINSA_10device_ptrIsEEEEPS6_NSA_18transform_iteratorINSB_9not_fun_tI7is_trueIsEEENSC_INSD_IbEEEENSA_11use_defaultESO_EENS0_5tupleIJNSA_16discard_iteratorISO_EES6_EEENSQ_IJSG_SG_EEES6_PlJS6_EEE10hipError_tPvRmT3_T4_T5_T6_T7_T9_mT8_P12ihipStream_tbDpT10_ENKUlT_T0_E_clISt17integral_constantIbLb0EES1F_EEDaS1A_S1B_EUlS1A_E_NS1_11comp_targetILNS1_3genE10ELNS1_11target_archE1200ELNS1_3gpuE4ELNS1_3repE0EEENS1_30default_config_static_selectorELNS0_4arch9wavefront6targetE0EEEvT1_.uses_flat_scratch, 1
	.set _ZN7rocprim17ROCPRIM_400000_NS6detail17trampoline_kernelINS0_14default_configENS1_25partition_config_selectorILNS1_17partition_subalgoE5EsNS0_10empty_typeEbEEZZNS1_14partition_implILS5_5ELb0ES3_mN6thrust23THRUST_200600_302600_NS6detail15normal_iteratorINSA_10device_ptrIsEEEEPS6_NSA_18transform_iteratorINSB_9not_fun_tI7is_trueIsEEENSC_INSD_IbEEEENSA_11use_defaultESO_EENS0_5tupleIJNSA_16discard_iteratorISO_EES6_EEENSQ_IJSG_SG_EEES6_PlJS6_EEE10hipError_tPvRmT3_T4_T5_T6_T7_T9_mT8_P12ihipStream_tbDpT10_ENKUlT_T0_E_clISt17integral_constantIbLb0EES1F_EEDaS1A_S1B_EUlS1A_E_NS1_11comp_targetILNS1_3genE10ELNS1_11target_archE1200ELNS1_3gpuE4ELNS1_3repE0EEENS1_30default_config_static_selectorELNS0_4arch9wavefront6targetE0EEEvT1_.has_dyn_sized_stack, 0
	.set _ZN7rocprim17ROCPRIM_400000_NS6detail17trampoline_kernelINS0_14default_configENS1_25partition_config_selectorILNS1_17partition_subalgoE5EsNS0_10empty_typeEbEEZZNS1_14partition_implILS5_5ELb0ES3_mN6thrust23THRUST_200600_302600_NS6detail15normal_iteratorINSA_10device_ptrIsEEEEPS6_NSA_18transform_iteratorINSB_9not_fun_tI7is_trueIsEEENSC_INSD_IbEEEENSA_11use_defaultESO_EENS0_5tupleIJNSA_16discard_iteratorISO_EES6_EEENSQ_IJSG_SG_EEES6_PlJS6_EEE10hipError_tPvRmT3_T4_T5_T6_T7_T9_mT8_P12ihipStream_tbDpT10_ENKUlT_T0_E_clISt17integral_constantIbLb0EES1F_EEDaS1A_S1B_EUlS1A_E_NS1_11comp_targetILNS1_3genE10ELNS1_11target_archE1200ELNS1_3gpuE4ELNS1_3repE0EEENS1_30default_config_static_selectorELNS0_4arch9wavefront6targetE0EEEvT1_.has_recursion, 0
	.set _ZN7rocprim17ROCPRIM_400000_NS6detail17trampoline_kernelINS0_14default_configENS1_25partition_config_selectorILNS1_17partition_subalgoE5EsNS0_10empty_typeEbEEZZNS1_14partition_implILS5_5ELb0ES3_mN6thrust23THRUST_200600_302600_NS6detail15normal_iteratorINSA_10device_ptrIsEEEEPS6_NSA_18transform_iteratorINSB_9not_fun_tI7is_trueIsEEENSC_INSD_IbEEEENSA_11use_defaultESO_EENS0_5tupleIJNSA_16discard_iteratorISO_EES6_EEENSQ_IJSG_SG_EEES6_PlJS6_EEE10hipError_tPvRmT3_T4_T5_T6_T7_T9_mT8_P12ihipStream_tbDpT10_ENKUlT_T0_E_clISt17integral_constantIbLb0EES1F_EEDaS1A_S1B_EUlS1A_E_NS1_11comp_targetILNS1_3genE10ELNS1_11target_archE1200ELNS1_3gpuE4ELNS1_3repE0EEENS1_30default_config_static_selectorELNS0_4arch9wavefront6targetE0EEEvT1_.has_indirect_call, 0
	.section	.AMDGPU.csdata,"",@progbits
; Kernel info:
; codeLenInByte = 8844
; TotalNumSgprs: 25
; NumVgprs: 63
; ScratchSize: 0
; MemoryBound: 0
; FloatMode: 240
; IeeeMode: 1
; LDSByteSize: 6160 bytes/workgroup (compile time only)
; SGPRBlocks: 0
; VGPRBlocks: 7
; NumSGPRsForWavesPerEU: 25
; NumVGPRsForWavesPerEU: 63
; Occupancy: 16
; WaveLimiterHint : 1
; COMPUTE_PGM_RSRC2:SCRATCH_EN: 0
; COMPUTE_PGM_RSRC2:USER_SGPR: 2
; COMPUTE_PGM_RSRC2:TRAP_HANDLER: 0
; COMPUTE_PGM_RSRC2:TGID_X_EN: 1
; COMPUTE_PGM_RSRC2:TGID_Y_EN: 0
; COMPUTE_PGM_RSRC2:TGID_Z_EN: 0
; COMPUTE_PGM_RSRC2:TIDIG_COMP_CNT: 0
	.section	.text._ZN7rocprim17ROCPRIM_400000_NS6detail17trampoline_kernelINS0_14default_configENS1_25partition_config_selectorILNS1_17partition_subalgoE5EsNS0_10empty_typeEbEEZZNS1_14partition_implILS5_5ELb0ES3_mN6thrust23THRUST_200600_302600_NS6detail15normal_iteratorINSA_10device_ptrIsEEEEPS6_NSA_18transform_iteratorINSB_9not_fun_tI7is_trueIsEEENSC_INSD_IbEEEENSA_11use_defaultESO_EENS0_5tupleIJNSA_16discard_iteratorISO_EES6_EEENSQ_IJSG_SG_EEES6_PlJS6_EEE10hipError_tPvRmT3_T4_T5_T6_T7_T9_mT8_P12ihipStream_tbDpT10_ENKUlT_T0_E_clISt17integral_constantIbLb0EES1F_EEDaS1A_S1B_EUlS1A_E_NS1_11comp_targetILNS1_3genE9ELNS1_11target_archE1100ELNS1_3gpuE3ELNS1_3repE0EEENS1_30default_config_static_selectorELNS0_4arch9wavefront6targetE0EEEvT1_,"axG",@progbits,_ZN7rocprim17ROCPRIM_400000_NS6detail17trampoline_kernelINS0_14default_configENS1_25partition_config_selectorILNS1_17partition_subalgoE5EsNS0_10empty_typeEbEEZZNS1_14partition_implILS5_5ELb0ES3_mN6thrust23THRUST_200600_302600_NS6detail15normal_iteratorINSA_10device_ptrIsEEEEPS6_NSA_18transform_iteratorINSB_9not_fun_tI7is_trueIsEEENSC_INSD_IbEEEENSA_11use_defaultESO_EENS0_5tupleIJNSA_16discard_iteratorISO_EES6_EEENSQ_IJSG_SG_EEES6_PlJS6_EEE10hipError_tPvRmT3_T4_T5_T6_T7_T9_mT8_P12ihipStream_tbDpT10_ENKUlT_T0_E_clISt17integral_constantIbLb0EES1F_EEDaS1A_S1B_EUlS1A_E_NS1_11comp_targetILNS1_3genE9ELNS1_11target_archE1100ELNS1_3gpuE3ELNS1_3repE0EEENS1_30default_config_static_selectorELNS0_4arch9wavefront6targetE0EEEvT1_,comdat
	.protected	_ZN7rocprim17ROCPRIM_400000_NS6detail17trampoline_kernelINS0_14default_configENS1_25partition_config_selectorILNS1_17partition_subalgoE5EsNS0_10empty_typeEbEEZZNS1_14partition_implILS5_5ELb0ES3_mN6thrust23THRUST_200600_302600_NS6detail15normal_iteratorINSA_10device_ptrIsEEEEPS6_NSA_18transform_iteratorINSB_9not_fun_tI7is_trueIsEEENSC_INSD_IbEEEENSA_11use_defaultESO_EENS0_5tupleIJNSA_16discard_iteratorISO_EES6_EEENSQ_IJSG_SG_EEES6_PlJS6_EEE10hipError_tPvRmT3_T4_T5_T6_T7_T9_mT8_P12ihipStream_tbDpT10_ENKUlT_T0_E_clISt17integral_constantIbLb0EES1F_EEDaS1A_S1B_EUlS1A_E_NS1_11comp_targetILNS1_3genE9ELNS1_11target_archE1100ELNS1_3gpuE3ELNS1_3repE0EEENS1_30default_config_static_selectorELNS0_4arch9wavefront6targetE0EEEvT1_ ; -- Begin function _ZN7rocprim17ROCPRIM_400000_NS6detail17trampoline_kernelINS0_14default_configENS1_25partition_config_selectorILNS1_17partition_subalgoE5EsNS0_10empty_typeEbEEZZNS1_14partition_implILS5_5ELb0ES3_mN6thrust23THRUST_200600_302600_NS6detail15normal_iteratorINSA_10device_ptrIsEEEEPS6_NSA_18transform_iteratorINSB_9not_fun_tI7is_trueIsEEENSC_INSD_IbEEEENSA_11use_defaultESO_EENS0_5tupleIJNSA_16discard_iteratorISO_EES6_EEENSQ_IJSG_SG_EEES6_PlJS6_EEE10hipError_tPvRmT3_T4_T5_T6_T7_T9_mT8_P12ihipStream_tbDpT10_ENKUlT_T0_E_clISt17integral_constantIbLb0EES1F_EEDaS1A_S1B_EUlS1A_E_NS1_11comp_targetILNS1_3genE9ELNS1_11target_archE1100ELNS1_3gpuE3ELNS1_3repE0EEENS1_30default_config_static_selectorELNS0_4arch9wavefront6targetE0EEEvT1_
	.globl	_ZN7rocprim17ROCPRIM_400000_NS6detail17trampoline_kernelINS0_14default_configENS1_25partition_config_selectorILNS1_17partition_subalgoE5EsNS0_10empty_typeEbEEZZNS1_14partition_implILS5_5ELb0ES3_mN6thrust23THRUST_200600_302600_NS6detail15normal_iteratorINSA_10device_ptrIsEEEEPS6_NSA_18transform_iteratorINSB_9not_fun_tI7is_trueIsEEENSC_INSD_IbEEEENSA_11use_defaultESO_EENS0_5tupleIJNSA_16discard_iteratorISO_EES6_EEENSQ_IJSG_SG_EEES6_PlJS6_EEE10hipError_tPvRmT3_T4_T5_T6_T7_T9_mT8_P12ihipStream_tbDpT10_ENKUlT_T0_E_clISt17integral_constantIbLb0EES1F_EEDaS1A_S1B_EUlS1A_E_NS1_11comp_targetILNS1_3genE9ELNS1_11target_archE1100ELNS1_3gpuE3ELNS1_3repE0EEENS1_30default_config_static_selectorELNS0_4arch9wavefront6targetE0EEEvT1_
	.p2align	8
	.type	_ZN7rocprim17ROCPRIM_400000_NS6detail17trampoline_kernelINS0_14default_configENS1_25partition_config_selectorILNS1_17partition_subalgoE5EsNS0_10empty_typeEbEEZZNS1_14partition_implILS5_5ELb0ES3_mN6thrust23THRUST_200600_302600_NS6detail15normal_iteratorINSA_10device_ptrIsEEEEPS6_NSA_18transform_iteratorINSB_9not_fun_tI7is_trueIsEEENSC_INSD_IbEEEENSA_11use_defaultESO_EENS0_5tupleIJNSA_16discard_iteratorISO_EES6_EEENSQ_IJSG_SG_EEES6_PlJS6_EEE10hipError_tPvRmT3_T4_T5_T6_T7_T9_mT8_P12ihipStream_tbDpT10_ENKUlT_T0_E_clISt17integral_constantIbLb0EES1F_EEDaS1A_S1B_EUlS1A_E_NS1_11comp_targetILNS1_3genE9ELNS1_11target_archE1100ELNS1_3gpuE3ELNS1_3repE0EEENS1_30default_config_static_selectorELNS0_4arch9wavefront6targetE0EEEvT1_,@function
_ZN7rocprim17ROCPRIM_400000_NS6detail17trampoline_kernelINS0_14default_configENS1_25partition_config_selectorILNS1_17partition_subalgoE5EsNS0_10empty_typeEbEEZZNS1_14partition_implILS5_5ELb0ES3_mN6thrust23THRUST_200600_302600_NS6detail15normal_iteratorINSA_10device_ptrIsEEEEPS6_NSA_18transform_iteratorINSB_9not_fun_tI7is_trueIsEEENSC_INSD_IbEEEENSA_11use_defaultESO_EENS0_5tupleIJNSA_16discard_iteratorISO_EES6_EEENSQ_IJSG_SG_EEES6_PlJS6_EEE10hipError_tPvRmT3_T4_T5_T6_T7_T9_mT8_P12ihipStream_tbDpT10_ENKUlT_T0_E_clISt17integral_constantIbLb0EES1F_EEDaS1A_S1B_EUlS1A_E_NS1_11comp_targetILNS1_3genE9ELNS1_11target_archE1100ELNS1_3gpuE3ELNS1_3repE0EEENS1_30default_config_static_selectorELNS0_4arch9wavefront6targetE0EEEvT1_: ; @_ZN7rocprim17ROCPRIM_400000_NS6detail17trampoline_kernelINS0_14default_configENS1_25partition_config_selectorILNS1_17partition_subalgoE5EsNS0_10empty_typeEbEEZZNS1_14partition_implILS5_5ELb0ES3_mN6thrust23THRUST_200600_302600_NS6detail15normal_iteratorINSA_10device_ptrIsEEEEPS6_NSA_18transform_iteratorINSB_9not_fun_tI7is_trueIsEEENSC_INSD_IbEEEENSA_11use_defaultESO_EENS0_5tupleIJNSA_16discard_iteratorISO_EES6_EEENSQ_IJSG_SG_EEES6_PlJS6_EEE10hipError_tPvRmT3_T4_T5_T6_T7_T9_mT8_P12ihipStream_tbDpT10_ENKUlT_T0_E_clISt17integral_constantIbLb0EES1F_EEDaS1A_S1B_EUlS1A_E_NS1_11comp_targetILNS1_3genE9ELNS1_11target_archE1100ELNS1_3gpuE3ELNS1_3repE0EEENS1_30default_config_static_selectorELNS0_4arch9wavefront6targetE0EEEvT1_
; %bb.0:
	.section	.rodata,"a",@progbits
	.p2align	6, 0x0
	.amdhsa_kernel _ZN7rocprim17ROCPRIM_400000_NS6detail17trampoline_kernelINS0_14default_configENS1_25partition_config_selectorILNS1_17partition_subalgoE5EsNS0_10empty_typeEbEEZZNS1_14partition_implILS5_5ELb0ES3_mN6thrust23THRUST_200600_302600_NS6detail15normal_iteratorINSA_10device_ptrIsEEEEPS6_NSA_18transform_iteratorINSB_9not_fun_tI7is_trueIsEEENSC_INSD_IbEEEENSA_11use_defaultESO_EENS0_5tupleIJNSA_16discard_iteratorISO_EES6_EEENSQ_IJSG_SG_EEES6_PlJS6_EEE10hipError_tPvRmT3_T4_T5_T6_T7_T9_mT8_P12ihipStream_tbDpT10_ENKUlT_T0_E_clISt17integral_constantIbLb0EES1F_EEDaS1A_S1B_EUlS1A_E_NS1_11comp_targetILNS1_3genE9ELNS1_11target_archE1100ELNS1_3gpuE3ELNS1_3repE0EEENS1_30default_config_static_selectorELNS0_4arch9wavefront6targetE0EEEvT1_
		.amdhsa_group_segment_fixed_size 0
		.amdhsa_private_segment_fixed_size 0
		.amdhsa_kernarg_size 128
		.amdhsa_user_sgpr_count 2
		.amdhsa_user_sgpr_dispatch_ptr 0
		.amdhsa_user_sgpr_queue_ptr 0
		.amdhsa_user_sgpr_kernarg_segment_ptr 1
		.amdhsa_user_sgpr_dispatch_id 0
		.amdhsa_user_sgpr_private_segment_size 0
		.amdhsa_wavefront_size32 1
		.amdhsa_uses_dynamic_stack 0
		.amdhsa_enable_private_segment 0
		.amdhsa_system_sgpr_workgroup_id_x 1
		.amdhsa_system_sgpr_workgroup_id_y 0
		.amdhsa_system_sgpr_workgroup_id_z 0
		.amdhsa_system_sgpr_workgroup_info 0
		.amdhsa_system_vgpr_workitem_id 0
		.amdhsa_next_free_vgpr 1
		.amdhsa_next_free_sgpr 1
		.amdhsa_reserve_vcc 0
		.amdhsa_float_round_mode_32 0
		.amdhsa_float_round_mode_16_64 0
		.amdhsa_float_denorm_mode_32 3
		.amdhsa_float_denorm_mode_16_64 3
		.amdhsa_fp16_overflow 0
		.amdhsa_workgroup_processor_mode 1
		.amdhsa_memory_ordered 1
		.amdhsa_forward_progress 1
		.amdhsa_inst_pref_size 0
		.amdhsa_round_robin_scheduling 0
		.amdhsa_exception_fp_ieee_invalid_op 0
		.amdhsa_exception_fp_denorm_src 0
		.amdhsa_exception_fp_ieee_div_zero 0
		.amdhsa_exception_fp_ieee_overflow 0
		.amdhsa_exception_fp_ieee_underflow 0
		.amdhsa_exception_fp_ieee_inexact 0
		.amdhsa_exception_int_div_zero 0
	.end_amdhsa_kernel
	.section	.text._ZN7rocprim17ROCPRIM_400000_NS6detail17trampoline_kernelINS0_14default_configENS1_25partition_config_selectorILNS1_17partition_subalgoE5EsNS0_10empty_typeEbEEZZNS1_14partition_implILS5_5ELb0ES3_mN6thrust23THRUST_200600_302600_NS6detail15normal_iteratorINSA_10device_ptrIsEEEEPS6_NSA_18transform_iteratorINSB_9not_fun_tI7is_trueIsEEENSC_INSD_IbEEEENSA_11use_defaultESO_EENS0_5tupleIJNSA_16discard_iteratorISO_EES6_EEENSQ_IJSG_SG_EEES6_PlJS6_EEE10hipError_tPvRmT3_T4_T5_T6_T7_T9_mT8_P12ihipStream_tbDpT10_ENKUlT_T0_E_clISt17integral_constantIbLb0EES1F_EEDaS1A_S1B_EUlS1A_E_NS1_11comp_targetILNS1_3genE9ELNS1_11target_archE1100ELNS1_3gpuE3ELNS1_3repE0EEENS1_30default_config_static_selectorELNS0_4arch9wavefront6targetE0EEEvT1_,"axG",@progbits,_ZN7rocprim17ROCPRIM_400000_NS6detail17trampoline_kernelINS0_14default_configENS1_25partition_config_selectorILNS1_17partition_subalgoE5EsNS0_10empty_typeEbEEZZNS1_14partition_implILS5_5ELb0ES3_mN6thrust23THRUST_200600_302600_NS6detail15normal_iteratorINSA_10device_ptrIsEEEEPS6_NSA_18transform_iteratorINSB_9not_fun_tI7is_trueIsEEENSC_INSD_IbEEEENSA_11use_defaultESO_EENS0_5tupleIJNSA_16discard_iteratorISO_EES6_EEENSQ_IJSG_SG_EEES6_PlJS6_EEE10hipError_tPvRmT3_T4_T5_T6_T7_T9_mT8_P12ihipStream_tbDpT10_ENKUlT_T0_E_clISt17integral_constantIbLb0EES1F_EEDaS1A_S1B_EUlS1A_E_NS1_11comp_targetILNS1_3genE9ELNS1_11target_archE1100ELNS1_3gpuE3ELNS1_3repE0EEENS1_30default_config_static_selectorELNS0_4arch9wavefront6targetE0EEEvT1_,comdat
.Lfunc_end2819:
	.size	_ZN7rocprim17ROCPRIM_400000_NS6detail17trampoline_kernelINS0_14default_configENS1_25partition_config_selectorILNS1_17partition_subalgoE5EsNS0_10empty_typeEbEEZZNS1_14partition_implILS5_5ELb0ES3_mN6thrust23THRUST_200600_302600_NS6detail15normal_iteratorINSA_10device_ptrIsEEEEPS6_NSA_18transform_iteratorINSB_9not_fun_tI7is_trueIsEEENSC_INSD_IbEEEENSA_11use_defaultESO_EENS0_5tupleIJNSA_16discard_iteratorISO_EES6_EEENSQ_IJSG_SG_EEES6_PlJS6_EEE10hipError_tPvRmT3_T4_T5_T6_T7_T9_mT8_P12ihipStream_tbDpT10_ENKUlT_T0_E_clISt17integral_constantIbLb0EES1F_EEDaS1A_S1B_EUlS1A_E_NS1_11comp_targetILNS1_3genE9ELNS1_11target_archE1100ELNS1_3gpuE3ELNS1_3repE0EEENS1_30default_config_static_selectorELNS0_4arch9wavefront6targetE0EEEvT1_, .Lfunc_end2819-_ZN7rocprim17ROCPRIM_400000_NS6detail17trampoline_kernelINS0_14default_configENS1_25partition_config_selectorILNS1_17partition_subalgoE5EsNS0_10empty_typeEbEEZZNS1_14partition_implILS5_5ELb0ES3_mN6thrust23THRUST_200600_302600_NS6detail15normal_iteratorINSA_10device_ptrIsEEEEPS6_NSA_18transform_iteratorINSB_9not_fun_tI7is_trueIsEEENSC_INSD_IbEEEENSA_11use_defaultESO_EENS0_5tupleIJNSA_16discard_iteratorISO_EES6_EEENSQ_IJSG_SG_EEES6_PlJS6_EEE10hipError_tPvRmT3_T4_T5_T6_T7_T9_mT8_P12ihipStream_tbDpT10_ENKUlT_T0_E_clISt17integral_constantIbLb0EES1F_EEDaS1A_S1B_EUlS1A_E_NS1_11comp_targetILNS1_3genE9ELNS1_11target_archE1100ELNS1_3gpuE3ELNS1_3repE0EEENS1_30default_config_static_selectorELNS0_4arch9wavefront6targetE0EEEvT1_
                                        ; -- End function
	.set _ZN7rocprim17ROCPRIM_400000_NS6detail17trampoline_kernelINS0_14default_configENS1_25partition_config_selectorILNS1_17partition_subalgoE5EsNS0_10empty_typeEbEEZZNS1_14partition_implILS5_5ELb0ES3_mN6thrust23THRUST_200600_302600_NS6detail15normal_iteratorINSA_10device_ptrIsEEEEPS6_NSA_18transform_iteratorINSB_9not_fun_tI7is_trueIsEEENSC_INSD_IbEEEENSA_11use_defaultESO_EENS0_5tupleIJNSA_16discard_iteratorISO_EES6_EEENSQ_IJSG_SG_EEES6_PlJS6_EEE10hipError_tPvRmT3_T4_T5_T6_T7_T9_mT8_P12ihipStream_tbDpT10_ENKUlT_T0_E_clISt17integral_constantIbLb0EES1F_EEDaS1A_S1B_EUlS1A_E_NS1_11comp_targetILNS1_3genE9ELNS1_11target_archE1100ELNS1_3gpuE3ELNS1_3repE0EEENS1_30default_config_static_selectorELNS0_4arch9wavefront6targetE0EEEvT1_.num_vgpr, 0
	.set _ZN7rocprim17ROCPRIM_400000_NS6detail17trampoline_kernelINS0_14default_configENS1_25partition_config_selectorILNS1_17partition_subalgoE5EsNS0_10empty_typeEbEEZZNS1_14partition_implILS5_5ELb0ES3_mN6thrust23THRUST_200600_302600_NS6detail15normal_iteratorINSA_10device_ptrIsEEEEPS6_NSA_18transform_iteratorINSB_9not_fun_tI7is_trueIsEEENSC_INSD_IbEEEENSA_11use_defaultESO_EENS0_5tupleIJNSA_16discard_iteratorISO_EES6_EEENSQ_IJSG_SG_EEES6_PlJS6_EEE10hipError_tPvRmT3_T4_T5_T6_T7_T9_mT8_P12ihipStream_tbDpT10_ENKUlT_T0_E_clISt17integral_constantIbLb0EES1F_EEDaS1A_S1B_EUlS1A_E_NS1_11comp_targetILNS1_3genE9ELNS1_11target_archE1100ELNS1_3gpuE3ELNS1_3repE0EEENS1_30default_config_static_selectorELNS0_4arch9wavefront6targetE0EEEvT1_.num_agpr, 0
	.set _ZN7rocprim17ROCPRIM_400000_NS6detail17trampoline_kernelINS0_14default_configENS1_25partition_config_selectorILNS1_17partition_subalgoE5EsNS0_10empty_typeEbEEZZNS1_14partition_implILS5_5ELb0ES3_mN6thrust23THRUST_200600_302600_NS6detail15normal_iteratorINSA_10device_ptrIsEEEEPS6_NSA_18transform_iteratorINSB_9not_fun_tI7is_trueIsEEENSC_INSD_IbEEEENSA_11use_defaultESO_EENS0_5tupleIJNSA_16discard_iteratorISO_EES6_EEENSQ_IJSG_SG_EEES6_PlJS6_EEE10hipError_tPvRmT3_T4_T5_T6_T7_T9_mT8_P12ihipStream_tbDpT10_ENKUlT_T0_E_clISt17integral_constantIbLb0EES1F_EEDaS1A_S1B_EUlS1A_E_NS1_11comp_targetILNS1_3genE9ELNS1_11target_archE1100ELNS1_3gpuE3ELNS1_3repE0EEENS1_30default_config_static_selectorELNS0_4arch9wavefront6targetE0EEEvT1_.numbered_sgpr, 0
	.set _ZN7rocprim17ROCPRIM_400000_NS6detail17trampoline_kernelINS0_14default_configENS1_25partition_config_selectorILNS1_17partition_subalgoE5EsNS0_10empty_typeEbEEZZNS1_14partition_implILS5_5ELb0ES3_mN6thrust23THRUST_200600_302600_NS6detail15normal_iteratorINSA_10device_ptrIsEEEEPS6_NSA_18transform_iteratorINSB_9not_fun_tI7is_trueIsEEENSC_INSD_IbEEEENSA_11use_defaultESO_EENS0_5tupleIJNSA_16discard_iteratorISO_EES6_EEENSQ_IJSG_SG_EEES6_PlJS6_EEE10hipError_tPvRmT3_T4_T5_T6_T7_T9_mT8_P12ihipStream_tbDpT10_ENKUlT_T0_E_clISt17integral_constantIbLb0EES1F_EEDaS1A_S1B_EUlS1A_E_NS1_11comp_targetILNS1_3genE9ELNS1_11target_archE1100ELNS1_3gpuE3ELNS1_3repE0EEENS1_30default_config_static_selectorELNS0_4arch9wavefront6targetE0EEEvT1_.num_named_barrier, 0
	.set _ZN7rocprim17ROCPRIM_400000_NS6detail17trampoline_kernelINS0_14default_configENS1_25partition_config_selectorILNS1_17partition_subalgoE5EsNS0_10empty_typeEbEEZZNS1_14partition_implILS5_5ELb0ES3_mN6thrust23THRUST_200600_302600_NS6detail15normal_iteratorINSA_10device_ptrIsEEEEPS6_NSA_18transform_iteratorINSB_9not_fun_tI7is_trueIsEEENSC_INSD_IbEEEENSA_11use_defaultESO_EENS0_5tupleIJNSA_16discard_iteratorISO_EES6_EEENSQ_IJSG_SG_EEES6_PlJS6_EEE10hipError_tPvRmT3_T4_T5_T6_T7_T9_mT8_P12ihipStream_tbDpT10_ENKUlT_T0_E_clISt17integral_constantIbLb0EES1F_EEDaS1A_S1B_EUlS1A_E_NS1_11comp_targetILNS1_3genE9ELNS1_11target_archE1100ELNS1_3gpuE3ELNS1_3repE0EEENS1_30default_config_static_selectorELNS0_4arch9wavefront6targetE0EEEvT1_.private_seg_size, 0
	.set _ZN7rocprim17ROCPRIM_400000_NS6detail17trampoline_kernelINS0_14default_configENS1_25partition_config_selectorILNS1_17partition_subalgoE5EsNS0_10empty_typeEbEEZZNS1_14partition_implILS5_5ELb0ES3_mN6thrust23THRUST_200600_302600_NS6detail15normal_iteratorINSA_10device_ptrIsEEEEPS6_NSA_18transform_iteratorINSB_9not_fun_tI7is_trueIsEEENSC_INSD_IbEEEENSA_11use_defaultESO_EENS0_5tupleIJNSA_16discard_iteratorISO_EES6_EEENSQ_IJSG_SG_EEES6_PlJS6_EEE10hipError_tPvRmT3_T4_T5_T6_T7_T9_mT8_P12ihipStream_tbDpT10_ENKUlT_T0_E_clISt17integral_constantIbLb0EES1F_EEDaS1A_S1B_EUlS1A_E_NS1_11comp_targetILNS1_3genE9ELNS1_11target_archE1100ELNS1_3gpuE3ELNS1_3repE0EEENS1_30default_config_static_selectorELNS0_4arch9wavefront6targetE0EEEvT1_.uses_vcc, 0
	.set _ZN7rocprim17ROCPRIM_400000_NS6detail17trampoline_kernelINS0_14default_configENS1_25partition_config_selectorILNS1_17partition_subalgoE5EsNS0_10empty_typeEbEEZZNS1_14partition_implILS5_5ELb0ES3_mN6thrust23THRUST_200600_302600_NS6detail15normal_iteratorINSA_10device_ptrIsEEEEPS6_NSA_18transform_iteratorINSB_9not_fun_tI7is_trueIsEEENSC_INSD_IbEEEENSA_11use_defaultESO_EENS0_5tupleIJNSA_16discard_iteratorISO_EES6_EEENSQ_IJSG_SG_EEES6_PlJS6_EEE10hipError_tPvRmT3_T4_T5_T6_T7_T9_mT8_P12ihipStream_tbDpT10_ENKUlT_T0_E_clISt17integral_constantIbLb0EES1F_EEDaS1A_S1B_EUlS1A_E_NS1_11comp_targetILNS1_3genE9ELNS1_11target_archE1100ELNS1_3gpuE3ELNS1_3repE0EEENS1_30default_config_static_selectorELNS0_4arch9wavefront6targetE0EEEvT1_.uses_flat_scratch, 0
	.set _ZN7rocprim17ROCPRIM_400000_NS6detail17trampoline_kernelINS0_14default_configENS1_25partition_config_selectorILNS1_17partition_subalgoE5EsNS0_10empty_typeEbEEZZNS1_14partition_implILS5_5ELb0ES3_mN6thrust23THRUST_200600_302600_NS6detail15normal_iteratorINSA_10device_ptrIsEEEEPS6_NSA_18transform_iteratorINSB_9not_fun_tI7is_trueIsEEENSC_INSD_IbEEEENSA_11use_defaultESO_EENS0_5tupleIJNSA_16discard_iteratorISO_EES6_EEENSQ_IJSG_SG_EEES6_PlJS6_EEE10hipError_tPvRmT3_T4_T5_T6_T7_T9_mT8_P12ihipStream_tbDpT10_ENKUlT_T0_E_clISt17integral_constantIbLb0EES1F_EEDaS1A_S1B_EUlS1A_E_NS1_11comp_targetILNS1_3genE9ELNS1_11target_archE1100ELNS1_3gpuE3ELNS1_3repE0EEENS1_30default_config_static_selectorELNS0_4arch9wavefront6targetE0EEEvT1_.has_dyn_sized_stack, 0
	.set _ZN7rocprim17ROCPRIM_400000_NS6detail17trampoline_kernelINS0_14default_configENS1_25partition_config_selectorILNS1_17partition_subalgoE5EsNS0_10empty_typeEbEEZZNS1_14partition_implILS5_5ELb0ES3_mN6thrust23THRUST_200600_302600_NS6detail15normal_iteratorINSA_10device_ptrIsEEEEPS6_NSA_18transform_iteratorINSB_9not_fun_tI7is_trueIsEEENSC_INSD_IbEEEENSA_11use_defaultESO_EENS0_5tupleIJNSA_16discard_iteratorISO_EES6_EEENSQ_IJSG_SG_EEES6_PlJS6_EEE10hipError_tPvRmT3_T4_T5_T6_T7_T9_mT8_P12ihipStream_tbDpT10_ENKUlT_T0_E_clISt17integral_constantIbLb0EES1F_EEDaS1A_S1B_EUlS1A_E_NS1_11comp_targetILNS1_3genE9ELNS1_11target_archE1100ELNS1_3gpuE3ELNS1_3repE0EEENS1_30default_config_static_selectorELNS0_4arch9wavefront6targetE0EEEvT1_.has_recursion, 0
	.set _ZN7rocprim17ROCPRIM_400000_NS6detail17trampoline_kernelINS0_14default_configENS1_25partition_config_selectorILNS1_17partition_subalgoE5EsNS0_10empty_typeEbEEZZNS1_14partition_implILS5_5ELb0ES3_mN6thrust23THRUST_200600_302600_NS6detail15normal_iteratorINSA_10device_ptrIsEEEEPS6_NSA_18transform_iteratorINSB_9not_fun_tI7is_trueIsEEENSC_INSD_IbEEEENSA_11use_defaultESO_EENS0_5tupleIJNSA_16discard_iteratorISO_EES6_EEENSQ_IJSG_SG_EEES6_PlJS6_EEE10hipError_tPvRmT3_T4_T5_T6_T7_T9_mT8_P12ihipStream_tbDpT10_ENKUlT_T0_E_clISt17integral_constantIbLb0EES1F_EEDaS1A_S1B_EUlS1A_E_NS1_11comp_targetILNS1_3genE9ELNS1_11target_archE1100ELNS1_3gpuE3ELNS1_3repE0EEENS1_30default_config_static_selectorELNS0_4arch9wavefront6targetE0EEEvT1_.has_indirect_call, 0
	.section	.AMDGPU.csdata,"",@progbits
; Kernel info:
; codeLenInByte = 0
; TotalNumSgprs: 0
; NumVgprs: 0
; ScratchSize: 0
; MemoryBound: 0
; FloatMode: 240
; IeeeMode: 1
; LDSByteSize: 0 bytes/workgroup (compile time only)
; SGPRBlocks: 0
; VGPRBlocks: 0
; NumSGPRsForWavesPerEU: 1
; NumVGPRsForWavesPerEU: 1
; Occupancy: 16
; WaveLimiterHint : 0
; COMPUTE_PGM_RSRC2:SCRATCH_EN: 0
; COMPUTE_PGM_RSRC2:USER_SGPR: 2
; COMPUTE_PGM_RSRC2:TRAP_HANDLER: 0
; COMPUTE_PGM_RSRC2:TGID_X_EN: 1
; COMPUTE_PGM_RSRC2:TGID_Y_EN: 0
; COMPUTE_PGM_RSRC2:TGID_Z_EN: 0
; COMPUTE_PGM_RSRC2:TIDIG_COMP_CNT: 0
	.section	.text._ZN7rocprim17ROCPRIM_400000_NS6detail17trampoline_kernelINS0_14default_configENS1_25partition_config_selectorILNS1_17partition_subalgoE5EsNS0_10empty_typeEbEEZZNS1_14partition_implILS5_5ELb0ES3_mN6thrust23THRUST_200600_302600_NS6detail15normal_iteratorINSA_10device_ptrIsEEEEPS6_NSA_18transform_iteratorINSB_9not_fun_tI7is_trueIsEEENSC_INSD_IbEEEENSA_11use_defaultESO_EENS0_5tupleIJNSA_16discard_iteratorISO_EES6_EEENSQ_IJSG_SG_EEES6_PlJS6_EEE10hipError_tPvRmT3_T4_T5_T6_T7_T9_mT8_P12ihipStream_tbDpT10_ENKUlT_T0_E_clISt17integral_constantIbLb0EES1F_EEDaS1A_S1B_EUlS1A_E_NS1_11comp_targetILNS1_3genE8ELNS1_11target_archE1030ELNS1_3gpuE2ELNS1_3repE0EEENS1_30default_config_static_selectorELNS0_4arch9wavefront6targetE0EEEvT1_,"axG",@progbits,_ZN7rocprim17ROCPRIM_400000_NS6detail17trampoline_kernelINS0_14default_configENS1_25partition_config_selectorILNS1_17partition_subalgoE5EsNS0_10empty_typeEbEEZZNS1_14partition_implILS5_5ELb0ES3_mN6thrust23THRUST_200600_302600_NS6detail15normal_iteratorINSA_10device_ptrIsEEEEPS6_NSA_18transform_iteratorINSB_9not_fun_tI7is_trueIsEEENSC_INSD_IbEEEENSA_11use_defaultESO_EENS0_5tupleIJNSA_16discard_iteratorISO_EES6_EEENSQ_IJSG_SG_EEES6_PlJS6_EEE10hipError_tPvRmT3_T4_T5_T6_T7_T9_mT8_P12ihipStream_tbDpT10_ENKUlT_T0_E_clISt17integral_constantIbLb0EES1F_EEDaS1A_S1B_EUlS1A_E_NS1_11comp_targetILNS1_3genE8ELNS1_11target_archE1030ELNS1_3gpuE2ELNS1_3repE0EEENS1_30default_config_static_selectorELNS0_4arch9wavefront6targetE0EEEvT1_,comdat
	.protected	_ZN7rocprim17ROCPRIM_400000_NS6detail17trampoline_kernelINS0_14default_configENS1_25partition_config_selectorILNS1_17partition_subalgoE5EsNS0_10empty_typeEbEEZZNS1_14partition_implILS5_5ELb0ES3_mN6thrust23THRUST_200600_302600_NS6detail15normal_iteratorINSA_10device_ptrIsEEEEPS6_NSA_18transform_iteratorINSB_9not_fun_tI7is_trueIsEEENSC_INSD_IbEEEENSA_11use_defaultESO_EENS0_5tupleIJNSA_16discard_iteratorISO_EES6_EEENSQ_IJSG_SG_EEES6_PlJS6_EEE10hipError_tPvRmT3_T4_T5_T6_T7_T9_mT8_P12ihipStream_tbDpT10_ENKUlT_T0_E_clISt17integral_constantIbLb0EES1F_EEDaS1A_S1B_EUlS1A_E_NS1_11comp_targetILNS1_3genE8ELNS1_11target_archE1030ELNS1_3gpuE2ELNS1_3repE0EEENS1_30default_config_static_selectorELNS0_4arch9wavefront6targetE0EEEvT1_ ; -- Begin function _ZN7rocprim17ROCPRIM_400000_NS6detail17trampoline_kernelINS0_14default_configENS1_25partition_config_selectorILNS1_17partition_subalgoE5EsNS0_10empty_typeEbEEZZNS1_14partition_implILS5_5ELb0ES3_mN6thrust23THRUST_200600_302600_NS6detail15normal_iteratorINSA_10device_ptrIsEEEEPS6_NSA_18transform_iteratorINSB_9not_fun_tI7is_trueIsEEENSC_INSD_IbEEEENSA_11use_defaultESO_EENS0_5tupleIJNSA_16discard_iteratorISO_EES6_EEENSQ_IJSG_SG_EEES6_PlJS6_EEE10hipError_tPvRmT3_T4_T5_T6_T7_T9_mT8_P12ihipStream_tbDpT10_ENKUlT_T0_E_clISt17integral_constantIbLb0EES1F_EEDaS1A_S1B_EUlS1A_E_NS1_11comp_targetILNS1_3genE8ELNS1_11target_archE1030ELNS1_3gpuE2ELNS1_3repE0EEENS1_30default_config_static_selectorELNS0_4arch9wavefront6targetE0EEEvT1_
	.globl	_ZN7rocprim17ROCPRIM_400000_NS6detail17trampoline_kernelINS0_14default_configENS1_25partition_config_selectorILNS1_17partition_subalgoE5EsNS0_10empty_typeEbEEZZNS1_14partition_implILS5_5ELb0ES3_mN6thrust23THRUST_200600_302600_NS6detail15normal_iteratorINSA_10device_ptrIsEEEEPS6_NSA_18transform_iteratorINSB_9not_fun_tI7is_trueIsEEENSC_INSD_IbEEEENSA_11use_defaultESO_EENS0_5tupleIJNSA_16discard_iteratorISO_EES6_EEENSQ_IJSG_SG_EEES6_PlJS6_EEE10hipError_tPvRmT3_T4_T5_T6_T7_T9_mT8_P12ihipStream_tbDpT10_ENKUlT_T0_E_clISt17integral_constantIbLb0EES1F_EEDaS1A_S1B_EUlS1A_E_NS1_11comp_targetILNS1_3genE8ELNS1_11target_archE1030ELNS1_3gpuE2ELNS1_3repE0EEENS1_30default_config_static_selectorELNS0_4arch9wavefront6targetE0EEEvT1_
	.p2align	8
	.type	_ZN7rocprim17ROCPRIM_400000_NS6detail17trampoline_kernelINS0_14default_configENS1_25partition_config_selectorILNS1_17partition_subalgoE5EsNS0_10empty_typeEbEEZZNS1_14partition_implILS5_5ELb0ES3_mN6thrust23THRUST_200600_302600_NS6detail15normal_iteratorINSA_10device_ptrIsEEEEPS6_NSA_18transform_iteratorINSB_9not_fun_tI7is_trueIsEEENSC_INSD_IbEEEENSA_11use_defaultESO_EENS0_5tupleIJNSA_16discard_iteratorISO_EES6_EEENSQ_IJSG_SG_EEES6_PlJS6_EEE10hipError_tPvRmT3_T4_T5_T6_T7_T9_mT8_P12ihipStream_tbDpT10_ENKUlT_T0_E_clISt17integral_constantIbLb0EES1F_EEDaS1A_S1B_EUlS1A_E_NS1_11comp_targetILNS1_3genE8ELNS1_11target_archE1030ELNS1_3gpuE2ELNS1_3repE0EEENS1_30default_config_static_selectorELNS0_4arch9wavefront6targetE0EEEvT1_,@function
_ZN7rocprim17ROCPRIM_400000_NS6detail17trampoline_kernelINS0_14default_configENS1_25partition_config_selectorILNS1_17partition_subalgoE5EsNS0_10empty_typeEbEEZZNS1_14partition_implILS5_5ELb0ES3_mN6thrust23THRUST_200600_302600_NS6detail15normal_iteratorINSA_10device_ptrIsEEEEPS6_NSA_18transform_iteratorINSB_9not_fun_tI7is_trueIsEEENSC_INSD_IbEEEENSA_11use_defaultESO_EENS0_5tupleIJNSA_16discard_iteratorISO_EES6_EEENSQ_IJSG_SG_EEES6_PlJS6_EEE10hipError_tPvRmT3_T4_T5_T6_T7_T9_mT8_P12ihipStream_tbDpT10_ENKUlT_T0_E_clISt17integral_constantIbLb0EES1F_EEDaS1A_S1B_EUlS1A_E_NS1_11comp_targetILNS1_3genE8ELNS1_11target_archE1030ELNS1_3gpuE2ELNS1_3repE0EEENS1_30default_config_static_selectorELNS0_4arch9wavefront6targetE0EEEvT1_: ; @_ZN7rocprim17ROCPRIM_400000_NS6detail17trampoline_kernelINS0_14default_configENS1_25partition_config_selectorILNS1_17partition_subalgoE5EsNS0_10empty_typeEbEEZZNS1_14partition_implILS5_5ELb0ES3_mN6thrust23THRUST_200600_302600_NS6detail15normal_iteratorINSA_10device_ptrIsEEEEPS6_NSA_18transform_iteratorINSB_9not_fun_tI7is_trueIsEEENSC_INSD_IbEEEENSA_11use_defaultESO_EENS0_5tupleIJNSA_16discard_iteratorISO_EES6_EEENSQ_IJSG_SG_EEES6_PlJS6_EEE10hipError_tPvRmT3_T4_T5_T6_T7_T9_mT8_P12ihipStream_tbDpT10_ENKUlT_T0_E_clISt17integral_constantIbLb0EES1F_EEDaS1A_S1B_EUlS1A_E_NS1_11comp_targetILNS1_3genE8ELNS1_11target_archE1030ELNS1_3gpuE2ELNS1_3repE0EEENS1_30default_config_static_selectorELNS0_4arch9wavefront6targetE0EEEvT1_
; %bb.0:
	.section	.rodata,"a",@progbits
	.p2align	6, 0x0
	.amdhsa_kernel _ZN7rocprim17ROCPRIM_400000_NS6detail17trampoline_kernelINS0_14default_configENS1_25partition_config_selectorILNS1_17partition_subalgoE5EsNS0_10empty_typeEbEEZZNS1_14partition_implILS5_5ELb0ES3_mN6thrust23THRUST_200600_302600_NS6detail15normal_iteratorINSA_10device_ptrIsEEEEPS6_NSA_18transform_iteratorINSB_9not_fun_tI7is_trueIsEEENSC_INSD_IbEEEENSA_11use_defaultESO_EENS0_5tupleIJNSA_16discard_iteratorISO_EES6_EEENSQ_IJSG_SG_EEES6_PlJS6_EEE10hipError_tPvRmT3_T4_T5_T6_T7_T9_mT8_P12ihipStream_tbDpT10_ENKUlT_T0_E_clISt17integral_constantIbLb0EES1F_EEDaS1A_S1B_EUlS1A_E_NS1_11comp_targetILNS1_3genE8ELNS1_11target_archE1030ELNS1_3gpuE2ELNS1_3repE0EEENS1_30default_config_static_selectorELNS0_4arch9wavefront6targetE0EEEvT1_
		.amdhsa_group_segment_fixed_size 0
		.amdhsa_private_segment_fixed_size 0
		.amdhsa_kernarg_size 128
		.amdhsa_user_sgpr_count 2
		.amdhsa_user_sgpr_dispatch_ptr 0
		.amdhsa_user_sgpr_queue_ptr 0
		.amdhsa_user_sgpr_kernarg_segment_ptr 1
		.amdhsa_user_sgpr_dispatch_id 0
		.amdhsa_user_sgpr_private_segment_size 0
		.amdhsa_wavefront_size32 1
		.amdhsa_uses_dynamic_stack 0
		.amdhsa_enable_private_segment 0
		.amdhsa_system_sgpr_workgroup_id_x 1
		.amdhsa_system_sgpr_workgroup_id_y 0
		.amdhsa_system_sgpr_workgroup_id_z 0
		.amdhsa_system_sgpr_workgroup_info 0
		.amdhsa_system_vgpr_workitem_id 0
		.amdhsa_next_free_vgpr 1
		.amdhsa_next_free_sgpr 1
		.amdhsa_reserve_vcc 0
		.amdhsa_float_round_mode_32 0
		.amdhsa_float_round_mode_16_64 0
		.amdhsa_float_denorm_mode_32 3
		.amdhsa_float_denorm_mode_16_64 3
		.amdhsa_fp16_overflow 0
		.amdhsa_workgroup_processor_mode 1
		.amdhsa_memory_ordered 1
		.amdhsa_forward_progress 1
		.amdhsa_inst_pref_size 0
		.amdhsa_round_robin_scheduling 0
		.amdhsa_exception_fp_ieee_invalid_op 0
		.amdhsa_exception_fp_denorm_src 0
		.amdhsa_exception_fp_ieee_div_zero 0
		.amdhsa_exception_fp_ieee_overflow 0
		.amdhsa_exception_fp_ieee_underflow 0
		.amdhsa_exception_fp_ieee_inexact 0
		.amdhsa_exception_int_div_zero 0
	.end_amdhsa_kernel
	.section	.text._ZN7rocprim17ROCPRIM_400000_NS6detail17trampoline_kernelINS0_14default_configENS1_25partition_config_selectorILNS1_17partition_subalgoE5EsNS0_10empty_typeEbEEZZNS1_14partition_implILS5_5ELb0ES3_mN6thrust23THRUST_200600_302600_NS6detail15normal_iteratorINSA_10device_ptrIsEEEEPS6_NSA_18transform_iteratorINSB_9not_fun_tI7is_trueIsEEENSC_INSD_IbEEEENSA_11use_defaultESO_EENS0_5tupleIJNSA_16discard_iteratorISO_EES6_EEENSQ_IJSG_SG_EEES6_PlJS6_EEE10hipError_tPvRmT3_T4_T5_T6_T7_T9_mT8_P12ihipStream_tbDpT10_ENKUlT_T0_E_clISt17integral_constantIbLb0EES1F_EEDaS1A_S1B_EUlS1A_E_NS1_11comp_targetILNS1_3genE8ELNS1_11target_archE1030ELNS1_3gpuE2ELNS1_3repE0EEENS1_30default_config_static_selectorELNS0_4arch9wavefront6targetE0EEEvT1_,"axG",@progbits,_ZN7rocprim17ROCPRIM_400000_NS6detail17trampoline_kernelINS0_14default_configENS1_25partition_config_selectorILNS1_17partition_subalgoE5EsNS0_10empty_typeEbEEZZNS1_14partition_implILS5_5ELb0ES3_mN6thrust23THRUST_200600_302600_NS6detail15normal_iteratorINSA_10device_ptrIsEEEEPS6_NSA_18transform_iteratorINSB_9not_fun_tI7is_trueIsEEENSC_INSD_IbEEEENSA_11use_defaultESO_EENS0_5tupleIJNSA_16discard_iteratorISO_EES6_EEENSQ_IJSG_SG_EEES6_PlJS6_EEE10hipError_tPvRmT3_T4_T5_T6_T7_T9_mT8_P12ihipStream_tbDpT10_ENKUlT_T0_E_clISt17integral_constantIbLb0EES1F_EEDaS1A_S1B_EUlS1A_E_NS1_11comp_targetILNS1_3genE8ELNS1_11target_archE1030ELNS1_3gpuE2ELNS1_3repE0EEENS1_30default_config_static_selectorELNS0_4arch9wavefront6targetE0EEEvT1_,comdat
.Lfunc_end2820:
	.size	_ZN7rocprim17ROCPRIM_400000_NS6detail17trampoline_kernelINS0_14default_configENS1_25partition_config_selectorILNS1_17partition_subalgoE5EsNS0_10empty_typeEbEEZZNS1_14partition_implILS5_5ELb0ES3_mN6thrust23THRUST_200600_302600_NS6detail15normal_iteratorINSA_10device_ptrIsEEEEPS6_NSA_18transform_iteratorINSB_9not_fun_tI7is_trueIsEEENSC_INSD_IbEEEENSA_11use_defaultESO_EENS0_5tupleIJNSA_16discard_iteratorISO_EES6_EEENSQ_IJSG_SG_EEES6_PlJS6_EEE10hipError_tPvRmT3_T4_T5_T6_T7_T9_mT8_P12ihipStream_tbDpT10_ENKUlT_T0_E_clISt17integral_constantIbLb0EES1F_EEDaS1A_S1B_EUlS1A_E_NS1_11comp_targetILNS1_3genE8ELNS1_11target_archE1030ELNS1_3gpuE2ELNS1_3repE0EEENS1_30default_config_static_selectorELNS0_4arch9wavefront6targetE0EEEvT1_, .Lfunc_end2820-_ZN7rocprim17ROCPRIM_400000_NS6detail17trampoline_kernelINS0_14default_configENS1_25partition_config_selectorILNS1_17partition_subalgoE5EsNS0_10empty_typeEbEEZZNS1_14partition_implILS5_5ELb0ES3_mN6thrust23THRUST_200600_302600_NS6detail15normal_iteratorINSA_10device_ptrIsEEEEPS6_NSA_18transform_iteratorINSB_9not_fun_tI7is_trueIsEEENSC_INSD_IbEEEENSA_11use_defaultESO_EENS0_5tupleIJNSA_16discard_iteratorISO_EES6_EEENSQ_IJSG_SG_EEES6_PlJS6_EEE10hipError_tPvRmT3_T4_T5_T6_T7_T9_mT8_P12ihipStream_tbDpT10_ENKUlT_T0_E_clISt17integral_constantIbLb0EES1F_EEDaS1A_S1B_EUlS1A_E_NS1_11comp_targetILNS1_3genE8ELNS1_11target_archE1030ELNS1_3gpuE2ELNS1_3repE0EEENS1_30default_config_static_selectorELNS0_4arch9wavefront6targetE0EEEvT1_
                                        ; -- End function
	.set _ZN7rocprim17ROCPRIM_400000_NS6detail17trampoline_kernelINS0_14default_configENS1_25partition_config_selectorILNS1_17partition_subalgoE5EsNS0_10empty_typeEbEEZZNS1_14partition_implILS5_5ELb0ES3_mN6thrust23THRUST_200600_302600_NS6detail15normal_iteratorINSA_10device_ptrIsEEEEPS6_NSA_18transform_iteratorINSB_9not_fun_tI7is_trueIsEEENSC_INSD_IbEEEENSA_11use_defaultESO_EENS0_5tupleIJNSA_16discard_iteratorISO_EES6_EEENSQ_IJSG_SG_EEES6_PlJS6_EEE10hipError_tPvRmT3_T4_T5_T6_T7_T9_mT8_P12ihipStream_tbDpT10_ENKUlT_T0_E_clISt17integral_constantIbLb0EES1F_EEDaS1A_S1B_EUlS1A_E_NS1_11comp_targetILNS1_3genE8ELNS1_11target_archE1030ELNS1_3gpuE2ELNS1_3repE0EEENS1_30default_config_static_selectorELNS0_4arch9wavefront6targetE0EEEvT1_.num_vgpr, 0
	.set _ZN7rocprim17ROCPRIM_400000_NS6detail17trampoline_kernelINS0_14default_configENS1_25partition_config_selectorILNS1_17partition_subalgoE5EsNS0_10empty_typeEbEEZZNS1_14partition_implILS5_5ELb0ES3_mN6thrust23THRUST_200600_302600_NS6detail15normal_iteratorINSA_10device_ptrIsEEEEPS6_NSA_18transform_iteratorINSB_9not_fun_tI7is_trueIsEEENSC_INSD_IbEEEENSA_11use_defaultESO_EENS0_5tupleIJNSA_16discard_iteratorISO_EES6_EEENSQ_IJSG_SG_EEES6_PlJS6_EEE10hipError_tPvRmT3_T4_T5_T6_T7_T9_mT8_P12ihipStream_tbDpT10_ENKUlT_T0_E_clISt17integral_constantIbLb0EES1F_EEDaS1A_S1B_EUlS1A_E_NS1_11comp_targetILNS1_3genE8ELNS1_11target_archE1030ELNS1_3gpuE2ELNS1_3repE0EEENS1_30default_config_static_selectorELNS0_4arch9wavefront6targetE0EEEvT1_.num_agpr, 0
	.set _ZN7rocprim17ROCPRIM_400000_NS6detail17trampoline_kernelINS0_14default_configENS1_25partition_config_selectorILNS1_17partition_subalgoE5EsNS0_10empty_typeEbEEZZNS1_14partition_implILS5_5ELb0ES3_mN6thrust23THRUST_200600_302600_NS6detail15normal_iteratorINSA_10device_ptrIsEEEEPS6_NSA_18transform_iteratorINSB_9not_fun_tI7is_trueIsEEENSC_INSD_IbEEEENSA_11use_defaultESO_EENS0_5tupleIJNSA_16discard_iteratorISO_EES6_EEENSQ_IJSG_SG_EEES6_PlJS6_EEE10hipError_tPvRmT3_T4_T5_T6_T7_T9_mT8_P12ihipStream_tbDpT10_ENKUlT_T0_E_clISt17integral_constantIbLb0EES1F_EEDaS1A_S1B_EUlS1A_E_NS1_11comp_targetILNS1_3genE8ELNS1_11target_archE1030ELNS1_3gpuE2ELNS1_3repE0EEENS1_30default_config_static_selectorELNS0_4arch9wavefront6targetE0EEEvT1_.numbered_sgpr, 0
	.set _ZN7rocprim17ROCPRIM_400000_NS6detail17trampoline_kernelINS0_14default_configENS1_25partition_config_selectorILNS1_17partition_subalgoE5EsNS0_10empty_typeEbEEZZNS1_14partition_implILS5_5ELb0ES3_mN6thrust23THRUST_200600_302600_NS6detail15normal_iteratorINSA_10device_ptrIsEEEEPS6_NSA_18transform_iteratorINSB_9not_fun_tI7is_trueIsEEENSC_INSD_IbEEEENSA_11use_defaultESO_EENS0_5tupleIJNSA_16discard_iteratorISO_EES6_EEENSQ_IJSG_SG_EEES6_PlJS6_EEE10hipError_tPvRmT3_T4_T5_T6_T7_T9_mT8_P12ihipStream_tbDpT10_ENKUlT_T0_E_clISt17integral_constantIbLb0EES1F_EEDaS1A_S1B_EUlS1A_E_NS1_11comp_targetILNS1_3genE8ELNS1_11target_archE1030ELNS1_3gpuE2ELNS1_3repE0EEENS1_30default_config_static_selectorELNS0_4arch9wavefront6targetE0EEEvT1_.num_named_barrier, 0
	.set _ZN7rocprim17ROCPRIM_400000_NS6detail17trampoline_kernelINS0_14default_configENS1_25partition_config_selectorILNS1_17partition_subalgoE5EsNS0_10empty_typeEbEEZZNS1_14partition_implILS5_5ELb0ES3_mN6thrust23THRUST_200600_302600_NS6detail15normal_iteratorINSA_10device_ptrIsEEEEPS6_NSA_18transform_iteratorINSB_9not_fun_tI7is_trueIsEEENSC_INSD_IbEEEENSA_11use_defaultESO_EENS0_5tupleIJNSA_16discard_iteratorISO_EES6_EEENSQ_IJSG_SG_EEES6_PlJS6_EEE10hipError_tPvRmT3_T4_T5_T6_T7_T9_mT8_P12ihipStream_tbDpT10_ENKUlT_T0_E_clISt17integral_constantIbLb0EES1F_EEDaS1A_S1B_EUlS1A_E_NS1_11comp_targetILNS1_3genE8ELNS1_11target_archE1030ELNS1_3gpuE2ELNS1_3repE0EEENS1_30default_config_static_selectorELNS0_4arch9wavefront6targetE0EEEvT1_.private_seg_size, 0
	.set _ZN7rocprim17ROCPRIM_400000_NS6detail17trampoline_kernelINS0_14default_configENS1_25partition_config_selectorILNS1_17partition_subalgoE5EsNS0_10empty_typeEbEEZZNS1_14partition_implILS5_5ELb0ES3_mN6thrust23THRUST_200600_302600_NS6detail15normal_iteratorINSA_10device_ptrIsEEEEPS6_NSA_18transform_iteratorINSB_9not_fun_tI7is_trueIsEEENSC_INSD_IbEEEENSA_11use_defaultESO_EENS0_5tupleIJNSA_16discard_iteratorISO_EES6_EEENSQ_IJSG_SG_EEES6_PlJS6_EEE10hipError_tPvRmT3_T4_T5_T6_T7_T9_mT8_P12ihipStream_tbDpT10_ENKUlT_T0_E_clISt17integral_constantIbLb0EES1F_EEDaS1A_S1B_EUlS1A_E_NS1_11comp_targetILNS1_3genE8ELNS1_11target_archE1030ELNS1_3gpuE2ELNS1_3repE0EEENS1_30default_config_static_selectorELNS0_4arch9wavefront6targetE0EEEvT1_.uses_vcc, 0
	.set _ZN7rocprim17ROCPRIM_400000_NS6detail17trampoline_kernelINS0_14default_configENS1_25partition_config_selectorILNS1_17partition_subalgoE5EsNS0_10empty_typeEbEEZZNS1_14partition_implILS5_5ELb0ES3_mN6thrust23THRUST_200600_302600_NS6detail15normal_iteratorINSA_10device_ptrIsEEEEPS6_NSA_18transform_iteratorINSB_9not_fun_tI7is_trueIsEEENSC_INSD_IbEEEENSA_11use_defaultESO_EENS0_5tupleIJNSA_16discard_iteratorISO_EES6_EEENSQ_IJSG_SG_EEES6_PlJS6_EEE10hipError_tPvRmT3_T4_T5_T6_T7_T9_mT8_P12ihipStream_tbDpT10_ENKUlT_T0_E_clISt17integral_constantIbLb0EES1F_EEDaS1A_S1B_EUlS1A_E_NS1_11comp_targetILNS1_3genE8ELNS1_11target_archE1030ELNS1_3gpuE2ELNS1_3repE0EEENS1_30default_config_static_selectorELNS0_4arch9wavefront6targetE0EEEvT1_.uses_flat_scratch, 0
	.set _ZN7rocprim17ROCPRIM_400000_NS6detail17trampoline_kernelINS0_14default_configENS1_25partition_config_selectorILNS1_17partition_subalgoE5EsNS0_10empty_typeEbEEZZNS1_14partition_implILS5_5ELb0ES3_mN6thrust23THRUST_200600_302600_NS6detail15normal_iteratorINSA_10device_ptrIsEEEEPS6_NSA_18transform_iteratorINSB_9not_fun_tI7is_trueIsEEENSC_INSD_IbEEEENSA_11use_defaultESO_EENS0_5tupleIJNSA_16discard_iteratorISO_EES6_EEENSQ_IJSG_SG_EEES6_PlJS6_EEE10hipError_tPvRmT3_T4_T5_T6_T7_T9_mT8_P12ihipStream_tbDpT10_ENKUlT_T0_E_clISt17integral_constantIbLb0EES1F_EEDaS1A_S1B_EUlS1A_E_NS1_11comp_targetILNS1_3genE8ELNS1_11target_archE1030ELNS1_3gpuE2ELNS1_3repE0EEENS1_30default_config_static_selectorELNS0_4arch9wavefront6targetE0EEEvT1_.has_dyn_sized_stack, 0
	.set _ZN7rocprim17ROCPRIM_400000_NS6detail17trampoline_kernelINS0_14default_configENS1_25partition_config_selectorILNS1_17partition_subalgoE5EsNS0_10empty_typeEbEEZZNS1_14partition_implILS5_5ELb0ES3_mN6thrust23THRUST_200600_302600_NS6detail15normal_iteratorINSA_10device_ptrIsEEEEPS6_NSA_18transform_iteratorINSB_9not_fun_tI7is_trueIsEEENSC_INSD_IbEEEENSA_11use_defaultESO_EENS0_5tupleIJNSA_16discard_iteratorISO_EES6_EEENSQ_IJSG_SG_EEES6_PlJS6_EEE10hipError_tPvRmT3_T4_T5_T6_T7_T9_mT8_P12ihipStream_tbDpT10_ENKUlT_T0_E_clISt17integral_constantIbLb0EES1F_EEDaS1A_S1B_EUlS1A_E_NS1_11comp_targetILNS1_3genE8ELNS1_11target_archE1030ELNS1_3gpuE2ELNS1_3repE0EEENS1_30default_config_static_selectorELNS0_4arch9wavefront6targetE0EEEvT1_.has_recursion, 0
	.set _ZN7rocprim17ROCPRIM_400000_NS6detail17trampoline_kernelINS0_14default_configENS1_25partition_config_selectorILNS1_17partition_subalgoE5EsNS0_10empty_typeEbEEZZNS1_14partition_implILS5_5ELb0ES3_mN6thrust23THRUST_200600_302600_NS6detail15normal_iteratorINSA_10device_ptrIsEEEEPS6_NSA_18transform_iteratorINSB_9not_fun_tI7is_trueIsEEENSC_INSD_IbEEEENSA_11use_defaultESO_EENS0_5tupleIJNSA_16discard_iteratorISO_EES6_EEENSQ_IJSG_SG_EEES6_PlJS6_EEE10hipError_tPvRmT3_T4_T5_T6_T7_T9_mT8_P12ihipStream_tbDpT10_ENKUlT_T0_E_clISt17integral_constantIbLb0EES1F_EEDaS1A_S1B_EUlS1A_E_NS1_11comp_targetILNS1_3genE8ELNS1_11target_archE1030ELNS1_3gpuE2ELNS1_3repE0EEENS1_30default_config_static_selectorELNS0_4arch9wavefront6targetE0EEEvT1_.has_indirect_call, 0
	.section	.AMDGPU.csdata,"",@progbits
; Kernel info:
; codeLenInByte = 0
; TotalNumSgprs: 0
; NumVgprs: 0
; ScratchSize: 0
; MemoryBound: 0
; FloatMode: 240
; IeeeMode: 1
; LDSByteSize: 0 bytes/workgroup (compile time only)
; SGPRBlocks: 0
; VGPRBlocks: 0
; NumSGPRsForWavesPerEU: 1
; NumVGPRsForWavesPerEU: 1
; Occupancy: 16
; WaveLimiterHint : 0
; COMPUTE_PGM_RSRC2:SCRATCH_EN: 0
; COMPUTE_PGM_RSRC2:USER_SGPR: 2
; COMPUTE_PGM_RSRC2:TRAP_HANDLER: 0
; COMPUTE_PGM_RSRC2:TGID_X_EN: 1
; COMPUTE_PGM_RSRC2:TGID_Y_EN: 0
; COMPUTE_PGM_RSRC2:TGID_Z_EN: 0
; COMPUTE_PGM_RSRC2:TIDIG_COMP_CNT: 0
	.section	.text._ZN7rocprim17ROCPRIM_400000_NS6detail17trampoline_kernelINS0_14default_configENS1_25partition_config_selectorILNS1_17partition_subalgoE5EsNS0_10empty_typeEbEEZZNS1_14partition_implILS5_5ELb0ES3_mN6thrust23THRUST_200600_302600_NS6detail15normal_iteratorINSA_10device_ptrIsEEEEPS6_NSA_18transform_iteratorINSB_9not_fun_tI7is_trueIsEEENSC_INSD_IbEEEENSA_11use_defaultESO_EENS0_5tupleIJNSA_16discard_iteratorISO_EES6_EEENSQ_IJSG_SG_EEES6_PlJS6_EEE10hipError_tPvRmT3_T4_T5_T6_T7_T9_mT8_P12ihipStream_tbDpT10_ENKUlT_T0_E_clISt17integral_constantIbLb1EES1F_EEDaS1A_S1B_EUlS1A_E_NS1_11comp_targetILNS1_3genE0ELNS1_11target_archE4294967295ELNS1_3gpuE0ELNS1_3repE0EEENS1_30default_config_static_selectorELNS0_4arch9wavefront6targetE0EEEvT1_,"axG",@progbits,_ZN7rocprim17ROCPRIM_400000_NS6detail17trampoline_kernelINS0_14default_configENS1_25partition_config_selectorILNS1_17partition_subalgoE5EsNS0_10empty_typeEbEEZZNS1_14partition_implILS5_5ELb0ES3_mN6thrust23THRUST_200600_302600_NS6detail15normal_iteratorINSA_10device_ptrIsEEEEPS6_NSA_18transform_iteratorINSB_9not_fun_tI7is_trueIsEEENSC_INSD_IbEEEENSA_11use_defaultESO_EENS0_5tupleIJNSA_16discard_iteratorISO_EES6_EEENSQ_IJSG_SG_EEES6_PlJS6_EEE10hipError_tPvRmT3_T4_T5_T6_T7_T9_mT8_P12ihipStream_tbDpT10_ENKUlT_T0_E_clISt17integral_constantIbLb1EES1F_EEDaS1A_S1B_EUlS1A_E_NS1_11comp_targetILNS1_3genE0ELNS1_11target_archE4294967295ELNS1_3gpuE0ELNS1_3repE0EEENS1_30default_config_static_selectorELNS0_4arch9wavefront6targetE0EEEvT1_,comdat
	.protected	_ZN7rocprim17ROCPRIM_400000_NS6detail17trampoline_kernelINS0_14default_configENS1_25partition_config_selectorILNS1_17partition_subalgoE5EsNS0_10empty_typeEbEEZZNS1_14partition_implILS5_5ELb0ES3_mN6thrust23THRUST_200600_302600_NS6detail15normal_iteratorINSA_10device_ptrIsEEEEPS6_NSA_18transform_iteratorINSB_9not_fun_tI7is_trueIsEEENSC_INSD_IbEEEENSA_11use_defaultESO_EENS0_5tupleIJNSA_16discard_iteratorISO_EES6_EEENSQ_IJSG_SG_EEES6_PlJS6_EEE10hipError_tPvRmT3_T4_T5_T6_T7_T9_mT8_P12ihipStream_tbDpT10_ENKUlT_T0_E_clISt17integral_constantIbLb1EES1F_EEDaS1A_S1B_EUlS1A_E_NS1_11comp_targetILNS1_3genE0ELNS1_11target_archE4294967295ELNS1_3gpuE0ELNS1_3repE0EEENS1_30default_config_static_selectorELNS0_4arch9wavefront6targetE0EEEvT1_ ; -- Begin function _ZN7rocprim17ROCPRIM_400000_NS6detail17trampoline_kernelINS0_14default_configENS1_25partition_config_selectorILNS1_17partition_subalgoE5EsNS0_10empty_typeEbEEZZNS1_14partition_implILS5_5ELb0ES3_mN6thrust23THRUST_200600_302600_NS6detail15normal_iteratorINSA_10device_ptrIsEEEEPS6_NSA_18transform_iteratorINSB_9not_fun_tI7is_trueIsEEENSC_INSD_IbEEEENSA_11use_defaultESO_EENS0_5tupleIJNSA_16discard_iteratorISO_EES6_EEENSQ_IJSG_SG_EEES6_PlJS6_EEE10hipError_tPvRmT3_T4_T5_T6_T7_T9_mT8_P12ihipStream_tbDpT10_ENKUlT_T0_E_clISt17integral_constantIbLb1EES1F_EEDaS1A_S1B_EUlS1A_E_NS1_11comp_targetILNS1_3genE0ELNS1_11target_archE4294967295ELNS1_3gpuE0ELNS1_3repE0EEENS1_30default_config_static_selectorELNS0_4arch9wavefront6targetE0EEEvT1_
	.globl	_ZN7rocprim17ROCPRIM_400000_NS6detail17trampoline_kernelINS0_14default_configENS1_25partition_config_selectorILNS1_17partition_subalgoE5EsNS0_10empty_typeEbEEZZNS1_14partition_implILS5_5ELb0ES3_mN6thrust23THRUST_200600_302600_NS6detail15normal_iteratorINSA_10device_ptrIsEEEEPS6_NSA_18transform_iteratorINSB_9not_fun_tI7is_trueIsEEENSC_INSD_IbEEEENSA_11use_defaultESO_EENS0_5tupleIJNSA_16discard_iteratorISO_EES6_EEENSQ_IJSG_SG_EEES6_PlJS6_EEE10hipError_tPvRmT3_T4_T5_T6_T7_T9_mT8_P12ihipStream_tbDpT10_ENKUlT_T0_E_clISt17integral_constantIbLb1EES1F_EEDaS1A_S1B_EUlS1A_E_NS1_11comp_targetILNS1_3genE0ELNS1_11target_archE4294967295ELNS1_3gpuE0ELNS1_3repE0EEENS1_30default_config_static_selectorELNS0_4arch9wavefront6targetE0EEEvT1_
	.p2align	8
	.type	_ZN7rocprim17ROCPRIM_400000_NS6detail17trampoline_kernelINS0_14default_configENS1_25partition_config_selectorILNS1_17partition_subalgoE5EsNS0_10empty_typeEbEEZZNS1_14partition_implILS5_5ELb0ES3_mN6thrust23THRUST_200600_302600_NS6detail15normal_iteratorINSA_10device_ptrIsEEEEPS6_NSA_18transform_iteratorINSB_9not_fun_tI7is_trueIsEEENSC_INSD_IbEEEENSA_11use_defaultESO_EENS0_5tupleIJNSA_16discard_iteratorISO_EES6_EEENSQ_IJSG_SG_EEES6_PlJS6_EEE10hipError_tPvRmT3_T4_T5_T6_T7_T9_mT8_P12ihipStream_tbDpT10_ENKUlT_T0_E_clISt17integral_constantIbLb1EES1F_EEDaS1A_S1B_EUlS1A_E_NS1_11comp_targetILNS1_3genE0ELNS1_11target_archE4294967295ELNS1_3gpuE0ELNS1_3repE0EEENS1_30default_config_static_selectorELNS0_4arch9wavefront6targetE0EEEvT1_,@function
_ZN7rocprim17ROCPRIM_400000_NS6detail17trampoline_kernelINS0_14default_configENS1_25partition_config_selectorILNS1_17partition_subalgoE5EsNS0_10empty_typeEbEEZZNS1_14partition_implILS5_5ELb0ES3_mN6thrust23THRUST_200600_302600_NS6detail15normal_iteratorINSA_10device_ptrIsEEEEPS6_NSA_18transform_iteratorINSB_9not_fun_tI7is_trueIsEEENSC_INSD_IbEEEENSA_11use_defaultESO_EENS0_5tupleIJNSA_16discard_iteratorISO_EES6_EEENSQ_IJSG_SG_EEES6_PlJS6_EEE10hipError_tPvRmT3_T4_T5_T6_T7_T9_mT8_P12ihipStream_tbDpT10_ENKUlT_T0_E_clISt17integral_constantIbLb1EES1F_EEDaS1A_S1B_EUlS1A_E_NS1_11comp_targetILNS1_3genE0ELNS1_11target_archE4294967295ELNS1_3gpuE0ELNS1_3repE0EEENS1_30default_config_static_selectorELNS0_4arch9wavefront6targetE0EEEvT1_: ; @_ZN7rocprim17ROCPRIM_400000_NS6detail17trampoline_kernelINS0_14default_configENS1_25partition_config_selectorILNS1_17partition_subalgoE5EsNS0_10empty_typeEbEEZZNS1_14partition_implILS5_5ELb0ES3_mN6thrust23THRUST_200600_302600_NS6detail15normal_iteratorINSA_10device_ptrIsEEEEPS6_NSA_18transform_iteratorINSB_9not_fun_tI7is_trueIsEEENSC_INSD_IbEEEENSA_11use_defaultESO_EENS0_5tupleIJNSA_16discard_iteratorISO_EES6_EEENSQ_IJSG_SG_EEES6_PlJS6_EEE10hipError_tPvRmT3_T4_T5_T6_T7_T9_mT8_P12ihipStream_tbDpT10_ENKUlT_T0_E_clISt17integral_constantIbLb1EES1F_EEDaS1A_S1B_EUlS1A_E_NS1_11comp_targetILNS1_3genE0ELNS1_11target_archE4294967295ELNS1_3gpuE0ELNS1_3repE0EEENS1_30default_config_static_selectorELNS0_4arch9wavefront6targetE0EEEvT1_
; %bb.0:
	.section	.rodata,"a",@progbits
	.p2align	6, 0x0
	.amdhsa_kernel _ZN7rocprim17ROCPRIM_400000_NS6detail17trampoline_kernelINS0_14default_configENS1_25partition_config_selectorILNS1_17partition_subalgoE5EsNS0_10empty_typeEbEEZZNS1_14partition_implILS5_5ELb0ES3_mN6thrust23THRUST_200600_302600_NS6detail15normal_iteratorINSA_10device_ptrIsEEEEPS6_NSA_18transform_iteratorINSB_9not_fun_tI7is_trueIsEEENSC_INSD_IbEEEENSA_11use_defaultESO_EENS0_5tupleIJNSA_16discard_iteratorISO_EES6_EEENSQ_IJSG_SG_EEES6_PlJS6_EEE10hipError_tPvRmT3_T4_T5_T6_T7_T9_mT8_P12ihipStream_tbDpT10_ENKUlT_T0_E_clISt17integral_constantIbLb1EES1F_EEDaS1A_S1B_EUlS1A_E_NS1_11comp_targetILNS1_3genE0ELNS1_11target_archE4294967295ELNS1_3gpuE0ELNS1_3repE0EEENS1_30default_config_static_selectorELNS0_4arch9wavefront6targetE0EEEvT1_
		.amdhsa_group_segment_fixed_size 0
		.amdhsa_private_segment_fixed_size 0
		.amdhsa_kernarg_size 144
		.amdhsa_user_sgpr_count 2
		.amdhsa_user_sgpr_dispatch_ptr 0
		.amdhsa_user_sgpr_queue_ptr 0
		.amdhsa_user_sgpr_kernarg_segment_ptr 1
		.amdhsa_user_sgpr_dispatch_id 0
		.amdhsa_user_sgpr_private_segment_size 0
		.amdhsa_wavefront_size32 1
		.amdhsa_uses_dynamic_stack 0
		.amdhsa_enable_private_segment 0
		.amdhsa_system_sgpr_workgroup_id_x 1
		.amdhsa_system_sgpr_workgroup_id_y 0
		.amdhsa_system_sgpr_workgroup_id_z 0
		.amdhsa_system_sgpr_workgroup_info 0
		.amdhsa_system_vgpr_workitem_id 0
		.amdhsa_next_free_vgpr 1
		.amdhsa_next_free_sgpr 1
		.amdhsa_reserve_vcc 0
		.amdhsa_float_round_mode_32 0
		.amdhsa_float_round_mode_16_64 0
		.amdhsa_float_denorm_mode_32 3
		.amdhsa_float_denorm_mode_16_64 3
		.amdhsa_fp16_overflow 0
		.amdhsa_workgroup_processor_mode 1
		.amdhsa_memory_ordered 1
		.amdhsa_forward_progress 1
		.amdhsa_inst_pref_size 0
		.amdhsa_round_robin_scheduling 0
		.amdhsa_exception_fp_ieee_invalid_op 0
		.amdhsa_exception_fp_denorm_src 0
		.amdhsa_exception_fp_ieee_div_zero 0
		.amdhsa_exception_fp_ieee_overflow 0
		.amdhsa_exception_fp_ieee_underflow 0
		.amdhsa_exception_fp_ieee_inexact 0
		.amdhsa_exception_int_div_zero 0
	.end_amdhsa_kernel
	.section	.text._ZN7rocprim17ROCPRIM_400000_NS6detail17trampoline_kernelINS0_14default_configENS1_25partition_config_selectorILNS1_17partition_subalgoE5EsNS0_10empty_typeEbEEZZNS1_14partition_implILS5_5ELb0ES3_mN6thrust23THRUST_200600_302600_NS6detail15normal_iteratorINSA_10device_ptrIsEEEEPS6_NSA_18transform_iteratorINSB_9not_fun_tI7is_trueIsEEENSC_INSD_IbEEEENSA_11use_defaultESO_EENS0_5tupleIJNSA_16discard_iteratorISO_EES6_EEENSQ_IJSG_SG_EEES6_PlJS6_EEE10hipError_tPvRmT3_T4_T5_T6_T7_T9_mT8_P12ihipStream_tbDpT10_ENKUlT_T0_E_clISt17integral_constantIbLb1EES1F_EEDaS1A_S1B_EUlS1A_E_NS1_11comp_targetILNS1_3genE0ELNS1_11target_archE4294967295ELNS1_3gpuE0ELNS1_3repE0EEENS1_30default_config_static_selectorELNS0_4arch9wavefront6targetE0EEEvT1_,"axG",@progbits,_ZN7rocprim17ROCPRIM_400000_NS6detail17trampoline_kernelINS0_14default_configENS1_25partition_config_selectorILNS1_17partition_subalgoE5EsNS0_10empty_typeEbEEZZNS1_14partition_implILS5_5ELb0ES3_mN6thrust23THRUST_200600_302600_NS6detail15normal_iteratorINSA_10device_ptrIsEEEEPS6_NSA_18transform_iteratorINSB_9not_fun_tI7is_trueIsEEENSC_INSD_IbEEEENSA_11use_defaultESO_EENS0_5tupleIJNSA_16discard_iteratorISO_EES6_EEENSQ_IJSG_SG_EEES6_PlJS6_EEE10hipError_tPvRmT3_T4_T5_T6_T7_T9_mT8_P12ihipStream_tbDpT10_ENKUlT_T0_E_clISt17integral_constantIbLb1EES1F_EEDaS1A_S1B_EUlS1A_E_NS1_11comp_targetILNS1_3genE0ELNS1_11target_archE4294967295ELNS1_3gpuE0ELNS1_3repE0EEENS1_30default_config_static_selectorELNS0_4arch9wavefront6targetE0EEEvT1_,comdat
.Lfunc_end2821:
	.size	_ZN7rocprim17ROCPRIM_400000_NS6detail17trampoline_kernelINS0_14default_configENS1_25partition_config_selectorILNS1_17partition_subalgoE5EsNS0_10empty_typeEbEEZZNS1_14partition_implILS5_5ELb0ES3_mN6thrust23THRUST_200600_302600_NS6detail15normal_iteratorINSA_10device_ptrIsEEEEPS6_NSA_18transform_iteratorINSB_9not_fun_tI7is_trueIsEEENSC_INSD_IbEEEENSA_11use_defaultESO_EENS0_5tupleIJNSA_16discard_iteratorISO_EES6_EEENSQ_IJSG_SG_EEES6_PlJS6_EEE10hipError_tPvRmT3_T4_T5_T6_T7_T9_mT8_P12ihipStream_tbDpT10_ENKUlT_T0_E_clISt17integral_constantIbLb1EES1F_EEDaS1A_S1B_EUlS1A_E_NS1_11comp_targetILNS1_3genE0ELNS1_11target_archE4294967295ELNS1_3gpuE0ELNS1_3repE0EEENS1_30default_config_static_selectorELNS0_4arch9wavefront6targetE0EEEvT1_, .Lfunc_end2821-_ZN7rocprim17ROCPRIM_400000_NS6detail17trampoline_kernelINS0_14default_configENS1_25partition_config_selectorILNS1_17partition_subalgoE5EsNS0_10empty_typeEbEEZZNS1_14partition_implILS5_5ELb0ES3_mN6thrust23THRUST_200600_302600_NS6detail15normal_iteratorINSA_10device_ptrIsEEEEPS6_NSA_18transform_iteratorINSB_9not_fun_tI7is_trueIsEEENSC_INSD_IbEEEENSA_11use_defaultESO_EENS0_5tupleIJNSA_16discard_iteratorISO_EES6_EEENSQ_IJSG_SG_EEES6_PlJS6_EEE10hipError_tPvRmT3_T4_T5_T6_T7_T9_mT8_P12ihipStream_tbDpT10_ENKUlT_T0_E_clISt17integral_constantIbLb1EES1F_EEDaS1A_S1B_EUlS1A_E_NS1_11comp_targetILNS1_3genE0ELNS1_11target_archE4294967295ELNS1_3gpuE0ELNS1_3repE0EEENS1_30default_config_static_selectorELNS0_4arch9wavefront6targetE0EEEvT1_
                                        ; -- End function
	.set _ZN7rocprim17ROCPRIM_400000_NS6detail17trampoline_kernelINS0_14default_configENS1_25partition_config_selectorILNS1_17partition_subalgoE5EsNS0_10empty_typeEbEEZZNS1_14partition_implILS5_5ELb0ES3_mN6thrust23THRUST_200600_302600_NS6detail15normal_iteratorINSA_10device_ptrIsEEEEPS6_NSA_18transform_iteratorINSB_9not_fun_tI7is_trueIsEEENSC_INSD_IbEEEENSA_11use_defaultESO_EENS0_5tupleIJNSA_16discard_iteratorISO_EES6_EEENSQ_IJSG_SG_EEES6_PlJS6_EEE10hipError_tPvRmT3_T4_T5_T6_T7_T9_mT8_P12ihipStream_tbDpT10_ENKUlT_T0_E_clISt17integral_constantIbLb1EES1F_EEDaS1A_S1B_EUlS1A_E_NS1_11comp_targetILNS1_3genE0ELNS1_11target_archE4294967295ELNS1_3gpuE0ELNS1_3repE0EEENS1_30default_config_static_selectorELNS0_4arch9wavefront6targetE0EEEvT1_.num_vgpr, 0
	.set _ZN7rocprim17ROCPRIM_400000_NS6detail17trampoline_kernelINS0_14default_configENS1_25partition_config_selectorILNS1_17partition_subalgoE5EsNS0_10empty_typeEbEEZZNS1_14partition_implILS5_5ELb0ES3_mN6thrust23THRUST_200600_302600_NS6detail15normal_iteratorINSA_10device_ptrIsEEEEPS6_NSA_18transform_iteratorINSB_9not_fun_tI7is_trueIsEEENSC_INSD_IbEEEENSA_11use_defaultESO_EENS0_5tupleIJNSA_16discard_iteratorISO_EES6_EEENSQ_IJSG_SG_EEES6_PlJS6_EEE10hipError_tPvRmT3_T4_T5_T6_T7_T9_mT8_P12ihipStream_tbDpT10_ENKUlT_T0_E_clISt17integral_constantIbLb1EES1F_EEDaS1A_S1B_EUlS1A_E_NS1_11comp_targetILNS1_3genE0ELNS1_11target_archE4294967295ELNS1_3gpuE0ELNS1_3repE0EEENS1_30default_config_static_selectorELNS0_4arch9wavefront6targetE0EEEvT1_.num_agpr, 0
	.set _ZN7rocprim17ROCPRIM_400000_NS6detail17trampoline_kernelINS0_14default_configENS1_25partition_config_selectorILNS1_17partition_subalgoE5EsNS0_10empty_typeEbEEZZNS1_14partition_implILS5_5ELb0ES3_mN6thrust23THRUST_200600_302600_NS6detail15normal_iteratorINSA_10device_ptrIsEEEEPS6_NSA_18transform_iteratorINSB_9not_fun_tI7is_trueIsEEENSC_INSD_IbEEEENSA_11use_defaultESO_EENS0_5tupleIJNSA_16discard_iteratorISO_EES6_EEENSQ_IJSG_SG_EEES6_PlJS6_EEE10hipError_tPvRmT3_T4_T5_T6_T7_T9_mT8_P12ihipStream_tbDpT10_ENKUlT_T0_E_clISt17integral_constantIbLb1EES1F_EEDaS1A_S1B_EUlS1A_E_NS1_11comp_targetILNS1_3genE0ELNS1_11target_archE4294967295ELNS1_3gpuE0ELNS1_3repE0EEENS1_30default_config_static_selectorELNS0_4arch9wavefront6targetE0EEEvT1_.numbered_sgpr, 0
	.set _ZN7rocprim17ROCPRIM_400000_NS6detail17trampoline_kernelINS0_14default_configENS1_25partition_config_selectorILNS1_17partition_subalgoE5EsNS0_10empty_typeEbEEZZNS1_14partition_implILS5_5ELb0ES3_mN6thrust23THRUST_200600_302600_NS6detail15normal_iteratorINSA_10device_ptrIsEEEEPS6_NSA_18transform_iteratorINSB_9not_fun_tI7is_trueIsEEENSC_INSD_IbEEEENSA_11use_defaultESO_EENS0_5tupleIJNSA_16discard_iteratorISO_EES6_EEENSQ_IJSG_SG_EEES6_PlJS6_EEE10hipError_tPvRmT3_T4_T5_T6_T7_T9_mT8_P12ihipStream_tbDpT10_ENKUlT_T0_E_clISt17integral_constantIbLb1EES1F_EEDaS1A_S1B_EUlS1A_E_NS1_11comp_targetILNS1_3genE0ELNS1_11target_archE4294967295ELNS1_3gpuE0ELNS1_3repE0EEENS1_30default_config_static_selectorELNS0_4arch9wavefront6targetE0EEEvT1_.num_named_barrier, 0
	.set _ZN7rocprim17ROCPRIM_400000_NS6detail17trampoline_kernelINS0_14default_configENS1_25partition_config_selectorILNS1_17partition_subalgoE5EsNS0_10empty_typeEbEEZZNS1_14partition_implILS5_5ELb0ES3_mN6thrust23THRUST_200600_302600_NS6detail15normal_iteratorINSA_10device_ptrIsEEEEPS6_NSA_18transform_iteratorINSB_9not_fun_tI7is_trueIsEEENSC_INSD_IbEEEENSA_11use_defaultESO_EENS0_5tupleIJNSA_16discard_iteratorISO_EES6_EEENSQ_IJSG_SG_EEES6_PlJS6_EEE10hipError_tPvRmT3_T4_T5_T6_T7_T9_mT8_P12ihipStream_tbDpT10_ENKUlT_T0_E_clISt17integral_constantIbLb1EES1F_EEDaS1A_S1B_EUlS1A_E_NS1_11comp_targetILNS1_3genE0ELNS1_11target_archE4294967295ELNS1_3gpuE0ELNS1_3repE0EEENS1_30default_config_static_selectorELNS0_4arch9wavefront6targetE0EEEvT1_.private_seg_size, 0
	.set _ZN7rocprim17ROCPRIM_400000_NS6detail17trampoline_kernelINS0_14default_configENS1_25partition_config_selectorILNS1_17partition_subalgoE5EsNS0_10empty_typeEbEEZZNS1_14partition_implILS5_5ELb0ES3_mN6thrust23THRUST_200600_302600_NS6detail15normal_iteratorINSA_10device_ptrIsEEEEPS6_NSA_18transform_iteratorINSB_9not_fun_tI7is_trueIsEEENSC_INSD_IbEEEENSA_11use_defaultESO_EENS0_5tupleIJNSA_16discard_iteratorISO_EES6_EEENSQ_IJSG_SG_EEES6_PlJS6_EEE10hipError_tPvRmT3_T4_T5_T6_T7_T9_mT8_P12ihipStream_tbDpT10_ENKUlT_T0_E_clISt17integral_constantIbLb1EES1F_EEDaS1A_S1B_EUlS1A_E_NS1_11comp_targetILNS1_3genE0ELNS1_11target_archE4294967295ELNS1_3gpuE0ELNS1_3repE0EEENS1_30default_config_static_selectorELNS0_4arch9wavefront6targetE0EEEvT1_.uses_vcc, 0
	.set _ZN7rocprim17ROCPRIM_400000_NS6detail17trampoline_kernelINS0_14default_configENS1_25partition_config_selectorILNS1_17partition_subalgoE5EsNS0_10empty_typeEbEEZZNS1_14partition_implILS5_5ELb0ES3_mN6thrust23THRUST_200600_302600_NS6detail15normal_iteratorINSA_10device_ptrIsEEEEPS6_NSA_18transform_iteratorINSB_9not_fun_tI7is_trueIsEEENSC_INSD_IbEEEENSA_11use_defaultESO_EENS0_5tupleIJNSA_16discard_iteratorISO_EES6_EEENSQ_IJSG_SG_EEES6_PlJS6_EEE10hipError_tPvRmT3_T4_T5_T6_T7_T9_mT8_P12ihipStream_tbDpT10_ENKUlT_T0_E_clISt17integral_constantIbLb1EES1F_EEDaS1A_S1B_EUlS1A_E_NS1_11comp_targetILNS1_3genE0ELNS1_11target_archE4294967295ELNS1_3gpuE0ELNS1_3repE0EEENS1_30default_config_static_selectorELNS0_4arch9wavefront6targetE0EEEvT1_.uses_flat_scratch, 0
	.set _ZN7rocprim17ROCPRIM_400000_NS6detail17trampoline_kernelINS0_14default_configENS1_25partition_config_selectorILNS1_17partition_subalgoE5EsNS0_10empty_typeEbEEZZNS1_14partition_implILS5_5ELb0ES3_mN6thrust23THRUST_200600_302600_NS6detail15normal_iteratorINSA_10device_ptrIsEEEEPS6_NSA_18transform_iteratorINSB_9not_fun_tI7is_trueIsEEENSC_INSD_IbEEEENSA_11use_defaultESO_EENS0_5tupleIJNSA_16discard_iteratorISO_EES6_EEENSQ_IJSG_SG_EEES6_PlJS6_EEE10hipError_tPvRmT3_T4_T5_T6_T7_T9_mT8_P12ihipStream_tbDpT10_ENKUlT_T0_E_clISt17integral_constantIbLb1EES1F_EEDaS1A_S1B_EUlS1A_E_NS1_11comp_targetILNS1_3genE0ELNS1_11target_archE4294967295ELNS1_3gpuE0ELNS1_3repE0EEENS1_30default_config_static_selectorELNS0_4arch9wavefront6targetE0EEEvT1_.has_dyn_sized_stack, 0
	.set _ZN7rocprim17ROCPRIM_400000_NS6detail17trampoline_kernelINS0_14default_configENS1_25partition_config_selectorILNS1_17partition_subalgoE5EsNS0_10empty_typeEbEEZZNS1_14partition_implILS5_5ELb0ES3_mN6thrust23THRUST_200600_302600_NS6detail15normal_iteratorINSA_10device_ptrIsEEEEPS6_NSA_18transform_iteratorINSB_9not_fun_tI7is_trueIsEEENSC_INSD_IbEEEENSA_11use_defaultESO_EENS0_5tupleIJNSA_16discard_iteratorISO_EES6_EEENSQ_IJSG_SG_EEES6_PlJS6_EEE10hipError_tPvRmT3_T4_T5_T6_T7_T9_mT8_P12ihipStream_tbDpT10_ENKUlT_T0_E_clISt17integral_constantIbLb1EES1F_EEDaS1A_S1B_EUlS1A_E_NS1_11comp_targetILNS1_3genE0ELNS1_11target_archE4294967295ELNS1_3gpuE0ELNS1_3repE0EEENS1_30default_config_static_selectorELNS0_4arch9wavefront6targetE0EEEvT1_.has_recursion, 0
	.set _ZN7rocprim17ROCPRIM_400000_NS6detail17trampoline_kernelINS0_14default_configENS1_25partition_config_selectorILNS1_17partition_subalgoE5EsNS0_10empty_typeEbEEZZNS1_14partition_implILS5_5ELb0ES3_mN6thrust23THRUST_200600_302600_NS6detail15normal_iteratorINSA_10device_ptrIsEEEEPS6_NSA_18transform_iteratorINSB_9not_fun_tI7is_trueIsEEENSC_INSD_IbEEEENSA_11use_defaultESO_EENS0_5tupleIJNSA_16discard_iteratorISO_EES6_EEENSQ_IJSG_SG_EEES6_PlJS6_EEE10hipError_tPvRmT3_T4_T5_T6_T7_T9_mT8_P12ihipStream_tbDpT10_ENKUlT_T0_E_clISt17integral_constantIbLb1EES1F_EEDaS1A_S1B_EUlS1A_E_NS1_11comp_targetILNS1_3genE0ELNS1_11target_archE4294967295ELNS1_3gpuE0ELNS1_3repE0EEENS1_30default_config_static_selectorELNS0_4arch9wavefront6targetE0EEEvT1_.has_indirect_call, 0
	.section	.AMDGPU.csdata,"",@progbits
; Kernel info:
; codeLenInByte = 0
; TotalNumSgprs: 0
; NumVgprs: 0
; ScratchSize: 0
; MemoryBound: 0
; FloatMode: 240
; IeeeMode: 1
; LDSByteSize: 0 bytes/workgroup (compile time only)
; SGPRBlocks: 0
; VGPRBlocks: 0
; NumSGPRsForWavesPerEU: 1
; NumVGPRsForWavesPerEU: 1
; Occupancy: 16
; WaveLimiterHint : 0
; COMPUTE_PGM_RSRC2:SCRATCH_EN: 0
; COMPUTE_PGM_RSRC2:USER_SGPR: 2
; COMPUTE_PGM_RSRC2:TRAP_HANDLER: 0
; COMPUTE_PGM_RSRC2:TGID_X_EN: 1
; COMPUTE_PGM_RSRC2:TGID_Y_EN: 0
; COMPUTE_PGM_RSRC2:TGID_Z_EN: 0
; COMPUTE_PGM_RSRC2:TIDIG_COMP_CNT: 0
	.section	.text._ZN7rocprim17ROCPRIM_400000_NS6detail17trampoline_kernelINS0_14default_configENS1_25partition_config_selectorILNS1_17partition_subalgoE5EsNS0_10empty_typeEbEEZZNS1_14partition_implILS5_5ELb0ES3_mN6thrust23THRUST_200600_302600_NS6detail15normal_iteratorINSA_10device_ptrIsEEEEPS6_NSA_18transform_iteratorINSB_9not_fun_tI7is_trueIsEEENSC_INSD_IbEEEENSA_11use_defaultESO_EENS0_5tupleIJNSA_16discard_iteratorISO_EES6_EEENSQ_IJSG_SG_EEES6_PlJS6_EEE10hipError_tPvRmT3_T4_T5_T6_T7_T9_mT8_P12ihipStream_tbDpT10_ENKUlT_T0_E_clISt17integral_constantIbLb1EES1F_EEDaS1A_S1B_EUlS1A_E_NS1_11comp_targetILNS1_3genE5ELNS1_11target_archE942ELNS1_3gpuE9ELNS1_3repE0EEENS1_30default_config_static_selectorELNS0_4arch9wavefront6targetE0EEEvT1_,"axG",@progbits,_ZN7rocprim17ROCPRIM_400000_NS6detail17trampoline_kernelINS0_14default_configENS1_25partition_config_selectorILNS1_17partition_subalgoE5EsNS0_10empty_typeEbEEZZNS1_14partition_implILS5_5ELb0ES3_mN6thrust23THRUST_200600_302600_NS6detail15normal_iteratorINSA_10device_ptrIsEEEEPS6_NSA_18transform_iteratorINSB_9not_fun_tI7is_trueIsEEENSC_INSD_IbEEEENSA_11use_defaultESO_EENS0_5tupleIJNSA_16discard_iteratorISO_EES6_EEENSQ_IJSG_SG_EEES6_PlJS6_EEE10hipError_tPvRmT3_T4_T5_T6_T7_T9_mT8_P12ihipStream_tbDpT10_ENKUlT_T0_E_clISt17integral_constantIbLb1EES1F_EEDaS1A_S1B_EUlS1A_E_NS1_11comp_targetILNS1_3genE5ELNS1_11target_archE942ELNS1_3gpuE9ELNS1_3repE0EEENS1_30default_config_static_selectorELNS0_4arch9wavefront6targetE0EEEvT1_,comdat
	.protected	_ZN7rocprim17ROCPRIM_400000_NS6detail17trampoline_kernelINS0_14default_configENS1_25partition_config_selectorILNS1_17partition_subalgoE5EsNS0_10empty_typeEbEEZZNS1_14partition_implILS5_5ELb0ES3_mN6thrust23THRUST_200600_302600_NS6detail15normal_iteratorINSA_10device_ptrIsEEEEPS6_NSA_18transform_iteratorINSB_9not_fun_tI7is_trueIsEEENSC_INSD_IbEEEENSA_11use_defaultESO_EENS0_5tupleIJNSA_16discard_iteratorISO_EES6_EEENSQ_IJSG_SG_EEES6_PlJS6_EEE10hipError_tPvRmT3_T4_T5_T6_T7_T9_mT8_P12ihipStream_tbDpT10_ENKUlT_T0_E_clISt17integral_constantIbLb1EES1F_EEDaS1A_S1B_EUlS1A_E_NS1_11comp_targetILNS1_3genE5ELNS1_11target_archE942ELNS1_3gpuE9ELNS1_3repE0EEENS1_30default_config_static_selectorELNS0_4arch9wavefront6targetE0EEEvT1_ ; -- Begin function _ZN7rocprim17ROCPRIM_400000_NS6detail17trampoline_kernelINS0_14default_configENS1_25partition_config_selectorILNS1_17partition_subalgoE5EsNS0_10empty_typeEbEEZZNS1_14partition_implILS5_5ELb0ES3_mN6thrust23THRUST_200600_302600_NS6detail15normal_iteratorINSA_10device_ptrIsEEEEPS6_NSA_18transform_iteratorINSB_9not_fun_tI7is_trueIsEEENSC_INSD_IbEEEENSA_11use_defaultESO_EENS0_5tupleIJNSA_16discard_iteratorISO_EES6_EEENSQ_IJSG_SG_EEES6_PlJS6_EEE10hipError_tPvRmT3_T4_T5_T6_T7_T9_mT8_P12ihipStream_tbDpT10_ENKUlT_T0_E_clISt17integral_constantIbLb1EES1F_EEDaS1A_S1B_EUlS1A_E_NS1_11comp_targetILNS1_3genE5ELNS1_11target_archE942ELNS1_3gpuE9ELNS1_3repE0EEENS1_30default_config_static_selectorELNS0_4arch9wavefront6targetE0EEEvT1_
	.globl	_ZN7rocprim17ROCPRIM_400000_NS6detail17trampoline_kernelINS0_14default_configENS1_25partition_config_selectorILNS1_17partition_subalgoE5EsNS0_10empty_typeEbEEZZNS1_14partition_implILS5_5ELb0ES3_mN6thrust23THRUST_200600_302600_NS6detail15normal_iteratorINSA_10device_ptrIsEEEEPS6_NSA_18transform_iteratorINSB_9not_fun_tI7is_trueIsEEENSC_INSD_IbEEEENSA_11use_defaultESO_EENS0_5tupleIJNSA_16discard_iteratorISO_EES6_EEENSQ_IJSG_SG_EEES6_PlJS6_EEE10hipError_tPvRmT3_T4_T5_T6_T7_T9_mT8_P12ihipStream_tbDpT10_ENKUlT_T0_E_clISt17integral_constantIbLb1EES1F_EEDaS1A_S1B_EUlS1A_E_NS1_11comp_targetILNS1_3genE5ELNS1_11target_archE942ELNS1_3gpuE9ELNS1_3repE0EEENS1_30default_config_static_selectorELNS0_4arch9wavefront6targetE0EEEvT1_
	.p2align	8
	.type	_ZN7rocprim17ROCPRIM_400000_NS6detail17trampoline_kernelINS0_14default_configENS1_25partition_config_selectorILNS1_17partition_subalgoE5EsNS0_10empty_typeEbEEZZNS1_14partition_implILS5_5ELb0ES3_mN6thrust23THRUST_200600_302600_NS6detail15normal_iteratorINSA_10device_ptrIsEEEEPS6_NSA_18transform_iteratorINSB_9not_fun_tI7is_trueIsEEENSC_INSD_IbEEEENSA_11use_defaultESO_EENS0_5tupleIJNSA_16discard_iteratorISO_EES6_EEENSQ_IJSG_SG_EEES6_PlJS6_EEE10hipError_tPvRmT3_T4_T5_T6_T7_T9_mT8_P12ihipStream_tbDpT10_ENKUlT_T0_E_clISt17integral_constantIbLb1EES1F_EEDaS1A_S1B_EUlS1A_E_NS1_11comp_targetILNS1_3genE5ELNS1_11target_archE942ELNS1_3gpuE9ELNS1_3repE0EEENS1_30default_config_static_selectorELNS0_4arch9wavefront6targetE0EEEvT1_,@function
_ZN7rocprim17ROCPRIM_400000_NS6detail17trampoline_kernelINS0_14default_configENS1_25partition_config_selectorILNS1_17partition_subalgoE5EsNS0_10empty_typeEbEEZZNS1_14partition_implILS5_5ELb0ES3_mN6thrust23THRUST_200600_302600_NS6detail15normal_iteratorINSA_10device_ptrIsEEEEPS6_NSA_18transform_iteratorINSB_9not_fun_tI7is_trueIsEEENSC_INSD_IbEEEENSA_11use_defaultESO_EENS0_5tupleIJNSA_16discard_iteratorISO_EES6_EEENSQ_IJSG_SG_EEES6_PlJS6_EEE10hipError_tPvRmT3_T4_T5_T6_T7_T9_mT8_P12ihipStream_tbDpT10_ENKUlT_T0_E_clISt17integral_constantIbLb1EES1F_EEDaS1A_S1B_EUlS1A_E_NS1_11comp_targetILNS1_3genE5ELNS1_11target_archE942ELNS1_3gpuE9ELNS1_3repE0EEENS1_30default_config_static_selectorELNS0_4arch9wavefront6targetE0EEEvT1_: ; @_ZN7rocprim17ROCPRIM_400000_NS6detail17trampoline_kernelINS0_14default_configENS1_25partition_config_selectorILNS1_17partition_subalgoE5EsNS0_10empty_typeEbEEZZNS1_14partition_implILS5_5ELb0ES3_mN6thrust23THRUST_200600_302600_NS6detail15normal_iteratorINSA_10device_ptrIsEEEEPS6_NSA_18transform_iteratorINSB_9not_fun_tI7is_trueIsEEENSC_INSD_IbEEEENSA_11use_defaultESO_EENS0_5tupleIJNSA_16discard_iteratorISO_EES6_EEENSQ_IJSG_SG_EEES6_PlJS6_EEE10hipError_tPvRmT3_T4_T5_T6_T7_T9_mT8_P12ihipStream_tbDpT10_ENKUlT_T0_E_clISt17integral_constantIbLb1EES1F_EEDaS1A_S1B_EUlS1A_E_NS1_11comp_targetILNS1_3genE5ELNS1_11target_archE942ELNS1_3gpuE9ELNS1_3repE0EEENS1_30default_config_static_selectorELNS0_4arch9wavefront6targetE0EEEvT1_
; %bb.0:
	.section	.rodata,"a",@progbits
	.p2align	6, 0x0
	.amdhsa_kernel _ZN7rocprim17ROCPRIM_400000_NS6detail17trampoline_kernelINS0_14default_configENS1_25partition_config_selectorILNS1_17partition_subalgoE5EsNS0_10empty_typeEbEEZZNS1_14partition_implILS5_5ELb0ES3_mN6thrust23THRUST_200600_302600_NS6detail15normal_iteratorINSA_10device_ptrIsEEEEPS6_NSA_18transform_iteratorINSB_9not_fun_tI7is_trueIsEEENSC_INSD_IbEEEENSA_11use_defaultESO_EENS0_5tupleIJNSA_16discard_iteratorISO_EES6_EEENSQ_IJSG_SG_EEES6_PlJS6_EEE10hipError_tPvRmT3_T4_T5_T6_T7_T9_mT8_P12ihipStream_tbDpT10_ENKUlT_T0_E_clISt17integral_constantIbLb1EES1F_EEDaS1A_S1B_EUlS1A_E_NS1_11comp_targetILNS1_3genE5ELNS1_11target_archE942ELNS1_3gpuE9ELNS1_3repE0EEENS1_30default_config_static_selectorELNS0_4arch9wavefront6targetE0EEEvT1_
		.amdhsa_group_segment_fixed_size 0
		.amdhsa_private_segment_fixed_size 0
		.amdhsa_kernarg_size 144
		.amdhsa_user_sgpr_count 2
		.amdhsa_user_sgpr_dispatch_ptr 0
		.amdhsa_user_sgpr_queue_ptr 0
		.amdhsa_user_sgpr_kernarg_segment_ptr 1
		.amdhsa_user_sgpr_dispatch_id 0
		.amdhsa_user_sgpr_private_segment_size 0
		.amdhsa_wavefront_size32 1
		.amdhsa_uses_dynamic_stack 0
		.amdhsa_enable_private_segment 0
		.amdhsa_system_sgpr_workgroup_id_x 1
		.amdhsa_system_sgpr_workgroup_id_y 0
		.amdhsa_system_sgpr_workgroup_id_z 0
		.amdhsa_system_sgpr_workgroup_info 0
		.amdhsa_system_vgpr_workitem_id 0
		.amdhsa_next_free_vgpr 1
		.amdhsa_next_free_sgpr 1
		.amdhsa_reserve_vcc 0
		.amdhsa_float_round_mode_32 0
		.amdhsa_float_round_mode_16_64 0
		.amdhsa_float_denorm_mode_32 3
		.amdhsa_float_denorm_mode_16_64 3
		.amdhsa_fp16_overflow 0
		.amdhsa_workgroup_processor_mode 1
		.amdhsa_memory_ordered 1
		.amdhsa_forward_progress 1
		.amdhsa_inst_pref_size 0
		.amdhsa_round_robin_scheduling 0
		.amdhsa_exception_fp_ieee_invalid_op 0
		.amdhsa_exception_fp_denorm_src 0
		.amdhsa_exception_fp_ieee_div_zero 0
		.amdhsa_exception_fp_ieee_overflow 0
		.amdhsa_exception_fp_ieee_underflow 0
		.amdhsa_exception_fp_ieee_inexact 0
		.amdhsa_exception_int_div_zero 0
	.end_amdhsa_kernel
	.section	.text._ZN7rocprim17ROCPRIM_400000_NS6detail17trampoline_kernelINS0_14default_configENS1_25partition_config_selectorILNS1_17partition_subalgoE5EsNS0_10empty_typeEbEEZZNS1_14partition_implILS5_5ELb0ES3_mN6thrust23THRUST_200600_302600_NS6detail15normal_iteratorINSA_10device_ptrIsEEEEPS6_NSA_18transform_iteratorINSB_9not_fun_tI7is_trueIsEEENSC_INSD_IbEEEENSA_11use_defaultESO_EENS0_5tupleIJNSA_16discard_iteratorISO_EES6_EEENSQ_IJSG_SG_EEES6_PlJS6_EEE10hipError_tPvRmT3_T4_T5_T6_T7_T9_mT8_P12ihipStream_tbDpT10_ENKUlT_T0_E_clISt17integral_constantIbLb1EES1F_EEDaS1A_S1B_EUlS1A_E_NS1_11comp_targetILNS1_3genE5ELNS1_11target_archE942ELNS1_3gpuE9ELNS1_3repE0EEENS1_30default_config_static_selectorELNS0_4arch9wavefront6targetE0EEEvT1_,"axG",@progbits,_ZN7rocprim17ROCPRIM_400000_NS6detail17trampoline_kernelINS0_14default_configENS1_25partition_config_selectorILNS1_17partition_subalgoE5EsNS0_10empty_typeEbEEZZNS1_14partition_implILS5_5ELb0ES3_mN6thrust23THRUST_200600_302600_NS6detail15normal_iteratorINSA_10device_ptrIsEEEEPS6_NSA_18transform_iteratorINSB_9not_fun_tI7is_trueIsEEENSC_INSD_IbEEEENSA_11use_defaultESO_EENS0_5tupleIJNSA_16discard_iteratorISO_EES6_EEENSQ_IJSG_SG_EEES6_PlJS6_EEE10hipError_tPvRmT3_T4_T5_T6_T7_T9_mT8_P12ihipStream_tbDpT10_ENKUlT_T0_E_clISt17integral_constantIbLb1EES1F_EEDaS1A_S1B_EUlS1A_E_NS1_11comp_targetILNS1_3genE5ELNS1_11target_archE942ELNS1_3gpuE9ELNS1_3repE0EEENS1_30default_config_static_selectorELNS0_4arch9wavefront6targetE0EEEvT1_,comdat
.Lfunc_end2822:
	.size	_ZN7rocprim17ROCPRIM_400000_NS6detail17trampoline_kernelINS0_14default_configENS1_25partition_config_selectorILNS1_17partition_subalgoE5EsNS0_10empty_typeEbEEZZNS1_14partition_implILS5_5ELb0ES3_mN6thrust23THRUST_200600_302600_NS6detail15normal_iteratorINSA_10device_ptrIsEEEEPS6_NSA_18transform_iteratorINSB_9not_fun_tI7is_trueIsEEENSC_INSD_IbEEEENSA_11use_defaultESO_EENS0_5tupleIJNSA_16discard_iteratorISO_EES6_EEENSQ_IJSG_SG_EEES6_PlJS6_EEE10hipError_tPvRmT3_T4_T5_T6_T7_T9_mT8_P12ihipStream_tbDpT10_ENKUlT_T0_E_clISt17integral_constantIbLb1EES1F_EEDaS1A_S1B_EUlS1A_E_NS1_11comp_targetILNS1_3genE5ELNS1_11target_archE942ELNS1_3gpuE9ELNS1_3repE0EEENS1_30default_config_static_selectorELNS0_4arch9wavefront6targetE0EEEvT1_, .Lfunc_end2822-_ZN7rocprim17ROCPRIM_400000_NS6detail17trampoline_kernelINS0_14default_configENS1_25partition_config_selectorILNS1_17partition_subalgoE5EsNS0_10empty_typeEbEEZZNS1_14partition_implILS5_5ELb0ES3_mN6thrust23THRUST_200600_302600_NS6detail15normal_iteratorINSA_10device_ptrIsEEEEPS6_NSA_18transform_iteratorINSB_9not_fun_tI7is_trueIsEEENSC_INSD_IbEEEENSA_11use_defaultESO_EENS0_5tupleIJNSA_16discard_iteratorISO_EES6_EEENSQ_IJSG_SG_EEES6_PlJS6_EEE10hipError_tPvRmT3_T4_T5_T6_T7_T9_mT8_P12ihipStream_tbDpT10_ENKUlT_T0_E_clISt17integral_constantIbLb1EES1F_EEDaS1A_S1B_EUlS1A_E_NS1_11comp_targetILNS1_3genE5ELNS1_11target_archE942ELNS1_3gpuE9ELNS1_3repE0EEENS1_30default_config_static_selectorELNS0_4arch9wavefront6targetE0EEEvT1_
                                        ; -- End function
	.set _ZN7rocprim17ROCPRIM_400000_NS6detail17trampoline_kernelINS0_14default_configENS1_25partition_config_selectorILNS1_17partition_subalgoE5EsNS0_10empty_typeEbEEZZNS1_14partition_implILS5_5ELb0ES3_mN6thrust23THRUST_200600_302600_NS6detail15normal_iteratorINSA_10device_ptrIsEEEEPS6_NSA_18transform_iteratorINSB_9not_fun_tI7is_trueIsEEENSC_INSD_IbEEEENSA_11use_defaultESO_EENS0_5tupleIJNSA_16discard_iteratorISO_EES6_EEENSQ_IJSG_SG_EEES6_PlJS6_EEE10hipError_tPvRmT3_T4_T5_T6_T7_T9_mT8_P12ihipStream_tbDpT10_ENKUlT_T0_E_clISt17integral_constantIbLb1EES1F_EEDaS1A_S1B_EUlS1A_E_NS1_11comp_targetILNS1_3genE5ELNS1_11target_archE942ELNS1_3gpuE9ELNS1_3repE0EEENS1_30default_config_static_selectorELNS0_4arch9wavefront6targetE0EEEvT1_.num_vgpr, 0
	.set _ZN7rocprim17ROCPRIM_400000_NS6detail17trampoline_kernelINS0_14default_configENS1_25partition_config_selectorILNS1_17partition_subalgoE5EsNS0_10empty_typeEbEEZZNS1_14partition_implILS5_5ELb0ES3_mN6thrust23THRUST_200600_302600_NS6detail15normal_iteratorINSA_10device_ptrIsEEEEPS6_NSA_18transform_iteratorINSB_9not_fun_tI7is_trueIsEEENSC_INSD_IbEEEENSA_11use_defaultESO_EENS0_5tupleIJNSA_16discard_iteratorISO_EES6_EEENSQ_IJSG_SG_EEES6_PlJS6_EEE10hipError_tPvRmT3_T4_T5_T6_T7_T9_mT8_P12ihipStream_tbDpT10_ENKUlT_T0_E_clISt17integral_constantIbLb1EES1F_EEDaS1A_S1B_EUlS1A_E_NS1_11comp_targetILNS1_3genE5ELNS1_11target_archE942ELNS1_3gpuE9ELNS1_3repE0EEENS1_30default_config_static_selectorELNS0_4arch9wavefront6targetE0EEEvT1_.num_agpr, 0
	.set _ZN7rocprim17ROCPRIM_400000_NS6detail17trampoline_kernelINS0_14default_configENS1_25partition_config_selectorILNS1_17partition_subalgoE5EsNS0_10empty_typeEbEEZZNS1_14partition_implILS5_5ELb0ES3_mN6thrust23THRUST_200600_302600_NS6detail15normal_iteratorINSA_10device_ptrIsEEEEPS6_NSA_18transform_iteratorINSB_9not_fun_tI7is_trueIsEEENSC_INSD_IbEEEENSA_11use_defaultESO_EENS0_5tupleIJNSA_16discard_iteratorISO_EES6_EEENSQ_IJSG_SG_EEES6_PlJS6_EEE10hipError_tPvRmT3_T4_T5_T6_T7_T9_mT8_P12ihipStream_tbDpT10_ENKUlT_T0_E_clISt17integral_constantIbLb1EES1F_EEDaS1A_S1B_EUlS1A_E_NS1_11comp_targetILNS1_3genE5ELNS1_11target_archE942ELNS1_3gpuE9ELNS1_3repE0EEENS1_30default_config_static_selectorELNS0_4arch9wavefront6targetE0EEEvT1_.numbered_sgpr, 0
	.set _ZN7rocprim17ROCPRIM_400000_NS6detail17trampoline_kernelINS0_14default_configENS1_25partition_config_selectorILNS1_17partition_subalgoE5EsNS0_10empty_typeEbEEZZNS1_14partition_implILS5_5ELb0ES3_mN6thrust23THRUST_200600_302600_NS6detail15normal_iteratorINSA_10device_ptrIsEEEEPS6_NSA_18transform_iteratorINSB_9not_fun_tI7is_trueIsEEENSC_INSD_IbEEEENSA_11use_defaultESO_EENS0_5tupleIJNSA_16discard_iteratorISO_EES6_EEENSQ_IJSG_SG_EEES6_PlJS6_EEE10hipError_tPvRmT3_T4_T5_T6_T7_T9_mT8_P12ihipStream_tbDpT10_ENKUlT_T0_E_clISt17integral_constantIbLb1EES1F_EEDaS1A_S1B_EUlS1A_E_NS1_11comp_targetILNS1_3genE5ELNS1_11target_archE942ELNS1_3gpuE9ELNS1_3repE0EEENS1_30default_config_static_selectorELNS0_4arch9wavefront6targetE0EEEvT1_.num_named_barrier, 0
	.set _ZN7rocprim17ROCPRIM_400000_NS6detail17trampoline_kernelINS0_14default_configENS1_25partition_config_selectorILNS1_17partition_subalgoE5EsNS0_10empty_typeEbEEZZNS1_14partition_implILS5_5ELb0ES3_mN6thrust23THRUST_200600_302600_NS6detail15normal_iteratorINSA_10device_ptrIsEEEEPS6_NSA_18transform_iteratorINSB_9not_fun_tI7is_trueIsEEENSC_INSD_IbEEEENSA_11use_defaultESO_EENS0_5tupleIJNSA_16discard_iteratorISO_EES6_EEENSQ_IJSG_SG_EEES6_PlJS6_EEE10hipError_tPvRmT3_T4_T5_T6_T7_T9_mT8_P12ihipStream_tbDpT10_ENKUlT_T0_E_clISt17integral_constantIbLb1EES1F_EEDaS1A_S1B_EUlS1A_E_NS1_11comp_targetILNS1_3genE5ELNS1_11target_archE942ELNS1_3gpuE9ELNS1_3repE0EEENS1_30default_config_static_selectorELNS0_4arch9wavefront6targetE0EEEvT1_.private_seg_size, 0
	.set _ZN7rocprim17ROCPRIM_400000_NS6detail17trampoline_kernelINS0_14default_configENS1_25partition_config_selectorILNS1_17partition_subalgoE5EsNS0_10empty_typeEbEEZZNS1_14partition_implILS5_5ELb0ES3_mN6thrust23THRUST_200600_302600_NS6detail15normal_iteratorINSA_10device_ptrIsEEEEPS6_NSA_18transform_iteratorINSB_9not_fun_tI7is_trueIsEEENSC_INSD_IbEEEENSA_11use_defaultESO_EENS0_5tupleIJNSA_16discard_iteratorISO_EES6_EEENSQ_IJSG_SG_EEES6_PlJS6_EEE10hipError_tPvRmT3_T4_T5_T6_T7_T9_mT8_P12ihipStream_tbDpT10_ENKUlT_T0_E_clISt17integral_constantIbLb1EES1F_EEDaS1A_S1B_EUlS1A_E_NS1_11comp_targetILNS1_3genE5ELNS1_11target_archE942ELNS1_3gpuE9ELNS1_3repE0EEENS1_30default_config_static_selectorELNS0_4arch9wavefront6targetE0EEEvT1_.uses_vcc, 0
	.set _ZN7rocprim17ROCPRIM_400000_NS6detail17trampoline_kernelINS0_14default_configENS1_25partition_config_selectorILNS1_17partition_subalgoE5EsNS0_10empty_typeEbEEZZNS1_14partition_implILS5_5ELb0ES3_mN6thrust23THRUST_200600_302600_NS6detail15normal_iteratorINSA_10device_ptrIsEEEEPS6_NSA_18transform_iteratorINSB_9not_fun_tI7is_trueIsEEENSC_INSD_IbEEEENSA_11use_defaultESO_EENS0_5tupleIJNSA_16discard_iteratorISO_EES6_EEENSQ_IJSG_SG_EEES6_PlJS6_EEE10hipError_tPvRmT3_T4_T5_T6_T7_T9_mT8_P12ihipStream_tbDpT10_ENKUlT_T0_E_clISt17integral_constantIbLb1EES1F_EEDaS1A_S1B_EUlS1A_E_NS1_11comp_targetILNS1_3genE5ELNS1_11target_archE942ELNS1_3gpuE9ELNS1_3repE0EEENS1_30default_config_static_selectorELNS0_4arch9wavefront6targetE0EEEvT1_.uses_flat_scratch, 0
	.set _ZN7rocprim17ROCPRIM_400000_NS6detail17trampoline_kernelINS0_14default_configENS1_25partition_config_selectorILNS1_17partition_subalgoE5EsNS0_10empty_typeEbEEZZNS1_14partition_implILS5_5ELb0ES3_mN6thrust23THRUST_200600_302600_NS6detail15normal_iteratorINSA_10device_ptrIsEEEEPS6_NSA_18transform_iteratorINSB_9not_fun_tI7is_trueIsEEENSC_INSD_IbEEEENSA_11use_defaultESO_EENS0_5tupleIJNSA_16discard_iteratorISO_EES6_EEENSQ_IJSG_SG_EEES6_PlJS6_EEE10hipError_tPvRmT3_T4_T5_T6_T7_T9_mT8_P12ihipStream_tbDpT10_ENKUlT_T0_E_clISt17integral_constantIbLb1EES1F_EEDaS1A_S1B_EUlS1A_E_NS1_11comp_targetILNS1_3genE5ELNS1_11target_archE942ELNS1_3gpuE9ELNS1_3repE0EEENS1_30default_config_static_selectorELNS0_4arch9wavefront6targetE0EEEvT1_.has_dyn_sized_stack, 0
	.set _ZN7rocprim17ROCPRIM_400000_NS6detail17trampoline_kernelINS0_14default_configENS1_25partition_config_selectorILNS1_17partition_subalgoE5EsNS0_10empty_typeEbEEZZNS1_14partition_implILS5_5ELb0ES3_mN6thrust23THRUST_200600_302600_NS6detail15normal_iteratorINSA_10device_ptrIsEEEEPS6_NSA_18transform_iteratorINSB_9not_fun_tI7is_trueIsEEENSC_INSD_IbEEEENSA_11use_defaultESO_EENS0_5tupleIJNSA_16discard_iteratorISO_EES6_EEENSQ_IJSG_SG_EEES6_PlJS6_EEE10hipError_tPvRmT3_T4_T5_T6_T7_T9_mT8_P12ihipStream_tbDpT10_ENKUlT_T0_E_clISt17integral_constantIbLb1EES1F_EEDaS1A_S1B_EUlS1A_E_NS1_11comp_targetILNS1_3genE5ELNS1_11target_archE942ELNS1_3gpuE9ELNS1_3repE0EEENS1_30default_config_static_selectorELNS0_4arch9wavefront6targetE0EEEvT1_.has_recursion, 0
	.set _ZN7rocprim17ROCPRIM_400000_NS6detail17trampoline_kernelINS0_14default_configENS1_25partition_config_selectorILNS1_17partition_subalgoE5EsNS0_10empty_typeEbEEZZNS1_14partition_implILS5_5ELb0ES3_mN6thrust23THRUST_200600_302600_NS6detail15normal_iteratorINSA_10device_ptrIsEEEEPS6_NSA_18transform_iteratorINSB_9not_fun_tI7is_trueIsEEENSC_INSD_IbEEEENSA_11use_defaultESO_EENS0_5tupleIJNSA_16discard_iteratorISO_EES6_EEENSQ_IJSG_SG_EEES6_PlJS6_EEE10hipError_tPvRmT3_T4_T5_T6_T7_T9_mT8_P12ihipStream_tbDpT10_ENKUlT_T0_E_clISt17integral_constantIbLb1EES1F_EEDaS1A_S1B_EUlS1A_E_NS1_11comp_targetILNS1_3genE5ELNS1_11target_archE942ELNS1_3gpuE9ELNS1_3repE0EEENS1_30default_config_static_selectorELNS0_4arch9wavefront6targetE0EEEvT1_.has_indirect_call, 0
	.section	.AMDGPU.csdata,"",@progbits
; Kernel info:
; codeLenInByte = 0
; TotalNumSgprs: 0
; NumVgprs: 0
; ScratchSize: 0
; MemoryBound: 0
; FloatMode: 240
; IeeeMode: 1
; LDSByteSize: 0 bytes/workgroup (compile time only)
; SGPRBlocks: 0
; VGPRBlocks: 0
; NumSGPRsForWavesPerEU: 1
; NumVGPRsForWavesPerEU: 1
; Occupancy: 16
; WaveLimiterHint : 0
; COMPUTE_PGM_RSRC2:SCRATCH_EN: 0
; COMPUTE_PGM_RSRC2:USER_SGPR: 2
; COMPUTE_PGM_RSRC2:TRAP_HANDLER: 0
; COMPUTE_PGM_RSRC2:TGID_X_EN: 1
; COMPUTE_PGM_RSRC2:TGID_Y_EN: 0
; COMPUTE_PGM_RSRC2:TGID_Z_EN: 0
; COMPUTE_PGM_RSRC2:TIDIG_COMP_CNT: 0
	.section	.text._ZN7rocprim17ROCPRIM_400000_NS6detail17trampoline_kernelINS0_14default_configENS1_25partition_config_selectorILNS1_17partition_subalgoE5EsNS0_10empty_typeEbEEZZNS1_14partition_implILS5_5ELb0ES3_mN6thrust23THRUST_200600_302600_NS6detail15normal_iteratorINSA_10device_ptrIsEEEEPS6_NSA_18transform_iteratorINSB_9not_fun_tI7is_trueIsEEENSC_INSD_IbEEEENSA_11use_defaultESO_EENS0_5tupleIJNSA_16discard_iteratorISO_EES6_EEENSQ_IJSG_SG_EEES6_PlJS6_EEE10hipError_tPvRmT3_T4_T5_T6_T7_T9_mT8_P12ihipStream_tbDpT10_ENKUlT_T0_E_clISt17integral_constantIbLb1EES1F_EEDaS1A_S1B_EUlS1A_E_NS1_11comp_targetILNS1_3genE4ELNS1_11target_archE910ELNS1_3gpuE8ELNS1_3repE0EEENS1_30default_config_static_selectorELNS0_4arch9wavefront6targetE0EEEvT1_,"axG",@progbits,_ZN7rocprim17ROCPRIM_400000_NS6detail17trampoline_kernelINS0_14default_configENS1_25partition_config_selectorILNS1_17partition_subalgoE5EsNS0_10empty_typeEbEEZZNS1_14partition_implILS5_5ELb0ES3_mN6thrust23THRUST_200600_302600_NS6detail15normal_iteratorINSA_10device_ptrIsEEEEPS6_NSA_18transform_iteratorINSB_9not_fun_tI7is_trueIsEEENSC_INSD_IbEEEENSA_11use_defaultESO_EENS0_5tupleIJNSA_16discard_iteratorISO_EES6_EEENSQ_IJSG_SG_EEES6_PlJS6_EEE10hipError_tPvRmT3_T4_T5_T6_T7_T9_mT8_P12ihipStream_tbDpT10_ENKUlT_T0_E_clISt17integral_constantIbLb1EES1F_EEDaS1A_S1B_EUlS1A_E_NS1_11comp_targetILNS1_3genE4ELNS1_11target_archE910ELNS1_3gpuE8ELNS1_3repE0EEENS1_30default_config_static_selectorELNS0_4arch9wavefront6targetE0EEEvT1_,comdat
	.protected	_ZN7rocprim17ROCPRIM_400000_NS6detail17trampoline_kernelINS0_14default_configENS1_25partition_config_selectorILNS1_17partition_subalgoE5EsNS0_10empty_typeEbEEZZNS1_14partition_implILS5_5ELb0ES3_mN6thrust23THRUST_200600_302600_NS6detail15normal_iteratorINSA_10device_ptrIsEEEEPS6_NSA_18transform_iteratorINSB_9not_fun_tI7is_trueIsEEENSC_INSD_IbEEEENSA_11use_defaultESO_EENS0_5tupleIJNSA_16discard_iteratorISO_EES6_EEENSQ_IJSG_SG_EEES6_PlJS6_EEE10hipError_tPvRmT3_T4_T5_T6_T7_T9_mT8_P12ihipStream_tbDpT10_ENKUlT_T0_E_clISt17integral_constantIbLb1EES1F_EEDaS1A_S1B_EUlS1A_E_NS1_11comp_targetILNS1_3genE4ELNS1_11target_archE910ELNS1_3gpuE8ELNS1_3repE0EEENS1_30default_config_static_selectorELNS0_4arch9wavefront6targetE0EEEvT1_ ; -- Begin function _ZN7rocprim17ROCPRIM_400000_NS6detail17trampoline_kernelINS0_14default_configENS1_25partition_config_selectorILNS1_17partition_subalgoE5EsNS0_10empty_typeEbEEZZNS1_14partition_implILS5_5ELb0ES3_mN6thrust23THRUST_200600_302600_NS6detail15normal_iteratorINSA_10device_ptrIsEEEEPS6_NSA_18transform_iteratorINSB_9not_fun_tI7is_trueIsEEENSC_INSD_IbEEEENSA_11use_defaultESO_EENS0_5tupleIJNSA_16discard_iteratorISO_EES6_EEENSQ_IJSG_SG_EEES6_PlJS6_EEE10hipError_tPvRmT3_T4_T5_T6_T7_T9_mT8_P12ihipStream_tbDpT10_ENKUlT_T0_E_clISt17integral_constantIbLb1EES1F_EEDaS1A_S1B_EUlS1A_E_NS1_11comp_targetILNS1_3genE4ELNS1_11target_archE910ELNS1_3gpuE8ELNS1_3repE0EEENS1_30default_config_static_selectorELNS0_4arch9wavefront6targetE0EEEvT1_
	.globl	_ZN7rocprim17ROCPRIM_400000_NS6detail17trampoline_kernelINS0_14default_configENS1_25partition_config_selectorILNS1_17partition_subalgoE5EsNS0_10empty_typeEbEEZZNS1_14partition_implILS5_5ELb0ES3_mN6thrust23THRUST_200600_302600_NS6detail15normal_iteratorINSA_10device_ptrIsEEEEPS6_NSA_18transform_iteratorINSB_9not_fun_tI7is_trueIsEEENSC_INSD_IbEEEENSA_11use_defaultESO_EENS0_5tupleIJNSA_16discard_iteratorISO_EES6_EEENSQ_IJSG_SG_EEES6_PlJS6_EEE10hipError_tPvRmT3_T4_T5_T6_T7_T9_mT8_P12ihipStream_tbDpT10_ENKUlT_T0_E_clISt17integral_constantIbLb1EES1F_EEDaS1A_S1B_EUlS1A_E_NS1_11comp_targetILNS1_3genE4ELNS1_11target_archE910ELNS1_3gpuE8ELNS1_3repE0EEENS1_30default_config_static_selectorELNS0_4arch9wavefront6targetE0EEEvT1_
	.p2align	8
	.type	_ZN7rocprim17ROCPRIM_400000_NS6detail17trampoline_kernelINS0_14default_configENS1_25partition_config_selectorILNS1_17partition_subalgoE5EsNS0_10empty_typeEbEEZZNS1_14partition_implILS5_5ELb0ES3_mN6thrust23THRUST_200600_302600_NS6detail15normal_iteratorINSA_10device_ptrIsEEEEPS6_NSA_18transform_iteratorINSB_9not_fun_tI7is_trueIsEEENSC_INSD_IbEEEENSA_11use_defaultESO_EENS0_5tupleIJNSA_16discard_iteratorISO_EES6_EEENSQ_IJSG_SG_EEES6_PlJS6_EEE10hipError_tPvRmT3_T4_T5_T6_T7_T9_mT8_P12ihipStream_tbDpT10_ENKUlT_T0_E_clISt17integral_constantIbLb1EES1F_EEDaS1A_S1B_EUlS1A_E_NS1_11comp_targetILNS1_3genE4ELNS1_11target_archE910ELNS1_3gpuE8ELNS1_3repE0EEENS1_30default_config_static_selectorELNS0_4arch9wavefront6targetE0EEEvT1_,@function
_ZN7rocprim17ROCPRIM_400000_NS6detail17trampoline_kernelINS0_14default_configENS1_25partition_config_selectorILNS1_17partition_subalgoE5EsNS0_10empty_typeEbEEZZNS1_14partition_implILS5_5ELb0ES3_mN6thrust23THRUST_200600_302600_NS6detail15normal_iteratorINSA_10device_ptrIsEEEEPS6_NSA_18transform_iteratorINSB_9not_fun_tI7is_trueIsEEENSC_INSD_IbEEEENSA_11use_defaultESO_EENS0_5tupleIJNSA_16discard_iteratorISO_EES6_EEENSQ_IJSG_SG_EEES6_PlJS6_EEE10hipError_tPvRmT3_T4_T5_T6_T7_T9_mT8_P12ihipStream_tbDpT10_ENKUlT_T0_E_clISt17integral_constantIbLb1EES1F_EEDaS1A_S1B_EUlS1A_E_NS1_11comp_targetILNS1_3genE4ELNS1_11target_archE910ELNS1_3gpuE8ELNS1_3repE0EEENS1_30default_config_static_selectorELNS0_4arch9wavefront6targetE0EEEvT1_: ; @_ZN7rocprim17ROCPRIM_400000_NS6detail17trampoline_kernelINS0_14default_configENS1_25partition_config_selectorILNS1_17partition_subalgoE5EsNS0_10empty_typeEbEEZZNS1_14partition_implILS5_5ELb0ES3_mN6thrust23THRUST_200600_302600_NS6detail15normal_iteratorINSA_10device_ptrIsEEEEPS6_NSA_18transform_iteratorINSB_9not_fun_tI7is_trueIsEEENSC_INSD_IbEEEENSA_11use_defaultESO_EENS0_5tupleIJNSA_16discard_iteratorISO_EES6_EEENSQ_IJSG_SG_EEES6_PlJS6_EEE10hipError_tPvRmT3_T4_T5_T6_T7_T9_mT8_P12ihipStream_tbDpT10_ENKUlT_T0_E_clISt17integral_constantIbLb1EES1F_EEDaS1A_S1B_EUlS1A_E_NS1_11comp_targetILNS1_3genE4ELNS1_11target_archE910ELNS1_3gpuE8ELNS1_3repE0EEENS1_30default_config_static_selectorELNS0_4arch9wavefront6targetE0EEEvT1_
; %bb.0:
	.section	.rodata,"a",@progbits
	.p2align	6, 0x0
	.amdhsa_kernel _ZN7rocprim17ROCPRIM_400000_NS6detail17trampoline_kernelINS0_14default_configENS1_25partition_config_selectorILNS1_17partition_subalgoE5EsNS0_10empty_typeEbEEZZNS1_14partition_implILS5_5ELb0ES3_mN6thrust23THRUST_200600_302600_NS6detail15normal_iteratorINSA_10device_ptrIsEEEEPS6_NSA_18transform_iteratorINSB_9not_fun_tI7is_trueIsEEENSC_INSD_IbEEEENSA_11use_defaultESO_EENS0_5tupleIJNSA_16discard_iteratorISO_EES6_EEENSQ_IJSG_SG_EEES6_PlJS6_EEE10hipError_tPvRmT3_T4_T5_T6_T7_T9_mT8_P12ihipStream_tbDpT10_ENKUlT_T0_E_clISt17integral_constantIbLb1EES1F_EEDaS1A_S1B_EUlS1A_E_NS1_11comp_targetILNS1_3genE4ELNS1_11target_archE910ELNS1_3gpuE8ELNS1_3repE0EEENS1_30default_config_static_selectorELNS0_4arch9wavefront6targetE0EEEvT1_
		.amdhsa_group_segment_fixed_size 0
		.amdhsa_private_segment_fixed_size 0
		.amdhsa_kernarg_size 144
		.amdhsa_user_sgpr_count 2
		.amdhsa_user_sgpr_dispatch_ptr 0
		.amdhsa_user_sgpr_queue_ptr 0
		.amdhsa_user_sgpr_kernarg_segment_ptr 1
		.amdhsa_user_sgpr_dispatch_id 0
		.amdhsa_user_sgpr_private_segment_size 0
		.amdhsa_wavefront_size32 1
		.amdhsa_uses_dynamic_stack 0
		.amdhsa_enable_private_segment 0
		.amdhsa_system_sgpr_workgroup_id_x 1
		.amdhsa_system_sgpr_workgroup_id_y 0
		.amdhsa_system_sgpr_workgroup_id_z 0
		.amdhsa_system_sgpr_workgroup_info 0
		.amdhsa_system_vgpr_workitem_id 0
		.amdhsa_next_free_vgpr 1
		.amdhsa_next_free_sgpr 1
		.amdhsa_reserve_vcc 0
		.amdhsa_float_round_mode_32 0
		.amdhsa_float_round_mode_16_64 0
		.amdhsa_float_denorm_mode_32 3
		.amdhsa_float_denorm_mode_16_64 3
		.amdhsa_fp16_overflow 0
		.amdhsa_workgroup_processor_mode 1
		.amdhsa_memory_ordered 1
		.amdhsa_forward_progress 1
		.amdhsa_inst_pref_size 0
		.amdhsa_round_robin_scheduling 0
		.amdhsa_exception_fp_ieee_invalid_op 0
		.amdhsa_exception_fp_denorm_src 0
		.amdhsa_exception_fp_ieee_div_zero 0
		.amdhsa_exception_fp_ieee_overflow 0
		.amdhsa_exception_fp_ieee_underflow 0
		.amdhsa_exception_fp_ieee_inexact 0
		.amdhsa_exception_int_div_zero 0
	.end_amdhsa_kernel
	.section	.text._ZN7rocprim17ROCPRIM_400000_NS6detail17trampoline_kernelINS0_14default_configENS1_25partition_config_selectorILNS1_17partition_subalgoE5EsNS0_10empty_typeEbEEZZNS1_14partition_implILS5_5ELb0ES3_mN6thrust23THRUST_200600_302600_NS6detail15normal_iteratorINSA_10device_ptrIsEEEEPS6_NSA_18transform_iteratorINSB_9not_fun_tI7is_trueIsEEENSC_INSD_IbEEEENSA_11use_defaultESO_EENS0_5tupleIJNSA_16discard_iteratorISO_EES6_EEENSQ_IJSG_SG_EEES6_PlJS6_EEE10hipError_tPvRmT3_T4_T5_T6_T7_T9_mT8_P12ihipStream_tbDpT10_ENKUlT_T0_E_clISt17integral_constantIbLb1EES1F_EEDaS1A_S1B_EUlS1A_E_NS1_11comp_targetILNS1_3genE4ELNS1_11target_archE910ELNS1_3gpuE8ELNS1_3repE0EEENS1_30default_config_static_selectorELNS0_4arch9wavefront6targetE0EEEvT1_,"axG",@progbits,_ZN7rocprim17ROCPRIM_400000_NS6detail17trampoline_kernelINS0_14default_configENS1_25partition_config_selectorILNS1_17partition_subalgoE5EsNS0_10empty_typeEbEEZZNS1_14partition_implILS5_5ELb0ES3_mN6thrust23THRUST_200600_302600_NS6detail15normal_iteratorINSA_10device_ptrIsEEEEPS6_NSA_18transform_iteratorINSB_9not_fun_tI7is_trueIsEEENSC_INSD_IbEEEENSA_11use_defaultESO_EENS0_5tupleIJNSA_16discard_iteratorISO_EES6_EEENSQ_IJSG_SG_EEES6_PlJS6_EEE10hipError_tPvRmT3_T4_T5_T6_T7_T9_mT8_P12ihipStream_tbDpT10_ENKUlT_T0_E_clISt17integral_constantIbLb1EES1F_EEDaS1A_S1B_EUlS1A_E_NS1_11comp_targetILNS1_3genE4ELNS1_11target_archE910ELNS1_3gpuE8ELNS1_3repE0EEENS1_30default_config_static_selectorELNS0_4arch9wavefront6targetE0EEEvT1_,comdat
.Lfunc_end2823:
	.size	_ZN7rocprim17ROCPRIM_400000_NS6detail17trampoline_kernelINS0_14default_configENS1_25partition_config_selectorILNS1_17partition_subalgoE5EsNS0_10empty_typeEbEEZZNS1_14partition_implILS5_5ELb0ES3_mN6thrust23THRUST_200600_302600_NS6detail15normal_iteratorINSA_10device_ptrIsEEEEPS6_NSA_18transform_iteratorINSB_9not_fun_tI7is_trueIsEEENSC_INSD_IbEEEENSA_11use_defaultESO_EENS0_5tupleIJNSA_16discard_iteratorISO_EES6_EEENSQ_IJSG_SG_EEES6_PlJS6_EEE10hipError_tPvRmT3_T4_T5_T6_T7_T9_mT8_P12ihipStream_tbDpT10_ENKUlT_T0_E_clISt17integral_constantIbLb1EES1F_EEDaS1A_S1B_EUlS1A_E_NS1_11comp_targetILNS1_3genE4ELNS1_11target_archE910ELNS1_3gpuE8ELNS1_3repE0EEENS1_30default_config_static_selectorELNS0_4arch9wavefront6targetE0EEEvT1_, .Lfunc_end2823-_ZN7rocprim17ROCPRIM_400000_NS6detail17trampoline_kernelINS0_14default_configENS1_25partition_config_selectorILNS1_17partition_subalgoE5EsNS0_10empty_typeEbEEZZNS1_14partition_implILS5_5ELb0ES3_mN6thrust23THRUST_200600_302600_NS6detail15normal_iteratorINSA_10device_ptrIsEEEEPS6_NSA_18transform_iteratorINSB_9not_fun_tI7is_trueIsEEENSC_INSD_IbEEEENSA_11use_defaultESO_EENS0_5tupleIJNSA_16discard_iteratorISO_EES6_EEENSQ_IJSG_SG_EEES6_PlJS6_EEE10hipError_tPvRmT3_T4_T5_T6_T7_T9_mT8_P12ihipStream_tbDpT10_ENKUlT_T0_E_clISt17integral_constantIbLb1EES1F_EEDaS1A_S1B_EUlS1A_E_NS1_11comp_targetILNS1_3genE4ELNS1_11target_archE910ELNS1_3gpuE8ELNS1_3repE0EEENS1_30default_config_static_selectorELNS0_4arch9wavefront6targetE0EEEvT1_
                                        ; -- End function
	.set _ZN7rocprim17ROCPRIM_400000_NS6detail17trampoline_kernelINS0_14default_configENS1_25partition_config_selectorILNS1_17partition_subalgoE5EsNS0_10empty_typeEbEEZZNS1_14partition_implILS5_5ELb0ES3_mN6thrust23THRUST_200600_302600_NS6detail15normal_iteratorINSA_10device_ptrIsEEEEPS6_NSA_18transform_iteratorINSB_9not_fun_tI7is_trueIsEEENSC_INSD_IbEEEENSA_11use_defaultESO_EENS0_5tupleIJNSA_16discard_iteratorISO_EES6_EEENSQ_IJSG_SG_EEES6_PlJS6_EEE10hipError_tPvRmT3_T4_T5_T6_T7_T9_mT8_P12ihipStream_tbDpT10_ENKUlT_T0_E_clISt17integral_constantIbLb1EES1F_EEDaS1A_S1B_EUlS1A_E_NS1_11comp_targetILNS1_3genE4ELNS1_11target_archE910ELNS1_3gpuE8ELNS1_3repE0EEENS1_30default_config_static_selectorELNS0_4arch9wavefront6targetE0EEEvT1_.num_vgpr, 0
	.set _ZN7rocprim17ROCPRIM_400000_NS6detail17trampoline_kernelINS0_14default_configENS1_25partition_config_selectorILNS1_17partition_subalgoE5EsNS0_10empty_typeEbEEZZNS1_14partition_implILS5_5ELb0ES3_mN6thrust23THRUST_200600_302600_NS6detail15normal_iteratorINSA_10device_ptrIsEEEEPS6_NSA_18transform_iteratorINSB_9not_fun_tI7is_trueIsEEENSC_INSD_IbEEEENSA_11use_defaultESO_EENS0_5tupleIJNSA_16discard_iteratorISO_EES6_EEENSQ_IJSG_SG_EEES6_PlJS6_EEE10hipError_tPvRmT3_T4_T5_T6_T7_T9_mT8_P12ihipStream_tbDpT10_ENKUlT_T0_E_clISt17integral_constantIbLb1EES1F_EEDaS1A_S1B_EUlS1A_E_NS1_11comp_targetILNS1_3genE4ELNS1_11target_archE910ELNS1_3gpuE8ELNS1_3repE0EEENS1_30default_config_static_selectorELNS0_4arch9wavefront6targetE0EEEvT1_.num_agpr, 0
	.set _ZN7rocprim17ROCPRIM_400000_NS6detail17trampoline_kernelINS0_14default_configENS1_25partition_config_selectorILNS1_17partition_subalgoE5EsNS0_10empty_typeEbEEZZNS1_14partition_implILS5_5ELb0ES3_mN6thrust23THRUST_200600_302600_NS6detail15normal_iteratorINSA_10device_ptrIsEEEEPS6_NSA_18transform_iteratorINSB_9not_fun_tI7is_trueIsEEENSC_INSD_IbEEEENSA_11use_defaultESO_EENS0_5tupleIJNSA_16discard_iteratorISO_EES6_EEENSQ_IJSG_SG_EEES6_PlJS6_EEE10hipError_tPvRmT3_T4_T5_T6_T7_T9_mT8_P12ihipStream_tbDpT10_ENKUlT_T0_E_clISt17integral_constantIbLb1EES1F_EEDaS1A_S1B_EUlS1A_E_NS1_11comp_targetILNS1_3genE4ELNS1_11target_archE910ELNS1_3gpuE8ELNS1_3repE0EEENS1_30default_config_static_selectorELNS0_4arch9wavefront6targetE0EEEvT1_.numbered_sgpr, 0
	.set _ZN7rocprim17ROCPRIM_400000_NS6detail17trampoline_kernelINS0_14default_configENS1_25partition_config_selectorILNS1_17partition_subalgoE5EsNS0_10empty_typeEbEEZZNS1_14partition_implILS5_5ELb0ES3_mN6thrust23THRUST_200600_302600_NS6detail15normal_iteratorINSA_10device_ptrIsEEEEPS6_NSA_18transform_iteratorINSB_9not_fun_tI7is_trueIsEEENSC_INSD_IbEEEENSA_11use_defaultESO_EENS0_5tupleIJNSA_16discard_iteratorISO_EES6_EEENSQ_IJSG_SG_EEES6_PlJS6_EEE10hipError_tPvRmT3_T4_T5_T6_T7_T9_mT8_P12ihipStream_tbDpT10_ENKUlT_T0_E_clISt17integral_constantIbLb1EES1F_EEDaS1A_S1B_EUlS1A_E_NS1_11comp_targetILNS1_3genE4ELNS1_11target_archE910ELNS1_3gpuE8ELNS1_3repE0EEENS1_30default_config_static_selectorELNS0_4arch9wavefront6targetE0EEEvT1_.num_named_barrier, 0
	.set _ZN7rocprim17ROCPRIM_400000_NS6detail17trampoline_kernelINS0_14default_configENS1_25partition_config_selectorILNS1_17partition_subalgoE5EsNS0_10empty_typeEbEEZZNS1_14partition_implILS5_5ELb0ES3_mN6thrust23THRUST_200600_302600_NS6detail15normal_iteratorINSA_10device_ptrIsEEEEPS6_NSA_18transform_iteratorINSB_9not_fun_tI7is_trueIsEEENSC_INSD_IbEEEENSA_11use_defaultESO_EENS0_5tupleIJNSA_16discard_iteratorISO_EES6_EEENSQ_IJSG_SG_EEES6_PlJS6_EEE10hipError_tPvRmT3_T4_T5_T6_T7_T9_mT8_P12ihipStream_tbDpT10_ENKUlT_T0_E_clISt17integral_constantIbLb1EES1F_EEDaS1A_S1B_EUlS1A_E_NS1_11comp_targetILNS1_3genE4ELNS1_11target_archE910ELNS1_3gpuE8ELNS1_3repE0EEENS1_30default_config_static_selectorELNS0_4arch9wavefront6targetE0EEEvT1_.private_seg_size, 0
	.set _ZN7rocprim17ROCPRIM_400000_NS6detail17trampoline_kernelINS0_14default_configENS1_25partition_config_selectorILNS1_17partition_subalgoE5EsNS0_10empty_typeEbEEZZNS1_14partition_implILS5_5ELb0ES3_mN6thrust23THRUST_200600_302600_NS6detail15normal_iteratorINSA_10device_ptrIsEEEEPS6_NSA_18transform_iteratorINSB_9not_fun_tI7is_trueIsEEENSC_INSD_IbEEEENSA_11use_defaultESO_EENS0_5tupleIJNSA_16discard_iteratorISO_EES6_EEENSQ_IJSG_SG_EEES6_PlJS6_EEE10hipError_tPvRmT3_T4_T5_T6_T7_T9_mT8_P12ihipStream_tbDpT10_ENKUlT_T0_E_clISt17integral_constantIbLb1EES1F_EEDaS1A_S1B_EUlS1A_E_NS1_11comp_targetILNS1_3genE4ELNS1_11target_archE910ELNS1_3gpuE8ELNS1_3repE0EEENS1_30default_config_static_selectorELNS0_4arch9wavefront6targetE0EEEvT1_.uses_vcc, 0
	.set _ZN7rocprim17ROCPRIM_400000_NS6detail17trampoline_kernelINS0_14default_configENS1_25partition_config_selectorILNS1_17partition_subalgoE5EsNS0_10empty_typeEbEEZZNS1_14partition_implILS5_5ELb0ES3_mN6thrust23THRUST_200600_302600_NS6detail15normal_iteratorINSA_10device_ptrIsEEEEPS6_NSA_18transform_iteratorINSB_9not_fun_tI7is_trueIsEEENSC_INSD_IbEEEENSA_11use_defaultESO_EENS0_5tupleIJNSA_16discard_iteratorISO_EES6_EEENSQ_IJSG_SG_EEES6_PlJS6_EEE10hipError_tPvRmT3_T4_T5_T6_T7_T9_mT8_P12ihipStream_tbDpT10_ENKUlT_T0_E_clISt17integral_constantIbLb1EES1F_EEDaS1A_S1B_EUlS1A_E_NS1_11comp_targetILNS1_3genE4ELNS1_11target_archE910ELNS1_3gpuE8ELNS1_3repE0EEENS1_30default_config_static_selectorELNS0_4arch9wavefront6targetE0EEEvT1_.uses_flat_scratch, 0
	.set _ZN7rocprim17ROCPRIM_400000_NS6detail17trampoline_kernelINS0_14default_configENS1_25partition_config_selectorILNS1_17partition_subalgoE5EsNS0_10empty_typeEbEEZZNS1_14partition_implILS5_5ELb0ES3_mN6thrust23THRUST_200600_302600_NS6detail15normal_iteratorINSA_10device_ptrIsEEEEPS6_NSA_18transform_iteratorINSB_9not_fun_tI7is_trueIsEEENSC_INSD_IbEEEENSA_11use_defaultESO_EENS0_5tupleIJNSA_16discard_iteratorISO_EES6_EEENSQ_IJSG_SG_EEES6_PlJS6_EEE10hipError_tPvRmT3_T4_T5_T6_T7_T9_mT8_P12ihipStream_tbDpT10_ENKUlT_T0_E_clISt17integral_constantIbLb1EES1F_EEDaS1A_S1B_EUlS1A_E_NS1_11comp_targetILNS1_3genE4ELNS1_11target_archE910ELNS1_3gpuE8ELNS1_3repE0EEENS1_30default_config_static_selectorELNS0_4arch9wavefront6targetE0EEEvT1_.has_dyn_sized_stack, 0
	.set _ZN7rocprim17ROCPRIM_400000_NS6detail17trampoline_kernelINS0_14default_configENS1_25partition_config_selectorILNS1_17partition_subalgoE5EsNS0_10empty_typeEbEEZZNS1_14partition_implILS5_5ELb0ES3_mN6thrust23THRUST_200600_302600_NS6detail15normal_iteratorINSA_10device_ptrIsEEEEPS6_NSA_18transform_iteratorINSB_9not_fun_tI7is_trueIsEEENSC_INSD_IbEEEENSA_11use_defaultESO_EENS0_5tupleIJNSA_16discard_iteratorISO_EES6_EEENSQ_IJSG_SG_EEES6_PlJS6_EEE10hipError_tPvRmT3_T4_T5_T6_T7_T9_mT8_P12ihipStream_tbDpT10_ENKUlT_T0_E_clISt17integral_constantIbLb1EES1F_EEDaS1A_S1B_EUlS1A_E_NS1_11comp_targetILNS1_3genE4ELNS1_11target_archE910ELNS1_3gpuE8ELNS1_3repE0EEENS1_30default_config_static_selectorELNS0_4arch9wavefront6targetE0EEEvT1_.has_recursion, 0
	.set _ZN7rocprim17ROCPRIM_400000_NS6detail17trampoline_kernelINS0_14default_configENS1_25partition_config_selectorILNS1_17partition_subalgoE5EsNS0_10empty_typeEbEEZZNS1_14partition_implILS5_5ELb0ES3_mN6thrust23THRUST_200600_302600_NS6detail15normal_iteratorINSA_10device_ptrIsEEEEPS6_NSA_18transform_iteratorINSB_9not_fun_tI7is_trueIsEEENSC_INSD_IbEEEENSA_11use_defaultESO_EENS0_5tupleIJNSA_16discard_iteratorISO_EES6_EEENSQ_IJSG_SG_EEES6_PlJS6_EEE10hipError_tPvRmT3_T4_T5_T6_T7_T9_mT8_P12ihipStream_tbDpT10_ENKUlT_T0_E_clISt17integral_constantIbLb1EES1F_EEDaS1A_S1B_EUlS1A_E_NS1_11comp_targetILNS1_3genE4ELNS1_11target_archE910ELNS1_3gpuE8ELNS1_3repE0EEENS1_30default_config_static_selectorELNS0_4arch9wavefront6targetE0EEEvT1_.has_indirect_call, 0
	.section	.AMDGPU.csdata,"",@progbits
; Kernel info:
; codeLenInByte = 0
; TotalNumSgprs: 0
; NumVgprs: 0
; ScratchSize: 0
; MemoryBound: 0
; FloatMode: 240
; IeeeMode: 1
; LDSByteSize: 0 bytes/workgroup (compile time only)
; SGPRBlocks: 0
; VGPRBlocks: 0
; NumSGPRsForWavesPerEU: 1
; NumVGPRsForWavesPerEU: 1
; Occupancy: 16
; WaveLimiterHint : 0
; COMPUTE_PGM_RSRC2:SCRATCH_EN: 0
; COMPUTE_PGM_RSRC2:USER_SGPR: 2
; COMPUTE_PGM_RSRC2:TRAP_HANDLER: 0
; COMPUTE_PGM_RSRC2:TGID_X_EN: 1
; COMPUTE_PGM_RSRC2:TGID_Y_EN: 0
; COMPUTE_PGM_RSRC2:TGID_Z_EN: 0
; COMPUTE_PGM_RSRC2:TIDIG_COMP_CNT: 0
	.section	.text._ZN7rocprim17ROCPRIM_400000_NS6detail17trampoline_kernelINS0_14default_configENS1_25partition_config_selectorILNS1_17partition_subalgoE5EsNS0_10empty_typeEbEEZZNS1_14partition_implILS5_5ELb0ES3_mN6thrust23THRUST_200600_302600_NS6detail15normal_iteratorINSA_10device_ptrIsEEEEPS6_NSA_18transform_iteratorINSB_9not_fun_tI7is_trueIsEEENSC_INSD_IbEEEENSA_11use_defaultESO_EENS0_5tupleIJNSA_16discard_iteratorISO_EES6_EEENSQ_IJSG_SG_EEES6_PlJS6_EEE10hipError_tPvRmT3_T4_T5_T6_T7_T9_mT8_P12ihipStream_tbDpT10_ENKUlT_T0_E_clISt17integral_constantIbLb1EES1F_EEDaS1A_S1B_EUlS1A_E_NS1_11comp_targetILNS1_3genE3ELNS1_11target_archE908ELNS1_3gpuE7ELNS1_3repE0EEENS1_30default_config_static_selectorELNS0_4arch9wavefront6targetE0EEEvT1_,"axG",@progbits,_ZN7rocprim17ROCPRIM_400000_NS6detail17trampoline_kernelINS0_14default_configENS1_25partition_config_selectorILNS1_17partition_subalgoE5EsNS0_10empty_typeEbEEZZNS1_14partition_implILS5_5ELb0ES3_mN6thrust23THRUST_200600_302600_NS6detail15normal_iteratorINSA_10device_ptrIsEEEEPS6_NSA_18transform_iteratorINSB_9not_fun_tI7is_trueIsEEENSC_INSD_IbEEEENSA_11use_defaultESO_EENS0_5tupleIJNSA_16discard_iteratorISO_EES6_EEENSQ_IJSG_SG_EEES6_PlJS6_EEE10hipError_tPvRmT3_T4_T5_T6_T7_T9_mT8_P12ihipStream_tbDpT10_ENKUlT_T0_E_clISt17integral_constantIbLb1EES1F_EEDaS1A_S1B_EUlS1A_E_NS1_11comp_targetILNS1_3genE3ELNS1_11target_archE908ELNS1_3gpuE7ELNS1_3repE0EEENS1_30default_config_static_selectorELNS0_4arch9wavefront6targetE0EEEvT1_,comdat
	.protected	_ZN7rocprim17ROCPRIM_400000_NS6detail17trampoline_kernelINS0_14default_configENS1_25partition_config_selectorILNS1_17partition_subalgoE5EsNS0_10empty_typeEbEEZZNS1_14partition_implILS5_5ELb0ES3_mN6thrust23THRUST_200600_302600_NS6detail15normal_iteratorINSA_10device_ptrIsEEEEPS6_NSA_18transform_iteratorINSB_9not_fun_tI7is_trueIsEEENSC_INSD_IbEEEENSA_11use_defaultESO_EENS0_5tupleIJNSA_16discard_iteratorISO_EES6_EEENSQ_IJSG_SG_EEES6_PlJS6_EEE10hipError_tPvRmT3_T4_T5_T6_T7_T9_mT8_P12ihipStream_tbDpT10_ENKUlT_T0_E_clISt17integral_constantIbLb1EES1F_EEDaS1A_S1B_EUlS1A_E_NS1_11comp_targetILNS1_3genE3ELNS1_11target_archE908ELNS1_3gpuE7ELNS1_3repE0EEENS1_30default_config_static_selectorELNS0_4arch9wavefront6targetE0EEEvT1_ ; -- Begin function _ZN7rocprim17ROCPRIM_400000_NS6detail17trampoline_kernelINS0_14default_configENS1_25partition_config_selectorILNS1_17partition_subalgoE5EsNS0_10empty_typeEbEEZZNS1_14partition_implILS5_5ELb0ES3_mN6thrust23THRUST_200600_302600_NS6detail15normal_iteratorINSA_10device_ptrIsEEEEPS6_NSA_18transform_iteratorINSB_9not_fun_tI7is_trueIsEEENSC_INSD_IbEEEENSA_11use_defaultESO_EENS0_5tupleIJNSA_16discard_iteratorISO_EES6_EEENSQ_IJSG_SG_EEES6_PlJS6_EEE10hipError_tPvRmT3_T4_T5_T6_T7_T9_mT8_P12ihipStream_tbDpT10_ENKUlT_T0_E_clISt17integral_constantIbLb1EES1F_EEDaS1A_S1B_EUlS1A_E_NS1_11comp_targetILNS1_3genE3ELNS1_11target_archE908ELNS1_3gpuE7ELNS1_3repE0EEENS1_30default_config_static_selectorELNS0_4arch9wavefront6targetE0EEEvT1_
	.globl	_ZN7rocprim17ROCPRIM_400000_NS6detail17trampoline_kernelINS0_14default_configENS1_25partition_config_selectorILNS1_17partition_subalgoE5EsNS0_10empty_typeEbEEZZNS1_14partition_implILS5_5ELb0ES3_mN6thrust23THRUST_200600_302600_NS6detail15normal_iteratorINSA_10device_ptrIsEEEEPS6_NSA_18transform_iteratorINSB_9not_fun_tI7is_trueIsEEENSC_INSD_IbEEEENSA_11use_defaultESO_EENS0_5tupleIJNSA_16discard_iteratorISO_EES6_EEENSQ_IJSG_SG_EEES6_PlJS6_EEE10hipError_tPvRmT3_T4_T5_T6_T7_T9_mT8_P12ihipStream_tbDpT10_ENKUlT_T0_E_clISt17integral_constantIbLb1EES1F_EEDaS1A_S1B_EUlS1A_E_NS1_11comp_targetILNS1_3genE3ELNS1_11target_archE908ELNS1_3gpuE7ELNS1_3repE0EEENS1_30default_config_static_selectorELNS0_4arch9wavefront6targetE0EEEvT1_
	.p2align	8
	.type	_ZN7rocprim17ROCPRIM_400000_NS6detail17trampoline_kernelINS0_14default_configENS1_25partition_config_selectorILNS1_17partition_subalgoE5EsNS0_10empty_typeEbEEZZNS1_14partition_implILS5_5ELb0ES3_mN6thrust23THRUST_200600_302600_NS6detail15normal_iteratorINSA_10device_ptrIsEEEEPS6_NSA_18transform_iteratorINSB_9not_fun_tI7is_trueIsEEENSC_INSD_IbEEEENSA_11use_defaultESO_EENS0_5tupleIJNSA_16discard_iteratorISO_EES6_EEENSQ_IJSG_SG_EEES6_PlJS6_EEE10hipError_tPvRmT3_T4_T5_T6_T7_T9_mT8_P12ihipStream_tbDpT10_ENKUlT_T0_E_clISt17integral_constantIbLb1EES1F_EEDaS1A_S1B_EUlS1A_E_NS1_11comp_targetILNS1_3genE3ELNS1_11target_archE908ELNS1_3gpuE7ELNS1_3repE0EEENS1_30default_config_static_selectorELNS0_4arch9wavefront6targetE0EEEvT1_,@function
_ZN7rocprim17ROCPRIM_400000_NS6detail17trampoline_kernelINS0_14default_configENS1_25partition_config_selectorILNS1_17partition_subalgoE5EsNS0_10empty_typeEbEEZZNS1_14partition_implILS5_5ELb0ES3_mN6thrust23THRUST_200600_302600_NS6detail15normal_iteratorINSA_10device_ptrIsEEEEPS6_NSA_18transform_iteratorINSB_9not_fun_tI7is_trueIsEEENSC_INSD_IbEEEENSA_11use_defaultESO_EENS0_5tupleIJNSA_16discard_iteratorISO_EES6_EEENSQ_IJSG_SG_EEES6_PlJS6_EEE10hipError_tPvRmT3_T4_T5_T6_T7_T9_mT8_P12ihipStream_tbDpT10_ENKUlT_T0_E_clISt17integral_constantIbLb1EES1F_EEDaS1A_S1B_EUlS1A_E_NS1_11comp_targetILNS1_3genE3ELNS1_11target_archE908ELNS1_3gpuE7ELNS1_3repE0EEENS1_30default_config_static_selectorELNS0_4arch9wavefront6targetE0EEEvT1_: ; @_ZN7rocprim17ROCPRIM_400000_NS6detail17trampoline_kernelINS0_14default_configENS1_25partition_config_selectorILNS1_17partition_subalgoE5EsNS0_10empty_typeEbEEZZNS1_14partition_implILS5_5ELb0ES3_mN6thrust23THRUST_200600_302600_NS6detail15normal_iteratorINSA_10device_ptrIsEEEEPS6_NSA_18transform_iteratorINSB_9not_fun_tI7is_trueIsEEENSC_INSD_IbEEEENSA_11use_defaultESO_EENS0_5tupleIJNSA_16discard_iteratorISO_EES6_EEENSQ_IJSG_SG_EEES6_PlJS6_EEE10hipError_tPvRmT3_T4_T5_T6_T7_T9_mT8_P12ihipStream_tbDpT10_ENKUlT_T0_E_clISt17integral_constantIbLb1EES1F_EEDaS1A_S1B_EUlS1A_E_NS1_11comp_targetILNS1_3genE3ELNS1_11target_archE908ELNS1_3gpuE7ELNS1_3repE0EEENS1_30default_config_static_selectorELNS0_4arch9wavefront6targetE0EEEvT1_
; %bb.0:
	.section	.rodata,"a",@progbits
	.p2align	6, 0x0
	.amdhsa_kernel _ZN7rocprim17ROCPRIM_400000_NS6detail17trampoline_kernelINS0_14default_configENS1_25partition_config_selectorILNS1_17partition_subalgoE5EsNS0_10empty_typeEbEEZZNS1_14partition_implILS5_5ELb0ES3_mN6thrust23THRUST_200600_302600_NS6detail15normal_iteratorINSA_10device_ptrIsEEEEPS6_NSA_18transform_iteratorINSB_9not_fun_tI7is_trueIsEEENSC_INSD_IbEEEENSA_11use_defaultESO_EENS0_5tupleIJNSA_16discard_iteratorISO_EES6_EEENSQ_IJSG_SG_EEES6_PlJS6_EEE10hipError_tPvRmT3_T4_T5_T6_T7_T9_mT8_P12ihipStream_tbDpT10_ENKUlT_T0_E_clISt17integral_constantIbLb1EES1F_EEDaS1A_S1B_EUlS1A_E_NS1_11comp_targetILNS1_3genE3ELNS1_11target_archE908ELNS1_3gpuE7ELNS1_3repE0EEENS1_30default_config_static_selectorELNS0_4arch9wavefront6targetE0EEEvT1_
		.amdhsa_group_segment_fixed_size 0
		.amdhsa_private_segment_fixed_size 0
		.amdhsa_kernarg_size 144
		.amdhsa_user_sgpr_count 2
		.amdhsa_user_sgpr_dispatch_ptr 0
		.amdhsa_user_sgpr_queue_ptr 0
		.amdhsa_user_sgpr_kernarg_segment_ptr 1
		.amdhsa_user_sgpr_dispatch_id 0
		.amdhsa_user_sgpr_private_segment_size 0
		.amdhsa_wavefront_size32 1
		.amdhsa_uses_dynamic_stack 0
		.amdhsa_enable_private_segment 0
		.amdhsa_system_sgpr_workgroup_id_x 1
		.amdhsa_system_sgpr_workgroup_id_y 0
		.amdhsa_system_sgpr_workgroup_id_z 0
		.amdhsa_system_sgpr_workgroup_info 0
		.amdhsa_system_vgpr_workitem_id 0
		.amdhsa_next_free_vgpr 1
		.amdhsa_next_free_sgpr 1
		.amdhsa_reserve_vcc 0
		.amdhsa_float_round_mode_32 0
		.amdhsa_float_round_mode_16_64 0
		.amdhsa_float_denorm_mode_32 3
		.amdhsa_float_denorm_mode_16_64 3
		.amdhsa_fp16_overflow 0
		.amdhsa_workgroup_processor_mode 1
		.amdhsa_memory_ordered 1
		.amdhsa_forward_progress 1
		.amdhsa_inst_pref_size 0
		.amdhsa_round_robin_scheduling 0
		.amdhsa_exception_fp_ieee_invalid_op 0
		.amdhsa_exception_fp_denorm_src 0
		.amdhsa_exception_fp_ieee_div_zero 0
		.amdhsa_exception_fp_ieee_overflow 0
		.amdhsa_exception_fp_ieee_underflow 0
		.amdhsa_exception_fp_ieee_inexact 0
		.amdhsa_exception_int_div_zero 0
	.end_amdhsa_kernel
	.section	.text._ZN7rocprim17ROCPRIM_400000_NS6detail17trampoline_kernelINS0_14default_configENS1_25partition_config_selectorILNS1_17partition_subalgoE5EsNS0_10empty_typeEbEEZZNS1_14partition_implILS5_5ELb0ES3_mN6thrust23THRUST_200600_302600_NS6detail15normal_iteratorINSA_10device_ptrIsEEEEPS6_NSA_18transform_iteratorINSB_9not_fun_tI7is_trueIsEEENSC_INSD_IbEEEENSA_11use_defaultESO_EENS0_5tupleIJNSA_16discard_iteratorISO_EES6_EEENSQ_IJSG_SG_EEES6_PlJS6_EEE10hipError_tPvRmT3_T4_T5_T6_T7_T9_mT8_P12ihipStream_tbDpT10_ENKUlT_T0_E_clISt17integral_constantIbLb1EES1F_EEDaS1A_S1B_EUlS1A_E_NS1_11comp_targetILNS1_3genE3ELNS1_11target_archE908ELNS1_3gpuE7ELNS1_3repE0EEENS1_30default_config_static_selectorELNS0_4arch9wavefront6targetE0EEEvT1_,"axG",@progbits,_ZN7rocprim17ROCPRIM_400000_NS6detail17trampoline_kernelINS0_14default_configENS1_25partition_config_selectorILNS1_17partition_subalgoE5EsNS0_10empty_typeEbEEZZNS1_14partition_implILS5_5ELb0ES3_mN6thrust23THRUST_200600_302600_NS6detail15normal_iteratorINSA_10device_ptrIsEEEEPS6_NSA_18transform_iteratorINSB_9not_fun_tI7is_trueIsEEENSC_INSD_IbEEEENSA_11use_defaultESO_EENS0_5tupleIJNSA_16discard_iteratorISO_EES6_EEENSQ_IJSG_SG_EEES6_PlJS6_EEE10hipError_tPvRmT3_T4_T5_T6_T7_T9_mT8_P12ihipStream_tbDpT10_ENKUlT_T0_E_clISt17integral_constantIbLb1EES1F_EEDaS1A_S1B_EUlS1A_E_NS1_11comp_targetILNS1_3genE3ELNS1_11target_archE908ELNS1_3gpuE7ELNS1_3repE0EEENS1_30default_config_static_selectorELNS0_4arch9wavefront6targetE0EEEvT1_,comdat
.Lfunc_end2824:
	.size	_ZN7rocprim17ROCPRIM_400000_NS6detail17trampoline_kernelINS0_14default_configENS1_25partition_config_selectorILNS1_17partition_subalgoE5EsNS0_10empty_typeEbEEZZNS1_14partition_implILS5_5ELb0ES3_mN6thrust23THRUST_200600_302600_NS6detail15normal_iteratorINSA_10device_ptrIsEEEEPS6_NSA_18transform_iteratorINSB_9not_fun_tI7is_trueIsEEENSC_INSD_IbEEEENSA_11use_defaultESO_EENS0_5tupleIJNSA_16discard_iteratorISO_EES6_EEENSQ_IJSG_SG_EEES6_PlJS6_EEE10hipError_tPvRmT3_T4_T5_T6_T7_T9_mT8_P12ihipStream_tbDpT10_ENKUlT_T0_E_clISt17integral_constantIbLb1EES1F_EEDaS1A_S1B_EUlS1A_E_NS1_11comp_targetILNS1_3genE3ELNS1_11target_archE908ELNS1_3gpuE7ELNS1_3repE0EEENS1_30default_config_static_selectorELNS0_4arch9wavefront6targetE0EEEvT1_, .Lfunc_end2824-_ZN7rocprim17ROCPRIM_400000_NS6detail17trampoline_kernelINS0_14default_configENS1_25partition_config_selectorILNS1_17partition_subalgoE5EsNS0_10empty_typeEbEEZZNS1_14partition_implILS5_5ELb0ES3_mN6thrust23THRUST_200600_302600_NS6detail15normal_iteratorINSA_10device_ptrIsEEEEPS6_NSA_18transform_iteratorINSB_9not_fun_tI7is_trueIsEEENSC_INSD_IbEEEENSA_11use_defaultESO_EENS0_5tupleIJNSA_16discard_iteratorISO_EES6_EEENSQ_IJSG_SG_EEES6_PlJS6_EEE10hipError_tPvRmT3_T4_T5_T6_T7_T9_mT8_P12ihipStream_tbDpT10_ENKUlT_T0_E_clISt17integral_constantIbLb1EES1F_EEDaS1A_S1B_EUlS1A_E_NS1_11comp_targetILNS1_3genE3ELNS1_11target_archE908ELNS1_3gpuE7ELNS1_3repE0EEENS1_30default_config_static_selectorELNS0_4arch9wavefront6targetE0EEEvT1_
                                        ; -- End function
	.set _ZN7rocprim17ROCPRIM_400000_NS6detail17trampoline_kernelINS0_14default_configENS1_25partition_config_selectorILNS1_17partition_subalgoE5EsNS0_10empty_typeEbEEZZNS1_14partition_implILS5_5ELb0ES3_mN6thrust23THRUST_200600_302600_NS6detail15normal_iteratorINSA_10device_ptrIsEEEEPS6_NSA_18transform_iteratorINSB_9not_fun_tI7is_trueIsEEENSC_INSD_IbEEEENSA_11use_defaultESO_EENS0_5tupleIJNSA_16discard_iteratorISO_EES6_EEENSQ_IJSG_SG_EEES6_PlJS6_EEE10hipError_tPvRmT3_T4_T5_T6_T7_T9_mT8_P12ihipStream_tbDpT10_ENKUlT_T0_E_clISt17integral_constantIbLb1EES1F_EEDaS1A_S1B_EUlS1A_E_NS1_11comp_targetILNS1_3genE3ELNS1_11target_archE908ELNS1_3gpuE7ELNS1_3repE0EEENS1_30default_config_static_selectorELNS0_4arch9wavefront6targetE0EEEvT1_.num_vgpr, 0
	.set _ZN7rocprim17ROCPRIM_400000_NS6detail17trampoline_kernelINS0_14default_configENS1_25partition_config_selectorILNS1_17partition_subalgoE5EsNS0_10empty_typeEbEEZZNS1_14partition_implILS5_5ELb0ES3_mN6thrust23THRUST_200600_302600_NS6detail15normal_iteratorINSA_10device_ptrIsEEEEPS6_NSA_18transform_iteratorINSB_9not_fun_tI7is_trueIsEEENSC_INSD_IbEEEENSA_11use_defaultESO_EENS0_5tupleIJNSA_16discard_iteratorISO_EES6_EEENSQ_IJSG_SG_EEES6_PlJS6_EEE10hipError_tPvRmT3_T4_T5_T6_T7_T9_mT8_P12ihipStream_tbDpT10_ENKUlT_T0_E_clISt17integral_constantIbLb1EES1F_EEDaS1A_S1B_EUlS1A_E_NS1_11comp_targetILNS1_3genE3ELNS1_11target_archE908ELNS1_3gpuE7ELNS1_3repE0EEENS1_30default_config_static_selectorELNS0_4arch9wavefront6targetE0EEEvT1_.num_agpr, 0
	.set _ZN7rocprim17ROCPRIM_400000_NS6detail17trampoline_kernelINS0_14default_configENS1_25partition_config_selectorILNS1_17partition_subalgoE5EsNS0_10empty_typeEbEEZZNS1_14partition_implILS5_5ELb0ES3_mN6thrust23THRUST_200600_302600_NS6detail15normal_iteratorINSA_10device_ptrIsEEEEPS6_NSA_18transform_iteratorINSB_9not_fun_tI7is_trueIsEEENSC_INSD_IbEEEENSA_11use_defaultESO_EENS0_5tupleIJNSA_16discard_iteratorISO_EES6_EEENSQ_IJSG_SG_EEES6_PlJS6_EEE10hipError_tPvRmT3_T4_T5_T6_T7_T9_mT8_P12ihipStream_tbDpT10_ENKUlT_T0_E_clISt17integral_constantIbLb1EES1F_EEDaS1A_S1B_EUlS1A_E_NS1_11comp_targetILNS1_3genE3ELNS1_11target_archE908ELNS1_3gpuE7ELNS1_3repE0EEENS1_30default_config_static_selectorELNS0_4arch9wavefront6targetE0EEEvT1_.numbered_sgpr, 0
	.set _ZN7rocprim17ROCPRIM_400000_NS6detail17trampoline_kernelINS0_14default_configENS1_25partition_config_selectorILNS1_17partition_subalgoE5EsNS0_10empty_typeEbEEZZNS1_14partition_implILS5_5ELb0ES3_mN6thrust23THRUST_200600_302600_NS6detail15normal_iteratorINSA_10device_ptrIsEEEEPS6_NSA_18transform_iteratorINSB_9not_fun_tI7is_trueIsEEENSC_INSD_IbEEEENSA_11use_defaultESO_EENS0_5tupleIJNSA_16discard_iteratorISO_EES6_EEENSQ_IJSG_SG_EEES6_PlJS6_EEE10hipError_tPvRmT3_T4_T5_T6_T7_T9_mT8_P12ihipStream_tbDpT10_ENKUlT_T0_E_clISt17integral_constantIbLb1EES1F_EEDaS1A_S1B_EUlS1A_E_NS1_11comp_targetILNS1_3genE3ELNS1_11target_archE908ELNS1_3gpuE7ELNS1_3repE0EEENS1_30default_config_static_selectorELNS0_4arch9wavefront6targetE0EEEvT1_.num_named_barrier, 0
	.set _ZN7rocprim17ROCPRIM_400000_NS6detail17trampoline_kernelINS0_14default_configENS1_25partition_config_selectorILNS1_17partition_subalgoE5EsNS0_10empty_typeEbEEZZNS1_14partition_implILS5_5ELb0ES3_mN6thrust23THRUST_200600_302600_NS6detail15normal_iteratorINSA_10device_ptrIsEEEEPS6_NSA_18transform_iteratorINSB_9not_fun_tI7is_trueIsEEENSC_INSD_IbEEEENSA_11use_defaultESO_EENS0_5tupleIJNSA_16discard_iteratorISO_EES6_EEENSQ_IJSG_SG_EEES6_PlJS6_EEE10hipError_tPvRmT3_T4_T5_T6_T7_T9_mT8_P12ihipStream_tbDpT10_ENKUlT_T0_E_clISt17integral_constantIbLb1EES1F_EEDaS1A_S1B_EUlS1A_E_NS1_11comp_targetILNS1_3genE3ELNS1_11target_archE908ELNS1_3gpuE7ELNS1_3repE0EEENS1_30default_config_static_selectorELNS0_4arch9wavefront6targetE0EEEvT1_.private_seg_size, 0
	.set _ZN7rocprim17ROCPRIM_400000_NS6detail17trampoline_kernelINS0_14default_configENS1_25partition_config_selectorILNS1_17partition_subalgoE5EsNS0_10empty_typeEbEEZZNS1_14partition_implILS5_5ELb0ES3_mN6thrust23THRUST_200600_302600_NS6detail15normal_iteratorINSA_10device_ptrIsEEEEPS6_NSA_18transform_iteratorINSB_9not_fun_tI7is_trueIsEEENSC_INSD_IbEEEENSA_11use_defaultESO_EENS0_5tupleIJNSA_16discard_iteratorISO_EES6_EEENSQ_IJSG_SG_EEES6_PlJS6_EEE10hipError_tPvRmT3_T4_T5_T6_T7_T9_mT8_P12ihipStream_tbDpT10_ENKUlT_T0_E_clISt17integral_constantIbLb1EES1F_EEDaS1A_S1B_EUlS1A_E_NS1_11comp_targetILNS1_3genE3ELNS1_11target_archE908ELNS1_3gpuE7ELNS1_3repE0EEENS1_30default_config_static_selectorELNS0_4arch9wavefront6targetE0EEEvT1_.uses_vcc, 0
	.set _ZN7rocprim17ROCPRIM_400000_NS6detail17trampoline_kernelINS0_14default_configENS1_25partition_config_selectorILNS1_17partition_subalgoE5EsNS0_10empty_typeEbEEZZNS1_14partition_implILS5_5ELb0ES3_mN6thrust23THRUST_200600_302600_NS6detail15normal_iteratorINSA_10device_ptrIsEEEEPS6_NSA_18transform_iteratorINSB_9not_fun_tI7is_trueIsEEENSC_INSD_IbEEEENSA_11use_defaultESO_EENS0_5tupleIJNSA_16discard_iteratorISO_EES6_EEENSQ_IJSG_SG_EEES6_PlJS6_EEE10hipError_tPvRmT3_T4_T5_T6_T7_T9_mT8_P12ihipStream_tbDpT10_ENKUlT_T0_E_clISt17integral_constantIbLb1EES1F_EEDaS1A_S1B_EUlS1A_E_NS1_11comp_targetILNS1_3genE3ELNS1_11target_archE908ELNS1_3gpuE7ELNS1_3repE0EEENS1_30default_config_static_selectorELNS0_4arch9wavefront6targetE0EEEvT1_.uses_flat_scratch, 0
	.set _ZN7rocprim17ROCPRIM_400000_NS6detail17trampoline_kernelINS0_14default_configENS1_25partition_config_selectorILNS1_17partition_subalgoE5EsNS0_10empty_typeEbEEZZNS1_14partition_implILS5_5ELb0ES3_mN6thrust23THRUST_200600_302600_NS6detail15normal_iteratorINSA_10device_ptrIsEEEEPS6_NSA_18transform_iteratorINSB_9not_fun_tI7is_trueIsEEENSC_INSD_IbEEEENSA_11use_defaultESO_EENS0_5tupleIJNSA_16discard_iteratorISO_EES6_EEENSQ_IJSG_SG_EEES6_PlJS6_EEE10hipError_tPvRmT3_T4_T5_T6_T7_T9_mT8_P12ihipStream_tbDpT10_ENKUlT_T0_E_clISt17integral_constantIbLb1EES1F_EEDaS1A_S1B_EUlS1A_E_NS1_11comp_targetILNS1_3genE3ELNS1_11target_archE908ELNS1_3gpuE7ELNS1_3repE0EEENS1_30default_config_static_selectorELNS0_4arch9wavefront6targetE0EEEvT1_.has_dyn_sized_stack, 0
	.set _ZN7rocprim17ROCPRIM_400000_NS6detail17trampoline_kernelINS0_14default_configENS1_25partition_config_selectorILNS1_17partition_subalgoE5EsNS0_10empty_typeEbEEZZNS1_14partition_implILS5_5ELb0ES3_mN6thrust23THRUST_200600_302600_NS6detail15normal_iteratorINSA_10device_ptrIsEEEEPS6_NSA_18transform_iteratorINSB_9not_fun_tI7is_trueIsEEENSC_INSD_IbEEEENSA_11use_defaultESO_EENS0_5tupleIJNSA_16discard_iteratorISO_EES6_EEENSQ_IJSG_SG_EEES6_PlJS6_EEE10hipError_tPvRmT3_T4_T5_T6_T7_T9_mT8_P12ihipStream_tbDpT10_ENKUlT_T0_E_clISt17integral_constantIbLb1EES1F_EEDaS1A_S1B_EUlS1A_E_NS1_11comp_targetILNS1_3genE3ELNS1_11target_archE908ELNS1_3gpuE7ELNS1_3repE0EEENS1_30default_config_static_selectorELNS0_4arch9wavefront6targetE0EEEvT1_.has_recursion, 0
	.set _ZN7rocprim17ROCPRIM_400000_NS6detail17trampoline_kernelINS0_14default_configENS1_25partition_config_selectorILNS1_17partition_subalgoE5EsNS0_10empty_typeEbEEZZNS1_14partition_implILS5_5ELb0ES3_mN6thrust23THRUST_200600_302600_NS6detail15normal_iteratorINSA_10device_ptrIsEEEEPS6_NSA_18transform_iteratorINSB_9not_fun_tI7is_trueIsEEENSC_INSD_IbEEEENSA_11use_defaultESO_EENS0_5tupleIJNSA_16discard_iteratorISO_EES6_EEENSQ_IJSG_SG_EEES6_PlJS6_EEE10hipError_tPvRmT3_T4_T5_T6_T7_T9_mT8_P12ihipStream_tbDpT10_ENKUlT_T0_E_clISt17integral_constantIbLb1EES1F_EEDaS1A_S1B_EUlS1A_E_NS1_11comp_targetILNS1_3genE3ELNS1_11target_archE908ELNS1_3gpuE7ELNS1_3repE0EEENS1_30default_config_static_selectorELNS0_4arch9wavefront6targetE0EEEvT1_.has_indirect_call, 0
	.section	.AMDGPU.csdata,"",@progbits
; Kernel info:
; codeLenInByte = 0
; TotalNumSgprs: 0
; NumVgprs: 0
; ScratchSize: 0
; MemoryBound: 0
; FloatMode: 240
; IeeeMode: 1
; LDSByteSize: 0 bytes/workgroup (compile time only)
; SGPRBlocks: 0
; VGPRBlocks: 0
; NumSGPRsForWavesPerEU: 1
; NumVGPRsForWavesPerEU: 1
; Occupancy: 16
; WaveLimiterHint : 0
; COMPUTE_PGM_RSRC2:SCRATCH_EN: 0
; COMPUTE_PGM_RSRC2:USER_SGPR: 2
; COMPUTE_PGM_RSRC2:TRAP_HANDLER: 0
; COMPUTE_PGM_RSRC2:TGID_X_EN: 1
; COMPUTE_PGM_RSRC2:TGID_Y_EN: 0
; COMPUTE_PGM_RSRC2:TGID_Z_EN: 0
; COMPUTE_PGM_RSRC2:TIDIG_COMP_CNT: 0
	.section	.text._ZN7rocprim17ROCPRIM_400000_NS6detail17trampoline_kernelINS0_14default_configENS1_25partition_config_selectorILNS1_17partition_subalgoE5EsNS0_10empty_typeEbEEZZNS1_14partition_implILS5_5ELb0ES3_mN6thrust23THRUST_200600_302600_NS6detail15normal_iteratorINSA_10device_ptrIsEEEEPS6_NSA_18transform_iteratorINSB_9not_fun_tI7is_trueIsEEENSC_INSD_IbEEEENSA_11use_defaultESO_EENS0_5tupleIJNSA_16discard_iteratorISO_EES6_EEENSQ_IJSG_SG_EEES6_PlJS6_EEE10hipError_tPvRmT3_T4_T5_T6_T7_T9_mT8_P12ihipStream_tbDpT10_ENKUlT_T0_E_clISt17integral_constantIbLb1EES1F_EEDaS1A_S1B_EUlS1A_E_NS1_11comp_targetILNS1_3genE2ELNS1_11target_archE906ELNS1_3gpuE6ELNS1_3repE0EEENS1_30default_config_static_selectorELNS0_4arch9wavefront6targetE0EEEvT1_,"axG",@progbits,_ZN7rocprim17ROCPRIM_400000_NS6detail17trampoline_kernelINS0_14default_configENS1_25partition_config_selectorILNS1_17partition_subalgoE5EsNS0_10empty_typeEbEEZZNS1_14partition_implILS5_5ELb0ES3_mN6thrust23THRUST_200600_302600_NS6detail15normal_iteratorINSA_10device_ptrIsEEEEPS6_NSA_18transform_iteratorINSB_9not_fun_tI7is_trueIsEEENSC_INSD_IbEEEENSA_11use_defaultESO_EENS0_5tupleIJNSA_16discard_iteratorISO_EES6_EEENSQ_IJSG_SG_EEES6_PlJS6_EEE10hipError_tPvRmT3_T4_T5_T6_T7_T9_mT8_P12ihipStream_tbDpT10_ENKUlT_T0_E_clISt17integral_constantIbLb1EES1F_EEDaS1A_S1B_EUlS1A_E_NS1_11comp_targetILNS1_3genE2ELNS1_11target_archE906ELNS1_3gpuE6ELNS1_3repE0EEENS1_30default_config_static_selectorELNS0_4arch9wavefront6targetE0EEEvT1_,comdat
	.protected	_ZN7rocprim17ROCPRIM_400000_NS6detail17trampoline_kernelINS0_14default_configENS1_25partition_config_selectorILNS1_17partition_subalgoE5EsNS0_10empty_typeEbEEZZNS1_14partition_implILS5_5ELb0ES3_mN6thrust23THRUST_200600_302600_NS6detail15normal_iteratorINSA_10device_ptrIsEEEEPS6_NSA_18transform_iteratorINSB_9not_fun_tI7is_trueIsEEENSC_INSD_IbEEEENSA_11use_defaultESO_EENS0_5tupleIJNSA_16discard_iteratorISO_EES6_EEENSQ_IJSG_SG_EEES6_PlJS6_EEE10hipError_tPvRmT3_T4_T5_T6_T7_T9_mT8_P12ihipStream_tbDpT10_ENKUlT_T0_E_clISt17integral_constantIbLb1EES1F_EEDaS1A_S1B_EUlS1A_E_NS1_11comp_targetILNS1_3genE2ELNS1_11target_archE906ELNS1_3gpuE6ELNS1_3repE0EEENS1_30default_config_static_selectorELNS0_4arch9wavefront6targetE0EEEvT1_ ; -- Begin function _ZN7rocprim17ROCPRIM_400000_NS6detail17trampoline_kernelINS0_14default_configENS1_25partition_config_selectorILNS1_17partition_subalgoE5EsNS0_10empty_typeEbEEZZNS1_14partition_implILS5_5ELb0ES3_mN6thrust23THRUST_200600_302600_NS6detail15normal_iteratorINSA_10device_ptrIsEEEEPS6_NSA_18transform_iteratorINSB_9not_fun_tI7is_trueIsEEENSC_INSD_IbEEEENSA_11use_defaultESO_EENS0_5tupleIJNSA_16discard_iteratorISO_EES6_EEENSQ_IJSG_SG_EEES6_PlJS6_EEE10hipError_tPvRmT3_T4_T5_T6_T7_T9_mT8_P12ihipStream_tbDpT10_ENKUlT_T0_E_clISt17integral_constantIbLb1EES1F_EEDaS1A_S1B_EUlS1A_E_NS1_11comp_targetILNS1_3genE2ELNS1_11target_archE906ELNS1_3gpuE6ELNS1_3repE0EEENS1_30default_config_static_selectorELNS0_4arch9wavefront6targetE0EEEvT1_
	.globl	_ZN7rocprim17ROCPRIM_400000_NS6detail17trampoline_kernelINS0_14default_configENS1_25partition_config_selectorILNS1_17partition_subalgoE5EsNS0_10empty_typeEbEEZZNS1_14partition_implILS5_5ELb0ES3_mN6thrust23THRUST_200600_302600_NS6detail15normal_iteratorINSA_10device_ptrIsEEEEPS6_NSA_18transform_iteratorINSB_9not_fun_tI7is_trueIsEEENSC_INSD_IbEEEENSA_11use_defaultESO_EENS0_5tupleIJNSA_16discard_iteratorISO_EES6_EEENSQ_IJSG_SG_EEES6_PlJS6_EEE10hipError_tPvRmT3_T4_T5_T6_T7_T9_mT8_P12ihipStream_tbDpT10_ENKUlT_T0_E_clISt17integral_constantIbLb1EES1F_EEDaS1A_S1B_EUlS1A_E_NS1_11comp_targetILNS1_3genE2ELNS1_11target_archE906ELNS1_3gpuE6ELNS1_3repE0EEENS1_30default_config_static_selectorELNS0_4arch9wavefront6targetE0EEEvT1_
	.p2align	8
	.type	_ZN7rocprim17ROCPRIM_400000_NS6detail17trampoline_kernelINS0_14default_configENS1_25partition_config_selectorILNS1_17partition_subalgoE5EsNS0_10empty_typeEbEEZZNS1_14partition_implILS5_5ELb0ES3_mN6thrust23THRUST_200600_302600_NS6detail15normal_iteratorINSA_10device_ptrIsEEEEPS6_NSA_18transform_iteratorINSB_9not_fun_tI7is_trueIsEEENSC_INSD_IbEEEENSA_11use_defaultESO_EENS0_5tupleIJNSA_16discard_iteratorISO_EES6_EEENSQ_IJSG_SG_EEES6_PlJS6_EEE10hipError_tPvRmT3_T4_T5_T6_T7_T9_mT8_P12ihipStream_tbDpT10_ENKUlT_T0_E_clISt17integral_constantIbLb1EES1F_EEDaS1A_S1B_EUlS1A_E_NS1_11comp_targetILNS1_3genE2ELNS1_11target_archE906ELNS1_3gpuE6ELNS1_3repE0EEENS1_30default_config_static_selectorELNS0_4arch9wavefront6targetE0EEEvT1_,@function
_ZN7rocprim17ROCPRIM_400000_NS6detail17trampoline_kernelINS0_14default_configENS1_25partition_config_selectorILNS1_17partition_subalgoE5EsNS0_10empty_typeEbEEZZNS1_14partition_implILS5_5ELb0ES3_mN6thrust23THRUST_200600_302600_NS6detail15normal_iteratorINSA_10device_ptrIsEEEEPS6_NSA_18transform_iteratorINSB_9not_fun_tI7is_trueIsEEENSC_INSD_IbEEEENSA_11use_defaultESO_EENS0_5tupleIJNSA_16discard_iteratorISO_EES6_EEENSQ_IJSG_SG_EEES6_PlJS6_EEE10hipError_tPvRmT3_T4_T5_T6_T7_T9_mT8_P12ihipStream_tbDpT10_ENKUlT_T0_E_clISt17integral_constantIbLb1EES1F_EEDaS1A_S1B_EUlS1A_E_NS1_11comp_targetILNS1_3genE2ELNS1_11target_archE906ELNS1_3gpuE6ELNS1_3repE0EEENS1_30default_config_static_selectorELNS0_4arch9wavefront6targetE0EEEvT1_: ; @_ZN7rocprim17ROCPRIM_400000_NS6detail17trampoline_kernelINS0_14default_configENS1_25partition_config_selectorILNS1_17partition_subalgoE5EsNS0_10empty_typeEbEEZZNS1_14partition_implILS5_5ELb0ES3_mN6thrust23THRUST_200600_302600_NS6detail15normal_iteratorINSA_10device_ptrIsEEEEPS6_NSA_18transform_iteratorINSB_9not_fun_tI7is_trueIsEEENSC_INSD_IbEEEENSA_11use_defaultESO_EENS0_5tupleIJNSA_16discard_iteratorISO_EES6_EEENSQ_IJSG_SG_EEES6_PlJS6_EEE10hipError_tPvRmT3_T4_T5_T6_T7_T9_mT8_P12ihipStream_tbDpT10_ENKUlT_T0_E_clISt17integral_constantIbLb1EES1F_EEDaS1A_S1B_EUlS1A_E_NS1_11comp_targetILNS1_3genE2ELNS1_11target_archE906ELNS1_3gpuE6ELNS1_3repE0EEENS1_30default_config_static_selectorELNS0_4arch9wavefront6targetE0EEEvT1_
; %bb.0:
	.section	.rodata,"a",@progbits
	.p2align	6, 0x0
	.amdhsa_kernel _ZN7rocprim17ROCPRIM_400000_NS6detail17trampoline_kernelINS0_14default_configENS1_25partition_config_selectorILNS1_17partition_subalgoE5EsNS0_10empty_typeEbEEZZNS1_14partition_implILS5_5ELb0ES3_mN6thrust23THRUST_200600_302600_NS6detail15normal_iteratorINSA_10device_ptrIsEEEEPS6_NSA_18transform_iteratorINSB_9not_fun_tI7is_trueIsEEENSC_INSD_IbEEEENSA_11use_defaultESO_EENS0_5tupleIJNSA_16discard_iteratorISO_EES6_EEENSQ_IJSG_SG_EEES6_PlJS6_EEE10hipError_tPvRmT3_T4_T5_T6_T7_T9_mT8_P12ihipStream_tbDpT10_ENKUlT_T0_E_clISt17integral_constantIbLb1EES1F_EEDaS1A_S1B_EUlS1A_E_NS1_11comp_targetILNS1_3genE2ELNS1_11target_archE906ELNS1_3gpuE6ELNS1_3repE0EEENS1_30default_config_static_selectorELNS0_4arch9wavefront6targetE0EEEvT1_
		.amdhsa_group_segment_fixed_size 0
		.amdhsa_private_segment_fixed_size 0
		.amdhsa_kernarg_size 144
		.amdhsa_user_sgpr_count 2
		.amdhsa_user_sgpr_dispatch_ptr 0
		.amdhsa_user_sgpr_queue_ptr 0
		.amdhsa_user_sgpr_kernarg_segment_ptr 1
		.amdhsa_user_sgpr_dispatch_id 0
		.amdhsa_user_sgpr_private_segment_size 0
		.amdhsa_wavefront_size32 1
		.amdhsa_uses_dynamic_stack 0
		.amdhsa_enable_private_segment 0
		.amdhsa_system_sgpr_workgroup_id_x 1
		.amdhsa_system_sgpr_workgroup_id_y 0
		.amdhsa_system_sgpr_workgroup_id_z 0
		.amdhsa_system_sgpr_workgroup_info 0
		.amdhsa_system_vgpr_workitem_id 0
		.amdhsa_next_free_vgpr 1
		.amdhsa_next_free_sgpr 1
		.amdhsa_reserve_vcc 0
		.amdhsa_float_round_mode_32 0
		.amdhsa_float_round_mode_16_64 0
		.amdhsa_float_denorm_mode_32 3
		.amdhsa_float_denorm_mode_16_64 3
		.amdhsa_fp16_overflow 0
		.amdhsa_workgroup_processor_mode 1
		.amdhsa_memory_ordered 1
		.amdhsa_forward_progress 1
		.amdhsa_inst_pref_size 0
		.amdhsa_round_robin_scheduling 0
		.amdhsa_exception_fp_ieee_invalid_op 0
		.amdhsa_exception_fp_denorm_src 0
		.amdhsa_exception_fp_ieee_div_zero 0
		.amdhsa_exception_fp_ieee_overflow 0
		.amdhsa_exception_fp_ieee_underflow 0
		.amdhsa_exception_fp_ieee_inexact 0
		.amdhsa_exception_int_div_zero 0
	.end_amdhsa_kernel
	.section	.text._ZN7rocprim17ROCPRIM_400000_NS6detail17trampoline_kernelINS0_14default_configENS1_25partition_config_selectorILNS1_17partition_subalgoE5EsNS0_10empty_typeEbEEZZNS1_14partition_implILS5_5ELb0ES3_mN6thrust23THRUST_200600_302600_NS6detail15normal_iteratorINSA_10device_ptrIsEEEEPS6_NSA_18transform_iteratorINSB_9not_fun_tI7is_trueIsEEENSC_INSD_IbEEEENSA_11use_defaultESO_EENS0_5tupleIJNSA_16discard_iteratorISO_EES6_EEENSQ_IJSG_SG_EEES6_PlJS6_EEE10hipError_tPvRmT3_T4_T5_T6_T7_T9_mT8_P12ihipStream_tbDpT10_ENKUlT_T0_E_clISt17integral_constantIbLb1EES1F_EEDaS1A_S1B_EUlS1A_E_NS1_11comp_targetILNS1_3genE2ELNS1_11target_archE906ELNS1_3gpuE6ELNS1_3repE0EEENS1_30default_config_static_selectorELNS0_4arch9wavefront6targetE0EEEvT1_,"axG",@progbits,_ZN7rocprim17ROCPRIM_400000_NS6detail17trampoline_kernelINS0_14default_configENS1_25partition_config_selectorILNS1_17partition_subalgoE5EsNS0_10empty_typeEbEEZZNS1_14partition_implILS5_5ELb0ES3_mN6thrust23THRUST_200600_302600_NS6detail15normal_iteratorINSA_10device_ptrIsEEEEPS6_NSA_18transform_iteratorINSB_9not_fun_tI7is_trueIsEEENSC_INSD_IbEEEENSA_11use_defaultESO_EENS0_5tupleIJNSA_16discard_iteratorISO_EES6_EEENSQ_IJSG_SG_EEES6_PlJS6_EEE10hipError_tPvRmT3_T4_T5_T6_T7_T9_mT8_P12ihipStream_tbDpT10_ENKUlT_T0_E_clISt17integral_constantIbLb1EES1F_EEDaS1A_S1B_EUlS1A_E_NS1_11comp_targetILNS1_3genE2ELNS1_11target_archE906ELNS1_3gpuE6ELNS1_3repE0EEENS1_30default_config_static_selectorELNS0_4arch9wavefront6targetE0EEEvT1_,comdat
.Lfunc_end2825:
	.size	_ZN7rocprim17ROCPRIM_400000_NS6detail17trampoline_kernelINS0_14default_configENS1_25partition_config_selectorILNS1_17partition_subalgoE5EsNS0_10empty_typeEbEEZZNS1_14partition_implILS5_5ELb0ES3_mN6thrust23THRUST_200600_302600_NS6detail15normal_iteratorINSA_10device_ptrIsEEEEPS6_NSA_18transform_iteratorINSB_9not_fun_tI7is_trueIsEEENSC_INSD_IbEEEENSA_11use_defaultESO_EENS0_5tupleIJNSA_16discard_iteratorISO_EES6_EEENSQ_IJSG_SG_EEES6_PlJS6_EEE10hipError_tPvRmT3_T4_T5_T6_T7_T9_mT8_P12ihipStream_tbDpT10_ENKUlT_T0_E_clISt17integral_constantIbLb1EES1F_EEDaS1A_S1B_EUlS1A_E_NS1_11comp_targetILNS1_3genE2ELNS1_11target_archE906ELNS1_3gpuE6ELNS1_3repE0EEENS1_30default_config_static_selectorELNS0_4arch9wavefront6targetE0EEEvT1_, .Lfunc_end2825-_ZN7rocprim17ROCPRIM_400000_NS6detail17trampoline_kernelINS0_14default_configENS1_25partition_config_selectorILNS1_17partition_subalgoE5EsNS0_10empty_typeEbEEZZNS1_14partition_implILS5_5ELb0ES3_mN6thrust23THRUST_200600_302600_NS6detail15normal_iteratorINSA_10device_ptrIsEEEEPS6_NSA_18transform_iteratorINSB_9not_fun_tI7is_trueIsEEENSC_INSD_IbEEEENSA_11use_defaultESO_EENS0_5tupleIJNSA_16discard_iteratorISO_EES6_EEENSQ_IJSG_SG_EEES6_PlJS6_EEE10hipError_tPvRmT3_T4_T5_T6_T7_T9_mT8_P12ihipStream_tbDpT10_ENKUlT_T0_E_clISt17integral_constantIbLb1EES1F_EEDaS1A_S1B_EUlS1A_E_NS1_11comp_targetILNS1_3genE2ELNS1_11target_archE906ELNS1_3gpuE6ELNS1_3repE0EEENS1_30default_config_static_selectorELNS0_4arch9wavefront6targetE0EEEvT1_
                                        ; -- End function
	.set _ZN7rocprim17ROCPRIM_400000_NS6detail17trampoline_kernelINS0_14default_configENS1_25partition_config_selectorILNS1_17partition_subalgoE5EsNS0_10empty_typeEbEEZZNS1_14partition_implILS5_5ELb0ES3_mN6thrust23THRUST_200600_302600_NS6detail15normal_iteratorINSA_10device_ptrIsEEEEPS6_NSA_18transform_iteratorINSB_9not_fun_tI7is_trueIsEEENSC_INSD_IbEEEENSA_11use_defaultESO_EENS0_5tupleIJNSA_16discard_iteratorISO_EES6_EEENSQ_IJSG_SG_EEES6_PlJS6_EEE10hipError_tPvRmT3_T4_T5_T6_T7_T9_mT8_P12ihipStream_tbDpT10_ENKUlT_T0_E_clISt17integral_constantIbLb1EES1F_EEDaS1A_S1B_EUlS1A_E_NS1_11comp_targetILNS1_3genE2ELNS1_11target_archE906ELNS1_3gpuE6ELNS1_3repE0EEENS1_30default_config_static_selectorELNS0_4arch9wavefront6targetE0EEEvT1_.num_vgpr, 0
	.set _ZN7rocprim17ROCPRIM_400000_NS6detail17trampoline_kernelINS0_14default_configENS1_25partition_config_selectorILNS1_17partition_subalgoE5EsNS0_10empty_typeEbEEZZNS1_14partition_implILS5_5ELb0ES3_mN6thrust23THRUST_200600_302600_NS6detail15normal_iteratorINSA_10device_ptrIsEEEEPS6_NSA_18transform_iteratorINSB_9not_fun_tI7is_trueIsEEENSC_INSD_IbEEEENSA_11use_defaultESO_EENS0_5tupleIJNSA_16discard_iteratorISO_EES6_EEENSQ_IJSG_SG_EEES6_PlJS6_EEE10hipError_tPvRmT3_T4_T5_T6_T7_T9_mT8_P12ihipStream_tbDpT10_ENKUlT_T0_E_clISt17integral_constantIbLb1EES1F_EEDaS1A_S1B_EUlS1A_E_NS1_11comp_targetILNS1_3genE2ELNS1_11target_archE906ELNS1_3gpuE6ELNS1_3repE0EEENS1_30default_config_static_selectorELNS0_4arch9wavefront6targetE0EEEvT1_.num_agpr, 0
	.set _ZN7rocprim17ROCPRIM_400000_NS6detail17trampoline_kernelINS0_14default_configENS1_25partition_config_selectorILNS1_17partition_subalgoE5EsNS0_10empty_typeEbEEZZNS1_14partition_implILS5_5ELb0ES3_mN6thrust23THRUST_200600_302600_NS6detail15normal_iteratorINSA_10device_ptrIsEEEEPS6_NSA_18transform_iteratorINSB_9not_fun_tI7is_trueIsEEENSC_INSD_IbEEEENSA_11use_defaultESO_EENS0_5tupleIJNSA_16discard_iteratorISO_EES6_EEENSQ_IJSG_SG_EEES6_PlJS6_EEE10hipError_tPvRmT3_T4_T5_T6_T7_T9_mT8_P12ihipStream_tbDpT10_ENKUlT_T0_E_clISt17integral_constantIbLb1EES1F_EEDaS1A_S1B_EUlS1A_E_NS1_11comp_targetILNS1_3genE2ELNS1_11target_archE906ELNS1_3gpuE6ELNS1_3repE0EEENS1_30default_config_static_selectorELNS0_4arch9wavefront6targetE0EEEvT1_.numbered_sgpr, 0
	.set _ZN7rocprim17ROCPRIM_400000_NS6detail17trampoline_kernelINS0_14default_configENS1_25partition_config_selectorILNS1_17partition_subalgoE5EsNS0_10empty_typeEbEEZZNS1_14partition_implILS5_5ELb0ES3_mN6thrust23THRUST_200600_302600_NS6detail15normal_iteratorINSA_10device_ptrIsEEEEPS6_NSA_18transform_iteratorINSB_9not_fun_tI7is_trueIsEEENSC_INSD_IbEEEENSA_11use_defaultESO_EENS0_5tupleIJNSA_16discard_iteratorISO_EES6_EEENSQ_IJSG_SG_EEES6_PlJS6_EEE10hipError_tPvRmT3_T4_T5_T6_T7_T9_mT8_P12ihipStream_tbDpT10_ENKUlT_T0_E_clISt17integral_constantIbLb1EES1F_EEDaS1A_S1B_EUlS1A_E_NS1_11comp_targetILNS1_3genE2ELNS1_11target_archE906ELNS1_3gpuE6ELNS1_3repE0EEENS1_30default_config_static_selectorELNS0_4arch9wavefront6targetE0EEEvT1_.num_named_barrier, 0
	.set _ZN7rocprim17ROCPRIM_400000_NS6detail17trampoline_kernelINS0_14default_configENS1_25partition_config_selectorILNS1_17partition_subalgoE5EsNS0_10empty_typeEbEEZZNS1_14partition_implILS5_5ELb0ES3_mN6thrust23THRUST_200600_302600_NS6detail15normal_iteratorINSA_10device_ptrIsEEEEPS6_NSA_18transform_iteratorINSB_9not_fun_tI7is_trueIsEEENSC_INSD_IbEEEENSA_11use_defaultESO_EENS0_5tupleIJNSA_16discard_iteratorISO_EES6_EEENSQ_IJSG_SG_EEES6_PlJS6_EEE10hipError_tPvRmT3_T4_T5_T6_T7_T9_mT8_P12ihipStream_tbDpT10_ENKUlT_T0_E_clISt17integral_constantIbLb1EES1F_EEDaS1A_S1B_EUlS1A_E_NS1_11comp_targetILNS1_3genE2ELNS1_11target_archE906ELNS1_3gpuE6ELNS1_3repE0EEENS1_30default_config_static_selectorELNS0_4arch9wavefront6targetE0EEEvT1_.private_seg_size, 0
	.set _ZN7rocprim17ROCPRIM_400000_NS6detail17trampoline_kernelINS0_14default_configENS1_25partition_config_selectorILNS1_17partition_subalgoE5EsNS0_10empty_typeEbEEZZNS1_14partition_implILS5_5ELb0ES3_mN6thrust23THRUST_200600_302600_NS6detail15normal_iteratorINSA_10device_ptrIsEEEEPS6_NSA_18transform_iteratorINSB_9not_fun_tI7is_trueIsEEENSC_INSD_IbEEEENSA_11use_defaultESO_EENS0_5tupleIJNSA_16discard_iteratorISO_EES6_EEENSQ_IJSG_SG_EEES6_PlJS6_EEE10hipError_tPvRmT3_T4_T5_T6_T7_T9_mT8_P12ihipStream_tbDpT10_ENKUlT_T0_E_clISt17integral_constantIbLb1EES1F_EEDaS1A_S1B_EUlS1A_E_NS1_11comp_targetILNS1_3genE2ELNS1_11target_archE906ELNS1_3gpuE6ELNS1_3repE0EEENS1_30default_config_static_selectorELNS0_4arch9wavefront6targetE0EEEvT1_.uses_vcc, 0
	.set _ZN7rocprim17ROCPRIM_400000_NS6detail17trampoline_kernelINS0_14default_configENS1_25partition_config_selectorILNS1_17partition_subalgoE5EsNS0_10empty_typeEbEEZZNS1_14partition_implILS5_5ELb0ES3_mN6thrust23THRUST_200600_302600_NS6detail15normal_iteratorINSA_10device_ptrIsEEEEPS6_NSA_18transform_iteratorINSB_9not_fun_tI7is_trueIsEEENSC_INSD_IbEEEENSA_11use_defaultESO_EENS0_5tupleIJNSA_16discard_iteratorISO_EES6_EEENSQ_IJSG_SG_EEES6_PlJS6_EEE10hipError_tPvRmT3_T4_T5_T6_T7_T9_mT8_P12ihipStream_tbDpT10_ENKUlT_T0_E_clISt17integral_constantIbLb1EES1F_EEDaS1A_S1B_EUlS1A_E_NS1_11comp_targetILNS1_3genE2ELNS1_11target_archE906ELNS1_3gpuE6ELNS1_3repE0EEENS1_30default_config_static_selectorELNS0_4arch9wavefront6targetE0EEEvT1_.uses_flat_scratch, 0
	.set _ZN7rocprim17ROCPRIM_400000_NS6detail17trampoline_kernelINS0_14default_configENS1_25partition_config_selectorILNS1_17partition_subalgoE5EsNS0_10empty_typeEbEEZZNS1_14partition_implILS5_5ELb0ES3_mN6thrust23THRUST_200600_302600_NS6detail15normal_iteratorINSA_10device_ptrIsEEEEPS6_NSA_18transform_iteratorINSB_9not_fun_tI7is_trueIsEEENSC_INSD_IbEEEENSA_11use_defaultESO_EENS0_5tupleIJNSA_16discard_iteratorISO_EES6_EEENSQ_IJSG_SG_EEES6_PlJS6_EEE10hipError_tPvRmT3_T4_T5_T6_T7_T9_mT8_P12ihipStream_tbDpT10_ENKUlT_T0_E_clISt17integral_constantIbLb1EES1F_EEDaS1A_S1B_EUlS1A_E_NS1_11comp_targetILNS1_3genE2ELNS1_11target_archE906ELNS1_3gpuE6ELNS1_3repE0EEENS1_30default_config_static_selectorELNS0_4arch9wavefront6targetE0EEEvT1_.has_dyn_sized_stack, 0
	.set _ZN7rocprim17ROCPRIM_400000_NS6detail17trampoline_kernelINS0_14default_configENS1_25partition_config_selectorILNS1_17partition_subalgoE5EsNS0_10empty_typeEbEEZZNS1_14partition_implILS5_5ELb0ES3_mN6thrust23THRUST_200600_302600_NS6detail15normal_iteratorINSA_10device_ptrIsEEEEPS6_NSA_18transform_iteratorINSB_9not_fun_tI7is_trueIsEEENSC_INSD_IbEEEENSA_11use_defaultESO_EENS0_5tupleIJNSA_16discard_iteratorISO_EES6_EEENSQ_IJSG_SG_EEES6_PlJS6_EEE10hipError_tPvRmT3_T4_T5_T6_T7_T9_mT8_P12ihipStream_tbDpT10_ENKUlT_T0_E_clISt17integral_constantIbLb1EES1F_EEDaS1A_S1B_EUlS1A_E_NS1_11comp_targetILNS1_3genE2ELNS1_11target_archE906ELNS1_3gpuE6ELNS1_3repE0EEENS1_30default_config_static_selectorELNS0_4arch9wavefront6targetE0EEEvT1_.has_recursion, 0
	.set _ZN7rocprim17ROCPRIM_400000_NS6detail17trampoline_kernelINS0_14default_configENS1_25partition_config_selectorILNS1_17partition_subalgoE5EsNS0_10empty_typeEbEEZZNS1_14partition_implILS5_5ELb0ES3_mN6thrust23THRUST_200600_302600_NS6detail15normal_iteratorINSA_10device_ptrIsEEEEPS6_NSA_18transform_iteratorINSB_9not_fun_tI7is_trueIsEEENSC_INSD_IbEEEENSA_11use_defaultESO_EENS0_5tupleIJNSA_16discard_iteratorISO_EES6_EEENSQ_IJSG_SG_EEES6_PlJS6_EEE10hipError_tPvRmT3_T4_T5_T6_T7_T9_mT8_P12ihipStream_tbDpT10_ENKUlT_T0_E_clISt17integral_constantIbLb1EES1F_EEDaS1A_S1B_EUlS1A_E_NS1_11comp_targetILNS1_3genE2ELNS1_11target_archE906ELNS1_3gpuE6ELNS1_3repE0EEENS1_30default_config_static_selectorELNS0_4arch9wavefront6targetE0EEEvT1_.has_indirect_call, 0
	.section	.AMDGPU.csdata,"",@progbits
; Kernel info:
; codeLenInByte = 0
; TotalNumSgprs: 0
; NumVgprs: 0
; ScratchSize: 0
; MemoryBound: 0
; FloatMode: 240
; IeeeMode: 1
; LDSByteSize: 0 bytes/workgroup (compile time only)
; SGPRBlocks: 0
; VGPRBlocks: 0
; NumSGPRsForWavesPerEU: 1
; NumVGPRsForWavesPerEU: 1
; Occupancy: 16
; WaveLimiterHint : 0
; COMPUTE_PGM_RSRC2:SCRATCH_EN: 0
; COMPUTE_PGM_RSRC2:USER_SGPR: 2
; COMPUTE_PGM_RSRC2:TRAP_HANDLER: 0
; COMPUTE_PGM_RSRC2:TGID_X_EN: 1
; COMPUTE_PGM_RSRC2:TGID_Y_EN: 0
; COMPUTE_PGM_RSRC2:TGID_Z_EN: 0
; COMPUTE_PGM_RSRC2:TIDIG_COMP_CNT: 0
	.section	.text._ZN7rocprim17ROCPRIM_400000_NS6detail17trampoline_kernelINS0_14default_configENS1_25partition_config_selectorILNS1_17partition_subalgoE5EsNS0_10empty_typeEbEEZZNS1_14partition_implILS5_5ELb0ES3_mN6thrust23THRUST_200600_302600_NS6detail15normal_iteratorINSA_10device_ptrIsEEEEPS6_NSA_18transform_iteratorINSB_9not_fun_tI7is_trueIsEEENSC_INSD_IbEEEENSA_11use_defaultESO_EENS0_5tupleIJNSA_16discard_iteratorISO_EES6_EEENSQ_IJSG_SG_EEES6_PlJS6_EEE10hipError_tPvRmT3_T4_T5_T6_T7_T9_mT8_P12ihipStream_tbDpT10_ENKUlT_T0_E_clISt17integral_constantIbLb1EES1F_EEDaS1A_S1B_EUlS1A_E_NS1_11comp_targetILNS1_3genE10ELNS1_11target_archE1200ELNS1_3gpuE4ELNS1_3repE0EEENS1_30default_config_static_selectorELNS0_4arch9wavefront6targetE0EEEvT1_,"axG",@progbits,_ZN7rocprim17ROCPRIM_400000_NS6detail17trampoline_kernelINS0_14default_configENS1_25partition_config_selectorILNS1_17partition_subalgoE5EsNS0_10empty_typeEbEEZZNS1_14partition_implILS5_5ELb0ES3_mN6thrust23THRUST_200600_302600_NS6detail15normal_iteratorINSA_10device_ptrIsEEEEPS6_NSA_18transform_iteratorINSB_9not_fun_tI7is_trueIsEEENSC_INSD_IbEEEENSA_11use_defaultESO_EENS0_5tupleIJNSA_16discard_iteratorISO_EES6_EEENSQ_IJSG_SG_EEES6_PlJS6_EEE10hipError_tPvRmT3_T4_T5_T6_T7_T9_mT8_P12ihipStream_tbDpT10_ENKUlT_T0_E_clISt17integral_constantIbLb1EES1F_EEDaS1A_S1B_EUlS1A_E_NS1_11comp_targetILNS1_3genE10ELNS1_11target_archE1200ELNS1_3gpuE4ELNS1_3repE0EEENS1_30default_config_static_selectorELNS0_4arch9wavefront6targetE0EEEvT1_,comdat
	.protected	_ZN7rocprim17ROCPRIM_400000_NS6detail17trampoline_kernelINS0_14default_configENS1_25partition_config_selectorILNS1_17partition_subalgoE5EsNS0_10empty_typeEbEEZZNS1_14partition_implILS5_5ELb0ES3_mN6thrust23THRUST_200600_302600_NS6detail15normal_iteratorINSA_10device_ptrIsEEEEPS6_NSA_18transform_iteratorINSB_9not_fun_tI7is_trueIsEEENSC_INSD_IbEEEENSA_11use_defaultESO_EENS0_5tupleIJNSA_16discard_iteratorISO_EES6_EEENSQ_IJSG_SG_EEES6_PlJS6_EEE10hipError_tPvRmT3_T4_T5_T6_T7_T9_mT8_P12ihipStream_tbDpT10_ENKUlT_T0_E_clISt17integral_constantIbLb1EES1F_EEDaS1A_S1B_EUlS1A_E_NS1_11comp_targetILNS1_3genE10ELNS1_11target_archE1200ELNS1_3gpuE4ELNS1_3repE0EEENS1_30default_config_static_selectorELNS0_4arch9wavefront6targetE0EEEvT1_ ; -- Begin function _ZN7rocprim17ROCPRIM_400000_NS6detail17trampoline_kernelINS0_14default_configENS1_25partition_config_selectorILNS1_17partition_subalgoE5EsNS0_10empty_typeEbEEZZNS1_14partition_implILS5_5ELb0ES3_mN6thrust23THRUST_200600_302600_NS6detail15normal_iteratorINSA_10device_ptrIsEEEEPS6_NSA_18transform_iteratorINSB_9not_fun_tI7is_trueIsEEENSC_INSD_IbEEEENSA_11use_defaultESO_EENS0_5tupleIJNSA_16discard_iteratorISO_EES6_EEENSQ_IJSG_SG_EEES6_PlJS6_EEE10hipError_tPvRmT3_T4_T5_T6_T7_T9_mT8_P12ihipStream_tbDpT10_ENKUlT_T0_E_clISt17integral_constantIbLb1EES1F_EEDaS1A_S1B_EUlS1A_E_NS1_11comp_targetILNS1_3genE10ELNS1_11target_archE1200ELNS1_3gpuE4ELNS1_3repE0EEENS1_30default_config_static_selectorELNS0_4arch9wavefront6targetE0EEEvT1_
	.globl	_ZN7rocprim17ROCPRIM_400000_NS6detail17trampoline_kernelINS0_14default_configENS1_25partition_config_selectorILNS1_17partition_subalgoE5EsNS0_10empty_typeEbEEZZNS1_14partition_implILS5_5ELb0ES3_mN6thrust23THRUST_200600_302600_NS6detail15normal_iteratorINSA_10device_ptrIsEEEEPS6_NSA_18transform_iteratorINSB_9not_fun_tI7is_trueIsEEENSC_INSD_IbEEEENSA_11use_defaultESO_EENS0_5tupleIJNSA_16discard_iteratorISO_EES6_EEENSQ_IJSG_SG_EEES6_PlJS6_EEE10hipError_tPvRmT3_T4_T5_T6_T7_T9_mT8_P12ihipStream_tbDpT10_ENKUlT_T0_E_clISt17integral_constantIbLb1EES1F_EEDaS1A_S1B_EUlS1A_E_NS1_11comp_targetILNS1_3genE10ELNS1_11target_archE1200ELNS1_3gpuE4ELNS1_3repE0EEENS1_30default_config_static_selectorELNS0_4arch9wavefront6targetE0EEEvT1_
	.p2align	8
	.type	_ZN7rocprim17ROCPRIM_400000_NS6detail17trampoline_kernelINS0_14default_configENS1_25partition_config_selectorILNS1_17partition_subalgoE5EsNS0_10empty_typeEbEEZZNS1_14partition_implILS5_5ELb0ES3_mN6thrust23THRUST_200600_302600_NS6detail15normal_iteratorINSA_10device_ptrIsEEEEPS6_NSA_18transform_iteratorINSB_9not_fun_tI7is_trueIsEEENSC_INSD_IbEEEENSA_11use_defaultESO_EENS0_5tupleIJNSA_16discard_iteratorISO_EES6_EEENSQ_IJSG_SG_EEES6_PlJS6_EEE10hipError_tPvRmT3_T4_T5_T6_T7_T9_mT8_P12ihipStream_tbDpT10_ENKUlT_T0_E_clISt17integral_constantIbLb1EES1F_EEDaS1A_S1B_EUlS1A_E_NS1_11comp_targetILNS1_3genE10ELNS1_11target_archE1200ELNS1_3gpuE4ELNS1_3repE0EEENS1_30default_config_static_selectorELNS0_4arch9wavefront6targetE0EEEvT1_,@function
_ZN7rocprim17ROCPRIM_400000_NS6detail17trampoline_kernelINS0_14default_configENS1_25partition_config_selectorILNS1_17partition_subalgoE5EsNS0_10empty_typeEbEEZZNS1_14partition_implILS5_5ELb0ES3_mN6thrust23THRUST_200600_302600_NS6detail15normal_iteratorINSA_10device_ptrIsEEEEPS6_NSA_18transform_iteratorINSB_9not_fun_tI7is_trueIsEEENSC_INSD_IbEEEENSA_11use_defaultESO_EENS0_5tupleIJNSA_16discard_iteratorISO_EES6_EEENSQ_IJSG_SG_EEES6_PlJS6_EEE10hipError_tPvRmT3_T4_T5_T6_T7_T9_mT8_P12ihipStream_tbDpT10_ENKUlT_T0_E_clISt17integral_constantIbLb1EES1F_EEDaS1A_S1B_EUlS1A_E_NS1_11comp_targetILNS1_3genE10ELNS1_11target_archE1200ELNS1_3gpuE4ELNS1_3repE0EEENS1_30default_config_static_selectorELNS0_4arch9wavefront6targetE0EEEvT1_: ; @_ZN7rocprim17ROCPRIM_400000_NS6detail17trampoline_kernelINS0_14default_configENS1_25partition_config_selectorILNS1_17partition_subalgoE5EsNS0_10empty_typeEbEEZZNS1_14partition_implILS5_5ELb0ES3_mN6thrust23THRUST_200600_302600_NS6detail15normal_iteratorINSA_10device_ptrIsEEEEPS6_NSA_18transform_iteratorINSB_9not_fun_tI7is_trueIsEEENSC_INSD_IbEEEENSA_11use_defaultESO_EENS0_5tupleIJNSA_16discard_iteratorISO_EES6_EEENSQ_IJSG_SG_EEES6_PlJS6_EEE10hipError_tPvRmT3_T4_T5_T6_T7_T9_mT8_P12ihipStream_tbDpT10_ENKUlT_T0_E_clISt17integral_constantIbLb1EES1F_EEDaS1A_S1B_EUlS1A_E_NS1_11comp_targetILNS1_3genE10ELNS1_11target_archE1200ELNS1_3gpuE4ELNS1_3repE0EEENS1_30default_config_static_selectorELNS0_4arch9wavefront6targetE0EEEvT1_
; %bb.0:
	s_endpgm
	.section	.rodata,"a",@progbits
	.p2align	6, 0x0
	.amdhsa_kernel _ZN7rocprim17ROCPRIM_400000_NS6detail17trampoline_kernelINS0_14default_configENS1_25partition_config_selectorILNS1_17partition_subalgoE5EsNS0_10empty_typeEbEEZZNS1_14partition_implILS5_5ELb0ES3_mN6thrust23THRUST_200600_302600_NS6detail15normal_iteratorINSA_10device_ptrIsEEEEPS6_NSA_18transform_iteratorINSB_9not_fun_tI7is_trueIsEEENSC_INSD_IbEEEENSA_11use_defaultESO_EENS0_5tupleIJNSA_16discard_iteratorISO_EES6_EEENSQ_IJSG_SG_EEES6_PlJS6_EEE10hipError_tPvRmT3_T4_T5_T6_T7_T9_mT8_P12ihipStream_tbDpT10_ENKUlT_T0_E_clISt17integral_constantIbLb1EES1F_EEDaS1A_S1B_EUlS1A_E_NS1_11comp_targetILNS1_3genE10ELNS1_11target_archE1200ELNS1_3gpuE4ELNS1_3repE0EEENS1_30default_config_static_selectorELNS0_4arch9wavefront6targetE0EEEvT1_
		.amdhsa_group_segment_fixed_size 0
		.amdhsa_private_segment_fixed_size 0
		.amdhsa_kernarg_size 144
		.amdhsa_user_sgpr_count 2
		.amdhsa_user_sgpr_dispatch_ptr 0
		.amdhsa_user_sgpr_queue_ptr 0
		.amdhsa_user_sgpr_kernarg_segment_ptr 1
		.amdhsa_user_sgpr_dispatch_id 0
		.amdhsa_user_sgpr_private_segment_size 0
		.amdhsa_wavefront_size32 1
		.amdhsa_uses_dynamic_stack 0
		.amdhsa_enable_private_segment 0
		.amdhsa_system_sgpr_workgroup_id_x 1
		.amdhsa_system_sgpr_workgroup_id_y 0
		.amdhsa_system_sgpr_workgroup_id_z 0
		.amdhsa_system_sgpr_workgroup_info 0
		.amdhsa_system_vgpr_workitem_id 0
		.amdhsa_next_free_vgpr 1
		.amdhsa_next_free_sgpr 1
		.amdhsa_reserve_vcc 0
		.amdhsa_float_round_mode_32 0
		.amdhsa_float_round_mode_16_64 0
		.amdhsa_float_denorm_mode_32 3
		.amdhsa_float_denorm_mode_16_64 3
		.amdhsa_fp16_overflow 0
		.amdhsa_workgroup_processor_mode 1
		.amdhsa_memory_ordered 1
		.amdhsa_forward_progress 1
		.amdhsa_inst_pref_size 1
		.amdhsa_round_robin_scheduling 0
		.amdhsa_exception_fp_ieee_invalid_op 0
		.amdhsa_exception_fp_denorm_src 0
		.amdhsa_exception_fp_ieee_div_zero 0
		.amdhsa_exception_fp_ieee_overflow 0
		.amdhsa_exception_fp_ieee_underflow 0
		.amdhsa_exception_fp_ieee_inexact 0
		.amdhsa_exception_int_div_zero 0
	.end_amdhsa_kernel
	.section	.text._ZN7rocprim17ROCPRIM_400000_NS6detail17trampoline_kernelINS0_14default_configENS1_25partition_config_selectorILNS1_17partition_subalgoE5EsNS0_10empty_typeEbEEZZNS1_14partition_implILS5_5ELb0ES3_mN6thrust23THRUST_200600_302600_NS6detail15normal_iteratorINSA_10device_ptrIsEEEEPS6_NSA_18transform_iteratorINSB_9not_fun_tI7is_trueIsEEENSC_INSD_IbEEEENSA_11use_defaultESO_EENS0_5tupleIJNSA_16discard_iteratorISO_EES6_EEENSQ_IJSG_SG_EEES6_PlJS6_EEE10hipError_tPvRmT3_T4_T5_T6_T7_T9_mT8_P12ihipStream_tbDpT10_ENKUlT_T0_E_clISt17integral_constantIbLb1EES1F_EEDaS1A_S1B_EUlS1A_E_NS1_11comp_targetILNS1_3genE10ELNS1_11target_archE1200ELNS1_3gpuE4ELNS1_3repE0EEENS1_30default_config_static_selectorELNS0_4arch9wavefront6targetE0EEEvT1_,"axG",@progbits,_ZN7rocprim17ROCPRIM_400000_NS6detail17trampoline_kernelINS0_14default_configENS1_25partition_config_selectorILNS1_17partition_subalgoE5EsNS0_10empty_typeEbEEZZNS1_14partition_implILS5_5ELb0ES3_mN6thrust23THRUST_200600_302600_NS6detail15normal_iteratorINSA_10device_ptrIsEEEEPS6_NSA_18transform_iteratorINSB_9not_fun_tI7is_trueIsEEENSC_INSD_IbEEEENSA_11use_defaultESO_EENS0_5tupleIJNSA_16discard_iteratorISO_EES6_EEENSQ_IJSG_SG_EEES6_PlJS6_EEE10hipError_tPvRmT3_T4_T5_T6_T7_T9_mT8_P12ihipStream_tbDpT10_ENKUlT_T0_E_clISt17integral_constantIbLb1EES1F_EEDaS1A_S1B_EUlS1A_E_NS1_11comp_targetILNS1_3genE10ELNS1_11target_archE1200ELNS1_3gpuE4ELNS1_3repE0EEENS1_30default_config_static_selectorELNS0_4arch9wavefront6targetE0EEEvT1_,comdat
.Lfunc_end2826:
	.size	_ZN7rocprim17ROCPRIM_400000_NS6detail17trampoline_kernelINS0_14default_configENS1_25partition_config_selectorILNS1_17partition_subalgoE5EsNS0_10empty_typeEbEEZZNS1_14partition_implILS5_5ELb0ES3_mN6thrust23THRUST_200600_302600_NS6detail15normal_iteratorINSA_10device_ptrIsEEEEPS6_NSA_18transform_iteratorINSB_9not_fun_tI7is_trueIsEEENSC_INSD_IbEEEENSA_11use_defaultESO_EENS0_5tupleIJNSA_16discard_iteratorISO_EES6_EEENSQ_IJSG_SG_EEES6_PlJS6_EEE10hipError_tPvRmT3_T4_T5_T6_T7_T9_mT8_P12ihipStream_tbDpT10_ENKUlT_T0_E_clISt17integral_constantIbLb1EES1F_EEDaS1A_S1B_EUlS1A_E_NS1_11comp_targetILNS1_3genE10ELNS1_11target_archE1200ELNS1_3gpuE4ELNS1_3repE0EEENS1_30default_config_static_selectorELNS0_4arch9wavefront6targetE0EEEvT1_, .Lfunc_end2826-_ZN7rocprim17ROCPRIM_400000_NS6detail17trampoline_kernelINS0_14default_configENS1_25partition_config_selectorILNS1_17partition_subalgoE5EsNS0_10empty_typeEbEEZZNS1_14partition_implILS5_5ELb0ES3_mN6thrust23THRUST_200600_302600_NS6detail15normal_iteratorINSA_10device_ptrIsEEEEPS6_NSA_18transform_iteratorINSB_9not_fun_tI7is_trueIsEEENSC_INSD_IbEEEENSA_11use_defaultESO_EENS0_5tupleIJNSA_16discard_iteratorISO_EES6_EEENSQ_IJSG_SG_EEES6_PlJS6_EEE10hipError_tPvRmT3_T4_T5_T6_T7_T9_mT8_P12ihipStream_tbDpT10_ENKUlT_T0_E_clISt17integral_constantIbLb1EES1F_EEDaS1A_S1B_EUlS1A_E_NS1_11comp_targetILNS1_3genE10ELNS1_11target_archE1200ELNS1_3gpuE4ELNS1_3repE0EEENS1_30default_config_static_selectorELNS0_4arch9wavefront6targetE0EEEvT1_
                                        ; -- End function
	.set _ZN7rocprim17ROCPRIM_400000_NS6detail17trampoline_kernelINS0_14default_configENS1_25partition_config_selectorILNS1_17partition_subalgoE5EsNS0_10empty_typeEbEEZZNS1_14partition_implILS5_5ELb0ES3_mN6thrust23THRUST_200600_302600_NS6detail15normal_iteratorINSA_10device_ptrIsEEEEPS6_NSA_18transform_iteratorINSB_9not_fun_tI7is_trueIsEEENSC_INSD_IbEEEENSA_11use_defaultESO_EENS0_5tupleIJNSA_16discard_iteratorISO_EES6_EEENSQ_IJSG_SG_EEES6_PlJS6_EEE10hipError_tPvRmT3_T4_T5_T6_T7_T9_mT8_P12ihipStream_tbDpT10_ENKUlT_T0_E_clISt17integral_constantIbLb1EES1F_EEDaS1A_S1B_EUlS1A_E_NS1_11comp_targetILNS1_3genE10ELNS1_11target_archE1200ELNS1_3gpuE4ELNS1_3repE0EEENS1_30default_config_static_selectorELNS0_4arch9wavefront6targetE0EEEvT1_.num_vgpr, 0
	.set _ZN7rocprim17ROCPRIM_400000_NS6detail17trampoline_kernelINS0_14default_configENS1_25partition_config_selectorILNS1_17partition_subalgoE5EsNS0_10empty_typeEbEEZZNS1_14partition_implILS5_5ELb0ES3_mN6thrust23THRUST_200600_302600_NS6detail15normal_iteratorINSA_10device_ptrIsEEEEPS6_NSA_18transform_iteratorINSB_9not_fun_tI7is_trueIsEEENSC_INSD_IbEEEENSA_11use_defaultESO_EENS0_5tupleIJNSA_16discard_iteratorISO_EES6_EEENSQ_IJSG_SG_EEES6_PlJS6_EEE10hipError_tPvRmT3_T4_T5_T6_T7_T9_mT8_P12ihipStream_tbDpT10_ENKUlT_T0_E_clISt17integral_constantIbLb1EES1F_EEDaS1A_S1B_EUlS1A_E_NS1_11comp_targetILNS1_3genE10ELNS1_11target_archE1200ELNS1_3gpuE4ELNS1_3repE0EEENS1_30default_config_static_selectorELNS0_4arch9wavefront6targetE0EEEvT1_.num_agpr, 0
	.set _ZN7rocprim17ROCPRIM_400000_NS6detail17trampoline_kernelINS0_14default_configENS1_25partition_config_selectorILNS1_17partition_subalgoE5EsNS0_10empty_typeEbEEZZNS1_14partition_implILS5_5ELb0ES3_mN6thrust23THRUST_200600_302600_NS6detail15normal_iteratorINSA_10device_ptrIsEEEEPS6_NSA_18transform_iteratorINSB_9not_fun_tI7is_trueIsEEENSC_INSD_IbEEEENSA_11use_defaultESO_EENS0_5tupleIJNSA_16discard_iteratorISO_EES6_EEENSQ_IJSG_SG_EEES6_PlJS6_EEE10hipError_tPvRmT3_T4_T5_T6_T7_T9_mT8_P12ihipStream_tbDpT10_ENKUlT_T0_E_clISt17integral_constantIbLb1EES1F_EEDaS1A_S1B_EUlS1A_E_NS1_11comp_targetILNS1_3genE10ELNS1_11target_archE1200ELNS1_3gpuE4ELNS1_3repE0EEENS1_30default_config_static_selectorELNS0_4arch9wavefront6targetE0EEEvT1_.numbered_sgpr, 0
	.set _ZN7rocprim17ROCPRIM_400000_NS6detail17trampoline_kernelINS0_14default_configENS1_25partition_config_selectorILNS1_17partition_subalgoE5EsNS0_10empty_typeEbEEZZNS1_14partition_implILS5_5ELb0ES3_mN6thrust23THRUST_200600_302600_NS6detail15normal_iteratorINSA_10device_ptrIsEEEEPS6_NSA_18transform_iteratorINSB_9not_fun_tI7is_trueIsEEENSC_INSD_IbEEEENSA_11use_defaultESO_EENS0_5tupleIJNSA_16discard_iteratorISO_EES6_EEENSQ_IJSG_SG_EEES6_PlJS6_EEE10hipError_tPvRmT3_T4_T5_T6_T7_T9_mT8_P12ihipStream_tbDpT10_ENKUlT_T0_E_clISt17integral_constantIbLb1EES1F_EEDaS1A_S1B_EUlS1A_E_NS1_11comp_targetILNS1_3genE10ELNS1_11target_archE1200ELNS1_3gpuE4ELNS1_3repE0EEENS1_30default_config_static_selectorELNS0_4arch9wavefront6targetE0EEEvT1_.num_named_barrier, 0
	.set _ZN7rocprim17ROCPRIM_400000_NS6detail17trampoline_kernelINS0_14default_configENS1_25partition_config_selectorILNS1_17partition_subalgoE5EsNS0_10empty_typeEbEEZZNS1_14partition_implILS5_5ELb0ES3_mN6thrust23THRUST_200600_302600_NS6detail15normal_iteratorINSA_10device_ptrIsEEEEPS6_NSA_18transform_iteratorINSB_9not_fun_tI7is_trueIsEEENSC_INSD_IbEEEENSA_11use_defaultESO_EENS0_5tupleIJNSA_16discard_iteratorISO_EES6_EEENSQ_IJSG_SG_EEES6_PlJS6_EEE10hipError_tPvRmT3_T4_T5_T6_T7_T9_mT8_P12ihipStream_tbDpT10_ENKUlT_T0_E_clISt17integral_constantIbLb1EES1F_EEDaS1A_S1B_EUlS1A_E_NS1_11comp_targetILNS1_3genE10ELNS1_11target_archE1200ELNS1_3gpuE4ELNS1_3repE0EEENS1_30default_config_static_selectorELNS0_4arch9wavefront6targetE0EEEvT1_.private_seg_size, 0
	.set _ZN7rocprim17ROCPRIM_400000_NS6detail17trampoline_kernelINS0_14default_configENS1_25partition_config_selectorILNS1_17partition_subalgoE5EsNS0_10empty_typeEbEEZZNS1_14partition_implILS5_5ELb0ES3_mN6thrust23THRUST_200600_302600_NS6detail15normal_iteratorINSA_10device_ptrIsEEEEPS6_NSA_18transform_iteratorINSB_9not_fun_tI7is_trueIsEEENSC_INSD_IbEEEENSA_11use_defaultESO_EENS0_5tupleIJNSA_16discard_iteratorISO_EES6_EEENSQ_IJSG_SG_EEES6_PlJS6_EEE10hipError_tPvRmT3_T4_T5_T6_T7_T9_mT8_P12ihipStream_tbDpT10_ENKUlT_T0_E_clISt17integral_constantIbLb1EES1F_EEDaS1A_S1B_EUlS1A_E_NS1_11comp_targetILNS1_3genE10ELNS1_11target_archE1200ELNS1_3gpuE4ELNS1_3repE0EEENS1_30default_config_static_selectorELNS0_4arch9wavefront6targetE0EEEvT1_.uses_vcc, 0
	.set _ZN7rocprim17ROCPRIM_400000_NS6detail17trampoline_kernelINS0_14default_configENS1_25partition_config_selectorILNS1_17partition_subalgoE5EsNS0_10empty_typeEbEEZZNS1_14partition_implILS5_5ELb0ES3_mN6thrust23THRUST_200600_302600_NS6detail15normal_iteratorINSA_10device_ptrIsEEEEPS6_NSA_18transform_iteratorINSB_9not_fun_tI7is_trueIsEEENSC_INSD_IbEEEENSA_11use_defaultESO_EENS0_5tupleIJNSA_16discard_iteratorISO_EES6_EEENSQ_IJSG_SG_EEES6_PlJS6_EEE10hipError_tPvRmT3_T4_T5_T6_T7_T9_mT8_P12ihipStream_tbDpT10_ENKUlT_T0_E_clISt17integral_constantIbLb1EES1F_EEDaS1A_S1B_EUlS1A_E_NS1_11comp_targetILNS1_3genE10ELNS1_11target_archE1200ELNS1_3gpuE4ELNS1_3repE0EEENS1_30default_config_static_selectorELNS0_4arch9wavefront6targetE0EEEvT1_.uses_flat_scratch, 0
	.set _ZN7rocprim17ROCPRIM_400000_NS6detail17trampoline_kernelINS0_14default_configENS1_25partition_config_selectorILNS1_17partition_subalgoE5EsNS0_10empty_typeEbEEZZNS1_14partition_implILS5_5ELb0ES3_mN6thrust23THRUST_200600_302600_NS6detail15normal_iteratorINSA_10device_ptrIsEEEEPS6_NSA_18transform_iteratorINSB_9not_fun_tI7is_trueIsEEENSC_INSD_IbEEEENSA_11use_defaultESO_EENS0_5tupleIJNSA_16discard_iteratorISO_EES6_EEENSQ_IJSG_SG_EEES6_PlJS6_EEE10hipError_tPvRmT3_T4_T5_T6_T7_T9_mT8_P12ihipStream_tbDpT10_ENKUlT_T0_E_clISt17integral_constantIbLb1EES1F_EEDaS1A_S1B_EUlS1A_E_NS1_11comp_targetILNS1_3genE10ELNS1_11target_archE1200ELNS1_3gpuE4ELNS1_3repE0EEENS1_30default_config_static_selectorELNS0_4arch9wavefront6targetE0EEEvT1_.has_dyn_sized_stack, 0
	.set _ZN7rocprim17ROCPRIM_400000_NS6detail17trampoline_kernelINS0_14default_configENS1_25partition_config_selectorILNS1_17partition_subalgoE5EsNS0_10empty_typeEbEEZZNS1_14partition_implILS5_5ELb0ES3_mN6thrust23THRUST_200600_302600_NS6detail15normal_iteratorINSA_10device_ptrIsEEEEPS6_NSA_18transform_iteratorINSB_9not_fun_tI7is_trueIsEEENSC_INSD_IbEEEENSA_11use_defaultESO_EENS0_5tupleIJNSA_16discard_iteratorISO_EES6_EEENSQ_IJSG_SG_EEES6_PlJS6_EEE10hipError_tPvRmT3_T4_T5_T6_T7_T9_mT8_P12ihipStream_tbDpT10_ENKUlT_T0_E_clISt17integral_constantIbLb1EES1F_EEDaS1A_S1B_EUlS1A_E_NS1_11comp_targetILNS1_3genE10ELNS1_11target_archE1200ELNS1_3gpuE4ELNS1_3repE0EEENS1_30default_config_static_selectorELNS0_4arch9wavefront6targetE0EEEvT1_.has_recursion, 0
	.set _ZN7rocprim17ROCPRIM_400000_NS6detail17trampoline_kernelINS0_14default_configENS1_25partition_config_selectorILNS1_17partition_subalgoE5EsNS0_10empty_typeEbEEZZNS1_14partition_implILS5_5ELb0ES3_mN6thrust23THRUST_200600_302600_NS6detail15normal_iteratorINSA_10device_ptrIsEEEEPS6_NSA_18transform_iteratorINSB_9not_fun_tI7is_trueIsEEENSC_INSD_IbEEEENSA_11use_defaultESO_EENS0_5tupleIJNSA_16discard_iteratorISO_EES6_EEENSQ_IJSG_SG_EEES6_PlJS6_EEE10hipError_tPvRmT3_T4_T5_T6_T7_T9_mT8_P12ihipStream_tbDpT10_ENKUlT_T0_E_clISt17integral_constantIbLb1EES1F_EEDaS1A_S1B_EUlS1A_E_NS1_11comp_targetILNS1_3genE10ELNS1_11target_archE1200ELNS1_3gpuE4ELNS1_3repE0EEENS1_30default_config_static_selectorELNS0_4arch9wavefront6targetE0EEEvT1_.has_indirect_call, 0
	.section	.AMDGPU.csdata,"",@progbits
; Kernel info:
; codeLenInByte = 4
; TotalNumSgprs: 0
; NumVgprs: 0
; ScratchSize: 0
; MemoryBound: 0
; FloatMode: 240
; IeeeMode: 1
; LDSByteSize: 0 bytes/workgroup (compile time only)
; SGPRBlocks: 0
; VGPRBlocks: 0
; NumSGPRsForWavesPerEU: 1
; NumVGPRsForWavesPerEU: 1
; Occupancy: 16
; WaveLimiterHint : 0
; COMPUTE_PGM_RSRC2:SCRATCH_EN: 0
; COMPUTE_PGM_RSRC2:USER_SGPR: 2
; COMPUTE_PGM_RSRC2:TRAP_HANDLER: 0
; COMPUTE_PGM_RSRC2:TGID_X_EN: 1
; COMPUTE_PGM_RSRC2:TGID_Y_EN: 0
; COMPUTE_PGM_RSRC2:TGID_Z_EN: 0
; COMPUTE_PGM_RSRC2:TIDIG_COMP_CNT: 0
	.section	.text._ZN7rocprim17ROCPRIM_400000_NS6detail17trampoline_kernelINS0_14default_configENS1_25partition_config_selectorILNS1_17partition_subalgoE5EsNS0_10empty_typeEbEEZZNS1_14partition_implILS5_5ELb0ES3_mN6thrust23THRUST_200600_302600_NS6detail15normal_iteratorINSA_10device_ptrIsEEEEPS6_NSA_18transform_iteratorINSB_9not_fun_tI7is_trueIsEEENSC_INSD_IbEEEENSA_11use_defaultESO_EENS0_5tupleIJNSA_16discard_iteratorISO_EES6_EEENSQ_IJSG_SG_EEES6_PlJS6_EEE10hipError_tPvRmT3_T4_T5_T6_T7_T9_mT8_P12ihipStream_tbDpT10_ENKUlT_T0_E_clISt17integral_constantIbLb1EES1F_EEDaS1A_S1B_EUlS1A_E_NS1_11comp_targetILNS1_3genE9ELNS1_11target_archE1100ELNS1_3gpuE3ELNS1_3repE0EEENS1_30default_config_static_selectorELNS0_4arch9wavefront6targetE0EEEvT1_,"axG",@progbits,_ZN7rocprim17ROCPRIM_400000_NS6detail17trampoline_kernelINS0_14default_configENS1_25partition_config_selectorILNS1_17partition_subalgoE5EsNS0_10empty_typeEbEEZZNS1_14partition_implILS5_5ELb0ES3_mN6thrust23THRUST_200600_302600_NS6detail15normal_iteratorINSA_10device_ptrIsEEEEPS6_NSA_18transform_iteratorINSB_9not_fun_tI7is_trueIsEEENSC_INSD_IbEEEENSA_11use_defaultESO_EENS0_5tupleIJNSA_16discard_iteratorISO_EES6_EEENSQ_IJSG_SG_EEES6_PlJS6_EEE10hipError_tPvRmT3_T4_T5_T6_T7_T9_mT8_P12ihipStream_tbDpT10_ENKUlT_T0_E_clISt17integral_constantIbLb1EES1F_EEDaS1A_S1B_EUlS1A_E_NS1_11comp_targetILNS1_3genE9ELNS1_11target_archE1100ELNS1_3gpuE3ELNS1_3repE0EEENS1_30default_config_static_selectorELNS0_4arch9wavefront6targetE0EEEvT1_,comdat
	.protected	_ZN7rocprim17ROCPRIM_400000_NS6detail17trampoline_kernelINS0_14default_configENS1_25partition_config_selectorILNS1_17partition_subalgoE5EsNS0_10empty_typeEbEEZZNS1_14partition_implILS5_5ELb0ES3_mN6thrust23THRUST_200600_302600_NS6detail15normal_iteratorINSA_10device_ptrIsEEEEPS6_NSA_18transform_iteratorINSB_9not_fun_tI7is_trueIsEEENSC_INSD_IbEEEENSA_11use_defaultESO_EENS0_5tupleIJNSA_16discard_iteratorISO_EES6_EEENSQ_IJSG_SG_EEES6_PlJS6_EEE10hipError_tPvRmT3_T4_T5_T6_T7_T9_mT8_P12ihipStream_tbDpT10_ENKUlT_T0_E_clISt17integral_constantIbLb1EES1F_EEDaS1A_S1B_EUlS1A_E_NS1_11comp_targetILNS1_3genE9ELNS1_11target_archE1100ELNS1_3gpuE3ELNS1_3repE0EEENS1_30default_config_static_selectorELNS0_4arch9wavefront6targetE0EEEvT1_ ; -- Begin function _ZN7rocprim17ROCPRIM_400000_NS6detail17trampoline_kernelINS0_14default_configENS1_25partition_config_selectorILNS1_17partition_subalgoE5EsNS0_10empty_typeEbEEZZNS1_14partition_implILS5_5ELb0ES3_mN6thrust23THRUST_200600_302600_NS6detail15normal_iteratorINSA_10device_ptrIsEEEEPS6_NSA_18transform_iteratorINSB_9not_fun_tI7is_trueIsEEENSC_INSD_IbEEEENSA_11use_defaultESO_EENS0_5tupleIJNSA_16discard_iteratorISO_EES6_EEENSQ_IJSG_SG_EEES6_PlJS6_EEE10hipError_tPvRmT3_T4_T5_T6_T7_T9_mT8_P12ihipStream_tbDpT10_ENKUlT_T0_E_clISt17integral_constantIbLb1EES1F_EEDaS1A_S1B_EUlS1A_E_NS1_11comp_targetILNS1_3genE9ELNS1_11target_archE1100ELNS1_3gpuE3ELNS1_3repE0EEENS1_30default_config_static_selectorELNS0_4arch9wavefront6targetE0EEEvT1_
	.globl	_ZN7rocprim17ROCPRIM_400000_NS6detail17trampoline_kernelINS0_14default_configENS1_25partition_config_selectorILNS1_17partition_subalgoE5EsNS0_10empty_typeEbEEZZNS1_14partition_implILS5_5ELb0ES3_mN6thrust23THRUST_200600_302600_NS6detail15normal_iteratorINSA_10device_ptrIsEEEEPS6_NSA_18transform_iteratorINSB_9not_fun_tI7is_trueIsEEENSC_INSD_IbEEEENSA_11use_defaultESO_EENS0_5tupleIJNSA_16discard_iteratorISO_EES6_EEENSQ_IJSG_SG_EEES6_PlJS6_EEE10hipError_tPvRmT3_T4_T5_T6_T7_T9_mT8_P12ihipStream_tbDpT10_ENKUlT_T0_E_clISt17integral_constantIbLb1EES1F_EEDaS1A_S1B_EUlS1A_E_NS1_11comp_targetILNS1_3genE9ELNS1_11target_archE1100ELNS1_3gpuE3ELNS1_3repE0EEENS1_30default_config_static_selectorELNS0_4arch9wavefront6targetE0EEEvT1_
	.p2align	8
	.type	_ZN7rocprim17ROCPRIM_400000_NS6detail17trampoline_kernelINS0_14default_configENS1_25partition_config_selectorILNS1_17partition_subalgoE5EsNS0_10empty_typeEbEEZZNS1_14partition_implILS5_5ELb0ES3_mN6thrust23THRUST_200600_302600_NS6detail15normal_iteratorINSA_10device_ptrIsEEEEPS6_NSA_18transform_iteratorINSB_9not_fun_tI7is_trueIsEEENSC_INSD_IbEEEENSA_11use_defaultESO_EENS0_5tupleIJNSA_16discard_iteratorISO_EES6_EEENSQ_IJSG_SG_EEES6_PlJS6_EEE10hipError_tPvRmT3_T4_T5_T6_T7_T9_mT8_P12ihipStream_tbDpT10_ENKUlT_T0_E_clISt17integral_constantIbLb1EES1F_EEDaS1A_S1B_EUlS1A_E_NS1_11comp_targetILNS1_3genE9ELNS1_11target_archE1100ELNS1_3gpuE3ELNS1_3repE0EEENS1_30default_config_static_selectorELNS0_4arch9wavefront6targetE0EEEvT1_,@function
_ZN7rocprim17ROCPRIM_400000_NS6detail17trampoline_kernelINS0_14default_configENS1_25partition_config_selectorILNS1_17partition_subalgoE5EsNS0_10empty_typeEbEEZZNS1_14partition_implILS5_5ELb0ES3_mN6thrust23THRUST_200600_302600_NS6detail15normal_iteratorINSA_10device_ptrIsEEEEPS6_NSA_18transform_iteratorINSB_9not_fun_tI7is_trueIsEEENSC_INSD_IbEEEENSA_11use_defaultESO_EENS0_5tupleIJNSA_16discard_iteratorISO_EES6_EEENSQ_IJSG_SG_EEES6_PlJS6_EEE10hipError_tPvRmT3_T4_T5_T6_T7_T9_mT8_P12ihipStream_tbDpT10_ENKUlT_T0_E_clISt17integral_constantIbLb1EES1F_EEDaS1A_S1B_EUlS1A_E_NS1_11comp_targetILNS1_3genE9ELNS1_11target_archE1100ELNS1_3gpuE3ELNS1_3repE0EEENS1_30default_config_static_selectorELNS0_4arch9wavefront6targetE0EEEvT1_: ; @_ZN7rocprim17ROCPRIM_400000_NS6detail17trampoline_kernelINS0_14default_configENS1_25partition_config_selectorILNS1_17partition_subalgoE5EsNS0_10empty_typeEbEEZZNS1_14partition_implILS5_5ELb0ES3_mN6thrust23THRUST_200600_302600_NS6detail15normal_iteratorINSA_10device_ptrIsEEEEPS6_NSA_18transform_iteratorINSB_9not_fun_tI7is_trueIsEEENSC_INSD_IbEEEENSA_11use_defaultESO_EENS0_5tupleIJNSA_16discard_iteratorISO_EES6_EEENSQ_IJSG_SG_EEES6_PlJS6_EEE10hipError_tPvRmT3_T4_T5_T6_T7_T9_mT8_P12ihipStream_tbDpT10_ENKUlT_T0_E_clISt17integral_constantIbLb1EES1F_EEDaS1A_S1B_EUlS1A_E_NS1_11comp_targetILNS1_3genE9ELNS1_11target_archE1100ELNS1_3gpuE3ELNS1_3repE0EEENS1_30default_config_static_selectorELNS0_4arch9wavefront6targetE0EEEvT1_
; %bb.0:
	.section	.rodata,"a",@progbits
	.p2align	6, 0x0
	.amdhsa_kernel _ZN7rocprim17ROCPRIM_400000_NS6detail17trampoline_kernelINS0_14default_configENS1_25partition_config_selectorILNS1_17partition_subalgoE5EsNS0_10empty_typeEbEEZZNS1_14partition_implILS5_5ELb0ES3_mN6thrust23THRUST_200600_302600_NS6detail15normal_iteratorINSA_10device_ptrIsEEEEPS6_NSA_18transform_iteratorINSB_9not_fun_tI7is_trueIsEEENSC_INSD_IbEEEENSA_11use_defaultESO_EENS0_5tupleIJNSA_16discard_iteratorISO_EES6_EEENSQ_IJSG_SG_EEES6_PlJS6_EEE10hipError_tPvRmT3_T4_T5_T6_T7_T9_mT8_P12ihipStream_tbDpT10_ENKUlT_T0_E_clISt17integral_constantIbLb1EES1F_EEDaS1A_S1B_EUlS1A_E_NS1_11comp_targetILNS1_3genE9ELNS1_11target_archE1100ELNS1_3gpuE3ELNS1_3repE0EEENS1_30default_config_static_selectorELNS0_4arch9wavefront6targetE0EEEvT1_
		.amdhsa_group_segment_fixed_size 0
		.amdhsa_private_segment_fixed_size 0
		.amdhsa_kernarg_size 144
		.amdhsa_user_sgpr_count 2
		.amdhsa_user_sgpr_dispatch_ptr 0
		.amdhsa_user_sgpr_queue_ptr 0
		.amdhsa_user_sgpr_kernarg_segment_ptr 1
		.amdhsa_user_sgpr_dispatch_id 0
		.amdhsa_user_sgpr_private_segment_size 0
		.amdhsa_wavefront_size32 1
		.amdhsa_uses_dynamic_stack 0
		.amdhsa_enable_private_segment 0
		.amdhsa_system_sgpr_workgroup_id_x 1
		.amdhsa_system_sgpr_workgroup_id_y 0
		.amdhsa_system_sgpr_workgroup_id_z 0
		.amdhsa_system_sgpr_workgroup_info 0
		.amdhsa_system_vgpr_workitem_id 0
		.amdhsa_next_free_vgpr 1
		.amdhsa_next_free_sgpr 1
		.amdhsa_reserve_vcc 0
		.amdhsa_float_round_mode_32 0
		.amdhsa_float_round_mode_16_64 0
		.amdhsa_float_denorm_mode_32 3
		.amdhsa_float_denorm_mode_16_64 3
		.amdhsa_fp16_overflow 0
		.amdhsa_workgroup_processor_mode 1
		.amdhsa_memory_ordered 1
		.amdhsa_forward_progress 1
		.amdhsa_inst_pref_size 0
		.amdhsa_round_robin_scheduling 0
		.amdhsa_exception_fp_ieee_invalid_op 0
		.amdhsa_exception_fp_denorm_src 0
		.amdhsa_exception_fp_ieee_div_zero 0
		.amdhsa_exception_fp_ieee_overflow 0
		.amdhsa_exception_fp_ieee_underflow 0
		.amdhsa_exception_fp_ieee_inexact 0
		.amdhsa_exception_int_div_zero 0
	.end_amdhsa_kernel
	.section	.text._ZN7rocprim17ROCPRIM_400000_NS6detail17trampoline_kernelINS0_14default_configENS1_25partition_config_selectorILNS1_17partition_subalgoE5EsNS0_10empty_typeEbEEZZNS1_14partition_implILS5_5ELb0ES3_mN6thrust23THRUST_200600_302600_NS6detail15normal_iteratorINSA_10device_ptrIsEEEEPS6_NSA_18transform_iteratorINSB_9not_fun_tI7is_trueIsEEENSC_INSD_IbEEEENSA_11use_defaultESO_EENS0_5tupleIJNSA_16discard_iteratorISO_EES6_EEENSQ_IJSG_SG_EEES6_PlJS6_EEE10hipError_tPvRmT3_T4_T5_T6_T7_T9_mT8_P12ihipStream_tbDpT10_ENKUlT_T0_E_clISt17integral_constantIbLb1EES1F_EEDaS1A_S1B_EUlS1A_E_NS1_11comp_targetILNS1_3genE9ELNS1_11target_archE1100ELNS1_3gpuE3ELNS1_3repE0EEENS1_30default_config_static_selectorELNS0_4arch9wavefront6targetE0EEEvT1_,"axG",@progbits,_ZN7rocprim17ROCPRIM_400000_NS6detail17trampoline_kernelINS0_14default_configENS1_25partition_config_selectorILNS1_17partition_subalgoE5EsNS0_10empty_typeEbEEZZNS1_14partition_implILS5_5ELb0ES3_mN6thrust23THRUST_200600_302600_NS6detail15normal_iteratorINSA_10device_ptrIsEEEEPS6_NSA_18transform_iteratorINSB_9not_fun_tI7is_trueIsEEENSC_INSD_IbEEEENSA_11use_defaultESO_EENS0_5tupleIJNSA_16discard_iteratorISO_EES6_EEENSQ_IJSG_SG_EEES6_PlJS6_EEE10hipError_tPvRmT3_T4_T5_T6_T7_T9_mT8_P12ihipStream_tbDpT10_ENKUlT_T0_E_clISt17integral_constantIbLb1EES1F_EEDaS1A_S1B_EUlS1A_E_NS1_11comp_targetILNS1_3genE9ELNS1_11target_archE1100ELNS1_3gpuE3ELNS1_3repE0EEENS1_30default_config_static_selectorELNS0_4arch9wavefront6targetE0EEEvT1_,comdat
.Lfunc_end2827:
	.size	_ZN7rocprim17ROCPRIM_400000_NS6detail17trampoline_kernelINS0_14default_configENS1_25partition_config_selectorILNS1_17partition_subalgoE5EsNS0_10empty_typeEbEEZZNS1_14partition_implILS5_5ELb0ES3_mN6thrust23THRUST_200600_302600_NS6detail15normal_iteratorINSA_10device_ptrIsEEEEPS6_NSA_18transform_iteratorINSB_9not_fun_tI7is_trueIsEEENSC_INSD_IbEEEENSA_11use_defaultESO_EENS0_5tupleIJNSA_16discard_iteratorISO_EES6_EEENSQ_IJSG_SG_EEES6_PlJS6_EEE10hipError_tPvRmT3_T4_T5_T6_T7_T9_mT8_P12ihipStream_tbDpT10_ENKUlT_T0_E_clISt17integral_constantIbLb1EES1F_EEDaS1A_S1B_EUlS1A_E_NS1_11comp_targetILNS1_3genE9ELNS1_11target_archE1100ELNS1_3gpuE3ELNS1_3repE0EEENS1_30default_config_static_selectorELNS0_4arch9wavefront6targetE0EEEvT1_, .Lfunc_end2827-_ZN7rocprim17ROCPRIM_400000_NS6detail17trampoline_kernelINS0_14default_configENS1_25partition_config_selectorILNS1_17partition_subalgoE5EsNS0_10empty_typeEbEEZZNS1_14partition_implILS5_5ELb0ES3_mN6thrust23THRUST_200600_302600_NS6detail15normal_iteratorINSA_10device_ptrIsEEEEPS6_NSA_18transform_iteratorINSB_9not_fun_tI7is_trueIsEEENSC_INSD_IbEEEENSA_11use_defaultESO_EENS0_5tupleIJNSA_16discard_iteratorISO_EES6_EEENSQ_IJSG_SG_EEES6_PlJS6_EEE10hipError_tPvRmT3_T4_T5_T6_T7_T9_mT8_P12ihipStream_tbDpT10_ENKUlT_T0_E_clISt17integral_constantIbLb1EES1F_EEDaS1A_S1B_EUlS1A_E_NS1_11comp_targetILNS1_3genE9ELNS1_11target_archE1100ELNS1_3gpuE3ELNS1_3repE0EEENS1_30default_config_static_selectorELNS0_4arch9wavefront6targetE0EEEvT1_
                                        ; -- End function
	.set _ZN7rocprim17ROCPRIM_400000_NS6detail17trampoline_kernelINS0_14default_configENS1_25partition_config_selectorILNS1_17partition_subalgoE5EsNS0_10empty_typeEbEEZZNS1_14partition_implILS5_5ELb0ES3_mN6thrust23THRUST_200600_302600_NS6detail15normal_iteratorINSA_10device_ptrIsEEEEPS6_NSA_18transform_iteratorINSB_9not_fun_tI7is_trueIsEEENSC_INSD_IbEEEENSA_11use_defaultESO_EENS0_5tupleIJNSA_16discard_iteratorISO_EES6_EEENSQ_IJSG_SG_EEES6_PlJS6_EEE10hipError_tPvRmT3_T4_T5_T6_T7_T9_mT8_P12ihipStream_tbDpT10_ENKUlT_T0_E_clISt17integral_constantIbLb1EES1F_EEDaS1A_S1B_EUlS1A_E_NS1_11comp_targetILNS1_3genE9ELNS1_11target_archE1100ELNS1_3gpuE3ELNS1_3repE0EEENS1_30default_config_static_selectorELNS0_4arch9wavefront6targetE0EEEvT1_.num_vgpr, 0
	.set _ZN7rocprim17ROCPRIM_400000_NS6detail17trampoline_kernelINS0_14default_configENS1_25partition_config_selectorILNS1_17partition_subalgoE5EsNS0_10empty_typeEbEEZZNS1_14partition_implILS5_5ELb0ES3_mN6thrust23THRUST_200600_302600_NS6detail15normal_iteratorINSA_10device_ptrIsEEEEPS6_NSA_18transform_iteratorINSB_9not_fun_tI7is_trueIsEEENSC_INSD_IbEEEENSA_11use_defaultESO_EENS0_5tupleIJNSA_16discard_iteratorISO_EES6_EEENSQ_IJSG_SG_EEES6_PlJS6_EEE10hipError_tPvRmT3_T4_T5_T6_T7_T9_mT8_P12ihipStream_tbDpT10_ENKUlT_T0_E_clISt17integral_constantIbLb1EES1F_EEDaS1A_S1B_EUlS1A_E_NS1_11comp_targetILNS1_3genE9ELNS1_11target_archE1100ELNS1_3gpuE3ELNS1_3repE0EEENS1_30default_config_static_selectorELNS0_4arch9wavefront6targetE0EEEvT1_.num_agpr, 0
	.set _ZN7rocprim17ROCPRIM_400000_NS6detail17trampoline_kernelINS0_14default_configENS1_25partition_config_selectorILNS1_17partition_subalgoE5EsNS0_10empty_typeEbEEZZNS1_14partition_implILS5_5ELb0ES3_mN6thrust23THRUST_200600_302600_NS6detail15normal_iteratorINSA_10device_ptrIsEEEEPS6_NSA_18transform_iteratorINSB_9not_fun_tI7is_trueIsEEENSC_INSD_IbEEEENSA_11use_defaultESO_EENS0_5tupleIJNSA_16discard_iteratorISO_EES6_EEENSQ_IJSG_SG_EEES6_PlJS6_EEE10hipError_tPvRmT3_T4_T5_T6_T7_T9_mT8_P12ihipStream_tbDpT10_ENKUlT_T0_E_clISt17integral_constantIbLb1EES1F_EEDaS1A_S1B_EUlS1A_E_NS1_11comp_targetILNS1_3genE9ELNS1_11target_archE1100ELNS1_3gpuE3ELNS1_3repE0EEENS1_30default_config_static_selectorELNS0_4arch9wavefront6targetE0EEEvT1_.numbered_sgpr, 0
	.set _ZN7rocprim17ROCPRIM_400000_NS6detail17trampoline_kernelINS0_14default_configENS1_25partition_config_selectorILNS1_17partition_subalgoE5EsNS0_10empty_typeEbEEZZNS1_14partition_implILS5_5ELb0ES3_mN6thrust23THRUST_200600_302600_NS6detail15normal_iteratorINSA_10device_ptrIsEEEEPS6_NSA_18transform_iteratorINSB_9not_fun_tI7is_trueIsEEENSC_INSD_IbEEEENSA_11use_defaultESO_EENS0_5tupleIJNSA_16discard_iteratorISO_EES6_EEENSQ_IJSG_SG_EEES6_PlJS6_EEE10hipError_tPvRmT3_T4_T5_T6_T7_T9_mT8_P12ihipStream_tbDpT10_ENKUlT_T0_E_clISt17integral_constantIbLb1EES1F_EEDaS1A_S1B_EUlS1A_E_NS1_11comp_targetILNS1_3genE9ELNS1_11target_archE1100ELNS1_3gpuE3ELNS1_3repE0EEENS1_30default_config_static_selectorELNS0_4arch9wavefront6targetE0EEEvT1_.num_named_barrier, 0
	.set _ZN7rocprim17ROCPRIM_400000_NS6detail17trampoline_kernelINS0_14default_configENS1_25partition_config_selectorILNS1_17partition_subalgoE5EsNS0_10empty_typeEbEEZZNS1_14partition_implILS5_5ELb0ES3_mN6thrust23THRUST_200600_302600_NS6detail15normal_iteratorINSA_10device_ptrIsEEEEPS6_NSA_18transform_iteratorINSB_9not_fun_tI7is_trueIsEEENSC_INSD_IbEEEENSA_11use_defaultESO_EENS0_5tupleIJNSA_16discard_iteratorISO_EES6_EEENSQ_IJSG_SG_EEES6_PlJS6_EEE10hipError_tPvRmT3_T4_T5_T6_T7_T9_mT8_P12ihipStream_tbDpT10_ENKUlT_T0_E_clISt17integral_constantIbLb1EES1F_EEDaS1A_S1B_EUlS1A_E_NS1_11comp_targetILNS1_3genE9ELNS1_11target_archE1100ELNS1_3gpuE3ELNS1_3repE0EEENS1_30default_config_static_selectorELNS0_4arch9wavefront6targetE0EEEvT1_.private_seg_size, 0
	.set _ZN7rocprim17ROCPRIM_400000_NS6detail17trampoline_kernelINS0_14default_configENS1_25partition_config_selectorILNS1_17partition_subalgoE5EsNS0_10empty_typeEbEEZZNS1_14partition_implILS5_5ELb0ES3_mN6thrust23THRUST_200600_302600_NS6detail15normal_iteratorINSA_10device_ptrIsEEEEPS6_NSA_18transform_iteratorINSB_9not_fun_tI7is_trueIsEEENSC_INSD_IbEEEENSA_11use_defaultESO_EENS0_5tupleIJNSA_16discard_iteratorISO_EES6_EEENSQ_IJSG_SG_EEES6_PlJS6_EEE10hipError_tPvRmT3_T4_T5_T6_T7_T9_mT8_P12ihipStream_tbDpT10_ENKUlT_T0_E_clISt17integral_constantIbLb1EES1F_EEDaS1A_S1B_EUlS1A_E_NS1_11comp_targetILNS1_3genE9ELNS1_11target_archE1100ELNS1_3gpuE3ELNS1_3repE0EEENS1_30default_config_static_selectorELNS0_4arch9wavefront6targetE0EEEvT1_.uses_vcc, 0
	.set _ZN7rocprim17ROCPRIM_400000_NS6detail17trampoline_kernelINS0_14default_configENS1_25partition_config_selectorILNS1_17partition_subalgoE5EsNS0_10empty_typeEbEEZZNS1_14partition_implILS5_5ELb0ES3_mN6thrust23THRUST_200600_302600_NS6detail15normal_iteratorINSA_10device_ptrIsEEEEPS6_NSA_18transform_iteratorINSB_9not_fun_tI7is_trueIsEEENSC_INSD_IbEEEENSA_11use_defaultESO_EENS0_5tupleIJNSA_16discard_iteratorISO_EES6_EEENSQ_IJSG_SG_EEES6_PlJS6_EEE10hipError_tPvRmT3_T4_T5_T6_T7_T9_mT8_P12ihipStream_tbDpT10_ENKUlT_T0_E_clISt17integral_constantIbLb1EES1F_EEDaS1A_S1B_EUlS1A_E_NS1_11comp_targetILNS1_3genE9ELNS1_11target_archE1100ELNS1_3gpuE3ELNS1_3repE0EEENS1_30default_config_static_selectorELNS0_4arch9wavefront6targetE0EEEvT1_.uses_flat_scratch, 0
	.set _ZN7rocprim17ROCPRIM_400000_NS6detail17trampoline_kernelINS0_14default_configENS1_25partition_config_selectorILNS1_17partition_subalgoE5EsNS0_10empty_typeEbEEZZNS1_14partition_implILS5_5ELb0ES3_mN6thrust23THRUST_200600_302600_NS6detail15normal_iteratorINSA_10device_ptrIsEEEEPS6_NSA_18transform_iteratorINSB_9not_fun_tI7is_trueIsEEENSC_INSD_IbEEEENSA_11use_defaultESO_EENS0_5tupleIJNSA_16discard_iteratorISO_EES6_EEENSQ_IJSG_SG_EEES6_PlJS6_EEE10hipError_tPvRmT3_T4_T5_T6_T7_T9_mT8_P12ihipStream_tbDpT10_ENKUlT_T0_E_clISt17integral_constantIbLb1EES1F_EEDaS1A_S1B_EUlS1A_E_NS1_11comp_targetILNS1_3genE9ELNS1_11target_archE1100ELNS1_3gpuE3ELNS1_3repE0EEENS1_30default_config_static_selectorELNS0_4arch9wavefront6targetE0EEEvT1_.has_dyn_sized_stack, 0
	.set _ZN7rocprim17ROCPRIM_400000_NS6detail17trampoline_kernelINS0_14default_configENS1_25partition_config_selectorILNS1_17partition_subalgoE5EsNS0_10empty_typeEbEEZZNS1_14partition_implILS5_5ELb0ES3_mN6thrust23THRUST_200600_302600_NS6detail15normal_iteratorINSA_10device_ptrIsEEEEPS6_NSA_18transform_iteratorINSB_9not_fun_tI7is_trueIsEEENSC_INSD_IbEEEENSA_11use_defaultESO_EENS0_5tupleIJNSA_16discard_iteratorISO_EES6_EEENSQ_IJSG_SG_EEES6_PlJS6_EEE10hipError_tPvRmT3_T4_T5_T6_T7_T9_mT8_P12ihipStream_tbDpT10_ENKUlT_T0_E_clISt17integral_constantIbLb1EES1F_EEDaS1A_S1B_EUlS1A_E_NS1_11comp_targetILNS1_3genE9ELNS1_11target_archE1100ELNS1_3gpuE3ELNS1_3repE0EEENS1_30default_config_static_selectorELNS0_4arch9wavefront6targetE0EEEvT1_.has_recursion, 0
	.set _ZN7rocprim17ROCPRIM_400000_NS6detail17trampoline_kernelINS0_14default_configENS1_25partition_config_selectorILNS1_17partition_subalgoE5EsNS0_10empty_typeEbEEZZNS1_14partition_implILS5_5ELb0ES3_mN6thrust23THRUST_200600_302600_NS6detail15normal_iteratorINSA_10device_ptrIsEEEEPS6_NSA_18transform_iteratorINSB_9not_fun_tI7is_trueIsEEENSC_INSD_IbEEEENSA_11use_defaultESO_EENS0_5tupleIJNSA_16discard_iteratorISO_EES6_EEENSQ_IJSG_SG_EEES6_PlJS6_EEE10hipError_tPvRmT3_T4_T5_T6_T7_T9_mT8_P12ihipStream_tbDpT10_ENKUlT_T0_E_clISt17integral_constantIbLb1EES1F_EEDaS1A_S1B_EUlS1A_E_NS1_11comp_targetILNS1_3genE9ELNS1_11target_archE1100ELNS1_3gpuE3ELNS1_3repE0EEENS1_30default_config_static_selectorELNS0_4arch9wavefront6targetE0EEEvT1_.has_indirect_call, 0
	.section	.AMDGPU.csdata,"",@progbits
; Kernel info:
; codeLenInByte = 0
; TotalNumSgprs: 0
; NumVgprs: 0
; ScratchSize: 0
; MemoryBound: 0
; FloatMode: 240
; IeeeMode: 1
; LDSByteSize: 0 bytes/workgroup (compile time only)
; SGPRBlocks: 0
; VGPRBlocks: 0
; NumSGPRsForWavesPerEU: 1
; NumVGPRsForWavesPerEU: 1
; Occupancy: 16
; WaveLimiterHint : 0
; COMPUTE_PGM_RSRC2:SCRATCH_EN: 0
; COMPUTE_PGM_RSRC2:USER_SGPR: 2
; COMPUTE_PGM_RSRC2:TRAP_HANDLER: 0
; COMPUTE_PGM_RSRC2:TGID_X_EN: 1
; COMPUTE_PGM_RSRC2:TGID_Y_EN: 0
; COMPUTE_PGM_RSRC2:TGID_Z_EN: 0
; COMPUTE_PGM_RSRC2:TIDIG_COMP_CNT: 0
	.section	.text._ZN7rocprim17ROCPRIM_400000_NS6detail17trampoline_kernelINS0_14default_configENS1_25partition_config_selectorILNS1_17partition_subalgoE5EsNS0_10empty_typeEbEEZZNS1_14partition_implILS5_5ELb0ES3_mN6thrust23THRUST_200600_302600_NS6detail15normal_iteratorINSA_10device_ptrIsEEEEPS6_NSA_18transform_iteratorINSB_9not_fun_tI7is_trueIsEEENSC_INSD_IbEEEENSA_11use_defaultESO_EENS0_5tupleIJNSA_16discard_iteratorISO_EES6_EEENSQ_IJSG_SG_EEES6_PlJS6_EEE10hipError_tPvRmT3_T4_T5_T6_T7_T9_mT8_P12ihipStream_tbDpT10_ENKUlT_T0_E_clISt17integral_constantIbLb1EES1F_EEDaS1A_S1B_EUlS1A_E_NS1_11comp_targetILNS1_3genE8ELNS1_11target_archE1030ELNS1_3gpuE2ELNS1_3repE0EEENS1_30default_config_static_selectorELNS0_4arch9wavefront6targetE0EEEvT1_,"axG",@progbits,_ZN7rocprim17ROCPRIM_400000_NS6detail17trampoline_kernelINS0_14default_configENS1_25partition_config_selectorILNS1_17partition_subalgoE5EsNS0_10empty_typeEbEEZZNS1_14partition_implILS5_5ELb0ES3_mN6thrust23THRUST_200600_302600_NS6detail15normal_iteratorINSA_10device_ptrIsEEEEPS6_NSA_18transform_iteratorINSB_9not_fun_tI7is_trueIsEEENSC_INSD_IbEEEENSA_11use_defaultESO_EENS0_5tupleIJNSA_16discard_iteratorISO_EES6_EEENSQ_IJSG_SG_EEES6_PlJS6_EEE10hipError_tPvRmT3_T4_T5_T6_T7_T9_mT8_P12ihipStream_tbDpT10_ENKUlT_T0_E_clISt17integral_constantIbLb1EES1F_EEDaS1A_S1B_EUlS1A_E_NS1_11comp_targetILNS1_3genE8ELNS1_11target_archE1030ELNS1_3gpuE2ELNS1_3repE0EEENS1_30default_config_static_selectorELNS0_4arch9wavefront6targetE0EEEvT1_,comdat
	.protected	_ZN7rocprim17ROCPRIM_400000_NS6detail17trampoline_kernelINS0_14default_configENS1_25partition_config_selectorILNS1_17partition_subalgoE5EsNS0_10empty_typeEbEEZZNS1_14partition_implILS5_5ELb0ES3_mN6thrust23THRUST_200600_302600_NS6detail15normal_iteratorINSA_10device_ptrIsEEEEPS6_NSA_18transform_iteratorINSB_9not_fun_tI7is_trueIsEEENSC_INSD_IbEEEENSA_11use_defaultESO_EENS0_5tupleIJNSA_16discard_iteratorISO_EES6_EEENSQ_IJSG_SG_EEES6_PlJS6_EEE10hipError_tPvRmT3_T4_T5_T6_T7_T9_mT8_P12ihipStream_tbDpT10_ENKUlT_T0_E_clISt17integral_constantIbLb1EES1F_EEDaS1A_S1B_EUlS1A_E_NS1_11comp_targetILNS1_3genE8ELNS1_11target_archE1030ELNS1_3gpuE2ELNS1_3repE0EEENS1_30default_config_static_selectorELNS0_4arch9wavefront6targetE0EEEvT1_ ; -- Begin function _ZN7rocprim17ROCPRIM_400000_NS6detail17trampoline_kernelINS0_14default_configENS1_25partition_config_selectorILNS1_17partition_subalgoE5EsNS0_10empty_typeEbEEZZNS1_14partition_implILS5_5ELb0ES3_mN6thrust23THRUST_200600_302600_NS6detail15normal_iteratorINSA_10device_ptrIsEEEEPS6_NSA_18transform_iteratorINSB_9not_fun_tI7is_trueIsEEENSC_INSD_IbEEEENSA_11use_defaultESO_EENS0_5tupleIJNSA_16discard_iteratorISO_EES6_EEENSQ_IJSG_SG_EEES6_PlJS6_EEE10hipError_tPvRmT3_T4_T5_T6_T7_T9_mT8_P12ihipStream_tbDpT10_ENKUlT_T0_E_clISt17integral_constantIbLb1EES1F_EEDaS1A_S1B_EUlS1A_E_NS1_11comp_targetILNS1_3genE8ELNS1_11target_archE1030ELNS1_3gpuE2ELNS1_3repE0EEENS1_30default_config_static_selectorELNS0_4arch9wavefront6targetE0EEEvT1_
	.globl	_ZN7rocprim17ROCPRIM_400000_NS6detail17trampoline_kernelINS0_14default_configENS1_25partition_config_selectorILNS1_17partition_subalgoE5EsNS0_10empty_typeEbEEZZNS1_14partition_implILS5_5ELb0ES3_mN6thrust23THRUST_200600_302600_NS6detail15normal_iteratorINSA_10device_ptrIsEEEEPS6_NSA_18transform_iteratorINSB_9not_fun_tI7is_trueIsEEENSC_INSD_IbEEEENSA_11use_defaultESO_EENS0_5tupleIJNSA_16discard_iteratorISO_EES6_EEENSQ_IJSG_SG_EEES6_PlJS6_EEE10hipError_tPvRmT3_T4_T5_T6_T7_T9_mT8_P12ihipStream_tbDpT10_ENKUlT_T0_E_clISt17integral_constantIbLb1EES1F_EEDaS1A_S1B_EUlS1A_E_NS1_11comp_targetILNS1_3genE8ELNS1_11target_archE1030ELNS1_3gpuE2ELNS1_3repE0EEENS1_30default_config_static_selectorELNS0_4arch9wavefront6targetE0EEEvT1_
	.p2align	8
	.type	_ZN7rocprim17ROCPRIM_400000_NS6detail17trampoline_kernelINS0_14default_configENS1_25partition_config_selectorILNS1_17partition_subalgoE5EsNS0_10empty_typeEbEEZZNS1_14partition_implILS5_5ELb0ES3_mN6thrust23THRUST_200600_302600_NS6detail15normal_iteratorINSA_10device_ptrIsEEEEPS6_NSA_18transform_iteratorINSB_9not_fun_tI7is_trueIsEEENSC_INSD_IbEEEENSA_11use_defaultESO_EENS0_5tupleIJNSA_16discard_iteratorISO_EES6_EEENSQ_IJSG_SG_EEES6_PlJS6_EEE10hipError_tPvRmT3_T4_T5_T6_T7_T9_mT8_P12ihipStream_tbDpT10_ENKUlT_T0_E_clISt17integral_constantIbLb1EES1F_EEDaS1A_S1B_EUlS1A_E_NS1_11comp_targetILNS1_3genE8ELNS1_11target_archE1030ELNS1_3gpuE2ELNS1_3repE0EEENS1_30default_config_static_selectorELNS0_4arch9wavefront6targetE0EEEvT1_,@function
_ZN7rocprim17ROCPRIM_400000_NS6detail17trampoline_kernelINS0_14default_configENS1_25partition_config_selectorILNS1_17partition_subalgoE5EsNS0_10empty_typeEbEEZZNS1_14partition_implILS5_5ELb0ES3_mN6thrust23THRUST_200600_302600_NS6detail15normal_iteratorINSA_10device_ptrIsEEEEPS6_NSA_18transform_iteratorINSB_9not_fun_tI7is_trueIsEEENSC_INSD_IbEEEENSA_11use_defaultESO_EENS0_5tupleIJNSA_16discard_iteratorISO_EES6_EEENSQ_IJSG_SG_EEES6_PlJS6_EEE10hipError_tPvRmT3_T4_T5_T6_T7_T9_mT8_P12ihipStream_tbDpT10_ENKUlT_T0_E_clISt17integral_constantIbLb1EES1F_EEDaS1A_S1B_EUlS1A_E_NS1_11comp_targetILNS1_3genE8ELNS1_11target_archE1030ELNS1_3gpuE2ELNS1_3repE0EEENS1_30default_config_static_selectorELNS0_4arch9wavefront6targetE0EEEvT1_: ; @_ZN7rocprim17ROCPRIM_400000_NS6detail17trampoline_kernelINS0_14default_configENS1_25partition_config_selectorILNS1_17partition_subalgoE5EsNS0_10empty_typeEbEEZZNS1_14partition_implILS5_5ELb0ES3_mN6thrust23THRUST_200600_302600_NS6detail15normal_iteratorINSA_10device_ptrIsEEEEPS6_NSA_18transform_iteratorINSB_9not_fun_tI7is_trueIsEEENSC_INSD_IbEEEENSA_11use_defaultESO_EENS0_5tupleIJNSA_16discard_iteratorISO_EES6_EEENSQ_IJSG_SG_EEES6_PlJS6_EEE10hipError_tPvRmT3_T4_T5_T6_T7_T9_mT8_P12ihipStream_tbDpT10_ENKUlT_T0_E_clISt17integral_constantIbLb1EES1F_EEDaS1A_S1B_EUlS1A_E_NS1_11comp_targetILNS1_3genE8ELNS1_11target_archE1030ELNS1_3gpuE2ELNS1_3repE0EEENS1_30default_config_static_selectorELNS0_4arch9wavefront6targetE0EEEvT1_
; %bb.0:
	.section	.rodata,"a",@progbits
	.p2align	6, 0x0
	.amdhsa_kernel _ZN7rocprim17ROCPRIM_400000_NS6detail17trampoline_kernelINS0_14default_configENS1_25partition_config_selectorILNS1_17partition_subalgoE5EsNS0_10empty_typeEbEEZZNS1_14partition_implILS5_5ELb0ES3_mN6thrust23THRUST_200600_302600_NS6detail15normal_iteratorINSA_10device_ptrIsEEEEPS6_NSA_18transform_iteratorINSB_9not_fun_tI7is_trueIsEEENSC_INSD_IbEEEENSA_11use_defaultESO_EENS0_5tupleIJNSA_16discard_iteratorISO_EES6_EEENSQ_IJSG_SG_EEES6_PlJS6_EEE10hipError_tPvRmT3_T4_T5_T6_T7_T9_mT8_P12ihipStream_tbDpT10_ENKUlT_T0_E_clISt17integral_constantIbLb1EES1F_EEDaS1A_S1B_EUlS1A_E_NS1_11comp_targetILNS1_3genE8ELNS1_11target_archE1030ELNS1_3gpuE2ELNS1_3repE0EEENS1_30default_config_static_selectorELNS0_4arch9wavefront6targetE0EEEvT1_
		.amdhsa_group_segment_fixed_size 0
		.amdhsa_private_segment_fixed_size 0
		.amdhsa_kernarg_size 144
		.amdhsa_user_sgpr_count 2
		.amdhsa_user_sgpr_dispatch_ptr 0
		.amdhsa_user_sgpr_queue_ptr 0
		.amdhsa_user_sgpr_kernarg_segment_ptr 1
		.amdhsa_user_sgpr_dispatch_id 0
		.amdhsa_user_sgpr_private_segment_size 0
		.amdhsa_wavefront_size32 1
		.amdhsa_uses_dynamic_stack 0
		.amdhsa_enable_private_segment 0
		.amdhsa_system_sgpr_workgroup_id_x 1
		.amdhsa_system_sgpr_workgroup_id_y 0
		.amdhsa_system_sgpr_workgroup_id_z 0
		.amdhsa_system_sgpr_workgroup_info 0
		.amdhsa_system_vgpr_workitem_id 0
		.amdhsa_next_free_vgpr 1
		.amdhsa_next_free_sgpr 1
		.amdhsa_reserve_vcc 0
		.amdhsa_float_round_mode_32 0
		.amdhsa_float_round_mode_16_64 0
		.amdhsa_float_denorm_mode_32 3
		.amdhsa_float_denorm_mode_16_64 3
		.amdhsa_fp16_overflow 0
		.amdhsa_workgroup_processor_mode 1
		.amdhsa_memory_ordered 1
		.amdhsa_forward_progress 1
		.amdhsa_inst_pref_size 0
		.amdhsa_round_robin_scheduling 0
		.amdhsa_exception_fp_ieee_invalid_op 0
		.amdhsa_exception_fp_denorm_src 0
		.amdhsa_exception_fp_ieee_div_zero 0
		.amdhsa_exception_fp_ieee_overflow 0
		.amdhsa_exception_fp_ieee_underflow 0
		.amdhsa_exception_fp_ieee_inexact 0
		.amdhsa_exception_int_div_zero 0
	.end_amdhsa_kernel
	.section	.text._ZN7rocprim17ROCPRIM_400000_NS6detail17trampoline_kernelINS0_14default_configENS1_25partition_config_selectorILNS1_17partition_subalgoE5EsNS0_10empty_typeEbEEZZNS1_14partition_implILS5_5ELb0ES3_mN6thrust23THRUST_200600_302600_NS6detail15normal_iteratorINSA_10device_ptrIsEEEEPS6_NSA_18transform_iteratorINSB_9not_fun_tI7is_trueIsEEENSC_INSD_IbEEEENSA_11use_defaultESO_EENS0_5tupleIJNSA_16discard_iteratorISO_EES6_EEENSQ_IJSG_SG_EEES6_PlJS6_EEE10hipError_tPvRmT3_T4_T5_T6_T7_T9_mT8_P12ihipStream_tbDpT10_ENKUlT_T0_E_clISt17integral_constantIbLb1EES1F_EEDaS1A_S1B_EUlS1A_E_NS1_11comp_targetILNS1_3genE8ELNS1_11target_archE1030ELNS1_3gpuE2ELNS1_3repE0EEENS1_30default_config_static_selectorELNS0_4arch9wavefront6targetE0EEEvT1_,"axG",@progbits,_ZN7rocprim17ROCPRIM_400000_NS6detail17trampoline_kernelINS0_14default_configENS1_25partition_config_selectorILNS1_17partition_subalgoE5EsNS0_10empty_typeEbEEZZNS1_14partition_implILS5_5ELb0ES3_mN6thrust23THRUST_200600_302600_NS6detail15normal_iteratorINSA_10device_ptrIsEEEEPS6_NSA_18transform_iteratorINSB_9not_fun_tI7is_trueIsEEENSC_INSD_IbEEEENSA_11use_defaultESO_EENS0_5tupleIJNSA_16discard_iteratorISO_EES6_EEENSQ_IJSG_SG_EEES6_PlJS6_EEE10hipError_tPvRmT3_T4_T5_T6_T7_T9_mT8_P12ihipStream_tbDpT10_ENKUlT_T0_E_clISt17integral_constantIbLb1EES1F_EEDaS1A_S1B_EUlS1A_E_NS1_11comp_targetILNS1_3genE8ELNS1_11target_archE1030ELNS1_3gpuE2ELNS1_3repE0EEENS1_30default_config_static_selectorELNS0_4arch9wavefront6targetE0EEEvT1_,comdat
.Lfunc_end2828:
	.size	_ZN7rocprim17ROCPRIM_400000_NS6detail17trampoline_kernelINS0_14default_configENS1_25partition_config_selectorILNS1_17partition_subalgoE5EsNS0_10empty_typeEbEEZZNS1_14partition_implILS5_5ELb0ES3_mN6thrust23THRUST_200600_302600_NS6detail15normal_iteratorINSA_10device_ptrIsEEEEPS6_NSA_18transform_iteratorINSB_9not_fun_tI7is_trueIsEEENSC_INSD_IbEEEENSA_11use_defaultESO_EENS0_5tupleIJNSA_16discard_iteratorISO_EES6_EEENSQ_IJSG_SG_EEES6_PlJS6_EEE10hipError_tPvRmT3_T4_T5_T6_T7_T9_mT8_P12ihipStream_tbDpT10_ENKUlT_T0_E_clISt17integral_constantIbLb1EES1F_EEDaS1A_S1B_EUlS1A_E_NS1_11comp_targetILNS1_3genE8ELNS1_11target_archE1030ELNS1_3gpuE2ELNS1_3repE0EEENS1_30default_config_static_selectorELNS0_4arch9wavefront6targetE0EEEvT1_, .Lfunc_end2828-_ZN7rocprim17ROCPRIM_400000_NS6detail17trampoline_kernelINS0_14default_configENS1_25partition_config_selectorILNS1_17partition_subalgoE5EsNS0_10empty_typeEbEEZZNS1_14partition_implILS5_5ELb0ES3_mN6thrust23THRUST_200600_302600_NS6detail15normal_iteratorINSA_10device_ptrIsEEEEPS6_NSA_18transform_iteratorINSB_9not_fun_tI7is_trueIsEEENSC_INSD_IbEEEENSA_11use_defaultESO_EENS0_5tupleIJNSA_16discard_iteratorISO_EES6_EEENSQ_IJSG_SG_EEES6_PlJS6_EEE10hipError_tPvRmT3_T4_T5_T6_T7_T9_mT8_P12ihipStream_tbDpT10_ENKUlT_T0_E_clISt17integral_constantIbLb1EES1F_EEDaS1A_S1B_EUlS1A_E_NS1_11comp_targetILNS1_3genE8ELNS1_11target_archE1030ELNS1_3gpuE2ELNS1_3repE0EEENS1_30default_config_static_selectorELNS0_4arch9wavefront6targetE0EEEvT1_
                                        ; -- End function
	.set _ZN7rocprim17ROCPRIM_400000_NS6detail17trampoline_kernelINS0_14default_configENS1_25partition_config_selectorILNS1_17partition_subalgoE5EsNS0_10empty_typeEbEEZZNS1_14partition_implILS5_5ELb0ES3_mN6thrust23THRUST_200600_302600_NS6detail15normal_iteratorINSA_10device_ptrIsEEEEPS6_NSA_18transform_iteratorINSB_9not_fun_tI7is_trueIsEEENSC_INSD_IbEEEENSA_11use_defaultESO_EENS0_5tupleIJNSA_16discard_iteratorISO_EES6_EEENSQ_IJSG_SG_EEES6_PlJS6_EEE10hipError_tPvRmT3_T4_T5_T6_T7_T9_mT8_P12ihipStream_tbDpT10_ENKUlT_T0_E_clISt17integral_constantIbLb1EES1F_EEDaS1A_S1B_EUlS1A_E_NS1_11comp_targetILNS1_3genE8ELNS1_11target_archE1030ELNS1_3gpuE2ELNS1_3repE0EEENS1_30default_config_static_selectorELNS0_4arch9wavefront6targetE0EEEvT1_.num_vgpr, 0
	.set _ZN7rocprim17ROCPRIM_400000_NS6detail17trampoline_kernelINS0_14default_configENS1_25partition_config_selectorILNS1_17partition_subalgoE5EsNS0_10empty_typeEbEEZZNS1_14partition_implILS5_5ELb0ES3_mN6thrust23THRUST_200600_302600_NS6detail15normal_iteratorINSA_10device_ptrIsEEEEPS6_NSA_18transform_iteratorINSB_9not_fun_tI7is_trueIsEEENSC_INSD_IbEEEENSA_11use_defaultESO_EENS0_5tupleIJNSA_16discard_iteratorISO_EES6_EEENSQ_IJSG_SG_EEES6_PlJS6_EEE10hipError_tPvRmT3_T4_T5_T6_T7_T9_mT8_P12ihipStream_tbDpT10_ENKUlT_T0_E_clISt17integral_constantIbLb1EES1F_EEDaS1A_S1B_EUlS1A_E_NS1_11comp_targetILNS1_3genE8ELNS1_11target_archE1030ELNS1_3gpuE2ELNS1_3repE0EEENS1_30default_config_static_selectorELNS0_4arch9wavefront6targetE0EEEvT1_.num_agpr, 0
	.set _ZN7rocprim17ROCPRIM_400000_NS6detail17trampoline_kernelINS0_14default_configENS1_25partition_config_selectorILNS1_17partition_subalgoE5EsNS0_10empty_typeEbEEZZNS1_14partition_implILS5_5ELb0ES3_mN6thrust23THRUST_200600_302600_NS6detail15normal_iteratorINSA_10device_ptrIsEEEEPS6_NSA_18transform_iteratorINSB_9not_fun_tI7is_trueIsEEENSC_INSD_IbEEEENSA_11use_defaultESO_EENS0_5tupleIJNSA_16discard_iteratorISO_EES6_EEENSQ_IJSG_SG_EEES6_PlJS6_EEE10hipError_tPvRmT3_T4_T5_T6_T7_T9_mT8_P12ihipStream_tbDpT10_ENKUlT_T0_E_clISt17integral_constantIbLb1EES1F_EEDaS1A_S1B_EUlS1A_E_NS1_11comp_targetILNS1_3genE8ELNS1_11target_archE1030ELNS1_3gpuE2ELNS1_3repE0EEENS1_30default_config_static_selectorELNS0_4arch9wavefront6targetE0EEEvT1_.numbered_sgpr, 0
	.set _ZN7rocprim17ROCPRIM_400000_NS6detail17trampoline_kernelINS0_14default_configENS1_25partition_config_selectorILNS1_17partition_subalgoE5EsNS0_10empty_typeEbEEZZNS1_14partition_implILS5_5ELb0ES3_mN6thrust23THRUST_200600_302600_NS6detail15normal_iteratorINSA_10device_ptrIsEEEEPS6_NSA_18transform_iteratorINSB_9not_fun_tI7is_trueIsEEENSC_INSD_IbEEEENSA_11use_defaultESO_EENS0_5tupleIJNSA_16discard_iteratorISO_EES6_EEENSQ_IJSG_SG_EEES6_PlJS6_EEE10hipError_tPvRmT3_T4_T5_T6_T7_T9_mT8_P12ihipStream_tbDpT10_ENKUlT_T0_E_clISt17integral_constantIbLb1EES1F_EEDaS1A_S1B_EUlS1A_E_NS1_11comp_targetILNS1_3genE8ELNS1_11target_archE1030ELNS1_3gpuE2ELNS1_3repE0EEENS1_30default_config_static_selectorELNS0_4arch9wavefront6targetE0EEEvT1_.num_named_barrier, 0
	.set _ZN7rocprim17ROCPRIM_400000_NS6detail17trampoline_kernelINS0_14default_configENS1_25partition_config_selectorILNS1_17partition_subalgoE5EsNS0_10empty_typeEbEEZZNS1_14partition_implILS5_5ELb0ES3_mN6thrust23THRUST_200600_302600_NS6detail15normal_iteratorINSA_10device_ptrIsEEEEPS6_NSA_18transform_iteratorINSB_9not_fun_tI7is_trueIsEEENSC_INSD_IbEEEENSA_11use_defaultESO_EENS0_5tupleIJNSA_16discard_iteratorISO_EES6_EEENSQ_IJSG_SG_EEES6_PlJS6_EEE10hipError_tPvRmT3_T4_T5_T6_T7_T9_mT8_P12ihipStream_tbDpT10_ENKUlT_T0_E_clISt17integral_constantIbLb1EES1F_EEDaS1A_S1B_EUlS1A_E_NS1_11comp_targetILNS1_3genE8ELNS1_11target_archE1030ELNS1_3gpuE2ELNS1_3repE0EEENS1_30default_config_static_selectorELNS0_4arch9wavefront6targetE0EEEvT1_.private_seg_size, 0
	.set _ZN7rocprim17ROCPRIM_400000_NS6detail17trampoline_kernelINS0_14default_configENS1_25partition_config_selectorILNS1_17partition_subalgoE5EsNS0_10empty_typeEbEEZZNS1_14partition_implILS5_5ELb0ES3_mN6thrust23THRUST_200600_302600_NS6detail15normal_iteratorINSA_10device_ptrIsEEEEPS6_NSA_18transform_iteratorINSB_9not_fun_tI7is_trueIsEEENSC_INSD_IbEEEENSA_11use_defaultESO_EENS0_5tupleIJNSA_16discard_iteratorISO_EES6_EEENSQ_IJSG_SG_EEES6_PlJS6_EEE10hipError_tPvRmT3_T4_T5_T6_T7_T9_mT8_P12ihipStream_tbDpT10_ENKUlT_T0_E_clISt17integral_constantIbLb1EES1F_EEDaS1A_S1B_EUlS1A_E_NS1_11comp_targetILNS1_3genE8ELNS1_11target_archE1030ELNS1_3gpuE2ELNS1_3repE0EEENS1_30default_config_static_selectorELNS0_4arch9wavefront6targetE0EEEvT1_.uses_vcc, 0
	.set _ZN7rocprim17ROCPRIM_400000_NS6detail17trampoline_kernelINS0_14default_configENS1_25partition_config_selectorILNS1_17partition_subalgoE5EsNS0_10empty_typeEbEEZZNS1_14partition_implILS5_5ELb0ES3_mN6thrust23THRUST_200600_302600_NS6detail15normal_iteratorINSA_10device_ptrIsEEEEPS6_NSA_18transform_iteratorINSB_9not_fun_tI7is_trueIsEEENSC_INSD_IbEEEENSA_11use_defaultESO_EENS0_5tupleIJNSA_16discard_iteratorISO_EES6_EEENSQ_IJSG_SG_EEES6_PlJS6_EEE10hipError_tPvRmT3_T4_T5_T6_T7_T9_mT8_P12ihipStream_tbDpT10_ENKUlT_T0_E_clISt17integral_constantIbLb1EES1F_EEDaS1A_S1B_EUlS1A_E_NS1_11comp_targetILNS1_3genE8ELNS1_11target_archE1030ELNS1_3gpuE2ELNS1_3repE0EEENS1_30default_config_static_selectorELNS0_4arch9wavefront6targetE0EEEvT1_.uses_flat_scratch, 0
	.set _ZN7rocprim17ROCPRIM_400000_NS6detail17trampoline_kernelINS0_14default_configENS1_25partition_config_selectorILNS1_17partition_subalgoE5EsNS0_10empty_typeEbEEZZNS1_14partition_implILS5_5ELb0ES3_mN6thrust23THRUST_200600_302600_NS6detail15normal_iteratorINSA_10device_ptrIsEEEEPS6_NSA_18transform_iteratorINSB_9not_fun_tI7is_trueIsEEENSC_INSD_IbEEEENSA_11use_defaultESO_EENS0_5tupleIJNSA_16discard_iteratorISO_EES6_EEENSQ_IJSG_SG_EEES6_PlJS6_EEE10hipError_tPvRmT3_T4_T5_T6_T7_T9_mT8_P12ihipStream_tbDpT10_ENKUlT_T0_E_clISt17integral_constantIbLb1EES1F_EEDaS1A_S1B_EUlS1A_E_NS1_11comp_targetILNS1_3genE8ELNS1_11target_archE1030ELNS1_3gpuE2ELNS1_3repE0EEENS1_30default_config_static_selectorELNS0_4arch9wavefront6targetE0EEEvT1_.has_dyn_sized_stack, 0
	.set _ZN7rocprim17ROCPRIM_400000_NS6detail17trampoline_kernelINS0_14default_configENS1_25partition_config_selectorILNS1_17partition_subalgoE5EsNS0_10empty_typeEbEEZZNS1_14partition_implILS5_5ELb0ES3_mN6thrust23THRUST_200600_302600_NS6detail15normal_iteratorINSA_10device_ptrIsEEEEPS6_NSA_18transform_iteratorINSB_9not_fun_tI7is_trueIsEEENSC_INSD_IbEEEENSA_11use_defaultESO_EENS0_5tupleIJNSA_16discard_iteratorISO_EES6_EEENSQ_IJSG_SG_EEES6_PlJS6_EEE10hipError_tPvRmT3_T4_T5_T6_T7_T9_mT8_P12ihipStream_tbDpT10_ENKUlT_T0_E_clISt17integral_constantIbLb1EES1F_EEDaS1A_S1B_EUlS1A_E_NS1_11comp_targetILNS1_3genE8ELNS1_11target_archE1030ELNS1_3gpuE2ELNS1_3repE0EEENS1_30default_config_static_selectorELNS0_4arch9wavefront6targetE0EEEvT1_.has_recursion, 0
	.set _ZN7rocprim17ROCPRIM_400000_NS6detail17trampoline_kernelINS0_14default_configENS1_25partition_config_selectorILNS1_17partition_subalgoE5EsNS0_10empty_typeEbEEZZNS1_14partition_implILS5_5ELb0ES3_mN6thrust23THRUST_200600_302600_NS6detail15normal_iteratorINSA_10device_ptrIsEEEEPS6_NSA_18transform_iteratorINSB_9not_fun_tI7is_trueIsEEENSC_INSD_IbEEEENSA_11use_defaultESO_EENS0_5tupleIJNSA_16discard_iteratorISO_EES6_EEENSQ_IJSG_SG_EEES6_PlJS6_EEE10hipError_tPvRmT3_T4_T5_T6_T7_T9_mT8_P12ihipStream_tbDpT10_ENKUlT_T0_E_clISt17integral_constantIbLb1EES1F_EEDaS1A_S1B_EUlS1A_E_NS1_11comp_targetILNS1_3genE8ELNS1_11target_archE1030ELNS1_3gpuE2ELNS1_3repE0EEENS1_30default_config_static_selectorELNS0_4arch9wavefront6targetE0EEEvT1_.has_indirect_call, 0
	.section	.AMDGPU.csdata,"",@progbits
; Kernel info:
; codeLenInByte = 0
; TotalNumSgprs: 0
; NumVgprs: 0
; ScratchSize: 0
; MemoryBound: 0
; FloatMode: 240
; IeeeMode: 1
; LDSByteSize: 0 bytes/workgroup (compile time only)
; SGPRBlocks: 0
; VGPRBlocks: 0
; NumSGPRsForWavesPerEU: 1
; NumVGPRsForWavesPerEU: 1
; Occupancy: 16
; WaveLimiterHint : 0
; COMPUTE_PGM_RSRC2:SCRATCH_EN: 0
; COMPUTE_PGM_RSRC2:USER_SGPR: 2
; COMPUTE_PGM_RSRC2:TRAP_HANDLER: 0
; COMPUTE_PGM_RSRC2:TGID_X_EN: 1
; COMPUTE_PGM_RSRC2:TGID_Y_EN: 0
; COMPUTE_PGM_RSRC2:TGID_Z_EN: 0
; COMPUTE_PGM_RSRC2:TIDIG_COMP_CNT: 0
	.section	.text._ZN7rocprim17ROCPRIM_400000_NS6detail17trampoline_kernelINS0_14default_configENS1_25partition_config_selectorILNS1_17partition_subalgoE5EsNS0_10empty_typeEbEEZZNS1_14partition_implILS5_5ELb0ES3_mN6thrust23THRUST_200600_302600_NS6detail15normal_iteratorINSA_10device_ptrIsEEEEPS6_NSA_18transform_iteratorINSB_9not_fun_tI7is_trueIsEEENSC_INSD_IbEEEENSA_11use_defaultESO_EENS0_5tupleIJNSA_16discard_iteratorISO_EES6_EEENSQ_IJSG_SG_EEES6_PlJS6_EEE10hipError_tPvRmT3_T4_T5_T6_T7_T9_mT8_P12ihipStream_tbDpT10_ENKUlT_T0_E_clISt17integral_constantIbLb1EES1E_IbLb0EEEEDaS1A_S1B_EUlS1A_E_NS1_11comp_targetILNS1_3genE0ELNS1_11target_archE4294967295ELNS1_3gpuE0ELNS1_3repE0EEENS1_30default_config_static_selectorELNS0_4arch9wavefront6targetE0EEEvT1_,"axG",@progbits,_ZN7rocprim17ROCPRIM_400000_NS6detail17trampoline_kernelINS0_14default_configENS1_25partition_config_selectorILNS1_17partition_subalgoE5EsNS0_10empty_typeEbEEZZNS1_14partition_implILS5_5ELb0ES3_mN6thrust23THRUST_200600_302600_NS6detail15normal_iteratorINSA_10device_ptrIsEEEEPS6_NSA_18transform_iteratorINSB_9not_fun_tI7is_trueIsEEENSC_INSD_IbEEEENSA_11use_defaultESO_EENS0_5tupleIJNSA_16discard_iteratorISO_EES6_EEENSQ_IJSG_SG_EEES6_PlJS6_EEE10hipError_tPvRmT3_T4_T5_T6_T7_T9_mT8_P12ihipStream_tbDpT10_ENKUlT_T0_E_clISt17integral_constantIbLb1EES1E_IbLb0EEEEDaS1A_S1B_EUlS1A_E_NS1_11comp_targetILNS1_3genE0ELNS1_11target_archE4294967295ELNS1_3gpuE0ELNS1_3repE0EEENS1_30default_config_static_selectorELNS0_4arch9wavefront6targetE0EEEvT1_,comdat
	.protected	_ZN7rocprim17ROCPRIM_400000_NS6detail17trampoline_kernelINS0_14default_configENS1_25partition_config_selectorILNS1_17partition_subalgoE5EsNS0_10empty_typeEbEEZZNS1_14partition_implILS5_5ELb0ES3_mN6thrust23THRUST_200600_302600_NS6detail15normal_iteratorINSA_10device_ptrIsEEEEPS6_NSA_18transform_iteratorINSB_9not_fun_tI7is_trueIsEEENSC_INSD_IbEEEENSA_11use_defaultESO_EENS0_5tupleIJNSA_16discard_iteratorISO_EES6_EEENSQ_IJSG_SG_EEES6_PlJS6_EEE10hipError_tPvRmT3_T4_T5_T6_T7_T9_mT8_P12ihipStream_tbDpT10_ENKUlT_T0_E_clISt17integral_constantIbLb1EES1E_IbLb0EEEEDaS1A_S1B_EUlS1A_E_NS1_11comp_targetILNS1_3genE0ELNS1_11target_archE4294967295ELNS1_3gpuE0ELNS1_3repE0EEENS1_30default_config_static_selectorELNS0_4arch9wavefront6targetE0EEEvT1_ ; -- Begin function _ZN7rocprim17ROCPRIM_400000_NS6detail17trampoline_kernelINS0_14default_configENS1_25partition_config_selectorILNS1_17partition_subalgoE5EsNS0_10empty_typeEbEEZZNS1_14partition_implILS5_5ELb0ES3_mN6thrust23THRUST_200600_302600_NS6detail15normal_iteratorINSA_10device_ptrIsEEEEPS6_NSA_18transform_iteratorINSB_9not_fun_tI7is_trueIsEEENSC_INSD_IbEEEENSA_11use_defaultESO_EENS0_5tupleIJNSA_16discard_iteratorISO_EES6_EEENSQ_IJSG_SG_EEES6_PlJS6_EEE10hipError_tPvRmT3_T4_T5_T6_T7_T9_mT8_P12ihipStream_tbDpT10_ENKUlT_T0_E_clISt17integral_constantIbLb1EES1E_IbLb0EEEEDaS1A_S1B_EUlS1A_E_NS1_11comp_targetILNS1_3genE0ELNS1_11target_archE4294967295ELNS1_3gpuE0ELNS1_3repE0EEENS1_30default_config_static_selectorELNS0_4arch9wavefront6targetE0EEEvT1_
	.globl	_ZN7rocprim17ROCPRIM_400000_NS6detail17trampoline_kernelINS0_14default_configENS1_25partition_config_selectorILNS1_17partition_subalgoE5EsNS0_10empty_typeEbEEZZNS1_14partition_implILS5_5ELb0ES3_mN6thrust23THRUST_200600_302600_NS6detail15normal_iteratorINSA_10device_ptrIsEEEEPS6_NSA_18transform_iteratorINSB_9not_fun_tI7is_trueIsEEENSC_INSD_IbEEEENSA_11use_defaultESO_EENS0_5tupleIJNSA_16discard_iteratorISO_EES6_EEENSQ_IJSG_SG_EEES6_PlJS6_EEE10hipError_tPvRmT3_T4_T5_T6_T7_T9_mT8_P12ihipStream_tbDpT10_ENKUlT_T0_E_clISt17integral_constantIbLb1EES1E_IbLb0EEEEDaS1A_S1B_EUlS1A_E_NS1_11comp_targetILNS1_3genE0ELNS1_11target_archE4294967295ELNS1_3gpuE0ELNS1_3repE0EEENS1_30default_config_static_selectorELNS0_4arch9wavefront6targetE0EEEvT1_
	.p2align	8
	.type	_ZN7rocprim17ROCPRIM_400000_NS6detail17trampoline_kernelINS0_14default_configENS1_25partition_config_selectorILNS1_17partition_subalgoE5EsNS0_10empty_typeEbEEZZNS1_14partition_implILS5_5ELb0ES3_mN6thrust23THRUST_200600_302600_NS6detail15normal_iteratorINSA_10device_ptrIsEEEEPS6_NSA_18transform_iteratorINSB_9not_fun_tI7is_trueIsEEENSC_INSD_IbEEEENSA_11use_defaultESO_EENS0_5tupleIJNSA_16discard_iteratorISO_EES6_EEENSQ_IJSG_SG_EEES6_PlJS6_EEE10hipError_tPvRmT3_T4_T5_T6_T7_T9_mT8_P12ihipStream_tbDpT10_ENKUlT_T0_E_clISt17integral_constantIbLb1EES1E_IbLb0EEEEDaS1A_S1B_EUlS1A_E_NS1_11comp_targetILNS1_3genE0ELNS1_11target_archE4294967295ELNS1_3gpuE0ELNS1_3repE0EEENS1_30default_config_static_selectorELNS0_4arch9wavefront6targetE0EEEvT1_,@function
_ZN7rocprim17ROCPRIM_400000_NS6detail17trampoline_kernelINS0_14default_configENS1_25partition_config_selectorILNS1_17partition_subalgoE5EsNS0_10empty_typeEbEEZZNS1_14partition_implILS5_5ELb0ES3_mN6thrust23THRUST_200600_302600_NS6detail15normal_iteratorINSA_10device_ptrIsEEEEPS6_NSA_18transform_iteratorINSB_9not_fun_tI7is_trueIsEEENSC_INSD_IbEEEENSA_11use_defaultESO_EENS0_5tupleIJNSA_16discard_iteratorISO_EES6_EEENSQ_IJSG_SG_EEES6_PlJS6_EEE10hipError_tPvRmT3_T4_T5_T6_T7_T9_mT8_P12ihipStream_tbDpT10_ENKUlT_T0_E_clISt17integral_constantIbLb1EES1E_IbLb0EEEEDaS1A_S1B_EUlS1A_E_NS1_11comp_targetILNS1_3genE0ELNS1_11target_archE4294967295ELNS1_3gpuE0ELNS1_3repE0EEENS1_30default_config_static_selectorELNS0_4arch9wavefront6targetE0EEEvT1_: ; @_ZN7rocprim17ROCPRIM_400000_NS6detail17trampoline_kernelINS0_14default_configENS1_25partition_config_selectorILNS1_17partition_subalgoE5EsNS0_10empty_typeEbEEZZNS1_14partition_implILS5_5ELb0ES3_mN6thrust23THRUST_200600_302600_NS6detail15normal_iteratorINSA_10device_ptrIsEEEEPS6_NSA_18transform_iteratorINSB_9not_fun_tI7is_trueIsEEENSC_INSD_IbEEEENSA_11use_defaultESO_EENS0_5tupleIJNSA_16discard_iteratorISO_EES6_EEENSQ_IJSG_SG_EEES6_PlJS6_EEE10hipError_tPvRmT3_T4_T5_T6_T7_T9_mT8_P12ihipStream_tbDpT10_ENKUlT_T0_E_clISt17integral_constantIbLb1EES1E_IbLb0EEEEDaS1A_S1B_EUlS1A_E_NS1_11comp_targetILNS1_3genE0ELNS1_11target_archE4294967295ELNS1_3gpuE0ELNS1_3repE0EEENS1_30default_config_static_selectorELNS0_4arch9wavefront6targetE0EEEvT1_
; %bb.0:
	.section	.rodata,"a",@progbits
	.p2align	6, 0x0
	.amdhsa_kernel _ZN7rocprim17ROCPRIM_400000_NS6detail17trampoline_kernelINS0_14default_configENS1_25partition_config_selectorILNS1_17partition_subalgoE5EsNS0_10empty_typeEbEEZZNS1_14partition_implILS5_5ELb0ES3_mN6thrust23THRUST_200600_302600_NS6detail15normal_iteratorINSA_10device_ptrIsEEEEPS6_NSA_18transform_iteratorINSB_9not_fun_tI7is_trueIsEEENSC_INSD_IbEEEENSA_11use_defaultESO_EENS0_5tupleIJNSA_16discard_iteratorISO_EES6_EEENSQ_IJSG_SG_EEES6_PlJS6_EEE10hipError_tPvRmT3_T4_T5_T6_T7_T9_mT8_P12ihipStream_tbDpT10_ENKUlT_T0_E_clISt17integral_constantIbLb1EES1E_IbLb0EEEEDaS1A_S1B_EUlS1A_E_NS1_11comp_targetILNS1_3genE0ELNS1_11target_archE4294967295ELNS1_3gpuE0ELNS1_3repE0EEENS1_30default_config_static_selectorELNS0_4arch9wavefront6targetE0EEEvT1_
		.amdhsa_group_segment_fixed_size 0
		.amdhsa_private_segment_fixed_size 0
		.amdhsa_kernarg_size 128
		.amdhsa_user_sgpr_count 2
		.amdhsa_user_sgpr_dispatch_ptr 0
		.amdhsa_user_sgpr_queue_ptr 0
		.amdhsa_user_sgpr_kernarg_segment_ptr 1
		.amdhsa_user_sgpr_dispatch_id 0
		.amdhsa_user_sgpr_private_segment_size 0
		.amdhsa_wavefront_size32 1
		.amdhsa_uses_dynamic_stack 0
		.amdhsa_enable_private_segment 0
		.amdhsa_system_sgpr_workgroup_id_x 1
		.amdhsa_system_sgpr_workgroup_id_y 0
		.amdhsa_system_sgpr_workgroup_id_z 0
		.amdhsa_system_sgpr_workgroup_info 0
		.amdhsa_system_vgpr_workitem_id 0
		.amdhsa_next_free_vgpr 1
		.amdhsa_next_free_sgpr 1
		.amdhsa_reserve_vcc 0
		.amdhsa_float_round_mode_32 0
		.amdhsa_float_round_mode_16_64 0
		.amdhsa_float_denorm_mode_32 3
		.amdhsa_float_denorm_mode_16_64 3
		.amdhsa_fp16_overflow 0
		.amdhsa_workgroup_processor_mode 1
		.amdhsa_memory_ordered 1
		.amdhsa_forward_progress 1
		.amdhsa_inst_pref_size 0
		.amdhsa_round_robin_scheduling 0
		.amdhsa_exception_fp_ieee_invalid_op 0
		.amdhsa_exception_fp_denorm_src 0
		.amdhsa_exception_fp_ieee_div_zero 0
		.amdhsa_exception_fp_ieee_overflow 0
		.amdhsa_exception_fp_ieee_underflow 0
		.amdhsa_exception_fp_ieee_inexact 0
		.amdhsa_exception_int_div_zero 0
	.end_amdhsa_kernel
	.section	.text._ZN7rocprim17ROCPRIM_400000_NS6detail17trampoline_kernelINS0_14default_configENS1_25partition_config_selectorILNS1_17partition_subalgoE5EsNS0_10empty_typeEbEEZZNS1_14partition_implILS5_5ELb0ES3_mN6thrust23THRUST_200600_302600_NS6detail15normal_iteratorINSA_10device_ptrIsEEEEPS6_NSA_18transform_iteratorINSB_9not_fun_tI7is_trueIsEEENSC_INSD_IbEEEENSA_11use_defaultESO_EENS0_5tupleIJNSA_16discard_iteratorISO_EES6_EEENSQ_IJSG_SG_EEES6_PlJS6_EEE10hipError_tPvRmT3_T4_T5_T6_T7_T9_mT8_P12ihipStream_tbDpT10_ENKUlT_T0_E_clISt17integral_constantIbLb1EES1E_IbLb0EEEEDaS1A_S1B_EUlS1A_E_NS1_11comp_targetILNS1_3genE0ELNS1_11target_archE4294967295ELNS1_3gpuE0ELNS1_3repE0EEENS1_30default_config_static_selectorELNS0_4arch9wavefront6targetE0EEEvT1_,"axG",@progbits,_ZN7rocprim17ROCPRIM_400000_NS6detail17trampoline_kernelINS0_14default_configENS1_25partition_config_selectorILNS1_17partition_subalgoE5EsNS0_10empty_typeEbEEZZNS1_14partition_implILS5_5ELb0ES3_mN6thrust23THRUST_200600_302600_NS6detail15normal_iteratorINSA_10device_ptrIsEEEEPS6_NSA_18transform_iteratorINSB_9not_fun_tI7is_trueIsEEENSC_INSD_IbEEEENSA_11use_defaultESO_EENS0_5tupleIJNSA_16discard_iteratorISO_EES6_EEENSQ_IJSG_SG_EEES6_PlJS6_EEE10hipError_tPvRmT3_T4_T5_T6_T7_T9_mT8_P12ihipStream_tbDpT10_ENKUlT_T0_E_clISt17integral_constantIbLb1EES1E_IbLb0EEEEDaS1A_S1B_EUlS1A_E_NS1_11comp_targetILNS1_3genE0ELNS1_11target_archE4294967295ELNS1_3gpuE0ELNS1_3repE0EEENS1_30default_config_static_selectorELNS0_4arch9wavefront6targetE0EEEvT1_,comdat
.Lfunc_end2829:
	.size	_ZN7rocprim17ROCPRIM_400000_NS6detail17trampoline_kernelINS0_14default_configENS1_25partition_config_selectorILNS1_17partition_subalgoE5EsNS0_10empty_typeEbEEZZNS1_14partition_implILS5_5ELb0ES3_mN6thrust23THRUST_200600_302600_NS6detail15normal_iteratorINSA_10device_ptrIsEEEEPS6_NSA_18transform_iteratorINSB_9not_fun_tI7is_trueIsEEENSC_INSD_IbEEEENSA_11use_defaultESO_EENS0_5tupleIJNSA_16discard_iteratorISO_EES6_EEENSQ_IJSG_SG_EEES6_PlJS6_EEE10hipError_tPvRmT3_T4_T5_T6_T7_T9_mT8_P12ihipStream_tbDpT10_ENKUlT_T0_E_clISt17integral_constantIbLb1EES1E_IbLb0EEEEDaS1A_S1B_EUlS1A_E_NS1_11comp_targetILNS1_3genE0ELNS1_11target_archE4294967295ELNS1_3gpuE0ELNS1_3repE0EEENS1_30default_config_static_selectorELNS0_4arch9wavefront6targetE0EEEvT1_, .Lfunc_end2829-_ZN7rocprim17ROCPRIM_400000_NS6detail17trampoline_kernelINS0_14default_configENS1_25partition_config_selectorILNS1_17partition_subalgoE5EsNS0_10empty_typeEbEEZZNS1_14partition_implILS5_5ELb0ES3_mN6thrust23THRUST_200600_302600_NS6detail15normal_iteratorINSA_10device_ptrIsEEEEPS6_NSA_18transform_iteratorINSB_9not_fun_tI7is_trueIsEEENSC_INSD_IbEEEENSA_11use_defaultESO_EENS0_5tupleIJNSA_16discard_iteratorISO_EES6_EEENSQ_IJSG_SG_EEES6_PlJS6_EEE10hipError_tPvRmT3_T4_T5_T6_T7_T9_mT8_P12ihipStream_tbDpT10_ENKUlT_T0_E_clISt17integral_constantIbLb1EES1E_IbLb0EEEEDaS1A_S1B_EUlS1A_E_NS1_11comp_targetILNS1_3genE0ELNS1_11target_archE4294967295ELNS1_3gpuE0ELNS1_3repE0EEENS1_30default_config_static_selectorELNS0_4arch9wavefront6targetE0EEEvT1_
                                        ; -- End function
	.set _ZN7rocprim17ROCPRIM_400000_NS6detail17trampoline_kernelINS0_14default_configENS1_25partition_config_selectorILNS1_17partition_subalgoE5EsNS0_10empty_typeEbEEZZNS1_14partition_implILS5_5ELb0ES3_mN6thrust23THRUST_200600_302600_NS6detail15normal_iteratorINSA_10device_ptrIsEEEEPS6_NSA_18transform_iteratorINSB_9not_fun_tI7is_trueIsEEENSC_INSD_IbEEEENSA_11use_defaultESO_EENS0_5tupleIJNSA_16discard_iteratorISO_EES6_EEENSQ_IJSG_SG_EEES6_PlJS6_EEE10hipError_tPvRmT3_T4_T5_T6_T7_T9_mT8_P12ihipStream_tbDpT10_ENKUlT_T0_E_clISt17integral_constantIbLb1EES1E_IbLb0EEEEDaS1A_S1B_EUlS1A_E_NS1_11comp_targetILNS1_3genE0ELNS1_11target_archE4294967295ELNS1_3gpuE0ELNS1_3repE0EEENS1_30default_config_static_selectorELNS0_4arch9wavefront6targetE0EEEvT1_.num_vgpr, 0
	.set _ZN7rocprim17ROCPRIM_400000_NS6detail17trampoline_kernelINS0_14default_configENS1_25partition_config_selectorILNS1_17partition_subalgoE5EsNS0_10empty_typeEbEEZZNS1_14partition_implILS5_5ELb0ES3_mN6thrust23THRUST_200600_302600_NS6detail15normal_iteratorINSA_10device_ptrIsEEEEPS6_NSA_18transform_iteratorINSB_9not_fun_tI7is_trueIsEEENSC_INSD_IbEEEENSA_11use_defaultESO_EENS0_5tupleIJNSA_16discard_iteratorISO_EES6_EEENSQ_IJSG_SG_EEES6_PlJS6_EEE10hipError_tPvRmT3_T4_T5_T6_T7_T9_mT8_P12ihipStream_tbDpT10_ENKUlT_T0_E_clISt17integral_constantIbLb1EES1E_IbLb0EEEEDaS1A_S1B_EUlS1A_E_NS1_11comp_targetILNS1_3genE0ELNS1_11target_archE4294967295ELNS1_3gpuE0ELNS1_3repE0EEENS1_30default_config_static_selectorELNS0_4arch9wavefront6targetE0EEEvT1_.num_agpr, 0
	.set _ZN7rocprim17ROCPRIM_400000_NS6detail17trampoline_kernelINS0_14default_configENS1_25partition_config_selectorILNS1_17partition_subalgoE5EsNS0_10empty_typeEbEEZZNS1_14partition_implILS5_5ELb0ES3_mN6thrust23THRUST_200600_302600_NS6detail15normal_iteratorINSA_10device_ptrIsEEEEPS6_NSA_18transform_iteratorINSB_9not_fun_tI7is_trueIsEEENSC_INSD_IbEEEENSA_11use_defaultESO_EENS0_5tupleIJNSA_16discard_iteratorISO_EES6_EEENSQ_IJSG_SG_EEES6_PlJS6_EEE10hipError_tPvRmT3_T4_T5_T6_T7_T9_mT8_P12ihipStream_tbDpT10_ENKUlT_T0_E_clISt17integral_constantIbLb1EES1E_IbLb0EEEEDaS1A_S1B_EUlS1A_E_NS1_11comp_targetILNS1_3genE0ELNS1_11target_archE4294967295ELNS1_3gpuE0ELNS1_3repE0EEENS1_30default_config_static_selectorELNS0_4arch9wavefront6targetE0EEEvT1_.numbered_sgpr, 0
	.set _ZN7rocprim17ROCPRIM_400000_NS6detail17trampoline_kernelINS0_14default_configENS1_25partition_config_selectorILNS1_17partition_subalgoE5EsNS0_10empty_typeEbEEZZNS1_14partition_implILS5_5ELb0ES3_mN6thrust23THRUST_200600_302600_NS6detail15normal_iteratorINSA_10device_ptrIsEEEEPS6_NSA_18transform_iteratorINSB_9not_fun_tI7is_trueIsEEENSC_INSD_IbEEEENSA_11use_defaultESO_EENS0_5tupleIJNSA_16discard_iteratorISO_EES6_EEENSQ_IJSG_SG_EEES6_PlJS6_EEE10hipError_tPvRmT3_T4_T5_T6_T7_T9_mT8_P12ihipStream_tbDpT10_ENKUlT_T0_E_clISt17integral_constantIbLb1EES1E_IbLb0EEEEDaS1A_S1B_EUlS1A_E_NS1_11comp_targetILNS1_3genE0ELNS1_11target_archE4294967295ELNS1_3gpuE0ELNS1_3repE0EEENS1_30default_config_static_selectorELNS0_4arch9wavefront6targetE0EEEvT1_.num_named_barrier, 0
	.set _ZN7rocprim17ROCPRIM_400000_NS6detail17trampoline_kernelINS0_14default_configENS1_25partition_config_selectorILNS1_17partition_subalgoE5EsNS0_10empty_typeEbEEZZNS1_14partition_implILS5_5ELb0ES3_mN6thrust23THRUST_200600_302600_NS6detail15normal_iteratorINSA_10device_ptrIsEEEEPS6_NSA_18transform_iteratorINSB_9not_fun_tI7is_trueIsEEENSC_INSD_IbEEEENSA_11use_defaultESO_EENS0_5tupleIJNSA_16discard_iteratorISO_EES6_EEENSQ_IJSG_SG_EEES6_PlJS6_EEE10hipError_tPvRmT3_T4_T5_T6_T7_T9_mT8_P12ihipStream_tbDpT10_ENKUlT_T0_E_clISt17integral_constantIbLb1EES1E_IbLb0EEEEDaS1A_S1B_EUlS1A_E_NS1_11comp_targetILNS1_3genE0ELNS1_11target_archE4294967295ELNS1_3gpuE0ELNS1_3repE0EEENS1_30default_config_static_selectorELNS0_4arch9wavefront6targetE0EEEvT1_.private_seg_size, 0
	.set _ZN7rocprim17ROCPRIM_400000_NS6detail17trampoline_kernelINS0_14default_configENS1_25partition_config_selectorILNS1_17partition_subalgoE5EsNS0_10empty_typeEbEEZZNS1_14partition_implILS5_5ELb0ES3_mN6thrust23THRUST_200600_302600_NS6detail15normal_iteratorINSA_10device_ptrIsEEEEPS6_NSA_18transform_iteratorINSB_9not_fun_tI7is_trueIsEEENSC_INSD_IbEEEENSA_11use_defaultESO_EENS0_5tupleIJNSA_16discard_iteratorISO_EES6_EEENSQ_IJSG_SG_EEES6_PlJS6_EEE10hipError_tPvRmT3_T4_T5_T6_T7_T9_mT8_P12ihipStream_tbDpT10_ENKUlT_T0_E_clISt17integral_constantIbLb1EES1E_IbLb0EEEEDaS1A_S1B_EUlS1A_E_NS1_11comp_targetILNS1_3genE0ELNS1_11target_archE4294967295ELNS1_3gpuE0ELNS1_3repE0EEENS1_30default_config_static_selectorELNS0_4arch9wavefront6targetE0EEEvT1_.uses_vcc, 0
	.set _ZN7rocprim17ROCPRIM_400000_NS6detail17trampoline_kernelINS0_14default_configENS1_25partition_config_selectorILNS1_17partition_subalgoE5EsNS0_10empty_typeEbEEZZNS1_14partition_implILS5_5ELb0ES3_mN6thrust23THRUST_200600_302600_NS6detail15normal_iteratorINSA_10device_ptrIsEEEEPS6_NSA_18transform_iteratorINSB_9not_fun_tI7is_trueIsEEENSC_INSD_IbEEEENSA_11use_defaultESO_EENS0_5tupleIJNSA_16discard_iteratorISO_EES6_EEENSQ_IJSG_SG_EEES6_PlJS6_EEE10hipError_tPvRmT3_T4_T5_T6_T7_T9_mT8_P12ihipStream_tbDpT10_ENKUlT_T0_E_clISt17integral_constantIbLb1EES1E_IbLb0EEEEDaS1A_S1B_EUlS1A_E_NS1_11comp_targetILNS1_3genE0ELNS1_11target_archE4294967295ELNS1_3gpuE0ELNS1_3repE0EEENS1_30default_config_static_selectorELNS0_4arch9wavefront6targetE0EEEvT1_.uses_flat_scratch, 0
	.set _ZN7rocprim17ROCPRIM_400000_NS6detail17trampoline_kernelINS0_14default_configENS1_25partition_config_selectorILNS1_17partition_subalgoE5EsNS0_10empty_typeEbEEZZNS1_14partition_implILS5_5ELb0ES3_mN6thrust23THRUST_200600_302600_NS6detail15normal_iteratorINSA_10device_ptrIsEEEEPS6_NSA_18transform_iteratorINSB_9not_fun_tI7is_trueIsEEENSC_INSD_IbEEEENSA_11use_defaultESO_EENS0_5tupleIJNSA_16discard_iteratorISO_EES6_EEENSQ_IJSG_SG_EEES6_PlJS6_EEE10hipError_tPvRmT3_T4_T5_T6_T7_T9_mT8_P12ihipStream_tbDpT10_ENKUlT_T0_E_clISt17integral_constantIbLb1EES1E_IbLb0EEEEDaS1A_S1B_EUlS1A_E_NS1_11comp_targetILNS1_3genE0ELNS1_11target_archE4294967295ELNS1_3gpuE0ELNS1_3repE0EEENS1_30default_config_static_selectorELNS0_4arch9wavefront6targetE0EEEvT1_.has_dyn_sized_stack, 0
	.set _ZN7rocprim17ROCPRIM_400000_NS6detail17trampoline_kernelINS0_14default_configENS1_25partition_config_selectorILNS1_17partition_subalgoE5EsNS0_10empty_typeEbEEZZNS1_14partition_implILS5_5ELb0ES3_mN6thrust23THRUST_200600_302600_NS6detail15normal_iteratorINSA_10device_ptrIsEEEEPS6_NSA_18transform_iteratorINSB_9not_fun_tI7is_trueIsEEENSC_INSD_IbEEEENSA_11use_defaultESO_EENS0_5tupleIJNSA_16discard_iteratorISO_EES6_EEENSQ_IJSG_SG_EEES6_PlJS6_EEE10hipError_tPvRmT3_T4_T5_T6_T7_T9_mT8_P12ihipStream_tbDpT10_ENKUlT_T0_E_clISt17integral_constantIbLb1EES1E_IbLb0EEEEDaS1A_S1B_EUlS1A_E_NS1_11comp_targetILNS1_3genE0ELNS1_11target_archE4294967295ELNS1_3gpuE0ELNS1_3repE0EEENS1_30default_config_static_selectorELNS0_4arch9wavefront6targetE0EEEvT1_.has_recursion, 0
	.set _ZN7rocprim17ROCPRIM_400000_NS6detail17trampoline_kernelINS0_14default_configENS1_25partition_config_selectorILNS1_17partition_subalgoE5EsNS0_10empty_typeEbEEZZNS1_14partition_implILS5_5ELb0ES3_mN6thrust23THRUST_200600_302600_NS6detail15normal_iteratorINSA_10device_ptrIsEEEEPS6_NSA_18transform_iteratorINSB_9not_fun_tI7is_trueIsEEENSC_INSD_IbEEEENSA_11use_defaultESO_EENS0_5tupleIJNSA_16discard_iteratorISO_EES6_EEENSQ_IJSG_SG_EEES6_PlJS6_EEE10hipError_tPvRmT3_T4_T5_T6_T7_T9_mT8_P12ihipStream_tbDpT10_ENKUlT_T0_E_clISt17integral_constantIbLb1EES1E_IbLb0EEEEDaS1A_S1B_EUlS1A_E_NS1_11comp_targetILNS1_3genE0ELNS1_11target_archE4294967295ELNS1_3gpuE0ELNS1_3repE0EEENS1_30default_config_static_selectorELNS0_4arch9wavefront6targetE0EEEvT1_.has_indirect_call, 0
	.section	.AMDGPU.csdata,"",@progbits
; Kernel info:
; codeLenInByte = 0
; TotalNumSgprs: 0
; NumVgprs: 0
; ScratchSize: 0
; MemoryBound: 0
; FloatMode: 240
; IeeeMode: 1
; LDSByteSize: 0 bytes/workgroup (compile time only)
; SGPRBlocks: 0
; VGPRBlocks: 0
; NumSGPRsForWavesPerEU: 1
; NumVGPRsForWavesPerEU: 1
; Occupancy: 16
; WaveLimiterHint : 0
; COMPUTE_PGM_RSRC2:SCRATCH_EN: 0
; COMPUTE_PGM_RSRC2:USER_SGPR: 2
; COMPUTE_PGM_RSRC2:TRAP_HANDLER: 0
; COMPUTE_PGM_RSRC2:TGID_X_EN: 1
; COMPUTE_PGM_RSRC2:TGID_Y_EN: 0
; COMPUTE_PGM_RSRC2:TGID_Z_EN: 0
; COMPUTE_PGM_RSRC2:TIDIG_COMP_CNT: 0
	.section	.text._ZN7rocprim17ROCPRIM_400000_NS6detail17trampoline_kernelINS0_14default_configENS1_25partition_config_selectorILNS1_17partition_subalgoE5EsNS0_10empty_typeEbEEZZNS1_14partition_implILS5_5ELb0ES3_mN6thrust23THRUST_200600_302600_NS6detail15normal_iteratorINSA_10device_ptrIsEEEEPS6_NSA_18transform_iteratorINSB_9not_fun_tI7is_trueIsEEENSC_INSD_IbEEEENSA_11use_defaultESO_EENS0_5tupleIJNSA_16discard_iteratorISO_EES6_EEENSQ_IJSG_SG_EEES6_PlJS6_EEE10hipError_tPvRmT3_T4_T5_T6_T7_T9_mT8_P12ihipStream_tbDpT10_ENKUlT_T0_E_clISt17integral_constantIbLb1EES1E_IbLb0EEEEDaS1A_S1B_EUlS1A_E_NS1_11comp_targetILNS1_3genE5ELNS1_11target_archE942ELNS1_3gpuE9ELNS1_3repE0EEENS1_30default_config_static_selectorELNS0_4arch9wavefront6targetE0EEEvT1_,"axG",@progbits,_ZN7rocprim17ROCPRIM_400000_NS6detail17trampoline_kernelINS0_14default_configENS1_25partition_config_selectorILNS1_17partition_subalgoE5EsNS0_10empty_typeEbEEZZNS1_14partition_implILS5_5ELb0ES3_mN6thrust23THRUST_200600_302600_NS6detail15normal_iteratorINSA_10device_ptrIsEEEEPS6_NSA_18transform_iteratorINSB_9not_fun_tI7is_trueIsEEENSC_INSD_IbEEEENSA_11use_defaultESO_EENS0_5tupleIJNSA_16discard_iteratorISO_EES6_EEENSQ_IJSG_SG_EEES6_PlJS6_EEE10hipError_tPvRmT3_T4_T5_T6_T7_T9_mT8_P12ihipStream_tbDpT10_ENKUlT_T0_E_clISt17integral_constantIbLb1EES1E_IbLb0EEEEDaS1A_S1B_EUlS1A_E_NS1_11comp_targetILNS1_3genE5ELNS1_11target_archE942ELNS1_3gpuE9ELNS1_3repE0EEENS1_30default_config_static_selectorELNS0_4arch9wavefront6targetE0EEEvT1_,comdat
	.protected	_ZN7rocprim17ROCPRIM_400000_NS6detail17trampoline_kernelINS0_14default_configENS1_25partition_config_selectorILNS1_17partition_subalgoE5EsNS0_10empty_typeEbEEZZNS1_14partition_implILS5_5ELb0ES3_mN6thrust23THRUST_200600_302600_NS6detail15normal_iteratorINSA_10device_ptrIsEEEEPS6_NSA_18transform_iteratorINSB_9not_fun_tI7is_trueIsEEENSC_INSD_IbEEEENSA_11use_defaultESO_EENS0_5tupleIJNSA_16discard_iteratorISO_EES6_EEENSQ_IJSG_SG_EEES6_PlJS6_EEE10hipError_tPvRmT3_T4_T5_T6_T7_T9_mT8_P12ihipStream_tbDpT10_ENKUlT_T0_E_clISt17integral_constantIbLb1EES1E_IbLb0EEEEDaS1A_S1B_EUlS1A_E_NS1_11comp_targetILNS1_3genE5ELNS1_11target_archE942ELNS1_3gpuE9ELNS1_3repE0EEENS1_30default_config_static_selectorELNS0_4arch9wavefront6targetE0EEEvT1_ ; -- Begin function _ZN7rocprim17ROCPRIM_400000_NS6detail17trampoline_kernelINS0_14default_configENS1_25partition_config_selectorILNS1_17partition_subalgoE5EsNS0_10empty_typeEbEEZZNS1_14partition_implILS5_5ELb0ES3_mN6thrust23THRUST_200600_302600_NS6detail15normal_iteratorINSA_10device_ptrIsEEEEPS6_NSA_18transform_iteratorINSB_9not_fun_tI7is_trueIsEEENSC_INSD_IbEEEENSA_11use_defaultESO_EENS0_5tupleIJNSA_16discard_iteratorISO_EES6_EEENSQ_IJSG_SG_EEES6_PlJS6_EEE10hipError_tPvRmT3_T4_T5_T6_T7_T9_mT8_P12ihipStream_tbDpT10_ENKUlT_T0_E_clISt17integral_constantIbLb1EES1E_IbLb0EEEEDaS1A_S1B_EUlS1A_E_NS1_11comp_targetILNS1_3genE5ELNS1_11target_archE942ELNS1_3gpuE9ELNS1_3repE0EEENS1_30default_config_static_selectorELNS0_4arch9wavefront6targetE0EEEvT1_
	.globl	_ZN7rocprim17ROCPRIM_400000_NS6detail17trampoline_kernelINS0_14default_configENS1_25partition_config_selectorILNS1_17partition_subalgoE5EsNS0_10empty_typeEbEEZZNS1_14partition_implILS5_5ELb0ES3_mN6thrust23THRUST_200600_302600_NS6detail15normal_iteratorINSA_10device_ptrIsEEEEPS6_NSA_18transform_iteratorINSB_9not_fun_tI7is_trueIsEEENSC_INSD_IbEEEENSA_11use_defaultESO_EENS0_5tupleIJNSA_16discard_iteratorISO_EES6_EEENSQ_IJSG_SG_EEES6_PlJS6_EEE10hipError_tPvRmT3_T4_T5_T6_T7_T9_mT8_P12ihipStream_tbDpT10_ENKUlT_T0_E_clISt17integral_constantIbLb1EES1E_IbLb0EEEEDaS1A_S1B_EUlS1A_E_NS1_11comp_targetILNS1_3genE5ELNS1_11target_archE942ELNS1_3gpuE9ELNS1_3repE0EEENS1_30default_config_static_selectorELNS0_4arch9wavefront6targetE0EEEvT1_
	.p2align	8
	.type	_ZN7rocprim17ROCPRIM_400000_NS6detail17trampoline_kernelINS0_14default_configENS1_25partition_config_selectorILNS1_17partition_subalgoE5EsNS0_10empty_typeEbEEZZNS1_14partition_implILS5_5ELb0ES3_mN6thrust23THRUST_200600_302600_NS6detail15normal_iteratorINSA_10device_ptrIsEEEEPS6_NSA_18transform_iteratorINSB_9not_fun_tI7is_trueIsEEENSC_INSD_IbEEEENSA_11use_defaultESO_EENS0_5tupleIJNSA_16discard_iteratorISO_EES6_EEENSQ_IJSG_SG_EEES6_PlJS6_EEE10hipError_tPvRmT3_T4_T5_T6_T7_T9_mT8_P12ihipStream_tbDpT10_ENKUlT_T0_E_clISt17integral_constantIbLb1EES1E_IbLb0EEEEDaS1A_S1B_EUlS1A_E_NS1_11comp_targetILNS1_3genE5ELNS1_11target_archE942ELNS1_3gpuE9ELNS1_3repE0EEENS1_30default_config_static_selectorELNS0_4arch9wavefront6targetE0EEEvT1_,@function
_ZN7rocprim17ROCPRIM_400000_NS6detail17trampoline_kernelINS0_14default_configENS1_25partition_config_selectorILNS1_17partition_subalgoE5EsNS0_10empty_typeEbEEZZNS1_14partition_implILS5_5ELb0ES3_mN6thrust23THRUST_200600_302600_NS6detail15normal_iteratorINSA_10device_ptrIsEEEEPS6_NSA_18transform_iteratorINSB_9not_fun_tI7is_trueIsEEENSC_INSD_IbEEEENSA_11use_defaultESO_EENS0_5tupleIJNSA_16discard_iteratorISO_EES6_EEENSQ_IJSG_SG_EEES6_PlJS6_EEE10hipError_tPvRmT3_T4_T5_T6_T7_T9_mT8_P12ihipStream_tbDpT10_ENKUlT_T0_E_clISt17integral_constantIbLb1EES1E_IbLb0EEEEDaS1A_S1B_EUlS1A_E_NS1_11comp_targetILNS1_3genE5ELNS1_11target_archE942ELNS1_3gpuE9ELNS1_3repE0EEENS1_30default_config_static_selectorELNS0_4arch9wavefront6targetE0EEEvT1_: ; @_ZN7rocprim17ROCPRIM_400000_NS6detail17trampoline_kernelINS0_14default_configENS1_25partition_config_selectorILNS1_17partition_subalgoE5EsNS0_10empty_typeEbEEZZNS1_14partition_implILS5_5ELb0ES3_mN6thrust23THRUST_200600_302600_NS6detail15normal_iteratorINSA_10device_ptrIsEEEEPS6_NSA_18transform_iteratorINSB_9not_fun_tI7is_trueIsEEENSC_INSD_IbEEEENSA_11use_defaultESO_EENS0_5tupleIJNSA_16discard_iteratorISO_EES6_EEENSQ_IJSG_SG_EEES6_PlJS6_EEE10hipError_tPvRmT3_T4_T5_T6_T7_T9_mT8_P12ihipStream_tbDpT10_ENKUlT_T0_E_clISt17integral_constantIbLb1EES1E_IbLb0EEEEDaS1A_S1B_EUlS1A_E_NS1_11comp_targetILNS1_3genE5ELNS1_11target_archE942ELNS1_3gpuE9ELNS1_3repE0EEENS1_30default_config_static_selectorELNS0_4arch9wavefront6targetE0EEEvT1_
; %bb.0:
	.section	.rodata,"a",@progbits
	.p2align	6, 0x0
	.amdhsa_kernel _ZN7rocprim17ROCPRIM_400000_NS6detail17trampoline_kernelINS0_14default_configENS1_25partition_config_selectorILNS1_17partition_subalgoE5EsNS0_10empty_typeEbEEZZNS1_14partition_implILS5_5ELb0ES3_mN6thrust23THRUST_200600_302600_NS6detail15normal_iteratorINSA_10device_ptrIsEEEEPS6_NSA_18transform_iteratorINSB_9not_fun_tI7is_trueIsEEENSC_INSD_IbEEEENSA_11use_defaultESO_EENS0_5tupleIJNSA_16discard_iteratorISO_EES6_EEENSQ_IJSG_SG_EEES6_PlJS6_EEE10hipError_tPvRmT3_T4_T5_T6_T7_T9_mT8_P12ihipStream_tbDpT10_ENKUlT_T0_E_clISt17integral_constantIbLb1EES1E_IbLb0EEEEDaS1A_S1B_EUlS1A_E_NS1_11comp_targetILNS1_3genE5ELNS1_11target_archE942ELNS1_3gpuE9ELNS1_3repE0EEENS1_30default_config_static_selectorELNS0_4arch9wavefront6targetE0EEEvT1_
		.amdhsa_group_segment_fixed_size 0
		.amdhsa_private_segment_fixed_size 0
		.amdhsa_kernarg_size 128
		.amdhsa_user_sgpr_count 2
		.amdhsa_user_sgpr_dispatch_ptr 0
		.amdhsa_user_sgpr_queue_ptr 0
		.amdhsa_user_sgpr_kernarg_segment_ptr 1
		.amdhsa_user_sgpr_dispatch_id 0
		.amdhsa_user_sgpr_private_segment_size 0
		.amdhsa_wavefront_size32 1
		.amdhsa_uses_dynamic_stack 0
		.amdhsa_enable_private_segment 0
		.amdhsa_system_sgpr_workgroup_id_x 1
		.amdhsa_system_sgpr_workgroup_id_y 0
		.amdhsa_system_sgpr_workgroup_id_z 0
		.amdhsa_system_sgpr_workgroup_info 0
		.amdhsa_system_vgpr_workitem_id 0
		.amdhsa_next_free_vgpr 1
		.amdhsa_next_free_sgpr 1
		.amdhsa_reserve_vcc 0
		.amdhsa_float_round_mode_32 0
		.amdhsa_float_round_mode_16_64 0
		.amdhsa_float_denorm_mode_32 3
		.amdhsa_float_denorm_mode_16_64 3
		.amdhsa_fp16_overflow 0
		.amdhsa_workgroup_processor_mode 1
		.amdhsa_memory_ordered 1
		.amdhsa_forward_progress 1
		.amdhsa_inst_pref_size 0
		.amdhsa_round_robin_scheduling 0
		.amdhsa_exception_fp_ieee_invalid_op 0
		.amdhsa_exception_fp_denorm_src 0
		.amdhsa_exception_fp_ieee_div_zero 0
		.amdhsa_exception_fp_ieee_overflow 0
		.amdhsa_exception_fp_ieee_underflow 0
		.amdhsa_exception_fp_ieee_inexact 0
		.amdhsa_exception_int_div_zero 0
	.end_amdhsa_kernel
	.section	.text._ZN7rocprim17ROCPRIM_400000_NS6detail17trampoline_kernelINS0_14default_configENS1_25partition_config_selectorILNS1_17partition_subalgoE5EsNS0_10empty_typeEbEEZZNS1_14partition_implILS5_5ELb0ES3_mN6thrust23THRUST_200600_302600_NS6detail15normal_iteratorINSA_10device_ptrIsEEEEPS6_NSA_18transform_iteratorINSB_9not_fun_tI7is_trueIsEEENSC_INSD_IbEEEENSA_11use_defaultESO_EENS0_5tupleIJNSA_16discard_iteratorISO_EES6_EEENSQ_IJSG_SG_EEES6_PlJS6_EEE10hipError_tPvRmT3_T4_T5_T6_T7_T9_mT8_P12ihipStream_tbDpT10_ENKUlT_T0_E_clISt17integral_constantIbLb1EES1E_IbLb0EEEEDaS1A_S1B_EUlS1A_E_NS1_11comp_targetILNS1_3genE5ELNS1_11target_archE942ELNS1_3gpuE9ELNS1_3repE0EEENS1_30default_config_static_selectorELNS0_4arch9wavefront6targetE0EEEvT1_,"axG",@progbits,_ZN7rocprim17ROCPRIM_400000_NS6detail17trampoline_kernelINS0_14default_configENS1_25partition_config_selectorILNS1_17partition_subalgoE5EsNS0_10empty_typeEbEEZZNS1_14partition_implILS5_5ELb0ES3_mN6thrust23THRUST_200600_302600_NS6detail15normal_iteratorINSA_10device_ptrIsEEEEPS6_NSA_18transform_iteratorINSB_9not_fun_tI7is_trueIsEEENSC_INSD_IbEEEENSA_11use_defaultESO_EENS0_5tupleIJNSA_16discard_iteratorISO_EES6_EEENSQ_IJSG_SG_EEES6_PlJS6_EEE10hipError_tPvRmT3_T4_T5_T6_T7_T9_mT8_P12ihipStream_tbDpT10_ENKUlT_T0_E_clISt17integral_constantIbLb1EES1E_IbLb0EEEEDaS1A_S1B_EUlS1A_E_NS1_11comp_targetILNS1_3genE5ELNS1_11target_archE942ELNS1_3gpuE9ELNS1_3repE0EEENS1_30default_config_static_selectorELNS0_4arch9wavefront6targetE0EEEvT1_,comdat
.Lfunc_end2830:
	.size	_ZN7rocprim17ROCPRIM_400000_NS6detail17trampoline_kernelINS0_14default_configENS1_25partition_config_selectorILNS1_17partition_subalgoE5EsNS0_10empty_typeEbEEZZNS1_14partition_implILS5_5ELb0ES3_mN6thrust23THRUST_200600_302600_NS6detail15normal_iteratorINSA_10device_ptrIsEEEEPS6_NSA_18transform_iteratorINSB_9not_fun_tI7is_trueIsEEENSC_INSD_IbEEEENSA_11use_defaultESO_EENS0_5tupleIJNSA_16discard_iteratorISO_EES6_EEENSQ_IJSG_SG_EEES6_PlJS6_EEE10hipError_tPvRmT3_T4_T5_T6_T7_T9_mT8_P12ihipStream_tbDpT10_ENKUlT_T0_E_clISt17integral_constantIbLb1EES1E_IbLb0EEEEDaS1A_S1B_EUlS1A_E_NS1_11comp_targetILNS1_3genE5ELNS1_11target_archE942ELNS1_3gpuE9ELNS1_3repE0EEENS1_30default_config_static_selectorELNS0_4arch9wavefront6targetE0EEEvT1_, .Lfunc_end2830-_ZN7rocprim17ROCPRIM_400000_NS6detail17trampoline_kernelINS0_14default_configENS1_25partition_config_selectorILNS1_17partition_subalgoE5EsNS0_10empty_typeEbEEZZNS1_14partition_implILS5_5ELb0ES3_mN6thrust23THRUST_200600_302600_NS6detail15normal_iteratorINSA_10device_ptrIsEEEEPS6_NSA_18transform_iteratorINSB_9not_fun_tI7is_trueIsEEENSC_INSD_IbEEEENSA_11use_defaultESO_EENS0_5tupleIJNSA_16discard_iteratorISO_EES6_EEENSQ_IJSG_SG_EEES6_PlJS6_EEE10hipError_tPvRmT3_T4_T5_T6_T7_T9_mT8_P12ihipStream_tbDpT10_ENKUlT_T0_E_clISt17integral_constantIbLb1EES1E_IbLb0EEEEDaS1A_S1B_EUlS1A_E_NS1_11comp_targetILNS1_3genE5ELNS1_11target_archE942ELNS1_3gpuE9ELNS1_3repE0EEENS1_30default_config_static_selectorELNS0_4arch9wavefront6targetE0EEEvT1_
                                        ; -- End function
	.set _ZN7rocprim17ROCPRIM_400000_NS6detail17trampoline_kernelINS0_14default_configENS1_25partition_config_selectorILNS1_17partition_subalgoE5EsNS0_10empty_typeEbEEZZNS1_14partition_implILS5_5ELb0ES3_mN6thrust23THRUST_200600_302600_NS6detail15normal_iteratorINSA_10device_ptrIsEEEEPS6_NSA_18transform_iteratorINSB_9not_fun_tI7is_trueIsEEENSC_INSD_IbEEEENSA_11use_defaultESO_EENS0_5tupleIJNSA_16discard_iteratorISO_EES6_EEENSQ_IJSG_SG_EEES6_PlJS6_EEE10hipError_tPvRmT3_T4_T5_T6_T7_T9_mT8_P12ihipStream_tbDpT10_ENKUlT_T0_E_clISt17integral_constantIbLb1EES1E_IbLb0EEEEDaS1A_S1B_EUlS1A_E_NS1_11comp_targetILNS1_3genE5ELNS1_11target_archE942ELNS1_3gpuE9ELNS1_3repE0EEENS1_30default_config_static_selectorELNS0_4arch9wavefront6targetE0EEEvT1_.num_vgpr, 0
	.set _ZN7rocprim17ROCPRIM_400000_NS6detail17trampoline_kernelINS0_14default_configENS1_25partition_config_selectorILNS1_17partition_subalgoE5EsNS0_10empty_typeEbEEZZNS1_14partition_implILS5_5ELb0ES3_mN6thrust23THRUST_200600_302600_NS6detail15normal_iteratorINSA_10device_ptrIsEEEEPS6_NSA_18transform_iteratorINSB_9not_fun_tI7is_trueIsEEENSC_INSD_IbEEEENSA_11use_defaultESO_EENS0_5tupleIJNSA_16discard_iteratorISO_EES6_EEENSQ_IJSG_SG_EEES6_PlJS6_EEE10hipError_tPvRmT3_T4_T5_T6_T7_T9_mT8_P12ihipStream_tbDpT10_ENKUlT_T0_E_clISt17integral_constantIbLb1EES1E_IbLb0EEEEDaS1A_S1B_EUlS1A_E_NS1_11comp_targetILNS1_3genE5ELNS1_11target_archE942ELNS1_3gpuE9ELNS1_3repE0EEENS1_30default_config_static_selectorELNS0_4arch9wavefront6targetE0EEEvT1_.num_agpr, 0
	.set _ZN7rocprim17ROCPRIM_400000_NS6detail17trampoline_kernelINS0_14default_configENS1_25partition_config_selectorILNS1_17partition_subalgoE5EsNS0_10empty_typeEbEEZZNS1_14partition_implILS5_5ELb0ES3_mN6thrust23THRUST_200600_302600_NS6detail15normal_iteratorINSA_10device_ptrIsEEEEPS6_NSA_18transform_iteratorINSB_9not_fun_tI7is_trueIsEEENSC_INSD_IbEEEENSA_11use_defaultESO_EENS0_5tupleIJNSA_16discard_iteratorISO_EES6_EEENSQ_IJSG_SG_EEES6_PlJS6_EEE10hipError_tPvRmT3_T4_T5_T6_T7_T9_mT8_P12ihipStream_tbDpT10_ENKUlT_T0_E_clISt17integral_constantIbLb1EES1E_IbLb0EEEEDaS1A_S1B_EUlS1A_E_NS1_11comp_targetILNS1_3genE5ELNS1_11target_archE942ELNS1_3gpuE9ELNS1_3repE0EEENS1_30default_config_static_selectorELNS0_4arch9wavefront6targetE0EEEvT1_.numbered_sgpr, 0
	.set _ZN7rocprim17ROCPRIM_400000_NS6detail17trampoline_kernelINS0_14default_configENS1_25partition_config_selectorILNS1_17partition_subalgoE5EsNS0_10empty_typeEbEEZZNS1_14partition_implILS5_5ELb0ES3_mN6thrust23THRUST_200600_302600_NS6detail15normal_iteratorINSA_10device_ptrIsEEEEPS6_NSA_18transform_iteratorINSB_9not_fun_tI7is_trueIsEEENSC_INSD_IbEEEENSA_11use_defaultESO_EENS0_5tupleIJNSA_16discard_iteratorISO_EES6_EEENSQ_IJSG_SG_EEES6_PlJS6_EEE10hipError_tPvRmT3_T4_T5_T6_T7_T9_mT8_P12ihipStream_tbDpT10_ENKUlT_T0_E_clISt17integral_constantIbLb1EES1E_IbLb0EEEEDaS1A_S1B_EUlS1A_E_NS1_11comp_targetILNS1_3genE5ELNS1_11target_archE942ELNS1_3gpuE9ELNS1_3repE0EEENS1_30default_config_static_selectorELNS0_4arch9wavefront6targetE0EEEvT1_.num_named_barrier, 0
	.set _ZN7rocprim17ROCPRIM_400000_NS6detail17trampoline_kernelINS0_14default_configENS1_25partition_config_selectorILNS1_17partition_subalgoE5EsNS0_10empty_typeEbEEZZNS1_14partition_implILS5_5ELb0ES3_mN6thrust23THRUST_200600_302600_NS6detail15normal_iteratorINSA_10device_ptrIsEEEEPS6_NSA_18transform_iteratorINSB_9not_fun_tI7is_trueIsEEENSC_INSD_IbEEEENSA_11use_defaultESO_EENS0_5tupleIJNSA_16discard_iteratorISO_EES6_EEENSQ_IJSG_SG_EEES6_PlJS6_EEE10hipError_tPvRmT3_T4_T5_T6_T7_T9_mT8_P12ihipStream_tbDpT10_ENKUlT_T0_E_clISt17integral_constantIbLb1EES1E_IbLb0EEEEDaS1A_S1B_EUlS1A_E_NS1_11comp_targetILNS1_3genE5ELNS1_11target_archE942ELNS1_3gpuE9ELNS1_3repE0EEENS1_30default_config_static_selectorELNS0_4arch9wavefront6targetE0EEEvT1_.private_seg_size, 0
	.set _ZN7rocprim17ROCPRIM_400000_NS6detail17trampoline_kernelINS0_14default_configENS1_25partition_config_selectorILNS1_17partition_subalgoE5EsNS0_10empty_typeEbEEZZNS1_14partition_implILS5_5ELb0ES3_mN6thrust23THRUST_200600_302600_NS6detail15normal_iteratorINSA_10device_ptrIsEEEEPS6_NSA_18transform_iteratorINSB_9not_fun_tI7is_trueIsEEENSC_INSD_IbEEEENSA_11use_defaultESO_EENS0_5tupleIJNSA_16discard_iteratorISO_EES6_EEENSQ_IJSG_SG_EEES6_PlJS6_EEE10hipError_tPvRmT3_T4_T5_T6_T7_T9_mT8_P12ihipStream_tbDpT10_ENKUlT_T0_E_clISt17integral_constantIbLb1EES1E_IbLb0EEEEDaS1A_S1B_EUlS1A_E_NS1_11comp_targetILNS1_3genE5ELNS1_11target_archE942ELNS1_3gpuE9ELNS1_3repE0EEENS1_30default_config_static_selectorELNS0_4arch9wavefront6targetE0EEEvT1_.uses_vcc, 0
	.set _ZN7rocprim17ROCPRIM_400000_NS6detail17trampoline_kernelINS0_14default_configENS1_25partition_config_selectorILNS1_17partition_subalgoE5EsNS0_10empty_typeEbEEZZNS1_14partition_implILS5_5ELb0ES3_mN6thrust23THRUST_200600_302600_NS6detail15normal_iteratorINSA_10device_ptrIsEEEEPS6_NSA_18transform_iteratorINSB_9not_fun_tI7is_trueIsEEENSC_INSD_IbEEEENSA_11use_defaultESO_EENS0_5tupleIJNSA_16discard_iteratorISO_EES6_EEENSQ_IJSG_SG_EEES6_PlJS6_EEE10hipError_tPvRmT3_T4_T5_T6_T7_T9_mT8_P12ihipStream_tbDpT10_ENKUlT_T0_E_clISt17integral_constantIbLb1EES1E_IbLb0EEEEDaS1A_S1B_EUlS1A_E_NS1_11comp_targetILNS1_3genE5ELNS1_11target_archE942ELNS1_3gpuE9ELNS1_3repE0EEENS1_30default_config_static_selectorELNS0_4arch9wavefront6targetE0EEEvT1_.uses_flat_scratch, 0
	.set _ZN7rocprim17ROCPRIM_400000_NS6detail17trampoline_kernelINS0_14default_configENS1_25partition_config_selectorILNS1_17partition_subalgoE5EsNS0_10empty_typeEbEEZZNS1_14partition_implILS5_5ELb0ES3_mN6thrust23THRUST_200600_302600_NS6detail15normal_iteratorINSA_10device_ptrIsEEEEPS6_NSA_18transform_iteratorINSB_9not_fun_tI7is_trueIsEEENSC_INSD_IbEEEENSA_11use_defaultESO_EENS0_5tupleIJNSA_16discard_iteratorISO_EES6_EEENSQ_IJSG_SG_EEES6_PlJS6_EEE10hipError_tPvRmT3_T4_T5_T6_T7_T9_mT8_P12ihipStream_tbDpT10_ENKUlT_T0_E_clISt17integral_constantIbLb1EES1E_IbLb0EEEEDaS1A_S1B_EUlS1A_E_NS1_11comp_targetILNS1_3genE5ELNS1_11target_archE942ELNS1_3gpuE9ELNS1_3repE0EEENS1_30default_config_static_selectorELNS0_4arch9wavefront6targetE0EEEvT1_.has_dyn_sized_stack, 0
	.set _ZN7rocprim17ROCPRIM_400000_NS6detail17trampoline_kernelINS0_14default_configENS1_25partition_config_selectorILNS1_17partition_subalgoE5EsNS0_10empty_typeEbEEZZNS1_14partition_implILS5_5ELb0ES3_mN6thrust23THRUST_200600_302600_NS6detail15normal_iteratorINSA_10device_ptrIsEEEEPS6_NSA_18transform_iteratorINSB_9not_fun_tI7is_trueIsEEENSC_INSD_IbEEEENSA_11use_defaultESO_EENS0_5tupleIJNSA_16discard_iteratorISO_EES6_EEENSQ_IJSG_SG_EEES6_PlJS6_EEE10hipError_tPvRmT3_T4_T5_T6_T7_T9_mT8_P12ihipStream_tbDpT10_ENKUlT_T0_E_clISt17integral_constantIbLb1EES1E_IbLb0EEEEDaS1A_S1B_EUlS1A_E_NS1_11comp_targetILNS1_3genE5ELNS1_11target_archE942ELNS1_3gpuE9ELNS1_3repE0EEENS1_30default_config_static_selectorELNS0_4arch9wavefront6targetE0EEEvT1_.has_recursion, 0
	.set _ZN7rocprim17ROCPRIM_400000_NS6detail17trampoline_kernelINS0_14default_configENS1_25partition_config_selectorILNS1_17partition_subalgoE5EsNS0_10empty_typeEbEEZZNS1_14partition_implILS5_5ELb0ES3_mN6thrust23THRUST_200600_302600_NS6detail15normal_iteratorINSA_10device_ptrIsEEEEPS6_NSA_18transform_iteratorINSB_9not_fun_tI7is_trueIsEEENSC_INSD_IbEEEENSA_11use_defaultESO_EENS0_5tupleIJNSA_16discard_iteratorISO_EES6_EEENSQ_IJSG_SG_EEES6_PlJS6_EEE10hipError_tPvRmT3_T4_T5_T6_T7_T9_mT8_P12ihipStream_tbDpT10_ENKUlT_T0_E_clISt17integral_constantIbLb1EES1E_IbLb0EEEEDaS1A_S1B_EUlS1A_E_NS1_11comp_targetILNS1_3genE5ELNS1_11target_archE942ELNS1_3gpuE9ELNS1_3repE0EEENS1_30default_config_static_selectorELNS0_4arch9wavefront6targetE0EEEvT1_.has_indirect_call, 0
	.section	.AMDGPU.csdata,"",@progbits
; Kernel info:
; codeLenInByte = 0
; TotalNumSgprs: 0
; NumVgprs: 0
; ScratchSize: 0
; MemoryBound: 0
; FloatMode: 240
; IeeeMode: 1
; LDSByteSize: 0 bytes/workgroup (compile time only)
; SGPRBlocks: 0
; VGPRBlocks: 0
; NumSGPRsForWavesPerEU: 1
; NumVGPRsForWavesPerEU: 1
; Occupancy: 16
; WaveLimiterHint : 0
; COMPUTE_PGM_RSRC2:SCRATCH_EN: 0
; COMPUTE_PGM_RSRC2:USER_SGPR: 2
; COMPUTE_PGM_RSRC2:TRAP_HANDLER: 0
; COMPUTE_PGM_RSRC2:TGID_X_EN: 1
; COMPUTE_PGM_RSRC2:TGID_Y_EN: 0
; COMPUTE_PGM_RSRC2:TGID_Z_EN: 0
; COMPUTE_PGM_RSRC2:TIDIG_COMP_CNT: 0
	.section	.text._ZN7rocprim17ROCPRIM_400000_NS6detail17trampoline_kernelINS0_14default_configENS1_25partition_config_selectorILNS1_17partition_subalgoE5EsNS0_10empty_typeEbEEZZNS1_14partition_implILS5_5ELb0ES3_mN6thrust23THRUST_200600_302600_NS6detail15normal_iteratorINSA_10device_ptrIsEEEEPS6_NSA_18transform_iteratorINSB_9not_fun_tI7is_trueIsEEENSC_INSD_IbEEEENSA_11use_defaultESO_EENS0_5tupleIJNSA_16discard_iteratorISO_EES6_EEENSQ_IJSG_SG_EEES6_PlJS6_EEE10hipError_tPvRmT3_T4_T5_T6_T7_T9_mT8_P12ihipStream_tbDpT10_ENKUlT_T0_E_clISt17integral_constantIbLb1EES1E_IbLb0EEEEDaS1A_S1B_EUlS1A_E_NS1_11comp_targetILNS1_3genE4ELNS1_11target_archE910ELNS1_3gpuE8ELNS1_3repE0EEENS1_30default_config_static_selectorELNS0_4arch9wavefront6targetE0EEEvT1_,"axG",@progbits,_ZN7rocprim17ROCPRIM_400000_NS6detail17trampoline_kernelINS0_14default_configENS1_25partition_config_selectorILNS1_17partition_subalgoE5EsNS0_10empty_typeEbEEZZNS1_14partition_implILS5_5ELb0ES3_mN6thrust23THRUST_200600_302600_NS6detail15normal_iteratorINSA_10device_ptrIsEEEEPS6_NSA_18transform_iteratorINSB_9not_fun_tI7is_trueIsEEENSC_INSD_IbEEEENSA_11use_defaultESO_EENS0_5tupleIJNSA_16discard_iteratorISO_EES6_EEENSQ_IJSG_SG_EEES6_PlJS6_EEE10hipError_tPvRmT3_T4_T5_T6_T7_T9_mT8_P12ihipStream_tbDpT10_ENKUlT_T0_E_clISt17integral_constantIbLb1EES1E_IbLb0EEEEDaS1A_S1B_EUlS1A_E_NS1_11comp_targetILNS1_3genE4ELNS1_11target_archE910ELNS1_3gpuE8ELNS1_3repE0EEENS1_30default_config_static_selectorELNS0_4arch9wavefront6targetE0EEEvT1_,comdat
	.protected	_ZN7rocprim17ROCPRIM_400000_NS6detail17trampoline_kernelINS0_14default_configENS1_25partition_config_selectorILNS1_17partition_subalgoE5EsNS0_10empty_typeEbEEZZNS1_14partition_implILS5_5ELb0ES3_mN6thrust23THRUST_200600_302600_NS6detail15normal_iteratorINSA_10device_ptrIsEEEEPS6_NSA_18transform_iteratorINSB_9not_fun_tI7is_trueIsEEENSC_INSD_IbEEEENSA_11use_defaultESO_EENS0_5tupleIJNSA_16discard_iteratorISO_EES6_EEENSQ_IJSG_SG_EEES6_PlJS6_EEE10hipError_tPvRmT3_T4_T5_T6_T7_T9_mT8_P12ihipStream_tbDpT10_ENKUlT_T0_E_clISt17integral_constantIbLb1EES1E_IbLb0EEEEDaS1A_S1B_EUlS1A_E_NS1_11comp_targetILNS1_3genE4ELNS1_11target_archE910ELNS1_3gpuE8ELNS1_3repE0EEENS1_30default_config_static_selectorELNS0_4arch9wavefront6targetE0EEEvT1_ ; -- Begin function _ZN7rocprim17ROCPRIM_400000_NS6detail17trampoline_kernelINS0_14default_configENS1_25partition_config_selectorILNS1_17partition_subalgoE5EsNS0_10empty_typeEbEEZZNS1_14partition_implILS5_5ELb0ES3_mN6thrust23THRUST_200600_302600_NS6detail15normal_iteratorINSA_10device_ptrIsEEEEPS6_NSA_18transform_iteratorINSB_9not_fun_tI7is_trueIsEEENSC_INSD_IbEEEENSA_11use_defaultESO_EENS0_5tupleIJNSA_16discard_iteratorISO_EES6_EEENSQ_IJSG_SG_EEES6_PlJS6_EEE10hipError_tPvRmT3_T4_T5_T6_T7_T9_mT8_P12ihipStream_tbDpT10_ENKUlT_T0_E_clISt17integral_constantIbLb1EES1E_IbLb0EEEEDaS1A_S1B_EUlS1A_E_NS1_11comp_targetILNS1_3genE4ELNS1_11target_archE910ELNS1_3gpuE8ELNS1_3repE0EEENS1_30default_config_static_selectorELNS0_4arch9wavefront6targetE0EEEvT1_
	.globl	_ZN7rocprim17ROCPRIM_400000_NS6detail17trampoline_kernelINS0_14default_configENS1_25partition_config_selectorILNS1_17partition_subalgoE5EsNS0_10empty_typeEbEEZZNS1_14partition_implILS5_5ELb0ES3_mN6thrust23THRUST_200600_302600_NS6detail15normal_iteratorINSA_10device_ptrIsEEEEPS6_NSA_18transform_iteratorINSB_9not_fun_tI7is_trueIsEEENSC_INSD_IbEEEENSA_11use_defaultESO_EENS0_5tupleIJNSA_16discard_iteratorISO_EES6_EEENSQ_IJSG_SG_EEES6_PlJS6_EEE10hipError_tPvRmT3_T4_T5_T6_T7_T9_mT8_P12ihipStream_tbDpT10_ENKUlT_T0_E_clISt17integral_constantIbLb1EES1E_IbLb0EEEEDaS1A_S1B_EUlS1A_E_NS1_11comp_targetILNS1_3genE4ELNS1_11target_archE910ELNS1_3gpuE8ELNS1_3repE0EEENS1_30default_config_static_selectorELNS0_4arch9wavefront6targetE0EEEvT1_
	.p2align	8
	.type	_ZN7rocprim17ROCPRIM_400000_NS6detail17trampoline_kernelINS0_14default_configENS1_25partition_config_selectorILNS1_17partition_subalgoE5EsNS0_10empty_typeEbEEZZNS1_14partition_implILS5_5ELb0ES3_mN6thrust23THRUST_200600_302600_NS6detail15normal_iteratorINSA_10device_ptrIsEEEEPS6_NSA_18transform_iteratorINSB_9not_fun_tI7is_trueIsEEENSC_INSD_IbEEEENSA_11use_defaultESO_EENS0_5tupleIJNSA_16discard_iteratorISO_EES6_EEENSQ_IJSG_SG_EEES6_PlJS6_EEE10hipError_tPvRmT3_T4_T5_T6_T7_T9_mT8_P12ihipStream_tbDpT10_ENKUlT_T0_E_clISt17integral_constantIbLb1EES1E_IbLb0EEEEDaS1A_S1B_EUlS1A_E_NS1_11comp_targetILNS1_3genE4ELNS1_11target_archE910ELNS1_3gpuE8ELNS1_3repE0EEENS1_30default_config_static_selectorELNS0_4arch9wavefront6targetE0EEEvT1_,@function
_ZN7rocprim17ROCPRIM_400000_NS6detail17trampoline_kernelINS0_14default_configENS1_25partition_config_selectorILNS1_17partition_subalgoE5EsNS0_10empty_typeEbEEZZNS1_14partition_implILS5_5ELb0ES3_mN6thrust23THRUST_200600_302600_NS6detail15normal_iteratorINSA_10device_ptrIsEEEEPS6_NSA_18transform_iteratorINSB_9not_fun_tI7is_trueIsEEENSC_INSD_IbEEEENSA_11use_defaultESO_EENS0_5tupleIJNSA_16discard_iteratorISO_EES6_EEENSQ_IJSG_SG_EEES6_PlJS6_EEE10hipError_tPvRmT3_T4_T5_T6_T7_T9_mT8_P12ihipStream_tbDpT10_ENKUlT_T0_E_clISt17integral_constantIbLb1EES1E_IbLb0EEEEDaS1A_S1B_EUlS1A_E_NS1_11comp_targetILNS1_3genE4ELNS1_11target_archE910ELNS1_3gpuE8ELNS1_3repE0EEENS1_30default_config_static_selectorELNS0_4arch9wavefront6targetE0EEEvT1_: ; @_ZN7rocprim17ROCPRIM_400000_NS6detail17trampoline_kernelINS0_14default_configENS1_25partition_config_selectorILNS1_17partition_subalgoE5EsNS0_10empty_typeEbEEZZNS1_14partition_implILS5_5ELb0ES3_mN6thrust23THRUST_200600_302600_NS6detail15normal_iteratorINSA_10device_ptrIsEEEEPS6_NSA_18transform_iteratorINSB_9not_fun_tI7is_trueIsEEENSC_INSD_IbEEEENSA_11use_defaultESO_EENS0_5tupleIJNSA_16discard_iteratorISO_EES6_EEENSQ_IJSG_SG_EEES6_PlJS6_EEE10hipError_tPvRmT3_T4_T5_T6_T7_T9_mT8_P12ihipStream_tbDpT10_ENKUlT_T0_E_clISt17integral_constantIbLb1EES1E_IbLb0EEEEDaS1A_S1B_EUlS1A_E_NS1_11comp_targetILNS1_3genE4ELNS1_11target_archE910ELNS1_3gpuE8ELNS1_3repE0EEENS1_30default_config_static_selectorELNS0_4arch9wavefront6targetE0EEEvT1_
; %bb.0:
	.section	.rodata,"a",@progbits
	.p2align	6, 0x0
	.amdhsa_kernel _ZN7rocprim17ROCPRIM_400000_NS6detail17trampoline_kernelINS0_14default_configENS1_25partition_config_selectorILNS1_17partition_subalgoE5EsNS0_10empty_typeEbEEZZNS1_14partition_implILS5_5ELb0ES3_mN6thrust23THRUST_200600_302600_NS6detail15normal_iteratorINSA_10device_ptrIsEEEEPS6_NSA_18transform_iteratorINSB_9not_fun_tI7is_trueIsEEENSC_INSD_IbEEEENSA_11use_defaultESO_EENS0_5tupleIJNSA_16discard_iteratorISO_EES6_EEENSQ_IJSG_SG_EEES6_PlJS6_EEE10hipError_tPvRmT3_T4_T5_T6_T7_T9_mT8_P12ihipStream_tbDpT10_ENKUlT_T0_E_clISt17integral_constantIbLb1EES1E_IbLb0EEEEDaS1A_S1B_EUlS1A_E_NS1_11comp_targetILNS1_3genE4ELNS1_11target_archE910ELNS1_3gpuE8ELNS1_3repE0EEENS1_30default_config_static_selectorELNS0_4arch9wavefront6targetE0EEEvT1_
		.amdhsa_group_segment_fixed_size 0
		.amdhsa_private_segment_fixed_size 0
		.amdhsa_kernarg_size 128
		.amdhsa_user_sgpr_count 2
		.amdhsa_user_sgpr_dispatch_ptr 0
		.amdhsa_user_sgpr_queue_ptr 0
		.amdhsa_user_sgpr_kernarg_segment_ptr 1
		.amdhsa_user_sgpr_dispatch_id 0
		.amdhsa_user_sgpr_private_segment_size 0
		.amdhsa_wavefront_size32 1
		.amdhsa_uses_dynamic_stack 0
		.amdhsa_enable_private_segment 0
		.amdhsa_system_sgpr_workgroup_id_x 1
		.amdhsa_system_sgpr_workgroup_id_y 0
		.amdhsa_system_sgpr_workgroup_id_z 0
		.amdhsa_system_sgpr_workgroup_info 0
		.amdhsa_system_vgpr_workitem_id 0
		.amdhsa_next_free_vgpr 1
		.amdhsa_next_free_sgpr 1
		.amdhsa_reserve_vcc 0
		.amdhsa_float_round_mode_32 0
		.amdhsa_float_round_mode_16_64 0
		.amdhsa_float_denorm_mode_32 3
		.amdhsa_float_denorm_mode_16_64 3
		.amdhsa_fp16_overflow 0
		.amdhsa_workgroup_processor_mode 1
		.amdhsa_memory_ordered 1
		.amdhsa_forward_progress 1
		.amdhsa_inst_pref_size 0
		.amdhsa_round_robin_scheduling 0
		.amdhsa_exception_fp_ieee_invalid_op 0
		.amdhsa_exception_fp_denorm_src 0
		.amdhsa_exception_fp_ieee_div_zero 0
		.amdhsa_exception_fp_ieee_overflow 0
		.amdhsa_exception_fp_ieee_underflow 0
		.amdhsa_exception_fp_ieee_inexact 0
		.amdhsa_exception_int_div_zero 0
	.end_amdhsa_kernel
	.section	.text._ZN7rocprim17ROCPRIM_400000_NS6detail17trampoline_kernelINS0_14default_configENS1_25partition_config_selectorILNS1_17partition_subalgoE5EsNS0_10empty_typeEbEEZZNS1_14partition_implILS5_5ELb0ES3_mN6thrust23THRUST_200600_302600_NS6detail15normal_iteratorINSA_10device_ptrIsEEEEPS6_NSA_18transform_iteratorINSB_9not_fun_tI7is_trueIsEEENSC_INSD_IbEEEENSA_11use_defaultESO_EENS0_5tupleIJNSA_16discard_iteratorISO_EES6_EEENSQ_IJSG_SG_EEES6_PlJS6_EEE10hipError_tPvRmT3_T4_T5_T6_T7_T9_mT8_P12ihipStream_tbDpT10_ENKUlT_T0_E_clISt17integral_constantIbLb1EES1E_IbLb0EEEEDaS1A_S1B_EUlS1A_E_NS1_11comp_targetILNS1_3genE4ELNS1_11target_archE910ELNS1_3gpuE8ELNS1_3repE0EEENS1_30default_config_static_selectorELNS0_4arch9wavefront6targetE0EEEvT1_,"axG",@progbits,_ZN7rocprim17ROCPRIM_400000_NS6detail17trampoline_kernelINS0_14default_configENS1_25partition_config_selectorILNS1_17partition_subalgoE5EsNS0_10empty_typeEbEEZZNS1_14partition_implILS5_5ELb0ES3_mN6thrust23THRUST_200600_302600_NS6detail15normal_iteratorINSA_10device_ptrIsEEEEPS6_NSA_18transform_iteratorINSB_9not_fun_tI7is_trueIsEEENSC_INSD_IbEEEENSA_11use_defaultESO_EENS0_5tupleIJNSA_16discard_iteratorISO_EES6_EEENSQ_IJSG_SG_EEES6_PlJS6_EEE10hipError_tPvRmT3_T4_T5_T6_T7_T9_mT8_P12ihipStream_tbDpT10_ENKUlT_T0_E_clISt17integral_constantIbLb1EES1E_IbLb0EEEEDaS1A_S1B_EUlS1A_E_NS1_11comp_targetILNS1_3genE4ELNS1_11target_archE910ELNS1_3gpuE8ELNS1_3repE0EEENS1_30default_config_static_selectorELNS0_4arch9wavefront6targetE0EEEvT1_,comdat
.Lfunc_end2831:
	.size	_ZN7rocprim17ROCPRIM_400000_NS6detail17trampoline_kernelINS0_14default_configENS1_25partition_config_selectorILNS1_17partition_subalgoE5EsNS0_10empty_typeEbEEZZNS1_14partition_implILS5_5ELb0ES3_mN6thrust23THRUST_200600_302600_NS6detail15normal_iteratorINSA_10device_ptrIsEEEEPS6_NSA_18transform_iteratorINSB_9not_fun_tI7is_trueIsEEENSC_INSD_IbEEEENSA_11use_defaultESO_EENS0_5tupleIJNSA_16discard_iteratorISO_EES6_EEENSQ_IJSG_SG_EEES6_PlJS6_EEE10hipError_tPvRmT3_T4_T5_T6_T7_T9_mT8_P12ihipStream_tbDpT10_ENKUlT_T0_E_clISt17integral_constantIbLb1EES1E_IbLb0EEEEDaS1A_S1B_EUlS1A_E_NS1_11comp_targetILNS1_3genE4ELNS1_11target_archE910ELNS1_3gpuE8ELNS1_3repE0EEENS1_30default_config_static_selectorELNS0_4arch9wavefront6targetE0EEEvT1_, .Lfunc_end2831-_ZN7rocprim17ROCPRIM_400000_NS6detail17trampoline_kernelINS0_14default_configENS1_25partition_config_selectorILNS1_17partition_subalgoE5EsNS0_10empty_typeEbEEZZNS1_14partition_implILS5_5ELb0ES3_mN6thrust23THRUST_200600_302600_NS6detail15normal_iteratorINSA_10device_ptrIsEEEEPS6_NSA_18transform_iteratorINSB_9not_fun_tI7is_trueIsEEENSC_INSD_IbEEEENSA_11use_defaultESO_EENS0_5tupleIJNSA_16discard_iteratorISO_EES6_EEENSQ_IJSG_SG_EEES6_PlJS6_EEE10hipError_tPvRmT3_T4_T5_T6_T7_T9_mT8_P12ihipStream_tbDpT10_ENKUlT_T0_E_clISt17integral_constantIbLb1EES1E_IbLb0EEEEDaS1A_S1B_EUlS1A_E_NS1_11comp_targetILNS1_3genE4ELNS1_11target_archE910ELNS1_3gpuE8ELNS1_3repE0EEENS1_30default_config_static_selectorELNS0_4arch9wavefront6targetE0EEEvT1_
                                        ; -- End function
	.set _ZN7rocprim17ROCPRIM_400000_NS6detail17trampoline_kernelINS0_14default_configENS1_25partition_config_selectorILNS1_17partition_subalgoE5EsNS0_10empty_typeEbEEZZNS1_14partition_implILS5_5ELb0ES3_mN6thrust23THRUST_200600_302600_NS6detail15normal_iteratorINSA_10device_ptrIsEEEEPS6_NSA_18transform_iteratorINSB_9not_fun_tI7is_trueIsEEENSC_INSD_IbEEEENSA_11use_defaultESO_EENS0_5tupleIJNSA_16discard_iteratorISO_EES6_EEENSQ_IJSG_SG_EEES6_PlJS6_EEE10hipError_tPvRmT3_T4_T5_T6_T7_T9_mT8_P12ihipStream_tbDpT10_ENKUlT_T0_E_clISt17integral_constantIbLb1EES1E_IbLb0EEEEDaS1A_S1B_EUlS1A_E_NS1_11comp_targetILNS1_3genE4ELNS1_11target_archE910ELNS1_3gpuE8ELNS1_3repE0EEENS1_30default_config_static_selectorELNS0_4arch9wavefront6targetE0EEEvT1_.num_vgpr, 0
	.set _ZN7rocprim17ROCPRIM_400000_NS6detail17trampoline_kernelINS0_14default_configENS1_25partition_config_selectorILNS1_17partition_subalgoE5EsNS0_10empty_typeEbEEZZNS1_14partition_implILS5_5ELb0ES3_mN6thrust23THRUST_200600_302600_NS6detail15normal_iteratorINSA_10device_ptrIsEEEEPS6_NSA_18transform_iteratorINSB_9not_fun_tI7is_trueIsEEENSC_INSD_IbEEEENSA_11use_defaultESO_EENS0_5tupleIJNSA_16discard_iteratorISO_EES6_EEENSQ_IJSG_SG_EEES6_PlJS6_EEE10hipError_tPvRmT3_T4_T5_T6_T7_T9_mT8_P12ihipStream_tbDpT10_ENKUlT_T0_E_clISt17integral_constantIbLb1EES1E_IbLb0EEEEDaS1A_S1B_EUlS1A_E_NS1_11comp_targetILNS1_3genE4ELNS1_11target_archE910ELNS1_3gpuE8ELNS1_3repE0EEENS1_30default_config_static_selectorELNS0_4arch9wavefront6targetE0EEEvT1_.num_agpr, 0
	.set _ZN7rocprim17ROCPRIM_400000_NS6detail17trampoline_kernelINS0_14default_configENS1_25partition_config_selectorILNS1_17partition_subalgoE5EsNS0_10empty_typeEbEEZZNS1_14partition_implILS5_5ELb0ES3_mN6thrust23THRUST_200600_302600_NS6detail15normal_iteratorINSA_10device_ptrIsEEEEPS6_NSA_18transform_iteratorINSB_9not_fun_tI7is_trueIsEEENSC_INSD_IbEEEENSA_11use_defaultESO_EENS0_5tupleIJNSA_16discard_iteratorISO_EES6_EEENSQ_IJSG_SG_EEES6_PlJS6_EEE10hipError_tPvRmT3_T4_T5_T6_T7_T9_mT8_P12ihipStream_tbDpT10_ENKUlT_T0_E_clISt17integral_constantIbLb1EES1E_IbLb0EEEEDaS1A_S1B_EUlS1A_E_NS1_11comp_targetILNS1_3genE4ELNS1_11target_archE910ELNS1_3gpuE8ELNS1_3repE0EEENS1_30default_config_static_selectorELNS0_4arch9wavefront6targetE0EEEvT1_.numbered_sgpr, 0
	.set _ZN7rocprim17ROCPRIM_400000_NS6detail17trampoline_kernelINS0_14default_configENS1_25partition_config_selectorILNS1_17partition_subalgoE5EsNS0_10empty_typeEbEEZZNS1_14partition_implILS5_5ELb0ES3_mN6thrust23THRUST_200600_302600_NS6detail15normal_iteratorINSA_10device_ptrIsEEEEPS6_NSA_18transform_iteratorINSB_9not_fun_tI7is_trueIsEEENSC_INSD_IbEEEENSA_11use_defaultESO_EENS0_5tupleIJNSA_16discard_iteratorISO_EES6_EEENSQ_IJSG_SG_EEES6_PlJS6_EEE10hipError_tPvRmT3_T4_T5_T6_T7_T9_mT8_P12ihipStream_tbDpT10_ENKUlT_T0_E_clISt17integral_constantIbLb1EES1E_IbLb0EEEEDaS1A_S1B_EUlS1A_E_NS1_11comp_targetILNS1_3genE4ELNS1_11target_archE910ELNS1_3gpuE8ELNS1_3repE0EEENS1_30default_config_static_selectorELNS0_4arch9wavefront6targetE0EEEvT1_.num_named_barrier, 0
	.set _ZN7rocprim17ROCPRIM_400000_NS6detail17trampoline_kernelINS0_14default_configENS1_25partition_config_selectorILNS1_17partition_subalgoE5EsNS0_10empty_typeEbEEZZNS1_14partition_implILS5_5ELb0ES3_mN6thrust23THRUST_200600_302600_NS6detail15normal_iteratorINSA_10device_ptrIsEEEEPS6_NSA_18transform_iteratorINSB_9not_fun_tI7is_trueIsEEENSC_INSD_IbEEEENSA_11use_defaultESO_EENS0_5tupleIJNSA_16discard_iteratorISO_EES6_EEENSQ_IJSG_SG_EEES6_PlJS6_EEE10hipError_tPvRmT3_T4_T5_T6_T7_T9_mT8_P12ihipStream_tbDpT10_ENKUlT_T0_E_clISt17integral_constantIbLb1EES1E_IbLb0EEEEDaS1A_S1B_EUlS1A_E_NS1_11comp_targetILNS1_3genE4ELNS1_11target_archE910ELNS1_3gpuE8ELNS1_3repE0EEENS1_30default_config_static_selectorELNS0_4arch9wavefront6targetE0EEEvT1_.private_seg_size, 0
	.set _ZN7rocprim17ROCPRIM_400000_NS6detail17trampoline_kernelINS0_14default_configENS1_25partition_config_selectorILNS1_17partition_subalgoE5EsNS0_10empty_typeEbEEZZNS1_14partition_implILS5_5ELb0ES3_mN6thrust23THRUST_200600_302600_NS6detail15normal_iteratorINSA_10device_ptrIsEEEEPS6_NSA_18transform_iteratorINSB_9not_fun_tI7is_trueIsEEENSC_INSD_IbEEEENSA_11use_defaultESO_EENS0_5tupleIJNSA_16discard_iteratorISO_EES6_EEENSQ_IJSG_SG_EEES6_PlJS6_EEE10hipError_tPvRmT3_T4_T5_T6_T7_T9_mT8_P12ihipStream_tbDpT10_ENKUlT_T0_E_clISt17integral_constantIbLb1EES1E_IbLb0EEEEDaS1A_S1B_EUlS1A_E_NS1_11comp_targetILNS1_3genE4ELNS1_11target_archE910ELNS1_3gpuE8ELNS1_3repE0EEENS1_30default_config_static_selectorELNS0_4arch9wavefront6targetE0EEEvT1_.uses_vcc, 0
	.set _ZN7rocprim17ROCPRIM_400000_NS6detail17trampoline_kernelINS0_14default_configENS1_25partition_config_selectorILNS1_17partition_subalgoE5EsNS0_10empty_typeEbEEZZNS1_14partition_implILS5_5ELb0ES3_mN6thrust23THRUST_200600_302600_NS6detail15normal_iteratorINSA_10device_ptrIsEEEEPS6_NSA_18transform_iteratorINSB_9not_fun_tI7is_trueIsEEENSC_INSD_IbEEEENSA_11use_defaultESO_EENS0_5tupleIJNSA_16discard_iteratorISO_EES6_EEENSQ_IJSG_SG_EEES6_PlJS6_EEE10hipError_tPvRmT3_T4_T5_T6_T7_T9_mT8_P12ihipStream_tbDpT10_ENKUlT_T0_E_clISt17integral_constantIbLb1EES1E_IbLb0EEEEDaS1A_S1B_EUlS1A_E_NS1_11comp_targetILNS1_3genE4ELNS1_11target_archE910ELNS1_3gpuE8ELNS1_3repE0EEENS1_30default_config_static_selectorELNS0_4arch9wavefront6targetE0EEEvT1_.uses_flat_scratch, 0
	.set _ZN7rocprim17ROCPRIM_400000_NS6detail17trampoline_kernelINS0_14default_configENS1_25partition_config_selectorILNS1_17partition_subalgoE5EsNS0_10empty_typeEbEEZZNS1_14partition_implILS5_5ELb0ES3_mN6thrust23THRUST_200600_302600_NS6detail15normal_iteratorINSA_10device_ptrIsEEEEPS6_NSA_18transform_iteratorINSB_9not_fun_tI7is_trueIsEEENSC_INSD_IbEEEENSA_11use_defaultESO_EENS0_5tupleIJNSA_16discard_iteratorISO_EES6_EEENSQ_IJSG_SG_EEES6_PlJS6_EEE10hipError_tPvRmT3_T4_T5_T6_T7_T9_mT8_P12ihipStream_tbDpT10_ENKUlT_T0_E_clISt17integral_constantIbLb1EES1E_IbLb0EEEEDaS1A_S1B_EUlS1A_E_NS1_11comp_targetILNS1_3genE4ELNS1_11target_archE910ELNS1_3gpuE8ELNS1_3repE0EEENS1_30default_config_static_selectorELNS0_4arch9wavefront6targetE0EEEvT1_.has_dyn_sized_stack, 0
	.set _ZN7rocprim17ROCPRIM_400000_NS6detail17trampoline_kernelINS0_14default_configENS1_25partition_config_selectorILNS1_17partition_subalgoE5EsNS0_10empty_typeEbEEZZNS1_14partition_implILS5_5ELb0ES3_mN6thrust23THRUST_200600_302600_NS6detail15normal_iteratorINSA_10device_ptrIsEEEEPS6_NSA_18transform_iteratorINSB_9not_fun_tI7is_trueIsEEENSC_INSD_IbEEEENSA_11use_defaultESO_EENS0_5tupleIJNSA_16discard_iteratorISO_EES6_EEENSQ_IJSG_SG_EEES6_PlJS6_EEE10hipError_tPvRmT3_T4_T5_T6_T7_T9_mT8_P12ihipStream_tbDpT10_ENKUlT_T0_E_clISt17integral_constantIbLb1EES1E_IbLb0EEEEDaS1A_S1B_EUlS1A_E_NS1_11comp_targetILNS1_3genE4ELNS1_11target_archE910ELNS1_3gpuE8ELNS1_3repE0EEENS1_30default_config_static_selectorELNS0_4arch9wavefront6targetE0EEEvT1_.has_recursion, 0
	.set _ZN7rocprim17ROCPRIM_400000_NS6detail17trampoline_kernelINS0_14default_configENS1_25partition_config_selectorILNS1_17partition_subalgoE5EsNS0_10empty_typeEbEEZZNS1_14partition_implILS5_5ELb0ES3_mN6thrust23THRUST_200600_302600_NS6detail15normal_iteratorINSA_10device_ptrIsEEEEPS6_NSA_18transform_iteratorINSB_9not_fun_tI7is_trueIsEEENSC_INSD_IbEEEENSA_11use_defaultESO_EENS0_5tupleIJNSA_16discard_iteratorISO_EES6_EEENSQ_IJSG_SG_EEES6_PlJS6_EEE10hipError_tPvRmT3_T4_T5_T6_T7_T9_mT8_P12ihipStream_tbDpT10_ENKUlT_T0_E_clISt17integral_constantIbLb1EES1E_IbLb0EEEEDaS1A_S1B_EUlS1A_E_NS1_11comp_targetILNS1_3genE4ELNS1_11target_archE910ELNS1_3gpuE8ELNS1_3repE0EEENS1_30default_config_static_selectorELNS0_4arch9wavefront6targetE0EEEvT1_.has_indirect_call, 0
	.section	.AMDGPU.csdata,"",@progbits
; Kernel info:
; codeLenInByte = 0
; TotalNumSgprs: 0
; NumVgprs: 0
; ScratchSize: 0
; MemoryBound: 0
; FloatMode: 240
; IeeeMode: 1
; LDSByteSize: 0 bytes/workgroup (compile time only)
; SGPRBlocks: 0
; VGPRBlocks: 0
; NumSGPRsForWavesPerEU: 1
; NumVGPRsForWavesPerEU: 1
; Occupancy: 16
; WaveLimiterHint : 0
; COMPUTE_PGM_RSRC2:SCRATCH_EN: 0
; COMPUTE_PGM_RSRC2:USER_SGPR: 2
; COMPUTE_PGM_RSRC2:TRAP_HANDLER: 0
; COMPUTE_PGM_RSRC2:TGID_X_EN: 1
; COMPUTE_PGM_RSRC2:TGID_Y_EN: 0
; COMPUTE_PGM_RSRC2:TGID_Z_EN: 0
; COMPUTE_PGM_RSRC2:TIDIG_COMP_CNT: 0
	.section	.text._ZN7rocprim17ROCPRIM_400000_NS6detail17trampoline_kernelINS0_14default_configENS1_25partition_config_selectorILNS1_17partition_subalgoE5EsNS0_10empty_typeEbEEZZNS1_14partition_implILS5_5ELb0ES3_mN6thrust23THRUST_200600_302600_NS6detail15normal_iteratorINSA_10device_ptrIsEEEEPS6_NSA_18transform_iteratorINSB_9not_fun_tI7is_trueIsEEENSC_INSD_IbEEEENSA_11use_defaultESO_EENS0_5tupleIJNSA_16discard_iteratorISO_EES6_EEENSQ_IJSG_SG_EEES6_PlJS6_EEE10hipError_tPvRmT3_T4_T5_T6_T7_T9_mT8_P12ihipStream_tbDpT10_ENKUlT_T0_E_clISt17integral_constantIbLb1EES1E_IbLb0EEEEDaS1A_S1B_EUlS1A_E_NS1_11comp_targetILNS1_3genE3ELNS1_11target_archE908ELNS1_3gpuE7ELNS1_3repE0EEENS1_30default_config_static_selectorELNS0_4arch9wavefront6targetE0EEEvT1_,"axG",@progbits,_ZN7rocprim17ROCPRIM_400000_NS6detail17trampoline_kernelINS0_14default_configENS1_25partition_config_selectorILNS1_17partition_subalgoE5EsNS0_10empty_typeEbEEZZNS1_14partition_implILS5_5ELb0ES3_mN6thrust23THRUST_200600_302600_NS6detail15normal_iteratorINSA_10device_ptrIsEEEEPS6_NSA_18transform_iteratorINSB_9not_fun_tI7is_trueIsEEENSC_INSD_IbEEEENSA_11use_defaultESO_EENS0_5tupleIJNSA_16discard_iteratorISO_EES6_EEENSQ_IJSG_SG_EEES6_PlJS6_EEE10hipError_tPvRmT3_T4_T5_T6_T7_T9_mT8_P12ihipStream_tbDpT10_ENKUlT_T0_E_clISt17integral_constantIbLb1EES1E_IbLb0EEEEDaS1A_S1B_EUlS1A_E_NS1_11comp_targetILNS1_3genE3ELNS1_11target_archE908ELNS1_3gpuE7ELNS1_3repE0EEENS1_30default_config_static_selectorELNS0_4arch9wavefront6targetE0EEEvT1_,comdat
	.protected	_ZN7rocprim17ROCPRIM_400000_NS6detail17trampoline_kernelINS0_14default_configENS1_25partition_config_selectorILNS1_17partition_subalgoE5EsNS0_10empty_typeEbEEZZNS1_14partition_implILS5_5ELb0ES3_mN6thrust23THRUST_200600_302600_NS6detail15normal_iteratorINSA_10device_ptrIsEEEEPS6_NSA_18transform_iteratorINSB_9not_fun_tI7is_trueIsEEENSC_INSD_IbEEEENSA_11use_defaultESO_EENS0_5tupleIJNSA_16discard_iteratorISO_EES6_EEENSQ_IJSG_SG_EEES6_PlJS6_EEE10hipError_tPvRmT3_T4_T5_T6_T7_T9_mT8_P12ihipStream_tbDpT10_ENKUlT_T0_E_clISt17integral_constantIbLb1EES1E_IbLb0EEEEDaS1A_S1B_EUlS1A_E_NS1_11comp_targetILNS1_3genE3ELNS1_11target_archE908ELNS1_3gpuE7ELNS1_3repE0EEENS1_30default_config_static_selectorELNS0_4arch9wavefront6targetE0EEEvT1_ ; -- Begin function _ZN7rocprim17ROCPRIM_400000_NS6detail17trampoline_kernelINS0_14default_configENS1_25partition_config_selectorILNS1_17partition_subalgoE5EsNS0_10empty_typeEbEEZZNS1_14partition_implILS5_5ELb0ES3_mN6thrust23THRUST_200600_302600_NS6detail15normal_iteratorINSA_10device_ptrIsEEEEPS6_NSA_18transform_iteratorINSB_9not_fun_tI7is_trueIsEEENSC_INSD_IbEEEENSA_11use_defaultESO_EENS0_5tupleIJNSA_16discard_iteratorISO_EES6_EEENSQ_IJSG_SG_EEES6_PlJS6_EEE10hipError_tPvRmT3_T4_T5_T6_T7_T9_mT8_P12ihipStream_tbDpT10_ENKUlT_T0_E_clISt17integral_constantIbLb1EES1E_IbLb0EEEEDaS1A_S1B_EUlS1A_E_NS1_11comp_targetILNS1_3genE3ELNS1_11target_archE908ELNS1_3gpuE7ELNS1_3repE0EEENS1_30default_config_static_selectorELNS0_4arch9wavefront6targetE0EEEvT1_
	.globl	_ZN7rocprim17ROCPRIM_400000_NS6detail17trampoline_kernelINS0_14default_configENS1_25partition_config_selectorILNS1_17partition_subalgoE5EsNS0_10empty_typeEbEEZZNS1_14partition_implILS5_5ELb0ES3_mN6thrust23THRUST_200600_302600_NS6detail15normal_iteratorINSA_10device_ptrIsEEEEPS6_NSA_18transform_iteratorINSB_9not_fun_tI7is_trueIsEEENSC_INSD_IbEEEENSA_11use_defaultESO_EENS0_5tupleIJNSA_16discard_iteratorISO_EES6_EEENSQ_IJSG_SG_EEES6_PlJS6_EEE10hipError_tPvRmT3_T4_T5_T6_T7_T9_mT8_P12ihipStream_tbDpT10_ENKUlT_T0_E_clISt17integral_constantIbLb1EES1E_IbLb0EEEEDaS1A_S1B_EUlS1A_E_NS1_11comp_targetILNS1_3genE3ELNS1_11target_archE908ELNS1_3gpuE7ELNS1_3repE0EEENS1_30default_config_static_selectorELNS0_4arch9wavefront6targetE0EEEvT1_
	.p2align	8
	.type	_ZN7rocprim17ROCPRIM_400000_NS6detail17trampoline_kernelINS0_14default_configENS1_25partition_config_selectorILNS1_17partition_subalgoE5EsNS0_10empty_typeEbEEZZNS1_14partition_implILS5_5ELb0ES3_mN6thrust23THRUST_200600_302600_NS6detail15normal_iteratorINSA_10device_ptrIsEEEEPS6_NSA_18transform_iteratorINSB_9not_fun_tI7is_trueIsEEENSC_INSD_IbEEEENSA_11use_defaultESO_EENS0_5tupleIJNSA_16discard_iteratorISO_EES6_EEENSQ_IJSG_SG_EEES6_PlJS6_EEE10hipError_tPvRmT3_T4_T5_T6_T7_T9_mT8_P12ihipStream_tbDpT10_ENKUlT_T0_E_clISt17integral_constantIbLb1EES1E_IbLb0EEEEDaS1A_S1B_EUlS1A_E_NS1_11comp_targetILNS1_3genE3ELNS1_11target_archE908ELNS1_3gpuE7ELNS1_3repE0EEENS1_30default_config_static_selectorELNS0_4arch9wavefront6targetE0EEEvT1_,@function
_ZN7rocprim17ROCPRIM_400000_NS6detail17trampoline_kernelINS0_14default_configENS1_25partition_config_selectorILNS1_17partition_subalgoE5EsNS0_10empty_typeEbEEZZNS1_14partition_implILS5_5ELb0ES3_mN6thrust23THRUST_200600_302600_NS6detail15normal_iteratorINSA_10device_ptrIsEEEEPS6_NSA_18transform_iteratorINSB_9not_fun_tI7is_trueIsEEENSC_INSD_IbEEEENSA_11use_defaultESO_EENS0_5tupleIJNSA_16discard_iteratorISO_EES6_EEENSQ_IJSG_SG_EEES6_PlJS6_EEE10hipError_tPvRmT3_T4_T5_T6_T7_T9_mT8_P12ihipStream_tbDpT10_ENKUlT_T0_E_clISt17integral_constantIbLb1EES1E_IbLb0EEEEDaS1A_S1B_EUlS1A_E_NS1_11comp_targetILNS1_3genE3ELNS1_11target_archE908ELNS1_3gpuE7ELNS1_3repE0EEENS1_30default_config_static_selectorELNS0_4arch9wavefront6targetE0EEEvT1_: ; @_ZN7rocprim17ROCPRIM_400000_NS6detail17trampoline_kernelINS0_14default_configENS1_25partition_config_selectorILNS1_17partition_subalgoE5EsNS0_10empty_typeEbEEZZNS1_14partition_implILS5_5ELb0ES3_mN6thrust23THRUST_200600_302600_NS6detail15normal_iteratorINSA_10device_ptrIsEEEEPS6_NSA_18transform_iteratorINSB_9not_fun_tI7is_trueIsEEENSC_INSD_IbEEEENSA_11use_defaultESO_EENS0_5tupleIJNSA_16discard_iteratorISO_EES6_EEENSQ_IJSG_SG_EEES6_PlJS6_EEE10hipError_tPvRmT3_T4_T5_T6_T7_T9_mT8_P12ihipStream_tbDpT10_ENKUlT_T0_E_clISt17integral_constantIbLb1EES1E_IbLb0EEEEDaS1A_S1B_EUlS1A_E_NS1_11comp_targetILNS1_3genE3ELNS1_11target_archE908ELNS1_3gpuE7ELNS1_3repE0EEENS1_30default_config_static_selectorELNS0_4arch9wavefront6targetE0EEEvT1_
; %bb.0:
	.section	.rodata,"a",@progbits
	.p2align	6, 0x0
	.amdhsa_kernel _ZN7rocprim17ROCPRIM_400000_NS6detail17trampoline_kernelINS0_14default_configENS1_25partition_config_selectorILNS1_17partition_subalgoE5EsNS0_10empty_typeEbEEZZNS1_14partition_implILS5_5ELb0ES3_mN6thrust23THRUST_200600_302600_NS6detail15normal_iteratorINSA_10device_ptrIsEEEEPS6_NSA_18transform_iteratorINSB_9not_fun_tI7is_trueIsEEENSC_INSD_IbEEEENSA_11use_defaultESO_EENS0_5tupleIJNSA_16discard_iteratorISO_EES6_EEENSQ_IJSG_SG_EEES6_PlJS6_EEE10hipError_tPvRmT3_T4_T5_T6_T7_T9_mT8_P12ihipStream_tbDpT10_ENKUlT_T0_E_clISt17integral_constantIbLb1EES1E_IbLb0EEEEDaS1A_S1B_EUlS1A_E_NS1_11comp_targetILNS1_3genE3ELNS1_11target_archE908ELNS1_3gpuE7ELNS1_3repE0EEENS1_30default_config_static_selectorELNS0_4arch9wavefront6targetE0EEEvT1_
		.amdhsa_group_segment_fixed_size 0
		.amdhsa_private_segment_fixed_size 0
		.amdhsa_kernarg_size 128
		.amdhsa_user_sgpr_count 2
		.amdhsa_user_sgpr_dispatch_ptr 0
		.amdhsa_user_sgpr_queue_ptr 0
		.amdhsa_user_sgpr_kernarg_segment_ptr 1
		.amdhsa_user_sgpr_dispatch_id 0
		.amdhsa_user_sgpr_private_segment_size 0
		.amdhsa_wavefront_size32 1
		.amdhsa_uses_dynamic_stack 0
		.amdhsa_enable_private_segment 0
		.amdhsa_system_sgpr_workgroup_id_x 1
		.amdhsa_system_sgpr_workgroup_id_y 0
		.amdhsa_system_sgpr_workgroup_id_z 0
		.amdhsa_system_sgpr_workgroup_info 0
		.amdhsa_system_vgpr_workitem_id 0
		.amdhsa_next_free_vgpr 1
		.amdhsa_next_free_sgpr 1
		.amdhsa_reserve_vcc 0
		.amdhsa_float_round_mode_32 0
		.amdhsa_float_round_mode_16_64 0
		.amdhsa_float_denorm_mode_32 3
		.amdhsa_float_denorm_mode_16_64 3
		.amdhsa_fp16_overflow 0
		.amdhsa_workgroup_processor_mode 1
		.amdhsa_memory_ordered 1
		.amdhsa_forward_progress 1
		.amdhsa_inst_pref_size 0
		.amdhsa_round_robin_scheduling 0
		.amdhsa_exception_fp_ieee_invalid_op 0
		.amdhsa_exception_fp_denorm_src 0
		.amdhsa_exception_fp_ieee_div_zero 0
		.amdhsa_exception_fp_ieee_overflow 0
		.amdhsa_exception_fp_ieee_underflow 0
		.amdhsa_exception_fp_ieee_inexact 0
		.amdhsa_exception_int_div_zero 0
	.end_amdhsa_kernel
	.section	.text._ZN7rocprim17ROCPRIM_400000_NS6detail17trampoline_kernelINS0_14default_configENS1_25partition_config_selectorILNS1_17partition_subalgoE5EsNS0_10empty_typeEbEEZZNS1_14partition_implILS5_5ELb0ES3_mN6thrust23THRUST_200600_302600_NS6detail15normal_iteratorINSA_10device_ptrIsEEEEPS6_NSA_18transform_iteratorINSB_9not_fun_tI7is_trueIsEEENSC_INSD_IbEEEENSA_11use_defaultESO_EENS0_5tupleIJNSA_16discard_iteratorISO_EES6_EEENSQ_IJSG_SG_EEES6_PlJS6_EEE10hipError_tPvRmT3_T4_T5_T6_T7_T9_mT8_P12ihipStream_tbDpT10_ENKUlT_T0_E_clISt17integral_constantIbLb1EES1E_IbLb0EEEEDaS1A_S1B_EUlS1A_E_NS1_11comp_targetILNS1_3genE3ELNS1_11target_archE908ELNS1_3gpuE7ELNS1_3repE0EEENS1_30default_config_static_selectorELNS0_4arch9wavefront6targetE0EEEvT1_,"axG",@progbits,_ZN7rocprim17ROCPRIM_400000_NS6detail17trampoline_kernelINS0_14default_configENS1_25partition_config_selectorILNS1_17partition_subalgoE5EsNS0_10empty_typeEbEEZZNS1_14partition_implILS5_5ELb0ES3_mN6thrust23THRUST_200600_302600_NS6detail15normal_iteratorINSA_10device_ptrIsEEEEPS6_NSA_18transform_iteratorINSB_9not_fun_tI7is_trueIsEEENSC_INSD_IbEEEENSA_11use_defaultESO_EENS0_5tupleIJNSA_16discard_iteratorISO_EES6_EEENSQ_IJSG_SG_EEES6_PlJS6_EEE10hipError_tPvRmT3_T4_T5_T6_T7_T9_mT8_P12ihipStream_tbDpT10_ENKUlT_T0_E_clISt17integral_constantIbLb1EES1E_IbLb0EEEEDaS1A_S1B_EUlS1A_E_NS1_11comp_targetILNS1_3genE3ELNS1_11target_archE908ELNS1_3gpuE7ELNS1_3repE0EEENS1_30default_config_static_selectorELNS0_4arch9wavefront6targetE0EEEvT1_,comdat
.Lfunc_end2832:
	.size	_ZN7rocprim17ROCPRIM_400000_NS6detail17trampoline_kernelINS0_14default_configENS1_25partition_config_selectorILNS1_17partition_subalgoE5EsNS0_10empty_typeEbEEZZNS1_14partition_implILS5_5ELb0ES3_mN6thrust23THRUST_200600_302600_NS6detail15normal_iteratorINSA_10device_ptrIsEEEEPS6_NSA_18transform_iteratorINSB_9not_fun_tI7is_trueIsEEENSC_INSD_IbEEEENSA_11use_defaultESO_EENS0_5tupleIJNSA_16discard_iteratorISO_EES6_EEENSQ_IJSG_SG_EEES6_PlJS6_EEE10hipError_tPvRmT3_T4_T5_T6_T7_T9_mT8_P12ihipStream_tbDpT10_ENKUlT_T0_E_clISt17integral_constantIbLb1EES1E_IbLb0EEEEDaS1A_S1B_EUlS1A_E_NS1_11comp_targetILNS1_3genE3ELNS1_11target_archE908ELNS1_3gpuE7ELNS1_3repE0EEENS1_30default_config_static_selectorELNS0_4arch9wavefront6targetE0EEEvT1_, .Lfunc_end2832-_ZN7rocprim17ROCPRIM_400000_NS6detail17trampoline_kernelINS0_14default_configENS1_25partition_config_selectorILNS1_17partition_subalgoE5EsNS0_10empty_typeEbEEZZNS1_14partition_implILS5_5ELb0ES3_mN6thrust23THRUST_200600_302600_NS6detail15normal_iteratorINSA_10device_ptrIsEEEEPS6_NSA_18transform_iteratorINSB_9not_fun_tI7is_trueIsEEENSC_INSD_IbEEEENSA_11use_defaultESO_EENS0_5tupleIJNSA_16discard_iteratorISO_EES6_EEENSQ_IJSG_SG_EEES6_PlJS6_EEE10hipError_tPvRmT3_T4_T5_T6_T7_T9_mT8_P12ihipStream_tbDpT10_ENKUlT_T0_E_clISt17integral_constantIbLb1EES1E_IbLb0EEEEDaS1A_S1B_EUlS1A_E_NS1_11comp_targetILNS1_3genE3ELNS1_11target_archE908ELNS1_3gpuE7ELNS1_3repE0EEENS1_30default_config_static_selectorELNS0_4arch9wavefront6targetE0EEEvT1_
                                        ; -- End function
	.set _ZN7rocprim17ROCPRIM_400000_NS6detail17trampoline_kernelINS0_14default_configENS1_25partition_config_selectorILNS1_17partition_subalgoE5EsNS0_10empty_typeEbEEZZNS1_14partition_implILS5_5ELb0ES3_mN6thrust23THRUST_200600_302600_NS6detail15normal_iteratorINSA_10device_ptrIsEEEEPS6_NSA_18transform_iteratorINSB_9not_fun_tI7is_trueIsEEENSC_INSD_IbEEEENSA_11use_defaultESO_EENS0_5tupleIJNSA_16discard_iteratorISO_EES6_EEENSQ_IJSG_SG_EEES6_PlJS6_EEE10hipError_tPvRmT3_T4_T5_T6_T7_T9_mT8_P12ihipStream_tbDpT10_ENKUlT_T0_E_clISt17integral_constantIbLb1EES1E_IbLb0EEEEDaS1A_S1B_EUlS1A_E_NS1_11comp_targetILNS1_3genE3ELNS1_11target_archE908ELNS1_3gpuE7ELNS1_3repE0EEENS1_30default_config_static_selectorELNS0_4arch9wavefront6targetE0EEEvT1_.num_vgpr, 0
	.set _ZN7rocprim17ROCPRIM_400000_NS6detail17trampoline_kernelINS0_14default_configENS1_25partition_config_selectorILNS1_17partition_subalgoE5EsNS0_10empty_typeEbEEZZNS1_14partition_implILS5_5ELb0ES3_mN6thrust23THRUST_200600_302600_NS6detail15normal_iteratorINSA_10device_ptrIsEEEEPS6_NSA_18transform_iteratorINSB_9not_fun_tI7is_trueIsEEENSC_INSD_IbEEEENSA_11use_defaultESO_EENS0_5tupleIJNSA_16discard_iteratorISO_EES6_EEENSQ_IJSG_SG_EEES6_PlJS6_EEE10hipError_tPvRmT3_T4_T5_T6_T7_T9_mT8_P12ihipStream_tbDpT10_ENKUlT_T0_E_clISt17integral_constantIbLb1EES1E_IbLb0EEEEDaS1A_S1B_EUlS1A_E_NS1_11comp_targetILNS1_3genE3ELNS1_11target_archE908ELNS1_3gpuE7ELNS1_3repE0EEENS1_30default_config_static_selectorELNS0_4arch9wavefront6targetE0EEEvT1_.num_agpr, 0
	.set _ZN7rocprim17ROCPRIM_400000_NS6detail17trampoline_kernelINS0_14default_configENS1_25partition_config_selectorILNS1_17partition_subalgoE5EsNS0_10empty_typeEbEEZZNS1_14partition_implILS5_5ELb0ES3_mN6thrust23THRUST_200600_302600_NS6detail15normal_iteratorINSA_10device_ptrIsEEEEPS6_NSA_18transform_iteratorINSB_9not_fun_tI7is_trueIsEEENSC_INSD_IbEEEENSA_11use_defaultESO_EENS0_5tupleIJNSA_16discard_iteratorISO_EES6_EEENSQ_IJSG_SG_EEES6_PlJS6_EEE10hipError_tPvRmT3_T4_T5_T6_T7_T9_mT8_P12ihipStream_tbDpT10_ENKUlT_T0_E_clISt17integral_constantIbLb1EES1E_IbLb0EEEEDaS1A_S1B_EUlS1A_E_NS1_11comp_targetILNS1_3genE3ELNS1_11target_archE908ELNS1_3gpuE7ELNS1_3repE0EEENS1_30default_config_static_selectorELNS0_4arch9wavefront6targetE0EEEvT1_.numbered_sgpr, 0
	.set _ZN7rocprim17ROCPRIM_400000_NS6detail17trampoline_kernelINS0_14default_configENS1_25partition_config_selectorILNS1_17partition_subalgoE5EsNS0_10empty_typeEbEEZZNS1_14partition_implILS5_5ELb0ES3_mN6thrust23THRUST_200600_302600_NS6detail15normal_iteratorINSA_10device_ptrIsEEEEPS6_NSA_18transform_iteratorINSB_9not_fun_tI7is_trueIsEEENSC_INSD_IbEEEENSA_11use_defaultESO_EENS0_5tupleIJNSA_16discard_iteratorISO_EES6_EEENSQ_IJSG_SG_EEES6_PlJS6_EEE10hipError_tPvRmT3_T4_T5_T6_T7_T9_mT8_P12ihipStream_tbDpT10_ENKUlT_T0_E_clISt17integral_constantIbLb1EES1E_IbLb0EEEEDaS1A_S1B_EUlS1A_E_NS1_11comp_targetILNS1_3genE3ELNS1_11target_archE908ELNS1_3gpuE7ELNS1_3repE0EEENS1_30default_config_static_selectorELNS0_4arch9wavefront6targetE0EEEvT1_.num_named_barrier, 0
	.set _ZN7rocprim17ROCPRIM_400000_NS6detail17trampoline_kernelINS0_14default_configENS1_25partition_config_selectorILNS1_17partition_subalgoE5EsNS0_10empty_typeEbEEZZNS1_14partition_implILS5_5ELb0ES3_mN6thrust23THRUST_200600_302600_NS6detail15normal_iteratorINSA_10device_ptrIsEEEEPS6_NSA_18transform_iteratorINSB_9not_fun_tI7is_trueIsEEENSC_INSD_IbEEEENSA_11use_defaultESO_EENS0_5tupleIJNSA_16discard_iteratorISO_EES6_EEENSQ_IJSG_SG_EEES6_PlJS6_EEE10hipError_tPvRmT3_T4_T5_T6_T7_T9_mT8_P12ihipStream_tbDpT10_ENKUlT_T0_E_clISt17integral_constantIbLb1EES1E_IbLb0EEEEDaS1A_S1B_EUlS1A_E_NS1_11comp_targetILNS1_3genE3ELNS1_11target_archE908ELNS1_3gpuE7ELNS1_3repE0EEENS1_30default_config_static_selectorELNS0_4arch9wavefront6targetE0EEEvT1_.private_seg_size, 0
	.set _ZN7rocprim17ROCPRIM_400000_NS6detail17trampoline_kernelINS0_14default_configENS1_25partition_config_selectorILNS1_17partition_subalgoE5EsNS0_10empty_typeEbEEZZNS1_14partition_implILS5_5ELb0ES3_mN6thrust23THRUST_200600_302600_NS6detail15normal_iteratorINSA_10device_ptrIsEEEEPS6_NSA_18transform_iteratorINSB_9not_fun_tI7is_trueIsEEENSC_INSD_IbEEEENSA_11use_defaultESO_EENS0_5tupleIJNSA_16discard_iteratorISO_EES6_EEENSQ_IJSG_SG_EEES6_PlJS6_EEE10hipError_tPvRmT3_T4_T5_T6_T7_T9_mT8_P12ihipStream_tbDpT10_ENKUlT_T0_E_clISt17integral_constantIbLb1EES1E_IbLb0EEEEDaS1A_S1B_EUlS1A_E_NS1_11comp_targetILNS1_3genE3ELNS1_11target_archE908ELNS1_3gpuE7ELNS1_3repE0EEENS1_30default_config_static_selectorELNS0_4arch9wavefront6targetE0EEEvT1_.uses_vcc, 0
	.set _ZN7rocprim17ROCPRIM_400000_NS6detail17trampoline_kernelINS0_14default_configENS1_25partition_config_selectorILNS1_17partition_subalgoE5EsNS0_10empty_typeEbEEZZNS1_14partition_implILS5_5ELb0ES3_mN6thrust23THRUST_200600_302600_NS6detail15normal_iteratorINSA_10device_ptrIsEEEEPS6_NSA_18transform_iteratorINSB_9not_fun_tI7is_trueIsEEENSC_INSD_IbEEEENSA_11use_defaultESO_EENS0_5tupleIJNSA_16discard_iteratorISO_EES6_EEENSQ_IJSG_SG_EEES6_PlJS6_EEE10hipError_tPvRmT3_T4_T5_T6_T7_T9_mT8_P12ihipStream_tbDpT10_ENKUlT_T0_E_clISt17integral_constantIbLb1EES1E_IbLb0EEEEDaS1A_S1B_EUlS1A_E_NS1_11comp_targetILNS1_3genE3ELNS1_11target_archE908ELNS1_3gpuE7ELNS1_3repE0EEENS1_30default_config_static_selectorELNS0_4arch9wavefront6targetE0EEEvT1_.uses_flat_scratch, 0
	.set _ZN7rocprim17ROCPRIM_400000_NS6detail17trampoline_kernelINS0_14default_configENS1_25partition_config_selectorILNS1_17partition_subalgoE5EsNS0_10empty_typeEbEEZZNS1_14partition_implILS5_5ELb0ES3_mN6thrust23THRUST_200600_302600_NS6detail15normal_iteratorINSA_10device_ptrIsEEEEPS6_NSA_18transform_iteratorINSB_9not_fun_tI7is_trueIsEEENSC_INSD_IbEEEENSA_11use_defaultESO_EENS0_5tupleIJNSA_16discard_iteratorISO_EES6_EEENSQ_IJSG_SG_EEES6_PlJS6_EEE10hipError_tPvRmT3_T4_T5_T6_T7_T9_mT8_P12ihipStream_tbDpT10_ENKUlT_T0_E_clISt17integral_constantIbLb1EES1E_IbLb0EEEEDaS1A_S1B_EUlS1A_E_NS1_11comp_targetILNS1_3genE3ELNS1_11target_archE908ELNS1_3gpuE7ELNS1_3repE0EEENS1_30default_config_static_selectorELNS0_4arch9wavefront6targetE0EEEvT1_.has_dyn_sized_stack, 0
	.set _ZN7rocprim17ROCPRIM_400000_NS6detail17trampoline_kernelINS0_14default_configENS1_25partition_config_selectorILNS1_17partition_subalgoE5EsNS0_10empty_typeEbEEZZNS1_14partition_implILS5_5ELb0ES3_mN6thrust23THRUST_200600_302600_NS6detail15normal_iteratorINSA_10device_ptrIsEEEEPS6_NSA_18transform_iteratorINSB_9not_fun_tI7is_trueIsEEENSC_INSD_IbEEEENSA_11use_defaultESO_EENS0_5tupleIJNSA_16discard_iteratorISO_EES6_EEENSQ_IJSG_SG_EEES6_PlJS6_EEE10hipError_tPvRmT3_T4_T5_T6_T7_T9_mT8_P12ihipStream_tbDpT10_ENKUlT_T0_E_clISt17integral_constantIbLb1EES1E_IbLb0EEEEDaS1A_S1B_EUlS1A_E_NS1_11comp_targetILNS1_3genE3ELNS1_11target_archE908ELNS1_3gpuE7ELNS1_3repE0EEENS1_30default_config_static_selectorELNS0_4arch9wavefront6targetE0EEEvT1_.has_recursion, 0
	.set _ZN7rocprim17ROCPRIM_400000_NS6detail17trampoline_kernelINS0_14default_configENS1_25partition_config_selectorILNS1_17partition_subalgoE5EsNS0_10empty_typeEbEEZZNS1_14partition_implILS5_5ELb0ES3_mN6thrust23THRUST_200600_302600_NS6detail15normal_iteratorINSA_10device_ptrIsEEEEPS6_NSA_18transform_iteratorINSB_9not_fun_tI7is_trueIsEEENSC_INSD_IbEEEENSA_11use_defaultESO_EENS0_5tupleIJNSA_16discard_iteratorISO_EES6_EEENSQ_IJSG_SG_EEES6_PlJS6_EEE10hipError_tPvRmT3_T4_T5_T6_T7_T9_mT8_P12ihipStream_tbDpT10_ENKUlT_T0_E_clISt17integral_constantIbLb1EES1E_IbLb0EEEEDaS1A_S1B_EUlS1A_E_NS1_11comp_targetILNS1_3genE3ELNS1_11target_archE908ELNS1_3gpuE7ELNS1_3repE0EEENS1_30default_config_static_selectorELNS0_4arch9wavefront6targetE0EEEvT1_.has_indirect_call, 0
	.section	.AMDGPU.csdata,"",@progbits
; Kernel info:
; codeLenInByte = 0
; TotalNumSgprs: 0
; NumVgprs: 0
; ScratchSize: 0
; MemoryBound: 0
; FloatMode: 240
; IeeeMode: 1
; LDSByteSize: 0 bytes/workgroup (compile time only)
; SGPRBlocks: 0
; VGPRBlocks: 0
; NumSGPRsForWavesPerEU: 1
; NumVGPRsForWavesPerEU: 1
; Occupancy: 16
; WaveLimiterHint : 0
; COMPUTE_PGM_RSRC2:SCRATCH_EN: 0
; COMPUTE_PGM_RSRC2:USER_SGPR: 2
; COMPUTE_PGM_RSRC2:TRAP_HANDLER: 0
; COMPUTE_PGM_RSRC2:TGID_X_EN: 1
; COMPUTE_PGM_RSRC2:TGID_Y_EN: 0
; COMPUTE_PGM_RSRC2:TGID_Z_EN: 0
; COMPUTE_PGM_RSRC2:TIDIG_COMP_CNT: 0
	.section	.text._ZN7rocprim17ROCPRIM_400000_NS6detail17trampoline_kernelINS0_14default_configENS1_25partition_config_selectorILNS1_17partition_subalgoE5EsNS0_10empty_typeEbEEZZNS1_14partition_implILS5_5ELb0ES3_mN6thrust23THRUST_200600_302600_NS6detail15normal_iteratorINSA_10device_ptrIsEEEEPS6_NSA_18transform_iteratorINSB_9not_fun_tI7is_trueIsEEENSC_INSD_IbEEEENSA_11use_defaultESO_EENS0_5tupleIJNSA_16discard_iteratorISO_EES6_EEENSQ_IJSG_SG_EEES6_PlJS6_EEE10hipError_tPvRmT3_T4_T5_T6_T7_T9_mT8_P12ihipStream_tbDpT10_ENKUlT_T0_E_clISt17integral_constantIbLb1EES1E_IbLb0EEEEDaS1A_S1B_EUlS1A_E_NS1_11comp_targetILNS1_3genE2ELNS1_11target_archE906ELNS1_3gpuE6ELNS1_3repE0EEENS1_30default_config_static_selectorELNS0_4arch9wavefront6targetE0EEEvT1_,"axG",@progbits,_ZN7rocprim17ROCPRIM_400000_NS6detail17trampoline_kernelINS0_14default_configENS1_25partition_config_selectorILNS1_17partition_subalgoE5EsNS0_10empty_typeEbEEZZNS1_14partition_implILS5_5ELb0ES3_mN6thrust23THRUST_200600_302600_NS6detail15normal_iteratorINSA_10device_ptrIsEEEEPS6_NSA_18transform_iteratorINSB_9not_fun_tI7is_trueIsEEENSC_INSD_IbEEEENSA_11use_defaultESO_EENS0_5tupleIJNSA_16discard_iteratorISO_EES6_EEENSQ_IJSG_SG_EEES6_PlJS6_EEE10hipError_tPvRmT3_T4_T5_T6_T7_T9_mT8_P12ihipStream_tbDpT10_ENKUlT_T0_E_clISt17integral_constantIbLb1EES1E_IbLb0EEEEDaS1A_S1B_EUlS1A_E_NS1_11comp_targetILNS1_3genE2ELNS1_11target_archE906ELNS1_3gpuE6ELNS1_3repE0EEENS1_30default_config_static_selectorELNS0_4arch9wavefront6targetE0EEEvT1_,comdat
	.protected	_ZN7rocprim17ROCPRIM_400000_NS6detail17trampoline_kernelINS0_14default_configENS1_25partition_config_selectorILNS1_17partition_subalgoE5EsNS0_10empty_typeEbEEZZNS1_14partition_implILS5_5ELb0ES3_mN6thrust23THRUST_200600_302600_NS6detail15normal_iteratorINSA_10device_ptrIsEEEEPS6_NSA_18transform_iteratorINSB_9not_fun_tI7is_trueIsEEENSC_INSD_IbEEEENSA_11use_defaultESO_EENS0_5tupleIJNSA_16discard_iteratorISO_EES6_EEENSQ_IJSG_SG_EEES6_PlJS6_EEE10hipError_tPvRmT3_T4_T5_T6_T7_T9_mT8_P12ihipStream_tbDpT10_ENKUlT_T0_E_clISt17integral_constantIbLb1EES1E_IbLb0EEEEDaS1A_S1B_EUlS1A_E_NS1_11comp_targetILNS1_3genE2ELNS1_11target_archE906ELNS1_3gpuE6ELNS1_3repE0EEENS1_30default_config_static_selectorELNS0_4arch9wavefront6targetE0EEEvT1_ ; -- Begin function _ZN7rocprim17ROCPRIM_400000_NS6detail17trampoline_kernelINS0_14default_configENS1_25partition_config_selectorILNS1_17partition_subalgoE5EsNS0_10empty_typeEbEEZZNS1_14partition_implILS5_5ELb0ES3_mN6thrust23THRUST_200600_302600_NS6detail15normal_iteratorINSA_10device_ptrIsEEEEPS6_NSA_18transform_iteratorINSB_9not_fun_tI7is_trueIsEEENSC_INSD_IbEEEENSA_11use_defaultESO_EENS0_5tupleIJNSA_16discard_iteratorISO_EES6_EEENSQ_IJSG_SG_EEES6_PlJS6_EEE10hipError_tPvRmT3_T4_T5_T6_T7_T9_mT8_P12ihipStream_tbDpT10_ENKUlT_T0_E_clISt17integral_constantIbLb1EES1E_IbLb0EEEEDaS1A_S1B_EUlS1A_E_NS1_11comp_targetILNS1_3genE2ELNS1_11target_archE906ELNS1_3gpuE6ELNS1_3repE0EEENS1_30default_config_static_selectorELNS0_4arch9wavefront6targetE0EEEvT1_
	.globl	_ZN7rocprim17ROCPRIM_400000_NS6detail17trampoline_kernelINS0_14default_configENS1_25partition_config_selectorILNS1_17partition_subalgoE5EsNS0_10empty_typeEbEEZZNS1_14partition_implILS5_5ELb0ES3_mN6thrust23THRUST_200600_302600_NS6detail15normal_iteratorINSA_10device_ptrIsEEEEPS6_NSA_18transform_iteratorINSB_9not_fun_tI7is_trueIsEEENSC_INSD_IbEEEENSA_11use_defaultESO_EENS0_5tupleIJNSA_16discard_iteratorISO_EES6_EEENSQ_IJSG_SG_EEES6_PlJS6_EEE10hipError_tPvRmT3_T4_T5_T6_T7_T9_mT8_P12ihipStream_tbDpT10_ENKUlT_T0_E_clISt17integral_constantIbLb1EES1E_IbLb0EEEEDaS1A_S1B_EUlS1A_E_NS1_11comp_targetILNS1_3genE2ELNS1_11target_archE906ELNS1_3gpuE6ELNS1_3repE0EEENS1_30default_config_static_selectorELNS0_4arch9wavefront6targetE0EEEvT1_
	.p2align	8
	.type	_ZN7rocprim17ROCPRIM_400000_NS6detail17trampoline_kernelINS0_14default_configENS1_25partition_config_selectorILNS1_17partition_subalgoE5EsNS0_10empty_typeEbEEZZNS1_14partition_implILS5_5ELb0ES3_mN6thrust23THRUST_200600_302600_NS6detail15normal_iteratorINSA_10device_ptrIsEEEEPS6_NSA_18transform_iteratorINSB_9not_fun_tI7is_trueIsEEENSC_INSD_IbEEEENSA_11use_defaultESO_EENS0_5tupleIJNSA_16discard_iteratorISO_EES6_EEENSQ_IJSG_SG_EEES6_PlJS6_EEE10hipError_tPvRmT3_T4_T5_T6_T7_T9_mT8_P12ihipStream_tbDpT10_ENKUlT_T0_E_clISt17integral_constantIbLb1EES1E_IbLb0EEEEDaS1A_S1B_EUlS1A_E_NS1_11comp_targetILNS1_3genE2ELNS1_11target_archE906ELNS1_3gpuE6ELNS1_3repE0EEENS1_30default_config_static_selectorELNS0_4arch9wavefront6targetE0EEEvT1_,@function
_ZN7rocprim17ROCPRIM_400000_NS6detail17trampoline_kernelINS0_14default_configENS1_25partition_config_selectorILNS1_17partition_subalgoE5EsNS0_10empty_typeEbEEZZNS1_14partition_implILS5_5ELb0ES3_mN6thrust23THRUST_200600_302600_NS6detail15normal_iteratorINSA_10device_ptrIsEEEEPS6_NSA_18transform_iteratorINSB_9not_fun_tI7is_trueIsEEENSC_INSD_IbEEEENSA_11use_defaultESO_EENS0_5tupleIJNSA_16discard_iteratorISO_EES6_EEENSQ_IJSG_SG_EEES6_PlJS6_EEE10hipError_tPvRmT3_T4_T5_T6_T7_T9_mT8_P12ihipStream_tbDpT10_ENKUlT_T0_E_clISt17integral_constantIbLb1EES1E_IbLb0EEEEDaS1A_S1B_EUlS1A_E_NS1_11comp_targetILNS1_3genE2ELNS1_11target_archE906ELNS1_3gpuE6ELNS1_3repE0EEENS1_30default_config_static_selectorELNS0_4arch9wavefront6targetE0EEEvT1_: ; @_ZN7rocprim17ROCPRIM_400000_NS6detail17trampoline_kernelINS0_14default_configENS1_25partition_config_selectorILNS1_17partition_subalgoE5EsNS0_10empty_typeEbEEZZNS1_14partition_implILS5_5ELb0ES3_mN6thrust23THRUST_200600_302600_NS6detail15normal_iteratorINSA_10device_ptrIsEEEEPS6_NSA_18transform_iteratorINSB_9not_fun_tI7is_trueIsEEENSC_INSD_IbEEEENSA_11use_defaultESO_EENS0_5tupleIJNSA_16discard_iteratorISO_EES6_EEENSQ_IJSG_SG_EEES6_PlJS6_EEE10hipError_tPvRmT3_T4_T5_T6_T7_T9_mT8_P12ihipStream_tbDpT10_ENKUlT_T0_E_clISt17integral_constantIbLb1EES1E_IbLb0EEEEDaS1A_S1B_EUlS1A_E_NS1_11comp_targetILNS1_3genE2ELNS1_11target_archE906ELNS1_3gpuE6ELNS1_3repE0EEENS1_30default_config_static_selectorELNS0_4arch9wavefront6targetE0EEEvT1_
; %bb.0:
	.section	.rodata,"a",@progbits
	.p2align	6, 0x0
	.amdhsa_kernel _ZN7rocprim17ROCPRIM_400000_NS6detail17trampoline_kernelINS0_14default_configENS1_25partition_config_selectorILNS1_17partition_subalgoE5EsNS0_10empty_typeEbEEZZNS1_14partition_implILS5_5ELb0ES3_mN6thrust23THRUST_200600_302600_NS6detail15normal_iteratorINSA_10device_ptrIsEEEEPS6_NSA_18transform_iteratorINSB_9not_fun_tI7is_trueIsEEENSC_INSD_IbEEEENSA_11use_defaultESO_EENS0_5tupleIJNSA_16discard_iteratorISO_EES6_EEENSQ_IJSG_SG_EEES6_PlJS6_EEE10hipError_tPvRmT3_T4_T5_T6_T7_T9_mT8_P12ihipStream_tbDpT10_ENKUlT_T0_E_clISt17integral_constantIbLb1EES1E_IbLb0EEEEDaS1A_S1B_EUlS1A_E_NS1_11comp_targetILNS1_3genE2ELNS1_11target_archE906ELNS1_3gpuE6ELNS1_3repE0EEENS1_30default_config_static_selectorELNS0_4arch9wavefront6targetE0EEEvT1_
		.amdhsa_group_segment_fixed_size 0
		.amdhsa_private_segment_fixed_size 0
		.amdhsa_kernarg_size 128
		.amdhsa_user_sgpr_count 2
		.amdhsa_user_sgpr_dispatch_ptr 0
		.amdhsa_user_sgpr_queue_ptr 0
		.amdhsa_user_sgpr_kernarg_segment_ptr 1
		.amdhsa_user_sgpr_dispatch_id 0
		.amdhsa_user_sgpr_private_segment_size 0
		.amdhsa_wavefront_size32 1
		.amdhsa_uses_dynamic_stack 0
		.amdhsa_enable_private_segment 0
		.amdhsa_system_sgpr_workgroup_id_x 1
		.amdhsa_system_sgpr_workgroup_id_y 0
		.amdhsa_system_sgpr_workgroup_id_z 0
		.amdhsa_system_sgpr_workgroup_info 0
		.amdhsa_system_vgpr_workitem_id 0
		.amdhsa_next_free_vgpr 1
		.amdhsa_next_free_sgpr 1
		.amdhsa_reserve_vcc 0
		.amdhsa_float_round_mode_32 0
		.amdhsa_float_round_mode_16_64 0
		.amdhsa_float_denorm_mode_32 3
		.amdhsa_float_denorm_mode_16_64 3
		.amdhsa_fp16_overflow 0
		.amdhsa_workgroup_processor_mode 1
		.amdhsa_memory_ordered 1
		.amdhsa_forward_progress 1
		.amdhsa_inst_pref_size 0
		.amdhsa_round_robin_scheduling 0
		.amdhsa_exception_fp_ieee_invalid_op 0
		.amdhsa_exception_fp_denorm_src 0
		.amdhsa_exception_fp_ieee_div_zero 0
		.amdhsa_exception_fp_ieee_overflow 0
		.amdhsa_exception_fp_ieee_underflow 0
		.amdhsa_exception_fp_ieee_inexact 0
		.amdhsa_exception_int_div_zero 0
	.end_amdhsa_kernel
	.section	.text._ZN7rocprim17ROCPRIM_400000_NS6detail17trampoline_kernelINS0_14default_configENS1_25partition_config_selectorILNS1_17partition_subalgoE5EsNS0_10empty_typeEbEEZZNS1_14partition_implILS5_5ELb0ES3_mN6thrust23THRUST_200600_302600_NS6detail15normal_iteratorINSA_10device_ptrIsEEEEPS6_NSA_18transform_iteratorINSB_9not_fun_tI7is_trueIsEEENSC_INSD_IbEEEENSA_11use_defaultESO_EENS0_5tupleIJNSA_16discard_iteratorISO_EES6_EEENSQ_IJSG_SG_EEES6_PlJS6_EEE10hipError_tPvRmT3_T4_T5_T6_T7_T9_mT8_P12ihipStream_tbDpT10_ENKUlT_T0_E_clISt17integral_constantIbLb1EES1E_IbLb0EEEEDaS1A_S1B_EUlS1A_E_NS1_11comp_targetILNS1_3genE2ELNS1_11target_archE906ELNS1_3gpuE6ELNS1_3repE0EEENS1_30default_config_static_selectorELNS0_4arch9wavefront6targetE0EEEvT1_,"axG",@progbits,_ZN7rocprim17ROCPRIM_400000_NS6detail17trampoline_kernelINS0_14default_configENS1_25partition_config_selectorILNS1_17partition_subalgoE5EsNS0_10empty_typeEbEEZZNS1_14partition_implILS5_5ELb0ES3_mN6thrust23THRUST_200600_302600_NS6detail15normal_iteratorINSA_10device_ptrIsEEEEPS6_NSA_18transform_iteratorINSB_9not_fun_tI7is_trueIsEEENSC_INSD_IbEEEENSA_11use_defaultESO_EENS0_5tupleIJNSA_16discard_iteratorISO_EES6_EEENSQ_IJSG_SG_EEES6_PlJS6_EEE10hipError_tPvRmT3_T4_T5_T6_T7_T9_mT8_P12ihipStream_tbDpT10_ENKUlT_T0_E_clISt17integral_constantIbLb1EES1E_IbLb0EEEEDaS1A_S1B_EUlS1A_E_NS1_11comp_targetILNS1_3genE2ELNS1_11target_archE906ELNS1_3gpuE6ELNS1_3repE0EEENS1_30default_config_static_selectorELNS0_4arch9wavefront6targetE0EEEvT1_,comdat
.Lfunc_end2833:
	.size	_ZN7rocprim17ROCPRIM_400000_NS6detail17trampoline_kernelINS0_14default_configENS1_25partition_config_selectorILNS1_17partition_subalgoE5EsNS0_10empty_typeEbEEZZNS1_14partition_implILS5_5ELb0ES3_mN6thrust23THRUST_200600_302600_NS6detail15normal_iteratorINSA_10device_ptrIsEEEEPS6_NSA_18transform_iteratorINSB_9not_fun_tI7is_trueIsEEENSC_INSD_IbEEEENSA_11use_defaultESO_EENS0_5tupleIJNSA_16discard_iteratorISO_EES6_EEENSQ_IJSG_SG_EEES6_PlJS6_EEE10hipError_tPvRmT3_T4_T5_T6_T7_T9_mT8_P12ihipStream_tbDpT10_ENKUlT_T0_E_clISt17integral_constantIbLb1EES1E_IbLb0EEEEDaS1A_S1B_EUlS1A_E_NS1_11comp_targetILNS1_3genE2ELNS1_11target_archE906ELNS1_3gpuE6ELNS1_3repE0EEENS1_30default_config_static_selectorELNS0_4arch9wavefront6targetE0EEEvT1_, .Lfunc_end2833-_ZN7rocprim17ROCPRIM_400000_NS6detail17trampoline_kernelINS0_14default_configENS1_25partition_config_selectorILNS1_17partition_subalgoE5EsNS0_10empty_typeEbEEZZNS1_14partition_implILS5_5ELb0ES3_mN6thrust23THRUST_200600_302600_NS6detail15normal_iteratorINSA_10device_ptrIsEEEEPS6_NSA_18transform_iteratorINSB_9not_fun_tI7is_trueIsEEENSC_INSD_IbEEEENSA_11use_defaultESO_EENS0_5tupleIJNSA_16discard_iteratorISO_EES6_EEENSQ_IJSG_SG_EEES6_PlJS6_EEE10hipError_tPvRmT3_T4_T5_T6_T7_T9_mT8_P12ihipStream_tbDpT10_ENKUlT_T0_E_clISt17integral_constantIbLb1EES1E_IbLb0EEEEDaS1A_S1B_EUlS1A_E_NS1_11comp_targetILNS1_3genE2ELNS1_11target_archE906ELNS1_3gpuE6ELNS1_3repE0EEENS1_30default_config_static_selectorELNS0_4arch9wavefront6targetE0EEEvT1_
                                        ; -- End function
	.set _ZN7rocprim17ROCPRIM_400000_NS6detail17trampoline_kernelINS0_14default_configENS1_25partition_config_selectorILNS1_17partition_subalgoE5EsNS0_10empty_typeEbEEZZNS1_14partition_implILS5_5ELb0ES3_mN6thrust23THRUST_200600_302600_NS6detail15normal_iteratorINSA_10device_ptrIsEEEEPS6_NSA_18transform_iteratorINSB_9not_fun_tI7is_trueIsEEENSC_INSD_IbEEEENSA_11use_defaultESO_EENS0_5tupleIJNSA_16discard_iteratorISO_EES6_EEENSQ_IJSG_SG_EEES6_PlJS6_EEE10hipError_tPvRmT3_T4_T5_T6_T7_T9_mT8_P12ihipStream_tbDpT10_ENKUlT_T0_E_clISt17integral_constantIbLb1EES1E_IbLb0EEEEDaS1A_S1B_EUlS1A_E_NS1_11comp_targetILNS1_3genE2ELNS1_11target_archE906ELNS1_3gpuE6ELNS1_3repE0EEENS1_30default_config_static_selectorELNS0_4arch9wavefront6targetE0EEEvT1_.num_vgpr, 0
	.set _ZN7rocprim17ROCPRIM_400000_NS6detail17trampoline_kernelINS0_14default_configENS1_25partition_config_selectorILNS1_17partition_subalgoE5EsNS0_10empty_typeEbEEZZNS1_14partition_implILS5_5ELb0ES3_mN6thrust23THRUST_200600_302600_NS6detail15normal_iteratorINSA_10device_ptrIsEEEEPS6_NSA_18transform_iteratorINSB_9not_fun_tI7is_trueIsEEENSC_INSD_IbEEEENSA_11use_defaultESO_EENS0_5tupleIJNSA_16discard_iteratorISO_EES6_EEENSQ_IJSG_SG_EEES6_PlJS6_EEE10hipError_tPvRmT3_T4_T5_T6_T7_T9_mT8_P12ihipStream_tbDpT10_ENKUlT_T0_E_clISt17integral_constantIbLb1EES1E_IbLb0EEEEDaS1A_S1B_EUlS1A_E_NS1_11comp_targetILNS1_3genE2ELNS1_11target_archE906ELNS1_3gpuE6ELNS1_3repE0EEENS1_30default_config_static_selectorELNS0_4arch9wavefront6targetE0EEEvT1_.num_agpr, 0
	.set _ZN7rocprim17ROCPRIM_400000_NS6detail17trampoline_kernelINS0_14default_configENS1_25partition_config_selectorILNS1_17partition_subalgoE5EsNS0_10empty_typeEbEEZZNS1_14partition_implILS5_5ELb0ES3_mN6thrust23THRUST_200600_302600_NS6detail15normal_iteratorINSA_10device_ptrIsEEEEPS6_NSA_18transform_iteratorINSB_9not_fun_tI7is_trueIsEEENSC_INSD_IbEEEENSA_11use_defaultESO_EENS0_5tupleIJNSA_16discard_iteratorISO_EES6_EEENSQ_IJSG_SG_EEES6_PlJS6_EEE10hipError_tPvRmT3_T4_T5_T6_T7_T9_mT8_P12ihipStream_tbDpT10_ENKUlT_T0_E_clISt17integral_constantIbLb1EES1E_IbLb0EEEEDaS1A_S1B_EUlS1A_E_NS1_11comp_targetILNS1_3genE2ELNS1_11target_archE906ELNS1_3gpuE6ELNS1_3repE0EEENS1_30default_config_static_selectorELNS0_4arch9wavefront6targetE0EEEvT1_.numbered_sgpr, 0
	.set _ZN7rocprim17ROCPRIM_400000_NS6detail17trampoline_kernelINS0_14default_configENS1_25partition_config_selectorILNS1_17partition_subalgoE5EsNS0_10empty_typeEbEEZZNS1_14partition_implILS5_5ELb0ES3_mN6thrust23THRUST_200600_302600_NS6detail15normal_iteratorINSA_10device_ptrIsEEEEPS6_NSA_18transform_iteratorINSB_9not_fun_tI7is_trueIsEEENSC_INSD_IbEEEENSA_11use_defaultESO_EENS0_5tupleIJNSA_16discard_iteratorISO_EES6_EEENSQ_IJSG_SG_EEES6_PlJS6_EEE10hipError_tPvRmT3_T4_T5_T6_T7_T9_mT8_P12ihipStream_tbDpT10_ENKUlT_T0_E_clISt17integral_constantIbLb1EES1E_IbLb0EEEEDaS1A_S1B_EUlS1A_E_NS1_11comp_targetILNS1_3genE2ELNS1_11target_archE906ELNS1_3gpuE6ELNS1_3repE0EEENS1_30default_config_static_selectorELNS0_4arch9wavefront6targetE0EEEvT1_.num_named_barrier, 0
	.set _ZN7rocprim17ROCPRIM_400000_NS6detail17trampoline_kernelINS0_14default_configENS1_25partition_config_selectorILNS1_17partition_subalgoE5EsNS0_10empty_typeEbEEZZNS1_14partition_implILS5_5ELb0ES3_mN6thrust23THRUST_200600_302600_NS6detail15normal_iteratorINSA_10device_ptrIsEEEEPS6_NSA_18transform_iteratorINSB_9not_fun_tI7is_trueIsEEENSC_INSD_IbEEEENSA_11use_defaultESO_EENS0_5tupleIJNSA_16discard_iteratorISO_EES6_EEENSQ_IJSG_SG_EEES6_PlJS6_EEE10hipError_tPvRmT3_T4_T5_T6_T7_T9_mT8_P12ihipStream_tbDpT10_ENKUlT_T0_E_clISt17integral_constantIbLb1EES1E_IbLb0EEEEDaS1A_S1B_EUlS1A_E_NS1_11comp_targetILNS1_3genE2ELNS1_11target_archE906ELNS1_3gpuE6ELNS1_3repE0EEENS1_30default_config_static_selectorELNS0_4arch9wavefront6targetE0EEEvT1_.private_seg_size, 0
	.set _ZN7rocprim17ROCPRIM_400000_NS6detail17trampoline_kernelINS0_14default_configENS1_25partition_config_selectorILNS1_17partition_subalgoE5EsNS0_10empty_typeEbEEZZNS1_14partition_implILS5_5ELb0ES3_mN6thrust23THRUST_200600_302600_NS6detail15normal_iteratorINSA_10device_ptrIsEEEEPS6_NSA_18transform_iteratorINSB_9not_fun_tI7is_trueIsEEENSC_INSD_IbEEEENSA_11use_defaultESO_EENS0_5tupleIJNSA_16discard_iteratorISO_EES6_EEENSQ_IJSG_SG_EEES6_PlJS6_EEE10hipError_tPvRmT3_T4_T5_T6_T7_T9_mT8_P12ihipStream_tbDpT10_ENKUlT_T0_E_clISt17integral_constantIbLb1EES1E_IbLb0EEEEDaS1A_S1B_EUlS1A_E_NS1_11comp_targetILNS1_3genE2ELNS1_11target_archE906ELNS1_3gpuE6ELNS1_3repE0EEENS1_30default_config_static_selectorELNS0_4arch9wavefront6targetE0EEEvT1_.uses_vcc, 0
	.set _ZN7rocprim17ROCPRIM_400000_NS6detail17trampoline_kernelINS0_14default_configENS1_25partition_config_selectorILNS1_17partition_subalgoE5EsNS0_10empty_typeEbEEZZNS1_14partition_implILS5_5ELb0ES3_mN6thrust23THRUST_200600_302600_NS6detail15normal_iteratorINSA_10device_ptrIsEEEEPS6_NSA_18transform_iteratorINSB_9not_fun_tI7is_trueIsEEENSC_INSD_IbEEEENSA_11use_defaultESO_EENS0_5tupleIJNSA_16discard_iteratorISO_EES6_EEENSQ_IJSG_SG_EEES6_PlJS6_EEE10hipError_tPvRmT3_T4_T5_T6_T7_T9_mT8_P12ihipStream_tbDpT10_ENKUlT_T0_E_clISt17integral_constantIbLb1EES1E_IbLb0EEEEDaS1A_S1B_EUlS1A_E_NS1_11comp_targetILNS1_3genE2ELNS1_11target_archE906ELNS1_3gpuE6ELNS1_3repE0EEENS1_30default_config_static_selectorELNS0_4arch9wavefront6targetE0EEEvT1_.uses_flat_scratch, 0
	.set _ZN7rocprim17ROCPRIM_400000_NS6detail17trampoline_kernelINS0_14default_configENS1_25partition_config_selectorILNS1_17partition_subalgoE5EsNS0_10empty_typeEbEEZZNS1_14partition_implILS5_5ELb0ES3_mN6thrust23THRUST_200600_302600_NS6detail15normal_iteratorINSA_10device_ptrIsEEEEPS6_NSA_18transform_iteratorINSB_9not_fun_tI7is_trueIsEEENSC_INSD_IbEEEENSA_11use_defaultESO_EENS0_5tupleIJNSA_16discard_iteratorISO_EES6_EEENSQ_IJSG_SG_EEES6_PlJS6_EEE10hipError_tPvRmT3_T4_T5_T6_T7_T9_mT8_P12ihipStream_tbDpT10_ENKUlT_T0_E_clISt17integral_constantIbLb1EES1E_IbLb0EEEEDaS1A_S1B_EUlS1A_E_NS1_11comp_targetILNS1_3genE2ELNS1_11target_archE906ELNS1_3gpuE6ELNS1_3repE0EEENS1_30default_config_static_selectorELNS0_4arch9wavefront6targetE0EEEvT1_.has_dyn_sized_stack, 0
	.set _ZN7rocprim17ROCPRIM_400000_NS6detail17trampoline_kernelINS0_14default_configENS1_25partition_config_selectorILNS1_17partition_subalgoE5EsNS0_10empty_typeEbEEZZNS1_14partition_implILS5_5ELb0ES3_mN6thrust23THRUST_200600_302600_NS6detail15normal_iteratorINSA_10device_ptrIsEEEEPS6_NSA_18transform_iteratorINSB_9not_fun_tI7is_trueIsEEENSC_INSD_IbEEEENSA_11use_defaultESO_EENS0_5tupleIJNSA_16discard_iteratorISO_EES6_EEENSQ_IJSG_SG_EEES6_PlJS6_EEE10hipError_tPvRmT3_T4_T5_T6_T7_T9_mT8_P12ihipStream_tbDpT10_ENKUlT_T0_E_clISt17integral_constantIbLb1EES1E_IbLb0EEEEDaS1A_S1B_EUlS1A_E_NS1_11comp_targetILNS1_3genE2ELNS1_11target_archE906ELNS1_3gpuE6ELNS1_3repE0EEENS1_30default_config_static_selectorELNS0_4arch9wavefront6targetE0EEEvT1_.has_recursion, 0
	.set _ZN7rocprim17ROCPRIM_400000_NS6detail17trampoline_kernelINS0_14default_configENS1_25partition_config_selectorILNS1_17partition_subalgoE5EsNS0_10empty_typeEbEEZZNS1_14partition_implILS5_5ELb0ES3_mN6thrust23THRUST_200600_302600_NS6detail15normal_iteratorINSA_10device_ptrIsEEEEPS6_NSA_18transform_iteratorINSB_9not_fun_tI7is_trueIsEEENSC_INSD_IbEEEENSA_11use_defaultESO_EENS0_5tupleIJNSA_16discard_iteratorISO_EES6_EEENSQ_IJSG_SG_EEES6_PlJS6_EEE10hipError_tPvRmT3_T4_T5_T6_T7_T9_mT8_P12ihipStream_tbDpT10_ENKUlT_T0_E_clISt17integral_constantIbLb1EES1E_IbLb0EEEEDaS1A_S1B_EUlS1A_E_NS1_11comp_targetILNS1_3genE2ELNS1_11target_archE906ELNS1_3gpuE6ELNS1_3repE0EEENS1_30default_config_static_selectorELNS0_4arch9wavefront6targetE0EEEvT1_.has_indirect_call, 0
	.section	.AMDGPU.csdata,"",@progbits
; Kernel info:
; codeLenInByte = 0
; TotalNumSgprs: 0
; NumVgprs: 0
; ScratchSize: 0
; MemoryBound: 0
; FloatMode: 240
; IeeeMode: 1
; LDSByteSize: 0 bytes/workgroup (compile time only)
; SGPRBlocks: 0
; VGPRBlocks: 0
; NumSGPRsForWavesPerEU: 1
; NumVGPRsForWavesPerEU: 1
; Occupancy: 16
; WaveLimiterHint : 0
; COMPUTE_PGM_RSRC2:SCRATCH_EN: 0
; COMPUTE_PGM_RSRC2:USER_SGPR: 2
; COMPUTE_PGM_RSRC2:TRAP_HANDLER: 0
; COMPUTE_PGM_RSRC2:TGID_X_EN: 1
; COMPUTE_PGM_RSRC2:TGID_Y_EN: 0
; COMPUTE_PGM_RSRC2:TGID_Z_EN: 0
; COMPUTE_PGM_RSRC2:TIDIG_COMP_CNT: 0
	.section	.text._ZN7rocprim17ROCPRIM_400000_NS6detail17trampoline_kernelINS0_14default_configENS1_25partition_config_selectorILNS1_17partition_subalgoE5EsNS0_10empty_typeEbEEZZNS1_14partition_implILS5_5ELb0ES3_mN6thrust23THRUST_200600_302600_NS6detail15normal_iteratorINSA_10device_ptrIsEEEEPS6_NSA_18transform_iteratorINSB_9not_fun_tI7is_trueIsEEENSC_INSD_IbEEEENSA_11use_defaultESO_EENS0_5tupleIJNSA_16discard_iteratorISO_EES6_EEENSQ_IJSG_SG_EEES6_PlJS6_EEE10hipError_tPvRmT3_T4_T5_T6_T7_T9_mT8_P12ihipStream_tbDpT10_ENKUlT_T0_E_clISt17integral_constantIbLb1EES1E_IbLb0EEEEDaS1A_S1B_EUlS1A_E_NS1_11comp_targetILNS1_3genE10ELNS1_11target_archE1200ELNS1_3gpuE4ELNS1_3repE0EEENS1_30default_config_static_selectorELNS0_4arch9wavefront6targetE0EEEvT1_,"axG",@progbits,_ZN7rocprim17ROCPRIM_400000_NS6detail17trampoline_kernelINS0_14default_configENS1_25partition_config_selectorILNS1_17partition_subalgoE5EsNS0_10empty_typeEbEEZZNS1_14partition_implILS5_5ELb0ES3_mN6thrust23THRUST_200600_302600_NS6detail15normal_iteratorINSA_10device_ptrIsEEEEPS6_NSA_18transform_iteratorINSB_9not_fun_tI7is_trueIsEEENSC_INSD_IbEEEENSA_11use_defaultESO_EENS0_5tupleIJNSA_16discard_iteratorISO_EES6_EEENSQ_IJSG_SG_EEES6_PlJS6_EEE10hipError_tPvRmT3_T4_T5_T6_T7_T9_mT8_P12ihipStream_tbDpT10_ENKUlT_T0_E_clISt17integral_constantIbLb1EES1E_IbLb0EEEEDaS1A_S1B_EUlS1A_E_NS1_11comp_targetILNS1_3genE10ELNS1_11target_archE1200ELNS1_3gpuE4ELNS1_3repE0EEENS1_30default_config_static_selectorELNS0_4arch9wavefront6targetE0EEEvT1_,comdat
	.protected	_ZN7rocprim17ROCPRIM_400000_NS6detail17trampoline_kernelINS0_14default_configENS1_25partition_config_selectorILNS1_17partition_subalgoE5EsNS0_10empty_typeEbEEZZNS1_14partition_implILS5_5ELb0ES3_mN6thrust23THRUST_200600_302600_NS6detail15normal_iteratorINSA_10device_ptrIsEEEEPS6_NSA_18transform_iteratorINSB_9not_fun_tI7is_trueIsEEENSC_INSD_IbEEEENSA_11use_defaultESO_EENS0_5tupleIJNSA_16discard_iteratorISO_EES6_EEENSQ_IJSG_SG_EEES6_PlJS6_EEE10hipError_tPvRmT3_T4_T5_T6_T7_T9_mT8_P12ihipStream_tbDpT10_ENKUlT_T0_E_clISt17integral_constantIbLb1EES1E_IbLb0EEEEDaS1A_S1B_EUlS1A_E_NS1_11comp_targetILNS1_3genE10ELNS1_11target_archE1200ELNS1_3gpuE4ELNS1_3repE0EEENS1_30default_config_static_selectorELNS0_4arch9wavefront6targetE0EEEvT1_ ; -- Begin function _ZN7rocprim17ROCPRIM_400000_NS6detail17trampoline_kernelINS0_14default_configENS1_25partition_config_selectorILNS1_17partition_subalgoE5EsNS0_10empty_typeEbEEZZNS1_14partition_implILS5_5ELb0ES3_mN6thrust23THRUST_200600_302600_NS6detail15normal_iteratorINSA_10device_ptrIsEEEEPS6_NSA_18transform_iteratorINSB_9not_fun_tI7is_trueIsEEENSC_INSD_IbEEEENSA_11use_defaultESO_EENS0_5tupleIJNSA_16discard_iteratorISO_EES6_EEENSQ_IJSG_SG_EEES6_PlJS6_EEE10hipError_tPvRmT3_T4_T5_T6_T7_T9_mT8_P12ihipStream_tbDpT10_ENKUlT_T0_E_clISt17integral_constantIbLb1EES1E_IbLb0EEEEDaS1A_S1B_EUlS1A_E_NS1_11comp_targetILNS1_3genE10ELNS1_11target_archE1200ELNS1_3gpuE4ELNS1_3repE0EEENS1_30default_config_static_selectorELNS0_4arch9wavefront6targetE0EEEvT1_
	.globl	_ZN7rocprim17ROCPRIM_400000_NS6detail17trampoline_kernelINS0_14default_configENS1_25partition_config_selectorILNS1_17partition_subalgoE5EsNS0_10empty_typeEbEEZZNS1_14partition_implILS5_5ELb0ES3_mN6thrust23THRUST_200600_302600_NS6detail15normal_iteratorINSA_10device_ptrIsEEEEPS6_NSA_18transform_iteratorINSB_9not_fun_tI7is_trueIsEEENSC_INSD_IbEEEENSA_11use_defaultESO_EENS0_5tupleIJNSA_16discard_iteratorISO_EES6_EEENSQ_IJSG_SG_EEES6_PlJS6_EEE10hipError_tPvRmT3_T4_T5_T6_T7_T9_mT8_P12ihipStream_tbDpT10_ENKUlT_T0_E_clISt17integral_constantIbLb1EES1E_IbLb0EEEEDaS1A_S1B_EUlS1A_E_NS1_11comp_targetILNS1_3genE10ELNS1_11target_archE1200ELNS1_3gpuE4ELNS1_3repE0EEENS1_30default_config_static_selectorELNS0_4arch9wavefront6targetE0EEEvT1_
	.p2align	8
	.type	_ZN7rocprim17ROCPRIM_400000_NS6detail17trampoline_kernelINS0_14default_configENS1_25partition_config_selectorILNS1_17partition_subalgoE5EsNS0_10empty_typeEbEEZZNS1_14partition_implILS5_5ELb0ES3_mN6thrust23THRUST_200600_302600_NS6detail15normal_iteratorINSA_10device_ptrIsEEEEPS6_NSA_18transform_iteratorINSB_9not_fun_tI7is_trueIsEEENSC_INSD_IbEEEENSA_11use_defaultESO_EENS0_5tupleIJNSA_16discard_iteratorISO_EES6_EEENSQ_IJSG_SG_EEES6_PlJS6_EEE10hipError_tPvRmT3_T4_T5_T6_T7_T9_mT8_P12ihipStream_tbDpT10_ENKUlT_T0_E_clISt17integral_constantIbLb1EES1E_IbLb0EEEEDaS1A_S1B_EUlS1A_E_NS1_11comp_targetILNS1_3genE10ELNS1_11target_archE1200ELNS1_3gpuE4ELNS1_3repE0EEENS1_30default_config_static_selectorELNS0_4arch9wavefront6targetE0EEEvT1_,@function
_ZN7rocprim17ROCPRIM_400000_NS6detail17trampoline_kernelINS0_14default_configENS1_25partition_config_selectorILNS1_17partition_subalgoE5EsNS0_10empty_typeEbEEZZNS1_14partition_implILS5_5ELb0ES3_mN6thrust23THRUST_200600_302600_NS6detail15normal_iteratorINSA_10device_ptrIsEEEEPS6_NSA_18transform_iteratorINSB_9not_fun_tI7is_trueIsEEENSC_INSD_IbEEEENSA_11use_defaultESO_EENS0_5tupleIJNSA_16discard_iteratorISO_EES6_EEENSQ_IJSG_SG_EEES6_PlJS6_EEE10hipError_tPvRmT3_T4_T5_T6_T7_T9_mT8_P12ihipStream_tbDpT10_ENKUlT_T0_E_clISt17integral_constantIbLb1EES1E_IbLb0EEEEDaS1A_S1B_EUlS1A_E_NS1_11comp_targetILNS1_3genE10ELNS1_11target_archE1200ELNS1_3gpuE4ELNS1_3repE0EEENS1_30default_config_static_selectorELNS0_4arch9wavefront6targetE0EEEvT1_: ; @_ZN7rocprim17ROCPRIM_400000_NS6detail17trampoline_kernelINS0_14default_configENS1_25partition_config_selectorILNS1_17partition_subalgoE5EsNS0_10empty_typeEbEEZZNS1_14partition_implILS5_5ELb0ES3_mN6thrust23THRUST_200600_302600_NS6detail15normal_iteratorINSA_10device_ptrIsEEEEPS6_NSA_18transform_iteratorINSB_9not_fun_tI7is_trueIsEEENSC_INSD_IbEEEENSA_11use_defaultESO_EENS0_5tupleIJNSA_16discard_iteratorISO_EES6_EEENSQ_IJSG_SG_EEES6_PlJS6_EEE10hipError_tPvRmT3_T4_T5_T6_T7_T9_mT8_P12ihipStream_tbDpT10_ENKUlT_T0_E_clISt17integral_constantIbLb1EES1E_IbLb0EEEEDaS1A_S1B_EUlS1A_E_NS1_11comp_targetILNS1_3genE10ELNS1_11target_archE1200ELNS1_3gpuE4ELNS1_3repE0EEENS1_30default_config_static_selectorELNS0_4arch9wavefront6targetE0EEEvT1_
; %bb.0:
	s_endpgm
	.section	.rodata,"a",@progbits
	.p2align	6, 0x0
	.amdhsa_kernel _ZN7rocprim17ROCPRIM_400000_NS6detail17trampoline_kernelINS0_14default_configENS1_25partition_config_selectorILNS1_17partition_subalgoE5EsNS0_10empty_typeEbEEZZNS1_14partition_implILS5_5ELb0ES3_mN6thrust23THRUST_200600_302600_NS6detail15normal_iteratorINSA_10device_ptrIsEEEEPS6_NSA_18transform_iteratorINSB_9not_fun_tI7is_trueIsEEENSC_INSD_IbEEEENSA_11use_defaultESO_EENS0_5tupleIJNSA_16discard_iteratorISO_EES6_EEENSQ_IJSG_SG_EEES6_PlJS6_EEE10hipError_tPvRmT3_T4_T5_T6_T7_T9_mT8_P12ihipStream_tbDpT10_ENKUlT_T0_E_clISt17integral_constantIbLb1EES1E_IbLb0EEEEDaS1A_S1B_EUlS1A_E_NS1_11comp_targetILNS1_3genE10ELNS1_11target_archE1200ELNS1_3gpuE4ELNS1_3repE0EEENS1_30default_config_static_selectorELNS0_4arch9wavefront6targetE0EEEvT1_
		.amdhsa_group_segment_fixed_size 0
		.amdhsa_private_segment_fixed_size 0
		.amdhsa_kernarg_size 128
		.amdhsa_user_sgpr_count 2
		.amdhsa_user_sgpr_dispatch_ptr 0
		.amdhsa_user_sgpr_queue_ptr 0
		.amdhsa_user_sgpr_kernarg_segment_ptr 1
		.amdhsa_user_sgpr_dispatch_id 0
		.amdhsa_user_sgpr_private_segment_size 0
		.amdhsa_wavefront_size32 1
		.amdhsa_uses_dynamic_stack 0
		.amdhsa_enable_private_segment 0
		.amdhsa_system_sgpr_workgroup_id_x 1
		.amdhsa_system_sgpr_workgroup_id_y 0
		.amdhsa_system_sgpr_workgroup_id_z 0
		.amdhsa_system_sgpr_workgroup_info 0
		.amdhsa_system_vgpr_workitem_id 0
		.amdhsa_next_free_vgpr 1
		.amdhsa_next_free_sgpr 1
		.amdhsa_reserve_vcc 0
		.amdhsa_float_round_mode_32 0
		.amdhsa_float_round_mode_16_64 0
		.amdhsa_float_denorm_mode_32 3
		.amdhsa_float_denorm_mode_16_64 3
		.amdhsa_fp16_overflow 0
		.amdhsa_workgroup_processor_mode 1
		.amdhsa_memory_ordered 1
		.amdhsa_forward_progress 1
		.amdhsa_inst_pref_size 1
		.amdhsa_round_robin_scheduling 0
		.amdhsa_exception_fp_ieee_invalid_op 0
		.amdhsa_exception_fp_denorm_src 0
		.amdhsa_exception_fp_ieee_div_zero 0
		.amdhsa_exception_fp_ieee_overflow 0
		.amdhsa_exception_fp_ieee_underflow 0
		.amdhsa_exception_fp_ieee_inexact 0
		.amdhsa_exception_int_div_zero 0
	.end_amdhsa_kernel
	.section	.text._ZN7rocprim17ROCPRIM_400000_NS6detail17trampoline_kernelINS0_14default_configENS1_25partition_config_selectorILNS1_17partition_subalgoE5EsNS0_10empty_typeEbEEZZNS1_14partition_implILS5_5ELb0ES3_mN6thrust23THRUST_200600_302600_NS6detail15normal_iteratorINSA_10device_ptrIsEEEEPS6_NSA_18transform_iteratorINSB_9not_fun_tI7is_trueIsEEENSC_INSD_IbEEEENSA_11use_defaultESO_EENS0_5tupleIJNSA_16discard_iteratorISO_EES6_EEENSQ_IJSG_SG_EEES6_PlJS6_EEE10hipError_tPvRmT3_T4_T5_T6_T7_T9_mT8_P12ihipStream_tbDpT10_ENKUlT_T0_E_clISt17integral_constantIbLb1EES1E_IbLb0EEEEDaS1A_S1B_EUlS1A_E_NS1_11comp_targetILNS1_3genE10ELNS1_11target_archE1200ELNS1_3gpuE4ELNS1_3repE0EEENS1_30default_config_static_selectorELNS0_4arch9wavefront6targetE0EEEvT1_,"axG",@progbits,_ZN7rocprim17ROCPRIM_400000_NS6detail17trampoline_kernelINS0_14default_configENS1_25partition_config_selectorILNS1_17partition_subalgoE5EsNS0_10empty_typeEbEEZZNS1_14partition_implILS5_5ELb0ES3_mN6thrust23THRUST_200600_302600_NS6detail15normal_iteratorINSA_10device_ptrIsEEEEPS6_NSA_18transform_iteratorINSB_9not_fun_tI7is_trueIsEEENSC_INSD_IbEEEENSA_11use_defaultESO_EENS0_5tupleIJNSA_16discard_iteratorISO_EES6_EEENSQ_IJSG_SG_EEES6_PlJS6_EEE10hipError_tPvRmT3_T4_T5_T6_T7_T9_mT8_P12ihipStream_tbDpT10_ENKUlT_T0_E_clISt17integral_constantIbLb1EES1E_IbLb0EEEEDaS1A_S1B_EUlS1A_E_NS1_11comp_targetILNS1_3genE10ELNS1_11target_archE1200ELNS1_3gpuE4ELNS1_3repE0EEENS1_30default_config_static_selectorELNS0_4arch9wavefront6targetE0EEEvT1_,comdat
.Lfunc_end2834:
	.size	_ZN7rocprim17ROCPRIM_400000_NS6detail17trampoline_kernelINS0_14default_configENS1_25partition_config_selectorILNS1_17partition_subalgoE5EsNS0_10empty_typeEbEEZZNS1_14partition_implILS5_5ELb0ES3_mN6thrust23THRUST_200600_302600_NS6detail15normal_iteratorINSA_10device_ptrIsEEEEPS6_NSA_18transform_iteratorINSB_9not_fun_tI7is_trueIsEEENSC_INSD_IbEEEENSA_11use_defaultESO_EENS0_5tupleIJNSA_16discard_iteratorISO_EES6_EEENSQ_IJSG_SG_EEES6_PlJS6_EEE10hipError_tPvRmT3_T4_T5_T6_T7_T9_mT8_P12ihipStream_tbDpT10_ENKUlT_T0_E_clISt17integral_constantIbLb1EES1E_IbLb0EEEEDaS1A_S1B_EUlS1A_E_NS1_11comp_targetILNS1_3genE10ELNS1_11target_archE1200ELNS1_3gpuE4ELNS1_3repE0EEENS1_30default_config_static_selectorELNS0_4arch9wavefront6targetE0EEEvT1_, .Lfunc_end2834-_ZN7rocprim17ROCPRIM_400000_NS6detail17trampoline_kernelINS0_14default_configENS1_25partition_config_selectorILNS1_17partition_subalgoE5EsNS0_10empty_typeEbEEZZNS1_14partition_implILS5_5ELb0ES3_mN6thrust23THRUST_200600_302600_NS6detail15normal_iteratorINSA_10device_ptrIsEEEEPS6_NSA_18transform_iteratorINSB_9not_fun_tI7is_trueIsEEENSC_INSD_IbEEEENSA_11use_defaultESO_EENS0_5tupleIJNSA_16discard_iteratorISO_EES6_EEENSQ_IJSG_SG_EEES6_PlJS6_EEE10hipError_tPvRmT3_T4_T5_T6_T7_T9_mT8_P12ihipStream_tbDpT10_ENKUlT_T0_E_clISt17integral_constantIbLb1EES1E_IbLb0EEEEDaS1A_S1B_EUlS1A_E_NS1_11comp_targetILNS1_3genE10ELNS1_11target_archE1200ELNS1_3gpuE4ELNS1_3repE0EEENS1_30default_config_static_selectorELNS0_4arch9wavefront6targetE0EEEvT1_
                                        ; -- End function
	.set _ZN7rocprim17ROCPRIM_400000_NS6detail17trampoline_kernelINS0_14default_configENS1_25partition_config_selectorILNS1_17partition_subalgoE5EsNS0_10empty_typeEbEEZZNS1_14partition_implILS5_5ELb0ES3_mN6thrust23THRUST_200600_302600_NS6detail15normal_iteratorINSA_10device_ptrIsEEEEPS6_NSA_18transform_iteratorINSB_9not_fun_tI7is_trueIsEEENSC_INSD_IbEEEENSA_11use_defaultESO_EENS0_5tupleIJNSA_16discard_iteratorISO_EES6_EEENSQ_IJSG_SG_EEES6_PlJS6_EEE10hipError_tPvRmT3_T4_T5_T6_T7_T9_mT8_P12ihipStream_tbDpT10_ENKUlT_T0_E_clISt17integral_constantIbLb1EES1E_IbLb0EEEEDaS1A_S1B_EUlS1A_E_NS1_11comp_targetILNS1_3genE10ELNS1_11target_archE1200ELNS1_3gpuE4ELNS1_3repE0EEENS1_30default_config_static_selectorELNS0_4arch9wavefront6targetE0EEEvT1_.num_vgpr, 0
	.set _ZN7rocprim17ROCPRIM_400000_NS6detail17trampoline_kernelINS0_14default_configENS1_25partition_config_selectorILNS1_17partition_subalgoE5EsNS0_10empty_typeEbEEZZNS1_14partition_implILS5_5ELb0ES3_mN6thrust23THRUST_200600_302600_NS6detail15normal_iteratorINSA_10device_ptrIsEEEEPS6_NSA_18transform_iteratorINSB_9not_fun_tI7is_trueIsEEENSC_INSD_IbEEEENSA_11use_defaultESO_EENS0_5tupleIJNSA_16discard_iteratorISO_EES6_EEENSQ_IJSG_SG_EEES6_PlJS6_EEE10hipError_tPvRmT3_T4_T5_T6_T7_T9_mT8_P12ihipStream_tbDpT10_ENKUlT_T0_E_clISt17integral_constantIbLb1EES1E_IbLb0EEEEDaS1A_S1B_EUlS1A_E_NS1_11comp_targetILNS1_3genE10ELNS1_11target_archE1200ELNS1_3gpuE4ELNS1_3repE0EEENS1_30default_config_static_selectorELNS0_4arch9wavefront6targetE0EEEvT1_.num_agpr, 0
	.set _ZN7rocprim17ROCPRIM_400000_NS6detail17trampoline_kernelINS0_14default_configENS1_25partition_config_selectorILNS1_17partition_subalgoE5EsNS0_10empty_typeEbEEZZNS1_14partition_implILS5_5ELb0ES3_mN6thrust23THRUST_200600_302600_NS6detail15normal_iteratorINSA_10device_ptrIsEEEEPS6_NSA_18transform_iteratorINSB_9not_fun_tI7is_trueIsEEENSC_INSD_IbEEEENSA_11use_defaultESO_EENS0_5tupleIJNSA_16discard_iteratorISO_EES6_EEENSQ_IJSG_SG_EEES6_PlJS6_EEE10hipError_tPvRmT3_T4_T5_T6_T7_T9_mT8_P12ihipStream_tbDpT10_ENKUlT_T0_E_clISt17integral_constantIbLb1EES1E_IbLb0EEEEDaS1A_S1B_EUlS1A_E_NS1_11comp_targetILNS1_3genE10ELNS1_11target_archE1200ELNS1_3gpuE4ELNS1_3repE0EEENS1_30default_config_static_selectorELNS0_4arch9wavefront6targetE0EEEvT1_.numbered_sgpr, 0
	.set _ZN7rocprim17ROCPRIM_400000_NS6detail17trampoline_kernelINS0_14default_configENS1_25partition_config_selectorILNS1_17partition_subalgoE5EsNS0_10empty_typeEbEEZZNS1_14partition_implILS5_5ELb0ES3_mN6thrust23THRUST_200600_302600_NS6detail15normal_iteratorINSA_10device_ptrIsEEEEPS6_NSA_18transform_iteratorINSB_9not_fun_tI7is_trueIsEEENSC_INSD_IbEEEENSA_11use_defaultESO_EENS0_5tupleIJNSA_16discard_iteratorISO_EES6_EEENSQ_IJSG_SG_EEES6_PlJS6_EEE10hipError_tPvRmT3_T4_T5_T6_T7_T9_mT8_P12ihipStream_tbDpT10_ENKUlT_T0_E_clISt17integral_constantIbLb1EES1E_IbLb0EEEEDaS1A_S1B_EUlS1A_E_NS1_11comp_targetILNS1_3genE10ELNS1_11target_archE1200ELNS1_3gpuE4ELNS1_3repE0EEENS1_30default_config_static_selectorELNS0_4arch9wavefront6targetE0EEEvT1_.num_named_barrier, 0
	.set _ZN7rocprim17ROCPRIM_400000_NS6detail17trampoline_kernelINS0_14default_configENS1_25partition_config_selectorILNS1_17partition_subalgoE5EsNS0_10empty_typeEbEEZZNS1_14partition_implILS5_5ELb0ES3_mN6thrust23THRUST_200600_302600_NS6detail15normal_iteratorINSA_10device_ptrIsEEEEPS6_NSA_18transform_iteratorINSB_9not_fun_tI7is_trueIsEEENSC_INSD_IbEEEENSA_11use_defaultESO_EENS0_5tupleIJNSA_16discard_iteratorISO_EES6_EEENSQ_IJSG_SG_EEES6_PlJS6_EEE10hipError_tPvRmT3_T4_T5_T6_T7_T9_mT8_P12ihipStream_tbDpT10_ENKUlT_T0_E_clISt17integral_constantIbLb1EES1E_IbLb0EEEEDaS1A_S1B_EUlS1A_E_NS1_11comp_targetILNS1_3genE10ELNS1_11target_archE1200ELNS1_3gpuE4ELNS1_3repE0EEENS1_30default_config_static_selectorELNS0_4arch9wavefront6targetE0EEEvT1_.private_seg_size, 0
	.set _ZN7rocprim17ROCPRIM_400000_NS6detail17trampoline_kernelINS0_14default_configENS1_25partition_config_selectorILNS1_17partition_subalgoE5EsNS0_10empty_typeEbEEZZNS1_14partition_implILS5_5ELb0ES3_mN6thrust23THRUST_200600_302600_NS6detail15normal_iteratorINSA_10device_ptrIsEEEEPS6_NSA_18transform_iteratorINSB_9not_fun_tI7is_trueIsEEENSC_INSD_IbEEEENSA_11use_defaultESO_EENS0_5tupleIJNSA_16discard_iteratorISO_EES6_EEENSQ_IJSG_SG_EEES6_PlJS6_EEE10hipError_tPvRmT3_T4_T5_T6_T7_T9_mT8_P12ihipStream_tbDpT10_ENKUlT_T0_E_clISt17integral_constantIbLb1EES1E_IbLb0EEEEDaS1A_S1B_EUlS1A_E_NS1_11comp_targetILNS1_3genE10ELNS1_11target_archE1200ELNS1_3gpuE4ELNS1_3repE0EEENS1_30default_config_static_selectorELNS0_4arch9wavefront6targetE0EEEvT1_.uses_vcc, 0
	.set _ZN7rocprim17ROCPRIM_400000_NS6detail17trampoline_kernelINS0_14default_configENS1_25partition_config_selectorILNS1_17partition_subalgoE5EsNS0_10empty_typeEbEEZZNS1_14partition_implILS5_5ELb0ES3_mN6thrust23THRUST_200600_302600_NS6detail15normal_iteratorINSA_10device_ptrIsEEEEPS6_NSA_18transform_iteratorINSB_9not_fun_tI7is_trueIsEEENSC_INSD_IbEEEENSA_11use_defaultESO_EENS0_5tupleIJNSA_16discard_iteratorISO_EES6_EEENSQ_IJSG_SG_EEES6_PlJS6_EEE10hipError_tPvRmT3_T4_T5_T6_T7_T9_mT8_P12ihipStream_tbDpT10_ENKUlT_T0_E_clISt17integral_constantIbLb1EES1E_IbLb0EEEEDaS1A_S1B_EUlS1A_E_NS1_11comp_targetILNS1_3genE10ELNS1_11target_archE1200ELNS1_3gpuE4ELNS1_3repE0EEENS1_30default_config_static_selectorELNS0_4arch9wavefront6targetE0EEEvT1_.uses_flat_scratch, 0
	.set _ZN7rocprim17ROCPRIM_400000_NS6detail17trampoline_kernelINS0_14default_configENS1_25partition_config_selectorILNS1_17partition_subalgoE5EsNS0_10empty_typeEbEEZZNS1_14partition_implILS5_5ELb0ES3_mN6thrust23THRUST_200600_302600_NS6detail15normal_iteratorINSA_10device_ptrIsEEEEPS6_NSA_18transform_iteratorINSB_9not_fun_tI7is_trueIsEEENSC_INSD_IbEEEENSA_11use_defaultESO_EENS0_5tupleIJNSA_16discard_iteratorISO_EES6_EEENSQ_IJSG_SG_EEES6_PlJS6_EEE10hipError_tPvRmT3_T4_T5_T6_T7_T9_mT8_P12ihipStream_tbDpT10_ENKUlT_T0_E_clISt17integral_constantIbLb1EES1E_IbLb0EEEEDaS1A_S1B_EUlS1A_E_NS1_11comp_targetILNS1_3genE10ELNS1_11target_archE1200ELNS1_3gpuE4ELNS1_3repE0EEENS1_30default_config_static_selectorELNS0_4arch9wavefront6targetE0EEEvT1_.has_dyn_sized_stack, 0
	.set _ZN7rocprim17ROCPRIM_400000_NS6detail17trampoline_kernelINS0_14default_configENS1_25partition_config_selectorILNS1_17partition_subalgoE5EsNS0_10empty_typeEbEEZZNS1_14partition_implILS5_5ELb0ES3_mN6thrust23THRUST_200600_302600_NS6detail15normal_iteratorINSA_10device_ptrIsEEEEPS6_NSA_18transform_iteratorINSB_9not_fun_tI7is_trueIsEEENSC_INSD_IbEEEENSA_11use_defaultESO_EENS0_5tupleIJNSA_16discard_iteratorISO_EES6_EEENSQ_IJSG_SG_EEES6_PlJS6_EEE10hipError_tPvRmT3_T4_T5_T6_T7_T9_mT8_P12ihipStream_tbDpT10_ENKUlT_T0_E_clISt17integral_constantIbLb1EES1E_IbLb0EEEEDaS1A_S1B_EUlS1A_E_NS1_11comp_targetILNS1_3genE10ELNS1_11target_archE1200ELNS1_3gpuE4ELNS1_3repE0EEENS1_30default_config_static_selectorELNS0_4arch9wavefront6targetE0EEEvT1_.has_recursion, 0
	.set _ZN7rocprim17ROCPRIM_400000_NS6detail17trampoline_kernelINS0_14default_configENS1_25partition_config_selectorILNS1_17partition_subalgoE5EsNS0_10empty_typeEbEEZZNS1_14partition_implILS5_5ELb0ES3_mN6thrust23THRUST_200600_302600_NS6detail15normal_iteratorINSA_10device_ptrIsEEEEPS6_NSA_18transform_iteratorINSB_9not_fun_tI7is_trueIsEEENSC_INSD_IbEEEENSA_11use_defaultESO_EENS0_5tupleIJNSA_16discard_iteratorISO_EES6_EEENSQ_IJSG_SG_EEES6_PlJS6_EEE10hipError_tPvRmT3_T4_T5_T6_T7_T9_mT8_P12ihipStream_tbDpT10_ENKUlT_T0_E_clISt17integral_constantIbLb1EES1E_IbLb0EEEEDaS1A_S1B_EUlS1A_E_NS1_11comp_targetILNS1_3genE10ELNS1_11target_archE1200ELNS1_3gpuE4ELNS1_3repE0EEENS1_30default_config_static_selectorELNS0_4arch9wavefront6targetE0EEEvT1_.has_indirect_call, 0
	.section	.AMDGPU.csdata,"",@progbits
; Kernel info:
; codeLenInByte = 4
; TotalNumSgprs: 0
; NumVgprs: 0
; ScratchSize: 0
; MemoryBound: 0
; FloatMode: 240
; IeeeMode: 1
; LDSByteSize: 0 bytes/workgroup (compile time only)
; SGPRBlocks: 0
; VGPRBlocks: 0
; NumSGPRsForWavesPerEU: 1
; NumVGPRsForWavesPerEU: 1
; Occupancy: 16
; WaveLimiterHint : 0
; COMPUTE_PGM_RSRC2:SCRATCH_EN: 0
; COMPUTE_PGM_RSRC2:USER_SGPR: 2
; COMPUTE_PGM_RSRC2:TRAP_HANDLER: 0
; COMPUTE_PGM_RSRC2:TGID_X_EN: 1
; COMPUTE_PGM_RSRC2:TGID_Y_EN: 0
; COMPUTE_PGM_RSRC2:TGID_Z_EN: 0
; COMPUTE_PGM_RSRC2:TIDIG_COMP_CNT: 0
	.section	.text._ZN7rocprim17ROCPRIM_400000_NS6detail17trampoline_kernelINS0_14default_configENS1_25partition_config_selectorILNS1_17partition_subalgoE5EsNS0_10empty_typeEbEEZZNS1_14partition_implILS5_5ELb0ES3_mN6thrust23THRUST_200600_302600_NS6detail15normal_iteratorINSA_10device_ptrIsEEEEPS6_NSA_18transform_iteratorINSB_9not_fun_tI7is_trueIsEEENSC_INSD_IbEEEENSA_11use_defaultESO_EENS0_5tupleIJNSA_16discard_iteratorISO_EES6_EEENSQ_IJSG_SG_EEES6_PlJS6_EEE10hipError_tPvRmT3_T4_T5_T6_T7_T9_mT8_P12ihipStream_tbDpT10_ENKUlT_T0_E_clISt17integral_constantIbLb1EES1E_IbLb0EEEEDaS1A_S1B_EUlS1A_E_NS1_11comp_targetILNS1_3genE9ELNS1_11target_archE1100ELNS1_3gpuE3ELNS1_3repE0EEENS1_30default_config_static_selectorELNS0_4arch9wavefront6targetE0EEEvT1_,"axG",@progbits,_ZN7rocprim17ROCPRIM_400000_NS6detail17trampoline_kernelINS0_14default_configENS1_25partition_config_selectorILNS1_17partition_subalgoE5EsNS0_10empty_typeEbEEZZNS1_14partition_implILS5_5ELb0ES3_mN6thrust23THRUST_200600_302600_NS6detail15normal_iteratorINSA_10device_ptrIsEEEEPS6_NSA_18transform_iteratorINSB_9not_fun_tI7is_trueIsEEENSC_INSD_IbEEEENSA_11use_defaultESO_EENS0_5tupleIJNSA_16discard_iteratorISO_EES6_EEENSQ_IJSG_SG_EEES6_PlJS6_EEE10hipError_tPvRmT3_T4_T5_T6_T7_T9_mT8_P12ihipStream_tbDpT10_ENKUlT_T0_E_clISt17integral_constantIbLb1EES1E_IbLb0EEEEDaS1A_S1B_EUlS1A_E_NS1_11comp_targetILNS1_3genE9ELNS1_11target_archE1100ELNS1_3gpuE3ELNS1_3repE0EEENS1_30default_config_static_selectorELNS0_4arch9wavefront6targetE0EEEvT1_,comdat
	.protected	_ZN7rocprim17ROCPRIM_400000_NS6detail17trampoline_kernelINS0_14default_configENS1_25partition_config_selectorILNS1_17partition_subalgoE5EsNS0_10empty_typeEbEEZZNS1_14partition_implILS5_5ELb0ES3_mN6thrust23THRUST_200600_302600_NS6detail15normal_iteratorINSA_10device_ptrIsEEEEPS6_NSA_18transform_iteratorINSB_9not_fun_tI7is_trueIsEEENSC_INSD_IbEEEENSA_11use_defaultESO_EENS0_5tupleIJNSA_16discard_iteratorISO_EES6_EEENSQ_IJSG_SG_EEES6_PlJS6_EEE10hipError_tPvRmT3_T4_T5_T6_T7_T9_mT8_P12ihipStream_tbDpT10_ENKUlT_T0_E_clISt17integral_constantIbLb1EES1E_IbLb0EEEEDaS1A_S1B_EUlS1A_E_NS1_11comp_targetILNS1_3genE9ELNS1_11target_archE1100ELNS1_3gpuE3ELNS1_3repE0EEENS1_30default_config_static_selectorELNS0_4arch9wavefront6targetE0EEEvT1_ ; -- Begin function _ZN7rocprim17ROCPRIM_400000_NS6detail17trampoline_kernelINS0_14default_configENS1_25partition_config_selectorILNS1_17partition_subalgoE5EsNS0_10empty_typeEbEEZZNS1_14partition_implILS5_5ELb0ES3_mN6thrust23THRUST_200600_302600_NS6detail15normal_iteratorINSA_10device_ptrIsEEEEPS6_NSA_18transform_iteratorINSB_9not_fun_tI7is_trueIsEEENSC_INSD_IbEEEENSA_11use_defaultESO_EENS0_5tupleIJNSA_16discard_iteratorISO_EES6_EEENSQ_IJSG_SG_EEES6_PlJS6_EEE10hipError_tPvRmT3_T4_T5_T6_T7_T9_mT8_P12ihipStream_tbDpT10_ENKUlT_T0_E_clISt17integral_constantIbLb1EES1E_IbLb0EEEEDaS1A_S1B_EUlS1A_E_NS1_11comp_targetILNS1_3genE9ELNS1_11target_archE1100ELNS1_3gpuE3ELNS1_3repE0EEENS1_30default_config_static_selectorELNS0_4arch9wavefront6targetE0EEEvT1_
	.globl	_ZN7rocprim17ROCPRIM_400000_NS6detail17trampoline_kernelINS0_14default_configENS1_25partition_config_selectorILNS1_17partition_subalgoE5EsNS0_10empty_typeEbEEZZNS1_14partition_implILS5_5ELb0ES3_mN6thrust23THRUST_200600_302600_NS6detail15normal_iteratorINSA_10device_ptrIsEEEEPS6_NSA_18transform_iteratorINSB_9not_fun_tI7is_trueIsEEENSC_INSD_IbEEEENSA_11use_defaultESO_EENS0_5tupleIJNSA_16discard_iteratorISO_EES6_EEENSQ_IJSG_SG_EEES6_PlJS6_EEE10hipError_tPvRmT3_T4_T5_T6_T7_T9_mT8_P12ihipStream_tbDpT10_ENKUlT_T0_E_clISt17integral_constantIbLb1EES1E_IbLb0EEEEDaS1A_S1B_EUlS1A_E_NS1_11comp_targetILNS1_3genE9ELNS1_11target_archE1100ELNS1_3gpuE3ELNS1_3repE0EEENS1_30default_config_static_selectorELNS0_4arch9wavefront6targetE0EEEvT1_
	.p2align	8
	.type	_ZN7rocprim17ROCPRIM_400000_NS6detail17trampoline_kernelINS0_14default_configENS1_25partition_config_selectorILNS1_17partition_subalgoE5EsNS0_10empty_typeEbEEZZNS1_14partition_implILS5_5ELb0ES3_mN6thrust23THRUST_200600_302600_NS6detail15normal_iteratorINSA_10device_ptrIsEEEEPS6_NSA_18transform_iteratorINSB_9not_fun_tI7is_trueIsEEENSC_INSD_IbEEEENSA_11use_defaultESO_EENS0_5tupleIJNSA_16discard_iteratorISO_EES6_EEENSQ_IJSG_SG_EEES6_PlJS6_EEE10hipError_tPvRmT3_T4_T5_T6_T7_T9_mT8_P12ihipStream_tbDpT10_ENKUlT_T0_E_clISt17integral_constantIbLb1EES1E_IbLb0EEEEDaS1A_S1B_EUlS1A_E_NS1_11comp_targetILNS1_3genE9ELNS1_11target_archE1100ELNS1_3gpuE3ELNS1_3repE0EEENS1_30default_config_static_selectorELNS0_4arch9wavefront6targetE0EEEvT1_,@function
_ZN7rocprim17ROCPRIM_400000_NS6detail17trampoline_kernelINS0_14default_configENS1_25partition_config_selectorILNS1_17partition_subalgoE5EsNS0_10empty_typeEbEEZZNS1_14partition_implILS5_5ELb0ES3_mN6thrust23THRUST_200600_302600_NS6detail15normal_iteratorINSA_10device_ptrIsEEEEPS6_NSA_18transform_iteratorINSB_9not_fun_tI7is_trueIsEEENSC_INSD_IbEEEENSA_11use_defaultESO_EENS0_5tupleIJNSA_16discard_iteratorISO_EES6_EEENSQ_IJSG_SG_EEES6_PlJS6_EEE10hipError_tPvRmT3_T4_T5_T6_T7_T9_mT8_P12ihipStream_tbDpT10_ENKUlT_T0_E_clISt17integral_constantIbLb1EES1E_IbLb0EEEEDaS1A_S1B_EUlS1A_E_NS1_11comp_targetILNS1_3genE9ELNS1_11target_archE1100ELNS1_3gpuE3ELNS1_3repE0EEENS1_30default_config_static_selectorELNS0_4arch9wavefront6targetE0EEEvT1_: ; @_ZN7rocprim17ROCPRIM_400000_NS6detail17trampoline_kernelINS0_14default_configENS1_25partition_config_selectorILNS1_17partition_subalgoE5EsNS0_10empty_typeEbEEZZNS1_14partition_implILS5_5ELb0ES3_mN6thrust23THRUST_200600_302600_NS6detail15normal_iteratorINSA_10device_ptrIsEEEEPS6_NSA_18transform_iteratorINSB_9not_fun_tI7is_trueIsEEENSC_INSD_IbEEEENSA_11use_defaultESO_EENS0_5tupleIJNSA_16discard_iteratorISO_EES6_EEENSQ_IJSG_SG_EEES6_PlJS6_EEE10hipError_tPvRmT3_T4_T5_T6_T7_T9_mT8_P12ihipStream_tbDpT10_ENKUlT_T0_E_clISt17integral_constantIbLb1EES1E_IbLb0EEEEDaS1A_S1B_EUlS1A_E_NS1_11comp_targetILNS1_3genE9ELNS1_11target_archE1100ELNS1_3gpuE3ELNS1_3repE0EEENS1_30default_config_static_selectorELNS0_4arch9wavefront6targetE0EEEvT1_
; %bb.0:
	.section	.rodata,"a",@progbits
	.p2align	6, 0x0
	.amdhsa_kernel _ZN7rocprim17ROCPRIM_400000_NS6detail17trampoline_kernelINS0_14default_configENS1_25partition_config_selectorILNS1_17partition_subalgoE5EsNS0_10empty_typeEbEEZZNS1_14partition_implILS5_5ELb0ES3_mN6thrust23THRUST_200600_302600_NS6detail15normal_iteratorINSA_10device_ptrIsEEEEPS6_NSA_18transform_iteratorINSB_9not_fun_tI7is_trueIsEEENSC_INSD_IbEEEENSA_11use_defaultESO_EENS0_5tupleIJNSA_16discard_iteratorISO_EES6_EEENSQ_IJSG_SG_EEES6_PlJS6_EEE10hipError_tPvRmT3_T4_T5_T6_T7_T9_mT8_P12ihipStream_tbDpT10_ENKUlT_T0_E_clISt17integral_constantIbLb1EES1E_IbLb0EEEEDaS1A_S1B_EUlS1A_E_NS1_11comp_targetILNS1_3genE9ELNS1_11target_archE1100ELNS1_3gpuE3ELNS1_3repE0EEENS1_30default_config_static_selectorELNS0_4arch9wavefront6targetE0EEEvT1_
		.amdhsa_group_segment_fixed_size 0
		.amdhsa_private_segment_fixed_size 0
		.amdhsa_kernarg_size 128
		.amdhsa_user_sgpr_count 2
		.amdhsa_user_sgpr_dispatch_ptr 0
		.amdhsa_user_sgpr_queue_ptr 0
		.amdhsa_user_sgpr_kernarg_segment_ptr 1
		.amdhsa_user_sgpr_dispatch_id 0
		.amdhsa_user_sgpr_private_segment_size 0
		.amdhsa_wavefront_size32 1
		.amdhsa_uses_dynamic_stack 0
		.amdhsa_enable_private_segment 0
		.amdhsa_system_sgpr_workgroup_id_x 1
		.amdhsa_system_sgpr_workgroup_id_y 0
		.amdhsa_system_sgpr_workgroup_id_z 0
		.amdhsa_system_sgpr_workgroup_info 0
		.amdhsa_system_vgpr_workitem_id 0
		.amdhsa_next_free_vgpr 1
		.amdhsa_next_free_sgpr 1
		.amdhsa_reserve_vcc 0
		.amdhsa_float_round_mode_32 0
		.amdhsa_float_round_mode_16_64 0
		.amdhsa_float_denorm_mode_32 3
		.amdhsa_float_denorm_mode_16_64 3
		.amdhsa_fp16_overflow 0
		.amdhsa_workgroup_processor_mode 1
		.amdhsa_memory_ordered 1
		.amdhsa_forward_progress 1
		.amdhsa_inst_pref_size 0
		.amdhsa_round_robin_scheduling 0
		.amdhsa_exception_fp_ieee_invalid_op 0
		.amdhsa_exception_fp_denorm_src 0
		.amdhsa_exception_fp_ieee_div_zero 0
		.amdhsa_exception_fp_ieee_overflow 0
		.amdhsa_exception_fp_ieee_underflow 0
		.amdhsa_exception_fp_ieee_inexact 0
		.amdhsa_exception_int_div_zero 0
	.end_amdhsa_kernel
	.section	.text._ZN7rocprim17ROCPRIM_400000_NS6detail17trampoline_kernelINS0_14default_configENS1_25partition_config_selectorILNS1_17partition_subalgoE5EsNS0_10empty_typeEbEEZZNS1_14partition_implILS5_5ELb0ES3_mN6thrust23THRUST_200600_302600_NS6detail15normal_iteratorINSA_10device_ptrIsEEEEPS6_NSA_18transform_iteratorINSB_9not_fun_tI7is_trueIsEEENSC_INSD_IbEEEENSA_11use_defaultESO_EENS0_5tupleIJNSA_16discard_iteratorISO_EES6_EEENSQ_IJSG_SG_EEES6_PlJS6_EEE10hipError_tPvRmT3_T4_T5_T6_T7_T9_mT8_P12ihipStream_tbDpT10_ENKUlT_T0_E_clISt17integral_constantIbLb1EES1E_IbLb0EEEEDaS1A_S1B_EUlS1A_E_NS1_11comp_targetILNS1_3genE9ELNS1_11target_archE1100ELNS1_3gpuE3ELNS1_3repE0EEENS1_30default_config_static_selectorELNS0_4arch9wavefront6targetE0EEEvT1_,"axG",@progbits,_ZN7rocprim17ROCPRIM_400000_NS6detail17trampoline_kernelINS0_14default_configENS1_25partition_config_selectorILNS1_17partition_subalgoE5EsNS0_10empty_typeEbEEZZNS1_14partition_implILS5_5ELb0ES3_mN6thrust23THRUST_200600_302600_NS6detail15normal_iteratorINSA_10device_ptrIsEEEEPS6_NSA_18transform_iteratorINSB_9not_fun_tI7is_trueIsEEENSC_INSD_IbEEEENSA_11use_defaultESO_EENS0_5tupleIJNSA_16discard_iteratorISO_EES6_EEENSQ_IJSG_SG_EEES6_PlJS6_EEE10hipError_tPvRmT3_T4_T5_T6_T7_T9_mT8_P12ihipStream_tbDpT10_ENKUlT_T0_E_clISt17integral_constantIbLb1EES1E_IbLb0EEEEDaS1A_S1B_EUlS1A_E_NS1_11comp_targetILNS1_3genE9ELNS1_11target_archE1100ELNS1_3gpuE3ELNS1_3repE0EEENS1_30default_config_static_selectorELNS0_4arch9wavefront6targetE0EEEvT1_,comdat
.Lfunc_end2835:
	.size	_ZN7rocprim17ROCPRIM_400000_NS6detail17trampoline_kernelINS0_14default_configENS1_25partition_config_selectorILNS1_17partition_subalgoE5EsNS0_10empty_typeEbEEZZNS1_14partition_implILS5_5ELb0ES3_mN6thrust23THRUST_200600_302600_NS6detail15normal_iteratorINSA_10device_ptrIsEEEEPS6_NSA_18transform_iteratorINSB_9not_fun_tI7is_trueIsEEENSC_INSD_IbEEEENSA_11use_defaultESO_EENS0_5tupleIJNSA_16discard_iteratorISO_EES6_EEENSQ_IJSG_SG_EEES6_PlJS6_EEE10hipError_tPvRmT3_T4_T5_T6_T7_T9_mT8_P12ihipStream_tbDpT10_ENKUlT_T0_E_clISt17integral_constantIbLb1EES1E_IbLb0EEEEDaS1A_S1B_EUlS1A_E_NS1_11comp_targetILNS1_3genE9ELNS1_11target_archE1100ELNS1_3gpuE3ELNS1_3repE0EEENS1_30default_config_static_selectorELNS0_4arch9wavefront6targetE0EEEvT1_, .Lfunc_end2835-_ZN7rocprim17ROCPRIM_400000_NS6detail17trampoline_kernelINS0_14default_configENS1_25partition_config_selectorILNS1_17partition_subalgoE5EsNS0_10empty_typeEbEEZZNS1_14partition_implILS5_5ELb0ES3_mN6thrust23THRUST_200600_302600_NS6detail15normal_iteratorINSA_10device_ptrIsEEEEPS6_NSA_18transform_iteratorINSB_9not_fun_tI7is_trueIsEEENSC_INSD_IbEEEENSA_11use_defaultESO_EENS0_5tupleIJNSA_16discard_iteratorISO_EES6_EEENSQ_IJSG_SG_EEES6_PlJS6_EEE10hipError_tPvRmT3_T4_T5_T6_T7_T9_mT8_P12ihipStream_tbDpT10_ENKUlT_T0_E_clISt17integral_constantIbLb1EES1E_IbLb0EEEEDaS1A_S1B_EUlS1A_E_NS1_11comp_targetILNS1_3genE9ELNS1_11target_archE1100ELNS1_3gpuE3ELNS1_3repE0EEENS1_30default_config_static_selectorELNS0_4arch9wavefront6targetE0EEEvT1_
                                        ; -- End function
	.set _ZN7rocprim17ROCPRIM_400000_NS6detail17trampoline_kernelINS0_14default_configENS1_25partition_config_selectorILNS1_17partition_subalgoE5EsNS0_10empty_typeEbEEZZNS1_14partition_implILS5_5ELb0ES3_mN6thrust23THRUST_200600_302600_NS6detail15normal_iteratorINSA_10device_ptrIsEEEEPS6_NSA_18transform_iteratorINSB_9not_fun_tI7is_trueIsEEENSC_INSD_IbEEEENSA_11use_defaultESO_EENS0_5tupleIJNSA_16discard_iteratorISO_EES6_EEENSQ_IJSG_SG_EEES6_PlJS6_EEE10hipError_tPvRmT3_T4_T5_T6_T7_T9_mT8_P12ihipStream_tbDpT10_ENKUlT_T0_E_clISt17integral_constantIbLb1EES1E_IbLb0EEEEDaS1A_S1B_EUlS1A_E_NS1_11comp_targetILNS1_3genE9ELNS1_11target_archE1100ELNS1_3gpuE3ELNS1_3repE0EEENS1_30default_config_static_selectorELNS0_4arch9wavefront6targetE0EEEvT1_.num_vgpr, 0
	.set _ZN7rocprim17ROCPRIM_400000_NS6detail17trampoline_kernelINS0_14default_configENS1_25partition_config_selectorILNS1_17partition_subalgoE5EsNS0_10empty_typeEbEEZZNS1_14partition_implILS5_5ELb0ES3_mN6thrust23THRUST_200600_302600_NS6detail15normal_iteratorINSA_10device_ptrIsEEEEPS6_NSA_18transform_iteratorINSB_9not_fun_tI7is_trueIsEEENSC_INSD_IbEEEENSA_11use_defaultESO_EENS0_5tupleIJNSA_16discard_iteratorISO_EES6_EEENSQ_IJSG_SG_EEES6_PlJS6_EEE10hipError_tPvRmT3_T4_T5_T6_T7_T9_mT8_P12ihipStream_tbDpT10_ENKUlT_T0_E_clISt17integral_constantIbLb1EES1E_IbLb0EEEEDaS1A_S1B_EUlS1A_E_NS1_11comp_targetILNS1_3genE9ELNS1_11target_archE1100ELNS1_3gpuE3ELNS1_3repE0EEENS1_30default_config_static_selectorELNS0_4arch9wavefront6targetE0EEEvT1_.num_agpr, 0
	.set _ZN7rocprim17ROCPRIM_400000_NS6detail17trampoline_kernelINS0_14default_configENS1_25partition_config_selectorILNS1_17partition_subalgoE5EsNS0_10empty_typeEbEEZZNS1_14partition_implILS5_5ELb0ES3_mN6thrust23THRUST_200600_302600_NS6detail15normal_iteratorINSA_10device_ptrIsEEEEPS6_NSA_18transform_iteratorINSB_9not_fun_tI7is_trueIsEEENSC_INSD_IbEEEENSA_11use_defaultESO_EENS0_5tupleIJNSA_16discard_iteratorISO_EES6_EEENSQ_IJSG_SG_EEES6_PlJS6_EEE10hipError_tPvRmT3_T4_T5_T6_T7_T9_mT8_P12ihipStream_tbDpT10_ENKUlT_T0_E_clISt17integral_constantIbLb1EES1E_IbLb0EEEEDaS1A_S1B_EUlS1A_E_NS1_11comp_targetILNS1_3genE9ELNS1_11target_archE1100ELNS1_3gpuE3ELNS1_3repE0EEENS1_30default_config_static_selectorELNS0_4arch9wavefront6targetE0EEEvT1_.numbered_sgpr, 0
	.set _ZN7rocprim17ROCPRIM_400000_NS6detail17trampoline_kernelINS0_14default_configENS1_25partition_config_selectorILNS1_17partition_subalgoE5EsNS0_10empty_typeEbEEZZNS1_14partition_implILS5_5ELb0ES3_mN6thrust23THRUST_200600_302600_NS6detail15normal_iteratorINSA_10device_ptrIsEEEEPS6_NSA_18transform_iteratorINSB_9not_fun_tI7is_trueIsEEENSC_INSD_IbEEEENSA_11use_defaultESO_EENS0_5tupleIJNSA_16discard_iteratorISO_EES6_EEENSQ_IJSG_SG_EEES6_PlJS6_EEE10hipError_tPvRmT3_T4_T5_T6_T7_T9_mT8_P12ihipStream_tbDpT10_ENKUlT_T0_E_clISt17integral_constantIbLb1EES1E_IbLb0EEEEDaS1A_S1B_EUlS1A_E_NS1_11comp_targetILNS1_3genE9ELNS1_11target_archE1100ELNS1_3gpuE3ELNS1_3repE0EEENS1_30default_config_static_selectorELNS0_4arch9wavefront6targetE0EEEvT1_.num_named_barrier, 0
	.set _ZN7rocprim17ROCPRIM_400000_NS6detail17trampoline_kernelINS0_14default_configENS1_25partition_config_selectorILNS1_17partition_subalgoE5EsNS0_10empty_typeEbEEZZNS1_14partition_implILS5_5ELb0ES3_mN6thrust23THRUST_200600_302600_NS6detail15normal_iteratorINSA_10device_ptrIsEEEEPS6_NSA_18transform_iteratorINSB_9not_fun_tI7is_trueIsEEENSC_INSD_IbEEEENSA_11use_defaultESO_EENS0_5tupleIJNSA_16discard_iteratorISO_EES6_EEENSQ_IJSG_SG_EEES6_PlJS6_EEE10hipError_tPvRmT3_T4_T5_T6_T7_T9_mT8_P12ihipStream_tbDpT10_ENKUlT_T0_E_clISt17integral_constantIbLb1EES1E_IbLb0EEEEDaS1A_S1B_EUlS1A_E_NS1_11comp_targetILNS1_3genE9ELNS1_11target_archE1100ELNS1_3gpuE3ELNS1_3repE0EEENS1_30default_config_static_selectorELNS0_4arch9wavefront6targetE0EEEvT1_.private_seg_size, 0
	.set _ZN7rocprim17ROCPRIM_400000_NS6detail17trampoline_kernelINS0_14default_configENS1_25partition_config_selectorILNS1_17partition_subalgoE5EsNS0_10empty_typeEbEEZZNS1_14partition_implILS5_5ELb0ES3_mN6thrust23THRUST_200600_302600_NS6detail15normal_iteratorINSA_10device_ptrIsEEEEPS6_NSA_18transform_iteratorINSB_9not_fun_tI7is_trueIsEEENSC_INSD_IbEEEENSA_11use_defaultESO_EENS0_5tupleIJNSA_16discard_iteratorISO_EES6_EEENSQ_IJSG_SG_EEES6_PlJS6_EEE10hipError_tPvRmT3_T4_T5_T6_T7_T9_mT8_P12ihipStream_tbDpT10_ENKUlT_T0_E_clISt17integral_constantIbLb1EES1E_IbLb0EEEEDaS1A_S1B_EUlS1A_E_NS1_11comp_targetILNS1_3genE9ELNS1_11target_archE1100ELNS1_3gpuE3ELNS1_3repE0EEENS1_30default_config_static_selectorELNS0_4arch9wavefront6targetE0EEEvT1_.uses_vcc, 0
	.set _ZN7rocprim17ROCPRIM_400000_NS6detail17trampoline_kernelINS0_14default_configENS1_25partition_config_selectorILNS1_17partition_subalgoE5EsNS0_10empty_typeEbEEZZNS1_14partition_implILS5_5ELb0ES3_mN6thrust23THRUST_200600_302600_NS6detail15normal_iteratorINSA_10device_ptrIsEEEEPS6_NSA_18transform_iteratorINSB_9not_fun_tI7is_trueIsEEENSC_INSD_IbEEEENSA_11use_defaultESO_EENS0_5tupleIJNSA_16discard_iteratorISO_EES6_EEENSQ_IJSG_SG_EEES6_PlJS6_EEE10hipError_tPvRmT3_T4_T5_T6_T7_T9_mT8_P12ihipStream_tbDpT10_ENKUlT_T0_E_clISt17integral_constantIbLb1EES1E_IbLb0EEEEDaS1A_S1B_EUlS1A_E_NS1_11comp_targetILNS1_3genE9ELNS1_11target_archE1100ELNS1_3gpuE3ELNS1_3repE0EEENS1_30default_config_static_selectorELNS0_4arch9wavefront6targetE0EEEvT1_.uses_flat_scratch, 0
	.set _ZN7rocprim17ROCPRIM_400000_NS6detail17trampoline_kernelINS0_14default_configENS1_25partition_config_selectorILNS1_17partition_subalgoE5EsNS0_10empty_typeEbEEZZNS1_14partition_implILS5_5ELb0ES3_mN6thrust23THRUST_200600_302600_NS6detail15normal_iteratorINSA_10device_ptrIsEEEEPS6_NSA_18transform_iteratorINSB_9not_fun_tI7is_trueIsEEENSC_INSD_IbEEEENSA_11use_defaultESO_EENS0_5tupleIJNSA_16discard_iteratorISO_EES6_EEENSQ_IJSG_SG_EEES6_PlJS6_EEE10hipError_tPvRmT3_T4_T5_T6_T7_T9_mT8_P12ihipStream_tbDpT10_ENKUlT_T0_E_clISt17integral_constantIbLb1EES1E_IbLb0EEEEDaS1A_S1B_EUlS1A_E_NS1_11comp_targetILNS1_3genE9ELNS1_11target_archE1100ELNS1_3gpuE3ELNS1_3repE0EEENS1_30default_config_static_selectorELNS0_4arch9wavefront6targetE0EEEvT1_.has_dyn_sized_stack, 0
	.set _ZN7rocprim17ROCPRIM_400000_NS6detail17trampoline_kernelINS0_14default_configENS1_25partition_config_selectorILNS1_17partition_subalgoE5EsNS0_10empty_typeEbEEZZNS1_14partition_implILS5_5ELb0ES3_mN6thrust23THRUST_200600_302600_NS6detail15normal_iteratorINSA_10device_ptrIsEEEEPS6_NSA_18transform_iteratorINSB_9not_fun_tI7is_trueIsEEENSC_INSD_IbEEEENSA_11use_defaultESO_EENS0_5tupleIJNSA_16discard_iteratorISO_EES6_EEENSQ_IJSG_SG_EEES6_PlJS6_EEE10hipError_tPvRmT3_T4_T5_T6_T7_T9_mT8_P12ihipStream_tbDpT10_ENKUlT_T0_E_clISt17integral_constantIbLb1EES1E_IbLb0EEEEDaS1A_S1B_EUlS1A_E_NS1_11comp_targetILNS1_3genE9ELNS1_11target_archE1100ELNS1_3gpuE3ELNS1_3repE0EEENS1_30default_config_static_selectorELNS0_4arch9wavefront6targetE0EEEvT1_.has_recursion, 0
	.set _ZN7rocprim17ROCPRIM_400000_NS6detail17trampoline_kernelINS0_14default_configENS1_25partition_config_selectorILNS1_17partition_subalgoE5EsNS0_10empty_typeEbEEZZNS1_14partition_implILS5_5ELb0ES3_mN6thrust23THRUST_200600_302600_NS6detail15normal_iteratorINSA_10device_ptrIsEEEEPS6_NSA_18transform_iteratorINSB_9not_fun_tI7is_trueIsEEENSC_INSD_IbEEEENSA_11use_defaultESO_EENS0_5tupleIJNSA_16discard_iteratorISO_EES6_EEENSQ_IJSG_SG_EEES6_PlJS6_EEE10hipError_tPvRmT3_T4_T5_T6_T7_T9_mT8_P12ihipStream_tbDpT10_ENKUlT_T0_E_clISt17integral_constantIbLb1EES1E_IbLb0EEEEDaS1A_S1B_EUlS1A_E_NS1_11comp_targetILNS1_3genE9ELNS1_11target_archE1100ELNS1_3gpuE3ELNS1_3repE0EEENS1_30default_config_static_selectorELNS0_4arch9wavefront6targetE0EEEvT1_.has_indirect_call, 0
	.section	.AMDGPU.csdata,"",@progbits
; Kernel info:
; codeLenInByte = 0
; TotalNumSgprs: 0
; NumVgprs: 0
; ScratchSize: 0
; MemoryBound: 0
; FloatMode: 240
; IeeeMode: 1
; LDSByteSize: 0 bytes/workgroup (compile time only)
; SGPRBlocks: 0
; VGPRBlocks: 0
; NumSGPRsForWavesPerEU: 1
; NumVGPRsForWavesPerEU: 1
; Occupancy: 16
; WaveLimiterHint : 0
; COMPUTE_PGM_RSRC2:SCRATCH_EN: 0
; COMPUTE_PGM_RSRC2:USER_SGPR: 2
; COMPUTE_PGM_RSRC2:TRAP_HANDLER: 0
; COMPUTE_PGM_RSRC2:TGID_X_EN: 1
; COMPUTE_PGM_RSRC2:TGID_Y_EN: 0
; COMPUTE_PGM_RSRC2:TGID_Z_EN: 0
; COMPUTE_PGM_RSRC2:TIDIG_COMP_CNT: 0
	.section	.text._ZN7rocprim17ROCPRIM_400000_NS6detail17trampoline_kernelINS0_14default_configENS1_25partition_config_selectorILNS1_17partition_subalgoE5EsNS0_10empty_typeEbEEZZNS1_14partition_implILS5_5ELb0ES3_mN6thrust23THRUST_200600_302600_NS6detail15normal_iteratorINSA_10device_ptrIsEEEEPS6_NSA_18transform_iteratorINSB_9not_fun_tI7is_trueIsEEENSC_INSD_IbEEEENSA_11use_defaultESO_EENS0_5tupleIJNSA_16discard_iteratorISO_EES6_EEENSQ_IJSG_SG_EEES6_PlJS6_EEE10hipError_tPvRmT3_T4_T5_T6_T7_T9_mT8_P12ihipStream_tbDpT10_ENKUlT_T0_E_clISt17integral_constantIbLb1EES1E_IbLb0EEEEDaS1A_S1B_EUlS1A_E_NS1_11comp_targetILNS1_3genE8ELNS1_11target_archE1030ELNS1_3gpuE2ELNS1_3repE0EEENS1_30default_config_static_selectorELNS0_4arch9wavefront6targetE0EEEvT1_,"axG",@progbits,_ZN7rocprim17ROCPRIM_400000_NS6detail17trampoline_kernelINS0_14default_configENS1_25partition_config_selectorILNS1_17partition_subalgoE5EsNS0_10empty_typeEbEEZZNS1_14partition_implILS5_5ELb0ES3_mN6thrust23THRUST_200600_302600_NS6detail15normal_iteratorINSA_10device_ptrIsEEEEPS6_NSA_18transform_iteratorINSB_9not_fun_tI7is_trueIsEEENSC_INSD_IbEEEENSA_11use_defaultESO_EENS0_5tupleIJNSA_16discard_iteratorISO_EES6_EEENSQ_IJSG_SG_EEES6_PlJS6_EEE10hipError_tPvRmT3_T4_T5_T6_T7_T9_mT8_P12ihipStream_tbDpT10_ENKUlT_T0_E_clISt17integral_constantIbLb1EES1E_IbLb0EEEEDaS1A_S1B_EUlS1A_E_NS1_11comp_targetILNS1_3genE8ELNS1_11target_archE1030ELNS1_3gpuE2ELNS1_3repE0EEENS1_30default_config_static_selectorELNS0_4arch9wavefront6targetE0EEEvT1_,comdat
	.protected	_ZN7rocprim17ROCPRIM_400000_NS6detail17trampoline_kernelINS0_14default_configENS1_25partition_config_selectorILNS1_17partition_subalgoE5EsNS0_10empty_typeEbEEZZNS1_14partition_implILS5_5ELb0ES3_mN6thrust23THRUST_200600_302600_NS6detail15normal_iteratorINSA_10device_ptrIsEEEEPS6_NSA_18transform_iteratorINSB_9not_fun_tI7is_trueIsEEENSC_INSD_IbEEEENSA_11use_defaultESO_EENS0_5tupleIJNSA_16discard_iteratorISO_EES6_EEENSQ_IJSG_SG_EEES6_PlJS6_EEE10hipError_tPvRmT3_T4_T5_T6_T7_T9_mT8_P12ihipStream_tbDpT10_ENKUlT_T0_E_clISt17integral_constantIbLb1EES1E_IbLb0EEEEDaS1A_S1B_EUlS1A_E_NS1_11comp_targetILNS1_3genE8ELNS1_11target_archE1030ELNS1_3gpuE2ELNS1_3repE0EEENS1_30default_config_static_selectorELNS0_4arch9wavefront6targetE0EEEvT1_ ; -- Begin function _ZN7rocprim17ROCPRIM_400000_NS6detail17trampoline_kernelINS0_14default_configENS1_25partition_config_selectorILNS1_17partition_subalgoE5EsNS0_10empty_typeEbEEZZNS1_14partition_implILS5_5ELb0ES3_mN6thrust23THRUST_200600_302600_NS6detail15normal_iteratorINSA_10device_ptrIsEEEEPS6_NSA_18transform_iteratorINSB_9not_fun_tI7is_trueIsEEENSC_INSD_IbEEEENSA_11use_defaultESO_EENS0_5tupleIJNSA_16discard_iteratorISO_EES6_EEENSQ_IJSG_SG_EEES6_PlJS6_EEE10hipError_tPvRmT3_T4_T5_T6_T7_T9_mT8_P12ihipStream_tbDpT10_ENKUlT_T0_E_clISt17integral_constantIbLb1EES1E_IbLb0EEEEDaS1A_S1B_EUlS1A_E_NS1_11comp_targetILNS1_3genE8ELNS1_11target_archE1030ELNS1_3gpuE2ELNS1_3repE0EEENS1_30default_config_static_selectorELNS0_4arch9wavefront6targetE0EEEvT1_
	.globl	_ZN7rocprim17ROCPRIM_400000_NS6detail17trampoline_kernelINS0_14default_configENS1_25partition_config_selectorILNS1_17partition_subalgoE5EsNS0_10empty_typeEbEEZZNS1_14partition_implILS5_5ELb0ES3_mN6thrust23THRUST_200600_302600_NS6detail15normal_iteratorINSA_10device_ptrIsEEEEPS6_NSA_18transform_iteratorINSB_9not_fun_tI7is_trueIsEEENSC_INSD_IbEEEENSA_11use_defaultESO_EENS0_5tupleIJNSA_16discard_iteratorISO_EES6_EEENSQ_IJSG_SG_EEES6_PlJS6_EEE10hipError_tPvRmT3_T4_T5_T6_T7_T9_mT8_P12ihipStream_tbDpT10_ENKUlT_T0_E_clISt17integral_constantIbLb1EES1E_IbLb0EEEEDaS1A_S1B_EUlS1A_E_NS1_11comp_targetILNS1_3genE8ELNS1_11target_archE1030ELNS1_3gpuE2ELNS1_3repE0EEENS1_30default_config_static_selectorELNS0_4arch9wavefront6targetE0EEEvT1_
	.p2align	8
	.type	_ZN7rocprim17ROCPRIM_400000_NS6detail17trampoline_kernelINS0_14default_configENS1_25partition_config_selectorILNS1_17partition_subalgoE5EsNS0_10empty_typeEbEEZZNS1_14partition_implILS5_5ELb0ES3_mN6thrust23THRUST_200600_302600_NS6detail15normal_iteratorINSA_10device_ptrIsEEEEPS6_NSA_18transform_iteratorINSB_9not_fun_tI7is_trueIsEEENSC_INSD_IbEEEENSA_11use_defaultESO_EENS0_5tupleIJNSA_16discard_iteratorISO_EES6_EEENSQ_IJSG_SG_EEES6_PlJS6_EEE10hipError_tPvRmT3_T4_T5_T6_T7_T9_mT8_P12ihipStream_tbDpT10_ENKUlT_T0_E_clISt17integral_constantIbLb1EES1E_IbLb0EEEEDaS1A_S1B_EUlS1A_E_NS1_11comp_targetILNS1_3genE8ELNS1_11target_archE1030ELNS1_3gpuE2ELNS1_3repE0EEENS1_30default_config_static_selectorELNS0_4arch9wavefront6targetE0EEEvT1_,@function
_ZN7rocprim17ROCPRIM_400000_NS6detail17trampoline_kernelINS0_14default_configENS1_25partition_config_selectorILNS1_17partition_subalgoE5EsNS0_10empty_typeEbEEZZNS1_14partition_implILS5_5ELb0ES3_mN6thrust23THRUST_200600_302600_NS6detail15normal_iteratorINSA_10device_ptrIsEEEEPS6_NSA_18transform_iteratorINSB_9not_fun_tI7is_trueIsEEENSC_INSD_IbEEEENSA_11use_defaultESO_EENS0_5tupleIJNSA_16discard_iteratorISO_EES6_EEENSQ_IJSG_SG_EEES6_PlJS6_EEE10hipError_tPvRmT3_T4_T5_T6_T7_T9_mT8_P12ihipStream_tbDpT10_ENKUlT_T0_E_clISt17integral_constantIbLb1EES1E_IbLb0EEEEDaS1A_S1B_EUlS1A_E_NS1_11comp_targetILNS1_3genE8ELNS1_11target_archE1030ELNS1_3gpuE2ELNS1_3repE0EEENS1_30default_config_static_selectorELNS0_4arch9wavefront6targetE0EEEvT1_: ; @_ZN7rocprim17ROCPRIM_400000_NS6detail17trampoline_kernelINS0_14default_configENS1_25partition_config_selectorILNS1_17partition_subalgoE5EsNS0_10empty_typeEbEEZZNS1_14partition_implILS5_5ELb0ES3_mN6thrust23THRUST_200600_302600_NS6detail15normal_iteratorINSA_10device_ptrIsEEEEPS6_NSA_18transform_iteratorINSB_9not_fun_tI7is_trueIsEEENSC_INSD_IbEEEENSA_11use_defaultESO_EENS0_5tupleIJNSA_16discard_iteratorISO_EES6_EEENSQ_IJSG_SG_EEES6_PlJS6_EEE10hipError_tPvRmT3_T4_T5_T6_T7_T9_mT8_P12ihipStream_tbDpT10_ENKUlT_T0_E_clISt17integral_constantIbLb1EES1E_IbLb0EEEEDaS1A_S1B_EUlS1A_E_NS1_11comp_targetILNS1_3genE8ELNS1_11target_archE1030ELNS1_3gpuE2ELNS1_3repE0EEENS1_30default_config_static_selectorELNS0_4arch9wavefront6targetE0EEEvT1_
; %bb.0:
	.section	.rodata,"a",@progbits
	.p2align	6, 0x0
	.amdhsa_kernel _ZN7rocprim17ROCPRIM_400000_NS6detail17trampoline_kernelINS0_14default_configENS1_25partition_config_selectorILNS1_17partition_subalgoE5EsNS0_10empty_typeEbEEZZNS1_14partition_implILS5_5ELb0ES3_mN6thrust23THRUST_200600_302600_NS6detail15normal_iteratorINSA_10device_ptrIsEEEEPS6_NSA_18transform_iteratorINSB_9not_fun_tI7is_trueIsEEENSC_INSD_IbEEEENSA_11use_defaultESO_EENS0_5tupleIJNSA_16discard_iteratorISO_EES6_EEENSQ_IJSG_SG_EEES6_PlJS6_EEE10hipError_tPvRmT3_T4_T5_T6_T7_T9_mT8_P12ihipStream_tbDpT10_ENKUlT_T0_E_clISt17integral_constantIbLb1EES1E_IbLb0EEEEDaS1A_S1B_EUlS1A_E_NS1_11comp_targetILNS1_3genE8ELNS1_11target_archE1030ELNS1_3gpuE2ELNS1_3repE0EEENS1_30default_config_static_selectorELNS0_4arch9wavefront6targetE0EEEvT1_
		.amdhsa_group_segment_fixed_size 0
		.amdhsa_private_segment_fixed_size 0
		.amdhsa_kernarg_size 128
		.amdhsa_user_sgpr_count 2
		.amdhsa_user_sgpr_dispatch_ptr 0
		.amdhsa_user_sgpr_queue_ptr 0
		.amdhsa_user_sgpr_kernarg_segment_ptr 1
		.amdhsa_user_sgpr_dispatch_id 0
		.amdhsa_user_sgpr_private_segment_size 0
		.amdhsa_wavefront_size32 1
		.amdhsa_uses_dynamic_stack 0
		.amdhsa_enable_private_segment 0
		.amdhsa_system_sgpr_workgroup_id_x 1
		.amdhsa_system_sgpr_workgroup_id_y 0
		.amdhsa_system_sgpr_workgroup_id_z 0
		.amdhsa_system_sgpr_workgroup_info 0
		.amdhsa_system_vgpr_workitem_id 0
		.amdhsa_next_free_vgpr 1
		.amdhsa_next_free_sgpr 1
		.amdhsa_reserve_vcc 0
		.amdhsa_float_round_mode_32 0
		.amdhsa_float_round_mode_16_64 0
		.amdhsa_float_denorm_mode_32 3
		.amdhsa_float_denorm_mode_16_64 3
		.amdhsa_fp16_overflow 0
		.amdhsa_workgroup_processor_mode 1
		.amdhsa_memory_ordered 1
		.amdhsa_forward_progress 1
		.amdhsa_inst_pref_size 0
		.amdhsa_round_robin_scheduling 0
		.amdhsa_exception_fp_ieee_invalid_op 0
		.amdhsa_exception_fp_denorm_src 0
		.amdhsa_exception_fp_ieee_div_zero 0
		.amdhsa_exception_fp_ieee_overflow 0
		.amdhsa_exception_fp_ieee_underflow 0
		.amdhsa_exception_fp_ieee_inexact 0
		.amdhsa_exception_int_div_zero 0
	.end_amdhsa_kernel
	.section	.text._ZN7rocprim17ROCPRIM_400000_NS6detail17trampoline_kernelINS0_14default_configENS1_25partition_config_selectorILNS1_17partition_subalgoE5EsNS0_10empty_typeEbEEZZNS1_14partition_implILS5_5ELb0ES3_mN6thrust23THRUST_200600_302600_NS6detail15normal_iteratorINSA_10device_ptrIsEEEEPS6_NSA_18transform_iteratorINSB_9not_fun_tI7is_trueIsEEENSC_INSD_IbEEEENSA_11use_defaultESO_EENS0_5tupleIJNSA_16discard_iteratorISO_EES6_EEENSQ_IJSG_SG_EEES6_PlJS6_EEE10hipError_tPvRmT3_T4_T5_T6_T7_T9_mT8_P12ihipStream_tbDpT10_ENKUlT_T0_E_clISt17integral_constantIbLb1EES1E_IbLb0EEEEDaS1A_S1B_EUlS1A_E_NS1_11comp_targetILNS1_3genE8ELNS1_11target_archE1030ELNS1_3gpuE2ELNS1_3repE0EEENS1_30default_config_static_selectorELNS0_4arch9wavefront6targetE0EEEvT1_,"axG",@progbits,_ZN7rocprim17ROCPRIM_400000_NS6detail17trampoline_kernelINS0_14default_configENS1_25partition_config_selectorILNS1_17partition_subalgoE5EsNS0_10empty_typeEbEEZZNS1_14partition_implILS5_5ELb0ES3_mN6thrust23THRUST_200600_302600_NS6detail15normal_iteratorINSA_10device_ptrIsEEEEPS6_NSA_18transform_iteratorINSB_9not_fun_tI7is_trueIsEEENSC_INSD_IbEEEENSA_11use_defaultESO_EENS0_5tupleIJNSA_16discard_iteratorISO_EES6_EEENSQ_IJSG_SG_EEES6_PlJS6_EEE10hipError_tPvRmT3_T4_T5_T6_T7_T9_mT8_P12ihipStream_tbDpT10_ENKUlT_T0_E_clISt17integral_constantIbLb1EES1E_IbLb0EEEEDaS1A_S1B_EUlS1A_E_NS1_11comp_targetILNS1_3genE8ELNS1_11target_archE1030ELNS1_3gpuE2ELNS1_3repE0EEENS1_30default_config_static_selectorELNS0_4arch9wavefront6targetE0EEEvT1_,comdat
.Lfunc_end2836:
	.size	_ZN7rocprim17ROCPRIM_400000_NS6detail17trampoline_kernelINS0_14default_configENS1_25partition_config_selectorILNS1_17partition_subalgoE5EsNS0_10empty_typeEbEEZZNS1_14partition_implILS5_5ELb0ES3_mN6thrust23THRUST_200600_302600_NS6detail15normal_iteratorINSA_10device_ptrIsEEEEPS6_NSA_18transform_iteratorINSB_9not_fun_tI7is_trueIsEEENSC_INSD_IbEEEENSA_11use_defaultESO_EENS0_5tupleIJNSA_16discard_iteratorISO_EES6_EEENSQ_IJSG_SG_EEES6_PlJS6_EEE10hipError_tPvRmT3_T4_T5_T6_T7_T9_mT8_P12ihipStream_tbDpT10_ENKUlT_T0_E_clISt17integral_constantIbLb1EES1E_IbLb0EEEEDaS1A_S1B_EUlS1A_E_NS1_11comp_targetILNS1_3genE8ELNS1_11target_archE1030ELNS1_3gpuE2ELNS1_3repE0EEENS1_30default_config_static_selectorELNS0_4arch9wavefront6targetE0EEEvT1_, .Lfunc_end2836-_ZN7rocprim17ROCPRIM_400000_NS6detail17trampoline_kernelINS0_14default_configENS1_25partition_config_selectorILNS1_17partition_subalgoE5EsNS0_10empty_typeEbEEZZNS1_14partition_implILS5_5ELb0ES3_mN6thrust23THRUST_200600_302600_NS6detail15normal_iteratorINSA_10device_ptrIsEEEEPS6_NSA_18transform_iteratorINSB_9not_fun_tI7is_trueIsEEENSC_INSD_IbEEEENSA_11use_defaultESO_EENS0_5tupleIJNSA_16discard_iteratorISO_EES6_EEENSQ_IJSG_SG_EEES6_PlJS6_EEE10hipError_tPvRmT3_T4_T5_T6_T7_T9_mT8_P12ihipStream_tbDpT10_ENKUlT_T0_E_clISt17integral_constantIbLb1EES1E_IbLb0EEEEDaS1A_S1B_EUlS1A_E_NS1_11comp_targetILNS1_3genE8ELNS1_11target_archE1030ELNS1_3gpuE2ELNS1_3repE0EEENS1_30default_config_static_selectorELNS0_4arch9wavefront6targetE0EEEvT1_
                                        ; -- End function
	.set _ZN7rocprim17ROCPRIM_400000_NS6detail17trampoline_kernelINS0_14default_configENS1_25partition_config_selectorILNS1_17partition_subalgoE5EsNS0_10empty_typeEbEEZZNS1_14partition_implILS5_5ELb0ES3_mN6thrust23THRUST_200600_302600_NS6detail15normal_iteratorINSA_10device_ptrIsEEEEPS6_NSA_18transform_iteratorINSB_9not_fun_tI7is_trueIsEEENSC_INSD_IbEEEENSA_11use_defaultESO_EENS0_5tupleIJNSA_16discard_iteratorISO_EES6_EEENSQ_IJSG_SG_EEES6_PlJS6_EEE10hipError_tPvRmT3_T4_T5_T6_T7_T9_mT8_P12ihipStream_tbDpT10_ENKUlT_T0_E_clISt17integral_constantIbLb1EES1E_IbLb0EEEEDaS1A_S1B_EUlS1A_E_NS1_11comp_targetILNS1_3genE8ELNS1_11target_archE1030ELNS1_3gpuE2ELNS1_3repE0EEENS1_30default_config_static_selectorELNS0_4arch9wavefront6targetE0EEEvT1_.num_vgpr, 0
	.set _ZN7rocprim17ROCPRIM_400000_NS6detail17trampoline_kernelINS0_14default_configENS1_25partition_config_selectorILNS1_17partition_subalgoE5EsNS0_10empty_typeEbEEZZNS1_14partition_implILS5_5ELb0ES3_mN6thrust23THRUST_200600_302600_NS6detail15normal_iteratorINSA_10device_ptrIsEEEEPS6_NSA_18transform_iteratorINSB_9not_fun_tI7is_trueIsEEENSC_INSD_IbEEEENSA_11use_defaultESO_EENS0_5tupleIJNSA_16discard_iteratorISO_EES6_EEENSQ_IJSG_SG_EEES6_PlJS6_EEE10hipError_tPvRmT3_T4_T5_T6_T7_T9_mT8_P12ihipStream_tbDpT10_ENKUlT_T0_E_clISt17integral_constantIbLb1EES1E_IbLb0EEEEDaS1A_S1B_EUlS1A_E_NS1_11comp_targetILNS1_3genE8ELNS1_11target_archE1030ELNS1_3gpuE2ELNS1_3repE0EEENS1_30default_config_static_selectorELNS0_4arch9wavefront6targetE0EEEvT1_.num_agpr, 0
	.set _ZN7rocprim17ROCPRIM_400000_NS6detail17trampoline_kernelINS0_14default_configENS1_25partition_config_selectorILNS1_17partition_subalgoE5EsNS0_10empty_typeEbEEZZNS1_14partition_implILS5_5ELb0ES3_mN6thrust23THRUST_200600_302600_NS6detail15normal_iteratorINSA_10device_ptrIsEEEEPS6_NSA_18transform_iteratorINSB_9not_fun_tI7is_trueIsEEENSC_INSD_IbEEEENSA_11use_defaultESO_EENS0_5tupleIJNSA_16discard_iteratorISO_EES6_EEENSQ_IJSG_SG_EEES6_PlJS6_EEE10hipError_tPvRmT3_T4_T5_T6_T7_T9_mT8_P12ihipStream_tbDpT10_ENKUlT_T0_E_clISt17integral_constantIbLb1EES1E_IbLb0EEEEDaS1A_S1B_EUlS1A_E_NS1_11comp_targetILNS1_3genE8ELNS1_11target_archE1030ELNS1_3gpuE2ELNS1_3repE0EEENS1_30default_config_static_selectorELNS0_4arch9wavefront6targetE0EEEvT1_.numbered_sgpr, 0
	.set _ZN7rocprim17ROCPRIM_400000_NS6detail17trampoline_kernelINS0_14default_configENS1_25partition_config_selectorILNS1_17partition_subalgoE5EsNS0_10empty_typeEbEEZZNS1_14partition_implILS5_5ELb0ES3_mN6thrust23THRUST_200600_302600_NS6detail15normal_iteratorINSA_10device_ptrIsEEEEPS6_NSA_18transform_iteratorINSB_9not_fun_tI7is_trueIsEEENSC_INSD_IbEEEENSA_11use_defaultESO_EENS0_5tupleIJNSA_16discard_iteratorISO_EES6_EEENSQ_IJSG_SG_EEES6_PlJS6_EEE10hipError_tPvRmT3_T4_T5_T6_T7_T9_mT8_P12ihipStream_tbDpT10_ENKUlT_T0_E_clISt17integral_constantIbLb1EES1E_IbLb0EEEEDaS1A_S1B_EUlS1A_E_NS1_11comp_targetILNS1_3genE8ELNS1_11target_archE1030ELNS1_3gpuE2ELNS1_3repE0EEENS1_30default_config_static_selectorELNS0_4arch9wavefront6targetE0EEEvT1_.num_named_barrier, 0
	.set _ZN7rocprim17ROCPRIM_400000_NS6detail17trampoline_kernelINS0_14default_configENS1_25partition_config_selectorILNS1_17partition_subalgoE5EsNS0_10empty_typeEbEEZZNS1_14partition_implILS5_5ELb0ES3_mN6thrust23THRUST_200600_302600_NS6detail15normal_iteratorINSA_10device_ptrIsEEEEPS6_NSA_18transform_iteratorINSB_9not_fun_tI7is_trueIsEEENSC_INSD_IbEEEENSA_11use_defaultESO_EENS0_5tupleIJNSA_16discard_iteratorISO_EES6_EEENSQ_IJSG_SG_EEES6_PlJS6_EEE10hipError_tPvRmT3_T4_T5_T6_T7_T9_mT8_P12ihipStream_tbDpT10_ENKUlT_T0_E_clISt17integral_constantIbLb1EES1E_IbLb0EEEEDaS1A_S1B_EUlS1A_E_NS1_11comp_targetILNS1_3genE8ELNS1_11target_archE1030ELNS1_3gpuE2ELNS1_3repE0EEENS1_30default_config_static_selectorELNS0_4arch9wavefront6targetE0EEEvT1_.private_seg_size, 0
	.set _ZN7rocprim17ROCPRIM_400000_NS6detail17trampoline_kernelINS0_14default_configENS1_25partition_config_selectorILNS1_17partition_subalgoE5EsNS0_10empty_typeEbEEZZNS1_14partition_implILS5_5ELb0ES3_mN6thrust23THRUST_200600_302600_NS6detail15normal_iteratorINSA_10device_ptrIsEEEEPS6_NSA_18transform_iteratorINSB_9not_fun_tI7is_trueIsEEENSC_INSD_IbEEEENSA_11use_defaultESO_EENS0_5tupleIJNSA_16discard_iteratorISO_EES6_EEENSQ_IJSG_SG_EEES6_PlJS6_EEE10hipError_tPvRmT3_T4_T5_T6_T7_T9_mT8_P12ihipStream_tbDpT10_ENKUlT_T0_E_clISt17integral_constantIbLb1EES1E_IbLb0EEEEDaS1A_S1B_EUlS1A_E_NS1_11comp_targetILNS1_3genE8ELNS1_11target_archE1030ELNS1_3gpuE2ELNS1_3repE0EEENS1_30default_config_static_selectorELNS0_4arch9wavefront6targetE0EEEvT1_.uses_vcc, 0
	.set _ZN7rocprim17ROCPRIM_400000_NS6detail17trampoline_kernelINS0_14default_configENS1_25partition_config_selectorILNS1_17partition_subalgoE5EsNS0_10empty_typeEbEEZZNS1_14partition_implILS5_5ELb0ES3_mN6thrust23THRUST_200600_302600_NS6detail15normal_iteratorINSA_10device_ptrIsEEEEPS6_NSA_18transform_iteratorINSB_9not_fun_tI7is_trueIsEEENSC_INSD_IbEEEENSA_11use_defaultESO_EENS0_5tupleIJNSA_16discard_iteratorISO_EES6_EEENSQ_IJSG_SG_EEES6_PlJS6_EEE10hipError_tPvRmT3_T4_T5_T6_T7_T9_mT8_P12ihipStream_tbDpT10_ENKUlT_T0_E_clISt17integral_constantIbLb1EES1E_IbLb0EEEEDaS1A_S1B_EUlS1A_E_NS1_11comp_targetILNS1_3genE8ELNS1_11target_archE1030ELNS1_3gpuE2ELNS1_3repE0EEENS1_30default_config_static_selectorELNS0_4arch9wavefront6targetE0EEEvT1_.uses_flat_scratch, 0
	.set _ZN7rocprim17ROCPRIM_400000_NS6detail17trampoline_kernelINS0_14default_configENS1_25partition_config_selectorILNS1_17partition_subalgoE5EsNS0_10empty_typeEbEEZZNS1_14partition_implILS5_5ELb0ES3_mN6thrust23THRUST_200600_302600_NS6detail15normal_iteratorINSA_10device_ptrIsEEEEPS6_NSA_18transform_iteratorINSB_9not_fun_tI7is_trueIsEEENSC_INSD_IbEEEENSA_11use_defaultESO_EENS0_5tupleIJNSA_16discard_iteratorISO_EES6_EEENSQ_IJSG_SG_EEES6_PlJS6_EEE10hipError_tPvRmT3_T4_T5_T6_T7_T9_mT8_P12ihipStream_tbDpT10_ENKUlT_T0_E_clISt17integral_constantIbLb1EES1E_IbLb0EEEEDaS1A_S1B_EUlS1A_E_NS1_11comp_targetILNS1_3genE8ELNS1_11target_archE1030ELNS1_3gpuE2ELNS1_3repE0EEENS1_30default_config_static_selectorELNS0_4arch9wavefront6targetE0EEEvT1_.has_dyn_sized_stack, 0
	.set _ZN7rocprim17ROCPRIM_400000_NS6detail17trampoline_kernelINS0_14default_configENS1_25partition_config_selectorILNS1_17partition_subalgoE5EsNS0_10empty_typeEbEEZZNS1_14partition_implILS5_5ELb0ES3_mN6thrust23THRUST_200600_302600_NS6detail15normal_iteratorINSA_10device_ptrIsEEEEPS6_NSA_18transform_iteratorINSB_9not_fun_tI7is_trueIsEEENSC_INSD_IbEEEENSA_11use_defaultESO_EENS0_5tupleIJNSA_16discard_iteratorISO_EES6_EEENSQ_IJSG_SG_EEES6_PlJS6_EEE10hipError_tPvRmT3_T4_T5_T6_T7_T9_mT8_P12ihipStream_tbDpT10_ENKUlT_T0_E_clISt17integral_constantIbLb1EES1E_IbLb0EEEEDaS1A_S1B_EUlS1A_E_NS1_11comp_targetILNS1_3genE8ELNS1_11target_archE1030ELNS1_3gpuE2ELNS1_3repE0EEENS1_30default_config_static_selectorELNS0_4arch9wavefront6targetE0EEEvT1_.has_recursion, 0
	.set _ZN7rocprim17ROCPRIM_400000_NS6detail17trampoline_kernelINS0_14default_configENS1_25partition_config_selectorILNS1_17partition_subalgoE5EsNS0_10empty_typeEbEEZZNS1_14partition_implILS5_5ELb0ES3_mN6thrust23THRUST_200600_302600_NS6detail15normal_iteratorINSA_10device_ptrIsEEEEPS6_NSA_18transform_iteratorINSB_9not_fun_tI7is_trueIsEEENSC_INSD_IbEEEENSA_11use_defaultESO_EENS0_5tupleIJNSA_16discard_iteratorISO_EES6_EEENSQ_IJSG_SG_EEES6_PlJS6_EEE10hipError_tPvRmT3_T4_T5_T6_T7_T9_mT8_P12ihipStream_tbDpT10_ENKUlT_T0_E_clISt17integral_constantIbLb1EES1E_IbLb0EEEEDaS1A_S1B_EUlS1A_E_NS1_11comp_targetILNS1_3genE8ELNS1_11target_archE1030ELNS1_3gpuE2ELNS1_3repE0EEENS1_30default_config_static_selectorELNS0_4arch9wavefront6targetE0EEEvT1_.has_indirect_call, 0
	.section	.AMDGPU.csdata,"",@progbits
; Kernel info:
; codeLenInByte = 0
; TotalNumSgprs: 0
; NumVgprs: 0
; ScratchSize: 0
; MemoryBound: 0
; FloatMode: 240
; IeeeMode: 1
; LDSByteSize: 0 bytes/workgroup (compile time only)
; SGPRBlocks: 0
; VGPRBlocks: 0
; NumSGPRsForWavesPerEU: 1
; NumVGPRsForWavesPerEU: 1
; Occupancy: 16
; WaveLimiterHint : 0
; COMPUTE_PGM_RSRC2:SCRATCH_EN: 0
; COMPUTE_PGM_RSRC2:USER_SGPR: 2
; COMPUTE_PGM_RSRC2:TRAP_HANDLER: 0
; COMPUTE_PGM_RSRC2:TGID_X_EN: 1
; COMPUTE_PGM_RSRC2:TGID_Y_EN: 0
; COMPUTE_PGM_RSRC2:TGID_Z_EN: 0
; COMPUTE_PGM_RSRC2:TIDIG_COMP_CNT: 0
	.section	.text._ZN7rocprim17ROCPRIM_400000_NS6detail17trampoline_kernelINS0_14default_configENS1_25partition_config_selectorILNS1_17partition_subalgoE5EsNS0_10empty_typeEbEEZZNS1_14partition_implILS5_5ELb0ES3_mN6thrust23THRUST_200600_302600_NS6detail15normal_iteratorINSA_10device_ptrIsEEEEPS6_NSA_18transform_iteratorINSB_9not_fun_tI7is_trueIsEEENSC_INSD_IbEEEENSA_11use_defaultESO_EENS0_5tupleIJNSA_16discard_iteratorISO_EES6_EEENSQ_IJSG_SG_EEES6_PlJS6_EEE10hipError_tPvRmT3_T4_T5_T6_T7_T9_mT8_P12ihipStream_tbDpT10_ENKUlT_T0_E_clISt17integral_constantIbLb0EES1E_IbLb1EEEEDaS1A_S1B_EUlS1A_E_NS1_11comp_targetILNS1_3genE0ELNS1_11target_archE4294967295ELNS1_3gpuE0ELNS1_3repE0EEENS1_30default_config_static_selectorELNS0_4arch9wavefront6targetE0EEEvT1_,"axG",@progbits,_ZN7rocprim17ROCPRIM_400000_NS6detail17trampoline_kernelINS0_14default_configENS1_25partition_config_selectorILNS1_17partition_subalgoE5EsNS0_10empty_typeEbEEZZNS1_14partition_implILS5_5ELb0ES3_mN6thrust23THRUST_200600_302600_NS6detail15normal_iteratorINSA_10device_ptrIsEEEEPS6_NSA_18transform_iteratorINSB_9not_fun_tI7is_trueIsEEENSC_INSD_IbEEEENSA_11use_defaultESO_EENS0_5tupleIJNSA_16discard_iteratorISO_EES6_EEENSQ_IJSG_SG_EEES6_PlJS6_EEE10hipError_tPvRmT3_T4_T5_T6_T7_T9_mT8_P12ihipStream_tbDpT10_ENKUlT_T0_E_clISt17integral_constantIbLb0EES1E_IbLb1EEEEDaS1A_S1B_EUlS1A_E_NS1_11comp_targetILNS1_3genE0ELNS1_11target_archE4294967295ELNS1_3gpuE0ELNS1_3repE0EEENS1_30default_config_static_selectorELNS0_4arch9wavefront6targetE0EEEvT1_,comdat
	.protected	_ZN7rocprim17ROCPRIM_400000_NS6detail17trampoline_kernelINS0_14default_configENS1_25partition_config_selectorILNS1_17partition_subalgoE5EsNS0_10empty_typeEbEEZZNS1_14partition_implILS5_5ELb0ES3_mN6thrust23THRUST_200600_302600_NS6detail15normal_iteratorINSA_10device_ptrIsEEEEPS6_NSA_18transform_iteratorINSB_9not_fun_tI7is_trueIsEEENSC_INSD_IbEEEENSA_11use_defaultESO_EENS0_5tupleIJNSA_16discard_iteratorISO_EES6_EEENSQ_IJSG_SG_EEES6_PlJS6_EEE10hipError_tPvRmT3_T4_T5_T6_T7_T9_mT8_P12ihipStream_tbDpT10_ENKUlT_T0_E_clISt17integral_constantIbLb0EES1E_IbLb1EEEEDaS1A_S1B_EUlS1A_E_NS1_11comp_targetILNS1_3genE0ELNS1_11target_archE4294967295ELNS1_3gpuE0ELNS1_3repE0EEENS1_30default_config_static_selectorELNS0_4arch9wavefront6targetE0EEEvT1_ ; -- Begin function _ZN7rocprim17ROCPRIM_400000_NS6detail17trampoline_kernelINS0_14default_configENS1_25partition_config_selectorILNS1_17partition_subalgoE5EsNS0_10empty_typeEbEEZZNS1_14partition_implILS5_5ELb0ES3_mN6thrust23THRUST_200600_302600_NS6detail15normal_iteratorINSA_10device_ptrIsEEEEPS6_NSA_18transform_iteratorINSB_9not_fun_tI7is_trueIsEEENSC_INSD_IbEEEENSA_11use_defaultESO_EENS0_5tupleIJNSA_16discard_iteratorISO_EES6_EEENSQ_IJSG_SG_EEES6_PlJS6_EEE10hipError_tPvRmT3_T4_T5_T6_T7_T9_mT8_P12ihipStream_tbDpT10_ENKUlT_T0_E_clISt17integral_constantIbLb0EES1E_IbLb1EEEEDaS1A_S1B_EUlS1A_E_NS1_11comp_targetILNS1_3genE0ELNS1_11target_archE4294967295ELNS1_3gpuE0ELNS1_3repE0EEENS1_30default_config_static_selectorELNS0_4arch9wavefront6targetE0EEEvT1_
	.globl	_ZN7rocprim17ROCPRIM_400000_NS6detail17trampoline_kernelINS0_14default_configENS1_25partition_config_selectorILNS1_17partition_subalgoE5EsNS0_10empty_typeEbEEZZNS1_14partition_implILS5_5ELb0ES3_mN6thrust23THRUST_200600_302600_NS6detail15normal_iteratorINSA_10device_ptrIsEEEEPS6_NSA_18transform_iteratorINSB_9not_fun_tI7is_trueIsEEENSC_INSD_IbEEEENSA_11use_defaultESO_EENS0_5tupleIJNSA_16discard_iteratorISO_EES6_EEENSQ_IJSG_SG_EEES6_PlJS6_EEE10hipError_tPvRmT3_T4_T5_T6_T7_T9_mT8_P12ihipStream_tbDpT10_ENKUlT_T0_E_clISt17integral_constantIbLb0EES1E_IbLb1EEEEDaS1A_S1B_EUlS1A_E_NS1_11comp_targetILNS1_3genE0ELNS1_11target_archE4294967295ELNS1_3gpuE0ELNS1_3repE0EEENS1_30default_config_static_selectorELNS0_4arch9wavefront6targetE0EEEvT1_
	.p2align	8
	.type	_ZN7rocprim17ROCPRIM_400000_NS6detail17trampoline_kernelINS0_14default_configENS1_25partition_config_selectorILNS1_17partition_subalgoE5EsNS0_10empty_typeEbEEZZNS1_14partition_implILS5_5ELb0ES3_mN6thrust23THRUST_200600_302600_NS6detail15normal_iteratorINSA_10device_ptrIsEEEEPS6_NSA_18transform_iteratorINSB_9not_fun_tI7is_trueIsEEENSC_INSD_IbEEEENSA_11use_defaultESO_EENS0_5tupleIJNSA_16discard_iteratorISO_EES6_EEENSQ_IJSG_SG_EEES6_PlJS6_EEE10hipError_tPvRmT3_T4_T5_T6_T7_T9_mT8_P12ihipStream_tbDpT10_ENKUlT_T0_E_clISt17integral_constantIbLb0EES1E_IbLb1EEEEDaS1A_S1B_EUlS1A_E_NS1_11comp_targetILNS1_3genE0ELNS1_11target_archE4294967295ELNS1_3gpuE0ELNS1_3repE0EEENS1_30default_config_static_selectorELNS0_4arch9wavefront6targetE0EEEvT1_,@function
_ZN7rocprim17ROCPRIM_400000_NS6detail17trampoline_kernelINS0_14default_configENS1_25partition_config_selectorILNS1_17partition_subalgoE5EsNS0_10empty_typeEbEEZZNS1_14partition_implILS5_5ELb0ES3_mN6thrust23THRUST_200600_302600_NS6detail15normal_iteratorINSA_10device_ptrIsEEEEPS6_NSA_18transform_iteratorINSB_9not_fun_tI7is_trueIsEEENSC_INSD_IbEEEENSA_11use_defaultESO_EENS0_5tupleIJNSA_16discard_iteratorISO_EES6_EEENSQ_IJSG_SG_EEES6_PlJS6_EEE10hipError_tPvRmT3_T4_T5_T6_T7_T9_mT8_P12ihipStream_tbDpT10_ENKUlT_T0_E_clISt17integral_constantIbLb0EES1E_IbLb1EEEEDaS1A_S1B_EUlS1A_E_NS1_11comp_targetILNS1_3genE0ELNS1_11target_archE4294967295ELNS1_3gpuE0ELNS1_3repE0EEENS1_30default_config_static_selectorELNS0_4arch9wavefront6targetE0EEEvT1_: ; @_ZN7rocprim17ROCPRIM_400000_NS6detail17trampoline_kernelINS0_14default_configENS1_25partition_config_selectorILNS1_17partition_subalgoE5EsNS0_10empty_typeEbEEZZNS1_14partition_implILS5_5ELb0ES3_mN6thrust23THRUST_200600_302600_NS6detail15normal_iteratorINSA_10device_ptrIsEEEEPS6_NSA_18transform_iteratorINSB_9not_fun_tI7is_trueIsEEENSC_INSD_IbEEEENSA_11use_defaultESO_EENS0_5tupleIJNSA_16discard_iteratorISO_EES6_EEENSQ_IJSG_SG_EEES6_PlJS6_EEE10hipError_tPvRmT3_T4_T5_T6_T7_T9_mT8_P12ihipStream_tbDpT10_ENKUlT_T0_E_clISt17integral_constantIbLb0EES1E_IbLb1EEEEDaS1A_S1B_EUlS1A_E_NS1_11comp_targetILNS1_3genE0ELNS1_11target_archE4294967295ELNS1_3gpuE0ELNS1_3repE0EEENS1_30default_config_static_selectorELNS0_4arch9wavefront6targetE0EEEvT1_
; %bb.0:
	.section	.rodata,"a",@progbits
	.p2align	6, 0x0
	.amdhsa_kernel _ZN7rocprim17ROCPRIM_400000_NS6detail17trampoline_kernelINS0_14default_configENS1_25partition_config_selectorILNS1_17partition_subalgoE5EsNS0_10empty_typeEbEEZZNS1_14partition_implILS5_5ELb0ES3_mN6thrust23THRUST_200600_302600_NS6detail15normal_iteratorINSA_10device_ptrIsEEEEPS6_NSA_18transform_iteratorINSB_9not_fun_tI7is_trueIsEEENSC_INSD_IbEEEENSA_11use_defaultESO_EENS0_5tupleIJNSA_16discard_iteratorISO_EES6_EEENSQ_IJSG_SG_EEES6_PlJS6_EEE10hipError_tPvRmT3_T4_T5_T6_T7_T9_mT8_P12ihipStream_tbDpT10_ENKUlT_T0_E_clISt17integral_constantIbLb0EES1E_IbLb1EEEEDaS1A_S1B_EUlS1A_E_NS1_11comp_targetILNS1_3genE0ELNS1_11target_archE4294967295ELNS1_3gpuE0ELNS1_3repE0EEENS1_30default_config_static_selectorELNS0_4arch9wavefront6targetE0EEEvT1_
		.amdhsa_group_segment_fixed_size 0
		.amdhsa_private_segment_fixed_size 0
		.amdhsa_kernarg_size 144
		.amdhsa_user_sgpr_count 2
		.amdhsa_user_sgpr_dispatch_ptr 0
		.amdhsa_user_sgpr_queue_ptr 0
		.amdhsa_user_sgpr_kernarg_segment_ptr 1
		.amdhsa_user_sgpr_dispatch_id 0
		.amdhsa_user_sgpr_private_segment_size 0
		.amdhsa_wavefront_size32 1
		.amdhsa_uses_dynamic_stack 0
		.amdhsa_enable_private_segment 0
		.amdhsa_system_sgpr_workgroup_id_x 1
		.amdhsa_system_sgpr_workgroup_id_y 0
		.amdhsa_system_sgpr_workgroup_id_z 0
		.amdhsa_system_sgpr_workgroup_info 0
		.amdhsa_system_vgpr_workitem_id 0
		.amdhsa_next_free_vgpr 1
		.amdhsa_next_free_sgpr 1
		.amdhsa_reserve_vcc 0
		.amdhsa_float_round_mode_32 0
		.amdhsa_float_round_mode_16_64 0
		.amdhsa_float_denorm_mode_32 3
		.amdhsa_float_denorm_mode_16_64 3
		.amdhsa_fp16_overflow 0
		.amdhsa_workgroup_processor_mode 1
		.amdhsa_memory_ordered 1
		.amdhsa_forward_progress 1
		.amdhsa_inst_pref_size 0
		.amdhsa_round_robin_scheduling 0
		.amdhsa_exception_fp_ieee_invalid_op 0
		.amdhsa_exception_fp_denorm_src 0
		.amdhsa_exception_fp_ieee_div_zero 0
		.amdhsa_exception_fp_ieee_overflow 0
		.amdhsa_exception_fp_ieee_underflow 0
		.amdhsa_exception_fp_ieee_inexact 0
		.amdhsa_exception_int_div_zero 0
	.end_amdhsa_kernel
	.section	.text._ZN7rocprim17ROCPRIM_400000_NS6detail17trampoline_kernelINS0_14default_configENS1_25partition_config_selectorILNS1_17partition_subalgoE5EsNS0_10empty_typeEbEEZZNS1_14partition_implILS5_5ELb0ES3_mN6thrust23THRUST_200600_302600_NS6detail15normal_iteratorINSA_10device_ptrIsEEEEPS6_NSA_18transform_iteratorINSB_9not_fun_tI7is_trueIsEEENSC_INSD_IbEEEENSA_11use_defaultESO_EENS0_5tupleIJNSA_16discard_iteratorISO_EES6_EEENSQ_IJSG_SG_EEES6_PlJS6_EEE10hipError_tPvRmT3_T4_T5_T6_T7_T9_mT8_P12ihipStream_tbDpT10_ENKUlT_T0_E_clISt17integral_constantIbLb0EES1E_IbLb1EEEEDaS1A_S1B_EUlS1A_E_NS1_11comp_targetILNS1_3genE0ELNS1_11target_archE4294967295ELNS1_3gpuE0ELNS1_3repE0EEENS1_30default_config_static_selectorELNS0_4arch9wavefront6targetE0EEEvT1_,"axG",@progbits,_ZN7rocprim17ROCPRIM_400000_NS6detail17trampoline_kernelINS0_14default_configENS1_25partition_config_selectorILNS1_17partition_subalgoE5EsNS0_10empty_typeEbEEZZNS1_14partition_implILS5_5ELb0ES3_mN6thrust23THRUST_200600_302600_NS6detail15normal_iteratorINSA_10device_ptrIsEEEEPS6_NSA_18transform_iteratorINSB_9not_fun_tI7is_trueIsEEENSC_INSD_IbEEEENSA_11use_defaultESO_EENS0_5tupleIJNSA_16discard_iteratorISO_EES6_EEENSQ_IJSG_SG_EEES6_PlJS6_EEE10hipError_tPvRmT3_T4_T5_T6_T7_T9_mT8_P12ihipStream_tbDpT10_ENKUlT_T0_E_clISt17integral_constantIbLb0EES1E_IbLb1EEEEDaS1A_S1B_EUlS1A_E_NS1_11comp_targetILNS1_3genE0ELNS1_11target_archE4294967295ELNS1_3gpuE0ELNS1_3repE0EEENS1_30default_config_static_selectorELNS0_4arch9wavefront6targetE0EEEvT1_,comdat
.Lfunc_end2837:
	.size	_ZN7rocprim17ROCPRIM_400000_NS6detail17trampoline_kernelINS0_14default_configENS1_25partition_config_selectorILNS1_17partition_subalgoE5EsNS0_10empty_typeEbEEZZNS1_14partition_implILS5_5ELb0ES3_mN6thrust23THRUST_200600_302600_NS6detail15normal_iteratorINSA_10device_ptrIsEEEEPS6_NSA_18transform_iteratorINSB_9not_fun_tI7is_trueIsEEENSC_INSD_IbEEEENSA_11use_defaultESO_EENS0_5tupleIJNSA_16discard_iteratorISO_EES6_EEENSQ_IJSG_SG_EEES6_PlJS6_EEE10hipError_tPvRmT3_T4_T5_T6_T7_T9_mT8_P12ihipStream_tbDpT10_ENKUlT_T0_E_clISt17integral_constantIbLb0EES1E_IbLb1EEEEDaS1A_S1B_EUlS1A_E_NS1_11comp_targetILNS1_3genE0ELNS1_11target_archE4294967295ELNS1_3gpuE0ELNS1_3repE0EEENS1_30default_config_static_selectorELNS0_4arch9wavefront6targetE0EEEvT1_, .Lfunc_end2837-_ZN7rocprim17ROCPRIM_400000_NS6detail17trampoline_kernelINS0_14default_configENS1_25partition_config_selectorILNS1_17partition_subalgoE5EsNS0_10empty_typeEbEEZZNS1_14partition_implILS5_5ELb0ES3_mN6thrust23THRUST_200600_302600_NS6detail15normal_iteratorINSA_10device_ptrIsEEEEPS6_NSA_18transform_iteratorINSB_9not_fun_tI7is_trueIsEEENSC_INSD_IbEEEENSA_11use_defaultESO_EENS0_5tupleIJNSA_16discard_iteratorISO_EES6_EEENSQ_IJSG_SG_EEES6_PlJS6_EEE10hipError_tPvRmT3_T4_T5_T6_T7_T9_mT8_P12ihipStream_tbDpT10_ENKUlT_T0_E_clISt17integral_constantIbLb0EES1E_IbLb1EEEEDaS1A_S1B_EUlS1A_E_NS1_11comp_targetILNS1_3genE0ELNS1_11target_archE4294967295ELNS1_3gpuE0ELNS1_3repE0EEENS1_30default_config_static_selectorELNS0_4arch9wavefront6targetE0EEEvT1_
                                        ; -- End function
	.set _ZN7rocprim17ROCPRIM_400000_NS6detail17trampoline_kernelINS0_14default_configENS1_25partition_config_selectorILNS1_17partition_subalgoE5EsNS0_10empty_typeEbEEZZNS1_14partition_implILS5_5ELb0ES3_mN6thrust23THRUST_200600_302600_NS6detail15normal_iteratorINSA_10device_ptrIsEEEEPS6_NSA_18transform_iteratorINSB_9not_fun_tI7is_trueIsEEENSC_INSD_IbEEEENSA_11use_defaultESO_EENS0_5tupleIJNSA_16discard_iteratorISO_EES6_EEENSQ_IJSG_SG_EEES6_PlJS6_EEE10hipError_tPvRmT3_T4_T5_T6_T7_T9_mT8_P12ihipStream_tbDpT10_ENKUlT_T0_E_clISt17integral_constantIbLb0EES1E_IbLb1EEEEDaS1A_S1B_EUlS1A_E_NS1_11comp_targetILNS1_3genE0ELNS1_11target_archE4294967295ELNS1_3gpuE0ELNS1_3repE0EEENS1_30default_config_static_selectorELNS0_4arch9wavefront6targetE0EEEvT1_.num_vgpr, 0
	.set _ZN7rocprim17ROCPRIM_400000_NS6detail17trampoline_kernelINS0_14default_configENS1_25partition_config_selectorILNS1_17partition_subalgoE5EsNS0_10empty_typeEbEEZZNS1_14partition_implILS5_5ELb0ES3_mN6thrust23THRUST_200600_302600_NS6detail15normal_iteratorINSA_10device_ptrIsEEEEPS6_NSA_18transform_iteratorINSB_9not_fun_tI7is_trueIsEEENSC_INSD_IbEEEENSA_11use_defaultESO_EENS0_5tupleIJNSA_16discard_iteratorISO_EES6_EEENSQ_IJSG_SG_EEES6_PlJS6_EEE10hipError_tPvRmT3_T4_T5_T6_T7_T9_mT8_P12ihipStream_tbDpT10_ENKUlT_T0_E_clISt17integral_constantIbLb0EES1E_IbLb1EEEEDaS1A_S1B_EUlS1A_E_NS1_11comp_targetILNS1_3genE0ELNS1_11target_archE4294967295ELNS1_3gpuE0ELNS1_3repE0EEENS1_30default_config_static_selectorELNS0_4arch9wavefront6targetE0EEEvT1_.num_agpr, 0
	.set _ZN7rocprim17ROCPRIM_400000_NS6detail17trampoline_kernelINS0_14default_configENS1_25partition_config_selectorILNS1_17partition_subalgoE5EsNS0_10empty_typeEbEEZZNS1_14partition_implILS5_5ELb0ES3_mN6thrust23THRUST_200600_302600_NS6detail15normal_iteratorINSA_10device_ptrIsEEEEPS6_NSA_18transform_iteratorINSB_9not_fun_tI7is_trueIsEEENSC_INSD_IbEEEENSA_11use_defaultESO_EENS0_5tupleIJNSA_16discard_iteratorISO_EES6_EEENSQ_IJSG_SG_EEES6_PlJS6_EEE10hipError_tPvRmT3_T4_T5_T6_T7_T9_mT8_P12ihipStream_tbDpT10_ENKUlT_T0_E_clISt17integral_constantIbLb0EES1E_IbLb1EEEEDaS1A_S1B_EUlS1A_E_NS1_11comp_targetILNS1_3genE0ELNS1_11target_archE4294967295ELNS1_3gpuE0ELNS1_3repE0EEENS1_30default_config_static_selectorELNS0_4arch9wavefront6targetE0EEEvT1_.numbered_sgpr, 0
	.set _ZN7rocprim17ROCPRIM_400000_NS6detail17trampoline_kernelINS0_14default_configENS1_25partition_config_selectorILNS1_17partition_subalgoE5EsNS0_10empty_typeEbEEZZNS1_14partition_implILS5_5ELb0ES3_mN6thrust23THRUST_200600_302600_NS6detail15normal_iteratorINSA_10device_ptrIsEEEEPS6_NSA_18transform_iteratorINSB_9not_fun_tI7is_trueIsEEENSC_INSD_IbEEEENSA_11use_defaultESO_EENS0_5tupleIJNSA_16discard_iteratorISO_EES6_EEENSQ_IJSG_SG_EEES6_PlJS6_EEE10hipError_tPvRmT3_T4_T5_T6_T7_T9_mT8_P12ihipStream_tbDpT10_ENKUlT_T0_E_clISt17integral_constantIbLb0EES1E_IbLb1EEEEDaS1A_S1B_EUlS1A_E_NS1_11comp_targetILNS1_3genE0ELNS1_11target_archE4294967295ELNS1_3gpuE0ELNS1_3repE0EEENS1_30default_config_static_selectorELNS0_4arch9wavefront6targetE0EEEvT1_.num_named_barrier, 0
	.set _ZN7rocprim17ROCPRIM_400000_NS6detail17trampoline_kernelINS0_14default_configENS1_25partition_config_selectorILNS1_17partition_subalgoE5EsNS0_10empty_typeEbEEZZNS1_14partition_implILS5_5ELb0ES3_mN6thrust23THRUST_200600_302600_NS6detail15normal_iteratorINSA_10device_ptrIsEEEEPS6_NSA_18transform_iteratorINSB_9not_fun_tI7is_trueIsEEENSC_INSD_IbEEEENSA_11use_defaultESO_EENS0_5tupleIJNSA_16discard_iteratorISO_EES6_EEENSQ_IJSG_SG_EEES6_PlJS6_EEE10hipError_tPvRmT3_T4_T5_T6_T7_T9_mT8_P12ihipStream_tbDpT10_ENKUlT_T0_E_clISt17integral_constantIbLb0EES1E_IbLb1EEEEDaS1A_S1B_EUlS1A_E_NS1_11comp_targetILNS1_3genE0ELNS1_11target_archE4294967295ELNS1_3gpuE0ELNS1_3repE0EEENS1_30default_config_static_selectorELNS0_4arch9wavefront6targetE0EEEvT1_.private_seg_size, 0
	.set _ZN7rocprim17ROCPRIM_400000_NS6detail17trampoline_kernelINS0_14default_configENS1_25partition_config_selectorILNS1_17partition_subalgoE5EsNS0_10empty_typeEbEEZZNS1_14partition_implILS5_5ELb0ES3_mN6thrust23THRUST_200600_302600_NS6detail15normal_iteratorINSA_10device_ptrIsEEEEPS6_NSA_18transform_iteratorINSB_9not_fun_tI7is_trueIsEEENSC_INSD_IbEEEENSA_11use_defaultESO_EENS0_5tupleIJNSA_16discard_iteratorISO_EES6_EEENSQ_IJSG_SG_EEES6_PlJS6_EEE10hipError_tPvRmT3_T4_T5_T6_T7_T9_mT8_P12ihipStream_tbDpT10_ENKUlT_T0_E_clISt17integral_constantIbLb0EES1E_IbLb1EEEEDaS1A_S1B_EUlS1A_E_NS1_11comp_targetILNS1_3genE0ELNS1_11target_archE4294967295ELNS1_3gpuE0ELNS1_3repE0EEENS1_30default_config_static_selectorELNS0_4arch9wavefront6targetE0EEEvT1_.uses_vcc, 0
	.set _ZN7rocprim17ROCPRIM_400000_NS6detail17trampoline_kernelINS0_14default_configENS1_25partition_config_selectorILNS1_17partition_subalgoE5EsNS0_10empty_typeEbEEZZNS1_14partition_implILS5_5ELb0ES3_mN6thrust23THRUST_200600_302600_NS6detail15normal_iteratorINSA_10device_ptrIsEEEEPS6_NSA_18transform_iteratorINSB_9not_fun_tI7is_trueIsEEENSC_INSD_IbEEEENSA_11use_defaultESO_EENS0_5tupleIJNSA_16discard_iteratorISO_EES6_EEENSQ_IJSG_SG_EEES6_PlJS6_EEE10hipError_tPvRmT3_T4_T5_T6_T7_T9_mT8_P12ihipStream_tbDpT10_ENKUlT_T0_E_clISt17integral_constantIbLb0EES1E_IbLb1EEEEDaS1A_S1B_EUlS1A_E_NS1_11comp_targetILNS1_3genE0ELNS1_11target_archE4294967295ELNS1_3gpuE0ELNS1_3repE0EEENS1_30default_config_static_selectorELNS0_4arch9wavefront6targetE0EEEvT1_.uses_flat_scratch, 0
	.set _ZN7rocprim17ROCPRIM_400000_NS6detail17trampoline_kernelINS0_14default_configENS1_25partition_config_selectorILNS1_17partition_subalgoE5EsNS0_10empty_typeEbEEZZNS1_14partition_implILS5_5ELb0ES3_mN6thrust23THRUST_200600_302600_NS6detail15normal_iteratorINSA_10device_ptrIsEEEEPS6_NSA_18transform_iteratorINSB_9not_fun_tI7is_trueIsEEENSC_INSD_IbEEEENSA_11use_defaultESO_EENS0_5tupleIJNSA_16discard_iteratorISO_EES6_EEENSQ_IJSG_SG_EEES6_PlJS6_EEE10hipError_tPvRmT3_T4_T5_T6_T7_T9_mT8_P12ihipStream_tbDpT10_ENKUlT_T0_E_clISt17integral_constantIbLb0EES1E_IbLb1EEEEDaS1A_S1B_EUlS1A_E_NS1_11comp_targetILNS1_3genE0ELNS1_11target_archE4294967295ELNS1_3gpuE0ELNS1_3repE0EEENS1_30default_config_static_selectorELNS0_4arch9wavefront6targetE0EEEvT1_.has_dyn_sized_stack, 0
	.set _ZN7rocprim17ROCPRIM_400000_NS6detail17trampoline_kernelINS0_14default_configENS1_25partition_config_selectorILNS1_17partition_subalgoE5EsNS0_10empty_typeEbEEZZNS1_14partition_implILS5_5ELb0ES3_mN6thrust23THRUST_200600_302600_NS6detail15normal_iteratorINSA_10device_ptrIsEEEEPS6_NSA_18transform_iteratorINSB_9not_fun_tI7is_trueIsEEENSC_INSD_IbEEEENSA_11use_defaultESO_EENS0_5tupleIJNSA_16discard_iteratorISO_EES6_EEENSQ_IJSG_SG_EEES6_PlJS6_EEE10hipError_tPvRmT3_T4_T5_T6_T7_T9_mT8_P12ihipStream_tbDpT10_ENKUlT_T0_E_clISt17integral_constantIbLb0EES1E_IbLb1EEEEDaS1A_S1B_EUlS1A_E_NS1_11comp_targetILNS1_3genE0ELNS1_11target_archE4294967295ELNS1_3gpuE0ELNS1_3repE0EEENS1_30default_config_static_selectorELNS0_4arch9wavefront6targetE0EEEvT1_.has_recursion, 0
	.set _ZN7rocprim17ROCPRIM_400000_NS6detail17trampoline_kernelINS0_14default_configENS1_25partition_config_selectorILNS1_17partition_subalgoE5EsNS0_10empty_typeEbEEZZNS1_14partition_implILS5_5ELb0ES3_mN6thrust23THRUST_200600_302600_NS6detail15normal_iteratorINSA_10device_ptrIsEEEEPS6_NSA_18transform_iteratorINSB_9not_fun_tI7is_trueIsEEENSC_INSD_IbEEEENSA_11use_defaultESO_EENS0_5tupleIJNSA_16discard_iteratorISO_EES6_EEENSQ_IJSG_SG_EEES6_PlJS6_EEE10hipError_tPvRmT3_T4_T5_T6_T7_T9_mT8_P12ihipStream_tbDpT10_ENKUlT_T0_E_clISt17integral_constantIbLb0EES1E_IbLb1EEEEDaS1A_S1B_EUlS1A_E_NS1_11comp_targetILNS1_3genE0ELNS1_11target_archE4294967295ELNS1_3gpuE0ELNS1_3repE0EEENS1_30default_config_static_selectorELNS0_4arch9wavefront6targetE0EEEvT1_.has_indirect_call, 0
	.section	.AMDGPU.csdata,"",@progbits
; Kernel info:
; codeLenInByte = 0
; TotalNumSgprs: 0
; NumVgprs: 0
; ScratchSize: 0
; MemoryBound: 0
; FloatMode: 240
; IeeeMode: 1
; LDSByteSize: 0 bytes/workgroup (compile time only)
; SGPRBlocks: 0
; VGPRBlocks: 0
; NumSGPRsForWavesPerEU: 1
; NumVGPRsForWavesPerEU: 1
; Occupancy: 16
; WaveLimiterHint : 0
; COMPUTE_PGM_RSRC2:SCRATCH_EN: 0
; COMPUTE_PGM_RSRC2:USER_SGPR: 2
; COMPUTE_PGM_RSRC2:TRAP_HANDLER: 0
; COMPUTE_PGM_RSRC2:TGID_X_EN: 1
; COMPUTE_PGM_RSRC2:TGID_Y_EN: 0
; COMPUTE_PGM_RSRC2:TGID_Z_EN: 0
; COMPUTE_PGM_RSRC2:TIDIG_COMP_CNT: 0
	.section	.text._ZN7rocprim17ROCPRIM_400000_NS6detail17trampoline_kernelINS0_14default_configENS1_25partition_config_selectorILNS1_17partition_subalgoE5EsNS0_10empty_typeEbEEZZNS1_14partition_implILS5_5ELb0ES3_mN6thrust23THRUST_200600_302600_NS6detail15normal_iteratorINSA_10device_ptrIsEEEEPS6_NSA_18transform_iteratorINSB_9not_fun_tI7is_trueIsEEENSC_INSD_IbEEEENSA_11use_defaultESO_EENS0_5tupleIJNSA_16discard_iteratorISO_EES6_EEENSQ_IJSG_SG_EEES6_PlJS6_EEE10hipError_tPvRmT3_T4_T5_T6_T7_T9_mT8_P12ihipStream_tbDpT10_ENKUlT_T0_E_clISt17integral_constantIbLb0EES1E_IbLb1EEEEDaS1A_S1B_EUlS1A_E_NS1_11comp_targetILNS1_3genE5ELNS1_11target_archE942ELNS1_3gpuE9ELNS1_3repE0EEENS1_30default_config_static_selectorELNS0_4arch9wavefront6targetE0EEEvT1_,"axG",@progbits,_ZN7rocprim17ROCPRIM_400000_NS6detail17trampoline_kernelINS0_14default_configENS1_25partition_config_selectorILNS1_17partition_subalgoE5EsNS0_10empty_typeEbEEZZNS1_14partition_implILS5_5ELb0ES3_mN6thrust23THRUST_200600_302600_NS6detail15normal_iteratorINSA_10device_ptrIsEEEEPS6_NSA_18transform_iteratorINSB_9not_fun_tI7is_trueIsEEENSC_INSD_IbEEEENSA_11use_defaultESO_EENS0_5tupleIJNSA_16discard_iteratorISO_EES6_EEENSQ_IJSG_SG_EEES6_PlJS6_EEE10hipError_tPvRmT3_T4_T5_T6_T7_T9_mT8_P12ihipStream_tbDpT10_ENKUlT_T0_E_clISt17integral_constantIbLb0EES1E_IbLb1EEEEDaS1A_S1B_EUlS1A_E_NS1_11comp_targetILNS1_3genE5ELNS1_11target_archE942ELNS1_3gpuE9ELNS1_3repE0EEENS1_30default_config_static_selectorELNS0_4arch9wavefront6targetE0EEEvT1_,comdat
	.protected	_ZN7rocprim17ROCPRIM_400000_NS6detail17trampoline_kernelINS0_14default_configENS1_25partition_config_selectorILNS1_17partition_subalgoE5EsNS0_10empty_typeEbEEZZNS1_14partition_implILS5_5ELb0ES3_mN6thrust23THRUST_200600_302600_NS6detail15normal_iteratorINSA_10device_ptrIsEEEEPS6_NSA_18transform_iteratorINSB_9not_fun_tI7is_trueIsEEENSC_INSD_IbEEEENSA_11use_defaultESO_EENS0_5tupleIJNSA_16discard_iteratorISO_EES6_EEENSQ_IJSG_SG_EEES6_PlJS6_EEE10hipError_tPvRmT3_T4_T5_T6_T7_T9_mT8_P12ihipStream_tbDpT10_ENKUlT_T0_E_clISt17integral_constantIbLb0EES1E_IbLb1EEEEDaS1A_S1B_EUlS1A_E_NS1_11comp_targetILNS1_3genE5ELNS1_11target_archE942ELNS1_3gpuE9ELNS1_3repE0EEENS1_30default_config_static_selectorELNS0_4arch9wavefront6targetE0EEEvT1_ ; -- Begin function _ZN7rocprim17ROCPRIM_400000_NS6detail17trampoline_kernelINS0_14default_configENS1_25partition_config_selectorILNS1_17partition_subalgoE5EsNS0_10empty_typeEbEEZZNS1_14partition_implILS5_5ELb0ES3_mN6thrust23THRUST_200600_302600_NS6detail15normal_iteratorINSA_10device_ptrIsEEEEPS6_NSA_18transform_iteratorINSB_9not_fun_tI7is_trueIsEEENSC_INSD_IbEEEENSA_11use_defaultESO_EENS0_5tupleIJNSA_16discard_iteratorISO_EES6_EEENSQ_IJSG_SG_EEES6_PlJS6_EEE10hipError_tPvRmT3_T4_T5_T6_T7_T9_mT8_P12ihipStream_tbDpT10_ENKUlT_T0_E_clISt17integral_constantIbLb0EES1E_IbLb1EEEEDaS1A_S1B_EUlS1A_E_NS1_11comp_targetILNS1_3genE5ELNS1_11target_archE942ELNS1_3gpuE9ELNS1_3repE0EEENS1_30default_config_static_selectorELNS0_4arch9wavefront6targetE0EEEvT1_
	.globl	_ZN7rocprim17ROCPRIM_400000_NS6detail17trampoline_kernelINS0_14default_configENS1_25partition_config_selectorILNS1_17partition_subalgoE5EsNS0_10empty_typeEbEEZZNS1_14partition_implILS5_5ELb0ES3_mN6thrust23THRUST_200600_302600_NS6detail15normal_iteratorINSA_10device_ptrIsEEEEPS6_NSA_18transform_iteratorINSB_9not_fun_tI7is_trueIsEEENSC_INSD_IbEEEENSA_11use_defaultESO_EENS0_5tupleIJNSA_16discard_iteratorISO_EES6_EEENSQ_IJSG_SG_EEES6_PlJS6_EEE10hipError_tPvRmT3_T4_T5_T6_T7_T9_mT8_P12ihipStream_tbDpT10_ENKUlT_T0_E_clISt17integral_constantIbLb0EES1E_IbLb1EEEEDaS1A_S1B_EUlS1A_E_NS1_11comp_targetILNS1_3genE5ELNS1_11target_archE942ELNS1_3gpuE9ELNS1_3repE0EEENS1_30default_config_static_selectorELNS0_4arch9wavefront6targetE0EEEvT1_
	.p2align	8
	.type	_ZN7rocprim17ROCPRIM_400000_NS6detail17trampoline_kernelINS0_14default_configENS1_25partition_config_selectorILNS1_17partition_subalgoE5EsNS0_10empty_typeEbEEZZNS1_14partition_implILS5_5ELb0ES3_mN6thrust23THRUST_200600_302600_NS6detail15normal_iteratorINSA_10device_ptrIsEEEEPS6_NSA_18transform_iteratorINSB_9not_fun_tI7is_trueIsEEENSC_INSD_IbEEEENSA_11use_defaultESO_EENS0_5tupleIJNSA_16discard_iteratorISO_EES6_EEENSQ_IJSG_SG_EEES6_PlJS6_EEE10hipError_tPvRmT3_T4_T5_T6_T7_T9_mT8_P12ihipStream_tbDpT10_ENKUlT_T0_E_clISt17integral_constantIbLb0EES1E_IbLb1EEEEDaS1A_S1B_EUlS1A_E_NS1_11comp_targetILNS1_3genE5ELNS1_11target_archE942ELNS1_3gpuE9ELNS1_3repE0EEENS1_30default_config_static_selectorELNS0_4arch9wavefront6targetE0EEEvT1_,@function
_ZN7rocprim17ROCPRIM_400000_NS6detail17trampoline_kernelINS0_14default_configENS1_25partition_config_selectorILNS1_17partition_subalgoE5EsNS0_10empty_typeEbEEZZNS1_14partition_implILS5_5ELb0ES3_mN6thrust23THRUST_200600_302600_NS6detail15normal_iteratorINSA_10device_ptrIsEEEEPS6_NSA_18transform_iteratorINSB_9not_fun_tI7is_trueIsEEENSC_INSD_IbEEEENSA_11use_defaultESO_EENS0_5tupleIJNSA_16discard_iteratorISO_EES6_EEENSQ_IJSG_SG_EEES6_PlJS6_EEE10hipError_tPvRmT3_T4_T5_T6_T7_T9_mT8_P12ihipStream_tbDpT10_ENKUlT_T0_E_clISt17integral_constantIbLb0EES1E_IbLb1EEEEDaS1A_S1B_EUlS1A_E_NS1_11comp_targetILNS1_3genE5ELNS1_11target_archE942ELNS1_3gpuE9ELNS1_3repE0EEENS1_30default_config_static_selectorELNS0_4arch9wavefront6targetE0EEEvT1_: ; @_ZN7rocprim17ROCPRIM_400000_NS6detail17trampoline_kernelINS0_14default_configENS1_25partition_config_selectorILNS1_17partition_subalgoE5EsNS0_10empty_typeEbEEZZNS1_14partition_implILS5_5ELb0ES3_mN6thrust23THRUST_200600_302600_NS6detail15normal_iteratorINSA_10device_ptrIsEEEEPS6_NSA_18transform_iteratorINSB_9not_fun_tI7is_trueIsEEENSC_INSD_IbEEEENSA_11use_defaultESO_EENS0_5tupleIJNSA_16discard_iteratorISO_EES6_EEENSQ_IJSG_SG_EEES6_PlJS6_EEE10hipError_tPvRmT3_T4_T5_T6_T7_T9_mT8_P12ihipStream_tbDpT10_ENKUlT_T0_E_clISt17integral_constantIbLb0EES1E_IbLb1EEEEDaS1A_S1B_EUlS1A_E_NS1_11comp_targetILNS1_3genE5ELNS1_11target_archE942ELNS1_3gpuE9ELNS1_3repE0EEENS1_30default_config_static_selectorELNS0_4arch9wavefront6targetE0EEEvT1_
; %bb.0:
	.section	.rodata,"a",@progbits
	.p2align	6, 0x0
	.amdhsa_kernel _ZN7rocprim17ROCPRIM_400000_NS6detail17trampoline_kernelINS0_14default_configENS1_25partition_config_selectorILNS1_17partition_subalgoE5EsNS0_10empty_typeEbEEZZNS1_14partition_implILS5_5ELb0ES3_mN6thrust23THRUST_200600_302600_NS6detail15normal_iteratorINSA_10device_ptrIsEEEEPS6_NSA_18transform_iteratorINSB_9not_fun_tI7is_trueIsEEENSC_INSD_IbEEEENSA_11use_defaultESO_EENS0_5tupleIJNSA_16discard_iteratorISO_EES6_EEENSQ_IJSG_SG_EEES6_PlJS6_EEE10hipError_tPvRmT3_T4_T5_T6_T7_T9_mT8_P12ihipStream_tbDpT10_ENKUlT_T0_E_clISt17integral_constantIbLb0EES1E_IbLb1EEEEDaS1A_S1B_EUlS1A_E_NS1_11comp_targetILNS1_3genE5ELNS1_11target_archE942ELNS1_3gpuE9ELNS1_3repE0EEENS1_30default_config_static_selectorELNS0_4arch9wavefront6targetE0EEEvT1_
		.amdhsa_group_segment_fixed_size 0
		.amdhsa_private_segment_fixed_size 0
		.amdhsa_kernarg_size 144
		.amdhsa_user_sgpr_count 2
		.amdhsa_user_sgpr_dispatch_ptr 0
		.amdhsa_user_sgpr_queue_ptr 0
		.amdhsa_user_sgpr_kernarg_segment_ptr 1
		.amdhsa_user_sgpr_dispatch_id 0
		.amdhsa_user_sgpr_private_segment_size 0
		.amdhsa_wavefront_size32 1
		.amdhsa_uses_dynamic_stack 0
		.amdhsa_enable_private_segment 0
		.amdhsa_system_sgpr_workgroup_id_x 1
		.amdhsa_system_sgpr_workgroup_id_y 0
		.amdhsa_system_sgpr_workgroup_id_z 0
		.amdhsa_system_sgpr_workgroup_info 0
		.amdhsa_system_vgpr_workitem_id 0
		.amdhsa_next_free_vgpr 1
		.amdhsa_next_free_sgpr 1
		.amdhsa_reserve_vcc 0
		.amdhsa_float_round_mode_32 0
		.amdhsa_float_round_mode_16_64 0
		.amdhsa_float_denorm_mode_32 3
		.amdhsa_float_denorm_mode_16_64 3
		.amdhsa_fp16_overflow 0
		.amdhsa_workgroup_processor_mode 1
		.amdhsa_memory_ordered 1
		.amdhsa_forward_progress 1
		.amdhsa_inst_pref_size 0
		.amdhsa_round_robin_scheduling 0
		.amdhsa_exception_fp_ieee_invalid_op 0
		.amdhsa_exception_fp_denorm_src 0
		.amdhsa_exception_fp_ieee_div_zero 0
		.amdhsa_exception_fp_ieee_overflow 0
		.amdhsa_exception_fp_ieee_underflow 0
		.amdhsa_exception_fp_ieee_inexact 0
		.amdhsa_exception_int_div_zero 0
	.end_amdhsa_kernel
	.section	.text._ZN7rocprim17ROCPRIM_400000_NS6detail17trampoline_kernelINS0_14default_configENS1_25partition_config_selectorILNS1_17partition_subalgoE5EsNS0_10empty_typeEbEEZZNS1_14partition_implILS5_5ELb0ES3_mN6thrust23THRUST_200600_302600_NS6detail15normal_iteratorINSA_10device_ptrIsEEEEPS6_NSA_18transform_iteratorINSB_9not_fun_tI7is_trueIsEEENSC_INSD_IbEEEENSA_11use_defaultESO_EENS0_5tupleIJNSA_16discard_iteratorISO_EES6_EEENSQ_IJSG_SG_EEES6_PlJS6_EEE10hipError_tPvRmT3_T4_T5_T6_T7_T9_mT8_P12ihipStream_tbDpT10_ENKUlT_T0_E_clISt17integral_constantIbLb0EES1E_IbLb1EEEEDaS1A_S1B_EUlS1A_E_NS1_11comp_targetILNS1_3genE5ELNS1_11target_archE942ELNS1_3gpuE9ELNS1_3repE0EEENS1_30default_config_static_selectorELNS0_4arch9wavefront6targetE0EEEvT1_,"axG",@progbits,_ZN7rocprim17ROCPRIM_400000_NS6detail17trampoline_kernelINS0_14default_configENS1_25partition_config_selectorILNS1_17partition_subalgoE5EsNS0_10empty_typeEbEEZZNS1_14partition_implILS5_5ELb0ES3_mN6thrust23THRUST_200600_302600_NS6detail15normal_iteratorINSA_10device_ptrIsEEEEPS6_NSA_18transform_iteratorINSB_9not_fun_tI7is_trueIsEEENSC_INSD_IbEEEENSA_11use_defaultESO_EENS0_5tupleIJNSA_16discard_iteratorISO_EES6_EEENSQ_IJSG_SG_EEES6_PlJS6_EEE10hipError_tPvRmT3_T4_T5_T6_T7_T9_mT8_P12ihipStream_tbDpT10_ENKUlT_T0_E_clISt17integral_constantIbLb0EES1E_IbLb1EEEEDaS1A_S1B_EUlS1A_E_NS1_11comp_targetILNS1_3genE5ELNS1_11target_archE942ELNS1_3gpuE9ELNS1_3repE0EEENS1_30default_config_static_selectorELNS0_4arch9wavefront6targetE0EEEvT1_,comdat
.Lfunc_end2838:
	.size	_ZN7rocprim17ROCPRIM_400000_NS6detail17trampoline_kernelINS0_14default_configENS1_25partition_config_selectorILNS1_17partition_subalgoE5EsNS0_10empty_typeEbEEZZNS1_14partition_implILS5_5ELb0ES3_mN6thrust23THRUST_200600_302600_NS6detail15normal_iteratorINSA_10device_ptrIsEEEEPS6_NSA_18transform_iteratorINSB_9not_fun_tI7is_trueIsEEENSC_INSD_IbEEEENSA_11use_defaultESO_EENS0_5tupleIJNSA_16discard_iteratorISO_EES6_EEENSQ_IJSG_SG_EEES6_PlJS6_EEE10hipError_tPvRmT3_T4_T5_T6_T7_T9_mT8_P12ihipStream_tbDpT10_ENKUlT_T0_E_clISt17integral_constantIbLb0EES1E_IbLb1EEEEDaS1A_S1B_EUlS1A_E_NS1_11comp_targetILNS1_3genE5ELNS1_11target_archE942ELNS1_3gpuE9ELNS1_3repE0EEENS1_30default_config_static_selectorELNS0_4arch9wavefront6targetE0EEEvT1_, .Lfunc_end2838-_ZN7rocprim17ROCPRIM_400000_NS6detail17trampoline_kernelINS0_14default_configENS1_25partition_config_selectorILNS1_17partition_subalgoE5EsNS0_10empty_typeEbEEZZNS1_14partition_implILS5_5ELb0ES3_mN6thrust23THRUST_200600_302600_NS6detail15normal_iteratorINSA_10device_ptrIsEEEEPS6_NSA_18transform_iteratorINSB_9not_fun_tI7is_trueIsEEENSC_INSD_IbEEEENSA_11use_defaultESO_EENS0_5tupleIJNSA_16discard_iteratorISO_EES6_EEENSQ_IJSG_SG_EEES6_PlJS6_EEE10hipError_tPvRmT3_T4_T5_T6_T7_T9_mT8_P12ihipStream_tbDpT10_ENKUlT_T0_E_clISt17integral_constantIbLb0EES1E_IbLb1EEEEDaS1A_S1B_EUlS1A_E_NS1_11comp_targetILNS1_3genE5ELNS1_11target_archE942ELNS1_3gpuE9ELNS1_3repE0EEENS1_30default_config_static_selectorELNS0_4arch9wavefront6targetE0EEEvT1_
                                        ; -- End function
	.set _ZN7rocprim17ROCPRIM_400000_NS6detail17trampoline_kernelINS0_14default_configENS1_25partition_config_selectorILNS1_17partition_subalgoE5EsNS0_10empty_typeEbEEZZNS1_14partition_implILS5_5ELb0ES3_mN6thrust23THRUST_200600_302600_NS6detail15normal_iteratorINSA_10device_ptrIsEEEEPS6_NSA_18transform_iteratorINSB_9not_fun_tI7is_trueIsEEENSC_INSD_IbEEEENSA_11use_defaultESO_EENS0_5tupleIJNSA_16discard_iteratorISO_EES6_EEENSQ_IJSG_SG_EEES6_PlJS6_EEE10hipError_tPvRmT3_T4_T5_T6_T7_T9_mT8_P12ihipStream_tbDpT10_ENKUlT_T0_E_clISt17integral_constantIbLb0EES1E_IbLb1EEEEDaS1A_S1B_EUlS1A_E_NS1_11comp_targetILNS1_3genE5ELNS1_11target_archE942ELNS1_3gpuE9ELNS1_3repE0EEENS1_30default_config_static_selectorELNS0_4arch9wavefront6targetE0EEEvT1_.num_vgpr, 0
	.set _ZN7rocprim17ROCPRIM_400000_NS6detail17trampoline_kernelINS0_14default_configENS1_25partition_config_selectorILNS1_17partition_subalgoE5EsNS0_10empty_typeEbEEZZNS1_14partition_implILS5_5ELb0ES3_mN6thrust23THRUST_200600_302600_NS6detail15normal_iteratorINSA_10device_ptrIsEEEEPS6_NSA_18transform_iteratorINSB_9not_fun_tI7is_trueIsEEENSC_INSD_IbEEEENSA_11use_defaultESO_EENS0_5tupleIJNSA_16discard_iteratorISO_EES6_EEENSQ_IJSG_SG_EEES6_PlJS6_EEE10hipError_tPvRmT3_T4_T5_T6_T7_T9_mT8_P12ihipStream_tbDpT10_ENKUlT_T0_E_clISt17integral_constantIbLb0EES1E_IbLb1EEEEDaS1A_S1B_EUlS1A_E_NS1_11comp_targetILNS1_3genE5ELNS1_11target_archE942ELNS1_3gpuE9ELNS1_3repE0EEENS1_30default_config_static_selectorELNS0_4arch9wavefront6targetE0EEEvT1_.num_agpr, 0
	.set _ZN7rocprim17ROCPRIM_400000_NS6detail17trampoline_kernelINS0_14default_configENS1_25partition_config_selectorILNS1_17partition_subalgoE5EsNS0_10empty_typeEbEEZZNS1_14partition_implILS5_5ELb0ES3_mN6thrust23THRUST_200600_302600_NS6detail15normal_iteratorINSA_10device_ptrIsEEEEPS6_NSA_18transform_iteratorINSB_9not_fun_tI7is_trueIsEEENSC_INSD_IbEEEENSA_11use_defaultESO_EENS0_5tupleIJNSA_16discard_iteratorISO_EES6_EEENSQ_IJSG_SG_EEES6_PlJS6_EEE10hipError_tPvRmT3_T4_T5_T6_T7_T9_mT8_P12ihipStream_tbDpT10_ENKUlT_T0_E_clISt17integral_constantIbLb0EES1E_IbLb1EEEEDaS1A_S1B_EUlS1A_E_NS1_11comp_targetILNS1_3genE5ELNS1_11target_archE942ELNS1_3gpuE9ELNS1_3repE0EEENS1_30default_config_static_selectorELNS0_4arch9wavefront6targetE0EEEvT1_.numbered_sgpr, 0
	.set _ZN7rocprim17ROCPRIM_400000_NS6detail17trampoline_kernelINS0_14default_configENS1_25partition_config_selectorILNS1_17partition_subalgoE5EsNS0_10empty_typeEbEEZZNS1_14partition_implILS5_5ELb0ES3_mN6thrust23THRUST_200600_302600_NS6detail15normal_iteratorINSA_10device_ptrIsEEEEPS6_NSA_18transform_iteratorINSB_9not_fun_tI7is_trueIsEEENSC_INSD_IbEEEENSA_11use_defaultESO_EENS0_5tupleIJNSA_16discard_iteratorISO_EES6_EEENSQ_IJSG_SG_EEES6_PlJS6_EEE10hipError_tPvRmT3_T4_T5_T6_T7_T9_mT8_P12ihipStream_tbDpT10_ENKUlT_T0_E_clISt17integral_constantIbLb0EES1E_IbLb1EEEEDaS1A_S1B_EUlS1A_E_NS1_11comp_targetILNS1_3genE5ELNS1_11target_archE942ELNS1_3gpuE9ELNS1_3repE0EEENS1_30default_config_static_selectorELNS0_4arch9wavefront6targetE0EEEvT1_.num_named_barrier, 0
	.set _ZN7rocprim17ROCPRIM_400000_NS6detail17trampoline_kernelINS0_14default_configENS1_25partition_config_selectorILNS1_17partition_subalgoE5EsNS0_10empty_typeEbEEZZNS1_14partition_implILS5_5ELb0ES3_mN6thrust23THRUST_200600_302600_NS6detail15normal_iteratorINSA_10device_ptrIsEEEEPS6_NSA_18transform_iteratorINSB_9not_fun_tI7is_trueIsEEENSC_INSD_IbEEEENSA_11use_defaultESO_EENS0_5tupleIJNSA_16discard_iteratorISO_EES6_EEENSQ_IJSG_SG_EEES6_PlJS6_EEE10hipError_tPvRmT3_T4_T5_T6_T7_T9_mT8_P12ihipStream_tbDpT10_ENKUlT_T0_E_clISt17integral_constantIbLb0EES1E_IbLb1EEEEDaS1A_S1B_EUlS1A_E_NS1_11comp_targetILNS1_3genE5ELNS1_11target_archE942ELNS1_3gpuE9ELNS1_3repE0EEENS1_30default_config_static_selectorELNS0_4arch9wavefront6targetE0EEEvT1_.private_seg_size, 0
	.set _ZN7rocprim17ROCPRIM_400000_NS6detail17trampoline_kernelINS0_14default_configENS1_25partition_config_selectorILNS1_17partition_subalgoE5EsNS0_10empty_typeEbEEZZNS1_14partition_implILS5_5ELb0ES3_mN6thrust23THRUST_200600_302600_NS6detail15normal_iteratorINSA_10device_ptrIsEEEEPS6_NSA_18transform_iteratorINSB_9not_fun_tI7is_trueIsEEENSC_INSD_IbEEEENSA_11use_defaultESO_EENS0_5tupleIJNSA_16discard_iteratorISO_EES6_EEENSQ_IJSG_SG_EEES6_PlJS6_EEE10hipError_tPvRmT3_T4_T5_T6_T7_T9_mT8_P12ihipStream_tbDpT10_ENKUlT_T0_E_clISt17integral_constantIbLb0EES1E_IbLb1EEEEDaS1A_S1B_EUlS1A_E_NS1_11comp_targetILNS1_3genE5ELNS1_11target_archE942ELNS1_3gpuE9ELNS1_3repE0EEENS1_30default_config_static_selectorELNS0_4arch9wavefront6targetE0EEEvT1_.uses_vcc, 0
	.set _ZN7rocprim17ROCPRIM_400000_NS6detail17trampoline_kernelINS0_14default_configENS1_25partition_config_selectorILNS1_17partition_subalgoE5EsNS0_10empty_typeEbEEZZNS1_14partition_implILS5_5ELb0ES3_mN6thrust23THRUST_200600_302600_NS6detail15normal_iteratorINSA_10device_ptrIsEEEEPS6_NSA_18transform_iteratorINSB_9not_fun_tI7is_trueIsEEENSC_INSD_IbEEEENSA_11use_defaultESO_EENS0_5tupleIJNSA_16discard_iteratorISO_EES6_EEENSQ_IJSG_SG_EEES6_PlJS6_EEE10hipError_tPvRmT3_T4_T5_T6_T7_T9_mT8_P12ihipStream_tbDpT10_ENKUlT_T0_E_clISt17integral_constantIbLb0EES1E_IbLb1EEEEDaS1A_S1B_EUlS1A_E_NS1_11comp_targetILNS1_3genE5ELNS1_11target_archE942ELNS1_3gpuE9ELNS1_3repE0EEENS1_30default_config_static_selectorELNS0_4arch9wavefront6targetE0EEEvT1_.uses_flat_scratch, 0
	.set _ZN7rocprim17ROCPRIM_400000_NS6detail17trampoline_kernelINS0_14default_configENS1_25partition_config_selectorILNS1_17partition_subalgoE5EsNS0_10empty_typeEbEEZZNS1_14partition_implILS5_5ELb0ES3_mN6thrust23THRUST_200600_302600_NS6detail15normal_iteratorINSA_10device_ptrIsEEEEPS6_NSA_18transform_iteratorINSB_9not_fun_tI7is_trueIsEEENSC_INSD_IbEEEENSA_11use_defaultESO_EENS0_5tupleIJNSA_16discard_iteratorISO_EES6_EEENSQ_IJSG_SG_EEES6_PlJS6_EEE10hipError_tPvRmT3_T4_T5_T6_T7_T9_mT8_P12ihipStream_tbDpT10_ENKUlT_T0_E_clISt17integral_constantIbLb0EES1E_IbLb1EEEEDaS1A_S1B_EUlS1A_E_NS1_11comp_targetILNS1_3genE5ELNS1_11target_archE942ELNS1_3gpuE9ELNS1_3repE0EEENS1_30default_config_static_selectorELNS0_4arch9wavefront6targetE0EEEvT1_.has_dyn_sized_stack, 0
	.set _ZN7rocprim17ROCPRIM_400000_NS6detail17trampoline_kernelINS0_14default_configENS1_25partition_config_selectorILNS1_17partition_subalgoE5EsNS0_10empty_typeEbEEZZNS1_14partition_implILS5_5ELb0ES3_mN6thrust23THRUST_200600_302600_NS6detail15normal_iteratorINSA_10device_ptrIsEEEEPS6_NSA_18transform_iteratorINSB_9not_fun_tI7is_trueIsEEENSC_INSD_IbEEEENSA_11use_defaultESO_EENS0_5tupleIJNSA_16discard_iteratorISO_EES6_EEENSQ_IJSG_SG_EEES6_PlJS6_EEE10hipError_tPvRmT3_T4_T5_T6_T7_T9_mT8_P12ihipStream_tbDpT10_ENKUlT_T0_E_clISt17integral_constantIbLb0EES1E_IbLb1EEEEDaS1A_S1B_EUlS1A_E_NS1_11comp_targetILNS1_3genE5ELNS1_11target_archE942ELNS1_3gpuE9ELNS1_3repE0EEENS1_30default_config_static_selectorELNS0_4arch9wavefront6targetE0EEEvT1_.has_recursion, 0
	.set _ZN7rocprim17ROCPRIM_400000_NS6detail17trampoline_kernelINS0_14default_configENS1_25partition_config_selectorILNS1_17partition_subalgoE5EsNS0_10empty_typeEbEEZZNS1_14partition_implILS5_5ELb0ES3_mN6thrust23THRUST_200600_302600_NS6detail15normal_iteratorINSA_10device_ptrIsEEEEPS6_NSA_18transform_iteratorINSB_9not_fun_tI7is_trueIsEEENSC_INSD_IbEEEENSA_11use_defaultESO_EENS0_5tupleIJNSA_16discard_iteratorISO_EES6_EEENSQ_IJSG_SG_EEES6_PlJS6_EEE10hipError_tPvRmT3_T4_T5_T6_T7_T9_mT8_P12ihipStream_tbDpT10_ENKUlT_T0_E_clISt17integral_constantIbLb0EES1E_IbLb1EEEEDaS1A_S1B_EUlS1A_E_NS1_11comp_targetILNS1_3genE5ELNS1_11target_archE942ELNS1_3gpuE9ELNS1_3repE0EEENS1_30default_config_static_selectorELNS0_4arch9wavefront6targetE0EEEvT1_.has_indirect_call, 0
	.section	.AMDGPU.csdata,"",@progbits
; Kernel info:
; codeLenInByte = 0
; TotalNumSgprs: 0
; NumVgprs: 0
; ScratchSize: 0
; MemoryBound: 0
; FloatMode: 240
; IeeeMode: 1
; LDSByteSize: 0 bytes/workgroup (compile time only)
; SGPRBlocks: 0
; VGPRBlocks: 0
; NumSGPRsForWavesPerEU: 1
; NumVGPRsForWavesPerEU: 1
; Occupancy: 16
; WaveLimiterHint : 0
; COMPUTE_PGM_RSRC2:SCRATCH_EN: 0
; COMPUTE_PGM_RSRC2:USER_SGPR: 2
; COMPUTE_PGM_RSRC2:TRAP_HANDLER: 0
; COMPUTE_PGM_RSRC2:TGID_X_EN: 1
; COMPUTE_PGM_RSRC2:TGID_Y_EN: 0
; COMPUTE_PGM_RSRC2:TGID_Z_EN: 0
; COMPUTE_PGM_RSRC2:TIDIG_COMP_CNT: 0
	.section	.text._ZN7rocprim17ROCPRIM_400000_NS6detail17trampoline_kernelINS0_14default_configENS1_25partition_config_selectorILNS1_17partition_subalgoE5EsNS0_10empty_typeEbEEZZNS1_14partition_implILS5_5ELb0ES3_mN6thrust23THRUST_200600_302600_NS6detail15normal_iteratorINSA_10device_ptrIsEEEEPS6_NSA_18transform_iteratorINSB_9not_fun_tI7is_trueIsEEENSC_INSD_IbEEEENSA_11use_defaultESO_EENS0_5tupleIJNSA_16discard_iteratorISO_EES6_EEENSQ_IJSG_SG_EEES6_PlJS6_EEE10hipError_tPvRmT3_T4_T5_T6_T7_T9_mT8_P12ihipStream_tbDpT10_ENKUlT_T0_E_clISt17integral_constantIbLb0EES1E_IbLb1EEEEDaS1A_S1B_EUlS1A_E_NS1_11comp_targetILNS1_3genE4ELNS1_11target_archE910ELNS1_3gpuE8ELNS1_3repE0EEENS1_30default_config_static_selectorELNS0_4arch9wavefront6targetE0EEEvT1_,"axG",@progbits,_ZN7rocprim17ROCPRIM_400000_NS6detail17trampoline_kernelINS0_14default_configENS1_25partition_config_selectorILNS1_17partition_subalgoE5EsNS0_10empty_typeEbEEZZNS1_14partition_implILS5_5ELb0ES3_mN6thrust23THRUST_200600_302600_NS6detail15normal_iteratorINSA_10device_ptrIsEEEEPS6_NSA_18transform_iteratorINSB_9not_fun_tI7is_trueIsEEENSC_INSD_IbEEEENSA_11use_defaultESO_EENS0_5tupleIJNSA_16discard_iteratorISO_EES6_EEENSQ_IJSG_SG_EEES6_PlJS6_EEE10hipError_tPvRmT3_T4_T5_T6_T7_T9_mT8_P12ihipStream_tbDpT10_ENKUlT_T0_E_clISt17integral_constantIbLb0EES1E_IbLb1EEEEDaS1A_S1B_EUlS1A_E_NS1_11comp_targetILNS1_3genE4ELNS1_11target_archE910ELNS1_3gpuE8ELNS1_3repE0EEENS1_30default_config_static_selectorELNS0_4arch9wavefront6targetE0EEEvT1_,comdat
	.protected	_ZN7rocprim17ROCPRIM_400000_NS6detail17trampoline_kernelINS0_14default_configENS1_25partition_config_selectorILNS1_17partition_subalgoE5EsNS0_10empty_typeEbEEZZNS1_14partition_implILS5_5ELb0ES3_mN6thrust23THRUST_200600_302600_NS6detail15normal_iteratorINSA_10device_ptrIsEEEEPS6_NSA_18transform_iteratorINSB_9not_fun_tI7is_trueIsEEENSC_INSD_IbEEEENSA_11use_defaultESO_EENS0_5tupleIJNSA_16discard_iteratorISO_EES6_EEENSQ_IJSG_SG_EEES6_PlJS6_EEE10hipError_tPvRmT3_T4_T5_T6_T7_T9_mT8_P12ihipStream_tbDpT10_ENKUlT_T0_E_clISt17integral_constantIbLb0EES1E_IbLb1EEEEDaS1A_S1B_EUlS1A_E_NS1_11comp_targetILNS1_3genE4ELNS1_11target_archE910ELNS1_3gpuE8ELNS1_3repE0EEENS1_30default_config_static_selectorELNS0_4arch9wavefront6targetE0EEEvT1_ ; -- Begin function _ZN7rocprim17ROCPRIM_400000_NS6detail17trampoline_kernelINS0_14default_configENS1_25partition_config_selectorILNS1_17partition_subalgoE5EsNS0_10empty_typeEbEEZZNS1_14partition_implILS5_5ELb0ES3_mN6thrust23THRUST_200600_302600_NS6detail15normal_iteratorINSA_10device_ptrIsEEEEPS6_NSA_18transform_iteratorINSB_9not_fun_tI7is_trueIsEEENSC_INSD_IbEEEENSA_11use_defaultESO_EENS0_5tupleIJNSA_16discard_iteratorISO_EES6_EEENSQ_IJSG_SG_EEES6_PlJS6_EEE10hipError_tPvRmT3_T4_T5_T6_T7_T9_mT8_P12ihipStream_tbDpT10_ENKUlT_T0_E_clISt17integral_constantIbLb0EES1E_IbLb1EEEEDaS1A_S1B_EUlS1A_E_NS1_11comp_targetILNS1_3genE4ELNS1_11target_archE910ELNS1_3gpuE8ELNS1_3repE0EEENS1_30default_config_static_selectorELNS0_4arch9wavefront6targetE0EEEvT1_
	.globl	_ZN7rocprim17ROCPRIM_400000_NS6detail17trampoline_kernelINS0_14default_configENS1_25partition_config_selectorILNS1_17partition_subalgoE5EsNS0_10empty_typeEbEEZZNS1_14partition_implILS5_5ELb0ES3_mN6thrust23THRUST_200600_302600_NS6detail15normal_iteratorINSA_10device_ptrIsEEEEPS6_NSA_18transform_iteratorINSB_9not_fun_tI7is_trueIsEEENSC_INSD_IbEEEENSA_11use_defaultESO_EENS0_5tupleIJNSA_16discard_iteratorISO_EES6_EEENSQ_IJSG_SG_EEES6_PlJS6_EEE10hipError_tPvRmT3_T4_T5_T6_T7_T9_mT8_P12ihipStream_tbDpT10_ENKUlT_T0_E_clISt17integral_constantIbLb0EES1E_IbLb1EEEEDaS1A_S1B_EUlS1A_E_NS1_11comp_targetILNS1_3genE4ELNS1_11target_archE910ELNS1_3gpuE8ELNS1_3repE0EEENS1_30default_config_static_selectorELNS0_4arch9wavefront6targetE0EEEvT1_
	.p2align	8
	.type	_ZN7rocprim17ROCPRIM_400000_NS6detail17trampoline_kernelINS0_14default_configENS1_25partition_config_selectorILNS1_17partition_subalgoE5EsNS0_10empty_typeEbEEZZNS1_14partition_implILS5_5ELb0ES3_mN6thrust23THRUST_200600_302600_NS6detail15normal_iteratorINSA_10device_ptrIsEEEEPS6_NSA_18transform_iteratorINSB_9not_fun_tI7is_trueIsEEENSC_INSD_IbEEEENSA_11use_defaultESO_EENS0_5tupleIJNSA_16discard_iteratorISO_EES6_EEENSQ_IJSG_SG_EEES6_PlJS6_EEE10hipError_tPvRmT3_T4_T5_T6_T7_T9_mT8_P12ihipStream_tbDpT10_ENKUlT_T0_E_clISt17integral_constantIbLb0EES1E_IbLb1EEEEDaS1A_S1B_EUlS1A_E_NS1_11comp_targetILNS1_3genE4ELNS1_11target_archE910ELNS1_3gpuE8ELNS1_3repE0EEENS1_30default_config_static_selectorELNS0_4arch9wavefront6targetE0EEEvT1_,@function
_ZN7rocprim17ROCPRIM_400000_NS6detail17trampoline_kernelINS0_14default_configENS1_25partition_config_selectorILNS1_17partition_subalgoE5EsNS0_10empty_typeEbEEZZNS1_14partition_implILS5_5ELb0ES3_mN6thrust23THRUST_200600_302600_NS6detail15normal_iteratorINSA_10device_ptrIsEEEEPS6_NSA_18transform_iteratorINSB_9not_fun_tI7is_trueIsEEENSC_INSD_IbEEEENSA_11use_defaultESO_EENS0_5tupleIJNSA_16discard_iteratorISO_EES6_EEENSQ_IJSG_SG_EEES6_PlJS6_EEE10hipError_tPvRmT3_T4_T5_T6_T7_T9_mT8_P12ihipStream_tbDpT10_ENKUlT_T0_E_clISt17integral_constantIbLb0EES1E_IbLb1EEEEDaS1A_S1B_EUlS1A_E_NS1_11comp_targetILNS1_3genE4ELNS1_11target_archE910ELNS1_3gpuE8ELNS1_3repE0EEENS1_30default_config_static_selectorELNS0_4arch9wavefront6targetE0EEEvT1_: ; @_ZN7rocprim17ROCPRIM_400000_NS6detail17trampoline_kernelINS0_14default_configENS1_25partition_config_selectorILNS1_17partition_subalgoE5EsNS0_10empty_typeEbEEZZNS1_14partition_implILS5_5ELb0ES3_mN6thrust23THRUST_200600_302600_NS6detail15normal_iteratorINSA_10device_ptrIsEEEEPS6_NSA_18transform_iteratorINSB_9not_fun_tI7is_trueIsEEENSC_INSD_IbEEEENSA_11use_defaultESO_EENS0_5tupleIJNSA_16discard_iteratorISO_EES6_EEENSQ_IJSG_SG_EEES6_PlJS6_EEE10hipError_tPvRmT3_T4_T5_T6_T7_T9_mT8_P12ihipStream_tbDpT10_ENKUlT_T0_E_clISt17integral_constantIbLb0EES1E_IbLb1EEEEDaS1A_S1B_EUlS1A_E_NS1_11comp_targetILNS1_3genE4ELNS1_11target_archE910ELNS1_3gpuE8ELNS1_3repE0EEENS1_30default_config_static_selectorELNS0_4arch9wavefront6targetE0EEEvT1_
; %bb.0:
	.section	.rodata,"a",@progbits
	.p2align	6, 0x0
	.amdhsa_kernel _ZN7rocprim17ROCPRIM_400000_NS6detail17trampoline_kernelINS0_14default_configENS1_25partition_config_selectorILNS1_17partition_subalgoE5EsNS0_10empty_typeEbEEZZNS1_14partition_implILS5_5ELb0ES3_mN6thrust23THRUST_200600_302600_NS6detail15normal_iteratorINSA_10device_ptrIsEEEEPS6_NSA_18transform_iteratorINSB_9not_fun_tI7is_trueIsEEENSC_INSD_IbEEEENSA_11use_defaultESO_EENS0_5tupleIJNSA_16discard_iteratorISO_EES6_EEENSQ_IJSG_SG_EEES6_PlJS6_EEE10hipError_tPvRmT3_T4_T5_T6_T7_T9_mT8_P12ihipStream_tbDpT10_ENKUlT_T0_E_clISt17integral_constantIbLb0EES1E_IbLb1EEEEDaS1A_S1B_EUlS1A_E_NS1_11comp_targetILNS1_3genE4ELNS1_11target_archE910ELNS1_3gpuE8ELNS1_3repE0EEENS1_30default_config_static_selectorELNS0_4arch9wavefront6targetE0EEEvT1_
		.amdhsa_group_segment_fixed_size 0
		.amdhsa_private_segment_fixed_size 0
		.amdhsa_kernarg_size 144
		.amdhsa_user_sgpr_count 2
		.amdhsa_user_sgpr_dispatch_ptr 0
		.amdhsa_user_sgpr_queue_ptr 0
		.amdhsa_user_sgpr_kernarg_segment_ptr 1
		.amdhsa_user_sgpr_dispatch_id 0
		.amdhsa_user_sgpr_private_segment_size 0
		.amdhsa_wavefront_size32 1
		.amdhsa_uses_dynamic_stack 0
		.amdhsa_enable_private_segment 0
		.amdhsa_system_sgpr_workgroup_id_x 1
		.amdhsa_system_sgpr_workgroup_id_y 0
		.amdhsa_system_sgpr_workgroup_id_z 0
		.amdhsa_system_sgpr_workgroup_info 0
		.amdhsa_system_vgpr_workitem_id 0
		.amdhsa_next_free_vgpr 1
		.amdhsa_next_free_sgpr 1
		.amdhsa_reserve_vcc 0
		.amdhsa_float_round_mode_32 0
		.amdhsa_float_round_mode_16_64 0
		.amdhsa_float_denorm_mode_32 3
		.amdhsa_float_denorm_mode_16_64 3
		.amdhsa_fp16_overflow 0
		.amdhsa_workgroup_processor_mode 1
		.amdhsa_memory_ordered 1
		.amdhsa_forward_progress 1
		.amdhsa_inst_pref_size 0
		.amdhsa_round_robin_scheduling 0
		.amdhsa_exception_fp_ieee_invalid_op 0
		.amdhsa_exception_fp_denorm_src 0
		.amdhsa_exception_fp_ieee_div_zero 0
		.amdhsa_exception_fp_ieee_overflow 0
		.amdhsa_exception_fp_ieee_underflow 0
		.amdhsa_exception_fp_ieee_inexact 0
		.amdhsa_exception_int_div_zero 0
	.end_amdhsa_kernel
	.section	.text._ZN7rocprim17ROCPRIM_400000_NS6detail17trampoline_kernelINS0_14default_configENS1_25partition_config_selectorILNS1_17partition_subalgoE5EsNS0_10empty_typeEbEEZZNS1_14partition_implILS5_5ELb0ES3_mN6thrust23THRUST_200600_302600_NS6detail15normal_iteratorINSA_10device_ptrIsEEEEPS6_NSA_18transform_iteratorINSB_9not_fun_tI7is_trueIsEEENSC_INSD_IbEEEENSA_11use_defaultESO_EENS0_5tupleIJNSA_16discard_iteratorISO_EES6_EEENSQ_IJSG_SG_EEES6_PlJS6_EEE10hipError_tPvRmT3_T4_T5_T6_T7_T9_mT8_P12ihipStream_tbDpT10_ENKUlT_T0_E_clISt17integral_constantIbLb0EES1E_IbLb1EEEEDaS1A_S1B_EUlS1A_E_NS1_11comp_targetILNS1_3genE4ELNS1_11target_archE910ELNS1_3gpuE8ELNS1_3repE0EEENS1_30default_config_static_selectorELNS0_4arch9wavefront6targetE0EEEvT1_,"axG",@progbits,_ZN7rocprim17ROCPRIM_400000_NS6detail17trampoline_kernelINS0_14default_configENS1_25partition_config_selectorILNS1_17partition_subalgoE5EsNS0_10empty_typeEbEEZZNS1_14partition_implILS5_5ELb0ES3_mN6thrust23THRUST_200600_302600_NS6detail15normal_iteratorINSA_10device_ptrIsEEEEPS6_NSA_18transform_iteratorINSB_9not_fun_tI7is_trueIsEEENSC_INSD_IbEEEENSA_11use_defaultESO_EENS0_5tupleIJNSA_16discard_iteratorISO_EES6_EEENSQ_IJSG_SG_EEES6_PlJS6_EEE10hipError_tPvRmT3_T4_T5_T6_T7_T9_mT8_P12ihipStream_tbDpT10_ENKUlT_T0_E_clISt17integral_constantIbLb0EES1E_IbLb1EEEEDaS1A_S1B_EUlS1A_E_NS1_11comp_targetILNS1_3genE4ELNS1_11target_archE910ELNS1_3gpuE8ELNS1_3repE0EEENS1_30default_config_static_selectorELNS0_4arch9wavefront6targetE0EEEvT1_,comdat
.Lfunc_end2839:
	.size	_ZN7rocprim17ROCPRIM_400000_NS6detail17trampoline_kernelINS0_14default_configENS1_25partition_config_selectorILNS1_17partition_subalgoE5EsNS0_10empty_typeEbEEZZNS1_14partition_implILS5_5ELb0ES3_mN6thrust23THRUST_200600_302600_NS6detail15normal_iteratorINSA_10device_ptrIsEEEEPS6_NSA_18transform_iteratorINSB_9not_fun_tI7is_trueIsEEENSC_INSD_IbEEEENSA_11use_defaultESO_EENS0_5tupleIJNSA_16discard_iteratorISO_EES6_EEENSQ_IJSG_SG_EEES6_PlJS6_EEE10hipError_tPvRmT3_T4_T5_T6_T7_T9_mT8_P12ihipStream_tbDpT10_ENKUlT_T0_E_clISt17integral_constantIbLb0EES1E_IbLb1EEEEDaS1A_S1B_EUlS1A_E_NS1_11comp_targetILNS1_3genE4ELNS1_11target_archE910ELNS1_3gpuE8ELNS1_3repE0EEENS1_30default_config_static_selectorELNS0_4arch9wavefront6targetE0EEEvT1_, .Lfunc_end2839-_ZN7rocprim17ROCPRIM_400000_NS6detail17trampoline_kernelINS0_14default_configENS1_25partition_config_selectorILNS1_17partition_subalgoE5EsNS0_10empty_typeEbEEZZNS1_14partition_implILS5_5ELb0ES3_mN6thrust23THRUST_200600_302600_NS6detail15normal_iteratorINSA_10device_ptrIsEEEEPS6_NSA_18transform_iteratorINSB_9not_fun_tI7is_trueIsEEENSC_INSD_IbEEEENSA_11use_defaultESO_EENS0_5tupleIJNSA_16discard_iteratorISO_EES6_EEENSQ_IJSG_SG_EEES6_PlJS6_EEE10hipError_tPvRmT3_T4_T5_T6_T7_T9_mT8_P12ihipStream_tbDpT10_ENKUlT_T0_E_clISt17integral_constantIbLb0EES1E_IbLb1EEEEDaS1A_S1B_EUlS1A_E_NS1_11comp_targetILNS1_3genE4ELNS1_11target_archE910ELNS1_3gpuE8ELNS1_3repE0EEENS1_30default_config_static_selectorELNS0_4arch9wavefront6targetE0EEEvT1_
                                        ; -- End function
	.set _ZN7rocprim17ROCPRIM_400000_NS6detail17trampoline_kernelINS0_14default_configENS1_25partition_config_selectorILNS1_17partition_subalgoE5EsNS0_10empty_typeEbEEZZNS1_14partition_implILS5_5ELb0ES3_mN6thrust23THRUST_200600_302600_NS6detail15normal_iteratorINSA_10device_ptrIsEEEEPS6_NSA_18transform_iteratorINSB_9not_fun_tI7is_trueIsEEENSC_INSD_IbEEEENSA_11use_defaultESO_EENS0_5tupleIJNSA_16discard_iteratorISO_EES6_EEENSQ_IJSG_SG_EEES6_PlJS6_EEE10hipError_tPvRmT3_T4_T5_T6_T7_T9_mT8_P12ihipStream_tbDpT10_ENKUlT_T0_E_clISt17integral_constantIbLb0EES1E_IbLb1EEEEDaS1A_S1B_EUlS1A_E_NS1_11comp_targetILNS1_3genE4ELNS1_11target_archE910ELNS1_3gpuE8ELNS1_3repE0EEENS1_30default_config_static_selectorELNS0_4arch9wavefront6targetE0EEEvT1_.num_vgpr, 0
	.set _ZN7rocprim17ROCPRIM_400000_NS6detail17trampoline_kernelINS0_14default_configENS1_25partition_config_selectorILNS1_17partition_subalgoE5EsNS0_10empty_typeEbEEZZNS1_14partition_implILS5_5ELb0ES3_mN6thrust23THRUST_200600_302600_NS6detail15normal_iteratorINSA_10device_ptrIsEEEEPS6_NSA_18transform_iteratorINSB_9not_fun_tI7is_trueIsEEENSC_INSD_IbEEEENSA_11use_defaultESO_EENS0_5tupleIJNSA_16discard_iteratorISO_EES6_EEENSQ_IJSG_SG_EEES6_PlJS6_EEE10hipError_tPvRmT3_T4_T5_T6_T7_T9_mT8_P12ihipStream_tbDpT10_ENKUlT_T0_E_clISt17integral_constantIbLb0EES1E_IbLb1EEEEDaS1A_S1B_EUlS1A_E_NS1_11comp_targetILNS1_3genE4ELNS1_11target_archE910ELNS1_3gpuE8ELNS1_3repE0EEENS1_30default_config_static_selectorELNS0_4arch9wavefront6targetE0EEEvT1_.num_agpr, 0
	.set _ZN7rocprim17ROCPRIM_400000_NS6detail17trampoline_kernelINS0_14default_configENS1_25partition_config_selectorILNS1_17partition_subalgoE5EsNS0_10empty_typeEbEEZZNS1_14partition_implILS5_5ELb0ES3_mN6thrust23THRUST_200600_302600_NS6detail15normal_iteratorINSA_10device_ptrIsEEEEPS6_NSA_18transform_iteratorINSB_9not_fun_tI7is_trueIsEEENSC_INSD_IbEEEENSA_11use_defaultESO_EENS0_5tupleIJNSA_16discard_iteratorISO_EES6_EEENSQ_IJSG_SG_EEES6_PlJS6_EEE10hipError_tPvRmT3_T4_T5_T6_T7_T9_mT8_P12ihipStream_tbDpT10_ENKUlT_T0_E_clISt17integral_constantIbLb0EES1E_IbLb1EEEEDaS1A_S1B_EUlS1A_E_NS1_11comp_targetILNS1_3genE4ELNS1_11target_archE910ELNS1_3gpuE8ELNS1_3repE0EEENS1_30default_config_static_selectorELNS0_4arch9wavefront6targetE0EEEvT1_.numbered_sgpr, 0
	.set _ZN7rocprim17ROCPRIM_400000_NS6detail17trampoline_kernelINS0_14default_configENS1_25partition_config_selectorILNS1_17partition_subalgoE5EsNS0_10empty_typeEbEEZZNS1_14partition_implILS5_5ELb0ES3_mN6thrust23THRUST_200600_302600_NS6detail15normal_iteratorINSA_10device_ptrIsEEEEPS6_NSA_18transform_iteratorINSB_9not_fun_tI7is_trueIsEEENSC_INSD_IbEEEENSA_11use_defaultESO_EENS0_5tupleIJNSA_16discard_iteratorISO_EES6_EEENSQ_IJSG_SG_EEES6_PlJS6_EEE10hipError_tPvRmT3_T4_T5_T6_T7_T9_mT8_P12ihipStream_tbDpT10_ENKUlT_T0_E_clISt17integral_constantIbLb0EES1E_IbLb1EEEEDaS1A_S1B_EUlS1A_E_NS1_11comp_targetILNS1_3genE4ELNS1_11target_archE910ELNS1_3gpuE8ELNS1_3repE0EEENS1_30default_config_static_selectorELNS0_4arch9wavefront6targetE0EEEvT1_.num_named_barrier, 0
	.set _ZN7rocprim17ROCPRIM_400000_NS6detail17trampoline_kernelINS0_14default_configENS1_25partition_config_selectorILNS1_17partition_subalgoE5EsNS0_10empty_typeEbEEZZNS1_14partition_implILS5_5ELb0ES3_mN6thrust23THRUST_200600_302600_NS6detail15normal_iteratorINSA_10device_ptrIsEEEEPS6_NSA_18transform_iteratorINSB_9not_fun_tI7is_trueIsEEENSC_INSD_IbEEEENSA_11use_defaultESO_EENS0_5tupleIJNSA_16discard_iteratorISO_EES6_EEENSQ_IJSG_SG_EEES6_PlJS6_EEE10hipError_tPvRmT3_T4_T5_T6_T7_T9_mT8_P12ihipStream_tbDpT10_ENKUlT_T0_E_clISt17integral_constantIbLb0EES1E_IbLb1EEEEDaS1A_S1B_EUlS1A_E_NS1_11comp_targetILNS1_3genE4ELNS1_11target_archE910ELNS1_3gpuE8ELNS1_3repE0EEENS1_30default_config_static_selectorELNS0_4arch9wavefront6targetE0EEEvT1_.private_seg_size, 0
	.set _ZN7rocprim17ROCPRIM_400000_NS6detail17trampoline_kernelINS0_14default_configENS1_25partition_config_selectorILNS1_17partition_subalgoE5EsNS0_10empty_typeEbEEZZNS1_14partition_implILS5_5ELb0ES3_mN6thrust23THRUST_200600_302600_NS6detail15normal_iteratorINSA_10device_ptrIsEEEEPS6_NSA_18transform_iteratorINSB_9not_fun_tI7is_trueIsEEENSC_INSD_IbEEEENSA_11use_defaultESO_EENS0_5tupleIJNSA_16discard_iteratorISO_EES6_EEENSQ_IJSG_SG_EEES6_PlJS6_EEE10hipError_tPvRmT3_T4_T5_T6_T7_T9_mT8_P12ihipStream_tbDpT10_ENKUlT_T0_E_clISt17integral_constantIbLb0EES1E_IbLb1EEEEDaS1A_S1B_EUlS1A_E_NS1_11comp_targetILNS1_3genE4ELNS1_11target_archE910ELNS1_3gpuE8ELNS1_3repE0EEENS1_30default_config_static_selectorELNS0_4arch9wavefront6targetE0EEEvT1_.uses_vcc, 0
	.set _ZN7rocprim17ROCPRIM_400000_NS6detail17trampoline_kernelINS0_14default_configENS1_25partition_config_selectorILNS1_17partition_subalgoE5EsNS0_10empty_typeEbEEZZNS1_14partition_implILS5_5ELb0ES3_mN6thrust23THRUST_200600_302600_NS6detail15normal_iteratorINSA_10device_ptrIsEEEEPS6_NSA_18transform_iteratorINSB_9not_fun_tI7is_trueIsEEENSC_INSD_IbEEEENSA_11use_defaultESO_EENS0_5tupleIJNSA_16discard_iteratorISO_EES6_EEENSQ_IJSG_SG_EEES6_PlJS6_EEE10hipError_tPvRmT3_T4_T5_T6_T7_T9_mT8_P12ihipStream_tbDpT10_ENKUlT_T0_E_clISt17integral_constantIbLb0EES1E_IbLb1EEEEDaS1A_S1B_EUlS1A_E_NS1_11comp_targetILNS1_3genE4ELNS1_11target_archE910ELNS1_3gpuE8ELNS1_3repE0EEENS1_30default_config_static_selectorELNS0_4arch9wavefront6targetE0EEEvT1_.uses_flat_scratch, 0
	.set _ZN7rocprim17ROCPRIM_400000_NS6detail17trampoline_kernelINS0_14default_configENS1_25partition_config_selectorILNS1_17partition_subalgoE5EsNS0_10empty_typeEbEEZZNS1_14partition_implILS5_5ELb0ES3_mN6thrust23THRUST_200600_302600_NS6detail15normal_iteratorINSA_10device_ptrIsEEEEPS6_NSA_18transform_iteratorINSB_9not_fun_tI7is_trueIsEEENSC_INSD_IbEEEENSA_11use_defaultESO_EENS0_5tupleIJNSA_16discard_iteratorISO_EES6_EEENSQ_IJSG_SG_EEES6_PlJS6_EEE10hipError_tPvRmT3_T4_T5_T6_T7_T9_mT8_P12ihipStream_tbDpT10_ENKUlT_T0_E_clISt17integral_constantIbLb0EES1E_IbLb1EEEEDaS1A_S1B_EUlS1A_E_NS1_11comp_targetILNS1_3genE4ELNS1_11target_archE910ELNS1_3gpuE8ELNS1_3repE0EEENS1_30default_config_static_selectorELNS0_4arch9wavefront6targetE0EEEvT1_.has_dyn_sized_stack, 0
	.set _ZN7rocprim17ROCPRIM_400000_NS6detail17trampoline_kernelINS0_14default_configENS1_25partition_config_selectorILNS1_17partition_subalgoE5EsNS0_10empty_typeEbEEZZNS1_14partition_implILS5_5ELb0ES3_mN6thrust23THRUST_200600_302600_NS6detail15normal_iteratorINSA_10device_ptrIsEEEEPS6_NSA_18transform_iteratorINSB_9not_fun_tI7is_trueIsEEENSC_INSD_IbEEEENSA_11use_defaultESO_EENS0_5tupleIJNSA_16discard_iteratorISO_EES6_EEENSQ_IJSG_SG_EEES6_PlJS6_EEE10hipError_tPvRmT3_T4_T5_T6_T7_T9_mT8_P12ihipStream_tbDpT10_ENKUlT_T0_E_clISt17integral_constantIbLb0EES1E_IbLb1EEEEDaS1A_S1B_EUlS1A_E_NS1_11comp_targetILNS1_3genE4ELNS1_11target_archE910ELNS1_3gpuE8ELNS1_3repE0EEENS1_30default_config_static_selectorELNS0_4arch9wavefront6targetE0EEEvT1_.has_recursion, 0
	.set _ZN7rocprim17ROCPRIM_400000_NS6detail17trampoline_kernelINS0_14default_configENS1_25partition_config_selectorILNS1_17partition_subalgoE5EsNS0_10empty_typeEbEEZZNS1_14partition_implILS5_5ELb0ES3_mN6thrust23THRUST_200600_302600_NS6detail15normal_iteratorINSA_10device_ptrIsEEEEPS6_NSA_18transform_iteratorINSB_9not_fun_tI7is_trueIsEEENSC_INSD_IbEEEENSA_11use_defaultESO_EENS0_5tupleIJNSA_16discard_iteratorISO_EES6_EEENSQ_IJSG_SG_EEES6_PlJS6_EEE10hipError_tPvRmT3_T4_T5_T6_T7_T9_mT8_P12ihipStream_tbDpT10_ENKUlT_T0_E_clISt17integral_constantIbLb0EES1E_IbLb1EEEEDaS1A_S1B_EUlS1A_E_NS1_11comp_targetILNS1_3genE4ELNS1_11target_archE910ELNS1_3gpuE8ELNS1_3repE0EEENS1_30default_config_static_selectorELNS0_4arch9wavefront6targetE0EEEvT1_.has_indirect_call, 0
	.section	.AMDGPU.csdata,"",@progbits
; Kernel info:
; codeLenInByte = 0
; TotalNumSgprs: 0
; NumVgprs: 0
; ScratchSize: 0
; MemoryBound: 0
; FloatMode: 240
; IeeeMode: 1
; LDSByteSize: 0 bytes/workgroup (compile time only)
; SGPRBlocks: 0
; VGPRBlocks: 0
; NumSGPRsForWavesPerEU: 1
; NumVGPRsForWavesPerEU: 1
; Occupancy: 16
; WaveLimiterHint : 0
; COMPUTE_PGM_RSRC2:SCRATCH_EN: 0
; COMPUTE_PGM_RSRC2:USER_SGPR: 2
; COMPUTE_PGM_RSRC2:TRAP_HANDLER: 0
; COMPUTE_PGM_RSRC2:TGID_X_EN: 1
; COMPUTE_PGM_RSRC2:TGID_Y_EN: 0
; COMPUTE_PGM_RSRC2:TGID_Z_EN: 0
; COMPUTE_PGM_RSRC2:TIDIG_COMP_CNT: 0
	.section	.text._ZN7rocprim17ROCPRIM_400000_NS6detail17trampoline_kernelINS0_14default_configENS1_25partition_config_selectorILNS1_17partition_subalgoE5EsNS0_10empty_typeEbEEZZNS1_14partition_implILS5_5ELb0ES3_mN6thrust23THRUST_200600_302600_NS6detail15normal_iteratorINSA_10device_ptrIsEEEEPS6_NSA_18transform_iteratorINSB_9not_fun_tI7is_trueIsEEENSC_INSD_IbEEEENSA_11use_defaultESO_EENS0_5tupleIJNSA_16discard_iteratorISO_EES6_EEENSQ_IJSG_SG_EEES6_PlJS6_EEE10hipError_tPvRmT3_T4_T5_T6_T7_T9_mT8_P12ihipStream_tbDpT10_ENKUlT_T0_E_clISt17integral_constantIbLb0EES1E_IbLb1EEEEDaS1A_S1B_EUlS1A_E_NS1_11comp_targetILNS1_3genE3ELNS1_11target_archE908ELNS1_3gpuE7ELNS1_3repE0EEENS1_30default_config_static_selectorELNS0_4arch9wavefront6targetE0EEEvT1_,"axG",@progbits,_ZN7rocprim17ROCPRIM_400000_NS6detail17trampoline_kernelINS0_14default_configENS1_25partition_config_selectorILNS1_17partition_subalgoE5EsNS0_10empty_typeEbEEZZNS1_14partition_implILS5_5ELb0ES3_mN6thrust23THRUST_200600_302600_NS6detail15normal_iteratorINSA_10device_ptrIsEEEEPS6_NSA_18transform_iteratorINSB_9not_fun_tI7is_trueIsEEENSC_INSD_IbEEEENSA_11use_defaultESO_EENS0_5tupleIJNSA_16discard_iteratorISO_EES6_EEENSQ_IJSG_SG_EEES6_PlJS6_EEE10hipError_tPvRmT3_T4_T5_T6_T7_T9_mT8_P12ihipStream_tbDpT10_ENKUlT_T0_E_clISt17integral_constantIbLb0EES1E_IbLb1EEEEDaS1A_S1B_EUlS1A_E_NS1_11comp_targetILNS1_3genE3ELNS1_11target_archE908ELNS1_3gpuE7ELNS1_3repE0EEENS1_30default_config_static_selectorELNS0_4arch9wavefront6targetE0EEEvT1_,comdat
	.protected	_ZN7rocprim17ROCPRIM_400000_NS6detail17trampoline_kernelINS0_14default_configENS1_25partition_config_selectorILNS1_17partition_subalgoE5EsNS0_10empty_typeEbEEZZNS1_14partition_implILS5_5ELb0ES3_mN6thrust23THRUST_200600_302600_NS6detail15normal_iteratorINSA_10device_ptrIsEEEEPS6_NSA_18transform_iteratorINSB_9not_fun_tI7is_trueIsEEENSC_INSD_IbEEEENSA_11use_defaultESO_EENS0_5tupleIJNSA_16discard_iteratorISO_EES6_EEENSQ_IJSG_SG_EEES6_PlJS6_EEE10hipError_tPvRmT3_T4_T5_T6_T7_T9_mT8_P12ihipStream_tbDpT10_ENKUlT_T0_E_clISt17integral_constantIbLb0EES1E_IbLb1EEEEDaS1A_S1B_EUlS1A_E_NS1_11comp_targetILNS1_3genE3ELNS1_11target_archE908ELNS1_3gpuE7ELNS1_3repE0EEENS1_30default_config_static_selectorELNS0_4arch9wavefront6targetE0EEEvT1_ ; -- Begin function _ZN7rocprim17ROCPRIM_400000_NS6detail17trampoline_kernelINS0_14default_configENS1_25partition_config_selectorILNS1_17partition_subalgoE5EsNS0_10empty_typeEbEEZZNS1_14partition_implILS5_5ELb0ES3_mN6thrust23THRUST_200600_302600_NS6detail15normal_iteratorINSA_10device_ptrIsEEEEPS6_NSA_18transform_iteratorINSB_9not_fun_tI7is_trueIsEEENSC_INSD_IbEEEENSA_11use_defaultESO_EENS0_5tupleIJNSA_16discard_iteratorISO_EES6_EEENSQ_IJSG_SG_EEES6_PlJS6_EEE10hipError_tPvRmT3_T4_T5_T6_T7_T9_mT8_P12ihipStream_tbDpT10_ENKUlT_T0_E_clISt17integral_constantIbLb0EES1E_IbLb1EEEEDaS1A_S1B_EUlS1A_E_NS1_11comp_targetILNS1_3genE3ELNS1_11target_archE908ELNS1_3gpuE7ELNS1_3repE0EEENS1_30default_config_static_selectorELNS0_4arch9wavefront6targetE0EEEvT1_
	.globl	_ZN7rocprim17ROCPRIM_400000_NS6detail17trampoline_kernelINS0_14default_configENS1_25partition_config_selectorILNS1_17partition_subalgoE5EsNS0_10empty_typeEbEEZZNS1_14partition_implILS5_5ELb0ES3_mN6thrust23THRUST_200600_302600_NS6detail15normal_iteratorINSA_10device_ptrIsEEEEPS6_NSA_18transform_iteratorINSB_9not_fun_tI7is_trueIsEEENSC_INSD_IbEEEENSA_11use_defaultESO_EENS0_5tupleIJNSA_16discard_iteratorISO_EES6_EEENSQ_IJSG_SG_EEES6_PlJS6_EEE10hipError_tPvRmT3_T4_T5_T6_T7_T9_mT8_P12ihipStream_tbDpT10_ENKUlT_T0_E_clISt17integral_constantIbLb0EES1E_IbLb1EEEEDaS1A_S1B_EUlS1A_E_NS1_11comp_targetILNS1_3genE3ELNS1_11target_archE908ELNS1_3gpuE7ELNS1_3repE0EEENS1_30default_config_static_selectorELNS0_4arch9wavefront6targetE0EEEvT1_
	.p2align	8
	.type	_ZN7rocprim17ROCPRIM_400000_NS6detail17trampoline_kernelINS0_14default_configENS1_25partition_config_selectorILNS1_17partition_subalgoE5EsNS0_10empty_typeEbEEZZNS1_14partition_implILS5_5ELb0ES3_mN6thrust23THRUST_200600_302600_NS6detail15normal_iteratorINSA_10device_ptrIsEEEEPS6_NSA_18transform_iteratorINSB_9not_fun_tI7is_trueIsEEENSC_INSD_IbEEEENSA_11use_defaultESO_EENS0_5tupleIJNSA_16discard_iteratorISO_EES6_EEENSQ_IJSG_SG_EEES6_PlJS6_EEE10hipError_tPvRmT3_T4_T5_T6_T7_T9_mT8_P12ihipStream_tbDpT10_ENKUlT_T0_E_clISt17integral_constantIbLb0EES1E_IbLb1EEEEDaS1A_S1B_EUlS1A_E_NS1_11comp_targetILNS1_3genE3ELNS1_11target_archE908ELNS1_3gpuE7ELNS1_3repE0EEENS1_30default_config_static_selectorELNS0_4arch9wavefront6targetE0EEEvT1_,@function
_ZN7rocprim17ROCPRIM_400000_NS6detail17trampoline_kernelINS0_14default_configENS1_25partition_config_selectorILNS1_17partition_subalgoE5EsNS0_10empty_typeEbEEZZNS1_14partition_implILS5_5ELb0ES3_mN6thrust23THRUST_200600_302600_NS6detail15normal_iteratorINSA_10device_ptrIsEEEEPS6_NSA_18transform_iteratorINSB_9not_fun_tI7is_trueIsEEENSC_INSD_IbEEEENSA_11use_defaultESO_EENS0_5tupleIJNSA_16discard_iteratorISO_EES6_EEENSQ_IJSG_SG_EEES6_PlJS6_EEE10hipError_tPvRmT3_T4_T5_T6_T7_T9_mT8_P12ihipStream_tbDpT10_ENKUlT_T0_E_clISt17integral_constantIbLb0EES1E_IbLb1EEEEDaS1A_S1B_EUlS1A_E_NS1_11comp_targetILNS1_3genE3ELNS1_11target_archE908ELNS1_3gpuE7ELNS1_3repE0EEENS1_30default_config_static_selectorELNS0_4arch9wavefront6targetE0EEEvT1_: ; @_ZN7rocprim17ROCPRIM_400000_NS6detail17trampoline_kernelINS0_14default_configENS1_25partition_config_selectorILNS1_17partition_subalgoE5EsNS0_10empty_typeEbEEZZNS1_14partition_implILS5_5ELb0ES3_mN6thrust23THRUST_200600_302600_NS6detail15normal_iteratorINSA_10device_ptrIsEEEEPS6_NSA_18transform_iteratorINSB_9not_fun_tI7is_trueIsEEENSC_INSD_IbEEEENSA_11use_defaultESO_EENS0_5tupleIJNSA_16discard_iteratorISO_EES6_EEENSQ_IJSG_SG_EEES6_PlJS6_EEE10hipError_tPvRmT3_T4_T5_T6_T7_T9_mT8_P12ihipStream_tbDpT10_ENKUlT_T0_E_clISt17integral_constantIbLb0EES1E_IbLb1EEEEDaS1A_S1B_EUlS1A_E_NS1_11comp_targetILNS1_3genE3ELNS1_11target_archE908ELNS1_3gpuE7ELNS1_3repE0EEENS1_30default_config_static_selectorELNS0_4arch9wavefront6targetE0EEEvT1_
; %bb.0:
	.section	.rodata,"a",@progbits
	.p2align	6, 0x0
	.amdhsa_kernel _ZN7rocprim17ROCPRIM_400000_NS6detail17trampoline_kernelINS0_14default_configENS1_25partition_config_selectorILNS1_17partition_subalgoE5EsNS0_10empty_typeEbEEZZNS1_14partition_implILS5_5ELb0ES3_mN6thrust23THRUST_200600_302600_NS6detail15normal_iteratorINSA_10device_ptrIsEEEEPS6_NSA_18transform_iteratorINSB_9not_fun_tI7is_trueIsEEENSC_INSD_IbEEEENSA_11use_defaultESO_EENS0_5tupleIJNSA_16discard_iteratorISO_EES6_EEENSQ_IJSG_SG_EEES6_PlJS6_EEE10hipError_tPvRmT3_T4_T5_T6_T7_T9_mT8_P12ihipStream_tbDpT10_ENKUlT_T0_E_clISt17integral_constantIbLb0EES1E_IbLb1EEEEDaS1A_S1B_EUlS1A_E_NS1_11comp_targetILNS1_3genE3ELNS1_11target_archE908ELNS1_3gpuE7ELNS1_3repE0EEENS1_30default_config_static_selectorELNS0_4arch9wavefront6targetE0EEEvT1_
		.amdhsa_group_segment_fixed_size 0
		.amdhsa_private_segment_fixed_size 0
		.amdhsa_kernarg_size 144
		.amdhsa_user_sgpr_count 2
		.amdhsa_user_sgpr_dispatch_ptr 0
		.amdhsa_user_sgpr_queue_ptr 0
		.amdhsa_user_sgpr_kernarg_segment_ptr 1
		.amdhsa_user_sgpr_dispatch_id 0
		.amdhsa_user_sgpr_private_segment_size 0
		.amdhsa_wavefront_size32 1
		.amdhsa_uses_dynamic_stack 0
		.amdhsa_enable_private_segment 0
		.amdhsa_system_sgpr_workgroup_id_x 1
		.amdhsa_system_sgpr_workgroup_id_y 0
		.amdhsa_system_sgpr_workgroup_id_z 0
		.amdhsa_system_sgpr_workgroup_info 0
		.amdhsa_system_vgpr_workitem_id 0
		.amdhsa_next_free_vgpr 1
		.amdhsa_next_free_sgpr 1
		.amdhsa_reserve_vcc 0
		.amdhsa_float_round_mode_32 0
		.amdhsa_float_round_mode_16_64 0
		.amdhsa_float_denorm_mode_32 3
		.amdhsa_float_denorm_mode_16_64 3
		.amdhsa_fp16_overflow 0
		.amdhsa_workgroup_processor_mode 1
		.amdhsa_memory_ordered 1
		.amdhsa_forward_progress 1
		.amdhsa_inst_pref_size 0
		.amdhsa_round_robin_scheduling 0
		.amdhsa_exception_fp_ieee_invalid_op 0
		.amdhsa_exception_fp_denorm_src 0
		.amdhsa_exception_fp_ieee_div_zero 0
		.amdhsa_exception_fp_ieee_overflow 0
		.amdhsa_exception_fp_ieee_underflow 0
		.amdhsa_exception_fp_ieee_inexact 0
		.amdhsa_exception_int_div_zero 0
	.end_amdhsa_kernel
	.section	.text._ZN7rocprim17ROCPRIM_400000_NS6detail17trampoline_kernelINS0_14default_configENS1_25partition_config_selectorILNS1_17partition_subalgoE5EsNS0_10empty_typeEbEEZZNS1_14partition_implILS5_5ELb0ES3_mN6thrust23THRUST_200600_302600_NS6detail15normal_iteratorINSA_10device_ptrIsEEEEPS6_NSA_18transform_iteratorINSB_9not_fun_tI7is_trueIsEEENSC_INSD_IbEEEENSA_11use_defaultESO_EENS0_5tupleIJNSA_16discard_iteratorISO_EES6_EEENSQ_IJSG_SG_EEES6_PlJS6_EEE10hipError_tPvRmT3_T4_T5_T6_T7_T9_mT8_P12ihipStream_tbDpT10_ENKUlT_T0_E_clISt17integral_constantIbLb0EES1E_IbLb1EEEEDaS1A_S1B_EUlS1A_E_NS1_11comp_targetILNS1_3genE3ELNS1_11target_archE908ELNS1_3gpuE7ELNS1_3repE0EEENS1_30default_config_static_selectorELNS0_4arch9wavefront6targetE0EEEvT1_,"axG",@progbits,_ZN7rocprim17ROCPRIM_400000_NS6detail17trampoline_kernelINS0_14default_configENS1_25partition_config_selectorILNS1_17partition_subalgoE5EsNS0_10empty_typeEbEEZZNS1_14partition_implILS5_5ELb0ES3_mN6thrust23THRUST_200600_302600_NS6detail15normal_iteratorINSA_10device_ptrIsEEEEPS6_NSA_18transform_iteratorINSB_9not_fun_tI7is_trueIsEEENSC_INSD_IbEEEENSA_11use_defaultESO_EENS0_5tupleIJNSA_16discard_iteratorISO_EES6_EEENSQ_IJSG_SG_EEES6_PlJS6_EEE10hipError_tPvRmT3_T4_T5_T6_T7_T9_mT8_P12ihipStream_tbDpT10_ENKUlT_T0_E_clISt17integral_constantIbLb0EES1E_IbLb1EEEEDaS1A_S1B_EUlS1A_E_NS1_11comp_targetILNS1_3genE3ELNS1_11target_archE908ELNS1_3gpuE7ELNS1_3repE0EEENS1_30default_config_static_selectorELNS0_4arch9wavefront6targetE0EEEvT1_,comdat
.Lfunc_end2840:
	.size	_ZN7rocprim17ROCPRIM_400000_NS6detail17trampoline_kernelINS0_14default_configENS1_25partition_config_selectorILNS1_17partition_subalgoE5EsNS0_10empty_typeEbEEZZNS1_14partition_implILS5_5ELb0ES3_mN6thrust23THRUST_200600_302600_NS6detail15normal_iteratorINSA_10device_ptrIsEEEEPS6_NSA_18transform_iteratorINSB_9not_fun_tI7is_trueIsEEENSC_INSD_IbEEEENSA_11use_defaultESO_EENS0_5tupleIJNSA_16discard_iteratorISO_EES6_EEENSQ_IJSG_SG_EEES6_PlJS6_EEE10hipError_tPvRmT3_T4_T5_T6_T7_T9_mT8_P12ihipStream_tbDpT10_ENKUlT_T0_E_clISt17integral_constantIbLb0EES1E_IbLb1EEEEDaS1A_S1B_EUlS1A_E_NS1_11comp_targetILNS1_3genE3ELNS1_11target_archE908ELNS1_3gpuE7ELNS1_3repE0EEENS1_30default_config_static_selectorELNS0_4arch9wavefront6targetE0EEEvT1_, .Lfunc_end2840-_ZN7rocprim17ROCPRIM_400000_NS6detail17trampoline_kernelINS0_14default_configENS1_25partition_config_selectorILNS1_17partition_subalgoE5EsNS0_10empty_typeEbEEZZNS1_14partition_implILS5_5ELb0ES3_mN6thrust23THRUST_200600_302600_NS6detail15normal_iteratorINSA_10device_ptrIsEEEEPS6_NSA_18transform_iteratorINSB_9not_fun_tI7is_trueIsEEENSC_INSD_IbEEEENSA_11use_defaultESO_EENS0_5tupleIJNSA_16discard_iteratorISO_EES6_EEENSQ_IJSG_SG_EEES6_PlJS6_EEE10hipError_tPvRmT3_T4_T5_T6_T7_T9_mT8_P12ihipStream_tbDpT10_ENKUlT_T0_E_clISt17integral_constantIbLb0EES1E_IbLb1EEEEDaS1A_S1B_EUlS1A_E_NS1_11comp_targetILNS1_3genE3ELNS1_11target_archE908ELNS1_3gpuE7ELNS1_3repE0EEENS1_30default_config_static_selectorELNS0_4arch9wavefront6targetE0EEEvT1_
                                        ; -- End function
	.set _ZN7rocprim17ROCPRIM_400000_NS6detail17trampoline_kernelINS0_14default_configENS1_25partition_config_selectorILNS1_17partition_subalgoE5EsNS0_10empty_typeEbEEZZNS1_14partition_implILS5_5ELb0ES3_mN6thrust23THRUST_200600_302600_NS6detail15normal_iteratorINSA_10device_ptrIsEEEEPS6_NSA_18transform_iteratorINSB_9not_fun_tI7is_trueIsEEENSC_INSD_IbEEEENSA_11use_defaultESO_EENS0_5tupleIJNSA_16discard_iteratorISO_EES6_EEENSQ_IJSG_SG_EEES6_PlJS6_EEE10hipError_tPvRmT3_T4_T5_T6_T7_T9_mT8_P12ihipStream_tbDpT10_ENKUlT_T0_E_clISt17integral_constantIbLb0EES1E_IbLb1EEEEDaS1A_S1B_EUlS1A_E_NS1_11comp_targetILNS1_3genE3ELNS1_11target_archE908ELNS1_3gpuE7ELNS1_3repE0EEENS1_30default_config_static_selectorELNS0_4arch9wavefront6targetE0EEEvT1_.num_vgpr, 0
	.set _ZN7rocprim17ROCPRIM_400000_NS6detail17trampoline_kernelINS0_14default_configENS1_25partition_config_selectorILNS1_17partition_subalgoE5EsNS0_10empty_typeEbEEZZNS1_14partition_implILS5_5ELb0ES3_mN6thrust23THRUST_200600_302600_NS6detail15normal_iteratorINSA_10device_ptrIsEEEEPS6_NSA_18transform_iteratorINSB_9not_fun_tI7is_trueIsEEENSC_INSD_IbEEEENSA_11use_defaultESO_EENS0_5tupleIJNSA_16discard_iteratorISO_EES6_EEENSQ_IJSG_SG_EEES6_PlJS6_EEE10hipError_tPvRmT3_T4_T5_T6_T7_T9_mT8_P12ihipStream_tbDpT10_ENKUlT_T0_E_clISt17integral_constantIbLb0EES1E_IbLb1EEEEDaS1A_S1B_EUlS1A_E_NS1_11comp_targetILNS1_3genE3ELNS1_11target_archE908ELNS1_3gpuE7ELNS1_3repE0EEENS1_30default_config_static_selectorELNS0_4arch9wavefront6targetE0EEEvT1_.num_agpr, 0
	.set _ZN7rocprim17ROCPRIM_400000_NS6detail17trampoline_kernelINS0_14default_configENS1_25partition_config_selectorILNS1_17partition_subalgoE5EsNS0_10empty_typeEbEEZZNS1_14partition_implILS5_5ELb0ES3_mN6thrust23THRUST_200600_302600_NS6detail15normal_iteratorINSA_10device_ptrIsEEEEPS6_NSA_18transform_iteratorINSB_9not_fun_tI7is_trueIsEEENSC_INSD_IbEEEENSA_11use_defaultESO_EENS0_5tupleIJNSA_16discard_iteratorISO_EES6_EEENSQ_IJSG_SG_EEES6_PlJS6_EEE10hipError_tPvRmT3_T4_T5_T6_T7_T9_mT8_P12ihipStream_tbDpT10_ENKUlT_T0_E_clISt17integral_constantIbLb0EES1E_IbLb1EEEEDaS1A_S1B_EUlS1A_E_NS1_11comp_targetILNS1_3genE3ELNS1_11target_archE908ELNS1_3gpuE7ELNS1_3repE0EEENS1_30default_config_static_selectorELNS0_4arch9wavefront6targetE0EEEvT1_.numbered_sgpr, 0
	.set _ZN7rocprim17ROCPRIM_400000_NS6detail17trampoline_kernelINS0_14default_configENS1_25partition_config_selectorILNS1_17partition_subalgoE5EsNS0_10empty_typeEbEEZZNS1_14partition_implILS5_5ELb0ES3_mN6thrust23THRUST_200600_302600_NS6detail15normal_iteratorINSA_10device_ptrIsEEEEPS6_NSA_18transform_iteratorINSB_9not_fun_tI7is_trueIsEEENSC_INSD_IbEEEENSA_11use_defaultESO_EENS0_5tupleIJNSA_16discard_iteratorISO_EES6_EEENSQ_IJSG_SG_EEES6_PlJS6_EEE10hipError_tPvRmT3_T4_T5_T6_T7_T9_mT8_P12ihipStream_tbDpT10_ENKUlT_T0_E_clISt17integral_constantIbLb0EES1E_IbLb1EEEEDaS1A_S1B_EUlS1A_E_NS1_11comp_targetILNS1_3genE3ELNS1_11target_archE908ELNS1_3gpuE7ELNS1_3repE0EEENS1_30default_config_static_selectorELNS0_4arch9wavefront6targetE0EEEvT1_.num_named_barrier, 0
	.set _ZN7rocprim17ROCPRIM_400000_NS6detail17trampoline_kernelINS0_14default_configENS1_25partition_config_selectorILNS1_17partition_subalgoE5EsNS0_10empty_typeEbEEZZNS1_14partition_implILS5_5ELb0ES3_mN6thrust23THRUST_200600_302600_NS6detail15normal_iteratorINSA_10device_ptrIsEEEEPS6_NSA_18transform_iteratorINSB_9not_fun_tI7is_trueIsEEENSC_INSD_IbEEEENSA_11use_defaultESO_EENS0_5tupleIJNSA_16discard_iteratorISO_EES6_EEENSQ_IJSG_SG_EEES6_PlJS6_EEE10hipError_tPvRmT3_T4_T5_T6_T7_T9_mT8_P12ihipStream_tbDpT10_ENKUlT_T0_E_clISt17integral_constantIbLb0EES1E_IbLb1EEEEDaS1A_S1B_EUlS1A_E_NS1_11comp_targetILNS1_3genE3ELNS1_11target_archE908ELNS1_3gpuE7ELNS1_3repE0EEENS1_30default_config_static_selectorELNS0_4arch9wavefront6targetE0EEEvT1_.private_seg_size, 0
	.set _ZN7rocprim17ROCPRIM_400000_NS6detail17trampoline_kernelINS0_14default_configENS1_25partition_config_selectorILNS1_17partition_subalgoE5EsNS0_10empty_typeEbEEZZNS1_14partition_implILS5_5ELb0ES3_mN6thrust23THRUST_200600_302600_NS6detail15normal_iteratorINSA_10device_ptrIsEEEEPS6_NSA_18transform_iteratorINSB_9not_fun_tI7is_trueIsEEENSC_INSD_IbEEEENSA_11use_defaultESO_EENS0_5tupleIJNSA_16discard_iteratorISO_EES6_EEENSQ_IJSG_SG_EEES6_PlJS6_EEE10hipError_tPvRmT3_T4_T5_T6_T7_T9_mT8_P12ihipStream_tbDpT10_ENKUlT_T0_E_clISt17integral_constantIbLb0EES1E_IbLb1EEEEDaS1A_S1B_EUlS1A_E_NS1_11comp_targetILNS1_3genE3ELNS1_11target_archE908ELNS1_3gpuE7ELNS1_3repE0EEENS1_30default_config_static_selectorELNS0_4arch9wavefront6targetE0EEEvT1_.uses_vcc, 0
	.set _ZN7rocprim17ROCPRIM_400000_NS6detail17trampoline_kernelINS0_14default_configENS1_25partition_config_selectorILNS1_17partition_subalgoE5EsNS0_10empty_typeEbEEZZNS1_14partition_implILS5_5ELb0ES3_mN6thrust23THRUST_200600_302600_NS6detail15normal_iteratorINSA_10device_ptrIsEEEEPS6_NSA_18transform_iteratorINSB_9not_fun_tI7is_trueIsEEENSC_INSD_IbEEEENSA_11use_defaultESO_EENS0_5tupleIJNSA_16discard_iteratorISO_EES6_EEENSQ_IJSG_SG_EEES6_PlJS6_EEE10hipError_tPvRmT3_T4_T5_T6_T7_T9_mT8_P12ihipStream_tbDpT10_ENKUlT_T0_E_clISt17integral_constantIbLb0EES1E_IbLb1EEEEDaS1A_S1B_EUlS1A_E_NS1_11comp_targetILNS1_3genE3ELNS1_11target_archE908ELNS1_3gpuE7ELNS1_3repE0EEENS1_30default_config_static_selectorELNS0_4arch9wavefront6targetE0EEEvT1_.uses_flat_scratch, 0
	.set _ZN7rocprim17ROCPRIM_400000_NS6detail17trampoline_kernelINS0_14default_configENS1_25partition_config_selectorILNS1_17partition_subalgoE5EsNS0_10empty_typeEbEEZZNS1_14partition_implILS5_5ELb0ES3_mN6thrust23THRUST_200600_302600_NS6detail15normal_iteratorINSA_10device_ptrIsEEEEPS6_NSA_18transform_iteratorINSB_9not_fun_tI7is_trueIsEEENSC_INSD_IbEEEENSA_11use_defaultESO_EENS0_5tupleIJNSA_16discard_iteratorISO_EES6_EEENSQ_IJSG_SG_EEES6_PlJS6_EEE10hipError_tPvRmT3_T4_T5_T6_T7_T9_mT8_P12ihipStream_tbDpT10_ENKUlT_T0_E_clISt17integral_constantIbLb0EES1E_IbLb1EEEEDaS1A_S1B_EUlS1A_E_NS1_11comp_targetILNS1_3genE3ELNS1_11target_archE908ELNS1_3gpuE7ELNS1_3repE0EEENS1_30default_config_static_selectorELNS0_4arch9wavefront6targetE0EEEvT1_.has_dyn_sized_stack, 0
	.set _ZN7rocprim17ROCPRIM_400000_NS6detail17trampoline_kernelINS0_14default_configENS1_25partition_config_selectorILNS1_17partition_subalgoE5EsNS0_10empty_typeEbEEZZNS1_14partition_implILS5_5ELb0ES3_mN6thrust23THRUST_200600_302600_NS6detail15normal_iteratorINSA_10device_ptrIsEEEEPS6_NSA_18transform_iteratorINSB_9not_fun_tI7is_trueIsEEENSC_INSD_IbEEEENSA_11use_defaultESO_EENS0_5tupleIJNSA_16discard_iteratorISO_EES6_EEENSQ_IJSG_SG_EEES6_PlJS6_EEE10hipError_tPvRmT3_T4_T5_T6_T7_T9_mT8_P12ihipStream_tbDpT10_ENKUlT_T0_E_clISt17integral_constantIbLb0EES1E_IbLb1EEEEDaS1A_S1B_EUlS1A_E_NS1_11comp_targetILNS1_3genE3ELNS1_11target_archE908ELNS1_3gpuE7ELNS1_3repE0EEENS1_30default_config_static_selectorELNS0_4arch9wavefront6targetE0EEEvT1_.has_recursion, 0
	.set _ZN7rocprim17ROCPRIM_400000_NS6detail17trampoline_kernelINS0_14default_configENS1_25partition_config_selectorILNS1_17partition_subalgoE5EsNS0_10empty_typeEbEEZZNS1_14partition_implILS5_5ELb0ES3_mN6thrust23THRUST_200600_302600_NS6detail15normal_iteratorINSA_10device_ptrIsEEEEPS6_NSA_18transform_iteratorINSB_9not_fun_tI7is_trueIsEEENSC_INSD_IbEEEENSA_11use_defaultESO_EENS0_5tupleIJNSA_16discard_iteratorISO_EES6_EEENSQ_IJSG_SG_EEES6_PlJS6_EEE10hipError_tPvRmT3_T4_T5_T6_T7_T9_mT8_P12ihipStream_tbDpT10_ENKUlT_T0_E_clISt17integral_constantIbLb0EES1E_IbLb1EEEEDaS1A_S1B_EUlS1A_E_NS1_11comp_targetILNS1_3genE3ELNS1_11target_archE908ELNS1_3gpuE7ELNS1_3repE0EEENS1_30default_config_static_selectorELNS0_4arch9wavefront6targetE0EEEvT1_.has_indirect_call, 0
	.section	.AMDGPU.csdata,"",@progbits
; Kernel info:
; codeLenInByte = 0
; TotalNumSgprs: 0
; NumVgprs: 0
; ScratchSize: 0
; MemoryBound: 0
; FloatMode: 240
; IeeeMode: 1
; LDSByteSize: 0 bytes/workgroup (compile time only)
; SGPRBlocks: 0
; VGPRBlocks: 0
; NumSGPRsForWavesPerEU: 1
; NumVGPRsForWavesPerEU: 1
; Occupancy: 16
; WaveLimiterHint : 0
; COMPUTE_PGM_RSRC2:SCRATCH_EN: 0
; COMPUTE_PGM_RSRC2:USER_SGPR: 2
; COMPUTE_PGM_RSRC2:TRAP_HANDLER: 0
; COMPUTE_PGM_RSRC2:TGID_X_EN: 1
; COMPUTE_PGM_RSRC2:TGID_Y_EN: 0
; COMPUTE_PGM_RSRC2:TGID_Z_EN: 0
; COMPUTE_PGM_RSRC2:TIDIG_COMP_CNT: 0
	.section	.text._ZN7rocprim17ROCPRIM_400000_NS6detail17trampoline_kernelINS0_14default_configENS1_25partition_config_selectorILNS1_17partition_subalgoE5EsNS0_10empty_typeEbEEZZNS1_14partition_implILS5_5ELb0ES3_mN6thrust23THRUST_200600_302600_NS6detail15normal_iteratorINSA_10device_ptrIsEEEEPS6_NSA_18transform_iteratorINSB_9not_fun_tI7is_trueIsEEENSC_INSD_IbEEEENSA_11use_defaultESO_EENS0_5tupleIJNSA_16discard_iteratorISO_EES6_EEENSQ_IJSG_SG_EEES6_PlJS6_EEE10hipError_tPvRmT3_T4_T5_T6_T7_T9_mT8_P12ihipStream_tbDpT10_ENKUlT_T0_E_clISt17integral_constantIbLb0EES1E_IbLb1EEEEDaS1A_S1B_EUlS1A_E_NS1_11comp_targetILNS1_3genE2ELNS1_11target_archE906ELNS1_3gpuE6ELNS1_3repE0EEENS1_30default_config_static_selectorELNS0_4arch9wavefront6targetE0EEEvT1_,"axG",@progbits,_ZN7rocprim17ROCPRIM_400000_NS6detail17trampoline_kernelINS0_14default_configENS1_25partition_config_selectorILNS1_17partition_subalgoE5EsNS0_10empty_typeEbEEZZNS1_14partition_implILS5_5ELb0ES3_mN6thrust23THRUST_200600_302600_NS6detail15normal_iteratorINSA_10device_ptrIsEEEEPS6_NSA_18transform_iteratorINSB_9not_fun_tI7is_trueIsEEENSC_INSD_IbEEEENSA_11use_defaultESO_EENS0_5tupleIJNSA_16discard_iteratorISO_EES6_EEENSQ_IJSG_SG_EEES6_PlJS6_EEE10hipError_tPvRmT3_T4_T5_T6_T7_T9_mT8_P12ihipStream_tbDpT10_ENKUlT_T0_E_clISt17integral_constantIbLb0EES1E_IbLb1EEEEDaS1A_S1B_EUlS1A_E_NS1_11comp_targetILNS1_3genE2ELNS1_11target_archE906ELNS1_3gpuE6ELNS1_3repE0EEENS1_30default_config_static_selectorELNS0_4arch9wavefront6targetE0EEEvT1_,comdat
	.protected	_ZN7rocprim17ROCPRIM_400000_NS6detail17trampoline_kernelINS0_14default_configENS1_25partition_config_selectorILNS1_17partition_subalgoE5EsNS0_10empty_typeEbEEZZNS1_14partition_implILS5_5ELb0ES3_mN6thrust23THRUST_200600_302600_NS6detail15normal_iteratorINSA_10device_ptrIsEEEEPS6_NSA_18transform_iteratorINSB_9not_fun_tI7is_trueIsEEENSC_INSD_IbEEEENSA_11use_defaultESO_EENS0_5tupleIJNSA_16discard_iteratorISO_EES6_EEENSQ_IJSG_SG_EEES6_PlJS6_EEE10hipError_tPvRmT3_T4_T5_T6_T7_T9_mT8_P12ihipStream_tbDpT10_ENKUlT_T0_E_clISt17integral_constantIbLb0EES1E_IbLb1EEEEDaS1A_S1B_EUlS1A_E_NS1_11comp_targetILNS1_3genE2ELNS1_11target_archE906ELNS1_3gpuE6ELNS1_3repE0EEENS1_30default_config_static_selectorELNS0_4arch9wavefront6targetE0EEEvT1_ ; -- Begin function _ZN7rocprim17ROCPRIM_400000_NS6detail17trampoline_kernelINS0_14default_configENS1_25partition_config_selectorILNS1_17partition_subalgoE5EsNS0_10empty_typeEbEEZZNS1_14partition_implILS5_5ELb0ES3_mN6thrust23THRUST_200600_302600_NS6detail15normal_iteratorINSA_10device_ptrIsEEEEPS6_NSA_18transform_iteratorINSB_9not_fun_tI7is_trueIsEEENSC_INSD_IbEEEENSA_11use_defaultESO_EENS0_5tupleIJNSA_16discard_iteratorISO_EES6_EEENSQ_IJSG_SG_EEES6_PlJS6_EEE10hipError_tPvRmT3_T4_T5_T6_T7_T9_mT8_P12ihipStream_tbDpT10_ENKUlT_T0_E_clISt17integral_constantIbLb0EES1E_IbLb1EEEEDaS1A_S1B_EUlS1A_E_NS1_11comp_targetILNS1_3genE2ELNS1_11target_archE906ELNS1_3gpuE6ELNS1_3repE0EEENS1_30default_config_static_selectorELNS0_4arch9wavefront6targetE0EEEvT1_
	.globl	_ZN7rocprim17ROCPRIM_400000_NS6detail17trampoline_kernelINS0_14default_configENS1_25partition_config_selectorILNS1_17partition_subalgoE5EsNS0_10empty_typeEbEEZZNS1_14partition_implILS5_5ELb0ES3_mN6thrust23THRUST_200600_302600_NS6detail15normal_iteratorINSA_10device_ptrIsEEEEPS6_NSA_18transform_iteratorINSB_9not_fun_tI7is_trueIsEEENSC_INSD_IbEEEENSA_11use_defaultESO_EENS0_5tupleIJNSA_16discard_iteratorISO_EES6_EEENSQ_IJSG_SG_EEES6_PlJS6_EEE10hipError_tPvRmT3_T4_T5_T6_T7_T9_mT8_P12ihipStream_tbDpT10_ENKUlT_T0_E_clISt17integral_constantIbLb0EES1E_IbLb1EEEEDaS1A_S1B_EUlS1A_E_NS1_11comp_targetILNS1_3genE2ELNS1_11target_archE906ELNS1_3gpuE6ELNS1_3repE0EEENS1_30default_config_static_selectorELNS0_4arch9wavefront6targetE0EEEvT1_
	.p2align	8
	.type	_ZN7rocprim17ROCPRIM_400000_NS6detail17trampoline_kernelINS0_14default_configENS1_25partition_config_selectorILNS1_17partition_subalgoE5EsNS0_10empty_typeEbEEZZNS1_14partition_implILS5_5ELb0ES3_mN6thrust23THRUST_200600_302600_NS6detail15normal_iteratorINSA_10device_ptrIsEEEEPS6_NSA_18transform_iteratorINSB_9not_fun_tI7is_trueIsEEENSC_INSD_IbEEEENSA_11use_defaultESO_EENS0_5tupleIJNSA_16discard_iteratorISO_EES6_EEENSQ_IJSG_SG_EEES6_PlJS6_EEE10hipError_tPvRmT3_T4_T5_T6_T7_T9_mT8_P12ihipStream_tbDpT10_ENKUlT_T0_E_clISt17integral_constantIbLb0EES1E_IbLb1EEEEDaS1A_S1B_EUlS1A_E_NS1_11comp_targetILNS1_3genE2ELNS1_11target_archE906ELNS1_3gpuE6ELNS1_3repE0EEENS1_30default_config_static_selectorELNS0_4arch9wavefront6targetE0EEEvT1_,@function
_ZN7rocprim17ROCPRIM_400000_NS6detail17trampoline_kernelINS0_14default_configENS1_25partition_config_selectorILNS1_17partition_subalgoE5EsNS0_10empty_typeEbEEZZNS1_14partition_implILS5_5ELb0ES3_mN6thrust23THRUST_200600_302600_NS6detail15normal_iteratorINSA_10device_ptrIsEEEEPS6_NSA_18transform_iteratorINSB_9not_fun_tI7is_trueIsEEENSC_INSD_IbEEEENSA_11use_defaultESO_EENS0_5tupleIJNSA_16discard_iteratorISO_EES6_EEENSQ_IJSG_SG_EEES6_PlJS6_EEE10hipError_tPvRmT3_T4_T5_T6_T7_T9_mT8_P12ihipStream_tbDpT10_ENKUlT_T0_E_clISt17integral_constantIbLb0EES1E_IbLb1EEEEDaS1A_S1B_EUlS1A_E_NS1_11comp_targetILNS1_3genE2ELNS1_11target_archE906ELNS1_3gpuE6ELNS1_3repE0EEENS1_30default_config_static_selectorELNS0_4arch9wavefront6targetE0EEEvT1_: ; @_ZN7rocprim17ROCPRIM_400000_NS6detail17trampoline_kernelINS0_14default_configENS1_25partition_config_selectorILNS1_17partition_subalgoE5EsNS0_10empty_typeEbEEZZNS1_14partition_implILS5_5ELb0ES3_mN6thrust23THRUST_200600_302600_NS6detail15normal_iteratorINSA_10device_ptrIsEEEEPS6_NSA_18transform_iteratorINSB_9not_fun_tI7is_trueIsEEENSC_INSD_IbEEEENSA_11use_defaultESO_EENS0_5tupleIJNSA_16discard_iteratorISO_EES6_EEENSQ_IJSG_SG_EEES6_PlJS6_EEE10hipError_tPvRmT3_T4_T5_T6_T7_T9_mT8_P12ihipStream_tbDpT10_ENKUlT_T0_E_clISt17integral_constantIbLb0EES1E_IbLb1EEEEDaS1A_S1B_EUlS1A_E_NS1_11comp_targetILNS1_3genE2ELNS1_11target_archE906ELNS1_3gpuE6ELNS1_3repE0EEENS1_30default_config_static_selectorELNS0_4arch9wavefront6targetE0EEEvT1_
; %bb.0:
	.section	.rodata,"a",@progbits
	.p2align	6, 0x0
	.amdhsa_kernel _ZN7rocprim17ROCPRIM_400000_NS6detail17trampoline_kernelINS0_14default_configENS1_25partition_config_selectorILNS1_17partition_subalgoE5EsNS0_10empty_typeEbEEZZNS1_14partition_implILS5_5ELb0ES3_mN6thrust23THRUST_200600_302600_NS6detail15normal_iteratorINSA_10device_ptrIsEEEEPS6_NSA_18transform_iteratorINSB_9not_fun_tI7is_trueIsEEENSC_INSD_IbEEEENSA_11use_defaultESO_EENS0_5tupleIJNSA_16discard_iteratorISO_EES6_EEENSQ_IJSG_SG_EEES6_PlJS6_EEE10hipError_tPvRmT3_T4_T5_T6_T7_T9_mT8_P12ihipStream_tbDpT10_ENKUlT_T0_E_clISt17integral_constantIbLb0EES1E_IbLb1EEEEDaS1A_S1B_EUlS1A_E_NS1_11comp_targetILNS1_3genE2ELNS1_11target_archE906ELNS1_3gpuE6ELNS1_3repE0EEENS1_30default_config_static_selectorELNS0_4arch9wavefront6targetE0EEEvT1_
		.amdhsa_group_segment_fixed_size 0
		.amdhsa_private_segment_fixed_size 0
		.amdhsa_kernarg_size 144
		.amdhsa_user_sgpr_count 2
		.amdhsa_user_sgpr_dispatch_ptr 0
		.amdhsa_user_sgpr_queue_ptr 0
		.amdhsa_user_sgpr_kernarg_segment_ptr 1
		.amdhsa_user_sgpr_dispatch_id 0
		.amdhsa_user_sgpr_private_segment_size 0
		.amdhsa_wavefront_size32 1
		.amdhsa_uses_dynamic_stack 0
		.amdhsa_enable_private_segment 0
		.amdhsa_system_sgpr_workgroup_id_x 1
		.amdhsa_system_sgpr_workgroup_id_y 0
		.amdhsa_system_sgpr_workgroup_id_z 0
		.amdhsa_system_sgpr_workgroup_info 0
		.amdhsa_system_vgpr_workitem_id 0
		.amdhsa_next_free_vgpr 1
		.amdhsa_next_free_sgpr 1
		.amdhsa_reserve_vcc 0
		.amdhsa_float_round_mode_32 0
		.amdhsa_float_round_mode_16_64 0
		.amdhsa_float_denorm_mode_32 3
		.amdhsa_float_denorm_mode_16_64 3
		.amdhsa_fp16_overflow 0
		.amdhsa_workgroup_processor_mode 1
		.amdhsa_memory_ordered 1
		.amdhsa_forward_progress 1
		.amdhsa_inst_pref_size 0
		.amdhsa_round_robin_scheduling 0
		.amdhsa_exception_fp_ieee_invalid_op 0
		.amdhsa_exception_fp_denorm_src 0
		.amdhsa_exception_fp_ieee_div_zero 0
		.amdhsa_exception_fp_ieee_overflow 0
		.amdhsa_exception_fp_ieee_underflow 0
		.amdhsa_exception_fp_ieee_inexact 0
		.amdhsa_exception_int_div_zero 0
	.end_amdhsa_kernel
	.section	.text._ZN7rocprim17ROCPRIM_400000_NS6detail17trampoline_kernelINS0_14default_configENS1_25partition_config_selectorILNS1_17partition_subalgoE5EsNS0_10empty_typeEbEEZZNS1_14partition_implILS5_5ELb0ES3_mN6thrust23THRUST_200600_302600_NS6detail15normal_iteratorINSA_10device_ptrIsEEEEPS6_NSA_18transform_iteratorINSB_9not_fun_tI7is_trueIsEEENSC_INSD_IbEEEENSA_11use_defaultESO_EENS0_5tupleIJNSA_16discard_iteratorISO_EES6_EEENSQ_IJSG_SG_EEES6_PlJS6_EEE10hipError_tPvRmT3_T4_T5_T6_T7_T9_mT8_P12ihipStream_tbDpT10_ENKUlT_T0_E_clISt17integral_constantIbLb0EES1E_IbLb1EEEEDaS1A_S1B_EUlS1A_E_NS1_11comp_targetILNS1_3genE2ELNS1_11target_archE906ELNS1_3gpuE6ELNS1_3repE0EEENS1_30default_config_static_selectorELNS0_4arch9wavefront6targetE0EEEvT1_,"axG",@progbits,_ZN7rocprim17ROCPRIM_400000_NS6detail17trampoline_kernelINS0_14default_configENS1_25partition_config_selectorILNS1_17partition_subalgoE5EsNS0_10empty_typeEbEEZZNS1_14partition_implILS5_5ELb0ES3_mN6thrust23THRUST_200600_302600_NS6detail15normal_iteratorINSA_10device_ptrIsEEEEPS6_NSA_18transform_iteratorINSB_9not_fun_tI7is_trueIsEEENSC_INSD_IbEEEENSA_11use_defaultESO_EENS0_5tupleIJNSA_16discard_iteratorISO_EES6_EEENSQ_IJSG_SG_EEES6_PlJS6_EEE10hipError_tPvRmT3_T4_T5_T6_T7_T9_mT8_P12ihipStream_tbDpT10_ENKUlT_T0_E_clISt17integral_constantIbLb0EES1E_IbLb1EEEEDaS1A_S1B_EUlS1A_E_NS1_11comp_targetILNS1_3genE2ELNS1_11target_archE906ELNS1_3gpuE6ELNS1_3repE0EEENS1_30default_config_static_selectorELNS0_4arch9wavefront6targetE0EEEvT1_,comdat
.Lfunc_end2841:
	.size	_ZN7rocprim17ROCPRIM_400000_NS6detail17trampoline_kernelINS0_14default_configENS1_25partition_config_selectorILNS1_17partition_subalgoE5EsNS0_10empty_typeEbEEZZNS1_14partition_implILS5_5ELb0ES3_mN6thrust23THRUST_200600_302600_NS6detail15normal_iteratorINSA_10device_ptrIsEEEEPS6_NSA_18transform_iteratorINSB_9not_fun_tI7is_trueIsEEENSC_INSD_IbEEEENSA_11use_defaultESO_EENS0_5tupleIJNSA_16discard_iteratorISO_EES6_EEENSQ_IJSG_SG_EEES6_PlJS6_EEE10hipError_tPvRmT3_T4_T5_T6_T7_T9_mT8_P12ihipStream_tbDpT10_ENKUlT_T0_E_clISt17integral_constantIbLb0EES1E_IbLb1EEEEDaS1A_S1B_EUlS1A_E_NS1_11comp_targetILNS1_3genE2ELNS1_11target_archE906ELNS1_3gpuE6ELNS1_3repE0EEENS1_30default_config_static_selectorELNS0_4arch9wavefront6targetE0EEEvT1_, .Lfunc_end2841-_ZN7rocprim17ROCPRIM_400000_NS6detail17trampoline_kernelINS0_14default_configENS1_25partition_config_selectorILNS1_17partition_subalgoE5EsNS0_10empty_typeEbEEZZNS1_14partition_implILS5_5ELb0ES3_mN6thrust23THRUST_200600_302600_NS6detail15normal_iteratorINSA_10device_ptrIsEEEEPS6_NSA_18transform_iteratorINSB_9not_fun_tI7is_trueIsEEENSC_INSD_IbEEEENSA_11use_defaultESO_EENS0_5tupleIJNSA_16discard_iteratorISO_EES6_EEENSQ_IJSG_SG_EEES6_PlJS6_EEE10hipError_tPvRmT3_T4_T5_T6_T7_T9_mT8_P12ihipStream_tbDpT10_ENKUlT_T0_E_clISt17integral_constantIbLb0EES1E_IbLb1EEEEDaS1A_S1B_EUlS1A_E_NS1_11comp_targetILNS1_3genE2ELNS1_11target_archE906ELNS1_3gpuE6ELNS1_3repE0EEENS1_30default_config_static_selectorELNS0_4arch9wavefront6targetE0EEEvT1_
                                        ; -- End function
	.set _ZN7rocprim17ROCPRIM_400000_NS6detail17trampoline_kernelINS0_14default_configENS1_25partition_config_selectorILNS1_17partition_subalgoE5EsNS0_10empty_typeEbEEZZNS1_14partition_implILS5_5ELb0ES3_mN6thrust23THRUST_200600_302600_NS6detail15normal_iteratorINSA_10device_ptrIsEEEEPS6_NSA_18transform_iteratorINSB_9not_fun_tI7is_trueIsEEENSC_INSD_IbEEEENSA_11use_defaultESO_EENS0_5tupleIJNSA_16discard_iteratorISO_EES6_EEENSQ_IJSG_SG_EEES6_PlJS6_EEE10hipError_tPvRmT3_T4_T5_T6_T7_T9_mT8_P12ihipStream_tbDpT10_ENKUlT_T0_E_clISt17integral_constantIbLb0EES1E_IbLb1EEEEDaS1A_S1B_EUlS1A_E_NS1_11comp_targetILNS1_3genE2ELNS1_11target_archE906ELNS1_3gpuE6ELNS1_3repE0EEENS1_30default_config_static_selectorELNS0_4arch9wavefront6targetE0EEEvT1_.num_vgpr, 0
	.set _ZN7rocprim17ROCPRIM_400000_NS6detail17trampoline_kernelINS0_14default_configENS1_25partition_config_selectorILNS1_17partition_subalgoE5EsNS0_10empty_typeEbEEZZNS1_14partition_implILS5_5ELb0ES3_mN6thrust23THRUST_200600_302600_NS6detail15normal_iteratorINSA_10device_ptrIsEEEEPS6_NSA_18transform_iteratorINSB_9not_fun_tI7is_trueIsEEENSC_INSD_IbEEEENSA_11use_defaultESO_EENS0_5tupleIJNSA_16discard_iteratorISO_EES6_EEENSQ_IJSG_SG_EEES6_PlJS6_EEE10hipError_tPvRmT3_T4_T5_T6_T7_T9_mT8_P12ihipStream_tbDpT10_ENKUlT_T0_E_clISt17integral_constantIbLb0EES1E_IbLb1EEEEDaS1A_S1B_EUlS1A_E_NS1_11comp_targetILNS1_3genE2ELNS1_11target_archE906ELNS1_3gpuE6ELNS1_3repE0EEENS1_30default_config_static_selectorELNS0_4arch9wavefront6targetE0EEEvT1_.num_agpr, 0
	.set _ZN7rocprim17ROCPRIM_400000_NS6detail17trampoline_kernelINS0_14default_configENS1_25partition_config_selectorILNS1_17partition_subalgoE5EsNS0_10empty_typeEbEEZZNS1_14partition_implILS5_5ELb0ES3_mN6thrust23THRUST_200600_302600_NS6detail15normal_iteratorINSA_10device_ptrIsEEEEPS6_NSA_18transform_iteratorINSB_9not_fun_tI7is_trueIsEEENSC_INSD_IbEEEENSA_11use_defaultESO_EENS0_5tupleIJNSA_16discard_iteratorISO_EES6_EEENSQ_IJSG_SG_EEES6_PlJS6_EEE10hipError_tPvRmT3_T4_T5_T6_T7_T9_mT8_P12ihipStream_tbDpT10_ENKUlT_T0_E_clISt17integral_constantIbLb0EES1E_IbLb1EEEEDaS1A_S1B_EUlS1A_E_NS1_11comp_targetILNS1_3genE2ELNS1_11target_archE906ELNS1_3gpuE6ELNS1_3repE0EEENS1_30default_config_static_selectorELNS0_4arch9wavefront6targetE0EEEvT1_.numbered_sgpr, 0
	.set _ZN7rocprim17ROCPRIM_400000_NS6detail17trampoline_kernelINS0_14default_configENS1_25partition_config_selectorILNS1_17partition_subalgoE5EsNS0_10empty_typeEbEEZZNS1_14partition_implILS5_5ELb0ES3_mN6thrust23THRUST_200600_302600_NS6detail15normal_iteratorINSA_10device_ptrIsEEEEPS6_NSA_18transform_iteratorINSB_9not_fun_tI7is_trueIsEEENSC_INSD_IbEEEENSA_11use_defaultESO_EENS0_5tupleIJNSA_16discard_iteratorISO_EES6_EEENSQ_IJSG_SG_EEES6_PlJS6_EEE10hipError_tPvRmT3_T4_T5_T6_T7_T9_mT8_P12ihipStream_tbDpT10_ENKUlT_T0_E_clISt17integral_constantIbLb0EES1E_IbLb1EEEEDaS1A_S1B_EUlS1A_E_NS1_11comp_targetILNS1_3genE2ELNS1_11target_archE906ELNS1_3gpuE6ELNS1_3repE0EEENS1_30default_config_static_selectorELNS0_4arch9wavefront6targetE0EEEvT1_.num_named_barrier, 0
	.set _ZN7rocprim17ROCPRIM_400000_NS6detail17trampoline_kernelINS0_14default_configENS1_25partition_config_selectorILNS1_17partition_subalgoE5EsNS0_10empty_typeEbEEZZNS1_14partition_implILS5_5ELb0ES3_mN6thrust23THRUST_200600_302600_NS6detail15normal_iteratorINSA_10device_ptrIsEEEEPS6_NSA_18transform_iteratorINSB_9not_fun_tI7is_trueIsEEENSC_INSD_IbEEEENSA_11use_defaultESO_EENS0_5tupleIJNSA_16discard_iteratorISO_EES6_EEENSQ_IJSG_SG_EEES6_PlJS6_EEE10hipError_tPvRmT3_T4_T5_T6_T7_T9_mT8_P12ihipStream_tbDpT10_ENKUlT_T0_E_clISt17integral_constantIbLb0EES1E_IbLb1EEEEDaS1A_S1B_EUlS1A_E_NS1_11comp_targetILNS1_3genE2ELNS1_11target_archE906ELNS1_3gpuE6ELNS1_3repE0EEENS1_30default_config_static_selectorELNS0_4arch9wavefront6targetE0EEEvT1_.private_seg_size, 0
	.set _ZN7rocprim17ROCPRIM_400000_NS6detail17trampoline_kernelINS0_14default_configENS1_25partition_config_selectorILNS1_17partition_subalgoE5EsNS0_10empty_typeEbEEZZNS1_14partition_implILS5_5ELb0ES3_mN6thrust23THRUST_200600_302600_NS6detail15normal_iteratorINSA_10device_ptrIsEEEEPS6_NSA_18transform_iteratorINSB_9not_fun_tI7is_trueIsEEENSC_INSD_IbEEEENSA_11use_defaultESO_EENS0_5tupleIJNSA_16discard_iteratorISO_EES6_EEENSQ_IJSG_SG_EEES6_PlJS6_EEE10hipError_tPvRmT3_T4_T5_T6_T7_T9_mT8_P12ihipStream_tbDpT10_ENKUlT_T0_E_clISt17integral_constantIbLb0EES1E_IbLb1EEEEDaS1A_S1B_EUlS1A_E_NS1_11comp_targetILNS1_3genE2ELNS1_11target_archE906ELNS1_3gpuE6ELNS1_3repE0EEENS1_30default_config_static_selectorELNS0_4arch9wavefront6targetE0EEEvT1_.uses_vcc, 0
	.set _ZN7rocprim17ROCPRIM_400000_NS6detail17trampoline_kernelINS0_14default_configENS1_25partition_config_selectorILNS1_17partition_subalgoE5EsNS0_10empty_typeEbEEZZNS1_14partition_implILS5_5ELb0ES3_mN6thrust23THRUST_200600_302600_NS6detail15normal_iteratorINSA_10device_ptrIsEEEEPS6_NSA_18transform_iteratorINSB_9not_fun_tI7is_trueIsEEENSC_INSD_IbEEEENSA_11use_defaultESO_EENS0_5tupleIJNSA_16discard_iteratorISO_EES6_EEENSQ_IJSG_SG_EEES6_PlJS6_EEE10hipError_tPvRmT3_T4_T5_T6_T7_T9_mT8_P12ihipStream_tbDpT10_ENKUlT_T0_E_clISt17integral_constantIbLb0EES1E_IbLb1EEEEDaS1A_S1B_EUlS1A_E_NS1_11comp_targetILNS1_3genE2ELNS1_11target_archE906ELNS1_3gpuE6ELNS1_3repE0EEENS1_30default_config_static_selectorELNS0_4arch9wavefront6targetE0EEEvT1_.uses_flat_scratch, 0
	.set _ZN7rocprim17ROCPRIM_400000_NS6detail17trampoline_kernelINS0_14default_configENS1_25partition_config_selectorILNS1_17partition_subalgoE5EsNS0_10empty_typeEbEEZZNS1_14partition_implILS5_5ELb0ES3_mN6thrust23THRUST_200600_302600_NS6detail15normal_iteratorINSA_10device_ptrIsEEEEPS6_NSA_18transform_iteratorINSB_9not_fun_tI7is_trueIsEEENSC_INSD_IbEEEENSA_11use_defaultESO_EENS0_5tupleIJNSA_16discard_iteratorISO_EES6_EEENSQ_IJSG_SG_EEES6_PlJS6_EEE10hipError_tPvRmT3_T4_T5_T6_T7_T9_mT8_P12ihipStream_tbDpT10_ENKUlT_T0_E_clISt17integral_constantIbLb0EES1E_IbLb1EEEEDaS1A_S1B_EUlS1A_E_NS1_11comp_targetILNS1_3genE2ELNS1_11target_archE906ELNS1_3gpuE6ELNS1_3repE0EEENS1_30default_config_static_selectorELNS0_4arch9wavefront6targetE0EEEvT1_.has_dyn_sized_stack, 0
	.set _ZN7rocprim17ROCPRIM_400000_NS6detail17trampoline_kernelINS0_14default_configENS1_25partition_config_selectorILNS1_17partition_subalgoE5EsNS0_10empty_typeEbEEZZNS1_14partition_implILS5_5ELb0ES3_mN6thrust23THRUST_200600_302600_NS6detail15normal_iteratorINSA_10device_ptrIsEEEEPS6_NSA_18transform_iteratorINSB_9not_fun_tI7is_trueIsEEENSC_INSD_IbEEEENSA_11use_defaultESO_EENS0_5tupleIJNSA_16discard_iteratorISO_EES6_EEENSQ_IJSG_SG_EEES6_PlJS6_EEE10hipError_tPvRmT3_T4_T5_T6_T7_T9_mT8_P12ihipStream_tbDpT10_ENKUlT_T0_E_clISt17integral_constantIbLb0EES1E_IbLb1EEEEDaS1A_S1B_EUlS1A_E_NS1_11comp_targetILNS1_3genE2ELNS1_11target_archE906ELNS1_3gpuE6ELNS1_3repE0EEENS1_30default_config_static_selectorELNS0_4arch9wavefront6targetE0EEEvT1_.has_recursion, 0
	.set _ZN7rocprim17ROCPRIM_400000_NS6detail17trampoline_kernelINS0_14default_configENS1_25partition_config_selectorILNS1_17partition_subalgoE5EsNS0_10empty_typeEbEEZZNS1_14partition_implILS5_5ELb0ES3_mN6thrust23THRUST_200600_302600_NS6detail15normal_iteratorINSA_10device_ptrIsEEEEPS6_NSA_18transform_iteratorINSB_9not_fun_tI7is_trueIsEEENSC_INSD_IbEEEENSA_11use_defaultESO_EENS0_5tupleIJNSA_16discard_iteratorISO_EES6_EEENSQ_IJSG_SG_EEES6_PlJS6_EEE10hipError_tPvRmT3_T4_T5_T6_T7_T9_mT8_P12ihipStream_tbDpT10_ENKUlT_T0_E_clISt17integral_constantIbLb0EES1E_IbLb1EEEEDaS1A_S1B_EUlS1A_E_NS1_11comp_targetILNS1_3genE2ELNS1_11target_archE906ELNS1_3gpuE6ELNS1_3repE0EEENS1_30default_config_static_selectorELNS0_4arch9wavefront6targetE0EEEvT1_.has_indirect_call, 0
	.section	.AMDGPU.csdata,"",@progbits
; Kernel info:
; codeLenInByte = 0
; TotalNumSgprs: 0
; NumVgprs: 0
; ScratchSize: 0
; MemoryBound: 0
; FloatMode: 240
; IeeeMode: 1
; LDSByteSize: 0 bytes/workgroup (compile time only)
; SGPRBlocks: 0
; VGPRBlocks: 0
; NumSGPRsForWavesPerEU: 1
; NumVGPRsForWavesPerEU: 1
; Occupancy: 16
; WaveLimiterHint : 0
; COMPUTE_PGM_RSRC2:SCRATCH_EN: 0
; COMPUTE_PGM_RSRC2:USER_SGPR: 2
; COMPUTE_PGM_RSRC2:TRAP_HANDLER: 0
; COMPUTE_PGM_RSRC2:TGID_X_EN: 1
; COMPUTE_PGM_RSRC2:TGID_Y_EN: 0
; COMPUTE_PGM_RSRC2:TGID_Z_EN: 0
; COMPUTE_PGM_RSRC2:TIDIG_COMP_CNT: 0
	.section	.text._ZN7rocprim17ROCPRIM_400000_NS6detail17trampoline_kernelINS0_14default_configENS1_25partition_config_selectorILNS1_17partition_subalgoE5EsNS0_10empty_typeEbEEZZNS1_14partition_implILS5_5ELb0ES3_mN6thrust23THRUST_200600_302600_NS6detail15normal_iteratorINSA_10device_ptrIsEEEEPS6_NSA_18transform_iteratorINSB_9not_fun_tI7is_trueIsEEENSC_INSD_IbEEEENSA_11use_defaultESO_EENS0_5tupleIJNSA_16discard_iteratorISO_EES6_EEENSQ_IJSG_SG_EEES6_PlJS6_EEE10hipError_tPvRmT3_T4_T5_T6_T7_T9_mT8_P12ihipStream_tbDpT10_ENKUlT_T0_E_clISt17integral_constantIbLb0EES1E_IbLb1EEEEDaS1A_S1B_EUlS1A_E_NS1_11comp_targetILNS1_3genE10ELNS1_11target_archE1200ELNS1_3gpuE4ELNS1_3repE0EEENS1_30default_config_static_selectorELNS0_4arch9wavefront6targetE0EEEvT1_,"axG",@progbits,_ZN7rocprim17ROCPRIM_400000_NS6detail17trampoline_kernelINS0_14default_configENS1_25partition_config_selectorILNS1_17partition_subalgoE5EsNS0_10empty_typeEbEEZZNS1_14partition_implILS5_5ELb0ES3_mN6thrust23THRUST_200600_302600_NS6detail15normal_iteratorINSA_10device_ptrIsEEEEPS6_NSA_18transform_iteratorINSB_9not_fun_tI7is_trueIsEEENSC_INSD_IbEEEENSA_11use_defaultESO_EENS0_5tupleIJNSA_16discard_iteratorISO_EES6_EEENSQ_IJSG_SG_EEES6_PlJS6_EEE10hipError_tPvRmT3_T4_T5_T6_T7_T9_mT8_P12ihipStream_tbDpT10_ENKUlT_T0_E_clISt17integral_constantIbLb0EES1E_IbLb1EEEEDaS1A_S1B_EUlS1A_E_NS1_11comp_targetILNS1_3genE10ELNS1_11target_archE1200ELNS1_3gpuE4ELNS1_3repE0EEENS1_30default_config_static_selectorELNS0_4arch9wavefront6targetE0EEEvT1_,comdat
	.protected	_ZN7rocprim17ROCPRIM_400000_NS6detail17trampoline_kernelINS0_14default_configENS1_25partition_config_selectorILNS1_17partition_subalgoE5EsNS0_10empty_typeEbEEZZNS1_14partition_implILS5_5ELb0ES3_mN6thrust23THRUST_200600_302600_NS6detail15normal_iteratorINSA_10device_ptrIsEEEEPS6_NSA_18transform_iteratorINSB_9not_fun_tI7is_trueIsEEENSC_INSD_IbEEEENSA_11use_defaultESO_EENS0_5tupleIJNSA_16discard_iteratorISO_EES6_EEENSQ_IJSG_SG_EEES6_PlJS6_EEE10hipError_tPvRmT3_T4_T5_T6_T7_T9_mT8_P12ihipStream_tbDpT10_ENKUlT_T0_E_clISt17integral_constantIbLb0EES1E_IbLb1EEEEDaS1A_S1B_EUlS1A_E_NS1_11comp_targetILNS1_3genE10ELNS1_11target_archE1200ELNS1_3gpuE4ELNS1_3repE0EEENS1_30default_config_static_selectorELNS0_4arch9wavefront6targetE0EEEvT1_ ; -- Begin function _ZN7rocprim17ROCPRIM_400000_NS6detail17trampoline_kernelINS0_14default_configENS1_25partition_config_selectorILNS1_17partition_subalgoE5EsNS0_10empty_typeEbEEZZNS1_14partition_implILS5_5ELb0ES3_mN6thrust23THRUST_200600_302600_NS6detail15normal_iteratorINSA_10device_ptrIsEEEEPS6_NSA_18transform_iteratorINSB_9not_fun_tI7is_trueIsEEENSC_INSD_IbEEEENSA_11use_defaultESO_EENS0_5tupleIJNSA_16discard_iteratorISO_EES6_EEENSQ_IJSG_SG_EEES6_PlJS6_EEE10hipError_tPvRmT3_T4_T5_T6_T7_T9_mT8_P12ihipStream_tbDpT10_ENKUlT_T0_E_clISt17integral_constantIbLb0EES1E_IbLb1EEEEDaS1A_S1B_EUlS1A_E_NS1_11comp_targetILNS1_3genE10ELNS1_11target_archE1200ELNS1_3gpuE4ELNS1_3repE0EEENS1_30default_config_static_selectorELNS0_4arch9wavefront6targetE0EEEvT1_
	.globl	_ZN7rocprim17ROCPRIM_400000_NS6detail17trampoline_kernelINS0_14default_configENS1_25partition_config_selectorILNS1_17partition_subalgoE5EsNS0_10empty_typeEbEEZZNS1_14partition_implILS5_5ELb0ES3_mN6thrust23THRUST_200600_302600_NS6detail15normal_iteratorINSA_10device_ptrIsEEEEPS6_NSA_18transform_iteratorINSB_9not_fun_tI7is_trueIsEEENSC_INSD_IbEEEENSA_11use_defaultESO_EENS0_5tupleIJNSA_16discard_iteratorISO_EES6_EEENSQ_IJSG_SG_EEES6_PlJS6_EEE10hipError_tPvRmT3_T4_T5_T6_T7_T9_mT8_P12ihipStream_tbDpT10_ENKUlT_T0_E_clISt17integral_constantIbLb0EES1E_IbLb1EEEEDaS1A_S1B_EUlS1A_E_NS1_11comp_targetILNS1_3genE10ELNS1_11target_archE1200ELNS1_3gpuE4ELNS1_3repE0EEENS1_30default_config_static_selectorELNS0_4arch9wavefront6targetE0EEEvT1_
	.p2align	8
	.type	_ZN7rocprim17ROCPRIM_400000_NS6detail17trampoline_kernelINS0_14default_configENS1_25partition_config_selectorILNS1_17partition_subalgoE5EsNS0_10empty_typeEbEEZZNS1_14partition_implILS5_5ELb0ES3_mN6thrust23THRUST_200600_302600_NS6detail15normal_iteratorINSA_10device_ptrIsEEEEPS6_NSA_18transform_iteratorINSB_9not_fun_tI7is_trueIsEEENSC_INSD_IbEEEENSA_11use_defaultESO_EENS0_5tupleIJNSA_16discard_iteratorISO_EES6_EEENSQ_IJSG_SG_EEES6_PlJS6_EEE10hipError_tPvRmT3_T4_T5_T6_T7_T9_mT8_P12ihipStream_tbDpT10_ENKUlT_T0_E_clISt17integral_constantIbLb0EES1E_IbLb1EEEEDaS1A_S1B_EUlS1A_E_NS1_11comp_targetILNS1_3genE10ELNS1_11target_archE1200ELNS1_3gpuE4ELNS1_3repE0EEENS1_30default_config_static_selectorELNS0_4arch9wavefront6targetE0EEEvT1_,@function
_ZN7rocprim17ROCPRIM_400000_NS6detail17trampoline_kernelINS0_14default_configENS1_25partition_config_selectorILNS1_17partition_subalgoE5EsNS0_10empty_typeEbEEZZNS1_14partition_implILS5_5ELb0ES3_mN6thrust23THRUST_200600_302600_NS6detail15normal_iteratorINSA_10device_ptrIsEEEEPS6_NSA_18transform_iteratorINSB_9not_fun_tI7is_trueIsEEENSC_INSD_IbEEEENSA_11use_defaultESO_EENS0_5tupleIJNSA_16discard_iteratorISO_EES6_EEENSQ_IJSG_SG_EEES6_PlJS6_EEE10hipError_tPvRmT3_T4_T5_T6_T7_T9_mT8_P12ihipStream_tbDpT10_ENKUlT_T0_E_clISt17integral_constantIbLb0EES1E_IbLb1EEEEDaS1A_S1B_EUlS1A_E_NS1_11comp_targetILNS1_3genE10ELNS1_11target_archE1200ELNS1_3gpuE4ELNS1_3repE0EEENS1_30default_config_static_selectorELNS0_4arch9wavefront6targetE0EEEvT1_: ; @_ZN7rocprim17ROCPRIM_400000_NS6detail17trampoline_kernelINS0_14default_configENS1_25partition_config_selectorILNS1_17partition_subalgoE5EsNS0_10empty_typeEbEEZZNS1_14partition_implILS5_5ELb0ES3_mN6thrust23THRUST_200600_302600_NS6detail15normal_iteratorINSA_10device_ptrIsEEEEPS6_NSA_18transform_iteratorINSB_9not_fun_tI7is_trueIsEEENSC_INSD_IbEEEENSA_11use_defaultESO_EENS0_5tupleIJNSA_16discard_iteratorISO_EES6_EEENSQ_IJSG_SG_EEES6_PlJS6_EEE10hipError_tPvRmT3_T4_T5_T6_T7_T9_mT8_P12ihipStream_tbDpT10_ENKUlT_T0_E_clISt17integral_constantIbLb0EES1E_IbLb1EEEEDaS1A_S1B_EUlS1A_E_NS1_11comp_targetILNS1_3genE10ELNS1_11target_archE1200ELNS1_3gpuE4ELNS1_3repE0EEENS1_30default_config_static_selectorELNS0_4arch9wavefront6targetE0EEEvT1_
; %bb.0:
	s_clause 0x2
	s_load_b64 s[16:17], s[0:1], 0x60
	s_load_b128 s[4:7], s[0:1], 0x50
	s_load_b64 s[12:13], s[0:1], 0x70
	v_cmp_eq_u32_e64 s2, 0, v0
	s_and_saveexec_b32 s3, s2
	s_cbranch_execz .LBB2842_4
; %bb.1:
	s_mov_b32 s9, exec_lo
	s_mov_b32 s8, exec_lo
	v_mbcnt_lo_u32_b32 v1, s9, 0
                                        ; implicit-def: $vgpr2
	s_delay_alu instid0(VALU_DEP_1)
	v_cmpx_eq_u32_e32 0, v1
	s_cbranch_execz .LBB2842_3
; %bb.2:
	s_load_b64 s[10:11], s[0:1], 0x80
	s_bcnt1_i32_b32 s9, s9
	s_wait_alu 0xfffe
	v_dual_mov_b32 v2, 0 :: v_dual_mov_b32 v3, s9
	s_wait_kmcnt 0x0
	global_atomic_add_u32 v2, v2, v3, s[10:11] th:TH_ATOMIC_RETURN scope:SCOPE_DEV
.LBB2842_3:
	s_or_b32 exec_lo, exec_lo, s8
	s_wait_loadcnt 0x0
	v_readfirstlane_b32 s8, v2
	s_wait_alu 0xf1ff
	s_delay_alu instid0(VALU_DEP_1)
	v_dual_mov_b32 v2, 0 :: v_dual_add_nc_u32 v1, s8, v1
	ds_store_b32 v2, v1
.LBB2842_4:
	s_or_b32 exec_lo, exec_lo, s3
	v_mov_b32_e32 v1, 0
	s_clause 0x2
	s_load_b128 s[8:11], s[0:1], 0x8
	s_load_b64 s[14:15], s[0:1], 0x20
	s_load_b32 s0, s[0:1], 0x78
	s_wait_dscnt 0x0
	s_barrier_signal -1
	s_barrier_wait -1
	global_inv scope:SCOPE_SE
	ds_load_b32 v2, v1
	s_wait_loadcnt_dscnt 0x0
	s_barrier_signal -1
	s_barrier_wait -1
	global_inv scope:SCOPE_SE
	s_wait_kmcnt 0x0
	global_load_b64 v[41:42], v1, s[6:7]
	v_lshlrev_b32_e32 v9, 1, v0
	s_lshl_b64 s[6:7], s[10:11], 1
	s_delay_alu instid0(SALU_CYCLE_1)
	s_add_nc_u64 s[8:9], s[8:9], s[6:7]
	s_mul_i32 s6, s0, 0xc00
	s_mov_b32 s7, 0
	s_add_co_i32 s1, s6, s10
	s_add_co_i32 s20, s0, -1
	v_readfirstlane_b32 s18, v2
	s_sub_co_i32 s3, s16, s1
	s_add_nc_u64 s[0:1], s[10:11], s[6:7]
	s_addk_co_i32 s3, 0xc00
	v_cmp_gt_u64_e64 s0, s[16:17], s[0:1]
	s_cmp_eq_u32 s18, s20
	s_mul_i32 s19, s18, 0xc00
	s_cselect_b32 s16, -1, 0
	s_cmp_lg_u32 s18, s20
	s_mov_b32 s6, s19
	s_cselect_b32 s17, -1, 0
	s_lshl_b64 s[20:21], s[6:7], 1
	s_wait_alu 0xfffe
	s_or_b32 s17, s0, s17
	s_mov_b32 s1, -1
	s_wait_alu 0xfffe
	s_and_b32 vcc_lo, exec_lo, s17
	s_add_nc_u64 s[8:9], s[8:9], s[20:21]
	s_cbranch_vccz .LBB2842_6
; %bb.5:
	s_wait_alu 0xfffe
	v_add_co_u32 v1, s0, s8, v9
	s_wait_alu 0xf1ff
	v_add_co_ci_u32_e64 v2, null, s9, 0, s0
	s_mov_b32 s1, s7
	s_clause 0xb
	flat_load_u16 v3, v[1:2]
	flat_load_u16 v4, v[1:2] offset:512
	flat_load_u16 v5, v[1:2] offset:1024
	;; [unrolled: 1-line block ×11, first 2 shown]
	s_wait_loadcnt_dscnt 0xb0b
	ds_store_b16 v9, v3
	s_wait_loadcnt_dscnt 0xa0b
	ds_store_b16 v9, v4 offset:512
	s_wait_loadcnt_dscnt 0x90b
	ds_store_b16 v9, v5 offset:1024
	;; [unrolled: 2-line block ×11, first 2 shown]
	s_wait_dscnt 0x0
	s_barrier_signal -1
	s_barrier_wait -1
.LBB2842_6:
	v_cmp_gt_u32_e64 s0, s3, v0
	s_wait_alu 0xfffe
	s_and_not1_b32 vcc_lo, exec_lo, s1
	s_cbranch_vccnz .LBB2842_32
; %bb.7:
	v_mov_b32_e32 v1, 0
	s_delay_alu instid0(VALU_DEP_1)
	v_dual_mov_b32 v2, v1 :: v_dual_mov_b32 v3, v1
	v_dual_mov_b32 v4, v1 :: v_dual_mov_b32 v5, v1
	v_mov_b32_e32 v6, v1
	s_and_saveexec_b32 s1, s0
	s_cbranch_execz .LBB2842_9
; %bb.8:
	v_add_co_u32 v3, s0, s8, v9
	s_wait_alu 0xf1ff
	v_add_co_ci_u32_e64 v4, null, s9, 0, s0
	v_mov_b32_e32 v2, v1
	v_dual_mov_b32 v6, v1 :: v_dual_mov_b32 v7, v1
	v_mov_b32_e32 v5, v1
	flat_load_d16_b16 v2, v[3:4]
	v_dual_mov_b32 v3, v1 :: v_dual_mov_b32 v4, v1
	s_wait_loadcnt_dscnt 0x0
	v_mov_b32_e32 v1, v2
	s_delay_alu instid0(VALU_DEP_2) | instskip(NEXT) | instid1(VALU_DEP_3)
	v_mov_b32_e32 v2, v3
	v_mov_b32_e32 v3, v4
	;; [unrolled: 1-line block ×7, first 2 shown]
.LBB2842_9:
	s_wait_alu 0xfffe
	s_or_b32 exec_lo, exec_lo, s1
	v_or_b32_e32 v7, 0x100, v0
	s_mov_b32 s0, exec_lo
	s_delay_alu instid0(VALU_DEP_1)
	v_cmpx_gt_u32_e64 s3, v7
	s_cbranch_execz .LBB2842_11
; %bb.10:
	v_add_co_u32 v7, s1, s8, v9
	s_wait_alu 0xf1ff
	v_add_co_ci_u32_e64 v8, null, s9, 0, s1
	flat_load_d16_hi_b16 v1, v[7:8] offset:512
.LBB2842_11:
	s_wait_alu 0xfffe
	s_or_b32 exec_lo, exec_lo, s0
	v_or_b32_e32 v7, 0x200, v0
	s_mov_b32 s0, exec_lo
	s_delay_alu instid0(VALU_DEP_1)
	v_cmpx_gt_u32_e64 s3, v7
	s_cbranch_execz .LBB2842_13
; %bb.12:
	v_add_co_u32 v7, s1, s8, v9
	s_wait_alu 0xf1ff
	v_add_co_ci_u32_e64 v8, null, s9, 0, s1
	flat_load_d16_b16 v2, v[7:8] offset:1024
.LBB2842_13:
	s_wait_alu 0xfffe
	s_or_b32 exec_lo, exec_lo, s0
	v_or_b32_e32 v7, 0x300, v0
	s_mov_b32 s0, exec_lo
	s_delay_alu instid0(VALU_DEP_1)
	v_cmpx_gt_u32_e64 s3, v7
	s_cbranch_execz .LBB2842_15
; %bb.14:
	v_add_co_u32 v7, s1, s8, v9
	s_wait_alu 0xf1ff
	v_add_co_ci_u32_e64 v8, null, s9, 0, s1
	s_wait_loadcnt_dscnt 0x0
	flat_load_d16_hi_b16 v2, v[7:8] offset:1536
.LBB2842_15:
	s_wait_alu 0xfffe
	s_or_b32 exec_lo, exec_lo, s0
	v_or_b32_e32 v7, 0x400, v0
	s_mov_b32 s0, exec_lo
	s_delay_alu instid0(VALU_DEP_1)
	v_cmpx_gt_u32_e64 s3, v7
	s_cbranch_execz .LBB2842_17
; %bb.16:
	v_add_co_u32 v7, s1, s8, v9
	s_wait_alu 0xf1ff
	v_add_co_ci_u32_e64 v8, null, s9, 0, s1
	flat_load_d16_b16 v3, v[7:8] offset:2048
.LBB2842_17:
	s_wait_alu 0xfffe
	s_or_b32 exec_lo, exec_lo, s0
	v_or_b32_e32 v7, 0x500, v0
	s_mov_b32 s0, exec_lo
	s_delay_alu instid0(VALU_DEP_1)
	v_cmpx_gt_u32_e64 s3, v7
	s_cbranch_execz .LBB2842_19
; %bb.18:
	v_add_co_u32 v7, s1, s8, v9
	s_wait_alu 0xf1ff
	v_add_co_ci_u32_e64 v8, null, s9, 0, s1
	s_wait_loadcnt_dscnt 0x0
	flat_load_d16_hi_b16 v3, v[7:8] offset:2560
.LBB2842_19:
	;; [unrolled: 27-line block ×5, first 2 shown]
	s_wait_alu 0xfffe
	s_or_b32 exec_lo, exec_lo, s0
	s_wait_loadcnt_dscnt 0x0
	ds_store_b16 v9, v1
	ds_store_b16_d16_hi v9, v1 offset:512
	ds_store_b16 v9, v2 offset:1024
	ds_store_b16_d16_hi v9, v2 offset:1536
	ds_store_b16 v9, v3 offset:2048
	;; [unrolled: 2-line block ×5, first 2 shown]
	ds_store_b16_d16_hi v9, v6 offset:5632
	s_wait_dscnt 0x0
	s_barrier_signal -1
	s_barrier_wait -1
.LBB2842_32:
	v_mul_u32_u24_e32 v49, 12, v0
	s_wait_loadcnt 0x0
	global_inv scope:SCOPE_SE
	s_add_nc_u64 s[0:1], s[14:15], s[10:11]
	s_and_b32 vcc_lo, exec_lo, s17
	s_wait_alu 0xfffe
	s_add_nc_u64 s[0:1], s[0:1], s[6:7]
	v_lshlrev_b32_e32 v1, 1, v49
	s_mov_b32 s6, -1
	ds_load_2addr_b64 v[33:36], v1 offset1:1
	ds_load_b64 v[43:44], v1 offset:16
	s_wait_loadcnt_dscnt 0x0
	s_barrier_signal -1
	s_barrier_wait -1
	global_inv scope:SCOPE_SE
	s_cbranch_vccz .LBB2842_34
; %bb.33:
	s_clause 0xb
	global_load_u8 v1, v0, s[0:1]
	global_load_u8 v2, v0, s[0:1] offset:256
	global_load_u8 v3, v0, s[0:1] offset:512
	;; [unrolled: 1-line block ×11, first 2 shown]
	s_mov_b32 s6, 0
	s_wait_loadcnt 0xb
	v_xor_b32_e32 v1, 1, v1
	s_wait_loadcnt 0xa
	v_xor_b32_e32 v2, 1, v2
	;; [unrolled: 2-line block ×12, first 2 shown]
	ds_store_b8 v0, v1
	ds_store_b8 v0, v2 offset:256
	ds_store_b8 v0, v3 offset:512
	;; [unrolled: 1-line block ×11, first 2 shown]
	s_wait_dscnt 0x0
	s_barrier_signal -1
	s_barrier_wait -1
.LBB2842_34:
	s_and_not1_b32 vcc_lo, exec_lo, s6
	s_cbranch_vccnz .LBB2842_60
; %bb.35:
	v_mov_b32_e32 v3, 0
	s_mov_b32 s6, exec_lo
	s_delay_alu instid0(VALU_DEP_1)
	v_dual_mov_b32 v1, v3 :: v_dual_mov_b32 v2, v3
	v_mov_b32_e32 v4, v3
	v_cmpx_gt_u32_e64 s3, v0
	s_cbranch_execz .LBB2842_37
; %bb.36:
	global_load_u8 v1, v0, s[0:1]
	s_wait_loadcnt 0x0
	v_xor_b32_e32 v4, 1, v1
	s_delay_alu instid0(VALU_DEP_1) | instskip(NEXT) | instid1(VALU_DEP_1)
	v_dual_mov_b32 v1, 0 :: v_dual_and_b32 v2, 1, v4
	v_dual_mov_b32 v2, v1 :: v_dual_and_b32 v3, 0xffff, v2
.LBB2842_37:
	s_or_b32 exec_lo, exec_lo, s6
	v_or_b32_e32 v5, 0x100, v0
	s_mov_b32 s6, exec_lo
	s_delay_alu instid0(VALU_DEP_1)
	v_cmpx_gt_u32_e64 s3, v5
	s_cbranch_execz .LBB2842_39
; %bb.38:
	global_load_u8 v5, v0, s[0:1] offset:256
	v_and_b32_e32 v6, 0xff, v3
	s_wait_loadcnt 0x0
	v_xor_b32_e32 v5, 1, v5
	s_delay_alu instid0(VALU_DEP_1) | instskip(NEXT) | instid1(VALU_DEP_1)
	v_lshlrev_b16 v5, 8, v5
	v_or_b32_e32 v5, v6, v5
	s_delay_alu instid0(VALU_DEP_1) | instskip(NEXT) | instid1(VALU_DEP_1)
	v_and_b32_e32 v5, 0xffff, v5
	v_and_or_b32 v3, 0xffff0000, v3, v5
.LBB2842_39:
	s_or_b32 exec_lo, exec_lo, s6
	v_or_b32_e32 v5, 0x200, v0
	s_mov_b32 s6, exec_lo
	s_delay_alu instid0(VALU_DEP_1)
	v_cmpx_gt_u32_e64 s3, v5
	s_cbranch_execz .LBB2842_41
; %bb.40:
	global_load_u8 v5, v0, s[0:1] offset:512
	v_lshrrev_b32_e32 v6, 16, v3
	s_delay_alu instid0(VALU_DEP_1) | instskip(SKIP_2) | instid1(VALU_DEP_1)
	v_and_b32_e32 v6, 0xffffff00, v6
	s_wait_loadcnt 0x0
	v_xor_b32_e32 v5, 1, v5
	v_or_b32_e32 v5, v5, v6
	s_delay_alu instid0(VALU_DEP_1) | instskip(NEXT) | instid1(VALU_DEP_1)
	v_lshlrev_b32_e32 v5, 16, v5
	v_and_or_b32 v3, 0xffff, v3, v5
.LBB2842_41:
	s_or_b32 exec_lo, exec_lo, s6
	v_or_b32_e32 v5, 0x300, v0
	s_mov_b32 s6, exec_lo
	s_delay_alu instid0(VALU_DEP_1)
	v_cmpx_gt_u32_e64 s3, v5
	s_cbranch_execz .LBB2842_43
; %bb.42:
	global_load_u8 v5, v0, s[0:1] offset:768
	v_lshrrev_b32_e32 v6, 16, v3
	s_delay_alu instid0(VALU_DEP_1) | instskip(SKIP_2) | instid1(VALU_DEP_1)
	v_and_b32_e32 v6, 0xff, v6
	s_wait_loadcnt 0x0
	v_xor_b32_e32 v5, 1, v5
	v_lshlrev_b16 v5, 8, v5
	s_delay_alu instid0(VALU_DEP_1) | instskip(NEXT) | instid1(VALU_DEP_1)
	v_or_b32_e32 v5, v6, v5
	v_lshlrev_b32_e32 v5, 16, v5
	s_delay_alu instid0(VALU_DEP_1)
	v_and_or_b32 v3, 0xffff, v3, v5
.LBB2842_43:
	s_or_b32 exec_lo, exec_lo, s6
	v_or_b32_e32 v5, 0x400, v0
	s_mov_b32 s6, exec_lo
	s_delay_alu instid0(VALU_DEP_1)
	v_cmpx_gt_u32_e64 s3, v5
	s_cbranch_execz .LBB2842_45
; %bb.44:
	global_load_u8 v5, v0, s[0:1] offset:1024
	v_and_b32_e32 v6, 0xffffff00, v1
	s_wait_loadcnt 0x0
	v_xor_b32_e32 v5, 1, v5
	s_delay_alu instid0(VALU_DEP_1) | instskip(NEXT) | instid1(VALU_DEP_1)
	v_or_b32_e32 v5, v5, v6
	v_and_b32_e32 v5, 0xffff, v5
	s_delay_alu instid0(VALU_DEP_1)
	v_and_or_b32 v1, 0xffff0000, v1, v5
.LBB2842_45:
	s_or_b32 exec_lo, exec_lo, s6
	v_or_b32_e32 v5, 0x500, v0
	s_mov_b32 s6, exec_lo
	s_delay_alu instid0(VALU_DEP_1)
	v_cmpx_gt_u32_e64 s3, v5
	s_cbranch_execz .LBB2842_47
; %bb.46:
	global_load_u8 v5, v0, s[0:1] offset:1280
	v_and_b32_e32 v6, 0xff, v1
	s_wait_loadcnt 0x0
	v_xor_b32_e32 v5, 1, v5
	s_delay_alu instid0(VALU_DEP_1) | instskip(NEXT) | instid1(VALU_DEP_1)
	v_lshlrev_b16 v5, 8, v5
	v_or_b32_e32 v5, v6, v5
	s_delay_alu instid0(VALU_DEP_1) | instskip(NEXT) | instid1(VALU_DEP_1)
	v_and_b32_e32 v5, 0xffff, v5
	v_and_or_b32 v1, 0xffff0000, v1, v5
.LBB2842_47:
	s_or_b32 exec_lo, exec_lo, s6
	v_or_b32_e32 v5, 0x600, v0
	s_mov_b32 s6, exec_lo
	s_delay_alu instid0(VALU_DEP_1)
	v_cmpx_gt_u32_e64 s3, v5
	s_cbranch_execz .LBB2842_49
; %bb.48:
	global_load_u8 v5, v0, s[0:1] offset:1536
	v_lshrrev_b32_e32 v6, 16, v1
	s_delay_alu instid0(VALU_DEP_1) | instskip(SKIP_2) | instid1(VALU_DEP_1)
	v_and_b32_e32 v6, 0xffffff00, v6
	s_wait_loadcnt 0x0
	v_xor_b32_e32 v5, 1, v5
	v_or_b32_e32 v5, v5, v6
	s_delay_alu instid0(VALU_DEP_1) | instskip(NEXT) | instid1(VALU_DEP_1)
	v_lshlrev_b32_e32 v5, 16, v5
	v_and_or_b32 v1, 0xffff, v1, v5
.LBB2842_49:
	s_or_b32 exec_lo, exec_lo, s6
	v_or_b32_e32 v5, 0x700, v0
	s_mov_b32 s6, exec_lo
	s_delay_alu instid0(VALU_DEP_1)
	v_cmpx_gt_u32_e64 s3, v5
	s_cbranch_execz .LBB2842_51
; %bb.50:
	global_load_u8 v5, v0, s[0:1] offset:1792
	v_lshrrev_b32_e32 v6, 16, v1
	s_delay_alu instid0(VALU_DEP_1) | instskip(SKIP_2) | instid1(VALU_DEP_1)
	v_and_b32_e32 v6, 0xff, v6
	s_wait_loadcnt 0x0
	v_xor_b32_e32 v5, 1, v5
	v_lshlrev_b16 v5, 8, v5
	s_delay_alu instid0(VALU_DEP_1) | instskip(NEXT) | instid1(VALU_DEP_1)
	v_or_b32_e32 v5, v6, v5
	v_lshlrev_b32_e32 v5, 16, v5
	s_delay_alu instid0(VALU_DEP_1)
	v_and_or_b32 v1, 0xffff, v1, v5
.LBB2842_51:
	s_or_b32 exec_lo, exec_lo, s6
	v_or_b32_e32 v5, 0x800, v0
	s_mov_b32 s6, exec_lo
	s_delay_alu instid0(VALU_DEP_1)
	v_cmpx_gt_u32_e64 s3, v5
	s_cbranch_execz .LBB2842_53
; %bb.52:
	global_load_u8 v5, v0, s[0:1] offset:2048
	v_and_b32_e32 v6, 0xffffff00, v2
	s_wait_loadcnt 0x0
	v_xor_b32_e32 v5, 1, v5
	s_delay_alu instid0(VALU_DEP_1) | instskip(NEXT) | instid1(VALU_DEP_1)
	v_or_b32_e32 v5, v5, v6
	v_and_b32_e32 v5, 0xffff, v5
	s_delay_alu instid0(VALU_DEP_1)
	v_and_or_b32 v2, 0xffff0000, v2, v5
.LBB2842_53:
	s_or_b32 exec_lo, exec_lo, s6
	v_or_b32_e32 v5, 0x900, v0
	s_mov_b32 s6, exec_lo
	s_delay_alu instid0(VALU_DEP_1)
	v_cmpx_gt_u32_e64 s3, v5
	s_cbranch_execz .LBB2842_55
; %bb.54:
	global_load_u8 v5, v0, s[0:1] offset:2304
	v_and_b32_e32 v6, 0xff, v2
	s_wait_loadcnt 0x0
	v_xor_b32_e32 v5, 1, v5
	s_delay_alu instid0(VALU_DEP_1) | instskip(NEXT) | instid1(VALU_DEP_1)
	v_lshlrev_b16 v5, 8, v5
	v_or_b32_e32 v5, v6, v5
	s_delay_alu instid0(VALU_DEP_1) | instskip(NEXT) | instid1(VALU_DEP_1)
	v_and_b32_e32 v5, 0xffff, v5
	v_and_or_b32 v2, 0xffff0000, v2, v5
.LBB2842_55:
	s_or_b32 exec_lo, exec_lo, s6
	v_or_b32_e32 v5, 0xa00, v0
	s_mov_b32 s6, exec_lo
	s_delay_alu instid0(VALU_DEP_1)
	v_cmpx_gt_u32_e64 s3, v5
	s_cbranch_execz .LBB2842_57
; %bb.56:
	global_load_u8 v5, v0, s[0:1] offset:2560
	v_lshrrev_b32_e32 v6, 16, v2
	s_delay_alu instid0(VALU_DEP_1) | instskip(SKIP_2) | instid1(VALU_DEP_1)
	v_and_b32_e32 v6, 0xffffff00, v6
	s_wait_loadcnt 0x0
	v_xor_b32_e32 v5, 1, v5
	v_or_b32_e32 v5, v5, v6
	s_delay_alu instid0(VALU_DEP_1) | instskip(NEXT) | instid1(VALU_DEP_1)
	v_lshlrev_b32_e32 v5, 16, v5
	v_and_or_b32 v2, 0xffff, v2, v5
.LBB2842_57:
	s_or_b32 exec_lo, exec_lo, s6
	v_or_b32_e32 v5, 0xb00, v0
	s_delay_alu instid0(VALU_DEP_1)
	v_cmp_gt_u32_e32 vcc_lo, s3, v5
	s_and_saveexec_b32 s3, vcc_lo
	s_cbranch_execz .LBB2842_59
; %bb.58:
	global_load_u8 v5, v0, s[0:1] offset:2816
	v_lshrrev_b32_e32 v6, 16, v2
	s_delay_alu instid0(VALU_DEP_1) | instskip(SKIP_2) | instid1(VALU_DEP_1)
	v_and_b32_e32 v6, 0xff, v6
	s_wait_loadcnt 0x0
	v_xor_b32_e32 v5, 1, v5
	v_lshlrev_b16 v5, 8, v5
	s_delay_alu instid0(VALU_DEP_1) | instskip(NEXT) | instid1(VALU_DEP_1)
	v_or_b32_e32 v5, v6, v5
	v_lshlrev_b32_e32 v5, 16, v5
	s_delay_alu instid0(VALU_DEP_1)
	v_and_or_b32 v2, 0xffff, v2, v5
.LBB2842_59:
	s_wait_alu 0xfffe
	s_or_b32 exec_lo, exec_lo, s3
	v_lshrrev_b32_e32 v5, 8, v3
	v_lshrrev_b32_e32 v6, 24, v3
	;; [unrolled: 1-line block ×6, first 2 shown]
	ds_store_b8 v0, v4
	ds_store_b8 v0, v5 offset:256
	ds_store_b8_d16_hi v0, v3 offset:512
	ds_store_b8 v0, v6 offset:768
	ds_store_b8 v0, v1 offset:1024
	;; [unrolled: 1-line block ×3, first 2 shown]
	ds_store_b8_d16_hi v0, v1 offset:1536
	ds_store_b8 v0, v8 offset:1792
	ds_store_b8 v0, v2 offset:2048
	;; [unrolled: 1-line block ×3, first 2 shown]
	ds_store_b8_d16_hi v0, v2 offset:2560
	ds_store_b8 v0, v10 offset:2816
	s_wait_loadcnt_dscnt 0x0
	s_barrier_signal -1
	s_barrier_wait -1
.LBB2842_60:
	s_wait_loadcnt 0x0
	global_inv scope:SCOPE_SE
	ds_load_2addr_b32 v[45:46], v49 offset1:1
	ds_load_b32 v50, v49 offset:8
	v_mbcnt_lo_u32_b32 v63, -1, 0
	s_cmp_lg_u32 s18, 0
	s_mov_b32 s1, -1
	s_wait_loadcnt_dscnt 0x0
	s_barrier_signal -1
	v_and_b32_e32 v64, 15, v63
	s_barrier_wait -1
	global_inv scope:SCOPE_SE
	v_dual_mov_b32 v2, 0 :: v_dual_and_b32 v55, 0xff, v45
	v_bfe_u32 v56, v45, 8, 8
	v_bfe_u32 v54, v45, 16, 8
	v_lshrrev_b32_e32 v53, 24, v45
	v_and_b32_e32 v58, 0xff, v46
	v_bfe_u32 v59, v46, 8, 8
	v_bfe_u32 v60, v46, 16, 8
	v_add3_u32 v1, v56, v55, v54
	v_lshrrev_b32_e32 v52, 24, v46
	v_and_b32_e32 v61, 0xff, v50
	v_bfe_u32 v62, v50, 8, 8
	v_bfe_u32 v57, v50, 16, 8
	v_add_co_u32 v1, s0, v1, v53
	s_wait_alu 0xf1fe
	v_add_co_ci_u32_e64 v3, null, 0, 0, s0
	v_lshrrev_b32_e32 v51, 24, v50
	s_delay_alu instid0(VALU_DEP_3) | instskip(NEXT) | instid1(VALU_DEP_1)
	v_add_co_u32 v1, vcc_lo, v1, v58
	v_add_co_ci_u32_e64 v3, null, 0, v3, vcc_lo
	v_cmp_ne_u32_e64 s0, 0, v64
	s_delay_alu instid0(VALU_DEP_3) | instskip(SKIP_1) | instid1(VALU_DEP_3)
	v_add_co_u32 v1, vcc_lo, v1, v59
	s_wait_alu 0xfffd
	v_add_co_ci_u32_e64 v3, null, 0, v3, vcc_lo
	s_delay_alu instid0(VALU_DEP_2) | instskip(SKIP_1) | instid1(VALU_DEP_2)
	v_add_co_u32 v1, vcc_lo, v1, v60
	s_wait_alu 0xfffd
	v_add_co_ci_u32_e64 v3, null, 0, v3, vcc_lo
	s_delay_alu instid0(VALU_DEP_2) | instskip(SKIP_1) | instid1(VALU_DEP_2)
	v_add_co_u32 v1, vcc_lo, v1, v52
	s_wait_alu 0xfffd
	v_add_co_ci_u32_e64 v3, null, 0, v3, vcc_lo
	s_delay_alu instid0(VALU_DEP_2) | instskip(SKIP_1) | instid1(VALU_DEP_2)
	v_add_co_u32 v1, vcc_lo, v1, v61
	s_wait_alu 0xfffd
	v_add_co_ci_u32_e64 v3, null, 0, v3, vcc_lo
	s_delay_alu instid0(VALU_DEP_2) | instskip(SKIP_1) | instid1(VALU_DEP_2)
	v_add_co_u32 v1, vcc_lo, v1, v62
	s_wait_alu 0xfffd
	v_add_co_ci_u32_e64 v3, null, 0, v3, vcc_lo
	s_delay_alu instid0(VALU_DEP_2) | instskip(SKIP_1) | instid1(VALU_DEP_2)
	v_add_co_u32 v1, vcc_lo, v1, v57
	s_wait_alu 0xfffd
	v_add_co_ci_u32_e64 v3, null, 0, v3, vcc_lo
	s_delay_alu instid0(VALU_DEP_2) | instskip(SKIP_1) | instid1(VALU_DEP_2)
	v_add_co_u32 v47, vcc_lo, v1, v51
	s_wait_alu 0xfffd
	v_add_co_ci_u32_e64 v48, null, 0, v3, vcc_lo
	s_cbranch_scc0 .LBB2842_117
; %bb.61:
	v_mov_b32_e32 v3, v47
	v_mov_b32_dpp v1, v47 row_shr:1 row_mask:0xf bank_mask:0xf
	v_mov_b32_dpp v6, v2 row_shr:1 row_mask:0xf bank_mask:0xf
	v_dual_mov_b32 v5, v47 :: v_dual_mov_b32 v4, v48
	s_and_saveexec_b32 s1, s0
; %bb.62:
	s_delay_alu instid0(VALU_DEP_3) | instskip(SKIP_2) | instid1(VALU_DEP_2)
	v_add_co_u32 v5, vcc_lo, v47, v1
	s_wait_alu 0xfffd
	v_add_co_ci_u32_e64 v2, null, 0, v48, vcc_lo
	v_add_co_u32 v1, vcc_lo, 0, v5
	s_wait_alu 0xfffd
	s_delay_alu instid0(VALU_DEP_2) | instskip(NEXT) | instid1(VALU_DEP_1)
	v_add_co_ci_u32_e64 v2, null, v6, v2, vcc_lo
	v_dual_mov_b32 v4, v2 :: v_dual_mov_b32 v3, v1
; %bb.63:
	s_wait_alu 0xfffe
	s_or_b32 exec_lo, exec_lo, s1
	v_mov_b32_dpp v1, v5 row_shr:2 row_mask:0xf bank_mask:0xf
	v_mov_b32_dpp v6, v2 row_shr:2 row_mask:0xf bank_mask:0xf
	s_mov_b32 s1, exec_lo
	v_cmpx_lt_u32_e32 1, v64
; %bb.64:
	s_delay_alu instid0(VALU_DEP_3) | instskip(SKIP_2) | instid1(VALU_DEP_2)
	v_add_co_u32 v5, vcc_lo, v3, v1
	s_wait_alu 0xfffd
	v_add_co_ci_u32_e64 v2, null, 0, v4, vcc_lo
	v_add_co_u32 v1, vcc_lo, 0, v5
	s_wait_alu 0xfffd
	s_delay_alu instid0(VALU_DEP_2) | instskip(NEXT) | instid1(VALU_DEP_1)
	v_add_co_ci_u32_e64 v2, null, v6, v2, vcc_lo
	v_dual_mov_b32 v4, v2 :: v_dual_mov_b32 v3, v1
; %bb.65:
	s_wait_alu 0xfffe
	s_or_b32 exec_lo, exec_lo, s1
	v_mov_b32_dpp v1, v5 row_shr:4 row_mask:0xf bank_mask:0xf
	v_mov_b32_dpp v6, v2 row_shr:4 row_mask:0xf bank_mask:0xf
	s_mov_b32 s1, exec_lo
	v_cmpx_lt_u32_e32 3, v64
	;; [unrolled: 17-line block ×3, first 2 shown]
; %bb.68:
	s_delay_alu instid0(VALU_DEP_3) | instskip(SKIP_2) | instid1(VALU_DEP_2)
	v_add_co_u32 v5, vcc_lo, v3, v6
	s_wait_alu 0xfffd
	v_add_co_ci_u32_e64 v2, null, 0, v4, vcc_lo
	v_add_co_u32 v3, vcc_lo, 0, v5
	s_wait_alu 0xfffd
	s_delay_alu instid0(VALU_DEP_2) | instskip(NEXT) | instid1(VALU_DEP_1)
	v_add_co_ci_u32_e64 v4, null, v1, v2, vcc_lo
	v_mov_b32_e32 v2, v4
; %bb.69:
	s_wait_alu 0xfffe
	s_or_b32 exec_lo, exec_lo, s1
	ds_swizzle_b32 v6, v5 offset:swizzle(BROADCAST,32,15)
	ds_swizzle_b32 v1, v2 offset:swizzle(BROADCAST,32,15)
	v_and_b32_e32 v2, 16, v63
	s_mov_b32 s1, exec_lo
	s_delay_alu instid0(VALU_DEP_1)
	v_cmpx_ne_u32_e32 0, v2
	s_cbranch_execz .LBB2842_71
; %bb.70:
	s_wait_dscnt 0x1
	v_add_co_u32 v5, vcc_lo, v3, v6
	s_wait_alu 0xfffd
	v_add_co_ci_u32_e64 v2, null, 0, v4, vcc_lo
	s_delay_alu instid0(VALU_DEP_2) | instskip(SKIP_2) | instid1(VALU_DEP_2)
	v_add_co_u32 v3, vcc_lo, 0, v5
	s_wait_dscnt 0x0
	s_wait_alu 0xfffd
	v_add_co_ci_u32_e64 v4, null, v1, v2, vcc_lo
.LBB2842_71:
	s_wait_alu 0xfffe
	s_or_b32 exec_lo, exec_lo, s1
	s_wait_dscnt 0x0
	v_or_b32_e32 v1, 31, v0
	v_lshrrev_b32_e32 v6, 5, v0
	s_mov_b32 s1, exec_lo
	s_delay_alu instid0(VALU_DEP_2)
	v_cmpx_eq_u32_e64 v0, v1
; %bb.72:
	s_delay_alu instid0(VALU_DEP_2)
	v_lshlrev_b32_e32 v1, 3, v6
	ds_store_b64 v1, v[3:4]
; %bb.73:
	s_wait_alu 0xfffe
	s_or_b32 exec_lo, exec_lo, s1
	s_delay_alu instid0(SALU_CYCLE_1)
	s_mov_b32 s1, exec_lo
	s_wait_loadcnt_dscnt 0x0
	s_barrier_signal -1
	s_barrier_wait -1
	global_inv scope:SCOPE_SE
	v_cmpx_gt_u32_e32 8, v0
	s_cbranch_execz .LBB2842_81
; %bb.74:
	v_lshlrev_b32_e32 v3, 3, v0
	s_mov_b32 s3, exec_lo
	ds_load_b64 v[1:2], v3
	s_wait_dscnt 0x0
	v_dual_mov_b32 v7, v1 :: v_dual_and_b32 v4, 7, v63
	v_mov_b32_dpp v9, v1 row_shr:1 row_mask:0xf bank_mask:0xf
	v_mov_b32_dpp v8, v2 row_shr:1 row_mask:0xf bank_mask:0xf
	s_delay_alu instid0(VALU_DEP_3)
	v_cmpx_ne_u32_e32 0, v4
; %bb.75:
	s_delay_alu instid0(VALU_DEP_3) | instskip(SKIP_2) | instid1(VALU_DEP_2)
	v_add_co_u32 v7, vcc_lo, v1, v9
	s_wait_alu 0xfffd
	v_add_co_ci_u32_e64 v2, null, 0, v2, vcc_lo
	v_add_co_u32 v1, vcc_lo, 0, v7
	s_wait_alu 0xfffd
	s_delay_alu instid0(VALU_DEP_2)
	v_add_co_ci_u32_e64 v2, null, v8, v2, vcc_lo
; %bb.76:
	s_wait_alu 0xfffe
	s_or_b32 exec_lo, exec_lo, s3
	v_mov_b32_dpp v9, v7 row_shr:2 row_mask:0xf bank_mask:0xf
	s_delay_alu instid0(VALU_DEP_2)
	v_mov_b32_dpp v8, v2 row_shr:2 row_mask:0xf bank_mask:0xf
	s_mov_b32 s3, exec_lo
	v_cmpx_lt_u32_e32 1, v4
; %bb.77:
	s_delay_alu instid0(VALU_DEP_3) | instskip(SKIP_2) | instid1(VALU_DEP_2)
	v_add_co_u32 v7, vcc_lo, v1, v9
	s_wait_alu 0xfffd
	v_add_co_ci_u32_e64 v2, null, 0, v2, vcc_lo
	v_add_co_u32 v1, vcc_lo, 0, v7
	s_wait_alu 0xfffd
	s_delay_alu instid0(VALU_DEP_2)
	v_add_co_ci_u32_e64 v2, null, v8, v2, vcc_lo
; %bb.78:
	s_wait_alu 0xfffe
	s_or_b32 exec_lo, exec_lo, s3
	v_mov_b32_dpp v8, v7 row_shr:4 row_mask:0xf bank_mask:0xf
	s_delay_alu instid0(VALU_DEP_2)
	v_mov_b32_dpp v7, v2 row_shr:4 row_mask:0xf bank_mask:0xf
	s_mov_b32 s3, exec_lo
	v_cmpx_lt_u32_e32 3, v4
; %bb.79:
	s_delay_alu instid0(VALU_DEP_3) | instskip(SKIP_2) | instid1(VALU_DEP_2)
	v_add_co_u32 v1, vcc_lo, v1, v8
	s_wait_alu 0xfffd
	v_add_co_ci_u32_e64 v2, null, 0, v2, vcc_lo
	v_add_co_u32 v1, vcc_lo, v1, 0
	s_wait_alu 0xfffd
	s_delay_alu instid0(VALU_DEP_2)
	v_add_co_ci_u32_e64 v2, null, v2, v7, vcc_lo
; %bb.80:
	s_wait_alu 0xfffe
	s_or_b32 exec_lo, exec_lo, s3
	ds_store_b64 v3, v[1:2]
.LBB2842_81:
	s_wait_alu 0xfffe
	s_or_b32 exec_lo, exec_lo, s1
	s_delay_alu instid0(SALU_CYCLE_1)
	s_mov_b32 s3, exec_lo
	v_cmp_gt_u32_e32 vcc_lo, 32, v0
	s_wait_loadcnt_dscnt 0x0
	s_barrier_signal -1
	s_barrier_wait -1
	global_inv scope:SCOPE_SE
                                        ; implicit-def: $vgpr9_vgpr10
	v_cmpx_lt_u32_e32 31, v0
	s_cbranch_execz .LBB2842_83
; %bb.82:
	v_lshl_add_u32 v1, v6, 3, -8
	ds_load_b64 v[9:10], v1
	s_wait_dscnt 0x0
	v_add_nc_u32_e32 v5, v5, v9
.LBB2842_83:
	s_wait_alu 0xfffe
	s_or_b32 exec_lo, exec_lo, s3
	v_sub_co_u32 v1, s1, v63, 1
	s_delay_alu instid0(VALU_DEP_1) | instskip(SKIP_1) | instid1(VALU_DEP_1)
	v_cmp_gt_i32_e64 s3, 0, v1
	s_wait_alu 0xf1ff
	v_cndmask_b32_e64 v1, v1, v63, s3
	s_delay_alu instid0(VALU_DEP_1)
	v_lshlrev_b32_e32 v1, 2, v1
	ds_bpermute_b32 v15, v1, v5
	s_and_saveexec_b32 s3, vcc_lo
	s_cbranch_execz .LBB2842_122
; %bb.84:
	v_mov_b32_e32 v4, 0
	ds_load_b64 v[1:2], v4 offset:56
	s_and_saveexec_b32 s6, s1
	s_cbranch_execz .LBB2842_86
; %bb.85:
	s_add_co_i32 s8, s18, 32
	s_mov_b32 s9, 0
	s_wait_alu 0xfffe
	s_lshl_b64 s[8:9], s[8:9], 4
	s_wait_alu 0xfffe
	s_add_nc_u64 s[8:9], s[12:13], s[8:9]
	v_mov_b32_e32 v3, 1
	s_wait_alu 0xfffe
	v_dual_mov_b32 v5, s8 :: v_dual_mov_b32 v6, s9
	s_wait_dscnt 0x0
	;;#ASMSTART
	global_store_b128 v[5:6], v[1:4] off scope:SCOPE_DEV	
s_wait_storecnt 0x0
	;;#ASMEND
.LBB2842_86:
	s_or_b32 exec_lo, exec_lo, s6
	v_xad_u32 v11, v63, -1, s18
	s_mov_b32 s6, exec_lo
	s_delay_alu instid0(VALU_DEP_1) | instskip(NEXT) | instid1(VALU_DEP_1)
	v_add_nc_u32_e32 v3, 32, v11
	v_lshlrev_b64_e32 v[3:4], 4, v[3:4]
	s_delay_alu instid0(VALU_DEP_1) | instskip(SKIP_1) | instid1(VALU_DEP_2)
	v_add_co_u32 v3, vcc_lo, s12, v3
	s_wait_alu 0xfffd
	v_add_co_ci_u32_e64 v4, null, s13, v4, vcc_lo
	;;#ASMSTART
	global_load_b128 v[5:8], v[3:4] off scope:SCOPE_DEV	
s_wait_loadcnt 0x0
	;;#ASMEND
	v_and_b32_e32 v8, 0xff, v7
	s_delay_alu instid0(VALU_DEP_1)
	v_cmpx_eq_u16_e32 0, v8
	s_cbranch_execz .LBB2842_89
.LBB2842_87:                            ; =>This Inner Loop Header: Depth=1
	;;#ASMSTART
	global_load_b128 v[5:8], v[3:4] off scope:SCOPE_DEV	
s_wait_loadcnt 0x0
	;;#ASMEND
	v_and_b32_e32 v8, 0xff, v7
	s_delay_alu instid0(VALU_DEP_1) | instskip(SKIP_1) | instid1(SALU_CYCLE_1)
	v_cmp_ne_u16_e32 vcc_lo, 0, v8
	s_or_b32 s7, vcc_lo, s7
	s_and_not1_b32 exec_lo, exec_lo, s7
	s_cbranch_execnz .LBB2842_87
; %bb.88:
	s_or_b32 exec_lo, exec_lo, s7
.LBB2842_89:
	s_delay_alu instid0(SALU_CYCLE_1)
	s_or_b32 exec_lo, exec_lo, s6
	v_cmp_ne_u32_e32 vcc_lo, 31, v63
	v_and_b32_e32 v4, 0xff, v7
	v_lshlrev_b32_e64 v17, v63, -1
	s_mov_b32 s6, exec_lo
	s_wait_alu 0xfffd
	v_add_co_ci_u32_e64 v3, null, 0, v63, vcc_lo
	v_cmp_eq_u16_e32 vcc_lo, 2, v4
	v_mov_b32_e32 v4, v5
	s_delay_alu instid0(VALU_DEP_3)
	v_lshlrev_b32_e32 v16, 2, v3
	s_wait_alu 0xfffd
	v_and_or_b32 v3, vcc_lo, v17, 0x80000000
	ds_bpermute_b32 v12, v16, v5
	ds_bpermute_b32 v8, v16, v6
	v_ctz_i32_b32_e32 v3, v3
	s_delay_alu instid0(VALU_DEP_1)
	v_cmpx_lt_u32_e64 v63, v3
	s_cbranch_execz .LBB2842_91
; %bb.90:
	s_wait_dscnt 0x1
	v_add_co_u32 v4, vcc_lo, v5, v12
	s_wait_alu 0xfffd
	v_add_co_ci_u32_e64 v6, null, 0, v6, vcc_lo
	s_delay_alu instid0(VALU_DEP_2) | instskip(SKIP_2) | instid1(VALU_DEP_2)
	v_add_co_u32 v5, vcc_lo, 0, v4
	s_wait_dscnt 0x0
	s_wait_alu 0xfffd
	v_add_co_ci_u32_e64 v6, null, v8, v6, vcc_lo
.LBB2842_91:
	s_or_b32 exec_lo, exec_lo, s6
	v_cmp_gt_u32_e32 vcc_lo, 30, v63
	v_add_nc_u32_e32 v19, 2, v63
	s_mov_b32 s6, exec_lo
	s_wait_dscnt 0x0
	s_wait_alu 0xfffd
	v_cndmask_b32_e64 v8, 0, 2, vcc_lo
	s_delay_alu instid0(VALU_DEP_1)
	v_add_lshl_u32 v18, v8, v63, 2
	ds_bpermute_b32 v12, v18, v4
	ds_bpermute_b32 v8, v18, v6
	v_cmpx_le_u32_e64 v19, v3
	s_cbranch_execz .LBB2842_93
; %bb.92:
	s_wait_dscnt 0x1
	v_add_co_u32 v4, vcc_lo, v5, v12
	s_wait_alu 0xfffd
	v_add_co_ci_u32_e64 v6, null, 0, v6, vcc_lo
	s_delay_alu instid0(VALU_DEP_2) | instskip(SKIP_2) | instid1(VALU_DEP_2)
	v_add_co_u32 v5, vcc_lo, 0, v4
	s_wait_dscnt 0x0
	s_wait_alu 0xfffd
	v_add_co_ci_u32_e64 v6, null, v8, v6, vcc_lo
.LBB2842_93:
	s_or_b32 exec_lo, exec_lo, s6
	v_cmp_gt_u32_e32 vcc_lo, 28, v63
	v_add_nc_u32_e32 v21, 4, v63
	s_mov_b32 s6, exec_lo
	s_wait_dscnt 0x0
	s_wait_alu 0xfffd
	v_cndmask_b32_e64 v8, 0, 4, vcc_lo
	s_delay_alu instid0(VALU_DEP_1)
	v_add_lshl_u32 v20, v8, v63, 2
	ds_bpermute_b32 v12, v20, v4
	ds_bpermute_b32 v8, v20, v6
	v_cmpx_le_u32_e64 v21, v3
	;; [unrolled: 24-line block ×3, first 2 shown]
	s_cbranch_execz .LBB2842_97
; %bb.96:
	s_wait_dscnt 0x1
	v_add_co_u32 v4, vcc_lo, v5, v12
	s_wait_alu 0xfffd
	v_add_co_ci_u32_e64 v6, null, 0, v6, vcc_lo
	s_delay_alu instid0(VALU_DEP_2) | instskip(SKIP_2) | instid1(VALU_DEP_2)
	v_add_co_u32 v5, vcc_lo, 0, v4
	s_wait_dscnt 0x0
	s_wait_alu 0xfffd
	v_add_co_ci_u32_e64 v6, null, v8, v6, vcc_lo
.LBB2842_97:
	s_or_b32 exec_lo, exec_lo, s6
	v_lshl_or_b32 v24, v63, 2, 64
	v_add_nc_u32_e32 v25, 16, v63
	s_mov_b32 s6, exec_lo
	s_wait_dscnt 0x0
	ds_bpermute_b32 v8, v24, v4
	ds_bpermute_b32 v4, v24, v6
	v_cmpx_le_u32_e64 v25, v3
	s_cbranch_execz .LBB2842_99
; %bb.98:
	s_wait_dscnt 0x1
	v_add_co_u32 v3, vcc_lo, v5, v8
	s_wait_alu 0xfffd
	v_add_co_ci_u32_e64 v6, null, 0, v6, vcc_lo
	s_delay_alu instid0(VALU_DEP_2) | instskip(SKIP_2) | instid1(VALU_DEP_2)
	v_add_co_u32 v5, vcc_lo, v3, 0
	s_wait_dscnt 0x0
	s_wait_alu 0xfffd
	v_add_co_ci_u32_e64 v6, null, v6, v4, vcc_lo
.LBB2842_99:
	s_or_b32 exec_lo, exec_lo, s6
	v_mov_b32_e32 v12, 0
	s_branch .LBB2842_102
.LBB2842_100:                           ;   in Loop: Header=BB2842_102 Depth=1
	s_or_b32 exec_lo, exec_lo, s6
	v_add_co_u32 v5, vcc_lo, v5, v3
	v_subrev_nc_u32_e32 v11, 32, v11
	s_wait_alu 0xfffd
	v_add_co_ci_u32_e64 v6, null, v6, v4, vcc_lo
	s_mov_b32 s6, 0
.LBB2842_101:                           ;   in Loop: Header=BB2842_102 Depth=1
	s_delay_alu instid0(SALU_CYCLE_1)
	s_and_b32 vcc_lo, exec_lo, s6
	s_wait_alu 0xfffe
	s_cbranch_vccnz .LBB2842_118
.LBB2842_102:                           ; =>This Loop Header: Depth=1
                                        ;     Child Loop BB2842_105 Depth 2
	v_and_b32_e32 v3, 0xff, v7
	s_mov_b32 s6, -1
	s_delay_alu instid0(VALU_DEP_1)
	v_cmp_ne_u16_e32 vcc_lo, 2, v3
	s_wait_dscnt 0x0
	v_dual_mov_b32 v3, v5 :: v_dual_mov_b32 v4, v6
                                        ; implicit-def: $vgpr5_vgpr6
	s_cmp_lg_u32 vcc_lo, exec_lo
	s_cbranch_scc1 .LBB2842_101
; %bb.103:                              ;   in Loop: Header=BB2842_102 Depth=1
	v_lshlrev_b64_e32 v[5:6], 4, v[11:12]
	s_mov_b32 s6, exec_lo
	s_delay_alu instid0(VALU_DEP_1) | instskip(SKIP_1) | instid1(VALU_DEP_2)
	v_add_co_u32 v13, vcc_lo, s12, v5
	s_wait_alu 0xfffd
	v_add_co_ci_u32_e64 v14, null, s13, v6, vcc_lo
	;;#ASMSTART
	global_load_b128 v[5:8], v[13:14] off scope:SCOPE_DEV	
s_wait_loadcnt 0x0
	;;#ASMEND
	v_and_b32_e32 v8, 0xff, v7
	s_delay_alu instid0(VALU_DEP_1)
	v_cmpx_eq_u16_e32 0, v8
	s_cbranch_execz .LBB2842_107
; %bb.104:                              ;   in Loop: Header=BB2842_102 Depth=1
	s_mov_b32 s7, 0
.LBB2842_105:                           ;   Parent Loop BB2842_102 Depth=1
                                        ; =>  This Inner Loop Header: Depth=2
	;;#ASMSTART
	global_load_b128 v[5:8], v[13:14] off scope:SCOPE_DEV	
s_wait_loadcnt 0x0
	;;#ASMEND
	v_and_b32_e32 v8, 0xff, v7
	s_delay_alu instid0(VALU_DEP_1) | instskip(SKIP_1) | instid1(SALU_CYCLE_1)
	v_cmp_ne_u16_e32 vcc_lo, 0, v8
	s_or_b32 s7, vcc_lo, s7
	s_and_not1_b32 exec_lo, exec_lo, s7
	s_cbranch_execnz .LBB2842_105
; %bb.106:                              ;   in Loop: Header=BB2842_102 Depth=1
	s_or_b32 exec_lo, exec_lo, s7
.LBB2842_107:                           ;   in Loop: Header=BB2842_102 Depth=1
	s_delay_alu instid0(SALU_CYCLE_1)
	s_or_b32 exec_lo, exec_lo, s6
	v_dual_mov_b32 v13, v5 :: v_dual_and_b32 v8, 0xff, v7
	ds_bpermute_b32 v26, v16, v5
	ds_bpermute_b32 v14, v16, v6
	s_mov_b32 s6, exec_lo
	v_cmp_eq_u16_e32 vcc_lo, 2, v8
	s_wait_alu 0xfffd
	v_and_or_b32 v8, vcc_lo, v17, 0x80000000
	s_delay_alu instid0(VALU_DEP_1) | instskip(NEXT) | instid1(VALU_DEP_1)
	v_ctz_i32_b32_e32 v8, v8
	v_cmpx_lt_u32_e64 v63, v8
	s_cbranch_execz .LBB2842_109
; %bb.108:                              ;   in Loop: Header=BB2842_102 Depth=1
	s_wait_dscnt 0x1
	v_add_co_u32 v13, vcc_lo, v5, v26
	s_wait_alu 0xfffd
	v_add_co_ci_u32_e64 v6, null, 0, v6, vcc_lo
	s_delay_alu instid0(VALU_DEP_2) | instskip(SKIP_2) | instid1(VALU_DEP_2)
	v_add_co_u32 v5, vcc_lo, 0, v13
	s_wait_dscnt 0x0
	s_wait_alu 0xfffd
	v_add_co_ci_u32_e64 v6, null, v14, v6, vcc_lo
.LBB2842_109:                           ;   in Loop: Header=BB2842_102 Depth=1
	s_or_b32 exec_lo, exec_lo, s6
	s_wait_dscnt 0x1
	ds_bpermute_b32 v26, v18, v13
	s_wait_dscnt 0x1
	ds_bpermute_b32 v14, v18, v6
	s_mov_b32 s6, exec_lo
	v_cmpx_le_u32_e64 v19, v8
	s_cbranch_execz .LBB2842_111
; %bb.110:                              ;   in Loop: Header=BB2842_102 Depth=1
	s_wait_dscnt 0x1
	v_add_co_u32 v13, vcc_lo, v5, v26
	s_wait_alu 0xfffd
	v_add_co_ci_u32_e64 v6, null, 0, v6, vcc_lo
	s_delay_alu instid0(VALU_DEP_2) | instskip(SKIP_2) | instid1(VALU_DEP_2)
	v_add_co_u32 v5, vcc_lo, 0, v13
	s_wait_dscnt 0x0
	s_wait_alu 0xfffd
	v_add_co_ci_u32_e64 v6, null, v14, v6, vcc_lo
.LBB2842_111:                           ;   in Loop: Header=BB2842_102 Depth=1
	s_or_b32 exec_lo, exec_lo, s6
	s_wait_dscnt 0x1
	ds_bpermute_b32 v26, v20, v13
	s_wait_dscnt 0x1
	ds_bpermute_b32 v14, v20, v6
	s_mov_b32 s6, exec_lo
	v_cmpx_le_u32_e64 v21, v8
	;; [unrolled: 19-line block ×3, first 2 shown]
	s_cbranch_execz .LBB2842_115
; %bb.114:                              ;   in Loop: Header=BB2842_102 Depth=1
	s_wait_dscnt 0x1
	v_add_co_u32 v13, vcc_lo, v5, v26
	s_wait_alu 0xfffd
	v_add_co_ci_u32_e64 v6, null, 0, v6, vcc_lo
	s_delay_alu instid0(VALU_DEP_2) | instskip(SKIP_2) | instid1(VALU_DEP_2)
	v_add_co_u32 v5, vcc_lo, 0, v13
	s_wait_dscnt 0x0
	s_wait_alu 0xfffd
	v_add_co_ci_u32_e64 v6, null, v14, v6, vcc_lo
.LBB2842_115:                           ;   in Loop: Header=BB2842_102 Depth=1
	s_or_b32 exec_lo, exec_lo, s6
	s_wait_dscnt 0x0
	ds_bpermute_b32 v14, v24, v13
	ds_bpermute_b32 v13, v24, v6
	s_mov_b32 s6, exec_lo
	v_cmpx_le_u32_e64 v25, v8
	s_cbranch_execz .LBB2842_100
; %bb.116:                              ;   in Loop: Header=BB2842_102 Depth=1
	s_wait_dscnt 0x1
	v_add_co_u32 v5, vcc_lo, v5, v14
	s_wait_alu 0xfffd
	v_add_co_ci_u32_e64 v6, null, 0, v6, vcc_lo
	s_delay_alu instid0(VALU_DEP_2) | instskip(SKIP_2) | instid1(VALU_DEP_2)
	v_add_co_u32 v5, vcc_lo, v5, 0
	s_wait_dscnt 0x0
	s_wait_alu 0xfffd
	v_add_co_ci_u32_e64 v6, null, v6, v13, vcc_lo
	s_branch .LBB2842_100
.LBB2842_117:
                                        ; implicit-def: $vgpr39_vgpr40
                                        ; implicit-def: $vgpr1_vgpr2_vgpr3_vgpr4_vgpr5_vgpr6_vgpr7_vgpr8_vgpr9_vgpr10_vgpr11_vgpr12_vgpr13_vgpr14_vgpr15_vgpr16_vgpr17_vgpr18_vgpr19_vgpr20_vgpr21_vgpr22_vgpr23_vgpr24_vgpr25_vgpr26_vgpr27_vgpr28_vgpr29_vgpr30_vgpr31_vgpr32
	s_and_b32 vcc_lo, exec_lo, s1
	s_wait_alu 0xfffe
	s_cbranch_vccnz .LBB2842_123
	s_branch .LBB2842_148
.LBB2842_118:
	s_and_saveexec_b32 s6, s1
	s_cbranch_execz .LBB2842_120
; %bb.119:
	s_add_co_i32 s8, s18, 32
	s_mov_b32 s9, 0
	v_add_co_u32 v5, vcc_lo, v3, v1
	s_wait_alu 0xfffe
	s_lshl_b64 s[8:9], s[8:9], 4
	v_dual_mov_b32 v7, 2 :: v_dual_mov_b32 v8, 0
	s_wait_alu 0xfffe
	s_add_nc_u64 s[8:9], s[12:13], s[8:9]
	s_wait_alu 0xfffd
	v_add_co_ci_u32_e64 v6, null, v4, v2, vcc_lo
	s_wait_alu 0xfffe
	v_dual_mov_b32 v12, s9 :: v_dual_mov_b32 v11, s8
	;;#ASMSTART
	global_store_b128 v[11:12], v[5:8] off scope:SCOPE_DEV	
s_wait_storecnt 0x0
	;;#ASMEND
	ds_store_b128 v8, v[1:4] offset:6144
.LBB2842_120:
	s_or_b32 exec_lo, exec_lo, s6
	s_delay_alu instid0(SALU_CYCLE_1)
	s_and_b32 exec_lo, exec_lo, s2
; %bb.121:
	v_mov_b32_e32 v1, 0
	ds_store_b64 v1, v[3:4] offset:56
.LBB2842_122:
	s_wait_alu 0xfffe
	s_or_b32 exec_lo, exec_lo, s3
	v_mov_b32_e32 v4, 0
	s_wait_loadcnt_dscnt 0x0
	s_barrier_signal -1
	s_barrier_wait -1
	global_inv scope:SCOPE_SE
	ds_load_b64 v[1:2], v4 offset:56
	v_cndmask_b32_e64 v3, v15, v9, s1
	v_cndmask_b32_e64 v5, 0, v10, s1
	s_wait_loadcnt_dscnt 0x0
	s_barrier_signal -1
	s_barrier_wait -1
	v_cndmask_b32_e64 v3, v3, 0, s2
	v_cndmask_b32_e64 v5, v5, 0, s2
	global_inv scope:SCOPE_SE
	ds_load_b128 v[37:40], v4 offset:6144
	v_add_co_u32 v1, vcc_lo, v1, v3
	s_wait_alu 0xfffd
	v_add_co_ci_u32_e64 v2, null, v2, v5, vcc_lo
	s_delay_alu instid0(VALU_DEP_2) | instskip(SKIP_1) | instid1(VALU_DEP_2)
	v_add_co_u32 v3, vcc_lo, v1, v55
	s_wait_alu 0xfffd
	v_add_co_ci_u32_e64 v2, null, 0, v2, vcc_lo
	s_delay_alu instid0(VALU_DEP_2) | instskip(SKIP_1) | instid1(VALU_DEP_2)
	;; [unrolled: 4-line block ×11, first 2 shown]
	v_add_co_u32 v23, vcc_lo, v21, v57
	s_wait_alu 0xfffd
	v_add_co_ci_u32_e64 v2, null, 0, v2, vcc_lo
	s_branch .LBB2842_148
.LBB2842_123:
	v_dual_mov_b32 v2, 0 :: v_dual_mov_b32 v3, v47
	v_mov_b32_dpp v4, v47 row_shr:1 row_mask:0xf bank_mask:0xf
	s_delay_alu instid0(VALU_DEP_2)
	v_mov_b32_dpp v1, v2 row_shr:1 row_mask:0xf bank_mask:0xf
	s_and_saveexec_b32 s1, s0
; %bb.124:
	s_delay_alu instid0(VALU_DEP_2) | instskip(SKIP_2) | instid1(VALU_DEP_2)
	v_add_co_u32 v3, vcc_lo, v47, v4
	s_wait_alu 0xfffd
	v_add_co_ci_u32_e64 v2, null, 0, v48, vcc_lo
	v_add_co_u32 v47, vcc_lo, 0, v3
	s_wait_alu 0xfffd
	s_delay_alu instid0(VALU_DEP_2) | instskip(NEXT) | instid1(VALU_DEP_1)
	v_add_co_ci_u32_e64 v48, null, v1, v2, vcc_lo
	v_mov_b32_e32 v2, v48
; %bb.125:
	s_wait_alu 0xfffe
	s_or_b32 exec_lo, exec_lo, s1
	v_mov_b32_dpp v1, v3 row_shr:2 row_mask:0xf bank_mask:0xf
	s_delay_alu instid0(VALU_DEP_2)
	v_mov_b32_dpp v4, v2 row_shr:2 row_mask:0xf bank_mask:0xf
	s_mov_b32 s0, exec_lo
	v_cmpx_lt_u32_e32 1, v64
; %bb.126:
	s_delay_alu instid0(VALU_DEP_3) | instskip(SKIP_2) | instid1(VALU_DEP_2)
	v_add_co_u32 v3, vcc_lo, v47, v1
	s_wait_alu 0xfffd
	v_add_co_ci_u32_e64 v2, null, 0, v48, vcc_lo
	v_add_co_u32 v1, vcc_lo, 0, v3
	s_wait_alu 0xfffd
	s_delay_alu instid0(VALU_DEP_2) | instskip(NEXT) | instid1(VALU_DEP_1)
	v_add_co_ci_u32_e64 v2, null, v4, v2, vcc_lo
	v_dual_mov_b32 v48, v2 :: v_dual_mov_b32 v47, v1
; %bb.127:
	s_wait_alu 0xfffe
	s_or_b32 exec_lo, exec_lo, s0
	v_mov_b32_dpp v1, v3 row_shr:4 row_mask:0xf bank_mask:0xf
	v_mov_b32_dpp v4, v2 row_shr:4 row_mask:0xf bank_mask:0xf
	s_mov_b32 s0, exec_lo
	v_cmpx_lt_u32_e32 3, v64
; %bb.128:
	s_delay_alu instid0(VALU_DEP_3) | instskip(SKIP_2) | instid1(VALU_DEP_2)
	v_add_co_u32 v3, vcc_lo, v47, v1
	s_wait_alu 0xfffd
	v_add_co_ci_u32_e64 v2, null, 0, v48, vcc_lo
	v_add_co_u32 v1, vcc_lo, 0, v3
	s_wait_alu 0xfffd
	s_delay_alu instid0(VALU_DEP_2) | instskip(NEXT) | instid1(VALU_DEP_1)
	v_add_co_ci_u32_e64 v2, null, v4, v2, vcc_lo
	v_dual_mov_b32 v48, v2 :: v_dual_mov_b32 v47, v1
; %bb.129:
	s_wait_alu 0xfffe
	s_or_b32 exec_lo, exec_lo, s0
	v_mov_b32_dpp v4, v3 row_shr:8 row_mask:0xf bank_mask:0xf
	v_mov_b32_dpp v1, v2 row_shr:8 row_mask:0xf bank_mask:0xf
	s_mov_b32 s0, exec_lo
	v_cmpx_lt_u32_e32 7, v64
; %bb.130:
	s_delay_alu instid0(VALU_DEP_3) | instskip(SKIP_2) | instid1(VALU_DEP_2)
	v_add_co_u32 v3, vcc_lo, v47, v4
	s_wait_alu 0xfffd
	v_add_co_ci_u32_e64 v2, null, 0, v48, vcc_lo
	v_add_co_u32 v47, vcc_lo, 0, v3
	s_wait_alu 0xfffd
	s_delay_alu instid0(VALU_DEP_2) | instskip(NEXT) | instid1(VALU_DEP_1)
	v_add_co_ci_u32_e64 v48, null, v1, v2, vcc_lo
	v_mov_b32_e32 v2, v48
; %bb.131:
	s_wait_alu 0xfffe
	s_or_b32 exec_lo, exec_lo, s0
	ds_swizzle_b32 v3, v3 offset:swizzle(BROADCAST,32,15)
	ds_swizzle_b32 v1, v2 offset:swizzle(BROADCAST,32,15)
	v_and_b32_e32 v2, 16, v63
	s_mov_b32 s0, exec_lo
	s_delay_alu instid0(VALU_DEP_1)
	v_cmpx_ne_u32_e32 0, v2
	s_cbranch_execz .LBB2842_133
; %bb.132:
	s_wait_dscnt 0x1
	v_add_co_u32 v2, vcc_lo, v47, v3
	s_wait_alu 0xfffd
	v_add_co_ci_u32_e64 v3, null, 0, v48, vcc_lo
	s_delay_alu instid0(VALU_DEP_2) | instskip(SKIP_2) | instid1(VALU_DEP_2)
	v_add_co_u32 v47, vcc_lo, v2, 0
	s_wait_dscnt 0x0
	s_wait_alu 0xfffd
	v_add_co_ci_u32_e64 v48, null, v3, v1, vcc_lo
.LBB2842_133:
	s_wait_alu 0xfffe
	s_or_b32 exec_lo, exec_lo, s0
	s_wait_dscnt 0x0
	v_or_b32_e32 v1, 31, v0
	v_lshrrev_b32_e32 v3, 5, v0
	s_mov_b32 s0, exec_lo
	s_delay_alu instid0(VALU_DEP_2)
	v_cmpx_eq_u32_e64 v0, v1
; %bb.134:
	s_delay_alu instid0(VALU_DEP_2)
	v_lshlrev_b32_e32 v1, 3, v3
	ds_store_b64 v1, v[47:48]
; %bb.135:
	s_wait_alu 0xfffe
	s_or_b32 exec_lo, exec_lo, s0
	s_delay_alu instid0(SALU_CYCLE_1)
	s_mov_b32 s0, exec_lo
	s_wait_loadcnt_dscnt 0x0
	s_barrier_signal -1
	s_barrier_wait -1
	global_inv scope:SCOPE_SE
	v_cmpx_gt_u32_e32 8, v0
	s_cbranch_execz .LBB2842_143
; %bb.136:
	v_lshlrev_b32_e32 v4, 2, v0
	s_mov_b32 s1, exec_lo
	s_delay_alu instid0(VALU_DEP_1)
	v_sub_nc_u32_e32 v1, v49, v4
	ds_load_b64 v[1:2], v1
	s_wait_dscnt 0x0
	v_dual_mov_b32 v6, v1 :: v_dual_and_b32 v5, 7, v63
	v_mov_b32_dpp v8, v1 row_shr:1 row_mask:0xf bank_mask:0xf
	v_mov_b32_dpp v7, v2 row_shr:1 row_mask:0xf bank_mask:0xf
	s_delay_alu instid0(VALU_DEP_3)
	v_cmpx_ne_u32_e32 0, v5
; %bb.137:
	s_delay_alu instid0(VALU_DEP_3) | instskip(SKIP_2) | instid1(VALU_DEP_2)
	v_add_co_u32 v6, vcc_lo, v1, v8
	s_wait_alu 0xfffd
	v_add_co_ci_u32_e64 v2, null, 0, v2, vcc_lo
	v_add_co_u32 v1, vcc_lo, 0, v6
	s_wait_alu 0xfffd
	s_delay_alu instid0(VALU_DEP_2)
	v_add_co_ci_u32_e64 v2, null, v7, v2, vcc_lo
; %bb.138:
	s_wait_alu 0xfffe
	s_or_b32 exec_lo, exec_lo, s1
	v_mov_b32_dpp v8, v6 row_shr:2 row_mask:0xf bank_mask:0xf
	s_delay_alu instid0(VALU_DEP_2)
	v_mov_b32_dpp v7, v2 row_shr:2 row_mask:0xf bank_mask:0xf
	s_mov_b32 s1, exec_lo
	v_cmpx_lt_u32_e32 1, v5
; %bb.139:
	s_delay_alu instid0(VALU_DEP_3) | instskip(SKIP_2) | instid1(VALU_DEP_2)
	v_add_co_u32 v6, vcc_lo, v1, v8
	s_wait_alu 0xfffd
	v_add_co_ci_u32_e64 v2, null, 0, v2, vcc_lo
	v_add_co_u32 v1, vcc_lo, 0, v6
	s_wait_alu 0xfffd
	s_delay_alu instid0(VALU_DEP_2)
	v_add_co_ci_u32_e64 v2, null, v7, v2, vcc_lo
; %bb.140:
	s_wait_alu 0xfffe
	s_or_b32 exec_lo, exec_lo, s1
	v_sub_nc_u32_e32 v4, 0, v4
	v_mov_b32_dpp v7, v6 row_shr:4 row_mask:0xf bank_mask:0xf
	v_mov_b32_dpp v6, v2 row_shr:4 row_mask:0xf bank_mask:0xf
	s_mov_b32 s1, exec_lo
	v_cmpx_lt_u32_e32 3, v5
; %bb.141:
	s_delay_alu instid0(VALU_DEP_3) | instskip(SKIP_2) | instid1(VALU_DEP_2)
	v_add_co_u32 v1, vcc_lo, v1, v7
	s_wait_alu 0xfffd
	v_add_co_ci_u32_e64 v2, null, 0, v2, vcc_lo
	v_add_co_u32 v1, vcc_lo, v1, 0
	s_wait_alu 0xfffd
	s_delay_alu instid0(VALU_DEP_2)
	v_add_co_ci_u32_e64 v2, null, v2, v6, vcc_lo
; %bb.142:
	s_wait_alu 0xfffe
	s_or_b32 exec_lo, exec_lo, s1
	v_add_nc_u32_e32 v4, v49, v4
	ds_store_b64 v4, v[1:2]
.LBB2842_143:
	s_wait_alu 0xfffe
	s_or_b32 exec_lo, exec_lo, s0
	v_mov_b32_e32 v1, 0
	v_mov_b32_e32 v2, 0
	s_mov_b32 s0, exec_lo
	s_wait_loadcnt_dscnt 0x0
	s_barrier_signal -1
	s_barrier_wait -1
	global_inv scope:SCOPE_SE
	v_cmpx_lt_u32_e32 31, v0
; %bb.144:
	v_lshl_add_u32 v0, v3, 3, -8
	ds_load_b64 v[1:2], v0
; %bb.145:
	s_wait_alu 0xfffe
	s_or_b32 exec_lo, exec_lo, s0
	v_sub_co_u32 v0, vcc_lo, v63, 1
	s_wait_dscnt 0x0
	v_dual_mov_b32 v40, 0 :: v_dual_add_nc_u32 v3, v1, v47
	s_delay_alu instid0(VALU_DEP_2) | instskip(SKIP_3) | instid1(VALU_DEP_1)
	v_cmp_gt_i32_e64 s0, 0, v0
	ds_load_b64 v[37:38], v40 offset:56
	s_wait_alu 0xf1ff
	v_cndmask_b32_e64 v0, v0, v63, s0
	v_lshlrev_b32_e32 v0, 2, v0
	ds_bpermute_b32 v0, v0, v3
	s_and_saveexec_b32 s0, s2
	s_cbranch_execz .LBB2842_147
; %bb.146:
	s_add_nc_u64 s[6:7], s[12:13], 0x200
	v_mov_b32_e32 v39, 2
	v_dual_mov_b32 v3, s6 :: v_dual_mov_b32 v4, s7
	s_wait_dscnt 0x1
	;;#ASMSTART
	global_store_b128 v[3:4], v[37:40] off scope:SCOPE_DEV	
s_wait_storecnt 0x0
	;;#ASMEND
.LBB2842_147:
	s_wait_alu 0xfffe
	s_or_b32 exec_lo, exec_lo, s0
	s_wait_dscnt 0x0
	s_wait_alu 0xfffd
	v_dual_cndmask_b32 v0, v0, v1 :: v_dual_mov_b32 v39, 0
	v_cndmask_b32_e32 v2, 0, v2, vcc_lo
	v_mov_b32_e32 v40, 0
	s_wait_loadcnt 0x0
	s_delay_alu instid0(VALU_DEP_3)
	v_cndmask_b32_e64 v1, v0, 0, s2
	s_barrier_signal -1
	v_cndmask_b32_e64 v0, v2, 0, s2
	s_barrier_wait -1
	global_inv scope:SCOPE_SE
	v_add_co_u32 v3, vcc_lo, v1, v55
	s_wait_alu 0xfffd
	v_add_co_ci_u32_e64 v0, null, 0, v0, vcc_lo
	s_delay_alu instid0(VALU_DEP_2) | instskip(SKIP_1) | instid1(VALU_DEP_2)
	v_add_co_u32 v5, vcc_lo, v3, v56
	s_wait_alu 0xfffd
	v_add_co_ci_u32_e64 v0, null, 0, v0, vcc_lo
	s_delay_alu instid0(VALU_DEP_2) | instskip(SKIP_1) | instid1(VALU_DEP_2)
	;; [unrolled: 4-line block ×10, first 2 shown]
	v_add_co_u32 v23, vcc_lo, v21, v57
	s_wait_alu 0xfffd
	v_add_co_ci_u32_e64 v0, null, 0, v0, vcc_lo
.LBB2842_148:
	s_wait_dscnt 0x0
	v_cmp_gt_u64_e32 vcc_lo, 0x101, v[37:38]
	v_lshrrev_b32_e32 v10, 8, v45
	v_lshrrev_b32_e32 v8, 16, v45
	;; [unrolled: 1-line block ×6, first 2 shown]
	s_cbranch_vccz .LBB2842_151
; %bb.149:
	s_and_b32 s0, s2, s16
	s_wait_alu 0xfffe
	s_and_saveexec_b32 s1, s0
	s_cbranch_execnz .LBB2842_176
.LBB2842_150:
	s_endpgm
.LBB2842_151:
	v_and_b32_e32 v12, 1, v45
	s_mov_b32 s0, exec_lo
	s_delay_alu instid0(VALU_DEP_1)
	v_cmpx_eq_u32_e32 1, v12
; %bb.152:
	v_sub_nc_u32_e32 v1, v1, v39
	s_delay_alu instid0(VALU_DEP_1)
	v_lshlrev_b32_e32 v1, 1, v1
	ds_store_b16 v1, v33
; %bb.153:
	s_wait_alu 0xfffe
	s_or_b32 exec_lo, exec_lo, s0
	v_and_b32_e32 v1, 1, v10
	s_mov_b32 s0, exec_lo
	s_delay_alu instid0(VALU_DEP_1)
	v_cmpx_eq_u32_e32 1, v1
; %bb.154:
	v_sub_nc_u32_e32 v1, v3, v39
	s_delay_alu instid0(VALU_DEP_1)
	v_lshlrev_b32_e32 v1, 1, v1
	ds_store_b16_d16_hi v1, v33
; %bb.155:
	s_wait_alu 0xfffe
	s_or_b32 exec_lo, exec_lo, s0
	v_and_b32_e32 v1, 1, v8
	s_mov_b32 s0, exec_lo
	s_delay_alu instid0(VALU_DEP_1)
	v_cmpx_eq_u32_e32 1, v1
; %bb.156:
	v_sub_nc_u32_e32 v1, v5, v39
	s_delay_alu instid0(VALU_DEP_1)
	v_lshlrev_b32_e32 v1, 1, v1
	ds_store_b16 v1, v34
; %bb.157:
	s_wait_alu 0xfffe
	s_or_b32 exec_lo, exec_lo, s0
	v_and_b32_e32 v1, 1, v53
	s_mov_b32 s0, exec_lo
	s_delay_alu instid0(VALU_DEP_1)
	v_cmpx_eq_u32_e32 1, v1
; %bb.158:
	v_sub_nc_u32_e32 v1, v7, v39
	s_delay_alu instid0(VALU_DEP_1)
	v_lshlrev_b32_e32 v1, 1, v1
	ds_store_b16_d16_hi v1, v34
; %bb.159:
	s_wait_alu 0xfffe
	s_or_b32 exec_lo, exec_lo, s0
	;; [unrolled: 24-line block ×6, first 2 shown]
	s_wait_loadcnt_dscnt 0x0
	s_barrier_signal -1
	s_barrier_wait -1
	global_inv scope:SCOPE_SE
	s_and_b32 s0, s2, s16
	s_wait_alu 0xfffe
	s_and_saveexec_b32 s1, s0
	s_cbranch_execz .LBB2842_150
.LBB2842_176:
	v_add_co_u32 v0, vcc_lo, v37, v41
	s_wait_alu 0xfffd
	v_add_co_ci_u32_e64 v1, null, v38, v42, vcc_lo
	v_mov_b32_e32 v2, 0
	s_delay_alu instid0(VALU_DEP_3) | instskip(SKIP_1) | instid1(VALU_DEP_3)
	v_add_co_u32 v0, vcc_lo, v0, v39
	s_wait_alu 0xfffd
	v_add_co_ci_u32_e64 v1, null, v1, v40, vcc_lo
	global_store_b64 v2, v[0:1], s[4:5]
	s_endpgm
	.section	.rodata,"a",@progbits
	.p2align	6, 0x0
	.amdhsa_kernel _ZN7rocprim17ROCPRIM_400000_NS6detail17trampoline_kernelINS0_14default_configENS1_25partition_config_selectorILNS1_17partition_subalgoE5EsNS0_10empty_typeEbEEZZNS1_14partition_implILS5_5ELb0ES3_mN6thrust23THRUST_200600_302600_NS6detail15normal_iteratorINSA_10device_ptrIsEEEEPS6_NSA_18transform_iteratorINSB_9not_fun_tI7is_trueIsEEENSC_INSD_IbEEEENSA_11use_defaultESO_EENS0_5tupleIJNSA_16discard_iteratorISO_EES6_EEENSQ_IJSG_SG_EEES6_PlJS6_EEE10hipError_tPvRmT3_T4_T5_T6_T7_T9_mT8_P12ihipStream_tbDpT10_ENKUlT_T0_E_clISt17integral_constantIbLb0EES1E_IbLb1EEEEDaS1A_S1B_EUlS1A_E_NS1_11comp_targetILNS1_3genE10ELNS1_11target_archE1200ELNS1_3gpuE4ELNS1_3repE0EEENS1_30default_config_static_selectorELNS0_4arch9wavefront6targetE0EEEvT1_
		.amdhsa_group_segment_fixed_size 6160
		.amdhsa_private_segment_fixed_size 0
		.amdhsa_kernarg_size 144
		.amdhsa_user_sgpr_count 2
		.amdhsa_user_sgpr_dispatch_ptr 0
		.amdhsa_user_sgpr_queue_ptr 0
		.amdhsa_user_sgpr_kernarg_segment_ptr 1
		.amdhsa_user_sgpr_dispatch_id 0
		.amdhsa_user_sgpr_private_segment_size 0
		.amdhsa_wavefront_size32 1
		.amdhsa_uses_dynamic_stack 0
		.amdhsa_enable_private_segment 0
		.amdhsa_system_sgpr_workgroup_id_x 1
		.amdhsa_system_sgpr_workgroup_id_y 0
		.amdhsa_system_sgpr_workgroup_id_z 0
		.amdhsa_system_sgpr_workgroup_info 0
		.amdhsa_system_vgpr_workitem_id 0
		.amdhsa_next_free_vgpr 65
		.amdhsa_next_free_sgpr 22
		.amdhsa_reserve_vcc 1
		.amdhsa_float_round_mode_32 0
		.amdhsa_float_round_mode_16_64 0
		.amdhsa_float_denorm_mode_32 3
		.amdhsa_float_denorm_mode_16_64 3
		.amdhsa_fp16_overflow 0
		.amdhsa_workgroup_processor_mode 1
		.amdhsa_memory_ordered 1
		.amdhsa_forward_progress 1
		.amdhsa_inst_pref_size 70
		.amdhsa_round_robin_scheduling 0
		.amdhsa_exception_fp_ieee_invalid_op 0
		.amdhsa_exception_fp_denorm_src 0
		.amdhsa_exception_fp_ieee_div_zero 0
		.amdhsa_exception_fp_ieee_overflow 0
		.amdhsa_exception_fp_ieee_underflow 0
		.amdhsa_exception_fp_ieee_inexact 0
		.amdhsa_exception_int_div_zero 0
	.end_amdhsa_kernel
	.section	.text._ZN7rocprim17ROCPRIM_400000_NS6detail17trampoline_kernelINS0_14default_configENS1_25partition_config_selectorILNS1_17partition_subalgoE5EsNS0_10empty_typeEbEEZZNS1_14partition_implILS5_5ELb0ES3_mN6thrust23THRUST_200600_302600_NS6detail15normal_iteratorINSA_10device_ptrIsEEEEPS6_NSA_18transform_iteratorINSB_9not_fun_tI7is_trueIsEEENSC_INSD_IbEEEENSA_11use_defaultESO_EENS0_5tupleIJNSA_16discard_iteratorISO_EES6_EEENSQ_IJSG_SG_EEES6_PlJS6_EEE10hipError_tPvRmT3_T4_T5_T6_T7_T9_mT8_P12ihipStream_tbDpT10_ENKUlT_T0_E_clISt17integral_constantIbLb0EES1E_IbLb1EEEEDaS1A_S1B_EUlS1A_E_NS1_11comp_targetILNS1_3genE10ELNS1_11target_archE1200ELNS1_3gpuE4ELNS1_3repE0EEENS1_30default_config_static_selectorELNS0_4arch9wavefront6targetE0EEEvT1_,"axG",@progbits,_ZN7rocprim17ROCPRIM_400000_NS6detail17trampoline_kernelINS0_14default_configENS1_25partition_config_selectorILNS1_17partition_subalgoE5EsNS0_10empty_typeEbEEZZNS1_14partition_implILS5_5ELb0ES3_mN6thrust23THRUST_200600_302600_NS6detail15normal_iteratorINSA_10device_ptrIsEEEEPS6_NSA_18transform_iteratorINSB_9not_fun_tI7is_trueIsEEENSC_INSD_IbEEEENSA_11use_defaultESO_EENS0_5tupleIJNSA_16discard_iteratorISO_EES6_EEENSQ_IJSG_SG_EEES6_PlJS6_EEE10hipError_tPvRmT3_T4_T5_T6_T7_T9_mT8_P12ihipStream_tbDpT10_ENKUlT_T0_E_clISt17integral_constantIbLb0EES1E_IbLb1EEEEDaS1A_S1B_EUlS1A_E_NS1_11comp_targetILNS1_3genE10ELNS1_11target_archE1200ELNS1_3gpuE4ELNS1_3repE0EEENS1_30default_config_static_selectorELNS0_4arch9wavefront6targetE0EEEvT1_,comdat
.Lfunc_end2842:
	.size	_ZN7rocprim17ROCPRIM_400000_NS6detail17trampoline_kernelINS0_14default_configENS1_25partition_config_selectorILNS1_17partition_subalgoE5EsNS0_10empty_typeEbEEZZNS1_14partition_implILS5_5ELb0ES3_mN6thrust23THRUST_200600_302600_NS6detail15normal_iteratorINSA_10device_ptrIsEEEEPS6_NSA_18transform_iteratorINSB_9not_fun_tI7is_trueIsEEENSC_INSD_IbEEEENSA_11use_defaultESO_EENS0_5tupleIJNSA_16discard_iteratorISO_EES6_EEENSQ_IJSG_SG_EEES6_PlJS6_EEE10hipError_tPvRmT3_T4_T5_T6_T7_T9_mT8_P12ihipStream_tbDpT10_ENKUlT_T0_E_clISt17integral_constantIbLb0EES1E_IbLb1EEEEDaS1A_S1B_EUlS1A_E_NS1_11comp_targetILNS1_3genE10ELNS1_11target_archE1200ELNS1_3gpuE4ELNS1_3repE0EEENS1_30default_config_static_selectorELNS0_4arch9wavefront6targetE0EEEvT1_, .Lfunc_end2842-_ZN7rocprim17ROCPRIM_400000_NS6detail17trampoline_kernelINS0_14default_configENS1_25partition_config_selectorILNS1_17partition_subalgoE5EsNS0_10empty_typeEbEEZZNS1_14partition_implILS5_5ELb0ES3_mN6thrust23THRUST_200600_302600_NS6detail15normal_iteratorINSA_10device_ptrIsEEEEPS6_NSA_18transform_iteratorINSB_9not_fun_tI7is_trueIsEEENSC_INSD_IbEEEENSA_11use_defaultESO_EENS0_5tupleIJNSA_16discard_iteratorISO_EES6_EEENSQ_IJSG_SG_EEES6_PlJS6_EEE10hipError_tPvRmT3_T4_T5_T6_T7_T9_mT8_P12ihipStream_tbDpT10_ENKUlT_T0_E_clISt17integral_constantIbLb0EES1E_IbLb1EEEEDaS1A_S1B_EUlS1A_E_NS1_11comp_targetILNS1_3genE10ELNS1_11target_archE1200ELNS1_3gpuE4ELNS1_3repE0EEENS1_30default_config_static_selectorELNS0_4arch9wavefront6targetE0EEEvT1_
                                        ; -- End function
	.set _ZN7rocprim17ROCPRIM_400000_NS6detail17trampoline_kernelINS0_14default_configENS1_25partition_config_selectorILNS1_17partition_subalgoE5EsNS0_10empty_typeEbEEZZNS1_14partition_implILS5_5ELb0ES3_mN6thrust23THRUST_200600_302600_NS6detail15normal_iteratorINSA_10device_ptrIsEEEEPS6_NSA_18transform_iteratorINSB_9not_fun_tI7is_trueIsEEENSC_INSD_IbEEEENSA_11use_defaultESO_EENS0_5tupleIJNSA_16discard_iteratorISO_EES6_EEENSQ_IJSG_SG_EEES6_PlJS6_EEE10hipError_tPvRmT3_T4_T5_T6_T7_T9_mT8_P12ihipStream_tbDpT10_ENKUlT_T0_E_clISt17integral_constantIbLb0EES1E_IbLb1EEEEDaS1A_S1B_EUlS1A_E_NS1_11comp_targetILNS1_3genE10ELNS1_11target_archE1200ELNS1_3gpuE4ELNS1_3repE0EEENS1_30default_config_static_selectorELNS0_4arch9wavefront6targetE0EEEvT1_.num_vgpr, 65
	.set _ZN7rocprim17ROCPRIM_400000_NS6detail17trampoline_kernelINS0_14default_configENS1_25partition_config_selectorILNS1_17partition_subalgoE5EsNS0_10empty_typeEbEEZZNS1_14partition_implILS5_5ELb0ES3_mN6thrust23THRUST_200600_302600_NS6detail15normal_iteratorINSA_10device_ptrIsEEEEPS6_NSA_18transform_iteratorINSB_9not_fun_tI7is_trueIsEEENSC_INSD_IbEEEENSA_11use_defaultESO_EENS0_5tupleIJNSA_16discard_iteratorISO_EES6_EEENSQ_IJSG_SG_EEES6_PlJS6_EEE10hipError_tPvRmT3_T4_T5_T6_T7_T9_mT8_P12ihipStream_tbDpT10_ENKUlT_T0_E_clISt17integral_constantIbLb0EES1E_IbLb1EEEEDaS1A_S1B_EUlS1A_E_NS1_11comp_targetILNS1_3genE10ELNS1_11target_archE1200ELNS1_3gpuE4ELNS1_3repE0EEENS1_30default_config_static_selectorELNS0_4arch9wavefront6targetE0EEEvT1_.num_agpr, 0
	.set _ZN7rocprim17ROCPRIM_400000_NS6detail17trampoline_kernelINS0_14default_configENS1_25partition_config_selectorILNS1_17partition_subalgoE5EsNS0_10empty_typeEbEEZZNS1_14partition_implILS5_5ELb0ES3_mN6thrust23THRUST_200600_302600_NS6detail15normal_iteratorINSA_10device_ptrIsEEEEPS6_NSA_18transform_iteratorINSB_9not_fun_tI7is_trueIsEEENSC_INSD_IbEEEENSA_11use_defaultESO_EENS0_5tupleIJNSA_16discard_iteratorISO_EES6_EEENSQ_IJSG_SG_EEES6_PlJS6_EEE10hipError_tPvRmT3_T4_T5_T6_T7_T9_mT8_P12ihipStream_tbDpT10_ENKUlT_T0_E_clISt17integral_constantIbLb0EES1E_IbLb1EEEEDaS1A_S1B_EUlS1A_E_NS1_11comp_targetILNS1_3genE10ELNS1_11target_archE1200ELNS1_3gpuE4ELNS1_3repE0EEENS1_30default_config_static_selectorELNS0_4arch9wavefront6targetE0EEEvT1_.numbered_sgpr, 22
	.set _ZN7rocprim17ROCPRIM_400000_NS6detail17trampoline_kernelINS0_14default_configENS1_25partition_config_selectorILNS1_17partition_subalgoE5EsNS0_10empty_typeEbEEZZNS1_14partition_implILS5_5ELb0ES3_mN6thrust23THRUST_200600_302600_NS6detail15normal_iteratorINSA_10device_ptrIsEEEEPS6_NSA_18transform_iteratorINSB_9not_fun_tI7is_trueIsEEENSC_INSD_IbEEEENSA_11use_defaultESO_EENS0_5tupleIJNSA_16discard_iteratorISO_EES6_EEENSQ_IJSG_SG_EEES6_PlJS6_EEE10hipError_tPvRmT3_T4_T5_T6_T7_T9_mT8_P12ihipStream_tbDpT10_ENKUlT_T0_E_clISt17integral_constantIbLb0EES1E_IbLb1EEEEDaS1A_S1B_EUlS1A_E_NS1_11comp_targetILNS1_3genE10ELNS1_11target_archE1200ELNS1_3gpuE4ELNS1_3repE0EEENS1_30default_config_static_selectorELNS0_4arch9wavefront6targetE0EEEvT1_.num_named_barrier, 0
	.set _ZN7rocprim17ROCPRIM_400000_NS6detail17trampoline_kernelINS0_14default_configENS1_25partition_config_selectorILNS1_17partition_subalgoE5EsNS0_10empty_typeEbEEZZNS1_14partition_implILS5_5ELb0ES3_mN6thrust23THRUST_200600_302600_NS6detail15normal_iteratorINSA_10device_ptrIsEEEEPS6_NSA_18transform_iteratorINSB_9not_fun_tI7is_trueIsEEENSC_INSD_IbEEEENSA_11use_defaultESO_EENS0_5tupleIJNSA_16discard_iteratorISO_EES6_EEENSQ_IJSG_SG_EEES6_PlJS6_EEE10hipError_tPvRmT3_T4_T5_T6_T7_T9_mT8_P12ihipStream_tbDpT10_ENKUlT_T0_E_clISt17integral_constantIbLb0EES1E_IbLb1EEEEDaS1A_S1B_EUlS1A_E_NS1_11comp_targetILNS1_3genE10ELNS1_11target_archE1200ELNS1_3gpuE4ELNS1_3repE0EEENS1_30default_config_static_selectorELNS0_4arch9wavefront6targetE0EEEvT1_.private_seg_size, 0
	.set _ZN7rocprim17ROCPRIM_400000_NS6detail17trampoline_kernelINS0_14default_configENS1_25partition_config_selectorILNS1_17partition_subalgoE5EsNS0_10empty_typeEbEEZZNS1_14partition_implILS5_5ELb0ES3_mN6thrust23THRUST_200600_302600_NS6detail15normal_iteratorINSA_10device_ptrIsEEEEPS6_NSA_18transform_iteratorINSB_9not_fun_tI7is_trueIsEEENSC_INSD_IbEEEENSA_11use_defaultESO_EENS0_5tupleIJNSA_16discard_iteratorISO_EES6_EEENSQ_IJSG_SG_EEES6_PlJS6_EEE10hipError_tPvRmT3_T4_T5_T6_T7_T9_mT8_P12ihipStream_tbDpT10_ENKUlT_T0_E_clISt17integral_constantIbLb0EES1E_IbLb1EEEEDaS1A_S1B_EUlS1A_E_NS1_11comp_targetILNS1_3genE10ELNS1_11target_archE1200ELNS1_3gpuE4ELNS1_3repE0EEENS1_30default_config_static_selectorELNS0_4arch9wavefront6targetE0EEEvT1_.uses_vcc, 1
	.set _ZN7rocprim17ROCPRIM_400000_NS6detail17trampoline_kernelINS0_14default_configENS1_25partition_config_selectorILNS1_17partition_subalgoE5EsNS0_10empty_typeEbEEZZNS1_14partition_implILS5_5ELb0ES3_mN6thrust23THRUST_200600_302600_NS6detail15normal_iteratorINSA_10device_ptrIsEEEEPS6_NSA_18transform_iteratorINSB_9not_fun_tI7is_trueIsEEENSC_INSD_IbEEEENSA_11use_defaultESO_EENS0_5tupleIJNSA_16discard_iteratorISO_EES6_EEENSQ_IJSG_SG_EEES6_PlJS6_EEE10hipError_tPvRmT3_T4_T5_T6_T7_T9_mT8_P12ihipStream_tbDpT10_ENKUlT_T0_E_clISt17integral_constantIbLb0EES1E_IbLb1EEEEDaS1A_S1B_EUlS1A_E_NS1_11comp_targetILNS1_3genE10ELNS1_11target_archE1200ELNS1_3gpuE4ELNS1_3repE0EEENS1_30default_config_static_selectorELNS0_4arch9wavefront6targetE0EEEvT1_.uses_flat_scratch, 1
	.set _ZN7rocprim17ROCPRIM_400000_NS6detail17trampoline_kernelINS0_14default_configENS1_25partition_config_selectorILNS1_17partition_subalgoE5EsNS0_10empty_typeEbEEZZNS1_14partition_implILS5_5ELb0ES3_mN6thrust23THRUST_200600_302600_NS6detail15normal_iteratorINSA_10device_ptrIsEEEEPS6_NSA_18transform_iteratorINSB_9not_fun_tI7is_trueIsEEENSC_INSD_IbEEEENSA_11use_defaultESO_EENS0_5tupleIJNSA_16discard_iteratorISO_EES6_EEENSQ_IJSG_SG_EEES6_PlJS6_EEE10hipError_tPvRmT3_T4_T5_T6_T7_T9_mT8_P12ihipStream_tbDpT10_ENKUlT_T0_E_clISt17integral_constantIbLb0EES1E_IbLb1EEEEDaS1A_S1B_EUlS1A_E_NS1_11comp_targetILNS1_3genE10ELNS1_11target_archE1200ELNS1_3gpuE4ELNS1_3repE0EEENS1_30default_config_static_selectorELNS0_4arch9wavefront6targetE0EEEvT1_.has_dyn_sized_stack, 0
	.set _ZN7rocprim17ROCPRIM_400000_NS6detail17trampoline_kernelINS0_14default_configENS1_25partition_config_selectorILNS1_17partition_subalgoE5EsNS0_10empty_typeEbEEZZNS1_14partition_implILS5_5ELb0ES3_mN6thrust23THRUST_200600_302600_NS6detail15normal_iteratorINSA_10device_ptrIsEEEEPS6_NSA_18transform_iteratorINSB_9not_fun_tI7is_trueIsEEENSC_INSD_IbEEEENSA_11use_defaultESO_EENS0_5tupleIJNSA_16discard_iteratorISO_EES6_EEENSQ_IJSG_SG_EEES6_PlJS6_EEE10hipError_tPvRmT3_T4_T5_T6_T7_T9_mT8_P12ihipStream_tbDpT10_ENKUlT_T0_E_clISt17integral_constantIbLb0EES1E_IbLb1EEEEDaS1A_S1B_EUlS1A_E_NS1_11comp_targetILNS1_3genE10ELNS1_11target_archE1200ELNS1_3gpuE4ELNS1_3repE0EEENS1_30default_config_static_selectorELNS0_4arch9wavefront6targetE0EEEvT1_.has_recursion, 0
	.set _ZN7rocprim17ROCPRIM_400000_NS6detail17trampoline_kernelINS0_14default_configENS1_25partition_config_selectorILNS1_17partition_subalgoE5EsNS0_10empty_typeEbEEZZNS1_14partition_implILS5_5ELb0ES3_mN6thrust23THRUST_200600_302600_NS6detail15normal_iteratorINSA_10device_ptrIsEEEEPS6_NSA_18transform_iteratorINSB_9not_fun_tI7is_trueIsEEENSC_INSD_IbEEEENSA_11use_defaultESO_EENS0_5tupleIJNSA_16discard_iteratorISO_EES6_EEENSQ_IJSG_SG_EEES6_PlJS6_EEE10hipError_tPvRmT3_T4_T5_T6_T7_T9_mT8_P12ihipStream_tbDpT10_ENKUlT_T0_E_clISt17integral_constantIbLb0EES1E_IbLb1EEEEDaS1A_S1B_EUlS1A_E_NS1_11comp_targetILNS1_3genE10ELNS1_11target_archE1200ELNS1_3gpuE4ELNS1_3repE0EEENS1_30default_config_static_selectorELNS0_4arch9wavefront6targetE0EEEvT1_.has_indirect_call, 0
	.section	.AMDGPU.csdata,"",@progbits
; Kernel info:
; codeLenInByte = 8912
; TotalNumSgprs: 24
; NumVgprs: 65
; ScratchSize: 0
; MemoryBound: 0
; FloatMode: 240
; IeeeMode: 1
; LDSByteSize: 6160 bytes/workgroup (compile time only)
; SGPRBlocks: 0
; VGPRBlocks: 8
; NumSGPRsForWavesPerEU: 24
; NumVGPRsForWavesPerEU: 65
; Occupancy: 16
; WaveLimiterHint : 1
; COMPUTE_PGM_RSRC2:SCRATCH_EN: 0
; COMPUTE_PGM_RSRC2:USER_SGPR: 2
; COMPUTE_PGM_RSRC2:TRAP_HANDLER: 0
; COMPUTE_PGM_RSRC2:TGID_X_EN: 1
; COMPUTE_PGM_RSRC2:TGID_Y_EN: 0
; COMPUTE_PGM_RSRC2:TGID_Z_EN: 0
; COMPUTE_PGM_RSRC2:TIDIG_COMP_CNT: 0
	.section	.text._ZN7rocprim17ROCPRIM_400000_NS6detail17trampoline_kernelINS0_14default_configENS1_25partition_config_selectorILNS1_17partition_subalgoE5EsNS0_10empty_typeEbEEZZNS1_14partition_implILS5_5ELb0ES3_mN6thrust23THRUST_200600_302600_NS6detail15normal_iteratorINSA_10device_ptrIsEEEEPS6_NSA_18transform_iteratorINSB_9not_fun_tI7is_trueIsEEENSC_INSD_IbEEEENSA_11use_defaultESO_EENS0_5tupleIJNSA_16discard_iteratorISO_EES6_EEENSQ_IJSG_SG_EEES6_PlJS6_EEE10hipError_tPvRmT3_T4_T5_T6_T7_T9_mT8_P12ihipStream_tbDpT10_ENKUlT_T0_E_clISt17integral_constantIbLb0EES1E_IbLb1EEEEDaS1A_S1B_EUlS1A_E_NS1_11comp_targetILNS1_3genE9ELNS1_11target_archE1100ELNS1_3gpuE3ELNS1_3repE0EEENS1_30default_config_static_selectorELNS0_4arch9wavefront6targetE0EEEvT1_,"axG",@progbits,_ZN7rocprim17ROCPRIM_400000_NS6detail17trampoline_kernelINS0_14default_configENS1_25partition_config_selectorILNS1_17partition_subalgoE5EsNS0_10empty_typeEbEEZZNS1_14partition_implILS5_5ELb0ES3_mN6thrust23THRUST_200600_302600_NS6detail15normal_iteratorINSA_10device_ptrIsEEEEPS6_NSA_18transform_iteratorINSB_9not_fun_tI7is_trueIsEEENSC_INSD_IbEEEENSA_11use_defaultESO_EENS0_5tupleIJNSA_16discard_iteratorISO_EES6_EEENSQ_IJSG_SG_EEES6_PlJS6_EEE10hipError_tPvRmT3_T4_T5_T6_T7_T9_mT8_P12ihipStream_tbDpT10_ENKUlT_T0_E_clISt17integral_constantIbLb0EES1E_IbLb1EEEEDaS1A_S1B_EUlS1A_E_NS1_11comp_targetILNS1_3genE9ELNS1_11target_archE1100ELNS1_3gpuE3ELNS1_3repE0EEENS1_30default_config_static_selectorELNS0_4arch9wavefront6targetE0EEEvT1_,comdat
	.protected	_ZN7rocprim17ROCPRIM_400000_NS6detail17trampoline_kernelINS0_14default_configENS1_25partition_config_selectorILNS1_17partition_subalgoE5EsNS0_10empty_typeEbEEZZNS1_14partition_implILS5_5ELb0ES3_mN6thrust23THRUST_200600_302600_NS6detail15normal_iteratorINSA_10device_ptrIsEEEEPS6_NSA_18transform_iteratorINSB_9not_fun_tI7is_trueIsEEENSC_INSD_IbEEEENSA_11use_defaultESO_EENS0_5tupleIJNSA_16discard_iteratorISO_EES6_EEENSQ_IJSG_SG_EEES6_PlJS6_EEE10hipError_tPvRmT3_T4_T5_T6_T7_T9_mT8_P12ihipStream_tbDpT10_ENKUlT_T0_E_clISt17integral_constantIbLb0EES1E_IbLb1EEEEDaS1A_S1B_EUlS1A_E_NS1_11comp_targetILNS1_3genE9ELNS1_11target_archE1100ELNS1_3gpuE3ELNS1_3repE0EEENS1_30default_config_static_selectorELNS0_4arch9wavefront6targetE0EEEvT1_ ; -- Begin function _ZN7rocprim17ROCPRIM_400000_NS6detail17trampoline_kernelINS0_14default_configENS1_25partition_config_selectorILNS1_17partition_subalgoE5EsNS0_10empty_typeEbEEZZNS1_14partition_implILS5_5ELb0ES3_mN6thrust23THRUST_200600_302600_NS6detail15normal_iteratorINSA_10device_ptrIsEEEEPS6_NSA_18transform_iteratorINSB_9not_fun_tI7is_trueIsEEENSC_INSD_IbEEEENSA_11use_defaultESO_EENS0_5tupleIJNSA_16discard_iteratorISO_EES6_EEENSQ_IJSG_SG_EEES6_PlJS6_EEE10hipError_tPvRmT3_T4_T5_T6_T7_T9_mT8_P12ihipStream_tbDpT10_ENKUlT_T0_E_clISt17integral_constantIbLb0EES1E_IbLb1EEEEDaS1A_S1B_EUlS1A_E_NS1_11comp_targetILNS1_3genE9ELNS1_11target_archE1100ELNS1_3gpuE3ELNS1_3repE0EEENS1_30default_config_static_selectorELNS0_4arch9wavefront6targetE0EEEvT1_
	.globl	_ZN7rocprim17ROCPRIM_400000_NS6detail17trampoline_kernelINS0_14default_configENS1_25partition_config_selectorILNS1_17partition_subalgoE5EsNS0_10empty_typeEbEEZZNS1_14partition_implILS5_5ELb0ES3_mN6thrust23THRUST_200600_302600_NS6detail15normal_iteratorINSA_10device_ptrIsEEEEPS6_NSA_18transform_iteratorINSB_9not_fun_tI7is_trueIsEEENSC_INSD_IbEEEENSA_11use_defaultESO_EENS0_5tupleIJNSA_16discard_iteratorISO_EES6_EEENSQ_IJSG_SG_EEES6_PlJS6_EEE10hipError_tPvRmT3_T4_T5_T6_T7_T9_mT8_P12ihipStream_tbDpT10_ENKUlT_T0_E_clISt17integral_constantIbLb0EES1E_IbLb1EEEEDaS1A_S1B_EUlS1A_E_NS1_11comp_targetILNS1_3genE9ELNS1_11target_archE1100ELNS1_3gpuE3ELNS1_3repE0EEENS1_30default_config_static_selectorELNS0_4arch9wavefront6targetE0EEEvT1_
	.p2align	8
	.type	_ZN7rocprim17ROCPRIM_400000_NS6detail17trampoline_kernelINS0_14default_configENS1_25partition_config_selectorILNS1_17partition_subalgoE5EsNS0_10empty_typeEbEEZZNS1_14partition_implILS5_5ELb0ES3_mN6thrust23THRUST_200600_302600_NS6detail15normal_iteratorINSA_10device_ptrIsEEEEPS6_NSA_18transform_iteratorINSB_9not_fun_tI7is_trueIsEEENSC_INSD_IbEEEENSA_11use_defaultESO_EENS0_5tupleIJNSA_16discard_iteratorISO_EES6_EEENSQ_IJSG_SG_EEES6_PlJS6_EEE10hipError_tPvRmT3_T4_T5_T6_T7_T9_mT8_P12ihipStream_tbDpT10_ENKUlT_T0_E_clISt17integral_constantIbLb0EES1E_IbLb1EEEEDaS1A_S1B_EUlS1A_E_NS1_11comp_targetILNS1_3genE9ELNS1_11target_archE1100ELNS1_3gpuE3ELNS1_3repE0EEENS1_30default_config_static_selectorELNS0_4arch9wavefront6targetE0EEEvT1_,@function
_ZN7rocprim17ROCPRIM_400000_NS6detail17trampoline_kernelINS0_14default_configENS1_25partition_config_selectorILNS1_17partition_subalgoE5EsNS0_10empty_typeEbEEZZNS1_14partition_implILS5_5ELb0ES3_mN6thrust23THRUST_200600_302600_NS6detail15normal_iteratorINSA_10device_ptrIsEEEEPS6_NSA_18transform_iteratorINSB_9not_fun_tI7is_trueIsEEENSC_INSD_IbEEEENSA_11use_defaultESO_EENS0_5tupleIJNSA_16discard_iteratorISO_EES6_EEENSQ_IJSG_SG_EEES6_PlJS6_EEE10hipError_tPvRmT3_T4_T5_T6_T7_T9_mT8_P12ihipStream_tbDpT10_ENKUlT_T0_E_clISt17integral_constantIbLb0EES1E_IbLb1EEEEDaS1A_S1B_EUlS1A_E_NS1_11comp_targetILNS1_3genE9ELNS1_11target_archE1100ELNS1_3gpuE3ELNS1_3repE0EEENS1_30default_config_static_selectorELNS0_4arch9wavefront6targetE0EEEvT1_: ; @_ZN7rocprim17ROCPRIM_400000_NS6detail17trampoline_kernelINS0_14default_configENS1_25partition_config_selectorILNS1_17partition_subalgoE5EsNS0_10empty_typeEbEEZZNS1_14partition_implILS5_5ELb0ES3_mN6thrust23THRUST_200600_302600_NS6detail15normal_iteratorINSA_10device_ptrIsEEEEPS6_NSA_18transform_iteratorINSB_9not_fun_tI7is_trueIsEEENSC_INSD_IbEEEENSA_11use_defaultESO_EENS0_5tupleIJNSA_16discard_iteratorISO_EES6_EEENSQ_IJSG_SG_EEES6_PlJS6_EEE10hipError_tPvRmT3_T4_T5_T6_T7_T9_mT8_P12ihipStream_tbDpT10_ENKUlT_T0_E_clISt17integral_constantIbLb0EES1E_IbLb1EEEEDaS1A_S1B_EUlS1A_E_NS1_11comp_targetILNS1_3genE9ELNS1_11target_archE1100ELNS1_3gpuE3ELNS1_3repE0EEENS1_30default_config_static_selectorELNS0_4arch9wavefront6targetE0EEEvT1_
; %bb.0:
	.section	.rodata,"a",@progbits
	.p2align	6, 0x0
	.amdhsa_kernel _ZN7rocprim17ROCPRIM_400000_NS6detail17trampoline_kernelINS0_14default_configENS1_25partition_config_selectorILNS1_17partition_subalgoE5EsNS0_10empty_typeEbEEZZNS1_14partition_implILS5_5ELb0ES3_mN6thrust23THRUST_200600_302600_NS6detail15normal_iteratorINSA_10device_ptrIsEEEEPS6_NSA_18transform_iteratorINSB_9not_fun_tI7is_trueIsEEENSC_INSD_IbEEEENSA_11use_defaultESO_EENS0_5tupleIJNSA_16discard_iteratorISO_EES6_EEENSQ_IJSG_SG_EEES6_PlJS6_EEE10hipError_tPvRmT3_T4_T5_T6_T7_T9_mT8_P12ihipStream_tbDpT10_ENKUlT_T0_E_clISt17integral_constantIbLb0EES1E_IbLb1EEEEDaS1A_S1B_EUlS1A_E_NS1_11comp_targetILNS1_3genE9ELNS1_11target_archE1100ELNS1_3gpuE3ELNS1_3repE0EEENS1_30default_config_static_selectorELNS0_4arch9wavefront6targetE0EEEvT1_
		.amdhsa_group_segment_fixed_size 0
		.amdhsa_private_segment_fixed_size 0
		.amdhsa_kernarg_size 144
		.amdhsa_user_sgpr_count 2
		.amdhsa_user_sgpr_dispatch_ptr 0
		.amdhsa_user_sgpr_queue_ptr 0
		.amdhsa_user_sgpr_kernarg_segment_ptr 1
		.amdhsa_user_sgpr_dispatch_id 0
		.amdhsa_user_sgpr_private_segment_size 0
		.amdhsa_wavefront_size32 1
		.amdhsa_uses_dynamic_stack 0
		.amdhsa_enable_private_segment 0
		.amdhsa_system_sgpr_workgroup_id_x 1
		.amdhsa_system_sgpr_workgroup_id_y 0
		.amdhsa_system_sgpr_workgroup_id_z 0
		.amdhsa_system_sgpr_workgroup_info 0
		.amdhsa_system_vgpr_workitem_id 0
		.amdhsa_next_free_vgpr 1
		.amdhsa_next_free_sgpr 1
		.amdhsa_reserve_vcc 0
		.amdhsa_float_round_mode_32 0
		.amdhsa_float_round_mode_16_64 0
		.amdhsa_float_denorm_mode_32 3
		.amdhsa_float_denorm_mode_16_64 3
		.amdhsa_fp16_overflow 0
		.amdhsa_workgroup_processor_mode 1
		.amdhsa_memory_ordered 1
		.amdhsa_forward_progress 1
		.amdhsa_inst_pref_size 0
		.amdhsa_round_robin_scheduling 0
		.amdhsa_exception_fp_ieee_invalid_op 0
		.amdhsa_exception_fp_denorm_src 0
		.amdhsa_exception_fp_ieee_div_zero 0
		.amdhsa_exception_fp_ieee_overflow 0
		.amdhsa_exception_fp_ieee_underflow 0
		.amdhsa_exception_fp_ieee_inexact 0
		.amdhsa_exception_int_div_zero 0
	.end_amdhsa_kernel
	.section	.text._ZN7rocprim17ROCPRIM_400000_NS6detail17trampoline_kernelINS0_14default_configENS1_25partition_config_selectorILNS1_17partition_subalgoE5EsNS0_10empty_typeEbEEZZNS1_14partition_implILS5_5ELb0ES3_mN6thrust23THRUST_200600_302600_NS6detail15normal_iteratorINSA_10device_ptrIsEEEEPS6_NSA_18transform_iteratorINSB_9not_fun_tI7is_trueIsEEENSC_INSD_IbEEEENSA_11use_defaultESO_EENS0_5tupleIJNSA_16discard_iteratorISO_EES6_EEENSQ_IJSG_SG_EEES6_PlJS6_EEE10hipError_tPvRmT3_T4_T5_T6_T7_T9_mT8_P12ihipStream_tbDpT10_ENKUlT_T0_E_clISt17integral_constantIbLb0EES1E_IbLb1EEEEDaS1A_S1B_EUlS1A_E_NS1_11comp_targetILNS1_3genE9ELNS1_11target_archE1100ELNS1_3gpuE3ELNS1_3repE0EEENS1_30default_config_static_selectorELNS0_4arch9wavefront6targetE0EEEvT1_,"axG",@progbits,_ZN7rocprim17ROCPRIM_400000_NS6detail17trampoline_kernelINS0_14default_configENS1_25partition_config_selectorILNS1_17partition_subalgoE5EsNS0_10empty_typeEbEEZZNS1_14partition_implILS5_5ELb0ES3_mN6thrust23THRUST_200600_302600_NS6detail15normal_iteratorINSA_10device_ptrIsEEEEPS6_NSA_18transform_iteratorINSB_9not_fun_tI7is_trueIsEEENSC_INSD_IbEEEENSA_11use_defaultESO_EENS0_5tupleIJNSA_16discard_iteratorISO_EES6_EEENSQ_IJSG_SG_EEES6_PlJS6_EEE10hipError_tPvRmT3_T4_T5_T6_T7_T9_mT8_P12ihipStream_tbDpT10_ENKUlT_T0_E_clISt17integral_constantIbLb0EES1E_IbLb1EEEEDaS1A_S1B_EUlS1A_E_NS1_11comp_targetILNS1_3genE9ELNS1_11target_archE1100ELNS1_3gpuE3ELNS1_3repE0EEENS1_30default_config_static_selectorELNS0_4arch9wavefront6targetE0EEEvT1_,comdat
.Lfunc_end2843:
	.size	_ZN7rocprim17ROCPRIM_400000_NS6detail17trampoline_kernelINS0_14default_configENS1_25partition_config_selectorILNS1_17partition_subalgoE5EsNS0_10empty_typeEbEEZZNS1_14partition_implILS5_5ELb0ES3_mN6thrust23THRUST_200600_302600_NS6detail15normal_iteratorINSA_10device_ptrIsEEEEPS6_NSA_18transform_iteratorINSB_9not_fun_tI7is_trueIsEEENSC_INSD_IbEEEENSA_11use_defaultESO_EENS0_5tupleIJNSA_16discard_iteratorISO_EES6_EEENSQ_IJSG_SG_EEES6_PlJS6_EEE10hipError_tPvRmT3_T4_T5_T6_T7_T9_mT8_P12ihipStream_tbDpT10_ENKUlT_T0_E_clISt17integral_constantIbLb0EES1E_IbLb1EEEEDaS1A_S1B_EUlS1A_E_NS1_11comp_targetILNS1_3genE9ELNS1_11target_archE1100ELNS1_3gpuE3ELNS1_3repE0EEENS1_30default_config_static_selectorELNS0_4arch9wavefront6targetE0EEEvT1_, .Lfunc_end2843-_ZN7rocprim17ROCPRIM_400000_NS6detail17trampoline_kernelINS0_14default_configENS1_25partition_config_selectorILNS1_17partition_subalgoE5EsNS0_10empty_typeEbEEZZNS1_14partition_implILS5_5ELb0ES3_mN6thrust23THRUST_200600_302600_NS6detail15normal_iteratorINSA_10device_ptrIsEEEEPS6_NSA_18transform_iteratorINSB_9not_fun_tI7is_trueIsEEENSC_INSD_IbEEEENSA_11use_defaultESO_EENS0_5tupleIJNSA_16discard_iteratorISO_EES6_EEENSQ_IJSG_SG_EEES6_PlJS6_EEE10hipError_tPvRmT3_T4_T5_T6_T7_T9_mT8_P12ihipStream_tbDpT10_ENKUlT_T0_E_clISt17integral_constantIbLb0EES1E_IbLb1EEEEDaS1A_S1B_EUlS1A_E_NS1_11comp_targetILNS1_3genE9ELNS1_11target_archE1100ELNS1_3gpuE3ELNS1_3repE0EEENS1_30default_config_static_selectorELNS0_4arch9wavefront6targetE0EEEvT1_
                                        ; -- End function
	.set _ZN7rocprim17ROCPRIM_400000_NS6detail17trampoline_kernelINS0_14default_configENS1_25partition_config_selectorILNS1_17partition_subalgoE5EsNS0_10empty_typeEbEEZZNS1_14partition_implILS5_5ELb0ES3_mN6thrust23THRUST_200600_302600_NS6detail15normal_iteratorINSA_10device_ptrIsEEEEPS6_NSA_18transform_iteratorINSB_9not_fun_tI7is_trueIsEEENSC_INSD_IbEEEENSA_11use_defaultESO_EENS0_5tupleIJNSA_16discard_iteratorISO_EES6_EEENSQ_IJSG_SG_EEES6_PlJS6_EEE10hipError_tPvRmT3_T4_T5_T6_T7_T9_mT8_P12ihipStream_tbDpT10_ENKUlT_T0_E_clISt17integral_constantIbLb0EES1E_IbLb1EEEEDaS1A_S1B_EUlS1A_E_NS1_11comp_targetILNS1_3genE9ELNS1_11target_archE1100ELNS1_3gpuE3ELNS1_3repE0EEENS1_30default_config_static_selectorELNS0_4arch9wavefront6targetE0EEEvT1_.num_vgpr, 0
	.set _ZN7rocprim17ROCPRIM_400000_NS6detail17trampoline_kernelINS0_14default_configENS1_25partition_config_selectorILNS1_17partition_subalgoE5EsNS0_10empty_typeEbEEZZNS1_14partition_implILS5_5ELb0ES3_mN6thrust23THRUST_200600_302600_NS6detail15normal_iteratorINSA_10device_ptrIsEEEEPS6_NSA_18transform_iteratorINSB_9not_fun_tI7is_trueIsEEENSC_INSD_IbEEEENSA_11use_defaultESO_EENS0_5tupleIJNSA_16discard_iteratorISO_EES6_EEENSQ_IJSG_SG_EEES6_PlJS6_EEE10hipError_tPvRmT3_T4_T5_T6_T7_T9_mT8_P12ihipStream_tbDpT10_ENKUlT_T0_E_clISt17integral_constantIbLb0EES1E_IbLb1EEEEDaS1A_S1B_EUlS1A_E_NS1_11comp_targetILNS1_3genE9ELNS1_11target_archE1100ELNS1_3gpuE3ELNS1_3repE0EEENS1_30default_config_static_selectorELNS0_4arch9wavefront6targetE0EEEvT1_.num_agpr, 0
	.set _ZN7rocprim17ROCPRIM_400000_NS6detail17trampoline_kernelINS0_14default_configENS1_25partition_config_selectorILNS1_17partition_subalgoE5EsNS0_10empty_typeEbEEZZNS1_14partition_implILS5_5ELb0ES3_mN6thrust23THRUST_200600_302600_NS6detail15normal_iteratorINSA_10device_ptrIsEEEEPS6_NSA_18transform_iteratorINSB_9not_fun_tI7is_trueIsEEENSC_INSD_IbEEEENSA_11use_defaultESO_EENS0_5tupleIJNSA_16discard_iteratorISO_EES6_EEENSQ_IJSG_SG_EEES6_PlJS6_EEE10hipError_tPvRmT3_T4_T5_T6_T7_T9_mT8_P12ihipStream_tbDpT10_ENKUlT_T0_E_clISt17integral_constantIbLb0EES1E_IbLb1EEEEDaS1A_S1B_EUlS1A_E_NS1_11comp_targetILNS1_3genE9ELNS1_11target_archE1100ELNS1_3gpuE3ELNS1_3repE0EEENS1_30default_config_static_selectorELNS0_4arch9wavefront6targetE0EEEvT1_.numbered_sgpr, 0
	.set _ZN7rocprim17ROCPRIM_400000_NS6detail17trampoline_kernelINS0_14default_configENS1_25partition_config_selectorILNS1_17partition_subalgoE5EsNS0_10empty_typeEbEEZZNS1_14partition_implILS5_5ELb0ES3_mN6thrust23THRUST_200600_302600_NS6detail15normal_iteratorINSA_10device_ptrIsEEEEPS6_NSA_18transform_iteratorINSB_9not_fun_tI7is_trueIsEEENSC_INSD_IbEEEENSA_11use_defaultESO_EENS0_5tupleIJNSA_16discard_iteratorISO_EES6_EEENSQ_IJSG_SG_EEES6_PlJS6_EEE10hipError_tPvRmT3_T4_T5_T6_T7_T9_mT8_P12ihipStream_tbDpT10_ENKUlT_T0_E_clISt17integral_constantIbLb0EES1E_IbLb1EEEEDaS1A_S1B_EUlS1A_E_NS1_11comp_targetILNS1_3genE9ELNS1_11target_archE1100ELNS1_3gpuE3ELNS1_3repE0EEENS1_30default_config_static_selectorELNS0_4arch9wavefront6targetE0EEEvT1_.num_named_barrier, 0
	.set _ZN7rocprim17ROCPRIM_400000_NS6detail17trampoline_kernelINS0_14default_configENS1_25partition_config_selectorILNS1_17partition_subalgoE5EsNS0_10empty_typeEbEEZZNS1_14partition_implILS5_5ELb0ES3_mN6thrust23THRUST_200600_302600_NS6detail15normal_iteratorINSA_10device_ptrIsEEEEPS6_NSA_18transform_iteratorINSB_9not_fun_tI7is_trueIsEEENSC_INSD_IbEEEENSA_11use_defaultESO_EENS0_5tupleIJNSA_16discard_iteratorISO_EES6_EEENSQ_IJSG_SG_EEES6_PlJS6_EEE10hipError_tPvRmT3_T4_T5_T6_T7_T9_mT8_P12ihipStream_tbDpT10_ENKUlT_T0_E_clISt17integral_constantIbLb0EES1E_IbLb1EEEEDaS1A_S1B_EUlS1A_E_NS1_11comp_targetILNS1_3genE9ELNS1_11target_archE1100ELNS1_3gpuE3ELNS1_3repE0EEENS1_30default_config_static_selectorELNS0_4arch9wavefront6targetE0EEEvT1_.private_seg_size, 0
	.set _ZN7rocprim17ROCPRIM_400000_NS6detail17trampoline_kernelINS0_14default_configENS1_25partition_config_selectorILNS1_17partition_subalgoE5EsNS0_10empty_typeEbEEZZNS1_14partition_implILS5_5ELb0ES3_mN6thrust23THRUST_200600_302600_NS6detail15normal_iteratorINSA_10device_ptrIsEEEEPS6_NSA_18transform_iteratorINSB_9not_fun_tI7is_trueIsEEENSC_INSD_IbEEEENSA_11use_defaultESO_EENS0_5tupleIJNSA_16discard_iteratorISO_EES6_EEENSQ_IJSG_SG_EEES6_PlJS6_EEE10hipError_tPvRmT3_T4_T5_T6_T7_T9_mT8_P12ihipStream_tbDpT10_ENKUlT_T0_E_clISt17integral_constantIbLb0EES1E_IbLb1EEEEDaS1A_S1B_EUlS1A_E_NS1_11comp_targetILNS1_3genE9ELNS1_11target_archE1100ELNS1_3gpuE3ELNS1_3repE0EEENS1_30default_config_static_selectorELNS0_4arch9wavefront6targetE0EEEvT1_.uses_vcc, 0
	.set _ZN7rocprim17ROCPRIM_400000_NS6detail17trampoline_kernelINS0_14default_configENS1_25partition_config_selectorILNS1_17partition_subalgoE5EsNS0_10empty_typeEbEEZZNS1_14partition_implILS5_5ELb0ES3_mN6thrust23THRUST_200600_302600_NS6detail15normal_iteratorINSA_10device_ptrIsEEEEPS6_NSA_18transform_iteratorINSB_9not_fun_tI7is_trueIsEEENSC_INSD_IbEEEENSA_11use_defaultESO_EENS0_5tupleIJNSA_16discard_iteratorISO_EES6_EEENSQ_IJSG_SG_EEES6_PlJS6_EEE10hipError_tPvRmT3_T4_T5_T6_T7_T9_mT8_P12ihipStream_tbDpT10_ENKUlT_T0_E_clISt17integral_constantIbLb0EES1E_IbLb1EEEEDaS1A_S1B_EUlS1A_E_NS1_11comp_targetILNS1_3genE9ELNS1_11target_archE1100ELNS1_3gpuE3ELNS1_3repE0EEENS1_30default_config_static_selectorELNS0_4arch9wavefront6targetE0EEEvT1_.uses_flat_scratch, 0
	.set _ZN7rocprim17ROCPRIM_400000_NS6detail17trampoline_kernelINS0_14default_configENS1_25partition_config_selectorILNS1_17partition_subalgoE5EsNS0_10empty_typeEbEEZZNS1_14partition_implILS5_5ELb0ES3_mN6thrust23THRUST_200600_302600_NS6detail15normal_iteratorINSA_10device_ptrIsEEEEPS6_NSA_18transform_iteratorINSB_9not_fun_tI7is_trueIsEEENSC_INSD_IbEEEENSA_11use_defaultESO_EENS0_5tupleIJNSA_16discard_iteratorISO_EES6_EEENSQ_IJSG_SG_EEES6_PlJS6_EEE10hipError_tPvRmT3_T4_T5_T6_T7_T9_mT8_P12ihipStream_tbDpT10_ENKUlT_T0_E_clISt17integral_constantIbLb0EES1E_IbLb1EEEEDaS1A_S1B_EUlS1A_E_NS1_11comp_targetILNS1_3genE9ELNS1_11target_archE1100ELNS1_3gpuE3ELNS1_3repE0EEENS1_30default_config_static_selectorELNS0_4arch9wavefront6targetE0EEEvT1_.has_dyn_sized_stack, 0
	.set _ZN7rocprim17ROCPRIM_400000_NS6detail17trampoline_kernelINS0_14default_configENS1_25partition_config_selectorILNS1_17partition_subalgoE5EsNS0_10empty_typeEbEEZZNS1_14partition_implILS5_5ELb0ES3_mN6thrust23THRUST_200600_302600_NS6detail15normal_iteratorINSA_10device_ptrIsEEEEPS6_NSA_18transform_iteratorINSB_9not_fun_tI7is_trueIsEEENSC_INSD_IbEEEENSA_11use_defaultESO_EENS0_5tupleIJNSA_16discard_iteratorISO_EES6_EEENSQ_IJSG_SG_EEES6_PlJS6_EEE10hipError_tPvRmT3_T4_T5_T6_T7_T9_mT8_P12ihipStream_tbDpT10_ENKUlT_T0_E_clISt17integral_constantIbLb0EES1E_IbLb1EEEEDaS1A_S1B_EUlS1A_E_NS1_11comp_targetILNS1_3genE9ELNS1_11target_archE1100ELNS1_3gpuE3ELNS1_3repE0EEENS1_30default_config_static_selectorELNS0_4arch9wavefront6targetE0EEEvT1_.has_recursion, 0
	.set _ZN7rocprim17ROCPRIM_400000_NS6detail17trampoline_kernelINS0_14default_configENS1_25partition_config_selectorILNS1_17partition_subalgoE5EsNS0_10empty_typeEbEEZZNS1_14partition_implILS5_5ELb0ES3_mN6thrust23THRUST_200600_302600_NS6detail15normal_iteratorINSA_10device_ptrIsEEEEPS6_NSA_18transform_iteratorINSB_9not_fun_tI7is_trueIsEEENSC_INSD_IbEEEENSA_11use_defaultESO_EENS0_5tupleIJNSA_16discard_iteratorISO_EES6_EEENSQ_IJSG_SG_EEES6_PlJS6_EEE10hipError_tPvRmT3_T4_T5_T6_T7_T9_mT8_P12ihipStream_tbDpT10_ENKUlT_T0_E_clISt17integral_constantIbLb0EES1E_IbLb1EEEEDaS1A_S1B_EUlS1A_E_NS1_11comp_targetILNS1_3genE9ELNS1_11target_archE1100ELNS1_3gpuE3ELNS1_3repE0EEENS1_30default_config_static_selectorELNS0_4arch9wavefront6targetE0EEEvT1_.has_indirect_call, 0
	.section	.AMDGPU.csdata,"",@progbits
; Kernel info:
; codeLenInByte = 0
; TotalNumSgprs: 0
; NumVgprs: 0
; ScratchSize: 0
; MemoryBound: 0
; FloatMode: 240
; IeeeMode: 1
; LDSByteSize: 0 bytes/workgroup (compile time only)
; SGPRBlocks: 0
; VGPRBlocks: 0
; NumSGPRsForWavesPerEU: 1
; NumVGPRsForWavesPerEU: 1
; Occupancy: 16
; WaveLimiterHint : 0
; COMPUTE_PGM_RSRC2:SCRATCH_EN: 0
; COMPUTE_PGM_RSRC2:USER_SGPR: 2
; COMPUTE_PGM_RSRC2:TRAP_HANDLER: 0
; COMPUTE_PGM_RSRC2:TGID_X_EN: 1
; COMPUTE_PGM_RSRC2:TGID_Y_EN: 0
; COMPUTE_PGM_RSRC2:TGID_Z_EN: 0
; COMPUTE_PGM_RSRC2:TIDIG_COMP_CNT: 0
	.section	.text._ZN7rocprim17ROCPRIM_400000_NS6detail17trampoline_kernelINS0_14default_configENS1_25partition_config_selectorILNS1_17partition_subalgoE5EsNS0_10empty_typeEbEEZZNS1_14partition_implILS5_5ELb0ES3_mN6thrust23THRUST_200600_302600_NS6detail15normal_iteratorINSA_10device_ptrIsEEEEPS6_NSA_18transform_iteratorINSB_9not_fun_tI7is_trueIsEEENSC_INSD_IbEEEENSA_11use_defaultESO_EENS0_5tupleIJNSA_16discard_iteratorISO_EES6_EEENSQ_IJSG_SG_EEES6_PlJS6_EEE10hipError_tPvRmT3_T4_T5_T6_T7_T9_mT8_P12ihipStream_tbDpT10_ENKUlT_T0_E_clISt17integral_constantIbLb0EES1E_IbLb1EEEEDaS1A_S1B_EUlS1A_E_NS1_11comp_targetILNS1_3genE8ELNS1_11target_archE1030ELNS1_3gpuE2ELNS1_3repE0EEENS1_30default_config_static_selectorELNS0_4arch9wavefront6targetE0EEEvT1_,"axG",@progbits,_ZN7rocprim17ROCPRIM_400000_NS6detail17trampoline_kernelINS0_14default_configENS1_25partition_config_selectorILNS1_17partition_subalgoE5EsNS0_10empty_typeEbEEZZNS1_14partition_implILS5_5ELb0ES3_mN6thrust23THRUST_200600_302600_NS6detail15normal_iteratorINSA_10device_ptrIsEEEEPS6_NSA_18transform_iteratorINSB_9not_fun_tI7is_trueIsEEENSC_INSD_IbEEEENSA_11use_defaultESO_EENS0_5tupleIJNSA_16discard_iteratorISO_EES6_EEENSQ_IJSG_SG_EEES6_PlJS6_EEE10hipError_tPvRmT3_T4_T5_T6_T7_T9_mT8_P12ihipStream_tbDpT10_ENKUlT_T0_E_clISt17integral_constantIbLb0EES1E_IbLb1EEEEDaS1A_S1B_EUlS1A_E_NS1_11comp_targetILNS1_3genE8ELNS1_11target_archE1030ELNS1_3gpuE2ELNS1_3repE0EEENS1_30default_config_static_selectorELNS0_4arch9wavefront6targetE0EEEvT1_,comdat
	.protected	_ZN7rocprim17ROCPRIM_400000_NS6detail17trampoline_kernelINS0_14default_configENS1_25partition_config_selectorILNS1_17partition_subalgoE5EsNS0_10empty_typeEbEEZZNS1_14partition_implILS5_5ELb0ES3_mN6thrust23THRUST_200600_302600_NS6detail15normal_iteratorINSA_10device_ptrIsEEEEPS6_NSA_18transform_iteratorINSB_9not_fun_tI7is_trueIsEEENSC_INSD_IbEEEENSA_11use_defaultESO_EENS0_5tupleIJNSA_16discard_iteratorISO_EES6_EEENSQ_IJSG_SG_EEES6_PlJS6_EEE10hipError_tPvRmT3_T4_T5_T6_T7_T9_mT8_P12ihipStream_tbDpT10_ENKUlT_T0_E_clISt17integral_constantIbLb0EES1E_IbLb1EEEEDaS1A_S1B_EUlS1A_E_NS1_11comp_targetILNS1_3genE8ELNS1_11target_archE1030ELNS1_3gpuE2ELNS1_3repE0EEENS1_30default_config_static_selectorELNS0_4arch9wavefront6targetE0EEEvT1_ ; -- Begin function _ZN7rocprim17ROCPRIM_400000_NS6detail17trampoline_kernelINS0_14default_configENS1_25partition_config_selectorILNS1_17partition_subalgoE5EsNS0_10empty_typeEbEEZZNS1_14partition_implILS5_5ELb0ES3_mN6thrust23THRUST_200600_302600_NS6detail15normal_iteratorINSA_10device_ptrIsEEEEPS6_NSA_18transform_iteratorINSB_9not_fun_tI7is_trueIsEEENSC_INSD_IbEEEENSA_11use_defaultESO_EENS0_5tupleIJNSA_16discard_iteratorISO_EES6_EEENSQ_IJSG_SG_EEES6_PlJS6_EEE10hipError_tPvRmT3_T4_T5_T6_T7_T9_mT8_P12ihipStream_tbDpT10_ENKUlT_T0_E_clISt17integral_constantIbLb0EES1E_IbLb1EEEEDaS1A_S1B_EUlS1A_E_NS1_11comp_targetILNS1_3genE8ELNS1_11target_archE1030ELNS1_3gpuE2ELNS1_3repE0EEENS1_30default_config_static_selectorELNS0_4arch9wavefront6targetE0EEEvT1_
	.globl	_ZN7rocprim17ROCPRIM_400000_NS6detail17trampoline_kernelINS0_14default_configENS1_25partition_config_selectorILNS1_17partition_subalgoE5EsNS0_10empty_typeEbEEZZNS1_14partition_implILS5_5ELb0ES3_mN6thrust23THRUST_200600_302600_NS6detail15normal_iteratorINSA_10device_ptrIsEEEEPS6_NSA_18transform_iteratorINSB_9not_fun_tI7is_trueIsEEENSC_INSD_IbEEEENSA_11use_defaultESO_EENS0_5tupleIJNSA_16discard_iteratorISO_EES6_EEENSQ_IJSG_SG_EEES6_PlJS6_EEE10hipError_tPvRmT3_T4_T5_T6_T7_T9_mT8_P12ihipStream_tbDpT10_ENKUlT_T0_E_clISt17integral_constantIbLb0EES1E_IbLb1EEEEDaS1A_S1B_EUlS1A_E_NS1_11comp_targetILNS1_3genE8ELNS1_11target_archE1030ELNS1_3gpuE2ELNS1_3repE0EEENS1_30default_config_static_selectorELNS0_4arch9wavefront6targetE0EEEvT1_
	.p2align	8
	.type	_ZN7rocprim17ROCPRIM_400000_NS6detail17trampoline_kernelINS0_14default_configENS1_25partition_config_selectorILNS1_17partition_subalgoE5EsNS0_10empty_typeEbEEZZNS1_14partition_implILS5_5ELb0ES3_mN6thrust23THRUST_200600_302600_NS6detail15normal_iteratorINSA_10device_ptrIsEEEEPS6_NSA_18transform_iteratorINSB_9not_fun_tI7is_trueIsEEENSC_INSD_IbEEEENSA_11use_defaultESO_EENS0_5tupleIJNSA_16discard_iteratorISO_EES6_EEENSQ_IJSG_SG_EEES6_PlJS6_EEE10hipError_tPvRmT3_T4_T5_T6_T7_T9_mT8_P12ihipStream_tbDpT10_ENKUlT_T0_E_clISt17integral_constantIbLb0EES1E_IbLb1EEEEDaS1A_S1B_EUlS1A_E_NS1_11comp_targetILNS1_3genE8ELNS1_11target_archE1030ELNS1_3gpuE2ELNS1_3repE0EEENS1_30default_config_static_selectorELNS0_4arch9wavefront6targetE0EEEvT1_,@function
_ZN7rocprim17ROCPRIM_400000_NS6detail17trampoline_kernelINS0_14default_configENS1_25partition_config_selectorILNS1_17partition_subalgoE5EsNS0_10empty_typeEbEEZZNS1_14partition_implILS5_5ELb0ES3_mN6thrust23THRUST_200600_302600_NS6detail15normal_iteratorINSA_10device_ptrIsEEEEPS6_NSA_18transform_iteratorINSB_9not_fun_tI7is_trueIsEEENSC_INSD_IbEEEENSA_11use_defaultESO_EENS0_5tupleIJNSA_16discard_iteratorISO_EES6_EEENSQ_IJSG_SG_EEES6_PlJS6_EEE10hipError_tPvRmT3_T4_T5_T6_T7_T9_mT8_P12ihipStream_tbDpT10_ENKUlT_T0_E_clISt17integral_constantIbLb0EES1E_IbLb1EEEEDaS1A_S1B_EUlS1A_E_NS1_11comp_targetILNS1_3genE8ELNS1_11target_archE1030ELNS1_3gpuE2ELNS1_3repE0EEENS1_30default_config_static_selectorELNS0_4arch9wavefront6targetE0EEEvT1_: ; @_ZN7rocprim17ROCPRIM_400000_NS6detail17trampoline_kernelINS0_14default_configENS1_25partition_config_selectorILNS1_17partition_subalgoE5EsNS0_10empty_typeEbEEZZNS1_14partition_implILS5_5ELb0ES3_mN6thrust23THRUST_200600_302600_NS6detail15normal_iteratorINSA_10device_ptrIsEEEEPS6_NSA_18transform_iteratorINSB_9not_fun_tI7is_trueIsEEENSC_INSD_IbEEEENSA_11use_defaultESO_EENS0_5tupleIJNSA_16discard_iteratorISO_EES6_EEENSQ_IJSG_SG_EEES6_PlJS6_EEE10hipError_tPvRmT3_T4_T5_T6_T7_T9_mT8_P12ihipStream_tbDpT10_ENKUlT_T0_E_clISt17integral_constantIbLb0EES1E_IbLb1EEEEDaS1A_S1B_EUlS1A_E_NS1_11comp_targetILNS1_3genE8ELNS1_11target_archE1030ELNS1_3gpuE2ELNS1_3repE0EEENS1_30default_config_static_selectorELNS0_4arch9wavefront6targetE0EEEvT1_
; %bb.0:
	.section	.rodata,"a",@progbits
	.p2align	6, 0x0
	.amdhsa_kernel _ZN7rocprim17ROCPRIM_400000_NS6detail17trampoline_kernelINS0_14default_configENS1_25partition_config_selectorILNS1_17partition_subalgoE5EsNS0_10empty_typeEbEEZZNS1_14partition_implILS5_5ELb0ES3_mN6thrust23THRUST_200600_302600_NS6detail15normal_iteratorINSA_10device_ptrIsEEEEPS6_NSA_18transform_iteratorINSB_9not_fun_tI7is_trueIsEEENSC_INSD_IbEEEENSA_11use_defaultESO_EENS0_5tupleIJNSA_16discard_iteratorISO_EES6_EEENSQ_IJSG_SG_EEES6_PlJS6_EEE10hipError_tPvRmT3_T4_T5_T6_T7_T9_mT8_P12ihipStream_tbDpT10_ENKUlT_T0_E_clISt17integral_constantIbLb0EES1E_IbLb1EEEEDaS1A_S1B_EUlS1A_E_NS1_11comp_targetILNS1_3genE8ELNS1_11target_archE1030ELNS1_3gpuE2ELNS1_3repE0EEENS1_30default_config_static_selectorELNS0_4arch9wavefront6targetE0EEEvT1_
		.amdhsa_group_segment_fixed_size 0
		.amdhsa_private_segment_fixed_size 0
		.amdhsa_kernarg_size 144
		.amdhsa_user_sgpr_count 2
		.amdhsa_user_sgpr_dispatch_ptr 0
		.amdhsa_user_sgpr_queue_ptr 0
		.amdhsa_user_sgpr_kernarg_segment_ptr 1
		.amdhsa_user_sgpr_dispatch_id 0
		.amdhsa_user_sgpr_private_segment_size 0
		.amdhsa_wavefront_size32 1
		.amdhsa_uses_dynamic_stack 0
		.amdhsa_enable_private_segment 0
		.amdhsa_system_sgpr_workgroup_id_x 1
		.amdhsa_system_sgpr_workgroup_id_y 0
		.amdhsa_system_sgpr_workgroup_id_z 0
		.amdhsa_system_sgpr_workgroup_info 0
		.amdhsa_system_vgpr_workitem_id 0
		.amdhsa_next_free_vgpr 1
		.amdhsa_next_free_sgpr 1
		.amdhsa_reserve_vcc 0
		.amdhsa_float_round_mode_32 0
		.amdhsa_float_round_mode_16_64 0
		.amdhsa_float_denorm_mode_32 3
		.amdhsa_float_denorm_mode_16_64 3
		.amdhsa_fp16_overflow 0
		.amdhsa_workgroup_processor_mode 1
		.amdhsa_memory_ordered 1
		.amdhsa_forward_progress 1
		.amdhsa_inst_pref_size 0
		.amdhsa_round_robin_scheduling 0
		.amdhsa_exception_fp_ieee_invalid_op 0
		.amdhsa_exception_fp_denorm_src 0
		.amdhsa_exception_fp_ieee_div_zero 0
		.amdhsa_exception_fp_ieee_overflow 0
		.amdhsa_exception_fp_ieee_underflow 0
		.amdhsa_exception_fp_ieee_inexact 0
		.amdhsa_exception_int_div_zero 0
	.end_amdhsa_kernel
	.section	.text._ZN7rocprim17ROCPRIM_400000_NS6detail17trampoline_kernelINS0_14default_configENS1_25partition_config_selectorILNS1_17partition_subalgoE5EsNS0_10empty_typeEbEEZZNS1_14partition_implILS5_5ELb0ES3_mN6thrust23THRUST_200600_302600_NS6detail15normal_iteratorINSA_10device_ptrIsEEEEPS6_NSA_18transform_iteratorINSB_9not_fun_tI7is_trueIsEEENSC_INSD_IbEEEENSA_11use_defaultESO_EENS0_5tupleIJNSA_16discard_iteratorISO_EES6_EEENSQ_IJSG_SG_EEES6_PlJS6_EEE10hipError_tPvRmT3_T4_T5_T6_T7_T9_mT8_P12ihipStream_tbDpT10_ENKUlT_T0_E_clISt17integral_constantIbLb0EES1E_IbLb1EEEEDaS1A_S1B_EUlS1A_E_NS1_11comp_targetILNS1_3genE8ELNS1_11target_archE1030ELNS1_3gpuE2ELNS1_3repE0EEENS1_30default_config_static_selectorELNS0_4arch9wavefront6targetE0EEEvT1_,"axG",@progbits,_ZN7rocprim17ROCPRIM_400000_NS6detail17trampoline_kernelINS0_14default_configENS1_25partition_config_selectorILNS1_17partition_subalgoE5EsNS0_10empty_typeEbEEZZNS1_14partition_implILS5_5ELb0ES3_mN6thrust23THRUST_200600_302600_NS6detail15normal_iteratorINSA_10device_ptrIsEEEEPS6_NSA_18transform_iteratorINSB_9not_fun_tI7is_trueIsEEENSC_INSD_IbEEEENSA_11use_defaultESO_EENS0_5tupleIJNSA_16discard_iteratorISO_EES6_EEENSQ_IJSG_SG_EEES6_PlJS6_EEE10hipError_tPvRmT3_T4_T5_T6_T7_T9_mT8_P12ihipStream_tbDpT10_ENKUlT_T0_E_clISt17integral_constantIbLb0EES1E_IbLb1EEEEDaS1A_S1B_EUlS1A_E_NS1_11comp_targetILNS1_3genE8ELNS1_11target_archE1030ELNS1_3gpuE2ELNS1_3repE0EEENS1_30default_config_static_selectorELNS0_4arch9wavefront6targetE0EEEvT1_,comdat
.Lfunc_end2844:
	.size	_ZN7rocprim17ROCPRIM_400000_NS6detail17trampoline_kernelINS0_14default_configENS1_25partition_config_selectorILNS1_17partition_subalgoE5EsNS0_10empty_typeEbEEZZNS1_14partition_implILS5_5ELb0ES3_mN6thrust23THRUST_200600_302600_NS6detail15normal_iteratorINSA_10device_ptrIsEEEEPS6_NSA_18transform_iteratorINSB_9not_fun_tI7is_trueIsEEENSC_INSD_IbEEEENSA_11use_defaultESO_EENS0_5tupleIJNSA_16discard_iteratorISO_EES6_EEENSQ_IJSG_SG_EEES6_PlJS6_EEE10hipError_tPvRmT3_T4_T5_T6_T7_T9_mT8_P12ihipStream_tbDpT10_ENKUlT_T0_E_clISt17integral_constantIbLb0EES1E_IbLb1EEEEDaS1A_S1B_EUlS1A_E_NS1_11comp_targetILNS1_3genE8ELNS1_11target_archE1030ELNS1_3gpuE2ELNS1_3repE0EEENS1_30default_config_static_selectorELNS0_4arch9wavefront6targetE0EEEvT1_, .Lfunc_end2844-_ZN7rocprim17ROCPRIM_400000_NS6detail17trampoline_kernelINS0_14default_configENS1_25partition_config_selectorILNS1_17partition_subalgoE5EsNS0_10empty_typeEbEEZZNS1_14partition_implILS5_5ELb0ES3_mN6thrust23THRUST_200600_302600_NS6detail15normal_iteratorINSA_10device_ptrIsEEEEPS6_NSA_18transform_iteratorINSB_9not_fun_tI7is_trueIsEEENSC_INSD_IbEEEENSA_11use_defaultESO_EENS0_5tupleIJNSA_16discard_iteratorISO_EES6_EEENSQ_IJSG_SG_EEES6_PlJS6_EEE10hipError_tPvRmT3_T4_T5_T6_T7_T9_mT8_P12ihipStream_tbDpT10_ENKUlT_T0_E_clISt17integral_constantIbLb0EES1E_IbLb1EEEEDaS1A_S1B_EUlS1A_E_NS1_11comp_targetILNS1_3genE8ELNS1_11target_archE1030ELNS1_3gpuE2ELNS1_3repE0EEENS1_30default_config_static_selectorELNS0_4arch9wavefront6targetE0EEEvT1_
                                        ; -- End function
	.set _ZN7rocprim17ROCPRIM_400000_NS6detail17trampoline_kernelINS0_14default_configENS1_25partition_config_selectorILNS1_17partition_subalgoE5EsNS0_10empty_typeEbEEZZNS1_14partition_implILS5_5ELb0ES3_mN6thrust23THRUST_200600_302600_NS6detail15normal_iteratorINSA_10device_ptrIsEEEEPS6_NSA_18transform_iteratorINSB_9not_fun_tI7is_trueIsEEENSC_INSD_IbEEEENSA_11use_defaultESO_EENS0_5tupleIJNSA_16discard_iteratorISO_EES6_EEENSQ_IJSG_SG_EEES6_PlJS6_EEE10hipError_tPvRmT3_T4_T5_T6_T7_T9_mT8_P12ihipStream_tbDpT10_ENKUlT_T0_E_clISt17integral_constantIbLb0EES1E_IbLb1EEEEDaS1A_S1B_EUlS1A_E_NS1_11comp_targetILNS1_3genE8ELNS1_11target_archE1030ELNS1_3gpuE2ELNS1_3repE0EEENS1_30default_config_static_selectorELNS0_4arch9wavefront6targetE0EEEvT1_.num_vgpr, 0
	.set _ZN7rocprim17ROCPRIM_400000_NS6detail17trampoline_kernelINS0_14default_configENS1_25partition_config_selectorILNS1_17partition_subalgoE5EsNS0_10empty_typeEbEEZZNS1_14partition_implILS5_5ELb0ES3_mN6thrust23THRUST_200600_302600_NS6detail15normal_iteratorINSA_10device_ptrIsEEEEPS6_NSA_18transform_iteratorINSB_9not_fun_tI7is_trueIsEEENSC_INSD_IbEEEENSA_11use_defaultESO_EENS0_5tupleIJNSA_16discard_iteratorISO_EES6_EEENSQ_IJSG_SG_EEES6_PlJS6_EEE10hipError_tPvRmT3_T4_T5_T6_T7_T9_mT8_P12ihipStream_tbDpT10_ENKUlT_T0_E_clISt17integral_constantIbLb0EES1E_IbLb1EEEEDaS1A_S1B_EUlS1A_E_NS1_11comp_targetILNS1_3genE8ELNS1_11target_archE1030ELNS1_3gpuE2ELNS1_3repE0EEENS1_30default_config_static_selectorELNS0_4arch9wavefront6targetE0EEEvT1_.num_agpr, 0
	.set _ZN7rocprim17ROCPRIM_400000_NS6detail17trampoline_kernelINS0_14default_configENS1_25partition_config_selectorILNS1_17partition_subalgoE5EsNS0_10empty_typeEbEEZZNS1_14partition_implILS5_5ELb0ES3_mN6thrust23THRUST_200600_302600_NS6detail15normal_iteratorINSA_10device_ptrIsEEEEPS6_NSA_18transform_iteratorINSB_9not_fun_tI7is_trueIsEEENSC_INSD_IbEEEENSA_11use_defaultESO_EENS0_5tupleIJNSA_16discard_iteratorISO_EES6_EEENSQ_IJSG_SG_EEES6_PlJS6_EEE10hipError_tPvRmT3_T4_T5_T6_T7_T9_mT8_P12ihipStream_tbDpT10_ENKUlT_T0_E_clISt17integral_constantIbLb0EES1E_IbLb1EEEEDaS1A_S1B_EUlS1A_E_NS1_11comp_targetILNS1_3genE8ELNS1_11target_archE1030ELNS1_3gpuE2ELNS1_3repE0EEENS1_30default_config_static_selectorELNS0_4arch9wavefront6targetE0EEEvT1_.numbered_sgpr, 0
	.set _ZN7rocprim17ROCPRIM_400000_NS6detail17trampoline_kernelINS0_14default_configENS1_25partition_config_selectorILNS1_17partition_subalgoE5EsNS0_10empty_typeEbEEZZNS1_14partition_implILS5_5ELb0ES3_mN6thrust23THRUST_200600_302600_NS6detail15normal_iteratorINSA_10device_ptrIsEEEEPS6_NSA_18transform_iteratorINSB_9not_fun_tI7is_trueIsEEENSC_INSD_IbEEEENSA_11use_defaultESO_EENS0_5tupleIJNSA_16discard_iteratorISO_EES6_EEENSQ_IJSG_SG_EEES6_PlJS6_EEE10hipError_tPvRmT3_T4_T5_T6_T7_T9_mT8_P12ihipStream_tbDpT10_ENKUlT_T0_E_clISt17integral_constantIbLb0EES1E_IbLb1EEEEDaS1A_S1B_EUlS1A_E_NS1_11comp_targetILNS1_3genE8ELNS1_11target_archE1030ELNS1_3gpuE2ELNS1_3repE0EEENS1_30default_config_static_selectorELNS0_4arch9wavefront6targetE0EEEvT1_.num_named_barrier, 0
	.set _ZN7rocprim17ROCPRIM_400000_NS6detail17trampoline_kernelINS0_14default_configENS1_25partition_config_selectorILNS1_17partition_subalgoE5EsNS0_10empty_typeEbEEZZNS1_14partition_implILS5_5ELb0ES3_mN6thrust23THRUST_200600_302600_NS6detail15normal_iteratorINSA_10device_ptrIsEEEEPS6_NSA_18transform_iteratorINSB_9not_fun_tI7is_trueIsEEENSC_INSD_IbEEEENSA_11use_defaultESO_EENS0_5tupleIJNSA_16discard_iteratorISO_EES6_EEENSQ_IJSG_SG_EEES6_PlJS6_EEE10hipError_tPvRmT3_T4_T5_T6_T7_T9_mT8_P12ihipStream_tbDpT10_ENKUlT_T0_E_clISt17integral_constantIbLb0EES1E_IbLb1EEEEDaS1A_S1B_EUlS1A_E_NS1_11comp_targetILNS1_3genE8ELNS1_11target_archE1030ELNS1_3gpuE2ELNS1_3repE0EEENS1_30default_config_static_selectorELNS0_4arch9wavefront6targetE0EEEvT1_.private_seg_size, 0
	.set _ZN7rocprim17ROCPRIM_400000_NS6detail17trampoline_kernelINS0_14default_configENS1_25partition_config_selectorILNS1_17partition_subalgoE5EsNS0_10empty_typeEbEEZZNS1_14partition_implILS5_5ELb0ES3_mN6thrust23THRUST_200600_302600_NS6detail15normal_iteratorINSA_10device_ptrIsEEEEPS6_NSA_18transform_iteratorINSB_9not_fun_tI7is_trueIsEEENSC_INSD_IbEEEENSA_11use_defaultESO_EENS0_5tupleIJNSA_16discard_iteratorISO_EES6_EEENSQ_IJSG_SG_EEES6_PlJS6_EEE10hipError_tPvRmT3_T4_T5_T6_T7_T9_mT8_P12ihipStream_tbDpT10_ENKUlT_T0_E_clISt17integral_constantIbLb0EES1E_IbLb1EEEEDaS1A_S1B_EUlS1A_E_NS1_11comp_targetILNS1_3genE8ELNS1_11target_archE1030ELNS1_3gpuE2ELNS1_3repE0EEENS1_30default_config_static_selectorELNS0_4arch9wavefront6targetE0EEEvT1_.uses_vcc, 0
	.set _ZN7rocprim17ROCPRIM_400000_NS6detail17trampoline_kernelINS0_14default_configENS1_25partition_config_selectorILNS1_17partition_subalgoE5EsNS0_10empty_typeEbEEZZNS1_14partition_implILS5_5ELb0ES3_mN6thrust23THRUST_200600_302600_NS6detail15normal_iteratorINSA_10device_ptrIsEEEEPS6_NSA_18transform_iteratorINSB_9not_fun_tI7is_trueIsEEENSC_INSD_IbEEEENSA_11use_defaultESO_EENS0_5tupleIJNSA_16discard_iteratorISO_EES6_EEENSQ_IJSG_SG_EEES6_PlJS6_EEE10hipError_tPvRmT3_T4_T5_T6_T7_T9_mT8_P12ihipStream_tbDpT10_ENKUlT_T0_E_clISt17integral_constantIbLb0EES1E_IbLb1EEEEDaS1A_S1B_EUlS1A_E_NS1_11comp_targetILNS1_3genE8ELNS1_11target_archE1030ELNS1_3gpuE2ELNS1_3repE0EEENS1_30default_config_static_selectorELNS0_4arch9wavefront6targetE0EEEvT1_.uses_flat_scratch, 0
	.set _ZN7rocprim17ROCPRIM_400000_NS6detail17trampoline_kernelINS0_14default_configENS1_25partition_config_selectorILNS1_17partition_subalgoE5EsNS0_10empty_typeEbEEZZNS1_14partition_implILS5_5ELb0ES3_mN6thrust23THRUST_200600_302600_NS6detail15normal_iteratorINSA_10device_ptrIsEEEEPS6_NSA_18transform_iteratorINSB_9not_fun_tI7is_trueIsEEENSC_INSD_IbEEEENSA_11use_defaultESO_EENS0_5tupleIJNSA_16discard_iteratorISO_EES6_EEENSQ_IJSG_SG_EEES6_PlJS6_EEE10hipError_tPvRmT3_T4_T5_T6_T7_T9_mT8_P12ihipStream_tbDpT10_ENKUlT_T0_E_clISt17integral_constantIbLb0EES1E_IbLb1EEEEDaS1A_S1B_EUlS1A_E_NS1_11comp_targetILNS1_3genE8ELNS1_11target_archE1030ELNS1_3gpuE2ELNS1_3repE0EEENS1_30default_config_static_selectorELNS0_4arch9wavefront6targetE0EEEvT1_.has_dyn_sized_stack, 0
	.set _ZN7rocprim17ROCPRIM_400000_NS6detail17trampoline_kernelINS0_14default_configENS1_25partition_config_selectorILNS1_17partition_subalgoE5EsNS0_10empty_typeEbEEZZNS1_14partition_implILS5_5ELb0ES3_mN6thrust23THRUST_200600_302600_NS6detail15normal_iteratorINSA_10device_ptrIsEEEEPS6_NSA_18transform_iteratorINSB_9not_fun_tI7is_trueIsEEENSC_INSD_IbEEEENSA_11use_defaultESO_EENS0_5tupleIJNSA_16discard_iteratorISO_EES6_EEENSQ_IJSG_SG_EEES6_PlJS6_EEE10hipError_tPvRmT3_T4_T5_T6_T7_T9_mT8_P12ihipStream_tbDpT10_ENKUlT_T0_E_clISt17integral_constantIbLb0EES1E_IbLb1EEEEDaS1A_S1B_EUlS1A_E_NS1_11comp_targetILNS1_3genE8ELNS1_11target_archE1030ELNS1_3gpuE2ELNS1_3repE0EEENS1_30default_config_static_selectorELNS0_4arch9wavefront6targetE0EEEvT1_.has_recursion, 0
	.set _ZN7rocprim17ROCPRIM_400000_NS6detail17trampoline_kernelINS0_14default_configENS1_25partition_config_selectorILNS1_17partition_subalgoE5EsNS0_10empty_typeEbEEZZNS1_14partition_implILS5_5ELb0ES3_mN6thrust23THRUST_200600_302600_NS6detail15normal_iteratorINSA_10device_ptrIsEEEEPS6_NSA_18transform_iteratorINSB_9not_fun_tI7is_trueIsEEENSC_INSD_IbEEEENSA_11use_defaultESO_EENS0_5tupleIJNSA_16discard_iteratorISO_EES6_EEENSQ_IJSG_SG_EEES6_PlJS6_EEE10hipError_tPvRmT3_T4_T5_T6_T7_T9_mT8_P12ihipStream_tbDpT10_ENKUlT_T0_E_clISt17integral_constantIbLb0EES1E_IbLb1EEEEDaS1A_S1B_EUlS1A_E_NS1_11comp_targetILNS1_3genE8ELNS1_11target_archE1030ELNS1_3gpuE2ELNS1_3repE0EEENS1_30default_config_static_selectorELNS0_4arch9wavefront6targetE0EEEvT1_.has_indirect_call, 0
	.section	.AMDGPU.csdata,"",@progbits
; Kernel info:
; codeLenInByte = 0
; TotalNumSgprs: 0
; NumVgprs: 0
; ScratchSize: 0
; MemoryBound: 0
; FloatMode: 240
; IeeeMode: 1
; LDSByteSize: 0 bytes/workgroup (compile time only)
; SGPRBlocks: 0
; VGPRBlocks: 0
; NumSGPRsForWavesPerEU: 1
; NumVGPRsForWavesPerEU: 1
; Occupancy: 16
; WaveLimiterHint : 0
; COMPUTE_PGM_RSRC2:SCRATCH_EN: 0
; COMPUTE_PGM_RSRC2:USER_SGPR: 2
; COMPUTE_PGM_RSRC2:TRAP_HANDLER: 0
; COMPUTE_PGM_RSRC2:TGID_X_EN: 1
; COMPUTE_PGM_RSRC2:TGID_Y_EN: 0
; COMPUTE_PGM_RSRC2:TGID_Z_EN: 0
; COMPUTE_PGM_RSRC2:TIDIG_COMP_CNT: 0
	.section	.text._ZN7rocprim17ROCPRIM_400000_NS6detail17trampoline_kernelINS0_14default_configENS1_25partition_config_selectorILNS1_17partition_subalgoE6EiNS0_10empty_typeEbEEZZNS1_14partition_implILS5_6ELb0ES3_mN6thrust23THRUST_200600_302600_NS10device_ptrIiEEPS6_SD_NS0_5tupleIJSC_S6_EEENSE_IJSD_SD_EEES6_PlJNSA_6detail9not_fun_tINSI_10functional5actorINSK_9compositeIJNSK_27transparent_binary_operatorINSA_8equal_toIvEEEENSL_INSK_8argumentILj0EEEEENSK_5valueIiEEEEEEEEEEEE10hipError_tPvRmT3_T4_T5_T6_T7_T9_mT8_P12ihipStream_tbDpT10_ENKUlT_T0_E_clISt17integral_constantIbLb0EES1I_EEDaS1D_S1E_EUlS1D_E_NS1_11comp_targetILNS1_3genE0ELNS1_11target_archE4294967295ELNS1_3gpuE0ELNS1_3repE0EEENS1_30default_config_static_selectorELNS0_4arch9wavefront6targetE0EEEvT1_,"axG",@progbits,_ZN7rocprim17ROCPRIM_400000_NS6detail17trampoline_kernelINS0_14default_configENS1_25partition_config_selectorILNS1_17partition_subalgoE6EiNS0_10empty_typeEbEEZZNS1_14partition_implILS5_6ELb0ES3_mN6thrust23THRUST_200600_302600_NS10device_ptrIiEEPS6_SD_NS0_5tupleIJSC_S6_EEENSE_IJSD_SD_EEES6_PlJNSA_6detail9not_fun_tINSI_10functional5actorINSK_9compositeIJNSK_27transparent_binary_operatorINSA_8equal_toIvEEEENSL_INSK_8argumentILj0EEEEENSK_5valueIiEEEEEEEEEEEE10hipError_tPvRmT3_T4_T5_T6_T7_T9_mT8_P12ihipStream_tbDpT10_ENKUlT_T0_E_clISt17integral_constantIbLb0EES1I_EEDaS1D_S1E_EUlS1D_E_NS1_11comp_targetILNS1_3genE0ELNS1_11target_archE4294967295ELNS1_3gpuE0ELNS1_3repE0EEENS1_30default_config_static_selectorELNS0_4arch9wavefront6targetE0EEEvT1_,comdat
	.protected	_ZN7rocprim17ROCPRIM_400000_NS6detail17trampoline_kernelINS0_14default_configENS1_25partition_config_selectorILNS1_17partition_subalgoE6EiNS0_10empty_typeEbEEZZNS1_14partition_implILS5_6ELb0ES3_mN6thrust23THRUST_200600_302600_NS10device_ptrIiEEPS6_SD_NS0_5tupleIJSC_S6_EEENSE_IJSD_SD_EEES6_PlJNSA_6detail9not_fun_tINSI_10functional5actorINSK_9compositeIJNSK_27transparent_binary_operatorINSA_8equal_toIvEEEENSL_INSK_8argumentILj0EEEEENSK_5valueIiEEEEEEEEEEEE10hipError_tPvRmT3_T4_T5_T6_T7_T9_mT8_P12ihipStream_tbDpT10_ENKUlT_T0_E_clISt17integral_constantIbLb0EES1I_EEDaS1D_S1E_EUlS1D_E_NS1_11comp_targetILNS1_3genE0ELNS1_11target_archE4294967295ELNS1_3gpuE0ELNS1_3repE0EEENS1_30default_config_static_selectorELNS0_4arch9wavefront6targetE0EEEvT1_ ; -- Begin function _ZN7rocprim17ROCPRIM_400000_NS6detail17trampoline_kernelINS0_14default_configENS1_25partition_config_selectorILNS1_17partition_subalgoE6EiNS0_10empty_typeEbEEZZNS1_14partition_implILS5_6ELb0ES3_mN6thrust23THRUST_200600_302600_NS10device_ptrIiEEPS6_SD_NS0_5tupleIJSC_S6_EEENSE_IJSD_SD_EEES6_PlJNSA_6detail9not_fun_tINSI_10functional5actorINSK_9compositeIJNSK_27transparent_binary_operatorINSA_8equal_toIvEEEENSL_INSK_8argumentILj0EEEEENSK_5valueIiEEEEEEEEEEEE10hipError_tPvRmT3_T4_T5_T6_T7_T9_mT8_P12ihipStream_tbDpT10_ENKUlT_T0_E_clISt17integral_constantIbLb0EES1I_EEDaS1D_S1E_EUlS1D_E_NS1_11comp_targetILNS1_3genE0ELNS1_11target_archE4294967295ELNS1_3gpuE0ELNS1_3repE0EEENS1_30default_config_static_selectorELNS0_4arch9wavefront6targetE0EEEvT1_
	.globl	_ZN7rocprim17ROCPRIM_400000_NS6detail17trampoline_kernelINS0_14default_configENS1_25partition_config_selectorILNS1_17partition_subalgoE6EiNS0_10empty_typeEbEEZZNS1_14partition_implILS5_6ELb0ES3_mN6thrust23THRUST_200600_302600_NS10device_ptrIiEEPS6_SD_NS0_5tupleIJSC_S6_EEENSE_IJSD_SD_EEES6_PlJNSA_6detail9not_fun_tINSI_10functional5actorINSK_9compositeIJNSK_27transparent_binary_operatorINSA_8equal_toIvEEEENSL_INSK_8argumentILj0EEEEENSK_5valueIiEEEEEEEEEEEE10hipError_tPvRmT3_T4_T5_T6_T7_T9_mT8_P12ihipStream_tbDpT10_ENKUlT_T0_E_clISt17integral_constantIbLb0EES1I_EEDaS1D_S1E_EUlS1D_E_NS1_11comp_targetILNS1_3genE0ELNS1_11target_archE4294967295ELNS1_3gpuE0ELNS1_3repE0EEENS1_30default_config_static_selectorELNS0_4arch9wavefront6targetE0EEEvT1_
	.p2align	8
	.type	_ZN7rocprim17ROCPRIM_400000_NS6detail17trampoline_kernelINS0_14default_configENS1_25partition_config_selectorILNS1_17partition_subalgoE6EiNS0_10empty_typeEbEEZZNS1_14partition_implILS5_6ELb0ES3_mN6thrust23THRUST_200600_302600_NS10device_ptrIiEEPS6_SD_NS0_5tupleIJSC_S6_EEENSE_IJSD_SD_EEES6_PlJNSA_6detail9not_fun_tINSI_10functional5actorINSK_9compositeIJNSK_27transparent_binary_operatorINSA_8equal_toIvEEEENSL_INSK_8argumentILj0EEEEENSK_5valueIiEEEEEEEEEEEE10hipError_tPvRmT3_T4_T5_T6_T7_T9_mT8_P12ihipStream_tbDpT10_ENKUlT_T0_E_clISt17integral_constantIbLb0EES1I_EEDaS1D_S1E_EUlS1D_E_NS1_11comp_targetILNS1_3genE0ELNS1_11target_archE4294967295ELNS1_3gpuE0ELNS1_3repE0EEENS1_30default_config_static_selectorELNS0_4arch9wavefront6targetE0EEEvT1_,@function
_ZN7rocprim17ROCPRIM_400000_NS6detail17trampoline_kernelINS0_14default_configENS1_25partition_config_selectorILNS1_17partition_subalgoE6EiNS0_10empty_typeEbEEZZNS1_14partition_implILS5_6ELb0ES3_mN6thrust23THRUST_200600_302600_NS10device_ptrIiEEPS6_SD_NS0_5tupleIJSC_S6_EEENSE_IJSD_SD_EEES6_PlJNSA_6detail9not_fun_tINSI_10functional5actorINSK_9compositeIJNSK_27transparent_binary_operatorINSA_8equal_toIvEEEENSL_INSK_8argumentILj0EEEEENSK_5valueIiEEEEEEEEEEEE10hipError_tPvRmT3_T4_T5_T6_T7_T9_mT8_P12ihipStream_tbDpT10_ENKUlT_T0_E_clISt17integral_constantIbLb0EES1I_EEDaS1D_S1E_EUlS1D_E_NS1_11comp_targetILNS1_3genE0ELNS1_11target_archE4294967295ELNS1_3gpuE0ELNS1_3repE0EEENS1_30default_config_static_selectorELNS0_4arch9wavefront6targetE0EEEvT1_: ; @_ZN7rocprim17ROCPRIM_400000_NS6detail17trampoline_kernelINS0_14default_configENS1_25partition_config_selectorILNS1_17partition_subalgoE6EiNS0_10empty_typeEbEEZZNS1_14partition_implILS5_6ELb0ES3_mN6thrust23THRUST_200600_302600_NS10device_ptrIiEEPS6_SD_NS0_5tupleIJSC_S6_EEENSE_IJSD_SD_EEES6_PlJNSA_6detail9not_fun_tINSI_10functional5actorINSK_9compositeIJNSK_27transparent_binary_operatorINSA_8equal_toIvEEEENSL_INSK_8argumentILj0EEEEENSK_5valueIiEEEEEEEEEEEE10hipError_tPvRmT3_T4_T5_T6_T7_T9_mT8_P12ihipStream_tbDpT10_ENKUlT_T0_E_clISt17integral_constantIbLb0EES1I_EEDaS1D_S1E_EUlS1D_E_NS1_11comp_targetILNS1_3genE0ELNS1_11target_archE4294967295ELNS1_3gpuE0ELNS1_3repE0EEENS1_30default_config_static_selectorELNS0_4arch9wavefront6targetE0EEEvT1_
; %bb.0:
	.section	.rodata,"a",@progbits
	.p2align	6, 0x0
	.amdhsa_kernel _ZN7rocprim17ROCPRIM_400000_NS6detail17trampoline_kernelINS0_14default_configENS1_25partition_config_selectorILNS1_17partition_subalgoE6EiNS0_10empty_typeEbEEZZNS1_14partition_implILS5_6ELb0ES3_mN6thrust23THRUST_200600_302600_NS10device_ptrIiEEPS6_SD_NS0_5tupleIJSC_S6_EEENSE_IJSD_SD_EEES6_PlJNSA_6detail9not_fun_tINSI_10functional5actorINSK_9compositeIJNSK_27transparent_binary_operatorINSA_8equal_toIvEEEENSL_INSK_8argumentILj0EEEEENSK_5valueIiEEEEEEEEEEEE10hipError_tPvRmT3_T4_T5_T6_T7_T9_mT8_P12ihipStream_tbDpT10_ENKUlT_T0_E_clISt17integral_constantIbLb0EES1I_EEDaS1D_S1E_EUlS1D_E_NS1_11comp_targetILNS1_3genE0ELNS1_11target_archE4294967295ELNS1_3gpuE0ELNS1_3repE0EEENS1_30default_config_static_selectorELNS0_4arch9wavefront6targetE0EEEvT1_
		.amdhsa_group_segment_fixed_size 0
		.amdhsa_private_segment_fixed_size 0
		.amdhsa_kernarg_size 120
		.amdhsa_user_sgpr_count 2
		.amdhsa_user_sgpr_dispatch_ptr 0
		.amdhsa_user_sgpr_queue_ptr 0
		.amdhsa_user_sgpr_kernarg_segment_ptr 1
		.amdhsa_user_sgpr_dispatch_id 0
		.amdhsa_user_sgpr_private_segment_size 0
		.amdhsa_wavefront_size32 1
		.amdhsa_uses_dynamic_stack 0
		.amdhsa_enable_private_segment 0
		.amdhsa_system_sgpr_workgroup_id_x 1
		.amdhsa_system_sgpr_workgroup_id_y 0
		.amdhsa_system_sgpr_workgroup_id_z 0
		.amdhsa_system_sgpr_workgroup_info 0
		.amdhsa_system_vgpr_workitem_id 0
		.amdhsa_next_free_vgpr 1
		.amdhsa_next_free_sgpr 1
		.amdhsa_reserve_vcc 0
		.amdhsa_float_round_mode_32 0
		.amdhsa_float_round_mode_16_64 0
		.amdhsa_float_denorm_mode_32 3
		.amdhsa_float_denorm_mode_16_64 3
		.amdhsa_fp16_overflow 0
		.amdhsa_workgroup_processor_mode 1
		.amdhsa_memory_ordered 1
		.amdhsa_forward_progress 1
		.amdhsa_inst_pref_size 0
		.amdhsa_round_robin_scheduling 0
		.amdhsa_exception_fp_ieee_invalid_op 0
		.amdhsa_exception_fp_denorm_src 0
		.amdhsa_exception_fp_ieee_div_zero 0
		.amdhsa_exception_fp_ieee_overflow 0
		.amdhsa_exception_fp_ieee_underflow 0
		.amdhsa_exception_fp_ieee_inexact 0
		.amdhsa_exception_int_div_zero 0
	.end_amdhsa_kernel
	.section	.text._ZN7rocprim17ROCPRIM_400000_NS6detail17trampoline_kernelINS0_14default_configENS1_25partition_config_selectorILNS1_17partition_subalgoE6EiNS0_10empty_typeEbEEZZNS1_14partition_implILS5_6ELb0ES3_mN6thrust23THRUST_200600_302600_NS10device_ptrIiEEPS6_SD_NS0_5tupleIJSC_S6_EEENSE_IJSD_SD_EEES6_PlJNSA_6detail9not_fun_tINSI_10functional5actorINSK_9compositeIJNSK_27transparent_binary_operatorINSA_8equal_toIvEEEENSL_INSK_8argumentILj0EEEEENSK_5valueIiEEEEEEEEEEEE10hipError_tPvRmT3_T4_T5_T6_T7_T9_mT8_P12ihipStream_tbDpT10_ENKUlT_T0_E_clISt17integral_constantIbLb0EES1I_EEDaS1D_S1E_EUlS1D_E_NS1_11comp_targetILNS1_3genE0ELNS1_11target_archE4294967295ELNS1_3gpuE0ELNS1_3repE0EEENS1_30default_config_static_selectorELNS0_4arch9wavefront6targetE0EEEvT1_,"axG",@progbits,_ZN7rocprim17ROCPRIM_400000_NS6detail17trampoline_kernelINS0_14default_configENS1_25partition_config_selectorILNS1_17partition_subalgoE6EiNS0_10empty_typeEbEEZZNS1_14partition_implILS5_6ELb0ES3_mN6thrust23THRUST_200600_302600_NS10device_ptrIiEEPS6_SD_NS0_5tupleIJSC_S6_EEENSE_IJSD_SD_EEES6_PlJNSA_6detail9not_fun_tINSI_10functional5actorINSK_9compositeIJNSK_27transparent_binary_operatorINSA_8equal_toIvEEEENSL_INSK_8argumentILj0EEEEENSK_5valueIiEEEEEEEEEEEE10hipError_tPvRmT3_T4_T5_T6_T7_T9_mT8_P12ihipStream_tbDpT10_ENKUlT_T0_E_clISt17integral_constantIbLb0EES1I_EEDaS1D_S1E_EUlS1D_E_NS1_11comp_targetILNS1_3genE0ELNS1_11target_archE4294967295ELNS1_3gpuE0ELNS1_3repE0EEENS1_30default_config_static_selectorELNS0_4arch9wavefront6targetE0EEEvT1_,comdat
.Lfunc_end2845:
	.size	_ZN7rocprim17ROCPRIM_400000_NS6detail17trampoline_kernelINS0_14default_configENS1_25partition_config_selectorILNS1_17partition_subalgoE6EiNS0_10empty_typeEbEEZZNS1_14partition_implILS5_6ELb0ES3_mN6thrust23THRUST_200600_302600_NS10device_ptrIiEEPS6_SD_NS0_5tupleIJSC_S6_EEENSE_IJSD_SD_EEES6_PlJNSA_6detail9not_fun_tINSI_10functional5actorINSK_9compositeIJNSK_27transparent_binary_operatorINSA_8equal_toIvEEEENSL_INSK_8argumentILj0EEEEENSK_5valueIiEEEEEEEEEEEE10hipError_tPvRmT3_T4_T5_T6_T7_T9_mT8_P12ihipStream_tbDpT10_ENKUlT_T0_E_clISt17integral_constantIbLb0EES1I_EEDaS1D_S1E_EUlS1D_E_NS1_11comp_targetILNS1_3genE0ELNS1_11target_archE4294967295ELNS1_3gpuE0ELNS1_3repE0EEENS1_30default_config_static_selectorELNS0_4arch9wavefront6targetE0EEEvT1_, .Lfunc_end2845-_ZN7rocprim17ROCPRIM_400000_NS6detail17trampoline_kernelINS0_14default_configENS1_25partition_config_selectorILNS1_17partition_subalgoE6EiNS0_10empty_typeEbEEZZNS1_14partition_implILS5_6ELb0ES3_mN6thrust23THRUST_200600_302600_NS10device_ptrIiEEPS6_SD_NS0_5tupleIJSC_S6_EEENSE_IJSD_SD_EEES6_PlJNSA_6detail9not_fun_tINSI_10functional5actorINSK_9compositeIJNSK_27transparent_binary_operatorINSA_8equal_toIvEEEENSL_INSK_8argumentILj0EEEEENSK_5valueIiEEEEEEEEEEEE10hipError_tPvRmT3_T4_T5_T6_T7_T9_mT8_P12ihipStream_tbDpT10_ENKUlT_T0_E_clISt17integral_constantIbLb0EES1I_EEDaS1D_S1E_EUlS1D_E_NS1_11comp_targetILNS1_3genE0ELNS1_11target_archE4294967295ELNS1_3gpuE0ELNS1_3repE0EEENS1_30default_config_static_selectorELNS0_4arch9wavefront6targetE0EEEvT1_
                                        ; -- End function
	.set _ZN7rocprim17ROCPRIM_400000_NS6detail17trampoline_kernelINS0_14default_configENS1_25partition_config_selectorILNS1_17partition_subalgoE6EiNS0_10empty_typeEbEEZZNS1_14partition_implILS5_6ELb0ES3_mN6thrust23THRUST_200600_302600_NS10device_ptrIiEEPS6_SD_NS0_5tupleIJSC_S6_EEENSE_IJSD_SD_EEES6_PlJNSA_6detail9not_fun_tINSI_10functional5actorINSK_9compositeIJNSK_27transparent_binary_operatorINSA_8equal_toIvEEEENSL_INSK_8argumentILj0EEEEENSK_5valueIiEEEEEEEEEEEE10hipError_tPvRmT3_T4_T5_T6_T7_T9_mT8_P12ihipStream_tbDpT10_ENKUlT_T0_E_clISt17integral_constantIbLb0EES1I_EEDaS1D_S1E_EUlS1D_E_NS1_11comp_targetILNS1_3genE0ELNS1_11target_archE4294967295ELNS1_3gpuE0ELNS1_3repE0EEENS1_30default_config_static_selectorELNS0_4arch9wavefront6targetE0EEEvT1_.num_vgpr, 0
	.set _ZN7rocprim17ROCPRIM_400000_NS6detail17trampoline_kernelINS0_14default_configENS1_25partition_config_selectorILNS1_17partition_subalgoE6EiNS0_10empty_typeEbEEZZNS1_14partition_implILS5_6ELb0ES3_mN6thrust23THRUST_200600_302600_NS10device_ptrIiEEPS6_SD_NS0_5tupleIJSC_S6_EEENSE_IJSD_SD_EEES6_PlJNSA_6detail9not_fun_tINSI_10functional5actorINSK_9compositeIJNSK_27transparent_binary_operatorINSA_8equal_toIvEEEENSL_INSK_8argumentILj0EEEEENSK_5valueIiEEEEEEEEEEEE10hipError_tPvRmT3_T4_T5_T6_T7_T9_mT8_P12ihipStream_tbDpT10_ENKUlT_T0_E_clISt17integral_constantIbLb0EES1I_EEDaS1D_S1E_EUlS1D_E_NS1_11comp_targetILNS1_3genE0ELNS1_11target_archE4294967295ELNS1_3gpuE0ELNS1_3repE0EEENS1_30default_config_static_selectorELNS0_4arch9wavefront6targetE0EEEvT1_.num_agpr, 0
	.set _ZN7rocprim17ROCPRIM_400000_NS6detail17trampoline_kernelINS0_14default_configENS1_25partition_config_selectorILNS1_17partition_subalgoE6EiNS0_10empty_typeEbEEZZNS1_14partition_implILS5_6ELb0ES3_mN6thrust23THRUST_200600_302600_NS10device_ptrIiEEPS6_SD_NS0_5tupleIJSC_S6_EEENSE_IJSD_SD_EEES6_PlJNSA_6detail9not_fun_tINSI_10functional5actorINSK_9compositeIJNSK_27transparent_binary_operatorINSA_8equal_toIvEEEENSL_INSK_8argumentILj0EEEEENSK_5valueIiEEEEEEEEEEEE10hipError_tPvRmT3_T4_T5_T6_T7_T9_mT8_P12ihipStream_tbDpT10_ENKUlT_T0_E_clISt17integral_constantIbLb0EES1I_EEDaS1D_S1E_EUlS1D_E_NS1_11comp_targetILNS1_3genE0ELNS1_11target_archE4294967295ELNS1_3gpuE0ELNS1_3repE0EEENS1_30default_config_static_selectorELNS0_4arch9wavefront6targetE0EEEvT1_.numbered_sgpr, 0
	.set _ZN7rocprim17ROCPRIM_400000_NS6detail17trampoline_kernelINS0_14default_configENS1_25partition_config_selectorILNS1_17partition_subalgoE6EiNS0_10empty_typeEbEEZZNS1_14partition_implILS5_6ELb0ES3_mN6thrust23THRUST_200600_302600_NS10device_ptrIiEEPS6_SD_NS0_5tupleIJSC_S6_EEENSE_IJSD_SD_EEES6_PlJNSA_6detail9not_fun_tINSI_10functional5actorINSK_9compositeIJNSK_27transparent_binary_operatorINSA_8equal_toIvEEEENSL_INSK_8argumentILj0EEEEENSK_5valueIiEEEEEEEEEEEE10hipError_tPvRmT3_T4_T5_T6_T7_T9_mT8_P12ihipStream_tbDpT10_ENKUlT_T0_E_clISt17integral_constantIbLb0EES1I_EEDaS1D_S1E_EUlS1D_E_NS1_11comp_targetILNS1_3genE0ELNS1_11target_archE4294967295ELNS1_3gpuE0ELNS1_3repE0EEENS1_30default_config_static_selectorELNS0_4arch9wavefront6targetE0EEEvT1_.num_named_barrier, 0
	.set _ZN7rocprim17ROCPRIM_400000_NS6detail17trampoline_kernelINS0_14default_configENS1_25partition_config_selectorILNS1_17partition_subalgoE6EiNS0_10empty_typeEbEEZZNS1_14partition_implILS5_6ELb0ES3_mN6thrust23THRUST_200600_302600_NS10device_ptrIiEEPS6_SD_NS0_5tupleIJSC_S6_EEENSE_IJSD_SD_EEES6_PlJNSA_6detail9not_fun_tINSI_10functional5actorINSK_9compositeIJNSK_27transparent_binary_operatorINSA_8equal_toIvEEEENSL_INSK_8argumentILj0EEEEENSK_5valueIiEEEEEEEEEEEE10hipError_tPvRmT3_T4_T5_T6_T7_T9_mT8_P12ihipStream_tbDpT10_ENKUlT_T0_E_clISt17integral_constantIbLb0EES1I_EEDaS1D_S1E_EUlS1D_E_NS1_11comp_targetILNS1_3genE0ELNS1_11target_archE4294967295ELNS1_3gpuE0ELNS1_3repE0EEENS1_30default_config_static_selectorELNS0_4arch9wavefront6targetE0EEEvT1_.private_seg_size, 0
	.set _ZN7rocprim17ROCPRIM_400000_NS6detail17trampoline_kernelINS0_14default_configENS1_25partition_config_selectorILNS1_17partition_subalgoE6EiNS0_10empty_typeEbEEZZNS1_14partition_implILS5_6ELb0ES3_mN6thrust23THRUST_200600_302600_NS10device_ptrIiEEPS6_SD_NS0_5tupleIJSC_S6_EEENSE_IJSD_SD_EEES6_PlJNSA_6detail9not_fun_tINSI_10functional5actorINSK_9compositeIJNSK_27transparent_binary_operatorINSA_8equal_toIvEEEENSL_INSK_8argumentILj0EEEEENSK_5valueIiEEEEEEEEEEEE10hipError_tPvRmT3_T4_T5_T6_T7_T9_mT8_P12ihipStream_tbDpT10_ENKUlT_T0_E_clISt17integral_constantIbLb0EES1I_EEDaS1D_S1E_EUlS1D_E_NS1_11comp_targetILNS1_3genE0ELNS1_11target_archE4294967295ELNS1_3gpuE0ELNS1_3repE0EEENS1_30default_config_static_selectorELNS0_4arch9wavefront6targetE0EEEvT1_.uses_vcc, 0
	.set _ZN7rocprim17ROCPRIM_400000_NS6detail17trampoline_kernelINS0_14default_configENS1_25partition_config_selectorILNS1_17partition_subalgoE6EiNS0_10empty_typeEbEEZZNS1_14partition_implILS5_6ELb0ES3_mN6thrust23THRUST_200600_302600_NS10device_ptrIiEEPS6_SD_NS0_5tupleIJSC_S6_EEENSE_IJSD_SD_EEES6_PlJNSA_6detail9not_fun_tINSI_10functional5actorINSK_9compositeIJNSK_27transparent_binary_operatorINSA_8equal_toIvEEEENSL_INSK_8argumentILj0EEEEENSK_5valueIiEEEEEEEEEEEE10hipError_tPvRmT3_T4_T5_T6_T7_T9_mT8_P12ihipStream_tbDpT10_ENKUlT_T0_E_clISt17integral_constantIbLb0EES1I_EEDaS1D_S1E_EUlS1D_E_NS1_11comp_targetILNS1_3genE0ELNS1_11target_archE4294967295ELNS1_3gpuE0ELNS1_3repE0EEENS1_30default_config_static_selectorELNS0_4arch9wavefront6targetE0EEEvT1_.uses_flat_scratch, 0
	.set _ZN7rocprim17ROCPRIM_400000_NS6detail17trampoline_kernelINS0_14default_configENS1_25partition_config_selectorILNS1_17partition_subalgoE6EiNS0_10empty_typeEbEEZZNS1_14partition_implILS5_6ELb0ES3_mN6thrust23THRUST_200600_302600_NS10device_ptrIiEEPS6_SD_NS0_5tupleIJSC_S6_EEENSE_IJSD_SD_EEES6_PlJNSA_6detail9not_fun_tINSI_10functional5actorINSK_9compositeIJNSK_27transparent_binary_operatorINSA_8equal_toIvEEEENSL_INSK_8argumentILj0EEEEENSK_5valueIiEEEEEEEEEEEE10hipError_tPvRmT3_T4_T5_T6_T7_T9_mT8_P12ihipStream_tbDpT10_ENKUlT_T0_E_clISt17integral_constantIbLb0EES1I_EEDaS1D_S1E_EUlS1D_E_NS1_11comp_targetILNS1_3genE0ELNS1_11target_archE4294967295ELNS1_3gpuE0ELNS1_3repE0EEENS1_30default_config_static_selectorELNS0_4arch9wavefront6targetE0EEEvT1_.has_dyn_sized_stack, 0
	.set _ZN7rocprim17ROCPRIM_400000_NS6detail17trampoline_kernelINS0_14default_configENS1_25partition_config_selectorILNS1_17partition_subalgoE6EiNS0_10empty_typeEbEEZZNS1_14partition_implILS5_6ELb0ES3_mN6thrust23THRUST_200600_302600_NS10device_ptrIiEEPS6_SD_NS0_5tupleIJSC_S6_EEENSE_IJSD_SD_EEES6_PlJNSA_6detail9not_fun_tINSI_10functional5actorINSK_9compositeIJNSK_27transparent_binary_operatorINSA_8equal_toIvEEEENSL_INSK_8argumentILj0EEEEENSK_5valueIiEEEEEEEEEEEE10hipError_tPvRmT3_T4_T5_T6_T7_T9_mT8_P12ihipStream_tbDpT10_ENKUlT_T0_E_clISt17integral_constantIbLb0EES1I_EEDaS1D_S1E_EUlS1D_E_NS1_11comp_targetILNS1_3genE0ELNS1_11target_archE4294967295ELNS1_3gpuE0ELNS1_3repE0EEENS1_30default_config_static_selectorELNS0_4arch9wavefront6targetE0EEEvT1_.has_recursion, 0
	.set _ZN7rocprim17ROCPRIM_400000_NS6detail17trampoline_kernelINS0_14default_configENS1_25partition_config_selectorILNS1_17partition_subalgoE6EiNS0_10empty_typeEbEEZZNS1_14partition_implILS5_6ELb0ES3_mN6thrust23THRUST_200600_302600_NS10device_ptrIiEEPS6_SD_NS0_5tupleIJSC_S6_EEENSE_IJSD_SD_EEES6_PlJNSA_6detail9not_fun_tINSI_10functional5actorINSK_9compositeIJNSK_27transparent_binary_operatorINSA_8equal_toIvEEEENSL_INSK_8argumentILj0EEEEENSK_5valueIiEEEEEEEEEEEE10hipError_tPvRmT3_T4_T5_T6_T7_T9_mT8_P12ihipStream_tbDpT10_ENKUlT_T0_E_clISt17integral_constantIbLb0EES1I_EEDaS1D_S1E_EUlS1D_E_NS1_11comp_targetILNS1_3genE0ELNS1_11target_archE4294967295ELNS1_3gpuE0ELNS1_3repE0EEENS1_30default_config_static_selectorELNS0_4arch9wavefront6targetE0EEEvT1_.has_indirect_call, 0
	.section	.AMDGPU.csdata,"",@progbits
; Kernel info:
; codeLenInByte = 0
; TotalNumSgprs: 0
; NumVgprs: 0
; ScratchSize: 0
; MemoryBound: 0
; FloatMode: 240
; IeeeMode: 1
; LDSByteSize: 0 bytes/workgroup (compile time only)
; SGPRBlocks: 0
; VGPRBlocks: 0
; NumSGPRsForWavesPerEU: 1
; NumVGPRsForWavesPerEU: 1
; Occupancy: 16
; WaveLimiterHint : 0
; COMPUTE_PGM_RSRC2:SCRATCH_EN: 0
; COMPUTE_PGM_RSRC2:USER_SGPR: 2
; COMPUTE_PGM_RSRC2:TRAP_HANDLER: 0
; COMPUTE_PGM_RSRC2:TGID_X_EN: 1
; COMPUTE_PGM_RSRC2:TGID_Y_EN: 0
; COMPUTE_PGM_RSRC2:TGID_Z_EN: 0
; COMPUTE_PGM_RSRC2:TIDIG_COMP_CNT: 0
	.section	.text._ZN7rocprim17ROCPRIM_400000_NS6detail17trampoline_kernelINS0_14default_configENS1_25partition_config_selectorILNS1_17partition_subalgoE6EiNS0_10empty_typeEbEEZZNS1_14partition_implILS5_6ELb0ES3_mN6thrust23THRUST_200600_302600_NS10device_ptrIiEEPS6_SD_NS0_5tupleIJSC_S6_EEENSE_IJSD_SD_EEES6_PlJNSA_6detail9not_fun_tINSI_10functional5actorINSK_9compositeIJNSK_27transparent_binary_operatorINSA_8equal_toIvEEEENSL_INSK_8argumentILj0EEEEENSK_5valueIiEEEEEEEEEEEE10hipError_tPvRmT3_T4_T5_T6_T7_T9_mT8_P12ihipStream_tbDpT10_ENKUlT_T0_E_clISt17integral_constantIbLb0EES1I_EEDaS1D_S1E_EUlS1D_E_NS1_11comp_targetILNS1_3genE5ELNS1_11target_archE942ELNS1_3gpuE9ELNS1_3repE0EEENS1_30default_config_static_selectorELNS0_4arch9wavefront6targetE0EEEvT1_,"axG",@progbits,_ZN7rocprim17ROCPRIM_400000_NS6detail17trampoline_kernelINS0_14default_configENS1_25partition_config_selectorILNS1_17partition_subalgoE6EiNS0_10empty_typeEbEEZZNS1_14partition_implILS5_6ELb0ES3_mN6thrust23THRUST_200600_302600_NS10device_ptrIiEEPS6_SD_NS0_5tupleIJSC_S6_EEENSE_IJSD_SD_EEES6_PlJNSA_6detail9not_fun_tINSI_10functional5actorINSK_9compositeIJNSK_27transparent_binary_operatorINSA_8equal_toIvEEEENSL_INSK_8argumentILj0EEEEENSK_5valueIiEEEEEEEEEEEE10hipError_tPvRmT3_T4_T5_T6_T7_T9_mT8_P12ihipStream_tbDpT10_ENKUlT_T0_E_clISt17integral_constantIbLb0EES1I_EEDaS1D_S1E_EUlS1D_E_NS1_11comp_targetILNS1_3genE5ELNS1_11target_archE942ELNS1_3gpuE9ELNS1_3repE0EEENS1_30default_config_static_selectorELNS0_4arch9wavefront6targetE0EEEvT1_,comdat
	.protected	_ZN7rocprim17ROCPRIM_400000_NS6detail17trampoline_kernelINS0_14default_configENS1_25partition_config_selectorILNS1_17partition_subalgoE6EiNS0_10empty_typeEbEEZZNS1_14partition_implILS5_6ELb0ES3_mN6thrust23THRUST_200600_302600_NS10device_ptrIiEEPS6_SD_NS0_5tupleIJSC_S6_EEENSE_IJSD_SD_EEES6_PlJNSA_6detail9not_fun_tINSI_10functional5actorINSK_9compositeIJNSK_27transparent_binary_operatorINSA_8equal_toIvEEEENSL_INSK_8argumentILj0EEEEENSK_5valueIiEEEEEEEEEEEE10hipError_tPvRmT3_T4_T5_T6_T7_T9_mT8_P12ihipStream_tbDpT10_ENKUlT_T0_E_clISt17integral_constantIbLb0EES1I_EEDaS1D_S1E_EUlS1D_E_NS1_11comp_targetILNS1_3genE5ELNS1_11target_archE942ELNS1_3gpuE9ELNS1_3repE0EEENS1_30default_config_static_selectorELNS0_4arch9wavefront6targetE0EEEvT1_ ; -- Begin function _ZN7rocprim17ROCPRIM_400000_NS6detail17trampoline_kernelINS0_14default_configENS1_25partition_config_selectorILNS1_17partition_subalgoE6EiNS0_10empty_typeEbEEZZNS1_14partition_implILS5_6ELb0ES3_mN6thrust23THRUST_200600_302600_NS10device_ptrIiEEPS6_SD_NS0_5tupleIJSC_S6_EEENSE_IJSD_SD_EEES6_PlJNSA_6detail9not_fun_tINSI_10functional5actorINSK_9compositeIJNSK_27transparent_binary_operatorINSA_8equal_toIvEEEENSL_INSK_8argumentILj0EEEEENSK_5valueIiEEEEEEEEEEEE10hipError_tPvRmT3_T4_T5_T6_T7_T9_mT8_P12ihipStream_tbDpT10_ENKUlT_T0_E_clISt17integral_constantIbLb0EES1I_EEDaS1D_S1E_EUlS1D_E_NS1_11comp_targetILNS1_3genE5ELNS1_11target_archE942ELNS1_3gpuE9ELNS1_3repE0EEENS1_30default_config_static_selectorELNS0_4arch9wavefront6targetE0EEEvT1_
	.globl	_ZN7rocprim17ROCPRIM_400000_NS6detail17trampoline_kernelINS0_14default_configENS1_25partition_config_selectorILNS1_17partition_subalgoE6EiNS0_10empty_typeEbEEZZNS1_14partition_implILS5_6ELb0ES3_mN6thrust23THRUST_200600_302600_NS10device_ptrIiEEPS6_SD_NS0_5tupleIJSC_S6_EEENSE_IJSD_SD_EEES6_PlJNSA_6detail9not_fun_tINSI_10functional5actorINSK_9compositeIJNSK_27transparent_binary_operatorINSA_8equal_toIvEEEENSL_INSK_8argumentILj0EEEEENSK_5valueIiEEEEEEEEEEEE10hipError_tPvRmT3_T4_T5_T6_T7_T9_mT8_P12ihipStream_tbDpT10_ENKUlT_T0_E_clISt17integral_constantIbLb0EES1I_EEDaS1D_S1E_EUlS1D_E_NS1_11comp_targetILNS1_3genE5ELNS1_11target_archE942ELNS1_3gpuE9ELNS1_3repE0EEENS1_30default_config_static_selectorELNS0_4arch9wavefront6targetE0EEEvT1_
	.p2align	8
	.type	_ZN7rocprim17ROCPRIM_400000_NS6detail17trampoline_kernelINS0_14default_configENS1_25partition_config_selectorILNS1_17partition_subalgoE6EiNS0_10empty_typeEbEEZZNS1_14partition_implILS5_6ELb0ES3_mN6thrust23THRUST_200600_302600_NS10device_ptrIiEEPS6_SD_NS0_5tupleIJSC_S6_EEENSE_IJSD_SD_EEES6_PlJNSA_6detail9not_fun_tINSI_10functional5actorINSK_9compositeIJNSK_27transparent_binary_operatorINSA_8equal_toIvEEEENSL_INSK_8argumentILj0EEEEENSK_5valueIiEEEEEEEEEEEE10hipError_tPvRmT3_T4_T5_T6_T7_T9_mT8_P12ihipStream_tbDpT10_ENKUlT_T0_E_clISt17integral_constantIbLb0EES1I_EEDaS1D_S1E_EUlS1D_E_NS1_11comp_targetILNS1_3genE5ELNS1_11target_archE942ELNS1_3gpuE9ELNS1_3repE0EEENS1_30default_config_static_selectorELNS0_4arch9wavefront6targetE0EEEvT1_,@function
_ZN7rocprim17ROCPRIM_400000_NS6detail17trampoline_kernelINS0_14default_configENS1_25partition_config_selectorILNS1_17partition_subalgoE6EiNS0_10empty_typeEbEEZZNS1_14partition_implILS5_6ELb0ES3_mN6thrust23THRUST_200600_302600_NS10device_ptrIiEEPS6_SD_NS0_5tupleIJSC_S6_EEENSE_IJSD_SD_EEES6_PlJNSA_6detail9not_fun_tINSI_10functional5actorINSK_9compositeIJNSK_27transparent_binary_operatorINSA_8equal_toIvEEEENSL_INSK_8argumentILj0EEEEENSK_5valueIiEEEEEEEEEEEE10hipError_tPvRmT3_T4_T5_T6_T7_T9_mT8_P12ihipStream_tbDpT10_ENKUlT_T0_E_clISt17integral_constantIbLb0EES1I_EEDaS1D_S1E_EUlS1D_E_NS1_11comp_targetILNS1_3genE5ELNS1_11target_archE942ELNS1_3gpuE9ELNS1_3repE0EEENS1_30default_config_static_selectorELNS0_4arch9wavefront6targetE0EEEvT1_: ; @_ZN7rocprim17ROCPRIM_400000_NS6detail17trampoline_kernelINS0_14default_configENS1_25partition_config_selectorILNS1_17partition_subalgoE6EiNS0_10empty_typeEbEEZZNS1_14partition_implILS5_6ELb0ES3_mN6thrust23THRUST_200600_302600_NS10device_ptrIiEEPS6_SD_NS0_5tupleIJSC_S6_EEENSE_IJSD_SD_EEES6_PlJNSA_6detail9not_fun_tINSI_10functional5actorINSK_9compositeIJNSK_27transparent_binary_operatorINSA_8equal_toIvEEEENSL_INSK_8argumentILj0EEEEENSK_5valueIiEEEEEEEEEEEE10hipError_tPvRmT3_T4_T5_T6_T7_T9_mT8_P12ihipStream_tbDpT10_ENKUlT_T0_E_clISt17integral_constantIbLb0EES1I_EEDaS1D_S1E_EUlS1D_E_NS1_11comp_targetILNS1_3genE5ELNS1_11target_archE942ELNS1_3gpuE9ELNS1_3repE0EEENS1_30default_config_static_selectorELNS0_4arch9wavefront6targetE0EEEvT1_
; %bb.0:
	.section	.rodata,"a",@progbits
	.p2align	6, 0x0
	.amdhsa_kernel _ZN7rocprim17ROCPRIM_400000_NS6detail17trampoline_kernelINS0_14default_configENS1_25partition_config_selectorILNS1_17partition_subalgoE6EiNS0_10empty_typeEbEEZZNS1_14partition_implILS5_6ELb0ES3_mN6thrust23THRUST_200600_302600_NS10device_ptrIiEEPS6_SD_NS0_5tupleIJSC_S6_EEENSE_IJSD_SD_EEES6_PlJNSA_6detail9not_fun_tINSI_10functional5actorINSK_9compositeIJNSK_27transparent_binary_operatorINSA_8equal_toIvEEEENSL_INSK_8argumentILj0EEEEENSK_5valueIiEEEEEEEEEEEE10hipError_tPvRmT3_T4_T5_T6_T7_T9_mT8_P12ihipStream_tbDpT10_ENKUlT_T0_E_clISt17integral_constantIbLb0EES1I_EEDaS1D_S1E_EUlS1D_E_NS1_11comp_targetILNS1_3genE5ELNS1_11target_archE942ELNS1_3gpuE9ELNS1_3repE0EEENS1_30default_config_static_selectorELNS0_4arch9wavefront6targetE0EEEvT1_
		.amdhsa_group_segment_fixed_size 0
		.amdhsa_private_segment_fixed_size 0
		.amdhsa_kernarg_size 120
		.amdhsa_user_sgpr_count 2
		.amdhsa_user_sgpr_dispatch_ptr 0
		.amdhsa_user_sgpr_queue_ptr 0
		.amdhsa_user_sgpr_kernarg_segment_ptr 1
		.amdhsa_user_sgpr_dispatch_id 0
		.amdhsa_user_sgpr_private_segment_size 0
		.amdhsa_wavefront_size32 1
		.amdhsa_uses_dynamic_stack 0
		.amdhsa_enable_private_segment 0
		.amdhsa_system_sgpr_workgroup_id_x 1
		.amdhsa_system_sgpr_workgroup_id_y 0
		.amdhsa_system_sgpr_workgroup_id_z 0
		.amdhsa_system_sgpr_workgroup_info 0
		.amdhsa_system_vgpr_workitem_id 0
		.amdhsa_next_free_vgpr 1
		.amdhsa_next_free_sgpr 1
		.amdhsa_reserve_vcc 0
		.amdhsa_float_round_mode_32 0
		.amdhsa_float_round_mode_16_64 0
		.amdhsa_float_denorm_mode_32 3
		.amdhsa_float_denorm_mode_16_64 3
		.amdhsa_fp16_overflow 0
		.amdhsa_workgroup_processor_mode 1
		.amdhsa_memory_ordered 1
		.amdhsa_forward_progress 1
		.amdhsa_inst_pref_size 0
		.amdhsa_round_robin_scheduling 0
		.amdhsa_exception_fp_ieee_invalid_op 0
		.amdhsa_exception_fp_denorm_src 0
		.amdhsa_exception_fp_ieee_div_zero 0
		.amdhsa_exception_fp_ieee_overflow 0
		.amdhsa_exception_fp_ieee_underflow 0
		.amdhsa_exception_fp_ieee_inexact 0
		.amdhsa_exception_int_div_zero 0
	.end_amdhsa_kernel
	.section	.text._ZN7rocprim17ROCPRIM_400000_NS6detail17trampoline_kernelINS0_14default_configENS1_25partition_config_selectorILNS1_17partition_subalgoE6EiNS0_10empty_typeEbEEZZNS1_14partition_implILS5_6ELb0ES3_mN6thrust23THRUST_200600_302600_NS10device_ptrIiEEPS6_SD_NS0_5tupleIJSC_S6_EEENSE_IJSD_SD_EEES6_PlJNSA_6detail9not_fun_tINSI_10functional5actorINSK_9compositeIJNSK_27transparent_binary_operatorINSA_8equal_toIvEEEENSL_INSK_8argumentILj0EEEEENSK_5valueIiEEEEEEEEEEEE10hipError_tPvRmT3_T4_T5_T6_T7_T9_mT8_P12ihipStream_tbDpT10_ENKUlT_T0_E_clISt17integral_constantIbLb0EES1I_EEDaS1D_S1E_EUlS1D_E_NS1_11comp_targetILNS1_3genE5ELNS1_11target_archE942ELNS1_3gpuE9ELNS1_3repE0EEENS1_30default_config_static_selectorELNS0_4arch9wavefront6targetE0EEEvT1_,"axG",@progbits,_ZN7rocprim17ROCPRIM_400000_NS6detail17trampoline_kernelINS0_14default_configENS1_25partition_config_selectorILNS1_17partition_subalgoE6EiNS0_10empty_typeEbEEZZNS1_14partition_implILS5_6ELb0ES3_mN6thrust23THRUST_200600_302600_NS10device_ptrIiEEPS6_SD_NS0_5tupleIJSC_S6_EEENSE_IJSD_SD_EEES6_PlJNSA_6detail9not_fun_tINSI_10functional5actorINSK_9compositeIJNSK_27transparent_binary_operatorINSA_8equal_toIvEEEENSL_INSK_8argumentILj0EEEEENSK_5valueIiEEEEEEEEEEEE10hipError_tPvRmT3_T4_T5_T6_T7_T9_mT8_P12ihipStream_tbDpT10_ENKUlT_T0_E_clISt17integral_constantIbLb0EES1I_EEDaS1D_S1E_EUlS1D_E_NS1_11comp_targetILNS1_3genE5ELNS1_11target_archE942ELNS1_3gpuE9ELNS1_3repE0EEENS1_30default_config_static_selectorELNS0_4arch9wavefront6targetE0EEEvT1_,comdat
.Lfunc_end2846:
	.size	_ZN7rocprim17ROCPRIM_400000_NS6detail17trampoline_kernelINS0_14default_configENS1_25partition_config_selectorILNS1_17partition_subalgoE6EiNS0_10empty_typeEbEEZZNS1_14partition_implILS5_6ELb0ES3_mN6thrust23THRUST_200600_302600_NS10device_ptrIiEEPS6_SD_NS0_5tupleIJSC_S6_EEENSE_IJSD_SD_EEES6_PlJNSA_6detail9not_fun_tINSI_10functional5actorINSK_9compositeIJNSK_27transparent_binary_operatorINSA_8equal_toIvEEEENSL_INSK_8argumentILj0EEEEENSK_5valueIiEEEEEEEEEEEE10hipError_tPvRmT3_T4_T5_T6_T7_T9_mT8_P12ihipStream_tbDpT10_ENKUlT_T0_E_clISt17integral_constantIbLb0EES1I_EEDaS1D_S1E_EUlS1D_E_NS1_11comp_targetILNS1_3genE5ELNS1_11target_archE942ELNS1_3gpuE9ELNS1_3repE0EEENS1_30default_config_static_selectorELNS0_4arch9wavefront6targetE0EEEvT1_, .Lfunc_end2846-_ZN7rocprim17ROCPRIM_400000_NS6detail17trampoline_kernelINS0_14default_configENS1_25partition_config_selectorILNS1_17partition_subalgoE6EiNS0_10empty_typeEbEEZZNS1_14partition_implILS5_6ELb0ES3_mN6thrust23THRUST_200600_302600_NS10device_ptrIiEEPS6_SD_NS0_5tupleIJSC_S6_EEENSE_IJSD_SD_EEES6_PlJNSA_6detail9not_fun_tINSI_10functional5actorINSK_9compositeIJNSK_27transparent_binary_operatorINSA_8equal_toIvEEEENSL_INSK_8argumentILj0EEEEENSK_5valueIiEEEEEEEEEEEE10hipError_tPvRmT3_T4_T5_T6_T7_T9_mT8_P12ihipStream_tbDpT10_ENKUlT_T0_E_clISt17integral_constantIbLb0EES1I_EEDaS1D_S1E_EUlS1D_E_NS1_11comp_targetILNS1_3genE5ELNS1_11target_archE942ELNS1_3gpuE9ELNS1_3repE0EEENS1_30default_config_static_selectorELNS0_4arch9wavefront6targetE0EEEvT1_
                                        ; -- End function
	.set _ZN7rocprim17ROCPRIM_400000_NS6detail17trampoline_kernelINS0_14default_configENS1_25partition_config_selectorILNS1_17partition_subalgoE6EiNS0_10empty_typeEbEEZZNS1_14partition_implILS5_6ELb0ES3_mN6thrust23THRUST_200600_302600_NS10device_ptrIiEEPS6_SD_NS0_5tupleIJSC_S6_EEENSE_IJSD_SD_EEES6_PlJNSA_6detail9not_fun_tINSI_10functional5actorINSK_9compositeIJNSK_27transparent_binary_operatorINSA_8equal_toIvEEEENSL_INSK_8argumentILj0EEEEENSK_5valueIiEEEEEEEEEEEE10hipError_tPvRmT3_T4_T5_T6_T7_T9_mT8_P12ihipStream_tbDpT10_ENKUlT_T0_E_clISt17integral_constantIbLb0EES1I_EEDaS1D_S1E_EUlS1D_E_NS1_11comp_targetILNS1_3genE5ELNS1_11target_archE942ELNS1_3gpuE9ELNS1_3repE0EEENS1_30default_config_static_selectorELNS0_4arch9wavefront6targetE0EEEvT1_.num_vgpr, 0
	.set _ZN7rocprim17ROCPRIM_400000_NS6detail17trampoline_kernelINS0_14default_configENS1_25partition_config_selectorILNS1_17partition_subalgoE6EiNS0_10empty_typeEbEEZZNS1_14partition_implILS5_6ELb0ES3_mN6thrust23THRUST_200600_302600_NS10device_ptrIiEEPS6_SD_NS0_5tupleIJSC_S6_EEENSE_IJSD_SD_EEES6_PlJNSA_6detail9not_fun_tINSI_10functional5actorINSK_9compositeIJNSK_27transparent_binary_operatorINSA_8equal_toIvEEEENSL_INSK_8argumentILj0EEEEENSK_5valueIiEEEEEEEEEEEE10hipError_tPvRmT3_T4_T5_T6_T7_T9_mT8_P12ihipStream_tbDpT10_ENKUlT_T0_E_clISt17integral_constantIbLb0EES1I_EEDaS1D_S1E_EUlS1D_E_NS1_11comp_targetILNS1_3genE5ELNS1_11target_archE942ELNS1_3gpuE9ELNS1_3repE0EEENS1_30default_config_static_selectorELNS0_4arch9wavefront6targetE0EEEvT1_.num_agpr, 0
	.set _ZN7rocprim17ROCPRIM_400000_NS6detail17trampoline_kernelINS0_14default_configENS1_25partition_config_selectorILNS1_17partition_subalgoE6EiNS0_10empty_typeEbEEZZNS1_14partition_implILS5_6ELb0ES3_mN6thrust23THRUST_200600_302600_NS10device_ptrIiEEPS6_SD_NS0_5tupleIJSC_S6_EEENSE_IJSD_SD_EEES6_PlJNSA_6detail9not_fun_tINSI_10functional5actorINSK_9compositeIJNSK_27transparent_binary_operatorINSA_8equal_toIvEEEENSL_INSK_8argumentILj0EEEEENSK_5valueIiEEEEEEEEEEEE10hipError_tPvRmT3_T4_T5_T6_T7_T9_mT8_P12ihipStream_tbDpT10_ENKUlT_T0_E_clISt17integral_constantIbLb0EES1I_EEDaS1D_S1E_EUlS1D_E_NS1_11comp_targetILNS1_3genE5ELNS1_11target_archE942ELNS1_3gpuE9ELNS1_3repE0EEENS1_30default_config_static_selectorELNS0_4arch9wavefront6targetE0EEEvT1_.numbered_sgpr, 0
	.set _ZN7rocprim17ROCPRIM_400000_NS6detail17trampoline_kernelINS0_14default_configENS1_25partition_config_selectorILNS1_17partition_subalgoE6EiNS0_10empty_typeEbEEZZNS1_14partition_implILS5_6ELb0ES3_mN6thrust23THRUST_200600_302600_NS10device_ptrIiEEPS6_SD_NS0_5tupleIJSC_S6_EEENSE_IJSD_SD_EEES6_PlJNSA_6detail9not_fun_tINSI_10functional5actorINSK_9compositeIJNSK_27transparent_binary_operatorINSA_8equal_toIvEEEENSL_INSK_8argumentILj0EEEEENSK_5valueIiEEEEEEEEEEEE10hipError_tPvRmT3_T4_T5_T6_T7_T9_mT8_P12ihipStream_tbDpT10_ENKUlT_T0_E_clISt17integral_constantIbLb0EES1I_EEDaS1D_S1E_EUlS1D_E_NS1_11comp_targetILNS1_3genE5ELNS1_11target_archE942ELNS1_3gpuE9ELNS1_3repE0EEENS1_30default_config_static_selectorELNS0_4arch9wavefront6targetE0EEEvT1_.num_named_barrier, 0
	.set _ZN7rocprim17ROCPRIM_400000_NS6detail17trampoline_kernelINS0_14default_configENS1_25partition_config_selectorILNS1_17partition_subalgoE6EiNS0_10empty_typeEbEEZZNS1_14partition_implILS5_6ELb0ES3_mN6thrust23THRUST_200600_302600_NS10device_ptrIiEEPS6_SD_NS0_5tupleIJSC_S6_EEENSE_IJSD_SD_EEES6_PlJNSA_6detail9not_fun_tINSI_10functional5actorINSK_9compositeIJNSK_27transparent_binary_operatorINSA_8equal_toIvEEEENSL_INSK_8argumentILj0EEEEENSK_5valueIiEEEEEEEEEEEE10hipError_tPvRmT3_T4_T5_T6_T7_T9_mT8_P12ihipStream_tbDpT10_ENKUlT_T0_E_clISt17integral_constantIbLb0EES1I_EEDaS1D_S1E_EUlS1D_E_NS1_11comp_targetILNS1_3genE5ELNS1_11target_archE942ELNS1_3gpuE9ELNS1_3repE0EEENS1_30default_config_static_selectorELNS0_4arch9wavefront6targetE0EEEvT1_.private_seg_size, 0
	.set _ZN7rocprim17ROCPRIM_400000_NS6detail17trampoline_kernelINS0_14default_configENS1_25partition_config_selectorILNS1_17partition_subalgoE6EiNS0_10empty_typeEbEEZZNS1_14partition_implILS5_6ELb0ES3_mN6thrust23THRUST_200600_302600_NS10device_ptrIiEEPS6_SD_NS0_5tupleIJSC_S6_EEENSE_IJSD_SD_EEES6_PlJNSA_6detail9not_fun_tINSI_10functional5actorINSK_9compositeIJNSK_27transparent_binary_operatorINSA_8equal_toIvEEEENSL_INSK_8argumentILj0EEEEENSK_5valueIiEEEEEEEEEEEE10hipError_tPvRmT3_T4_T5_T6_T7_T9_mT8_P12ihipStream_tbDpT10_ENKUlT_T0_E_clISt17integral_constantIbLb0EES1I_EEDaS1D_S1E_EUlS1D_E_NS1_11comp_targetILNS1_3genE5ELNS1_11target_archE942ELNS1_3gpuE9ELNS1_3repE0EEENS1_30default_config_static_selectorELNS0_4arch9wavefront6targetE0EEEvT1_.uses_vcc, 0
	.set _ZN7rocprim17ROCPRIM_400000_NS6detail17trampoline_kernelINS0_14default_configENS1_25partition_config_selectorILNS1_17partition_subalgoE6EiNS0_10empty_typeEbEEZZNS1_14partition_implILS5_6ELb0ES3_mN6thrust23THRUST_200600_302600_NS10device_ptrIiEEPS6_SD_NS0_5tupleIJSC_S6_EEENSE_IJSD_SD_EEES6_PlJNSA_6detail9not_fun_tINSI_10functional5actorINSK_9compositeIJNSK_27transparent_binary_operatorINSA_8equal_toIvEEEENSL_INSK_8argumentILj0EEEEENSK_5valueIiEEEEEEEEEEEE10hipError_tPvRmT3_T4_T5_T6_T7_T9_mT8_P12ihipStream_tbDpT10_ENKUlT_T0_E_clISt17integral_constantIbLb0EES1I_EEDaS1D_S1E_EUlS1D_E_NS1_11comp_targetILNS1_3genE5ELNS1_11target_archE942ELNS1_3gpuE9ELNS1_3repE0EEENS1_30default_config_static_selectorELNS0_4arch9wavefront6targetE0EEEvT1_.uses_flat_scratch, 0
	.set _ZN7rocprim17ROCPRIM_400000_NS6detail17trampoline_kernelINS0_14default_configENS1_25partition_config_selectorILNS1_17partition_subalgoE6EiNS0_10empty_typeEbEEZZNS1_14partition_implILS5_6ELb0ES3_mN6thrust23THRUST_200600_302600_NS10device_ptrIiEEPS6_SD_NS0_5tupleIJSC_S6_EEENSE_IJSD_SD_EEES6_PlJNSA_6detail9not_fun_tINSI_10functional5actorINSK_9compositeIJNSK_27transparent_binary_operatorINSA_8equal_toIvEEEENSL_INSK_8argumentILj0EEEEENSK_5valueIiEEEEEEEEEEEE10hipError_tPvRmT3_T4_T5_T6_T7_T9_mT8_P12ihipStream_tbDpT10_ENKUlT_T0_E_clISt17integral_constantIbLb0EES1I_EEDaS1D_S1E_EUlS1D_E_NS1_11comp_targetILNS1_3genE5ELNS1_11target_archE942ELNS1_3gpuE9ELNS1_3repE0EEENS1_30default_config_static_selectorELNS0_4arch9wavefront6targetE0EEEvT1_.has_dyn_sized_stack, 0
	.set _ZN7rocprim17ROCPRIM_400000_NS6detail17trampoline_kernelINS0_14default_configENS1_25partition_config_selectorILNS1_17partition_subalgoE6EiNS0_10empty_typeEbEEZZNS1_14partition_implILS5_6ELb0ES3_mN6thrust23THRUST_200600_302600_NS10device_ptrIiEEPS6_SD_NS0_5tupleIJSC_S6_EEENSE_IJSD_SD_EEES6_PlJNSA_6detail9not_fun_tINSI_10functional5actorINSK_9compositeIJNSK_27transparent_binary_operatorINSA_8equal_toIvEEEENSL_INSK_8argumentILj0EEEEENSK_5valueIiEEEEEEEEEEEE10hipError_tPvRmT3_T4_T5_T6_T7_T9_mT8_P12ihipStream_tbDpT10_ENKUlT_T0_E_clISt17integral_constantIbLb0EES1I_EEDaS1D_S1E_EUlS1D_E_NS1_11comp_targetILNS1_3genE5ELNS1_11target_archE942ELNS1_3gpuE9ELNS1_3repE0EEENS1_30default_config_static_selectorELNS0_4arch9wavefront6targetE0EEEvT1_.has_recursion, 0
	.set _ZN7rocprim17ROCPRIM_400000_NS6detail17trampoline_kernelINS0_14default_configENS1_25partition_config_selectorILNS1_17partition_subalgoE6EiNS0_10empty_typeEbEEZZNS1_14partition_implILS5_6ELb0ES3_mN6thrust23THRUST_200600_302600_NS10device_ptrIiEEPS6_SD_NS0_5tupleIJSC_S6_EEENSE_IJSD_SD_EEES6_PlJNSA_6detail9not_fun_tINSI_10functional5actorINSK_9compositeIJNSK_27transparent_binary_operatorINSA_8equal_toIvEEEENSL_INSK_8argumentILj0EEEEENSK_5valueIiEEEEEEEEEEEE10hipError_tPvRmT3_T4_T5_T6_T7_T9_mT8_P12ihipStream_tbDpT10_ENKUlT_T0_E_clISt17integral_constantIbLb0EES1I_EEDaS1D_S1E_EUlS1D_E_NS1_11comp_targetILNS1_3genE5ELNS1_11target_archE942ELNS1_3gpuE9ELNS1_3repE0EEENS1_30default_config_static_selectorELNS0_4arch9wavefront6targetE0EEEvT1_.has_indirect_call, 0
	.section	.AMDGPU.csdata,"",@progbits
; Kernel info:
; codeLenInByte = 0
; TotalNumSgprs: 0
; NumVgprs: 0
; ScratchSize: 0
; MemoryBound: 0
; FloatMode: 240
; IeeeMode: 1
; LDSByteSize: 0 bytes/workgroup (compile time only)
; SGPRBlocks: 0
; VGPRBlocks: 0
; NumSGPRsForWavesPerEU: 1
; NumVGPRsForWavesPerEU: 1
; Occupancy: 16
; WaveLimiterHint : 0
; COMPUTE_PGM_RSRC2:SCRATCH_EN: 0
; COMPUTE_PGM_RSRC2:USER_SGPR: 2
; COMPUTE_PGM_RSRC2:TRAP_HANDLER: 0
; COMPUTE_PGM_RSRC2:TGID_X_EN: 1
; COMPUTE_PGM_RSRC2:TGID_Y_EN: 0
; COMPUTE_PGM_RSRC2:TGID_Z_EN: 0
; COMPUTE_PGM_RSRC2:TIDIG_COMP_CNT: 0
	.section	.text._ZN7rocprim17ROCPRIM_400000_NS6detail17trampoline_kernelINS0_14default_configENS1_25partition_config_selectorILNS1_17partition_subalgoE6EiNS0_10empty_typeEbEEZZNS1_14partition_implILS5_6ELb0ES3_mN6thrust23THRUST_200600_302600_NS10device_ptrIiEEPS6_SD_NS0_5tupleIJSC_S6_EEENSE_IJSD_SD_EEES6_PlJNSA_6detail9not_fun_tINSI_10functional5actorINSK_9compositeIJNSK_27transparent_binary_operatorINSA_8equal_toIvEEEENSL_INSK_8argumentILj0EEEEENSK_5valueIiEEEEEEEEEEEE10hipError_tPvRmT3_T4_T5_T6_T7_T9_mT8_P12ihipStream_tbDpT10_ENKUlT_T0_E_clISt17integral_constantIbLb0EES1I_EEDaS1D_S1E_EUlS1D_E_NS1_11comp_targetILNS1_3genE4ELNS1_11target_archE910ELNS1_3gpuE8ELNS1_3repE0EEENS1_30default_config_static_selectorELNS0_4arch9wavefront6targetE0EEEvT1_,"axG",@progbits,_ZN7rocprim17ROCPRIM_400000_NS6detail17trampoline_kernelINS0_14default_configENS1_25partition_config_selectorILNS1_17partition_subalgoE6EiNS0_10empty_typeEbEEZZNS1_14partition_implILS5_6ELb0ES3_mN6thrust23THRUST_200600_302600_NS10device_ptrIiEEPS6_SD_NS0_5tupleIJSC_S6_EEENSE_IJSD_SD_EEES6_PlJNSA_6detail9not_fun_tINSI_10functional5actorINSK_9compositeIJNSK_27transparent_binary_operatorINSA_8equal_toIvEEEENSL_INSK_8argumentILj0EEEEENSK_5valueIiEEEEEEEEEEEE10hipError_tPvRmT3_T4_T5_T6_T7_T9_mT8_P12ihipStream_tbDpT10_ENKUlT_T0_E_clISt17integral_constantIbLb0EES1I_EEDaS1D_S1E_EUlS1D_E_NS1_11comp_targetILNS1_3genE4ELNS1_11target_archE910ELNS1_3gpuE8ELNS1_3repE0EEENS1_30default_config_static_selectorELNS0_4arch9wavefront6targetE0EEEvT1_,comdat
	.protected	_ZN7rocprim17ROCPRIM_400000_NS6detail17trampoline_kernelINS0_14default_configENS1_25partition_config_selectorILNS1_17partition_subalgoE6EiNS0_10empty_typeEbEEZZNS1_14partition_implILS5_6ELb0ES3_mN6thrust23THRUST_200600_302600_NS10device_ptrIiEEPS6_SD_NS0_5tupleIJSC_S6_EEENSE_IJSD_SD_EEES6_PlJNSA_6detail9not_fun_tINSI_10functional5actorINSK_9compositeIJNSK_27transparent_binary_operatorINSA_8equal_toIvEEEENSL_INSK_8argumentILj0EEEEENSK_5valueIiEEEEEEEEEEEE10hipError_tPvRmT3_T4_T5_T6_T7_T9_mT8_P12ihipStream_tbDpT10_ENKUlT_T0_E_clISt17integral_constantIbLb0EES1I_EEDaS1D_S1E_EUlS1D_E_NS1_11comp_targetILNS1_3genE4ELNS1_11target_archE910ELNS1_3gpuE8ELNS1_3repE0EEENS1_30default_config_static_selectorELNS0_4arch9wavefront6targetE0EEEvT1_ ; -- Begin function _ZN7rocprim17ROCPRIM_400000_NS6detail17trampoline_kernelINS0_14default_configENS1_25partition_config_selectorILNS1_17partition_subalgoE6EiNS0_10empty_typeEbEEZZNS1_14partition_implILS5_6ELb0ES3_mN6thrust23THRUST_200600_302600_NS10device_ptrIiEEPS6_SD_NS0_5tupleIJSC_S6_EEENSE_IJSD_SD_EEES6_PlJNSA_6detail9not_fun_tINSI_10functional5actorINSK_9compositeIJNSK_27transparent_binary_operatorINSA_8equal_toIvEEEENSL_INSK_8argumentILj0EEEEENSK_5valueIiEEEEEEEEEEEE10hipError_tPvRmT3_T4_T5_T6_T7_T9_mT8_P12ihipStream_tbDpT10_ENKUlT_T0_E_clISt17integral_constantIbLb0EES1I_EEDaS1D_S1E_EUlS1D_E_NS1_11comp_targetILNS1_3genE4ELNS1_11target_archE910ELNS1_3gpuE8ELNS1_3repE0EEENS1_30default_config_static_selectorELNS0_4arch9wavefront6targetE0EEEvT1_
	.globl	_ZN7rocprim17ROCPRIM_400000_NS6detail17trampoline_kernelINS0_14default_configENS1_25partition_config_selectorILNS1_17partition_subalgoE6EiNS0_10empty_typeEbEEZZNS1_14partition_implILS5_6ELb0ES3_mN6thrust23THRUST_200600_302600_NS10device_ptrIiEEPS6_SD_NS0_5tupleIJSC_S6_EEENSE_IJSD_SD_EEES6_PlJNSA_6detail9not_fun_tINSI_10functional5actorINSK_9compositeIJNSK_27transparent_binary_operatorINSA_8equal_toIvEEEENSL_INSK_8argumentILj0EEEEENSK_5valueIiEEEEEEEEEEEE10hipError_tPvRmT3_T4_T5_T6_T7_T9_mT8_P12ihipStream_tbDpT10_ENKUlT_T0_E_clISt17integral_constantIbLb0EES1I_EEDaS1D_S1E_EUlS1D_E_NS1_11comp_targetILNS1_3genE4ELNS1_11target_archE910ELNS1_3gpuE8ELNS1_3repE0EEENS1_30default_config_static_selectorELNS0_4arch9wavefront6targetE0EEEvT1_
	.p2align	8
	.type	_ZN7rocprim17ROCPRIM_400000_NS6detail17trampoline_kernelINS0_14default_configENS1_25partition_config_selectorILNS1_17partition_subalgoE6EiNS0_10empty_typeEbEEZZNS1_14partition_implILS5_6ELb0ES3_mN6thrust23THRUST_200600_302600_NS10device_ptrIiEEPS6_SD_NS0_5tupleIJSC_S6_EEENSE_IJSD_SD_EEES6_PlJNSA_6detail9not_fun_tINSI_10functional5actorINSK_9compositeIJNSK_27transparent_binary_operatorINSA_8equal_toIvEEEENSL_INSK_8argumentILj0EEEEENSK_5valueIiEEEEEEEEEEEE10hipError_tPvRmT3_T4_T5_T6_T7_T9_mT8_P12ihipStream_tbDpT10_ENKUlT_T0_E_clISt17integral_constantIbLb0EES1I_EEDaS1D_S1E_EUlS1D_E_NS1_11comp_targetILNS1_3genE4ELNS1_11target_archE910ELNS1_3gpuE8ELNS1_3repE0EEENS1_30default_config_static_selectorELNS0_4arch9wavefront6targetE0EEEvT1_,@function
_ZN7rocprim17ROCPRIM_400000_NS6detail17trampoline_kernelINS0_14default_configENS1_25partition_config_selectorILNS1_17partition_subalgoE6EiNS0_10empty_typeEbEEZZNS1_14partition_implILS5_6ELb0ES3_mN6thrust23THRUST_200600_302600_NS10device_ptrIiEEPS6_SD_NS0_5tupleIJSC_S6_EEENSE_IJSD_SD_EEES6_PlJNSA_6detail9not_fun_tINSI_10functional5actorINSK_9compositeIJNSK_27transparent_binary_operatorINSA_8equal_toIvEEEENSL_INSK_8argumentILj0EEEEENSK_5valueIiEEEEEEEEEEEE10hipError_tPvRmT3_T4_T5_T6_T7_T9_mT8_P12ihipStream_tbDpT10_ENKUlT_T0_E_clISt17integral_constantIbLb0EES1I_EEDaS1D_S1E_EUlS1D_E_NS1_11comp_targetILNS1_3genE4ELNS1_11target_archE910ELNS1_3gpuE8ELNS1_3repE0EEENS1_30default_config_static_selectorELNS0_4arch9wavefront6targetE0EEEvT1_: ; @_ZN7rocprim17ROCPRIM_400000_NS6detail17trampoline_kernelINS0_14default_configENS1_25partition_config_selectorILNS1_17partition_subalgoE6EiNS0_10empty_typeEbEEZZNS1_14partition_implILS5_6ELb0ES3_mN6thrust23THRUST_200600_302600_NS10device_ptrIiEEPS6_SD_NS0_5tupleIJSC_S6_EEENSE_IJSD_SD_EEES6_PlJNSA_6detail9not_fun_tINSI_10functional5actorINSK_9compositeIJNSK_27transparent_binary_operatorINSA_8equal_toIvEEEENSL_INSK_8argumentILj0EEEEENSK_5valueIiEEEEEEEEEEEE10hipError_tPvRmT3_T4_T5_T6_T7_T9_mT8_P12ihipStream_tbDpT10_ENKUlT_T0_E_clISt17integral_constantIbLb0EES1I_EEDaS1D_S1E_EUlS1D_E_NS1_11comp_targetILNS1_3genE4ELNS1_11target_archE910ELNS1_3gpuE8ELNS1_3repE0EEENS1_30default_config_static_selectorELNS0_4arch9wavefront6targetE0EEEvT1_
; %bb.0:
	.section	.rodata,"a",@progbits
	.p2align	6, 0x0
	.amdhsa_kernel _ZN7rocprim17ROCPRIM_400000_NS6detail17trampoline_kernelINS0_14default_configENS1_25partition_config_selectorILNS1_17partition_subalgoE6EiNS0_10empty_typeEbEEZZNS1_14partition_implILS5_6ELb0ES3_mN6thrust23THRUST_200600_302600_NS10device_ptrIiEEPS6_SD_NS0_5tupleIJSC_S6_EEENSE_IJSD_SD_EEES6_PlJNSA_6detail9not_fun_tINSI_10functional5actorINSK_9compositeIJNSK_27transparent_binary_operatorINSA_8equal_toIvEEEENSL_INSK_8argumentILj0EEEEENSK_5valueIiEEEEEEEEEEEE10hipError_tPvRmT3_T4_T5_T6_T7_T9_mT8_P12ihipStream_tbDpT10_ENKUlT_T0_E_clISt17integral_constantIbLb0EES1I_EEDaS1D_S1E_EUlS1D_E_NS1_11comp_targetILNS1_3genE4ELNS1_11target_archE910ELNS1_3gpuE8ELNS1_3repE0EEENS1_30default_config_static_selectorELNS0_4arch9wavefront6targetE0EEEvT1_
		.amdhsa_group_segment_fixed_size 0
		.amdhsa_private_segment_fixed_size 0
		.amdhsa_kernarg_size 120
		.amdhsa_user_sgpr_count 2
		.amdhsa_user_sgpr_dispatch_ptr 0
		.amdhsa_user_sgpr_queue_ptr 0
		.amdhsa_user_sgpr_kernarg_segment_ptr 1
		.amdhsa_user_sgpr_dispatch_id 0
		.amdhsa_user_sgpr_private_segment_size 0
		.amdhsa_wavefront_size32 1
		.amdhsa_uses_dynamic_stack 0
		.amdhsa_enable_private_segment 0
		.amdhsa_system_sgpr_workgroup_id_x 1
		.amdhsa_system_sgpr_workgroup_id_y 0
		.amdhsa_system_sgpr_workgroup_id_z 0
		.amdhsa_system_sgpr_workgroup_info 0
		.amdhsa_system_vgpr_workitem_id 0
		.amdhsa_next_free_vgpr 1
		.amdhsa_next_free_sgpr 1
		.amdhsa_reserve_vcc 0
		.amdhsa_float_round_mode_32 0
		.amdhsa_float_round_mode_16_64 0
		.amdhsa_float_denorm_mode_32 3
		.amdhsa_float_denorm_mode_16_64 3
		.amdhsa_fp16_overflow 0
		.amdhsa_workgroup_processor_mode 1
		.amdhsa_memory_ordered 1
		.amdhsa_forward_progress 1
		.amdhsa_inst_pref_size 0
		.amdhsa_round_robin_scheduling 0
		.amdhsa_exception_fp_ieee_invalid_op 0
		.amdhsa_exception_fp_denorm_src 0
		.amdhsa_exception_fp_ieee_div_zero 0
		.amdhsa_exception_fp_ieee_overflow 0
		.amdhsa_exception_fp_ieee_underflow 0
		.amdhsa_exception_fp_ieee_inexact 0
		.amdhsa_exception_int_div_zero 0
	.end_amdhsa_kernel
	.section	.text._ZN7rocprim17ROCPRIM_400000_NS6detail17trampoline_kernelINS0_14default_configENS1_25partition_config_selectorILNS1_17partition_subalgoE6EiNS0_10empty_typeEbEEZZNS1_14partition_implILS5_6ELb0ES3_mN6thrust23THRUST_200600_302600_NS10device_ptrIiEEPS6_SD_NS0_5tupleIJSC_S6_EEENSE_IJSD_SD_EEES6_PlJNSA_6detail9not_fun_tINSI_10functional5actorINSK_9compositeIJNSK_27transparent_binary_operatorINSA_8equal_toIvEEEENSL_INSK_8argumentILj0EEEEENSK_5valueIiEEEEEEEEEEEE10hipError_tPvRmT3_T4_T5_T6_T7_T9_mT8_P12ihipStream_tbDpT10_ENKUlT_T0_E_clISt17integral_constantIbLb0EES1I_EEDaS1D_S1E_EUlS1D_E_NS1_11comp_targetILNS1_3genE4ELNS1_11target_archE910ELNS1_3gpuE8ELNS1_3repE0EEENS1_30default_config_static_selectorELNS0_4arch9wavefront6targetE0EEEvT1_,"axG",@progbits,_ZN7rocprim17ROCPRIM_400000_NS6detail17trampoline_kernelINS0_14default_configENS1_25partition_config_selectorILNS1_17partition_subalgoE6EiNS0_10empty_typeEbEEZZNS1_14partition_implILS5_6ELb0ES3_mN6thrust23THRUST_200600_302600_NS10device_ptrIiEEPS6_SD_NS0_5tupleIJSC_S6_EEENSE_IJSD_SD_EEES6_PlJNSA_6detail9not_fun_tINSI_10functional5actorINSK_9compositeIJNSK_27transparent_binary_operatorINSA_8equal_toIvEEEENSL_INSK_8argumentILj0EEEEENSK_5valueIiEEEEEEEEEEEE10hipError_tPvRmT3_T4_T5_T6_T7_T9_mT8_P12ihipStream_tbDpT10_ENKUlT_T0_E_clISt17integral_constantIbLb0EES1I_EEDaS1D_S1E_EUlS1D_E_NS1_11comp_targetILNS1_3genE4ELNS1_11target_archE910ELNS1_3gpuE8ELNS1_3repE0EEENS1_30default_config_static_selectorELNS0_4arch9wavefront6targetE0EEEvT1_,comdat
.Lfunc_end2847:
	.size	_ZN7rocprim17ROCPRIM_400000_NS6detail17trampoline_kernelINS0_14default_configENS1_25partition_config_selectorILNS1_17partition_subalgoE6EiNS0_10empty_typeEbEEZZNS1_14partition_implILS5_6ELb0ES3_mN6thrust23THRUST_200600_302600_NS10device_ptrIiEEPS6_SD_NS0_5tupleIJSC_S6_EEENSE_IJSD_SD_EEES6_PlJNSA_6detail9not_fun_tINSI_10functional5actorINSK_9compositeIJNSK_27transparent_binary_operatorINSA_8equal_toIvEEEENSL_INSK_8argumentILj0EEEEENSK_5valueIiEEEEEEEEEEEE10hipError_tPvRmT3_T4_T5_T6_T7_T9_mT8_P12ihipStream_tbDpT10_ENKUlT_T0_E_clISt17integral_constantIbLb0EES1I_EEDaS1D_S1E_EUlS1D_E_NS1_11comp_targetILNS1_3genE4ELNS1_11target_archE910ELNS1_3gpuE8ELNS1_3repE0EEENS1_30default_config_static_selectorELNS0_4arch9wavefront6targetE0EEEvT1_, .Lfunc_end2847-_ZN7rocprim17ROCPRIM_400000_NS6detail17trampoline_kernelINS0_14default_configENS1_25partition_config_selectorILNS1_17partition_subalgoE6EiNS0_10empty_typeEbEEZZNS1_14partition_implILS5_6ELb0ES3_mN6thrust23THRUST_200600_302600_NS10device_ptrIiEEPS6_SD_NS0_5tupleIJSC_S6_EEENSE_IJSD_SD_EEES6_PlJNSA_6detail9not_fun_tINSI_10functional5actorINSK_9compositeIJNSK_27transparent_binary_operatorINSA_8equal_toIvEEEENSL_INSK_8argumentILj0EEEEENSK_5valueIiEEEEEEEEEEEE10hipError_tPvRmT3_T4_T5_T6_T7_T9_mT8_P12ihipStream_tbDpT10_ENKUlT_T0_E_clISt17integral_constantIbLb0EES1I_EEDaS1D_S1E_EUlS1D_E_NS1_11comp_targetILNS1_3genE4ELNS1_11target_archE910ELNS1_3gpuE8ELNS1_3repE0EEENS1_30default_config_static_selectorELNS0_4arch9wavefront6targetE0EEEvT1_
                                        ; -- End function
	.set _ZN7rocprim17ROCPRIM_400000_NS6detail17trampoline_kernelINS0_14default_configENS1_25partition_config_selectorILNS1_17partition_subalgoE6EiNS0_10empty_typeEbEEZZNS1_14partition_implILS5_6ELb0ES3_mN6thrust23THRUST_200600_302600_NS10device_ptrIiEEPS6_SD_NS0_5tupleIJSC_S6_EEENSE_IJSD_SD_EEES6_PlJNSA_6detail9not_fun_tINSI_10functional5actorINSK_9compositeIJNSK_27transparent_binary_operatorINSA_8equal_toIvEEEENSL_INSK_8argumentILj0EEEEENSK_5valueIiEEEEEEEEEEEE10hipError_tPvRmT3_T4_T5_T6_T7_T9_mT8_P12ihipStream_tbDpT10_ENKUlT_T0_E_clISt17integral_constantIbLb0EES1I_EEDaS1D_S1E_EUlS1D_E_NS1_11comp_targetILNS1_3genE4ELNS1_11target_archE910ELNS1_3gpuE8ELNS1_3repE0EEENS1_30default_config_static_selectorELNS0_4arch9wavefront6targetE0EEEvT1_.num_vgpr, 0
	.set _ZN7rocprim17ROCPRIM_400000_NS6detail17trampoline_kernelINS0_14default_configENS1_25partition_config_selectorILNS1_17partition_subalgoE6EiNS0_10empty_typeEbEEZZNS1_14partition_implILS5_6ELb0ES3_mN6thrust23THRUST_200600_302600_NS10device_ptrIiEEPS6_SD_NS0_5tupleIJSC_S6_EEENSE_IJSD_SD_EEES6_PlJNSA_6detail9not_fun_tINSI_10functional5actorINSK_9compositeIJNSK_27transparent_binary_operatorINSA_8equal_toIvEEEENSL_INSK_8argumentILj0EEEEENSK_5valueIiEEEEEEEEEEEE10hipError_tPvRmT3_T4_T5_T6_T7_T9_mT8_P12ihipStream_tbDpT10_ENKUlT_T0_E_clISt17integral_constantIbLb0EES1I_EEDaS1D_S1E_EUlS1D_E_NS1_11comp_targetILNS1_3genE4ELNS1_11target_archE910ELNS1_3gpuE8ELNS1_3repE0EEENS1_30default_config_static_selectorELNS0_4arch9wavefront6targetE0EEEvT1_.num_agpr, 0
	.set _ZN7rocprim17ROCPRIM_400000_NS6detail17trampoline_kernelINS0_14default_configENS1_25partition_config_selectorILNS1_17partition_subalgoE6EiNS0_10empty_typeEbEEZZNS1_14partition_implILS5_6ELb0ES3_mN6thrust23THRUST_200600_302600_NS10device_ptrIiEEPS6_SD_NS0_5tupleIJSC_S6_EEENSE_IJSD_SD_EEES6_PlJNSA_6detail9not_fun_tINSI_10functional5actorINSK_9compositeIJNSK_27transparent_binary_operatorINSA_8equal_toIvEEEENSL_INSK_8argumentILj0EEEEENSK_5valueIiEEEEEEEEEEEE10hipError_tPvRmT3_T4_T5_T6_T7_T9_mT8_P12ihipStream_tbDpT10_ENKUlT_T0_E_clISt17integral_constantIbLb0EES1I_EEDaS1D_S1E_EUlS1D_E_NS1_11comp_targetILNS1_3genE4ELNS1_11target_archE910ELNS1_3gpuE8ELNS1_3repE0EEENS1_30default_config_static_selectorELNS0_4arch9wavefront6targetE0EEEvT1_.numbered_sgpr, 0
	.set _ZN7rocprim17ROCPRIM_400000_NS6detail17trampoline_kernelINS0_14default_configENS1_25partition_config_selectorILNS1_17partition_subalgoE6EiNS0_10empty_typeEbEEZZNS1_14partition_implILS5_6ELb0ES3_mN6thrust23THRUST_200600_302600_NS10device_ptrIiEEPS6_SD_NS0_5tupleIJSC_S6_EEENSE_IJSD_SD_EEES6_PlJNSA_6detail9not_fun_tINSI_10functional5actorINSK_9compositeIJNSK_27transparent_binary_operatorINSA_8equal_toIvEEEENSL_INSK_8argumentILj0EEEEENSK_5valueIiEEEEEEEEEEEE10hipError_tPvRmT3_T4_T5_T6_T7_T9_mT8_P12ihipStream_tbDpT10_ENKUlT_T0_E_clISt17integral_constantIbLb0EES1I_EEDaS1D_S1E_EUlS1D_E_NS1_11comp_targetILNS1_3genE4ELNS1_11target_archE910ELNS1_3gpuE8ELNS1_3repE0EEENS1_30default_config_static_selectorELNS0_4arch9wavefront6targetE0EEEvT1_.num_named_barrier, 0
	.set _ZN7rocprim17ROCPRIM_400000_NS6detail17trampoline_kernelINS0_14default_configENS1_25partition_config_selectorILNS1_17partition_subalgoE6EiNS0_10empty_typeEbEEZZNS1_14partition_implILS5_6ELb0ES3_mN6thrust23THRUST_200600_302600_NS10device_ptrIiEEPS6_SD_NS0_5tupleIJSC_S6_EEENSE_IJSD_SD_EEES6_PlJNSA_6detail9not_fun_tINSI_10functional5actorINSK_9compositeIJNSK_27transparent_binary_operatorINSA_8equal_toIvEEEENSL_INSK_8argumentILj0EEEEENSK_5valueIiEEEEEEEEEEEE10hipError_tPvRmT3_T4_T5_T6_T7_T9_mT8_P12ihipStream_tbDpT10_ENKUlT_T0_E_clISt17integral_constantIbLb0EES1I_EEDaS1D_S1E_EUlS1D_E_NS1_11comp_targetILNS1_3genE4ELNS1_11target_archE910ELNS1_3gpuE8ELNS1_3repE0EEENS1_30default_config_static_selectorELNS0_4arch9wavefront6targetE0EEEvT1_.private_seg_size, 0
	.set _ZN7rocprim17ROCPRIM_400000_NS6detail17trampoline_kernelINS0_14default_configENS1_25partition_config_selectorILNS1_17partition_subalgoE6EiNS0_10empty_typeEbEEZZNS1_14partition_implILS5_6ELb0ES3_mN6thrust23THRUST_200600_302600_NS10device_ptrIiEEPS6_SD_NS0_5tupleIJSC_S6_EEENSE_IJSD_SD_EEES6_PlJNSA_6detail9not_fun_tINSI_10functional5actorINSK_9compositeIJNSK_27transparent_binary_operatorINSA_8equal_toIvEEEENSL_INSK_8argumentILj0EEEEENSK_5valueIiEEEEEEEEEEEE10hipError_tPvRmT3_T4_T5_T6_T7_T9_mT8_P12ihipStream_tbDpT10_ENKUlT_T0_E_clISt17integral_constantIbLb0EES1I_EEDaS1D_S1E_EUlS1D_E_NS1_11comp_targetILNS1_3genE4ELNS1_11target_archE910ELNS1_3gpuE8ELNS1_3repE0EEENS1_30default_config_static_selectorELNS0_4arch9wavefront6targetE0EEEvT1_.uses_vcc, 0
	.set _ZN7rocprim17ROCPRIM_400000_NS6detail17trampoline_kernelINS0_14default_configENS1_25partition_config_selectorILNS1_17partition_subalgoE6EiNS0_10empty_typeEbEEZZNS1_14partition_implILS5_6ELb0ES3_mN6thrust23THRUST_200600_302600_NS10device_ptrIiEEPS6_SD_NS0_5tupleIJSC_S6_EEENSE_IJSD_SD_EEES6_PlJNSA_6detail9not_fun_tINSI_10functional5actorINSK_9compositeIJNSK_27transparent_binary_operatorINSA_8equal_toIvEEEENSL_INSK_8argumentILj0EEEEENSK_5valueIiEEEEEEEEEEEE10hipError_tPvRmT3_T4_T5_T6_T7_T9_mT8_P12ihipStream_tbDpT10_ENKUlT_T0_E_clISt17integral_constantIbLb0EES1I_EEDaS1D_S1E_EUlS1D_E_NS1_11comp_targetILNS1_3genE4ELNS1_11target_archE910ELNS1_3gpuE8ELNS1_3repE0EEENS1_30default_config_static_selectorELNS0_4arch9wavefront6targetE0EEEvT1_.uses_flat_scratch, 0
	.set _ZN7rocprim17ROCPRIM_400000_NS6detail17trampoline_kernelINS0_14default_configENS1_25partition_config_selectorILNS1_17partition_subalgoE6EiNS0_10empty_typeEbEEZZNS1_14partition_implILS5_6ELb0ES3_mN6thrust23THRUST_200600_302600_NS10device_ptrIiEEPS6_SD_NS0_5tupleIJSC_S6_EEENSE_IJSD_SD_EEES6_PlJNSA_6detail9not_fun_tINSI_10functional5actorINSK_9compositeIJNSK_27transparent_binary_operatorINSA_8equal_toIvEEEENSL_INSK_8argumentILj0EEEEENSK_5valueIiEEEEEEEEEEEE10hipError_tPvRmT3_T4_T5_T6_T7_T9_mT8_P12ihipStream_tbDpT10_ENKUlT_T0_E_clISt17integral_constantIbLb0EES1I_EEDaS1D_S1E_EUlS1D_E_NS1_11comp_targetILNS1_3genE4ELNS1_11target_archE910ELNS1_3gpuE8ELNS1_3repE0EEENS1_30default_config_static_selectorELNS0_4arch9wavefront6targetE0EEEvT1_.has_dyn_sized_stack, 0
	.set _ZN7rocprim17ROCPRIM_400000_NS6detail17trampoline_kernelINS0_14default_configENS1_25partition_config_selectorILNS1_17partition_subalgoE6EiNS0_10empty_typeEbEEZZNS1_14partition_implILS5_6ELb0ES3_mN6thrust23THRUST_200600_302600_NS10device_ptrIiEEPS6_SD_NS0_5tupleIJSC_S6_EEENSE_IJSD_SD_EEES6_PlJNSA_6detail9not_fun_tINSI_10functional5actorINSK_9compositeIJNSK_27transparent_binary_operatorINSA_8equal_toIvEEEENSL_INSK_8argumentILj0EEEEENSK_5valueIiEEEEEEEEEEEE10hipError_tPvRmT3_T4_T5_T6_T7_T9_mT8_P12ihipStream_tbDpT10_ENKUlT_T0_E_clISt17integral_constantIbLb0EES1I_EEDaS1D_S1E_EUlS1D_E_NS1_11comp_targetILNS1_3genE4ELNS1_11target_archE910ELNS1_3gpuE8ELNS1_3repE0EEENS1_30default_config_static_selectorELNS0_4arch9wavefront6targetE0EEEvT1_.has_recursion, 0
	.set _ZN7rocprim17ROCPRIM_400000_NS6detail17trampoline_kernelINS0_14default_configENS1_25partition_config_selectorILNS1_17partition_subalgoE6EiNS0_10empty_typeEbEEZZNS1_14partition_implILS5_6ELb0ES3_mN6thrust23THRUST_200600_302600_NS10device_ptrIiEEPS6_SD_NS0_5tupleIJSC_S6_EEENSE_IJSD_SD_EEES6_PlJNSA_6detail9not_fun_tINSI_10functional5actorINSK_9compositeIJNSK_27transparent_binary_operatorINSA_8equal_toIvEEEENSL_INSK_8argumentILj0EEEEENSK_5valueIiEEEEEEEEEEEE10hipError_tPvRmT3_T4_T5_T6_T7_T9_mT8_P12ihipStream_tbDpT10_ENKUlT_T0_E_clISt17integral_constantIbLb0EES1I_EEDaS1D_S1E_EUlS1D_E_NS1_11comp_targetILNS1_3genE4ELNS1_11target_archE910ELNS1_3gpuE8ELNS1_3repE0EEENS1_30default_config_static_selectorELNS0_4arch9wavefront6targetE0EEEvT1_.has_indirect_call, 0
	.section	.AMDGPU.csdata,"",@progbits
; Kernel info:
; codeLenInByte = 0
; TotalNumSgprs: 0
; NumVgprs: 0
; ScratchSize: 0
; MemoryBound: 0
; FloatMode: 240
; IeeeMode: 1
; LDSByteSize: 0 bytes/workgroup (compile time only)
; SGPRBlocks: 0
; VGPRBlocks: 0
; NumSGPRsForWavesPerEU: 1
; NumVGPRsForWavesPerEU: 1
; Occupancy: 16
; WaveLimiterHint : 0
; COMPUTE_PGM_RSRC2:SCRATCH_EN: 0
; COMPUTE_PGM_RSRC2:USER_SGPR: 2
; COMPUTE_PGM_RSRC2:TRAP_HANDLER: 0
; COMPUTE_PGM_RSRC2:TGID_X_EN: 1
; COMPUTE_PGM_RSRC2:TGID_Y_EN: 0
; COMPUTE_PGM_RSRC2:TGID_Z_EN: 0
; COMPUTE_PGM_RSRC2:TIDIG_COMP_CNT: 0
	.section	.text._ZN7rocprim17ROCPRIM_400000_NS6detail17trampoline_kernelINS0_14default_configENS1_25partition_config_selectorILNS1_17partition_subalgoE6EiNS0_10empty_typeEbEEZZNS1_14partition_implILS5_6ELb0ES3_mN6thrust23THRUST_200600_302600_NS10device_ptrIiEEPS6_SD_NS0_5tupleIJSC_S6_EEENSE_IJSD_SD_EEES6_PlJNSA_6detail9not_fun_tINSI_10functional5actorINSK_9compositeIJNSK_27transparent_binary_operatorINSA_8equal_toIvEEEENSL_INSK_8argumentILj0EEEEENSK_5valueIiEEEEEEEEEEEE10hipError_tPvRmT3_T4_T5_T6_T7_T9_mT8_P12ihipStream_tbDpT10_ENKUlT_T0_E_clISt17integral_constantIbLb0EES1I_EEDaS1D_S1E_EUlS1D_E_NS1_11comp_targetILNS1_3genE3ELNS1_11target_archE908ELNS1_3gpuE7ELNS1_3repE0EEENS1_30default_config_static_selectorELNS0_4arch9wavefront6targetE0EEEvT1_,"axG",@progbits,_ZN7rocprim17ROCPRIM_400000_NS6detail17trampoline_kernelINS0_14default_configENS1_25partition_config_selectorILNS1_17partition_subalgoE6EiNS0_10empty_typeEbEEZZNS1_14partition_implILS5_6ELb0ES3_mN6thrust23THRUST_200600_302600_NS10device_ptrIiEEPS6_SD_NS0_5tupleIJSC_S6_EEENSE_IJSD_SD_EEES6_PlJNSA_6detail9not_fun_tINSI_10functional5actorINSK_9compositeIJNSK_27transparent_binary_operatorINSA_8equal_toIvEEEENSL_INSK_8argumentILj0EEEEENSK_5valueIiEEEEEEEEEEEE10hipError_tPvRmT3_T4_T5_T6_T7_T9_mT8_P12ihipStream_tbDpT10_ENKUlT_T0_E_clISt17integral_constantIbLb0EES1I_EEDaS1D_S1E_EUlS1D_E_NS1_11comp_targetILNS1_3genE3ELNS1_11target_archE908ELNS1_3gpuE7ELNS1_3repE0EEENS1_30default_config_static_selectorELNS0_4arch9wavefront6targetE0EEEvT1_,comdat
	.protected	_ZN7rocprim17ROCPRIM_400000_NS6detail17trampoline_kernelINS0_14default_configENS1_25partition_config_selectorILNS1_17partition_subalgoE6EiNS0_10empty_typeEbEEZZNS1_14partition_implILS5_6ELb0ES3_mN6thrust23THRUST_200600_302600_NS10device_ptrIiEEPS6_SD_NS0_5tupleIJSC_S6_EEENSE_IJSD_SD_EEES6_PlJNSA_6detail9not_fun_tINSI_10functional5actorINSK_9compositeIJNSK_27transparent_binary_operatorINSA_8equal_toIvEEEENSL_INSK_8argumentILj0EEEEENSK_5valueIiEEEEEEEEEEEE10hipError_tPvRmT3_T4_T5_T6_T7_T9_mT8_P12ihipStream_tbDpT10_ENKUlT_T0_E_clISt17integral_constantIbLb0EES1I_EEDaS1D_S1E_EUlS1D_E_NS1_11comp_targetILNS1_3genE3ELNS1_11target_archE908ELNS1_3gpuE7ELNS1_3repE0EEENS1_30default_config_static_selectorELNS0_4arch9wavefront6targetE0EEEvT1_ ; -- Begin function _ZN7rocprim17ROCPRIM_400000_NS6detail17trampoline_kernelINS0_14default_configENS1_25partition_config_selectorILNS1_17partition_subalgoE6EiNS0_10empty_typeEbEEZZNS1_14partition_implILS5_6ELb0ES3_mN6thrust23THRUST_200600_302600_NS10device_ptrIiEEPS6_SD_NS0_5tupleIJSC_S6_EEENSE_IJSD_SD_EEES6_PlJNSA_6detail9not_fun_tINSI_10functional5actorINSK_9compositeIJNSK_27transparent_binary_operatorINSA_8equal_toIvEEEENSL_INSK_8argumentILj0EEEEENSK_5valueIiEEEEEEEEEEEE10hipError_tPvRmT3_T4_T5_T6_T7_T9_mT8_P12ihipStream_tbDpT10_ENKUlT_T0_E_clISt17integral_constantIbLb0EES1I_EEDaS1D_S1E_EUlS1D_E_NS1_11comp_targetILNS1_3genE3ELNS1_11target_archE908ELNS1_3gpuE7ELNS1_3repE0EEENS1_30default_config_static_selectorELNS0_4arch9wavefront6targetE0EEEvT1_
	.globl	_ZN7rocprim17ROCPRIM_400000_NS6detail17trampoline_kernelINS0_14default_configENS1_25partition_config_selectorILNS1_17partition_subalgoE6EiNS0_10empty_typeEbEEZZNS1_14partition_implILS5_6ELb0ES3_mN6thrust23THRUST_200600_302600_NS10device_ptrIiEEPS6_SD_NS0_5tupleIJSC_S6_EEENSE_IJSD_SD_EEES6_PlJNSA_6detail9not_fun_tINSI_10functional5actorINSK_9compositeIJNSK_27transparent_binary_operatorINSA_8equal_toIvEEEENSL_INSK_8argumentILj0EEEEENSK_5valueIiEEEEEEEEEEEE10hipError_tPvRmT3_T4_T5_T6_T7_T9_mT8_P12ihipStream_tbDpT10_ENKUlT_T0_E_clISt17integral_constantIbLb0EES1I_EEDaS1D_S1E_EUlS1D_E_NS1_11comp_targetILNS1_3genE3ELNS1_11target_archE908ELNS1_3gpuE7ELNS1_3repE0EEENS1_30default_config_static_selectorELNS0_4arch9wavefront6targetE0EEEvT1_
	.p2align	8
	.type	_ZN7rocprim17ROCPRIM_400000_NS6detail17trampoline_kernelINS0_14default_configENS1_25partition_config_selectorILNS1_17partition_subalgoE6EiNS0_10empty_typeEbEEZZNS1_14partition_implILS5_6ELb0ES3_mN6thrust23THRUST_200600_302600_NS10device_ptrIiEEPS6_SD_NS0_5tupleIJSC_S6_EEENSE_IJSD_SD_EEES6_PlJNSA_6detail9not_fun_tINSI_10functional5actorINSK_9compositeIJNSK_27transparent_binary_operatorINSA_8equal_toIvEEEENSL_INSK_8argumentILj0EEEEENSK_5valueIiEEEEEEEEEEEE10hipError_tPvRmT3_T4_T5_T6_T7_T9_mT8_P12ihipStream_tbDpT10_ENKUlT_T0_E_clISt17integral_constantIbLb0EES1I_EEDaS1D_S1E_EUlS1D_E_NS1_11comp_targetILNS1_3genE3ELNS1_11target_archE908ELNS1_3gpuE7ELNS1_3repE0EEENS1_30default_config_static_selectorELNS0_4arch9wavefront6targetE0EEEvT1_,@function
_ZN7rocprim17ROCPRIM_400000_NS6detail17trampoline_kernelINS0_14default_configENS1_25partition_config_selectorILNS1_17partition_subalgoE6EiNS0_10empty_typeEbEEZZNS1_14partition_implILS5_6ELb0ES3_mN6thrust23THRUST_200600_302600_NS10device_ptrIiEEPS6_SD_NS0_5tupleIJSC_S6_EEENSE_IJSD_SD_EEES6_PlJNSA_6detail9not_fun_tINSI_10functional5actorINSK_9compositeIJNSK_27transparent_binary_operatorINSA_8equal_toIvEEEENSL_INSK_8argumentILj0EEEEENSK_5valueIiEEEEEEEEEEEE10hipError_tPvRmT3_T4_T5_T6_T7_T9_mT8_P12ihipStream_tbDpT10_ENKUlT_T0_E_clISt17integral_constantIbLb0EES1I_EEDaS1D_S1E_EUlS1D_E_NS1_11comp_targetILNS1_3genE3ELNS1_11target_archE908ELNS1_3gpuE7ELNS1_3repE0EEENS1_30default_config_static_selectorELNS0_4arch9wavefront6targetE0EEEvT1_: ; @_ZN7rocprim17ROCPRIM_400000_NS6detail17trampoline_kernelINS0_14default_configENS1_25partition_config_selectorILNS1_17partition_subalgoE6EiNS0_10empty_typeEbEEZZNS1_14partition_implILS5_6ELb0ES3_mN6thrust23THRUST_200600_302600_NS10device_ptrIiEEPS6_SD_NS0_5tupleIJSC_S6_EEENSE_IJSD_SD_EEES6_PlJNSA_6detail9not_fun_tINSI_10functional5actorINSK_9compositeIJNSK_27transparent_binary_operatorINSA_8equal_toIvEEEENSL_INSK_8argumentILj0EEEEENSK_5valueIiEEEEEEEEEEEE10hipError_tPvRmT3_T4_T5_T6_T7_T9_mT8_P12ihipStream_tbDpT10_ENKUlT_T0_E_clISt17integral_constantIbLb0EES1I_EEDaS1D_S1E_EUlS1D_E_NS1_11comp_targetILNS1_3genE3ELNS1_11target_archE908ELNS1_3gpuE7ELNS1_3repE0EEENS1_30default_config_static_selectorELNS0_4arch9wavefront6targetE0EEEvT1_
; %bb.0:
	.section	.rodata,"a",@progbits
	.p2align	6, 0x0
	.amdhsa_kernel _ZN7rocprim17ROCPRIM_400000_NS6detail17trampoline_kernelINS0_14default_configENS1_25partition_config_selectorILNS1_17partition_subalgoE6EiNS0_10empty_typeEbEEZZNS1_14partition_implILS5_6ELb0ES3_mN6thrust23THRUST_200600_302600_NS10device_ptrIiEEPS6_SD_NS0_5tupleIJSC_S6_EEENSE_IJSD_SD_EEES6_PlJNSA_6detail9not_fun_tINSI_10functional5actorINSK_9compositeIJNSK_27transparent_binary_operatorINSA_8equal_toIvEEEENSL_INSK_8argumentILj0EEEEENSK_5valueIiEEEEEEEEEEEE10hipError_tPvRmT3_T4_T5_T6_T7_T9_mT8_P12ihipStream_tbDpT10_ENKUlT_T0_E_clISt17integral_constantIbLb0EES1I_EEDaS1D_S1E_EUlS1D_E_NS1_11comp_targetILNS1_3genE3ELNS1_11target_archE908ELNS1_3gpuE7ELNS1_3repE0EEENS1_30default_config_static_selectorELNS0_4arch9wavefront6targetE0EEEvT1_
		.amdhsa_group_segment_fixed_size 0
		.amdhsa_private_segment_fixed_size 0
		.amdhsa_kernarg_size 120
		.amdhsa_user_sgpr_count 2
		.amdhsa_user_sgpr_dispatch_ptr 0
		.amdhsa_user_sgpr_queue_ptr 0
		.amdhsa_user_sgpr_kernarg_segment_ptr 1
		.amdhsa_user_sgpr_dispatch_id 0
		.amdhsa_user_sgpr_private_segment_size 0
		.amdhsa_wavefront_size32 1
		.amdhsa_uses_dynamic_stack 0
		.amdhsa_enable_private_segment 0
		.amdhsa_system_sgpr_workgroup_id_x 1
		.amdhsa_system_sgpr_workgroup_id_y 0
		.amdhsa_system_sgpr_workgroup_id_z 0
		.amdhsa_system_sgpr_workgroup_info 0
		.amdhsa_system_vgpr_workitem_id 0
		.amdhsa_next_free_vgpr 1
		.amdhsa_next_free_sgpr 1
		.amdhsa_reserve_vcc 0
		.amdhsa_float_round_mode_32 0
		.amdhsa_float_round_mode_16_64 0
		.amdhsa_float_denorm_mode_32 3
		.amdhsa_float_denorm_mode_16_64 3
		.amdhsa_fp16_overflow 0
		.amdhsa_workgroup_processor_mode 1
		.amdhsa_memory_ordered 1
		.amdhsa_forward_progress 1
		.amdhsa_inst_pref_size 0
		.amdhsa_round_robin_scheduling 0
		.amdhsa_exception_fp_ieee_invalid_op 0
		.amdhsa_exception_fp_denorm_src 0
		.amdhsa_exception_fp_ieee_div_zero 0
		.amdhsa_exception_fp_ieee_overflow 0
		.amdhsa_exception_fp_ieee_underflow 0
		.amdhsa_exception_fp_ieee_inexact 0
		.amdhsa_exception_int_div_zero 0
	.end_amdhsa_kernel
	.section	.text._ZN7rocprim17ROCPRIM_400000_NS6detail17trampoline_kernelINS0_14default_configENS1_25partition_config_selectorILNS1_17partition_subalgoE6EiNS0_10empty_typeEbEEZZNS1_14partition_implILS5_6ELb0ES3_mN6thrust23THRUST_200600_302600_NS10device_ptrIiEEPS6_SD_NS0_5tupleIJSC_S6_EEENSE_IJSD_SD_EEES6_PlJNSA_6detail9not_fun_tINSI_10functional5actorINSK_9compositeIJNSK_27transparent_binary_operatorINSA_8equal_toIvEEEENSL_INSK_8argumentILj0EEEEENSK_5valueIiEEEEEEEEEEEE10hipError_tPvRmT3_T4_T5_T6_T7_T9_mT8_P12ihipStream_tbDpT10_ENKUlT_T0_E_clISt17integral_constantIbLb0EES1I_EEDaS1D_S1E_EUlS1D_E_NS1_11comp_targetILNS1_3genE3ELNS1_11target_archE908ELNS1_3gpuE7ELNS1_3repE0EEENS1_30default_config_static_selectorELNS0_4arch9wavefront6targetE0EEEvT1_,"axG",@progbits,_ZN7rocprim17ROCPRIM_400000_NS6detail17trampoline_kernelINS0_14default_configENS1_25partition_config_selectorILNS1_17partition_subalgoE6EiNS0_10empty_typeEbEEZZNS1_14partition_implILS5_6ELb0ES3_mN6thrust23THRUST_200600_302600_NS10device_ptrIiEEPS6_SD_NS0_5tupleIJSC_S6_EEENSE_IJSD_SD_EEES6_PlJNSA_6detail9not_fun_tINSI_10functional5actorINSK_9compositeIJNSK_27transparent_binary_operatorINSA_8equal_toIvEEEENSL_INSK_8argumentILj0EEEEENSK_5valueIiEEEEEEEEEEEE10hipError_tPvRmT3_T4_T5_T6_T7_T9_mT8_P12ihipStream_tbDpT10_ENKUlT_T0_E_clISt17integral_constantIbLb0EES1I_EEDaS1D_S1E_EUlS1D_E_NS1_11comp_targetILNS1_3genE3ELNS1_11target_archE908ELNS1_3gpuE7ELNS1_3repE0EEENS1_30default_config_static_selectorELNS0_4arch9wavefront6targetE0EEEvT1_,comdat
.Lfunc_end2848:
	.size	_ZN7rocprim17ROCPRIM_400000_NS6detail17trampoline_kernelINS0_14default_configENS1_25partition_config_selectorILNS1_17partition_subalgoE6EiNS0_10empty_typeEbEEZZNS1_14partition_implILS5_6ELb0ES3_mN6thrust23THRUST_200600_302600_NS10device_ptrIiEEPS6_SD_NS0_5tupleIJSC_S6_EEENSE_IJSD_SD_EEES6_PlJNSA_6detail9not_fun_tINSI_10functional5actorINSK_9compositeIJNSK_27transparent_binary_operatorINSA_8equal_toIvEEEENSL_INSK_8argumentILj0EEEEENSK_5valueIiEEEEEEEEEEEE10hipError_tPvRmT3_T4_T5_T6_T7_T9_mT8_P12ihipStream_tbDpT10_ENKUlT_T0_E_clISt17integral_constantIbLb0EES1I_EEDaS1D_S1E_EUlS1D_E_NS1_11comp_targetILNS1_3genE3ELNS1_11target_archE908ELNS1_3gpuE7ELNS1_3repE0EEENS1_30default_config_static_selectorELNS0_4arch9wavefront6targetE0EEEvT1_, .Lfunc_end2848-_ZN7rocprim17ROCPRIM_400000_NS6detail17trampoline_kernelINS0_14default_configENS1_25partition_config_selectorILNS1_17partition_subalgoE6EiNS0_10empty_typeEbEEZZNS1_14partition_implILS5_6ELb0ES3_mN6thrust23THRUST_200600_302600_NS10device_ptrIiEEPS6_SD_NS0_5tupleIJSC_S6_EEENSE_IJSD_SD_EEES6_PlJNSA_6detail9not_fun_tINSI_10functional5actorINSK_9compositeIJNSK_27transparent_binary_operatorINSA_8equal_toIvEEEENSL_INSK_8argumentILj0EEEEENSK_5valueIiEEEEEEEEEEEE10hipError_tPvRmT3_T4_T5_T6_T7_T9_mT8_P12ihipStream_tbDpT10_ENKUlT_T0_E_clISt17integral_constantIbLb0EES1I_EEDaS1D_S1E_EUlS1D_E_NS1_11comp_targetILNS1_3genE3ELNS1_11target_archE908ELNS1_3gpuE7ELNS1_3repE0EEENS1_30default_config_static_selectorELNS0_4arch9wavefront6targetE0EEEvT1_
                                        ; -- End function
	.set _ZN7rocprim17ROCPRIM_400000_NS6detail17trampoline_kernelINS0_14default_configENS1_25partition_config_selectorILNS1_17partition_subalgoE6EiNS0_10empty_typeEbEEZZNS1_14partition_implILS5_6ELb0ES3_mN6thrust23THRUST_200600_302600_NS10device_ptrIiEEPS6_SD_NS0_5tupleIJSC_S6_EEENSE_IJSD_SD_EEES6_PlJNSA_6detail9not_fun_tINSI_10functional5actorINSK_9compositeIJNSK_27transparent_binary_operatorINSA_8equal_toIvEEEENSL_INSK_8argumentILj0EEEEENSK_5valueIiEEEEEEEEEEEE10hipError_tPvRmT3_T4_T5_T6_T7_T9_mT8_P12ihipStream_tbDpT10_ENKUlT_T0_E_clISt17integral_constantIbLb0EES1I_EEDaS1D_S1E_EUlS1D_E_NS1_11comp_targetILNS1_3genE3ELNS1_11target_archE908ELNS1_3gpuE7ELNS1_3repE0EEENS1_30default_config_static_selectorELNS0_4arch9wavefront6targetE0EEEvT1_.num_vgpr, 0
	.set _ZN7rocprim17ROCPRIM_400000_NS6detail17trampoline_kernelINS0_14default_configENS1_25partition_config_selectorILNS1_17partition_subalgoE6EiNS0_10empty_typeEbEEZZNS1_14partition_implILS5_6ELb0ES3_mN6thrust23THRUST_200600_302600_NS10device_ptrIiEEPS6_SD_NS0_5tupleIJSC_S6_EEENSE_IJSD_SD_EEES6_PlJNSA_6detail9not_fun_tINSI_10functional5actorINSK_9compositeIJNSK_27transparent_binary_operatorINSA_8equal_toIvEEEENSL_INSK_8argumentILj0EEEEENSK_5valueIiEEEEEEEEEEEE10hipError_tPvRmT3_T4_T5_T6_T7_T9_mT8_P12ihipStream_tbDpT10_ENKUlT_T0_E_clISt17integral_constantIbLb0EES1I_EEDaS1D_S1E_EUlS1D_E_NS1_11comp_targetILNS1_3genE3ELNS1_11target_archE908ELNS1_3gpuE7ELNS1_3repE0EEENS1_30default_config_static_selectorELNS0_4arch9wavefront6targetE0EEEvT1_.num_agpr, 0
	.set _ZN7rocprim17ROCPRIM_400000_NS6detail17trampoline_kernelINS0_14default_configENS1_25partition_config_selectorILNS1_17partition_subalgoE6EiNS0_10empty_typeEbEEZZNS1_14partition_implILS5_6ELb0ES3_mN6thrust23THRUST_200600_302600_NS10device_ptrIiEEPS6_SD_NS0_5tupleIJSC_S6_EEENSE_IJSD_SD_EEES6_PlJNSA_6detail9not_fun_tINSI_10functional5actorINSK_9compositeIJNSK_27transparent_binary_operatorINSA_8equal_toIvEEEENSL_INSK_8argumentILj0EEEEENSK_5valueIiEEEEEEEEEEEE10hipError_tPvRmT3_T4_T5_T6_T7_T9_mT8_P12ihipStream_tbDpT10_ENKUlT_T0_E_clISt17integral_constantIbLb0EES1I_EEDaS1D_S1E_EUlS1D_E_NS1_11comp_targetILNS1_3genE3ELNS1_11target_archE908ELNS1_3gpuE7ELNS1_3repE0EEENS1_30default_config_static_selectorELNS0_4arch9wavefront6targetE0EEEvT1_.numbered_sgpr, 0
	.set _ZN7rocprim17ROCPRIM_400000_NS6detail17trampoline_kernelINS0_14default_configENS1_25partition_config_selectorILNS1_17partition_subalgoE6EiNS0_10empty_typeEbEEZZNS1_14partition_implILS5_6ELb0ES3_mN6thrust23THRUST_200600_302600_NS10device_ptrIiEEPS6_SD_NS0_5tupleIJSC_S6_EEENSE_IJSD_SD_EEES6_PlJNSA_6detail9not_fun_tINSI_10functional5actorINSK_9compositeIJNSK_27transparent_binary_operatorINSA_8equal_toIvEEEENSL_INSK_8argumentILj0EEEEENSK_5valueIiEEEEEEEEEEEE10hipError_tPvRmT3_T4_T5_T6_T7_T9_mT8_P12ihipStream_tbDpT10_ENKUlT_T0_E_clISt17integral_constantIbLb0EES1I_EEDaS1D_S1E_EUlS1D_E_NS1_11comp_targetILNS1_3genE3ELNS1_11target_archE908ELNS1_3gpuE7ELNS1_3repE0EEENS1_30default_config_static_selectorELNS0_4arch9wavefront6targetE0EEEvT1_.num_named_barrier, 0
	.set _ZN7rocprim17ROCPRIM_400000_NS6detail17trampoline_kernelINS0_14default_configENS1_25partition_config_selectorILNS1_17partition_subalgoE6EiNS0_10empty_typeEbEEZZNS1_14partition_implILS5_6ELb0ES3_mN6thrust23THRUST_200600_302600_NS10device_ptrIiEEPS6_SD_NS0_5tupleIJSC_S6_EEENSE_IJSD_SD_EEES6_PlJNSA_6detail9not_fun_tINSI_10functional5actorINSK_9compositeIJNSK_27transparent_binary_operatorINSA_8equal_toIvEEEENSL_INSK_8argumentILj0EEEEENSK_5valueIiEEEEEEEEEEEE10hipError_tPvRmT3_T4_T5_T6_T7_T9_mT8_P12ihipStream_tbDpT10_ENKUlT_T0_E_clISt17integral_constantIbLb0EES1I_EEDaS1D_S1E_EUlS1D_E_NS1_11comp_targetILNS1_3genE3ELNS1_11target_archE908ELNS1_3gpuE7ELNS1_3repE0EEENS1_30default_config_static_selectorELNS0_4arch9wavefront6targetE0EEEvT1_.private_seg_size, 0
	.set _ZN7rocprim17ROCPRIM_400000_NS6detail17trampoline_kernelINS0_14default_configENS1_25partition_config_selectorILNS1_17partition_subalgoE6EiNS0_10empty_typeEbEEZZNS1_14partition_implILS5_6ELb0ES3_mN6thrust23THRUST_200600_302600_NS10device_ptrIiEEPS6_SD_NS0_5tupleIJSC_S6_EEENSE_IJSD_SD_EEES6_PlJNSA_6detail9not_fun_tINSI_10functional5actorINSK_9compositeIJNSK_27transparent_binary_operatorINSA_8equal_toIvEEEENSL_INSK_8argumentILj0EEEEENSK_5valueIiEEEEEEEEEEEE10hipError_tPvRmT3_T4_T5_T6_T7_T9_mT8_P12ihipStream_tbDpT10_ENKUlT_T0_E_clISt17integral_constantIbLb0EES1I_EEDaS1D_S1E_EUlS1D_E_NS1_11comp_targetILNS1_3genE3ELNS1_11target_archE908ELNS1_3gpuE7ELNS1_3repE0EEENS1_30default_config_static_selectorELNS0_4arch9wavefront6targetE0EEEvT1_.uses_vcc, 0
	.set _ZN7rocprim17ROCPRIM_400000_NS6detail17trampoline_kernelINS0_14default_configENS1_25partition_config_selectorILNS1_17partition_subalgoE6EiNS0_10empty_typeEbEEZZNS1_14partition_implILS5_6ELb0ES3_mN6thrust23THRUST_200600_302600_NS10device_ptrIiEEPS6_SD_NS0_5tupleIJSC_S6_EEENSE_IJSD_SD_EEES6_PlJNSA_6detail9not_fun_tINSI_10functional5actorINSK_9compositeIJNSK_27transparent_binary_operatorINSA_8equal_toIvEEEENSL_INSK_8argumentILj0EEEEENSK_5valueIiEEEEEEEEEEEE10hipError_tPvRmT3_T4_T5_T6_T7_T9_mT8_P12ihipStream_tbDpT10_ENKUlT_T0_E_clISt17integral_constantIbLb0EES1I_EEDaS1D_S1E_EUlS1D_E_NS1_11comp_targetILNS1_3genE3ELNS1_11target_archE908ELNS1_3gpuE7ELNS1_3repE0EEENS1_30default_config_static_selectorELNS0_4arch9wavefront6targetE0EEEvT1_.uses_flat_scratch, 0
	.set _ZN7rocprim17ROCPRIM_400000_NS6detail17trampoline_kernelINS0_14default_configENS1_25partition_config_selectorILNS1_17partition_subalgoE6EiNS0_10empty_typeEbEEZZNS1_14partition_implILS5_6ELb0ES3_mN6thrust23THRUST_200600_302600_NS10device_ptrIiEEPS6_SD_NS0_5tupleIJSC_S6_EEENSE_IJSD_SD_EEES6_PlJNSA_6detail9not_fun_tINSI_10functional5actorINSK_9compositeIJNSK_27transparent_binary_operatorINSA_8equal_toIvEEEENSL_INSK_8argumentILj0EEEEENSK_5valueIiEEEEEEEEEEEE10hipError_tPvRmT3_T4_T5_T6_T7_T9_mT8_P12ihipStream_tbDpT10_ENKUlT_T0_E_clISt17integral_constantIbLb0EES1I_EEDaS1D_S1E_EUlS1D_E_NS1_11comp_targetILNS1_3genE3ELNS1_11target_archE908ELNS1_3gpuE7ELNS1_3repE0EEENS1_30default_config_static_selectorELNS0_4arch9wavefront6targetE0EEEvT1_.has_dyn_sized_stack, 0
	.set _ZN7rocprim17ROCPRIM_400000_NS6detail17trampoline_kernelINS0_14default_configENS1_25partition_config_selectorILNS1_17partition_subalgoE6EiNS0_10empty_typeEbEEZZNS1_14partition_implILS5_6ELb0ES3_mN6thrust23THRUST_200600_302600_NS10device_ptrIiEEPS6_SD_NS0_5tupleIJSC_S6_EEENSE_IJSD_SD_EEES6_PlJNSA_6detail9not_fun_tINSI_10functional5actorINSK_9compositeIJNSK_27transparent_binary_operatorINSA_8equal_toIvEEEENSL_INSK_8argumentILj0EEEEENSK_5valueIiEEEEEEEEEEEE10hipError_tPvRmT3_T4_T5_T6_T7_T9_mT8_P12ihipStream_tbDpT10_ENKUlT_T0_E_clISt17integral_constantIbLb0EES1I_EEDaS1D_S1E_EUlS1D_E_NS1_11comp_targetILNS1_3genE3ELNS1_11target_archE908ELNS1_3gpuE7ELNS1_3repE0EEENS1_30default_config_static_selectorELNS0_4arch9wavefront6targetE0EEEvT1_.has_recursion, 0
	.set _ZN7rocprim17ROCPRIM_400000_NS6detail17trampoline_kernelINS0_14default_configENS1_25partition_config_selectorILNS1_17partition_subalgoE6EiNS0_10empty_typeEbEEZZNS1_14partition_implILS5_6ELb0ES3_mN6thrust23THRUST_200600_302600_NS10device_ptrIiEEPS6_SD_NS0_5tupleIJSC_S6_EEENSE_IJSD_SD_EEES6_PlJNSA_6detail9not_fun_tINSI_10functional5actorINSK_9compositeIJNSK_27transparent_binary_operatorINSA_8equal_toIvEEEENSL_INSK_8argumentILj0EEEEENSK_5valueIiEEEEEEEEEEEE10hipError_tPvRmT3_T4_T5_T6_T7_T9_mT8_P12ihipStream_tbDpT10_ENKUlT_T0_E_clISt17integral_constantIbLb0EES1I_EEDaS1D_S1E_EUlS1D_E_NS1_11comp_targetILNS1_3genE3ELNS1_11target_archE908ELNS1_3gpuE7ELNS1_3repE0EEENS1_30default_config_static_selectorELNS0_4arch9wavefront6targetE0EEEvT1_.has_indirect_call, 0
	.section	.AMDGPU.csdata,"",@progbits
; Kernel info:
; codeLenInByte = 0
; TotalNumSgprs: 0
; NumVgprs: 0
; ScratchSize: 0
; MemoryBound: 0
; FloatMode: 240
; IeeeMode: 1
; LDSByteSize: 0 bytes/workgroup (compile time only)
; SGPRBlocks: 0
; VGPRBlocks: 0
; NumSGPRsForWavesPerEU: 1
; NumVGPRsForWavesPerEU: 1
; Occupancy: 16
; WaveLimiterHint : 0
; COMPUTE_PGM_RSRC2:SCRATCH_EN: 0
; COMPUTE_PGM_RSRC2:USER_SGPR: 2
; COMPUTE_PGM_RSRC2:TRAP_HANDLER: 0
; COMPUTE_PGM_RSRC2:TGID_X_EN: 1
; COMPUTE_PGM_RSRC2:TGID_Y_EN: 0
; COMPUTE_PGM_RSRC2:TGID_Z_EN: 0
; COMPUTE_PGM_RSRC2:TIDIG_COMP_CNT: 0
	.section	.text._ZN7rocprim17ROCPRIM_400000_NS6detail17trampoline_kernelINS0_14default_configENS1_25partition_config_selectorILNS1_17partition_subalgoE6EiNS0_10empty_typeEbEEZZNS1_14partition_implILS5_6ELb0ES3_mN6thrust23THRUST_200600_302600_NS10device_ptrIiEEPS6_SD_NS0_5tupleIJSC_S6_EEENSE_IJSD_SD_EEES6_PlJNSA_6detail9not_fun_tINSI_10functional5actorINSK_9compositeIJNSK_27transparent_binary_operatorINSA_8equal_toIvEEEENSL_INSK_8argumentILj0EEEEENSK_5valueIiEEEEEEEEEEEE10hipError_tPvRmT3_T4_T5_T6_T7_T9_mT8_P12ihipStream_tbDpT10_ENKUlT_T0_E_clISt17integral_constantIbLb0EES1I_EEDaS1D_S1E_EUlS1D_E_NS1_11comp_targetILNS1_3genE2ELNS1_11target_archE906ELNS1_3gpuE6ELNS1_3repE0EEENS1_30default_config_static_selectorELNS0_4arch9wavefront6targetE0EEEvT1_,"axG",@progbits,_ZN7rocprim17ROCPRIM_400000_NS6detail17trampoline_kernelINS0_14default_configENS1_25partition_config_selectorILNS1_17partition_subalgoE6EiNS0_10empty_typeEbEEZZNS1_14partition_implILS5_6ELb0ES3_mN6thrust23THRUST_200600_302600_NS10device_ptrIiEEPS6_SD_NS0_5tupleIJSC_S6_EEENSE_IJSD_SD_EEES6_PlJNSA_6detail9not_fun_tINSI_10functional5actorINSK_9compositeIJNSK_27transparent_binary_operatorINSA_8equal_toIvEEEENSL_INSK_8argumentILj0EEEEENSK_5valueIiEEEEEEEEEEEE10hipError_tPvRmT3_T4_T5_T6_T7_T9_mT8_P12ihipStream_tbDpT10_ENKUlT_T0_E_clISt17integral_constantIbLb0EES1I_EEDaS1D_S1E_EUlS1D_E_NS1_11comp_targetILNS1_3genE2ELNS1_11target_archE906ELNS1_3gpuE6ELNS1_3repE0EEENS1_30default_config_static_selectorELNS0_4arch9wavefront6targetE0EEEvT1_,comdat
	.protected	_ZN7rocprim17ROCPRIM_400000_NS6detail17trampoline_kernelINS0_14default_configENS1_25partition_config_selectorILNS1_17partition_subalgoE6EiNS0_10empty_typeEbEEZZNS1_14partition_implILS5_6ELb0ES3_mN6thrust23THRUST_200600_302600_NS10device_ptrIiEEPS6_SD_NS0_5tupleIJSC_S6_EEENSE_IJSD_SD_EEES6_PlJNSA_6detail9not_fun_tINSI_10functional5actorINSK_9compositeIJNSK_27transparent_binary_operatorINSA_8equal_toIvEEEENSL_INSK_8argumentILj0EEEEENSK_5valueIiEEEEEEEEEEEE10hipError_tPvRmT3_T4_T5_T6_T7_T9_mT8_P12ihipStream_tbDpT10_ENKUlT_T0_E_clISt17integral_constantIbLb0EES1I_EEDaS1D_S1E_EUlS1D_E_NS1_11comp_targetILNS1_3genE2ELNS1_11target_archE906ELNS1_3gpuE6ELNS1_3repE0EEENS1_30default_config_static_selectorELNS0_4arch9wavefront6targetE0EEEvT1_ ; -- Begin function _ZN7rocprim17ROCPRIM_400000_NS6detail17trampoline_kernelINS0_14default_configENS1_25partition_config_selectorILNS1_17partition_subalgoE6EiNS0_10empty_typeEbEEZZNS1_14partition_implILS5_6ELb0ES3_mN6thrust23THRUST_200600_302600_NS10device_ptrIiEEPS6_SD_NS0_5tupleIJSC_S6_EEENSE_IJSD_SD_EEES6_PlJNSA_6detail9not_fun_tINSI_10functional5actorINSK_9compositeIJNSK_27transparent_binary_operatorINSA_8equal_toIvEEEENSL_INSK_8argumentILj0EEEEENSK_5valueIiEEEEEEEEEEEE10hipError_tPvRmT3_T4_T5_T6_T7_T9_mT8_P12ihipStream_tbDpT10_ENKUlT_T0_E_clISt17integral_constantIbLb0EES1I_EEDaS1D_S1E_EUlS1D_E_NS1_11comp_targetILNS1_3genE2ELNS1_11target_archE906ELNS1_3gpuE6ELNS1_3repE0EEENS1_30default_config_static_selectorELNS0_4arch9wavefront6targetE0EEEvT1_
	.globl	_ZN7rocprim17ROCPRIM_400000_NS6detail17trampoline_kernelINS0_14default_configENS1_25partition_config_selectorILNS1_17partition_subalgoE6EiNS0_10empty_typeEbEEZZNS1_14partition_implILS5_6ELb0ES3_mN6thrust23THRUST_200600_302600_NS10device_ptrIiEEPS6_SD_NS0_5tupleIJSC_S6_EEENSE_IJSD_SD_EEES6_PlJNSA_6detail9not_fun_tINSI_10functional5actorINSK_9compositeIJNSK_27transparent_binary_operatorINSA_8equal_toIvEEEENSL_INSK_8argumentILj0EEEEENSK_5valueIiEEEEEEEEEEEE10hipError_tPvRmT3_T4_T5_T6_T7_T9_mT8_P12ihipStream_tbDpT10_ENKUlT_T0_E_clISt17integral_constantIbLb0EES1I_EEDaS1D_S1E_EUlS1D_E_NS1_11comp_targetILNS1_3genE2ELNS1_11target_archE906ELNS1_3gpuE6ELNS1_3repE0EEENS1_30default_config_static_selectorELNS0_4arch9wavefront6targetE0EEEvT1_
	.p2align	8
	.type	_ZN7rocprim17ROCPRIM_400000_NS6detail17trampoline_kernelINS0_14default_configENS1_25partition_config_selectorILNS1_17partition_subalgoE6EiNS0_10empty_typeEbEEZZNS1_14partition_implILS5_6ELb0ES3_mN6thrust23THRUST_200600_302600_NS10device_ptrIiEEPS6_SD_NS0_5tupleIJSC_S6_EEENSE_IJSD_SD_EEES6_PlJNSA_6detail9not_fun_tINSI_10functional5actorINSK_9compositeIJNSK_27transparent_binary_operatorINSA_8equal_toIvEEEENSL_INSK_8argumentILj0EEEEENSK_5valueIiEEEEEEEEEEEE10hipError_tPvRmT3_T4_T5_T6_T7_T9_mT8_P12ihipStream_tbDpT10_ENKUlT_T0_E_clISt17integral_constantIbLb0EES1I_EEDaS1D_S1E_EUlS1D_E_NS1_11comp_targetILNS1_3genE2ELNS1_11target_archE906ELNS1_3gpuE6ELNS1_3repE0EEENS1_30default_config_static_selectorELNS0_4arch9wavefront6targetE0EEEvT1_,@function
_ZN7rocprim17ROCPRIM_400000_NS6detail17trampoline_kernelINS0_14default_configENS1_25partition_config_selectorILNS1_17partition_subalgoE6EiNS0_10empty_typeEbEEZZNS1_14partition_implILS5_6ELb0ES3_mN6thrust23THRUST_200600_302600_NS10device_ptrIiEEPS6_SD_NS0_5tupleIJSC_S6_EEENSE_IJSD_SD_EEES6_PlJNSA_6detail9not_fun_tINSI_10functional5actorINSK_9compositeIJNSK_27transparent_binary_operatorINSA_8equal_toIvEEEENSL_INSK_8argumentILj0EEEEENSK_5valueIiEEEEEEEEEEEE10hipError_tPvRmT3_T4_T5_T6_T7_T9_mT8_P12ihipStream_tbDpT10_ENKUlT_T0_E_clISt17integral_constantIbLb0EES1I_EEDaS1D_S1E_EUlS1D_E_NS1_11comp_targetILNS1_3genE2ELNS1_11target_archE906ELNS1_3gpuE6ELNS1_3repE0EEENS1_30default_config_static_selectorELNS0_4arch9wavefront6targetE0EEEvT1_: ; @_ZN7rocprim17ROCPRIM_400000_NS6detail17trampoline_kernelINS0_14default_configENS1_25partition_config_selectorILNS1_17partition_subalgoE6EiNS0_10empty_typeEbEEZZNS1_14partition_implILS5_6ELb0ES3_mN6thrust23THRUST_200600_302600_NS10device_ptrIiEEPS6_SD_NS0_5tupleIJSC_S6_EEENSE_IJSD_SD_EEES6_PlJNSA_6detail9not_fun_tINSI_10functional5actorINSK_9compositeIJNSK_27transparent_binary_operatorINSA_8equal_toIvEEEENSL_INSK_8argumentILj0EEEEENSK_5valueIiEEEEEEEEEEEE10hipError_tPvRmT3_T4_T5_T6_T7_T9_mT8_P12ihipStream_tbDpT10_ENKUlT_T0_E_clISt17integral_constantIbLb0EES1I_EEDaS1D_S1E_EUlS1D_E_NS1_11comp_targetILNS1_3genE2ELNS1_11target_archE906ELNS1_3gpuE6ELNS1_3repE0EEENS1_30default_config_static_selectorELNS0_4arch9wavefront6targetE0EEEvT1_
; %bb.0:
	.section	.rodata,"a",@progbits
	.p2align	6, 0x0
	.amdhsa_kernel _ZN7rocprim17ROCPRIM_400000_NS6detail17trampoline_kernelINS0_14default_configENS1_25partition_config_selectorILNS1_17partition_subalgoE6EiNS0_10empty_typeEbEEZZNS1_14partition_implILS5_6ELb0ES3_mN6thrust23THRUST_200600_302600_NS10device_ptrIiEEPS6_SD_NS0_5tupleIJSC_S6_EEENSE_IJSD_SD_EEES6_PlJNSA_6detail9not_fun_tINSI_10functional5actorINSK_9compositeIJNSK_27transparent_binary_operatorINSA_8equal_toIvEEEENSL_INSK_8argumentILj0EEEEENSK_5valueIiEEEEEEEEEEEE10hipError_tPvRmT3_T4_T5_T6_T7_T9_mT8_P12ihipStream_tbDpT10_ENKUlT_T0_E_clISt17integral_constantIbLb0EES1I_EEDaS1D_S1E_EUlS1D_E_NS1_11comp_targetILNS1_3genE2ELNS1_11target_archE906ELNS1_3gpuE6ELNS1_3repE0EEENS1_30default_config_static_selectorELNS0_4arch9wavefront6targetE0EEEvT1_
		.amdhsa_group_segment_fixed_size 0
		.amdhsa_private_segment_fixed_size 0
		.amdhsa_kernarg_size 120
		.amdhsa_user_sgpr_count 2
		.amdhsa_user_sgpr_dispatch_ptr 0
		.amdhsa_user_sgpr_queue_ptr 0
		.amdhsa_user_sgpr_kernarg_segment_ptr 1
		.amdhsa_user_sgpr_dispatch_id 0
		.amdhsa_user_sgpr_private_segment_size 0
		.amdhsa_wavefront_size32 1
		.amdhsa_uses_dynamic_stack 0
		.amdhsa_enable_private_segment 0
		.amdhsa_system_sgpr_workgroup_id_x 1
		.amdhsa_system_sgpr_workgroup_id_y 0
		.amdhsa_system_sgpr_workgroup_id_z 0
		.amdhsa_system_sgpr_workgroup_info 0
		.amdhsa_system_vgpr_workitem_id 0
		.amdhsa_next_free_vgpr 1
		.amdhsa_next_free_sgpr 1
		.amdhsa_reserve_vcc 0
		.amdhsa_float_round_mode_32 0
		.amdhsa_float_round_mode_16_64 0
		.amdhsa_float_denorm_mode_32 3
		.amdhsa_float_denorm_mode_16_64 3
		.amdhsa_fp16_overflow 0
		.amdhsa_workgroup_processor_mode 1
		.amdhsa_memory_ordered 1
		.amdhsa_forward_progress 1
		.amdhsa_inst_pref_size 0
		.amdhsa_round_robin_scheduling 0
		.amdhsa_exception_fp_ieee_invalid_op 0
		.amdhsa_exception_fp_denorm_src 0
		.amdhsa_exception_fp_ieee_div_zero 0
		.amdhsa_exception_fp_ieee_overflow 0
		.amdhsa_exception_fp_ieee_underflow 0
		.amdhsa_exception_fp_ieee_inexact 0
		.amdhsa_exception_int_div_zero 0
	.end_amdhsa_kernel
	.section	.text._ZN7rocprim17ROCPRIM_400000_NS6detail17trampoline_kernelINS0_14default_configENS1_25partition_config_selectorILNS1_17partition_subalgoE6EiNS0_10empty_typeEbEEZZNS1_14partition_implILS5_6ELb0ES3_mN6thrust23THRUST_200600_302600_NS10device_ptrIiEEPS6_SD_NS0_5tupleIJSC_S6_EEENSE_IJSD_SD_EEES6_PlJNSA_6detail9not_fun_tINSI_10functional5actorINSK_9compositeIJNSK_27transparent_binary_operatorINSA_8equal_toIvEEEENSL_INSK_8argumentILj0EEEEENSK_5valueIiEEEEEEEEEEEE10hipError_tPvRmT3_T4_T5_T6_T7_T9_mT8_P12ihipStream_tbDpT10_ENKUlT_T0_E_clISt17integral_constantIbLb0EES1I_EEDaS1D_S1E_EUlS1D_E_NS1_11comp_targetILNS1_3genE2ELNS1_11target_archE906ELNS1_3gpuE6ELNS1_3repE0EEENS1_30default_config_static_selectorELNS0_4arch9wavefront6targetE0EEEvT1_,"axG",@progbits,_ZN7rocprim17ROCPRIM_400000_NS6detail17trampoline_kernelINS0_14default_configENS1_25partition_config_selectorILNS1_17partition_subalgoE6EiNS0_10empty_typeEbEEZZNS1_14partition_implILS5_6ELb0ES3_mN6thrust23THRUST_200600_302600_NS10device_ptrIiEEPS6_SD_NS0_5tupleIJSC_S6_EEENSE_IJSD_SD_EEES6_PlJNSA_6detail9not_fun_tINSI_10functional5actorINSK_9compositeIJNSK_27transparent_binary_operatorINSA_8equal_toIvEEEENSL_INSK_8argumentILj0EEEEENSK_5valueIiEEEEEEEEEEEE10hipError_tPvRmT3_T4_T5_T6_T7_T9_mT8_P12ihipStream_tbDpT10_ENKUlT_T0_E_clISt17integral_constantIbLb0EES1I_EEDaS1D_S1E_EUlS1D_E_NS1_11comp_targetILNS1_3genE2ELNS1_11target_archE906ELNS1_3gpuE6ELNS1_3repE0EEENS1_30default_config_static_selectorELNS0_4arch9wavefront6targetE0EEEvT1_,comdat
.Lfunc_end2849:
	.size	_ZN7rocprim17ROCPRIM_400000_NS6detail17trampoline_kernelINS0_14default_configENS1_25partition_config_selectorILNS1_17partition_subalgoE6EiNS0_10empty_typeEbEEZZNS1_14partition_implILS5_6ELb0ES3_mN6thrust23THRUST_200600_302600_NS10device_ptrIiEEPS6_SD_NS0_5tupleIJSC_S6_EEENSE_IJSD_SD_EEES6_PlJNSA_6detail9not_fun_tINSI_10functional5actorINSK_9compositeIJNSK_27transparent_binary_operatorINSA_8equal_toIvEEEENSL_INSK_8argumentILj0EEEEENSK_5valueIiEEEEEEEEEEEE10hipError_tPvRmT3_T4_T5_T6_T7_T9_mT8_P12ihipStream_tbDpT10_ENKUlT_T0_E_clISt17integral_constantIbLb0EES1I_EEDaS1D_S1E_EUlS1D_E_NS1_11comp_targetILNS1_3genE2ELNS1_11target_archE906ELNS1_3gpuE6ELNS1_3repE0EEENS1_30default_config_static_selectorELNS0_4arch9wavefront6targetE0EEEvT1_, .Lfunc_end2849-_ZN7rocprim17ROCPRIM_400000_NS6detail17trampoline_kernelINS0_14default_configENS1_25partition_config_selectorILNS1_17partition_subalgoE6EiNS0_10empty_typeEbEEZZNS1_14partition_implILS5_6ELb0ES3_mN6thrust23THRUST_200600_302600_NS10device_ptrIiEEPS6_SD_NS0_5tupleIJSC_S6_EEENSE_IJSD_SD_EEES6_PlJNSA_6detail9not_fun_tINSI_10functional5actorINSK_9compositeIJNSK_27transparent_binary_operatorINSA_8equal_toIvEEEENSL_INSK_8argumentILj0EEEEENSK_5valueIiEEEEEEEEEEEE10hipError_tPvRmT3_T4_T5_T6_T7_T9_mT8_P12ihipStream_tbDpT10_ENKUlT_T0_E_clISt17integral_constantIbLb0EES1I_EEDaS1D_S1E_EUlS1D_E_NS1_11comp_targetILNS1_3genE2ELNS1_11target_archE906ELNS1_3gpuE6ELNS1_3repE0EEENS1_30default_config_static_selectorELNS0_4arch9wavefront6targetE0EEEvT1_
                                        ; -- End function
	.set _ZN7rocprim17ROCPRIM_400000_NS6detail17trampoline_kernelINS0_14default_configENS1_25partition_config_selectorILNS1_17partition_subalgoE6EiNS0_10empty_typeEbEEZZNS1_14partition_implILS5_6ELb0ES3_mN6thrust23THRUST_200600_302600_NS10device_ptrIiEEPS6_SD_NS0_5tupleIJSC_S6_EEENSE_IJSD_SD_EEES6_PlJNSA_6detail9not_fun_tINSI_10functional5actorINSK_9compositeIJNSK_27transparent_binary_operatorINSA_8equal_toIvEEEENSL_INSK_8argumentILj0EEEEENSK_5valueIiEEEEEEEEEEEE10hipError_tPvRmT3_T4_T5_T6_T7_T9_mT8_P12ihipStream_tbDpT10_ENKUlT_T0_E_clISt17integral_constantIbLb0EES1I_EEDaS1D_S1E_EUlS1D_E_NS1_11comp_targetILNS1_3genE2ELNS1_11target_archE906ELNS1_3gpuE6ELNS1_3repE0EEENS1_30default_config_static_selectorELNS0_4arch9wavefront6targetE0EEEvT1_.num_vgpr, 0
	.set _ZN7rocprim17ROCPRIM_400000_NS6detail17trampoline_kernelINS0_14default_configENS1_25partition_config_selectorILNS1_17partition_subalgoE6EiNS0_10empty_typeEbEEZZNS1_14partition_implILS5_6ELb0ES3_mN6thrust23THRUST_200600_302600_NS10device_ptrIiEEPS6_SD_NS0_5tupleIJSC_S6_EEENSE_IJSD_SD_EEES6_PlJNSA_6detail9not_fun_tINSI_10functional5actorINSK_9compositeIJNSK_27transparent_binary_operatorINSA_8equal_toIvEEEENSL_INSK_8argumentILj0EEEEENSK_5valueIiEEEEEEEEEEEE10hipError_tPvRmT3_T4_T5_T6_T7_T9_mT8_P12ihipStream_tbDpT10_ENKUlT_T0_E_clISt17integral_constantIbLb0EES1I_EEDaS1D_S1E_EUlS1D_E_NS1_11comp_targetILNS1_3genE2ELNS1_11target_archE906ELNS1_3gpuE6ELNS1_3repE0EEENS1_30default_config_static_selectorELNS0_4arch9wavefront6targetE0EEEvT1_.num_agpr, 0
	.set _ZN7rocprim17ROCPRIM_400000_NS6detail17trampoline_kernelINS0_14default_configENS1_25partition_config_selectorILNS1_17partition_subalgoE6EiNS0_10empty_typeEbEEZZNS1_14partition_implILS5_6ELb0ES3_mN6thrust23THRUST_200600_302600_NS10device_ptrIiEEPS6_SD_NS0_5tupleIJSC_S6_EEENSE_IJSD_SD_EEES6_PlJNSA_6detail9not_fun_tINSI_10functional5actorINSK_9compositeIJNSK_27transparent_binary_operatorINSA_8equal_toIvEEEENSL_INSK_8argumentILj0EEEEENSK_5valueIiEEEEEEEEEEEE10hipError_tPvRmT3_T4_T5_T6_T7_T9_mT8_P12ihipStream_tbDpT10_ENKUlT_T0_E_clISt17integral_constantIbLb0EES1I_EEDaS1D_S1E_EUlS1D_E_NS1_11comp_targetILNS1_3genE2ELNS1_11target_archE906ELNS1_3gpuE6ELNS1_3repE0EEENS1_30default_config_static_selectorELNS0_4arch9wavefront6targetE0EEEvT1_.numbered_sgpr, 0
	.set _ZN7rocprim17ROCPRIM_400000_NS6detail17trampoline_kernelINS0_14default_configENS1_25partition_config_selectorILNS1_17partition_subalgoE6EiNS0_10empty_typeEbEEZZNS1_14partition_implILS5_6ELb0ES3_mN6thrust23THRUST_200600_302600_NS10device_ptrIiEEPS6_SD_NS0_5tupleIJSC_S6_EEENSE_IJSD_SD_EEES6_PlJNSA_6detail9not_fun_tINSI_10functional5actorINSK_9compositeIJNSK_27transparent_binary_operatorINSA_8equal_toIvEEEENSL_INSK_8argumentILj0EEEEENSK_5valueIiEEEEEEEEEEEE10hipError_tPvRmT3_T4_T5_T6_T7_T9_mT8_P12ihipStream_tbDpT10_ENKUlT_T0_E_clISt17integral_constantIbLb0EES1I_EEDaS1D_S1E_EUlS1D_E_NS1_11comp_targetILNS1_3genE2ELNS1_11target_archE906ELNS1_3gpuE6ELNS1_3repE0EEENS1_30default_config_static_selectorELNS0_4arch9wavefront6targetE0EEEvT1_.num_named_barrier, 0
	.set _ZN7rocprim17ROCPRIM_400000_NS6detail17trampoline_kernelINS0_14default_configENS1_25partition_config_selectorILNS1_17partition_subalgoE6EiNS0_10empty_typeEbEEZZNS1_14partition_implILS5_6ELb0ES3_mN6thrust23THRUST_200600_302600_NS10device_ptrIiEEPS6_SD_NS0_5tupleIJSC_S6_EEENSE_IJSD_SD_EEES6_PlJNSA_6detail9not_fun_tINSI_10functional5actorINSK_9compositeIJNSK_27transparent_binary_operatorINSA_8equal_toIvEEEENSL_INSK_8argumentILj0EEEEENSK_5valueIiEEEEEEEEEEEE10hipError_tPvRmT3_T4_T5_T6_T7_T9_mT8_P12ihipStream_tbDpT10_ENKUlT_T0_E_clISt17integral_constantIbLb0EES1I_EEDaS1D_S1E_EUlS1D_E_NS1_11comp_targetILNS1_3genE2ELNS1_11target_archE906ELNS1_3gpuE6ELNS1_3repE0EEENS1_30default_config_static_selectorELNS0_4arch9wavefront6targetE0EEEvT1_.private_seg_size, 0
	.set _ZN7rocprim17ROCPRIM_400000_NS6detail17trampoline_kernelINS0_14default_configENS1_25partition_config_selectorILNS1_17partition_subalgoE6EiNS0_10empty_typeEbEEZZNS1_14partition_implILS5_6ELb0ES3_mN6thrust23THRUST_200600_302600_NS10device_ptrIiEEPS6_SD_NS0_5tupleIJSC_S6_EEENSE_IJSD_SD_EEES6_PlJNSA_6detail9not_fun_tINSI_10functional5actorINSK_9compositeIJNSK_27transparent_binary_operatorINSA_8equal_toIvEEEENSL_INSK_8argumentILj0EEEEENSK_5valueIiEEEEEEEEEEEE10hipError_tPvRmT3_T4_T5_T6_T7_T9_mT8_P12ihipStream_tbDpT10_ENKUlT_T0_E_clISt17integral_constantIbLb0EES1I_EEDaS1D_S1E_EUlS1D_E_NS1_11comp_targetILNS1_3genE2ELNS1_11target_archE906ELNS1_3gpuE6ELNS1_3repE0EEENS1_30default_config_static_selectorELNS0_4arch9wavefront6targetE0EEEvT1_.uses_vcc, 0
	.set _ZN7rocprim17ROCPRIM_400000_NS6detail17trampoline_kernelINS0_14default_configENS1_25partition_config_selectorILNS1_17partition_subalgoE6EiNS0_10empty_typeEbEEZZNS1_14partition_implILS5_6ELb0ES3_mN6thrust23THRUST_200600_302600_NS10device_ptrIiEEPS6_SD_NS0_5tupleIJSC_S6_EEENSE_IJSD_SD_EEES6_PlJNSA_6detail9not_fun_tINSI_10functional5actorINSK_9compositeIJNSK_27transparent_binary_operatorINSA_8equal_toIvEEEENSL_INSK_8argumentILj0EEEEENSK_5valueIiEEEEEEEEEEEE10hipError_tPvRmT3_T4_T5_T6_T7_T9_mT8_P12ihipStream_tbDpT10_ENKUlT_T0_E_clISt17integral_constantIbLb0EES1I_EEDaS1D_S1E_EUlS1D_E_NS1_11comp_targetILNS1_3genE2ELNS1_11target_archE906ELNS1_3gpuE6ELNS1_3repE0EEENS1_30default_config_static_selectorELNS0_4arch9wavefront6targetE0EEEvT1_.uses_flat_scratch, 0
	.set _ZN7rocprim17ROCPRIM_400000_NS6detail17trampoline_kernelINS0_14default_configENS1_25partition_config_selectorILNS1_17partition_subalgoE6EiNS0_10empty_typeEbEEZZNS1_14partition_implILS5_6ELb0ES3_mN6thrust23THRUST_200600_302600_NS10device_ptrIiEEPS6_SD_NS0_5tupleIJSC_S6_EEENSE_IJSD_SD_EEES6_PlJNSA_6detail9not_fun_tINSI_10functional5actorINSK_9compositeIJNSK_27transparent_binary_operatorINSA_8equal_toIvEEEENSL_INSK_8argumentILj0EEEEENSK_5valueIiEEEEEEEEEEEE10hipError_tPvRmT3_T4_T5_T6_T7_T9_mT8_P12ihipStream_tbDpT10_ENKUlT_T0_E_clISt17integral_constantIbLb0EES1I_EEDaS1D_S1E_EUlS1D_E_NS1_11comp_targetILNS1_3genE2ELNS1_11target_archE906ELNS1_3gpuE6ELNS1_3repE0EEENS1_30default_config_static_selectorELNS0_4arch9wavefront6targetE0EEEvT1_.has_dyn_sized_stack, 0
	.set _ZN7rocprim17ROCPRIM_400000_NS6detail17trampoline_kernelINS0_14default_configENS1_25partition_config_selectorILNS1_17partition_subalgoE6EiNS0_10empty_typeEbEEZZNS1_14partition_implILS5_6ELb0ES3_mN6thrust23THRUST_200600_302600_NS10device_ptrIiEEPS6_SD_NS0_5tupleIJSC_S6_EEENSE_IJSD_SD_EEES6_PlJNSA_6detail9not_fun_tINSI_10functional5actorINSK_9compositeIJNSK_27transparent_binary_operatorINSA_8equal_toIvEEEENSL_INSK_8argumentILj0EEEEENSK_5valueIiEEEEEEEEEEEE10hipError_tPvRmT3_T4_T5_T6_T7_T9_mT8_P12ihipStream_tbDpT10_ENKUlT_T0_E_clISt17integral_constantIbLb0EES1I_EEDaS1D_S1E_EUlS1D_E_NS1_11comp_targetILNS1_3genE2ELNS1_11target_archE906ELNS1_3gpuE6ELNS1_3repE0EEENS1_30default_config_static_selectorELNS0_4arch9wavefront6targetE0EEEvT1_.has_recursion, 0
	.set _ZN7rocprim17ROCPRIM_400000_NS6detail17trampoline_kernelINS0_14default_configENS1_25partition_config_selectorILNS1_17partition_subalgoE6EiNS0_10empty_typeEbEEZZNS1_14partition_implILS5_6ELb0ES3_mN6thrust23THRUST_200600_302600_NS10device_ptrIiEEPS6_SD_NS0_5tupleIJSC_S6_EEENSE_IJSD_SD_EEES6_PlJNSA_6detail9not_fun_tINSI_10functional5actorINSK_9compositeIJNSK_27transparent_binary_operatorINSA_8equal_toIvEEEENSL_INSK_8argumentILj0EEEEENSK_5valueIiEEEEEEEEEEEE10hipError_tPvRmT3_T4_T5_T6_T7_T9_mT8_P12ihipStream_tbDpT10_ENKUlT_T0_E_clISt17integral_constantIbLb0EES1I_EEDaS1D_S1E_EUlS1D_E_NS1_11comp_targetILNS1_3genE2ELNS1_11target_archE906ELNS1_3gpuE6ELNS1_3repE0EEENS1_30default_config_static_selectorELNS0_4arch9wavefront6targetE0EEEvT1_.has_indirect_call, 0
	.section	.AMDGPU.csdata,"",@progbits
; Kernel info:
; codeLenInByte = 0
; TotalNumSgprs: 0
; NumVgprs: 0
; ScratchSize: 0
; MemoryBound: 0
; FloatMode: 240
; IeeeMode: 1
; LDSByteSize: 0 bytes/workgroup (compile time only)
; SGPRBlocks: 0
; VGPRBlocks: 0
; NumSGPRsForWavesPerEU: 1
; NumVGPRsForWavesPerEU: 1
; Occupancy: 16
; WaveLimiterHint : 0
; COMPUTE_PGM_RSRC2:SCRATCH_EN: 0
; COMPUTE_PGM_RSRC2:USER_SGPR: 2
; COMPUTE_PGM_RSRC2:TRAP_HANDLER: 0
; COMPUTE_PGM_RSRC2:TGID_X_EN: 1
; COMPUTE_PGM_RSRC2:TGID_Y_EN: 0
; COMPUTE_PGM_RSRC2:TGID_Z_EN: 0
; COMPUTE_PGM_RSRC2:TIDIG_COMP_CNT: 0
	.section	.text._ZN7rocprim17ROCPRIM_400000_NS6detail17trampoline_kernelINS0_14default_configENS1_25partition_config_selectorILNS1_17partition_subalgoE6EiNS0_10empty_typeEbEEZZNS1_14partition_implILS5_6ELb0ES3_mN6thrust23THRUST_200600_302600_NS10device_ptrIiEEPS6_SD_NS0_5tupleIJSC_S6_EEENSE_IJSD_SD_EEES6_PlJNSA_6detail9not_fun_tINSI_10functional5actorINSK_9compositeIJNSK_27transparent_binary_operatorINSA_8equal_toIvEEEENSL_INSK_8argumentILj0EEEEENSK_5valueIiEEEEEEEEEEEE10hipError_tPvRmT3_T4_T5_T6_T7_T9_mT8_P12ihipStream_tbDpT10_ENKUlT_T0_E_clISt17integral_constantIbLb0EES1I_EEDaS1D_S1E_EUlS1D_E_NS1_11comp_targetILNS1_3genE10ELNS1_11target_archE1200ELNS1_3gpuE4ELNS1_3repE0EEENS1_30default_config_static_selectorELNS0_4arch9wavefront6targetE0EEEvT1_,"axG",@progbits,_ZN7rocprim17ROCPRIM_400000_NS6detail17trampoline_kernelINS0_14default_configENS1_25partition_config_selectorILNS1_17partition_subalgoE6EiNS0_10empty_typeEbEEZZNS1_14partition_implILS5_6ELb0ES3_mN6thrust23THRUST_200600_302600_NS10device_ptrIiEEPS6_SD_NS0_5tupleIJSC_S6_EEENSE_IJSD_SD_EEES6_PlJNSA_6detail9not_fun_tINSI_10functional5actorINSK_9compositeIJNSK_27transparent_binary_operatorINSA_8equal_toIvEEEENSL_INSK_8argumentILj0EEEEENSK_5valueIiEEEEEEEEEEEE10hipError_tPvRmT3_T4_T5_T6_T7_T9_mT8_P12ihipStream_tbDpT10_ENKUlT_T0_E_clISt17integral_constantIbLb0EES1I_EEDaS1D_S1E_EUlS1D_E_NS1_11comp_targetILNS1_3genE10ELNS1_11target_archE1200ELNS1_3gpuE4ELNS1_3repE0EEENS1_30default_config_static_selectorELNS0_4arch9wavefront6targetE0EEEvT1_,comdat
	.protected	_ZN7rocprim17ROCPRIM_400000_NS6detail17trampoline_kernelINS0_14default_configENS1_25partition_config_selectorILNS1_17partition_subalgoE6EiNS0_10empty_typeEbEEZZNS1_14partition_implILS5_6ELb0ES3_mN6thrust23THRUST_200600_302600_NS10device_ptrIiEEPS6_SD_NS0_5tupleIJSC_S6_EEENSE_IJSD_SD_EEES6_PlJNSA_6detail9not_fun_tINSI_10functional5actorINSK_9compositeIJNSK_27transparent_binary_operatorINSA_8equal_toIvEEEENSL_INSK_8argumentILj0EEEEENSK_5valueIiEEEEEEEEEEEE10hipError_tPvRmT3_T4_T5_T6_T7_T9_mT8_P12ihipStream_tbDpT10_ENKUlT_T0_E_clISt17integral_constantIbLb0EES1I_EEDaS1D_S1E_EUlS1D_E_NS1_11comp_targetILNS1_3genE10ELNS1_11target_archE1200ELNS1_3gpuE4ELNS1_3repE0EEENS1_30default_config_static_selectorELNS0_4arch9wavefront6targetE0EEEvT1_ ; -- Begin function _ZN7rocprim17ROCPRIM_400000_NS6detail17trampoline_kernelINS0_14default_configENS1_25partition_config_selectorILNS1_17partition_subalgoE6EiNS0_10empty_typeEbEEZZNS1_14partition_implILS5_6ELb0ES3_mN6thrust23THRUST_200600_302600_NS10device_ptrIiEEPS6_SD_NS0_5tupleIJSC_S6_EEENSE_IJSD_SD_EEES6_PlJNSA_6detail9not_fun_tINSI_10functional5actorINSK_9compositeIJNSK_27transparent_binary_operatorINSA_8equal_toIvEEEENSL_INSK_8argumentILj0EEEEENSK_5valueIiEEEEEEEEEEEE10hipError_tPvRmT3_T4_T5_T6_T7_T9_mT8_P12ihipStream_tbDpT10_ENKUlT_T0_E_clISt17integral_constantIbLb0EES1I_EEDaS1D_S1E_EUlS1D_E_NS1_11comp_targetILNS1_3genE10ELNS1_11target_archE1200ELNS1_3gpuE4ELNS1_3repE0EEENS1_30default_config_static_selectorELNS0_4arch9wavefront6targetE0EEEvT1_
	.globl	_ZN7rocprim17ROCPRIM_400000_NS6detail17trampoline_kernelINS0_14default_configENS1_25partition_config_selectorILNS1_17partition_subalgoE6EiNS0_10empty_typeEbEEZZNS1_14partition_implILS5_6ELb0ES3_mN6thrust23THRUST_200600_302600_NS10device_ptrIiEEPS6_SD_NS0_5tupleIJSC_S6_EEENSE_IJSD_SD_EEES6_PlJNSA_6detail9not_fun_tINSI_10functional5actorINSK_9compositeIJNSK_27transparent_binary_operatorINSA_8equal_toIvEEEENSL_INSK_8argumentILj0EEEEENSK_5valueIiEEEEEEEEEEEE10hipError_tPvRmT3_T4_T5_T6_T7_T9_mT8_P12ihipStream_tbDpT10_ENKUlT_T0_E_clISt17integral_constantIbLb0EES1I_EEDaS1D_S1E_EUlS1D_E_NS1_11comp_targetILNS1_3genE10ELNS1_11target_archE1200ELNS1_3gpuE4ELNS1_3repE0EEENS1_30default_config_static_selectorELNS0_4arch9wavefront6targetE0EEEvT1_
	.p2align	8
	.type	_ZN7rocprim17ROCPRIM_400000_NS6detail17trampoline_kernelINS0_14default_configENS1_25partition_config_selectorILNS1_17partition_subalgoE6EiNS0_10empty_typeEbEEZZNS1_14partition_implILS5_6ELb0ES3_mN6thrust23THRUST_200600_302600_NS10device_ptrIiEEPS6_SD_NS0_5tupleIJSC_S6_EEENSE_IJSD_SD_EEES6_PlJNSA_6detail9not_fun_tINSI_10functional5actorINSK_9compositeIJNSK_27transparent_binary_operatorINSA_8equal_toIvEEEENSL_INSK_8argumentILj0EEEEENSK_5valueIiEEEEEEEEEEEE10hipError_tPvRmT3_T4_T5_T6_T7_T9_mT8_P12ihipStream_tbDpT10_ENKUlT_T0_E_clISt17integral_constantIbLb0EES1I_EEDaS1D_S1E_EUlS1D_E_NS1_11comp_targetILNS1_3genE10ELNS1_11target_archE1200ELNS1_3gpuE4ELNS1_3repE0EEENS1_30default_config_static_selectorELNS0_4arch9wavefront6targetE0EEEvT1_,@function
_ZN7rocprim17ROCPRIM_400000_NS6detail17trampoline_kernelINS0_14default_configENS1_25partition_config_selectorILNS1_17partition_subalgoE6EiNS0_10empty_typeEbEEZZNS1_14partition_implILS5_6ELb0ES3_mN6thrust23THRUST_200600_302600_NS10device_ptrIiEEPS6_SD_NS0_5tupleIJSC_S6_EEENSE_IJSD_SD_EEES6_PlJNSA_6detail9not_fun_tINSI_10functional5actorINSK_9compositeIJNSK_27transparent_binary_operatorINSA_8equal_toIvEEEENSL_INSK_8argumentILj0EEEEENSK_5valueIiEEEEEEEEEEEE10hipError_tPvRmT3_T4_T5_T6_T7_T9_mT8_P12ihipStream_tbDpT10_ENKUlT_T0_E_clISt17integral_constantIbLb0EES1I_EEDaS1D_S1E_EUlS1D_E_NS1_11comp_targetILNS1_3genE10ELNS1_11target_archE1200ELNS1_3gpuE4ELNS1_3repE0EEENS1_30default_config_static_selectorELNS0_4arch9wavefront6targetE0EEEvT1_: ; @_ZN7rocprim17ROCPRIM_400000_NS6detail17trampoline_kernelINS0_14default_configENS1_25partition_config_selectorILNS1_17partition_subalgoE6EiNS0_10empty_typeEbEEZZNS1_14partition_implILS5_6ELb0ES3_mN6thrust23THRUST_200600_302600_NS10device_ptrIiEEPS6_SD_NS0_5tupleIJSC_S6_EEENSE_IJSD_SD_EEES6_PlJNSA_6detail9not_fun_tINSI_10functional5actorINSK_9compositeIJNSK_27transparent_binary_operatorINSA_8equal_toIvEEEENSL_INSK_8argumentILj0EEEEENSK_5valueIiEEEEEEEEEEEE10hipError_tPvRmT3_T4_T5_T6_T7_T9_mT8_P12ihipStream_tbDpT10_ENKUlT_T0_E_clISt17integral_constantIbLb0EES1I_EEDaS1D_S1E_EUlS1D_E_NS1_11comp_targetILNS1_3genE10ELNS1_11target_archE1200ELNS1_3gpuE4ELNS1_3repE0EEENS1_30default_config_static_selectorELNS0_4arch9wavefront6targetE0EEEvT1_
; %bb.0:
	s_clause 0x3
	s_load_b128 s[4:7], s[0:1], 0x8
	s_load_b128 s[8:11], s[0:1], 0x40
	s_load_b32 s12, s[0:1], 0x68
	s_load_b64 s[2:3], s[0:1], 0x50
	s_mov_b32 s13, 0
	v_lshlrev_b32_e32 v8, 2, v0
	s_wait_kmcnt 0x0
	s_lshl_b64 s[14:15], s[6:7], 2
	s_load_b64 s[10:11], s[10:11], 0x0
	s_add_co_i32 s17, s12, -1
	s_mulk_i32 s12, 0xa80
	s_add_nc_u64 s[14:15], s[4:5], s[14:15]
	s_add_nc_u64 s[4:5], s[6:7], s[12:13]
	s_add_co_i32 s6, s12, s6
	v_cmp_le_u64_e64 s3, s[2:3], s[4:5]
	s_sub_co_i32 s16, s2, s6
	s_cmp_eq_u32 ttmp9, s17
	s_mul_i32 s2, ttmp9, 0xa80
	s_cselect_b32 s12, -1, 0
	s_mov_b32 s4, -1
	s_and_b32 s5, s12, s3
	s_mov_b32 s3, s13
	s_wait_alu 0xfffe
	s_xor_b32 s13, s5, -1
	s_lshl_b64 s[2:3], s[2:3], 2
	s_and_b32 vcc_lo, exec_lo, s13
	s_wait_alu 0xfffe
	s_add_nc_u64 s[2:3], s[14:15], s[2:3]
	s_cbranch_vccz .LBB2850_2
; %bb.1:
	s_wait_alu 0xfffe
	v_add_co_u32 v1, s4, s2, v8
	s_wait_alu 0xf1ff
	v_add_co_ci_u32_e64 v2, null, s3, 0, s4
	s_mov_b32 s4, 0
	s_clause 0x6
	flat_load_b32 v3, v[1:2]
	flat_load_b32 v4, v[1:2] offset:1536
	flat_load_b32 v5, v[1:2] offset:3072
	;; [unrolled: 1-line block ×6, first 2 shown]
	s_wait_loadcnt_dscnt 0x505
	ds_store_2addr_stride64_b32 v8, v3, v4 offset1:6
	s_wait_loadcnt_dscnt 0x304
	ds_store_2addr_stride64_b32 v8, v5, v6 offset0:12 offset1:18
	s_wait_loadcnt_dscnt 0x103
	ds_store_2addr_stride64_b32 v8, v7, v9 offset0:24 offset1:30
	s_wait_loadcnt_dscnt 0x3
	ds_store_b32 v8, v1 offset:9216
	s_wait_dscnt 0x0
	s_barrier_signal -1
	s_barrier_wait -1
.LBB2850_2:
	s_load_b32 s15, s[0:1], 0x74
	s_and_not1_b32 vcc_lo, exec_lo, s4
	s_addk_co_i32 s16, 0xa80
	s_cbranch_vccnz .LBB2850_18
; %bb.3:
	v_mov_b32_e32 v1, 0
	s_mov_b32 s4, exec_lo
	s_delay_alu instid0(VALU_DEP_1)
	v_dual_mov_b32 v2, v1 :: v_dual_mov_b32 v3, v1
	v_dual_mov_b32 v4, v1 :: v_dual_mov_b32 v5, v1
	;; [unrolled: 1-line block ×3, first 2 shown]
	v_cmpx_gt_u32_e64 s16, v0
	s_cbranch_execz .LBB2850_5
; %bb.4:
	v_add_co_u32 v2, s5, s2, v8
	s_wait_alu 0xf1ff
	v_add_co_ci_u32_e64 v3, null, s3, 0, s5
	v_dual_mov_b32 v10, v1 :: v_dual_mov_b32 v11, v1
	v_dual_mov_b32 v12, v1 :: v_dual_mov_b32 v13, v1
	flat_load_b32 v9, v[2:3]
	v_dual_mov_b32 v14, v1 :: v_dual_mov_b32 v15, v1
	s_wait_loadcnt_dscnt 0x0
	v_dual_mov_b32 v1, v9 :: v_dual_mov_b32 v2, v10
	v_dual_mov_b32 v3, v11 :: v_dual_mov_b32 v4, v12
	s_delay_alu instid0(VALU_DEP_3)
	v_dual_mov_b32 v5, v13 :: v_dual_mov_b32 v6, v14
	v_mov_b32_e32 v7, v15
.LBB2850_5:
	s_wait_alu 0xfffe
	s_or_b32 exec_lo, exec_lo, s4
	v_add_nc_u32_e32 v9, 0x180, v0
	s_mov_b32 s4, exec_lo
	s_delay_alu instid0(VALU_DEP_1)
	v_cmpx_gt_u32_e64 s16, v9
	s_cbranch_execz .LBB2850_7
; %bb.6:
	v_add_co_u32 v9, s5, s2, v8
	s_wait_alu 0xf1ff
	v_add_co_ci_u32_e64 v10, null, s3, 0, s5
	flat_load_b32 v2, v[9:10] offset:1536
.LBB2850_7:
	s_wait_alu 0xfffe
	s_or_b32 exec_lo, exec_lo, s4
	v_add_nc_u32_e32 v9, 0x300, v0
	s_mov_b32 s4, exec_lo
	s_delay_alu instid0(VALU_DEP_1)
	v_cmpx_gt_u32_e64 s16, v9
	s_cbranch_execz .LBB2850_9
; %bb.8:
	v_add_co_u32 v9, s5, s2, v8
	s_wait_alu 0xf1ff
	v_add_co_ci_u32_e64 v10, null, s3, 0, s5
	flat_load_b32 v3, v[9:10] offset:3072
.LBB2850_9:
	;; [unrolled: 13-line block ×3, first 2 shown]
	s_wait_alu 0xfffe
	s_or_b32 exec_lo, exec_lo, s4
	v_or_b32_e32 v9, 0x600, v0
	s_mov_b32 s4, exec_lo
	s_delay_alu instid0(VALU_DEP_1)
	v_cmpx_gt_u32_e64 s16, v9
	s_cbranch_execz .LBB2850_13
; %bb.12:
	v_add_co_u32 v9, s5, s2, v8
	s_wait_alu 0xf1ff
	v_add_co_ci_u32_e64 v10, null, s3, 0, s5
	flat_load_b32 v5, v[9:10] offset:6144
.LBB2850_13:
	s_wait_alu 0xfffe
	s_or_b32 exec_lo, exec_lo, s4
	v_add_nc_u32_e32 v9, 0x780, v0
	s_mov_b32 s4, exec_lo
	s_delay_alu instid0(VALU_DEP_1)
	v_cmpx_gt_u32_e64 s16, v9
	s_cbranch_execz .LBB2850_15
; %bb.14:
	v_add_co_u32 v9, s5, s2, v8
	s_wait_alu 0xf1ff
	v_add_co_ci_u32_e64 v10, null, s3, 0, s5
	flat_load_b32 v6, v[9:10] offset:7680
.LBB2850_15:
	s_wait_alu 0xfffe
	s_or_b32 exec_lo, exec_lo, s4
	v_add_nc_u32_e32 v9, 0x900, v0
	s_mov_b32 s4, exec_lo
	s_delay_alu instid0(VALU_DEP_1)
	v_cmpx_gt_u32_e64 s16, v9
	s_cbranch_execz .LBB2850_17
; %bb.16:
	v_add_co_u32 v9, s2, s2, v8
	s_wait_alu 0xf1ff
	v_add_co_ci_u32_e64 v10, null, s3, 0, s2
	flat_load_b32 v7, v[9:10] offset:9216
.LBB2850_17:
	s_wait_alu 0xfffe
	s_or_b32 exec_lo, exec_lo, s4
	s_wait_loadcnt_dscnt 0x0
	ds_store_2addr_stride64_b32 v8, v1, v2 offset1:6
	ds_store_2addr_stride64_b32 v8, v3, v4 offset0:12 offset1:18
	ds_store_2addr_stride64_b32 v8, v5, v6 offset0:24 offset1:30
	ds_store_b32 v8, v7 offset:9216
	s_wait_dscnt 0x0
	s_barrier_signal -1
	s_barrier_wait -1
.LBB2850_18:
	v_mul_u32_u24_e32 v1, 7, v0
	global_inv scope:SCOPE_SE
	s_and_not1_b32 vcc_lo, exec_lo, s13
	v_lshlrev_b32_e32 v34, 2, v1
	ds_load_2addr_b32 v[9:10], v34 offset0:4 offset1:5
	ds_load_b32 v29, v34 offset:24
	ds_load_2addr_b32 v[13:14], v34 offset1:1
	ds_load_2addr_b32 v[11:12], v34 offset0:2 offset1:3
	s_wait_loadcnt_dscnt 0x0
	s_barrier_signal -1
	s_barrier_wait -1
	global_inv scope:SCOPE_SE
	s_wait_kmcnt 0x0
	v_cmp_ne_u32_e64 s2, s15, v9
	v_cmp_ne_u32_e64 s14, s15, v29
	;; [unrolled: 1-line block ×7, first 2 shown]
	s_cbranch_vccnz .LBB2850_20
; %bb.19:
	v_cndmask_b32_e64 v2, 0, 1, s6
	v_cndmask_b32_e64 v3, 0, 1, s7
	s_wait_alu 0xf1ff
	v_cndmask_b32_e64 v4, 0, 1, s4
	v_cndmask_b32_e64 v5, 0, 1, s5
	;; [unrolled: 1-line block ×3, first 2 shown]
	v_lshlrev_b16 v2, 8, v2
	v_lshlrev_b16 v3, 8, v3
	v_cndmask_b32_e64 v30, 0, 1, s3
	s_delay_alu instid0(VALU_DEP_3) | instskip(NEXT) | instid1(VALU_DEP_3)
	v_or_b32_e32 v2, v4, v2
	v_or_b32_e32 v3, v5, v3
	s_delay_alu instid0(VALU_DEP_2) | instskip(NEXT) | instid1(VALU_DEP_2)
	v_and_b32_e32 v2, 0xffff, v2
	v_lshlrev_b32_e32 v3, 16, v3
	s_delay_alu instid0(VALU_DEP_1)
	v_or_b32_e32 v33, v2, v3
	s_cbranch_execz .LBB2850_21
	s_branch .LBB2850_22
.LBB2850_20:
                                        ; implicit-def: $sgpr14
                                        ; implicit-def: $vgpr30
                                        ; implicit-def: $vgpr31
                                        ; implicit-def: $vgpr33
.LBB2850_21:
	v_add_nc_u32_e32 v2, 1, v1
	v_cmp_ne_u32_e32 vcc_lo, s15, v14
	v_add_nc_u32_e32 v3, 3, v1
	v_cmp_ne_u32_e64 s2, s15, v13
	v_cmp_ne_u32_e64 s4, s15, v12
	v_cmp_gt_u32_e64 s3, s16, v2
	v_add_nc_u32_e32 v2, 2, v1
	v_cmp_gt_u32_e64 s6, s16, v3
	v_cmp_ne_u32_e64 s5, s15, v11
	v_add_nc_u32_e32 v5, 5, v1
	s_and_b32 s3, s3, vcc_lo
	v_cmp_gt_u32_e32 vcc_lo, s16, v1
	s_wait_alu 0xfffe
	v_cndmask_b32_e64 v3, 0, 1, s3
	v_cmp_gt_u32_e64 s3, s16, v2
	s_and_b32 s4, s6, s4
	s_and_b32 s2, vcc_lo, s2
	v_lshlrev_b16 v3, 8, v3
	s_wait_alu 0xfffe
	v_cndmask_b32_e64 v4, 0, 1, s2
	v_cndmask_b32_e64 v2, 0, 1, s4
	s_and_b32 s2, s3, s5
	v_cmp_ne_u32_e32 vcc_lo, s15, v10
	s_wait_alu 0xfffe
	v_cndmask_b32_e64 v6, 0, 1, s2
	v_cmp_gt_u32_e64 s2, s16, v5
	v_or_b32_e32 v3, v4, v3
	v_add_nc_u32_e32 v4, 4, v1
	v_lshlrev_b16 v2, 8, v2
	v_cmp_ne_u32_e64 s3, s15, v9
	s_and_b32 s2, s2, vcc_lo
	v_add_nc_u32_e32 v1, 6, v1
	v_cmp_gt_u32_e32 vcc_lo, s16, v4
	v_or_b32_e32 v2, v6, v2
	s_wait_alu 0xfffe
	v_cndmask_b32_e64 v30, 0, 1, s2
	v_and_b32_e32 v3, 0xffff, v3
	s_and_b32 s2, vcc_lo, s3
	v_cmp_gt_u32_e32 vcc_lo, s16, v1
	s_wait_alu 0xfffe
	v_cndmask_b32_e64 v5, 0, 1, s2
	v_cmp_ne_u32_e64 s2, s15, v29
	v_lshlrev_b32_e32 v2, 16, v2
	v_lshlrev_b16 v4, 8, v30
	s_and_not1_b32 s3, s14, exec_lo
	s_and_b32 s2, vcc_lo, s2
	s_delay_alu instid0(VALU_DEP_2) | instskip(NEXT) | instid1(VALU_DEP_2)
	v_or_b32_e32 v33, v3, v2
	v_or_b32_e32 v31, v5, v4
	s_wait_alu 0xfffe
	s_and_b32 s2, s2, exec_lo
	s_wait_alu 0xfffe
	s_or_b32 s14, s3, s2
.LBB2850_22:
	s_delay_alu instid0(VALU_DEP_1)
	v_dual_mov_b32 v2, 0 :: v_dual_and_b32 v37, 0xff, v33
	v_bfe_u32 v36, v33, 8, 8
	s_wait_alu 0xfffe
	v_cndmask_b32_e64 v1, 0, 1, s14
	v_bfe_u32 v39, v33, 16, 8
	v_lshrrev_b32_e32 v32, 24, v33
	s_load_b64 s[6:7], s[0:1], 0x60
	v_and_b32_e32 v38, 0xff, v31
	v_add3_u32 v1, v37, v1, v36
	v_mbcnt_lo_u32_b32 v40, -1, 0
	v_and_b32_e32 v35, 0xff, v30
	s_cmp_lg_u32 ttmp9, 0
	s_mov_b32 s3, -1
	v_add_co_u32 v1, s2, v1, v39
	s_wait_alu 0xf1ff
	v_add_co_ci_u32_e64 v3, null, 0, 0, s2
	v_and_b32_e32 v41, 15, v40
	s_delay_alu instid0(VALU_DEP_3) | instskip(NEXT) | instid1(VALU_DEP_1)
	v_add_co_u32 v1, vcc_lo, v1, v32
	v_add_co_ci_u32_e64 v3, null, 0, v3, vcc_lo
	s_delay_alu instid0(VALU_DEP_3) | instskip(NEXT) | instid1(VALU_DEP_3)
	v_cmp_ne_u32_e64 s2, 0, v41
	v_add_co_u32 v1, vcc_lo, v1, v38
	s_wait_alu 0xfffd
	s_delay_alu instid0(VALU_DEP_3) | instskip(NEXT) | instid1(VALU_DEP_2)
	v_add_co_ci_u32_e64 v3, null, 0, v3, vcc_lo
	v_add_co_u32 v15, vcc_lo, v1, v35
	s_wait_alu 0xfffd
	s_delay_alu instid0(VALU_DEP_2)
	v_add_co_ci_u32_e64 v16, null, 0, v3, vcc_lo
	s_cbranch_scc0 .LBB2850_81
; %bb.23:
	v_mov_b32_e32 v3, v15
	v_mov_b32_dpp v1, v15 row_shr:1 row_mask:0xf bank_mask:0xf
	v_mov_b32_dpp v6, v2 row_shr:1 row_mask:0xf bank_mask:0xf
	v_dual_mov_b32 v5, v15 :: v_dual_mov_b32 v4, v16
	s_and_saveexec_b32 s3, s2
; %bb.24:
	s_delay_alu instid0(VALU_DEP_3) | instskip(SKIP_2) | instid1(VALU_DEP_2)
	v_add_co_u32 v5, vcc_lo, v15, v1
	s_wait_alu 0xfffd
	v_add_co_ci_u32_e64 v2, null, 0, v16, vcc_lo
	v_add_co_u32 v1, vcc_lo, 0, v5
	s_wait_alu 0xfffd
	s_delay_alu instid0(VALU_DEP_2) | instskip(NEXT) | instid1(VALU_DEP_1)
	v_add_co_ci_u32_e64 v2, null, v6, v2, vcc_lo
	v_dual_mov_b32 v4, v2 :: v_dual_mov_b32 v3, v1
; %bb.25:
	s_wait_alu 0xfffe
	s_or_b32 exec_lo, exec_lo, s3
	v_mov_b32_dpp v1, v5 row_shr:2 row_mask:0xf bank_mask:0xf
	v_mov_b32_dpp v6, v2 row_shr:2 row_mask:0xf bank_mask:0xf
	v_cmp_lt_u32_e32 vcc_lo, 1, v41
	s_and_saveexec_b32 s4, vcc_lo
; %bb.26:
	s_delay_alu instid0(VALU_DEP_3) | instskip(SKIP_2) | instid1(VALU_DEP_2)
	v_add_co_u32 v5, s3, v3, v1
	s_wait_alu 0xf1ff
	v_add_co_ci_u32_e64 v2, null, 0, v4, s3
	v_add_co_u32 v1, s3, 0, v5
	s_wait_alu 0xf1ff
	s_delay_alu instid0(VALU_DEP_2) | instskip(NEXT) | instid1(VALU_DEP_1)
	v_add_co_ci_u32_e64 v2, null, v6, v2, s3
	v_dual_mov_b32 v4, v2 :: v_dual_mov_b32 v3, v1
; %bb.27:
	s_wait_alu 0xfffe
	s_or_b32 exec_lo, exec_lo, s4
	v_mov_b32_dpp v1, v5 row_shr:4 row_mask:0xf bank_mask:0xf
	v_mov_b32_dpp v6, v2 row_shr:4 row_mask:0xf bank_mask:0xf
	v_cmp_lt_u32_e64 s3, 3, v41
	s_and_saveexec_b32 s5, s3
; %bb.28:
	v_add_co_u32 v5, s4, v3, v1
	s_wait_alu 0xf1ff
	v_add_co_ci_u32_e64 v2, null, 0, v4, s4
	s_delay_alu instid0(VALU_DEP_2) | instskip(SKIP_1) | instid1(VALU_DEP_2)
	v_add_co_u32 v1, s4, 0, v5
	s_wait_alu 0xf1ff
	v_add_co_ci_u32_e64 v2, null, v6, v2, s4
	s_delay_alu instid0(VALU_DEP_1)
	v_dual_mov_b32 v4, v2 :: v_dual_mov_b32 v3, v1
; %bb.29:
	s_wait_alu 0xfffe
	s_or_b32 exec_lo, exec_lo, s5
	v_mov_b32_dpp v6, v5 row_shr:8 row_mask:0xf bank_mask:0xf
	v_mov_b32_dpp v1, v2 row_shr:8 row_mask:0xf bank_mask:0xf
	v_cmp_lt_u32_e64 s4, 7, v41
	s_and_saveexec_b32 s15, s4
; %bb.30:
	v_add_co_u32 v5, s5, v3, v6
	s_wait_alu 0xf1ff
	v_add_co_ci_u32_e64 v2, null, 0, v4, s5
	s_delay_alu instid0(VALU_DEP_2) | instskip(SKIP_1) | instid1(VALU_DEP_2)
	v_add_co_u32 v3, s5, 0, v5
	s_wait_alu 0xf1ff
	v_add_co_ci_u32_e64 v4, null, v1, v2, s5
	s_delay_alu instid0(VALU_DEP_1)
	v_mov_b32_e32 v2, v4
; %bb.31:
	s_wait_alu 0xfffe
	s_or_b32 exec_lo, exec_lo, s15
	ds_swizzle_b32 v1, v5 offset:swizzle(BROADCAST,32,15)
	ds_swizzle_b32 v6, v2 offset:swizzle(BROADCAST,32,15)
	v_and_b32_e32 v7, 16, v40
	s_mov_b32 s15, exec_lo
	s_delay_alu instid0(VALU_DEP_1)
	v_cmpx_ne_u32_e32 0, v7
	s_cbranch_execz .LBB2850_33
; %bb.32:
	s_wait_dscnt 0x1
	v_add_co_u32 v5, s5, v3, v1
	s_wait_alu 0xf1ff
	v_add_co_ci_u32_e64 v2, null, 0, v4, s5
	s_delay_alu instid0(VALU_DEP_2) | instskip(SKIP_2) | instid1(VALU_DEP_2)
	v_add_co_u32 v1, s5, 0, v5
	s_wait_dscnt 0x0
	s_wait_alu 0xf1ff
	v_add_co_ci_u32_e64 v2, null, v6, v2, s5
	s_delay_alu instid0(VALU_DEP_1)
	v_dual_mov_b32 v4, v2 :: v_dual_mov_b32 v3, v1
.LBB2850_33:
	s_wait_alu 0xfffe
	s_or_b32 exec_lo, exec_lo, s15
	s_wait_dscnt 0x1
	v_and_b32_e32 v1, 0x1e0, v0
	s_mov_b32 s15, exec_lo
	s_delay_alu instid0(VALU_DEP_1) | instskip(SKIP_1) | instid1(VALU_DEP_1)
	v_min_u32_e32 v1, 0x160, v1
	s_wait_dscnt 0x0
	v_or_b32_e32 v6, 31, v1
	v_lshrrev_b32_e32 v1, 5, v0
	s_delay_alu instid0(VALU_DEP_2)
	v_cmpx_eq_u32_e64 v0, v6
; %bb.34:
	s_delay_alu instid0(VALU_DEP_2)
	v_lshlrev_b32_e32 v6, 3, v1
	ds_store_b64 v6, v[3:4]
; %bb.35:
	s_wait_alu 0xfffe
	s_or_b32 exec_lo, exec_lo, s15
	s_delay_alu instid0(SALU_CYCLE_1)
	s_mov_b32 s15, exec_lo
	s_wait_loadcnt_dscnt 0x0
	s_barrier_signal -1
	s_barrier_wait -1
	global_inv scope:SCOPE_SE
	v_cmpx_gt_u32_e32 12, v0
	s_cbranch_execz .LBB2850_45
; %bb.36:
	v_lshlrev_b32_e32 v6, 3, v0
	ds_load_b64 v[3:4], v6
	s_wait_dscnt 0x0
	v_mov_b32_dpp v17, v3 row_shr:1 row_mask:0xf bank_mask:0xf
	v_mov_b32_dpp v8, v4 row_shr:1 row_mask:0xf bank_mask:0xf
	v_mov_b32_e32 v7, v3
	s_and_saveexec_b32 s16, s2
; %bb.37:
	s_delay_alu instid0(VALU_DEP_3) | instskip(SKIP_2) | instid1(VALU_DEP_2)
	v_add_co_u32 v7, s5, v3, v17
	s_wait_alu 0xf1ff
	v_add_co_ci_u32_e64 v4, null, 0, v4, s5
	v_add_co_u32 v3, s5, 0, v7
	s_wait_alu 0xf1ff
	s_delay_alu instid0(VALU_DEP_2)
	v_add_co_ci_u32_e64 v4, null, v8, v4, s5
; %bb.38:
	s_wait_alu 0xfffe
	s_or_b32 exec_lo, exec_lo, s16
	v_mov_b32_dpp v17, v7 row_shr:2 row_mask:0xf bank_mask:0xf
	s_delay_alu instid0(VALU_DEP_2)
	v_mov_b32_dpp v8, v4 row_shr:2 row_mask:0xf bank_mask:0xf
	s_and_saveexec_b32 s5, vcc_lo
; %bb.39:
	s_delay_alu instid0(VALU_DEP_2) | instskip(SKIP_2) | instid1(VALU_DEP_2)
	v_add_co_u32 v7, vcc_lo, v3, v17
	s_wait_alu 0xfffd
	v_add_co_ci_u32_e64 v4, null, 0, v4, vcc_lo
	v_add_co_u32 v3, vcc_lo, 0, v7
	s_wait_alu 0xfffd
	s_delay_alu instid0(VALU_DEP_2)
	v_add_co_ci_u32_e64 v4, null, v8, v4, vcc_lo
; %bb.40:
	s_wait_alu 0xfffe
	s_or_b32 exec_lo, exec_lo, s5
	v_mov_b32_dpp v17, v7 row_shr:4 row_mask:0xf bank_mask:0xf
	s_delay_alu instid0(VALU_DEP_2)
	v_mov_b32_dpp v8, v4 row_shr:4 row_mask:0xf bank_mask:0xf
	s_and_saveexec_b32 s5, s3
; %bb.41:
	s_delay_alu instid0(VALU_DEP_2) | instskip(SKIP_2) | instid1(VALU_DEP_2)
	v_add_co_u32 v7, vcc_lo, v3, v17
	s_wait_alu 0xfffd
	v_add_co_ci_u32_e64 v4, null, 0, v4, vcc_lo
	v_add_co_u32 v3, vcc_lo, 0, v7
	s_wait_alu 0xfffd
	s_delay_alu instid0(VALU_DEP_2)
	v_add_co_ci_u32_e64 v4, null, v8, v4, vcc_lo
; %bb.42:
	s_wait_alu 0xfffe
	s_or_b32 exec_lo, exec_lo, s5
	v_mov_b32_dpp v8, v7 row_shr:8 row_mask:0xf bank_mask:0xf
	s_delay_alu instid0(VALU_DEP_2)
	v_mov_b32_dpp v7, v4 row_shr:8 row_mask:0xf bank_mask:0xf
	s_and_saveexec_b32 s3, s4
; %bb.43:
	s_delay_alu instid0(VALU_DEP_2) | instskip(SKIP_2) | instid1(VALU_DEP_2)
	v_add_co_u32 v3, vcc_lo, v3, v8
	s_wait_alu 0xfffd
	v_add_co_ci_u32_e64 v4, null, 0, v4, vcc_lo
	v_add_co_u32 v3, vcc_lo, v3, 0
	s_wait_alu 0xfffd
	s_delay_alu instid0(VALU_DEP_2)
	v_add_co_ci_u32_e64 v4, null, v4, v7, vcc_lo
; %bb.44:
	s_wait_alu 0xfffe
	s_or_b32 exec_lo, exec_lo, s3
	ds_store_b64 v6, v[3:4]
.LBB2850_45:
	s_wait_alu 0xfffe
	s_or_b32 exec_lo, exec_lo, s15
	s_delay_alu instid0(SALU_CYCLE_1)
	s_mov_b32 s4, exec_lo
	v_cmp_gt_u32_e32 vcc_lo, 32, v0
	s_wait_loadcnt_dscnt 0x0
	s_barrier_signal -1
	s_barrier_wait -1
	global_inv scope:SCOPE_SE
                                        ; implicit-def: $vgpr17_vgpr18
	v_cmpx_lt_u32_e32 31, v0
	s_cbranch_execz .LBB2850_47
; %bb.46:
	v_lshl_add_u32 v1, v1, 3, -8
	ds_load_b64 v[17:18], v1
	s_wait_dscnt 0x0
	v_add_co_u32 v5, s3, v5, v17
	s_wait_alu 0xf1ff
	v_add_co_ci_u32_e64 v2, null, v2, v18, s3
.LBB2850_47:
	s_wait_alu 0xfffe
	s_or_b32 exec_lo, exec_lo, s4
	v_sub_co_u32 v1, s3, v40, 1
	s_delay_alu instid0(VALU_DEP_1) | instskip(SKIP_1) | instid1(VALU_DEP_1)
	v_cmp_gt_i32_e64 s4, 0, v1
	s_wait_alu 0xf1ff
	v_cndmask_b32_e64 v1, v1, v40, s4
	s_delay_alu instid0(VALU_DEP_1)
	v_lshlrev_b32_e32 v1, 2, v1
	ds_bpermute_b32 v23, v1, v5
	ds_bpermute_b32 v24, v1, v2
	s_and_saveexec_b32 s4, vcc_lo
	s_cbranch_execz .LBB2850_86
; %bb.48:
	v_mov_b32_e32 v4, 0
	ds_load_b64 v[1:2], v4 offset:88
	s_and_saveexec_b32 s5, s3
	s_cbranch_execz .LBB2850_50
; %bb.49:
	s_add_co_i32 s16, ttmp9, 32
	s_mov_b32 s17, 0
	s_wait_alu 0xfffe
	s_lshl_b64 s[16:17], s[16:17], 4
	s_wait_kmcnt 0x0
	s_wait_alu 0xfffe
	s_add_nc_u64 s[16:17], s[6:7], s[16:17]
	v_mov_b32_e32 v3, 1
	s_wait_alu 0xfffe
	v_dual_mov_b32 v5, s16 :: v_dual_mov_b32 v6, s17
	s_wait_dscnt 0x0
	;;#ASMSTART
	global_store_b128 v[5:6], v[1:4] off scope:SCOPE_DEV	
s_wait_storecnt 0x0
	;;#ASMEND
.LBB2850_50:
	s_wait_alu 0xfffe
	s_or_b32 exec_lo, exec_lo, s5
	v_xad_u32 v19, v40, -1, ttmp9
	s_mov_b32 s15, 0
	s_mov_b32 s5, exec_lo
	s_delay_alu instid0(VALU_DEP_1) | instskip(NEXT) | instid1(VALU_DEP_1)
	v_add_nc_u32_e32 v3, 32, v19
	v_lshlrev_b64_e32 v[3:4], 4, v[3:4]
	s_wait_kmcnt 0x0
	s_delay_alu instid0(VALU_DEP_1) | instskip(SKIP_1) | instid1(VALU_DEP_2)
	v_add_co_u32 v3, vcc_lo, s6, v3
	s_wait_alu 0xfffd
	v_add_co_ci_u32_e64 v4, null, s7, v4, vcc_lo
	;;#ASMSTART
	global_load_b128 v[5:8], v[3:4] off scope:SCOPE_DEV	
s_wait_loadcnt 0x0
	;;#ASMEND
	v_and_b32_e32 v8, 0xff, v7
	s_delay_alu instid0(VALU_DEP_1)
	v_cmpx_eq_u16_e32 0, v8
	s_cbranch_execz .LBB2850_53
.LBB2850_51:                            ; =>This Inner Loop Header: Depth=1
	;;#ASMSTART
	global_load_b128 v[5:8], v[3:4] off scope:SCOPE_DEV	
s_wait_loadcnt 0x0
	;;#ASMEND
	v_and_b32_e32 v8, 0xff, v7
	s_delay_alu instid0(VALU_DEP_1)
	v_cmp_ne_u16_e32 vcc_lo, 0, v8
	s_wait_alu 0xfffe
	s_or_b32 s15, vcc_lo, s15
	s_wait_alu 0xfffe
	s_and_not1_b32 exec_lo, exec_lo, s15
	s_cbranch_execnz .LBB2850_51
; %bb.52:
	s_or_b32 exec_lo, exec_lo, s15
.LBB2850_53:
	s_wait_alu 0xfffe
	s_or_b32 exec_lo, exec_lo, s5
	v_cmp_ne_u32_e32 vcc_lo, 31, v40
	v_and_b32_e32 v4, 0xff, v7
	v_lshlrev_b32_e64 v26, v40, -1
	s_mov_b32 s5, exec_lo
	s_wait_alu 0xfffd
	v_add_co_ci_u32_e64 v3, null, 0, v40, vcc_lo
	v_cmp_eq_u16_e32 vcc_lo, 2, v4
	s_delay_alu instid0(VALU_DEP_2)
	v_dual_mov_b32 v4, v5 :: v_dual_lshlrev_b32 v25, 2, v3
	s_wait_alu 0xfffd
	v_and_or_b32 v3, vcc_lo, v26, 0x80000000
	ds_bpermute_b32 v20, v25, v5
	ds_bpermute_b32 v8, v25, v6
	v_ctz_i32_b32_e32 v3, v3
	s_delay_alu instid0(VALU_DEP_1)
	v_cmpx_lt_u32_e64 v40, v3
	s_cbranch_execz .LBB2850_55
; %bb.54:
	s_wait_dscnt 0x1
	v_add_co_u32 v4, vcc_lo, v5, v20
	s_wait_alu 0xfffd
	v_add_co_ci_u32_e64 v6, null, 0, v6, vcc_lo
	s_delay_alu instid0(VALU_DEP_2) | instskip(SKIP_2) | instid1(VALU_DEP_2)
	v_add_co_u32 v5, vcc_lo, 0, v4
	s_wait_dscnt 0x0
	s_wait_alu 0xfffd
	v_add_co_ci_u32_e64 v6, null, v8, v6, vcc_lo
.LBB2850_55:
	s_wait_alu 0xfffe
	s_or_b32 exec_lo, exec_lo, s5
	v_cmp_gt_u32_e32 vcc_lo, 30, v40
	v_add_nc_u32_e32 v28, 2, v40
	s_mov_b32 s5, exec_lo
	s_wait_dscnt 0x0
	s_wait_alu 0xfffd
	v_cndmask_b32_e64 v8, 0, 2, vcc_lo
	s_delay_alu instid0(VALU_DEP_1)
	v_add_lshl_u32 v27, v8, v40, 2
	ds_bpermute_b32 v20, v27, v4
	ds_bpermute_b32 v8, v27, v6
	v_cmpx_le_u32_e64 v28, v3
	s_cbranch_execz .LBB2850_57
; %bb.56:
	s_wait_dscnt 0x1
	v_add_co_u32 v4, vcc_lo, v5, v20
	s_wait_alu 0xfffd
	v_add_co_ci_u32_e64 v6, null, 0, v6, vcc_lo
	s_delay_alu instid0(VALU_DEP_2) | instskip(SKIP_2) | instid1(VALU_DEP_2)
	v_add_co_u32 v5, vcc_lo, 0, v4
	s_wait_dscnt 0x0
	s_wait_alu 0xfffd
	v_add_co_ci_u32_e64 v6, null, v8, v6, vcc_lo
.LBB2850_57:
	s_wait_alu 0xfffe
	s_or_b32 exec_lo, exec_lo, s5
	v_cmp_gt_u32_e32 vcc_lo, 28, v40
	v_add_nc_u32_e32 v43, 4, v40
	s_mov_b32 s5, exec_lo
	s_wait_dscnt 0x0
	s_wait_alu 0xfffd
	v_cndmask_b32_e64 v8, 0, 4, vcc_lo
	s_delay_alu instid0(VALU_DEP_1)
	v_add_lshl_u32 v42, v8, v40, 2
	ds_bpermute_b32 v20, v42, v4
	ds_bpermute_b32 v8, v42, v6
	v_cmpx_le_u32_e64 v43, v3
	;; [unrolled: 25-line block ×3, first 2 shown]
	s_cbranch_execz .LBB2850_61
; %bb.60:
	s_wait_dscnt 0x1
	v_add_co_u32 v4, vcc_lo, v5, v20
	s_wait_alu 0xfffd
	v_add_co_ci_u32_e64 v6, null, 0, v6, vcc_lo
	s_delay_alu instid0(VALU_DEP_2) | instskip(SKIP_2) | instid1(VALU_DEP_2)
	v_add_co_u32 v5, vcc_lo, 0, v4
	s_wait_dscnt 0x0
	s_wait_alu 0xfffd
	v_add_co_ci_u32_e64 v6, null, v8, v6, vcc_lo
.LBB2850_61:
	s_wait_alu 0xfffe
	s_or_b32 exec_lo, exec_lo, s5
	v_lshl_or_b32 v46, v40, 2, 64
	v_add_nc_u32_e32 v47, 16, v40
	s_mov_b32 s5, exec_lo
	s_wait_dscnt 0x0
	ds_bpermute_b32 v8, v46, v4
	ds_bpermute_b32 v4, v46, v6
	v_cmpx_le_u32_e64 v47, v3
	s_cbranch_execz .LBB2850_63
; %bb.62:
	s_wait_dscnt 0x1
	v_add_co_u32 v3, vcc_lo, v5, v8
	s_wait_alu 0xfffd
	v_add_co_ci_u32_e64 v6, null, 0, v6, vcc_lo
	s_delay_alu instid0(VALU_DEP_2) | instskip(SKIP_2) | instid1(VALU_DEP_2)
	v_add_co_u32 v5, vcc_lo, v3, 0
	s_wait_dscnt 0x0
	s_wait_alu 0xfffd
	v_add_co_ci_u32_e64 v6, null, v6, v4, vcc_lo
.LBB2850_63:
	s_wait_alu 0xfffe
	s_or_b32 exec_lo, exec_lo, s5
	v_mov_b32_e32 v20, 0
	s_branch .LBB2850_66
.LBB2850_64:                            ;   in Loop: Header=BB2850_66 Depth=1
	s_wait_alu 0xfffe
	s_or_b32 exec_lo, exec_lo, s5
	v_add_co_u32 v5, vcc_lo, v5, v3
	v_subrev_nc_u32_e32 v19, 32, v19
	s_wait_alu 0xfffd
	v_add_co_ci_u32_e64 v6, null, v6, v4, vcc_lo
	s_mov_b32 s5, 0
.LBB2850_65:                            ;   in Loop: Header=BB2850_66 Depth=1
	s_wait_alu 0xfffe
	s_and_b32 vcc_lo, exec_lo, s5
	s_wait_alu 0xfffe
	s_cbranch_vccnz .LBB2850_82
.LBB2850_66:                            ; =>This Loop Header: Depth=1
                                        ;     Child Loop BB2850_69 Depth 2
	v_and_b32_e32 v3, 0xff, v7
	s_mov_b32 s5, -1
	s_delay_alu instid0(VALU_DEP_1)
	v_cmp_ne_u16_e32 vcc_lo, 2, v3
	s_wait_dscnt 0x0
	v_dual_mov_b32 v3, v5 :: v_dual_mov_b32 v4, v6
                                        ; implicit-def: $vgpr5_vgpr6
	s_cmp_lg_u32 vcc_lo, exec_lo
	s_cbranch_scc1 .LBB2850_65
; %bb.67:                               ;   in Loop: Header=BB2850_66 Depth=1
	v_lshlrev_b64_e32 v[5:6], 4, v[19:20]
	s_mov_b32 s5, exec_lo
	s_delay_alu instid0(VALU_DEP_1) | instskip(SKIP_1) | instid1(VALU_DEP_2)
	v_add_co_u32 v21, vcc_lo, s6, v5
	s_wait_alu 0xfffd
	v_add_co_ci_u32_e64 v22, null, s7, v6, vcc_lo
	;;#ASMSTART
	global_load_b128 v[5:8], v[21:22] off scope:SCOPE_DEV	
s_wait_loadcnt 0x0
	;;#ASMEND
	v_and_b32_e32 v8, 0xff, v7
	s_delay_alu instid0(VALU_DEP_1)
	v_cmpx_eq_u16_e32 0, v8
	s_cbranch_execz .LBB2850_71
; %bb.68:                               ;   in Loop: Header=BB2850_66 Depth=1
	s_mov_b32 s15, 0
.LBB2850_69:                            ;   Parent Loop BB2850_66 Depth=1
                                        ; =>  This Inner Loop Header: Depth=2
	;;#ASMSTART
	global_load_b128 v[5:8], v[21:22] off scope:SCOPE_DEV	
s_wait_loadcnt 0x0
	;;#ASMEND
	v_and_b32_e32 v8, 0xff, v7
	s_delay_alu instid0(VALU_DEP_1)
	v_cmp_ne_u16_e32 vcc_lo, 0, v8
	s_wait_alu 0xfffe
	s_or_b32 s15, vcc_lo, s15
	s_wait_alu 0xfffe
	s_and_not1_b32 exec_lo, exec_lo, s15
	s_cbranch_execnz .LBB2850_69
; %bb.70:                               ;   in Loop: Header=BB2850_66 Depth=1
	s_or_b32 exec_lo, exec_lo, s15
.LBB2850_71:                            ;   in Loop: Header=BB2850_66 Depth=1
	s_wait_alu 0xfffe
	s_or_b32 exec_lo, exec_lo, s5
	v_dual_mov_b32 v21, v5 :: v_dual_and_b32 v8, 0xff, v7
	ds_bpermute_b32 v48, v25, v5
	ds_bpermute_b32 v22, v25, v6
	s_mov_b32 s5, exec_lo
	v_cmp_eq_u16_e32 vcc_lo, 2, v8
	s_wait_alu 0xfffd
	v_and_or_b32 v8, vcc_lo, v26, 0x80000000
	s_delay_alu instid0(VALU_DEP_1) | instskip(NEXT) | instid1(VALU_DEP_1)
	v_ctz_i32_b32_e32 v8, v8
	v_cmpx_lt_u32_e64 v40, v8
	s_cbranch_execz .LBB2850_73
; %bb.72:                               ;   in Loop: Header=BB2850_66 Depth=1
	s_wait_dscnt 0x1
	v_add_co_u32 v21, vcc_lo, v5, v48
	s_wait_alu 0xfffd
	v_add_co_ci_u32_e64 v6, null, 0, v6, vcc_lo
	s_delay_alu instid0(VALU_DEP_2) | instskip(SKIP_2) | instid1(VALU_DEP_2)
	v_add_co_u32 v5, vcc_lo, 0, v21
	s_wait_dscnt 0x0
	s_wait_alu 0xfffd
	v_add_co_ci_u32_e64 v6, null, v22, v6, vcc_lo
.LBB2850_73:                            ;   in Loop: Header=BB2850_66 Depth=1
	s_wait_alu 0xfffe
	s_or_b32 exec_lo, exec_lo, s5
	s_wait_dscnt 0x1
	ds_bpermute_b32 v48, v27, v21
	s_wait_dscnt 0x1
	ds_bpermute_b32 v22, v27, v6
	s_mov_b32 s5, exec_lo
	v_cmpx_le_u32_e64 v28, v8
	s_cbranch_execz .LBB2850_75
; %bb.74:                               ;   in Loop: Header=BB2850_66 Depth=1
	s_wait_dscnt 0x1
	v_add_co_u32 v21, vcc_lo, v5, v48
	s_wait_alu 0xfffd
	v_add_co_ci_u32_e64 v6, null, 0, v6, vcc_lo
	s_delay_alu instid0(VALU_DEP_2) | instskip(SKIP_2) | instid1(VALU_DEP_2)
	v_add_co_u32 v5, vcc_lo, 0, v21
	s_wait_dscnt 0x0
	s_wait_alu 0xfffd
	v_add_co_ci_u32_e64 v6, null, v22, v6, vcc_lo
.LBB2850_75:                            ;   in Loop: Header=BB2850_66 Depth=1
	s_wait_alu 0xfffe
	s_or_b32 exec_lo, exec_lo, s5
	s_wait_dscnt 0x1
	ds_bpermute_b32 v48, v42, v21
	s_wait_dscnt 0x1
	ds_bpermute_b32 v22, v42, v6
	s_mov_b32 s5, exec_lo
	v_cmpx_le_u32_e64 v43, v8
	;; [unrolled: 20-line block ×3, first 2 shown]
	s_cbranch_execz .LBB2850_79
; %bb.78:                               ;   in Loop: Header=BB2850_66 Depth=1
	s_wait_dscnt 0x1
	v_add_co_u32 v21, vcc_lo, v5, v48
	s_wait_alu 0xfffd
	v_add_co_ci_u32_e64 v6, null, 0, v6, vcc_lo
	s_delay_alu instid0(VALU_DEP_2) | instskip(SKIP_2) | instid1(VALU_DEP_2)
	v_add_co_u32 v5, vcc_lo, 0, v21
	s_wait_dscnt 0x0
	s_wait_alu 0xfffd
	v_add_co_ci_u32_e64 v6, null, v22, v6, vcc_lo
.LBB2850_79:                            ;   in Loop: Header=BB2850_66 Depth=1
	s_wait_alu 0xfffe
	s_or_b32 exec_lo, exec_lo, s5
	s_wait_dscnt 0x0
	ds_bpermute_b32 v22, v46, v21
	ds_bpermute_b32 v21, v46, v6
	s_mov_b32 s5, exec_lo
	v_cmpx_le_u32_e64 v47, v8
	s_cbranch_execz .LBB2850_64
; %bb.80:                               ;   in Loop: Header=BB2850_66 Depth=1
	s_wait_dscnt 0x1
	v_add_co_u32 v5, vcc_lo, v5, v22
	s_wait_alu 0xfffd
	v_add_co_ci_u32_e64 v6, null, 0, v6, vcc_lo
	s_delay_alu instid0(VALU_DEP_2) | instskip(SKIP_2) | instid1(VALU_DEP_2)
	v_add_co_u32 v5, vcc_lo, v5, 0
	s_wait_dscnt 0x0
	s_wait_alu 0xfffd
	v_add_co_ci_u32_e64 v6, null, v6, v21, vcc_lo
	s_branch .LBB2850_64
.LBB2850_81:
                                        ; implicit-def: $vgpr17_vgpr18
                                        ; implicit-def: $vgpr6_vgpr7
                                        ; implicit-def: $vgpr19_vgpr20
                                        ; implicit-def: $vgpr21_vgpr22
                                        ; implicit-def: $vgpr23_vgpr24
                                        ; implicit-def: $vgpr25_vgpr26
                                        ; implicit-def: $vgpr27_vgpr28
                                        ; implicit-def: $vgpr4_vgpr5
	s_wait_alu 0xfffe
	s_and_b32 vcc_lo, exec_lo, s3
	s_wait_alu 0xfffe
	s_cbranch_vccnz .LBB2850_87
	s_branch .LBB2850_114
.LBB2850_82:
	s_and_saveexec_b32 s5, s3
	s_cbranch_execz .LBB2850_84
; %bb.83:
	s_add_co_i32 s16, ttmp9, 32
	s_mov_b32 s17, 0
	v_add_co_u32 v5, vcc_lo, v3, v1
	s_wait_alu 0xfffe
	s_lshl_b64 s[16:17], s[16:17], 4
	v_dual_mov_b32 v7, 2 :: v_dual_mov_b32 v8, 0
	s_wait_alu 0xfffe
	s_add_nc_u64 s[16:17], s[6:7], s[16:17]
	s_wait_alu 0xfffd
	v_add_co_ci_u32_e64 v6, null, v4, v2, vcc_lo
	s_wait_alu 0xfffe
	v_dual_mov_b32 v20, s17 :: v_dual_mov_b32 v19, s16
	;;#ASMSTART
	global_store_b128 v[19:20], v[5:8] off scope:SCOPE_DEV	
s_wait_storecnt 0x0
	;;#ASMEND
	ds_store_b128 v8, v[1:4] offset:10752
.LBB2850_84:
	s_wait_alu 0xfffe
	s_or_b32 exec_lo, exec_lo, s5
	v_cmp_eq_u32_e32 vcc_lo, 0, v0
	s_and_b32 exec_lo, exec_lo, vcc_lo
; %bb.85:
	v_mov_b32_e32 v1, 0
	ds_store_b64 v1, v[3:4] offset:88
.LBB2850_86:
	s_wait_alu 0xfffe
	s_or_b32 exec_lo, exec_lo, s4
	s_wait_dscnt 0x1
	v_cndmask_b32_e64 v4, v23, v17, s3
	v_cmp_ne_u32_e32 vcc_lo, 0, v0
	v_mov_b32_e32 v3, 0
	s_wait_loadcnt_dscnt 0x0
	s_barrier_signal -1
	s_barrier_wait -1
	global_inv scope:SCOPE_SE
	s_wait_alu 0xfffd
	v_cndmask_b32_e32 v4, 0, v4, vcc_lo
	ds_load_b64 v[1:2], v3 offset:88
	v_cndmask_b32_e64 v5, v24, v18, s3
	s_wait_loadcnt_dscnt 0x0
	s_barrier_signal -1
	s_barrier_wait -1
	global_inv scope:SCOPE_SE
	v_cndmask_b32_e32 v5, 0, v5, vcc_lo
	v_add_co_u32 v27, vcc_lo, v1, v4
	s_wait_alu 0xfffd
	s_delay_alu instid0(VALU_DEP_2) | instskip(SKIP_4) | instid1(VALU_DEP_2)
	v_add_co_ci_u32_e64 v28, null, v2, v5, vcc_lo
	ds_load_b128 v[2:5], v3 offset:10752
	v_add_co_u32 v25, vcc_lo, v27, v37
	s_wait_alu 0xfffd
	v_add_co_ci_u32_e64 v26, null, 0, v28, vcc_lo
	v_add_co_u32 v23, vcc_lo, v25, v36
	s_wait_alu 0xfffd
	s_delay_alu instid0(VALU_DEP_2) | instskip(NEXT) | instid1(VALU_DEP_2)
	v_add_co_ci_u32_e64 v24, null, 0, v26, vcc_lo
	v_add_co_u32 v21, vcc_lo, v23, v39
	s_wait_alu 0xfffd
	s_delay_alu instid0(VALU_DEP_2) | instskip(NEXT) | instid1(VALU_DEP_2)
	;; [unrolled: 4-line block ×4, first 2 shown]
	v_add_co_ci_u32_e64 v7, null, 0, v20, vcc_lo
	v_add_co_u32 v17, vcc_lo, v6, v35
	s_wait_alu 0xfffd
	s_delay_alu instid0(VALU_DEP_2)
	v_add_co_ci_u32_e64 v18, null, 0, v7, vcc_lo
	s_branch .LBB2850_114
.LBB2850_87:
	s_wait_dscnt 0x0
	v_dual_mov_b32 v2, 0 :: v_dual_mov_b32 v3, v15
	v_mov_b32_dpp v4, v15 row_shr:1 row_mask:0xf bank_mask:0xf
	s_delay_alu instid0(VALU_DEP_2)
	v_mov_b32_dpp v1, v2 row_shr:1 row_mask:0xf bank_mask:0xf
	s_and_saveexec_b32 s3, s2
; %bb.88:
	s_delay_alu instid0(VALU_DEP_2) | instskip(SKIP_2) | instid1(VALU_DEP_2)
	v_add_co_u32 v3, vcc_lo, v15, v4
	s_wait_alu 0xfffd
	v_add_co_ci_u32_e64 v2, null, 0, v16, vcc_lo
	v_add_co_u32 v15, vcc_lo, 0, v3
	s_wait_alu 0xfffd
	s_delay_alu instid0(VALU_DEP_2) | instskip(NEXT) | instid1(VALU_DEP_1)
	v_add_co_ci_u32_e64 v16, null, v1, v2, vcc_lo
	v_mov_b32_e32 v2, v16
; %bb.89:
	s_wait_alu 0xfffe
	s_or_b32 exec_lo, exec_lo, s3
	v_mov_b32_dpp v1, v3 row_shr:2 row_mask:0xf bank_mask:0xf
	s_delay_alu instid0(VALU_DEP_2)
	v_mov_b32_dpp v4, v2 row_shr:2 row_mask:0xf bank_mask:0xf
	v_cmp_lt_u32_e32 vcc_lo, 1, v41
	s_and_saveexec_b32 s4, vcc_lo
; %bb.90:
	s_delay_alu instid0(VALU_DEP_3) | instskip(SKIP_2) | instid1(VALU_DEP_2)
	v_add_co_u32 v3, s3, v15, v1
	s_wait_alu 0xf1ff
	v_add_co_ci_u32_e64 v2, null, 0, v16, s3
	v_add_co_u32 v1, s3, 0, v3
	s_wait_alu 0xf1ff
	s_delay_alu instid0(VALU_DEP_2) | instskip(NEXT) | instid1(VALU_DEP_1)
	v_add_co_ci_u32_e64 v2, null, v4, v2, s3
	v_dual_mov_b32 v16, v2 :: v_dual_mov_b32 v15, v1
; %bb.91:
	s_wait_alu 0xfffe
	s_or_b32 exec_lo, exec_lo, s4
	v_mov_b32_dpp v1, v3 row_shr:4 row_mask:0xf bank_mask:0xf
	v_mov_b32_dpp v4, v2 row_shr:4 row_mask:0xf bank_mask:0xf
	v_cmp_lt_u32_e64 s3, 3, v41
	s_and_saveexec_b32 s5, s3
; %bb.92:
	v_add_co_u32 v3, s4, v15, v1
	s_wait_alu 0xf1ff
	v_add_co_ci_u32_e64 v2, null, 0, v16, s4
	s_delay_alu instid0(VALU_DEP_2) | instskip(SKIP_1) | instid1(VALU_DEP_2)
	v_add_co_u32 v1, s4, 0, v3
	s_wait_alu 0xf1ff
	v_add_co_ci_u32_e64 v2, null, v4, v2, s4
	s_delay_alu instid0(VALU_DEP_1)
	v_dual_mov_b32 v16, v2 :: v_dual_mov_b32 v15, v1
; %bb.93:
	s_wait_alu 0xfffe
	s_or_b32 exec_lo, exec_lo, s5
	v_mov_b32_dpp v4, v3 row_shr:8 row_mask:0xf bank_mask:0xf
	v_mov_b32_dpp v1, v2 row_shr:8 row_mask:0xf bank_mask:0xf
	v_cmp_lt_u32_e64 s4, 7, v41
	s_and_saveexec_b32 s15, s4
; %bb.94:
	v_add_co_u32 v3, s5, v15, v4
	s_wait_alu 0xf1ff
	v_add_co_ci_u32_e64 v2, null, 0, v16, s5
	s_delay_alu instid0(VALU_DEP_2) | instskip(SKIP_1) | instid1(VALU_DEP_2)
	v_add_co_u32 v15, s5, 0, v3
	s_wait_alu 0xf1ff
	v_add_co_ci_u32_e64 v16, null, v1, v2, s5
	s_delay_alu instid0(VALU_DEP_1)
	v_mov_b32_e32 v2, v16
; %bb.95:
	s_wait_alu 0xfffe
	s_or_b32 exec_lo, exec_lo, s15
	ds_swizzle_b32 v3, v3 offset:swizzle(BROADCAST,32,15)
	ds_swizzle_b32 v1, v2 offset:swizzle(BROADCAST,32,15)
	v_and_b32_e32 v2, 16, v40
	s_mov_b32 s15, exec_lo
	s_delay_alu instid0(VALU_DEP_1)
	v_cmpx_ne_u32_e32 0, v2
	s_cbranch_execz .LBB2850_97
; %bb.96:
	s_wait_dscnt 0x1
	v_add_co_u32 v2, s5, v15, v3
	s_wait_alu 0xf1ff
	v_add_co_ci_u32_e64 v3, null, 0, v16, s5
	s_delay_alu instid0(VALU_DEP_2) | instskip(SKIP_2) | instid1(VALU_DEP_2)
	v_add_co_u32 v15, s5, v2, 0
	s_wait_dscnt 0x0
	s_wait_alu 0xf1ff
	v_add_co_ci_u32_e64 v16, null, v3, v1, s5
.LBB2850_97:
	s_wait_alu 0xfffe
	s_or_b32 exec_lo, exec_lo, s15
	s_wait_dscnt 0x0
	v_and_b32_e32 v1, 0x1e0, v0
	v_lshrrev_b32_e32 v3, 5, v0
	s_mov_b32 s15, exec_lo
	s_delay_alu instid0(VALU_DEP_2) | instskip(NEXT) | instid1(VALU_DEP_1)
	v_min_u32_e32 v1, 0x160, v1
	v_or_b32_e32 v1, 31, v1
	s_delay_alu instid0(VALU_DEP_1)
	v_cmpx_eq_u32_e64 v0, v1
; %bb.98:
	v_lshlrev_b32_e32 v1, 3, v3
	ds_store_b64 v1, v[15:16]
; %bb.99:
	s_wait_alu 0xfffe
	s_or_b32 exec_lo, exec_lo, s15
	s_delay_alu instid0(SALU_CYCLE_1)
	s_mov_b32 s15, exec_lo
	s_wait_loadcnt_dscnt 0x0
	s_barrier_signal -1
	s_barrier_wait -1
	global_inv scope:SCOPE_SE
	v_cmpx_gt_u32_e32 12, v0
	s_cbranch_execz .LBB2850_109
; %bb.100:
	v_mad_i32_i24 v1, 0xffffffec, v0, v34
	ds_load_b64 v[1:2], v1
	s_wait_dscnt 0x0
	v_mov_b32_dpp v6, v1 row_shr:1 row_mask:0xf bank_mask:0xf
	v_mov_b32_dpp v5, v2 row_shr:1 row_mask:0xf bank_mask:0xf
	v_mov_b32_e32 v4, v1
	s_and_saveexec_b32 s5, s2
; %bb.101:
	s_delay_alu instid0(VALU_DEP_3) | instskip(SKIP_2) | instid1(VALU_DEP_2)
	v_add_co_u32 v4, s2, v1, v6
	s_wait_alu 0xf1ff
	v_add_co_ci_u32_e64 v2, null, 0, v2, s2
	v_add_co_u32 v1, s2, 0, v4
	s_wait_alu 0xf1ff
	s_delay_alu instid0(VALU_DEP_2)
	v_add_co_ci_u32_e64 v2, null, v5, v2, s2
; %bb.102:
	s_wait_alu 0xfffe
	s_or_b32 exec_lo, exec_lo, s5
	v_mov_b32_dpp v6, v4 row_shr:2 row_mask:0xf bank_mask:0xf
	s_delay_alu instid0(VALU_DEP_2)
	v_mov_b32_dpp v5, v2 row_shr:2 row_mask:0xf bank_mask:0xf
	s_and_saveexec_b32 s2, vcc_lo
; %bb.103:
	s_delay_alu instid0(VALU_DEP_2) | instskip(SKIP_2) | instid1(VALU_DEP_2)
	v_add_co_u32 v4, vcc_lo, v1, v6
	s_wait_alu 0xfffd
	v_add_co_ci_u32_e64 v2, null, 0, v2, vcc_lo
	v_add_co_u32 v1, vcc_lo, 0, v4
	s_wait_alu 0xfffd
	s_delay_alu instid0(VALU_DEP_2)
	v_add_co_ci_u32_e64 v2, null, v5, v2, vcc_lo
; %bb.104:
	s_wait_alu 0xfffe
	s_or_b32 exec_lo, exec_lo, s2
	v_mov_b32_dpp v6, v4 row_shr:4 row_mask:0xf bank_mask:0xf
	s_delay_alu instid0(VALU_DEP_2)
	v_mov_b32_dpp v5, v2 row_shr:4 row_mask:0xf bank_mask:0xf
	s_and_saveexec_b32 s2, s3
; %bb.105:
	s_delay_alu instid0(VALU_DEP_2) | instskip(SKIP_2) | instid1(VALU_DEP_2)
	v_add_co_u32 v4, vcc_lo, v1, v6
	s_wait_alu 0xfffd
	v_add_co_ci_u32_e64 v2, null, 0, v2, vcc_lo
	v_add_co_u32 v1, vcc_lo, 0, v4
	s_wait_alu 0xfffd
	s_delay_alu instid0(VALU_DEP_2)
	v_add_co_ci_u32_e64 v2, null, v5, v2, vcc_lo
; %bb.106:
	s_wait_alu 0xfffe
	s_or_b32 exec_lo, exec_lo, s2
	v_mul_i32_i24_e32 v5, 0xffffffec, v0
	v_mov_b32_dpp v6, v4 row_shr:8 row_mask:0xf bank_mask:0xf
	v_mov_b32_dpp v4, v2 row_shr:8 row_mask:0xf bank_mask:0xf
	s_and_saveexec_b32 s2, s4
; %bb.107:
	s_delay_alu instid0(VALU_DEP_2) | instskip(SKIP_2) | instid1(VALU_DEP_2)
	v_add_co_u32 v1, vcc_lo, v1, v6
	s_wait_alu 0xfffd
	v_add_co_ci_u32_e64 v2, null, 0, v2, vcc_lo
	v_add_co_u32 v1, vcc_lo, v1, 0
	s_wait_alu 0xfffd
	s_delay_alu instid0(VALU_DEP_2)
	v_add_co_ci_u32_e64 v2, null, v2, v4, vcc_lo
; %bb.108:
	s_wait_alu 0xfffe
	s_or_b32 exec_lo, exec_lo, s2
	v_add_nc_u32_e32 v4, v34, v5
	ds_store_b64 v4, v[1:2]
.LBB2850_109:
	s_wait_alu 0xfffe
	s_or_b32 exec_lo, exec_lo, s15
	v_mov_b32_e32 v6, 0
	v_mov_b32_e32 v7, 0
	s_mov_b32 s2, exec_lo
	s_wait_loadcnt_dscnt 0x0
	s_barrier_signal -1
	s_barrier_wait -1
	global_inv scope:SCOPE_SE
	v_cmpx_lt_u32_e32 31, v0
; %bb.110:
	v_lshl_add_u32 v1, v3, 3, -8
	ds_load_b64 v[6:7], v1
; %bb.111:
	s_wait_alu 0xfffe
	s_or_b32 exec_lo, exec_lo, s2
	v_sub_co_u32 v1, vcc_lo, v40, 1
	v_mov_b32_e32 v5, 0
	s_delay_alu instid0(VALU_DEP_2) | instskip(SKIP_1) | instid1(VALU_DEP_1)
	v_cmp_gt_i32_e64 s2, 0, v1
	s_wait_alu 0xf1ff
	v_cndmask_b32_e64 v1, v1, v40, s2
	s_delay_alu instid0(VALU_DEP_1)
	v_lshlrev_b32_e32 v2, 2, v1
	s_wait_dscnt 0x0
	v_add_co_u32 v1, s2, v6, v15
	s_wait_alu 0xf1ff
	v_add_co_ci_u32_e64 v3, null, v7, v16, s2
	v_cmp_eq_u32_e64 s2, 0, v0
	ds_bpermute_b32 v1, v2, v1
	ds_bpermute_b32 v8, v2, v3
	ds_load_b64 v[2:3], v5 offset:88
	s_and_saveexec_b32 s3, s2
	s_cbranch_execz .LBB2850_113
; %bb.112:
	s_wait_kmcnt 0x0
	s_add_nc_u64 s[4:5], s[6:7], 0x200
	v_mov_b32_e32 v4, 2
	s_wait_alu 0xfffe
	v_dual_mov_b32 v16, s5 :: v_dual_mov_b32 v15, s4
	s_wait_dscnt 0x0
	;;#ASMSTART
	global_store_b128 v[15:16], v[2:5] off scope:SCOPE_DEV	
s_wait_storecnt 0x0
	;;#ASMEND
.LBB2850_113:
	s_wait_alu 0xfffe
	s_or_b32 exec_lo, exec_lo, s3
	s_wait_dscnt 0x1
	s_wait_alu 0xfffd
	v_dual_cndmask_b32 v1, v1, v6 :: v_dual_cndmask_b32 v4, v8, v7
	s_wait_loadcnt_dscnt 0x0
	s_barrier_signal -1
	s_barrier_wait -1
	s_delay_alu instid0(VALU_DEP_1)
	v_cndmask_b32_e64 v27, v1, 0, s2
	v_cndmask_b32_e64 v28, v4, 0, s2
	v_mov_b32_e32 v4, 0
	v_mov_b32_e32 v5, 0
	global_inv scope:SCOPE_SE
	v_add_co_u32 v25, vcc_lo, v27, v37
	s_wait_alu 0xfffd
	v_add_co_ci_u32_e64 v26, null, 0, v28, vcc_lo
	s_delay_alu instid0(VALU_DEP_2) | instskip(SKIP_1) | instid1(VALU_DEP_2)
	v_add_co_u32 v23, vcc_lo, v25, v36
	s_wait_alu 0xfffd
	v_add_co_ci_u32_e64 v24, null, 0, v26, vcc_lo
	s_delay_alu instid0(VALU_DEP_2) | instskip(SKIP_1) | instid1(VALU_DEP_2)
	;; [unrolled: 4-line block ×5, first 2 shown]
	v_add_co_u32 v17, vcc_lo, v6, v35
	s_wait_alu 0xfffd
	v_add_co_ci_u32_e64 v18, null, 0, v7, vcc_lo
.LBB2850_114:
	s_load_b64 s[2:3], s[0:1], 0x28
	v_lshrrev_b32_e32 v8, 8, v33
	v_lshrrev_b32_e32 v1, 16, v33
	v_and_b32_e32 v33, 1, v33
	s_wait_dscnt 0x0
	v_cmp_gt_u64_e32 vcc_lo, 0x181, v[2:3]
	s_mov_b32 s1, -1
	s_delay_alu instid0(VALU_DEP_2)
	v_cmp_eq_u32_e64 s0, 1, v33
	s_cbranch_vccnz .LBB2850_118
; %bb.115:
	s_wait_alu 0xfffe
	s_and_b32 vcc_lo, exec_lo, s1
	s_wait_alu 0xfffe
	s_cbranch_vccnz .LBB2850_133
.LBB2850_116:
	v_cmp_eq_u32_e32 vcc_lo, 0, v0
	s_and_b32 s0, vcc_lo, s12
	s_wait_alu 0xfffe
	s_and_saveexec_b32 s1, s0
	s_cbranch_execnz .LBB2850_150
.LBB2850_117:
	s_endpgm
.LBB2850_118:
	v_add_co_u32 v15, vcc_lo, v4, v2
	s_wait_alu 0xfffd
	v_add_co_ci_u32_e64 v16, null, v5, v3, vcc_lo
	s_lshl_b64 s[4:5], s[10:11], 2
	s_wait_kmcnt 0x0
	s_wait_alu 0xfffe
	s_add_nc_u64 s[4:5], s[2:3], s[4:5]
	v_cmp_lt_u64_e32 vcc_lo, v[27:28], v[15:16]
	s_or_b32 s1, s13, vcc_lo
	s_wait_alu 0xfffe
	s_and_b32 s1, s1, s0
	s_wait_alu 0xfffe
	s_and_saveexec_b32 s0, s1
	s_cbranch_execz .LBB2850_120
; %bb.119:
	v_lshlrev_b64_e32 v[34:35], 2, v[27:28]
	s_delay_alu instid0(VALU_DEP_1) | instskip(SKIP_1) | instid1(VALU_DEP_2)
	v_add_co_u32 v34, vcc_lo, s4, v34
	s_wait_alu 0xfffd
	v_add_co_ci_u32_e64 v35, null, s5, v35, vcc_lo
	global_store_b32 v[34:35], v13, off
.LBB2850_120:
	s_wait_alu 0xfffe
	s_or_b32 exec_lo, exec_lo, s0
	v_and_b32_e32 v28, 1, v8
	v_cmp_lt_u64_e32 vcc_lo, v[25:26], v[15:16]
	s_delay_alu instid0(VALU_DEP_2)
	v_cmp_eq_u32_e64 s0, 1, v28
	s_or_b32 s1, s13, vcc_lo
	s_wait_alu 0xfffe
	s_and_b32 s1, s1, s0
	s_wait_alu 0xfffe
	s_and_saveexec_b32 s0, s1
	s_cbranch_execz .LBB2850_122
; %bb.121:
	v_lshlrev_b64_e32 v[34:35], 2, v[25:26]
	s_delay_alu instid0(VALU_DEP_1) | instskip(SKIP_1) | instid1(VALU_DEP_2)
	v_add_co_u32 v34, vcc_lo, s4, v34
	s_wait_alu 0xfffd
	v_add_co_ci_u32_e64 v35, null, s5, v35, vcc_lo
	global_store_b32 v[34:35], v14, off
.LBB2850_122:
	s_wait_alu 0xfffe
	s_or_b32 exec_lo, exec_lo, s0
	v_and_b32_e32 v26, 1, v1
	v_cmp_lt_u64_e32 vcc_lo, v[23:24], v[15:16]
	s_delay_alu instid0(VALU_DEP_2)
	v_cmp_eq_u32_e64 s0, 1, v26
	;; [unrolled: 20-line block ×5, first 2 shown]
	s_or_b32 s1, s13, vcc_lo
	s_wait_alu 0xfffe
	s_and_b32 s1, s1, s0
	s_wait_alu 0xfffe
	s_and_saveexec_b32 s0, s1
	s_cbranch_execz .LBB2850_130
; %bb.129:
	v_lshlrev_b64_e32 v[34:35], 2, v[6:7]
	s_delay_alu instid0(VALU_DEP_1) | instskip(SKIP_1) | instid1(VALU_DEP_2)
	v_add_co_u32 v34, vcc_lo, s4, v34
	s_wait_alu 0xfffd
	v_add_co_ci_u32_e64 v35, null, s5, v35, vcc_lo
	global_store_b32 v[34:35], v10, off
.LBB2850_130:
	s_wait_alu 0xfffe
	s_or_b32 exec_lo, exec_lo, s0
	v_cmp_lt_u64_e32 vcc_lo, v[17:18], v[15:16]
	s_or_b32 s0, s13, vcc_lo
	s_wait_alu 0xfffe
	s_and_b32 s1, s0, s14
	s_wait_alu 0xfffe
	s_and_saveexec_b32 s0, s1
	s_cbranch_execz .LBB2850_132
; %bb.131:
	v_lshlrev_b64_e32 v[15:16], 2, v[17:18]
	s_delay_alu instid0(VALU_DEP_1) | instskip(SKIP_1) | instid1(VALU_DEP_2)
	v_add_co_u32 v15, vcc_lo, s4, v15
	s_wait_alu 0xfffd
	v_add_co_ci_u32_e64 v16, null, s5, v16, vcc_lo
	global_store_b32 v[15:16], v29, off
.LBB2850_132:
	s_wait_alu 0xfffe
	s_or_b32 exec_lo, exec_lo, s0
	s_branch .LBB2850_116
.LBB2850_133:
	s_mov_b32 s0, exec_lo
	v_cmpx_eq_u32_e32 1, v33
; %bb.134:
	v_sub_nc_u32_e32 v7, v27, v4
	s_delay_alu instid0(VALU_DEP_1)
	v_lshlrev_b32_e32 v7, 2, v7
	ds_store_b32 v7, v13
; %bb.135:
	s_wait_alu 0xfffe
	s_or_b32 exec_lo, exec_lo, s0
	v_and_b32_e32 v7, 1, v8
	s_mov_b32 s0, exec_lo
	s_delay_alu instid0(VALU_DEP_1)
	v_cmpx_eq_u32_e32 1, v7
; %bb.136:
	v_sub_nc_u32_e32 v7, v25, v4
	s_delay_alu instid0(VALU_DEP_1)
	v_lshlrev_b32_e32 v7, 2, v7
	ds_store_b32 v7, v14
; %bb.137:
	s_wait_alu 0xfffe
	s_or_b32 exec_lo, exec_lo, s0
	v_and_b32_e32 v1, 1, v1
	s_mov_b32 s0, exec_lo
	s_delay_alu instid0(VALU_DEP_1)
	;; [unrolled: 12-line block ×5, first 2 shown]
	v_cmpx_eq_u32_e32 1, v1
; %bb.144:
	v_sub_nc_u32_e32 v1, v6, v4
	s_delay_alu instid0(VALU_DEP_1)
	v_lshlrev_b32_e32 v1, 2, v1
	ds_store_b32 v1, v10
; %bb.145:
	s_wait_alu 0xfffe
	s_or_b32 exec_lo, exec_lo, s0
	s_and_saveexec_b32 s0, s14
; %bb.146:
	v_sub_nc_u32_e32 v1, v17, v4
	s_delay_alu instid0(VALU_DEP_1)
	v_lshlrev_b32_e32 v1, 2, v1
	ds_store_b32 v1, v29
; %bb.147:
	s_wait_alu 0xfffe
	s_or_b32 exec_lo, exec_lo, s0
	v_dual_mov_b32 v7, 0 :: v_dual_add_nc_u32 v6, 0x180, v0
	v_lshlrev_b64_e32 v[8:9], 2, v[4:5]
	s_lshl_b64 s[0:1], s[10:11], 2
	s_wait_storecnt 0x0
	s_wait_loadcnt_dscnt 0x0
	v_mov_b32_e32 v1, v7
	s_wait_kmcnt 0x0
	s_wait_alu 0xfffe
	s_add_nc_u64 s[0:1], s[2:3], s[0:1]
	s_barrier_signal -1
	s_wait_alu 0xfffe
	v_add_co_u32 v10, vcc_lo, s0, v8
	s_wait_alu 0xfffd
	v_add_co_ci_u32_e64 v11, null, s1, v9, vcc_lo
	v_dual_mov_b32 v9, v1 :: v_dual_mov_b32 v8, v0
	s_mov_b32 s1, 0
	s_barrier_wait -1
	global_inv scope:SCOPE_SE
.LBB2850_148:                           ; =>This Inner Loop Header: Depth=1
	v_lshlrev_b32_e32 v1, 2, v8
	v_lshlrev_b64_e32 v[12:13], 2, v[8:9]
	v_dual_mov_b32 v9, v7 :: v_dual_mov_b32 v8, v6
	v_cmp_le_u64_e32 vcc_lo, v[2:3], v[6:7]
	ds_load_b32 v1, v1
	v_add_nc_u32_e32 v6, 0x180, v6
	v_add_co_u32 v12, s0, v10, v12
	s_wait_alu 0xf1ff
	v_add_co_ci_u32_e64 v13, null, v11, v13, s0
	s_wait_alu 0xfffe
	s_or_b32 s1, vcc_lo, s1
	s_wait_dscnt 0x0
	global_store_b32 v[12:13], v1, off
	s_wait_alu 0xfffe
	s_and_not1_b32 exec_lo, exec_lo, s1
	s_cbranch_execnz .LBB2850_148
; %bb.149:
	s_or_b32 exec_lo, exec_lo, s1
	v_cmp_eq_u32_e32 vcc_lo, 0, v0
	s_and_b32 s0, vcc_lo, s12
	s_wait_alu 0xfffe
	s_and_saveexec_b32 s1, s0
	s_cbranch_execz .LBB2850_117
.LBB2850_150:
	v_add_co_u32 v0, vcc_lo, v4, v2
	s_wait_alu 0xfffd
	v_add_co_ci_u32_e64 v1, null, v5, v3, vcc_lo
	v_mov_b32_e32 v2, 0
	s_delay_alu instid0(VALU_DEP_3) | instskip(SKIP_1) | instid1(VALU_DEP_3)
	v_add_co_u32 v0, vcc_lo, v0, s10
	s_wait_alu 0xfffd
	v_add_co_ci_u32_e64 v1, null, s11, v1, vcc_lo
	global_store_b64 v2, v[0:1], s[8:9]
	s_endpgm
	.section	.rodata,"a",@progbits
	.p2align	6, 0x0
	.amdhsa_kernel _ZN7rocprim17ROCPRIM_400000_NS6detail17trampoline_kernelINS0_14default_configENS1_25partition_config_selectorILNS1_17partition_subalgoE6EiNS0_10empty_typeEbEEZZNS1_14partition_implILS5_6ELb0ES3_mN6thrust23THRUST_200600_302600_NS10device_ptrIiEEPS6_SD_NS0_5tupleIJSC_S6_EEENSE_IJSD_SD_EEES6_PlJNSA_6detail9not_fun_tINSI_10functional5actorINSK_9compositeIJNSK_27transparent_binary_operatorINSA_8equal_toIvEEEENSL_INSK_8argumentILj0EEEEENSK_5valueIiEEEEEEEEEEEE10hipError_tPvRmT3_T4_T5_T6_T7_T9_mT8_P12ihipStream_tbDpT10_ENKUlT_T0_E_clISt17integral_constantIbLb0EES1I_EEDaS1D_S1E_EUlS1D_E_NS1_11comp_targetILNS1_3genE10ELNS1_11target_archE1200ELNS1_3gpuE4ELNS1_3repE0EEENS1_30default_config_static_selectorELNS0_4arch9wavefront6targetE0EEEvT1_
		.amdhsa_group_segment_fixed_size 10768
		.amdhsa_private_segment_fixed_size 0
		.amdhsa_kernarg_size 120
		.amdhsa_user_sgpr_count 2
		.amdhsa_user_sgpr_dispatch_ptr 0
		.amdhsa_user_sgpr_queue_ptr 0
		.amdhsa_user_sgpr_kernarg_segment_ptr 1
		.amdhsa_user_sgpr_dispatch_id 0
		.amdhsa_user_sgpr_private_segment_size 0
		.amdhsa_wavefront_size32 1
		.amdhsa_uses_dynamic_stack 0
		.amdhsa_enable_private_segment 0
		.amdhsa_system_sgpr_workgroup_id_x 1
		.amdhsa_system_sgpr_workgroup_id_y 0
		.amdhsa_system_sgpr_workgroup_id_z 0
		.amdhsa_system_sgpr_workgroup_info 0
		.amdhsa_system_vgpr_workitem_id 0
		.amdhsa_next_free_vgpr 49
		.amdhsa_next_free_sgpr 18
		.amdhsa_reserve_vcc 1
		.amdhsa_float_round_mode_32 0
		.amdhsa_float_round_mode_16_64 0
		.amdhsa_float_denorm_mode_32 3
		.amdhsa_float_denorm_mode_16_64 3
		.amdhsa_fp16_overflow 0
		.amdhsa_workgroup_processor_mode 1
		.amdhsa_memory_ordered 1
		.amdhsa_forward_progress 1
		.amdhsa_inst_pref_size 59
		.amdhsa_round_robin_scheduling 0
		.amdhsa_exception_fp_ieee_invalid_op 0
		.amdhsa_exception_fp_denorm_src 0
		.amdhsa_exception_fp_ieee_div_zero 0
		.amdhsa_exception_fp_ieee_overflow 0
		.amdhsa_exception_fp_ieee_underflow 0
		.amdhsa_exception_fp_ieee_inexact 0
		.amdhsa_exception_int_div_zero 0
	.end_amdhsa_kernel
	.section	.text._ZN7rocprim17ROCPRIM_400000_NS6detail17trampoline_kernelINS0_14default_configENS1_25partition_config_selectorILNS1_17partition_subalgoE6EiNS0_10empty_typeEbEEZZNS1_14partition_implILS5_6ELb0ES3_mN6thrust23THRUST_200600_302600_NS10device_ptrIiEEPS6_SD_NS0_5tupleIJSC_S6_EEENSE_IJSD_SD_EEES6_PlJNSA_6detail9not_fun_tINSI_10functional5actorINSK_9compositeIJNSK_27transparent_binary_operatorINSA_8equal_toIvEEEENSL_INSK_8argumentILj0EEEEENSK_5valueIiEEEEEEEEEEEE10hipError_tPvRmT3_T4_T5_T6_T7_T9_mT8_P12ihipStream_tbDpT10_ENKUlT_T0_E_clISt17integral_constantIbLb0EES1I_EEDaS1D_S1E_EUlS1D_E_NS1_11comp_targetILNS1_3genE10ELNS1_11target_archE1200ELNS1_3gpuE4ELNS1_3repE0EEENS1_30default_config_static_selectorELNS0_4arch9wavefront6targetE0EEEvT1_,"axG",@progbits,_ZN7rocprim17ROCPRIM_400000_NS6detail17trampoline_kernelINS0_14default_configENS1_25partition_config_selectorILNS1_17partition_subalgoE6EiNS0_10empty_typeEbEEZZNS1_14partition_implILS5_6ELb0ES3_mN6thrust23THRUST_200600_302600_NS10device_ptrIiEEPS6_SD_NS0_5tupleIJSC_S6_EEENSE_IJSD_SD_EEES6_PlJNSA_6detail9not_fun_tINSI_10functional5actorINSK_9compositeIJNSK_27transparent_binary_operatorINSA_8equal_toIvEEEENSL_INSK_8argumentILj0EEEEENSK_5valueIiEEEEEEEEEEEE10hipError_tPvRmT3_T4_T5_T6_T7_T9_mT8_P12ihipStream_tbDpT10_ENKUlT_T0_E_clISt17integral_constantIbLb0EES1I_EEDaS1D_S1E_EUlS1D_E_NS1_11comp_targetILNS1_3genE10ELNS1_11target_archE1200ELNS1_3gpuE4ELNS1_3repE0EEENS1_30default_config_static_selectorELNS0_4arch9wavefront6targetE0EEEvT1_,comdat
.Lfunc_end2850:
	.size	_ZN7rocprim17ROCPRIM_400000_NS6detail17trampoline_kernelINS0_14default_configENS1_25partition_config_selectorILNS1_17partition_subalgoE6EiNS0_10empty_typeEbEEZZNS1_14partition_implILS5_6ELb0ES3_mN6thrust23THRUST_200600_302600_NS10device_ptrIiEEPS6_SD_NS0_5tupleIJSC_S6_EEENSE_IJSD_SD_EEES6_PlJNSA_6detail9not_fun_tINSI_10functional5actorINSK_9compositeIJNSK_27transparent_binary_operatorINSA_8equal_toIvEEEENSL_INSK_8argumentILj0EEEEENSK_5valueIiEEEEEEEEEEEE10hipError_tPvRmT3_T4_T5_T6_T7_T9_mT8_P12ihipStream_tbDpT10_ENKUlT_T0_E_clISt17integral_constantIbLb0EES1I_EEDaS1D_S1E_EUlS1D_E_NS1_11comp_targetILNS1_3genE10ELNS1_11target_archE1200ELNS1_3gpuE4ELNS1_3repE0EEENS1_30default_config_static_selectorELNS0_4arch9wavefront6targetE0EEEvT1_, .Lfunc_end2850-_ZN7rocprim17ROCPRIM_400000_NS6detail17trampoline_kernelINS0_14default_configENS1_25partition_config_selectorILNS1_17partition_subalgoE6EiNS0_10empty_typeEbEEZZNS1_14partition_implILS5_6ELb0ES3_mN6thrust23THRUST_200600_302600_NS10device_ptrIiEEPS6_SD_NS0_5tupleIJSC_S6_EEENSE_IJSD_SD_EEES6_PlJNSA_6detail9not_fun_tINSI_10functional5actorINSK_9compositeIJNSK_27transparent_binary_operatorINSA_8equal_toIvEEEENSL_INSK_8argumentILj0EEEEENSK_5valueIiEEEEEEEEEEEE10hipError_tPvRmT3_T4_T5_T6_T7_T9_mT8_P12ihipStream_tbDpT10_ENKUlT_T0_E_clISt17integral_constantIbLb0EES1I_EEDaS1D_S1E_EUlS1D_E_NS1_11comp_targetILNS1_3genE10ELNS1_11target_archE1200ELNS1_3gpuE4ELNS1_3repE0EEENS1_30default_config_static_selectorELNS0_4arch9wavefront6targetE0EEEvT1_
                                        ; -- End function
	.set _ZN7rocprim17ROCPRIM_400000_NS6detail17trampoline_kernelINS0_14default_configENS1_25partition_config_selectorILNS1_17partition_subalgoE6EiNS0_10empty_typeEbEEZZNS1_14partition_implILS5_6ELb0ES3_mN6thrust23THRUST_200600_302600_NS10device_ptrIiEEPS6_SD_NS0_5tupleIJSC_S6_EEENSE_IJSD_SD_EEES6_PlJNSA_6detail9not_fun_tINSI_10functional5actorINSK_9compositeIJNSK_27transparent_binary_operatorINSA_8equal_toIvEEEENSL_INSK_8argumentILj0EEEEENSK_5valueIiEEEEEEEEEEEE10hipError_tPvRmT3_T4_T5_T6_T7_T9_mT8_P12ihipStream_tbDpT10_ENKUlT_T0_E_clISt17integral_constantIbLb0EES1I_EEDaS1D_S1E_EUlS1D_E_NS1_11comp_targetILNS1_3genE10ELNS1_11target_archE1200ELNS1_3gpuE4ELNS1_3repE0EEENS1_30default_config_static_selectorELNS0_4arch9wavefront6targetE0EEEvT1_.num_vgpr, 49
	.set _ZN7rocprim17ROCPRIM_400000_NS6detail17trampoline_kernelINS0_14default_configENS1_25partition_config_selectorILNS1_17partition_subalgoE6EiNS0_10empty_typeEbEEZZNS1_14partition_implILS5_6ELb0ES3_mN6thrust23THRUST_200600_302600_NS10device_ptrIiEEPS6_SD_NS0_5tupleIJSC_S6_EEENSE_IJSD_SD_EEES6_PlJNSA_6detail9not_fun_tINSI_10functional5actorINSK_9compositeIJNSK_27transparent_binary_operatorINSA_8equal_toIvEEEENSL_INSK_8argumentILj0EEEEENSK_5valueIiEEEEEEEEEEEE10hipError_tPvRmT3_T4_T5_T6_T7_T9_mT8_P12ihipStream_tbDpT10_ENKUlT_T0_E_clISt17integral_constantIbLb0EES1I_EEDaS1D_S1E_EUlS1D_E_NS1_11comp_targetILNS1_3genE10ELNS1_11target_archE1200ELNS1_3gpuE4ELNS1_3repE0EEENS1_30default_config_static_selectorELNS0_4arch9wavefront6targetE0EEEvT1_.num_agpr, 0
	.set _ZN7rocprim17ROCPRIM_400000_NS6detail17trampoline_kernelINS0_14default_configENS1_25partition_config_selectorILNS1_17partition_subalgoE6EiNS0_10empty_typeEbEEZZNS1_14partition_implILS5_6ELb0ES3_mN6thrust23THRUST_200600_302600_NS10device_ptrIiEEPS6_SD_NS0_5tupleIJSC_S6_EEENSE_IJSD_SD_EEES6_PlJNSA_6detail9not_fun_tINSI_10functional5actorINSK_9compositeIJNSK_27transparent_binary_operatorINSA_8equal_toIvEEEENSL_INSK_8argumentILj0EEEEENSK_5valueIiEEEEEEEEEEEE10hipError_tPvRmT3_T4_T5_T6_T7_T9_mT8_P12ihipStream_tbDpT10_ENKUlT_T0_E_clISt17integral_constantIbLb0EES1I_EEDaS1D_S1E_EUlS1D_E_NS1_11comp_targetILNS1_3genE10ELNS1_11target_archE1200ELNS1_3gpuE4ELNS1_3repE0EEENS1_30default_config_static_selectorELNS0_4arch9wavefront6targetE0EEEvT1_.numbered_sgpr, 18
	.set _ZN7rocprim17ROCPRIM_400000_NS6detail17trampoline_kernelINS0_14default_configENS1_25partition_config_selectorILNS1_17partition_subalgoE6EiNS0_10empty_typeEbEEZZNS1_14partition_implILS5_6ELb0ES3_mN6thrust23THRUST_200600_302600_NS10device_ptrIiEEPS6_SD_NS0_5tupleIJSC_S6_EEENSE_IJSD_SD_EEES6_PlJNSA_6detail9not_fun_tINSI_10functional5actorINSK_9compositeIJNSK_27transparent_binary_operatorINSA_8equal_toIvEEEENSL_INSK_8argumentILj0EEEEENSK_5valueIiEEEEEEEEEEEE10hipError_tPvRmT3_T4_T5_T6_T7_T9_mT8_P12ihipStream_tbDpT10_ENKUlT_T0_E_clISt17integral_constantIbLb0EES1I_EEDaS1D_S1E_EUlS1D_E_NS1_11comp_targetILNS1_3genE10ELNS1_11target_archE1200ELNS1_3gpuE4ELNS1_3repE0EEENS1_30default_config_static_selectorELNS0_4arch9wavefront6targetE0EEEvT1_.num_named_barrier, 0
	.set _ZN7rocprim17ROCPRIM_400000_NS6detail17trampoline_kernelINS0_14default_configENS1_25partition_config_selectorILNS1_17partition_subalgoE6EiNS0_10empty_typeEbEEZZNS1_14partition_implILS5_6ELb0ES3_mN6thrust23THRUST_200600_302600_NS10device_ptrIiEEPS6_SD_NS0_5tupleIJSC_S6_EEENSE_IJSD_SD_EEES6_PlJNSA_6detail9not_fun_tINSI_10functional5actorINSK_9compositeIJNSK_27transparent_binary_operatorINSA_8equal_toIvEEEENSL_INSK_8argumentILj0EEEEENSK_5valueIiEEEEEEEEEEEE10hipError_tPvRmT3_T4_T5_T6_T7_T9_mT8_P12ihipStream_tbDpT10_ENKUlT_T0_E_clISt17integral_constantIbLb0EES1I_EEDaS1D_S1E_EUlS1D_E_NS1_11comp_targetILNS1_3genE10ELNS1_11target_archE1200ELNS1_3gpuE4ELNS1_3repE0EEENS1_30default_config_static_selectorELNS0_4arch9wavefront6targetE0EEEvT1_.private_seg_size, 0
	.set _ZN7rocprim17ROCPRIM_400000_NS6detail17trampoline_kernelINS0_14default_configENS1_25partition_config_selectorILNS1_17partition_subalgoE6EiNS0_10empty_typeEbEEZZNS1_14partition_implILS5_6ELb0ES3_mN6thrust23THRUST_200600_302600_NS10device_ptrIiEEPS6_SD_NS0_5tupleIJSC_S6_EEENSE_IJSD_SD_EEES6_PlJNSA_6detail9not_fun_tINSI_10functional5actorINSK_9compositeIJNSK_27transparent_binary_operatorINSA_8equal_toIvEEEENSL_INSK_8argumentILj0EEEEENSK_5valueIiEEEEEEEEEEEE10hipError_tPvRmT3_T4_T5_T6_T7_T9_mT8_P12ihipStream_tbDpT10_ENKUlT_T0_E_clISt17integral_constantIbLb0EES1I_EEDaS1D_S1E_EUlS1D_E_NS1_11comp_targetILNS1_3genE10ELNS1_11target_archE1200ELNS1_3gpuE4ELNS1_3repE0EEENS1_30default_config_static_selectorELNS0_4arch9wavefront6targetE0EEEvT1_.uses_vcc, 1
	.set _ZN7rocprim17ROCPRIM_400000_NS6detail17trampoline_kernelINS0_14default_configENS1_25partition_config_selectorILNS1_17partition_subalgoE6EiNS0_10empty_typeEbEEZZNS1_14partition_implILS5_6ELb0ES3_mN6thrust23THRUST_200600_302600_NS10device_ptrIiEEPS6_SD_NS0_5tupleIJSC_S6_EEENSE_IJSD_SD_EEES6_PlJNSA_6detail9not_fun_tINSI_10functional5actorINSK_9compositeIJNSK_27transparent_binary_operatorINSA_8equal_toIvEEEENSL_INSK_8argumentILj0EEEEENSK_5valueIiEEEEEEEEEEEE10hipError_tPvRmT3_T4_T5_T6_T7_T9_mT8_P12ihipStream_tbDpT10_ENKUlT_T0_E_clISt17integral_constantIbLb0EES1I_EEDaS1D_S1E_EUlS1D_E_NS1_11comp_targetILNS1_3genE10ELNS1_11target_archE1200ELNS1_3gpuE4ELNS1_3repE0EEENS1_30default_config_static_selectorELNS0_4arch9wavefront6targetE0EEEvT1_.uses_flat_scratch, 1
	.set _ZN7rocprim17ROCPRIM_400000_NS6detail17trampoline_kernelINS0_14default_configENS1_25partition_config_selectorILNS1_17partition_subalgoE6EiNS0_10empty_typeEbEEZZNS1_14partition_implILS5_6ELb0ES3_mN6thrust23THRUST_200600_302600_NS10device_ptrIiEEPS6_SD_NS0_5tupleIJSC_S6_EEENSE_IJSD_SD_EEES6_PlJNSA_6detail9not_fun_tINSI_10functional5actorINSK_9compositeIJNSK_27transparent_binary_operatorINSA_8equal_toIvEEEENSL_INSK_8argumentILj0EEEEENSK_5valueIiEEEEEEEEEEEE10hipError_tPvRmT3_T4_T5_T6_T7_T9_mT8_P12ihipStream_tbDpT10_ENKUlT_T0_E_clISt17integral_constantIbLb0EES1I_EEDaS1D_S1E_EUlS1D_E_NS1_11comp_targetILNS1_3genE10ELNS1_11target_archE1200ELNS1_3gpuE4ELNS1_3repE0EEENS1_30default_config_static_selectorELNS0_4arch9wavefront6targetE0EEEvT1_.has_dyn_sized_stack, 0
	.set _ZN7rocprim17ROCPRIM_400000_NS6detail17trampoline_kernelINS0_14default_configENS1_25partition_config_selectorILNS1_17partition_subalgoE6EiNS0_10empty_typeEbEEZZNS1_14partition_implILS5_6ELb0ES3_mN6thrust23THRUST_200600_302600_NS10device_ptrIiEEPS6_SD_NS0_5tupleIJSC_S6_EEENSE_IJSD_SD_EEES6_PlJNSA_6detail9not_fun_tINSI_10functional5actorINSK_9compositeIJNSK_27transparent_binary_operatorINSA_8equal_toIvEEEENSL_INSK_8argumentILj0EEEEENSK_5valueIiEEEEEEEEEEEE10hipError_tPvRmT3_T4_T5_T6_T7_T9_mT8_P12ihipStream_tbDpT10_ENKUlT_T0_E_clISt17integral_constantIbLb0EES1I_EEDaS1D_S1E_EUlS1D_E_NS1_11comp_targetILNS1_3genE10ELNS1_11target_archE1200ELNS1_3gpuE4ELNS1_3repE0EEENS1_30default_config_static_selectorELNS0_4arch9wavefront6targetE0EEEvT1_.has_recursion, 0
	.set _ZN7rocprim17ROCPRIM_400000_NS6detail17trampoline_kernelINS0_14default_configENS1_25partition_config_selectorILNS1_17partition_subalgoE6EiNS0_10empty_typeEbEEZZNS1_14partition_implILS5_6ELb0ES3_mN6thrust23THRUST_200600_302600_NS10device_ptrIiEEPS6_SD_NS0_5tupleIJSC_S6_EEENSE_IJSD_SD_EEES6_PlJNSA_6detail9not_fun_tINSI_10functional5actorINSK_9compositeIJNSK_27transparent_binary_operatorINSA_8equal_toIvEEEENSL_INSK_8argumentILj0EEEEENSK_5valueIiEEEEEEEEEEEE10hipError_tPvRmT3_T4_T5_T6_T7_T9_mT8_P12ihipStream_tbDpT10_ENKUlT_T0_E_clISt17integral_constantIbLb0EES1I_EEDaS1D_S1E_EUlS1D_E_NS1_11comp_targetILNS1_3genE10ELNS1_11target_archE1200ELNS1_3gpuE4ELNS1_3repE0EEENS1_30default_config_static_selectorELNS0_4arch9wavefront6targetE0EEEvT1_.has_indirect_call, 0
	.section	.AMDGPU.csdata,"",@progbits
; Kernel info:
; codeLenInByte = 7456
; TotalNumSgprs: 20
; NumVgprs: 49
; ScratchSize: 0
; MemoryBound: 0
; FloatMode: 240
; IeeeMode: 1
; LDSByteSize: 10768 bytes/workgroup (compile time only)
; SGPRBlocks: 0
; VGPRBlocks: 6
; NumSGPRsForWavesPerEU: 20
; NumVGPRsForWavesPerEU: 49
; Occupancy: 15
; WaveLimiterHint : 1
; COMPUTE_PGM_RSRC2:SCRATCH_EN: 0
; COMPUTE_PGM_RSRC2:USER_SGPR: 2
; COMPUTE_PGM_RSRC2:TRAP_HANDLER: 0
; COMPUTE_PGM_RSRC2:TGID_X_EN: 1
; COMPUTE_PGM_RSRC2:TGID_Y_EN: 0
; COMPUTE_PGM_RSRC2:TGID_Z_EN: 0
; COMPUTE_PGM_RSRC2:TIDIG_COMP_CNT: 0
	.section	.text._ZN7rocprim17ROCPRIM_400000_NS6detail17trampoline_kernelINS0_14default_configENS1_25partition_config_selectorILNS1_17partition_subalgoE6EiNS0_10empty_typeEbEEZZNS1_14partition_implILS5_6ELb0ES3_mN6thrust23THRUST_200600_302600_NS10device_ptrIiEEPS6_SD_NS0_5tupleIJSC_S6_EEENSE_IJSD_SD_EEES6_PlJNSA_6detail9not_fun_tINSI_10functional5actorINSK_9compositeIJNSK_27transparent_binary_operatorINSA_8equal_toIvEEEENSL_INSK_8argumentILj0EEEEENSK_5valueIiEEEEEEEEEEEE10hipError_tPvRmT3_T4_T5_T6_T7_T9_mT8_P12ihipStream_tbDpT10_ENKUlT_T0_E_clISt17integral_constantIbLb0EES1I_EEDaS1D_S1E_EUlS1D_E_NS1_11comp_targetILNS1_3genE9ELNS1_11target_archE1100ELNS1_3gpuE3ELNS1_3repE0EEENS1_30default_config_static_selectorELNS0_4arch9wavefront6targetE0EEEvT1_,"axG",@progbits,_ZN7rocprim17ROCPRIM_400000_NS6detail17trampoline_kernelINS0_14default_configENS1_25partition_config_selectorILNS1_17partition_subalgoE6EiNS0_10empty_typeEbEEZZNS1_14partition_implILS5_6ELb0ES3_mN6thrust23THRUST_200600_302600_NS10device_ptrIiEEPS6_SD_NS0_5tupleIJSC_S6_EEENSE_IJSD_SD_EEES6_PlJNSA_6detail9not_fun_tINSI_10functional5actorINSK_9compositeIJNSK_27transparent_binary_operatorINSA_8equal_toIvEEEENSL_INSK_8argumentILj0EEEEENSK_5valueIiEEEEEEEEEEEE10hipError_tPvRmT3_T4_T5_T6_T7_T9_mT8_P12ihipStream_tbDpT10_ENKUlT_T0_E_clISt17integral_constantIbLb0EES1I_EEDaS1D_S1E_EUlS1D_E_NS1_11comp_targetILNS1_3genE9ELNS1_11target_archE1100ELNS1_3gpuE3ELNS1_3repE0EEENS1_30default_config_static_selectorELNS0_4arch9wavefront6targetE0EEEvT1_,comdat
	.protected	_ZN7rocprim17ROCPRIM_400000_NS6detail17trampoline_kernelINS0_14default_configENS1_25partition_config_selectorILNS1_17partition_subalgoE6EiNS0_10empty_typeEbEEZZNS1_14partition_implILS5_6ELb0ES3_mN6thrust23THRUST_200600_302600_NS10device_ptrIiEEPS6_SD_NS0_5tupleIJSC_S6_EEENSE_IJSD_SD_EEES6_PlJNSA_6detail9not_fun_tINSI_10functional5actorINSK_9compositeIJNSK_27transparent_binary_operatorINSA_8equal_toIvEEEENSL_INSK_8argumentILj0EEEEENSK_5valueIiEEEEEEEEEEEE10hipError_tPvRmT3_T4_T5_T6_T7_T9_mT8_P12ihipStream_tbDpT10_ENKUlT_T0_E_clISt17integral_constantIbLb0EES1I_EEDaS1D_S1E_EUlS1D_E_NS1_11comp_targetILNS1_3genE9ELNS1_11target_archE1100ELNS1_3gpuE3ELNS1_3repE0EEENS1_30default_config_static_selectorELNS0_4arch9wavefront6targetE0EEEvT1_ ; -- Begin function _ZN7rocprim17ROCPRIM_400000_NS6detail17trampoline_kernelINS0_14default_configENS1_25partition_config_selectorILNS1_17partition_subalgoE6EiNS0_10empty_typeEbEEZZNS1_14partition_implILS5_6ELb0ES3_mN6thrust23THRUST_200600_302600_NS10device_ptrIiEEPS6_SD_NS0_5tupleIJSC_S6_EEENSE_IJSD_SD_EEES6_PlJNSA_6detail9not_fun_tINSI_10functional5actorINSK_9compositeIJNSK_27transparent_binary_operatorINSA_8equal_toIvEEEENSL_INSK_8argumentILj0EEEEENSK_5valueIiEEEEEEEEEEEE10hipError_tPvRmT3_T4_T5_T6_T7_T9_mT8_P12ihipStream_tbDpT10_ENKUlT_T0_E_clISt17integral_constantIbLb0EES1I_EEDaS1D_S1E_EUlS1D_E_NS1_11comp_targetILNS1_3genE9ELNS1_11target_archE1100ELNS1_3gpuE3ELNS1_3repE0EEENS1_30default_config_static_selectorELNS0_4arch9wavefront6targetE0EEEvT1_
	.globl	_ZN7rocprim17ROCPRIM_400000_NS6detail17trampoline_kernelINS0_14default_configENS1_25partition_config_selectorILNS1_17partition_subalgoE6EiNS0_10empty_typeEbEEZZNS1_14partition_implILS5_6ELb0ES3_mN6thrust23THRUST_200600_302600_NS10device_ptrIiEEPS6_SD_NS0_5tupleIJSC_S6_EEENSE_IJSD_SD_EEES6_PlJNSA_6detail9not_fun_tINSI_10functional5actorINSK_9compositeIJNSK_27transparent_binary_operatorINSA_8equal_toIvEEEENSL_INSK_8argumentILj0EEEEENSK_5valueIiEEEEEEEEEEEE10hipError_tPvRmT3_T4_T5_T6_T7_T9_mT8_P12ihipStream_tbDpT10_ENKUlT_T0_E_clISt17integral_constantIbLb0EES1I_EEDaS1D_S1E_EUlS1D_E_NS1_11comp_targetILNS1_3genE9ELNS1_11target_archE1100ELNS1_3gpuE3ELNS1_3repE0EEENS1_30default_config_static_selectorELNS0_4arch9wavefront6targetE0EEEvT1_
	.p2align	8
	.type	_ZN7rocprim17ROCPRIM_400000_NS6detail17trampoline_kernelINS0_14default_configENS1_25partition_config_selectorILNS1_17partition_subalgoE6EiNS0_10empty_typeEbEEZZNS1_14partition_implILS5_6ELb0ES3_mN6thrust23THRUST_200600_302600_NS10device_ptrIiEEPS6_SD_NS0_5tupleIJSC_S6_EEENSE_IJSD_SD_EEES6_PlJNSA_6detail9not_fun_tINSI_10functional5actorINSK_9compositeIJNSK_27transparent_binary_operatorINSA_8equal_toIvEEEENSL_INSK_8argumentILj0EEEEENSK_5valueIiEEEEEEEEEEEE10hipError_tPvRmT3_T4_T5_T6_T7_T9_mT8_P12ihipStream_tbDpT10_ENKUlT_T0_E_clISt17integral_constantIbLb0EES1I_EEDaS1D_S1E_EUlS1D_E_NS1_11comp_targetILNS1_3genE9ELNS1_11target_archE1100ELNS1_3gpuE3ELNS1_3repE0EEENS1_30default_config_static_selectorELNS0_4arch9wavefront6targetE0EEEvT1_,@function
_ZN7rocprim17ROCPRIM_400000_NS6detail17trampoline_kernelINS0_14default_configENS1_25partition_config_selectorILNS1_17partition_subalgoE6EiNS0_10empty_typeEbEEZZNS1_14partition_implILS5_6ELb0ES3_mN6thrust23THRUST_200600_302600_NS10device_ptrIiEEPS6_SD_NS0_5tupleIJSC_S6_EEENSE_IJSD_SD_EEES6_PlJNSA_6detail9not_fun_tINSI_10functional5actorINSK_9compositeIJNSK_27transparent_binary_operatorINSA_8equal_toIvEEEENSL_INSK_8argumentILj0EEEEENSK_5valueIiEEEEEEEEEEEE10hipError_tPvRmT3_T4_T5_T6_T7_T9_mT8_P12ihipStream_tbDpT10_ENKUlT_T0_E_clISt17integral_constantIbLb0EES1I_EEDaS1D_S1E_EUlS1D_E_NS1_11comp_targetILNS1_3genE9ELNS1_11target_archE1100ELNS1_3gpuE3ELNS1_3repE0EEENS1_30default_config_static_selectorELNS0_4arch9wavefront6targetE0EEEvT1_: ; @_ZN7rocprim17ROCPRIM_400000_NS6detail17trampoline_kernelINS0_14default_configENS1_25partition_config_selectorILNS1_17partition_subalgoE6EiNS0_10empty_typeEbEEZZNS1_14partition_implILS5_6ELb0ES3_mN6thrust23THRUST_200600_302600_NS10device_ptrIiEEPS6_SD_NS0_5tupleIJSC_S6_EEENSE_IJSD_SD_EEES6_PlJNSA_6detail9not_fun_tINSI_10functional5actorINSK_9compositeIJNSK_27transparent_binary_operatorINSA_8equal_toIvEEEENSL_INSK_8argumentILj0EEEEENSK_5valueIiEEEEEEEEEEEE10hipError_tPvRmT3_T4_T5_T6_T7_T9_mT8_P12ihipStream_tbDpT10_ENKUlT_T0_E_clISt17integral_constantIbLb0EES1I_EEDaS1D_S1E_EUlS1D_E_NS1_11comp_targetILNS1_3genE9ELNS1_11target_archE1100ELNS1_3gpuE3ELNS1_3repE0EEENS1_30default_config_static_selectorELNS0_4arch9wavefront6targetE0EEEvT1_
; %bb.0:
	.section	.rodata,"a",@progbits
	.p2align	6, 0x0
	.amdhsa_kernel _ZN7rocprim17ROCPRIM_400000_NS6detail17trampoline_kernelINS0_14default_configENS1_25partition_config_selectorILNS1_17partition_subalgoE6EiNS0_10empty_typeEbEEZZNS1_14partition_implILS5_6ELb0ES3_mN6thrust23THRUST_200600_302600_NS10device_ptrIiEEPS6_SD_NS0_5tupleIJSC_S6_EEENSE_IJSD_SD_EEES6_PlJNSA_6detail9not_fun_tINSI_10functional5actorINSK_9compositeIJNSK_27transparent_binary_operatorINSA_8equal_toIvEEEENSL_INSK_8argumentILj0EEEEENSK_5valueIiEEEEEEEEEEEE10hipError_tPvRmT3_T4_T5_T6_T7_T9_mT8_P12ihipStream_tbDpT10_ENKUlT_T0_E_clISt17integral_constantIbLb0EES1I_EEDaS1D_S1E_EUlS1D_E_NS1_11comp_targetILNS1_3genE9ELNS1_11target_archE1100ELNS1_3gpuE3ELNS1_3repE0EEENS1_30default_config_static_selectorELNS0_4arch9wavefront6targetE0EEEvT1_
		.amdhsa_group_segment_fixed_size 0
		.amdhsa_private_segment_fixed_size 0
		.amdhsa_kernarg_size 120
		.amdhsa_user_sgpr_count 2
		.amdhsa_user_sgpr_dispatch_ptr 0
		.amdhsa_user_sgpr_queue_ptr 0
		.amdhsa_user_sgpr_kernarg_segment_ptr 1
		.amdhsa_user_sgpr_dispatch_id 0
		.amdhsa_user_sgpr_private_segment_size 0
		.amdhsa_wavefront_size32 1
		.amdhsa_uses_dynamic_stack 0
		.amdhsa_enable_private_segment 0
		.amdhsa_system_sgpr_workgroup_id_x 1
		.amdhsa_system_sgpr_workgroup_id_y 0
		.amdhsa_system_sgpr_workgroup_id_z 0
		.amdhsa_system_sgpr_workgroup_info 0
		.amdhsa_system_vgpr_workitem_id 0
		.amdhsa_next_free_vgpr 1
		.amdhsa_next_free_sgpr 1
		.amdhsa_reserve_vcc 0
		.amdhsa_float_round_mode_32 0
		.amdhsa_float_round_mode_16_64 0
		.amdhsa_float_denorm_mode_32 3
		.amdhsa_float_denorm_mode_16_64 3
		.amdhsa_fp16_overflow 0
		.amdhsa_workgroup_processor_mode 1
		.amdhsa_memory_ordered 1
		.amdhsa_forward_progress 1
		.amdhsa_inst_pref_size 0
		.amdhsa_round_robin_scheduling 0
		.amdhsa_exception_fp_ieee_invalid_op 0
		.amdhsa_exception_fp_denorm_src 0
		.amdhsa_exception_fp_ieee_div_zero 0
		.amdhsa_exception_fp_ieee_overflow 0
		.amdhsa_exception_fp_ieee_underflow 0
		.amdhsa_exception_fp_ieee_inexact 0
		.amdhsa_exception_int_div_zero 0
	.end_amdhsa_kernel
	.section	.text._ZN7rocprim17ROCPRIM_400000_NS6detail17trampoline_kernelINS0_14default_configENS1_25partition_config_selectorILNS1_17partition_subalgoE6EiNS0_10empty_typeEbEEZZNS1_14partition_implILS5_6ELb0ES3_mN6thrust23THRUST_200600_302600_NS10device_ptrIiEEPS6_SD_NS0_5tupleIJSC_S6_EEENSE_IJSD_SD_EEES6_PlJNSA_6detail9not_fun_tINSI_10functional5actorINSK_9compositeIJNSK_27transparent_binary_operatorINSA_8equal_toIvEEEENSL_INSK_8argumentILj0EEEEENSK_5valueIiEEEEEEEEEEEE10hipError_tPvRmT3_T4_T5_T6_T7_T9_mT8_P12ihipStream_tbDpT10_ENKUlT_T0_E_clISt17integral_constantIbLb0EES1I_EEDaS1D_S1E_EUlS1D_E_NS1_11comp_targetILNS1_3genE9ELNS1_11target_archE1100ELNS1_3gpuE3ELNS1_3repE0EEENS1_30default_config_static_selectorELNS0_4arch9wavefront6targetE0EEEvT1_,"axG",@progbits,_ZN7rocprim17ROCPRIM_400000_NS6detail17trampoline_kernelINS0_14default_configENS1_25partition_config_selectorILNS1_17partition_subalgoE6EiNS0_10empty_typeEbEEZZNS1_14partition_implILS5_6ELb0ES3_mN6thrust23THRUST_200600_302600_NS10device_ptrIiEEPS6_SD_NS0_5tupleIJSC_S6_EEENSE_IJSD_SD_EEES6_PlJNSA_6detail9not_fun_tINSI_10functional5actorINSK_9compositeIJNSK_27transparent_binary_operatorINSA_8equal_toIvEEEENSL_INSK_8argumentILj0EEEEENSK_5valueIiEEEEEEEEEEEE10hipError_tPvRmT3_T4_T5_T6_T7_T9_mT8_P12ihipStream_tbDpT10_ENKUlT_T0_E_clISt17integral_constantIbLb0EES1I_EEDaS1D_S1E_EUlS1D_E_NS1_11comp_targetILNS1_3genE9ELNS1_11target_archE1100ELNS1_3gpuE3ELNS1_3repE0EEENS1_30default_config_static_selectorELNS0_4arch9wavefront6targetE0EEEvT1_,comdat
.Lfunc_end2851:
	.size	_ZN7rocprim17ROCPRIM_400000_NS6detail17trampoline_kernelINS0_14default_configENS1_25partition_config_selectorILNS1_17partition_subalgoE6EiNS0_10empty_typeEbEEZZNS1_14partition_implILS5_6ELb0ES3_mN6thrust23THRUST_200600_302600_NS10device_ptrIiEEPS6_SD_NS0_5tupleIJSC_S6_EEENSE_IJSD_SD_EEES6_PlJNSA_6detail9not_fun_tINSI_10functional5actorINSK_9compositeIJNSK_27transparent_binary_operatorINSA_8equal_toIvEEEENSL_INSK_8argumentILj0EEEEENSK_5valueIiEEEEEEEEEEEE10hipError_tPvRmT3_T4_T5_T6_T7_T9_mT8_P12ihipStream_tbDpT10_ENKUlT_T0_E_clISt17integral_constantIbLb0EES1I_EEDaS1D_S1E_EUlS1D_E_NS1_11comp_targetILNS1_3genE9ELNS1_11target_archE1100ELNS1_3gpuE3ELNS1_3repE0EEENS1_30default_config_static_selectorELNS0_4arch9wavefront6targetE0EEEvT1_, .Lfunc_end2851-_ZN7rocprim17ROCPRIM_400000_NS6detail17trampoline_kernelINS0_14default_configENS1_25partition_config_selectorILNS1_17partition_subalgoE6EiNS0_10empty_typeEbEEZZNS1_14partition_implILS5_6ELb0ES3_mN6thrust23THRUST_200600_302600_NS10device_ptrIiEEPS6_SD_NS0_5tupleIJSC_S6_EEENSE_IJSD_SD_EEES6_PlJNSA_6detail9not_fun_tINSI_10functional5actorINSK_9compositeIJNSK_27transparent_binary_operatorINSA_8equal_toIvEEEENSL_INSK_8argumentILj0EEEEENSK_5valueIiEEEEEEEEEEEE10hipError_tPvRmT3_T4_T5_T6_T7_T9_mT8_P12ihipStream_tbDpT10_ENKUlT_T0_E_clISt17integral_constantIbLb0EES1I_EEDaS1D_S1E_EUlS1D_E_NS1_11comp_targetILNS1_3genE9ELNS1_11target_archE1100ELNS1_3gpuE3ELNS1_3repE0EEENS1_30default_config_static_selectorELNS0_4arch9wavefront6targetE0EEEvT1_
                                        ; -- End function
	.set _ZN7rocprim17ROCPRIM_400000_NS6detail17trampoline_kernelINS0_14default_configENS1_25partition_config_selectorILNS1_17partition_subalgoE6EiNS0_10empty_typeEbEEZZNS1_14partition_implILS5_6ELb0ES3_mN6thrust23THRUST_200600_302600_NS10device_ptrIiEEPS6_SD_NS0_5tupleIJSC_S6_EEENSE_IJSD_SD_EEES6_PlJNSA_6detail9not_fun_tINSI_10functional5actorINSK_9compositeIJNSK_27transparent_binary_operatorINSA_8equal_toIvEEEENSL_INSK_8argumentILj0EEEEENSK_5valueIiEEEEEEEEEEEE10hipError_tPvRmT3_T4_T5_T6_T7_T9_mT8_P12ihipStream_tbDpT10_ENKUlT_T0_E_clISt17integral_constantIbLb0EES1I_EEDaS1D_S1E_EUlS1D_E_NS1_11comp_targetILNS1_3genE9ELNS1_11target_archE1100ELNS1_3gpuE3ELNS1_3repE0EEENS1_30default_config_static_selectorELNS0_4arch9wavefront6targetE0EEEvT1_.num_vgpr, 0
	.set _ZN7rocprim17ROCPRIM_400000_NS6detail17trampoline_kernelINS0_14default_configENS1_25partition_config_selectorILNS1_17partition_subalgoE6EiNS0_10empty_typeEbEEZZNS1_14partition_implILS5_6ELb0ES3_mN6thrust23THRUST_200600_302600_NS10device_ptrIiEEPS6_SD_NS0_5tupleIJSC_S6_EEENSE_IJSD_SD_EEES6_PlJNSA_6detail9not_fun_tINSI_10functional5actorINSK_9compositeIJNSK_27transparent_binary_operatorINSA_8equal_toIvEEEENSL_INSK_8argumentILj0EEEEENSK_5valueIiEEEEEEEEEEEE10hipError_tPvRmT3_T4_T5_T6_T7_T9_mT8_P12ihipStream_tbDpT10_ENKUlT_T0_E_clISt17integral_constantIbLb0EES1I_EEDaS1D_S1E_EUlS1D_E_NS1_11comp_targetILNS1_3genE9ELNS1_11target_archE1100ELNS1_3gpuE3ELNS1_3repE0EEENS1_30default_config_static_selectorELNS0_4arch9wavefront6targetE0EEEvT1_.num_agpr, 0
	.set _ZN7rocprim17ROCPRIM_400000_NS6detail17trampoline_kernelINS0_14default_configENS1_25partition_config_selectorILNS1_17partition_subalgoE6EiNS0_10empty_typeEbEEZZNS1_14partition_implILS5_6ELb0ES3_mN6thrust23THRUST_200600_302600_NS10device_ptrIiEEPS6_SD_NS0_5tupleIJSC_S6_EEENSE_IJSD_SD_EEES6_PlJNSA_6detail9not_fun_tINSI_10functional5actorINSK_9compositeIJNSK_27transparent_binary_operatorINSA_8equal_toIvEEEENSL_INSK_8argumentILj0EEEEENSK_5valueIiEEEEEEEEEEEE10hipError_tPvRmT3_T4_T5_T6_T7_T9_mT8_P12ihipStream_tbDpT10_ENKUlT_T0_E_clISt17integral_constantIbLb0EES1I_EEDaS1D_S1E_EUlS1D_E_NS1_11comp_targetILNS1_3genE9ELNS1_11target_archE1100ELNS1_3gpuE3ELNS1_3repE0EEENS1_30default_config_static_selectorELNS0_4arch9wavefront6targetE0EEEvT1_.numbered_sgpr, 0
	.set _ZN7rocprim17ROCPRIM_400000_NS6detail17trampoline_kernelINS0_14default_configENS1_25partition_config_selectorILNS1_17partition_subalgoE6EiNS0_10empty_typeEbEEZZNS1_14partition_implILS5_6ELb0ES3_mN6thrust23THRUST_200600_302600_NS10device_ptrIiEEPS6_SD_NS0_5tupleIJSC_S6_EEENSE_IJSD_SD_EEES6_PlJNSA_6detail9not_fun_tINSI_10functional5actorINSK_9compositeIJNSK_27transparent_binary_operatorINSA_8equal_toIvEEEENSL_INSK_8argumentILj0EEEEENSK_5valueIiEEEEEEEEEEEE10hipError_tPvRmT3_T4_T5_T6_T7_T9_mT8_P12ihipStream_tbDpT10_ENKUlT_T0_E_clISt17integral_constantIbLb0EES1I_EEDaS1D_S1E_EUlS1D_E_NS1_11comp_targetILNS1_3genE9ELNS1_11target_archE1100ELNS1_3gpuE3ELNS1_3repE0EEENS1_30default_config_static_selectorELNS0_4arch9wavefront6targetE0EEEvT1_.num_named_barrier, 0
	.set _ZN7rocprim17ROCPRIM_400000_NS6detail17trampoline_kernelINS0_14default_configENS1_25partition_config_selectorILNS1_17partition_subalgoE6EiNS0_10empty_typeEbEEZZNS1_14partition_implILS5_6ELb0ES3_mN6thrust23THRUST_200600_302600_NS10device_ptrIiEEPS6_SD_NS0_5tupleIJSC_S6_EEENSE_IJSD_SD_EEES6_PlJNSA_6detail9not_fun_tINSI_10functional5actorINSK_9compositeIJNSK_27transparent_binary_operatorINSA_8equal_toIvEEEENSL_INSK_8argumentILj0EEEEENSK_5valueIiEEEEEEEEEEEE10hipError_tPvRmT3_T4_T5_T6_T7_T9_mT8_P12ihipStream_tbDpT10_ENKUlT_T0_E_clISt17integral_constantIbLb0EES1I_EEDaS1D_S1E_EUlS1D_E_NS1_11comp_targetILNS1_3genE9ELNS1_11target_archE1100ELNS1_3gpuE3ELNS1_3repE0EEENS1_30default_config_static_selectorELNS0_4arch9wavefront6targetE0EEEvT1_.private_seg_size, 0
	.set _ZN7rocprim17ROCPRIM_400000_NS6detail17trampoline_kernelINS0_14default_configENS1_25partition_config_selectorILNS1_17partition_subalgoE6EiNS0_10empty_typeEbEEZZNS1_14partition_implILS5_6ELb0ES3_mN6thrust23THRUST_200600_302600_NS10device_ptrIiEEPS6_SD_NS0_5tupleIJSC_S6_EEENSE_IJSD_SD_EEES6_PlJNSA_6detail9not_fun_tINSI_10functional5actorINSK_9compositeIJNSK_27transparent_binary_operatorINSA_8equal_toIvEEEENSL_INSK_8argumentILj0EEEEENSK_5valueIiEEEEEEEEEEEE10hipError_tPvRmT3_T4_T5_T6_T7_T9_mT8_P12ihipStream_tbDpT10_ENKUlT_T0_E_clISt17integral_constantIbLb0EES1I_EEDaS1D_S1E_EUlS1D_E_NS1_11comp_targetILNS1_3genE9ELNS1_11target_archE1100ELNS1_3gpuE3ELNS1_3repE0EEENS1_30default_config_static_selectorELNS0_4arch9wavefront6targetE0EEEvT1_.uses_vcc, 0
	.set _ZN7rocprim17ROCPRIM_400000_NS6detail17trampoline_kernelINS0_14default_configENS1_25partition_config_selectorILNS1_17partition_subalgoE6EiNS0_10empty_typeEbEEZZNS1_14partition_implILS5_6ELb0ES3_mN6thrust23THRUST_200600_302600_NS10device_ptrIiEEPS6_SD_NS0_5tupleIJSC_S6_EEENSE_IJSD_SD_EEES6_PlJNSA_6detail9not_fun_tINSI_10functional5actorINSK_9compositeIJNSK_27transparent_binary_operatorINSA_8equal_toIvEEEENSL_INSK_8argumentILj0EEEEENSK_5valueIiEEEEEEEEEEEE10hipError_tPvRmT3_T4_T5_T6_T7_T9_mT8_P12ihipStream_tbDpT10_ENKUlT_T0_E_clISt17integral_constantIbLb0EES1I_EEDaS1D_S1E_EUlS1D_E_NS1_11comp_targetILNS1_3genE9ELNS1_11target_archE1100ELNS1_3gpuE3ELNS1_3repE0EEENS1_30default_config_static_selectorELNS0_4arch9wavefront6targetE0EEEvT1_.uses_flat_scratch, 0
	.set _ZN7rocprim17ROCPRIM_400000_NS6detail17trampoline_kernelINS0_14default_configENS1_25partition_config_selectorILNS1_17partition_subalgoE6EiNS0_10empty_typeEbEEZZNS1_14partition_implILS5_6ELb0ES3_mN6thrust23THRUST_200600_302600_NS10device_ptrIiEEPS6_SD_NS0_5tupleIJSC_S6_EEENSE_IJSD_SD_EEES6_PlJNSA_6detail9not_fun_tINSI_10functional5actorINSK_9compositeIJNSK_27transparent_binary_operatorINSA_8equal_toIvEEEENSL_INSK_8argumentILj0EEEEENSK_5valueIiEEEEEEEEEEEE10hipError_tPvRmT3_T4_T5_T6_T7_T9_mT8_P12ihipStream_tbDpT10_ENKUlT_T0_E_clISt17integral_constantIbLb0EES1I_EEDaS1D_S1E_EUlS1D_E_NS1_11comp_targetILNS1_3genE9ELNS1_11target_archE1100ELNS1_3gpuE3ELNS1_3repE0EEENS1_30default_config_static_selectorELNS0_4arch9wavefront6targetE0EEEvT1_.has_dyn_sized_stack, 0
	.set _ZN7rocprim17ROCPRIM_400000_NS6detail17trampoline_kernelINS0_14default_configENS1_25partition_config_selectorILNS1_17partition_subalgoE6EiNS0_10empty_typeEbEEZZNS1_14partition_implILS5_6ELb0ES3_mN6thrust23THRUST_200600_302600_NS10device_ptrIiEEPS6_SD_NS0_5tupleIJSC_S6_EEENSE_IJSD_SD_EEES6_PlJNSA_6detail9not_fun_tINSI_10functional5actorINSK_9compositeIJNSK_27transparent_binary_operatorINSA_8equal_toIvEEEENSL_INSK_8argumentILj0EEEEENSK_5valueIiEEEEEEEEEEEE10hipError_tPvRmT3_T4_T5_T6_T7_T9_mT8_P12ihipStream_tbDpT10_ENKUlT_T0_E_clISt17integral_constantIbLb0EES1I_EEDaS1D_S1E_EUlS1D_E_NS1_11comp_targetILNS1_3genE9ELNS1_11target_archE1100ELNS1_3gpuE3ELNS1_3repE0EEENS1_30default_config_static_selectorELNS0_4arch9wavefront6targetE0EEEvT1_.has_recursion, 0
	.set _ZN7rocprim17ROCPRIM_400000_NS6detail17trampoline_kernelINS0_14default_configENS1_25partition_config_selectorILNS1_17partition_subalgoE6EiNS0_10empty_typeEbEEZZNS1_14partition_implILS5_6ELb0ES3_mN6thrust23THRUST_200600_302600_NS10device_ptrIiEEPS6_SD_NS0_5tupleIJSC_S6_EEENSE_IJSD_SD_EEES6_PlJNSA_6detail9not_fun_tINSI_10functional5actorINSK_9compositeIJNSK_27transparent_binary_operatorINSA_8equal_toIvEEEENSL_INSK_8argumentILj0EEEEENSK_5valueIiEEEEEEEEEEEE10hipError_tPvRmT3_T4_T5_T6_T7_T9_mT8_P12ihipStream_tbDpT10_ENKUlT_T0_E_clISt17integral_constantIbLb0EES1I_EEDaS1D_S1E_EUlS1D_E_NS1_11comp_targetILNS1_3genE9ELNS1_11target_archE1100ELNS1_3gpuE3ELNS1_3repE0EEENS1_30default_config_static_selectorELNS0_4arch9wavefront6targetE0EEEvT1_.has_indirect_call, 0
	.section	.AMDGPU.csdata,"",@progbits
; Kernel info:
; codeLenInByte = 0
; TotalNumSgprs: 0
; NumVgprs: 0
; ScratchSize: 0
; MemoryBound: 0
; FloatMode: 240
; IeeeMode: 1
; LDSByteSize: 0 bytes/workgroup (compile time only)
; SGPRBlocks: 0
; VGPRBlocks: 0
; NumSGPRsForWavesPerEU: 1
; NumVGPRsForWavesPerEU: 1
; Occupancy: 16
; WaveLimiterHint : 0
; COMPUTE_PGM_RSRC2:SCRATCH_EN: 0
; COMPUTE_PGM_RSRC2:USER_SGPR: 2
; COMPUTE_PGM_RSRC2:TRAP_HANDLER: 0
; COMPUTE_PGM_RSRC2:TGID_X_EN: 1
; COMPUTE_PGM_RSRC2:TGID_Y_EN: 0
; COMPUTE_PGM_RSRC2:TGID_Z_EN: 0
; COMPUTE_PGM_RSRC2:TIDIG_COMP_CNT: 0
	.section	.text._ZN7rocprim17ROCPRIM_400000_NS6detail17trampoline_kernelINS0_14default_configENS1_25partition_config_selectorILNS1_17partition_subalgoE6EiNS0_10empty_typeEbEEZZNS1_14partition_implILS5_6ELb0ES3_mN6thrust23THRUST_200600_302600_NS10device_ptrIiEEPS6_SD_NS0_5tupleIJSC_S6_EEENSE_IJSD_SD_EEES6_PlJNSA_6detail9not_fun_tINSI_10functional5actorINSK_9compositeIJNSK_27transparent_binary_operatorINSA_8equal_toIvEEEENSL_INSK_8argumentILj0EEEEENSK_5valueIiEEEEEEEEEEEE10hipError_tPvRmT3_T4_T5_T6_T7_T9_mT8_P12ihipStream_tbDpT10_ENKUlT_T0_E_clISt17integral_constantIbLb0EES1I_EEDaS1D_S1E_EUlS1D_E_NS1_11comp_targetILNS1_3genE8ELNS1_11target_archE1030ELNS1_3gpuE2ELNS1_3repE0EEENS1_30default_config_static_selectorELNS0_4arch9wavefront6targetE0EEEvT1_,"axG",@progbits,_ZN7rocprim17ROCPRIM_400000_NS6detail17trampoline_kernelINS0_14default_configENS1_25partition_config_selectorILNS1_17partition_subalgoE6EiNS0_10empty_typeEbEEZZNS1_14partition_implILS5_6ELb0ES3_mN6thrust23THRUST_200600_302600_NS10device_ptrIiEEPS6_SD_NS0_5tupleIJSC_S6_EEENSE_IJSD_SD_EEES6_PlJNSA_6detail9not_fun_tINSI_10functional5actorINSK_9compositeIJNSK_27transparent_binary_operatorINSA_8equal_toIvEEEENSL_INSK_8argumentILj0EEEEENSK_5valueIiEEEEEEEEEEEE10hipError_tPvRmT3_T4_T5_T6_T7_T9_mT8_P12ihipStream_tbDpT10_ENKUlT_T0_E_clISt17integral_constantIbLb0EES1I_EEDaS1D_S1E_EUlS1D_E_NS1_11comp_targetILNS1_3genE8ELNS1_11target_archE1030ELNS1_3gpuE2ELNS1_3repE0EEENS1_30default_config_static_selectorELNS0_4arch9wavefront6targetE0EEEvT1_,comdat
	.protected	_ZN7rocprim17ROCPRIM_400000_NS6detail17trampoline_kernelINS0_14default_configENS1_25partition_config_selectorILNS1_17partition_subalgoE6EiNS0_10empty_typeEbEEZZNS1_14partition_implILS5_6ELb0ES3_mN6thrust23THRUST_200600_302600_NS10device_ptrIiEEPS6_SD_NS0_5tupleIJSC_S6_EEENSE_IJSD_SD_EEES6_PlJNSA_6detail9not_fun_tINSI_10functional5actorINSK_9compositeIJNSK_27transparent_binary_operatorINSA_8equal_toIvEEEENSL_INSK_8argumentILj0EEEEENSK_5valueIiEEEEEEEEEEEE10hipError_tPvRmT3_T4_T5_T6_T7_T9_mT8_P12ihipStream_tbDpT10_ENKUlT_T0_E_clISt17integral_constantIbLb0EES1I_EEDaS1D_S1E_EUlS1D_E_NS1_11comp_targetILNS1_3genE8ELNS1_11target_archE1030ELNS1_3gpuE2ELNS1_3repE0EEENS1_30default_config_static_selectorELNS0_4arch9wavefront6targetE0EEEvT1_ ; -- Begin function _ZN7rocprim17ROCPRIM_400000_NS6detail17trampoline_kernelINS0_14default_configENS1_25partition_config_selectorILNS1_17partition_subalgoE6EiNS0_10empty_typeEbEEZZNS1_14partition_implILS5_6ELb0ES3_mN6thrust23THRUST_200600_302600_NS10device_ptrIiEEPS6_SD_NS0_5tupleIJSC_S6_EEENSE_IJSD_SD_EEES6_PlJNSA_6detail9not_fun_tINSI_10functional5actorINSK_9compositeIJNSK_27transparent_binary_operatorINSA_8equal_toIvEEEENSL_INSK_8argumentILj0EEEEENSK_5valueIiEEEEEEEEEEEE10hipError_tPvRmT3_T4_T5_T6_T7_T9_mT8_P12ihipStream_tbDpT10_ENKUlT_T0_E_clISt17integral_constantIbLb0EES1I_EEDaS1D_S1E_EUlS1D_E_NS1_11comp_targetILNS1_3genE8ELNS1_11target_archE1030ELNS1_3gpuE2ELNS1_3repE0EEENS1_30default_config_static_selectorELNS0_4arch9wavefront6targetE0EEEvT1_
	.globl	_ZN7rocprim17ROCPRIM_400000_NS6detail17trampoline_kernelINS0_14default_configENS1_25partition_config_selectorILNS1_17partition_subalgoE6EiNS0_10empty_typeEbEEZZNS1_14partition_implILS5_6ELb0ES3_mN6thrust23THRUST_200600_302600_NS10device_ptrIiEEPS6_SD_NS0_5tupleIJSC_S6_EEENSE_IJSD_SD_EEES6_PlJNSA_6detail9not_fun_tINSI_10functional5actorINSK_9compositeIJNSK_27transparent_binary_operatorINSA_8equal_toIvEEEENSL_INSK_8argumentILj0EEEEENSK_5valueIiEEEEEEEEEEEE10hipError_tPvRmT3_T4_T5_T6_T7_T9_mT8_P12ihipStream_tbDpT10_ENKUlT_T0_E_clISt17integral_constantIbLb0EES1I_EEDaS1D_S1E_EUlS1D_E_NS1_11comp_targetILNS1_3genE8ELNS1_11target_archE1030ELNS1_3gpuE2ELNS1_3repE0EEENS1_30default_config_static_selectorELNS0_4arch9wavefront6targetE0EEEvT1_
	.p2align	8
	.type	_ZN7rocprim17ROCPRIM_400000_NS6detail17trampoline_kernelINS0_14default_configENS1_25partition_config_selectorILNS1_17partition_subalgoE6EiNS0_10empty_typeEbEEZZNS1_14partition_implILS5_6ELb0ES3_mN6thrust23THRUST_200600_302600_NS10device_ptrIiEEPS6_SD_NS0_5tupleIJSC_S6_EEENSE_IJSD_SD_EEES6_PlJNSA_6detail9not_fun_tINSI_10functional5actorINSK_9compositeIJNSK_27transparent_binary_operatorINSA_8equal_toIvEEEENSL_INSK_8argumentILj0EEEEENSK_5valueIiEEEEEEEEEEEE10hipError_tPvRmT3_T4_T5_T6_T7_T9_mT8_P12ihipStream_tbDpT10_ENKUlT_T0_E_clISt17integral_constantIbLb0EES1I_EEDaS1D_S1E_EUlS1D_E_NS1_11comp_targetILNS1_3genE8ELNS1_11target_archE1030ELNS1_3gpuE2ELNS1_3repE0EEENS1_30default_config_static_selectorELNS0_4arch9wavefront6targetE0EEEvT1_,@function
_ZN7rocprim17ROCPRIM_400000_NS6detail17trampoline_kernelINS0_14default_configENS1_25partition_config_selectorILNS1_17partition_subalgoE6EiNS0_10empty_typeEbEEZZNS1_14partition_implILS5_6ELb0ES3_mN6thrust23THRUST_200600_302600_NS10device_ptrIiEEPS6_SD_NS0_5tupleIJSC_S6_EEENSE_IJSD_SD_EEES6_PlJNSA_6detail9not_fun_tINSI_10functional5actorINSK_9compositeIJNSK_27transparent_binary_operatorINSA_8equal_toIvEEEENSL_INSK_8argumentILj0EEEEENSK_5valueIiEEEEEEEEEEEE10hipError_tPvRmT3_T4_T5_T6_T7_T9_mT8_P12ihipStream_tbDpT10_ENKUlT_T0_E_clISt17integral_constantIbLb0EES1I_EEDaS1D_S1E_EUlS1D_E_NS1_11comp_targetILNS1_3genE8ELNS1_11target_archE1030ELNS1_3gpuE2ELNS1_3repE0EEENS1_30default_config_static_selectorELNS0_4arch9wavefront6targetE0EEEvT1_: ; @_ZN7rocprim17ROCPRIM_400000_NS6detail17trampoline_kernelINS0_14default_configENS1_25partition_config_selectorILNS1_17partition_subalgoE6EiNS0_10empty_typeEbEEZZNS1_14partition_implILS5_6ELb0ES3_mN6thrust23THRUST_200600_302600_NS10device_ptrIiEEPS6_SD_NS0_5tupleIJSC_S6_EEENSE_IJSD_SD_EEES6_PlJNSA_6detail9not_fun_tINSI_10functional5actorINSK_9compositeIJNSK_27transparent_binary_operatorINSA_8equal_toIvEEEENSL_INSK_8argumentILj0EEEEENSK_5valueIiEEEEEEEEEEEE10hipError_tPvRmT3_T4_T5_T6_T7_T9_mT8_P12ihipStream_tbDpT10_ENKUlT_T0_E_clISt17integral_constantIbLb0EES1I_EEDaS1D_S1E_EUlS1D_E_NS1_11comp_targetILNS1_3genE8ELNS1_11target_archE1030ELNS1_3gpuE2ELNS1_3repE0EEENS1_30default_config_static_selectorELNS0_4arch9wavefront6targetE0EEEvT1_
; %bb.0:
	.section	.rodata,"a",@progbits
	.p2align	6, 0x0
	.amdhsa_kernel _ZN7rocprim17ROCPRIM_400000_NS6detail17trampoline_kernelINS0_14default_configENS1_25partition_config_selectorILNS1_17partition_subalgoE6EiNS0_10empty_typeEbEEZZNS1_14partition_implILS5_6ELb0ES3_mN6thrust23THRUST_200600_302600_NS10device_ptrIiEEPS6_SD_NS0_5tupleIJSC_S6_EEENSE_IJSD_SD_EEES6_PlJNSA_6detail9not_fun_tINSI_10functional5actorINSK_9compositeIJNSK_27transparent_binary_operatorINSA_8equal_toIvEEEENSL_INSK_8argumentILj0EEEEENSK_5valueIiEEEEEEEEEEEE10hipError_tPvRmT3_T4_T5_T6_T7_T9_mT8_P12ihipStream_tbDpT10_ENKUlT_T0_E_clISt17integral_constantIbLb0EES1I_EEDaS1D_S1E_EUlS1D_E_NS1_11comp_targetILNS1_3genE8ELNS1_11target_archE1030ELNS1_3gpuE2ELNS1_3repE0EEENS1_30default_config_static_selectorELNS0_4arch9wavefront6targetE0EEEvT1_
		.amdhsa_group_segment_fixed_size 0
		.amdhsa_private_segment_fixed_size 0
		.amdhsa_kernarg_size 120
		.amdhsa_user_sgpr_count 2
		.amdhsa_user_sgpr_dispatch_ptr 0
		.amdhsa_user_sgpr_queue_ptr 0
		.amdhsa_user_sgpr_kernarg_segment_ptr 1
		.amdhsa_user_sgpr_dispatch_id 0
		.amdhsa_user_sgpr_private_segment_size 0
		.amdhsa_wavefront_size32 1
		.amdhsa_uses_dynamic_stack 0
		.amdhsa_enable_private_segment 0
		.amdhsa_system_sgpr_workgroup_id_x 1
		.amdhsa_system_sgpr_workgroup_id_y 0
		.amdhsa_system_sgpr_workgroup_id_z 0
		.amdhsa_system_sgpr_workgroup_info 0
		.amdhsa_system_vgpr_workitem_id 0
		.amdhsa_next_free_vgpr 1
		.amdhsa_next_free_sgpr 1
		.amdhsa_reserve_vcc 0
		.amdhsa_float_round_mode_32 0
		.amdhsa_float_round_mode_16_64 0
		.amdhsa_float_denorm_mode_32 3
		.amdhsa_float_denorm_mode_16_64 3
		.amdhsa_fp16_overflow 0
		.amdhsa_workgroup_processor_mode 1
		.amdhsa_memory_ordered 1
		.amdhsa_forward_progress 1
		.amdhsa_inst_pref_size 0
		.amdhsa_round_robin_scheduling 0
		.amdhsa_exception_fp_ieee_invalid_op 0
		.amdhsa_exception_fp_denorm_src 0
		.amdhsa_exception_fp_ieee_div_zero 0
		.amdhsa_exception_fp_ieee_overflow 0
		.amdhsa_exception_fp_ieee_underflow 0
		.amdhsa_exception_fp_ieee_inexact 0
		.amdhsa_exception_int_div_zero 0
	.end_amdhsa_kernel
	.section	.text._ZN7rocprim17ROCPRIM_400000_NS6detail17trampoline_kernelINS0_14default_configENS1_25partition_config_selectorILNS1_17partition_subalgoE6EiNS0_10empty_typeEbEEZZNS1_14partition_implILS5_6ELb0ES3_mN6thrust23THRUST_200600_302600_NS10device_ptrIiEEPS6_SD_NS0_5tupleIJSC_S6_EEENSE_IJSD_SD_EEES6_PlJNSA_6detail9not_fun_tINSI_10functional5actorINSK_9compositeIJNSK_27transparent_binary_operatorINSA_8equal_toIvEEEENSL_INSK_8argumentILj0EEEEENSK_5valueIiEEEEEEEEEEEE10hipError_tPvRmT3_T4_T5_T6_T7_T9_mT8_P12ihipStream_tbDpT10_ENKUlT_T0_E_clISt17integral_constantIbLb0EES1I_EEDaS1D_S1E_EUlS1D_E_NS1_11comp_targetILNS1_3genE8ELNS1_11target_archE1030ELNS1_3gpuE2ELNS1_3repE0EEENS1_30default_config_static_selectorELNS0_4arch9wavefront6targetE0EEEvT1_,"axG",@progbits,_ZN7rocprim17ROCPRIM_400000_NS6detail17trampoline_kernelINS0_14default_configENS1_25partition_config_selectorILNS1_17partition_subalgoE6EiNS0_10empty_typeEbEEZZNS1_14partition_implILS5_6ELb0ES3_mN6thrust23THRUST_200600_302600_NS10device_ptrIiEEPS6_SD_NS0_5tupleIJSC_S6_EEENSE_IJSD_SD_EEES6_PlJNSA_6detail9not_fun_tINSI_10functional5actorINSK_9compositeIJNSK_27transparent_binary_operatorINSA_8equal_toIvEEEENSL_INSK_8argumentILj0EEEEENSK_5valueIiEEEEEEEEEEEE10hipError_tPvRmT3_T4_T5_T6_T7_T9_mT8_P12ihipStream_tbDpT10_ENKUlT_T0_E_clISt17integral_constantIbLb0EES1I_EEDaS1D_S1E_EUlS1D_E_NS1_11comp_targetILNS1_3genE8ELNS1_11target_archE1030ELNS1_3gpuE2ELNS1_3repE0EEENS1_30default_config_static_selectorELNS0_4arch9wavefront6targetE0EEEvT1_,comdat
.Lfunc_end2852:
	.size	_ZN7rocprim17ROCPRIM_400000_NS6detail17trampoline_kernelINS0_14default_configENS1_25partition_config_selectorILNS1_17partition_subalgoE6EiNS0_10empty_typeEbEEZZNS1_14partition_implILS5_6ELb0ES3_mN6thrust23THRUST_200600_302600_NS10device_ptrIiEEPS6_SD_NS0_5tupleIJSC_S6_EEENSE_IJSD_SD_EEES6_PlJNSA_6detail9not_fun_tINSI_10functional5actorINSK_9compositeIJNSK_27transparent_binary_operatorINSA_8equal_toIvEEEENSL_INSK_8argumentILj0EEEEENSK_5valueIiEEEEEEEEEEEE10hipError_tPvRmT3_T4_T5_T6_T7_T9_mT8_P12ihipStream_tbDpT10_ENKUlT_T0_E_clISt17integral_constantIbLb0EES1I_EEDaS1D_S1E_EUlS1D_E_NS1_11comp_targetILNS1_3genE8ELNS1_11target_archE1030ELNS1_3gpuE2ELNS1_3repE0EEENS1_30default_config_static_selectorELNS0_4arch9wavefront6targetE0EEEvT1_, .Lfunc_end2852-_ZN7rocprim17ROCPRIM_400000_NS6detail17trampoline_kernelINS0_14default_configENS1_25partition_config_selectorILNS1_17partition_subalgoE6EiNS0_10empty_typeEbEEZZNS1_14partition_implILS5_6ELb0ES3_mN6thrust23THRUST_200600_302600_NS10device_ptrIiEEPS6_SD_NS0_5tupleIJSC_S6_EEENSE_IJSD_SD_EEES6_PlJNSA_6detail9not_fun_tINSI_10functional5actorINSK_9compositeIJNSK_27transparent_binary_operatorINSA_8equal_toIvEEEENSL_INSK_8argumentILj0EEEEENSK_5valueIiEEEEEEEEEEEE10hipError_tPvRmT3_T4_T5_T6_T7_T9_mT8_P12ihipStream_tbDpT10_ENKUlT_T0_E_clISt17integral_constantIbLb0EES1I_EEDaS1D_S1E_EUlS1D_E_NS1_11comp_targetILNS1_3genE8ELNS1_11target_archE1030ELNS1_3gpuE2ELNS1_3repE0EEENS1_30default_config_static_selectorELNS0_4arch9wavefront6targetE0EEEvT1_
                                        ; -- End function
	.set _ZN7rocprim17ROCPRIM_400000_NS6detail17trampoline_kernelINS0_14default_configENS1_25partition_config_selectorILNS1_17partition_subalgoE6EiNS0_10empty_typeEbEEZZNS1_14partition_implILS5_6ELb0ES3_mN6thrust23THRUST_200600_302600_NS10device_ptrIiEEPS6_SD_NS0_5tupleIJSC_S6_EEENSE_IJSD_SD_EEES6_PlJNSA_6detail9not_fun_tINSI_10functional5actorINSK_9compositeIJNSK_27transparent_binary_operatorINSA_8equal_toIvEEEENSL_INSK_8argumentILj0EEEEENSK_5valueIiEEEEEEEEEEEE10hipError_tPvRmT3_T4_T5_T6_T7_T9_mT8_P12ihipStream_tbDpT10_ENKUlT_T0_E_clISt17integral_constantIbLb0EES1I_EEDaS1D_S1E_EUlS1D_E_NS1_11comp_targetILNS1_3genE8ELNS1_11target_archE1030ELNS1_3gpuE2ELNS1_3repE0EEENS1_30default_config_static_selectorELNS0_4arch9wavefront6targetE0EEEvT1_.num_vgpr, 0
	.set _ZN7rocprim17ROCPRIM_400000_NS6detail17trampoline_kernelINS0_14default_configENS1_25partition_config_selectorILNS1_17partition_subalgoE6EiNS0_10empty_typeEbEEZZNS1_14partition_implILS5_6ELb0ES3_mN6thrust23THRUST_200600_302600_NS10device_ptrIiEEPS6_SD_NS0_5tupleIJSC_S6_EEENSE_IJSD_SD_EEES6_PlJNSA_6detail9not_fun_tINSI_10functional5actorINSK_9compositeIJNSK_27transparent_binary_operatorINSA_8equal_toIvEEEENSL_INSK_8argumentILj0EEEEENSK_5valueIiEEEEEEEEEEEE10hipError_tPvRmT3_T4_T5_T6_T7_T9_mT8_P12ihipStream_tbDpT10_ENKUlT_T0_E_clISt17integral_constantIbLb0EES1I_EEDaS1D_S1E_EUlS1D_E_NS1_11comp_targetILNS1_3genE8ELNS1_11target_archE1030ELNS1_3gpuE2ELNS1_3repE0EEENS1_30default_config_static_selectorELNS0_4arch9wavefront6targetE0EEEvT1_.num_agpr, 0
	.set _ZN7rocprim17ROCPRIM_400000_NS6detail17trampoline_kernelINS0_14default_configENS1_25partition_config_selectorILNS1_17partition_subalgoE6EiNS0_10empty_typeEbEEZZNS1_14partition_implILS5_6ELb0ES3_mN6thrust23THRUST_200600_302600_NS10device_ptrIiEEPS6_SD_NS0_5tupleIJSC_S6_EEENSE_IJSD_SD_EEES6_PlJNSA_6detail9not_fun_tINSI_10functional5actorINSK_9compositeIJNSK_27transparent_binary_operatorINSA_8equal_toIvEEEENSL_INSK_8argumentILj0EEEEENSK_5valueIiEEEEEEEEEEEE10hipError_tPvRmT3_T4_T5_T6_T7_T9_mT8_P12ihipStream_tbDpT10_ENKUlT_T0_E_clISt17integral_constantIbLb0EES1I_EEDaS1D_S1E_EUlS1D_E_NS1_11comp_targetILNS1_3genE8ELNS1_11target_archE1030ELNS1_3gpuE2ELNS1_3repE0EEENS1_30default_config_static_selectorELNS0_4arch9wavefront6targetE0EEEvT1_.numbered_sgpr, 0
	.set _ZN7rocprim17ROCPRIM_400000_NS6detail17trampoline_kernelINS0_14default_configENS1_25partition_config_selectorILNS1_17partition_subalgoE6EiNS0_10empty_typeEbEEZZNS1_14partition_implILS5_6ELb0ES3_mN6thrust23THRUST_200600_302600_NS10device_ptrIiEEPS6_SD_NS0_5tupleIJSC_S6_EEENSE_IJSD_SD_EEES6_PlJNSA_6detail9not_fun_tINSI_10functional5actorINSK_9compositeIJNSK_27transparent_binary_operatorINSA_8equal_toIvEEEENSL_INSK_8argumentILj0EEEEENSK_5valueIiEEEEEEEEEEEE10hipError_tPvRmT3_T4_T5_T6_T7_T9_mT8_P12ihipStream_tbDpT10_ENKUlT_T0_E_clISt17integral_constantIbLb0EES1I_EEDaS1D_S1E_EUlS1D_E_NS1_11comp_targetILNS1_3genE8ELNS1_11target_archE1030ELNS1_3gpuE2ELNS1_3repE0EEENS1_30default_config_static_selectorELNS0_4arch9wavefront6targetE0EEEvT1_.num_named_barrier, 0
	.set _ZN7rocprim17ROCPRIM_400000_NS6detail17trampoline_kernelINS0_14default_configENS1_25partition_config_selectorILNS1_17partition_subalgoE6EiNS0_10empty_typeEbEEZZNS1_14partition_implILS5_6ELb0ES3_mN6thrust23THRUST_200600_302600_NS10device_ptrIiEEPS6_SD_NS0_5tupleIJSC_S6_EEENSE_IJSD_SD_EEES6_PlJNSA_6detail9not_fun_tINSI_10functional5actorINSK_9compositeIJNSK_27transparent_binary_operatorINSA_8equal_toIvEEEENSL_INSK_8argumentILj0EEEEENSK_5valueIiEEEEEEEEEEEE10hipError_tPvRmT3_T4_T5_T6_T7_T9_mT8_P12ihipStream_tbDpT10_ENKUlT_T0_E_clISt17integral_constantIbLb0EES1I_EEDaS1D_S1E_EUlS1D_E_NS1_11comp_targetILNS1_3genE8ELNS1_11target_archE1030ELNS1_3gpuE2ELNS1_3repE0EEENS1_30default_config_static_selectorELNS0_4arch9wavefront6targetE0EEEvT1_.private_seg_size, 0
	.set _ZN7rocprim17ROCPRIM_400000_NS6detail17trampoline_kernelINS0_14default_configENS1_25partition_config_selectorILNS1_17partition_subalgoE6EiNS0_10empty_typeEbEEZZNS1_14partition_implILS5_6ELb0ES3_mN6thrust23THRUST_200600_302600_NS10device_ptrIiEEPS6_SD_NS0_5tupleIJSC_S6_EEENSE_IJSD_SD_EEES6_PlJNSA_6detail9not_fun_tINSI_10functional5actorINSK_9compositeIJNSK_27transparent_binary_operatorINSA_8equal_toIvEEEENSL_INSK_8argumentILj0EEEEENSK_5valueIiEEEEEEEEEEEE10hipError_tPvRmT3_T4_T5_T6_T7_T9_mT8_P12ihipStream_tbDpT10_ENKUlT_T0_E_clISt17integral_constantIbLb0EES1I_EEDaS1D_S1E_EUlS1D_E_NS1_11comp_targetILNS1_3genE8ELNS1_11target_archE1030ELNS1_3gpuE2ELNS1_3repE0EEENS1_30default_config_static_selectorELNS0_4arch9wavefront6targetE0EEEvT1_.uses_vcc, 0
	.set _ZN7rocprim17ROCPRIM_400000_NS6detail17trampoline_kernelINS0_14default_configENS1_25partition_config_selectorILNS1_17partition_subalgoE6EiNS0_10empty_typeEbEEZZNS1_14partition_implILS5_6ELb0ES3_mN6thrust23THRUST_200600_302600_NS10device_ptrIiEEPS6_SD_NS0_5tupleIJSC_S6_EEENSE_IJSD_SD_EEES6_PlJNSA_6detail9not_fun_tINSI_10functional5actorINSK_9compositeIJNSK_27transparent_binary_operatorINSA_8equal_toIvEEEENSL_INSK_8argumentILj0EEEEENSK_5valueIiEEEEEEEEEEEE10hipError_tPvRmT3_T4_T5_T6_T7_T9_mT8_P12ihipStream_tbDpT10_ENKUlT_T0_E_clISt17integral_constantIbLb0EES1I_EEDaS1D_S1E_EUlS1D_E_NS1_11comp_targetILNS1_3genE8ELNS1_11target_archE1030ELNS1_3gpuE2ELNS1_3repE0EEENS1_30default_config_static_selectorELNS0_4arch9wavefront6targetE0EEEvT1_.uses_flat_scratch, 0
	.set _ZN7rocprim17ROCPRIM_400000_NS6detail17trampoline_kernelINS0_14default_configENS1_25partition_config_selectorILNS1_17partition_subalgoE6EiNS0_10empty_typeEbEEZZNS1_14partition_implILS5_6ELb0ES3_mN6thrust23THRUST_200600_302600_NS10device_ptrIiEEPS6_SD_NS0_5tupleIJSC_S6_EEENSE_IJSD_SD_EEES6_PlJNSA_6detail9not_fun_tINSI_10functional5actorINSK_9compositeIJNSK_27transparent_binary_operatorINSA_8equal_toIvEEEENSL_INSK_8argumentILj0EEEEENSK_5valueIiEEEEEEEEEEEE10hipError_tPvRmT3_T4_T5_T6_T7_T9_mT8_P12ihipStream_tbDpT10_ENKUlT_T0_E_clISt17integral_constantIbLb0EES1I_EEDaS1D_S1E_EUlS1D_E_NS1_11comp_targetILNS1_3genE8ELNS1_11target_archE1030ELNS1_3gpuE2ELNS1_3repE0EEENS1_30default_config_static_selectorELNS0_4arch9wavefront6targetE0EEEvT1_.has_dyn_sized_stack, 0
	.set _ZN7rocprim17ROCPRIM_400000_NS6detail17trampoline_kernelINS0_14default_configENS1_25partition_config_selectorILNS1_17partition_subalgoE6EiNS0_10empty_typeEbEEZZNS1_14partition_implILS5_6ELb0ES3_mN6thrust23THRUST_200600_302600_NS10device_ptrIiEEPS6_SD_NS0_5tupleIJSC_S6_EEENSE_IJSD_SD_EEES6_PlJNSA_6detail9not_fun_tINSI_10functional5actorINSK_9compositeIJNSK_27transparent_binary_operatorINSA_8equal_toIvEEEENSL_INSK_8argumentILj0EEEEENSK_5valueIiEEEEEEEEEEEE10hipError_tPvRmT3_T4_T5_T6_T7_T9_mT8_P12ihipStream_tbDpT10_ENKUlT_T0_E_clISt17integral_constantIbLb0EES1I_EEDaS1D_S1E_EUlS1D_E_NS1_11comp_targetILNS1_3genE8ELNS1_11target_archE1030ELNS1_3gpuE2ELNS1_3repE0EEENS1_30default_config_static_selectorELNS0_4arch9wavefront6targetE0EEEvT1_.has_recursion, 0
	.set _ZN7rocprim17ROCPRIM_400000_NS6detail17trampoline_kernelINS0_14default_configENS1_25partition_config_selectorILNS1_17partition_subalgoE6EiNS0_10empty_typeEbEEZZNS1_14partition_implILS5_6ELb0ES3_mN6thrust23THRUST_200600_302600_NS10device_ptrIiEEPS6_SD_NS0_5tupleIJSC_S6_EEENSE_IJSD_SD_EEES6_PlJNSA_6detail9not_fun_tINSI_10functional5actorINSK_9compositeIJNSK_27transparent_binary_operatorINSA_8equal_toIvEEEENSL_INSK_8argumentILj0EEEEENSK_5valueIiEEEEEEEEEEEE10hipError_tPvRmT3_T4_T5_T6_T7_T9_mT8_P12ihipStream_tbDpT10_ENKUlT_T0_E_clISt17integral_constantIbLb0EES1I_EEDaS1D_S1E_EUlS1D_E_NS1_11comp_targetILNS1_3genE8ELNS1_11target_archE1030ELNS1_3gpuE2ELNS1_3repE0EEENS1_30default_config_static_selectorELNS0_4arch9wavefront6targetE0EEEvT1_.has_indirect_call, 0
	.section	.AMDGPU.csdata,"",@progbits
; Kernel info:
; codeLenInByte = 0
; TotalNumSgprs: 0
; NumVgprs: 0
; ScratchSize: 0
; MemoryBound: 0
; FloatMode: 240
; IeeeMode: 1
; LDSByteSize: 0 bytes/workgroup (compile time only)
; SGPRBlocks: 0
; VGPRBlocks: 0
; NumSGPRsForWavesPerEU: 1
; NumVGPRsForWavesPerEU: 1
; Occupancy: 16
; WaveLimiterHint : 0
; COMPUTE_PGM_RSRC2:SCRATCH_EN: 0
; COMPUTE_PGM_RSRC2:USER_SGPR: 2
; COMPUTE_PGM_RSRC2:TRAP_HANDLER: 0
; COMPUTE_PGM_RSRC2:TGID_X_EN: 1
; COMPUTE_PGM_RSRC2:TGID_Y_EN: 0
; COMPUTE_PGM_RSRC2:TGID_Z_EN: 0
; COMPUTE_PGM_RSRC2:TIDIG_COMP_CNT: 0
	.section	.text._ZN7rocprim17ROCPRIM_400000_NS6detail17trampoline_kernelINS0_14default_configENS1_25partition_config_selectorILNS1_17partition_subalgoE6EiNS0_10empty_typeEbEEZZNS1_14partition_implILS5_6ELb0ES3_mN6thrust23THRUST_200600_302600_NS10device_ptrIiEEPS6_SD_NS0_5tupleIJSC_S6_EEENSE_IJSD_SD_EEES6_PlJNSA_6detail9not_fun_tINSI_10functional5actorINSK_9compositeIJNSK_27transparent_binary_operatorINSA_8equal_toIvEEEENSL_INSK_8argumentILj0EEEEENSK_5valueIiEEEEEEEEEEEE10hipError_tPvRmT3_T4_T5_T6_T7_T9_mT8_P12ihipStream_tbDpT10_ENKUlT_T0_E_clISt17integral_constantIbLb1EES1I_EEDaS1D_S1E_EUlS1D_E_NS1_11comp_targetILNS1_3genE0ELNS1_11target_archE4294967295ELNS1_3gpuE0ELNS1_3repE0EEENS1_30default_config_static_selectorELNS0_4arch9wavefront6targetE0EEEvT1_,"axG",@progbits,_ZN7rocprim17ROCPRIM_400000_NS6detail17trampoline_kernelINS0_14default_configENS1_25partition_config_selectorILNS1_17partition_subalgoE6EiNS0_10empty_typeEbEEZZNS1_14partition_implILS5_6ELb0ES3_mN6thrust23THRUST_200600_302600_NS10device_ptrIiEEPS6_SD_NS0_5tupleIJSC_S6_EEENSE_IJSD_SD_EEES6_PlJNSA_6detail9not_fun_tINSI_10functional5actorINSK_9compositeIJNSK_27transparent_binary_operatorINSA_8equal_toIvEEEENSL_INSK_8argumentILj0EEEEENSK_5valueIiEEEEEEEEEEEE10hipError_tPvRmT3_T4_T5_T6_T7_T9_mT8_P12ihipStream_tbDpT10_ENKUlT_T0_E_clISt17integral_constantIbLb1EES1I_EEDaS1D_S1E_EUlS1D_E_NS1_11comp_targetILNS1_3genE0ELNS1_11target_archE4294967295ELNS1_3gpuE0ELNS1_3repE0EEENS1_30default_config_static_selectorELNS0_4arch9wavefront6targetE0EEEvT1_,comdat
	.protected	_ZN7rocprim17ROCPRIM_400000_NS6detail17trampoline_kernelINS0_14default_configENS1_25partition_config_selectorILNS1_17partition_subalgoE6EiNS0_10empty_typeEbEEZZNS1_14partition_implILS5_6ELb0ES3_mN6thrust23THRUST_200600_302600_NS10device_ptrIiEEPS6_SD_NS0_5tupleIJSC_S6_EEENSE_IJSD_SD_EEES6_PlJNSA_6detail9not_fun_tINSI_10functional5actorINSK_9compositeIJNSK_27transparent_binary_operatorINSA_8equal_toIvEEEENSL_INSK_8argumentILj0EEEEENSK_5valueIiEEEEEEEEEEEE10hipError_tPvRmT3_T4_T5_T6_T7_T9_mT8_P12ihipStream_tbDpT10_ENKUlT_T0_E_clISt17integral_constantIbLb1EES1I_EEDaS1D_S1E_EUlS1D_E_NS1_11comp_targetILNS1_3genE0ELNS1_11target_archE4294967295ELNS1_3gpuE0ELNS1_3repE0EEENS1_30default_config_static_selectorELNS0_4arch9wavefront6targetE0EEEvT1_ ; -- Begin function _ZN7rocprim17ROCPRIM_400000_NS6detail17trampoline_kernelINS0_14default_configENS1_25partition_config_selectorILNS1_17partition_subalgoE6EiNS0_10empty_typeEbEEZZNS1_14partition_implILS5_6ELb0ES3_mN6thrust23THRUST_200600_302600_NS10device_ptrIiEEPS6_SD_NS0_5tupleIJSC_S6_EEENSE_IJSD_SD_EEES6_PlJNSA_6detail9not_fun_tINSI_10functional5actorINSK_9compositeIJNSK_27transparent_binary_operatorINSA_8equal_toIvEEEENSL_INSK_8argumentILj0EEEEENSK_5valueIiEEEEEEEEEEEE10hipError_tPvRmT3_T4_T5_T6_T7_T9_mT8_P12ihipStream_tbDpT10_ENKUlT_T0_E_clISt17integral_constantIbLb1EES1I_EEDaS1D_S1E_EUlS1D_E_NS1_11comp_targetILNS1_3genE0ELNS1_11target_archE4294967295ELNS1_3gpuE0ELNS1_3repE0EEENS1_30default_config_static_selectorELNS0_4arch9wavefront6targetE0EEEvT1_
	.globl	_ZN7rocprim17ROCPRIM_400000_NS6detail17trampoline_kernelINS0_14default_configENS1_25partition_config_selectorILNS1_17partition_subalgoE6EiNS0_10empty_typeEbEEZZNS1_14partition_implILS5_6ELb0ES3_mN6thrust23THRUST_200600_302600_NS10device_ptrIiEEPS6_SD_NS0_5tupleIJSC_S6_EEENSE_IJSD_SD_EEES6_PlJNSA_6detail9not_fun_tINSI_10functional5actorINSK_9compositeIJNSK_27transparent_binary_operatorINSA_8equal_toIvEEEENSL_INSK_8argumentILj0EEEEENSK_5valueIiEEEEEEEEEEEE10hipError_tPvRmT3_T4_T5_T6_T7_T9_mT8_P12ihipStream_tbDpT10_ENKUlT_T0_E_clISt17integral_constantIbLb1EES1I_EEDaS1D_S1E_EUlS1D_E_NS1_11comp_targetILNS1_3genE0ELNS1_11target_archE4294967295ELNS1_3gpuE0ELNS1_3repE0EEENS1_30default_config_static_selectorELNS0_4arch9wavefront6targetE0EEEvT1_
	.p2align	8
	.type	_ZN7rocprim17ROCPRIM_400000_NS6detail17trampoline_kernelINS0_14default_configENS1_25partition_config_selectorILNS1_17partition_subalgoE6EiNS0_10empty_typeEbEEZZNS1_14partition_implILS5_6ELb0ES3_mN6thrust23THRUST_200600_302600_NS10device_ptrIiEEPS6_SD_NS0_5tupleIJSC_S6_EEENSE_IJSD_SD_EEES6_PlJNSA_6detail9not_fun_tINSI_10functional5actorINSK_9compositeIJNSK_27transparent_binary_operatorINSA_8equal_toIvEEEENSL_INSK_8argumentILj0EEEEENSK_5valueIiEEEEEEEEEEEE10hipError_tPvRmT3_T4_T5_T6_T7_T9_mT8_P12ihipStream_tbDpT10_ENKUlT_T0_E_clISt17integral_constantIbLb1EES1I_EEDaS1D_S1E_EUlS1D_E_NS1_11comp_targetILNS1_3genE0ELNS1_11target_archE4294967295ELNS1_3gpuE0ELNS1_3repE0EEENS1_30default_config_static_selectorELNS0_4arch9wavefront6targetE0EEEvT1_,@function
_ZN7rocprim17ROCPRIM_400000_NS6detail17trampoline_kernelINS0_14default_configENS1_25partition_config_selectorILNS1_17partition_subalgoE6EiNS0_10empty_typeEbEEZZNS1_14partition_implILS5_6ELb0ES3_mN6thrust23THRUST_200600_302600_NS10device_ptrIiEEPS6_SD_NS0_5tupleIJSC_S6_EEENSE_IJSD_SD_EEES6_PlJNSA_6detail9not_fun_tINSI_10functional5actorINSK_9compositeIJNSK_27transparent_binary_operatorINSA_8equal_toIvEEEENSL_INSK_8argumentILj0EEEEENSK_5valueIiEEEEEEEEEEEE10hipError_tPvRmT3_T4_T5_T6_T7_T9_mT8_P12ihipStream_tbDpT10_ENKUlT_T0_E_clISt17integral_constantIbLb1EES1I_EEDaS1D_S1E_EUlS1D_E_NS1_11comp_targetILNS1_3genE0ELNS1_11target_archE4294967295ELNS1_3gpuE0ELNS1_3repE0EEENS1_30default_config_static_selectorELNS0_4arch9wavefront6targetE0EEEvT1_: ; @_ZN7rocprim17ROCPRIM_400000_NS6detail17trampoline_kernelINS0_14default_configENS1_25partition_config_selectorILNS1_17partition_subalgoE6EiNS0_10empty_typeEbEEZZNS1_14partition_implILS5_6ELb0ES3_mN6thrust23THRUST_200600_302600_NS10device_ptrIiEEPS6_SD_NS0_5tupleIJSC_S6_EEENSE_IJSD_SD_EEES6_PlJNSA_6detail9not_fun_tINSI_10functional5actorINSK_9compositeIJNSK_27transparent_binary_operatorINSA_8equal_toIvEEEENSL_INSK_8argumentILj0EEEEENSK_5valueIiEEEEEEEEEEEE10hipError_tPvRmT3_T4_T5_T6_T7_T9_mT8_P12ihipStream_tbDpT10_ENKUlT_T0_E_clISt17integral_constantIbLb1EES1I_EEDaS1D_S1E_EUlS1D_E_NS1_11comp_targetILNS1_3genE0ELNS1_11target_archE4294967295ELNS1_3gpuE0ELNS1_3repE0EEENS1_30default_config_static_selectorELNS0_4arch9wavefront6targetE0EEEvT1_
; %bb.0:
	.section	.rodata,"a",@progbits
	.p2align	6, 0x0
	.amdhsa_kernel _ZN7rocprim17ROCPRIM_400000_NS6detail17trampoline_kernelINS0_14default_configENS1_25partition_config_selectorILNS1_17partition_subalgoE6EiNS0_10empty_typeEbEEZZNS1_14partition_implILS5_6ELb0ES3_mN6thrust23THRUST_200600_302600_NS10device_ptrIiEEPS6_SD_NS0_5tupleIJSC_S6_EEENSE_IJSD_SD_EEES6_PlJNSA_6detail9not_fun_tINSI_10functional5actorINSK_9compositeIJNSK_27transparent_binary_operatorINSA_8equal_toIvEEEENSL_INSK_8argumentILj0EEEEENSK_5valueIiEEEEEEEEEEEE10hipError_tPvRmT3_T4_T5_T6_T7_T9_mT8_P12ihipStream_tbDpT10_ENKUlT_T0_E_clISt17integral_constantIbLb1EES1I_EEDaS1D_S1E_EUlS1D_E_NS1_11comp_targetILNS1_3genE0ELNS1_11target_archE4294967295ELNS1_3gpuE0ELNS1_3repE0EEENS1_30default_config_static_selectorELNS0_4arch9wavefront6targetE0EEEvT1_
		.amdhsa_group_segment_fixed_size 0
		.amdhsa_private_segment_fixed_size 0
		.amdhsa_kernarg_size 128
		.amdhsa_user_sgpr_count 2
		.amdhsa_user_sgpr_dispatch_ptr 0
		.amdhsa_user_sgpr_queue_ptr 0
		.amdhsa_user_sgpr_kernarg_segment_ptr 1
		.amdhsa_user_sgpr_dispatch_id 0
		.amdhsa_user_sgpr_private_segment_size 0
		.amdhsa_wavefront_size32 1
		.amdhsa_uses_dynamic_stack 0
		.amdhsa_enable_private_segment 0
		.amdhsa_system_sgpr_workgroup_id_x 1
		.amdhsa_system_sgpr_workgroup_id_y 0
		.amdhsa_system_sgpr_workgroup_id_z 0
		.amdhsa_system_sgpr_workgroup_info 0
		.amdhsa_system_vgpr_workitem_id 0
		.amdhsa_next_free_vgpr 1
		.amdhsa_next_free_sgpr 1
		.amdhsa_reserve_vcc 0
		.amdhsa_float_round_mode_32 0
		.amdhsa_float_round_mode_16_64 0
		.amdhsa_float_denorm_mode_32 3
		.amdhsa_float_denorm_mode_16_64 3
		.amdhsa_fp16_overflow 0
		.amdhsa_workgroup_processor_mode 1
		.amdhsa_memory_ordered 1
		.amdhsa_forward_progress 1
		.amdhsa_inst_pref_size 0
		.amdhsa_round_robin_scheduling 0
		.amdhsa_exception_fp_ieee_invalid_op 0
		.amdhsa_exception_fp_denorm_src 0
		.amdhsa_exception_fp_ieee_div_zero 0
		.amdhsa_exception_fp_ieee_overflow 0
		.amdhsa_exception_fp_ieee_underflow 0
		.amdhsa_exception_fp_ieee_inexact 0
		.amdhsa_exception_int_div_zero 0
	.end_amdhsa_kernel
	.section	.text._ZN7rocprim17ROCPRIM_400000_NS6detail17trampoline_kernelINS0_14default_configENS1_25partition_config_selectorILNS1_17partition_subalgoE6EiNS0_10empty_typeEbEEZZNS1_14partition_implILS5_6ELb0ES3_mN6thrust23THRUST_200600_302600_NS10device_ptrIiEEPS6_SD_NS0_5tupleIJSC_S6_EEENSE_IJSD_SD_EEES6_PlJNSA_6detail9not_fun_tINSI_10functional5actorINSK_9compositeIJNSK_27transparent_binary_operatorINSA_8equal_toIvEEEENSL_INSK_8argumentILj0EEEEENSK_5valueIiEEEEEEEEEEEE10hipError_tPvRmT3_T4_T5_T6_T7_T9_mT8_P12ihipStream_tbDpT10_ENKUlT_T0_E_clISt17integral_constantIbLb1EES1I_EEDaS1D_S1E_EUlS1D_E_NS1_11comp_targetILNS1_3genE0ELNS1_11target_archE4294967295ELNS1_3gpuE0ELNS1_3repE0EEENS1_30default_config_static_selectorELNS0_4arch9wavefront6targetE0EEEvT1_,"axG",@progbits,_ZN7rocprim17ROCPRIM_400000_NS6detail17trampoline_kernelINS0_14default_configENS1_25partition_config_selectorILNS1_17partition_subalgoE6EiNS0_10empty_typeEbEEZZNS1_14partition_implILS5_6ELb0ES3_mN6thrust23THRUST_200600_302600_NS10device_ptrIiEEPS6_SD_NS0_5tupleIJSC_S6_EEENSE_IJSD_SD_EEES6_PlJNSA_6detail9not_fun_tINSI_10functional5actorINSK_9compositeIJNSK_27transparent_binary_operatorINSA_8equal_toIvEEEENSL_INSK_8argumentILj0EEEEENSK_5valueIiEEEEEEEEEEEE10hipError_tPvRmT3_T4_T5_T6_T7_T9_mT8_P12ihipStream_tbDpT10_ENKUlT_T0_E_clISt17integral_constantIbLb1EES1I_EEDaS1D_S1E_EUlS1D_E_NS1_11comp_targetILNS1_3genE0ELNS1_11target_archE4294967295ELNS1_3gpuE0ELNS1_3repE0EEENS1_30default_config_static_selectorELNS0_4arch9wavefront6targetE0EEEvT1_,comdat
.Lfunc_end2853:
	.size	_ZN7rocprim17ROCPRIM_400000_NS6detail17trampoline_kernelINS0_14default_configENS1_25partition_config_selectorILNS1_17partition_subalgoE6EiNS0_10empty_typeEbEEZZNS1_14partition_implILS5_6ELb0ES3_mN6thrust23THRUST_200600_302600_NS10device_ptrIiEEPS6_SD_NS0_5tupleIJSC_S6_EEENSE_IJSD_SD_EEES6_PlJNSA_6detail9not_fun_tINSI_10functional5actorINSK_9compositeIJNSK_27transparent_binary_operatorINSA_8equal_toIvEEEENSL_INSK_8argumentILj0EEEEENSK_5valueIiEEEEEEEEEEEE10hipError_tPvRmT3_T4_T5_T6_T7_T9_mT8_P12ihipStream_tbDpT10_ENKUlT_T0_E_clISt17integral_constantIbLb1EES1I_EEDaS1D_S1E_EUlS1D_E_NS1_11comp_targetILNS1_3genE0ELNS1_11target_archE4294967295ELNS1_3gpuE0ELNS1_3repE0EEENS1_30default_config_static_selectorELNS0_4arch9wavefront6targetE0EEEvT1_, .Lfunc_end2853-_ZN7rocprim17ROCPRIM_400000_NS6detail17trampoline_kernelINS0_14default_configENS1_25partition_config_selectorILNS1_17partition_subalgoE6EiNS0_10empty_typeEbEEZZNS1_14partition_implILS5_6ELb0ES3_mN6thrust23THRUST_200600_302600_NS10device_ptrIiEEPS6_SD_NS0_5tupleIJSC_S6_EEENSE_IJSD_SD_EEES6_PlJNSA_6detail9not_fun_tINSI_10functional5actorINSK_9compositeIJNSK_27transparent_binary_operatorINSA_8equal_toIvEEEENSL_INSK_8argumentILj0EEEEENSK_5valueIiEEEEEEEEEEEE10hipError_tPvRmT3_T4_T5_T6_T7_T9_mT8_P12ihipStream_tbDpT10_ENKUlT_T0_E_clISt17integral_constantIbLb1EES1I_EEDaS1D_S1E_EUlS1D_E_NS1_11comp_targetILNS1_3genE0ELNS1_11target_archE4294967295ELNS1_3gpuE0ELNS1_3repE0EEENS1_30default_config_static_selectorELNS0_4arch9wavefront6targetE0EEEvT1_
                                        ; -- End function
	.set _ZN7rocprim17ROCPRIM_400000_NS6detail17trampoline_kernelINS0_14default_configENS1_25partition_config_selectorILNS1_17partition_subalgoE6EiNS0_10empty_typeEbEEZZNS1_14partition_implILS5_6ELb0ES3_mN6thrust23THRUST_200600_302600_NS10device_ptrIiEEPS6_SD_NS0_5tupleIJSC_S6_EEENSE_IJSD_SD_EEES6_PlJNSA_6detail9not_fun_tINSI_10functional5actorINSK_9compositeIJNSK_27transparent_binary_operatorINSA_8equal_toIvEEEENSL_INSK_8argumentILj0EEEEENSK_5valueIiEEEEEEEEEEEE10hipError_tPvRmT3_T4_T5_T6_T7_T9_mT8_P12ihipStream_tbDpT10_ENKUlT_T0_E_clISt17integral_constantIbLb1EES1I_EEDaS1D_S1E_EUlS1D_E_NS1_11comp_targetILNS1_3genE0ELNS1_11target_archE4294967295ELNS1_3gpuE0ELNS1_3repE0EEENS1_30default_config_static_selectorELNS0_4arch9wavefront6targetE0EEEvT1_.num_vgpr, 0
	.set _ZN7rocprim17ROCPRIM_400000_NS6detail17trampoline_kernelINS0_14default_configENS1_25partition_config_selectorILNS1_17partition_subalgoE6EiNS0_10empty_typeEbEEZZNS1_14partition_implILS5_6ELb0ES3_mN6thrust23THRUST_200600_302600_NS10device_ptrIiEEPS6_SD_NS0_5tupleIJSC_S6_EEENSE_IJSD_SD_EEES6_PlJNSA_6detail9not_fun_tINSI_10functional5actorINSK_9compositeIJNSK_27transparent_binary_operatorINSA_8equal_toIvEEEENSL_INSK_8argumentILj0EEEEENSK_5valueIiEEEEEEEEEEEE10hipError_tPvRmT3_T4_T5_T6_T7_T9_mT8_P12ihipStream_tbDpT10_ENKUlT_T0_E_clISt17integral_constantIbLb1EES1I_EEDaS1D_S1E_EUlS1D_E_NS1_11comp_targetILNS1_3genE0ELNS1_11target_archE4294967295ELNS1_3gpuE0ELNS1_3repE0EEENS1_30default_config_static_selectorELNS0_4arch9wavefront6targetE0EEEvT1_.num_agpr, 0
	.set _ZN7rocprim17ROCPRIM_400000_NS6detail17trampoline_kernelINS0_14default_configENS1_25partition_config_selectorILNS1_17partition_subalgoE6EiNS0_10empty_typeEbEEZZNS1_14partition_implILS5_6ELb0ES3_mN6thrust23THRUST_200600_302600_NS10device_ptrIiEEPS6_SD_NS0_5tupleIJSC_S6_EEENSE_IJSD_SD_EEES6_PlJNSA_6detail9not_fun_tINSI_10functional5actorINSK_9compositeIJNSK_27transparent_binary_operatorINSA_8equal_toIvEEEENSL_INSK_8argumentILj0EEEEENSK_5valueIiEEEEEEEEEEEE10hipError_tPvRmT3_T4_T5_T6_T7_T9_mT8_P12ihipStream_tbDpT10_ENKUlT_T0_E_clISt17integral_constantIbLb1EES1I_EEDaS1D_S1E_EUlS1D_E_NS1_11comp_targetILNS1_3genE0ELNS1_11target_archE4294967295ELNS1_3gpuE0ELNS1_3repE0EEENS1_30default_config_static_selectorELNS0_4arch9wavefront6targetE0EEEvT1_.numbered_sgpr, 0
	.set _ZN7rocprim17ROCPRIM_400000_NS6detail17trampoline_kernelINS0_14default_configENS1_25partition_config_selectorILNS1_17partition_subalgoE6EiNS0_10empty_typeEbEEZZNS1_14partition_implILS5_6ELb0ES3_mN6thrust23THRUST_200600_302600_NS10device_ptrIiEEPS6_SD_NS0_5tupleIJSC_S6_EEENSE_IJSD_SD_EEES6_PlJNSA_6detail9not_fun_tINSI_10functional5actorINSK_9compositeIJNSK_27transparent_binary_operatorINSA_8equal_toIvEEEENSL_INSK_8argumentILj0EEEEENSK_5valueIiEEEEEEEEEEEE10hipError_tPvRmT3_T4_T5_T6_T7_T9_mT8_P12ihipStream_tbDpT10_ENKUlT_T0_E_clISt17integral_constantIbLb1EES1I_EEDaS1D_S1E_EUlS1D_E_NS1_11comp_targetILNS1_3genE0ELNS1_11target_archE4294967295ELNS1_3gpuE0ELNS1_3repE0EEENS1_30default_config_static_selectorELNS0_4arch9wavefront6targetE0EEEvT1_.num_named_barrier, 0
	.set _ZN7rocprim17ROCPRIM_400000_NS6detail17trampoline_kernelINS0_14default_configENS1_25partition_config_selectorILNS1_17partition_subalgoE6EiNS0_10empty_typeEbEEZZNS1_14partition_implILS5_6ELb0ES3_mN6thrust23THRUST_200600_302600_NS10device_ptrIiEEPS6_SD_NS0_5tupleIJSC_S6_EEENSE_IJSD_SD_EEES6_PlJNSA_6detail9not_fun_tINSI_10functional5actorINSK_9compositeIJNSK_27transparent_binary_operatorINSA_8equal_toIvEEEENSL_INSK_8argumentILj0EEEEENSK_5valueIiEEEEEEEEEEEE10hipError_tPvRmT3_T4_T5_T6_T7_T9_mT8_P12ihipStream_tbDpT10_ENKUlT_T0_E_clISt17integral_constantIbLb1EES1I_EEDaS1D_S1E_EUlS1D_E_NS1_11comp_targetILNS1_3genE0ELNS1_11target_archE4294967295ELNS1_3gpuE0ELNS1_3repE0EEENS1_30default_config_static_selectorELNS0_4arch9wavefront6targetE0EEEvT1_.private_seg_size, 0
	.set _ZN7rocprim17ROCPRIM_400000_NS6detail17trampoline_kernelINS0_14default_configENS1_25partition_config_selectorILNS1_17partition_subalgoE6EiNS0_10empty_typeEbEEZZNS1_14partition_implILS5_6ELb0ES3_mN6thrust23THRUST_200600_302600_NS10device_ptrIiEEPS6_SD_NS0_5tupleIJSC_S6_EEENSE_IJSD_SD_EEES6_PlJNSA_6detail9not_fun_tINSI_10functional5actorINSK_9compositeIJNSK_27transparent_binary_operatorINSA_8equal_toIvEEEENSL_INSK_8argumentILj0EEEEENSK_5valueIiEEEEEEEEEEEE10hipError_tPvRmT3_T4_T5_T6_T7_T9_mT8_P12ihipStream_tbDpT10_ENKUlT_T0_E_clISt17integral_constantIbLb1EES1I_EEDaS1D_S1E_EUlS1D_E_NS1_11comp_targetILNS1_3genE0ELNS1_11target_archE4294967295ELNS1_3gpuE0ELNS1_3repE0EEENS1_30default_config_static_selectorELNS0_4arch9wavefront6targetE0EEEvT1_.uses_vcc, 0
	.set _ZN7rocprim17ROCPRIM_400000_NS6detail17trampoline_kernelINS0_14default_configENS1_25partition_config_selectorILNS1_17partition_subalgoE6EiNS0_10empty_typeEbEEZZNS1_14partition_implILS5_6ELb0ES3_mN6thrust23THRUST_200600_302600_NS10device_ptrIiEEPS6_SD_NS0_5tupleIJSC_S6_EEENSE_IJSD_SD_EEES6_PlJNSA_6detail9not_fun_tINSI_10functional5actorINSK_9compositeIJNSK_27transparent_binary_operatorINSA_8equal_toIvEEEENSL_INSK_8argumentILj0EEEEENSK_5valueIiEEEEEEEEEEEE10hipError_tPvRmT3_T4_T5_T6_T7_T9_mT8_P12ihipStream_tbDpT10_ENKUlT_T0_E_clISt17integral_constantIbLb1EES1I_EEDaS1D_S1E_EUlS1D_E_NS1_11comp_targetILNS1_3genE0ELNS1_11target_archE4294967295ELNS1_3gpuE0ELNS1_3repE0EEENS1_30default_config_static_selectorELNS0_4arch9wavefront6targetE0EEEvT1_.uses_flat_scratch, 0
	.set _ZN7rocprim17ROCPRIM_400000_NS6detail17trampoline_kernelINS0_14default_configENS1_25partition_config_selectorILNS1_17partition_subalgoE6EiNS0_10empty_typeEbEEZZNS1_14partition_implILS5_6ELb0ES3_mN6thrust23THRUST_200600_302600_NS10device_ptrIiEEPS6_SD_NS0_5tupleIJSC_S6_EEENSE_IJSD_SD_EEES6_PlJNSA_6detail9not_fun_tINSI_10functional5actorINSK_9compositeIJNSK_27transparent_binary_operatorINSA_8equal_toIvEEEENSL_INSK_8argumentILj0EEEEENSK_5valueIiEEEEEEEEEEEE10hipError_tPvRmT3_T4_T5_T6_T7_T9_mT8_P12ihipStream_tbDpT10_ENKUlT_T0_E_clISt17integral_constantIbLb1EES1I_EEDaS1D_S1E_EUlS1D_E_NS1_11comp_targetILNS1_3genE0ELNS1_11target_archE4294967295ELNS1_3gpuE0ELNS1_3repE0EEENS1_30default_config_static_selectorELNS0_4arch9wavefront6targetE0EEEvT1_.has_dyn_sized_stack, 0
	.set _ZN7rocprim17ROCPRIM_400000_NS6detail17trampoline_kernelINS0_14default_configENS1_25partition_config_selectorILNS1_17partition_subalgoE6EiNS0_10empty_typeEbEEZZNS1_14partition_implILS5_6ELb0ES3_mN6thrust23THRUST_200600_302600_NS10device_ptrIiEEPS6_SD_NS0_5tupleIJSC_S6_EEENSE_IJSD_SD_EEES6_PlJNSA_6detail9not_fun_tINSI_10functional5actorINSK_9compositeIJNSK_27transparent_binary_operatorINSA_8equal_toIvEEEENSL_INSK_8argumentILj0EEEEENSK_5valueIiEEEEEEEEEEEE10hipError_tPvRmT3_T4_T5_T6_T7_T9_mT8_P12ihipStream_tbDpT10_ENKUlT_T0_E_clISt17integral_constantIbLb1EES1I_EEDaS1D_S1E_EUlS1D_E_NS1_11comp_targetILNS1_3genE0ELNS1_11target_archE4294967295ELNS1_3gpuE0ELNS1_3repE0EEENS1_30default_config_static_selectorELNS0_4arch9wavefront6targetE0EEEvT1_.has_recursion, 0
	.set _ZN7rocprim17ROCPRIM_400000_NS6detail17trampoline_kernelINS0_14default_configENS1_25partition_config_selectorILNS1_17partition_subalgoE6EiNS0_10empty_typeEbEEZZNS1_14partition_implILS5_6ELb0ES3_mN6thrust23THRUST_200600_302600_NS10device_ptrIiEEPS6_SD_NS0_5tupleIJSC_S6_EEENSE_IJSD_SD_EEES6_PlJNSA_6detail9not_fun_tINSI_10functional5actorINSK_9compositeIJNSK_27transparent_binary_operatorINSA_8equal_toIvEEEENSL_INSK_8argumentILj0EEEEENSK_5valueIiEEEEEEEEEEEE10hipError_tPvRmT3_T4_T5_T6_T7_T9_mT8_P12ihipStream_tbDpT10_ENKUlT_T0_E_clISt17integral_constantIbLb1EES1I_EEDaS1D_S1E_EUlS1D_E_NS1_11comp_targetILNS1_3genE0ELNS1_11target_archE4294967295ELNS1_3gpuE0ELNS1_3repE0EEENS1_30default_config_static_selectorELNS0_4arch9wavefront6targetE0EEEvT1_.has_indirect_call, 0
	.section	.AMDGPU.csdata,"",@progbits
; Kernel info:
; codeLenInByte = 0
; TotalNumSgprs: 0
; NumVgprs: 0
; ScratchSize: 0
; MemoryBound: 0
; FloatMode: 240
; IeeeMode: 1
; LDSByteSize: 0 bytes/workgroup (compile time only)
; SGPRBlocks: 0
; VGPRBlocks: 0
; NumSGPRsForWavesPerEU: 1
; NumVGPRsForWavesPerEU: 1
; Occupancy: 16
; WaveLimiterHint : 0
; COMPUTE_PGM_RSRC2:SCRATCH_EN: 0
; COMPUTE_PGM_RSRC2:USER_SGPR: 2
; COMPUTE_PGM_RSRC2:TRAP_HANDLER: 0
; COMPUTE_PGM_RSRC2:TGID_X_EN: 1
; COMPUTE_PGM_RSRC2:TGID_Y_EN: 0
; COMPUTE_PGM_RSRC2:TGID_Z_EN: 0
; COMPUTE_PGM_RSRC2:TIDIG_COMP_CNT: 0
	.section	.text._ZN7rocprim17ROCPRIM_400000_NS6detail17trampoline_kernelINS0_14default_configENS1_25partition_config_selectorILNS1_17partition_subalgoE6EiNS0_10empty_typeEbEEZZNS1_14partition_implILS5_6ELb0ES3_mN6thrust23THRUST_200600_302600_NS10device_ptrIiEEPS6_SD_NS0_5tupleIJSC_S6_EEENSE_IJSD_SD_EEES6_PlJNSA_6detail9not_fun_tINSI_10functional5actorINSK_9compositeIJNSK_27transparent_binary_operatorINSA_8equal_toIvEEEENSL_INSK_8argumentILj0EEEEENSK_5valueIiEEEEEEEEEEEE10hipError_tPvRmT3_T4_T5_T6_T7_T9_mT8_P12ihipStream_tbDpT10_ENKUlT_T0_E_clISt17integral_constantIbLb1EES1I_EEDaS1D_S1E_EUlS1D_E_NS1_11comp_targetILNS1_3genE5ELNS1_11target_archE942ELNS1_3gpuE9ELNS1_3repE0EEENS1_30default_config_static_selectorELNS0_4arch9wavefront6targetE0EEEvT1_,"axG",@progbits,_ZN7rocprim17ROCPRIM_400000_NS6detail17trampoline_kernelINS0_14default_configENS1_25partition_config_selectorILNS1_17partition_subalgoE6EiNS0_10empty_typeEbEEZZNS1_14partition_implILS5_6ELb0ES3_mN6thrust23THRUST_200600_302600_NS10device_ptrIiEEPS6_SD_NS0_5tupleIJSC_S6_EEENSE_IJSD_SD_EEES6_PlJNSA_6detail9not_fun_tINSI_10functional5actorINSK_9compositeIJNSK_27transparent_binary_operatorINSA_8equal_toIvEEEENSL_INSK_8argumentILj0EEEEENSK_5valueIiEEEEEEEEEEEE10hipError_tPvRmT3_T4_T5_T6_T7_T9_mT8_P12ihipStream_tbDpT10_ENKUlT_T0_E_clISt17integral_constantIbLb1EES1I_EEDaS1D_S1E_EUlS1D_E_NS1_11comp_targetILNS1_3genE5ELNS1_11target_archE942ELNS1_3gpuE9ELNS1_3repE0EEENS1_30default_config_static_selectorELNS0_4arch9wavefront6targetE0EEEvT1_,comdat
	.protected	_ZN7rocprim17ROCPRIM_400000_NS6detail17trampoline_kernelINS0_14default_configENS1_25partition_config_selectorILNS1_17partition_subalgoE6EiNS0_10empty_typeEbEEZZNS1_14partition_implILS5_6ELb0ES3_mN6thrust23THRUST_200600_302600_NS10device_ptrIiEEPS6_SD_NS0_5tupleIJSC_S6_EEENSE_IJSD_SD_EEES6_PlJNSA_6detail9not_fun_tINSI_10functional5actorINSK_9compositeIJNSK_27transparent_binary_operatorINSA_8equal_toIvEEEENSL_INSK_8argumentILj0EEEEENSK_5valueIiEEEEEEEEEEEE10hipError_tPvRmT3_T4_T5_T6_T7_T9_mT8_P12ihipStream_tbDpT10_ENKUlT_T0_E_clISt17integral_constantIbLb1EES1I_EEDaS1D_S1E_EUlS1D_E_NS1_11comp_targetILNS1_3genE5ELNS1_11target_archE942ELNS1_3gpuE9ELNS1_3repE0EEENS1_30default_config_static_selectorELNS0_4arch9wavefront6targetE0EEEvT1_ ; -- Begin function _ZN7rocprim17ROCPRIM_400000_NS6detail17trampoline_kernelINS0_14default_configENS1_25partition_config_selectorILNS1_17partition_subalgoE6EiNS0_10empty_typeEbEEZZNS1_14partition_implILS5_6ELb0ES3_mN6thrust23THRUST_200600_302600_NS10device_ptrIiEEPS6_SD_NS0_5tupleIJSC_S6_EEENSE_IJSD_SD_EEES6_PlJNSA_6detail9not_fun_tINSI_10functional5actorINSK_9compositeIJNSK_27transparent_binary_operatorINSA_8equal_toIvEEEENSL_INSK_8argumentILj0EEEEENSK_5valueIiEEEEEEEEEEEE10hipError_tPvRmT3_T4_T5_T6_T7_T9_mT8_P12ihipStream_tbDpT10_ENKUlT_T0_E_clISt17integral_constantIbLb1EES1I_EEDaS1D_S1E_EUlS1D_E_NS1_11comp_targetILNS1_3genE5ELNS1_11target_archE942ELNS1_3gpuE9ELNS1_3repE0EEENS1_30default_config_static_selectorELNS0_4arch9wavefront6targetE0EEEvT1_
	.globl	_ZN7rocprim17ROCPRIM_400000_NS6detail17trampoline_kernelINS0_14default_configENS1_25partition_config_selectorILNS1_17partition_subalgoE6EiNS0_10empty_typeEbEEZZNS1_14partition_implILS5_6ELb0ES3_mN6thrust23THRUST_200600_302600_NS10device_ptrIiEEPS6_SD_NS0_5tupleIJSC_S6_EEENSE_IJSD_SD_EEES6_PlJNSA_6detail9not_fun_tINSI_10functional5actorINSK_9compositeIJNSK_27transparent_binary_operatorINSA_8equal_toIvEEEENSL_INSK_8argumentILj0EEEEENSK_5valueIiEEEEEEEEEEEE10hipError_tPvRmT3_T4_T5_T6_T7_T9_mT8_P12ihipStream_tbDpT10_ENKUlT_T0_E_clISt17integral_constantIbLb1EES1I_EEDaS1D_S1E_EUlS1D_E_NS1_11comp_targetILNS1_3genE5ELNS1_11target_archE942ELNS1_3gpuE9ELNS1_3repE0EEENS1_30default_config_static_selectorELNS0_4arch9wavefront6targetE0EEEvT1_
	.p2align	8
	.type	_ZN7rocprim17ROCPRIM_400000_NS6detail17trampoline_kernelINS0_14default_configENS1_25partition_config_selectorILNS1_17partition_subalgoE6EiNS0_10empty_typeEbEEZZNS1_14partition_implILS5_6ELb0ES3_mN6thrust23THRUST_200600_302600_NS10device_ptrIiEEPS6_SD_NS0_5tupleIJSC_S6_EEENSE_IJSD_SD_EEES6_PlJNSA_6detail9not_fun_tINSI_10functional5actorINSK_9compositeIJNSK_27transparent_binary_operatorINSA_8equal_toIvEEEENSL_INSK_8argumentILj0EEEEENSK_5valueIiEEEEEEEEEEEE10hipError_tPvRmT3_T4_T5_T6_T7_T9_mT8_P12ihipStream_tbDpT10_ENKUlT_T0_E_clISt17integral_constantIbLb1EES1I_EEDaS1D_S1E_EUlS1D_E_NS1_11comp_targetILNS1_3genE5ELNS1_11target_archE942ELNS1_3gpuE9ELNS1_3repE0EEENS1_30default_config_static_selectorELNS0_4arch9wavefront6targetE0EEEvT1_,@function
_ZN7rocprim17ROCPRIM_400000_NS6detail17trampoline_kernelINS0_14default_configENS1_25partition_config_selectorILNS1_17partition_subalgoE6EiNS0_10empty_typeEbEEZZNS1_14partition_implILS5_6ELb0ES3_mN6thrust23THRUST_200600_302600_NS10device_ptrIiEEPS6_SD_NS0_5tupleIJSC_S6_EEENSE_IJSD_SD_EEES6_PlJNSA_6detail9not_fun_tINSI_10functional5actorINSK_9compositeIJNSK_27transparent_binary_operatorINSA_8equal_toIvEEEENSL_INSK_8argumentILj0EEEEENSK_5valueIiEEEEEEEEEEEE10hipError_tPvRmT3_T4_T5_T6_T7_T9_mT8_P12ihipStream_tbDpT10_ENKUlT_T0_E_clISt17integral_constantIbLb1EES1I_EEDaS1D_S1E_EUlS1D_E_NS1_11comp_targetILNS1_3genE5ELNS1_11target_archE942ELNS1_3gpuE9ELNS1_3repE0EEENS1_30default_config_static_selectorELNS0_4arch9wavefront6targetE0EEEvT1_: ; @_ZN7rocprim17ROCPRIM_400000_NS6detail17trampoline_kernelINS0_14default_configENS1_25partition_config_selectorILNS1_17partition_subalgoE6EiNS0_10empty_typeEbEEZZNS1_14partition_implILS5_6ELb0ES3_mN6thrust23THRUST_200600_302600_NS10device_ptrIiEEPS6_SD_NS0_5tupleIJSC_S6_EEENSE_IJSD_SD_EEES6_PlJNSA_6detail9not_fun_tINSI_10functional5actorINSK_9compositeIJNSK_27transparent_binary_operatorINSA_8equal_toIvEEEENSL_INSK_8argumentILj0EEEEENSK_5valueIiEEEEEEEEEEEE10hipError_tPvRmT3_T4_T5_T6_T7_T9_mT8_P12ihipStream_tbDpT10_ENKUlT_T0_E_clISt17integral_constantIbLb1EES1I_EEDaS1D_S1E_EUlS1D_E_NS1_11comp_targetILNS1_3genE5ELNS1_11target_archE942ELNS1_3gpuE9ELNS1_3repE0EEENS1_30default_config_static_selectorELNS0_4arch9wavefront6targetE0EEEvT1_
; %bb.0:
	.section	.rodata,"a",@progbits
	.p2align	6, 0x0
	.amdhsa_kernel _ZN7rocprim17ROCPRIM_400000_NS6detail17trampoline_kernelINS0_14default_configENS1_25partition_config_selectorILNS1_17partition_subalgoE6EiNS0_10empty_typeEbEEZZNS1_14partition_implILS5_6ELb0ES3_mN6thrust23THRUST_200600_302600_NS10device_ptrIiEEPS6_SD_NS0_5tupleIJSC_S6_EEENSE_IJSD_SD_EEES6_PlJNSA_6detail9not_fun_tINSI_10functional5actorINSK_9compositeIJNSK_27transparent_binary_operatorINSA_8equal_toIvEEEENSL_INSK_8argumentILj0EEEEENSK_5valueIiEEEEEEEEEEEE10hipError_tPvRmT3_T4_T5_T6_T7_T9_mT8_P12ihipStream_tbDpT10_ENKUlT_T0_E_clISt17integral_constantIbLb1EES1I_EEDaS1D_S1E_EUlS1D_E_NS1_11comp_targetILNS1_3genE5ELNS1_11target_archE942ELNS1_3gpuE9ELNS1_3repE0EEENS1_30default_config_static_selectorELNS0_4arch9wavefront6targetE0EEEvT1_
		.amdhsa_group_segment_fixed_size 0
		.amdhsa_private_segment_fixed_size 0
		.amdhsa_kernarg_size 128
		.amdhsa_user_sgpr_count 2
		.amdhsa_user_sgpr_dispatch_ptr 0
		.amdhsa_user_sgpr_queue_ptr 0
		.amdhsa_user_sgpr_kernarg_segment_ptr 1
		.amdhsa_user_sgpr_dispatch_id 0
		.amdhsa_user_sgpr_private_segment_size 0
		.amdhsa_wavefront_size32 1
		.amdhsa_uses_dynamic_stack 0
		.amdhsa_enable_private_segment 0
		.amdhsa_system_sgpr_workgroup_id_x 1
		.amdhsa_system_sgpr_workgroup_id_y 0
		.amdhsa_system_sgpr_workgroup_id_z 0
		.amdhsa_system_sgpr_workgroup_info 0
		.amdhsa_system_vgpr_workitem_id 0
		.amdhsa_next_free_vgpr 1
		.amdhsa_next_free_sgpr 1
		.amdhsa_reserve_vcc 0
		.amdhsa_float_round_mode_32 0
		.amdhsa_float_round_mode_16_64 0
		.amdhsa_float_denorm_mode_32 3
		.amdhsa_float_denorm_mode_16_64 3
		.amdhsa_fp16_overflow 0
		.amdhsa_workgroup_processor_mode 1
		.amdhsa_memory_ordered 1
		.amdhsa_forward_progress 1
		.amdhsa_inst_pref_size 0
		.amdhsa_round_robin_scheduling 0
		.amdhsa_exception_fp_ieee_invalid_op 0
		.amdhsa_exception_fp_denorm_src 0
		.amdhsa_exception_fp_ieee_div_zero 0
		.amdhsa_exception_fp_ieee_overflow 0
		.amdhsa_exception_fp_ieee_underflow 0
		.amdhsa_exception_fp_ieee_inexact 0
		.amdhsa_exception_int_div_zero 0
	.end_amdhsa_kernel
	.section	.text._ZN7rocprim17ROCPRIM_400000_NS6detail17trampoline_kernelINS0_14default_configENS1_25partition_config_selectorILNS1_17partition_subalgoE6EiNS0_10empty_typeEbEEZZNS1_14partition_implILS5_6ELb0ES3_mN6thrust23THRUST_200600_302600_NS10device_ptrIiEEPS6_SD_NS0_5tupleIJSC_S6_EEENSE_IJSD_SD_EEES6_PlJNSA_6detail9not_fun_tINSI_10functional5actorINSK_9compositeIJNSK_27transparent_binary_operatorINSA_8equal_toIvEEEENSL_INSK_8argumentILj0EEEEENSK_5valueIiEEEEEEEEEEEE10hipError_tPvRmT3_T4_T5_T6_T7_T9_mT8_P12ihipStream_tbDpT10_ENKUlT_T0_E_clISt17integral_constantIbLb1EES1I_EEDaS1D_S1E_EUlS1D_E_NS1_11comp_targetILNS1_3genE5ELNS1_11target_archE942ELNS1_3gpuE9ELNS1_3repE0EEENS1_30default_config_static_selectorELNS0_4arch9wavefront6targetE0EEEvT1_,"axG",@progbits,_ZN7rocprim17ROCPRIM_400000_NS6detail17trampoline_kernelINS0_14default_configENS1_25partition_config_selectorILNS1_17partition_subalgoE6EiNS0_10empty_typeEbEEZZNS1_14partition_implILS5_6ELb0ES3_mN6thrust23THRUST_200600_302600_NS10device_ptrIiEEPS6_SD_NS0_5tupleIJSC_S6_EEENSE_IJSD_SD_EEES6_PlJNSA_6detail9not_fun_tINSI_10functional5actorINSK_9compositeIJNSK_27transparent_binary_operatorINSA_8equal_toIvEEEENSL_INSK_8argumentILj0EEEEENSK_5valueIiEEEEEEEEEEEE10hipError_tPvRmT3_T4_T5_T6_T7_T9_mT8_P12ihipStream_tbDpT10_ENKUlT_T0_E_clISt17integral_constantIbLb1EES1I_EEDaS1D_S1E_EUlS1D_E_NS1_11comp_targetILNS1_3genE5ELNS1_11target_archE942ELNS1_3gpuE9ELNS1_3repE0EEENS1_30default_config_static_selectorELNS0_4arch9wavefront6targetE0EEEvT1_,comdat
.Lfunc_end2854:
	.size	_ZN7rocprim17ROCPRIM_400000_NS6detail17trampoline_kernelINS0_14default_configENS1_25partition_config_selectorILNS1_17partition_subalgoE6EiNS0_10empty_typeEbEEZZNS1_14partition_implILS5_6ELb0ES3_mN6thrust23THRUST_200600_302600_NS10device_ptrIiEEPS6_SD_NS0_5tupleIJSC_S6_EEENSE_IJSD_SD_EEES6_PlJNSA_6detail9not_fun_tINSI_10functional5actorINSK_9compositeIJNSK_27transparent_binary_operatorINSA_8equal_toIvEEEENSL_INSK_8argumentILj0EEEEENSK_5valueIiEEEEEEEEEEEE10hipError_tPvRmT3_T4_T5_T6_T7_T9_mT8_P12ihipStream_tbDpT10_ENKUlT_T0_E_clISt17integral_constantIbLb1EES1I_EEDaS1D_S1E_EUlS1D_E_NS1_11comp_targetILNS1_3genE5ELNS1_11target_archE942ELNS1_3gpuE9ELNS1_3repE0EEENS1_30default_config_static_selectorELNS0_4arch9wavefront6targetE0EEEvT1_, .Lfunc_end2854-_ZN7rocprim17ROCPRIM_400000_NS6detail17trampoline_kernelINS0_14default_configENS1_25partition_config_selectorILNS1_17partition_subalgoE6EiNS0_10empty_typeEbEEZZNS1_14partition_implILS5_6ELb0ES3_mN6thrust23THRUST_200600_302600_NS10device_ptrIiEEPS6_SD_NS0_5tupleIJSC_S6_EEENSE_IJSD_SD_EEES6_PlJNSA_6detail9not_fun_tINSI_10functional5actorINSK_9compositeIJNSK_27transparent_binary_operatorINSA_8equal_toIvEEEENSL_INSK_8argumentILj0EEEEENSK_5valueIiEEEEEEEEEEEE10hipError_tPvRmT3_T4_T5_T6_T7_T9_mT8_P12ihipStream_tbDpT10_ENKUlT_T0_E_clISt17integral_constantIbLb1EES1I_EEDaS1D_S1E_EUlS1D_E_NS1_11comp_targetILNS1_3genE5ELNS1_11target_archE942ELNS1_3gpuE9ELNS1_3repE0EEENS1_30default_config_static_selectorELNS0_4arch9wavefront6targetE0EEEvT1_
                                        ; -- End function
	.set _ZN7rocprim17ROCPRIM_400000_NS6detail17trampoline_kernelINS0_14default_configENS1_25partition_config_selectorILNS1_17partition_subalgoE6EiNS0_10empty_typeEbEEZZNS1_14partition_implILS5_6ELb0ES3_mN6thrust23THRUST_200600_302600_NS10device_ptrIiEEPS6_SD_NS0_5tupleIJSC_S6_EEENSE_IJSD_SD_EEES6_PlJNSA_6detail9not_fun_tINSI_10functional5actorINSK_9compositeIJNSK_27transparent_binary_operatorINSA_8equal_toIvEEEENSL_INSK_8argumentILj0EEEEENSK_5valueIiEEEEEEEEEEEE10hipError_tPvRmT3_T4_T5_T6_T7_T9_mT8_P12ihipStream_tbDpT10_ENKUlT_T0_E_clISt17integral_constantIbLb1EES1I_EEDaS1D_S1E_EUlS1D_E_NS1_11comp_targetILNS1_3genE5ELNS1_11target_archE942ELNS1_3gpuE9ELNS1_3repE0EEENS1_30default_config_static_selectorELNS0_4arch9wavefront6targetE0EEEvT1_.num_vgpr, 0
	.set _ZN7rocprim17ROCPRIM_400000_NS6detail17trampoline_kernelINS0_14default_configENS1_25partition_config_selectorILNS1_17partition_subalgoE6EiNS0_10empty_typeEbEEZZNS1_14partition_implILS5_6ELb0ES3_mN6thrust23THRUST_200600_302600_NS10device_ptrIiEEPS6_SD_NS0_5tupleIJSC_S6_EEENSE_IJSD_SD_EEES6_PlJNSA_6detail9not_fun_tINSI_10functional5actorINSK_9compositeIJNSK_27transparent_binary_operatorINSA_8equal_toIvEEEENSL_INSK_8argumentILj0EEEEENSK_5valueIiEEEEEEEEEEEE10hipError_tPvRmT3_T4_T5_T6_T7_T9_mT8_P12ihipStream_tbDpT10_ENKUlT_T0_E_clISt17integral_constantIbLb1EES1I_EEDaS1D_S1E_EUlS1D_E_NS1_11comp_targetILNS1_3genE5ELNS1_11target_archE942ELNS1_3gpuE9ELNS1_3repE0EEENS1_30default_config_static_selectorELNS0_4arch9wavefront6targetE0EEEvT1_.num_agpr, 0
	.set _ZN7rocprim17ROCPRIM_400000_NS6detail17trampoline_kernelINS0_14default_configENS1_25partition_config_selectorILNS1_17partition_subalgoE6EiNS0_10empty_typeEbEEZZNS1_14partition_implILS5_6ELb0ES3_mN6thrust23THRUST_200600_302600_NS10device_ptrIiEEPS6_SD_NS0_5tupleIJSC_S6_EEENSE_IJSD_SD_EEES6_PlJNSA_6detail9not_fun_tINSI_10functional5actorINSK_9compositeIJNSK_27transparent_binary_operatorINSA_8equal_toIvEEEENSL_INSK_8argumentILj0EEEEENSK_5valueIiEEEEEEEEEEEE10hipError_tPvRmT3_T4_T5_T6_T7_T9_mT8_P12ihipStream_tbDpT10_ENKUlT_T0_E_clISt17integral_constantIbLb1EES1I_EEDaS1D_S1E_EUlS1D_E_NS1_11comp_targetILNS1_3genE5ELNS1_11target_archE942ELNS1_3gpuE9ELNS1_3repE0EEENS1_30default_config_static_selectorELNS0_4arch9wavefront6targetE0EEEvT1_.numbered_sgpr, 0
	.set _ZN7rocprim17ROCPRIM_400000_NS6detail17trampoline_kernelINS0_14default_configENS1_25partition_config_selectorILNS1_17partition_subalgoE6EiNS0_10empty_typeEbEEZZNS1_14partition_implILS5_6ELb0ES3_mN6thrust23THRUST_200600_302600_NS10device_ptrIiEEPS6_SD_NS0_5tupleIJSC_S6_EEENSE_IJSD_SD_EEES6_PlJNSA_6detail9not_fun_tINSI_10functional5actorINSK_9compositeIJNSK_27transparent_binary_operatorINSA_8equal_toIvEEEENSL_INSK_8argumentILj0EEEEENSK_5valueIiEEEEEEEEEEEE10hipError_tPvRmT3_T4_T5_T6_T7_T9_mT8_P12ihipStream_tbDpT10_ENKUlT_T0_E_clISt17integral_constantIbLb1EES1I_EEDaS1D_S1E_EUlS1D_E_NS1_11comp_targetILNS1_3genE5ELNS1_11target_archE942ELNS1_3gpuE9ELNS1_3repE0EEENS1_30default_config_static_selectorELNS0_4arch9wavefront6targetE0EEEvT1_.num_named_barrier, 0
	.set _ZN7rocprim17ROCPRIM_400000_NS6detail17trampoline_kernelINS0_14default_configENS1_25partition_config_selectorILNS1_17partition_subalgoE6EiNS0_10empty_typeEbEEZZNS1_14partition_implILS5_6ELb0ES3_mN6thrust23THRUST_200600_302600_NS10device_ptrIiEEPS6_SD_NS0_5tupleIJSC_S6_EEENSE_IJSD_SD_EEES6_PlJNSA_6detail9not_fun_tINSI_10functional5actorINSK_9compositeIJNSK_27transparent_binary_operatorINSA_8equal_toIvEEEENSL_INSK_8argumentILj0EEEEENSK_5valueIiEEEEEEEEEEEE10hipError_tPvRmT3_T4_T5_T6_T7_T9_mT8_P12ihipStream_tbDpT10_ENKUlT_T0_E_clISt17integral_constantIbLb1EES1I_EEDaS1D_S1E_EUlS1D_E_NS1_11comp_targetILNS1_3genE5ELNS1_11target_archE942ELNS1_3gpuE9ELNS1_3repE0EEENS1_30default_config_static_selectorELNS0_4arch9wavefront6targetE0EEEvT1_.private_seg_size, 0
	.set _ZN7rocprim17ROCPRIM_400000_NS6detail17trampoline_kernelINS0_14default_configENS1_25partition_config_selectorILNS1_17partition_subalgoE6EiNS0_10empty_typeEbEEZZNS1_14partition_implILS5_6ELb0ES3_mN6thrust23THRUST_200600_302600_NS10device_ptrIiEEPS6_SD_NS0_5tupleIJSC_S6_EEENSE_IJSD_SD_EEES6_PlJNSA_6detail9not_fun_tINSI_10functional5actorINSK_9compositeIJNSK_27transparent_binary_operatorINSA_8equal_toIvEEEENSL_INSK_8argumentILj0EEEEENSK_5valueIiEEEEEEEEEEEE10hipError_tPvRmT3_T4_T5_T6_T7_T9_mT8_P12ihipStream_tbDpT10_ENKUlT_T0_E_clISt17integral_constantIbLb1EES1I_EEDaS1D_S1E_EUlS1D_E_NS1_11comp_targetILNS1_3genE5ELNS1_11target_archE942ELNS1_3gpuE9ELNS1_3repE0EEENS1_30default_config_static_selectorELNS0_4arch9wavefront6targetE0EEEvT1_.uses_vcc, 0
	.set _ZN7rocprim17ROCPRIM_400000_NS6detail17trampoline_kernelINS0_14default_configENS1_25partition_config_selectorILNS1_17partition_subalgoE6EiNS0_10empty_typeEbEEZZNS1_14partition_implILS5_6ELb0ES3_mN6thrust23THRUST_200600_302600_NS10device_ptrIiEEPS6_SD_NS0_5tupleIJSC_S6_EEENSE_IJSD_SD_EEES6_PlJNSA_6detail9not_fun_tINSI_10functional5actorINSK_9compositeIJNSK_27transparent_binary_operatorINSA_8equal_toIvEEEENSL_INSK_8argumentILj0EEEEENSK_5valueIiEEEEEEEEEEEE10hipError_tPvRmT3_T4_T5_T6_T7_T9_mT8_P12ihipStream_tbDpT10_ENKUlT_T0_E_clISt17integral_constantIbLb1EES1I_EEDaS1D_S1E_EUlS1D_E_NS1_11comp_targetILNS1_3genE5ELNS1_11target_archE942ELNS1_3gpuE9ELNS1_3repE0EEENS1_30default_config_static_selectorELNS0_4arch9wavefront6targetE0EEEvT1_.uses_flat_scratch, 0
	.set _ZN7rocprim17ROCPRIM_400000_NS6detail17trampoline_kernelINS0_14default_configENS1_25partition_config_selectorILNS1_17partition_subalgoE6EiNS0_10empty_typeEbEEZZNS1_14partition_implILS5_6ELb0ES3_mN6thrust23THRUST_200600_302600_NS10device_ptrIiEEPS6_SD_NS0_5tupleIJSC_S6_EEENSE_IJSD_SD_EEES6_PlJNSA_6detail9not_fun_tINSI_10functional5actorINSK_9compositeIJNSK_27transparent_binary_operatorINSA_8equal_toIvEEEENSL_INSK_8argumentILj0EEEEENSK_5valueIiEEEEEEEEEEEE10hipError_tPvRmT3_T4_T5_T6_T7_T9_mT8_P12ihipStream_tbDpT10_ENKUlT_T0_E_clISt17integral_constantIbLb1EES1I_EEDaS1D_S1E_EUlS1D_E_NS1_11comp_targetILNS1_3genE5ELNS1_11target_archE942ELNS1_3gpuE9ELNS1_3repE0EEENS1_30default_config_static_selectorELNS0_4arch9wavefront6targetE0EEEvT1_.has_dyn_sized_stack, 0
	.set _ZN7rocprim17ROCPRIM_400000_NS6detail17trampoline_kernelINS0_14default_configENS1_25partition_config_selectorILNS1_17partition_subalgoE6EiNS0_10empty_typeEbEEZZNS1_14partition_implILS5_6ELb0ES3_mN6thrust23THRUST_200600_302600_NS10device_ptrIiEEPS6_SD_NS0_5tupleIJSC_S6_EEENSE_IJSD_SD_EEES6_PlJNSA_6detail9not_fun_tINSI_10functional5actorINSK_9compositeIJNSK_27transparent_binary_operatorINSA_8equal_toIvEEEENSL_INSK_8argumentILj0EEEEENSK_5valueIiEEEEEEEEEEEE10hipError_tPvRmT3_T4_T5_T6_T7_T9_mT8_P12ihipStream_tbDpT10_ENKUlT_T0_E_clISt17integral_constantIbLb1EES1I_EEDaS1D_S1E_EUlS1D_E_NS1_11comp_targetILNS1_3genE5ELNS1_11target_archE942ELNS1_3gpuE9ELNS1_3repE0EEENS1_30default_config_static_selectorELNS0_4arch9wavefront6targetE0EEEvT1_.has_recursion, 0
	.set _ZN7rocprim17ROCPRIM_400000_NS6detail17trampoline_kernelINS0_14default_configENS1_25partition_config_selectorILNS1_17partition_subalgoE6EiNS0_10empty_typeEbEEZZNS1_14partition_implILS5_6ELb0ES3_mN6thrust23THRUST_200600_302600_NS10device_ptrIiEEPS6_SD_NS0_5tupleIJSC_S6_EEENSE_IJSD_SD_EEES6_PlJNSA_6detail9not_fun_tINSI_10functional5actorINSK_9compositeIJNSK_27transparent_binary_operatorINSA_8equal_toIvEEEENSL_INSK_8argumentILj0EEEEENSK_5valueIiEEEEEEEEEEEE10hipError_tPvRmT3_T4_T5_T6_T7_T9_mT8_P12ihipStream_tbDpT10_ENKUlT_T0_E_clISt17integral_constantIbLb1EES1I_EEDaS1D_S1E_EUlS1D_E_NS1_11comp_targetILNS1_3genE5ELNS1_11target_archE942ELNS1_3gpuE9ELNS1_3repE0EEENS1_30default_config_static_selectorELNS0_4arch9wavefront6targetE0EEEvT1_.has_indirect_call, 0
	.section	.AMDGPU.csdata,"",@progbits
; Kernel info:
; codeLenInByte = 0
; TotalNumSgprs: 0
; NumVgprs: 0
; ScratchSize: 0
; MemoryBound: 0
; FloatMode: 240
; IeeeMode: 1
; LDSByteSize: 0 bytes/workgroup (compile time only)
; SGPRBlocks: 0
; VGPRBlocks: 0
; NumSGPRsForWavesPerEU: 1
; NumVGPRsForWavesPerEU: 1
; Occupancy: 16
; WaveLimiterHint : 0
; COMPUTE_PGM_RSRC2:SCRATCH_EN: 0
; COMPUTE_PGM_RSRC2:USER_SGPR: 2
; COMPUTE_PGM_RSRC2:TRAP_HANDLER: 0
; COMPUTE_PGM_RSRC2:TGID_X_EN: 1
; COMPUTE_PGM_RSRC2:TGID_Y_EN: 0
; COMPUTE_PGM_RSRC2:TGID_Z_EN: 0
; COMPUTE_PGM_RSRC2:TIDIG_COMP_CNT: 0
	.section	.text._ZN7rocprim17ROCPRIM_400000_NS6detail17trampoline_kernelINS0_14default_configENS1_25partition_config_selectorILNS1_17partition_subalgoE6EiNS0_10empty_typeEbEEZZNS1_14partition_implILS5_6ELb0ES3_mN6thrust23THRUST_200600_302600_NS10device_ptrIiEEPS6_SD_NS0_5tupleIJSC_S6_EEENSE_IJSD_SD_EEES6_PlJNSA_6detail9not_fun_tINSI_10functional5actorINSK_9compositeIJNSK_27transparent_binary_operatorINSA_8equal_toIvEEEENSL_INSK_8argumentILj0EEEEENSK_5valueIiEEEEEEEEEEEE10hipError_tPvRmT3_T4_T5_T6_T7_T9_mT8_P12ihipStream_tbDpT10_ENKUlT_T0_E_clISt17integral_constantIbLb1EES1I_EEDaS1D_S1E_EUlS1D_E_NS1_11comp_targetILNS1_3genE4ELNS1_11target_archE910ELNS1_3gpuE8ELNS1_3repE0EEENS1_30default_config_static_selectorELNS0_4arch9wavefront6targetE0EEEvT1_,"axG",@progbits,_ZN7rocprim17ROCPRIM_400000_NS6detail17trampoline_kernelINS0_14default_configENS1_25partition_config_selectorILNS1_17partition_subalgoE6EiNS0_10empty_typeEbEEZZNS1_14partition_implILS5_6ELb0ES3_mN6thrust23THRUST_200600_302600_NS10device_ptrIiEEPS6_SD_NS0_5tupleIJSC_S6_EEENSE_IJSD_SD_EEES6_PlJNSA_6detail9not_fun_tINSI_10functional5actorINSK_9compositeIJNSK_27transparent_binary_operatorINSA_8equal_toIvEEEENSL_INSK_8argumentILj0EEEEENSK_5valueIiEEEEEEEEEEEE10hipError_tPvRmT3_T4_T5_T6_T7_T9_mT8_P12ihipStream_tbDpT10_ENKUlT_T0_E_clISt17integral_constantIbLb1EES1I_EEDaS1D_S1E_EUlS1D_E_NS1_11comp_targetILNS1_3genE4ELNS1_11target_archE910ELNS1_3gpuE8ELNS1_3repE0EEENS1_30default_config_static_selectorELNS0_4arch9wavefront6targetE0EEEvT1_,comdat
	.protected	_ZN7rocprim17ROCPRIM_400000_NS6detail17trampoline_kernelINS0_14default_configENS1_25partition_config_selectorILNS1_17partition_subalgoE6EiNS0_10empty_typeEbEEZZNS1_14partition_implILS5_6ELb0ES3_mN6thrust23THRUST_200600_302600_NS10device_ptrIiEEPS6_SD_NS0_5tupleIJSC_S6_EEENSE_IJSD_SD_EEES6_PlJNSA_6detail9not_fun_tINSI_10functional5actorINSK_9compositeIJNSK_27transparent_binary_operatorINSA_8equal_toIvEEEENSL_INSK_8argumentILj0EEEEENSK_5valueIiEEEEEEEEEEEE10hipError_tPvRmT3_T4_T5_T6_T7_T9_mT8_P12ihipStream_tbDpT10_ENKUlT_T0_E_clISt17integral_constantIbLb1EES1I_EEDaS1D_S1E_EUlS1D_E_NS1_11comp_targetILNS1_3genE4ELNS1_11target_archE910ELNS1_3gpuE8ELNS1_3repE0EEENS1_30default_config_static_selectorELNS0_4arch9wavefront6targetE0EEEvT1_ ; -- Begin function _ZN7rocprim17ROCPRIM_400000_NS6detail17trampoline_kernelINS0_14default_configENS1_25partition_config_selectorILNS1_17partition_subalgoE6EiNS0_10empty_typeEbEEZZNS1_14partition_implILS5_6ELb0ES3_mN6thrust23THRUST_200600_302600_NS10device_ptrIiEEPS6_SD_NS0_5tupleIJSC_S6_EEENSE_IJSD_SD_EEES6_PlJNSA_6detail9not_fun_tINSI_10functional5actorINSK_9compositeIJNSK_27transparent_binary_operatorINSA_8equal_toIvEEEENSL_INSK_8argumentILj0EEEEENSK_5valueIiEEEEEEEEEEEE10hipError_tPvRmT3_T4_T5_T6_T7_T9_mT8_P12ihipStream_tbDpT10_ENKUlT_T0_E_clISt17integral_constantIbLb1EES1I_EEDaS1D_S1E_EUlS1D_E_NS1_11comp_targetILNS1_3genE4ELNS1_11target_archE910ELNS1_3gpuE8ELNS1_3repE0EEENS1_30default_config_static_selectorELNS0_4arch9wavefront6targetE0EEEvT1_
	.globl	_ZN7rocprim17ROCPRIM_400000_NS6detail17trampoline_kernelINS0_14default_configENS1_25partition_config_selectorILNS1_17partition_subalgoE6EiNS0_10empty_typeEbEEZZNS1_14partition_implILS5_6ELb0ES3_mN6thrust23THRUST_200600_302600_NS10device_ptrIiEEPS6_SD_NS0_5tupleIJSC_S6_EEENSE_IJSD_SD_EEES6_PlJNSA_6detail9not_fun_tINSI_10functional5actorINSK_9compositeIJNSK_27transparent_binary_operatorINSA_8equal_toIvEEEENSL_INSK_8argumentILj0EEEEENSK_5valueIiEEEEEEEEEEEE10hipError_tPvRmT3_T4_T5_T6_T7_T9_mT8_P12ihipStream_tbDpT10_ENKUlT_T0_E_clISt17integral_constantIbLb1EES1I_EEDaS1D_S1E_EUlS1D_E_NS1_11comp_targetILNS1_3genE4ELNS1_11target_archE910ELNS1_3gpuE8ELNS1_3repE0EEENS1_30default_config_static_selectorELNS0_4arch9wavefront6targetE0EEEvT1_
	.p2align	8
	.type	_ZN7rocprim17ROCPRIM_400000_NS6detail17trampoline_kernelINS0_14default_configENS1_25partition_config_selectorILNS1_17partition_subalgoE6EiNS0_10empty_typeEbEEZZNS1_14partition_implILS5_6ELb0ES3_mN6thrust23THRUST_200600_302600_NS10device_ptrIiEEPS6_SD_NS0_5tupleIJSC_S6_EEENSE_IJSD_SD_EEES6_PlJNSA_6detail9not_fun_tINSI_10functional5actorINSK_9compositeIJNSK_27transparent_binary_operatorINSA_8equal_toIvEEEENSL_INSK_8argumentILj0EEEEENSK_5valueIiEEEEEEEEEEEE10hipError_tPvRmT3_T4_T5_T6_T7_T9_mT8_P12ihipStream_tbDpT10_ENKUlT_T0_E_clISt17integral_constantIbLb1EES1I_EEDaS1D_S1E_EUlS1D_E_NS1_11comp_targetILNS1_3genE4ELNS1_11target_archE910ELNS1_3gpuE8ELNS1_3repE0EEENS1_30default_config_static_selectorELNS0_4arch9wavefront6targetE0EEEvT1_,@function
_ZN7rocprim17ROCPRIM_400000_NS6detail17trampoline_kernelINS0_14default_configENS1_25partition_config_selectorILNS1_17partition_subalgoE6EiNS0_10empty_typeEbEEZZNS1_14partition_implILS5_6ELb0ES3_mN6thrust23THRUST_200600_302600_NS10device_ptrIiEEPS6_SD_NS0_5tupleIJSC_S6_EEENSE_IJSD_SD_EEES6_PlJNSA_6detail9not_fun_tINSI_10functional5actorINSK_9compositeIJNSK_27transparent_binary_operatorINSA_8equal_toIvEEEENSL_INSK_8argumentILj0EEEEENSK_5valueIiEEEEEEEEEEEE10hipError_tPvRmT3_T4_T5_T6_T7_T9_mT8_P12ihipStream_tbDpT10_ENKUlT_T0_E_clISt17integral_constantIbLb1EES1I_EEDaS1D_S1E_EUlS1D_E_NS1_11comp_targetILNS1_3genE4ELNS1_11target_archE910ELNS1_3gpuE8ELNS1_3repE0EEENS1_30default_config_static_selectorELNS0_4arch9wavefront6targetE0EEEvT1_: ; @_ZN7rocprim17ROCPRIM_400000_NS6detail17trampoline_kernelINS0_14default_configENS1_25partition_config_selectorILNS1_17partition_subalgoE6EiNS0_10empty_typeEbEEZZNS1_14partition_implILS5_6ELb0ES3_mN6thrust23THRUST_200600_302600_NS10device_ptrIiEEPS6_SD_NS0_5tupleIJSC_S6_EEENSE_IJSD_SD_EEES6_PlJNSA_6detail9not_fun_tINSI_10functional5actorINSK_9compositeIJNSK_27transparent_binary_operatorINSA_8equal_toIvEEEENSL_INSK_8argumentILj0EEEEENSK_5valueIiEEEEEEEEEEEE10hipError_tPvRmT3_T4_T5_T6_T7_T9_mT8_P12ihipStream_tbDpT10_ENKUlT_T0_E_clISt17integral_constantIbLb1EES1I_EEDaS1D_S1E_EUlS1D_E_NS1_11comp_targetILNS1_3genE4ELNS1_11target_archE910ELNS1_3gpuE8ELNS1_3repE0EEENS1_30default_config_static_selectorELNS0_4arch9wavefront6targetE0EEEvT1_
; %bb.0:
	.section	.rodata,"a",@progbits
	.p2align	6, 0x0
	.amdhsa_kernel _ZN7rocprim17ROCPRIM_400000_NS6detail17trampoline_kernelINS0_14default_configENS1_25partition_config_selectorILNS1_17partition_subalgoE6EiNS0_10empty_typeEbEEZZNS1_14partition_implILS5_6ELb0ES3_mN6thrust23THRUST_200600_302600_NS10device_ptrIiEEPS6_SD_NS0_5tupleIJSC_S6_EEENSE_IJSD_SD_EEES6_PlJNSA_6detail9not_fun_tINSI_10functional5actorINSK_9compositeIJNSK_27transparent_binary_operatorINSA_8equal_toIvEEEENSL_INSK_8argumentILj0EEEEENSK_5valueIiEEEEEEEEEEEE10hipError_tPvRmT3_T4_T5_T6_T7_T9_mT8_P12ihipStream_tbDpT10_ENKUlT_T0_E_clISt17integral_constantIbLb1EES1I_EEDaS1D_S1E_EUlS1D_E_NS1_11comp_targetILNS1_3genE4ELNS1_11target_archE910ELNS1_3gpuE8ELNS1_3repE0EEENS1_30default_config_static_selectorELNS0_4arch9wavefront6targetE0EEEvT1_
		.amdhsa_group_segment_fixed_size 0
		.amdhsa_private_segment_fixed_size 0
		.amdhsa_kernarg_size 128
		.amdhsa_user_sgpr_count 2
		.amdhsa_user_sgpr_dispatch_ptr 0
		.amdhsa_user_sgpr_queue_ptr 0
		.amdhsa_user_sgpr_kernarg_segment_ptr 1
		.amdhsa_user_sgpr_dispatch_id 0
		.amdhsa_user_sgpr_private_segment_size 0
		.amdhsa_wavefront_size32 1
		.amdhsa_uses_dynamic_stack 0
		.amdhsa_enable_private_segment 0
		.amdhsa_system_sgpr_workgroup_id_x 1
		.amdhsa_system_sgpr_workgroup_id_y 0
		.amdhsa_system_sgpr_workgroup_id_z 0
		.amdhsa_system_sgpr_workgroup_info 0
		.amdhsa_system_vgpr_workitem_id 0
		.amdhsa_next_free_vgpr 1
		.amdhsa_next_free_sgpr 1
		.amdhsa_reserve_vcc 0
		.amdhsa_float_round_mode_32 0
		.amdhsa_float_round_mode_16_64 0
		.amdhsa_float_denorm_mode_32 3
		.amdhsa_float_denorm_mode_16_64 3
		.amdhsa_fp16_overflow 0
		.amdhsa_workgroup_processor_mode 1
		.amdhsa_memory_ordered 1
		.amdhsa_forward_progress 1
		.amdhsa_inst_pref_size 0
		.amdhsa_round_robin_scheduling 0
		.amdhsa_exception_fp_ieee_invalid_op 0
		.amdhsa_exception_fp_denorm_src 0
		.amdhsa_exception_fp_ieee_div_zero 0
		.amdhsa_exception_fp_ieee_overflow 0
		.amdhsa_exception_fp_ieee_underflow 0
		.amdhsa_exception_fp_ieee_inexact 0
		.amdhsa_exception_int_div_zero 0
	.end_amdhsa_kernel
	.section	.text._ZN7rocprim17ROCPRIM_400000_NS6detail17trampoline_kernelINS0_14default_configENS1_25partition_config_selectorILNS1_17partition_subalgoE6EiNS0_10empty_typeEbEEZZNS1_14partition_implILS5_6ELb0ES3_mN6thrust23THRUST_200600_302600_NS10device_ptrIiEEPS6_SD_NS0_5tupleIJSC_S6_EEENSE_IJSD_SD_EEES6_PlJNSA_6detail9not_fun_tINSI_10functional5actorINSK_9compositeIJNSK_27transparent_binary_operatorINSA_8equal_toIvEEEENSL_INSK_8argumentILj0EEEEENSK_5valueIiEEEEEEEEEEEE10hipError_tPvRmT3_T4_T5_T6_T7_T9_mT8_P12ihipStream_tbDpT10_ENKUlT_T0_E_clISt17integral_constantIbLb1EES1I_EEDaS1D_S1E_EUlS1D_E_NS1_11comp_targetILNS1_3genE4ELNS1_11target_archE910ELNS1_3gpuE8ELNS1_3repE0EEENS1_30default_config_static_selectorELNS0_4arch9wavefront6targetE0EEEvT1_,"axG",@progbits,_ZN7rocprim17ROCPRIM_400000_NS6detail17trampoline_kernelINS0_14default_configENS1_25partition_config_selectorILNS1_17partition_subalgoE6EiNS0_10empty_typeEbEEZZNS1_14partition_implILS5_6ELb0ES3_mN6thrust23THRUST_200600_302600_NS10device_ptrIiEEPS6_SD_NS0_5tupleIJSC_S6_EEENSE_IJSD_SD_EEES6_PlJNSA_6detail9not_fun_tINSI_10functional5actorINSK_9compositeIJNSK_27transparent_binary_operatorINSA_8equal_toIvEEEENSL_INSK_8argumentILj0EEEEENSK_5valueIiEEEEEEEEEEEE10hipError_tPvRmT3_T4_T5_T6_T7_T9_mT8_P12ihipStream_tbDpT10_ENKUlT_T0_E_clISt17integral_constantIbLb1EES1I_EEDaS1D_S1E_EUlS1D_E_NS1_11comp_targetILNS1_3genE4ELNS1_11target_archE910ELNS1_3gpuE8ELNS1_3repE0EEENS1_30default_config_static_selectorELNS0_4arch9wavefront6targetE0EEEvT1_,comdat
.Lfunc_end2855:
	.size	_ZN7rocprim17ROCPRIM_400000_NS6detail17trampoline_kernelINS0_14default_configENS1_25partition_config_selectorILNS1_17partition_subalgoE6EiNS0_10empty_typeEbEEZZNS1_14partition_implILS5_6ELb0ES3_mN6thrust23THRUST_200600_302600_NS10device_ptrIiEEPS6_SD_NS0_5tupleIJSC_S6_EEENSE_IJSD_SD_EEES6_PlJNSA_6detail9not_fun_tINSI_10functional5actorINSK_9compositeIJNSK_27transparent_binary_operatorINSA_8equal_toIvEEEENSL_INSK_8argumentILj0EEEEENSK_5valueIiEEEEEEEEEEEE10hipError_tPvRmT3_T4_T5_T6_T7_T9_mT8_P12ihipStream_tbDpT10_ENKUlT_T0_E_clISt17integral_constantIbLb1EES1I_EEDaS1D_S1E_EUlS1D_E_NS1_11comp_targetILNS1_3genE4ELNS1_11target_archE910ELNS1_3gpuE8ELNS1_3repE0EEENS1_30default_config_static_selectorELNS0_4arch9wavefront6targetE0EEEvT1_, .Lfunc_end2855-_ZN7rocprim17ROCPRIM_400000_NS6detail17trampoline_kernelINS0_14default_configENS1_25partition_config_selectorILNS1_17partition_subalgoE6EiNS0_10empty_typeEbEEZZNS1_14partition_implILS5_6ELb0ES3_mN6thrust23THRUST_200600_302600_NS10device_ptrIiEEPS6_SD_NS0_5tupleIJSC_S6_EEENSE_IJSD_SD_EEES6_PlJNSA_6detail9not_fun_tINSI_10functional5actorINSK_9compositeIJNSK_27transparent_binary_operatorINSA_8equal_toIvEEEENSL_INSK_8argumentILj0EEEEENSK_5valueIiEEEEEEEEEEEE10hipError_tPvRmT3_T4_T5_T6_T7_T9_mT8_P12ihipStream_tbDpT10_ENKUlT_T0_E_clISt17integral_constantIbLb1EES1I_EEDaS1D_S1E_EUlS1D_E_NS1_11comp_targetILNS1_3genE4ELNS1_11target_archE910ELNS1_3gpuE8ELNS1_3repE0EEENS1_30default_config_static_selectorELNS0_4arch9wavefront6targetE0EEEvT1_
                                        ; -- End function
	.set _ZN7rocprim17ROCPRIM_400000_NS6detail17trampoline_kernelINS0_14default_configENS1_25partition_config_selectorILNS1_17partition_subalgoE6EiNS0_10empty_typeEbEEZZNS1_14partition_implILS5_6ELb0ES3_mN6thrust23THRUST_200600_302600_NS10device_ptrIiEEPS6_SD_NS0_5tupleIJSC_S6_EEENSE_IJSD_SD_EEES6_PlJNSA_6detail9not_fun_tINSI_10functional5actorINSK_9compositeIJNSK_27transparent_binary_operatorINSA_8equal_toIvEEEENSL_INSK_8argumentILj0EEEEENSK_5valueIiEEEEEEEEEEEE10hipError_tPvRmT3_T4_T5_T6_T7_T9_mT8_P12ihipStream_tbDpT10_ENKUlT_T0_E_clISt17integral_constantIbLb1EES1I_EEDaS1D_S1E_EUlS1D_E_NS1_11comp_targetILNS1_3genE4ELNS1_11target_archE910ELNS1_3gpuE8ELNS1_3repE0EEENS1_30default_config_static_selectorELNS0_4arch9wavefront6targetE0EEEvT1_.num_vgpr, 0
	.set _ZN7rocprim17ROCPRIM_400000_NS6detail17trampoline_kernelINS0_14default_configENS1_25partition_config_selectorILNS1_17partition_subalgoE6EiNS0_10empty_typeEbEEZZNS1_14partition_implILS5_6ELb0ES3_mN6thrust23THRUST_200600_302600_NS10device_ptrIiEEPS6_SD_NS0_5tupleIJSC_S6_EEENSE_IJSD_SD_EEES6_PlJNSA_6detail9not_fun_tINSI_10functional5actorINSK_9compositeIJNSK_27transparent_binary_operatorINSA_8equal_toIvEEEENSL_INSK_8argumentILj0EEEEENSK_5valueIiEEEEEEEEEEEE10hipError_tPvRmT3_T4_T5_T6_T7_T9_mT8_P12ihipStream_tbDpT10_ENKUlT_T0_E_clISt17integral_constantIbLb1EES1I_EEDaS1D_S1E_EUlS1D_E_NS1_11comp_targetILNS1_3genE4ELNS1_11target_archE910ELNS1_3gpuE8ELNS1_3repE0EEENS1_30default_config_static_selectorELNS0_4arch9wavefront6targetE0EEEvT1_.num_agpr, 0
	.set _ZN7rocprim17ROCPRIM_400000_NS6detail17trampoline_kernelINS0_14default_configENS1_25partition_config_selectorILNS1_17partition_subalgoE6EiNS0_10empty_typeEbEEZZNS1_14partition_implILS5_6ELb0ES3_mN6thrust23THRUST_200600_302600_NS10device_ptrIiEEPS6_SD_NS0_5tupleIJSC_S6_EEENSE_IJSD_SD_EEES6_PlJNSA_6detail9not_fun_tINSI_10functional5actorINSK_9compositeIJNSK_27transparent_binary_operatorINSA_8equal_toIvEEEENSL_INSK_8argumentILj0EEEEENSK_5valueIiEEEEEEEEEEEE10hipError_tPvRmT3_T4_T5_T6_T7_T9_mT8_P12ihipStream_tbDpT10_ENKUlT_T0_E_clISt17integral_constantIbLb1EES1I_EEDaS1D_S1E_EUlS1D_E_NS1_11comp_targetILNS1_3genE4ELNS1_11target_archE910ELNS1_3gpuE8ELNS1_3repE0EEENS1_30default_config_static_selectorELNS0_4arch9wavefront6targetE0EEEvT1_.numbered_sgpr, 0
	.set _ZN7rocprim17ROCPRIM_400000_NS6detail17trampoline_kernelINS0_14default_configENS1_25partition_config_selectorILNS1_17partition_subalgoE6EiNS0_10empty_typeEbEEZZNS1_14partition_implILS5_6ELb0ES3_mN6thrust23THRUST_200600_302600_NS10device_ptrIiEEPS6_SD_NS0_5tupleIJSC_S6_EEENSE_IJSD_SD_EEES6_PlJNSA_6detail9not_fun_tINSI_10functional5actorINSK_9compositeIJNSK_27transparent_binary_operatorINSA_8equal_toIvEEEENSL_INSK_8argumentILj0EEEEENSK_5valueIiEEEEEEEEEEEE10hipError_tPvRmT3_T4_T5_T6_T7_T9_mT8_P12ihipStream_tbDpT10_ENKUlT_T0_E_clISt17integral_constantIbLb1EES1I_EEDaS1D_S1E_EUlS1D_E_NS1_11comp_targetILNS1_3genE4ELNS1_11target_archE910ELNS1_3gpuE8ELNS1_3repE0EEENS1_30default_config_static_selectorELNS0_4arch9wavefront6targetE0EEEvT1_.num_named_barrier, 0
	.set _ZN7rocprim17ROCPRIM_400000_NS6detail17trampoline_kernelINS0_14default_configENS1_25partition_config_selectorILNS1_17partition_subalgoE6EiNS0_10empty_typeEbEEZZNS1_14partition_implILS5_6ELb0ES3_mN6thrust23THRUST_200600_302600_NS10device_ptrIiEEPS6_SD_NS0_5tupleIJSC_S6_EEENSE_IJSD_SD_EEES6_PlJNSA_6detail9not_fun_tINSI_10functional5actorINSK_9compositeIJNSK_27transparent_binary_operatorINSA_8equal_toIvEEEENSL_INSK_8argumentILj0EEEEENSK_5valueIiEEEEEEEEEEEE10hipError_tPvRmT3_T4_T5_T6_T7_T9_mT8_P12ihipStream_tbDpT10_ENKUlT_T0_E_clISt17integral_constantIbLb1EES1I_EEDaS1D_S1E_EUlS1D_E_NS1_11comp_targetILNS1_3genE4ELNS1_11target_archE910ELNS1_3gpuE8ELNS1_3repE0EEENS1_30default_config_static_selectorELNS0_4arch9wavefront6targetE0EEEvT1_.private_seg_size, 0
	.set _ZN7rocprim17ROCPRIM_400000_NS6detail17trampoline_kernelINS0_14default_configENS1_25partition_config_selectorILNS1_17partition_subalgoE6EiNS0_10empty_typeEbEEZZNS1_14partition_implILS5_6ELb0ES3_mN6thrust23THRUST_200600_302600_NS10device_ptrIiEEPS6_SD_NS0_5tupleIJSC_S6_EEENSE_IJSD_SD_EEES6_PlJNSA_6detail9not_fun_tINSI_10functional5actorINSK_9compositeIJNSK_27transparent_binary_operatorINSA_8equal_toIvEEEENSL_INSK_8argumentILj0EEEEENSK_5valueIiEEEEEEEEEEEE10hipError_tPvRmT3_T4_T5_T6_T7_T9_mT8_P12ihipStream_tbDpT10_ENKUlT_T0_E_clISt17integral_constantIbLb1EES1I_EEDaS1D_S1E_EUlS1D_E_NS1_11comp_targetILNS1_3genE4ELNS1_11target_archE910ELNS1_3gpuE8ELNS1_3repE0EEENS1_30default_config_static_selectorELNS0_4arch9wavefront6targetE0EEEvT1_.uses_vcc, 0
	.set _ZN7rocprim17ROCPRIM_400000_NS6detail17trampoline_kernelINS0_14default_configENS1_25partition_config_selectorILNS1_17partition_subalgoE6EiNS0_10empty_typeEbEEZZNS1_14partition_implILS5_6ELb0ES3_mN6thrust23THRUST_200600_302600_NS10device_ptrIiEEPS6_SD_NS0_5tupleIJSC_S6_EEENSE_IJSD_SD_EEES6_PlJNSA_6detail9not_fun_tINSI_10functional5actorINSK_9compositeIJNSK_27transparent_binary_operatorINSA_8equal_toIvEEEENSL_INSK_8argumentILj0EEEEENSK_5valueIiEEEEEEEEEEEE10hipError_tPvRmT3_T4_T5_T6_T7_T9_mT8_P12ihipStream_tbDpT10_ENKUlT_T0_E_clISt17integral_constantIbLb1EES1I_EEDaS1D_S1E_EUlS1D_E_NS1_11comp_targetILNS1_3genE4ELNS1_11target_archE910ELNS1_3gpuE8ELNS1_3repE0EEENS1_30default_config_static_selectorELNS0_4arch9wavefront6targetE0EEEvT1_.uses_flat_scratch, 0
	.set _ZN7rocprim17ROCPRIM_400000_NS6detail17trampoline_kernelINS0_14default_configENS1_25partition_config_selectorILNS1_17partition_subalgoE6EiNS0_10empty_typeEbEEZZNS1_14partition_implILS5_6ELb0ES3_mN6thrust23THRUST_200600_302600_NS10device_ptrIiEEPS6_SD_NS0_5tupleIJSC_S6_EEENSE_IJSD_SD_EEES6_PlJNSA_6detail9not_fun_tINSI_10functional5actorINSK_9compositeIJNSK_27transparent_binary_operatorINSA_8equal_toIvEEEENSL_INSK_8argumentILj0EEEEENSK_5valueIiEEEEEEEEEEEE10hipError_tPvRmT3_T4_T5_T6_T7_T9_mT8_P12ihipStream_tbDpT10_ENKUlT_T0_E_clISt17integral_constantIbLb1EES1I_EEDaS1D_S1E_EUlS1D_E_NS1_11comp_targetILNS1_3genE4ELNS1_11target_archE910ELNS1_3gpuE8ELNS1_3repE0EEENS1_30default_config_static_selectorELNS0_4arch9wavefront6targetE0EEEvT1_.has_dyn_sized_stack, 0
	.set _ZN7rocprim17ROCPRIM_400000_NS6detail17trampoline_kernelINS0_14default_configENS1_25partition_config_selectorILNS1_17partition_subalgoE6EiNS0_10empty_typeEbEEZZNS1_14partition_implILS5_6ELb0ES3_mN6thrust23THRUST_200600_302600_NS10device_ptrIiEEPS6_SD_NS0_5tupleIJSC_S6_EEENSE_IJSD_SD_EEES6_PlJNSA_6detail9not_fun_tINSI_10functional5actorINSK_9compositeIJNSK_27transparent_binary_operatorINSA_8equal_toIvEEEENSL_INSK_8argumentILj0EEEEENSK_5valueIiEEEEEEEEEEEE10hipError_tPvRmT3_T4_T5_T6_T7_T9_mT8_P12ihipStream_tbDpT10_ENKUlT_T0_E_clISt17integral_constantIbLb1EES1I_EEDaS1D_S1E_EUlS1D_E_NS1_11comp_targetILNS1_3genE4ELNS1_11target_archE910ELNS1_3gpuE8ELNS1_3repE0EEENS1_30default_config_static_selectorELNS0_4arch9wavefront6targetE0EEEvT1_.has_recursion, 0
	.set _ZN7rocprim17ROCPRIM_400000_NS6detail17trampoline_kernelINS0_14default_configENS1_25partition_config_selectorILNS1_17partition_subalgoE6EiNS0_10empty_typeEbEEZZNS1_14partition_implILS5_6ELb0ES3_mN6thrust23THRUST_200600_302600_NS10device_ptrIiEEPS6_SD_NS0_5tupleIJSC_S6_EEENSE_IJSD_SD_EEES6_PlJNSA_6detail9not_fun_tINSI_10functional5actorINSK_9compositeIJNSK_27transparent_binary_operatorINSA_8equal_toIvEEEENSL_INSK_8argumentILj0EEEEENSK_5valueIiEEEEEEEEEEEE10hipError_tPvRmT3_T4_T5_T6_T7_T9_mT8_P12ihipStream_tbDpT10_ENKUlT_T0_E_clISt17integral_constantIbLb1EES1I_EEDaS1D_S1E_EUlS1D_E_NS1_11comp_targetILNS1_3genE4ELNS1_11target_archE910ELNS1_3gpuE8ELNS1_3repE0EEENS1_30default_config_static_selectorELNS0_4arch9wavefront6targetE0EEEvT1_.has_indirect_call, 0
	.section	.AMDGPU.csdata,"",@progbits
; Kernel info:
; codeLenInByte = 0
; TotalNumSgprs: 0
; NumVgprs: 0
; ScratchSize: 0
; MemoryBound: 0
; FloatMode: 240
; IeeeMode: 1
; LDSByteSize: 0 bytes/workgroup (compile time only)
; SGPRBlocks: 0
; VGPRBlocks: 0
; NumSGPRsForWavesPerEU: 1
; NumVGPRsForWavesPerEU: 1
; Occupancy: 16
; WaveLimiterHint : 0
; COMPUTE_PGM_RSRC2:SCRATCH_EN: 0
; COMPUTE_PGM_RSRC2:USER_SGPR: 2
; COMPUTE_PGM_RSRC2:TRAP_HANDLER: 0
; COMPUTE_PGM_RSRC2:TGID_X_EN: 1
; COMPUTE_PGM_RSRC2:TGID_Y_EN: 0
; COMPUTE_PGM_RSRC2:TGID_Z_EN: 0
; COMPUTE_PGM_RSRC2:TIDIG_COMP_CNT: 0
	.section	.text._ZN7rocprim17ROCPRIM_400000_NS6detail17trampoline_kernelINS0_14default_configENS1_25partition_config_selectorILNS1_17partition_subalgoE6EiNS0_10empty_typeEbEEZZNS1_14partition_implILS5_6ELb0ES3_mN6thrust23THRUST_200600_302600_NS10device_ptrIiEEPS6_SD_NS0_5tupleIJSC_S6_EEENSE_IJSD_SD_EEES6_PlJNSA_6detail9not_fun_tINSI_10functional5actorINSK_9compositeIJNSK_27transparent_binary_operatorINSA_8equal_toIvEEEENSL_INSK_8argumentILj0EEEEENSK_5valueIiEEEEEEEEEEEE10hipError_tPvRmT3_T4_T5_T6_T7_T9_mT8_P12ihipStream_tbDpT10_ENKUlT_T0_E_clISt17integral_constantIbLb1EES1I_EEDaS1D_S1E_EUlS1D_E_NS1_11comp_targetILNS1_3genE3ELNS1_11target_archE908ELNS1_3gpuE7ELNS1_3repE0EEENS1_30default_config_static_selectorELNS0_4arch9wavefront6targetE0EEEvT1_,"axG",@progbits,_ZN7rocprim17ROCPRIM_400000_NS6detail17trampoline_kernelINS0_14default_configENS1_25partition_config_selectorILNS1_17partition_subalgoE6EiNS0_10empty_typeEbEEZZNS1_14partition_implILS5_6ELb0ES3_mN6thrust23THRUST_200600_302600_NS10device_ptrIiEEPS6_SD_NS0_5tupleIJSC_S6_EEENSE_IJSD_SD_EEES6_PlJNSA_6detail9not_fun_tINSI_10functional5actorINSK_9compositeIJNSK_27transparent_binary_operatorINSA_8equal_toIvEEEENSL_INSK_8argumentILj0EEEEENSK_5valueIiEEEEEEEEEEEE10hipError_tPvRmT3_T4_T5_T6_T7_T9_mT8_P12ihipStream_tbDpT10_ENKUlT_T0_E_clISt17integral_constantIbLb1EES1I_EEDaS1D_S1E_EUlS1D_E_NS1_11comp_targetILNS1_3genE3ELNS1_11target_archE908ELNS1_3gpuE7ELNS1_3repE0EEENS1_30default_config_static_selectorELNS0_4arch9wavefront6targetE0EEEvT1_,comdat
	.protected	_ZN7rocprim17ROCPRIM_400000_NS6detail17trampoline_kernelINS0_14default_configENS1_25partition_config_selectorILNS1_17partition_subalgoE6EiNS0_10empty_typeEbEEZZNS1_14partition_implILS5_6ELb0ES3_mN6thrust23THRUST_200600_302600_NS10device_ptrIiEEPS6_SD_NS0_5tupleIJSC_S6_EEENSE_IJSD_SD_EEES6_PlJNSA_6detail9not_fun_tINSI_10functional5actorINSK_9compositeIJNSK_27transparent_binary_operatorINSA_8equal_toIvEEEENSL_INSK_8argumentILj0EEEEENSK_5valueIiEEEEEEEEEEEE10hipError_tPvRmT3_T4_T5_T6_T7_T9_mT8_P12ihipStream_tbDpT10_ENKUlT_T0_E_clISt17integral_constantIbLb1EES1I_EEDaS1D_S1E_EUlS1D_E_NS1_11comp_targetILNS1_3genE3ELNS1_11target_archE908ELNS1_3gpuE7ELNS1_3repE0EEENS1_30default_config_static_selectorELNS0_4arch9wavefront6targetE0EEEvT1_ ; -- Begin function _ZN7rocprim17ROCPRIM_400000_NS6detail17trampoline_kernelINS0_14default_configENS1_25partition_config_selectorILNS1_17partition_subalgoE6EiNS0_10empty_typeEbEEZZNS1_14partition_implILS5_6ELb0ES3_mN6thrust23THRUST_200600_302600_NS10device_ptrIiEEPS6_SD_NS0_5tupleIJSC_S6_EEENSE_IJSD_SD_EEES6_PlJNSA_6detail9not_fun_tINSI_10functional5actorINSK_9compositeIJNSK_27transparent_binary_operatorINSA_8equal_toIvEEEENSL_INSK_8argumentILj0EEEEENSK_5valueIiEEEEEEEEEEEE10hipError_tPvRmT3_T4_T5_T6_T7_T9_mT8_P12ihipStream_tbDpT10_ENKUlT_T0_E_clISt17integral_constantIbLb1EES1I_EEDaS1D_S1E_EUlS1D_E_NS1_11comp_targetILNS1_3genE3ELNS1_11target_archE908ELNS1_3gpuE7ELNS1_3repE0EEENS1_30default_config_static_selectorELNS0_4arch9wavefront6targetE0EEEvT1_
	.globl	_ZN7rocprim17ROCPRIM_400000_NS6detail17trampoline_kernelINS0_14default_configENS1_25partition_config_selectorILNS1_17partition_subalgoE6EiNS0_10empty_typeEbEEZZNS1_14partition_implILS5_6ELb0ES3_mN6thrust23THRUST_200600_302600_NS10device_ptrIiEEPS6_SD_NS0_5tupleIJSC_S6_EEENSE_IJSD_SD_EEES6_PlJNSA_6detail9not_fun_tINSI_10functional5actorINSK_9compositeIJNSK_27transparent_binary_operatorINSA_8equal_toIvEEEENSL_INSK_8argumentILj0EEEEENSK_5valueIiEEEEEEEEEEEE10hipError_tPvRmT3_T4_T5_T6_T7_T9_mT8_P12ihipStream_tbDpT10_ENKUlT_T0_E_clISt17integral_constantIbLb1EES1I_EEDaS1D_S1E_EUlS1D_E_NS1_11comp_targetILNS1_3genE3ELNS1_11target_archE908ELNS1_3gpuE7ELNS1_3repE0EEENS1_30default_config_static_selectorELNS0_4arch9wavefront6targetE0EEEvT1_
	.p2align	8
	.type	_ZN7rocprim17ROCPRIM_400000_NS6detail17trampoline_kernelINS0_14default_configENS1_25partition_config_selectorILNS1_17partition_subalgoE6EiNS0_10empty_typeEbEEZZNS1_14partition_implILS5_6ELb0ES3_mN6thrust23THRUST_200600_302600_NS10device_ptrIiEEPS6_SD_NS0_5tupleIJSC_S6_EEENSE_IJSD_SD_EEES6_PlJNSA_6detail9not_fun_tINSI_10functional5actorINSK_9compositeIJNSK_27transparent_binary_operatorINSA_8equal_toIvEEEENSL_INSK_8argumentILj0EEEEENSK_5valueIiEEEEEEEEEEEE10hipError_tPvRmT3_T4_T5_T6_T7_T9_mT8_P12ihipStream_tbDpT10_ENKUlT_T0_E_clISt17integral_constantIbLb1EES1I_EEDaS1D_S1E_EUlS1D_E_NS1_11comp_targetILNS1_3genE3ELNS1_11target_archE908ELNS1_3gpuE7ELNS1_3repE0EEENS1_30default_config_static_selectorELNS0_4arch9wavefront6targetE0EEEvT1_,@function
_ZN7rocprim17ROCPRIM_400000_NS6detail17trampoline_kernelINS0_14default_configENS1_25partition_config_selectorILNS1_17partition_subalgoE6EiNS0_10empty_typeEbEEZZNS1_14partition_implILS5_6ELb0ES3_mN6thrust23THRUST_200600_302600_NS10device_ptrIiEEPS6_SD_NS0_5tupleIJSC_S6_EEENSE_IJSD_SD_EEES6_PlJNSA_6detail9not_fun_tINSI_10functional5actorINSK_9compositeIJNSK_27transparent_binary_operatorINSA_8equal_toIvEEEENSL_INSK_8argumentILj0EEEEENSK_5valueIiEEEEEEEEEEEE10hipError_tPvRmT3_T4_T5_T6_T7_T9_mT8_P12ihipStream_tbDpT10_ENKUlT_T0_E_clISt17integral_constantIbLb1EES1I_EEDaS1D_S1E_EUlS1D_E_NS1_11comp_targetILNS1_3genE3ELNS1_11target_archE908ELNS1_3gpuE7ELNS1_3repE0EEENS1_30default_config_static_selectorELNS0_4arch9wavefront6targetE0EEEvT1_: ; @_ZN7rocprim17ROCPRIM_400000_NS6detail17trampoline_kernelINS0_14default_configENS1_25partition_config_selectorILNS1_17partition_subalgoE6EiNS0_10empty_typeEbEEZZNS1_14partition_implILS5_6ELb0ES3_mN6thrust23THRUST_200600_302600_NS10device_ptrIiEEPS6_SD_NS0_5tupleIJSC_S6_EEENSE_IJSD_SD_EEES6_PlJNSA_6detail9not_fun_tINSI_10functional5actorINSK_9compositeIJNSK_27transparent_binary_operatorINSA_8equal_toIvEEEENSL_INSK_8argumentILj0EEEEENSK_5valueIiEEEEEEEEEEEE10hipError_tPvRmT3_T4_T5_T6_T7_T9_mT8_P12ihipStream_tbDpT10_ENKUlT_T0_E_clISt17integral_constantIbLb1EES1I_EEDaS1D_S1E_EUlS1D_E_NS1_11comp_targetILNS1_3genE3ELNS1_11target_archE908ELNS1_3gpuE7ELNS1_3repE0EEENS1_30default_config_static_selectorELNS0_4arch9wavefront6targetE0EEEvT1_
; %bb.0:
	.section	.rodata,"a",@progbits
	.p2align	6, 0x0
	.amdhsa_kernel _ZN7rocprim17ROCPRIM_400000_NS6detail17trampoline_kernelINS0_14default_configENS1_25partition_config_selectorILNS1_17partition_subalgoE6EiNS0_10empty_typeEbEEZZNS1_14partition_implILS5_6ELb0ES3_mN6thrust23THRUST_200600_302600_NS10device_ptrIiEEPS6_SD_NS0_5tupleIJSC_S6_EEENSE_IJSD_SD_EEES6_PlJNSA_6detail9not_fun_tINSI_10functional5actorINSK_9compositeIJNSK_27transparent_binary_operatorINSA_8equal_toIvEEEENSL_INSK_8argumentILj0EEEEENSK_5valueIiEEEEEEEEEEEE10hipError_tPvRmT3_T4_T5_T6_T7_T9_mT8_P12ihipStream_tbDpT10_ENKUlT_T0_E_clISt17integral_constantIbLb1EES1I_EEDaS1D_S1E_EUlS1D_E_NS1_11comp_targetILNS1_3genE3ELNS1_11target_archE908ELNS1_3gpuE7ELNS1_3repE0EEENS1_30default_config_static_selectorELNS0_4arch9wavefront6targetE0EEEvT1_
		.amdhsa_group_segment_fixed_size 0
		.amdhsa_private_segment_fixed_size 0
		.amdhsa_kernarg_size 128
		.amdhsa_user_sgpr_count 2
		.amdhsa_user_sgpr_dispatch_ptr 0
		.amdhsa_user_sgpr_queue_ptr 0
		.amdhsa_user_sgpr_kernarg_segment_ptr 1
		.amdhsa_user_sgpr_dispatch_id 0
		.amdhsa_user_sgpr_private_segment_size 0
		.amdhsa_wavefront_size32 1
		.amdhsa_uses_dynamic_stack 0
		.amdhsa_enable_private_segment 0
		.amdhsa_system_sgpr_workgroup_id_x 1
		.amdhsa_system_sgpr_workgroup_id_y 0
		.amdhsa_system_sgpr_workgroup_id_z 0
		.amdhsa_system_sgpr_workgroup_info 0
		.amdhsa_system_vgpr_workitem_id 0
		.amdhsa_next_free_vgpr 1
		.amdhsa_next_free_sgpr 1
		.amdhsa_reserve_vcc 0
		.amdhsa_float_round_mode_32 0
		.amdhsa_float_round_mode_16_64 0
		.amdhsa_float_denorm_mode_32 3
		.amdhsa_float_denorm_mode_16_64 3
		.amdhsa_fp16_overflow 0
		.amdhsa_workgroup_processor_mode 1
		.amdhsa_memory_ordered 1
		.amdhsa_forward_progress 1
		.amdhsa_inst_pref_size 0
		.amdhsa_round_robin_scheduling 0
		.amdhsa_exception_fp_ieee_invalid_op 0
		.amdhsa_exception_fp_denorm_src 0
		.amdhsa_exception_fp_ieee_div_zero 0
		.amdhsa_exception_fp_ieee_overflow 0
		.amdhsa_exception_fp_ieee_underflow 0
		.amdhsa_exception_fp_ieee_inexact 0
		.amdhsa_exception_int_div_zero 0
	.end_amdhsa_kernel
	.section	.text._ZN7rocprim17ROCPRIM_400000_NS6detail17trampoline_kernelINS0_14default_configENS1_25partition_config_selectorILNS1_17partition_subalgoE6EiNS0_10empty_typeEbEEZZNS1_14partition_implILS5_6ELb0ES3_mN6thrust23THRUST_200600_302600_NS10device_ptrIiEEPS6_SD_NS0_5tupleIJSC_S6_EEENSE_IJSD_SD_EEES6_PlJNSA_6detail9not_fun_tINSI_10functional5actorINSK_9compositeIJNSK_27transparent_binary_operatorINSA_8equal_toIvEEEENSL_INSK_8argumentILj0EEEEENSK_5valueIiEEEEEEEEEEEE10hipError_tPvRmT3_T4_T5_T6_T7_T9_mT8_P12ihipStream_tbDpT10_ENKUlT_T0_E_clISt17integral_constantIbLb1EES1I_EEDaS1D_S1E_EUlS1D_E_NS1_11comp_targetILNS1_3genE3ELNS1_11target_archE908ELNS1_3gpuE7ELNS1_3repE0EEENS1_30default_config_static_selectorELNS0_4arch9wavefront6targetE0EEEvT1_,"axG",@progbits,_ZN7rocprim17ROCPRIM_400000_NS6detail17trampoline_kernelINS0_14default_configENS1_25partition_config_selectorILNS1_17partition_subalgoE6EiNS0_10empty_typeEbEEZZNS1_14partition_implILS5_6ELb0ES3_mN6thrust23THRUST_200600_302600_NS10device_ptrIiEEPS6_SD_NS0_5tupleIJSC_S6_EEENSE_IJSD_SD_EEES6_PlJNSA_6detail9not_fun_tINSI_10functional5actorINSK_9compositeIJNSK_27transparent_binary_operatorINSA_8equal_toIvEEEENSL_INSK_8argumentILj0EEEEENSK_5valueIiEEEEEEEEEEEE10hipError_tPvRmT3_T4_T5_T6_T7_T9_mT8_P12ihipStream_tbDpT10_ENKUlT_T0_E_clISt17integral_constantIbLb1EES1I_EEDaS1D_S1E_EUlS1D_E_NS1_11comp_targetILNS1_3genE3ELNS1_11target_archE908ELNS1_3gpuE7ELNS1_3repE0EEENS1_30default_config_static_selectorELNS0_4arch9wavefront6targetE0EEEvT1_,comdat
.Lfunc_end2856:
	.size	_ZN7rocprim17ROCPRIM_400000_NS6detail17trampoline_kernelINS0_14default_configENS1_25partition_config_selectorILNS1_17partition_subalgoE6EiNS0_10empty_typeEbEEZZNS1_14partition_implILS5_6ELb0ES3_mN6thrust23THRUST_200600_302600_NS10device_ptrIiEEPS6_SD_NS0_5tupleIJSC_S6_EEENSE_IJSD_SD_EEES6_PlJNSA_6detail9not_fun_tINSI_10functional5actorINSK_9compositeIJNSK_27transparent_binary_operatorINSA_8equal_toIvEEEENSL_INSK_8argumentILj0EEEEENSK_5valueIiEEEEEEEEEEEE10hipError_tPvRmT3_T4_T5_T6_T7_T9_mT8_P12ihipStream_tbDpT10_ENKUlT_T0_E_clISt17integral_constantIbLb1EES1I_EEDaS1D_S1E_EUlS1D_E_NS1_11comp_targetILNS1_3genE3ELNS1_11target_archE908ELNS1_3gpuE7ELNS1_3repE0EEENS1_30default_config_static_selectorELNS0_4arch9wavefront6targetE0EEEvT1_, .Lfunc_end2856-_ZN7rocprim17ROCPRIM_400000_NS6detail17trampoline_kernelINS0_14default_configENS1_25partition_config_selectorILNS1_17partition_subalgoE6EiNS0_10empty_typeEbEEZZNS1_14partition_implILS5_6ELb0ES3_mN6thrust23THRUST_200600_302600_NS10device_ptrIiEEPS6_SD_NS0_5tupleIJSC_S6_EEENSE_IJSD_SD_EEES6_PlJNSA_6detail9not_fun_tINSI_10functional5actorINSK_9compositeIJNSK_27transparent_binary_operatorINSA_8equal_toIvEEEENSL_INSK_8argumentILj0EEEEENSK_5valueIiEEEEEEEEEEEE10hipError_tPvRmT3_T4_T5_T6_T7_T9_mT8_P12ihipStream_tbDpT10_ENKUlT_T0_E_clISt17integral_constantIbLb1EES1I_EEDaS1D_S1E_EUlS1D_E_NS1_11comp_targetILNS1_3genE3ELNS1_11target_archE908ELNS1_3gpuE7ELNS1_3repE0EEENS1_30default_config_static_selectorELNS0_4arch9wavefront6targetE0EEEvT1_
                                        ; -- End function
	.set _ZN7rocprim17ROCPRIM_400000_NS6detail17trampoline_kernelINS0_14default_configENS1_25partition_config_selectorILNS1_17partition_subalgoE6EiNS0_10empty_typeEbEEZZNS1_14partition_implILS5_6ELb0ES3_mN6thrust23THRUST_200600_302600_NS10device_ptrIiEEPS6_SD_NS0_5tupleIJSC_S6_EEENSE_IJSD_SD_EEES6_PlJNSA_6detail9not_fun_tINSI_10functional5actorINSK_9compositeIJNSK_27transparent_binary_operatorINSA_8equal_toIvEEEENSL_INSK_8argumentILj0EEEEENSK_5valueIiEEEEEEEEEEEE10hipError_tPvRmT3_T4_T5_T6_T7_T9_mT8_P12ihipStream_tbDpT10_ENKUlT_T0_E_clISt17integral_constantIbLb1EES1I_EEDaS1D_S1E_EUlS1D_E_NS1_11comp_targetILNS1_3genE3ELNS1_11target_archE908ELNS1_3gpuE7ELNS1_3repE0EEENS1_30default_config_static_selectorELNS0_4arch9wavefront6targetE0EEEvT1_.num_vgpr, 0
	.set _ZN7rocprim17ROCPRIM_400000_NS6detail17trampoline_kernelINS0_14default_configENS1_25partition_config_selectorILNS1_17partition_subalgoE6EiNS0_10empty_typeEbEEZZNS1_14partition_implILS5_6ELb0ES3_mN6thrust23THRUST_200600_302600_NS10device_ptrIiEEPS6_SD_NS0_5tupleIJSC_S6_EEENSE_IJSD_SD_EEES6_PlJNSA_6detail9not_fun_tINSI_10functional5actorINSK_9compositeIJNSK_27transparent_binary_operatorINSA_8equal_toIvEEEENSL_INSK_8argumentILj0EEEEENSK_5valueIiEEEEEEEEEEEE10hipError_tPvRmT3_T4_T5_T6_T7_T9_mT8_P12ihipStream_tbDpT10_ENKUlT_T0_E_clISt17integral_constantIbLb1EES1I_EEDaS1D_S1E_EUlS1D_E_NS1_11comp_targetILNS1_3genE3ELNS1_11target_archE908ELNS1_3gpuE7ELNS1_3repE0EEENS1_30default_config_static_selectorELNS0_4arch9wavefront6targetE0EEEvT1_.num_agpr, 0
	.set _ZN7rocprim17ROCPRIM_400000_NS6detail17trampoline_kernelINS0_14default_configENS1_25partition_config_selectorILNS1_17partition_subalgoE6EiNS0_10empty_typeEbEEZZNS1_14partition_implILS5_6ELb0ES3_mN6thrust23THRUST_200600_302600_NS10device_ptrIiEEPS6_SD_NS0_5tupleIJSC_S6_EEENSE_IJSD_SD_EEES6_PlJNSA_6detail9not_fun_tINSI_10functional5actorINSK_9compositeIJNSK_27transparent_binary_operatorINSA_8equal_toIvEEEENSL_INSK_8argumentILj0EEEEENSK_5valueIiEEEEEEEEEEEE10hipError_tPvRmT3_T4_T5_T6_T7_T9_mT8_P12ihipStream_tbDpT10_ENKUlT_T0_E_clISt17integral_constantIbLb1EES1I_EEDaS1D_S1E_EUlS1D_E_NS1_11comp_targetILNS1_3genE3ELNS1_11target_archE908ELNS1_3gpuE7ELNS1_3repE0EEENS1_30default_config_static_selectorELNS0_4arch9wavefront6targetE0EEEvT1_.numbered_sgpr, 0
	.set _ZN7rocprim17ROCPRIM_400000_NS6detail17trampoline_kernelINS0_14default_configENS1_25partition_config_selectorILNS1_17partition_subalgoE6EiNS0_10empty_typeEbEEZZNS1_14partition_implILS5_6ELb0ES3_mN6thrust23THRUST_200600_302600_NS10device_ptrIiEEPS6_SD_NS0_5tupleIJSC_S6_EEENSE_IJSD_SD_EEES6_PlJNSA_6detail9not_fun_tINSI_10functional5actorINSK_9compositeIJNSK_27transparent_binary_operatorINSA_8equal_toIvEEEENSL_INSK_8argumentILj0EEEEENSK_5valueIiEEEEEEEEEEEE10hipError_tPvRmT3_T4_T5_T6_T7_T9_mT8_P12ihipStream_tbDpT10_ENKUlT_T0_E_clISt17integral_constantIbLb1EES1I_EEDaS1D_S1E_EUlS1D_E_NS1_11comp_targetILNS1_3genE3ELNS1_11target_archE908ELNS1_3gpuE7ELNS1_3repE0EEENS1_30default_config_static_selectorELNS0_4arch9wavefront6targetE0EEEvT1_.num_named_barrier, 0
	.set _ZN7rocprim17ROCPRIM_400000_NS6detail17trampoline_kernelINS0_14default_configENS1_25partition_config_selectorILNS1_17partition_subalgoE6EiNS0_10empty_typeEbEEZZNS1_14partition_implILS5_6ELb0ES3_mN6thrust23THRUST_200600_302600_NS10device_ptrIiEEPS6_SD_NS0_5tupleIJSC_S6_EEENSE_IJSD_SD_EEES6_PlJNSA_6detail9not_fun_tINSI_10functional5actorINSK_9compositeIJNSK_27transparent_binary_operatorINSA_8equal_toIvEEEENSL_INSK_8argumentILj0EEEEENSK_5valueIiEEEEEEEEEEEE10hipError_tPvRmT3_T4_T5_T6_T7_T9_mT8_P12ihipStream_tbDpT10_ENKUlT_T0_E_clISt17integral_constantIbLb1EES1I_EEDaS1D_S1E_EUlS1D_E_NS1_11comp_targetILNS1_3genE3ELNS1_11target_archE908ELNS1_3gpuE7ELNS1_3repE0EEENS1_30default_config_static_selectorELNS0_4arch9wavefront6targetE0EEEvT1_.private_seg_size, 0
	.set _ZN7rocprim17ROCPRIM_400000_NS6detail17trampoline_kernelINS0_14default_configENS1_25partition_config_selectorILNS1_17partition_subalgoE6EiNS0_10empty_typeEbEEZZNS1_14partition_implILS5_6ELb0ES3_mN6thrust23THRUST_200600_302600_NS10device_ptrIiEEPS6_SD_NS0_5tupleIJSC_S6_EEENSE_IJSD_SD_EEES6_PlJNSA_6detail9not_fun_tINSI_10functional5actorINSK_9compositeIJNSK_27transparent_binary_operatorINSA_8equal_toIvEEEENSL_INSK_8argumentILj0EEEEENSK_5valueIiEEEEEEEEEEEE10hipError_tPvRmT3_T4_T5_T6_T7_T9_mT8_P12ihipStream_tbDpT10_ENKUlT_T0_E_clISt17integral_constantIbLb1EES1I_EEDaS1D_S1E_EUlS1D_E_NS1_11comp_targetILNS1_3genE3ELNS1_11target_archE908ELNS1_3gpuE7ELNS1_3repE0EEENS1_30default_config_static_selectorELNS0_4arch9wavefront6targetE0EEEvT1_.uses_vcc, 0
	.set _ZN7rocprim17ROCPRIM_400000_NS6detail17trampoline_kernelINS0_14default_configENS1_25partition_config_selectorILNS1_17partition_subalgoE6EiNS0_10empty_typeEbEEZZNS1_14partition_implILS5_6ELb0ES3_mN6thrust23THRUST_200600_302600_NS10device_ptrIiEEPS6_SD_NS0_5tupleIJSC_S6_EEENSE_IJSD_SD_EEES6_PlJNSA_6detail9not_fun_tINSI_10functional5actorINSK_9compositeIJNSK_27transparent_binary_operatorINSA_8equal_toIvEEEENSL_INSK_8argumentILj0EEEEENSK_5valueIiEEEEEEEEEEEE10hipError_tPvRmT3_T4_T5_T6_T7_T9_mT8_P12ihipStream_tbDpT10_ENKUlT_T0_E_clISt17integral_constantIbLb1EES1I_EEDaS1D_S1E_EUlS1D_E_NS1_11comp_targetILNS1_3genE3ELNS1_11target_archE908ELNS1_3gpuE7ELNS1_3repE0EEENS1_30default_config_static_selectorELNS0_4arch9wavefront6targetE0EEEvT1_.uses_flat_scratch, 0
	.set _ZN7rocprim17ROCPRIM_400000_NS6detail17trampoline_kernelINS0_14default_configENS1_25partition_config_selectorILNS1_17partition_subalgoE6EiNS0_10empty_typeEbEEZZNS1_14partition_implILS5_6ELb0ES3_mN6thrust23THRUST_200600_302600_NS10device_ptrIiEEPS6_SD_NS0_5tupleIJSC_S6_EEENSE_IJSD_SD_EEES6_PlJNSA_6detail9not_fun_tINSI_10functional5actorINSK_9compositeIJNSK_27transparent_binary_operatorINSA_8equal_toIvEEEENSL_INSK_8argumentILj0EEEEENSK_5valueIiEEEEEEEEEEEE10hipError_tPvRmT3_T4_T5_T6_T7_T9_mT8_P12ihipStream_tbDpT10_ENKUlT_T0_E_clISt17integral_constantIbLb1EES1I_EEDaS1D_S1E_EUlS1D_E_NS1_11comp_targetILNS1_3genE3ELNS1_11target_archE908ELNS1_3gpuE7ELNS1_3repE0EEENS1_30default_config_static_selectorELNS0_4arch9wavefront6targetE0EEEvT1_.has_dyn_sized_stack, 0
	.set _ZN7rocprim17ROCPRIM_400000_NS6detail17trampoline_kernelINS0_14default_configENS1_25partition_config_selectorILNS1_17partition_subalgoE6EiNS0_10empty_typeEbEEZZNS1_14partition_implILS5_6ELb0ES3_mN6thrust23THRUST_200600_302600_NS10device_ptrIiEEPS6_SD_NS0_5tupleIJSC_S6_EEENSE_IJSD_SD_EEES6_PlJNSA_6detail9not_fun_tINSI_10functional5actorINSK_9compositeIJNSK_27transparent_binary_operatorINSA_8equal_toIvEEEENSL_INSK_8argumentILj0EEEEENSK_5valueIiEEEEEEEEEEEE10hipError_tPvRmT3_T4_T5_T6_T7_T9_mT8_P12ihipStream_tbDpT10_ENKUlT_T0_E_clISt17integral_constantIbLb1EES1I_EEDaS1D_S1E_EUlS1D_E_NS1_11comp_targetILNS1_3genE3ELNS1_11target_archE908ELNS1_3gpuE7ELNS1_3repE0EEENS1_30default_config_static_selectorELNS0_4arch9wavefront6targetE0EEEvT1_.has_recursion, 0
	.set _ZN7rocprim17ROCPRIM_400000_NS6detail17trampoline_kernelINS0_14default_configENS1_25partition_config_selectorILNS1_17partition_subalgoE6EiNS0_10empty_typeEbEEZZNS1_14partition_implILS5_6ELb0ES3_mN6thrust23THRUST_200600_302600_NS10device_ptrIiEEPS6_SD_NS0_5tupleIJSC_S6_EEENSE_IJSD_SD_EEES6_PlJNSA_6detail9not_fun_tINSI_10functional5actorINSK_9compositeIJNSK_27transparent_binary_operatorINSA_8equal_toIvEEEENSL_INSK_8argumentILj0EEEEENSK_5valueIiEEEEEEEEEEEE10hipError_tPvRmT3_T4_T5_T6_T7_T9_mT8_P12ihipStream_tbDpT10_ENKUlT_T0_E_clISt17integral_constantIbLb1EES1I_EEDaS1D_S1E_EUlS1D_E_NS1_11comp_targetILNS1_3genE3ELNS1_11target_archE908ELNS1_3gpuE7ELNS1_3repE0EEENS1_30default_config_static_selectorELNS0_4arch9wavefront6targetE0EEEvT1_.has_indirect_call, 0
	.section	.AMDGPU.csdata,"",@progbits
; Kernel info:
; codeLenInByte = 0
; TotalNumSgprs: 0
; NumVgprs: 0
; ScratchSize: 0
; MemoryBound: 0
; FloatMode: 240
; IeeeMode: 1
; LDSByteSize: 0 bytes/workgroup (compile time only)
; SGPRBlocks: 0
; VGPRBlocks: 0
; NumSGPRsForWavesPerEU: 1
; NumVGPRsForWavesPerEU: 1
; Occupancy: 16
; WaveLimiterHint : 0
; COMPUTE_PGM_RSRC2:SCRATCH_EN: 0
; COMPUTE_PGM_RSRC2:USER_SGPR: 2
; COMPUTE_PGM_RSRC2:TRAP_HANDLER: 0
; COMPUTE_PGM_RSRC2:TGID_X_EN: 1
; COMPUTE_PGM_RSRC2:TGID_Y_EN: 0
; COMPUTE_PGM_RSRC2:TGID_Z_EN: 0
; COMPUTE_PGM_RSRC2:TIDIG_COMP_CNT: 0
	.section	.text._ZN7rocprim17ROCPRIM_400000_NS6detail17trampoline_kernelINS0_14default_configENS1_25partition_config_selectorILNS1_17partition_subalgoE6EiNS0_10empty_typeEbEEZZNS1_14partition_implILS5_6ELb0ES3_mN6thrust23THRUST_200600_302600_NS10device_ptrIiEEPS6_SD_NS0_5tupleIJSC_S6_EEENSE_IJSD_SD_EEES6_PlJNSA_6detail9not_fun_tINSI_10functional5actorINSK_9compositeIJNSK_27transparent_binary_operatorINSA_8equal_toIvEEEENSL_INSK_8argumentILj0EEEEENSK_5valueIiEEEEEEEEEEEE10hipError_tPvRmT3_T4_T5_T6_T7_T9_mT8_P12ihipStream_tbDpT10_ENKUlT_T0_E_clISt17integral_constantIbLb1EES1I_EEDaS1D_S1E_EUlS1D_E_NS1_11comp_targetILNS1_3genE2ELNS1_11target_archE906ELNS1_3gpuE6ELNS1_3repE0EEENS1_30default_config_static_selectorELNS0_4arch9wavefront6targetE0EEEvT1_,"axG",@progbits,_ZN7rocprim17ROCPRIM_400000_NS6detail17trampoline_kernelINS0_14default_configENS1_25partition_config_selectorILNS1_17partition_subalgoE6EiNS0_10empty_typeEbEEZZNS1_14partition_implILS5_6ELb0ES3_mN6thrust23THRUST_200600_302600_NS10device_ptrIiEEPS6_SD_NS0_5tupleIJSC_S6_EEENSE_IJSD_SD_EEES6_PlJNSA_6detail9not_fun_tINSI_10functional5actorINSK_9compositeIJNSK_27transparent_binary_operatorINSA_8equal_toIvEEEENSL_INSK_8argumentILj0EEEEENSK_5valueIiEEEEEEEEEEEE10hipError_tPvRmT3_T4_T5_T6_T7_T9_mT8_P12ihipStream_tbDpT10_ENKUlT_T0_E_clISt17integral_constantIbLb1EES1I_EEDaS1D_S1E_EUlS1D_E_NS1_11comp_targetILNS1_3genE2ELNS1_11target_archE906ELNS1_3gpuE6ELNS1_3repE0EEENS1_30default_config_static_selectorELNS0_4arch9wavefront6targetE0EEEvT1_,comdat
	.protected	_ZN7rocprim17ROCPRIM_400000_NS6detail17trampoline_kernelINS0_14default_configENS1_25partition_config_selectorILNS1_17partition_subalgoE6EiNS0_10empty_typeEbEEZZNS1_14partition_implILS5_6ELb0ES3_mN6thrust23THRUST_200600_302600_NS10device_ptrIiEEPS6_SD_NS0_5tupleIJSC_S6_EEENSE_IJSD_SD_EEES6_PlJNSA_6detail9not_fun_tINSI_10functional5actorINSK_9compositeIJNSK_27transparent_binary_operatorINSA_8equal_toIvEEEENSL_INSK_8argumentILj0EEEEENSK_5valueIiEEEEEEEEEEEE10hipError_tPvRmT3_T4_T5_T6_T7_T9_mT8_P12ihipStream_tbDpT10_ENKUlT_T0_E_clISt17integral_constantIbLb1EES1I_EEDaS1D_S1E_EUlS1D_E_NS1_11comp_targetILNS1_3genE2ELNS1_11target_archE906ELNS1_3gpuE6ELNS1_3repE0EEENS1_30default_config_static_selectorELNS0_4arch9wavefront6targetE0EEEvT1_ ; -- Begin function _ZN7rocprim17ROCPRIM_400000_NS6detail17trampoline_kernelINS0_14default_configENS1_25partition_config_selectorILNS1_17partition_subalgoE6EiNS0_10empty_typeEbEEZZNS1_14partition_implILS5_6ELb0ES3_mN6thrust23THRUST_200600_302600_NS10device_ptrIiEEPS6_SD_NS0_5tupleIJSC_S6_EEENSE_IJSD_SD_EEES6_PlJNSA_6detail9not_fun_tINSI_10functional5actorINSK_9compositeIJNSK_27transparent_binary_operatorINSA_8equal_toIvEEEENSL_INSK_8argumentILj0EEEEENSK_5valueIiEEEEEEEEEEEE10hipError_tPvRmT3_T4_T5_T6_T7_T9_mT8_P12ihipStream_tbDpT10_ENKUlT_T0_E_clISt17integral_constantIbLb1EES1I_EEDaS1D_S1E_EUlS1D_E_NS1_11comp_targetILNS1_3genE2ELNS1_11target_archE906ELNS1_3gpuE6ELNS1_3repE0EEENS1_30default_config_static_selectorELNS0_4arch9wavefront6targetE0EEEvT1_
	.globl	_ZN7rocprim17ROCPRIM_400000_NS6detail17trampoline_kernelINS0_14default_configENS1_25partition_config_selectorILNS1_17partition_subalgoE6EiNS0_10empty_typeEbEEZZNS1_14partition_implILS5_6ELb0ES3_mN6thrust23THRUST_200600_302600_NS10device_ptrIiEEPS6_SD_NS0_5tupleIJSC_S6_EEENSE_IJSD_SD_EEES6_PlJNSA_6detail9not_fun_tINSI_10functional5actorINSK_9compositeIJNSK_27transparent_binary_operatorINSA_8equal_toIvEEEENSL_INSK_8argumentILj0EEEEENSK_5valueIiEEEEEEEEEEEE10hipError_tPvRmT3_T4_T5_T6_T7_T9_mT8_P12ihipStream_tbDpT10_ENKUlT_T0_E_clISt17integral_constantIbLb1EES1I_EEDaS1D_S1E_EUlS1D_E_NS1_11comp_targetILNS1_3genE2ELNS1_11target_archE906ELNS1_3gpuE6ELNS1_3repE0EEENS1_30default_config_static_selectorELNS0_4arch9wavefront6targetE0EEEvT1_
	.p2align	8
	.type	_ZN7rocprim17ROCPRIM_400000_NS6detail17trampoline_kernelINS0_14default_configENS1_25partition_config_selectorILNS1_17partition_subalgoE6EiNS0_10empty_typeEbEEZZNS1_14partition_implILS5_6ELb0ES3_mN6thrust23THRUST_200600_302600_NS10device_ptrIiEEPS6_SD_NS0_5tupleIJSC_S6_EEENSE_IJSD_SD_EEES6_PlJNSA_6detail9not_fun_tINSI_10functional5actorINSK_9compositeIJNSK_27transparent_binary_operatorINSA_8equal_toIvEEEENSL_INSK_8argumentILj0EEEEENSK_5valueIiEEEEEEEEEEEE10hipError_tPvRmT3_T4_T5_T6_T7_T9_mT8_P12ihipStream_tbDpT10_ENKUlT_T0_E_clISt17integral_constantIbLb1EES1I_EEDaS1D_S1E_EUlS1D_E_NS1_11comp_targetILNS1_3genE2ELNS1_11target_archE906ELNS1_3gpuE6ELNS1_3repE0EEENS1_30default_config_static_selectorELNS0_4arch9wavefront6targetE0EEEvT1_,@function
_ZN7rocprim17ROCPRIM_400000_NS6detail17trampoline_kernelINS0_14default_configENS1_25partition_config_selectorILNS1_17partition_subalgoE6EiNS0_10empty_typeEbEEZZNS1_14partition_implILS5_6ELb0ES3_mN6thrust23THRUST_200600_302600_NS10device_ptrIiEEPS6_SD_NS0_5tupleIJSC_S6_EEENSE_IJSD_SD_EEES6_PlJNSA_6detail9not_fun_tINSI_10functional5actorINSK_9compositeIJNSK_27transparent_binary_operatorINSA_8equal_toIvEEEENSL_INSK_8argumentILj0EEEEENSK_5valueIiEEEEEEEEEEEE10hipError_tPvRmT3_T4_T5_T6_T7_T9_mT8_P12ihipStream_tbDpT10_ENKUlT_T0_E_clISt17integral_constantIbLb1EES1I_EEDaS1D_S1E_EUlS1D_E_NS1_11comp_targetILNS1_3genE2ELNS1_11target_archE906ELNS1_3gpuE6ELNS1_3repE0EEENS1_30default_config_static_selectorELNS0_4arch9wavefront6targetE0EEEvT1_: ; @_ZN7rocprim17ROCPRIM_400000_NS6detail17trampoline_kernelINS0_14default_configENS1_25partition_config_selectorILNS1_17partition_subalgoE6EiNS0_10empty_typeEbEEZZNS1_14partition_implILS5_6ELb0ES3_mN6thrust23THRUST_200600_302600_NS10device_ptrIiEEPS6_SD_NS0_5tupleIJSC_S6_EEENSE_IJSD_SD_EEES6_PlJNSA_6detail9not_fun_tINSI_10functional5actorINSK_9compositeIJNSK_27transparent_binary_operatorINSA_8equal_toIvEEEENSL_INSK_8argumentILj0EEEEENSK_5valueIiEEEEEEEEEEEE10hipError_tPvRmT3_T4_T5_T6_T7_T9_mT8_P12ihipStream_tbDpT10_ENKUlT_T0_E_clISt17integral_constantIbLb1EES1I_EEDaS1D_S1E_EUlS1D_E_NS1_11comp_targetILNS1_3genE2ELNS1_11target_archE906ELNS1_3gpuE6ELNS1_3repE0EEENS1_30default_config_static_selectorELNS0_4arch9wavefront6targetE0EEEvT1_
; %bb.0:
	.section	.rodata,"a",@progbits
	.p2align	6, 0x0
	.amdhsa_kernel _ZN7rocprim17ROCPRIM_400000_NS6detail17trampoline_kernelINS0_14default_configENS1_25partition_config_selectorILNS1_17partition_subalgoE6EiNS0_10empty_typeEbEEZZNS1_14partition_implILS5_6ELb0ES3_mN6thrust23THRUST_200600_302600_NS10device_ptrIiEEPS6_SD_NS0_5tupleIJSC_S6_EEENSE_IJSD_SD_EEES6_PlJNSA_6detail9not_fun_tINSI_10functional5actorINSK_9compositeIJNSK_27transparent_binary_operatorINSA_8equal_toIvEEEENSL_INSK_8argumentILj0EEEEENSK_5valueIiEEEEEEEEEEEE10hipError_tPvRmT3_T4_T5_T6_T7_T9_mT8_P12ihipStream_tbDpT10_ENKUlT_T0_E_clISt17integral_constantIbLb1EES1I_EEDaS1D_S1E_EUlS1D_E_NS1_11comp_targetILNS1_3genE2ELNS1_11target_archE906ELNS1_3gpuE6ELNS1_3repE0EEENS1_30default_config_static_selectorELNS0_4arch9wavefront6targetE0EEEvT1_
		.amdhsa_group_segment_fixed_size 0
		.amdhsa_private_segment_fixed_size 0
		.amdhsa_kernarg_size 128
		.amdhsa_user_sgpr_count 2
		.amdhsa_user_sgpr_dispatch_ptr 0
		.amdhsa_user_sgpr_queue_ptr 0
		.amdhsa_user_sgpr_kernarg_segment_ptr 1
		.amdhsa_user_sgpr_dispatch_id 0
		.amdhsa_user_sgpr_private_segment_size 0
		.amdhsa_wavefront_size32 1
		.amdhsa_uses_dynamic_stack 0
		.amdhsa_enable_private_segment 0
		.amdhsa_system_sgpr_workgroup_id_x 1
		.amdhsa_system_sgpr_workgroup_id_y 0
		.amdhsa_system_sgpr_workgroup_id_z 0
		.amdhsa_system_sgpr_workgroup_info 0
		.amdhsa_system_vgpr_workitem_id 0
		.amdhsa_next_free_vgpr 1
		.amdhsa_next_free_sgpr 1
		.amdhsa_reserve_vcc 0
		.amdhsa_float_round_mode_32 0
		.amdhsa_float_round_mode_16_64 0
		.amdhsa_float_denorm_mode_32 3
		.amdhsa_float_denorm_mode_16_64 3
		.amdhsa_fp16_overflow 0
		.amdhsa_workgroup_processor_mode 1
		.amdhsa_memory_ordered 1
		.amdhsa_forward_progress 1
		.amdhsa_inst_pref_size 0
		.amdhsa_round_robin_scheduling 0
		.amdhsa_exception_fp_ieee_invalid_op 0
		.amdhsa_exception_fp_denorm_src 0
		.amdhsa_exception_fp_ieee_div_zero 0
		.amdhsa_exception_fp_ieee_overflow 0
		.amdhsa_exception_fp_ieee_underflow 0
		.amdhsa_exception_fp_ieee_inexact 0
		.amdhsa_exception_int_div_zero 0
	.end_amdhsa_kernel
	.section	.text._ZN7rocprim17ROCPRIM_400000_NS6detail17trampoline_kernelINS0_14default_configENS1_25partition_config_selectorILNS1_17partition_subalgoE6EiNS0_10empty_typeEbEEZZNS1_14partition_implILS5_6ELb0ES3_mN6thrust23THRUST_200600_302600_NS10device_ptrIiEEPS6_SD_NS0_5tupleIJSC_S6_EEENSE_IJSD_SD_EEES6_PlJNSA_6detail9not_fun_tINSI_10functional5actorINSK_9compositeIJNSK_27transparent_binary_operatorINSA_8equal_toIvEEEENSL_INSK_8argumentILj0EEEEENSK_5valueIiEEEEEEEEEEEE10hipError_tPvRmT3_T4_T5_T6_T7_T9_mT8_P12ihipStream_tbDpT10_ENKUlT_T0_E_clISt17integral_constantIbLb1EES1I_EEDaS1D_S1E_EUlS1D_E_NS1_11comp_targetILNS1_3genE2ELNS1_11target_archE906ELNS1_3gpuE6ELNS1_3repE0EEENS1_30default_config_static_selectorELNS0_4arch9wavefront6targetE0EEEvT1_,"axG",@progbits,_ZN7rocprim17ROCPRIM_400000_NS6detail17trampoline_kernelINS0_14default_configENS1_25partition_config_selectorILNS1_17partition_subalgoE6EiNS0_10empty_typeEbEEZZNS1_14partition_implILS5_6ELb0ES3_mN6thrust23THRUST_200600_302600_NS10device_ptrIiEEPS6_SD_NS0_5tupleIJSC_S6_EEENSE_IJSD_SD_EEES6_PlJNSA_6detail9not_fun_tINSI_10functional5actorINSK_9compositeIJNSK_27transparent_binary_operatorINSA_8equal_toIvEEEENSL_INSK_8argumentILj0EEEEENSK_5valueIiEEEEEEEEEEEE10hipError_tPvRmT3_T4_T5_T6_T7_T9_mT8_P12ihipStream_tbDpT10_ENKUlT_T0_E_clISt17integral_constantIbLb1EES1I_EEDaS1D_S1E_EUlS1D_E_NS1_11comp_targetILNS1_3genE2ELNS1_11target_archE906ELNS1_3gpuE6ELNS1_3repE0EEENS1_30default_config_static_selectorELNS0_4arch9wavefront6targetE0EEEvT1_,comdat
.Lfunc_end2857:
	.size	_ZN7rocprim17ROCPRIM_400000_NS6detail17trampoline_kernelINS0_14default_configENS1_25partition_config_selectorILNS1_17partition_subalgoE6EiNS0_10empty_typeEbEEZZNS1_14partition_implILS5_6ELb0ES3_mN6thrust23THRUST_200600_302600_NS10device_ptrIiEEPS6_SD_NS0_5tupleIJSC_S6_EEENSE_IJSD_SD_EEES6_PlJNSA_6detail9not_fun_tINSI_10functional5actorINSK_9compositeIJNSK_27transparent_binary_operatorINSA_8equal_toIvEEEENSL_INSK_8argumentILj0EEEEENSK_5valueIiEEEEEEEEEEEE10hipError_tPvRmT3_T4_T5_T6_T7_T9_mT8_P12ihipStream_tbDpT10_ENKUlT_T0_E_clISt17integral_constantIbLb1EES1I_EEDaS1D_S1E_EUlS1D_E_NS1_11comp_targetILNS1_3genE2ELNS1_11target_archE906ELNS1_3gpuE6ELNS1_3repE0EEENS1_30default_config_static_selectorELNS0_4arch9wavefront6targetE0EEEvT1_, .Lfunc_end2857-_ZN7rocprim17ROCPRIM_400000_NS6detail17trampoline_kernelINS0_14default_configENS1_25partition_config_selectorILNS1_17partition_subalgoE6EiNS0_10empty_typeEbEEZZNS1_14partition_implILS5_6ELb0ES3_mN6thrust23THRUST_200600_302600_NS10device_ptrIiEEPS6_SD_NS0_5tupleIJSC_S6_EEENSE_IJSD_SD_EEES6_PlJNSA_6detail9not_fun_tINSI_10functional5actorINSK_9compositeIJNSK_27transparent_binary_operatorINSA_8equal_toIvEEEENSL_INSK_8argumentILj0EEEEENSK_5valueIiEEEEEEEEEEEE10hipError_tPvRmT3_T4_T5_T6_T7_T9_mT8_P12ihipStream_tbDpT10_ENKUlT_T0_E_clISt17integral_constantIbLb1EES1I_EEDaS1D_S1E_EUlS1D_E_NS1_11comp_targetILNS1_3genE2ELNS1_11target_archE906ELNS1_3gpuE6ELNS1_3repE0EEENS1_30default_config_static_selectorELNS0_4arch9wavefront6targetE0EEEvT1_
                                        ; -- End function
	.set _ZN7rocprim17ROCPRIM_400000_NS6detail17trampoline_kernelINS0_14default_configENS1_25partition_config_selectorILNS1_17partition_subalgoE6EiNS0_10empty_typeEbEEZZNS1_14partition_implILS5_6ELb0ES3_mN6thrust23THRUST_200600_302600_NS10device_ptrIiEEPS6_SD_NS0_5tupleIJSC_S6_EEENSE_IJSD_SD_EEES6_PlJNSA_6detail9not_fun_tINSI_10functional5actorINSK_9compositeIJNSK_27transparent_binary_operatorINSA_8equal_toIvEEEENSL_INSK_8argumentILj0EEEEENSK_5valueIiEEEEEEEEEEEE10hipError_tPvRmT3_T4_T5_T6_T7_T9_mT8_P12ihipStream_tbDpT10_ENKUlT_T0_E_clISt17integral_constantIbLb1EES1I_EEDaS1D_S1E_EUlS1D_E_NS1_11comp_targetILNS1_3genE2ELNS1_11target_archE906ELNS1_3gpuE6ELNS1_3repE0EEENS1_30default_config_static_selectorELNS0_4arch9wavefront6targetE0EEEvT1_.num_vgpr, 0
	.set _ZN7rocprim17ROCPRIM_400000_NS6detail17trampoline_kernelINS0_14default_configENS1_25partition_config_selectorILNS1_17partition_subalgoE6EiNS0_10empty_typeEbEEZZNS1_14partition_implILS5_6ELb0ES3_mN6thrust23THRUST_200600_302600_NS10device_ptrIiEEPS6_SD_NS0_5tupleIJSC_S6_EEENSE_IJSD_SD_EEES6_PlJNSA_6detail9not_fun_tINSI_10functional5actorINSK_9compositeIJNSK_27transparent_binary_operatorINSA_8equal_toIvEEEENSL_INSK_8argumentILj0EEEEENSK_5valueIiEEEEEEEEEEEE10hipError_tPvRmT3_T4_T5_T6_T7_T9_mT8_P12ihipStream_tbDpT10_ENKUlT_T0_E_clISt17integral_constantIbLb1EES1I_EEDaS1D_S1E_EUlS1D_E_NS1_11comp_targetILNS1_3genE2ELNS1_11target_archE906ELNS1_3gpuE6ELNS1_3repE0EEENS1_30default_config_static_selectorELNS0_4arch9wavefront6targetE0EEEvT1_.num_agpr, 0
	.set _ZN7rocprim17ROCPRIM_400000_NS6detail17trampoline_kernelINS0_14default_configENS1_25partition_config_selectorILNS1_17partition_subalgoE6EiNS0_10empty_typeEbEEZZNS1_14partition_implILS5_6ELb0ES3_mN6thrust23THRUST_200600_302600_NS10device_ptrIiEEPS6_SD_NS0_5tupleIJSC_S6_EEENSE_IJSD_SD_EEES6_PlJNSA_6detail9not_fun_tINSI_10functional5actorINSK_9compositeIJNSK_27transparent_binary_operatorINSA_8equal_toIvEEEENSL_INSK_8argumentILj0EEEEENSK_5valueIiEEEEEEEEEEEE10hipError_tPvRmT3_T4_T5_T6_T7_T9_mT8_P12ihipStream_tbDpT10_ENKUlT_T0_E_clISt17integral_constantIbLb1EES1I_EEDaS1D_S1E_EUlS1D_E_NS1_11comp_targetILNS1_3genE2ELNS1_11target_archE906ELNS1_3gpuE6ELNS1_3repE0EEENS1_30default_config_static_selectorELNS0_4arch9wavefront6targetE0EEEvT1_.numbered_sgpr, 0
	.set _ZN7rocprim17ROCPRIM_400000_NS6detail17trampoline_kernelINS0_14default_configENS1_25partition_config_selectorILNS1_17partition_subalgoE6EiNS0_10empty_typeEbEEZZNS1_14partition_implILS5_6ELb0ES3_mN6thrust23THRUST_200600_302600_NS10device_ptrIiEEPS6_SD_NS0_5tupleIJSC_S6_EEENSE_IJSD_SD_EEES6_PlJNSA_6detail9not_fun_tINSI_10functional5actorINSK_9compositeIJNSK_27transparent_binary_operatorINSA_8equal_toIvEEEENSL_INSK_8argumentILj0EEEEENSK_5valueIiEEEEEEEEEEEE10hipError_tPvRmT3_T4_T5_T6_T7_T9_mT8_P12ihipStream_tbDpT10_ENKUlT_T0_E_clISt17integral_constantIbLb1EES1I_EEDaS1D_S1E_EUlS1D_E_NS1_11comp_targetILNS1_3genE2ELNS1_11target_archE906ELNS1_3gpuE6ELNS1_3repE0EEENS1_30default_config_static_selectorELNS0_4arch9wavefront6targetE0EEEvT1_.num_named_barrier, 0
	.set _ZN7rocprim17ROCPRIM_400000_NS6detail17trampoline_kernelINS0_14default_configENS1_25partition_config_selectorILNS1_17partition_subalgoE6EiNS0_10empty_typeEbEEZZNS1_14partition_implILS5_6ELb0ES3_mN6thrust23THRUST_200600_302600_NS10device_ptrIiEEPS6_SD_NS0_5tupleIJSC_S6_EEENSE_IJSD_SD_EEES6_PlJNSA_6detail9not_fun_tINSI_10functional5actorINSK_9compositeIJNSK_27transparent_binary_operatorINSA_8equal_toIvEEEENSL_INSK_8argumentILj0EEEEENSK_5valueIiEEEEEEEEEEEE10hipError_tPvRmT3_T4_T5_T6_T7_T9_mT8_P12ihipStream_tbDpT10_ENKUlT_T0_E_clISt17integral_constantIbLb1EES1I_EEDaS1D_S1E_EUlS1D_E_NS1_11comp_targetILNS1_3genE2ELNS1_11target_archE906ELNS1_3gpuE6ELNS1_3repE0EEENS1_30default_config_static_selectorELNS0_4arch9wavefront6targetE0EEEvT1_.private_seg_size, 0
	.set _ZN7rocprim17ROCPRIM_400000_NS6detail17trampoline_kernelINS0_14default_configENS1_25partition_config_selectorILNS1_17partition_subalgoE6EiNS0_10empty_typeEbEEZZNS1_14partition_implILS5_6ELb0ES3_mN6thrust23THRUST_200600_302600_NS10device_ptrIiEEPS6_SD_NS0_5tupleIJSC_S6_EEENSE_IJSD_SD_EEES6_PlJNSA_6detail9not_fun_tINSI_10functional5actorINSK_9compositeIJNSK_27transparent_binary_operatorINSA_8equal_toIvEEEENSL_INSK_8argumentILj0EEEEENSK_5valueIiEEEEEEEEEEEE10hipError_tPvRmT3_T4_T5_T6_T7_T9_mT8_P12ihipStream_tbDpT10_ENKUlT_T0_E_clISt17integral_constantIbLb1EES1I_EEDaS1D_S1E_EUlS1D_E_NS1_11comp_targetILNS1_3genE2ELNS1_11target_archE906ELNS1_3gpuE6ELNS1_3repE0EEENS1_30default_config_static_selectorELNS0_4arch9wavefront6targetE0EEEvT1_.uses_vcc, 0
	.set _ZN7rocprim17ROCPRIM_400000_NS6detail17trampoline_kernelINS0_14default_configENS1_25partition_config_selectorILNS1_17partition_subalgoE6EiNS0_10empty_typeEbEEZZNS1_14partition_implILS5_6ELb0ES3_mN6thrust23THRUST_200600_302600_NS10device_ptrIiEEPS6_SD_NS0_5tupleIJSC_S6_EEENSE_IJSD_SD_EEES6_PlJNSA_6detail9not_fun_tINSI_10functional5actorINSK_9compositeIJNSK_27transparent_binary_operatorINSA_8equal_toIvEEEENSL_INSK_8argumentILj0EEEEENSK_5valueIiEEEEEEEEEEEE10hipError_tPvRmT3_T4_T5_T6_T7_T9_mT8_P12ihipStream_tbDpT10_ENKUlT_T0_E_clISt17integral_constantIbLb1EES1I_EEDaS1D_S1E_EUlS1D_E_NS1_11comp_targetILNS1_3genE2ELNS1_11target_archE906ELNS1_3gpuE6ELNS1_3repE0EEENS1_30default_config_static_selectorELNS0_4arch9wavefront6targetE0EEEvT1_.uses_flat_scratch, 0
	.set _ZN7rocprim17ROCPRIM_400000_NS6detail17trampoline_kernelINS0_14default_configENS1_25partition_config_selectorILNS1_17partition_subalgoE6EiNS0_10empty_typeEbEEZZNS1_14partition_implILS5_6ELb0ES3_mN6thrust23THRUST_200600_302600_NS10device_ptrIiEEPS6_SD_NS0_5tupleIJSC_S6_EEENSE_IJSD_SD_EEES6_PlJNSA_6detail9not_fun_tINSI_10functional5actorINSK_9compositeIJNSK_27transparent_binary_operatorINSA_8equal_toIvEEEENSL_INSK_8argumentILj0EEEEENSK_5valueIiEEEEEEEEEEEE10hipError_tPvRmT3_T4_T5_T6_T7_T9_mT8_P12ihipStream_tbDpT10_ENKUlT_T0_E_clISt17integral_constantIbLb1EES1I_EEDaS1D_S1E_EUlS1D_E_NS1_11comp_targetILNS1_3genE2ELNS1_11target_archE906ELNS1_3gpuE6ELNS1_3repE0EEENS1_30default_config_static_selectorELNS0_4arch9wavefront6targetE0EEEvT1_.has_dyn_sized_stack, 0
	.set _ZN7rocprim17ROCPRIM_400000_NS6detail17trampoline_kernelINS0_14default_configENS1_25partition_config_selectorILNS1_17partition_subalgoE6EiNS0_10empty_typeEbEEZZNS1_14partition_implILS5_6ELb0ES3_mN6thrust23THRUST_200600_302600_NS10device_ptrIiEEPS6_SD_NS0_5tupleIJSC_S6_EEENSE_IJSD_SD_EEES6_PlJNSA_6detail9not_fun_tINSI_10functional5actorINSK_9compositeIJNSK_27transparent_binary_operatorINSA_8equal_toIvEEEENSL_INSK_8argumentILj0EEEEENSK_5valueIiEEEEEEEEEEEE10hipError_tPvRmT3_T4_T5_T6_T7_T9_mT8_P12ihipStream_tbDpT10_ENKUlT_T0_E_clISt17integral_constantIbLb1EES1I_EEDaS1D_S1E_EUlS1D_E_NS1_11comp_targetILNS1_3genE2ELNS1_11target_archE906ELNS1_3gpuE6ELNS1_3repE0EEENS1_30default_config_static_selectorELNS0_4arch9wavefront6targetE0EEEvT1_.has_recursion, 0
	.set _ZN7rocprim17ROCPRIM_400000_NS6detail17trampoline_kernelINS0_14default_configENS1_25partition_config_selectorILNS1_17partition_subalgoE6EiNS0_10empty_typeEbEEZZNS1_14partition_implILS5_6ELb0ES3_mN6thrust23THRUST_200600_302600_NS10device_ptrIiEEPS6_SD_NS0_5tupleIJSC_S6_EEENSE_IJSD_SD_EEES6_PlJNSA_6detail9not_fun_tINSI_10functional5actorINSK_9compositeIJNSK_27transparent_binary_operatorINSA_8equal_toIvEEEENSL_INSK_8argumentILj0EEEEENSK_5valueIiEEEEEEEEEEEE10hipError_tPvRmT3_T4_T5_T6_T7_T9_mT8_P12ihipStream_tbDpT10_ENKUlT_T0_E_clISt17integral_constantIbLb1EES1I_EEDaS1D_S1E_EUlS1D_E_NS1_11comp_targetILNS1_3genE2ELNS1_11target_archE906ELNS1_3gpuE6ELNS1_3repE0EEENS1_30default_config_static_selectorELNS0_4arch9wavefront6targetE0EEEvT1_.has_indirect_call, 0
	.section	.AMDGPU.csdata,"",@progbits
; Kernel info:
; codeLenInByte = 0
; TotalNumSgprs: 0
; NumVgprs: 0
; ScratchSize: 0
; MemoryBound: 0
; FloatMode: 240
; IeeeMode: 1
; LDSByteSize: 0 bytes/workgroup (compile time only)
; SGPRBlocks: 0
; VGPRBlocks: 0
; NumSGPRsForWavesPerEU: 1
; NumVGPRsForWavesPerEU: 1
; Occupancy: 16
; WaveLimiterHint : 0
; COMPUTE_PGM_RSRC2:SCRATCH_EN: 0
; COMPUTE_PGM_RSRC2:USER_SGPR: 2
; COMPUTE_PGM_RSRC2:TRAP_HANDLER: 0
; COMPUTE_PGM_RSRC2:TGID_X_EN: 1
; COMPUTE_PGM_RSRC2:TGID_Y_EN: 0
; COMPUTE_PGM_RSRC2:TGID_Z_EN: 0
; COMPUTE_PGM_RSRC2:TIDIG_COMP_CNT: 0
	.section	.text._ZN7rocprim17ROCPRIM_400000_NS6detail17trampoline_kernelINS0_14default_configENS1_25partition_config_selectorILNS1_17partition_subalgoE6EiNS0_10empty_typeEbEEZZNS1_14partition_implILS5_6ELb0ES3_mN6thrust23THRUST_200600_302600_NS10device_ptrIiEEPS6_SD_NS0_5tupleIJSC_S6_EEENSE_IJSD_SD_EEES6_PlJNSA_6detail9not_fun_tINSI_10functional5actorINSK_9compositeIJNSK_27transparent_binary_operatorINSA_8equal_toIvEEEENSL_INSK_8argumentILj0EEEEENSK_5valueIiEEEEEEEEEEEE10hipError_tPvRmT3_T4_T5_T6_T7_T9_mT8_P12ihipStream_tbDpT10_ENKUlT_T0_E_clISt17integral_constantIbLb1EES1I_EEDaS1D_S1E_EUlS1D_E_NS1_11comp_targetILNS1_3genE10ELNS1_11target_archE1200ELNS1_3gpuE4ELNS1_3repE0EEENS1_30default_config_static_selectorELNS0_4arch9wavefront6targetE0EEEvT1_,"axG",@progbits,_ZN7rocprim17ROCPRIM_400000_NS6detail17trampoline_kernelINS0_14default_configENS1_25partition_config_selectorILNS1_17partition_subalgoE6EiNS0_10empty_typeEbEEZZNS1_14partition_implILS5_6ELb0ES3_mN6thrust23THRUST_200600_302600_NS10device_ptrIiEEPS6_SD_NS0_5tupleIJSC_S6_EEENSE_IJSD_SD_EEES6_PlJNSA_6detail9not_fun_tINSI_10functional5actorINSK_9compositeIJNSK_27transparent_binary_operatorINSA_8equal_toIvEEEENSL_INSK_8argumentILj0EEEEENSK_5valueIiEEEEEEEEEEEE10hipError_tPvRmT3_T4_T5_T6_T7_T9_mT8_P12ihipStream_tbDpT10_ENKUlT_T0_E_clISt17integral_constantIbLb1EES1I_EEDaS1D_S1E_EUlS1D_E_NS1_11comp_targetILNS1_3genE10ELNS1_11target_archE1200ELNS1_3gpuE4ELNS1_3repE0EEENS1_30default_config_static_selectorELNS0_4arch9wavefront6targetE0EEEvT1_,comdat
	.protected	_ZN7rocprim17ROCPRIM_400000_NS6detail17trampoline_kernelINS0_14default_configENS1_25partition_config_selectorILNS1_17partition_subalgoE6EiNS0_10empty_typeEbEEZZNS1_14partition_implILS5_6ELb0ES3_mN6thrust23THRUST_200600_302600_NS10device_ptrIiEEPS6_SD_NS0_5tupleIJSC_S6_EEENSE_IJSD_SD_EEES6_PlJNSA_6detail9not_fun_tINSI_10functional5actorINSK_9compositeIJNSK_27transparent_binary_operatorINSA_8equal_toIvEEEENSL_INSK_8argumentILj0EEEEENSK_5valueIiEEEEEEEEEEEE10hipError_tPvRmT3_T4_T5_T6_T7_T9_mT8_P12ihipStream_tbDpT10_ENKUlT_T0_E_clISt17integral_constantIbLb1EES1I_EEDaS1D_S1E_EUlS1D_E_NS1_11comp_targetILNS1_3genE10ELNS1_11target_archE1200ELNS1_3gpuE4ELNS1_3repE0EEENS1_30default_config_static_selectorELNS0_4arch9wavefront6targetE0EEEvT1_ ; -- Begin function _ZN7rocprim17ROCPRIM_400000_NS6detail17trampoline_kernelINS0_14default_configENS1_25partition_config_selectorILNS1_17partition_subalgoE6EiNS0_10empty_typeEbEEZZNS1_14partition_implILS5_6ELb0ES3_mN6thrust23THRUST_200600_302600_NS10device_ptrIiEEPS6_SD_NS0_5tupleIJSC_S6_EEENSE_IJSD_SD_EEES6_PlJNSA_6detail9not_fun_tINSI_10functional5actorINSK_9compositeIJNSK_27transparent_binary_operatorINSA_8equal_toIvEEEENSL_INSK_8argumentILj0EEEEENSK_5valueIiEEEEEEEEEEEE10hipError_tPvRmT3_T4_T5_T6_T7_T9_mT8_P12ihipStream_tbDpT10_ENKUlT_T0_E_clISt17integral_constantIbLb1EES1I_EEDaS1D_S1E_EUlS1D_E_NS1_11comp_targetILNS1_3genE10ELNS1_11target_archE1200ELNS1_3gpuE4ELNS1_3repE0EEENS1_30default_config_static_selectorELNS0_4arch9wavefront6targetE0EEEvT1_
	.globl	_ZN7rocprim17ROCPRIM_400000_NS6detail17trampoline_kernelINS0_14default_configENS1_25partition_config_selectorILNS1_17partition_subalgoE6EiNS0_10empty_typeEbEEZZNS1_14partition_implILS5_6ELb0ES3_mN6thrust23THRUST_200600_302600_NS10device_ptrIiEEPS6_SD_NS0_5tupleIJSC_S6_EEENSE_IJSD_SD_EEES6_PlJNSA_6detail9not_fun_tINSI_10functional5actorINSK_9compositeIJNSK_27transparent_binary_operatorINSA_8equal_toIvEEEENSL_INSK_8argumentILj0EEEEENSK_5valueIiEEEEEEEEEEEE10hipError_tPvRmT3_T4_T5_T6_T7_T9_mT8_P12ihipStream_tbDpT10_ENKUlT_T0_E_clISt17integral_constantIbLb1EES1I_EEDaS1D_S1E_EUlS1D_E_NS1_11comp_targetILNS1_3genE10ELNS1_11target_archE1200ELNS1_3gpuE4ELNS1_3repE0EEENS1_30default_config_static_selectorELNS0_4arch9wavefront6targetE0EEEvT1_
	.p2align	8
	.type	_ZN7rocprim17ROCPRIM_400000_NS6detail17trampoline_kernelINS0_14default_configENS1_25partition_config_selectorILNS1_17partition_subalgoE6EiNS0_10empty_typeEbEEZZNS1_14partition_implILS5_6ELb0ES3_mN6thrust23THRUST_200600_302600_NS10device_ptrIiEEPS6_SD_NS0_5tupleIJSC_S6_EEENSE_IJSD_SD_EEES6_PlJNSA_6detail9not_fun_tINSI_10functional5actorINSK_9compositeIJNSK_27transparent_binary_operatorINSA_8equal_toIvEEEENSL_INSK_8argumentILj0EEEEENSK_5valueIiEEEEEEEEEEEE10hipError_tPvRmT3_T4_T5_T6_T7_T9_mT8_P12ihipStream_tbDpT10_ENKUlT_T0_E_clISt17integral_constantIbLb1EES1I_EEDaS1D_S1E_EUlS1D_E_NS1_11comp_targetILNS1_3genE10ELNS1_11target_archE1200ELNS1_3gpuE4ELNS1_3repE0EEENS1_30default_config_static_selectorELNS0_4arch9wavefront6targetE0EEEvT1_,@function
_ZN7rocprim17ROCPRIM_400000_NS6detail17trampoline_kernelINS0_14default_configENS1_25partition_config_selectorILNS1_17partition_subalgoE6EiNS0_10empty_typeEbEEZZNS1_14partition_implILS5_6ELb0ES3_mN6thrust23THRUST_200600_302600_NS10device_ptrIiEEPS6_SD_NS0_5tupleIJSC_S6_EEENSE_IJSD_SD_EEES6_PlJNSA_6detail9not_fun_tINSI_10functional5actorINSK_9compositeIJNSK_27transparent_binary_operatorINSA_8equal_toIvEEEENSL_INSK_8argumentILj0EEEEENSK_5valueIiEEEEEEEEEEEE10hipError_tPvRmT3_T4_T5_T6_T7_T9_mT8_P12ihipStream_tbDpT10_ENKUlT_T0_E_clISt17integral_constantIbLb1EES1I_EEDaS1D_S1E_EUlS1D_E_NS1_11comp_targetILNS1_3genE10ELNS1_11target_archE1200ELNS1_3gpuE4ELNS1_3repE0EEENS1_30default_config_static_selectorELNS0_4arch9wavefront6targetE0EEEvT1_: ; @_ZN7rocprim17ROCPRIM_400000_NS6detail17trampoline_kernelINS0_14default_configENS1_25partition_config_selectorILNS1_17partition_subalgoE6EiNS0_10empty_typeEbEEZZNS1_14partition_implILS5_6ELb0ES3_mN6thrust23THRUST_200600_302600_NS10device_ptrIiEEPS6_SD_NS0_5tupleIJSC_S6_EEENSE_IJSD_SD_EEES6_PlJNSA_6detail9not_fun_tINSI_10functional5actorINSK_9compositeIJNSK_27transparent_binary_operatorINSA_8equal_toIvEEEENSL_INSK_8argumentILj0EEEEENSK_5valueIiEEEEEEEEEEEE10hipError_tPvRmT3_T4_T5_T6_T7_T9_mT8_P12ihipStream_tbDpT10_ENKUlT_T0_E_clISt17integral_constantIbLb1EES1I_EEDaS1D_S1E_EUlS1D_E_NS1_11comp_targetILNS1_3genE10ELNS1_11target_archE1200ELNS1_3gpuE4ELNS1_3repE0EEENS1_30default_config_static_selectorELNS0_4arch9wavefront6targetE0EEEvT1_
; %bb.0:
	s_endpgm
	.section	.rodata,"a",@progbits
	.p2align	6, 0x0
	.amdhsa_kernel _ZN7rocprim17ROCPRIM_400000_NS6detail17trampoline_kernelINS0_14default_configENS1_25partition_config_selectorILNS1_17partition_subalgoE6EiNS0_10empty_typeEbEEZZNS1_14partition_implILS5_6ELb0ES3_mN6thrust23THRUST_200600_302600_NS10device_ptrIiEEPS6_SD_NS0_5tupleIJSC_S6_EEENSE_IJSD_SD_EEES6_PlJNSA_6detail9not_fun_tINSI_10functional5actorINSK_9compositeIJNSK_27transparent_binary_operatorINSA_8equal_toIvEEEENSL_INSK_8argumentILj0EEEEENSK_5valueIiEEEEEEEEEEEE10hipError_tPvRmT3_T4_T5_T6_T7_T9_mT8_P12ihipStream_tbDpT10_ENKUlT_T0_E_clISt17integral_constantIbLb1EES1I_EEDaS1D_S1E_EUlS1D_E_NS1_11comp_targetILNS1_3genE10ELNS1_11target_archE1200ELNS1_3gpuE4ELNS1_3repE0EEENS1_30default_config_static_selectorELNS0_4arch9wavefront6targetE0EEEvT1_
		.amdhsa_group_segment_fixed_size 0
		.amdhsa_private_segment_fixed_size 0
		.amdhsa_kernarg_size 128
		.amdhsa_user_sgpr_count 2
		.amdhsa_user_sgpr_dispatch_ptr 0
		.amdhsa_user_sgpr_queue_ptr 0
		.amdhsa_user_sgpr_kernarg_segment_ptr 1
		.amdhsa_user_sgpr_dispatch_id 0
		.amdhsa_user_sgpr_private_segment_size 0
		.amdhsa_wavefront_size32 1
		.amdhsa_uses_dynamic_stack 0
		.amdhsa_enable_private_segment 0
		.amdhsa_system_sgpr_workgroup_id_x 1
		.amdhsa_system_sgpr_workgroup_id_y 0
		.amdhsa_system_sgpr_workgroup_id_z 0
		.amdhsa_system_sgpr_workgroup_info 0
		.amdhsa_system_vgpr_workitem_id 0
		.amdhsa_next_free_vgpr 1
		.amdhsa_next_free_sgpr 1
		.amdhsa_reserve_vcc 0
		.amdhsa_float_round_mode_32 0
		.amdhsa_float_round_mode_16_64 0
		.amdhsa_float_denorm_mode_32 3
		.amdhsa_float_denorm_mode_16_64 3
		.amdhsa_fp16_overflow 0
		.amdhsa_workgroup_processor_mode 1
		.amdhsa_memory_ordered 1
		.amdhsa_forward_progress 1
		.amdhsa_inst_pref_size 1
		.amdhsa_round_robin_scheduling 0
		.amdhsa_exception_fp_ieee_invalid_op 0
		.amdhsa_exception_fp_denorm_src 0
		.amdhsa_exception_fp_ieee_div_zero 0
		.amdhsa_exception_fp_ieee_overflow 0
		.amdhsa_exception_fp_ieee_underflow 0
		.amdhsa_exception_fp_ieee_inexact 0
		.amdhsa_exception_int_div_zero 0
	.end_amdhsa_kernel
	.section	.text._ZN7rocprim17ROCPRIM_400000_NS6detail17trampoline_kernelINS0_14default_configENS1_25partition_config_selectorILNS1_17partition_subalgoE6EiNS0_10empty_typeEbEEZZNS1_14partition_implILS5_6ELb0ES3_mN6thrust23THRUST_200600_302600_NS10device_ptrIiEEPS6_SD_NS0_5tupleIJSC_S6_EEENSE_IJSD_SD_EEES6_PlJNSA_6detail9not_fun_tINSI_10functional5actorINSK_9compositeIJNSK_27transparent_binary_operatorINSA_8equal_toIvEEEENSL_INSK_8argumentILj0EEEEENSK_5valueIiEEEEEEEEEEEE10hipError_tPvRmT3_T4_T5_T6_T7_T9_mT8_P12ihipStream_tbDpT10_ENKUlT_T0_E_clISt17integral_constantIbLb1EES1I_EEDaS1D_S1E_EUlS1D_E_NS1_11comp_targetILNS1_3genE10ELNS1_11target_archE1200ELNS1_3gpuE4ELNS1_3repE0EEENS1_30default_config_static_selectorELNS0_4arch9wavefront6targetE0EEEvT1_,"axG",@progbits,_ZN7rocprim17ROCPRIM_400000_NS6detail17trampoline_kernelINS0_14default_configENS1_25partition_config_selectorILNS1_17partition_subalgoE6EiNS0_10empty_typeEbEEZZNS1_14partition_implILS5_6ELb0ES3_mN6thrust23THRUST_200600_302600_NS10device_ptrIiEEPS6_SD_NS0_5tupleIJSC_S6_EEENSE_IJSD_SD_EEES6_PlJNSA_6detail9not_fun_tINSI_10functional5actorINSK_9compositeIJNSK_27transparent_binary_operatorINSA_8equal_toIvEEEENSL_INSK_8argumentILj0EEEEENSK_5valueIiEEEEEEEEEEEE10hipError_tPvRmT3_T4_T5_T6_T7_T9_mT8_P12ihipStream_tbDpT10_ENKUlT_T0_E_clISt17integral_constantIbLb1EES1I_EEDaS1D_S1E_EUlS1D_E_NS1_11comp_targetILNS1_3genE10ELNS1_11target_archE1200ELNS1_3gpuE4ELNS1_3repE0EEENS1_30default_config_static_selectorELNS0_4arch9wavefront6targetE0EEEvT1_,comdat
.Lfunc_end2858:
	.size	_ZN7rocprim17ROCPRIM_400000_NS6detail17trampoline_kernelINS0_14default_configENS1_25partition_config_selectorILNS1_17partition_subalgoE6EiNS0_10empty_typeEbEEZZNS1_14partition_implILS5_6ELb0ES3_mN6thrust23THRUST_200600_302600_NS10device_ptrIiEEPS6_SD_NS0_5tupleIJSC_S6_EEENSE_IJSD_SD_EEES6_PlJNSA_6detail9not_fun_tINSI_10functional5actorINSK_9compositeIJNSK_27transparent_binary_operatorINSA_8equal_toIvEEEENSL_INSK_8argumentILj0EEEEENSK_5valueIiEEEEEEEEEEEE10hipError_tPvRmT3_T4_T5_T6_T7_T9_mT8_P12ihipStream_tbDpT10_ENKUlT_T0_E_clISt17integral_constantIbLb1EES1I_EEDaS1D_S1E_EUlS1D_E_NS1_11comp_targetILNS1_3genE10ELNS1_11target_archE1200ELNS1_3gpuE4ELNS1_3repE0EEENS1_30default_config_static_selectorELNS0_4arch9wavefront6targetE0EEEvT1_, .Lfunc_end2858-_ZN7rocprim17ROCPRIM_400000_NS6detail17trampoline_kernelINS0_14default_configENS1_25partition_config_selectorILNS1_17partition_subalgoE6EiNS0_10empty_typeEbEEZZNS1_14partition_implILS5_6ELb0ES3_mN6thrust23THRUST_200600_302600_NS10device_ptrIiEEPS6_SD_NS0_5tupleIJSC_S6_EEENSE_IJSD_SD_EEES6_PlJNSA_6detail9not_fun_tINSI_10functional5actorINSK_9compositeIJNSK_27transparent_binary_operatorINSA_8equal_toIvEEEENSL_INSK_8argumentILj0EEEEENSK_5valueIiEEEEEEEEEEEE10hipError_tPvRmT3_T4_T5_T6_T7_T9_mT8_P12ihipStream_tbDpT10_ENKUlT_T0_E_clISt17integral_constantIbLb1EES1I_EEDaS1D_S1E_EUlS1D_E_NS1_11comp_targetILNS1_3genE10ELNS1_11target_archE1200ELNS1_3gpuE4ELNS1_3repE0EEENS1_30default_config_static_selectorELNS0_4arch9wavefront6targetE0EEEvT1_
                                        ; -- End function
	.set _ZN7rocprim17ROCPRIM_400000_NS6detail17trampoline_kernelINS0_14default_configENS1_25partition_config_selectorILNS1_17partition_subalgoE6EiNS0_10empty_typeEbEEZZNS1_14partition_implILS5_6ELb0ES3_mN6thrust23THRUST_200600_302600_NS10device_ptrIiEEPS6_SD_NS0_5tupleIJSC_S6_EEENSE_IJSD_SD_EEES6_PlJNSA_6detail9not_fun_tINSI_10functional5actorINSK_9compositeIJNSK_27transparent_binary_operatorINSA_8equal_toIvEEEENSL_INSK_8argumentILj0EEEEENSK_5valueIiEEEEEEEEEEEE10hipError_tPvRmT3_T4_T5_T6_T7_T9_mT8_P12ihipStream_tbDpT10_ENKUlT_T0_E_clISt17integral_constantIbLb1EES1I_EEDaS1D_S1E_EUlS1D_E_NS1_11comp_targetILNS1_3genE10ELNS1_11target_archE1200ELNS1_3gpuE4ELNS1_3repE0EEENS1_30default_config_static_selectorELNS0_4arch9wavefront6targetE0EEEvT1_.num_vgpr, 0
	.set _ZN7rocprim17ROCPRIM_400000_NS6detail17trampoline_kernelINS0_14default_configENS1_25partition_config_selectorILNS1_17partition_subalgoE6EiNS0_10empty_typeEbEEZZNS1_14partition_implILS5_6ELb0ES3_mN6thrust23THRUST_200600_302600_NS10device_ptrIiEEPS6_SD_NS0_5tupleIJSC_S6_EEENSE_IJSD_SD_EEES6_PlJNSA_6detail9not_fun_tINSI_10functional5actorINSK_9compositeIJNSK_27transparent_binary_operatorINSA_8equal_toIvEEEENSL_INSK_8argumentILj0EEEEENSK_5valueIiEEEEEEEEEEEE10hipError_tPvRmT3_T4_T5_T6_T7_T9_mT8_P12ihipStream_tbDpT10_ENKUlT_T0_E_clISt17integral_constantIbLb1EES1I_EEDaS1D_S1E_EUlS1D_E_NS1_11comp_targetILNS1_3genE10ELNS1_11target_archE1200ELNS1_3gpuE4ELNS1_3repE0EEENS1_30default_config_static_selectorELNS0_4arch9wavefront6targetE0EEEvT1_.num_agpr, 0
	.set _ZN7rocprim17ROCPRIM_400000_NS6detail17trampoline_kernelINS0_14default_configENS1_25partition_config_selectorILNS1_17partition_subalgoE6EiNS0_10empty_typeEbEEZZNS1_14partition_implILS5_6ELb0ES3_mN6thrust23THRUST_200600_302600_NS10device_ptrIiEEPS6_SD_NS0_5tupleIJSC_S6_EEENSE_IJSD_SD_EEES6_PlJNSA_6detail9not_fun_tINSI_10functional5actorINSK_9compositeIJNSK_27transparent_binary_operatorINSA_8equal_toIvEEEENSL_INSK_8argumentILj0EEEEENSK_5valueIiEEEEEEEEEEEE10hipError_tPvRmT3_T4_T5_T6_T7_T9_mT8_P12ihipStream_tbDpT10_ENKUlT_T0_E_clISt17integral_constantIbLb1EES1I_EEDaS1D_S1E_EUlS1D_E_NS1_11comp_targetILNS1_3genE10ELNS1_11target_archE1200ELNS1_3gpuE4ELNS1_3repE0EEENS1_30default_config_static_selectorELNS0_4arch9wavefront6targetE0EEEvT1_.numbered_sgpr, 0
	.set _ZN7rocprim17ROCPRIM_400000_NS6detail17trampoline_kernelINS0_14default_configENS1_25partition_config_selectorILNS1_17partition_subalgoE6EiNS0_10empty_typeEbEEZZNS1_14partition_implILS5_6ELb0ES3_mN6thrust23THRUST_200600_302600_NS10device_ptrIiEEPS6_SD_NS0_5tupleIJSC_S6_EEENSE_IJSD_SD_EEES6_PlJNSA_6detail9not_fun_tINSI_10functional5actorINSK_9compositeIJNSK_27transparent_binary_operatorINSA_8equal_toIvEEEENSL_INSK_8argumentILj0EEEEENSK_5valueIiEEEEEEEEEEEE10hipError_tPvRmT3_T4_T5_T6_T7_T9_mT8_P12ihipStream_tbDpT10_ENKUlT_T0_E_clISt17integral_constantIbLb1EES1I_EEDaS1D_S1E_EUlS1D_E_NS1_11comp_targetILNS1_3genE10ELNS1_11target_archE1200ELNS1_3gpuE4ELNS1_3repE0EEENS1_30default_config_static_selectorELNS0_4arch9wavefront6targetE0EEEvT1_.num_named_barrier, 0
	.set _ZN7rocprim17ROCPRIM_400000_NS6detail17trampoline_kernelINS0_14default_configENS1_25partition_config_selectorILNS1_17partition_subalgoE6EiNS0_10empty_typeEbEEZZNS1_14partition_implILS5_6ELb0ES3_mN6thrust23THRUST_200600_302600_NS10device_ptrIiEEPS6_SD_NS0_5tupleIJSC_S6_EEENSE_IJSD_SD_EEES6_PlJNSA_6detail9not_fun_tINSI_10functional5actorINSK_9compositeIJNSK_27transparent_binary_operatorINSA_8equal_toIvEEEENSL_INSK_8argumentILj0EEEEENSK_5valueIiEEEEEEEEEEEE10hipError_tPvRmT3_T4_T5_T6_T7_T9_mT8_P12ihipStream_tbDpT10_ENKUlT_T0_E_clISt17integral_constantIbLb1EES1I_EEDaS1D_S1E_EUlS1D_E_NS1_11comp_targetILNS1_3genE10ELNS1_11target_archE1200ELNS1_3gpuE4ELNS1_3repE0EEENS1_30default_config_static_selectorELNS0_4arch9wavefront6targetE0EEEvT1_.private_seg_size, 0
	.set _ZN7rocprim17ROCPRIM_400000_NS6detail17trampoline_kernelINS0_14default_configENS1_25partition_config_selectorILNS1_17partition_subalgoE6EiNS0_10empty_typeEbEEZZNS1_14partition_implILS5_6ELb0ES3_mN6thrust23THRUST_200600_302600_NS10device_ptrIiEEPS6_SD_NS0_5tupleIJSC_S6_EEENSE_IJSD_SD_EEES6_PlJNSA_6detail9not_fun_tINSI_10functional5actorINSK_9compositeIJNSK_27transparent_binary_operatorINSA_8equal_toIvEEEENSL_INSK_8argumentILj0EEEEENSK_5valueIiEEEEEEEEEEEE10hipError_tPvRmT3_T4_T5_T6_T7_T9_mT8_P12ihipStream_tbDpT10_ENKUlT_T0_E_clISt17integral_constantIbLb1EES1I_EEDaS1D_S1E_EUlS1D_E_NS1_11comp_targetILNS1_3genE10ELNS1_11target_archE1200ELNS1_3gpuE4ELNS1_3repE0EEENS1_30default_config_static_selectorELNS0_4arch9wavefront6targetE0EEEvT1_.uses_vcc, 0
	.set _ZN7rocprim17ROCPRIM_400000_NS6detail17trampoline_kernelINS0_14default_configENS1_25partition_config_selectorILNS1_17partition_subalgoE6EiNS0_10empty_typeEbEEZZNS1_14partition_implILS5_6ELb0ES3_mN6thrust23THRUST_200600_302600_NS10device_ptrIiEEPS6_SD_NS0_5tupleIJSC_S6_EEENSE_IJSD_SD_EEES6_PlJNSA_6detail9not_fun_tINSI_10functional5actorINSK_9compositeIJNSK_27transparent_binary_operatorINSA_8equal_toIvEEEENSL_INSK_8argumentILj0EEEEENSK_5valueIiEEEEEEEEEEEE10hipError_tPvRmT3_T4_T5_T6_T7_T9_mT8_P12ihipStream_tbDpT10_ENKUlT_T0_E_clISt17integral_constantIbLb1EES1I_EEDaS1D_S1E_EUlS1D_E_NS1_11comp_targetILNS1_3genE10ELNS1_11target_archE1200ELNS1_3gpuE4ELNS1_3repE0EEENS1_30default_config_static_selectorELNS0_4arch9wavefront6targetE0EEEvT1_.uses_flat_scratch, 0
	.set _ZN7rocprim17ROCPRIM_400000_NS6detail17trampoline_kernelINS0_14default_configENS1_25partition_config_selectorILNS1_17partition_subalgoE6EiNS0_10empty_typeEbEEZZNS1_14partition_implILS5_6ELb0ES3_mN6thrust23THRUST_200600_302600_NS10device_ptrIiEEPS6_SD_NS0_5tupleIJSC_S6_EEENSE_IJSD_SD_EEES6_PlJNSA_6detail9not_fun_tINSI_10functional5actorINSK_9compositeIJNSK_27transparent_binary_operatorINSA_8equal_toIvEEEENSL_INSK_8argumentILj0EEEEENSK_5valueIiEEEEEEEEEEEE10hipError_tPvRmT3_T4_T5_T6_T7_T9_mT8_P12ihipStream_tbDpT10_ENKUlT_T0_E_clISt17integral_constantIbLb1EES1I_EEDaS1D_S1E_EUlS1D_E_NS1_11comp_targetILNS1_3genE10ELNS1_11target_archE1200ELNS1_3gpuE4ELNS1_3repE0EEENS1_30default_config_static_selectorELNS0_4arch9wavefront6targetE0EEEvT1_.has_dyn_sized_stack, 0
	.set _ZN7rocprim17ROCPRIM_400000_NS6detail17trampoline_kernelINS0_14default_configENS1_25partition_config_selectorILNS1_17partition_subalgoE6EiNS0_10empty_typeEbEEZZNS1_14partition_implILS5_6ELb0ES3_mN6thrust23THRUST_200600_302600_NS10device_ptrIiEEPS6_SD_NS0_5tupleIJSC_S6_EEENSE_IJSD_SD_EEES6_PlJNSA_6detail9not_fun_tINSI_10functional5actorINSK_9compositeIJNSK_27transparent_binary_operatorINSA_8equal_toIvEEEENSL_INSK_8argumentILj0EEEEENSK_5valueIiEEEEEEEEEEEE10hipError_tPvRmT3_T4_T5_T6_T7_T9_mT8_P12ihipStream_tbDpT10_ENKUlT_T0_E_clISt17integral_constantIbLb1EES1I_EEDaS1D_S1E_EUlS1D_E_NS1_11comp_targetILNS1_3genE10ELNS1_11target_archE1200ELNS1_3gpuE4ELNS1_3repE0EEENS1_30default_config_static_selectorELNS0_4arch9wavefront6targetE0EEEvT1_.has_recursion, 0
	.set _ZN7rocprim17ROCPRIM_400000_NS6detail17trampoline_kernelINS0_14default_configENS1_25partition_config_selectorILNS1_17partition_subalgoE6EiNS0_10empty_typeEbEEZZNS1_14partition_implILS5_6ELb0ES3_mN6thrust23THRUST_200600_302600_NS10device_ptrIiEEPS6_SD_NS0_5tupleIJSC_S6_EEENSE_IJSD_SD_EEES6_PlJNSA_6detail9not_fun_tINSI_10functional5actorINSK_9compositeIJNSK_27transparent_binary_operatorINSA_8equal_toIvEEEENSL_INSK_8argumentILj0EEEEENSK_5valueIiEEEEEEEEEEEE10hipError_tPvRmT3_T4_T5_T6_T7_T9_mT8_P12ihipStream_tbDpT10_ENKUlT_T0_E_clISt17integral_constantIbLb1EES1I_EEDaS1D_S1E_EUlS1D_E_NS1_11comp_targetILNS1_3genE10ELNS1_11target_archE1200ELNS1_3gpuE4ELNS1_3repE0EEENS1_30default_config_static_selectorELNS0_4arch9wavefront6targetE0EEEvT1_.has_indirect_call, 0
	.section	.AMDGPU.csdata,"",@progbits
; Kernel info:
; codeLenInByte = 4
; TotalNumSgprs: 0
; NumVgprs: 0
; ScratchSize: 0
; MemoryBound: 0
; FloatMode: 240
; IeeeMode: 1
; LDSByteSize: 0 bytes/workgroup (compile time only)
; SGPRBlocks: 0
; VGPRBlocks: 0
; NumSGPRsForWavesPerEU: 1
; NumVGPRsForWavesPerEU: 1
; Occupancy: 16
; WaveLimiterHint : 0
; COMPUTE_PGM_RSRC2:SCRATCH_EN: 0
; COMPUTE_PGM_RSRC2:USER_SGPR: 2
; COMPUTE_PGM_RSRC2:TRAP_HANDLER: 0
; COMPUTE_PGM_RSRC2:TGID_X_EN: 1
; COMPUTE_PGM_RSRC2:TGID_Y_EN: 0
; COMPUTE_PGM_RSRC2:TGID_Z_EN: 0
; COMPUTE_PGM_RSRC2:TIDIG_COMP_CNT: 0
	.section	.text._ZN7rocprim17ROCPRIM_400000_NS6detail17trampoline_kernelINS0_14default_configENS1_25partition_config_selectorILNS1_17partition_subalgoE6EiNS0_10empty_typeEbEEZZNS1_14partition_implILS5_6ELb0ES3_mN6thrust23THRUST_200600_302600_NS10device_ptrIiEEPS6_SD_NS0_5tupleIJSC_S6_EEENSE_IJSD_SD_EEES6_PlJNSA_6detail9not_fun_tINSI_10functional5actorINSK_9compositeIJNSK_27transparent_binary_operatorINSA_8equal_toIvEEEENSL_INSK_8argumentILj0EEEEENSK_5valueIiEEEEEEEEEEEE10hipError_tPvRmT3_T4_T5_T6_T7_T9_mT8_P12ihipStream_tbDpT10_ENKUlT_T0_E_clISt17integral_constantIbLb1EES1I_EEDaS1D_S1E_EUlS1D_E_NS1_11comp_targetILNS1_3genE9ELNS1_11target_archE1100ELNS1_3gpuE3ELNS1_3repE0EEENS1_30default_config_static_selectorELNS0_4arch9wavefront6targetE0EEEvT1_,"axG",@progbits,_ZN7rocprim17ROCPRIM_400000_NS6detail17trampoline_kernelINS0_14default_configENS1_25partition_config_selectorILNS1_17partition_subalgoE6EiNS0_10empty_typeEbEEZZNS1_14partition_implILS5_6ELb0ES3_mN6thrust23THRUST_200600_302600_NS10device_ptrIiEEPS6_SD_NS0_5tupleIJSC_S6_EEENSE_IJSD_SD_EEES6_PlJNSA_6detail9not_fun_tINSI_10functional5actorINSK_9compositeIJNSK_27transparent_binary_operatorINSA_8equal_toIvEEEENSL_INSK_8argumentILj0EEEEENSK_5valueIiEEEEEEEEEEEE10hipError_tPvRmT3_T4_T5_T6_T7_T9_mT8_P12ihipStream_tbDpT10_ENKUlT_T0_E_clISt17integral_constantIbLb1EES1I_EEDaS1D_S1E_EUlS1D_E_NS1_11comp_targetILNS1_3genE9ELNS1_11target_archE1100ELNS1_3gpuE3ELNS1_3repE0EEENS1_30default_config_static_selectorELNS0_4arch9wavefront6targetE0EEEvT1_,comdat
	.protected	_ZN7rocprim17ROCPRIM_400000_NS6detail17trampoline_kernelINS0_14default_configENS1_25partition_config_selectorILNS1_17partition_subalgoE6EiNS0_10empty_typeEbEEZZNS1_14partition_implILS5_6ELb0ES3_mN6thrust23THRUST_200600_302600_NS10device_ptrIiEEPS6_SD_NS0_5tupleIJSC_S6_EEENSE_IJSD_SD_EEES6_PlJNSA_6detail9not_fun_tINSI_10functional5actorINSK_9compositeIJNSK_27transparent_binary_operatorINSA_8equal_toIvEEEENSL_INSK_8argumentILj0EEEEENSK_5valueIiEEEEEEEEEEEE10hipError_tPvRmT3_T4_T5_T6_T7_T9_mT8_P12ihipStream_tbDpT10_ENKUlT_T0_E_clISt17integral_constantIbLb1EES1I_EEDaS1D_S1E_EUlS1D_E_NS1_11comp_targetILNS1_3genE9ELNS1_11target_archE1100ELNS1_3gpuE3ELNS1_3repE0EEENS1_30default_config_static_selectorELNS0_4arch9wavefront6targetE0EEEvT1_ ; -- Begin function _ZN7rocprim17ROCPRIM_400000_NS6detail17trampoline_kernelINS0_14default_configENS1_25partition_config_selectorILNS1_17partition_subalgoE6EiNS0_10empty_typeEbEEZZNS1_14partition_implILS5_6ELb0ES3_mN6thrust23THRUST_200600_302600_NS10device_ptrIiEEPS6_SD_NS0_5tupleIJSC_S6_EEENSE_IJSD_SD_EEES6_PlJNSA_6detail9not_fun_tINSI_10functional5actorINSK_9compositeIJNSK_27transparent_binary_operatorINSA_8equal_toIvEEEENSL_INSK_8argumentILj0EEEEENSK_5valueIiEEEEEEEEEEEE10hipError_tPvRmT3_T4_T5_T6_T7_T9_mT8_P12ihipStream_tbDpT10_ENKUlT_T0_E_clISt17integral_constantIbLb1EES1I_EEDaS1D_S1E_EUlS1D_E_NS1_11comp_targetILNS1_3genE9ELNS1_11target_archE1100ELNS1_3gpuE3ELNS1_3repE0EEENS1_30default_config_static_selectorELNS0_4arch9wavefront6targetE0EEEvT1_
	.globl	_ZN7rocprim17ROCPRIM_400000_NS6detail17trampoline_kernelINS0_14default_configENS1_25partition_config_selectorILNS1_17partition_subalgoE6EiNS0_10empty_typeEbEEZZNS1_14partition_implILS5_6ELb0ES3_mN6thrust23THRUST_200600_302600_NS10device_ptrIiEEPS6_SD_NS0_5tupleIJSC_S6_EEENSE_IJSD_SD_EEES6_PlJNSA_6detail9not_fun_tINSI_10functional5actorINSK_9compositeIJNSK_27transparent_binary_operatorINSA_8equal_toIvEEEENSL_INSK_8argumentILj0EEEEENSK_5valueIiEEEEEEEEEEEE10hipError_tPvRmT3_T4_T5_T6_T7_T9_mT8_P12ihipStream_tbDpT10_ENKUlT_T0_E_clISt17integral_constantIbLb1EES1I_EEDaS1D_S1E_EUlS1D_E_NS1_11comp_targetILNS1_3genE9ELNS1_11target_archE1100ELNS1_3gpuE3ELNS1_3repE0EEENS1_30default_config_static_selectorELNS0_4arch9wavefront6targetE0EEEvT1_
	.p2align	8
	.type	_ZN7rocprim17ROCPRIM_400000_NS6detail17trampoline_kernelINS0_14default_configENS1_25partition_config_selectorILNS1_17partition_subalgoE6EiNS0_10empty_typeEbEEZZNS1_14partition_implILS5_6ELb0ES3_mN6thrust23THRUST_200600_302600_NS10device_ptrIiEEPS6_SD_NS0_5tupleIJSC_S6_EEENSE_IJSD_SD_EEES6_PlJNSA_6detail9not_fun_tINSI_10functional5actorINSK_9compositeIJNSK_27transparent_binary_operatorINSA_8equal_toIvEEEENSL_INSK_8argumentILj0EEEEENSK_5valueIiEEEEEEEEEEEE10hipError_tPvRmT3_T4_T5_T6_T7_T9_mT8_P12ihipStream_tbDpT10_ENKUlT_T0_E_clISt17integral_constantIbLb1EES1I_EEDaS1D_S1E_EUlS1D_E_NS1_11comp_targetILNS1_3genE9ELNS1_11target_archE1100ELNS1_3gpuE3ELNS1_3repE0EEENS1_30default_config_static_selectorELNS0_4arch9wavefront6targetE0EEEvT1_,@function
_ZN7rocprim17ROCPRIM_400000_NS6detail17trampoline_kernelINS0_14default_configENS1_25partition_config_selectorILNS1_17partition_subalgoE6EiNS0_10empty_typeEbEEZZNS1_14partition_implILS5_6ELb0ES3_mN6thrust23THRUST_200600_302600_NS10device_ptrIiEEPS6_SD_NS0_5tupleIJSC_S6_EEENSE_IJSD_SD_EEES6_PlJNSA_6detail9not_fun_tINSI_10functional5actorINSK_9compositeIJNSK_27transparent_binary_operatorINSA_8equal_toIvEEEENSL_INSK_8argumentILj0EEEEENSK_5valueIiEEEEEEEEEEEE10hipError_tPvRmT3_T4_T5_T6_T7_T9_mT8_P12ihipStream_tbDpT10_ENKUlT_T0_E_clISt17integral_constantIbLb1EES1I_EEDaS1D_S1E_EUlS1D_E_NS1_11comp_targetILNS1_3genE9ELNS1_11target_archE1100ELNS1_3gpuE3ELNS1_3repE0EEENS1_30default_config_static_selectorELNS0_4arch9wavefront6targetE0EEEvT1_: ; @_ZN7rocprim17ROCPRIM_400000_NS6detail17trampoline_kernelINS0_14default_configENS1_25partition_config_selectorILNS1_17partition_subalgoE6EiNS0_10empty_typeEbEEZZNS1_14partition_implILS5_6ELb0ES3_mN6thrust23THRUST_200600_302600_NS10device_ptrIiEEPS6_SD_NS0_5tupleIJSC_S6_EEENSE_IJSD_SD_EEES6_PlJNSA_6detail9not_fun_tINSI_10functional5actorINSK_9compositeIJNSK_27transparent_binary_operatorINSA_8equal_toIvEEEENSL_INSK_8argumentILj0EEEEENSK_5valueIiEEEEEEEEEEEE10hipError_tPvRmT3_T4_T5_T6_T7_T9_mT8_P12ihipStream_tbDpT10_ENKUlT_T0_E_clISt17integral_constantIbLb1EES1I_EEDaS1D_S1E_EUlS1D_E_NS1_11comp_targetILNS1_3genE9ELNS1_11target_archE1100ELNS1_3gpuE3ELNS1_3repE0EEENS1_30default_config_static_selectorELNS0_4arch9wavefront6targetE0EEEvT1_
; %bb.0:
	.section	.rodata,"a",@progbits
	.p2align	6, 0x0
	.amdhsa_kernel _ZN7rocprim17ROCPRIM_400000_NS6detail17trampoline_kernelINS0_14default_configENS1_25partition_config_selectorILNS1_17partition_subalgoE6EiNS0_10empty_typeEbEEZZNS1_14partition_implILS5_6ELb0ES3_mN6thrust23THRUST_200600_302600_NS10device_ptrIiEEPS6_SD_NS0_5tupleIJSC_S6_EEENSE_IJSD_SD_EEES6_PlJNSA_6detail9not_fun_tINSI_10functional5actorINSK_9compositeIJNSK_27transparent_binary_operatorINSA_8equal_toIvEEEENSL_INSK_8argumentILj0EEEEENSK_5valueIiEEEEEEEEEEEE10hipError_tPvRmT3_T4_T5_T6_T7_T9_mT8_P12ihipStream_tbDpT10_ENKUlT_T0_E_clISt17integral_constantIbLb1EES1I_EEDaS1D_S1E_EUlS1D_E_NS1_11comp_targetILNS1_3genE9ELNS1_11target_archE1100ELNS1_3gpuE3ELNS1_3repE0EEENS1_30default_config_static_selectorELNS0_4arch9wavefront6targetE0EEEvT1_
		.amdhsa_group_segment_fixed_size 0
		.amdhsa_private_segment_fixed_size 0
		.amdhsa_kernarg_size 128
		.amdhsa_user_sgpr_count 2
		.amdhsa_user_sgpr_dispatch_ptr 0
		.amdhsa_user_sgpr_queue_ptr 0
		.amdhsa_user_sgpr_kernarg_segment_ptr 1
		.amdhsa_user_sgpr_dispatch_id 0
		.amdhsa_user_sgpr_private_segment_size 0
		.amdhsa_wavefront_size32 1
		.amdhsa_uses_dynamic_stack 0
		.amdhsa_enable_private_segment 0
		.amdhsa_system_sgpr_workgroup_id_x 1
		.amdhsa_system_sgpr_workgroup_id_y 0
		.amdhsa_system_sgpr_workgroup_id_z 0
		.amdhsa_system_sgpr_workgroup_info 0
		.amdhsa_system_vgpr_workitem_id 0
		.amdhsa_next_free_vgpr 1
		.amdhsa_next_free_sgpr 1
		.amdhsa_reserve_vcc 0
		.amdhsa_float_round_mode_32 0
		.amdhsa_float_round_mode_16_64 0
		.amdhsa_float_denorm_mode_32 3
		.amdhsa_float_denorm_mode_16_64 3
		.amdhsa_fp16_overflow 0
		.amdhsa_workgroup_processor_mode 1
		.amdhsa_memory_ordered 1
		.amdhsa_forward_progress 1
		.amdhsa_inst_pref_size 0
		.amdhsa_round_robin_scheduling 0
		.amdhsa_exception_fp_ieee_invalid_op 0
		.amdhsa_exception_fp_denorm_src 0
		.amdhsa_exception_fp_ieee_div_zero 0
		.amdhsa_exception_fp_ieee_overflow 0
		.amdhsa_exception_fp_ieee_underflow 0
		.amdhsa_exception_fp_ieee_inexact 0
		.amdhsa_exception_int_div_zero 0
	.end_amdhsa_kernel
	.section	.text._ZN7rocprim17ROCPRIM_400000_NS6detail17trampoline_kernelINS0_14default_configENS1_25partition_config_selectorILNS1_17partition_subalgoE6EiNS0_10empty_typeEbEEZZNS1_14partition_implILS5_6ELb0ES3_mN6thrust23THRUST_200600_302600_NS10device_ptrIiEEPS6_SD_NS0_5tupleIJSC_S6_EEENSE_IJSD_SD_EEES6_PlJNSA_6detail9not_fun_tINSI_10functional5actorINSK_9compositeIJNSK_27transparent_binary_operatorINSA_8equal_toIvEEEENSL_INSK_8argumentILj0EEEEENSK_5valueIiEEEEEEEEEEEE10hipError_tPvRmT3_T4_T5_T6_T7_T9_mT8_P12ihipStream_tbDpT10_ENKUlT_T0_E_clISt17integral_constantIbLb1EES1I_EEDaS1D_S1E_EUlS1D_E_NS1_11comp_targetILNS1_3genE9ELNS1_11target_archE1100ELNS1_3gpuE3ELNS1_3repE0EEENS1_30default_config_static_selectorELNS0_4arch9wavefront6targetE0EEEvT1_,"axG",@progbits,_ZN7rocprim17ROCPRIM_400000_NS6detail17trampoline_kernelINS0_14default_configENS1_25partition_config_selectorILNS1_17partition_subalgoE6EiNS0_10empty_typeEbEEZZNS1_14partition_implILS5_6ELb0ES3_mN6thrust23THRUST_200600_302600_NS10device_ptrIiEEPS6_SD_NS0_5tupleIJSC_S6_EEENSE_IJSD_SD_EEES6_PlJNSA_6detail9not_fun_tINSI_10functional5actorINSK_9compositeIJNSK_27transparent_binary_operatorINSA_8equal_toIvEEEENSL_INSK_8argumentILj0EEEEENSK_5valueIiEEEEEEEEEEEE10hipError_tPvRmT3_T4_T5_T6_T7_T9_mT8_P12ihipStream_tbDpT10_ENKUlT_T0_E_clISt17integral_constantIbLb1EES1I_EEDaS1D_S1E_EUlS1D_E_NS1_11comp_targetILNS1_3genE9ELNS1_11target_archE1100ELNS1_3gpuE3ELNS1_3repE0EEENS1_30default_config_static_selectorELNS0_4arch9wavefront6targetE0EEEvT1_,comdat
.Lfunc_end2859:
	.size	_ZN7rocprim17ROCPRIM_400000_NS6detail17trampoline_kernelINS0_14default_configENS1_25partition_config_selectorILNS1_17partition_subalgoE6EiNS0_10empty_typeEbEEZZNS1_14partition_implILS5_6ELb0ES3_mN6thrust23THRUST_200600_302600_NS10device_ptrIiEEPS6_SD_NS0_5tupleIJSC_S6_EEENSE_IJSD_SD_EEES6_PlJNSA_6detail9not_fun_tINSI_10functional5actorINSK_9compositeIJNSK_27transparent_binary_operatorINSA_8equal_toIvEEEENSL_INSK_8argumentILj0EEEEENSK_5valueIiEEEEEEEEEEEE10hipError_tPvRmT3_T4_T5_T6_T7_T9_mT8_P12ihipStream_tbDpT10_ENKUlT_T0_E_clISt17integral_constantIbLb1EES1I_EEDaS1D_S1E_EUlS1D_E_NS1_11comp_targetILNS1_3genE9ELNS1_11target_archE1100ELNS1_3gpuE3ELNS1_3repE0EEENS1_30default_config_static_selectorELNS0_4arch9wavefront6targetE0EEEvT1_, .Lfunc_end2859-_ZN7rocprim17ROCPRIM_400000_NS6detail17trampoline_kernelINS0_14default_configENS1_25partition_config_selectorILNS1_17partition_subalgoE6EiNS0_10empty_typeEbEEZZNS1_14partition_implILS5_6ELb0ES3_mN6thrust23THRUST_200600_302600_NS10device_ptrIiEEPS6_SD_NS0_5tupleIJSC_S6_EEENSE_IJSD_SD_EEES6_PlJNSA_6detail9not_fun_tINSI_10functional5actorINSK_9compositeIJNSK_27transparent_binary_operatorINSA_8equal_toIvEEEENSL_INSK_8argumentILj0EEEEENSK_5valueIiEEEEEEEEEEEE10hipError_tPvRmT3_T4_T5_T6_T7_T9_mT8_P12ihipStream_tbDpT10_ENKUlT_T0_E_clISt17integral_constantIbLb1EES1I_EEDaS1D_S1E_EUlS1D_E_NS1_11comp_targetILNS1_3genE9ELNS1_11target_archE1100ELNS1_3gpuE3ELNS1_3repE0EEENS1_30default_config_static_selectorELNS0_4arch9wavefront6targetE0EEEvT1_
                                        ; -- End function
	.set _ZN7rocprim17ROCPRIM_400000_NS6detail17trampoline_kernelINS0_14default_configENS1_25partition_config_selectorILNS1_17partition_subalgoE6EiNS0_10empty_typeEbEEZZNS1_14partition_implILS5_6ELb0ES3_mN6thrust23THRUST_200600_302600_NS10device_ptrIiEEPS6_SD_NS0_5tupleIJSC_S6_EEENSE_IJSD_SD_EEES6_PlJNSA_6detail9not_fun_tINSI_10functional5actorINSK_9compositeIJNSK_27transparent_binary_operatorINSA_8equal_toIvEEEENSL_INSK_8argumentILj0EEEEENSK_5valueIiEEEEEEEEEEEE10hipError_tPvRmT3_T4_T5_T6_T7_T9_mT8_P12ihipStream_tbDpT10_ENKUlT_T0_E_clISt17integral_constantIbLb1EES1I_EEDaS1D_S1E_EUlS1D_E_NS1_11comp_targetILNS1_3genE9ELNS1_11target_archE1100ELNS1_3gpuE3ELNS1_3repE0EEENS1_30default_config_static_selectorELNS0_4arch9wavefront6targetE0EEEvT1_.num_vgpr, 0
	.set _ZN7rocprim17ROCPRIM_400000_NS6detail17trampoline_kernelINS0_14default_configENS1_25partition_config_selectorILNS1_17partition_subalgoE6EiNS0_10empty_typeEbEEZZNS1_14partition_implILS5_6ELb0ES3_mN6thrust23THRUST_200600_302600_NS10device_ptrIiEEPS6_SD_NS0_5tupleIJSC_S6_EEENSE_IJSD_SD_EEES6_PlJNSA_6detail9not_fun_tINSI_10functional5actorINSK_9compositeIJNSK_27transparent_binary_operatorINSA_8equal_toIvEEEENSL_INSK_8argumentILj0EEEEENSK_5valueIiEEEEEEEEEEEE10hipError_tPvRmT3_T4_T5_T6_T7_T9_mT8_P12ihipStream_tbDpT10_ENKUlT_T0_E_clISt17integral_constantIbLb1EES1I_EEDaS1D_S1E_EUlS1D_E_NS1_11comp_targetILNS1_3genE9ELNS1_11target_archE1100ELNS1_3gpuE3ELNS1_3repE0EEENS1_30default_config_static_selectorELNS0_4arch9wavefront6targetE0EEEvT1_.num_agpr, 0
	.set _ZN7rocprim17ROCPRIM_400000_NS6detail17trampoline_kernelINS0_14default_configENS1_25partition_config_selectorILNS1_17partition_subalgoE6EiNS0_10empty_typeEbEEZZNS1_14partition_implILS5_6ELb0ES3_mN6thrust23THRUST_200600_302600_NS10device_ptrIiEEPS6_SD_NS0_5tupleIJSC_S6_EEENSE_IJSD_SD_EEES6_PlJNSA_6detail9not_fun_tINSI_10functional5actorINSK_9compositeIJNSK_27transparent_binary_operatorINSA_8equal_toIvEEEENSL_INSK_8argumentILj0EEEEENSK_5valueIiEEEEEEEEEEEE10hipError_tPvRmT3_T4_T5_T6_T7_T9_mT8_P12ihipStream_tbDpT10_ENKUlT_T0_E_clISt17integral_constantIbLb1EES1I_EEDaS1D_S1E_EUlS1D_E_NS1_11comp_targetILNS1_3genE9ELNS1_11target_archE1100ELNS1_3gpuE3ELNS1_3repE0EEENS1_30default_config_static_selectorELNS0_4arch9wavefront6targetE0EEEvT1_.numbered_sgpr, 0
	.set _ZN7rocprim17ROCPRIM_400000_NS6detail17trampoline_kernelINS0_14default_configENS1_25partition_config_selectorILNS1_17partition_subalgoE6EiNS0_10empty_typeEbEEZZNS1_14partition_implILS5_6ELb0ES3_mN6thrust23THRUST_200600_302600_NS10device_ptrIiEEPS6_SD_NS0_5tupleIJSC_S6_EEENSE_IJSD_SD_EEES6_PlJNSA_6detail9not_fun_tINSI_10functional5actorINSK_9compositeIJNSK_27transparent_binary_operatorINSA_8equal_toIvEEEENSL_INSK_8argumentILj0EEEEENSK_5valueIiEEEEEEEEEEEE10hipError_tPvRmT3_T4_T5_T6_T7_T9_mT8_P12ihipStream_tbDpT10_ENKUlT_T0_E_clISt17integral_constantIbLb1EES1I_EEDaS1D_S1E_EUlS1D_E_NS1_11comp_targetILNS1_3genE9ELNS1_11target_archE1100ELNS1_3gpuE3ELNS1_3repE0EEENS1_30default_config_static_selectorELNS0_4arch9wavefront6targetE0EEEvT1_.num_named_barrier, 0
	.set _ZN7rocprim17ROCPRIM_400000_NS6detail17trampoline_kernelINS0_14default_configENS1_25partition_config_selectorILNS1_17partition_subalgoE6EiNS0_10empty_typeEbEEZZNS1_14partition_implILS5_6ELb0ES3_mN6thrust23THRUST_200600_302600_NS10device_ptrIiEEPS6_SD_NS0_5tupleIJSC_S6_EEENSE_IJSD_SD_EEES6_PlJNSA_6detail9not_fun_tINSI_10functional5actorINSK_9compositeIJNSK_27transparent_binary_operatorINSA_8equal_toIvEEEENSL_INSK_8argumentILj0EEEEENSK_5valueIiEEEEEEEEEEEE10hipError_tPvRmT3_T4_T5_T6_T7_T9_mT8_P12ihipStream_tbDpT10_ENKUlT_T0_E_clISt17integral_constantIbLb1EES1I_EEDaS1D_S1E_EUlS1D_E_NS1_11comp_targetILNS1_3genE9ELNS1_11target_archE1100ELNS1_3gpuE3ELNS1_3repE0EEENS1_30default_config_static_selectorELNS0_4arch9wavefront6targetE0EEEvT1_.private_seg_size, 0
	.set _ZN7rocprim17ROCPRIM_400000_NS6detail17trampoline_kernelINS0_14default_configENS1_25partition_config_selectorILNS1_17partition_subalgoE6EiNS0_10empty_typeEbEEZZNS1_14partition_implILS5_6ELb0ES3_mN6thrust23THRUST_200600_302600_NS10device_ptrIiEEPS6_SD_NS0_5tupleIJSC_S6_EEENSE_IJSD_SD_EEES6_PlJNSA_6detail9not_fun_tINSI_10functional5actorINSK_9compositeIJNSK_27transparent_binary_operatorINSA_8equal_toIvEEEENSL_INSK_8argumentILj0EEEEENSK_5valueIiEEEEEEEEEEEE10hipError_tPvRmT3_T4_T5_T6_T7_T9_mT8_P12ihipStream_tbDpT10_ENKUlT_T0_E_clISt17integral_constantIbLb1EES1I_EEDaS1D_S1E_EUlS1D_E_NS1_11comp_targetILNS1_3genE9ELNS1_11target_archE1100ELNS1_3gpuE3ELNS1_3repE0EEENS1_30default_config_static_selectorELNS0_4arch9wavefront6targetE0EEEvT1_.uses_vcc, 0
	.set _ZN7rocprim17ROCPRIM_400000_NS6detail17trampoline_kernelINS0_14default_configENS1_25partition_config_selectorILNS1_17partition_subalgoE6EiNS0_10empty_typeEbEEZZNS1_14partition_implILS5_6ELb0ES3_mN6thrust23THRUST_200600_302600_NS10device_ptrIiEEPS6_SD_NS0_5tupleIJSC_S6_EEENSE_IJSD_SD_EEES6_PlJNSA_6detail9not_fun_tINSI_10functional5actorINSK_9compositeIJNSK_27transparent_binary_operatorINSA_8equal_toIvEEEENSL_INSK_8argumentILj0EEEEENSK_5valueIiEEEEEEEEEEEE10hipError_tPvRmT3_T4_T5_T6_T7_T9_mT8_P12ihipStream_tbDpT10_ENKUlT_T0_E_clISt17integral_constantIbLb1EES1I_EEDaS1D_S1E_EUlS1D_E_NS1_11comp_targetILNS1_3genE9ELNS1_11target_archE1100ELNS1_3gpuE3ELNS1_3repE0EEENS1_30default_config_static_selectorELNS0_4arch9wavefront6targetE0EEEvT1_.uses_flat_scratch, 0
	.set _ZN7rocprim17ROCPRIM_400000_NS6detail17trampoline_kernelINS0_14default_configENS1_25partition_config_selectorILNS1_17partition_subalgoE6EiNS0_10empty_typeEbEEZZNS1_14partition_implILS5_6ELb0ES3_mN6thrust23THRUST_200600_302600_NS10device_ptrIiEEPS6_SD_NS0_5tupleIJSC_S6_EEENSE_IJSD_SD_EEES6_PlJNSA_6detail9not_fun_tINSI_10functional5actorINSK_9compositeIJNSK_27transparent_binary_operatorINSA_8equal_toIvEEEENSL_INSK_8argumentILj0EEEEENSK_5valueIiEEEEEEEEEEEE10hipError_tPvRmT3_T4_T5_T6_T7_T9_mT8_P12ihipStream_tbDpT10_ENKUlT_T0_E_clISt17integral_constantIbLb1EES1I_EEDaS1D_S1E_EUlS1D_E_NS1_11comp_targetILNS1_3genE9ELNS1_11target_archE1100ELNS1_3gpuE3ELNS1_3repE0EEENS1_30default_config_static_selectorELNS0_4arch9wavefront6targetE0EEEvT1_.has_dyn_sized_stack, 0
	.set _ZN7rocprim17ROCPRIM_400000_NS6detail17trampoline_kernelINS0_14default_configENS1_25partition_config_selectorILNS1_17partition_subalgoE6EiNS0_10empty_typeEbEEZZNS1_14partition_implILS5_6ELb0ES3_mN6thrust23THRUST_200600_302600_NS10device_ptrIiEEPS6_SD_NS0_5tupleIJSC_S6_EEENSE_IJSD_SD_EEES6_PlJNSA_6detail9not_fun_tINSI_10functional5actorINSK_9compositeIJNSK_27transparent_binary_operatorINSA_8equal_toIvEEEENSL_INSK_8argumentILj0EEEEENSK_5valueIiEEEEEEEEEEEE10hipError_tPvRmT3_T4_T5_T6_T7_T9_mT8_P12ihipStream_tbDpT10_ENKUlT_T0_E_clISt17integral_constantIbLb1EES1I_EEDaS1D_S1E_EUlS1D_E_NS1_11comp_targetILNS1_3genE9ELNS1_11target_archE1100ELNS1_3gpuE3ELNS1_3repE0EEENS1_30default_config_static_selectorELNS0_4arch9wavefront6targetE0EEEvT1_.has_recursion, 0
	.set _ZN7rocprim17ROCPRIM_400000_NS6detail17trampoline_kernelINS0_14default_configENS1_25partition_config_selectorILNS1_17partition_subalgoE6EiNS0_10empty_typeEbEEZZNS1_14partition_implILS5_6ELb0ES3_mN6thrust23THRUST_200600_302600_NS10device_ptrIiEEPS6_SD_NS0_5tupleIJSC_S6_EEENSE_IJSD_SD_EEES6_PlJNSA_6detail9not_fun_tINSI_10functional5actorINSK_9compositeIJNSK_27transparent_binary_operatorINSA_8equal_toIvEEEENSL_INSK_8argumentILj0EEEEENSK_5valueIiEEEEEEEEEEEE10hipError_tPvRmT3_T4_T5_T6_T7_T9_mT8_P12ihipStream_tbDpT10_ENKUlT_T0_E_clISt17integral_constantIbLb1EES1I_EEDaS1D_S1E_EUlS1D_E_NS1_11comp_targetILNS1_3genE9ELNS1_11target_archE1100ELNS1_3gpuE3ELNS1_3repE0EEENS1_30default_config_static_selectorELNS0_4arch9wavefront6targetE0EEEvT1_.has_indirect_call, 0
	.section	.AMDGPU.csdata,"",@progbits
; Kernel info:
; codeLenInByte = 0
; TotalNumSgprs: 0
; NumVgprs: 0
; ScratchSize: 0
; MemoryBound: 0
; FloatMode: 240
; IeeeMode: 1
; LDSByteSize: 0 bytes/workgroup (compile time only)
; SGPRBlocks: 0
; VGPRBlocks: 0
; NumSGPRsForWavesPerEU: 1
; NumVGPRsForWavesPerEU: 1
; Occupancy: 16
; WaveLimiterHint : 0
; COMPUTE_PGM_RSRC2:SCRATCH_EN: 0
; COMPUTE_PGM_RSRC2:USER_SGPR: 2
; COMPUTE_PGM_RSRC2:TRAP_HANDLER: 0
; COMPUTE_PGM_RSRC2:TGID_X_EN: 1
; COMPUTE_PGM_RSRC2:TGID_Y_EN: 0
; COMPUTE_PGM_RSRC2:TGID_Z_EN: 0
; COMPUTE_PGM_RSRC2:TIDIG_COMP_CNT: 0
	.section	.text._ZN7rocprim17ROCPRIM_400000_NS6detail17trampoline_kernelINS0_14default_configENS1_25partition_config_selectorILNS1_17partition_subalgoE6EiNS0_10empty_typeEbEEZZNS1_14partition_implILS5_6ELb0ES3_mN6thrust23THRUST_200600_302600_NS10device_ptrIiEEPS6_SD_NS0_5tupleIJSC_S6_EEENSE_IJSD_SD_EEES6_PlJNSA_6detail9not_fun_tINSI_10functional5actorINSK_9compositeIJNSK_27transparent_binary_operatorINSA_8equal_toIvEEEENSL_INSK_8argumentILj0EEEEENSK_5valueIiEEEEEEEEEEEE10hipError_tPvRmT3_T4_T5_T6_T7_T9_mT8_P12ihipStream_tbDpT10_ENKUlT_T0_E_clISt17integral_constantIbLb1EES1I_EEDaS1D_S1E_EUlS1D_E_NS1_11comp_targetILNS1_3genE8ELNS1_11target_archE1030ELNS1_3gpuE2ELNS1_3repE0EEENS1_30default_config_static_selectorELNS0_4arch9wavefront6targetE0EEEvT1_,"axG",@progbits,_ZN7rocprim17ROCPRIM_400000_NS6detail17trampoline_kernelINS0_14default_configENS1_25partition_config_selectorILNS1_17partition_subalgoE6EiNS0_10empty_typeEbEEZZNS1_14partition_implILS5_6ELb0ES3_mN6thrust23THRUST_200600_302600_NS10device_ptrIiEEPS6_SD_NS0_5tupleIJSC_S6_EEENSE_IJSD_SD_EEES6_PlJNSA_6detail9not_fun_tINSI_10functional5actorINSK_9compositeIJNSK_27transparent_binary_operatorINSA_8equal_toIvEEEENSL_INSK_8argumentILj0EEEEENSK_5valueIiEEEEEEEEEEEE10hipError_tPvRmT3_T4_T5_T6_T7_T9_mT8_P12ihipStream_tbDpT10_ENKUlT_T0_E_clISt17integral_constantIbLb1EES1I_EEDaS1D_S1E_EUlS1D_E_NS1_11comp_targetILNS1_3genE8ELNS1_11target_archE1030ELNS1_3gpuE2ELNS1_3repE0EEENS1_30default_config_static_selectorELNS0_4arch9wavefront6targetE0EEEvT1_,comdat
	.protected	_ZN7rocprim17ROCPRIM_400000_NS6detail17trampoline_kernelINS0_14default_configENS1_25partition_config_selectorILNS1_17partition_subalgoE6EiNS0_10empty_typeEbEEZZNS1_14partition_implILS5_6ELb0ES3_mN6thrust23THRUST_200600_302600_NS10device_ptrIiEEPS6_SD_NS0_5tupleIJSC_S6_EEENSE_IJSD_SD_EEES6_PlJNSA_6detail9not_fun_tINSI_10functional5actorINSK_9compositeIJNSK_27transparent_binary_operatorINSA_8equal_toIvEEEENSL_INSK_8argumentILj0EEEEENSK_5valueIiEEEEEEEEEEEE10hipError_tPvRmT3_T4_T5_T6_T7_T9_mT8_P12ihipStream_tbDpT10_ENKUlT_T0_E_clISt17integral_constantIbLb1EES1I_EEDaS1D_S1E_EUlS1D_E_NS1_11comp_targetILNS1_3genE8ELNS1_11target_archE1030ELNS1_3gpuE2ELNS1_3repE0EEENS1_30default_config_static_selectorELNS0_4arch9wavefront6targetE0EEEvT1_ ; -- Begin function _ZN7rocprim17ROCPRIM_400000_NS6detail17trampoline_kernelINS0_14default_configENS1_25partition_config_selectorILNS1_17partition_subalgoE6EiNS0_10empty_typeEbEEZZNS1_14partition_implILS5_6ELb0ES3_mN6thrust23THRUST_200600_302600_NS10device_ptrIiEEPS6_SD_NS0_5tupleIJSC_S6_EEENSE_IJSD_SD_EEES6_PlJNSA_6detail9not_fun_tINSI_10functional5actorINSK_9compositeIJNSK_27transparent_binary_operatorINSA_8equal_toIvEEEENSL_INSK_8argumentILj0EEEEENSK_5valueIiEEEEEEEEEEEE10hipError_tPvRmT3_T4_T5_T6_T7_T9_mT8_P12ihipStream_tbDpT10_ENKUlT_T0_E_clISt17integral_constantIbLb1EES1I_EEDaS1D_S1E_EUlS1D_E_NS1_11comp_targetILNS1_3genE8ELNS1_11target_archE1030ELNS1_3gpuE2ELNS1_3repE0EEENS1_30default_config_static_selectorELNS0_4arch9wavefront6targetE0EEEvT1_
	.globl	_ZN7rocprim17ROCPRIM_400000_NS6detail17trampoline_kernelINS0_14default_configENS1_25partition_config_selectorILNS1_17partition_subalgoE6EiNS0_10empty_typeEbEEZZNS1_14partition_implILS5_6ELb0ES3_mN6thrust23THRUST_200600_302600_NS10device_ptrIiEEPS6_SD_NS0_5tupleIJSC_S6_EEENSE_IJSD_SD_EEES6_PlJNSA_6detail9not_fun_tINSI_10functional5actorINSK_9compositeIJNSK_27transparent_binary_operatorINSA_8equal_toIvEEEENSL_INSK_8argumentILj0EEEEENSK_5valueIiEEEEEEEEEEEE10hipError_tPvRmT3_T4_T5_T6_T7_T9_mT8_P12ihipStream_tbDpT10_ENKUlT_T0_E_clISt17integral_constantIbLb1EES1I_EEDaS1D_S1E_EUlS1D_E_NS1_11comp_targetILNS1_3genE8ELNS1_11target_archE1030ELNS1_3gpuE2ELNS1_3repE0EEENS1_30default_config_static_selectorELNS0_4arch9wavefront6targetE0EEEvT1_
	.p2align	8
	.type	_ZN7rocprim17ROCPRIM_400000_NS6detail17trampoline_kernelINS0_14default_configENS1_25partition_config_selectorILNS1_17partition_subalgoE6EiNS0_10empty_typeEbEEZZNS1_14partition_implILS5_6ELb0ES3_mN6thrust23THRUST_200600_302600_NS10device_ptrIiEEPS6_SD_NS0_5tupleIJSC_S6_EEENSE_IJSD_SD_EEES6_PlJNSA_6detail9not_fun_tINSI_10functional5actorINSK_9compositeIJNSK_27transparent_binary_operatorINSA_8equal_toIvEEEENSL_INSK_8argumentILj0EEEEENSK_5valueIiEEEEEEEEEEEE10hipError_tPvRmT3_T4_T5_T6_T7_T9_mT8_P12ihipStream_tbDpT10_ENKUlT_T0_E_clISt17integral_constantIbLb1EES1I_EEDaS1D_S1E_EUlS1D_E_NS1_11comp_targetILNS1_3genE8ELNS1_11target_archE1030ELNS1_3gpuE2ELNS1_3repE0EEENS1_30default_config_static_selectorELNS0_4arch9wavefront6targetE0EEEvT1_,@function
_ZN7rocprim17ROCPRIM_400000_NS6detail17trampoline_kernelINS0_14default_configENS1_25partition_config_selectorILNS1_17partition_subalgoE6EiNS0_10empty_typeEbEEZZNS1_14partition_implILS5_6ELb0ES3_mN6thrust23THRUST_200600_302600_NS10device_ptrIiEEPS6_SD_NS0_5tupleIJSC_S6_EEENSE_IJSD_SD_EEES6_PlJNSA_6detail9not_fun_tINSI_10functional5actorINSK_9compositeIJNSK_27transparent_binary_operatorINSA_8equal_toIvEEEENSL_INSK_8argumentILj0EEEEENSK_5valueIiEEEEEEEEEEEE10hipError_tPvRmT3_T4_T5_T6_T7_T9_mT8_P12ihipStream_tbDpT10_ENKUlT_T0_E_clISt17integral_constantIbLb1EES1I_EEDaS1D_S1E_EUlS1D_E_NS1_11comp_targetILNS1_3genE8ELNS1_11target_archE1030ELNS1_3gpuE2ELNS1_3repE0EEENS1_30default_config_static_selectorELNS0_4arch9wavefront6targetE0EEEvT1_: ; @_ZN7rocprim17ROCPRIM_400000_NS6detail17trampoline_kernelINS0_14default_configENS1_25partition_config_selectorILNS1_17partition_subalgoE6EiNS0_10empty_typeEbEEZZNS1_14partition_implILS5_6ELb0ES3_mN6thrust23THRUST_200600_302600_NS10device_ptrIiEEPS6_SD_NS0_5tupleIJSC_S6_EEENSE_IJSD_SD_EEES6_PlJNSA_6detail9not_fun_tINSI_10functional5actorINSK_9compositeIJNSK_27transparent_binary_operatorINSA_8equal_toIvEEEENSL_INSK_8argumentILj0EEEEENSK_5valueIiEEEEEEEEEEEE10hipError_tPvRmT3_T4_T5_T6_T7_T9_mT8_P12ihipStream_tbDpT10_ENKUlT_T0_E_clISt17integral_constantIbLb1EES1I_EEDaS1D_S1E_EUlS1D_E_NS1_11comp_targetILNS1_3genE8ELNS1_11target_archE1030ELNS1_3gpuE2ELNS1_3repE0EEENS1_30default_config_static_selectorELNS0_4arch9wavefront6targetE0EEEvT1_
; %bb.0:
	.section	.rodata,"a",@progbits
	.p2align	6, 0x0
	.amdhsa_kernel _ZN7rocprim17ROCPRIM_400000_NS6detail17trampoline_kernelINS0_14default_configENS1_25partition_config_selectorILNS1_17partition_subalgoE6EiNS0_10empty_typeEbEEZZNS1_14partition_implILS5_6ELb0ES3_mN6thrust23THRUST_200600_302600_NS10device_ptrIiEEPS6_SD_NS0_5tupleIJSC_S6_EEENSE_IJSD_SD_EEES6_PlJNSA_6detail9not_fun_tINSI_10functional5actorINSK_9compositeIJNSK_27transparent_binary_operatorINSA_8equal_toIvEEEENSL_INSK_8argumentILj0EEEEENSK_5valueIiEEEEEEEEEEEE10hipError_tPvRmT3_T4_T5_T6_T7_T9_mT8_P12ihipStream_tbDpT10_ENKUlT_T0_E_clISt17integral_constantIbLb1EES1I_EEDaS1D_S1E_EUlS1D_E_NS1_11comp_targetILNS1_3genE8ELNS1_11target_archE1030ELNS1_3gpuE2ELNS1_3repE0EEENS1_30default_config_static_selectorELNS0_4arch9wavefront6targetE0EEEvT1_
		.amdhsa_group_segment_fixed_size 0
		.amdhsa_private_segment_fixed_size 0
		.amdhsa_kernarg_size 128
		.amdhsa_user_sgpr_count 2
		.amdhsa_user_sgpr_dispatch_ptr 0
		.amdhsa_user_sgpr_queue_ptr 0
		.amdhsa_user_sgpr_kernarg_segment_ptr 1
		.amdhsa_user_sgpr_dispatch_id 0
		.amdhsa_user_sgpr_private_segment_size 0
		.amdhsa_wavefront_size32 1
		.amdhsa_uses_dynamic_stack 0
		.amdhsa_enable_private_segment 0
		.amdhsa_system_sgpr_workgroup_id_x 1
		.amdhsa_system_sgpr_workgroup_id_y 0
		.amdhsa_system_sgpr_workgroup_id_z 0
		.amdhsa_system_sgpr_workgroup_info 0
		.amdhsa_system_vgpr_workitem_id 0
		.amdhsa_next_free_vgpr 1
		.amdhsa_next_free_sgpr 1
		.amdhsa_reserve_vcc 0
		.amdhsa_float_round_mode_32 0
		.amdhsa_float_round_mode_16_64 0
		.amdhsa_float_denorm_mode_32 3
		.amdhsa_float_denorm_mode_16_64 3
		.amdhsa_fp16_overflow 0
		.amdhsa_workgroup_processor_mode 1
		.amdhsa_memory_ordered 1
		.amdhsa_forward_progress 1
		.amdhsa_inst_pref_size 0
		.amdhsa_round_robin_scheduling 0
		.amdhsa_exception_fp_ieee_invalid_op 0
		.amdhsa_exception_fp_denorm_src 0
		.amdhsa_exception_fp_ieee_div_zero 0
		.amdhsa_exception_fp_ieee_overflow 0
		.amdhsa_exception_fp_ieee_underflow 0
		.amdhsa_exception_fp_ieee_inexact 0
		.amdhsa_exception_int_div_zero 0
	.end_amdhsa_kernel
	.section	.text._ZN7rocprim17ROCPRIM_400000_NS6detail17trampoline_kernelINS0_14default_configENS1_25partition_config_selectorILNS1_17partition_subalgoE6EiNS0_10empty_typeEbEEZZNS1_14partition_implILS5_6ELb0ES3_mN6thrust23THRUST_200600_302600_NS10device_ptrIiEEPS6_SD_NS0_5tupleIJSC_S6_EEENSE_IJSD_SD_EEES6_PlJNSA_6detail9not_fun_tINSI_10functional5actorINSK_9compositeIJNSK_27transparent_binary_operatorINSA_8equal_toIvEEEENSL_INSK_8argumentILj0EEEEENSK_5valueIiEEEEEEEEEEEE10hipError_tPvRmT3_T4_T5_T6_T7_T9_mT8_P12ihipStream_tbDpT10_ENKUlT_T0_E_clISt17integral_constantIbLb1EES1I_EEDaS1D_S1E_EUlS1D_E_NS1_11comp_targetILNS1_3genE8ELNS1_11target_archE1030ELNS1_3gpuE2ELNS1_3repE0EEENS1_30default_config_static_selectorELNS0_4arch9wavefront6targetE0EEEvT1_,"axG",@progbits,_ZN7rocprim17ROCPRIM_400000_NS6detail17trampoline_kernelINS0_14default_configENS1_25partition_config_selectorILNS1_17partition_subalgoE6EiNS0_10empty_typeEbEEZZNS1_14partition_implILS5_6ELb0ES3_mN6thrust23THRUST_200600_302600_NS10device_ptrIiEEPS6_SD_NS0_5tupleIJSC_S6_EEENSE_IJSD_SD_EEES6_PlJNSA_6detail9not_fun_tINSI_10functional5actorINSK_9compositeIJNSK_27transparent_binary_operatorINSA_8equal_toIvEEEENSL_INSK_8argumentILj0EEEEENSK_5valueIiEEEEEEEEEEEE10hipError_tPvRmT3_T4_T5_T6_T7_T9_mT8_P12ihipStream_tbDpT10_ENKUlT_T0_E_clISt17integral_constantIbLb1EES1I_EEDaS1D_S1E_EUlS1D_E_NS1_11comp_targetILNS1_3genE8ELNS1_11target_archE1030ELNS1_3gpuE2ELNS1_3repE0EEENS1_30default_config_static_selectorELNS0_4arch9wavefront6targetE0EEEvT1_,comdat
.Lfunc_end2860:
	.size	_ZN7rocprim17ROCPRIM_400000_NS6detail17trampoline_kernelINS0_14default_configENS1_25partition_config_selectorILNS1_17partition_subalgoE6EiNS0_10empty_typeEbEEZZNS1_14partition_implILS5_6ELb0ES3_mN6thrust23THRUST_200600_302600_NS10device_ptrIiEEPS6_SD_NS0_5tupleIJSC_S6_EEENSE_IJSD_SD_EEES6_PlJNSA_6detail9not_fun_tINSI_10functional5actorINSK_9compositeIJNSK_27transparent_binary_operatorINSA_8equal_toIvEEEENSL_INSK_8argumentILj0EEEEENSK_5valueIiEEEEEEEEEEEE10hipError_tPvRmT3_T4_T5_T6_T7_T9_mT8_P12ihipStream_tbDpT10_ENKUlT_T0_E_clISt17integral_constantIbLb1EES1I_EEDaS1D_S1E_EUlS1D_E_NS1_11comp_targetILNS1_3genE8ELNS1_11target_archE1030ELNS1_3gpuE2ELNS1_3repE0EEENS1_30default_config_static_selectorELNS0_4arch9wavefront6targetE0EEEvT1_, .Lfunc_end2860-_ZN7rocprim17ROCPRIM_400000_NS6detail17trampoline_kernelINS0_14default_configENS1_25partition_config_selectorILNS1_17partition_subalgoE6EiNS0_10empty_typeEbEEZZNS1_14partition_implILS5_6ELb0ES3_mN6thrust23THRUST_200600_302600_NS10device_ptrIiEEPS6_SD_NS0_5tupleIJSC_S6_EEENSE_IJSD_SD_EEES6_PlJNSA_6detail9not_fun_tINSI_10functional5actorINSK_9compositeIJNSK_27transparent_binary_operatorINSA_8equal_toIvEEEENSL_INSK_8argumentILj0EEEEENSK_5valueIiEEEEEEEEEEEE10hipError_tPvRmT3_T4_T5_T6_T7_T9_mT8_P12ihipStream_tbDpT10_ENKUlT_T0_E_clISt17integral_constantIbLb1EES1I_EEDaS1D_S1E_EUlS1D_E_NS1_11comp_targetILNS1_3genE8ELNS1_11target_archE1030ELNS1_3gpuE2ELNS1_3repE0EEENS1_30default_config_static_selectorELNS0_4arch9wavefront6targetE0EEEvT1_
                                        ; -- End function
	.set _ZN7rocprim17ROCPRIM_400000_NS6detail17trampoline_kernelINS0_14default_configENS1_25partition_config_selectorILNS1_17partition_subalgoE6EiNS0_10empty_typeEbEEZZNS1_14partition_implILS5_6ELb0ES3_mN6thrust23THRUST_200600_302600_NS10device_ptrIiEEPS6_SD_NS0_5tupleIJSC_S6_EEENSE_IJSD_SD_EEES6_PlJNSA_6detail9not_fun_tINSI_10functional5actorINSK_9compositeIJNSK_27transparent_binary_operatorINSA_8equal_toIvEEEENSL_INSK_8argumentILj0EEEEENSK_5valueIiEEEEEEEEEEEE10hipError_tPvRmT3_T4_T5_T6_T7_T9_mT8_P12ihipStream_tbDpT10_ENKUlT_T0_E_clISt17integral_constantIbLb1EES1I_EEDaS1D_S1E_EUlS1D_E_NS1_11comp_targetILNS1_3genE8ELNS1_11target_archE1030ELNS1_3gpuE2ELNS1_3repE0EEENS1_30default_config_static_selectorELNS0_4arch9wavefront6targetE0EEEvT1_.num_vgpr, 0
	.set _ZN7rocprim17ROCPRIM_400000_NS6detail17trampoline_kernelINS0_14default_configENS1_25partition_config_selectorILNS1_17partition_subalgoE6EiNS0_10empty_typeEbEEZZNS1_14partition_implILS5_6ELb0ES3_mN6thrust23THRUST_200600_302600_NS10device_ptrIiEEPS6_SD_NS0_5tupleIJSC_S6_EEENSE_IJSD_SD_EEES6_PlJNSA_6detail9not_fun_tINSI_10functional5actorINSK_9compositeIJNSK_27transparent_binary_operatorINSA_8equal_toIvEEEENSL_INSK_8argumentILj0EEEEENSK_5valueIiEEEEEEEEEEEE10hipError_tPvRmT3_T4_T5_T6_T7_T9_mT8_P12ihipStream_tbDpT10_ENKUlT_T0_E_clISt17integral_constantIbLb1EES1I_EEDaS1D_S1E_EUlS1D_E_NS1_11comp_targetILNS1_3genE8ELNS1_11target_archE1030ELNS1_3gpuE2ELNS1_3repE0EEENS1_30default_config_static_selectorELNS0_4arch9wavefront6targetE0EEEvT1_.num_agpr, 0
	.set _ZN7rocprim17ROCPRIM_400000_NS6detail17trampoline_kernelINS0_14default_configENS1_25partition_config_selectorILNS1_17partition_subalgoE6EiNS0_10empty_typeEbEEZZNS1_14partition_implILS5_6ELb0ES3_mN6thrust23THRUST_200600_302600_NS10device_ptrIiEEPS6_SD_NS0_5tupleIJSC_S6_EEENSE_IJSD_SD_EEES6_PlJNSA_6detail9not_fun_tINSI_10functional5actorINSK_9compositeIJNSK_27transparent_binary_operatorINSA_8equal_toIvEEEENSL_INSK_8argumentILj0EEEEENSK_5valueIiEEEEEEEEEEEE10hipError_tPvRmT3_T4_T5_T6_T7_T9_mT8_P12ihipStream_tbDpT10_ENKUlT_T0_E_clISt17integral_constantIbLb1EES1I_EEDaS1D_S1E_EUlS1D_E_NS1_11comp_targetILNS1_3genE8ELNS1_11target_archE1030ELNS1_3gpuE2ELNS1_3repE0EEENS1_30default_config_static_selectorELNS0_4arch9wavefront6targetE0EEEvT1_.numbered_sgpr, 0
	.set _ZN7rocprim17ROCPRIM_400000_NS6detail17trampoline_kernelINS0_14default_configENS1_25partition_config_selectorILNS1_17partition_subalgoE6EiNS0_10empty_typeEbEEZZNS1_14partition_implILS5_6ELb0ES3_mN6thrust23THRUST_200600_302600_NS10device_ptrIiEEPS6_SD_NS0_5tupleIJSC_S6_EEENSE_IJSD_SD_EEES6_PlJNSA_6detail9not_fun_tINSI_10functional5actorINSK_9compositeIJNSK_27transparent_binary_operatorINSA_8equal_toIvEEEENSL_INSK_8argumentILj0EEEEENSK_5valueIiEEEEEEEEEEEE10hipError_tPvRmT3_T4_T5_T6_T7_T9_mT8_P12ihipStream_tbDpT10_ENKUlT_T0_E_clISt17integral_constantIbLb1EES1I_EEDaS1D_S1E_EUlS1D_E_NS1_11comp_targetILNS1_3genE8ELNS1_11target_archE1030ELNS1_3gpuE2ELNS1_3repE0EEENS1_30default_config_static_selectorELNS0_4arch9wavefront6targetE0EEEvT1_.num_named_barrier, 0
	.set _ZN7rocprim17ROCPRIM_400000_NS6detail17trampoline_kernelINS0_14default_configENS1_25partition_config_selectorILNS1_17partition_subalgoE6EiNS0_10empty_typeEbEEZZNS1_14partition_implILS5_6ELb0ES3_mN6thrust23THRUST_200600_302600_NS10device_ptrIiEEPS6_SD_NS0_5tupleIJSC_S6_EEENSE_IJSD_SD_EEES6_PlJNSA_6detail9not_fun_tINSI_10functional5actorINSK_9compositeIJNSK_27transparent_binary_operatorINSA_8equal_toIvEEEENSL_INSK_8argumentILj0EEEEENSK_5valueIiEEEEEEEEEEEE10hipError_tPvRmT3_T4_T5_T6_T7_T9_mT8_P12ihipStream_tbDpT10_ENKUlT_T0_E_clISt17integral_constantIbLb1EES1I_EEDaS1D_S1E_EUlS1D_E_NS1_11comp_targetILNS1_3genE8ELNS1_11target_archE1030ELNS1_3gpuE2ELNS1_3repE0EEENS1_30default_config_static_selectorELNS0_4arch9wavefront6targetE0EEEvT1_.private_seg_size, 0
	.set _ZN7rocprim17ROCPRIM_400000_NS6detail17trampoline_kernelINS0_14default_configENS1_25partition_config_selectorILNS1_17partition_subalgoE6EiNS0_10empty_typeEbEEZZNS1_14partition_implILS5_6ELb0ES3_mN6thrust23THRUST_200600_302600_NS10device_ptrIiEEPS6_SD_NS0_5tupleIJSC_S6_EEENSE_IJSD_SD_EEES6_PlJNSA_6detail9not_fun_tINSI_10functional5actorINSK_9compositeIJNSK_27transparent_binary_operatorINSA_8equal_toIvEEEENSL_INSK_8argumentILj0EEEEENSK_5valueIiEEEEEEEEEEEE10hipError_tPvRmT3_T4_T5_T6_T7_T9_mT8_P12ihipStream_tbDpT10_ENKUlT_T0_E_clISt17integral_constantIbLb1EES1I_EEDaS1D_S1E_EUlS1D_E_NS1_11comp_targetILNS1_3genE8ELNS1_11target_archE1030ELNS1_3gpuE2ELNS1_3repE0EEENS1_30default_config_static_selectorELNS0_4arch9wavefront6targetE0EEEvT1_.uses_vcc, 0
	.set _ZN7rocprim17ROCPRIM_400000_NS6detail17trampoline_kernelINS0_14default_configENS1_25partition_config_selectorILNS1_17partition_subalgoE6EiNS0_10empty_typeEbEEZZNS1_14partition_implILS5_6ELb0ES3_mN6thrust23THRUST_200600_302600_NS10device_ptrIiEEPS6_SD_NS0_5tupleIJSC_S6_EEENSE_IJSD_SD_EEES6_PlJNSA_6detail9not_fun_tINSI_10functional5actorINSK_9compositeIJNSK_27transparent_binary_operatorINSA_8equal_toIvEEEENSL_INSK_8argumentILj0EEEEENSK_5valueIiEEEEEEEEEEEE10hipError_tPvRmT3_T4_T5_T6_T7_T9_mT8_P12ihipStream_tbDpT10_ENKUlT_T0_E_clISt17integral_constantIbLb1EES1I_EEDaS1D_S1E_EUlS1D_E_NS1_11comp_targetILNS1_3genE8ELNS1_11target_archE1030ELNS1_3gpuE2ELNS1_3repE0EEENS1_30default_config_static_selectorELNS0_4arch9wavefront6targetE0EEEvT1_.uses_flat_scratch, 0
	.set _ZN7rocprim17ROCPRIM_400000_NS6detail17trampoline_kernelINS0_14default_configENS1_25partition_config_selectorILNS1_17partition_subalgoE6EiNS0_10empty_typeEbEEZZNS1_14partition_implILS5_6ELb0ES3_mN6thrust23THRUST_200600_302600_NS10device_ptrIiEEPS6_SD_NS0_5tupleIJSC_S6_EEENSE_IJSD_SD_EEES6_PlJNSA_6detail9not_fun_tINSI_10functional5actorINSK_9compositeIJNSK_27transparent_binary_operatorINSA_8equal_toIvEEEENSL_INSK_8argumentILj0EEEEENSK_5valueIiEEEEEEEEEEEE10hipError_tPvRmT3_T4_T5_T6_T7_T9_mT8_P12ihipStream_tbDpT10_ENKUlT_T0_E_clISt17integral_constantIbLb1EES1I_EEDaS1D_S1E_EUlS1D_E_NS1_11comp_targetILNS1_3genE8ELNS1_11target_archE1030ELNS1_3gpuE2ELNS1_3repE0EEENS1_30default_config_static_selectorELNS0_4arch9wavefront6targetE0EEEvT1_.has_dyn_sized_stack, 0
	.set _ZN7rocprim17ROCPRIM_400000_NS6detail17trampoline_kernelINS0_14default_configENS1_25partition_config_selectorILNS1_17partition_subalgoE6EiNS0_10empty_typeEbEEZZNS1_14partition_implILS5_6ELb0ES3_mN6thrust23THRUST_200600_302600_NS10device_ptrIiEEPS6_SD_NS0_5tupleIJSC_S6_EEENSE_IJSD_SD_EEES6_PlJNSA_6detail9not_fun_tINSI_10functional5actorINSK_9compositeIJNSK_27transparent_binary_operatorINSA_8equal_toIvEEEENSL_INSK_8argumentILj0EEEEENSK_5valueIiEEEEEEEEEEEE10hipError_tPvRmT3_T4_T5_T6_T7_T9_mT8_P12ihipStream_tbDpT10_ENKUlT_T0_E_clISt17integral_constantIbLb1EES1I_EEDaS1D_S1E_EUlS1D_E_NS1_11comp_targetILNS1_3genE8ELNS1_11target_archE1030ELNS1_3gpuE2ELNS1_3repE0EEENS1_30default_config_static_selectorELNS0_4arch9wavefront6targetE0EEEvT1_.has_recursion, 0
	.set _ZN7rocprim17ROCPRIM_400000_NS6detail17trampoline_kernelINS0_14default_configENS1_25partition_config_selectorILNS1_17partition_subalgoE6EiNS0_10empty_typeEbEEZZNS1_14partition_implILS5_6ELb0ES3_mN6thrust23THRUST_200600_302600_NS10device_ptrIiEEPS6_SD_NS0_5tupleIJSC_S6_EEENSE_IJSD_SD_EEES6_PlJNSA_6detail9not_fun_tINSI_10functional5actorINSK_9compositeIJNSK_27transparent_binary_operatorINSA_8equal_toIvEEEENSL_INSK_8argumentILj0EEEEENSK_5valueIiEEEEEEEEEEEE10hipError_tPvRmT3_T4_T5_T6_T7_T9_mT8_P12ihipStream_tbDpT10_ENKUlT_T0_E_clISt17integral_constantIbLb1EES1I_EEDaS1D_S1E_EUlS1D_E_NS1_11comp_targetILNS1_3genE8ELNS1_11target_archE1030ELNS1_3gpuE2ELNS1_3repE0EEENS1_30default_config_static_selectorELNS0_4arch9wavefront6targetE0EEEvT1_.has_indirect_call, 0
	.section	.AMDGPU.csdata,"",@progbits
; Kernel info:
; codeLenInByte = 0
; TotalNumSgprs: 0
; NumVgprs: 0
; ScratchSize: 0
; MemoryBound: 0
; FloatMode: 240
; IeeeMode: 1
; LDSByteSize: 0 bytes/workgroup (compile time only)
; SGPRBlocks: 0
; VGPRBlocks: 0
; NumSGPRsForWavesPerEU: 1
; NumVGPRsForWavesPerEU: 1
; Occupancy: 16
; WaveLimiterHint : 0
; COMPUTE_PGM_RSRC2:SCRATCH_EN: 0
; COMPUTE_PGM_RSRC2:USER_SGPR: 2
; COMPUTE_PGM_RSRC2:TRAP_HANDLER: 0
; COMPUTE_PGM_RSRC2:TGID_X_EN: 1
; COMPUTE_PGM_RSRC2:TGID_Y_EN: 0
; COMPUTE_PGM_RSRC2:TGID_Z_EN: 0
; COMPUTE_PGM_RSRC2:TIDIG_COMP_CNT: 0
	.section	.text._ZN7rocprim17ROCPRIM_400000_NS6detail17trampoline_kernelINS0_14default_configENS1_25partition_config_selectorILNS1_17partition_subalgoE6EiNS0_10empty_typeEbEEZZNS1_14partition_implILS5_6ELb0ES3_mN6thrust23THRUST_200600_302600_NS10device_ptrIiEEPS6_SD_NS0_5tupleIJSC_S6_EEENSE_IJSD_SD_EEES6_PlJNSA_6detail9not_fun_tINSI_10functional5actorINSK_9compositeIJNSK_27transparent_binary_operatorINSA_8equal_toIvEEEENSL_INSK_8argumentILj0EEEEENSK_5valueIiEEEEEEEEEEEE10hipError_tPvRmT3_T4_T5_T6_T7_T9_mT8_P12ihipStream_tbDpT10_ENKUlT_T0_E_clISt17integral_constantIbLb1EES1H_IbLb0EEEEDaS1D_S1E_EUlS1D_E_NS1_11comp_targetILNS1_3genE0ELNS1_11target_archE4294967295ELNS1_3gpuE0ELNS1_3repE0EEENS1_30default_config_static_selectorELNS0_4arch9wavefront6targetE0EEEvT1_,"axG",@progbits,_ZN7rocprim17ROCPRIM_400000_NS6detail17trampoline_kernelINS0_14default_configENS1_25partition_config_selectorILNS1_17partition_subalgoE6EiNS0_10empty_typeEbEEZZNS1_14partition_implILS5_6ELb0ES3_mN6thrust23THRUST_200600_302600_NS10device_ptrIiEEPS6_SD_NS0_5tupleIJSC_S6_EEENSE_IJSD_SD_EEES6_PlJNSA_6detail9not_fun_tINSI_10functional5actorINSK_9compositeIJNSK_27transparent_binary_operatorINSA_8equal_toIvEEEENSL_INSK_8argumentILj0EEEEENSK_5valueIiEEEEEEEEEEEE10hipError_tPvRmT3_T4_T5_T6_T7_T9_mT8_P12ihipStream_tbDpT10_ENKUlT_T0_E_clISt17integral_constantIbLb1EES1H_IbLb0EEEEDaS1D_S1E_EUlS1D_E_NS1_11comp_targetILNS1_3genE0ELNS1_11target_archE4294967295ELNS1_3gpuE0ELNS1_3repE0EEENS1_30default_config_static_selectorELNS0_4arch9wavefront6targetE0EEEvT1_,comdat
	.protected	_ZN7rocprim17ROCPRIM_400000_NS6detail17trampoline_kernelINS0_14default_configENS1_25partition_config_selectorILNS1_17partition_subalgoE6EiNS0_10empty_typeEbEEZZNS1_14partition_implILS5_6ELb0ES3_mN6thrust23THRUST_200600_302600_NS10device_ptrIiEEPS6_SD_NS0_5tupleIJSC_S6_EEENSE_IJSD_SD_EEES6_PlJNSA_6detail9not_fun_tINSI_10functional5actorINSK_9compositeIJNSK_27transparent_binary_operatorINSA_8equal_toIvEEEENSL_INSK_8argumentILj0EEEEENSK_5valueIiEEEEEEEEEEEE10hipError_tPvRmT3_T4_T5_T6_T7_T9_mT8_P12ihipStream_tbDpT10_ENKUlT_T0_E_clISt17integral_constantIbLb1EES1H_IbLb0EEEEDaS1D_S1E_EUlS1D_E_NS1_11comp_targetILNS1_3genE0ELNS1_11target_archE4294967295ELNS1_3gpuE0ELNS1_3repE0EEENS1_30default_config_static_selectorELNS0_4arch9wavefront6targetE0EEEvT1_ ; -- Begin function _ZN7rocprim17ROCPRIM_400000_NS6detail17trampoline_kernelINS0_14default_configENS1_25partition_config_selectorILNS1_17partition_subalgoE6EiNS0_10empty_typeEbEEZZNS1_14partition_implILS5_6ELb0ES3_mN6thrust23THRUST_200600_302600_NS10device_ptrIiEEPS6_SD_NS0_5tupleIJSC_S6_EEENSE_IJSD_SD_EEES6_PlJNSA_6detail9not_fun_tINSI_10functional5actorINSK_9compositeIJNSK_27transparent_binary_operatorINSA_8equal_toIvEEEENSL_INSK_8argumentILj0EEEEENSK_5valueIiEEEEEEEEEEEE10hipError_tPvRmT3_T4_T5_T6_T7_T9_mT8_P12ihipStream_tbDpT10_ENKUlT_T0_E_clISt17integral_constantIbLb1EES1H_IbLb0EEEEDaS1D_S1E_EUlS1D_E_NS1_11comp_targetILNS1_3genE0ELNS1_11target_archE4294967295ELNS1_3gpuE0ELNS1_3repE0EEENS1_30default_config_static_selectorELNS0_4arch9wavefront6targetE0EEEvT1_
	.globl	_ZN7rocprim17ROCPRIM_400000_NS6detail17trampoline_kernelINS0_14default_configENS1_25partition_config_selectorILNS1_17partition_subalgoE6EiNS0_10empty_typeEbEEZZNS1_14partition_implILS5_6ELb0ES3_mN6thrust23THRUST_200600_302600_NS10device_ptrIiEEPS6_SD_NS0_5tupleIJSC_S6_EEENSE_IJSD_SD_EEES6_PlJNSA_6detail9not_fun_tINSI_10functional5actorINSK_9compositeIJNSK_27transparent_binary_operatorINSA_8equal_toIvEEEENSL_INSK_8argumentILj0EEEEENSK_5valueIiEEEEEEEEEEEE10hipError_tPvRmT3_T4_T5_T6_T7_T9_mT8_P12ihipStream_tbDpT10_ENKUlT_T0_E_clISt17integral_constantIbLb1EES1H_IbLb0EEEEDaS1D_S1E_EUlS1D_E_NS1_11comp_targetILNS1_3genE0ELNS1_11target_archE4294967295ELNS1_3gpuE0ELNS1_3repE0EEENS1_30default_config_static_selectorELNS0_4arch9wavefront6targetE0EEEvT1_
	.p2align	8
	.type	_ZN7rocprim17ROCPRIM_400000_NS6detail17trampoline_kernelINS0_14default_configENS1_25partition_config_selectorILNS1_17partition_subalgoE6EiNS0_10empty_typeEbEEZZNS1_14partition_implILS5_6ELb0ES3_mN6thrust23THRUST_200600_302600_NS10device_ptrIiEEPS6_SD_NS0_5tupleIJSC_S6_EEENSE_IJSD_SD_EEES6_PlJNSA_6detail9not_fun_tINSI_10functional5actorINSK_9compositeIJNSK_27transparent_binary_operatorINSA_8equal_toIvEEEENSL_INSK_8argumentILj0EEEEENSK_5valueIiEEEEEEEEEEEE10hipError_tPvRmT3_T4_T5_T6_T7_T9_mT8_P12ihipStream_tbDpT10_ENKUlT_T0_E_clISt17integral_constantIbLb1EES1H_IbLb0EEEEDaS1D_S1E_EUlS1D_E_NS1_11comp_targetILNS1_3genE0ELNS1_11target_archE4294967295ELNS1_3gpuE0ELNS1_3repE0EEENS1_30default_config_static_selectorELNS0_4arch9wavefront6targetE0EEEvT1_,@function
_ZN7rocprim17ROCPRIM_400000_NS6detail17trampoline_kernelINS0_14default_configENS1_25partition_config_selectorILNS1_17partition_subalgoE6EiNS0_10empty_typeEbEEZZNS1_14partition_implILS5_6ELb0ES3_mN6thrust23THRUST_200600_302600_NS10device_ptrIiEEPS6_SD_NS0_5tupleIJSC_S6_EEENSE_IJSD_SD_EEES6_PlJNSA_6detail9not_fun_tINSI_10functional5actorINSK_9compositeIJNSK_27transparent_binary_operatorINSA_8equal_toIvEEEENSL_INSK_8argumentILj0EEEEENSK_5valueIiEEEEEEEEEEEE10hipError_tPvRmT3_T4_T5_T6_T7_T9_mT8_P12ihipStream_tbDpT10_ENKUlT_T0_E_clISt17integral_constantIbLb1EES1H_IbLb0EEEEDaS1D_S1E_EUlS1D_E_NS1_11comp_targetILNS1_3genE0ELNS1_11target_archE4294967295ELNS1_3gpuE0ELNS1_3repE0EEENS1_30default_config_static_selectorELNS0_4arch9wavefront6targetE0EEEvT1_: ; @_ZN7rocprim17ROCPRIM_400000_NS6detail17trampoline_kernelINS0_14default_configENS1_25partition_config_selectorILNS1_17partition_subalgoE6EiNS0_10empty_typeEbEEZZNS1_14partition_implILS5_6ELb0ES3_mN6thrust23THRUST_200600_302600_NS10device_ptrIiEEPS6_SD_NS0_5tupleIJSC_S6_EEENSE_IJSD_SD_EEES6_PlJNSA_6detail9not_fun_tINSI_10functional5actorINSK_9compositeIJNSK_27transparent_binary_operatorINSA_8equal_toIvEEEENSL_INSK_8argumentILj0EEEEENSK_5valueIiEEEEEEEEEEEE10hipError_tPvRmT3_T4_T5_T6_T7_T9_mT8_P12ihipStream_tbDpT10_ENKUlT_T0_E_clISt17integral_constantIbLb1EES1H_IbLb0EEEEDaS1D_S1E_EUlS1D_E_NS1_11comp_targetILNS1_3genE0ELNS1_11target_archE4294967295ELNS1_3gpuE0ELNS1_3repE0EEENS1_30default_config_static_selectorELNS0_4arch9wavefront6targetE0EEEvT1_
; %bb.0:
	.section	.rodata,"a",@progbits
	.p2align	6, 0x0
	.amdhsa_kernel _ZN7rocprim17ROCPRIM_400000_NS6detail17trampoline_kernelINS0_14default_configENS1_25partition_config_selectorILNS1_17partition_subalgoE6EiNS0_10empty_typeEbEEZZNS1_14partition_implILS5_6ELb0ES3_mN6thrust23THRUST_200600_302600_NS10device_ptrIiEEPS6_SD_NS0_5tupleIJSC_S6_EEENSE_IJSD_SD_EEES6_PlJNSA_6detail9not_fun_tINSI_10functional5actorINSK_9compositeIJNSK_27transparent_binary_operatorINSA_8equal_toIvEEEENSL_INSK_8argumentILj0EEEEENSK_5valueIiEEEEEEEEEEEE10hipError_tPvRmT3_T4_T5_T6_T7_T9_mT8_P12ihipStream_tbDpT10_ENKUlT_T0_E_clISt17integral_constantIbLb1EES1H_IbLb0EEEEDaS1D_S1E_EUlS1D_E_NS1_11comp_targetILNS1_3genE0ELNS1_11target_archE4294967295ELNS1_3gpuE0ELNS1_3repE0EEENS1_30default_config_static_selectorELNS0_4arch9wavefront6targetE0EEEvT1_
		.amdhsa_group_segment_fixed_size 0
		.amdhsa_private_segment_fixed_size 0
		.amdhsa_kernarg_size 120
		.amdhsa_user_sgpr_count 2
		.amdhsa_user_sgpr_dispatch_ptr 0
		.amdhsa_user_sgpr_queue_ptr 0
		.amdhsa_user_sgpr_kernarg_segment_ptr 1
		.amdhsa_user_sgpr_dispatch_id 0
		.amdhsa_user_sgpr_private_segment_size 0
		.amdhsa_wavefront_size32 1
		.amdhsa_uses_dynamic_stack 0
		.amdhsa_enable_private_segment 0
		.amdhsa_system_sgpr_workgroup_id_x 1
		.amdhsa_system_sgpr_workgroup_id_y 0
		.amdhsa_system_sgpr_workgroup_id_z 0
		.amdhsa_system_sgpr_workgroup_info 0
		.amdhsa_system_vgpr_workitem_id 0
		.amdhsa_next_free_vgpr 1
		.amdhsa_next_free_sgpr 1
		.amdhsa_reserve_vcc 0
		.amdhsa_float_round_mode_32 0
		.amdhsa_float_round_mode_16_64 0
		.amdhsa_float_denorm_mode_32 3
		.amdhsa_float_denorm_mode_16_64 3
		.amdhsa_fp16_overflow 0
		.amdhsa_workgroup_processor_mode 1
		.amdhsa_memory_ordered 1
		.amdhsa_forward_progress 1
		.amdhsa_inst_pref_size 0
		.amdhsa_round_robin_scheduling 0
		.amdhsa_exception_fp_ieee_invalid_op 0
		.amdhsa_exception_fp_denorm_src 0
		.amdhsa_exception_fp_ieee_div_zero 0
		.amdhsa_exception_fp_ieee_overflow 0
		.amdhsa_exception_fp_ieee_underflow 0
		.amdhsa_exception_fp_ieee_inexact 0
		.amdhsa_exception_int_div_zero 0
	.end_amdhsa_kernel
	.section	.text._ZN7rocprim17ROCPRIM_400000_NS6detail17trampoline_kernelINS0_14default_configENS1_25partition_config_selectorILNS1_17partition_subalgoE6EiNS0_10empty_typeEbEEZZNS1_14partition_implILS5_6ELb0ES3_mN6thrust23THRUST_200600_302600_NS10device_ptrIiEEPS6_SD_NS0_5tupleIJSC_S6_EEENSE_IJSD_SD_EEES6_PlJNSA_6detail9not_fun_tINSI_10functional5actorINSK_9compositeIJNSK_27transparent_binary_operatorINSA_8equal_toIvEEEENSL_INSK_8argumentILj0EEEEENSK_5valueIiEEEEEEEEEEEE10hipError_tPvRmT3_T4_T5_T6_T7_T9_mT8_P12ihipStream_tbDpT10_ENKUlT_T0_E_clISt17integral_constantIbLb1EES1H_IbLb0EEEEDaS1D_S1E_EUlS1D_E_NS1_11comp_targetILNS1_3genE0ELNS1_11target_archE4294967295ELNS1_3gpuE0ELNS1_3repE0EEENS1_30default_config_static_selectorELNS0_4arch9wavefront6targetE0EEEvT1_,"axG",@progbits,_ZN7rocprim17ROCPRIM_400000_NS6detail17trampoline_kernelINS0_14default_configENS1_25partition_config_selectorILNS1_17partition_subalgoE6EiNS0_10empty_typeEbEEZZNS1_14partition_implILS5_6ELb0ES3_mN6thrust23THRUST_200600_302600_NS10device_ptrIiEEPS6_SD_NS0_5tupleIJSC_S6_EEENSE_IJSD_SD_EEES6_PlJNSA_6detail9not_fun_tINSI_10functional5actorINSK_9compositeIJNSK_27transparent_binary_operatorINSA_8equal_toIvEEEENSL_INSK_8argumentILj0EEEEENSK_5valueIiEEEEEEEEEEEE10hipError_tPvRmT3_T4_T5_T6_T7_T9_mT8_P12ihipStream_tbDpT10_ENKUlT_T0_E_clISt17integral_constantIbLb1EES1H_IbLb0EEEEDaS1D_S1E_EUlS1D_E_NS1_11comp_targetILNS1_3genE0ELNS1_11target_archE4294967295ELNS1_3gpuE0ELNS1_3repE0EEENS1_30default_config_static_selectorELNS0_4arch9wavefront6targetE0EEEvT1_,comdat
.Lfunc_end2861:
	.size	_ZN7rocprim17ROCPRIM_400000_NS6detail17trampoline_kernelINS0_14default_configENS1_25partition_config_selectorILNS1_17partition_subalgoE6EiNS0_10empty_typeEbEEZZNS1_14partition_implILS5_6ELb0ES3_mN6thrust23THRUST_200600_302600_NS10device_ptrIiEEPS6_SD_NS0_5tupleIJSC_S6_EEENSE_IJSD_SD_EEES6_PlJNSA_6detail9not_fun_tINSI_10functional5actorINSK_9compositeIJNSK_27transparent_binary_operatorINSA_8equal_toIvEEEENSL_INSK_8argumentILj0EEEEENSK_5valueIiEEEEEEEEEEEE10hipError_tPvRmT3_T4_T5_T6_T7_T9_mT8_P12ihipStream_tbDpT10_ENKUlT_T0_E_clISt17integral_constantIbLb1EES1H_IbLb0EEEEDaS1D_S1E_EUlS1D_E_NS1_11comp_targetILNS1_3genE0ELNS1_11target_archE4294967295ELNS1_3gpuE0ELNS1_3repE0EEENS1_30default_config_static_selectorELNS0_4arch9wavefront6targetE0EEEvT1_, .Lfunc_end2861-_ZN7rocprim17ROCPRIM_400000_NS6detail17trampoline_kernelINS0_14default_configENS1_25partition_config_selectorILNS1_17partition_subalgoE6EiNS0_10empty_typeEbEEZZNS1_14partition_implILS5_6ELb0ES3_mN6thrust23THRUST_200600_302600_NS10device_ptrIiEEPS6_SD_NS0_5tupleIJSC_S6_EEENSE_IJSD_SD_EEES6_PlJNSA_6detail9not_fun_tINSI_10functional5actorINSK_9compositeIJNSK_27transparent_binary_operatorINSA_8equal_toIvEEEENSL_INSK_8argumentILj0EEEEENSK_5valueIiEEEEEEEEEEEE10hipError_tPvRmT3_T4_T5_T6_T7_T9_mT8_P12ihipStream_tbDpT10_ENKUlT_T0_E_clISt17integral_constantIbLb1EES1H_IbLb0EEEEDaS1D_S1E_EUlS1D_E_NS1_11comp_targetILNS1_3genE0ELNS1_11target_archE4294967295ELNS1_3gpuE0ELNS1_3repE0EEENS1_30default_config_static_selectorELNS0_4arch9wavefront6targetE0EEEvT1_
                                        ; -- End function
	.set _ZN7rocprim17ROCPRIM_400000_NS6detail17trampoline_kernelINS0_14default_configENS1_25partition_config_selectorILNS1_17partition_subalgoE6EiNS0_10empty_typeEbEEZZNS1_14partition_implILS5_6ELb0ES3_mN6thrust23THRUST_200600_302600_NS10device_ptrIiEEPS6_SD_NS0_5tupleIJSC_S6_EEENSE_IJSD_SD_EEES6_PlJNSA_6detail9not_fun_tINSI_10functional5actorINSK_9compositeIJNSK_27transparent_binary_operatorINSA_8equal_toIvEEEENSL_INSK_8argumentILj0EEEEENSK_5valueIiEEEEEEEEEEEE10hipError_tPvRmT3_T4_T5_T6_T7_T9_mT8_P12ihipStream_tbDpT10_ENKUlT_T0_E_clISt17integral_constantIbLb1EES1H_IbLb0EEEEDaS1D_S1E_EUlS1D_E_NS1_11comp_targetILNS1_3genE0ELNS1_11target_archE4294967295ELNS1_3gpuE0ELNS1_3repE0EEENS1_30default_config_static_selectorELNS0_4arch9wavefront6targetE0EEEvT1_.num_vgpr, 0
	.set _ZN7rocprim17ROCPRIM_400000_NS6detail17trampoline_kernelINS0_14default_configENS1_25partition_config_selectorILNS1_17partition_subalgoE6EiNS0_10empty_typeEbEEZZNS1_14partition_implILS5_6ELb0ES3_mN6thrust23THRUST_200600_302600_NS10device_ptrIiEEPS6_SD_NS0_5tupleIJSC_S6_EEENSE_IJSD_SD_EEES6_PlJNSA_6detail9not_fun_tINSI_10functional5actorINSK_9compositeIJNSK_27transparent_binary_operatorINSA_8equal_toIvEEEENSL_INSK_8argumentILj0EEEEENSK_5valueIiEEEEEEEEEEEE10hipError_tPvRmT3_T4_T5_T6_T7_T9_mT8_P12ihipStream_tbDpT10_ENKUlT_T0_E_clISt17integral_constantIbLb1EES1H_IbLb0EEEEDaS1D_S1E_EUlS1D_E_NS1_11comp_targetILNS1_3genE0ELNS1_11target_archE4294967295ELNS1_3gpuE0ELNS1_3repE0EEENS1_30default_config_static_selectorELNS0_4arch9wavefront6targetE0EEEvT1_.num_agpr, 0
	.set _ZN7rocprim17ROCPRIM_400000_NS6detail17trampoline_kernelINS0_14default_configENS1_25partition_config_selectorILNS1_17partition_subalgoE6EiNS0_10empty_typeEbEEZZNS1_14partition_implILS5_6ELb0ES3_mN6thrust23THRUST_200600_302600_NS10device_ptrIiEEPS6_SD_NS0_5tupleIJSC_S6_EEENSE_IJSD_SD_EEES6_PlJNSA_6detail9not_fun_tINSI_10functional5actorINSK_9compositeIJNSK_27transparent_binary_operatorINSA_8equal_toIvEEEENSL_INSK_8argumentILj0EEEEENSK_5valueIiEEEEEEEEEEEE10hipError_tPvRmT3_T4_T5_T6_T7_T9_mT8_P12ihipStream_tbDpT10_ENKUlT_T0_E_clISt17integral_constantIbLb1EES1H_IbLb0EEEEDaS1D_S1E_EUlS1D_E_NS1_11comp_targetILNS1_3genE0ELNS1_11target_archE4294967295ELNS1_3gpuE0ELNS1_3repE0EEENS1_30default_config_static_selectorELNS0_4arch9wavefront6targetE0EEEvT1_.numbered_sgpr, 0
	.set _ZN7rocprim17ROCPRIM_400000_NS6detail17trampoline_kernelINS0_14default_configENS1_25partition_config_selectorILNS1_17partition_subalgoE6EiNS0_10empty_typeEbEEZZNS1_14partition_implILS5_6ELb0ES3_mN6thrust23THRUST_200600_302600_NS10device_ptrIiEEPS6_SD_NS0_5tupleIJSC_S6_EEENSE_IJSD_SD_EEES6_PlJNSA_6detail9not_fun_tINSI_10functional5actorINSK_9compositeIJNSK_27transparent_binary_operatorINSA_8equal_toIvEEEENSL_INSK_8argumentILj0EEEEENSK_5valueIiEEEEEEEEEEEE10hipError_tPvRmT3_T4_T5_T6_T7_T9_mT8_P12ihipStream_tbDpT10_ENKUlT_T0_E_clISt17integral_constantIbLb1EES1H_IbLb0EEEEDaS1D_S1E_EUlS1D_E_NS1_11comp_targetILNS1_3genE0ELNS1_11target_archE4294967295ELNS1_3gpuE0ELNS1_3repE0EEENS1_30default_config_static_selectorELNS0_4arch9wavefront6targetE0EEEvT1_.num_named_barrier, 0
	.set _ZN7rocprim17ROCPRIM_400000_NS6detail17trampoline_kernelINS0_14default_configENS1_25partition_config_selectorILNS1_17partition_subalgoE6EiNS0_10empty_typeEbEEZZNS1_14partition_implILS5_6ELb0ES3_mN6thrust23THRUST_200600_302600_NS10device_ptrIiEEPS6_SD_NS0_5tupleIJSC_S6_EEENSE_IJSD_SD_EEES6_PlJNSA_6detail9not_fun_tINSI_10functional5actorINSK_9compositeIJNSK_27transparent_binary_operatorINSA_8equal_toIvEEEENSL_INSK_8argumentILj0EEEEENSK_5valueIiEEEEEEEEEEEE10hipError_tPvRmT3_T4_T5_T6_T7_T9_mT8_P12ihipStream_tbDpT10_ENKUlT_T0_E_clISt17integral_constantIbLb1EES1H_IbLb0EEEEDaS1D_S1E_EUlS1D_E_NS1_11comp_targetILNS1_3genE0ELNS1_11target_archE4294967295ELNS1_3gpuE0ELNS1_3repE0EEENS1_30default_config_static_selectorELNS0_4arch9wavefront6targetE0EEEvT1_.private_seg_size, 0
	.set _ZN7rocprim17ROCPRIM_400000_NS6detail17trampoline_kernelINS0_14default_configENS1_25partition_config_selectorILNS1_17partition_subalgoE6EiNS0_10empty_typeEbEEZZNS1_14partition_implILS5_6ELb0ES3_mN6thrust23THRUST_200600_302600_NS10device_ptrIiEEPS6_SD_NS0_5tupleIJSC_S6_EEENSE_IJSD_SD_EEES6_PlJNSA_6detail9not_fun_tINSI_10functional5actorINSK_9compositeIJNSK_27transparent_binary_operatorINSA_8equal_toIvEEEENSL_INSK_8argumentILj0EEEEENSK_5valueIiEEEEEEEEEEEE10hipError_tPvRmT3_T4_T5_T6_T7_T9_mT8_P12ihipStream_tbDpT10_ENKUlT_T0_E_clISt17integral_constantIbLb1EES1H_IbLb0EEEEDaS1D_S1E_EUlS1D_E_NS1_11comp_targetILNS1_3genE0ELNS1_11target_archE4294967295ELNS1_3gpuE0ELNS1_3repE0EEENS1_30default_config_static_selectorELNS0_4arch9wavefront6targetE0EEEvT1_.uses_vcc, 0
	.set _ZN7rocprim17ROCPRIM_400000_NS6detail17trampoline_kernelINS0_14default_configENS1_25partition_config_selectorILNS1_17partition_subalgoE6EiNS0_10empty_typeEbEEZZNS1_14partition_implILS5_6ELb0ES3_mN6thrust23THRUST_200600_302600_NS10device_ptrIiEEPS6_SD_NS0_5tupleIJSC_S6_EEENSE_IJSD_SD_EEES6_PlJNSA_6detail9not_fun_tINSI_10functional5actorINSK_9compositeIJNSK_27transparent_binary_operatorINSA_8equal_toIvEEEENSL_INSK_8argumentILj0EEEEENSK_5valueIiEEEEEEEEEEEE10hipError_tPvRmT3_T4_T5_T6_T7_T9_mT8_P12ihipStream_tbDpT10_ENKUlT_T0_E_clISt17integral_constantIbLb1EES1H_IbLb0EEEEDaS1D_S1E_EUlS1D_E_NS1_11comp_targetILNS1_3genE0ELNS1_11target_archE4294967295ELNS1_3gpuE0ELNS1_3repE0EEENS1_30default_config_static_selectorELNS0_4arch9wavefront6targetE0EEEvT1_.uses_flat_scratch, 0
	.set _ZN7rocprim17ROCPRIM_400000_NS6detail17trampoline_kernelINS0_14default_configENS1_25partition_config_selectorILNS1_17partition_subalgoE6EiNS0_10empty_typeEbEEZZNS1_14partition_implILS5_6ELb0ES3_mN6thrust23THRUST_200600_302600_NS10device_ptrIiEEPS6_SD_NS0_5tupleIJSC_S6_EEENSE_IJSD_SD_EEES6_PlJNSA_6detail9not_fun_tINSI_10functional5actorINSK_9compositeIJNSK_27transparent_binary_operatorINSA_8equal_toIvEEEENSL_INSK_8argumentILj0EEEEENSK_5valueIiEEEEEEEEEEEE10hipError_tPvRmT3_T4_T5_T6_T7_T9_mT8_P12ihipStream_tbDpT10_ENKUlT_T0_E_clISt17integral_constantIbLb1EES1H_IbLb0EEEEDaS1D_S1E_EUlS1D_E_NS1_11comp_targetILNS1_3genE0ELNS1_11target_archE4294967295ELNS1_3gpuE0ELNS1_3repE0EEENS1_30default_config_static_selectorELNS0_4arch9wavefront6targetE0EEEvT1_.has_dyn_sized_stack, 0
	.set _ZN7rocprim17ROCPRIM_400000_NS6detail17trampoline_kernelINS0_14default_configENS1_25partition_config_selectorILNS1_17partition_subalgoE6EiNS0_10empty_typeEbEEZZNS1_14partition_implILS5_6ELb0ES3_mN6thrust23THRUST_200600_302600_NS10device_ptrIiEEPS6_SD_NS0_5tupleIJSC_S6_EEENSE_IJSD_SD_EEES6_PlJNSA_6detail9not_fun_tINSI_10functional5actorINSK_9compositeIJNSK_27transparent_binary_operatorINSA_8equal_toIvEEEENSL_INSK_8argumentILj0EEEEENSK_5valueIiEEEEEEEEEEEE10hipError_tPvRmT3_T4_T5_T6_T7_T9_mT8_P12ihipStream_tbDpT10_ENKUlT_T0_E_clISt17integral_constantIbLb1EES1H_IbLb0EEEEDaS1D_S1E_EUlS1D_E_NS1_11comp_targetILNS1_3genE0ELNS1_11target_archE4294967295ELNS1_3gpuE0ELNS1_3repE0EEENS1_30default_config_static_selectorELNS0_4arch9wavefront6targetE0EEEvT1_.has_recursion, 0
	.set _ZN7rocprim17ROCPRIM_400000_NS6detail17trampoline_kernelINS0_14default_configENS1_25partition_config_selectorILNS1_17partition_subalgoE6EiNS0_10empty_typeEbEEZZNS1_14partition_implILS5_6ELb0ES3_mN6thrust23THRUST_200600_302600_NS10device_ptrIiEEPS6_SD_NS0_5tupleIJSC_S6_EEENSE_IJSD_SD_EEES6_PlJNSA_6detail9not_fun_tINSI_10functional5actorINSK_9compositeIJNSK_27transparent_binary_operatorINSA_8equal_toIvEEEENSL_INSK_8argumentILj0EEEEENSK_5valueIiEEEEEEEEEEEE10hipError_tPvRmT3_T4_T5_T6_T7_T9_mT8_P12ihipStream_tbDpT10_ENKUlT_T0_E_clISt17integral_constantIbLb1EES1H_IbLb0EEEEDaS1D_S1E_EUlS1D_E_NS1_11comp_targetILNS1_3genE0ELNS1_11target_archE4294967295ELNS1_3gpuE0ELNS1_3repE0EEENS1_30default_config_static_selectorELNS0_4arch9wavefront6targetE0EEEvT1_.has_indirect_call, 0
	.section	.AMDGPU.csdata,"",@progbits
; Kernel info:
; codeLenInByte = 0
; TotalNumSgprs: 0
; NumVgprs: 0
; ScratchSize: 0
; MemoryBound: 0
; FloatMode: 240
; IeeeMode: 1
; LDSByteSize: 0 bytes/workgroup (compile time only)
; SGPRBlocks: 0
; VGPRBlocks: 0
; NumSGPRsForWavesPerEU: 1
; NumVGPRsForWavesPerEU: 1
; Occupancy: 16
; WaveLimiterHint : 0
; COMPUTE_PGM_RSRC2:SCRATCH_EN: 0
; COMPUTE_PGM_RSRC2:USER_SGPR: 2
; COMPUTE_PGM_RSRC2:TRAP_HANDLER: 0
; COMPUTE_PGM_RSRC2:TGID_X_EN: 1
; COMPUTE_PGM_RSRC2:TGID_Y_EN: 0
; COMPUTE_PGM_RSRC2:TGID_Z_EN: 0
; COMPUTE_PGM_RSRC2:TIDIG_COMP_CNT: 0
	.section	.text._ZN7rocprim17ROCPRIM_400000_NS6detail17trampoline_kernelINS0_14default_configENS1_25partition_config_selectorILNS1_17partition_subalgoE6EiNS0_10empty_typeEbEEZZNS1_14partition_implILS5_6ELb0ES3_mN6thrust23THRUST_200600_302600_NS10device_ptrIiEEPS6_SD_NS0_5tupleIJSC_S6_EEENSE_IJSD_SD_EEES6_PlJNSA_6detail9not_fun_tINSI_10functional5actorINSK_9compositeIJNSK_27transparent_binary_operatorINSA_8equal_toIvEEEENSL_INSK_8argumentILj0EEEEENSK_5valueIiEEEEEEEEEEEE10hipError_tPvRmT3_T4_T5_T6_T7_T9_mT8_P12ihipStream_tbDpT10_ENKUlT_T0_E_clISt17integral_constantIbLb1EES1H_IbLb0EEEEDaS1D_S1E_EUlS1D_E_NS1_11comp_targetILNS1_3genE5ELNS1_11target_archE942ELNS1_3gpuE9ELNS1_3repE0EEENS1_30default_config_static_selectorELNS0_4arch9wavefront6targetE0EEEvT1_,"axG",@progbits,_ZN7rocprim17ROCPRIM_400000_NS6detail17trampoline_kernelINS0_14default_configENS1_25partition_config_selectorILNS1_17partition_subalgoE6EiNS0_10empty_typeEbEEZZNS1_14partition_implILS5_6ELb0ES3_mN6thrust23THRUST_200600_302600_NS10device_ptrIiEEPS6_SD_NS0_5tupleIJSC_S6_EEENSE_IJSD_SD_EEES6_PlJNSA_6detail9not_fun_tINSI_10functional5actorINSK_9compositeIJNSK_27transparent_binary_operatorINSA_8equal_toIvEEEENSL_INSK_8argumentILj0EEEEENSK_5valueIiEEEEEEEEEEEE10hipError_tPvRmT3_T4_T5_T6_T7_T9_mT8_P12ihipStream_tbDpT10_ENKUlT_T0_E_clISt17integral_constantIbLb1EES1H_IbLb0EEEEDaS1D_S1E_EUlS1D_E_NS1_11comp_targetILNS1_3genE5ELNS1_11target_archE942ELNS1_3gpuE9ELNS1_3repE0EEENS1_30default_config_static_selectorELNS0_4arch9wavefront6targetE0EEEvT1_,comdat
	.protected	_ZN7rocprim17ROCPRIM_400000_NS6detail17trampoline_kernelINS0_14default_configENS1_25partition_config_selectorILNS1_17partition_subalgoE6EiNS0_10empty_typeEbEEZZNS1_14partition_implILS5_6ELb0ES3_mN6thrust23THRUST_200600_302600_NS10device_ptrIiEEPS6_SD_NS0_5tupleIJSC_S6_EEENSE_IJSD_SD_EEES6_PlJNSA_6detail9not_fun_tINSI_10functional5actorINSK_9compositeIJNSK_27transparent_binary_operatorINSA_8equal_toIvEEEENSL_INSK_8argumentILj0EEEEENSK_5valueIiEEEEEEEEEEEE10hipError_tPvRmT3_T4_T5_T6_T7_T9_mT8_P12ihipStream_tbDpT10_ENKUlT_T0_E_clISt17integral_constantIbLb1EES1H_IbLb0EEEEDaS1D_S1E_EUlS1D_E_NS1_11comp_targetILNS1_3genE5ELNS1_11target_archE942ELNS1_3gpuE9ELNS1_3repE0EEENS1_30default_config_static_selectorELNS0_4arch9wavefront6targetE0EEEvT1_ ; -- Begin function _ZN7rocprim17ROCPRIM_400000_NS6detail17trampoline_kernelINS0_14default_configENS1_25partition_config_selectorILNS1_17partition_subalgoE6EiNS0_10empty_typeEbEEZZNS1_14partition_implILS5_6ELb0ES3_mN6thrust23THRUST_200600_302600_NS10device_ptrIiEEPS6_SD_NS0_5tupleIJSC_S6_EEENSE_IJSD_SD_EEES6_PlJNSA_6detail9not_fun_tINSI_10functional5actorINSK_9compositeIJNSK_27transparent_binary_operatorINSA_8equal_toIvEEEENSL_INSK_8argumentILj0EEEEENSK_5valueIiEEEEEEEEEEEE10hipError_tPvRmT3_T4_T5_T6_T7_T9_mT8_P12ihipStream_tbDpT10_ENKUlT_T0_E_clISt17integral_constantIbLb1EES1H_IbLb0EEEEDaS1D_S1E_EUlS1D_E_NS1_11comp_targetILNS1_3genE5ELNS1_11target_archE942ELNS1_3gpuE9ELNS1_3repE0EEENS1_30default_config_static_selectorELNS0_4arch9wavefront6targetE0EEEvT1_
	.globl	_ZN7rocprim17ROCPRIM_400000_NS6detail17trampoline_kernelINS0_14default_configENS1_25partition_config_selectorILNS1_17partition_subalgoE6EiNS0_10empty_typeEbEEZZNS1_14partition_implILS5_6ELb0ES3_mN6thrust23THRUST_200600_302600_NS10device_ptrIiEEPS6_SD_NS0_5tupleIJSC_S6_EEENSE_IJSD_SD_EEES6_PlJNSA_6detail9not_fun_tINSI_10functional5actorINSK_9compositeIJNSK_27transparent_binary_operatorINSA_8equal_toIvEEEENSL_INSK_8argumentILj0EEEEENSK_5valueIiEEEEEEEEEEEE10hipError_tPvRmT3_T4_T5_T6_T7_T9_mT8_P12ihipStream_tbDpT10_ENKUlT_T0_E_clISt17integral_constantIbLb1EES1H_IbLb0EEEEDaS1D_S1E_EUlS1D_E_NS1_11comp_targetILNS1_3genE5ELNS1_11target_archE942ELNS1_3gpuE9ELNS1_3repE0EEENS1_30default_config_static_selectorELNS0_4arch9wavefront6targetE0EEEvT1_
	.p2align	8
	.type	_ZN7rocprim17ROCPRIM_400000_NS6detail17trampoline_kernelINS0_14default_configENS1_25partition_config_selectorILNS1_17partition_subalgoE6EiNS0_10empty_typeEbEEZZNS1_14partition_implILS5_6ELb0ES3_mN6thrust23THRUST_200600_302600_NS10device_ptrIiEEPS6_SD_NS0_5tupleIJSC_S6_EEENSE_IJSD_SD_EEES6_PlJNSA_6detail9not_fun_tINSI_10functional5actorINSK_9compositeIJNSK_27transparent_binary_operatorINSA_8equal_toIvEEEENSL_INSK_8argumentILj0EEEEENSK_5valueIiEEEEEEEEEEEE10hipError_tPvRmT3_T4_T5_T6_T7_T9_mT8_P12ihipStream_tbDpT10_ENKUlT_T0_E_clISt17integral_constantIbLb1EES1H_IbLb0EEEEDaS1D_S1E_EUlS1D_E_NS1_11comp_targetILNS1_3genE5ELNS1_11target_archE942ELNS1_3gpuE9ELNS1_3repE0EEENS1_30default_config_static_selectorELNS0_4arch9wavefront6targetE0EEEvT1_,@function
_ZN7rocprim17ROCPRIM_400000_NS6detail17trampoline_kernelINS0_14default_configENS1_25partition_config_selectorILNS1_17partition_subalgoE6EiNS0_10empty_typeEbEEZZNS1_14partition_implILS5_6ELb0ES3_mN6thrust23THRUST_200600_302600_NS10device_ptrIiEEPS6_SD_NS0_5tupleIJSC_S6_EEENSE_IJSD_SD_EEES6_PlJNSA_6detail9not_fun_tINSI_10functional5actorINSK_9compositeIJNSK_27transparent_binary_operatorINSA_8equal_toIvEEEENSL_INSK_8argumentILj0EEEEENSK_5valueIiEEEEEEEEEEEE10hipError_tPvRmT3_T4_T5_T6_T7_T9_mT8_P12ihipStream_tbDpT10_ENKUlT_T0_E_clISt17integral_constantIbLb1EES1H_IbLb0EEEEDaS1D_S1E_EUlS1D_E_NS1_11comp_targetILNS1_3genE5ELNS1_11target_archE942ELNS1_3gpuE9ELNS1_3repE0EEENS1_30default_config_static_selectorELNS0_4arch9wavefront6targetE0EEEvT1_: ; @_ZN7rocprim17ROCPRIM_400000_NS6detail17trampoline_kernelINS0_14default_configENS1_25partition_config_selectorILNS1_17partition_subalgoE6EiNS0_10empty_typeEbEEZZNS1_14partition_implILS5_6ELb0ES3_mN6thrust23THRUST_200600_302600_NS10device_ptrIiEEPS6_SD_NS0_5tupleIJSC_S6_EEENSE_IJSD_SD_EEES6_PlJNSA_6detail9not_fun_tINSI_10functional5actorINSK_9compositeIJNSK_27transparent_binary_operatorINSA_8equal_toIvEEEENSL_INSK_8argumentILj0EEEEENSK_5valueIiEEEEEEEEEEEE10hipError_tPvRmT3_T4_T5_T6_T7_T9_mT8_P12ihipStream_tbDpT10_ENKUlT_T0_E_clISt17integral_constantIbLb1EES1H_IbLb0EEEEDaS1D_S1E_EUlS1D_E_NS1_11comp_targetILNS1_3genE5ELNS1_11target_archE942ELNS1_3gpuE9ELNS1_3repE0EEENS1_30default_config_static_selectorELNS0_4arch9wavefront6targetE0EEEvT1_
; %bb.0:
	.section	.rodata,"a",@progbits
	.p2align	6, 0x0
	.amdhsa_kernel _ZN7rocprim17ROCPRIM_400000_NS6detail17trampoline_kernelINS0_14default_configENS1_25partition_config_selectorILNS1_17partition_subalgoE6EiNS0_10empty_typeEbEEZZNS1_14partition_implILS5_6ELb0ES3_mN6thrust23THRUST_200600_302600_NS10device_ptrIiEEPS6_SD_NS0_5tupleIJSC_S6_EEENSE_IJSD_SD_EEES6_PlJNSA_6detail9not_fun_tINSI_10functional5actorINSK_9compositeIJNSK_27transparent_binary_operatorINSA_8equal_toIvEEEENSL_INSK_8argumentILj0EEEEENSK_5valueIiEEEEEEEEEEEE10hipError_tPvRmT3_T4_T5_T6_T7_T9_mT8_P12ihipStream_tbDpT10_ENKUlT_T0_E_clISt17integral_constantIbLb1EES1H_IbLb0EEEEDaS1D_S1E_EUlS1D_E_NS1_11comp_targetILNS1_3genE5ELNS1_11target_archE942ELNS1_3gpuE9ELNS1_3repE0EEENS1_30default_config_static_selectorELNS0_4arch9wavefront6targetE0EEEvT1_
		.amdhsa_group_segment_fixed_size 0
		.amdhsa_private_segment_fixed_size 0
		.amdhsa_kernarg_size 120
		.amdhsa_user_sgpr_count 2
		.amdhsa_user_sgpr_dispatch_ptr 0
		.amdhsa_user_sgpr_queue_ptr 0
		.amdhsa_user_sgpr_kernarg_segment_ptr 1
		.amdhsa_user_sgpr_dispatch_id 0
		.amdhsa_user_sgpr_private_segment_size 0
		.amdhsa_wavefront_size32 1
		.amdhsa_uses_dynamic_stack 0
		.amdhsa_enable_private_segment 0
		.amdhsa_system_sgpr_workgroup_id_x 1
		.amdhsa_system_sgpr_workgroup_id_y 0
		.amdhsa_system_sgpr_workgroup_id_z 0
		.amdhsa_system_sgpr_workgroup_info 0
		.amdhsa_system_vgpr_workitem_id 0
		.amdhsa_next_free_vgpr 1
		.amdhsa_next_free_sgpr 1
		.amdhsa_reserve_vcc 0
		.amdhsa_float_round_mode_32 0
		.amdhsa_float_round_mode_16_64 0
		.amdhsa_float_denorm_mode_32 3
		.amdhsa_float_denorm_mode_16_64 3
		.amdhsa_fp16_overflow 0
		.amdhsa_workgroup_processor_mode 1
		.amdhsa_memory_ordered 1
		.amdhsa_forward_progress 1
		.amdhsa_inst_pref_size 0
		.amdhsa_round_robin_scheduling 0
		.amdhsa_exception_fp_ieee_invalid_op 0
		.amdhsa_exception_fp_denorm_src 0
		.amdhsa_exception_fp_ieee_div_zero 0
		.amdhsa_exception_fp_ieee_overflow 0
		.amdhsa_exception_fp_ieee_underflow 0
		.amdhsa_exception_fp_ieee_inexact 0
		.amdhsa_exception_int_div_zero 0
	.end_amdhsa_kernel
	.section	.text._ZN7rocprim17ROCPRIM_400000_NS6detail17trampoline_kernelINS0_14default_configENS1_25partition_config_selectorILNS1_17partition_subalgoE6EiNS0_10empty_typeEbEEZZNS1_14partition_implILS5_6ELb0ES3_mN6thrust23THRUST_200600_302600_NS10device_ptrIiEEPS6_SD_NS0_5tupleIJSC_S6_EEENSE_IJSD_SD_EEES6_PlJNSA_6detail9not_fun_tINSI_10functional5actorINSK_9compositeIJNSK_27transparent_binary_operatorINSA_8equal_toIvEEEENSL_INSK_8argumentILj0EEEEENSK_5valueIiEEEEEEEEEEEE10hipError_tPvRmT3_T4_T5_T6_T7_T9_mT8_P12ihipStream_tbDpT10_ENKUlT_T0_E_clISt17integral_constantIbLb1EES1H_IbLb0EEEEDaS1D_S1E_EUlS1D_E_NS1_11comp_targetILNS1_3genE5ELNS1_11target_archE942ELNS1_3gpuE9ELNS1_3repE0EEENS1_30default_config_static_selectorELNS0_4arch9wavefront6targetE0EEEvT1_,"axG",@progbits,_ZN7rocprim17ROCPRIM_400000_NS6detail17trampoline_kernelINS0_14default_configENS1_25partition_config_selectorILNS1_17partition_subalgoE6EiNS0_10empty_typeEbEEZZNS1_14partition_implILS5_6ELb0ES3_mN6thrust23THRUST_200600_302600_NS10device_ptrIiEEPS6_SD_NS0_5tupleIJSC_S6_EEENSE_IJSD_SD_EEES6_PlJNSA_6detail9not_fun_tINSI_10functional5actorINSK_9compositeIJNSK_27transparent_binary_operatorINSA_8equal_toIvEEEENSL_INSK_8argumentILj0EEEEENSK_5valueIiEEEEEEEEEEEE10hipError_tPvRmT3_T4_T5_T6_T7_T9_mT8_P12ihipStream_tbDpT10_ENKUlT_T0_E_clISt17integral_constantIbLb1EES1H_IbLb0EEEEDaS1D_S1E_EUlS1D_E_NS1_11comp_targetILNS1_3genE5ELNS1_11target_archE942ELNS1_3gpuE9ELNS1_3repE0EEENS1_30default_config_static_selectorELNS0_4arch9wavefront6targetE0EEEvT1_,comdat
.Lfunc_end2862:
	.size	_ZN7rocprim17ROCPRIM_400000_NS6detail17trampoline_kernelINS0_14default_configENS1_25partition_config_selectorILNS1_17partition_subalgoE6EiNS0_10empty_typeEbEEZZNS1_14partition_implILS5_6ELb0ES3_mN6thrust23THRUST_200600_302600_NS10device_ptrIiEEPS6_SD_NS0_5tupleIJSC_S6_EEENSE_IJSD_SD_EEES6_PlJNSA_6detail9not_fun_tINSI_10functional5actorINSK_9compositeIJNSK_27transparent_binary_operatorINSA_8equal_toIvEEEENSL_INSK_8argumentILj0EEEEENSK_5valueIiEEEEEEEEEEEE10hipError_tPvRmT3_T4_T5_T6_T7_T9_mT8_P12ihipStream_tbDpT10_ENKUlT_T0_E_clISt17integral_constantIbLb1EES1H_IbLb0EEEEDaS1D_S1E_EUlS1D_E_NS1_11comp_targetILNS1_3genE5ELNS1_11target_archE942ELNS1_3gpuE9ELNS1_3repE0EEENS1_30default_config_static_selectorELNS0_4arch9wavefront6targetE0EEEvT1_, .Lfunc_end2862-_ZN7rocprim17ROCPRIM_400000_NS6detail17trampoline_kernelINS0_14default_configENS1_25partition_config_selectorILNS1_17partition_subalgoE6EiNS0_10empty_typeEbEEZZNS1_14partition_implILS5_6ELb0ES3_mN6thrust23THRUST_200600_302600_NS10device_ptrIiEEPS6_SD_NS0_5tupleIJSC_S6_EEENSE_IJSD_SD_EEES6_PlJNSA_6detail9not_fun_tINSI_10functional5actorINSK_9compositeIJNSK_27transparent_binary_operatorINSA_8equal_toIvEEEENSL_INSK_8argumentILj0EEEEENSK_5valueIiEEEEEEEEEEEE10hipError_tPvRmT3_T4_T5_T6_T7_T9_mT8_P12ihipStream_tbDpT10_ENKUlT_T0_E_clISt17integral_constantIbLb1EES1H_IbLb0EEEEDaS1D_S1E_EUlS1D_E_NS1_11comp_targetILNS1_3genE5ELNS1_11target_archE942ELNS1_3gpuE9ELNS1_3repE0EEENS1_30default_config_static_selectorELNS0_4arch9wavefront6targetE0EEEvT1_
                                        ; -- End function
	.set _ZN7rocprim17ROCPRIM_400000_NS6detail17trampoline_kernelINS0_14default_configENS1_25partition_config_selectorILNS1_17partition_subalgoE6EiNS0_10empty_typeEbEEZZNS1_14partition_implILS5_6ELb0ES3_mN6thrust23THRUST_200600_302600_NS10device_ptrIiEEPS6_SD_NS0_5tupleIJSC_S6_EEENSE_IJSD_SD_EEES6_PlJNSA_6detail9not_fun_tINSI_10functional5actorINSK_9compositeIJNSK_27transparent_binary_operatorINSA_8equal_toIvEEEENSL_INSK_8argumentILj0EEEEENSK_5valueIiEEEEEEEEEEEE10hipError_tPvRmT3_T4_T5_T6_T7_T9_mT8_P12ihipStream_tbDpT10_ENKUlT_T0_E_clISt17integral_constantIbLb1EES1H_IbLb0EEEEDaS1D_S1E_EUlS1D_E_NS1_11comp_targetILNS1_3genE5ELNS1_11target_archE942ELNS1_3gpuE9ELNS1_3repE0EEENS1_30default_config_static_selectorELNS0_4arch9wavefront6targetE0EEEvT1_.num_vgpr, 0
	.set _ZN7rocprim17ROCPRIM_400000_NS6detail17trampoline_kernelINS0_14default_configENS1_25partition_config_selectorILNS1_17partition_subalgoE6EiNS0_10empty_typeEbEEZZNS1_14partition_implILS5_6ELb0ES3_mN6thrust23THRUST_200600_302600_NS10device_ptrIiEEPS6_SD_NS0_5tupleIJSC_S6_EEENSE_IJSD_SD_EEES6_PlJNSA_6detail9not_fun_tINSI_10functional5actorINSK_9compositeIJNSK_27transparent_binary_operatorINSA_8equal_toIvEEEENSL_INSK_8argumentILj0EEEEENSK_5valueIiEEEEEEEEEEEE10hipError_tPvRmT3_T4_T5_T6_T7_T9_mT8_P12ihipStream_tbDpT10_ENKUlT_T0_E_clISt17integral_constantIbLb1EES1H_IbLb0EEEEDaS1D_S1E_EUlS1D_E_NS1_11comp_targetILNS1_3genE5ELNS1_11target_archE942ELNS1_3gpuE9ELNS1_3repE0EEENS1_30default_config_static_selectorELNS0_4arch9wavefront6targetE0EEEvT1_.num_agpr, 0
	.set _ZN7rocprim17ROCPRIM_400000_NS6detail17trampoline_kernelINS0_14default_configENS1_25partition_config_selectorILNS1_17partition_subalgoE6EiNS0_10empty_typeEbEEZZNS1_14partition_implILS5_6ELb0ES3_mN6thrust23THRUST_200600_302600_NS10device_ptrIiEEPS6_SD_NS0_5tupleIJSC_S6_EEENSE_IJSD_SD_EEES6_PlJNSA_6detail9not_fun_tINSI_10functional5actorINSK_9compositeIJNSK_27transparent_binary_operatorINSA_8equal_toIvEEEENSL_INSK_8argumentILj0EEEEENSK_5valueIiEEEEEEEEEEEE10hipError_tPvRmT3_T4_T5_T6_T7_T9_mT8_P12ihipStream_tbDpT10_ENKUlT_T0_E_clISt17integral_constantIbLb1EES1H_IbLb0EEEEDaS1D_S1E_EUlS1D_E_NS1_11comp_targetILNS1_3genE5ELNS1_11target_archE942ELNS1_3gpuE9ELNS1_3repE0EEENS1_30default_config_static_selectorELNS0_4arch9wavefront6targetE0EEEvT1_.numbered_sgpr, 0
	.set _ZN7rocprim17ROCPRIM_400000_NS6detail17trampoline_kernelINS0_14default_configENS1_25partition_config_selectorILNS1_17partition_subalgoE6EiNS0_10empty_typeEbEEZZNS1_14partition_implILS5_6ELb0ES3_mN6thrust23THRUST_200600_302600_NS10device_ptrIiEEPS6_SD_NS0_5tupleIJSC_S6_EEENSE_IJSD_SD_EEES6_PlJNSA_6detail9not_fun_tINSI_10functional5actorINSK_9compositeIJNSK_27transparent_binary_operatorINSA_8equal_toIvEEEENSL_INSK_8argumentILj0EEEEENSK_5valueIiEEEEEEEEEEEE10hipError_tPvRmT3_T4_T5_T6_T7_T9_mT8_P12ihipStream_tbDpT10_ENKUlT_T0_E_clISt17integral_constantIbLb1EES1H_IbLb0EEEEDaS1D_S1E_EUlS1D_E_NS1_11comp_targetILNS1_3genE5ELNS1_11target_archE942ELNS1_3gpuE9ELNS1_3repE0EEENS1_30default_config_static_selectorELNS0_4arch9wavefront6targetE0EEEvT1_.num_named_barrier, 0
	.set _ZN7rocprim17ROCPRIM_400000_NS6detail17trampoline_kernelINS0_14default_configENS1_25partition_config_selectorILNS1_17partition_subalgoE6EiNS0_10empty_typeEbEEZZNS1_14partition_implILS5_6ELb0ES3_mN6thrust23THRUST_200600_302600_NS10device_ptrIiEEPS6_SD_NS0_5tupleIJSC_S6_EEENSE_IJSD_SD_EEES6_PlJNSA_6detail9not_fun_tINSI_10functional5actorINSK_9compositeIJNSK_27transparent_binary_operatorINSA_8equal_toIvEEEENSL_INSK_8argumentILj0EEEEENSK_5valueIiEEEEEEEEEEEE10hipError_tPvRmT3_T4_T5_T6_T7_T9_mT8_P12ihipStream_tbDpT10_ENKUlT_T0_E_clISt17integral_constantIbLb1EES1H_IbLb0EEEEDaS1D_S1E_EUlS1D_E_NS1_11comp_targetILNS1_3genE5ELNS1_11target_archE942ELNS1_3gpuE9ELNS1_3repE0EEENS1_30default_config_static_selectorELNS0_4arch9wavefront6targetE0EEEvT1_.private_seg_size, 0
	.set _ZN7rocprim17ROCPRIM_400000_NS6detail17trampoline_kernelINS0_14default_configENS1_25partition_config_selectorILNS1_17partition_subalgoE6EiNS0_10empty_typeEbEEZZNS1_14partition_implILS5_6ELb0ES3_mN6thrust23THRUST_200600_302600_NS10device_ptrIiEEPS6_SD_NS0_5tupleIJSC_S6_EEENSE_IJSD_SD_EEES6_PlJNSA_6detail9not_fun_tINSI_10functional5actorINSK_9compositeIJNSK_27transparent_binary_operatorINSA_8equal_toIvEEEENSL_INSK_8argumentILj0EEEEENSK_5valueIiEEEEEEEEEEEE10hipError_tPvRmT3_T4_T5_T6_T7_T9_mT8_P12ihipStream_tbDpT10_ENKUlT_T0_E_clISt17integral_constantIbLb1EES1H_IbLb0EEEEDaS1D_S1E_EUlS1D_E_NS1_11comp_targetILNS1_3genE5ELNS1_11target_archE942ELNS1_3gpuE9ELNS1_3repE0EEENS1_30default_config_static_selectorELNS0_4arch9wavefront6targetE0EEEvT1_.uses_vcc, 0
	.set _ZN7rocprim17ROCPRIM_400000_NS6detail17trampoline_kernelINS0_14default_configENS1_25partition_config_selectorILNS1_17partition_subalgoE6EiNS0_10empty_typeEbEEZZNS1_14partition_implILS5_6ELb0ES3_mN6thrust23THRUST_200600_302600_NS10device_ptrIiEEPS6_SD_NS0_5tupleIJSC_S6_EEENSE_IJSD_SD_EEES6_PlJNSA_6detail9not_fun_tINSI_10functional5actorINSK_9compositeIJNSK_27transparent_binary_operatorINSA_8equal_toIvEEEENSL_INSK_8argumentILj0EEEEENSK_5valueIiEEEEEEEEEEEE10hipError_tPvRmT3_T4_T5_T6_T7_T9_mT8_P12ihipStream_tbDpT10_ENKUlT_T0_E_clISt17integral_constantIbLb1EES1H_IbLb0EEEEDaS1D_S1E_EUlS1D_E_NS1_11comp_targetILNS1_3genE5ELNS1_11target_archE942ELNS1_3gpuE9ELNS1_3repE0EEENS1_30default_config_static_selectorELNS0_4arch9wavefront6targetE0EEEvT1_.uses_flat_scratch, 0
	.set _ZN7rocprim17ROCPRIM_400000_NS6detail17trampoline_kernelINS0_14default_configENS1_25partition_config_selectorILNS1_17partition_subalgoE6EiNS0_10empty_typeEbEEZZNS1_14partition_implILS5_6ELb0ES3_mN6thrust23THRUST_200600_302600_NS10device_ptrIiEEPS6_SD_NS0_5tupleIJSC_S6_EEENSE_IJSD_SD_EEES6_PlJNSA_6detail9not_fun_tINSI_10functional5actorINSK_9compositeIJNSK_27transparent_binary_operatorINSA_8equal_toIvEEEENSL_INSK_8argumentILj0EEEEENSK_5valueIiEEEEEEEEEEEE10hipError_tPvRmT3_T4_T5_T6_T7_T9_mT8_P12ihipStream_tbDpT10_ENKUlT_T0_E_clISt17integral_constantIbLb1EES1H_IbLb0EEEEDaS1D_S1E_EUlS1D_E_NS1_11comp_targetILNS1_3genE5ELNS1_11target_archE942ELNS1_3gpuE9ELNS1_3repE0EEENS1_30default_config_static_selectorELNS0_4arch9wavefront6targetE0EEEvT1_.has_dyn_sized_stack, 0
	.set _ZN7rocprim17ROCPRIM_400000_NS6detail17trampoline_kernelINS0_14default_configENS1_25partition_config_selectorILNS1_17partition_subalgoE6EiNS0_10empty_typeEbEEZZNS1_14partition_implILS5_6ELb0ES3_mN6thrust23THRUST_200600_302600_NS10device_ptrIiEEPS6_SD_NS0_5tupleIJSC_S6_EEENSE_IJSD_SD_EEES6_PlJNSA_6detail9not_fun_tINSI_10functional5actorINSK_9compositeIJNSK_27transparent_binary_operatorINSA_8equal_toIvEEEENSL_INSK_8argumentILj0EEEEENSK_5valueIiEEEEEEEEEEEE10hipError_tPvRmT3_T4_T5_T6_T7_T9_mT8_P12ihipStream_tbDpT10_ENKUlT_T0_E_clISt17integral_constantIbLb1EES1H_IbLb0EEEEDaS1D_S1E_EUlS1D_E_NS1_11comp_targetILNS1_3genE5ELNS1_11target_archE942ELNS1_3gpuE9ELNS1_3repE0EEENS1_30default_config_static_selectorELNS0_4arch9wavefront6targetE0EEEvT1_.has_recursion, 0
	.set _ZN7rocprim17ROCPRIM_400000_NS6detail17trampoline_kernelINS0_14default_configENS1_25partition_config_selectorILNS1_17partition_subalgoE6EiNS0_10empty_typeEbEEZZNS1_14partition_implILS5_6ELb0ES3_mN6thrust23THRUST_200600_302600_NS10device_ptrIiEEPS6_SD_NS0_5tupleIJSC_S6_EEENSE_IJSD_SD_EEES6_PlJNSA_6detail9not_fun_tINSI_10functional5actorINSK_9compositeIJNSK_27transparent_binary_operatorINSA_8equal_toIvEEEENSL_INSK_8argumentILj0EEEEENSK_5valueIiEEEEEEEEEEEE10hipError_tPvRmT3_T4_T5_T6_T7_T9_mT8_P12ihipStream_tbDpT10_ENKUlT_T0_E_clISt17integral_constantIbLb1EES1H_IbLb0EEEEDaS1D_S1E_EUlS1D_E_NS1_11comp_targetILNS1_3genE5ELNS1_11target_archE942ELNS1_3gpuE9ELNS1_3repE0EEENS1_30default_config_static_selectorELNS0_4arch9wavefront6targetE0EEEvT1_.has_indirect_call, 0
	.section	.AMDGPU.csdata,"",@progbits
; Kernel info:
; codeLenInByte = 0
; TotalNumSgprs: 0
; NumVgprs: 0
; ScratchSize: 0
; MemoryBound: 0
; FloatMode: 240
; IeeeMode: 1
; LDSByteSize: 0 bytes/workgroup (compile time only)
; SGPRBlocks: 0
; VGPRBlocks: 0
; NumSGPRsForWavesPerEU: 1
; NumVGPRsForWavesPerEU: 1
; Occupancy: 16
; WaveLimiterHint : 0
; COMPUTE_PGM_RSRC2:SCRATCH_EN: 0
; COMPUTE_PGM_RSRC2:USER_SGPR: 2
; COMPUTE_PGM_RSRC2:TRAP_HANDLER: 0
; COMPUTE_PGM_RSRC2:TGID_X_EN: 1
; COMPUTE_PGM_RSRC2:TGID_Y_EN: 0
; COMPUTE_PGM_RSRC2:TGID_Z_EN: 0
; COMPUTE_PGM_RSRC2:TIDIG_COMP_CNT: 0
	.section	.text._ZN7rocprim17ROCPRIM_400000_NS6detail17trampoline_kernelINS0_14default_configENS1_25partition_config_selectorILNS1_17partition_subalgoE6EiNS0_10empty_typeEbEEZZNS1_14partition_implILS5_6ELb0ES3_mN6thrust23THRUST_200600_302600_NS10device_ptrIiEEPS6_SD_NS0_5tupleIJSC_S6_EEENSE_IJSD_SD_EEES6_PlJNSA_6detail9not_fun_tINSI_10functional5actorINSK_9compositeIJNSK_27transparent_binary_operatorINSA_8equal_toIvEEEENSL_INSK_8argumentILj0EEEEENSK_5valueIiEEEEEEEEEEEE10hipError_tPvRmT3_T4_T5_T6_T7_T9_mT8_P12ihipStream_tbDpT10_ENKUlT_T0_E_clISt17integral_constantIbLb1EES1H_IbLb0EEEEDaS1D_S1E_EUlS1D_E_NS1_11comp_targetILNS1_3genE4ELNS1_11target_archE910ELNS1_3gpuE8ELNS1_3repE0EEENS1_30default_config_static_selectorELNS0_4arch9wavefront6targetE0EEEvT1_,"axG",@progbits,_ZN7rocprim17ROCPRIM_400000_NS6detail17trampoline_kernelINS0_14default_configENS1_25partition_config_selectorILNS1_17partition_subalgoE6EiNS0_10empty_typeEbEEZZNS1_14partition_implILS5_6ELb0ES3_mN6thrust23THRUST_200600_302600_NS10device_ptrIiEEPS6_SD_NS0_5tupleIJSC_S6_EEENSE_IJSD_SD_EEES6_PlJNSA_6detail9not_fun_tINSI_10functional5actorINSK_9compositeIJNSK_27transparent_binary_operatorINSA_8equal_toIvEEEENSL_INSK_8argumentILj0EEEEENSK_5valueIiEEEEEEEEEEEE10hipError_tPvRmT3_T4_T5_T6_T7_T9_mT8_P12ihipStream_tbDpT10_ENKUlT_T0_E_clISt17integral_constantIbLb1EES1H_IbLb0EEEEDaS1D_S1E_EUlS1D_E_NS1_11comp_targetILNS1_3genE4ELNS1_11target_archE910ELNS1_3gpuE8ELNS1_3repE0EEENS1_30default_config_static_selectorELNS0_4arch9wavefront6targetE0EEEvT1_,comdat
	.protected	_ZN7rocprim17ROCPRIM_400000_NS6detail17trampoline_kernelINS0_14default_configENS1_25partition_config_selectorILNS1_17partition_subalgoE6EiNS0_10empty_typeEbEEZZNS1_14partition_implILS5_6ELb0ES3_mN6thrust23THRUST_200600_302600_NS10device_ptrIiEEPS6_SD_NS0_5tupleIJSC_S6_EEENSE_IJSD_SD_EEES6_PlJNSA_6detail9not_fun_tINSI_10functional5actorINSK_9compositeIJNSK_27transparent_binary_operatorINSA_8equal_toIvEEEENSL_INSK_8argumentILj0EEEEENSK_5valueIiEEEEEEEEEEEE10hipError_tPvRmT3_T4_T5_T6_T7_T9_mT8_P12ihipStream_tbDpT10_ENKUlT_T0_E_clISt17integral_constantIbLb1EES1H_IbLb0EEEEDaS1D_S1E_EUlS1D_E_NS1_11comp_targetILNS1_3genE4ELNS1_11target_archE910ELNS1_3gpuE8ELNS1_3repE0EEENS1_30default_config_static_selectorELNS0_4arch9wavefront6targetE0EEEvT1_ ; -- Begin function _ZN7rocprim17ROCPRIM_400000_NS6detail17trampoline_kernelINS0_14default_configENS1_25partition_config_selectorILNS1_17partition_subalgoE6EiNS0_10empty_typeEbEEZZNS1_14partition_implILS5_6ELb0ES3_mN6thrust23THRUST_200600_302600_NS10device_ptrIiEEPS6_SD_NS0_5tupleIJSC_S6_EEENSE_IJSD_SD_EEES6_PlJNSA_6detail9not_fun_tINSI_10functional5actorINSK_9compositeIJNSK_27transparent_binary_operatorINSA_8equal_toIvEEEENSL_INSK_8argumentILj0EEEEENSK_5valueIiEEEEEEEEEEEE10hipError_tPvRmT3_T4_T5_T6_T7_T9_mT8_P12ihipStream_tbDpT10_ENKUlT_T0_E_clISt17integral_constantIbLb1EES1H_IbLb0EEEEDaS1D_S1E_EUlS1D_E_NS1_11comp_targetILNS1_3genE4ELNS1_11target_archE910ELNS1_3gpuE8ELNS1_3repE0EEENS1_30default_config_static_selectorELNS0_4arch9wavefront6targetE0EEEvT1_
	.globl	_ZN7rocprim17ROCPRIM_400000_NS6detail17trampoline_kernelINS0_14default_configENS1_25partition_config_selectorILNS1_17partition_subalgoE6EiNS0_10empty_typeEbEEZZNS1_14partition_implILS5_6ELb0ES3_mN6thrust23THRUST_200600_302600_NS10device_ptrIiEEPS6_SD_NS0_5tupleIJSC_S6_EEENSE_IJSD_SD_EEES6_PlJNSA_6detail9not_fun_tINSI_10functional5actorINSK_9compositeIJNSK_27transparent_binary_operatorINSA_8equal_toIvEEEENSL_INSK_8argumentILj0EEEEENSK_5valueIiEEEEEEEEEEEE10hipError_tPvRmT3_T4_T5_T6_T7_T9_mT8_P12ihipStream_tbDpT10_ENKUlT_T0_E_clISt17integral_constantIbLb1EES1H_IbLb0EEEEDaS1D_S1E_EUlS1D_E_NS1_11comp_targetILNS1_3genE4ELNS1_11target_archE910ELNS1_3gpuE8ELNS1_3repE0EEENS1_30default_config_static_selectorELNS0_4arch9wavefront6targetE0EEEvT1_
	.p2align	8
	.type	_ZN7rocprim17ROCPRIM_400000_NS6detail17trampoline_kernelINS0_14default_configENS1_25partition_config_selectorILNS1_17partition_subalgoE6EiNS0_10empty_typeEbEEZZNS1_14partition_implILS5_6ELb0ES3_mN6thrust23THRUST_200600_302600_NS10device_ptrIiEEPS6_SD_NS0_5tupleIJSC_S6_EEENSE_IJSD_SD_EEES6_PlJNSA_6detail9not_fun_tINSI_10functional5actorINSK_9compositeIJNSK_27transparent_binary_operatorINSA_8equal_toIvEEEENSL_INSK_8argumentILj0EEEEENSK_5valueIiEEEEEEEEEEEE10hipError_tPvRmT3_T4_T5_T6_T7_T9_mT8_P12ihipStream_tbDpT10_ENKUlT_T0_E_clISt17integral_constantIbLb1EES1H_IbLb0EEEEDaS1D_S1E_EUlS1D_E_NS1_11comp_targetILNS1_3genE4ELNS1_11target_archE910ELNS1_3gpuE8ELNS1_3repE0EEENS1_30default_config_static_selectorELNS0_4arch9wavefront6targetE0EEEvT1_,@function
_ZN7rocprim17ROCPRIM_400000_NS6detail17trampoline_kernelINS0_14default_configENS1_25partition_config_selectorILNS1_17partition_subalgoE6EiNS0_10empty_typeEbEEZZNS1_14partition_implILS5_6ELb0ES3_mN6thrust23THRUST_200600_302600_NS10device_ptrIiEEPS6_SD_NS0_5tupleIJSC_S6_EEENSE_IJSD_SD_EEES6_PlJNSA_6detail9not_fun_tINSI_10functional5actorINSK_9compositeIJNSK_27transparent_binary_operatorINSA_8equal_toIvEEEENSL_INSK_8argumentILj0EEEEENSK_5valueIiEEEEEEEEEEEE10hipError_tPvRmT3_T4_T5_T6_T7_T9_mT8_P12ihipStream_tbDpT10_ENKUlT_T0_E_clISt17integral_constantIbLb1EES1H_IbLb0EEEEDaS1D_S1E_EUlS1D_E_NS1_11comp_targetILNS1_3genE4ELNS1_11target_archE910ELNS1_3gpuE8ELNS1_3repE0EEENS1_30default_config_static_selectorELNS0_4arch9wavefront6targetE0EEEvT1_: ; @_ZN7rocprim17ROCPRIM_400000_NS6detail17trampoline_kernelINS0_14default_configENS1_25partition_config_selectorILNS1_17partition_subalgoE6EiNS0_10empty_typeEbEEZZNS1_14partition_implILS5_6ELb0ES3_mN6thrust23THRUST_200600_302600_NS10device_ptrIiEEPS6_SD_NS0_5tupleIJSC_S6_EEENSE_IJSD_SD_EEES6_PlJNSA_6detail9not_fun_tINSI_10functional5actorINSK_9compositeIJNSK_27transparent_binary_operatorINSA_8equal_toIvEEEENSL_INSK_8argumentILj0EEEEENSK_5valueIiEEEEEEEEEEEE10hipError_tPvRmT3_T4_T5_T6_T7_T9_mT8_P12ihipStream_tbDpT10_ENKUlT_T0_E_clISt17integral_constantIbLb1EES1H_IbLb0EEEEDaS1D_S1E_EUlS1D_E_NS1_11comp_targetILNS1_3genE4ELNS1_11target_archE910ELNS1_3gpuE8ELNS1_3repE0EEENS1_30default_config_static_selectorELNS0_4arch9wavefront6targetE0EEEvT1_
; %bb.0:
	.section	.rodata,"a",@progbits
	.p2align	6, 0x0
	.amdhsa_kernel _ZN7rocprim17ROCPRIM_400000_NS6detail17trampoline_kernelINS0_14default_configENS1_25partition_config_selectorILNS1_17partition_subalgoE6EiNS0_10empty_typeEbEEZZNS1_14partition_implILS5_6ELb0ES3_mN6thrust23THRUST_200600_302600_NS10device_ptrIiEEPS6_SD_NS0_5tupleIJSC_S6_EEENSE_IJSD_SD_EEES6_PlJNSA_6detail9not_fun_tINSI_10functional5actorINSK_9compositeIJNSK_27transparent_binary_operatorINSA_8equal_toIvEEEENSL_INSK_8argumentILj0EEEEENSK_5valueIiEEEEEEEEEEEE10hipError_tPvRmT3_T4_T5_T6_T7_T9_mT8_P12ihipStream_tbDpT10_ENKUlT_T0_E_clISt17integral_constantIbLb1EES1H_IbLb0EEEEDaS1D_S1E_EUlS1D_E_NS1_11comp_targetILNS1_3genE4ELNS1_11target_archE910ELNS1_3gpuE8ELNS1_3repE0EEENS1_30default_config_static_selectorELNS0_4arch9wavefront6targetE0EEEvT1_
		.amdhsa_group_segment_fixed_size 0
		.amdhsa_private_segment_fixed_size 0
		.amdhsa_kernarg_size 120
		.amdhsa_user_sgpr_count 2
		.amdhsa_user_sgpr_dispatch_ptr 0
		.amdhsa_user_sgpr_queue_ptr 0
		.amdhsa_user_sgpr_kernarg_segment_ptr 1
		.amdhsa_user_sgpr_dispatch_id 0
		.amdhsa_user_sgpr_private_segment_size 0
		.amdhsa_wavefront_size32 1
		.amdhsa_uses_dynamic_stack 0
		.amdhsa_enable_private_segment 0
		.amdhsa_system_sgpr_workgroup_id_x 1
		.amdhsa_system_sgpr_workgroup_id_y 0
		.amdhsa_system_sgpr_workgroup_id_z 0
		.amdhsa_system_sgpr_workgroup_info 0
		.amdhsa_system_vgpr_workitem_id 0
		.amdhsa_next_free_vgpr 1
		.amdhsa_next_free_sgpr 1
		.amdhsa_reserve_vcc 0
		.amdhsa_float_round_mode_32 0
		.amdhsa_float_round_mode_16_64 0
		.amdhsa_float_denorm_mode_32 3
		.amdhsa_float_denorm_mode_16_64 3
		.amdhsa_fp16_overflow 0
		.amdhsa_workgroup_processor_mode 1
		.amdhsa_memory_ordered 1
		.amdhsa_forward_progress 1
		.amdhsa_inst_pref_size 0
		.amdhsa_round_robin_scheduling 0
		.amdhsa_exception_fp_ieee_invalid_op 0
		.amdhsa_exception_fp_denorm_src 0
		.amdhsa_exception_fp_ieee_div_zero 0
		.amdhsa_exception_fp_ieee_overflow 0
		.amdhsa_exception_fp_ieee_underflow 0
		.amdhsa_exception_fp_ieee_inexact 0
		.amdhsa_exception_int_div_zero 0
	.end_amdhsa_kernel
	.section	.text._ZN7rocprim17ROCPRIM_400000_NS6detail17trampoline_kernelINS0_14default_configENS1_25partition_config_selectorILNS1_17partition_subalgoE6EiNS0_10empty_typeEbEEZZNS1_14partition_implILS5_6ELb0ES3_mN6thrust23THRUST_200600_302600_NS10device_ptrIiEEPS6_SD_NS0_5tupleIJSC_S6_EEENSE_IJSD_SD_EEES6_PlJNSA_6detail9not_fun_tINSI_10functional5actorINSK_9compositeIJNSK_27transparent_binary_operatorINSA_8equal_toIvEEEENSL_INSK_8argumentILj0EEEEENSK_5valueIiEEEEEEEEEEEE10hipError_tPvRmT3_T4_T5_T6_T7_T9_mT8_P12ihipStream_tbDpT10_ENKUlT_T0_E_clISt17integral_constantIbLb1EES1H_IbLb0EEEEDaS1D_S1E_EUlS1D_E_NS1_11comp_targetILNS1_3genE4ELNS1_11target_archE910ELNS1_3gpuE8ELNS1_3repE0EEENS1_30default_config_static_selectorELNS0_4arch9wavefront6targetE0EEEvT1_,"axG",@progbits,_ZN7rocprim17ROCPRIM_400000_NS6detail17trampoline_kernelINS0_14default_configENS1_25partition_config_selectorILNS1_17partition_subalgoE6EiNS0_10empty_typeEbEEZZNS1_14partition_implILS5_6ELb0ES3_mN6thrust23THRUST_200600_302600_NS10device_ptrIiEEPS6_SD_NS0_5tupleIJSC_S6_EEENSE_IJSD_SD_EEES6_PlJNSA_6detail9not_fun_tINSI_10functional5actorINSK_9compositeIJNSK_27transparent_binary_operatorINSA_8equal_toIvEEEENSL_INSK_8argumentILj0EEEEENSK_5valueIiEEEEEEEEEEEE10hipError_tPvRmT3_T4_T5_T6_T7_T9_mT8_P12ihipStream_tbDpT10_ENKUlT_T0_E_clISt17integral_constantIbLb1EES1H_IbLb0EEEEDaS1D_S1E_EUlS1D_E_NS1_11comp_targetILNS1_3genE4ELNS1_11target_archE910ELNS1_3gpuE8ELNS1_3repE0EEENS1_30default_config_static_selectorELNS0_4arch9wavefront6targetE0EEEvT1_,comdat
.Lfunc_end2863:
	.size	_ZN7rocprim17ROCPRIM_400000_NS6detail17trampoline_kernelINS0_14default_configENS1_25partition_config_selectorILNS1_17partition_subalgoE6EiNS0_10empty_typeEbEEZZNS1_14partition_implILS5_6ELb0ES3_mN6thrust23THRUST_200600_302600_NS10device_ptrIiEEPS6_SD_NS0_5tupleIJSC_S6_EEENSE_IJSD_SD_EEES6_PlJNSA_6detail9not_fun_tINSI_10functional5actorINSK_9compositeIJNSK_27transparent_binary_operatorINSA_8equal_toIvEEEENSL_INSK_8argumentILj0EEEEENSK_5valueIiEEEEEEEEEEEE10hipError_tPvRmT3_T4_T5_T6_T7_T9_mT8_P12ihipStream_tbDpT10_ENKUlT_T0_E_clISt17integral_constantIbLb1EES1H_IbLb0EEEEDaS1D_S1E_EUlS1D_E_NS1_11comp_targetILNS1_3genE4ELNS1_11target_archE910ELNS1_3gpuE8ELNS1_3repE0EEENS1_30default_config_static_selectorELNS0_4arch9wavefront6targetE0EEEvT1_, .Lfunc_end2863-_ZN7rocprim17ROCPRIM_400000_NS6detail17trampoline_kernelINS0_14default_configENS1_25partition_config_selectorILNS1_17partition_subalgoE6EiNS0_10empty_typeEbEEZZNS1_14partition_implILS5_6ELb0ES3_mN6thrust23THRUST_200600_302600_NS10device_ptrIiEEPS6_SD_NS0_5tupleIJSC_S6_EEENSE_IJSD_SD_EEES6_PlJNSA_6detail9not_fun_tINSI_10functional5actorINSK_9compositeIJNSK_27transparent_binary_operatorINSA_8equal_toIvEEEENSL_INSK_8argumentILj0EEEEENSK_5valueIiEEEEEEEEEEEE10hipError_tPvRmT3_T4_T5_T6_T7_T9_mT8_P12ihipStream_tbDpT10_ENKUlT_T0_E_clISt17integral_constantIbLb1EES1H_IbLb0EEEEDaS1D_S1E_EUlS1D_E_NS1_11comp_targetILNS1_3genE4ELNS1_11target_archE910ELNS1_3gpuE8ELNS1_3repE0EEENS1_30default_config_static_selectorELNS0_4arch9wavefront6targetE0EEEvT1_
                                        ; -- End function
	.set _ZN7rocprim17ROCPRIM_400000_NS6detail17trampoline_kernelINS0_14default_configENS1_25partition_config_selectorILNS1_17partition_subalgoE6EiNS0_10empty_typeEbEEZZNS1_14partition_implILS5_6ELb0ES3_mN6thrust23THRUST_200600_302600_NS10device_ptrIiEEPS6_SD_NS0_5tupleIJSC_S6_EEENSE_IJSD_SD_EEES6_PlJNSA_6detail9not_fun_tINSI_10functional5actorINSK_9compositeIJNSK_27transparent_binary_operatorINSA_8equal_toIvEEEENSL_INSK_8argumentILj0EEEEENSK_5valueIiEEEEEEEEEEEE10hipError_tPvRmT3_T4_T5_T6_T7_T9_mT8_P12ihipStream_tbDpT10_ENKUlT_T0_E_clISt17integral_constantIbLb1EES1H_IbLb0EEEEDaS1D_S1E_EUlS1D_E_NS1_11comp_targetILNS1_3genE4ELNS1_11target_archE910ELNS1_3gpuE8ELNS1_3repE0EEENS1_30default_config_static_selectorELNS0_4arch9wavefront6targetE0EEEvT1_.num_vgpr, 0
	.set _ZN7rocprim17ROCPRIM_400000_NS6detail17trampoline_kernelINS0_14default_configENS1_25partition_config_selectorILNS1_17partition_subalgoE6EiNS0_10empty_typeEbEEZZNS1_14partition_implILS5_6ELb0ES3_mN6thrust23THRUST_200600_302600_NS10device_ptrIiEEPS6_SD_NS0_5tupleIJSC_S6_EEENSE_IJSD_SD_EEES6_PlJNSA_6detail9not_fun_tINSI_10functional5actorINSK_9compositeIJNSK_27transparent_binary_operatorINSA_8equal_toIvEEEENSL_INSK_8argumentILj0EEEEENSK_5valueIiEEEEEEEEEEEE10hipError_tPvRmT3_T4_T5_T6_T7_T9_mT8_P12ihipStream_tbDpT10_ENKUlT_T0_E_clISt17integral_constantIbLb1EES1H_IbLb0EEEEDaS1D_S1E_EUlS1D_E_NS1_11comp_targetILNS1_3genE4ELNS1_11target_archE910ELNS1_3gpuE8ELNS1_3repE0EEENS1_30default_config_static_selectorELNS0_4arch9wavefront6targetE0EEEvT1_.num_agpr, 0
	.set _ZN7rocprim17ROCPRIM_400000_NS6detail17trampoline_kernelINS0_14default_configENS1_25partition_config_selectorILNS1_17partition_subalgoE6EiNS0_10empty_typeEbEEZZNS1_14partition_implILS5_6ELb0ES3_mN6thrust23THRUST_200600_302600_NS10device_ptrIiEEPS6_SD_NS0_5tupleIJSC_S6_EEENSE_IJSD_SD_EEES6_PlJNSA_6detail9not_fun_tINSI_10functional5actorINSK_9compositeIJNSK_27transparent_binary_operatorINSA_8equal_toIvEEEENSL_INSK_8argumentILj0EEEEENSK_5valueIiEEEEEEEEEEEE10hipError_tPvRmT3_T4_T5_T6_T7_T9_mT8_P12ihipStream_tbDpT10_ENKUlT_T0_E_clISt17integral_constantIbLb1EES1H_IbLb0EEEEDaS1D_S1E_EUlS1D_E_NS1_11comp_targetILNS1_3genE4ELNS1_11target_archE910ELNS1_3gpuE8ELNS1_3repE0EEENS1_30default_config_static_selectorELNS0_4arch9wavefront6targetE0EEEvT1_.numbered_sgpr, 0
	.set _ZN7rocprim17ROCPRIM_400000_NS6detail17trampoline_kernelINS0_14default_configENS1_25partition_config_selectorILNS1_17partition_subalgoE6EiNS0_10empty_typeEbEEZZNS1_14partition_implILS5_6ELb0ES3_mN6thrust23THRUST_200600_302600_NS10device_ptrIiEEPS6_SD_NS0_5tupleIJSC_S6_EEENSE_IJSD_SD_EEES6_PlJNSA_6detail9not_fun_tINSI_10functional5actorINSK_9compositeIJNSK_27transparent_binary_operatorINSA_8equal_toIvEEEENSL_INSK_8argumentILj0EEEEENSK_5valueIiEEEEEEEEEEEE10hipError_tPvRmT3_T4_T5_T6_T7_T9_mT8_P12ihipStream_tbDpT10_ENKUlT_T0_E_clISt17integral_constantIbLb1EES1H_IbLb0EEEEDaS1D_S1E_EUlS1D_E_NS1_11comp_targetILNS1_3genE4ELNS1_11target_archE910ELNS1_3gpuE8ELNS1_3repE0EEENS1_30default_config_static_selectorELNS0_4arch9wavefront6targetE0EEEvT1_.num_named_barrier, 0
	.set _ZN7rocprim17ROCPRIM_400000_NS6detail17trampoline_kernelINS0_14default_configENS1_25partition_config_selectorILNS1_17partition_subalgoE6EiNS0_10empty_typeEbEEZZNS1_14partition_implILS5_6ELb0ES3_mN6thrust23THRUST_200600_302600_NS10device_ptrIiEEPS6_SD_NS0_5tupleIJSC_S6_EEENSE_IJSD_SD_EEES6_PlJNSA_6detail9not_fun_tINSI_10functional5actorINSK_9compositeIJNSK_27transparent_binary_operatorINSA_8equal_toIvEEEENSL_INSK_8argumentILj0EEEEENSK_5valueIiEEEEEEEEEEEE10hipError_tPvRmT3_T4_T5_T6_T7_T9_mT8_P12ihipStream_tbDpT10_ENKUlT_T0_E_clISt17integral_constantIbLb1EES1H_IbLb0EEEEDaS1D_S1E_EUlS1D_E_NS1_11comp_targetILNS1_3genE4ELNS1_11target_archE910ELNS1_3gpuE8ELNS1_3repE0EEENS1_30default_config_static_selectorELNS0_4arch9wavefront6targetE0EEEvT1_.private_seg_size, 0
	.set _ZN7rocprim17ROCPRIM_400000_NS6detail17trampoline_kernelINS0_14default_configENS1_25partition_config_selectorILNS1_17partition_subalgoE6EiNS0_10empty_typeEbEEZZNS1_14partition_implILS5_6ELb0ES3_mN6thrust23THRUST_200600_302600_NS10device_ptrIiEEPS6_SD_NS0_5tupleIJSC_S6_EEENSE_IJSD_SD_EEES6_PlJNSA_6detail9not_fun_tINSI_10functional5actorINSK_9compositeIJNSK_27transparent_binary_operatorINSA_8equal_toIvEEEENSL_INSK_8argumentILj0EEEEENSK_5valueIiEEEEEEEEEEEE10hipError_tPvRmT3_T4_T5_T6_T7_T9_mT8_P12ihipStream_tbDpT10_ENKUlT_T0_E_clISt17integral_constantIbLb1EES1H_IbLb0EEEEDaS1D_S1E_EUlS1D_E_NS1_11comp_targetILNS1_3genE4ELNS1_11target_archE910ELNS1_3gpuE8ELNS1_3repE0EEENS1_30default_config_static_selectorELNS0_4arch9wavefront6targetE0EEEvT1_.uses_vcc, 0
	.set _ZN7rocprim17ROCPRIM_400000_NS6detail17trampoline_kernelINS0_14default_configENS1_25partition_config_selectorILNS1_17partition_subalgoE6EiNS0_10empty_typeEbEEZZNS1_14partition_implILS5_6ELb0ES3_mN6thrust23THRUST_200600_302600_NS10device_ptrIiEEPS6_SD_NS0_5tupleIJSC_S6_EEENSE_IJSD_SD_EEES6_PlJNSA_6detail9not_fun_tINSI_10functional5actorINSK_9compositeIJNSK_27transparent_binary_operatorINSA_8equal_toIvEEEENSL_INSK_8argumentILj0EEEEENSK_5valueIiEEEEEEEEEEEE10hipError_tPvRmT3_T4_T5_T6_T7_T9_mT8_P12ihipStream_tbDpT10_ENKUlT_T0_E_clISt17integral_constantIbLb1EES1H_IbLb0EEEEDaS1D_S1E_EUlS1D_E_NS1_11comp_targetILNS1_3genE4ELNS1_11target_archE910ELNS1_3gpuE8ELNS1_3repE0EEENS1_30default_config_static_selectorELNS0_4arch9wavefront6targetE0EEEvT1_.uses_flat_scratch, 0
	.set _ZN7rocprim17ROCPRIM_400000_NS6detail17trampoline_kernelINS0_14default_configENS1_25partition_config_selectorILNS1_17partition_subalgoE6EiNS0_10empty_typeEbEEZZNS1_14partition_implILS5_6ELb0ES3_mN6thrust23THRUST_200600_302600_NS10device_ptrIiEEPS6_SD_NS0_5tupleIJSC_S6_EEENSE_IJSD_SD_EEES6_PlJNSA_6detail9not_fun_tINSI_10functional5actorINSK_9compositeIJNSK_27transparent_binary_operatorINSA_8equal_toIvEEEENSL_INSK_8argumentILj0EEEEENSK_5valueIiEEEEEEEEEEEE10hipError_tPvRmT3_T4_T5_T6_T7_T9_mT8_P12ihipStream_tbDpT10_ENKUlT_T0_E_clISt17integral_constantIbLb1EES1H_IbLb0EEEEDaS1D_S1E_EUlS1D_E_NS1_11comp_targetILNS1_3genE4ELNS1_11target_archE910ELNS1_3gpuE8ELNS1_3repE0EEENS1_30default_config_static_selectorELNS0_4arch9wavefront6targetE0EEEvT1_.has_dyn_sized_stack, 0
	.set _ZN7rocprim17ROCPRIM_400000_NS6detail17trampoline_kernelINS0_14default_configENS1_25partition_config_selectorILNS1_17partition_subalgoE6EiNS0_10empty_typeEbEEZZNS1_14partition_implILS5_6ELb0ES3_mN6thrust23THRUST_200600_302600_NS10device_ptrIiEEPS6_SD_NS0_5tupleIJSC_S6_EEENSE_IJSD_SD_EEES6_PlJNSA_6detail9not_fun_tINSI_10functional5actorINSK_9compositeIJNSK_27transparent_binary_operatorINSA_8equal_toIvEEEENSL_INSK_8argumentILj0EEEEENSK_5valueIiEEEEEEEEEEEE10hipError_tPvRmT3_T4_T5_T6_T7_T9_mT8_P12ihipStream_tbDpT10_ENKUlT_T0_E_clISt17integral_constantIbLb1EES1H_IbLb0EEEEDaS1D_S1E_EUlS1D_E_NS1_11comp_targetILNS1_3genE4ELNS1_11target_archE910ELNS1_3gpuE8ELNS1_3repE0EEENS1_30default_config_static_selectorELNS0_4arch9wavefront6targetE0EEEvT1_.has_recursion, 0
	.set _ZN7rocprim17ROCPRIM_400000_NS6detail17trampoline_kernelINS0_14default_configENS1_25partition_config_selectorILNS1_17partition_subalgoE6EiNS0_10empty_typeEbEEZZNS1_14partition_implILS5_6ELb0ES3_mN6thrust23THRUST_200600_302600_NS10device_ptrIiEEPS6_SD_NS0_5tupleIJSC_S6_EEENSE_IJSD_SD_EEES6_PlJNSA_6detail9not_fun_tINSI_10functional5actorINSK_9compositeIJNSK_27transparent_binary_operatorINSA_8equal_toIvEEEENSL_INSK_8argumentILj0EEEEENSK_5valueIiEEEEEEEEEEEE10hipError_tPvRmT3_T4_T5_T6_T7_T9_mT8_P12ihipStream_tbDpT10_ENKUlT_T0_E_clISt17integral_constantIbLb1EES1H_IbLb0EEEEDaS1D_S1E_EUlS1D_E_NS1_11comp_targetILNS1_3genE4ELNS1_11target_archE910ELNS1_3gpuE8ELNS1_3repE0EEENS1_30default_config_static_selectorELNS0_4arch9wavefront6targetE0EEEvT1_.has_indirect_call, 0
	.section	.AMDGPU.csdata,"",@progbits
; Kernel info:
; codeLenInByte = 0
; TotalNumSgprs: 0
; NumVgprs: 0
; ScratchSize: 0
; MemoryBound: 0
; FloatMode: 240
; IeeeMode: 1
; LDSByteSize: 0 bytes/workgroup (compile time only)
; SGPRBlocks: 0
; VGPRBlocks: 0
; NumSGPRsForWavesPerEU: 1
; NumVGPRsForWavesPerEU: 1
; Occupancy: 16
; WaveLimiterHint : 0
; COMPUTE_PGM_RSRC2:SCRATCH_EN: 0
; COMPUTE_PGM_RSRC2:USER_SGPR: 2
; COMPUTE_PGM_RSRC2:TRAP_HANDLER: 0
; COMPUTE_PGM_RSRC2:TGID_X_EN: 1
; COMPUTE_PGM_RSRC2:TGID_Y_EN: 0
; COMPUTE_PGM_RSRC2:TGID_Z_EN: 0
; COMPUTE_PGM_RSRC2:TIDIG_COMP_CNT: 0
	.section	.text._ZN7rocprim17ROCPRIM_400000_NS6detail17trampoline_kernelINS0_14default_configENS1_25partition_config_selectorILNS1_17partition_subalgoE6EiNS0_10empty_typeEbEEZZNS1_14partition_implILS5_6ELb0ES3_mN6thrust23THRUST_200600_302600_NS10device_ptrIiEEPS6_SD_NS0_5tupleIJSC_S6_EEENSE_IJSD_SD_EEES6_PlJNSA_6detail9not_fun_tINSI_10functional5actorINSK_9compositeIJNSK_27transparent_binary_operatorINSA_8equal_toIvEEEENSL_INSK_8argumentILj0EEEEENSK_5valueIiEEEEEEEEEEEE10hipError_tPvRmT3_T4_T5_T6_T7_T9_mT8_P12ihipStream_tbDpT10_ENKUlT_T0_E_clISt17integral_constantIbLb1EES1H_IbLb0EEEEDaS1D_S1E_EUlS1D_E_NS1_11comp_targetILNS1_3genE3ELNS1_11target_archE908ELNS1_3gpuE7ELNS1_3repE0EEENS1_30default_config_static_selectorELNS0_4arch9wavefront6targetE0EEEvT1_,"axG",@progbits,_ZN7rocprim17ROCPRIM_400000_NS6detail17trampoline_kernelINS0_14default_configENS1_25partition_config_selectorILNS1_17partition_subalgoE6EiNS0_10empty_typeEbEEZZNS1_14partition_implILS5_6ELb0ES3_mN6thrust23THRUST_200600_302600_NS10device_ptrIiEEPS6_SD_NS0_5tupleIJSC_S6_EEENSE_IJSD_SD_EEES6_PlJNSA_6detail9not_fun_tINSI_10functional5actorINSK_9compositeIJNSK_27transparent_binary_operatorINSA_8equal_toIvEEEENSL_INSK_8argumentILj0EEEEENSK_5valueIiEEEEEEEEEEEE10hipError_tPvRmT3_T4_T5_T6_T7_T9_mT8_P12ihipStream_tbDpT10_ENKUlT_T0_E_clISt17integral_constantIbLb1EES1H_IbLb0EEEEDaS1D_S1E_EUlS1D_E_NS1_11comp_targetILNS1_3genE3ELNS1_11target_archE908ELNS1_3gpuE7ELNS1_3repE0EEENS1_30default_config_static_selectorELNS0_4arch9wavefront6targetE0EEEvT1_,comdat
	.protected	_ZN7rocprim17ROCPRIM_400000_NS6detail17trampoline_kernelINS0_14default_configENS1_25partition_config_selectorILNS1_17partition_subalgoE6EiNS0_10empty_typeEbEEZZNS1_14partition_implILS5_6ELb0ES3_mN6thrust23THRUST_200600_302600_NS10device_ptrIiEEPS6_SD_NS0_5tupleIJSC_S6_EEENSE_IJSD_SD_EEES6_PlJNSA_6detail9not_fun_tINSI_10functional5actorINSK_9compositeIJNSK_27transparent_binary_operatorINSA_8equal_toIvEEEENSL_INSK_8argumentILj0EEEEENSK_5valueIiEEEEEEEEEEEE10hipError_tPvRmT3_T4_T5_T6_T7_T9_mT8_P12ihipStream_tbDpT10_ENKUlT_T0_E_clISt17integral_constantIbLb1EES1H_IbLb0EEEEDaS1D_S1E_EUlS1D_E_NS1_11comp_targetILNS1_3genE3ELNS1_11target_archE908ELNS1_3gpuE7ELNS1_3repE0EEENS1_30default_config_static_selectorELNS0_4arch9wavefront6targetE0EEEvT1_ ; -- Begin function _ZN7rocprim17ROCPRIM_400000_NS6detail17trampoline_kernelINS0_14default_configENS1_25partition_config_selectorILNS1_17partition_subalgoE6EiNS0_10empty_typeEbEEZZNS1_14partition_implILS5_6ELb0ES3_mN6thrust23THRUST_200600_302600_NS10device_ptrIiEEPS6_SD_NS0_5tupleIJSC_S6_EEENSE_IJSD_SD_EEES6_PlJNSA_6detail9not_fun_tINSI_10functional5actorINSK_9compositeIJNSK_27transparent_binary_operatorINSA_8equal_toIvEEEENSL_INSK_8argumentILj0EEEEENSK_5valueIiEEEEEEEEEEEE10hipError_tPvRmT3_T4_T5_T6_T7_T9_mT8_P12ihipStream_tbDpT10_ENKUlT_T0_E_clISt17integral_constantIbLb1EES1H_IbLb0EEEEDaS1D_S1E_EUlS1D_E_NS1_11comp_targetILNS1_3genE3ELNS1_11target_archE908ELNS1_3gpuE7ELNS1_3repE0EEENS1_30default_config_static_selectorELNS0_4arch9wavefront6targetE0EEEvT1_
	.globl	_ZN7rocprim17ROCPRIM_400000_NS6detail17trampoline_kernelINS0_14default_configENS1_25partition_config_selectorILNS1_17partition_subalgoE6EiNS0_10empty_typeEbEEZZNS1_14partition_implILS5_6ELb0ES3_mN6thrust23THRUST_200600_302600_NS10device_ptrIiEEPS6_SD_NS0_5tupleIJSC_S6_EEENSE_IJSD_SD_EEES6_PlJNSA_6detail9not_fun_tINSI_10functional5actorINSK_9compositeIJNSK_27transparent_binary_operatorINSA_8equal_toIvEEEENSL_INSK_8argumentILj0EEEEENSK_5valueIiEEEEEEEEEEEE10hipError_tPvRmT3_T4_T5_T6_T7_T9_mT8_P12ihipStream_tbDpT10_ENKUlT_T0_E_clISt17integral_constantIbLb1EES1H_IbLb0EEEEDaS1D_S1E_EUlS1D_E_NS1_11comp_targetILNS1_3genE3ELNS1_11target_archE908ELNS1_3gpuE7ELNS1_3repE0EEENS1_30default_config_static_selectorELNS0_4arch9wavefront6targetE0EEEvT1_
	.p2align	8
	.type	_ZN7rocprim17ROCPRIM_400000_NS6detail17trampoline_kernelINS0_14default_configENS1_25partition_config_selectorILNS1_17partition_subalgoE6EiNS0_10empty_typeEbEEZZNS1_14partition_implILS5_6ELb0ES3_mN6thrust23THRUST_200600_302600_NS10device_ptrIiEEPS6_SD_NS0_5tupleIJSC_S6_EEENSE_IJSD_SD_EEES6_PlJNSA_6detail9not_fun_tINSI_10functional5actorINSK_9compositeIJNSK_27transparent_binary_operatorINSA_8equal_toIvEEEENSL_INSK_8argumentILj0EEEEENSK_5valueIiEEEEEEEEEEEE10hipError_tPvRmT3_T4_T5_T6_T7_T9_mT8_P12ihipStream_tbDpT10_ENKUlT_T0_E_clISt17integral_constantIbLb1EES1H_IbLb0EEEEDaS1D_S1E_EUlS1D_E_NS1_11comp_targetILNS1_3genE3ELNS1_11target_archE908ELNS1_3gpuE7ELNS1_3repE0EEENS1_30default_config_static_selectorELNS0_4arch9wavefront6targetE0EEEvT1_,@function
_ZN7rocprim17ROCPRIM_400000_NS6detail17trampoline_kernelINS0_14default_configENS1_25partition_config_selectorILNS1_17partition_subalgoE6EiNS0_10empty_typeEbEEZZNS1_14partition_implILS5_6ELb0ES3_mN6thrust23THRUST_200600_302600_NS10device_ptrIiEEPS6_SD_NS0_5tupleIJSC_S6_EEENSE_IJSD_SD_EEES6_PlJNSA_6detail9not_fun_tINSI_10functional5actorINSK_9compositeIJNSK_27transparent_binary_operatorINSA_8equal_toIvEEEENSL_INSK_8argumentILj0EEEEENSK_5valueIiEEEEEEEEEEEE10hipError_tPvRmT3_T4_T5_T6_T7_T9_mT8_P12ihipStream_tbDpT10_ENKUlT_T0_E_clISt17integral_constantIbLb1EES1H_IbLb0EEEEDaS1D_S1E_EUlS1D_E_NS1_11comp_targetILNS1_3genE3ELNS1_11target_archE908ELNS1_3gpuE7ELNS1_3repE0EEENS1_30default_config_static_selectorELNS0_4arch9wavefront6targetE0EEEvT1_: ; @_ZN7rocprim17ROCPRIM_400000_NS6detail17trampoline_kernelINS0_14default_configENS1_25partition_config_selectorILNS1_17partition_subalgoE6EiNS0_10empty_typeEbEEZZNS1_14partition_implILS5_6ELb0ES3_mN6thrust23THRUST_200600_302600_NS10device_ptrIiEEPS6_SD_NS0_5tupleIJSC_S6_EEENSE_IJSD_SD_EEES6_PlJNSA_6detail9not_fun_tINSI_10functional5actorINSK_9compositeIJNSK_27transparent_binary_operatorINSA_8equal_toIvEEEENSL_INSK_8argumentILj0EEEEENSK_5valueIiEEEEEEEEEEEE10hipError_tPvRmT3_T4_T5_T6_T7_T9_mT8_P12ihipStream_tbDpT10_ENKUlT_T0_E_clISt17integral_constantIbLb1EES1H_IbLb0EEEEDaS1D_S1E_EUlS1D_E_NS1_11comp_targetILNS1_3genE3ELNS1_11target_archE908ELNS1_3gpuE7ELNS1_3repE0EEENS1_30default_config_static_selectorELNS0_4arch9wavefront6targetE0EEEvT1_
; %bb.0:
	.section	.rodata,"a",@progbits
	.p2align	6, 0x0
	.amdhsa_kernel _ZN7rocprim17ROCPRIM_400000_NS6detail17trampoline_kernelINS0_14default_configENS1_25partition_config_selectorILNS1_17partition_subalgoE6EiNS0_10empty_typeEbEEZZNS1_14partition_implILS5_6ELb0ES3_mN6thrust23THRUST_200600_302600_NS10device_ptrIiEEPS6_SD_NS0_5tupleIJSC_S6_EEENSE_IJSD_SD_EEES6_PlJNSA_6detail9not_fun_tINSI_10functional5actorINSK_9compositeIJNSK_27transparent_binary_operatorINSA_8equal_toIvEEEENSL_INSK_8argumentILj0EEEEENSK_5valueIiEEEEEEEEEEEE10hipError_tPvRmT3_T4_T5_T6_T7_T9_mT8_P12ihipStream_tbDpT10_ENKUlT_T0_E_clISt17integral_constantIbLb1EES1H_IbLb0EEEEDaS1D_S1E_EUlS1D_E_NS1_11comp_targetILNS1_3genE3ELNS1_11target_archE908ELNS1_3gpuE7ELNS1_3repE0EEENS1_30default_config_static_selectorELNS0_4arch9wavefront6targetE0EEEvT1_
		.amdhsa_group_segment_fixed_size 0
		.amdhsa_private_segment_fixed_size 0
		.amdhsa_kernarg_size 120
		.amdhsa_user_sgpr_count 2
		.amdhsa_user_sgpr_dispatch_ptr 0
		.amdhsa_user_sgpr_queue_ptr 0
		.amdhsa_user_sgpr_kernarg_segment_ptr 1
		.amdhsa_user_sgpr_dispatch_id 0
		.amdhsa_user_sgpr_private_segment_size 0
		.amdhsa_wavefront_size32 1
		.amdhsa_uses_dynamic_stack 0
		.amdhsa_enable_private_segment 0
		.amdhsa_system_sgpr_workgroup_id_x 1
		.amdhsa_system_sgpr_workgroup_id_y 0
		.amdhsa_system_sgpr_workgroup_id_z 0
		.amdhsa_system_sgpr_workgroup_info 0
		.amdhsa_system_vgpr_workitem_id 0
		.amdhsa_next_free_vgpr 1
		.amdhsa_next_free_sgpr 1
		.amdhsa_reserve_vcc 0
		.amdhsa_float_round_mode_32 0
		.amdhsa_float_round_mode_16_64 0
		.amdhsa_float_denorm_mode_32 3
		.amdhsa_float_denorm_mode_16_64 3
		.amdhsa_fp16_overflow 0
		.amdhsa_workgroup_processor_mode 1
		.amdhsa_memory_ordered 1
		.amdhsa_forward_progress 1
		.amdhsa_inst_pref_size 0
		.amdhsa_round_robin_scheduling 0
		.amdhsa_exception_fp_ieee_invalid_op 0
		.amdhsa_exception_fp_denorm_src 0
		.amdhsa_exception_fp_ieee_div_zero 0
		.amdhsa_exception_fp_ieee_overflow 0
		.amdhsa_exception_fp_ieee_underflow 0
		.amdhsa_exception_fp_ieee_inexact 0
		.amdhsa_exception_int_div_zero 0
	.end_amdhsa_kernel
	.section	.text._ZN7rocprim17ROCPRIM_400000_NS6detail17trampoline_kernelINS0_14default_configENS1_25partition_config_selectorILNS1_17partition_subalgoE6EiNS0_10empty_typeEbEEZZNS1_14partition_implILS5_6ELb0ES3_mN6thrust23THRUST_200600_302600_NS10device_ptrIiEEPS6_SD_NS0_5tupleIJSC_S6_EEENSE_IJSD_SD_EEES6_PlJNSA_6detail9not_fun_tINSI_10functional5actorINSK_9compositeIJNSK_27transparent_binary_operatorINSA_8equal_toIvEEEENSL_INSK_8argumentILj0EEEEENSK_5valueIiEEEEEEEEEEEE10hipError_tPvRmT3_T4_T5_T6_T7_T9_mT8_P12ihipStream_tbDpT10_ENKUlT_T0_E_clISt17integral_constantIbLb1EES1H_IbLb0EEEEDaS1D_S1E_EUlS1D_E_NS1_11comp_targetILNS1_3genE3ELNS1_11target_archE908ELNS1_3gpuE7ELNS1_3repE0EEENS1_30default_config_static_selectorELNS0_4arch9wavefront6targetE0EEEvT1_,"axG",@progbits,_ZN7rocprim17ROCPRIM_400000_NS6detail17trampoline_kernelINS0_14default_configENS1_25partition_config_selectorILNS1_17partition_subalgoE6EiNS0_10empty_typeEbEEZZNS1_14partition_implILS5_6ELb0ES3_mN6thrust23THRUST_200600_302600_NS10device_ptrIiEEPS6_SD_NS0_5tupleIJSC_S6_EEENSE_IJSD_SD_EEES6_PlJNSA_6detail9not_fun_tINSI_10functional5actorINSK_9compositeIJNSK_27transparent_binary_operatorINSA_8equal_toIvEEEENSL_INSK_8argumentILj0EEEEENSK_5valueIiEEEEEEEEEEEE10hipError_tPvRmT3_T4_T5_T6_T7_T9_mT8_P12ihipStream_tbDpT10_ENKUlT_T0_E_clISt17integral_constantIbLb1EES1H_IbLb0EEEEDaS1D_S1E_EUlS1D_E_NS1_11comp_targetILNS1_3genE3ELNS1_11target_archE908ELNS1_3gpuE7ELNS1_3repE0EEENS1_30default_config_static_selectorELNS0_4arch9wavefront6targetE0EEEvT1_,comdat
.Lfunc_end2864:
	.size	_ZN7rocprim17ROCPRIM_400000_NS6detail17trampoline_kernelINS0_14default_configENS1_25partition_config_selectorILNS1_17partition_subalgoE6EiNS0_10empty_typeEbEEZZNS1_14partition_implILS5_6ELb0ES3_mN6thrust23THRUST_200600_302600_NS10device_ptrIiEEPS6_SD_NS0_5tupleIJSC_S6_EEENSE_IJSD_SD_EEES6_PlJNSA_6detail9not_fun_tINSI_10functional5actorINSK_9compositeIJNSK_27transparent_binary_operatorINSA_8equal_toIvEEEENSL_INSK_8argumentILj0EEEEENSK_5valueIiEEEEEEEEEEEE10hipError_tPvRmT3_T4_T5_T6_T7_T9_mT8_P12ihipStream_tbDpT10_ENKUlT_T0_E_clISt17integral_constantIbLb1EES1H_IbLb0EEEEDaS1D_S1E_EUlS1D_E_NS1_11comp_targetILNS1_3genE3ELNS1_11target_archE908ELNS1_3gpuE7ELNS1_3repE0EEENS1_30default_config_static_selectorELNS0_4arch9wavefront6targetE0EEEvT1_, .Lfunc_end2864-_ZN7rocprim17ROCPRIM_400000_NS6detail17trampoline_kernelINS0_14default_configENS1_25partition_config_selectorILNS1_17partition_subalgoE6EiNS0_10empty_typeEbEEZZNS1_14partition_implILS5_6ELb0ES3_mN6thrust23THRUST_200600_302600_NS10device_ptrIiEEPS6_SD_NS0_5tupleIJSC_S6_EEENSE_IJSD_SD_EEES6_PlJNSA_6detail9not_fun_tINSI_10functional5actorINSK_9compositeIJNSK_27transparent_binary_operatorINSA_8equal_toIvEEEENSL_INSK_8argumentILj0EEEEENSK_5valueIiEEEEEEEEEEEE10hipError_tPvRmT3_T4_T5_T6_T7_T9_mT8_P12ihipStream_tbDpT10_ENKUlT_T0_E_clISt17integral_constantIbLb1EES1H_IbLb0EEEEDaS1D_S1E_EUlS1D_E_NS1_11comp_targetILNS1_3genE3ELNS1_11target_archE908ELNS1_3gpuE7ELNS1_3repE0EEENS1_30default_config_static_selectorELNS0_4arch9wavefront6targetE0EEEvT1_
                                        ; -- End function
	.set _ZN7rocprim17ROCPRIM_400000_NS6detail17trampoline_kernelINS0_14default_configENS1_25partition_config_selectorILNS1_17partition_subalgoE6EiNS0_10empty_typeEbEEZZNS1_14partition_implILS5_6ELb0ES3_mN6thrust23THRUST_200600_302600_NS10device_ptrIiEEPS6_SD_NS0_5tupleIJSC_S6_EEENSE_IJSD_SD_EEES6_PlJNSA_6detail9not_fun_tINSI_10functional5actorINSK_9compositeIJNSK_27transparent_binary_operatorINSA_8equal_toIvEEEENSL_INSK_8argumentILj0EEEEENSK_5valueIiEEEEEEEEEEEE10hipError_tPvRmT3_T4_T5_T6_T7_T9_mT8_P12ihipStream_tbDpT10_ENKUlT_T0_E_clISt17integral_constantIbLb1EES1H_IbLb0EEEEDaS1D_S1E_EUlS1D_E_NS1_11comp_targetILNS1_3genE3ELNS1_11target_archE908ELNS1_3gpuE7ELNS1_3repE0EEENS1_30default_config_static_selectorELNS0_4arch9wavefront6targetE0EEEvT1_.num_vgpr, 0
	.set _ZN7rocprim17ROCPRIM_400000_NS6detail17trampoline_kernelINS0_14default_configENS1_25partition_config_selectorILNS1_17partition_subalgoE6EiNS0_10empty_typeEbEEZZNS1_14partition_implILS5_6ELb0ES3_mN6thrust23THRUST_200600_302600_NS10device_ptrIiEEPS6_SD_NS0_5tupleIJSC_S6_EEENSE_IJSD_SD_EEES6_PlJNSA_6detail9not_fun_tINSI_10functional5actorINSK_9compositeIJNSK_27transparent_binary_operatorINSA_8equal_toIvEEEENSL_INSK_8argumentILj0EEEEENSK_5valueIiEEEEEEEEEEEE10hipError_tPvRmT3_T4_T5_T6_T7_T9_mT8_P12ihipStream_tbDpT10_ENKUlT_T0_E_clISt17integral_constantIbLb1EES1H_IbLb0EEEEDaS1D_S1E_EUlS1D_E_NS1_11comp_targetILNS1_3genE3ELNS1_11target_archE908ELNS1_3gpuE7ELNS1_3repE0EEENS1_30default_config_static_selectorELNS0_4arch9wavefront6targetE0EEEvT1_.num_agpr, 0
	.set _ZN7rocprim17ROCPRIM_400000_NS6detail17trampoline_kernelINS0_14default_configENS1_25partition_config_selectorILNS1_17partition_subalgoE6EiNS0_10empty_typeEbEEZZNS1_14partition_implILS5_6ELb0ES3_mN6thrust23THRUST_200600_302600_NS10device_ptrIiEEPS6_SD_NS0_5tupleIJSC_S6_EEENSE_IJSD_SD_EEES6_PlJNSA_6detail9not_fun_tINSI_10functional5actorINSK_9compositeIJNSK_27transparent_binary_operatorINSA_8equal_toIvEEEENSL_INSK_8argumentILj0EEEEENSK_5valueIiEEEEEEEEEEEE10hipError_tPvRmT3_T4_T5_T6_T7_T9_mT8_P12ihipStream_tbDpT10_ENKUlT_T0_E_clISt17integral_constantIbLb1EES1H_IbLb0EEEEDaS1D_S1E_EUlS1D_E_NS1_11comp_targetILNS1_3genE3ELNS1_11target_archE908ELNS1_3gpuE7ELNS1_3repE0EEENS1_30default_config_static_selectorELNS0_4arch9wavefront6targetE0EEEvT1_.numbered_sgpr, 0
	.set _ZN7rocprim17ROCPRIM_400000_NS6detail17trampoline_kernelINS0_14default_configENS1_25partition_config_selectorILNS1_17partition_subalgoE6EiNS0_10empty_typeEbEEZZNS1_14partition_implILS5_6ELb0ES3_mN6thrust23THRUST_200600_302600_NS10device_ptrIiEEPS6_SD_NS0_5tupleIJSC_S6_EEENSE_IJSD_SD_EEES6_PlJNSA_6detail9not_fun_tINSI_10functional5actorINSK_9compositeIJNSK_27transparent_binary_operatorINSA_8equal_toIvEEEENSL_INSK_8argumentILj0EEEEENSK_5valueIiEEEEEEEEEEEE10hipError_tPvRmT3_T4_T5_T6_T7_T9_mT8_P12ihipStream_tbDpT10_ENKUlT_T0_E_clISt17integral_constantIbLb1EES1H_IbLb0EEEEDaS1D_S1E_EUlS1D_E_NS1_11comp_targetILNS1_3genE3ELNS1_11target_archE908ELNS1_3gpuE7ELNS1_3repE0EEENS1_30default_config_static_selectorELNS0_4arch9wavefront6targetE0EEEvT1_.num_named_barrier, 0
	.set _ZN7rocprim17ROCPRIM_400000_NS6detail17trampoline_kernelINS0_14default_configENS1_25partition_config_selectorILNS1_17partition_subalgoE6EiNS0_10empty_typeEbEEZZNS1_14partition_implILS5_6ELb0ES3_mN6thrust23THRUST_200600_302600_NS10device_ptrIiEEPS6_SD_NS0_5tupleIJSC_S6_EEENSE_IJSD_SD_EEES6_PlJNSA_6detail9not_fun_tINSI_10functional5actorINSK_9compositeIJNSK_27transparent_binary_operatorINSA_8equal_toIvEEEENSL_INSK_8argumentILj0EEEEENSK_5valueIiEEEEEEEEEEEE10hipError_tPvRmT3_T4_T5_T6_T7_T9_mT8_P12ihipStream_tbDpT10_ENKUlT_T0_E_clISt17integral_constantIbLb1EES1H_IbLb0EEEEDaS1D_S1E_EUlS1D_E_NS1_11comp_targetILNS1_3genE3ELNS1_11target_archE908ELNS1_3gpuE7ELNS1_3repE0EEENS1_30default_config_static_selectorELNS0_4arch9wavefront6targetE0EEEvT1_.private_seg_size, 0
	.set _ZN7rocprim17ROCPRIM_400000_NS6detail17trampoline_kernelINS0_14default_configENS1_25partition_config_selectorILNS1_17partition_subalgoE6EiNS0_10empty_typeEbEEZZNS1_14partition_implILS5_6ELb0ES3_mN6thrust23THRUST_200600_302600_NS10device_ptrIiEEPS6_SD_NS0_5tupleIJSC_S6_EEENSE_IJSD_SD_EEES6_PlJNSA_6detail9not_fun_tINSI_10functional5actorINSK_9compositeIJNSK_27transparent_binary_operatorINSA_8equal_toIvEEEENSL_INSK_8argumentILj0EEEEENSK_5valueIiEEEEEEEEEEEE10hipError_tPvRmT3_T4_T5_T6_T7_T9_mT8_P12ihipStream_tbDpT10_ENKUlT_T0_E_clISt17integral_constantIbLb1EES1H_IbLb0EEEEDaS1D_S1E_EUlS1D_E_NS1_11comp_targetILNS1_3genE3ELNS1_11target_archE908ELNS1_3gpuE7ELNS1_3repE0EEENS1_30default_config_static_selectorELNS0_4arch9wavefront6targetE0EEEvT1_.uses_vcc, 0
	.set _ZN7rocprim17ROCPRIM_400000_NS6detail17trampoline_kernelINS0_14default_configENS1_25partition_config_selectorILNS1_17partition_subalgoE6EiNS0_10empty_typeEbEEZZNS1_14partition_implILS5_6ELb0ES3_mN6thrust23THRUST_200600_302600_NS10device_ptrIiEEPS6_SD_NS0_5tupleIJSC_S6_EEENSE_IJSD_SD_EEES6_PlJNSA_6detail9not_fun_tINSI_10functional5actorINSK_9compositeIJNSK_27transparent_binary_operatorINSA_8equal_toIvEEEENSL_INSK_8argumentILj0EEEEENSK_5valueIiEEEEEEEEEEEE10hipError_tPvRmT3_T4_T5_T6_T7_T9_mT8_P12ihipStream_tbDpT10_ENKUlT_T0_E_clISt17integral_constantIbLb1EES1H_IbLb0EEEEDaS1D_S1E_EUlS1D_E_NS1_11comp_targetILNS1_3genE3ELNS1_11target_archE908ELNS1_3gpuE7ELNS1_3repE0EEENS1_30default_config_static_selectorELNS0_4arch9wavefront6targetE0EEEvT1_.uses_flat_scratch, 0
	.set _ZN7rocprim17ROCPRIM_400000_NS6detail17trampoline_kernelINS0_14default_configENS1_25partition_config_selectorILNS1_17partition_subalgoE6EiNS0_10empty_typeEbEEZZNS1_14partition_implILS5_6ELb0ES3_mN6thrust23THRUST_200600_302600_NS10device_ptrIiEEPS6_SD_NS0_5tupleIJSC_S6_EEENSE_IJSD_SD_EEES6_PlJNSA_6detail9not_fun_tINSI_10functional5actorINSK_9compositeIJNSK_27transparent_binary_operatorINSA_8equal_toIvEEEENSL_INSK_8argumentILj0EEEEENSK_5valueIiEEEEEEEEEEEE10hipError_tPvRmT3_T4_T5_T6_T7_T9_mT8_P12ihipStream_tbDpT10_ENKUlT_T0_E_clISt17integral_constantIbLb1EES1H_IbLb0EEEEDaS1D_S1E_EUlS1D_E_NS1_11comp_targetILNS1_3genE3ELNS1_11target_archE908ELNS1_3gpuE7ELNS1_3repE0EEENS1_30default_config_static_selectorELNS0_4arch9wavefront6targetE0EEEvT1_.has_dyn_sized_stack, 0
	.set _ZN7rocprim17ROCPRIM_400000_NS6detail17trampoline_kernelINS0_14default_configENS1_25partition_config_selectorILNS1_17partition_subalgoE6EiNS0_10empty_typeEbEEZZNS1_14partition_implILS5_6ELb0ES3_mN6thrust23THRUST_200600_302600_NS10device_ptrIiEEPS6_SD_NS0_5tupleIJSC_S6_EEENSE_IJSD_SD_EEES6_PlJNSA_6detail9not_fun_tINSI_10functional5actorINSK_9compositeIJNSK_27transparent_binary_operatorINSA_8equal_toIvEEEENSL_INSK_8argumentILj0EEEEENSK_5valueIiEEEEEEEEEEEE10hipError_tPvRmT3_T4_T5_T6_T7_T9_mT8_P12ihipStream_tbDpT10_ENKUlT_T0_E_clISt17integral_constantIbLb1EES1H_IbLb0EEEEDaS1D_S1E_EUlS1D_E_NS1_11comp_targetILNS1_3genE3ELNS1_11target_archE908ELNS1_3gpuE7ELNS1_3repE0EEENS1_30default_config_static_selectorELNS0_4arch9wavefront6targetE0EEEvT1_.has_recursion, 0
	.set _ZN7rocprim17ROCPRIM_400000_NS6detail17trampoline_kernelINS0_14default_configENS1_25partition_config_selectorILNS1_17partition_subalgoE6EiNS0_10empty_typeEbEEZZNS1_14partition_implILS5_6ELb0ES3_mN6thrust23THRUST_200600_302600_NS10device_ptrIiEEPS6_SD_NS0_5tupleIJSC_S6_EEENSE_IJSD_SD_EEES6_PlJNSA_6detail9not_fun_tINSI_10functional5actorINSK_9compositeIJNSK_27transparent_binary_operatorINSA_8equal_toIvEEEENSL_INSK_8argumentILj0EEEEENSK_5valueIiEEEEEEEEEEEE10hipError_tPvRmT3_T4_T5_T6_T7_T9_mT8_P12ihipStream_tbDpT10_ENKUlT_T0_E_clISt17integral_constantIbLb1EES1H_IbLb0EEEEDaS1D_S1E_EUlS1D_E_NS1_11comp_targetILNS1_3genE3ELNS1_11target_archE908ELNS1_3gpuE7ELNS1_3repE0EEENS1_30default_config_static_selectorELNS0_4arch9wavefront6targetE0EEEvT1_.has_indirect_call, 0
	.section	.AMDGPU.csdata,"",@progbits
; Kernel info:
; codeLenInByte = 0
; TotalNumSgprs: 0
; NumVgprs: 0
; ScratchSize: 0
; MemoryBound: 0
; FloatMode: 240
; IeeeMode: 1
; LDSByteSize: 0 bytes/workgroup (compile time only)
; SGPRBlocks: 0
; VGPRBlocks: 0
; NumSGPRsForWavesPerEU: 1
; NumVGPRsForWavesPerEU: 1
; Occupancy: 16
; WaveLimiterHint : 0
; COMPUTE_PGM_RSRC2:SCRATCH_EN: 0
; COMPUTE_PGM_RSRC2:USER_SGPR: 2
; COMPUTE_PGM_RSRC2:TRAP_HANDLER: 0
; COMPUTE_PGM_RSRC2:TGID_X_EN: 1
; COMPUTE_PGM_RSRC2:TGID_Y_EN: 0
; COMPUTE_PGM_RSRC2:TGID_Z_EN: 0
; COMPUTE_PGM_RSRC2:TIDIG_COMP_CNT: 0
	.section	.text._ZN7rocprim17ROCPRIM_400000_NS6detail17trampoline_kernelINS0_14default_configENS1_25partition_config_selectorILNS1_17partition_subalgoE6EiNS0_10empty_typeEbEEZZNS1_14partition_implILS5_6ELb0ES3_mN6thrust23THRUST_200600_302600_NS10device_ptrIiEEPS6_SD_NS0_5tupleIJSC_S6_EEENSE_IJSD_SD_EEES6_PlJNSA_6detail9not_fun_tINSI_10functional5actorINSK_9compositeIJNSK_27transparent_binary_operatorINSA_8equal_toIvEEEENSL_INSK_8argumentILj0EEEEENSK_5valueIiEEEEEEEEEEEE10hipError_tPvRmT3_T4_T5_T6_T7_T9_mT8_P12ihipStream_tbDpT10_ENKUlT_T0_E_clISt17integral_constantIbLb1EES1H_IbLb0EEEEDaS1D_S1E_EUlS1D_E_NS1_11comp_targetILNS1_3genE2ELNS1_11target_archE906ELNS1_3gpuE6ELNS1_3repE0EEENS1_30default_config_static_selectorELNS0_4arch9wavefront6targetE0EEEvT1_,"axG",@progbits,_ZN7rocprim17ROCPRIM_400000_NS6detail17trampoline_kernelINS0_14default_configENS1_25partition_config_selectorILNS1_17partition_subalgoE6EiNS0_10empty_typeEbEEZZNS1_14partition_implILS5_6ELb0ES3_mN6thrust23THRUST_200600_302600_NS10device_ptrIiEEPS6_SD_NS0_5tupleIJSC_S6_EEENSE_IJSD_SD_EEES6_PlJNSA_6detail9not_fun_tINSI_10functional5actorINSK_9compositeIJNSK_27transparent_binary_operatorINSA_8equal_toIvEEEENSL_INSK_8argumentILj0EEEEENSK_5valueIiEEEEEEEEEEEE10hipError_tPvRmT3_T4_T5_T6_T7_T9_mT8_P12ihipStream_tbDpT10_ENKUlT_T0_E_clISt17integral_constantIbLb1EES1H_IbLb0EEEEDaS1D_S1E_EUlS1D_E_NS1_11comp_targetILNS1_3genE2ELNS1_11target_archE906ELNS1_3gpuE6ELNS1_3repE0EEENS1_30default_config_static_selectorELNS0_4arch9wavefront6targetE0EEEvT1_,comdat
	.protected	_ZN7rocprim17ROCPRIM_400000_NS6detail17trampoline_kernelINS0_14default_configENS1_25partition_config_selectorILNS1_17partition_subalgoE6EiNS0_10empty_typeEbEEZZNS1_14partition_implILS5_6ELb0ES3_mN6thrust23THRUST_200600_302600_NS10device_ptrIiEEPS6_SD_NS0_5tupleIJSC_S6_EEENSE_IJSD_SD_EEES6_PlJNSA_6detail9not_fun_tINSI_10functional5actorINSK_9compositeIJNSK_27transparent_binary_operatorINSA_8equal_toIvEEEENSL_INSK_8argumentILj0EEEEENSK_5valueIiEEEEEEEEEEEE10hipError_tPvRmT3_T4_T5_T6_T7_T9_mT8_P12ihipStream_tbDpT10_ENKUlT_T0_E_clISt17integral_constantIbLb1EES1H_IbLb0EEEEDaS1D_S1E_EUlS1D_E_NS1_11comp_targetILNS1_3genE2ELNS1_11target_archE906ELNS1_3gpuE6ELNS1_3repE0EEENS1_30default_config_static_selectorELNS0_4arch9wavefront6targetE0EEEvT1_ ; -- Begin function _ZN7rocprim17ROCPRIM_400000_NS6detail17trampoline_kernelINS0_14default_configENS1_25partition_config_selectorILNS1_17partition_subalgoE6EiNS0_10empty_typeEbEEZZNS1_14partition_implILS5_6ELb0ES3_mN6thrust23THRUST_200600_302600_NS10device_ptrIiEEPS6_SD_NS0_5tupleIJSC_S6_EEENSE_IJSD_SD_EEES6_PlJNSA_6detail9not_fun_tINSI_10functional5actorINSK_9compositeIJNSK_27transparent_binary_operatorINSA_8equal_toIvEEEENSL_INSK_8argumentILj0EEEEENSK_5valueIiEEEEEEEEEEEE10hipError_tPvRmT3_T4_T5_T6_T7_T9_mT8_P12ihipStream_tbDpT10_ENKUlT_T0_E_clISt17integral_constantIbLb1EES1H_IbLb0EEEEDaS1D_S1E_EUlS1D_E_NS1_11comp_targetILNS1_3genE2ELNS1_11target_archE906ELNS1_3gpuE6ELNS1_3repE0EEENS1_30default_config_static_selectorELNS0_4arch9wavefront6targetE0EEEvT1_
	.globl	_ZN7rocprim17ROCPRIM_400000_NS6detail17trampoline_kernelINS0_14default_configENS1_25partition_config_selectorILNS1_17partition_subalgoE6EiNS0_10empty_typeEbEEZZNS1_14partition_implILS5_6ELb0ES3_mN6thrust23THRUST_200600_302600_NS10device_ptrIiEEPS6_SD_NS0_5tupleIJSC_S6_EEENSE_IJSD_SD_EEES6_PlJNSA_6detail9not_fun_tINSI_10functional5actorINSK_9compositeIJNSK_27transparent_binary_operatorINSA_8equal_toIvEEEENSL_INSK_8argumentILj0EEEEENSK_5valueIiEEEEEEEEEEEE10hipError_tPvRmT3_T4_T5_T6_T7_T9_mT8_P12ihipStream_tbDpT10_ENKUlT_T0_E_clISt17integral_constantIbLb1EES1H_IbLb0EEEEDaS1D_S1E_EUlS1D_E_NS1_11comp_targetILNS1_3genE2ELNS1_11target_archE906ELNS1_3gpuE6ELNS1_3repE0EEENS1_30default_config_static_selectorELNS0_4arch9wavefront6targetE0EEEvT1_
	.p2align	8
	.type	_ZN7rocprim17ROCPRIM_400000_NS6detail17trampoline_kernelINS0_14default_configENS1_25partition_config_selectorILNS1_17partition_subalgoE6EiNS0_10empty_typeEbEEZZNS1_14partition_implILS5_6ELb0ES3_mN6thrust23THRUST_200600_302600_NS10device_ptrIiEEPS6_SD_NS0_5tupleIJSC_S6_EEENSE_IJSD_SD_EEES6_PlJNSA_6detail9not_fun_tINSI_10functional5actorINSK_9compositeIJNSK_27transparent_binary_operatorINSA_8equal_toIvEEEENSL_INSK_8argumentILj0EEEEENSK_5valueIiEEEEEEEEEEEE10hipError_tPvRmT3_T4_T5_T6_T7_T9_mT8_P12ihipStream_tbDpT10_ENKUlT_T0_E_clISt17integral_constantIbLb1EES1H_IbLb0EEEEDaS1D_S1E_EUlS1D_E_NS1_11comp_targetILNS1_3genE2ELNS1_11target_archE906ELNS1_3gpuE6ELNS1_3repE0EEENS1_30default_config_static_selectorELNS0_4arch9wavefront6targetE0EEEvT1_,@function
_ZN7rocprim17ROCPRIM_400000_NS6detail17trampoline_kernelINS0_14default_configENS1_25partition_config_selectorILNS1_17partition_subalgoE6EiNS0_10empty_typeEbEEZZNS1_14partition_implILS5_6ELb0ES3_mN6thrust23THRUST_200600_302600_NS10device_ptrIiEEPS6_SD_NS0_5tupleIJSC_S6_EEENSE_IJSD_SD_EEES6_PlJNSA_6detail9not_fun_tINSI_10functional5actorINSK_9compositeIJNSK_27transparent_binary_operatorINSA_8equal_toIvEEEENSL_INSK_8argumentILj0EEEEENSK_5valueIiEEEEEEEEEEEE10hipError_tPvRmT3_T4_T5_T6_T7_T9_mT8_P12ihipStream_tbDpT10_ENKUlT_T0_E_clISt17integral_constantIbLb1EES1H_IbLb0EEEEDaS1D_S1E_EUlS1D_E_NS1_11comp_targetILNS1_3genE2ELNS1_11target_archE906ELNS1_3gpuE6ELNS1_3repE0EEENS1_30default_config_static_selectorELNS0_4arch9wavefront6targetE0EEEvT1_: ; @_ZN7rocprim17ROCPRIM_400000_NS6detail17trampoline_kernelINS0_14default_configENS1_25partition_config_selectorILNS1_17partition_subalgoE6EiNS0_10empty_typeEbEEZZNS1_14partition_implILS5_6ELb0ES3_mN6thrust23THRUST_200600_302600_NS10device_ptrIiEEPS6_SD_NS0_5tupleIJSC_S6_EEENSE_IJSD_SD_EEES6_PlJNSA_6detail9not_fun_tINSI_10functional5actorINSK_9compositeIJNSK_27transparent_binary_operatorINSA_8equal_toIvEEEENSL_INSK_8argumentILj0EEEEENSK_5valueIiEEEEEEEEEEEE10hipError_tPvRmT3_T4_T5_T6_T7_T9_mT8_P12ihipStream_tbDpT10_ENKUlT_T0_E_clISt17integral_constantIbLb1EES1H_IbLb0EEEEDaS1D_S1E_EUlS1D_E_NS1_11comp_targetILNS1_3genE2ELNS1_11target_archE906ELNS1_3gpuE6ELNS1_3repE0EEENS1_30default_config_static_selectorELNS0_4arch9wavefront6targetE0EEEvT1_
; %bb.0:
	.section	.rodata,"a",@progbits
	.p2align	6, 0x0
	.amdhsa_kernel _ZN7rocprim17ROCPRIM_400000_NS6detail17trampoline_kernelINS0_14default_configENS1_25partition_config_selectorILNS1_17partition_subalgoE6EiNS0_10empty_typeEbEEZZNS1_14partition_implILS5_6ELb0ES3_mN6thrust23THRUST_200600_302600_NS10device_ptrIiEEPS6_SD_NS0_5tupleIJSC_S6_EEENSE_IJSD_SD_EEES6_PlJNSA_6detail9not_fun_tINSI_10functional5actorINSK_9compositeIJNSK_27transparent_binary_operatorINSA_8equal_toIvEEEENSL_INSK_8argumentILj0EEEEENSK_5valueIiEEEEEEEEEEEE10hipError_tPvRmT3_T4_T5_T6_T7_T9_mT8_P12ihipStream_tbDpT10_ENKUlT_T0_E_clISt17integral_constantIbLb1EES1H_IbLb0EEEEDaS1D_S1E_EUlS1D_E_NS1_11comp_targetILNS1_3genE2ELNS1_11target_archE906ELNS1_3gpuE6ELNS1_3repE0EEENS1_30default_config_static_selectorELNS0_4arch9wavefront6targetE0EEEvT1_
		.amdhsa_group_segment_fixed_size 0
		.amdhsa_private_segment_fixed_size 0
		.amdhsa_kernarg_size 120
		.amdhsa_user_sgpr_count 2
		.amdhsa_user_sgpr_dispatch_ptr 0
		.amdhsa_user_sgpr_queue_ptr 0
		.amdhsa_user_sgpr_kernarg_segment_ptr 1
		.amdhsa_user_sgpr_dispatch_id 0
		.amdhsa_user_sgpr_private_segment_size 0
		.amdhsa_wavefront_size32 1
		.amdhsa_uses_dynamic_stack 0
		.amdhsa_enable_private_segment 0
		.amdhsa_system_sgpr_workgroup_id_x 1
		.amdhsa_system_sgpr_workgroup_id_y 0
		.amdhsa_system_sgpr_workgroup_id_z 0
		.amdhsa_system_sgpr_workgroup_info 0
		.amdhsa_system_vgpr_workitem_id 0
		.amdhsa_next_free_vgpr 1
		.amdhsa_next_free_sgpr 1
		.amdhsa_reserve_vcc 0
		.amdhsa_float_round_mode_32 0
		.amdhsa_float_round_mode_16_64 0
		.amdhsa_float_denorm_mode_32 3
		.amdhsa_float_denorm_mode_16_64 3
		.amdhsa_fp16_overflow 0
		.amdhsa_workgroup_processor_mode 1
		.amdhsa_memory_ordered 1
		.amdhsa_forward_progress 1
		.amdhsa_inst_pref_size 0
		.amdhsa_round_robin_scheduling 0
		.amdhsa_exception_fp_ieee_invalid_op 0
		.amdhsa_exception_fp_denorm_src 0
		.amdhsa_exception_fp_ieee_div_zero 0
		.amdhsa_exception_fp_ieee_overflow 0
		.amdhsa_exception_fp_ieee_underflow 0
		.amdhsa_exception_fp_ieee_inexact 0
		.amdhsa_exception_int_div_zero 0
	.end_amdhsa_kernel
	.section	.text._ZN7rocprim17ROCPRIM_400000_NS6detail17trampoline_kernelINS0_14default_configENS1_25partition_config_selectorILNS1_17partition_subalgoE6EiNS0_10empty_typeEbEEZZNS1_14partition_implILS5_6ELb0ES3_mN6thrust23THRUST_200600_302600_NS10device_ptrIiEEPS6_SD_NS0_5tupleIJSC_S6_EEENSE_IJSD_SD_EEES6_PlJNSA_6detail9not_fun_tINSI_10functional5actorINSK_9compositeIJNSK_27transparent_binary_operatorINSA_8equal_toIvEEEENSL_INSK_8argumentILj0EEEEENSK_5valueIiEEEEEEEEEEEE10hipError_tPvRmT3_T4_T5_T6_T7_T9_mT8_P12ihipStream_tbDpT10_ENKUlT_T0_E_clISt17integral_constantIbLb1EES1H_IbLb0EEEEDaS1D_S1E_EUlS1D_E_NS1_11comp_targetILNS1_3genE2ELNS1_11target_archE906ELNS1_3gpuE6ELNS1_3repE0EEENS1_30default_config_static_selectorELNS0_4arch9wavefront6targetE0EEEvT1_,"axG",@progbits,_ZN7rocprim17ROCPRIM_400000_NS6detail17trampoline_kernelINS0_14default_configENS1_25partition_config_selectorILNS1_17partition_subalgoE6EiNS0_10empty_typeEbEEZZNS1_14partition_implILS5_6ELb0ES3_mN6thrust23THRUST_200600_302600_NS10device_ptrIiEEPS6_SD_NS0_5tupleIJSC_S6_EEENSE_IJSD_SD_EEES6_PlJNSA_6detail9not_fun_tINSI_10functional5actorINSK_9compositeIJNSK_27transparent_binary_operatorINSA_8equal_toIvEEEENSL_INSK_8argumentILj0EEEEENSK_5valueIiEEEEEEEEEEEE10hipError_tPvRmT3_T4_T5_T6_T7_T9_mT8_P12ihipStream_tbDpT10_ENKUlT_T0_E_clISt17integral_constantIbLb1EES1H_IbLb0EEEEDaS1D_S1E_EUlS1D_E_NS1_11comp_targetILNS1_3genE2ELNS1_11target_archE906ELNS1_3gpuE6ELNS1_3repE0EEENS1_30default_config_static_selectorELNS0_4arch9wavefront6targetE0EEEvT1_,comdat
.Lfunc_end2865:
	.size	_ZN7rocprim17ROCPRIM_400000_NS6detail17trampoline_kernelINS0_14default_configENS1_25partition_config_selectorILNS1_17partition_subalgoE6EiNS0_10empty_typeEbEEZZNS1_14partition_implILS5_6ELb0ES3_mN6thrust23THRUST_200600_302600_NS10device_ptrIiEEPS6_SD_NS0_5tupleIJSC_S6_EEENSE_IJSD_SD_EEES6_PlJNSA_6detail9not_fun_tINSI_10functional5actorINSK_9compositeIJNSK_27transparent_binary_operatorINSA_8equal_toIvEEEENSL_INSK_8argumentILj0EEEEENSK_5valueIiEEEEEEEEEEEE10hipError_tPvRmT3_T4_T5_T6_T7_T9_mT8_P12ihipStream_tbDpT10_ENKUlT_T0_E_clISt17integral_constantIbLb1EES1H_IbLb0EEEEDaS1D_S1E_EUlS1D_E_NS1_11comp_targetILNS1_3genE2ELNS1_11target_archE906ELNS1_3gpuE6ELNS1_3repE0EEENS1_30default_config_static_selectorELNS0_4arch9wavefront6targetE0EEEvT1_, .Lfunc_end2865-_ZN7rocprim17ROCPRIM_400000_NS6detail17trampoline_kernelINS0_14default_configENS1_25partition_config_selectorILNS1_17partition_subalgoE6EiNS0_10empty_typeEbEEZZNS1_14partition_implILS5_6ELb0ES3_mN6thrust23THRUST_200600_302600_NS10device_ptrIiEEPS6_SD_NS0_5tupleIJSC_S6_EEENSE_IJSD_SD_EEES6_PlJNSA_6detail9not_fun_tINSI_10functional5actorINSK_9compositeIJNSK_27transparent_binary_operatorINSA_8equal_toIvEEEENSL_INSK_8argumentILj0EEEEENSK_5valueIiEEEEEEEEEEEE10hipError_tPvRmT3_T4_T5_T6_T7_T9_mT8_P12ihipStream_tbDpT10_ENKUlT_T0_E_clISt17integral_constantIbLb1EES1H_IbLb0EEEEDaS1D_S1E_EUlS1D_E_NS1_11comp_targetILNS1_3genE2ELNS1_11target_archE906ELNS1_3gpuE6ELNS1_3repE0EEENS1_30default_config_static_selectorELNS0_4arch9wavefront6targetE0EEEvT1_
                                        ; -- End function
	.set _ZN7rocprim17ROCPRIM_400000_NS6detail17trampoline_kernelINS0_14default_configENS1_25partition_config_selectorILNS1_17partition_subalgoE6EiNS0_10empty_typeEbEEZZNS1_14partition_implILS5_6ELb0ES3_mN6thrust23THRUST_200600_302600_NS10device_ptrIiEEPS6_SD_NS0_5tupleIJSC_S6_EEENSE_IJSD_SD_EEES6_PlJNSA_6detail9not_fun_tINSI_10functional5actorINSK_9compositeIJNSK_27transparent_binary_operatorINSA_8equal_toIvEEEENSL_INSK_8argumentILj0EEEEENSK_5valueIiEEEEEEEEEEEE10hipError_tPvRmT3_T4_T5_T6_T7_T9_mT8_P12ihipStream_tbDpT10_ENKUlT_T0_E_clISt17integral_constantIbLb1EES1H_IbLb0EEEEDaS1D_S1E_EUlS1D_E_NS1_11comp_targetILNS1_3genE2ELNS1_11target_archE906ELNS1_3gpuE6ELNS1_3repE0EEENS1_30default_config_static_selectorELNS0_4arch9wavefront6targetE0EEEvT1_.num_vgpr, 0
	.set _ZN7rocprim17ROCPRIM_400000_NS6detail17trampoline_kernelINS0_14default_configENS1_25partition_config_selectorILNS1_17partition_subalgoE6EiNS0_10empty_typeEbEEZZNS1_14partition_implILS5_6ELb0ES3_mN6thrust23THRUST_200600_302600_NS10device_ptrIiEEPS6_SD_NS0_5tupleIJSC_S6_EEENSE_IJSD_SD_EEES6_PlJNSA_6detail9not_fun_tINSI_10functional5actorINSK_9compositeIJNSK_27transparent_binary_operatorINSA_8equal_toIvEEEENSL_INSK_8argumentILj0EEEEENSK_5valueIiEEEEEEEEEEEE10hipError_tPvRmT3_T4_T5_T6_T7_T9_mT8_P12ihipStream_tbDpT10_ENKUlT_T0_E_clISt17integral_constantIbLb1EES1H_IbLb0EEEEDaS1D_S1E_EUlS1D_E_NS1_11comp_targetILNS1_3genE2ELNS1_11target_archE906ELNS1_3gpuE6ELNS1_3repE0EEENS1_30default_config_static_selectorELNS0_4arch9wavefront6targetE0EEEvT1_.num_agpr, 0
	.set _ZN7rocprim17ROCPRIM_400000_NS6detail17trampoline_kernelINS0_14default_configENS1_25partition_config_selectorILNS1_17partition_subalgoE6EiNS0_10empty_typeEbEEZZNS1_14partition_implILS5_6ELb0ES3_mN6thrust23THRUST_200600_302600_NS10device_ptrIiEEPS6_SD_NS0_5tupleIJSC_S6_EEENSE_IJSD_SD_EEES6_PlJNSA_6detail9not_fun_tINSI_10functional5actorINSK_9compositeIJNSK_27transparent_binary_operatorINSA_8equal_toIvEEEENSL_INSK_8argumentILj0EEEEENSK_5valueIiEEEEEEEEEEEE10hipError_tPvRmT3_T4_T5_T6_T7_T9_mT8_P12ihipStream_tbDpT10_ENKUlT_T0_E_clISt17integral_constantIbLb1EES1H_IbLb0EEEEDaS1D_S1E_EUlS1D_E_NS1_11comp_targetILNS1_3genE2ELNS1_11target_archE906ELNS1_3gpuE6ELNS1_3repE0EEENS1_30default_config_static_selectorELNS0_4arch9wavefront6targetE0EEEvT1_.numbered_sgpr, 0
	.set _ZN7rocprim17ROCPRIM_400000_NS6detail17trampoline_kernelINS0_14default_configENS1_25partition_config_selectorILNS1_17partition_subalgoE6EiNS0_10empty_typeEbEEZZNS1_14partition_implILS5_6ELb0ES3_mN6thrust23THRUST_200600_302600_NS10device_ptrIiEEPS6_SD_NS0_5tupleIJSC_S6_EEENSE_IJSD_SD_EEES6_PlJNSA_6detail9not_fun_tINSI_10functional5actorINSK_9compositeIJNSK_27transparent_binary_operatorINSA_8equal_toIvEEEENSL_INSK_8argumentILj0EEEEENSK_5valueIiEEEEEEEEEEEE10hipError_tPvRmT3_T4_T5_T6_T7_T9_mT8_P12ihipStream_tbDpT10_ENKUlT_T0_E_clISt17integral_constantIbLb1EES1H_IbLb0EEEEDaS1D_S1E_EUlS1D_E_NS1_11comp_targetILNS1_3genE2ELNS1_11target_archE906ELNS1_3gpuE6ELNS1_3repE0EEENS1_30default_config_static_selectorELNS0_4arch9wavefront6targetE0EEEvT1_.num_named_barrier, 0
	.set _ZN7rocprim17ROCPRIM_400000_NS6detail17trampoline_kernelINS0_14default_configENS1_25partition_config_selectorILNS1_17partition_subalgoE6EiNS0_10empty_typeEbEEZZNS1_14partition_implILS5_6ELb0ES3_mN6thrust23THRUST_200600_302600_NS10device_ptrIiEEPS6_SD_NS0_5tupleIJSC_S6_EEENSE_IJSD_SD_EEES6_PlJNSA_6detail9not_fun_tINSI_10functional5actorINSK_9compositeIJNSK_27transparent_binary_operatorINSA_8equal_toIvEEEENSL_INSK_8argumentILj0EEEEENSK_5valueIiEEEEEEEEEEEE10hipError_tPvRmT3_T4_T5_T6_T7_T9_mT8_P12ihipStream_tbDpT10_ENKUlT_T0_E_clISt17integral_constantIbLb1EES1H_IbLb0EEEEDaS1D_S1E_EUlS1D_E_NS1_11comp_targetILNS1_3genE2ELNS1_11target_archE906ELNS1_3gpuE6ELNS1_3repE0EEENS1_30default_config_static_selectorELNS0_4arch9wavefront6targetE0EEEvT1_.private_seg_size, 0
	.set _ZN7rocprim17ROCPRIM_400000_NS6detail17trampoline_kernelINS0_14default_configENS1_25partition_config_selectorILNS1_17partition_subalgoE6EiNS0_10empty_typeEbEEZZNS1_14partition_implILS5_6ELb0ES3_mN6thrust23THRUST_200600_302600_NS10device_ptrIiEEPS6_SD_NS0_5tupleIJSC_S6_EEENSE_IJSD_SD_EEES6_PlJNSA_6detail9not_fun_tINSI_10functional5actorINSK_9compositeIJNSK_27transparent_binary_operatorINSA_8equal_toIvEEEENSL_INSK_8argumentILj0EEEEENSK_5valueIiEEEEEEEEEEEE10hipError_tPvRmT3_T4_T5_T6_T7_T9_mT8_P12ihipStream_tbDpT10_ENKUlT_T0_E_clISt17integral_constantIbLb1EES1H_IbLb0EEEEDaS1D_S1E_EUlS1D_E_NS1_11comp_targetILNS1_3genE2ELNS1_11target_archE906ELNS1_3gpuE6ELNS1_3repE0EEENS1_30default_config_static_selectorELNS0_4arch9wavefront6targetE0EEEvT1_.uses_vcc, 0
	.set _ZN7rocprim17ROCPRIM_400000_NS6detail17trampoline_kernelINS0_14default_configENS1_25partition_config_selectorILNS1_17partition_subalgoE6EiNS0_10empty_typeEbEEZZNS1_14partition_implILS5_6ELb0ES3_mN6thrust23THRUST_200600_302600_NS10device_ptrIiEEPS6_SD_NS0_5tupleIJSC_S6_EEENSE_IJSD_SD_EEES6_PlJNSA_6detail9not_fun_tINSI_10functional5actorINSK_9compositeIJNSK_27transparent_binary_operatorINSA_8equal_toIvEEEENSL_INSK_8argumentILj0EEEEENSK_5valueIiEEEEEEEEEEEE10hipError_tPvRmT3_T4_T5_T6_T7_T9_mT8_P12ihipStream_tbDpT10_ENKUlT_T0_E_clISt17integral_constantIbLb1EES1H_IbLb0EEEEDaS1D_S1E_EUlS1D_E_NS1_11comp_targetILNS1_3genE2ELNS1_11target_archE906ELNS1_3gpuE6ELNS1_3repE0EEENS1_30default_config_static_selectorELNS0_4arch9wavefront6targetE0EEEvT1_.uses_flat_scratch, 0
	.set _ZN7rocprim17ROCPRIM_400000_NS6detail17trampoline_kernelINS0_14default_configENS1_25partition_config_selectorILNS1_17partition_subalgoE6EiNS0_10empty_typeEbEEZZNS1_14partition_implILS5_6ELb0ES3_mN6thrust23THRUST_200600_302600_NS10device_ptrIiEEPS6_SD_NS0_5tupleIJSC_S6_EEENSE_IJSD_SD_EEES6_PlJNSA_6detail9not_fun_tINSI_10functional5actorINSK_9compositeIJNSK_27transparent_binary_operatorINSA_8equal_toIvEEEENSL_INSK_8argumentILj0EEEEENSK_5valueIiEEEEEEEEEEEE10hipError_tPvRmT3_T4_T5_T6_T7_T9_mT8_P12ihipStream_tbDpT10_ENKUlT_T0_E_clISt17integral_constantIbLb1EES1H_IbLb0EEEEDaS1D_S1E_EUlS1D_E_NS1_11comp_targetILNS1_3genE2ELNS1_11target_archE906ELNS1_3gpuE6ELNS1_3repE0EEENS1_30default_config_static_selectorELNS0_4arch9wavefront6targetE0EEEvT1_.has_dyn_sized_stack, 0
	.set _ZN7rocprim17ROCPRIM_400000_NS6detail17trampoline_kernelINS0_14default_configENS1_25partition_config_selectorILNS1_17partition_subalgoE6EiNS0_10empty_typeEbEEZZNS1_14partition_implILS5_6ELb0ES3_mN6thrust23THRUST_200600_302600_NS10device_ptrIiEEPS6_SD_NS0_5tupleIJSC_S6_EEENSE_IJSD_SD_EEES6_PlJNSA_6detail9not_fun_tINSI_10functional5actorINSK_9compositeIJNSK_27transparent_binary_operatorINSA_8equal_toIvEEEENSL_INSK_8argumentILj0EEEEENSK_5valueIiEEEEEEEEEEEE10hipError_tPvRmT3_T4_T5_T6_T7_T9_mT8_P12ihipStream_tbDpT10_ENKUlT_T0_E_clISt17integral_constantIbLb1EES1H_IbLb0EEEEDaS1D_S1E_EUlS1D_E_NS1_11comp_targetILNS1_3genE2ELNS1_11target_archE906ELNS1_3gpuE6ELNS1_3repE0EEENS1_30default_config_static_selectorELNS0_4arch9wavefront6targetE0EEEvT1_.has_recursion, 0
	.set _ZN7rocprim17ROCPRIM_400000_NS6detail17trampoline_kernelINS0_14default_configENS1_25partition_config_selectorILNS1_17partition_subalgoE6EiNS0_10empty_typeEbEEZZNS1_14partition_implILS5_6ELb0ES3_mN6thrust23THRUST_200600_302600_NS10device_ptrIiEEPS6_SD_NS0_5tupleIJSC_S6_EEENSE_IJSD_SD_EEES6_PlJNSA_6detail9not_fun_tINSI_10functional5actorINSK_9compositeIJNSK_27transparent_binary_operatorINSA_8equal_toIvEEEENSL_INSK_8argumentILj0EEEEENSK_5valueIiEEEEEEEEEEEE10hipError_tPvRmT3_T4_T5_T6_T7_T9_mT8_P12ihipStream_tbDpT10_ENKUlT_T0_E_clISt17integral_constantIbLb1EES1H_IbLb0EEEEDaS1D_S1E_EUlS1D_E_NS1_11comp_targetILNS1_3genE2ELNS1_11target_archE906ELNS1_3gpuE6ELNS1_3repE0EEENS1_30default_config_static_selectorELNS0_4arch9wavefront6targetE0EEEvT1_.has_indirect_call, 0
	.section	.AMDGPU.csdata,"",@progbits
; Kernel info:
; codeLenInByte = 0
; TotalNumSgprs: 0
; NumVgprs: 0
; ScratchSize: 0
; MemoryBound: 0
; FloatMode: 240
; IeeeMode: 1
; LDSByteSize: 0 bytes/workgroup (compile time only)
; SGPRBlocks: 0
; VGPRBlocks: 0
; NumSGPRsForWavesPerEU: 1
; NumVGPRsForWavesPerEU: 1
; Occupancy: 16
; WaveLimiterHint : 0
; COMPUTE_PGM_RSRC2:SCRATCH_EN: 0
; COMPUTE_PGM_RSRC2:USER_SGPR: 2
; COMPUTE_PGM_RSRC2:TRAP_HANDLER: 0
; COMPUTE_PGM_RSRC2:TGID_X_EN: 1
; COMPUTE_PGM_RSRC2:TGID_Y_EN: 0
; COMPUTE_PGM_RSRC2:TGID_Z_EN: 0
; COMPUTE_PGM_RSRC2:TIDIG_COMP_CNT: 0
	.section	.text._ZN7rocprim17ROCPRIM_400000_NS6detail17trampoline_kernelINS0_14default_configENS1_25partition_config_selectorILNS1_17partition_subalgoE6EiNS0_10empty_typeEbEEZZNS1_14partition_implILS5_6ELb0ES3_mN6thrust23THRUST_200600_302600_NS10device_ptrIiEEPS6_SD_NS0_5tupleIJSC_S6_EEENSE_IJSD_SD_EEES6_PlJNSA_6detail9not_fun_tINSI_10functional5actorINSK_9compositeIJNSK_27transparent_binary_operatorINSA_8equal_toIvEEEENSL_INSK_8argumentILj0EEEEENSK_5valueIiEEEEEEEEEEEE10hipError_tPvRmT3_T4_T5_T6_T7_T9_mT8_P12ihipStream_tbDpT10_ENKUlT_T0_E_clISt17integral_constantIbLb1EES1H_IbLb0EEEEDaS1D_S1E_EUlS1D_E_NS1_11comp_targetILNS1_3genE10ELNS1_11target_archE1200ELNS1_3gpuE4ELNS1_3repE0EEENS1_30default_config_static_selectorELNS0_4arch9wavefront6targetE0EEEvT1_,"axG",@progbits,_ZN7rocprim17ROCPRIM_400000_NS6detail17trampoline_kernelINS0_14default_configENS1_25partition_config_selectorILNS1_17partition_subalgoE6EiNS0_10empty_typeEbEEZZNS1_14partition_implILS5_6ELb0ES3_mN6thrust23THRUST_200600_302600_NS10device_ptrIiEEPS6_SD_NS0_5tupleIJSC_S6_EEENSE_IJSD_SD_EEES6_PlJNSA_6detail9not_fun_tINSI_10functional5actorINSK_9compositeIJNSK_27transparent_binary_operatorINSA_8equal_toIvEEEENSL_INSK_8argumentILj0EEEEENSK_5valueIiEEEEEEEEEEEE10hipError_tPvRmT3_T4_T5_T6_T7_T9_mT8_P12ihipStream_tbDpT10_ENKUlT_T0_E_clISt17integral_constantIbLb1EES1H_IbLb0EEEEDaS1D_S1E_EUlS1D_E_NS1_11comp_targetILNS1_3genE10ELNS1_11target_archE1200ELNS1_3gpuE4ELNS1_3repE0EEENS1_30default_config_static_selectorELNS0_4arch9wavefront6targetE0EEEvT1_,comdat
	.protected	_ZN7rocprim17ROCPRIM_400000_NS6detail17trampoline_kernelINS0_14default_configENS1_25partition_config_selectorILNS1_17partition_subalgoE6EiNS0_10empty_typeEbEEZZNS1_14partition_implILS5_6ELb0ES3_mN6thrust23THRUST_200600_302600_NS10device_ptrIiEEPS6_SD_NS0_5tupleIJSC_S6_EEENSE_IJSD_SD_EEES6_PlJNSA_6detail9not_fun_tINSI_10functional5actorINSK_9compositeIJNSK_27transparent_binary_operatorINSA_8equal_toIvEEEENSL_INSK_8argumentILj0EEEEENSK_5valueIiEEEEEEEEEEEE10hipError_tPvRmT3_T4_T5_T6_T7_T9_mT8_P12ihipStream_tbDpT10_ENKUlT_T0_E_clISt17integral_constantIbLb1EES1H_IbLb0EEEEDaS1D_S1E_EUlS1D_E_NS1_11comp_targetILNS1_3genE10ELNS1_11target_archE1200ELNS1_3gpuE4ELNS1_3repE0EEENS1_30default_config_static_selectorELNS0_4arch9wavefront6targetE0EEEvT1_ ; -- Begin function _ZN7rocprim17ROCPRIM_400000_NS6detail17trampoline_kernelINS0_14default_configENS1_25partition_config_selectorILNS1_17partition_subalgoE6EiNS0_10empty_typeEbEEZZNS1_14partition_implILS5_6ELb0ES3_mN6thrust23THRUST_200600_302600_NS10device_ptrIiEEPS6_SD_NS0_5tupleIJSC_S6_EEENSE_IJSD_SD_EEES6_PlJNSA_6detail9not_fun_tINSI_10functional5actorINSK_9compositeIJNSK_27transparent_binary_operatorINSA_8equal_toIvEEEENSL_INSK_8argumentILj0EEEEENSK_5valueIiEEEEEEEEEEEE10hipError_tPvRmT3_T4_T5_T6_T7_T9_mT8_P12ihipStream_tbDpT10_ENKUlT_T0_E_clISt17integral_constantIbLb1EES1H_IbLb0EEEEDaS1D_S1E_EUlS1D_E_NS1_11comp_targetILNS1_3genE10ELNS1_11target_archE1200ELNS1_3gpuE4ELNS1_3repE0EEENS1_30default_config_static_selectorELNS0_4arch9wavefront6targetE0EEEvT1_
	.globl	_ZN7rocprim17ROCPRIM_400000_NS6detail17trampoline_kernelINS0_14default_configENS1_25partition_config_selectorILNS1_17partition_subalgoE6EiNS0_10empty_typeEbEEZZNS1_14partition_implILS5_6ELb0ES3_mN6thrust23THRUST_200600_302600_NS10device_ptrIiEEPS6_SD_NS0_5tupleIJSC_S6_EEENSE_IJSD_SD_EEES6_PlJNSA_6detail9not_fun_tINSI_10functional5actorINSK_9compositeIJNSK_27transparent_binary_operatorINSA_8equal_toIvEEEENSL_INSK_8argumentILj0EEEEENSK_5valueIiEEEEEEEEEEEE10hipError_tPvRmT3_T4_T5_T6_T7_T9_mT8_P12ihipStream_tbDpT10_ENKUlT_T0_E_clISt17integral_constantIbLb1EES1H_IbLb0EEEEDaS1D_S1E_EUlS1D_E_NS1_11comp_targetILNS1_3genE10ELNS1_11target_archE1200ELNS1_3gpuE4ELNS1_3repE0EEENS1_30default_config_static_selectorELNS0_4arch9wavefront6targetE0EEEvT1_
	.p2align	8
	.type	_ZN7rocprim17ROCPRIM_400000_NS6detail17trampoline_kernelINS0_14default_configENS1_25partition_config_selectorILNS1_17partition_subalgoE6EiNS0_10empty_typeEbEEZZNS1_14partition_implILS5_6ELb0ES3_mN6thrust23THRUST_200600_302600_NS10device_ptrIiEEPS6_SD_NS0_5tupleIJSC_S6_EEENSE_IJSD_SD_EEES6_PlJNSA_6detail9not_fun_tINSI_10functional5actorINSK_9compositeIJNSK_27transparent_binary_operatorINSA_8equal_toIvEEEENSL_INSK_8argumentILj0EEEEENSK_5valueIiEEEEEEEEEEEE10hipError_tPvRmT3_T4_T5_T6_T7_T9_mT8_P12ihipStream_tbDpT10_ENKUlT_T0_E_clISt17integral_constantIbLb1EES1H_IbLb0EEEEDaS1D_S1E_EUlS1D_E_NS1_11comp_targetILNS1_3genE10ELNS1_11target_archE1200ELNS1_3gpuE4ELNS1_3repE0EEENS1_30default_config_static_selectorELNS0_4arch9wavefront6targetE0EEEvT1_,@function
_ZN7rocprim17ROCPRIM_400000_NS6detail17trampoline_kernelINS0_14default_configENS1_25partition_config_selectorILNS1_17partition_subalgoE6EiNS0_10empty_typeEbEEZZNS1_14partition_implILS5_6ELb0ES3_mN6thrust23THRUST_200600_302600_NS10device_ptrIiEEPS6_SD_NS0_5tupleIJSC_S6_EEENSE_IJSD_SD_EEES6_PlJNSA_6detail9not_fun_tINSI_10functional5actorINSK_9compositeIJNSK_27transparent_binary_operatorINSA_8equal_toIvEEEENSL_INSK_8argumentILj0EEEEENSK_5valueIiEEEEEEEEEEEE10hipError_tPvRmT3_T4_T5_T6_T7_T9_mT8_P12ihipStream_tbDpT10_ENKUlT_T0_E_clISt17integral_constantIbLb1EES1H_IbLb0EEEEDaS1D_S1E_EUlS1D_E_NS1_11comp_targetILNS1_3genE10ELNS1_11target_archE1200ELNS1_3gpuE4ELNS1_3repE0EEENS1_30default_config_static_selectorELNS0_4arch9wavefront6targetE0EEEvT1_: ; @_ZN7rocprim17ROCPRIM_400000_NS6detail17trampoline_kernelINS0_14default_configENS1_25partition_config_selectorILNS1_17partition_subalgoE6EiNS0_10empty_typeEbEEZZNS1_14partition_implILS5_6ELb0ES3_mN6thrust23THRUST_200600_302600_NS10device_ptrIiEEPS6_SD_NS0_5tupleIJSC_S6_EEENSE_IJSD_SD_EEES6_PlJNSA_6detail9not_fun_tINSI_10functional5actorINSK_9compositeIJNSK_27transparent_binary_operatorINSA_8equal_toIvEEEENSL_INSK_8argumentILj0EEEEENSK_5valueIiEEEEEEEEEEEE10hipError_tPvRmT3_T4_T5_T6_T7_T9_mT8_P12ihipStream_tbDpT10_ENKUlT_T0_E_clISt17integral_constantIbLb1EES1H_IbLb0EEEEDaS1D_S1E_EUlS1D_E_NS1_11comp_targetILNS1_3genE10ELNS1_11target_archE1200ELNS1_3gpuE4ELNS1_3repE0EEENS1_30default_config_static_selectorELNS0_4arch9wavefront6targetE0EEEvT1_
; %bb.0:
	s_endpgm
	.section	.rodata,"a",@progbits
	.p2align	6, 0x0
	.amdhsa_kernel _ZN7rocprim17ROCPRIM_400000_NS6detail17trampoline_kernelINS0_14default_configENS1_25partition_config_selectorILNS1_17partition_subalgoE6EiNS0_10empty_typeEbEEZZNS1_14partition_implILS5_6ELb0ES3_mN6thrust23THRUST_200600_302600_NS10device_ptrIiEEPS6_SD_NS0_5tupleIJSC_S6_EEENSE_IJSD_SD_EEES6_PlJNSA_6detail9not_fun_tINSI_10functional5actorINSK_9compositeIJNSK_27transparent_binary_operatorINSA_8equal_toIvEEEENSL_INSK_8argumentILj0EEEEENSK_5valueIiEEEEEEEEEEEE10hipError_tPvRmT3_T4_T5_T6_T7_T9_mT8_P12ihipStream_tbDpT10_ENKUlT_T0_E_clISt17integral_constantIbLb1EES1H_IbLb0EEEEDaS1D_S1E_EUlS1D_E_NS1_11comp_targetILNS1_3genE10ELNS1_11target_archE1200ELNS1_3gpuE4ELNS1_3repE0EEENS1_30default_config_static_selectorELNS0_4arch9wavefront6targetE0EEEvT1_
		.amdhsa_group_segment_fixed_size 0
		.amdhsa_private_segment_fixed_size 0
		.amdhsa_kernarg_size 120
		.amdhsa_user_sgpr_count 2
		.amdhsa_user_sgpr_dispatch_ptr 0
		.amdhsa_user_sgpr_queue_ptr 0
		.amdhsa_user_sgpr_kernarg_segment_ptr 1
		.amdhsa_user_sgpr_dispatch_id 0
		.amdhsa_user_sgpr_private_segment_size 0
		.amdhsa_wavefront_size32 1
		.amdhsa_uses_dynamic_stack 0
		.amdhsa_enable_private_segment 0
		.amdhsa_system_sgpr_workgroup_id_x 1
		.amdhsa_system_sgpr_workgroup_id_y 0
		.amdhsa_system_sgpr_workgroup_id_z 0
		.amdhsa_system_sgpr_workgroup_info 0
		.amdhsa_system_vgpr_workitem_id 0
		.amdhsa_next_free_vgpr 1
		.amdhsa_next_free_sgpr 1
		.amdhsa_reserve_vcc 0
		.amdhsa_float_round_mode_32 0
		.amdhsa_float_round_mode_16_64 0
		.amdhsa_float_denorm_mode_32 3
		.amdhsa_float_denorm_mode_16_64 3
		.amdhsa_fp16_overflow 0
		.amdhsa_workgroup_processor_mode 1
		.amdhsa_memory_ordered 1
		.amdhsa_forward_progress 1
		.amdhsa_inst_pref_size 1
		.amdhsa_round_robin_scheduling 0
		.amdhsa_exception_fp_ieee_invalid_op 0
		.amdhsa_exception_fp_denorm_src 0
		.amdhsa_exception_fp_ieee_div_zero 0
		.amdhsa_exception_fp_ieee_overflow 0
		.amdhsa_exception_fp_ieee_underflow 0
		.amdhsa_exception_fp_ieee_inexact 0
		.amdhsa_exception_int_div_zero 0
	.end_amdhsa_kernel
	.section	.text._ZN7rocprim17ROCPRIM_400000_NS6detail17trampoline_kernelINS0_14default_configENS1_25partition_config_selectorILNS1_17partition_subalgoE6EiNS0_10empty_typeEbEEZZNS1_14partition_implILS5_6ELb0ES3_mN6thrust23THRUST_200600_302600_NS10device_ptrIiEEPS6_SD_NS0_5tupleIJSC_S6_EEENSE_IJSD_SD_EEES6_PlJNSA_6detail9not_fun_tINSI_10functional5actorINSK_9compositeIJNSK_27transparent_binary_operatorINSA_8equal_toIvEEEENSL_INSK_8argumentILj0EEEEENSK_5valueIiEEEEEEEEEEEE10hipError_tPvRmT3_T4_T5_T6_T7_T9_mT8_P12ihipStream_tbDpT10_ENKUlT_T0_E_clISt17integral_constantIbLb1EES1H_IbLb0EEEEDaS1D_S1E_EUlS1D_E_NS1_11comp_targetILNS1_3genE10ELNS1_11target_archE1200ELNS1_3gpuE4ELNS1_3repE0EEENS1_30default_config_static_selectorELNS0_4arch9wavefront6targetE0EEEvT1_,"axG",@progbits,_ZN7rocprim17ROCPRIM_400000_NS6detail17trampoline_kernelINS0_14default_configENS1_25partition_config_selectorILNS1_17partition_subalgoE6EiNS0_10empty_typeEbEEZZNS1_14partition_implILS5_6ELb0ES3_mN6thrust23THRUST_200600_302600_NS10device_ptrIiEEPS6_SD_NS0_5tupleIJSC_S6_EEENSE_IJSD_SD_EEES6_PlJNSA_6detail9not_fun_tINSI_10functional5actorINSK_9compositeIJNSK_27transparent_binary_operatorINSA_8equal_toIvEEEENSL_INSK_8argumentILj0EEEEENSK_5valueIiEEEEEEEEEEEE10hipError_tPvRmT3_T4_T5_T6_T7_T9_mT8_P12ihipStream_tbDpT10_ENKUlT_T0_E_clISt17integral_constantIbLb1EES1H_IbLb0EEEEDaS1D_S1E_EUlS1D_E_NS1_11comp_targetILNS1_3genE10ELNS1_11target_archE1200ELNS1_3gpuE4ELNS1_3repE0EEENS1_30default_config_static_selectorELNS0_4arch9wavefront6targetE0EEEvT1_,comdat
.Lfunc_end2866:
	.size	_ZN7rocprim17ROCPRIM_400000_NS6detail17trampoline_kernelINS0_14default_configENS1_25partition_config_selectorILNS1_17partition_subalgoE6EiNS0_10empty_typeEbEEZZNS1_14partition_implILS5_6ELb0ES3_mN6thrust23THRUST_200600_302600_NS10device_ptrIiEEPS6_SD_NS0_5tupleIJSC_S6_EEENSE_IJSD_SD_EEES6_PlJNSA_6detail9not_fun_tINSI_10functional5actorINSK_9compositeIJNSK_27transparent_binary_operatorINSA_8equal_toIvEEEENSL_INSK_8argumentILj0EEEEENSK_5valueIiEEEEEEEEEEEE10hipError_tPvRmT3_T4_T5_T6_T7_T9_mT8_P12ihipStream_tbDpT10_ENKUlT_T0_E_clISt17integral_constantIbLb1EES1H_IbLb0EEEEDaS1D_S1E_EUlS1D_E_NS1_11comp_targetILNS1_3genE10ELNS1_11target_archE1200ELNS1_3gpuE4ELNS1_3repE0EEENS1_30default_config_static_selectorELNS0_4arch9wavefront6targetE0EEEvT1_, .Lfunc_end2866-_ZN7rocprim17ROCPRIM_400000_NS6detail17trampoline_kernelINS0_14default_configENS1_25partition_config_selectorILNS1_17partition_subalgoE6EiNS0_10empty_typeEbEEZZNS1_14partition_implILS5_6ELb0ES3_mN6thrust23THRUST_200600_302600_NS10device_ptrIiEEPS6_SD_NS0_5tupleIJSC_S6_EEENSE_IJSD_SD_EEES6_PlJNSA_6detail9not_fun_tINSI_10functional5actorINSK_9compositeIJNSK_27transparent_binary_operatorINSA_8equal_toIvEEEENSL_INSK_8argumentILj0EEEEENSK_5valueIiEEEEEEEEEEEE10hipError_tPvRmT3_T4_T5_T6_T7_T9_mT8_P12ihipStream_tbDpT10_ENKUlT_T0_E_clISt17integral_constantIbLb1EES1H_IbLb0EEEEDaS1D_S1E_EUlS1D_E_NS1_11comp_targetILNS1_3genE10ELNS1_11target_archE1200ELNS1_3gpuE4ELNS1_3repE0EEENS1_30default_config_static_selectorELNS0_4arch9wavefront6targetE0EEEvT1_
                                        ; -- End function
	.set _ZN7rocprim17ROCPRIM_400000_NS6detail17trampoline_kernelINS0_14default_configENS1_25partition_config_selectorILNS1_17partition_subalgoE6EiNS0_10empty_typeEbEEZZNS1_14partition_implILS5_6ELb0ES3_mN6thrust23THRUST_200600_302600_NS10device_ptrIiEEPS6_SD_NS0_5tupleIJSC_S6_EEENSE_IJSD_SD_EEES6_PlJNSA_6detail9not_fun_tINSI_10functional5actorINSK_9compositeIJNSK_27transparent_binary_operatorINSA_8equal_toIvEEEENSL_INSK_8argumentILj0EEEEENSK_5valueIiEEEEEEEEEEEE10hipError_tPvRmT3_T4_T5_T6_T7_T9_mT8_P12ihipStream_tbDpT10_ENKUlT_T0_E_clISt17integral_constantIbLb1EES1H_IbLb0EEEEDaS1D_S1E_EUlS1D_E_NS1_11comp_targetILNS1_3genE10ELNS1_11target_archE1200ELNS1_3gpuE4ELNS1_3repE0EEENS1_30default_config_static_selectorELNS0_4arch9wavefront6targetE0EEEvT1_.num_vgpr, 0
	.set _ZN7rocprim17ROCPRIM_400000_NS6detail17trampoline_kernelINS0_14default_configENS1_25partition_config_selectorILNS1_17partition_subalgoE6EiNS0_10empty_typeEbEEZZNS1_14partition_implILS5_6ELb0ES3_mN6thrust23THRUST_200600_302600_NS10device_ptrIiEEPS6_SD_NS0_5tupleIJSC_S6_EEENSE_IJSD_SD_EEES6_PlJNSA_6detail9not_fun_tINSI_10functional5actorINSK_9compositeIJNSK_27transparent_binary_operatorINSA_8equal_toIvEEEENSL_INSK_8argumentILj0EEEEENSK_5valueIiEEEEEEEEEEEE10hipError_tPvRmT3_T4_T5_T6_T7_T9_mT8_P12ihipStream_tbDpT10_ENKUlT_T0_E_clISt17integral_constantIbLb1EES1H_IbLb0EEEEDaS1D_S1E_EUlS1D_E_NS1_11comp_targetILNS1_3genE10ELNS1_11target_archE1200ELNS1_3gpuE4ELNS1_3repE0EEENS1_30default_config_static_selectorELNS0_4arch9wavefront6targetE0EEEvT1_.num_agpr, 0
	.set _ZN7rocprim17ROCPRIM_400000_NS6detail17trampoline_kernelINS0_14default_configENS1_25partition_config_selectorILNS1_17partition_subalgoE6EiNS0_10empty_typeEbEEZZNS1_14partition_implILS5_6ELb0ES3_mN6thrust23THRUST_200600_302600_NS10device_ptrIiEEPS6_SD_NS0_5tupleIJSC_S6_EEENSE_IJSD_SD_EEES6_PlJNSA_6detail9not_fun_tINSI_10functional5actorINSK_9compositeIJNSK_27transparent_binary_operatorINSA_8equal_toIvEEEENSL_INSK_8argumentILj0EEEEENSK_5valueIiEEEEEEEEEEEE10hipError_tPvRmT3_T4_T5_T6_T7_T9_mT8_P12ihipStream_tbDpT10_ENKUlT_T0_E_clISt17integral_constantIbLb1EES1H_IbLb0EEEEDaS1D_S1E_EUlS1D_E_NS1_11comp_targetILNS1_3genE10ELNS1_11target_archE1200ELNS1_3gpuE4ELNS1_3repE0EEENS1_30default_config_static_selectorELNS0_4arch9wavefront6targetE0EEEvT1_.numbered_sgpr, 0
	.set _ZN7rocprim17ROCPRIM_400000_NS6detail17trampoline_kernelINS0_14default_configENS1_25partition_config_selectorILNS1_17partition_subalgoE6EiNS0_10empty_typeEbEEZZNS1_14partition_implILS5_6ELb0ES3_mN6thrust23THRUST_200600_302600_NS10device_ptrIiEEPS6_SD_NS0_5tupleIJSC_S6_EEENSE_IJSD_SD_EEES6_PlJNSA_6detail9not_fun_tINSI_10functional5actorINSK_9compositeIJNSK_27transparent_binary_operatorINSA_8equal_toIvEEEENSL_INSK_8argumentILj0EEEEENSK_5valueIiEEEEEEEEEEEE10hipError_tPvRmT3_T4_T5_T6_T7_T9_mT8_P12ihipStream_tbDpT10_ENKUlT_T0_E_clISt17integral_constantIbLb1EES1H_IbLb0EEEEDaS1D_S1E_EUlS1D_E_NS1_11comp_targetILNS1_3genE10ELNS1_11target_archE1200ELNS1_3gpuE4ELNS1_3repE0EEENS1_30default_config_static_selectorELNS0_4arch9wavefront6targetE0EEEvT1_.num_named_barrier, 0
	.set _ZN7rocprim17ROCPRIM_400000_NS6detail17trampoline_kernelINS0_14default_configENS1_25partition_config_selectorILNS1_17partition_subalgoE6EiNS0_10empty_typeEbEEZZNS1_14partition_implILS5_6ELb0ES3_mN6thrust23THRUST_200600_302600_NS10device_ptrIiEEPS6_SD_NS0_5tupleIJSC_S6_EEENSE_IJSD_SD_EEES6_PlJNSA_6detail9not_fun_tINSI_10functional5actorINSK_9compositeIJNSK_27transparent_binary_operatorINSA_8equal_toIvEEEENSL_INSK_8argumentILj0EEEEENSK_5valueIiEEEEEEEEEEEE10hipError_tPvRmT3_T4_T5_T6_T7_T9_mT8_P12ihipStream_tbDpT10_ENKUlT_T0_E_clISt17integral_constantIbLb1EES1H_IbLb0EEEEDaS1D_S1E_EUlS1D_E_NS1_11comp_targetILNS1_3genE10ELNS1_11target_archE1200ELNS1_3gpuE4ELNS1_3repE0EEENS1_30default_config_static_selectorELNS0_4arch9wavefront6targetE0EEEvT1_.private_seg_size, 0
	.set _ZN7rocprim17ROCPRIM_400000_NS6detail17trampoline_kernelINS0_14default_configENS1_25partition_config_selectorILNS1_17partition_subalgoE6EiNS0_10empty_typeEbEEZZNS1_14partition_implILS5_6ELb0ES3_mN6thrust23THRUST_200600_302600_NS10device_ptrIiEEPS6_SD_NS0_5tupleIJSC_S6_EEENSE_IJSD_SD_EEES6_PlJNSA_6detail9not_fun_tINSI_10functional5actorINSK_9compositeIJNSK_27transparent_binary_operatorINSA_8equal_toIvEEEENSL_INSK_8argumentILj0EEEEENSK_5valueIiEEEEEEEEEEEE10hipError_tPvRmT3_T4_T5_T6_T7_T9_mT8_P12ihipStream_tbDpT10_ENKUlT_T0_E_clISt17integral_constantIbLb1EES1H_IbLb0EEEEDaS1D_S1E_EUlS1D_E_NS1_11comp_targetILNS1_3genE10ELNS1_11target_archE1200ELNS1_3gpuE4ELNS1_3repE0EEENS1_30default_config_static_selectorELNS0_4arch9wavefront6targetE0EEEvT1_.uses_vcc, 0
	.set _ZN7rocprim17ROCPRIM_400000_NS6detail17trampoline_kernelINS0_14default_configENS1_25partition_config_selectorILNS1_17partition_subalgoE6EiNS0_10empty_typeEbEEZZNS1_14partition_implILS5_6ELb0ES3_mN6thrust23THRUST_200600_302600_NS10device_ptrIiEEPS6_SD_NS0_5tupleIJSC_S6_EEENSE_IJSD_SD_EEES6_PlJNSA_6detail9not_fun_tINSI_10functional5actorINSK_9compositeIJNSK_27transparent_binary_operatorINSA_8equal_toIvEEEENSL_INSK_8argumentILj0EEEEENSK_5valueIiEEEEEEEEEEEE10hipError_tPvRmT3_T4_T5_T6_T7_T9_mT8_P12ihipStream_tbDpT10_ENKUlT_T0_E_clISt17integral_constantIbLb1EES1H_IbLb0EEEEDaS1D_S1E_EUlS1D_E_NS1_11comp_targetILNS1_3genE10ELNS1_11target_archE1200ELNS1_3gpuE4ELNS1_3repE0EEENS1_30default_config_static_selectorELNS0_4arch9wavefront6targetE0EEEvT1_.uses_flat_scratch, 0
	.set _ZN7rocprim17ROCPRIM_400000_NS6detail17trampoline_kernelINS0_14default_configENS1_25partition_config_selectorILNS1_17partition_subalgoE6EiNS0_10empty_typeEbEEZZNS1_14partition_implILS5_6ELb0ES3_mN6thrust23THRUST_200600_302600_NS10device_ptrIiEEPS6_SD_NS0_5tupleIJSC_S6_EEENSE_IJSD_SD_EEES6_PlJNSA_6detail9not_fun_tINSI_10functional5actorINSK_9compositeIJNSK_27transparent_binary_operatorINSA_8equal_toIvEEEENSL_INSK_8argumentILj0EEEEENSK_5valueIiEEEEEEEEEEEE10hipError_tPvRmT3_T4_T5_T6_T7_T9_mT8_P12ihipStream_tbDpT10_ENKUlT_T0_E_clISt17integral_constantIbLb1EES1H_IbLb0EEEEDaS1D_S1E_EUlS1D_E_NS1_11comp_targetILNS1_3genE10ELNS1_11target_archE1200ELNS1_3gpuE4ELNS1_3repE0EEENS1_30default_config_static_selectorELNS0_4arch9wavefront6targetE0EEEvT1_.has_dyn_sized_stack, 0
	.set _ZN7rocprim17ROCPRIM_400000_NS6detail17trampoline_kernelINS0_14default_configENS1_25partition_config_selectorILNS1_17partition_subalgoE6EiNS0_10empty_typeEbEEZZNS1_14partition_implILS5_6ELb0ES3_mN6thrust23THRUST_200600_302600_NS10device_ptrIiEEPS6_SD_NS0_5tupleIJSC_S6_EEENSE_IJSD_SD_EEES6_PlJNSA_6detail9not_fun_tINSI_10functional5actorINSK_9compositeIJNSK_27transparent_binary_operatorINSA_8equal_toIvEEEENSL_INSK_8argumentILj0EEEEENSK_5valueIiEEEEEEEEEEEE10hipError_tPvRmT3_T4_T5_T6_T7_T9_mT8_P12ihipStream_tbDpT10_ENKUlT_T0_E_clISt17integral_constantIbLb1EES1H_IbLb0EEEEDaS1D_S1E_EUlS1D_E_NS1_11comp_targetILNS1_3genE10ELNS1_11target_archE1200ELNS1_3gpuE4ELNS1_3repE0EEENS1_30default_config_static_selectorELNS0_4arch9wavefront6targetE0EEEvT1_.has_recursion, 0
	.set _ZN7rocprim17ROCPRIM_400000_NS6detail17trampoline_kernelINS0_14default_configENS1_25partition_config_selectorILNS1_17partition_subalgoE6EiNS0_10empty_typeEbEEZZNS1_14partition_implILS5_6ELb0ES3_mN6thrust23THRUST_200600_302600_NS10device_ptrIiEEPS6_SD_NS0_5tupleIJSC_S6_EEENSE_IJSD_SD_EEES6_PlJNSA_6detail9not_fun_tINSI_10functional5actorINSK_9compositeIJNSK_27transparent_binary_operatorINSA_8equal_toIvEEEENSL_INSK_8argumentILj0EEEEENSK_5valueIiEEEEEEEEEEEE10hipError_tPvRmT3_T4_T5_T6_T7_T9_mT8_P12ihipStream_tbDpT10_ENKUlT_T0_E_clISt17integral_constantIbLb1EES1H_IbLb0EEEEDaS1D_S1E_EUlS1D_E_NS1_11comp_targetILNS1_3genE10ELNS1_11target_archE1200ELNS1_3gpuE4ELNS1_3repE0EEENS1_30default_config_static_selectorELNS0_4arch9wavefront6targetE0EEEvT1_.has_indirect_call, 0
	.section	.AMDGPU.csdata,"",@progbits
; Kernel info:
; codeLenInByte = 4
; TotalNumSgprs: 0
; NumVgprs: 0
; ScratchSize: 0
; MemoryBound: 0
; FloatMode: 240
; IeeeMode: 1
; LDSByteSize: 0 bytes/workgroup (compile time only)
; SGPRBlocks: 0
; VGPRBlocks: 0
; NumSGPRsForWavesPerEU: 1
; NumVGPRsForWavesPerEU: 1
; Occupancy: 16
; WaveLimiterHint : 0
; COMPUTE_PGM_RSRC2:SCRATCH_EN: 0
; COMPUTE_PGM_RSRC2:USER_SGPR: 2
; COMPUTE_PGM_RSRC2:TRAP_HANDLER: 0
; COMPUTE_PGM_RSRC2:TGID_X_EN: 1
; COMPUTE_PGM_RSRC2:TGID_Y_EN: 0
; COMPUTE_PGM_RSRC2:TGID_Z_EN: 0
; COMPUTE_PGM_RSRC2:TIDIG_COMP_CNT: 0
	.section	.text._ZN7rocprim17ROCPRIM_400000_NS6detail17trampoline_kernelINS0_14default_configENS1_25partition_config_selectorILNS1_17partition_subalgoE6EiNS0_10empty_typeEbEEZZNS1_14partition_implILS5_6ELb0ES3_mN6thrust23THRUST_200600_302600_NS10device_ptrIiEEPS6_SD_NS0_5tupleIJSC_S6_EEENSE_IJSD_SD_EEES6_PlJNSA_6detail9not_fun_tINSI_10functional5actorINSK_9compositeIJNSK_27transparent_binary_operatorINSA_8equal_toIvEEEENSL_INSK_8argumentILj0EEEEENSK_5valueIiEEEEEEEEEEEE10hipError_tPvRmT3_T4_T5_T6_T7_T9_mT8_P12ihipStream_tbDpT10_ENKUlT_T0_E_clISt17integral_constantIbLb1EES1H_IbLb0EEEEDaS1D_S1E_EUlS1D_E_NS1_11comp_targetILNS1_3genE9ELNS1_11target_archE1100ELNS1_3gpuE3ELNS1_3repE0EEENS1_30default_config_static_selectorELNS0_4arch9wavefront6targetE0EEEvT1_,"axG",@progbits,_ZN7rocprim17ROCPRIM_400000_NS6detail17trampoline_kernelINS0_14default_configENS1_25partition_config_selectorILNS1_17partition_subalgoE6EiNS0_10empty_typeEbEEZZNS1_14partition_implILS5_6ELb0ES3_mN6thrust23THRUST_200600_302600_NS10device_ptrIiEEPS6_SD_NS0_5tupleIJSC_S6_EEENSE_IJSD_SD_EEES6_PlJNSA_6detail9not_fun_tINSI_10functional5actorINSK_9compositeIJNSK_27transparent_binary_operatorINSA_8equal_toIvEEEENSL_INSK_8argumentILj0EEEEENSK_5valueIiEEEEEEEEEEEE10hipError_tPvRmT3_T4_T5_T6_T7_T9_mT8_P12ihipStream_tbDpT10_ENKUlT_T0_E_clISt17integral_constantIbLb1EES1H_IbLb0EEEEDaS1D_S1E_EUlS1D_E_NS1_11comp_targetILNS1_3genE9ELNS1_11target_archE1100ELNS1_3gpuE3ELNS1_3repE0EEENS1_30default_config_static_selectorELNS0_4arch9wavefront6targetE0EEEvT1_,comdat
	.protected	_ZN7rocprim17ROCPRIM_400000_NS6detail17trampoline_kernelINS0_14default_configENS1_25partition_config_selectorILNS1_17partition_subalgoE6EiNS0_10empty_typeEbEEZZNS1_14partition_implILS5_6ELb0ES3_mN6thrust23THRUST_200600_302600_NS10device_ptrIiEEPS6_SD_NS0_5tupleIJSC_S6_EEENSE_IJSD_SD_EEES6_PlJNSA_6detail9not_fun_tINSI_10functional5actorINSK_9compositeIJNSK_27transparent_binary_operatorINSA_8equal_toIvEEEENSL_INSK_8argumentILj0EEEEENSK_5valueIiEEEEEEEEEEEE10hipError_tPvRmT3_T4_T5_T6_T7_T9_mT8_P12ihipStream_tbDpT10_ENKUlT_T0_E_clISt17integral_constantIbLb1EES1H_IbLb0EEEEDaS1D_S1E_EUlS1D_E_NS1_11comp_targetILNS1_3genE9ELNS1_11target_archE1100ELNS1_3gpuE3ELNS1_3repE0EEENS1_30default_config_static_selectorELNS0_4arch9wavefront6targetE0EEEvT1_ ; -- Begin function _ZN7rocprim17ROCPRIM_400000_NS6detail17trampoline_kernelINS0_14default_configENS1_25partition_config_selectorILNS1_17partition_subalgoE6EiNS0_10empty_typeEbEEZZNS1_14partition_implILS5_6ELb0ES3_mN6thrust23THRUST_200600_302600_NS10device_ptrIiEEPS6_SD_NS0_5tupleIJSC_S6_EEENSE_IJSD_SD_EEES6_PlJNSA_6detail9not_fun_tINSI_10functional5actorINSK_9compositeIJNSK_27transparent_binary_operatorINSA_8equal_toIvEEEENSL_INSK_8argumentILj0EEEEENSK_5valueIiEEEEEEEEEEEE10hipError_tPvRmT3_T4_T5_T6_T7_T9_mT8_P12ihipStream_tbDpT10_ENKUlT_T0_E_clISt17integral_constantIbLb1EES1H_IbLb0EEEEDaS1D_S1E_EUlS1D_E_NS1_11comp_targetILNS1_3genE9ELNS1_11target_archE1100ELNS1_3gpuE3ELNS1_3repE0EEENS1_30default_config_static_selectorELNS0_4arch9wavefront6targetE0EEEvT1_
	.globl	_ZN7rocprim17ROCPRIM_400000_NS6detail17trampoline_kernelINS0_14default_configENS1_25partition_config_selectorILNS1_17partition_subalgoE6EiNS0_10empty_typeEbEEZZNS1_14partition_implILS5_6ELb0ES3_mN6thrust23THRUST_200600_302600_NS10device_ptrIiEEPS6_SD_NS0_5tupleIJSC_S6_EEENSE_IJSD_SD_EEES6_PlJNSA_6detail9not_fun_tINSI_10functional5actorINSK_9compositeIJNSK_27transparent_binary_operatorINSA_8equal_toIvEEEENSL_INSK_8argumentILj0EEEEENSK_5valueIiEEEEEEEEEEEE10hipError_tPvRmT3_T4_T5_T6_T7_T9_mT8_P12ihipStream_tbDpT10_ENKUlT_T0_E_clISt17integral_constantIbLb1EES1H_IbLb0EEEEDaS1D_S1E_EUlS1D_E_NS1_11comp_targetILNS1_3genE9ELNS1_11target_archE1100ELNS1_3gpuE3ELNS1_3repE0EEENS1_30default_config_static_selectorELNS0_4arch9wavefront6targetE0EEEvT1_
	.p2align	8
	.type	_ZN7rocprim17ROCPRIM_400000_NS6detail17trampoline_kernelINS0_14default_configENS1_25partition_config_selectorILNS1_17partition_subalgoE6EiNS0_10empty_typeEbEEZZNS1_14partition_implILS5_6ELb0ES3_mN6thrust23THRUST_200600_302600_NS10device_ptrIiEEPS6_SD_NS0_5tupleIJSC_S6_EEENSE_IJSD_SD_EEES6_PlJNSA_6detail9not_fun_tINSI_10functional5actorINSK_9compositeIJNSK_27transparent_binary_operatorINSA_8equal_toIvEEEENSL_INSK_8argumentILj0EEEEENSK_5valueIiEEEEEEEEEEEE10hipError_tPvRmT3_T4_T5_T6_T7_T9_mT8_P12ihipStream_tbDpT10_ENKUlT_T0_E_clISt17integral_constantIbLb1EES1H_IbLb0EEEEDaS1D_S1E_EUlS1D_E_NS1_11comp_targetILNS1_3genE9ELNS1_11target_archE1100ELNS1_3gpuE3ELNS1_3repE0EEENS1_30default_config_static_selectorELNS0_4arch9wavefront6targetE0EEEvT1_,@function
_ZN7rocprim17ROCPRIM_400000_NS6detail17trampoline_kernelINS0_14default_configENS1_25partition_config_selectorILNS1_17partition_subalgoE6EiNS0_10empty_typeEbEEZZNS1_14partition_implILS5_6ELb0ES3_mN6thrust23THRUST_200600_302600_NS10device_ptrIiEEPS6_SD_NS0_5tupleIJSC_S6_EEENSE_IJSD_SD_EEES6_PlJNSA_6detail9not_fun_tINSI_10functional5actorINSK_9compositeIJNSK_27transparent_binary_operatorINSA_8equal_toIvEEEENSL_INSK_8argumentILj0EEEEENSK_5valueIiEEEEEEEEEEEE10hipError_tPvRmT3_T4_T5_T6_T7_T9_mT8_P12ihipStream_tbDpT10_ENKUlT_T0_E_clISt17integral_constantIbLb1EES1H_IbLb0EEEEDaS1D_S1E_EUlS1D_E_NS1_11comp_targetILNS1_3genE9ELNS1_11target_archE1100ELNS1_3gpuE3ELNS1_3repE0EEENS1_30default_config_static_selectorELNS0_4arch9wavefront6targetE0EEEvT1_: ; @_ZN7rocprim17ROCPRIM_400000_NS6detail17trampoline_kernelINS0_14default_configENS1_25partition_config_selectorILNS1_17partition_subalgoE6EiNS0_10empty_typeEbEEZZNS1_14partition_implILS5_6ELb0ES3_mN6thrust23THRUST_200600_302600_NS10device_ptrIiEEPS6_SD_NS0_5tupleIJSC_S6_EEENSE_IJSD_SD_EEES6_PlJNSA_6detail9not_fun_tINSI_10functional5actorINSK_9compositeIJNSK_27transparent_binary_operatorINSA_8equal_toIvEEEENSL_INSK_8argumentILj0EEEEENSK_5valueIiEEEEEEEEEEEE10hipError_tPvRmT3_T4_T5_T6_T7_T9_mT8_P12ihipStream_tbDpT10_ENKUlT_T0_E_clISt17integral_constantIbLb1EES1H_IbLb0EEEEDaS1D_S1E_EUlS1D_E_NS1_11comp_targetILNS1_3genE9ELNS1_11target_archE1100ELNS1_3gpuE3ELNS1_3repE0EEENS1_30default_config_static_selectorELNS0_4arch9wavefront6targetE0EEEvT1_
; %bb.0:
	.section	.rodata,"a",@progbits
	.p2align	6, 0x0
	.amdhsa_kernel _ZN7rocprim17ROCPRIM_400000_NS6detail17trampoline_kernelINS0_14default_configENS1_25partition_config_selectorILNS1_17partition_subalgoE6EiNS0_10empty_typeEbEEZZNS1_14partition_implILS5_6ELb0ES3_mN6thrust23THRUST_200600_302600_NS10device_ptrIiEEPS6_SD_NS0_5tupleIJSC_S6_EEENSE_IJSD_SD_EEES6_PlJNSA_6detail9not_fun_tINSI_10functional5actorINSK_9compositeIJNSK_27transparent_binary_operatorINSA_8equal_toIvEEEENSL_INSK_8argumentILj0EEEEENSK_5valueIiEEEEEEEEEEEE10hipError_tPvRmT3_T4_T5_T6_T7_T9_mT8_P12ihipStream_tbDpT10_ENKUlT_T0_E_clISt17integral_constantIbLb1EES1H_IbLb0EEEEDaS1D_S1E_EUlS1D_E_NS1_11comp_targetILNS1_3genE9ELNS1_11target_archE1100ELNS1_3gpuE3ELNS1_3repE0EEENS1_30default_config_static_selectorELNS0_4arch9wavefront6targetE0EEEvT1_
		.amdhsa_group_segment_fixed_size 0
		.amdhsa_private_segment_fixed_size 0
		.amdhsa_kernarg_size 120
		.amdhsa_user_sgpr_count 2
		.amdhsa_user_sgpr_dispatch_ptr 0
		.amdhsa_user_sgpr_queue_ptr 0
		.amdhsa_user_sgpr_kernarg_segment_ptr 1
		.amdhsa_user_sgpr_dispatch_id 0
		.amdhsa_user_sgpr_private_segment_size 0
		.amdhsa_wavefront_size32 1
		.amdhsa_uses_dynamic_stack 0
		.amdhsa_enable_private_segment 0
		.amdhsa_system_sgpr_workgroup_id_x 1
		.amdhsa_system_sgpr_workgroup_id_y 0
		.amdhsa_system_sgpr_workgroup_id_z 0
		.amdhsa_system_sgpr_workgroup_info 0
		.amdhsa_system_vgpr_workitem_id 0
		.amdhsa_next_free_vgpr 1
		.amdhsa_next_free_sgpr 1
		.amdhsa_reserve_vcc 0
		.amdhsa_float_round_mode_32 0
		.amdhsa_float_round_mode_16_64 0
		.amdhsa_float_denorm_mode_32 3
		.amdhsa_float_denorm_mode_16_64 3
		.amdhsa_fp16_overflow 0
		.amdhsa_workgroup_processor_mode 1
		.amdhsa_memory_ordered 1
		.amdhsa_forward_progress 1
		.amdhsa_inst_pref_size 0
		.amdhsa_round_robin_scheduling 0
		.amdhsa_exception_fp_ieee_invalid_op 0
		.amdhsa_exception_fp_denorm_src 0
		.amdhsa_exception_fp_ieee_div_zero 0
		.amdhsa_exception_fp_ieee_overflow 0
		.amdhsa_exception_fp_ieee_underflow 0
		.amdhsa_exception_fp_ieee_inexact 0
		.amdhsa_exception_int_div_zero 0
	.end_amdhsa_kernel
	.section	.text._ZN7rocprim17ROCPRIM_400000_NS6detail17trampoline_kernelINS0_14default_configENS1_25partition_config_selectorILNS1_17partition_subalgoE6EiNS0_10empty_typeEbEEZZNS1_14partition_implILS5_6ELb0ES3_mN6thrust23THRUST_200600_302600_NS10device_ptrIiEEPS6_SD_NS0_5tupleIJSC_S6_EEENSE_IJSD_SD_EEES6_PlJNSA_6detail9not_fun_tINSI_10functional5actorINSK_9compositeIJNSK_27transparent_binary_operatorINSA_8equal_toIvEEEENSL_INSK_8argumentILj0EEEEENSK_5valueIiEEEEEEEEEEEE10hipError_tPvRmT3_T4_T5_T6_T7_T9_mT8_P12ihipStream_tbDpT10_ENKUlT_T0_E_clISt17integral_constantIbLb1EES1H_IbLb0EEEEDaS1D_S1E_EUlS1D_E_NS1_11comp_targetILNS1_3genE9ELNS1_11target_archE1100ELNS1_3gpuE3ELNS1_3repE0EEENS1_30default_config_static_selectorELNS0_4arch9wavefront6targetE0EEEvT1_,"axG",@progbits,_ZN7rocprim17ROCPRIM_400000_NS6detail17trampoline_kernelINS0_14default_configENS1_25partition_config_selectorILNS1_17partition_subalgoE6EiNS0_10empty_typeEbEEZZNS1_14partition_implILS5_6ELb0ES3_mN6thrust23THRUST_200600_302600_NS10device_ptrIiEEPS6_SD_NS0_5tupleIJSC_S6_EEENSE_IJSD_SD_EEES6_PlJNSA_6detail9not_fun_tINSI_10functional5actorINSK_9compositeIJNSK_27transparent_binary_operatorINSA_8equal_toIvEEEENSL_INSK_8argumentILj0EEEEENSK_5valueIiEEEEEEEEEEEE10hipError_tPvRmT3_T4_T5_T6_T7_T9_mT8_P12ihipStream_tbDpT10_ENKUlT_T0_E_clISt17integral_constantIbLb1EES1H_IbLb0EEEEDaS1D_S1E_EUlS1D_E_NS1_11comp_targetILNS1_3genE9ELNS1_11target_archE1100ELNS1_3gpuE3ELNS1_3repE0EEENS1_30default_config_static_selectorELNS0_4arch9wavefront6targetE0EEEvT1_,comdat
.Lfunc_end2867:
	.size	_ZN7rocprim17ROCPRIM_400000_NS6detail17trampoline_kernelINS0_14default_configENS1_25partition_config_selectorILNS1_17partition_subalgoE6EiNS0_10empty_typeEbEEZZNS1_14partition_implILS5_6ELb0ES3_mN6thrust23THRUST_200600_302600_NS10device_ptrIiEEPS6_SD_NS0_5tupleIJSC_S6_EEENSE_IJSD_SD_EEES6_PlJNSA_6detail9not_fun_tINSI_10functional5actorINSK_9compositeIJNSK_27transparent_binary_operatorINSA_8equal_toIvEEEENSL_INSK_8argumentILj0EEEEENSK_5valueIiEEEEEEEEEEEE10hipError_tPvRmT3_T4_T5_T6_T7_T9_mT8_P12ihipStream_tbDpT10_ENKUlT_T0_E_clISt17integral_constantIbLb1EES1H_IbLb0EEEEDaS1D_S1E_EUlS1D_E_NS1_11comp_targetILNS1_3genE9ELNS1_11target_archE1100ELNS1_3gpuE3ELNS1_3repE0EEENS1_30default_config_static_selectorELNS0_4arch9wavefront6targetE0EEEvT1_, .Lfunc_end2867-_ZN7rocprim17ROCPRIM_400000_NS6detail17trampoline_kernelINS0_14default_configENS1_25partition_config_selectorILNS1_17partition_subalgoE6EiNS0_10empty_typeEbEEZZNS1_14partition_implILS5_6ELb0ES3_mN6thrust23THRUST_200600_302600_NS10device_ptrIiEEPS6_SD_NS0_5tupleIJSC_S6_EEENSE_IJSD_SD_EEES6_PlJNSA_6detail9not_fun_tINSI_10functional5actorINSK_9compositeIJNSK_27transparent_binary_operatorINSA_8equal_toIvEEEENSL_INSK_8argumentILj0EEEEENSK_5valueIiEEEEEEEEEEEE10hipError_tPvRmT3_T4_T5_T6_T7_T9_mT8_P12ihipStream_tbDpT10_ENKUlT_T0_E_clISt17integral_constantIbLb1EES1H_IbLb0EEEEDaS1D_S1E_EUlS1D_E_NS1_11comp_targetILNS1_3genE9ELNS1_11target_archE1100ELNS1_3gpuE3ELNS1_3repE0EEENS1_30default_config_static_selectorELNS0_4arch9wavefront6targetE0EEEvT1_
                                        ; -- End function
	.set _ZN7rocprim17ROCPRIM_400000_NS6detail17trampoline_kernelINS0_14default_configENS1_25partition_config_selectorILNS1_17partition_subalgoE6EiNS0_10empty_typeEbEEZZNS1_14partition_implILS5_6ELb0ES3_mN6thrust23THRUST_200600_302600_NS10device_ptrIiEEPS6_SD_NS0_5tupleIJSC_S6_EEENSE_IJSD_SD_EEES6_PlJNSA_6detail9not_fun_tINSI_10functional5actorINSK_9compositeIJNSK_27transparent_binary_operatorINSA_8equal_toIvEEEENSL_INSK_8argumentILj0EEEEENSK_5valueIiEEEEEEEEEEEE10hipError_tPvRmT3_T4_T5_T6_T7_T9_mT8_P12ihipStream_tbDpT10_ENKUlT_T0_E_clISt17integral_constantIbLb1EES1H_IbLb0EEEEDaS1D_S1E_EUlS1D_E_NS1_11comp_targetILNS1_3genE9ELNS1_11target_archE1100ELNS1_3gpuE3ELNS1_3repE0EEENS1_30default_config_static_selectorELNS0_4arch9wavefront6targetE0EEEvT1_.num_vgpr, 0
	.set _ZN7rocprim17ROCPRIM_400000_NS6detail17trampoline_kernelINS0_14default_configENS1_25partition_config_selectorILNS1_17partition_subalgoE6EiNS0_10empty_typeEbEEZZNS1_14partition_implILS5_6ELb0ES3_mN6thrust23THRUST_200600_302600_NS10device_ptrIiEEPS6_SD_NS0_5tupleIJSC_S6_EEENSE_IJSD_SD_EEES6_PlJNSA_6detail9not_fun_tINSI_10functional5actorINSK_9compositeIJNSK_27transparent_binary_operatorINSA_8equal_toIvEEEENSL_INSK_8argumentILj0EEEEENSK_5valueIiEEEEEEEEEEEE10hipError_tPvRmT3_T4_T5_T6_T7_T9_mT8_P12ihipStream_tbDpT10_ENKUlT_T0_E_clISt17integral_constantIbLb1EES1H_IbLb0EEEEDaS1D_S1E_EUlS1D_E_NS1_11comp_targetILNS1_3genE9ELNS1_11target_archE1100ELNS1_3gpuE3ELNS1_3repE0EEENS1_30default_config_static_selectorELNS0_4arch9wavefront6targetE0EEEvT1_.num_agpr, 0
	.set _ZN7rocprim17ROCPRIM_400000_NS6detail17trampoline_kernelINS0_14default_configENS1_25partition_config_selectorILNS1_17partition_subalgoE6EiNS0_10empty_typeEbEEZZNS1_14partition_implILS5_6ELb0ES3_mN6thrust23THRUST_200600_302600_NS10device_ptrIiEEPS6_SD_NS0_5tupleIJSC_S6_EEENSE_IJSD_SD_EEES6_PlJNSA_6detail9not_fun_tINSI_10functional5actorINSK_9compositeIJNSK_27transparent_binary_operatorINSA_8equal_toIvEEEENSL_INSK_8argumentILj0EEEEENSK_5valueIiEEEEEEEEEEEE10hipError_tPvRmT3_T4_T5_T6_T7_T9_mT8_P12ihipStream_tbDpT10_ENKUlT_T0_E_clISt17integral_constantIbLb1EES1H_IbLb0EEEEDaS1D_S1E_EUlS1D_E_NS1_11comp_targetILNS1_3genE9ELNS1_11target_archE1100ELNS1_3gpuE3ELNS1_3repE0EEENS1_30default_config_static_selectorELNS0_4arch9wavefront6targetE0EEEvT1_.numbered_sgpr, 0
	.set _ZN7rocprim17ROCPRIM_400000_NS6detail17trampoline_kernelINS0_14default_configENS1_25partition_config_selectorILNS1_17partition_subalgoE6EiNS0_10empty_typeEbEEZZNS1_14partition_implILS5_6ELb0ES3_mN6thrust23THRUST_200600_302600_NS10device_ptrIiEEPS6_SD_NS0_5tupleIJSC_S6_EEENSE_IJSD_SD_EEES6_PlJNSA_6detail9not_fun_tINSI_10functional5actorINSK_9compositeIJNSK_27transparent_binary_operatorINSA_8equal_toIvEEEENSL_INSK_8argumentILj0EEEEENSK_5valueIiEEEEEEEEEEEE10hipError_tPvRmT3_T4_T5_T6_T7_T9_mT8_P12ihipStream_tbDpT10_ENKUlT_T0_E_clISt17integral_constantIbLb1EES1H_IbLb0EEEEDaS1D_S1E_EUlS1D_E_NS1_11comp_targetILNS1_3genE9ELNS1_11target_archE1100ELNS1_3gpuE3ELNS1_3repE0EEENS1_30default_config_static_selectorELNS0_4arch9wavefront6targetE0EEEvT1_.num_named_barrier, 0
	.set _ZN7rocprim17ROCPRIM_400000_NS6detail17trampoline_kernelINS0_14default_configENS1_25partition_config_selectorILNS1_17partition_subalgoE6EiNS0_10empty_typeEbEEZZNS1_14partition_implILS5_6ELb0ES3_mN6thrust23THRUST_200600_302600_NS10device_ptrIiEEPS6_SD_NS0_5tupleIJSC_S6_EEENSE_IJSD_SD_EEES6_PlJNSA_6detail9not_fun_tINSI_10functional5actorINSK_9compositeIJNSK_27transparent_binary_operatorINSA_8equal_toIvEEEENSL_INSK_8argumentILj0EEEEENSK_5valueIiEEEEEEEEEEEE10hipError_tPvRmT3_T4_T5_T6_T7_T9_mT8_P12ihipStream_tbDpT10_ENKUlT_T0_E_clISt17integral_constantIbLb1EES1H_IbLb0EEEEDaS1D_S1E_EUlS1D_E_NS1_11comp_targetILNS1_3genE9ELNS1_11target_archE1100ELNS1_3gpuE3ELNS1_3repE0EEENS1_30default_config_static_selectorELNS0_4arch9wavefront6targetE0EEEvT1_.private_seg_size, 0
	.set _ZN7rocprim17ROCPRIM_400000_NS6detail17trampoline_kernelINS0_14default_configENS1_25partition_config_selectorILNS1_17partition_subalgoE6EiNS0_10empty_typeEbEEZZNS1_14partition_implILS5_6ELb0ES3_mN6thrust23THRUST_200600_302600_NS10device_ptrIiEEPS6_SD_NS0_5tupleIJSC_S6_EEENSE_IJSD_SD_EEES6_PlJNSA_6detail9not_fun_tINSI_10functional5actorINSK_9compositeIJNSK_27transparent_binary_operatorINSA_8equal_toIvEEEENSL_INSK_8argumentILj0EEEEENSK_5valueIiEEEEEEEEEEEE10hipError_tPvRmT3_T4_T5_T6_T7_T9_mT8_P12ihipStream_tbDpT10_ENKUlT_T0_E_clISt17integral_constantIbLb1EES1H_IbLb0EEEEDaS1D_S1E_EUlS1D_E_NS1_11comp_targetILNS1_3genE9ELNS1_11target_archE1100ELNS1_3gpuE3ELNS1_3repE0EEENS1_30default_config_static_selectorELNS0_4arch9wavefront6targetE0EEEvT1_.uses_vcc, 0
	.set _ZN7rocprim17ROCPRIM_400000_NS6detail17trampoline_kernelINS0_14default_configENS1_25partition_config_selectorILNS1_17partition_subalgoE6EiNS0_10empty_typeEbEEZZNS1_14partition_implILS5_6ELb0ES3_mN6thrust23THRUST_200600_302600_NS10device_ptrIiEEPS6_SD_NS0_5tupleIJSC_S6_EEENSE_IJSD_SD_EEES6_PlJNSA_6detail9not_fun_tINSI_10functional5actorINSK_9compositeIJNSK_27transparent_binary_operatorINSA_8equal_toIvEEEENSL_INSK_8argumentILj0EEEEENSK_5valueIiEEEEEEEEEEEE10hipError_tPvRmT3_T4_T5_T6_T7_T9_mT8_P12ihipStream_tbDpT10_ENKUlT_T0_E_clISt17integral_constantIbLb1EES1H_IbLb0EEEEDaS1D_S1E_EUlS1D_E_NS1_11comp_targetILNS1_3genE9ELNS1_11target_archE1100ELNS1_3gpuE3ELNS1_3repE0EEENS1_30default_config_static_selectorELNS0_4arch9wavefront6targetE0EEEvT1_.uses_flat_scratch, 0
	.set _ZN7rocprim17ROCPRIM_400000_NS6detail17trampoline_kernelINS0_14default_configENS1_25partition_config_selectorILNS1_17partition_subalgoE6EiNS0_10empty_typeEbEEZZNS1_14partition_implILS5_6ELb0ES3_mN6thrust23THRUST_200600_302600_NS10device_ptrIiEEPS6_SD_NS0_5tupleIJSC_S6_EEENSE_IJSD_SD_EEES6_PlJNSA_6detail9not_fun_tINSI_10functional5actorINSK_9compositeIJNSK_27transparent_binary_operatorINSA_8equal_toIvEEEENSL_INSK_8argumentILj0EEEEENSK_5valueIiEEEEEEEEEEEE10hipError_tPvRmT3_T4_T5_T6_T7_T9_mT8_P12ihipStream_tbDpT10_ENKUlT_T0_E_clISt17integral_constantIbLb1EES1H_IbLb0EEEEDaS1D_S1E_EUlS1D_E_NS1_11comp_targetILNS1_3genE9ELNS1_11target_archE1100ELNS1_3gpuE3ELNS1_3repE0EEENS1_30default_config_static_selectorELNS0_4arch9wavefront6targetE0EEEvT1_.has_dyn_sized_stack, 0
	.set _ZN7rocprim17ROCPRIM_400000_NS6detail17trampoline_kernelINS0_14default_configENS1_25partition_config_selectorILNS1_17partition_subalgoE6EiNS0_10empty_typeEbEEZZNS1_14partition_implILS5_6ELb0ES3_mN6thrust23THRUST_200600_302600_NS10device_ptrIiEEPS6_SD_NS0_5tupleIJSC_S6_EEENSE_IJSD_SD_EEES6_PlJNSA_6detail9not_fun_tINSI_10functional5actorINSK_9compositeIJNSK_27transparent_binary_operatorINSA_8equal_toIvEEEENSL_INSK_8argumentILj0EEEEENSK_5valueIiEEEEEEEEEEEE10hipError_tPvRmT3_T4_T5_T6_T7_T9_mT8_P12ihipStream_tbDpT10_ENKUlT_T0_E_clISt17integral_constantIbLb1EES1H_IbLb0EEEEDaS1D_S1E_EUlS1D_E_NS1_11comp_targetILNS1_3genE9ELNS1_11target_archE1100ELNS1_3gpuE3ELNS1_3repE0EEENS1_30default_config_static_selectorELNS0_4arch9wavefront6targetE0EEEvT1_.has_recursion, 0
	.set _ZN7rocprim17ROCPRIM_400000_NS6detail17trampoline_kernelINS0_14default_configENS1_25partition_config_selectorILNS1_17partition_subalgoE6EiNS0_10empty_typeEbEEZZNS1_14partition_implILS5_6ELb0ES3_mN6thrust23THRUST_200600_302600_NS10device_ptrIiEEPS6_SD_NS0_5tupleIJSC_S6_EEENSE_IJSD_SD_EEES6_PlJNSA_6detail9not_fun_tINSI_10functional5actorINSK_9compositeIJNSK_27transparent_binary_operatorINSA_8equal_toIvEEEENSL_INSK_8argumentILj0EEEEENSK_5valueIiEEEEEEEEEEEE10hipError_tPvRmT3_T4_T5_T6_T7_T9_mT8_P12ihipStream_tbDpT10_ENKUlT_T0_E_clISt17integral_constantIbLb1EES1H_IbLb0EEEEDaS1D_S1E_EUlS1D_E_NS1_11comp_targetILNS1_3genE9ELNS1_11target_archE1100ELNS1_3gpuE3ELNS1_3repE0EEENS1_30default_config_static_selectorELNS0_4arch9wavefront6targetE0EEEvT1_.has_indirect_call, 0
	.section	.AMDGPU.csdata,"",@progbits
; Kernel info:
; codeLenInByte = 0
; TotalNumSgprs: 0
; NumVgprs: 0
; ScratchSize: 0
; MemoryBound: 0
; FloatMode: 240
; IeeeMode: 1
; LDSByteSize: 0 bytes/workgroup (compile time only)
; SGPRBlocks: 0
; VGPRBlocks: 0
; NumSGPRsForWavesPerEU: 1
; NumVGPRsForWavesPerEU: 1
; Occupancy: 16
; WaveLimiterHint : 0
; COMPUTE_PGM_RSRC2:SCRATCH_EN: 0
; COMPUTE_PGM_RSRC2:USER_SGPR: 2
; COMPUTE_PGM_RSRC2:TRAP_HANDLER: 0
; COMPUTE_PGM_RSRC2:TGID_X_EN: 1
; COMPUTE_PGM_RSRC2:TGID_Y_EN: 0
; COMPUTE_PGM_RSRC2:TGID_Z_EN: 0
; COMPUTE_PGM_RSRC2:TIDIG_COMP_CNT: 0
	.section	.text._ZN7rocprim17ROCPRIM_400000_NS6detail17trampoline_kernelINS0_14default_configENS1_25partition_config_selectorILNS1_17partition_subalgoE6EiNS0_10empty_typeEbEEZZNS1_14partition_implILS5_6ELb0ES3_mN6thrust23THRUST_200600_302600_NS10device_ptrIiEEPS6_SD_NS0_5tupleIJSC_S6_EEENSE_IJSD_SD_EEES6_PlJNSA_6detail9not_fun_tINSI_10functional5actorINSK_9compositeIJNSK_27transparent_binary_operatorINSA_8equal_toIvEEEENSL_INSK_8argumentILj0EEEEENSK_5valueIiEEEEEEEEEEEE10hipError_tPvRmT3_T4_T5_T6_T7_T9_mT8_P12ihipStream_tbDpT10_ENKUlT_T0_E_clISt17integral_constantIbLb1EES1H_IbLb0EEEEDaS1D_S1E_EUlS1D_E_NS1_11comp_targetILNS1_3genE8ELNS1_11target_archE1030ELNS1_3gpuE2ELNS1_3repE0EEENS1_30default_config_static_selectorELNS0_4arch9wavefront6targetE0EEEvT1_,"axG",@progbits,_ZN7rocprim17ROCPRIM_400000_NS6detail17trampoline_kernelINS0_14default_configENS1_25partition_config_selectorILNS1_17partition_subalgoE6EiNS0_10empty_typeEbEEZZNS1_14partition_implILS5_6ELb0ES3_mN6thrust23THRUST_200600_302600_NS10device_ptrIiEEPS6_SD_NS0_5tupleIJSC_S6_EEENSE_IJSD_SD_EEES6_PlJNSA_6detail9not_fun_tINSI_10functional5actorINSK_9compositeIJNSK_27transparent_binary_operatorINSA_8equal_toIvEEEENSL_INSK_8argumentILj0EEEEENSK_5valueIiEEEEEEEEEEEE10hipError_tPvRmT3_T4_T5_T6_T7_T9_mT8_P12ihipStream_tbDpT10_ENKUlT_T0_E_clISt17integral_constantIbLb1EES1H_IbLb0EEEEDaS1D_S1E_EUlS1D_E_NS1_11comp_targetILNS1_3genE8ELNS1_11target_archE1030ELNS1_3gpuE2ELNS1_3repE0EEENS1_30default_config_static_selectorELNS0_4arch9wavefront6targetE0EEEvT1_,comdat
	.protected	_ZN7rocprim17ROCPRIM_400000_NS6detail17trampoline_kernelINS0_14default_configENS1_25partition_config_selectorILNS1_17partition_subalgoE6EiNS0_10empty_typeEbEEZZNS1_14partition_implILS5_6ELb0ES3_mN6thrust23THRUST_200600_302600_NS10device_ptrIiEEPS6_SD_NS0_5tupleIJSC_S6_EEENSE_IJSD_SD_EEES6_PlJNSA_6detail9not_fun_tINSI_10functional5actorINSK_9compositeIJNSK_27transparent_binary_operatorINSA_8equal_toIvEEEENSL_INSK_8argumentILj0EEEEENSK_5valueIiEEEEEEEEEEEE10hipError_tPvRmT3_T4_T5_T6_T7_T9_mT8_P12ihipStream_tbDpT10_ENKUlT_T0_E_clISt17integral_constantIbLb1EES1H_IbLb0EEEEDaS1D_S1E_EUlS1D_E_NS1_11comp_targetILNS1_3genE8ELNS1_11target_archE1030ELNS1_3gpuE2ELNS1_3repE0EEENS1_30default_config_static_selectorELNS0_4arch9wavefront6targetE0EEEvT1_ ; -- Begin function _ZN7rocprim17ROCPRIM_400000_NS6detail17trampoline_kernelINS0_14default_configENS1_25partition_config_selectorILNS1_17partition_subalgoE6EiNS0_10empty_typeEbEEZZNS1_14partition_implILS5_6ELb0ES3_mN6thrust23THRUST_200600_302600_NS10device_ptrIiEEPS6_SD_NS0_5tupleIJSC_S6_EEENSE_IJSD_SD_EEES6_PlJNSA_6detail9not_fun_tINSI_10functional5actorINSK_9compositeIJNSK_27transparent_binary_operatorINSA_8equal_toIvEEEENSL_INSK_8argumentILj0EEEEENSK_5valueIiEEEEEEEEEEEE10hipError_tPvRmT3_T4_T5_T6_T7_T9_mT8_P12ihipStream_tbDpT10_ENKUlT_T0_E_clISt17integral_constantIbLb1EES1H_IbLb0EEEEDaS1D_S1E_EUlS1D_E_NS1_11comp_targetILNS1_3genE8ELNS1_11target_archE1030ELNS1_3gpuE2ELNS1_3repE0EEENS1_30default_config_static_selectorELNS0_4arch9wavefront6targetE0EEEvT1_
	.globl	_ZN7rocprim17ROCPRIM_400000_NS6detail17trampoline_kernelINS0_14default_configENS1_25partition_config_selectorILNS1_17partition_subalgoE6EiNS0_10empty_typeEbEEZZNS1_14partition_implILS5_6ELb0ES3_mN6thrust23THRUST_200600_302600_NS10device_ptrIiEEPS6_SD_NS0_5tupleIJSC_S6_EEENSE_IJSD_SD_EEES6_PlJNSA_6detail9not_fun_tINSI_10functional5actorINSK_9compositeIJNSK_27transparent_binary_operatorINSA_8equal_toIvEEEENSL_INSK_8argumentILj0EEEEENSK_5valueIiEEEEEEEEEEEE10hipError_tPvRmT3_T4_T5_T6_T7_T9_mT8_P12ihipStream_tbDpT10_ENKUlT_T0_E_clISt17integral_constantIbLb1EES1H_IbLb0EEEEDaS1D_S1E_EUlS1D_E_NS1_11comp_targetILNS1_3genE8ELNS1_11target_archE1030ELNS1_3gpuE2ELNS1_3repE0EEENS1_30default_config_static_selectorELNS0_4arch9wavefront6targetE0EEEvT1_
	.p2align	8
	.type	_ZN7rocprim17ROCPRIM_400000_NS6detail17trampoline_kernelINS0_14default_configENS1_25partition_config_selectorILNS1_17partition_subalgoE6EiNS0_10empty_typeEbEEZZNS1_14partition_implILS5_6ELb0ES3_mN6thrust23THRUST_200600_302600_NS10device_ptrIiEEPS6_SD_NS0_5tupleIJSC_S6_EEENSE_IJSD_SD_EEES6_PlJNSA_6detail9not_fun_tINSI_10functional5actorINSK_9compositeIJNSK_27transparent_binary_operatorINSA_8equal_toIvEEEENSL_INSK_8argumentILj0EEEEENSK_5valueIiEEEEEEEEEEEE10hipError_tPvRmT3_T4_T5_T6_T7_T9_mT8_P12ihipStream_tbDpT10_ENKUlT_T0_E_clISt17integral_constantIbLb1EES1H_IbLb0EEEEDaS1D_S1E_EUlS1D_E_NS1_11comp_targetILNS1_3genE8ELNS1_11target_archE1030ELNS1_3gpuE2ELNS1_3repE0EEENS1_30default_config_static_selectorELNS0_4arch9wavefront6targetE0EEEvT1_,@function
_ZN7rocprim17ROCPRIM_400000_NS6detail17trampoline_kernelINS0_14default_configENS1_25partition_config_selectorILNS1_17partition_subalgoE6EiNS0_10empty_typeEbEEZZNS1_14partition_implILS5_6ELb0ES3_mN6thrust23THRUST_200600_302600_NS10device_ptrIiEEPS6_SD_NS0_5tupleIJSC_S6_EEENSE_IJSD_SD_EEES6_PlJNSA_6detail9not_fun_tINSI_10functional5actorINSK_9compositeIJNSK_27transparent_binary_operatorINSA_8equal_toIvEEEENSL_INSK_8argumentILj0EEEEENSK_5valueIiEEEEEEEEEEEE10hipError_tPvRmT3_T4_T5_T6_T7_T9_mT8_P12ihipStream_tbDpT10_ENKUlT_T0_E_clISt17integral_constantIbLb1EES1H_IbLb0EEEEDaS1D_S1E_EUlS1D_E_NS1_11comp_targetILNS1_3genE8ELNS1_11target_archE1030ELNS1_3gpuE2ELNS1_3repE0EEENS1_30default_config_static_selectorELNS0_4arch9wavefront6targetE0EEEvT1_: ; @_ZN7rocprim17ROCPRIM_400000_NS6detail17trampoline_kernelINS0_14default_configENS1_25partition_config_selectorILNS1_17partition_subalgoE6EiNS0_10empty_typeEbEEZZNS1_14partition_implILS5_6ELb0ES3_mN6thrust23THRUST_200600_302600_NS10device_ptrIiEEPS6_SD_NS0_5tupleIJSC_S6_EEENSE_IJSD_SD_EEES6_PlJNSA_6detail9not_fun_tINSI_10functional5actorINSK_9compositeIJNSK_27transparent_binary_operatorINSA_8equal_toIvEEEENSL_INSK_8argumentILj0EEEEENSK_5valueIiEEEEEEEEEEEE10hipError_tPvRmT3_T4_T5_T6_T7_T9_mT8_P12ihipStream_tbDpT10_ENKUlT_T0_E_clISt17integral_constantIbLb1EES1H_IbLb0EEEEDaS1D_S1E_EUlS1D_E_NS1_11comp_targetILNS1_3genE8ELNS1_11target_archE1030ELNS1_3gpuE2ELNS1_3repE0EEENS1_30default_config_static_selectorELNS0_4arch9wavefront6targetE0EEEvT1_
; %bb.0:
	.section	.rodata,"a",@progbits
	.p2align	6, 0x0
	.amdhsa_kernel _ZN7rocprim17ROCPRIM_400000_NS6detail17trampoline_kernelINS0_14default_configENS1_25partition_config_selectorILNS1_17partition_subalgoE6EiNS0_10empty_typeEbEEZZNS1_14partition_implILS5_6ELb0ES3_mN6thrust23THRUST_200600_302600_NS10device_ptrIiEEPS6_SD_NS0_5tupleIJSC_S6_EEENSE_IJSD_SD_EEES6_PlJNSA_6detail9not_fun_tINSI_10functional5actorINSK_9compositeIJNSK_27transparent_binary_operatorINSA_8equal_toIvEEEENSL_INSK_8argumentILj0EEEEENSK_5valueIiEEEEEEEEEEEE10hipError_tPvRmT3_T4_T5_T6_T7_T9_mT8_P12ihipStream_tbDpT10_ENKUlT_T0_E_clISt17integral_constantIbLb1EES1H_IbLb0EEEEDaS1D_S1E_EUlS1D_E_NS1_11comp_targetILNS1_3genE8ELNS1_11target_archE1030ELNS1_3gpuE2ELNS1_3repE0EEENS1_30default_config_static_selectorELNS0_4arch9wavefront6targetE0EEEvT1_
		.amdhsa_group_segment_fixed_size 0
		.amdhsa_private_segment_fixed_size 0
		.amdhsa_kernarg_size 120
		.amdhsa_user_sgpr_count 2
		.amdhsa_user_sgpr_dispatch_ptr 0
		.amdhsa_user_sgpr_queue_ptr 0
		.amdhsa_user_sgpr_kernarg_segment_ptr 1
		.amdhsa_user_sgpr_dispatch_id 0
		.amdhsa_user_sgpr_private_segment_size 0
		.amdhsa_wavefront_size32 1
		.amdhsa_uses_dynamic_stack 0
		.amdhsa_enable_private_segment 0
		.amdhsa_system_sgpr_workgroup_id_x 1
		.amdhsa_system_sgpr_workgroup_id_y 0
		.amdhsa_system_sgpr_workgroup_id_z 0
		.amdhsa_system_sgpr_workgroup_info 0
		.amdhsa_system_vgpr_workitem_id 0
		.amdhsa_next_free_vgpr 1
		.amdhsa_next_free_sgpr 1
		.amdhsa_reserve_vcc 0
		.amdhsa_float_round_mode_32 0
		.amdhsa_float_round_mode_16_64 0
		.amdhsa_float_denorm_mode_32 3
		.amdhsa_float_denorm_mode_16_64 3
		.amdhsa_fp16_overflow 0
		.amdhsa_workgroup_processor_mode 1
		.amdhsa_memory_ordered 1
		.amdhsa_forward_progress 1
		.amdhsa_inst_pref_size 0
		.amdhsa_round_robin_scheduling 0
		.amdhsa_exception_fp_ieee_invalid_op 0
		.amdhsa_exception_fp_denorm_src 0
		.amdhsa_exception_fp_ieee_div_zero 0
		.amdhsa_exception_fp_ieee_overflow 0
		.amdhsa_exception_fp_ieee_underflow 0
		.amdhsa_exception_fp_ieee_inexact 0
		.amdhsa_exception_int_div_zero 0
	.end_amdhsa_kernel
	.section	.text._ZN7rocprim17ROCPRIM_400000_NS6detail17trampoline_kernelINS0_14default_configENS1_25partition_config_selectorILNS1_17partition_subalgoE6EiNS0_10empty_typeEbEEZZNS1_14partition_implILS5_6ELb0ES3_mN6thrust23THRUST_200600_302600_NS10device_ptrIiEEPS6_SD_NS0_5tupleIJSC_S6_EEENSE_IJSD_SD_EEES6_PlJNSA_6detail9not_fun_tINSI_10functional5actorINSK_9compositeIJNSK_27transparent_binary_operatorINSA_8equal_toIvEEEENSL_INSK_8argumentILj0EEEEENSK_5valueIiEEEEEEEEEEEE10hipError_tPvRmT3_T4_T5_T6_T7_T9_mT8_P12ihipStream_tbDpT10_ENKUlT_T0_E_clISt17integral_constantIbLb1EES1H_IbLb0EEEEDaS1D_S1E_EUlS1D_E_NS1_11comp_targetILNS1_3genE8ELNS1_11target_archE1030ELNS1_3gpuE2ELNS1_3repE0EEENS1_30default_config_static_selectorELNS0_4arch9wavefront6targetE0EEEvT1_,"axG",@progbits,_ZN7rocprim17ROCPRIM_400000_NS6detail17trampoline_kernelINS0_14default_configENS1_25partition_config_selectorILNS1_17partition_subalgoE6EiNS0_10empty_typeEbEEZZNS1_14partition_implILS5_6ELb0ES3_mN6thrust23THRUST_200600_302600_NS10device_ptrIiEEPS6_SD_NS0_5tupleIJSC_S6_EEENSE_IJSD_SD_EEES6_PlJNSA_6detail9not_fun_tINSI_10functional5actorINSK_9compositeIJNSK_27transparent_binary_operatorINSA_8equal_toIvEEEENSL_INSK_8argumentILj0EEEEENSK_5valueIiEEEEEEEEEEEE10hipError_tPvRmT3_T4_T5_T6_T7_T9_mT8_P12ihipStream_tbDpT10_ENKUlT_T0_E_clISt17integral_constantIbLb1EES1H_IbLb0EEEEDaS1D_S1E_EUlS1D_E_NS1_11comp_targetILNS1_3genE8ELNS1_11target_archE1030ELNS1_3gpuE2ELNS1_3repE0EEENS1_30default_config_static_selectorELNS0_4arch9wavefront6targetE0EEEvT1_,comdat
.Lfunc_end2868:
	.size	_ZN7rocprim17ROCPRIM_400000_NS6detail17trampoline_kernelINS0_14default_configENS1_25partition_config_selectorILNS1_17partition_subalgoE6EiNS0_10empty_typeEbEEZZNS1_14partition_implILS5_6ELb0ES3_mN6thrust23THRUST_200600_302600_NS10device_ptrIiEEPS6_SD_NS0_5tupleIJSC_S6_EEENSE_IJSD_SD_EEES6_PlJNSA_6detail9not_fun_tINSI_10functional5actorINSK_9compositeIJNSK_27transparent_binary_operatorINSA_8equal_toIvEEEENSL_INSK_8argumentILj0EEEEENSK_5valueIiEEEEEEEEEEEE10hipError_tPvRmT3_T4_T5_T6_T7_T9_mT8_P12ihipStream_tbDpT10_ENKUlT_T0_E_clISt17integral_constantIbLb1EES1H_IbLb0EEEEDaS1D_S1E_EUlS1D_E_NS1_11comp_targetILNS1_3genE8ELNS1_11target_archE1030ELNS1_3gpuE2ELNS1_3repE0EEENS1_30default_config_static_selectorELNS0_4arch9wavefront6targetE0EEEvT1_, .Lfunc_end2868-_ZN7rocprim17ROCPRIM_400000_NS6detail17trampoline_kernelINS0_14default_configENS1_25partition_config_selectorILNS1_17partition_subalgoE6EiNS0_10empty_typeEbEEZZNS1_14partition_implILS5_6ELb0ES3_mN6thrust23THRUST_200600_302600_NS10device_ptrIiEEPS6_SD_NS0_5tupleIJSC_S6_EEENSE_IJSD_SD_EEES6_PlJNSA_6detail9not_fun_tINSI_10functional5actorINSK_9compositeIJNSK_27transparent_binary_operatorINSA_8equal_toIvEEEENSL_INSK_8argumentILj0EEEEENSK_5valueIiEEEEEEEEEEEE10hipError_tPvRmT3_T4_T5_T6_T7_T9_mT8_P12ihipStream_tbDpT10_ENKUlT_T0_E_clISt17integral_constantIbLb1EES1H_IbLb0EEEEDaS1D_S1E_EUlS1D_E_NS1_11comp_targetILNS1_3genE8ELNS1_11target_archE1030ELNS1_3gpuE2ELNS1_3repE0EEENS1_30default_config_static_selectorELNS0_4arch9wavefront6targetE0EEEvT1_
                                        ; -- End function
	.set _ZN7rocprim17ROCPRIM_400000_NS6detail17trampoline_kernelINS0_14default_configENS1_25partition_config_selectorILNS1_17partition_subalgoE6EiNS0_10empty_typeEbEEZZNS1_14partition_implILS5_6ELb0ES3_mN6thrust23THRUST_200600_302600_NS10device_ptrIiEEPS6_SD_NS0_5tupleIJSC_S6_EEENSE_IJSD_SD_EEES6_PlJNSA_6detail9not_fun_tINSI_10functional5actorINSK_9compositeIJNSK_27transparent_binary_operatorINSA_8equal_toIvEEEENSL_INSK_8argumentILj0EEEEENSK_5valueIiEEEEEEEEEEEE10hipError_tPvRmT3_T4_T5_T6_T7_T9_mT8_P12ihipStream_tbDpT10_ENKUlT_T0_E_clISt17integral_constantIbLb1EES1H_IbLb0EEEEDaS1D_S1E_EUlS1D_E_NS1_11comp_targetILNS1_3genE8ELNS1_11target_archE1030ELNS1_3gpuE2ELNS1_3repE0EEENS1_30default_config_static_selectorELNS0_4arch9wavefront6targetE0EEEvT1_.num_vgpr, 0
	.set _ZN7rocprim17ROCPRIM_400000_NS6detail17trampoline_kernelINS0_14default_configENS1_25partition_config_selectorILNS1_17partition_subalgoE6EiNS0_10empty_typeEbEEZZNS1_14partition_implILS5_6ELb0ES3_mN6thrust23THRUST_200600_302600_NS10device_ptrIiEEPS6_SD_NS0_5tupleIJSC_S6_EEENSE_IJSD_SD_EEES6_PlJNSA_6detail9not_fun_tINSI_10functional5actorINSK_9compositeIJNSK_27transparent_binary_operatorINSA_8equal_toIvEEEENSL_INSK_8argumentILj0EEEEENSK_5valueIiEEEEEEEEEEEE10hipError_tPvRmT3_T4_T5_T6_T7_T9_mT8_P12ihipStream_tbDpT10_ENKUlT_T0_E_clISt17integral_constantIbLb1EES1H_IbLb0EEEEDaS1D_S1E_EUlS1D_E_NS1_11comp_targetILNS1_3genE8ELNS1_11target_archE1030ELNS1_3gpuE2ELNS1_3repE0EEENS1_30default_config_static_selectorELNS0_4arch9wavefront6targetE0EEEvT1_.num_agpr, 0
	.set _ZN7rocprim17ROCPRIM_400000_NS6detail17trampoline_kernelINS0_14default_configENS1_25partition_config_selectorILNS1_17partition_subalgoE6EiNS0_10empty_typeEbEEZZNS1_14partition_implILS5_6ELb0ES3_mN6thrust23THRUST_200600_302600_NS10device_ptrIiEEPS6_SD_NS0_5tupleIJSC_S6_EEENSE_IJSD_SD_EEES6_PlJNSA_6detail9not_fun_tINSI_10functional5actorINSK_9compositeIJNSK_27transparent_binary_operatorINSA_8equal_toIvEEEENSL_INSK_8argumentILj0EEEEENSK_5valueIiEEEEEEEEEEEE10hipError_tPvRmT3_T4_T5_T6_T7_T9_mT8_P12ihipStream_tbDpT10_ENKUlT_T0_E_clISt17integral_constantIbLb1EES1H_IbLb0EEEEDaS1D_S1E_EUlS1D_E_NS1_11comp_targetILNS1_3genE8ELNS1_11target_archE1030ELNS1_3gpuE2ELNS1_3repE0EEENS1_30default_config_static_selectorELNS0_4arch9wavefront6targetE0EEEvT1_.numbered_sgpr, 0
	.set _ZN7rocprim17ROCPRIM_400000_NS6detail17trampoline_kernelINS0_14default_configENS1_25partition_config_selectorILNS1_17partition_subalgoE6EiNS0_10empty_typeEbEEZZNS1_14partition_implILS5_6ELb0ES3_mN6thrust23THRUST_200600_302600_NS10device_ptrIiEEPS6_SD_NS0_5tupleIJSC_S6_EEENSE_IJSD_SD_EEES6_PlJNSA_6detail9not_fun_tINSI_10functional5actorINSK_9compositeIJNSK_27transparent_binary_operatorINSA_8equal_toIvEEEENSL_INSK_8argumentILj0EEEEENSK_5valueIiEEEEEEEEEEEE10hipError_tPvRmT3_T4_T5_T6_T7_T9_mT8_P12ihipStream_tbDpT10_ENKUlT_T0_E_clISt17integral_constantIbLb1EES1H_IbLb0EEEEDaS1D_S1E_EUlS1D_E_NS1_11comp_targetILNS1_3genE8ELNS1_11target_archE1030ELNS1_3gpuE2ELNS1_3repE0EEENS1_30default_config_static_selectorELNS0_4arch9wavefront6targetE0EEEvT1_.num_named_barrier, 0
	.set _ZN7rocprim17ROCPRIM_400000_NS6detail17trampoline_kernelINS0_14default_configENS1_25partition_config_selectorILNS1_17partition_subalgoE6EiNS0_10empty_typeEbEEZZNS1_14partition_implILS5_6ELb0ES3_mN6thrust23THRUST_200600_302600_NS10device_ptrIiEEPS6_SD_NS0_5tupleIJSC_S6_EEENSE_IJSD_SD_EEES6_PlJNSA_6detail9not_fun_tINSI_10functional5actorINSK_9compositeIJNSK_27transparent_binary_operatorINSA_8equal_toIvEEEENSL_INSK_8argumentILj0EEEEENSK_5valueIiEEEEEEEEEEEE10hipError_tPvRmT3_T4_T5_T6_T7_T9_mT8_P12ihipStream_tbDpT10_ENKUlT_T0_E_clISt17integral_constantIbLb1EES1H_IbLb0EEEEDaS1D_S1E_EUlS1D_E_NS1_11comp_targetILNS1_3genE8ELNS1_11target_archE1030ELNS1_3gpuE2ELNS1_3repE0EEENS1_30default_config_static_selectorELNS0_4arch9wavefront6targetE0EEEvT1_.private_seg_size, 0
	.set _ZN7rocprim17ROCPRIM_400000_NS6detail17trampoline_kernelINS0_14default_configENS1_25partition_config_selectorILNS1_17partition_subalgoE6EiNS0_10empty_typeEbEEZZNS1_14partition_implILS5_6ELb0ES3_mN6thrust23THRUST_200600_302600_NS10device_ptrIiEEPS6_SD_NS0_5tupleIJSC_S6_EEENSE_IJSD_SD_EEES6_PlJNSA_6detail9not_fun_tINSI_10functional5actorINSK_9compositeIJNSK_27transparent_binary_operatorINSA_8equal_toIvEEEENSL_INSK_8argumentILj0EEEEENSK_5valueIiEEEEEEEEEEEE10hipError_tPvRmT3_T4_T5_T6_T7_T9_mT8_P12ihipStream_tbDpT10_ENKUlT_T0_E_clISt17integral_constantIbLb1EES1H_IbLb0EEEEDaS1D_S1E_EUlS1D_E_NS1_11comp_targetILNS1_3genE8ELNS1_11target_archE1030ELNS1_3gpuE2ELNS1_3repE0EEENS1_30default_config_static_selectorELNS0_4arch9wavefront6targetE0EEEvT1_.uses_vcc, 0
	.set _ZN7rocprim17ROCPRIM_400000_NS6detail17trampoline_kernelINS0_14default_configENS1_25partition_config_selectorILNS1_17partition_subalgoE6EiNS0_10empty_typeEbEEZZNS1_14partition_implILS5_6ELb0ES3_mN6thrust23THRUST_200600_302600_NS10device_ptrIiEEPS6_SD_NS0_5tupleIJSC_S6_EEENSE_IJSD_SD_EEES6_PlJNSA_6detail9not_fun_tINSI_10functional5actorINSK_9compositeIJNSK_27transparent_binary_operatorINSA_8equal_toIvEEEENSL_INSK_8argumentILj0EEEEENSK_5valueIiEEEEEEEEEEEE10hipError_tPvRmT3_T4_T5_T6_T7_T9_mT8_P12ihipStream_tbDpT10_ENKUlT_T0_E_clISt17integral_constantIbLb1EES1H_IbLb0EEEEDaS1D_S1E_EUlS1D_E_NS1_11comp_targetILNS1_3genE8ELNS1_11target_archE1030ELNS1_3gpuE2ELNS1_3repE0EEENS1_30default_config_static_selectorELNS0_4arch9wavefront6targetE0EEEvT1_.uses_flat_scratch, 0
	.set _ZN7rocprim17ROCPRIM_400000_NS6detail17trampoline_kernelINS0_14default_configENS1_25partition_config_selectorILNS1_17partition_subalgoE6EiNS0_10empty_typeEbEEZZNS1_14partition_implILS5_6ELb0ES3_mN6thrust23THRUST_200600_302600_NS10device_ptrIiEEPS6_SD_NS0_5tupleIJSC_S6_EEENSE_IJSD_SD_EEES6_PlJNSA_6detail9not_fun_tINSI_10functional5actorINSK_9compositeIJNSK_27transparent_binary_operatorINSA_8equal_toIvEEEENSL_INSK_8argumentILj0EEEEENSK_5valueIiEEEEEEEEEEEE10hipError_tPvRmT3_T4_T5_T6_T7_T9_mT8_P12ihipStream_tbDpT10_ENKUlT_T0_E_clISt17integral_constantIbLb1EES1H_IbLb0EEEEDaS1D_S1E_EUlS1D_E_NS1_11comp_targetILNS1_3genE8ELNS1_11target_archE1030ELNS1_3gpuE2ELNS1_3repE0EEENS1_30default_config_static_selectorELNS0_4arch9wavefront6targetE0EEEvT1_.has_dyn_sized_stack, 0
	.set _ZN7rocprim17ROCPRIM_400000_NS6detail17trampoline_kernelINS0_14default_configENS1_25partition_config_selectorILNS1_17partition_subalgoE6EiNS0_10empty_typeEbEEZZNS1_14partition_implILS5_6ELb0ES3_mN6thrust23THRUST_200600_302600_NS10device_ptrIiEEPS6_SD_NS0_5tupleIJSC_S6_EEENSE_IJSD_SD_EEES6_PlJNSA_6detail9not_fun_tINSI_10functional5actorINSK_9compositeIJNSK_27transparent_binary_operatorINSA_8equal_toIvEEEENSL_INSK_8argumentILj0EEEEENSK_5valueIiEEEEEEEEEEEE10hipError_tPvRmT3_T4_T5_T6_T7_T9_mT8_P12ihipStream_tbDpT10_ENKUlT_T0_E_clISt17integral_constantIbLb1EES1H_IbLb0EEEEDaS1D_S1E_EUlS1D_E_NS1_11comp_targetILNS1_3genE8ELNS1_11target_archE1030ELNS1_3gpuE2ELNS1_3repE0EEENS1_30default_config_static_selectorELNS0_4arch9wavefront6targetE0EEEvT1_.has_recursion, 0
	.set _ZN7rocprim17ROCPRIM_400000_NS6detail17trampoline_kernelINS0_14default_configENS1_25partition_config_selectorILNS1_17partition_subalgoE6EiNS0_10empty_typeEbEEZZNS1_14partition_implILS5_6ELb0ES3_mN6thrust23THRUST_200600_302600_NS10device_ptrIiEEPS6_SD_NS0_5tupleIJSC_S6_EEENSE_IJSD_SD_EEES6_PlJNSA_6detail9not_fun_tINSI_10functional5actorINSK_9compositeIJNSK_27transparent_binary_operatorINSA_8equal_toIvEEEENSL_INSK_8argumentILj0EEEEENSK_5valueIiEEEEEEEEEEEE10hipError_tPvRmT3_T4_T5_T6_T7_T9_mT8_P12ihipStream_tbDpT10_ENKUlT_T0_E_clISt17integral_constantIbLb1EES1H_IbLb0EEEEDaS1D_S1E_EUlS1D_E_NS1_11comp_targetILNS1_3genE8ELNS1_11target_archE1030ELNS1_3gpuE2ELNS1_3repE0EEENS1_30default_config_static_selectorELNS0_4arch9wavefront6targetE0EEEvT1_.has_indirect_call, 0
	.section	.AMDGPU.csdata,"",@progbits
; Kernel info:
; codeLenInByte = 0
; TotalNumSgprs: 0
; NumVgprs: 0
; ScratchSize: 0
; MemoryBound: 0
; FloatMode: 240
; IeeeMode: 1
; LDSByteSize: 0 bytes/workgroup (compile time only)
; SGPRBlocks: 0
; VGPRBlocks: 0
; NumSGPRsForWavesPerEU: 1
; NumVGPRsForWavesPerEU: 1
; Occupancy: 16
; WaveLimiterHint : 0
; COMPUTE_PGM_RSRC2:SCRATCH_EN: 0
; COMPUTE_PGM_RSRC2:USER_SGPR: 2
; COMPUTE_PGM_RSRC2:TRAP_HANDLER: 0
; COMPUTE_PGM_RSRC2:TGID_X_EN: 1
; COMPUTE_PGM_RSRC2:TGID_Y_EN: 0
; COMPUTE_PGM_RSRC2:TGID_Z_EN: 0
; COMPUTE_PGM_RSRC2:TIDIG_COMP_CNT: 0
	.section	.text._ZN7rocprim17ROCPRIM_400000_NS6detail17trampoline_kernelINS0_14default_configENS1_25partition_config_selectorILNS1_17partition_subalgoE6EiNS0_10empty_typeEbEEZZNS1_14partition_implILS5_6ELb0ES3_mN6thrust23THRUST_200600_302600_NS10device_ptrIiEEPS6_SD_NS0_5tupleIJSC_S6_EEENSE_IJSD_SD_EEES6_PlJNSA_6detail9not_fun_tINSI_10functional5actorINSK_9compositeIJNSK_27transparent_binary_operatorINSA_8equal_toIvEEEENSL_INSK_8argumentILj0EEEEENSK_5valueIiEEEEEEEEEEEE10hipError_tPvRmT3_T4_T5_T6_T7_T9_mT8_P12ihipStream_tbDpT10_ENKUlT_T0_E_clISt17integral_constantIbLb0EES1H_IbLb1EEEEDaS1D_S1E_EUlS1D_E_NS1_11comp_targetILNS1_3genE0ELNS1_11target_archE4294967295ELNS1_3gpuE0ELNS1_3repE0EEENS1_30default_config_static_selectorELNS0_4arch9wavefront6targetE0EEEvT1_,"axG",@progbits,_ZN7rocprim17ROCPRIM_400000_NS6detail17trampoline_kernelINS0_14default_configENS1_25partition_config_selectorILNS1_17partition_subalgoE6EiNS0_10empty_typeEbEEZZNS1_14partition_implILS5_6ELb0ES3_mN6thrust23THRUST_200600_302600_NS10device_ptrIiEEPS6_SD_NS0_5tupleIJSC_S6_EEENSE_IJSD_SD_EEES6_PlJNSA_6detail9not_fun_tINSI_10functional5actorINSK_9compositeIJNSK_27transparent_binary_operatorINSA_8equal_toIvEEEENSL_INSK_8argumentILj0EEEEENSK_5valueIiEEEEEEEEEEEE10hipError_tPvRmT3_T4_T5_T6_T7_T9_mT8_P12ihipStream_tbDpT10_ENKUlT_T0_E_clISt17integral_constantIbLb0EES1H_IbLb1EEEEDaS1D_S1E_EUlS1D_E_NS1_11comp_targetILNS1_3genE0ELNS1_11target_archE4294967295ELNS1_3gpuE0ELNS1_3repE0EEENS1_30default_config_static_selectorELNS0_4arch9wavefront6targetE0EEEvT1_,comdat
	.protected	_ZN7rocprim17ROCPRIM_400000_NS6detail17trampoline_kernelINS0_14default_configENS1_25partition_config_selectorILNS1_17partition_subalgoE6EiNS0_10empty_typeEbEEZZNS1_14partition_implILS5_6ELb0ES3_mN6thrust23THRUST_200600_302600_NS10device_ptrIiEEPS6_SD_NS0_5tupleIJSC_S6_EEENSE_IJSD_SD_EEES6_PlJNSA_6detail9not_fun_tINSI_10functional5actorINSK_9compositeIJNSK_27transparent_binary_operatorINSA_8equal_toIvEEEENSL_INSK_8argumentILj0EEEEENSK_5valueIiEEEEEEEEEEEE10hipError_tPvRmT3_T4_T5_T6_T7_T9_mT8_P12ihipStream_tbDpT10_ENKUlT_T0_E_clISt17integral_constantIbLb0EES1H_IbLb1EEEEDaS1D_S1E_EUlS1D_E_NS1_11comp_targetILNS1_3genE0ELNS1_11target_archE4294967295ELNS1_3gpuE0ELNS1_3repE0EEENS1_30default_config_static_selectorELNS0_4arch9wavefront6targetE0EEEvT1_ ; -- Begin function _ZN7rocprim17ROCPRIM_400000_NS6detail17trampoline_kernelINS0_14default_configENS1_25partition_config_selectorILNS1_17partition_subalgoE6EiNS0_10empty_typeEbEEZZNS1_14partition_implILS5_6ELb0ES3_mN6thrust23THRUST_200600_302600_NS10device_ptrIiEEPS6_SD_NS0_5tupleIJSC_S6_EEENSE_IJSD_SD_EEES6_PlJNSA_6detail9not_fun_tINSI_10functional5actorINSK_9compositeIJNSK_27transparent_binary_operatorINSA_8equal_toIvEEEENSL_INSK_8argumentILj0EEEEENSK_5valueIiEEEEEEEEEEEE10hipError_tPvRmT3_T4_T5_T6_T7_T9_mT8_P12ihipStream_tbDpT10_ENKUlT_T0_E_clISt17integral_constantIbLb0EES1H_IbLb1EEEEDaS1D_S1E_EUlS1D_E_NS1_11comp_targetILNS1_3genE0ELNS1_11target_archE4294967295ELNS1_3gpuE0ELNS1_3repE0EEENS1_30default_config_static_selectorELNS0_4arch9wavefront6targetE0EEEvT1_
	.globl	_ZN7rocprim17ROCPRIM_400000_NS6detail17trampoline_kernelINS0_14default_configENS1_25partition_config_selectorILNS1_17partition_subalgoE6EiNS0_10empty_typeEbEEZZNS1_14partition_implILS5_6ELb0ES3_mN6thrust23THRUST_200600_302600_NS10device_ptrIiEEPS6_SD_NS0_5tupleIJSC_S6_EEENSE_IJSD_SD_EEES6_PlJNSA_6detail9not_fun_tINSI_10functional5actorINSK_9compositeIJNSK_27transparent_binary_operatorINSA_8equal_toIvEEEENSL_INSK_8argumentILj0EEEEENSK_5valueIiEEEEEEEEEEEE10hipError_tPvRmT3_T4_T5_T6_T7_T9_mT8_P12ihipStream_tbDpT10_ENKUlT_T0_E_clISt17integral_constantIbLb0EES1H_IbLb1EEEEDaS1D_S1E_EUlS1D_E_NS1_11comp_targetILNS1_3genE0ELNS1_11target_archE4294967295ELNS1_3gpuE0ELNS1_3repE0EEENS1_30default_config_static_selectorELNS0_4arch9wavefront6targetE0EEEvT1_
	.p2align	8
	.type	_ZN7rocprim17ROCPRIM_400000_NS6detail17trampoline_kernelINS0_14default_configENS1_25partition_config_selectorILNS1_17partition_subalgoE6EiNS0_10empty_typeEbEEZZNS1_14partition_implILS5_6ELb0ES3_mN6thrust23THRUST_200600_302600_NS10device_ptrIiEEPS6_SD_NS0_5tupleIJSC_S6_EEENSE_IJSD_SD_EEES6_PlJNSA_6detail9not_fun_tINSI_10functional5actorINSK_9compositeIJNSK_27transparent_binary_operatorINSA_8equal_toIvEEEENSL_INSK_8argumentILj0EEEEENSK_5valueIiEEEEEEEEEEEE10hipError_tPvRmT3_T4_T5_T6_T7_T9_mT8_P12ihipStream_tbDpT10_ENKUlT_T0_E_clISt17integral_constantIbLb0EES1H_IbLb1EEEEDaS1D_S1E_EUlS1D_E_NS1_11comp_targetILNS1_3genE0ELNS1_11target_archE4294967295ELNS1_3gpuE0ELNS1_3repE0EEENS1_30default_config_static_selectorELNS0_4arch9wavefront6targetE0EEEvT1_,@function
_ZN7rocprim17ROCPRIM_400000_NS6detail17trampoline_kernelINS0_14default_configENS1_25partition_config_selectorILNS1_17partition_subalgoE6EiNS0_10empty_typeEbEEZZNS1_14partition_implILS5_6ELb0ES3_mN6thrust23THRUST_200600_302600_NS10device_ptrIiEEPS6_SD_NS0_5tupleIJSC_S6_EEENSE_IJSD_SD_EEES6_PlJNSA_6detail9not_fun_tINSI_10functional5actorINSK_9compositeIJNSK_27transparent_binary_operatorINSA_8equal_toIvEEEENSL_INSK_8argumentILj0EEEEENSK_5valueIiEEEEEEEEEEEE10hipError_tPvRmT3_T4_T5_T6_T7_T9_mT8_P12ihipStream_tbDpT10_ENKUlT_T0_E_clISt17integral_constantIbLb0EES1H_IbLb1EEEEDaS1D_S1E_EUlS1D_E_NS1_11comp_targetILNS1_3genE0ELNS1_11target_archE4294967295ELNS1_3gpuE0ELNS1_3repE0EEENS1_30default_config_static_selectorELNS0_4arch9wavefront6targetE0EEEvT1_: ; @_ZN7rocprim17ROCPRIM_400000_NS6detail17trampoline_kernelINS0_14default_configENS1_25partition_config_selectorILNS1_17partition_subalgoE6EiNS0_10empty_typeEbEEZZNS1_14partition_implILS5_6ELb0ES3_mN6thrust23THRUST_200600_302600_NS10device_ptrIiEEPS6_SD_NS0_5tupleIJSC_S6_EEENSE_IJSD_SD_EEES6_PlJNSA_6detail9not_fun_tINSI_10functional5actorINSK_9compositeIJNSK_27transparent_binary_operatorINSA_8equal_toIvEEEENSL_INSK_8argumentILj0EEEEENSK_5valueIiEEEEEEEEEEEE10hipError_tPvRmT3_T4_T5_T6_T7_T9_mT8_P12ihipStream_tbDpT10_ENKUlT_T0_E_clISt17integral_constantIbLb0EES1H_IbLb1EEEEDaS1D_S1E_EUlS1D_E_NS1_11comp_targetILNS1_3genE0ELNS1_11target_archE4294967295ELNS1_3gpuE0ELNS1_3repE0EEENS1_30default_config_static_selectorELNS0_4arch9wavefront6targetE0EEEvT1_
; %bb.0:
	.section	.rodata,"a",@progbits
	.p2align	6, 0x0
	.amdhsa_kernel _ZN7rocprim17ROCPRIM_400000_NS6detail17trampoline_kernelINS0_14default_configENS1_25partition_config_selectorILNS1_17partition_subalgoE6EiNS0_10empty_typeEbEEZZNS1_14partition_implILS5_6ELb0ES3_mN6thrust23THRUST_200600_302600_NS10device_ptrIiEEPS6_SD_NS0_5tupleIJSC_S6_EEENSE_IJSD_SD_EEES6_PlJNSA_6detail9not_fun_tINSI_10functional5actorINSK_9compositeIJNSK_27transparent_binary_operatorINSA_8equal_toIvEEEENSL_INSK_8argumentILj0EEEEENSK_5valueIiEEEEEEEEEEEE10hipError_tPvRmT3_T4_T5_T6_T7_T9_mT8_P12ihipStream_tbDpT10_ENKUlT_T0_E_clISt17integral_constantIbLb0EES1H_IbLb1EEEEDaS1D_S1E_EUlS1D_E_NS1_11comp_targetILNS1_3genE0ELNS1_11target_archE4294967295ELNS1_3gpuE0ELNS1_3repE0EEENS1_30default_config_static_selectorELNS0_4arch9wavefront6targetE0EEEvT1_
		.amdhsa_group_segment_fixed_size 0
		.amdhsa_private_segment_fixed_size 0
		.amdhsa_kernarg_size 128
		.amdhsa_user_sgpr_count 2
		.amdhsa_user_sgpr_dispatch_ptr 0
		.amdhsa_user_sgpr_queue_ptr 0
		.amdhsa_user_sgpr_kernarg_segment_ptr 1
		.amdhsa_user_sgpr_dispatch_id 0
		.amdhsa_user_sgpr_private_segment_size 0
		.amdhsa_wavefront_size32 1
		.amdhsa_uses_dynamic_stack 0
		.amdhsa_enable_private_segment 0
		.amdhsa_system_sgpr_workgroup_id_x 1
		.amdhsa_system_sgpr_workgroup_id_y 0
		.amdhsa_system_sgpr_workgroup_id_z 0
		.amdhsa_system_sgpr_workgroup_info 0
		.amdhsa_system_vgpr_workitem_id 0
		.amdhsa_next_free_vgpr 1
		.amdhsa_next_free_sgpr 1
		.amdhsa_reserve_vcc 0
		.amdhsa_float_round_mode_32 0
		.amdhsa_float_round_mode_16_64 0
		.amdhsa_float_denorm_mode_32 3
		.amdhsa_float_denorm_mode_16_64 3
		.amdhsa_fp16_overflow 0
		.amdhsa_workgroup_processor_mode 1
		.amdhsa_memory_ordered 1
		.amdhsa_forward_progress 1
		.amdhsa_inst_pref_size 0
		.amdhsa_round_robin_scheduling 0
		.amdhsa_exception_fp_ieee_invalid_op 0
		.amdhsa_exception_fp_denorm_src 0
		.amdhsa_exception_fp_ieee_div_zero 0
		.amdhsa_exception_fp_ieee_overflow 0
		.amdhsa_exception_fp_ieee_underflow 0
		.amdhsa_exception_fp_ieee_inexact 0
		.amdhsa_exception_int_div_zero 0
	.end_amdhsa_kernel
	.section	.text._ZN7rocprim17ROCPRIM_400000_NS6detail17trampoline_kernelINS0_14default_configENS1_25partition_config_selectorILNS1_17partition_subalgoE6EiNS0_10empty_typeEbEEZZNS1_14partition_implILS5_6ELb0ES3_mN6thrust23THRUST_200600_302600_NS10device_ptrIiEEPS6_SD_NS0_5tupleIJSC_S6_EEENSE_IJSD_SD_EEES6_PlJNSA_6detail9not_fun_tINSI_10functional5actorINSK_9compositeIJNSK_27transparent_binary_operatorINSA_8equal_toIvEEEENSL_INSK_8argumentILj0EEEEENSK_5valueIiEEEEEEEEEEEE10hipError_tPvRmT3_T4_T5_T6_T7_T9_mT8_P12ihipStream_tbDpT10_ENKUlT_T0_E_clISt17integral_constantIbLb0EES1H_IbLb1EEEEDaS1D_S1E_EUlS1D_E_NS1_11comp_targetILNS1_3genE0ELNS1_11target_archE4294967295ELNS1_3gpuE0ELNS1_3repE0EEENS1_30default_config_static_selectorELNS0_4arch9wavefront6targetE0EEEvT1_,"axG",@progbits,_ZN7rocprim17ROCPRIM_400000_NS6detail17trampoline_kernelINS0_14default_configENS1_25partition_config_selectorILNS1_17partition_subalgoE6EiNS0_10empty_typeEbEEZZNS1_14partition_implILS5_6ELb0ES3_mN6thrust23THRUST_200600_302600_NS10device_ptrIiEEPS6_SD_NS0_5tupleIJSC_S6_EEENSE_IJSD_SD_EEES6_PlJNSA_6detail9not_fun_tINSI_10functional5actorINSK_9compositeIJNSK_27transparent_binary_operatorINSA_8equal_toIvEEEENSL_INSK_8argumentILj0EEEEENSK_5valueIiEEEEEEEEEEEE10hipError_tPvRmT3_T4_T5_T6_T7_T9_mT8_P12ihipStream_tbDpT10_ENKUlT_T0_E_clISt17integral_constantIbLb0EES1H_IbLb1EEEEDaS1D_S1E_EUlS1D_E_NS1_11comp_targetILNS1_3genE0ELNS1_11target_archE4294967295ELNS1_3gpuE0ELNS1_3repE0EEENS1_30default_config_static_selectorELNS0_4arch9wavefront6targetE0EEEvT1_,comdat
.Lfunc_end2869:
	.size	_ZN7rocprim17ROCPRIM_400000_NS6detail17trampoline_kernelINS0_14default_configENS1_25partition_config_selectorILNS1_17partition_subalgoE6EiNS0_10empty_typeEbEEZZNS1_14partition_implILS5_6ELb0ES3_mN6thrust23THRUST_200600_302600_NS10device_ptrIiEEPS6_SD_NS0_5tupleIJSC_S6_EEENSE_IJSD_SD_EEES6_PlJNSA_6detail9not_fun_tINSI_10functional5actorINSK_9compositeIJNSK_27transparent_binary_operatorINSA_8equal_toIvEEEENSL_INSK_8argumentILj0EEEEENSK_5valueIiEEEEEEEEEEEE10hipError_tPvRmT3_T4_T5_T6_T7_T9_mT8_P12ihipStream_tbDpT10_ENKUlT_T0_E_clISt17integral_constantIbLb0EES1H_IbLb1EEEEDaS1D_S1E_EUlS1D_E_NS1_11comp_targetILNS1_3genE0ELNS1_11target_archE4294967295ELNS1_3gpuE0ELNS1_3repE0EEENS1_30default_config_static_selectorELNS0_4arch9wavefront6targetE0EEEvT1_, .Lfunc_end2869-_ZN7rocprim17ROCPRIM_400000_NS6detail17trampoline_kernelINS0_14default_configENS1_25partition_config_selectorILNS1_17partition_subalgoE6EiNS0_10empty_typeEbEEZZNS1_14partition_implILS5_6ELb0ES3_mN6thrust23THRUST_200600_302600_NS10device_ptrIiEEPS6_SD_NS0_5tupleIJSC_S6_EEENSE_IJSD_SD_EEES6_PlJNSA_6detail9not_fun_tINSI_10functional5actorINSK_9compositeIJNSK_27transparent_binary_operatorINSA_8equal_toIvEEEENSL_INSK_8argumentILj0EEEEENSK_5valueIiEEEEEEEEEEEE10hipError_tPvRmT3_T4_T5_T6_T7_T9_mT8_P12ihipStream_tbDpT10_ENKUlT_T0_E_clISt17integral_constantIbLb0EES1H_IbLb1EEEEDaS1D_S1E_EUlS1D_E_NS1_11comp_targetILNS1_3genE0ELNS1_11target_archE4294967295ELNS1_3gpuE0ELNS1_3repE0EEENS1_30default_config_static_selectorELNS0_4arch9wavefront6targetE0EEEvT1_
                                        ; -- End function
	.set _ZN7rocprim17ROCPRIM_400000_NS6detail17trampoline_kernelINS0_14default_configENS1_25partition_config_selectorILNS1_17partition_subalgoE6EiNS0_10empty_typeEbEEZZNS1_14partition_implILS5_6ELb0ES3_mN6thrust23THRUST_200600_302600_NS10device_ptrIiEEPS6_SD_NS0_5tupleIJSC_S6_EEENSE_IJSD_SD_EEES6_PlJNSA_6detail9not_fun_tINSI_10functional5actorINSK_9compositeIJNSK_27transparent_binary_operatorINSA_8equal_toIvEEEENSL_INSK_8argumentILj0EEEEENSK_5valueIiEEEEEEEEEEEE10hipError_tPvRmT3_T4_T5_T6_T7_T9_mT8_P12ihipStream_tbDpT10_ENKUlT_T0_E_clISt17integral_constantIbLb0EES1H_IbLb1EEEEDaS1D_S1E_EUlS1D_E_NS1_11comp_targetILNS1_3genE0ELNS1_11target_archE4294967295ELNS1_3gpuE0ELNS1_3repE0EEENS1_30default_config_static_selectorELNS0_4arch9wavefront6targetE0EEEvT1_.num_vgpr, 0
	.set _ZN7rocprim17ROCPRIM_400000_NS6detail17trampoline_kernelINS0_14default_configENS1_25partition_config_selectorILNS1_17partition_subalgoE6EiNS0_10empty_typeEbEEZZNS1_14partition_implILS5_6ELb0ES3_mN6thrust23THRUST_200600_302600_NS10device_ptrIiEEPS6_SD_NS0_5tupleIJSC_S6_EEENSE_IJSD_SD_EEES6_PlJNSA_6detail9not_fun_tINSI_10functional5actorINSK_9compositeIJNSK_27transparent_binary_operatorINSA_8equal_toIvEEEENSL_INSK_8argumentILj0EEEEENSK_5valueIiEEEEEEEEEEEE10hipError_tPvRmT3_T4_T5_T6_T7_T9_mT8_P12ihipStream_tbDpT10_ENKUlT_T0_E_clISt17integral_constantIbLb0EES1H_IbLb1EEEEDaS1D_S1E_EUlS1D_E_NS1_11comp_targetILNS1_3genE0ELNS1_11target_archE4294967295ELNS1_3gpuE0ELNS1_3repE0EEENS1_30default_config_static_selectorELNS0_4arch9wavefront6targetE0EEEvT1_.num_agpr, 0
	.set _ZN7rocprim17ROCPRIM_400000_NS6detail17trampoline_kernelINS0_14default_configENS1_25partition_config_selectorILNS1_17partition_subalgoE6EiNS0_10empty_typeEbEEZZNS1_14partition_implILS5_6ELb0ES3_mN6thrust23THRUST_200600_302600_NS10device_ptrIiEEPS6_SD_NS0_5tupleIJSC_S6_EEENSE_IJSD_SD_EEES6_PlJNSA_6detail9not_fun_tINSI_10functional5actorINSK_9compositeIJNSK_27transparent_binary_operatorINSA_8equal_toIvEEEENSL_INSK_8argumentILj0EEEEENSK_5valueIiEEEEEEEEEEEE10hipError_tPvRmT3_T4_T5_T6_T7_T9_mT8_P12ihipStream_tbDpT10_ENKUlT_T0_E_clISt17integral_constantIbLb0EES1H_IbLb1EEEEDaS1D_S1E_EUlS1D_E_NS1_11comp_targetILNS1_3genE0ELNS1_11target_archE4294967295ELNS1_3gpuE0ELNS1_3repE0EEENS1_30default_config_static_selectorELNS0_4arch9wavefront6targetE0EEEvT1_.numbered_sgpr, 0
	.set _ZN7rocprim17ROCPRIM_400000_NS6detail17trampoline_kernelINS0_14default_configENS1_25partition_config_selectorILNS1_17partition_subalgoE6EiNS0_10empty_typeEbEEZZNS1_14partition_implILS5_6ELb0ES3_mN6thrust23THRUST_200600_302600_NS10device_ptrIiEEPS6_SD_NS0_5tupleIJSC_S6_EEENSE_IJSD_SD_EEES6_PlJNSA_6detail9not_fun_tINSI_10functional5actorINSK_9compositeIJNSK_27transparent_binary_operatorINSA_8equal_toIvEEEENSL_INSK_8argumentILj0EEEEENSK_5valueIiEEEEEEEEEEEE10hipError_tPvRmT3_T4_T5_T6_T7_T9_mT8_P12ihipStream_tbDpT10_ENKUlT_T0_E_clISt17integral_constantIbLb0EES1H_IbLb1EEEEDaS1D_S1E_EUlS1D_E_NS1_11comp_targetILNS1_3genE0ELNS1_11target_archE4294967295ELNS1_3gpuE0ELNS1_3repE0EEENS1_30default_config_static_selectorELNS0_4arch9wavefront6targetE0EEEvT1_.num_named_barrier, 0
	.set _ZN7rocprim17ROCPRIM_400000_NS6detail17trampoline_kernelINS0_14default_configENS1_25partition_config_selectorILNS1_17partition_subalgoE6EiNS0_10empty_typeEbEEZZNS1_14partition_implILS5_6ELb0ES3_mN6thrust23THRUST_200600_302600_NS10device_ptrIiEEPS6_SD_NS0_5tupleIJSC_S6_EEENSE_IJSD_SD_EEES6_PlJNSA_6detail9not_fun_tINSI_10functional5actorINSK_9compositeIJNSK_27transparent_binary_operatorINSA_8equal_toIvEEEENSL_INSK_8argumentILj0EEEEENSK_5valueIiEEEEEEEEEEEE10hipError_tPvRmT3_T4_T5_T6_T7_T9_mT8_P12ihipStream_tbDpT10_ENKUlT_T0_E_clISt17integral_constantIbLb0EES1H_IbLb1EEEEDaS1D_S1E_EUlS1D_E_NS1_11comp_targetILNS1_3genE0ELNS1_11target_archE4294967295ELNS1_3gpuE0ELNS1_3repE0EEENS1_30default_config_static_selectorELNS0_4arch9wavefront6targetE0EEEvT1_.private_seg_size, 0
	.set _ZN7rocprim17ROCPRIM_400000_NS6detail17trampoline_kernelINS0_14default_configENS1_25partition_config_selectorILNS1_17partition_subalgoE6EiNS0_10empty_typeEbEEZZNS1_14partition_implILS5_6ELb0ES3_mN6thrust23THRUST_200600_302600_NS10device_ptrIiEEPS6_SD_NS0_5tupleIJSC_S6_EEENSE_IJSD_SD_EEES6_PlJNSA_6detail9not_fun_tINSI_10functional5actorINSK_9compositeIJNSK_27transparent_binary_operatorINSA_8equal_toIvEEEENSL_INSK_8argumentILj0EEEEENSK_5valueIiEEEEEEEEEEEE10hipError_tPvRmT3_T4_T5_T6_T7_T9_mT8_P12ihipStream_tbDpT10_ENKUlT_T0_E_clISt17integral_constantIbLb0EES1H_IbLb1EEEEDaS1D_S1E_EUlS1D_E_NS1_11comp_targetILNS1_3genE0ELNS1_11target_archE4294967295ELNS1_3gpuE0ELNS1_3repE0EEENS1_30default_config_static_selectorELNS0_4arch9wavefront6targetE0EEEvT1_.uses_vcc, 0
	.set _ZN7rocprim17ROCPRIM_400000_NS6detail17trampoline_kernelINS0_14default_configENS1_25partition_config_selectorILNS1_17partition_subalgoE6EiNS0_10empty_typeEbEEZZNS1_14partition_implILS5_6ELb0ES3_mN6thrust23THRUST_200600_302600_NS10device_ptrIiEEPS6_SD_NS0_5tupleIJSC_S6_EEENSE_IJSD_SD_EEES6_PlJNSA_6detail9not_fun_tINSI_10functional5actorINSK_9compositeIJNSK_27transparent_binary_operatorINSA_8equal_toIvEEEENSL_INSK_8argumentILj0EEEEENSK_5valueIiEEEEEEEEEEEE10hipError_tPvRmT3_T4_T5_T6_T7_T9_mT8_P12ihipStream_tbDpT10_ENKUlT_T0_E_clISt17integral_constantIbLb0EES1H_IbLb1EEEEDaS1D_S1E_EUlS1D_E_NS1_11comp_targetILNS1_3genE0ELNS1_11target_archE4294967295ELNS1_3gpuE0ELNS1_3repE0EEENS1_30default_config_static_selectorELNS0_4arch9wavefront6targetE0EEEvT1_.uses_flat_scratch, 0
	.set _ZN7rocprim17ROCPRIM_400000_NS6detail17trampoline_kernelINS0_14default_configENS1_25partition_config_selectorILNS1_17partition_subalgoE6EiNS0_10empty_typeEbEEZZNS1_14partition_implILS5_6ELb0ES3_mN6thrust23THRUST_200600_302600_NS10device_ptrIiEEPS6_SD_NS0_5tupleIJSC_S6_EEENSE_IJSD_SD_EEES6_PlJNSA_6detail9not_fun_tINSI_10functional5actorINSK_9compositeIJNSK_27transparent_binary_operatorINSA_8equal_toIvEEEENSL_INSK_8argumentILj0EEEEENSK_5valueIiEEEEEEEEEEEE10hipError_tPvRmT3_T4_T5_T6_T7_T9_mT8_P12ihipStream_tbDpT10_ENKUlT_T0_E_clISt17integral_constantIbLb0EES1H_IbLb1EEEEDaS1D_S1E_EUlS1D_E_NS1_11comp_targetILNS1_3genE0ELNS1_11target_archE4294967295ELNS1_3gpuE0ELNS1_3repE0EEENS1_30default_config_static_selectorELNS0_4arch9wavefront6targetE0EEEvT1_.has_dyn_sized_stack, 0
	.set _ZN7rocprim17ROCPRIM_400000_NS6detail17trampoline_kernelINS0_14default_configENS1_25partition_config_selectorILNS1_17partition_subalgoE6EiNS0_10empty_typeEbEEZZNS1_14partition_implILS5_6ELb0ES3_mN6thrust23THRUST_200600_302600_NS10device_ptrIiEEPS6_SD_NS0_5tupleIJSC_S6_EEENSE_IJSD_SD_EEES6_PlJNSA_6detail9not_fun_tINSI_10functional5actorINSK_9compositeIJNSK_27transparent_binary_operatorINSA_8equal_toIvEEEENSL_INSK_8argumentILj0EEEEENSK_5valueIiEEEEEEEEEEEE10hipError_tPvRmT3_T4_T5_T6_T7_T9_mT8_P12ihipStream_tbDpT10_ENKUlT_T0_E_clISt17integral_constantIbLb0EES1H_IbLb1EEEEDaS1D_S1E_EUlS1D_E_NS1_11comp_targetILNS1_3genE0ELNS1_11target_archE4294967295ELNS1_3gpuE0ELNS1_3repE0EEENS1_30default_config_static_selectorELNS0_4arch9wavefront6targetE0EEEvT1_.has_recursion, 0
	.set _ZN7rocprim17ROCPRIM_400000_NS6detail17trampoline_kernelINS0_14default_configENS1_25partition_config_selectorILNS1_17partition_subalgoE6EiNS0_10empty_typeEbEEZZNS1_14partition_implILS5_6ELb0ES3_mN6thrust23THRUST_200600_302600_NS10device_ptrIiEEPS6_SD_NS0_5tupleIJSC_S6_EEENSE_IJSD_SD_EEES6_PlJNSA_6detail9not_fun_tINSI_10functional5actorINSK_9compositeIJNSK_27transparent_binary_operatorINSA_8equal_toIvEEEENSL_INSK_8argumentILj0EEEEENSK_5valueIiEEEEEEEEEEEE10hipError_tPvRmT3_T4_T5_T6_T7_T9_mT8_P12ihipStream_tbDpT10_ENKUlT_T0_E_clISt17integral_constantIbLb0EES1H_IbLb1EEEEDaS1D_S1E_EUlS1D_E_NS1_11comp_targetILNS1_3genE0ELNS1_11target_archE4294967295ELNS1_3gpuE0ELNS1_3repE0EEENS1_30default_config_static_selectorELNS0_4arch9wavefront6targetE0EEEvT1_.has_indirect_call, 0
	.section	.AMDGPU.csdata,"",@progbits
; Kernel info:
; codeLenInByte = 0
; TotalNumSgprs: 0
; NumVgprs: 0
; ScratchSize: 0
; MemoryBound: 0
; FloatMode: 240
; IeeeMode: 1
; LDSByteSize: 0 bytes/workgroup (compile time only)
; SGPRBlocks: 0
; VGPRBlocks: 0
; NumSGPRsForWavesPerEU: 1
; NumVGPRsForWavesPerEU: 1
; Occupancy: 16
; WaveLimiterHint : 0
; COMPUTE_PGM_RSRC2:SCRATCH_EN: 0
; COMPUTE_PGM_RSRC2:USER_SGPR: 2
; COMPUTE_PGM_RSRC2:TRAP_HANDLER: 0
; COMPUTE_PGM_RSRC2:TGID_X_EN: 1
; COMPUTE_PGM_RSRC2:TGID_Y_EN: 0
; COMPUTE_PGM_RSRC2:TGID_Z_EN: 0
; COMPUTE_PGM_RSRC2:TIDIG_COMP_CNT: 0
	.section	.text._ZN7rocprim17ROCPRIM_400000_NS6detail17trampoline_kernelINS0_14default_configENS1_25partition_config_selectorILNS1_17partition_subalgoE6EiNS0_10empty_typeEbEEZZNS1_14partition_implILS5_6ELb0ES3_mN6thrust23THRUST_200600_302600_NS10device_ptrIiEEPS6_SD_NS0_5tupleIJSC_S6_EEENSE_IJSD_SD_EEES6_PlJNSA_6detail9not_fun_tINSI_10functional5actorINSK_9compositeIJNSK_27transparent_binary_operatorINSA_8equal_toIvEEEENSL_INSK_8argumentILj0EEEEENSK_5valueIiEEEEEEEEEEEE10hipError_tPvRmT3_T4_T5_T6_T7_T9_mT8_P12ihipStream_tbDpT10_ENKUlT_T0_E_clISt17integral_constantIbLb0EES1H_IbLb1EEEEDaS1D_S1E_EUlS1D_E_NS1_11comp_targetILNS1_3genE5ELNS1_11target_archE942ELNS1_3gpuE9ELNS1_3repE0EEENS1_30default_config_static_selectorELNS0_4arch9wavefront6targetE0EEEvT1_,"axG",@progbits,_ZN7rocprim17ROCPRIM_400000_NS6detail17trampoline_kernelINS0_14default_configENS1_25partition_config_selectorILNS1_17partition_subalgoE6EiNS0_10empty_typeEbEEZZNS1_14partition_implILS5_6ELb0ES3_mN6thrust23THRUST_200600_302600_NS10device_ptrIiEEPS6_SD_NS0_5tupleIJSC_S6_EEENSE_IJSD_SD_EEES6_PlJNSA_6detail9not_fun_tINSI_10functional5actorINSK_9compositeIJNSK_27transparent_binary_operatorINSA_8equal_toIvEEEENSL_INSK_8argumentILj0EEEEENSK_5valueIiEEEEEEEEEEEE10hipError_tPvRmT3_T4_T5_T6_T7_T9_mT8_P12ihipStream_tbDpT10_ENKUlT_T0_E_clISt17integral_constantIbLb0EES1H_IbLb1EEEEDaS1D_S1E_EUlS1D_E_NS1_11comp_targetILNS1_3genE5ELNS1_11target_archE942ELNS1_3gpuE9ELNS1_3repE0EEENS1_30default_config_static_selectorELNS0_4arch9wavefront6targetE0EEEvT1_,comdat
	.protected	_ZN7rocprim17ROCPRIM_400000_NS6detail17trampoline_kernelINS0_14default_configENS1_25partition_config_selectorILNS1_17partition_subalgoE6EiNS0_10empty_typeEbEEZZNS1_14partition_implILS5_6ELb0ES3_mN6thrust23THRUST_200600_302600_NS10device_ptrIiEEPS6_SD_NS0_5tupleIJSC_S6_EEENSE_IJSD_SD_EEES6_PlJNSA_6detail9not_fun_tINSI_10functional5actorINSK_9compositeIJNSK_27transparent_binary_operatorINSA_8equal_toIvEEEENSL_INSK_8argumentILj0EEEEENSK_5valueIiEEEEEEEEEEEE10hipError_tPvRmT3_T4_T5_T6_T7_T9_mT8_P12ihipStream_tbDpT10_ENKUlT_T0_E_clISt17integral_constantIbLb0EES1H_IbLb1EEEEDaS1D_S1E_EUlS1D_E_NS1_11comp_targetILNS1_3genE5ELNS1_11target_archE942ELNS1_3gpuE9ELNS1_3repE0EEENS1_30default_config_static_selectorELNS0_4arch9wavefront6targetE0EEEvT1_ ; -- Begin function _ZN7rocprim17ROCPRIM_400000_NS6detail17trampoline_kernelINS0_14default_configENS1_25partition_config_selectorILNS1_17partition_subalgoE6EiNS0_10empty_typeEbEEZZNS1_14partition_implILS5_6ELb0ES3_mN6thrust23THRUST_200600_302600_NS10device_ptrIiEEPS6_SD_NS0_5tupleIJSC_S6_EEENSE_IJSD_SD_EEES6_PlJNSA_6detail9not_fun_tINSI_10functional5actorINSK_9compositeIJNSK_27transparent_binary_operatorINSA_8equal_toIvEEEENSL_INSK_8argumentILj0EEEEENSK_5valueIiEEEEEEEEEEEE10hipError_tPvRmT3_T4_T5_T6_T7_T9_mT8_P12ihipStream_tbDpT10_ENKUlT_T0_E_clISt17integral_constantIbLb0EES1H_IbLb1EEEEDaS1D_S1E_EUlS1D_E_NS1_11comp_targetILNS1_3genE5ELNS1_11target_archE942ELNS1_3gpuE9ELNS1_3repE0EEENS1_30default_config_static_selectorELNS0_4arch9wavefront6targetE0EEEvT1_
	.globl	_ZN7rocprim17ROCPRIM_400000_NS6detail17trampoline_kernelINS0_14default_configENS1_25partition_config_selectorILNS1_17partition_subalgoE6EiNS0_10empty_typeEbEEZZNS1_14partition_implILS5_6ELb0ES3_mN6thrust23THRUST_200600_302600_NS10device_ptrIiEEPS6_SD_NS0_5tupleIJSC_S6_EEENSE_IJSD_SD_EEES6_PlJNSA_6detail9not_fun_tINSI_10functional5actorINSK_9compositeIJNSK_27transparent_binary_operatorINSA_8equal_toIvEEEENSL_INSK_8argumentILj0EEEEENSK_5valueIiEEEEEEEEEEEE10hipError_tPvRmT3_T4_T5_T6_T7_T9_mT8_P12ihipStream_tbDpT10_ENKUlT_T0_E_clISt17integral_constantIbLb0EES1H_IbLb1EEEEDaS1D_S1E_EUlS1D_E_NS1_11comp_targetILNS1_3genE5ELNS1_11target_archE942ELNS1_3gpuE9ELNS1_3repE0EEENS1_30default_config_static_selectorELNS0_4arch9wavefront6targetE0EEEvT1_
	.p2align	8
	.type	_ZN7rocprim17ROCPRIM_400000_NS6detail17trampoline_kernelINS0_14default_configENS1_25partition_config_selectorILNS1_17partition_subalgoE6EiNS0_10empty_typeEbEEZZNS1_14partition_implILS5_6ELb0ES3_mN6thrust23THRUST_200600_302600_NS10device_ptrIiEEPS6_SD_NS0_5tupleIJSC_S6_EEENSE_IJSD_SD_EEES6_PlJNSA_6detail9not_fun_tINSI_10functional5actorINSK_9compositeIJNSK_27transparent_binary_operatorINSA_8equal_toIvEEEENSL_INSK_8argumentILj0EEEEENSK_5valueIiEEEEEEEEEEEE10hipError_tPvRmT3_T4_T5_T6_T7_T9_mT8_P12ihipStream_tbDpT10_ENKUlT_T0_E_clISt17integral_constantIbLb0EES1H_IbLb1EEEEDaS1D_S1E_EUlS1D_E_NS1_11comp_targetILNS1_3genE5ELNS1_11target_archE942ELNS1_3gpuE9ELNS1_3repE0EEENS1_30default_config_static_selectorELNS0_4arch9wavefront6targetE0EEEvT1_,@function
_ZN7rocprim17ROCPRIM_400000_NS6detail17trampoline_kernelINS0_14default_configENS1_25partition_config_selectorILNS1_17partition_subalgoE6EiNS0_10empty_typeEbEEZZNS1_14partition_implILS5_6ELb0ES3_mN6thrust23THRUST_200600_302600_NS10device_ptrIiEEPS6_SD_NS0_5tupleIJSC_S6_EEENSE_IJSD_SD_EEES6_PlJNSA_6detail9not_fun_tINSI_10functional5actorINSK_9compositeIJNSK_27transparent_binary_operatorINSA_8equal_toIvEEEENSL_INSK_8argumentILj0EEEEENSK_5valueIiEEEEEEEEEEEE10hipError_tPvRmT3_T4_T5_T6_T7_T9_mT8_P12ihipStream_tbDpT10_ENKUlT_T0_E_clISt17integral_constantIbLb0EES1H_IbLb1EEEEDaS1D_S1E_EUlS1D_E_NS1_11comp_targetILNS1_3genE5ELNS1_11target_archE942ELNS1_3gpuE9ELNS1_3repE0EEENS1_30default_config_static_selectorELNS0_4arch9wavefront6targetE0EEEvT1_: ; @_ZN7rocprim17ROCPRIM_400000_NS6detail17trampoline_kernelINS0_14default_configENS1_25partition_config_selectorILNS1_17partition_subalgoE6EiNS0_10empty_typeEbEEZZNS1_14partition_implILS5_6ELb0ES3_mN6thrust23THRUST_200600_302600_NS10device_ptrIiEEPS6_SD_NS0_5tupleIJSC_S6_EEENSE_IJSD_SD_EEES6_PlJNSA_6detail9not_fun_tINSI_10functional5actorINSK_9compositeIJNSK_27transparent_binary_operatorINSA_8equal_toIvEEEENSL_INSK_8argumentILj0EEEEENSK_5valueIiEEEEEEEEEEEE10hipError_tPvRmT3_T4_T5_T6_T7_T9_mT8_P12ihipStream_tbDpT10_ENKUlT_T0_E_clISt17integral_constantIbLb0EES1H_IbLb1EEEEDaS1D_S1E_EUlS1D_E_NS1_11comp_targetILNS1_3genE5ELNS1_11target_archE942ELNS1_3gpuE9ELNS1_3repE0EEENS1_30default_config_static_selectorELNS0_4arch9wavefront6targetE0EEEvT1_
; %bb.0:
	.section	.rodata,"a",@progbits
	.p2align	6, 0x0
	.amdhsa_kernel _ZN7rocprim17ROCPRIM_400000_NS6detail17trampoline_kernelINS0_14default_configENS1_25partition_config_selectorILNS1_17partition_subalgoE6EiNS0_10empty_typeEbEEZZNS1_14partition_implILS5_6ELb0ES3_mN6thrust23THRUST_200600_302600_NS10device_ptrIiEEPS6_SD_NS0_5tupleIJSC_S6_EEENSE_IJSD_SD_EEES6_PlJNSA_6detail9not_fun_tINSI_10functional5actorINSK_9compositeIJNSK_27transparent_binary_operatorINSA_8equal_toIvEEEENSL_INSK_8argumentILj0EEEEENSK_5valueIiEEEEEEEEEEEE10hipError_tPvRmT3_T4_T5_T6_T7_T9_mT8_P12ihipStream_tbDpT10_ENKUlT_T0_E_clISt17integral_constantIbLb0EES1H_IbLb1EEEEDaS1D_S1E_EUlS1D_E_NS1_11comp_targetILNS1_3genE5ELNS1_11target_archE942ELNS1_3gpuE9ELNS1_3repE0EEENS1_30default_config_static_selectorELNS0_4arch9wavefront6targetE0EEEvT1_
		.amdhsa_group_segment_fixed_size 0
		.amdhsa_private_segment_fixed_size 0
		.amdhsa_kernarg_size 128
		.amdhsa_user_sgpr_count 2
		.amdhsa_user_sgpr_dispatch_ptr 0
		.amdhsa_user_sgpr_queue_ptr 0
		.amdhsa_user_sgpr_kernarg_segment_ptr 1
		.amdhsa_user_sgpr_dispatch_id 0
		.amdhsa_user_sgpr_private_segment_size 0
		.amdhsa_wavefront_size32 1
		.amdhsa_uses_dynamic_stack 0
		.amdhsa_enable_private_segment 0
		.amdhsa_system_sgpr_workgroup_id_x 1
		.amdhsa_system_sgpr_workgroup_id_y 0
		.amdhsa_system_sgpr_workgroup_id_z 0
		.amdhsa_system_sgpr_workgroup_info 0
		.amdhsa_system_vgpr_workitem_id 0
		.amdhsa_next_free_vgpr 1
		.amdhsa_next_free_sgpr 1
		.amdhsa_reserve_vcc 0
		.amdhsa_float_round_mode_32 0
		.amdhsa_float_round_mode_16_64 0
		.amdhsa_float_denorm_mode_32 3
		.amdhsa_float_denorm_mode_16_64 3
		.amdhsa_fp16_overflow 0
		.amdhsa_workgroup_processor_mode 1
		.amdhsa_memory_ordered 1
		.amdhsa_forward_progress 1
		.amdhsa_inst_pref_size 0
		.amdhsa_round_robin_scheduling 0
		.amdhsa_exception_fp_ieee_invalid_op 0
		.amdhsa_exception_fp_denorm_src 0
		.amdhsa_exception_fp_ieee_div_zero 0
		.amdhsa_exception_fp_ieee_overflow 0
		.amdhsa_exception_fp_ieee_underflow 0
		.amdhsa_exception_fp_ieee_inexact 0
		.amdhsa_exception_int_div_zero 0
	.end_amdhsa_kernel
	.section	.text._ZN7rocprim17ROCPRIM_400000_NS6detail17trampoline_kernelINS0_14default_configENS1_25partition_config_selectorILNS1_17partition_subalgoE6EiNS0_10empty_typeEbEEZZNS1_14partition_implILS5_6ELb0ES3_mN6thrust23THRUST_200600_302600_NS10device_ptrIiEEPS6_SD_NS0_5tupleIJSC_S6_EEENSE_IJSD_SD_EEES6_PlJNSA_6detail9not_fun_tINSI_10functional5actorINSK_9compositeIJNSK_27transparent_binary_operatorINSA_8equal_toIvEEEENSL_INSK_8argumentILj0EEEEENSK_5valueIiEEEEEEEEEEEE10hipError_tPvRmT3_T4_T5_T6_T7_T9_mT8_P12ihipStream_tbDpT10_ENKUlT_T0_E_clISt17integral_constantIbLb0EES1H_IbLb1EEEEDaS1D_S1E_EUlS1D_E_NS1_11comp_targetILNS1_3genE5ELNS1_11target_archE942ELNS1_3gpuE9ELNS1_3repE0EEENS1_30default_config_static_selectorELNS0_4arch9wavefront6targetE0EEEvT1_,"axG",@progbits,_ZN7rocprim17ROCPRIM_400000_NS6detail17trampoline_kernelINS0_14default_configENS1_25partition_config_selectorILNS1_17partition_subalgoE6EiNS0_10empty_typeEbEEZZNS1_14partition_implILS5_6ELb0ES3_mN6thrust23THRUST_200600_302600_NS10device_ptrIiEEPS6_SD_NS0_5tupleIJSC_S6_EEENSE_IJSD_SD_EEES6_PlJNSA_6detail9not_fun_tINSI_10functional5actorINSK_9compositeIJNSK_27transparent_binary_operatorINSA_8equal_toIvEEEENSL_INSK_8argumentILj0EEEEENSK_5valueIiEEEEEEEEEEEE10hipError_tPvRmT3_T4_T5_T6_T7_T9_mT8_P12ihipStream_tbDpT10_ENKUlT_T0_E_clISt17integral_constantIbLb0EES1H_IbLb1EEEEDaS1D_S1E_EUlS1D_E_NS1_11comp_targetILNS1_3genE5ELNS1_11target_archE942ELNS1_3gpuE9ELNS1_3repE0EEENS1_30default_config_static_selectorELNS0_4arch9wavefront6targetE0EEEvT1_,comdat
.Lfunc_end2870:
	.size	_ZN7rocprim17ROCPRIM_400000_NS6detail17trampoline_kernelINS0_14default_configENS1_25partition_config_selectorILNS1_17partition_subalgoE6EiNS0_10empty_typeEbEEZZNS1_14partition_implILS5_6ELb0ES3_mN6thrust23THRUST_200600_302600_NS10device_ptrIiEEPS6_SD_NS0_5tupleIJSC_S6_EEENSE_IJSD_SD_EEES6_PlJNSA_6detail9not_fun_tINSI_10functional5actorINSK_9compositeIJNSK_27transparent_binary_operatorINSA_8equal_toIvEEEENSL_INSK_8argumentILj0EEEEENSK_5valueIiEEEEEEEEEEEE10hipError_tPvRmT3_T4_T5_T6_T7_T9_mT8_P12ihipStream_tbDpT10_ENKUlT_T0_E_clISt17integral_constantIbLb0EES1H_IbLb1EEEEDaS1D_S1E_EUlS1D_E_NS1_11comp_targetILNS1_3genE5ELNS1_11target_archE942ELNS1_3gpuE9ELNS1_3repE0EEENS1_30default_config_static_selectorELNS0_4arch9wavefront6targetE0EEEvT1_, .Lfunc_end2870-_ZN7rocprim17ROCPRIM_400000_NS6detail17trampoline_kernelINS0_14default_configENS1_25partition_config_selectorILNS1_17partition_subalgoE6EiNS0_10empty_typeEbEEZZNS1_14partition_implILS5_6ELb0ES3_mN6thrust23THRUST_200600_302600_NS10device_ptrIiEEPS6_SD_NS0_5tupleIJSC_S6_EEENSE_IJSD_SD_EEES6_PlJNSA_6detail9not_fun_tINSI_10functional5actorINSK_9compositeIJNSK_27transparent_binary_operatorINSA_8equal_toIvEEEENSL_INSK_8argumentILj0EEEEENSK_5valueIiEEEEEEEEEEEE10hipError_tPvRmT3_T4_T5_T6_T7_T9_mT8_P12ihipStream_tbDpT10_ENKUlT_T0_E_clISt17integral_constantIbLb0EES1H_IbLb1EEEEDaS1D_S1E_EUlS1D_E_NS1_11comp_targetILNS1_3genE5ELNS1_11target_archE942ELNS1_3gpuE9ELNS1_3repE0EEENS1_30default_config_static_selectorELNS0_4arch9wavefront6targetE0EEEvT1_
                                        ; -- End function
	.set _ZN7rocprim17ROCPRIM_400000_NS6detail17trampoline_kernelINS0_14default_configENS1_25partition_config_selectorILNS1_17partition_subalgoE6EiNS0_10empty_typeEbEEZZNS1_14partition_implILS5_6ELb0ES3_mN6thrust23THRUST_200600_302600_NS10device_ptrIiEEPS6_SD_NS0_5tupleIJSC_S6_EEENSE_IJSD_SD_EEES6_PlJNSA_6detail9not_fun_tINSI_10functional5actorINSK_9compositeIJNSK_27transparent_binary_operatorINSA_8equal_toIvEEEENSL_INSK_8argumentILj0EEEEENSK_5valueIiEEEEEEEEEEEE10hipError_tPvRmT3_T4_T5_T6_T7_T9_mT8_P12ihipStream_tbDpT10_ENKUlT_T0_E_clISt17integral_constantIbLb0EES1H_IbLb1EEEEDaS1D_S1E_EUlS1D_E_NS1_11comp_targetILNS1_3genE5ELNS1_11target_archE942ELNS1_3gpuE9ELNS1_3repE0EEENS1_30default_config_static_selectorELNS0_4arch9wavefront6targetE0EEEvT1_.num_vgpr, 0
	.set _ZN7rocprim17ROCPRIM_400000_NS6detail17trampoline_kernelINS0_14default_configENS1_25partition_config_selectorILNS1_17partition_subalgoE6EiNS0_10empty_typeEbEEZZNS1_14partition_implILS5_6ELb0ES3_mN6thrust23THRUST_200600_302600_NS10device_ptrIiEEPS6_SD_NS0_5tupleIJSC_S6_EEENSE_IJSD_SD_EEES6_PlJNSA_6detail9not_fun_tINSI_10functional5actorINSK_9compositeIJNSK_27transparent_binary_operatorINSA_8equal_toIvEEEENSL_INSK_8argumentILj0EEEEENSK_5valueIiEEEEEEEEEEEE10hipError_tPvRmT3_T4_T5_T6_T7_T9_mT8_P12ihipStream_tbDpT10_ENKUlT_T0_E_clISt17integral_constantIbLb0EES1H_IbLb1EEEEDaS1D_S1E_EUlS1D_E_NS1_11comp_targetILNS1_3genE5ELNS1_11target_archE942ELNS1_3gpuE9ELNS1_3repE0EEENS1_30default_config_static_selectorELNS0_4arch9wavefront6targetE0EEEvT1_.num_agpr, 0
	.set _ZN7rocprim17ROCPRIM_400000_NS6detail17trampoline_kernelINS0_14default_configENS1_25partition_config_selectorILNS1_17partition_subalgoE6EiNS0_10empty_typeEbEEZZNS1_14partition_implILS5_6ELb0ES3_mN6thrust23THRUST_200600_302600_NS10device_ptrIiEEPS6_SD_NS0_5tupleIJSC_S6_EEENSE_IJSD_SD_EEES6_PlJNSA_6detail9not_fun_tINSI_10functional5actorINSK_9compositeIJNSK_27transparent_binary_operatorINSA_8equal_toIvEEEENSL_INSK_8argumentILj0EEEEENSK_5valueIiEEEEEEEEEEEE10hipError_tPvRmT3_T4_T5_T6_T7_T9_mT8_P12ihipStream_tbDpT10_ENKUlT_T0_E_clISt17integral_constantIbLb0EES1H_IbLb1EEEEDaS1D_S1E_EUlS1D_E_NS1_11comp_targetILNS1_3genE5ELNS1_11target_archE942ELNS1_3gpuE9ELNS1_3repE0EEENS1_30default_config_static_selectorELNS0_4arch9wavefront6targetE0EEEvT1_.numbered_sgpr, 0
	.set _ZN7rocprim17ROCPRIM_400000_NS6detail17trampoline_kernelINS0_14default_configENS1_25partition_config_selectorILNS1_17partition_subalgoE6EiNS0_10empty_typeEbEEZZNS1_14partition_implILS5_6ELb0ES3_mN6thrust23THRUST_200600_302600_NS10device_ptrIiEEPS6_SD_NS0_5tupleIJSC_S6_EEENSE_IJSD_SD_EEES6_PlJNSA_6detail9not_fun_tINSI_10functional5actorINSK_9compositeIJNSK_27transparent_binary_operatorINSA_8equal_toIvEEEENSL_INSK_8argumentILj0EEEEENSK_5valueIiEEEEEEEEEEEE10hipError_tPvRmT3_T4_T5_T6_T7_T9_mT8_P12ihipStream_tbDpT10_ENKUlT_T0_E_clISt17integral_constantIbLb0EES1H_IbLb1EEEEDaS1D_S1E_EUlS1D_E_NS1_11comp_targetILNS1_3genE5ELNS1_11target_archE942ELNS1_3gpuE9ELNS1_3repE0EEENS1_30default_config_static_selectorELNS0_4arch9wavefront6targetE0EEEvT1_.num_named_barrier, 0
	.set _ZN7rocprim17ROCPRIM_400000_NS6detail17trampoline_kernelINS0_14default_configENS1_25partition_config_selectorILNS1_17partition_subalgoE6EiNS0_10empty_typeEbEEZZNS1_14partition_implILS5_6ELb0ES3_mN6thrust23THRUST_200600_302600_NS10device_ptrIiEEPS6_SD_NS0_5tupleIJSC_S6_EEENSE_IJSD_SD_EEES6_PlJNSA_6detail9not_fun_tINSI_10functional5actorINSK_9compositeIJNSK_27transparent_binary_operatorINSA_8equal_toIvEEEENSL_INSK_8argumentILj0EEEEENSK_5valueIiEEEEEEEEEEEE10hipError_tPvRmT3_T4_T5_T6_T7_T9_mT8_P12ihipStream_tbDpT10_ENKUlT_T0_E_clISt17integral_constantIbLb0EES1H_IbLb1EEEEDaS1D_S1E_EUlS1D_E_NS1_11comp_targetILNS1_3genE5ELNS1_11target_archE942ELNS1_3gpuE9ELNS1_3repE0EEENS1_30default_config_static_selectorELNS0_4arch9wavefront6targetE0EEEvT1_.private_seg_size, 0
	.set _ZN7rocprim17ROCPRIM_400000_NS6detail17trampoline_kernelINS0_14default_configENS1_25partition_config_selectorILNS1_17partition_subalgoE6EiNS0_10empty_typeEbEEZZNS1_14partition_implILS5_6ELb0ES3_mN6thrust23THRUST_200600_302600_NS10device_ptrIiEEPS6_SD_NS0_5tupleIJSC_S6_EEENSE_IJSD_SD_EEES6_PlJNSA_6detail9not_fun_tINSI_10functional5actorINSK_9compositeIJNSK_27transparent_binary_operatorINSA_8equal_toIvEEEENSL_INSK_8argumentILj0EEEEENSK_5valueIiEEEEEEEEEEEE10hipError_tPvRmT3_T4_T5_T6_T7_T9_mT8_P12ihipStream_tbDpT10_ENKUlT_T0_E_clISt17integral_constantIbLb0EES1H_IbLb1EEEEDaS1D_S1E_EUlS1D_E_NS1_11comp_targetILNS1_3genE5ELNS1_11target_archE942ELNS1_3gpuE9ELNS1_3repE0EEENS1_30default_config_static_selectorELNS0_4arch9wavefront6targetE0EEEvT1_.uses_vcc, 0
	.set _ZN7rocprim17ROCPRIM_400000_NS6detail17trampoline_kernelINS0_14default_configENS1_25partition_config_selectorILNS1_17partition_subalgoE6EiNS0_10empty_typeEbEEZZNS1_14partition_implILS5_6ELb0ES3_mN6thrust23THRUST_200600_302600_NS10device_ptrIiEEPS6_SD_NS0_5tupleIJSC_S6_EEENSE_IJSD_SD_EEES6_PlJNSA_6detail9not_fun_tINSI_10functional5actorINSK_9compositeIJNSK_27transparent_binary_operatorINSA_8equal_toIvEEEENSL_INSK_8argumentILj0EEEEENSK_5valueIiEEEEEEEEEEEE10hipError_tPvRmT3_T4_T5_T6_T7_T9_mT8_P12ihipStream_tbDpT10_ENKUlT_T0_E_clISt17integral_constantIbLb0EES1H_IbLb1EEEEDaS1D_S1E_EUlS1D_E_NS1_11comp_targetILNS1_3genE5ELNS1_11target_archE942ELNS1_3gpuE9ELNS1_3repE0EEENS1_30default_config_static_selectorELNS0_4arch9wavefront6targetE0EEEvT1_.uses_flat_scratch, 0
	.set _ZN7rocprim17ROCPRIM_400000_NS6detail17trampoline_kernelINS0_14default_configENS1_25partition_config_selectorILNS1_17partition_subalgoE6EiNS0_10empty_typeEbEEZZNS1_14partition_implILS5_6ELb0ES3_mN6thrust23THRUST_200600_302600_NS10device_ptrIiEEPS6_SD_NS0_5tupleIJSC_S6_EEENSE_IJSD_SD_EEES6_PlJNSA_6detail9not_fun_tINSI_10functional5actorINSK_9compositeIJNSK_27transparent_binary_operatorINSA_8equal_toIvEEEENSL_INSK_8argumentILj0EEEEENSK_5valueIiEEEEEEEEEEEE10hipError_tPvRmT3_T4_T5_T6_T7_T9_mT8_P12ihipStream_tbDpT10_ENKUlT_T0_E_clISt17integral_constantIbLb0EES1H_IbLb1EEEEDaS1D_S1E_EUlS1D_E_NS1_11comp_targetILNS1_3genE5ELNS1_11target_archE942ELNS1_3gpuE9ELNS1_3repE0EEENS1_30default_config_static_selectorELNS0_4arch9wavefront6targetE0EEEvT1_.has_dyn_sized_stack, 0
	.set _ZN7rocprim17ROCPRIM_400000_NS6detail17trampoline_kernelINS0_14default_configENS1_25partition_config_selectorILNS1_17partition_subalgoE6EiNS0_10empty_typeEbEEZZNS1_14partition_implILS5_6ELb0ES3_mN6thrust23THRUST_200600_302600_NS10device_ptrIiEEPS6_SD_NS0_5tupleIJSC_S6_EEENSE_IJSD_SD_EEES6_PlJNSA_6detail9not_fun_tINSI_10functional5actorINSK_9compositeIJNSK_27transparent_binary_operatorINSA_8equal_toIvEEEENSL_INSK_8argumentILj0EEEEENSK_5valueIiEEEEEEEEEEEE10hipError_tPvRmT3_T4_T5_T6_T7_T9_mT8_P12ihipStream_tbDpT10_ENKUlT_T0_E_clISt17integral_constantIbLb0EES1H_IbLb1EEEEDaS1D_S1E_EUlS1D_E_NS1_11comp_targetILNS1_3genE5ELNS1_11target_archE942ELNS1_3gpuE9ELNS1_3repE0EEENS1_30default_config_static_selectorELNS0_4arch9wavefront6targetE0EEEvT1_.has_recursion, 0
	.set _ZN7rocprim17ROCPRIM_400000_NS6detail17trampoline_kernelINS0_14default_configENS1_25partition_config_selectorILNS1_17partition_subalgoE6EiNS0_10empty_typeEbEEZZNS1_14partition_implILS5_6ELb0ES3_mN6thrust23THRUST_200600_302600_NS10device_ptrIiEEPS6_SD_NS0_5tupleIJSC_S6_EEENSE_IJSD_SD_EEES6_PlJNSA_6detail9not_fun_tINSI_10functional5actorINSK_9compositeIJNSK_27transparent_binary_operatorINSA_8equal_toIvEEEENSL_INSK_8argumentILj0EEEEENSK_5valueIiEEEEEEEEEEEE10hipError_tPvRmT3_T4_T5_T6_T7_T9_mT8_P12ihipStream_tbDpT10_ENKUlT_T0_E_clISt17integral_constantIbLb0EES1H_IbLb1EEEEDaS1D_S1E_EUlS1D_E_NS1_11comp_targetILNS1_3genE5ELNS1_11target_archE942ELNS1_3gpuE9ELNS1_3repE0EEENS1_30default_config_static_selectorELNS0_4arch9wavefront6targetE0EEEvT1_.has_indirect_call, 0
	.section	.AMDGPU.csdata,"",@progbits
; Kernel info:
; codeLenInByte = 0
; TotalNumSgprs: 0
; NumVgprs: 0
; ScratchSize: 0
; MemoryBound: 0
; FloatMode: 240
; IeeeMode: 1
; LDSByteSize: 0 bytes/workgroup (compile time only)
; SGPRBlocks: 0
; VGPRBlocks: 0
; NumSGPRsForWavesPerEU: 1
; NumVGPRsForWavesPerEU: 1
; Occupancy: 16
; WaveLimiterHint : 0
; COMPUTE_PGM_RSRC2:SCRATCH_EN: 0
; COMPUTE_PGM_RSRC2:USER_SGPR: 2
; COMPUTE_PGM_RSRC2:TRAP_HANDLER: 0
; COMPUTE_PGM_RSRC2:TGID_X_EN: 1
; COMPUTE_PGM_RSRC2:TGID_Y_EN: 0
; COMPUTE_PGM_RSRC2:TGID_Z_EN: 0
; COMPUTE_PGM_RSRC2:TIDIG_COMP_CNT: 0
	.section	.text._ZN7rocprim17ROCPRIM_400000_NS6detail17trampoline_kernelINS0_14default_configENS1_25partition_config_selectorILNS1_17partition_subalgoE6EiNS0_10empty_typeEbEEZZNS1_14partition_implILS5_6ELb0ES3_mN6thrust23THRUST_200600_302600_NS10device_ptrIiEEPS6_SD_NS0_5tupleIJSC_S6_EEENSE_IJSD_SD_EEES6_PlJNSA_6detail9not_fun_tINSI_10functional5actorINSK_9compositeIJNSK_27transparent_binary_operatorINSA_8equal_toIvEEEENSL_INSK_8argumentILj0EEEEENSK_5valueIiEEEEEEEEEEEE10hipError_tPvRmT3_T4_T5_T6_T7_T9_mT8_P12ihipStream_tbDpT10_ENKUlT_T0_E_clISt17integral_constantIbLb0EES1H_IbLb1EEEEDaS1D_S1E_EUlS1D_E_NS1_11comp_targetILNS1_3genE4ELNS1_11target_archE910ELNS1_3gpuE8ELNS1_3repE0EEENS1_30default_config_static_selectorELNS0_4arch9wavefront6targetE0EEEvT1_,"axG",@progbits,_ZN7rocprim17ROCPRIM_400000_NS6detail17trampoline_kernelINS0_14default_configENS1_25partition_config_selectorILNS1_17partition_subalgoE6EiNS0_10empty_typeEbEEZZNS1_14partition_implILS5_6ELb0ES3_mN6thrust23THRUST_200600_302600_NS10device_ptrIiEEPS6_SD_NS0_5tupleIJSC_S6_EEENSE_IJSD_SD_EEES6_PlJNSA_6detail9not_fun_tINSI_10functional5actorINSK_9compositeIJNSK_27transparent_binary_operatorINSA_8equal_toIvEEEENSL_INSK_8argumentILj0EEEEENSK_5valueIiEEEEEEEEEEEE10hipError_tPvRmT3_T4_T5_T6_T7_T9_mT8_P12ihipStream_tbDpT10_ENKUlT_T0_E_clISt17integral_constantIbLb0EES1H_IbLb1EEEEDaS1D_S1E_EUlS1D_E_NS1_11comp_targetILNS1_3genE4ELNS1_11target_archE910ELNS1_3gpuE8ELNS1_3repE0EEENS1_30default_config_static_selectorELNS0_4arch9wavefront6targetE0EEEvT1_,comdat
	.protected	_ZN7rocprim17ROCPRIM_400000_NS6detail17trampoline_kernelINS0_14default_configENS1_25partition_config_selectorILNS1_17partition_subalgoE6EiNS0_10empty_typeEbEEZZNS1_14partition_implILS5_6ELb0ES3_mN6thrust23THRUST_200600_302600_NS10device_ptrIiEEPS6_SD_NS0_5tupleIJSC_S6_EEENSE_IJSD_SD_EEES6_PlJNSA_6detail9not_fun_tINSI_10functional5actorINSK_9compositeIJNSK_27transparent_binary_operatorINSA_8equal_toIvEEEENSL_INSK_8argumentILj0EEEEENSK_5valueIiEEEEEEEEEEEE10hipError_tPvRmT3_T4_T5_T6_T7_T9_mT8_P12ihipStream_tbDpT10_ENKUlT_T0_E_clISt17integral_constantIbLb0EES1H_IbLb1EEEEDaS1D_S1E_EUlS1D_E_NS1_11comp_targetILNS1_3genE4ELNS1_11target_archE910ELNS1_3gpuE8ELNS1_3repE0EEENS1_30default_config_static_selectorELNS0_4arch9wavefront6targetE0EEEvT1_ ; -- Begin function _ZN7rocprim17ROCPRIM_400000_NS6detail17trampoline_kernelINS0_14default_configENS1_25partition_config_selectorILNS1_17partition_subalgoE6EiNS0_10empty_typeEbEEZZNS1_14partition_implILS5_6ELb0ES3_mN6thrust23THRUST_200600_302600_NS10device_ptrIiEEPS6_SD_NS0_5tupleIJSC_S6_EEENSE_IJSD_SD_EEES6_PlJNSA_6detail9not_fun_tINSI_10functional5actorINSK_9compositeIJNSK_27transparent_binary_operatorINSA_8equal_toIvEEEENSL_INSK_8argumentILj0EEEEENSK_5valueIiEEEEEEEEEEEE10hipError_tPvRmT3_T4_T5_T6_T7_T9_mT8_P12ihipStream_tbDpT10_ENKUlT_T0_E_clISt17integral_constantIbLb0EES1H_IbLb1EEEEDaS1D_S1E_EUlS1D_E_NS1_11comp_targetILNS1_3genE4ELNS1_11target_archE910ELNS1_3gpuE8ELNS1_3repE0EEENS1_30default_config_static_selectorELNS0_4arch9wavefront6targetE0EEEvT1_
	.globl	_ZN7rocprim17ROCPRIM_400000_NS6detail17trampoline_kernelINS0_14default_configENS1_25partition_config_selectorILNS1_17partition_subalgoE6EiNS0_10empty_typeEbEEZZNS1_14partition_implILS5_6ELb0ES3_mN6thrust23THRUST_200600_302600_NS10device_ptrIiEEPS6_SD_NS0_5tupleIJSC_S6_EEENSE_IJSD_SD_EEES6_PlJNSA_6detail9not_fun_tINSI_10functional5actorINSK_9compositeIJNSK_27transparent_binary_operatorINSA_8equal_toIvEEEENSL_INSK_8argumentILj0EEEEENSK_5valueIiEEEEEEEEEEEE10hipError_tPvRmT3_T4_T5_T6_T7_T9_mT8_P12ihipStream_tbDpT10_ENKUlT_T0_E_clISt17integral_constantIbLb0EES1H_IbLb1EEEEDaS1D_S1E_EUlS1D_E_NS1_11comp_targetILNS1_3genE4ELNS1_11target_archE910ELNS1_3gpuE8ELNS1_3repE0EEENS1_30default_config_static_selectorELNS0_4arch9wavefront6targetE0EEEvT1_
	.p2align	8
	.type	_ZN7rocprim17ROCPRIM_400000_NS6detail17trampoline_kernelINS0_14default_configENS1_25partition_config_selectorILNS1_17partition_subalgoE6EiNS0_10empty_typeEbEEZZNS1_14partition_implILS5_6ELb0ES3_mN6thrust23THRUST_200600_302600_NS10device_ptrIiEEPS6_SD_NS0_5tupleIJSC_S6_EEENSE_IJSD_SD_EEES6_PlJNSA_6detail9not_fun_tINSI_10functional5actorINSK_9compositeIJNSK_27transparent_binary_operatorINSA_8equal_toIvEEEENSL_INSK_8argumentILj0EEEEENSK_5valueIiEEEEEEEEEEEE10hipError_tPvRmT3_T4_T5_T6_T7_T9_mT8_P12ihipStream_tbDpT10_ENKUlT_T0_E_clISt17integral_constantIbLb0EES1H_IbLb1EEEEDaS1D_S1E_EUlS1D_E_NS1_11comp_targetILNS1_3genE4ELNS1_11target_archE910ELNS1_3gpuE8ELNS1_3repE0EEENS1_30default_config_static_selectorELNS0_4arch9wavefront6targetE0EEEvT1_,@function
_ZN7rocprim17ROCPRIM_400000_NS6detail17trampoline_kernelINS0_14default_configENS1_25partition_config_selectorILNS1_17partition_subalgoE6EiNS0_10empty_typeEbEEZZNS1_14partition_implILS5_6ELb0ES3_mN6thrust23THRUST_200600_302600_NS10device_ptrIiEEPS6_SD_NS0_5tupleIJSC_S6_EEENSE_IJSD_SD_EEES6_PlJNSA_6detail9not_fun_tINSI_10functional5actorINSK_9compositeIJNSK_27transparent_binary_operatorINSA_8equal_toIvEEEENSL_INSK_8argumentILj0EEEEENSK_5valueIiEEEEEEEEEEEE10hipError_tPvRmT3_T4_T5_T6_T7_T9_mT8_P12ihipStream_tbDpT10_ENKUlT_T0_E_clISt17integral_constantIbLb0EES1H_IbLb1EEEEDaS1D_S1E_EUlS1D_E_NS1_11comp_targetILNS1_3genE4ELNS1_11target_archE910ELNS1_3gpuE8ELNS1_3repE0EEENS1_30default_config_static_selectorELNS0_4arch9wavefront6targetE0EEEvT1_: ; @_ZN7rocprim17ROCPRIM_400000_NS6detail17trampoline_kernelINS0_14default_configENS1_25partition_config_selectorILNS1_17partition_subalgoE6EiNS0_10empty_typeEbEEZZNS1_14partition_implILS5_6ELb0ES3_mN6thrust23THRUST_200600_302600_NS10device_ptrIiEEPS6_SD_NS0_5tupleIJSC_S6_EEENSE_IJSD_SD_EEES6_PlJNSA_6detail9not_fun_tINSI_10functional5actorINSK_9compositeIJNSK_27transparent_binary_operatorINSA_8equal_toIvEEEENSL_INSK_8argumentILj0EEEEENSK_5valueIiEEEEEEEEEEEE10hipError_tPvRmT3_T4_T5_T6_T7_T9_mT8_P12ihipStream_tbDpT10_ENKUlT_T0_E_clISt17integral_constantIbLb0EES1H_IbLb1EEEEDaS1D_S1E_EUlS1D_E_NS1_11comp_targetILNS1_3genE4ELNS1_11target_archE910ELNS1_3gpuE8ELNS1_3repE0EEENS1_30default_config_static_selectorELNS0_4arch9wavefront6targetE0EEEvT1_
; %bb.0:
	.section	.rodata,"a",@progbits
	.p2align	6, 0x0
	.amdhsa_kernel _ZN7rocprim17ROCPRIM_400000_NS6detail17trampoline_kernelINS0_14default_configENS1_25partition_config_selectorILNS1_17partition_subalgoE6EiNS0_10empty_typeEbEEZZNS1_14partition_implILS5_6ELb0ES3_mN6thrust23THRUST_200600_302600_NS10device_ptrIiEEPS6_SD_NS0_5tupleIJSC_S6_EEENSE_IJSD_SD_EEES6_PlJNSA_6detail9not_fun_tINSI_10functional5actorINSK_9compositeIJNSK_27transparent_binary_operatorINSA_8equal_toIvEEEENSL_INSK_8argumentILj0EEEEENSK_5valueIiEEEEEEEEEEEE10hipError_tPvRmT3_T4_T5_T6_T7_T9_mT8_P12ihipStream_tbDpT10_ENKUlT_T0_E_clISt17integral_constantIbLb0EES1H_IbLb1EEEEDaS1D_S1E_EUlS1D_E_NS1_11comp_targetILNS1_3genE4ELNS1_11target_archE910ELNS1_3gpuE8ELNS1_3repE0EEENS1_30default_config_static_selectorELNS0_4arch9wavefront6targetE0EEEvT1_
		.amdhsa_group_segment_fixed_size 0
		.amdhsa_private_segment_fixed_size 0
		.amdhsa_kernarg_size 128
		.amdhsa_user_sgpr_count 2
		.amdhsa_user_sgpr_dispatch_ptr 0
		.amdhsa_user_sgpr_queue_ptr 0
		.amdhsa_user_sgpr_kernarg_segment_ptr 1
		.amdhsa_user_sgpr_dispatch_id 0
		.amdhsa_user_sgpr_private_segment_size 0
		.amdhsa_wavefront_size32 1
		.amdhsa_uses_dynamic_stack 0
		.amdhsa_enable_private_segment 0
		.amdhsa_system_sgpr_workgroup_id_x 1
		.amdhsa_system_sgpr_workgroup_id_y 0
		.amdhsa_system_sgpr_workgroup_id_z 0
		.amdhsa_system_sgpr_workgroup_info 0
		.amdhsa_system_vgpr_workitem_id 0
		.amdhsa_next_free_vgpr 1
		.amdhsa_next_free_sgpr 1
		.amdhsa_reserve_vcc 0
		.amdhsa_float_round_mode_32 0
		.amdhsa_float_round_mode_16_64 0
		.amdhsa_float_denorm_mode_32 3
		.amdhsa_float_denorm_mode_16_64 3
		.amdhsa_fp16_overflow 0
		.amdhsa_workgroup_processor_mode 1
		.amdhsa_memory_ordered 1
		.amdhsa_forward_progress 1
		.amdhsa_inst_pref_size 0
		.amdhsa_round_robin_scheduling 0
		.amdhsa_exception_fp_ieee_invalid_op 0
		.amdhsa_exception_fp_denorm_src 0
		.amdhsa_exception_fp_ieee_div_zero 0
		.amdhsa_exception_fp_ieee_overflow 0
		.amdhsa_exception_fp_ieee_underflow 0
		.amdhsa_exception_fp_ieee_inexact 0
		.amdhsa_exception_int_div_zero 0
	.end_amdhsa_kernel
	.section	.text._ZN7rocprim17ROCPRIM_400000_NS6detail17trampoline_kernelINS0_14default_configENS1_25partition_config_selectorILNS1_17partition_subalgoE6EiNS0_10empty_typeEbEEZZNS1_14partition_implILS5_6ELb0ES3_mN6thrust23THRUST_200600_302600_NS10device_ptrIiEEPS6_SD_NS0_5tupleIJSC_S6_EEENSE_IJSD_SD_EEES6_PlJNSA_6detail9not_fun_tINSI_10functional5actorINSK_9compositeIJNSK_27transparent_binary_operatorINSA_8equal_toIvEEEENSL_INSK_8argumentILj0EEEEENSK_5valueIiEEEEEEEEEEEE10hipError_tPvRmT3_T4_T5_T6_T7_T9_mT8_P12ihipStream_tbDpT10_ENKUlT_T0_E_clISt17integral_constantIbLb0EES1H_IbLb1EEEEDaS1D_S1E_EUlS1D_E_NS1_11comp_targetILNS1_3genE4ELNS1_11target_archE910ELNS1_3gpuE8ELNS1_3repE0EEENS1_30default_config_static_selectorELNS0_4arch9wavefront6targetE0EEEvT1_,"axG",@progbits,_ZN7rocprim17ROCPRIM_400000_NS6detail17trampoline_kernelINS0_14default_configENS1_25partition_config_selectorILNS1_17partition_subalgoE6EiNS0_10empty_typeEbEEZZNS1_14partition_implILS5_6ELb0ES3_mN6thrust23THRUST_200600_302600_NS10device_ptrIiEEPS6_SD_NS0_5tupleIJSC_S6_EEENSE_IJSD_SD_EEES6_PlJNSA_6detail9not_fun_tINSI_10functional5actorINSK_9compositeIJNSK_27transparent_binary_operatorINSA_8equal_toIvEEEENSL_INSK_8argumentILj0EEEEENSK_5valueIiEEEEEEEEEEEE10hipError_tPvRmT3_T4_T5_T6_T7_T9_mT8_P12ihipStream_tbDpT10_ENKUlT_T0_E_clISt17integral_constantIbLb0EES1H_IbLb1EEEEDaS1D_S1E_EUlS1D_E_NS1_11comp_targetILNS1_3genE4ELNS1_11target_archE910ELNS1_3gpuE8ELNS1_3repE0EEENS1_30default_config_static_selectorELNS0_4arch9wavefront6targetE0EEEvT1_,comdat
.Lfunc_end2871:
	.size	_ZN7rocprim17ROCPRIM_400000_NS6detail17trampoline_kernelINS0_14default_configENS1_25partition_config_selectorILNS1_17partition_subalgoE6EiNS0_10empty_typeEbEEZZNS1_14partition_implILS5_6ELb0ES3_mN6thrust23THRUST_200600_302600_NS10device_ptrIiEEPS6_SD_NS0_5tupleIJSC_S6_EEENSE_IJSD_SD_EEES6_PlJNSA_6detail9not_fun_tINSI_10functional5actorINSK_9compositeIJNSK_27transparent_binary_operatorINSA_8equal_toIvEEEENSL_INSK_8argumentILj0EEEEENSK_5valueIiEEEEEEEEEEEE10hipError_tPvRmT3_T4_T5_T6_T7_T9_mT8_P12ihipStream_tbDpT10_ENKUlT_T0_E_clISt17integral_constantIbLb0EES1H_IbLb1EEEEDaS1D_S1E_EUlS1D_E_NS1_11comp_targetILNS1_3genE4ELNS1_11target_archE910ELNS1_3gpuE8ELNS1_3repE0EEENS1_30default_config_static_selectorELNS0_4arch9wavefront6targetE0EEEvT1_, .Lfunc_end2871-_ZN7rocprim17ROCPRIM_400000_NS6detail17trampoline_kernelINS0_14default_configENS1_25partition_config_selectorILNS1_17partition_subalgoE6EiNS0_10empty_typeEbEEZZNS1_14partition_implILS5_6ELb0ES3_mN6thrust23THRUST_200600_302600_NS10device_ptrIiEEPS6_SD_NS0_5tupleIJSC_S6_EEENSE_IJSD_SD_EEES6_PlJNSA_6detail9not_fun_tINSI_10functional5actorINSK_9compositeIJNSK_27transparent_binary_operatorINSA_8equal_toIvEEEENSL_INSK_8argumentILj0EEEEENSK_5valueIiEEEEEEEEEEEE10hipError_tPvRmT3_T4_T5_T6_T7_T9_mT8_P12ihipStream_tbDpT10_ENKUlT_T0_E_clISt17integral_constantIbLb0EES1H_IbLb1EEEEDaS1D_S1E_EUlS1D_E_NS1_11comp_targetILNS1_3genE4ELNS1_11target_archE910ELNS1_3gpuE8ELNS1_3repE0EEENS1_30default_config_static_selectorELNS0_4arch9wavefront6targetE0EEEvT1_
                                        ; -- End function
	.set _ZN7rocprim17ROCPRIM_400000_NS6detail17trampoline_kernelINS0_14default_configENS1_25partition_config_selectorILNS1_17partition_subalgoE6EiNS0_10empty_typeEbEEZZNS1_14partition_implILS5_6ELb0ES3_mN6thrust23THRUST_200600_302600_NS10device_ptrIiEEPS6_SD_NS0_5tupleIJSC_S6_EEENSE_IJSD_SD_EEES6_PlJNSA_6detail9not_fun_tINSI_10functional5actorINSK_9compositeIJNSK_27transparent_binary_operatorINSA_8equal_toIvEEEENSL_INSK_8argumentILj0EEEEENSK_5valueIiEEEEEEEEEEEE10hipError_tPvRmT3_T4_T5_T6_T7_T9_mT8_P12ihipStream_tbDpT10_ENKUlT_T0_E_clISt17integral_constantIbLb0EES1H_IbLb1EEEEDaS1D_S1E_EUlS1D_E_NS1_11comp_targetILNS1_3genE4ELNS1_11target_archE910ELNS1_3gpuE8ELNS1_3repE0EEENS1_30default_config_static_selectorELNS0_4arch9wavefront6targetE0EEEvT1_.num_vgpr, 0
	.set _ZN7rocprim17ROCPRIM_400000_NS6detail17trampoline_kernelINS0_14default_configENS1_25partition_config_selectorILNS1_17partition_subalgoE6EiNS0_10empty_typeEbEEZZNS1_14partition_implILS5_6ELb0ES3_mN6thrust23THRUST_200600_302600_NS10device_ptrIiEEPS6_SD_NS0_5tupleIJSC_S6_EEENSE_IJSD_SD_EEES6_PlJNSA_6detail9not_fun_tINSI_10functional5actorINSK_9compositeIJNSK_27transparent_binary_operatorINSA_8equal_toIvEEEENSL_INSK_8argumentILj0EEEEENSK_5valueIiEEEEEEEEEEEE10hipError_tPvRmT3_T4_T5_T6_T7_T9_mT8_P12ihipStream_tbDpT10_ENKUlT_T0_E_clISt17integral_constantIbLb0EES1H_IbLb1EEEEDaS1D_S1E_EUlS1D_E_NS1_11comp_targetILNS1_3genE4ELNS1_11target_archE910ELNS1_3gpuE8ELNS1_3repE0EEENS1_30default_config_static_selectorELNS0_4arch9wavefront6targetE0EEEvT1_.num_agpr, 0
	.set _ZN7rocprim17ROCPRIM_400000_NS6detail17trampoline_kernelINS0_14default_configENS1_25partition_config_selectorILNS1_17partition_subalgoE6EiNS0_10empty_typeEbEEZZNS1_14partition_implILS5_6ELb0ES3_mN6thrust23THRUST_200600_302600_NS10device_ptrIiEEPS6_SD_NS0_5tupleIJSC_S6_EEENSE_IJSD_SD_EEES6_PlJNSA_6detail9not_fun_tINSI_10functional5actorINSK_9compositeIJNSK_27transparent_binary_operatorINSA_8equal_toIvEEEENSL_INSK_8argumentILj0EEEEENSK_5valueIiEEEEEEEEEEEE10hipError_tPvRmT3_T4_T5_T6_T7_T9_mT8_P12ihipStream_tbDpT10_ENKUlT_T0_E_clISt17integral_constantIbLb0EES1H_IbLb1EEEEDaS1D_S1E_EUlS1D_E_NS1_11comp_targetILNS1_3genE4ELNS1_11target_archE910ELNS1_3gpuE8ELNS1_3repE0EEENS1_30default_config_static_selectorELNS0_4arch9wavefront6targetE0EEEvT1_.numbered_sgpr, 0
	.set _ZN7rocprim17ROCPRIM_400000_NS6detail17trampoline_kernelINS0_14default_configENS1_25partition_config_selectorILNS1_17partition_subalgoE6EiNS0_10empty_typeEbEEZZNS1_14partition_implILS5_6ELb0ES3_mN6thrust23THRUST_200600_302600_NS10device_ptrIiEEPS6_SD_NS0_5tupleIJSC_S6_EEENSE_IJSD_SD_EEES6_PlJNSA_6detail9not_fun_tINSI_10functional5actorINSK_9compositeIJNSK_27transparent_binary_operatorINSA_8equal_toIvEEEENSL_INSK_8argumentILj0EEEEENSK_5valueIiEEEEEEEEEEEE10hipError_tPvRmT3_T4_T5_T6_T7_T9_mT8_P12ihipStream_tbDpT10_ENKUlT_T0_E_clISt17integral_constantIbLb0EES1H_IbLb1EEEEDaS1D_S1E_EUlS1D_E_NS1_11comp_targetILNS1_3genE4ELNS1_11target_archE910ELNS1_3gpuE8ELNS1_3repE0EEENS1_30default_config_static_selectorELNS0_4arch9wavefront6targetE0EEEvT1_.num_named_barrier, 0
	.set _ZN7rocprim17ROCPRIM_400000_NS6detail17trampoline_kernelINS0_14default_configENS1_25partition_config_selectorILNS1_17partition_subalgoE6EiNS0_10empty_typeEbEEZZNS1_14partition_implILS5_6ELb0ES3_mN6thrust23THRUST_200600_302600_NS10device_ptrIiEEPS6_SD_NS0_5tupleIJSC_S6_EEENSE_IJSD_SD_EEES6_PlJNSA_6detail9not_fun_tINSI_10functional5actorINSK_9compositeIJNSK_27transparent_binary_operatorINSA_8equal_toIvEEEENSL_INSK_8argumentILj0EEEEENSK_5valueIiEEEEEEEEEEEE10hipError_tPvRmT3_T4_T5_T6_T7_T9_mT8_P12ihipStream_tbDpT10_ENKUlT_T0_E_clISt17integral_constantIbLb0EES1H_IbLb1EEEEDaS1D_S1E_EUlS1D_E_NS1_11comp_targetILNS1_3genE4ELNS1_11target_archE910ELNS1_3gpuE8ELNS1_3repE0EEENS1_30default_config_static_selectorELNS0_4arch9wavefront6targetE0EEEvT1_.private_seg_size, 0
	.set _ZN7rocprim17ROCPRIM_400000_NS6detail17trampoline_kernelINS0_14default_configENS1_25partition_config_selectorILNS1_17partition_subalgoE6EiNS0_10empty_typeEbEEZZNS1_14partition_implILS5_6ELb0ES3_mN6thrust23THRUST_200600_302600_NS10device_ptrIiEEPS6_SD_NS0_5tupleIJSC_S6_EEENSE_IJSD_SD_EEES6_PlJNSA_6detail9not_fun_tINSI_10functional5actorINSK_9compositeIJNSK_27transparent_binary_operatorINSA_8equal_toIvEEEENSL_INSK_8argumentILj0EEEEENSK_5valueIiEEEEEEEEEEEE10hipError_tPvRmT3_T4_T5_T6_T7_T9_mT8_P12ihipStream_tbDpT10_ENKUlT_T0_E_clISt17integral_constantIbLb0EES1H_IbLb1EEEEDaS1D_S1E_EUlS1D_E_NS1_11comp_targetILNS1_3genE4ELNS1_11target_archE910ELNS1_3gpuE8ELNS1_3repE0EEENS1_30default_config_static_selectorELNS0_4arch9wavefront6targetE0EEEvT1_.uses_vcc, 0
	.set _ZN7rocprim17ROCPRIM_400000_NS6detail17trampoline_kernelINS0_14default_configENS1_25partition_config_selectorILNS1_17partition_subalgoE6EiNS0_10empty_typeEbEEZZNS1_14partition_implILS5_6ELb0ES3_mN6thrust23THRUST_200600_302600_NS10device_ptrIiEEPS6_SD_NS0_5tupleIJSC_S6_EEENSE_IJSD_SD_EEES6_PlJNSA_6detail9not_fun_tINSI_10functional5actorINSK_9compositeIJNSK_27transparent_binary_operatorINSA_8equal_toIvEEEENSL_INSK_8argumentILj0EEEEENSK_5valueIiEEEEEEEEEEEE10hipError_tPvRmT3_T4_T5_T6_T7_T9_mT8_P12ihipStream_tbDpT10_ENKUlT_T0_E_clISt17integral_constantIbLb0EES1H_IbLb1EEEEDaS1D_S1E_EUlS1D_E_NS1_11comp_targetILNS1_3genE4ELNS1_11target_archE910ELNS1_3gpuE8ELNS1_3repE0EEENS1_30default_config_static_selectorELNS0_4arch9wavefront6targetE0EEEvT1_.uses_flat_scratch, 0
	.set _ZN7rocprim17ROCPRIM_400000_NS6detail17trampoline_kernelINS0_14default_configENS1_25partition_config_selectorILNS1_17partition_subalgoE6EiNS0_10empty_typeEbEEZZNS1_14partition_implILS5_6ELb0ES3_mN6thrust23THRUST_200600_302600_NS10device_ptrIiEEPS6_SD_NS0_5tupleIJSC_S6_EEENSE_IJSD_SD_EEES6_PlJNSA_6detail9not_fun_tINSI_10functional5actorINSK_9compositeIJNSK_27transparent_binary_operatorINSA_8equal_toIvEEEENSL_INSK_8argumentILj0EEEEENSK_5valueIiEEEEEEEEEEEE10hipError_tPvRmT3_T4_T5_T6_T7_T9_mT8_P12ihipStream_tbDpT10_ENKUlT_T0_E_clISt17integral_constantIbLb0EES1H_IbLb1EEEEDaS1D_S1E_EUlS1D_E_NS1_11comp_targetILNS1_3genE4ELNS1_11target_archE910ELNS1_3gpuE8ELNS1_3repE0EEENS1_30default_config_static_selectorELNS0_4arch9wavefront6targetE0EEEvT1_.has_dyn_sized_stack, 0
	.set _ZN7rocprim17ROCPRIM_400000_NS6detail17trampoline_kernelINS0_14default_configENS1_25partition_config_selectorILNS1_17partition_subalgoE6EiNS0_10empty_typeEbEEZZNS1_14partition_implILS5_6ELb0ES3_mN6thrust23THRUST_200600_302600_NS10device_ptrIiEEPS6_SD_NS0_5tupleIJSC_S6_EEENSE_IJSD_SD_EEES6_PlJNSA_6detail9not_fun_tINSI_10functional5actorINSK_9compositeIJNSK_27transparent_binary_operatorINSA_8equal_toIvEEEENSL_INSK_8argumentILj0EEEEENSK_5valueIiEEEEEEEEEEEE10hipError_tPvRmT3_T4_T5_T6_T7_T9_mT8_P12ihipStream_tbDpT10_ENKUlT_T0_E_clISt17integral_constantIbLb0EES1H_IbLb1EEEEDaS1D_S1E_EUlS1D_E_NS1_11comp_targetILNS1_3genE4ELNS1_11target_archE910ELNS1_3gpuE8ELNS1_3repE0EEENS1_30default_config_static_selectorELNS0_4arch9wavefront6targetE0EEEvT1_.has_recursion, 0
	.set _ZN7rocprim17ROCPRIM_400000_NS6detail17trampoline_kernelINS0_14default_configENS1_25partition_config_selectorILNS1_17partition_subalgoE6EiNS0_10empty_typeEbEEZZNS1_14partition_implILS5_6ELb0ES3_mN6thrust23THRUST_200600_302600_NS10device_ptrIiEEPS6_SD_NS0_5tupleIJSC_S6_EEENSE_IJSD_SD_EEES6_PlJNSA_6detail9not_fun_tINSI_10functional5actorINSK_9compositeIJNSK_27transparent_binary_operatorINSA_8equal_toIvEEEENSL_INSK_8argumentILj0EEEEENSK_5valueIiEEEEEEEEEEEE10hipError_tPvRmT3_T4_T5_T6_T7_T9_mT8_P12ihipStream_tbDpT10_ENKUlT_T0_E_clISt17integral_constantIbLb0EES1H_IbLb1EEEEDaS1D_S1E_EUlS1D_E_NS1_11comp_targetILNS1_3genE4ELNS1_11target_archE910ELNS1_3gpuE8ELNS1_3repE0EEENS1_30default_config_static_selectorELNS0_4arch9wavefront6targetE0EEEvT1_.has_indirect_call, 0
	.section	.AMDGPU.csdata,"",@progbits
; Kernel info:
; codeLenInByte = 0
; TotalNumSgprs: 0
; NumVgprs: 0
; ScratchSize: 0
; MemoryBound: 0
; FloatMode: 240
; IeeeMode: 1
; LDSByteSize: 0 bytes/workgroup (compile time only)
; SGPRBlocks: 0
; VGPRBlocks: 0
; NumSGPRsForWavesPerEU: 1
; NumVGPRsForWavesPerEU: 1
; Occupancy: 16
; WaveLimiterHint : 0
; COMPUTE_PGM_RSRC2:SCRATCH_EN: 0
; COMPUTE_PGM_RSRC2:USER_SGPR: 2
; COMPUTE_PGM_RSRC2:TRAP_HANDLER: 0
; COMPUTE_PGM_RSRC2:TGID_X_EN: 1
; COMPUTE_PGM_RSRC2:TGID_Y_EN: 0
; COMPUTE_PGM_RSRC2:TGID_Z_EN: 0
; COMPUTE_PGM_RSRC2:TIDIG_COMP_CNT: 0
	.section	.text._ZN7rocprim17ROCPRIM_400000_NS6detail17trampoline_kernelINS0_14default_configENS1_25partition_config_selectorILNS1_17partition_subalgoE6EiNS0_10empty_typeEbEEZZNS1_14partition_implILS5_6ELb0ES3_mN6thrust23THRUST_200600_302600_NS10device_ptrIiEEPS6_SD_NS0_5tupleIJSC_S6_EEENSE_IJSD_SD_EEES6_PlJNSA_6detail9not_fun_tINSI_10functional5actorINSK_9compositeIJNSK_27transparent_binary_operatorINSA_8equal_toIvEEEENSL_INSK_8argumentILj0EEEEENSK_5valueIiEEEEEEEEEEEE10hipError_tPvRmT3_T4_T5_T6_T7_T9_mT8_P12ihipStream_tbDpT10_ENKUlT_T0_E_clISt17integral_constantIbLb0EES1H_IbLb1EEEEDaS1D_S1E_EUlS1D_E_NS1_11comp_targetILNS1_3genE3ELNS1_11target_archE908ELNS1_3gpuE7ELNS1_3repE0EEENS1_30default_config_static_selectorELNS0_4arch9wavefront6targetE0EEEvT1_,"axG",@progbits,_ZN7rocprim17ROCPRIM_400000_NS6detail17trampoline_kernelINS0_14default_configENS1_25partition_config_selectorILNS1_17partition_subalgoE6EiNS0_10empty_typeEbEEZZNS1_14partition_implILS5_6ELb0ES3_mN6thrust23THRUST_200600_302600_NS10device_ptrIiEEPS6_SD_NS0_5tupleIJSC_S6_EEENSE_IJSD_SD_EEES6_PlJNSA_6detail9not_fun_tINSI_10functional5actorINSK_9compositeIJNSK_27transparent_binary_operatorINSA_8equal_toIvEEEENSL_INSK_8argumentILj0EEEEENSK_5valueIiEEEEEEEEEEEE10hipError_tPvRmT3_T4_T5_T6_T7_T9_mT8_P12ihipStream_tbDpT10_ENKUlT_T0_E_clISt17integral_constantIbLb0EES1H_IbLb1EEEEDaS1D_S1E_EUlS1D_E_NS1_11comp_targetILNS1_3genE3ELNS1_11target_archE908ELNS1_3gpuE7ELNS1_3repE0EEENS1_30default_config_static_selectorELNS0_4arch9wavefront6targetE0EEEvT1_,comdat
	.protected	_ZN7rocprim17ROCPRIM_400000_NS6detail17trampoline_kernelINS0_14default_configENS1_25partition_config_selectorILNS1_17partition_subalgoE6EiNS0_10empty_typeEbEEZZNS1_14partition_implILS5_6ELb0ES3_mN6thrust23THRUST_200600_302600_NS10device_ptrIiEEPS6_SD_NS0_5tupleIJSC_S6_EEENSE_IJSD_SD_EEES6_PlJNSA_6detail9not_fun_tINSI_10functional5actorINSK_9compositeIJNSK_27transparent_binary_operatorINSA_8equal_toIvEEEENSL_INSK_8argumentILj0EEEEENSK_5valueIiEEEEEEEEEEEE10hipError_tPvRmT3_T4_T5_T6_T7_T9_mT8_P12ihipStream_tbDpT10_ENKUlT_T0_E_clISt17integral_constantIbLb0EES1H_IbLb1EEEEDaS1D_S1E_EUlS1D_E_NS1_11comp_targetILNS1_3genE3ELNS1_11target_archE908ELNS1_3gpuE7ELNS1_3repE0EEENS1_30default_config_static_selectorELNS0_4arch9wavefront6targetE0EEEvT1_ ; -- Begin function _ZN7rocprim17ROCPRIM_400000_NS6detail17trampoline_kernelINS0_14default_configENS1_25partition_config_selectorILNS1_17partition_subalgoE6EiNS0_10empty_typeEbEEZZNS1_14partition_implILS5_6ELb0ES3_mN6thrust23THRUST_200600_302600_NS10device_ptrIiEEPS6_SD_NS0_5tupleIJSC_S6_EEENSE_IJSD_SD_EEES6_PlJNSA_6detail9not_fun_tINSI_10functional5actorINSK_9compositeIJNSK_27transparent_binary_operatorINSA_8equal_toIvEEEENSL_INSK_8argumentILj0EEEEENSK_5valueIiEEEEEEEEEEEE10hipError_tPvRmT3_T4_T5_T6_T7_T9_mT8_P12ihipStream_tbDpT10_ENKUlT_T0_E_clISt17integral_constantIbLb0EES1H_IbLb1EEEEDaS1D_S1E_EUlS1D_E_NS1_11comp_targetILNS1_3genE3ELNS1_11target_archE908ELNS1_3gpuE7ELNS1_3repE0EEENS1_30default_config_static_selectorELNS0_4arch9wavefront6targetE0EEEvT1_
	.globl	_ZN7rocprim17ROCPRIM_400000_NS6detail17trampoline_kernelINS0_14default_configENS1_25partition_config_selectorILNS1_17partition_subalgoE6EiNS0_10empty_typeEbEEZZNS1_14partition_implILS5_6ELb0ES3_mN6thrust23THRUST_200600_302600_NS10device_ptrIiEEPS6_SD_NS0_5tupleIJSC_S6_EEENSE_IJSD_SD_EEES6_PlJNSA_6detail9not_fun_tINSI_10functional5actorINSK_9compositeIJNSK_27transparent_binary_operatorINSA_8equal_toIvEEEENSL_INSK_8argumentILj0EEEEENSK_5valueIiEEEEEEEEEEEE10hipError_tPvRmT3_T4_T5_T6_T7_T9_mT8_P12ihipStream_tbDpT10_ENKUlT_T0_E_clISt17integral_constantIbLb0EES1H_IbLb1EEEEDaS1D_S1E_EUlS1D_E_NS1_11comp_targetILNS1_3genE3ELNS1_11target_archE908ELNS1_3gpuE7ELNS1_3repE0EEENS1_30default_config_static_selectorELNS0_4arch9wavefront6targetE0EEEvT1_
	.p2align	8
	.type	_ZN7rocprim17ROCPRIM_400000_NS6detail17trampoline_kernelINS0_14default_configENS1_25partition_config_selectorILNS1_17partition_subalgoE6EiNS0_10empty_typeEbEEZZNS1_14partition_implILS5_6ELb0ES3_mN6thrust23THRUST_200600_302600_NS10device_ptrIiEEPS6_SD_NS0_5tupleIJSC_S6_EEENSE_IJSD_SD_EEES6_PlJNSA_6detail9not_fun_tINSI_10functional5actorINSK_9compositeIJNSK_27transparent_binary_operatorINSA_8equal_toIvEEEENSL_INSK_8argumentILj0EEEEENSK_5valueIiEEEEEEEEEEEE10hipError_tPvRmT3_T4_T5_T6_T7_T9_mT8_P12ihipStream_tbDpT10_ENKUlT_T0_E_clISt17integral_constantIbLb0EES1H_IbLb1EEEEDaS1D_S1E_EUlS1D_E_NS1_11comp_targetILNS1_3genE3ELNS1_11target_archE908ELNS1_3gpuE7ELNS1_3repE0EEENS1_30default_config_static_selectorELNS0_4arch9wavefront6targetE0EEEvT1_,@function
_ZN7rocprim17ROCPRIM_400000_NS6detail17trampoline_kernelINS0_14default_configENS1_25partition_config_selectorILNS1_17partition_subalgoE6EiNS0_10empty_typeEbEEZZNS1_14partition_implILS5_6ELb0ES3_mN6thrust23THRUST_200600_302600_NS10device_ptrIiEEPS6_SD_NS0_5tupleIJSC_S6_EEENSE_IJSD_SD_EEES6_PlJNSA_6detail9not_fun_tINSI_10functional5actorINSK_9compositeIJNSK_27transparent_binary_operatorINSA_8equal_toIvEEEENSL_INSK_8argumentILj0EEEEENSK_5valueIiEEEEEEEEEEEE10hipError_tPvRmT3_T4_T5_T6_T7_T9_mT8_P12ihipStream_tbDpT10_ENKUlT_T0_E_clISt17integral_constantIbLb0EES1H_IbLb1EEEEDaS1D_S1E_EUlS1D_E_NS1_11comp_targetILNS1_3genE3ELNS1_11target_archE908ELNS1_3gpuE7ELNS1_3repE0EEENS1_30default_config_static_selectorELNS0_4arch9wavefront6targetE0EEEvT1_: ; @_ZN7rocprim17ROCPRIM_400000_NS6detail17trampoline_kernelINS0_14default_configENS1_25partition_config_selectorILNS1_17partition_subalgoE6EiNS0_10empty_typeEbEEZZNS1_14partition_implILS5_6ELb0ES3_mN6thrust23THRUST_200600_302600_NS10device_ptrIiEEPS6_SD_NS0_5tupleIJSC_S6_EEENSE_IJSD_SD_EEES6_PlJNSA_6detail9not_fun_tINSI_10functional5actorINSK_9compositeIJNSK_27transparent_binary_operatorINSA_8equal_toIvEEEENSL_INSK_8argumentILj0EEEEENSK_5valueIiEEEEEEEEEEEE10hipError_tPvRmT3_T4_T5_T6_T7_T9_mT8_P12ihipStream_tbDpT10_ENKUlT_T0_E_clISt17integral_constantIbLb0EES1H_IbLb1EEEEDaS1D_S1E_EUlS1D_E_NS1_11comp_targetILNS1_3genE3ELNS1_11target_archE908ELNS1_3gpuE7ELNS1_3repE0EEENS1_30default_config_static_selectorELNS0_4arch9wavefront6targetE0EEEvT1_
; %bb.0:
	.section	.rodata,"a",@progbits
	.p2align	6, 0x0
	.amdhsa_kernel _ZN7rocprim17ROCPRIM_400000_NS6detail17trampoline_kernelINS0_14default_configENS1_25partition_config_selectorILNS1_17partition_subalgoE6EiNS0_10empty_typeEbEEZZNS1_14partition_implILS5_6ELb0ES3_mN6thrust23THRUST_200600_302600_NS10device_ptrIiEEPS6_SD_NS0_5tupleIJSC_S6_EEENSE_IJSD_SD_EEES6_PlJNSA_6detail9not_fun_tINSI_10functional5actorINSK_9compositeIJNSK_27transparent_binary_operatorINSA_8equal_toIvEEEENSL_INSK_8argumentILj0EEEEENSK_5valueIiEEEEEEEEEEEE10hipError_tPvRmT3_T4_T5_T6_T7_T9_mT8_P12ihipStream_tbDpT10_ENKUlT_T0_E_clISt17integral_constantIbLb0EES1H_IbLb1EEEEDaS1D_S1E_EUlS1D_E_NS1_11comp_targetILNS1_3genE3ELNS1_11target_archE908ELNS1_3gpuE7ELNS1_3repE0EEENS1_30default_config_static_selectorELNS0_4arch9wavefront6targetE0EEEvT1_
		.amdhsa_group_segment_fixed_size 0
		.amdhsa_private_segment_fixed_size 0
		.amdhsa_kernarg_size 128
		.amdhsa_user_sgpr_count 2
		.amdhsa_user_sgpr_dispatch_ptr 0
		.amdhsa_user_sgpr_queue_ptr 0
		.amdhsa_user_sgpr_kernarg_segment_ptr 1
		.amdhsa_user_sgpr_dispatch_id 0
		.amdhsa_user_sgpr_private_segment_size 0
		.amdhsa_wavefront_size32 1
		.amdhsa_uses_dynamic_stack 0
		.amdhsa_enable_private_segment 0
		.amdhsa_system_sgpr_workgroup_id_x 1
		.amdhsa_system_sgpr_workgroup_id_y 0
		.amdhsa_system_sgpr_workgroup_id_z 0
		.amdhsa_system_sgpr_workgroup_info 0
		.amdhsa_system_vgpr_workitem_id 0
		.amdhsa_next_free_vgpr 1
		.amdhsa_next_free_sgpr 1
		.amdhsa_reserve_vcc 0
		.amdhsa_float_round_mode_32 0
		.amdhsa_float_round_mode_16_64 0
		.amdhsa_float_denorm_mode_32 3
		.amdhsa_float_denorm_mode_16_64 3
		.amdhsa_fp16_overflow 0
		.amdhsa_workgroup_processor_mode 1
		.amdhsa_memory_ordered 1
		.amdhsa_forward_progress 1
		.amdhsa_inst_pref_size 0
		.amdhsa_round_robin_scheduling 0
		.amdhsa_exception_fp_ieee_invalid_op 0
		.amdhsa_exception_fp_denorm_src 0
		.amdhsa_exception_fp_ieee_div_zero 0
		.amdhsa_exception_fp_ieee_overflow 0
		.amdhsa_exception_fp_ieee_underflow 0
		.amdhsa_exception_fp_ieee_inexact 0
		.amdhsa_exception_int_div_zero 0
	.end_amdhsa_kernel
	.section	.text._ZN7rocprim17ROCPRIM_400000_NS6detail17trampoline_kernelINS0_14default_configENS1_25partition_config_selectorILNS1_17partition_subalgoE6EiNS0_10empty_typeEbEEZZNS1_14partition_implILS5_6ELb0ES3_mN6thrust23THRUST_200600_302600_NS10device_ptrIiEEPS6_SD_NS0_5tupleIJSC_S6_EEENSE_IJSD_SD_EEES6_PlJNSA_6detail9not_fun_tINSI_10functional5actorINSK_9compositeIJNSK_27transparent_binary_operatorINSA_8equal_toIvEEEENSL_INSK_8argumentILj0EEEEENSK_5valueIiEEEEEEEEEEEE10hipError_tPvRmT3_T4_T5_T6_T7_T9_mT8_P12ihipStream_tbDpT10_ENKUlT_T0_E_clISt17integral_constantIbLb0EES1H_IbLb1EEEEDaS1D_S1E_EUlS1D_E_NS1_11comp_targetILNS1_3genE3ELNS1_11target_archE908ELNS1_3gpuE7ELNS1_3repE0EEENS1_30default_config_static_selectorELNS0_4arch9wavefront6targetE0EEEvT1_,"axG",@progbits,_ZN7rocprim17ROCPRIM_400000_NS6detail17trampoline_kernelINS0_14default_configENS1_25partition_config_selectorILNS1_17partition_subalgoE6EiNS0_10empty_typeEbEEZZNS1_14partition_implILS5_6ELb0ES3_mN6thrust23THRUST_200600_302600_NS10device_ptrIiEEPS6_SD_NS0_5tupleIJSC_S6_EEENSE_IJSD_SD_EEES6_PlJNSA_6detail9not_fun_tINSI_10functional5actorINSK_9compositeIJNSK_27transparent_binary_operatorINSA_8equal_toIvEEEENSL_INSK_8argumentILj0EEEEENSK_5valueIiEEEEEEEEEEEE10hipError_tPvRmT3_T4_T5_T6_T7_T9_mT8_P12ihipStream_tbDpT10_ENKUlT_T0_E_clISt17integral_constantIbLb0EES1H_IbLb1EEEEDaS1D_S1E_EUlS1D_E_NS1_11comp_targetILNS1_3genE3ELNS1_11target_archE908ELNS1_3gpuE7ELNS1_3repE0EEENS1_30default_config_static_selectorELNS0_4arch9wavefront6targetE0EEEvT1_,comdat
.Lfunc_end2872:
	.size	_ZN7rocprim17ROCPRIM_400000_NS6detail17trampoline_kernelINS0_14default_configENS1_25partition_config_selectorILNS1_17partition_subalgoE6EiNS0_10empty_typeEbEEZZNS1_14partition_implILS5_6ELb0ES3_mN6thrust23THRUST_200600_302600_NS10device_ptrIiEEPS6_SD_NS0_5tupleIJSC_S6_EEENSE_IJSD_SD_EEES6_PlJNSA_6detail9not_fun_tINSI_10functional5actorINSK_9compositeIJNSK_27transparent_binary_operatorINSA_8equal_toIvEEEENSL_INSK_8argumentILj0EEEEENSK_5valueIiEEEEEEEEEEEE10hipError_tPvRmT3_T4_T5_T6_T7_T9_mT8_P12ihipStream_tbDpT10_ENKUlT_T0_E_clISt17integral_constantIbLb0EES1H_IbLb1EEEEDaS1D_S1E_EUlS1D_E_NS1_11comp_targetILNS1_3genE3ELNS1_11target_archE908ELNS1_3gpuE7ELNS1_3repE0EEENS1_30default_config_static_selectorELNS0_4arch9wavefront6targetE0EEEvT1_, .Lfunc_end2872-_ZN7rocprim17ROCPRIM_400000_NS6detail17trampoline_kernelINS0_14default_configENS1_25partition_config_selectorILNS1_17partition_subalgoE6EiNS0_10empty_typeEbEEZZNS1_14partition_implILS5_6ELb0ES3_mN6thrust23THRUST_200600_302600_NS10device_ptrIiEEPS6_SD_NS0_5tupleIJSC_S6_EEENSE_IJSD_SD_EEES6_PlJNSA_6detail9not_fun_tINSI_10functional5actorINSK_9compositeIJNSK_27transparent_binary_operatorINSA_8equal_toIvEEEENSL_INSK_8argumentILj0EEEEENSK_5valueIiEEEEEEEEEEEE10hipError_tPvRmT3_T4_T5_T6_T7_T9_mT8_P12ihipStream_tbDpT10_ENKUlT_T0_E_clISt17integral_constantIbLb0EES1H_IbLb1EEEEDaS1D_S1E_EUlS1D_E_NS1_11comp_targetILNS1_3genE3ELNS1_11target_archE908ELNS1_3gpuE7ELNS1_3repE0EEENS1_30default_config_static_selectorELNS0_4arch9wavefront6targetE0EEEvT1_
                                        ; -- End function
	.set _ZN7rocprim17ROCPRIM_400000_NS6detail17trampoline_kernelINS0_14default_configENS1_25partition_config_selectorILNS1_17partition_subalgoE6EiNS0_10empty_typeEbEEZZNS1_14partition_implILS5_6ELb0ES3_mN6thrust23THRUST_200600_302600_NS10device_ptrIiEEPS6_SD_NS0_5tupleIJSC_S6_EEENSE_IJSD_SD_EEES6_PlJNSA_6detail9not_fun_tINSI_10functional5actorINSK_9compositeIJNSK_27transparent_binary_operatorINSA_8equal_toIvEEEENSL_INSK_8argumentILj0EEEEENSK_5valueIiEEEEEEEEEEEE10hipError_tPvRmT3_T4_T5_T6_T7_T9_mT8_P12ihipStream_tbDpT10_ENKUlT_T0_E_clISt17integral_constantIbLb0EES1H_IbLb1EEEEDaS1D_S1E_EUlS1D_E_NS1_11comp_targetILNS1_3genE3ELNS1_11target_archE908ELNS1_3gpuE7ELNS1_3repE0EEENS1_30default_config_static_selectorELNS0_4arch9wavefront6targetE0EEEvT1_.num_vgpr, 0
	.set _ZN7rocprim17ROCPRIM_400000_NS6detail17trampoline_kernelINS0_14default_configENS1_25partition_config_selectorILNS1_17partition_subalgoE6EiNS0_10empty_typeEbEEZZNS1_14partition_implILS5_6ELb0ES3_mN6thrust23THRUST_200600_302600_NS10device_ptrIiEEPS6_SD_NS0_5tupleIJSC_S6_EEENSE_IJSD_SD_EEES6_PlJNSA_6detail9not_fun_tINSI_10functional5actorINSK_9compositeIJNSK_27transparent_binary_operatorINSA_8equal_toIvEEEENSL_INSK_8argumentILj0EEEEENSK_5valueIiEEEEEEEEEEEE10hipError_tPvRmT3_T4_T5_T6_T7_T9_mT8_P12ihipStream_tbDpT10_ENKUlT_T0_E_clISt17integral_constantIbLb0EES1H_IbLb1EEEEDaS1D_S1E_EUlS1D_E_NS1_11comp_targetILNS1_3genE3ELNS1_11target_archE908ELNS1_3gpuE7ELNS1_3repE0EEENS1_30default_config_static_selectorELNS0_4arch9wavefront6targetE0EEEvT1_.num_agpr, 0
	.set _ZN7rocprim17ROCPRIM_400000_NS6detail17trampoline_kernelINS0_14default_configENS1_25partition_config_selectorILNS1_17partition_subalgoE6EiNS0_10empty_typeEbEEZZNS1_14partition_implILS5_6ELb0ES3_mN6thrust23THRUST_200600_302600_NS10device_ptrIiEEPS6_SD_NS0_5tupleIJSC_S6_EEENSE_IJSD_SD_EEES6_PlJNSA_6detail9not_fun_tINSI_10functional5actorINSK_9compositeIJNSK_27transparent_binary_operatorINSA_8equal_toIvEEEENSL_INSK_8argumentILj0EEEEENSK_5valueIiEEEEEEEEEEEE10hipError_tPvRmT3_T4_T5_T6_T7_T9_mT8_P12ihipStream_tbDpT10_ENKUlT_T0_E_clISt17integral_constantIbLb0EES1H_IbLb1EEEEDaS1D_S1E_EUlS1D_E_NS1_11comp_targetILNS1_3genE3ELNS1_11target_archE908ELNS1_3gpuE7ELNS1_3repE0EEENS1_30default_config_static_selectorELNS0_4arch9wavefront6targetE0EEEvT1_.numbered_sgpr, 0
	.set _ZN7rocprim17ROCPRIM_400000_NS6detail17trampoline_kernelINS0_14default_configENS1_25partition_config_selectorILNS1_17partition_subalgoE6EiNS0_10empty_typeEbEEZZNS1_14partition_implILS5_6ELb0ES3_mN6thrust23THRUST_200600_302600_NS10device_ptrIiEEPS6_SD_NS0_5tupleIJSC_S6_EEENSE_IJSD_SD_EEES6_PlJNSA_6detail9not_fun_tINSI_10functional5actorINSK_9compositeIJNSK_27transparent_binary_operatorINSA_8equal_toIvEEEENSL_INSK_8argumentILj0EEEEENSK_5valueIiEEEEEEEEEEEE10hipError_tPvRmT3_T4_T5_T6_T7_T9_mT8_P12ihipStream_tbDpT10_ENKUlT_T0_E_clISt17integral_constantIbLb0EES1H_IbLb1EEEEDaS1D_S1E_EUlS1D_E_NS1_11comp_targetILNS1_3genE3ELNS1_11target_archE908ELNS1_3gpuE7ELNS1_3repE0EEENS1_30default_config_static_selectorELNS0_4arch9wavefront6targetE0EEEvT1_.num_named_barrier, 0
	.set _ZN7rocprim17ROCPRIM_400000_NS6detail17trampoline_kernelINS0_14default_configENS1_25partition_config_selectorILNS1_17partition_subalgoE6EiNS0_10empty_typeEbEEZZNS1_14partition_implILS5_6ELb0ES3_mN6thrust23THRUST_200600_302600_NS10device_ptrIiEEPS6_SD_NS0_5tupleIJSC_S6_EEENSE_IJSD_SD_EEES6_PlJNSA_6detail9not_fun_tINSI_10functional5actorINSK_9compositeIJNSK_27transparent_binary_operatorINSA_8equal_toIvEEEENSL_INSK_8argumentILj0EEEEENSK_5valueIiEEEEEEEEEEEE10hipError_tPvRmT3_T4_T5_T6_T7_T9_mT8_P12ihipStream_tbDpT10_ENKUlT_T0_E_clISt17integral_constantIbLb0EES1H_IbLb1EEEEDaS1D_S1E_EUlS1D_E_NS1_11comp_targetILNS1_3genE3ELNS1_11target_archE908ELNS1_3gpuE7ELNS1_3repE0EEENS1_30default_config_static_selectorELNS0_4arch9wavefront6targetE0EEEvT1_.private_seg_size, 0
	.set _ZN7rocprim17ROCPRIM_400000_NS6detail17trampoline_kernelINS0_14default_configENS1_25partition_config_selectorILNS1_17partition_subalgoE6EiNS0_10empty_typeEbEEZZNS1_14partition_implILS5_6ELb0ES3_mN6thrust23THRUST_200600_302600_NS10device_ptrIiEEPS6_SD_NS0_5tupleIJSC_S6_EEENSE_IJSD_SD_EEES6_PlJNSA_6detail9not_fun_tINSI_10functional5actorINSK_9compositeIJNSK_27transparent_binary_operatorINSA_8equal_toIvEEEENSL_INSK_8argumentILj0EEEEENSK_5valueIiEEEEEEEEEEEE10hipError_tPvRmT3_T4_T5_T6_T7_T9_mT8_P12ihipStream_tbDpT10_ENKUlT_T0_E_clISt17integral_constantIbLb0EES1H_IbLb1EEEEDaS1D_S1E_EUlS1D_E_NS1_11comp_targetILNS1_3genE3ELNS1_11target_archE908ELNS1_3gpuE7ELNS1_3repE0EEENS1_30default_config_static_selectorELNS0_4arch9wavefront6targetE0EEEvT1_.uses_vcc, 0
	.set _ZN7rocprim17ROCPRIM_400000_NS6detail17trampoline_kernelINS0_14default_configENS1_25partition_config_selectorILNS1_17partition_subalgoE6EiNS0_10empty_typeEbEEZZNS1_14partition_implILS5_6ELb0ES3_mN6thrust23THRUST_200600_302600_NS10device_ptrIiEEPS6_SD_NS0_5tupleIJSC_S6_EEENSE_IJSD_SD_EEES6_PlJNSA_6detail9not_fun_tINSI_10functional5actorINSK_9compositeIJNSK_27transparent_binary_operatorINSA_8equal_toIvEEEENSL_INSK_8argumentILj0EEEEENSK_5valueIiEEEEEEEEEEEE10hipError_tPvRmT3_T4_T5_T6_T7_T9_mT8_P12ihipStream_tbDpT10_ENKUlT_T0_E_clISt17integral_constantIbLb0EES1H_IbLb1EEEEDaS1D_S1E_EUlS1D_E_NS1_11comp_targetILNS1_3genE3ELNS1_11target_archE908ELNS1_3gpuE7ELNS1_3repE0EEENS1_30default_config_static_selectorELNS0_4arch9wavefront6targetE0EEEvT1_.uses_flat_scratch, 0
	.set _ZN7rocprim17ROCPRIM_400000_NS6detail17trampoline_kernelINS0_14default_configENS1_25partition_config_selectorILNS1_17partition_subalgoE6EiNS0_10empty_typeEbEEZZNS1_14partition_implILS5_6ELb0ES3_mN6thrust23THRUST_200600_302600_NS10device_ptrIiEEPS6_SD_NS0_5tupleIJSC_S6_EEENSE_IJSD_SD_EEES6_PlJNSA_6detail9not_fun_tINSI_10functional5actorINSK_9compositeIJNSK_27transparent_binary_operatorINSA_8equal_toIvEEEENSL_INSK_8argumentILj0EEEEENSK_5valueIiEEEEEEEEEEEE10hipError_tPvRmT3_T4_T5_T6_T7_T9_mT8_P12ihipStream_tbDpT10_ENKUlT_T0_E_clISt17integral_constantIbLb0EES1H_IbLb1EEEEDaS1D_S1E_EUlS1D_E_NS1_11comp_targetILNS1_3genE3ELNS1_11target_archE908ELNS1_3gpuE7ELNS1_3repE0EEENS1_30default_config_static_selectorELNS0_4arch9wavefront6targetE0EEEvT1_.has_dyn_sized_stack, 0
	.set _ZN7rocprim17ROCPRIM_400000_NS6detail17trampoline_kernelINS0_14default_configENS1_25partition_config_selectorILNS1_17partition_subalgoE6EiNS0_10empty_typeEbEEZZNS1_14partition_implILS5_6ELb0ES3_mN6thrust23THRUST_200600_302600_NS10device_ptrIiEEPS6_SD_NS0_5tupleIJSC_S6_EEENSE_IJSD_SD_EEES6_PlJNSA_6detail9not_fun_tINSI_10functional5actorINSK_9compositeIJNSK_27transparent_binary_operatorINSA_8equal_toIvEEEENSL_INSK_8argumentILj0EEEEENSK_5valueIiEEEEEEEEEEEE10hipError_tPvRmT3_T4_T5_T6_T7_T9_mT8_P12ihipStream_tbDpT10_ENKUlT_T0_E_clISt17integral_constantIbLb0EES1H_IbLb1EEEEDaS1D_S1E_EUlS1D_E_NS1_11comp_targetILNS1_3genE3ELNS1_11target_archE908ELNS1_3gpuE7ELNS1_3repE0EEENS1_30default_config_static_selectorELNS0_4arch9wavefront6targetE0EEEvT1_.has_recursion, 0
	.set _ZN7rocprim17ROCPRIM_400000_NS6detail17trampoline_kernelINS0_14default_configENS1_25partition_config_selectorILNS1_17partition_subalgoE6EiNS0_10empty_typeEbEEZZNS1_14partition_implILS5_6ELb0ES3_mN6thrust23THRUST_200600_302600_NS10device_ptrIiEEPS6_SD_NS0_5tupleIJSC_S6_EEENSE_IJSD_SD_EEES6_PlJNSA_6detail9not_fun_tINSI_10functional5actorINSK_9compositeIJNSK_27transparent_binary_operatorINSA_8equal_toIvEEEENSL_INSK_8argumentILj0EEEEENSK_5valueIiEEEEEEEEEEEE10hipError_tPvRmT3_T4_T5_T6_T7_T9_mT8_P12ihipStream_tbDpT10_ENKUlT_T0_E_clISt17integral_constantIbLb0EES1H_IbLb1EEEEDaS1D_S1E_EUlS1D_E_NS1_11comp_targetILNS1_3genE3ELNS1_11target_archE908ELNS1_3gpuE7ELNS1_3repE0EEENS1_30default_config_static_selectorELNS0_4arch9wavefront6targetE0EEEvT1_.has_indirect_call, 0
	.section	.AMDGPU.csdata,"",@progbits
; Kernel info:
; codeLenInByte = 0
; TotalNumSgprs: 0
; NumVgprs: 0
; ScratchSize: 0
; MemoryBound: 0
; FloatMode: 240
; IeeeMode: 1
; LDSByteSize: 0 bytes/workgroup (compile time only)
; SGPRBlocks: 0
; VGPRBlocks: 0
; NumSGPRsForWavesPerEU: 1
; NumVGPRsForWavesPerEU: 1
; Occupancy: 16
; WaveLimiterHint : 0
; COMPUTE_PGM_RSRC2:SCRATCH_EN: 0
; COMPUTE_PGM_RSRC2:USER_SGPR: 2
; COMPUTE_PGM_RSRC2:TRAP_HANDLER: 0
; COMPUTE_PGM_RSRC2:TGID_X_EN: 1
; COMPUTE_PGM_RSRC2:TGID_Y_EN: 0
; COMPUTE_PGM_RSRC2:TGID_Z_EN: 0
; COMPUTE_PGM_RSRC2:TIDIG_COMP_CNT: 0
	.section	.text._ZN7rocprim17ROCPRIM_400000_NS6detail17trampoline_kernelINS0_14default_configENS1_25partition_config_selectorILNS1_17partition_subalgoE6EiNS0_10empty_typeEbEEZZNS1_14partition_implILS5_6ELb0ES3_mN6thrust23THRUST_200600_302600_NS10device_ptrIiEEPS6_SD_NS0_5tupleIJSC_S6_EEENSE_IJSD_SD_EEES6_PlJNSA_6detail9not_fun_tINSI_10functional5actorINSK_9compositeIJNSK_27transparent_binary_operatorINSA_8equal_toIvEEEENSL_INSK_8argumentILj0EEEEENSK_5valueIiEEEEEEEEEEEE10hipError_tPvRmT3_T4_T5_T6_T7_T9_mT8_P12ihipStream_tbDpT10_ENKUlT_T0_E_clISt17integral_constantIbLb0EES1H_IbLb1EEEEDaS1D_S1E_EUlS1D_E_NS1_11comp_targetILNS1_3genE2ELNS1_11target_archE906ELNS1_3gpuE6ELNS1_3repE0EEENS1_30default_config_static_selectorELNS0_4arch9wavefront6targetE0EEEvT1_,"axG",@progbits,_ZN7rocprim17ROCPRIM_400000_NS6detail17trampoline_kernelINS0_14default_configENS1_25partition_config_selectorILNS1_17partition_subalgoE6EiNS0_10empty_typeEbEEZZNS1_14partition_implILS5_6ELb0ES3_mN6thrust23THRUST_200600_302600_NS10device_ptrIiEEPS6_SD_NS0_5tupleIJSC_S6_EEENSE_IJSD_SD_EEES6_PlJNSA_6detail9not_fun_tINSI_10functional5actorINSK_9compositeIJNSK_27transparent_binary_operatorINSA_8equal_toIvEEEENSL_INSK_8argumentILj0EEEEENSK_5valueIiEEEEEEEEEEEE10hipError_tPvRmT3_T4_T5_T6_T7_T9_mT8_P12ihipStream_tbDpT10_ENKUlT_T0_E_clISt17integral_constantIbLb0EES1H_IbLb1EEEEDaS1D_S1E_EUlS1D_E_NS1_11comp_targetILNS1_3genE2ELNS1_11target_archE906ELNS1_3gpuE6ELNS1_3repE0EEENS1_30default_config_static_selectorELNS0_4arch9wavefront6targetE0EEEvT1_,comdat
	.protected	_ZN7rocprim17ROCPRIM_400000_NS6detail17trampoline_kernelINS0_14default_configENS1_25partition_config_selectorILNS1_17partition_subalgoE6EiNS0_10empty_typeEbEEZZNS1_14partition_implILS5_6ELb0ES3_mN6thrust23THRUST_200600_302600_NS10device_ptrIiEEPS6_SD_NS0_5tupleIJSC_S6_EEENSE_IJSD_SD_EEES6_PlJNSA_6detail9not_fun_tINSI_10functional5actorINSK_9compositeIJNSK_27transparent_binary_operatorINSA_8equal_toIvEEEENSL_INSK_8argumentILj0EEEEENSK_5valueIiEEEEEEEEEEEE10hipError_tPvRmT3_T4_T5_T6_T7_T9_mT8_P12ihipStream_tbDpT10_ENKUlT_T0_E_clISt17integral_constantIbLb0EES1H_IbLb1EEEEDaS1D_S1E_EUlS1D_E_NS1_11comp_targetILNS1_3genE2ELNS1_11target_archE906ELNS1_3gpuE6ELNS1_3repE0EEENS1_30default_config_static_selectorELNS0_4arch9wavefront6targetE0EEEvT1_ ; -- Begin function _ZN7rocprim17ROCPRIM_400000_NS6detail17trampoline_kernelINS0_14default_configENS1_25partition_config_selectorILNS1_17partition_subalgoE6EiNS0_10empty_typeEbEEZZNS1_14partition_implILS5_6ELb0ES3_mN6thrust23THRUST_200600_302600_NS10device_ptrIiEEPS6_SD_NS0_5tupleIJSC_S6_EEENSE_IJSD_SD_EEES6_PlJNSA_6detail9not_fun_tINSI_10functional5actorINSK_9compositeIJNSK_27transparent_binary_operatorINSA_8equal_toIvEEEENSL_INSK_8argumentILj0EEEEENSK_5valueIiEEEEEEEEEEEE10hipError_tPvRmT3_T4_T5_T6_T7_T9_mT8_P12ihipStream_tbDpT10_ENKUlT_T0_E_clISt17integral_constantIbLb0EES1H_IbLb1EEEEDaS1D_S1E_EUlS1D_E_NS1_11comp_targetILNS1_3genE2ELNS1_11target_archE906ELNS1_3gpuE6ELNS1_3repE0EEENS1_30default_config_static_selectorELNS0_4arch9wavefront6targetE0EEEvT1_
	.globl	_ZN7rocprim17ROCPRIM_400000_NS6detail17trampoline_kernelINS0_14default_configENS1_25partition_config_selectorILNS1_17partition_subalgoE6EiNS0_10empty_typeEbEEZZNS1_14partition_implILS5_6ELb0ES3_mN6thrust23THRUST_200600_302600_NS10device_ptrIiEEPS6_SD_NS0_5tupleIJSC_S6_EEENSE_IJSD_SD_EEES6_PlJNSA_6detail9not_fun_tINSI_10functional5actorINSK_9compositeIJNSK_27transparent_binary_operatorINSA_8equal_toIvEEEENSL_INSK_8argumentILj0EEEEENSK_5valueIiEEEEEEEEEEEE10hipError_tPvRmT3_T4_T5_T6_T7_T9_mT8_P12ihipStream_tbDpT10_ENKUlT_T0_E_clISt17integral_constantIbLb0EES1H_IbLb1EEEEDaS1D_S1E_EUlS1D_E_NS1_11comp_targetILNS1_3genE2ELNS1_11target_archE906ELNS1_3gpuE6ELNS1_3repE0EEENS1_30default_config_static_selectorELNS0_4arch9wavefront6targetE0EEEvT1_
	.p2align	8
	.type	_ZN7rocprim17ROCPRIM_400000_NS6detail17trampoline_kernelINS0_14default_configENS1_25partition_config_selectorILNS1_17partition_subalgoE6EiNS0_10empty_typeEbEEZZNS1_14partition_implILS5_6ELb0ES3_mN6thrust23THRUST_200600_302600_NS10device_ptrIiEEPS6_SD_NS0_5tupleIJSC_S6_EEENSE_IJSD_SD_EEES6_PlJNSA_6detail9not_fun_tINSI_10functional5actorINSK_9compositeIJNSK_27transparent_binary_operatorINSA_8equal_toIvEEEENSL_INSK_8argumentILj0EEEEENSK_5valueIiEEEEEEEEEEEE10hipError_tPvRmT3_T4_T5_T6_T7_T9_mT8_P12ihipStream_tbDpT10_ENKUlT_T0_E_clISt17integral_constantIbLb0EES1H_IbLb1EEEEDaS1D_S1E_EUlS1D_E_NS1_11comp_targetILNS1_3genE2ELNS1_11target_archE906ELNS1_3gpuE6ELNS1_3repE0EEENS1_30default_config_static_selectorELNS0_4arch9wavefront6targetE0EEEvT1_,@function
_ZN7rocprim17ROCPRIM_400000_NS6detail17trampoline_kernelINS0_14default_configENS1_25partition_config_selectorILNS1_17partition_subalgoE6EiNS0_10empty_typeEbEEZZNS1_14partition_implILS5_6ELb0ES3_mN6thrust23THRUST_200600_302600_NS10device_ptrIiEEPS6_SD_NS0_5tupleIJSC_S6_EEENSE_IJSD_SD_EEES6_PlJNSA_6detail9not_fun_tINSI_10functional5actorINSK_9compositeIJNSK_27transparent_binary_operatorINSA_8equal_toIvEEEENSL_INSK_8argumentILj0EEEEENSK_5valueIiEEEEEEEEEEEE10hipError_tPvRmT3_T4_T5_T6_T7_T9_mT8_P12ihipStream_tbDpT10_ENKUlT_T0_E_clISt17integral_constantIbLb0EES1H_IbLb1EEEEDaS1D_S1E_EUlS1D_E_NS1_11comp_targetILNS1_3genE2ELNS1_11target_archE906ELNS1_3gpuE6ELNS1_3repE0EEENS1_30default_config_static_selectorELNS0_4arch9wavefront6targetE0EEEvT1_: ; @_ZN7rocprim17ROCPRIM_400000_NS6detail17trampoline_kernelINS0_14default_configENS1_25partition_config_selectorILNS1_17partition_subalgoE6EiNS0_10empty_typeEbEEZZNS1_14partition_implILS5_6ELb0ES3_mN6thrust23THRUST_200600_302600_NS10device_ptrIiEEPS6_SD_NS0_5tupleIJSC_S6_EEENSE_IJSD_SD_EEES6_PlJNSA_6detail9not_fun_tINSI_10functional5actorINSK_9compositeIJNSK_27transparent_binary_operatorINSA_8equal_toIvEEEENSL_INSK_8argumentILj0EEEEENSK_5valueIiEEEEEEEEEEEE10hipError_tPvRmT3_T4_T5_T6_T7_T9_mT8_P12ihipStream_tbDpT10_ENKUlT_T0_E_clISt17integral_constantIbLb0EES1H_IbLb1EEEEDaS1D_S1E_EUlS1D_E_NS1_11comp_targetILNS1_3genE2ELNS1_11target_archE906ELNS1_3gpuE6ELNS1_3repE0EEENS1_30default_config_static_selectorELNS0_4arch9wavefront6targetE0EEEvT1_
; %bb.0:
	.section	.rodata,"a",@progbits
	.p2align	6, 0x0
	.amdhsa_kernel _ZN7rocprim17ROCPRIM_400000_NS6detail17trampoline_kernelINS0_14default_configENS1_25partition_config_selectorILNS1_17partition_subalgoE6EiNS0_10empty_typeEbEEZZNS1_14partition_implILS5_6ELb0ES3_mN6thrust23THRUST_200600_302600_NS10device_ptrIiEEPS6_SD_NS0_5tupleIJSC_S6_EEENSE_IJSD_SD_EEES6_PlJNSA_6detail9not_fun_tINSI_10functional5actorINSK_9compositeIJNSK_27transparent_binary_operatorINSA_8equal_toIvEEEENSL_INSK_8argumentILj0EEEEENSK_5valueIiEEEEEEEEEEEE10hipError_tPvRmT3_T4_T5_T6_T7_T9_mT8_P12ihipStream_tbDpT10_ENKUlT_T0_E_clISt17integral_constantIbLb0EES1H_IbLb1EEEEDaS1D_S1E_EUlS1D_E_NS1_11comp_targetILNS1_3genE2ELNS1_11target_archE906ELNS1_3gpuE6ELNS1_3repE0EEENS1_30default_config_static_selectorELNS0_4arch9wavefront6targetE0EEEvT1_
		.amdhsa_group_segment_fixed_size 0
		.amdhsa_private_segment_fixed_size 0
		.amdhsa_kernarg_size 128
		.amdhsa_user_sgpr_count 2
		.amdhsa_user_sgpr_dispatch_ptr 0
		.amdhsa_user_sgpr_queue_ptr 0
		.amdhsa_user_sgpr_kernarg_segment_ptr 1
		.amdhsa_user_sgpr_dispatch_id 0
		.amdhsa_user_sgpr_private_segment_size 0
		.amdhsa_wavefront_size32 1
		.amdhsa_uses_dynamic_stack 0
		.amdhsa_enable_private_segment 0
		.amdhsa_system_sgpr_workgroup_id_x 1
		.amdhsa_system_sgpr_workgroup_id_y 0
		.amdhsa_system_sgpr_workgroup_id_z 0
		.amdhsa_system_sgpr_workgroup_info 0
		.amdhsa_system_vgpr_workitem_id 0
		.amdhsa_next_free_vgpr 1
		.amdhsa_next_free_sgpr 1
		.amdhsa_reserve_vcc 0
		.amdhsa_float_round_mode_32 0
		.amdhsa_float_round_mode_16_64 0
		.amdhsa_float_denorm_mode_32 3
		.amdhsa_float_denorm_mode_16_64 3
		.amdhsa_fp16_overflow 0
		.amdhsa_workgroup_processor_mode 1
		.amdhsa_memory_ordered 1
		.amdhsa_forward_progress 1
		.amdhsa_inst_pref_size 0
		.amdhsa_round_robin_scheduling 0
		.amdhsa_exception_fp_ieee_invalid_op 0
		.amdhsa_exception_fp_denorm_src 0
		.amdhsa_exception_fp_ieee_div_zero 0
		.amdhsa_exception_fp_ieee_overflow 0
		.amdhsa_exception_fp_ieee_underflow 0
		.amdhsa_exception_fp_ieee_inexact 0
		.amdhsa_exception_int_div_zero 0
	.end_amdhsa_kernel
	.section	.text._ZN7rocprim17ROCPRIM_400000_NS6detail17trampoline_kernelINS0_14default_configENS1_25partition_config_selectorILNS1_17partition_subalgoE6EiNS0_10empty_typeEbEEZZNS1_14partition_implILS5_6ELb0ES3_mN6thrust23THRUST_200600_302600_NS10device_ptrIiEEPS6_SD_NS0_5tupleIJSC_S6_EEENSE_IJSD_SD_EEES6_PlJNSA_6detail9not_fun_tINSI_10functional5actorINSK_9compositeIJNSK_27transparent_binary_operatorINSA_8equal_toIvEEEENSL_INSK_8argumentILj0EEEEENSK_5valueIiEEEEEEEEEEEE10hipError_tPvRmT3_T4_T5_T6_T7_T9_mT8_P12ihipStream_tbDpT10_ENKUlT_T0_E_clISt17integral_constantIbLb0EES1H_IbLb1EEEEDaS1D_S1E_EUlS1D_E_NS1_11comp_targetILNS1_3genE2ELNS1_11target_archE906ELNS1_3gpuE6ELNS1_3repE0EEENS1_30default_config_static_selectorELNS0_4arch9wavefront6targetE0EEEvT1_,"axG",@progbits,_ZN7rocprim17ROCPRIM_400000_NS6detail17trampoline_kernelINS0_14default_configENS1_25partition_config_selectorILNS1_17partition_subalgoE6EiNS0_10empty_typeEbEEZZNS1_14partition_implILS5_6ELb0ES3_mN6thrust23THRUST_200600_302600_NS10device_ptrIiEEPS6_SD_NS0_5tupleIJSC_S6_EEENSE_IJSD_SD_EEES6_PlJNSA_6detail9not_fun_tINSI_10functional5actorINSK_9compositeIJNSK_27transparent_binary_operatorINSA_8equal_toIvEEEENSL_INSK_8argumentILj0EEEEENSK_5valueIiEEEEEEEEEEEE10hipError_tPvRmT3_T4_T5_T6_T7_T9_mT8_P12ihipStream_tbDpT10_ENKUlT_T0_E_clISt17integral_constantIbLb0EES1H_IbLb1EEEEDaS1D_S1E_EUlS1D_E_NS1_11comp_targetILNS1_3genE2ELNS1_11target_archE906ELNS1_3gpuE6ELNS1_3repE0EEENS1_30default_config_static_selectorELNS0_4arch9wavefront6targetE0EEEvT1_,comdat
.Lfunc_end2873:
	.size	_ZN7rocprim17ROCPRIM_400000_NS6detail17trampoline_kernelINS0_14default_configENS1_25partition_config_selectorILNS1_17partition_subalgoE6EiNS0_10empty_typeEbEEZZNS1_14partition_implILS5_6ELb0ES3_mN6thrust23THRUST_200600_302600_NS10device_ptrIiEEPS6_SD_NS0_5tupleIJSC_S6_EEENSE_IJSD_SD_EEES6_PlJNSA_6detail9not_fun_tINSI_10functional5actorINSK_9compositeIJNSK_27transparent_binary_operatorINSA_8equal_toIvEEEENSL_INSK_8argumentILj0EEEEENSK_5valueIiEEEEEEEEEEEE10hipError_tPvRmT3_T4_T5_T6_T7_T9_mT8_P12ihipStream_tbDpT10_ENKUlT_T0_E_clISt17integral_constantIbLb0EES1H_IbLb1EEEEDaS1D_S1E_EUlS1D_E_NS1_11comp_targetILNS1_3genE2ELNS1_11target_archE906ELNS1_3gpuE6ELNS1_3repE0EEENS1_30default_config_static_selectorELNS0_4arch9wavefront6targetE0EEEvT1_, .Lfunc_end2873-_ZN7rocprim17ROCPRIM_400000_NS6detail17trampoline_kernelINS0_14default_configENS1_25partition_config_selectorILNS1_17partition_subalgoE6EiNS0_10empty_typeEbEEZZNS1_14partition_implILS5_6ELb0ES3_mN6thrust23THRUST_200600_302600_NS10device_ptrIiEEPS6_SD_NS0_5tupleIJSC_S6_EEENSE_IJSD_SD_EEES6_PlJNSA_6detail9not_fun_tINSI_10functional5actorINSK_9compositeIJNSK_27transparent_binary_operatorINSA_8equal_toIvEEEENSL_INSK_8argumentILj0EEEEENSK_5valueIiEEEEEEEEEEEE10hipError_tPvRmT3_T4_T5_T6_T7_T9_mT8_P12ihipStream_tbDpT10_ENKUlT_T0_E_clISt17integral_constantIbLb0EES1H_IbLb1EEEEDaS1D_S1E_EUlS1D_E_NS1_11comp_targetILNS1_3genE2ELNS1_11target_archE906ELNS1_3gpuE6ELNS1_3repE0EEENS1_30default_config_static_selectorELNS0_4arch9wavefront6targetE0EEEvT1_
                                        ; -- End function
	.set _ZN7rocprim17ROCPRIM_400000_NS6detail17trampoline_kernelINS0_14default_configENS1_25partition_config_selectorILNS1_17partition_subalgoE6EiNS0_10empty_typeEbEEZZNS1_14partition_implILS5_6ELb0ES3_mN6thrust23THRUST_200600_302600_NS10device_ptrIiEEPS6_SD_NS0_5tupleIJSC_S6_EEENSE_IJSD_SD_EEES6_PlJNSA_6detail9not_fun_tINSI_10functional5actorINSK_9compositeIJNSK_27transparent_binary_operatorINSA_8equal_toIvEEEENSL_INSK_8argumentILj0EEEEENSK_5valueIiEEEEEEEEEEEE10hipError_tPvRmT3_T4_T5_T6_T7_T9_mT8_P12ihipStream_tbDpT10_ENKUlT_T0_E_clISt17integral_constantIbLb0EES1H_IbLb1EEEEDaS1D_S1E_EUlS1D_E_NS1_11comp_targetILNS1_3genE2ELNS1_11target_archE906ELNS1_3gpuE6ELNS1_3repE0EEENS1_30default_config_static_selectorELNS0_4arch9wavefront6targetE0EEEvT1_.num_vgpr, 0
	.set _ZN7rocprim17ROCPRIM_400000_NS6detail17trampoline_kernelINS0_14default_configENS1_25partition_config_selectorILNS1_17partition_subalgoE6EiNS0_10empty_typeEbEEZZNS1_14partition_implILS5_6ELb0ES3_mN6thrust23THRUST_200600_302600_NS10device_ptrIiEEPS6_SD_NS0_5tupleIJSC_S6_EEENSE_IJSD_SD_EEES6_PlJNSA_6detail9not_fun_tINSI_10functional5actorINSK_9compositeIJNSK_27transparent_binary_operatorINSA_8equal_toIvEEEENSL_INSK_8argumentILj0EEEEENSK_5valueIiEEEEEEEEEEEE10hipError_tPvRmT3_T4_T5_T6_T7_T9_mT8_P12ihipStream_tbDpT10_ENKUlT_T0_E_clISt17integral_constantIbLb0EES1H_IbLb1EEEEDaS1D_S1E_EUlS1D_E_NS1_11comp_targetILNS1_3genE2ELNS1_11target_archE906ELNS1_3gpuE6ELNS1_3repE0EEENS1_30default_config_static_selectorELNS0_4arch9wavefront6targetE0EEEvT1_.num_agpr, 0
	.set _ZN7rocprim17ROCPRIM_400000_NS6detail17trampoline_kernelINS0_14default_configENS1_25partition_config_selectorILNS1_17partition_subalgoE6EiNS0_10empty_typeEbEEZZNS1_14partition_implILS5_6ELb0ES3_mN6thrust23THRUST_200600_302600_NS10device_ptrIiEEPS6_SD_NS0_5tupleIJSC_S6_EEENSE_IJSD_SD_EEES6_PlJNSA_6detail9not_fun_tINSI_10functional5actorINSK_9compositeIJNSK_27transparent_binary_operatorINSA_8equal_toIvEEEENSL_INSK_8argumentILj0EEEEENSK_5valueIiEEEEEEEEEEEE10hipError_tPvRmT3_T4_T5_T6_T7_T9_mT8_P12ihipStream_tbDpT10_ENKUlT_T0_E_clISt17integral_constantIbLb0EES1H_IbLb1EEEEDaS1D_S1E_EUlS1D_E_NS1_11comp_targetILNS1_3genE2ELNS1_11target_archE906ELNS1_3gpuE6ELNS1_3repE0EEENS1_30default_config_static_selectorELNS0_4arch9wavefront6targetE0EEEvT1_.numbered_sgpr, 0
	.set _ZN7rocprim17ROCPRIM_400000_NS6detail17trampoline_kernelINS0_14default_configENS1_25partition_config_selectorILNS1_17partition_subalgoE6EiNS0_10empty_typeEbEEZZNS1_14partition_implILS5_6ELb0ES3_mN6thrust23THRUST_200600_302600_NS10device_ptrIiEEPS6_SD_NS0_5tupleIJSC_S6_EEENSE_IJSD_SD_EEES6_PlJNSA_6detail9not_fun_tINSI_10functional5actorINSK_9compositeIJNSK_27transparent_binary_operatorINSA_8equal_toIvEEEENSL_INSK_8argumentILj0EEEEENSK_5valueIiEEEEEEEEEEEE10hipError_tPvRmT3_T4_T5_T6_T7_T9_mT8_P12ihipStream_tbDpT10_ENKUlT_T0_E_clISt17integral_constantIbLb0EES1H_IbLb1EEEEDaS1D_S1E_EUlS1D_E_NS1_11comp_targetILNS1_3genE2ELNS1_11target_archE906ELNS1_3gpuE6ELNS1_3repE0EEENS1_30default_config_static_selectorELNS0_4arch9wavefront6targetE0EEEvT1_.num_named_barrier, 0
	.set _ZN7rocprim17ROCPRIM_400000_NS6detail17trampoline_kernelINS0_14default_configENS1_25partition_config_selectorILNS1_17partition_subalgoE6EiNS0_10empty_typeEbEEZZNS1_14partition_implILS5_6ELb0ES3_mN6thrust23THRUST_200600_302600_NS10device_ptrIiEEPS6_SD_NS0_5tupleIJSC_S6_EEENSE_IJSD_SD_EEES6_PlJNSA_6detail9not_fun_tINSI_10functional5actorINSK_9compositeIJNSK_27transparent_binary_operatorINSA_8equal_toIvEEEENSL_INSK_8argumentILj0EEEEENSK_5valueIiEEEEEEEEEEEE10hipError_tPvRmT3_T4_T5_T6_T7_T9_mT8_P12ihipStream_tbDpT10_ENKUlT_T0_E_clISt17integral_constantIbLb0EES1H_IbLb1EEEEDaS1D_S1E_EUlS1D_E_NS1_11comp_targetILNS1_3genE2ELNS1_11target_archE906ELNS1_3gpuE6ELNS1_3repE0EEENS1_30default_config_static_selectorELNS0_4arch9wavefront6targetE0EEEvT1_.private_seg_size, 0
	.set _ZN7rocprim17ROCPRIM_400000_NS6detail17trampoline_kernelINS0_14default_configENS1_25partition_config_selectorILNS1_17partition_subalgoE6EiNS0_10empty_typeEbEEZZNS1_14partition_implILS5_6ELb0ES3_mN6thrust23THRUST_200600_302600_NS10device_ptrIiEEPS6_SD_NS0_5tupleIJSC_S6_EEENSE_IJSD_SD_EEES6_PlJNSA_6detail9not_fun_tINSI_10functional5actorINSK_9compositeIJNSK_27transparent_binary_operatorINSA_8equal_toIvEEEENSL_INSK_8argumentILj0EEEEENSK_5valueIiEEEEEEEEEEEE10hipError_tPvRmT3_T4_T5_T6_T7_T9_mT8_P12ihipStream_tbDpT10_ENKUlT_T0_E_clISt17integral_constantIbLb0EES1H_IbLb1EEEEDaS1D_S1E_EUlS1D_E_NS1_11comp_targetILNS1_3genE2ELNS1_11target_archE906ELNS1_3gpuE6ELNS1_3repE0EEENS1_30default_config_static_selectorELNS0_4arch9wavefront6targetE0EEEvT1_.uses_vcc, 0
	.set _ZN7rocprim17ROCPRIM_400000_NS6detail17trampoline_kernelINS0_14default_configENS1_25partition_config_selectorILNS1_17partition_subalgoE6EiNS0_10empty_typeEbEEZZNS1_14partition_implILS5_6ELb0ES3_mN6thrust23THRUST_200600_302600_NS10device_ptrIiEEPS6_SD_NS0_5tupleIJSC_S6_EEENSE_IJSD_SD_EEES6_PlJNSA_6detail9not_fun_tINSI_10functional5actorINSK_9compositeIJNSK_27transparent_binary_operatorINSA_8equal_toIvEEEENSL_INSK_8argumentILj0EEEEENSK_5valueIiEEEEEEEEEEEE10hipError_tPvRmT3_T4_T5_T6_T7_T9_mT8_P12ihipStream_tbDpT10_ENKUlT_T0_E_clISt17integral_constantIbLb0EES1H_IbLb1EEEEDaS1D_S1E_EUlS1D_E_NS1_11comp_targetILNS1_3genE2ELNS1_11target_archE906ELNS1_3gpuE6ELNS1_3repE0EEENS1_30default_config_static_selectorELNS0_4arch9wavefront6targetE0EEEvT1_.uses_flat_scratch, 0
	.set _ZN7rocprim17ROCPRIM_400000_NS6detail17trampoline_kernelINS0_14default_configENS1_25partition_config_selectorILNS1_17partition_subalgoE6EiNS0_10empty_typeEbEEZZNS1_14partition_implILS5_6ELb0ES3_mN6thrust23THRUST_200600_302600_NS10device_ptrIiEEPS6_SD_NS0_5tupleIJSC_S6_EEENSE_IJSD_SD_EEES6_PlJNSA_6detail9not_fun_tINSI_10functional5actorINSK_9compositeIJNSK_27transparent_binary_operatorINSA_8equal_toIvEEEENSL_INSK_8argumentILj0EEEEENSK_5valueIiEEEEEEEEEEEE10hipError_tPvRmT3_T4_T5_T6_T7_T9_mT8_P12ihipStream_tbDpT10_ENKUlT_T0_E_clISt17integral_constantIbLb0EES1H_IbLb1EEEEDaS1D_S1E_EUlS1D_E_NS1_11comp_targetILNS1_3genE2ELNS1_11target_archE906ELNS1_3gpuE6ELNS1_3repE0EEENS1_30default_config_static_selectorELNS0_4arch9wavefront6targetE0EEEvT1_.has_dyn_sized_stack, 0
	.set _ZN7rocprim17ROCPRIM_400000_NS6detail17trampoline_kernelINS0_14default_configENS1_25partition_config_selectorILNS1_17partition_subalgoE6EiNS0_10empty_typeEbEEZZNS1_14partition_implILS5_6ELb0ES3_mN6thrust23THRUST_200600_302600_NS10device_ptrIiEEPS6_SD_NS0_5tupleIJSC_S6_EEENSE_IJSD_SD_EEES6_PlJNSA_6detail9not_fun_tINSI_10functional5actorINSK_9compositeIJNSK_27transparent_binary_operatorINSA_8equal_toIvEEEENSL_INSK_8argumentILj0EEEEENSK_5valueIiEEEEEEEEEEEE10hipError_tPvRmT3_T4_T5_T6_T7_T9_mT8_P12ihipStream_tbDpT10_ENKUlT_T0_E_clISt17integral_constantIbLb0EES1H_IbLb1EEEEDaS1D_S1E_EUlS1D_E_NS1_11comp_targetILNS1_3genE2ELNS1_11target_archE906ELNS1_3gpuE6ELNS1_3repE0EEENS1_30default_config_static_selectorELNS0_4arch9wavefront6targetE0EEEvT1_.has_recursion, 0
	.set _ZN7rocprim17ROCPRIM_400000_NS6detail17trampoline_kernelINS0_14default_configENS1_25partition_config_selectorILNS1_17partition_subalgoE6EiNS0_10empty_typeEbEEZZNS1_14partition_implILS5_6ELb0ES3_mN6thrust23THRUST_200600_302600_NS10device_ptrIiEEPS6_SD_NS0_5tupleIJSC_S6_EEENSE_IJSD_SD_EEES6_PlJNSA_6detail9not_fun_tINSI_10functional5actorINSK_9compositeIJNSK_27transparent_binary_operatorINSA_8equal_toIvEEEENSL_INSK_8argumentILj0EEEEENSK_5valueIiEEEEEEEEEEEE10hipError_tPvRmT3_T4_T5_T6_T7_T9_mT8_P12ihipStream_tbDpT10_ENKUlT_T0_E_clISt17integral_constantIbLb0EES1H_IbLb1EEEEDaS1D_S1E_EUlS1D_E_NS1_11comp_targetILNS1_3genE2ELNS1_11target_archE906ELNS1_3gpuE6ELNS1_3repE0EEENS1_30default_config_static_selectorELNS0_4arch9wavefront6targetE0EEEvT1_.has_indirect_call, 0
	.section	.AMDGPU.csdata,"",@progbits
; Kernel info:
; codeLenInByte = 0
; TotalNumSgprs: 0
; NumVgprs: 0
; ScratchSize: 0
; MemoryBound: 0
; FloatMode: 240
; IeeeMode: 1
; LDSByteSize: 0 bytes/workgroup (compile time only)
; SGPRBlocks: 0
; VGPRBlocks: 0
; NumSGPRsForWavesPerEU: 1
; NumVGPRsForWavesPerEU: 1
; Occupancy: 16
; WaveLimiterHint : 0
; COMPUTE_PGM_RSRC2:SCRATCH_EN: 0
; COMPUTE_PGM_RSRC2:USER_SGPR: 2
; COMPUTE_PGM_RSRC2:TRAP_HANDLER: 0
; COMPUTE_PGM_RSRC2:TGID_X_EN: 1
; COMPUTE_PGM_RSRC2:TGID_Y_EN: 0
; COMPUTE_PGM_RSRC2:TGID_Z_EN: 0
; COMPUTE_PGM_RSRC2:TIDIG_COMP_CNT: 0
	.section	.text._ZN7rocprim17ROCPRIM_400000_NS6detail17trampoline_kernelINS0_14default_configENS1_25partition_config_selectorILNS1_17partition_subalgoE6EiNS0_10empty_typeEbEEZZNS1_14partition_implILS5_6ELb0ES3_mN6thrust23THRUST_200600_302600_NS10device_ptrIiEEPS6_SD_NS0_5tupleIJSC_S6_EEENSE_IJSD_SD_EEES6_PlJNSA_6detail9not_fun_tINSI_10functional5actorINSK_9compositeIJNSK_27transparent_binary_operatorINSA_8equal_toIvEEEENSL_INSK_8argumentILj0EEEEENSK_5valueIiEEEEEEEEEEEE10hipError_tPvRmT3_T4_T5_T6_T7_T9_mT8_P12ihipStream_tbDpT10_ENKUlT_T0_E_clISt17integral_constantIbLb0EES1H_IbLb1EEEEDaS1D_S1E_EUlS1D_E_NS1_11comp_targetILNS1_3genE10ELNS1_11target_archE1200ELNS1_3gpuE4ELNS1_3repE0EEENS1_30default_config_static_selectorELNS0_4arch9wavefront6targetE0EEEvT1_,"axG",@progbits,_ZN7rocprim17ROCPRIM_400000_NS6detail17trampoline_kernelINS0_14default_configENS1_25partition_config_selectorILNS1_17partition_subalgoE6EiNS0_10empty_typeEbEEZZNS1_14partition_implILS5_6ELb0ES3_mN6thrust23THRUST_200600_302600_NS10device_ptrIiEEPS6_SD_NS0_5tupleIJSC_S6_EEENSE_IJSD_SD_EEES6_PlJNSA_6detail9not_fun_tINSI_10functional5actorINSK_9compositeIJNSK_27transparent_binary_operatorINSA_8equal_toIvEEEENSL_INSK_8argumentILj0EEEEENSK_5valueIiEEEEEEEEEEEE10hipError_tPvRmT3_T4_T5_T6_T7_T9_mT8_P12ihipStream_tbDpT10_ENKUlT_T0_E_clISt17integral_constantIbLb0EES1H_IbLb1EEEEDaS1D_S1E_EUlS1D_E_NS1_11comp_targetILNS1_3genE10ELNS1_11target_archE1200ELNS1_3gpuE4ELNS1_3repE0EEENS1_30default_config_static_selectorELNS0_4arch9wavefront6targetE0EEEvT1_,comdat
	.protected	_ZN7rocprim17ROCPRIM_400000_NS6detail17trampoline_kernelINS0_14default_configENS1_25partition_config_selectorILNS1_17partition_subalgoE6EiNS0_10empty_typeEbEEZZNS1_14partition_implILS5_6ELb0ES3_mN6thrust23THRUST_200600_302600_NS10device_ptrIiEEPS6_SD_NS0_5tupleIJSC_S6_EEENSE_IJSD_SD_EEES6_PlJNSA_6detail9not_fun_tINSI_10functional5actorINSK_9compositeIJNSK_27transparent_binary_operatorINSA_8equal_toIvEEEENSL_INSK_8argumentILj0EEEEENSK_5valueIiEEEEEEEEEEEE10hipError_tPvRmT3_T4_T5_T6_T7_T9_mT8_P12ihipStream_tbDpT10_ENKUlT_T0_E_clISt17integral_constantIbLb0EES1H_IbLb1EEEEDaS1D_S1E_EUlS1D_E_NS1_11comp_targetILNS1_3genE10ELNS1_11target_archE1200ELNS1_3gpuE4ELNS1_3repE0EEENS1_30default_config_static_selectorELNS0_4arch9wavefront6targetE0EEEvT1_ ; -- Begin function _ZN7rocprim17ROCPRIM_400000_NS6detail17trampoline_kernelINS0_14default_configENS1_25partition_config_selectorILNS1_17partition_subalgoE6EiNS0_10empty_typeEbEEZZNS1_14partition_implILS5_6ELb0ES3_mN6thrust23THRUST_200600_302600_NS10device_ptrIiEEPS6_SD_NS0_5tupleIJSC_S6_EEENSE_IJSD_SD_EEES6_PlJNSA_6detail9not_fun_tINSI_10functional5actorINSK_9compositeIJNSK_27transparent_binary_operatorINSA_8equal_toIvEEEENSL_INSK_8argumentILj0EEEEENSK_5valueIiEEEEEEEEEEEE10hipError_tPvRmT3_T4_T5_T6_T7_T9_mT8_P12ihipStream_tbDpT10_ENKUlT_T0_E_clISt17integral_constantIbLb0EES1H_IbLb1EEEEDaS1D_S1E_EUlS1D_E_NS1_11comp_targetILNS1_3genE10ELNS1_11target_archE1200ELNS1_3gpuE4ELNS1_3repE0EEENS1_30default_config_static_selectorELNS0_4arch9wavefront6targetE0EEEvT1_
	.globl	_ZN7rocprim17ROCPRIM_400000_NS6detail17trampoline_kernelINS0_14default_configENS1_25partition_config_selectorILNS1_17partition_subalgoE6EiNS0_10empty_typeEbEEZZNS1_14partition_implILS5_6ELb0ES3_mN6thrust23THRUST_200600_302600_NS10device_ptrIiEEPS6_SD_NS0_5tupleIJSC_S6_EEENSE_IJSD_SD_EEES6_PlJNSA_6detail9not_fun_tINSI_10functional5actorINSK_9compositeIJNSK_27transparent_binary_operatorINSA_8equal_toIvEEEENSL_INSK_8argumentILj0EEEEENSK_5valueIiEEEEEEEEEEEE10hipError_tPvRmT3_T4_T5_T6_T7_T9_mT8_P12ihipStream_tbDpT10_ENKUlT_T0_E_clISt17integral_constantIbLb0EES1H_IbLb1EEEEDaS1D_S1E_EUlS1D_E_NS1_11comp_targetILNS1_3genE10ELNS1_11target_archE1200ELNS1_3gpuE4ELNS1_3repE0EEENS1_30default_config_static_selectorELNS0_4arch9wavefront6targetE0EEEvT1_
	.p2align	8
	.type	_ZN7rocprim17ROCPRIM_400000_NS6detail17trampoline_kernelINS0_14default_configENS1_25partition_config_selectorILNS1_17partition_subalgoE6EiNS0_10empty_typeEbEEZZNS1_14partition_implILS5_6ELb0ES3_mN6thrust23THRUST_200600_302600_NS10device_ptrIiEEPS6_SD_NS0_5tupleIJSC_S6_EEENSE_IJSD_SD_EEES6_PlJNSA_6detail9not_fun_tINSI_10functional5actorINSK_9compositeIJNSK_27transparent_binary_operatorINSA_8equal_toIvEEEENSL_INSK_8argumentILj0EEEEENSK_5valueIiEEEEEEEEEEEE10hipError_tPvRmT3_T4_T5_T6_T7_T9_mT8_P12ihipStream_tbDpT10_ENKUlT_T0_E_clISt17integral_constantIbLb0EES1H_IbLb1EEEEDaS1D_S1E_EUlS1D_E_NS1_11comp_targetILNS1_3genE10ELNS1_11target_archE1200ELNS1_3gpuE4ELNS1_3repE0EEENS1_30default_config_static_selectorELNS0_4arch9wavefront6targetE0EEEvT1_,@function
_ZN7rocprim17ROCPRIM_400000_NS6detail17trampoline_kernelINS0_14default_configENS1_25partition_config_selectorILNS1_17partition_subalgoE6EiNS0_10empty_typeEbEEZZNS1_14partition_implILS5_6ELb0ES3_mN6thrust23THRUST_200600_302600_NS10device_ptrIiEEPS6_SD_NS0_5tupleIJSC_S6_EEENSE_IJSD_SD_EEES6_PlJNSA_6detail9not_fun_tINSI_10functional5actorINSK_9compositeIJNSK_27transparent_binary_operatorINSA_8equal_toIvEEEENSL_INSK_8argumentILj0EEEEENSK_5valueIiEEEEEEEEEEEE10hipError_tPvRmT3_T4_T5_T6_T7_T9_mT8_P12ihipStream_tbDpT10_ENKUlT_T0_E_clISt17integral_constantIbLb0EES1H_IbLb1EEEEDaS1D_S1E_EUlS1D_E_NS1_11comp_targetILNS1_3genE10ELNS1_11target_archE1200ELNS1_3gpuE4ELNS1_3repE0EEENS1_30default_config_static_selectorELNS0_4arch9wavefront6targetE0EEEvT1_: ; @_ZN7rocprim17ROCPRIM_400000_NS6detail17trampoline_kernelINS0_14default_configENS1_25partition_config_selectorILNS1_17partition_subalgoE6EiNS0_10empty_typeEbEEZZNS1_14partition_implILS5_6ELb0ES3_mN6thrust23THRUST_200600_302600_NS10device_ptrIiEEPS6_SD_NS0_5tupleIJSC_S6_EEENSE_IJSD_SD_EEES6_PlJNSA_6detail9not_fun_tINSI_10functional5actorINSK_9compositeIJNSK_27transparent_binary_operatorINSA_8equal_toIvEEEENSL_INSK_8argumentILj0EEEEENSK_5valueIiEEEEEEEEEEEE10hipError_tPvRmT3_T4_T5_T6_T7_T9_mT8_P12ihipStream_tbDpT10_ENKUlT_T0_E_clISt17integral_constantIbLb0EES1H_IbLb1EEEEDaS1D_S1E_EUlS1D_E_NS1_11comp_targetILNS1_3genE10ELNS1_11target_archE1200ELNS1_3gpuE4ELNS1_3repE0EEENS1_30default_config_static_selectorELNS0_4arch9wavefront6targetE0EEEvT1_
; %bb.0:
	s_clause 0x3
	s_load_b64 s[12:13], s[0:1], 0x28
	s_load_b128 s[8:11], s[0:1], 0x40
	s_load_b64 s[16:17], s[0:1], 0x50
	s_load_b64 s[14:15], s[0:1], 0x60
	v_cmp_eq_u32_e64 s2, 0, v0
	s_and_saveexec_b32 s3, s2
	s_cbranch_execz .LBB2874_4
; %bb.1:
	s_mov_b32 s5, exec_lo
	s_mov_b32 s4, exec_lo
	v_mbcnt_lo_u32_b32 v1, s5, 0
                                        ; implicit-def: $vgpr2
	s_delay_alu instid0(VALU_DEP_1)
	v_cmpx_eq_u32_e32 0, v1
	s_cbranch_execz .LBB2874_3
; %bb.2:
	s_load_b64 s[6:7], s[0:1], 0x70
	s_bcnt1_i32_b32 s5, s5
	s_wait_alu 0xfffe
	v_dual_mov_b32 v2, 0 :: v_dual_mov_b32 v3, s5
	s_wait_kmcnt 0x0
	global_atomic_add_u32 v2, v2, v3, s[6:7] th:TH_ATOMIC_RETURN scope:SCOPE_DEV
.LBB2874_3:
	s_or_b32 exec_lo, exec_lo, s4
	s_wait_loadcnt 0x0
	v_readfirstlane_b32 s4, v2
	s_wait_alu 0xf1ff
	s_delay_alu instid0(VALU_DEP_1)
	v_dual_mov_b32 v2, 0 :: v_dual_add_nc_u32 v1, s4, v1
	ds_store_b32 v2, v1
.LBB2874_4:
	s_or_b32 exec_lo, exec_lo, s3
	v_mov_b32_e32 v2, 0
	s_clause 0x2
	s_load_b128 s[4:7], s[0:1], 0x8
	s_load_b32 s3, s[0:1], 0x68
	s_load_b32 s19, s[0:1], 0x7c
	s_wait_dscnt 0x0
	s_barrier_signal -1
	s_barrier_wait -1
	global_inv scope:SCOPE_SE
	ds_load_b32 v1, v2
	s_wait_loadcnt_dscnt 0x0
	s_barrier_signal -1
	s_barrier_wait -1
	global_inv scope:SCOPE_SE
	s_wait_kmcnt 0x0
	global_load_b64 v[9:10], v2, s[10:11]
	s_mov_b32 s1, 0
	v_lshlrev_b32_e32 v8, 2, v0
	s_lshl_b64 s[10:11], s[6:7], 2
	s_mul_i32 s0, s3, 0xa80
	s_add_co_i32 s20, s3, -1
	s_add_co_i32 s3, s0, s6
	s_add_nc_u64 s[6:7], s[6:7], s[0:1]
	s_sub_co_i32 s0, s16, s3
	v_cmp_le_u64_e64 s1, s[16:17], s[6:7]
	v_readfirstlane_b32 s18, v1
	v_mul_lo_u32 v1, 0xa80, v1
	s_add_nc_u64 s[4:5], s[4:5], s[10:11]
	s_cmp_eq_u32 s18, s20
	s_cselect_b32 s7, -1, 0
	s_delay_alu instid0(VALU_DEP_1) | instskip(SKIP_2) | instid1(SALU_CYCLE_1)
	v_lshlrev_b64_e32 v[1:2], 2, v[1:2]
	s_wait_alu 0xfffe
	s_and_b32 s1, s1, s7
	s_xor_b32 s10, s1, -1
	s_mov_b32 s1, -1
	s_delay_alu instid0(VALU_DEP_1) | instskip(NEXT) | instid1(VALU_DEP_1)
	v_add_co_u32 v11, vcc_lo, s4, v1
	v_add_co_ci_u32_e64 v12, null, s5, v2, vcc_lo
	s_and_b32 vcc_lo, exec_lo, s10
	s_wait_alu 0xfffe
	s_cbranch_vccz .LBB2874_6
; %bb.5:
	v_add_co_u32 v1, vcc_lo, v11, v8
	s_wait_alu 0xfffd
	v_add_co_ci_u32_e64 v2, null, 0, v12, vcc_lo
	s_mov_b32 s1, 0
	s_clause 0x6
	flat_load_b32 v3, v[1:2]
	flat_load_b32 v4, v[1:2] offset:1536
	flat_load_b32 v5, v[1:2] offset:3072
	;; [unrolled: 1-line block ×6, first 2 shown]
	s_wait_loadcnt_dscnt 0x505
	ds_store_2addr_stride64_b32 v8, v3, v4 offset1:6
	s_wait_loadcnt_dscnt 0x304
	ds_store_2addr_stride64_b32 v8, v5, v6 offset0:12 offset1:18
	s_wait_loadcnt_dscnt 0x103
	ds_store_2addr_stride64_b32 v8, v7, v13 offset0:24 offset1:30
	s_wait_loadcnt_dscnt 0x3
	ds_store_b32 v8, v1 offset:9216
	s_wait_dscnt 0x0
	s_barrier_signal -1
	s_barrier_wait -1
.LBB2874_6:
	s_and_not1_b32 vcc_lo, exec_lo, s1
	s_add_co_i32 s16, s0, 0xa80
	s_wait_alu 0xfffe
	s_cbranch_vccnz .LBB2874_22
; %bb.7:
	v_mov_b32_e32 v1, 0
	s_mov_b32 s0, exec_lo
	s_delay_alu instid0(VALU_DEP_1)
	v_dual_mov_b32 v2, v1 :: v_dual_mov_b32 v3, v1
	v_dual_mov_b32 v4, v1 :: v_dual_mov_b32 v5, v1
	;; [unrolled: 1-line block ×3, first 2 shown]
	v_cmpx_gt_u32_e64 s16, v0
	s_cbranch_execz .LBB2874_9
; %bb.8:
	v_add_co_u32 v2, vcc_lo, v11, v8
	s_wait_alu 0xfffd
	v_add_co_ci_u32_e64 v3, null, 0, v12, vcc_lo
	v_dual_mov_b32 v14, v1 :: v_dual_mov_b32 v15, v1
	v_dual_mov_b32 v16, v1 :: v_dual_mov_b32 v17, v1
	flat_load_b32 v13, v[2:3]
	v_dual_mov_b32 v18, v1 :: v_dual_mov_b32 v19, v1
	s_wait_loadcnt_dscnt 0x0
	v_dual_mov_b32 v1, v13 :: v_dual_mov_b32 v2, v14
	v_dual_mov_b32 v3, v15 :: v_dual_mov_b32 v4, v16
	s_delay_alu instid0(VALU_DEP_3)
	v_dual_mov_b32 v5, v17 :: v_dual_mov_b32 v6, v18
	v_mov_b32_e32 v7, v19
.LBB2874_9:
	s_or_b32 exec_lo, exec_lo, s0
	v_add_nc_u32_e32 v13, 0x180, v0
	s_mov_b32 s0, exec_lo
	s_delay_alu instid0(VALU_DEP_1)
	v_cmpx_gt_u32_e64 s16, v13
	s_cbranch_execz .LBB2874_11
; %bb.10:
	v_add_co_u32 v13, vcc_lo, v11, v8
	s_wait_alu 0xfffd
	v_add_co_ci_u32_e64 v14, null, 0, v12, vcc_lo
	flat_load_b32 v2, v[13:14] offset:1536
.LBB2874_11:
	s_or_b32 exec_lo, exec_lo, s0
	v_add_nc_u32_e32 v13, 0x300, v0
	s_mov_b32 s0, exec_lo
	s_delay_alu instid0(VALU_DEP_1)
	v_cmpx_gt_u32_e64 s16, v13
	s_cbranch_execz .LBB2874_13
; %bb.12:
	v_add_co_u32 v13, vcc_lo, v11, v8
	s_wait_alu 0xfffd
	v_add_co_ci_u32_e64 v14, null, 0, v12, vcc_lo
	flat_load_b32 v3, v[13:14] offset:3072
.LBB2874_13:
	;; [unrolled: 12-line block ×3, first 2 shown]
	s_or_b32 exec_lo, exec_lo, s0
	v_or_b32_e32 v13, 0x600, v0
	s_mov_b32 s0, exec_lo
	s_delay_alu instid0(VALU_DEP_1)
	v_cmpx_gt_u32_e64 s16, v13
	s_cbranch_execz .LBB2874_17
; %bb.16:
	v_add_co_u32 v13, vcc_lo, v11, v8
	s_wait_alu 0xfffd
	v_add_co_ci_u32_e64 v14, null, 0, v12, vcc_lo
	flat_load_b32 v5, v[13:14] offset:6144
.LBB2874_17:
	s_or_b32 exec_lo, exec_lo, s0
	v_add_nc_u32_e32 v13, 0x780, v0
	s_mov_b32 s0, exec_lo
	s_delay_alu instid0(VALU_DEP_1)
	v_cmpx_gt_u32_e64 s16, v13
	s_cbranch_execz .LBB2874_19
; %bb.18:
	v_add_co_u32 v13, vcc_lo, v11, v8
	s_wait_alu 0xfffd
	v_add_co_ci_u32_e64 v14, null, 0, v12, vcc_lo
	flat_load_b32 v6, v[13:14] offset:7680
.LBB2874_19:
	s_or_b32 exec_lo, exec_lo, s0
	v_add_nc_u32_e32 v13, 0x900, v0
	s_mov_b32 s0, exec_lo
	s_delay_alu instid0(VALU_DEP_1)
	v_cmpx_gt_u32_e64 s16, v13
	s_cbranch_execz .LBB2874_21
; %bb.20:
	v_add_co_u32 v11, vcc_lo, v11, v8
	s_wait_alu 0xfffd
	v_add_co_ci_u32_e64 v12, null, 0, v12, vcc_lo
	flat_load_b32 v7, v[11:12] offset:9216
.LBB2874_21:
	s_or_b32 exec_lo, exec_lo, s0
	s_wait_loadcnt_dscnt 0x0
	ds_store_2addr_stride64_b32 v8, v1, v2 offset1:6
	ds_store_2addr_stride64_b32 v8, v3, v4 offset0:12 offset1:18
	ds_store_2addr_stride64_b32 v8, v5, v6 offset0:24 offset1:30
	ds_store_b32 v8, v7 offset:9216
	s_wait_dscnt 0x0
	s_barrier_signal -1
	s_barrier_wait -1
.LBB2874_22:
	v_mul_u32_u24_e32 v1, 7, v0
	s_wait_loadcnt 0x0
	global_inv scope:SCOPE_SE
	s_and_not1_b32 vcc_lo, exec_lo, s10
	v_lshlrev_b32_e32 v32, 2, v1
	ds_load_2addr_b32 v[11:12], v32 offset0:4 offset1:5
	ds_load_b32 v33, v32 offset:24
	ds_load_2addr_b32 v[15:16], v32 offset1:1
	ds_load_2addr_b32 v[13:14], v32 offset0:2 offset1:3
	s_wait_loadcnt_dscnt 0x0
	s_barrier_signal -1
	s_barrier_wait -1
	global_inv scope:SCOPE_SE
	v_cmp_ne_u32_e64 s0, s19, v11
	v_cmp_ne_u32_e64 s11, s19, v33
	;; [unrolled: 1-line block ×7, first 2 shown]
	s_wait_alu 0xfffe
	s_cbranch_vccnz .LBB2874_24
; %bb.23:
	s_wait_alu 0xf1ff
	v_cndmask_b32_e64 v2, 0, 1, s5
	v_cndmask_b32_e64 v3, 0, 1, s6
	;; [unrolled: 1-line block ×5, first 2 shown]
	v_lshlrev_b16 v2, 8, v2
	v_lshlrev_b16 v3, 8, v3
	v_cndmask_b32_e64 v34, 0, 1, s1
	s_delay_alu instid0(VALU_DEP_3) | instskip(NEXT) | instid1(VALU_DEP_3)
	v_or_b32_e32 v2, v4, v2
	v_or_b32_e32 v3, v5, v3
	s_delay_alu instid0(VALU_DEP_2) | instskip(NEXT) | instid1(VALU_DEP_2)
	v_and_b32_e32 v2, 0xffff, v2
	v_lshlrev_b32_e32 v3, 16, v3
	s_delay_alu instid0(VALU_DEP_1)
	v_or_b32_e32 v31, v2, v3
	s_cbranch_execz .LBB2874_25
	s_branch .LBB2874_26
.LBB2874_24:
                                        ; implicit-def: $sgpr11
                                        ; implicit-def: $vgpr34
                                        ; implicit-def: $vgpr35
                                        ; implicit-def: $vgpr31
.LBB2874_25:
	v_add_nc_u32_e32 v2, 1, v1
	v_cmp_ne_u32_e32 vcc_lo, s19, v16
	v_add_nc_u32_e32 v3, 3, v1
	v_cmp_ne_u32_e64 s0, s19, v15
	v_cmp_ne_u32_e64 s3, s19, v14
	v_cmp_gt_u32_e64 s1, s16, v2
	v_add_nc_u32_e32 v2, 2, v1
	v_cmp_gt_u32_e64 s5, s16, v3
	v_cmp_ne_u32_e64 s4, s19, v13
	v_add_nc_u32_e32 v5, 5, v1
	s_and_b32 s1, s1, vcc_lo
	v_cmp_gt_u32_e32 vcc_lo, s16, v1
	s_wait_alu 0xfffe
	v_cndmask_b32_e64 v3, 0, 1, s1
	v_cmp_gt_u32_e64 s1, s16, v2
	s_and_b32 s3, s5, s3
	s_and_b32 s0, vcc_lo, s0
	v_lshlrev_b16 v3, 8, v3
	s_wait_alu 0xfffe
	v_cndmask_b32_e64 v4, 0, 1, s0
	v_cndmask_b32_e64 v2, 0, 1, s3
	s_and_b32 s0, s1, s4
	v_cmp_ne_u32_e32 vcc_lo, s19, v12
	s_wait_alu 0xfffe
	v_cndmask_b32_e64 v6, 0, 1, s0
	v_cmp_gt_u32_e64 s0, s16, v5
	v_or_b32_e32 v3, v4, v3
	v_add_nc_u32_e32 v4, 4, v1
	v_lshlrev_b16 v2, 8, v2
	v_cmp_ne_u32_e64 s1, s19, v11
	s_and_b32 s0, s0, vcc_lo
	v_add_nc_u32_e32 v1, 6, v1
	v_cmp_gt_u32_e32 vcc_lo, s16, v4
	v_or_b32_e32 v2, v6, v2
	s_wait_alu 0xfffe
	v_cndmask_b32_e64 v34, 0, 1, s0
	v_and_b32_e32 v3, 0xffff, v3
	s_and_b32 s0, vcc_lo, s1
	v_cmp_gt_u32_e32 vcc_lo, s16, v1
	s_wait_alu 0xfffe
	v_cndmask_b32_e64 v5, 0, 1, s0
	v_cmp_ne_u32_e64 s0, s19, v33
	v_lshlrev_b32_e32 v2, 16, v2
	v_lshlrev_b16 v4, 8, v34
	s_and_not1_b32 s1, s11, exec_lo
	s_and_b32 s0, vcc_lo, s0
	s_delay_alu instid0(VALU_DEP_2) | instskip(NEXT) | instid1(VALU_DEP_2)
	v_or_b32_e32 v31, v3, v2
	v_or_b32_e32 v35, v5, v4
	s_wait_alu 0xfffe
	s_and_b32 s0, s0, exec_lo
	s_wait_alu 0xfffe
	s_or_b32 s11, s1, s0
.LBB2874_26:
	s_delay_alu instid0(VALU_DEP_1)
	v_dual_mov_b32 v2, 0 :: v_dual_and_b32 v39, 0xff, v31
	v_bfe_u32 v38, v31, 8, 8
	v_cndmask_b32_e64 v1, 0, 1, s11
	v_bfe_u32 v41, v31, 16, 8
	v_lshrrev_b32_e32 v36, 24, v31
	v_and_b32_e32 v40, 0xff, v35
	v_mbcnt_lo_u32_b32 v42, -1, 0
	v_add3_u32 v1, v39, v1, v38
	v_and_b32_e32 v37, 0xff, v34
	s_cmp_lg_u32 s18, 0
	s_mov_b32 s1, -1
	v_and_b32_e32 v43, 15, v42
	v_add_co_u32 v1, s0, v1, v41
	s_wait_alu 0xf1ff
	v_add_co_ci_u32_e64 v3, null, 0, 0, s0
	s_delay_alu instid0(VALU_DEP_3) | instskip(NEXT) | instid1(VALU_DEP_3)
	v_cmp_ne_u32_e64 s0, 0, v43
	v_add_co_u32 v1, vcc_lo, v1, v36
	s_wait_alu 0xfffd
	s_delay_alu instid0(VALU_DEP_3) | instskip(NEXT) | instid1(VALU_DEP_2)
	v_add_co_ci_u32_e64 v3, null, 0, v3, vcc_lo
	v_add_co_u32 v1, vcc_lo, v1, v40
	s_wait_alu 0xfffd
	s_delay_alu instid0(VALU_DEP_2) | instskip(NEXT) | instid1(VALU_DEP_2)
	v_add_co_ci_u32_e64 v3, null, 0, v3, vcc_lo
	v_add_co_u32 v17, vcc_lo, v1, v37
	s_wait_alu 0xfffd
	s_delay_alu instid0(VALU_DEP_2)
	v_add_co_ci_u32_e64 v18, null, 0, v3, vcc_lo
	s_cbranch_scc0 .LBB2874_85
; %bb.27:
	v_mov_b32_e32 v3, v17
	v_mov_b32_dpp v1, v17 row_shr:1 row_mask:0xf bank_mask:0xf
	v_mov_b32_dpp v6, v2 row_shr:1 row_mask:0xf bank_mask:0xf
	v_dual_mov_b32 v5, v17 :: v_dual_mov_b32 v4, v18
	s_and_saveexec_b32 s1, s0
; %bb.28:
	s_delay_alu instid0(VALU_DEP_3) | instskip(SKIP_2) | instid1(VALU_DEP_2)
	v_add_co_u32 v5, vcc_lo, v17, v1
	s_wait_alu 0xfffd
	v_add_co_ci_u32_e64 v2, null, 0, v18, vcc_lo
	v_add_co_u32 v1, vcc_lo, 0, v5
	s_wait_alu 0xfffd
	s_delay_alu instid0(VALU_DEP_2) | instskip(NEXT) | instid1(VALU_DEP_1)
	v_add_co_ci_u32_e64 v2, null, v6, v2, vcc_lo
	v_dual_mov_b32 v4, v2 :: v_dual_mov_b32 v3, v1
; %bb.29:
	s_wait_alu 0xfffe
	s_or_b32 exec_lo, exec_lo, s1
	v_mov_b32_dpp v1, v5 row_shr:2 row_mask:0xf bank_mask:0xf
	v_mov_b32_dpp v6, v2 row_shr:2 row_mask:0xf bank_mask:0xf
	v_cmp_lt_u32_e32 vcc_lo, 1, v43
	s_and_saveexec_b32 s3, vcc_lo
; %bb.30:
	s_delay_alu instid0(VALU_DEP_3) | instskip(SKIP_2) | instid1(VALU_DEP_2)
	v_add_co_u32 v5, s1, v3, v1
	s_wait_alu 0xf1ff
	v_add_co_ci_u32_e64 v2, null, 0, v4, s1
	v_add_co_u32 v1, s1, 0, v5
	s_wait_alu 0xf1ff
	s_delay_alu instid0(VALU_DEP_2) | instskip(NEXT) | instid1(VALU_DEP_1)
	v_add_co_ci_u32_e64 v2, null, v6, v2, s1
	v_dual_mov_b32 v4, v2 :: v_dual_mov_b32 v3, v1
; %bb.31:
	s_wait_alu 0xfffe
	s_or_b32 exec_lo, exec_lo, s3
	v_mov_b32_dpp v1, v5 row_shr:4 row_mask:0xf bank_mask:0xf
	v_mov_b32_dpp v6, v2 row_shr:4 row_mask:0xf bank_mask:0xf
	v_cmp_lt_u32_e64 s1, 3, v43
	s_and_saveexec_b32 s4, s1
; %bb.32:
	v_add_co_u32 v5, s3, v3, v1
	s_wait_alu 0xf1ff
	v_add_co_ci_u32_e64 v2, null, 0, v4, s3
	s_delay_alu instid0(VALU_DEP_2) | instskip(SKIP_1) | instid1(VALU_DEP_2)
	v_add_co_u32 v1, s3, 0, v5
	s_wait_alu 0xf1ff
	v_add_co_ci_u32_e64 v2, null, v6, v2, s3
	s_delay_alu instid0(VALU_DEP_1)
	v_dual_mov_b32 v4, v2 :: v_dual_mov_b32 v3, v1
; %bb.33:
	s_wait_alu 0xfffe
	s_or_b32 exec_lo, exec_lo, s4
	v_mov_b32_dpp v6, v5 row_shr:8 row_mask:0xf bank_mask:0xf
	v_mov_b32_dpp v1, v2 row_shr:8 row_mask:0xf bank_mask:0xf
	v_cmp_lt_u32_e64 s3, 7, v43
	s_and_saveexec_b32 s5, s3
; %bb.34:
	v_add_co_u32 v5, s4, v3, v6
	s_wait_alu 0xf1ff
	v_add_co_ci_u32_e64 v2, null, 0, v4, s4
	s_delay_alu instid0(VALU_DEP_2) | instskip(SKIP_1) | instid1(VALU_DEP_2)
	v_add_co_u32 v3, s4, 0, v5
	s_wait_alu 0xf1ff
	v_add_co_ci_u32_e64 v4, null, v1, v2, s4
	s_delay_alu instid0(VALU_DEP_1)
	v_mov_b32_e32 v2, v4
; %bb.35:
	s_wait_alu 0xfffe
	s_or_b32 exec_lo, exec_lo, s5
	ds_swizzle_b32 v1, v5 offset:swizzle(BROADCAST,32,15)
	ds_swizzle_b32 v6, v2 offset:swizzle(BROADCAST,32,15)
	v_and_b32_e32 v7, 16, v42
	s_mov_b32 s5, exec_lo
	s_delay_alu instid0(VALU_DEP_1)
	v_cmpx_ne_u32_e32 0, v7
	s_cbranch_execz .LBB2874_37
; %bb.36:
	s_wait_dscnt 0x1
	v_add_co_u32 v5, s4, v3, v1
	s_wait_alu 0xf1ff
	v_add_co_ci_u32_e64 v2, null, 0, v4, s4
	s_delay_alu instid0(VALU_DEP_2) | instskip(SKIP_2) | instid1(VALU_DEP_2)
	v_add_co_u32 v1, s4, 0, v5
	s_wait_dscnt 0x0
	s_wait_alu 0xf1ff
	v_add_co_ci_u32_e64 v2, null, v6, v2, s4
	s_delay_alu instid0(VALU_DEP_1)
	v_dual_mov_b32 v4, v2 :: v_dual_mov_b32 v3, v1
.LBB2874_37:
	s_wait_alu 0xfffe
	s_or_b32 exec_lo, exec_lo, s5
	s_wait_dscnt 0x1
	v_and_b32_e32 v1, 0x1e0, v0
	s_mov_b32 s5, exec_lo
	s_delay_alu instid0(VALU_DEP_1) | instskip(SKIP_1) | instid1(VALU_DEP_1)
	v_min_u32_e32 v1, 0x160, v1
	s_wait_dscnt 0x0
	v_or_b32_e32 v6, 31, v1
	v_lshrrev_b32_e32 v1, 5, v0
	s_delay_alu instid0(VALU_DEP_2)
	v_cmpx_eq_u32_e64 v0, v6
; %bb.38:
	s_delay_alu instid0(VALU_DEP_2)
	v_lshlrev_b32_e32 v6, 3, v1
	ds_store_b64 v6, v[3:4]
; %bb.39:
	s_wait_alu 0xfffe
	s_or_b32 exec_lo, exec_lo, s5
	s_delay_alu instid0(SALU_CYCLE_1)
	s_mov_b32 s5, exec_lo
	s_wait_loadcnt_dscnt 0x0
	s_barrier_signal -1
	s_barrier_wait -1
	global_inv scope:SCOPE_SE
	v_cmpx_gt_u32_e32 12, v0
	s_cbranch_execz .LBB2874_49
; %bb.40:
	v_lshlrev_b32_e32 v6, 3, v0
	ds_load_b64 v[3:4], v6
	s_wait_dscnt 0x0
	v_mov_b32_dpp v19, v3 row_shr:1 row_mask:0xf bank_mask:0xf
	v_mov_b32_dpp v8, v4 row_shr:1 row_mask:0xf bank_mask:0xf
	v_mov_b32_e32 v7, v3
	s_and_saveexec_b32 s6, s0
; %bb.41:
	s_delay_alu instid0(VALU_DEP_3) | instskip(SKIP_2) | instid1(VALU_DEP_2)
	v_add_co_u32 v7, s4, v3, v19
	s_wait_alu 0xf1ff
	v_add_co_ci_u32_e64 v4, null, 0, v4, s4
	v_add_co_u32 v3, s4, 0, v7
	s_wait_alu 0xf1ff
	s_delay_alu instid0(VALU_DEP_2)
	v_add_co_ci_u32_e64 v4, null, v8, v4, s4
; %bb.42:
	s_wait_alu 0xfffe
	s_or_b32 exec_lo, exec_lo, s6
	v_mov_b32_dpp v19, v7 row_shr:2 row_mask:0xf bank_mask:0xf
	s_delay_alu instid0(VALU_DEP_2)
	v_mov_b32_dpp v8, v4 row_shr:2 row_mask:0xf bank_mask:0xf
	s_and_saveexec_b32 s4, vcc_lo
; %bb.43:
	s_delay_alu instid0(VALU_DEP_2) | instskip(SKIP_2) | instid1(VALU_DEP_2)
	v_add_co_u32 v7, vcc_lo, v3, v19
	s_wait_alu 0xfffd
	v_add_co_ci_u32_e64 v4, null, 0, v4, vcc_lo
	v_add_co_u32 v3, vcc_lo, 0, v7
	s_wait_alu 0xfffd
	s_delay_alu instid0(VALU_DEP_2)
	v_add_co_ci_u32_e64 v4, null, v8, v4, vcc_lo
; %bb.44:
	s_wait_alu 0xfffe
	s_or_b32 exec_lo, exec_lo, s4
	v_mov_b32_dpp v19, v7 row_shr:4 row_mask:0xf bank_mask:0xf
	s_delay_alu instid0(VALU_DEP_2)
	v_mov_b32_dpp v8, v4 row_shr:4 row_mask:0xf bank_mask:0xf
	s_and_saveexec_b32 s4, s1
; %bb.45:
	s_delay_alu instid0(VALU_DEP_2) | instskip(SKIP_2) | instid1(VALU_DEP_2)
	v_add_co_u32 v7, vcc_lo, v3, v19
	s_wait_alu 0xfffd
	v_add_co_ci_u32_e64 v4, null, 0, v4, vcc_lo
	v_add_co_u32 v3, vcc_lo, 0, v7
	s_wait_alu 0xfffd
	s_delay_alu instid0(VALU_DEP_2)
	v_add_co_ci_u32_e64 v4, null, v8, v4, vcc_lo
; %bb.46:
	s_wait_alu 0xfffe
	s_or_b32 exec_lo, exec_lo, s4
	v_mov_b32_dpp v8, v7 row_shr:8 row_mask:0xf bank_mask:0xf
	s_delay_alu instid0(VALU_DEP_2)
	v_mov_b32_dpp v7, v4 row_shr:8 row_mask:0xf bank_mask:0xf
	s_and_saveexec_b32 s1, s3
; %bb.47:
	s_delay_alu instid0(VALU_DEP_2) | instskip(SKIP_2) | instid1(VALU_DEP_2)
	v_add_co_u32 v3, vcc_lo, v3, v8
	s_wait_alu 0xfffd
	v_add_co_ci_u32_e64 v4, null, 0, v4, vcc_lo
	v_add_co_u32 v3, vcc_lo, v3, 0
	s_wait_alu 0xfffd
	s_delay_alu instid0(VALU_DEP_2)
	v_add_co_ci_u32_e64 v4, null, v4, v7, vcc_lo
; %bb.48:
	s_wait_alu 0xfffe
	s_or_b32 exec_lo, exec_lo, s1
	ds_store_b64 v6, v[3:4]
.LBB2874_49:
	s_wait_alu 0xfffe
	s_or_b32 exec_lo, exec_lo, s5
	s_delay_alu instid0(SALU_CYCLE_1)
	s_mov_b32 s3, exec_lo
	v_cmp_gt_u32_e32 vcc_lo, 32, v0
	s_wait_loadcnt_dscnt 0x0
	s_barrier_signal -1
	s_barrier_wait -1
	global_inv scope:SCOPE_SE
                                        ; implicit-def: $vgpr19_vgpr20
	v_cmpx_lt_u32_e32 31, v0
	s_cbranch_execz .LBB2874_51
; %bb.50:
	v_lshl_add_u32 v1, v1, 3, -8
	ds_load_b64 v[19:20], v1
	s_wait_dscnt 0x0
	v_add_co_u32 v5, s1, v5, v19
	s_wait_alu 0xf1ff
	v_add_co_ci_u32_e64 v2, null, v2, v20, s1
.LBB2874_51:
	s_wait_alu 0xfffe
	s_or_b32 exec_lo, exec_lo, s3
	v_sub_co_u32 v1, s1, v42, 1
	s_delay_alu instid0(VALU_DEP_1) | instskip(SKIP_1) | instid1(VALU_DEP_1)
	v_cmp_gt_i32_e64 s3, 0, v1
	s_wait_alu 0xf1ff
	v_cndmask_b32_e64 v1, v1, v42, s3
	s_delay_alu instid0(VALU_DEP_1)
	v_lshlrev_b32_e32 v1, 2, v1
	ds_bpermute_b32 v25, v1, v5
	ds_bpermute_b32 v26, v1, v2
	s_and_saveexec_b32 s3, vcc_lo
	s_cbranch_execz .LBB2874_90
; %bb.52:
	v_mov_b32_e32 v4, 0
	ds_load_b64 v[1:2], v4 offset:88
	s_and_saveexec_b32 s4, s1
	s_cbranch_execz .LBB2874_54
; %bb.53:
	s_add_co_i32 s16, s18, 32
	s_mov_b32 s17, 0
	s_wait_alu 0xfffe
	s_lshl_b64 s[16:17], s[16:17], 4
	s_wait_alu 0xfffe
	s_add_nc_u64 s[16:17], s[14:15], s[16:17]
	v_mov_b32_e32 v3, 1
	s_wait_alu 0xfffe
	v_dual_mov_b32 v5, s16 :: v_dual_mov_b32 v6, s17
	s_wait_dscnt 0x0
	;;#ASMSTART
	global_store_b128 v[5:6], v[1:4] off scope:SCOPE_DEV	
s_wait_storecnt 0x0
	;;#ASMEND
.LBB2874_54:
	s_wait_alu 0xfffe
	s_or_b32 exec_lo, exec_lo, s4
	v_xad_u32 v21, v42, -1, s18
	s_mov_b32 s5, 0
	s_mov_b32 s4, exec_lo
	s_delay_alu instid0(VALU_DEP_1) | instskip(NEXT) | instid1(VALU_DEP_1)
	v_add_nc_u32_e32 v3, 32, v21
	v_lshlrev_b64_e32 v[3:4], 4, v[3:4]
	s_delay_alu instid0(VALU_DEP_1) | instskip(SKIP_1) | instid1(VALU_DEP_2)
	v_add_co_u32 v3, vcc_lo, s14, v3
	s_wait_alu 0xfffd
	v_add_co_ci_u32_e64 v4, null, s15, v4, vcc_lo
	;;#ASMSTART
	global_load_b128 v[5:8], v[3:4] off scope:SCOPE_DEV	
s_wait_loadcnt 0x0
	;;#ASMEND
	v_and_b32_e32 v8, 0xff, v7
	s_delay_alu instid0(VALU_DEP_1)
	v_cmpx_eq_u16_e32 0, v8
	s_cbranch_execz .LBB2874_57
.LBB2874_55:                            ; =>This Inner Loop Header: Depth=1
	;;#ASMSTART
	global_load_b128 v[5:8], v[3:4] off scope:SCOPE_DEV	
s_wait_loadcnt 0x0
	;;#ASMEND
	v_and_b32_e32 v8, 0xff, v7
	s_delay_alu instid0(VALU_DEP_1)
	v_cmp_ne_u16_e32 vcc_lo, 0, v8
	s_wait_alu 0xfffe
	s_or_b32 s5, vcc_lo, s5
	s_wait_alu 0xfffe
	s_and_not1_b32 exec_lo, exec_lo, s5
	s_cbranch_execnz .LBB2874_55
; %bb.56:
	s_or_b32 exec_lo, exec_lo, s5
.LBB2874_57:
	s_wait_alu 0xfffe
	s_or_b32 exec_lo, exec_lo, s4
	v_cmp_ne_u32_e32 vcc_lo, 31, v42
	v_and_b32_e32 v4, 0xff, v7
	v_lshlrev_b32_e64 v28, v42, -1
	s_mov_b32 s4, exec_lo
	s_wait_alu 0xfffd
	v_add_co_ci_u32_e64 v3, null, 0, v42, vcc_lo
	v_cmp_eq_u16_e32 vcc_lo, 2, v4
	s_delay_alu instid0(VALU_DEP_2)
	v_dual_mov_b32 v4, v5 :: v_dual_lshlrev_b32 v27, 2, v3
	s_wait_alu 0xfffd
	v_and_or_b32 v3, vcc_lo, v28, 0x80000000
	ds_bpermute_b32 v22, v27, v5
	ds_bpermute_b32 v8, v27, v6
	v_ctz_i32_b32_e32 v3, v3
	s_delay_alu instid0(VALU_DEP_1)
	v_cmpx_lt_u32_e64 v42, v3
	s_cbranch_execz .LBB2874_59
; %bb.58:
	s_wait_dscnt 0x1
	v_add_co_u32 v4, vcc_lo, v5, v22
	s_wait_alu 0xfffd
	v_add_co_ci_u32_e64 v6, null, 0, v6, vcc_lo
	s_delay_alu instid0(VALU_DEP_2) | instskip(SKIP_2) | instid1(VALU_DEP_2)
	v_add_co_u32 v5, vcc_lo, 0, v4
	s_wait_dscnt 0x0
	s_wait_alu 0xfffd
	v_add_co_ci_u32_e64 v6, null, v8, v6, vcc_lo
.LBB2874_59:
	s_wait_alu 0xfffe
	s_or_b32 exec_lo, exec_lo, s4
	v_cmp_gt_u32_e32 vcc_lo, 30, v42
	v_add_nc_u32_e32 v30, 2, v42
	s_mov_b32 s4, exec_lo
	s_wait_dscnt 0x0
	s_wait_alu 0xfffd
	v_cndmask_b32_e64 v8, 0, 2, vcc_lo
	s_delay_alu instid0(VALU_DEP_1)
	v_add_lshl_u32 v29, v8, v42, 2
	ds_bpermute_b32 v22, v29, v4
	ds_bpermute_b32 v8, v29, v6
	v_cmpx_le_u32_e64 v30, v3
	s_cbranch_execz .LBB2874_61
; %bb.60:
	s_wait_dscnt 0x1
	v_add_co_u32 v4, vcc_lo, v5, v22
	s_wait_alu 0xfffd
	v_add_co_ci_u32_e64 v6, null, 0, v6, vcc_lo
	s_delay_alu instid0(VALU_DEP_2) | instskip(SKIP_2) | instid1(VALU_DEP_2)
	v_add_co_u32 v5, vcc_lo, 0, v4
	s_wait_dscnt 0x0
	s_wait_alu 0xfffd
	v_add_co_ci_u32_e64 v6, null, v8, v6, vcc_lo
.LBB2874_61:
	s_wait_alu 0xfffe
	s_or_b32 exec_lo, exec_lo, s4
	v_cmp_gt_u32_e32 vcc_lo, 28, v42
	v_add_nc_u32_e32 v45, 4, v42
	s_mov_b32 s4, exec_lo
	s_wait_dscnt 0x0
	s_wait_alu 0xfffd
	v_cndmask_b32_e64 v8, 0, 4, vcc_lo
	s_delay_alu instid0(VALU_DEP_1)
	v_add_lshl_u32 v44, v8, v42, 2
	ds_bpermute_b32 v22, v44, v4
	ds_bpermute_b32 v8, v44, v6
	v_cmpx_le_u32_e64 v45, v3
	;; [unrolled: 25-line block ×3, first 2 shown]
	s_cbranch_execz .LBB2874_65
; %bb.64:
	s_wait_dscnt 0x1
	v_add_co_u32 v4, vcc_lo, v5, v22
	s_wait_alu 0xfffd
	v_add_co_ci_u32_e64 v6, null, 0, v6, vcc_lo
	s_delay_alu instid0(VALU_DEP_2) | instskip(SKIP_2) | instid1(VALU_DEP_2)
	v_add_co_u32 v5, vcc_lo, 0, v4
	s_wait_dscnt 0x0
	s_wait_alu 0xfffd
	v_add_co_ci_u32_e64 v6, null, v8, v6, vcc_lo
.LBB2874_65:
	s_wait_alu 0xfffe
	s_or_b32 exec_lo, exec_lo, s4
	v_lshl_or_b32 v48, v42, 2, 64
	v_add_nc_u32_e32 v49, 16, v42
	s_mov_b32 s4, exec_lo
	s_wait_dscnt 0x0
	ds_bpermute_b32 v8, v48, v4
	ds_bpermute_b32 v4, v48, v6
	v_cmpx_le_u32_e64 v49, v3
	s_cbranch_execz .LBB2874_67
; %bb.66:
	s_wait_dscnt 0x1
	v_add_co_u32 v3, vcc_lo, v5, v8
	s_wait_alu 0xfffd
	v_add_co_ci_u32_e64 v6, null, 0, v6, vcc_lo
	s_delay_alu instid0(VALU_DEP_2) | instskip(SKIP_2) | instid1(VALU_DEP_2)
	v_add_co_u32 v5, vcc_lo, v3, 0
	s_wait_dscnt 0x0
	s_wait_alu 0xfffd
	v_add_co_ci_u32_e64 v6, null, v6, v4, vcc_lo
.LBB2874_67:
	s_wait_alu 0xfffe
	s_or_b32 exec_lo, exec_lo, s4
	v_mov_b32_e32 v22, 0
	s_branch .LBB2874_70
.LBB2874_68:                            ;   in Loop: Header=BB2874_70 Depth=1
	s_wait_alu 0xfffe
	s_or_b32 exec_lo, exec_lo, s4
	v_add_co_u32 v5, vcc_lo, v5, v3
	v_subrev_nc_u32_e32 v21, 32, v21
	s_wait_alu 0xfffd
	v_add_co_ci_u32_e64 v6, null, v6, v4, vcc_lo
	s_mov_b32 s4, 0
.LBB2874_69:                            ;   in Loop: Header=BB2874_70 Depth=1
	s_wait_alu 0xfffe
	s_and_b32 vcc_lo, exec_lo, s4
	s_wait_alu 0xfffe
	s_cbranch_vccnz .LBB2874_86
.LBB2874_70:                            ; =>This Loop Header: Depth=1
                                        ;     Child Loop BB2874_73 Depth 2
	v_and_b32_e32 v3, 0xff, v7
	s_mov_b32 s4, -1
	s_delay_alu instid0(VALU_DEP_1)
	v_cmp_ne_u16_e32 vcc_lo, 2, v3
	s_wait_dscnt 0x0
	v_dual_mov_b32 v3, v5 :: v_dual_mov_b32 v4, v6
                                        ; implicit-def: $vgpr5_vgpr6
	s_cmp_lg_u32 vcc_lo, exec_lo
	s_cbranch_scc1 .LBB2874_69
; %bb.71:                               ;   in Loop: Header=BB2874_70 Depth=1
	v_lshlrev_b64_e32 v[5:6], 4, v[21:22]
	s_mov_b32 s4, exec_lo
	s_delay_alu instid0(VALU_DEP_1) | instskip(SKIP_1) | instid1(VALU_DEP_2)
	v_add_co_u32 v23, vcc_lo, s14, v5
	s_wait_alu 0xfffd
	v_add_co_ci_u32_e64 v24, null, s15, v6, vcc_lo
	;;#ASMSTART
	global_load_b128 v[5:8], v[23:24] off scope:SCOPE_DEV	
s_wait_loadcnt 0x0
	;;#ASMEND
	v_and_b32_e32 v8, 0xff, v7
	s_delay_alu instid0(VALU_DEP_1)
	v_cmpx_eq_u16_e32 0, v8
	s_cbranch_execz .LBB2874_75
; %bb.72:                               ;   in Loop: Header=BB2874_70 Depth=1
	s_mov_b32 s5, 0
.LBB2874_73:                            ;   Parent Loop BB2874_70 Depth=1
                                        ; =>  This Inner Loop Header: Depth=2
	;;#ASMSTART
	global_load_b128 v[5:8], v[23:24] off scope:SCOPE_DEV	
s_wait_loadcnt 0x0
	;;#ASMEND
	v_and_b32_e32 v8, 0xff, v7
	s_delay_alu instid0(VALU_DEP_1)
	v_cmp_ne_u16_e32 vcc_lo, 0, v8
	s_wait_alu 0xfffe
	s_or_b32 s5, vcc_lo, s5
	s_wait_alu 0xfffe
	s_and_not1_b32 exec_lo, exec_lo, s5
	s_cbranch_execnz .LBB2874_73
; %bb.74:                               ;   in Loop: Header=BB2874_70 Depth=1
	s_or_b32 exec_lo, exec_lo, s5
.LBB2874_75:                            ;   in Loop: Header=BB2874_70 Depth=1
	s_wait_alu 0xfffe
	s_or_b32 exec_lo, exec_lo, s4
	v_dual_mov_b32 v23, v5 :: v_dual_and_b32 v8, 0xff, v7
	ds_bpermute_b32 v50, v27, v5
	ds_bpermute_b32 v24, v27, v6
	s_mov_b32 s4, exec_lo
	v_cmp_eq_u16_e32 vcc_lo, 2, v8
	s_wait_alu 0xfffd
	v_and_or_b32 v8, vcc_lo, v28, 0x80000000
	s_delay_alu instid0(VALU_DEP_1) | instskip(NEXT) | instid1(VALU_DEP_1)
	v_ctz_i32_b32_e32 v8, v8
	v_cmpx_lt_u32_e64 v42, v8
	s_cbranch_execz .LBB2874_77
; %bb.76:                               ;   in Loop: Header=BB2874_70 Depth=1
	s_wait_dscnt 0x1
	v_add_co_u32 v23, vcc_lo, v5, v50
	s_wait_alu 0xfffd
	v_add_co_ci_u32_e64 v6, null, 0, v6, vcc_lo
	s_delay_alu instid0(VALU_DEP_2) | instskip(SKIP_2) | instid1(VALU_DEP_2)
	v_add_co_u32 v5, vcc_lo, 0, v23
	s_wait_dscnt 0x0
	s_wait_alu 0xfffd
	v_add_co_ci_u32_e64 v6, null, v24, v6, vcc_lo
.LBB2874_77:                            ;   in Loop: Header=BB2874_70 Depth=1
	s_wait_alu 0xfffe
	s_or_b32 exec_lo, exec_lo, s4
	s_wait_dscnt 0x1
	ds_bpermute_b32 v50, v29, v23
	s_wait_dscnt 0x1
	ds_bpermute_b32 v24, v29, v6
	s_mov_b32 s4, exec_lo
	v_cmpx_le_u32_e64 v30, v8
	s_cbranch_execz .LBB2874_79
; %bb.78:                               ;   in Loop: Header=BB2874_70 Depth=1
	s_wait_dscnt 0x1
	v_add_co_u32 v23, vcc_lo, v5, v50
	s_wait_alu 0xfffd
	v_add_co_ci_u32_e64 v6, null, 0, v6, vcc_lo
	s_delay_alu instid0(VALU_DEP_2) | instskip(SKIP_2) | instid1(VALU_DEP_2)
	v_add_co_u32 v5, vcc_lo, 0, v23
	s_wait_dscnt 0x0
	s_wait_alu 0xfffd
	v_add_co_ci_u32_e64 v6, null, v24, v6, vcc_lo
.LBB2874_79:                            ;   in Loop: Header=BB2874_70 Depth=1
	s_wait_alu 0xfffe
	s_or_b32 exec_lo, exec_lo, s4
	s_wait_dscnt 0x1
	ds_bpermute_b32 v50, v44, v23
	s_wait_dscnt 0x1
	ds_bpermute_b32 v24, v44, v6
	s_mov_b32 s4, exec_lo
	v_cmpx_le_u32_e64 v45, v8
	;; [unrolled: 20-line block ×3, first 2 shown]
	s_cbranch_execz .LBB2874_83
; %bb.82:                               ;   in Loop: Header=BB2874_70 Depth=1
	s_wait_dscnt 0x1
	v_add_co_u32 v23, vcc_lo, v5, v50
	s_wait_alu 0xfffd
	v_add_co_ci_u32_e64 v6, null, 0, v6, vcc_lo
	s_delay_alu instid0(VALU_DEP_2) | instskip(SKIP_2) | instid1(VALU_DEP_2)
	v_add_co_u32 v5, vcc_lo, 0, v23
	s_wait_dscnt 0x0
	s_wait_alu 0xfffd
	v_add_co_ci_u32_e64 v6, null, v24, v6, vcc_lo
.LBB2874_83:                            ;   in Loop: Header=BB2874_70 Depth=1
	s_wait_alu 0xfffe
	s_or_b32 exec_lo, exec_lo, s4
	s_wait_dscnt 0x0
	ds_bpermute_b32 v24, v48, v23
	ds_bpermute_b32 v23, v48, v6
	s_mov_b32 s4, exec_lo
	v_cmpx_le_u32_e64 v49, v8
	s_cbranch_execz .LBB2874_68
; %bb.84:                               ;   in Loop: Header=BB2874_70 Depth=1
	s_wait_dscnt 0x1
	v_add_co_u32 v5, vcc_lo, v5, v24
	s_wait_alu 0xfffd
	v_add_co_ci_u32_e64 v6, null, 0, v6, vcc_lo
	s_delay_alu instid0(VALU_DEP_2) | instskip(SKIP_2) | instid1(VALU_DEP_2)
	v_add_co_u32 v5, vcc_lo, v5, 0
	s_wait_dscnt 0x0
	s_wait_alu 0xfffd
	v_add_co_ci_u32_e64 v6, null, v6, v23, vcc_lo
	s_branch .LBB2874_68
.LBB2874_85:
                                        ; implicit-def: $vgpr19_vgpr20
                                        ; implicit-def: $vgpr6_vgpr7
                                        ; implicit-def: $vgpr21_vgpr22
                                        ; implicit-def: $vgpr23_vgpr24
                                        ; implicit-def: $vgpr25_vgpr26
                                        ; implicit-def: $vgpr27_vgpr28
                                        ; implicit-def: $vgpr29_vgpr30
                                        ; implicit-def: $vgpr4_vgpr5
	s_wait_alu 0xfffe
	s_and_b32 vcc_lo, exec_lo, s1
	s_wait_alu 0xfffe
	s_cbranch_vccnz .LBB2874_91
	s_branch .LBB2874_118
.LBB2874_86:
	s_and_saveexec_b32 s4, s1
	s_cbranch_execz .LBB2874_88
; %bb.87:
	s_add_co_i32 s16, s18, 32
	s_mov_b32 s17, 0
	v_add_co_u32 v5, vcc_lo, v3, v1
	s_wait_alu 0xfffe
	s_lshl_b64 s[16:17], s[16:17], 4
	v_dual_mov_b32 v7, 2 :: v_dual_mov_b32 v8, 0
	s_wait_alu 0xfffe
	s_add_nc_u64 s[16:17], s[14:15], s[16:17]
	s_wait_alu 0xfffd
	v_add_co_ci_u32_e64 v6, null, v4, v2, vcc_lo
	s_wait_alu 0xfffe
	v_dual_mov_b32 v22, s17 :: v_dual_mov_b32 v21, s16
	;;#ASMSTART
	global_store_b128 v[21:22], v[5:8] off scope:SCOPE_DEV	
s_wait_storecnt 0x0
	;;#ASMEND
	ds_store_b128 v8, v[1:4] offset:10752
.LBB2874_88:
	s_wait_alu 0xfffe
	s_or_b32 exec_lo, exec_lo, s4
	s_delay_alu instid0(SALU_CYCLE_1)
	s_and_b32 exec_lo, exec_lo, s2
; %bb.89:
	v_mov_b32_e32 v1, 0
	ds_store_b64 v1, v[3:4] offset:88
.LBB2874_90:
	s_wait_alu 0xfffe
	s_or_b32 exec_lo, exec_lo, s3
	v_mov_b32_e32 v3, 0
	s_wait_loadcnt_dscnt 0x0
	s_barrier_signal -1
	s_barrier_wait -1
	global_inv scope:SCOPE_SE
	ds_load_b64 v[1:2], v3 offset:88
	v_cndmask_b32_e64 v4, v25, v19, s1
	v_cndmask_b32_e64 v5, v26, v20, s1
	s_wait_loadcnt_dscnt 0x0
	s_barrier_signal -1
	s_barrier_wait -1
	v_cndmask_b32_e64 v4, v4, 0, s2
	v_cndmask_b32_e64 v5, v5, 0, s2
	global_inv scope:SCOPE_SE
	v_add_co_u32 v29, vcc_lo, v1, v4
	s_wait_alu 0xfffd
	v_add_co_ci_u32_e64 v30, null, v2, v5, vcc_lo
	ds_load_b128 v[2:5], v3 offset:10752
	v_add_co_u32 v27, vcc_lo, v29, v39
	s_wait_alu 0xfffd
	v_add_co_ci_u32_e64 v28, null, 0, v30, vcc_lo
	s_delay_alu instid0(VALU_DEP_2) | instskip(SKIP_1) | instid1(VALU_DEP_2)
	v_add_co_u32 v25, vcc_lo, v27, v38
	s_wait_alu 0xfffd
	v_add_co_ci_u32_e64 v26, null, 0, v28, vcc_lo
	s_delay_alu instid0(VALU_DEP_2) | instskip(SKIP_1) | instid1(VALU_DEP_2)
	;; [unrolled: 4-line block ×5, first 2 shown]
	v_add_co_u32 v19, vcc_lo, v6, v37
	s_wait_alu 0xfffd
	v_add_co_ci_u32_e64 v20, null, 0, v7, vcc_lo
	s_branch .LBB2874_118
.LBB2874_91:
	s_wait_dscnt 0x0
	v_dual_mov_b32 v2, 0 :: v_dual_mov_b32 v3, v17
	v_mov_b32_dpp v4, v17 row_shr:1 row_mask:0xf bank_mask:0xf
	s_delay_alu instid0(VALU_DEP_2)
	v_mov_b32_dpp v1, v2 row_shr:1 row_mask:0xf bank_mask:0xf
	s_and_saveexec_b32 s1, s0
; %bb.92:
	s_delay_alu instid0(VALU_DEP_2) | instskip(SKIP_2) | instid1(VALU_DEP_2)
	v_add_co_u32 v3, vcc_lo, v17, v4
	s_wait_alu 0xfffd
	v_add_co_ci_u32_e64 v2, null, 0, v18, vcc_lo
	v_add_co_u32 v17, vcc_lo, 0, v3
	s_wait_alu 0xfffd
	s_delay_alu instid0(VALU_DEP_2) | instskip(NEXT) | instid1(VALU_DEP_1)
	v_add_co_ci_u32_e64 v18, null, v1, v2, vcc_lo
	v_mov_b32_e32 v2, v18
; %bb.93:
	s_wait_alu 0xfffe
	s_or_b32 exec_lo, exec_lo, s1
	v_mov_b32_dpp v1, v3 row_shr:2 row_mask:0xf bank_mask:0xf
	s_delay_alu instid0(VALU_DEP_2)
	v_mov_b32_dpp v4, v2 row_shr:2 row_mask:0xf bank_mask:0xf
	v_cmp_lt_u32_e32 vcc_lo, 1, v43
	s_and_saveexec_b32 s3, vcc_lo
; %bb.94:
	s_delay_alu instid0(VALU_DEP_3) | instskip(SKIP_2) | instid1(VALU_DEP_2)
	v_add_co_u32 v3, s1, v17, v1
	s_wait_alu 0xf1ff
	v_add_co_ci_u32_e64 v2, null, 0, v18, s1
	v_add_co_u32 v1, s1, 0, v3
	s_wait_alu 0xf1ff
	s_delay_alu instid0(VALU_DEP_2) | instskip(NEXT) | instid1(VALU_DEP_1)
	v_add_co_ci_u32_e64 v2, null, v4, v2, s1
	v_dual_mov_b32 v18, v2 :: v_dual_mov_b32 v17, v1
; %bb.95:
	s_wait_alu 0xfffe
	s_or_b32 exec_lo, exec_lo, s3
	v_mov_b32_dpp v1, v3 row_shr:4 row_mask:0xf bank_mask:0xf
	v_mov_b32_dpp v4, v2 row_shr:4 row_mask:0xf bank_mask:0xf
	v_cmp_lt_u32_e64 s1, 3, v43
	s_and_saveexec_b32 s4, s1
; %bb.96:
	v_add_co_u32 v3, s3, v17, v1
	s_wait_alu 0xf1ff
	v_add_co_ci_u32_e64 v2, null, 0, v18, s3
	s_delay_alu instid0(VALU_DEP_2) | instskip(SKIP_1) | instid1(VALU_DEP_2)
	v_add_co_u32 v1, s3, 0, v3
	s_wait_alu 0xf1ff
	v_add_co_ci_u32_e64 v2, null, v4, v2, s3
	s_delay_alu instid0(VALU_DEP_1)
	v_dual_mov_b32 v18, v2 :: v_dual_mov_b32 v17, v1
; %bb.97:
	s_wait_alu 0xfffe
	s_or_b32 exec_lo, exec_lo, s4
	v_mov_b32_dpp v4, v3 row_shr:8 row_mask:0xf bank_mask:0xf
	v_mov_b32_dpp v1, v2 row_shr:8 row_mask:0xf bank_mask:0xf
	v_cmp_lt_u32_e64 s3, 7, v43
	s_and_saveexec_b32 s5, s3
; %bb.98:
	v_add_co_u32 v3, s4, v17, v4
	s_wait_alu 0xf1ff
	v_add_co_ci_u32_e64 v2, null, 0, v18, s4
	s_delay_alu instid0(VALU_DEP_2) | instskip(SKIP_1) | instid1(VALU_DEP_2)
	v_add_co_u32 v17, s4, 0, v3
	s_wait_alu 0xf1ff
	v_add_co_ci_u32_e64 v18, null, v1, v2, s4
	s_delay_alu instid0(VALU_DEP_1)
	v_mov_b32_e32 v2, v18
; %bb.99:
	s_wait_alu 0xfffe
	s_or_b32 exec_lo, exec_lo, s5
	ds_swizzle_b32 v3, v3 offset:swizzle(BROADCAST,32,15)
	ds_swizzle_b32 v1, v2 offset:swizzle(BROADCAST,32,15)
	v_and_b32_e32 v2, 16, v42
	s_mov_b32 s5, exec_lo
	s_delay_alu instid0(VALU_DEP_1)
	v_cmpx_ne_u32_e32 0, v2
	s_cbranch_execz .LBB2874_101
; %bb.100:
	s_wait_dscnt 0x1
	v_add_co_u32 v2, s4, v17, v3
	s_wait_alu 0xf1ff
	v_add_co_ci_u32_e64 v3, null, 0, v18, s4
	s_delay_alu instid0(VALU_DEP_2) | instskip(SKIP_2) | instid1(VALU_DEP_2)
	v_add_co_u32 v17, s4, v2, 0
	s_wait_dscnt 0x0
	s_wait_alu 0xf1ff
	v_add_co_ci_u32_e64 v18, null, v3, v1, s4
.LBB2874_101:
	s_wait_alu 0xfffe
	s_or_b32 exec_lo, exec_lo, s5
	s_wait_dscnt 0x0
	v_and_b32_e32 v1, 0x1e0, v0
	v_lshrrev_b32_e32 v3, 5, v0
	s_mov_b32 s5, exec_lo
	s_delay_alu instid0(VALU_DEP_2) | instskip(NEXT) | instid1(VALU_DEP_1)
	v_min_u32_e32 v1, 0x160, v1
	v_or_b32_e32 v1, 31, v1
	s_delay_alu instid0(VALU_DEP_1)
	v_cmpx_eq_u32_e64 v0, v1
; %bb.102:
	v_lshlrev_b32_e32 v1, 3, v3
	ds_store_b64 v1, v[17:18]
; %bb.103:
	s_wait_alu 0xfffe
	s_or_b32 exec_lo, exec_lo, s5
	s_delay_alu instid0(SALU_CYCLE_1)
	s_mov_b32 s5, exec_lo
	s_wait_loadcnt_dscnt 0x0
	s_barrier_signal -1
	s_barrier_wait -1
	global_inv scope:SCOPE_SE
	v_cmpx_gt_u32_e32 12, v0
	s_cbranch_execz .LBB2874_113
; %bb.104:
	v_mad_i32_i24 v1, 0xffffffec, v0, v32
	ds_load_b64 v[1:2], v1
	s_wait_dscnt 0x0
	v_mov_b32_dpp v6, v1 row_shr:1 row_mask:0xf bank_mask:0xf
	v_mov_b32_dpp v5, v2 row_shr:1 row_mask:0xf bank_mask:0xf
	v_mov_b32_e32 v4, v1
	s_and_saveexec_b32 s4, s0
; %bb.105:
	s_delay_alu instid0(VALU_DEP_3) | instskip(SKIP_2) | instid1(VALU_DEP_2)
	v_add_co_u32 v4, s0, v1, v6
	s_wait_alu 0xf1ff
	v_add_co_ci_u32_e64 v2, null, 0, v2, s0
	v_add_co_u32 v1, s0, 0, v4
	s_wait_alu 0xf1ff
	s_delay_alu instid0(VALU_DEP_2)
	v_add_co_ci_u32_e64 v2, null, v5, v2, s0
; %bb.106:
	s_wait_alu 0xfffe
	s_or_b32 exec_lo, exec_lo, s4
	v_mov_b32_dpp v6, v4 row_shr:2 row_mask:0xf bank_mask:0xf
	s_delay_alu instid0(VALU_DEP_2)
	v_mov_b32_dpp v5, v2 row_shr:2 row_mask:0xf bank_mask:0xf
	s_and_saveexec_b32 s0, vcc_lo
; %bb.107:
	s_delay_alu instid0(VALU_DEP_2) | instskip(SKIP_2) | instid1(VALU_DEP_2)
	v_add_co_u32 v4, vcc_lo, v1, v6
	s_wait_alu 0xfffd
	v_add_co_ci_u32_e64 v2, null, 0, v2, vcc_lo
	v_add_co_u32 v1, vcc_lo, 0, v4
	s_wait_alu 0xfffd
	s_delay_alu instid0(VALU_DEP_2)
	v_add_co_ci_u32_e64 v2, null, v5, v2, vcc_lo
; %bb.108:
	s_wait_alu 0xfffe
	s_or_b32 exec_lo, exec_lo, s0
	v_mov_b32_dpp v6, v4 row_shr:4 row_mask:0xf bank_mask:0xf
	s_delay_alu instid0(VALU_DEP_2)
	v_mov_b32_dpp v5, v2 row_shr:4 row_mask:0xf bank_mask:0xf
	s_and_saveexec_b32 s0, s1
; %bb.109:
	s_delay_alu instid0(VALU_DEP_2) | instskip(SKIP_2) | instid1(VALU_DEP_2)
	v_add_co_u32 v4, vcc_lo, v1, v6
	s_wait_alu 0xfffd
	v_add_co_ci_u32_e64 v2, null, 0, v2, vcc_lo
	v_add_co_u32 v1, vcc_lo, 0, v4
	s_wait_alu 0xfffd
	s_delay_alu instid0(VALU_DEP_2)
	v_add_co_ci_u32_e64 v2, null, v5, v2, vcc_lo
; %bb.110:
	s_wait_alu 0xfffe
	s_or_b32 exec_lo, exec_lo, s0
	v_mul_i32_i24_e32 v5, 0xffffffec, v0
	v_mov_b32_dpp v6, v4 row_shr:8 row_mask:0xf bank_mask:0xf
	v_mov_b32_dpp v4, v2 row_shr:8 row_mask:0xf bank_mask:0xf
	s_and_saveexec_b32 s0, s3
; %bb.111:
	s_delay_alu instid0(VALU_DEP_2) | instskip(SKIP_2) | instid1(VALU_DEP_2)
	v_add_co_u32 v1, vcc_lo, v1, v6
	s_wait_alu 0xfffd
	v_add_co_ci_u32_e64 v2, null, 0, v2, vcc_lo
	v_add_co_u32 v1, vcc_lo, v1, 0
	s_wait_alu 0xfffd
	s_delay_alu instid0(VALU_DEP_2)
	v_add_co_ci_u32_e64 v2, null, v2, v4, vcc_lo
; %bb.112:
	s_wait_alu 0xfffe
	s_or_b32 exec_lo, exec_lo, s0
	v_add_nc_u32_e32 v4, v32, v5
	ds_store_b64 v4, v[1:2]
.LBB2874_113:
	s_wait_alu 0xfffe
	s_or_b32 exec_lo, exec_lo, s5
	v_mov_b32_e32 v6, 0
	v_mov_b32_e32 v7, 0
	s_mov_b32 s0, exec_lo
	s_wait_loadcnt_dscnt 0x0
	s_barrier_signal -1
	s_barrier_wait -1
	global_inv scope:SCOPE_SE
	v_cmpx_lt_u32_e32 31, v0
; %bb.114:
	v_lshl_add_u32 v1, v3, 3, -8
	ds_load_b64 v[6:7], v1
; %bb.115:
	s_wait_alu 0xfffe
	s_or_b32 exec_lo, exec_lo, s0
	v_sub_co_u32 v1, vcc_lo, v42, 1
	v_mov_b32_e32 v5, 0
	s_delay_alu instid0(VALU_DEP_2) | instskip(SKIP_1) | instid1(VALU_DEP_1)
	v_cmp_gt_i32_e64 s0, 0, v1
	s_wait_alu 0xf1ff
	v_cndmask_b32_e64 v1, v1, v42, s0
	s_delay_alu instid0(VALU_DEP_1)
	v_lshlrev_b32_e32 v2, 2, v1
	s_wait_dscnt 0x0
	v_add_co_u32 v1, s0, v6, v17
	s_wait_alu 0xf1ff
	v_add_co_ci_u32_e64 v3, null, v7, v18, s0
	ds_bpermute_b32 v1, v2, v1
	ds_bpermute_b32 v8, v2, v3
	ds_load_b64 v[2:3], v5 offset:88
	s_and_saveexec_b32 s0, s2
	s_cbranch_execz .LBB2874_117
; %bb.116:
	s_add_nc_u64 s[4:5], s[14:15], 0x200
	v_mov_b32_e32 v4, 2
	s_wait_alu 0xfffe
	v_dual_mov_b32 v18, s5 :: v_dual_mov_b32 v17, s4
	s_wait_dscnt 0x0
	;;#ASMSTART
	global_store_b128 v[17:18], v[2:5] off scope:SCOPE_DEV	
s_wait_storecnt 0x0
	;;#ASMEND
.LBB2874_117:
	s_wait_alu 0xfffe
	s_or_b32 exec_lo, exec_lo, s0
	s_wait_dscnt 0x1
	s_wait_alu 0xfffd
	v_dual_cndmask_b32 v1, v1, v6 :: v_dual_cndmask_b32 v4, v8, v7
	s_wait_loadcnt_dscnt 0x0
	s_barrier_signal -1
	s_barrier_wait -1
	s_delay_alu instid0(VALU_DEP_1)
	v_cndmask_b32_e64 v29, v1, 0, s2
	v_cndmask_b32_e64 v30, v4, 0, s2
	v_mov_b32_e32 v4, 0
	v_mov_b32_e32 v5, 0
	global_inv scope:SCOPE_SE
	v_add_co_u32 v27, vcc_lo, v29, v39
	s_wait_alu 0xfffd
	v_add_co_ci_u32_e64 v28, null, 0, v30, vcc_lo
	s_delay_alu instid0(VALU_DEP_2) | instskip(SKIP_1) | instid1(VALU_DEP_2)
	v_add_co_u32 v25, vcc_lo, v27, v38
	s_wait_alu 0xfffd
	v_add_co_ci_u32_e64 v26, null, 0, v28, vcc_lo
	s_delay_alu instid0(VALU_DEP_2) | instskip(SKIP_1) | instid1(VALU_DEP_2)
	;; [unrolled: 4-line block ×5, first 2 shown]
	v_add_co_u32 v19, vcc_lo, v6, v37
	s_wait_alu 0xfffd
	v_add_co_ci_u32_e64 v20, null, 0, v7, vcc_lo
.LBB2874_118:
	v_and_b32_e32 v37, 1, v31
	s_wait_dscnt 0x0
	v_cmp_gt_u64_e32 vcc_lo, 0x181, v[2:3]
	v_lshlrev_b64_e32 v[17:18], 2, v[9:10]
	v_lshrrev_b32_e32 v8, 8, v31
	v_lshrrev_b32_e32 v1, 16, v31
	v_cmp_eq_u32_e64 s0, 1, v37
	s_mov_b32 s1, -1
	s_cbranch_vccnz .LBB2874_122
; %bb.119:
	s_wait_alu 0xfffe
	s_and_b32 vcc_lo, exec_lo, s1
	s_wait_alu 0xfffe
	s_cbranch_vccnz .LBB2874_137
.LBB2874_120:
	s_and_b32 s0, s2, s7
	s_wait_alu 0xfffe
	s_and_saveexec_b32 s1, s0
	s_cbranch_execnz .LBB2874_154
.LBB2874_121:
	s_endpgm
.LBB2874_122:
	v_add_co_u32 v31, vcc_lo, v4, v2
	s_wait_alu 0xfffd
	v_add_co_ci_u32_e64 v32, null, v5, v3, vcc_lo
	v_add_co_u32 v38, s1, s12, v17
	s_wait_alu 0xf1fe
	v_add_co_ci_u32_e64 v39, null, s13, v18, s1
	s_delay_alu instid0(VALU_DEP_3)
	v_cmp_lt_u64_e32 vcc_lo, v[29:30], v[31:32]
	s_or_b32 s1, s10, vcc_lo
	s_wait_alu 0xfffe
	s_and_b32 s1, s1, s0
	s_wait_alu 0xfffe
	s_and_saveexec_b32 s0, s1
	s_cbranch_execz .LBB2874_124
; %bb.123:
	v_lshlrev_b64_e32 v[40:41], 2, v[29:30]
	s_delay_alu instid0(VALU_DEP_1) | instskip(SKIP_1) | instid1(VALU_DEP_2)
	v_add_co_u32 v40, vcc_lo, v38, v40
	s_wait_alu 0xfffd
	v_add_co_ci_u32_e64 v41, null, v39, v41, vcc_lo
	global_store_b32 v[40:41], v15, off
.LBB2874_124:
	s_wait_alu 0xfffe
	s_or_b32 exec_lo, exec_lo, s0
	v_and_b32_e32 v30, 1, v8
	v_cmp_lt_u64_e32 vcc_lo, v[27:28], v[31:32]
	s_delay_alu instid0(VALU_DEP_2)
	v_cmp_eq_u32_e64 s0, 1, v30
	s_or_b32 s1, s10, vcc_lo
	s_wait_alu 0xfffe
	s_and_b32 s1, s1, s0
	s_wait_alu 0xfffe
	s_and_saveexec_b32 s0, s1
	s_cbranch_execz .LBB2874_126
; %bb.125:
	v_lshlrev_b64_e32 v[40:41], 2, v[27:28]
	s_delay_alu instid0(VALU_DEP_1) | instskip(SKIP_1) | instid1(VALU_DEP_2)
	v_add_co_u32 v40, vcc_lo, v38, v40
	s_wait_alu 0xfffd
	v_add_co_ci_u32_e64 v41, null, v39, v41, vcc_lo
	global_store_b32 v[40:41], v16, off
.LBB2874_126:
	s_wait_alu 0xfffe
	s_or_b32 exec_lo, exec_lo, s0
	v_and_b32_e32 v28, 1, v1
	v_cmp_lt_u64_e32 vcc_lo, v[25:26], v[31:32]
	s_delay_alu instid0(VALU_DEP_2)
	v_cmp_eq_u32_e64 s0, 1, v28
	;; [unrolled: 20-line block ×5, first 2 shown]
	s_or_b32 s1, s10, vcc_lo
	s_wait_alu 0xfffe
	s_and_b32 s1, s1, s0
	s_wait_alu 0xfffe
	s_and_saveexec_b32 s0, s1
	s_cbranch_execz .LBB2874_134
; %bb.133:
	v_lshlrev_b64_e32 v[40:41], 2, v[6:7]
	s_delay_alu instid0(VALU_DEP_1) | instskip(SKIP_1) | instid1(VALU_DEP_2)
	v_add_co_u32 v40, vcc_lo, v38, v40
	s_wait_alu 0xfffd
	v_add_co_ci_u32_e64 v41, null, v39, v41, vcc_lo
	global_store_b32 v[40:41], v12, off
.LBB2874_134:
	s_wait_alu 0xfffe
	s_or_b32 exec_lo, exec_lo, s0
	v_cmp_lt_u64_e32 vcc_lo, v[19:20], v[31:32]
	s_or_b32 s0, s10, vcc_lo
	s_wait_alu 0xfffe
	s_and_b32 s1, s0, s11
	s_wait_alu 0xfffe
	s_and_saveexec_b32 s0, s1
	s_cbranch_execz .LBB2874_136
; %bb.135:
	v_lshlrev_b64_e32 v[30:31], 2, v[19:20]
	s_delay_alu instid0(VALU_DEP_1) | instskip(SKIP_1) | instid1(VALU_DEP_2)
	v_add_co_u32 v30, vcc_lo, v38, v30
	s_wait_alu 0xfffd
	v_add_co_ci_u32_e64 v31, null, v39, v31, vcc_lo
	global_store_b32 v[30:31], v33, off
.LBB2874_136:
	s_wait_alu 0xfffe
	s_or_b32 exec_lo, exec_lo, s0
	s_branch .LBB2874_120
.LBB2874_137:
	s_mov_b32 s0, exec_lo
	v_cmpx_eq_u32_e32 1, v37
; %bb.138:
	v_sub_nc_u32_e32 v7, v29, v4
	s_delay_alu instid0(VALU_DEP_1)
	v_lshlrev_b32_e32 v7, 2, v7
	ds_store_b32 v7, v15
; %bb.139:
	s_wait_alu 0xfffe
	s_or_b32 exec_lo, exec_lo, s0
	v_and_b32_e32 v7, 1, v8
	s_mov_b32 s0, exec_lo
	s_delay_alu instid0(VALU_DEP_1)
	v_cmpx_eq_u32_e32 1, v7
; %bb.140:
	v_sub_nc_u32_e32 v7, v27, v4
	s_delay_alu instid0(VALU_DEP_1)
	v_lshlrev_b32_e32 v7, 2, v7
	ds_store_b32 v7, v16
; %bb.141:
	s_wait_alu 0xfffe
	s_or_b32 exec_lo, exec_lo, s0
	v_and_b32_e32 v1, 1, v1
	s_mov_b32 s0, exec_lo
	s_delay_alu instid0(VALU_DEP_1)
	v_cmpx_eq_u32_e32 1, v1
; %bb.142:
	v_sub_nc_u32_e32 v1, v25, v4
	s_delay_alu instid0(VALU_DEP_1)
	v_lshlrev_b32_e32 v1, 2, v1
	ds_store_b32 v1, v13
; %bb.143:
	s_wait_alu 0xfffe
	s_or_b32 exec_lo, exec_lo, s0
	v_and_b32_e32 v1, 1, v36
	s_mov_b32 s0, exec_lo
	s_delay_alu instid0(VALU_DEP_1)
	v_cmpx_eq_u32_e32 1, v1
; %bb.144:
	v_sub_nc_u32_e32 v1, v23, v4
	s_delay_alu instid0(VALU_DEP_1)
	v_lshlrev_b32_e32 v1, 2, v1
	ds_store_b32 v1, v14
; %bb.145:
	s_wait_alu 0xfffe
	s_or_b32 exec_lo, exec_lo, s0
	v_and_b32_e32 v1, 1, v35
	s_mov_b32 s0, exec_lo
	s_delay_alu instid0(VALU_DEP_1)
	v_cmpx_eq_u32_e32 1, v1
; %bb.146:
	v_sub_nc_u32_e32 v1, v21, v4
	s_delay_alu instid0(VALU_DEP_1)
	v_lshlrev_b32_e32 v1, 2, v1
	ds_store_b32 v1, v11
; %bb.147:
	s_wait_alu 0xfffe
	s_or_b32 exec_lo, exec_lo, s0
	v_and_b32_e32 v1, 1, v34
	s_mov_b32 s0, exec_lo
	s_delay_alu instid0(VALU_DEP_1)
	v_cmpx_eq_u32_e32 1, v1
; %bb.148:
	v_sub_nc_u32_e32 v1, v6, v4
	s_delay_alu instid0(VALU_DEP_1)
	v_lshlrev_b32_e32 v1, 2, v1
	ds_store_b32 v1, v12
; %bb.149:
	s_wait_alu 0xfffe
	s_or_b32 exec_lo, exec_lo, s0
	s_and_saveexec_b32 s0, s11
; %bb.150:
	v_sub_nc_u32_e32 v1, v19, v4
	s_delay_alu instid0(VALU_DEP_1)
	v_lshlrev_b32_e32 v1, 2, v1
	ds_store_b32 v1, v33
; %bb.151:
	s_wait_alu 0xfffe
	s_or_b32 exec_lo, exec_lo, s0
	v_lshlrev_b64_e32 v[11:12], 2, v[4:5]
	v_add_co_u32 v8, vcc_lo, s12, v17
	v_mov_b32_e32 v1, 0
	s_wait_alu 0xfffd
	v_add_co_ci_u32_e64 v13, null, s13, v18, vcc_lo
	s_delay_alu instid0(VALU_DEP_3) | instskip(NEXT) | instid1(VALU_DEP_3)
	v_add_co_u32 v8, vcc_lo, v8, v11
	v_dual_mov_b32 v7, v1 :: v_dual_mov_b32 v6, v0
	s_wait_alu 0xfffd
	s_delay_alu instid0(VALU_DEP_3)
	v_add_co_ci_u32_e64 v11, null, v13, v12, vcc_lo
	v_add_nc_u32_e32 v0, 0x180, v0
	s_mov_b32 s1, 0
	s_wait_storecnt 0x0
	s_wait_loadcnt_dscnt 0x0
	s_barrier_signal -1
	s_barrier_wait -1
	global_inv scope:SCOPE_SE
.LBB2874_152:                           ; =>This Inner Loop Header: Depth=1
	v_lshlrev_b32_e32 v12, 2, v6
	v_cmp_le_u64_e32 vcc_lo, v[2:3], v[0:1]
	ds_load_b32 v14, v12
	v_lshlrev_b64_e32 v[12:13], 2, v[6:7]
	v_dual_mov_b32 v7, v1 :: v_dual_mov_b32 v6, v0
	v_add_nc_u32_e32 v0, 0x180, v0
	s_wait_alu 0xfffe
	s_or_b32 s1, vcc_lo, s1
	s_delay_alu instid0(VALU_DEP_3)
	v_add_co_u32 v12, s0, v8, v12
	s_wait_alu 0xf1ff
	v_add_co_ci_u32_e64 v13, null, v11, v13, s0
	s_wait_dscnt 0x0
	global_store_b32 v[12:13], v14, off
	s_wait_alu 0xfffe
	s_and_not1_b32 exec_lo, exec_lo, s1
	s_cbranch_execnz .LBB2874_152
; %bb.153:
	s_or_b32 exec_lo, exec_lo, s1
	s_and_b32 s0, s2, s7
	s_wait_alu 0xfffe
	s_and_saveexec_b32 s1, s0
	s_cbranch_execz .LBB2874_121
.LBB2874_154:
	v_add_co_u32 v0, vcc_lo, v4, v2
	s_wait_alu 0xfffd
	v_add_co_ci_u32_e64 v1, null, v5, v3, vcc_lo
	v_mov_b32_e32 v2, 0
	s_delay_alu instid0(VALU_DEP_3) | instskip(SKIP_1) | instid1(VALU_DEP_3)
	v_add_co_u32 v0, vcc_lo, v0, v9
	s_wait_alu 0xfffd
	v_add_co_ci_u32_e64 v1, null, v1, v10, vcc_lo
	global_store_b64 v2, v[0:1], s[8:9]
	s_endpgm
	.section	.rodata,"a",@progbits
	.p2align	6, 0x0
	.amdhsa_kernel _ZN7rocprim17ROCPRIM_400000_NS6detail17trampoline_kernelINS0_14default_configENS1_25partition_config_selectorILNS1_17partition_subalgoE6EiNS0_10empty_typeEbEEZZNS1_14partition_implILS5_6ELb0ES3_mN6thrust23THRUST_200600_302600_NS10device_ptrIiEEPS6_SD_NS0_5tupleIJSC_S6_EEENSE_IJSD_SD_EEES6_PlJNSA_6detail9not_fun_tINSI_10functional5actorINSK_9compositeIJNSK_27transparent_binary_operatorINSA_8equal_toIvEEEENSL_INSK_8argumentILj0EEEEENSK_5valueIiEEEEEEEEEEEE10hipError_tPvRmT3_T4_T5_T6_T7_T9_mT8_P12ihipStream_tbDpT10_ENKUlT_T0_E_clISt17integral_constantIbLb0EES1H_IbLb1EEEEDaS1D_S1E_EUlS1D_E_NS1_11comp_targetILNS1_3genE10ELNS1_11target_archE1200ELNS1_3gpuE4ELNS1_3repE0EEENS1_30default_config_static_selectorELNS0_4arch9wavefront6targetE0EEEvT1_
		.amdhsa_group_segment_fixed_size 10768
		.amdhsa_private_segment_fixed_size 0
		.amdhsa_kernarg_size 128
		.amdhsa_user_sgpr_count 2
		.amdhsa_user_sgpr_dispatch_ptr 0
		.amdhsa_user_sgpr_queue_ptr 0
		.amdhsa_user_sgpr_kernarg_segment_ptr 1
		.amdhsa_user_sgpr_dispatch_id 0
		.amdhsa_user_sgpr_private_segment_size 0
		.amdhsa_wavefront_size32 1
		.amdhsa_uses_dynamic_stack 0
		.amdhsa_enable_private_segment 0
		.amdhsa_system_sgpr_workgroup_id_x 1
		.amdhsa_system_sgpr_workgroup_id_y 0
		.amdhsa_system_sgpr_workgroup_id_z 0
		.amdhsa_system_sgpr_workgroup_info 0
		.amdhsa_system_vgpr_workitem_id 0
		.amdhsa_next_free_vgpr 51
		.amdhsa_next_free_sgpr 21
		.amdhsa_reserve_vcc 1
		.amdhsa_float_round_mode_32 0
		.amdhsa_float_round_mode_16_64 0
		.amdhsa_float_denorm_mode_32 3
		.amdhsa_float_denorm_mode_16_64 3
		.amdhsa_fp16_overflow 0
		.amdhsa_workgroup_processor_mode 1
		.amdhsa_memory_ordered 1
		.amdhsa_forward_progress 1
		.amdhsa_inst_pref_size 60
		.amdhsa_round_robin_scheduling 0
		.amdhsa_exception_fp_ieee_invalid_op 0
		.amdhsa_exception_fp_denorm_src 0
		.amdhsa_exception_fp_ieee_div_zero 0
		.amdhsa_exception_fp_ieee_overflow 0
		.amdhsa_exception_fp_ieee_underflow 0
		.amdhsa_exception_fp_ieee_inexact 0
		.amdhsa_exception_int_div_zero 0
	.end_amdhsa_kernel
	.section	.text._ZN7rocprim17ROCPRIM_400000_NS6detail17trampoline_kernelINS0_14default_configENS1_25partition_config_selectorILNS1_17partition_subalgoE6EiNS0_10empty_typeEbEEZZNS1_14partition_implILS5_6ELb0ES3_mN6thrust23THRUST_200600_302600_NS10device_ptrIiEEPS6_SD_NS0_5tupleIJSC_S6_EEENSE_IJSD_SD_EEES6_PlJNSA_6detail9not_fun_tINSI_10functional5actorINSK_9compositeIJNSK_27transparent_binary_operatorINSA_8equal_toIvEEEENSL_INSK_8argumentILj0EEEEENSK_5valueIiEEEEEEEEEEEE10hipError_tPvRmT3_T4_T5_T6_T7_T9_mT8_P12ihipStream_tbDpT10_ENKUlT_T0_E_clISt17integral_constantIbLb0EES1H_IbLb1EEEEDaS1D_S1E_EUlS1D_E_NS1_11comp_targetILNS1_3genE10ELNS1_11target_archE1200ELNS1_3gpuE4ELNS1_3repE0EEENS1_30default_config_static_selectorELNS0_4arch9wavefront6targetE0EEEvT1_,"axG",@progbits,_ZN7rocprim17ROCPRIM_400000_NS6detail17trampoline_kernelINS0_14default_configENS1_25partition_config_selectorILNS1_17partition_subalgoE6EiNS0_10empty_typeEbEEZZNS1_14partition_implILS5_6ELb0ES3_mN6thrust23THRUST_200600_302600_NS10device_ptrIiEEPS6_SD_NS0_5tupleIJSC_S6_EEENSE_IJSD_SD_EEES6_PlJNSA_6detail9not_fun_tINSI_10functional5actorINSK_9compositeIJNSK_27transparent_binary_operatorINSA_8equal_toIvEEEENSL_INSK_8argumentILj0EEEEENSK_5valueIiEEEEEEEEEEEE10hipError_tPvRmT3_T4_T5_T6_T7_T9_mT8_P12ihipStream_tbDpT10_ENKUlT_T0_E_clISt17integral_constantIbLb0EES1H_IbLb1EEEEDaS1D_S1E_EUlS1D_E_NS1_11comp_targetILNS1_3genE10ELNS1_11target_archE1200ELNS1_3gpuE4ELNS1_3repE0EEENS1_30default_config_static_selectorELNS0_4arch9wavefront6targetE0EEEvT1_,comdat
.Lfunc_end2874:
	.size	_ZN7rocprim17ROCPRIM_400000_NS6detail17trampoline_kernelINS0_14default_configENS1_25partition_config_selectorILNS1_17partition_subalgoE6EiNS0_10empty_typeEbEEZZNS1_14partition_implILS5_6ELb0ES3_mN6thrust23THRUST_200600_302600_NS10device_ptrIiEEPS6_SD_NS0_5tupleIJSC_S6_EEENSE_IJSD_SD_EEES6_PlJNSA_6detail9not_fun_tINSI_10functional5actorINSK_9compositeIJNSK_27transparent_binary_operatorINSA_8equal_toIvEEEENSL_INSK_8argumentILj0EEEEENSK_5valueIiEEEEEEEEEEEE10hipError_tPvRmT3_T4_T5_T6_T7_T9_mT8_P12ihipStream_tbDpT10_ENKUlT_T0_E_clISt17integral_constantIbLb0EES1H_IbLb1EEEEDaS1D_S1E_EUlS1D_E_NS1_11comp_targetILNS1_3genE10ELNS1_11target_archE1200ELNS1_3gpuE4ELNS1_3repE0EEENS1_30default_config_static_selectorELNS0_4arch9wavefront6targetE0EEEvT1_, .Lfunc_end2874-_ZN7rocprim17ROCPRIM_400000_NS6detail17trampoline_kernelINS0_14default_configENS1_25partition_config_selectorILNS1_17partition_subalgoE6EiNS0_10empty_typeEbEEZZNS1_14partition_implILS5_6ELb0ES3_mN6thrust23THRUST_200600_302600_NS10device_ptrIiEEPS6_SD_NS0_5tupleIJSC_S6_EEENSE_IJSD_SD_EEES6_PlJNSA_6detail9not_fun_tINSI_10functional5actorINSK_9compositeIJNSK_27transparent_binary_operatorINSA_8equal_toIvEEEENSL_INSK_8argumentILj0EEEEENSK_5valueIiEEEEEEEEEEEE10hipError_tPvRmT3_T4_T5_T6_T7_T9_mT8_P12ihipStream_tbDpT10_ENKUlT_T0_E_clISt17integral_constantIbLb0EES1H_IbLb1EEEEDaS1D_S1E_EUlS1D_E_NS1_11comp_targetILNS1_3genE10ELNS1_11target_archE1200ELNS1_3gpuE4ELNS1_3repE0EEENS1_30default_config_static_selectorELNS0_4arch9wavefront6targetE0EEEvT1_
                                        ; -- End function
	.set _ZN7rocprim17ROCPRIM_400000_NS6detail17trampoline_kernelINS0_14default_configENS1_25partition_config_selectorILNS1_17partition_subalgoE6EiNS0_10empty_typeEbEEZZNS1_14partition_implILS5_6ELb0ES3_mN6thrust23THRUST_200600_302600_NS10device_ptrIiEEPS6_SD_NS0_5tupleIJSC_S6_EEENSE_IJSD_SD_EEES6_PlJNSA_6detail9not_fun_tINSI_10functional5actorINSK_9compositeIJNSK_27transparent_binary_operatorINSA_8equal_toIvEEEENSL_INSK_8argumentILj0EEEEENSK_5valueIiEEEEEEEEEEEE10hipError_tPvRmT3_T4_T5_T6_T7_T9_mT8_P12ihipStream_tbDpT10_ENKUlT_T0_E_clISt17integral_constantIbLb0EES1H_IbLb1EEEEDaS1D_S1E_EUlS1D_E_NS1_11comp_targetILNS1_3genE10ELNS1_11target_archE1200ELNS1_3gpuE4ELNS1_3repE0EEENS1_30default_config_static_selectorELNS0_4arch9wavefront6targetE0EEEvT1_.num_vgpr, 51
	.set _ZN7rocprim17ROCPRIM_400000_NS6detail17trampoline_kernelINS0_14default_configENS1_25partition_config_selectorILNS1_17partition_subalgoE6EiNS0_10empty_typeEbEEZZNS1_14partition_implILS5_6ELb0ES3_mN6thrust23THRUST_200600_302600_NS10device_ptrIiEEPS6_SD_NS0_5tupleIJSC_S6_EEENSE_IJSD_SD_EEES6_PlJNSA_6detail9not_fun_tINSI_10functional5actorINSK_9compositeIJNSK_27transparent_binary_operatorINSA_8equal_toIvEEEENSL_INSK_8argumentILj0EEEEENSK_5valueIiEEEEEEEEEEEE10hipError_tPvRmT3_T4_T5_T6_T7_T9_mT8_P12ihipStream_tbDpT10_ENKUlT_T0_E_clISt17integral_constantIbLb0EES1H_IbLb1EEEEDaS1D_S1E_EUlS1D_E_NS1_11comp_targetILNS1_3genE10ELNS1_11target_archE1200ELNS1_3gpuE4ELNS1_3repE0EEENS1_30default_config_static_selectorELNS0_4arch9wavefront6targetE0EEEvT1_.num_agpr, 0
	.set _ZN7rocprim17ROCPRIM_400000_NS6detail17trampoline_kernelINS0_14default_configENS1_25partition_config_selectorILNS1_17partition_subalgoE6EiNS0_10empty_typeEbEEZZNS1_14partition_implILS5_6ELb0ES3_mN6thrust23THRUST_200600_302600_NS10device_ptrIiEEPS6_SD_NS0_5tupleIJSC_S6_EEENSE_IJSD_SD_EEES6_PlJNSA_6detail9not_fun_tINSI_10functional5actorINSK_9compositeIJNSK_27transparent_binary_operatorINSA_8equal_toIvEEEENSL_INSK_8argumentILj0EEEEENSK_5valueIiEEEEEEEEEEEE10hipError_tPvRmT3_T4_T5_T6_T7_T9_mT8_P12ihipStream_tbDpT10_ENKUlT_T0_E_clISt17integral_constantIbLb0EES1H_IbLb1EEEEDaS1D_S1E_EUlS1D_E_NS1_11comp_targetILNS1_3genE10ELNS1_11target_archE1200ELNS1_3gpuE4ELNS1_3repE0EEENS1_30default_config_static_selectorELNS0_4arch9wavefront6targetE0EEEvT1_.numbered_sgpr, 21
	.set _ZN7rocprim17ROCPRIM_400000_NS6detail17trampoline_kernelINS0_14default_configENS1_25partition_config_selectorILNS1_17partition_subalgoE6EiNS0_10empty_typeEbEEZZNS1_14partition_implILS5_6ELb0ES3_mN6thrust23THRUST_200600_302600_NS10device_ptrIiEEPS6_SD_NS0_5tupleIJSC_S6_EEENSE_IJSD_SD_EEES6_PlJNSA_6detail9not_fun_tINSI_10functional5actorINSK_9compositeIJNSK_27transparent_binary_operatorINSA_8equal_toIvEEEENSL_INSK_8argumentILj0EEEEENSK_5valueIiEEEEEEEEEEEE10hipError_tPvRmT3_T4_T5_T6_T7_T9_mT8_P12ihipStream_tbDpT10_ENKUlT_T0_E_clISt17integral_constantIbLb0EES1H_IbLb1EEEEDaS1D_S1E_EUlS1D_E_NS1_11comp_targetILNS1_3genE10ELNS1_11target_archE1200ELNS1_3gpuE4ELNS1_3repE0EEENS1_30default_config_static_selectorELNS0_4arch9wavefront6targetE0EEEvT1_.num_named_barrier, 0
	.set _ZN7rocprim17ROCPRIM_400000_NS6detail17trampoline_kernelINS0_14default_configENS1_25partition_config_selectorILNS1_17partition_subalgoE6EiNS0_10empty_typeEbEEZZNS1_14partition_implILS5_6ELb0ES3_mN6thrust23THRUST_200600_302600_NS10device_ptrIiEEPS6_SD_NS0_5tupleIJSC_S6_EEENSE_IJSD_SD_EEES6_PlJNSA_6detail9not_fun_tINSI_10functional5actorINSK_9compositeIJNSK_27transparent_binary_operatorINSA_8equal_toIvEEEENSL_INSK_8argumentILj0EEEEENSK_5valueIiEEEEEEEEEEEE10hipError_tPvRmT3_T4_T5_T6_T7_T9_mT8_P12ihipStream_tbDpT10_ENKUlT_T0_E_clISt17integral_constantIbLb0EES1H_IbLb1EEEEDaS1D_S1E_EUlS1D_E_NS1_11comp_targetILNS1_3genE10ELNS1_11target_archE1200ELNS1_3gpuE4ELNS1_3repE0EEENS1_30default_config_static_selectorELNS0_4arch9wavefront6targetE0EEEvT1_.private_seg_size, 0
	.set _ZN7rocprim17ROCPRIM_400000_NS6detail17trampoline_kernelINS0_14default_configENS1_25partition_config_selectorILNS1_17partition_subalgoE6EiNS0_10empty_typeEbEEZZNS1_14partition_implILS5_6ELb0ES3_mN6thrust23THRUST_200600_302600_NS10device_ptrIiEEPS6_SD_NS0_5tupleIJSC_S6_EEENSE_IJSD_SD_EEES6_PlJNSA_6detail9not_fun_tINSI_10functional5actorINSK_9compositeIJNSK_27transparent_binary_operatorINSA_8equal_toIvEEEENSL_INSK_8argumentILj0EEEEENSK_5valueIiEEEEEEEEEEEE10hipError_tPvRmT3_T4_T5_T6_T7_T9_mT8_P12ihipStream_tbDpT10_ENKUlT_T0_E_clISt17integral_constantIbLb0EES1H_IbLb1EEEEDaS1D_S1E_EUlS1D_E_NS1_11comp_targetILNS1_3genE10ELNS1_11target_archE1200ELNS1_3gpuE4ELNS1_3repE0EEENS1_30default_config_static_selectorELNS0_4arch9wavefront6targetE0EEEvT1_.uses_vcc, 1
	.set _ZN7rocprim17ROCPRIM_400000_NS6detail17trampoline_kernelINS0_14default_configENS1_25partition_config_selectorILNS1_17partition_subalgoE6EiNS0_10empty_typeEbEEZZNS1_14partition_implILS5_6ELb0ES3_mN6thrust23THRUST_200600_302600_NS10device_ptrIiEEPS6_SD_NS0_5tupleIJSC_S6_EEENSE_IJSD_SD_EEES6_PlJNSA_6detail9not_fun_tINSI_10functional5actorINSK_9compositeIJNSK_27transparent_binary_operatorINSA_8equal_toIvEEEENSL_INSK_8argumentILj0EEEEENSK_5valueIiEEEEEEEEEEEE10hipError_tPvRmT3_T4_T5_T6_T7_T9_mT8_P12ihipStream_tbDpT10_ENKUlT_T0_E_clISt17integral_constantIbLb0EES1H_IbLb1EEEEDaS1D_S1E_EUlS1D_E_NS1_11comp_targetILNS1_3genE10ELNS1_11target_archE1200ELNS1_3gpuE4ELNS1_3repE0EEENS1_30default_config_static_selectorELNS0_4arch9wavefront6targetE0EEEvT1_.uses_flat_scratch, 1
	.set _ZN7rocprim17ROCPRIM_400000_NS6detail17trampoline_kernelINS0_14default_configENS1_25partition_config_selectorILNS1_17partition_subalgoE6EiNS0_10empty_typeEbEEZZNS1_14partition_implILS5_6ELb0ES3_mN6thrust23THRUST_200600_302600_NS10device_ptrIiEEPS6_SD_NS0_5tupleIJSC_S6_EEENSE_IJSD_SD_EEES6_PlJNSA_6detail9not_fun_tINSI_10functional5actorINSK_9compositeIJNSK_27transparent_binary_operatorINSA_8equal_toIvEEEENSL_INSK_8argumentILj0EEEEENSK_5valueIiEEEEEEEEEEEE10hipError_tPvRmT3_T4_T5_T6_T7_T9_mT8_P12ihipStream_tbDpT10_ENKUlT_T0_E_clISt17integral_constantIbLb0EES1H_IbLb1EEEEDaS1D_S1E_EUlS1D_E_NS1_11comp_targetILNS1_3genE10ELNS1_11target_archE1200ELNS1_3gpuE4ELNS1_3repE0EEENS1_30default_config_static_selectorELNS0_4arch9wavefront6targetE0EEEvT1_.has_dyn_sized_stack, 0
	.set _ZN7rocprim17ROCPRIM_400000_NS6detail17trampoline_kernelINS0_14default_configENS1_25partition_config_selectorILNS1_17partition_subalgoE6EiNS0_10empty_typeEbEEZZNS1_14partition_implILS5_6ELb0ES3_mN6thrust23THRUST_200600_302600_NS10device_ptrIiEEPS6_SD_NS0_5tupleIJSC_S6_EEENSE_IJSD_SD_EEES6_PlJNSA_6detail9not_fun_tINSI_10functional5actorINSK_9compositeIJNSK_27transparent_binary_operatorINSA_8equal_toIvEEEENSL_INSK_8argumentILj0EEEEENSK_5valueIiEEEEEEEEEEEE10hipError_tPvRmT3_T4_T5_T6_T7_T9_mT8_P12ihipStream_tbDpT10_ENKUlT_T0_E_clISt17integral_constantIbLb0EES1H_IbLb1EEEEDaS1D_S1E_EUlS1D_E_NS1_11comp_targetILNS1_3genE10ELNS1_11target_archE1200ELNS1_3gpuE4ELNS1_3repE0EEENS1_30default_config_static_selectorELNS0_4arch9wavefront6targetE0EEEvT1_.has_recursion, 0
	.set _ZN7rocprim17ROCPRIM_400000_NS6detail17trampoline_kernelINS0_14default_configENS1_25partition_config_selectorILNS1_17partition_subalgoE6EiNS0_10empty_typeEbEEZZNS1_14partition_implILS5_6ELb0ES3_mN6thrust23THRUST_200600_302600_NS10device_ptrIiEEPS6_SD_NS0_5tupleIJSC_S6_EEENSE_IJSD_SD_EEES6_PlJNSA_6detail9not_fun_tINSI_10functional5actorINSK_9compositeIJNSK_27transparent_binary_operatorINSA_8equal_toIvEEEENSL_INSK_8argumentILj0EEEEENSK_5valueIiEEEEEEEEEEEE10hipError_tPvRmT3_T4_T5_T6_T7_T9_mT8_P12ihipStream_tbDpT10_ENKUlT_T0_E_clISt17integral_constantIbLb0EES1H_IbLb1EEEEDaS1D_S1E_EUlS1D_E_NS1_11comp_targetILNS1_3genE10ELNS1_11target_archE1200ELNS1_3gpuE4ELNS1_3repE0EEENS1_30default_config_static_selectorELNS0_4arch9wavefront6targetE0EEEvT1_.has_indirect_call, 0
	.section	.AMDGPU.csdata,"",@progbits
; Kernel info:
; codeLenInByte = 7636
; TotalNumSgprs: 23
; NumVgprs: 51
; ScratchSize: 0
; MemoryBound: 0
; FloatMode: 240
; IeeeMode: 1
; LDSByteSize: 10768 bytes/workgroup (compile time only)
; SGPRBlocks: 0
; VGPRBlocks: 6
; NumSGPRsForWavesPerEU: 23
; NumVGPRsForWavesPerEU: 51
; Occupancy: 15
; WaveLimiterHint : 1
; COMPUTE_PGM_RSRC2:SCRATCH_EN: 0
; COMPUTE_PGM_RSRC2:USER_SGPR: 2
; COMPUTE_PGM_RSRC2:TRAP_HANDLER: 0
; COMPUTE_PGM_RSRC2:TGID_X_EN: 1
; COMPUTE_PGM_RSRC2:TGID_Y_EN: 0
; COMPUTE_PGM_RSRC2:TGID_Z_EN: 0
; COMPUTE_PGM_RSRC2:TIDIG_COMP_CNT: 0
	.section	.text._ZN7rocprim17ROCPRIM_400000_NS6detail17trampoline_kernelINS0_14default_configENS1_25partition_config_selectorILNS1_17partition_subalgoE6EiNS0_10empty_typeEbEEZZNS1_14partition_implILS5_6ELb0ES3_mN6thrust23THRUST_200600_302600_NS10device_ptrIiEEPS6_SD_NS0_5tupleIJSC_S6_EEENSE_IJSD_SD_EEES6_PlJNSA_6detail9not_fun_tINSI_10functional5actorINSK_9compositeIJNSK_27transparent_binary_operatorINSA_8equal_toIvEEEENSL_INSK_8argumentILj0EEEEENSK_5valueIiEEEEEEEEEEEE10hipError_tPvRmT3_T4_T5_T6_T7_T9_mT8_P12ihipStream_tbDpT10_ENKUlT_T0_E_clISt17integral_constantIbLb0EES1H_IbLb1EEEEDaS1D_S1E_EUlS1D_E_NS1_11comp_targetILNS1_3genE9ELNS1_11target_archE1100ELNS1_3gpuE3ELNS1_3repE0EEENS1_30default_config_static_selectorELNS0_4arch9wavefront6targetE0EEEvT1_,"axG",@progbits,_ZN7rocprim17ROCPRIM_400000_NS6detail17trampoline_kernelINS0_14default_configENS1_25partition_config_selectorILNS1_17partition_subalgoE6EiNS0_10empty_typeEbEEZZNS1_14partition_implILS5_6ELb0ES3_mN6thrust23THRUST_200600_302600_NS10device_ptrIiEEPS6_SD_NS0_5tupleIJSC_S6_EEENSE_IJSD_SD_EEES6_PlJNSA_6detail9not_fun_tINSI_10functional5actorINSK_9compositeIJNSK_27transparent_binary_operatorINSA_8equal_toIvEEEENSL_INSK_8argumentILj0EEEEENSK_5valueIiEEEEEEEEEEEE10hipError_tPvRmT3_T4_T5_T6_T7_T9_mT8_P12ihipStream_tbDpT10_ENKUlT_T0_E_clISt17integral_constantIbLb0EES1H_IbLb1EEEEDaS1D_S1E_EUlS1D_E_NS1_11comp_targetILNS1_3genE9ELNS1_11target_archE1100ELNS1_3gpuE3ELNS1_3repE0EEENS1_30default_config_static_selectorELNS0_4arch9wavefront6targetE0EEEvT1_,comdat
	.protected	_ZN7rocprim17ROCPRIM_400000_NS6detail17trampoline_kernelINS0_14default_configENS1_25partition_config_selectorILNS1_17partition_subalgoE6EiNS0_10empty_typeEbEEZZNS1_14partition_implILS5_6ELb0ES3_mN6thrust23THRUST_200600_302600_NS10device_ptrIiEEPS6_SD_NS0_5tupleIJSC_S6_EEENSE_IJSD_SD_EEES6_PlJNSA_6detail9not_fun_tINSI_10functional5actorINSK_9compositeIJNSK_27transparent_binary_operatorINSA_8equal_toIvEEEENSL_INSK_8argumentILj0EEEEENSK_5valueIiEEEEEEEEEEEE10hipError_tPvRmT3_T4_T5_T6_T7_T9_mT8_P12ihipStream_tbDpT10_ENKUlT_T0_E_clISt17integral_constantIbLb0EES1H_IbLb1EEEEDaS1D_S1E_EUlS1D_E_NS1_11comp_targetILNS1_3genE9ELNS1_11target_archE1100ELNS1_3gpuE3ELNS1_3repE0EEENS1_30default_config_static_selectorELNS0_4arch9wavefront6targetE0EEEvT1_ ; -- Begin function _ZN7rocprim17ROCPRIM_400000_NS6detail17trampoline_kernelINS0_14default_configENS1_25partition_config_selectorILNS1_17partition_subalgoE6EiNS0_10empty_typeEbEEZZNS1_14partition_implILS5_6ELb0ES3_mN6thrust23THRUST_200600_302600_NS10device_ptrIiEEPS6_SD_NS0_5tupleIJSC_S6_EEENSE_IJSD_SD_EEES6_PlJNSA_6detail9not_fun_tINSI_10functional5actorINSK_9compositeIJNSK_27transparent_binary_operatorINSA_8equal_toIvEEEENSL_INSK_8argumentILj0EEEEENSK_5valueIiEEEEEEEEEEEE10hipError_tPvRmT3_T4_T5_T6_T7_T9_mT8_P12ihipStream_tbDpT10_ENKUlT_T0_E_clISt17integral_constantIbLb0EES1H_IbLb1EEEEDaS1D_S1E_EUlS1D_E_NS1_11comp_targetILNS1_3genE9ELNS1_11target_archE1100ELNS1_3gpuE3ELNS1_3repE0EEENS1_30default_config_static_selectorELNS0_4arch9wavefront6targetE0EEEvT1_
	.globl	_ZN7rocprim17ROCPRIM_400000_NS6detail17trampoline_kernelINS0_14default_configENS1_25partition_config_selectorILNS1_17partition_subalgoE6EiNS0_10empty_typeEbEEZZNS1_14partition_implILS5_6ELb0ES3_mN6thrust23THRUST_200600_302600_NS10device_ptrIiEEPS6_SD_NS0_5tupleIJSC_S6_EEENSE_IJSD_SD_EEES6_PlJNSA_6detail9not_fun_tINSI_10functional5actorINSK_9compositeIJNSK_27transparent_binary_operatorINSA_8equal_toIvEEEENSL_INSK_8argumentILj0EEEEENSK_5valueIiEEEEEEEEEEEE10hipError_tPvRmT3_T4_T5_T6_T7_T9_mT8_P12ihipStream_tbDpT10_ENKUlT_T0_E_clISt17integral_constantIbLb0EES1H_IbLb1EEEEDaS1D_S1E_EUlS1D_E_NS1_11comp_targetILNS1_3genE9ELNS1_11target_archE1100ELNS1_3gpuE3ELNS1_3repE0EEENS1_30default_config_static_selectorELNS0_4arch9wavefront6targetE0EEEvT1_
	.p2align	8
	.type	_ZN7rocprim17ROCPRIM_400000_NS6detail17trampoline_kernelINS0_14default_configENS1_25partition_config_selectorILNS1_17partition_subalgoE6EiNS0_10empty_typeEbEEZZNS1_14partition_implILS5_6ELb0ES3_mN6thrust23THRUST_200600_302600_NS10device_ptrIiEEPS6_SD_NS0_5tupleIJSC_S6_EEENSE_IJSD_SD_EEES6_PlJNSA_6detail9not_fun_tINSI_10functional5actorINSK_9compositeIJNSK_27transparent_binary_operatorINSA_8equal_toIvEEEENSL_INSK_8argumentILj0EEEEENSK_5valueIiEEEEEEEEEEEE10hipError_tPvRmT3_T4_T5_T6_T7_T9_mT8_P12ihipStream_tbDpT10_ENKUlT_T0_E_clISt17integral_constantIbLb0EES1H_IbLb1EEEEDaS1D_S1E_EUlS1D_E_NS1_11comp_targetILNS1_3genE9ELNS1_11target_archE1100ELNS1_3gpuE3ELNS1_3repE0EEENS1_30default_config_static_selectorELNS0_4arch9wavefront6targetE0EEEvT1_,@function
_ZN7rocprim17ROCPRIM_400000_NS6detail17trampoline_kernelINS0_14default_configENS1_25partition_config_selectorILNS1_17partition_subalgoE6EiNS0_10empty_typeEbEEZZNS1_14partition_implILS5_6ELb0ES3_mN6thrust23THRUST_200600_302600_NS10device_ptrIiEEPS6_SD_NS0_5tupleIJSC_S6_EEENSE_IJSD_SD_EEES6_PlJNSA_6detail9not_fun_tINSI_10functional5actorINSK_9compositeIJNSK_27transparent_binary_operatorINSA_8equal_toIvEEEENSL_INSK_8argumentILj0EEEEENSK_5valueIiEEEEEEEEEEEE10hipError_tPvRmT3_T4_T5_T6_T7_T9_mT8_P12ihipStream_tbDpT10_ENKUlT_T0_E_clISt17integral_constantIbLb0EES1H_IbLb1EEEEDaS1D_S1E_EUlS1D_E_NS1_11comp_targetILNS1_3genE9ELNS1_11target_archE1100ELNS1_3gpuE3ELNS1_3repE0EEENS1_30default_config_static_selectorELNS0_4arch9wavefront6targetE0EEEvT1_: ; @_ZN7rocprim17ROCPRIM_400000_NS6detail17trampoline_kernelINS0_14default_configENS1_25partition_config_selectorILNS1_17partition_subalgoE6EiNS0_10empty_typeEbEEZZNS1_14partition_implILS5_6ELb0ES3_mN6thrust23THRUST_200600_302600_NS10device_ptrIiEEPS6_SD_NS0_5tupleIJSC_S6_EEENSE_IJSD_SD_EEES6_PlJNSA_6detail9not_fun_tINSI_10functional5actorINSK_9compositeIJNSK_27transparent_binary_operatorINSA_8equal_toIvEEEENSL_INSK_8argumentILj0EEEEENSK_5valueIiEEEEEEEEEEEE10hipError_tPvRmT3_T4_T5_T6_T7_T9_mT8_P12ihipStream_tbDpT10_ENKUlT_T0_E_clISt17integral_constantIbLb0EES1H_IbLb1EEEEDaS1D_S1E_EUlS1D_E_NS1_11comp_targetILNS1_3genE9ELNS1_11target_archE1100ELNS1_3gpuE3ELNS1_3repE0EEENS1_30default_config_static_selectorELNS0_4arch9wavefront6targetE0EEEvT1_
; %bb.0:
	.section	.rodata,"a",@progbits
	.p2align	6, 0x0
	.amdhsa_kernel _ZN7rocprim17ROCPRIM_400000_NS6detail17trampoline_kernelINS0_14default_configENS1_25partition_config_selectorILNS1_17partition_subalgoE6EiNS0_10empty_typeEbEEZZNS1_14partition_implILS5_6ELb0ES3_mN6thrust23THRUST_200600_302600_NS10device_ptrIiEEPS6_SD_NS0_5tupleIJSC_S6_EEENSE_IJSD_SD_EEES6_PlJNSA_6detail9not_fun_tINSI_10functional5actorINSK_9compositeIJNSK_27transparent_binary_operatorINSA_8equal_toIvEEEENSL_INSK_8argumentILj0EEEEENSK_5valueIiEEEEEEEEEEEE10hipError_tPvRmT3_T4_T5_T6_T7_T9_mT8_P12ihipStream_tbDpT10_ENKUlT_T0_E_clISt17integral_constantIbLb0EES1H_IbLb1EEEEDaS1D_S1E_EUlS1D_E_NS1_11comp_targetILNS1_3genE9ELNS1_11target_archE1100ELNS1_3gpuE3ELNS1_3repE0EEENS1_30default_config_static_selectorELNS0_4arch9wavefront6targetE0EEEvT1_
		.amdhsa_group_segment_fixed_size 0
		.amdhsa_private_segment_fixed_size 0
		.amdhsa_kernarg_size 128
		.amdhsa_user_sgpr_count 2
		.amdhsa_user_sgpr_dispatch_ptr 0
		.amdhsa_user_sgpr_queue_ptr 0
		.amdhsa_user_sgpr_kernarg_segment_ptr 1
		.amdhsa_user_sgpr_dispatch_id 0
		.amdhsa_user_sgpr_private_segment_size 0
		.amdhsa_wavefront_size32 1
		.amdhsa_uses_dynamic_stack 0
		.amdhsa_enable_private_segment 0
		.amdhsa_system_sgpr_workgroup_id_x 1
		.amdhsa_system_sgpr_workgroup_id_y 0
		.amdhsa_system_sgpr_workgroup_id_z 0
		.amdhsa_system_sgpr_workgroup_info 0
		.amdhsa_system_vgpr_workitem_id 0
		.amdhsa_next_free_vgpr 1
		.amdhsa_next_free_sgpr 1
		.amdhsa_reserve_vcc 0
		.amdhsa_float_round_mode_32 0
		.amdhsa_float_round_mode_16_64 0
		.amdhsa_float_denorm_mode_32 3
		.amdhsa_float_denorm_mode_16_64 3
		.amdhsa_fp16_overflow 0
		.amdhsa_workgroup_processor_mode 1
		.amdhsa_memory_ordered 1
		.amdhsa_forward_progress 1
		.amdhsa_inst_pref_size 0
		.amdhsa_round_robin_scheduling 0
		.amdhsa_exception_fp_ieee_invalid_op 0
		.amdhsa_exception_fp_denorm_src 0
		.amdhsa_exception_fp_ieee_div_zero 0
		.amdhsa_exception_fp_ieee_overflow 0
		.amdhsa_exception_fp_ieee_underflow 0
		.amdhsa_exception_fp_ieee_inexact 0
		.amdhsa_exception_int_div_zero 0
	.end_amdhsa_kernel
	.section	.text._ZN7rocprim17ROCPRIM_400000_NS6detail17trampoline_kernelINS0_14default_configENS1_25partition_config_selectorILNS1_17partition_subalgoE6EiNS0_10empty_typeEbEEZZNS1_14partition_implILS5_6ELb0ES3_mN6thrust23THRUST_200600_302600_NS10device_ptrIiEEPS6_SD_NS0_5tupleIJSC_S6_EEENSE_IJSD_SD_EEES6_PlJNSA_6detail9not_fun_tINSI_10functional5actorINSK_9compositeIJNSK_27transparent_binary_operatorINSA_8equal_toIvEEEENSL_INSK_8argumentILj0EEEEENSK_5valueIiEEEEEEEEEEEE10hipError_tPvRmT3_T4_T5_T6_T7_T9_mT8_P12ihipStream_tbDpT10_ENKUlT_T0_E_clISt17integral_constantIbLb0EES1H_IbLb1EEEEDaS1D_S1E_EUlS1D_E_NS1_11comp_targetILNS1_3genE9ELNS1_11target_archE1100ELNS1_3gpuE3ELNS1_3repE0EEENS1_30default_config_static_selectorELNS0_4arch9wavefront6targetE0EEEvT1_,"axG",@progbits,_ZN7rocprim17ROCPRIM_400000_NS6detail17trampoline_kernelINS0_14default_configENS1_25partition_config_selectorILNS1_17partition_subalgoE6EiNS0_10empty_typeEbEEZZNS1_14partition_implILS5_6ELb0ES3_mN6thrust23THRUST_200600_302600_NS10device_ptrIiEEPS6_SD_NS0_5tupleIJSC_S6_EEENSE_IJSD_SD_EEES6_PlJNSA_6detail9not_fun_tINSI_10functional5actorINSK_9compositeIJNSK_27transparent_binary_operatorINSA_8equal_toIvEEEENSL_INSK_8argumentILj0EEEEENSK_5valueIiEEEEEEEEEEEE10hipError_tPvRmT3_T4_T5_T6_T7_T9_mT8_P12ihipStream_tbDpT10_ENKUlT_T0_E_clISt17integral_constantIbLb0EES1H_IbLb1EEEEDaS1D_S1E_EUlS1D_E_NS1_11comp_targetILNS1_3genE9ELNS1_11target_archE1100ELNS1_3gpuE3ELNS1_3repE0EEENS1_30default_config_static_selectorELNS0_4arch9wavefront6targetE0EEEvT1_,comdat
.Lfunc_end2875:
	.size	_ZN7rocprim17ROCPRIM_400000_NS6detail17trampoline_kernelINS0_14default_configENS1_25partition_config_selectorILNS1_17partition_subalgoE6EiNS0_10empty_typeEbEEZZNS1_14partition_implILS5_6ELb0ES3_mN6thrust23THRUST_200600_302600_NS10device_ptrIiEEPS6_SD_NS0_5tupleIJSC_S6_EEENSE_IJSD_SD_EEES6_PlJNSA_6detail9not_fun_tINSI_10functional5actorINSK_9compositeIJNSK_27transparent_binary_operatorINSA_8equal_toIvEEEENSL_INSK_8argumentILj0EEEEENSK_5valueIiEEEEEEEEEEEE10hipError_tPvRmT3_T4_T5_T6_T7_T9_mT8_P12ihipStream_tbDpT10_ENKUlT_T0_E_clISt17integral_constantIbLb0EES1H_IbLb1EEEEDaS1D_S1E_EUlS1D_E_NS1_11comp_targetILNS1_3genE9ELNS1_11target_archE1100ELNS1_3gpuE3ELNS1_3repE0EEENS1_30default_config_static_selectorELNS0_4arch9wavefront6targetE0EEEvT1_, .Lfunc_end2875-_ZN7rocprim17ROCPRIM_400000_NS6detail17trampoline_kernelINS0_14default_configENS1_25partition_config_selectorILNS1_17partition_subalgoE6EiNS0_10empty_typeEbEEZZNS1_14partition_implILS5_6ELb0ES3_mN6thrust23THRUST_200600_302600_NS10device_ptrIiEEPS6_SD_NS0_5tupleIJSC_S6_EEENSE_IJSD_SD_EEES6_PlJNSA_6detail9not_fun_tINSI_10functional5actorINSK_9compositeIJNSK_27transparent_binary_operatorINSA_8equal_toIvEEEENSL_INSK_8argumentILj0EEEEENSK_5valueIiEEEEEEEEEEEE10hipError_tPvRmT3_T4_T5_T6_T7_T9_mT8_P12ihipStream_tbDpT10_ENKUlT_T0_E_clISt17integral_constantIbLb0EES1H_IbLb1EEEEDaS1D_S1E_EUlS1D_E_NS1_11comp_targetILNS1_3genE9ELNS1_11target_archE1100ELNS1_3gpuE3ELNS1_3repE0EEENS1_30default_config_static_selectorELNS0_4arch9wavefront6targetE0EEEvT1_
                                        ; -- End function
	.set _ZN7rocprim17ROCPRIM_400000_NS6detail17trampoline_kernelINS0_14default_configENS1_25partition_config_selectorILNS1_17partition_subalgoE6EiNS0_10empty_typeEbEEZZNS1_14partition_implILS5_6ELb0ES3_mN6thrust23THRUST_200600_302600_NS10device_ptrIiEEPS6_SD_NS0_5tupleIJSC_S6_EEENSE_IJSD_SD_EEES6_PlJNSA_6detail9not_fun_tINSI_10functional5actorINSK_9compositeIJNSK_27transparent_binary_operatorINSA_8equal_toIvEEEENSL_INSK_8argumentILj0EEEEENSK_5valueIiEEEEEEEEEEEE10hipError_tPvRmT3_T4_T5_T6_T7_T9_mT8_P12ihipStream_tbDpT10_ENKUlT_T0_E_clISt17integral_constantIbLb0EES1H_IbLb1EEEEDaS1D_S1E_EUlS1D_E_NS1_11comp_targetILNS1_3genE9ELNS1_11target_archE1100ELNS1_3gpuE3ELNS1_3repE0EEENS1_30default_config_static_selectorELNS0_4arch9wavefront6targetE0EEEvT1_.num_vgpr, 0
	.set _ZN7rocprim17ROCPRIM_400000_NS6detail17trampoline_kernelINS0_14default_configENS1_25partition_config_selectorILNS1_17partition_subalgoE6EiNS0_10empty_typeEbEEZZNS1_14partition_implILS5_6ELb0ES3_mN6thrust23THRUST_200600_302600_NS10device_ptrIiEEPS6_SD_NS0_5tupleIJSC_S6_EEENSE_IJSD_SD_EEES6_PlJNSA_6detail9not_fun_tINSI_10functional5actorINSK_9compositeIJNSK_27transparent_binary_operatorINSA_8equal_toIvEEEENSL_INSK_8argumentILj0EEEEENSK_5valueIiEEEEEEEEEEEE10hipError_tPvRmT3_T4_T5_T6_T7_T9_mT8_P12ihipStream_tbDpT10_ENKUlT_T0_E_clISt17integral_constantIbLb0EES1H_IbLb1EEEEDaS1D_S1E_EUlS1D_E_NS1_11comp_targetILNS1_3genE9ELNS1_11target_archE1100ELNS1_3gpuE3ELNS1_3repE0EEENS1_30default_config_static_selectorELNS0_4arch9wavefront6targetE0EEEvT1_.num_agpr, 0
	.set _ZN7rocprim17ROCPRIM_400000_NS6detail17trampoline_kernelINS0_14default_configENS1_25partition_config_selectorILNS1_17partition_subalgoE6EiNS0_10empty_typeEbEEZZNS1_14partition_implILS5_6ELb0ES3_mN6thrust23THRUST_200600_302600_NS10device_ptrIiEEPS6_SD_NS0_5tupleIJSC_S6_EEENSE_IJSD_SD_EEES6_PlJNSA_6detail9not_fun_tINSI_10functional5actorINSK_9compositeIJNSK_27transparent_binary_operatorINSA_8equal_toIvEEEENSL_INSK_8argumentILj0EEEEENSK_5valueIiEEEEEEEEEEEE10hipError_tPvRmT3_T4_T5_T6_T7_T9_mT8_P12ihipStream_tbDpT10_ENKUlT_T0_E_clISt17integral_constantIbLb0EES1H_IbLb1EEEEDaS1D_S1E_EUlS1D_E_NS1_11comp_targetILNS1_3genE9ELNS1_11target_archE1100ELNS1_3gpuE3ELNS1_3repE0EEENS1_30default_config_static_selectorELNS0_4arch9wavefront6targetE0EEEvT1_.numbered_sgpr, 0
	.set _ZN7rocprim17ROCPRIM_400000_NS6detail17trampoline_kernelINS0_14default_configENS1_25partition_config_selectorILNS1_17partition_subalgoE6EiNS0_10empty_typeEbEEZZNS1_14partition_implILS5_6ELb0ES3_mN6thrust23THRUST_200600_302600_NS10device_ptrIiEEPS6_SD_NS0_5tupleIJSC_S6_EEENSE_IJSD_SD_EEES6_PlJNSA_6detail9not_fun_tINSI_10functional5actorINSK_9compositeIJNSK_27transparent_binary_operatorINSA_8equal_toIvEEEENSL_INSK_8argumentILj0EEEEENSK_5valueIiEEEEEEEEEEEE10hipError_tPvRmT3_T4_T5_T6_T7_T9_mT8_P12ihipStream_tbDpT10_ENKUlT_T0_E_clISt17integral_constantIbLb0EES1H_IbLb1EEEEDaS1D_S1E_EUlS1D_E_NS1_11comp_targetILNS1_3genE9ELNS1_11target_archE1100ELNS1_3gpuE3ELNS1_3repE0EEENS1_30default_config_static_selectorELNS0_4arch9wavefront6targetE0EEEvT1_.num_named_barrier, 0
	.set _ZN7rocprim17ROCPRIM_400000_NS6detail17trampoline_kernelINS0_14default_configENS1_25partition_config_selectorILNS1_17partition_subalgoE6EiNS0_10empty_typeEbEEZZNS1_14partition_implILS5_6ELb0ES3_mN6thrust23THRUST_200600_302600_NS10device_ptrIiEEPS6_SD_NS0_5tupleIJSC_S6_EEENSE_IJSD_SD_EEES6_PlJNSA_6detail9not_fun_tINSI_10functional5actorINSK_9compositeIJNSK_27transparent_binary_operatorINSA_8equal_toIvEEEENSL_INSK_8argumentILj0EEEEENSK_5valueIiEEEEEEEEEEEE10hipError_tPvRmT3_T4_T5_T6_T7_T9_mT8_P12ihipStream_tbDpT10_ENKUlT_T0_E_clISt17integral_constantIbLb0EES1H_IbLb1EEEEDaS1D_S1E_EUlS1D_E_NS1_11comp_targetILNS1_3genE9ELNS1_11target_archE1100ELNS1_3gpuE3ELNS1_3repE0EEENS1_30default_config_static_selectorELNS0_4arch9wavefront6targetE0EEEvT1_.private_seg_size, 0
	.set _ZN7rocprim17ROCPRIM_400000_NS6detail17trampoline_kernelINS0_14default_configENS1_25partition_config_selectorILNS1_17partition_subalgoE6EiNS0_10empty_typeEbEEZZNS1_14partition_implILS5_6ELb0ES3_mN6thrust23THRUST_200600_302600_NS10device_ptrIiEEPS6_SD_NS0_5tupleIJSC_S6_EEENSE_IJSD_SD_EEES6_PlJNSA_6detail9not_fun_tINSI_10functional5actorINSK_9compositeIJNSK_27transparent_binary_operatorINSA_8equal_toIvEEEENSL_INSK_8argumentILj0EEEEENSK_5valueIiEEEEEEEEEEEE10hipError_tPvRmT3_T4_T5_T6_T7_T9_mT8_P12ihipStream_tbDpT10_ENKUlT_T0_E_clISt17integral_constantIbLb0EES1H_IbLb1EEEEDaS1D_S1E_EUlS1D_E_NS1_11comp_targetILNS1_3genE9ELNS1_11target_archE1100ELNS1_3gpuE3ELNS1_3repE0EEENS1_30default_config_static_selectorELNS0_4arch9wavefront6targetE0EEEvT1_.uses_vcc, 0
	.set _ZN7rocprim17ROCPRIM_400000_NS6detail17trampoline_kernelINS0_14default_configENS1_25partition_config_selectorILNS1_17partition_subalgoE6EiNS0_10empty_typeEbEEZZNS1_14partition_implILS5_6ELb0ES3_mN6thrust23THRUST_200600_302600_NS10device_ptrIiEEPS6_SD_NS0_5tupleIJSC_S6_EEENSE_IJSD_SD_EEES6_PlJNSA_6detail9not_fun_tINSI_10functional5actorINSK_9compositeIJNSK_27transparent_binary_operatorINSA_8equal_toIvEEEENSL_INSK_8argumentILj0EEEEENSK_5valueIiEEEEEEEEEEEE10hipError_tPvRmT3_T4_T5_T6_T7_T9_mT8_P12ihipStream_tbDpT10_ENKUlT_T0_E_clISt17integral_constantIbLb0EES1H_IbLb1EEEEDaS1D_S1E_EUlS1D_E_NS1_11comp_targetILNS1_3genE9ELNS1_11target_archE1100ELNS1_3gpuE3ELNS1_3repE0EEENS1_30default_config_static_selectorELNS0_4arch9wavefront6targetE0EEEvT1_.uses_flat_scratch, 0
	.set _ZN7rocprim17ROCPRIM_400000_NS6detail17trampoline_kernelINS0_14default_configENS1_25partition_config_selectorILNS1_17partition_subalgoE6EiNS0_10empty_typeEbEEZZNS1_14partition_implILS5_6ELb0ES3_mN6thrust23THRUST_200600_302600_NS10device_ptrIiEEPS6_SD_NS0_5tupleIJSC_S6_EEENSE_IJSD_SD_EEES6_PlJNSA_6detail9not_fun_tINSI_10functional5actorINSK_9compositeIJNSK_27transparent_binary_operatorINSA_8equal_toIvEEEENSL_INSK_8argumentILj0EEEEENSK_5valueIiEEEEEEEEEEEE10hipError_tPvRmT3_T4_T5_T6_T7_T9_mT8_P12ihipStream_tbDpT10_ENKUlT_T0_E_clISt17integral_constantIbLb0EES1H_IbLb1EEEEDaS1D_S1E_EUlS1D_E_NS1_11comp_targetILNS1_3genE9ELNS1_11target_archE1100ELNS1_3gpuE3ELNS1_3repE0EEENS1_30default_config_static_selectorELNS0_4arch9wavefront6targetE0EEEvT1_.has_dyn_sized_stack, 0
	.set _ZN7rocprim17ROCPRIM_400000_NS6detail17trampoline_kernelINS0_14default_configENS1_25partition_config_selectorILNS1_17partition_subalgoE6EiNS0_10empty_typeEbEEZZNS1_14partition_implILS5_6ELb0ES3_mN6thrust23THRUST_200600_302600_NS10device_ptrIiEEPS6_SD_NS0_5tupleIJSC_S6_EEENSE_IJSD_SD_EEES6_PlJNSA_6detail9not_fun_tINSI_10functional5actorINSK_9compositeIJNSK_27transparent_binary_operatorINSA_8equal_toIvEEEENSL_INSK_8argumentILj0EEEEENSK_5valueIiEEEEEEEEEEEE10hipError_tPvRmT3_T4_T5_T6_T7_T9_mT8_P12ihipStream_tbDpT10_ENKUlT_T0_E_clISt17integral_constantIbLb0EES1H_IbLb1EEEEDaS1D_S1E_EUlS1D_E_NS1_11comp_targetILNS1_3genE9ELNS1_11target_archE1100ELNS1_3gpuE3ELNS1_3repE0EEENS1_30default_config_static_selectorELNS0_4arch9wavefront6targetE0EEEvT1_.has_recursion, 0
	.set _ZN7rocprim17ROCPRIM_400000_NS6detail17trampoline_kernelINS0_14default_configENS1_25partition_config_selectorILNS1_17partition_subalgoE6EiNS0_10empty_typeEbEEZZNS1_14partition_implILS5_6ELb0ES3_mN6thrust23THRUST_200600_302600_NS10device_ptrIiEEPS6_SD_NS0_5tupleIJSC_S6_EEENSE_IJSD_SD_EEES6_PlJNSA_6detail9not_fun_tINSI_10functional5actorINSK_9compositeIJNSK_27transparent_binary_operatorINSA_8equal_toIvEEEENSL_INSK_8argumentILj0EEEEENSK_5valueIiEEEEEEEEEEEE10hipError_tPvRmT3_T4_T5_T6_T7_T9_mT8_P12ihipStream_tbDpT10_ENKUlT_T0_E_clISt17integral_constantIbLb0EES1H_IbLb1EEEEDaS1D_S1E_EUlS1D_E_NS1_11comp_targetILNS1_3genE9ELNS1_11target_archE1100ELNS1_3gpuE3ELNS1_3repE0EEENS1_30default_config_static_selectorELNS0_4arch9wavefront6targetE0EEEvT1_.has_indirect_call, 0
	.section	.AMDGPU.csdata,"",@progbits
; Kernel info:
; codeLenInByte = 0
; TotalNumSgprs: 0
; NumVgprs: 0
; ScratchSize: 0
; MemoryBound: 0
; FloatMode: 240
; IeeeMode: 1
; LDSByteSize: 0 bytes/workgroup (compile time only)
; SGPRBlocks: 0
; VGPRBlocks: 0
; NumSGPRsForWavesPerEU: 1
; NumVGPRsForWavesPerEU: 1
; Occupancy: 16
; WaveLimiterHint : 0
; COMPUTE_PGM_RSRC2:SCRATCH_EN: 0
; COMPUTE_PGM_RSRC2:USER_SGPR: 2
; COMPUTE_PGM_RSRC2:TRAP_HANDLER: 0
; COMPUTE_PGM_RSRC2:TGID_X_EN: 1
; COMPUTE_PGM_RSRC2:TGID_Y_EN: 0
; COMPUTE_PGM_RSRC2:TGID_Z_EN: 0
; COMPUTE_PGM_RSRC2:TIDIG_COMP_CNT: 0
	.section	.text._ZN7rocprim17ROCPRIM_400000_NS6detail17trampoline_kernelINS0_14default_configENS1_25partition_config_selectorILNS1_17partition_subalgoE6EiNS0_10empty_typeEbEEZZNS1_14partition_implILS5_6ELb0ES3_mN6thrust23THRUST_200600_302600_NS10device_ptrIiEEPS6_SD_NS0_5tupleIJSC_S6_EEENSE_IJSD_SD_EEES6_PlJNSA_6detail9not_fun_tINSI_10functional5actorINSK_9compositeIJNSK_27transparent_binary_operatorINSA_8equal_toIvEEEENSL_INSK_8argumentILj0EEEEENSK_5valueIiEEEEEEEEEEEE10hipError_tPvRmT3_T4_T5_T6_T7_T9_mT8_P12ihipStream_tbDpT10_ENKUlT_T0_E_clISt17integral_constantIbLb0EES1H_IbLb1EEEEDaS1D_S1E_EUlS1D_E_NS1_11comp_targetILNS1_3genE8ELNS1_11target_archE1030ELNS1_3gpuE2ELNS1_3repE0EEENS1_30default_config_static_selectorELNS0_4arch9wavefront6targetE0EEEvT1_,"axG",@progbits,_ZN7rocprim17ROCPRIM_400000_NS6detail17trampoline_kernelINS0_14default_configENS1_25partition_config_selectorILNS1_17partition_subalgoE6EiNS0_10empty_typeEbEEZZNS1_14partition_implILS5_6ELb0ES3_mN6thrust23THRUST_200600_302600_NS10device_ptrIiEEPS6_SD_NS0_5tupleIJSC_S6_EEENSE_IJSD_SD_EEES6_PlJNSA_6detail9not_fun_tINSI_10functional5actorINSK_9compositeIJNSK_27transparent_binary_operatorINSA_8equal_toIvEEEENSL_INSK_8argumentILj0EEEEENSK_5valueIiEEEEEEEEEEEE10hipError_tPvRmT3_T4_T5_T6_T7_T9_mT8_P12ihipStream_tbDpT10_ENKUlT_T0_E_clISt17integral_constantIbLb0EES1H_IbLb1EEEEDaS1D_S1E_EUlS1D_E_NS1_11comp_targetILNS1_3genE8ELNS1_11target_archE1030ELNS1_3gpuE2ELNS1_3repE0EEENS1_30default_config_static_selectorELNS0_4arch9wavefront6targetE0EEEvT1_,comdat
	.protected	_ZN7rocprim17ROCPRIM_400000_NS6detail17trampoline_kernelINS0_14default_configENS1_25partition_config_selectorILNS1_17partition_subalgoE6EiNS0_10empty_typeEbEEZZNS1_14partition_implILS5_6ELb0ES3_mN6thrust23THRUST_200600_302600_NS10device_ptrIiEEPS6_SD_NS0_5tupleIJSC_S6_EEENSE_IJSD_SD_EEES6_PlJNSA_6detail9not_fun_tINSI_10functional5actorINSK_9compositeIJNSK_27transparent_binary_operatorINSA_8equal_toIvEEEENSL_INSK_8argumentILj0EEEEENSK_5valueIiEEEEEEEEEEEE10hipError_tPvRmT3_T4_T5_T6_T7_T9_mT8_P12ihipStream_tbDpT10_ENKUlT_T0_E_clISt17integral_constantIbLb0EES1H_IbLb1EEEEDaS1D_S1E_EUlS1D_E_NS1_11comp_targetILNS1_3genE8ELNS1_11target_archE1030ELNS1_3gpuE2ELNS1_3repE0EEENS1_30default_config_static_selectorELNS0_4arch9wavefront6targetE0EEEvT1_ ; -- Begin function _ZN7rocprim17ROCPRIM_400000_NS6detail17trampoline_kernelINS0_14default_configENS1_25partition_config_selectorILNS1_17partition_subalgoE6EiNS0_10empty_typeEbEEZZNS1_14partition_implILS5_6ELb0ES3_mN6thrust23THRUST_200600_302600_NS10device_ptrIiEEPS6_SD_NS0_5tupleIJSC_S6_EEENSE_IJSD_SD_EEES6_PlJNSA_6detail9not_fun_tINSI_10functional5actorINSK_9compositeIJNSK_27transparent_binary_operatorINSA_8equal_toIvEEEENSL_INSK_8argumentILj0EEEEENSK_5valueIiEEEEEEEEEEEE10hipError_tPvRmT3_T4_T5_T6_T7_T9_mT8_P12ihipStream_tbDpT10_ENKUlT_T0_E_clISt17integral_constantIbLb0EES1H_IbLb1EEEEDaS1D_S1E_EUlS1D_E_NS1_11comp_targetILNS1_3genE8ELNS1_11target_archE1030ELNS1_3gpuE2ELNS1_3repE0EEENS1_30default_config_static_selectorELNS0_4arch9wavefront6targetE0EEEvT1_
	.globl	_ZN7rocprim17ROCPRIM_400000_NS6detail17trampoline_kernelINS0_14default_configENS1_25partition_config_selectorILNS1_17partition_subalgoE6EiNS0_10empty_typeEbEEZZNS1_14partition_implILS5_6ELb0ES3_mN6thrust23THRUST_200600_302600_NS10device_ptrIiEEPS6_SD_NS0_5tupleIJSC_S6_EEENSE_IJSD_SD_EEES6_PlJNSA_6detail9not_fun_tINSI_10functional5actorINSK_9compositeIJNSK_27transparent_binary_operatorINSA_8equal_toIvEEEENSL_INSK_8argumentILj0EEEEENSK_5valueIiEEEEEEEEEEEE10hipError_tPvRmT3_T4_T5_T6_T7_T9_mT8_P12ihipStream_tbDpT10_ENKUlT_T0_E_clISt17integral_constantIbLb0EES1H_IbLb1EEEEDaS1D_S1E_EUlS1D_E_NS1_11comp_targetILNS1_3genE8ELNS1_11target_archE1030ELNS1_3gpuE2ELNS1_3repE0EEENS1_30default_config_static_selectorELNS0_4arch9wavefront6targetE0EEEvT1_
	.p2align	8
	.type	_ZN7rocprim17ROCPRIM_400000_NS6detail17trampoline_kernelINS0_14default_configENS1_25partition_config_selectorILNS1_17partition_subalgoE6EiNS0_10empty_typeEbEEZZNS1_14partition_implILS5_6ELb0ES3_mN6thrust23THRUST_200600_302600_NS10device_ptrIiEEPS6_SD_NS0_5tupleIJSC_S6_EEENSE_IJSD_SD_EEES6_PlJNSA_6detail9not_fun_tINSI_10functional5actorINSK_9compositeIJNSK_27transparent_binary_operatorINSA_8equal_toIvEEEENSL_INSK_8argumentILj0EEEEENSK_5valueIiEEEEEEEEEEEE10hipError_tPvRmT3_T4_T5_T6_T7_T9_mT8_P12ihipStream_tbDpT10_ENKUlT_T0_E_clISt17integral_constantIbLb0EES1H_IbLb1EEEEDaS1D_S1E_EUlS1D_E_NS1_11comp_targetILNS1_3genE8ELNS1_11target_archE1030ELNS1_3gpuE2ELNS1_3repE0EEENS1_30default_config_static_selectorELNS0_4arch9wavefront6targetE0EEEvT1_,@function
_ZN7rocprim17ROCPRIM_400000_NS6detail17trampoline_kernelINS0_14default_configENS1_25partition_config_selectorILNS1_17partition_subalgoE6EiNS0_10empty_typeEbEEZZNS1_14partition_implILS5_6ELb0ES3_mN6thrust23THRUST_200600_302600_NS10device_ptrIiEEPS6_SD_NS0_5tupleIJSC_S6_EEENSE_IJSD_SD_EEES6_PlJNSA_6detail9not_fun_tINSI_10functional5actorINSK_9compositeIJNSK_27transparent_binary_operatorINSA_8equal_toIvEEEENSL_INSK_8argumentILj0EEEEENSK_5valueIiEEEEEEEEEEEE10hipError_tPvRmT3_T4_T5_T6_T7_T9_mT8_P12ihipStream_tbDpT10_ENKUlT_T0_E_clISt17integral_constantIbLb0EES1H_IbLb1EEEEDaS1D_S1E_EUlS1D_E_NS1_11comp_targetILNS1_3genE8ELNS1_11target_archE1030ELNS1_3gpuE2ELNS1_3repE0EEENS1_30default_config_static_selectorELNS0_4arch9wavefront6targetE0EEEvT1_: ; @_ZN7rocprim17ROCPRIM_400000_NS6detail17trampoline_kernelINS0_14default_configENS1_25partition_config_selectorILNS1_17partition_subalgoE6EiNS0_10empty_typeEbEEZZNS1_14partition_implILS5_6ELb0ES3_mN6thrust23THRUST_200600_302600_NS10device_ptrIiEEPS6_SD_NS0_5tupleIJSC_S6_EEENSE_IJSD_SD_EEES6_PlJNSA_6detail9not_fun_tINSI_10functional5actorINSK_9compositeIJNSK_27transparent_binary_operatorINSA_8equal_toIvEEEENSL_INSK_8argumentILj0EEEEENSK_5valueIiEEEEEEEEEEEE10hipError_tPvRmT3_T4_T5_T6_T7_T9_mT8_P12ihipStream_tbDpT10_ENKUlT_T0_E_clISt17integral_constantIbLb0EES1H_IbLb1EEEEDaS1D_S1E_EUlS1D_E_NS1_11comp_targetILNS1_3genE8ELNS1_11target_archE1030ELNS1_3gpuE2ELNS1_3repE0EEENS1_30default_config_static_selectorELNS0_4arch9wavefront6targetE0EEEvT1_
; %bb.0:
	.section	.rodata,"a",@progbits
	.p2align	6, 0x0
	.amdhsa_kernel _ZN7rocprim17ROCPRIM_400000_NS6detail17trampoline_kernelINS0_14default_configENS1_25partition_config_selectorILNS1_17partition_subalgoE6EiNS0_10empty_typeEbEEZZNS1_14partition_implILS5_6ELb0ES3_mN6thrust23THRUST_200600_302600_NS10device_ptrIiEEPS6_SD_NS0_5tupleIJSC_S6_EEENSE_IJSD_SD_EEES6_PlJNSA_6detail9not_fun_tINSI_10functional5actorINSK_9compositeIJNSK_27transparent_binary_operatorINSA_8equal_toIvEEEENSL_INSK_8argumentILj0EEEEENSK_5valueIiEEEEEEEEEEEE10hipError_tPvRmT3_T4_T5_T6_T7_T9_mT8_P12ihipStream_tbDpT10_ENKUlT_T0_E_clISt17integral_constantIbLb0EES1H_IbLb1EEEEDaS1D_S1E_EUlS1D_E_NS1_11comp_targetILNS1_3genE8ELNS1_11target_archE1030ELNS1_3gpuE2ELNS1_3repE0EEENS1_30default_config_static_selectorELNS0_4arch9wavefront6targetE0EEEvT1_
		.amdhsa_group_segment_fixed_size 0
		.amdhsa_private_segment_fixed_size 0
		.amdhsa_kernarg_size 128
		.amdhsa_user_sgpr_count 2
		.amdhsa_user_sgpr_dispatch_ptr 0
		.amdhsa_user_sgpr_queue_ptr 0
		.amdhsa_user_sgpr_kernarg_segment_ptr 1
		.amdhsa_user_sgpr_dispatch_id 0
		.amdhsa_user_sgpr_private_segment_size 0
		.amdhsa_wavefront_size32 1
		.amdhsa_uses_dynamic_stack 0
		.amdhsa_enable_private_segment 0
		.amdhsa_system_sgpr_workgroup_id_x 1
		.amdhsa_system_sgpr_workgroup_id_y 0
		.amdhsa_system_sgpr_workgroup_id_z 0
		.amdhsa_system_sgpr_workgroup_info 0
		.amdhsa_system_vgpr_workitem_id 0
		.amdhsa_next_free_vgpr 1
		.amdhsa_next_free_sgpr 1
		.amdhsa_reserve_vcc 0
		.amdhsa_float_round_mode_32 0
		.amdhsa_float_round_mode_16_64 0
		.amdhsa_float_denorm_mode_32 3
		.amdhsa_float_denorm_mode_16_64 3
		.amdhsa_fp16_overflow 0
		.amdhsa_workgroup_processor_mode 1
		.amdhsa_memory_ordered 1
		.amdhsa_forward_progress 1
		.amdhsa_inst_pref_size 0
		.amdhsa_round_robin_scheduling 0
		.amdhsa_exception_fp_ieee_invalid_op 0
		.amdhsa_exception_fp_denorm_src 0
		.amdhsa_exception_fp_ieee_div_zero 0
		.amdhsa_exception_fp_ieee_overflow 0
		.amdhsa_exception_fp_ieee_underflow 0
		.amdhsa_exception_fp_ieee_inexact 0
		.amdhsa_exception_int_div_zero 0
	.end_amdhsa_kernel
	.section	.text._ZN7rocprim17ROCPRIM_400000_NS6detail17trampoline_kernelINS0_14default_configENS1_25partition_config_selectorILNS1_17partition_subalgoE6EiNS0_10empty_typeEbEEZZNS1_14partition_implILS5_6ELb0ES3_mN6thrust23THRUST_200600_302600_NS10device_ptrIiEEPS6_SD_NS0_5tupleIJSC_S6_EEENSE_IJSD_SD_EEES6_PlJNSA_6detail9not_fun_tINSI_10functional5actorINSK_9compositeIJNSK_27transparent_binary_operatorINSA_8equal_toIvEEEENSL_INSK_8argumentILj0EEEEENSK_5valueIiEEEEEEEEEEEE10hipError_tPvRmT3_T4_T5_T6_T7_T9_mT8_P12ihipStream_tbDpT10_ENKUlT_T0_E_clISt17integral_constantIbLb0EES1H_IbLb1EEEEDaS1D_S1E_EUlS1D_E_NS1_11comp_targetILNS1_3genE8ELNS1_11target_archE1030ELNS1_3gpuE2ELNS1_3repE0EEENS1_30default_config_static_selectorELNS0_4arch9wavefront6targetE0EEEvT1_,"axG",@progbits,_ZN7rocprim17ROCPRIM_400000_NS6detail17trampoline_kernelINS0_14default_configENS1_25partition_config_selectorILNS1_17partition_subalgoE6EiNS0_10empty_typeEbEEZZNS1_14partition_implILS5_6ELb0ES3_mN6thrust23THRUST_200600_302600_NS10device_ptrIiEEPS6_SD_NS0_5tupleIJSC_S6_EEENSE_IJSD_SD_EEES6_PlJNSA_6detail9not_fun_tINSI_10functional5actorINSK_9compositeIJNSK_27transparent_binary_operatorINSA_8equal_toIvEEEENSL_INSK_8argumentILj0EEEEENSK_5valueIiEEEEEEEEEEEE10hipError_tPvRmT3_T4_T5_T6_T7_T9_mT8_P12ihipStream_tbDpT10_ENKUlT_T0_E_clISt17integral_constantIbLb0EES1H_IbLb1EEEEDaS1D_S1E_EUlS1D_E_NS1_11comp_targetILNS1_3genE8ELNS1_11target_archE1030ELNS1_3gpuE2ELNS1_3repE0EEENS1_30default_config_static_selectorELNS0_4arch9wavefront6targetE0EEEvT1_,comdat
.Lfunc_end2876:
	.size	_ZN7rocprim17ROCPRIM_400000_NS6detail17trampoline_kernelINS0_14default_configENS1_25partition_config_selectorILNS1_17partition_subalgoE6EiNS0_10empty_typeEbEEZZNS1_14partition_implILS5_6ELb0ES3_mN6thrust23THRUST_200600_302600_NS10device_ptrIiEEPS6_SD_NS0_5tupleIJSC_S6_EEENSE_IJSD_SD_EEES6_PlJNSA_6detail9not_fun_tINSI_10functional5actorINSK_9compositeIJNSK_27transparent_binary_operatorINSA_8equal_toIvEEEENSL_INSK_8argumentILj0EEEEENSK_5valueIiEEEEEEEEEEEE10hipError_tPvRmT3_T4_T5_T6_T7_T9_mT8_P12ihipStream_tbDpT10_ENKUlT_T0_E_clISt17integral_constantIbLb0EES1H_IbLb1EEEEDaS1D_S1E_EUlS1D_E_NS1_11comp_targetILNS1_3genE8ELNS1_11target_archE1030ELNS1_3gpuE2ELNS1_3repE0EEENS1_30default_config_static_selectorELNS0_4arch9wavefront6targetE0EEEvT1_, .Lfunc_end2876-_ZN7rocprim17ROCPRIM_400000_NS6detail17trampoline_kernelINS0_14default_configENS1_25partition_config_selectorILNS1_17partition_subalgoE6EiNS0_10empty_typeEbEEZZNS1_14partition_implILS5_6ELb0ES3_mN6thrust23THRUST_200600_302600_NS10device_ptrIiEEPS6_SD_NS0_5tupleIJSC_S6_EEENSE_IJSD_SD_EEES6_PlJNSA_6detail9not_fun_tINSI_10functional5actorINSK_9compositeIJNSK_27transparent_binary_operatorINSA_8equal_toIvEEEENSL_INSK_8argumentILj0EEEEENSK_5valueIiEEEEEEEEEEEE10hipError_tPvRmT3_T4_T5_T6_T7_T9_mT8_P12ihipStream_tbDpT10_ENKUlT_T0_E_clISt17integral_constantIbLb0EES1H_IbLb1EEEEDaS1D_S1E_EUlS1D_E_NS1_11comp_targetILNS1_3genE8ELNS1_11target_archE1030ELNS1_3gpuE2ELNS1_3repE0EEENS1_30default_config_static_selectorELNS0_4arch9wavefront6targetE0EEEvT1_
                                        ; -- End function
	.set _ZN7rocprim17ROCPRIM_400000_NS6detail17trampoline_kernelINS0_14default_configENS1_25partition_config_selectorILNS1_17partition_subalgoE6EiNS0_10empty_typeEbEEZZNS1_14partition_implILS5_6ELb0ES3_mN6thrust23THRUST_200600_302600_NS10device_ptrIiEEPS6_SD_NS0_5tupleIJSC_S6_EEENSE_IJSD_SD_EEES6_PlJNSA_6detail9not_fun_tINSI_10functional5actorINSK_9compositeIJNSK_27transparent_binary_operatorINSA_8equal_toIvEEEENSL_INSK_8argumentILj0EEEEENSK_5valueIiEEEEEEEEEEEE10hipError_tPvRmT3_T4_T5_T6_T7_T9_mT8_P12ihipStream_tbDpT10_ENKUlT_T0_E_clISt17integral_constantIbLb0EES1H_IbLb1EEEEDaS1D_S1E_EUlS1D_E_NS1_11comp_targetILNS1_3genE8ELNS1_11target_archE1030ELNS1_3gpuE2ELNS1_3repE0EEENS1_30default_config_static_selectorELNS0_4arch9wavefront6targetE0EEEvT1_.num_vgpr, 0
	.set _ZN7rocprim17ROCPRIM_400000_NS6detail17trampoline_kernelINS0_14default_configENS1_25partition_config_selectorILNS1_17partition_subalgoE6EiNS0_10empty_typeEbEEZZNS1_14partition_implILS5_6ELb0ES3_mN6thrust23THRUST_200600_302600_NS10device_ptrIiEEPS6_SD_NS0_5tupleIJSC_S6_EEENSE_IJSD_SD_EEES6_PlJNSA_6detail9not_fun_tINSI_10functional5actorINSK_9compositeIJNSK_27transparent_binary_operatorINSA_8equal_toIvEEEENSL_INSK_8argumentILj0EEEEENSK_5valueIiEEEEEEEEEEEE10hipError_tPvRmT3_T4_T5_T6_T7_T9_mT8_P12ihipStream_tbDpT10_ENKUlT_T0_E_clISt17integral_constantIbLb0EES1H_IbLb1EEEEDaS1D_S1E_EUlS1D_E_NS1_11comp_targetILNS1_3genE8ELNS1_11target_archE1030ELNS1_3gpuE2ELNS1_3repE0EEENS1_30default_config_static_selectorELNS0_4arch9wavefront6targetE0EEEvT1_.num_agpr, 0
	.set _ZN7rocprim17ROCPRIM_400000_NS6detail17trampoline_kernelINS0_14default_configENS1_25partition_config_selectorILNS1_17partition_subalgoE6EiNS0_10empty_typeEbEEZZNS1_14partition_implILS5_6ELb0ES3_mN6thrust23THRUST_200600_302600_NS10device_ptrIiEEPS6_SD_NS0_5tupleIJSC_S6_EEENSE_IJSD_SD_EEES6_PlJNSA_6detail9not_fun_tINSI_10functional5actorINSK_9compositeIJNSK_27transparent_binary_operatorINSA_8equal_toIvEEEENSL_INSK_8argumentILj0EEEEENSK_5valueIiEEEEEEEEEEEE10hipError_tPvRmT3_T4_T5_T6_T7_T9_mT8_P12ihipStream_tbDpT10_ENKUlT_T0_E_clISt17integral_constantIbLb0EES1H_IbLb1EEEEDaS1D_S1E_EUlS1D_E_NS1_11comp_targetILNS1_3genE8ELNS1_11target_archE1030ELNS1_3gpuE2ELNS1_3repE0EEENS1_30default_config_static_selectorELNS0_4arch9wavefront6targetE0EEEvT1_.numbered_sgpr, 0
	.set _ZN7rocprim17ROCPRIM_400000_NS6detail17trampoline_kernelINS0_14default_configENS1_25partition_config_selectorILNS1_17partition_subalgoE6EiNS0_10empty_typeEbEEZZNS1_14partition_implILS5_6ELb0ES3_mN6thrust23THRUST_200600_302600_NS10device_ptrIiEEPS6_SD_NS0_5tupleIJSC_S6_EEENSE_IJSD_SD_EEES6_PlJNSA_6detail9not_fun_tINSI_10functional5actorINSK_9compositeIJNSK_27transparent_binary_operatorINSA_8equal_toIvEEEENSL_INSK_8argumentILj0EEEEENSK_5valueIiEEEEEEEEEEEE10hipError_tPvRmT3_T4_T5_T6_T7_T9_mT8_P12ihipStream_tbDpT10_ENKUlT_T0_E_clISt17integral_constantIbLb0EES1H_IbLb1EEEEDaS1D_S1E_EUlS1D_E_NS1_11comp_targetILNS1_3genE8ELNS1_11target_archE1030ELNS1_3gpuE2ELNS1_3repE0EEENS1_30default_config_static_selectorELNS0_4arch9wavefront6targetE0EEEvT1_.num_named_barrier, 0
	.set _ZN7rocprim17ROCPRIM_400000_NS6detail17trampoline_kernelINS0_14default_configENS1_25partition_config_selectorILNS1_17partition_subalgoE6EiNS0_10empty_typeEbEEZZNS1_14partition_implILS5_6ELb0ES3_mN6thrust23THRUST_200600_302600_NS10device_ptrIiEEPS6_SD_NS0_5tupleIJSC_S6_EEENSE_IJSD_SD_EEES6_PlJNSA_6detail9not_fun_tINSI_10functional5actorINSK_9compositeIJNSK_27transparent_binary_operatorINSA_8equal_toIvEEEENSL_INSK_8argumentILj0EEEEENSK_5valueIiEEEEEEEEEEEE10hipError_tPvRmT3_T4_T5_T6_T7_T9_mT8_P12ihipStream_tbDpT10_ENKUlT_T0_E_clISt17integral_constantIbLb0EES1H_IbLb1EEEEDaS1D_S1E_EUlS1D_E_NS1_11comp_targetILNS1_3genE8ELNS1_11target_archE1030ELNS1_3gpuE2ELNS1_3repE0EEENS1_30default_config_static_selectorELNS0_4arch9wavefront6targetE0EEEvT1_.private_seg_size, 0
	.set _ZN7rocprim17ROCPRIM_400000_NS6detail17trampoline_kernelINS0_14default_configENS1_25partition_config_selectorILNS1_17partition_subalgoE6EiNS0_10empty_typeEbEEZZNS1_14partition_implILS5_6ELb0ES3_mN6thrust23THRUST_200600_302600_NS10device_ptrIiEEPS6_SD_NS0_5tupleIJSC_S6_EEENSE_IJSD_SD_EEES6_PlJNSA_6detail9not_fun_tINSI_10functional5actorINSK_9compositeIJNSK_27transparent_binary_operatorINSA_8equal_toIvEEEENSL_INSK_8argumentILj0EEEEENSK_5valueIiEEEEEEEEEEEE10hipError_tPvRmT3_T4_T5_T6_T7_T9_mT8_P12ihipStream_tbDpT10_ENKUlT_T0_E_clISt17integral_constantIbLb0EES1H_IbLb1EEEEDaS1D_S1E_EUlS1D_E_NS1_11comp_targetILNS1_3genE8ELNS1_11target_archE1030ELNS1_3gpuE2ELNS1_3repE0EEENS1_30default_config_static_selectorELNS0_4arch9wavefront6targetE0EEEvT1_.uses_vcc, 0
	.set _ZN7rocprim17ROCPRIM_400000_NS6detail17trampoline_kernelINS0_14default_configENS1_25partition_config_selectorILNS1_17partition_subalgoE6EiNS0_10empty_typeEbEEZZNS1_14partition_implILS5_6ELb0ES3_mN6thrust23THRUST_200600_302600_NS10device_ptrIiEEPS6_SD_NS0_5tupleIJSC_S6_EEENSE_IJSD_SD_EEES6_PlJNSA_6detail9not_fun_tINSI_10functional5actorINSK_9compositeIJNSK_27transparent_binary_operatorINSA_8equal_toIvEEEENSL_INSK_8argumentILj0EEEEENSK_5valueIiEEEEEEEEEEEE10hipError_tPvRmT3_T4_T5_T6_T7_T9_mT8_P12ihipStream_tbDpT10_ENKUlT_T0_E_clISt17integral_constantIbLb0EES1H_IbLb1EEEEDaS1D_S1E_EUlS1D_E_NS1_11comp_targetILNS1_3genE8ELNS1_11target_archE1030ELNS1_3gpuE2ELNS1_3repE0EEENS1_30default_config_static_selectorELNS0_4arch9wavefront6targetE0EEEvT1_.uses_flat_scratch, 0
	.set _ZN7rocprim17ROCPRIM_400000_NS6detail17trampoline_kernelINS0_14default_configENS1_25partition_config_selectorILNS1_17partition_subalgoE6EiNS0_10empty_typeEbEEZZNS1_14partition_implILS5_6ELb0ES3_mN6thrust23THRUST_200600_302600_NS10device_ptrIiEEPS6_SD_NS0_5tupleIJSC_S6_EEENSE_IJSD_SD_EEES6_PlJNSA_6detail9not_fun_tINSI_10functional5actorINSK_9compositeIJNSK_27transparent_binary_operatorINSA_8equal_toIvEEEENSL_INSK_8argumentILj0EEEEENSK_5valueIiEEEEEEEEEEEE10hipError_tPvRmT3_T4_T5_T6_T7_T9_mT8_P12ihipStream_tbDpT10_ENKUlT_T0_E_clISt17integral_constantIbLb0EES1H_IbLb1EEEEDaS1D_S1E_EUlS1D_E_NS1_11comp_targetILNS1_3genE8ELNS1_11target_archE1030ELNS1_3gpuE2ELNS1_3repE0EEENS1_30default_config_static_selectorELNS0_4arch9wavefront6targetE0EEEvT1_.has_dyn_sized_stack, 0
	.set _ZN7rocprim17ROCPRIM_400000_NS6detail17trampoline_kernelINS0_14default_configENS1_25partition_config_selectorILNS1_17partition_subalgoE6EiNS0_10empty_typeEbEEZZNS1_14partition_implILS5_6ELb0ES3_mN6thrust23THRUST_200600_302600_NS10device_ptrIiEEPS6_SD_NS0_5tupleIJSC_S6_EEENSE_IJSD_SD_EEES6_PlJNSA_6detail9not_fun_tINSI_10functional5actorINSK_9compositeIJNSK_27transparent_binary_operatorINSA_8equal_toIvEEEENSL_INSK_8argumentILj0EEEEENSK_5valueIiEEEEEEEEEEEE10hipError_tPvRmT3_T4_T5_T6_T7_T9_mT8_P12ihipStream_tbDpT10_ENKUlT_T0_E_clISt17integral_constantIbLb0EES1H_IbLb1EEEEDaS1D_S1E_EUlS1D_E_NS1_11comp_targetILNS1_3genE8ELNS1_11target_archE1030ELNS1_3gpuE2ELNS1_3repE0EEENS1_30default_config_static_selectorELNS0_4arch9wavefront6targetE0EEEvT1_.has_recursion, 0
	.set _ZN7rocprim17ROCPRIM_400000_NS6detail17trampoline_kernelINS0_14default_configENS1_25partition_config_selectorILNS1_17partition_subalgoE6EiNS0_10empty_typeEbEEZZNS1_14partition_implILS5_6ELb0ES3_mN6thrust23THRUST_200600_302600_NS10device_ptrIiEEPS6_SD_NS0_5tupleIJSC_S6_EEENSE_IJSD_SD_EEES6_PlJNSA_6detail9not_fun_tINSI_10functional5actorINSK_9compositeIJNSK_27transparent_binary_operatorINSA_8equal_toIvEEEENSL_INSK_8argumentILj0EEEEENSK_5valueIiEEEEEEEEEEEE10hipError_tPvRmT3_T4_T5_T6_T7_T9_mT8_P12ihipStream_tbDpT10_ENKUlT_T0_E_clISt17integral_constantIbLb0EES1H_IbLb1EEEEDaS1D_S1E_EUlS1D_E_NS1_11comp_targetILNS1_3genE8ELNS1_11target_archE1030ELNS1_3gpuE2ELNS1_3repE0EEENS1_30default_config_static_selectorELNS0_4arch9wavefront6targetE0EEEvT1_.has_indirect_call, 0
	.section	.AMDGPU.csdata,"",@progbits
; Kernel info:
; codeLenInByte = 0
; TotalNumSgprs: 0
; NumVgprs: 0
; ScratchSize: 0
; MemoryBound: 0
; FloatMode: 240
; IeeeMode: 1
; LDSByteSize: 0 bytes/workgroup (compile time only)
; SGPRBlocks: 0
; VGPRBlocks: 0
; NumSGPRsForWavesPerEU: 1
; NumVGPRsForWavesPerEU: 1
; Occupancy: 16
; WaveLimiterHint : 0
; COMPUTE_PGM_RSRC2:SCRATCH_EN: 0
; COMPUTE_PGM_RSRC2:USER_SGPR: 2
; COMPUTE_PGM_RSRC2:TRAP_HANDLER: 0
; COMPUTE_PGM_RSRC2:TGID_X_EN: 1
; COMPUTE_PGM_RSRC2:TGID_Y_EN: 0
; COMPUTE_PGM_RSRC2:TGID_Z_EN: 0
; COMPUTE_PGM_RSRC2:TIDIG_COMP_CNT: 0
	.text
	.p2alignl 7, 3214868480
	.fill 96, 4, 3214868480
	.section	.AMDGPU.gpr_maximums,"",@progbits
	.set amdgpu.max_num_vgpr, 0
	.set amdgpu.max_num_agpr, 0
	.set amdgpu.max_num_sgpr, 0
	.text
	.type	__hip_cuid_31781de21aef8ad7,@object ; @__hip_cuid_31781de21aef8ad7
	.section	.bss,"aw",@nobits
	.globl	__hip_cuid_31781de21aef8ad7
__hip_cuid_31781de21aef8ad7:
	.byte	0                               ; 0x0
	.size	__hip_cuid_31781de21aef8ad7, 1

	.ident	"AMD clang version 22.0.0git (https://github.com/RadeonOpenCompute/llvm-project roc-7.2.4 26084 f58b06dce1f9c15707c5f808fd002e18c2accf7e)"
	.section	".note.GNU-stack","",@progbits
	.addrsig
	.addrsig_sym __hip_cuid_31781de21aef8ad7
	.amdgpu_metadata
---
amdhsa.kernels:
  - .args:
      - .offset:         0
        .size:           4
        .value_kind:     by_value
      - .address_space:  global
        .offset:         8
        .size:           8
        .value_kind:     global_buffer
      - .offset:         16
        .size:           4
        .value_kind:     by_value
    .group_segment_fixed_size: 0
    .kernarg_segment_align: 8
    .kernarg_segment_size: 20
    .language:       OpenCL C
    .language_version:
      - 2
      - 0
    .max_flat_workgroup_size: 256
    .name:           _Z12RemoveKerneliPii
    .private_segment_fixed_size: 0
    .sgpr_count:     12
    .sgpr_spill_count: 0
    .symbol:         _Z12RemoveKerneliPii.kd
    .uniform_work_group_size: 1
    .uses_dynamic_stack: false
    .vgpr_count:     2
    .vgpr_spill_count: 0
    .wavefront_size: 32
    .workgroup_processor_mode: 1
  - .args:
      - .offset:         0
        .size:           16
        .value_kind:     by_value
      - .offset:         16
        .size:           8
        .value_kind:     by_value
      - .offset:         24
        .size:           8
        .value_kind:     by_value
    .group_segment_fixed_size: 0
    .kernarg_segment_align: 8
    .kernarg_segment_size: 32
    .language:       OpenCL C
    .language_version:
      - 2
      - 0
    .max_flat_workgroup_size: 256
    .name:           _ZN6thrust23THRUST_200600_302600_NS11hip_rocprim14__parallel_for6kernelILj256ENS1_20__uninitialized_fill7functorINS0_10device_ptrIdEEdEEmLj1EEEvT0_T1_SA_
    .private_segment_fixed_size: 0
    .sgpr_count:     12
    .sgpr_spill_count: 0
    .symbol:         _ZN6thrust23THRUST_200600_302600_NS11hip_rocprim14__parallel_for6kernelILj256ENS1_20__uninitialized_fill7functorINS0_10device_ptrIdEEdEEmLj1EEEvT0_T1_SA_.kd
    .uniform_work_group_size: 1
    .uses_dynamic_stack: false
    .vgpr_count:     5
    .vgpr_spill_count: 0
    .wavefront_size: 32
    .workgroup_processor_mode: 1
  - .args:
      - .address_space:  global
        .offset:         0
        .size:           8
        .value_kind:     global_buffer
      - .offset:         8
        .size:           4
        .value_kind:     by_value
      - .offset:         12
        .size:           1
        .value_kind:     by_value
      - .offset:         16
        .size:           4
        .value_kind:     by_value
      - .address_space:  global
        .offset:         24
        .size:           8
        .value_kind:     global_buffer
      - .offset:         32
        .size:           4
        .value_kind:     hidden_block_count_x
      - .offset:         36
        .size:           4
        .value_kind:     hidden_block_count_y
      - .offset:         40
        .size:           4
        .value_kind:     hidden_block_count_z
      - .offset:         44
        .size:           2
        .value_kind:     hidden_group_size_x
      - .offset:         46
        .size:           2
        .value_kind:     hidden_group_size_y
      - .offset:         48
        .size:           2
        .value_kind:     hidden_group_size_z
      - .offset:         50
        .size:           2
        .value_kind:     hidden_remainder_x
      - .offset:         52
        .size:           2
        .value_kind:     hidden_remainder_y
      - .offset:         54
        .size:           2
        .value_kind:     hidden_remainder_z
      - .offset:         72
        .size:           8
        .value_kind:     hidden_global_offset_x
      - .offset:         80
        .size:           8
        .value_kind:     hidden_global_offset_y
      - .offset:         88
        .size:           8
        .value_kind:     hidden_global_offset_z
      - .offset:         96
        .size:           2
        .value_kind:     hidden_grid_dims
    .group_segment_fixed_size: 0
    .kernarg_segment_align: 8
    .kernarg_segment_size: 288
    .language:       OpenCL C
    .language_version:
      - 2
      - 0
    .max_flat_workgroup_size: 256
    .name:           _ZN7rocprim17ROCPRIM_400000_NS6detail31init_lookback_scan_state_kernelINS1_19lookback_scan_stateImLb0ELb1EEENS1_16block_id_wrapperIjLb0EEEEEvT_jT0_jPNS7_10value_typeE
    .private_segment_fixed_size: 0
    .sgpr_count:     11
    .sgpr_spill_count: 0
    .symbol:         _ZN7rocprim17ROCPRIM_400000_NS6detail31init_lookback_scan_state_kernelINS1_19lookback_scan_stateImLb0ELb1EEENS1_16block_id_wrapperIjLb0EEEEEvT_jT0_jPNS7_10value_typeE.kd
    .uniform_work_group_size: 1
    .uses_dynamic_stack: false
    .vgpr_count:     8
    .vgpr_spill_count: 0
    .wavefront_size: 32
    .workgroup_processor_mode: 1
  - .args:
      - .offset:         0
        .size:           128
        .value_kind:     by_value
    .group_segment_fixed_size: 0
    .kernarg_segment_align: 8
    .kernarg_segment_size: 128
    .language:       OpenCL C
    .language_version:
      - 2
      - 0
    .max_flat_workgroup_size: 128
    .name:           _ZN7rocprim17ROCPRIM_400000_NS6detail17trampoline_kernelINS0_14default_configENS1_25partition_config_selectorILNS1_17partition_subalgoE6EdNS0_10empty_typeEbEEZZNS1_14partition_implILS5_6ELb0ES3_mN6thrust23THRUST_200600_302600_NS6detail15normal_iteratorINSA_10device_ptrIdEEEEPS6_SG_NS0_5tupleIJSF_S6_EEENSH_IJSG_SG_EEES6_PlJNSB_9not_fun_tINSB_10functional5actorINSM_9compositeIJNSM_27transparent_binary_operatorINSA_8equal_toIvEEEENSN_INSM_8argumentILj0EEEEENSM_5valueIdEEEEEEEEEEEE10hipError_tPvRmT3_T4_T5_T6_T7_T9_mT8_P12ihipStream_tbDpT10_ENKUlT_T0_E_clISt17integral_constantIbLb0EES1K_EEDaS1F_S1G_EUlS1F_E_NS1_11comp_targetILNS1_3genE0ELNS1_11target_archE4294967295ELNS1_3gpuE0ELNS1_3repE0EEENS1_30default_config_static_selectorELNS0_4arch9wavefront6targetE0EEEvT1_
    .private_segment_fixed_size: 0
    .sgpr_count:     0
    .sgpr_spill_count: 0
    .symbol:         _ZN7rocprim17ROCPRIM_400000_NS6detail17trampoline_kernelINS0_14default_configENS1_25partition_config_selectorILNS1_17partition_subalgoE6EdNS0_10empty_typeEbEEZZNS1_14partition_implILS5_6ELb0ES3_mN6thrust23THRUST_200600_302600_NS6detail15normal_iteratorINSA_10device_ptrIdEEEEPS6_SG_NS0_5tupleIJSF_S6_EEENSH_IJSG_SG_EEES6_PlJNSB_9not_fun_tINSB_10functional5actorINSM_9compositeIJNSM_27transparent_binary_operatorINSA_8equal_toIvEEEENSN_INSM_8argumentILj0EEEEENSM_5valueIdEEEEEEEEEEEE10hipError_tPvRmT3_T4_T5_T6_T7_T9_mT8_P12ihipStream_tbDpT10_ENKUlT_T0_E_clISt17integral_constantIbLb0EES1K_EEDaS1F_S1G_EUlS1F_E_NS1_11comp_targetILNS1_3genE0ELNS1_11target_archE4294967295ELNS1_3gpuE0ELNS1_3repE0EEENS1_30default_config_static_selectorELNS0_4arch9wavefront6targetE0EEEvT1_.kd
    .uniform_work_group_size: 1
    .uses_dynamic_stack: false
    .vgpr_count:     0
    .vgpr_spill_count: 0
    .wavefront_size: 32
    .workgroup_processor_mode: 1
  - .args:
      - .offset:         0
        .size:           128
        .value_kind:     by_value
    .group_segment_fixed_size: 0
    .kernarg_segment_align: 8
    .kernarg_segment_size: 128
    .language:       OpenCL C
    .language_version:
      - 2
      - 0
    .max_flat_workgroup_size: 512
    .name:           _ZN7rocprim17ROCPRIM_400000_NS6detail17trampoline_kernelINS0_14default_configENS1_25partition_config_selectorILNS1_17partition_subalgoE6EdNS0_10empty_typeEbEEZZNS1_14partition_implILS5_6ELb0ES3_mN6thrust23THRUST_200600_302600_NS6detail15normal_iteratorINSA_10device_ptrIdEEEEPS6_SG_NS0_5tupleIJSF_S6_EEENSH_IJSG_SG_EEES6_PlJNSB_9not_fun_tINSB_10functional5actorINSM_9compositeIJNSM_27transparent_binary_operatorINSA_8equal_toIvEEEENSN_INSM_8argumentILj0EEEEENSM_5valueIdEEEEEEEEEEEE10hipError_tPvRmT3_T4_T5_T6_T7_T9_mT8_P12ihipStream_tbDpT10_ENKUlT_T0_E_clISt17integral_constantIbLb0EES1K_EEDaS1F_S1G_EUlS1F_E_NS1_11comp_targetILNS1_3genE5ELNS1_11target_archE942ELNS1_3gpuE9ELNS1_3repE0EEENS1_30default_config_static_selectorELNS0_4arch9wavefront6targetE0EEEvT1_
    .private_segment_fixed_size: 0
    .sgpr_count:     0
    .sgpr_spill_count: 0
    .symbol:         _ZN7rocprim17ROCPRIM_400000_NS6detail17trampoline_kernelINS0_14default_configENS1_25partition_config_selectorILNS1_17partition_subalgoE6EdNS0_10empty_typeEbEEZZNS1_14partition_implILS5_6ELb0ES3_mN6thrust23THRUST_200600_302600_NS6detail15normal_iteratorINSA_10device_ptrIdEEEEPS6_SG_NS0_5tupleIJSF_S6_EEENSH_IJSG_SG_EEES6_PlJNSB_9not_fun_tINSB_10functional5actorINSM_9compositeIJNSM_27transparent_binary_operatorINSA_8equal_toIvEEEENSN_INSM_8argumentILj0EEEEENSM_5valueIdEEEEEEEEEEEE10hipError_tPvRmT3_T4_T5_T6_T7_T9_mT8_P12ihipStream_tbDpT10_ENKUlT_T0_E_clISt17integral_constantIbLb0EES1K_EEDaS1F_S1G_EUlS1F_E_NS1_11comp_targetILNS1_3genE5ELNS1_11target_archE942ELNS1_3gpuE9ELNS1_3repE0EEENS1_30default_config_static_selectorELNS0_4arch9wavefront6targetE0EEEvT1_.kd
    .uniform_work_group_size: 1
    .uses_dynamic_stack: false
    .vgpr_count:     0
    .vgpr_spill_count: 0
    .wavefront_size: 32
    .workgroup_processor_mode: 1
  - .args:
      - .offset:         0
        .size:           128
        .value_kind:     by_value
    .group_segment_fixed_size: 0
    .kernarg_segment_align: 8
    .kernarg_segment_size: 128
    .language:       OpenCL C
    .language_version:
      - 2
      - 0
    .max_flat_workgroup_size: 128
    .name:           _ZN7rocprim17ROCPRIM_400000_NS6detail17trampoline_kernelINS0_14default_configENS1_25partition_config_selectorILNS1_17partition_subalgoE6EdNS0_10empty_typeEbEEZZNS1_14partition_implILS5_6ELb0ES3_mN6thrust23THRUST_200600_302600_NS6detail15normal_iteratorINSA_10device_ptrIdEEEEPS6_SG_NS0_5tupleIJSF_S6_EEENSH_IJSG_SG_EEES6_PlJNSB_9not_fun_tINSB_10functional5actorINSM_9compositeIJNSM_27transparent_binary_operatorINSA_8equal_toIvEEEENSN_INSM_8argumentILj0EEEEENSM_5valueIdEEEEEEEEEEEE10hipError_tPvRmT3_T4_T5_T6_T7_T9_mT8_P12ihipStream_tbDpT10_ENKUlT_T0_E_clISt17integral_constantIbLb0EES1K_EEDaS1F_S1G_EUlS1F_E_NS1_11comp_targetILNS1_3genE4ELNS1_11target_archE910ELNS1_3gpuE8ELNS1_3repE0EEENS1_30default_config_static_selectorELNS0_4arch9wavefront6targetE0EEEvT1_
    .private_segment_fixed_size: 0
    .sgpr_count:     0
    .sgpr_spill_count: 0
    .symbol:         _ZN7rocprim17ROCPRIM_400000_NS6detail17trampoline_kernelINS0_14default_configENS1_25partition_config_selectorILNS1_17partition_subalgoE6EdNS0_10empty_typeEbEEZZNS1_14partition_implILS5_6ELb0ES3_mN6thrust23THRUST_200600_302600_NS6detail15normal_iteratorINSA_10device_ptrIdEEEEPS6_SG_NS0_5tupleIJSF_S6_EEENSH_IJSG_SG_EEES6_PlJNSB_9not_fun_tINSB_10functional5actorINSM_9compositeIJNSM_27transparent_binary_operatorINSA_8equal_toIvEEEENSN_INSM_8argumentILj0EEEEENSM_5valueIdEEEEEEEEEEEE10hipError_tPvRmT3_T4_T5_T6_T7_T9_mT8_P12ihipStream_tbDpT10_ENKUlT_T0_E_clISt17integral_constantIbLb0EES1K_EEDaS1F_S1G_EUlS1F_E_NS1_11comp_targetILNS1_3genE4ELNS1_11target_archE910ELNS1_3gpuE8ELNS1_3repE0EEENS1_30default_config_static_selectorELNS0_4arch9wavefront6targetE0EEEvT1_.kd
    .uniform_work_group_size: 1
    .uses_dynamic_stack: false
    .vgpr_count:     0
    .vgpr_spill_count: 0
    .wavefront_size: 32
    .workgroup_processor_mode: 1
  - .args:
      - .offset:         0
        .size:           128
        .value_kind:     by_value
    .group_segment_fixed_size: 0
    .kernarg_segment_align: 8
    .kernarg_segment_size: 128
    .language:       OpenCL C
    .language_version:
      - 2
      - 0
    .max_flat_workgroup_size: 128
    .name:           _ZN7rocprim17ROCPRIM_400000_NS6detail17trampoline_kernelINS0_14default_configENS1_25partition_config_selectorILNS1_17partition_subalgoE6EdNS0_10empty_typeEbEEZZNS1_14partition_implILS5_6ELb0ES3_mN6thrust23THRUST_200600_302600_NS6detail15normal_iteratorINSA_10device_ptrIdEEEEPS6_SG_NS0_5tupleIJSF_S6_EEENSH_IJSG_SG_EEES6_PlJNSB_9not_fun_tINSB_10functional5actorINSM_9compositeIJNSM_27transparent_binary_operatorINSA_8equal_toIvEEEENSN_INSM_8argumentILj0EEEEENSM_5valueIdEEEEEEEEEEEE10hipError_tPvRmT3_T4_T5_T6_T7_T9_mT8_P12ihipStream_tbDpT10_ENKUlT_T0_E_clISt17integral_constantIbLb0EES1K_EEDaS1F_S1G_EUlS1F_E_NS1_11comp_targetILNS1_3genE3ELNS1_11target_archE908ELNS1_3gpuE7ELNS1_3repE0EEENS1_30default_config_static_selectorELNS0_4arch9wavefront6targetE0EEEvT1_
    .private_segment_fixed_size: 0
    .sgpr_count:     0
    .sgpr_spill_count: 0
    .symbol:         _ZN7rocprim17ROCPRIM_400000_NS6detail17trampoline_kernelINS0_14default_configENS1_25partition_config_selectorILNS1_17partition_subalgoE6EdNS0_10empty_typeEbEEZZNS1_14partition_implILS5_6ELb0ES3_mN6thrust23THRUST_200600_302600_NS6detail15normal_iteratorINSA_10device_ptrIdEEEEPS6_SG_NS0_5tupleIJSF_S6_EEENSH_IJSG_SG_EEES6_PlJNSB_9not_fun_tINSB_10functional5actorINSM_9compositeIJNSM_27transparent_binary_operatorINSA_8equal_toIvEEEENSN_INSM_8argumentILj0EEEEENSM_5valueIdEEEEEEEEEEEE10hipError_tPvRmT3_T4_T5_T6_T7_T9_mT8_P12ihipStream_tbDpT10_ENKUlT_T0_E_clISt17integral_constantIbLb0EES1K_EEDaS1F_S1G_EUlS1F_E_NS1_11comp_targetILNS1_3genE3ELNS1_11target_archE908ELNS1_3gpuE7ELNS1_3repE0EEENS1_30default_config_static_selectorELNS0_4arch9wavefront6targetE0EEEvT1_.kd
    .uniform_work_group_size: 1
    .uses_dynamic_stack: false
    .vgpr_count:     0
    .vgpr_spill_count: 0
    .wavefront_size: 32
    .workgroup_processor_mode: 1
  - .args:
      - .offset:         0
        .size:           128
        .value_kind:     by_value
    .group_segment_fixed_size: 0
    .kernarg_segment_align: 8
    .kernarg_segment_size: 128
    .language:       OpenCL C
    .language_version:
      - 2
      - 0
    .max_flat_workgroup_size: 256
    .name:           _ZN7rocprim17ROCPRIM_400000_NS6detail17trampoline_kernelINS0_14default_configENS1_25partition_config_selectorILNS1_17partition_subalgoE6EdNS0_10empty_typeEbEEZZNS1_14partition_implILS5_6ELb0ES3_mN6thrust23THRUST_200600_302600_NS6detail15normal_iteratorINSA_10device_ptrIdEEEEPS6_SG_NS0_5tupleIJSF_S6_EEENSH_IJSG_SG_EEES6_PlJNSB_9not_fun_tINSB_10functional5actorINSM_9compositeIJNSM_27transparent_binary_operatorINSA_8equal_toIvEEEENSN_INSM_8argumentILj0EEEEENSM_5valueIdEEEEEEEEEEEE10hipError_tPvRmT3_T4_T5_T6_T7_T9_mT8_P12ihipStream_tbDpT10_ENKUlT_T0_E_clISt17integral_constantIbLb0EES1K_EEDaS1F_S1G_EUlS1F_E_NS1_11comp_targetILNS1_3genE2ELNS1_11target_archE906ELNS1_3gpuE6ELNS1_3repE0EEENS1_30default_config_static_selectorELNS0_4arch9wavefront6targetE0EEEvT1_
    .private_segment_fixed_size: 0
    .sgpr_count:     0
    .sgpr_spill_count: 0
    .symbol:         _ZN7rocprim17ROCPRIM_400000_NS6detail17trampoline_kernelINS0_14default_configENS1_25partition_config_selectorILNS1_17partition_subalgoE6EdNS0_10empty_typeEbEEZZNS1_14partition_implILS5_6ELb0ES3_mN6thrust23THRUST_200600_302600_NS6detail15normal_iteratorINSA_10device_ptrIdEEEEPS6_SG_NS0_5tupleIJSF_S6_EEENSH_IJSG_SG_EEES6_PlJNSB_9not_fun_tINSB_10functional5actorINSM_9compositeIJNSM_27transparent_binary_operatorINSA_8equal_toIvEEEENSN_INSM_8argumentILj0EEEEENSM_5valueIdEEEEEEEEEEEE10hipError_tPvRmT3_T4_T5_T6_T7_T9_mT8_P12ihipStream_tbDpT10_ENKUlT_T0_E_clISt17integral_constantIbLb0EES1K_EEDaS1F_S1G_EUlS1F_E_NS1_11comp_targetILNS1_3genE2ELNS1_11target_archE906ELNS1_3gpuE6ELNS1_3repE0EEENS1_30default_config_static_selectorELNS0_4arch9wavefront6targetE0EEEvT1_.kd
    .uniform_work_group_size: 1
    .uses_dynamic_stack: false
    .vgpr_count:     0
    .vgpr_spill_count: 0
    .wavefront_size: 32
    .workgroup_processor_mode: 1
  - .args:
      - .offset:         0
        .size:           128
        .value_kind:     by_value
    .group_segment_fixed_size: 8464
    .kernarg_segment_align: 8
    .kernarg_segment_size: 128
    .language:       OpenCL C
    .language_version:
      - 2
      - 0
    .max_flat_workgroup_size: 256
    .name:           _ZN7rocprim17ROCPRIM_400000_NS6detail17trampoline_kernelINS0_14default_configENS1_25partition_config_selectorILNS1_17partition_subalgoE6EdNS0_10empty_typeEbEEZZNS1_14partition_implILS5_6ELb0ES3_mN6thrust23THRUST_200600_302600_NS6detail15normal_iteratorINSA_10device_ptrIdEEEEPS6_SG_NS0_5tupleIJSF_S6_EEENSH_IJSG_SG_EEES6_PlJNSB_9not_fun_tINSB_10functional5actorINSM_9compositeIJNSM_27transparent_binary_operatorINSA_8equal_toIvEEEENSN_INSM_8argumentILj0EEEEENSM_5valueIdEEEEEEEEEEEE10hipError_tPvRmT3_T4_T5_T6_T7_T9_mT8_P12ihipStream_tbDpT10_ENKUlT_T0_E_clISt17integral_constantIbLb0EES1K_EEDaS1F_S1G_EUlS1F_E_NS1_11comp_targetILNS1_3genE10ELNS1_11target_archE1200ELNS1_3gpuE4ELNS1_3repE0EEENS1_30default_config_static_selectorELNS0_4arch9wavefront6targetE0EEEvT1_
    .private_segment_fixed_size: 0
    .sgpr_count:     24
    .sgpr_spill_count: 0
    .symbol:         _ZN7rocprim17ROCPRIM_400000_NS6detail17trampoline_kernelINS0_14default_configENS1_25partition_config_selectorILNS1_17partition_subalgoE6EdNS0_10empty_typeEbEEZZNS1_14partition_implILS5_6ELb0ES3_mN6thrust23THRUST_200600_302600_NS6detail15normal_iteratorINSA_10device_ptrIdEEEEPS6_SG_NS0_5tupleIJSF_S6_EEENSH_IJSG_SG_EEES6_PlJNSB_9not_fun_tINSB_10functional5actorINSM_9compositeIJNSM_27transparent_binary_operatorINSA_8equal_toIvEEEENSN_INSM_8argumentILj0EEEEENSM_5valueIdEEEEEEEEEEEE10hipError_tPvRmT3_T4_T5_T6_T7_T9_mT8_P12ihipStream_tbDpT10_ENKUlT_T0_E_clISt17integral_constantIbLb0EES1K_EEDaS1F_S1G_EUlS1F_E_NS1_11comp_targetILNS1_3genE10ELNS1_11target_archE1200ELNS1_3gpuE4ELNS1_3repE0EEENS1_30default_config_static_selectorELNS0_4arch9wavefront6targetE0EEEvT1_.kd
    .uniform_work_group_size: 1
    .uses_dynamic_stack: false
    .vgpr_count:     46
    .vgpr_spill_count: 0
    .wavefront_size: 32
    .workgroup_processor_mode: 1
  - .args:
      - .offset:         0
        .size:           128
        .value_kind:     by_value
    .group_segment_fixed_size: 0
    .kernarg_segment_align: 8
    .kernarg_segment_size: 128
    .language:       OpenCL C
    .language_version:
      - 2
      - 0
    .max_flat_workgroup_size: 384
    .name:           _ZN7rocprim17ROCPRIM_400000_NS6detail17trampoline_kernelINS0_14default_configENS1_25partition_config_selectorILNS1_17partition_subalgoE6EdNS0_10empty_typeEbEEZZNS1_14partition_implILS5_6ELb0ES3_mN6thrust23THRUST_200600_302600_NS6detail15normal_iteratorINSA_10device_ptrIdEEEEPS6_SG_NS0_5tupleIJSF_S6_EEENSH_IJSG_SG_EEES6_PlJNSB_9not_fun_tINSB_10functional5actorINSM_9compositeIJNSM_27transparent_binary_operatorINSA_8equal_toIvEEEENSN_INSM_8argumentILj0EEEEENSM_5valueIdEEEEEEEEEEEE10hipError_tPvRmT3_T4_T5_T6_T7_T9_mT8_P12ihipStream_tbDpT10_ENKUlT_T0_E_clISt17integral_constantIbLb0EES1K_EEDaS1F_S1G_EUlS1F_E_NS1_11comp_targetILNS1_3genE9ELNS1_11target_archE1100ELNS1_3gpuE3ELNS1_3repE0EEENS1_30default_config_static_selectorELNS0_4arch9wavefront6targetE0EEEvT1_
    .private_segment_fixed_size: 0
    .sgpr_count:     0
    .sgpr_spill_count: 0
    .symbol:         _ZN7rocprim17ROCPRIM_400000_NS6detail17trampoline_kernelINS0_14default_configENS1_25partition_config_selectorILNS1_17partition_subalgoE6EdNS0_10empty_typeEbEEZZNS1_14partition_implILS5_6ELb0ES3_mN6thrust23THRUST_200600_302600_NS6detail15normal_iteratorINSA_10device_ptrIdEEEEPS6_SG_NS0_5tupleIJSF_S6_EEENSH_IJSG_SG_EEES6_PlJNSB_9not_fun_tINSB_10functional5actorINSM_9compositeIJNSM_27transparent_binary_operatorINSA_8equal_toIvEEEENSN_INSM_8argumentILj0EEEEENSM_5valueIdEEEEEEEEEEEE10hipError_tPvRmT3_T4_T5_T6_T7_T9_mT8_P12ihipStream_tbDpT10_ENKUlT_T0_E_clISt17integral_constantIbLb0EES1K_EEDaS1F_S1G_EUlS1F_E_NS1_11comp_targetILNS1_3genE9ELNS1_11target_archE1100ELNS1_3gpuE3ELNS1_3repE0EEENS1_30default_config_static_selectorELNS0_4arch9wavefront6targetE0EEEvT1_.kd
    .uniform_work_group_size: 1
    .uses_dynamic_stack: false
    .vgpr_count:     0
    .vgpr_spill_count: 0
    .wavefront_size: 32
    .workgroup_processor_mode: 1
  - .args:
      - .offset:         0
        .size:           128
        .value_kind:     by_value
    .group_segment_fixed_size: 0
    .kernarg_segment_align: 8
    .kernarg_segment_size: 128
    .language:       OpenCL C
    .language_version:
      - 2
      - 0
    .max_flat_workgroup_size: 512
    .name:           _ZN7rocprim17ROCPRIM_400000_NS6detail17trampoline_kernelINS0_14default_configENS1_25partition_config_selectorILNS1_17partition_subalgoE6EdNS0_10empty_typeEbEEZZNS1_14partition_implILS5_6ELb0ES3_mN6thrust23THRUST_200600_302600_NS6detail15normal_iteratorINSA_10device_ptrIdEEEEPS6_SG_NS0_5tupleIJSF_S6_EEENSH_IJSG_SG_EEES6_PlJNSB_9not_fun_tINSB_10functional5actorINSM_9compositeIJNSM_27transparent_binary_operatorINSA_8equal_toIvEEEENSN_INSM_8argumentILj0EEEEENSM_5valueIdEEEEEEEEEEEE10hipError_tPvRmT3_T4_T5_T6_T7_T9_mT8_P12ihipStream_tbDpT10_ENKUlT_T0_E_clISt17integral_constantIbLb0EES1K_EEDaS1F_S1G_EUlS1F_E_NS1_11comp_targetILNS1_3genE8ELNS1_11target_archE1030ELNS1_3gpuE2ELNS1_3repE0EEENS1_30default_config_static_selectorELNS0_4arch9wavefront6targetE0EEEvT1_
    .private_segment_fixed_size: 0
    .sgpr_count:     0
    .sgpr_spill_count: 0
    .symbol:         _ZN7rocprim17ROCPRIM_400000_NS6detail17trampoline_kernelINS0_14default_configENS1_25partition_config_selectorILNS1_17partition_subalgoE6EdNS0_10empty_typeEbEEZZNS1_14partition_implILS5_6ELb0ES3_mN6thrust23THRUST_200600_302600_NS6detail15normal_iteratorINSA_10device_ptrIdEEEEPS6_SG_NS0_5tupleIJSF_S6_EEENSH_IJSG_SG_EEES6_PlJNSB_9not_fun_tINSB_10functional5actorINSM_9compositeIJNSM_27transparent_binary_operatorINSA_8equal_toIvEEEENSN_INSM_8argumentILj0EEEEENSM_5valueIdEEEEEEEEEEEE10hipError_tPvRmT3_T4_T5_T6_T7_T9_mT8_P12ihipStream_tbDpT10_ENKUlT_T0_E_clISt17integral_constantIbLb0EES1K_EEDaS1F_S1G_EUlS1F_E_NS1_11comp_targetILNS1_3genE8ELNS1_11target_archE1030ELNS1_3gpuE2ELNS1_3repE0EEENS1_30default_config_static_selectorELNS0_4arch9wavefront6targetE0EEEvT1_.kd
    .uniform_work_group_size: 1
    .uses_dynamic_stack: false
    .vgpr_count:     0
    .vgpr_spill_count: 0
    .wavefront_size: 32
    .workgroup_processor_mode: 1
  - .args:
      - .offset:         0
        .size:           40
        .value_kind:     by_value
    .group_segment_fixed_size: 0
    .kernarg_segment_align: 8
    .kernarg_segment_size: 40
    .language:       OpenCL C
    .language_version:
      - 2
      - 0
    .max_flat_workgroup_size: 128
    .name:           _ZN7rocprim17ROCPRIM_400000_NS6detail17trampoline_kernelINS0_14default_configENS1_25transform_config_selectorImLb1EEEZNS1_14transform_implILb1ES3_S5_PmPlNS0_8identityIvEEEE10hipError_tT2_T3_mT4_P12ihipStream_tbEUlT_E_NS1_11comp_targetILNS1_3genE0ELNS1_11target_archE4294967295ELNS1_3gpuE0ELNS1_3repE0EEENS1_30default_config_static_selectorELNS0_4arch9wavefront6targetE0EEEvT1_
    .private_segment_fixed_size: 0
    .sgpr_count:     0
    .sgpr_spill_count: 0
    .symbol:         _ZN7rocprim17ROCPRIM_400000_NS6detail17trampoline_kernelINS0_14default_configENS1_25transform_config_selectorImLb1EEEZNS1_14transform_implILb1ES3_S5_PmPlNS0_8identityIvEEEE10hipError_tT2_T3_mT4_P12ihipStream_tbEUlT_E_NS1_11comp_targetILNS1_3genE0ELNS1_11target_archE4294967295ELNS1_3gpuE0ELNS1_3repE0EEENS1_30default_config_static_selectorELNS0_4arch9wavefront6targetE0EEEvT1_.kd
    .uniform_work_group_size: 1
    .uses_dynamic_stack: false
    .vgpr_count:     0
    .vgpr_spill_count: 0
    .wavefront_size: 32
    .workgroup_processor_mode: 1
  - .args:
      - .offset:         0
        .size:           40
        .value_kind:     by_value
      - .offset:         40
        .size:           4
        .value_kind:     hidden_block_count_x
      - .offset:         44
        .size:           4
        .value_kind:     hidden_block_count_y
      - .offset:         48
        .size:           4
        .value_kind:     hidden_block_count_z
      - .offset:         52
        .size:           2
        .value_kind:     hidden_group_size_x
      - .offset:         54
        .size:           2
        .value_kind:     hidden_group_size_y
      - .offset:         56
        .size:           2
        .value_kind:     hidden_group_size_z
      - .offset:         58
        .size:           2
        .value_kind:     hidden_remainder_x
      - .offset:         60
        .size:           2
        .value_kind:     hidden_remainder_y
      - .offset:         62
        .size:           2
        .value_kind:     hidden_remainder_z
      - .offset:         80
        .size:           8
        .value_kind:     hidden_global_offset_x
      - .offset:         88
        .size:           8
        .value_kind:     hidden_global_offset_y
      - .offset:         96
        .size:           8
        .value_kind:     hidden_global_offset_z
      - .offset:         104
        .size:           2
        .value_kind:     hidden_grid_dims
    .group_segment_fixed_size: 0
    .kernarg_segment_align: 8
    .kernarg_segment_size: 296
    .language:       OpenCL C
    .language_version:
      - 2
      - 0
    .max_flat_workgroup_size: 1024
    .name:           _ZN7rocprim17ROCPRIM_400000_NS6detail17trampoline_kernelINS0_14default_configENS1_25transform_config_selectorImLb1EEEZNS1_14transform_implILb1ES3_S5_PmPlNS0_8identityIvEEEE10hipError_tT2_T3_mT4_P12ihipStream_tbEUlT_E_NS1_11comp_targetILNS1_3genE10ELNS1_11target_archE1201ELNS1_3gpuE5ELNS1_3repE0EEENS1_30default_config_static_selectorELNS0_4arch9wavefront6targetE0EEEvT1_
    .private_segment_fixed_size: 0
    .sgpr_count:     15
    .sgpr_spill_count: 0
    .symbol:         _ZN7rocprim17ROCPRIM_400000_NS6detail17trampoline_kernelINS0_14default_configENS1_25transform_config_selectorImLb1EEEZNS1_14transform_implILb1ES3_S5_PmPlNS0_8identityIvEEEE10hipError_tT2_T3_mT4_P12ihipStream_tbEUlT_E_NS1_11comp_targetILNS1_3genE10ELNS1_11target_archE1201ELNS1_3gpuE5ELNS1_3repE0EEENS1_30default_config_static_selectorELNS0_4arch9wavefront6targetE0EEEvT1_.kd
    .uniform_work_group_size: 1
    .uses_dynamic_stack: false
    .vgpr_count:     7
    .vgpr_spill_count: 0
    .wavefront_size: 32
    .workgroup_processor_mode: 1
  - .args:
      - .offset:         0
        .size:           40
        .value_kind:     by_value
    .group_segment_fixed_size: 0
    .kernarg_segment_align: 8
    .kernarg_segment_size: 40
    .language:       OpenCL C
    .language_version:
      - 2
      - 0
    .max_flat_workgroup_size: 512
    .name:           _ZN7rocprim17ROCPRIM_400000_NS6detail17trampoline_kernelINS0_14default_configENS1_25transform_config_selectorImLb1EEEZNS1_14transform_implILb1ES3_S5_PmPlNS0_8identityIvEEEE10hipError_tT2_T3_mT4_P12ihipStream_tbEUlT_E_NS1_11comp_targetILNS1_3genE5ELNS1_11target_archE942ELNS1_3gpuE9ELNS1_3repE0EEENS1_30default_config_static_selectorELNS0_4arch9wavefront6targetE0EEEvT1_
    .private_segment_fixed_size: 0
    .sgpr_count:     0
    .sgpr_spill_count: 0
    .symbol:         _ZN7rocprim17ROCPRIM_400000_NS6detail17trampoline_kernelINS0_14default_configENS1_25transform_config_selectorImLb1EEEZNS1_14transform_implILb1ES3_S5_PmPlNS0_8identityIvEEEE10hipError_tT2_T3_mT4_P12ihipStream_tbEUlT_E_NS1_11comp_targetILNS1_3genE5ELNS1_11target_archE942ELNS1_3gpuE9ELNS1_3repE0EEENS1_30default_config_static_selectorELNS0_4arch9wavefront6targetE0EEEvT1_.kd
    .uniform_work_group_size: 1
    .uses_dynamic_stack: false
    .vgpr_count:     0
    .vgpr_spill_count: 0
    .wavefront_size: 32
    .workgroup_processor_mode: 1
  - .args:
      - .offset:         0
        .size:           40
        .value_kind:     by_value
    .group_segment_fixed_size: 0
    .kernarg_segment_align: 8
    .kernarg_segment_size: 40
    .language:       OpenCL C
    .language_version:
      - 2
      - 0
    .max_flat_workgroup_size: 1024
    .name:           _ZN7rocprim17ROCPRIM_400000_NS6detail17trampoline_kernelINS0_14default_configENS1_25transform_config_selectorImLb1EEEZNS1_14transform_implILb1ES3_S5_PmPlNS0_8identityIvEEEE10hipError_tT2_T3_mT4_P12ihipStream_tbEUlT_E_NS1_11comp_targetILNS1_3genE4ELNS1_11target_archE910ELNS1_3gpuE8ELNS1_3repE0EEENS1_30default_config_static_selectorELNS0_4arch9wavefront6targetE0EEEvT1_
    .private_segment_fixed_size: 0
    .sgpr_count:     0
    .sgpr_spill_count: 0
    .symbol:         _ZN7rocprim17ROCPRIM_400000_NS6detail17trampoline_kernelINS0_14default_configENS1_25transform_config_selectorImLb1EEEZNS1_14transform_implILb1ES3_S5_PmPlNS0_8identityIvEEEE10hipError_tT2_T3_mT4_P12ihipStream_tbEUlT_E_NS1_11comp_targetILNS1_3genE4ELNS1_11target_archE910ELNS1_3gpuE8ELNS1_3repE0EEENS1_30default_config_static_selectorELNS0_4arch9wavefront6targetE0EEEvT1_.kd
    .uniform_work_group_size: 1
    .uses_dynamic_stack: false
    .vgpr_count:     0
    .vgpr_spill_count: 0
    .wavefront_size: 32
    .workgroup_processor_mode: 1
  - .args:
      - .offset:         0
        .size:           40
        .value_kind:     by_value
    .group_segment_fixed_size: 0
    .kernarg_segment_align: 8
    .kernarg_segment_size: 40
    .language:       OpenCL C
    .language_version:
      - 2
      - 0
    .max_flat_workgroup_size: 128
    .name:           _ZN7rocprim17ROCPRIM_400000_NS6detail17trampoline_kernelINS0_14default_configENS1_25transform_config_selectorImLb1EEEZNS1_14transform_implILb1ES3_S5_PmPlNS0_8identityIvEEEE10hipError_tT2_T3_mT4_P12ihipStream_tbEUlT_E_NS1_11comp_targetILNS1_3genE3ELNS1_11target_archE908ELNS1_3gpuE7ELNS1_3repE0EEENS1_30default_config_static_selectorELNS0_4arch9wavefront6targetE0EEEvT1_
    .private_segment_fixed_size: 0
    .sgpr_count:     0
    .sgpr_spill_count: 0
    .symbol:         _ZN7rocprim17ROCPRIM_400000_NS6detail17trampoline_kernelINS0_14default_configENS1_25transform_config_selectorImLb1EEEZNS1_14transform_implILb1ES3_S5_PmPlNS0_8identityIvEEEE10hipError_tT2_T3_mT4_P12ihipStream_tbEUlT_E_NS1_11comp_targetILNS1_3genE3ELNS1_11target_archE908ELNS1_3gpuE7ELNS1_3repE0EEENS1_30default_config_static_selectorELNS0_4arch9wavefront6targetE0EEEvT1_.kd
    .uniform_work_group_size: 1
    .uses_dynamic_stack: false
    .vgpr_count:     0
    .vgpr_spill_count: 0
    .wavefront_size: 32
    .workgroup_processor_mode: 1
  - .args:
      - .offset:         0
        .size:           40
        .value_kind:     by_value
    .group_segment_fixed_size: 0
    .kernarg_segment_align: 8
    .kernarg_segment_size: 40
    .language:       OpenCL C
    .language_version:
      - 2
      - 0
    .max_flat_workgroup_size: 512
    .name:           _ZN7rocprim17ROCPRIM_400000_NS6detail17trampoline_kernelINS0_14default_configENS1_25transform_config_selectorImLb1EEEZNS1_14transform_implILb1ES3_S5_PmPlNS0_8identityIvEEEE10hipError_tT2_T3_mT4_P12ihipStream_tbEUlT_E_NS1_11comp_targetILNS1_3genE2ELNS1_11target_archE906ELNS1_3gpuE6ELNS1_3repE0EEENS1_30default_config_static_selectorELNS0_4arch9wavefront6targetE0EEEvT1_
    .private_segment_fixed_size: 0
    .sgpr_count:     0
    .sgpr_spill_count: 0
    .symbol:         _ZN7rocprim17ROCPRIM_400000_NS6detail17trampoline_kernelINS0_14default_configENS1_25transform_config_selectorImLb1EEEZNS1_14transform_implILb1ES3_S5_PmPlNS0_8identityIvEEEE10hipError_tT2_T3_mT4_P12ihipStream_tbEUlT_E_NS1_11comp_targetILNS1_3genE2ELNS1_11target_archE906ELNS1_3gpuE6ELNS1_3repE0EEENS1_30default_config_static_selectorELNS0_4arch9wavefront6targetE0EEEvT1_.kd
    .uniform_work_group_size: 1
    .uses_dynamic_stack: false
    .vgpr_count:     0
    .vgpr_spill_count: 0
    .wavefront_size: 32
    .workgroup_processor_mode: 1
  - .args:
      - .offset:         0
        .size:           40
        .value_kind:     by_value
    .group_segment_fixed_size: 0
    .kernarg_segment_align: 8
    .kernarg_segment_size: 40
    .language:       OpenCL C
    .language_version:
      - 2
      - 0
    .max_flat_workgroup_size: 1024
    .name:           _ZN7rocprim17ROCPRIM_400000_NS6detail17trampoline_kernelINS0_14default_configENS1_25transform_config_selectorImLb1EEEZNS1_14transform_implILb1ES3_S5_PmPlNS0_8identityIvEEEE10hipError_tT2_T3_mT4_P12ihipStream_tbEUlT_E_NS1_11comp_targetILNS1_3genE9ELNS1_11target_archE1100ELNS1_3gpuE3ELNS1_3repE0EEENS1_30default_config_static_selectorELNS0_4arch9wavefront6targetE0EEEvT1_
    .private_segment_fixed_size: 0
    .sgpr_count:     0
    .sgpr_spill_count: 0
    .symbol:         _ZN7rocprim17ROCPRIM_400000_NS6detail17trampoline_kernelINS0_14default_configENS1_25transform_config_selectorImLb1EEEZNS1_14transform_implILb1ES3_S5_PmPlNS0_8identityIvEEEE10hipError_tT2_T3_mT4_P12ihipStream_tbEUlT_E_NS1_11comp_targetILNS1_3genE9ELNS1_11target_archE1100ELNS1_3gpuE3ELNS1_3repE0EEENS1_30default_config_static_selectorELNS0_4arch9wavefront6targetE0EEEvT1_.kd
    .uniform_work_group_size: 1
    .uses_dynamic_stack: false
    .vgpr_count:     0
    .vgpr_spill_count: 0
    .wavefront_size: 32
    .workgroup_processor_mode: 1
  - .args:
      - .offset:         0
        .size:           40
        .value_kind:     by_value
    .group_segment_fixed_size: 0
    .kernarg_segment_align: 8
    .kernarg_segment_size: 40
    .language:       OpenCL C
    .language_version:
      - 2
      - 0
    .max_flat_workgroup_size: 1024
    .name:           _ZN7rocprim17ROCPRIM_400000_NS6detail17trampoline_kernelINS0_14default_configENS1_25transform_config_selectorImLb1EEEZNS1_14transform_implILb1ES3_S5_PmPlNS0_8identityIvEEEE10hipError_tT2_T3_mT4_P12ihipStream_tbEUlT_E_NS1_11comp_targetILNS1_3genE8ELNS1_11target_archE1030ELNS1_3gpuE2ELNS1_3repE0EEENS1_30default_config_static_selectorELNS0_4arch9wavefront6targetE0EEEvT1_
    .private_segment_fixed_size: 0
    .sgpr_count:     0
    .sgpr_spill_count: 0
    .symbol:         _ZN7rocprim17ROCPRIM_400000_NS6detail17trampoline_kernelINS0_14default_configENS1_25transform_config_selectorImLb1EEEZNS1_14transform_implILb1ES3_S5_PmPlNS0_8identityIvEEEE10hipError_tT2_T3_mT4_P12ihipStream_tbEUlT_E_NS1_11comp_targetILNS1_3genE8ELNS1_11target_archE1030ELNS1_3gpuE2ELNS1_3repE0EEENS1_30default_config_static_selectorELNS0_4arch9wavefront6targetE0EEEvT1_.kd
    .uniform_work_group_size: 1
    .uses_dynamic_stack: false
    .vgpr_count:     0
    .vgpr_spill_count: 0
    .wavefront_size: 32
    .workgroup_processor_mode: 1
  - .args:
      - .address_space:  global
        .offset:         0
        .size:           8
        .value_kind:     global_buffer
      - .offset:         8
        .size:           4
        .value_kind:     by_value
      - .address_space:  global
        .offset:         16
        .size:           8
        .value_kind:     global_buffer
      - .offset:         24
        .size:           4
        .value_kind:     by_value
      - .address_space:  global
        .offset:         32
        .size:           8
        .value_kind:     global_buffer
      - .offset:         40
        .size:           4
        .value_kind:     hidden_block_count_x
      - .offset:         44
        .size:           4
        .value_kind:     hidden_block_count_y
      - .offset:         48
        .size:           4
        .value_kind:     hidden_block_count_z
      - .offset:         52
        .size:           2
        .value_kind:     hidden_group_size_x
      - .offset:         54
        .size:           2
        .value_kind:     hidden_group_size_y
      - .offset:         56
        .size:           2
        .value_kind:     hidden_group_size_z
      - .offset:         58
        .size:           2
        .value_kind:     hidden_remainder_x
      - .offset:         60
        .size:           2
        .value_kind:     hidden_remainder_y
      - .offset:         62
        .size:           2
        .value_kind:     hidden_remainder_z
      - .offset:         80
        .size:           8
        .value_kind:     hidden_global_offset_x
      - .offset:         88
        .size:           8
        .value_kind:     hidden_global_offset_y
      - .offset:         96
        .size:           8
        .value_kind:     hidden_global_offset_z
      - .offset:         104
        .size:           2
        .value_kind:     hidden_grid_dims
    .group_segment_fixed_size: 0
    .kernarg_segment_align: 8
    .kernarg_segment_size: 296
    .language:       OpenCL C
    .language_version:
      - 2
      - 0
    .max_flat_workgroup_size: 256
    .name:           _ZN7rocprim17ROCPRIM_400000_NS6detail31init_lookback_scan_state_kernelINS1_19lookback_scan_stateImLb1ELb1EEENS1_16block_id_wrapperIjLb1EEEEEvT_jT0_jPNS7_10value_typeE
    .private_segment_fixed_size: 0
    .sgpr_count:     14
    .sgpr_spill_count: 0
    .symbol:         _ZN7rocprim17ROCPRIM_400000_NS6detail31init_lookback_scan_state_kernelINS1_19lookback_scan_stateImLb1ELb1EEENS1_16block_id_wrapperIjLb1EEEEEvT_jT0_jPNS7_10value_typeE.kd
    .uniform_work_group_size: 1
    .uses_dynamic_stack: false
    .vgpr_count:     8
    .vgpr_spill_count: 0
    .wavefront_size: 32
    .workgroup_processor_mode: 1
  - .args:
      - .offset:         0
        .size:           136
        .value_kind:     by_value
    .group_segment_fixed_size: 0
    .kernarg_segment_align: 8
    .kernarg_segment_size: 136
    .language:       OpenCL C
    .language_version:
      - 2
      - 0
    .max_flat_workgroup_size: 128
    .name:           _ZN7rocprim17ROCPRIM_400000_NS6detail17trampoline_kernelINS0_14default_configENS1_25partition_config_selectorILNS1_17partition_subalgoE6EdNS0_10empty_typeEbEEZZNS1_14partition_implILS5_6ELb0ES3_mN6thrust23THRUST_200600_302600_NS6detail15normal_iteratorINSA_10device_ptrIdEEEEPS6_SG_NS0_5tupleIJSF_S6_EEENSH_IJSG_SG_EEES6_PlJNSB_9not_fun_tINSB_10functional5actorINSM_9compositeIJNSM_27transparent_binary_operatorINSA_8equal_toIvEEEENSN_INSM_8argumentILj0EEEEENSM_5valueIdEEEEEEEEEEEE10hipError_tPvRmT3_T4_T5_T6_T7_T9_mT8_P12ihipStream_tbDpT10_ENKUlT_T0_E_clISt17integral_constantIbLb1EES1K_EEDaS1F_S1G_EUlS1F_E_NS1_11comp_targetILNS1_3genE0ELNS1_11target_archE4294967295ELNS1_3gpuE0ELNS1_3repE0EEENS1_30default_config_static_selectorELNS0_4arch9wavefront6targetE0EEEvT1_
    .private_segment_fixed_size: 0
    .sgpr_count:     0
    .sgpr_spill_count: 0
    .symbol:         _ZN7rocprim17ROCPRIM_400000_NS6detail17trampoline_kernelINS0_14default_configENS1_25partition_config_selectorILNS1_17partition_subalgoE6EdNS0_10empty_typeEbEEZZNS1_14partition_implILS5_6ELb0ES3_mN6thrust23THRUST_200600_302600_NS6detail15normal_iteratorINSA_10device_ptrIdEEEEPS6_SG_NS0_5tupleIJSF_S6_EEENSH_IJSG_SG_EEES6_PlJNSB_9not_fun_tINSB_10functional5actorINSM_9compositeIJNSM_27transparent_binary_operatorINSA_8equal_toIvEEEENSN_INSM_8argumentILj0EEEEENSM_5valueIdEEEEEEEEEEEE10hipError_tPvRmT3_T4_T5_T6_T7_T9_mT8_P12ihipStream_tbDpT10_ENKUlT_T0_E_clISt17integral_constantIbLb1EES1K_EEDaS1F_S1G_EUlS1F_E_NS1_11comp_targetILNS1_3genE0ELNS1_11target_archE4294967295ELNS1_3gpuE0ELNS1_3repE0EEENS1_30default_config_static_selectorELNS0_4arch9wavefront6targetE0EEEvT1_.kd
    .uniform_work_group_size: 1
    .uses_dynamic_stack: false
    .vgpr_count:     0
    .vgpr_spill_count: 0
    .wavefront_size: 32
    .workgroup_processor_mode: 1
  - .args:
      - .offset:         0
        .size:           136
        .value_kind:     by_value
    .group_segment_fixed_size: 0
    .kernarg_segment_align: 8
    .kernarg_segment_size: 136
    .language:       OpenCL C
    .language_version:
      - 2
      - 0
    .max_flat_workgroup_size: 512
    .name:           _ZN7rocprim17ROCPRIM_400000_NS6detail17trampoline_kernelINS0_14default_configENS1_25partition_config_selectorILNS1_17partition_subalgoE6EdNS0_10empty_typeEbEEZZNS1_14partition_implILS5_6ELb0ES3_mN6thrust23THRUST_200600_302600_NS6detail15normal_iteratorINSA_10device_ptrIdEEEEPS6_SG_NS0_5tupleIJSF_S6_EEENSH_IJSG_SG_EEES6_PlJNSB_9not_fun_tINSB_10functional5actorINSM_9compositeIJNSM_27transparent_binary_operatorINSA_8equal_toIvEEEENSN_INSM_8argumentILj0EEEEENSM_5valueIdEEEEEEEEEEEE10hipError_tPvRmT3_T4_T5_T6_T7_T9_mT8_P12ihipStream_tbDpT10_ENKUlT_T0_E_clISt17integral_constantIbLb1EES1K_EEDaS1F_S1G_EUlS1F_E_NS1_11comp_targetILNS1_3genE5ELNS1_11target_archE942ELNS1_3gpuE9ELNS1_3repE0EEENS1_30default_config_static_selectorELNS0_4arch9wavefront6targetE0EEEvT1_
    .private_segment_fixed_size: 0
    .sgpr_count:     0
    .sgpr_spill_count: 0
    .symbol:         _ZN7rocprim17ROCPRIM_400000_NS6detail17trampoline_kernelINS0_14default_configENS1_25partition_config_selectorILNS1_17partition_subalgoE6EdNS0_10empty_typeEbEEZZNS1_14partition_implILS5_6ELb0ES3_mN6thrust23THRUST_200600_302600_NS6detail15normal_iteratorINSA_10device_ptrIdEEEEPS6_SG_NS0_5tupleIJSF_S6_EEENSH_IJSG_SG_EEES6_PlJNSB_9not_fun_tINSB_10functional5actorINSM_9compositeIJNSM_27transparent_binary_operatorINSA_8equal_toIvEEEENSN_INSM_8argumentILj0EEEEENSM_5valueIdEEEEEEEEEEEE10hipError_tPvRmT3_T4_T5_T6_T7_T9_mT8_P12ihipStream_tbDpT10_ENKUlT_T0_E_clISt17integral_constantIbLb1EES1K_EEDaS1F_S1G_EUlS1F_E_NS1_11comp_targetILNS1_3genE5ELNS1_11target_archE942ELNS1_3gpuE9ELNS1_3repE0EEENS1_30default_config_static_selectorELNS0_4arch9wavefront6targetE0EEEvT1_.kd
    .uniform_work_group_size: 1
    .uses_dynamic_stack: false
    .vgpr_count:     0
    .vgpr_spill_count: 0
    .wavefront_size: 32
    .workgroup_processor_mode: 1
  - .args:
      - .offset:         0
        .size:           136
        .value_kind:     by_value
    .group_segment_fixed_size: 0
    .kernarg_segment_align: 8
    .kernarg_segment_size: 136
    .language:       OpenCL C
    .language_version:
      - 2
      - 0
    .max_flat_workgroup_size: 128
    .name:           _ZN7rocprim17ROCPRIM_400000_NS6detail17trampoline_kernelINS0_14default_configENS1_25partition_config_selectorILNS1_17partition_subalgoE6EdNS0_10empty_typeEbEEZZNS1_14partition_implILS5_6ELb0ES3_mN6thrust23THRUST_200600_302600_NS6detail15normal_iteratorINSA_10device_ptrIdEEEEPS6_SG_NS0_5tupleIJSF_S6_EEENSH_IJSG_SG_EEES6_PlJNSB_9not_fun_tINSB_10functional5actorINSM_9compositeIJNSM_27transparent_binary_operatorINSA_8equal_toIvEEEENSN_INSM_8argumentILj0EEEEENSM_5valueIdEEEEEEEEEEEE10hipError_tPvRmT3_T4_T5_T6_T7_T9_mT8_P12ihipStream_tbDpT10_ENKUlT_T0_E_clISt17integral_constantIbLb1EES1K_EEDaS1F_S1G_EUlS1F_E_NS1_11comp_targetILNS1_3genE4ELNS1_11target_archE910ELNS1_3gpuE8ELNS1_3repE0EEENS1_30default_config_static_selectorELNS0_4arch9wavefront6targetE0EEEvT1_
    .private_segment_fixed_size: 0
    .sgpr_count:     0
    .sgpr_spill_count: 0
    .symbol:         _ZN7rocprim17ROCPRIM_400000_NS6detail17trampoline_kernelINS0_14default_configENS1_25partition_config_selectorILNS1_17partition_subalgoE6EdNS0_10empty_typeEbEEZZNS1_14partition_implILS5_6ELb0ES3_mN6thrust23THRUST_200600_302600_NS6detail15normal_iteratorINSA_10device_ptrIdEEEEPS6_SG_NS0_5tupleIJSF_S6_EEENSH_IJSG_SG_EEES6_PlJNSB_9not_fun_tINSB_10functional5actorINSM_9compositeIJNSM_27transparent_binary_operatorINSA_8equal_toIvEEEENSN_INSM_8argumentILj0EEEEENSM_5valueIdEEEEEEEEEEEE10hipError_tPvRmT3_T4_T5_T6_T7_T9_mT8_P12ihipStream_tbDpT10_ENKUlT_T0_E_clISt17integral_constantIbLb1EES1K_EEDaS1F_S1G_EUlS1F_E_NS1_11comp_targetILNS1_3genE4ELNS1_11target_archE910ELNS1_3gpuE8ELNS1_3repE0EEENS1_30default_config_static_selectorELNS0_4arch9wavefront6targetE0EEEvT1_.kd
    .uniform_work_group_size: 1
    .uses_dynamic_stack: false
    .vgpr_count:     0
    .vgpr_spill_count: 0
    .wavefront_size: 32
    .workgroup_processor_mode: 1
  - .args:
      - .offset:         0
        .size:           136
        .value_kind:     by_value
    .group_segment_fixed_size: 0
    .kernarg_segment_align: 8
    .kernarg_segment_size: 136
    .language:       OpenCL C
    .language_version:
      - 2
      - 0
    .max_flat_workgroup_size: 128
    .name:           _ZN7rocprim17ROCPRIM_400000_NS6detail17trampoline_kernelINS0_14default_configENS1_25partition_config_selectorILNS1_17partition_subalgoE6EdNS0_10empty_typeEbEEZZNS1_14partition_implILS5_6ELb0ES3_mN6thrust23THRUST_200600_302600_NS6detail15normal_iteratorINSA_10device_ptrIdEEEEPS6_SG_NS0_5tupleIJSF_S6_EEENSH_IJSG_SG_EEES6_PlJNSB_9not_fun_tINSB_10functional5actorINSM_9compositeIJNSM_27transparent_binary_operatorINSA_8equal_toIvEEEENSN_INSM_8argumentILj0EEEEENSM_5valueIdEEEEEEEEEEEE10hipError_tPvRmT3_T4_T5_T6_T7_T9_mT8_P12ihipStream_tbDpT10_ENKUlT_T0_E_clISt17integral_constantIbLb1EES1K_EEDaS1F_S1G_EUlS1F_E_NS1_11comp_targetILNS1_3genE3ELNS1_11target_archE908ELNS1_3gpuE7ELNS1_3repE0EEENS1_30default_config_static_selectorELNS0_4arch9wavefront6targetE0EEEvT1_
    .private_segment_fixed_size: 0
    .sgpr_count:     0
    .sgpr_spill_count: 0
    .symbol:         _ZN7rocprim17ROCPRIM_400000_NS6detail17trampoline_kernelINS0_14default_configENS1_25partition_config_selectorILNS1_17partition_subalgoE6EdNS0_10empty_typeEbEEZZNS1_14partition_implILS5_6ELb0ES3_mN6thrust23THRUST_200600_302600_NS6detail15normal_iteratorINSA_10device_ptrIdEEEEPS6_SG_NS0_5tupleIJSF_S6_EEENSH_IJSG_SG_EEES6_PlJNSB_9not_fun_tINSB_10functional5actorINSM_9compositeIJNSM_27transparent_binary_operatorINSA_8equal_toIvEEEENSN_INSM_8argumentILj0EEEEENSM_5valueIdEEEEEEEEEEEE10hipError_tPvRmT3_T4_T5_T6_T7_T9_mT8_P12ihipStream_tbDpT10_ENKUlT_T0_E_clISt17integral_constantIbLb1EES1K_EEDaS1F_S1G_EUlS1F_E_NS1_11comp_targetILNS1_3genE3ELNS1_11target_archE908ELNS1_3gpuE7ELNS1_3repE0EEENS1_30default_config_static_selectorELNS0_4arch9wavefront6targetE0EEEvT1_.kd
    .uniform_work_group_size: 1
    .uses_dynamic_stack: false
    .vgpr_count:     0
    .vgpr_spill_count: 0
    .wavefront_size: 32
    .workgroup_processor_mode: 1
  - .args:
      - .offset:         0
        .size:           136
        .value_kind:     by_value
    .group_segment_fixed_size: 0
    .kernarg_segment_align: 8
    .kernarg_segment_size: 136
    .language:       OpenCL C
    .language_version:
      - 2
      - 0
    .max_flat_workgroup_size: 256
    .name:           _ZN7rocprim17ROCPRIM_400000_NS6detail17trampoline_kernelINS0_14default_configENS1_25partition_config_selectorILNS1_17partition_subalgoE6EdNS0_10empty_typeEbEEZZNS1_14partition_implILS5_6ELb0ES3_mN6thrust23THRUST_200600_302600_NS6detail15normal_iteratorINSA_10device_ptrIdEEEEPS6_SG_NS0_5tupleIJSF_S6_EEENSH_IJSG_SG_EEES6_PlJNSB_9not_fun_tINSB_10functional5actorINSM_9compositeIJNSM_27transparent_binary_operatorINSA_8equal_toIvEEEENSN_INSM_8argumentILj0EEEEENSM_5valueIdEEEEEEEEEEEE10hipError_tPvRmT3_T4_T5_T6_T7_T9_mT8_P12ihipStream_tbDpT10_ENKUlT_T0_E_clISt17integral_constantIbLb1EES1K_EEDaS1F_S1G_EUlS1F_E_NS1_11comp_targetILNS1_3genE2ELNS1_11target_archE906ELNS1_3gpuE6ELNS1_3repE0EEENS1_30default_config_static_selectorELNS0_4arch9wavefront6targetE0EEEvT1_
    .private_segment_fixed_size: 0
    .sgpr_count:     0
    .sgpr_spill_count: 0
    .symbol:         _ZN7rocprim17ROCPRIM_400000_NS6detail17trampoline_kernelINS0_14default_configENS1_25partition_config_selectorILNS1_17partition_subalgoE6EdNS0_10empty_typeEbEEZZNS1_14partition_implILS5_6ELb0ES3_mN6thrust23THRUST_200600_302600_NS6detail15normal_iteratorINSA_10device_ptrIdEEEEPS6_SG_NS0_5tupleIJSF_S6_EEENSH_IJSG_SG_EEES6_PlJNSB_9not_fun_tINSB_10functional5actorINSM_9compositeIJNSM_27transparent_binary_operatorINSA_8equal_toIvEEEENSN_INSM_8argumentILj0EEEEENSM_5valueIdEEEEEEEEEEEE10hipError_tPvRmT3_T4_T5_T6_T7_T9_mT8_P12ihipStream_tbDpT10_ENKUlT_T0_E_clISt17integral_constantIbLb1EES1K_EEDaS1F_S1G_EUlS1F_E_NS1_11comp_targetILNS1_3genE2ELNS1_11target_archE906ELNS1_3gpuE6ELNS1_3repE0EEENS1_30default_config_static_selectorELNS0_4arch9wavefront6targetE0EEEvT1_.kd
    .uniform_work_group_size: 1
    .uses_dynamic_stack: false
    .vgpr_count:     0
    .vgpr_spill_count: 0
    .wavefront_size: 32
    .workgroup_processor_mode: 1
  - .args:
      - .offset:         0
        .size:           136
        .value_kind:     by_value
    .group_segment_fixed_size: 0
    .kernarg_segment_align: 8
    .kernarg_segment_size: 136
    .language:       OpenCL C
    .language_version:
      - 2
      - 0
    .max_flat_workgroup_size: 256
    .name:           _ZN7rocprim17ROCPRIM_400000_NS6detail17trampoline_kernelINS0_14default_configENS1_25partition_config_selectorILNS1_17partition_subalgoE6EdNS0_10empty_typeEbEEZZNS1_14partition_implILS5_6ELb0ES3_mN6thrust23THRUST_200600_302600_NS6detail15normal_iteratorINSA_10device_ptrIdEEEEPS6_SG_NS0_5tupleIJSF_S6_EEENSH_IJSG_SG_EEES6_PlJNSB_9not_fun_tINSB_10functional5actorINSM_9compositeIJNSM_27transparent_binary_operatorINSA_8equal_toIvEEEENSN_INSM_8argumentILj0EEEEENSM_5valueIdEEEEEEEEEEEE10hipError_tPvRmT3_T4_T5_T6_T7_T9_mT8_P12ihipStream_tbDpT10_ENKUlT_T0_E_clISt17integral_constantIbLb1EES1K_EEDaS1F_S1G_EUlS1F_E_NS1_11comp_targetILNS1_3genE10ELNS1_11target_archE1200ELNS1_3gpuE4ELNS1_3repE0EEENS1_30default_config_static_selectorELNS0_4arch9wavefront6targetE0EEEvT1_
    .private_segment_fixed_size: 0
    .sgpr_count:     0
    .sgpr_spill_count: 0
    .symbol:         _ZN7rocprim17ROCPRIM_400000_NS6detail17trampoline_kernelINS0_14default_configENS1_25partition_config_selectorILNS1_17partition_subalgoE6EdNS0_10empty_typeEbEEZZNS1_14partition_implILS5_6ELb0ES3_mN6thrust23THRUST_200600_302600_NS6detail15normal_iteratorINSA_10device_ptrIdEEEEPS6_SG_NS0_5tupleIJSF_S6_EEENSH_IJSG_SG_EEES6_PlJNSB_9not_fun_tINSB_10functional5actorINSM_9compositeIJNSM_27transparent_binary_operatorINSA_8equal_toIvEEEENSN_INSM_8argumentILj0EEEEENSM_5valueIdEEEEEEEEEEEE10hipError_tPvRmT3_T4_T5_T6_T7_T9_mT8_P12ihipStream_tbDpT10_ENKUlT_T0_E_clISt17integral_constantIbLb1EES1K_EEDaS1F_S1G_EUlS1F_E_NS1_11comp_targetILNS1_3genE10ELNS1_11target_archE1200ELNS1_3gpuE4ELNS1_3repE0EEENS1_30default_config_static_selectorELNS0_4arch9wavefront6targetE0EEEvT1_.kd
    .uniform_work_group_size: 1
    .uses_dynamic_stack: false
    .vgpr_count:     0
    .vgpr_spill_count: 0
    .wavefront_size: 32
    .workgroup_processor_mode: 1
  - .args:
      - .offset:         0
        .size:           136
        .value_kind:     by_value
    .group_segment_fixed_size: 0
    .kernarg_segment_align: 8
    .kernarg_segment_size: 136
    .language:       OpenCL C
    .language_version:
      - 2
      - 0
    .max_flat_workgroup_size: 384
    .name:           _ZN7rocprim17ROCPRIM_400000_NS6detail17trampoline_kernelINS0_14default_configENS1_25partition_config_selectorILNS1_17partition_subalgoE6EdNS0_10empty_typeEbEEZZNS1_14partition_implILS5_6ELb0ES3_mN6thrust23THRUST_200600_302600_NS6detail15normal_iteratorINSA_10device_ptrIdEEEEPS6_SG_NS0_5tupleIJSF_S6_EEENSH_IJSG_SG_EEES6_PlJNSB_9not_fun_tINSB_10functional5actorINSM_9compositeIJNSM_27transparent_binary_operatorINSA_8equal_toIvEEEENSN_INSM_8argumentILj0EEEEENSM_5valueIdEEEEEEEEEEEE10hipError_tPvRmT3_T4_T5_T6_T7_T9_mT8_P12ihipStream_tbDpT10_ENKUlT_T0_E_clISt17integral_constantIbLb1EES1K_EEDaS1F_S1G_EUlS1F_E_NS1_11comp_targetILNS1_3genE9ELNS1_11target_archE1100ELNS1_3gpuE3ELNS1_3repE0EEENS1_30default_config_static_selectorELNS0_4arch9wavefront6targetE0EEEvT1_
    .private_segment_fixed_size: 0
    .sgpr_count:     0
    .sgpr_spill_count: 0
    .symbol:         _ZN7rocprim17ROCPRIM_400000_NS6detail17trampoline_kernelINS0_14default_configENS1_25partition_config_selectorILNS1_17partition_subalgoE6EdNS0_10empty_typeEbEEZZNS1_14partition_implILS5_6ELb0ES3_mN6thrust23THRUST_200600_302600_NS6detail15normal_iteratorINSA_10device_ptrIdEEEEPS6_SG_NS0_5tupleIJSF_S6_EEENSH_IJSG_SG_EEES6_PlJNSB_9not_fun_tINSB_10functional5actorINSM_9compositeIJNSM_27transparent_binary_operatorINSA_8equal_toIvEEEENSN_INSM_8argumentILj0EEEEENSM_5valueIdEEEEEEEEEEEE10hipError_tPvRmT3_T4_T5_T6_T7_T9_mT8_P12ihipStream_tbDpT10_ENKUlT_T0_E_clISt17integral_constantIbLb1EES1K_EEDaS1F_S1G_EUlS1F_E_NS1_11comp_targetILNS1_3genE9ELNS1_11target_archE1100ELNS1_3gpuE3ELNS1_3repE0EEENS1_30default_config_static_selectorELNS0_4arch9wavefront6targetE0EEEvT1_.kd
    .uniform_work_group_size: 1
    .uses_dynamic_stack: false
    .vgpr_count:     0
    .vgpr_spill_count: 0
    .wavefront_size: 32
    .workgroup_processor_mode: 1
  - .args:
      - .offset:         0
        .size:           136
        .value_kind:     by_value
    .group_segment_fixed_size: 0
    .kernarg_segment_align: 8
    .kernarg_segment_size: 136
    .language:       OpenCL C
    .language_version:
      - 2
      - 0
    .max_flat_workgroup_size: 512
    .name:           _ZN7rocprim17ROCPRIM_400000_NS6detail17trampoline_kernelINS0_14default_configENS1_25partition_config_selectorILNS1_17partition_subalgoE6EdNS0_10empty_typeEbEEZZNS1_14partition_implILS5_6ELb0ES3_mN6thrust23THRUST_200600_302600_NS6detail15normal_iteratorINSA_10device_ptrIdEEEEPS6_SG_NS0_5tupleIJSF_S6_EEENSH_IJSG_SG_EEES6_PlJNSB_9not_fun_tINSB_10functional5actorINSM_9compositeIJNSM_27transparent_binary_operatorINSA_8equal_toIvEEEENSN_INSM_8argumentILj0EEEEENSM_5valueIdEEEEEEEEEEEE10hipError_tPvRmT3_T4_T5_T6_T7_T9_mT8_P12ihipStream_tbDpT10_ENKUlT_T0_E_clISt17integral_constantIbLb1EES1K_EEDaS1F_S1G_EUlS1F_E_NS1_11comp_targetILNS1_3genE8ELNS1_11target_archE1030ELNS1_3gpuE2ELNS1_3repE0EEENS1_30default_config_static_selectorELNS0_4arch9wavefront6targetE0EEEvT1_
    .private_segment_fixed_size: 0
    .sgpr_count:     0
    .sgpr_spill_count: 0
    .symbol:         _ZN7rocprim17ROCPRIM_400000_NS6detail17trampoline_kernelINS0_14default_configENS1_25partition_config_selectorILNS1_17partition_subalgoE6EdNS0_10empty_typeEbEEZZNS1_14partition_implILS5_6ELb0ES3_mN6thrust23THRUST_200600_302600_NS6detail15normal_iteratorINSA_10device_ptrIdEEEEPS6_SG_NS0_5tupleIJSF_S6_EEENSH_IJSG_SG_EEES6_PlJNSB_9not_fun_tINSB_10functional5actorINSM_9compositeIJNSM_27transparent_binary_operatorINSA_8equal_toIvEEEENSN_INSM_8argumentILj0EEEEENSM_5valueIdEEEEEEEEEEEE10hipError_tPvRmT3_T4_T5_T6_T7_T9_mT8_P12ihipStream_tbDpT10_ENKUlT_T0_E_clISt17integral_constantIbLb1EES1K_EEDaS1F_S1G_EUlS1F_E_NS1_11comp_targetILNS1_3genE8ELNS1_11target_archE1030ELNS1_3gpuE2ELNS1_3repE0EEENS1_30default_config_static_selectorELNS0_4arch9wavefront6targetE0EEEvT1_.kd
    .uniform_work_group_size: 1
    .uses_dynamic_stack: false
    .vgpr_count:     0
    .vgpr_spill_count: 0
    .wavefront_size: 32
    .workgroup_processor_mode: 1
  - .args:
      - .address_space:  global
        .offset:         0
        .size:           8
        .value_kind:     global_buffer
      - .offset:         8
        .size:           4
        .value_kind:     by_value
      - .offset:         12
        .size:           1
        .value_kind:     by_value
      - .offset:         16
        .size:           4
        .value_kind:     by_value
      - .address_space:  global
        .offset:         24
        .size:           8
        .value_kind:     global_buffer
      - .offset:         32
        .size:           4
        .value_kind:     hidden_block_count_x
      - .offset:         36
        .size:           4
        .value_kind:     hidden_block_count_y
      - .offset:         40
        .size:           4
        .value_kind:     hidden_block_count_z
      - .offset:         44
        .size:           2
        .value_kind:     hidden_group_size_x
      - .offset:         46
        .size:           2
        .value_kind:     hidden_group_size_y
      - .offset:         48
        .size:           2
        .value_kind:     hidden_group_size_z
      - .offset:         50
        .size:           2
        .value_kind:     hidden_remainder_x
      - .offset:         52
        .size:           2
        .value_kind:     hidden_remainder_y
      - .offset:         54
        .size:           2
        .value_kind:     hidden_remainder_z
      - .offset:         72
        .size:           8
        .value_kind:     hidden_global_offset_x
      - .offset:         80
        .size:           8
        .value_kind:     hidden_global_offset_y
      - .offset:         88
        .size:           8
        .value_kind:     hidden_global_offset_z
      - .offset:         96
        .size:           2
        .value_kind:     hidden_grid_dims
    .group_segment_fixed_size: 0
    .kernarg_segment_align: 8
    .kernarg_segment_size: 288
    .language:       OpenCL C
    .language_version:
      - 2
      - 0
    .max_flat_workgroup_size: 256
    .name:           _ZN7rocprim17ROCPRIM_400000_NS6detail31init_lookback_scan_state_kernelINS1_19lookback_scan_stateImLb1ELb1EEENS1_16block_id_wrapperIjLb0EEEEEvT_jT0_jPNS7_10value_typeE
    .private_segment_fixed_size: 0
    .sgpr_count:     12
    .sgpr_spill_count: 0
    .symbol:         _ZN7rocprim17ROCPRIM_400000_NS6detail31init_lookback_scan_state_kernelINS1_19lookback_scan_stateImLb1ELb1EEENS1_16block_id_wrapperIjLb0EEEEEvT_jT0_jPNS7_10value_typeE.kd
    .uniform_work_group_size: 1
    .uses_dynamic_stack: false
    .vgpr_count:     8
    .vgpr_spill_count: 0
    .wavefront_size: 32
    .workgroup_processor_mode: 1
  - .args:
      - .offset:         0
        .size:           128
        .value_kind:     by_value
    .group_segment_fixed_size: 0
    .kernarg_segment_align: 8
    .kernarg_segment_size: 128
    .language:       OpenCL C
    .language_version:
      - 2
      - 0
    .max_flat_workgroup_size: 128
    .name:           _ZN7rocprim17ROCPRIM_400000_NS6detail17trampoline_kernelINS0_14default_configENS1_25partition_config_selectorILNS1_17partition_subalgoE6EdNS0_10empty_typeEbEEZZNS1_14partition_implILS5_6ELb0ES3_mN6thrust23THRUST_200600_302600_NS6detail15normal_iteratorINSA_10device_ptrIdEEEEPS6_SG_NS0_5tupleIJSF_S6_EEENSH_IJSG_SG_EEES6_PlJNSB_9not_fun_tINSB_10functional5actorINSM_9compositeIJNSM_27transparent_binary_operatorINSA_8equal_toIvEEEENSN_INSM_8argumentILj0EEEEENSM_5valueIdEEEEEEEEEEEE10hipError_tPvRmT3_T4_T5_T6_T7_T9_mT8_P12ihipStream_tbDpT10_ENKUlT_T0_E_clISt17integral_constantIbLb1EES1J_IbLb0EEEEDaS1F_S1G_EUlS1F_E_NS1_11comp_targetILNS1_3genE0ELNS1_11target_archE4294967295ELNS1_3gpuE0ELNS1_3repE0EEENS1_30default_config_static_selectorELNS0_4arch9wavefront6targetE0EEEvT1_
    .private_segment_fixed_size: 0
    .sgpr_count:     0
    .sgpr_spill_count: 0
    .symbol:         _ZN7rocprim17ROCPRIM_400000_NS6detail17trampoline_kernelINS0_14default_configENS1_25partition_config_selectorILNS1_17partition_subalgoE6EdNS0_10empty_typeEbEEZZNS1_14partition_implILS5_6ELb0ES3_mN6thrust23THRUST_200600_302600_NS6detail15normal_iteratorINSA_10device_ptrIdEEEEPS6_SG_NS0_5tupleIJSF_S6_EEENSH_IJSG_SG_EEES6_PlJNSB_9not_fun_tINSB_10functional5actorINSM_9compositeIJNSM_27transparent_binary_operatorINSA_8equal_toIvEEEENSN_INSM_8argumentILj0EEEEENSM_5valueIdEEEEEEEEEEEE10hipError_tPvRmT3_T4_T5_T6_T7_T9_mT8_P12ihipStream_tbDpT10_ENKUlT_T0_E_clISt17integral_constantIbLb1EES1J_IbLb0EEEEDaS1F_S1G_EUlS1F_E_NS1_11comp_targetILNS1_3genE0ELNS1_11target_archE4294967295ELNS1_3gpuE0ELNS1_3repE0EEENS1_30default_config_static_selectorELNS0_4arch9wavefront6targetE0EEEvT1_.kd
    .uniform_work_group_size: 1
    .uses_dynamic_stack: false
    .vgpr_count:     0
    .vgpr_spill_count: 0
    .wavefront_size: 32
    .workgroup_processor_mode: 1
  - .args:
      - .offset:         0
        .size:           128
        .value_kind:     by_value
    .group_segment_fixed_size: 0
    .kernarg_segment_align: 8
    .kernarg_segment_size: 128
    .language:       OpenCL C
    .language_version:
      - 2
      - 0
    .max_flat_workgroup_size: 512
    .name:           _ZN7rocprim17ROCPRIM_400000_NS6detail17trampoline_kernelINS0_14default_configENS1_25partition_config_selectorILNS1_17partition_subalgoE6EdNS0_10empty_typeEbEEZZNS1_14partition_implILS5_6ELb0ES3_mN6thrust23THRUST_200600_302600_NS6detail15normal_iteratorINSA_10device_ptrIdEEEEPS6_SG_NS0_5tupleIJSF_S6_EEENSH_IJSG_SG_EEES6_PlJNSB_9not_fun_tINSB_10functional5actorINSM_9compositeIJNSM_27transparent_binary_operatorINSA_8equal_toIvEEEENSN_INSM_8argumentILj0EEEEENSM_5valueIdEEEEEEEEEEEE10hipError_tPvRmT3_T4_T5_T6_T7_T9_mT8_P12ihipStream_tbDpT10_ENKUlT_T0_E_clISt17integral_constantIbLb1EES1J_IbLb0EEEEDaS1F_S1G_EUlS1F_E_NS1_11comp_targetILNS1_3genE5ELNS1_11target_archE942ELNS1_3gpuE9ELNS1_3repE0EEENS1_30default_config_static_selectorELNS0_4arch9wavefront6targetE0EEEvT1_
    .private_segment_fixed_size: 0
    .sgpr_count:     0
    .sgpr_spill_count: 0
    .symbol:         _ZN7rocprim17ROCPRIM_400000_NS6detail17trampoline_kernelINS0_14default_configENS1_25partition_config_selectorILNS1_17partition_subalgoE6EdNS0_10empty_typeEbEEZZNS1_14partition_implILS5_6ELb0ES3_mN6thrust23THRUST_200600_302600_NS6detail15normal_iteratorINSA_10device_ptrIdEEEEPS6_SG_NS0_5tupleIJSF_S6_EEENSH_IJSG_SG_EEES6_PlJNSB_9not_fun_tINSB_10functional5actorINSM_9compositeIJNSM_27transparent_binary_operatorINSA_8equal_toIvEEEENSN_INSM_8argumentILj0EEEEENSM_5valueIdEEEEEEEEEEEE10hipError_tPvRmT3_T4_T5_T6_T7_T9_mT8_P12ihipStream_tbDpT10_ENKUlT_T0_E_clISt17integral_constantIbLb1EES1J_IbLb0EEEEDaS1F_S1G_EUlS1F_E_NS1_11comp_targetILNS1_3genE5ELNS1_11target_archE942ELNS1_3gpuE9ELNS1_3repE0EEENS1_30default_config_static_selectorELNS0_4arch9wavefront6targetE0EEEvT1_.kd
    .uniform_work_group_size: 1
    .uses_dynamic_stack: false
    .vgpr_count:     0
    .vgpr_spill_count: 0
    .wavefront_size: 32
    .workgroup_processor_mode: 1
  - .args:
      - .offset:         0
        .size:           128
        .value_kind:     by_value
    .group_segment_fixed_size: 0
    .kernarg_segment_align: 8
    .kernarg_segment_size: 128
    .language:       OpenCL C
    .language_version:
      - 2
      - 0
    .max_flat_workgroup_size: 128
    .name:           _ZN7rocprim17ROCPRIM_400000_NS6detail17trampoline_kernelINS0_14default_configENS1_25partition_config_selectorILNS1_17partition_subalgoE6EdNS0_10empty_typeEbEEZZNS1_14partition_implILS5_6ELb0ES3_mN6thrust23THRUST_200600_302600_NS6detail15normal_iteratorINSA_10device_ptrIdEEEEPS6_SG_NS0_5tupleIJSF_S6_EEENSH_IJSG_SG_EEES6_PlJNSB_9not_fun_tINSB_10functional5actorINSM_9compositeIJNSM_27transparent_binary_operatorINSA_8equal_toIvEEEENSN_INSM_8argumentILj0EEEEENSM_5valueIdEEEEEEEEEEEE10hipError_tPvRmT3_T4_T5_T6_T7_T9_mT8_P12ihipStream_tbDpT10_ENKUlT_T0_E_clISt17integral_constantIbLb1EES1J_IbLb0EEEEDaS1F_S1G_EUlS1F_E_NS1_11comp_targetILNS1_3genE4ELNS1_11target_archE910ELNS1_3gpuE8ELNS1_3repE0EEENS1_30default_config_static_selectorELNS0_4arch9wavefront6targetE0EEEvT1_
    .private_segment_fixed_size: 0
    .sgpr_count:     0
    .sgpr_spill_count: 0
    .symbol:         _ZN7rocprim17ROCPRIM_400000_NS6detail17trampoline_kernelINS0_14default_configENS1_25partition_config_selectorILNS1_17partition_subalgoE6EdNS0_10empty_typeEbEEZZNS1_14partition_implILS5_6ELb0ES3_mN6thrust23THRUST_200600_302600_NS6detail15normal_iteratorINSA_10device_ptrIdEEEEPS6_SG_NS0_5tupleIJSF_S6_EEENSH_IJSG_SG_EEES6_PlJNSB_9not_fun_tINSB_10functional5actorINSM_9compositeIJNSM_27transparent_binary_operatorINSA_8equal_toIvEEEENSN_INSM_8argumentILj0EEEEENSM_5valueIdEEEEEEEEEEEE10hipError_tPvRmT3_T4_T5_T6_T7_T9_mT8_P12ihipStream_tbDpT10_ENKUlT_T0_E_clISt17integral_constantIbLb1EES1J_IbLb0EEEEDaS1F_S1G_EUlS1F_E_NS1_11comp_targetILNS1_3genE4ELNS1_11target_archE910ELNS1_3gpuE8ELNS1_3repE0EEENS1_30default_config_static_selectorELNS0_4arch9wavefront6targetE0EEEvT1_.kd
    .uniform_work_group_size: 1
    .uses_dynamic_stack: false
    .vgpr_count:     0
    .vgpr_spill_count: 0
    .wavefront_size: 32
    .workgroup_processor_mode: 1
  - .args:
      - .offset:         0
        .size:           128
        .value_kind:     by_value
    .group_segment_fixed_size: 0
    .kernarg_segment_align: 8
    .kernarg_segment_size: 128
    .language:       OpenCL C
    .language_version:
      - 2
      - 0
    .max_flat_workgroup_size: 128
    .name:           _ZN7rocprim17ROCPRIM_400000_NS6detail17trampoline_kernelINS0_14default_configENS1_25partition_config_selectorILNS1_17partition_subalgoE6EdNS0_10empty_typeEbEEZZNS1_14partition_implILS5_6ELb0ES3_mN6thrust23THRUST_200600_302600_NS6detail15normal_iteratorINSA_10device_ptrIdEEEEPS6_SG_NS0_5tupleIJSF_S6_EEENSH_IJSG_SG_EEES6_PlJNSB_9not_fun_tINSB_10functional5actorINSM_9compositeIJNSM_27transparent_binary_operatorINSA_8equal_toIvEEEENSN_INSM_8argumentILj0EEEEENSM_5valueIdEEEEEEEEEEEE10hipError_tPvRmT3_T4_T5_T6_T7_T9_mT8_P12ihipStream_tbDpT10_ENKUlT_T0_E_clISt17integral_constantIbLb1EES1J_IbLb0EEEEDaS1F_S1G_EUlS1F_E_NS1_11comp_targetILNS1_3genE3ELNS1_11target_archE908ELNS1_3gpuE7ELNS1_3repE0EEENS1_30default_config_static_selectorELNS0_4arch9wavefront6targetE0EEEvT1_
    .private_segment_fixed_size: 0
    .sgpr_count:     0
    .sgpr_spill_count: 0
    .symbol:         _ZN7rocprim17ROCPRIM_400000_NS6detail17trampoline_kernelINS0_14default_configENS1_25partition_config_selectorILNS1_17partition_subalgoE6EdNS0_10empty_typeEbEEZZNS1_14partition_implILS5_6ELb0ES3_mN6thrust23THRUST_200600_302600_NS6detail15normal_iteratorINSA_10device_ptrIdEEEEPS6_SG_NS0_5tupleIJSF_S6_EEENSH_IJSG_SG_EEES6_PlJNSB_9not_fun_tINSB_10functional5actorINSM_9compositeIJNSM_27transparent_binary_operatorINSA_8equal_toIvEEEENSN_INSM_8argumentILj0EEEEENSM_5valueIdEEEEEEEEEEEE10hipError_tPvRmT3_T4_T5_T6_T7_T9_mT8_P12ihipStream_tbDpT10_ENKUlT_T0_E_clISt17integral_constantIbLb1EES1J_IbLb0EEEEDaS1F_S1G_EUlS1F_E_NS1_11comp_targetILNS1_3genE3ELNS1_11target_archE908ELNS1_3gpuE7ELNS1_3repE0EEENS1_30default_config_static_selectorELNS0_4arch9wavefront6targetE0EEEvT1_.kd
    .uniform_work_group_size: 1
    .uses_dynamic_stack: false
    .vgpr_count:     0
    .vgpr_spill_count: 0
    .wavefront_size: 32
    .workgroup_processor_mode: 1
  - .args:
      - .offset:         0
        .size:           128
        .value_kind:     by_value
    .group_segment_fixed_size: 0
    .kernarg_segment_align: 8
    .kernarg_segment_size: 128
    .language:       OpenCL C
    .language_version:
      - 2
      - 0
    .max_flat_workgroup_size: 256
    .name:           _ZN7rocprim17ROCPRIM_400000_NS6detail17trampoline_kernelINS0_14default_configENS1_25partition_config_selectorILNS1_17partition_subalgoE6EdNS0_10empty_typeEbEEZZNS1_14partition_implILS5_6ELb0ES3_mN6thrust23THRUST_200600_302600_NS6detail15normal_iteratorINSA_10device_ptrIdEEEEPS6_SG_NS0_5tupleIJSF_S6_EEENSH_IJSG_SG_EEES6_PlJNSB_9not_fun_tINSB_10functional5actorINSM_9compositeIJNSM_27transparent_binary_operatorINSA_8equal_toIvEEEENSN_INSM_8argumentILj0EEEEENSM_5valueIdEEEEEEEEEEEE10hipError_tPvRmT3_T4_T5_T6_T7_T9_mT8_P12ihipStream_tbDpT10_ENKUlT_T0_E_clISt17integral_constantIbLb1EES1J_IbLb0EEEEDaS1F_S1G_EUlS1F_E_NS1_11comp_targetILNS1_3genE2ELNS1_11target_archE906ELNS1_3gpuE6ELNS1_3repE0EEENS1_30default_config_static_selectorELNS0_4arch9wavefront6targetE0EEEvT1_
    .private_segment_fixed_size: 0
    .sgpr_count:     0
    .sgpr_spill_count: 0
    .symbol:         _ZN7rocprim17ROCPRIM_400000_NS6detail17trampoline_kernelINS0_14default_configENS1_25partition_config_selectorILNS1_17partition_subalgoE6EdNS0_10empty_typeEbEEZZNS1_14partition_implILS5_6ELb0ES3_mN6thrust23THRUST_200600_302600_NS6detail15normal_iteratorINSA_10device_ptrIdEEEEPS6_SG_NS0_5tupleIJSF_S6_EEENSH_IJSG_SG_EEES6_PlJNSB_9not_fun_tINSB_10functional5actorINSM_9compositeIJNSM_27transparent_binary_operatorINSA_8equal_toIvEEEENSN_INSM_8argumentILj0EEEEENSM_5valueIdEEEEEEEEEEEE10hipError_tPvRmT3_T4_T5_T6_T7_T9_mT8_P12ihipStream_tbDpT10_ENKUlT_T0_E_clISt17integral_constantIbLb1EES1J_IbLb0EEEEDaS1F_S1G_EUlS1F_E_NS1_11comp_targetILNS1_3genE2ELNS1_11target_archE906ELNS1_3gpuE6ELNS1_3repE0EEENS1_30default_config_static_selectorELNS0_4arch9wavefront6targetE0EEEvT1_.kd
    .uniform_work_group_size: 1
    .uses_dynamic_stack: false
    .vgpr_count:     0
    .vgpr_spill_count: 0
    .wavefront_size: 32
    .workgroup_processor_mode: 1
  - .args:
      - .offset:         0
        .size:           128
        .value_kind:     by_value
    .group_segment_fixed_size: 0
    .kernarg_segment_align: 8
    .kernarg_segment_size: 128
    .language:       OpenCL C
    .language_version:
      - 2
      - 0
    .max_flat_workgroup_size: 256
    .name:           _ZN7rocprim17ROCPRIM_400000_NS6detail17trampoline_kernelINS0_14default_configENS1_25partition_config_selectorILNS1_17partition_subalgoE6EdNS0_10empty_typeEbEEZZNS1_14partition_implILS5_6ELb0ES3_mN6thrust23THRUST_200600_302600_NS6detail15normal_iteratorINSA_10device_ptrIdEEEEPS6_SG_NS0_5tupleIJSF_S6_EEENSH_IJSG_SG_EEES6_PlJNSB_9not_fun_tINSB_10functional5actorINSM_9compositeIJNSM_27transparent_binary_operatorINSA_8equal_toIvEEEENSN_INSM_8argumentILj0EEEEENSM_5valueIdEEEEEEEEEEEE10hipError_tPvRmT3_T4_T5_T6_T7_T9_mT8_P12ihipStream_tbDpT10_ENKUlT_T0_E_clISt17integral_constantIbLb1EES1J_IbLb0EEEEDaS1F_S1G_EUlS1F_E_NS1_11comp_targetILNS1_3genE10ELNS1_11target_archE1200ELNS1_3gpuE4ELNS1_3repE0EEENS1_30default_config_static_selectorELNS0_4arch9wavefront6targetE0EEEvT1_
    .private_segment_fixed_size: 0
    .sgpr_count:     0
    .sgpr_spill_count: 0
    .symbol:         _ZN7rocprim17ROCPRIM_400000_NS6detail17trampoline_kernelINS0_14default_configENS1_25partition_config_selectorILNS1_17partition_subalgoE6EdNS0_10empty_typeEbEEZZNS1_14partition_implILS5_6ELb0ES3_mN6thrust23THRUST_200600_302600_NS6detail15normal_iteratorINSA_10device_ptrIdEEEEPS6_SG_NS0_5tupleIJSF_S6_EEENSH_IJSG_SG_EEES6_PlJNSB_9not_fun_tINSB_10functional5actorINSM_9compositeIJNSM_27transparent_binary_operatorINSA_8equal_toIvEEEENSN_INSM_8argumentILj0EEEEENSM_5valueIdEEEEEEEEEEEE10hipError_tPvRmT3_T4_T5_T6_T7_T9_mT8_P12ihipStream_tbDpT10_ENKUlT_T0_E_clISt17integral_constantIbLb1EES1J_IbLb0EEEEDaS1F_S1G_EUlS1F_E_NS1_11comp_targetILNS1_3genE10ELNS1_11target_archE1200ELNS1_3gpuE4ELNS1_3repE0EEENS1_30default_config_static_selectorELNS0_4arch9wavefront6targetE0EEEvT1_.kd
    .uniform_work_group_size: 1
    .uses_dynamic_stack: false
    .vgpr_count:     0
    .vgpr_spill_count: 0
    .wavefront_size: 32
    .workgroup_processor_mode: 1
  - .args:
      - .offset:         0
        .size:           128
        .value_kind:     by_value
    .group_segment_fixed_size: 0
    .kernarg_segment_align: 8
    .kernarg_segment_size: 128
    .language:       OpenCL C
    .language_version:
      - 2
      - 0
    .max_flat_workgroup_size: 384
    .name:           _ZN7rocprim17ROCPRIM_400000_NS6detail17trampoline_kernelINS0_14default_configENS1_25partition_config_selectorILNS1_17partition_subalgoE6EdNS0_10empty_typeEbEEZZNS1_14partition_implILS5_6ELb0ES3_mN6thrust23THRUST_200600_302600_NS6detail15normal_iteratorINSA_10device_ptrIdEEEEPS6_SG_NS0_5tupleIJSF_S6_EEENSH_IJSG_SG_EEES6_PlJNSB_9not_fun_tINSB_10functional5actorINSM_9compositeIJNSM_27transparent_binary_operatorINSA_8equal_toIvEEEENSN_INSM_8argumentILj0EEEEENSM_5valueIdEEEEEEEEEEEE10hipError_tPvRmT3_T4_T5_T6_T7_T9_mT8_P12ihipStream_tbDpT10_ENKUlT_T0_E_clISt17integral_constantIbLb1EES1J_IbLb0EEEEDaS1F_S1G_EUlS1F_E_NS1_11comp_targetILNS1_3genE9ELNS1_11target_archE1100ELNS1_3gpuE3ELNS1_3repE0EEENS1_30default_config_static_selectorELNS0_4arch9wavefront6targetE0EEEvT1_
    .private_segment_fixed_size: 0
    .sgpr_count:     0
    .sgpr_spill_count: 0
    .symbol:         _ZN7rocprim17ROCPRIM_400000_NS6detail17trampoline_kernelINS0_14default_configENS1_25partition_config_selectorILNS1_17partition_subalgoE6EdNS0_10empty_typeEbEEZZNS1_14partition_implILS5_6ELb0ES3_mN6thrust23THRUST_200600_302600_NS6detail15normal_iteratorINSA_10device_ptrIdEEEEPS6_SG_NS0_5tupleIJSF_S6_EEENSH_IJSG_SG_EEES6_PlJNSB_9not_fun_tINSB_10functional5actorINSM_9compositeIJNSM_27transparent_binary_operatorINSA_8equal_toIvEEEENSN_INSM_8argumentILj0EEEEENSM_5valueIdEEEEEEEEEEEE10hipError_tPvRmT3_T4_T5_T6_T7_T9_mT8_P12ihipStream_tbDpT10_ENKUlT_T0_E_clISt17integral_constantIbLb1EES1J_IbLb0EEEEDaS1F_S1G_EUlS1F_E_NS1_11comp_targetILNS1_3genE9ELNS1_11target_archE1100ELNS1_3gpuE3ELNS1_3repE0EEENS1_30default_config_static_selectorELNS0_4arch9wavefront6targetE0EEEvT1_.kd
    .uniform_work_group_size: 1
    .uses_dynamic_stack: false
    .vgpr_count:     0
    .vgpr_spill_count: 0
    .wavefront_size: 32
    .workgroup_processor_mode: 1
  - .args:
      - .offset:         0
        .size:           128
        .value_kind:     by_value
    .group_segment_fixed_size: 0
    .kernarg_segment_align: 8
    .kernarg_segment_size: 128
    .language:       OpenCL C
    .language_version:
      - 2
      - 0
    .max_flat_workgroup_size: 512
    .name:           _ZN7rocprim17ROCPRIM_400000_NS6detail17trampoline_kernelINS0_14default_configENS1_25partition_config_selectorILNS1_17partition_subalgoE6EdNS0_10empty_typeEbEEZZNS1_14partition_implILS5_6ELb0ES3_mN6thrust23THRUST_200600_302600_NS6detail15normal_iteratorINSA_10device_ptrIdEEEEPS6_SG_NS0_5tupleIJSF_S6_EEENSH_IJSG_SG_EEES6_PlJNSB_9not_fun_tINSB_10functional5actorINSM_9compositeIJNSM_27transparent_binary_operatorINSA_8equal_toIvEEEENSN_INSM_8argumentILj0EEEEENSM_5valueIdEEEEEEEEEEEE10hipError_tPvRmT3_T4_T5_T6_T7_T9_mT8_P12ihipStream_tbDpT10_ENKUlT_T0_E_clISt17integral_constantIbLb1EES1J_IbLb0EEEEDaS1F_S1G_EUlS1F_E_NS1_11comp_targetILNS1_3genE8ELNS1_11target_archE1030ELNS1_3gpuE2ELNS1_3repE0EEENS1_30default_config_static_selectorELNS0_4arch9wavefront6targetE0EEEvT1_
    .private_segment_fixed_size: 0
    .sgpr_count:     0
    .sgpr_spill_count: 0
    .symbol:         _ZN7rocprim17ROCPRIM_400000_NS6detail17trampoline_kernelINS0_14default_configENS1_25partition_config_selectorILNS1_17partition_subalgoE6EdNS0_10empty_typeEbEEZZNS1_14partition_implILS5_6ELb0ES3_mN6thrust23THRUST_200600_302600_NS6detail15normal_iteratorINSA_10device_ptrIdEEEEPS6_SG_NS0_5tupleIJSF_S6_EEENSH_IJSG_SG_EEES6_PlJNSB_9not_fun_tINSB_10functional5actorINSM_9compositeIJNSM_27transparent_binary_operatorINSA_8equal_toIvEEEENSN_INSM_8argumentILj0EEEEENSM_5valueIdEEEEEEEEEEEE10hipError_tPvRmT3_T4_T5_T6_T7_T9_mT8_P12ihipStream_tbDpT10_ENKUlT_T0_E_clISt17integral_constantIbLb1EES1J_IbLb0EEEEDaS1F_S1G_EUlS1F_E_NS1_11comp_targetILNS1_3genE8ELNS1_11target_archE1030ELNS1_3gpuE2ELNS1_3repE0EEENS1_30default_config_static_selectorELNS0_4arch9wavefront6targetE0EEEvT1_.kd
    .uniform_work_group_size: 1
    .uses_dynamic_stack: false
    .vgpr_count:     0
    .vgpr_spill_count: 0
    .wavefront_size: 32
    .workgroup_processor_mode: 1
  - .args:
      - .address_space:  global
        .offset:         0
        .size:           8
        .value_kind:     global_buffer
      - .offset:         8
        .size:           4
        .value_kind:     by_value
      - .address_space:  global
        .offset:         16
        .size:           8
        .value_kind:     global_buffer
      - .offset:         24
        .size:           4
        .value_kind:     by_value
      - .address_space:  global
        .offset:         32
        .size:           8
        .value_kind:     global_buffer
      - .offset:         40
        .size:           4
        .value_kind:     hidden_block_count_x
      - .offset:         44
        .size:           4
        .value_kind:     hidden_block_count_y
      - .offset:         48
        .size:           4
        .value_kind:     hidden_block_count_z
      - .offset:         52
        .size:           2
        .value_kind:     hidden_group_size_x
      - .offset:         54
        .size:           2
        .value_kind:     hidden_group_size_y
      - .offset:         56
        .size:           2
        .value_kind:     hidden_group_size_z
      - .offset:         58
        .size:           2
        .value_kind:     hidden_remainder_x
      - .offset:         60
        .size:           2
        .value_kind:     hidden_remainder_y
      - .offset:         62
        .size:           2
        .value_kind:     hidden_remainder_z
      - .offset:         80
        .size:           8
        .value_kind:     hidden_global_offset_x
      - .offset:         88
        .size:           8
        .value_kind:     hidden_global_offset_y
      - .offset:         96
        .size:           8
        .value_kind:     hidden_global_offset_z
      - .offset:         104
        .size:           2
        .value_kind:     hidden_grid_dims
    .group_segment_fixed_size: 0
    .kernarg_segment_align: 8
    .kernarg_segment_size: 296
    .language:       OpenCL C
    .language_version:
      - 2
      - 0
    .max_flat_workgroup_size: 256
    .name:           _ZN7rocprim17ROCPRIM_400000_NS6detail31init_lookback_scan_state_kernelINS1_19lookback_scan_stateImLb0ELb1EEENS1_16block_id_wrapperIjLb1EEEEEvT_jT0_jPNS7_10value_typeE
    .private_segment_fixed_size: 0
    .sgpr_count:     13
    .sgpr_spill_count: 0
    .symbol:         _ZN7rocprim17ROCPRIM_400000_NS6detail31init_lookback_scan_state_kernelINS1_19lookback_scan_stateImLb0ELb1EEENS1_16block_id_wrapperIjLb1EEEEEvT_jT0_jPNS7_10value_typeE.kd
    .uniform_work_group_size: 1
    .uses_dynamic_stack: false
    .vgpr_count:     8
    .vgpr_spill_count: 0
    .wavefront_size: 32
    .workgroup_processor_mode: 1
  - .args:
      - .offset:         0
        .size:           136
        .value_kind:     by_value
    .group_segment_fixed_size: 0
    .kernarg_segment_align: 8
    .kernarg_segment_size: 136
    .language:       OpenCL C
    .language_version:
      - 2
      - 0
    .max_flat_workgroup_size: 128
    .name:           _ZN7rocprim17ROCPRIM_400000_NS6detail17trampoline_kernelINS0_14default_configENS1_25partition_config_selectorILNS1_17partition_subalgoE6EdNS0_10empty_typeEbEEZZNS1_14partition_implILS5_6ELb0ES3_mN6thrust23THRUST_200600_302600_NS6detail15normal_iteratorINSA_10device_ptrIdEEEEPS6_SG_NS0_5tupleIJSF_S6_EEENSH_IJSG_SG_EEES6_PlJNSB_9not_fun_tINSB_10functional5actorINSM_9compositeIJNSM_27transparent_binary_operatorINSA_8equal_toIvEEEENSN_INSM_8argumentILj0EEEEENSM_5valueIdEEEEEEEEEEEE10hipError_tPvRmT3_T4_T5_T6_T7_T9_mT8_P12ihipStream_tbDpT10_ENKUlT_T0_E_clISt17integral_constantIbLb0EES1J_IbLb1EEEEDaS1F_S1G_EUlS1F_E_NS1_11comp_targetILNS1_3genE0ELNS1_11target_archE4294967295ELNS1_3gpuE0ELNS1_3repE0EEENS1_30default_config_static_selectorELNS0_4arch9wavefront6targetE0EEEvT1_
    .private_segment_fixed_size: 0
    .sgpr_count:     0
    .sgpr_spill_count: 0
    .symbol:         _ZN7rocprim17ROCPRIM_400000_NS6detail17trampoline_kernelINS0_14default_configENS1_25partition_config_selectorILNS1_17partition_subalgoE6EdNS0_10empty_typeEbEEZZNS1_14partition_implILS5_6ELb0ES3_mN6thrust23THRUST_200600_302600_NS6detail15normal_iteratorINSA_10device_ptrIdEEEEPS6_SG_NS0_5tupleIJSF_S6_EEENSH_IJSG_SG_EEES6_PlJNSB_9not_fun_tINSB_10functional5actorINSM_9compositeIJNSM_27transparent_binary_operatorINSA_8equal_toIvEEEENSN_INSM_8argumentILj0EEEEENSM_5valueIdEEEEEEEEEEEE10hipError_tPvRmT3_T4_T5_T6_T7_T9_mT8_P12ihipStream_tbDpT10_ENKUlT_T0_E_clISt17integral_constantIbLb0EES1J_IbLb1EEEEDaS1F_S1G_EUlS1F_E_NS1_11comp_targetILNS1_3genE0ELNS1_11target_archE4294967295ELNS1_3gpuE0ELNS1_3repE0EEENS1_30default_config_static_selectorELNS0_4arch9wavefront6targetE0EEEvT1_.kd
    .uniform_work_group_size: 1
    .uses_dynamic_stack: false
    .vgpr_count:     0
    .vgpr_spill_count: 0
    .wavefront_size: 32
    .workgroup_processor_mode: 1
  - .args:
      - .offset:         0
        .size:           136
        .value_kind:     by_value
    .group_segment_fixed_size: 0
    .kernarg_segment_align: 8
    .kernarg_segment_size: 136
    .language:       OpenCL C
    .language_version:
      - 2
      - 0
    .max_flat_workgroup_size: 512
    .name:           _ZN7rocprim17ROCPRIM_400000_NS6detail17trampoline_kernelINS0_14default_configENS1_25partition_config_selectorILNS1_17partition_subalgoE6EdNS0_10empty_typeEbEEZZNS1_14partition_implILS5_6ELb0ES3_mN6thrust23THRUST_200600_302600_NS6detail15normal_iteratorINSA_10device_ptrIdEEEEPS6_SG_NS0_5tupleIJSF_S6_EEENSH_IJSG_SG_EEES6_PlJNSB_9not_fun_tINSB_10functional5actorINSM_9compositeIJNSM_27transparent_binary_operatorINSA_8equal_toIvEEEENSN_INSM_8argumentILj0EEEEENSM_5valueIdEEEEEEEEEEEE10hipError_tPvRmT3_T4_T5_T6_T7_T9_mT8_P12ihipStream_tbDpT10_ENKUlT_T0_E_clISt17integral_constantIbLb0EES1J_IbLb1EEEEDaS1F_S1G_EUlS1F_E_NS1_11comp_targetILNS1_3genE5ELNS1_11target_archE942ELNS1_3gpuE9ELNS1_3repE0EEENS1_30default_config_static_selectorELNS0_4arch9wavefront6targetE0EEEvT1_
    .private_segment_fixed_size: 0
    .sgpr_count:     0
    .sgpr_spill_count: 0
    .symbol:         _ZN7rocprim17ROCPRIM_400000_NS6detail17trampoline_kernelINS0_14default_configENS1_25partition_config_selectorILNS1_17partition_subalgoE6EdNS0_10empty_typeEbEEZZNS1_14partition_implILS5_6ELb0ES3_mN6thrust23THRUST_200600_302600_NS6detail15normal_iteratorINSA_10device_ptrIdEEEEPS6_SG_NS0_5tupleIJSF_S6_EEENSH_IJSG_SG_EEES6_PlJNSB_9not_fun_tINSB_10functional5actorINSM_9compositeIJNSM_27transparent_binary_operatorINSA_8equal_toIvEEEENSN_INSM_8argumentILj0EEEEENSM_5valueIdEEEEEEEEEEEE10hipError_tPvRmT3_T4_T5_T6_T7_T9_mT8_P12ihipStream_tbDpT10_ENKUlT_T0_E_clISt17integral_constantIbLb0EES1J_IbLb1EEEEDaS1F_S1G_EUlS1F_E_NS1_11comp_targetILNS1_3genE5ELNS1_11target_archE942ELNS1_3gpuE9ELNS1_3repE0EEENS1_30default_config_static_selectorELNS0_4arch9wavefront6targetE0EEEvT1_.kd
    .uniform_work_group_size: 1
    .uses_dynamic_stack: false
    .vgpr_count:     0
    .vgpr_spill_count: 0
    .wavefront_size: 32
    .workgroup_processor_mode: 1
  - .args:
      - .offset:         0
        .size:           136
        .value_kind:     by_value
    .group_segment_fixed_size: 0
    .kernarg_segment_align: 8
    .kernarg_segment_size: 136
    .language:       OpenCL C
    .language_version:
      - 2
      - 0
    .max_flat_workgroup_size: 128
    .name:           _ZN7rocprim17ROCPRIM_400000_NS6detail17trampoline_kernelINS0_14default_configENS1_25partition_config_selectorILNS1_17partition_subalgoE6EdNS0_10empty_typeEbEEZZNS1_14partition_implILS5_6ELb0ES3_mN6thrust23THRUST_200600_302600_NS6detail15normal_iteratorINSA_10device_ptrIdEEEEPS6_SG_NS0_5tupleIJSF_S6_EEENSH_IJSG_SG_EEES6_PlJNSB_9not_fun_tINSB_10functional5actorINSM_9compositeIJNSM_27transparent_binary_operatorINSA_8equal_toIvEEEENSN_INSM_8argumentILj0EEEEENSM_5valueIdEEEEEEEEEEEE10hipError_tPvRmT3_T4_T5_T6_T7_T9_mT8_P12ihipStream_tbDpT10_ENKUlT_T0_E_clISt17integral_constantIbLb0EES1J_IbLb1EEEEDaS1F_S1G_EUlS1F_E_NS1_11comp_targetILNS1_3genE4ELNS1_11target_archE910ELNS1_3gpuE8ELNS1_3repE0EEENS1_30default_config_static_selectorELNS0_4arch9wavefront6targetE0EEEvT1_
    .private_segment_fixed_size: 0
    .sgpr_count:     0
    .sgpr_spill_count: 0
    .symbol:         _ZN7rocprim17ROCPRIM_400000_NS6detail17trampoline_kernelINS0_14default_configENS1_25partition_config_selectorILNS1_17partition_subalgoE6EdNS0_10empty_typeEbEEZZNS1_14partition_implILS5_6ELb0ES3_mN6thrust23THRUST_200600_302600_NS6detail15normal_iteratorINSA_10device_ptrIdEEEEPS6_SG_NS0_5tupleIJSF_S6_EEENSH_IJSG_SG_EEES6_PlJNSB_9not_fun_tINSB_10functional5actorINSM_9compositeIJNSM_27transparent_binary_operatorINSA_8equal_toIvEEEENSN_INSM_8argumentILj0EEEEENSM_5valueIdEEEEEEEEEEEE10hipError_tPvRmT3_T4_T5_T6_T7_T9_mT8_P12ihipStream_tbDpT10_ENKUlT_T0_E_clISt17integral_constantIbLb0EES1J_IbLb1EEEEDaS1F_S1G_EUlS1F_E_NS1_11comp_targetILNS1_3genE4ELNS1_11target_archE910ELNS1_3gpuE8ELNS1_3repE0EEENS1_30default_config_static_selectorELNS0_4arch9wavefront6targetE0EEEvT1_.kd
    .uniform_work_group_size: 1
    .uses_dynamic_stack: false
    .vgpr_count:     0
    .vgpr_spill_count: 0
    .wavefront_size: 32
    .workgroup_processor_mode: 1
  - .args:
      - .offset:         0
        .size:           136
        .value_kind:     by_value
    .group_segment_fixed_size: 0
    .kernarg_segment_align: 8
    .kernarg_segment_size: 136
    .language:       OpenCL C
    .language_version:
      - 2
      - 0
    .max_flat_workgroup_size: 128
    .name:           _ZN7rocprim17ROCPRIM_400000_NS6detail17trampoline_kernelINS0_14default_configENS1_25partition_config_selectorILNS1_17partition_subalgoE6EdNS0_10empty_typeEbEEZZNS1_14partition_implILS5_6ELb0ES3_mN6thrust23THRUST_200600_302600_NS6detail15normal_iteratorINSA_10device_ptrIdEEEEPS6_SG_NS0_5tupleIJSF_S6_EEENSH_IJSG_SG_EEES6_PlJNSB_9not_fun_tINSB_10functional5actorINSM_9compositeIJNSM_27transparent_binary_operatorINSA_8equal_toIvEEEENSN_INSM_8argumentILj0EEEEENSM_5valueIdEEEEEEEEEEEE10hipError_tPvRmT3_T4_T5_T6_T7_T9_mT8_P12ihipStream_tbDpT10_ENKUlT_T0_E_clISt17integral_constantIbLb0EES1J_IbLb1EEEEDaS1F_S1G_EUlS1F_E_NS1_11comp_targetILNS1_3genE3ELNS1_11target_archE908ELNS1_3gpuE7ELNS1_3repE0EEENS1_30default_config_static_selectorELNS0_4arch9wavefront6targetE0EEEvT1_
    .private_segment_fixed_size: 0
    .sgpr_count:     0
    .sgpr_spill_count: 0
    .symbol:         _ZN7rocprim17ROCPRIM_400000_NS6detail17trampoline_kernelINS0_14default_configENS1_25partition_config_selectorILNS1_17partition_subalgoE6EdNS0_10empty_typeEbEEZZNS1_14partition_implILS5_6ELb0ES3_mN6thrust23THRUST_200600_302600_NS6detail15normal_iteratorINSA_10device_ptrIdEEEEPS6_SG_NS0_5tupleIJSF_S6_EEENSH_IJSG_SG_EEES6_PlJNSB_9not_fun_tINSB_10functional5actorINSM_9compositeIJNSM_27transparent_binary_operatorINSA_8equal_toIvEEEENSN_INSM_8argumentILj0EEEEENSM_5valueIdEEEEEEEEEEEE10hipError_tPvRmT3_T4_T5_T6_T7_T9_mT8_P12ihipStream_tbDpT10_ENKUlT_T0_E_clISt17integral_constantIbLb0EES1J_IbLb1EEEEDaS1F_S1G_EUlS1F_E_NS1_11comp_targetILNS1_3genE3ELNS1_11target_archE908ELNS1_3gpuE7ELNS1_3repE0EEENS1_30default_config_static_selectorELNS0_4arch9wavefront6targetE0EEEvT1_.kd
    .uniform_work_group_size: 1
    .uses_dynamic_stack: false
    .vgpr_count:     0
    .vgpr_spill_count: 0
    .wavefront_size: 32
    .workgroup_processor_mode: 1
  - .args:
      - .offset:         0
        .size:           136
        .value_kind:     by_value
    .group_segment_fixed_size: 0
    .kernarg_segment_align: 8
    .kernarg_segment_size: 136
    .language:       OpenCL C
    .language_version:
      - 2
      - 0
    .max_flat_workgroup_size: 256
    .name:           _ZN7rocprim17ROCPRIM_400000_NS6detail17trampoline_kernelINS0_14default_configENS1_25partition_config_selectorILNS1_17partition_subalgoE6EdNS0_10empty_typeEbEEZZNS1_14partition_implILS5_6ELb0ES3_mN6thrust23THRUST_200600_302600_NS6detail15normal_iteratorINSA_10device_ptrIdEEEEPS6_SG_NS0_5tupleIJSF_S6_EEENSH_IJSG_SG_EEES6_PlJNSB_9not_fun_tINSB_10functional5actorINSM_9compositeIJNSM_27transparent_binary_operatorINSA_8equal_toIvEEEENSN_INSM_8argumentILj0EEEEENSM_5valueIdEEEEEEEEEEEE10hipError_tPvRmT3_T4_T5_T6_T7_T9_mT8_P12ihipStream_tbDpT10_ENKUlT_T0_E_clISt17integral_constantIbLb0EES1J_IbLb1EEEEDaS1F_S1G_EUlS1F_E_NS1_11comp_targetILNS1_3genE2ELNS1_11target_archE906ELNS1_3gpuE6ELNS1_3repE0EEENS1_30default_config_static_selectorELNS0_4arch9wavefront6targetE0EEEvT1_
    .private_segment_fixed_size: 0
    .sgpr_count:     0
    .sgpr_spill_count: 0
    .symbol:         _ZN7rocprim17ROCPRIM_400000_NS6detail17trampoline_kernelINS0_14default_configENS1_25partition_config_selectorILNS1_17partition_subalgoE6EdNS0_10empty_typeEbEEZZNS1_14partition_implILS5_6ELb0ES3_mN6thrust23THRUST_200600_302600_NS6detail15normal_iteratorINSA_10device_ptrIdEEEEPS6_SG_NS0_5tupleIJSF_S6_EEENSH_IJSG_SG_EEES6_PlJNSB_9not_fun_tINSB_10functional5actorINSM_9compositeIJNSM_27transparent_binary_operatorINSA_8equal_toIvEEEENSN_INSM_8argumentILj0EEEEENSM_5valueIdEEEEEEEEEEEE10hipError_tPvRmT3_T4_T5_T6_T7_T9_mT8_P12ihipStream_tbDpT10_ENKUlT_T0_E_clISt17integral_constantIbLb0EES1J_IbLb1EEEEDaS1F_S1G_EUlS1F_E_NS1_11comp_targetILNS1_3genE2ELNS1_11target_archE906ELNS1_3gpuE6ELNS1_3repE0EEENS1_30default_config_static_selectorELNS0_4arch9wavefront6targetE0EEEvT1_.kd
    .uniform_work_group_size: 1
    .uses_dynamic_stack: false
    .vgpr_count:     0
    .vgpr_spill_count: 0
    .wavefront_size: 32
    .workgroup_processor_mode: 1
  - .args:
      - .offset:         0
        .size:           136
        .value_kind:     by_value
    .group_segment_fixed_size: 8464
    .kernarg_segment_align: 8
    .kernarg_segment_size: 136
    .language:       OpenCL C
    .language_version:
      - 2
      - 0
    .max_flat_workgroup_size: 256
    .name:           _ZN7rocprim17ROCPRIM_400000_NS6detail17trampoline_kernelINS0_14default_configENS1_25partition_config_selectorILNS1_17partition_subalgoE6EdNS0_10empty_typeEbEEZZNS1_14partition_implILS5_6ELb0ES3_mN6thrust23THRUST_200600_302600_NS6detail15normal_iteratorINSA_10device_ptrIdEEEEPS6_SG_NS0_5tupleIJSF_S6_EEENSH_IJSG_SG_EEES6_PlJNSB_9not_fun_tINSB_10functional5actorINSM_9compositeIJNSM_27transparent_binary_operatorINSA_8equal_toIvEEEENSN_INSM_8argumentILj0EEEEENSM_5valueIdEEEEEEEEEEEE10hipError_tPvRmT3_T4_T5_T6_T7_T9_mT8_P12ihipStream_tbDpT10_ENKUlT_T0_E_clISt17integral_constantIbLb0EES1J_IbLb1EEEEDaS1F_S1G_EUlS1F_E_NS1_11comp_targetILNS1_3genE10ELNS1_11target_archE1200ELNS1_3gpuE4ELNS1_3repE0EEENS1_30default_config_static_selectorELNS0_4arch9wavefront6targetE0EEEvT1_
    .private_segment_fixed_size: 0
    .sgpr_count:     26
    .sgpr_spill_count: 0
    .symbol:         _ZN7rocprim17ROCPRIM_400000_NS6detail17trampoline_kernelINS0_14default_configENS1_25partition_config_selectorILNS1_17partition_subalgoE6EdNS0_10empty_typeEbEEZZNS1_14partition_implILS5_6ELb0ES3_mN6thrust23THRUST_200600_302600_NS6detail15normal_iteratorINSA_10device_ptrIdEEEEPS6_SG_NS0_5tupleIJSF_S6_EEENSH_IJSG_SG_EEES6_PlJNSB_9not_fun_tINSB_10functional5actorINSM_9compositeIJNSM_27transparent_binary_operatorINSA_8equal_toIvEEEENSN_INSM_8argumentILj0EEEEENSM_5valueIdEEEEEEEEEEEE10hipError_tPvRmT3_T4_T5_T6_T7_T9_mT8_P12ihipStream_tbDpT10_ENKUlT_T0_E_clISt17integral_constantIbLb0EES1J_IbLb1EEEEDaS1F_S1G_EUlS1F_E_NS1_11comp_targetILNS1_3genE10ELNS1_11target_archE1200ELNS1_3gpuE4ELNS1_3repE0EEENS1_30default_config_static_selectorELNS0_4arch9wavefront6targetE0EEEvT1_.kd
    .uniform_work_group_size: 1
    .uses_dynamic_stack: false
    .vgpr_count:     48
    .vgpr_spill_count: 0
    .wavefront_size: 32
    .workgroup_processor_mode: 1
  - .args:
      - .offset:         0
        .size:           136
        .value_kind:     by_value
    .group_segment_fixed_size: 0
    .kernarg_segment_align: 8
    .kernarg_segment_size: 136
    .language:       OpenCL C
    .language_version:
      - 2
      - 0
    .max_flat_workgroup_size: 384
    .name:           _ZN7rocprim17ROCPRIM_400000_NS6detail17trampoline_kernelINS0_14default_configENS1_25partition_config_selectorILNS1_17partition_subalgoE6EdNS0_10empty_typeEbEEZZNS1_14partition_implILS5_6ELb0ES3_mN6thrust23THRUST_200600_302600_NS6detail15normal_iteratorINSA_10device_ptrIdEEEEPS6_SG_NS0_5tupleIJSF_S6_EEENSH_IJSG_SG_EEES6_PlJNSB_9not_fun_tINSB_10functional5actorINSM_9compositeIJNSM_27transparent_binary_operatorINSA_8equal_toIvEEEENSN_INSM_8argumentILj0EEEEENSM_5valueIdEEEEEEEEEEEE10hipError_tPvRmT3_T4_T5_T6_T7_T9_mT8_P12ihipStream_tbDpT10_ENKUlT_T0_E_clISt17integral_constantIbLb0EES1J_IbLb1EEEEDaS1F_S1G_EUlS1F_E_NS1_11comp_targetILNS1_3genE9ELNS1_11target_archE1100ELNS1_3gpuE3ELNS1_3repE0EEENS1_30default_config_static_selectorELNS0_4arch9wavefront6targetE0EEEvT1_
    .private_segment_fixed_size: 0
    .sgpr_count:     0
    .sgpr_spill_count: 0
    .symbol:         _ZN7rocprim17ROCPRIM_400000_NS6detail17trampoline_kernelINS0_14default_configENS1_25partition_config_selectorILNS1_17partition_subalgoE6EdNS0_10empty_typeEbEEZZNS1_14partition_implILS5_6ELb0ES3_mN6thrust23THRUST_200600_302600_NS6detail15normal_iteratorINSA_10device_ptrIdEEEEPS6_SG_NS0_5tupleIJSF_S6_EEENSH_IJSG_SG_EEES6_PlJNSB_9not_fun_tINSB_10functional5actorINSM_9compositeIJNSM_27transparent_binary_operatorINSA_8equal_toIvEEEENSN_INSM_8argumentILj0EEEEENSM_5valueIdEEEEEEEEEEEE10hipError_tPvRmT3_T4_T5_T6_T7_T9_mT8_P12ihipStream_tbDpT10_ENKUlT_T0_E_clISt17integral_constantIbLb0EES1J_IbLb1EEEEDaS1F_S1G_EUlS1F_E_NS1_11comp_targetILNS1_3genE9ELNS1_11target_archE1100ELNS1_3gpuE3ELNS1_3repE0EEENS1_30default_config_static_selectorELNS0_4arch9wavefront6targetE0EEEvT1_.kd
    .uniform_work_group_size: 1
    .uses_dynamic_stack: false
    .vgpr_count:     0
    .vgpr_spill_count: 0
    .wavefront_size: 32
    .workgroup_processor_mode: 1
  - .args:
      - .offset:         0
        .size:           136
        .value_kind:     by_value
    .group_segment_fixed_size: 0
    .kernarg_segment_align: 8
    .kernarg_segment_size: 136
    .language:       OpenCL C
    .language_version:
      - 2
      - 0
    .max_flat_workgroup_size: 512
    .name:           _ZN7rocprim17ROCPRIM_400000_NS6detail17trampoline_kernelINS0_14default_configENS1_25partition_config_selectorILNS1_17partition_subalgoE6EdNS0_10empty_typeEbEEZZNS1_14partition_implILS5_6ELb0ES3_mN6thrust23THRUST_200600_302600_NS6detail15normal_iteratorINSA_10device_ptrIdEEEEPS6_SG_NS0_5tupleIJSF_S6_EEENSH_IJSG_SG_EEES6_PlJNSB_9not_fun_tINSB_10functional5actorINSM_9compositeIJNSM_27transparent_binary_operatorINSA_8equal_toIvEEEENSN_INSM_8argumentILj0EEEEENSM_5valueIdEEEEEEEEEEEE10hipError_tPvRmT3_T4_T5_T6_T7_T9_mT8_P12ihipStream_tbDpT10_ENKUlT_T0_E_clISt17integral_constantIbLb0EES1J_IbLb1EEEEDaS1F_S1G_EUlS1F_E_NS1_11comp_targetILNS1_3genE8ELNS1_11target_archE1030ELNS1_3gpuE2ELNS1_3repE0EEENS1_30default_config_static_selectorELNS0_4arch9wavefront6targetE0EEEvT1_
    .private_segment_fixed_size: 0
    .sgpr_count:     0
    .sgpr_spill_count: 0
    .symbol:         _ZN7rocprim17ROCPRIM_400000_NS6detail17trampoline_kernelINS0_14default_configENS1_25partition_config_selectorILNS1_17partition_subalgoE6EdNS0_10empty_typeEbEEZZNS1_14partition_implILS5_6ELb0ES3_mN6thrust23THRUST_200600_302600_NS6detail15normal_iteratorINSA_10device_ptrIdEEEEPS6_SG_NS0_5tupleIJSF_S6_EEENSH_IJSG_SG_EEES6_PlJNSB_9not_fun_tINSB_10functional5actorINSM_9compositeIJNSM_27transparent_binary_operatorINSA_8equal_toIvEEEENSN_INSM_8argumentILj0EEEEENSM_5valueIdEEEEEEEEEEEE10hipError_tPvRmT3_T4_T5_T6_T7_T9_mT8_P12ihipStream_tbDpT10_ENKUlT_T0_E_clISt17integral_constantIbLb0EES1J_IbLb1EEEEDaS1F_S1G_EUlS1F_E_NS1_11comp_targetILNS1_3genE8ELNS1_11target_archE1030ELNS1_3gpuE2ELNS1_3repE0EEENS1_30default_config_static_selectorELNS0_4arch9wavefront6targetE0EEEvT1_.kd
    .uniform_work_group_size: 1
    .uses_dynamic_stack: false
    .vgpr_count:     0
    .vgpr_spill_count: 0
    .wavefront_size: 32
    .workgroup_processor_mode: 1
  - .args:
      - .offset:         0
        .size:           16
        .value_kind:     by_value
      - .offset:         16
        .size:           8
        .value_kind:     by_value
      - .offset:         24
        .size:           8
        .value_kind:     by_value
    .group_segment_fixed_size: 0
    .kernarg_segment_align: 8
    .kernarg_segment_size: 32
    .language:       OpenCL C
    .language_version:
      - 2
      - 0
    .max_flat_workgroup_size: 256
    .name:           _ZN6thrust23THRUST_200600_302600_NS11hip_rocprim14__parallel_for6kernelILj256ENS1_20__uninitialized_fill7functorINS0_10device_ptrIfEEfEEmLj1EEEvT0_T1_SA_
    .private_segment_fixed_size: 0
    .sgpr_count:     14
    .sgpr_spill_count: 0
    .symbol:         _ZN6thrust23THRUST_200600_302600_NS11hip_rocprim14__parallel_for6kernelILj256ENS1_20__uninitialized_fill7functorINS0_10device_ptrIfEEfEEmLj1EEEvT0_T1_SA_.kd
    .uniform_work_group_size: 1
    .uses_dynamic_stack: false
    .vgpr_count:     4
    .vgpr_spill_count: 0
    .wavefront_size: 32
    .workgroup_processor_mode: 1
  - .args:
      - .offset:         0
        .size:           120
        .value_kind:     by_value
    .group_segment_fixed_size: 0
    .kernarg_segment_align: 8
    .kernarg_segment_size: 120
    .language:       OpenCL C
    .language_version:
      - 2
      - 0
    .max_flat_workgroup_size: 256
    .name:           _ZN7rocprim17ROCPRIM_400000_NS6detail17trampoline_kernelINS0_14default_configENS1_25partition_config_selectorILNS1_17partition_subalgoE6EfNS0_10empty_typeEbEEZZNS1_14partition_implILS5_6ELb0ES3_mN6thrust23THRUST_200600_302600_NS6detail15normal_iteratorINSA_10device_ptrIfEEEEPS6_SG_NS0_5tupleIJSF_S6_EEENSH_IJSG_SG_EEES6_PlJNSB_9not_fun_tINSB_10functional5actorINSM_9compositeIJNSM_27transparent_binary_operatorINSA_8equal_toIvEEEENSN_INSM_8argumentILj0EEEEENSM_5valueIfEEEEEEEEEEEE10hipError_tPvRmT3_T4_T5_T6_T7_T9_mT8_P12ihipStream_tbDpT10_ENKUlT_T0_E_clISt17integral_constantIbLb0EES1K_EEDaS1F_S1G_EUlS1F_E_NS1_11comp_targetILNS1_3genE0ELNS1_11target_archE4294967295ELNS1_3gpuE0ELNS1_3repE0EEENS1_30default_config_static_selectorELNS0_4arch9wavefront6targetE0EEEvT1_
    .private_segment_fixed_size: 0
    .sgpr_count:     0
    .sgpr_spill_count: 0
    .symbol:         _ZN7rocprim17ROCPRIM_400000_NS6detail17trampoline_kernelINS0_14default_configENS1_25partition_config_selectorILNS1_17partition_subalgoE6EfNS0_10empty_typeEbEEZZNS1_14partition_implILS5_6ELb0ES3_mN6thrust23THRUST_200600_302600_NS6detail15normal_iteratorINSA_10device_ptrIfEEEEPS6_SG_NS0_5tupleIJSF_S6_EEENSH_IJSG_SG_EEES6_PlJNSB_9not_fun_tINSB_10functional5actorINSM_9compositeIJNSM_27transparent_binary_operatorINSA_8equal_toIvEEEENSN_INSM_8argumentILj0EEEEENSM_5valueIfEEEEEEEEEEEE10hipError_tPvRmT3_T4_T5_T6_T7_T9_mT8_P12ihipStream_tbDpT10_ENKUlT_T0_E_clISt17integral_constantIbLb0EES1K_EEDaS1F_S1G_EUlS1F_E_NS1_11comp_targetILNS1_3genE0ELNS1_11target_archE4294967295ELNS1_3gpuE0ELNS1_3repE0EEENS1_30default_config_static_selectorELNS0_4arch9wavefront6targetE0EEEvT1_.kd
    .uniform_work_group_size: 1
    .uses_dynamic_stack: false
    .vgpr_count:     0
    .vgpr_spill_count: 0
    .wavefront_size: 32
    .workgroup_processor_mode: 1
  - .args:
      - .offset:         0
        .size:           120
        .value_kind:     by_value
    .group_segment_fixed_size: 0
    .kernarg_segment_align: 8
    .kernarg_segment_size: 120
    .language:       OpenCL C
    .language_version:
      - 2
      - 0
    .max_flat_workgroup_size: 512
    .name:           _ZN7rocprim17ROCPRIM_400000_NS6detail17trampoline_kernelINS0_14default_configENS1_25partition_config_selectorILNS1_17partition_subalgoE6EfNS0_10empty_typeEbEEZZNS1_14partition_implILS5_6ELb0ES3_mN6thrust23THRUST_200600_302600_NS6detail15normal_iteratorINSA_10device_ptrIfEEEEPS6_SG_NS0_5tupleIJSF_S6_EEENSH_IJSG_SG_EEES6_PlJNSB_9not_fun_tINSB_10functional5actorINSM_9compositeIJNSM_27transparent_binary_operatorINSA_8equal_toIvEEEENSN_INSM_8argumentILj0EEEEENSM_5valueIfEEEEEEEEEEEE10hipError_tPvRmT3_T4_T5_T6_T7_T9_mT8_P12ihipStream_tbDpT10_ENKUlT_T0_E_clISt17integral_constantIbLb0EES1K_EEDaS1F_S1G_EUlS1F_E_NS1_11comp_targetILNS1_3genE5ELNS1_11target_archE942ELNS1_3gpuE9ELNS1_3repE0EEENS1_30default_config_static_selectorELNS0_4arch9wavefront6targetE0EEEvT1_
    .private_segment_fixed_size: 0
    .sgpr_count:     0
    .sgpr_spill_count: 0
    .symbol:         _ZN7rocprim17ROCPRIM_400000_NS6detail17trampoline_kernelINS0_14default_configENS1_25partition_config_selectorILNS1_17partition_subalgoE6EfNS0_10empty_typeEbEEZZNS1_14partition_implILS5_6ELb0ES3_mN6thrust23THRUST_200600_302600_NS6detail15normal_iteratorINSA_10device_ptrIfEEEEPS6_SG_NS0_5tupleIJSF_S6_EEENSH_IJSG_SG_EEES6_PlJNSB_9not_fun_tINSB_10functional5actorINSM_9compositeIJNSM_27transparent_binary_operatorINSA_8equal_toIvEEEENSN_INSM_8argumentILj0EEEEENSM_5valueIfEEEEEEEEEEEE10hipError_tPvRmT3_T4_T5_T6_T7_T9_mT8_P12ihipStream_tbDpT10_ENKUlT_T0_E_clISt17integral_constantIbLb0EES1K_EEDaS1F_S1G_EUlS1F_E_NS1_11comp_targetILNS1_3genE5ELNS1_11target_archE942ELNS1_3gpuE9ELNS1_3repE0EEENS1_30default_config_static_selectorELNS0_4arch9wavefront6targetE0EEEvT1_.kd
    .uniform_work_group_size: 1
    .uses_dynamic_stack: false
    .vgpr_count:     0
    .vgpr_spill_count: 0
    .wavefront_size: 32
    .workgroup_processor_mode: 1
  - .args:
      - .offset:         0
        .size:           120
        .value_kind:     by_value
    .group_segment_fixed_size: 0
    .kernarg_segment_align: 8
    .kernarg_segment_size: 120
    .language:       OpenCL C
    .language_version:
      - 2
      - 0
    .max_flat_workgroup_size: 512
    .name:           _ZN7rocprim17ROCPRIM_400000_NS6detail17trampoline_kernelINS0_14default_configENS1_25partition_config_selectorILNS1_17partition_subalgoE6EfNS0_10empty_typeEbEEZZNS1_14partition_implILS5_6ELb0ES3_mN6thrust23THRUST_200600_302600_NS6detail15normal_iteratorINSA_10device_ptrIfEEEEPS6_SG_NS0_5tupleIJSF_S6_EEENSH_IJSG_SG_EEES6_PlJNSB_9not_fun_tINSB_10functional5actorINSM_9compositeIJNSM_27transparent_binary_operatorINSA_8equal_toIvEEEENSN_INSM_8argumentILj0EEEEENSM_5valueIfEEEEEEEEEEEE10hipError_tPvRmT3_T4_T5_T6_T7_T9_mT8_P12ihipStream_tbDpT10_ENKUlT_T0_E_clISt17integral_constantIbLb0EES1K_EEDaS1F_S1G_EUlS1F_E_NS1_11comp_targetILNS1_3genE4ELNS1_11target_archE910ELNS1_3gpuE8ELNS1_3repE0EEENS1_30default_config_static_selectorELNS0_4arch9wavefront6targetE0EEEvT1_
    .private_segment_fixed_size: 0
    .sgpr_count:     0
    .sgpr_spill_count: 0
    .symbol:         _ZN7rocprim17ROCPRIM_400000_NS6detail17trampoline_kernelINS0_14default_configENS1_25partition_config_selectorILNS1_17partition_subalgoE6EfNS0_10empty_typeEbEEZZNS1_14partition_implILS5_6ELb0ES3_mN6thrust23THRUST_200600_302600_NS6detail15normal_iteratorINSA_10device_ptrIfEEEEPS6_SG_NS0_5tupleIJSF_S6_EEENSH_IJSG_SG_EEES6_PlJNSB_9not_fun_tINSB_10functional5actorINSM_9compositeIJNSM_27transparent_binary_operatorINSA_8equal_toIvEEEENSN_INSM_8argumentILj0EEEEENSM_5valueIfEEEEEEEEEEEE10hipError_tPvRmT3_T4_T5_T6_T7_T9_mT8_P12ihipStream_tbDpT10_ENKUlT_T0_E_clISt17integral_constantIbLb0EES1K_EEDaS1F_S1G_EUlS1F_E_NS1_11comp_targetILNS1_3genE4ELNS1_11target_archE910ELNS1_3gpuE8ELNS1_3repE0EEENS1_30default_config_static_selectorELNS0_4arch9wavefront6targetE0EEEvT1_.kd
    .uniform_work_group_size: 1
    .uses_dynamic_stack: false
    .vgpr_count:     0
    .vgpr_spill_count: 0
    .wavefront_size: 32
    .workgroup_processor_mode: 1
  - .args:
      - .offset:         0
        .size:           120
        .value_kind:     by_value
    .group_segment_fixed_size: 0
    .kernarg_segment_align: 8
    .kernarg_segment_size: 120
    .language:       OpenCL C
    .language_version:
      - 2
      - 0
    .max_flat_workgroup_size: 256
    .name:           _ZN7rocprim17ROCPRIM_400000_NS6detail17trampoline_kernelINS0_14default_configENS1_25partition_config_selectorILNS1_17partition_subalgoE6EfNS0_10empty_typeEbEEZZNS1_14partition_implILS5_6ELb0ES3_mN6thrust23THRUST_200600_302600_NS6detail15normal_iteratorINSA_10device_ptrIfEEEEPS6_SG_NS0_5tupleIJSF_S6_EEENSH_IJSG_SG_EEES6_PlJNSB_9not_fun_tINSB_10functional5actorINSM_9compositeIJNSM_27transparent_binary_operatorINSA_8equal_toIvEEEENSN_INSM_8argumentILj0EEEEENSM_5valueIfEEEEEEEEEEEE10hipError_tPvRmT3_T4_T5_T6_T7_T9_mT8_P12ihipStream_tbDpT10_ENKUlT_T0_E_clISt17integral_constantIbLb0EES1K_EEDaS1F_S1G_EUlS1F_E_NS1_11comp_targetILNS1_3genE3ELNS1_11target_archE908ELNS1_3gpuE7ELNS1_3repE0EEENS1_30default_config_static_selectorELNS0_4arch9wavefront6targetE0EEEvT1_
    .private_segment_fixed_size: 0
    .sgpr_count:     0
    .sgpr_spill_count: 0
    .symbol:         _ZN7rocprim17ROCPRIM_400000_NS6detail17trampoline_kernelINS0_14default_configENS1_25partition_config_selectorILNS1_17partition_subalgoE6EfNS0_10empty_typeEbEEZZNS1_14partition_implILS5_6ELb0ES3_mN6thrust23THRUST_200600_302600_NS6detail15normal_iteratorINSA_10device_ptrIfEEEEPS6_SG_NS0_5tupleIJSF_S6_EEENSH_IJSG_SG_EEES6_PlJNSB_9not_fun_tINSB_10functional5actorINSM_9compositeIJNSM_27transparent_binary_operatorINSA_8equal_toIvEEEENSN_INSM_8argumentILj0EEEEENSM_5valueIfEEEEEEEEEEEE10hipError_tPvRmT3_T4_T5_T6_T7_T9_mT8_P12ihipStream_tbDpT10_ENKUlT_T0_E_clISt17integral_constantIbLb0EES1K_EEDaS1F_S1G_EUlS1F_E_NS1_11comp_targetILNS1_3genE3ELNS1_11target_archE908ELNS1_3gpuE7ELNS1_3repE0EEENS1_30default_config_static_selectorELNS0_4arch9wavefront6targetE0EEEvT1_.kd
    .uniform_work_group_size: 1
    .uses_dynamic_stack: false
    .vgpr_count:     0
    .vgpr_spill_count: 0
    .wavefront_size: 32
    .workgroup_processor_mode: 1
  - .args:
      - .offset:         0
        .size:           120
        .value_kind:     by_value
    .group_segment_fixed_size: 0
    .kernarg_segment_align: 8
    .kernarg_segment_size: 120
    .language:       OpenCL C
    .language_version:
      - 2
      - 0
    .max_flat_workgroup_size: 256
    .name:           _ZN7rocprim17ROCPRIM_400000_NS6detail17trampoline_kernelINS0_14default_configENS1_25partition_config_selectorILNS1_17partition_subalgoE6EfNS0_10empty_typeEbEEZZNS1_14partition_implILS5_6ELb0ES3_mN6thrust23THRUST_200600_302600_NS6detail15normal_iteratorINSA_10device_ptrIfEEEEPS6_SG_NS0_5tupleIJSF_S6_EEENSH_IJSG_SG_EEES6_PlJNSB_9not_fun_tINSB_10functional5actorINSM_9compositeIJNSM_27transparent_binary_operatorINSA_8equal_toIvEEEENSN_INSM_8argumentILj0EEEEENSM_5valueIfEEEEEEEEEEEE10hipError_tPvRmT3_T4_T5_T6_T7_T9_mT8_P12ihipStream_tbDpT10_ENKUlT_T0_E_clISt17integral_constantIbLb0EES1K_EEDaS1F_S1G_EUlS1F_E_NS1_11comp_targetILNS1_3genE2ELNS1_11target_archE906ELNS1_3gpuE6ELNS1_3repE0EEENS1_30default_config_static_selectorELNS0_4arch9wavefront6targetE0EEEvT1_
    .private_segment_fixed_size: 0
    .sgpr_count:     0
    .sgpr_spill_count: 0
    .symbol:         _ZN7rocprim17ROCPRIM_400000_NS6detail17trampoline_kernelINS0_14default_configENS1_25partition_config_selectorILNS1_17partition_subalgoE6EfNS0_10empty_typeEbEEZZNS1_14partition_implILS5_6ELb0ES3_mN6thrust23THRUST_200600_302600_NS6detail15normal_iteratorINSA_10device_ptrIfEEEEPS6_SG_NS0_5tupleIJSF_S6_EEENSH_IJSG_SG_EEES6_PlJNSB_9not_fun_tINSB_10functional5actorINSM_9compositeIJNSM_27transparent_binary_operatorINSA_8equal_toIvEEEENSN_INSM_8argumentILj0EEEEENSM_5valueIfEEEEEEEEEEEE10hipError_tPvRmT3_T4_T5_T6_T7_T9_mT8_P12ihipStream_tbDpT10_ENKUlT_T0_E_clISt17integral_constantIbLb0EES1K_EEDaS1F_S1G_EUlS1F_E_NS1_11comp_targetILNS1_3genE2ELNS1_11target_archE906ELNS1_3gpuE6ELNS1_3repE0EEENS1_30default_config_static_selectorELNS0_4arch9wavefront6targetE0EEEvT1_.kd
    .uniform_work_group_size: 1
    .uses_dynamic_stack: false
    .vgpr_count:     0
    .vgpr_spill_count: 0
    .wavefront_size: 32
    .workgroup_processor_mode: 1
  - .args:
      - .offset:         0
        .size:           120
        .value_kind:     by_value
    .group_segment_fixed_size: 10768
    .kernarg_segment_align: 8
    .kernarg_segment_size: 120
    .language:       OpenCL C
    .language_version:
      - 2
      - 0
    .max_flat_workgroup_size: 384
    .name:           _ZN7rocprim17ROCPRIM_400000_NS6detail17trampoline_kernelINS0_14default_configENS1_25partition_config_selectorILNS1_17partition_subalgoE6EfNS0_10empty_typeEbEEZZNS1_14partition_implILS5_6ELb0ES3_mN6thrust23THRUST_200600_302600_NS6detail15normal_iteratorINSA_10device_ptrIfEEEEPS6_SG_NS0_5tupleIJSF_S6_EEENSH_IJSG_SG_EEES6_PlJNSB_9not_fun_tINSB_10functional5actorINSM_9compositeIJNSM_27transparent_binary_operatorINSA_8equal_toIvEEEENSN_INSM_8argumentILj0EEEEENSM_5valueIfEEEEEEEEEEEE10hipError_tPvRmT3_T4_T5_T6_T7_T9_mT8_P12ihipStream_tbDpT10_ENKUlT_T0_E_clISt17integral_constantIbLb0EES1K_EEDaS1F_S1G_EUlS1F_E_NS1_11comp_targetILNS1_3genE10ELNS1_11target_archE1200ELNS1_3gpuE4ELNS1_3repE0EEENS1_30default_config_static_selectorELNS0_4arch9wavefront6targetE0EEEvT1_
    .private_segment_fixed_size: 0
    .sgpr_count:     20
    .sgpr_spill_count: 0
    .symbol:         _ZN7rocprim17ROCPRIM_400000_NS6detail17trampoline_kernelINS0_14default_configENS1_25partition_config_selectorILNS1_17partition_subalgoE6EfNS0_10empty_typeEbEEZZNS1_14partition_implILS5_6ELb0ES3_mN6thrust23THRUST_200600_302600_NS6detail15normal_iteratorINSA_10device_ptrIfEEEEPS6_SG_NS0_5tupleIJSF_S6_EEENSH_IJSG_SG_EEES6_PlJNSB_9not_fun_tINSB_10functional5actorINSM_9compositeIJNSM_27transparent_binary_operatorINSA_8equal_toIvEEEENSN_INSM_8argumentILj0EEEEENSM_5valueIfEEEEEEEEEEEE10hipError_tPvRmT3_T4_T5_T6_T7_T9_mT8_P12ihipStream_tbDpT10_ENKUlT_T0_E_clISt17integral_constantIbLb0EES1K_EEDaS1F_S1G_EUlS1F_E_NS1_11comp_targetILNS1_3genE10ELNS1_11target_archE1200ELNS1_3gpuE4ELNS1_3repE0EEENS1_30default_config_static_selectorELNS0_4arch9wavefront6targetE0EEEvT1_.kd
    .uniform_work_group_size: 1
    .uses_dynamic_stack: false
    .vgpr_count:     49
    .vgpr_spill_count: 0
    .wavefront_size: 32
    .workgroup_processor_mode: 1
  - .args:
      - .offset:         0
        .size:           120
        .value_kind:     by_value
    .group_segment_fixed_size: 0
    .kernarg_segment_align: 8
    .kernarg_segment_size: 120
    .language:       OpenCL C
    .language_version:
      - 2
      - 0
    .max_flat_workgroup_size: 128
    .name:           _ZN7rocprim17ROCPRIM_400000_NS6detail17trampoline_kernelINS0_14default_configENS1_25partition_config_selectorILNS1_17partition_subalgoE6EfNS0_10empty_typeEbEEZZNS1_14partition_implILS5_6ELb0ES3_mN6thrust23THRUST_200600_302600_NS6detail15normal_iteratorINSA_10device_ptrIfEEEEPS6_SG_NS0_5tupleIJSF_S6_EEENSH_IJSG_SG_EEES6_PlJNSB_9not_fun_tINSB_10functional5actorINSM_9compositeIJNSM_27transparent_binary_operatorINSA_8equal_toIvEEEENSN_INSM_8argumentILj0EEEEENSM_5valueIfEEEEEEEEEEEE10hipError_tPvRmT3_T4_T5_T6_T7_T9_mT8_P12ihipStream_tbDpT10_ENKUlT_T0_E_clISt17integral_constantIbLb0EES1K_EEDaS1F_S1G_EUlS1F_E_NS1_11comp_targetILNS1_3genE9ELNS1_11target_archE1100ELNS1_3gpuE3ELNS1_3repE0EEENS1_30default_config_static_selectorELNS0_4arch9wavefront6targetE0EEEvT1_
    .private_segment_fixed_size: 0
    .sgpr_count:     0
    .sgpr_spill_count: 0
    .symbol:         _ZN7rocprim17ROCPRIM_400000_NS6detail17trampoline_kernelINS0_14default_configENS1_25partition_config_selectorILNS1_17partition_subalgoE6EfNS0_10empty_typeEbEEZZNS1_14partition_implILS5_6ELb0ES3_mN6thrust23THRUST_200600_302600_NS6detail15normal_iteratorINSA_10device_ptrIfEEEEPS6_SG_NS0_5tupleIJSF_S6_EEENSH_IJSG_SG_EEES6_PlJNSB_9not_fun_tINSB_10functional5actorINSM_9compositeIJNSM_27transparent_binary_operatorINSA_8equal_toIvEEEENSN_INSM_8argumentILj0EEEEENSM_5valueIfEEEEEEEEEEEE10hipError_tPvRmT3_T4_T5_T6_T7_T9_mT8_P12ihipStream_tbDpT10_ENKUlT_T0_E_clISt17integral_constantIbLb0EES1K_EEDaS1F_S1G_EUlS1F_E_NS1_11comp_targetILNS1_3genE9ELNS1_11target_archE1100ELNS1_3gpuE3ELNS1_3repE0EEENS1_30default_config_static_selectorELNS0_4arch9wavefront6targetE0EEEvT1_.kd
    .uniform_work_group_size: 1
    .uses_dynamic_stack: false
    .vgpr_count:     0
    .vgpr_spill_count: 0
    .wavefront_size: 32
    .workgroup_processor_mode: 1
  - .args:
      - .offset:         0
        .size:           120
        .value_kind:     by_value
    .group_segment_fixed_size: 0
    .kernarg_segment_align: 8
    .kernarg_segment_size: 120
    .language:       OpenCL C
    .language_version:
      - 2
      - 0
    .max_flat_workgroup_size: 512
    .name:           _ZN7rocprim17ROCPRIM_400000_NS6detail17trampoline_kernelINS0_14default_configENS1_25partition_config_selectorILNS1_17partition_subalgoE6EfNS0_10empty_typeEbEEZZNS1_14partition_implILS5_6ELb0ES3_mN6thrust23THRUST_200600_302600_NS6detail15normal_iteratorINSA_10device_ptrIfEEEEPS6_SG_NS0_5tupleIJSF_S6_EEENSH_IJSG_SG_EEES6_PlJNSB_9not_fun_tINSB_10functional5actorINSM_9compositeIJNSM_27transparent_binary_operatorINSA_8equal_toIvEEEENSN_INSM_8argumentILj0EEEEENSM_5valueIfEEEEEEEEEEEE10hipError_tPvRmT3_T4_T5_T6_T7_T9_mT8_P12ihipStream_tbDpT10_ENKUlT_T0_E_clISt17integral_constantIbLb0EES1K_EEDaS1F_S1G_EUlS1F_E_NS1_11comp_targetILNS1_3genE8ELNS1_11target_archE1030ELNS1_3gpuE2ELNS1_3repE0EEENS1_30default_config_static_selectorELNS0_4arch9wavefront6targetE0EEEvT1_
    .private_segment_fixed_size: 0
    .sgpr_count:     0
    .sgpr_spill_count: 0
    .symbol:         _ZN7rocprim17ROCPRIM_400000_NS6detail17trampoline_kernelINS0_14default_configENS1_25partition_config_selectorILNS1_17partition_subalgoE6EfNS0_10empty_typeEbEEZZNS1_14partition_implILS5_6ELb0ES3_mN6thrust23THRUST_200600_302600_NS6detail15normal_iteratorINSA_10device_ptrIfEEEEPS6_SG_NS0_5tupleIJSF_S6_EEENSH_IJSG_SG_EEES6_PlJNSB_9not_fun_tINSB_10functional5actorINSM_9compositeIJNSM_27transparent_binary_operatorINSA_8equal_toIvEEEENSN_INSM_8argumentILj0EEEEENSM_5valueIfEEEEEEEEEEEE10hipError_tPvRmT3_T4_T5_T6_T7_T9_mT8_P12ihipStream_tbDpT10_ENKUlT_T0_E_clISt17integral_constantIbLb0EES1K_EEDaS1F_S1G_EUlS1F_E_NS1_11comp_targetILNS1_3genE8ELNS1_11target_archE1030ELNS1_3gpuE2ELNS1_3repE0EEENS1_30default_config_static_selectorELNS0_4arch9wavefront6targetE0EEEvT1_.kd
    .uniform_work_group_size: 1
    .uses_dynamic_stack: false
    .vgpr_count:     0
    .vgpr_spill_count: 0
    .wavefront_size: 32
    .workgroup_processor_mode: 1
  - .args:
      - .offset:         0
        .size:           128
        .value_kind:     by_value
    .group_segment_fixed_size: 0
    .kernarg_segment_align: 8
    .kernarg_segment_size: 128
    .language:       OpenCL C
    .language_version:
      - 2
      - 0
    .max_flat_workgroup_size: 256
    .name:           _ZN7rocprim17ROCPRIM_400000_NS6detail17trampoline_kernelINS0_14default_configENS1_25partition_config_selectorILNS1_17partition_subalgoE6EfNS0_10empty_typeEbEEZZNS1_14partition_implILS5_6ELb0ES3_mN6thrust23THRUST_200600_302600_NS6detail15normal_iteratorINSA_10device_ptrIfEEEEPS6_SG_NS0_5tupleIJSF_S6_EEENSH_IJSG_SG_EEES6_PlJNSB_9not_fun_tINSB_10functional5actorINSM_9compositeIJNSM_27transparent_binary_operatorINSA_8equal_toIvEEEENSN_INSM_8argumentILj0EEEEENSM_5valueIfEEEEEEEEEEEE10hipError_tPvRmT3_T4_T5_T6_T7_T9_mT8_P12ihipStream_tbDpT10_ENKUlT_T0_E_clISt17integral_constantIbLb1EES1K_EEDaS1F_S1G_EUlS1F_E_NS1_11comp_targetILNS1_3genE0ELNS1_11target_archE4294967295ELNS1_3gpuE0ELNS1_3repE0EEENS1_30default_config_static_selectorELNS0_4arch9wavefront6targetE0EEEvT1_
    .private_segment_fixed_size: 0
    .sgpr_count:     0
    .sgpr_spill_count: 0
    .symbol:         _ZN7rocprim17ROCPRIM_400000_NS6detail17trampoline_kernelINS0_14default_configENS1_25partition_config_selectorILNS1_17partition_subalgoE6EfNS0_10empty_typeEbEEZZNS1_14partition_implILS5_6ELb0ES3_mN6thrust23THRUST_200600_302600_NS6detail15normal_iteratorINSA_10device_ptrIfEEEEPS6_SG_NS0_5tupleIJSF_S6_EEENSH_IJSG_SG_EEES6_PlJNSB_9not_fun_tINSB_10functional5actorINSM_9compositeIJNSM_27transparent_binary_operatorINSA_8equal_toIvEEEENSN_INSM_8argumentILj0EEEEENSM_5valueIfEEEEEEEEEEEE10hipError_tPvRmT3_T4_T5_T6_T7_T9_mT8_P12ihipStream_tbDpT10_ENKUlT_T0_E_clISt17integral_constantIbLb1EES1K_EEDaS1F_S1G_EUlS1F_E_NS1_11comp_targetILNS1_3genE0ELNS1_11target_archE4294967295ELNS1_3gpuE0ELNS1_3repE0EEENS1_30default_config_static_selectorELNS0_4arch9wavefront6targetE0EEEvT1_.kd
    .uniform_work_group_size: 1
    .uses_dynamic_stack: false
    .vgpr_count:     0
    .vgpr_spill_count: 0
    .wavefront_size: 32
    .workgroup_processor_mode: 1
  - .args:
      - .offset:         0
        .size:           128
        .value_kind:     by_value
    .group_segment_fixed_size: 0
    .kernarg_segment_align: 8
    .kernarg_segment_size: 128
    .language:       OpenCL C
    .language_version:
      - 2
      - 0
    .max_flat_workgroup_size: 512
    .name:           _ZN7rocprim17ROCPRIM_400000_NS6detail17trampoline_kernelINS0_14default_configENS1_25partition_config_selectorILNS1_17partition_subalgoE6EfNS0_10empty_typeEbEEZZNS1_14partition_implILS5_6ELb0ES3_mN6thrust23THRUST_200600_302600_NS6detail15normal_iteratorINSA_10device_ptrIfEEEEPS6_SG_NS0_5tupleIJSF_S6_EEENSH_IJSG_SG_EEES6_PlJNSB_9not_fun_tINSB_10functional5actorINSM_9compositeIJNSM_27transparent_binary_operatorINSA_8equal_toIvEEEENSN_INSM_8argumentILj0EEEEENSM_5valueIfEEEEEEEEEEEE10hipError_tPvRmT3_T4_T5_T6_T7_T9_mT8_P12ihipStream_tbDpT10_ENKUlT_T0_E_clISt17integral_constantIbLb1EES1K_EEDaS1F_S1G_EUlS1F_E_NS1_11comp_targetILNS1_3genE5ELNS1_11target_archE942ELNS1_3gpuE9ELNS1_3repE0EEENS1_30default_config_static_selectorELNS0_4arch9wavefront6targetE0EEEvT1_
    .private_segment_fixed_size: 0
    .sgpr_count:     0
    .sgpr_spill_count: 0
    .symbol:         _ZN7rocprim17ROCPRIM_400000_NS6detail17trampoline_kernelINS0_14default_configENS1_25partition_config_selectorILNS1_17partition_subalgoE6EfNS0_10empty_typeEbEEZZNS1_14partition_implILS5_6ELb0ES3_mN6thrust23THRUST_200600_302600_NS6detail15normal_iteratorINSA_10device_ptrIfEEEEPS6_SG_NS0_5tupleIJSF_S6_EEENSH_IJSG_SG_EEES6_PlJNSB_9not_fun_tINSB_10functional5actorINSM_9compositeIJNSM_27transparent_binary_operatorINSA_8equal_toIvEEEENSN_INSM_8argumentILj0EEEEENSM_5valueIfEEEEEEEEEEEE10hipError_tPvRmT3_T4_T5_T6_T7_T9_mT8_P12ihipStream_tbDpT10_ENKUlT_T0_E_clISt17integral_constantIbLb1EES1K_EEDaS1F_S1G_EUlS1F_E_NS1_11comp_targetILNS1_3genE5ELNS1_11target_archE942ELNS1_3gpuE9ELNS1_3repE0EEENS1_30default_config_static_selectorELNS0_4arch9wavefront6targetE0EEEvT1_.kd
    .uniform_work_group_size: 1
    .uses_dynamic_stack: false
    .vgpr_count:     0
    .vgpr_spill_count: 0
    .wavefront_size: 32
    .workgroup_processor_mode: 1
  - .args:
      - .offset:         0
        .size:           128
        .value_kind:     by_value
    .group_segment_fixed_size: 0
    .kernarg_segment_align: 8
    .kernarg_segment_size: 128
    .language:       OpenCL C
    .language_version:
      - 2
      - 0
    .max_flat_workgroup_size: 512
    .name:           _ZN7rocprim17ROCPRIM_400000_NS6detail17trampoline_kernelINS0_14default_configENS1_25partition_config_selectorILNS1_17partition_subalgoE6EfNS0_10empty_typeEbEEZZNS1_14partition_implILS5_6ELb0ES3_mN6thrust23THRUST_200600_302600_NS6detail15normal_iteratorINSA_10device_ptrIfEEEEPS6_SG_NS0_5tupleIJSF_S6_EEENSH_IJSG_SG_EEES6_PlJNSB_9not_fun_tINSB_10functional5actorINSM_9compositeIJNSM_27transparent_binary_operatorINSA_8equal_toIvEEEENSN_INSM_8argumentILj0EEEEENSM_5valueIfEEEEEEEEEEEE10hipError_tPvRmT3_T4_T5_T6_T7_T9_mT8_P12ihipStream_tbDpT10_ENKUlT_T0_E_clISt17integral_constantIbLb1EES1K_EEDaS1F_S1G_EUlS1F_E_NS1_11comp_targetILNS1_3genE4ELNS1_11target_archE910ELNS1_3gpuE8ELNS1_3repE0EEENS1_30default_config_static_selectorELNS0_4arch9wavefront6targetE0EEEvT1_
    .private_segment_fixed_size: 0
    .sgpr_count:     0
    .sgpr_spill_count: 0
    .symbol:         _ZN7rocprim17ROCPRIM_400000_NS6detail17trampoline_kernelINS0_14default_configENS1_25partition_config_selectorILNS1_17partition_subalgoE6EfNS0_10empty_typeEbEEZZNS1_14partition_implILS5_6ELb0ES3_mN6thrust23THRUST_200600_302600_NS6detail15normal_iteratorINSA_10device_ptrIfEEEEPS6_SG_NS0_5tupleIJSF_S6_EEENSH_IJSG_SG_EEES6_PlJNSB_9not_fun_tINSB_10functional5actorINSM_9compositeIJNSM_27transparent_binary_operatorINSA_8equal_toIvEEEENSN_INSM_8argumentILj0EEEEENSM_5valueIfEEEEEEEEEEEE10hipError_tPvRmT3_T4_T5_T6_T7_T9_mT8_P12ihipStream_tbDpT10_ENKUlT_T0_E_clISt17integral_constantIbLb1EES1K_EEDaS1F_S1G_EUlS1F_E_NS1_11comp_targetILNS1_3genE4ELNS1_11target_archE910ELNS1_3gpuE8ELNS1_3repE0EEENS1_30default_config_static_selectorELNS0_4arch9wavefront6targetE0EEEvT1_.kd
    .uniform_work_group_size: 1
    .uses_dynamic_stack: false
    .vgpr_count:     0
    .vgpr_spill_count: 0
    .wavefront_size: 32
    .workgroup_processor_mode: 1
  - .args:
      - .offset:         0
        .size:           128
        .value_kind:     by_value
    .group_segment_fixed_size: 0
    .kernarg_segment_align: 8
    .kernarg_segment_size: 128
    .language:       OpenCL C
    .language_version:
      - 2
      - 0
    .max_flat_workgroup_size: 256
    .name:           _ZN7rocprim17ROCPRIM_400000_NS6detail17trampoline_kernelINS0_14default_configENS1_25partition_config_selectorILNS1_17partition_subalgoE6EfNS0_10empty_typeEbEEZZNS1_14partition_implILS5_6ELb0ES3_mN6thrust23THRUST_200600_302600_NS6detail15normal_iteratorINSA_10device_ptrIfEEEEPS6_SG_NS0_5tupleIJSF_S6_EEENSH_IJSG_SG_EEES6_PlJNSB_9not_fun_tINSB_10functional5actorINSM_9compositeIJNSM_27transparent_binary_operatorINSA_8equal_toIvEEEENSN_INSM_8argumentILj0EEEEENSM_5valueIfEEEEEEEEEEEE10hipError_tPvRmT3_T4_T5_T6_T7_T9_mT8_P12ihipStream_tbDpT10_ENKUlT_T0_E_clISt17integral_constantIbLb1EES1K_EEDaS1F_S1G_EUlS1F_E_NS1_11comp_targetILNS1_3genE3ELNS1_11target_archE908ELNS1_3gpuE7ELNS1_3repE0EEENS1_30default_config_static_selectorELNS0_4arch9wavefront6targetE0EEEvT1_
    .private_segment_fixed_size: 0
    .sgpr_count:     0
    .sgpr_spill_count: 0
    .symbol:         _ZN7rocprim17ROCPRIM_400000_NS6detail17trampoline_kernelINS0_14default_configENS1_25partition_config_selectorILNS1_17partition_subalgoE6EfNS0_10empty_typeEbEEZZNS1_14partition_implILS5_6ELb0ES3_mN6thrust23THRUST_200600_302600_NS6detail15normal_iteratorINSA_10device_ptrIfEEEEPS6_SG_NS0_5tupleIJSF_S6_EEENSH_IJSG_SG_EEES6_PlJNSB_9not_fun_tINSB_10functional5actorINSM_9compositeIJNSM_27transparent_binary_operatorINSA_8equal_toIvEEEENSN_INSM_8argumentILj0EEEEENSM_5valueIfEEEEEEEEEEEE10hipError_tPvRmT3_T4_T5_T6_T7_T9_mT8_P12ihipStream_tbDpT10_ENKUlT_T0_E_clISt17integral_constantIbLb1EES1K_EEDaS1F_S1G_EUlS1F_E_NS1_11comp_targetILNS1_3genE3ELNS1_11target_archE908ELNS1_3gpuE7ELNS1_3repE0EEENS1_30default_config_static_selectorELNS0_4arch9wavefront6targetE0EEEvT1_.kd
    .uniform_work_group_size: 1
    .uses_dynamic_stack: false
    .vgpr_count:     0
    .vgpr_spill_count: 0
    .wavefront_size: 32
    .workgroup_processor_mode: 1
  - .args:
      - .offset:         0
        .size:           128
        .value_kind:     by_value
    .group_segment_fixed_size: 0
    .kernarg_segment_align: 8
    .kernarg_segment_size: 128
    .language:       OpenCL C
    .language_version:
      - 2
      - 0
    .max_flat_workgroup_size: 256
    .name:           _ZN7rocprim17ROCPRIM_400000_NS6detail17trampoline_kernelINS0_14default_configENS1_25partition_config_selectorILNS1_17partition_subalgoE6EfNS0_10empty_typeEbEEZZNS1_14partition_implILS5_6ELb0ES3_mN6thrust23THRUST_200600_302600_NS6detail15normal_iteratorINSA_10device_ptrIfEEEEPS6_SG_NS0_5tupleIJSF_S6_EEENSH_IJSG_SG_EEES6_PlJNSB_9not_fun_tINSB_10functional5actorINSM_9compositeIJNSM_27transparent_binary_operatorINSA_8equal_toIvEEEENSN_INSM_8argumentILj0EEEEENSM_5valueIfEEEEEEEEEEEE10hipError_tPvRmT3_T4_T5_T6_T7_T9_mT8_P12ihipStream_tbDpT10_ENKUlT_T0_E_clISt17integral_constantIbLb1EES1K_EEDaS1F_S1G_EUlS1F_E_NS1_11comp_targetILNS1_3genE2ELNS1_11target_archE906ELNS1_3gpuE6ELNS1_3repE0EEENS1_30default_config_static_selectorELNS0_4arch9wavefront6targetE0EEEvT1_
    .private_segment_fixed_size: 0
    .sgpr_count:     0
    .sgpr_spill_count: 0
    .symbol:         _ZN7rocprim17ROCPRIM_400000_NS6detail17trampoline_kernelINS0_14default_configENS1_25partition_config_selectorILNS1_17partition_subalgoE6EfNS0_10empty_typeEbEEZZNS1_14partition_implILS5_6ELb0ES3_mN6thrust23THRUST_200600_302600_NS6detail15normal_iteratorINSA_10device_ptrIfEEEEPS6_SG_NS0_5tupleIJSF_S6_EEENSH_IJSG_SG_EEES6_PlJNSB_9not_fun_tINSB_10functional5actorINSM_9compositeIJNSM_27transparent_binary_operatorINSA_8equal_toIvEEEENSN_INSM_8argumentILj0EEEEENSM_5valueIfEEEEEEEEEEEE10hipError_tPvRmT3_T4_T5_T6_T7_T9_mT8_P12ihipStream_tbDpT10_ENKUlT_T0_E_clISt17integral_constantIbLb1EES1K_EEDaS1F_S1G_EUlS1F_E_NS1_11comp_targetILNS1_3genE2ELNS1_11target_archE906ELNS1_3gpuE6ELNS1_3repE0EEENS1_30default_config_static_selectorELNS0_4arch9wavefront6targetE0EEEvT1_.kd
    .uniform_work_group_size: 1
    .uses_dynamic_stack: false
    .vgpr_count:     0
    .vgpr_spill_count: 0
    .wavefront_size: 32
    .workgroup_processor_mode: 1
  - .args:
      - .offset:         0
        .size:           128
        .value_kind:     by_value
    .group_segment_fixed_size: 0
    .kernarg_segment_align: 8
    .kernarg_segment_size: 128
    .language:       OpenCL C
    .language_version:
      - 2
      - 0
    .max_flat_workgroup_size: 384
    .name:           _ZN7rocprim17ROCPRIM_400000_NS6detail17trampoline_kernelINS0_14default_configENS1_25partition_config_selectorILNS1_17partition_subalgoE6EfNS0_10empty_typeEbEEZZNS1_14partition_implILS5_6ELb0ES3_mN6thrust23THRUST_200600_302600_NS6detail15normal_iteratorINSA_10device_ptrIfEEEEPS6_SG_NS0_5tupleIJSF_S6_EEENSH_IJSG_SG_EEES6_PlJNSB_9not_fun_tINSB_10functional5actorINSM_9compositeIJNSM_27transparent_binary_operatorINSA_8equal_toIvEEEENSN_INSM_8argumentILj0EEEEENSM_5valueIfEEEEEEEEEEEE10hipError_tPvRmT3_T4_T5_T6_T7_T9_mT8_P12ihipStream_tbDpT10_ENKUlT_T0_E_clISt17integral_constantIbLb1EES1K_EEDaS1F_S1G_EUlS1F_E_NS1_11comp_targetILNS1_3genE10ELNS1_11target_archE1200ELNS1_3gpuE4ELNS1_3repE0EEENS1_30default_config_static_selectorELNS0_4arch9wavefront6targetE0EEEvT1_
    .private_segment_fixed_size: 0
    .sgpr_count:     0
    .sgpr_spill_count: 0
    .symbol:         _ZN7rocprim17ROCPRIM_400000_NS6detail17trampoline_kernelINS0_14default_configENS1_25partition_config_selectorILNS1_17partition_subalgoE6EfNS0_10empty_typeEbEEZZNS1_14partition_implILS5_6ELb0ES3_mN6thrust23THRUST_200600_302600_NS6detail15normal_iteratorINSA_10device_ptrIfEEEEPS6_SG_NS0_5tupleIJSF_S6_EEENSH_IJSG_SG_EEES6_PlJNSB_9not_fun_tINSB_10functional5actorINSM_9compositeIJNSM_27transparent_binary_operatorINSA_8equal_toIvEEEENSN_INSM_8argumentILj0EEEEENSM_5valueIfEEEEEEEEEEEE10hipError_tPvRmT3_T4_T5_T6_T7_T9_mT8_P12ihipStream_tbDpT10_ENKUlT_T0_E_clISt17integral_constantIbLb1EES1K_EEDaS1F_S1G_EUlS1F_E_NS1_11comp_targetILNS1_3genE10ELNS1_11target_archE1200ELNS1_3gpuE4ELNS1_3repE0EEENS1_30default_config_static_selectorELNS0_4arch9wavefront6targetE0EEEvT1_.kd
    .uniform_work_group_size: 1
    .uses_dynamic_stack: false
    .vgpr_count:     0
    .vgpr_spill_count: 0
    .wavefront_size: 32
    .workgroup_processor_mode: 1
  - .args:
      - .offset:         0
        .size:           128
        .value_kind:     by_value
    .group_segment_fixed_size: 0
    .kernarg_segment_align: 8
    .kernarg_segment_size: 128
    .language:       OpenCL C
    .language_version:
      - 2
      - 0
    .max_flat_workgroup_size: 128
    .name:           _ZN7rocprim17ROCPRIM_400000_NS6detail17trampoline_kernelINS0_14default_configENS1_25partition_config_selectorILNS1_17partition_subalgoE6EfNS0_10empty_typeEbEEZZNS1_14partition_implILS5_6ELb0ES3_mN6thrust23THRUST_200600_302600_NS6detail15normal_iteratorINSA_10device_ptrIfEEEEPS6_SG_NS0_5tupleIJSF_S6_EEENSH_IJSG_SG_EEES6_PlJNSB_9not_fun_tINSB_10functional5actorINSM_9compositeIJNSM_27transparent_binary_operatorINSA_8equal_toIvEEEENSN_INSM_8argumentILj0EEEEENSM_5valueIfEEEEEEEEEEEE10hipError_tPvRmT3_T4_T5_T6_T7_T9_mT8_P12ihipStream_tbDpT10_ENKUlT_T0_E_clISt17integral_constantIbLb1EES1K_EEDaS1F_S1G_EUlS1F_E_NS1_11comp_targetILNS1_3genE9ELNS1_11target_archE1100ELNS1_3gpuE3ELNS1_3repE0EEENS1_30default_config_static_selectorELNS0_4arch9wavefront6targetE0EEEvT1_
    .private_segment_fixed_size: 0
    .sgpr_count:     0
    .sgpr_spill_count: 0
    .symbol:         _ZN7rocprim17ROCPRIM_400000_NS6detail17trampoline_kernelINS0_14default_configENS1_25partition_config_selectorILNS1_17partition_subalgoE6EfNS0_10empty_typeEbEEZZNS1_14partition_implILS5_6ELb0ES3_mN6thrust23THRUST_200600_302600_NS6detail15normal_iteratorINSA_10device_ptrIfEEEEPS6_SG_NS0_5tupleIJSF_S6_EEENSH_IJSG_SG_EEES6_PlJNSB_9not_fun_tINSB_10functional5actorINSM_9compositeIJNSM_27transparent_binary_operatorINSA_8equal_toIvEEEENSN_INSM_8argumentILj0EEEEENSM_5valueIfEEEEEEEEEEEE10hipError_tPvRmT3_T4_T5_T6_T7_T9_mT8_P12ihipStream_tbDpT10_ENKUlT_T0_E_clISt17integral_constantIbLb1EES1K_EEDaS1F_S1G_EUlS1F_E_NS1_11comp_targetILNS1_3genE9ELNS1_11target_archE1100ELNS1_3gpuE3ELNS1_3repE0EEENS1_30default_config_static_selectorELNS0_4arch9wavefront6targetE0EEEvT1_.kd
    .uniform_work_group_size: 1
    .uses_dynamic_stack: false
    .vgpr_count:     0
    .vgpr_spill_count: 0
    .wavefront_size: 32
    .workgroup_processor_mode: 1
  - .args:
      - .offset:         0
        .size:           128
        .value_kind:     by_value
    .group_segment_fixed_size: 0
    .kernarg_segment_align: 8
    .kernarg_segment_size: 128
    .language:       OpenCL C
    .language_version:
      - 2
      - 0
    .max_flat_workgroup_size: 512
    .name:           _ZN7rocprim17ROCPRIM_400000_NS6detail17trampoline_kernelINS0_14default_configENS1_25partition_config_selectorILNS1_17partition_subalgoE6EfNS0_10empty_typeEbEEZZNS1_14partition_implILS5_6ELb0ES3_mN6thrust23THRUST_200600_302600_NS6detail15normal_iteratorINSA_10device_ptrIfEEEEPS6_SG_NS0_5tupleIJSF_S6_EEENSH_IJSG_SG_EEES6_PlJNSB_9not_fun_tINSB_10functional5actorINSM_9compositeIJNSM_27transparent_binary_operatorINSA_8equal_toIvEEEENSN_INSM_8argumentILj0EEEEENSM_5valueIfEEEEEEEEEEEE10hipError_tPvRmT3_T4_T5_T6_T7_T9_mT8_P12ihipStream_tbDpT10_ENKUlT_T0_E_clISt17integral_constantIbLb1EES1K_EEDaS1F_S1G_EUlS1F_E_NS1_11comp_targetILNS1_3genE8ELNS1_11target_archE1030ELNS1_3gpuE2ELNS1_3repE0EEENS1_30default_config_static_selectorELNS0_4arch9wavefront6targetE0EEEvT1_
    .private_segment_fixed_size: 0
    .sgpr_count:     0
    .sgpr_spill_count: 0
    .symbol:         _ZN7rocprim17ROCPRIM_400000_NS6detail17trampoline_kernelINS0_14default_configENS1_25partition_config_selectorILNS1_17partition_subalgoE6EfNS0_10empty_typeEbEEZZNS1_14partition_implILS5_6ELb0ES3_mN6thrust23THRUST_200600_302600_NS6detail15normal_iteratorINSA_10device_ptrIfEEEEPS6_SG_NS0_5tupleIJSF_S6_EEENSH_IJSG_SG_EEES6_PlJNSB_9not_fun_tINSB_10functional5actorINSM_9compositeIJNSM_27transparent_binary_operatorINSA_8equal_toIvEEEENSN_INSM_8argumentILj0EEEEENSM_5valueIfEEEEEEEEEEEE10hipError_tPvRmT3_T4_T5_T6_T7_T9_mT8_P12ihipStream_tbDpT10_ENKUlT_T0_E_clISt17integral_constantIbLb1EES1K_EEDaS1F_S1G_EUlS1F_E_NS1_11comp_targetILNS1_3genE8ELNS1_11target_archE1030ELNS1_3gpuE2ELNS1_3repE0EEENS1_30default_config_static_selectorELNS0_4arch9wavefront6targetE0EEEvT1_.kd
    .uniform_work_group_size: 1
    .uses_dynamic_stack: false
    .vgpr_count:     0
    .vgpr_spill_count: 0
    .wavefront_size: 32
    .workgroup_processor_mode: 1
  - .args:
      - .offset:         0
        .size:           120
        .value_kind:     by_value
    .group_segment_fixed_size: 0
    .kernarg_segment_align: 8
    .kernarg_segment_size: 120
    .language:       OpenCL C
    .language_version:
      - 2
      - 0
    .max_flat_workgroup_size: 256
    .name:           _ZN7rocprim17ROCPRIM_400000_NS6detail17trampoline_kernelINS0_14default_configENS1_25partition_config_selectorILNS1_17partition_subalgoE6EfNS0_10empty_typeEbEEZZNS1_14partition_implILS5_6ELb0ES3_mN6thrust23THRUST_200600_302600_NS6detail15normal_iteratorINSA_10device_ptrIfEEEEPS6_SG_NS0_5tupleIJSF_S6_EEENSH_IJSG_SG_EEES6_PlJNSB_9not_fun_tINSB_10functional5actorINSM_9compositeIJNSM_27transparent_binary_operatorINSA_8equal_toIvEEEENSN_INSM_8argumentILj0EEEEENSM_5valueIfEEEEEEEEEEEE10hipError_tPvRmT3_T4_T5_T6_T7_T9_mT8_P12ihipStream_tbDpT10_ENKUlT_T0_E_clISt17integral_constantIbLb1EES1J_IbLb0EEEEDaS1F_S1G_EUlS1F_E_NS1_11comp_targetILNS1_3genE0ELNS1_11target_archE4294967295ELNS1_3gpuE0ELNS1_3repE0EEENS1_30default_config_static_selectorELNS0_4arch9wavefront6targetE0EEEvT1_
    .private_segment_fixed_size: 0
    .sgpr_count:     0
    .sgpr_spill_count: 0
    .symbol:         _ZN7rocprim17ROCPRIM_400000_NS6detail17trampoline_kernelINS0_14default_configENS1_25partition_config_selectorILNS1_17partition_subalgoE6EfNS0_10empty_typeEbEEZZNS1_14partition_implILS5_6ELb0ES3_mN6thrust23THRUST_200600_302600_NS6detail15normal_iteratorINSA_10device_ptrIfEEEEPS6_SG_NS0_5tupleIJSF_S6_EEENSH_IJSG_SG_EEES6_PlJNSB_9not_fun_tINSB_10functional5actorINSM_9compositeIJNSM_27transparent_binary_operatorINSA_8equal_toIvEEEENSN_INSM_8argumentILj0EEEEENSM_5valueIfEEEEEEEEEEEE10hipError_tPvRmT3_T4_T5_T6_T7_T9_mT8_P12ihipStream_tbDpT10_ENKUlT_T0_E_clISt17integral_constantIbLb1EES1J_IbLb0EEEEDaS1F_S1G_EUlS1F_E_NS1_11comp_targetILNS1_3genE0ELNS1_11target_archE4294967295ELNS1_3gpuE0ELNS1_3repE0EEENS1_30default_config_static_selectorELNS0_4arch9wavefront6targetE0EEEvT1_.kd
    .uniform_work_group_size: 1
    .uses_dynamic_stack: false
    .vgpr_count:     0
    .vgpr_spill_count: 0
    .wavefront_size: 32
    .workgroup_processor_mode: 1
  - .args:
      - .offset:         0
        .size:           120
        .value_kind:     by_value
    .group_segment_fixed_size: 0
    .kernarg_segment_align: 8
    .kernarg_segment_size: 120
    .language:       OpenCL C
    .language_version:
      - 2
      - 0
    .max_flat_workgroup_size: 512
    .name:           _ZN7rocprim17ROCPRIM_400000_NS6detail17trampoline_kernelINS0_14default_configENS1_25partition_config_selectorILNS1_17partition_subalgoE6EfNS0_10empty_typeEbEEZZNS1_14partition_implILS5_6ELb0ES3_mN6thrust23THRUST_200600_302600_NS6detail15normal_iteratorINSA_10device_ptrIfEEEEPS6_SG_NS0_5tupleIJSF_S6_EEENSH_IJSG_SG_EEES6_PlJNSB_9not_fun_tINSB_10functional5actorINSM_9compositeIJNSM_27transparent_binary_operatorINSA_8equal_toIvEEEENSN_INSM_8argumentILj0EEEEENSM_5valueIfEEEEEEEEEEEE10hipError_tPvRmT3_T4_T5_T6_T7_T9_mT8_P12ihipStream_tbDpT10_ENKUlT_T0_E_clISt17integral_constantIbLb1EES1J_IbLb0EEEEDaS1F_S1G_EUlS1F_E_NS1_11comp_targetILNS1_3genE5ELNS1_11target_archE942ELNS1_3gpuE9ELNS1_3repE0EEENS1_30default_config_static_selectorELNS0_4arch9wavefront6targetE0EEEvT1_
    .private_segment_fixed_size: 0
    .sgpr_count:     0
    .sgpr_spill_count: 0
    .symbol:         _ZN7rocprim17ROCPRIM_400000_NS6detail17trampoline_kernelINS0_14default_configENS1_25partition_config_selectorILNS1_17partition_subalgoE6EfNS0_10empty_typeEbEEZZNS1_14partition_implILS5_6ELb0ES3_mN6thrust23THRUST_200600_302600_NS6detail15normal_iteratorINSA_10device_ptrIfEEEEPS6_SG_NS0_5tupleIJSF_S6_EEENSH_IJSG_SG_EEES6_PlJNSB_9not_fun_tINSB_10functional5actorINSM_9compositeIJNSM_27transparent_binary_operatorINSA_8equal_toIvEEEENSN_INSM_8argumentILj0EEEEENSM_5valueIfEEEEEEEEEEEE10hipError_tPvRmT3_T4_T5_T6_T7_T9_mT8_P12ihipStream_tbDpT10_ENKUlT_T0_E_clISt17integral_constantIbLb1EES1J_IbLb0EEEEDaS1F_S1G_EUlS1F_E_NS1_11comp_targetILNS1_3genE5ELNS1_11target_archE942ELNS1_3gpuE9ELNS1_3repE0EEENS1_30default_config_static_selectorELNS0_4arch9wavefront6targetE0EEEvT1_.kd
    .uniform_work_group_size: 1
    .uses_dynamic_stack: false
    .vgpr_count:     0
    .vgpr_spill_count: 0
    .wavefront_size: 32
    .workgroup_processor_mode: 1
  - .args:
      - .offset:         0
        .size:           120
        .value_kind:     by_value
    .group_segment_fixed_size: 0
    .kernarg_segment_align: 8
    .kernarg_segment_size: 120
    .language:       OpenCL C
    .language_version:
      - 2
      - 0
    .max_flat_workgroup_size: 512
    .name:           _ZN7rocprim17ROCPRIM_400000_NS6detail17trampoline_kernelINS0_14default_configENS1_25partition_config_selectorILNS1_17partition_subalgoE6EfNS0_10empty_typeEbEEZZNS1_14partition_implILS5_6ELb0ES3_mN6thrust23THRUST_200600_302600_NS6detail15normal_iteratorINSA_10device_ptrIfEEEEPS6_SG_NS0_5tupleIJSF_S6_EEENSH_IJSG_SG_EEES6_PlJNSB_9not_fun_tINSB_10functional5actorINSM_9compositeIJNSM_27transparent_binary_operatorINSA_8equal_toIvEEEENSN_INSM_8argumentILj0EEEEENSM_5valueIfEEEEEEEEEEEE10hipError_tPvRmT3_T4_T5_T6_T7_T9_mT8_P12ihipStream_tbDpT10_ENKUlT_T0_E_clISt17integral_constantIbLb1EES1J_IbLb0EEEEDaS1F_S1G_EUlS1F_E_NS1_11comp_targetILNS1_3genE4ELNS1_11target_archE910ELNS1_3gpuE8ELNS1_3repE0EEENS1_30default_config_static_selectorELNS0_4arch9wavefront6targetE0EEEvT1_
    .private_segment_fixed_size: 0
    .sgpr_count:     0
    .sgpr_spill_count: 0
    .symbol:         _ZN7rocprim17ROCPRIM_400000_NS6detail17trampoline_kernelINS0_14default_configENS1_25partition_config_selectorILNS1_17partition_subalgoE6EfNS0_10empty_typeEbEEZZNS1_14partition_implILS5_6ELb0ES3_mN6thrust23THRUST_200600_302600_NS6detail15normal_iteratorINSA_10device_ptrIfEEEEPS6_SG_NS0_5tupleIJSF_S6_EEENSH_IJSG_SG_EEES6_PlJNSB_9not_fun_tINSB_10functional5actorINSM_9compositeIJNSM_27transparent_binary_operatorINSA_8equal_toIvEEEENSN_INSM_8argumentILj0EEEEENSM_5valueIfEEEEEEEEEEEE10hipError_tPvRmT3_T4_T5_T6_T7_T9_mT8_P12ihipStream_tbDpT10_ENKUlT_T0_E_clISt17integral_constantIbLb1EES1J_IbLb0EEEEDaS1F_S1G_EUlS1F_E_NS1_11comp_targetILNS1_3genE4ELNS1_11target_archE910ELNS1_3gpuE8ELNS1_3repE0EEENS1_30default_config_static_selectorELNS0_4arch9wavefront6targetE0EEEvT1_.kd
    .uniform_work_group_size: 1
    .uses_dynamic_stack: false
    .vgpr_count:     0
    .vgpr_spill_count: 0
    .wavefront_size: 32
    .workgroup_processor_mode: 1
  - .args:
      - .offset:         0
        .size:           120
        .value_kind:     by_value
    .group_segment_fixed_size: 0
    .kernarg_segment_align: 8
    .kernarg_segment_size: 120
    .language:       OpenCL C
    .language_version:
      - 2
      - 0
    .max_flat_workgroup_size: 256
    .name:           _ZN7rocprim17ROCPRIM_400000_NS6detail17trampoline_kernelINS0_14default_configENS1_25partition_config_selectorILNS1_17partition_subalgoE6EfNS0_10empty_typeEbEEZZNS1_14partition_implILS5_6ELb0ES3_mN6thrust23THRUST_200600_302600_NS6detail15normal_iteratorINSA_10device_ptrIfEEEEPS6_SG_NS0_5tupleIJSF_S6_EEENSH_IJSG_SG_EEES6_PlJNSB_9not_fun_tINSB_10functional5actorINSM_9compositeIJNSM_27transparent_binary_operatorINSA_8equal_toIvEEEENSN_INSM_8argumentILj0EEEEENSM_5valueIfEEEEEEEEEEEE10hipError_tPvRmT3_T4_T5_T6_T7_T9_mT8_P12ihipStream_tbDpT10_ENKUlT_T0_E_clISt17integral_constantIbLb1EES1J_IbLb0EEEEDaS1F_S1G_EUlS1F_E_NS1_11comp_targetILNS1_3genE3ELNS1_11target_archE908ELNS1_3gpuE7ELNS1_3repE0EEENS1_30default_config_static_selectorELNS0_4arch9wavefront6targetE0EEEvT1_
    .private_segment_fixed_size: 0
    .sgpr_count:     0
    .sgpr_spill_count: 0
    .symbol:         _ZN7rocprim17ROCPRIM_400000_NS6detail17trampoline_kernelINS0_14default_configENS1_25partition_config_selectorILNS1_17partition_subalgoE6EfNS0_10empty_typeEbEEZZNS1_14partition_implILS5_6ELb0ES3_mN6thrust23THRUST_200600_302600_NS6detail15normal_iteratorINSA_10device_ptrIfEEEEPS6_SG_NS0_5tupleIJSF_S6_EEENSH_IJSG_SG_EEES6_PlJNSB_9not_fun_tINSB_10functional5actorINSM_9compositeIJNSM_27transparent_binary_operatorINSA_8equal_toIvEEEENSN_INSM_8argumentILj0EEEEENSM_5valueIfEEEEEEEEEEEE10hipError_tPvRmT3_T4_T5_T6_T7_T9_mT8_P12ihipStream_tbDpT10_ENKUlT_T0_E_clISt17integral_constantIbLb1EES1J_IbLb0EEEEDaS1F_S1G_EUlS1F_E_NS1_11comp_targetILNS1_3genE3ELNS1_11target_archE908ELNS1_3gpuE7ELNS1_3repE0EEENS1_30default_config_static_selectorELNS0_4arch9wavefront6targetE0EEEvT1_.kd
    .uniform_work_group_size: 1
    .uses_dynamic_stack: false
    .vgpr_count:     0
    .vgpr_spill_count: 0
    .wavefront_size: 32
    .workgroup_processor_mode: 1
  - .args:
      - .offset:         0
        .size:           120
        .value_kind:     by_value
    .group_segment_fixed_size: 0
    .kernarg_segment_align: 8
    .kernarg_segment_size: 120
    .language:       OpenCL C
    .language_version:
      - 2
      - 0
    .max_flat_workgroup_size: 256
    .name:           _ZN7rocprim17ROCPRIM_400000_NS6detail17trampoline_kernelINS0_14default_configENS1_25partition_config_selectorILNS1_17partition_subalgoE6EfNS0_10empty_typeEbEEZZNS1_14partition_implILS5_6ELb0ES3_mN6thrust23THRUST_200600_302600_NS6detail15normal_iteratorINSA_10device_ptrIfEEEEPS6_SG_NS0_5tupleIJSF_S6_EEENSH_IJSG_SG_EEES6_PlJNSB_9not_fun_tINSB_10functional5actorINSM_9compositeIJNSM_27transparent_binary_operatorINSA_8equal_toIvEEEENSN_INSM_8argumentILj0EEEEENSM_5valueIfEEEEEEEEEEEE10hipError_tPvRmT3_T4_T5_T6_T7_T9_mT8_P12ihipStream_tbDpT10_ENKUlT_T0_E_clISt17integral_constantIbLb1EES1J_IbLb0EEEEDaS1F_S1G_EUlS1F_E_NS1_11comp_targetILNS1_3genE2ELNS1_11target_archE906ELNS1_3gpuE6ELNS1_3repE0EEENS1_30default_config_static_selectorELNS0_4arch9wavefront6targetE0EEEvT1_
    .private_segment_fixed_size: 0
    .sgpr_count:     0
    .sgpr_spill_count: 0
    .symbol:         _ZN7rocprim17ROCPRIM_400000_NS6detail17trampoline_kernelINS0_14default_configENS1_25partition_config_selectorILNS1_17partition_subalgoE6EfNS0_10empty_typeEbEEZZNS1_14partition_implILS5_6ELb0ES3_mN6thrust23THRUST_200600_302600_NS6detail15normal_iteratorINSA_10device_ptrIfEEEEPS6_SG_NS0_5tupleIJSF_S6_EEENSH_IJSG_SG_EEES6_PlJNSB_9not_fun_tINSB_10functional5actorINSM_9compositeIJNSM_27transparent_binary_operatorINSA_8equal_toIvEEEENSN_INSM_8argumentILj0EEEEENSM_5valueIfEEEEEEEEEEEE10hipError_tPvRmT3_T4_T5_T6_T7_T9_mT8_P12ihipStream_tbDpT10_ENKUlT_T0_E_clISt17integral_constantIbLb1EES1J_IbLb0EEEEDaS1F_S1G_EUlS1F_E_NS1_11comp_targetILNS1_3genE2ELNS1_11target_archE906ELNS1_3gpuE6ELNS1_3repE0EEENS1_30default_config_static_selectorELNS0_4arch9wavefront6targetE0EEEvT1_.kd
    .uniform_work_group_size: 1
    .uses_dynamic_stack: false
    .vgpr_count:     0
    .vgpr_spill_count: 0
    .wavefront_size: 32
    .workgroup_processor_mode: 1
  - .args:
      - .offset:         0
        .size:           120
        .value_kind:     by_value
    .group_segment_fixed_size: 0
    .kernarg_segment_align: 8
    .kernarg_segment_size: 120
    .language:       OpenCL C
    .language_version:
      - 2
      - 0
    .max_flat_workgroup_size: 384
    .name:           _ZN7rocprim17ROCPRIM_400000_NS6detail17trampoline_kernelINS0_14default_configENS1_25partition_config_selectorILNS1_17partition_subalgoE6EfNS0_10empty_typeEbEEZZNS1_14partition_implILS5_6ELb0ES3_mN6thrust23THRUST_200600_302600_NS6detail15normal_iteratorINSA_10device_ptrIfEEEEPS6_SG_NS0_5tupleIJSF_S6_EEENSH_IJSG_SG_EEES6_PlJNSB_9not_fun_tINSB_10functional5actorINSM_9compositeIJNSM_27transparent_binary_operatorINSA_8equal_toIvEEEENSN_INSM_8argumentILj0EEEEENSM_5valueIfEEEEEEEEEEEE10hipError_tPvRmT3_T4_T5_T6_T7_T9_mT8_P12ihipStream_tbDpT10_ENKUlT_T0_E_clISt17integral_constantIbLb1EES1J_IbLb0EEEEDaS1F_S1G_EUlS1F_E_NS1_11comp_targetILNS1_3genE10ELNS1_11target_archE1200ELNS1_3gpuE4ELNS1_3repE0EEENS1_30default_config_static_selectorELNS0_4arch9wavefront6targetE0EEEvT1_
    .private_segment_fixed_size: 0
    .sgpr_count:     0
    .sgpr_spill_count: 0
    .symbol:         _ZN7rocprim17ROCPRIM_400000_NS6detail17trampoline_kernelINS0_14default_configENS1_25partition_config_selectorILNS1_17partition_subalgoE6EfNS0_10empty_typeEbEEZZNS1_14partition_implILS5_6ELb0ES3_mN6thrust23THRUST_200600_302600_NS6detail15normal_iteratorINSA_10device_ptrIfEEEEPS6_SG_NS0_5tupleIJSF_S6_EEENSH_IJSG_SG_EEES6_PlJNSB_9not_fun_tINSB_10functional5actorINSM_9compositeIJNSM_27transparent_binary_operatorINSA_8equal_toIvEEEENSN_INSM_8argumentILj0EEEEENSM_5valueIfEEEEEEEEEEEE10hipError_tPvRmT3_T4_T5_T6_T7_T9_mT8_P12ihipStream_tbDpT10_ENKUlT_T0_E_clISt17integral_constantIbLb1EES1J_IbLb0EEEEDaS1F_S1G_EUlS1F_E_NS1_11comp_targetILNS1_3genE10ELNS1_11target_archE1200ELNS1_3gpuE4ELNS1_3repE0EEENS1_30default_config_static_selectorELNS0_4arch9wavefront6targetE0EEEvT1_.kd
    .uniform_work_group_size: 1
    .uses_dynamic_stack: false
    .vgpr_count:     0
    .vgpr_spill_count: 0
    .wavefront_size: 32
    .workgroup_processor_mode: 1
  - .args:
      - .offset:         0
        .size:           120
        .value_kind:     by_value
    .group_segment_fixed_size: 0
    .kernarg_segment_align: 8
    .kernarg_segment_size: 120
    .language:       OpenCL C
    .language_version:
      - 2
      - 0
    .max_flat_workgroup_size: 128
    .name:           _ZN7rocprim17ROCPRIM_400000_NS6detail17trampoline_kernelINS0_14default_configENS1_25partition_config_selectorILNS1_17partition_subalgoE6EfNS0_10empty_typeEbEEZZNS1_14partition_implILS5_6ELb0ES3_mN6thrust23THRUST_200600_302600_NS6detail15normal_iteratorINSA_10device_ptrIfEEEEPS6_SG_NS0_5tupleIJSF_S6_EEENSH_IJSG_SG_EEES6_PlJNSB_9not_fun_tINSB_10functional5actorINSM_9compositeIJNSM_27transparent_binary_operatorINSA_8equal_toIvEEEENSN_INSM_8argumentILj0EEEEENSM_5valueIfEEEEEEEEEEEE10hipError_tPvRmT3_T4_T5_T6_T7_T9_mT8_P12ihipStream_tbDpT10_ENKUlT_T0_E_clISt17integral_constantIbLb1EES1J_IbLb0EEEEDaS1F_S1G_EUlS1F_E_NS1_11comp_targetILNS1_3genE9ELNS1_11target_archE1100ELNS1_3gpuE3ELNS1_3repE0EEENS1_30default_config_static_selectorELNS0_4arch9wavefront6targetE0EEEvT1_
    .private_segment_fixed_size: 0
    .sgpr_count:     0
    .sgpr_spill_count: 0
    .symbol:         _ZN7rocprim17ROCPRIM_400000_NS6detail17trampoline_kernelINS0_14default_configENS1_25partition_config_selectorILNS1_17partition_subalgoE6EfNS0_10empty_typeEbEEZZNS1_14partition_implILS5_6ELb0ES3_mN6thrust23THRUST_200600_302600_NS6detail15normal_iteratorINSA_10device_ptrIfEEEEPS6_SG_NS0_5tupleIJSF_S6_EEENSH_IJSG_SG_EEES6_PlJNSB_9not_fun_tINSB_10functional5actorINSM_9compositeIJNSM_27transparent_binary_operatorINSA_8equal_toIvEEEENSN_INSM_8argumentILj0EEEEENSM_5valueIfEEEEEEEEEEEE10hipError_tPvRmT3_T4_T5_T6_T7_T9_mT8_P12ihipStream_tbDpT10_ENKUlT_T0_E_clISt17integral_constantIbLb1EES1J_IbLb0EEEEDaS1F_S1G_EUlS1F_E_NS1_11comp_targetILNS1_3genE9ELNS1_11target_archE1100ELNS1_3gpuE3ELNS1_3repE0EEENS1_30default_config_static_selectorELNS0_4arch9wavefront6targetE0EEEvT1_.kd
    .uniform_work_group_size: 1
    .uses_dynamic_stack: false
    .vgpr_count:     0
    .vgpr_spill_count: 0
    .wavefront_size: 32
    .workgroup_processor_mode: 1
  - .args:
      - .offset:         0
        .size:           120
        .value_kind:     by_value
    .group_segment_fixed_size: 0
    .kernarg_segment_align: 8
    .kernarg_segment_size: 120
    .language:       OpenCL C
    .language_version:
      - 2
      - 0
    .max_flat_workgroup_size: 512
    .name:           _ZN7rocprim17ROCPRIM_400000_NS6detail17trampoline_kernelINS0_14default_configENS1_25partition_config_selectorILNS1_17partition_subalgoE6EfNS0_10empty_typeEbEEZZNS1_14partition_implILS5_6ELb0ES3_mN6thrust23THRUST_200600_302600_NS6detail15normal_iteratorINSA_10device_ptrIfEEEEPS6_SG_NS0_5tupleIJSF_S6_EEENSH_IJSG_SG_EEES6_PlJNSB_9not_fun_tINSB_10functional5actorINSM_9compositeIJNSM_27transparent_binary_operatorINSA_8equal_toIvEEEENSN_INSM_8argumentILj0EEEEENSM_5valueIfEEEEEEEEEEEE10hipError_tPvRmT3_T4_T5_T6_T7_T9_mT8_P12ihipStream_tbDpT10_ENKUlT_T0_E_clISt17integral_constantIbLb1EES1J_IbLb0EEEEDaS1F_S1G_EUlS1F_E_NS1_11comp_targetILNS1_3genE8ELNS1_11target_archE1030ELNS1_3gpuE2ELNS1_3repE0EEENS1_30default_config_static_selectorELNS0_4arch9wavefront6targetE0EEEvT1_
    .private_segment_fixed_size: 0
    .sgpr_count:     0
    .sgpr_spill_count: 0
    .symbol:         _ZN7rocprim17ROCPRIM_400000_NS6detail17trampoline_kernelINS0_14default_configENS1_25partition_config_selectorILNS1_17partition_subalgoE6EfNS0_10empty_typeEbEEZZNS1_14partition_implILS5_6ELb0ES3_mN6thrust23THRUST_200600_302600_NS6detail15normal_iteratorINSA_10device_ptrIfEEEEPS6_SG_NS0_5tupleIJSF_S6_EEENSH_IJSG_SG_EEES6_PlJNSB_9not_fun_tINSB_10functional5actorINSM_9compositeIJNSM_27transparent_binary_operatorINSA_8equal_toIvEEEENSN_INSM_8argumentILj0EEEEENSM_5valueIfEEEEEEEEEEEE10hipError_tPvRmT3_T4_T5_T6_T7_T9_mT8_P12ihipStream_tbDpT10_ENKUlT_T0_E_clISt17integral_constantIbLb1EES1J_IbLb0EEEEDaS1F_S1G_EUlS1F_E_NS1_11comp_targetILNS1_3genE8ELNS1_11target_archE1030ELNS1_3gpuE2ELNS1_3repE0EEENS1_30default_config_static_selectorELNS0_4arch9wavefront6targetE0EEEvT1_.kd
    .uniform_work_group_size: 1
    .uses_dynamic_stack: false
    .vgpr_count:     0
    .vgpr_spill_count: 0
    .wavefront_size: 32
    .workgroup_processor_mode: 1
  - .args:
      - .offset:         0
        .size:           128
        .value_kind:     by_value
    .group_segment_fixed_size: 0
    .kernarg_segment_align: 8
    .kernarg_segment_size: 128
    .language:       OpenCL C
    .language_version:
      - 2
      - 0
    .max_flat_workgroup_size: 256
    .name:           _ZN7rocprim17ROCPRIM_400000_NS6detail17trampoline_kernelINS0_14default_configENS1_25partition_config_selectorILNS1_17partition_subalgoE6EfNS0_10empty_typeEbEEZZNS1_14partition_implILS5_6ELb0ES3_mN6thrust23THRUST_200600_302600_NS6detail15normal_iteratorINSA_10device_ptrIfEEEEPS6_SG_NS0_5tupleIJSF_S6_EEENSH_IJSG_SG_EEES6_PlJNSB_9not_fun_tINSB_10functional5actorINSM_9compositeIJNSM_27transparent_binary_operatorINSA_8equal_toIvEEEENSN_INSM_8argumentILj0EEEEENSM_5valueIfEEEEEEEEEEEE10hipError_tPvRmT3_T4_T5_T6_T7_T9_mT8_P12ihipStream_tbDpT10_ENKUlT_T0_E_clISt17integral_constantIbLb0EES1J_IbLb1EEEEDaS1F_S1G_EUlS1F_E_NS1_11comp_targetILNS1_3genE0ELNS1_11target_archE4294967295ELNS1_3gpuE0ELNS1_3repE0EEENS1_30default_config_static_selectorELNS0_4arch9wavefront6targetE0EEEvT1_
    .private_segment_fixed_size: 0
    .sgpr_count:     0
    .sgpr_spill_count: 0
    .symbol:         _ZN7rocprim17ROCPRIM_400000_NS6detail17trampoline_kernelINS0_14default_configENS1_25partition_config_selectorILNS1_17partition_subalgoE6EfNS0_10empty_typeEbEEZZNS1_14partition_implILS5_6ELb0ES3_mN6thrust23THRUST_200600_302600_NS6detail15normal_iteratorINSA_10device_ptrIfEEEEPS6_SG_NS0_5tupleIJSF_S6_EEENSH_IJSG_SG_EEES6_PlJNSB_9not_fun_tINSB_10functional5actorINSM_9compositeIJNSM_27transparent_binary_operatorINSA_8equal_toIvEEEENSN_INSM_8argumentILj0EEEEENSM_5valueIfEEEEEEEEEEEE10hipError_tPvRmT3_T4_T5_T6_T7_T9_mT8_P12ihipStream_tbDpT10_ENKUlT_T0_E_clISt17integral_constantIbLb0EES1J_IbLb1EEEEDaS1F_S1G_EUlS1F_E_NS1_11comp_targetILNS1_3genE0ELNS1_11target_archE4294967295ELNS1_3gpuE0ELNS1_3repE0EEENS1_30default_config_static_selectorELNS0_4arch9wavefront6targetE0EEEvT1_.kd
    .uniform_work_group_size: 1
    .uses_dynamic_stack: false
    .vgpr_count:     0
    .vgpr_spill_count: 0
    .wavefront_size: 32
    .workgroup_processor_mode: 1
  - .args:
      - .offset:         0
        .size:           128
        .value_kind:     by_value
    .group_segment_fixed_size: 0
    .kernarg_segment_align: 8
    .kernarg_segment_size: 128
    .language:       OpenCL C
    .language_version:
      - 2
      - 0
    .max_flat_workgroup_size: 512
    .name:           _ZN7rocprim17ROCPRIM_400000_NS6detail17trampoline_kernelINS0_14default_configENS1_25partition_config_selectorILNS1_17partition_subalgoE6EfNS0_10empty_typeEbEEZZNS1_14partition_implILS5_6ELb0ES3_mN6thrust23THRUST_200600_302600_NS6detail15normal_iteratorINSA_10device_ptrIfEEEEPS6_SG_NS0_5tupleIJSF_S6_EEENSH_IJSG_SG_EEES6_PlJNSB_9not_fun_tINSB_10functional5actorINSM_9compositeIJNSM_27transparent_binary_operatorINSA_8equal_toIvEEEENSN_INSM_8argumentILj0EEEEENSM_5valueIfEEEEEEEEEEEE10hipError_tPvRmT3_T4_T5_T6_T7_T9_mT8_P12ihipStream_tbDpT10_ENKUlT_T0_E_clISt17integral_constantIbLb0EES1J_IbLb1EEEEDaS1F_S1G_EUlS1F_E_NS1_11comp_targetILNS1_3genE5ELNS1_11target_archE942ELNS1_3gpuE9ELNS1_3repE0EEENS1_30default_config_static_selectorELNS0_4arch9wavefront6targetE0EEEvT1_
    .private_segment_fixed_size: 0
    .sgpr_count:     0
    .sgpr_spill_count: 0
    .symbol:         _ZN7rocprim17ROCPRIM_400000_NS6detail17trampoline_kernelINS0_14default_configENS1_25partition_config_selectorILNS1_17partition_subalgoE6EfNS0_10empty_typeEbEEZZNS1_14partition_implILS5_6ELb0ES3_mN6thrust23THRUST_200600_302600_NS6detail15normal_iteratorINSA_10device_ptrIfEEEEPS6_SG_NS0_5tupleIJSF_S6_EEENSH_IJSG_SG_EEES6_PlJNSB_9not_fun_tINSB_10functional5actorINSM_9compositeIJNSM_27transparent_binary_operatorINSA_8equal_toIvEEEENSN_INSM_8argumentILj0EEEEENSM_5valueIfEEEEEEEEEEEE10hipError_tPvRmT3_T4_T5_T6_T7_T9_mT8_P12ihipStream_tbDpT10_ENKUlT_T0_E_clISt17integral_constantIbLb0EES1J_IbLb1EEEEDaS1F_S1G_EUlS1F_E_NS1_11comp_targetILNS1_3genE5ELNS1_11target_archE942ELNS1_3gpuE9ELNS1_3repE0EEENS1_30default_config_static_selectorELNS0_4arch9wavefront6targetE0EEEvT1_.kd
    .uniform_work_group_size: 1
    .uses_dynamic_stack: false
    .vgpr_count:     0
    .vgpr_spill_count: 0
    .wavefront_size: 32
    .workgroup_processor_mode: 1
  - .args:
      - .offset:         0
        .size:           128
        .value_kind:     by_value
    .group_segment_fixed_size: 0
    .kernarg_segment_align: 8
    .kernarg_segment_size: 128
    .language:       OpenCL C
    .language_version:
      - 2
      - 0
    .max_flat_workgroup_size: 512
    .name:           _ZN7rocprim17ROCPRIM_400000_NS6detail17trampoline_kernelINS0_14default_configENS1_25partition_config_selectorILNS1_17partition_subalgoE6EfNS0_10empty_typeEbEEZZNS1_14partition_implILS5_6ELb0ES3_mN6thrust23THRUST_200600_302600_NS6detail15normal_iteratorINSA_10device_ptrIfEEEEPS6_SG_NS0_5tupleIJSF_S6_EEENSH_IJSG_SG_EEES6_PlJNSB_9not_fun_tINSB_10functional5actorINSM_9compositeIJNSM_27transparent_binary_operatorINSA_8equal_toIvEEEENSN_INSM_8argumentILj0EEEEENSM_5valueIfEEEEEEEEEEEE10hipError_tPvRmT3_T4_T5_T6_T7_T9_mT8_P12ihipStream_tbDpT10_ENKUlT_T0_E_clISt17integral_constantIbLb0EES1J_IbLb1EEEEDaS1F_S1G_EUlS1F_E_NS1_11comp_targetILNS1_3genE4ELNS1_11target_archE910ELNS1_3gpuE8ELNS1_3repE0EEENS1_30default_config_static_selectorELNS0_4arch9wavefront6targetE0EEEvT1_
    .private_segment_fixed_size: 0
    .sgpr_count:     0
    .sgpr_spill_count: 0
    .symbol:         _ZN7rocprim17ROCPRIM_400000_NS6detail17trampoline_kernelINS0_14default_configENS1_25partition_config_selectorILNS1_17partition_subalgoE6EfNS0_10empty_typeEbEEZZNS1_14partition_implILS5_6ELb0ES3_mN6thrust23THRUST_200600_302600_NS6detail15normal_iteratorINSA_10device_ptrIfEEEEPS6_SG_NS0_5tupleIJSF_S6_EEENSH_IJSG_SG_EEES6_PlJNSB_9not_fun_tINSB_10functional5actorINSM_9compositeIJNSM_27transparent_binary_operatorINSA_8equal_toIvEEEENSN_INSM_8argumentILj0EEEEENSM_5valueIfEEEEEEEEEEEE10hipError_tPvRmT3_T4_T5_T6_T7_T9_mT8_P12ihipStream_tbDpT10_ENKUlT_T0_E_clISt17integral_constantIbLb0EES1J_IbLb1EEEEDaS1F_S1G_EUlS1F_E_NS1_11comp_targetILNS1_3genE4ELNS1_11target_archE910ELNS1_3gpuE8ELNS1_3repE0EEENS1_30default_config_static_selectorELNS0_4arch9wavefront6targetE0EEEvT1_.kd
    .uniform_work_group_size: 1
    .uses_dynamic_stack: false
    .vgpr_count:     0
    .vgpr_spill_count: 0
    .wavefront_size: 32
    .workgroup_processor_mode: 1
  - .args:
      - .offset:         0
        .size:           128
        .value_kind:     by_value
    .group_segment_fixed_size: 0
    .kernarg_segment_align: 8
    .kernarg_segment_size: 128
    .language:       OpenCL C
    .language_version:
      - 2
      - 0
    .max_flat_workgroup_size: 256
    .name:           _ZN7rocprim17ROCPRIM_400000_NS6detail17trampoline_kernelINS0_14default_configENS1_25partition_config_selectorILNS1_17partition_subalgoE6EfNS0_10empty_typeEbEEZZNS1_14partition_implILS5_6ELb0ES3_mN6thrust23THRUST_200600_302600_NS6detail15normal_iteratorINSA_10device_ptrIfEEEEPS6_SG_NS0_5tupleIJSF_S6_EEENSH_IJSG_SG_EEES6_PlJNSB_9not_fun_tINSB_10functional5actorINSM_9compositeIJNSM_27transparent_binary_operatorINSA_8equal_toIvEEEENSN_INSM_8argumentILj0EEEEENSM_5valueIfEEEEEEEEEEEE10hipError_tPvRmT3_T4_T5_T6_T7_T9_mT8_P12ihipStream_tbDpT10_ENKUlT_T0_E_clISt17integral_constantIbLb0EES1J_IbLb1EEEEDaS1F_S1G_EUlS1F_E_NS1_11comp_targetILNS1_3genE3ELNS1_11target_archE908ELNS1_3gpuE7ELNS1_3repE0EEENS1_30default_config_static_selectorELNS0_4arch9wavefront6targetE0EEEvT1_
    .private_segment_fixed_size: 0
    .sgpr_count:     0
    .sgpr_spill_count: 0
    .symbol:         _ZN7rocprim17ROCPRIM_400000_NS6detail17trampoline_kernelINS0_14default_configENS1_25partition_config_selectorILNS1_17partition_subalgoE6EfNS0_10empty_typeEbEEZZNS1_14partition_implILS5_6ELb0ES3_mN6thrust23THRUST_200600_302600_NS6detail15normal_iteratorINSA_10device_ptrIfEEEEPS6_SG_NS0_5tupleIJSF_S6_EEENSH_IJSG_SG_EEES6_PlJNSB_9not_fun_tINSB_10functional5actorINSM_9compositeIJNSM_27transparent_binary_operatorINSA_8equal_toIvEEEENSN_INSM_8argumentILj0EEEEENSM_5valueIfEEEEEEEEEEEE10hipError_tPvRmT3_T4_T5_T6_T7_T9_mT8_P12ihipStream_tbDpT10_ENKUlT_T0_E_clISt17integral_constantIbLb0EES1J_IbLb1EEEEDaS1F_S1G_EUlS1F_E_NS1_11comp_targetILNS1_3genE3ELNS1_11target_archE908ELNS1_3gpuE7ELNS1_3repE0EEENS1_30default_config_static_selectorELNS0_4arch9wavefront6targetE0EEEvT1_.kd
    .uniform_work_group_size: 1
    .uses_dynamic_stack: false
    .vgpr_count:     0
    .vgpr_spill_count: 0
    .wavefront_size: 32
    .workgroup_processor_mode: 1
  - .args:
      - .offset:         0
        .size:           128
        .value_kind:     by_value
    .group_segment_fixed_size: 0
    .kernarg_segment_align: 8
    .kernarg_segment_size: 128
    .language:       OpenCL C
    .language_version:
      - 2
      - 0
    .max_flat_workgroup_size: 256
    .name:           _ZN7rocprim17ROCPRIM_400000_NS6detail17trampoline_kernelINS0_14default_configENS1_25partition_config_selectorILNS1_17partition_subalgoE6EfNS0_10empty_typeEbEEZZNS1_14partition_implILS5_6ELb0ES3_mN6thrust23THRUST_200600_302600_NS6detail15normal_iteratorINSA_10device_ptrIfEEEEPS6_SG_NS0_5tupleIJSF_S6_EEENSH_IJSG_SG_EEES6_PlJNSB_9not_fun_tINSB_10functional5actorINSM_9compositeIJNSM_27transparent_binary_operatorINSA_8equal_toIvEEEENSN_INSM_8argumentILj0EEEEENSM_5valueIfEEEEEEEEEEEE10hipError_tPvRmT3_T4_T5_T6_T7_T9_mT8_P12ihipStream_tbDpT10_ENKUlT_T0_E_clISt17integral_constantIbLb0EES1J_IbLb1EEEEDaS1F_S1G_EUlS1F_E_NS1_11comp_targetILNS1_3genE2ELNS1_11target_archE906ELNS1_3gpuE6ELNS1_3repE0EEENS1_30default_config_static_selectorELNS0_4arch9wavefront6targetE0EEEvT1_
    .private_segment_fixed_size: 0
    .sgpr_count:     0
    .sgpr_spill_count: 0
    .symbol:         _ZN7rocprim17ROCPRIM_400000_NS6detail17trampoline_kernelINS0_14default_configENS1_25partition_config_selectorILNS1_17partition_subalgoE6EfNS0_10empty_typeEbEEZZNS1_14partition_implILS5_6ELb0ES3_mN6thrust23THRUST_200600_302600_NS6detail15normal_iteratorINSA_10device_ptrIfEEEEPS6_SG_NS0_5tupleIJSF_S6_EEENSH_IJSG_SG_EEES6_PlJNSB_9not_fun_tINSB_10functional5actorINSM_9compositeIJNSM_27transparent_binary_operatorINSA_8equal_toIvEEEENSN_INSM_8argumentILj0EEEEENSM_5valueIfEEEEEEEEEEEE10hipError_tPvRmT3_T4_T5_T6_T7_T9_mT8_P12ihipStream_tbDpT10_ENKUlT_T0_E_clISt17integral_constantIbLb0EES1J_IbLb1EEEEDaS1F_S1G_EUlS1F_E_NS1_11comp_targetILNS1_3genE2ELNS1_11target_archE906ELNS1_3gpuE6ELNS1_3repE0EEENS1_30default_config_static_selectorELNS0_4arch9wavefront6targetE0EEEvT1_.kd
    .uniform_work_group_size: 1
    .uses_dynamic_stack: false
    .vgpr_count:     0
    .vgpr_spill_count: 0
    .wavefront_size: 32
    .workgroup_processor_mode: 1
  - .args:
      - .offset:         0
        .size:           128
        .value_kind:     by_value
    .group_segment_fixed_size: 10768
    .kernarg_segment_align: 8
    .kernarg_segment_size: 128
    .language:       OpenCL C
    .language_version:
      - 2
      - 0
    .max_flat_workgroup_size: 384
    .name:           _ZN7rocprim17ROCPRIM_400000_NS6detail17trampoline_kernelINS0_14default_configENS1_25partition_config_selectorILNS1_17partition_subalgoE6EfNS0_10empty_typeEbEEZZNS1_14partition_implILS5_6ELb0ES3_mN6thrust23THRUST_200600_302600_NS6detail15normal_iteratorINSA_10device_ptrIfEEEEPS6_SG_NS0_5tupleIJSF_S6_EEENSH_IJSG_SG_EEES6_PlJNSB_9not_fun_tINSB_10functional5actorINSM_9compositeIJNSM_27transparent_binary_operatorINSA_8equal_toIvEEEENSN_INSM_8argumentILj0EEEEENSM_5valueIfEEEEEEEEEEEE10hipError_tPvRmT3_T4_T5_T6_T7_T9_mT8_P12ihipStream_tbDpT10_ENKUlT_T0_E_clISt17integral_constantIbLb0EES1J_IbLb1EEEEDaS1F_S1G_EUlS1F_E_NS1_11comp_targetILNS1_3genE10ELNS1_11target_archE1200ELNS1_3gpuE4ELNS1_3repE0EEENS1_30default_config_static_selectorELNS0_4arch9wavefront6targetE0EEEvT1_
    .private_segment_fixed_size: 0
    .sgpr_count:     23
    .sgpr_spill_count: 0
    .symbol:         _ZN7rocprim17ROCPRIM_400000_NS6detail17trampoline_kernelINS0_14default_configENS1_25partition_config_selectorILNS1_17partition_subalgoE6EfNS0_10empty_typeEbEEZZNS1_14partition_implILS5_6ELb0ES3_mN6thrust23THRUST_200600_302600_NS6detail15normal_iteratorINSA_10device_ptrIfEEEEPS6_SG_NS0_5tupleIJSF_S6_EEENSH_IJSG_SG_EEES6_PlJNSB_9not_fun_tINSB_10functional5actorINSM_9compositeIJNSM_27transparent_binary_operatorINSA_8equal_toIvEEEENSN_INSM_8argumentILj0EEEEENSM_5valueIfEEEEEEEEEEEE10hipError_tPvRmT3_T4_T5_T6_T7_T9_mT8_P12ihipStream_tbDpT10_ENKUlT_T0_E_clISt17integral_constantIbLb0EES1J_IbLb1EEEEDaS1F_S1G_EUlS1F_E_NS1_11comp_targetILNS1_3genE10ELNS1_11target_archE1200ELNS1_3gpuE4ELNS1_3repE0EEENS1_30default_config_static_selectorELNS0_4arch9wavefront6targetE0EEEvT1_.kd
    .uniform_work_group_size: 1
    .uses_dynamic_stack: false
    .vgpr_count:     51
    .vgpr_spill_count: 0
    .wavefront_size: 32
    .workgroup_processor_mode: 1
  - .args:
      - .offset:         0
        .size:           128
        .value_kind:     by_value
    .group_segment_fixed_size: 0
    .kernarg_segment_align: 8
    .kernarg_segment_size: 128
    .language:       OpenCL C
    .language_version:
      - 2
      - 0
    .max_flat_workgroup_size: 128
    .name:           _ZN7rocprim17ROCPRIM_400000_NS6detail17trampoline_kernelINS0_14default_configENS1_25partition_config_selectorILNS1_17partition_subalgoE6EfNS0_10empty_typeEbEEZZNS1_14partition_implILS5_6ELb0ES3_mN6thrust23THRUST_200600_302600_NS6detail15normal_iteratorINSA_10device_ptrIfEEEEPS6_SG_NS0_5tupleIJSF_S6_EEENSH_IJSG_SG_EEES6_PlJNSB_9not_fun_tINSB_10functional5actorINSM_9compositeIJNSM_27transparent_binary_operatorINSA_8equal_toIvEEEENSN_INSM_8argumentILj0EEEEENSM_5valueIfEEEEEEEEEEEE10hipError_tPvRmT3_T4_T5_T6_T7_T9_mT8_P12ihipStream_tbDpT10_ENKUlT_T0_E_clISt17integral_constantIbLb0EES1J_IbLb1EEEEDaS1F_S1G_EUlS1F_E_NS1_11comp_targetILNS1_3genE9ELNS1_11target_archE1100ELNS1_3gpuE3ELNS1_3repE0EEENS1_30default_config_static_selectorELNS0_4arch9wavefront6targetE0EEEvT1_
    .private_segment_fixed_size: 0
    .sgpr_count:     0
    .sgpr_spill_count: 0
    .symbol:         _ZN7rocprim17ROCPRIM_400000_NS6detail17trampoline_kernelINS0_14default_configENS1_25partition_config_selectorILNS1_17partition_subalgoE6EfNS0_10empty_typeEbEEZZNS1_14partition_implILS5_6ELb0ES3_mN6thrust23THRUST_200600_302600_NS6detail15normal_iteratorINSA_10device_ptrIfEEEEPS6_SG_NS0_5tupleIJSF_S6_EEENSH_IJSG_SG_EEES6_PlJNSB_9not_fun_tINSB_10functional5actorINSM_9compositeIJNSM_27transparent_binary_operatorINSA_8equal_toIvEEEENSN_INSM_8argumentILj0EEEEENSM_5valueIfEEEEEEEEEEEE10hipError_tPvRmT3_T4_T5_T6_T7_T9_mT8_P12ihipStream_tbDpT10_ENKUlT_T0_E_clISt17integral_constantIbLb0EES1J_IbLb1EEEEDaS1F_S1G_EUlS1F_E_NS1_11comp_targetILNS1_3genE9ELNS1_11target_archE1100ELNS1_3gpuE3ELNS1_3repE0EEENS1_30default_config_static_selectorELNS0_4arch9wavefront6targetE0EEEvT1_.kd
    .uniform_work_group_size: 1
    .uses_dynamic_stack: false
    .vgpr_count:     0
    .vgpr_spill_count: 0
    .wavefront_size: 32
    .workgroup_processor_mode: 1
  - .args:
      - .offset:         0
        .size:           128
        .value_kind:     by_value
    .group_segment_fixed_size: 0
    .kernarg_segment_align: 8
    .kernarg_segment_size: 128
    .language:       OpenCL C
    .language_version:
      - 2
      - 0
    .max_flat_workgroup_size: 512
    .name:           _ZN7rocprim17ROCPRIM_400000_NS6detail17trampoline_kernelINS0_14default_configENS1_25partition_config_selectorILNS1_17partition_subalgoE6EfNS0_10empty_typeEbEEZZNS1_14partition_implILS5_6ELb0ES3_mN6thrust23THRUST_200600_302600_NS6detail15normal_iteratorINSA_10device_ptrIfEEEEPS6_SG_NS0_5tupleIJSF_S6_EEENSH_IJSG_SG_EEES6_PlJNSB_9not_fun_tINSB_10functional5actorINSM_9compositeIJNSM_27transparent_binary_operatorINSA_8equal_toIvEEEENSN_INSM_8argumentILj0EEEEENSM_5valueIfEEEEEEEEEEEE10hipError_tPvRmT3_T4_T5_T6_T7_T9_mT8_P12ihipStream_tbDpT10_ENKUlT_T0_E_clISt17integral_constantIbLb0EES1J_IbLb1EEEEDaS1F_S1G_EUlS1F_E_NS1_11comp_targetILNS1_3genE8ELNS1_11target_archE1030ELNS1_3gpuE2ELNS1_3repE0EEENS1_30default_config_static_selectorELNS0_4arch9wavefront6targetE0EEEvT1_
    .private_segment_fixed_size: 0
    .sgpr_count:     0
    .sgpr_spill_count: 0
    .symbol:         _ZN7rocprim17ROCPRIM_400000_NS6detail17trampoline_kernelINS0_14default_configENS1_25partition_config_selectorILNS1_17partition_subalgoE6EfNS0_10empty_typeEbEEZZNS1_14partition_implILS5_6ELb0ES3_mN6thrust23THRUST_200600_302600_NS6detail15normal_iteratorINSA_10device_ptrIfEEEEPS6_SG_NS0_5tupleIJSF_S6_EEENSH_IJSG_SG_EEES6_PlJNSB_9not_fun_tINSB_10functional5actorINSM_9compositeIJNSM_27transparent_binary_operatorINSA_8equal_toIvEEEENSN_INSM_8argumentILj0EEEEENSM_5valueIfEEEEEEEEEEEE10hipError_tPvRmT3_T4_T5_T6_T7_T9_mT8_P12ihipStream_tbDpT10_ENKUlT_T0_E_clISt17integral_constantIbLb0EES1J_IbLb1EEEEDaS1F_S1G_EUlS1F_E_NS1_11comp_targetILNS1_3genE8ELNS1_11target_archE1030ELNS1_3gpuE2ELNS1_3repE0EEENS1_30default_config_static_selectorELNS0_4arch9wavefront6targetE0EEEvT1_.kd
    .uniform_work_group_size: 1
    .uses_dynamic_stack: false
    .vgpr_count:     0
    .vgpr_spill_count: 0
    .wavefront_size: 32
    .workgroup_processor_mode: 1
  - .args:
      - .offset:         0
        .size:           16
        .value_kind:     by_value
      - .offset:         16
        .size:           8
        .value_kind:     by_value
      - .offset:         24
        .size:           8
        .value_kind:     by_value
    .group_segment_fixed_size: 0
    .kernarg_segment_align: 8
    .kernarg_segment_size: 32
    .language:       OpenCL C
    .language_version:
      - 2
      - 0
    .max_flat_workgroup_size: 256
    .name:           _ZN6thrust23THRUST_200600_302600_NS11hip_rocprim14__parallel_for6kernelILj256ENS1_20__uninitialized_fill7functorINS0_10device_ptrIyEEyEEmLj1EEEvT0_T1_SA_
    .private_segment_fixed_size: 0
    .sgpr_count:     12
    .sgpr_spill_count: 0
    .symbol:         _ZN6thrust23THRUST_200600_302600_NS11hip_rocprim14__parallel_for6kernelILj256ENS1_20__uninitialized_fill7functorINS0_10device_ptrIyEEyEEmLj1EEEvT0_T1_SA_.kd
    .uniform_work_group_size: 1
    .uses_dynamic_stack: false
    .vgpr_count:     5
    .vgpr_spill_count: 0
    .wavefront_size: 32
    .workgroup_processor_mode: 1
  - .args:
      - .offset:         0
        .size:           128
        .value_kind:     by_value
    .group_segment_fixed_size: 0
    .kernarg_segment_align: 8
    .kernarg_segment_size: 128
    .language:       OpenCL C
    .language_version:
      - 2
      - 0
    .max_flat_workgroup_size: 128
    .name:           _ZN7rocprim17ROCPRIM_400000_NS6detail17trampoline_kernelINS0_14default_configENS1_25partition_config_selectorILNS1_17partition_subalgoE6EyNS0_10empty_typeEbEEZZNS1_14partition_implILS5_6ELb0ES3_mN6thrust23THRUST_200600_302600_NS6detail15normal_iteratorINSA_10device_ptrIyEEEEPS6_SG_NS0_5tupleIJSF_S6_EEENSH_IJSG_SG_EEES6_PlJNSB_9not_fun_tINSB_10functional5actorINSM_9compositeIJNSM_27transparent_binary_operatorINSA_8equal_toIvEEEENSN_INSM_8argumentILj0EEEEENSM_5valueIyEEEEEEEEEEEE10hipError_tPvRmT3_T4_T5_T6_T7_T9_mT8_P12ihipStream_tbDpT10_ENKUlT_T0_E_clISt17integral_constantIbLb0EES1K_EEDaS1F_S1G_EUlS1F_E_NS1_11comp_targetILNS1_3genE0ELNS1_11target_archE4294967295ELNS1_3gpuE0ELNS1_3repE0EEENS1_30default_config_static_selectorELNS0_4arch9wavefront6targetE0EEEvT1_
    .private_segment_fixed_size: 0
    .sgpr_count:     0
    .sgpr_spill_count: 0
    .symbol:         _ZN7rocprim17ROCPRIM_400000_NS6detail17trampoline_kernelINS0_14default_configENS1_25partition_config_selectorILNS1_17partition_subalgoE6EyNS0_10empty_typeEbEEZZNS1_14partition_implILS5_6ELb0ES3_mN6thrust23THRUST_200600_302600_NS6detail15normal_iteratorINSA_10device_ptrIyEEEEPS6_SG_NS0_5tupleIJSF_S6_EEENSH_IJSG_SG_EEES6_PlJNSB_9not_fun_tINSB_10functional5actorINSM_9compositeIJNSM_27transparent_binary_operatorINSA_8equal_toIvEEEENSN_INSM_8argumentILj0EEEEENSM_5valueIyEEEEEEEEEEEE10hipError_tPvRmT3_T4_T5_T6_T7_T9_mT8_P12ihipStream_tbDpT10_ENKUlT_T0_E_clISt17integral_constantIbLb0EES1K_EEDaS1F_S1G_EUlS1F_E_NS1_11comp_targetILNS1_3genE0ELNS1_11target_archE4294967295ELNS1_3gpuE0ELNS1_3repE0EEENS1_30default_config_static_selectorELNS0_4arch9wavefront6targetE0EEEvT1_.kd
    .uniform_work_group_size: 1
    .uses_dynamic_stack: false
    .vgpr_count:     0
    .vgpr_spill_count: 0
    .wavefront_size: 32
    .workgroup_processor_mode: 1
  - .args:
      - .offset:         0
        .size:           128
        .value_kind:     by_value
    .group_segment_fixed_size: 0
    .kernarg_segment_align: 8
    .kernarg_segment_size: 128
    .language:       OpenCL C
    .language_version:
      - 2
      - 0
    .max_flat_workgroup_size: 512
    .name:           _ZN7rocprim17ROCPRIM_400000_NS6detail17trampoline_kernelINS0_14default_configENS1_25partition_config_selectorILNS1_17partition_subalgoE6EyNS0_10empty_typeEbEEZZNS1_14partition_implILS5_6ELb0ES3_mN6thrust23THRUST_200600_302600_NS6detail15normal_iteratorINSA_10device_ptrIyEEEEPS6_SG_NS0_5tupleIJSF_S6_EEENSH_IJSG_SG_EEES6_PlJNSB_9not_fun_tINSB_10functional5actorINSM_9compositeIJNSM_27transparent_binary_operatorINSA_8equal_toIvEEEENSN_INSM_8argumentILj0EEEEENSM_5valueIyEEEEEEEEEEEE10hipError_tPvRmT3_T4_T5_T6_T7_T9_mT8_P12ihipStream_tbDpT10_ENKUlT_T0_E_clISt17integral_constantIbLb0EES1K_EEDaS1F_S1G_EUlS1F_E_NS1_11comp_targetILNS1_3genE5ELNS1_11target_archE942ELNS1_3gpuE9ELNS1_3repE0EEENS1_30default_config_static_selectorELNS0_4arch9wavefront6targetE0EEEvT1_
    .private_segment_fixed_size: 0
    .sgpr_count:     0
    .sgpr_spill_count: 0
    .symbol:         _ZN7rocprim17ROCPRIM_400000_NS6detail17trampoline_kernelINS0_14default_configENS1_25partition_config_selectorILNS1_17partition_subalgoE6EyNS0_10empty_typeEbEEZZNS1_14partition_implILS5_6ELb0ES3_mN6thrust23THRUST_200600_302600_NS6detail15normal_iteratorINSA_10device_ptrIyEEEEPS6_SG_NS0_5tupleIJSF_S6_EEENSH_IJSG_SG_EEES6_PlJNSB_9not_fun_tINSB_10functional5actorINSM_9compositeIJNSM_27transparent_binary_operatorINSA_8equal_toIvEEEENSN_INSM_8argumentILj0EEEEENSM_5valueIyEEEEEEEEEEEE10hipError_tPvRmT3_T4_T5_T6_T7_T9_mT8_P12ihipStream_tbDpT10_ENKUlT_T0_E_clISt17integral_constantIbLb0EES1K_EEDaS1F_S1G_EUlS1F_E_NS1_11comp_targetILNS1_3genE5ELNS1_11target_archE942ELNS1_3gpuE9ELNS1_3repE0EEENS1_30default_config_static_selectorELNS0_4arch9wavefront6targetE0EEEvT1_.kd
    .uniform_work_group_size: 1
    .uses_dynamic_stack: false
    .vgpr_count:     0
    .vgpr_spill_count: 0
    .wavefront_size: 32
    .workgroup_processor_mode: 1
  - .args:
      - .offset:         0
        .size:           128
        .value_kind:     by_value
    .group_segment_fixed_size: 0
    .kernarg_segment_align: 8
    .kernarg_segment_size: 128
    .language:       OpenCL C
    .language_version:
      - 2
      - 0
    .max_flat_workgroup_size: 512
    .name:           _ZN7rocprim17ROCPRIM_400000_NS6detail17trampoline_kernelINS0_14default_configENS1_25partition_config_selectorILNS1_17partition_subalgoE6EyNS0_10empty_typeEbEEZZNS1_14partition_implILS5_6ELb0ES3_mN6thrust23THRUST_200600_302600_NS6detail15normal_iteratorINSA_10device_ptrIyEEEEPS6_SG_NS0_5tupleIJSF_S6_EEENSH_IJSG_SG_EEES6_PlJNSB_9not_fun_tINSB_10functional5actorINSM_9compositeIJNSM_27transparent_binary_operatorINSA_8equal_toIvEEEENSN_INSM_8argumentILj0EEEEENSM_5valueIyEEEEEEEEEEEE10hipError_tPvRmT3_T4_T5_T6_T7_T9_mT8_P12ihipStream_tbDpT10_ENKUlT_T0_E_clISt17integral_constantIbLb0EES1K_EEDaS1F_S1G_EUlS1F_E_NS1_11comp_targetILNS1_3genE4ELNS1_11target_archE910ELNS1_3gpuE8ELNS1_3repE0EEENS1_30default_config_static_selectorELNS0_4arch9wavefront6targetE0EEEvT1_
    .private_segment_fixed_size: 0
    .sgpr_count:     0
    .sgpr_spill_count: 0
    .symbol:         _ZN7rocprim17ROCPRIM_400000_NS6detail17trampoline_kernelINS0_14default_configENS1_25partition_config_selectorILNS1_17partition_subalgoE6EyNS0_10empty_typeEbEEZZNS1_14partition_implILS5_6ELb0ES3_mN6thrust23THRUST_200600_302600_NS6detail15normal_iteratorINSA_10device_ptrIyEEEEPS6_SG_NS0_5tupleIJSF_S6_EEENSH_IJSG_SG_EEES6_PlJNSB_9not_fun_tINSB_10functional5actorINSM_9compositeIJNSM_27transparent_binary_operatorINSA_8equal_toIvEEEENSN_INSM_8argumentILj0EEEEENSM_5valueIyEEEEEEEEEEEE10hipError_tPvRmT3_T4_T5_T6_T7_T9_mT8_P12ihipStream_tbDpT10_ENKUlT_T0_E_clISt17integral_constantIbLb0EES1K_EEDaS1F_S1G_EUlS1F_E_NS1_11comp_targetILNS1_3genE4ELNS1_11target_archE910ELNS1_3gpuE8ELNS1_3repE0EEENS1_30default_config_static_selectorELNS0_4arch9wavefront6targetE0EEEvT1_.kd
    .uniform_work_group_size: 1
    .uses_dynamic_stack: false
    .vgpr_count:     0
    .vgpr_spill_count: 0
    .wavefront_size: 32
    .workgroup_processor_mode: 1
  - .args:
      - .offset:         0
        .size:           128
        .value_kind:     by_value
    .group_segment_fixed_size: 0
    .kernarg_segment_align: 8
    .kernarg_segment_size: 128
    .language:       OpenCL C
    .language_version:
      - 2
      - 0
    .max_flat_workgroup_size: 128
    .name:           _ZN7rocprim17ROCPRIM_400000_NS6detail17trampoline_kernelINS0_14default_configENS1_25partition_config_selectorILNS1_17partition_subalgoE6EyNS0_10empty_typeEbEEZZNS1_14partition_implILS5_6ELb0ES3_mN6thrust23THRUST_200600_302600_NS6detail15normal_iteratorINSA_10device_ptrIyEEEEPS6_SG_NS0_5tupleIJSF_S6_EEENSH_IJSG_SG_EEES6_PlJNSB_9not_fun_tINSB_10functional5actorINSM_9compositeIJNSM_27transparent_binary_operatorINSA_8equal_toIvEEEENSN_INSM_8argumentILj0EEEEENSM_5valueIyEEEEEEEEEEEE10hipError_tPvRmT3_T4_T5_T6_T7_T9_mT8_P12ihipStream_tbDpT10_ENKUlT_T0_E_clISt17integral_constantIbLb0EES1K_EEDaS1F_S1G_EUlS1F_E_NS1_11comp_targetILNS1_3genE3ELNS1_11target_archE908ELNS1_3gpuE7ELNS1_3repE0EEENS1_30default_config_static_selectorELNS0_4arch9wavefront6targetE0EEEvT1_
    .private_segment_fixed_size: 0
    .sgpr_count:     0
    .sgpr_spill_count: 0
    .symbol:         _ZN7rocprim17ROCPRIM_400000_NS6detail17trampoline_kernelINS0_14default_configENS1_25partition_config_selectorILNS1_17partition_subalgoE6EyNS0_10empty_typeEbEEZZNS1_14partition_implILS5_6ELb0ES3_mN6thrust23THRUST_200600_302600_NS6detail15normal_iteratorINSA_10device_ptrIyEEEEPS6_SG_NS0_5tupleIJSF_S6_EEENSH_IJSG_SG_EEES6_PlJNSB_9not_fun_tINSB_10functional5actorINSM_9compositeIJNSM_27transparent_binary_operatorINSA_8equal_toIvEEEENSN_INSM_8argumentILj0EEEEENSM_5valueIyEEEEEEEEEEEE10hipError_tPvRmT3_T4_T5_T6_T7_T9_mT8_P12ihipStream_tbDpT10_ENKUlT_T0_E_clISt17integral_constantIbLb0EES1K_EEDaS1F_S1G_EUlS1F_E_NS1_11comp_targetILNS1_3genE3ELNS1_11target_archE908ELNS1_3gpuE7ELNS1_3repE0EEENS1_30default_config_static_selectorELNS0_4arch9wavefront6targetE0EEEvT1_.kd
    .uniform_work_group_size: 1
    .uses_dynamic_stack: false
    .vgpr_count:     0
    .vgpr_spill_count: 0
    .wavefront_size: 32
    .workgroup_processor_mode: 1
  - .args:
      - .offset:         0
        .size:           128
        .value_kind:     by_value
    .group_segment_fixed_size: 0
    .kernarg_segment_align: 8
    .kernarg_segment_size: 128
    .language:       OpenCL C
    .language_version:
      - 2
      - 0
    .max_flat_workgroup_size: 256
    .name:           _ZN7rocprim17ROCPRIM_400000_NS6detail17trampoline_kernelINS0_14default_configENS1_25partition_config_selectorILNS1_17partition_subalgoE6EyNS0_10empty_typeEbEEZZNS1_14partition_implILS5_6ELb0ES3_mN6thrust23THRUST_200600_302600_NS6detail15normal_iteratorINSA_10device_ptrIyEEEEPS6_SG_NS0_5tupleIJSF_S6_EEENSH_IJSG_SG_EEES6_PlJNSB_9not_fun_tINSB_10functional5actorINSM_9compositeIJNSM_27transparent_binary_operatorINSA_8equal_toIvEEEENSN_INSM_8argumentILj0EEEEENSM_5valueIyEEEEEEEEEEEE10hipError_tPvRmT3_T4_T5_T6_T7_T9_mT8_P12ihipStream_tbDpT10_ENKUlT_T0_E_clISt17integral_constantIbLb0EES1K_EEDaS1F_S1G_EUlS1F_E_NS1_11comp_targetILNS1_3genE2ELNS1_11target_archE906ELNS1_3gpuE6ELNS1_3repE0EEENS1_30default_config_static_selectorELNS0_4arch9wavefront6targetE0EEEvT1_
    .private_segment_fixed_size: 0
    .sgpr_count:     0
    .sgpr_spill_count: 0
    .symbol:         _ZN7rocprim17ROCPRIM_400000_NS6detail17trampoline_kernelINS0_14default_configENS1_25partition_config_selectorILNS1_17partition_subalgoE6EyNS0_10empty_typeEbEEZZNS1_14partition_implILS5_6ELb0ES3_mN6thrust23THRUST_200600_302600_NS6detail15normal_iteratorINSA_10device_ptrIyEEEEPS6_SG_NS0_5tupleIJSF_S6_EEENSH_IJSG_SG_EEES6_PlJNSB_9not_fun_tINSB_10functional5actorINSM_9compositeIJNSM_27transparent_binary_operatorINSA_8equal_toIvEEEENSN_INSM_8argumentILj0EEEEENSM_5valueIyEEEEEEEEEEEE10hipError_tPvRmT3_T4_T5_T6_T7_T9_mT8_P12ihipStream_tbDpT10_ENKUlT_T0_E_clISt17integral_constantIbLb0EES1K_EEDaS1F_S1G_EUlS1F_E_NS1_11comp_targetILNS1_3genE2ELNS1_11target_archE906ELNS1_3gpuE6ELNS1_3repE0EEENS1_30default_config_static_selectorELNS0_4arch9wavefront6targetE0EEEvT1_.kd
    .uniform_work_group_size: 1
    .uses_dynamic_stack: false
    .vgpr_count:     0
    .vgpr_spill_count: 0
    .wavefront_size: 32
    .workgroup_processor_mode: 1
  - .args:
      - .offset:         0
        .size:           128
        .value_kind:     by_value
    .group_segment_fixed_size: 8464
    .kernarg_segment_align: 8
    .kernarg_segment_size: 128
    .language:       OpenCL C
    .language_version:
      - 2
      - 0
    .max_flat_workgroup_size: 256
    .name:           _ZN7rocprim17ROCPRIM_400000_NS6detail17trampoline_kernelINS0_14default_configENS1_25partition_config_selectorILNS1_17partition_subalgoE6EyNS0_10empty_typeEbEEZZNS1_14partition_implILS5_6ELb0ES3_mN6thrust23THRUST_200600_302600_NS6detail15normal_iteratorINSA_10device_ptrIyEEEEPS6_SG_NS0_5tupleIJSF_S6_EEENSH_IJSG_SG_EEES6_PlJNSB_9not_fun_tINSB_10functional5actorINSM_9compositeIJNSM_27transparent_binary_operatorINSA_8equal_toIvEEEENSN_INSM_8argumentILj0EEEEENSM_5valueIyEEEEEEEEEEEE10hipError_tPvRmT3_T4_T5_T6_T7_T9_mT8_P12ihipStream_tbDpT10_ENKUlT_T0_E_clISt17integral_constantIbLb0EES1K_EEDaS1F_S1G_EUlS1F_E_NS1_11comp_targetILNS1_3genE10ELNS1_11target_archE1200ELNS1_3gpuE4ELNS1_3repE0EEENS1_30default_config_static_selectorELNS0_4arch9wavefront6targetE0EEEvT1_
    .private_segment_fixed_size: 0
    .sgpr_count:     24
    .sgpr_spill_count: 0
    .symbol:         _ZN7rocprim17ROCPRIM_400000_NS6detail17trampoline_kernelINS0_14default_configENS1_25partition_config_selectorILNS1_17partition_subalgoE6EyNS0_10empty_typeEbEEZZNS1_14partition_implILS5_6ELb0ES3_mN6thrust23THRUST_200600_302600_NS6detail15normal_iteratorINSA_10device_ptrIyEEEEPS6_SG_NS0_5tupleIJSF_S6_EEENSH_IJSG_SG_EEES6_PlJNSB_9not_fun_tINSB_10functional5actorINSM_9compositeIJNSM_27transparent_binary_operatorINSA_8equal_toIvEEEENSN_INSM_8argumentILj0EEEEENSM_5valueIyEEEEEEEEEEEE10hipError_tPvRmT3_T4_T5_T6_T7_T9_mT8_P12ihipStream_tbDpT10_ENKUlT_T0_E_clISt17integral_constantIbLb0EES1K_EEDaS1F_S1G_EUlS1F_E_NS1_11comp_targetILNS1_3genE10ELNS1_11target_archE1200ELNS1_3gpuE4ELNS1_3repE0EEENS1_30default_config_static_selectorELNS0_4arch9wavefront6targetE0EEEvT1_.kd
    .uniform_work_group_size: 1
    .uses_dynamic_stack: false
    .vgpr_count:     46
    .vgpr_spill_count: 0
    .wavefront_size: 32
    .workgroup_processor_mode: 1
  - .args:
      - .offset:         0
        .size:           128
        .value_kind:     by_value
    .group_segment_fixed_size: 0
    .kernarg_segment_align: 8
    .kernarg_segment_size: 128
    .language:       OpenCL C
    .language_version:
      - 2
      - 0
    .max_flat_workgroup_size: 384
    .name:           _ZN7rocprim17ROCPRIM_400000_NS6detail17trampoline_kernelINS0_14default_configENS1_25partition_config_selectorILNS1_17partition_subalgoE6EyNS0_10empty_typeEbEEZZNS1_14partition_implILS5_6ELb0ES3_mN6thrust23THRUST_200600_302600_NS6detail15normal_iteratorINSA_10device_ptrIyEEEEPS6_SG_NS0_5tupleIJSF_S6_EEENSH_IJSG_SG_EEES6_PlJNSB_9not_fun_tINSB_10functional5actorINSM_9compositeIJNSM_27transparent_binary_operatorINSA_8equal_toIvEEEENSN_INSM_8argumentILj0EEEEENSM_5valueIyEEEEEEEEEEEE10hipError_tPvRmT3_T4_T5_T6_T7_T9_mT8_P12ihipStream_tbDpT10_ENKUlT_T0_E_clISt17integral_constantIbLb0EES1K_EEDaS1F_S1G_EUlS1F_E_NS1_11comp_targetILNS1_3genE9ELNS1_11target_archE1100ELNS1_3gpuE3ELNS1_3repE0EEENS1_30default_config_static_selectorELNS0_4arch9wavefront6targetE0EEEvT1_
    .private_segment_fixed_size: 0
    .sgpr_count:     0
    .sgpr_spill_count: 0
    .symbol:         _ZN7rocprim17ROCPRIM_400000_NS6detail17trampoline_kernelINS0_14default_configENS1_25partition_config_selectorILNS1_17partition_subalgoE6EyNS0_10empty_typeEbEEZZNS1_14partition_implILS5_6ELb0ES3_mN6thrust23THRUST_200600_302600_NS6detail15normal_iteratorINSA_10device_ptrIyEEEEPS6_SG_NS0_5tupleIJSF_S6_EEENSH_IJSG_SG_EEES6_PlJNSB_9not_fun_tINSB_10functional5actorINSM_9compositeIJNSM_27transparent_binary_operatorINSA_8equal_toIvEEEENSN_INSM_8argumentILj0EEEEENSM_5valueIyEEEEEEEEEEEE10hipError_tPvRmT3_T4_T5_T6_T7_T9_mT8_P12ihipStream_tbDpT10_ENKUlT_T0_E_clISt17integral_constantIbLb0EES1K_EEDaS1F_S1G_EUlS1F_E_NS1_11comp_targetILNS1_3genE9ELNS1_11target_archE1100ELNS1_3gpuE3ELNS1_3repE0EEENS1_30default_config_static_selectorELNS0_4arch9wavefront6targetE0EEEvT1_.kd
    .uniform_work_group_size: 1
    .uses_dynamic_stack: false
    .vgpr_count:     0
    .vgpr_spill_count: 0
    .wavefront_size: 32
    .workgroup_processor_mode: 1
  - .args:
      - .offset:         0
        .size:           128
        .value_kind:     by_value
    .group_segment_fixed_size: 0
    .kernarg_segment_align: 8
    .kernarg_segment_size: 128
    .language:       OpenCL C
    .language_version:
      - 2
      - 0
    .max_flat_workgroup_size: 512
    .name:           _ZN7rocprim17ROCPRIM_400000_NS6detail17trampoline_kernelINS0_14default_configENS1_25partition_config_selectorILNS1_17partition_subalgoE6EyNS0_10empty_typeEbEEZZNS1_14partition_implILS5_6ELb0ES3_mN6thrust23THRUST_200600_302600_NS6detail15normal_iteratorINSA_10device_ptrIyEEEEPS6_SG_NS0_5tupleIJSF_S6_EEENSH_IJSG_SG_EEES6_PlJNSB_9not_fun_tINSB_10functional5actorINSM_9compositeIJNSM_27transparent_binary_operatorINSA_8equal_toIvEEEENSN_INSM_8argumentILj0EEEEENSM_5valueIyEEEEEEEEEEEE10hipError_tPvRmT3_T4_T5_T6_T7_T9_mT8_P12ihipStream_tbDpT10_ENKUlT_T0_E_clISt17integral_constantIbLb0EES1K_EEDaS1F_S1G_EUlS1F_E_NS1_11comp_targetILNS1_3genE8ELNS1_11target_archE1030ELNS1_3gpuE2ELNS1_3repE0EEENS1_30default_config_static_selectorELNS0_4arch9wavefront6targetE0EEEvT1_
    .private_segment_fixed_size: 0
    .sgpr_count:     0
    .sgpr_spill_count: 0
    .symbol:         _ZN7rocprim17ROCPRIM_400000_NS6detail17trampoline_kernelINS0_14default_configENS1_25partition_config_selectorILNS1_17partition_subalgoE6EyNS0_10empty_typeEbEEZZNS1_14partition_implILS5_6ELb0ES3_mN6thrust23THRUST_200600_302600_NS6detail15normal_iteratorINSA_10device_ptrIyEEEEPS6_SG_NS0_5tupleIJSF_S6_EEENSH_IJSG_SG_EEES6_PlJNSB_9not_fun_tINSB_10functional5actorINSM_9compositeIJNSM_27transparent_binary_operatorINSA_8equal_toIvEEEENSN_INSM_8argumentILj0EEEEENSM_5valueIyEEEEEEEEEEEE10hipError_tPvRmT3_T4_T5_T6_T7_T9_mT8_P12ihipStream_tbDpT10_ENKUlT_T0_E_clISt17integral_constantIbLb0EES1K_EEDaS1F_S1G_EUlS1F_E_NS1_11comp_targetILNS1_3genE8ELNS1_11target_archE1030ELNS1_3gpuE2ELNS1_3repE0EEENS1_30default_config_static_selectorELNS0_4arch9wavefront6targetE0EEEvT1_.kd
    .uniform_work_group_size: 1
    .uses_dynamic_stack: false
    .vgpr_count:     0
    .vgpr_spill_count: 0
    .wavefront_size: 32
    .workgroup_processor_mode: 1
  - .args:
      - .offset:         0
        .size:           136
        .value_kind:     by_value
    .group_segment_fixed_size: 0
    .kernarg_segment_align: 8
    .kernarg_segment_size: 136
    .language:       OpenCL C
    .language_version:
      - 2
      - 0
    .max_flat_workgroup_size: 128
    .name:           _ZN7rocprim17ROCPRIM_400000_NS6detail17trampoline_kernelINS0_14default_configENS1_25partition_config_selectorILNS1_17partition_subalgoE6EyNS0_10empty_typeEbEEZZNS1_14partition_implILS5_6ELb0ES3_mN6thrust23THRUST_200600_302600_NS6detail15normal_iteratorINSA_10device_ptrIyEEEEPS6_SG_NS0_5tupleIJSF_S6_EEENSH_IJSG_SG_EEES6_PlJNSB_9not_fun_tINSB_10functional5actorINSM_9compositeIJNSM_27transparent_binary_operatorINSA_8equal_toIvEEEENSN_INSM_8argumentILj0EEEEENSM_5valueIyEEEEEEEEEEEE10hipError_tPvRmT3_T4_T5_T6_T7_T9_mT8_P12ihipStream_tbDpT10_ENKUlT_T0_E_clISt17integral_constantIbLb1EES1K_EEDaS1F_S1G_EUlS1F_E_NS1_11comp_targetILNS1_3genE0ELNS1_11target_archE4294967295ELNS1_3gpuE0ELNS1_3repE0EEENS1_30default_config_static_selectorELNS0_4arch9wavefront6targetE0EEEvT1_
    .private_segment_fixed_size: 0
    .sgpr_count:     0
    .sgpr_spill_count: 0
    .symbol:         _ZN7rocprim17ROCPRIM_400000_NS6detail17trampoline_kernelINS0_14default_configENS1_25partition_config_selectorILNS1_17partition_subalgoE6EyNS0_10empty_typeEbEEZZNS1_14partition_implILS5_6ELb0ES3_mN6thrust23THRUST_200600_302600_NS6detail15normal_iteratorINSA_10device_ptrIyEEEEPS6_SG_NS0_5tupleIJSF_S6_EEENSH_IJSG_SG_EEES6_PlJNSB_9not_fun_tINSB_10functional5actorINSM_9compositeIJNSM_27transparent_binary_operatorINSA_8equal_toIvEEEENSN_INSM_8argumentILj0EEEEENSM_5valueIyEEEEEEEEEEEE10hipError_tPvRmT3_T4_T5_T6_T7_T9_mT8_P12ihipStream_tbDpT10_ENKUlT_T0_E_clISt17integral_constantIbLb1EES1K_EEDaS1F_S1G_EUlS1F_E_NS1_11comp_targetILNS1_3genE0ELNS1_11target_archE4294967295ELNS1_3gpuE0ELNS1_3repE0EEENS1_30default_config_static_selectorELNS0_4arch9wavefront6targetE0EEEvT1_.kd
    .uniform_work_group_size: 1
    .uses_dynamic_stack: false
    .vgpr_count:     0
    .vgpr_spill_count: 0
    .wavefront_size: 32
    .workgroup_processor_mode: 1
  - .args:
      - .offset:         0
        .size:           136
        .value_kind:     by_value
    .group_segment_fixed_size: 0
    .kernarg_segment_align: 8
    .kernarg_segment_size: 136
    .language:       OpenCL C
    .language_version:
      - 2
      - 0
    .max_flat_workgroup_size: 512
    .name:           _ZN7rocprim17ROCPRIM_400000_NS6detail17trampoline_kernelINS0_14default_configENS1_25partition_config_selectorILNS1_17partition_subalgoE6EyNS0_10empty_typeEbEEZZNS1_14partition_implILS5_6ELb0ES3_mN6thrust23THRUST_200600_302600_NS6detail15normal_iteratorINSA_10device_ptrIyEEEEPS6_SG_NS0_5tupleIJSF_S6_EEENSH_IJSG_SG_EEES6_PlJNSB_9not_fun_tINSB_10functional5actorINSM_9compositeIJNSM_27transparent_binary_operatorINSA_8equal_toIvEEEENSN_INSM_8argumentILj0EEEEENSM_5valueIyEEEEEEEEEEEE10hipError_tPvRmT3_T4_T5_T6_T7_T9_mT8_P12ihipStream_tbDpT10_ENKUlT_T0_E_clISt17integral_constantIbLb1EES1K_EEDaS1F_S1G_EUlS1F_E_NS1_11comp_targetILNS1_3genE5ELNS1_11target_archE942ELNS1_3gpuE9ELNS1_3repE0EEENS1_30default_config_static_selectorELNS0_4arch9wavefront6targetE0EEEvT1_
    .private_segment_fixed_size: 0
    .sgpr_count:     0
    .sgpr_spill_count: 0
    .symbol:         _ZN7rocprim17ROCPRIM_400000_NS6detail17trampoline_kernelINS0_14default_configENS1_25partition_config_selectorILNS1_17partition_subalgoE6EyNS0_10empty_typeEbEEZZNS1_14partition_implILS5_6ELb0ES3_mN6thrust23THRUST_200600_302600_NS6detail15normal_iteratorINSA_10device_ptrIyEEEEPS6_SG_NS0_5tupleIJSF_S6_EEENSH_IJSG_SG_EEES6_PlJNSB_9not_fun_tINSB_10functional5actorINSM_9compositeIJNSM_27transparent_binary_operatorINSA_8equal_toIvEEEENSN_INSM_8argumentILj0EEEEENSM_5valueIyEEEEEEEEEEEE10hipError_tPvRmT3_T4_T5_T6_T7_T9_mT8_P12ihipStream_tbDpT10_ENKUlT_T0_E_clISt17integral_constantIbLb1EES1K_EEDaS1F_S1G_EUlS1F_E_NS1_11comp_targetILNS1_3genE5ELNS1_11target_archE942ELNS1_3gpuE9ELNS1_3repE0EEENS1_30default_config_static_selectorELNS0_4arch9wavefront6targetE0EEEvT1_.kd
    .uniform_work_group_size: 1
    .uses_dynamic_stack: false
    .vgpr_count:     0
    .vgpr_spill_count: 0
    .wavefront_size: 32
    .workgroup_processor_mode: 1
  - .args:
      - .offset:         0
        .size:           136
        .value_kind:     by_value
    .group_segment_fixed_size: 0
    .kernarg_segment_align: 8
    .kernarg_segment_size: 136
    .language:       OpenCL C
    .language_version:
      - 2
      - 0
    .max_flat_workgroup_size: 512
    .name:           _ZN7rocprim17ROCPRIM_400000_NS6detail17trampoline_kernelINS0_14default_configENS1_25partition_config_selectorILNS1_17partition_subalgoE6EyNS0_10empty_typeEbEEZZNS1_14partition_implILS5_6ELb0ES3_mN6thrust23THRUST_200600_302600_NS6detail15normal_iteratorINSA_10device_ptrIyEEEEPS6_SG_NS0_5tupleIJSF_S6_EEENSH_IJSG_SG_EEES6_PlJNSB_9not_fun_tINSB_10functional5actorINSM_9compositeIJNSM_27transparent_binary_operatorINSA_8equal_toIvEEEENSN_INSM_8argumentILj0EEEEENSM_5valueIyEEEEEEEEEEEE10hipError_tPvRmT3_T4_T5_T6_T7_T9_mT8_P12ihipStream_tbDpT10_ENKUlT_T0_E_clISt17integral_constantIbLb1EES1K_EEDaS1F_S1G_EUlS1F_E_NS1_11comp_targetILNS1_3genE4ELNS1_11target_archE910ELNS1_3gpuE8ELNS1_3repE0EEENS1_30default_config_static_selectorELNS0_4arch9wavefront6targetE0EEEvT1_
    .private_segment_fixed_size: 0
    .sgpr_count:     0
    .sgpr_spill_count: 0
    .symbol:         _ZN7rocprim17ROCPRIM_400000_NS6detail17trampoline_kernelINS0_14default_configENS1_25partition_config_selectorILNS1_17partition_subalgoE6EyNS0_10empty_typeEbEEZZNS1_14partition_implILS5_6ELb0ES3_mN6thrust23THRUST_200600_302600_NS6detail15normal_iteratorINSA_10device_ptrIyEEEEPS6_SG_NS0_5tupleIJSF_S6_EEENSH_IJSG_SG_EEES6_PlJNSB_9not_fun_tINSB_10functional5actorINSM_9compositeIJNSM_27transparent_binary_operatorINSA_8equal_toIvEEEENSN_INSM_8argumentILj0EEEEENSM_5valueIyEEEEEEEEEEEE10hipError_tPvRmT3_T4_T5_T6_T7_T9_mT8_P12ihipStream_tbDpT10_ENKUlT_T0_E_clISt17integral_constantIbLb1EES1K_EEDaS1F_S1G_EUlS1F_E_NS1_11comp_targetILNS1_3genE4ELNS1_11target_archE910ELNS1_3gpuE8ELNS1_3repE0EEENS1_30default_config_static_selectorELNS0_4arch9wavefront6targetE0EEEvT1_.kd
    .uniform_work_group_size: 1
    .uses_dynamic_stack: false
    .vgpr_count:     0
    .vgpr_spill_count: 0
    .wavefront_size: 32
    .workgroup_processor_mode: 1
  - .args:
      - .offset:         0
        .size:           136
        .value_kind:     by_value
    .group_segment_fixed_size: 0
    .kernarg_segment_align: 8
    .kernarg_segment_size: 136
    .language:       OpenCL C
    .language_version:
      - 2
      - 0
    .max_flat_workgroup_size: 128
    .name:           _ZN7rocprim17ROCPRIM_400000_NS6detail17trampoline_kernelINS0_14default_configENS1_25partition_config_selectorILNS1_17partition_subalgoE6EyNS0_10empty_typeEbEEZZNS1_14partition_implILS5_6ELb0ES3_mN6thrust23THRUST_200600_302600_NS6detail15normal_iteratorINSA_10device_ptrIyEEEEPS6_SG_NS0_5tupleIJSF_S6_EEENSH_IJSG_SG_EEES6_PlJNSB_9not_fun_tINSB_10functional5actorINSM_9compositeIJNSM_27transparent_binary_operatorINSA_8equal_toIvEEEENSN_INSM_8argumentILj0EEEEENSM_5valueIyEEEEEEEEEEEE10hipError_tPvRmT3_T4_T5_T6_T7_T9_mT8_P12ihipStream_tbDpT10_ENKUlT_T0_E_clISt17integral_constantIbLb1EES1K_EEDaS1F_S1G_EUlS1F_E_NS1_11comp_targetILNS1_3genE3ELNS1_11target_archE908ELNS1_3gpuE7ELNS1_3repE0EEENS1_30default_config_static_selectorELNS0_4arch9wavefront6targetE0EEEvT1_
    .private_segment_fixed_size: 0
    .sgpr_count:     0
    .sgpr_spill_count: 0
    .symbol:         _ZN7rocprim17ROCPRIM_400000_NS6detail17trampoline_kernelINS0_14default_configENS1_25partition_config_selectorILNS1_17partition_subalgoE6EyNS0_10empty_typeEbEEZZNS1_14partition_implILS5_6ELb0ES3_mN6thrust23THRUST_200600_302600_NS6detail15normal_iteratorINSA_10device_ptrIyEEEEPS6_SG_NS0_5tupleIJSF_S6_EEENSH_IJSG_SG_EEES6_PlJNSB_9not_fun_tINSB_10functional5actorINSM_9compositeIJNSM_27transparent_binary_operatorINSA_8equal_toIvEEEENSN_INSM_8argumentILj0EEEEENSM_5valueIyEEEEEEEEEEEE10hipError_tPvRmT3_T4_T5_T6_T7_T9_mT8_P12ihipStream_tbDpT10_ENKUlT_T0_E_clISt17integral_constantIbLb1EES1K_EEDaS1F_S1G_EUlS1F_E_NS1_11comp_targetILNS1_3genE3ELNS1_11target_archE908ELNS1_3gpuE7ELNS1_3repE0EEENS1_30default_config_static_selectorELNS0_4arch9wavefront6targetE0EEEvT1_.kd
    .uniform_work_group_size: 1
    .uses_dynamic_stack: false
    .vgpr_count:     0
    .vgpr_spill_count: 0
    .wavefront_size: 32
    .workgroup_processor_mode: 1
  - .args:
      - .offset:         0
        .size:           136
        .value_kind:     by_value
    .group_segment_fixed_size: 0
    .kernarg_segment_align: 8
    .kernarg_segment_size: 136
    .language:       OpenCL C
    .language_version:
      - 2
      - 0
    .max_flat_workgroup_size: 256
    .name:           _ZN7rocprim17ROCPRIM_400000_NS6detail17trampoline_kernelINS0_14default_configENS1_25partition_config_selectorILNS1_17partition_subalgoE6EyNS0_10empty_typeEbEEZZNS1_14partition_implILS5_6ELb0ES3_mN6thrust23THRUST_200600_302600_NS6detail15normal_iteratorINSA_10device_ptrIyEEEEPS6_SG_NS0_5tupleIJSF_S6_EEENSH_IJSG_SG_EEES6_PlJNSB_9not_fun_tINSB_10functional5actorINSM_9compositeIJNSM_27transparent_binary_operatorINSA_8equal_toIvEEEENSN_INSM_8argumentILj0EEEEENSM_5valueIyEEEEEEEEEEEE10hipError_tPvRmT3_T4_T5_T6_T7_T9_mT8_P12ihipStream_tbDpT10_ENKUlT_T0_E_clISt17integral_constantIbLb1EES1K_EEDaS1F_S1G_EUlS1F_E_NS1_11comp_targetILNS1_3genE2ELNS1_11target_archE906ELNS1_3gpuE6ELNS1_3repE0EEENS1_30default_config_static_selectorELNS0_4arch9wavefront6targetE0EEEvT1_
    .private_segment_fixed_size: 0
    .sgpr_count:     0
    .sgpr_spill_count: 0
    .symbol:         _ZN7rocprim17ROCPRIM_400000_NS6detail17trampoline_kernelINS0_14default_configENS1_25partition_config_selectorILNS1_17partition_subalgoE6EyNS0_10empty_typeEbEEZZNS1_14partition_implILS5_6ELb0ES3_mN6thrust23THRUST_200600_302600_NS6detail15normal_iteratorINSA_10device_ptrIyEEEEPS6_SG_NS0_5tupleIJSF_S6_EEENSH_IJSG_SG_EEES6_PlJNSB_9not_fun_tINSB_10functional5actorINSM_9compositeIJNSM_27transparent_binary_operatorINSA_8equal_toIvEEEENSN_INSM_8argumentILj0EEEEENSM_5valueIyEEEEEEEEEEEE10hipError_tPvRmT3_T4_T5_T6_T7_T9_mT8_P12ihipStream_tbDpT10_ENKUlT_T0_E_clISt17integral_constantIbLb1EES1K_EEDaS1F_S1G_EUlS1F_E_NS1_11comp_targetILNS1_3genE2ELNS1_11target_archE906ELNS1_3gpuE6ELNS1_3repE0EEENS1_30default_config_static_selectorELNS0_4arch9wavefront6targetE0EEEvT1_.kd
    .uniform_work_group_size: 1
    .uses_dynamic_stack: false
    .vgpr_count:     0
    .vgpr_spill_count: 0
    .wavefront_size: 32
    .workgroup_processor_mode: 1
  - .args:
      - .offset:         0
        .size:           136
        .value_kind:     by_value
    .group_segment_fixed_size: 0
    .kernarg_segment_align: 8
    .kernarg_segment_size: 136
    .language:       OpenCL C
    .language_version:
      - 2
      - 0
    .max_flat_workgroup_size: 256
    .name:           _ZN7rocprim17ROCPRIM_400000_NS6detail17trampoline_kernelINS0_14default_configENS1_25partition_config_selectorILNS1_17partition_subalgoE6EyNS0_10empty_typeEbEEZZNS1_14partition_implILS5_6ELb0ES3_mN6thrust23THRUST_200600_302600_NS6detail15normal_iteratorINSA_10device_ptrIyEEEEPS6_SG_NS0_5tupleIJSF_S6_EEENSH_IJSG_SG_EEES6_PlJNSB_9not_fun_tINSB_10functional5actorINSM_9compositeIJNSM_27transparent_binary_operatorINSA_8equal_toIvEEEENSN_INSM_8argumentILj0EEEEENSM_5valueIyEEEEEEEEEEEE10hipError_tPvRmT3_T4_T5_T6_T7_T9_mT8_P12ihipStream_tbDpT10_ENKUlT_T0_E_clISt17integral_constantIbLb1EES1K_EEDaS1F_S1G_EUlS1F_E_NS1_11comp_targetILNS1_3genE10ELNS1_11target_archE1200ELNS1_3gpuE4ELNS1_3repE0EEENS1_30default_config_static_selectorELNS0_4arch9wavefront6targetE0EEEvT1_
    .private_segment_fixed_size: 0
    .sgpr_count:     0
    .sgpr_spill_count: 0
    .symbol:         _ZN7rocprim17ROCPRIM_400000_NS6detail17trampoline_kernelINS0_14default_configENS1_25partition_config_selectorILNS1_17partition_subalgoE6EyNS0_10empty_typeEbEEZZNS1_14partition_implILS5_6ELb0ES3_mN6thrust23THRUST_200600_302600_NS6detail15normal_iteratorINSA_10device_ptrIyEEEEPS6_SG_NS0_5tupleIJSF_S6_EEENSH_IJSG_SG_EEES6_PlJNSB_9not_fun_tINSB_10functional5actorINSM_9compositeIJNSM_27transparent_binary_operatorINSA_8equal_toIvEEEENSN_INSM_8argumentILj0EEEEENSM_5valueIyEEEEEEEEEEEE10hipError_tPvRmT3_T4_T5_T6_T7_T9_mT8_P12ihipStream_tbDpT10_ENKUlT_T0_E_clISt17integral_constantIbLb1EES1K_EEDaS1F_S1G_EUlS1F_E_NS1_11comp_targetILNS1_3genE10ELNS1_11target_archE1200ELNS1_3gpuE4ELNS1_3repE0EEENS1_30default_config_static_selectorELNS0_4arch9wavefront6targetE0EEEvT1_.kd
    .uniform_work_group_size: 1
    .uses_dynamic_stack: false
    .vgpr_count:     0
    .vgpr_spill_count: 0
    .wavefront_size: 32
    .workgroup_processor_mode: 1
  - .args:
      - .offset:         0
        .size:           136
        .value_kind:     by_value
    .group_segment_fixed_size: 0
    .kernarg_segment_align: 8
    .kernarg_segment_size: 136
    .language:       OpenCL C
    .language_version:
      - 2
      - 0
    .max_flat_workgroup_size: 384
    .name:           _ZN7rocprim17ROCPRIM_400000_NS6detail17trampoline_kernelINS0_14default_configENS1_25partition_config_selectorILNS1_17partition_subalgoE6EyNS0_10empty_typeEbEEZZNS1_14partition_implILS5_6ELb0ES3_mN6thrust23THRUST_200600_302600_NS6detail15normal_iteratorINSA_10device_ptrIyEEEEPS6_SG_NS0_5tupleIJSF_S6_EEENSH_IJSG_SG_EEES6_PlJNSB_9not_fun_tINSB_10functional5actorINSM_9compositeIJNSM_27transparent_binary_operatorINSA_8equal_toIvEEEENSN_INSM_8argumentILj0EEEEENSM_5valueIyEEEEEEEEEEEE10hipError_tPvRmT3_T4_T5_T6_T7_T9_mT8_P12ihipStream_tbDpT10_ENKUlT_T0_E_clISt17integral_constantIbLb1EES1K_EEDaS1F_S1G_EUlS1F_E_NS1_11comp_targetILNS1_3genE9ELNS1_11target_archE1100ELNS1_3gpuE3ELNS1_3repE0EEENS1_30default_config_static_selectorELNS0_4arch9wavefront6targetE0EEEvT1_
    .private_segment_fixed_size: 0
    .sgpr_count:     0
    .sgpr_spill_count: 0
    .symbol:         _ZN7rocprim17ROCPRIM_400000_NS6detail17trampoline_kernelINS0_14default_configENS1_25partition_config_selectorILNS1_17partition_subalgoE6EyNS0_10empty_typeEbEEZZNS1_14partition_implILS5_6ELb0ES3_mN6thrust23THRUST_200600_302600_NS6detail15normal_iteratorINSA_10device_ptrIyEEEEPS6_SG_NS0_5tupleIJSF_S6_EEENSH_IJSG_SG_EEES6_PlJNSB_9not_fun_tINSB_10functional5actorINSM_9compositeIJNSM_27transparent_binary_operatorINSA_8equal_toIvEEEENSN_INSM_8argumentILj0EEEEENSM_5valueIyEEEEEEEEEEEE10hipError_tPvRmT3_T4_T5_T6_T7_T9_mT8_P12ihipStream_tbDpT10_ENKUlT_T0_E_clISt17integral_constantIbLb1EES1K_EEDaS1F_S1G_EUlS1F_E_NS1_11comp_targetILNS1_3genE9ELNS1_11target_archE1100ELNS1_3gpuE3ELNS1_3repE0EEENS1_30default_config_static_selectorELNS0_4arch9wavefront6targetE0EEEvT1_.kd
    .uniform_work_group_size: 1
    .uses_dynamic_stack: false
    .vgpr_count:     0
    .vgpr_spill_count: 0
    .wavefront_size: 32
    .workgroup_processor_mode: 1
  - .args:
      - .offset:         0
        .size:           136
        .value_kind:     by_value
    .group_segment_fixed_size: 0
    .kernarg_segment_align: 8
    .kernarg_segment_size: 136
    .language:       OpenCL C
    .language_version:
      - 2
      - 0
    .max_flat_workgroup_size: 512
    .name:           _ZN7rocprim17ROCPRIM_400000_NS6detail17trampoline_kernelINS0_14default_configENS1_25partition_config_selectorILNS1_17partition_subalgoE6EyNS0_10empty_typeEbEEZZNS1_14partition_implILS5_6ELb0ES3_mN6thrust23THRUST_200600_302600_NS6detail15normal_iteratorINSA_10device_ptrIyEEEEPS6_SG_NS0_5tupleIJSF_S6_EEENSH_IJSG_SG_EEES6_PlJNSB_9not_fun_tINSB_10functional5actorINSM_9compositeIJNSM_27transparent_binary_operatorINSA_8equal_toIvEEEENSN_INSM_8argumentILj0EEEEENSM_5valueIyEEEEEEEEEEEE10hipError_tPvRmT3_T4_T5_T6_T7_T9_mT8_P12ihipStream_tbDpT10_ENKUlT_T0_E_clISt17integral_constantIbLb1EES1K_EEDaS1F_S1G_EUlS1F_E_NS1_11comp_targetILNS1_3genE8ELNS1_11target_archE1030ELNS1_3gpuE2ELNS1_3repE0EEENS1_30default_config_static_selectorELNS0_4arch9wavefront6targetE0EEEvT1_
    .private_segment_fixed_size: 0
    .sgpr_count:     0
    .sgpr_spill_count: 0
    .symbol:         _ZN7rocprim17ROCPRIM_400000_NS6detail17trampoline_kernelINS0_14default_configENS1_25partition_config_selectorILNS1_17partition_subalgoE6EyNS0_10empty_typeEbEEZZNS1_14partition_implILS5_6ELb0ES3_mN6thrust23THRUST_200600_302600_NS6detail15normal_iteratorINSA_10device_ptrIyEEEEPS6_SG_NS0_5tupleIJSF_S6_EEENSH_IJSG_SG_EEES6_PlJNSB_9not_fun_tINSB_10functional5actorINSM_9compositeIJNSM_27transparent_binary_operatorINSA_8equal_toIvEEEENSN_INSM_8argumentILj0EEEEENSM_5valueIyEEEEEEEEEEEE10hipError_tPvRmT3_T4_T5_T6_T7_T9_mT8_P12ihipStream_tbDpT10_ENKUlT_T0_E_clISt17integral_constantIbLb1EES1K_EEDaS1F_S1G_EUlS1F_E_NS1_11comp_targetILNS1_3genE8ELNS1_11target_archE1030ELNS1_3gpuE2ELNS1_3repE0EEENS1_30default_config_static_selectorELNS0_4arch9wavefront6targetE0EEEvT1_.kd
    .uniform_work_group_size: 1
    .uses_dynamic_stack: false
    .vgpr_count:     0
    .vgpr_spill_count: 0
    .wavefront_size: 32
    .workgroup_processor_mode: 1
  - .args:
      - .offset:         0
        .size:           128
        .value_kind:     by_value
    .group_segment_fixed_size: 0
    .kernarg_segment_align: 8
    .kernarg_segment_size: 128
    .language:       OpenCL C
    .language_version:
      - 2
      - 0
    .max_flat_workgroup_size: 128
    .name:           _ZN7rocprim17ROCPRIM_400000_NS6detail17trampoline_kernelINS0_14default_configENS1_25partition_config_selectorILNS1_17partition_subalgoE6EyNS0_10empty_typeEbEEZZNS1_14partition_implILS5_6ELb0ES3_mN6thrust23THRUST_200600_302600_NS6detail15normal_iteratorINSA_10device_ptrIyEEEEPS6_SG_NS0_5tupleIJSF_S6_EEENSH_IJSG_SG_EEES6_PlJNSB_9not_fun_tINSB_10functional5actorINSM_9compositeIJNSM_27transparent_binary_operatorINSA_8equal_toIvEEEENSN_INSM_8argumentILj0EEEEENSM_5valueIyEEEEEEEEEEEE10hipError_tPvRmT3_T4_T5_T6_T7_T9_mT8_P12ihipStream_tbDpT10_ENKUlT_T0_E_clISt17integral_constantIbLb1EES1J_IbLb0EEEEDaS1F_S1G_EUlS1F_E_NS1_11comp_targetILNS1_3genE0ELNS1_11target_archE4294967295ELNS1_3gpuE0ELNS1_3repE0EEENS1_30default_config_static_selectorELNS0_4arch9wavefront6targetE0EEEvT1_
    .private_segment_fixed_size: 0
    .sgpr_count:     0
    .sgpr_spill_count: 0
    .symbol:         _ZN7rocprim17ROCPRIM_400000_NS6detail17trampoline_kernelINS0_14default_configENS1_25partition_config_selectorILNS1_17partition_subalgoE6EyNS0_10empty_typeEbEEZZNS1_14partition_implILS5_6ELb0ES3_mN6thrust23THRUST_200600_302600_NS6detail15normal_iteratorINSA_10device_ptrIyEEEEPS6_SG_NS0_5tupleIJSF_S6_EEENSH_IJSG_SG_EEES6_PlJNSB_9not_fun_tINSB_10functional5actorINSM_9compositeIJNSM_27transparent_binary_operatorINSA_8equal_toIvEEEENSN_INSM_8argumentILj0EEEEENSM_5valueIyEEEEEEEEEEEE10hipError_tPvRmT3_T4_T5_T6_T7_T9_mT8_P12ihipStream_tbDpT10_ENKUlT_T0_E_clISt17integral_constantIbLb1EES1J_IbLb0EEEEDaS1F_S1G_EUlS1F_E_NS1_11comp_targetILNS1_3genE0ELNS1_11target_archE4294967295ELNS1_3gpuE0ELNS1_3repE0EEENS1_30default_config_static_selectorELNS0_4arch9wavefront6targetE0EEEvT1_.kd
    .uniform_work_group_size: 1
    .uses_dynamic_stack: false
    .vgpr_count:     0
    .vgpr_spill_count: 0
    .wavefront_size: 32
    .workgroup_processor_mode: 1
  - .args:
      - .offset:         0
        .size:           128
        .value_kind:     by_value
    .group_segment_fixed_size: 0
    .kernarg_segment_align: 8
    .kernarg_segment_size: 128
    .language:       OpenCL C
    .language_version:
      - 2
      - 0
    .max_flat_workgroup_size: 512
    .name:           _ZN7rocprim17ROCPRIM_400000_NS6detail17trampoline_kernelINS0_14default_configENS1_25partition_config_selectorILNS1_17partition_subalgoE6EyNS0_10empty_typeEbEEZZNS1_14partition_implILS5_6ELb0ES3_mN6thrust23THRUST_200600_302600_NS6detail15normal_iteratorINSA_10device_ptrIyEEEEPS6_SG_NS0_5tupleIJSF_S6_EEENSH_IJSG_SG_EEES6_PlJNSB_9not_fun_tINSB_10functional5actorINSM_9compositeIJNSM_27transparent_binary_operatorINSA_8equal_toIvEEEENSN_INSM_8argumentILj0EEEEENSM_5valueIyEEEEEEEEEEEE10hipError_tPvRmT3_T4_T5_T6_T7_T9_mT8_P12ihipStream_tbDpT10_ENKUlT_T0_E_clISt17integral_constantIbLb1EES1J_IbLb0EEEEDaS1F_S1G_EUlS1F_E_NS1_11comp_targetILNS1_3genE5ELNS1_11target_archE942ELNS1_3gpuE9ELNS1_3repE0EEENS1_30default_config_static_selectorELNS0_4arch9wavefront6targetE0EEEvT1_
    .private_segment_fixed_size: 0
    .sgpr_count:     0
    .sgpr_spill_count: 0
    .symbol:         _ZN7rocprim17ROCPRIM_400000_NS6detail17trampoline_kernelINS0_14default_configENS1_25partition_config_selectorILNS1_17partition_subalgoE6EyNS0_10empty_typeEbEEZZNS1_14partition_implILS5_6ELb0ES3_mN6thrust23THRUST_200600_302600_NS6detail15normal_iteratorINSA_10device_ptrIyEEEEPS6_SG_NS0_5tupleIJSF_S6_EEENSH_IJSG_SG_EEES6_PlJNSB_9not_fun_tINSB_10functional5actorINSM_9compositeIJNSM_27transparent_binary_operatorINSA_8equal_toIvEEEENSN_INSM_8argumentILj0EEEEENSM_5valueIyEEEEEEEEEEEE10hipError_tPvRmT3_T4_T5_T6_T7_T9_mT8_P12ihipStream_tbDpT10_ENKUlT_T0_E_clISt17integral_constantIbLb1EES1J_IbLb0EEEEDaS1F_S1G_EUlS1F_E_NS1_11comp_targetILNS1_3genE5ELNS1_11target_archE942ELNS1_3gpuE9ELNS1_3repE0EEENS1_30default_config_static_selectorELNS0_4arch9wavefront6targetE0EEEvT1_.kd
    .uniform_work_group_size: 1
    .uses_dynamic_stack: false
    .vgpr_count:     0
    .vgpr_spill_count: 0
    .wavefront_size: 32
    .workgroup_processor_mode: 1
  - .args:
      - .offset:         0
        .size:           128
        .value_kind:     by_value
    .group_segment_fixed_size: 0
    .kernarg_segment_align: 8
    .kernarg_segment_size: 128
    .language:       OpenCL C
    .language_version:
      - 2
      - 0
    .max_flat_workgroup_size: 512
    .name:           _ZN7rocprim17ROCPRIM_400000_NS6detail17trampoline_kernelINS0_14default_configENS1_25partition_config_selectorILNS1_17partition_subalgoE6EyNS0_10empty_typeEbEEZZNS1_14partition_implILS5_6ELb0ES3_mN6thrust23THRUST_200600_302600_NS6detail15normal_iteratorINSA_10device_ptrIyEEEEPS6_SG_NS0_5tupleIJSF_S6_EEENSH_IJSG_SG_EEES6_PlJNSB_9not_fun_tINSB_10functional5actorINSM_9compositeIJNSM_27transparent_binary_operatorINSA_8equal_toIvEEEENSN_INSM_8argumentILj0EEEEENSM_5valueIyEEEEEEEEEEEE10hipError_tPvRmT3_T4_T5_T6_T7_T9_mT8_P12ihipStream_tbDpT10_ENKUlT_T0_E_clISt17integral_constantIbLb1EES1J_IbLb0EEEEDaS1F_S1G_EUlS1F_E_NS1_11comp_targetILNS1_3genE4ELNS1_11target_archE910ELNS1_3gpuE8ELNS1_3repE0EEENS1_30default_config_static_selectorELNS0_4arch9wavefront6targetE0EEEvT1_
    .private_segment_fixed_size: 0
    .sgpr_count:     0
    .sgpr_spill_count: 0
    .symbol:         _ZN7rocprim17ROCPRIM_400000_NS6detail17trampoline_kernelINS0_14default_configENS1_25partition_config_selectorILNS1_17partition_subalgoE6EyNS0_10empty_typeEbEEZZNS1_14partition_implILS5_6ELb0ES3_mN6thrust23THRUST_200600_302600_NS6detail15normal_iteratorINSA_10device_ptrIyEEEEPS6_SG_NS0_5tupleIJSF_S6_EEENSH_IJSG_SG_EEES6_PlJNSB_9not_fun_tINSB_10functional5actorINSM_9compositeIJNSM_27transparent_binary_operatorINSA_8equal_toIvEEEENSN_INSM_8argumentILj0EEEEENSM_5valueIyEEEEEEEEEEEE10hipError_tPvRmT3_T4_T5_T6_T7_T9_mT8_P12ihipStream_tbDpT10_ENKUlT_T0_E_clISt17integral_constantIbLb1EES1J_IbLb0EEEEDaS1F_S1G_EUlS1F_E_NS1_11comp_targetILNS1_3genE4ELNS1_11target_archE910ELNS1_3gpuE8ELNS1_3repE0EEENS1_30default_config_static_selectorELNS0_4arch9wavefront6targetE0EEEvT1_.kd
    .uniform_work_group_size: 1
    .uses_dynamic_stack: false
    .vgpr_count:     0
    .vgpr_spill_count: 0
    .wavefront_size: 32
    .workgroup_processor_mode: 1
  - .args:
      - .offset:         0
        .size:           128
        .value_kind:     by_value
    .group_segment_fixed_size: 0
    .kernarg_segment_align: 8
    .kernarg_segment_size: 128
    .language:       OpenCL C
    .language_version:
      - 2
      - 0
    .max_flat_workgroup_size: 128
    .name:           _ZN7rocprim17ROCPRIM_400000_NS6detail17trampoline_kernelINS0_14default_configENS1_25partition_config_selectorILNS1_17partition_subalgoE6EyNS0_10empty_typeEbEEZZNS1_14partition_implILS5_6ELb0ES3_mN6thrust23THRUST_200600_302600_NS6detail15normal_iteratorINSA_10device_ptrIyEEEEPS6_SG_NS0_5tupleIJSF_S6_EEENSH_IJSG_SG_EEES6_PlJNSB_9not_fun_tINSB_10functional5actorINSM_9compositeIJNSM_27transparent_binary_operatorINSA_8equal_toIvEEEENSN_INSM_8argumentILj0EEEEENSM_5valueIyEEEEEEEEEEEE10hipError_tPvRmT3_T4_T5_T6_T7_T9_mT8_P12ihipStream_tbDpT10_ENKUlT_T0_E_clISt17integral_constantIbLb1EES1J_IbLb0EEEEDaS1F_S1G_EUlS1F_E_NS1_11comp_targetILNS1_3genE3ELNS1_11target_archE908ELNS1_3gpuE7ELNS1_3repE0EEENS1_30default_config_static_selectorELNS0_4arch9wavefront6targetE0EEEvT1_
    .private_segment_fixed_size: 0
    .sgpr_count:     0
    .sgpr_spill_count: 0
    .symbol:         _ZN7rocprim17ROCPRIM_400000_NS6detail17trampoline_kernelINS0_14default_configENS1_25partition_config_selectorILNS1_17partition_subalgoE6EyNS0_10empty_typeEbEEZZNS1_14partition_implILS5_6ELb0ES3_mN6thrust23THRUST_200600_302600_NS6detail15normal_iteratorINSA_10device_ptrIyEEEEPS6_SG_NS0_5tupleIJSF_S6_EEENSH_IJSG_SG_EEES6_PlJNSB_9not_fun_tINSB_10functional5actorINSM_9compositeIJNSM_27transparent_binary_operatorINSA_8equal_toIvEEEENSN_INSM_8argumentILj0EEEEENSM_5valueIyEEEEEEEEEEEE10hipError_tPvRmT3_T4_T5_T6_T7_T9_mT8_P12ihipStream_tbDpT10_ENKUlT_T0_E_clISt17integral_constantIbLb1EES1J_IbLb0EEEEDaS1F_S1G_EUlS1F_E_NS1_11comp_targetILNS1_3genE3ELNS1_11target_archE908ELNS1_3gpuE7ELNS1_3repE0EEENS1_30default_config_static_selectorELNS0_4arch9wavefront6targetE0EEEvT1_.kd
    .uniform_work_group_size: 1
    .uses_dynamic_stack: false
    .vgpr_count:     0
    .vgpr_spill_count: 0
    .wavefront_size: 32
    .workgroup_processor_mode: 1
  - .args:
      - .offset:         0
        .size:           128
        .value_kind:     by_value
    .group_segment_fixed_size: 0
    .kernarg_segment_align: 8
    .kernarg_segment_size: 128
    .language:       OpenCL C
    .language_version:
      - 2
      - 0
    .max_flat_workgroup_size: 256
    .name:           _ZN7rocprim17ROCPRIM_400000_NS6detail17trampoline_kernelINS0_14default_configENS1_25partition_config_selectorILNS1_17partition_subalgoE6EyNS0_10empty_typeEbEEZZNS1_14partition_implILS5_6ELb0ES3_mN6thrust23THRUST_200600_302600_NS6detail15normal_iteratorINSA_10device_ptrIyEEEEPS6_SG_NS0_5tupleIJSF_S6_EEENSH_IJSG_SG_EEES6_PlJNSB_9not_fun_tINSB_10functional5actorINSM_9compositeIJNSM_27transparent_binary_operatorINSA_8equal_toIvEEEENSN_INSM_8argumentILj0EEEEENSM_5valueIyEEEEEEEEEEEE10hipError_tPvRmT3_T4_T5_T6_T7_T9_mT8_P12ihipStream_tbDpT10_ENKUlT_T0_E_clISt17integral_constantIbLb1EES1J_IbLb0EEEEDaS1F_S1G_EUlS1F_E_NS1_11comp_targetILNS1_3genE2ELNS1_11target_archE906ELNS1_3gpuE6ELNS1_3repE0EEENS1_30default_config_static_selectorELNS0_4arch9wavefront6targetE0EEEvT1_
    .private_segment_fixed_size: 0
    .sgpr_count:     0
    .sgpr_spill_count: 0
    .symbol:         _ZN7rocprim17ROCPRIM_400000_NS6detail17trampoline_kernelINS0_14default_configENS1_25partition_config_selectorILNS1_17partition_subalgoE6EyNS0_10empty_typeEbEEZZNS1_14partition_implILS5_6ELb0ES3_mN6thrust23THRUST_200600_302600_NS6detail15normal_iteratorINSA_10device_ptrIyEEEEPS6_SG_NS0_5tupleIJSF_S6_EEENSH_IJSG_SG_EEES6_PlJNSB_9not_fun_tINSB_10functional5actorINSM_9compositeIJNSM_27transparent_binary_operatorINSA_8equal_toIvEEEENSN_INSM_8argumentILj0EEEEENSM_5valueIyEEEEEEEEEEEE10hipError_tPvRmT3_T4_T5_T6_T7_T9_mT8_P12ihipStream_tbDpT10_ENKUlT_T0_E_clISt17integral_constantIbLb1EES1J_IbLb0EEEEDaS1F_S1G_EUlS1F_E_NS1_11comp_targetILNS1_3genE2ELNS1_11target_archE906ELNS1_3gpuE6ELNS1_3repE0EEENS1_30default_config_static_selectorELNS0_4arch9wavefront6targetE0EEEvT1_.kd
    .uniform_work_group_size: 1
    .uses_dynamic_stack: false
    .vgpr_count:     0
    .vgpr_spill_count: 0
    .wavefront_size: 32
    .workgroup_processor_mode: 1
  - .args:
      - .offset:         0
        .size:           128
        .value_kind:     by_value
    .group_segment_fixed_size: 0
    .kernarg_segment_align: 8
    .kernarg_segment_size: 128
    .language:       OpenCL C
    .language_version:
      - 2
      - 0
    .max_flat_workgroup_size: 256
    .name:           _ZN7rocprim17ROCPRIM_400000_NS6detail17trampoline_kernelINS0_14default_configENS1_25partition_config_selectorILNS1_17partition_subalgoE6EyNS0_10empty_typeEbEEZZNS1_14partition_implILS5_6ELb0ES3_mN6thrust23THRUST_200600_302600_NS6detail15normal_iteratorINSA_10device_ptrIyEEEEPS6_SG_NS0_5tupleIJSF_S6_EEENSH_IJSG_SG_EEES6_PlJNSB_9not_fun_tINSB_10functional5actorINSM_9compositeIJNSM_27transparent_binary_operatorINSA_8equal_toIvEEEENSN_INSM_8argumentILj0EEEEENSM_5valueIyEEEEEEEEEEEE10hipError_tPvRmT3_T4_T5_T6_T7_T9_mT8_P12ihipStream_tbDpT10_ENKUlT_T0_E_clISt17integral_constantIbLb1EES1J_IbLb0EEEEDaS1F_S1G_EUlS1F_E_NS1_11comp_targetILNS1_3genE10ELNS1_11target_archE1200ELNS1_3gpuE4ELNS1_3repE0EEENS1_30default_config_static_selectorELNS0_4arch9wavefront6targetE0EEEvT1_
    .private_segment_fixed_size: 0
    .sgpr_count:     0
    .sgpr_spill_count: 0
    .symbol:         _ZN7rocprim17ROCPRIM_400000_NS6detail17trampoline_kernelINS0_14default_configENS1_25partition_config_selectorILNS1_17partition_subalgoE6EyNS0_10empty_typeEbEEZZNS1_14partition_implILS5_6ELb0ES3_mN6thrust23THRUST_200600_302600_NS6detail15normal_iteratorINSA_10device_ptrIyEEEEPS6_SG_NS0_5tupleIJSF_S6_EEENSH_IJSG_SG_EEES6_PlJNSB_9not_fun_tINSB_10functional5actorINSM_9compositeIJNSM_27transparent_binary_operatorINSA_8equal_toIvEEEENSN_INSM_8argumentILj0EEEEENSM_5valueIyEEEEEEEEEEEE10hipError_tPvRmT3_T4_T5_T6_T7_T9_mT8_P12ihipStream_tbDpT10_ENKUlT_T0_E_clISt17integral_constantIbLb1EES1J_IbLb0EEEEDaS1F_S1G_EUlS1F_E_NS1_11comp_targetILNS1_3genE10ELNS1_11target_archE1200ELNS1_3gpuE4ELNS1_3repE0EEENS1_30default_config_static_selectorELNS0_4arch9wavefront6targetE0EEEvT1_.kd
    .uniform_work_group_size: 1
    .uses_dynamic_stack: false
    .vgpr_count:     0
    .vgpr_spill_count: 0
    .wavefront_size: 32
    .workgroup_processor_mode: 1
  - .args:
      - .offset:         0
        .size:           128
        .value_kind:     by_value
    .group_segment_fixed_size: 0
    .kernarg_segment_align: 8
    .kernarg_segment_size: 128
    .language:       OpenCL C
    .language_version:
      - 2
      - 0
    .max_flat_workgroup_size: 384
    .name:           _ZN7rocprim17ROCPRIM_400000_NS6detail17trampoline_kernelINS0_14default_configENS1_25partition_config_selectorILNS1_17partition_subalgoE6EyNS0_10empty_typeEbEEZZNS1_14partition_implILS5_6ELb0ES3_mN6thrust23THRUST_200600_302600_NS6detail15normal_iteratorINSA_10device_ptrIyEEEEPS6_SG_NS0_5tupleIJSF_S6_EEENSH_IJSG_SG_EEES6_PlJNSB_9not_fun_tINSB_10functional5actorINSM_9compositeIJNSM_27transparent_binary_operatorINSA_8equal_toIvEEEENSN_INSM_8argumentILj0EEEEENSM_5valueIyEEEEEEEEEEEE10hipError_tPvRmT3_T4_T5_T6_T7_T9_mT8_P12ihipStream_tbDpT10_ENKUlT_T0_E_clISt17integral_constantIbLb1EES1J_IbLb0EEEEDaS1F_S1G_EUlS1F_E_NS1_11comp_targetILNS1_3genE9ELNS1_11target_archE1100ELNS1_3gpuE3ELNS1_3repE0EEENS1_30default_config_static_selectorELNS0_4arch9wavefront6targetE0EEEvT1_
    .private_segment_fixed_size: 0
    .sgpr_count:     0
    .sgpr_spill_count: 0
    .symbol:         _ZN7rocprim17ROCPRIM_400000_NS6detail17trampoline_kernelINS0_14default_configENS1_25partition_config_selectorILNS1_17partition_subalgoE6EyNS0_10empty_typeEbEEZZNS1_14partition_implILS5_6ELb0ES3_mN6thrust23THRUST_200600_302600_NS6detail15normal_iteratorINSA_10device_ptrIyEEEEPS6_SG_NS0_5tupleIJSF_S6_EEENSH_IJSG_SG_EEES6_PlJNSB_9not_fun_tINSB_10functional5actorINSM_9compositeIJNSM_27transparent_binary_operatorINSA_8equal_toIvEEEENSN_INSM_8argumentILj0EEEEENSM_5valueIyEEEEEEEEEEEE10hipError_tPvRmT3_T4_T5_T6_T7_T9_mT8_P12ihipStream_tbDpT10_ENKUlT_T0_E_clISt17integral_constantIbLb1EES1J_IbLb0EEEEDaS1F_S1G_EUlS1F_E_NS1_11comp_targetILNS1_3genE9ELNS1_11target_archE1100ELNS1_3gpuE3ELNS1_3repE0EEENS1_30default_config_static_selectorELNS0_4arch9wavefront6targetE0EEEvT1_.kd
    .uniform_work_group_size: 1
    .uses_dynamic_stack: false
    .vgpr_count:     0
    .vgpr_spill_count: 0
    .wavefront_size: 32
    .workgroup_processor_mode: 1
  - .args:
      - .offset:         0
        .size:           128
        .value_kind:     by_value
    .group_segment_fixed_size: 0
    .kernarg_segment_align: 8
    .kernarg_segment_size: 128
    .language:       OpenCL C
    .language_version:
      - 2
      - 0
    .max_flat_workgroup_size: 512
    .name:           _ZN7rocprim17ROCPRIM_400000_NS6detail17trampoline_kernelINS0_14default_configENS1_25partition_config_selectorILNS1_17partition_subalgoE6EyNS0_10empty_typeEbEEZZNS1_14partition_implILS5_6ELb0ES3_mN6thrust23THRUST_200600_302600_NS6detail15normal_iteratorINSA_10device_ptrIyEEEEPS6_SG_NS0_5tupleIJSF_S6_EEENSH_IJSG_SG_EEES6_PlJNSB_9not_fun_tINSB_10functional5actorINSM_9compositeIJNSM_27transparent_binary_operatorINSA_8equal_toIvEEEENSN_INSM_8argumentILj0EEEEENSM_5valueIyEEEEEEEEEEEE10hipError_tPvRmT3_T4_T5_T6_T7_T9_mT8_P12ihipStream_tbDpT10_ENKUlT_T0_E_clISt17integral_constantIbLb1EES1J_IbLb0EEEEDaS1F_S1G_EUlS1F_E_NS1_11comp_targetILNS1_3genE8ELNS1_11target_archE1030ELNS1_3gpuE2ELNS1_3repE0EEENS1_30default_config_static_selectorELNS0_4arch9wavefront6targetE0EEEvT1_
    .private_segment_fixed_size: 0
    .sgpr_count:     0
    .sgpr_spill_count: 0
    .symbol:         _ZN7rocprim17ROCPRIM_400000_NS6detail17trampoline_kernelINS0_14default_configENS1_25partition_config_selectorILNS1_17partition_subalgoE6EyNS0_10empty_typeEbEEZZNS1_14partition_implILS5_6ELb0ES3_mN6thrust23THRUST_200600_302600_NS6detail15normal_iteratorINSA_10device_ptrIyEEEEPS6_SG_NS0_5tupleIJSF_S6_EEENSH_IJSG_SG_EEES6_PlJNSB_9not_fun_tINSB_10functional5actorINSM_9compositeIJNSM_27transparent_binary_operatorINSA_8equal_toIvEEEENSN_INSM_8argumentILj0EEEEENSM_5valueIyEEEEEEEEEEEE10hipError_tPvRmT3_T4_T5_T6_T7_T9_mT8_P12ihipStream_tbDpT10_ENKUlT_T0_E_clISt17integral_constantIbLb1EES1J_IbLb0EEEEDaS1F_S1G_EUlS1F_E_NS1_11comp_targetILNS1_3genE8ELNS1_11target_archE1030ELNS1_3gpuE2ELNS1_3repE0EEENS1_30default_config_static_selectorELNS0_4arch9wavefront6targetE0EEEvT1_.kd
    .uniform_work_group_size: 1
    .uses_dynamic_stack: false
    .vgpr_count:     0
    .vgpr_spill_count: 0
    .wavefront_size: 32
    .workgroup_processor_mode: 1
  - .args:
      - .offset:         0
        .size:           136
        .value_kind:     by_value
    .group_segment_fixed_size: 0
    .kernarg_segment_align: 8
    .kernarg_segment_size: 136
    .language:       OpenCL C
    .language_version:
      - 2
      - 0
    .max_flat_workgroup_size: 128
    .name:           _ZN7rocprim17ROCPRIM_400000_NS6detail17trampoline_kernelINS0_14default_configENS1_25partition_config_selectorILNS1_17partition_subalgoE6EyNS0_10empty_typeEbEEZZNS1_14partition_implILS5_6ELb0ES3_mN6thrust23THRUST_200600_302600_NS6detail15normal_iteratorINSA_10device_ptrIyEEEEPS6_SG_NS0_5tupleIJSF_S6_EEENSH_IJSG_SG_EEES6_PlJNSB_9not_fun_tINSB_10functional5actorINSM_9compositeIJNSM_27transparent_binary_operatorINSA_8equal_toIvEEEENSN_INSM_8argumentILj0EEEEENSM_5valueIyEEEEEEEEEEEE10hipError_tPvRmT3_T4_T5_T6_T7_T9_mT8_P12ihipStream_tbDpT10_ENKUlT_T0_E_clISt17integral_constantIbLb0EES1J_IbLb1EEEEDaS1F_S1G_EUlS1F_E_NS1_11comp_targetILNS1_3genE0ELNS1_11target_archE4294967295ELNS1_3gpuE0ELNS1_3repE0EEENS1_30default_config_static_selectorELNS0_4arch9wavefront6targetE0EEEvT1_
    .private_segment_fixed_size: 0
    .sgpr_count:     0
    .sgpr_spill_count: 0
    .symbol:         _ZN7rocprim17ROCPRIM_400000_NS6detail17trampoline_kernelINS0_14default_configENS1_25partition_config_selectorILNS1_17partition_subalgoE6EyNS0_10empty_typeEbEEZZNS1_14partition_implILS5_6ELb0ES3_mN6thrust23THRUST_200600_302600_NS6detail15normal_iteratorINSA_10device_ptrIyEEEEPS6_SG_NS0_5tupleIJSF_S6_EEENSH_IJSG_SG_EEES6_PlJNSB_9not_fun_tINSB_10functional5actorINSM_9compositeIJNSM_27transparent_binary_operatorINSA_8equal_toIvEEEENSN_INSM_8argumentILj0EEEEENSM_5valueIyEEEEEEEEEEEE10hipError_tPvRmT3_T4_T5_T6_T7_T9_mT8_P12ihipStream_tbDpT10_ENKUlT_T0_E_clISt17integral_constantIbLb0EES1J_IbLb1EEEEDaS1F_S1G_EUlS1F_E_NS1_11comp_targetILNS1_3genE0ELNS1_11target_archE4294967295ELNS1_3gpuE0ELNS1_3repE0EEENS1_30default_config_static_selectorELNS0_4arch9wavefront6targetE0EEEvT1_.kd
    .uniform_work_group_size: 1
    .uses_dynamic_stack: false
    .vgpr_count:     0
    .vgpr_spill_count: 0
    .wavefront_size: 32
    .workgroup_processor_mode: 1
  - .args:
      - .offset:         0
        .size:           136
        .value_kind:     by_value
    .group_segment_fixed_size: 0
    .kernarg_segment_align: 8
    .kernarg_segment_size: 136
    .language:       OpenCL C
    .language_version:
      - 2
      - 0
    .max_flat_workgroup_size: 512
    .name:           _ZN7rocprim17ROCPRIM_400000_NS6detail17trampoline_kernelINS0_14default_configENS1_25partition_config_selectorILNS1_17partition_subalgoE6EyNS0_10empty_typeEbEEZZNS1_14partition_implILS5_6ELb0ES3_mN6thrust23THRUST_200600_302600_NS6detail15normal_iteratorINSA_10device_ptrIyEEEEPS6_SG_NS0_5tupleIJSF_S6_EEENSH_IJSG_SG_EEES6_PlJNSB_9not_fun_tINSB_10functional5actorINSM_9compositeIJNSM_27transparent_binary_operatorINSA_8equal_toIvEEEENSN_INSM_8argumentILj0EEEEENSM_5valueIyEEEEEEEEEEEE10hipError_tPvRmT3_T4_T5_T6_T7_T9_mT8_P12ihipStream_tbDpT10_ENKUlT_T0_E_clISt17integral_constantIbLb0EES1J_IbLb1EEEEDaS1F_S1G_EUlS1F_E_NS1_11comp_targetILNS1_3genE5ELNS1_11target_archE942ELNS1_3gpuE9ELNS1_3repE0EEENS1_30default_config_static_selectorELNS0_4arch9wavefront6targetE0EEEvT1_
    .private_segment_fixed_size: 0
    .sgpr_count:     0
    .sgpr_spill_count: 0
    .symbol:         _ZN7rocprim17ROCPRIM_400000_NS6detail17trampoline_kernelINS0_14default_configENS1_25partition_config_selectorILNS1_17partition_subalgoE6EyNS0_10empty_typeEbEEZZNS1_14partition_implILS5_6ELb0ES3_mN6thrust23THRUST_200600_302600_NS6detail15normal_iteratorINSA_10device_ptrIyEEEEPS6_SG_NS0_5tupleIJSF_S6_EEENSH_IJSG_SG_EEES6_PlJNSB_9not_fun_tINSB_10functional5actorINSM_9compositeIJNSM_27transparent_binary_operatorINSA_8equal_toIvEEEENSN_INSM_8argumentILj0EEEEENSM_5valueIyEEEEEEEEEEEE10hipError_tPvRmT3_T4_T5_T6_T7_T9_mT8_P12ihipStream_tbDpT10_ENKUlT_T0_E_clISt17integral_constantIbLb0EES1J_IbLb1EEEEDaS1F_S1G_EUlS1F_E_NS1_11comp_targetILNS1_3genE5ELNS1_11target_archE942ELNS1_3gpuE9ELNS1_3repE0EEENS1_30default_config_static_selectorELNS0_4arch9wavefront6targetE0EEEvT1_.kd
    .uniform_work_group_size: 1
    .uses_dynamic_stack: false
    .vgpr_count:     0
    .vgpr_spill_count: 0
    .wavefront_size: 32
    .workgroup_processor_mode: 1
  - .args:
      - .offset:         0
        .size:           136
        .value_kind:     by_value
    .group_segment_fixed_size: 0
    .kernarg_segment_align: 8
    .kernarg_segment_size: 136
    .language:       OpenCL C
    .language_version:
      - 2
      - 0
    .max_flat_workgroup_size: 512
    .name:           _ZN7rocprim17ROCPRIM_400000_NS6detail17trampoline_kernelINS0_14default_configENS1_25partition_config_selectorILNS1_17partition_subalgoE6EyNS0_10empty_typeEbEEZZNS1_14partition_implILS5_6ELb0ES3_mN6thrust23THRUST_200600_302600_NS6detail15normal_iteratorINSA_10device_ptrIyEEEEPS6_SG_NS0_5tupleIJSF_S6_EEENSH_IJSG_SG_EEES6_PlJNSB_9not_fun_tINSB_10functional5actorINSM_9compositeIJNSM_27transparent_binary_operatorINSA_8equal_toIvEEEENSN_INSM_8argumentILj0EEEEENSM_5valueIyEEEEEEEEEEEE10hipError_tPvRmT3_T4_T5_T6_T7_T9_mT8_P12ihipStream_tbDpT10_ENKUlT_T0_E_clISt17integral_constantIbLb0EES1J_IbLb1EEEEDaS1F_S1G_EUlS1F_E_NS1_11comp_targetILNS1_3genE4ELNS1_11target_archE910ELNS1_3gpuE8ELNS1_3repE0EEENS1_30default_config_static_selectorELNS0_4arch9wavefront6targetE0EEEvT1_
    .private_segment_fixed_size: 0
    .sgpr_count:     0
    .sgpr_spill_count: 0
    .symbol:         _ZN7rocprim17ROCPRIM_400000_NS6detail17trampoline_kernelINS0_14default_configENS1_25partition_config_selectorILNS1_17partition_subalgoE6EyNS0_10empty_typeEbEEZZNS1_14partition_implILS5_6ELb0ES3_mN6thrust23THRUST_200600_302600_NS6detail15normal_iteratorINSA_10device_ptrIyEEEEPS6_SG_NS0_5tupleIJSF_S6_EEENSH_IJSG_SG_EEES6_PlJNSB_9not_fun_tINSB_10functional5actorINSM_9compositeIJNSM_27transparent_binary_operatorINSA_8equal_toIvEEEENSN_INSM_8argumentILj0EEEEENSM_5valueIyEEEEEEEEEEEE10hipError_tPvRmT3_T4_T5_T6_T7_T9_mT8_P12ihipStream_tbDpT10_ENKUlT_T0_E_clISt17integral_constantIbLb0EES1J_IbLb1EEEEDaS1F_S1G_EUlS1F_E_NS1_11comp_targetILNS1_3genE4ELNS1_11target_archE910ELNS1_3gpuE8ELNS1_3repE0EEENS1_30default_config_static_selectorELNS0_4arch9wavefront6targetE0EEEvT1_.kd
    .uniform_work_group_size: 1
    .uses_dynamic_stack: false
    .vgpr_count:     0
    .vgpr_spill_count: 0
    .wavefront_size: 32
    .workgroup_processor_mode: 1
  - .args:
      - .offset:         0
        .size:           136
        .value_kind:     by_value
    .group_segment_fixed_size: 0
    .kernarg_segment_align: 8
    .kernarg_segment_size: 136
    .language:       OpenCL C
    .language_version:
      - 2
      - 0
    .max_flat_workgroup_size: 128
    .name:           _ZN7rocprim17ROCPRIM_400000_NS6detail17trampoline_kernelINS0_14default_configENS1_25partition_config_selectorILNS1_17partition_subalgoE6EyNS0_10empty_typeEbEEZZNS1_14partition_implILS5_6ELb0ES3_mN6thrust23THRUST_200600_302600_NS6detail15normal_iteratorINSA_10device_ptrIyEEEEPS6_SG_NS0_5tupleIJSF_S6_EEENSH_IJSG_SG_EEES6_PlJNSB_9not_fun_tINSB_10functional5actorINSM_9compositeIJNSM_27transparent_binary_operatorINSA_8equal_toIvEEEENSN_INSM_8argumentILj0EEEEENSM_5valueIyEEEEEEEEEEEE10hipError_tPvRmT3_T4_T5_T6_T7_T9_mT8_P12ihipStream_tbDpT10_ENKUlT_T0_E_clISt17integral_constantIbLb0EES1J_IbLb1EEEEDaS1F_S1G_EUlS1F_E_NS1_11comp_targetILNS1_3genE3ELNS1_11target_archE908ELNS1_3gpuE7ELNS1_3repE0EEENS1_30default_config_static_selectorELNS0_4arch9wavefront6targetE0EEEvT1_
    .private_segment_fixed_size: 0
    .sgpr_count:     0
    .sgpr_spill_count: 0
    .symbol:         _ZN7rocprim17ROCPRIM_400000_NS6detail17trampoline_kernelINS0_14default_configENS1_25partition_config_selectorILNS1_17partition_subalgoE6EyNS0_10empty_typeEbEEZZNS1_14partition_implILS5_6ELb0ES3_mN6thrust23THRUST_200600_302600_NS6detail15normal_iteratorINSA_10device_ptrIyEEEEPS6_SG_NS0_5tupleIJSF_S6_EEENSH_IJSG_SG_EEES6_PlJNSB_9not_fun_tINSB_10functional5actorINSM_9compositeIJNSM_27transparent_binary_operatorINSA_8equal_toIvEEEENSN_INSM_8argumentILj0EEEEENSM_5valueIyEEEEEEEEEEEE10hipError_tPvRmT3_T4_T5_T6_T7_T9_mT8_P12ihipStream_tbDpT10_ENKUlT_T0_E_clISt17integral_constantIbLb0EES1J_IbLb1EEEEDaS1F_S1G_EUlS1F_E_NS1_11comp_targetILNS1_3genE3ELNS1_11target_archE908ELNS1_3gpuE7ELNS1_3repE0EEENS1_30default_config_static_selectorELNS0_4arch9wavefront6targetE0EEEvT1_.kd
    .uniform_work_group_size: 1
    .uses_dynamic_stack: false
    .vgpr_count:     0
    .vgpr_spill_count: 0
    .wavefront_size: 32
    .workgroup_processor_mode: 1
  - .args:
      - .offset:         0
        .size:           136
        .value_kind:     by_value
    .group_segment_fixed_size: 0
    .kernarg_segment_align: 8
    .kernarg_segment_size: 136
    .language:       OpenCL C
    .language_version:
      - 2
      - 0
    .max_flat_workgroup_size: 256
    .name:           _ZN7rocprim17ROCPRIM_400000_NS6detail17trampoline_kernelINS0_14default_configENS1_25partition_config_selectorILNS1_17partition_subalgoE6EyNS0_10empty_typeEbEEZZNS1_14partition_implILS5_6ELb0ES3_mN6thrust23THRUST_200600_302600_NS6detail15normal_iteratorINSA_10device_ptrIyEEEEPS6_SG_NS0_5tupleIJSF_S6_EEENSH_IJSG_SG_EEES6_PlJNSB_9not_fun_tINSB_10functional5actorINSM_9compositeIJNSM_27transparent_binary_operatorINSA_8equal_toIvEEEENSN_INSM_8argumentILj0EEEEENSM_5valueIyEEEEEEEEEEEE10hipError_tPvRmT3_T4_T5_T6_T7_T9_mT8_P12ihipStream_tbDpT10_ENKUlT_T0_E_clISt17integral_constantIbLb0EES1J_IbLb1EEEEDaS1F_S1G_EUlS1F_E_NS1_11comp_targetILNS1_3genE2ELNS1_11target_archE906ELNS1_3gpuE6ELNS1_3repE0EEENS1_30default_config_static_selectorELNS0_4arch9wavefront6targetE0EEEvT1_
    .private_segment_fixed_size: 0
    .sgpr_count:     0
    .sgpr_spill_count: 0
    .symbol:         _ZN7rocprim17ROCPRIM_400000_NS6detail17trampoline_kernelINS0_14default_configENS1_25partition_config_selectorILNS1_17partition_subalgoE6EyNS0_10empty_typeEbEEZZNS1_14partition_implILS5_6ELb0ES3_mN6thrust23THRUST_200600_302600_NS6detail15normal_iteratorINSA_10device_ptrIyEEEEPS6_SG_NS0_5tupleIJSF_S6_EEENSH_IJSG_SG_EEES6_PlJNSB_9not_fun_tINSB_10functional5actorINSM_9compositeIJNSM_27transparent_binary_operatorINSA_8equal_toIvEEEENSN_INSM_8argumentILj0EEEEENSM_5valueIyEEEEEEEEEEEE10hipError_tPvRmT3_T4_T5_T6_T7_T9_mT8_P12ihipStream_tbDpT10_ENKUlT_T0_E_clISt17integral_constantIbLb0EES1J_IbLb1EEEEDaS1F_S1G_EUlS1F_E_NS1_11comp_targetILNS1_3genE2ELNS1_11target_archE906ELNS1_3gpuE6ELNS1_3repE0EEENS1_30default_config_static_selectorELNS0_4arch9wavefront6targetE0EEEvT1_.kd
    .uniform_work_group_size: 1
    .uses_dynamic_stack: false
    .vgpr_count:     0
    .vgpr_spill_count: 0
    .wavefront_size: 32
    .workgroup_processor_mode: 1
  - .args:
      - .offset:         0
        .size:           136
        .value_kind:     by_value
    .group_segment_fixed_size: 8464
    .kernarg_segment_align: 8
    .kernarg_segment_size: 136
    .language:       OpenCL C
    .language_version:
      - 2
      - 0
    .max_flat_workgroup_size: 256
    .name:           _ZN7rocprim17ROCPRIM_400000_NS6detail17trampoline_kernelINS0_14default_configENS1_25partition_config_selectorILNS1_17partition_subalgoE6EyNS0_10empty_typeEbEEZZNS1_14partition_implILS5_6ELb0ES3_mN6thrust23THRUST_200600_302600_NS6detail15normal_iteratorINSA_10device_ptrIyEEEEPS6_SG_NS0_5tupleIJSF_S6_EEENSH_IJSG_SG_EEES6_PlJNSB_9not_fun_tINSB_10functional5actorINSM_9compositeIJNSM_27transparent_binary_operatorINSA_8equal_toIvEEEENSN_INSM_8argumentILj0EEEEENSM_5valueIyEEEEEEEEEEEE10hipError_tPvRmT3_T4_T5_T6_T7_T9_mT8_P12ihipStream_tbDpT10_ENKUlT_T0_E_clISt17integral_constantIbLb0EES1J_IbLb1EEEEDaS1F_S1G_EUlS1F_E_NS1_11comp_targetILNS1_3genE10ELNS1_11target_archE1200ELNS1_3gpuE4ELNS1_3repE0EEENS1_30default_config_static_selectorELNS0_4arch9wavefront6targetE0EEEvT1_
    .private_segment_fixed_size: 0
    .sgpr_count:     26
    .sgpr_spill_count: 0
    .symbol:         _ZN7rocprim17ROCPRIM_400000_NS6detail17trampoline_kernelINS0_14default_configENS1_25partition_config_selectorILNS1_17partition_subalgoE6EyNS0_10empty_typeEbEEZZNS1_14partition_implILS5_6ELb0ES3_mN6thrust23THRUST_200600_302600_NS6detail15normal_iteratorINSA_10device_ptrIyEEEEPS6_SG_NS0_5tupleIJSF_S6_EEENSH_IJSG_SG_EEES6_PlJNSB_9not_fun_tINSB_10functional5actorINSM_9compositeIJNSM_27transparent_binary_operatorINSA_8equal_toIvEEEENSN_INSM_8argumentILj0EEEEENSM_5valueIyEEEEEEEEEEEE10hipError_tPvRmT3_T4_T5_T6_T7_T9_mT8_P12ihipStream_tbDpT10_ENKUlT_T0_E_clISt17integral_constantIbLb0EES1J_IbLb1EEEEDaS1F_S1G_EUlS1F_E_NS1_11comp_targetILNS1_3genE10ELNS1_11target_archE1200ELNS1_3gpuE4ELNS1_3repE0EEENS1_30default_config_static_selectorELNS0_4arch9wavefront6targetE0EEEvT1_.kd
    .uniform_work_group_size: 1
    .uses_dynamic_stack: false
    .vgpr_count:     48
    .vgpr_spill_count: 0
    .wavefront_size: 32
    .workgroup_processor_mode: 1
  - .args:
      - .offset:         0
        .size:           136
        .value_kind:     by_value
    .group_segment_fixed_size: 0
    .kernarg_segment_align: 8
    .kernarg_segment_size: 136
    .language:       OpenCL C
    .language_version:
      - 2
      - 0
    .max_flat_workgroup_size: 384
    .name:           _ZN7rocprim17ROCPRIM_400000_NS6detail17trampoline_kernelINS0_14default_configENS1_25partition_config_selectorILNS1_17partition_subalgoE6EyNS0_10empty_typeEbEEZZNS1_14partition_implILS5_6ELb0ES3_mN6thrust23THRUST_200600_302600_NS6detail15normal_iteratorINSA_10device_ptrIyEEEEPS6_SG_NS0_5tupleIJSF_S6_EEENSH_IJSG_SG_EEES6_PlJNSB_9not_fun_tINSB_10functional5actorINSM_9compositeIJNSM_27transparent_binary_operatorINSA_8equal_toIvEEEENSN_INSM_8argumentILj0EEEEENSM_5valueIyEEEEEEEEEEEE10hipError_tPvRmT3_T4_T5_T6_T7_T9_mT8_P12ihipStream_tbDpT10_ENKUlT_T0_E_clISt17integral_constantIbLb0EES1J_IbLb1EEEEDaS1F_S1G_EUlS1F_E_NS1_11comp_targetILNS1_3genE9ELNS1_11target_archE1100ELNS1_3gpuE3ELNS1_3repE0EEENS1_30default_config_static_selectorELNS0_4arch9wavefront6targetE0EEEvT1_
    .private_segment_fixed_size: 0
    .sgpr_count:     0
    .sgpr_spill_count: 0
    .symbol:         _ZN7rocprim17ROCPRIM_400000_NS6detail17trampoline_kernelINS0_14default_configENS1_25partition_config_selectorILNS1_17partition_subalgoE6EyNS0_10empty_typeEbEEZZNS1_14partition_implILS5_6ELb0ES3_mN6thrust23THRUST_200600_302600_NS6detail15normal_iteratorINSA_10device_ptrIyEEEEPS6_SG_NS0_5tupleIJSF_S6_EEENSH_IJSG_SG_EEES6_PlJNSB_9not_fun_tINSB_10functional5actorINSM_9compositeIJNSM_27transparent_binary_operatorINSA_8equal_toIvEEEENSN_INSM_8argumentILj0EEEEENSM_5valueIyEEEEEEEEEEEE10hipError_tPvRmT3_T4_T5_T6_T7_T9_mT8_P12ihipStream_tbDpT10_ENKUlT_T0_E_clISt17integral_constantIbLb0EES1J_IbLb1EEEEDaS1F_S1G_EUlS1F_E_NS1_11comp_targetILNS1_3genE9ELNS1_11target_archE1100ELNS1_3gpuE3ELNS1_3repE0EEENS1_30default_config_static_selectorELNS0_4arch9wavefront6targetE0EEEvT1_.kd
    .uniform_work_group_size: 1
    .uses_dynamic_stack: false
    .vgpr_count:     0
    .vgpr_spill_count: 0
    .wavefront_size: 32
    .workgroup_processor_mode: 1
  - .args:
      - .offset:         0
        .size:           136
        .value_kind:     by_value
    .group_segment_fixed_size: 0
    .kernarg_segment_align: 8
    .kernarg_segment_size: 136
    .language:       OpenCL C
    .language_version:
      - 2
      - 0
    .max_flat_workgroup_size: 512
    .name:           _ZN7rocprim17ROCPRIM_400000_NS6detail17trampoline_kernelINS0_14default_configENS1_25partition_config_selectorILNS1_17partition_subalgoE6EyNS0_10empty_typeEbEEZZNS1_14partition_implILS5_6ELb0ES3_mN6thrust23THRUST_200600_302600_NS6detail15normal_iteratorINSA_10device_ptrIyEEEEPS6_SG_NS0_5tupleIJSF_S6_EEENSH_IJSG_SG_EEES6_PlJNSB_9not_fun_tINSB_10functional5actorINSM_9compositeIJNSM_27transparent_binary_operatorINSA_8equal_toIvEEEENSN_INSM_8argumentILj0EEEEENSM_5valueIyEEEEEEEEEEEE10hipError_tPvRmT3_T4_T5_T6_T7_T9_mT8_P12ihipStream_tbDpT10_ENKUlT_T0_E_clISt17integral_constantIbLb0EES1J_IbLb1EEEEDaS1F_S1G_EUlS1F_E_NS1_11comp_targetILNS1_3genE8ELNS1_11target_archE1030ELNS1_3gpuE2ELNS1_3repE0EEENS1_30default_config_static_selectorELNS0_4arch9wavefront6targetE0EEEvT1_
    .private_segment_fixed_size: 0
    .sgpr_count:     0
    .sgpr_spill_count: 0
    .symbol:         _ZN7rocprim17ROCPRIM_400000_NS6detail17trampoline_kernelINS0_14default_configENS1_25partition_config_selectorILNS1_17partition_subalgoE6EyNS0_10empty_typeEbEEZZNS1_14partition_implILS5_6ELb0ES3_mN6thrust23THRUST_200600_302600_NS6detail15normal_iteratorINSA_10device_ptrIyEEEEPS6_SG_NS0_5tupleIJSF_S6_EEENSH_IJSG_SG_EEES6_PlJNSB_9not_fun_tINSB_10functional5actorINSM_9compositeIJNSM_27transparent_binary_operatorINSA_8equal_toIvEEEENSN_INSM_8argumentILj0EEEEENSM_5valueIyEEEEEEEEEEEE10hipError_tPvRmT3_T4_T5_T6_T7_T9_mT8_P12ihipStream_tbDpT10_ENKUlT_T0_E_clISt17integral_constantIbLb0EES1J_IbLb1EEEEDaS1F_S1G_EUlS1F_E_NS1_11comp_targetILNS1_3genE8ELNS1_11target_archE1030ELNS1_3gpuE2ELNS1_3repE0EEENS1_30default_config_static_selectorELNS0_4arch9wavefront6targetE0EEEvT1_.kd
    .uniform_work_group_size: 1
    .uses_dynamic_stack: false
    .vgpr_count:     0
    .vgpr_spill_count: 0
    .wavefront_size: 32
    .workgroup_processor_mode: 1
  - .args:
      - .offset:         0
        .size:           16
        .value_kind:     by_value
      - .offset:         16
        .size:           8
        .value_kind:     by_value
      - .offset:         24
        .size:           8
        .value_kind:     by_value
    .group_segment_fixed_size: 0
    .kernarg_segment_align: 8
    .kernarg_segment_size: 32
    .language:       OpenCL C
    .language_version:
      - 2
      - 0
    .max_flat_workgroup_size: 256
    .name:           _ZN6thrust23THRUST_200600_302600_NS11hip_rocprim14__parallel_for6kernelILj256ENS1_20__uninitialized_fill7functorINS0_10device_ptrIjEEjEEmLj1EEEvT0_T1_SA_
    .private_segment_fixed_size: 0
    .sgpr_count:     14
    .sgpr_spill_count: 0
    .symbol:         _ZN6thrust23THRUST_200600_302600_NS11hip_rocprim14__parallel_for6kernelILj256ENS1_20__uninitialized_fill7functorINS0_10device_ptrIjEEjEEmLj1EEEvT0_T1_SA_.kd
    .uniform_work_group_size: 1
    .uses_dynamic_stack: false
    .vgpr_count:     4
    .vgpr_spill_count: 0
    .wavefront_size: 32
    .workgroup_processor_mode: 1
  - .args:
      - .offset:         0
        .size:           120
        .value_kind:     by_value
    .group_segment_fixed_size: 0
    .kernarg_segment_align: 8
    .kernarg_segment_size: 120
    .language:       OpenCL C
    .language_version:
      - 2
      - 0
    .max_flat_workgroup_size: 256
    .name:           _ZN7rocprim17ROCPRIM_400000_NS6detail17trampoline_kernelINS0_14default_configENS1_25partition_config_selectorILNS1_17partition_subalgoE6EjNS0_10empty_typeEbEEZZNS1_14partition_implILS5_6ELb0ES3_mN6thrust23THRUST_200600_302600_NS6detail15normal_iteratorINSA_10device_ptrIjEEEEPS6_SG_NS0_5tupleIJSF_S6_EEENSH_IJSG_SG_EEES6_PlJNSB_9not_fun_tINSB_10functional5actorINSM_9compositeIJNSM_27transparent_binary_operatorINSA_8equal_toIvEEEENSN_INSM_8argumentILj0EEEEENSM_5valueIjEEEEEEEEEEEE10hipError_tPvRmT3_T4_T5_T6_T7_T9_mT8_P12ihipStream_tbDpT10_ENKUlT_T0_E_clISt17integral_constantIbLb0EES1K_EEDaS1F_S1G_EUlS1F_E_NS1_11comp_targetILNS1_3genE0ELNS1_11target_archE4294967295ELNS1_3gpuE0ELNS1_3repE0EEENS1_30default_config_static_selectorELNS0_4arch9wavefront6targetE0EEEvT1_
    .private_segment_fixed_size: 0
    .sgpr_count:     0
    .sgpr_spill_count: 0
    .symbol:         _ZN7rocprim17ROCPRIM_400000_NS6detail17trampoline_kernelINS0_14default_configENS1_25partition_config_selectorILNS1_17partition_subalgoE6EjNS0_10empty_typeEbEEZZNS1_14partition_implILS5_6ELb0ES3_mN6thrust23THRUST_200600_302600_NS6detail15normal_iteratorINSA_10device_ptrIjEEEEPS6_SG_NS0_5tupleIJSF_S6_EEENSH_IJSG_SG_EEES6_PlJNSB_9not_fun_tINSB_10functional5actorINSM_9compositeIJNSM_27transparent_binary_operatorINSA_8equal_toIvEEEENSN_INSM_8argumentILj0EEEEENSM_5valueIjEEEEEEEEEEEE10hipError_tPvRmT3_T4_T5_T6_T7_T9_mT8_P12ihipStream_tbDpT10_ENKUlT_T0_E_clISt17integral_constantIbLb0EES1K_EEDaS1F_S1G_EUlS1F_E_NS1_11comp_targetILNS1_3genE0ELNS1_11target_archE4294967295ELNS1_3gpuE0ELNS1_3repE0EEENS1_30default_config_static_selectorELNS0_4arch9wavefront6targetE0EEEvT1_.kd
    .uniform_work_group_size: 1
    .uses_dynamic_stack: false
    .vgpr_count:     0
    .vgpr_spill_count: 0
    .wavefront_size: 32
    .workgroup_processor_mode: 1
  - .args:
      - .offset:         0
        .size:           120
        .value_kind:     by_value
    .group_segment_fixed_size: 0
    .kernarg_segment_align: 8
    .kernarg_segment_size: 120
    .language:       OpenCL C
    .language_version:
      - 2
      - 0
    .max_flat_workgroup_size: 512
    .name:           _ZN7rocprim17ROCPRIM_400000_NS6detail17trampoline_kernelINS0_14default_configENS1_25partition_config_selectorILNS1_17partition_subalgoE6EjNS0_10empty_typeEbEEZZNS1_14partition_implILS5_6ELb0ES3_mN6thrust23THRUST_200600_302600_NS6detail15normal_iteratorINSA_10device_ptrIjEEEEPS6_SG_NS0_5tupleIJSF_S6_EEENSH_IJSG_SG_EEES6_PlJNSB_9not_fun_tINSB_10functional5actorINSM_9compositeIJNSM_27transparent_binary_operatorINSA_8equal_toIvEEEENSN_INSM_8argumentILj0EEEEENSM_5valueIjEEEEEEEEEEEE10hipError_tPvRmT3_T4_T5_T6_T7_T9_mT8_P12ihipStream_tbDpT10_ENKUlT_T0_E_clISt17integral_constantIbLb0EES1K_EEDaS1F_S1G_EUlS1F_E_NS1_11comp_targetILNS1_3genE5ELNS1_11target_archE942ELNS1_3gpuE9ELNS1_3repE0EEENS1_30default_config_static_selectorELNS0_4arch9wavefront6targetE0EEEvT1_
    .private_segment_fixed_size: 0
    .sgpr_count:     0
    .sgpr_spill_count: 0
    .symbol:         _ZN7rocprim17ROCPRIM_400000_NS6detail17trampoline_kernelINS0_14default_configENS1_25partition_config_selectorILNS1_17partition_subalgoE6EjNS0_10empty_typeEbEEZZNS1_14partition_implILS5_6ELb0ES3_mN6thrust23THRUST_200600_302600_NS6detail15normal_iteratorINSA_10device_ptrIjEEEEPS6_SG_NS0_5tupleIJSF_S6_EEENSH_IJSG_SG_EEES6_PlJNSB_9not_fun_tINSB_10functional5actorINSM_9compositeIJNSM_27transparent_binary_operatorINSA_8equal_toIvEEEENSN_INSM_8argumentILj0EEEEENSM_5valueIjEEEEEEEEEEEE10hipError_tPvRmT3_T4_T5_T6_T7_T9_mT8_P12ihipStream_tbDpT10_ENKUlT_T0_E_clISt17integral_constantIbLb0EES1K_EEDaS1F_S1G_EUlS1F_E_NS1_11comp_targetILNS1_3genE5ELNS1_11target_archE942ELNS1_3gpuE9ELNS1_3repE0EEENS1_30default_config_static_selectorELNS0_4arch9wavefront6targetE0EEEvT1_.kd
    .uniform_work_group_size: 1
    .uses_dynamic_stack: false
    .vgpr_count:     0
    .vgpr_spill_count: 0
    .wavefront_size: 32
    .workgroup_processor_mode: 1
  - .args:
      - .offset:         0
        .size:           120
        .value_kind:     by_value
    .group_segment_fixed_size: 0
    .kernarg_segment_align: 8
    .kernarg_segment_size: 120
    .language:       OpenCL C
    .language_version:
      - 2
      - 0
    .max_flat_workgroup_size: 512
    .name:           _ZN7rocprim17ROCPRIM_400000_NS6detail17trampoline_kernelINS0_14default_configENS1_25partition_config_selectorILNS1_17partition_subalgoE6EjNS0_10empty_typeEbEEZZNS1_14partition_implILS5_6ELb0ES3_mN6thrust23THRUST_200600_302600_NS6detail15normal_iteratorINSA_10device_ptrIjEEEEPS6_SG_NS0_5tupleIJSF_S6_EEENSH_IJSG_SG_EEES6_PlJNSB_9not_fun_tINSB_10functional5actorINSM_9compositeIJNSM_27transparent_binary_operatorINSA_8equal_toIvEEEENSN_INSM_8argumentILj0EEEEENSM_5valueIjEEEEEEEEEEEE10hipError_tPvRmT3_T4_T5_T6_T7_T9_mT8_P12ihipStream_tbDpT10_ENKUlT_T0_E_clISt17integral_constantIbLb0EES1K_EEDaS1F_S1G_EUlS1F_E_NS1_11comp_targetILNS1_3genE4ELNS1_11target_archE910ELNS1_3gpuE8ELNS1_3repE0EEENS1_30default_config_static_selectorELNS0_4arch9wavefront6targetE0EEEvT1_
    .private_segment_fixed_size: 0
    .sgpr_count:     0
    .sgpr_spill_count: 0
    .symbol:         _ZN7rocprim17ROCPRIM_400000_NS6detail17trampoline_kernelINS0_14default_configENS1_25partition_config_selectorILNS1_17partition_subalgoE6EjNS0_10empty_typeEbEEZZNS1_14partition_implILS5_6ELb0ES3_mN6thrust23THRUST_200600_302600_NS6detail15normal_iteratorINSA_10device_ptrIjEEEEPS6_SG_NS0_5tupleIJSF_S6_EEENSH_IJSG_SG_EEES6_PlJNSB_9not_fun_tINSB_10functional5actorINSM_9compositeIJNSM_27transparent_binary_operatorINSA_8equal_toIvEEEENSN_INSM_8argumentILj0EEEEENSM_5valueIjEEEEEEEEEEEE10hipError_tPvRmT3_T4_T5_T6_T7_T9_mT8_P12ihipStream_tbDpT10_ENKUlT_T0_E_clISt17integral_constantIbLb0EES1K_EEDaS1F_S1G_EUlS1F_E_NS1_11comp_targetILNS1_3genE4ELNS1_11target_archE910ELNS1_3gpuE8ELNS1_3repE0EEENS1_30default_config_static_selectorELNS0_4arch9wavefront6targetE0EEEvT1_.kd
    .uniform_work_group_size: 1
    .uses_dynamic_stack: false
    .vgpr_count:     0
    .vgpr_spill_count: 0
    .wavefront_size: 32
    .workgroup_processor_mode: 1
  - .args:
      - .offset:         0
        .size:           120
        .value_kind:     by_value
    .group_segment_fixed_size: 0
    .kernarg_segment_align: 8
    .kernarg_segment_size: 120
    .language:       OpenCL C
    .language_version:
      - 2
      - 0
    .max_flat_workgroup_size: 256
    .name:           _ZN7rocprim17ROCPRIM_400000_NS6detail17trampoline_kernelINS0_14default_configENS1_25partition_config_selectorILNS1_17partition_subalgoE6EjNS0_10empty_typeEbEEZZNS1_14partition_implILS5_6ELb0ES3_mN6thrust23THRUST_200600_302600_NS6detail15normal_iteratorINSA_10device_ptrIjEEEEPS6_SG_NS0_5tupleIJSF_S6_EEENSH_IJSG_SG_EEES6_PlJNSB_9not_fun_tINSB_10functional5actorINSM_9compositeIJNSM_27transparent_binary_operatorINSA_8equal_toIvEEEENSN_INSM_8argumentILj0EEEEENSM_5valueIjEEEEEEEEEEEE10hipError_tPvRmT3_T4_T5_T6_T7_T9_mT8_P12ihipStream_tbDpT10_ENKUlT_T0_E_clISt17integral_constantIbLb0EES1K_EEDaS1F_S1G_EUlS1F_E_NS1_11comp_targetILNS1_3genE3ELNS1_11target_archE908ELNS1_3gpuE7ELNS1_3repE0EEENS1_30default_config_static_selectorELNS0_4arch9wavefront6targetE0EEEvT1_
    .private_segment_fixed_size: 0
    .sgpr_count:     0
    .sgpr_spill_count: 0
    .symbol:         _ZN7rocprim17ROCPRIM_400000_NS6detail17trampoline_kernelINS0_14default_configENS1_25partition_config_selectorILNS1_17partition_subalgoE6EjNS0_10empty_typeEbEEZZNS1_14partition_implILS5_6ELb0ES3_mN6thrust23THRUST_200600_302600_NS6detail15normal_iteratorINSA_10device_ptrIjEEEEPS6_SG_NS0_5tupleIJSF_S6_EEENSH_IJSG_SG_EEES6_PlJNSB_9not_fun_tINSB_10functional5actorINSM_9compositeIJNSM_27transparent_binary_operatorINSA_8equal_toIvEEEENSN_INSM_8argumentILj0EEEEENSM_5valueIjEEEEEEEEEEEE10hipError_tPvRmT3_T4_T5_T6_T7_T9_mT8_P12ihipStream_tbDpT10_ENKUlT_T0_E_clISt17integral_constantIbLb0EES1K_EEDaS1F_S1G_EUlS1F_E_NS1_11comp_targetILNS1_3genE3ELNS1_11target_archE908ELNS1_3gpuE7ELNS1_3repE0EEENS1_30default_config_static_selectorELNS0_4arch9wavefront6targetE0EEEvT1_.kd
    .uniform_work_group_size: 1
    .uses_dynamic_stack: false
    .vgpr_count:     0
    .vgpr_spill_count: 0
    .wavefront_size: 32
    .workgroup_processor_mode: 1
  - .args:
      - .offset:         0
        .size:           120
        .value_kind:     by_value
    .group_segment_fixed_size: 0
    .kernarg_segment_align: 8
    .kernarg_segment_size: 120
    .language:       OpenCL C
    .language_version:
      - 2
      - 0
    .max_flat_workgroup_size: 192
    .name:           _ZN7rocprim17ROCPRIM_400000_NS6detail17trampoline_kernelINS0_14default_configENS1_25partition_config_selectorILNS1_17partition_subalgoE6EjNS0_10empty_typeEbEEZZNS1_14partition_implILS5_6ELb0ES3_mN6thrust23THRUST_200600_302600_NS6detail15normal_iteratorINSA_10device_ptrIjEEEEPS6_SG_NS0_5tupleIJSF_S6_EEENSH_IJSG_SG_EEES6_PlJNSB_9not_fun_tINSB_10functional5actorINSM_9compositeIJNSM_27transparent_binary_operatorINSA_8equal_toIvEEEENSN_INSM_8argumentILj0EEEEENSM_5valueIjEEEEEEEEEEEE10hipError_tPvRmT3_T4_T5_T6_T7_T9_mT8_P12ihipStream_tbDpT10_ENKUlT_T0_E_clISt17integral_constantIbLb0EES1K_EEDaS1F_S1G_EUlS1F_E_NS1_11comp_targetILNS1_3genE2ELNS1_11target_archE906ELNS1_3gpuE6ELNS1_3repE0EEENS1_30default_config_static_selectorELNS0_4arch9wavefront6targetE0EEEvT1_
    .private_segment_fixed_size: 0
    .sgpr_count:     0
    .sgpr_spill_count: 0
    .symbol:         _ZN7rocprim17ROCPRIM_400000_NS6detail17trampoline_kernelINS0_14default_configENS1_25partition_config_selectorILNS1_17partition_subalgoE6EjNS0_10empty_typeEbEEZZNS1_14partition_implILS5_6ELb0ES3_mN6thrust23THRUST_200600_302600_NS6detail15normal_iteratorINSA_10device_ptrIjEEEEPS6_SG_NS0_5tupleIJSF_S6_EEENSH_IJSG_SG_EEES6_PlJNSB_9not_fun_tINSB_10functional5actorINSM_9compositeIJNSM_27transparent_binary_operatorINSA_8equal_toIvEEEENSN_INSM_8argumentILj0EEEEENSM_5valueIjEEEEEEEEEEEE10hipError_tPvRmT3_T4_T5_T6_T7_T9_mT8_P12ihipStream_tbDpT10_ENKUlT_T0_E_clISt17integral_constantIbLb0EES1K_EEDaS1F_S1G_EUlS1F_E_NS1_11comp_targetILNS1_3genE2ELNS1_11target_archE906ELNS1_3gpuE6ELNS1_3repE0EEENS1_30default_config_static_selectorELNS0_4arch9wavefront6targetE0EEEvT1_.kd
    .uniform_work_group_size: 1
    .uses_dynamic_stack: false
    .vgpr_count:     0
    .vgpr_spill_count: 0
    .wavefront_size: 32
    .workgroup_processor_mode: 1
  - .args:
      - .offset:         0
        .size:           120
        .value_kind:     by_value
    .group_segment_fixed_size: 10768
    .kernarg_segment_align: 8
    .kernarg_segment_size: 120
    .language:       OpenCL C
    .language_version:
      - 2
      - 0
    .max_flat_workgroup_size: 384
    .name:           _ZN7rocprim17ROCPRIM_400000_NS6detail17trampoline_kernelINS0_14default_configENS1_25partition_config_selectorILNS1_17partition_subalgoE6EjNS0_10empty_typeEbEEZZNS1_14partition_implILS5_6ELb0ES3_mN6thrust23THRUST_200600_302600_NS6detail15normal_iteratorINSA_10device_ptrIjEEEEPS6_SG_NS0_5tupleIJSF_S6_EEENSH_IJSG_SG_EEES6_PlJNSB_9not_fun_tINSB_10functional5actorINSM_9compositeIJNSM_27transparent_binary_operatorINSA_8equal_toIvEEEENSN_INSM_8argumentILj0EEEEENSM_5valueIjEEEEEEEEEEEE10hipError_tPvRmT3_T4_T5_T6_T7_T9_mT8_P12ihipStream_tbDpT10_ENKUlT_T0_E_clISt17integral_constantIbLb0EES1K_EEDaS1F_S1G_EUlS1F_E_NS1_11comp_targetILNS1_3genE10ELNS1_11target_archE1200ELNS1_3gpuE4ELNS1_3repE0EEENS1_30default_config_static_selectorELNS0_4arch9wavefront6targetE0EEEvT1_
    .private_segment_fixed_size: 0
    .sgpr_count:     20
    .sgpr_spill_count: 0
    .symbol:         _ZN7rocprim17ROCPRIM_400000_NS6detail17trampoline_kernelINS0_14default_configENS1_25partition_config_selectorILNS1_17partition_subalgoE6EjNS0_10empty_typeEbEEZZNS1_14partition_implILS5_6ELb0ES3_mN6thrust23THRUST_200600_302600_NS6detail15normal_iteratorINSA_10device_ptrIjEEEEPS6_SG_NS0_5tupleIJSF_S6_EEENSH_IJSG_SG_EEES6_PlJNSB_9not_fun_tINSB_10functional5actorINSM_9compositeIJNSM_27transparent_binary_operatorINSA_8equal_toIvEEEENSN_INSM_8argumentILj0EEEEENSM_5valueIjEEEEEEEEEEEE10hipError_tPvRmT3_T4_T5_T6_T7_T9_mT8_P12ihipStream_tbDpT10_ENKUlT_T0_E_clISt17integral_constantIbLb0EES1K_EEDaS1F_S1G_EUlS1F_E_NS1_11comp_targetILNS1_3genE10ELNS1_11target_archE1200ELNS1_3gpuE4ELNS1_3repE0EEENS1_30default_config_static_selectorELNS0_4arch9wavefront6targetE0EEEvT1_.kd
    .uniform_work_group_size: 1
    .uses_dynamic_stack: false
    .vgpr_count:     49
    .vgpr_spill_count: 0
    .wavefront_size: 32
    .workgroup_processor_mode: 1
  - .args:
      - .offset:         0
        .size:           120
        .value_kind:     by_value
    .group_segment_fixed_size: 0
    .kernarg_segment_align: 8
    .kernarg_segment_size: 120
    .language:       OpenCL C
    .language_version:
      - 2
      - 0
    .max_flat_workgroup_size: 128
    .name:           _ZN7rocprim17ROCPRIM_400000_NS6detail17trampoline_kernelINS0_14default_configENS1_25partition_config_selectorILNS1_17partition_subalgoE6EjNS0_10empty_typeEbEEZZNS1_14partition_implILS5_6ELb0ES3_mN6thrust23THRUST_200600_302600_NS6detail15normal_iteratorINSA_10device_ptrIjEEEEPS6_SG_NS0_5tupleIJSF_S6_EEENSH_IJSG_SG_EEES6_PlJNSB_9not_fun_tINSB_10functional5actorINSM_9compositeIJNSM_27transparent_binary_operatorINSA_8equal_toIvEEEENSN_INSM_8argumentILj0EEEEENSM_5valueIjEEEEEEEEEEEE10hipError_tPvRmT3_T4_T5_T6_T7_T9_mT8_P12ihipStream_tbDpT10_ENKUlT_T0_E_clISt17integral_constantIbLb0EES1K_EEDaS1F_S1G_EUlS1F_E_NS1_11comp_targetILNS1_3genE9ELNS1_11target_archE1100ELNS1_3gpuE3ELNS1_3repE0EEENS1_30default_config_static_selectorELNS0_4arch9wavefront6targetE0EEEvT1_
    .private_segment_fixed_size: 0
    .sgpr_count:     0
    .sgpr_spill_count: 0
    .symbol:         _ZN7rocprim17ROCPRIM_400000_NS6detail17trampoline_kernelINS0_14default_configENS1_25partition_config_selectorILNS1_17partition_subalgoE6EjNS0_10empty_typeEbEEZZNS1_14partition_implILS5_6ELb0ES3_mN6thrust23THRUST_200600_302600_NS6detail15normal_iteratorINSA_10device_ptrIjEEEEPS6_SG_NS0_5tupleIJSF_S6_EEENSH_IJSG_SG_EEES6_PlJNSB_9not_fun_tINSB_10functional5actorINSM_9compositeIJNSM_27transparent_binary_operatorINSA_8equal_toIvEEEENSN_INSM_8argumentILj0EEEEENSM_5valueIjEEEEEEEEEEEE10hipError_tPvRmT3_T4_T5_T6_T7_T9_mT8_P12ihipStream_tbDpT10_ENKUlT_T0_E_clISt17integral_constantIbLb0EES1K_EEDaS1F_S1G_EUlS1F_E_NS1_11comp_targetILNS1_3genE9ELNS1_11target_archE1100ELNS1_3gpuE3ELNS1_3repE0EEENS1_30default_config_static_selectorELNS0_4arch9wavefront6targetE0EEEvT1_.kd
    .uniform_work_group_size: 1
    .uses_dynamic_stack: false
    .vgpr_count:     0
    .vgpr_spill_count: 0
    .wavefront_size: 32
    .workgroup_processor_mode: 1
  - .args:
      - .offset:         0
        .size:           120
        .value_kind:     by_value
    .group_segment_fixed_size: 0
    .kernarg_segment_align: 8
    .kernarg_segment_size: 120
    .language:       OpenCL C
    .language_version:
      - 2
      - 0
    .max_flat_workgroup_size: 512
    .name:           _ZN7rocprim17ROCPRIM_400000_NS6detail17trampoline_kernelINS0_14default_configENS1_25partition_config_selectorILNS1_17partition_subalgoE6EjNS0_10empty_typeEbEEZZNS1_14partition_implILS5_6ELb0ES3_mN6thrust23THRUST_200600_302600_NS6detail15normal_iteratorINSA_10device_ptrIjEEEEPS6_SG_NS0_5tupleIJSF_S6_EEENSH_IJSG_SG_EEES6_PlJNSB_9not_fun_tINSB_10functional5actorINSM_9compositeIJNSM_27transparent_binary_operatorINSA_8equal_toIvEEEENSN_INSM_8argumentILj0EEEEENSM_5valueIjEEEEEEEEEEEE10hipError_tPvRmT3_T4_T5_T6_T7_T9_mT8_P12ihipStream_tbDpT10_ENKUlT_T0_E_clISt17integral_constantIbLb0EES1K_EEDaS1F_S1G_EUlS1F_E_NS1_11comp_targetILNS1_3genE8ELNS1_11target_archE1030ELNS1_3gpuE2ELNS1_3repE0EEENS1_30default_config_static_selectorELNS0_4arch9wavefront6targetE0EEEvT1_
    .private_segment_fixed_size: 0
    .sgpr_count:     0
    .sgpr_spill_count: 0
    .symbol:         _ZN7rocprim17ROCPRIM_400000_NS6detail17trampoline_kernelINS0_14default_configENS1_25partition_config_selectorILNS1_17partition_subalgoE6EjNS0_10empty_typeEbEEZZNS1_14partition_implILS5_6ELb0ES3_mN6thrust23THRUST_200600_302600_NS6detail15normal_iteratorINSA_10device_ptrIjEEEEPS6_SG_NS0_5tupleIJSF_S6_EEENSH_IJSG_SG_EEES6_PlJNSB_9not_fun_tINSB_10functional5actorINSM_9compositeIJNSM_27transparent_binary_operatorINSA_8equal_toIvEEEENSN_INSM_8argumentILj0EEEEENSM_5valueIjEEEEEEEEEEEE10hipError_tPvRmT3_T4_T5_T6_T7_T9_mT8_P12ihipStream_tbDpT10_ENKUlT_T0_E_clISt17integral_constantIbLb0EES1K_EEDaS1F_S1G_EUlS1F_E_NS1_11comp_targetILNS1_3genE8ELNS1_11target_archE1030ELNS1_3gpuE2ELNS1_3repE0EEENS1_30default_config_static_selectorELNS0_4arch9wavefront6targetE0EEEvT1_.kd
    .uniform_work_group_size: 1
    .uses_dynamic_stack: false
    .vgpr_count:     0
    .vgpr_spill_count: 0
    .wavefront_size: 32
    .workgroup_processor_mode: 1
  - .args:
      - .offset:         0
        .size:           128
        .value_kind:     by_value
    .group_segment_fixed_size: 0
    .kernarg_segment_align: 8
    .kernarg_segment_size: 128
    .language:       OpenCL C
    .language_version:
      - 2
      - 0
    .max_flat_workgroup_size: 256
    .name:           _ZN7rocprim17ROCPRIM_400000_NS6detail17trampoline_kernelINS0_14default_configENS1_25partition_config_selectorILNS1_17partition_subalgoE6EjNS0_10empty_typeEbEEZZNS1_14partition_implILS5_6ELb0ES3_mN6thrust23THRUST_200600_302600_NS6detail15normal_iteratorINSA_10device_ptrIjEEEEPS6_SG_NS0_5tupleIJSF_S6_EEENSH_IJSG_SG_EEES6_PlJNSB_9not_fun_tINSB_10functional5actorINSM_9compositeIJNSM_27transparent_binary_operatorINSA_8equal_toIvEEEENSN_INSM_8argumentILj0EEEEENSM_5valueIjEEEEEEEEEEEE10hipError_tPvRmT3_T4_T5_T6_T7_T9_mT8_P12ihipStream_tbDpT10_ENKUlT_T0_E_clISt17integral_constantIbLb1EES1K_EEDaS1F_S1G_EUlS1F_E_NS1_11comp_targetILNS1_3genE0ELNS1_11target_archE4294967295ELNS1_3gpuE0ELNS1_3repE0EEENS1_30default_config_static_selectorELNS0_4arch9wavefront6targetE0EEEvT1_
    .private_segment_fixed_size: 0
    .sgpr_count:     0
    .sgpr_spill_count: 0
    .symbol:         _ZN7rocprim17ROCPRIM_400000_NS6detail17trampoline_kernelINS0_14default_configENS1_25partition_config_selectorILNS1_17partition_subalgoE6EjNS0_10empty_typeEbEEZZNS1_14partition_implILS5_6ELb0ES3_mN6thrust23THRUST_200600_302600_NS6detail15normal_iteratorINSA_10device_ptrIjEEEEPS6_SG_NS0_5tupleIJSF_S6_EEENSH_IJSG_SG_EEES6_PlJNSB_9not_fun_tINSB_10functional5actorINSM_9compositeIJNSM_27transparent_binary_operatorINSA_8equal_toIvEEEENSN_INSM_8argumentILj0EEEEENSM_5valueIjEEEEEEEEEEEE10hipError_tPvRmT3_T4_T5_T6_T7_T9_mT8_P12ihipStream_tbDpT10_ENKUlT_T0_E_clISt17integral_constantIbLb1EES1K_EEDaS1F_S1G_EUlS1F_E_NS1_11comp_targetILNS1_3genE0ELNS1_11target_archE4294967295ELNS1_3gpuE0ELNS1_3repE0EEENS1_30default_config_static_selectorELNS0_4arch9wavefront6targetE0EEEvT1_.kd
    .uniform_work_group_size: 1
    .uses_dynamic_stack: false
    .vgpr_count:     0
    .vgpr_spill_count: 0
    .wavefront_size: 32
    .workgroup_processor_mode: 1
  - .args:
      - .offset:         0
        .size:           128
        .value_kind:     by_value
    .group_segment_fixed_size: 0
    .kernarg_segment_align: 8
    .kernarg_segment_size: 128
    .language:       OpenCL C
    .language_version:
      - 2
      - 0
    .max_flat_workgroup_size: 512
    .name:           _ZN7rocprim17ROCPRIM_400000_NS6detail17trampoline_kernelINS0_14default_configENS1_25partition_config_selectorILNS1_17partition_subalgoE6EjNS0_10empty_typeEbEEZZNS1_14partition_implILS5_6ELb0ES3_mN6thrust23THRUST_200600_302600_NS6detail15normal_iteratorINSA_10device_ptrIjEEEEPS6_SG_NS0_5tupleIJSF_S6_EEENSH_IJSG_SG_EEES6_PlJNSB_9not_fun_tINSB_10functional5actorINSM_9compositeIJNSM_27transparent_binary_operatorINSA_8equal_toIvEEEENSN_INSM_8argumentILj0EEEEENSM_5valueIjEEEEEEEEEEEE10hipError_tPvRmT3_T4_T5_T6_T7_T9_mT8_P12ihipStream_tbDpT10_ENKUlT_T0_E_clISt17integral_constantIbLb1EES1K_EEDaS1F_S1G_EUlS1F_E_NS1_11comp_targetILNS1_3genE5ELNS1_11target_archE942ELNS1_3gpuE9ELNS1_3repE0EEENS1_30default_config_static_selectorELNS0_4arch9wavefront6targetE0EEEvT1_
    .private_segment_fixed_size: 0
    .sgpr_count:     0
    .sgpr_spill_count: 0
    .symbol:         _ZN7rocprim17ROCPRIM_400000_NS6detail17trampoline_kernelINS0_14default_configENS1_25partition_config_selectorILNS1_17partition_subalgoE6EjNS0_10empty_typeEbEEZZNS1_14partition_implILS5_6ELb0ES3_mN6thrust23THRUST_200600_302600_NS6detail15normal_iteratorINSA_10device_ptrIjEEEEPS6_SG_NS0_5tupleIJSF_S6_EEENSH_IJSG_SG_EEES6_PlJNSB_9not_fun_tINSB_10functional5actorINSM_9compositeIJNSM_27transparent_binary_operatorINSA_8equal_toIvEEEENSN_INSM_8argumentILj0EEEEENSM_5valueIjEEEEEEEEEEEE10hipError_tPvRmT3_T4_T5_T6_T7_T9_mT8_P12ihipStream_tbDpT10_ENKUlT_T0_E_clISt17integral_constantIbLb1EES1K_EEDaS1F_S1G_EUlS1F_E_NS1_11comp_targetILNS1_3genE5ELNS1_11target_archE942ELNS1_3gpuE9ELNS1_3repE0EEENS1_30default_config_static_selectorELNS0_4arch9wavefront6targetE0EEEvT1_.kd
    .uniform_work_group_size: 1
    .uses_dynamic_stack: false
    .vgpr_count:     0
    .vgpr_spill_count: 0
    .wavefront_size: 32
    .workgroup_processor_mode: 1
  - .args:
      - .offset:         0
        .size:           128
        .value_kind:     by_value
    .group_segment_fixed_size: 0
    .kernarg_segment_align: 8
    .kernarg_segment_size: 128
    .language:       OpenCL C
    .language_version:
      - 2
      - 0
    .max_flat_workgroup_size: 512
    .name:           _ZN7rocprim17ROCPRIM_400000_NS6detail17trampoline_kernelINS0_14default_configENS1_25partition_config_selectorILNS1_17partition_subalgoE6EjNS0_10empty_typeEbEEZZNS1_14partition_implILS5_6ELb0ES3_mN6thrust23THRUST_200600_302600_NS6detail15normal_iteratorINSA_10device_ptrIjEEEEPS6_SG_NS0_5tupleIJSF_S6_EEENSH_IJSG_SG_EEES6_PlJNSB_9not_fun_tINSB_10functional5actorINSM_9compositeIJNSM_27transparent_binary_operatorINSA_8equal_toIvEEEENSN_INSM_8argumentILj0EEEEENSM_5valueIjEEEEEEEEEEEE10hipError_tPvRmT3_T4_T5_T6_T7_T9_mT8_P12ihipStream_tbDpT10_ENKUlT_T0_E_clISt17integral_constantIbLb1EES1K_EEDaS1F_S1G_EUlS1F_E_NS1_11comp_targetILNS1_3genE4ELNS1_11target_archE910ELNS1_3gpuE8ELNS1_3repE0EEENS1_30default_config_static_selectorELNS0_4arch9wavefront6targetE0EEEvT1_
    .private_segment_fixed_size: 0
    .sgpr_count:     0
    .sgpr_spill_count: 0
    .symbol:         _ZN7rocprim17ROCPRIM_400000_NS6detail17trampoline_kernelINS0_14default_configENS1_25partition_config_selectorILNS1_17partition_subalgoE6EjNS0_10empty_typeEbEEZZNS1_14partition_implILS5_6ELb0ES3_mN6thrust23THRUST_200600_302600_NS6detail15normal_iteratorINSA_10device_ptrIjEEEEPS6_SG_NS0_5tupleIJSF_S6_EEENSH_IJSG_SG_EEES6_PlJNSB_9not_fun_tINSB_10functional5actorINSM_9compositeIJNSM_27transparent_binary_operatorINSA_8equal_toIvEEEENSN_INSM_8argumentILj0EEEEENSM_5valueIjEEEEEEEEEEEE10hipError_tPvRmT3_T4_T5_T6_T7_T9_mT8_P12ihipStream_tbDpT10_ENKUlT_T0_E_clISt17integral_constantIbLb1EES1K_EEDaS1F_S1G_EUlS1F_E_NS1_11comp_targetILNS1_3genE4ELNS1_11target_archE910ELNS1_3gpuE8ELNS1_3repE0EEENS1_30default_config_static_selectorELNS0_4arch9wavefront6targetE0EEEvT1_.kd
    .uniform_work_group_size: 1
    .uses_dynamic_stack: false
    .vgpr_count:     0
    .vgpr_spill_count: 0
    .wavefront_size: 32
    .workgroup_processor_mode: 1
  - .args:
      - .offset:         0
        .size:           128
        .value_kind:     by_value
    .group_segment_fixed_size: 0
    .kernarg_segment_align: 8
    .kernarg_segment_size: 128
    .language:       OpenCL C
    .language_version:
      - 2
      - 0
    .max_flat_workgroup_size: 256
    .name:           _ZN7rocprim17ROCPRIM_400000_NS6detail17trampoline_kernelINS0_14default_configENS1_25partition_config_selectorILNS1_17partition_subalgoE6EjNS0_10empty_typeEbEEZZNS1_14partition_implILS5_6ELb0ES3_mN6thrust23THRUST_200600_302600_NS6detail15normal_iteratorINSA_10device_ptrIjEEEEPS6_SG_NS0_5tupleIJSF_S6_EEENSH_IJSG_SG_EEES6_PlJNSB_9not_fun_tINSB_10functional5actorINSM_9compositeIJNSM_27transparent_binary_operatorINSA_8equal_toIvEEEENSN_INSM_8argumentILj0EEEEENSM_5valueIjEEEEEEEEEEEE10hipError_tPvRmT3_T4_T5_T6_T7_T9_mT8_P12ihipStream_tbDpT10_ENKUlT_T0_E_clISt17integral_constantIbLb1EES1K_EEDaS1F_S1G_EUlS1F_E_NS1_11comp_targetILNS1_3genE3ELNS1_11target_archE908ELNS1_3gpuE7ELNS1_3repE0EEENS1_30default_config_static_selectorELNS0_4arch9wavefront6targetE0EEEvT1_
    .private_segment_fixed_size: 0
    .sgpr_count:     0
    .sgpr_spill_count: 0
    .symbol:         _ZN7rocprim17ROCPRIM_400000_NS6detail17trampoline_kernelINS0_14default_configENS1_25partition_config_selectorILNS1_17partition_subalgoE6EjNS0_10empty_typeEbEEZZNS1_14partition_implILS5_6ELb0ES3_mN6thrust23THRUST_200600_302600_NS6detail15normal_iteratorINSA_10device_ptrIjEEEEPS6_SG_NS0_5tupleIJSF_S6_EEENSH_IJSG_SG_EEES6_PlJNSB_9not_fun_tINSB_10functional5actorINSM_9compositeIJNSM_27transparent_binary_operatorINSA_8equal_toIvEEEENSN_INSM_8argumentILj0EEEEENSM_5valueIjEEEEEEEEEEEE10hipError_tPvRmT3_T4_T5_T6_T7_T9_mT8_P12ihipStream_tbDpT10_ENKUlT_T0_E_clISt17integral_constantIbLb1EES1K_EEDaS1F_S1G_EUlS1F_E_NS1_11comp_targetILNS1_3genE3ELNS1_11target_archE908ELNS1_3gpuE7ELNS1_3repE0EEENS1_30default_config_static_selectorELNS0_4arch9wavefront6targetE0EEEvT1_.kd
    .uniform_work_group_size: 1
    .uses_dynamic_stack: false
    .vgpr_count:     0
    .vgpr_spill_count: 0
    .wavefront_size: 32
    .workgroup_processor_mode: 1
  - .args:
      - .offset:         0
        .size:           128
        .value_kind:     by_value
    .group_segment_fixed_size: 0
    .kernarg_segment_align: 8
    .kernarg_segment_size: 128
    .language:       OpenCL C
    .language_version:
      - 2
      - 0
    .max_flat_workgroup_size: 192
    .name:           _ZN7rocprim17ROCPRIM_400000_NS6detail17trampoline_kernelINS0_14default_configENS1_25partition_config_selectorILNS1_17partition_subalgoE6EjNS0_10empty_typeEbEEZZNS1_14partition_implILS5_6ELb0ES3_mN6thrust23THRUST_200600_302600_NS6detail15normal_iteratorINSA_10device_ptrIjEEEEPS6_SG_NS0_5tupleIJSF_S6_EEENSH_IJSG_SG_EEES6_PlJNSB_9not_fun_tINSB_10functional5actorINSM_9compositeIJNSM_27transparent_binary_operatorINSA_8equal_toIvEEEENSN_INSM_8argumentILj0EEEEENSM_5valueIjEEEEEEEEEEEE10hipError_tPvRmT3_T4_T5_T6_T7_T9_mT8_P12ihipStream_tbDpT10_ENKUlT_T0_E_clISt17integral_constantIbLb1EES1K_EEDaS1F_S1G_EUlS1F_E_NS1_11comp_targetILNS1_3genE2ELNS1_11target_archE906ELNS1_3gpuE6ELNS1_3repE0EEENS1_30default_config_static_selectorELNS0_4arch9wavefront6targetE0EEEvT1_
    .private_segment_fixed_size: 0
    .sgpr_count:     0
    .sgpr_spill_count: 0
    .symbol:         _ZN7rocprim17ROCPRIM_400000_NS6detail17trampoline_kernelINS0_14default_configENS1_25partition_config_selectorILNS1_17partition_subalgoE6EjNS0_10empty_typeEbEEZZNS1_14partition_implILS5_6ELb0ES3_mN6thrust23THRUST_200600_302600_NS6detail15normal_iteratorINSA_10device_ptrIjEEEEPS6_SG_NS0_5tupleIJSF_S6_EEENSH_IJSG_SG_EEES6_PlJNSB_9not_fun_tINSB_10functional5actorINSM_9compositeIJNSM_27transparent_binary_operatorINSA_8equal_toIvEEEENSN_INSM_8argumentILj0EEEEENSM_5valueIjEEEEEEEEEEEE10hipError_tPvRmT3_T4_T5_T6_T7_T9_mT8_P12ihipStream_tbDpT10_ENKUlT_T0_E_clISt17integral_constantIbLb1EES1K_EEDaS1F_S1G_EUlS1F_E_NS1_11comp_targetILNS1_3genE2ELNS1_11target_archE906ELNS1_3gpuE6ELNS1_3repE0EEENS1_30default_config_static_selectorELNS0_4arch9wavefront6targetE0EEEvT1_.kd
    .uniform_work_group_size: 1
    .uses_dynamic_stack: false
    .vgpr_count:     0
    .vgpr_spill_count: 0
    .wavefront_size: 32
    .workgroup_processor_mode: 1
  - .args:
      - .offset:         0
        .size:           128
        .value_kind:     by_value
    .group_segment_fixed_size: 0
    .kernarg_segment_align: 8
    .kernarg_segment_size: 128
    .language:       OpenCL C
    .language_version:
      - 2
      - 0
    .max_flat_workgroup_size: 384
    .name:           _ZN7rocprim17ROCPRIM_400000_NS6detail17trampoline_kernelINS0_14default_configENS1_25partition_config_selectorILNS1_17partition_subalgoE6EjNS0_10empty_typeEbEEZZNS1_14partition_implILS5_6ELb0ES3_mN6thrust23THRUST_200600_302600_NS6detail15normal_iteratorINSA_10device_ptrIjEEEEPS6_SG_NS0_5tupleIJSF_S6_EEENSH_IJSG_SG_EEES6_PlJNSB_9not_fun_tINSB_10functional5actorINSM_9compositeIJNSM_27transparent_binary_operatorINSA_8equal_toIvEEEENSN_INSM_8argumentILj0EEEEENSM_5valueIjEEEEEEEEEEEE10hipError_tPvRmT3_T4_T5_T6_T7_T9_mT8_P12ihipStream_tbDpT10_ENKUlT_T0_E_clISt17integral_constantIbLb1EES1K_EEDaS1F_S1G_EUlS1F_E_NS1_11comp_targetILNS1_3genE10ELNS1_11target_archE1200ELNS1_3gpuE4ELNS1_3repE0EEENS1_30default_config_static_selectorELNS0_4arch9wavefront6targetE0EEEvT1_
    .private_segment_fixed_size: 0
    .sgpr_count:     0
    .sgpr_spill_count: 0
    .symbol:         _ZN7rocprim17ROCPRIM_400000_NS6detail17trampoline_kernelINS0_14default_configENS1_25partition_config_selectorILNS1_17partition_subalgoE6EjNS0_10empty_typeEbEEZZNS1_14partition_implILS5_6ELb0ES3_mN6thrust23THRUST_200600_302600_NS6detail15normal_iteratorINSA_10device_ptrIjEEEEPS6_SG_NS0_5tupleIJSF_S6_EEENSH_IJSG_SG_EEES6_PlJNSB_9not_fun_tINSB_10functional5actorINSM_9compositeIJNSM_27transparent_binary_operatorINSA_8equal_toIvEEEENSN_INSM_8argumentILj0EEEEENSM_5valueIjEEEEEEEEEEEE10hipError_tPvRmT3_T4_T5_T6_T7_T9_mT8_P12ihipStream_tbDpT10_ENKUlT_T0_E_clISt17integral_constantIbLb1EES1K_EEDaS1F_S1G_EUlS1F_E_NS1_11comp_targetILNS1_3genE10ELNS1_11target_archE1200ELNS1_3gpuE4ELNS1_3repE0EEENS1_30default_config_static_selectorELNS0_4arch9wavefront6targetE0EEEvT1_.kd
    .uniform_work_group_size: 1
    .uses_dynamic_stack: false
    .vgpr_count:     0
    .vgpr_spill_count: 0
    .wavefront_size: 32
    .workgroup_processor_mode: 1
  - .args:
      - .offset:         0
        .size:           128
        .value_kind:     by_value
    .group_segment_fixed_size: 0
    .kernarg_segment_align: 8
    .kernarg_segment_size: 128
    .language:       OpenCL C
    .language_version:
      - 2
      - 0
    .max_flat_workgroup_size: 128
    .name:           _ZN7rocprim17ROCPRIM_400000_NS6detail17trampoline_kernelINS0_14default_configENS1_25partition_config_selectorILNS1_17partition_subalgoE6EjNS0_10empty_typeEbEEZZNS1_14partition_implILS5_6ELb0ES3_mN6thrust23THRUST_200600_302600_NS6detail15normal_iteratorINSA_10device_ptrIjEEEEPS6_SG_NS0_5tupleIJSF_S6_EEENSH_IJSG_SG_EEES6_PlJNSB_9not_fun_tINSB_10functional5actorINSM_9compositeIJNSM_27transparent_binary_operatorINSA_8equal_toIvEEEENSN_INSM_8argumentILj0EEEEENSM_5valueIjEEEEEEEEEEEE10hipError_tPvRmT3_T4_T5_T6_T7_T9_mT8_P12ihipStream_tbDpT10_ENKUlT_T0_E_clISt17integral_constantIbLb1EES1K_EEDaS1F_S1G_EUlS1F_E_NS1_11comp_targetILNS1_3genE9ELNS1_11target_archE1100ELNS1_3gpuE3ELNS1_3repE0EEENS1_30default_config_static_selectorELNS0_4arch9wavefront6targetE0EEEvT1_
    .private_segment_fixed_size: 0
    .sgpr_count:     0
    .sgpr_spill_count: 0
    .symbol:         _ZN7rocprim17ROCPRIM_400000_NS6detail17trampoline_kernelINS0_14default_configENS1_25partition_config_selectorILNS1_17partition_subalgoE6EjNS0_10empty_typeEbEEZZNS1_14partition_implILS5_6ELb0ES3_mN6thrust23THRUST_200600_302600_NS6detail15normal_iteratorINSA_10device_ptrIjEEEEPS6_SG_NS0_5tupleIJSF_S6_EEENSH_IJSG_SG_EEES6_PlJNSB_9not_fun_tINSB_10functional5actorINSM_9compositeIJNSM_27transparent_binary_operatorINSA_8equal_toIvEEEENSN_INSM_8argumentILj0EEEEENSM_5valueIjEEEEEEEEEEEE10hipError_tPvRmT3_T4_T5_T6_T7_T9_mT8_P12ihipStream_tbDpT10_ENKUlT_T0_E_clISt17integral_constantIbLb1EES1K_EEDaS1F_S1G_EUlS1F_E_NS1_11comp_targetILNS1_3genE9ELNS1_11target_archE1100ELNS1_3gpuE3ELNS1_3repE0EEENS1_30default_config_static_selectorELNS0_4arch9wavefront6targetE0EEEvT1_.kd
    .uniform_work_group_size: 1
    .uses_dynamic_stack: false
    .vgpr_count:     0
    .vgpr_spill_count: 0
    .wavefront_size: 32
    .workgroup_processor_mode: 1
  - .args:
      - .offset:         0
        .size:           128
        .value_kind:     by_value
    .group_segment_fixed_size: 0
    .kernarg_segment_align: 8
    .kernarg_segment_size: 128
    .language:       OpenCL C
    .language_version:
      - 2
      - 0
    .max_flat_workgroup_size: 512
    .name:           _ZN7rocprim17ROCPRIM_400000_NS6detail17trampoline_kernelINS0_14default_configENS1_25partition_config_selectorILNS1_17partition_subalgoE6EjNS0_10empty_typeEbEEZZNS1_14partition_implILS5_6ELb0ES3_mN6thrust23THRUST_200600_302600_NS6detail15normal_iteratorINSA_10device_ptrIjEEEEPS6_SG_NS0_5tupleIJSF_S6_EEENSH_IJSG_SG_EEES6_PlJNSB_9not_fun_tINSB_10functional5actorINSM_9compositeIJNSM_27transparent_binary_operatorINSA_8equal_toIvEEEENSN_INSM_8argumentILj0EEEEENSM_5valueIjEEEEEEEEEEEE10hipError_tPvRmT3_T4_T5_T6_T7_T9_mT8_P12ihipStream_tbDpT10_ENKUlT_T0_E_clISt17integral_constantIbLb1EES1K_EEDaS1F_S1G_EUlS1F_E_NS1_11comp_targetILNS1_3genE8ELNS1_11target_archE1030ELNS1_3gpuE2ELNS1_3repE0EEENS1_30default_config_static_selectorELNS0_4arch9wavefront6targetE0EEEvT1_
    .private_segment_fixed_size: 0
    .sgpr_count:     0
    .sgpr_spill_count: 0
    .symbol:         _ZN7rocprim17ROCPRIM_400000_NS6detail17trampoline_kernelINS0_14default_configENS1_25partition_config_selectorILNS1_17partition_subalgoE6EjNS0_10empty_typeEbEEZZNS1_14partition_implILS5_6ELb0ES3_mN6thrust23THRUST_200600_302600_NS6detail15normal_iteratorINSA_10device_ptrIjEEEEPS6_SG_NS0_5tupleIJSF_S6_EEENSH_IJSG_SG_EEES6_PlJNSB_9not_fun_tINSB_10functional5actorINSM_9compositeIJNSM_27transparent_binary_operatorINSA_8equal_toIvEEEENSN_INSM_8argumentILj0EEEEENSM_5valueIjEEEEEEEEEEEE10hipError_tPvRmT3_T4_T5_T6_T7_T9_mT8_P12ihipStream_tbDpT10_ENKUlT_T0_E_clISt17integral_constantIbLb1EES1K_EEDaS1F_S1G_EUlS1F_E_NS1_11comp_targetILNS1_3genE8ELNS1_11target_archE1030ELNS1_3gpuE2ELNS1_3repE0EEENS1_30default_config_static_selectorELNS0_4arch9wavefront6targetE0EEEvT1_.kd
    .uniform_work_group_size: 1
    .uses_dynamic_stack: false
    .vgpr_count:     0
    .vgpr_spill_count: 0
    .wavefront_size: 32
    .workgroup_processor_mode: 1
  - .args:
      - .offset:         0
        .size:           120
        .value_kind:     by_value
    .group_segment_fixed_size: 0
    .kernarg_segment_align: 8
    .kernarg_segment_size: 120
    .language:       OpenCL C
    .language_version:
      - 2
      - 0
    .max_flat_workgroup_size: 256
    .name:           _ZN7rocprim17ROCPRIM_400000_NS6detail17trampoline_kernelINS0_14default_configENS1_25partition_config_selectorILNS1_17partition_subalgoE6EjNS0_10empty_typeEbEEZZNS1_14partition_implILS5_6ELb0ES3_mN6thrust23THRUST_200600_302600_NS6detail15normal_iteratorINSA_10device_ptrIjEEEEPS6_SG_NS0_5tupleIJSF_S6_EEENSH_IJSG_SG_EEES6_PlJNSB_9not_fun_tINSB_10functional5actorINSM_9compositeIJNSM_27transparent_binary_operatorINSA_8equal_toIvEEEENSN_INSM_8argumentILj0EEEEENSM_5valueIjEEEEEEEEEEEE10hipError_tPvRmT3_T4_T5_T6_T7_T9_mT8_P12ihipStream_tbDpT10_ENKUlT_T0_E_clISt17integral_constantIbLb1EES1J_IbLb0EEEEDaS1F_S1G_EUlS1F_E_NS1_11comp_targetILNS1_3genE0ELNS1_11target_archE4294967295ELNS1_3gpuE0ELNS1_3repE0EEENS1_30default_config_static_selectorELNS0_4arch9wavefront6targetE0EEEvT1_
    .private_segment_fixed_size: 0
    .sgpr_count:     0
    .sgpr_spill_count: 0
    .symbol:         _ZN7rocprim17ROCPRIM_400000_NS6detail17trampoline_kernelINS0_14default_configENS1_25partition_config_selectorILNS1_17partition_subalgoE6EjNS0_10empty_typeEbEEZZNS1_14partition_implILS5_6ELb0ES3_mN6thrust23THRUST_200600_302600_NS6detail15normal_iteratorINSA_10device_ptrIjEEEEPS6_SG_NS0_5tupleIJSF_S6_EEENSH_IJSG_SG_EEES6_PlJNSB_9not_fun_tINSB_10functional5actorINSM_9compositeIJNSM_27transparent_binary_operatorINSA_8equal_toIvEEEENSN_INSM_8argumentILj0EEEEENSM_5valueIjEEEEEEEEEEEE10hipError_tPvRmT3_T4_T5_T6_T7_T9_mT8_P12ihipStream_tbDpT10_ENKUlT_T0_E_clISt17integral_constantIbLb1EES1J_IbLb0EEEEDaS1F_S1G_EUlS1F_E_NS1_11comp_targetILNS1_3genE0ELNS1_11target_archE4294967295ELNS1_3gpuE0ELNS1_3repE0EEENS1_30default_config_static_selectorELNS0_4arch9wavefront6targetE0EEEvT1_.kd
    .uniform_work_group_size: 1
    .uses_dynamic_stack: false
    .vgpr_count:     0
    .vgpr_spill_count: 0
    .wavefront_size: 32
    .workgroup_processor_mode: 1
  - .args:
      - .offset:         0
        .size:           120
        .value_kind:     by_value
    .group_segment_fixed_size: 0
    .kernarg_segment_align: 8
    .kernarg_segment_size: 120
    .language:       OpenCL C
    .language_version:
      - 2
      - 0
    .max_flat_workgroup_size: 512
    .name:           _ZN7rocprim17ROCPRIM_400000_NS6detail17trampoline_kernelINS0_14default_configENS1_25partition_config_selectorILNS1_17partition_subalgoE6EjNS0_10empty_typeEbEEZZNS1_14partition_implILS5_6ELb0ES3_mN6thrust23THRUST_200600_302600_NS6detail15normal_iteratorINSA_10device_ptrIjEEEEPS6_SG_NS0_5tupleIJSF_S6_EEENSH_IJSG_SG_EEES6_PlJNSB_9not_fun_tINSB_10functional5actorINSM_9compositeIJNSM_27transparent_binary_operatorINSA_8equal_toIvEEEENSN_INSM_8argumentILj0EEEEENSM_5valueIjEEEEEEEEEEEE10hipError_tPvRmT3_T4_T5_T6_T7_T9_mT8_P12ihipStream_tbDpT10_ENKUlT_T0_E_clISt17integral_constantIbLb1EES1J_IbLb0EEEEDaS1F_S1G_EUlS1F_E_NS1_11comp_targetILNS1_3genE5ELNS1_11target_archE942ELNS1_3gpuE9ELNS1_3repE0EEENS1_30default_config_static_selectorELNS0_4arch9wavefront6targetE0EEEvT1_
    .private_segment_fixed_size: 0
    .sgpr_count:     0
    .sgpr_spill_count: 0
    .symbol:         _ZN7rocprim17ROCPRIM_400000_NS6detail17trampoline_kernelINS0_14default_configENS1_25partition_config_selectorILNS1_17partition_subalgoE6EjNS0_10empty_typeEbEEZZNS1_14partition_implILS5_6ELb0ES3_mN6thrust23THRUST_200600_302600_NS6detail15normal_iteratorINSA_10device_ptrIjEEEEPS6_SG_NS0_5tupleIJSF_S6_EEENSH_IJSG_SG_EEES6_PlJNSB_9not_fun_tINSB_10functional5actorINSM_9compositeIJNSM_27transparent_binary_operatorINSA_8equal_toIvEEEENSN_INSM_8argumentILj0EEEEENSM_5valueIjEEEEEEEEEEEE10hipError_tPvRmT3_T4_T5_T6_T7_T9_mT8_P12ihipStream_tbDpT10_ENKUlT_T0_E_clISt17integral_constantIbLb1EES1J_IbLb0EEEEDaS1F_S1G_EUlS1F_E_NS1_11comp_targetILNS1_3genE5ELNS1_11target_archE942ELNS1_3gpuE9ELNS1_3repE0EEENS1_30default_config_static_selectorELNS0_4arch9wavefront6targetE0EEEvT1_.kd
    .uniform_work_group_size: 1
    .uses_dynamic_stack: false
    .vgpr_count:     0
    .vgpr_spill_count: 0
    .wavefront_size: 32
    .workgroup_processor_mode: 1
  - .args:
      - .offset:         0
        .size:           120
        .value_kind:     by_value
    .group_segment_fixed_size: 0
    .kernarg_segment_align: 8
    .kernarg_segment_size: 120
    .language:       OpenCL C
    .language_version:
      - 2
      - 0
    .max_flat_workgroup_size: 512
    .name:           _ZN7rocprim17ROCPRIM_400000_NS6detail17trampoline_kernelINS0_14default_configENS1_25partition_config_selectorILNS1_17partition_subalgoE6EjNS0_10empty_typeEbEEZZNS1_14partition_implILS5_6ELb0ES3_mN6thrust23THRUST_200600_302600_NS6detail15normal_iteratorINSA_10device_ptrIjEEEEPS6_SG_NS0_5tupleIJSF_S6_EEENSH_IJSG_SG_EEES6_PlJNSB_9not_fun_tINSB_10functional5actorINSM_9compositeIJNSM_27transparent_binary_operatorINSA_8equal_toIvEEEENSN_INSM_8argumentILj0EEEEENSM_5valueIjEEEEEEEEEEEE10hipError_tPvRmT3_T4_T5_T6_T7_T9_mT8_P12ihipStream_tbDpT10_ENKUlT_T0_E_clISt17integral_constantIbLb1EES1J_IbLb0EEEEDaS1F_S1G_EUlS1F_E_NS1_11comp_targetILNS1_3genE4ELNS1_11target_archE910ELNS1_3gpuE8ELNS1_3repE0EEENS1_30default_config_static_selectorELNS0_4arch9wavefront6targetE0EEEvT1_
    .private_segment_fixed_size: 0
    .sgpr_count:     0
    .sgpr_spill_count: 0
    .symbol:         _ZN7rocprim17ROCPRIM_400000_NS6detail17trampoline_kernelINS0_14default_configENS1_25partition_config_selectorILNS1_17partition_subalgoE6EjNS0_10empty_typeEbEEZZNS1_14partition_implILS5_6ELb0ES3_mN6thrust23THRUST_200600_302600_NS6detail15normal_iteratorINSA_10device_ptrIjEEEEPS6_SG_NS0_5tupleIJSF_S6_EEENSH_IJSG_SG_EEES6_PlJNSB_9not_fun_tINSB_10functional5actorINSM_9compositeIJNSM_27transparent_binary_operatorINSA_8equal_toIvEEEENSN_INSM_8argumentILj0EEEEENSM_5valueIjEEEEEEEEEEEE10hipError_tPvRmT3_T4_T5_T6_T7_T9_mT8_P12ihipStream_tbDpT10_ENKUlT_T0_E_clISt17integral_constantIbLb1EES1J_IbLb0EEEEDaS1F_S1G_EUlS1F_E_NS1_11comp_targetILNS1_3genE4ELNS1_11target_archE910ELNS1_3gpuE8ELNS1_3repE0EEENS1_30default_config_static_selectorELNS0_4arch9wavefront6targetE0EEEvT1_.kd
    .uniform_work_group_size: 1
    .uses_dynamic_stack: false
    .vgpr_count:     0
    .vgpr_spill_count: 0
    .wavefront_size: 32
    .workgroup_processor_mode: 1
  - .args:
      - .offset:         0
        .size:           120
        .value_kind:     by_value
    .group_segment_fixed_size: 0
    .kernarg_segment_align: 8
    .kernarg_segment_size: 120
    .language:       OpenCL C
    .language_version:
      - 2
      - 0
    .max_flat_workgroup_size: 256
    .name:           _ZN7rocprim17ROCPRIM_400000_NS6detail17trampoline_kernelINS0_14default_configENS1_25partition_config_selectorILNS1_17partition_subalgoE6EjNS0_10empty_typeEbEEZZNS1_14partition_implILS5_6ELb0ES3_mN6thrust23THRUST_200600_302600_NS6detail15normal_iteratorINSA_10device_ptrIjEEEEPS6_SG_NS0_5tupleIJSF_S6_EEENSH_IJSG_SG_EEES6_PlJNSB_9not_fun_tINSB_10functional5actorINSM_9compositeIJNSM_27transparent_binary_operatorINSA_8equal_toIvEEEENSN_INSM_8argumentILj0EEEEENSM_5valueIjEEEEEEEEEEEE10hipError_tPvRmT3_T4_T5_T6_T7_T9_mT8_P12ihipStream_tbDpT10_ENKUlT_T0_E_clISt17integral_constantIbLb1EES1J_IbLb0EEEEDaS1F_S1G_EUlS1F_E_NS1_11comp_targetILNS1_3genE3ELNS1_11target_archE908ELNS1_3gpuE7ELNS1_3repE0EEENS1_30default_config_static_selectorELNS0_4arch9wavefront6targetE0EEEvT1_
    .private_segment_fixed_size: 0
    .sgpr_count:     0
    .sgpr_spill_count: 0
    .symbol:         _ZN7rocprim17ROCPRIM_400000_NS6detail17trampoline_kernelINS0_14default_configENS1_25partition_config_selectorILNS1_17partition_subalgoE6EjNS0_10empty_typeEbEEZZNS1_14partition_implILS5_6ELb0ES3_mN6thrust23THRUST_200600_302600_NS6detail15normal_iteratorINSA_10device_ptrIjEEEEPS6_SG_NS0_5tupleIJSF_S6_EEENSH_IJSG_SG_EEES6_PlJNSB_9not_fun_tINSB_10functional5actorINSM_9compositeIJNSM_27transparent_binary_operatorINSA_8equal_toIvEEEENSN_INSM_8argumentILj0EEEEENSM_5valueIjEEEEEEEEEEEE10hipError_tPvRmT3_T4_T5_T6_T7_T9_mT8_P12ihipStream_tbDpT10_ENKUlT_T0_E_clISt17integral_constantIbLb1EES1J_IbLb0EEEEDaS1F_S1G_EUlS1F_E_NS1_11comp_targetILNS1_3genE3ELNS1_11target_archE908ELNS1_3gpuE7ELNS1_3repE0EEENS1_30default_config_static_selectorELNS0_4arch9wavefront6targetE0EEEvT1_.kd
    .uniform_work_group_size: 1
    .uses_dynamic_stack: false
    .vgpr_count:     0
    .vgpr_spill_count: 0
    .wavefront_size: 32
    .workgroup_processor_mode: 1
  - .args:
      - .offset:         0
        .size:           120
        .value_kind:     by_value
    .group_segment_fixed_size: 0
    .kernarg_segment_align: 8
    .kernarg_segment_size: 120
    .language:       OpenCL C
    .language_version:
      - 2
      - 0
    .max_flat_workgroup_size: 192
    .name:           _ZN7rocprim17ROCPRIM_400000_NS6detail17trampoline_kernelINS0_14default_configENS1_25partition_config_selectorILNS1_17partition_subalgoE6EjNS0_10empty_typeEbEEZZNS1_14partition_implILS5_6ELb0ES3_mN6thrust23THRUST_200600_302600_NS6detail15normal_iteratorINSA_10device_ptrIjEEEEPS6_SG_NS0_5tupleIJSF_S6_EEENSH_IJSG_SG_EEES6_PlJNSB_9not_fun_tINSB_10functional5actorINSM_9compositeIJNSM_27transparent_binary_operatorINSA_8equal_toIvEEEENSN_INSM_8argumentILj0EEEEENSM_5valueIjEEEEEEEEEEEE10hipError_tPvRmT3_T4_T5_T6_T7_T9_mT8_P12ihipStream_tbDpT10_ENKUlT_T0_E_clISt17integral_constantIbLb1EES1J_IbLb0EEEEDaS1F_S1G_EUlS1F_E_NS1_11comp_targetILNS1_3genE2ELNS1_11target_archE906ELNS1_3gpuE6ELNS1_3repE0EEENS1_30default_config_static_selectorELNS0_4arch9wavefront6targetE0EEEvT1_
    .private_segment_fixed_size: 0
    .sgpr_count:     0
    .sgpr_spill_count: 0
    .symbol:         _ZN7rocprim17ROCPRIM_400000_NS6detail17trampoline_kernelINS0_14default_configENS1_25partition_config_selectorILNS1_17partition_subalgoE6EjNS0_10empty_typeEbEEZZNS1_14partition_implILS5_6ELb0ES3_mN6thrust23THRUST_200600_302600_NS6detail15normal_iteratorINSA_10device_ptrIjEEEEPS6_SG_NS0_5tupleIJSF_S6_EEENSH_IJSG_SG_EEES6_PlJNSB_9not_fun_tINSB_10functional5actorINSM_9compositeIJNSM_27transparent_binary_operatorINSA_8equal_toIvEEEENSN_INSM_8argumentILj0EEEEENSM_5valueIjEEEEEEEEEEEE10hipError_tPvRmT3_T4_T5_T6_T7_T9_mT8_P12ihipStream_tbDpT10_ENKUlT_T0_E_clISt17integral_constantIbLb1EES1J_IbLb0EEEEDaS1F_S1G_EUlS1F_E_NS1_11comp_targetILNS1_3genE2ELNS1_11target_archE906ELNS1_3gpuE6ELNS1_3repE0EEENS1_30default_config_static_selectorELNS0_4arch9wavefront6targetE0EEEvT1_.kd
    .uniform_work_group_size: 1
    .uses_dynamic_stack: false
    .vgpr_count:     0
    .vgpr_spill_count: 0
    .wavefront_size: 32
    .workgroup_processor_mode: 1
  - .args:
      - .offset:         0
        .size:           120
        .value_kind:     by_value
    .group_segment_fixed_size: 0
    .kernarg_segment_align: 8
    .kernarg_segment_size: 120
    .language:       OpenCL C
    .language_version:
      - 2
      - 0
    .max_flat_workgroup_size: 384
    .name:           _ZN7rocprim17ROCPRIM_400000_NS6detail17trampoline_kernelINS0_14default_configENS1_25partition_config_selectorILNS1_17partition_subalgoE6EjNS0_10empty_typeEbEEZZNS1_14partition_implILS5_6ELb0ES3_mN6thrust23THRUST_200600_302600_NS6detail15normal_iteratorINSA_10device_ptrIjEEEEPS6_SG_NS0_5tupleIJSF_S6_EEENSH_IJSG_SG_EEES6_PlJNSB_9not_fun_tINSB_10functional5actorINSM_9compositeIJNSM_27transparent_binary_operatorINSA_8equal_toIvEEEENSN_INSM_8argumentILj0EEEEENSM_5valueIjEEEEEEEEEEEE10hipError_tPvRmT3_T4_T5_T6_T7_T9_mT8_P12ihipStream_tbDpT10_ENKUlT_T0_E_clISt17integral_constantIbLb1EES1J_IbLb0EEEEDaS1F_S1G_EUlS1F_E_NS1_11comp_targetILNS1_3genE10ELNS1_11target_archE1200ELNS1_3gpuE4ELNS1_3repE0EEENS1_30default_config_static_selectorELNS0_4arch9wavefront6targetE0EEEvT1_
    .private_segment_fixed_size: 0
    .sgpr_count:     0
    .sgpr_spill_count: 0
    .symbol:         _ZN7rocprim17ROCPRIM_400000_NS6detail17trampoline_kernelINS0_14default_configENS1_25partition_config_selectorILNS1_17partition_subalgoE6EjNS0_10empty_typeEbEEZZNS1_14partition_implILS5_6ELb0ES3_mN6thrust23THRUST_200600_302600_NS6detail15normal_iteratorINSA_10device_ptrIjEEEEPS6_SG_NS0_5tupleIJSF_S6_EEENSH_IJSG_SG_EEES6_PlJNSB_9not_fun_tINSB_10functional5actorINSM_9compositeIJNSM_27transparent_binary_operatorINSA_8equal_toIvEEEENSN_INSM_8argumentILj0EEEEENSM_5valueIjEEEEEEEEEEEE10hipError_tPvRmT3_T4_T5_T6_T7_T9_mT8_P12ihipStream_tbDpT10_ENKUlT_T0_E_clISt17integral_constantIbLb1EES1J_IbLb0EEEEDaS1F_S1G_EUlS1F_E_NS1_11comp_targetILNS1_3genE10ELNS1_11target_archE1200ELNS1_3gpuE4ELNS1_3repE0EEENS1_30default_config_static_selectorELNS0_4arch9wavefront6targetE0EEEvT1_.kd
    .uniform_work_group_size: 1
    .uses_dynamic_stack: false
    .vgpr_count:     0
    .vgpr_spill_count: 0
    .wavefront_size: 32
    .workgroup_processor_mode: 1
  - .args:
      - .offset:         0
        .size:           120
        .value_kind:     by_value
    .group_segment_fixed_size: 0
    .kernarg_segment_align: 8
    .kernarg_segment_size: 120
    .language:       OpenCL C
    .language_version:
      - 2
      - 0
    .max_flat_workgroup_size: 128
    .name:           _ZN7rocprim17ROCPRIM_400000_NS6detail17trampoline_kernelINS0_14default_configENS1_25partition_config_selectorILNS1_17partition_subalgoE6EjNS0_10empty_typeEbEEZZNS1_14partition_implILS5_6ELb0ES3_mN6thrust23THRUST_200600_302600_NS6detail15normal_iteratorINSA_10device_ptrIjEEEEPS6_SG_NS0_5tupleIJSF_S6_EEENSH_IJSG_SG_EEES6_PlJNSB_9not_fun_tINSB_10functional5actorINSM_9compositeIJNSM_27transparent_binary_operatorINSA_8equal_toIvEEEENSN_INSM_8argumentILj0EEEEENSM_5valueIjEEEEEEEEEEEE10hipError_tPvRmT3_T4_T5_T6_T7_T9_mT8_P12ihipStream_tbDpT10_ENKUlT_T0_E_clISt17integral_constantIbLb1EES1J_IbLb0EEEEDaS1F_S1G_EUlS1F_E_NS1_11comp_targetILNS1_3genE9ELNS1_11target_archE1100ELNS1_3gpuE3ELNS1_3repE0EEENS1_30default_config_static_selectorELNS0_4arch9wavefront6targetE0EEEvT1_
    .private_segment_fixed_size: 0
    .sgpr_count:     0
    .sgpr_spill_count: 0
    .symbol:         _ZN7rocprim17ROCPRIM_400000_NS6detail17trampoline_kernelINS0_14default_configENS1_25partition_config_selectorILNS1_17partition_subalgoE6EjNS0_10empty_typeEbEEZZNS1_14partition_implILS5_6ELb0ES3_mN6thrust23THRUST_200600_302600_NS6detail15normal_iteratorINSA_10device_ptrIjEEEEPS6_SG_NS0_5tupleIJSF_S6_EEENSH_IJSG_SG_EEES6_PlJNSB_9not_fun_tINSB_10functional5actorINSM_9compositeIJNSM_27transparent_binary_operatorINSA_8equal_toIvEEEENSN_INSM_8argumentILj0EEEEENSM_5valueIjEEEEEEEEEEEE10hipError_tPvRmT3_T4_T5_T6_T7_T9_mT8_P12ihipStream_tbDpT10_ENKUlT_T0_E_clISt17integral_constantIbLb1EES1J_IbLb0EEEEDaS1F_S1G_EUlS1F_E_NS1_11comp_targetILNS1_3genE9ELNS1_11target_archE1100ELNS1_3gpuE3ELNS1_3repE0EEENS1_30default_config_static_selectorELNS0_4arch9wavefront6targetE0EEEvT1_.kd
    .uniform_work_group_size: 1
    .uses_dynamic_stack: false
    .vgpr_count:     0
    .vgpr_spill_count: 0
    .wavefront_size: 32
    .workgroup_processor_mode: 1
  - .args:
      - .offset:         0
        .size:           120
        .value_kind:     by_value
    .group_segment_fixed_size: 0
    .kernarg_segment_align: 8
    .kernarg_segment_size: 120
    .language:       OpenCL C
    .language_version:
      - 2
      - 0
    .max_flat_workgroup_size: 512
    .name:           _ZN7rocprim17ROCPRIM_400000_NS6detail17trampoline_kernelINS0_14default_configENS1_25partition_config_selectorILNS1_17partition_subalgoE6EjNS0_10empty_typeEbEEZZNS1_14partition_implILS5_6ELb0ES3_mN6thrust23THRUST_200600_302600_NS6detail15normal_iteratorINSA_10device_ptrIjEEEEPS6_SG_NS0_5tupleIJSF_S6_EEENSH_IJSG_SG_EEES6_PlJNSB_9not_fun_tINSB_10functional5actorINSM_9compositeIJNSM_27transparent_binary_operatorINSA_8equal_toIvEEEENSN_INSM_8argumentILj0EEEEENSM_5valueIjEEEEEEEEEEEE10hipError_tPvRmT3_T4_T5_T6_T7_T9_mT8_P12ihipStream_tbDpT10_ENKUlT_T0_E_clISt17integral_constantIbLb1EES1J_IbLb0EEEEDaS1F_S1G_EUlS1F_E_NS1_11comp_targetILNS1_3genE8ELNS1_11target_archE1030ELNS1_3gpuE2ELNS1_3repE0EEENS1_30default_config_static_selectorELNS0_4arch9wavefront6targetE0EEEvT1_
    .private_segment_fixed_size: 0
    .sgpr_count:     0
    .sgpr_spill_count: 0
    .symbol:         _ZN7rocprim17ROCPRIM_400000_NS6detail17trampoline_kernelINS0_14default_configENS1_25partition_config_selectorILNS1_17partition_subalgoE6EjNS0_10empty_typeEbEEZZNS1_14partition_implILS5_6ELb0ES3_mN6thrust23THRUST_200600_302600_NS6detail15normal_iteratorINSA_10device_ptrIjEEEEPS6_SG_NS0_5tupleIJSF_S6_EEENSH_IJSG_SG_EEES6_PlJNSB_9not_fun_tINSB_10functional5actorINSM_9compositeIJNSM_27transparent_binary_operatorINSA_8equal_toIvEEEENSN_INSM_8argumentILj0EEEEENSM_5valueIjEEEEEEEEEEEE10hipError_tPvRmT3_T4_T5_T6_T7_T9_mT8_P12ihipStream_tbDpT10_ENKUlT_T0_E_clISt17integral_constantIbLb1EES1J_IbLb0EEEEDaS1F_S1G_EUlS1F_E_NS1_11comp_targetILNS1_3genE8ELNS1_11target_archE1030ELNS1_3gpuE2ELNS1_3repE0EEENS1_30default_config_static_selectorELNS0_4arch9wavefront6targetE0EEEvT1_.kd
    .uniform_work_group_size: 1
    .uses_dynamic_stack: false
    .vgpr_count:     0
    .vgpr_spill_count: 0
    .wavefront_size: 32
    .workgroup_processor_mode: 1
  - .args:
      - .offset:         0
        .size:           128
        .value_kind:     by_value
    .group_segment_fixed_size: 0
    .kernarg_segment_align: 8
    .kernarg_segment_size: 128
    .language:       OpenCL C
    .language_version:
      - 2
      - 0
    .max_flat_workgroup_size: 256
    .name:           _ZN7rocprim17ROCPRIM_400000_NS6detail17trampoline_kernelINS0_14default_configENS1_25partition_config_selectorILNS1_17partition_subalgoE6EjNS0_10empty_typeEbEEZZNS1_14partition_implILS5_6ELb0ES3_mN6thrust23THRUST_200600_302600_NS6detail15normal_iteratorINSA_10device_ptrIjEEEEPS6_SG_NS0_5tupleIJSF_S6_EEENSH_IJSG_SG_EEES6_PlJNSB_9not_fun_tINSB_10functional5actorINSM_9compositeIJNSM_27transparent_binary_operatorINSA_8equal_toIvEEEENSN_INSM_8argumentILj0EEEEENSM_5valueIjEEEEEEEEEEEE10hipError_tPvRmT3_T4_T5_T6_T7_T9_mT8_P12ihipStream_tbDpT10_ENKUlT_T0_E_clISt17integral_constantIbLb0EES1J_IbLb1EEEEDaS1F_S1G_EUlS1F_E_NS1_11comp_targetILNS1_3genE0ELNS1_11target_archE4294967295ELNS1_3gpuE0ELNS1_3repE0EEENS1_30default_config_static_selectorELNS0_4arch9wavefront6targetE0EEEvT1_
    .private_segment_fixed_size: 0
    .sgpr_count:     0
    .sgpr_spill_count: 0
    .symbol:         _ZN7rocprim17ROCPRIM_400000_NS6detail17trampoline_kernelINS0_14default_configENS1_25partition_config_selectorILNS1_17partition_subalgoE6EjNS0_10empty_typeEbEEZZNS1_14partition_implILS5_6ELb0ES3_mN6thrust23THRUST_200600_302600_NS6detail15normal_iteratorINSA_10device_ptrIjEEEEPS6_SG_NS0_5tupleIJSF_S6_EEENSH_IJSG_SG_EEES6_PlJNSB_9not_fun_tINSB_10functional5actorINSM_9compositeIJNSM_27transparent_binary_operatorINSA_8equal_toIvEEEENSN_INSM_8argumentILj0EEEEENSM_5valueIjEEEEEEEEEEEE10hipError_tPvRmT3_T4_T5_T6_T7_T9_mT8_P12ihipStream_tbDpT10_ENKUlT_T0_E_clISt17integral_constantIbLb0EES1J_IbLb1EEEEDaS1F_S1G_EUlS1F_E_NS1_11comp_targetILNS1_3genE0ELNS1_11target_archE4294967295ELNS1_3gpuE0ELNS1_3repE0EEENS1_30default_config_static_selectorELNS0_4arch9wavefront6targetE0EEEvT1_.kd
    .uniform_work_group_size: 1
    .uses_dynamic_stack: false
    .vgpr_count:     0
    .vgpr_spill_count: 0
    .wavefront_size: 32
    .workgroup_processor_mode: 1
  - .args:
      - .offset:         0
        .size:           128
        .value_kind:     by_value
    .group_segment_fixed_size: 0
    .kernarg_segment_align: 8
    .kernarg_segment_size: 128
    .language:       OpenCL C
    .language_version:
      - 2
      - 0
    .max_flat_workgroup_size: 512
    .name:           _ZN7rocprim17ROCPRIM_400000_NS6detail17trampoline_kernelINS0_14default_configENS1_25partition_config_selectorILNS1_17partition_subalgoE6EjNS0_10empty_typeEbEEZZNS1_14partition_implILS5_6ELb0ES3_mN6thrust23THRUST_200600_302600_NS6detail15normal_iteratorINSA_10device_ptrIjEEEEPS6_SG_NS0_5tupleIJSF_S6_EEENSH_IJSG_SG_EEES6_PlJNSB_9not_fun_tINSB_10functional5actorINSM_9compositeIJNSM_27transparent_binary_operatorINSA_8equal_toIvEEEENSN_INSM_8argumentILj0EEEEENSM_5valueIjEEEEEEEEEEEE10hipError_tPvRmT3_T4_T5_T6_T7_T9_mT8_P12ihipStream_tbDpT10_ENKUlT_T0_E_clISt17integral_constantIbLb0EES1J_IbLb1EEEEDaS1F_S1G_EUlS1F_E_NS1_11comp_targetILNS1_3genE5ELNS1_11target_archE942ELNS1_3gpuE9ELNS1_3repE0EEENS1_30default_config_static_selectorELNS0_4arch9wavefront6targetE0EEEvT1_
    .private_segment_fixed_size: 0
    .sgpr_count:     0
    .sgpr_spill_count: 0
    .symbol:         _ZN7rocprim17ROCPRIM_400000_NS6detail17trampoline_kernelINS0_14default_configENS1_25partition_config_selectorILNS1_17partition_subalgoE6EjNS0_10empty_typeEbEEZZNS1_14partition_implILS5_6ELb0ES3_mN6thrust23THRUST_200600_302600_NS6detail15normal_iteratorINSA_10device_ptrIjEEEEPS6_SG_NS0_5tupleIJSF_S6_EEENSH_IJSG_SG_EEES6_PlJNSB_9not_fun_tINSB_10functional5actorINSM_9compositeIJNSM_27transparent_binary_operatorINSA_8equal_toIvEEEENSN_INSM_8argumentILj0EEEEENSM_5valueIjEEEEEEEEEEEE10hipError_tPvRmT3_T4_T5_T6_T7_T9_mT8_P12ihipStream_tbDpT10_ENKUlT_T0_E_clISt17integral_constantIbLb0EES1J_IbLb1EEEEDaS1F_S1G_EUlS1F_E_NS1_11comp_targetILNS1_3genE5ELNS1_11target_archE942ELNS1_3gpuE9ELNS1_3repE0EEENS1_30default_config_static_selectorELNS0_4arch9wavefront6targetE0EEEvT1_.kd
    .uniform_work_group_size: 1
    .uses_dynamic_stack: false
    .vgpr_count:     0
    .vgpr_spill_count: 0
    .wavefront_size: 32
    .workgroup_processor_mode: 1
  - .args:
      - .offset:         0
        .size:           128
        .value_kind:     by_value
    .group_segment_fixed_size: 0
    .kernarg_segment_align: 8
    .kernarg_segment_size: 128
    .language:       OpenCL C
    .language_version:
      - 2
      - 0
    .max_flat_workgroup_size: 512
    .name:           _ZN7rocprim17ROCPRIM_400000_NS6detail17trampoline_kernelINS0_14default_configENS1_25partition_config_selectorILNS1_17partition_subalgoE6EjNS0_10empty_typeEbEEZZNS1_14partition_implILS5_6ELb0ES3_mN6thrust23THRUST_200600_302600_NS6detail15normal_iteratorINSA_10device_ptrIjEEEEPS6_SG_NS0_5tupleIJSF_S6_EEENSH_IJSG_SG_EEES6_PlJNSB_9not_fun_tINSB_10functional5actorINSM_9compositeIJNSM_27transparent_binary_operatorINSA_8equal_toIvEEEENSN_INSM_8argumentILj0EEEEENSM_5valueIjEEEEEEEEEEEE10hipError_tPvRmT3_T4_T5_T6_T7_T9_mT8_P12ihipStream_tbDpT10_ENKUlT_T0_E_clISt17integral_constantIbLb0EES1J_IbLb1EEEEDaS1F_S1G_EUlS1F_E_NS1_11comp_targetILNS1_3genE4ELNS1_11target_archE910ELNS1_3gpuE8ELNS1_3repE0EEENS1_30default_config_static_selectorELNS0_4arch9wavefront6targetE0EEEvT1_
    .private_segment_fixed_size: 0
    .sgpr_count:     0
    .sgpr_spill_count: 0
    .symbol:         _ZN7rocprim17ROCPRIM_400000_NS6detail17trampoline_kernelINS0_14default_configENS1_25partition_config_selectorILNS1_17partition_subalgoE6EjNS0_10empty_typeEbEEZZNS1_14partition_implILS5_6ELb0ES3_mN6thrust23THRUST_200600_302600_NS6detail15normal_iteratorINSA_10device_ptrIjEEEEPS6_SG_NS0_5tupleIJSF_S6_EEENSH_IJSG_SG_EEES6_PlJNSB_9not_fun_tINSB_10functional5actorINSM_9compositeIJNSM_27transparent_binary_operatorINSA_8equal_toIvEEEENSN_INSM_8argumentILj0EEEEENSM_5valueIjEEEEEEEEEEEE10hipError_tPvRmT3_T4_T5_T6_T7_T9_mT8_P12ihipStream_tbDpT10_ENKUlT_T0_E_clISt17integral_constantIbLb0EES1J_IbLb1EEEEDaS1F_S1G_EUlS1F_E_NS1_11comp_targetILNS1_3genE4ELNS1_11target_archE910ELNS1_3gpuE8ELNS1_3repE0EEENS1_30default_config_static_selectorELNS0_4arch9wavefront6targetE0EEEvT1_.kd
    .uniform_work_group_size: 1
    .uses_dynamic_stack: false
    .vgpr_count:     0
    .vgpr_spill_count: 0
    .wavefront_size: 32
    .workgroup_processor_mode: 1
  - .args:
      - .offset:         0
        .size:           128
        .value_kind:     by_value
    .group_segment_fixed_size: 0
    .kernarg_segment_align: 8
    .kernarg_segment_size: 128
    .language:       OpenCL C
    .language_version:
      - 2
      - 0
    .max_flat_workgroup_size: 256
    .name:           _ZN7rocprim17ROCPRIM_400000_NS6detail17trampoline_kernelINS0_14default_configENS1_25partition_config_selectorILNS1_17partition_subalgoE6EjNS0_10empty_typeEbEEZZNS1_14partition_implILS5_6ELb0ES3_mN6thrust23THRUST_200600_302600_NS6detail15normal_iteratorINSA_10device_ptrIjEEEEPS6_SG_NS0_5tupleIJSF_S6_EEENSH_IJSG_SG_EEES6_PlJNSB_9not_fun_tINSB_10functional5actorINSM_9compositeIJNSM_27transparent_binary_operatorINSA_8equal_toIvEEEENSN_INSM_8argumentILj0EEEEENSM_5valueIjEEEEEEEEEEEE10hipError_tPvRmT3_T4_T5_T6_T7_T9_mT8_P12ihipStream_tbDpT10_ENKUlT_T0_E_clISt17integral_constantIbLb0EES1J_IbLb1EEEEDaS1F_S1G_EUlS1F_E_NS1_11comp_targetILNS1_3genE3ELNS1_11target_archE908ELNS1_3gpuE7ELNS1_3repE0EEENS1_30default_config_static_selectorELNS0_4arch9wavefront6targetE0EEEvT1_
    .private_segment_fixed_size: 0
    .sgpr_count:     0
    .sgpr_spill_count: 0
    .symbol:         _ZN7rocprim17ROCPRIM_400000_NS6detail17trampoline_kernelINS0_14default_configENS1_25partition_config_selectorILNS1_17partition_subalgoE6EjNS0_10empty_typeEbEEZZNS1_14partition_implILS5_6ELb0ES3_mN6thrust23THRUST_200600_302600_NS6detail15normal_iteratorINSA_10device_ptrIjEEEEPS6_SG_NS0_5tupleIJSF_S6_EEENSH_IJSG_SG_EEES6_PlJNSB_9not_fun_tINSB_10functional5actorINSM_9compositeIJNSM_27transparent_binary_operatorINSA_8equal_toIvEEEENSN_INSM_8argumentILj0EEEEENSM_5valueIjEEEEEEEEEEEE10hipError_tPvRmT3_T4_T5_T6_T7_T9_mT8_P12ihipStream_tbDpT10_ENKUlT_T0_E_clISt17integral_constantIbLb0EES1J_IbLb1EEEEDaS1F_S1G_EUlS1F_E_NS1_11comp_targetILNS1_3genE3ELNS1_11target_archE908ELNS1_3gpuE7ELNS1_3repE0EEENS1_30default_config_static_selectorELNS0_4arch9wavefront6targetE0EEEvT1_.kd
    .uniform_work_group_size: 1
    .uses_dynamic_stack: false
    .vgpr_count:     0
    .vgpr_spill_count: 0
    .wavefront_size: 32
    .workgroup_processor_mode: 1
  - .args:
      - .offset:         0
        .size:           128
        .value_kind:     by_value
    .group_segment_fixed_size: 0
    .kernarg_segment_align: 8
    .kernarg_segment_size: 128
    .language:       OpenCL C
    .language_version:
      - 2
      - 0
    .max_flat_workgroup_size: 192
    .name:           _ZN7rocprim17ROCPRIM_400000_NS6detail17trampoline_kernelINS0_14default_configENS1_25partition_config_selectorILNS1_17partition_subalgoE6EjNS0_10empty_typeEbEEZZNS1_14partition_implILS5_6ELb0ES3_mN6thrust23THRUST_200600_302600_NS6detail15normal_iteratorINSA_10device_ptrIjEEEEPS6_SG_NS0_5tupleIJSF_S6_EEENSH_IJSG_SG_EEES6_PlJNSB_9not_fun_tINSB_10functional5actorINSM_9compositeIJNSM_27transparent_binary_operatorINSA_8equal_toIvEEEENSN_INSM_8argumentILj0EEEEENSM_5valueIjEEEEEEEEEEEE10hipError_tPvRmT3_T4_T5_T6_T7_T9_mT8_P12ihipStream_tbDpT10_ENKUlT_T0_E_clISt17integral_constantIbLb0EES1J_IbLb1EEEEDaS1F_S1G_EUlS1F_E_NS1_11comp_targetILNS1_3genE2ELNS1_11target_archE906ELNS1_3gpuE6ELNS1_3repE0EEENS1_30default_config_static_selectorELNS0_4arch9wavefront6targetE0EEEvT1_
    .private_segment_fixed_size: 0
    .sgpr_count:     0
    .sgpr_spill_count: 0
    .symbol:         _ZN7rocprim17ROCPRIM_400000_NS6detail17trampoline_kernelINS0_14default_configENS1_25partition_config_selectorILNS1_17partition_subalgoE6EjNS0_10empty_typeEbEEZZNS1_14partition_implILS5_6ELb0ES3_mN6thrust23THRUST_200600_302600_NS6detail15normal_iteratorINSA_10device_ptrIjEEEEPS6_SG_NS0_5tupleIJSF_S6_EEENSH_IJSG_SG_EEES6_PlJNSB_9not_fun_tINSB_10functional5actorINSM_9compositeIJNSM_27transparent_binary_operatorINSA_8equal_toIvEEEENSN_INSM_8argumentILj0EEEEENSM_5valueIjEEEEEEEEEEEE10hipError_tPvRmT3_T4_T5_T6_T7_T9_mT8_P12ihipStream_tbDpT10_ENKUlT_T0_E_clISt17integral_constantIbLb0EES1J_IbLb1EEEEDaS1F_S1G_EUlS1F_E_NS1_11comp_targetILNS1_3genE2ELNS1_11target_archE906ELNS1_3gpuE6ELNS1_3repE0EEENS1_30default_config_static_selectorELNS0_4arch9wavefront6targetE0EEEvT1_.kd
    .uniform_work_group_size: 1
    .uses_dynamic_stack: false
    .vgpr_count:     0
    .vgpr_spill_count: 0
    .wavefront_size: 32
    .workgroup_processor_mode: 1
  - .args:
      - .offset:         0
        .size:           128
        .value_kind:     by_value
    .group_segment_fixed_size: 10768
    .kernarg_segment_align: 8
    .kernarg_segment_size: 128
    .language:       OpenCL C
    .language_version:
      - 2
      - 0
    .max_flat_workgroup_size: 384
    .name:           _ZN7rocprim17ROCPRIM_400000_NS6detail17trampoline_kernelINS0_14default_configENS1_25partition_config_selectorILNS1_17partition_subalgoE6EjNS0_10empty_typeEbEEZZNS1_14partition_implILS5_6ELb0ES3_mN6thrust23THRUST_200600_302600_NS6detail15normal_iteratorINSA_10device_ptrIjEEEEPS6_SG_NS0_5tupleIJSF_S6_EEENSH_IJSG_SG_EEES6_PlJNSB_9not_fun_tINSB_10functional5actorINSM_9compositeIJNSM_27transparent_binary_operatorINSA_8equal_toIvEEEENSN_INSM_8argumentILj0EEEEENSM_5valueIjEEEEEEEEEEEE10hipError_tPvRmT3_T4_T5_T6_T7_T9_mT8_P12ihipStream_tbDpT10_ENKUlT_T0_E_clISt17integral_constantIbLb0EES1J_IbLb1EEEEDaS1F_S1G_EUlS1F_E_NS1_11comp_targetILNS1_3genE10ELNS1_11target_archE1200ELNS1_3gpuE4ELNS1_3repE0EEENS1_30default_config_static_selectorELNS0_4arch9wavefront6targetE0EEEvT1_
    .private_segment_fixed_size: 0
    .sgpr_count:     23
    .sgpr_spill_count: 0
    .symbol:         _ZN7rocprim17ROCPRIM_400000_NS6detail17trampoline_kernelINS0_14default_configENS1_25partition_config_selectorILNS1_17partition_subalgoE6EjNS0_10empty_typeEbEEZZNS1_14partition_implILS5_6ELb0ES3_mN6thrust23THRUST_200600_302600_NS6detail15normal_iteratorINSA_10device_ptrIjEEEEPS6_SG_NS0_5tupleIJSF_S6_EEENSH_IJSG_SG_EEES6_PlJNSB_9not_fun_tINSB_10functional5actorINSM_9compositeIJNSM_27transparent_binary_operatorINSA_8equal_toIvEEEENSN_INSM_8argumentILj0EEEEENSM_5valueIjEEEEEEEEEEEE10hipError_tPvRmT3_T4_T5_T6_T7_T9_mT8_P12ihipStream_tbDpT10_ENKUlT_T0_E_clISt17integral_constantIbLb0EES1J_IbLb1EEEEDaS1F_S1G_EUlS1F_E_NS1_11comp_targetILNS1_3genE10ELNS1_11target_archE1200ELNS1_3gpuE4ELNS1_3repE0EEENS1_30default_config_static_selectorELNS0_4arch9wavefront6targetE0EEEvT1_.kd
    .uniform_work_group_size: 1
    .uses_dynamic_stack: false
    .vgpr_count:     51
    .vgpr_spill_count: 0
    .wavefront_size: 32
    .workgroup_processor_mode: 1
  - .args:
      - .offset:         0
        .size:           128
        .value_kind:     by_value
    .group_segment_fixed_size: 0
    .kernarg_segment_align: 8
    .kernarg_segment_size: 128
    .language:       OpenCL C
    .language_version:
      - 2
      - 0
    .max_flat_workgroup_size: 128
    .name:           _ZN7rocprim17ROCPRIM_400000_NS6detail17trampoline_kernelINS0_14default_configENS1_25partition_config_selectorILNS1_17partition_subalgoE6EjNS0_10empty_typeEbEEZZNS1_14partition_implILS5_6ELb0ES3_mN6thrust23THRUST_200600_302600_NS6detail15normal_iteratorINSA_10device_ptrIjEEEEPS6_SG_NS0_5tupleIJSF_S6_EEENSH_IJSG_SG_EEES6_PlJNSB_9not_fun_tINSB_10functional5actorINSM_9compositeIJNSM_27transparent_binary_operatorINSA_8equal_toIvEEEENSN_INSM_8argumentILj0EEEEENSM_5valueIjEEEEEEEEEEEE10hipError_tPvRmT3_T4_T5_T6_T7_T9_mT8_P12ihipStream_tbDpT10_ENKUlT_T0_E_clISt17integral_constantIbLb0EES1J_IbLb1EEEEDaS1F_S1G_EUlS1F_E_NS1_11comp_targetILNS1_3genE9ELNS1_11target_archE1100ELNS1_3gpuE3ELNS1_3repE0EEENS1_30default_config_static_selectorELNS0_4arch9wavefront6targetE0EEEvT1_
    .private_segment_fixed_size: 0
    .sgpr_count:     0
    .sgpr_spill_count: 0
    .symbol:         _ZN7rocprim17ROCPRIM_400000_NS6detail17trampoline_kernelINS0_14default_configENS1_25partition_config_selectorILNS1_17partition_subalgoE6EjNS0_10empty_typeEbEEZZNS1_14partition_implILS5_6ELb0ES3_mN6thrust23THRUST_200600_302600_NS6detail15normal_iteratorINSA_10device_ptrIjEEEEPS6_SG_NS0_5tupleIJSF_S6_EEENSH_IJSG_SG_EEES6_PlJNSB_9not_fun_tINSB_10functional5actorINSM_9compositeIJNSM_27transparent_binary_operatorINSA_8equal_toIvEEEENSN_INSM_8argumentILj0EEEEENSM_5valueIjEEEEEEEEEEEE10hipError_tPvRmT3_T4_T5_T6_T7_T9_mT8_P12ihipStream_tbDpT10_ENKUlT_T0_E_clISt17integral_constantIbLb0EES1J_IbLb1EEEEDaS1F_S1G_EUlS1F_E_NS1_11comp_targetILNS1_3genE9ELNS1_11target_archE1100ELNS1_3gpuE3ELNS1_3repE0EEENS1_30default_config_static_selectorELNS0_4arch9wavefront6targetE0EEEvT1_.kd
    .uniform_work_group_size: 1
    .uses_dynamic_stack: false
    .vgpr_count:     0
    .vgpr_spill_count: 0
    .wavefront_size: 32
    .workgroup_processor_mode: 1
  - .args:
      - .offset:         0
        .size:           128
        .value_kind:     by_value
    .group_segment_fixed_size: 0
    .kernarg_segment_align: 8
    .kernarg_segment_size: 128
    .language:       OpenCL C
    .language_version:
      - 2
      - 0
    .max_flat_workgroup_size: 512
    .name:           _ZN7rocprim17ROCPRIM_400000_NS6detail17trampoline_kernelINS0_14default_configENS1_25partition_config_selectorILNS1_17partition_subalgoE6EjNS0_10empty_typeEbEEZZNS1_14partition_implILS5_6ELb0ES3_mN6thrust23THRUST_200600_302600_NS6detail15normal_iteratorINSA_10device_ptrIjEEEEPS6_SG_NS0_5tupleIJSF_S6_EEENSH_IJSG_SG_EEES6_PlJNSB_9not_fun_tINSB_10functional5actorINSM_9compositeIJNSM_27transparent_binary_operatorINSA_8equal_toIvEEEENSN_INSM_8argumentILj0EEEEENSM_5valueIjEEEEEEEEEEEE10hipError_tPvRmT3_T4_T5_T6_T7_T9_mT8_P12ihipStream_tbDpT10_ENKUlT_T0_E_clISt17integral_constantIbLb0EES1J_IbLb1EEEEDaS1F_S1G_EUlS1F_E_NS1_11comp_targetILNS1_3genE8ELNS1_11target_archE1030ELNS1_3gpuE2ELNS1_3repE0EEENS1_30default_config_static_selectorELNS0_4arch9wavefront6targetE0EEEvT1_
    .private_segment_fixed_size: 0
    .sgpr_count:     0
    .sgpr_spill_count: 0
    .symbol:         _ZN7rocprim17ROCPRIM_400000_NS6detail17trampoline_kernelINS0_14default_configENS1_25partition_config_selectorILNS1_17partition_subalgoE6EjNS0_10empty_typeEbEEZZNS1_14partition_implILS5_6ELb0ES3_mN6thrust23THRUST_200600_302600_NS6detail15normal_iteratorINSA_10device_ptrIjEEEEPS6_SG_NS0_5tupleIJSF_S6_EEENSH_IJSG_SG_EEES6_PlJNSB_9not_fun_tINSB_10functional5actorINSM_9compositeIJNSM_27transparent_binary_operatorINSA_8equal_toIvEEEENSN_INSM_8argumentILj0EEEEENSM_5valueIjEEEEEEEEEEEE10hipError_tPvRmT3_T4_T5_T6_T7_T9_mT8_P12ihipStream_tbDpT10_ENKUlT_T0_E_clISt17integral_constantIbLb0EES1J_IbLb1EEEEDaS1F_S1G_EUlS1F_E_NS1_11comp_targetILNS1_3genE8ELNS1_11target_archE1030ELNS1_3gpuE2ELNS1_3repE0EEENS1_30default_config_static_selectorELNS0_4arch9wavefront6targetE0EEEvT1_.kd
    .uniform_work_group_size: 1
    .uses_dynamic_stack: false
    .vgpr_count:     0
    .vgpr_spill_count: 0
    .wavefront_size: 32
    .workgroup_processor_mode: 1
  - .args:
      - .offset:         0
        .size:           16
        .value_kind:     by_value
      - .offset:         16
        .size:           8
        .value_kind:     by_value
      - .offset:         24
        .size:           8
        .value_kind:     by_value
    .group_segment_fixed_size: 0
    .kernarg_segment_align: 8
    .kernarg_segment_size: 32
    .language:       OpenCL C
    .language_version:
      - 2
      - 0
    .max_flat_workgroup_size: 256
    .name:           _ZN6thrust23THRUST_200600_302600_NS11hip_rocprim14__parallel_for6kernelILj256ENS1_20__uninitialized_fill7functorINS0_10device_ptrItEEtEEmLj1EEEvT0_T1_SA_
    .private_segment_fixed_size: 0
    .sgpr_count:     14
    .sgpr_spill_count: 0
    .symbol:         _ZN6thrust23THRUST_200600_302600_NS11hip_rocprim14__parallel_for6kernelILj256ENS1_20__uninitialized_fill7functorINS0_10device_ptrItEEtEEmLj1EEEvT0_T1_SA_.kd
    .uniform_work_group_size: 1
    .uses_dynamic_stack: false
    .vgpr_count:     4
    .vgpr_spill_count: 0
    .wavefront_size: 32
    .workgroup_processor_mode: 1
  - .args:
      - .offset:         0
        .size:           120
        .value_kind:     by_value
    .group_segment_fixed_size: 0
    .kernarg_segment_align: 8
    .kernarg_segment_size: 120
    .language:       OpenCL C
    .language_version:
      - 2
      - 0
    .max_flat_workgroup_size: 256
    .name:           _ZN7rocprim17ROCPRIM_400000_NS6detail17trampoline_kernelINS0_14default_configENS1_25partition_config_selectorILNS1_17partition_subalgoE6EtNS0_10empty_typeEbEEZZNS1_14partition_implILS5_6ELb0ES3_mN6thrust23THRUST_200600_302600_NS6detail15normal_iteratorINSA_10device_ptrItEEEEPS6_SG_NS0_5tupleIJSF_S6_EEENSH_IJSG_SG_EEES6_PlJNSB_9not_fun_tINSB_10functional5actorINSM_9compositeIJNSM_27transparent_binary_operatorINSA_8equal_toIvEEEENSN_INSM_8argumentILj0EEEEENSM_5valueItEEEEEEEEEEEE10hipError_tPvRmT3_T4_T5_T6_T7_T9_mT8_P12ihipStream_tbDpT10_ENKUlT_T0_E_clISt17integral_constantIbLb0EES1K_EEDaS1F_S1G_EUlS1F_E_NS1_11comp_targetILNS1_3genE0ELNS1_11target_archE4294967295ELNS1_3gpuE0ELNS1_3repE0EEENS1_30default_config_static_selectorELNS0_4arch9wavefront6targetE0EEEvT1_
    .private_segment_fixed_size: 0
    .sgpr_count:     0
    .sgpr_spill_count: 0
    .symbol:         _ZN7rocprim17ROCPRIM_400000_NS6detail17trampoline_kernelINS0_14default_configENS1_25partition_config_selectorILNS1_17partition_subalgoE6EtNS0_10empty_typeEbEEZZNS1_14partition_implILS5_6ELb0ES3_mN6thrust23THRUST_200600_302600_NS6detail15normal_iteratorINSA_10device_ptrItEEEEPS6_SG_NS0_5tupleIJSF_S6_EEENSH_IJSG_SG_EEES6_PlJNSB_9not_fun_tINSB_10functional5actorINSM_9compositeIJNSM_27transparent_binary_operatorINSA_8equal_toIvEEEENSN_INSM_8argumentILj0EEEEENSM_5valueItEEEEEEEEEEEE10hipError_tPvRmT3_T4_T5_T6_T7_T9_mT8_P12ihipStream_tbDpT10_ENKUlT_T0_E_clISt17integral_constantIbLb0EES1K_EEDaS1F_S1G_EUlS1F_E_NS1_11comp_targetILNS1_3genE0ELNS1_11target_archE4294967295ELNS1_3gpuE0ELNS1_3repE0EEENS1_30default_config_static_selectorELNS0_4arch9wavefront6targetE0EEEvT1_.kd
    .uniform_work_group_size: 1
    .uses_dynamic_stack: false
    .vgpr_count:     0
    .vgpr_spill_count: 0
    .wavefront_size: 32
    .workgroup_processor_mode: 1
  - .args:
      - .offset:         0
        .size:           120
        .value_kind:     by_value
    .group_segment_fixed_size: 0
    .kernarg_segment_align: 8
    .kernarg_segment_size: 120
    .language:       OpenCL C
    .language_version:
      - 2
      - 0
    .max_flat_workgroup_size: 512
    .name:           _ZN7rocprim17ROCPRIM_400000_NS6detail17trampoline_kernelINS0_14default_configENS1_25partition_config_selectorILNS1_17partition_subalgoE6EtNS0_10empty_typeEbEEZZNS1_14partition_implILS5_6ELb0ES3_mN6thrust23THRUST_200600_302600_NS6detail15normal_iteratorINSA_10device_ptrItEEEEPS6_SG_NS0_5tupleIJSF_S6_EEENSH_IJSG_SG_EEES6_PlJNSB_9not_fun_tINSB_10functional5actorINSM_9compositeIJNSM_27transparent_binary_operatorINSA_8equal_toIvEEEENSN_INSM_8argumentILj0EEEEENSM_5valueItEEEEEEEEEEEE10hipError_tPvRmT3_T4_T5_T6_T7_T9_mT8_P12ihipStream_tbDpT10_ENKUlT_T0_E_clISt17integral_constantIbLb0EES1K_EEDaS1F_S1G_EUlS1F_E_NS1_11comp_targetILNS1_3genE5ELNS1_11target_archE942ELNS1_3gpuE9ELNS1_3repE0EEENS1_30default_config_static_selectorELNS0_4arch9wavefront6targetE0EEEvT1_
    .private_segment_fixed_size: 0
    .sgpr_count:     0
    .sgpr_spill_count: 0
    .symbol:         _ZN7rocprim17ROCPRIM_400000_NS6detail17trampoline_kernelINS0_14default_configENS1_25partition_config_selectorILNS1_17partition_subalgoE6EtNS0_10empty_typeEbEEZZNS1_14partition_implILS5_6ELb0ES3_mN6thrust23THRUST_200600_302600_NS6detail15normal_iteratorINSA_10device_ptrItEEEEPS6_SG_NS0_5tupleIJSF_S6_EEENSH_IJSG_SG_EEES6_PlJNSB_9not_fun_tINSB_10functional5actorINSM_9compositeIJNSM_27transparent_binary_operatorINSA_8equal_toIvEEEENSN_INSM_8argumentILj0EEEEENSM_5valueItEEEEEEEEEEEE10hipError_tPvRmT3_T4_T5_T6_T7_T9_mT8_P12ihipStream_tbDpT10_ENKUlT_T0_E_clISt17integral_constantIbLb0EES1K_EEDaS1F_S1G_EUlS1F_E_NS1_11comp_targetILNS1_3genE5ELNS1_11target_archE942ELNS1_3gpuE9ELNS1_3repE0EEENS1_30default_config_static_selectorELNS0_4arch9wavefront6targetE0EEEvT1_.kd
    .uniform_work_group_size: 1
    .uses_dynamic_stack: false
    .vgpr_count:     0
    .vgpr_spill_count: 0
    .wavefront_size: 32
    .workgroup_processor_mode: 1
  - .args:
      - .offset:         0
        .size:           120
        .value_kind:     by_value
    .group_segment_fixed_size: 0
    .kernarg_segment_align: 8
    .kernarg_segment_size: 120
    .language:       OpenCL C
    .language_version:
      - 2
      - 0
    .max_flat_workgroup_size: 256
    .name:           _ZN7rocprim17ROCPRIM_400000_NS6detail17trampoline_kernelINS0_14default_configENS1_25partition_config_selectorILNS1_17partition_subalgoE6EtNS0_10empty_typeEbEEZZNS1_14partition_implILS5_6ELb0ES3_mN6thrust23THRUST_200600_302600_NS6detail15normal_iteratorINSA_10device_ptrItEEEEPS6_SG_NS0_5tupleIJSF_S6_EEENSH_IJSG_SG_EEES6_PlJNSB_9not_fun_tINSB_10functional5actorINSM_9compositeIJNSM_27transparent_binary_operatorINSA_8equal_toIvEEEENSN_INSM_8argumentILj0EEEEENSM_5valueItEEEEEEEEEEEE10hipError_tPvRmT3_T4_T5_T6_T7_T9_mT8_P12ihipStream_tbDpT10_ENKUlT_T0_E_clISt17integral_constantIbLb0EES1K_EEDaS1F_S1G_EUlS1F_E_NS1_11comp_targetILNS1_3genE4ELNS1_11target_archE910ELNS1_3gpuE8ELNS1_3repE0EEENS1_30default_config_static_selectorELNS0_4arch9wavefront6targetE0EEEvT1_
    .private_segment_fixed_size: 0
    .sgpr_count:     0
    .sgpr_spill_count: 0
    .symbol:         _ZN7rocprim17ROCPRIM_400000_NS6detail17trampoline_kernelINS0_14default_configENS1_25partition_config_selectorILNS1_17partition_subalgoE6EtNS0_10empty_typeEbEEZZNS1_14partition_implILS5_6ELb0ES3_mN6thrust23THRUST_200600_302600_NS6detail15normal_iteratorINSA_10device_ptrItEEEEPS6_SG_NS0_5tupleIJSF_S6_EEENSH_IJSG_SG_EEES6_PlJNSB_9not_fun_tINSB_10functional5actorINSM_9compositeIJNSM_27transparent_binary_operatorINSA_8equal_toIvEEEENSN_INSM_8argumentILj0EEEEENSM_5valueItEEEEEEEEEEEE10hipError_tPvRmT3_T4_T5_T6_T7_T9_mT8_P12ihipStream_tbDpT10_ENKUlT_T0_E_clISt17integral_constantIbLb0EES1K_EEDaS1F_S1G_EUlS1F_E_NS1_11comp_targetILNS1_3genE4ELNS1_11target_archE910ELNS1_3gpuE8ELNS1_3repE0EEENS1_30default_config_static_selectorELNS0_4arch9wavefront6targetE0EEEvT1_.kd
    .uniform_work_group_size: 1
    .uses_dynamic_stack: false
    .vgpr_count:     0
    .vgpr_spill_count: 0
    .wavefront_size: 32
    .workgroup_processor_mode: 1
  - .args:
      - .offset:         0
        .size:           120
        .value_kind:     by_value
    .group_segment_fixed_size: 0
    .kernarg_segment_align: 8
    .kernarg_segment_size: 120
    .language:       OpenCL C
    .language_version:
      - 2
      - 0
    .max_flat_workgroup_size: 256
    .name:           _ZN7rocprim17ROCPRIM_400000_NS6detail17trampoline_kernelINS0_14default_configENS1_25partition_config_selectorILNS1_17partition_subalgoE6EtNS0_10empty_typeEbEEZZNS1_14partition_implILS5_6ELb0ES3_mN6thrust23THRUST_200600_302600_NS6detail15normal_iteratorINSA_10device_ptrItEEEEPS6_SG_NS0_5tupleIJSF_S6_EEENSH_IJSG_SG_EEES6_PlJNSB_9not_fun_tINSB_10functional5actorINSM_9compositeIJNSM_27transparent_binary_operatorINSA_8equal_toIvEEEENSN_INSM_8argumentILj0EEEEENSM_5valueItEEEEEEEEEEEE10hipError_tPvRmT3_T4_T5_T6_T7_T9_mT8_P12ihipStream_tbDpT10_ENKUlT_T0_E_clISt17integral_constantIbLb0EES1K_EEDaS1F_S1G_EUlS1F_E_NS1_11comp_targetILNS1_3genE3ELNS1_11target_archE908ELNS1_3gpuE7ELNS1_3repE0EEENS1_30default_config_static_selectorELNS0_4arch9wavefront6targetE0EEEvT1_
    .private_segment_fixed_size: 0
    .sgpr_count:     0
    .sgpr_spill_count: 0
    .symbol:         _ZN7rocprim17ROCPRIM_400000_NS6detail17trampoline_kernelINS0_14default_configENS1_25partition_config_selectorILNS1_17partition_subalgoE6EtNS0_10empty_typeEbEEZZNS1_14partition_implILS5_6ELb0ES3_mN6thrust23THRUST_200600_302600_NS6detail15normal_iteratorINSA_10device_ptrItEEEEPS6_SG_NS0_5tupleIJSF_S6_EEENSH_IJSG_SG_EEES6_PlJNSB_9not_fun_tINSB_10functional5actorINSM_9compositeIJNSM_27transparent_binary_operatorINSA_8equal_toIvEEEENSN_INSM_8argumentILj0EEEEENSM_5valueItEEEEEEEEEEEE10hipError_tPvRmT3_T4_T5_T6_T7_T9_mT8_P12ihipStream_tbDpT10_ENKUlT_T0_E_clISt17integral_constantIbLb0EES1K_EEDaS1F_S1G_EUlS1F_E_NS1_11comp_targetILNS1_3genE3ELNS1_11target_archE908ELNS1_3gpuE7ELNS1_3repE0EEENS1_30default_config_static_selectorELNS0_4arch9wavefront6targetE0EEEvT1_.kd
    .uniform_work_group_size: 1
    .uses_dynamic_stack: false
    .vgpr_count:     0
    .vgpr_spill_count: 0
    .wavefront_size: 32
    .workgroup_processor_mode: 1
  - .args:
      - .offset:         0
        .size:           120
        .value_kind:     by_value
    .group_segment_fixed_size: 0
    .kernarg_segment_align: 8
    .kernarg_segment_size: 120
    .language:       OpenCL C
    .language_version:
      - 2
      - 0
    .max_flat_workgroup_size: 256
    .name:           _ZN7rocprim17ROCPRIM_400000_NS6detail17trampoline_kernelINS0_14default_configENS1_25partition_config_selectorILNS1_17partition_subalgoE6EtNS0_10empty_typeEbEEZZNS1_14partition_implILS5_6ELb0ES3_mN6thrust23THRUST_200600_302600_NS6detail15normal_iteratorINSA_10device_ptrItEEEEPS6_SG_NS0_5tupleIJSF_S6_EEENSH_IJSG_SG_EEES6_PlJNSB_9not_fun_tINSB_10functional5actorINSM_9compositeIJNSM_27transparent_binary_operatorINSA_8equal_toIvEEEENSN_INSM_8argumentILj0EEEEENSM_5valueItEEEEEEEEEEEE10hipError_tPvRmT3_T4_T5_T6_T7_T9_mT8_P12ihipStream_tbDpT10_ENKUlT_T0_E_clISt17integral_constantIbLb0EES1K_EEDaS1F_S1G_EUlS1F_E_NS1_11comp_targetILNS1_3genE2ELNS1_11target_archE906ELNS1_3gpuE6ELNS1_3repE0EEENS1_30default_config_static_selectorELNS0_4arch9wavefront6targetE0EEEvT1_
    .private_segment_fixed_size: 0
    .sgpr_count:     0
    .sgpr_spill_count: 0
    .symbol:         _ZN7rocprim17ROCPRIM_400000_NS6detail17trampoline_kernelINS0_14default_configENS1_25partition_config_selectorILNS1_17partition_subalgoE6EtNS0_10empty_typeEbEEZZNS1_14partition_implILS5_6ELb0ES3_mN6thrust23THRUST_200600_302600_NS6detail15normal_iteratorINSA_10device_ptrItEEEEPS6_SG_NS0_5tupleIJSF_S6_EEENSH_IJSG_SG_EEES6_PlJNSB_9not_fun_tINSB_10functional5actorINSM_9compositeIJNSM_27transparent_binary_operatorINSA_8equal_toIvEEEENSN_INSM_8argumentILj0EEEEENSM_5valueItEEEEEEEEEEEE10hipError_tPvRmT3_T4_T5_T6_T7_T9_mT8_P12ihipStream_tbDpT10_ENKUlT_T0_E_clISt17integral_constantIbLb0EES1K_EEDaS1F_S1G_EUlS1F_E_NS1_11comp_targetILNS1_3genE2ELNS1_11target_archE906ELNS1_3gpuE6ELNS1_3repE0EEENS1_30default_config_static_selectorELNS0_4arch9wavefront6targetE0EEEvT1_.kd
    .uniform_work_group_size: 1
    .uses_dynamic_stack: false
    .vgpr_count:     0
    .vgpr_spill_count: 0
    .wavefront_size: 32
    .workgroup_processor_mode: 1
  - .args:
      - .offset:         0
        .size:           120
        .value_kind:     by_value
    .group_segment_fixed_size: 13840
    .kernarg_segment_align: 8
    .kernarg_segment_size: 120
    .language:       OpenCL C
    .language_version:
      - 2
      - 0
    .max_flat_workgroup_size: 384
    .name:           _ZN7rocprim17ROCPRIM_400000_NS6detail17trampoline_kernelINS0_14default_configENS1_25partition_config_selectorILNS1_17partition_subalgoE6EtNS0_10empty_typeEbEEZZNS1_14partition_implILS5_6ELb0ES3_mN6thrust23THRUST_200600_302600_NS6detail15normal_iteratorINSA_10device_ptrItEEEEPS6_SG_NS0_5tupleIJSF_S6_EEENSH_IJSG_SG_EEES6_PlJNSB_9not_fun_tINSB_10functional5actorINSM_9compositeIJNSM_27transparent_binary_operatorINSA_8equal_toIvEEEENSN_INSM_8argumentILj0EEEEENSM_5valueItEEEEEEEEEEEE10hipError_tPvRmT3_T4_T5_T6_T7_T9_mT8_P12ihipStream_tbDpT10_ENKUlT_T0_E_clISt17integral_constantIbLb0EES1K_EEDaS1F_S1G_EUlS1F_E_NS1_11comp_targetILNS1_3genE10ELNS1_11target_archE1200ELNS1_3gpuE4ELNS1_3repE0EEENS1_30default_config_static_selectorELNS0_4arch9wavefront6targetE0EEEvT1_
    .private_segment_fixed_size: 0
    .sgpr_count:     30
    .sgpr_spill_count: 0
    .symbol:         _ZN7rocprim17ROCPRIM_400000_NS6detail17trampoline_kernelINS0_14default_configENS1_25partition_config_selectorILNS1_17partition_subalgoE6EtNS0_10empty_typeEbEEZZNS1_14partition_implILS5_6ELb0ES3_mN6thrust23THRUST_200600_302600_NS6detail15normal_iteratorINSA_10device_ptrItEEEEPS6_SG_NS0_5tupleIJSF_S6_EEENSH_IJSG_SG_EEES6_PlJNSB_9not_fun_tINSB_10functional5actorINSM_9compositeIJNSM_27transparent_binary_operatorINSA_8equal_toIvEEEENSN_INSM_8argumentILj0EEEEENSM_5valueItEEEEEEEEEEEE10hipError_tPvRmT3_T4_T5_T6_T7_T9_mT8_P12ihipStream_tbDpT10_ENKUlT_T0_E_clISt17integral_constantIbLb0EES1K_EEDaS1F_S1G_EUlS1F_E_NS1_11comp_targetILNS1_3genE10ELNS1_11target_archE1200ELNS1_3gpuE4ELNS1_3repE0EEENS1_30default_config_static_selectorELNS0_4arch9wavefront6targetE0EEEvT1_.kd
    .uniform_work_group_size: 1
    .uses_dynamic_stack: false
    .vgpr_count:     73
    .vgpr_spill_count: 0
    .wavefront_size: 32
    .workgroup_processor_mode: 1
  - .args:
      - .offset:         0
        .size:           120
        .value_kind:     by_value
    .group_segment_fixed_size: 0
    .kernarg_segment_align: 8
    .kernarg_segment_size: 120
    .language:       OpenCL C
    .language_version:
      - 2
      - 0
    .max_flat_workgroup_size: 128
    .name:           _ZN7rocprim17ROCPRIM_400000_NS6detail17trampoline_kernelINS0_14default_configENS1_25partition_config_selectorILNS1_17partition_subalgoE6EtNS0_10empty_typeEbEEZZNS1_14partition_implILS5_6ELb0ES3_mN6thrust23THRUST_200600_302600_NS6detail15normal_iteratorINSA_10device_ptrItEEEEPS6_SG_NS0_5tupleIJSF_S6_EEENSH_IJSG_SG_EEES6_PlJNSB_9not_fun_tINSB_10functional5actorINSM_9compositeIJNSM_27transparent_binary_operatorINSA_8equal_toIvEEEENSN_INSM_8argumentILj0EEEEENSM_5valueItEEEEEEEEEEEE10hipError_tPvRmT3_T4_T5_T6_T7_T9_mT8_P12ihipStream_tbDpT10_ENKUlT_T0_E_clISt17integral_constantIbLb0EES1K_EEDaS1F_S1G_EUlS1F_E_NS1_11comp_targetILNS1_3genE9ELNS1_11target_archE1100ELNS1_3gpuE3ELNS1_3repE0EEENS1_30default_config_static_selectorELNS0_4arch9wavefront6targetE0EEEvT1_
    .private_segment_fixed_size: 0
    .sgpr_count:     0
    .sgpr_spill_count: 0
    .symbol:         _ZN7rocprim17ROCPRIM_400000_NS6detail17trampoline_kernelINS0_14default_configENS1_25partition_config_selectorILNS1_17partition_subalgoE6EtNS0_10empty_typeEbEEZZNS1_14partition_implILS5_6ELb0ES3_mN6thrust23THRUST_200600_302600_NS6detail15normal_iteratorINSA_10device_ptrItEEEEPS6_SG_NS0_5tupleIJSF_S6_EEENSH_IJSG_SG_EEES6_PlJNSB_9not_fun_tINSB_10functional5actorINSM_9compositeIJNSM_27transparent_binary_operatorINSA_8equal_toIvEEEENSN_INSM_8argumentILj0EEEEENSM_5valueItEEEEEEEEEEEE10hipError_tPvRmT3_T4_T5_T6_T7_T9_mT8_P12ihipStream_tbDpT10_ENKUlT_T0_E_clISt17integral_constantIbLb0EES1K_EEDaS1F_S1G_EUlS1F_E_NS1_11comp_targetILNS1_3genE9ELNS1_11target_archE1100ELNS1_3gpuE3ELNS1_3repE0EEENS1_30default_config_static_selectorELNS0_4arch9wavefront6targetE0EEEvT1_.kd
    .uniform_work_group_size: 1
    .uses_dynamic_stack: false
    .vgpr_count:     0
    .vgpr_spill_count: 0
    .wavefront_size: 32
    .workgroup_processor_mode: 1
  - .args:
      - .offset:         0
        .size:           120
        .value_kind:     by_value
    .group_segment_fixed_size: 0
    .kernarg_segment_align: 8
    .kernarg_segment_size: 120
    .language:       OpenCL C
    .language_version:
      - 2
      - 0
    .max_flat_workgroup_size: 256
    .name:           _ZN7rocprim17ROCPRIM_400000_NS6detail17trampoline_kernelINS0_14default_configENS1_25partition_config_selectorILNS1_17partition_subalgoE6EtNS0_10empty_typeEbEEZZNS1_14partition_implILS5_6ELb0ES3_mN6thrust23THRUST_200600_302600_NS6detail15normal_iteratorINSA_10device_ptrItEEEEPS6_SG_NS0_5tupleIJSF_S6_EEENSH_IJSG_SG_EEES6_PlJNSB_9not_fun_tINSB_10functional5actorINSM_9compositeIJNSM_27transparent_binary_operatorINSA_8equal_toIvEEEENSN_INSM_8argumentILj0EEEEENSM_5valueItEEEEEEEEEEEE10hipError_tPvRmT3_T4_T5_T6_T7_T9_mT8_P12ihipStream_tbDpT10_ENKUlT_T0_E_clISt17integral_constantIbLb0EES1K_EEDaS1F_S1G_EUlS1F_E_NS1_11comp_targetILNS1_3genE8ELNS1_11target_archE1030ELNS1_3gpuE2ELNS1_3repE0EEENS1_30default_config_static_selectorELNS0_4arch9wavefront6targetE0EEEvT1_
    .private_segment_fixed_size: 0
    .sgpr_count:     0
    .sgpr_spill_count: 0
    .symbol:         _ZN7rocprim17ROCPRIM_400000_NS6detail17trampoline_kernelINS0_14default_configENS1_25partition_config_selectorILNS1_17partition_subalgoE6EtNS0_10empty_typeEbEEZZNS1_14partition_implILS5_6ELb0ES3_mN6thrust23THRUST_200600_302600_NS6detail15normal_iteratorINSA_10device_ptrItEEEEPS6_SG_NS0_5tupleIJSF_S6_EEENSH_IJSG_SG_EEES6_PlJNSB_9not_fun_tINSB_10functional5actorINSM_9compositeIJNSM_27transparent_binary_operatorINSA_8equal_toIvEEEENSN_INSM_8argumentILj0EEEEENSM_5valueItEEEEEEEEEEEE10hipError_tPvRmT3_T4_T5_T6_T7_T9_mT8_P12ihipStream_tbDpT10_ENKUlT_T0_E_clISt17integral_constantIbLb0EES1K_EEDaS1F_S1G_EUlS1F_E_NS1_11comp_targetILNS1_3genE8ELNS1_11target_archE1030ELNS1_3gpuE2ELNS1_3repE0EEENS1_30default_config_static_selectorELNS0_4arch9wavefront6targetE0EEEvT1_.kd
    .uniform_work_group_size: 1
    .uses_dynamic_stack: false
    .vgpr_count:     0
    .vgpr_spill_count: 0
    .wavefront_size: 32
    .workgroup_processor_mode: 1
  - .args:
      - .offset:         0
        .size:           128
        .value_kind:     by_value
    .group_segment_fixed_size: 0
    .kernarg_segment_align: 8
    .kernarg_segment_size: 128
    .language:       OpenCL C
    .language_version:
      - 2
      - 0
    .max_flat_workgroup_size: 256
    .name:           _ZN7rocprim17ROCPRIM_400000_NS6detail17trampoline_kernelINS0_14default_configENS1_25partition_config_selectorILNS1_17partition_subalgoE6EtNS0_10empty_typeEbEEZZNS1_14partition_implILS5_6ELb0ES3_mN6thrust23THRUST_200600_302600_NS6detail15normal_iteratorINSA_10device_ptrItEEEEPS6_SG_NS0_5tupleIJSF_S6_EEENSH_IJSG_SG_EEES6_PlJNSB_9not_fun_tINSB_10functional5actorINSM_9compositeIJNSM_27transparent_binary_operatorINSA_8equal_toIvEEEENSN_INSM_8argumentILj0EEEEENSM_5valueItEEEEEEEEEEEE10hipError_tPvRmT3_T4_T5_T6_T7_T9_mT8_P12ihipStream_tbDpT10_ENKUlT_T0_E_clISt17integral_constantIbLb1EES1K_EEDaS1F_S1G_EUlS1F_E_NS1_11comp_targetILNS1_3genE0ELNS1_11target_archE4294967295ELNS1_3gpuE0ELNS1_3repE0EEENS1_30default_config_static_selectorELNS0_4arch9wavefront6targetE0EEEvT1_
    .private_segment_fixed_size: 0
    .sgpr_count:     0
    .sgpr_spill_count: 0
    .symbol:         _ZN7rocprim17ROCPRIM_400000_NS6detail17trampoline_kernelINS0_14default_configENS1_25partition_config_selectorILNS1_17partition_subalgoE6EtNS0_10empty_typeEbEEZZNS1_14partition_implILS5_6ELb0ES3_mN6thrust23THRUST_200600_302600_NS6detail15normal_iteratorINSA_10device_ptrItEEEEPS6_SG_NS0_5tupleIJSF_S6_EEENSH_IJSG_SG_EEES6_PlJNSB_9not_fun_tINSB_10functional5actorINSM_9compositeIJNSM_27transparent_binary_operatorINSA_8equal_toIvEEEENSN_INSM_8argumentILj0EEEEENSM_5valueItEEEEEEEEEEEE10hipError_tPvRmT3_T4_T5_T6_T7_T9_mT8_P12ihipStream_tbDpT10_ENKUlT_T0_E_clISt17integral_constantIbLb1EES1K_EEDaS1F_S1G_EUlS1F_E_NS1_11comp_targetILNS1_3genE0ELNS1_11target_archE4294967295ELNS1_3gpuE0ELNS1_3repE0EEENS1_30default_config_static_selectorELNS0_4arch9wavefront6targetE0EEEvT1_.kd
    .uniform_work_group_size: 1
    .uses_dynamic_stack: false
    .vgpr_count:     0
    .vgpr_spill_count: 0
    .wavefront_size: 32
    .workgroup_processor_mode: 1
  - .args:
      - .offset:         0
        .size:           128
        .value_kind:     by_value
    .group_segment_fixed_size: 0
    .kernarg_segment_align: 8
    .kernarg_segment_size: 128
    .language:       OpenCL C
    .language_version:
      - 2
      - 0
    .max_flat_workgroup_size: 512
    .name:           _ZN7rocprim17ROCPRIM_400000_NS6detail17trampoline_kernelINS0_14default_configENS1_25partition_config_selectorILNS1_17partition_subalgoE6EtNS0_10empty_typeEbEEZZNS1_14partition_implILS5_6ELb0ES3_mN6thrust23THRUST_200600_302600_NS6detail15normal_iteratorINSA_10device_ptrItEEEEPS6_SG_NS0_5tupleIJSF_S6_EEENSH_IJSG_SG_EEES6_PlJNSB_9not_fun_tINSB_10functional5actorINSM_9compositeIJNSM_27transparent_binary_operatorINSA_8equal_toIvEEEENSN_INSM_8argumentILj0EEEEENSM_5valueItEEEEEEEEEEEE10hipError_tPvRmT3_T4_T5_T6_T7_T9_mT8_P12ihipStream_tbDpT10_ENKUlT_T0_E_clISt17integral_constantIbLb1EES1K_EEDaS1F_S1G_EUlS1F_E_NS1_11comp_targetILNS1_3genE5ELNS1_11target_archE942ELNS1_3gpuE9ELNS1_3repE0EEENS1_30default_config_static_selectorELNS0_4arch9wavefront6targetE0EEEvT1_
    .private_segment_fixed_size: 0
    .sgpr_count:     0
    .sgpr_spill_count: 0
    .symbol:         _ZN7rocprim17ROCPRIM_400000_NS6detail17trampoline_kernelINS0_14default_configENS1_25partition_config_selectorILNS1_17partition_subalgoE6EtNS0_10empty_typeEbEEZZNS1_14partition_implILS5_6ELb0ES3_mN6thrust23THRUST_200600_302600_NS6detail15normal_iteratorINSA_10device_ptrItEEEEPS6_SG_NS0_5tupleIJSF_S6_EEENSH_IJSG_SG_EEES6_PlJNSB_9not_fun_tINSB_10functional5actorINSM_9compositeIJNSM_27transparent_binary_operatorINSA_8equal_toIvEEEENSN_INSM_8argumentILj0EEEEENSM_5valueItEEEEEEEEEEEE10hipError_tPvRmT3_T4_T5_T6_T7_T9_mT8_P12ihipStream_tbDpT10_ENKUlT_T0_E_clISt17integral_constantIbLb1EES1K_EEDaS1F_S1G_EUlS1F_E_NS1_11comp_targetILNS1_3genE5ELNS1_11target_archE942ELNS1_3gpuE9ELNS1_3repE0EEENS1_30default_config_static_selectorELNS0_4arch9wavefront6targetE0EEEvT1_.kd
    .uniform_work_group_size: 1
    .uses_dynamic_stack: false
    .vgpr_count:     0
    .vgpr_spill_count: 0
    .wavefront_size: 32
    .workgroup_processor_mode: 1
  - .args:
      - .offset:         0
        .size:           128
        .value_kind:     by_value
    .group_segment_fixed_size: 0
    .kernarg_segment_align: 8
    .kernarg_segment_size: 128
    .language:       OpenCL C
    .language_version:
      - 2
      - 0
    .max_flat_workgroup_size: 256
    .name:           _ZN7rocprim17ROCPRIM_400000_NS6detail17trampoline_kernelINS0_14default_configENS1_25partition_config_selectorILNS1_17partition_subalgoE6EtNS0_10empty_typeEbEEZZNS1_14partition_implILS5_6ELb0ES3_mN6thrust23THRUST_200600_302600_NS6detail15normal_iteratorINSA_10device_ptrItEEEEPS6_SG_NS0_5tupleIJSF_S6_EEENSH_IJSG_SG_EEES6_PlJNSB_9not_fun_tINSB_10functional5actorINSM_9compositeIJNSM_27transparent_binary_operatorINSA_8equal_toIvEEEENSN_INSM_8argumentILj0EEEEENSM_5valueItEEEEEEEEEEEE10hipError_tPvRmT3_T4_T5_T6_T7_T9_mT8_P12ihipStream_tbDpT10_ENKUlT_T0_E_clISt17integral_constantIbLb1EES1K_EEDaS1F_S1G_EUlS1F_E_NS1_11comp_targetILNS1_3genE4ELNS1_11target_archE910ELNS1_3gpuE8ELNS1_3repE0EEENS1_30default_config_static_selectorELNS0_4arch9wavefront6targetE0EEEvT1_
    .private_segment_fixed_size: 0
    .sgpr_count:     0
    .sgpr_spill_count: 0
    .symbol:         _ZN7rocprim17ROCPRIM_400000_NS6detail17trampoline_kernelINS0_14default_configENS1_25partition_config_selectorILNS1_17partition_subalgoE6EtNS0_10empty_typeEbEEZZNS1_14partition_implILS5_6ELb0ES3_mN6thrust23THRUST_200600_302600_NS6detail15normal_iteratorINSA_10device_ptrItEEEEPS6_SG_NS0_5tupleIJSF_S6_EEENSH_IJSG_SG_EEES6_PlJNSB_9not_fun_tINSB_10functional5actorINSM_9compositeIJNSM_27transparent_binary_operatorINSA_8equal_toIvEEEENSN_INSM_8argumentILj0EEEEENSM_5valueItEEEEEEEEEEEE10hipError_tPvRmT3_T4_T5_T6_T7_T9_mT8_P12ihipStream_tbDpT10_ENKUlT_T0_E_clISt17integral_constantIbLb1EES1K_EEDaS1F_S1G_EUlS1F_E_NS1_11comp_targetILNS1_3genE4ELNS1_11target_archE910ELNS1_3gpuE8ELNS1_3repE0EEENS1_30default_config_static_selectorELNS0_4arch9wavefront6targetE0EEEvT1_.kd
    .uniform_work_group_size: 1
    .uses_dynamic_stack: false
    .vgpr_count:     0
    .vgpr_spill_count: 0
    .wavefront_size: 32
    .workgroup_processor_mode: 1
  - .args:
      - .offset:         0
        .size:           128
        .value_kind:     by_value
    .group_segment_fixed_size: 0
    .kernarg_segment_align: 8
    .kernarg_segment_size: 128
    .language:       OpenCL C
    .language_version:
      - 2
      - 0
    .max_flat_workgroup_size: 256
    .name:           _ZN7rocprim17ROCPRIM_400000_NS6detail17trampoline_kernelINS0_14default_configENS1_25partition_config_selectorILNS1_17partition_subalgoE6EtNS0_10empty_typeEbEEZZNS1_14partition_implILS5_6ELb0ES3_mN6thrust23THRUST_200600_302600_NS6detail15normal_iteratorINSA_10device_ptrItEEEEPS6_SG_NS0_5tupleIJSF_S6_EEENSH_IJSG_SG_EEES6_PlJNSB_9not_fun_tINSB_10functional5actorINSM_9compositeIJNSM_27transparent_binary_operatorINSA_8equal_toIvEEEENSN_INSM_8argumentILj0EEEEENSM_5valueItEEEEEEEEEEEE10hipError_tPvRmT3_T4_T5_T6_T7_T9_mT8_P12ihipStream_tbDpT10_ENKUlT_T0_E_clISt17integral_constantIbLb1EES1K_EEDaS1F_S1G_EUlS1F_E_NS1_11comp_targetILNS1_3genE3ELNS1_11target_archE908ELNS1_3gpuE7ELNS1_3repE0EEENS1_30default_config_static_selectorELNS0_4arch9wavefront6targetE0EEEvT1_
    .private_segment_fixed_size: 0
    .sgpr_count:     0
    .sgpr_spill_count: 0
    .symbol:         _ZN7rocprim17ROCPRIM_400000_NS6detail17trampoline_kernelINS0_14default_configENS1_25partition_config_selectorILNS1_17partition_subalgoE6EtNS0_10empty_typeEbEEZZNS1_14partition_implILS5_6ELb0ES3_mN6thrust23THRUST_200600_302600_NS6detail15normal_iteratorINSA_10device_ptrItEEEEPS6_SG_NS0_5tupleIJSF_S6_EEENSH_IJSG_SG_EEES6_PlJNSB_9not_fun_tINSB_10functional5actorINSM_9compositeIJNSM_27transparent_binary_operatorINSA_8equal_toIvEEEENSN_INSM_8argumentILj0EEEEENSM_5valueItEEEEEEEEEEEE10hipError_tPvRmT3_T4_T5_T6_T7_T9_mT8_P12ihipStream_tbDpT10_ENKUlT_T0_E_clISt17integral_constantIbLb1EES1K_EEDaS1F_S1G_EUlS1F_E_NS1_11comp_targetILNS1_3genE3ELNS1_11target_archE908ELNS1_3gpuE7ELNS1_3repE0EEENS1_30default_config_static_selectorELNS0_4arch9wavefront6targetE0EEEvT1_.kd
    .uniform_work_group_size: 1
    .uses_dynamic_stack: false
    .vgpr_count:     0
    .vgpr_spill_count: 0
    .wavefront_size: 32
    .workgroup_processor_mode: 1
  - .args:
      - .offset:         0
        .size:           128
        .value_kind:     by_value
    .group_segment_fixed_size: 0
    .kernarg_segment_align: 8
    .kernarg_segment_size: 128
    .language:       OpenCL C
    .language_version:
      - 2
      - 0
    .max_flat_workgroup_size: 256
    .name:           _ZN7rocprim17ROCPRIM_400000_NS6detail17trampoline_kernelINS0_14default_configENS1_25partition_config_selectorILNS1_17partition_subalgoE6EtNS0_10empty_typeEbEEZZNS1_14partition_implILS5_6ELb0ES3_mN6thrust23THRUST_200600_302600_NS6detail15normal_iteratorINSA_10device_ptrItEEEEPS6_SG_NS0_5tupleIJSF_S6_EEENSH_IJSG_SG_EEES6_PlJNSB_9not_fun_tINSB_10functional5actorINSM_9compositeIJNSM_27transparent_binary_operatorINSA_8equal_toIvEEEENSN_INSM_8argumentILj0EEEEENSM_5valueItEEEEEEEEEEEE10hipError_tPvRmT3_T4_T5_T6_T7_T9_mT8_P12ihipStream_tbDpT10_ENKUlT_T0_E_clISt17integral_constantIbLb1EES1K_EEDaS1F_S1G_EUlS1F_E_NS1_11comp_targetILNS1_3genE2ELNS1_11target_archE906ELNS1_3gpuE6ELNS1_3repE0EEENS1_30default_config_static_selectorELNS0_4arch9wavefront6targetE0EEEvT1_
    .private_segment_fixed_size: 0
    .sgpr_count:     0
    .sgpr_spill_count: 0
    .symbol:         _ZN7rocprim17ROCPRIM_400000_NS6detail17trampoline_kernelINS0_14default_configENS1_25partition_config_selectorILNS1_17partition_subalgoE6EtNS0_10empty_typeEbEEZZNS1_14partition_implILS5_6ELb0ES3_mN6thrust23THRUST_200600_302600_NS6detail15normal_iteratorINSA_10device_ptrItEEEEPS6_SG_NS0_5tupleIJSF_S6_EEENSH_IJSG_SG_EEES6_PlJNSB_9not_fun_tINSB_10functional5actorINSM_9compositeIJNSM_27transparent_binary_operatorINSA_8equal_toIvEEEENSN_INSM_8argumentILj0EEEEENSM_5valueItEEEEEEEEEEEE10hipError_tPvRmT3_T4_T5_T6_T7_T9_mT8_P12ihipStream_tbDpT10_ENKUlT_T0_E_clISt17integral_constantIbLb1EES1K_EEDaS1F_S1G_EUlS1F_E_NS1_11comp_targetILNS1_3genE2ELNS1_11target_archE906ELNS1_3gpuE6ELNS1_3repE0EEENS1_30default_config_static_selectorELNS0_4arch9wavefront6targetE0EEEvT1_.kd
    .uniform_work_group_size: 1
    .uses_dynamic_stack: false
    .vgpr_count:     0
    .vgpr_spill_count: 0
    .wavefront_size: 32
    .workgroup_processor_mode: 1
  - .args:
      - .offset:         0
        .size:           128
        .value_kind:     by_value
    .group_segment_fixed_size: 0
    .kernarg_segment_align: 8
    .kernarg_segment_size: 128
    .language:       OpenCL C
    .language_version:
      - 2
      - 0
    .max_flat_workgroup_size: 384
    .name:           _ZN7rocprim17ROCPRIM_400000_NS6detail17trampoline_kernelINS0_14default_configENS1_25partition_config_selectorILNS1_17partition_subalgoE6EtNS0_10empty_typeEbEEZZNS1_14partition_implILS5_6ELb0ES3_mN6thrust23THRUST_200600_302600_NS6detail15normal_iteratorINSA_10device_ptrItEEEEPS6_SG_NS0_5tupleIJSF_S6_EEENSH_IJSG_SG_EEES6_PlJNSB_9not_fun_tINSB_10functional5actorINSM_9compositeIJNSM_27transparent_binary_operatorINSA_8equal_toIvEEEENSN_INSM_8argumentILj0EEEEENSM_5valueItEEEEEEEEEEEE10hipError_tPvRmT3_T4_T5_T6_T7_T9_mT8_P12ihipStream_tbDpT10_ENKUlT_T0_E_clISt17integral_constantIbLb1EES1K_EEDaS1F_S1G_EUlS1F_E_NS1_11comp_targetILNS1_3genE10ELNS1_11target_archE1200ELNS1_3gpuE4ELNS1_3repE0EEENS1_30default_config_static_selectorELNS0_4arch9wavefront6targetE0EEEvT1_
    .private_segment_fixed_size: 0
    .sgpr_count:     0
    .sgpr_spill_count: 0
    .symbol:         _ZN7rocprim17ROCPRIM_400000_NS6detail17trampoline_kernelINS0_14default_configENS1_25partition_config_selectorILNS1_17partition_subalgoE6EtNS0_10empty_typeEbEEZZNS1_14partition_implILS5_6ELb0ES3_mN6thrust23THRUST_200600_302600_NS6detail15normal_iteratorINSA_10device_ptrItEEEEPS6_SG_NS0_5tupleIJSF_S6_EEENSH_IJSG_SG_EEES6_PlJNSB_9not_fun_tINSB_10functional5actorINSM_9compositeIJNSM_27transparent_binary_operatorINSA_8equal_toIvEEEENSN_INSM_8argumentILj0EEEEENSM_5valueItEEEEEEEEEEEE10hipError_tPvRmT3_T4_T5_T6_T7_T9_mT8_P12ihipStream_tbDpT10_ENKUlT_T0_E_clISt17integral_constantIbLb1EES1K_EEDaS1F_S1G_EUlS1F_E_NS1_11comp_targetILNS1_3genE10ELNS1_11target_archE1200ELNS1_3gpuE4ELNS1_3repE0EEENS1_30default_config_static_selectorELNS0_4arch9wavefront6targetE0EEEvT1_.kd
    .uniform_work_group_size: 1
    .uses_dynamic_stack: false
    .vgpr_count:     0
    .vgpr_spill_count: 0
    .wavefront_size: 32
    .workgroup_processor_mode: 1
  - .args:
      - .offset:         0
        .size:           128
        .value_kind:     by_value
    .group_segment_fixed_size: 0
    .kernarg_segment_align: 8
    .kernarg_segment_size: 128
    .language:       OpenCL C
    .language_version:
      - 2
      - 0
    .max_flat_workgroup_size: 128
    .name:           _ZN7rocprim17ROCPRIM_400000_NS6detail17trampoline_kernelINS0_14default_configENS1_25partition_config_selectorILNS1_17partition_subalgoE6EtNS0_10empty_typeEbEEZZNS1_14partition_implILS5_6ELb0ES3_mN6thrust23THRUST_200600_302600_NS6detail15normal_iteratorINSA_10device_ptrItEEEEPS6_SG_NS0_5tupleIJSF_S6_EEENSH_IJSG_SG_EEES6_PlJNSB_9not_fun_tINSB_10functional5actorINSM_9compositeIJNSM_27transparent_binary_operatorINSA_8equal_toIvEEEENSN_INSM_8argumentILj0EEEEENSM_5valueItEEEEEEEEEEEE10hipError_tPvRmT3_T4_T5_T6_T7_T9_mT8_P12ihipStream_tbDpT10_ENKUlT_T0_E_clISt17integral_constantIbLb1EES1K_EEDaS1F_S1G_EUlS1F_E_NS1_11comp_targetILNS1_3genE9ELNS1_11target_archE1100ELNS1_3gpuE3ELNS1_3repE0EEENS1_30default_config_static_selectorELNS0_4arch9wavefront6targetE0EEEvT1_
    .private_segment_fixed_size: 0
    .sgpr_count:     0
    .sgpr_spill_count: 0
    .symbol:         _ZN7rocprim17ROCPRIM_400000_NS6detail17trampoline_kernelINS0_14default_configENS1_25partition_config_selectorILNS1_17partition_subalgoE6EtNS0_10empty_typeEbEEZZNS1_14partition_implILS5_6ELb0ES3_mN6thrust23THRUST_200600_302600_NS6detail15normal_iteratorINSA_10device_ptrItEEEEPS6_SG_NS0_5tupleIJSF_S6_EEENSH_IJSG_SG_EEES6_PlJNSB_9not_fun_tINSB_10functional5actorINSM_9compositeIJNSM_27transparent_binary_operatorINSA_8equal_toIvEEEENSN_INSM_8argumentILj0EEEEENSM_5valueItEEEEEEEEEEEE10hipError_tPvRmT3_T4_T5_T6_T7_T9_mT8_P12ihipStream_tbDpT10_ENKUlT_T0_E_clISt17integral_constantIbLb1EES1K_EEDaS1F_S1G_EUlS1F_E_NS1_11comp_targetILNS1_3genE9ELNS1_11target_archE1100ELNS1_3gpuE3ELNS1_3repE0EEENS1_30default_config_static_selectorELNS0_4arch9wavefront6targetE0EEEvT1_.kd
    .uniform_work_group_size: 1
    .uses_dynamic_stack: false
    .vgpr_count:     0
    .vgpr_spill_count: 0
    .wavefront_size: 32
    .workgroup_processor_mode: 1
  - .args:
      - .offset:         0
        .size:           128
        .value_kind:     by_value
    .group_segment_fixed_size: 0
    .kernarg_segment_align: 8
    .kernarg_segment_size: 128
    .language:       OpenCL C
    .language_version:
      - 2
      - 0
    .max_flat_workgroup_size: 256
    .name:           _ZN7rocprim17ROCPRIM_400000_NS6detail17trampoline_kernelINS0_14default_configENS1_25partition_config_selectorILNS1_17partition_subalgoE6EtNS0_10empty_typeEbEEZZNS1_14partition_implILS5_6ELb0ES3_mN6thrust23THRUST_200600_302600_NS6detail15normal_iteratorINSA_10device_ptrItEEEEPS6_SG_NS0_5tupleIJSF_S6_EEENSH_IJSG_SG_EEES6_PlJNSB_9not_fun_tINSB_10functional5actorINSM_9compositeIJNSM_27transparent_binary_operatorINSA_8equal_toIvEEEENSN_INSM_8argumentILj0EEEEENSM_5valueItEEEEEEEEEEEE10hipError_tPvRmT3_T4_T5_T6_T7_T9_mT8_P12ihipStream_tbDpT10_ENKUlT_T0_E_clISt17integral_constantIbLb1EES1K_EEDaS1F_S1G_EUlS1F_E_NS1_11comp_targetILNS1_3genE8ELNS1_11target_archE1030ELNS1_3gpuE2ELNS1_3repE0EEENS1_30default_config_static_selectorELNS0_4arch9wavefront6targetE0EEEvT1_
    .private_segment_fixed_size: 0
    .sgpr_count:     0
    .sgpr_spill_count: 0
    .symbol:         _ZN7rocprim17ROCPRIM_400000_NS6detail17trampoline_kernelINS0_14default_configENS1_25partition_config_selectorILNS1_17partition_subalgoE6EtNS0_10empty_typeEbEEZZNS1_14partition_implILS5_6ELb0ES3_mN6thrust23THRUST_200600_302600_NS6detail15normal_iteratorINSA_10device_ptrItEEEEPS6_SG_NS0_5tupleIJSF_S6_EEENSH_IJSG_SG_EEES6_PlJNSB_9not_fun_tINSB_10functional5actorINSM_9compositeIJNSM_27transparent_binary_operatorINSA_8equal_toIvEEEENSN_INSM_8argumentILj0EEEEENSM_5valueItEEEEEEEEEEEE10hipError_tPvRmT3_T4_T5_T6_T7_T9_mT8_P12ihipStream_tbDpT10_ENKUlT_T0_E_clISt17integral_constantIbLb1EES1K_EEDaS1F_S1G_EUlS1F_E_NS1_11comp_targetILNS1_3genE8ELNS1_11target_archE1030ELNS1_3gpuE2ELNS1_3repE0EEENS1_30default_config_static_selectorELNS0_4arch9wavefront6targetE0EEEvT1_.kd
    .uniform_work_group_size: 1
    .uses_dynamic_stack: false
    .vgpr_count:     0
    .vgpr_spill_count: 0
    .wavefront_size: 32
    .workgroup_processor_mode: 1
  - .args:
      - .offset:         0
        .size:           120
        .value_kind:     by_value
    .group_segment_fixed_size: 0
    .kernarg_segment_align: 8
    .kernarg_segment_size: 120
    .language:       OpenCL C
    .language_version:
      - 2
      - 0
    .max_flat_workgroup_size: 256
    .name:           _ZN7rocprim17ROCPRIM_400000_NS6detail17trampoline_kernelINS0_14default_configENS1_25partition_config_selectorILNS1_17partition_subalgoE6EtNS0_10empty_typeEbEEZZNS1_14partition_implILS5_6ELb0ES3_mN6thrust23THRUST_200600_302600_NS6detail15normal_iteratorINSA_10device_ptrItEEEEPS6_SG_NS0_5tupleIJSF_S6_EEENSH_IJSG_SG_EEES6_PlJNSB_9not_fun_tINSB_10functional5actorINSM_9compositeIJNSM_27transparent_binary_operatorINSA_8equal_toIvEEEENSN_INSM_8argumentILj0EEEEENSM_5valueItEEEEEEEEEEEE10hipError_tPvRmT3_T4_T5_T6_T7_T9_mT8_P12ihipStream_tbDpT10_ENKUlT_T0_E_clISt17integral_constantIbLb1EES1J_IbLb0EEEEDaS1F_S1G_EUlS1F_E_NS1_11comp_targetILNS1_3genE0ELNS1_11target_archE4294967295ELNS1_3gpuE0ELNS1_3repE0EEENS1_30default_config_static_selectorELNS0_4arch9wavefront6targetE0EEEvT1_
    .private_segment_fixed_size: 0
    .sgpr_count:     0
    .sgpr_spill_count: 0
    .symbol:         _ZN7rocprim17ROCPRIM_400000_NS6detail17trampoline_kernelINS0_14default_configENS1_25partition_config_selectorILNS1_17partition_subalgoE6EtNS0_10empty_typeEbEEZZNS1_14partition_implILS5_6ELb0ES3_mN6thrust23THRUST_200600_302600_NS6detail15normal_iteratorINSA_10device_ptrItEEEEPS6_SG_NS0_5tupleIJSF_S6_EEENSH_IJSG_SG_EEES6_PlJNSB_9not_fun_tINSB_10functional5actorINSM_9compositeIJNSM_27transparent_binary_operatorINSA_8equal_toIvEEEENSN_INSM_8argumentILj0EEEEENSM_5valueItEEEEEEEEEEEE10hipError_tPvRmT3_T4_T5_T6_T7_T9_mT8_P12ihipStream_tbDpT10_ENKUlT_T0_E_clISt17integral_constantIbLb1EES1J_IbLb0EEEEDaS1F_S1G_EUlS1F_E_NS1_11comp_targetILNS1_3genE0ELNS1_11target_archE4294967295ELNS1_3gpuE0ELNS1_3repE0EEENS1_30default_config_static_selectorELNS0_4arch9wavefront6targetE0EEEvT1_.kd
    .uniform_work_group_size: 1
    .uses_dynamic_stack: false
    .vgpr_count:     0
    .vgpr_spill_count: 0
    .wavefront_size: 32
    .workgroup_processor_mode: 1
  - .args:
      - .offset:         0
        .size:           120
        .value_kind:     by_value
    .group_segment_fixed_size: 0
    .kernarg_segment_align: 8
    .kernarg_segment_size: 120
    .language:       OpenCL C
    .language_version:
      - 2
      - 0
    .max_flat_workgroup_size: 512
    .name:           _ZN7rocprim17ROCPRIM_400000_NS6detail17trampoline_kernelINS0_14default_configENS1_25partition_config_selectorILNS1_17partition_subalgoE6EtNS0_10empty_typeEbEEZZNS1_14partition_implILS5_6ELb0ES3_mN6thrust23THRUST_200600_302600_NS6detail15normal_iteratorINSA_10device_ptrItEEEEPS6_SG_NS0_5tupleIJSF_S6_EEENSH_IJSG_SG_EEES6_PlJNSB_9not_fun_tINSB_10functional5actorINSM_9compositeIJNSM_27transparent_binary_operatorINSA_8equal_toIvEEEENSN_INSM_8argumentILj0EEEEENSM_5valueItEEEEEEEEEEEE10hipError_tPvRmT3_T4_T5_T6_T7_T9_mT8_P12ihipStream_tbDpT10_ENKUlT_T0_E_clISt17integral_constantIbLb1EES1J_IbLb0EEEEDaS1F_S1G_EUlS1F_E_NS1_11comp_targetILNS1_3genE5ELNS1_11target_archE942ELNS1_3gpuE9ELNS1_3repE0EEENS1_30default_config_static_selectorELNS0_4arch9wavefront6targetE0EEEvT1_
    .private_segment_fixed_size: 0
    .sgpr_count:     0
    .sgpr_spill_count: 0
    .symbol:         _ZN7rocprim17ROCPRIM_400000_NS6detail17trampoline_kernelINS0_14default_configENS1_25partition_config_selectorILNS1_17partition_subalgoE6EtNS0_10empty_typeEbEEZZNS1_14partition_implILS5_6ELb0ES3_mN6thrust23THRUST_200600_302600_NS6detail15normal_iteratorINSA_10device_ptrItEEEEPS6_SG_NS0_5tupleIJSF_S6_EEENSH_IJSG_SG_EEES6_PlJNSB_9not_fun_tINSB_10functional5actorINSM_9compositeIJNSM_27transparent_binary_operatorINSA_8equal_toIvEEEENSN_INSM_8argumentILj0EEEEENSM_5valueItEEEEEEEEEEEE10hipError_tPvRmT3_T4_T5_T6_T7_T9_mT8_P12ihipStream_tbDpT10_ENKUlT_T0_E_clISt17integral_constantIbLb1EES1J_IbLb0EEEEDaS1F_S1G_EUlS1F_E_NS1_11comp_targetILNS1_3genE5ELNS1_11target_archE942ELNS1_3gpuE9ELNS1_3repE0EEENS1_30default_config_static_selectorELNS0_4arch9wavefront6targetE0EEEvT1_.kd
    .uniform_work_group_size: 1
    .uses_dynamic_stack: false
    .vgpr_count:     0
    .vgpr_spill_count: 0
    .wavefront_size: 32
    .workgroup_processor_mode: 1
  - .args:
      - .offset:         0
        .size:           120
        .value_kind:     by_value
    .group_segment_fixed_size: 0
    .kernarg_segment_align: 8
    .kernarg_segment_size: 120
    .language:       OpenCL C
    .language_version:
      - 2
      - 0
    .max_flat_workgroup_size: 256
    .name:           _ZN7rocprim17ROCPRIM_400000_NS6detail17trampoline_kernelINS0_14default_configENS1_25partition_config_selectorILNS1_17partition_subalgoE6EtNS0_10empty_typeEbEEZZNS1_14partition_implILS5_6ELb0ES3_mN6thrust23THRUST_200600_302600_NS6detail15normal_iteratorINSA_10device_ptrItEEEEPS6_SG_NS0_5tupleIJSF_S6_EEENSH_IJSG_SG_EEES6_PlJNSB_9not_fun_tINSB_10functional5actorINSM_9compositeIJNSM_27transparent_binary_operatorINSA_8equal_toIvEEEENSN_INSM_8argumentILj0EEEEENSM_5valueItEEEEEEEEEEEE10hipError_tPvRmT3_T4_T5_T6_T7_T9_mT8_P12ihipStream_tbDpT10_ENKUlT_T0_E_clISt17integral_constantIbLb1EES1J_IbLb0EEEEDaS1F_S1G_EUlS1F_E_NS1_11comp_targetILNS1_3genE4ELNS1_11target_archE910ELNS1_3gpuE8ELNS1_3repE0EEENS1_30default_config_static_selectorELNS0_4arch9wavefront6targetE0EEEvT1_
    .private_segment_fixed_size: 0
    .sgpr_count:     0
    .sgpr_spill_count: 0
    .symbol:         _ZN7rocprim17ROCPRIM_400000_NS6detail17trampoline_kernelINS0_14default_configENS1_25partition_config_selectorILNS1_17partition_subalgoE6EtNS0_10empty_typeEbEEZZNS1_14partition_implILS5_6ELb0ES3_mN6thrust23THRUST_200600_302600_NS6detail15normal_iteratorINSA_10device_ptrItEEEEPS6_SG_NS0_5tupleIJSF_S6_EEENSH_IJSG_SG_EEES6_PlJNSB_9not_fun_tINSB_10functional5actorINSM_9compositeIJNSM_27transparent_binary_operatorINSA_8equal_toIvEEEENSN_INSM_8argumentILj0EEEEENSM_5valueItEEEEEEEEEEEE10hipError_tPvRmT3_T4_T5_T6_T7_T9_mT8_P12ihipStream_tbDpT10_ENKUlT_T0_E_clISt17integral_constantIbLb1EES1J_IbLb0EEEEDaS1F_S1G_EUlS1F_E_NS1_11comp_targetILNS1_3genE4ELNS1_11target_archE910ELNS1_3gpuE8ELNS1_3repE0EEENS1_30default_config_static_selectorELNS0_4arch9wavefront6targetE0EEEvT1_.kd
    .uniform_work_group_size: 1
    .uses_dynamic_stack: false
    .vgpr_count:     0
    .vgpr_spill_count: 0
    .wavefront_size: 32
    .workgroup_processor_mode: 1
  - .args:
      - .offset:         0
        .size:           120
        .value_kind:     by_value
    .group_segment_fixed_size: 0
    .kernarg_segment_align: 8
    .kernarg_segment_size: 120
    .language:       OpenCL C
    .language_version:
      - 2
      - 0
    .max_flat_workgroup_size: 256
    .name:           _ZN7rocprim17ROCPRIM_400000_NS6detail17trampoline_kernelINS0_14default_configENS1_25partition_config_selectorILNS1_17partition_subalgoE6EtNS0_10empty_typeEbEEZZNS1_14partition_implILS5_6ELb0ES3_mN6thrust23THRUST_200600_302600_NS6detail15normal_iteratorINSA_10device_ptrItEEEEPS6_SG_NS0_5tupleIJSF_S6_EEENSH_IJSG_SG_EEES6_PlJNSB_9not_fun_tINSB_10functional5actorINSM_9compositeIJNSM_27transparent_binary_operatorINSA_8equal_toIvEEEENSN_INSM_8argumentILj0EEEEENSM_5valueItEEEEEEEEEEEE10hipError_tPvRmT3_T4_T5_T6_T7_T9_mT8_P12ihipStream_tbDpT10_ENKUlT_T0_E_clISt17integral_constantIbLb1EES1J_IbLb0EEEEDaS1F_S1G_EUlS1F_E_NS1_11comp_targetILNS1_3genE3ELNS1_11target_archE908ELNS1_3gpuE7ELNS1_3repE0EEENS1_30default_config_static_selectorELNS0_4arch9wavefront6targetE0EEEvT1_
    .private_segment_fixed_size: 0
    .sgpr_count:     0
    .sgpr_spill_count: 0
    .symbol:         _ZN7rocprim17ROCPRIM_400000_NS6detail17trampoline_kernelINS0_14default_configENS1_25partition_config_selectorILNS1_17partition_subalgoE6EtNS0_10empty_typeEbEEZZNS1_14partition_implILS5_6ELb0ES3_mN6thrust23THRUST_200600_302600_NS6detail15normal_iteratorINSA_10device_ptrItEEEEPS6_SG_NS0_5tupleIJSF_S6_EEENSH_IJSG_SG_EEES6_PlJNSB_9not_fun_tINSB_10functional5actorINSM_9compositeIJNSM_27transparent_binary_operatorINSA_8equal_toIvEEEENSN_INSM_8argumentILj0EEEEENSM_5valueItEEEEEEEEEEEE10hipError_tPvRmT3_T4_T5_T6_T7_T9_mT8_P12ihipStream_tbDpT10_ENKUlT_T0_E_clISt17integral_constantIbLb1EES1J_IbLb0EEEEDaS1F_S1G_EUlS1F_E_NS1_11comp_targetILNS1_3genE3ELNS1_11target_archE908ELNS1_3gpuE7ELNS1_3repE0EEENS1_30default_config_static_selectorELNS0_4arch9wavefront6targetE0EEEvT1_.kd
    .uniform_work_group_size: 1
    .uses_dynamic_stack: false
    .vgpr_count:     0
    .vgpr_spill_count: 0
    .wavefront_size: 32
    .workgroup_processor_mode: 1
  - .args:
      - .offset:         0
        .size:           120
        .value_kind:     by_value
    .group_segment_fixed_size: 0
    .kernarg_segment_align: 8
    .kernarg_segment_size: 120
    .language:       OpenCL C
    .language_version:
      - 2
      - 0
    .max_flat_workgroup_size: 256
    .name:           _ZN7rocprim17ROCPRIM_400000_NS6detail17trampoline_kernelINS0_14default_configENS1_25partition_config_selectorILNS1_17partition_subalgoE6EtNS0_10empty_typeEbEEZZNS1_14partition_implILS5_6ELb0ES3_mN6thrust23THRUST_200600_302600_NS6detail15normal_iteratorINSA_10device_ptrItEEEEPS6_SG_NS0_5tupleIJSF_S6_EEENSH_IJSG_SG_EEES6_PlJNSB_9not_fun_tINSB_10functional5actorINSM_9compositeIJNSM_27transparent_binary_operatorINSA_8equal_toIvEEEENSN_INSM_8argumentILj0EEEEENSM_5valueItEEEEEEEEEEEE10hipError_tPvRmT3_T4_T5_T6_T7_T9_mT8_P12ihipStream_tbDpT10_ENKUlT_T0_E_clISt17integral_constantIbLb1EES1J_IbLb0EEEEDaS1F_S1G_EUlS1F_E_NS1_11comp_targetILNS1_3genE2ELNS1_11target_archE906ELNS1_3gpuE6ELNS1_3repE0EEENS1_30default_config_static_selectorELNS0_4arch9wavefront6targetE0EEEvT1_
    .private_segment_fixed_size: 0
    .sgpr_count:     0
    .sgpr_spill_count: 0
    .symbol:         _ZN7rocprim17ROCPRIM_400000_NS6detail17trampoline_kernelINS0_14default_configENS1_25partition_config_selectorILNS1_17partition_subalgoE6EtNS0_10empty_typeEbEEZZNS1_14partition_implILS5_6ELb0ES3_mN6thrust23THRUST_200600_302600_NS6detail15normal_iteratorINSA_10device_ptrItEEEEPS6_SG_NS0_5tupleIJSF_S6_EEENSH_IJSG_SG_EEES6_PlJNSB_9not_fun_tINSB_10functional5actorINSM_9compositeIJNSM_27transparent_binary_operatorINSA_8equal_toIvEEEENSN_INSM_8argumentILj0EEEEENSM_5valueItEEEEEEEEEEEE10hipError_tPvRmT3_T4_T5_T6_T7_T9_mT8_P12ihipStream_tbDpT10_ENKUlT_T0_E_clISt17integral_constantIbLb1EES1J_IbLb0EEEEDaS1F_S1G_EUlS1F_E_NS1_11comp_targetILNS1_3genE2ELNS1_11target_archE906ELNS1_3gpuE6ELNS1_3repE0EEENS1_30default_config_static_selectorELNS0_4arch9wavefront6targetE0EEEvT1_.kd
    .uniform_work_group_size: 1
    .uses_dynamic_stack: false
    .vgpr_count:     0
    .vgpr_spill_count: 0
    .wavefront_size: 32
    .workgroup_processor_mode: 1
  - .args:
      - .offset:         0
        .size:           120
        .value_kind:     by_value
    .group_segment_fixed_size: 0
    .kernarg_segment_align: 8
    .kernarg_segment_size: 120
    .language:       OpenCL C
    .language_version:
      - 2
      - 0
    .max_flat_workgroup_size: 384
    .name:           _ZN7rocprim17ROCPRIM_400000_NS6detail17trampoline_kernelINS0_14default_configENS1_25partition_config_selectorILNS1_17partition_subalgoE6EtNS0_10empty_typeEbEEZZNS1_14partition_implILS5_6ELb0ES3_mN6thrust23THRUST_200600_302600_NS6detail15normal_iteratorINSA_10device_ptrItEEEEPS6_SG_NS0_5tupleIJSF_S6_EEENSH_IJSG_SG_EEES6_PlJNSB_9not_fun_tINSB_10functional5actorINSM_9compositeIJNSM_27transparent_binary_operatorINSA_8equal_toIvEEEENSN_INSM_8argumentILj0EEEEENSM_5valueItEEEEEEEEEEEE10hipError_tPvRmT3_T4_T5_T6_T7_T9_mT8_P12ihipStream_tbDpT10_ENKUlT_T0_E_clISt17integral_constantIbLb1EES1J_IbLb0EEEEDaS1F_S1G_EUlS1F_E_NS1_11comp_targetILNS1_3genE10ELNS1_11target_archE1200ELNS1_3gpuE4ELNS1_3repE0EEENS1_30default_config_static_selectorELNS0_4arch9wavefront6targetE0EEEvT1_
    .private_segment_fixed_size: 0
    .sgpr_count:     0
    .sgpr_spill_count: 0
    .symbol:         _ZN7rocprim17ROCPRIM_400000_NS6detail17trampoline_kernelINS0_14default_configENS1_25partition_config_selectorILNS1_17partition_subalgoE6EtNS0_10empty_typeEbEEZZNS1_14partition_implILS5_6ELb0ES3_mN6thrust23THRUST_200600_302600_NS6detail15normal_iteratorINSA_10device_ptrItEEEEPS6_SG_NS0_5tupleIJSF_S6_EEENSH_IJSG_SG_EEES6_PlJNSB_9not_fun_tINSB_10functional5actorINSM_9compositeIJNSM_27transparent_binary_operatorINSA_8equal_toIvEEEENSN_INSM_8argumentILj0EEEEENSM_5valueItEEEEEEEEEEEE10hipError_tPvRmT3_T4_T5_T6_T7_T9_mT8_P12ihipStream_tbDpT10_ENKUlT_T0_E_clISt17integral_constantIbLb1EES1J_IbLb0EEEEDaS1F_S1G_EUlS1F_E_NS1_11comp_targetILNS1_3genE10ELNS1_11target_archE1200ELNS1_3gpuE4ELNS1_3repE0EEENS1_30default_config_static_selectorELNS0_4arch9wavefront6targetE0EEEvT1_.kd
    .uniform_work_group_size: 1
    .uses_dynamic_stack: false
    .vgpr_count:     0
    .vgpr_spill_count: 0
    .wavefront_size: 32
    .workgroup_processor_mode: 1
  - .args:
      - .offset:         0
        .size:           120
        .value_kind:     by_value
    .group_segment_fixed_size: 0
    .kernarg_segment_align: 8
    .kernarg_segment_size: 120
    .language:       OpenCL C
    .language_version:
      - 2
      - 0
    .max_flat_workgroup_size: 128
    .name:           _ZN7rocprim17ROCPRIM_400000_NS6detail17trampoline_kernelINS0_14default_configENS1_25partition_config_selectorILNS1_17partition_subalgoE6EtNS0_10empty_typeEbEEZZNS1_14partition_implILS5_6ELb0ES3_mN6thrust23THRUST_200600_302600_NS6detail15normal_iteratorINSA_10device_ptrItEEEEPS6_SG_NS0_5tupleIJSF_S6_EEENSH_IJSG_SG_EEES6_PlJNSB_9not_fun_tINSB_10functional5actorINSM_9compositeIJNSM_27transparent_binary_operatorINSA_8equal_toIvEEEENSN_INSM_8argumentILj0EEEEENSM_5valueItEEEEEEEEEEEE10hipError_tPvRmT3_T4_T5_T6_T7_T9_mT8_P12ihipStream_tbDpT10_ENKUlT_T0_E_clISt17integral_constantIbLb1EES1J_IbLb0EEEEDaS1F_S1G_EUlS1F_E_NS1_11comp_targetILNS1_3genE9ELNS1_11target_archE1100ELNS1_3gpuE3ELNS1_3repE0EEENS1_30default_config_static_selectorELNS0_4arch9wavefront6targetE0EEEvT1_
    .private_segment_fixed_size: 0
    .sgpr_count:     0
    .sgpr_spill_count: 0
    .symbol:         _ZN7rocprim17ROCPRIM_400000_NS6detail17trampoline_kernelINS0_14default_configENS1_25partition_config_selectorILNS1_17partition_subalgoE6EtNS0_10empty_typeEbEEZZNS1_14partition_implILS5_6ELb0ES3_mN6thrust23THRUST_200600_302600_NS6detail15normal_iteratorINSA_10device_ptrItEEEEPS6_SG_NS0_5tupleIJSF_S6_EEENSH_IJSG_SG_EEES6_PlJNSB_9not_fun_tINSB_10functional5actorINSM_9compositeIJNSM_27transparent_binary_operatorINSA_8equal_toIvEEEENSN_INSM_8argumentILj0EEEEENSM_5valueItEEEEEEEEEEEE10hipError_tPvRmT3_T4_T5_T6_T7_T9_mT8_P12ihipStream_tbDpT10_ENKUlT_T0_E_clISt17integral_constantIbLb1EES1J_IbLb0EEEEDaS1F_S1G_EUlS1F_E_NS1_11comp_targetILNS1_3genE9ELNS1_11target_archE1100ELNS1_3gpuE3ELNS1_3repE0EEENS1_30default_config_static_selectorELNS0_4arch9wavefront6targetE0EEEvT1_.kd
    .uniform_work_group_size: 1
    .uses_dynamic_stack: false
    .vgpr_count:     0
    .vgpr_spill_count: 0
    .wavefront_size: 32
    .workgroup_processor_mode: 1
  - .args:
      - .offset:         0
        .size:           120
        .value_kind:     by_value
    .group_segment_fixed_size: 0
    .kernarg_segment_align: 8
    .kernarg_segment_size: 120
    .language:       OpenCL C
    .language_version:
      - 2
      - 0
    .max_flat_workgroup_size: 256
    .name:           _ZN7rocprim17ROCPRIM_400000_NS6detail17trampoline_kernelINS0_14default_configENS1_25partition_config_selectorILNS1_17partition_subalgoE6EtNS0_10empty_typeEbEEZZNS1_14partition_implILS5_6ELb0ES3_mN6thrust23THRUST_200600_302600_NS6detail15normal_iteratorINSA_10device_ptrItEEEEPS6_SG_NS0_5tupleIJSF_S6_EEENSH_IJSG_SG_EEES6_PlJNSB_9not_fun_tINSB_10functional5actorINSM_9compositeIJNSM_27transparent_binary_operatorINSA_8equal_toIvEEEENSN_INSM_8argumentILj0EEEEENSM_5valueItEEEEEEEEEEEE10hipError_tPvRmT3_T4_T5_T6_T7_T9_mT8_P12ihipStream_tbDpT10_ENKUlT_T0_E_clISt17integral_constantIbLb1EES1J_IbLb0EEEEDaS1F_S1G_EUlS1F_E_NS1_11comp_targetILNS1_3genE8ELNS1_11target_archE1030ELNS1_3gpuE2ELNS1_3repE0EEENS1_30default_config_static_selectorELNS0_4arch9wavefront6targetE0EEEvT1_
    .private_segment_fixed_size: 0
    .sgpr_count:     0
    .sgpr_spill_count: 0
    .symbol:         _ZN7rocprim17ROCPRIM_400000_NS6detail17trampoline_kernelINS0_14default_configENS1_25partition_config_selectorILNS1_17partition_subalgoE6EtNS0_10empty_typeEbEEZZNS1_14partition_implILS5_6ELb0ES3_mN6thrust23THRUST_200600_302600_NS6detail15normal_iteratorINSA_10device_ptrItEEEEPS6_SG_NS0_5tupleIJSF_S6_EEENSH_IJSG_SG_EEES6_PlJNSB_9not_fun_tINSB_10functional5actorINSM_9compositeIJNSM_27transparent_binary_operatorINSA_8equal_toIvEEEENSN_INSM_8argumentILj0EEEEENSM_5valueItEEEEEEEEEEEE10hipError_tPvRmT3_T4_T5_T6_T7_T9_mT8_P12ihipStream_tbDpT10_ENKUlT_T0_E_clISt17integral_constantIbLb1EES1J_IbLb0EEEEDaS1F_S1G_EUlS1F_E_NS1_11comp_targetILNS1_3genE8ELNS1_11target_archE1030ELNS1_3gpuE2ELNS1_3repE0EEENS1_30default_config_static_selectorELNS0_4arch9wavefront6targetE0EEEvT1_.kd
    .uniform_work_group_size: 1
    .uses_dynamic_stack: false
    .vgpr_count:     0
    .vgpr_spill_count: 0
    .wavefront_size: 32
    .workgroup_processor_mode: 1
  - .args:
      - .offset:         0
        .size:           128
        .value_kind:     by_value
    .group_segment_fixed_size: 0
    .kernarg_segment_align: 8
    .kernarg_segment_size: 128
    .language:       OpenCL C
    .language_version:
      - 2
      - 0
    .max_flat_workgroup_size: 256
    .name:           _ZN7rocprim17ROCPRIM_400000_NS6detail17trampoline_kernelINS0_14default_configENS1_25partition_config_selectorILNS1_17partition_subalgoE6EtNS0_10empty_typeEbEEZZNS1_14partition_implILS5_6ELb0ES3_mN6thrust23THRUST_200600_302600_NS6detail15normal_iteratorINSA_10device_ptrItEEEEPS6_SG_NS0_5tupleIJSF_S6_EEENSH_IJSG_SG_EEES6_PlJNSB_9not_fun_tINSB_10functional5actorINSM_9compositeIJNSM_27transparent_binary_operatorINSA_8equal_toIvEEEENSN_INSM_8argumentILj0EEEEENSM_5valueItEEEEEEEEEEEE10hipError_tPvRmT3_T4_T5_T6_T7_T9_mT8_P12ihipStream_tbDpT10_ENKUlT_T0_E_clISt17integral_constantIbLb0EES1J_IbLb1EEEEDaS1F_S1G_EUlS1F_E_NS1_11comp_targetILNS1_3genE0ELNS1_11target_archE4294967295ELNS1_3gpuE0ELNS1_3repE0EEENS1_30default_config_static_selectorELNS0_4arch9wavefront6targetE0EEEvT1_
    .private_segment_fixed_size: 0
    .sgpr_count:     0
    .sgpr_spill_count: 0
    .symbol:         _ZN7rocprim17ROCPRIM_400000_NS6detail17trampoline_kernelINS0_14default_configENS1_25partition_config_selectorILNS1_17partition_subalgoE6EtNS0_10empty_typeEbEEZZNS1_14partition_implILS5_6ELb0ES3_mN6thrust23THRUST_200600_302600_NS6detail15normal_iteratorINSA_10device_ptrItEEEEPS6_SG_NS0_5tupleIJSF_S6_EEENSH_IJSG_SG_EEES6_PlJNSB_9not_fun_tINSB_10functional5actorINSM_9compositeIJNSM_27transparent_binary_operatorINSA_8equal_toIvEEEENSN_INSM_8argumentILj0EEEEENSM_5valueItEEEEEEEEEEEE10hipError_tPvRmT3_T4_T5_T6_T7_T9_mT8_P12ihipStream_tbDpT10_ENKUlT_T0_E_clISt17integral_constantIbLb0EES1J_IbLb1EEEEDaS1F_S1G_EUlS1F_E_NS1_11comp_targetILNS1_3genE0ELNS1_11target_archE4294967295ELNS1_3gpuE0ELNS1_3repE0EEENS1_30default_config_static_selectorELNS0_4arch9wavefront6targetE0EEEvT1_.kd
    .uniform_work_group_size: 1
    .uses_dynamic_stack: false
    .vgpr_count:     0
    .vgpr_spill_count: 0
    .wavefront_size: 32
    .workgroup_processor_mode: 1
  - .args:
      - .offset:         0
        .size:           128
        .value_kind:     by_value
    .group_segment_fixed_size: 0
    .kernarg_segment_align: 8
    .kernarg_segment_size: 128
    .language:       OpenCL C
    .language_version:
      - 2
      - 0
    .max_flat_workgroup_size: 512
    .name:           _ZN7rocprim17ROCPRIM_400000_NS6detail17trampoline_kernelINS0_14default_configENS1_25partition_config_selectorILNS1_17partition_subalgoE6EtNS0_10empty_typeEbEEZZNS1_14partition_implILS5_6ELb0ES3_mN6thrust23THRUST_200600_302600_NS6detail15normal_iteratorINSA_10device_ptrItEEEEPS6_SG_NS0_5tupleIJSF_S6_EEENSH_IJSG_SG_EEES6_PlJNSB_9not_fun_tINSB_10functional5actorINSM_9compositeIJNSM_27transparent_binary_operatorINSA_8equal_toIvEEEENSN_INSM_8argumentILj0EEEEENSM_5valueItEEEEEEEEEEEE10hipError_tPvRmT3_T4_T5_T6_T7_T9_mT8_P12ihipStream_tbDpT10_ENKUlT_T0_E_clISt17integral_constantIbLb0EES1J_IbLb1EEEEDaS1F_S1G_EUlS1F_E_NS1_11comp_targetILNS1_3genE5ELNS1_11target_archE942ELNS1_3gpuE9ELNS1_3repE0EEENS1_30default_config_static_selectorELNS0_4arch9wavefront6targetE0EEEvT1_
    .private_segment_fixed_size: 0
    .sgpr_count:     0
    .sgpr_spill_count: 0
    .symbol:         _ZN7rocprim17ROCPRIM_400000_NS6detail17trampoline_kernelINS0_14default_configENS1_25partition_config_selectorILNS1_17partition_subalgoE6EtNS0_10empty_typeEbEEZZNS1_14partition_implILS5_6ELb0ES3_mN6thrust23THRUST_200600_302600_NS6detail15normal_iteratorINSA_10device_ptrItEEEEPS6_SG_NS0_5tupleIJSF_S6_EEENSH_IJSG_SG_EEES6_PlJNSB_9not_fun_tINSB_10functional5actorINSM_9compositeIJNSM_27transparent_binary_operatorINSA_8equal_toIvEEEENSN_INSM_8argumentILj0EEEEENSM_5valueItEEEEEEEEEEEE10hipError_tPvRmT3_T4_T5_T6_T7_T9_mT8_P12ihipStream_tbDpT10_ENKUlT_T0_E_clISt17integral_constantIbLb0EES1J_IbLb1EEEEDaS1F_S1G_EUlS1F_E_NS1_11comp_targetILNS1_3genE5ELNS1_11target_archE942ELNS1_3gpuE9ELNS1_3repE0EEENS1_30default_config_static_selectorELNS0_4arch9wavefront6targetE0EEEvT1_.kd
    .uniform_work_group_size: 1
    .uses_dynamic_stack: false
    .vgpr_count:     0
    .vgpr_spill_count: 0
    .wavefront_size: 32
    .workgroup_processor_mode: 1
  - .args:
      - .offset:         0
        .size:           128
        .value_kind:     by_value
    .group_segment_fixed_size: 0
    .kernarg_segment_align: 8
    .kernarg_segment_size: 128
    .language:       OpenCL C
    .language_version:
      - 2
      - 0
    .max_flat_workgroup_size: 256
    .name:           _ZN7rocprim17ROCPRIM_400000_NS6detail17trampoline_kernelINS0_14default_configENS1_25partition_config_selectorILNS1_17partition_subalgoE6EtNS0_10empty_typeEbEEZZNS1_14partition_implILS5_6ELb0ES3_mN6thrust23THRUST_200600_302600_NS6detail15normal_iteratorINSA_10device_ptrItEEEEPS6_SG_NS0_5tupleIJSF_S6_EEENSH_IJSG_SG_EEES6_PlJNSB_9not_fun_tINSB_10functional5actorINSM_9compositeIJNSM_27transparent_binary_operatorINSA_8equal_toIvEEEENSN_INSM_8argumentILj0EEEEENSM_5valueItEEEEEEEEEEEE10hipError_tPvRmT3_T4_T5_T6_T7_T9_mT8_P12ihipStream_tbDpT10_ENKUlT_T0_E_clISt17integral_constantIbLb0EES1J_IbLb1EEEEDaS1F_S1G_EUlS1F_E_NS1_11comp_targetILNS1_3genE4ELNS1_11target_archE910ELNS1_3gpuE8ELNS1_3repE0EEENS1_30default_config_static_selectorELNS0_4arch9wavefront6targetE0EEEvT1_
    .private_segment_fixed_size: 0
    .sgpr_count:     0
    .sgpr_spill_count: 0
    .symbol:         _ZN7rocprim17ROCPRIM_400000_NS6detail17trampoline_kernelINS0_14default_configENS1_25partition_config_selectorILNS1_17partition_subalgoE6EtNS0_10empty_typeEbEEZZNS1_14partition_implILS5_6ELb0ES3_mN6thrust23THRUST_200600_302600_NS6detail15normal_iteratorINSA_10device_ptrItEEEEPS6_SG_NS0_5tupleIJSF_S6_EEENSH_IJSG_SG_EEES6_PlJNSB_9not_fun_tINSB_10functional5actorINSM_9compositeIJNSM_27transparent_binary_operatorINSA_8equal_toIvEEEENSN_INSM_8argumentILj0EEEEENSM_5valueItEEEEEEEEEEEE10hipError_tPvRmT3_T4_T5_T6_T7_T9_mT8_P12ihipStream_tbDpT10_ENKUlT_T0_E_clISt17integral_constantIbLb0EES1J_IbLb1EEEEDaS1F_S1G_EUlS1F_E_NS1_11comp_targetILNS1_3genE4ELNS1_11target_archE910ELNS1_3gpuE8ELNS1_3repE0EEENS1_30default_config_static_selectorELNS0_4arch9wavefront6targetE0EEEvT1_.kd
    .uniform_work_group_size: 1
    .uses_dynamic_stack: false
    .vgpr_count:     0
    .vgpr_spill_count: 0
    .wavefront_size: 32
    .workgroup_processor_mode: 1
  - .args:
      - .offset:         0
        .size:           128
        .value_kind:     by_value
    .group_segment_fixed_size: 0
    .kernarg_segment_align: 8
    .kernarg_segment_size: 128
    .language:       OpenCL C
    .language_version:
      - 2
      - 0
    .max_flat_workgroup_size: 256
    .name:           _ZN7rocprim17ROCPRIM_400000_NS6detail17trampoline_kernelINS0_14default_configENS1_25partition_config_selectorILNS1_17partition_subalgoE6EtNS0_10empty_typeEbEEZZNS1_14partition_implILS5_6ELb0ES3_mN6thrust23THRUST_200600_302600_NS6detail15normal_iteratorINSA_10device_ptrItEEEEPS6_SG_NS0_5tupleIJSF_S6_EEENSH_IJSG_SG_EEES6_PlJNSB_9not_fun_tINSB_10functional5actorINSM_9compositeIJNSM_27transparent_binary_operatorINSA_8equal_toIvEEEENSN_INSM_8argumentILj0EEEEENSM_5valueItEEEEEEEEEEEE10hipError_tPvRmT3_T4_T5_T6_T7_T9_mT8_P12ihipStream_tbDpT10_ENKUlT_T0_E_clISt17integral_constantIbLb0EES1J_IbLb1EEEEDaS1F_S1G_EUlS1F_E_NS1_11comp_targetILNS1_3genE3ELNS1_11target_archE908ELNS1_3gpuE7ELNS1_3repE0EEENS1_30default_config_static_selectorELNS0_4arch9wavefront6targetE0EEEvT1_
    .private_segment_fixed_size: 0
    .sgpr_count:     0
    .sgpr_spill_count: 0
    .symbol:         _ZN7rocprim17ROCPRIM_400000_NS6detail17trampoline_kernelINS0_14default_configENS1_25partition_config_selectorILNS1_17partition_subalgoE6EtNS0_10empty_typeEbEEZZNS1_14partition_implILS5_6ELb0ES3_mN6thrust23THRUST_200600_302600_NS6detail15normal_iteratorINSA_10device_ptrItEEEEPS6_SG_NS0_5tupleIJSF_S6_EEENSH_IJSG_SG_EEES6_PlJNSB_9not_fun_tINSB_10functional5actorINSM_9compositeIJNSM_27transparent_binary_operatorINSA_8equal_toIvEEEENSN_INSM_8argumentILj0EEEEENSM_5valueItEEEEEEEEEEEE10hipError_tPvRmT3_T4_T5_T6_T7_T9_mT8_P12ihipStream_tbDpT10_ENKUlT_T0_E_clISt17integral_constantIbLb0EES1J_IbLb1EEEEDaS1F_S1G_EUlS1F_E_NS1_11comp_targetILNS1_3genE3ELNS1_11target_archE908ELNS1_3gpuE7ELNS1_3repE0EEENS1_30default_config_static_selectorELNS0_4arch9wavefront6targetE0EEEvT1_.kd
    .uniform_work_group_size: 1
    .uses_dynamic_stack: false
    .vgpr_count:     0
    .vgpr_spill_count: 0
    .wavefront_size: 32
    .workgroup_processor_mode: 1
  - .args:
      - .offset:         0
        .size:           128
        .value_kind:     by_value
    .group_segment_fixed_size: 0
    .kernarg_segment_align: 8
    .kernarg_segment_size: 128
    .language:       OpenCL C
    .language_version:
      - 2
      - 0
    .max_flat_workgroup_size: 256
    .name:           _ZN7rocprim17ROCPRIM_400000_NS6detail17trampoline_kernelINS0_14default_configENS1_25partition_config_selectorILNS1_17partition_subalgoE6EtNS0_10empty_typeEbEEZZNS1_14partition_implILS5_6ELb0ES3_mN6thrust23THRUST_200600_302600_NS6detail15normal_iteratorINSA_10device_ptrItEEEEPS6_SG_NS0_5tupleIJSF_S6_EEENSH_IJSG_SG_EEES6_PlJNSB_9not_fun_tINSB_10functional5actorINSM_9compositeIJNSM_27transparent_binary_operatorINSA_8equal_toIvEEEENSN_INSM_8argumentILj0EEEEENSM_5valueItEEEEEEEEEEEE10hipError_tPvRmT3_T4_T5_T6_T7_T9_mT8_P12ihipStream_tbDpT10_ENKUlT_T0_E_clISt17integral_constantIbLb0EES1J_IbLb1EEEEDaS1F_S1G_EUlS1F_E_NS1_11comp_targetILNS1_3genE2ELNS1_11target_archE906ELNS1_3gpuE6ELNS1_3repE0EEENS1_30default_config_static_selectorELNS0_4arch9wavefront6targetE0EEEvT1_
    .private_segment_fixed_size: 0
    .sgpr_count:     0
    .sgpr_spill_count: 0
    .symbol:         _ZN7rocprim17ROCPRIM_400000_NS6detail17trampoline_kernelINS0_14default_configENS1_25partition_config_selectorILNS1_17partition_subalgoE6EtNS0_10empty_typeEbEEZZNS1_14partition_implILS5_6ELb0ES3_mN6thrust23THRUST_200600_302600_NS6detail15normal_iteratorINSA_10device_ptrItEEEEPS6_SG_NS0_5tupleIJSF_S6_EEENSH_IJSG_SG_EEES6_PlJNSB_9not_fun_tINSB_10functional5actorINSM_9compositeIJNSM_27transparent_binary_operatorINSA_8equal_toIvEEEENSN_INSM_8argumentILj0EEEEENSM_5valueItEEEEEEEEEEEE10hipError_tPvRmT3_T4_T5_T6_T7_T9_mT8_P12ihipStream_tbDpT10_ENKUlT_T0_E_clISt17integral_constantIbLb0EES1J_IbLb1EEEEDaS1F_S1G_EUlS1F_E_NS1_11comp_targetILNS1_3genE2ELNS1_11target_archE906ELNS1_3gpuE6ELNS1_3repE0EEENS1_30default_config_static_selectorELNS0_4arch9wavefront6targetE0EEEvT1_.kd
    .uniform_work_group_size: 1
    .uses_dynamic_stack: false
    .vgpr_count:     0
    .vgpr_spill_count: 0
    .wavefront_size: 32
    .workgroup_processor_mode: 1
  - .args:
      - .offset:         0
        .size:           128
        .value_kind:     by_value
    .group_segment_fixed_size: 13840
    .kernarg_segment_align: 8
    .kernarg_segment_size: 128
    .language:       OpenCL C
    .language_version:
      - 2
      - 0
    .max_flat_workgroup_size: 384
    .name:           _ZN7rocprim17ROCPRIM_400000_NS6detail17trampoline_kernelINS0_14default_configENS1_25partition_config_selectorILNS1_17partition_subalgoE6EtNS0_10empty_typeEbEEZZNS1_14partition_implILS5_6ELb0ES3_mN6thrust23THRUST_200600_302600_NS6detail15normal_iteratorINSA_10device_ptrItEEEEPS6_SG_NS0_5tupleIJSF_S6_EEENSH_IJSG_SG_EEES6_PlJNSB_9not_fun_tINSB_10functional5actorINSM_9compositeIJNSM_27transparent_binary_operatorINSA_8equal_toIvEEEENSN_INSM_8argumentILj0EEEEENSM_5valueItEEEEEEEEEEEE10hipError_tPvRmT3_T4_T5_T6_T7_T9_mT8_P12ihipStream_tbDpT10_ENKUlT_T0_E_clISt17integral_constantIbLb0EES1J_IbLb1EEEEDaS1F_S1G_EUlS1F_E_NS1_11comp_targetILNS1_3genE10ELNS1_11target_archE1200ELNS1_3gpuE4ELNS1_3repE0EEENS1_30default_config_static_selectorELNS0_4arch9wavefront6targetE0EEEvT1_
    .private_segment_fixed_size: 0
    .sgpr_count:     33
    .sgpr_spill_count: 0
    .symbol:         _ZN7rocprim17ROCPRIM_400000_NS6detail17trampoline_kernelINS0_14default_configENS1_25partition_config_selectorILNS1_17partition_subalgoE6EtNS0_10empty_typeEbEEZZNS1_14partition_implILS5_6ELb0ES3_mN6thrust23THRUST_200600_302600_NS6detail15normal_iteratorINSA_10device_ptrItEEEEPS6_SG_NS0_5tupleIJSF_S6_EEENSH_IJSG_SG_EEES6_PlJNSB_9not_fun_tINSB_10functional5actorINSM_9compositeIJNSM_27transparent_binary_operatorINSA_8equal_toIvEEEENSN_INSM_8argumentILj0EEEEENSM_5valueItEEEEEEEEEEEE10hipError_tPvRmT3_T4_T5_T6_T7_T9_mT8_P12ihipStream_tbDpT10_ENKUlT_T0_E_clISt17integral_constantIbLb0EES1J_IbLb1EEEEDaS1F_S1G_EUlS1F_E_NS1_11comp_targetILNS1_3genE10ELNS1_11target_archE1200ELNS1_3gpuE4ELNS1_3repE0EEENS1_30default_config_static_selectorELNS0_4arch9wavefront6targetE0EEEvT1_.kd
    .uniform_work_group_size: 1
    .uses_dynamic_stack: false
    .vgpr_count:     78
    .vgpr_spill_count: 0
    .wavefront_size: 32
    .workgroup_processor_mode: 1
  - .args:
      - .offset:         0
        .size:           128
        .value_kind:     by_value
    .group_segment_fixed_size: 0
    .kernarg_segment_align: 8
    .kernarg_segment_size: 128
    .language:       OpenCL C
    .language_version:
      - 2
      - 0
    .max_flat_workgroup_size: 128
    .name:           _ZN7rocprim17ROCPRIM_400000_NS6detail17trampoline_kernelINS0_14default_configENS1_25partition_config_selectorILNS1_17partition_subalgoE6EtNS0_10empty_typeEbEEZZNS1_14partition_implILS5_6ELb0ES3_mN6thrust23THRUST_200600_302600_NS6detail15normal_iteratorINSA_10device_ptrItEEEEPS6_SG_NS0_5tupleIJSF_S6_EEENSH_IJSG_SG_EEES6_PlJNSB_9not_fun_tINSB_10functional5actorINSM_9compositeIJNSM_27transparent_binary_operatorINSA_8equal_toIvEEEENSN_INSM_8argumentILj0EEEEENSM_5valueItEEEEEEEEEEEE10hipError_tPvRmT3_T4_T5_T6_T7_T9_mT8_P12ihipStream_tbDpT10_ENKUlT_T0_E_clISt17integral_constantIbLb0EES1J_IbLb1EEEEDaS1F_S1G_EUlS1F_E_NS1_11comp_targetILNS1_3genE9ELNS1_11target_archE1100ELNS1_3gpuE3ELNS1_3repE0EEENS1_30default_config_static_selectorELNS0_4arch9wavefront6targetE0EEEvT1_
    .private_segment_fixed_size: 0
    .sgpr_count:     0
    .sgpr_spill_count: 0
    .symbol:         _ZN7rocprim17ROCPRIM_400000_NS6detail17trampoline_kernelINS0_14default_configENS1_25partition_config_selectorILNS1_17partition_subalgoE6EtNS0_10empty_typeEbEEZZNS1_14partition_implILS5_6ELb0ES3_mN6thrust23THRUST_200600_302600_NS6detail15normal_iteratorINSA_10device_ptrItEEEEPS6_SG_NS0_5tupleIJSF_S6_EEENSH_IJSG_SG_EEES6_PlJNSB_9not_fun_tINSB_10functional5actorINSM_9compositeIJNSM_27transparent_binary_operatorINSA_8equal_toIvEEEENSN_INSM_8argumentILj0EEEEENSM_5valueItEEEEEEEEEEEE10hipError_tPvRmT3_T4_T5_T6_T7_T9_mT8_P12ihipStream_tbDpT10_ENKUlT_T0_E_clISt17integral_constantIbLb0EES1J_IbLb1EEEEDaS1F_S1G_EUlS1F_E_NS1_11comp_targetILNS1_3genE9ELNS1_11target_archE1100ELNS1_3gpuE3ELNS1_3repE0EEENS1_30default_config_static_selectorELNS0_4arch9wavefront6targetE0EEEvT1_.kd
    .uniform_work_group_size: 1
    .uses_dynamic_stack: false
    .vgpr_count:     0
    .vgpr_spill_count: 0
    .wavefront_size: 32
    .workgroup_processor_mode: 1
  - .args:
      - .offset:         0
        .size:           128
        .value_kind:     by_value
    .group_segment_fixed_size: 0
    .kernarg_segment_align: 8
    .kernarg_segment_size: 128
    .language:       OpenCL C
    .language_version:
      - 2
      - 0
    .max_flat_workgroup_size: 256
    .name:           _ZN7rocprim17ROCPRIM_400000_NS6detail17trampoline_kernelINS0_14default_configENS1_25partition_config_selectorILNS1_17partition_subalgoE6EtNS0_10empty_typeEbEEZZNS1_14partition_implILS5_6ELb0ES3_mN6thrust23THRUST_200600_302600_NS6detail15normal_iteratorINSA_10device_ptrItEEEEPS6_SG_NS0_5tupleIJSF_S6_EEENSH_IJSG_SG_EEES6_PlJNSB_9not_fun_tINSB_10functional5actorINSM_9compositeIJNSM_27transparent_binary_operatorINSA_8equal_toIvEEEENSN_INSM_8argumentILj0EEEEENSM_5valueItEEEEEEEEEEEE10hipError_tPvRmT3_T4_T5_T6_T7_T9_mT8_P12ihipStream_tbDpT10_ENKUlT_T0_E_clISt17integral_constantIbLb0EES1J_IbLb1EEEEDaS1F_S1G_EUlS1F_E_NS1_11comp_targetILNS1_3genE8ELNS1_11target_archE1030ELNS1_3gpuE2ELNS1_3repE0EEENS1_30default_config_static_selectorELNS0_4arch9wavefront6targetE0EEEvT1_
    .private_segment_fixed_size: 0
    .sgpr_count:     0
    .sgpr_spill_count: 0
    .symbol:         _ZN7rocprim17ROCPRIM_400000_NS6detail17trampoline_kernelINS0_14default_configENS1_25partition_config_selectorILNS1_17partition_subalgoE6EtNS0_10empty_typeEbEEZZNS1_14partition_implILS5_6ELb0ES3_mN6thrust23THRUST_200600_302600_NS6detail15normal_iteratorINSA_10device_ptrItEEEEPS6_SG_NS0_5tupleIJSF_S6_EEENSH_IJSG_SG_EEES6_PlJNSB_9not_fun_tINSB_10functional5actorINSM_9compositeIJNSM_27transparent_binary_operatorINSA_8equal_toIvEEEENSN_INSM_8argumentILj0EEEEENSM_5valueItEEEEEEEEEEEE10hipError_tPvRmT3_T4_T5_T6_T7_T9_mT8_P12ihipStream_tbDpT10_ENKUlT_T0_E_clISt17integral_constantIbLb0EES1J_IbLb1EEEEDaS1F_S1G_EUlS1F_E_NS1_11comp_targetILNS1_3genE8ELNS1_11target_archE1030ELNS1_3gpuE2ELNS1_3repE0EEENS1_30default_config_static_selectorELNS0_4arch9wavefront6targetE0EEEvT1_.kd
    .uniform_work_group_size: 1
    .uses_dynamic_stack: false
    .vgpr_count:     0
    .vgpr_spill_count: 0
    .wavefront_size: 32
    .workgroup_processor_mode: 1
  - .args:
      - .offset:         0
        .size:           16
        .value_kind:     by_value
      - .offset:         16
        .size:           8
        .value_kind:     by_value
      - .offset:         24
        .size:           8
        .value_kind:     by_value
    .group_segment_fixed_size: 0
    .kernarg_segment_align: 8
    .kernarg_segment_size: 32
    .language:       OpenCL C
    .language_version:
      - 2
      - 0
    .max_flat_workgroup_size: 256
    .name:           _ZN6thrust23THRUST_200600_302600_NS11hip_rocprim14__parallel_for6kernelILj256ENS1_20__uninitialized_fill7functorINS0_10device_ptrIxEExEEmLj1EEEvT0_T1_SA_
    .private_segment_fixed_size: 0
    .sgpr_count:     12
    .sgpr_spill_count: 0
    .symbol:         _ZN6thrust23THRUST_200600_302600_NS11hip_rocprim14__parallel_for6kernelILj256ENS1_20__uninitialized_fill7functorINS0_10device_ptrIxEExEEmLj1EEEvT0_T1_SA_.kd
    .uniform_work_group_size: 1
    .uses_dynamic_stack: false
    .vgpr_count:     5
    .vgpr_spill_count: 0
    .wavefront_size: 32
    .workgroup_processor_mode: 1
  - .args:
      - .offset:         0
        .size:           128
        .value_kind:     by_value
    .group_segment_fixed_size: 0
    .kernarg_segment_align: 8
    .kernarg_segment_size: 128
    .language:       OpenCL C
    .language_version:
      - 2
      - 0
    .max_flat_workgroup_size: 128
    .name:           _ZN7rocprim17ROCPRIM_400000_NS6detail17trampoline_kernelINS0_14default_configENS1_25partition_config_selectorILNS1_17partition_subalgoE6ExNS0_10empty_typeEbEEZZNS1_14partition_implILS5_6ELb0ES3_mN6thrust23THRUST_200600_302600_NS6detail15normal_iteratorINSA_10device_ptrIxEEEEPS6_SG_NS0_5tupleIJSF_S6_EEENSH_IJSG_SG_EEES6_PlJNSB_9not_fun_tINSB_10functional5actorINSM_9compositeIJNSM_27transparent_binary_operatorINSA_8equal_toIvEEEENSN_INSM_8argumentILj0EEEEENSM_5valueIxEEEEEEEEEEEE10hipError_tPvRmT3_T4_T5_T6_T7_T9_mT8_P12ihipStream_tbDpT10_ENKUlT_T0_E_clISt17integral_constantIbLb0EES1K_EEDaS1F_S1G_EUlS1F_E_NS1_11comp_targetILNS1_3genE0ELNS1_11target_archE4294967295ELNS1_3gpuE0ELNS1_3repE0EEENS1_30default_config_static_selectorELNS0_4arch9wavefront6targetE0EEEvT1_
    .private_segment_fixed_size: 0
    .sgpr_count:     0
    .sgpr_spill_count: 0
    .symbol:         _ZN7rocprim17ROCPRIM_400000_NS6detail17trampoline_kernelINS0_14default_configENS1_25partition_config_selectorILNS1_17partition_subalgoE6ExNS0_10empty_typeEbEEZZNS1_14partition_implILS5_6ELb0ES3_mN6thrust23THRUST_200600_302600_NS6detail15normal_iteratorINSA_10device_ptrIxEEEEPS6_SG_NS0_5tupleIJSF_S6_EEENSH_IJSG_SG_EEES6_PlJNSB_9not_fun_tINSB_10functional5actorINSM_9compositeIJNSM_27transparent_binary_operatorINSA_8equal_toIvEEEENSN_INSM_8argumentILj0EEEEENSM_5valueIxEEEEEEEEEEEE10hipError_tPvRmT3_T4_T5_T6_T7_T9_mT8_P12ihipStream_tbDpT10_ENKUlT_T0_E_clISt17integral_constantIbLb0EES1K_EEDaS1F_S1G_EUlS1F_E_NS1_11comp_targetILNS1_3genE0ELNS1_11target_archE4294967295ELNS1_3gpuE0ELNS1_3repE0EEENS1_30default_config_static_selectorELNS0_4arch9wavefront6targetE0EEEvT1_.kd
    .uniform_work_group_size: 1
    .uses_dynamic_stack: false
    .vgpr_count:     0
    .vgpr_spill_count: 0
    .wavefront_size: 32
    .workgroup_processor_mode: 1
  - .args:
      - .offset:         0
        .size:           128
        .value_kind:     by_value
    .group_segment_fixed_size: 0
    .kernarg_segment_align: 8
    .kernarg_segment_size: 128
    .language:       OpenCL C
    .language_version:
      - 2
      - 0
    .max_flat_workgroup_size: 512
    .name:           _ZN7rocprim17ROCPRIM_400000_NS6detail17trampoline_kernelINS0_14default_configENS1_25partition_config_selectorILNS1_17partition_subalgoE6ExNS0_10empty_typeEbEEZZNS1_14partition_implILS5_6ELb0ES3_mN6thrust23THRUST_200600_302600_NS6detail15normal_iteratorINSA_10device_ptrIxEEEEPS6_SG_NS0_5tupleIJSF_S6_EEENSH_IJSG_SG_EEES6_PlJNSB_9not_fun_tINSB_10functional5actorINSM_9compositeIJNSM_27transparent_binary_operatorINSA_8equal_toIvEEEENSN_INSM_8argumentILj0EEEEENSM_5valueIxEEEEEEEEEEEE10hipError_tPvRmT3_T4_T5_T6_T7_T9_mT8_P12ihipStream_tbDpT10_ENKUlT_T0_E_clISt17integral_constantIbLb0EES1K_EEDaS1F_S1G_EUlS1F_E_NS1_11comp_targetILNS1_3genE5ELNS1_11target_archE942ELNS1_3gpuE9ELNS1_3repE0EEENS1_30default_config_static_selectorELNS0_4arch9wavefront6targetE0EEEvT1_
    .private_segment_fixed_size: 0
    .sgpr_count:     0
    .sgpr_spill_count: 0
    .symbol:         _ZN7rocprim17ROCPRIM_400000_NS6detail17trampoline_kernelINS0_14default_configENS1_25partition_config_selectorILNS1_17partition_subalgoE6ExNS0_10empty_typeEbEEZZNS1_14partition_implILS5_6ELb0ES3_mN6thrust23THRUST_200600_302600_NS6detail15normal_iteratorINSA_10device_ptrIxEEEEPS6_SG_NS0_5tupleIJSF_S6_EEENSH_IJSG_SG_EEES6_PlJNSB_9not_fun_tINSB_10functional5actorINSM_9compositeIJNSM_27transparent_binary_operatorINSA_8equal_toIvEEEENSN_INSM_8argumentILj0EEEEENSM_5valueIxEEEEEEEEEEEE10hipError_tPvRmT3_T4_T5_T6_T7_T9_mT8_P12ihipStream_tbDpT10_ENKUlT_T0_E_clISt17integral_constantIbLb0EES1K_EEDaS1F_S1G_EUlS1F_E_NS1_11comp_targetILNS1_3genE5ELNS1_11target_archE942ELNS1_3gpuE9ELNS1_3repE0EEENS1_30default_config_static_selectorELNS0_4arch9wavefront6targetE0EEEvT1_.kd
    .uniform_work_group_size: 1
    .uses_dynamic_stack: false
    .vgpr_count:     0
    .vgpr_spill_count: 0
    .wavefront_size: 32
    .workgroup_processor_mode: 1
  - .args:
      - .offset:         0
        .size:           128
        .value_kind:     by_value
    .group_segment_fixed_size: 0
    .kernarg_segment_align: 8
    .kernarg_segment_size: 128
    .language:       OpenCL C
    .language_version:
      - 2
      - 0
    .max_flat_workgroup_size: 512
    .name:           _ZN7rocprim17ROCPRIM_400000_NS6detail17trampoline_kernelINS0_14default_configENS1_25partition_config_selectorILNS1_17partition_subalgoE6ExNS0_10empty_typeEbEEZZNS1_14partition_implILS5_6ELb0ES3_mN6thrust23THRUST_200600_302600_NS6detail15normal_iteratorINSA_10device_ptrIxEEEEPS6_SG_NS0_5tupleIJSF_S6_EEENSH_IJSG_SG_EEES6_PlJNSB_9not_fun_tINSB_10functional5actorINSM_9compositeIJNSM_27transparent_binary_operatorINSA_8equal_toIvEEEENSN_INSM_8argumentILj0EEEEENSM_5valueIxEEEEEEEEEEEE10hipError_tPvRmT3_T4_T5_T6_T7_T9_mT8_P12ihipStream_tbDpT10_ENKUlT_T0_E_clISt17integral_constantIbLb0EES1K_EEDaS1F_S1G_EUlS1F_E_NS1_11comp_targetILNS1_3genE4ELNS1_11target_archE910ELNS1_3gpuE8ELNS1_3repE0EEENS1_30default_config_static_selectorELNS0_4arch9wavefront6targetE0EEEvT1_
    .private_segment_fixed_size: 0
    .sgpr_count:     0
    .sgpr_spill_count: 0
    .symbol:         _ZN7rocprim17ROCPRIM_400000_NS6detail17trampoline_kernelINS0_14default_configENS1_25partition_config_selectorILNS1_17partition_subalgoE6ExNS0_10empty_typeEbEEZZNS1_14partition_implILS5_6ELb0ES3_mN6thrust23THRUST_200600_302600_NS6detail15normal_iteratorINSA_10device_ptrIxEEEEPS6_SG_NS0_5tupleIJSF_S6_EEENSH_IJSG_SG_EEES6_PlJNSB_9not_fun_tINSB_10functional5actorINSM_9compositeIJNSM_27transparent_binary_operatorINSA_8equal_toIvEEEENSN_INSM_8argumentILj0EEEEENSM_5valueIxEEEEEEEEEEEE10hipError_tPvRmT3_T4_T5_T6_T7_T9_mT8_P12ihipStream_tbDpT10_ENKUlT_T0_E_clISt17integral_constantIbLb0EES1K_EEDaS1F_S1G_EUlS1F_E_NS1_11comp_targetILNS1_3genE4ELNS1_11target_archE910ELNS1_3gpuE8ELNS1_3repE0EEENS1_30default_config_static_selectorELNS0_4arch9wavefront6targetE0EEEvT1_.kd
    .uniform_work_group_size: 1
    .uses_dynamic_stack: false
    .vgpr_count:     0
    .vgpr_spill_count: 0
    .wavefront_size: 32
    .workgroup_processor_mode: 1
  - .args:
      - .offset:         0
        .size:           128
        .value_kind:     by_value
    .group_segment_fixed_size: 0
    .kernarg_segment_align: 8
    .kernarg_segment_size: 128
    .language:       OpenCL C
    .language_version:
      - 2
      - 0
    .max_flat_workgroup_size: 128
    .name:           _ZN7rocprim17ROCPRIM_400000_NS6detail17trampoline_kernelINS0_14default_configENS1_25partition_config_selectorILNS1_17partition_subalgoE6ExNS0_10empty_typeEbEEZZNS1_14partition_implILS5_6ELb0ES3_mN6thrust23THRUST_200600_302600_NS6detail15normal_iteratorINSA_10device_ptrIxEEEEPS6_SG_NS0_5tupleIJSF_S6_EEENSH_IJSG_SG_EEES6_PlJNSB_9not_fun_tINSB_10functional5actorINSM_9compositeIJNSM_27transparent_binary_operatorINSA_8equal_toIvEEEENSN_INSM_8argumentILj0EEEEENSM_5valueIxEEEEEEEEEEEE10hipError_tPvRmT3_T4_T5_T6_T7_T9_mT8_P12ihipStream_tbDpT10_ENKUlT_T0_E_clISt17integral_constantIbLb0EES1K_EEDaS1F_S1G_EUlS1F_E_NS1_11comp_targetILNS1_3genE3ELNS1_11target_archE908ELNS1_3gpuE7ELNS1_3repE0EEENS1_30default_config_static_selectorELNS0_4arch9wavefront6targetE0EEEvT1_
    .private_segment_fixed_size: 0
    .sgpr_count:     0
    .sgpr_spill_count: 0
    .symbol:         _ZN7rocprim17ROCPRIM_400000_NS6detail17trampoline_kernelINS0_14default_configENS1_25partition_config_selectorILNS1_17partition_subalgoE6ExNS0_10empty_typeEbEEZZNS1_14partition_implILS5_6ELb0ES3_mN6thrust23THRUST_200600_302600_NS6detail15normal_iteratorINSA_10device_ptrIxEEEEPS6_SG_NS0_5tupleIJSF_S6_EEENSH_IJSG_SG_EEES6_PlJNSB_9not_fun_tINSB_10functional5actorINSM_9compositeIJNSM_27transparent_binary_operatorINSA_8equal_toIvEEEENSN_INSM_8argumentILj0EEEEENSM_5valueIxEEEEEEEEEEEE10hipError_tPvRmT3_T4_T5_T6_T7_T9_mT8_P12ihipStream_tbDpT10_ENKUlT_T0_E_clISt17integral_constantIbLb0EES1K_EEDaS1F_S1G_EUlS1F_E_NS1_11comp_targetILNS1_3genE3ELNS1_11target_archE908ELNS1_3gpuE7ELNS1_3repE0EEENS1_30default_config_static_selectorELNS0_4arch9wavefront6targetE0EEEvT1_.kd
    .uniform_work_group_size: 1
    .uses_dynamic_stack: false
    .vgpr_count:     0
    .vgpr_spill_count: 0
    .wavefront_size: 32
    .workgroup_processor_mode: 1
  - .args:
      - .offset:         0
        .size:           128
        .value_kind:     by_value
    .group_segment_fixed_size: 0
    .kernarg_segment_align: 8
    .kernarg_segment_size: 128
    .language:       OpenCL C
    .language_version:
      - 2
      - 0
    .max_flat_workgroup_size: 256
    .name:           _ZN7rocprim17ROCPRIM_400000_NS6detail17trampoline_kernelINS0_14default_configENS1_25partition_config_selectorILNS1_17partition_subalgoE6ExNS0_10empty_typeEbEEZZNS1_14partition_implILS5_6ELb0ES3_mN6thrust23THRUST_200600_302600_NS6detail15normal_iteratorINSA_10device_ptrIxEEEEPS6_SG_NS0_5tupleIJSF_S6_EEENSH_IJSG_SG_EEES6_PlJNSB_9not_fun_tINSB_10functional5actorINSM_9compositeIJNSM_27transparent_binary_operatorINSA_8equal_toIvEEEENSN_INSM_8argumentILj0EEEEENSM_5valueIxEEEEEEEEEEEE10hipError_tPvRmT3_T4_T5_T6_T7_T9_mT8_P12ihipStream_tbDpT10_ENKUlT_T0_E_clISt17integral_constantIbLb0EES1K_EEDaS1F_S1G_EUlS1F_E_NS1_11comp_targetILNS1_3genE2ELNS1_11target_archE906ELNS1_3gpuE6ELNS1_3repE0EEENS1_30default_config_static_selectorELNS0_4arch9wavefront6targetE0EEEvT1_
    .private_segment_fixed_size: 0
    .sgpr_count:     0
    .sgpr_spill_count: 0
    .symbol:         _ZN7rocprim17ROCPRIM_400000_NS6detail17trampoline_kernelINS0_14default_configENS1_25partition_config_selectorILNS1_17partition_subalgoE6ExNS0_10empty_typeEbEEZZNS1_14partition_implILS5_6ELb0ES3_mN6thrust23THRUST_200600_302600_NS6detail15normal_iteratorINSA_10device_ptrIxEEEEPS6_SG_NS0_5tupleIJSF_S6_EEENSH_IJSG_SG_EEES6_PlJNSB_9not_fun_tINSB_10functional5actorINSM_9compositeIJNSM_27transparent_binary_operatorINSA_8equal_toIvEEEENSN_INSM_8argumentILj0EEEEENSM_5valueIxEEEEEEEEEEEE10hipError_tPvRmT3_T4_T5_T6_T7_T9_mT8_P12ihipStream_tbDpT10_ENKUlT_T0_E_clISt17integral_constantIbLb0EES1K_EEDaS1F_S1G_EUlS1F_E_NS1_11comp_targetILNS1_3genE2ELNS1_11target_archE906ELNS1_3gpuE6ELNS1_3repE0EEENS1_30default_config_static_selectorELNS0_4arch9wavefront6targetE0EEEvT1_.kd
    .uniform_work_group_size: 1
    .uses_dynamic_stack: false
    .vgpr_count:     0
    .vgpr_spill_count: 0
    .wavefront_size: 32
    .workgroup_processor_mode: 1
  - .args:
      - .offset:         0
        .size:           128
        .value_kind:     by_value
    .group_segment_fixed_size: 8464
    .kernarg_segment_align: 8
    .kernarg_segment_size: 128
    .language:       OpenCL C
    .language_version:
      - 2
      - 0
    .max_flat_workgroup_size: 256
    .name:           _ZN7rocprim17ROCPRIM_400000_NS6detail17trampoline_kernelINS0_14default_configENS1_25partition_config_selectorILNS1_17partition_subalgoE6ExNS0_10empty_typeEbEEZZNS1_14partition_implILS5_6ELb0ES3_mN6thrust23THRUST_200600_302600_NS6detail15normal_iteratorINSA_10device_ptrIxEEEEPS6_SG_NS0_5tupleIJSF_S6_EEENSH_IJSG_SG_EEES6_PlJNSB_9not_fun_tINSB_10functional5actorINSM_9compositeIJNSM_27transparent_binary_operatorINSA_8equal_toIvEEEENSN_INSM_8argumentILj0EEEEENSM_5valueIxEEEEEEEEEEEE10hipError_tPvRmT3_T4_T5_T6_T7_T9_mT8_P12ihipStream_tbDpT10_ENKUlT_T0_E_clISt17integral_constantIbLb0EES1K_EEDaS1F_S1G_EUlS1F_E_NS1_11comp_targetILNS1_3genE10ELNS1_11target_archE1200ELNS1_3gpuE4ELNS1_3repE0EEENS1_30default_config_static_selectorELNS0_4arch9wavefront6targetE0EEEvT1_
    .private_segment_fixed_size: 0
    .sgpr_count:     24
    .sgpr_spill_count: 0
    .symbol:         _ZN7rocprim17ROCPRIM_400000_NS6detail17trampoline_kernelINS0_14default_configENS1_25partition_config_selectorILNS1_17partition_subalgoE6ExNS0_10empty_typeEbEEZZNS1_14partition_implILS5_6ELb0ES3_mN6thrust23THRUST_200600_302600_NS6detail15normal_iteratorINSA_10device_ptrIxEEEEPS6_SG_NS0_5tupleIJSF_S6_EEENSH_IJSG_SG_EEES6_PlJNSB_9not_fun_tINSB_10functional5actorINSM_9compositeIJNSM_27transparent_binary_operatorINSA_8equal_toIvEEEENSN_INSM_8argumentILj0EEEEENSM_5valueIxEEEEEEEEEEEE10hipError_tPvRmT3_T4_T5_T6_T7_T9_mT8_P12ihipStream_tbDpT10_ENKUlT_T0_E_clISt17integral_constantIbLb0EES1K_EEDaS1F_S1G_EUlS1F_E_NS1_11comp_targetILNS1_3genE10ELNS1_11target_archE1200ELNS1_3gpuE4ELNS1_3repE0EEENS1_30default_config_static_selectorELNS0_4arch9wavefront6targetE0EEEvT1_.kd
    .uniform_work_group_size: 1
    .uses_dynamic_stack: false
    .vgpr_count:     46
    .vgpr_spill_count: 0
    .wavefront_size: 32
    .workgroup_processor_mode: 1
  - .args:
      - .offset:         0
        .size:           128
        .value_kind:     by_value
    .group_segment_fixed_size: 0
    .kernarg_segment_align: 8
    .kernarg_segment_size: 128
    .language:       OpenCL C
    .language_version:
      - 2
      - 0
    .max_flat_workgroup_size: 384
    .name:           _ZN7rocprim17ROCPRIM_400000_NS6detail17trampoline_kernelINS0_14default_configENS1_25partition_config_selectorILNS1_17partition_subalgoE6ExNS0_10empty_typeEbEEZZNS1_14partition_implILS5_6ELb0ES3_mN6thrust23THRUST_200600_302600_NS6detail15normal_iteratorINSA_10device_ptrIxEEEEPS6_SG_NS0_5tupleIJSF_S6_EEENSH_IJSG_SG_EEES6_PlJNSB_9not_fun_tINSB_10functional5actorINSM_9compositeIJNSM_27transparent_binary_operatorINSA_8equal_toIvEEEENSN_INSM_8argumentILj0EEEEENSM_5valueIxEEEEEEEEEEEE10hipError_tPvRmT3_T4_T5_T6_T7_T9_mT8_P12ihipStream_tbDpT10_ENKUlT_T0_E_clISt17integral_constantIbLb0EES1K_EEDaS1F_S1G_EUlS1F_E_NS1_11comp_targetILNS1_3genE9ELNS1_11target_archE1100ELNS1_3gpuE3ELNS1_3repE0EEENS1_30default_config_static_selectorELNS0_4arch9wavefront6targetE0EEEvT1_
    .private_segment_fixed_size: 0
    .sgpr_count:     0
    .sgpr_spill_count: 0
    .symbol:         _ZN7rocprim17ROCPRIM_400000_NS6detail17trampoline_kernelINS0_14default_configENS1_25partition_config_selectorILNS1_17partition_subalgoE6ExNS0_10empty_typeEbEEZZNS1_14partition_implILS5_6ELb0ES3_mN6thrust23THRUST_200600_302600_NS6detail15normal_iteratorINSA_10device_ptrIxEEEEPS6_SG_NS0_5tupleIJSF_S6_EEENSH_IJSG_SG_EEES6_PlJNSB_9not_fun_tINSB_10functional5actorINSM_9compositeIJNSM_27transparent_binary_operatorINSA_8equal_toIvEEEENSN_INSM_8argumentILj0EEEEENSM_5valueIxEEEEEEEEEEEE10hipError_tPvRmT3_T4_T5_T6_T7_T9_mT8_P12ihipStream_tbDpT10_ENKUlT_T0_E_clISt17integral_constantIbLb0EES1K_EEDaS1F_S1G_EUlS1F_E_NS1_11comp_targetILNS1_3genE9ELNS1_11target_archE1100ELNS1_3gpuE3ELNS1_3repE0EEENS1_30default_config_static_selectorELNS0_4arch9wavefront6targetE0EEEvT1_.kd
    .uniform_work_group_size: 1
    .uses_dynamic_stack: false
    .vgpr_count:     0
    .vgpr_spill_count: 0
    .wavefront_size: 32
    .workgroup_processor_mode: 1
  - .args:
      - .offset:         0
        .size:           128
        .value_kind:     by_value
    .group_segment_fixed_size: 0
    .kernarg_segment_align: 8
    .kernarg_segment_size: 128
    .language:       OpenCL C
    .language_version:
      - 2
      - 0
    .max_flat_workgroup_size: 512
    .name:           _ZN7rocprim17ROCPRIM_400000_NS6detail17trampoline_kernelINS0_14default_configENS1_25partition_config_selectorILNS1_17partition_subalgoE6ExNS0_10empty_typeEbEEZZNS1_14partition_implILS5_6ELb0ES3_mN6thrust23THRUST_200600_302600_NS6detail15normal_iteratorINSA_10device_ptrIxEEEEPS6_SG_NS0_5tupleIJSF_S6_EEENSH_IJSG_SG_EEES6_PlJNSB_9not_fun_tINSB_10functional5actorINSM_9compositeIJNSM_27transparent_binary_operatorINSA_8equal_toIvEEEENSN_INSM_8argumentILj0EEEEENSM_5valueIxEEEEEEEEEEEE10hipError_tPvRmT3_T4_T5_T6_T7_T9_mT8_P12ihipStream_tbDpT10_ENKUlT_T0_E_clISt17integral_constantIbLb0EES1K_EEDaS1F_S1G_EUlS1F_E_NS1_11comp_targetILNS1_3genE8ELNS1_11target_archE1030ELNS1_3gpuE2ELNS1_3repE0EEENS1_30default_config_static_selectorELNS0_4arch9wavefront6targetE0EEEvT1_
    .private_segment_fixed_size: 0
    .sgpr_count:     0
    .sgpr_spill_count: 0
    .symbol:         _ZN7rocprim17ROCPRIM_400000_NS6detail17trampoline_kernelINS0_14default_configENS1_25partition_config_selectorILNS1_17partition_subalgoE6ExNS0_10empty_typeEbEEZZNS1_14partition_implILS5_6ELb0ES3_mN6thrust23THRUST_200600_302600_NS6detail15normal_iteratorINSA_10device_ptrIxEEEEPS6_SG_NS0_5tupleIJSF_S6_EEENSH_IJSG_SG_EEES6_PlJNSB_9not_fun_tINSB_10functional5actorINSM_9compositeIJNSM_27transparent_binary_operatorINSA_8equal_toIvEEEENSN_INSM_8argumentILj0EEEEENSM_5valueIxEEEEEEEEEEEE10hipError_tPvRmT3_T4_T5_T6_T7_T9_mT8_P12ihipStream_tbDpT10_ENKUlT_T0_E_clISt17integral_constantIbLb0EES1K_EEDaS1F_S1G_EUlS1F_E_NS1_11comp_targetILNS1_3genE8ELNS1_11target_archE1030ELNS1_3gpuE2ELNS1_3repE0EEENS1_30default_config_static_selectorELNS0_4arch9wavefront6targetE0EEEvT1_.kd
    .uniform_work_group_size: 1
    .uses_dynamic_stack: false
    .vgpr_count:     0
    .vgpr_spill_count: 0
    .wavefront_size: 32
    .workgroup_processor_mode: 1
  - .args:
      - .offset:         0
        .size:           136
        .value_kind:     by_value
    .group_segment_fixed_size: 0
    .kernarg_segment_align: 8
    .kernarg_segment_size: 136
    .language:       OpenCL C
    .language_version:
      - 2
      - 0
    .max_flat_workgroup_size: 128
    .name:           _ZN7rocprim17ROCPRIM_400000_NS6detail17trampoline_kernelINS0_14default_configENS1_25partition_config_selectorILNS1_17partition_subalgoE6ExNS0_10empty_typeEbEEZZNS1_14partition_implILS5_6ELb0ES3_mN6thrust23THRUST_200600_302600_NS6detail15normal_iteratorINSA_10device_ptrIxEEEEPS6_SG_NS0_5tupleIJSF_S6_EEENSH_IJSG_SG_EEES6_PlJNSB_9not_fun_tINSB_10functional5actorINSM_9compositeIJNSM_27transparent_binary_operatorINSA_8equal_toIvEEEENSN_INSM_8argumentILj0EEEEENSM_5valueIxEEEEEEEEEEEE10hipError_tPvRmT3_T4_T5_T6_T7_T9_mT8_P12ihipStream_tbDpT10_ENKUlT_T0_E_clISt17integral_constantIbLb1EES1K_EEDaS1F_S1G_EUlS1F_E_NS1_11comp_targetILNS1_3genE0ELNS1_11target_archE4294967295ELNS1_3gpuE0ELNS1_3repE0EEENS1_30default_config_static_selectorELNS0_4arch9wavefront6targetE0EEEvT1_
    .private_segment_fixed_size: 0
    .sgpr_count:     0
    .sgpr_spill_count: 0
    .symbol:         _ZN7rocprim17ROCPRIM_400000_NS6detail17trampoline_kernelINS0_14default_configENS1_25partition_config_selectorILNS1_17partition_subalgoE6ExNS0_10empty_typeEbEEZZNS1_14partition_implILS5_6ELb0ES3_mN6thrust23THRUST_200600_302600_NS6detail15normal_iteratorINSA_10device_ptrIxEEEEPS6_SG_NS0_5tupleIJSF_S6_EEENSH_IJSG_SG_EEES6_PlJNSB_9not_fun_tINSB_10functional5actorINSM_9compositeIJNSM_27transparent_binary_operatorINSA_8equal_toIvEEEENSN_INSM_8argumentILj0EEEEENSM_5valueIxEEEEEEEEEEEE10hipError_tPvRmT3_T4_T5_T6_T7_T9_mT8_P12ihipStream_tbDpT10_ENKUlT_T0_E_clISt17integral_constantIbLb1EES1K_EEDaS1F_S1G_EUlS1F_E_NS1_11comp_targetILNS1_3genE0ELNS1_11target_archE4294967295ELNS1_3gpuE0ELNS1_3repE0EEENS1_30default_config_static_selectorELNS0_4arch9wavefront6targetE0EEEvT1_.kd
    .uniform_work_group_size: 1
    .uses_dynamic_stack: false
    .vgpr_count:     0
    .vgpr_spill_count: 0
    .wavefront_size: 32
    .workgroup_processor_mode: 1
  - .args:
      - .offset:         0
        .size:           136
        .value_kind:     by_value
    .group_segment_fixed_size: 0
    .kernarg_segment_align: 8
    .kernarg_segment_size: 136
    .language:       OpenCL C
    .language_version:
      - 2
      - 0
    .max_flat_workgroup_size: 512
    .name:           _ZN7rocprim17ROCPRIM_400000_NS6detail17trampoline_kernelINS0_14default_configENS1_25partition_config_selectorILNS1_17partition_subalgoE6ExNS0_10empty_typeEbEEZZNS1_14partition_implILS5_6ELb0ES3_mN6thrust23THRUST_200600_302600_NS6detail15normal_iteratorINSA_10device_ptrIxEEEEPS6_SG_NS0_5tupleIJSF_S6_EEENSH_IJSG_SG_EEES6_PlJNSB_9not_fun_tINSB_10functional5actorINSM_9compositeIJNSM_27transparent_binary_operatorINSA_8equal_toIvEEEENSN_INSM_8argumentILj0EEEEENSM_5valueIxEEEEEEEEEEEE10hipError_tPvRmT3_T4_T5_T6_T7_T9_mT8_P12ihipStream_tbDpT10_ENKUlT_T0_E_clISt17integral_constantIbLb1EES1K_EEDaS1F_S1G_EUlS1F_E_NS1_11comp_targetILNS1_3genE5ELNS1_11target_archE942ELNS1_3gpuE9ELNS1_3repE0EEENS1_30default_config_static_selectorELNS0_4arch9wavefront6targetE0EEEvT1_
    .private_segment_fixed_size: 0
    .sgpr_count:     0
    .sgpr_spill_count: 0
    .symbol:         _ZN7rocprim17ROCPRIM_400000_NS6detail17trampoline_kernelINS0_14default_configENS1_25partition_config_selectorILNS1_17partition_subalgoE6ExNS0_10empty_typeEbEEZZNS1_14partition_implILS5_6ELb0ES3_mN6thrust23THRUST_200600_302600_NS6detail15normal_iteratorINSA_10device_ptrIxEEEEPS6_SG_NS0_5tupleIJSF_S6_EEENSH_IJSG_SG_EEES6_PlJNSB_9not_fun_tINSB_10functional5actorINSM_9compositeIJNSM_27transparent_binary_operatorINSA_8equal_toIvEEEENSN_INSM_8argumentILj0EEEEENSM_5valueIxEEEEEEEEEEEE10hipError_tPvRmT3_T4_T5_T6_T7_T9_mT8_P12ihipStream_tbDpT10_ENKUlT_T0_E_clISt17integral_constantIbLb1EES1K_EEDaS1F_S1G_EUlS1F_E_NS1_11comp_targetILNS1_3genE5ELNS1_11target_archE942ELNS1_3gpuE9ELNS1_3repE0EEENS1_30default_config_static_selectorELNS0_4arch9wavefront6targetE0EEEvT1_.kd
    .uniform_work_group_size: 1
    .uses_dynamic_stack: false
    .vgpr_count:     0
    .vgpr_spill_count: 0
    .wavefront_size: 32
    .workgroup_processor_mode: 1
  - .args:
      - .offset:         0
        .size:           136
        .value_kind:     by_value
    .group_segment_fixed_size: 0
    .kernarg_segment_align: 8
    .kernarg_segment_size: 136
    .language:       OpenCL C
    .language_version:
      - 2
      - 0
    .max_flat_workgroup_size: 512
    .name:           _ZN7rocprim17ROCPRIM_400000_NS6detail17trampoline_kernelINS0_14default_configENS1_25partition_config_selectorILNS1_17partition_subalgoE6ExNS0_10empty_typeEbEEZZNS1_14partition_implILS5_6ELb0ES3_mN6thrust23THRUST_200600_302600_NS6detail15normal_iteratorINSA_10device_ptrIxEEEEPS6_SG_NS0_5tupleIJSF_S6_EEENSH_IJSG_SG_EEES6_PlJNSB_9not_fun_tINSB_10functional5actorINSM_9compositeIJNSM_27transparent_binary_operatorINSA_8equal_toIvEEEENSN_INSM_8argumentILj0EEEEENSM_5valueIxEEEEEEEEEEEE10hipError_tPvRmT3_T4_T5_T6_T7_T9_mT8_P12ihipStream_tbDpT10_ENKUlT_T0_E_clISt17integral_constantIbLb1EES1K_EEDaS1F_S1G_EUlS1F_E_NS1_11comp_targetILNS1_3genE4ELNS1_11target_archE910ELNS1_3gpuE8ELNS1_3repE0EEENS1_30default_config_static_selectorELNS0_4arch9wavefront6targetE0EEEvT1_
    .private_segment_fixed_size: 0
    .sgpr_count:     0
    .sgpr_spill_count: 0
    .symbol:         _ZN7rocprim17ROCPRIM_400000_NS6detail17trampoline_kernelINS0_14default_configENS1_25partition_config_selectorILNS1_17partition_subalgoE6ExNS0_10empty_typeEbEEZZNS1_14partition_implILS5_6ELb0ES3_mN6thrust23THRUST_200600_302600_NS6detail15normal_iteratorINSA_10device_ptrIxEEEEPS6_SG_NS0_5tupleIJSF_S6_EEENSH_IJSG_SG_EEES6_PlJNSB_9not_fun_tINSB_10functional5actorINSM_9compositeIJNSM_27transparent_binary_operatorINSA_8equal_toIvEEEENSN_INSM_8argumentILj0EEEEENSM_5valueIxEEEEEEEEEEEE10hipError_tPvRmT3_T4_T5_T6_T7_T9_mT8_P12ihipStream_tbDpT10_ENKUlT_T0_E_clISt17integral_constantIbLb1EES1K_EEDaS1F_S1G_EUlS1F_E_NS1_11comp_targetILNS1_3genE4ELNS1_11target_archE910ELNS1_3gpuE8ELNS1_3repE0EEENS1_30default_config_static_selectorELNS0_4arch9wavefront6targetE0EEEvT1_.kd
    .uniform_work_group_size: 1
    .uses_dynamic_stack: false
    .vgpr_count:     0
    .vgpr_spill_count: 0
    .wavefront_size: 32
    .workgroup_processor_mode: 1
  - .args:
      - .offset:         0
        .size:           136
        .value_kind:     by_value
    .group_segment_fixed_size: 0
    .kernarg_segment_align: 8
    .kernarg_segment_size: 136
    .language:       OpenCL C
    .language_version:
      - 2
      - 0
    .max_flat_workgroup_size: 128
    .name:           _ZN7rocprim17ROCPRIM_400000_NS6detail17trampoline_kernelINS0_14default_configENS1_25partition_config_selectorILNS1_17partition_subalgoE6ExNS0_10empty_typeEbEEZZNS1_14partition_implILS5_6ELb0ES3_mN6thrust23THRUST_200600_302600_NS6detail15normal_iteratorINSA_10device_ptrIxEEEEPS6_SG_NS0_5tupleIJSF_S6_EEENSH_IJSG_SG_EEES6_PlJNSB_9not_fun_tINSB_10functional5actorINSM_9compositeIJNSM_27transparent_binary_operatorINSA_8equal_toIvEEEENSN_INSM_8argumentILj0EEEEENSM_5valueIxEEEEEEEEEEEE10hipError_tPvRmT3_T4_T5_T6_T7_T9_mT8_P12ihipStream_tbDpT10_ENKUlT_T0_E_clISt17integral_constantIbLb1EES1K_EEDaS1F_S1G_EUlS1F_E_NS1_11comp_targetILNS1_3genE3ELNS1_11target_archE908ELNS1_3gpuE7ELNS1_3repE0EEENS1_30default_config_static_selectorELNS0_4arch9wavefront6targetE0EEEvT1_
    .private_segment_fixed_size: 0
    .sgpr_count:     0
    .sgpr_spill_count: 0
    .symbol:         _ZN7rocprim17ROCPRIM_400000_NS6detail17trampoline_kernelINS0_14default_configENS1_25partition_config_selectorILNS1_17partition_subalgoE6ExNS0_10empty_typeEbEEZZNS1_14partition_implILS5_6ELb0ES3_mN6thrust23THRUST_200600_302600_NS6detail15normal_iteratorINSA_10device_ptrIxEEEEPS6_SG_NS0_5tupleIJSF_S6_EEENSH_IJSG_SG_EEES6_PlJNSB_9not_fun_tINSB_10functional5actorINSM_9compositeIJNSM_27transparent_binary_operatorINSA_8equal_toIvEEEENSN_INSM_8argumentILj0EEEEENSM_5valueIxEEEEEEEEEEEE10hipError_tPvRmT3_T4_T5_T6_T7_T9_mT8_P12ihipStream_tbDpT10_ENKUlT_T0_E_clISt17integral_constantIbLb1EES1K_EEDaS1F_S1G_EUlS1F_E_NS1_11comp_targetILNS1_3genE3ELNS1_11target_archE908ELNS1_3gpuE7ELNS1_3repE0EEENS1_30default_config_static_selectorELNS0_4arch9wavefront6targetE0EEEvT1_.kd
    .uniform_work_group_size: 1
    .uses_dynamic_stack: false
    .vgpr_count:     0
    .vgpr_spill_count: 0
    .wavefront_size: 32
    .workgroup_processor_mode: 1
  - .args:
      - .offset:         0
        .size:           136
        .value_kind:     by_value
    .group_segment_fixed_size: 0
    .kernarg_segment_align: 8
    .kernarg_segment_size: 136
    .language:       OpenCL C
    .language_version:
      - 2
      - 0
    .max_flat_workgroup_size: 256
    .name:           _ZN7rocprim17ROCPRIM_400000_NS6detail17trampoline_kernelINS0_14default_configENS1_25partition_config_selectorILNS1_17partition_subalgoE6ExNS0_10empty_typeEbEEZZNS1_14partition_implILS5_6ELb0ES3_mN6thrust23THRUST_200600_302600_NS6detail15normal_iteratorINSA_10device_ptrIxEEEEPS6_SG_NS0_5tupleIJSF_S6_EEENSH_IJSG_SG_EEES6_PlJNSB_9not_fun_tINSB_10functional5actorINSM_9compositeIJNSM_27transparent_binary_operatorINSA_8equal_toIvEEEENSN_INSM_8argumentILj0EEEEENSM_5valueIxEEEEEEEEEEEE10hipError_tPvRmT3_T4_T5_T6_T7_T9_mT8_P12ihipStream_tbDpT10_ENKUlT_T0_E_clISt17integral_constantIbLb1EES1K_EEDaS1F_S1G_EUlS1F_E_NS1_11comp_targetILNS1_3genE2ELNS1_11target_archE906ELNS1_3gpuE6ELNS1_3repE0EEENS1_30default_config_static_selectorELNS0_4arch9wavefront6targetE0EEEvT1_
    .private_segment_fixed_size: 0
    .sgpr_count:     0
    .sgpr_spill_count: 0
    .symbol:         _ZN7rocprim17ROCPRIM_400000_NS6detail17trampoline_kernelINS0_14default_configENS1_25partition_config_selectorILNS1_17partition_subalgoE6ExNS0_10empty_typeEbEEZZNS1_14partition_implILS5_6ELb0ES3_mN6thrust23THRUST_200600_302600_NS6detail15normal_iteratorINSA_10device_ptrIxEEEEPS6_SG_NS0_5tupleIJSF_S6_EEENSH_IJSG_SG_EEES6_PlJNSB_9not_fun_tINSB_10functional5actorINSM_9compositeIJNSM_27transparent_binary_operatorINSA_8equal_toIvEEEENSN_INSM_8argumentILj0EEEEENSM_5valueIxEEEEEEEEEEEE10hipError_tPvRmT3_T4_T5_T6_T7_T9_mT8_P12ihipStream_tbDpT10_ENKUlT_T0_E_clISt17integral_constantIbLb1EES1K_EEDaS1F_S1G_EUlS1F_E_NS1_11comp_targetILNS1_3genE2ELNS1_11target_archE906ELNS1_3gpuE6ELNS1_3repE0EEENS1_30default_config_static_selectorELNS0_4arch9wavefront6targetE0EEEvT1_.kd
    .uniform_work_group_size: 1
    .uses_dynamic_stack: false
    .vgpr_count:     0
    .vgpr_spill_count: 0
    .wavefront_size: 32
    .workgroup_processor_mode: 1
  - .args:
      - .offset:         0
        .size:           136
        .value_kind:     by_value
    .group_segment_fixed_size: 0
    .kernarg_segment_align: 8
    .kernarg_segment_size: 136
    .language:       OpenCL C
    .language_version:
      - 2
      - 0
    .max_flat_workgroup_size: 256
    .name:           _ZN7rocprim17ROCPRIM_400000_NS6detail17trampoline_kernelINS0_14default_configENS1_25partition_config_selectorILNS1_17partition_subalgoE6ExNS0_10empty_typeEbEEZZNS1_14partition_implILS5_6ELb0ES3_mN6thrust23THRUST_200600_302600_NS6detail15normal_iteratorINSA_10device_ptrIxEEEEPS6_SG_NS0_5tupleIJSF_S6_EEENSH_IJSG_SG_EEES6_PlJNSB_9not_fun_tINSB_10functional5actorINSM_9compositeIJNSM_27transparent_binary_operatorINSA_8equal_toIvEEEENSN_INSM_8argumentILj0EEEEENSM_5valueIxEEEEEEEEEEEE10hipError_tPvRmT3_T4_T5_T6_T7_T9_mT8_P12ihipStream_tbDpT10_ENKUlT_T0_E_clISt17integral_constantIbLb1EES1K_EEDaS1F_S1G_EUlS1F_E_NS1_11comp_targetILNS1_3genE10ELNS1_11target_archE1200ELNS1_3gpuE4ELNS1_3repE0EEENS1_30default_config_static_selectorELNS0_4arch9wavefront6targetE0EEEvT1_
    .private_segment_fixed_size: 0
    .sgpr_count:     0
    .sgpr_spill_count: 0
    .symbol:         _ZN7rocprim17ROCPRIM_400000_NS6detail17trampoline_kernelINS0_14default_configENS1_25partition_config_selectorILNS1_17partition_subalgoE6ExNS0_10empty_typeEbEEZZNS1_14partition_implILS5_6ELb0ES3_mN6thrust23THRUST_200600_302600_NS6detail15normal_iteratorINSA_10device_ptrIxEEEEPS6_SG_NS0_5tupleIJSF_S6_EEENSH_IJSG_SG_EEES6_PlJNSB_9not_fun_tINSB_10functional5actorINSM_9compositeIJNSM_27transparent_binary_operatorINSA_8equal_toIvEEEENSN_INSM_8argumentILj0EEEEENSM_5valueIxEEEEEEEEEEEE10hipError_tPvRmT3_T4_T5_T6_T7_T9_mT8_P12ihipStream_tbDpT10_ENKUlT_T0_E_clISt17integral_constantIbLb1EES1K_EEDaS1F_S1G_EUlS1F_E_NS1_11comp_targetILNS1_3genE10ELNS1_11target_archE1200ELNS1_3gpuE4ELNS1_3repE0EEENS1_30default_config_static_selectorELNS0_4arch9wavefront6targetE0EEEvT1_.kd
    .uniform_work_group_size: 1
    .uses_dynamic_stack: false
    .vgpr_count:     0
    .vgpr_spill_count: 0
    .wavefront_size: 32
    .workgroup_processor_mode: 1
  - .args:
      - .offset:         0
        .size:           136
        .value_kind:     by_value
    .group_segment_fixed_size: 0
    .kernarg_segment_align: 8
    .kernarg_segment_size: 136
    .language:       OpenCL C
    .language_version:
      - 2
      - 0
    .max_flat_workgroup_size: 384
    .name:           _ZN7rocprim17ROCPRIM_400000_NS6detail17trampoline_kernelINS0_14default_configENS1_25partition_config_selectorILNS1_17partition_subalgoE6ExNS0_10empty_typeEbEEZZNS1_14partition_implILS5_6ELb0ES3_mN6thrust23THRUST_200600_302600_NS6detail15normal_iteratorINSA_10device_ptrIxEEEEPS6_SG_NS0_5tupleIJSF_S6_EEENSH_IJSG_SG_EEES6_PlJNSB_9not_fun_tINSB_10functional5actorINSM_9compositeIJNSM_27transparent_binary_operatorINSA_8equal_toIvEEEENSN_INSM_8argumentILj0EEEEENSM_5valueIxEEEEEEEEEEEE10hipError_tPvRmT3_T4_T5_T6_T7_T9_mT8_P12ihipStream_tbDpT10_ENKUlT_T0_E_clISt17integral_constantIbLb1EES1K_EEDaS1F_S1G_EUlS1F_E_NS1_11comp_targetILNS1_3genE9ELNS1_11target_archE1100ELNS1_3gpuE3ELNS1_3repE0EEENS1_30default_config_static_selectorELNS0_4arch9wavefront6targetE0EEEvT1_
    .private_segment_fixed_size: 0
    .sgpr_count:     0
    .sgpr_spill_count: 0
    .symbol:         _ZN7rocprim17ROCPRIM_400000_NS6detail17trampoline_kernelINS0_14default_configENS1_25partition_config_selectorILNS1_17partition_subalgoE6ExNS0_10empty_typeEbEEZZNS1_14partition_implILS5_6ELb0ES3_mN6thrust23THRUST_200600_302600_NS6detail15normal_iteratorINSA_10device_ptrIxEEEEPS6_SG_NS0_5tupleIJSF_S6_EEENSH_IJSG_SG_EEES6_PlJNSB_9not_fun_tINSB_10functional5actorINSM_9compositeIJNSM_27transparent_binary_operatorINSA_8equal_toIvEEEENSN_INSM_8argumentILj0EEEEENSM_5valueIxEEEEEEEEEEEE10hipError_tPvRmT3_T4_T5_T6_T7_T9_mT8_P12ihipStream_tbDpT10_ENKUlT_T0_E_clISt17integral_constantIbLb1EES1K_EEDaS1F_S1G_EUlS1F_E_NS1_11comp_targetILNS1_3genE9ELNS1_11target_archE1100ELNS1_3gpuE3ELNS1_3repE0EEENS1_30default_config_static_selectorELNS0_4arch9wavefront6targetE0EEEvT1_.kd
    .uniform_work_group_size: 1
    .uses_dynamic_stack: false
    .vgpr_count:     0
    .vgpr_spill_count: 0
    .wavefront_size: 32
    .workgroup_processor_mode: 1
  - .args:
      - .offset:         0
        .size:           136
        .value_kind:     by_value
    .group_segment_fixed_size: 0
    .kernarg_segment_align: 8
    .kernarg_segment_size: 136
    .language:       OpenCL C
    .language_version:
      - 2
      - 0
    .max_flat_workgroup_size: 512
    .name:           _ZN7rocprim17ROCPRIM_400000_NS6detail17trampoline_kernelINS0_14default_configENS1_25partition_config_selectorILNS1_17partition_subalgoE6ExNS0_10empty_typeEbEEZZNS1_14partition_implILS5_6ELb0ES3_mN6thrust23THRUST_200600_302600_NS6detail15normal_iteratorINSA_10device_ptrIxEEEEPS6_SG_NS0_5tupleIJSF_S6_EEENSH_IJSG_SG_EEES6_PlJNSB_9not_fun_tINSB_10functional5actorINSM_9compositeIJNSM_27transparent_binary_operatorINSA_8equal_toIvEEEENSN_INSM_8argumentILj0EEEEENSM_5valueIxEEEEEEEEEEEE10hipError_tPvRmT3_T4_T5_T6_T7_T9_mT8_P12ihipStream_tbDpT10_ENKUlT_T0_E_clISt17integral_constantIbLb1EES1K_EEDaS1F_S1G_EUlS1F_E_NS1_11comp_targetILNS1_3genE8ELNS1_11target_archE1030ELNS1_3gpuE2ELNS1_3repE0EEENS1_30default_config_static_selectorELNS0_4arch9wavefront6targetE0EEEvT1_
    .private_segment_fixed_size: 0
    .sgpr_count:     0
    .sgpr_spill_count: 0
    .symbol:         _ZN7rocprim17ROCPRIM_400000_NS6detail17trampoline_kernelINS0_14default_configENS1_25partition_config_selectorILNS1_17partition_subalgoE6ExNS0_10empty_typeEbEEZZNS1_14partition_implILS5_6ELb0ES3_mN6thrust23THRUST_200600_302600_NS6detail15normal_iteratorINSA_10device_ptrIxEEEEPS6_SG_NS0_5tupleIJSF_S6_EEENSH_IJSG_SG_EEES6_PlJNSB_9not_fun_tINSB_10functional5actorINSM_9compositeIJNSM_27transparent_binary_operatorINSA_8equal_toIvEEEENSN_INSM_8argumentILj0EEEEENSM_5valueIxEEEEEEEEEEEE10hipError_tPvRmT3_T4_T5_T6_T7_T9_mT8_P12ihipStream_tbDpT10_ENKUlT_T0_E_clISt17integral_constantIbLb1EES1K_EEDaS1F_S1G_EUlS1F_E_NS1_11comp_targetILNS1_3genE8ELNS1_11target_archE1030ELNS1_3gpuE2ELNS1_3repE0EEENS1_30default_config_static_selectorELNS0_4arch9wavefront6targetE0EEEvT1_.kd
    .uniform_work_group_size: 1
    .uses_dynamic_stack: false
    .vgpr_count:     0
    .vgpr_spill_count: 0
    .wavefront_size: 32
    .workgroup_processor_mode: 1
  - .args:
      - .offset:         0
        .size:           128
        .value_kind:     by_value
    .group_segment_fixed_size: 0
    .kernarg_segment_align: 8
    .kernarg_segment_size: 128
    .language:       OpenCL C
    .language_version:
      - 2
      - 0
    .max_flat_workgroup_size: 128
    .name:           _ZN7rocprim17ROCPRIM_400000_NS6detail17trampoline_kernelINS0_14default_configENS1_25partition_config_selectorILNS1_17partition_subalgoE6ExNS0_10empty_typeEbEEZZNS1_14partition_implILS5_6ELb0ES3_mN6thrust23THRUST_200600_302600_NS6detail15normal_iteratorINSA_10device_ptrIxEEEEPS6_SG_NS0_5tupleIJSF_S6_EEENSH_IJSG_SG_EEES6_PlJNSB_9not_fun_tINSB_10functional5actorINSM_9compositeIJNSM_27transparent_binary_operatorINSA_8equal_toIvEEEENSN_INSM_8argumentILj0EEEEENSM_5valueIxEEEEEEEEEEEE10hipError_tPvRmT3_T4_T5_T6_T7_T9_mT8_P12ihipStream_tbDpT10_ENKUlT_T0_E_clISt17integral_constantIbLb1EES1J_IbLb0EEEEDaS1F_S1G_EUlS1F_E_NS1_11comp_targetILNS1_3genE0ELNS1_11target_archE4294967295ELNS1_3gpuE0ELNS1_3repE0EEENS1_30default_config_static_selectorELNS0_4arch9wavefront6targetE0EEEvT1_
    .private_segment_fixed_size: 0
    .sgpr_count:     0
    .sgpr_spill_count: 0
    .symbol:         _ZN7rocprim17ROCPRIM_400000_NS6detail17trampoline_kernelINS0_14default_configENS1_25partition_config_selectorILNS1_17partition_subalgoE6ExNS0_10empty_typeEbEEZZNS1_14partition_implILS5_6ELb0ES3_mN6thrust23THRUST_200600_302600_NS6detail15normal_iteratorINSA_10device_ptrIxEEEEPS6_SG_NS0_5tupleIJSF_S6_EEENSH_IJSG_SG_EEES6_PlJNSB_9not_fun_tINSB_10functional5actorINSM_9compositeIJNSM_27transparent_binary_operatorINSA_8equal_toIvEEEENSN_INSM_8argumentILj0EEEEENSM_5valueIxEEEEEEEEEEEE10hipError_tPvRmT3_T4_T5_T6_T7_T9_mT8_P12ihipStream_tbDpT10_ENKUlT_T0_E_clISt17integral_constantIbLb1EES1J_IbLb0EEEEDaS1F_S1G_EUlS1F_E_NS1_11comp_targetILNS1_3genE0ELNS1_11target_archE4294967295ELNS1_3gpuE0ELNS1_3repE0EEENS1_30default_config_static_selectorELNS0_4arch9wavefront6targetE0EEEvT1_.kd
    .uniform_work_group_size: 1
    .uses_dynamic_stack: false
    .vgpr_count:     0
    .vgpr_spill_count: 0
    .wavefront_size: 32
    .workgroup_processor_mode: 1
  - .args:
      - .offset:         0
        .size:           128
        .value_kind:     by_value
    .group_segment_fixed_size: 0
    .kernarg_segment_align: 8
    .kernarg_segment_size: 128
    .language:       OpenCL C
    .language_version:
      - 2
      - 0
    .max_flat_workgroup_size: 512
    .name:           _ZN7rocprim17ROCPRIM_400000_NS6detail17trampoline_kernelINS0_14default_configENS1_25partition_config_selectorILNS1_17partition_subalgoE6ExNS0_10empty_typeEbEEZZNS1_14partition_implILS5_6ELb0ES3_mN6thrust23THRUST_200600_302600_NS6detail15normal_iteratorINSA_10device_ptrIxEEEEPS6_SG_NS0_5tupleIJSF_S6_EEENSH_IJSG_SG_EEES6_PlJNSB_9not_fun_tINSB_10functional5actorINSM_9compositeIJNSM_27transparent_binary_operatorINSA_8equal_toIvEEEENSN_INSM_8argumentILj0EEEEENSM_5valueIxEEEEEEEEEEEE10hipError_tPvRmT3_T4_T5_T6_T7_T9_mT8_P12ihipStream_tbDpT10_ENKUlT_T0_E_clISt17integral_constantIbLb1EES1J_IbLb0EEEEDaS1F_S1G_EUlS1F_E_NS1_11comp_targetILNS1_3genE5ELNS1_11target_archE942ELNS1_3gpuE9ELNS1_3repE0EEENS1_30default_config_static_selectorELNS0_4arch9wavefront6targetE0EEEvT1_
    .private_segment_fixed_size: 0
    .sgpr_count:     0
    .sgpr_spill_count: 0
    .symbol:         _ZN7rocprim17ROCPRIM_400000_NS6detail17trampoline_kernelINS0_14default_configENS1_25partition_config_selectorILNS1_17partition_subalgoE6ExNS0_10empty_typeEbEEZZNS1_14partition_implILS5_6ELb0ES3_mN6thrust23THRUST_200600_302600_NS6detail15normal_iteratorINSA_10device_ptrIxEEEEPS6_SG_NS0_5tupleIJSF_S6_EEENSH_IJSG_SG_EEES6_PlJNSB_9not_fun_tINSB_10functional5actorINSM_9compositeIJNSM_27transparent_binary_operatorINSA_8equal_toIvEEEENSN_INSM_8argumentILj0EEEEENSM_5valueIxEEEEEEEEEEEE10hipError_tPvRmT3_T4_T5_T6_T7_T9_mT8_P12ihipStream_tbDpT10_ENKUlT_T0_E_clISt17integral_constantIbLb1EES1J_IbLb0EEEEDaS1F_S1G_EUlS1F_E_NS1_11comp_targetILNS1_3genE5ELNS1_11target_archE942ELNS1_3gpuE9ELNS1_3repE0EEENS1_30default_config_static_selectorELNS0_4arch9wavefront6targetE0EEEvT1_.kd
    .uniform_work_group_size: 1
    .uses_dynamic_stack: false
    .vgpr_count:     0
    .vgpr_spill_count: 0
    .wavefront_size: 32
    .workgroup_processor_mode: 1
  - .args:
      - .offset:         0
        .size:           128
        .value_kind:     by_value
    .group_segment_fixed_size: 0
    .kernarg_segment_align: 8
    .kernarg_segment_size: 128
    .language:       OpenCL C
    .language_version:
      - 2
      - 0
    .max_flat_workgroup_size: 512
    .name:           _ZN7rocprim17ROCPRIM_400000_NS6detail17trampoline_kernelINS0_14default_configENS1_25partition_config_selectorILNS1_17partition_subalgoE6ExNS0_10empty_typeEbEEZZNS1_14partition_implILS5_6ELb0ES3_mN6thrust23THRUST_200600_302600_NS6detail15normal_iteratorINSA_10device_ptrIxEEEEPS6_SG_NS0_5tupleIJSF_S6_EEENSH_IJSG_SG_EEES6_PlJNSB_9not_fun_tINSB_10functional5actorINSM_9compositeIJNSM_27transparent_binary_operatorINSA_8equal_toIvEEEENSN_INSM_8argumentILj0EEEEENSM_5valueIxEEEEEEEEEEEE10hipError_tPvRmT3_T4_T5_T6_T7_T9_mT8_P12ihipStream_tbDpT10_ENKUlT_T0_E_clISt17integral_constantIbLb1EES1J_IbLb0EEEEDaS1F_S1G_EUlS1F_E_NS1_11comp_targetILNS1_3genE4ELNS1_11target_archE910ELNS1_3gpuE8ELNS1_3repE0EEENS1_30default_config_static_selectorELNS0_4arch9wavefront6targetE0EEEvT1_
    .private_segment_fixed_size: 0
    .sgpr_count:     0
    .sgpr_spill_count: 0
    .symbol:         _ZN7rocprim17ROCPRIM_400000_NS6detail17trampoline_kernelINS0_14default_configENS1_25partition_config_selectorILNS1_17partition_subalgoE6ExNS0_10empty_typeEbEEZZNS1_14partition_implILS5_6ELb0ES3_mN6thrust23THRUST_200600_302600_NS6detail15normal_iteratorINSA_10device_ptrIxEEEEPS6_SG_NS0_5tupleIJSF_S6_EEENSH_IJSG_SG_EEES6_PlJNSB_9not_fun_tINSB_10functional5actorINSM_9compositeIJNSM_27transparent_binary_operatorINSA_8equal_toIvEEEENSN_INSM_8argumentILj0EEEEENSM_5valueIxEEEEEEEEEEEE10hipError_tPvRmT3_T4_T5_T6_T7_T9_mT8_P12ihipStream_tbDpT10_ENKUlT_T0_E_clISt17integral_constantIbLb1EES1J_IbLb0EEEEDaS1F_S1G_EUlS1F_E_NS1_11comp_targetILNS1_3genE4ELNS1_11target_archE910ELNS1_3gpuE8ELNS1_3repE0EEENS1_30default_config_static_selectorELNS0_4arch9wavefront6targetE0EEEvT1_.kd
    .uniform_work_group_size: 1
    .uses_dynamic_stack: false
    .vgpr_count:     0
    .vgpr_spill_count: 0
    .wavefront_size: 32
    .workgroup_processor_mode: 1
  - .args:
      - .offset:         0
        .size:           128
        .value_kind:     by_value
    .group_segment_fixed_size: 0
    .kernarg_segment_align: 8
    .kernarg_segment_size: 128
    .language:       OpenCL C
    .language_version:
      - 2
      - 0
    .max_flat_workgroup_size: 128
    .name:           _ZN7rocprim17ROCPRIM_400000_NS6detail17trampoline_kernelINS0_14default_configENS1_25partition_config_selectorILNS1_17partition_subalgoE6ExNS0_10empty_typeEbEEZZNS1_14partition_implILS5_6ELb0ES3_mN6thrust23THRUST_200600_302600_NS6detail15normal_iteratorINSA_10device_ptrIxEEEEPS6_SG_NS0_5tupleIJSF_S6_EEENSH_IJSG_SG_EEES6_PlJNSB_9not_fun_tINSB_10functional5actorINSM_9compositeIJNSM_27transparent_binary_operatorINSA_8equal_toIvEEEENSN_INSM_8argumentILj0EEEEENSM_5valueIxEEEEEEEEEEEE10hipError_tPvRmT3_T4_T5_T6_T7_T9_mT8_P12ihipStream_tbDpT10_ENKUlT_T0_E_clISt17integral_constantIbLb1EES1J_IbLb0EEEEDaS1F_S1G_EUlS1F_E_NS1_11comp_targetILNS1_3genE3ELNS1_11target_archE908ELNS1_3gpuE7ELNS1_3repE0EEENS1_30default_config_static_selectorELNS0_4arch9wavefront6targetE0EEEvT1_
    .private_segment_fixed_size: 0
    .sgpr_count:     0
    .sgpr_spill_count: 0
    .symbol:         _ZN7rocprim17ROCPRIM_400000_NS6detail17trampoline_kernelINS0_14default_configENS1_25partition_config_selectorILNS1_17partition_subalgoE6ExNS0_10empty_typeEbEEZZNS1_14partition_implILS5_6ELb0ES3_mN6thrust23THRUST_200600_302600_NS6detail15normal_iteratorINSA_10device_ptrIxEEEEPS6_SG_NS0_5tupleIJSF_S6_EEENSH_IJSG_SG_EEES6_PlJNSB_9not_fun_tINSB_10functional5actorINSM_9compositeIJNSM_27transparent_binary_operatorINSA_8equal_toIvEEEENSN_INSM_8argumentILj0EEEEENSM_5valueIxEEEEEEEEEEEE10hipError_tPvRmT3_T4_T5_T6_T7_T9_mT8_P12ihipStream_tbDpT10_ENKUlT_T0_E_clISt17integral_constantIbLb1EES1J_IbLb0EEEEDaS1F_S1G_EUlS1F_E_NS1_11comp_targetILNS1_3genE3ELNS1_11target_archE908ELNS1_3gpuE7ELNS1_3repE0EEENS1_30default_config_static_selectorELNS0_4arch9wavefront6targetE0EEEvT1_.kd
    .uniform_work_group_size: 1
    .uses_dynamic_stack: false
    .vgpr_count:     0
    .vgpr_spill_count: 0
    .wavefront_size: 32
    .workgroup_processor_mode: 1
  - .args:
      - .offset:         0
        .size:           128
        .value_kind:     by_value
    .group_segment_fixed_size: 0
    .kernarg_segment_align: 8
    .kernarg_segment_size: 128
    .language:       OpenCL C
    .language_version:
      - 2
      - 0
    .max_flat_workgroup_size: 256
    .name:           _ZN7rocprim17ROCPRIM_400000_NS6detail17trampoline_kernelINS0_14default_configENS1_25partition_config_selectorILNS1_17partition_subalgoE6ExNS0_10empty_typeEbEEZZNS1_14partition_implILS5_6ELb0ES3_mN6thrust23THRUST_200600_302600_NS6detail15normal_iteratorINSA_10device_ptrIxEEEEPS6_SG_NS0_5tupleIJSF_S6_EEENSH_IJSG_SG_EEES6_PlJNSB_9not_fun_tINSB_10functional5actorINSM_9compositeIJNSM_27transparent_binary_operatorINSA_8equal_toIvEEEENSN_INSM_8argumentILj0EEEEENSM_5valueIxEEEEEEEEEEEE10hipError_tPvRmT3_T4_T5_T6_T7_T9_mT8_P12ihipStream_tbDpT10_ENKUlT_T0_E_clISt17integral_constantIbLb1EES1J_IbLb0EEEEDaS1F_S1G_EUlS1F_E_NS1_11comp_targetILNS1_3genE2ELNS1_11target_archE906ELNS1_3gpuE6ELNS1_3repE0EEENS1_30default_config_static_selectorELNS0_4arch9wavefront6targetE0EEEvT1_
    .private_segment_fixed_size: 0
    .sgpr_count:     0
    .sgpr_spill_count: 0
    .symbol:         _ZN7rocprim17ROCPRIM_400000_NS6detail17trampoline_kernelINS0_14default_configENS1_25partition_config_selectorILNS1_17partition_subalgoE6ExNS0_10empty_typeEbEEZZNS1_14partition_implILS5_6ELb0ES3_mN6thrust23THRUST_200600_302600_NS6detail15normal_iteratorINSA_10device_ptrIxEEEEPS6_SG_NS0_5tupleIJSF_S6_EEENSH_IJSG_SG_EEES6_PlJNSB_9not_fun_tINSB_10functional5actorINSM_9compositeIJNSM_27transparent_binary_operatorINSA_8equal_toIvEEEENSN_INSM_8argumentILj0EEEEENSM_5valueIxEEEEEEEEEEEE10hipError_tPvRmT3_T4_T5_T6_T7_T9_mT8_P12ihipStream_tbDpT10_ENKUlT_T0_E_clISt17integral_constantIbLb1EES1J_IbLb0EEEEDaS1F_S1G_EUlS1F_E_NS1_11comp_targetILNS1_3genE2ELNS1_11target_archE906ELNS1_3gpuE6ELNS1_3repE0EEENS1_30default_config_static_selectorELNS0_4arch9wavefront6targetE0EEEvT1_.kd
    .uniform_work_group_size: 1
    .uses_dynamic_stack: false
    .vgpr_count:     0
    .vgpr_spill_count: 0
    .wavefront_size: 32
    .workgroup_processor_mode: 1
  - .args:
      - .offset:         0
        .size:           128
        .value_kind:     by_value
    .group_segment_fixed_size: 0
    .kernarg_segment_align: 8
    .kernarg_segment_size: 128
    .language:       OpenCL C
    .language_version:
      - 2
      - 0
    .max_flat_workgroup_size: 256
    .name:           _ZN7rocprim17ROCPRIM_400000_NS6detail17trampoline_kernelINS0_14default_configENS1_25partition_config_selectorILNS1_17partition_subalgoE6ExNS0_10empty_typeEbEEZZNS1_14partition_implILS5_6ELb0ES3_mN6thrust23THRUST_200600_302600_NS6detail15normal_iteratorINSA_10device_ptrIxEEEEPS6_SG_NS0_5tupleIJSF_S6_EEENSH_IJSG_SG_EEES6_PlJNSB_9not_fun_tINSB_10functional5actorINSM_9compositeIJNSM_27transparent_binary_operatorINSA_8equal_toIvEEEENSN_INSM_8argumentILj0EEEEENSM_5valueIxEEEEEEEEEEEE10hipError_tPvRmT3_T4_T5_T6_T7_T9_mT8_P12ihipStream_tbDpT10_ENKUlT_T0_E_clISt17integral_constantIbLb1EES1J_IbLb0EEEEDaS1F_S1G_EUlS1F_E_NS1_11comp_targetILNS1_3genE10ELNS1_11target_archE1200ELNS1_3gpuE4ELNS1_3repE0EEENS1_30default_config_static_selectorELNS0_4arch9wavefront6targetE0EEEvT1_
    .private_segment_fixed_size: 0
    .sgpr_count:     0
    .sgpr_spill_count: 0
    .symbol:         _ZN7rocprim17ROCPRIM_400000_NS6detail17trampoline_kernelINS0_14default_configENS1_25partition_config_selectorILNS1_17partition_subalgoE6ExNS0_10empty_typeEbEEZZNS1_14partition_implILS5_6ELb0ES3_mN6thrust23THRUST_200600_302600_NS6detail15normal_iteratorINSA_10device_ptrIxEEEEPS6_SG_NS0_5tupleIJSF_S6_EEENSH_IJSG_SG_EEES6_PlJNSB_9not_fun_tINSB_10functional5actorINSM_9compositeIJNSM_27transparent_binary_operatorINSA_8equal_toIvEEEENSN_INSM_8argumentILj0EEEEENSM_5valueIxEEEEEEEEEEEE10hipError_tPvRmT3_T4_T5_T6_T7_T9_mT8_P12ihipStream_tbDpT10_ENKUlT_T0_E_clISt17integral_constantIbLb1EES1J_IbLb0EEEEDaS1F_S1G_EUlS1F_E_NS1_11comp_targetILNS1_3genE10ELNS1_11target_archE1200ELNS1_3gpuE4ELNS1_3repE0EEENS1_30default_config_static_selectorELNS0_4arch9wavefront6targetE0EEEvT1_.kd
    .uniform_work_group_size: 1
    .uses_dynamic_stack: false
    .vgpr_count:     0
    .vgpr_spill_count: 0
    .wavefront_size: 32
    .workgroup_processor_mode: 1
  - .args:
      - .offset:         0
        .size:           128
        .value_kind:     by_value
    .group_segment_fixed_size: 0
    .kernarg_segment_align: 8
    .kernarg_segment_size: 128
    .language:       OpenCL C
    .language_version:
      - 2
      - 0
    .max_flat_workgroup_size: 384
    .name:           _ZN7rocprim17ROCPRIM_400000_NS6detail17trampoline_kernelINS0_14default_configENS1_25partition_config_selectorILNS1_17partition_subalgoE6ExNS0_10empty_typeEbEEZZNS1_14partition_implILS5_6ELb0ES3_mN6thrust23THRUST_200600_302600_NS6detail15normal_iteratorINSA_10device_ptrIxEEEEPS6_SG_NS0_5tupleIJSF_S6_EEENSH_IJSG_SG_EEES6_PlJNSB_9not_fun_tINSB_10functional5actorINSM_9compositeIJNSM_27transparent_binary_operatorINSA_8equal_toIvEEEENSN_INSM_8argumentILj0EEEEENSM_5valueIxEEEEEEEEEEEE10hipError_tPvRmT3_T4_T5_T6_T7_T9_mT8_P12ihipStream_tbDpT10_ENKUlT_T0_E_clISt17integral_constantIbLb1EES1J_IbLb0EEEEDaS1F_S1G_EUlS1F_E_NS1_11comp_targetILNS1_3genE9ELNS1_11target_archE1100ELNS1_3gpuE3ELNS1_3repE0EEENS1_30default_config_static_selectorELNS0_4arch9wavefront6targetE0EEEvT1_
    .private_segment_fixed_size: 0
    .sgpr_count:     0
    .sgpr_spill_count: 0
    .symbol:         _ZN7rocprim17ROCPRIM_400000_NS6detail17trampoline_kernelINS0_14default_configENS1_25partition_config_selectorILNS1_17partition_subalgoE6ExNS0_10empty_typeEbEEZZNS1_14partition_implILS5_6ELb0ES3_mN6thrust23THRUST_200600_302600_NS6detail15normal_iteratorINSA_10device_ptrIxEEEEPS6_SG_NS0_5tupleIJSF_S6_EEENSH_IJSG_SG_EEES6_PlJNSB_9not_fun_tINSB_10functional5actorINSM_9compositeIJNSM_27transparent_binary_operatorINSA_8equal_toIvEEEENSN_INSM_8argumentILj0EEEEENSM_5valueIxEEEEEEEEEEEE10hipError_tPvRmT3_T4_T5_T6_T7_T9_mT8_P12ihipStream_tbDpT10_ENKUlT_T0_E_clISt17integral_constantIbLb1EES1J_IbLb0EEEEDaS1F_S1G_EUlS1F_E_NS1_11comp_targetILNS1_3genE9ELNS1_11target_archE1100ELNS1_3gpuE3ELNS1_3repE0EEENS1_30default_config_static_selectorELNS0_4arch9wavefront6targetE0EEEvT1_.kd
    .uniform_work_group_size: 1
    .uses_dynamic_stack: false
    .vgpr_count:     0
    .vgpr_spill_count: 0
    .wavefront_size: 32
    .workgroup_processor_mode: 1
  - .args:
      - .offset:         0
        .size:           128
        .value_kind:     by_value
    .group_segment_fixed_size: 0
    .kernarg_segment_align: 8
    .kernarg_segment_size: 128
    .language:       OpenCL C
    .language_version:
      - 2
      - 0
    .max_flat_workgroup_size: 512
    .name:           _ZN7rocprim17ROCPRIM_400000_NS6detail17trampoline_kernelINS0_14default_configENS1_25partition_config_selectorILNS1_17partition_subalgoE6ExNS0_10empty_typeEbEEZZNS1_14partition_implILS5_6ELb0ES3_mN6thrust23THRUST_200600_302600_NS6detail15normal_iteratorINSA_10device_ptrIxEEEEPS6_SG_NS0_5tupleIJSF_S6_EEENSH_IJSG_SG_EEES6_PlJNSB_9not_fun_tINSB_10functional5actorINSM_9compositeIJNSM_27transparent_binary_operatorINSA_8equal_toIvEEEENSN_INSM_8argumentILj0EEEEENSM_5valueIxEEEEEEEEEEEE10hipError_tPvRmT3_T4_T5_T6_T7_T9_mT8_P12ihipStream_tbDpT10_ENKUlT_T0_E_clISt17integral_constantIbLb1EES1J_IbLb0EEEEDaS1F_S1G_EUlS1F_E_NS1_11comp_targetILNS1_3genE8ELNS1_11target_archE1030ELNS1_3gpuE2ELNS1_3repE0EEENS1_30default_config_static_selectorELNS0_4arch9wavefront6targetE0EEEvT1_
    .private_segment_fixed_size: 0
    .sgpr_count:     0
    .sgpr_spill_count: 0
    .symbol:         _ZN7rocprim17ROCPRIM_400000_NS6detail17trampoline_kernelINS0_14default_configENS1_25partition_config_selectorILNS1_17partition_subalgoE6ExNS0_10empty_typeEbEEZZNS1_14partition_implILS5_6ELb0ES3_mN6thrust23THRUST_200600_302600_NS6detail15normal_iteratorINSA_10device_ptrIxEEEEPS6_SG_NS0_5tupleIJSF_S6_EEENSH_IJSG_SG_EEES6_PlJNSB_9not_fun_tINSB_10functional5actorINSM_9compositeIJNSM_27transparent_binary_operatorINSA_8equal_toIvEEEENSN_INSM_8argumentILj0EEEEENSM_5valueIxEEEEEEEEEEEE10hipError_tPvRmT3_T4_T5_T6_T7_T9_mT8_P12ihipStream_tbDpT10_ENKUlT_T0_E_clISt17integral_constantIbLb1EES1J_IbLb0EEEEDaS1F_S1G_EUlS1F_E_NS1_11comp_targetILNS1_3genE8ELNS1_11target_archE1030ELNS1_3gpuE2ELNS1_3repE0EEENS1_30default_config_static_selectorELNS0_4arch9wavefront6targetE0EEEvT1_.kd
    .uniform_work_group_size: 1
    .uses_dynamic_stack: false
    .vgpr_count:     0
    .vgpr_spill_count: 0
    .wavefront_size: 32
    .workgroup_processor_mode: 1
  - .args:
      - .offset:         0
        .size:           136
        .value_kind:     by_value
    .group_segment_fixed_size: 0
    .kernarg_segment_align: 8
    .kernarg_segment_size: 136
    .language:       OpenCL C
    .language_version:
      - 2
      - 0
    .max_flat_workgroup_size: 128
    .name:           _ZN7rocprim17ROCPRIM_400000_NS6detail17trampoline_kernelINS0_14default_configENS1_25partition_config_selectorILNS1_17partition_subalgoE6ExNS0_10empty_typeEbEEZZNS1_14partition_implILS5_6ELb0ES3_mN6thrust23THRUST_200600_302600_NS6detail15normal_iteratorINSA_10device_ptrIxEEEEPS6_SG_NS0_5tupleIJSF_S6_EEENSH_IJSG_SG_EEES6_PlJNSB_9not_fun_tINSB_10functional5actorINSM_9compositeIJNSM_27transparent_binary_operatorINSA_8equal_toIvEEEENSN_INSM_8argumentILj0EEEEENSM_5valueIxEEEEEEEEEEEE10hipError_tPvRmT3_T4_T5_T6_T7_T9_mT8_P12ihipStream_tbDpT10_ENKUlT_T0_E_clISt17integral_constantIbLb0EES1J_IbLb1EEEEDaS1F_S1G_EUlS1F_E_NS1_11comp_targetILNS1_3genE0ELNS1_11target_archE4294967295ELNS1_3gpuE0ELNS1_3repE0EEENS1_30default_config_static_selectorELNS0_4arch9wavefront6targetE0EEEvT1_
    .private_segment_fixed_size: 0
    .sgpr_count:     0
    .sgpr_spill_count: 0
    .symbol:         _ZN7rocprim17ROCPRIM_400000_NS6detail17trampoline_kernelINS0_14default_configENS1_25partition_config_selectorILNS1_17partition_subalgoE6ExNS0_10empty_typeEbEEZZNS1_14partition_implILS5_6ELb0ES3_mN6thrust23THRUST_200600_302600_NS6detail15normal_iteratorINSA_10device_ptrIxEEEEPS6_SG_NS0_5tupleIJSF_S6_EEENSH_IJSG_SG_EEES6_PlJNSB_9not_fun_tINSB_10functional5actorINSM_9compositeIJNSM_27transparent_binary_operatorINSA_8equal_toIvEEEENSN_INSM_8argumentILj0EEEEENSM_5valueIxEEEEEEEEEEEE10hipError_tPvRmT3_T4_T5_T6_T7_T9_mT8_P12ihipStream_tbDpT10_ENKUlT_T0_E_clISt17integral_constantIbLb0EES1J_IbLb1EEEEDaS1F_S1G_EUlS1F_E_NS1_11comp_targetILNS1_3genE0ELNS1_11target_archE4294967295ELNS1_3gpuE0ELNS1_3repE0EEENS1_30default_config_static_selectorELNS0_4arch9wavefront6targetE0EEEvT1_.kd
    .uniform_work_group_size: 1
    .uses_dynamic_stack: false
    .vgpr_count:     0
    .vgpr_spill_count: 0
    .wavefront_size: 32
    .workgroup_processor_mode: 1
  - .args:
      - .offset:         0
        .size:           136
        .value_kind:     by_value
    .group_segment_fixed_size: 0
    .kernarg_segment_align: 8
    .kernarg_segment_size: 136
    .language:       OpenCL C
    .language_version:
      - 2
      - 0
    .max_flat_workgroup_size: 512
    .name:           _ZN7rocprim17ROCPRIM_400000_NS6detail17trampoline_kernelINS0_14default_configENS1_25partition_config_selectorILNS1_17partition_subalgoE6ExNS0_10empty_typeEbEEZZNS1_14partition_implILS5_6ELb0ES3_mN6thrust23THRUST_200600_302600_NS6detail15normal_iteratorINSA_10device_ptrIxEEEEPS6_SG_NS0_5tupleIJSF_S6_EEENSH_IJSG_SG_EEES6_PlJNSB_9not_fun_tINSB_10functional5actorINSM_9compositeIJNSM_27transparent_binary_operatorINSA_8equal_toIvEEEENSN_INSM_8argumentILj0EEEEENSM_5valueIxEEEEEEEEEEEE10hipError_tPvRmT3_T4_T5_T6_T7_T9_mT8_P12ihipStream_tbDpT10_ENKUlT_T0_E_clISt17integral_constantIbLb0EES1J_IbLb1EEEEDaS1F_S1G_EUlS1F_E_NS1_11comp_targetILNS1_3genE5ELNS1_11target_archE942ELNS1_3gpuE9ELNS1_3repE0EEENS1_30default_config_static_selectorELNS0_4arch9wavefront6targetE0EEEvT1_
    .private_segment_fixed_size: 0
    .sgpr_count:     0
    .sgpr_spill_count: 0
    .symbol:         _ZN7rocprim17ROCPRIM_400000_NS6detail17trampoline_kernelINS0_14default_configENS1_25partition_config_selectorILNS1_17partition_subalgoE6ExNS0_10empty_typeEbEEZZNS1_14partition_implILS5_6ELb0ES3_mN6thrust23THRUST_200600_302600_NS6detail15normal_iteratorINSA_10device_ptrIxEEEEPS6_SG_NS0_5tupleIJSF_S6_EEENSH_IJSG_SG_EEES6_PlJNSB_9not_fun_tINSB_10functional5actorINSM_9compositeIJNSM_27transparent_binary_operatorINSA_8equal_toIvEEEENSN_INSM_8argumentILj0EEEEENSM_5valueIxEEEEEEEEEEEE10hipError_tPvRmT3_T4_T5_T6_T7_T9_mT8_P12ihipStream_tbDpT10_ENKUlT_T0_E_clISt17integral_constantIbLb0EES1J_IbLb1EEEEDaS1F_S1G_EUlS1F_E_NS1_11comp_targetILNS1_3genE5ELNS1_11target_archE942ELNS1_3gpuE9ELNS1_3repE0EEENS1_30default_config_static_selectorELNS0_4arch9wavefront6targetE0EEEvT1_.kd
    .uniform_work_group_size: 1
    .uses_dynamic_stack: false
    .vgpr_count:     0
    .vgpr_spill_count: 0
    .wavefront_size: 32
    .workgroup_processor_mode: 1
  - .args:
      - .offset:         0
        .size:           136
        .value_kind:     by_value
    .group_segment_fixed_size: 0
    .kernarg_segment_align: 8
    .kernarg_segment_size: 136
    .language:       OpenCL C
    .language_version:
      - 2
      - 0
    .max_flat_workgroup_size: 512
    .name:           _ZN7rocprim17ROCPRIM_400000_NS6detail17trampoline_kernelINS0_14default_configENS1_25partition_config_selectorILNS1_17partition_subalgoE6ExNS0_10empty_typeEbEEZZNS1_14partition_implILS5_6ELb0ES3_mN6thrust23THRUST_200600_302600_NS6detail15normal_iteratorINSA_10device_ptrIxEEEEPS6_SG_NS0_5tupleIJSF_S6_EEENSH_IJSG_SG_EEES6_PlJNSB_9not_fun_tINSB_10functional5actorINSM_9compositeIJNSM_27transparent_binary_operatorINSA_8equal_toIvEEEENSN_INSM_8argumentILj0EEEEENSM_5valueIxEEEEEEEEEEEE10hipError_tPvRmT3_T4_T5_T6_T7_T9_mT8_P12ihipStream_tbDpT10_ENKUlT_T0_E_clISt17integral_constantIbLb0EES1J_IbLb1EEEEDaS1F_S1G_EUlS1F_E_NS1_11comp_targetILNS1_3genE4ELNS1_11target_archE910ELNS1_3gpuE8ELNS1_3repE0EEENS1_30default_config_static_selectorELNS0_4arch9wavefront6targetE0EEEvT1_
    .private_segment_fixed_size: 0
    .sgpr_count:     0
    .sgpr_spill_count: 0
    .symbol:         _ZN7rocprim17ROCPRIM_400000_NS6detail17trampoline_kernelINS0_14default_configENS1_25partition_config_selectorILNS1_17partition_subalgoE6ExNS0_10empty_typeEbEEZZNS1_14partition_implILS5_6ELb0ES3_mN6thrust23THRUST_200600_302600_NS6detail15normal_iteratorINSA_10device_ptrIxEEEEPS6_SG_NS0_5tupleIJSF_S6_EEENSH_IJSG_SG_EEES6_PlJNSB_9not_fun_tINSB_10functional5actorINSM_9compositeIJNSM_27transparent_binary_operatorINSA_8equal_toIvEEEENSN_INSM_8argumentILj0EEEEENSM_5valueIxEEEEEEEEEEEE10hipError_tPvRmT3_T4_T5_T6_T7_T9_mT8_P12ihipStream_tbDpT10_ENKUlT_T0_E_clISt17integral_constantIbLb0EES1J_IbLb1EEEEDaS1F_S1G_EUlS1F_E_NS1_11comp_targetILNS1_3genE4ELNS1_11target_archE910ELNS1_3gpuE8ELNS1_3repE0EEENS1_30default_config_static_selectorELNS0_4arch9wavefront6targetE0EEEvT1_.kd
    .uniform_work_group_size: 1
    .uses_dynamic_stack: false
    .vgpr_count:     0
    .vgpr_spill_count: 0
    .wavefront_size: 32
    .workgroup_processor_mode: 1
  - .args:
      - .offset:         0
        .size:           136
        .value_kind:     by_value
    .group_segment_fixed_size: 0
    .kernarg_segment_align: 8
    .kernarg_segment_size: 136
    .language:       OpenCL C
    .language_version:
      - 2
      - 0
    .max_flat_workgroup_size: 128
    .name:           _ZN7rocprim17ROCPRIM_400000_NS6detail17trampoline_kernelINS0_14default_configENS1_25partition_config_selectorILNS1_17partition_subalgoE6ExNS0_10empty_typeEbEEZZNS1_14partition_implILS5_6ELb0ES3_mN6thrust23THRUST_200600_302600_NS6detail15normal_iteratorINSA_10device_ptrIxEEEEPS6_SG_NS0_5tupleIJSF_S6_EEENSH_IJSG_SG_EEES6_PlJNSB_9not_fun_tINSB_10functional5actorINSM_9compositeIJNSM_27transparent_binary_operatorINSA_8equal_toIvEEEENSN_INSM_8argumentILj0EEEEENSM_5valueIxEEEEEEEEEEEE10hipError_tPvRmT3_T4_T5_T6_T7_T9_mT8_P12ihipStream_tbDpT10_ENKUlT_T0_E_clISt17integral_constantIbLb0EES1J_IbLb1EEEEDaS1F_S1G_EUlS1F_E_NS1_11comp_targetILNS1_3genE3ELNS1_11target_archE908ELNS1_3gpuE7ELNS1_3repE0EEENS1_30default_config_static_selectorELNS0_4arch9wavefront6targetE0EEEvT1_
    .private_segment_fixed_size: 0
    .sgpr_count:     0
    .sgpr_spill_count: 0
    .symbol:         _ZN7rocprim17ROCPRIM_400000_NS6detail17trampoline_kernelINS0_14default_configENS1_25partition_config_selectorILNS1_17partition_subalgoE6ExNS0_10empty_typeEbEEZZNS1_14partition_implILS5_6ELb0ES3_mN6thrust23THRUST_200600_302600_NS6detail15normal_iteratorINSA_10device_ptrIxEEEEPS6_SG_NS0_5tupleIJSF_S6_EEENSH_IJSG_SG_EEES6_PlJNSB_9not_fun_tINSB_10functional5actorINSM_9compositeIJNSM_27transparent_binary_operatorINSA_8equal_toIvEEEENSN_INSM_8argumentILj0EEEEENSM_5valueIxEEEEEEEEEEEE10hipError_tPvRmT3_T4_T5_T6_T7_T9_mT8_P12ihipStream_tbDpT10_ENKUlT_T0_E_clISt17integral_constantIbLb0EES1J_IbLb1EEEEDaS1F_S1G_EUlS1F_E_NS1_11comp_targetILNS1_3genE3ELNS1_11target_archE908ELNS1_3gpuE7ELNS1_3repE0EEENS1_30default_config_static_selectorELNS0_4arch9wavefront6targetE0EEEvT1_.kd
    .uniform_work_group_size: 1
    .uses_dynamic_stack: false
    .vgpr_count:     0
    .vgpr_spill_count: 0
    .wavefront_size: 32
    .workgroup_processor_mode: 1
  - .args:
      - .offset:         0
        .size:           136
        .value_kind:     by_value
    .group_segment_fixed_size: 0
    .kernarg_segment_align: 8
    .kernarg_segment_size: 136
    .language:       OpenCL C
    .language_version:
      - 2
      - 0
    .max_flat_workgroup_size: 256
    .name:           _ZN7rocprim17ROCPRIM_400000_NS6detail17trampoline_kernelINS0_14default_configENS1_25partition_config_selectorILNS1_17partition_subalgoE6ExNS0_10empty_typeEbEEZZNS1_14partition_implILS5_6ELb0ES3_mN6thrust23THRUST_200600_302600_NS6detail15normal_iteratorINSA_10device_ptrIxEEEEPS6_SG_NS0_5tupleIJSF_S6_EEENSH_IJSG_SG_EEES6_PlJNSB_9not_fun_tINSB_10functional5actorINSM_9compositeIJNSM_27transparent_binary_operatorINSA_8equal_toIvEEEENSN_INSM_8argumentILj0EEEEENSM_5valueIxEEEEEEEEEEEE10hipError_tPvRmT3_T4_T5_T6_T7_T9_mT8_P12ihipStream_tbDpT10_ENKUlT_T0_E_clISt17integral_constantIbLb0EES1J_IbLb1EEEEDaS1F_S1G_EUlS1F_E_NS1_11comp_targetILNS1_3genE2ELNS1_11target_archE906ELNS1_3gpuE6ELNS1_3repE0EEENS1_30default_config_static_selectorELNS0_4arch9wavefront6targetE0EEEvT1_
    .private_segment_fixed_size: 0
    .sgpr_count:     0
    .sgpr_spill_count: 0
    .symbol:         _ZN7rocprim17ROCPRIM_400000_NS6detail17trampoline_kernelINS0_14default_configENS1_25partition_config_selectorILNS1_17partition_subalgoE6ExNS0_10empty_typeEbEEZZNS1_14partition_implILS5_6ELb0ES3_mN6thrust23THRUST_200600_302600_NS6detail15normal_iteratorINSA_10device_ptrIxEEEEPS6_SG_NS0_5tupleIJSF_S6_EEENSH_IJSG_SG_EEES6_PlJNSB_9not_fun_tINSB_10functional5actorINSM_9compositeIJNSM_27transparent_binary_operatorINSA_8equal_toIvEEEENSN_INSM_8argumentILj0EEEEENSM_5valueIxEEEEEEEEEEEE10hipError_tPvRmT3_T4_T5_T6_T7_T9_mT8_P12ihipStream_tbDpT10_ENKUlT_T0_E_clISt17integral_constantIbLb0EES1J_IbLb1EEEEDaS1F_S1G_EUlS1F_E_NS1_11comp_targetILNS1_3genE2ELNS1_11target_archE906ELNS1_3gpuE6ELNS1_3repE0EEENS1_30default_config_static_selectorELNS0_4arch9wavefront6targetE0EEEvT1_.kd
    .uniform_work_group_size: 1
    .uses_dynamic_stack: false
    .vgpr_count:     0
    .vgpr_spill_count: 0
    .wavefront_size: 32
    .workgroup_processor_mode: 1
  - .args:
      - .offset:         0
        .size:           136
        .value_kind:     by_value
    .group_segment_fixed_size: 8464
    .kernarg_segment_align: 8
    .kernarg_segment_size: 136
    .language:       OpenCL C
    .language_version:
      - 2
      - 0
    .max_flat_workgroup_size: 256
    .name:           _ZN7rocprim17ROCPRIM_400000_NS6detail17trampoline_kernelINS0_14default_configENS1_25partition_config_selectorILNS1_17partition_subalgoE6ExNS0_10empty_typeEbEEZZNS1_14partition_implILS5_6ELb0ES3_mN6thrust23THRUST_200600_302600_NS6detail15normal_iteratorINSA_10device_ptrIxEEEEPS6_SG_NS0_5tupleIJSF_S6_EEENSH_IJSG_SG_EEES6_PlJNSB_9not_fun_tINSB_10functional5actorINSM_9compositeIJNSM_27transparent_binary_operatorINSA_8equal_toIvEEEENSN_INSM_8argumentILj0EEEEENSM_5valueIxEEEEEEEEEEEE10hipError_tPvRmT3_T4_T5_T6_T7_T9_mT8_P12ihipStream_tbDpT10_ENKUlT_T0_E_clISt17integral_constantIbLb0EES1J_IbLb1EEEEDaS1F_S1G_EUlS1F_E_NS1_11comp_targetILNS1_3genE10ELNS1_11target_archE1200ELNS1_3gpuE4ELNS1_3repE0EEENS1_30default_config_static_selectorELNS0_4arch9wavefront6targetE0EEEvT1_
    .private_segment_fixed_size: 0
    .sgpr_count:     26
    .sgpr_spill_count: 0
    .symbol:         _ZN7rocprim17ROCPRIM_400000_NS6detail17trampoline_kernelINS0_14default_configENS1_25partition_config_selectorILNS1_17partition_subalgoE6ExNS0_10empty_typeEbEEZZNS1_14partition_implILS5_6ELb0ES3_mN6thrust23THRUST_200600_302600_NS6detail15normal_iteratorINSA_10device_ptrIxEEEEPS6_SG_NS0_5tupleIJSF_S6_EEENSH_IJSG_SG_EEES6_PlJNSB_9not_fun_tINSB_10functional5actorINSM_9compositeIJNSM_27transparent_binary_operatorINSA_8equal_toIvEEEENSN_INSM_8argumentILj0EEEEENSM_5valueIxEEEEEEEEEEEE10hipError_tPvRmT3_T4_T5_T6_T7_T9_mT8_P12ihipStream_tbDpT10_ENKUlT_T0_E_clISt17integral_constantIbLb0EES1J_IbLb1EEEEDaS1F_S1G_EUlS1F_E_NS1_11comp_targetILNS1_3genE10ELNS1_11target_archE1200ELNS1_3gpuE4ELNS1_3repE0EEENS1_30default_config_static_selectorELNS0_4arch9wavefront6targetE0EEEvT1_.kd
    .uniform_work_group_size: 1
    .uses_dynamic_stack: false
    .vgpr_count:     48
    .vgpr_spill_count: 0
    .wavefront_size: 32
    .workgroup_processor_mode: 1
  - .args:
      - .offset:         0
        .size:           136
        .value_kind:     by_value
    .group_segment_fixed_size: 0
    .kernarg_segment_align: 8
    .kernarg_segment_size: 136
    .language:       OpenCL C
    .language_version:
      - 2
      - 0
    .max_flat_workgroup_size: 384
    .name:           _ZN7rocprim17ROCPRIM_400000_NS6detail17trampoline_kernelINS0_14default_configENS1_25partition_config_selectorILNS1_17partition_subalgoE6ExNS0_10empty_typeEbEEZZNS1_14partition_implILS5_6ELb0ES3_mN6thrust23THRUST_200600_302600_NS6detail15normal_iteratorINSA_10device_ptrIxEEEEPS6_SG_NS0_5tupleIJSF_S6_EEENSH_IJSG_SG_EEES6_PlJNSB_9not_fun_tINSB_10functional5actorINSM_9compositeIJNSM_27transparent_binary_operatorINSA_8equal_toIvEEEENSN_INSM_8argumentILj0EEEEENSM_5valueIxEEEEEEEEEEEE10hipError_tPvRmT3_T4_T5_T6_T7_T9_mT8_P12ihipStream_tbDpT10_ENKUlT_T0_E_clISt17integral_constantIbLb0EES1J_IbLb1EEEEDaS1F_S1G_EUlS1F_E_NS1_11comp_targetILNS1_3genE9ELNS1_11target_archE1100ELNS1_3gpuE3ELNS1_3repE0EEENS1_30default_config_static_selectorELNS0_4arch9wavefront6targetE0EEEvT1_
    .private_segment_fixed_size: 0
    .sgpr_count:     0
    .sgpr_spill_count: 0
    .symbol:         _ZN7rocprim17ROCPRIM_400000_NS6detail17trampoline_kernelINS0_14default_configENS1_25partition_config_selectorILNS1_17partition_subalgoE6ExNS0_10empty_typeEbEEZZNS1_14partition_implILS5_6ELb0ES3_mN6thrust23THRUST_200600_302600_NS6detail15normal_iteratorINSA_10device_ptrIxEEEEPS6_SG_NS0_5tupleIJSF_S6_EEENSH_IJSG_SG_EEES6_PlJNSB_9not_fun_tINSB_10functional5actorINSM_9compositeIJNSM_27transparent_binary_operatorINSA_8equal_toIvEEEENSN_INSM_8argumentILj0EEEEENSM_5valueIxEEEEEEEEEEEE10hipError_tPvRmT3_T4_T5_T6_T7_T9_mT8_P12ihipStream_tbDpT10_ENKUlT_T0_E_clISt17integral_constantIbLb0EES1J_IbLb1EEEEDaS1F_S1G_EUlS1F_E_NS1_11comp_targetILNS1_3genE9ELNS1_11target_archE1100ELNS1_3gpuE3ELNS1_3repE0EEENS1_30default_config_static_selectorELNS0_4arch9wavefront6targetE0EEEvT1_.kd
    .uniform_work_group_size: 1
    .uses_dynamic_stack: false
    .vgpr_count:     0
    .vgpr_spill_count: 0
    .wavefront_size: 32
    .workgroup_processor_mode: 1
  - .args:
      - .offset:         0
        .size:           136
        .value_kind:     by_value
    .group_segment_fixed_size: 0
    .kernarg_segment_align: 8
    .kernarg_segment_size: 136
    .language:       OpenCL C
    .language_version:
      - 2
      - 0
    .max_flat_workgroup_size: 512
    .name:           _ZN7rocprim17ROCPRIM_400000_NS6detail17trampoline_kernelINS0_14default_configENS1_25partition_config_selectorILNS1_17partition_subalgoE6ExNS0_10empty_typeEbEEZZNS1_14partition_implILS5_6ELb0ES3_mN6thrust23THRUST_200600_302600_NS6detail15normal_iteratorINSA_10device_ptrIxEEEEPS6_SG_NS0_5tupleIJSF_S6_EEENSH_IJSG_SG_EEES6_PlJNSB_9not_fun_tINSB_10functional5actorINSM_9compositeIJNSM_27transparent_binary_operatorINSA_8equal_toIvEEEENSN_INSM_8argumentILj0EEEEENSM_5valueIxEEEEEEEEEEEE10hipError_tPvRmT3_T4_T5_T6_T7_T9_mT8_P12ihipStream_tbDpT10_ENKUlT_T0_E_clISt17integral_constantIbLb0EES1J_IbLb1EEEEDaS1F_S1G_EUlS1F_E_NS1_11comp_targetILNS1_3genE8ELNS1_11target_archE1030ELNS1_3gpuE2ELNS1_3repE0EEENS1_30default_config_static_selectorELNS0_4arch9wavefront6targetE0EEEvT1_
    .private_segment_fixed_size: 0
    .sgpr_count:     0
    .sgpr_spill_count: 0
    .symbol:         _ZN7rocprim17ROCPRIM_400000_NS6detail17trampoline_kernelINS0_14default_configENS1_25partition_config_selectorILNS1_17partition_subalgoE6ExNS0_10empty_typeEbEEZZNS1_14partition_implILS5_6ELb0ES3_mN6thrust23THRUST_200600_302600_NS6detail15normal_iteratorINSA_10device_ptrIxEEEEPS6_SG_NS0_5tupleIJSF_S6_EEENSH_IJSG_SG_EEES6_PlJNSB_9not_fun_tINSB_10functional5actorINSM_9compositeIJNSM_27transparent_binary_operatorINSA_8equal_toIvEEEENSN_INSM_8argumentILj0EEEEENSM_5valueIxEEEEEEEEEEEE10hipError_tPvRmT3_T4_T5_T6_T7_T9_mT8_P12ihipStream_tbDpT10_ENKUlT_T0_E_clISt17integral_constantIbLb0EES1J_IbLb1EEEEDaS1F_S1G_EUlS1F_E_NS1_11comp_targetILNS1_3genE8ELNS1_11target_archE1030ELNS1_3gpuE2ELNS1_3repE0EEENS1_30default_config_static_selectorELNS0_4arch9wavefront6targetE0EEEvT1_.kd
    .uniform_work_group_size: 1
    .uses_dynamic_stack: false
    .vgpr_count:     0
    .vgpr_spill_count: 0
    .wavefront_size: 32
    .workgroup_processor_mode: 1
  - .args:
      - .offset:         0
        .size:           120
        .value_kind:     by_value
    .group_segment_fixed_size: 0
    .kernarg_segment_align: 8
    .kernarg_segment_size: 120
    .language:       OpenCL C
    .language_version:
      - 2
      - 0
    .max_flat_workgroup_size: 256
    .name:           _ZN7rocprim17ROCPRIM_400000_NS6detail17trampoline_kernelINS0_14default_configENS1_25partition_config_selectorILNS1_17partition_subalgoE6EiNS0_10empty_typeEbEEZZNS1_14partition_implILS5_6ELb0ES3_mN6thrust23THRUST_200600_302600_NS6detail15normal_iteratorINSA_10device_ptrIiEEEEPS6_SG_NS0_5tupleIJSF_S6_EEENSH_IJSG_SG_EEES6_PlJNSB_9not_fun_tINSB_10functional5actorINSM_9compositeIJNSM_27transparent_binary_operatorINSA_8equal_toIvEEEENSN_INSM_8argumentILj0EEEEENSM_5valueIiEEEEEEEEEEEE10hipError_tPvRmT3_T4_T5_T6_T7_T9_mT8_P12ihipStream_tbDpT10_ENKUlT_T0_E_clISt17integral_constantIbLb0EES1K_EEDaS1F_S1G_EUlS1F_E_NS1_11comp_targetILNS1_3genE0ELNS1_11target_archE4294967295ELNS1_3gpuE0ELNS1_3repE0EEENS1_30default_config_static_selectorELNS0_4arch9wavefront6targetE0EEEvT1_
    .private_segment_fixed_size: 0
    .sgpr_count:     0
    .sgpr_spill_count: 0
    .symbol:         _ZN7rocprim17ROCPRIM_400000_NS6detail17trampoline_kernelINS0_14default_configENS1_25partition_config_selectorILNS1_17partition_subalgoE6EiNS0_10empty_typeEbEEZZNS1_14partition_implILS5_6ELb0ES3_mN6thrust23THRUST_200600_302600_NS6detail15normal_iteratorINSA_10device_ptrIiEEEEPS6_SG_NS0_5tupleIJSF_S6_EEENSH_IJSG_SG_EEES6_PlJNSB_9not_fun_tINSB_10functional5actorINSM_9compositeIJNSM_27transparent_binary_operatorINSA_8equal_toIvEEEENSN_INSM_8argumentILj0EEEEENSM_5valueIiEEEEEEEEEEEE10hipError_tPvRmT3_T4_T5_T6_T7_T9_mT8_P12ihipStream_tbDpT10_ENKUlT_T0_E_clISt17integral_constantIbLb0EES1K_EEDaS1F_S1G_EUlS1F_E_NS1_11comp_targetILNS1_3genE0ELNS1_11target_archE4294967295ELNS1_3gpuE0ELNS1_3repE0EEENS1_30default_config_static_selectorELNS0_4arch9wavefront6targetE0EEEvT1_.kd
    .uniform_work_group_size: 1
    .uses_dynamic_stack: false
    .vgpr_count:     0
    .vgpr_spill_count: 0
    .wavefront_size: 32
    .workgroup_processor_mode: 1
  - .args:
      - .offset:         0
        .size:           120
        .value_kind:     by_value
    .group_segment_fixed_size: 0
    .kernarg_segment_align: 8
    .kernarg_segment_size: 120
    .language:       OpenCL C
    .language_version:
      - 2
      - 0
    .max_flat_workgroup_size: 512
    .name:           _ZN7rocprim17ROCPRIM_400000_NS6detail17trampoline_kernelINS0_14default_configENS1_25partition_config_selectorILNS1_17partition_subalgoE6EiNS0_10empty_typeEbEEZZNS1_14partition_implILS5_6ELb0ES3_mN6thrust23THRUST_200600_302600_NS6detail15normal_iteratorINSA_10device_ptrIiEEEEPS6_SG_NS0_5tupleIJSF_S6_EEENSH_IJSG_SG_EEES6_PlJNSB_9not_fun_tINSB_10functional5actorINSM_9compositeIJNSM_27transparent_binary_operatorINSA_8equal_toIvEEEENSN_INSM_8argumentILj0EEEEENSM_5valueIiEEEEEEEEEEEE10hipError_tPvRmT3_T4_T5_T6_T7_T9_mT8_P12ihipStream_tbDpT10_ENKUlT_T0_E_clISt17integral_constantIbLb0EES1K_EEDaS1F_S1G_EUlS1F_E_NS1_11comp_targetILNS1_3genE5ELNS1_11target_archE942ELNS1_3gpuE9ELNS1_3repE0EEENS1_30default_config_static_selectorELNS0_4arch9wavefront6targetE0EEEvT1_
    .private_segment_fixed_size: 0
    .sgpr_count:     0
    .sgpr_spill_count: 0
    .symbol:         _ZN7rocprim17ROCPRIM_400000_NS6detail17trampoline_kernelINS0_14default_configENS1_25partition_config_selectorILNS1_17partition_subalgoE6EiNS0_10empty_typeEbEEZZNS1_14partition_implILS5_6ELb0ES3_mN6thrust23THRUST_200600_302600_NS6detail15normal_iteratorINSA_10device_ptrIiEEEEPS6_SG_NS0_5tupleIJSF_S6_EEENSH_IJSG_SG_EEES6_PlJNSB_9not_fun_tINSB_10functional5actorINSM_9compositeIJNSM_27transparent_binary_operatorINSA_8equal_toIvEEEENSN_INSM_8argumentILj0EEEEENSM_5valueIiEEEEEEEEEEEE10hipError_tPvRmT3_T4_T5_T6_T7_T9_mT8_P12ihipStream_tbDpT10_ENKUlT_T0_E_clISt17integral_constantIbLb0EES1K_EEDaS1F_S1G_EUlS1F_E_NS1_11comp_targetILNS1_3genE5ELNS1_11target_archE942ELNS1_3gpuE9ELNS1_3repE0EEENS1_30default_config_static_selectorELNS0_4arch9wavefront6targetE0EEEvT1_.kd
    .uniform_work_group_size: 1
    .uses_dynamic_stack: false
    .vgpr_count:     0
    .vgpr_spill_count: 0
    .wavefront_size: 32
    .workgroup_processor_mode: 1
  - .args:
      - .offset:         0
        .size:           120
        .value_kind:     by_value
    .group_segment_fixed_size: 0
    .kernarg_segment_align: 8
    .kernarg_segment_size: 120
    .language:       OpenCL C
    .language_version:
      - 2
      - 0
    .max_flat_workgroup_size: 512
    .name:           _ZN7rocprim17ROCPRIM_400000_NS6detail17trampoline_kernelINS0_14default_configENS1_25partition_config_selectorILNS1_17partition_subalgoE6EiNS0_10empty_typeEbEEZZNS1_14partition_implILS5_6ELb0ES3_mN6thrust23THRUST_200600_302600_NS6detail15normal_iteratorINSA_10device_ptrIiEEEEPS6_SG_NS0_5tupleIJSF_S6_EEENSH_IJSG_SG_EEES6_PlJNSB_9not_fun_tINSB_10functional5actorINSM_9compositeIJNSM_27transparent_binary_operatorINSA_8equal_toIvEEEENSN_INSM_8argumentILj0EEEEENSM_5valueIiEEEEEEEEEEEE10hipError_tPvRmT3_T4_T5_T6_T7_T9_mT8_P12ihipStream_tbDpT10_ENKUlT_T0_E_clISt17integral_constantIbLb0EES1K_EEDaS1F_S1G_EUlS1F_E_NS1_11comp_targetILNS1_3genE4ELNS1_11target_archE910ELNS1_3gpuE8ELNS1_3repE0EEENS1_30default_config_static_selectorELNS0_4arch9wavefront6targetE0EEEvT1_
    .private_segment_fixed_size: 0
    .sgpr_count:     0
    .sgpr_spill_count: 0
    .symbol:         _ZN7rocprim17ROCPRIM_400000_NS6detail17trampoline_kernelINS0_14default_configENS1_25partition_config_selectorILNS1_17partition_subalgoE6EiNS0_10empty_typeEbEEZZNS1_14partition_implILS5_6ELb0ES3_mN6thrust23THRUST_200600_302600_NS6detail15normal_iteratorINSA_10device_ptrIiEEEEPS6_SG_NS0_5tupleIJSF_S6_EEENSH_IJSG_SG_EEES6_PlJNSB_9not_fun_tINSB_10functional5actorINSM_9compositeIJNSM_27transparent_binary_operatorINSA_8equal_toIvEEEENSN_INSM_8argumentILj0EEEEENSM_5valueIiEEEEEEEEEEEE10hipError_tPvRmT3_T4_T5_T6_T7_T9_mT8_P12ihipStream_tbDpT10_ENKUlT_T0_E_clISt17integral_constantIbLb0EES1K_EEDaS1F_S1G_EUlS1F_E_NS1_11comp_targetILNS1_3genE4ELNS1_11target_archE910ELNS1_3gpuE8ELNS1_3repE0EEENS1_30default_config_static_selectorELNS0_4arch9wavefront6targetE0EEEvT1_.kd
    .uniform_work_group_size: 1
    .uses_dynamic_stack: false
    .vgpr_count:     0
    .vgpr_spill_count: 0
    .wavefront_size: 32
    .workgroup_processor_mode: 1
  - .args:
      - .offset:         0
        .size:           120
        .value_kind:     by_value
    .group_segment_fixed_size: 0
    .kernarg_segment_align: 8
    .kernarg_segment_size: 120
    .language:       OpenCL C
    .language_version:
      - 2
      - 0
    .max_flat_workgroup_size: 256
    .name:           _ZN7rocprim17ROCPRIM_400000_NS6detail17trampoline_kernelINS0_14default_configENS1_25partition_config_selectorILNS1_17partition_subalgoE6EiNS0_10empty_typeEbEEZZNS1_14partition_implILS5_6ELb0ES3_mN6thrust23THRUST_200600_302600_NS6detail15normal_iteratorINSA_10device_ptrIiEEEEPS6_SG_NS0_5tupleIJSF_S6_EEENSH_IJSG_SG_EEES6_PlJNSB_9not_fun_tINSB_10functional5actorINSM_9compositeIJNSM_27transparent_binary_operatorINSA_8equal_toIvEEEENSN_INSM_8argumentILj0EEEEENSM_5valueIiEEEEEEEEEEEE10hipError_tPvRmT3_T4_T5_T6_T7_T9_mT8_P12ihipStream_tbDpT10_ENKUlT_T0_E_clISt17integral_constantIbLb0EES1K_EEDaS1F_S1G_EUlS1F_E_NS1_11comp_targetILNS1_3genE3ELNS1_11target_archE908ELNS1_3gpuE7ELNS1_3repE0EEENS1_30default_config_static_selectorELNS0_4arch9wavefront6targetE0EEEvT1_
    .private_segment_fixed_size: 0
    .sgpr_count:     0
    .sgpr_spill_count: 0
    .symbol:         _ZN7rocprim17ROCPRIM_400000_NS6detail17trampoline_kernelINS0_14default_configENS1_25partition_config_selectorILNS1_17partition_subalgoE6EiNS0_10empty_typeEbEEZZNS1_14partition_implILS5_6ELb0ES3_mN6thrust23THRUST_200600_302600_NS6detail15normal_iteratorINSA_10device_ptrIiEEEEPS6_SG_NS0_5tupleIJSF_S6_EEENSH_IJSG_SG_EEES6_PlJNSB_9not_fun_tINSB_10functional5actorINSM_9compositeIJNSM_27transparent_binary_operatorINSA_8equal_toIvEEEENSN_INSM_8argumentILj0EEEEENSM_5valueIiEEEEEEEEEEEE10hipError_tPvRmT3_T4_T5_T6_T7_T9_mT8_P12ihipStream_tbDpT10_ENKUlT_T0_E_clISt17integral_constantIbLb0EES1K_EEDaS1F_S1G_EUlS1F_E_NS1_11comp_targetILNS1_3genE3ELNS1_11target_archE908ELNS1_3gpuE7ELNS1_3repE0EEENS1_30default_config_static_selectorELNS0_4arch9wavefront6targetE0EEEvT1_.kd
    .uniform_work_group_size: 1
    .uses_dynamic_stack: false
    .vgpr_count:     0
    .vgpr_spill_count: 0
    .wavefront_size: 32
    .workgroup_processor_mode: 1
  - .args:
      - .offset:         0
        .size:           120
        .value_kind:     by_value
    .group_segment_fixed_size: 0
    .kernarg_segment_align: 8
    .kernarg_segment_size: 120
    .language:       OpenCL C
    .language_version:
      - 2
      - 0
    .max_flat_workgroup_size: 192
    .name:           _ZN7rocprim17ROCPRIM_400000_NS6detail17trampoline_kernelINS0_14default_configENS1_25partition_config_selectorILNS1_17partition_subalgoE6EiNS0_10empty_typeEbEEZZNS1_14partition_implILS5_6ELb0ES3_mN6thrust23THRUST_200600_302600_NS6detail15normal_iteratorINSA_10device_ptrIiEEEEPS6_SG_NS0_5tupleIJSF_S6_EEENSH_IJSG_SG_EEES6_PlJNSB_9not_fun_tINSB_10functional5actorINSM_9compositeIJNSM_27transparent_binary_operatorINSA_8equal_toIvEEEENSN_INSM_8argumentILj0EEEEENSM_5valueIiEEEEEEEEEEEE10hipError_tPvRmT3_T4_T5_T6_T7_T9_mT8_P12ihipStream_tbDpT10_ENKUlT_T0_E_clISt17integral_constantIbLb0EES1K_EEDaS1F_S1G_EUlS1F_E_NS1_11comp_targetILNS1_3genE2ELNS1_11target_archE906ELNS1_3gpuE6ELNS1_3repE0EEENS1_30default_config_static_selectorELNS0_4arch9wavefront6targetE0EEEvT1_
    .private_segment_fixed_size: 0
    .sgpr_count:     0
    .sgpr_spill_count: 0
    .symbol:         _ZN7rocprim17ROCPRIM_400000_NS6detail17trampoline_kernelINS0_14default_configENS1_25partition_config_selectorILNS1_17partition_subalgoE6EiNS0_10empty_typeEbEEZZNS1_14partition_implILS5_6ELb0ES3_mN6thrust23THRUST_200600_302600_NS6detail15normal_iteratorINSA_10device_ptrIiEEEEPS6_SG_NS0_5tupleIJSF_S6_EEENSH_IJSG_SG_EEES6_PlJNSB_9not_fun_tINSB_10functional5actorINSM_9compositeIJNSM_27transparent_binary_operatorINSA_8equal_toIvEEEENSN_INSM_8argumentILj0EEEEENSM_5valueIiEEEEEEEEEEEE10hipError_tPvRmT3_T4_T5_T6_T7_T9_mT8_P12ihipStream_tbDpT10_ENKUlT_T0_E_clISt17integral_constantIbLb0EES1K_EEDaS1F_S1G_EUlS1F_E_NS1_11comp_targetILNS1_3genE2ELNS1_11target_archE906ELNS1_3gpuE6ELNS1_3repE0EEENS1_30default_config_static_selectorELNS0_4arch9wavefront6targetE0EEEvT1_.kd
    .uniform_work_group_size: 1
    .uses_dynamic_stack: false
    .vgpr_count:     0
    .vgpr_spill_count: 0
    .wavefront_size: 32
    .workgroup_processor_mode: 1
  - .args:
      - .offset:         0
        .size:           120
        .value_kind:     by_value
    .group_segment_fixed_size: 10768
    .kernarg_segment_align: 8
    .kernarg_segment_size: 120
    .language:       OpenCL C
    .language_version:
      - 2
      - 0
    .max_flat_workgroup_size: 384
    .name:           _ZN7rocprim17ROCPRIM_400000_NS6detail17trampoline_kernelINS0_14default_configENS1_25partition_config_selectorILNS1_17partition_subalgoE6EiNS0_10empty_typeEbEEZZNS1_14partition_implILS5_6ELb0ES3_mN6thrust23THRUST_200600_302600_NS6detail15normal_iteratorINSA_10device_ptrIiEEEEPS6_SG_NS0_5tupleIJSF_S6_EEENSH_IJSG_SG_EEES6_PlJNSB_9not_fun_tINSB_10functional5actorINSM_9compositeIJNSM_27transparent_binary_operatorINSA_8equal_toIvEEEENSN_INSM_8argumentILj0EEEEENSM_5valueIiEEEEEEEEEEEE10hipError_tPvRmT3_T4_T5_T6_T7_T9_mT8_P12ihipStream_tbDpT10_ENKUlT_T0_E_clISt17integral_constantIbLb0EES1K_EEDaS1F_S1G_EUlS1F_E_NS1_11comp_targetILNS1_3genE10ELNS1_11target_archE1200ELNS1_3gpuE4ELNS1_3repE0EEENS1_30default_config_static_selectorELNS0_4arch9wavefront6targetE0EEEvT1_
    .private_segment_fixed_size: 0
    .sgpr_count:     20
    .sgpr_spill_count: 0
    .symbol:         _ZN7rocprim17ROCPRIM_400000_NS6detail17trampoline_kernelINS0_14default_configENS1_25partition_config_selectorILNS1_17partition_subalgoE6EiNS0_10empty_typeEbEEZZNS1_14partition_implILS5_6ELb0ES3_mN6thrust23THRUST_200600_302600_NS6detail15normal_iteratorINSA_10device_ptrIiEEEEPS6_SG_NS0_5tupleIJSF_S6_EEENSH_IJSG_SG_EEES6_PlJNSB_9not_fun_tINSB_10functional5actorINSM_9compositeIJNSM_27transparent_binary_operatorINSA_8equal_toIvEEEENSN_INSM_8argumentILj0EEEEENSM_5valueIiEEEEEEEEEEEE10hipError_tPvRmT3_T4_T5_T6_T7_T9_mT8_P12ihipStream_tbDpT10_ENKUlT_T0_E_clISt17integral_constantIbLb0EES1K_EEDaS1F_S1G_EUlS1F_E_NS1_11comp_targetILNS1_3genE10ELNS1_11target_archE1200ELNS1_3gpuE4ELNS1_3repE0EEENS1_30default_config_static_selectorELNS0_4arch9wavefront6targetE0EEEvT1_.kd
    .uniform_work_group_size: 1
    .uses_dynamic_stack: false
    .vgpr_count:     49
    .vgpr_spill_count: 0
    .wavefront_size: 32
    .workgroup_processor_mode: 1
  - .args:
      - .offset:         0
        .size:           120
        .value_kind:     by_value
    .group_segment_fixed_size: 0
    .kernarg_segment_align: 8
    .kernarg_segment_size: 120
    .language:       OpenCL C
    .language_version:
      - 2
      - 0
    .max_flat_workgroup_size: 128
    .name:           _ZN7rocprim17ROCPRIM_400000_NS6detail17trampoline_kernelINS0_14default_configENS1_25partition_config_selectorILNS1_17partition_subalgoE6EiNS0_10empty_typeEbEEZZNS1_14partition_implILS5_6ELb0ES3_mN6thrust23THRUST_200600_302600_NS6detail15normal_iteratorINSA_10device_ptrIiEEEEPS6_SG_NS0_5tupleIJSF_S6_EEENSH_IJSG_SG_EEES6_PlJNSB_9not_fun_tINSB_10functional5actorINSM_9compositeIJNSM_27transparent_binary_operatorINSA_8equal_toIvEEEENSN_INSM_8argumentILj0EEEEENSM_5valueIiEEEEEEEEEEEE10hipError_tPvRmT3_T4_T5_T6_T7_T9_mT8_P12ihipStream_tbDpT10_ENKUlT_T0_E_clISt17integral_constantIbLb0EES1K_EEDaS1F_S1G_EUlS1F_E_NS1_11comp_targetILNS1_3genE9ELNS1_11target_archE1100ELNS1_3gpuE3ELNS1_3repE0EEENS1_30default_config_static_selectorELNS0_4arch9wavefront6targetE0EEEvT1_
    .private_segment_fixed_size: 0
    .sgpr_count:     0
    .sgpr_spill_count: 0
    .symbol:         _ZN7rocprim17ROCPRIM_400000_NS6detail17trampoline_kernelINS0_14default_configENS1_25partition_config_selectorILNS1_17partition_subalgoE6EiNS0_10empty_typeEbEEZZNS1_14partition_implILS5_6ELb0ES3_mN6thrust23THRUST_200600_302600_NS6detail15normal_iteratorINSA_10device_ptrIiEEEEPS6_SG_NS0_5tupleIJSF_S6_EEENSH_IJSG_SG_EEES6_PlJNSB_9not_fun_tINSB_10functional5actorINSM_9compositeIJNSM_27transparent_binary_operatorINSA_8equal_toIvEEEENSN_INSM_8argumentILj0EEEEENSM_5valueIiEEEEEEEEEEEE10hipError_tPvRmT3_T4_T5_T6_T7_T9_mT8_P12ihipStream_tbDpT10_ENKUlT_T0_E_clISt17integral_constantIbLb0EES1K_EEDaS1F_S1G_EUlS1F_E_NS1_11comp_targetILNS1_3genE9ELNS1_11target_archE1100ELNS1_3gpuE3ELNS1_3repE0EEENS1_30default_config_static_selectorELNS0_4arch9wavefront6targetE0EEEvT1_.kd
    .uniform_work_group_size: 1
    .uses_dynamic_stack: false
    .vgpr_count:     0
    .vgpr_spill_count: 0
    .wavefront_size: 32
    .workgroup_processor_mode: 1
  - .args:
      - .offset:         0
        .size:           120
        .value_kind:     by_value
    .group_segment_fixed_size: 0
    .kernarg_segment_align: 8
    .kernarg_segment_size: 120
    .language:       OpenCL C
    .language_version:
      - 2
      - 0
    .max_flat_workgroup_size: 512
    .name:           _ZN7rocprim17ROCPRIM_400000_NS6detail17trampoline_kernelINS0_14default_configENS1_25partition_config_selectorILNS1_17partition_subalgoE6EiNS0_10empty_typeEbEEZZNS1_14partition_implILS5_6ELb0ES3_mN6thrust23THRUST_200600_302600_NS6detail15normal_iteratorINSA_10device_ptrIiEEEEPS6_SG_NS0_5tupleIJSF_S6_EEENSH_IJSG_SG_EEES6_PlJNSB_9not_fun_tINSB_10functional5actorINSM_9compositeIJNSM_27transparent_binary_operatorINSA_8equal_toIvEEEENSN_INSM_8argumentILj0EEEEENSM_5valueIiEEEEEEEEEEEE10hipError_tPvRmT3_T4_T5_T6_T7_T9_mT8_P12ihipStream_tbDpT10_ENKUlT_T0_E_clISt17integral_constantIbLb0EES1K_EEDaS1F_S1G_EUlS1F_E_NS1_11comp_targetILNS1_3genE8ELNS1_11target_archE1030ELNS1_3gpuE2ELNS1_3repE0EEENS1_30default_config_static_selectorELNS0_4arch9wavefront6targetE0EEEvT1_
    .private_segment_fixed_size: 0
    .sgpr_count:     0
    .sgpr_spill_count: 0
    .symbol:         _ZN7rocprim17ROCPRIM_400000_NS6detail17trampoline_kernelINS0_14default_configENS1_25partition_config_selectorILNS1_17partition_subalgoE6EiNS0_10empty_typeEbEEZZNS1_14partition_implILS5_6ELb0ES3_mN6thrust23THRUST_200600_302600_NS6detail15normal_iteratorINSA_10device_ptrIiEEEEPS6_SG_NS0_5tupleIJSF_S6_EEENSH_IJSG_SG_EEES6_PlJNSB_9not_fun_tINSB_10functional5actorINSM_9compositeIJNSM_27transparent_binary_operatorINSA_8equal_toIvEEEENSN_INSM_8argumentILj0EEEEENSM_5valueIiEEEEEEEEEEEE10hipError_tPvRmT3_T4_T5_T6_T7_T9_mT8_P12ihipStream_tbDpT10_ENKUlT_T0_E_clISt17integral_constantIbLb0EES1K_EEDaS1F_S1G_EUlS1F_E_NS1_11comp_targetILNS1_3genE8ELNS1_11target_archE1030ELNS1_3gpuE2ELNS1_3repE0EEENS1_30default_config_static_selectorELNS0_4arch9wavefront6targetE0EEEvT1_.kd
    .uniform_work_group_size: 1
    .uses_dynamic_stack: false
    .vgpr_count:     0
    .vgpr_spill_count: 0
    .wavefront_size: 32
    .workgroup_processor_mode: 1
  - .args:
      - .offset:         0
        .size:           128
        .value_kind:     by_value
    .group_segment_fixed_size: 0
    .kernarg_segment_align: 8
    .kernarg_segment_size: 128
    .language:       OpenCL C
    .language_version:
      - 2
      - 0
    .max_flat_workgroup_size: 256
    .name:           _ZN7rocprim17ROCPRIM_400000_NS6detail17trampoline_kernelINS0_14default_configENS1_25partition_config_selectorILNS1_17partition_subalgoE6EiNS0_10empty_typeEbEEZZNS1_14partition_implILS5_6ELb0ES3_mN6thrust23THRUST_200600_302600_NS6detail15normal_iteratorINSA_10device_ptrIiEEEEPS6_SG_NS0_5tupleIJSF_S6_EEENSH_IJSG_SG_EEES6_PlJNSB_9not_fun_tINSB_10functional5actorINSM_9compositeIJNSM_27transparent_binary_operatorINSA_8equal_toIvEEEENSN_INSM_8argumentILj0EEEEENSM_5valueIiEEEEEEEEEEEE10hipError_tPvRmT3_T4_T5_T6_T7_T9_mT8_P12ihipStream_tbDpT10_ENKUlT_T0_E_clISt17integral_constantIbLb1EES1K_EEDaS1F_S1G_EUlS1F_E_NS1_11comp_targetILNS1_3genE0ELNS1_11target_archE4294967295ELNS1_3gpuE0ELNS1_3repE0EEENS1_30default_config_static_selectorELNS0_4arch9wavefront6targetE0EEEvT1_
    .private_segment_fixed_size: 0
    .sgpr_count:     0
    .sgpr_spill_count: 0
    .symbol:         _ZN7rocprim17ROCPRIM_400000_NS6detail17trampoline_kernelINS0_14default_configENS1_25partition_config_selectorILNS1_17partition_subalgoE6EiNS0_10empty_typeEbEEZZNS1_14partition_implILS5_6ELb0ES3_mN6thrust23THRUST_200600_302600_NS6detail15normal_iteratorINSA_10device_ptrIiEEEEPS6_SG_NS0_5tupleIJSF_S6_EEENSH_IJSG_SG_EEES6_PlJNSB_9not_fun_tINSB_10functional5actorINSM_9compositeIJNSM_27transparent_binary_operatorINSA_8equal_toIvEEEENSN_INSM_8argumentILj0EEEEENSM_5valueIiEEEEEEEEEEEE10hipError_tPvRmT3_T4_T5_T6_T7_T9_mT8_P12ihipStream_tbDpT10_ENKUlT_T0_E_clISt17integral_constantIbLb1EES1K_EEDaS1F_S1G_EUlS1F_E_NS1_11comp_targetILNS1_3genE0ELNS1_11target_archE4294967295ELNS1_3gpuE0ELNS1_3repE0EEENS1_30default_config_static_selectorELNS0_4arch9wavefront6targetE0EEEvT1_.kd
    .uniform_work_group_size: 1
    .uses_dynamic_stack: false
    .vgpr_count:     0
    .vgpr_spill_count: 0
    .wavefront_size: 32
    .workgroup_processor_mode: 1
  - .args:
      - .offset:         0
        .size:           128
        .value_kind:     by_value
    .group_segment_fixed_size: 0
    .kernarg_segment_align: 8
    .kernarg_segment_size: 128
    .language:       OpenCL C
    .language_version:
      - 2
      - 0
    .max_flat_workgroup_size: 512
    .name:           _ZN7rocprim17ROCPRIM_400000_NS6detail17trampoline_kernelINS0_14default_configENS1_25partition_config_selectorILNS1_17partition_subalgoE6EiNS0_10empty_typeEbEEZZNS1_14partition_implILS5_6ELb0ES3_mN6thrust23THRUST_200600_302600_NS6detail15normal_iteratorINSA_10device_ptrIiEEEEPS6_SG_NS0_5tupleIJSF_S6_EEENSH_IJSG_SG_EEES6_PlJNSB_9not_fun_tINSB_10functional5actorINSM_9compositeIJNSM_27transparent_binary_operatorINSA_8equal_toIvEEEENSN_INSM_8argumentILj0EEEEENSM_5valueIiEEEEEEEEEEEE10hipError_tPvRmT3_T4_T5_T6_T7_T9_mT8_P12ihipStream_tbDpT10_ENKUlT_T0_E_clISt17integral_constantIbLb1EES1K_EEDaS1F_S1G_EUlS1F_E_NS1_11comp_targetILNS1_3genE5ELNS1_11target_archE942ELNS1_3gpuE9ELNS1_3repE0EEENS1_30default_config_static_selectorELNS0_4arch9wavefront6targetE0EEEvT1_
    .private_segment_fixed_size: 0
    .sgpr_count:     0
    .sgpr_spill_count: 0
    .symbol:         _ZN7rocprim17ROCPRIM_400000_NS6detail17trampoline_kernelINS0_14default_configENS1_25partition_config_selectorILNS1_17partition_subalgoE6EiNS0_10empty_typeEbEEZZNS1_14partition_implILS5_6ELb0ES3_mN6thrust23THRUST_200600_302600_NS6detail15normal_iteratorINSA_10device_ptrIiEEEEPS6_SG_NS0_5tupleIJSF_S6_EEENSH_IJSG_SG_EEES6_PlJNSB_9not_fun_tINSB_10functional5actorINSM_9compositeIJNSM_27transparent_binary_operatorINSA_8equal_toIvEEEENSN_INSM_8argumentILj0EEEEENSM_5valueIiEEEEEEEEEEEE10hipError_tPvRmT3_T4_T5_T6_T7_T9_mT8_P12ihipStream_tbDpT10_ENKUlT_T0_E_clISt17integral_constantIbLb1EES1K_EEDaS1F_S1G_EUlS1F_E_NS1_11comp_targetILNS1_3genE5ELNS1_11target_archE942ELNS1_3gpuE9ELNS1_3repE0EEENS1_30default_config_static_selectorELNS0_4arch9wavefront6targetE0EEEvT1_.kd
    .uniform_work_group_size: 1
    .uses_dynamic_stack: false
    .vgpr_count:     0
    .vgpr_spill_count: 0
    .wavefront_size: 32
    .workgroup_processor_mode: 1
  - .args:
      - .offset:         0
        .size:           128
        .value_kind:     by_value
    .group_segment_fixed_size: 0
    .kernarg_segment_align: 8
    .kernarg_segment_size: 128
    .language:       OpenCL C
    .language_version:
      - 2
      - 0
    .max_flat_workgroup_size: 512
    .name:           _ZN7rocprim17ROCPRIM_400000_NS6detail17trampoline_kernelINS0_14default_configENS1_25partition_config_selectorILNS1_17partition_subalgoE6EiNS0_10empty_typeEbEEZZNS1_14partition_implILS5_6ELb0ES3_mN6thrust23THRUST_200600_302600_NS6detail15normal_iteratorINSA_10device_ptrIiEEEEPS6_SG_NS0_5tupleIJSF_S6_EEENSH_IJSG_SG_EEES6_PlJNSB_9not_fun_tINSB_10functional5actorINSM_9compositeIJNSM_27transparent_binary_operatorINSA_8equal_toIvEEEENSN_INSM_8argumentILj0EEEEENSM_5valueIiEEEEEEEEEEEE10hipError_tPvRmT3_T4_T5_T6_T7_T9_mT8_P12ihipStream_tbDpT10_ENKUlT_T0_E_clISt17integral_constantIbLb1EES1K_EEDaS1F_S1G_EUlS1F_E_NS1_11comp_targetILNS1_3genE4ELNS1_11target_archE910ELNS1_3gpuE8ELNS1_3repE0EEENS1_30default_config_static_selectorELNS0_4arch9wavefront6targetE0EEEvT1_
    .private_segment_fixed_size: 0
    .sgpr_count:     0
    .sgpr_spill_count: 0
    .symbol:         _ZN7rocprim17ROCPRIM_400000_NS6detail17trampoline_kernelINS0_14default_configENS1_25partition_config_selectorILNS1_17partition_subalgoE6EiNS0_10empty_typeEbEEZZNS1_14partition_implILS5_6ELb0ES3_mN6thrust23THRUST_200600_302600_NS6detail15normal_iteratorINSA_10device_ptrIiEEEEPS6_SG_NS0_5tupleIJSF_S6_EEENSH_IJSG_SG_EEES6_PlJNSB_9not_fun_tINSB_10functional5actorINSM_9compositeIJNSM_27transparent_binary_operatorINSA_8equal_toIvEEEENSN_INSM_8argumentILj0EEEEENSM_5valueIiEEEEEEEEEEEE10hipError_tPvRmT3_T4_T5_T6_T7_T9_mT8_P12ihipStream_tbDpT10_ENKUlT_T0_E_clISt17integral_constantIbLb1EES1K_EEDaS1F_S1G_EUlS1F_E_NS1_11comp_targetILNS1_3genE4ELNS1_11target_archE910ELNS1_3gpuE8ELNS1_3repE0EEENS1_30default_config_static_selectorELNS0_4arch9wavefront6targetE0EEEvT1_.kd
    .uniform_work_group_size: 1
    .uses_dynamic_stack: false
    .vgpr_count:     0
    .vgpr_spill_count: 0
    .wavefront_size: 32
    .workgroup_processor_mode: 1
  - .args:
      - .offset:         0
        .size:           128
        .value_kind:     by_value
    .group_segment_fixed_size: 0
    .kernarg_segment_align: 8
    .kernarg_segment_size: 128
    .language:       OpenCL C
    .language_version:
      - 2
      - 0
    .max_flat_workgroup_size: 256
    .name:           _ZN7rocprim17ROCPRIM_400000_NS6detail17trampoline_kernelINS0_14default_configENS1_25partition_config_selectorILNS1_17partition_subalgoE6EiNS0_10empty_typeEbEEZZNS1_14partition_implILS5_6ELb0ES3_mN6thrust23THRUST_200600_302600_NS6detail15normal_iteratorINSA_10device_ptrIiEEEEPS6_SG_NS0_5tupleIJSF_S6_EEENSH_IJSG_SG_EEES6_PlJNSB_9not_fun_tINSB_10functional5actorINSM_9compositeIJNSM_27transparent_binary_operatorINSA_8equal_toIvEEEENSN_INSM_8argumentILj0EEEEENSM_5valueIiEEEEEEEEEEEE10hipError_tPvRmT3_T4_T5_T6_T7_T9_mT8_P12ihipStream_tbDpT10_ENKUlT_T0_E_clISt17integral_constantIbLb1EES1K_EEDaS1F_S1G_EUlS1F_E_NS1_11comp_targetILNS1_3genE3ELNS1_11target_archE908ELNS1_3gpuE7ELNS1_3repE0EEENS1_30default_config_static_selectorELNS0_4arch9wavefront6targetE0EEEvT1_
    .private_segment_fixed_size: 0
    .sgpr_count:     0
    .sgpr_spill_count: 0
    .symbol:         _ZN7rocprim17ROCPRIM_400000_NS6detail17trampoline_kernelINS0_14default_configENS1_25partition_config_selectorILNS1_17partition_subalgoE6EiNS0_10empty_typeEbEEZZNS1_14partition_implILS5_6ELb0ES3_mN6thrust23THRUST_200600_302600_NS6detail15normal_iteratorINSA_10device_ptrIiEEEEPS6_SG_NS0_5tupleIJSF_S6_EEENSH_IJSG_SG_EEES6_PlJNSB_9not_fun_tINSB_10functional5actorINSM_9compositeIJNSM_27transparent_binary_operatorINSA_8equal_toIvEEEENSN_INSM_8argumentILj0EEEEENSM_5valueIiEEEEEEEEEEEE10hipError_tPvRmT3_T4_T5_T6_T7_T9_mT8_P12ihipStream_tbDpT10_ENKUlT_T0_E_clISt17integral_constantIbLb1EES1K_EEDaS1F_S1G_EUlS1F_E_NS1_11comp_targetILNS1_3genE3ELNS1_11target_archE908ELNS1_3gpuE7ELNS1_3repE0EEENS1_30default_config_static_selectorELNS0_4arch9wavefront6targetE0EEEvT1_.kd
    .uniform_work_group_size: 1
    .uses_dynamic_stack: false
    .vgpr_count:     0
    .vgpr_spill_count: 0
    .wavefront_size: 32
    .workgroup_processor_mode: 1
  - .args:
      - .offset:         0
        .size:           128
        .value_kind:     by_value
    .group_segment_fixed_size: 0
    .kernarg_segment_align: 8
    .kernarg_segment_size: 128
    .language:       OpenCL C
    .language_version:
      - 2
      - 0
    .max_flat_workgroup_size: 192
    .name:           _ZN7rocprim17ROCPRIM_400000_NS6detail17trampoline_kernelINS0_14default_configENS1_25partition_config_selectorILNS1_17partition_subalgoE6EiNS0_10empty_typeEbEEZZNS1_14partition_implILS5_6ELb0ES3_mN6thrust23THRUST_200600_302600_NS6detail15normal_iteratorINSA_10device_ptrIiEEEEPS6_SG_NS0_5tupleIJSF_S6_EEENSH_IJSG_SG_EEES6_PlJNSB_9not_fun_tINSB_10functional5actorINSM_9compositeIJNSM_27transparent_binary_operatorINSA_8equal_toIvEEEENSN_INSM_8argumentILj0EEEEENSM_5valueIiEEEEEEEEEEEE10hipError_tPvRmT3_T4_T5_T6_T7_T9_mT8_P12ihipStream_tbDpT10_ENKUlT_T0_E_clISt17integral_constantIbLb1EES1K_EEDaS1F_S1G_EUlS1F_E_NS1_11comp_targetILNS1_3genE2ELNS1_11target_archE906ELNS1_3gpuE6ELNS1_3repE0EEENS1_30default_config_static_selectorELNS0_4arch9wavefront6targetE0EEEvT1_
    .private_segment_fixed_size: 0
    .sgpr_count:     0
    .sgpr_spill_count: 0
    .symbol:         _ZN7rocprim17ROCPRIM_400000_NS6detail17trampoline_kernelINS0_14default_configENS1_25partition_config_selectorILNS1_17partition_subalgoE6EiNS0_10empty_typeEbEEZZNS1_14partition_implILS5_6ELb0ES3_mN6thrust23THRUST_200600_302600_NS6detail15normal_iteratorINSA_10device_ptrIiEEEEPS6_SG_NS0_5tupleIJSF_S6_EEENSH_IJSG_SG_EEES6_PlJNSB_9not_fun_tINSB_10functional5actorINSM_9compositeIJNSM_27transparent_binary_operatorINSA_8equal_toIvEEEENSN_INSM_8argumentILj0EEEEENSM_5valueIiEEEEEEEEEEEE10hipError_tPvRmT3_T4_T5_T6_T7_T9_mT8_P12ihipStream_tbDpT10_ENKUlT_T0_E_clISt17integral_constantIbLb1EES1K_EEDaS1F_S1G_EUlS1F_E_NS1_11comp_targetILNS1_3genE2ELNS1_11target_archE906ELNS1_3gpuE6ELNS1_3repE0EEENS1_30default_config_static_selectorELNS0_4arch9wavefront6targetE0EEEvT1_.kd
    .uniform_work_group_size: 1
    .uses_dynamic_stack: false
    .vgpr_count:     0
    .vgpr_spill_count: 0
    .wavefront_size: 32
    .workgroup_processor_mode: 1
  - .args:
      - .offset:         0
        .size:           128
        .value_kind:     by_value
    .group_segment_fixed_size: 0
    .kernarg_segment_align: 8
    .kernarg_segment_size: 128
    .language:       OpenCL C
    .language_version:
      - 2
      - 0
    .max_flat_workgroup_size: 384
    .name:           _ZN7rocprim17ROCPRIM_400000_NS6detail17trampoline_kernelINS0_14default_configENS1_25partition_config_selectorILNS1_17partition_subalgoE6EiNS0_10empty_typeEbEEZZNS1_14partition_implILS5_6ELb0ES3_mN6thrust23THRUST_200600_302600_NS6detail15normal_iteratorINSA_10device_ptrIiEEEEPS6_SG_NS0_5tupleIJSF_S6_EEENSH_IJSG_SG_EEES6_PlJNSB_9not_fun_tINSB_10functional5actorINSM_9compositeIJNSM_27transparent_binary_operatorINSA_8equal_toIvEEEENSN_INSM_8argumentILj0EEEEENSM_5valueIiEEEEEEEEEEEE10hipError_tPvRmT3_T4_T5_T6_T7_T9_mT8_P12ihipStream_tbDpT10_ENKUlT_T0_E_clISt17integral_constantIbLb1EES1K_EEDaS1F_S1G_EUlS1F_E_NS1_11comp_targetILNS1_3genE10ELNS1_11target_archE1200ELNS1_3gpuE4ELNS1_3repE0EEENS1_30default_config_static_selectorELNS0_4arch9wavefront6targetE0EEEvT1_
    .private_segment_fixed_size: 0
    .sgpr_count:     0
    .sgpr_spill_count: 0
    .symbol:         _ZN7rocprim17ROCPRIM_400000_NS6detail17trampoline_kernelINS0_14default_configENS1_25partition_config_selectorILNS1_17partition_subalgoE6EiNS0_10empty_typeEbEEZZNS1_14partition_implILS5_6ELb0ES3_mN6thrust23THRUST_200600_302600_NS6detail15normal_iteratorINSA_10device_ptrIiEEEEPS6_SG_NS0_5tupleIJSF_S6_EEENSH_IJSG_SG_EEES6_PlJNSB_9not_fun_tINSB_10functional5actorINSM_9compositeIJNSM_27transparent_binary_operatorINSA_8equal_toIvEEEENSN_INSM_8argumentILj0EEEEENSM_5valueIiEEEEEEEEEEEE10hipError_tPvRmT3_T4_T5_T6_T7_T9_mT8_P12ihipStream_tbDpT10_ENKUlT_T0_E_clISt17integral_constantIbLb1EES1K_EEDaS1F_S1G_EUlS1F_E_NS1_11comp_targetILNS1_3genE10ELNS1_11target_archE1200ELNS1_3gpuE4ELNS1_3repE0EEENS1_30default_config_static_selectorELNS0_4arch9wavefront6targetE0EEEvT1_.kd
    .uniform_work_group_size: 1
    .uses_dynamic_stack: false
    .vgpr_count:     0
    .vgpr_spill_count: 0
    .wavefront_size: 32
    .workgroup_processor_mode: 1
  - .args:
      - .offset:         0
        .size:           128
        .value_kind:     by_value
    .group_segment_fixed_size: 0
    .kernarg_segment_align: 8
    .kernarg_segment_size: 128
    .language:       OpenCL C
    .language_version:
      - 2
      - 0
    .max_flat_workgroup_size: 128
    .name:           _ZN7rocprim17ROCPRIM_400000_NS6detail17trampoline_kernelINS0_14default_configENS1_25partition_config_selectorILNS1_17partition_subalgoE6EiNS0_10empty_typeEbEEZZNS1_14partition_implILS5_6ELb0ES3_mN6thrust23THRUST_200600_302600_NS6detail15normal_iteratorINSA_10device_ptrIiEEEEPS6_SG_NS0_5tupleIJSF_S6_EEENSH_IJSG_SG_EEES6_PlJNSB_9not_fun_tINSB_10functional5actorINSM_9compositeIJNSM_27transparent_binary_operatorINSA_8equal_toIvEEEENSN_INSM_8argumentILj0EEEEENSM_5valueIiEEEEEEEEEEEE10hipError_tPvRmT3_T4_T5_T6_T7_T9_mT8_P12ihipStream_tbDpT10_ENKUlT_T0_E_clISt17integral_constantIbLb1EES1K_EEDaS1F_S1G_EUlS1F_E_NS1_11comp_targetILNS1_3genE9ELNS1_11target_archE1100ELNS1_3gpuE3ELNS1_3repE0EEENS1_30default_config_static_selectorELNS0_4arch9wavefront6targetE0EEEvT1_
    .private_segment_fixed_size: 0
    .sgpr_count:     0
    .sgpr_spill_count: 0
    .symbol:         _ZN7rocprim17ROCPRIM_400000_NS6detail17trampoline_kernelINS0_14default_configENS1_25partition_config_selectorILNS1_17partition_subalgoE6EiNS0_10empty_typeEbEEZZNS1_14partition_implILS5_6ELb0ES3_mN6thrust23THRUST_200600_302600_NS6detail15normal_iteratorINSA_10device_ptrIiEEEEPS6_SG_NS0_5tupleIJSF_S6_EEENSH_IJSG_SG_EEES6_PlJNSB_9not_fun_tINSB_10functional5actorINSM_9compositeIJNSM_27transparent_binary_operatorINSA_8equal_toIvEEEENSN_INSM_8argumentILj0EEEEENSM_5valueIiEEEEEEEEEEEE10hipError_tPvRmT3_T4_T5_T6_T7_T9_mT8_P12ihipStream_tbDpT10_ENKUlT_T0_E_clISt17integral_constantIbLb1EES1K_EEDaS1F_S1G_EUlS1F_E_NS1_11comp_targetILNS1_3genE9ELNS1_11target_archE1100ELNS1_3gpuE3ELNS1_3repE0EEENS1_30default_config_static_selectorELNS0_4arch9wavefront6targetE0EEEvT1_.kd
    .uniform_work_group_size: 1
    .uses_dynamic_stack: false
    .vgpr_count:     0
    .vgpr_spill_count: 0
    .wavefront_size: 32
    .workgroup_processor_mode: 1
  - .args:
      - .offset:         0
        .size:           128
        .value_kind:     by_value
    .group_segment_fixed_size: 0
    .kernarg_segment_align: 8
    .kernarg_segment_size: 128
    .language:       OpenCL C
    .language_version:
      - 2
      - 0
    .max_flat_workgroup_size: 512
    .name:           _ZN7rocprim17ROCPRIM_400000_NS6detail17trampoline_kernelINS0_14default_configENS1_25partition_config_selectorILNS1_17partition_subalgoE6EiNS0_10empty_typeEbEEZZNS1_14partition_implILS5_6ELb0ES3_mN6thrust23THRUST_200600_302600_NS6detail15normal_iteratorINSA_10device_ptrIiEEEEPS6_SG_NS0_5tupleIJSF_S6_EEENSH_IJSG_SG_EEES6_PlJNSB_9not_fun_tINSB_10functional5actorINSM_9compositeIJNSM_27transparent_binary_operatorINSA_8equal_toIvEEEENSN_INSM_8argumentILj0EEEEENSM_5valueIiEEEEEEEEEEEE10hipError_tPvRmT3_T4_T5_T6_T7_T9_mT8_P12ihipStream_tbDpT10_ENKUlT_T0_E_clISt17integral_constantIbLb1EES1K_EEDaS1F_S1G_EUlS1F_E_NS1_11comp_targetILNS1_3genE8ELNS1_11target_archE1030ELNS1_3gpuE2ELNS1_3repE0EEENS1_30default_config_static_selectorELNS0_4arch9wavefront6targetE0EEEvT1_
    .private_segment_fixed_size: 0
    .sgpr_count:     0
    .sgpr_spill_count: 0
    .symbol:         _ZN7rocprim17ROCPRIM_400000_NS6detail17trampoline_kernelINS0_14default_configENS1_25partition_config_selectorILNS1_17partition_subalgoE6EiNS0_10empty_typeEbEEZZNS1_14partition_implILS5_6ELb0ES3_mN6thrust23THRUST_200600_302600_NS6detail15normal_iteratorINSA_10device_ptrIiEEEEPS6_SG_NS0_5tupleIJSF_S6_EEENSH_IJSG_SG_EEES6_PlJNSB_9not_fun_tINSB_10functional5actorINSM_9compositeIJNSM_27transparent_binary_operatorINSA_8equal_toIvEEEENSN_INSM_8argumentILj0EEEEENSM_5valueIiEEEEEEEEEEEE10hipError_tPvRmT3_T4_T5_T6_T7_T9_mT8_P12ihipStream_tbDpT10_ENKUlT_T0_E_clISt17integral_constantIbLb1EES1K_EEDaS1F_S1G_EUlS1F_E_NS1_11comp_targetILNS1_3genE8ELNS1_11target_archE1030ELNS1_3gpuE2ELNS1_3repE0EEENS1_30default_config_static_selectorELNS0_4arch9wavefront6targetE0EEEvT1_.kd
    .uniform_work_group_size: 1
    .uses_dynamic_stack: false
    .vgpr_count:     0
    .vgpr_spill_count: 0
    .wavefront_size: 32
    .workgroup_processor_mode: 1
  - .args:
      - .offset:         0
        .size:           120
        .value_kind:     by_value
    .group_segment_fixed_size: 0
    .kernarg_segment_align: 8
    .kernarg_segment_size: 120
    .language:       OpenCL C
    .language_version:
      - 2
      - 0
    .max_flat_workgroup_size: 256
    .name:           _ZN7rocprim17ROCPRIM_400000_NS6detail17trampoline_kernelINS0_14default_configENS1_25partition_config_selectorILNS1_17partition_subalgoE6EiNS0_10empty_typeEbEEZZNS1_14partition_implILS5_6ELb0ES3_mN6thrust23THRUST_200600_302600_NS6detail15normal_iteratorINSA_10device_ptrIiEEEEPS6_SG_NS0_5tupleIJSF_S6_EEENSH_IJSG_SG_EEES6_PlJNSB_9not_fun_tINSB_10functional5actorINSM_9compositeIJNSM_27transparent_binary_operatorINSA_8equal_toIvEEEENSN_INSM_8argumentILj0EEEEENSM_5valueIiEEEEEEEEEEEE10hipError_tPvRmT3_T4_T5_T6_T7_T9_mT8_P12ihipStream_tbDpT10_ENKUlT_T0_E_clISt17integral_constantIbLb1EES1J_IbLb0EEEEDaS1F_S1G_EUlS1F_E_NS1_11comp_targetILNS1_3genE0ELNS1_11target_archE4294967295ELNS1_3gpuE0ELNS1_3repE0EEENS1_30default_config_static_selectorELNS0_4arch9wavefront6targetE0EEEvT1_
    .private_segment_fixed_size: 0
    .sgpr_count:     0
    .sgpr_spill_count: 0
    .symbol:         _ZN7rocprim17ROCPRIM_400000_NS6detail17trampoline_kernelINS0_14default_configENS1_25partition_config_selectorILNS1_17partition_subalgoE6EiNS0_10empty_typeEbEEZZNS1_14partition_implILS5_6ELb0ES3_mN6thrust23THRUST_200600_302600_NS6detail15normal_iteratorINSA_10device_ptrIiEEEEPS6_SG_NS0_5tupleIJSF_S6_EEENSH_IJSG_SG_EEES6_PlJNSB_9not_fun_tINSB_10functional5actorINSM_9compositeIJNSM_27transparent_binary_operatorINSA_8equal_toIvEEEENSN_INSM_8argumentILj0EEEEENSM_5valueIiEEEEEEEEEEEE10hipError_tPvRmT3_T4_T5_T6_T7_T9_mT8_P12ihipStream_tbDpT10_ENKUlT_T0_E_clISt17integral_constantIbLb1EES1J_IbLb0EEEEDaS1F_S1G_EUlS1F_E_NS1_11comp_targetILNS1_3genE0ELNS1_11target_archE4294967295ELNS1_3gpuE0ELNS1_3repE0EEENS1_30default_config_static_selectorELNS0_4arch9wavefront6targetE0EEEvT1_.kd
    .uniform_work_group_size: 1
    .uses_dynamic_stack: false
    .vgpr_count:     0
    .vgpr_spill_count: 0
    .wavefront_size: 32
    .workgroup_processor_mode: 1
  - .args:
      - .offset:         0
        .size:           120
        .value_kind:     by_value
    .group_segment_fixed_size: 0
    .kernarg_segment_align: 8
    .kernarg_segment_size: 120
    .language:       OpenCL C
    .language_version:
      - 2
      - 0
    .max_flat_workgroup_size: 512
    .name:           _ZN7rocprim17ROCPRIM_400000_NS6detail17trampoline_kernelINS0_14default_configENS1_25partition_config_selectorILNS1_17partition_subalgoE6EiNS0_10empty_typeEbEEZZNS1_14partition_implILS5_6ELb0ES3_mN6thrust23THRUST_200600_302600_NS6detail15normal_iteratorINSA_10device_ptrIiEEEEPS6_SG_NS0_5tupleIJSF_S6_EEENSH_IJSG_SG_EEES6_PlJNSB_9not_fun_tINSB_10functional5actorINSM_9compositeIJNSM_27transparent_binary_operatorINSA_8equal_toIvEEEENSN_INSM_8argumentILj0EEEEENSM_5valueIiEEEEEEEEEEEE10hipError_tPvRmT3_T4_T5_T6_T7_T9_mT8_P12ihipStream_tbDpT10_ENKUlT_T0_E_clISt17integral_constantIbLb1EES1J_IbLb0EEEEDaS1F_S1G_EUlS1F_E_NS1_11comp_targetILNS1_3genE5ELNS1_11target_archE942ELNS1_3gpuE9ELNS1_3repE0EEENS1_30default_config_static_selectorELNS0_4arch9wavefront6targetE0EEEvT1_
    .private_segment_fixed_size: 0
    .sgpr_count:     0
    .sgpr_spill_count: 0
    .symbol:         _ZN7rocprim17ROCPRIM_400000_NS6detail17trampoline_kernelINS0_14default_configENS1_25partition_config_selectorILNS1_17partition_subalgoE6EiNS0_10empty_typeEbEEZZNS1_14partition_implILS5_6ELb0ES3_mN6thrust23THRUST_200600_302600_NS6detail15normal_iteratorINSA_10device_ptrIiEEEEPS6_SG_NS0_5tupleIJSF_S6_EEENSH_IJSG_SG_EEES6_PlJNSB_9not_fun_tINSB_10functional5actorINSM_9compositeIJNSM_27transparent_binary_operatorINSA_8equal_toIvEEEENSN_INSM_8argumentILj0EEEEENSM_5valueIiEEEEEEEEEEEE10hipError_tPvRmT3_T4_T5_T6_T7_T9_mT8_P12ihipStream_tbDpT10_ENKUlT_T0_E_clISt17integral_constantIbLb1EES1J_IbLb0EEEEDaS1F_S1G_EUlS1F_E_NS1_11comp_targetILNS1_3genE5ELNS1_11target_archE942ELNS1_3gpuE9ELNS1_3repE0EEENS1_30default_config_static_selectorELNS0_4arch9wavefront6targetE0EEEvT1_.kd
    .uniform_work_group_size: 1
    .uses_dynamic_stack: false
    .vgpr_count:     0
    .vgpr_spill_count: 0
    .wavefront_size: 32
    .workgroup_processor_mode: 1
  - .args:
      - .offset:         0
        .size:           120
        .value_kind:     by_value
    .group_segment_fixed_size: 0
    .kernarg_segment_align: 8
    .kernarg_segment_size: 120
    .language:       OpenCL C
    .language_version:
      - 2
      - 0
    .max_flat_workgroup_size: 512
    .name:           _ZN7rocprim17ROCPRIM_400000_NS6detail17trampoline_kernelINS0_14default_configENS1_25partition_config_selectorILNS1_17partition_subalgoE6EiNS0_10empty_typeEbEEZZNS1_14partition_implILS5_6ELb0ES3_mN6thrust23THRUST_200600_302600_NS6detail15normal_iteratorINSA_10device_ptrIiEEEEPS6_SG_NS0_5tupleIJSF_S6_EEENSH_IJSG_SG_EEES6_PlJNSB_9not_fun_tINSB_10functional5actorINSM_9compositeIJNSM_27transparent_binary_operatorINSA_8equal_toIvEEEENSN_INSM_8argumentILj0EEEEENSM_5valueIiEEEEEEEEEEEE10hipError_tPvRmT3_T4_T5_T6_T7_T9_mT8_P12ihipStream_tbDpT10_ENKUlT_T0_E_clISt17integral_constantIbLb1EES1J_IbLb0EEEEDaS1F_S1G_EUlS1F_E_NS1_11comp_targetILNS1_3genE4ELNS1_11target_archE910ELNS1_3gpuE8ELNS1_3repE0EEENS1_30default_config_static_selectorELNS0_4arch9wavefront6targetE0EEEvT1_
    .private_segment_fixed_size: 0
    .sgpr_count:     0
    .sgpr_spill_count: 0
    .symbol:         _ZN7rocprim17ROCPRIM_400000_NS6detail17trampoline_kernelINS0_14default_configENS1_25partition_config_selectorILNS1_17partition_subalgoE6EiNS0_10empty_typeEbEEZZNS1_14partition_implILS5_6ELb0ES3_mN6thrust23THRUST_200600_302600_NS6detail15normal_iteratorINSA_10device_ptrIiEEEEPS6_SG_NS0_5tupleIJSF_S6_EEENSH_IJSG_SG_EEES6_PlJNSB_9not_fun_tINSB_10functional5actorINSM_9compositeIJNSM_27transparent_binary_operatorINSA_8equal_toIvEEEENSN_INSM_8argumentILj0EEEEENSM_5valueIiEEEEEEEEEEEE10hipError_tPvRmT3_T4_T5_T6_T7_T9_mT8_P12ihipStream_tbDpT10_ENKUlT_T0_E_clISt17integral_constantIbLb1EES1J_IbLb0EEEEDaS1F_S1G_EUlS1F_E_NS1_11comp_targetILNS1_3genE4ELNS1_11target_archE910ELNS1_3gpuE8ELNS1_3repE0EEENS1_30default_config_static_selectorELNS0_4arch9wavefront6targetE0EEEvT1_.kd
    .uniform_work_group_size: 1
    .uses_dynamic_stack: false
    .vgpr_count:     0
    .vgpr_spill_count: 0
    .wavefront_size: 32
    .workgroup_processor_mode: 1
  - .args:
      - .offset:         0
        .size:           120
        .value_kind:     by_value
    .group_segment_fixed_size: 0
    .kernarg_segment_align: 8
    .kernarg_segment_size: 120
    .language:       OpenCL C
    .language_version:
      - 2
      - 0
    .max_flat_workgroup_size: 256
    .name:           _ZN7rocprim17ROCPRIM_400000_NS6detail17trampoline_kernelINS0_14default_configENS1_25partition_config_selectorILNS1_17partition_subalgoE6EiNS0_10empty_typeEbEEZZNS1_14partition_implILS5_6ELb0ES3_mN6thrust23THRUST_200600_302600_NS6detail15normal_iteratorINSA_10device_ptrIiEEEEPS6_SG_NS0_5tupleIJSF_S6_EEENSH_IJSG_SG_EEES6_PlJNSB_9not_fun_tINSB_10functional5actorINSM_9compositeIJNSM_27transparent_binary_operatorINSA_8equal_toIvEEEENSN_INSM_8argumentILj0EEEEENSM_5valueIiEEEEEEEEEEEE10hipError_tPvRmT3_T4_T5_T6_T7_T9_mT8_P12ihipStream_tbDpT10_ENKUlT_T0_E_clISt17integral_constantIbLb1EES1J_IbLb0EEEEDaS1F_S1G_EUlS1F_E_NS1_11comp_targetILNS1_3genE3ELNS1_11target_archE908ELNS1_3gpuE7ELNS1_3repE0EEENS1_30default_config_static_selectorELNS0_4arch9wavefront6targetE0EEEvT1_
    .private_segment_fixed_size: 0
    .sgpr_count:     0
    .sgpr_spill_count: 0
    .symbol:         _ZN7rocprim17ROCPRIM_400000_NS6detail17trampoline_kernelINS0_14default_configENS1_25partition_config_selectorILNS1_17partition_subalgoE6EiNS0_10empty_typeEbEEZZNS1_14partition_implILS5_6ELb0ES3_mN6thrust23THRUST_200600_302600_NS6detail15normal_iteratorINSA_10device_ptrIiEEEEPS6_SG_NS0_5tupleIJSF_S6_EEENSH_IJSG_SG_EEES6_PlJNSB_9not_fun_tINSB_10functional5actorINSM_9compositeIJNSM_27transparent_binary_operatorINSA_8equal_toIvEEEENSN_INSM_8argumentILj0EEEEENSM_5valueIiEEEEEEEEEEEE10hipError_tPvRmT3_T4_T5_T6_T7_T9_mT8_P12ihipStream_tbDpT10_ENKUlT_T0_E_clISt17integral_constantIbLb1EES1J_IbLb0EEEEDaS1F_S1G_EUlS1F_E_NS1_11comp_targetILNS1_3genE3ELNS1_11target_archE908ELNS1_3gpuE7ELNS1_3repE0EEENS1_30default_config_static_selectorELNS0_4arch9wavefront6targetE0EEEvT1_.kd
    .uniform_work_group_size: 1
    .uses_dynamic_stack: false
    .vgpr_count:     0
    .vgpr_spill_count: 0
    .wavefront_size: 32
    .workgroup_processor_mode: 1
  - .args:
      - .offset:         0
        .size:           120
        .value_kind:     by_value
    .group_segment_fixed_size: 0
    .kernarg_segment_align: 8
    .kernarg_segment_size: 120
    .language:       OpenCL C
    .language_version:
      - 2
      - 0
    .max_flat_workgroup_size: 192
    .name:           _ZN7rocprim17ROCPRIM_400000_NS6detail17trampoline_kernelINS0_14default_configENS1_25partition_config_selectorILNS1_17partition_subalgoE6EiNS0_10empty_typeEbEEZZNS1_14partition_implILS5_6ELb0ES3_mN6thrust23THRUST_200600_302600_NS6detail15normal_iteratorINSA_10device_ptrIiEEEEPS6_SG_NS0_5tupleIJSF_S6_EEENSH_IJSG_SG_EEES6_PlJNSB_9not_fun_tINSB_10functional5actorINSM_9compositeIJNSM_27transparent_binary_operatorINSA_8equal_toIvEEEENSN_INSM_8argumentILj0EEEEENSM_5valueIiEEEEEEEEEEEE10hipError_tPvRmT3_T4_T5_T6_T7_T9_mT8_P12ihipStream_tbDpT10_ENKUlT_T0_E_clISt17integral_constantIbLb1EES1J_IbLb0EEEEDaS1F_S1G_EUlS1F_E_NS1_11comp_targetILNS1_3genE2ELNS1_11target_archE906ELNS1_3gpuE6ELNS1_3repE0EEENS1_30default_config_static_selectorELNS0_4arch9wavefront6targetE0EEEvT1_
    .private_segment_fixed_size: 0
    .sgpr_count:     0
    .sgpr_spill_count: 0
    .symbol:         _ZN7rocprim17ROCPRIM_400000_NS6detail17trampoline_kernelINS0_14default_configENS1_25partition_config_selectorILNS1_17partition_subalgoE6EiNS0_10empty_typeEbEEZZNS1_14partition_implILS5_6ELb0ES3_mN6thrust23THRUST_200600_302600_NS6detail15normal_iteratorINSA_10device_ptrIiEEEEPS6_SG_NS0_5tupleIJSF_S6_EEENSH_IJSG_SG_EEES6_PlJNSB_9not_fun_tINSB_10functional5actorINSM_9compositeIJNSM_27transparent_binary_operatorINSA_8equal_toIvEEEENSN_INSM_8argumentILj0EEEEENSM_5valueIiEEEEEEEEEEEE10hipError_tPvRmT3_T4_T5_T6_T7_T9_mT8_P12ihipStream_tbDpT10_ENKUlT_T0_E_clISt17integral_constantIbLb1EES1J_IbLb0EEEEDaS1F_S1G_EUlS1F_E_NS1_11comp_targetILNS1_3genE2ELNS1_11target_archE906ELNS1_3gpuE6ELNS1_3repE0EEENS1_30default_config_static_selectorELNS0_4arch9wavefront6targetE0EEEvT1_.kd
    .uniform_work_group_size: 1
    .uses_dynamic_stack: false
    .vgpr_count:     0
    .vgpr_spill_count: 0
    .wavefront_size: 32
    .workgroup_processor_mode: 1
  - .args:
      - .offset:         0
        .size:           120
        .value_kind:     by_value
    .group_segment_fixed_size: 0
    .kernarg_segment_align: 8
    .kernarg_segment_size: 120
    .language:       OpenCL C
    .language_version:
      - 2
      - 0
    .max_flat_workgroup_size: 384
    .name:           _ZN7rocprim17ROCPRIM_400000_NS6detail17trampoline_kernelINS0_14default_configENS1_25partition_config_selectorILNS1_17partition_subalgoE6EiNS0_10empty_typeEbEEZZNS1_14partition_implILS5_6ELb0ES3_mN6thrust23THRUST_200600_302600_NS6detail15normal_iteratorINSA_10device_ptrIiEEEEPS6_SG_NS0_5tupleIJSF_S6_EEENSH_IJSG_SG_EEES6_PlJNSB_9not_fun_tINSB_10functional5actorINSM_9compositeIJNSM_27transparent_binary_operatorINSA_8equal_toIvEEEENSN_INSM_8argumentILj0EEEEENSM_5valueIiEEEEEEEEEEEE10hipError_tPvRmT3_T4_T5_T6_T7_T9_mT8_P12ihipStream_tbDpT10_ENKUlT_T0_E_clISt17integral_constantIbLb1EES1J_IbLb0EEEEDaS1F_S1G_EUlS1F_E_NS1_11comp_targetILNS1_3genE10ELNS1_11target_archE1200ELNS1_3gpuE4ELNS1_3repE0EEENS1_30default_config_static_selectorELNS0_4arch9wavefront6targetE0EEEvT1_
    .private_segment_fixed_size: 0
    .sgpr_count:     0
    .sgpr_spill_count: 0
    .symbol:         _ZN7rocprim17ROCPRIM_400000_NS6detail17trampoline_kernelINS0_14default_configENS1_25partition_config_selectorILNS1_17partition_subalgoE6EiNS0_10empty_typeEbEEZZNS1_14partition_implILS5_6ELb0ES3_mN6thrust23THRUST_200600_302600_NS6detail15normal_iteratorINSA_10device_ptrIiEEEEPS6_SG_NS0_5tupleIJSF_S6_EEENSH_IJSG_SG_EEES6_PlJNSB_9not_fun_tINSB_10functional5actorINSM_9compositeIJNSM_27transparent_binary_operatorINSA_8equal_toIvEEEENSN_INSM_8argumentILj0EEEEENSM_5valueIiEEEEEEEEEEEE10hipError_tPvRmT3_T4_T5_T6_T7_T9_mT8_P12ihipStream_tbDpT10_ENKUlT_T0_E_clISt17integral_constantIbLb1EES1J_IbLb0EEEEDaS1F_S1G_EUlS1F_E_NS1_11comp_targetILNS1_3genE10ELNS1_11target_archE1200ELNS1_3gpuE4ELNS1_3repE0EEENS1_30default_config_static_selectorELNS0_4arch9wavefront6targetE0EEEvT1_.kd
    .uniform_work_group_size: 1
    .uses_dynamic_stack: false
    .vgpr_count:     0
    .vgpr_spill_count: 0
    .wavefront_size: 32
    .workgroup_processor_mode: 1
  - .args:
      - .offset:         0
        .size:           120
        .value_kind:     by_value
    .group_segment_fixed_size: 0
    .kernarg_segment_align: 8
    .kernarg_segment_size: 120
    .language:       OpenCL C
    .language_version:
      - 2
      - 0
    .max_flat_workgroup_size: 128
    .name:           _ZN7rocprim17ROCPRIM_400000_NS6detail17trampoline_kernelINS0_14default_configENS1_25partition_config_selectorILNS1_17partition_subalgoE6EiNS0_10empty_typeEbEEZZNS1_14partition_implILS5_6ELb0ES3_mN6thrust23THRUST_200600_302600_NS6detail15normal_iteratorINSA_10device_ptrIiEEEEPS6_SG_NS0_5tupleIJSF_S6_EEENSH_IJSG_SG_EEES6_PlJNSB_9not_fun_tINSB_10functional5actorINSM_9compositeIJNSM_27transparent_binary_operatorINSA_8equal_toIvEEEENSN_INSM_8argumentILj0EEEEENSM_5valueIiEEEEEEEEEEEE10hipError_tPvRmT3_T4_T5_T6_T7_T9_mT8_P12ihipStream_tbDpT10_ENKUlT_T0_E_clISt17integral_constantIbLb1EES1J_IbLb0EEEEDaS1F_S1G_EUlS1F_E_NS1_11comp_targetILNS1_3genE9ELNS1_11target_archE1100ELNS1_3gpuE3ELNS1_3repE0EEENS1_30default_config_static_selectorELNS0_4arch9wavefront6targetE0EEEvT1_
    .private_segment_fixed_size: 0
    .sgpr_count:     0
    .sgpr_spill_count: 0
    .symbol:         _ZN7rocprim17ROCPRIM_400000_NS6detail17trampoline_kernelINS0_14default_configENS1_25partition_config_selectorILNS1_17partition_subalgoE6EiNS0_10empty_typeEbEEZZNS1_14partition_implILS5_6ELb0ES3_mN6thrust23THRUST_200600_302600_NS6detail15normal_iteratorINSA_10device_ptrIiEEEEPS6_SG_NS0_5tupleIJSF_S6_EEENSH_IJSG_SG_EEES6_PlJNSB_9not_fun_tINSB_10functional5actorINSM_9compositeIJNSM_27transparent_binary_operatorINSA_8equal_toIvEEEENSN_INSM_8argumentILj0EEEEENSM_5valueIiEEEEEEEEEEEE10hipError_tPvRmT3_T4_T5_T6_T7_T9_mT8_P12ihipStream_tbDpT10_ENKUlT_T0_E_clISt17integral_constantIbLb1EES1J_IbLb0EEEEDaS1F_S1G_EUlS1F_E_NS1_11comp_targetILNS1_3genE9ELNS1_11target_archE1100ELNS1_3gpuE3ELNS1_3repE0EEENS1_30default_config_static_selectorELNS0_4arch9wavefront6targetE0EEEvT1_.kd
    .uniform_work_group_size: 1
    .uses_dynamic_stack: false
    .vgpr_count:     0
    .vgpr_spill_count: 0
    .wavefront_size: 32
    .workgroup_processor_mode: 1
  - .args:
      - .offset:         0
        .size:           120
        .value_kind:     by_value
    .group_segment_fixed_size: 0
    .kernarg_segment_align: 8
    .kernarg_segment_size: 120
    .language:       OpenCL C
    .language_version:
      - 2
      - 0
    .max_flat_workgroup_size: 512
    .name:           _ZN7rocprim17ROCPRIM_400000_NS6detail17trampoline_kernelINS0_14default_configENS1_25partition_config_selectorILNS1_17partition_subalgoE6EiNS0_10empty_typeEbEEZZNS1_14partition_implILS5_6ELb0ES3_mN6thrust23THRUST_200600_302600_NS6detail15normal_iteratorINSA_10device_ptrIiEEEEPS6_SG_NS0_5tupleIJSF_S6_EEENSH_IJSG_SG_EEES6_PlJNSB_9not_fun_tINSB_10functional5actorINSM_9compositeIJNSM_27transparent_binary_operatorINSA_8equal_toIvEEEENSN_INSM_8argumentILj0EEEEENSM_5valueIiEEEEEEEEEEEE10hipError_tPvRmT3_T4_T5_T6_T7_T9_mT8_P12ihipStream_tbDpT10_ENKUlT_T0_E_clISt17integral_constantIbLb1EES1J_IbLb0EEEEDaS1F_S1G_EUlS1F_E_NS1_11comp_targetILNS1_3genE8ELNS1_11target_archE1030ELNS1_3gpuE2ELNS1_3repE0EEENS1_30default_config_static_selectorELNS0_4arch9wavefront6targetE0EEEvT1_
    .private_segment_fixed_size: 0
    .sgpr_count:     0
    .sgpr_spill_count: 0
    .symbol:         _ZN7rocprim17ROCPRIM_400000_NS6detail17trampoline_kernelINS0_14default_configENS1_25partition_config_selectorILNS1_17partition_subalgoE6EiNS0_10empty_typeEbEEZZNS1_14partition_implILS5_6ELb0ES3_mN6thrust23THRUST_200600_302600_NS6detail15normal_iteratorINSA_10device_ptrIiEEEEPS6_SG_NS0_5tupleIJSF_S6_EEENSH_IJSG_SG_EEES6_PlJNSB_9not_fun_tINSB_10functional5actorINSM_9compositeIJNSM_27transparent_binary_operatorINSA_8equal_toIvEEEENSN_INSM_8argumentILj0EEEEENSM_5valueIiEEEEEEEEEEEE10hipError_tPvRmT3_T4_T5_T6_T7_T9_mT8_P12ihipStream_tbDpT10_ENKUlT_T0_E_clISt17integral_constantIbLb1EES1J_IbLb0EEEEDaS1F_S1G_EUlS1F_E_NS1_11comp_targetILNS1_3genE8ELNS1_11target_archE1030ELNS1_3gpuE2ELNS1_3repE0EEENS1_30default_config_static_selectorELNS0_4arch9wavefront6targetE0EEEvT1_.kd
    .uniform_work_group_size: 1
    .uses_dynamic_stack: false
    .vgpr_count:     0
    .vgpr_spill_count: 0
    .wavefront_size: 32
    .workgroup_processor_mode: 1
  - .args:
      - .offset:         0
        .size:           128
        .value_kind:     by_value
    .group_segment_fixed_size: 0
    .kernarg_segment_align: 8
    .kernarg_segment_size: 128
    .language:       OpenCL C
    .language_version:
      - 2
      - 0
    .max_flat_workgroup_size: 256
    .name:           _ZN7rocprim17ROCPRIM_400000_NS6detail17trampoline_kernelINS0_14default_configENS1_25partition_config_selectorILNS1_17partition_subalgoE6EiNS0_10empty_typeEbEEZZNS1_14partition_implILS5_6ELb0ES3_mN6thrust23THRUST_200600_302600_NS6detail15normal_iteratorINSA_10device_ptrIiEEEEPS6_SG_NS0_5tupleIJSF_S6_EEENSH_IJSG_SG_EEES6_PlJNSB_9not_fun_tINSB_10functional5actorINSM_9compositeIJNSM_27transparent_binary_operatorINSA_8equal_toIvEEEENSN_INSM_8argumentILj0EEEEENSM_5valueIiEEEEEEEEEEEE10hipError_tPvRmT3_T4_T5_T6_T7_T9_mT8_P12ihipStream_tbDpT10_ENKUlT_T0_E_clISt17integral_constantIbLb0EES1J_IbLb1EEEEDaS1F_S1G_EUlS1F_E_NS1_11comp_targetILNS1_3genE0ELNS1_11target_archE4294967295ELNS1_3gpuE0ELNS1_3repE0EEENS1_30default_config_static_selectorELNS0_4arch9wavefront6targetE0EEEvT1_
    .private_segment_fixed_size: 0
    .sgpr_count:     0
    .sgpr_spill_count: 0
    .symbol:         _ZN7rocprim17ROCPRIM_400000_NS6detail17trampoline_kernelINS0_14default_configENS1_25partition_config_selectorILNS1_17partition_subalgoE6EiNS0_10empty_typeEbEEZZNS1_14partition_implILS5_6ELb0ES3_mN6thrust23THRUST_200600_302600_NS6detail15normal_iteratorINSA_10device_ptrIiEEEEPS6_SG_NS0_5tupleIJSF_S6_EEENSH_IJSG_SG_EEES6_PlJNSB_9not_fun_tINSB_10functional5actorINSM_9compositeIJNSM_27transparent_binary_operatorINSA_8equal_toIvEEEENSN_INSM_8argumentILj0EEEEENSM_5valueIiEEEEEEEEEEEE10hipError_tPvRmT3_T4_T5_T6_T7_T9_mT8_P12ihipStream_tbDpT10_ENKUlT_T0_E_clISt17integral_constantIbLb0EES1J_IbLb1EEEEDaS1F_S1G_EUlS1F_E_NS1_11comp_targetILNS1_3genE0ELNS1_11target_archE4294967295ELNS1_3gpuE0ELNS1_3repE0EEENS1_30default_config_static_selectorELNS0_4arch9wavefront6targetE0EEEvT1_.kd
    .uniform_work_group_size: 1
    .uses_dynamic_stack: false
    .vgpr_count:     0
    .vgpr_spill_count: 0
    .wavefront_size: 32
    .workgroup_processor_mode: 1
  - .args:
      - .offset:         0
        .size:           128
        .value_kind:     by_value
    .group_segment_fixed_size: 0
    .kernarg_segment_align: 8
    .kernarg_segment_size: 128
    .language:       OpenCL C
    .language_version:
      - 2
      - 0
    .max_flat_workgroup_size: 512
    .name:           _ZN7rocprim17ROCPRIM_400000_NS6detail17trampoline_kernelINS0_14default_configENS1_25partition_config_selectorILNS1_17partition_subalgoE6EiNS0_10empty_typeEbEEZZNS1_14partition_implILS5_6ELb0ES3_mN6thrust23THRUST_200600_302600_NS6detail15normal_iteratorINSA_10device_ptrIiEEEEPS6_SG_NS0_5tupleIJSF_S6_EEENSH_IJSG_SG_EEES6_PlJNSB_9not_fun_tINSB_10functional5actorINSM_9compositeIJNSM_27transparent_binary_operatorINSA_8equal_toIvEEEENSN_INSM_8argumentILj0EEEEENSM_5valueIiEEEEEEEEEEEE10hipError_tPvRmT3_T4_T5_T6_T7_T9_mT8_P12ihipStream_tbDpT10_ENKUlT_T0_E_clISt17integral_constantIbLb0EES1J_IbLb1EEEEDaS1F_S1G_EUlS1F_E_NS1_11comp_targetILNS1_3genE5ELNS1_11target_archE942ELNS1_3gpuE9ELNS1_3repE0EEENS1_30default_config_static_selectorELNS0_4arch9wavefront6targetE0EEEvT1_
    .private_segment_fixed_size: 0
    .sgpr_count:     0
    .sgpr_spill_count: 0
    .symbol:         _ZN7rocprim17ROCPRIM_400000_NS6detail17trampoline_kernelINS0_14default_configENS1_25partition_config_selectorILNS1_17partition_subalgoE6EiNS0_10empty_typeEbEEZZNS1_14partition_implILS5_6ELb0ES3_mN6thrust23THRUST_200600_302600_NS6detail15normal_iteratorINSA_10device_ptrIiEEEEPS6_SG_NS0_5tupleIJSF_S6_EEENSH_IJSG_SG_EEES6_PlJNSB_9not_fun_tINSB_10functional5actorINSM_9compositeIJNSM_27transparent_binary_operatorINSA_8equal_toIvEEEENSN_INSM_8argumentILj0EEEEENSM_5valueIiEEEEEEEEEEEE10hipError_tPvRmT3_T4_T5_T6_T7_T9_mT8_P12ihipStream_tbDpT10_ENKUlT_T0_E_clISt17integral_constantIbLb0EES1J_IbLb1EEEEDaS1F_S1G_EUlS1F_E_NS1_11comp_targetILNS1_3genE5ELNS1_11target_archE942ELNS1_3gpuE9ELNS1_3repE0EEENS1_30default_config_static_selectorELNS0_4arch9wavefront6targetE0EEEvT1_.kd
    .uniform_work_group_size: 1
    .uses_dynamic_stack: false
    .vgpr_count:     0
    .vgpr_spill_count: 0
    .wavefront_size: 32
    .workgroup_processor_mode: 1
  - .args:
      - .offset:         0
        .size:           128
        .value_kind:     by_value
    .group_segment_fixed_size: 0
    .kernarg_segment_align: 8
    .kernarg_segment_size: 128
    .language:       OpenCL C
    .language_version:
      - 2
      - 0
    .max_flat_workgroup_size: 512
    .name:           _ZN7rocprim17ROCPRIM_400000_NS6detail17trampoline_kernelINS0_14default_configENS1_25partition_config_selectorILNS1_17partition_subalgoE6EiNS0_10empty_typeEbEEZZNS1_14partition_implILS5_6ELb0ES3_mN6thrust23THRUST_200600_302600_NS6detail15normal_iteratorINSA_10device_ptrIiEEEEPS6_SG_NS0_5tupleIJSF_S6_EEENSH_IJSG_SG_EEES6_PlJNSB_9not_fun_tINSB_10functional5actorINSM_9compositeIJNSM_27transparent_binary_operatorINSA_8equal_toIvEEEENSN_INSM_8argumentILj0EEEEENSM_5valueIiEEEEEEEEEEEE10hipError_tPvRmT3_T4_T5_T6_T7_T9_mT8_P12ihipStream_tbDpT10_ENKUlT_T0_E_clISt17integral_constantIbLb0EES1J_IbLb1EEEEDaS1F_S1G_EUlS1F_E_NS1_11comp_targetILNS1_3genE4ELNS1_11target_archE910ELNS1_3gpuE8ELNS1_3repE0EEENS1_30default_config_static_selectorELNS0_4arch9wavefront6targetE0EEEvT1_
    .private_segment_fixed_size: 0
    .sgpr_count:     0
    .sgpr_spill_count: 0
    .symbol:         _ZN7rocprim17ROCPRIM_400000_NS6detail17trampoline_kernelINS0_14default_configENS1_25partition_config_selectorILNS1_17partition_subalgoE6EiNS0_10empty_typeEbEEZZNS1_14partition_implILS5_6ELb0ES3_mN6thrust23THRUST_200600_302600_NS6detail15normal_iteratorINSA_10device_ptrIiEEEEPS6_SG_NS0_5tupleIJSF_S6_EEENSH_IJSG_SG_EEES6_PlJNSB_9not_fun_tINSB_10functional5actorINSM_9compositeIJNSM_27transparent_binary_operatorINSA_8equal_toIvEEEENSN_INSM_8argumentILj0EEEEENSM_5valueIiEEEEEEEEEEEE10hipError_tPvRmT3_T4_T5_T6_T7_T9_mT8_P12ihipStream_tbDpT10_ENKUlT_T0_E_clISt17integral_constantIbLb0EES1J_IbLb1EEEEDaS1F_S1G_EUlS1F_E_NS1_11comp_targetILNS1_3genE4ELNS1_11target_archE910ELNS1_3gpuE8ELNS1_3repE0EEENS1_30default_config_static_selectorELNS0_4arch9wavefront6targetE0EEEvT1_.kd
    .uniform_work_group_size: 1
    .uses_dynamic_stack: false
    .vgpr_count:     0
    .vgpr_spill_count: 0
    .wavefront_size: 32
    .workgroup_processor_mode: 1
  - .args:
      - .offset:         0
        .size:           128
        .value_kind:     by_value
    .group_segment_fixed_size: 0
    .kernarg_segment_align: 8
    .kernarg_segment_size: 128
    .language:       OpenCL C
    .language_version:
      - 2
      - 0
    .max_flat_workgroup_size: 256
    .name:           _ZN7rocprim17ROCPRIM_400000_NS6detail17trampoline_kernelINS0_14default_configENS1_25partition_config_selectorILNS1_17partition_subalgoE6EiNS0_10empty_typeEbEEZZNS1_14partition_implILS5_6ELb0ES3_mN6thrust23THRUST_200600_302600_NS6detail15normal_iteratorINSA_10device_ptrIiEEEEPS6_SG_NS0_5tupleIJSF_S6_EEENSH_IJSG_SG_EEES6_PlJNSB_9not_fun_tINSB_10functional5actorINSM_9compositeIJNSM_27transparent_binary_operatorINSA_8equal_toIvEEEENSN_INSM_8argumentILj0EEEEENSM_5valueIiEEEEEEEEEEEE10hipError_tPvRmT3_T4_T5_T6_T7_T9_mT8_P12ihipStream_tbDpT10_ENKUlT_T0_E_clISt17integral_constantIbLb0EES1J_IbLb1EEEEDaS1F_S1G_EUlS1F_E_NS1_11comp_targetILNS1_3genE3ELNS1_11target_archE908ELNS1_3gpuE7ELNS1_3repE0EEENS1_30default_config_static_selectorELNS0_4arch9wavefront6targetE0EEEvT1_
    .private_segment_fixed_size: 0
    .sgpr_count:     0
    .sgpr_spill_count: 0
    .symbol:         _ZN7rocprim17ROCPRIM_400000_NS6detail17trampoline_kernelINS0_14default_configENS1_25partition_config_selectorILNS1_17partition_subalgoE6EiNS0_10empty_typeEbEEZZNS1_14partition_implILS5_6ELb0ES3_mN6thrust23THRUST_200600_302600_NS6detail15normal_iteratorINSA_10device_ptrIiEEEEPS6_SG_NS0_5tupleIJSF_S6_EEENSH_IJSG_SG_EEES6_PlJNSB_9not_fun_tINSB_10functional5actorINSM_9compositeIJNSM_27transparent_binary_operatorINSA_8equal_toIvEEEENSN_INSM_8argumentILj0EEEEENSM_5valueIiEEEEEEEEEEEE10hipError_tPvRmT3_T4_T5_T6_T7_T9_mT8_P12ihipStream_tbDpT10_ENKUlT_T0_E_clISt17integral_constantIbLb0EES1J_IbLb1EEEEDaS1F_S1G_EUlS1F_E_NS1_11comp_targetILNS1_3genE3ELNS1_11target_archE908ELNS1_3gpuE7ELNS1_3repE0EEENS1_30default_config_static_selectorELNS0_4arch9wavefront6targetE0EEEvT1_.kd
    .uniform_work_group_size: 1
    .uses_dynamic_stack: false
    .vgpr_count:     0
    .vgpr_spill_count: 0
    .wavefront_size: 32
    .workgroup_processor_mode: 1
  - .args:
      - .offset:         0
        .size:           128
        .value_kind:     by_value
    .group_segment_fixed_size: 0
    .kernarg_segment_align: 8
    .kernarg_segment_size: 128
    .language:       OpenCL C
    .language_version:
      - 2
      - 0
    .max_flat_workgroup_size: 192
    .name:           _ZN7rocprim17ROCPRIM_400000_NS6detail17trampoline_kernelINS0_14default_configENS1_25partition_config_selectorILNS1_17partition_subalgoE6EiNS0_10empty_typeEbEEZZNS1_14partition_implILS5_6ELb0ES3_mN6thrust23THRUST_200600_302600_NS6detail15normal_iteratorINSA_10device_ptrIiEEEEPS6_SG_NS0_5tupleIJSF_S6_EEENSH_IJSG_SG_EEES6_PlJNSB_9not_fun_tINSB_10functional5actorINSM_9compositeIJNSM_27transparent_binary_operatorINSA_8equal_toIvEEEENSN_INSM_8argumentILj0EEEEENSM_5valueIiEEEEEEEEEEEE10hipError_tPvRmT3_T4_T5_T6_T7_T9_mT8_P12ihipStream_tbDpT10_ENKUlT_T0_E_clISt17integral_constantIbLb0EES1J_IbLb1EEEEDaS1F_S1G_EUlS1F_E_NS1_11comp_targetILNS1_3genE2ELNS1_11target_archE906ELNS1_3gpuE6ELNS1_3repE0EEENS1_30default_config_static_selectorELNS0_4arch9wavefront6targetE0EEEvT1_
    .private_segment_fixed_size: 0
    .sgpr_count:     0
    .sgpr_spill_count: 0
    .symbol:         _ZN7rocprim17ROCPRIM_400000_NS6detail17trampoline_kernelINS0_14default_configENS1_25partition_config_selectorILNS1_17partition_subalgoE6EiNS0_10empty_typeEbEEZZNS1_14partition_implILS5_6ELb0ES3_mN6thrust23THRUST_200600_302600_NS6detail15normal_iteratorINSA_10device_ptrIiEEEEPS6_SG_NS0_5tupleIJSF_S6_EEENSH_IJSG_SG_EEES6_PlJNSB_9not_fun_tINSB_10functional5actorINSM_9compositeIJNSM_27transparent_binary_operatorINSA_8equal_toIvEEEENSN_INSM_8argumentILj0EEEEENSM_5valueIiEEEEEEEEEEEE10hipError_tPvRmT3_T4_T5_T6_T7_T9_mT8_P12ihipStream_tbDpT10_ENKUlT_T0_E_clISt17integral_constantIbLb0EES1J_IbLb1EEEEDaS1F_S1G_EUlS1F_E_NS1_11comp_targetILNS1_3genE2ELNS1_11target_archE906ELNS1_3gpuE6ELNS1_3repE0EEENS1_30default_config_static_selectorELNS0_4arch9wavefront6targetE0EEEvT1_.kd
    .uniform_work_group_size: 1
    .uses_dynamic_stack: false
    .vgpr_count:     0
    .vgpr_spill_count: 0
    .wavefront_size: 32
    .workgroup_processor_mode: 1
  - .args:
      - .offset:         0
        .size:           128
        .value_kind:     by_value
    .group_segment_fixed_size: 10768
    .kernarg_segment_align: 8
    .kernarg_segment_size: 128
    .language:       OpenCL C
    .language_version:
      - 2
      - 0
    .max_flat_workgroup_size: 384
    .name:           _ZN7rocprim17ROCPRIM_400000_NS6detail17trampoline_kernelINS0_14default_configENS1_25partition_config_selectorILNS1_17partition_subalgoE6EiNS0_10empty_typeEbEEZZNS1_14partition_implILS5_6ELb0ES3_mN6thrust23THRUST_200600_302600_NS6detail15normal_iteratorINSA_10device_ptrIiEEEEPS6_SG_NS0_5tupleIJSF_S6_EEENSH_IJSG_SG_EEES6_PlJNSB_9not_fun_tINSB_10functional5actorINSM_9compositeIJNSM_27transparent_binary_operatorINSA_8equal_toIvEEEENSN_INSM_8argumentILj0EEEEENSM_5valueIiEEEEEEEEEEEE10hipError_tPvRmT3_T4_T5_T6_T7_T9_mT8_P12ihipStream_tbDpT10_ENKUlT_T0_E_clISt17integral_constantIbLb0EES1J_IbLb1EEEEDaS1F_S1G_EUlS1F_E_NS1_11comp_targetILNS1_3genE10ELNS1_11target_archE1200ELNS1_3gpuE4ELNS1_3repE0EEENS1_30default_config_static_selectorELNS0_4arch9wavefront6targetE0EEEvT1_
    .private_segment_fixed_size: 0
    .sgpr_count:     23
    .sgpr_spill_count: 0
    .symbol:         _ZN7rocprim17ROCPRIM_400000_NS6detail17trampoline_kernelINS0_14default_configENS1_25partition_config_selectorILNS1_17partition_subalgoE6EiNS0_10empty_typeEbEEZZNS1_14partition_implILS5_6ELb0ES3_mN6thrust23THRUST_200600_302600_NS6detail15normal_iteratorINSA_10device_ptrIiEEEEPS6_SG_NS0_5tupleIJSF_S6_EEENSH_IJSG_SG_EEES6_PlJNSB_9not_fun_tINSB_10functional5actorINSM_9compositeIJNSM_27transparent_binary_operatorINSA_8equal_toIvEEEENSN_INSM_8argumentILj0EEEEENSM_5valueIiEEEEEEEEEEEE10hipError_tPvRmT3_T4_T5_T6_T7_T9_mT8_P12ihipStream_tbDpT10_ENKUlT_T0_E_clISt17integral_constantIbLb0EES1J_IbLb1EEEEDaS1F_S1G_EUlS1F_E_NS1_11comp_targetILNS1_3genE10ELNS1_11target_archE1200ELNS1_3gpuE4ELNS1_3repE0EEENS1_30default_config_static_selectorELNS0_4arch9wavefront6targetE0EEEvT1_.kd
    .uniform_work_group_size: 1
    .uses_dynamic_stack: false
    .vgpr_count:     51
    .vgpr_spill_count: 0
    .wavefront_size: 32
    .workgroup_processor_mode: 1
  - .args:
      - .offset:         0
        .size:           128
        .value_kind:     by_value
    .group_segment_fixed_size: 0
    .kernarg_segment_align: 8
    .kernarg_segment_size: 128
    .language:       OpenCL C
    .language_version:
      - 2
      - 0
    .max_flat_workgroup_size: 128
    .name:           _ZN7rocprim17ROCPRIM_400000_NS6detail17trampoline_kernelINS0_14default_configENS1_25partition_config_selectorILNS1_17partition_subalgoE6EiNS0_10empty_typeEbEEZZNS1_14partition_implILS5_6ELb0ES3_mN6thrust23THRUST_200600_302600_NS6detail15normal_iteratorINSA_10device_ptrIiEEEEPS6_SG_NS0_5tupleIJSF_S6_EEENSH_IJSG_SG_EEES6_PlJNSB_9not_fun_tINSB_10functional5actorINSM_9compositeIJNSM_27transparent_binary_operatorINSA_8equal_toIvEEEENSN_INSM_8argumentILj0EEEEENSM_5valueIiEEEEEEEEEEEE10hipError_tPvRmT3_T4_T5_T6_T7_T9_mT8_P12ihipStream_tbDpT10_ENKUlT_T0_E_clISt17integral_constantIbLb0EES1J_IbLb1EEEEDaS1F_S1G_EUlS1F_E_NS1_11comp_targetILNS1_3genE9ELNS1_11target_archE1100ELNS1_3gpuE3ELNS1_3repE0EEENS1_30default_config_static_selectorELNS0_4arch9wavefront6targetE0EEEvT1_
    .private_segment_fixed_size: 0
    .sgpr_count:     0
    .sgpr_spill_count: 0
    .symbol:         _ZN7rocprim17ROCPRIM_400000_NS6detail17trampoline_kernelINS0_14default_configENS1_25partition_config_selectorILNS1_17partition_subalgoE6EiNS0_10empty_typeEbEEZZNS1_14partition_implILS5_6ELb0ES3_mN6thrust23THRUST_200600_302600_NS6detail15normal_iteratorINSA_10device_ptrIiEEEEPS6_SG_NS0_5tupleIJSF_S6_EEENSH_IJSG_SG_EEES6_PlJNSB_9not_fun_tINSB_10functional5actorINSM_9compositeIJNSM_27transparent_binary_operatorINSA_8equal_toIvEEEENSN_INSM_8argumentILj0EEEEENSM_5valueIiEEEEEEEEEEEE10hipError_tPvRmT3_T4_T5_T6_T7_T9_mT8_P12ihipStream_tbDpT10_ENKUlT_T0_E_clISt17integral_constantIbLb0EES1J_IbLb1EEEEDaS1F_S1G_EUlS1F_E_NS1_11comp_targetILNS1_3genE9ELNS1_11target_archE1100ELNS1_3gpuE3ELNS1_3repE0EEENS1_30default_config_static_selectorELNS0_4arch9wavefront6targetE0EEEvT1_.kd
    .uniform_work_group_size: 1
    .uses_dynamic_stack: false
    .vgpr_count:     0
    .vgpr_spill_count: 0
    .wavefront_size: 32
    .workgroup_processor_mode: 1
  - .args:
      - .offset:         0
        .size:           128
        .value_kind:     by_value
    .group_segment_fixed_size: 0
    .kernarg_segment_align: 8
    .kernarg_segment_size: 128
    .language:       OpenCL C
    .language_version:
      - 2
      - 0
    .max_flat_workgroup_size: 512
    .name:           _ZN7rocprim17ROCPRIM_400000_NS6detail17trampoline_kernelINS0_14default_configENS1_25partition_config_selectorILNS1_17partition_subalgoE6EiNS0_10empty_typeEbEEZZNS1_14partition_implILS5_6ELb0ES3_mN6thrust23THRUST_200600_302600_NS6detail15normal_iteratorINSA_10device_ptrIiEEEEPS6_SG_NS0_5tupleIJSF_S6_EEENSH_IJSG_SG_EEES6_PlJNSB_9not_fun_tINSB_10functional5actorINSM_9compositeIJNSM_27transparent_binary_operatorINSA_8equal_toIvEEEENSN_INSM_8argumentILj0EEEEENSM_5valueIiEEEEEEEEEEEE10hipError_tPvRmT3_T4_T5_T6_T7_T9_mT8_P12ihipStream_tbDpT10_ENKUlT_T0_E_clISt17integral_constantIbLb0EES1J_IbLb1EEEEDaS1F_S1G_EUlS1F_E_NS1_11comp_targetILNS1_3genE8ELNS1_11target_archE1030ELNS1_3gpuE2ELNS1_3repE0EEENS1_30default_config_static_selectorELNS0_4arch9wavefront6targetE0EEEvT1_
    .private_segment_fixed_size: 0
    .sgpr_count:     0
    .sgpr_spill_count: 0
    .symbol:         _ZN7rocprim17ROCPRIM_400000_NS6detail17trampoline_kernelINS0_14default_configENS1_25partition_config_selectorILNS1_17partition_subalgoE6EiNS0_10empty_typeEbEEZZNS1_14partition_implILS5_6ELb0ES3_mN6thrust23THRUST_200600_302600_NS6detail15normal_iteratorINSA_10device_ptrIiEEEEPS6_SG_NS0_5tupleIJSF_S6_EEENSH_IJSG_SG_EEES6_PlJNSB_9not_fun_tINSB_10functional5actorINSM_9compositeIJNSM_27transparent_binary_operatorINSA_8equal_toIvEEEENSN_INSM_8argumentILj0EEEEENSM_5valueIiEEEEEEEEEEEE10hipError_tPvRmT3_T4_T5_T6_T7_T9_mT8_P12ihipStream_tbDpT10_ENKUlT_T0_E_clISt17integral_constantIbLb0EES1J_IbLb1EEEEDaS1F_S1G_EUlS1F_E_NS1_11comp_targetILNS1_3genE8ELNS1_11target_archE1030ELNS1_3gpuE2ELNS1_3repE0EEENS1_30default_config_static_selectorELNS0_4arch9wavefront6targetE0EEEvT1_.kd
    .uniform_work_group_size: 1
    .uses_dynamic_stack: false
    .vgpr_count:     0
    .vgpr_spill_count: 0
    .wavefront_size: 32
    .workgroup_processor_mode: 1
  - .args:
      - .offset:         0
        .size:           16
        .value_kind:     by_value
      - .offset:         16
        .size:           8
        .value_kind:     by_value
      - .offset:         24
        .size:           8
        .value_kind:     by_value
    .group_segment_fixed_size: 0
    .kernarg_segment_align: 8
    .kernarg_segment_size: 32
    .language:       OpenCL C
    .language_version:
      - 2
      - 0
    .max_flat_workgroup_size: 256
    .name:           _ZN6thrust23THRUST_200600_302600_NS11hip_rocprim14__parallel_for6kernelILj256ENS1_20__uninitialized_fill7functorINS0_10device_ptrIsEEsEEmLj1EEEvT0_T1_SA_
    .private_segment_fixed_size: 0
    .sgpr_count:     14
    .sgpr_spill_count: 0
    .symbol:         _ZN6thrust23THRUST_200600_302600_NS11hip_rocprim14__parallel_for6kernelILj256ENS1_20__uninitialized_fill7functorINS0_10device_ptrIsEEsEEmLj1EEEvT0_T1_SA_.kd
    .uniform_work_group_size: 1
    .uses_dynamic_stack: false
    .vgpr_count:     4
    .vgpr_spill_count: 0
    .wavefront_size: 32
    .workgroup_processor_mode: 1
  - .args:
      - .offset:         0
        .size:           120
        .value_kind:     by_value
    .group_segment_fixed_size: 0
    .kernarg_segment_align: 8
    .kernarg_segment_size: 120
    .language:       OpenCL C
    .language_version:
      - 2
      - 0
    .max_flat_workgroup_size: 256
    .name:           _ZN7rocprim17ROCPRIM_400000_NS6detail17trampoline_kernelINS0_14default_configENS1_25partition_config_selectorILNS1_17partition_subalgoE6EsNS0_10empty_typeEbEEZZNS1_14partition_implILS5_6ELb0ES3_mN6thrust23THRUST_200600_302600_NS6detail15normal_iteratorINSA_10device_ptrIsEEEEPS6_SG_NS0_5tupleIJSF_S6_EEENSH_IJSG_SG_EEES6_PlJNSB_9not_fun_tINSB_10functional5actorINSM_9compositeIJNSM_27transparent_binary_operatorINSA_8equal_toIvEEEENSN_INSM_8argumentILj0EEEEENSM_5valueIsEEEEEEEEEEEE10hipError_tPvRmT3_T4_T5_T6_T7_T9_mT8_P12ihipStream_tbDpT10_ENKUlT_T0_E_clISt17integral_constantIbLb0EES1K_EEDaS1F_S1G_EUlS1F_E_NS1_11comp_targetILNS1_3genE0ELNS1_11target_archE4294967295ELNS1_3gpuE0ELNS1_3repE0EEENS1_30default_config_static_selectorELNS0_4arch9wavefront6targetE0EEEvT1_
    .private_segment_fixed_size: 0
    .sgpr_count:     0
    .sgpr_spill_count: 0
    .symbol:         _ZN7rocprim17ROCPRIM_400000_NS6detail17trampoline_kernelINS0_14default_configENS1_25partition_config_selectorILNS1_17partition_subalgoE6EsNS0_10empty_typeEbEEZZNS1_14partition_implILS5_6ELb0ES3_mN6thrust23THRUST_200600_302600_NS6detail15normal_iteratorINSA_10device_ptrIsEEEEPS6_SG_NS0_5tupleIJSF_S6_EEENSH_IJSG_SG_EEES6_PlJNSB_9not_fun_tINSB_10functional5actorINSM_9compositeIJNSM_27transparent_binary_operatorINSA_8equal_toIvEEEENSN_INSM_8argumentILj0EEEEENSM_5valueIsEEEEEEEEEEEE10hipError_tPvRmT3_T4_T5_T6_T7_T9_mT8_P12ihipStream_tbDpT10_ENKUlT_T0_E_clISt17integral_constantIbLb0EES1K_EEDaS1F_S1G_EUlS1F_E_NS1_11comp_targetILNS1_3genE0ELNS1_11target_archE4294967295ELNS1_3gpuE0ELNS1_3repE0EEENS1_30default_config_static_selectorELNS0_4arch9wavefront6targetE0EEEvT1_.kd
    .uniform_work_group_size: 1
    .uses_dynamic_stack: false
    .vgpr_count:     0
    .vgpr_spill_count: 0
    .wavefront_size: 32
    .workgroup_processor_mode: 1
  - .args:
      - .offset:         0
        .size:           120
        .value_kind:     by_value
    .group_segment_fixed_size: 0
    .kernarg_segment_align: 8
    .kernarg_segment_size: 120
    .language:       OpenCL C
    .language_version:
      - 2
      - 0
    .max_flat_workgroup_size: 512
    .name:           _ZN7rocprim17ROCPRIM_400000_NS6detail17trampoline_kernelINS0_14default_configENS1_25partition_config_selectorILNS1_17partition_subalgoE6EsNS0_10empty_typeEbEEZZNS1_14partition_implILS5_6ELb0ES3_mN6thrust23THRUST_200600_302600_NS6detail15normal_iteratorINSA_10device_ptrIsEEEEPS6_SG_NS0_5tupleIJSF_S6_EEENSH_IJSG_SG_EEES6_PlJNSB_9not_fun_tINSB_10functional5actorINSM_9compositeIJNSM_27transparent_binary_operatorINSA_8equal_toIvEEEENSN_INSM_8argumentILj0EEEEENSM_5valueIsEEEEEEEEEEEE10hipError_tPvRmT3_T4_T5_T6_T7_T9_mT8_P12ihipStream_tbDpT10_ENKUlT_T0_E_clISt17integral_constantIbLb0EES1K_EEDaS1F_S1G_EUlS1F_E_NS1_11comp_targetILNS1_3genE5ELNS1_11target_archE942ELNS1_3gpuE9ELNS1_3repE0EEENS1_30default_config_static_selectorELNS0_4arch9wavefront6targetE0EEEvT1_
    .private_segment_fixed_size: 0
    .sgpr_count:     0
    .sgpr_spill_count: 0
    .symbol:         _ZN7rocprim17ROCPRIM_400000_NS6detail17trampoline_kernelINS0_14default_configENS1_25partition_config_selectorILNS1_17partition_subalgoE6EsNS0_10empty_typeEbEEZZNS1_14partition_implILS5_6ELb0ES3_mN6thrust23THRUST_200600_302600_NS6detail15normal_iteratorINSA_10device_ptrIsEEEEPS6_SG_NS0_5tupleIJSF_S6_EEENSH_IJSG_SG_EEES6_PlJNSB_9not_fun_tINSB_10functional5actorINSM_9compositeIJNSM_27transparent_binary_operatorINSA_8equal_toIvEEEENSN_INSM_8argumentILj0EEEEENSM_5valueIsEEEEEEEEEEEE10hipError_tPvRmT3_T4_T5_T6_T7_T9_mT8_P12ihipStream_tbDpT10_ENKUlT_T0_E_clISt17integral_constantIbLb0EES1K_EEDaS1F_S1G_EUlS1F_E_NS1_11comp_targetILNS1_3genE5ELNS1_11target_archE942ELNS1_3gpuE9ELNS1_3repE0EEENS1_30default_config_static_selectorELNS0_4arch9wavefront6targetE0EEEvT1_.kd
    .uniform_work_group_size: 1
    .uses_dynamic_stack: false
    .vgpr_count:     0
    .vgpr_spill_count: 0
    .wavefront_size: 32
    .workgroup_processor_mode: 1
  - .args:
      - .offset:         0
        .size:           120
        .value_kind:     by_value
    .group_segment_fixed_size: 0
    .kernarg_segment_align: 8
    .kernarg_segment_size: 120
    .language:       OpenCL C
    .language_version:
      - 2
      - 0
    .max_flat_workgroup_size: 256
    .name:           _ZN7rocprim17ROCPRIM_400000_NS6detail17trampoline_kernelINS0_14default_configENS1_25partition_config_selectorILNS1_17partition_subalgoE6EsNS0_10empty_typeEbEEZZNS1_14partition_implILS5_6ELb0ES3_mN6thrust23THRUST_200600_302600_NS6detail15normal_iteratorINSA_10device_ptrIsEEEEPS6_SG_NS0_5tupleIJSF_S6_EEENSH_IJSG_SG_EEES6_PlJNSB_9not_fun_tINSB_10functional5actorINSM_9compositeIJNSM_27transparent_binary_operatorINSA_8equal_toIvEEEENSN_INSM_8argumentILj0EEEEENSM_5valueIsEEEEEEEEEEEE10hipError_tPvRmT3_T4_T5_T6_T7_T9_mT8_P12ihipStream_tbDpT10_ENKUlT_T0_E_clISt17integral_constantIbLb0EES1K_EEDaS1F_S1G_EUlS1F_E_NS1_11comp_targetILNS1_3genE4ELNS1_11target_archE910ELNS1_3gpuE8ELNS1_3repE0EEENS1_30default_config_static_selectorELNS0_4arch9wavefront6targetE0EEEvT1_
    .private_segment_fixed_size: 0
    .sgpr_count:     0
    .sgpr_spill_count: 0
    .symbol:         _ZN7rocprim17ROCPRIM_400000_NS6detail17trampoline_kernelINS0_14default_configENS1_25partition_config_selectorILNS1_17partition_subalgoE6EsNS0_10empty_typeEbEEZZNS1_14partition_implILS5_6ELb0ES3_mN6thrust23THRUST_200600_302600_NS6detail15normal_iteratorINSA_10device_ptrIsEEEEPS6_SG_NS0_5tupleIJSF_S6_EEENSH_IJSG_SG_EEES6_PlJNSB_9not_fun_tINSB_10functional5actorINSM_9compositeIJNSM_27transparent_binary_operatorINSA_8equal_toIvEEEENSN_INSM_8argumentILj0EEEEENSM_5valueIsEEEEEEEEEEEE10hipError_tPvRmT3_T4_T5_T6_T7_T9_mT8_P12ihipStream_tbDpT10_ENKUlT_T0_E_clISt17integral_constantIbLb0EES1K_EEDaS1F_S1G_EUlS1F_E_NS1_11comp_targetILNS1_3genE4ELNS1_11target_archE910ELNS1_3gpuE8ELNS1_3repE0EEENS1_30default_config_static_selectorELNS0_4arch9wavefront6targetE0EEEvT1_.kd
    .uniform_work_group_size: 1
    .uses_dynamic_stack: false
    .vgpr_count:     0
    .vgpr_spill_count: 0
    .wavefront_size: 32
    .workgroup_processor_mode: 1
  - .args:
      - .offset:         0
        .size:           120
        .value_kind:     by_value
    .group_segment_fixed_size: 0
    .kernarg_segment_align: 8
    .kernarg_segment_size: 120
    .language:       OpenCL C
    .language_version:
      - 2
      - 0
    .max_flat_workgroup_size: 256
    .name:           _ZN7rocprim17ROCPRIM_400000_NS6detail17trampoline_kernelINS0_14default_configENS1_25partition_config_selectorILNS1_17partition_subalgoE6EsNS0_10empty_typeEbEEZZNS1_14partition_implILS5_6ELb0ES3_mN6thrust23THRUST_200600_302600_NS6detail15normal_iteratorINSA_10device_ptrIsEEEEPS6_SG_NS0_5tupleIJSF_S6_EEENSH_IJSG_SG_EEES6_PlJNSB_9not_fun_tINSB_10functional5actorINSM_9compositeIJNSM_27transparent_binary_operatorINSA_8equal_toIvEEEENSN_INSM_8argumentILj0EEEEENSM_5valueIsEEEEEEEEEEEE10hipError_tPvRmT3_T4_T5_T6_T7_T9_mT8_P12ihipStream_tbDpT10_ENKUlT_T0_E_clISt17integral_constantIbLb0EES1K_EEDaS1F_S1G_EUlS1F_E_NS1_11comp_targetILNS1_3genE3ELNS1_11target_archE908ELNS1_3gpuE7ELNS1_3repE0EEENS1_30default_config_static_selectorELNS0_4arch9wavefront6targetE0EEEvT1_
    .private_segment_fixed_size: 0
    .sgpr_count:     0
    .sgpr_spill_count: 0
    .symbol:         _ZN7rocprim17ROCPRIM_400000_NS6detail17trampoline_kernelINS0_14default_configENS1_25partition_config_selectorILNS1_17partition_subalgoE6EsNS0_10empty_typeEbEEZZNS1_14partition_implILS5_6ELb0ES3_mN6thrust23THRUST_200600_302600_NS6detail15normal_iteratorINSA_10device_ptrIsEEEEPS6_SG_NS0_5tupleIJSF_S6_EEENSH_IJSG_SG_EEES6_PlJNSB_9not_fun_tINSB_10functional5actorINSM_9compositeIJNSM_27transparent_binary_operatorINSA_8equal_toIvEEEENSN_INSM_8argumentILj0EEEEENSM_5valueIsEEEEEEEEEEEE10hipError_tPvRmT3_T4_T5_T6_T7_T9_mT8_P12ihipStream_tbDpT10_ENKUlT_T0_E_clISt17integral_constantIbLb0EES1K_EEDaS1F_S1G_EUlS1F_E_NS1_11comp_targetILNS1_3genE3ELNS1_11target_archE908ELNS1_3gpuE7ELNS1_3repE0EEENS1_30default_config_static_selectorELNS0_4arch9wavefront6targetE0EEEvT1_.kd
    .uniform_work_group_size: 1
    .uses_dynamic_stack: false
    .vgpr_count:     0
    .vgpr_spill_count: 0
    .wavefront_size: 32
    .workgroup_processor_mode: 1
  - .args:
      - .offset:         0
        .size:           120
        .value_kind:     by_value
    .group_segment_fixed_size: 0
    .kernarg_segment_align: 8
    .kernarg_segment_size: 120
    .language:       OpenCL C
    .language_version:
      - 2
      - 0
    .max_flat_workgroup_size: 256
    .name:           _ZN7rocprim17ROCPRIM_400000_NS6detail17trampoline_kernelINS0_14default_configENS1_25partition_config_selectorILNS1_17partition_subalgoE6EsNS0_10empty_typeEbEEZZNS1_14partition_implILS5_6ELb0ES3_mN6thrust23THRUST_200600_302600_NS6detail15normal_iteratorINSA_10device_ptrIsEEEEPS6_SG_NS0_5tupleIJSF_S6_EEENSH_IJSG_SG_EEES6_PlJNSB_9not_fun_tINSB_10functional5actorINSM_9compositeIJNSM_27transparent_binary_operatorINSA_8equal_toIvEEEENSN_INSM_8argumentILj0EEEEENSM_5valueIsEEEEEEEEEEEE10hipError_tPvRmT3_T4_T5_T6_T7_T9_mT8_P12ihipStream_tbDpT10_ENKUlT_T0_E_clISt17integral_constantIbLb0EES1K_EEDaS1F_S1G_EUlS1F_E_NS1_11comp_targetILNS1_3genE2ELNS1_11target_archE906ELNS1_3gpuE6ELNS1_3repE0EEENS1_30default_config_static_selectorELNS0_4arch9wavefront6targetE0EEEvT1_
    .private_segment_fixed_size: 0
    .sgpr_count:     0
    .sgpr_spill_count: 0
    .symbol:         _ZN7rocprim17ROCPRIM_400000_NS6detail17trampoline_kernelINS0_14default_configENS1_25partition_config_selectorILNS1_17partition_subalgoE6EsNS0_10empty_typeEbEEZZNS1_14partition_implILS5_6ELb0ES3_mN6thrust23THRUST_200600_302600_NS6detail15normal_iteratorINSA_10device_ptrIsEEEEPS6_SG_NS0_5tupleIJSF_S6_EEENSH_IJSG_SG_EEES6_PlJNSB_9not_fun_tINSB_10functional5actorINSM_9compositeIJNSM_27transparent_binary_operatorINSA_8equal_toIvEEEENSN_INSM_8argumentILj0EEEEENSM_5valueIsEEEEEEEEEEEE10hipError_tPvRmT3_T4_T5_T6_T7_T9_mT8_P12ihipStream_tbDpT10_ENKUlT_T0_E_clISt17integral_constantIbLb0EES1K_EEDaS1F_S1G_EUlS1F_E_NS1_11comp_targetILNS1_3genE2ELNS1_11target_archE906ELNS1_3gpuE6ELNS1_3repE0EEENS1_30default_config_static_selectorELNS0_4arch9wavefront6targetE0EEEvT1_.kd
    .uniform_work_group_size: 1
    .uses_dynamic_stack: false
    .vgpr_count:     0
    .vgpr_spill_count: 0
    .wavefront_size: 32
    .workgroup_processor_mode: 1
  - .args:
      - .offset:         0
        .size:           120
        .value_kind:     by_value
    .group_segment_fixed_size: 13840
    .kernarg_segment_align: 8
    .kernarg_segment_size: 120
    .language:       OpenCL C
    .language_version:
      - 2
      - 0
    .max_flat_workgroup_size: 384
    .name:           _ZN7rocprim17ROCPRIM_400000_NS6detail17trampoline_kernelINS0_14default_configENS1_25partition_config_selectorILNS1_17partition_subalgoE6EsNS0_10empty_typeEbEEZZNS1_14partition_implILS5_6ELb0ES3_mN6thrust23THRUST_200600_302600_NS6detail15normal_iteratorINSA_10device_ptrIsEEEEPS6_SG_NS0_5tupleIJSF_S6_EEENSH_IJSG_SG_EEES6_PlJNSB_9not_fun_tINSB_10functional5actorINSM_9compositeIJNSM_27transparent_binary_operatorINSA_8equal_toIvEEEENSN_INSM_8argumentILj0EEEEENSM_5valueIsEEEEEEEEEEEE10hipError_tPvRmT3_T4_T5_T6_T7_T9_mT8_P12ihipStream_tbDpT10_ENKUlT_T0_E_clISt17integral_constantIbLb0EES1K_EEDaS1F_S1G_EUlS1F_E_NS1_11comp_targetILNS1_3genE10ELNS1_11target_archE1200ELNS1_3gpuE4ELNS1_3repE0EEENS1_30default_config_static_selectorELNS0_4arch9wavefront6targetE0EEEvT1_
    .private_segment_fixed_size: 0
    .sgpr_count:     30
    .sgpr_spill_count: 0
    .symbol:         _ZN7rocprim17ROCPRIM_400000_NS6detail17trampoline_kernelINS0_14default_configENS1_25partition_config_selectorILNS1_17partition_subalgoE6EsNS0_10empty_typeEbEEZZNS1_14partition_implILS5_6ELb0ES3_mN6thrust23THRUST_200600_302600_NS6detail15normal_iteratorINSA_10device_ptrIsEEEEPS6_SG_NS0_5tupleIJSF_S6_EEENSH_IJSG_SG_EEES6_PlJNSB_9not_fun_tINSB_10functional5actorINSM_9compositeIJNSM_27transparent_binary_operatorINSA_8equal_toIvEEEENSN_INSM_8argumentILj0EEEEENSM_5valueIsEEEEEEEEEEEE10hipError_tPvRmT3_T4_T5_T6_T7_T9_mT8_P12ihipStream_tbDpT10_ENKUlT_T0_E_clISt17integral_constantIbLb0EES1K_EEDaS1F_S1G_EUlS1F_E_NS1_11comp_targetILNS1_3genE10ELNS1_11target_archE1200ELNS1_3gpuE4ELNS1_3repE0EEENS1_30default_config_static_selectorELNS0_4arch9wavefront6targetE0EEEvT1_.kd
    .uniform_work_group_size: 1
    .uses_dynamic_stack: false
    .vgpr_count:     73
    .vgpr_spill_count: 0
    .wavefront_size: 32
    .workgroup_processor_mode: 1
  - .args:
      - .offset:         0
        .size:           120
        .value_kind:     by_value
    .group_segment_fixed_size: 0
    .kernarg_segment_align: 8
    .kernarg_segment_size: 120
    .language:       OpenCL C
    .language_version:
      - 2
      - 0
    .max_flat_workgroup_size: 128
    .name:           _ZN7rocprim17ROCPRIM_400000_NS6detail17trampoline_kernelINS0_14default_configENS1_25partition_config_selectorILNS1_17partition_subalgoE6EsNS0_10empty_typeEbEEZZNS1_14partition_implILS5_6ELb0ES3_mN6thrust23THRUST_200600_302600_NS6detail15normal_iteratorINSA_10device_ptrIsEEEEPS6_SG_NS0_5tupleIJSF_S6_EEENSH_IJSG_SG_EEES6_PlJNSB_9not_fun_tINSB_10functional5actorINSM_9compositeIJNSM_27transparent_binary_operatorINSA_8equal_toIvEEEENSN_INSM_8argumentILj0EEEEENSM_5valueIsEEEEEEEEEEEE10hipError_tPvRmT3_T4_T5_T6_T7_T9_mT8_P12ihipStream_tbDpT10_ENKUlT_T0_E_clISt17integral_constantIbLb0EES1K_EEDaS1F_S1G_EUlS1F_E_NS1_11comp_targetILNS1_3genE9ELNS1_11target_archE1100ELNS1_3gpuE3ELNS1_3repE0EEENS1_30default_config_static_selectorELNS0_4arch9wavefront6targetE0EEEvT1_
    .private_segment_fixed_size: 0
    .sgpr_count:     0
    .sgpr_spill_count: 0
    .symbol:         _ZN7rocprim17ROCPRIM_400000_NS6detail17trampoline_kernelINS0_14default_configENS1_25partition_config_selectorILNS1_17partition_subalgoE6EsNS0_10empty_typeEbEEZZNS1_14partition_implILS5_6ELb0ES3_mN6thrust23THRUST_200600_302600_NS6detail15normal_iteratorINSA_10device_ptrIsEEEEPS6_SG_NS0_5tupleIJSF_S6_EEENSH_IJSG_SG_EEES6_PlJNSB_9not_fun_tINSB_10functional5actorINSM_9compositeIJNSM_27transparent_binary_operatorINSA_8equal_toIvEEEENSN_INSM_8argumentILj0EEEEENSM_5valueIsEEEEEEEEEEEE10hipError_tPvRmT3_T4_T5_T6_T7_T9_mT8_P12ihipStream_tbDpT10_ENKUlT_T0_E_clISt17integral_constantIbLb0EES1K_EEDaS1F_S1G_EUlS1F_E_NS1_11comp_targetILNS1_3genE9ELNS1_11target_archE1100ELNS1_3gpuE3ELNS1_3repE0EEENS1_30default_config_static_selectorELNS0_4arch9wavefront6targetE0EEEvT1_.kd
    .uniform_work_group_size: 1
    .uses_dynamic_stack: false
    .vgpr_count:     0
    .vgpr_spill_count: 0
    .wavefront_size: 32
    .workgroup_processor_mode: 1
  - .args:
      - .offset:         0
        .size:           120
        .value_kind:     by_value
    .group_segment_fixed_size: 0
    .kernarg_segment_align: 8
    .kernarg_segment_size: 120
    .language:       OpenCL C
    .language_version:
      - 2
      - 0
    .max_flat_workgroup_size: 256
    .name:           _ZN7rocprim17ROCPRIM_400000_NS6detail17trampoline_kernelINS0_14default_configENS1_25partition_config_selectorILNS1_17partition_subalgoE6EsNS0_10empty_typeEbEEZZNS1_14partition_implILS5_6ELb0ES3_mN6thrust23THRUST_200600_302600_NS6detail15normal_iteratorINSA_10device_ptrIsEEEEPS6_SG_NS0_5tupleIJSF_S6_EEENSH_IJSG_SG_EEES6_PlJNSB_9not_fun_tINSB_10functional5actorINSM_9compositeIJNSM_27transparent_binary_operatorINSA_8equal_toIvEEEENSN_INSM_8argumentILj0EEEEENSM_5valueIsEEEEEEEEEEEE10hipError_tPvRmT3_T4_T5_T6_T7_T9_mT8_P12ihipStream_tbDpT10_ENKUlT_T0_E_clISt17integral_constantIbLb0EES1K_EEDaS1F_S1G_EUlS1F_E_NS1_11comp_targetILNS1_3genE8ELNS1_11target_archE1030ELNS1_3gpuE2ELNS1_3repE0EEENS1_30default_config_static_selectorELNS0_4arch9wavefront6targetE0EEEvT1_
    .private_segment_fixed_size: 0
    .sgpr_count:     0
    .sgpr_spill_count: 0
    .symbol:         _ZN7rocprim17ROCPRIM_400000_NS6detail17trampoline_kernelINS0_14default_configENS1_25partition_config_selectorILNS1_17partition_subalgoE6EsNS0_10empty_typeEbEEZZNS1_14partition_implILS5_6ELb0ES3_mN6thrust23THRUST_200600_302600_NS6detail15normal_iteratorINSA_10device_ptrIsEEEEPS6_SG_NS0_5tupleIJSF_S6_EEENSH_IJSG_SG_EEES6_PlJNSB_9not_fun_tINSB_10functional5actorINSM_9compositeIJNSM_27transparent_binary_operatorINSA_8equal_toIvEEEENSN_INSM_8argumentILj0EEEEENSM_5valueIsEEEEEEEEEEEE10hipError_tPvRmT3_T4_T5_T6_T7_T9_mT8_P12ihipStream_tbDpT10_ENKUlT_T0_E_clISt17integral_constantIbLb0EES1K_EEDaS1F_S1G_EUlS1F_E_NS1_11comp_targetILNS1_3genE8ELNS1_11target_archE1030ELNS1_3gpuE2ELNS1_3repE0EEENS1_30default_config_static_selectorELNS0_4arch9wavefront6targetE0EEEvT1_.kd
    .uniform_work_group_size: 1
    .uses_dynamic_stack: false
    .vgpr_count:     0
    .vgpr_spill_count: 0
    .wavefront_size: 32
    .workgroup_processor_mode: 1
  - .args:
      - .offset:         0
        .size:           128
        .value_kind:     by_value
    .group_segment_fixed_size: 0
    .kernarg_segment_align: 8
    .kernarg_segment_size: 128
    .language:       OpenCL C
    .language_version:
      - 2
      - 0
    .max_flat_workgroup_size: 256
    .name:           _ZN7rocprim17ROCPRIM_400000_NS6detail17trampoline_kernelINS0_14default_configENS1_25partition_config_selectorILNS1_17partition_subalgoE6EsNS0_10empty_typeEbEEZZNS1_14partition_implILS5_6ELb0ES3_mN6thrust23THRUST_200600_302600_NS6detail15normal_iteratorINSA_10device_ptrIsEEEEPS6_SG_NS0_5tupleIJSF_S6_EEENSH_IJSG_SG_EEES6_PlJNSB_9not_fun_tINSB_10functional5actorINSM_9compositeIJNSM_27transparent_binary_operatorINSA_8equal_toIvEEEENSN_INSM_8argumentILj0EEEEENSM_5valueIsEEEEEEEEEEEE10hipError_tPvRmT3_T4_T5_T6_T7_T9_mT8_P12ihipStream_tbDpT10_ENKUlT_T0_E_clISt17integral_constantIbLb1EES1K_EEDaS1F_S1G_EUlS1F_E_NS1_11comp_targetILNS1_3genE0ELNS1_11target_archE4294967295ELNS1_3gpuE0ELNS1_3repE0EEENS1_30default_config_static_selectorELNS0_4arch9wavefront6targetE0EEEvT1_
    .private_segment_fixed_size: 0
    .sgpr_count:     0
    .sgpr_spill_count: 0
    .symbol:         _ZN7rocprim17ROCPRIM_400000_NS6detail17trampoline_kernelINS0_14default_configENS1_25partition_config_selectorILNS1_17partition_subalgoE6EsNS0_10empty_typeEbEEZZNS1_14partition_implILS5_6ELb0ES3_mN6thrust23THRUST_200600_302600_NS6detail15normal_iteratorINSA_10device_ptrIsEEEEPS6_SG_NS0_5tupleIJSF_S6_EEENSH_IJSG_SG_EEES6_PlJNSB_9not_fun_tINSB_10functional5actorINSM_9compositeIJNSM_27transparent_binary_operatorINSA_8equal_toIvEEEENSN_INSM_8argumentILj0EEEEENSM_5valueIsEEEEEEEEEEEE10hipError_tPvRmT3_T4_T5_T6_T7_T9_mT8_P12ihipStream_tbDpT10_ENKUlT_T0_E_clISt17integral_constantIbLb1EES1K_EEDaS1F_S1G_EUlS1F_E_NS1_11comp_targetILNS1_3genE0ELNS1_11target_archE4294967295ELNS1_3gpuE0ELNS1_3repE0EEENS1_30default_config_static_selectorELNS0_4arch9wavefront6targetE0EEEvT1_.kd
    .uniform_work_group_size: 1
    .uses_dynamic_stack: false
    .vgpr_count:     0
    .vgpr_spill_count: 0
    .wavefront_size: 32
    .workgroup_processor_mode: 1
  - .args:
      - .offset:         0
        .size:           128
        .value_kind:     by_value
    .group_segment_fixed_size: 0
    .kernarg_segment_align: 8
    .kernarg_segment_size: 128
    .language:       OpenCL C
    .language_version:
      - 2
      - 0
    .max_flat_workgroup_size: 512
    .name:           _ZN7rocprim17ROCPRIM_400000_NS6detail17trampoline_kernelINS0_14default_configENS1_25partition_config_selectorILNS1_17partition_subalgoE6EsNS0_10empty_typeEbEEZZNS1_14partition_implILS5_6ELb0ES3_mN6thrust23THRUST_200600_302600_NS6detail15normal_iteratorINSA_10device_ptrIsEEEEPS6_SG_NS0_5tupleIJSF_S6_EEENSH_IJSG_SG_EEES6_PlJNSB_9not_fun_tINSB_10functional5actorINSM_9compositeIJNSM_27transparent_binary_operatorINSA_8equal_toIvEEEENSN_INSM_8argumentILj0EEEEENSM_5valueIsEEEEEEEEEEEE10hipError_tPvRmT3_T4_T5_T6_T7_T9_mT8_P12ihipStream_tbDpT10_ENKUlT_T0_E_clISt17integral_constantIbLb1EES1K_EEDaS1F_S1G_EUlS1F_E_NS1_11comp_targetILNS1_3genE5ELNS1_11target_archE942ELNS1_3gpuE9ELNS1_3repE0EEENS1_30default_config_static_selectorELNS0_4arch9wavefront6targetE0EEEvT1_
    .private_segment_fixed_size: 0
    .sgpr_count:     0
    .sgpr_spill_count: 0
    .symbol:         _ZN7rocprim17ROCPRIM_400000_NS6detail17trampoline_kernelINS0_14default_configENS1_25partition_config_selectorILNS1_17partition_subalgoE6EsNS0_10empty_typeEbEEZZNS1_14partition_implILS5_6ELb0ES3_mN6thrust23THRUST_200600_302600_NS6detail15normal_iteratorINSA_10device_ptrIsEEEEPS6_SG_NS0_5tupleIJSF_S6_EEENSH_IJSG_SG_EEES6_PlJNSB_9not_fun_tINSB_10functional5actorINSM_9compositeIJNSM_27transparent_binary_operatorINSA_8equal_toIvEEEENSN_INSM_8argumentILj0EEEEENSM_5valueIsEEEEEEEEEEEE10hipError_tPvRmT3_T4_T5_T6_T7_T9_mT8_P12ihipStream_tbDpT10_ENKUlT_T0_E_clISt17integral_constantIbLb1EES1K_EEDaS1F_S1G_EUlS1F_E_NS1_11comp_targetILNS1_3genE5ELNS1_11target_archE942ELNS1_3gpuE9ELNS1_3repE0EEENS1_30default_config_static_selectorELNS0_4arch9wavefront6targetE0EEEvT1_.kd
    .uniform_work_group_size: 1
    .uses_dynamic_stack: false
    .vgpr_count:     0
    .vgpr_spill_count: 0
    .wavefront_size: 32
    .workgroup_processor_mode: 1
  - .args:
      - .offset:         0
        .size:           128
        .value_kind:     by_value
    .group_segment_fixed_size: 0
    .kernarg_segment_align: 8
    .kernarg_segment_size: 128
    .language:       OpenCL C
    .language_version:
      - 2
      - 0
    .max_flat_workgroup_size: 256
    .name:           _ZN7rocprim17ROCPRIM_400000_NS6detail17trampoline_kernelINS0_14default_configENS1_25partition_config_selectorILNS1_17partition_subalgoE6EsNS0_10empty_typeEbEEZZNS1_14partition_implILS5_6ELb0ES3_mN6thrust23THRUST_200600_302600_NS6detail15normal_iteratorINSA_10device_ptrIsEEEEPS6_SG_NS0_5tupleIJSF_S6_EEENSH_IJSG_SG_EEES6_PlJNSB_9not_fun_tINSB_10functional5actorINSM_9compositeIJNSM_27transparent_binary_operatorINSA_8equal_toIvEEEENSN_INSM_8argumentILj0EEEEENSM_5valueIsEEEEEEEEEEEE10hipError_tPvRmT3_T4_T5_T6_T7_T9_mT8_P12ihipStream_tbDpT10_ENKUlT_T0_E_clISt17integral_constantIbLb1EES1K_EEDaS1F_S1G_EUlS1F_E_NS1_11comp_targetILNS1_3genE4ELNS1_11target_archE910ELNS1_3gpuE8ELNS1_3repE0EEENS1_30default_config_static_selectorELNS0_4arch9wavefront6targetE0EEEvT1_
    .private_segment_fixed_size: 0
    .sgpr_count:     0
    .sgpr_spill_count: 0
    .symbol:         _ZN7rocprim17ROCPRIM_400000_NS6detail17trampoline_kernelINS0_14default_configENS1_25partition_config_selectorILNS1_17partition_subalgoE6EsNS0_10empty_typeEbEEZZNS1_14partition_implILS5_6ELb0ES3_mN6thrust23THRUST_200600_302600_NS6detail15normal_iteratorINSA_10device_ptrIsEEEEPS6_SG_NS0_5tupleIJSF_S6_EEENSH_IJSG_SG_EEES6_PlJNSB_9not_fun_tINSB_10functional5actorINSM_9compositeIJNSM_27transparent_binary_operatorINSA_8equal_toIvEEEENSN_INSM_8argumentILj0EEEEENSM_5valueIsEEEEEEEEEEEE10hipError_tPvRmT3_T4_T5_T6_T7_T9_mT8_P12ihipStream_tbDpT10_ENKUlT_T0_E_clISt17integral_constantIbLb1EES1K_EEDaS1F_S1G_EUlS1F_E_NS1_11comp_targetILNS1_3genE4ELNS1_11target_archE910ELNS1_3gpuE8ELNS1_3repE0EEENS1_30default_config_static_selectorELNS0_4arch9wavefront6targetE0EEEvT1_.kd
    .uniform_work_group_size: 1
    .uses_dynamic_stack: false
    .vgpr_count:     0
    .vgpr_spill_count: 0
    .wavefront_size: 32
    .workgroup_processor_mode: 1
  - .args:
      - .offset:         0
        .size:           128
        .value_kind:     by_value
    .group_segment_fixed_size: 0
    .kernarg_segment_align: 8
    .kernarg_segment_size: 128
    .language:       OpenCL C
    .language_version:
      - 2
      - 0
    .max_flat_workgroup_size: 256
    .name:           _ZN7rocprim17ROCPRIM_400000_NS6detail17trampoline_kernelINS0_14default_configENS1_25partition_config_selectorILNS1_17partition_subalgoE6EsNS0_10empty_typeEbEEZZNS1_14partition_implILS5_6ELb0ES3_mN6thrust23THRUST_200600_302600_NS6detail15normal_iteratorINSA_10device_ptrIsEEEEPS6_SG_NS0_5tupleIJSF_S6_EEENSH_IJSG_SG_EEES6_PlJNSB_9not_fun_tINSB_10functional5actorINSM_9compositeIJNSM_27transparent_binary_operatorINSA_8equal_toIvEEEENSN_INSM_8argumentILj0EEEEENSM_5valueIsEEEEEEEEEEEE10hipError_tPvRmT3_T4_T5_T6_T7_T9_mT8_P12ihipStream_tbDpT10_ENKUlT_T0_E_clISt17integral_constantIbLb1EES1K_EEDaS1F_S1G_EUlS1F_E_NS1_11comp_targetILNS1_3genE3ELNS1_11target_archE908ELNS1_3gpuE7ELNS1_3repE0EEENS1_30default_config_static_selectorELNS0_4arch9wavefront6targetE0EEEvT1_
    .private_segment_fixed_size: 0
    .sgpr_count:     0
    .sgpr_spill_count: 0
    .symbol:         _ZN7rocprim17ROCPRIM_400000_NS6detail17trampoline_kernelINS0_14default_configENS1_25partition_config_selectorILNS1_17partition_subalgoE6EsNS0_10empty_typeEbEEZZNS1_14partition_implILS5_6ELb0ES3_mN6thrust23THRUST_200600_302600_NS6detail15normal_iteratorINSA_10device_ptrIsEEEEPS6_SG_NS0_5tupleIJSF_S6_EEENSH_IJSG_SG_EEES6_PlJNSB_9not_fun_tINSB_10functional5actorINSM_9compositeIJNSM_27transparent_binary_operatorINSA_8equal_toIvEEEENSN_INSM_8argumentILj0EEEEENSM_5valueIsEEEEEEEEEEEE10hipError_tPvRmT3_T4_T5_T6_T7_T9_mT8_P12ihipStream_tbDpT10_ENKUlT_T0_E_clISt17integral_constantIbLb1EES1K_EEDaS1F_S1G_EUlS1F_E_NS1_11comp_targetILNS1_3genE3ELNS1_11target_archE908ELNS1_3gpuE7ELNS1_3repE0EEENS1_30default_config_static_selectorELNS0_4arch9wavefront6targetE0EEEvT1_.kd
    .uniform_work_group_size: 1
    .uses_dynamic_stack: false
    .vgpr_count:     0
    .vgpr_spill_count: 0
    .wavefront_size: 32
    .workgroup_processor_mode: 1
  - .args:
      - .offset:         0
        .size:           128
        .value_kind:     by_value
    .group_segment_fixed_size: 0
    .kernarg_segment_align: 8
    .kernarg_segment_size: 128
    .language:       OpenCL C
    .language_version:
      - 2
      - 0
    .max_flat_workgroup_size: 256
    .name:           _ZN7rocprim17ROCPRIM_400000_NS6detail17trampoline_kernelINS0_14default_configENS1_25partition_config_selectorILNS1_17partition_subalgoE6EsNS0_10empty_typeEbEEZZNS1_14partition_implILS5_6ELb0ES3_mN6thrust23THRUST_200600_302600_NS6detail15normal_iteratorINSA_10device_ptrIsEEEEPS6_SG_NS0_5tupleIJSF_S6_EEENSH_IJSG_SG_EEES6_PlJNSB_9not_fun_tINSB_10functional5actorINSM_9compositeIJNSM_27transparent_binary_operatorINSA_8equal_toIvEEEENSN_INSM_8argumentILj0EEEEENSM_5valueIsEEEEEEEEEEEE10hipError_tPvRmT3_T4_T5_T6_T7_T9_mT8_P12ihipStream_tbDpT10_ENKUlT_T0_E_clISt17integral_constantIbLb1EES1K_EEDaS1F_S1G_EUlS1F_E_NS1_11comp_targetILNS1_3genE2ELNS1_11target_archE906ELNS1_3gpuE6ELNS1_3repE0EEENS1_30default_config_static_selectorELNS0_4arch9wavefront6targetE0EEEvT1_
    .private_segment_fixed_size: 0
    .sgpr_count:     0
    .sgpr_spill_count: 0
    .symbol:         _ZN7rocprim17ROCPRIM_400000_NS6detail17trampoline_kernelINS0_14default_configENS1_25partition_config_selectorILNS1_17partition_subalgoE6EsNS0_10empty_typeEbEEZZNS1_14partition_implILS5_6ELb0ES3_mN6thrust23THRUST_200600_302600_NS6detail15normal_iteratorINSA_10device_ptrIsEEEEPS6_SG_NS0_5tupleIJSF_S6_EEENSH_IJSG_SG_EEES6_PlJNSB_9not_fun_tINSB_10functional5actorINSM_9compositeIJNSM_27transparent_binary_operatorINSA_8equal_toIvEEEENSN_INSM_8argumentILj0EEEEENSM_5valueIsEEEEEEEEEEEE10hipError_tPvRmT3_T4_T5_T6_T7_T9_mT8_P12ihipStream_tbDpT10_ENKUlT_T0_E_clISt17integral_constantIbLb1EES1K_EEDaS1F_S1G_EUlS1F_E_NS1_11comp_targetILNS1_3genE2ELNS1_11target_archE906ELNS1_3gpuE6ELNS1_3repE0EEENS1_30default_config_static_selectorELNS0_4arch9wavefront6targetE0EEEvT1_.kd
    .uniform_work_group_size: 1
    .uses_dynamic_stack: false
    .vgpr_count:     0
    .vgpr_spill_count: 0
    .wavefront_size: 32
    .workgroup_processor_mode: 1
  - .args:
      - .offset:         0
        .size:           128
        .value_kind:     by_value
    .group_segment_fixed_size: 0
    .kernarg_segment_align: 8
    .kernarg_segment_size: 128
    .language:       OpenCL C
    .language_version:
      - 2
      - 0
    .max_flat_workgroup_size: 384
    .name:           _ZN7rocprim17ROCPRIM_400000_NS6detail17trampoline_kernelINS0_14default_configENS1_25partition_config_selectorILNS1_17partition_subalgoE6EsNS0_10empty_typeEbEEZZNS1_14partition_implILS5_6ELb0ES3_mN6thrust23THRUST_200600_302600_NS6detail15normal_iteratorINSA_10device_ptrIsEEEEPS6_SG_NS0_5tupleIJSF_S6_EEENSH_IJSG_SG_EEES6_PlJNSB_9not_fun_tINSB_10functional5actorINSM_9compositeIJNSM_27transparent_binary_operatorINSA_8equal_toIvEEEENSN_INSM_8argumentILj0EEEEENSM_5valueIsEEEEEEEEEEEE10hipError_tPvRmT3_T4_T5_T6_T7_T9_mT8_P12ihipStream_tbDpT10_ENKUlT_T0_E_clISt17integral_constantIbLb1EES1K_EEDaS1F_S1G_EUlS1F_E_NS1_11comp_targetILNS1_3genE10ELNS1_11target_archE1200ELNS1_3gpuE4ELNS1_3repE0EEENS1_30default_config_static_selectorELNS0_4arch9wavefront6targetE0EEEvT1_
    .private_segment_fixed_size: 0
    .sgpr_count:     0
    .sgpr_spill_count: 0
    .symbol:         _ZN7rocprim17ROCPRIM_400000_NS6detail17trampoline_kernelINS0_14default_configENS1_25partition_config_selectorILNS1_17partition_subalgoE6EsNS0_10empty_typeEbEEZZNS1_14partition_implILS5_6ELb0ES3_mN6thrust23THRUST_200600_302600_NS6detail15normal_iteratorINSA_10device_ptrIsEEEEPS6_SG_NS0_5tupleIJSF_S6_EEENSH_IJSG_SG_EEES6_PlJNSB_9not_fun_tINSB_10functional5actorINSM_9compositeIJNSM_27transparent_binary_operatorINSA_8equal_toIvEEEENSN_INSM_8argumentILj0EEEEENSM_5valueIsEEEEEEEEEEEE10hipError_tPvRmT3_T4_T5_T6_T7_T9_mT8_P12ihipStream_tbDpT10_ENKUlT_T0_E_clISt17integral_constantIbLb1EES1K_EEDaS1F_S1G_EUlS1F_E_NS1_11comp_targetILNS1_3genE10ELNS1_11target_archE1200ELNS1_3gpuE4ELNS1_3repE0EEENS1_30default_config_static_selectorELNS0_4arch9wavefront6targetE0EEEvT1_.kd
    .uniform_work_group_size: 1
    .uses_dynamic_stack: false
    .vgpr_count:     0
    .vgpr_spill_count: 0
    .wavefront_size: 32
    .workgroup_processor_mode: 1
  - .args:
      - .offset:         0
        .size:           128
        .value_kind:     by_value
    .group_segment_fixed_size: 0
    .kernarg_segment_align: 8
    .kernarg_segment_size: 128
    .language:       OpenCL C
    .language_version:
      - 2
      - 0
    .max_flat_workgroup_size: 128
    .name:           _ZN7rocprim17ROCPRIM_400000_NS6detail17trampoline_kernelINS0_14default_configENS1_25partition_config_selectorILNS1_17partition_subalgoE6EsNS0_10empty_typeEbEEZZNS1_14partition_implILS5_6ELb0ES3_mN6thrust23THRUST_200600_302600_NS6detail15normal_iteratorINSA_10device_ptrIsEEEEPS6_SG_NS0_5tupleIJSF_S6_EEENSH_IJSG_SG_EEES6_PlJNSB_9not_fun_tINSB_10functional5actorINSM_9compositeIJNSM_27transparent_binary_operatorINSA_8equal_toIvEEEENSN_INSM_8argumentILj0EEEEENSM_5valueIsEEEEEEEEEEEE10hipError_tPvRmT3_T4_T5_T6_T7_T9_mT8_P12ihipStream_tbDpT10_ENKUlT_T0_E_clISt17integral_constantIbLb1EES1K_EEDaS1F_S1G_EUlS1F_E_NS1_11comp_targetILNS1_3genE9ELNS1_11target_archE1100ELNS1_3gpuE3ELNS1_3repE0EEENS1_30default_config_static_selectorELNS0_4arch9wavefront6targetE0EEEvT1_
    .private_segment_fixed_size: 0
    .sgpr_count:     0
    .sgpr_spill_count: 0
    .symbol:         _ZN7rocprim17ROCPRIM_400000_NS6detail17trampoline_kernelINS0_14default_configENS1_25partition_config_selectorILNS1_17partition_subalgoE6EsNS0_10empty_typeEbEEZZNS1_14partition_implILS5_6ELb0ES3_mN6thrust23THRUST_200600_302600_NS6detail15normal_iteratorINSA_10device_ptrIsEEEEPS6_SG_NS0_5tupleIJSF_S6_EEENSH_IJSG_SG_EEES6_PlJNSB_9not_fun_tINSB_10functional5actorINSM_9compositeIJNSM_27transparent_binary_operatorINSA_8equal_toIvEEEENSN_INSM_8argumentILj0EEEEENSM_5valueIsEEEEEEEEEEEE10hipError_tPvRmT3_T4_T5_T6_T7_T9_mT8_P12ihipStream_tbDpT10_ENKUlT_T0_E_clISt17integral_constantIbLb1EES1K_EEDaS1F_S1G_EUlS1F_E_NS1_11comp_targetILNS1_3genE9ELNS1_11target_archE1100ELNS1_3gpuE3ELNS1_3repE0EEENS1_30default_config_static_selectorELNS0_4arch9wavefront6targetE0EEEvT1_.kd
    .uniform_work_group_size: 1
    .uses_dynamic_stack: false
    .vgpr_count:     0
    .vgpr_spill_count: 0
    .wavefront_size: 32
    .workgroup_processor_mode: 1
  - .args:
      - .offset:         0
        .size:           128
        .value_kind:     by_value
    .group_segment_fixed_size: 0
    .kernarg_segment_align: 8
    .kernarg_segment_size: 128
    .language:       OpenCL C
    .language_version:
      - 2
      - 0
    .max_flat_workgroup_size: 256
    .name:           _ZN7rocprim17ROCPRIM_400000_NS6detail17trampoline_kernelINS0_14default_configENS1_25partition_config_selectorILNS1_17partition_subalgoE6EsNS0_10empty_typeEbEEZZNS1_14partition_implILS5_6ELb0ES3_mN6thrust23THRUST_200600_302600_NS6detail15normal_iteratorINSA_10device_ptrIsEEEEPS6_SG_NS0_5tupleIJSF_S6_EEENSH_IJSG_SG_EEES6_PlJNSB_9not_fun_tINSB_10functional5actorINSM_9compositeIJNSM_27transparent_binary_operatorINSA_8equal_toIvEEEENSN_INSM_8argumentILj0EEEEENSM_5valueIsEEEEEEEEEEEE10hipError_tPvRmT3_T4_T5_T6_T7_T9_mT8_P12ihipStream_tbDpT10_ENKUlT_T0_E_clISt17integral_constantIbLb1EES1K_EEDaS1F_S1G_EUlS1F_E_NS1_11comp_targetILNS1_3genE8ELNS1_11target_archE1030ELNS1_3gpuE2ELNS1_3repE0EEENS1_30default_config_static_selectorELNS0_4arch9wavefront6targetE0EEEvT1_
    .private_segment_fixed_size: 0
    .sgpr_count:     0
    .sgpr_spill_count: 0
    .symbol:         _ZN7rocprim17ROCPRIM_400000_NS6detail17trampoline_kernelINS0_14default_configENS1_25partition_config_selectorILNS1_17partition_subalgoE6EsNS0_10empty_typeEbEEZZNS1_14partition_implILS5_6ELb0ES3_mN6thrust23THRUST_200600_302600_NS6detail15normal_iteratorINSA_10device_ptrIsEEEEPS6_SG_NS0_5tupleIJSF_S6_EEENSH_IJSG_SG_EEES6_PlJNSB_9not_fun_tINSB_10functional5actorINSM_9compositeIJNSM_27transparent_binary_operatorINSA_8equal_toIvEEEENSN_INSM_8argumentILj0EEEEENSM_5valueIsEEEEEEEEEEEE10hipError_tPvRmT3_T4_T5_T6_T7_T9_mT8_P12ihipStream_tbDpT10_ENKUlT_T0_E_clISt17integral_constantIbLb1EES1K_EEDaS1F_S1G_EUlS1F_E_NS1_11comp_targetILNS1_3genE8ELNS1_11target_archE1030ELNS1_3gpuE2ELNS1_3repE0EEENS1_30default_config_static_selectorELNS0_4arch9wavefront6targetE0EEEvT1_.kd
    .uniform_work_group_size: 1
    .uses_dynamic_stack: false
    .vgpr_count:     0
    .vgpr_spill_count: 0
    .wavefront_size: 32
    .workgroup_processor_mode: 1
  - .args:
      - .offset:         0
        .size:           120
        .value_kind:     by_value
    .group_segment_fixed_size: 0
    .kernarg_segment_align: 8
    .kernarg_segment_size: 120
    .language:       OpenCL C
    .language_version:
      - 2
      - 0
    .max_flat_workgroup_size: 256
    .name:           _ZN7rocprim17ROCPRIM_400000_NS6detail17trampoline_kernelINS0_14default_configENS1_25partition_config_selectorILNS1_17partition_subalgoE6EsNS0_10empty_typeEbEEZZNS1_14partition_implILS5_6ELb0ES3_mN6thrust23THRUST_200600_302600_NS6detail15normal_iteratorINSA_10device_ptrIsEEEEPS6_SG_NS0_5tupleIJSF_S6_EEENSH_IJSG_SG_EEES6_PlJNSB_9not_fun_tINSB_10functional5actorINSM_9compositeIJNSM_27transparent_binary_operatorINSA_8equal_toIvEEEENSN_INSM_8argumentILj0EEEEENSM_5valueIsEEEEEEEEEEEE10hipError_tPvRmT3_T4_T5_T6_T7_T9_mT8_P12ihipStream_tbDpT10_ENKUlT_T0_E_clISt17integral_constantIbLb1EES1J_IbLb0EEEEDaS1F_S1G_EUlS1F_E_NS1_11comp_targetILNS1_3genE0ELNS1_11target_archE4294967295ELNS1_3gpuE0ELNS1_3repE0EEENS1_30default_config_static_selectorELNS0_4arch9wavefront6targetE0EEEvT1_
    .private_segment_fixed_size: 0
    .sgpr_count:     0
    .sgpr_spill_count: 0
    .symbol:         _ZN7rocprim17ROCPRIM_400000_NS6detail17trampoline_kernelINS0_14default_configENS1_25partition_config_selectorILNS1_17partition_subalgoE6EsNS0_10empty_typeEbEEZZNS1_14partition_implILS5_6ELb0ES3_mN6thrust23THRUST_200600_302600_NS6detail15normal_iteratorINSA_10device_ptrIsEEEEPS6_SG_NS0_5tupleIJSF_S6_EEENSH_IJSG_SG_EEES6_PlJNSB_9not_fun_tINSB_10functional5actorINSM_9compositeIJNSM_27transparent_binary_operatorINSA_8equal_toIvEEEENSN_INSM_8argumentILj0EEEEENSM_5valueIsEEEEEEEEEEEE10hipError_tPvRmT3_T4_T5_T6_T7_T9_mT8_P12ihipStream_tbDpT10_ENKUlT_T0_E_clISt17integral_constantIbLb1EES1J_IbLb0EEEEDaS1F_S1G_EUlS1F_E_NS1_11comp_targetILNS1_3genE0ELNS1_11target_archE4294967295ELNS1_3gpuE0ELNS1_3repE0EEENS1_30default_config_static_selectorELNS0_4arch9wavefront6targetE0EEEvT1_.kd
    .uniform_work_group_size: 1
    .uses_dynamic_stack: false
    .vgpr_count:     0
    .vgpr_spill_count: 0
    .wavefront_size: 32
    .workgroup_processor_mode: 1
  - .args:
      - .offset:         0
        .size:           120
        .value_kind:     by_value
    .group_segment_fixed_size: 0
    .kernarg_segment_align: 8
    .kernarg_segment_size: 120
    .language:       OpenCL C
    .language_version:
      - 2
      - 0
    .max_flat_workgroup_size: 512
    .name:           _ZN7rocprim17ROCPRIM_400000_NS6detail17trampoline_kernelINS0_14default_configENS1_25partition_config_selectorILNS1_17partition_subalgoE6EsNS0_10empty_typeEbEEZZNS1_14partition_implILS5_6ELb0ES3_mN6thrust23THRUST_200600_302600_NS6detail15normal_iteratorINSA_10device_ptrIsEEEEPS6_SG_NS0_5tupleIJSF_S6_EEENSH_IJSG_SG_EEES6_PlJNSB_9not_fun_tINSB_10functional5actorINSM_9compositeIJNSM_27transparent_binary_operatorINSA_8equal_toIvEEEENSN_INSM_8argumentILj0EEEEENSM_5valueIsEEEEEEEEEEEE10hipError_tPvRmT3_T4_T5_T6_T7_T9_mT8_P12ihipStream_tbDpT10_ENKUlT_T0_E_clISt17integral_constantIbLb1EES1J_IbLb0EEEEDaS1F_S1G_EUlS1F_E_NS1_11comp_targetILNS1_3genE5ELNS1_11target_archE942ELNS1_3gpuE9ELNS1_3repE0EEENS1_30default_config_static_selectorELNS0_4arch9wavefront6targetE0EEEvT1_
    .private_segment_fixed_size: 0
    .sgpr_count:     0
    .sgpr_spill_count: 0
    .symbol:         _ZN7rocprim17ROCPRIM_400000_NS6detail17trampoline_kernelINS0_14default_configENS1_25partition_config_selectorILNS1_17partition_subalgoE6EsNS0_10empty_typeEbEEZZNS1_14partition_implILS5_6ELb0ES3_mN6thrust23THRUST_200600_302600_NS6detail15normal_iteratorINSA_10device_ptrIsEEEEPS6_SG_NS0_5tupleIJSF_S6_EEENSH_IJSG_SG_EEES6_PlJNSB_9not_fun_tINSB_10functional5actorINSM_9compositeIJNSM_27transparent_binary_operatorINSA_8equal_toIvEEEENSN_INSM_8argumentILj0EEEEENSM_5valueIsEEEEEEEEEEEE10hipError_tPvRmT3_T4_T5_T6_T7_T9_mT8_P12ihipStream_tbDpT10_ENKUlT_T0_E_clISt17integral_constantIbLb1EES1J_IbLb0EEEEDaS1F_S1G_EUlS1F_E_NS1_11comp_targetILNS1_3genE5ELNS1_11target_archE942ELNS1_3gpuE9ELNS1_3repE0EEENS1_30default_config_static_selectorELNS0_4arch9wavefront6targetE0EEEvT1_.kd
    .uniform_work_group_size: 1
    .uses_dynamic_stack: false
    .vgpr_count:     0
    .vgpr_spill_count: 0
    .wavefront_size: 32
    .workgroup_processor_mode: 1
  - .args:
      - .offset:         0
        .size:           120
        .value_kind:     by_value
    .group_segment_fixed_size: 0
    .kernarg_segment_align: 8
    .kernarg_segment_size: 120
    .language:       OpenCL C
    .language_version:
      - 2
      - 0
    .max_flat_workgroup_size: 256
    .name:           _ZN7rocprim17ROCPRIM_400000_NS6detail17trampoline_kernelINS0_14default_configENS1_25partition_config_selectorILNS1_17partition_subalgoE6EsNS0_10empty_typeEbEEZZNS1_14partition_implILS5_6ELb0ES3_mN6thrust23THRUST_200600_302600_NS6detail15normal_iteratorINSA_10device_ptrIsEEEEPS6_SG_NS0_5tupleIJSF_S6_EEENSH_IJSG_SG_EEES6_PlJNSB_9not_fun_tINSB_10functional5actorINSM_9compositeIJNSM_27transparent_binary_operatorINSA_8equal_toIvEEEENSN_INSM_8argumentILj0EEEEENSM_5valueIsEEEEEEEEEEEE10hipError_tPvRmT3_T4_T5_T6_T7_T9_mT8_P12ihipStream_tbDpT10_ENKUlT_T0_E_clISt17integral_constantIbLb1EES1J_IbLb0EEEEDaS1F_S1G_EUlS1F_E_NS1_11comp_targetILNS1_3genE4ELNS1_11target_archE910ELNS1_3gpuE8ELNS1_3repE0EEENS1_30default_config_static_selectorELNS0_4arch9wavefront6targetE0EEEvT1_
    .private_segment_fixed_size: 0
    .sgpr_count:     0
    .sgpr_spill_count: 0
    .symbol:         _ZN7rocprim17ROCPRIM_400000_NS6detail17trampoline_kernelINS0_14default_configENS1_25partition_config_selectorILNS1_17partition_subalgoE6EsNS0_10empty_typeEbEEZZNS1_14partition_implILS5_6ELb0ES3_mN6thrust23THRUST_200600_302600_NS6detail15normal_iteratorINSA_10device_ptrIsEEEEPS6_SG_NS0_5tupleIJSF_S6_EEENSH_IJSG_SG_EEES6_PlJNSB_9not_fun_tINSB_10functional5actorINSM_9compositeIJNSM_27transparent_binary_operatorINSA_8equal_toIvEEEENSN_INSM_8argumentILj0EEEEENSM_5valueIsEEEEEEEEEEEE10hipError_tPvRmT3_T4_T5_T6_T7_T9_mT8_P12ihipStream_tbDpT10_ENKUlT_T0_E_clISt17integral_constantIbLb1EES1J_IbLb0EEEEDaS1F_S1G_EUlS1F_E_NS1_11comp_targetILNS1_3genE4ELNS1_11target_archE910ELNS1_3gpuE8ELNS1_3repE0EEENS1_30default_config_static_selectorELNS0_4arch9wavefront6targetE0EEEvT1_.kd
    .uniform_work_group_size: 1
    .uses_dynamic_stack: false
    .vgpr_count:     0
    .vgpr_spill_count: 0
    .wavefront_size: 32
    .workgroup_processor_mode: 1
  - .args:
      - .offset:         0
        .size:           120
        .value_kind:     by_value
    .group_segment_fixed_size: 0
    .kernarg_segment_align: 8
    .kernarg_segment_size: 120
    .language:       OpenCL C
    .language_version:
      - 2
      - 0
    .max_flat_workgroup_size: 256
    .name:           _ZN7rocprim17ROCPRIM_400000_NS6detail17trampoline_kernelINS0_14default_configENS1_25partition_config_selectorILNS1_17partition_subalgoE6EsNS0_10empty_typeEbEEZZNS1_14partition_implILS5_6ELb0ES3_mN6thrust23THRUST_200600_302600_NS6detail15normal_iteratorINSA_10device_ptrIsEEEEPS6_SG_NS0_5tupleIJSF_S6_EEENSH_IJSG_SG_EEES6_PlJNSB_9not_fun_tINSB_10functional5actorINSM_9compositeIJNSM_27transparent_binary_operatorINSA_8equal_toIvEEEENSN_INSM_8argumentILj0EEEEENSM_5valueIsEEEEEEEEEEEE10hipError_tPvRmT3_T4_T5_T6_T7_T9_mT8_P12ihipStream_tbDpT10_ENKUlT_T0_E_clISt17integral_constantIbLb1EES1J_IbLb0EEEEDaS1F_S1G_EUlS1F_E_NS1_11comp_targetILNS1_3genE3ELNS1_11target_archE908ELNS1_3gpuE7ELNS1_3repE0EEENS1_30default_config_static_selectorELNS0_4arch9wavefront6targetE0EEEvT1_
    .private_segment_fixed_size: 0
    .sgpr_count:     0
    .sgpr_spill_count: 0
    .symbol:         _ZN7rocprim17ROCPRIM_400000_NS6detail17trampoline_kernelINS0_14default_configENS1_25partition_config_selectorILNS1_17partition_subalgoE6EsNS0_10empty_typeEbEEZZNS1_14partition_implILS5_6ELb0ES3_mN6thrust23THRUST_200600_302600_NS6detail15normal_iteratorINSA_10device_ptrIsEEEEPS6_SG_NS0_5tupleIJSF_S6_EEENSH_IJSG_SG_EEES6_PlJNSB_9not_fun_tINSB_10functional5actorINSM_9compositeIJNSM_27transparent_binary_operatorINSA_8equal_toIvEEEENSN_INSM_8argumentILj0EEEEENSM_5valueIsEEEEEEEEEEEE10hipError_tPvRmT3_T4_T5_T6_T7_T9_mT8_P12ihipStream_tbDpT10_ENKUlT_T0_E_clISt17integral_constantIbLb1EES1J_IbLb0EEEEDaS1F_S1G_EUlS1F_E_NS1_11comp_targetILNS1_3genE3ELNS1_11target_archE908ELNS1_3gpuE7ELNS1_3repE0EEENS1_30default_config_static_selectorELNS0_4arch9wavefront6targetE0EEEvT1_.kd
    .uniform_work_group_size: 1
    .uses_dynamic_stack: false
    .vgpr_count:     0
    .vgpr_spill_count: 0
    .wavefront_size: 32
    .workgroup_processor_mode: 1
  - .args:
      - .offset:         0
        .size:           120
        .value_kind:     by_value
    .group_segment_fixed_size: 0
    .kernarg_segment_align: 8
    .kernarg_segment_size: 120
    .language:       OpenCL C
    .language_version:
      - 2
      - 0
    .max_flat_workgroup_size: 256
    .name:           _ZN7rocprim17ROCPRIM_400000_NS6detail17trampoline_kernelINS0_14default_configENS1_25partition_config_selectorILNS1_17partition_subalgoE6EsNS0_10empty_typeEbEEZZNS1_14partition_implILS5_6ELb0ES3_mN6thrust23THRUST_200600_302600_NS6detail15normal_iteratorINSA_10device_ptrIsEEEEPS6_SG_NS0_5tupleIJSF_S6_EEENSH_IJSG_SG_EEES6_PlJNSB_9not_fun_tINSB_10functional5actorINSM_9compositeIJNSM_27transparent_binary_operatorINSA_8equal_toIvEEEENSN_INSM_8argumentILj0EEEEENSM_5valueIsEEEEEEEEEEEE10hipError_tPvRmT3_T4_T5_T6_T7_T9_mT8_P12ihipStream_tbDpT10_ENKUlT_T0_E_clISt17integral_constantIbLb1EES1J_IbLb0EEEEDaS1F_S1G_EUlS1F_E_NS1_11comp_targetILNS1_3genE2ELNS1_11target_archE906ELNS1_3gpuE6ELNS1_3repE0EEENS1_30default_config_static_selectorELNS0_4arch9wavefront6targetE0EEEvT1_
    .private_segment_fixed_size: 0
    .sgpr_count:     0
    .sgpr_spill_count: 0
    .symbol:         _ZN7rocprim17ROCPRIM_400000_NS6detail17trampoline_kernelINS0_14default_configENS1_25partition_config_selectorILNS1_17partition_subalgoE6EsNS0_10empty_typeEbEEZZNS1_14partition_implILS5_6ELb0ES3_mN6thrust23THRUST_200600_302600_NS6detail15normal_iteratorINSA_10device_ptrIsEEEEPS6_SG_NS0_5tupleIJSF_S6_EEENSH_IJSG_SG_EEES6_PlJNSB_9not_fun_tINSB_10functional5actorINSM_9compositeIJNSM_27transparent_binary_operatorINSA_8equal_toIvEEEENSN_INSM_8argumentILj0EEEEENSM_5valueIsEEEEEEEEEEEE10hipError_tPvRmT3_T4_T5_T6_T7_T9_mT8_P12ihipStream_tbDpT10_ENKUlT_T0_E_clISt17integral_constantIbLb1EES1J_IbLb0EEEEDaS1F_S1G_EUlS1F_E_NS1_11comp_targetILNS1_3genE2ELNS1_11target_archE906ELNS1_3gpuE6ELNS1_3repE0EEENS1_30default_config_static_selectorELNS0_4arch9wavefront6targetE0EEEvT1_.kd
    .uniform_work_group_size: 1
    .uses_dynamic_stack: false
    .vgpr_count:     0
    .vgpr_spill_count: 0
    .wavefront_size: 32
    .workgroup_processor_mode: 1
  - .args:
      - .offset:         0
        .size:           120
        .value_kind:     by_value
    .group_segment_fixed_size: 0
    .kernarg_segment_align: 8
    .kernarg_segment_size: 120
    .language:       OpenCL C
    .language_version:
      - 2
      - 0
    .max_flat_workgroup_size: 384
    .name:           _ZN7rocprim17ROCPRIM_400000_NS6detail17trampoline_kernelINS0_14default_configENS1_25partition_config_selectorILNS1_17partition_subalgoE6EsNS0_10empty_typeEbEEZZNS1_14partition_implILS5_6ELb0ES3_mN6thrust23THRUST_200600_302600_NS6detail15normal_iteratorINSA_10device_ptrIsEEEEPS6_SG_NS0_5tupleIJSF_S6_EEENSH_IJSG_SG_EEES6_PlJNSB_9not_fun_tINSB_10functional5actorINSM_9compositeIJNSM_27transparent_binary_operatorINSA_8equal_toIvEEEENSN_INSM_8argumentILj0EEEEENSM_5valueIsEEEEEEEEEEEE10hipError_tPvRmT3_T4_T5_T6_T7_T9_mT8_P12ihipStream_tbDpT10_ENKUlT_T0_E_clISt17integral_constantIbLb1EES1J_IbLb0EEEEDaS1F_S1G_EUlS1F_E_NS1_11comp_targetILNS1_3genE10ELNS1_11target_archE1200ELNS1_3gpuE4ELNS1_3repE0EEENS1_30default_config_static_selectorELNS0_4arch9wavefront6targetE0EEEvT1_
    .private_segment_fixed_size: 0
    .sgpr_count:     0
    .sgpr_spill_count: 0
    .symbol:         _ZN7rocprim17ROCPRIM_400000_NS6detail17trampoline_kernelINS0_14default_configENS1_25partition_config_selectorILNS1_17partition_subalgoE6EsNS0_10empty_typeEbEEZZNS1_14partition_implILS5_6ELb0ES3_mN6thrust23THRUST_200600_302600_NS6detail15normal_iteratorINSA_10device_ptrIsEEEEPS6_SG_NS0_5tupleIJSF_S6_EEENSH_IJSG_SG_EEES6_PlJNSB_9not_fun_tINSB_10functional5actorINSM_9compositeIJNSM_27transparent_binary_operatorINSA_8equal_toIvEEEENSN_INSM_8argumentILj0EEEEENSM_5valueIsEEEEEEEEEEEE10hipError_tPvRmT3_T4_T5_T6_T7_T9_mT8_P12ihipStream_tbDpT10_ENKUlT_T0_E_clISt17integral_constantIbLb1EES1J_IbLb0EEEEDaS1F_S1G_EUlS1F_E_NS1_11comp_targetILNS1_3genE10ELNS1_11target_archE1200ELNS1_3gpuE4ELNS1_3repE0EEENS1_30default_config_static_selectorELNS0_4arch9wavefront6targetE0EEEvT1_.kd
    .uniform_work_group_size: 1
    .uses_dynamic_stack: false
    .vgpr_count:     0
    .vgpr_spill_count: 0
    .wavefront_size: 32
    .workgroup_processor_mode: 1
  - .args:
      - .offset:         0
        .size:           120
        .value_kind:     by_value
    .group_segment_fixed_size: 0
    .kernarg_segment_align: 8
    .kernarg_segment_size: 120
    .language:       OpenCL C
    .language_version:
      - 2
      - 0
    .max_flat_workgroup_size: 128
    .name:           _ZN7rocprim17ROCPRIM_400000_NS6detail17trampoline_kernelINS0_14default_configENS1_25partition_config_selectorILNS1_17partition_subalgoE6EsNS0_10empty_typeEbEEZZNS1_14partition_implILS5_6ELb0ES3_mN6thrust23THRUST_200600_302600_NS6detail15normal_iteratorINSA_10device_ptrIsEEEEPS6_SG_NS0_5tupleIJSF_S6_EEENSH_IJSG_SG_EEES6_PlJNSB_9not_fun_tINSB_10functional5actorINSM_9compositeIJNSM_27transparent_binary_operatorINSA_8equal_toIvEEEENSN_INSM_8argumentILj0EEEEENSM_5valueIsEEEEEEEEEEEE10hipError_tPvRmT3_T4_T5_T6_T7_T9_mT8_P12ihipStream_tbDpT10_ENKUlT_T0_E_clISt17integral_constantIbLb1EES1J_IbLb0EEEEDaS1F_S1G_EUlS1F_E_NS1_11comp_targetILNS1_3genE9ELNS1_11target_archE1100ELNS1_3gpuE3ELNS1_3repE0EEENS1_30default_config_static_selectorELNS0_4arch9wavefront6targetE0EEEvT1_
    .private_segment_fixed_size: 0
    .sgpr_count:     0
    .sgpr_spill_count: 0
    .symbol:         _ZN7rocprim17ROCPRIM_400000_NS6detail17trampoline_kernelINS0_14default_configENS1_25partition_config_selectorILNS1_17partition_subalgoE6EsNS0_10empty_typeEbEEZZNS1_14partition_implILS5_6ELb0ES3_mN6thrust23THRUST_200600_302600_NS6detail15normal_iteratorINSA_10device_ptrIsEEEEPS6_SG_NS0_5tupleIJSF_S6_EEENSH_IJSG_SG_EEES6_PlJNSB_9not_fun_tINSB_10functional5actorINSM_9compositeIJNSM_27transparent_binary_operatorINSA_8equal_toIvEEEENSN_INSM_8argumentILj0EEEEENSM_5valueIsEEEEEEEEEEEE10hipError_tPvRmT3_T4_T5_T6_T7_T9_mT8_P12ihipStream_tbDpT10_ENKUlT_T0_E_clISt17integral_constantIbLb1EES1J_IbLb0EEEEDaS1F_S1G_EUlS1F_E_NS1_11comp_targetILNS1_3genE9ELNS1_11target_archE1100ELNS1_3gpuE3ELNS1_3repE0EEENS1_30default_config_static_selectorELNS0_4arch9wavefront6targetE0EEEvT1_.kd
    .uniform_work_group_size: 1
    .uses_dynamic_stack: false
    .vgpr_count:     0
    .vgpr_spill_count: 0
    .wavefront_size: 32
    .workgroup_processor_mode: 1
  - .args:
      - .offset:         0
        .size:           120
        .value_kind:     by_value
    .group_segment_fixed_size: 0
    .kernarg_segment_align: 8
    .kernarg_segment_size: 120
    .language:       OpenCL C
    .language_version:
      - 2
      - 0
    .max_flat_workgroup_size: 256
    .name:           _ZN7rocprim17ROCPRIM_400000_NS6detail17trampoline_kernelINS0_14default_configENS1_25partition_config_selectorILNS1_17partition_subalgoE6EsNS0_10empty_typeEbEEZZNS1_14partition_implILS5_6ELb0ES3_mN6thrust23THRUST_200600_302600_NS6detail15normal_iteratorINSA_10device_ptrIsEEEEPS6_SG_NS0_5tupleIJSF_S6_EEENSH_IJSG_SG_EEES6_PlJNSB_9not_fun_tINSB_10functional5actorINSM_9compositeIJNSM_27transparent_binary_operatorINSA_8equal_toIvEEEENSN_INSM_8argumentILj0EEEEENSM_5valueIsEEEEEEEEEEEE10hipError_tPvRmT3_T4_T5_T6_T7_T9_mT8_P12ihipStream_tbDpT10_ENKUlT_T0_E_clISt17integral_constantIbLb1EES1J_IbLb0EEEEDaS1F_S1G_EUlS1F_E_NS1_11comp_targetILNS1_3genE8ELNS1_11target_archE1030ELNS1_3gpuE2ELNS1_3repE0EEENS1_30default_config_static_selectorELNS0_4arch9wavefront6targetE0EEEvT1_
    .private_segment_fixed_size: 0
    .sgpr_count:     0
    .sgpr_spill_count: 0
    .symbol:         _ZN7rocprim17ROCPRIM_400000_NS6detail17trampoline_kernelINS0_14default_configENS1_25partition_config_selectorILNS1_17partition_subalgoE6EsNS0_10empty_typeEbEEZZNS1_14partition_implILS5_6ELb0ES3_mN6thrust23THRUST_200600_302600_NS6detail15normal_iteratorINSA_10device_ptrIsEEEEPS6_SG_NS0_5tupleIJSF_S6_EEENSH_IJSG_SG_EEES6_PlJNSB_9not_fun_tINSB_10functional5actorINSM_9compositeIJNSM_27transparent_binary_operatorINSA_8equal_toIvEEEENSN_INSM_8argumentILj0EEEEENSM_5valueIsEEEEEEEEEEEE10hipError_tPvRmT3_T4_T5_T6_T7_T9_mT8_P12ihipStream_tbDpT10_ENKUlT_T0_E_clISt17integral_constantIbLb1EES1J_IbLb0EEEEDaS1F_S1G_EUlS1F_E_NS1_11comp_targetILNS1_3genE8ELNS1_11target_archE1030ELNS1_3gpuE2ELNS1_3repE0EEENS1_30default_config_static_selectorELNS0_4arch9wavefront6targetE0EEEvT1_.kd
    .uniform_work_group_size: 1
    .uses_dynamic_stack: false
    .vgpr_count:     0
    .vgpr_spill_count: 0
    .wavefront_size: 32
    .workgroup_processor_mode: 1
  - .args:
      - .offset:         0
        .size:           128
        .value_kind:     by_value
    .group_segment_fixed_size: 0
    .kernarg_segment_align: 8
    .kernarg_segment_size: 128
    .language:       OpenCL C
    .language_version:
      - 2
      - 0
    .max_flat_workgroup_size: 256
    .name:           _ZN7rocprim17ROCPRIM_400000_NS6detail17trampoline_kernelINS0_14default_configENS1_25partition_config_selectorILNS1_17partition_subalgoE6EsNS0_10empty_typeEbEEZZNS1_14partition_implILS5_6ELb0ES3_mN6thrust23THRUST_200600_302600_NS6detail15normal_iteratorINSA_10device_ptrIsEEEEPS6_SG_NS0_5tupleIJSF_S6_EEENSH_IJSG_SG_EEES6_PlJNSB_9not_fun_tINSB_10functional5actorINSM_9compositeIJNSM_27transparent_binary_operatorINSA_8equal_toIvEEEENSN_INSM_8argumentILj0EEEEENSM_5valueIsEEEEEEEEEEEE10hipError_tPvRmT3_T4_T5_T6_T7_T9_mT8_P12ihipStream_tbDpT10_ENKUlT_T0_E_clISt17integral_constantIbLb0EES1J_IbLb1EEEEDaS1F_S1G_EUlS1F_E_NS1_11comp_targetILNS1_3genE0ELNS1_11target_archE4294967295ELNS1_3gpuE0ELNS1_3repE0EEENS1_30default_config_static_selectorELNS0_4arch9wavefront6targetE0EEEvT1_
    .private_segment_fixed_size: 0
    .sgpr_count:     0
    .sgpr_spill_count: 0
    .symbol:         _ZN7rocprim17ROCPRIM_400000_NS6detail17trampoline_kernelINS0_14default_configENS1_25partition_config_selectorILNS1_17partition_subalgoE6EsNS0_10empty_typeEbEEZZNS1_14partition_implILS5_6ELb0ES3_mN6thrust23THRUST_200600_302600_NS6detail15normal_iteratorINSA_10device_ptrIsEEEEPS6_SG_NS0_5tupleIJSF_S6_EEENSH_IJSG_SG_EEES6_PlJNSB_9not_fun_tINSB_10functional5actorINSM_9compositeIJNSM_27transparent_binary_operatorINSA_8equal_toIvEEEENSN_INSM_8argumentILj0EEEEENSM_5valueIsEEEEEEEEEEEE10hipError_tPvRmT3_T4_T5_T6_T7_T9_mT8_P12ihipStream_tbDpT10_ENKUlT_T0_E_clISt17integral_constantIbLb0EES1J_IbLb1EEEEDaS1F_S1G_EUlS1F_E_NS1_11comp_targetILNS1_3genE0ELNS1_11target_archE4294967295ELNS1_3gpuE0ELNS1_3repE0EEENS1_30default_config_static_selectorELNS0_4arch9wavefront6targetE0EEEvT1_.kd
    .uniform_work_group_size: 1
    .uses_dynamic_stack: false
    .vgpr_count:     0
    .vgpr_spill_count: 0
    .wavefront_size: 32
    .workgroup_processor_mode: 1
  - .args:
      - .offset:         0
        .size:           128
        .value_kind:     by_value
    .group_segment_fixed_size: 0
    .kernarg_segment_align: 8
    .kernarg_segment_size: 128
    .language:       OpenCL C
    .language_version:
      - 2
      - 0
    .max_flat_workgroup_size: 512
    .name:           _ZN7rocprim17ROCPRIM_400000_NS6detail17trampoline_kernelINS0_14default_configENS1_25partition_config_selectorILNS1_17partition_subalgoE6EsNS0_10empty_typeEbEEZZNS1_14partition_implILS5_6ELb0ES3_mN6thrust23THRUST_200600_302600_NS6detail15normal_iteratorINSA_10device_ptrIsEEEEPS6_SG_NS0_5tupleIJSF_S6_EEENSH_IJSG_SG_EEES6_PlJNSB_9not_fun_tINSB_10functional5actorINSM_9compositeIJNSM_27transparent_binary_operatorINSA_8equal_toIvEEEENSN_INSM_8argumentILj0EEEEENSM_5valueIsEEEEEEEEEEEE10hipError_tPvRmT3_T4_T5_T6_T7_T9_mT8_P12ihipStream_tbDpT10_ENKUlT_T0_E_clISt17integral_constantIbLb0EES1J_IbLb1EEEEDaS1F_S1G_EUlS1F_E_NS1_11comp_targetILNS1_3genE5ELNS1_11target_archE942ELNS1_3gpuE9ELNS1_3repE0EEENS1_30default_config_static_selectorELNS0_4arch9wavefront6targetE0EEEvT1_
    .private_segment_fixed_size: 0
    .sgpr_count:     0
    .sgpr_spill_count: 0
    .symbol:         _ZN7rocprim17ROCPRIM_400000_NS6detail17trampoline_kernelINS0_14default_configENS1_25partition_config_selectorILNS1_17partition_subalgoE6EsNS0_10empty_typeEbEEZZNS1_14partition_implILS5_6ELb0ES3_mN6thrust23THRUST_200600_302600_NS6detail15normal_iteratorINSA_10device_ptrIsEEEEPS6_SG_NS0_5tupleIJSF_S6_EEENSH_IJSG_SG_EEES6_PlJNSB_9not_fun_tINSB_10functional5actorINSM_9compositeIJNSM_27transparent_binary_operatorINSA_8equal_toIvEEEENSN_INSM_8argumentILj0EEEEENSM_5valueIsEEEEEEEEEEEE10hipError_tPvRmT3_T4_T5_T6_T7_T9_mT8_P12ihipStream_tbDpT10_ENKUlT_T0_E_clISt17integral_constantIbLb0EES1J_IbLb1EEEEDaS1F_S1G_EUlS1F_E_NS1_11comp_targetILNS1_3genE5ELNS1_11target_archE942ELNS1_3gpuE9ELNS1_3repE0EEENS1_30default_config_static_selectorELNS0_4arch9wavefront6targetE0EEEvT1_.kd
    .uniform_work_group_size: 1
    .uses_dynamic_stack: false
    .vgpr_count:     0
    .vgpr_spill_count: 0
    .wavefront_size: 32
    .workgroup_processor_mode: 1
  - .args:
      - .offset:         0
        .size:           128
        .value_kind:     by_value
    .group_segment_fixed_size: 0
    .kernarg_segment_align: 8
    .kernarg_segment_size: 128
    .language:       OpenCL C
    .language_version:
      - 2
      - 0
    .max_flat_workgroup_size: 256
    .name:           _ZN7rocprim17ROCPRIM_400000_NS6detail17trampoline_kernelINS0_14default_configENS1_25partition_config_selectorILNS1_17partition_subalgoE6EsNS0_10empty_typeEbEEZZNS1_14partition_implILS5_6ELb0ES3_mN6thrust23THRUST_200600_302600_NS6detail15normal_iteratorINSA_10device_ptrIsEEEEPS6_SG_NS0_5tupleIJSF_S6_EEENSH_IJSG_SG_EEES6_PlJNSB_9not_fun_tINSB_10functional5actorINSM_9compositeIJNSM_27transparent_binary_operatorINSA_8equal_toIvEEEENSN_INSM_8argumentILj0EEEEENSM_5valueIsEEEEEEEEEEEE10hipError_tPvRmT3_T4_T5_T6_T7_T9_mT8_P12ihipStream_tbDpT10_ENKUlT_T0_E_clISt17integral_constantIbLb0EES1J_IbLb1EEEEDaS1F_S1G_EUlS1F_E_NS1_11comp_targetILNS1_3genE4ELNS1_11target_archE910ELNS1_3gpuE8ELNS1_3repE0EEENS1_30default_config_static_selectorELNS0_4arch9wavefront6targetE0EEEvT1_
    .private_segment_fixed_size: 0
    .sgpr_count:     0
    .sgpr_spill_count: 0
    .symbol:         _ZN7rocprim17ROCPRIM_400000_NS6detail17trampoline_kernelINS0_14default_configENS1_25partition_config_selectorILNS1_17partition_subalgoE6EsNS0_10empty_typeEbEEZZNS1_14partition_implILS5_6ELb0ES3_mN6thrust23THRUST_200600_302600_NS6detail15normal_iteratorINSA_10device_ptrIsEEEEPS6_SG_NS0_5tupleIJSF_S6_EEENSH_IJSG_SG_EEES6_PlJNSB_9not_fun_tINSB_10functional5actorINSM_9compositeIJNSM_27transparent_binary_operatorINSA_8equal_toIvEEEENSN_INSM_8argumentILj0EEEEENSM_5valueIsEEEEEEEEEEEE10hipError_tPvRmT3_T4_T5_T6_T7_T9_mT8_P12ihipStream_tbDpT10_ENKUlT_T0_E_clISt17integral_constantIbLb0EES1J_IbLb1EEEEDaS1F_S1G_EUlS1F_E_NS1_11comp_targetILNS1_3genE4ELNS1_11target_archE910ELNS1_3gpuE8ELNS1_3repE0EEENS1_30default_config_static_selectorELNS0_4arch9wavefront6targetE0EEEvT1_.kd
    .uniform_work_group_size: 1
    .uses_dynamic_stack: false
    .vgpr_count:     0
    .vgpr_spill_count: 0
    .wavefront_size: 32
    .workgroup_processor_mode: 1
  - .args:
      - .offset:         0
        .size:           128
        .value_kind:     by_value
    .group_segment_fixed_size: 0
    .kernarg_segment_align: 8
    .kernarg_segment_size: 128
    .language:       OpenCL C
    .language_version:
      - 2
      - 0
    .max_flat_workgroup_size: 256
    .name:           _ZN7rocprim17ROCPRIM_400000_NS6detail17trampoline_kernelINS0_14default_configENS1_25partition_config_selectorILNS1_17partition_subalgoE6EsNS0_10empty_typeEbEEZZNS1_14partition_implILS5_6ELb0ES3_mN6thrust23THRUST_200600_302600_NS6detail15normal_iteratorINSA_10device_ptrIsEEEEPS6_SG_NS0_5tupleIJSF_S6_EEENSH_IJSG_SG_EEES6_PlJNSB_9not_fun_tINSB_10functional5actorINSM_9compositeIJNSM_27transparent_binary_operatorINSA_8equal_toIvEEEENSN_INSM_8argumentILj0EEEEENSM_5valueIsEEEEEEEEEEEE10hipError_tPvRmT3_T4_T5_T6_T7_T9_mT8_P12ihipStream_tbDpT10_ENKUlT_T0_E_clISt17integral_constantIbLb0EES1J_IbLb1EEEEDaS1F_S1G_EUlS1F_E_NS1_11comp_targetILNS1_3genE3ELNS1_11target_archE908ELNS1_3gpuE7ELNS1_3repE0EEENS1_30default_config_static_selectorELNS0_4arch9wavefront6targetE0EEEvT1_
    .private_segment_fixed_size: 0
    .sgpr_count:     0
    .sgpr_spill_count: 0
    .symbol:         _ZN7rocprim17ROCPRIM_400000_NS6detail17trampoline_kernelINS0_14default_configENS1_25partition_config_selectorILNS1_17partition_subalgoE6EsNS0_10empty_typeEbEEZZNS1_14partition_implILS5_6ELb0ES3_mN6thrust23THRUST_200600_302600_NS6detail15normal_iteratorINSA_10device_ptrIsEEEEPS6_SG_NS0_5tupleIJSF_S6_EEENSH_IJSG_SG_EEES6_PlJNSB_9not_fun_tINSB_10functional5actorINSM_9compositeIJNSM_27transparent_binary_operatorINSA_8equal_toIvEEEENSN_INSM_8argumentILj0EEEEENSM_5valueIsEEEEEEEEEEEE10hipError_tPvRmT3_T4_T5_T6_T7_T9_mT8_P12ihipStream_tbDpT10_ENKUlT_T0_E_clISt17integral_constantIbLb0EES1J_IbLb1EEEEDaS1F_S1G_EUlS1F_E_NS1_11comp_targetILNS1_3genE3ELNS1_11target_archE908ELNS1_3gpuE7ELNS1_3repE0EEENS1_30default_config_static_selectorELNS0_4arch9wavefront6targetE0EEEvT1_.kd
    .uniform_work_group_size: 1
    .uses_dynamic_stack: false
    .vgpr_count:     0
    .vgpr_spill_count: 0
    .wavefront_size: 32
    .workgroup_processor_mode: 1
  - .args:
      - .offset:         0
        .size:           128
        .value_kind:     by_value
    .group_segment_fixed_size: 0
    .kernarg_segment_align: 8
    .kernarg_segment_size: 128
    .language:       OpenCL C
    .language_version:
      - 2
      - 0
    .max_flat_workgroup_size: 256
    .name:           _ZN7rocprim17ROCPRIM_400000_NS6detail17trampoline_kernelINS0_14default_configENS1_25partition_config_selectorILNS1_17partition_subalgoE6EsNS0_10empty_typeEbEEZZNS1_14partition_implILS5_6ELb0ES3_mN6thrust23THRUST_200600_302600_NS6detail15normal_iteratorINSA_10device_ptrIsEEEEPS6_SG_NS0_5tupleIJSF_S6_EEENSH_IJSG_SG_EEES6_PlJNSB_9not_fun_tINSB_10functional5actorINSM_9compositeIJNSM_27transparent_binary_operatorINSA_8equal_toIvEEEENSN_INSM_8argumentILj0EEEEENSM_5valueIsEEEEEEEEEEEE10hipError_tPvRmT3_T4_T5_T6_T7_T9_mT8_P12ihipStream_tbDpT10_ENKUlT_T0_E_clISt17integral_constantIbLb0EES1J_IbLb1EEEEDaS1F_S1G_EUlS1F_E_NS1_11comp_targetILNS1_3genE2ELNS1_11target_archE906ELNS1_3gpuE6ELNS1_3repE0EEENS1_30default_config_static_selectorELNS0_4arch9wavefront6targetE0EEEvT1_
    .private_segment_fixed_size: 0
    .sgpr_count:     0
    .sgpr_spill_count: 0
    .symbol:         _ZN7rocprim17ROCPRIM_400000_NS6detail17trampoline_kernelINS0_14default_configENS1_25partition_config_selectorILNS1_17partition_subalgoE6EsNS0_10empty_typeEbEEZZNS1_14partition_implILS5_6ELb0ES3_mN6thrust23THRUST_200600_302600_NS6detail15normal_iteratorINSA_10device_ptrIsEEEEPS6_SG_NS0_5tupleIJSF_S6_EEENSH_IJSG_SG_EEES6_PlJNSB_9not_fun_tINSB_10functional5actorINSM_9compositeIJNSM_27transparent_binary_operatorINSA_8equal_toIvEEEENSN_INSM_8argumentILj0EEEEENSM_5valueIsEEEEEEEEEEEE10hipError_tPvRmT3_T4_T5_T6_T7_T9_mT8_P12ihipStream_tbDpT10_ENKUlT_T0_E_clISt17integral_constantIbLb0EES1J_IbLb1EEEEDaS1F_S1G_EUlS1F_E_NS1_11comp_targetILNS1_3genE2ELNS1_11target_archE906ELNS1_3gpuE6ELNS1_3repE0EEENS1_30default_config_static_selectorELNS0_4arch9wavefront6targetE0EEEvT1_.kd
    .uniform_work_group_size: 1
    .uses_dynamic_stack: false
    .vgpr_count:     0
    .vgpr_spill_count: 0
    .wavefront_size: 32
    .workgroup_processor_mode: 1
  - .args:
      - .offset:         0
        .size:           128
        .value_kind:     by_value
    .group_segment_fixed_size: 13840
    .kernarg_segment_align: 8
    .kernarg_segment_size: 128
    .language:       OpenCL C
    .language_version:
      - 2
      - 0
    .max_flat_workgroup_size: 384
    .name:           _ZN7rocprim17ROCPRIM_400000_NS6detail17trampoline_kernelINS0_14default_configENS1_25partition_config_selectorILNS1_17partition_subalgoE6EsNS0_10empty_typeEbEEZZNS1_14partition_implILS5_6ELb0ES3_mN6thrust23THRUST_200600_302600_NS6detail15normal_iteratorINSA_10device_ptrIsEEEEPS6_SG_NS0_5tupleIJSF_S6_EEENSH_IJSG_SG_EEES6_PlJNSB_9not_fun_tINSB_10functional5actorINSM_9compositeIJNSM_27transparent_binary_operatorINSA_8equal_toIvEEEENSN_INSM_8argumentILj0EEEEENSM_5valueIsEEEEEEEEEEEE10hipError_tPvRmT3_T4_T5_T6_T7_T9_mT8_P12ihipStream_tbDpT10_ENKUlT_T0_E_clISt17integral_constantIbLb0EES1J_IbLb1EEEEDaS1F_S1G_EUlS1F_E_NS1_11comp_targetILNS1_3genE10ELNS1_11target_archE1200ELNS1_3gpuE4ELNS1_3repE0EEENS1_30default_config_static_selectorELNS0_4arch9wavefront6targetE0EEEvT1_
    .private_segment_fixed_size: 0
    .sgpr_count:     33
    .sgpr_spill_count: 0
    .symbol:         _ZN7rocprim17ROCPRIM_400000_NS6detail17trampoline_kernelINS0_14default_configENS1_25partition_config_selectorILNS1_17partition_subalgoE6EsNS0_10empty_typeEbEEZZNS1_14partition_implILS5_6ELb0ES3_mN6thrust23THRUST_200600_302600_NS6detail15normal_iteratorINSA_10device_ptrIsEEEEPS6_SG_NS0_5tupleIJSF_S6_EEENSH_IJSG_SG_EEES6_PlJNSB_9not_fun_tINSB_10functional5actorINSM_9compositeIJNSM_27transparent_binary_operatorINSA_8equal_toIvEEEENSN_INSM_8argumentILj0EEEEENSM_5valueIsEEEEEEEEEEEE10hipError_tPvRmT3_T4_T5_T6_T7_T9_mT8_P12ihipStream_tbDpT10_ENKUlT_T0_E_clISt17integral_constantIbLb0EES1J_IbLb1EEEEDaS1F_S1G_EUlS1F_E_NS1_11comp_targetILNS1_3genE10ELNS1_11target_archE1200ELNS1_3gpuE4ELNS1_3repE0EEENS1_30default_config_static_selectorELNS0_4arch9wavefront6targetE0EEEvT1_.kd
    .uniform_work_group_size: 1
    .uses_dynamic_stack: false
    .vgpr_count:     78
    .vgpr_spill_count: 0
    .wavefront_size: 32
    .workgroup_processor_mode: 1
  - .args:
      - .offset:         0
        .size:           128
        .value_kind:     by_value
    .group_segment_fixed_size: 0
    .kernarg_segment_align: 8
    .kernarg_segment_size: 128
    .language:       OpenCL C
    .language_version:
      - 2
      - 0
    .max_flat_workgroup_size: 128
    .name:           _ZN7rocprim17ROCPRIM_400000_NS6detail17trampoline_kernelINS0_14default_configENS1_25partition_config_selectorILNS1_17partition_subalgoE6EsNS0_10empty_typeEbEEZZNS1_14partition_implILS5_6ELb0ES3_mN6thrust23THRUST_200600_302600_NS6detail15normal_iteratorINSA_10device_ptrIsEEEEPS6_SG_NS0_5tupleIJSF_S6_EEENSH_IJSG_SG_EEES6_PlJNSB_9not_fun_tINSB_10functional5actorINSM_9compositeIJNSM_27transparent_binary_operatorINSA_8equal_toIvEEEENSN_INSM_8argumentILj0EEEEENSM_5valueIsEEEEEEEEEEEE10hipError_tPvRmT3_T4_T5_T6_T7_T9_mT8_P12ihipStream_tbDpT10_ENKUlT_T0_E_clISt17integral_constantIbLb0EES1J_IbLb1EEEEDaS1F_S1G_EUlS1F_E_NS1_11comp_targetILNS1_3genE9ELNS1_11target_archE1100ELNS1_3gpuE3ELNS1_3repE0EEENS1_30default_config_static_selectorELNS0_4arch9wavefront6targetE0EEEvT1_
    .private_segment_fixed_size: 0
    .sgpr_count:     0
    .sgpr_spill_count: 0
    .symbol:         _ZN7rocprim17ROCPRIM_400000_NS6detail17trampoline_kernelINS0_14default_configENS1_25partition_config_selectorILNS1_17partition_subalgoE6EsNS0_10empty_typeEbEEZZNS1_14partition_implILS5_6ELb0ES3_mN6thrust23THRUST_200600_302600_NS6detail15normal_iteratorINSA_10device_ptrIsEEEEPS6_SG_NS0_5tupleIJSF_S6_EEENSH_IJSG_SG_EEES6_PlJNSB_9not_fun_tINSB_10functional5actorINSM_9compositeIJNSM_27transparent_binary_operatorINSA_8equal_toIvEEEENSN_INSM_8argumentILj0EEEEENSM_5valueIsEEEEEEEEEEEE10hipError_tPvRmT3_T4_T5_T6_T7_T9_mT8_P12ihipStream_tbDpT10_ENKUlT_T0_E_clISt17integral_constantIbLb0EES1J_IbLb1EEEEDaS1F_S1G_EUlS1F_E_NS1_11comp_targetILNS1_3genE9ELNS1_11target_archE1100ELNS1_3gpuE3ELNS1_3repE0EEENS1_30default_config_static_selectorELNS0_4arch9wavefront6targetE0EEEvT1_.kd
    .uniform_work_group_size: 1
    .uses_dynamic_stack: false
    .vgpr_count:     0
    .vgpr_spill_count: 0
    .wavefront_size: 32
    .workgroup_processor_mode: 1
  - .args:
      - .offset:         0
        .size:           128
        .value_kind:     by_value
    .group_segment_fixed_size: 0
    .kernarg_segment_align: 8
    .kernarg_segment_size: 128
    .language:       OpenCL C
    .language_version:
      - 2
      - 0
    .max_flat_workgroup_size: 256
    .name:           _ZN7rocprim17ROCPRIM_400000_NS6detail17trampoline_kernelINS0_14default_configENS1_25partition_config_selectorILNS1_17partition_subalgoE6EsNS0_10empty_typeEbEEZZNS1_14partition_implILS5_6ELb0ES3_mN6thrust23THRUST_200600_302600_NS6detail15normal_iteratorINSA_10device_ptrIsEEEEPS6_SG_NS0_5tupleIJSF_S6_EEENSH_IJSG_SG_EEES6_PlJNSB_9not_fun_tINSB_10functional5actorINSM_9compositeIJNSM_27transparent_binary_operatorINSA_8equal_toIvEEEENSN_INSM_8argumentILj0EEEEENSM_5valueIsEEEEEEEEEEEE10hipError_tPvRmT3_T4_T5_T6_T7_T9_mT8_P12ihipStream_tbDpT10_ENKUlT_T0_E_clISt17integral_constantIbLb0EES1J_IbLb1EEEEDaS1F_S1G_EUlS1F_E_NS1_11comp_targetILNS1_3genE8ELNS1_11target_archE1030ELNS1_3gpuE2ELNS1_3repE0EEENS1_30default_config_static_selectorELNS0_4arch9wavefront6targetE0EEEvT1_
    .private_segment_fixed_size: 0
    .sgpr_count:     0
    .sgpr_spill_count: 0
    .symbol:         _ZN7rocprim17ROCPRIM_400000_NS6detail17trampoline_kernelINS0_14default_configENS1_25partition_config_selectorILNS1_17partition_subalgoE6EsNS0_10empty_typeEbEEZZNS1_14partition_implILS5_6ELb0ES3_mN6thrust23THRUST_200600_302600_NS6detail15normal_iteratorINSA_10device_ptrIsEEEEPS6_SG_NS0_5tupleIJSF_S6_EEENSH_IJSG_SG_EEES6_PlJNSB_9not_fun_tINSB_10functional5actorINSM_9compositeIJNSM_27transparent_binary_operatorINSA_8equal_toIvEEEENSN_INSM_8argumentILj0EEEEENSM_5valueIsEEEEEEEEEEEE10hipError_tPvRmT3_T4_T5_T6_T7_T9_mT8_P12ihipStream_tbDpT10_ENKUlT_T0_E_clISt17integral_constantIbLb0EES1J_IbLb1EEEEDaS1F_S1G_EUlS1F_E_NS1_11comp_targetILNS1_3genE8ELNS1_11target_archE1030ELNS1_3gpuE2ELNS1_3repE0EEENS1_30default_config_static_selectorELNS0_4arch9wavefront6targetE0EEEvT1_.kd
    .uniform_work_group_size: 1
    .uses_dynamic_stack: false
    .vgpr_count:     0
    .vgpr_spill_count: 0
    .wavefront_size: 32
    .workgroup_processor_mode: 1
  - .args:
      - .offset:         0
        .size:           16
        .value_kind:     by_value
      - .offset:         16
        .size:           8
        .value_kind:     by_value
      - .offset:         24
        .size:           8
        .value_kind:     by_value
    .group_segment_fixed_size: 0
    .kernarg_segment_align: 8
    .kernarg_segment_size: 32
    .language:       OpenCL C
    .language_version:
      - 2
      - 0
    .max_flat_workgroup_size: 256
    .name:           _ZN6thrust23THRUST_200600_302600_NS11hip_rocprim14__parallel_for6kernelILj256ENS1_20__uninitialized_fill7functorINS0_10device_ptrIiEEiEEmLj1EEEvT0_T1_SA_
    .private_segment_fixed_size: 0
    .sgpr_count:     14
    .sgpr_spill_count: 0
    .symbol:         _ZN6thrust23THRUST_200600_302600_NS11hip_rocprim14__parallel_for6kernelILj256ENS1_20__uninitialized_fill7functorINS0_10device_ptrIiEEiEEmLj1EEEvT0_T1_SA_.kd
    .uniform_work_group_size: 1
    .uses_dynamic_stack: false
    .vgpr_count:     4
    .vgpr_spill_count: 0
    .wavefront_size: 32
    .workgroup_processor_mode: 1
  - .args:
      - .offset:         0
        .size:           120
        .value_kind:     by_value
    .group_segment_fixed_size: 0
    .kernarg_segment_align: 8
    .kernarg_segment_size: 120
    .language:       OpenCL C
    .language_version:
      - 2
      - 0
    .max_flat_workgroup_size: 128
    .name:           _ZN7rocprim17ROCPRIM_400000_NS6detail17trampoline_kernelINS0_14default_configENS1_25partition_config_selectorILNS1_17partition_subalgoE6EdNS0_10empty_typeEbEEZZNS1_14partition_implILS5_6ELb0ES3_mN6thrust23THRUST_200600_302600_NS6detail15normal_iteratorINSA_10device_ptrIdEEEEPS6_SG_NS0_5tupleIJSF_S6_EEENSH_IJSG_SG_EEES6_PlJNSB_9not_fun_tINSB_14equal_to_valueIdEEEEEEE10hipError_tPvRmT3_T4_T5_T6_T7_T9_mT8_P12ihipStream_tbDpT10_ENKUlT_T0_E_clISt17integral_constantIbLb0EES18_EEDaS13_S14_EUlS13_E_NS1_11comp_targetILNS1_3genE0ELNS1_11target_archE4294967295ELNS1_3gpuE0ELNS1_3repE0EEENS1_30default_config_static_selectorELNS0_4arch9wavefront6targetE0EEEvT1_
    .private_segment_fixed_size: 0
    .sgpr_count:     0
    .sgpr_spill_count: 0
    .symbol:         _ZN7rocprim17ROCPRIM_400000_NS6detail17trampoline_kernelINS0_14default_configENS1_25partition_config_selectorILNS1_17partition_subalgoE6EdNS0_10empty_typeEbEEZZNS1_14partition_implILS5_6ELb0ES3_mN6thrust23THRUST_200600_302600_NS6detail15normal_iteratorINSA_10device_ptrIdEEEEPS6_SG_NS0_5tupleIJSF_S6_EEENSH_IJSG_SG_EEES6_PlJNSB_9not_fun_tINSB_14equal_to_valueIdEEEEEEE10hipError_tPvRmT3_T4_T5_T6_T7_T9_mT8_P12ihipStream_tbDpT10_ENKUlT_T0_E_clISt17integral_constantIbLb0EES18_EEDaS13_S14_EUlS13_E_NS1_11comp_targetILNS1_3genE0ELNS1_11target_archE4294967295ELNS1_3gpuE0ELNS1_3repE0EEENS1_30default_config_static_selectorELNS0_4arch9wavefront6targetE0EEEvT1_.kd
    .uniform_work_group_size: 1
    .uses_dynamic_stack: false
    .vgpr_count:     0
    .vgpr_spill_count: 0
    .wavefront_size: 32
    .workgroup_processor_mode: 1
  - .args:
      - .offset:         0
        .size:           120
        .value_kind:     by_value
    .group_segment_fixed_size: 0
    .kernarg_segment_align: 8
    .kernarg_segment_size: 120
    .language:       OpenCL C
    .language_version:
      - 2
      - 0
    .max_flat_workgroup_size: 512
    .name:           _ZN7rocprim17ROCPRIM_400000_NS6detail17trampoline_kernelINS0_14default_configENS1_25partition_config_selectorILNS1_17partition_subalgoE6EdNS0_10empty_typeEbEEZZNS1_14partition_implILS5_6ELb0ES3_mN6thrust23THRUST_200600_302600_NS6detail15normal_iteratorINSA_10device_ptrIdEEEEPS6_SG_NS0_5tupleIJSF_S6_EEENSH_IJSG_SG_EEES6_PlJNSB_9not_fun_tINSB_14equal_to_valueIdEEEEEEE10hipError_tPvRmT3_T4_T5_T6_T7_T9_mT8_P12ihipStream_tbDpT10_ENKUlT_T0_E_clISt17integral_constantIbLb0EES18_EEDaS13_S14_EUlS13_E_NS1_11comp_targetILNS1_3genE5ELNS1_11target_archE942ELNS1_3gpuE9ELNS1_3repE0EEENS1_30default_config_static_selectorELNS0_4arch9wavefront6targetE0EEEvT1_
    .private_segment_fixed_size: 0
    .sgpr_count:     0
    .sgpr_spill_count: 0
    .symbol:         _ZN7rocprim17ROCPRIM_400000_NS6detail17trampoline_kernelINS0_14default_configENS1_25partition_config_selectorILNS1_17partition_subalgoE6EdNS0_10empty_typeEbEEZZNS1_14partition_implILS5_6ELb0ES3_mN6thrust23THRUST_200600_302600_NS6detail15normal_iteratorINSA_10device_ptrIdEEEEPS6_SG_NS0_5tupleIJSF_S6_EEENSH_IJSG_SG_EEES6_PlJNSB_9not_fun_tINSB_14equal_to_valueIdEEEEEEE10hipError_tPvRmT3_T4_T5_T6_T7_T9_mT8_P12ihipStream_tbDpT10_ENKUlT_T0_E_clISt17integral_constantIbLb0EES18_EEDaS13_S14_EUlS13_E_NS1_11comp_targetILNS1_3genE5ELNS1_11target_archE942ELNS1_3gpuE9ELNS1_3repE0EEENS1_30default_config_static_selectorELNS0_4arch9wavefront6targetE0EEEvT1_.kd
    .uniform_work_group_size: 1
    .uses_dynamic_stack: false
    .vgpr_count:     0
    .vgpr_spill_count: 0
    .wavefront_size: 32
    .workgroup_processor_mode: 1
  - .args:
      - .offset:         0
        .size:           120
        .value_kind:     by_value
    .group_segment_fixed_size: 0
    .kernarg_segment_align: 8
    .kernarg_segment_size: 120
    .language:       OpenCL C
    .language_version:
      - 2
      - 0
    .max_flat_workgroup_size: 128
    .name:           _ZN7rocprim17ROCPRIM_400000_NS6detail17trampoline_kernelINS0_14default_configENS1_25partition_config_selectorILNS1_17partition_subalgoE6EdNS0_10empty_typeEbEEZZNS1_14partition_implILS5_6ELb0ES3_mN6thrust23THRUST_200600_302600_NS6detail15normal_iteratorINSA_10device_ptrIdEEEEPS6_SG_NS0_5tupleIJSF_S6_EEENSH_IJSG_SG_EEES6_PlJNSB_9not_fun_tINSB_14equal_to_valueIdEEEEEEE10hipError_tPvRmT3_T4_T5_T6_T7_T9_mT8_P12ihipStream_tbDpT10_ENKUlT_T0_E_clISt17integral_constantIbLb0EES18_EEDaS13_S14_EUlS13_E_NS1_11comp_targetILNS1_3genE4ELNS1_11target_archE910ELNS1_3gpuE8ELNS1_3repE0EEENS1_30default_config_static_selectorELNS0_4arch9wavefront6targetE0EEEvT1_
    .private_segment_fixed_size: 0
    .sgpr_count:     0
    .sgpr_spill_count: 0
    .symbol:         _ZN7rocprim17ROCPRIM_400000_NS6detail17trampoline_kernelINS0_14default_configENS1_25partition_config_selectorILNS1_17partition_subalgoE6EdNS0_10empty_typeEbEEZZNS1_14partition_implILS5_6ELb0ES3_mN6thrust23THRUST_200600_302600_NS6detail15normal_iteratorINSA_10device_ptrIdEEEEPS6_SG_NS0_5tupleIJSF_S6_EEENSH_IJSG_SG_EEES6_PlJNSB_9not_fun_tINSB_14equal_to_valueIdEEEEEEE10hipError_tPvRmT3_T4_T5_T6_T7_T9_mT8_P12ihipStream_tbDpT10_ENKUlT_T0_E_clISt17integral_constantIbLb0EES18_EEDaS13_S14_EUlS13_E_NS1_11comp_targetILNS1_3genE4ELNS1_11target_archE910ELNS1_3gpuE8ELNS1_3repE0EEENS1_30default_config_static_selectorELNS0_4arch9wavefront6targetE0EEEvT1_.kd
    .uniform_work_group_size: 1
    .uses_dynamic_stack: false
    .vgpr_count:     0
    .vgpr_spill_count: 0
    .wavefront_size: 32
    .workgroup_processor_mode: 1
  - .args:
      - .offset:         0
        .size:           120
        .value_kind:     by_value
    .group_segment_fixed_size: 0
    .kernarg_segment_align: 8
    .kernarg_segment_size: 120
    .language:       OpenCL C
    .language_version:
      - 2
      - 0
    .max_flat_workgroup_size: 128
    .name:           _ZN7rocprim17ROCPRIM_400000_NS6detail17trampoline_kernelINS0_14default_configENS1_25partition_config_selectorILNS1_17partition_subalgoE6EdNS0_10empty_typeEbEEZZNS1_14partition_implILS5_6ELb0ES3_mN6thrust23THRUST_200600_302600_NS6detail15normal_iteratorINSA_10device_ptrIdEEEEPS6_SG_NS0_5tupleIJSF_S6_EEENSH_IJSG_SG_EEES6_PlJNSB_9not_fun_tINSB_14equal_to_valueIdEEEEEEE10hipError_tPvRmT3_T4_T5_T6_T7_T9_mT8_P12ihipStream_tbDpT10_ENKUlT_T0_E_clISt17integral_constantIbLb0EES18_EEDaS13_S14_EUlS13_E_NS1_11comp_targetILNS1_3genE3ELNS1_11target_archE908ELNS1_3gpuE7ELNS1_3repE0EEENS1_30default_config_static_selectorELNS0_4arch9wavefront6targetE0EEEvT1_
    .private_segment_fixed_size: 0
    .sgpr_count:     0
    .sgpr_spill_count: 0
    .symbol:         _ZN7rocprim17ROCPRIM_400000_NS6detail17trampoline_kernelINS0_14default_configENS1_25partition_config_selectorILNS1_17partition_subalgoE6EdNS0_10empty_typeEbEEZZNS1_14partition_implILS5_6ELb0ES3_mN6thrust23THRUST_200600_302600_NS6detail15normal_iteratorINSA_10device_ptrIdEEEEPS6_SG_NS0_5tupleIJSF_S6_EEENSH_IJSG_SG_EEES6_PlJNSB_9not_fun_tINSB_14equal_to_valueIdEEEEEEE10hipError_tPvRmT3_T4_T5_T6_T7_T9_mT8_P12ihipStream_tbDpT10_ENKUlT_T0_E_clISt17integral_constantIbLb0EES18_EEDaS13_S14_EUlS13_E_NS1_11comp_targetILNS1_3genE3ELNS1_11target_archE908ELNS1_3gpuE7ELNS1_3repE0EEENS1_30default_config_static_selectorELNS0_4arch9wavefront6targetE0EEEvT1_.kd
    .uniform_work_group_size: 1
    .uses_dynamic_stack: false
    .vgpr_count:     0
    .vgpr_spill_count: 0
    .wavefront_size: 32
    .workgroup_processor_mode: 1
  - .args:
      - .offset:         0
        .size:           120
        .value_kind:     by_value
    .group_segment_fixed_size: 0
    .kernarg_segment_align: 8
    .kernarg_segment_size: 120
    .language:       OpenCL C
    .language_version:
      - 2
      - 0
    .max_flat_workgroup_size: 256
    .name:           _ZN7rocprim17ROCPRIM_400000_NS6detail17trampoline_kernelINS0_14default_configENS1_25partition_config_selectorILNS1_17partition_subalgoE6EdNS0_10empty_typeEbEEZZNS1_14partition_implILS5_6ELb0ES3_mN6thrust23THRUST_200600_302600_NS6detail15normal_iteratorINSA_10device_ptrIdEEEEPS6_SG_NS0_5tupleIJSF_S6_EEENSH_IJSG_SG_EEES6_PlJNSB_9not_fun_tINSB_14equal_to_valueIdEEEEEEE10hipError_tPvRmT3_T4_T5_T6_T7_T9_mT8_P12ihipStream_tbDpT10_ENKUlT_T0_E_clISt17integral_constantIbLb0EES18_EEDaS13_S14_EUlS13_E_NS1_11comp_targetILNS1_3genE2ELNS1_11target_archE906ELNS1_3gpuE6ELNS1_3repE0EEENS1_30default_config_static_selectorELNS0_4arch9wavefront6targetE0EEEvT1_
    .private_segment_fixed_size: 0
    .sgpr_count:     0
    .sgpr_spill_count: 0
    .symbol:         _ZN7rocprim17ROCPRIM_400000_NS6detail17trampoline_kernelINS0_14default_configENS1_25partition_config_selectorILNS1_17partition_subalgoE6EdNS0_10empty_typeEbEEZZNS1_14partition_implILS5_6ELb0ES3_mN6thrust23THRUST_200600_302600_NS6detail15normal_iteratorINSA_10device_ptrIdEEEEPS6_SG_NS0_5tupleIJSF_S6_EEENSH_IJSG_SG_EEES6_PlJNSB_9not_fun_tINSB_14equal_to_valueIdEEEEEEE10hipError_tPvRmT3_T4_T5_T6_T7_T9_mT8_P12ihipStream_tbDpT10_ENKUlT_T0_E_clISt17integral_constantIbLb0EES18_EEDaS13_S14_EUlS13_E_NS1_11comp_targetILNS1_3genE2ELNS1_11target_archE906ELNS1_3gpuE6ELNS1_3repE0EEENS1_30default_config_static_selectorELNS0_4arch9wavefront6targetE0EEEvT1_.kd
    .uniform_work_group_size: 1
    .uses_dynamic_stack: false
    .vgpr_count:     0
    .vgpr_spill_count: 0
    .wavefront_size: 32
    .workgroup_processor_mode: 1
  - .args:
      - .offset:         0
        .size:           120
        .value_kind:     by_value
    .group_segment_fixed_size: 8464
    .kernarg_segment_align: 8
    .kernarg_segment_size: 120
    .language:       OpenCL C
    .language_version:
      - 2
      - 0
    .max_flat_workgroup_size: 256
    .name:           _ZN7rocprim17ROCPRIM_400000_NS6detail17trampoline_kernelINS0_14default_configENS1_25partition_config_selectorILNS1_17partition_subalgoE6EdNS0_10empty_typeEbEEZZNS1_14partition_implILS5_6ELb0ES3_mN6thrust23THRUST_200600_302600_NS6detail15normal_iteratorINSA_10device_ptrIdEEEEPS6_SG_NS0_5tupleIJSF_S6_EEENSH_IJSG_SG_EEES6_PlJNSB_9not_fun_tINSB_14equal_to_valueIdEEEEEEE10hipError_tPvRmT3_T4_T5_T6_T7_T9_mT8_P12ihipStream_tbDpT10_ENKUlT_T0_E_clISt17integral_constantIbLb0EES18_EEDaS13_S14_EUlS13_E_NS1_11comp_targetILNS1_3genE10ELNS1_11target_archE1200ELNS1_3gpuE4ELNS1_3repE0EEENS1_30default_config_static_selectorELNS0_4arch9wavefront6targetE0EEEvT1_
    .private_segment_fixed_size: 0
    .sgpr_count:     24
    .sgpr_spill_count: 0
    .symbol:         _ZN7rocprim17ROCPRIM_400000_NS6detail17trampoline_kernelINS0_14default_configENS1_25partition_config_selectorILNS1_17partition_subalgoE6EdNS0_10empty_typeEbEEZZNS1_14partition_implILS5_6ELb0ES3_mN6thrust23THRUST_200600_302600_NS6detail15normal_iteratorINSA_10device_ptrIdEEEEPS6_SG_NS0_5tupleIJSF_S6_EEENSH_IJSG_SG_EEES6_PlJNSB_9not_fun_tINSB_14equal_to_valueIdEEEEEEE10hipError_tPvRmT3_T4_T5_T6_T7_T9_mT8_P12ihipStream_tbDpT10_ENKUlT_T0_E_clISt17integral_constantIbLb0EES18_EEDaS13_S14_EUlS13_E_NS1_11comp_targetILNS1_3genE10ELNS1_11target_archE1200ELNS1_3gpuE4ELNS1_3repE0EEENS1_30default_config_static_selectorELNS0_4arch9wavefront6targetE0EEEvT1_.kd
    .uniform_work_group_size: 1
    .uses_dynamic_stack: false
    .vgpr_count:     46
    .vgpr_spill_count: 0
    .wavefront_size: 32
    .workgroup_processor_mode: 1
  - .args:
      - .offset:         0
        .size:           120
        .value_kind:     by_value
    .group_segment_fixed_size: 0
    .kernarg_segment_align: 8
    .kernarg_segment_size: 120
    .language:       OpenCL C
    .language_version:
      - 2
      - 0
    .max_flat_workgroup_size: 384
    .name:           _ZN7rocprim17ROCPRIM_400000_NS6detail17trampoline_kernelINS0_14default_configENS1_25partition_config_selectorILNS1_17partition_subalgoE6EdNS0_10empty_typeEbEEZZNS1_14partition_implILS5_6ELb0ES3_mN6thrust23THRUST_200600_302600_NS6detail15normal_iteratorINSA_10device_ptrIdEEEEPS6_SG_NS0_5tupleIJSF_S6_EEENSH_IJSG_SG_EEES6_PlJNSB_9not_fun_tINSB_14equal_to_valueIdEEEEEEE10hipError_tPvRmT3_T4_T5_T6_T7_T9_mT8_P12ihipStream_tbDpT10_ENKUlT_T0_E_clISt17integral_constantIbLb0EES18_EEDaS13_S14_EUlS13_E_NS1_11comp_targetILNS1_3genE9ELNS1_11target_archE1100ELNS1_3gpuE3ELNS1_3repE0EEENS1_30default_config_static_selectorELNS0_4arch9wavefront6targetE0EEEvT1_
    .private_segment_fixed_size: 0
    .sgpr_count:     0
    .sgpr_spill_count: 0
    .symbol:         _ZN7rocprim17ROCPRIM_400000_NS6detail17trampoline_kernelINS0_14default_configENS1_25partition_config_selectorILNS1_17partition_subalgoE6EdNS0_10empty_typeEbEEZZNS1_14partition_implILS5_6ELb0ES3_mN6thrust23THRUST_200600_302600_NS6detail15normal_iteratorINSA_10device_ptrIdEEEEPS6_SG_NS0_5tupleIJSF_S6_EEENSH_IJSG_SG_EEES6_PlJNSB_9not_fun_tINSB_14equal_to_valueIdEEEEEEE10hipError_tPvRmT3_T4_T5_T6_T7_T9_mT8_P12ihipStream_tbDpT10_ENKUlT_T0_E_clISt17integral_constantIbLb0EES18_EEDaS13_S14_EUlS13_E_NS1_11comp_targetILNS1_3genE9ELNS1_11target_archE1100ELNS1_3gpuE3ELNS1_3repE0EEENS1_30default_config_static_selectorELNS0_4arch9wavefront6targetE0EEEvT1_.kd
    .uniform_work_group_size: 1
    .uses_dynamic_stack: false
    .vgpr_count:     0
    .vgpr_spill_count: 0
    .wavefront_size: 32
    .workgroup_processor_mode: 1
  - .args:
      - .offset:         0
        .size:           120
        .value_kind:     by_value
    .group_segment_fixed_size: 0
    .kernarg_segment_align: 8
    .kernarg_segment_size: 120
    .language:       OpenCL C
    .language_version:
      - 2
      - 0
    .max_flat_workgroup_size: 512
    .name:           _ZN7rocprim17ROCPRIM_400000_NS6detail17trampoline_kernelINS0_14default_configENS1_25partition_config_selectorILNS1_17partition_subalgoE6EdNS0_10empty_typeEbEEZZNS1_14partition_implILS5_6ELb0ES3_mN6thrust23THRUST_200600_302600_NS6detail15normal_iteratorINSA_10device_ptrIdEEEEPS6_SG_NS0_5tupleIJSF_S6_EEENSH_IJSG_SG_EEES6_PlJNSB_9not_fun_tINSB_14equal_to_valueIdEEEEEEE10hipError_tPvRmT3_T4_T5_T6_T7_T9_mT8_P12ihipStream_tbDpT10_ENKUlT_T0_E_clISt17integral_constantIbLb0EES18_EEDaS13_S14_EUlS13_E_NS1_11comp_targetILNS1_3genE8ELNS1_11target_archE1030ELNS1_3gpuE2ELNS1_3repE0EEENS1_30default_config_static_selectorELNS0_4arch9wavefront6targetE0EEEvT1_
    .private_segment_fixed_size: 0
    .sgpr_count:     0
    .sgpr_spill_count: 0
    .symbol:         _ZN7rocprim17ROCPRIM_400000_NS6detail17trampoline_kernelINS0_14default_configENS1_25partition_config_selectorILNS1_17partition_subalgoE6EdNS0_10empty_typeEbEEZZNS1_14partition_implILS5_6ELb0ES3_mN6thrust23THRUST_200600_302600_NS6detail15normal_iteratorINSA_10device_ptrIdEEEEPS6_SG_NS0_5tupleIJSF_S6_EEENSH_IJSG_SG_EEES6_PlJNSB_9not_fun_tINSB_14equal_to_valueIdEEEEEEE10hipError_tPvRmT3_T4_T5_T6_T7_T9_mT8_P12ihipStream_tbDpT10_ENKUlT_T0_E_clISt17integral_constantIbLb0EES18_EEDaS13_S14_EUlS13_E_NS1_11comp_targetILNS1_3genE8ELNS1_11target_archE1030ELNS1_3gpuE2ELNS1_3repE0EEENS1_30default_config_static_selectorELNS0_4arch9wavefront6targetE0EEEvT1_.kd
    .uniform_work_group_size: 1
    .uses_dynamic_stack: false
    .vgpr_count:     0
    .vgpr_spill_count: 0
    .wavefront_size: 32
    .workgroup_processor_mode: 1
  - .args:
      - .offset:         0
        .size:           128
        .value_kind:     by_value
    .group_segment_fixed_size: 0
    .kernarg_segment_align: 8
    .kernarg_segment_size: 128
    .language:       OpenCL C
    .language_version:
      - 2
      - 0
    .max_flat_workgroup_size: 128
    .name:           _ZN7rocprim17ROCPRIM_400000_NS6detail17trampoline_kernelINS0_14default_configENS1_25partition_config_selectorILNS1_17partition_subalgoE6EdNS0_10empty_typeEbEEZZNS1_14partition_implILS5_6ELb0ES3_mN6thrust23THRUST_200600_302600_NS6detail15normal_iteratorINSA_10device_ptrIdEEEEPS6_SG_NS0_5tupleIJSF_S6_EEENSH_IJSG_SG_EEES6_PlJNSB_9not_fun_tINSB_14equal_to_valueIdEEEEEEE10hipError_tPvRmT3_T4_T5_T6_T7_T9_mT8_P12ihipStream_tbDpT10_ENKUlT_T0_E_clISt17integral_constantIbLb1EES18_EEDaS13_S14_EUlS13_E_NS1_11comp_targetILNS1_3genE0ELNS1_11target_archE4294967295ELNS1_3gpuE0ELNS1_3repE0EEENS1_30default_config_static_selectorELNS0_4arch9wavefront6targetE0EEEvT1_
    .private_segment_fixed_size: 0
    .sgpr_count:     0
    .sgpr_spill_count: 0
    .symbol:         _ZN7rocprim17ROCPRIM_400000_NS6detail17trampoline_kernelINS0_14default_configENS1_25partition_config_selectorILNS1_17partition_subalgoE6EdNS0_10empty_typeEbEEZZNS1_14partition_implILS5_6ELb0ES3_mN6thrust23THRUST_200600_302600_NS6detail15normal_iteratorINSA_10device_ptrIdEEEEPS6_SG_NS0_5tupleIJSF_S6_EEENSH_IJSG_SG_EEES6_PlJNSB_9not_fun_tINSB_14equal_to_valueIdEEEEEEE10hipError_tPvRmT3_T4_T5_T6_T7_T9_mT8_P12ihipStream_tbDpT10_ENKUlT_T0_E_clISt17integral_constantIbLb1EES18_EEDaS13_S14_EUlS13_E_NS1_11comp_targetILNS1_3genE0ELNS1_11target_archE4294967295ELNS1_3gpuE0ELNS1_3repE0EEENS1_30default_config_static_selectorELNS0_4arch9wavefront6targetE0EEEvT1_.kd
    .uniform_work_group_size: 1
    .uses_dynamic_stack: false
    .vgpr_count:     0
    .vgpr_spill_count: 0
    .wavefront_size: 32
    .workgroup_processor_mode: 1
  - .args:
      - .offset:         0
        .size:           128
        .value_kind:     by_value
    .group_segment_fixed_size: 0
    .kernarg_segment_align: 8
    .kernarg_segment_size: 128
    .language:       OpenCL C
    .language_version:
      - 2
      - 0
    .max_flat_workgroup_size: 512
    .name:           _ZN7rocprim17ROCPRIM_400000_NS6detail17trampoline_kernelINS0_14default_configENS1_25partition_config_selectorILNS1_17partition_subalgoE6EdNS0_10empty_typeEbEEZZNS1_14partition_implILS5_6ELb0ES3_mN6thrust23THRUST_200600_302600_NS6detail15normal_iteratorINSA_10device_ptrIdEEEEPS6_SG_NS0_5tupleIJSF_S6_EEENSH_IJSG_SG_EEES6_PlJNSB_9not_fun_tINSB_14equal_to_valueIdEEEEEEE10hipError_tPvRmT3_T4_T5_T6_T7_T9_mT8_P12ihipStream_tbDpT10_ENKUlT_T0_E_clISt17integral_constantIbLb1EES18_EEDaS13_S14_EUlS13_E_NS1_11comp_targetILNS1_3genE5ELNS1_11target_archE942ELNS1_3gpuE9ELNS1_3repE0EEENS1_30default_config_static_selectorELNS0_4arch9wavefront6targetE0EEEvT1_
    .private_segment_fixed_size: 0
    .sgpr_count:     0
    .sgpr_spill_count: 0
    .symbol:         _ZN7rocprim17ROCPRIM_400000_NS6detail17trampoline_kernelINS0_14default_configENS1_25partition_config_selectorILNS1_17partition_subalgoE6EdNS0_10empty_typeEbEEZZNS1_14partition_implILS5_6ELb0ES3_mN6thrust23THRUST_200600_302600_NS6detail15normal_iteratorINSA_10device_ptrIdEEEEPS6_SG_NS0_5tupleIJSF_S6_EEENSH_IJSG_SG_EEES6_PlJNSB_9not_fun_tINSB_14equal_to_valueIdEEEEEEE10hipError_tPvRmT3_T4_T5_T6_T7_T9_mT8_P12ihipStream_tbDpT10_ENKUlT_T0_E_clISt17integral_constantIbLb1EES18_EEDaS13_S14_EUlS13_E_NS1_11comp_targetILNS1_3genE5ELNS1_11target_archE942ELNS1_3gpuE9ELNS1_3repE0EEENS1_30default_config_static_selectorELNS0_4arch9wavefront6targetE0EEEvT1_.kd
    .uniform_work_group_size: 1
    .uses_dynamic_stack: false
    .vgpr_count:     0
    .vgpr_spill_count: 0
    .wavefront_size: 32
    .workgroup_processor_mode: 1
  - .args:
      - .offset:         0
        .size:           128
        .value_kind:     by_value
    .group_segment_fixed_size: 0
    .kernarg_segment_align: 8
    .kernarg_segment_size: 128
    .language:       OpenCL C
    .language_version:
      - 2
      - 0
    .max_flat_workgroup_size: 128
    .name:           _ZN7rocprim17ROCPRIM_400000_NS6detail17trampoline_kernelINS0_14default_configENS1_25partition_config_selectorILNS1_17partition_subalgoE6EdNS0_10empty_typeEbEEZZNS1_14partition_implILS5_6ELb0ES3_mN6thrust23THRUST_200600_302600_NS6detail15normal_iteratorINSA_10device_ptrIdEEEEPS6_SG_NS0_5tupleIJSF_S6_EEENSH_IJSG_SG_EEES6_PlJNSB_9not_fun_tINSB_14equal_to_valueIdEEEEEEE10hipError_tPvRmT3_T4_T5_T6_T7_T9_mT8_P12ihipStream_tbDpT10_ENKUlT_T0_E_clISt17integral_constantIbLb1EES18_EEDaS13_S14_EUlS13_E_NS1_11comp_targetILNS1_3genE4ELNS1_11target_archE910ELNS1_3gpuE8ELNS1_3repE0EEENS1_30default_config_static_selectorELNS0_4arch9wavefront6targetE0EEEvT1_
    .private_segment_fixed_size: 0
    .sgpr_count:     0
    .sgpr_spill_count: 0
    .symbol:         _ZN7rocprim17ROCPRIM_400000_NS6detail17trampoline_kernelINS0_14default_configENS1_25partition_config_selectorILNS1_17partition_subalgoE6EdNS0_10empty_typeEbEEZZNS1_14partition_implILS5_6ELb0ES3_mN6thrust23THRUST_200600_302600_NS6detail15normal_iteratorINSA_10device_ptrIdEEEEPS6_SG_NS0_5tupleIJSF_S6_EEENSH_IJSG_SG_EEES6_PlJNSB_9not_fun_tINSB_14equal_to_valueIdEEEEEEE10hipError_tPvRmT3_T4_T5_T6_T7_T9_mT8_P12ihipStream_tbDpT10_ENKUlT_T0_E_clISt17integral_constantIbLb1EES18_EEDaS13_S14_EUlS13_E_NS1_11comp_targetILNS1_3genE4ELNS1_11target_archE910ELNS1_3gpuE8ELNS1_3repE0EEENS1_30default_config_static_selectorELNS0_4arch9wavefront6targetE0EEEvT1_.kd
    .uniform_work_group_size: 1
    .uses_dynamic_stack: false
    .vgpr_count:     0
    .vgpr_spill_count: 0
    .wavefront_size: 32
    .workgroup_processor_mode: 1
  - .args:
      - .offset:         0
        .size:           128
        .value_kind:     by_value
    .group_segment_fixed_size: 0
    .kernarg_segment_align: 8
    .kernarg_segment_size: 128
    .language:       OpenCL C
    .language_version:
      - 2
      - 0
    .max_flat_workgroup_size: 128
    .name:           _ZN7rocprim17ROCPRIM_400000_NS6detail17trampoline_kernelINS0_14default_configENS1_25partition_config_selectorILNS1_17partition_subalgoE6EdNS0_10empty_typeEbEEZZNS1_14partition_implILS5_6ELb0ES3_mN6thrust23THRUST_200600_302600_NS6detail15normal_iteratorINSA_10device_ptrIdEEEEPS6_SG_NS0_5tupleIJSF_S6_EEENSH_IJSG_SG_EEES6_PlJNSB_9not_fun_tINSB_14equal_to_valueIdEEEEEEE10hipError_tPvRmT3_T4_T5_T6_T7_T9_mT8_P12ihipStream_tbDpT10_ENKUlT_T0_E_clISt17integral_constantIbLb1EES18_EEDaS13_S14_EUlS13_E_NS1_11comp_targetILNS1_3genE3ELNS1_11target_archE908ELNS1_3gpuE7ELNS1_3repE0EEENS1_30default_config_static_selectorELNS0_4arch9wavefront6targetE0EEEvT1_
    .private_segment_fixed_size: 0
    .sgpr_count:     0
    .sgpr_spill_count: 0
    .symbol:         _ZN7rocprim17ROCPRIM_400000_NS6detail17trampoline_kernelINS0_14default_configENS1_25partition_config_selectorILNS1_17partition_subalgoE6EdNS0_10empty_typeEbEEZZNS1_14partition_implILS5_6ELb0ES3_mN6thrust23THRUST_200600_302600_NS6detail15normal_iteratorINSA_10device_ptrIdEEEEPS6_SG_NS0_5tupleIJSF_S6_EEENSH_IJSG_SG_EEES6_PlJNSB_9not_fun_tINSB_14equal_to_valueIdEEEEEEE10hipError_tPvRmT3_T4_T5_T6_T7_T9_mT8_P12ihipStream_tbDpT10_ENKUlT_T0_E_clISt17integral_constantIbLb1EES18_EEDaS13_S14_EUlS13_E_NS1_11comp_targetILNS1_3genE3ELNS1_11target_archE908ELNS1_3gpuE7ELNS1_3repE0EEENS1_30default_config_static_selectorELNS0_4arch9wavefront6targetE0EEEvT1_.kd
    .uniform_work_group_size: 1
    .uses_dynamic_stack: false
    .vgpr_count:     0
    .vgpr_spill_count: 0
    .wavefront_size: 32
    .workgroup_processor_mode: 1
  - .args:
      - .offset:         0
        .size:           128
        .value_kind:     by_value
    .group_segment_fixed_size: 0
    .kernarg_segment_align: 8
    .kernarg_segment_size: 128
    .language:       OpenCL C
    .language_version:
      - 2
      - 0
    .max_flat_workgroup_size: 256
    .name:           _ZN7rocprim17ROCPRIM_400000_NS6detail17trampoline_kernelINS0_14default_configENS1_25partition_config_selectorILNS1_17partition_subalgoE6EdNS0_10empty_typeEbEEZZNS1_14partition_implILS5_6ELb0ES3_mN6thrust23THRUST_200600_302600_NS6detail15normal_iteratorINSA_10device_ptrIdEEEEPS6_SG_NS0_5tupleIJSF_S6_EEENSH_IJSG_SG_EEES6_PlJNSB_9not_fun_tINSB_14equal_to_valueIdEEEEEEE10hipError_tPvRmT3_T4_T5_T6_T7_T9_mT8_P12ihipStream_tbDpT10_ENKUlT_T0_E_clISt17integral_constantIbLb1EES18_EEDaS13_S14_EUlS13_E_NS1_11comp_targetILNS1_3genE2ELNS1_11target_archE906ELNS1_3gpuE6ELNS1_3repE0EEENS1_30default_config_static_selectorELNS0_4arch9wavefront6targetE0EEEvT1_
    .private_segment_fixed_size: 0
    .sgpr_count:     0
    .sgpr_spill_count: 0
    .symbol:         _ZN7rocprim17ROCPRIM_400000_NS6detail17trampoline_kernelINS0_14default_configENS1_25partition_config_selectorILNS1_17partition_subalgoE6EdNS0_10empty_typeEbEEZZNS1_14partition_implILS5_6ELb0ES3_mN6thrust23THRUST_200600_302600_NS6detail15normal_iteratorINSA_10device_ptrIdEEEEPS6_SG_NS0_5tupleIJSF_S6_EEENSH_IJSG_SG_EEES6_PlJNSB_9not_fun_tINSB_14equal_to_valueIdEEEEEEE10hipError_tPvRmT3_T4_T5_T6_T7_T9_mT8_P12ihipStream_tbDpT10_ENKUlT_T0_E_clISt17integral_constantIbLb1EES18_EEDaS13_S14_EUlS13_E_NS1_11comp_targetILNS1_3genE2ELNS1_11target_archE906ELNS1_3gpuE6ELNS1_3repE0EEENS1_30default_config_static_selectorELNS0_4arch9wavefront6targetE0EEEvT1_.kd
    .uniform_work_group_size: 1
    .uses_dynamic_stack: false
    .vgpr_count:     0
    .vgpr_spill_count: 0
    .wavefront_size: 32
    .workgroup_processor_mode: 1
  - .args:
      - .offset:         0
        .size:           128
        .value_kind:     by_value
    .group_segment_fixed_size: 0
    .kernarg_segment_align: 8
    .kernarg_segment_size: 128
    .language:       OpenCL C
    .language_version:
      - 2
      - 0
    .max_flat_workgroup_size: 256
    .name:           _ZN7rocprim17ROCPRIM_400000_NS6detail17trampoline_kernelINS0_14default_configENS1_25partition_config_selectorILNS1_17partition_subalgoE6EdNS0_10empty_typeEbEEZZNS1_14partition_implILS5_6ELb0ES3_mN6thrust23THRUST_200600_302600_NS6detail15normal_iteratorINSA_10device_ptrIdEEEEPS6_SG_NS0_5tupleIJSF_S6_EEENSH_IJSG_SG_EEES6_PlJNSB_9not_fun_tINSB_14equal_to_valueIdEEEEEEE10hipError_tPvRmT3_T4_T5_T6_T7_T9_mT8_P12ihipStream_tbDpT10_ENKUlT_T0_E_clISt17integral_constantIbLb1EES18_EEDaS13_S14_EUlS13_E_NS1_11comp_targetILNS1_3genE10ELNS1_11target_archE1200ELNS1_3gpuE4ELNS1_3repE0EEENS1_30default_config_static_selectorELNS0_4arch9wavefront6targetE0EEEvT1_
    .private_segment_fixed_size: 0
    .sgpr_count:     0
    .sgpr_spill_count: 0
    .symbol:         _ZN7rocprim17ROCPRIM_400000_NS6detail17trampoline_kernelINS0_14default_configENS1_25partition_config_selectorILNS1_17partition_subalgoE6EdNS0_10empty_typeEbEEZZNS1_14partition_implILS5_6ELb0ES3_mN6thrust23THRUST_200600_302600_NS6detail15normal_iteratorINSA_10device_ptrIdEEEEPS6_SG_NS0_5tupleIJSF_S6_EEENSH_IJSG_SG_EEES6_PlJNSB_9not_fun_tINSB_14equal_to_valueIdEEEEEEE10hipError_tPvRmT3_T4_T5_T6_T7_T9_mT8_P12ihipStream_tbDpT10_ENKUlT_T0_E_clISt17integral_constantIbLb1EES18_EEDaS13_S14_EUlS13_E_NS1_11comp_targetILNS1_3genE10ELNS1_11target_archE1200ELNS1_3gpuE4ELNS1_3repE0EEENS1_30default_config_static_selectorELNS0_4arch9wavefront6targetE0EEEvT1_.kd
    .uniform_work_group_size: 1
    .uses_dynamic_stack: false
    .vgpr_count:     0
    .vgpr_spill_count: 0
    .wavefront_size: 32
    .workgroup_processor_mode: 1
  - .args:
      - .offset:         0
        .size:           128
        .value_kind:     by_value
    .group_segment_fixed_size: 0
    .kernarg_segment_align: 8
    .kernarg_segment_size: 128
    .language:       OpenCL C
    .language_version:
      - 2
      - 0
    .max_flat_workgroup_size: 384
    .name:           _ZN7rocprim17ROCPRIM_400000_NS6detail17trampoline_kernelINS0_14default_configENS1_25partition_config_selectorILNS1_17partition_subalgoE6EdNS0_10empty_typeEbEEZZNS1_14partition_implILS5_6ELb0ES3_mN6thrust23THRUST_200600_302600_NS6detail15normal_iteratorINSA_10device_ptrIdEEEEPS6_SG_NS0_5tupleIJSF_S6_EEENSH_IJSG_SG_EEES6_PlJNSB_9not_fun_tINSB_14equal_to_valueIdEEEEEEE10hipError_tPvRmT3_T4_T5_T6_T7_T9_mT8_P12ihipStream_tbDpT10_ENKUlT_T0_E_clISt17integral_constantIbLb1EES18_EEDaS13_S14_EUlS13_E_NS1_11comp_targetILNS1_3genE9ELNS1_11target_archE1100ELNS1_3gpuE3ELNS1_3repE0EEENS1_30default_config_static_selectorELNS0_4arch9wavefront6targetE0EEEvT1_
    .private_segment_fixed_size: 0
    .sgpr_count:     0
    .sgpr_spill_count: 0
    .symbol:         _ZN7rocprim17ROCPRIM_400000_NS6detail17trampoline_kernelINS0_14default_configENS1_25partition_config_selectorILNS1_17partition_subalgoE6EdNS0_10empty_typeEbEEZZNS1_14partition_implILS5_6ELb0ES3_mN6thrust23THRUST_200600_302600_NS6detail15normal_iteratorINSA_10device_ptrIdEEEEPS6_SG_NS0_5tupleIJSF_S6_EEENSH_IJSG_SG_EEES6_PlJNSB_9not_fun_tINSB_14equal_to_valueIdEEEEEEE10hipError_tPvRmT3_T4_T5_T6_T7_T9_mT8_P12ihipStream_tbDpT10_ENKUlT_T0_E_clISt17integral_constantIbLb1EES18_EEDaS13_S14_EUlS13_E_NS1_11comp_targetILNS1_3genE9ELNS1_11target_archE1100ELNS1_3gpuE3ELNS1_3repE0EEENS1_30default_config_static_selectorELNS0_4arch9wavefront6targetE0EEEvT1_.kd
    .uniform_work_group_size: 1
    .uses_dynamic_stack: false
    .vgpr_count:     0
    .vgpr_spill_count: 0
    .wavefront_size: 32
    .workgroup_processor_mode: 1
  - .args:
      - .offset:         0
        .size:           128
        .value_kind:     by_value
    .group_segment_fixed_size: 0
    .kernarg_segment_align: 8
    .kernarg_segment_size: 128
    .language:       OpenCL C
    .language_version:
      - 2
      - 0
    .max_flat_workgroup_size: 512
    .name:           _ZN7rocprim17ROCPRIM_400000_NS6detail17trampoline_kernelINS0_14default_configENS1_25partition_config_selectorILNS1_17partition_subalgoE6EdNS0_10empty_typeEbEEZZNS1_14partition_implILS5_6ELb0ES3_mN6thrust23THRUST_200600_302600_NS6detail15normal_iteratorINSA_10device_ptrIdEEEEPS6_SG_NS0_5tupleIJSF_S6_EEENSH_IJSG_SG_EEES6_PlJNSB_9not_fun_tINSB_14equal_to_valueIdEEEEEEE10hipError_tPvRmT3_T4_T5_T6_T7_T9_mT8_P12ihipStream_tbDpT10_ENKUlT_T0_E_clISt17integral_constantIbLb1EES18_EEDaS13_S14_EUlS13_E_NS1_11comp_targetILNS1_3genE8ELNS1_11target_archE1030ELNS1_3gpuE2ELNS1_3repE0EEENS1_30default_config_static_selectorELNS0_4arch9wavefront6targetE0EEEvT1_
    .private_segment_fixed_size: 0
    .sgpr_count:     0
    .sgpr_spill_count: 0
    .symbol:         _ZN7rocprim17ROCPRIM_400000_NS6detail17trampoline_kernelINS0_14default_configENS1_25partition_config_selectorILNS1_17partition_subalgoE6EdNS0_10empty_typeEbEEZZNS1_14partition_implILS5_6ELb0ES3_mN6thrust23THRUST_200600_302600_NS6detail15normal_iteratorINSA_10device_ptrIdEEEEPS6_SG_NS0_5tupleIJSF_S6_EEENSH_IJSG_SG_EEES6_PlJNSB_9not_fun_tINSB_14equal_to_valueIdEEEEEEE10hipError_tPvRmT3_T4_T5_T6_T7_T9_mT8_P12ihipStream_tbDpT10_ENKUlT_T0_E_clISt17integral_constantIbLb1EES18_EEDaS13_S14_EUlS13_E_NS1_11comp_targetILNS1_3genE8ELNS1_11target_archE1030ELNS1_3gpuE2ELNS1_3repE0EEENS1_30default_config_static_selectorELNS0_4arch9wavefront6targetE0EEEvT1_.kd
    .uniform_work_group_size: 1
    .uses_dynamic_stack: false
    .vgpr_count:     0
    .vgpr_spill_count: 0
    .wavefront_size: 32
    .workgroup_processor_mode: 1
  - .args:
      - .offset:         0
        .size:           120
        .value_kind:     by_value
    .group_segment_fixed_size: 0
    .kernarg_segment_align: 8
    .kernarg_segment_size: 120
    .language:       OpenCL C
    .language_version:
      - 2
      - 0
    .max_flat_workgroup_size: 128
    .name:           _ZN7rocprim17ROCPRIM_400000_NS6detail17trampoline_kernelINS0_14default_configENS1_25partition_config_selectorILNS1_17partition_subalgoE6EdNS0_10empty_typeEbEEZZNS1_14partition_implILS5_6ELb0ES3_mN6thrust23THRUST_200600_302600_NS6detail15normal_iteratorINSA_10device_ptrIdEEEEPS6_SG_NS0_5tupleIJSF_S6_EEENSH_IJSG_SG_EEES6_PlJNSB_9not_fun_tINSB_14equal_to_valueIdEEEEEEE10hipError_tPvRmT3_T4_T5_T6_T7_T9_mT8_P12ihipStream_tbDpT10_ENKUlT_T0_E_clISt17integral_constantIbLb1EES17_IbLb0EEEEDaS13_S14_EUlS13_E_NS1_11comp_targetILNS1_3genE0ELNS1_11target_archE4294967295ELNS1_3gpuE0ELNS1_3repE0EEENS1_30default_config_static_selectorELNS0_4arch9wavefront6targetE0EEEvT1_
    .private_segment_fixed_size: 0
    .sgpr_count:     0
    .sgpr_spill_count: 0
    .symbol:         _ZN7rocprim17ROCPRIM_400000_NS6detail17trampoline_kernelINS0_14default_configENS1_25partition_config_selectorILNS1_17partition_subalgoE6EdNS0_10empty_typeEbEEZZNS1_14partition_implILS5_6ELb0ES3_mN6thrust23THRUST_200600_302600_NS6detail15normal_iteratorINSA_10device_ptrIdEEEEPS6_SG_NS0_5tupleIJSF_S6_EEENSH_IJSG_SG_EEES6_PlJNSB_9not_fun_tINSB_14equal_to_valueIdEEEEEEE10hipError_tPvRmT3_T4_T5_T6_T7_T9_mT8_P12ihipStream_tbDpT10_ENKUlT_T0_E_clISt17integral_constantIbLb1EES17_IbLb0EEEEDaS13_S14_EUlS13_E_NS1_11comp_targetILNS1_3genE0ELNS1_11target_archE4294967295ELNS1_3gpuE0ELNS1_3repE0EEENS1_30default_config_static_selectorELNS0_4arch9wavefront6targetE0EEEvT1_.kd
    .uniform_work_group_size: 1
    .uses_dynamic_stack: false
    .vgpr_count:     0
    .vgpr_spill_count: 0
    .wavefront_size: 32
    .workgroup_processor_mode: 1
  - .args:
      - .offset:         0
        .size:           120
        .value_kind:     by_value
    .group_segment_fixed_size: 0
    .kernarg_segment_align: 8
    .kernarg_segment_size: 120
    .language:       OpenCL C
    .language_version:
      - 2
      - 0
    .max_flat_workgroup_size: 512
    .name:           _ZN7rocprim17ROCPRIM_400000_NS6detail17trampoline_kernelINS0_14default_configENS1_25partition_config_selectorILNS1_17partition_subalgoE6EdNS0_10empty_typeEbEEZZNS1_14partition_implILS5_6ELb0ES3_mN6thrust23THRUST_200600_302600_NS6detail15normal_iteratorINSA_10device_ptrIdEEEEPS6_SG_NS0_5tupleIJSF_S6_EEENSH_IJSG_SG_EEES6_PlJNSB_9not_fun_tINSB_14equal_to_valueIdEEEEEEE10hipError_tPvRmT3_T4_T5_T6_T7_T9_mT8_P12ihipStream_tbDpT10_ENKUlT_T0_E_clISt17integral_constantIbLb1EES17_IbLb0EEEEDaS13_S14_EUlS13_E_NS1_11comp_targetILNS1_3genE5ELNS1_11target_archE942ELNS1_3gpuE9ELNS1_3repE0EEENS1_30default_config_static_selectorELNS0_4arch9wavefront6targetE0EEEvT1_
    .private_segment_fixed_size: 0
    .sgpr_count:     0
    .sgpr_spill_count: 0
    .symbol:         _ZN7rocprim17ROCPRIM_400000_NS6detail17trampoline_kernelINS0_14default_configENS1_25partition_config_selectorILNS1_17partition_subalgoE6EdNS0_10empty_typeEbEEZZNS1_14partition_implILS5_6ELb0ES3_mN6thrust23THRUST_200600_302600_NS6detail15normal_iteratorINSA_10device_ptrIdEEEEPS6_SG_NS0_5tupleIJSF_S6_EEENSH_IJSG_SG_EEES6_PlJNSB_9not_fun_tINSB_14equal_to_valueIdEEEEEEE10hipError_tPvRmT3_T4_T5_T6_T7_T9_mT8_P12ihipStream_tbDpT10_ENKUlT_T0_E_clISt17integral_constantIbLb1EES17_IbLb0EEEEDaS13_S14_EUlS13_E_NS1_11comp_targetILNS1_3genE5ELNS1_11target_archE942ELNS1_3gpuE9ELNS1_3repE0EEENS1_30default_config_static_selectorELNS0_4arch9wavefront6targetE0EEEvT1_.kd
    .uniform_work_group_size: 1
    .uses_dynamic_stack: false
    .vgpr_count:     0
    .vgpr_spill_count: 0
    .wavefront_size: 32
    .workgroup_processor_mode: 1
  - .args:
      - .offset:         0
        .size:           120
        .value_kind:     by_value
    .group_segment_fixed_size: 0
    .kernarg_segment_align: 8
    .kernarg_segment_size: 120
    .language:       OpenCL C
    .language_version:
      - 2
      - 0
    .max_flat_workgroup_size: 128
    .name:           _ZN7rocprim17ROCPRIM_400000_NS6detail17trampoline_kernelINS0_14default_configENS1_25partition_config_selectorILNS1_17partition_subalgoE6EdNS0_10empty_typeEbEEZZNS1_14partition_implILS5_6ELb0ES3_mN6thrust23THRUST_200600_302600_NS6detail15normal_iteratorINSA_10device_ptrIdEEEEPS6_SG_NS0_5tupleIJSF_S6_EEENSH_IJSG_SG_EEES6_PlJNSB_9not_fun_tINSB_14equal_to_valueIdEEEEEEE10hipError_tPvRmT3_T4_T5_T6_T7_T9_mT8_P12ihipStream_tbDpT10_ENKUlT_T0_E_clISt17integral_constantIbLb1EES17_IbLb0EEEEDaS13_S14_EUlS13_E_NS1_11comp_targetILNS1_3genE4ELNS1_11target_archE910ELNS1_3gpuE8ELNS1_3repE0EEENS1_30default_config_static_selectorELNS0_4arch9wavefront6targetE0EEEvT1_
    .private_segment_fixed_size: 0
    .sgpr_count:     0
    .sgpr_spill_count: 0
    .symbol:         _ZN7rocprim17ROCPRIM_400000_NS6detail17trampoline_kernelINS0_14default_configENS1_25partition_config_selectorILNS1_17partition_subalgoE6EdNS0_10empty_typeEbEEZZNS1_14partition_implILS5_6ELb0ES3_mN6thrust23THRUST_200600_302600_NS6detail15normal_iteratorINSA_10device_ptrIdEEEEPS6_SG_NS0_5tupleIJSF_S6_EEENSH_IJSG_SG_EEES6_PlJNSB_9not_fun_tINSB_14equal_to_valueIdEEEEEEE10hipError_tPvRmT3_T4_T5_T6_T7_T9_mT8_P12ihipStream_tbDpT10_ENKUlT_T0_E_clISt17integral_constantIbLb1EES17_IbLb0EEEEDaS13_S14_EUlS13_E_NS1_11comp_targetILNS1_3genE4ELNS1_11target_archE910ELNS1_3gpuE8ELNS1_3repE0EEENS1_30default_config_static_selectorELNS0_4arch9wavefront6targetE0EEEvT1_.kd
    .uniform_work_group_size: 1
    .uses_dynamic_stack: false
    .vgpr_count:     0
    .vgpr_spill_count: 0
    .wavefront_size: 32
    .workgroup_processor_mode: 1
  - .args:
      - .offset:         0
        .size:           120
        .value_kind:     by_value
    .group_segment_fixed_size: 0
    .kernarg_segment_align: 8
    .kernarg_segment_size: 120
    .language:       OpenCL C
    .language_version:
      - 2
      - 0
    .max_flat_workgroup_size: 128
    .name:           _ZN7rocprim17ROCPRIM_400000_NS6detail17trampoline_kernelINS0_14default_configENS1_25partition_config_selectorILNS1_17partition_subalgoE6EdNS0_10empty_typeEbEEZZNS1_14partition_implILS5_6ELb0ES3_mN6thrust23THRUST_200600_302600_NS6detail15normal_iteratorINSA_10device_ptrIdEEEEPS6_SG_NS0_5tupleIJSF_S6_EEENSH_IJSG_SG_EEES6_PlJNSB_9not_fun_tINSB_14equal_to_valueIdEEEEEEE10hipError_tPvRmT3_T4_T5_T6_T7_T9_mT8_P12ihipStream_tbDpT10_ENKUlT_T0_E_clISt17integral_constantIbLb1EES17_IbLb0EEEEDaS13_S14_EUlS13_E_NS1_11comp_targetILNS1_3genE3ELNS1_11target_archE908ELNS1_3gpuE7ELNS1_3repE0EEENS1_30default_config_static_selectorELNS0_4arch9wavefront6targetE0EEEvT1_
    .private_segment_fixed_size: 0
    .sgpr_count:     0
    .sgpr_spill_count: 0
    .symbol:         _ZN7rocprim17ROCPRIM_400000_NS6detail17trampoline_kernelINS0_14default_configENS1_25partition_config_selectorILNS1_17partition_subalgoE6EdNS0_10empty_typeEbEEZZNS1_14partition_implILS5_6ELb0ES3_mN6thrust23THRUST_200600_302600_NS6detail15normal_iteratorINSA_10device_ptrIdEEEEPS6_SG_NS0_5tupleIJSF_S6_EEENSH_IJSG_SG_EEES6_PlJNSB_9not_fun_tINSB_14equal_to_valueIdEEEEEEE10hipError_tPvRmT3_T4_T5_T6_T7_T9_mT8_P12ihipStream_tbDpT10_ENKUlT_T0_E_clISt17integral_constantIbLb1EES17_IbLb0EEEEDaS13_S14_EUlS13_E_NS1_11comp_targetILNS1_3genE3ELNS1_11target_archE908ELNS1_3gpuE7ELNS1_3repE0EEENS1_30default_config_static_selectorELNS0_4arch9wavefront6targetE0EEEvT1_.kd
    .uniform_work_group_size: 1
    .uses_dynamic_stack: false
    .vgpr_count:     0
    .vgpr_spill_count: 0
    .wavefront_size: 32
    .workgroup_processor_mode: 1
  - .args:
      - .offset:         0
        .size:           120
        .value_kind:     by_value
    .group_segment_fixed_size: 0
    .kernarg_segment_align: 8
    .kernarg_segment_size: 120
    .language:       OpenCL C
    .language_version:
      - 2
      - 0
    .max_flat_workgroup_size: 256
    .name:           _ZN7rocprim17ROCPRIM_400000_NS6detail17trampoline_kernelINS0_14default_configENS1_25partition_config_selectorILNS1_17partition_subalgoE6EdNS0_10empty_typeEbEEZZNS1_14partition_implILS5_6ELb0ES3_mN6thrust23THRUST_200600_302600_NS6detail15normal_iteratorINSA_10device_ptrIdEEEEPS6_SG_NS0_5tupleIJSF_S6_EEENSH_IJSG_SG_EEES6_PlJNSB_9not_fun_tINSB_14equal_to_valueIdEEEEEEE10hipError_tPvRmT3_T4_T5_T6_T7_T9_mT8_P12ihipStream_tbDpT10_ENKUlT_T0_E_clISt17integral_constantIbLb1EES17_IbLb0EEEEDaS13_S14_EUlS13_E_NS1_11comp_targetILNS1_3genE2ELNS1_11target_archE906ELNS1_3gpuE6ELNS1_3repE0EEENS1_30default_config_static_selectorELNS0_4arch9wavefront6targetE0EEEvT1_
    .private_segment_fixed_size: 0
    .sgpr_count:     0
    .sgpr_spill_count: 0
    .symbol:         _ZN7rocprim17ROCPRIM_400000_NS6detail17trampoline_kernelINS0_14default_configENS1_25partition_config_selectorILNS1_17partition_subalgoE6EdNS0_10empty_typeEbEEZZNS1_14partition_implILS5_6ELb0ES3_mN6thrust23THRUST_200600_302600_NS6detail15normal_iteratorINSA_10device_ptrIdEEEEPS6_SG_NS0_5tupleIJSF_S6_EEENSH_IJSG_SG_EEES6_PlJNSB_9not_fun_tINSB_14equal_to_valueIdEEEEEEE10hipError_tPvRmT3_T4_T5_T6_T7_T9_mT8_P12ihipStream_tbDpT10_ENKUlT_T0_E_clISt17integral_constantIbLb1EES17_IbLb0EEEEDaS13_S14_EUlS13_E_NS1_11comp_targetILNS1_3genE2ELNS1_11target_archE906ELNS1_3gpuE6ELNS1_3repE0EEENS1_30default_config_static_selectorELNS0_4arch9wavefront6targetE0EEEvT1_.kd
    .uniform_work_group_size: 1
    .uses_dynamic_stack: false
    .vgpr_count:     0
    .vgpr_spill_count: 0
    .wavefront_size: 32
    .workgroup_processor_mode: 1
  - .args:
      - .offset:         0
        .size:           120
        .value_kind:     by_value
    .group_segment_fixed_size: 0
    .kernarg_segment_align: 8
    .kernarg_segment_size: 120
    .language:       OpenCL C
    .language_version:
      - 2
      - 0
    .max_flat_workgroup_size: 256
    .name:           _ZN7rocprim17ROCPRIM_400000_NS6detail17trampoline_kernelINS0_14default_configENS1_25partition_config_selectorILNS1_17partition_subalgoE6EdNS0_10empty_typeEbEEZZNS1_14partition_implILS5_6ELb0ES3_mN6thrust23THRUST_200600_302600_NS6detail15normal_iteratorINSA_10device_ptrIdEEEEPS6_SG_NS0_5tupleIJSF_S6_EEENSH_IJSG_SG_EEES6_PlJNSB_9not_fun_tINSB_14equal_to_valueIdEEEEEEE10hipError_tPvRmT3_T4_T5_T6_T7_T9_mT8_P12ihipStream_tbDpT10_ENKUlT_T0_E_clISt17integral_constantIbLb1EES17_IbLb0EEEEDaS13_S14_EUlS13_E_NS1_11comp_targetILNS1_3genE10ELNS1_11target_archE1200ELNS1_3gpuE4ELNS1_3repE0EEENS1_30default_config_static_selectorELNS0_4arch9wavefront6targetE0EEEvT1_
    .private_segment_fixed_size: 0
    .sgpr_count:     0
    .sgpr_spill_count: 0
    .symbol:         _ZN7rocprim17ROCPRIM_400000_NS6detail17trampoline_kernelINS0_14default_configENS1_25partition_config_selectorILNS1_17partition_subalgoE6EdNS0_10empty_typeEbEEZZNS1_14partition_implILS5_6ELb0ES3_mN6thrust23THRUST_200600_302600_NS6detail15normal_iteratorINSA_10device_ptrIdEEEEPS6_SG_NS0_5tupleIJSF_S6_EEENSH_IJSG_SG_EEES6_PlJNSB_9not_fun_tINSB_14equal_to_valueIdEEEEEEE10hipError_tPvRmT3_T4_T5_T6_T7_T9_mT8_P12ihipStream_tbDpT10_ENKUlT_T0_E_clISt17integral_constantIbLb1EES17_IbLb0EEEEDaS13_S14_EUlS13_E_NS1_11comp_targetILNS1_3genE10ELNS1_11target_archE1200ELNS1_3gpuE4ELNS1_3repE0EEENS1_30default_config_static_selectorELNS0_4arch9wavefront6targetE0EEEvT1_.kd
    .uniform_work_group_size: 1
    .uses_dynamic_stack: false
    .vgpr_count:     0
    .vgpr_spill_count: 0
    .wavefront_size: 32
    .workgroup_processor_mode: 1
  - .args:
      - .offset:         0
        .size:           120
        .value_kind:     by_value
    .group_segment_fixed_size: 0
    .kernarg_segment_align: 8
    .kernarg_segment_size: 120
    .language:       OpenCL C
    .language_version:
      - 2
      - 0
    .max_flat_workgroup_size: 384
    .name:           _ZN7rocprim17ROCPRIM_400000_NS6detail17trampoline_kernelINS0_14default_configENS1_25partition_config_selectorILNS1_17partition_subalgoE6EdNS0_10empty_typeEbEEZZNS1_14partition_implILS5_6ELb0ES3_mN6thrust23THRUST_200600_302600_NS6detail15normal_iteratorINSA_10device_ptrIdEEEEPS6_SG_NS0_5tupleIJSF_S6_EEENSH_IJSG_SG_EEES6_PlJNSB_9not_fun_tINSB_14equal_to_valueIdEEEEEEE10hipError_tPvRmT3_T4_T5_T6_T7_T9_mT8_P12ihipStream_tbDpT10_ENKUlT_T0_E_clISt17integral_constantIbLb1EES17_IbLb0EEEEDaS13_S14_EUlS13_E_NS1_11comp_targetILNS1_3genE9ELNS1_11target_archE1100ELNS1_3gpuE3ELNS1_3repE0EEENS1_30default_config_static_selectorELNS0_4arch9wavefront6targetE0EEEvT1_
    .private_segment_fixed_size: 0
    .sgpr_count:     0
    .sgpr_spill_count: 0
    .symbol:         _ZN7rocprim17ROCPRIM_400000_NS6detail17trampoline_kernelINS0_14default_configENS1_25partition_config_selectorILNS1_17partition_subalgoE6EdNS0_10empty_typeEbEEZZNS1_14partition_implILS5_6ELb0ES3_mN6thrust23THRUST_200600_302600_NS6detail15normal_iteratorINSA_10device_ptrIdEEEEPS6_SG_NS0_5tupleIJSF_S6_EEENSH_IJSG_SG_EEES6_PlJNSB_9not_fun_tINSB_14equal_to_valueIdEEEEEEE10hipError_tPvRmT3_T4_T5_T6_T7_T9_mT8_P12ihipStream_tbDpT10_ENKUlT_T0_E_clISt17integral_constantIbLb1EES17_IbLb0EEEEDaS13_S14_EUlS13_E_NS1_11comp_targetILNS1_3genE9ELNS1_11target_archE1100ELNS1_3gpuE3ELNS1_3repE0EEENS1_30default_config_static_selectorELNS0_4arch9wavefront6targetE0EEEvT1_.kd
    .uniform_work_group_size: 1
    .uses_dynamic_stack: false
    .vgpr_count:     0
    .vgpr_spill_count: 0
    .wavefront_size: 32
    .workgroup_processor_mode: 1
  - .args:
      - .offset:         0
        .size:           120
        .value_kind:     by_value
    .group_segment_fixed_size: 0
    .kernarg_segment_align: 8
    .kernarg_segment_size: 120
    .language:       OpenCL C
    .language_version:
      - 2
      - 0
    .max_flat_workgroup_size: 512
    .name:           _ZN7rocprim17ROCPRIM_400000_NS6detail17trampoline_kernelINS0_14default_configENS1_25partition_config_selectorILNS1_17partition_subalgoE6EdNS0_10empty_typeEbEEZZNS1_14partition_implILS5_6ELb0ES3_mN6thrust23THRUST_200600_302600_NS6detail15normal_iteratorINSA_10device_ptrIdEEEEPS6_SG_NS0_5tupleIJSF_S6_EEENSH_IJSG_SG_EEES6_PlJNSB_9not_fun_tINSB_14equal_to_valueIdEEEEEEE10hipError_tPvRmT3_T4_T5_T6_T7_T9_mT8_P12ihipStream_tbDpT10_ENKUlT_T0_E_clISt17integral_constantIbLb1EES17_IbLb0EEEEDaS13_S14_EUlS13_E_NS1_11comp_targetILNS1_3genE8ELNS1_11target_archE1030ELNS1_3gpuE2ELNS1_3repE0EEENS1_30default_config_static_selectorELNS0_4arch9wavefront6targetE0EEEvT1_
    .private_segment_fixed_size: 0
    .sgpr_count:     0
    .sgpr_spill_count: 0
    .symbol:         _ZN7rocprim17ROCPRIM_400000_NS6detail17trampoline_kernelINS0_14default_configENS1_25partition_config_selectorILNS1_17partition_subalgoE6EdNS0_10empty_typeEbEEZZNS1_14partition_implILS5_6ELb0ES3_mN6thrust23THRUST_200600_302600_NS6detail15normal_iteratorINSA_10device_ptrIdEEEEPS6_SG_NS0_5tupleIJSF_S6_EEENSH_IJSG_SG_EEES6_PlJNSB_9not_fun_tINSB_14equal_to_valueIdEEEEEEE10hipError_tPvRmT3_T4_T5_T6_T7_T9_mT8_P12ihipStream_tbDpT10_ENKUlT_T0_E_clISt17integral_constantIbLb1EES17_IbLb0EEEEDaS13_S14_EUlS13_E_NS1_11comp_targetILNS1_3genE8ELNS1_11target_archE1030ELNS1_3gpuE2ELNS1_3repE0EEENS1_30default_config_static_selectorELNS0_4arch9wavefront6targetE0EEEvT1_.kd
    .uniform_work_group_size: 1
    .uses_dynamic_stack: false
    .vgpr_count:     0
    .vgpr_spill_count: 0
    .wavefront_size: 32
    .workgroup_processor_mode: 1
  - .args:
      - .offset:         0
        .size:           128
        .value_kind:     by_value
    .group_segment_fixed_size: 0
    .kernarg_segment_align: 8
    .kernarg_segment_size: 128
    .language:       OpenCL C
    .language_version:
      - 2
      - 0
    .max_flat_workgroup_size: 128
    .name:           _ZN7rocprim17ROCPRIM_400000_NS6detail17trampoline_kernelINS0_14default_configENS1_25partition_config_selectorILNS1_17partition_subalgoE6EdNS0_10empty_typeEbEEZZNS1_14partition_implILS5_6ELb0ES3_mN6thrust23THRUST_200600_302600_NS6detail15normal_iteratorINSA_10device_ptrIdEEEEPS6_SG_NS0_5tupleIJSF_S6_EEENSH_IJSG_SG_EEES6_PlJNSB_9not_fun_tINSB_14equal_to_valueIdEEEEEEE10hipError_tPvRmT3_T4_T5_T6_T7_T9_mT8_P12ihipStream_tbDpT10_ENKUlT_T0_E_clISt17integral_constantIbLb0EES17_IbLb1EEEEDaS13_S14_EUlS13_E_NS1_11comp_targetILNS1_3genE0ELNS1_11target_archE4294967295ELNS1_3gpuE0ELNS1_3repE0EEENS1_30default_config_static_selectorELNS0_4arch9wavefront6targetE0EEEvT1_
    .private_segment_fixed_size: 0
    .sgpr_count:     0
    .sgpr_spill_count: 0
    .symbol:         _ZN7rocprim17ROCPRIM_400000_NS6detail17trampoline_kernelINS0_14default_configENS1_25partition_config_selectorILNS1_17partition_subalgoE6EdNS0_10empty_typeEbEEZZNS1_14partition_implILS5_6ELb0ES3_mN6thrust23THRUST_200600_302600_NS6detail15normal_iteratorINSA_10device_ptrIdEEEEPS6_SG_NS0_5tupleIJSF_S6_EEENSH_IJSG_SG_EEES6_PlJNSB_9not_fun_tINSB_14equal_to_valueIdEEEEEEE10hipError_tPvRmT3_T4_T5_T6_T7_T9_mT8_P12ihipStream_tbDpT10_ENKUlT_T0_E_clISt17integral_constantIbLb0EES17_IbLb1EEEEDaS13_S14_EUlS13_E_NS1_11comp_targetILNS1_3genE0ELNS1_11target_archE4294967295ELNS1_3gpuE0ELNS1_3repE0EEENS1_30default_config_static_selectorELNS0_4arch9wavefront6targetE0EEEvT1_.kd
    .uniform_work_group_size: 1
    .uses_dynamic_stack: false
    .vgpr_count:     0
    .vgpr_spill_count: 0
    .wavefront_size: 32
    .workgroup_processor_mode: 1
  - .args:
      - .offset:         0
        .size:           128
        .value_kind:     by_value
    .group_segment_fixed_size: 0
    .kernarg_segment_align: 8
    .kernarg_segment_size: 128
    .language:       OpenCL C
    .language_version:
      - 2
      - 0
    .max_flat_workgroup_size: 512
    .name:           _ZN7rocprim17ROCPRIM_400000_NS6detail17trampoline_kernelINS0_14default_configENS1_25partition_config_selectorILNS1_17partition_subalgoE6EdNS0_10empty_typeEbEEZZNS1_14partition_implILS5_6ELb0ES3_mN6thrust23THRUST_200600_302600_NS6detail15normal_iteratorINSA_10device_ptrIdEEEEPS6_SG_NS0_5tupleIJSF_S6_EEENSH_IJSG_SG_EEES6_PlJNSB_9not_fun_tINSB_14equal_to_valueIdEEEEEEE10hipError_tPvRmT3_T4_T5_T6_T7_T9_mT8_P12ihipStream_tbDpT10_ENKUlT_T0_E_clISt17integral_constantIbLb0EES17_IbLb1EEEEDaS13_S14_EUlS13_E_NS1_11comp_targetILNS1_3genE5ELNS1_11target_archE942ELNS1_3gpuE9ELNS1_3repE0EEENS1_30default_config_static_selectorELNS0_4arch9wavefront6targetE0EEEvT1_
    .private_segment_fixed_size: 0
    .sgpr_count:     0
    .sgpr_spill_count: 0
    .symbol:         _ZN7rocprim17ROCPRIM_400000_NS6detail17trampoline_kernelINS0_14default_configENS1_25partition_config_selectorILNS1_17partition_subalgoE6EdNS0_10empty_typeEbEEZZNS1_14partition_implILS5_6ELb0ES3_mN6thrust23THRUST_200600_302600_NS6detail15normal_iteratorINSA_10device_ptrIdEEEEPS6_SG_NS0_5tupleIJSF_S6_EEENSH_IJSG_SG_EEES6_PlJNSB_9not_fun_tINSB_14equal_to_valueIdEEEEEEE10hipError_tPvRmT3_T4_T5_T6_T7_T9_mT8_P12ihipStream_tbDpT10_ENKUlT_T0_E_clISt17integral_constantIbLb0EES17_IbLb1EEEEDaS13_S14_EUlS13_E_NS1_11comp_targetILNS1_3genE5ELNS1_11target_archE942ELNS1_3gpuE9ELNS1_3repE0EEENS1_30default_config_static_selectorELNS0_4arch9wavefront6targetE0EEEvT1_.kd
    .uniform_work_group_size: 1
    .uses_dynamic_stack: false
    .vgpr_count:     0
    .vgpr_spill_count: 0
    .wavefront_size: 32
    .workgroup_processor_mode: 1
  - .args:
      - .offset:         0
        .size:           128
        .value_kind:     by_value
    .group_segment_fixed_size: 0
    .kernarg_segment_align: 8
    .kernarg_segment_size: 128
    .language:       OpenCL C
    .language_version:
      - 2
      - 0
    .max_flat_workgroup_size: 128
    .name:           _ZN7rocprim17ROCPRIM_400000_NS6detail17trampoline_kernelINS0_14default_configENS1_25partition_config_selectorILNS1_17partition_subalgoE6EdNS0_10empty_typeEbEEZZNS1_14partition_implILS5_6ELb0ES3_mN6thrust23THRUST_200600_302600_NS6detail15normal_iteratorINSA_10device_ptrIdEEEEPS6_SG_NS0_5tupleIJSF_S6_EEENSH_IJSG_SG_EEES6_PlJNSB_9not_fun_tINSB_14equal_to_valueIdEEEEEEE10hipError_tPvRmT3_T4_T5_T6_T7_T9_mT8_P12ihipStream_tbDpT10_ENKUlT_T0_E_clISt17integral_constantIbLb0EES17_IbLb1EEEEDaS13_S14_EUlS13_E_NS1_11comp_targetILNS1_3genE4ELNS1_11target_archE910ELNS1_3gpuE8ELNS1_3repE0EEENS1_30default_config_static_selectorELNS0_4arch9wavefront6targetE0EEEvT1_
    .private_segment_fixed_size: 0
    .sgpr_count:     0
    .sgpr_spill_count: 0
    .symbol:         _ZN7rocprim17ROCPRIM_400000_NS6detail17trampoline_kernelINS0_14default_configENS1_25partition_config_selectorILNS1_17partition_subalgoE6EdNS0_10empty_typeEbEEZZNS1_14partition_implILS5_6ELb0ES3_mN6thrust23THRUST_200600_302600_NS6detail15normal_iteratorINSA_10device_ptrIdEEEEPS6_SG_NS0_5tupleIJSF_S6_EEENSH_IJSG_SG_EEES6_PlJNSB_9not_fun_tINSB_14equal_to_valueIdEEEEEEE10hipError_tPvRmT3_T4_T5_T6_T7_T9_mT8_P12ihipStream_tbDpT10_ENKUlT_T0_E_clISt17integral_constantIbLb0EES17_IbLb1EEEEDaS13_S14_EUlS13_E_NS1_11comp_targetILNS1_3genE4ELNS1_11target_archE910ELNS1_3gpuE8ELNS1_3repE0EEENS1_30default_config_static_selectorELNS0_4arch9wavefront6targetE0EEEvT1_.kd
    .uniform_work_group_size: 1
    .uses_dynamic_stack: false
    .vgpr_count:     0
    .vgpr_spill_count: 0
    .wavefront_size: 32
    .workgroup_processor_mode: 1
  - .args:
      - .offset:         0
        .size:           128
        .value_kind:     by_value
    .group_segment_fixed_size: 0
    .kernarg_segment_align: 8
    .kernarg_segment_size: 128
    .language:       OpenCL C
    .language_version:
      - 2
      - 0
    .max_flat_workgroup_size: 128
    .name:           _ZN7rocprim17ROCPRIM_400000_NS6detail17trampoline_kernelINS0_14default_configENS1_25partition_config_selectorILNS1_17partition_subalgoE6EdNS0_10empty_typeEbEEZZNS1_14partition_implILS5_6ELb0ES3_mN6thrust23THRUST_200600_302600_NS6detail15normal_iteratorINSA_10device_ptrIdEEEEPS6_SG_NS0_5tupleIJSF_S6_EEENSH_IJSG_SG_EEES6_PlJNSB_9not_fun_tINSB_14equal_to_valueIdEEEEEEE10hipError_tPvRmT3_T4_T5_T6_T7_T9_mT8_P12ihipStream_tbDpT10_ENKUlT_T0_E_clISt17integral_constantIbLb0EES17_IbLb1EEEEDaS13_S14_EUlS13_E_NS1_11comp_targetILNS1_3genE3ELNS1_11target_archE908ELNS1_3gpuE7ELNS1_3repE0EEENS1_30default_config_static_selectorELNS0_4arch9wavefront6targetE0EEEvT1_
    .private_segment_fixed_size: 0
    .sgpr_count:     0
    .sgpr_spill_count: 0
    .symbol:         _ZN7rocprim17ROCPRIM_400000_NS6detail17trampoline_kernelINS0_14default_configENS1_25partition_config_selectorILNS1_17partition_subalgoE6EdNS0_10empty_typeEbEEZZNS1_14partition_implILS5_6ELb0ES3_mN6thrust23THRUST_200600_302600_NS6detail15normal_iteratorINSA_10device_ptrIdEEEEPS6_SG_NS0_5tupleIJSF_S6_EEENSH_IJSG_SG_EEES6_PlJNSB_9not_fun_tINSB_14equal_to_valueIdEEEEEEE10hipError_tPvRmT3_T4_T5_T6_T7_T9_mT8_P12ihipStream_tbDpT10_ENKUlT_T0_E_clISt17integral_constantIbLb0EES17_IbLb1EEEEDaS13_S14_EUlS13_E_NS1_11comp_targetILNS1_3genE3ELNS1_11target_archE908ELNS1_3gpuE7ELNS1_3repE0EEENS1_30default_config_static_selectorELNS0_4arch9wavefront6targetE0EEEvT1_.kd
    .uniform_work_group_size: 1
    .uses_dynamic_stack: false
    .vgpr_count:     0
    .vgpr_spill_count: 0
    .wavefront_size: 32
    .workgroup_processor_mode: 1
  - .args:
      - .offset:         0
        .size:           128
        .value_kind:     by_value
    .group_segment_fixed_size: 0
    .kernarg_segment_align: 8
    .kernarg_segment_size: 128
    .language:       OpenCL C
    .language_version:
      - 2
      - 0
    .max_flat_workgroup_size: 256
    .name:           _ZN7rocprim17ROCPRIM_400000_NS6detail17trampoline_kernelINS0_14default_configENS1_25partition_config_selectorILNS1_17partition_subalgoE6EdNS0_10empty_typeEbEEZZNS1_14partition_implILS5_6ELb0ES3_mN6thrust23THRUST_200600_302600_NS6detail15normal_iteratorINSA_10device_ptrIdEEEEPS6_SG_NS0_5tupleIJSF_S6_EEENSH_IJSG_SG_EEES6_PlJNSB_9not_fun_tINSB_14equal_to_valueIdEEEEEEE10hipError_tPvRmT3_T4_T5_T6_T7_T9_mT8_P12ihipStream_tbDpT10_ENKUlT_T0_E_clISt17integral_constantIbLb0EES17_IbLb1EEEEDaS13_S14_EUlS13_E_NS1_11comp_targetILNS1_3genE2ELNS1_11target_archE906ELNS1_3gpuE6ELNS1_3repE0EEENS1_30default_config_static_selectorELNS0_4arch9wavefront6targetE0EEEvT1_
    .private_segment_fixed_size: 0
    .sgpr_count:     0
    .sgpr_spill_count: 0
    .symbol:         _ZN7rocprim17ROCPRIM_400000_NS6detail17trampoline_kernelINS0_14default_configENS1_25partition_config_selectorILNS1_17partition_subalgoE6EdNS0_10empty_typeEbEEZZNS1_14partition_implILS5_6ELb0ES3_mN6thrust23THRUST_200600_302600_NS6detail15normal_iteratorINSA_10device_ptrIdEEEEPS6_SG_NS0_5tupleIJSF_S6_EEENSH_IJSG_SG_EEES6_PlJNSB_9not_fun_tINSB_14equal_to_valueIdEEEEEEE10hipError_tPvRmT3_T4_T5_T6_T7_T9_mT8_P12ihipStream_tbDpT10_ENKUlT_T0_E_clISt17integral_constantIbLb0EES17_IbLb1EEEEDaS13_S14_EUlS13_E_NS1_11comp_targetILNS1_3genE2ELNS1_11target_archE906ELNS1_3gpuE6ELNS1_3repE0EEENS1_30default_config_static_selectorELNS0_4arch9wavefront6targetE0EEEvT1_.kd
    .uniform_work_group_size: 1
    .uses_dynamic_stack: false
    .vgpr_count:     0
    .vgpr_spill_count: 0
    .wavefront_size: 32
    .workgroup_processor_mode: 1
  - .args:
      - .offset:         0
        .size:           128
        .value_kind:     by_value
    .group_segment_fixed_size: 8464
    .kernarg_segment_align: 8
    .kernarg_segment_size: 128
    .language:       OpenCL C
    .language_version:
      - 2
      - 0
    .max_flat_workgroup_size: 256
    .name:           _ZN7rocprim17ROCPRIM_400000_NS6detail17trampoline_kernelINS0_14default_configENS1_25partition_config_selectorILNS1_17partition_subalgoE6EdNS0_10empty_typeEbEEZZNS1_14partition_implILS5_6ELb0ES3_mN6thrust23THRUST_200600_302600_NS6detail15normal_iteratorINSA_10device_ptrIdEEEEPS6_SG_NS0_5tupleIJSF_S6_EEENSH_IJSG_SG_EEES6_PlJNSB_9not_fun_tINSB_14equal_to_valueIdEEEEEEE10hipError_tPvRmT3_T4_T5_T6_T7_T9_mT8_P12ihipStream_tbDpT10_ENKUlT_T0_E_clISt17integral_constantIbLb0EES17_IbLb1EEEEDaS13_S14_EUlS13_E_NS1_11comp_targetILNS1_3genE10ELNS1_11target_archE1200ELNS1_3gpuE4ELNS1_3repE0EEENS1_30default_config_static_selectorELNS0_4arch9wavefront6targetE0EEEvT1_
    .private_segment_fixed_size: 0
    .sgpr_count:     26
    .sgpr_spill_count: 0
    .symbol:         _ZN7rocprim17ROCPRIM_400000_NS6detail17trampoline_kernelINS0_14default_configENS1_25partition_config_selectorILNS1_17partition_subalgoE6EdNS0_10empty_typeEbEEZZNS1_14partition_implILS5_6ELb0ES3_mN6thrust23THRUST_200600_302600_NS6detail15normal_iteratorINSA_10device_ptrIdEEEEPS6_SG_NS0_5tupleIJSF_S6_EEENSH_IJSG_SG_EEES6_PlJNSB_9not_fun_tINSB_14equal_to_valueIdEEEEEEE10hipError_tPvRmT3_T4_T5_T6_T7_T9_mT8_P12ihipStream_tbDpT10_ENKUlT_T0_E_clISt17integral_constantIbLb0EES17_IbLb1EEEEDaS13_S14_EUlS13_E_NS1_11comp_targetILNS1_3genE10ELNS1_11target_archE1200ELNS1_3gpuE4ELNS1_3repE0EEENS1_30default_config_static_selectorELNS0_4arch9wavefront6targetE0EEEvT1_.kd
    .uniform_work_group_size: 1
    .uses_dynamic_stack: false
    .vgpr_count:     48
    .vgpr_spill_count: 0
    .wavefront_size: 32
    .workgroup_processor_mode: 1
  - .args:
      - .offset:         0
        .size:           128
        .value_kind:     by_value
    .group_segment_fixed_size: 0
    .kernarg_segment_align: 8
    .kernarg_segment_size: 128
    .language:       OpenCL C
    .language_version:
      - 2
      - 0
    .max_flat_workgroup_size: 384
    .name:           _ZN7rocprim17ROCPRIM_400000_NS6detail17trampoline_kernelINS0_14default_configENS1_25partition_config_selectorILNS1_17partition_subalgoE6EdNS0_10empty_typeEbEEZZNS1_14partition_implILS5_6ELb0ES3_mN6thrust23THRUST_200600_302600_NS6detail15normal_iteratorINSA_10device_ptrIdEEEEPS6_SG_NS0_5tupleIJSF_S6_EEENSH_IJSG_SG_EEES6_PlJNSB_9not_fun_tINSB_14equal_to_valueIdEEEEEEE10hipError_tPvRmT3_T4_T5_T6_T7_T9_mT8_P12ihipStream_tbDpT10_ENKUlT_T0_E_clISt17integral_constantIbLb0EES17_IbLb1EEEEDaS13_S14_EUlS13_E_NS1_11comp_targetILNS1_3genE9ELNS1_11target_archE1100ELNS1_3gpuE3ELNS1_3repE0EEENS1_30default_config_static_selectorELNS0_4arch9wavefront6targetE0EEEvT1_
    .private_segment_fixed_size: 0
    .sgpr_count:     0
    .sgpr_spill_count: 0
    .symbol:         _ZN7rocprim17ROCPRIM_400000_NS6detail17trampoline_kernelINS0_14default_configENS1_25partition_config_selectorILNS1_17partition_subalgoE6EdNS0_10empty_typeEbEEZZNS1_14partition_implILS5_6ELb0ES3_mN6thrust23THRUST_200600_302600_NS6detail15normal_iteratorINSA_10device_ptrIdEEEEPS6_SG_NS0_5tupleIJSF_S6_EEENSH_IJSG_SG_EEES6_PlJNSB_9not_fun_tINSB_14equal_to_valueIdEEEEEEE10hipError_tPvRmT3_T4_T5_T6_T7_T9_mT8_P12ihipStream_tbDpT10_ENKUlT_T0_E_clISt17integral_constantIbLb0EES17_IbLb1EEEEDaS13_S14_EUlS13_E_NS1_11comp_targetILNS1_3genE9ELNS1_11target_archE1100ELNS1_3gpuE3ELNS1_3repE0EEENS1_30default_config_static_selectorELNS0_4arch9wavefront6targetE0EEEvT1_.kd
    .uniform_work_group_size: 1
    .uses_dynamic_stack: false
    .vgpr_count:     0
    .vgpr_spill_count: 0
    .wavefront_size: 32
    .workgroup_processor_mode: 1
  - .args:
      - .offset:         0
        .size:           128
        .value_kind:     by_value
    .group_segment_fixed_size: 0
    .kernarg_segment_align: 8
    .kernarg_segment_size: 128
    .language:       OpenCL C
    .language_version:
      - 2
      - 0
    .max_flat_workgroup_size: 512
    .name:           _ZN7rocprim17ROCPRIM_400000_NS6detail17trampoline_kernelINS0_14default_configENS1_25partition_config_selectorILNS1_17partition_subalgoE6EdNS0_10empty_typeEbEEZZNS1_14partition_implILS5_6ELb0ES3_mN6thrust23THRUST_200600_302600_NS6detail15normal_iteratorINSA_10device_ptrIdEEEEPS6_SG_NS0_5tupleIJSF_S6_EEENSH_IJSG_SG_EEES6_PlJNSB_9not_fun_tINSB_14equal_to_valueIdEEEEEEE10hipError_tPvRmT3_T4_T5_T6_T7_T9_mT8_P12ihipStream_tbDpT10_ENKUlT_T0_E_clISt17integral_constantIbLb0EES17_IbLb1EEEEDaS13_S14_EUlS13_E_NS1_11comp_targetILNS1_3genE8ELNS1_11target_archE1030ELNS1_3gpuE2ELNS1_3repE0EEENS1_30default_config_static_selectorELNS0_4arch9wavefront6targetE0EEEvT1_
    .private_segment_fixed_size: 0
    .sgpr_count:     0
    .sgpr_spill_count: 0
    .symbol:         _ZN7rocprim17ROCPRIM_400000_NS6detail17trampoline_kernelINS0_14default_configENS1_25partition_config_selectorILNS1_17partition_subalgoE6EdNS0_10empty_typeEbEEZZNS1_14partition_implILS5_6ELb0ES3_mN6thrust23THRUST_200600_302600_NS6detail15normal_iteratorINSA_10device_ptrIdEEEEPS6_SG_NS0_5tupleIJSF_S6_EEENSH_IJSG_SG_EEES6_PlJNSB_9not_fun_tINSB_14equal_to_valueIdEEEEEEE10hipError_tPvRmT3_T4_T5_T6_T7_T9_mT8_P12ihipStream_tbDpT10_ENKUlT_T0_E_clISt17integral_constantIbLb0EES17_IbLb1EEEEDaS13_S14_EUlS13_E_NS1_11comp_targetILNS1_3genE8ELNS1_11target_archE1030ELNS1_3gpuE2ELNS1_3repE0EEENS1_30default_config_static_selectorELNS0_4arch9wavefront6targetE0EEEvT1_.kd
    .uniform_work_group_size: 1
    .uses_dynamic_stack: false
    .vgpr_count:     0
    .vgpr_spill_count: 0
    .wavefront_size: 32
    .workgroup_processor_mode: 1
  - .args:
      - .offset:         0
        .size:           120
        .value_kind:     by_value
    .group_segment_fixed_size: 0
    .kernarg_segment_align: 8
    .kernarg_segment_size: 120
    .language:       OpenCL C
    .language_version:
      - 2
      - 0
    .max_flat_workgroup_size: 256
    .name:           _ZN7rocprim17ROCPRIM_400000_NS6detail17trampoline_kernelINS0_14default_configENS1_25partition_config_selectorILNS1_17partition_subalgoE6EfNS0_10empty_typeEbEEZZNS1_14partition_implILS5_6ELb0ES3_mN6thrust23THRUST_200600_302600_NS6detail15normal_iteratorINSA_10device_ptrIfEEEEPS6_SG_NS0_5tupleIJSF_S6_EEENSH_IJSG_SG_EEES6_PlJNSB_9not_fun_tINSB_14equal_to_valueIfEEEEEEE10hipError_tPvRmT3_T4_T5_T6_T7_T9_mT8_P12ihipStream_tbDpT10_ENKUlT_T0_E_clISt17integral_constantIbLb0EES18_EEDaS13_S14_EUlS13_E_NS1_11comp_targetILNS1_3genE0ELNS1_11target_archE4294967295ELNS1_3gpuE0ELNS1_3repE0EEENS1_30default_config_static_selectorELNS0_4arch9wavefront6targetE0EEEvT1_
    .private_segment_fixed_size: 0
    .sgpr_count:     0
    .sgpr_spill_count: 0
    .symbol:         _ZN7rocprim17ROCPRIM_400000_NS6detail17trampoline_kernelINS0_14default_configENS1_25partition_config_selectorILNS1_17partition_subalgoE6EfNS0_10empty_typeEbEEZZNS1_14partition_implILS5_6ELb0ES3_mN6thrust23THRUST_200600_302600_NS6detail15normal_iteratorINSA_10device_ptrIfEEEEPS6_SG_NS0_5tupleIJSF_S6_EEENSH_IJSG_SG_EEES6_PlJNSB_9not_fun_tINSB_14equal_to_valueIfEEEEEEE10hipError_tPvRmT3_T4_T5_T6_T7_T9_mT8_P12ihipStream_tbDpT10_ENKUlT_T0_E_clISt17integral_constantIbLb0EES18_EEDaS13_S14_EUlS13_E_NS1_11comp_targetILNS1_3genE0ELNS1_11target_archE4294967295ELNS1_3gpuE0ELNS1_3repE0EEENS1_30default_config_static_selectorELNS0_4arch9wavefront6targetE0EEEvT1_.kd
    .uniform_work_group_size: 1
    .uses_dynamic_stack: false
    .vgpr_count:     0
    .vgpr_spill_count: 0
    .wavefront_size: 32
    .workgroup_processor_mode: 1
  - .args:
      - .offset:         0
        .size:           120
        .value_kind:     by_value
    .group_segment_fixed_size: 0
    .kernarg_segment_align: 8
    .kernarg_segment_size: 120
    .language:       OpenCL C
    .language_version:
      - 2
      - 0
    .max_flat_workgroup_size: 512
    .name:           _ZN7rocprim17ROCPRIM_400000_NS6detail17trampoline_kernelINS0_14default_configENS1_25partition_config_selectorILNS1_17partition_subalgoE6EfNS0_10empty_typeEbEEZZNS1_14partition_implILS5_6ELb0ES3_mN6thrust23THRUST_200600_302600_NS6detail15normal_iteratorINSA_10device_ptrIfEEEEPS6_SG_NS0_5tupleIJSF_S6_EEENSH_IJSG_SG_EEES6_PlJNSB_9not_fun_tINSB_14equal_to_valueIfEEEEEEE10hipError_tPvRmT3_T4_T5_T6_T7_T9_mT8_P12ihipStream_tbDpT10_ENKUlT_T0_E_clISt17integral_constantIbLb0EES18_EEDaS13_S14_EUlS13_E_NS1_11comp_targetILNS1_3genE5ELNS1_11target_archE942ELNS1_3gpuE9ELNS1_3repE0EEENS1_30default_config_static_selectorELNS0_4arch9wavefront6targetE0EEEvT1_
    .private_segment_fixed_size: 0
    .sgpr_count:     0
    .sgpr_spill_count: 0
    .symbol:         _ZN7rocprim17ROCPRIM_400000_NS6detail17trampoline_kernelINS0_14default_configENS1_25partition_config_selectorILNS1_17partition_subalgoE6EfNS0_10empty_typeEbEEZZNS1_14partition_implILS5_6ELb0ES3_mN6thrust23THRUST_200600_302600_NS6detail15normal_iteratorINSA_10device_ptrIfEEEEPS6_SG_NS0_5tupleIJSF_S6_EEENSH_IJSG_SG_EEES6_PlJNSB_9not_fun_tINSB_14equal_to_valueIfEEEEEEE10hipError_tPvRmT3_T4_T5_T6_T7_T9_mT8_P12ihipStream_tbDpT10_ENKUlT_T0_E_clISt17integral_constantIbLb0EES18_EEDaS13_S14_EUlS13_E_NS1_11comp_targetILNS1_3genE5ELNS1_11target_archE942ELNS1_3gpuE9ELNS1_3repE0EEENS1_30default_config_static_selectorELNS0_4arch9wavefront6targetE0EEEvT1_.kd
    .uniform_work_group_size: 1
    .uses_dynamic_stack: false
    .vgpr_count:     0
    .vgpr_spill_count: 0
    .wavefront_size: 32
    .workgroup_processor_mode: 1
  - .args:
      - .offset:         0
        .size:           120
        .value_kind:     by_value
    .group_segment_fixed_size: 0
    .kernarg_segment_align: 8
    .kernarg_segment_size: 120
    .language:       OpenCL C
    .language_version:
      - 2
      - 0
    .max_flat_workgroup_size: 512
    .name:           _ZN7rocprim17ROCPRIM_400000_NS6detail17trampoline_kernelINS0_14default_configENS1_25partition_config_selectorILNS1_17partition_subalgoE6EfNS0_10empty_typeEbEEZZNS1_14partition_implILS5_6ELb0ES3_mN6thrust23THRUST_200600_302600_NS6detail15normal_iteratorINSA_10device_ptrIfEEEEPS6_SG_NS0_5tupleIJSF_S6_EEENSH_IJSG_SG_EEES6_PlJNSB_9not_fun_tINSB_14equal_to_valueIfEEEEEEE10hipError_tPvRmT3_T4_T5_T6_T7_T9_mT8_P12ihipStream_tbDpT10_ENKUlT_T0_E_clISt17integral_constantIbLb0EES18_EEDaS13_S14_EUlS13_E_NS1_11comp_targetILNS1_3genE4ELNS1_11target_archE910ELNS1_3gpuE8ELNS1_3repE0EEENS1_30default_config_static_selectorELNS0_4arch9wavefront6targetE0EEEvT1_
    .private_segment_fixed_size: 0
    .sgpr_count:     0
    .sgpr_spill_count: 0
    .symbol:         _ZN7rocprim17ROCPRIM_400000_NS6detail17trampoline_kernelINS0_14default_configENS1_25partition_config_selectorILNS1_17partition_subalgoE6EfNS0_10empty_typeEbEEZZNS1_14partition_implILS5_6ELb0ES3_mN6thrust23THRUST_200600_302600_NS6detail15normal_iteratorINSA_10device_ptrIfEEEEPS6_SG_NS0_5tupleIJSF_S6_EEENSH_IJSG_SG_EEES6_PlJNSB_9not_fun_tINSB_14equal_to_valueIfEEEEEEE10hipError_tPvRmT3_T4_T5_T6_T7_T9_mT8_P12ihipStream_tbDpT10_ENKUlT_T0_E_clISt17integral_constantIbLb0EES18_EEDaS13_S14_EUlS13_E_NS1_11comp_targetILNS1_3genE4ELNS1_11target_archE910ELNS1_3gpuE8ELNS1_3repE0EEENS1_30default_config_static_selectorELNS0_4arch9wavefront6targetE0EEEvT1_.kd
    .uniform_work_group_size: 1
    .uses_dynamic_stack: false
    .vgpr_count:     0
    .vgpr_spill_count: 0
    .wavefront_size: 32
    .workgroup_processor_mode: 1
  - .args:
      - .offset:         0
        .size:           120
        .value_kind:     by_value
    .group_segment_fixed_size: 0
    .kernarg_segment_align: 8
    .kernarg_segment_size: 120
    .language:       OpenCL C
    .language_version:
      - 2
      - 0
    .max_flat_workgroup_size: 256
    .name:           _ZN7rocprim17ROCPRIM_400000_NS6detail17trampoline_kernelINS0_14default_configENS1_25partition_config_selectorILNS1_17partition_subalgoE6EfNS0_10empty_typeEbEEZZNS1_14partition_implILS5_6ELb0ES3_mN6thrust23THRUST_200600_302600_NS6detail15normal_iteratorINSA_10device_ptrIfEEEEPS6_SG_NS0_5tupleIJSF_S6_EEENSH_IJSG_SG_EEES6_PlJNSB_9not_fun_tINSB_14equal_to_valueIfEEEEEEE10hipError_tPvRmT3_T4_T5_T6_T7_T9_mT8_P12ihipStream_tbDpT10_ENKUlT_T0_E_clISt17integral_constantIbLb0EES18_EEDaS13_S14_EUlS13_E_NS1_11comp_targetILNS1_3genE3ELNS1_11target_archE908ELNS1_3gpuE7ELNS1_3repE0EEENS1_30default_config_static_selectorELNS0_4arch9wavefront6targetE0EEEvT1_
    .private_segment_fixed_size: 0
    .sgpr_count:     0
    .sgpr_spill_count: 0
    .symbol:         _ZN7rocprim17ROCPRIM_400000_NS6detail17trampoline_kernelINS0_14default_configENS1_25partition_config_selectorILNS1_17partition_subalgoE6EfNS0_10empty_typeEbEEZZNS1_14partition_implILS5_6ELb0ES3_mN6thrust23THRUST_200600_302600_NS6detail15normal_iteratorINSA_10device_ptrIfEEEEPS6_SG_NS0_5tupleIJSF_S6_EEENSH_IJSG_SG_EEES6_PlJNSB_9not_fun_tINSB_14equal_to_valueIfEEEEEEE10hipError_tPvRmT3_T4_T5_T6_T7_T9_mT8_P12ihipStream_tbDpT10_ENKUlT_T0_E_clISt17integral_constantIbLb0EES18_EEDaS13_S14_EUlS13_E_NS1_11comp_targetILNS1_3genE3ELNS1_11target_archE908ELNS1_3gpuE7ELNS1_3repE0EEENS1_30default_config_static_selectorELNS0_4arch9wavefront6targetE0EEEvT1_.kd
    .uniform_work_group_size: 1
    .uses_dynamic_stack: false
    .vgpr_count:     0
    .vgpr_spill_count: 0
    .wavefront_size: 32
    .workgroup_processor_mode: 1
  - .args:
      - .offset:         0
        .size:           120
        .value_kind:     by_value
    .group_segment_fixed_size: 0
    .kernarg_segment_align: 8
    .kernarg_segment_size: 120
    .language:       OpenCL C
    .language_version:
      - 2
      - 0
    .max_flat_workgroup_size: 256
    .name:           _ZN7rocprim17ROCPRIM_400000_NS6detail17trampoline_kernelINS0_14default_configENS1_25partition_config_selectorILNS1_17partition_subalgoE6EfNS0_10empty_typeEbEEZZNS1_14partition_implILS5_6ELb0ES3_mN6thrust23THRUST_200600_302600_NS6detail15normal_iteratorINSA_10device_ptrIfEEEEPS6_SG_NS0_5tupleIJSF_S6_EEENSH_IJSG_SG_EEES6_PlJNSB_9not_fun_tINSB_14equal_to_valueIfEEEEEEE10hipError_tPvRmT3_T4_T5_T6_T7_T9_mT8_P12ihipStream_tbDpT10_ENKUlT_T0_E_clISt17integral_constantIbLb0EES18_EEDaS13_S14_EUlS13_E_NS1_11comp_targetILNS1_3genE2ELNS1_11target_archE906ELNS1_3gpuE6ELNS1_3repE0EEENS1_30default_config_static_selectorELNS0_4arch9wavefront6targetE0EEEvT1_
    .private_segment_fixed_size: 0
    .sgpr_count:     0
    .sgpr_spill_count: 0
    .symbol:         _ZN7rocprim17ROCPRIM_400000_NS6detail17trampoline_kernelINS0_14default_configENS1_25partition_config_selectorILNS1_17partition_subalgoE6EfNS0_10empty_typeEbEEZZNS1_14partition_implILS5_6ELb0ES3_mN6thrust23THRUST_200600_302600_NS6detail15normal_iteratorINSA_10device_ptrIfEEEEPS6_SG_NS0_5tupleIJSF_S6_EEENSH_IJSG_SG_EEES6_PlJNSB_9not_fun_tINSB_14equal_to_valueIfEEEEEEE10hipError_tPvRmT3_T4_T5_T6_T7_T9_mT8_P12ihipStream_tbDpT10_ENKUlT_T0_E_clISt17integral_constantIbLb0EES18_EEDaS13_S14_EUlS13_E_NS1_11comp_targetILNS1_3genE2ELNS1_11target_archE906ELNS1_3gpuE6ELNS1_3repE0EEENS1_30default_config_static_selectorELNS0_4arch9wavefront6targetE0EEEvT1_.kd
    .uniform_work_group_size: 1
    .uses_dynamic_stack: false
    .vgpr_count:     0
    .vgpr_spill_count: 0
    .wavefront_size: 32
    .workgroup_processor_mode: 1
  - .args:
      - .offset:         0
        .size:           120
        .value_kind:     by_value
    .group_segment_fixed_size: 10768
    .kernarg_segment_align: 8
    .kernarg_segment_size: 120
    .language:       OpenCL C
    .language_version:
      - 2
      - 0
    .max_flat_workgroup_size: 384
    .name:           _ZN7rocprim17ROCPRIM_400000_NS6detail17trampoline_kernelINS0_14default_configENS1_25partition_config_selectorILNS1_17partition_subalgoE6EfNS0_10empty_typeEbEEZZNS1_14partition_implILS5_6ELb0ES3_mN6thrust23THRUST_200600_302600_NS6detail15normal_iteratorINSA_10device_ptrIfEEEEPS6_SG_NS0_5tupleIJSF_S6_EEENSH_IJSG_SG_EEES6_PlJNSB_9not_fun_tINSB_14equal_to_valueIfEEEEEEE10hipError_tPvRmT3_T4_T5_T6_T7_T9_mT8_P12ihipStream_tbDpT10_ENKUlT_T0_E_clISt17integral_constantIbLb0EES18_EEDaS13_S14_EUlS13_E_NS1_11comp_targetILNS1_3genE10ELNS1_11target_archE1200ELNS1_3gpuE4ELNS1_3repE0EEENS1_30default_config_static_selectorELNS0_4arch9wavefront6targetE0EEEvT1_
    .private_segment_fixed_size: 0
    .sgpr_count:     20
    .sgpr_spill_count: 0
    .symbol:         _ZN7rocprim17ROCPRIM_400000_NS6detail17trampoline_kernelINS0_14default_configENS1_25partition_config_selectorILNS1_17partition_subalgoE6EfNS0_10empty_typeEbEEZZNS1_14partition_implILS5_6ELb0ES3_mN6thrust23THRUST_200600_302600_NS6detail15normal_iteratorINSA_10device_ptrIfEEEEPS6_SG_NS0_5tupleIJSF_S6_EEENSH_IJSG_SG_EEES6_PlJNSB_9not_fun_tINSB_14equal_to_valueIfEEEEEEE10hipError_tPvRmT3_T4_T5_T6_T7_T9_mT8_P12ihipStream_tbDpT10_ENKUlT_T0_E_clISt17integral_constantIbLb0EES18_EEDaS13_S14_EUlS13_E_NS1_11comp_targetILNS1_3genE10ELNS1_11target_archE1200ELNS1_3gpuE4ELNS1_3repE0EEENS1_30default_config_static_selectorELNS0_4arch9wavefront6targetE0EEEvT1_.kd
    .uniform_work_group_size: 1
    .uses_dynamic_stack: false
    .vgpr_count:     49
    .vgpr_spill_count: 0
    .wavefront_size: 32
    .workgroup_processor_mode: 1
  - .args:
      - .offset:         0
        .size:           120
        .value_kind:     by_value
    .group_segment_fixed_size: 0
    .kernarg_segment_align: 8
    .kernarg_segment_size: 120
    .language:       OpenCL C
    .language_version:
      - 2
      - 0
    .max_flat_workgroup_size: 128
    .name:           _ZN7rocprim17ROCPRIM_400000_NS6detail17trampoline_kernelINS0_14default_configENS1_25partition_config_selectorILNS1_17partition_subalgoE6EfNS0_10empty_typeEbEEZZNS1_14partition_implILS5_6ELb0ES3_mN6thrust23THRUST_200600_302600_NS6detail15normal_iteratorINSA_10device_ptrIfEEEEPS6_SG_NS0_5tupleIJSF_S6_EEENSH_IJSG_SG_EEES6_PlJNSB_9not_fun_tINSB_14equal_to_valueIfEEEEEEE10hipError_tPvRmT3_T4_T5_T6_T7_T9_mT8_P12ihipStream_tbDpT10_ENKUlT_T0_E_clISt17integral_constantIbLb0EES18_EEDaS13_S14_EUlS13_E_NS1_11comp_targetILNS1_3genE9ELNS1_11target_archE1100ELNS1_3gpuE3ELNS1_3repE0EEENS1_30default_config_static_selectorELNS0_4arch9wavefront6targetE0EEEvT1_
    .private_segment_fixed_size: 0
    .sgpr_count:     0
    .sgpr_spill_count: 0
    .symbol:         _ZN7rocprim17ROCPRIM_400000_NS6detail17trampoline_kernelINS0_14default_configENS1_25partition_config_selectorILNS1_17partition_subalgoE6EfNS0_10empty_typeEbEEZZNS1_14partition_implILS5_6ELb0ES3_mN6thrust23THRUST_200600_302600_NS6detail15normal_iteratorINSA_10device_ptrIfEEEEPS6_SG_NS0_5tupleIJSF_S6_EEENSH_IJSG_SG_EEES6_PlJNSB_9not_fun_tINSB_14equal_to_valueIfEEEEEEE10hipError_tPvRmT3_T4_T5_T6_T7_T9_mT8_P12ihipStream_tbDpT10_ENKUlT_T0_E_clISt17integral_constantIbLb0EES18_EEDaS13_S14_EUlS13_E_NS1_11comp_targetILNS1_3genE9ELNS1_11target_archE1100ELNS1_3gpuE3ELNS1_3repE0EEENS1_30default_config_static_selectorELNS0_4arch9wavefront6targetE0EEEvT1_.kd
    .uniform_work_group_size: 1
    .uses_dynamic_stack: false
    .vgpr_count:     0
    .vgpr_spill_count: 0
    .wavefront_size: 32
    .workgroup_processor_mode: 1
  - .args:
      - .offset:         0
        .size:           120
        .value_kind:     by_value
    .group_segment_fixed_size: 0
    .kernarg_segment_align: 8
    .kernarg_segment_size: 120
    .language:       OpenCL C
    .language_version:
      - 2
      - 0
    .max_flat_workgroup_size: 512
    .name:           _ZN7rocprim17ROCPRIM_400000_NS6detail17trampoline_kernelINS0_14default_configENS1_25partition_config_selectorILNS1_17partition_subalgoE6EfNS0_10empty_typeEbEEZZNS1_14partition_implILS5_6ELb0ES3_mN6thrust23THRUST_200600_302600_NS6detail15normal_iteratorINSA_10device_ptrIfEEEEPS6_SG_NS0_5tupleIJSF_S6_EEENSH_IJSG_SG_EEES6_PlJNSB_9not_fun_tINSB_14equal_to_valueIfEEEEEEE10hipError_tPvRmT3_T4_T5_T6_T7_T9_mT8_P12ihipStream_tbDpT10_ENKUlT_T0_E_clISt17integral_constantIbLb0EES18_EEDaS13_S14_EUlS13_E_NS1_11comp_targetILNS1_3genE8ELNS1_11target_archE1030ELNS1_3gpuE2ELNS1_3repE0EEENS1_30default_config_static_selectorELNS0_4arch9wavefront6targetE0EEEvT1_
    .private_segment_fixed_size: 0
    .sgpr_count:     0
    .sgpr_spill_count: 0
    .symbol:         _ZN7rocprim17ROCPRIM_400000_NS6detail17trampoline_kernelINS0_14default_configENS1_25partition_config_selectorILNS1_17partition_subalgoE6EfNS0_10empty_typeEbEEZZNS1_14partition_implILS5_6ELb0ES3_mN6thrust23THRUST_200600_302600_NS6detail15normal_iteratorINSA_10device_ptrIfEEEEPS6_SG_NS0_5tupleIJSF_S6_EEENSH_IJSG_SG_EEES6_PlJNSB_9not_fun_tINSB_14equal_to_valueIfEEEEEEE10hipError_tPvRmT3_T4_T5_T6_T7_T9_mT8_P12ihipStream_tbDpT10_ENKUlT_T0_E_clISt17integral_constantIbLb0EES18_EEDaS13_S14_EUlS13_E_NS1_11comp_targetILNS1_3genE8ELNS1_11target_archE1030ELNS1_3gpuE2ELNS1_3repE0EEENS1_30default_config_static_selectorELNS0_4arch9wavefront6targetE0EEEvT1_.kd
    .uniform_work_group_size: 1
    .uses_dynamic_stack: false
    .vgpr_count:     0
    .vgpr_spill_count: 0
    .wavefront_size: 32
    .workgroup_processor_mode: 1
  - .args:
      - .offset:         0
        .size:           128
        .value_kind:     by_value
    .group_segment_fixed_size: 0
    .kernarg_segment_align: 8
    .kernarg_segment_size: 128
    .language:       OpenCL C
    .language_version:
      - 2
      - 0
    .max_flat_workgroup_size: 256
    .name:           _ZN7rocprim17ROCPRIM_400000_NS6detail17trampoline_kernelINS0_14default_configENS1_25partition_config_selectorILNS1_17partition_subalgoE6EfNS0_10empty_typeEbEEZZNS1_14partition_implILS5_6ELb0ES3_mN6thrust23THRUST_200600_302600_NS6detail15normal_iteratorINSA_10device_ptrIfEEEEPS6_SG_NS0_5tupleIJSF_S6_EEENSH_IJSG_SG_EEES6_PlJNSB_9not_fun_tINSB_14equal_to_valueIfEEEEEEE10hipError_tPvRmT3_T4_T5_T6_T7_T9_mT8_P12ihipStream_tbDpT10_ENKUlT_T0_E_clISt17integral_constantIbLb1EES18_EEDaS13_S14_EUlS13_E_NS1_11comp_targetILNS1_3genE0ELNS1_11target_archE4294967295ELNS1_3gpuE0ELNS1_3repE0EEENS1_30default_config_static_selectorELNS0_4arch9wavefront6targetE0EEEvT1_
    .private_segment_fixed_size: 0
    .sgpr_count:     0
    .sgpr_spill_count: 0
    .symbol:         _ZN7rocprim17ROCPRIM_400000_NS6detail17trampoline_kernelINS0_14default_configENS1_25partition_config_selectorILNS1_17partition_subalgoE6EfNS0_10empty_typeEbEEZZNS1_14partition_implILS5_6ELb0ES3_mN6thrust23THRUST_200600_302600_NS6detail15normal_iteratorINSA_10device_ptrIfEEEEPS6_SG_NS0_5tupleIJSF_S6_EEENSH_IJSG_SG_EEES6_PlJNSB_9not_fun_tINSB_14equal_to_valueIfEEEEEEE10hipError_tPvRmT3_T4_T5_T6_T7_T9_mT8_P12ihipStream_tbDpT10_ENKUlT_T0_E_clISt17integral_constantIbLb1EES18_EEDaS13_S14_EUlS13_E_NS1_11comp_targetILNS1_3genE0ELNS1_11target_archE4294967295ELNS1_3gpuE0ELNS1_3repE0EEENS1_30default_config_static_selectorELNS0_4arch9wavefront6targetE0EEEvT1_.kd
    .uniform_work_group_size: 1
    .uses_dynamic_stack: false
    .vgpr_count:     0
    .vgpr_spill_count: 0
    .wavefront_size: 32
    .workgroup_processor_mode: 1
  - .args:
      - .offset:         0
        .size:           128
        .value_kind:     by_value
    .group_segment_fixed_size: 0
    .kernarg_segment_align: 8
    .kernarg_segment_size: 128
    .language:       OpenCL C
    .language_version:
      - 2
      - 0
    .max_flat_workgroup_size: 512
    .name:           _ZN7rocprim17ROCPRIM_400000_NS6detail17trampoline_kernelINS0_14default_configENS1_25partition_config_selectorILNS1_17partition_subalgoE6EfNS0_10empty_typeEbEEZZNS1_14partition_implILS5_6ELb0ES3_mN6thrust23THRUST_200600_302600_NS6detail15normal_iteratorINSA_10device_ptrIfEEEEPS6_SG_NS0_5tupleIJSF_S6_EEENSH_IJSG_SG_EEES6_PlJNSB_9not_fun_tINSB_14equal_to_valueIfEEEEEEE10hipError_tPvRmT3_T4_T5_T6_T7_T9_mT8_P12ihipStream_tbDpT10_ENKUlT_T0_E_clISt17integral_constantIbLb1EES18_EEDaS13_S14_EUlS13_E_NS1_11comp_targetILNS1_3genE5ELNS1_11target_archE942ELNS1_3gpuE9ELNS1_3repE0EEENS1_30default_config_static_selectorELNS0_4arch9wavefront6targetE0EEEvT1_
    .private_segment_fixed_size: 0
    .sgpr_count:     0
    .sgpr_spill_count: 0
    .symbol:         _ZN7rocprim17ROCPRIM_400000_NS6detail17trampoline_kernelINS0_14default_configENS1_25partition_config_selectorILNS1_17partition_subalgoE6EfNS0_10empty_typeEbEEZZNS1_14partition_implILS5_6ELb0ES3_mN6thrust23THRUST_200600_302600_NS6detail15normal_iteratorINSA_10device_ptrIfEEEEPS6_SG_NS0_5tupleIJSF_S6_EEENSH_IJSG_SG_EEES6_PlJNSB_9not_fun_tINSB_14equal_to_valueIfEEEEEEE10hipError_tPvRmT3_T4_T5_T6_T7_T9_mT8_P12ihipStream_tbDpT10_ENKUlT_T0_E_clISt17integral_constantIbLb1EES18_EEDaS13_S14_EUlS13_E_NS1_11comp_targetILNS1_3genE5ELNS1_11target_archE942ELNS1_3gpuE9ELNS1_3repE0EEENS1_30default_config_static_selectorELNS0_4arch9wavefront6targetE0EEEvT1_.kd
    .uniform_work_group_size: 1
    .uses_dynamic_stack: false
    .vgpr_count:     0
    .vgpr_spill_count: 0
    .wavefront_size: 32
    .workgroup_processor_mode: 1
  - .args:
      - .offset:         0
        .size:           128
        .value_kind:     by_value
    .group_segment_fixed_size: 0
    .kernarg_segment_align: 8
    .kernarg_segment_size: 128
    .language:       OpenCL C
    .language_version:
      - 2
      - 0
    .max_flat_workgroup_size: 512
    .name:           _ZN7rocprim17ROCPRIM_400000_NS6detail17trampoline_kernelINS0_14default_configENS1_25partition_config_selectorILNS1_17partition_subalgoE6EfNS0_10empty_typeEbEEZZNS1_14partition_implILS5_6ELb0ES3_mN6thrust23THRUST_200600_302600_NS6detail15normal_iteratorINSA_10device_ptrIfEEEEPS6_SG_NS0_5tupleIJSF_S6_EEENSH_IJSG_SG_EEES6_PlJNSB_9not_fun_tINSB_14equal_to_valueIfEEEEEEE10hipError_tPvRmT3_T4_T5_T6_T7_T9_mT8_P12ihipStream_tbDpT10_ENKUlT_T0_E_clISt17integral_constantIbLb1EES18_EEDaS13_S14_EUlS13_E_NS1_11comp_targetILNS1_3genE4ELNS1_11target_archE910ELNS1_3gpuE8ELNS1_3repE0EEENS1_30default_config_static_selectorELNS0_4arch9wavefront6targetE0EEEvT1_
    .private_segment_fixed_size: 0
    .sgpr_count:     0
    .sgpr_spill_count: 0
    .symbol:         _ZN7rocprim17ROCPRIM_400000_NS6detail17trampoline_kernelINS0_14default_configENS1_25partition_config_selectorILNS1_17partition_subalgoE6EfNS0_10empty_typeEbEEZZNS1_14partition_implILS5_6ELb0ES3_mN6thrust23THRUST_200600_302600_NS6detail15normal_iteratorINSA_10device_ptrIfEEEEPS6_SG_NS0_5tupleIJSF_S6_EEENSH_IJSG_SG_EEES6_PlJNSB_9not_fun_tINSB_14equal_to_valueIfEEEEEEE10hipError_tPvRmT3_T4_T5_T6_T7_T9_mT8_P12ihipStream_tbDpT10_ENKUlT_T0_E_clISt17integral_constantIbLb1EES18_EEDaS13_S14_EUlS13_E_NS1_11comp_targetILNS1_3genE4ELNS1_11target_archE910ELNS1_3gpuE8ELNS1_3repE0EEENS1_30default_config_static_selectorELNS0_4arch9wavefront6targetE0EEEvT1_.kd
    .uniform_work_group_size: 1
    .uses_dynamic_stack: false
    .vgpr_count:     0
    .vgpr_spill_count: 0
    .wavefront_size: 32
    .workgroup_processor_mode: 1
  - .args:
      - .offset:         0
        .size:           128
        .value_kind:     by_value
    .group_segment_fixed_size: 0
    .kernarg_segment_align: 8
    .kernarg_segment_size: 128
    .language:       OpenCL C
    .language_version:
      - 2
      - 0
    .max_flat_workgroup_size: 256
    .name:           _ZN7rocprim17ROCPRIM_400000_NS6detail17trampoline_kernelINS0_14default_configENS1_25partition_config_selectorILNS1_17partition_subalgoE6EfNS0_10empty_typeEbEEZZNS1_14partition_implILS5_6ELb0ES3_mN6thrust23THRUST_200600_302600_NS6detail15normal_iteratorINSA_10device_ptrIfEEEEPS6_SG_NS0_5tupleIJSF_S6_EEENSH_IJSG_SG_EEES6_PlJNSB_9not_fun_tINSB_14equal_to_valueIfEEEEEEE10hipError_tPvRmT3_T4_T5_T6_T7_T9_mT8_P12ihipStream_tbDpT10_ENKUlT_T0_E_clISt17integral_constantIbLb1EES18_EEDaS13_S14_EUlS13_E_NS1_11comp_targetILNS1_3genE3ELNS1_11target_archE908ELNS1_3gpuE7ELNS1_3repE0EEENS1_30default_config_static_selectorELNS0_4arch9wavefront6targetE0EEEvT1_
    .private_segment_fixed_size: 0
    .sgpr_count:     0
    .sgpr_spill_count: 0
    .symbol:         _ZN7rocprim17ROCPRIM_400000_NS6detail17trampoline_kernelINS0_14default_configENS1_25partition_config_selectorILNS1_17partition_subalgoE6EfNS0_10empty_typeEbEEZZNS1_14partition_implILS5_6ELb0ES3_mN6thrust23THRUST_200600_302600_NS6detail15normal_iteratorINSA_10device_ptrIfEEEEPS6_SG_NS0_5tupleIJSF_S6_EEENSH_IJSG_SG_EEES6_PlJNSB_9not_fun_tINSB_14equal_to_valueIfEEEEEEE10hipError_tPvRmT3_T4_T5_T6_T7_T9_mT8_P12ihipStream_tbDpT10_ENKUlT_T0_E_clISt17integral_constantIbLb1EES18_EEDaS13_S14_EUlS13_E_NS1_11comp_targetILNS1_3genE3ELNS1_11target_archE908ELNS1_3gpuE7ELNS1_3repE0EEENS1_30default_config_static_selectorELNS0_4arch9wavefront6targetE0EEEvT1_.kd
    .uniform_work_group_size: 1
    .uses_dynamic_stack: false
    .vgpr_count:     0
    .vgpr_spill_count: 0
    .wavefront_size: 32
    .workgroup_processor_mode: 1
  - .args:
      - .offset:         0
        .size:           128
        .value_kind:     by_value
    .group_segment_fixed_size: 0
    .kernarg_segment_align: 8
    .kernarg_segment_size: 128
    .language:       OpenCL C
    .language_version:
      - 2
      - 0
    .max_flat_workgroup_size: 256
    .name:           _ZN7rocprim17ROCPRIM_400000_NS6detail17trampoline_kernelINS0_14default_configENS1_25partition_config_selectorILNS1_17partition_subalgoE6EfNS0_10empty_typeEbEEZZNS1_14partition_implILS5_6ELb0ES3_mN6thrust23THRUST_200600_302600_NS6detail15normal_iteratorINSA_10device_ptrIfEEEEPS6_SG_NS0_5tupleIJSF_S6_EEENSH_IJSG_SG_EEES6_PlJNSB_9not_fun_tINSB_14equal_to_valueIfEEEEEEE10hipError_tPvRmT3_T4_T5_T6_T7_T9_mT8_P12ihipStream_tbDpT10_ENKUlT_T0_E_clISt17integral_constantIbLb1EES18_EEDaS13_S14_EUlS13_E_NS1_11comp_targetILNS1_3genE2ELNS1_11target_archE906ELNS1_3gpuE6ELNS1_3repE0EEENS1_30default_config_static_selectorELNS0_4arch9wavefront6targetE0EEEvT1_
    .private_segment_fixed_size: 0
    .sgpr_count:     0
    .sgpr_spill_count: 0
    .symbol:         _ZN7rocprim17ROCPRIM_400000_NS6detail17trampoline_kernelINS0_14default_configENS1_25partition_config_selectorILNS1_17partition_subalgoE6EfNS0_10empty_typeEbEEZZNS1_14partition_implILS5_6ELb0ES3_mN6thrust23THRUST_200600_302600_NS6detail15normal_iteratorINSA_10device_ptrIfEEEEPS6_SG_NS0_5tupleIJSF_S6_EEENSH_IJSG_SG_EEES6_PlJNSB_9not_fun_tINSB_14equal_to_valueIfEEEEEEE10hipError_tPvRmT3_T4_T5_T6_T7_T9_mT8_P12ihipStream_tbDpT10_ENKUlT_T0_E_clISt17integral_constantIbLb1EES18_EEDaS13_S14_EUlS13_E_NS1_11comp_targetILNS1_3genE2ELNS1_11target_archE906ELNS1_3gpuE6ELNS1_3repE0EEENS1_30default_config_static_selectorELNS0_4arch9wavefront6targetE0EEEvT1_.kd
    .uniform_work_group_size: 1
    .uses_dynamic_stack: false
    .vgpr_count:     0
    .vgpr_spill_count: 0
    .wavefront_size: 32
    .workgroup_processor_mode: 1
  - .args:
      - .offset:         0
        .size:           128
        .value_kind:     by_value
    .group_segment_fixed_size: 0
    .kernarg_segment_align: 8
    .kernarg_segment_size: 128
    .language:       OpenCL C
    .language_version:
      - 2
      - 0
    .max_flat_workgroup_size: 384
    .name:           _ZN7rocprim17ROCPRIM_400000_NS6detail17trampoline_kernelINS0_14default_configENS1_25partition_config_selectorILNS1_17partition_subalgoE6EfNS0_10empty_typeEbEEZZNS1_14partition_implILS5_6ELb0ES3_mN6thrust23THRUST_200600_302600_NS6detail15normal_iteratorINSA_10device_ptrIfEEEEPS6_SG_NS0_5tupleIJSF_S6_EEENSH_IJSG_SG_EEES6_PlJNSB_9not_fun_tINSB_14equal_to_valueIfEEEEEEE10hipError_tPvRmT3_T4_T5_T6_T7_T9_mT8_P12ihipStream_tbDpT10_ENKUlT_T0_E_clISt17integral_constantIbLb1EES18_EEDaS13_S14_EUlS13_E_NS1_11comp_targetILNS1_3genE10ELNS1_11target_archE1200ELNS1_3gpuE4ELNS1_3repE0EEENS1_30default_config_static_selectorELNS0_4arch9wavefront6targetE0EEEvT1_
    .private_segment_fixed_size: 0
    .sgpr_count:     0
    .sgpr_spill_count: 0
    .symbol:         _ZN7rocprim17ROCPRIM_400000_NS6detail17trampoline_kernelINS0_14default_configENS1_25partition_config_selectorILNS1_17partition_subalgoE6EfNS0_10empty_typeEbEEZZNS1_14partition_implILS5_6ELb0ES3_mN6thrust23THRUST_200600_302600_NS6detail15normal_iteratorINSA_10device_ptrIfEEEEPS6_SG_NS0_5tupleIJSF_S6_EEENSH_IJSG_SG_EEES6_PlJNSB_9not_fun_tINSB_14equal_to_valueIfEEEEEEE10hipError_tPvRmT3_T4_T5_T6_T7_T9_mT8_P12ihipStream_tbDpT10_ENKUlT_T0_E_clISt17integral_constantIbLb1EES18_EEDaS13_S14_EUlS13_E_NS1_11comp_targetILNS1_3genE10ELNS1_11target_archE1200ELNS1_3gpuE4ELNS1_3repE0EEENS1_30default_config_static_selectorELNS0_4arch9wavefront6targetE0EEEvT1_.kd
    .uniform_work_group_size: 1
    .uses_dynamic_stack: false
    .vgpr_count:     0
    .vgpr_spill_count: 0
    .wavefront_size: 32
    .workgroup_processor_mode: 1
  - .args:
      - .offset:         0
        .size:           128
        .value_kind:     by_value
    .group_segment_fixed_size: 0
    .kernarg_segment_align: 8
    .kernarg_segment_size: 128
    .language:       OpenCL C
    .language_version:
      - 2
      - 0
    .max_flat_workgroup_size: 128
    .name:           _ZN7rocprim17ROCPRIM_400000_NS6detail17trampoline_kernelINS0_14default_configENS1_25partition_config_selectorILNS1_17partition_subalgoE6EfNS0_10empty_typeEbEEZZNS1_14partition_implILS5_6ELb0ES3_mN6thrust23THRUST_200600_302600_NS6detail15normal_iteratorINSA_10device_ptrIfEEEEPS6_SG_NS0_5tupleIJSF_S6_EEENSH_IJSG_SG_EEES6_PlJNSB_9not_fun_tINSB_14equal_to_valueIfEEEEEEE10hipError_tPvRmT3_T4_T5_T6_T7_T9_mT8_P12ihipStream_tbDpT10_ENKUlT_T0_E_clISt17integral_constantIbLb1EES18_EEDaS13_S14_EUlS13_E_NS1_11comp_targetILNS1_3genE9ELNS1_11target_archE1100ELNS1_3gpuE3ELNS1_3repE0EEENS1_30default_config_static_selectorELNS0_4arch9wavefront6targetE0EEEvT1_
    .private_segment_fixed_size: 0
    .sgpr_count:     0
    .sgpr_spill_count: 0
    .symbol:         _ZN7rocprim17ROCPRIM_400000_NS6detail17trampoline_kernelINS0_14default_configENS1_25partition_config_selectorILNS1_17partition_subalgoE6EfNS0_10empty_typeEbEEZZNS1_14partition_implILS5_6ELb0ES3_mN6thrust23THRUST_200600_302600_NS6detail15normal_iteratorINSA_10device_ptrIfEEEEPS6_SG_NS0_5tupleIJSF_S6_EEENSH_IJSG_SG_EEES6_PlJNSB_9not_fun_tINSB_14equal_to_valueIfEEEEEEE10hipError_tPvRmT3_T4_T5_T6_T7_T9_mT8_P12ihipStream_tbDpT10_ENKUlT_T0_E_clISt17integral_constantIbLb1EES18_EEDaS13_S14_EUlS13_E_NS1_11comp_targetILNS1_3genE9ELNS1_11target_archE1100ELNS1_3gpuE3ELNS1_3repE0EEENS1_30default_config_static_selectorELNS0_4arch9wavefront6targetE0EEEvT1_.kd
    .uniform_work_group_size: 1
    .uses_dynamic_stack: false
    .vgpr_count:     0
    .vgpr_spill_count: 0
    .wavefront_size: 32
    .workgroup_processor_mode: 1
  - .args:
      - .offset:         0
        .size:           128
        .value_kind:     by_value
    .group_segment_fixed_size: 0
    .kernarg_segment_align: 8
    .kernarg_segment_size: 128
    .language:       OpenCL C
    .language_version:
      - 2
      - 0
    .max_flat_workgroup_size: 512
    .name:           _ZN7rocprim17ROCPRIM_400000_NS6detail17trampoline_kernelINS0_14default_configENS1_25partition_config_selectorILNS1_17partition_subalgoE6EfNS0_10empty_typeEbEEZZNS1_14partition_implILS5_6ELb0ES3_mN6thrust23THRUST_200600_302600_NS6detail15normal_iteratorINSA_10device_ptrIfEEEEPS6_SG_NS0_5tupleIJSF_S6_EEENSH_IJSG_SG_EEES6_PlJNSB_9not_fun_tINSB_14equal_to_valueIfEEEEEEE10hipError_tPvRmT3_T4_T5_T6_T7_T9_mT8_P12ihipStream_tbDpT10_ENKUlT_T0_E_clISt17integral_constantIbLb1EES18_EEDaS13_S14_EUlS13_E_NS1_11comp_targetILNS1_3genE8ELNS1_11target_archE1030ELNS1_3gpuE2ELNS1_3repE0EEENS1_30default_config_static_selectorELNS0_4arch9wavefront6targetE0EEEvT1_
    .private_segment_fixed_size: 0
    .sgpr_count:     0
    .sgpr_spill_count: 0
    .symbol:         _ZN7rocprim17ROCPRIM_400000_NS6detail17trampoline_kernelINS0_14default_configENS1_25partition_config_selectorILNS1_17partition_subalgoE6EfNS0_10empty_typeEbEEZZNS1_14partition_implILS5_6ELb0ES3_mN6thrust23THRUST_200600_302600_NS6detail15normal_iteratorINSA_10device_ptrIfEEEEPS6_SG_NS0_5tupleIJSF_S6_EEENSH_IJSG_SG_EEES6_PlJNSB_9not_fun_tINSB_14equal_to_valueIfEEEEEEE10hipError_tPvRmT3_T4_T5_T6_T7_T9_mT8_P12ihipStream_tbDpT10_ENKUlT_T0_E_clISt17integral_constantIbLb1EES18_EEDaS13_S14_EUlS13_E_NS1_11comp_targetILNS1_3genE8ELNS1_11target_archE1030ELNS1_3gpuE2ELNS1_3repE0EEENS1_30default_config_static_selectorELNS0_4arch9wavefront6targetE0EEEvT1_.kd
    .uniform_work_group_size: 1
    .uses_dynamic_stack: false
    .vgpr_count:     0
    .vgpr_spill_count: 0
    .wavefront_size: 32
    .workgroup_processor_mode: 1
  - .args:
      - .offset:         0
        .size:           120
        .value_kind:     by_value
    .group_segment_fixed_size: 0
    .kernarg_segment_align: 8
    .kernarg_segment_size: 120
    .language:       OpenCL C
    .language_version:
      - 2
      - 0
    .max_flat_workgroup_size: 256
    .name:           _ZN7rocprim17ROCPRIM_400000_NS6detail17trampoline_kernelINS0_14default_configENS1_25partition_config_selectorILNS1_17partition_subalgoE6EfNS0_10empty_typeEbEEZZNS1_14partition_implILS5_6ELb0ES3_mN6thrust23THRUST_200600_302600_NS6detail15normal_iteratorINSA_10device_ptrIfEEEEPS6_SG_NS0_5tupleIJSF_S6_EEENSH_IJSG_SG_EEES6_PlJNSB_9not_fun_tINSB_14equal_to_valueIfEEEEEEE10hipError_tPvRmT3_T4_T5_T6_T7_T9_mT8_P12ihipStream_tbDpT10_ENKUlT_T0_E_clISt17integral_constantIbLb1EES17_IbLb0EEEEDaS13_S14_EUlS13_E_NS1_11comp_targetILNS1_3genE0ELNS1_11target_archE4294967295ELNS1_3gpuE0ELNS1_3repE0EEENS1_30default_config_static_selectorELNS0_4arch9wavefront6targetE0EEEvT1_
    .private_segment_fixed_size: 0
    .sgpr_count:     0
    .sgpr_spill_count: 0
    .symbol:         _ZN7rocprim17ROCPRIM_400000_NS6detail17trampoline_kernelINS0_14default_configENS1_25partition_config_selectorILNS1_17partition_subalgoE6EfNS0_10empty_typeEbEEZZNS1_14partition_implILS5_6ELb0ES3_mN6thrust23THRUST_200600_302600_NS6detail15normal_iteratorINSA_10device_ptrIfEEEEPS6_SG_NS0_5tupleIJSF_S6_EEENSH_IJSG_SG_EEES6_PlJNSB_9not_fun_tINSB_14equal_to_valueIfEEEEEEE10hipError_tPvRmT3_T4_T5_T6_T7_T9_mT8_P12ihipStream_tbDpT10_ENKUlT_T0_E_clISt17integral_constantIbLb1EES17_IbLb0EEEEDaS13_S14_EUlS13_E_NS1_11comp_targetILNS1_3genE0ELNS1_11target_archE4294967295ELNS1_3gpuE0ELNS1_3repE0EEENS1_30default_config_static_selectorELNS0_4arch9wavefront6targetE0EEEvT1_.kd
    .uniform_work_group_size: 1
    .uses_dynamic_stack: false
    .vgpr_count:     0
    .vgpr_spill_count: 0
    .wavefront_size: 32
    .workgroup_processor_mode: 1
  - .args:
      - .offset:         0
        .size:           120
        .value_kind:     by_value
    .group_segment_fixed_size: 0
    .kernarg_segment_align: 8
    .kernarg_segment_size: 120
    .language:       OpenCL C
    .language_version:
      - 2
      - 0
    .max_flat_workgroup_size: 512
    .name:           _ZN7rocprim17ROCPRIM_400000_NS6detail17trampoline_kernelINS0_14default_configENS1_25partition_config_selectorILNS1_17partition_subalgoE6EfNS0_10empty_typeEbEEZZNS1_14partition_implILS5_6ELb0ES3_mN6thrust23THRUST_200600_302600_NS6detail15normal_iteratorINSA_10device_ptrIfEEEEPS6_SG_NS0_5tupleIJSF_S6_EEENSH_IJSG_SG_EEES6_PlJNSB_9not_fun_tINSB_14equal_to_valueIfEEEEEEE10hipError_tPvRmT3_T4_T5_T6_T7_T9_mT8_P12ihipStream_tbDpT10_ENKUlT_T0_E_clISt17integral_constantIbLb1EES17_IbLb0EEEEDaS13_S14_EUlS13_E_NS1_11comp_targetILNS1_3genE5ELNS1_11target_archE942ELNS1_3gpuE9ELNS1_3repE0EEENS1_30default_config_static_selectorELNS0_4arch9wavefront6targetE0EEEvT1_
    .private_segment_fixed_size: 0
    .sgpr_count:     0
    .sgpr_spill_count: 0
    .symbol:         _ZN7rocprim17ROCPRIM_400000_NS6detail17trampoline_kernelINS0_14default_configENS1_25partition_config_selectorILNS1_17partition_subalgoE6EfNS0_10empty_typeEbEEZZNS1_14partition_implILS5_6ELb0ES3_mN6thrust23THRUST_200600_302600_NS6detail15normal_iteratorINSA_10device_ptrIfEEEEPS6_SG_NS0_5tupleIJSF_S6_EEENSH_IJSG_SG_EEES6_PlJNSB_9not_fun_tINSB_14equal_to_valueIfEEEEEEE10hipError_tPvRmT3_T4_T5_T6_T7_T9_mT8_P12ihipStream_tbDpT10_ENKUlT_T0_E_clISt17integral_constantIbLb1EES17_IbLb0EEEEDaS13_S14_EUlS13_E_NS1_11comp_targetILNS1_3genE5ELNS1_11target_archE942ELNS1_3gpuE9ELNS1_3repE0EEENS1_30default_config_static_selectorELNS0_4arch9wavefront6targetE0EEEvT1_.kd
    .uniform_work_group_size: 1
    .uses_dynamic_stack: false
    .vgpr_count:     0
    .vgpr_spill_count: 0
    .wavefront_size: 32
    .workgroup_processor_mode: 1
  - .args:
      - .offset:         0
        .size:           120
        .value_kind:     by_value
    .group_segment_fixed_size: 0
    .kernarg_segment_align: 8
    .kernarg_segment_size: 120
    .language:       OpenCL C
    .language_version:
      - 2
      - 0
    .max_flat_workgroup_size: 512
    .name:           _ZN7rocprim17ROCPRIM_400000_NS6detail17trampoline_kernelINS0_14default_configENS1_25partition_config_selectorILNS1_17partition_subalgoE6EfNS0_10empty_typeEbEEZZNS1_14partition_implILS5_6ELb0ES3_mN6thrust23THRUST_200600_302600_NS6detail15normal_iteratorINSA_10device_ptrIfEEEEPS6_SG_NS0_5tupleIJSF_S6_EEENSH_IJSG_SG_EEES6_PlJNSB_9not_fun_tINSB_14equal_to_valueIfEEEEEEE10hipError_tPvRmT3_T4_T5_T6_T7_T9_mT8_P12ihipStream_tbDpT10_ENKUlT_T0_E_clISt17integral_constantIbLb1EES17_IbLb0EEEEDaS13_S14_EUlS13_E_NS1_11comp_targetILNS1_3genE4ELNS1_11target_archE910ELNS1_3gpuE8ELNS1_3repE0EEENS1_30default_config_static_selectorELNS0_4arch9wavefront6targetE0EEEvT1_
    .private_segment_fixed_size: 0
    .sgpr_count:     0
    .sgpr_spill_count: 0
    .symbol:         _ZN7rocprim17ROCPRIM_400000_NS6detail17trampoline_kernelINS0_14default_configENS1_25partition_config_selectorILNS1_17partition_subalgoE6EfNS0_10empty_typeEbEEZZNS1_14partition_implILS5_6ELb0ES3_mN6thrust23THRUST_200600_302600_NS6detail15normal_iteratorINSA_10device_ptrIfEEEEPS6_SG_NS0_5tupleIJSF_S6_EEENSH_IJSG_SG_EEES6_PlJNSB_9not_fun_tINSB_14equal_to_valueIfEEEEEEE10hipError_tPvRmT3_T4_T5_T6_T7_T9_mT8_P12ihipStream_tbDpT10_ENKUlT_T0_E_clISt17integral_constantIbLb1EES17_IbLb0EEEEDaS13_S14_EUlS13_E_NS1_11comp_targetILNS1_3genE4ELNS1_11target_archE910ELNS1_3gpuE8ELNS1_3repE0EEENS1_30default_config_static_selectorELNS0_4arch9wavefront6targetE0EEEvT1_.kd
    .uniform_work_group_size: 1
    .uses_dynamic_stack: false
    .vgpr_count:     0
    .vgpr_spill_count: 0
    .wavefront_size: 32
    .workgroup_processor_mode: 1
  - .args:
      - .offset:         0
        .size:           120
        .value_kind:     by_value
    .group_segment_fixed_size: 0
    .kernarg_segment_align: 8
    .kernarg_segment_size: 120
    .language:       OpenCL C
    .language_version:
      - 2
      - 0
    .max_flat_workgroup_size: 256
    .name:           _ZN7rocprim17ROCPRIM_400000_NS6detail17trampoline_kernelINS0_14default_configENS1_25partition_config_selectorILNS1_17partition_subalgoE6EfNS0_10empty_typeEbEEZZNS1_14partition_implILS5_6ELb0ES3_mN6thrust23THRUST_200600_302600_NS6detail15normal_iteratorINSA_10device_ptrIfEEEEPS6_SG_NS0_5tupleIJSF_S6_EEENSH_IJSG_SG_EEES6_PlJNSB_9not_fun_tINSB_14equal_to_valueIfEEEEEEE10hipError_tPvRmT3_T4_T5_T6_T7_T9_mT8_P12ihipStream_tbDpT10_ENKUlT_T0_E_clISt17integral_constantIbLb1EES17_IbLb0EEEEDaS13_S14_EUlS13_E_NS1_11comp_targetILNS1_3genE3ELNS1_11target_archE908ELNS1_3gpuE7ELNS1_3repE0EEENS1_30default_config_static_selectorELNS0_4arch9wavefront6targetE0EEEvT1_
    .private_segment_fixed_size: 0
    .sgpr_count:     0
    .sgpr_spill_count: 0
    .symbol:         _ZN7rocprim17ROCPRIM_400000_NS6detail17trampoline_kernelINS0_14default_configENS1_25partition_config_selectorILNS1_17partition_subalgoE6EfNS0_10empty_typeEbEEZZNS1_14partition_implILS5_6ELb0ES3_mN6thrust23THRUST_200600_302600_NS6detail15normal_iteratorINSA_10device_ptrIfEEEEPS6_SG_NS0_5tupleIJSF_S6_EEENSH_IJSG_SG_EEES6_PlJNSB_9not_fun_tINSB_14equal_to_valueIfEEEEEEE10hipError_tPvRmT3_T4_T5_T6_T7_T9_mT8_P12ihipStream_tbDpT10_ENKUlT_T0_E_clISt17integral_constantIbLb1EES17_IbLb0EEEEDaS13_S14_EUlS13_E_NS1_11comp_targetILNS1_3genE3ELNS1_11target_archE908ELNS1_3gpuE7ELNS1_3repE0EEENS1_30default_config_static_selectorELNS0_4arch9wavefront6targetE0EEEvT1_.kd
    .uniform_work_group_size: 1
    .uses_dynamic_stack: false
    .vgpr_count:     0
    .vgpr_spill_count: 0
    .wavefront_size: 32
    .workgroup_processor_mode: 1
  - .args:
      - .offset:         0
        .size:           120
        .value_kind:     by_value
    .group_segment_fixed_size: 0
    .kernarg_segment_align: 8
    .kernarg_segment_size: 120
    .language:       OpenCL C
    .language_version:
      - 2
      - 0
    .max_flat_workgroup_size: 256
    .name:           _ZN7rocprim17ROCPRIM_400000_NS6detail17trampoline_kernelINS0_14default_configENS1_25partition_config_selectorILNS1_17partition_subalgoE6EfNS0_10empty_typeEbEEZZNS1_14partition_implILS5_6ELb0ES3_mN6thrust23THRUST_200600_302600_NS6detail15normal_iteratorINSA_10device_ptrIfEEEEPS6_SG_NS0_5tupleIJSF_S6_EEENSH_IJSG_SG_EEES6_PlJNSB_9not_fun_tINSB_14equal_to_valueIfEEEEEEE10hipError_tPvRmT3_T4_T5_T6_T7_T9_mT8_P12ihipStream_tbDpT10_ENKUlT_T0_E_clISt17integral_constantIbLb1EES17_IbLb0EEEEDaS13_S14_EUlS13_E_NS1_11comp_targetILNS1_3genE2ELNS1_11target_archE906ELNS1_3gpuE6ELNS1_3repE0EEENS1_30default_config_static_selectorELNS0_4arch9wavefront6targetE0EEEvT1_
    .private_segment_fixed_size: 0
    .sgpr_count:     0
    .sgpr_spill_count: 0
    .symbol:         _ZN7rocprim17ROCPRIM_400000_NS6detail17trampoline_kernelINS0_14default_configENS1_25partition_config_selectorILNS1_17partition_subalgoE6EfNS0_10empty_typeEbEEZZNS1_14partition_implILS5_6ELb0ES3_mN6thrust23THRUST_200600_302600_NS6detail15normal_iteratorINSA_10device_ptrIfEEEEPS6_SG_NS0_5tupleIJSF_S6_EEENSH_IJSG_SG_EEES6_PlJNSB_9not_fun_tINSB_14equal_to_valueIfEEEEEEE10hipError_tPvRmT3_T4_T5_T6_T7_T9_mT8_P12ihipStream_tbDpT10_ENKUlT_T0_E_clISt17integral_constantIbLb1EES17_IbLb0EEEEDaS13_S14_EUlS13_E_NS1_11comp_targetILNS1_3genE2ELNS1_11target_archE906ELNS1_3gpuE6ELNS1_3repE0EEENS1_30default_config_static_selectorELNS0_4arch9wavefront6targetE0EEEvT1_.kd
    .uniform_work_group_size: 1
    .uses_dynamic_stack: false
    .vgpr_count:     0
    .vgpr_spill_count: 0
    .wavefront_size: 32
    .workgroup_processor_mode: 1
  - .args:
      - .offset:         0
        .size:           120
        .value_kind:     by_value
    .group_segment_fixed_size: 0
    .kernarg_segment_align: 8
    .kernarg_segment_size: 120
    .language:       OpenCL C
    .language_version:
      - 2
      - 0
    .max_flat_workgroup_size: 384
    .name:           _ZN7rocprim17ROCPRIM_400000_NS6detail17trampoline_kernelINS0_14default_configENS1_25partition_config_selectorILNS1_17partition_subalgoE6EfNS0_10empty_typeEbEEZZNS1_14partition_implILS5_6ELb0ES3_mN6thrust23THRUST_200600_302600_NS6detail15normal_iteratorINSA_10device_ptrIfEEEEPS6_SG_NS0_5tupleIJSF_S6_EEENSH_IJSG_SG_EEES6_PlJNSB_9not_fun_tINSB_14equal_to_valueIfEEEEEEE10hipError_tPvRmT3_T4_T5_T6_T7_T9_mT8_P12ihipStream_tbDpT10_ENKUlT_T0_E_clISt17integral_constantIbLb1EES17_IbLb0EEEEDaS13_S14_EUlS13_E_NS1_11comp_targetILNS1_3genE10ELNS1_11target_archE1200ELNS1_3gpuE4ELNS1_3repE0EEENS1_30default_config_static_selectorELNS0_4arch9wavefront6targetE0EEEvT1_
    .private_segment_fixed_size: 0
    .sgpr_count:     0
    .sgpr_spill_count: 0
    .symbol:         _ZN7rocprim17ROCPRIM_400000_NS6detail17trampoline_kernelINS0_14default_configENS1_25partition_config_selectorILNS1_17partition_subalgoE6EfNS0_10empty_typeEbEEZZNS1_14partition_implILS5_6ELb0ES3_mN6thrust23THRUST_200600_302600_NS6detail15normal_iteratorINSA_10device_ptrIfEEEEPS6_SG_NS0_5tupleIJSF_S6_EEENSH_IJSG_SG_EEES6_PlJNSB_9not_fun_tINSB_14equal_to_valueIfEEEEEEE10hipError_tPvRmT3_T4_T5_T6_T7_T9_mT8_P12ihipStream_tbDpT10_ENKUlT_T0_E_clISt17integral_constantIbLb1EES17_IbLb0EEEEDaS13_S14_EUlS13_E_NS1_11comp_targetILNS1_3genE10ELNS1_11target_archE1200ELNS1_3gpuE4ELNS1_3repE0EEENS1_30default_config_static_selectorELNS0_4arch9wavefront6targetE0EEEvT1_.kd
    .uniform_work_group_size: 1
    .uses_dynamic_stack: false
    .vgpr_count:     0
    .vgpr_spill_count: 0
    .wavefront_size: 32
    .workgroup_processor_mode: 1
  - .args:
      - .offset:         0
        .size:           120
        .value_kind:     by_value
    .group_segment_fixed_size: 0
    .kernarg_segment_align: 8
    .kernarg_segment_size: 120
    .language:       OpenCL C
    .language_version:
      - 2
      - 0
    .max_flat_workgroup_size: 128
    .name:           _ZN7rocprim17ROCPRIM_400000_NS6detail17trampoline_kernelINS0_14default_configENS1_25partition_config_selectorILNS1_17partition_subalgoE6EfNS0_10empty_typeEbEEZZNS1_14partition_implILS5_6ELb0ES3_mN6thrust23THRUST_200600_302600_NS6detail15normal_iteratorINSA_10device_ptrIfEEEEPS6_SG_NS0_5tupleIJSF_S6_EEENSH_IJSG_SG_EEES6_PlJNSB_9not_fun_tINSB_14equal_to_valueIfEEEEEEE10hipError_tPvRmT3_T4_T5_T6_T7_T9_mT8_P12ihipStream_tbDpT10_ENKUlT_T0_E_clISt17integral_constantIbLb1EES17_IbLb0EEEEDaS13_S14_EUlS13_E_NS1_11comp_targetILNS1_3genE9ELNS1_11target_archE1100ELNS1_3gpuE3ELNS1_3repE0EEENS1_30default_config_static_selectorELNS0_4arch9wavefront6targetE0EEEvT1_
    .private_segment_fixed_size: 0
    .sgpr_count:     0
    .sgpr_spill_count: 0
    .symbol:         _ZN7rocprim17ROCPRIM_400000_NS6detail17trampoline_kernelINS0_14default_configENS1_25partition_config_selectorILNS1_17partition_subalgoE6EfNS0_10empty_typeEbEEZZNS1_14partition_implILS5_6ELb0ES3_mN6thrust23THRUST_200600_302600_NS6detail15normal_iteratorINSA_10device_ptrIfEEEEPS6_SG_NS0_5tupleIJSF_S6_EEENSH_IJSG_SG_EEES6_PlJNSB_9not_fun_tINSB_14equal_to_valueIfEEEEEEE10hipError_tPvRmT3_T4_T5_T6_T7_T9_mT8_P12ihipStream_tbDpT10_ENKUlT_T0_E_clISt17integral_constantIbLb1EES17_IbLb0EEEEDaS13_S14_EUlS13_E_NS1_11comp_targetILNS1_3genE9ELNS1_11target_archE1100ELNS1_3gpuE3ELNS1_3repE0EEENS1_30default_config_static_selectorELNS0_4arch9wavefront6targetE0EEEvT1_.kd
    .uniform_work_group_size: 1
    .uses_dynamic_stack: false
    .vgpr_count:     0
    .vgpr_spill_count: 0
    .wavefront_size: 32
    .workgroup_processor_mode: 1
  - .args:
      - .offset:         0
        .size:           120
        .value_kind:     by_value
    .group_segment_fixed_size: 0
    .kernarg_segment_align: 8
    .kernarg_segment_size: 120
    .language:       OpenCL C
    .language_version:
      - 2
      - 0
    .max_flat_workgroup_size: 512
    .name:           _ZN7rocprim17ROCPRIM_400000_NS6detail17trampoline_kernelINS0_14default_configENS1_25partition_config_selectorILNS1_17partition_subalgoE6EfNS0_10empty_typeEbEEZZNS1_14partition_implILS5_6ELb0ES3_mN6thrust23THRUST_200600_302600_NS6detail15normal_iteratorINSA_10device_ptrIfEEEEPS6_SG_NS0_5tupleIJSF_S6_EEENSH_IJSG_SG_EEES6_PlJNSB_9not_fun_tINSB_14equal_to_valueIfEEEEEEE10hipError_tPvRmT3_T4_T5_T6_T7_T9_mT8_P12ihipStream_tbDpT10_ENKUlT_T0_E_clISt17integral_constantIbLb1EES17_IbLb0EEEEDaS13_S14_EUlS13_E_NS1_11comp_targetILNS1_3genE8ELNS1_11target_archE1030ELNS1_3gpuE2ELNS1_3repE0EEENS1_30default_config_static_selectorELNS0_4arch9wavefront6targetE0EEEvT1_
    .private_segment_fixed_size: 0
    .sgpr_count:     0
    .sgpr_spill_count: 0
    .symbol:         _ZN7rocprim17ROCPRIM_400000_NS6detail17trampoline_kernelINS0_14default_configENS1_25partition_config_selectorILNS1_17partition_subalgoE6EfNS0_10empty_typeEbEEZZNS1_14partition_implILS5_6ELb0ES3_mN6thrust23THRUST_200600_302600_NS6detail15normal_iteratorINSA_10device_ptrIfEEEEPS6_SG_NS0_5tupleIJSF_S6_EEENSH_IJSG_SG_EEES6_PlJNSB_9not_fun_tINSB_14equal_to_valueIfEEEEEEE10hipError_tPvRmT3_T4_T5_T6_T7_T9_mT8_P12ihipStream_tbDpT10_ENKUlT_T0_E_clISt17integral_constantIbLb1EES17_IbLb0EEEEDaS13_S14_EUlS13_E_NS1_11comp_targetILNS1_3genE8ELNS1_11target_archE1030ELNS1_3gpuE2ELNS1_3repE0EEENS1_30default_config_static_selectorELNS0_4arch9wavefront6targetE0EEEvT1_.kd
    .uniform_work_group_size: 1
    .uses_dynamic_stack: false
    .vgpr_count:     0
    .vgpr_spill_count: 0
    .wavefront_size: 32
    .workgroup_processor_mode: 1
  - .args:
      - .offset:         0
        .size:           128
        .value_kind:     by_value
    .group_segment_fixed_size: 0
    .kernarg_segment_align: 8
    .kernarg_segment_size: 128
    .language:       OpenCL C
    .language_version:
      - 2
      - 0
    .max_flat_workgroup_size: 256
    .name:           _ZN7rocprim17ROCPRIM_400000_NS6detail17trampoline_kernelINS0_14default_configENS1_25partition_config_selectorILNS1_17partition_subalgoE6EfNS0_10empty_typeEbEEZZNS1_14partition_implILS5_6ELb0ES3_mN6thrust23THRUST_200600_302600_NS6detail15normal_iteratorINSA_10device_ptrIfEEEEPS6_SG_NS0_5tupleIJSF_S6_EEENSH_IJSG_SG_EEES6_PlJNSB_9not_fun_tINSB_14equal_to_valueIfEEEEEEE10hipError_tPvRmT3_T4_T5_T6_T7_T9_mT8_P12ihipStream_tbDpT10_ENKUlT_T0_E_clISt17integral_constantIbLb0EES17_IbLb1EEEEDaS13_S14_EUlS13_E_NS1_11comp_targetILNS1_3genE0ELNS1_11target_archE4294967295ELNS1_3gpuE0ELNS1_3repE0EEENS1_30default_config_static_selectorELNS0_4arch9wavefront6targetE0EEEvT1_
    .private_segment_fixed_size: 0
    .sgpr_count:     0
    .sgpr_spill_count: 0
    .symbol:         _ZN7rocprim17ROCPRIM_400000_NS6detail17trampoline_kernelINS0_14default_configENS1_25partition_config_selectorILNS1_17partition_subalgoE6EfNS0_10empty_typeEbEEZZNS1_14partition_implILS5_6ELb0ES3_mN6thrust23THRUST_200600_302600_NS6detail15normal_iteratorINSA_10device_ptrIfEEEEPS6_SG_NS0_5tupleIJSF_S6_EEENSH_IJSG_SG_EEES6_PlJNSB_9not_fun_tINSB_14equal_to_valueIfEEEEEEE10hipError_tPvRmT3_T4_T5_T6_T7_T9_mT8_P12ihipStream_tbDpT10_ENKUlT_T0_E_clISt17integral_constantIbLb0EES17_IbLb1EEEEDaS13_S14_EUlS13_E_NS1_11comp_targetILNS1_3genE0ELNS1_11target_archE4294967295ELNS1_3gpuE0ELNS1_3repE0EEENS1_30default_config_static_selectorELNS0_4arch9wavefront6targetE0EEEvT1_.kd
    .uniform_work_group_size: 1
    .uses_dynamic_stack: false
    .vgpr_count:     0
    .vgpr_spill_count: 0
    .wavefront_size: 32
    .workgroup_processor_mode: 1
  - .args:
      - .offset:         0
        .size:           128
        .value_kind:     by_value
    .group_segment_fixed_size: 0
    .kernarg_segment_align: 8
    .kernarg_segment_size: 128
    .language:       OpenCL C
    .language_version:
      - 2
      - 0
    .max_flat_workgroup_size: 512
    .name:           _ZN7rocprim17ROCPRIM_400000_NS6detail17trampoline_kernelINS0_14default_configENS1_25partition_config_selectorILNS1_17partition_subalgoE6EfNS0_10empty_typeEbEEZZNS1_14partition_implILS5_6ELb0ES3_mN6thrust23THRUST_200600_302600_NS6detail15normal_iteratorINSA_10device_ptrIfEEEEPS6_SG_NS0_5tupleIJSF_S6_EEENSH_IJSG_SG_EEES6_PlJNSB_9not_fun_tINSB_14equal_to_valueIfEEEEEEE10hipError_tPvRmT3_T4_T5_T6_T7_T9_mT8_P12ihipStream_tbDpT10_ENKUlT_T0_E_clISt17integral_constantIbLb0EES17_IbLb1EEEEDaS13_S14_EUlS13_E_NS1_11comp_targetILNS1_3genE5ELNS1_11target_archE942ELNS1_3gpuE9ELNS1_3repE0EEENS1_30default_config_static_selectorELNS0_4arch9wavefront6targetE0EEEvT1_
    .private_segment_fixed_size: 0
    .sgpr_count:     0
    .sgpr_spill_count: 0
    .symbol:         _ZN7rocprim17ROCPRIM_400000_NS6detail17trampoline_kernelINS0_14default_configENS1_25partition_config_selectorILNS1_17partition_subalgoE6EfNS0_10empty_typeEbEEZZNS1_14partition_implILS5_6ELb0ES3_mN6thrust23THRUST_200600_302600_NS6detail15normal_iteratorINSA_10device_ptrIfEEEEPS6_SG_NS0_5tupleIJSF_S6_EEENSH_IJSG_SG_EEES6_PlJNSB_9not_fun_tINSB_14equal_to_valueIfEEEEEEE10hipError_tPvRmT3_T4_T5_T6_T7_T9_mT8_P12ihipStream_tbDpT10_ENKUlT_T0_E_clISt17integral_constantIbLb0EES17_IbLb1EEEEDaS13_S14_EUlS13_E_NS1_11comp_targetILNS1_3genE5ELNS1_11target_archE942ELNS1_3gpuE9ELNS1_3repE0EEENS1_30default_config_static_selectorELNS0_4arch9wavefront6targetE0EEEvT1_.kd
    .uniform_work_group_size: 1
    .uses_dynamic_stack: false
    .vgpr_count:     0
    .vgpr_spill_count: 0
    .wavefront_size: 32
    .workgroup_processor_mode: 1
  - .args:
      - .offset:         0
        .size:           128
        .value_kind:     by_value
    .group_segment_fixed_size: 0
    .kernarg_segment_align: 8
    .kernarg_segment_size: 128
    .language:       OpenCL C
    .language_version:
      - 2
      - 0
    .max_flat_workgroup_size: 512
    .name:           _ZN7rocprim17ROCPRIM_400000_NS6detail17trampoline_kernelINS0_14default_configENS1_25partition_config_selectorILNS1_17partition_subalgoE6EfNS0_10empty_typeEbEEZZNS1_14partition_implILS5_6ELb0ES3_mN6thrust23THRUST_200600_302600_NS6detail15normal_iteratorINSA_10device_ptrIfEEEEPS6_SG_NS0_5tupleIJSF_S6_EEENSH_IJSG_SG_EEES6_PlJNSB_9not_fun_tINSB_14equal_to_valueIfEEEEEEE10hipError_tPvRmT3_T4_T5_T6_T7_T9_mT8_P12ihipStream_tbDpT10_ENKUlT_T0_E_clISt17integral_constantIbLb0EES17_IbLb1EEEEDaS13_S14_EUlS13_E_NS1_11comp_targetILNS1_3genE4ELNS1_11target_archE910ELNS1_3gpuE8ELNS1_3repE0EEENS1_30default_config_static_selectorELNS0_4arch9wavefront6targetE0EEEvT1_
    .private_segment_fixed_size: 0
    .sgpr_count:     0
    .sgpr_spill_count: 0
    .symbol:         _ZN7rocprim17ROCPRIM_400000_NS6detail17trampoline_kernelINS0_14default_configENS1_25partition_config_selectorILNS1_17partition_subalgoE6EfNS0_10empty_typeEbEEZZNS1_14partition_implILS5_6ELb0ES3_mN6thrust23THRUST_200600_302600_NS6detail15normal_iteratorINSA_10device_ptrIfEEEEPS6_SG_NS0_5tupleIJSF_S6_EEENSH_IJSG_SG_EEES6_PlJNSB_9not_fun_tINSB_14equal_to_valueIfEEEEEEE10hipError_tPvRmT3_T4_T5_T6_T7_T9_mT8_P12ihipStream_tbDpT10_ENKUlT_T0_E_clISt17integral_constantIbLb0EES17_IbLb1EEEEDaS13_S14_EUlS13_E_NS1_11comp_targetILNS1_3genE4ELNS1_11target_archE910ELNS1_3gpuE8ELNS1_3repE0EEENS1_30default_config_static_selectorELNS0_4arch9wavefront6targetE0EEEvT1_.kd
    .uniform_work_group_size: 1
    .uses_dynamic_stack: false
    .vgpr_count:     0
    .vgpr_spill_count: 0
    .wavefront_size: 32
    .workgroup_processor_mode: 1
  - .args:
      - .offset:         0
        .size:           128
        .value_kind:     by_value
    .group_segment_fixed_size: 0
    .kernarg_segment_align: 8
    .kernarg_segment_size: 128
    .language:       OpenCL C
    .language_version:
      - 2
      - 0
    .max_flat_workgroup_size: 256
    .name:           _ZN7rocprim17ROCPRIM_400000_NS6detail17trampoline_kernelINS0_14default_configENS1_25partition_config_selectorILNS1_17partition_subalgoE6EfNS0_10empty_typeEbEEZZNS1_14partition_implILS5_6ELb0ES3_mN6thrust23THRUST_200600_302600_NS6detail15normal_iteratorINSA_10device_ptrIfEEEEPS6_SG_NS0_5tupleIJSF_S6_EEENSH_IJSG_SG_EEES6_PlJNSB_9not_fun_tINSB_14equal_to_valueIfEEEEEEE10hipError_tPvRmT3_T4_T5_T6_T7_T9_mT8_P12ihipStream_tbDpT10_ENKUlT_T0_E_clISt17integral_constantIbLb0EES17_IbLb1EEEEDaS13_S14_EUlS13_E_NS1_11comp_targetILNS1_3genE3ELNS1_11target_archE908ELNS1_3gpuE7ELNS1_3repE0EEENS1_30default_config_static_selectorELNS0_4arch9wavefront6targetE0EEEvT1_
    .private_segment_fixed_size: 0
    .sgpr_count:     0
    .sgpr_spill_count: 0
    .symbol:         _ZN7rocprim17ROCPRIM_400000_NS6detail17trampoline_kernelINS0_14default_configENS1_25partition_config_selectorILNS1_17partition_subalgoE6EfNS0_10empty_typeEbEEZZNS1_14partition_implILS5_6ELb0ES3_mN6thrust23THRUST_200600_302600_NS6detail15normal_iteratorINSA_10device_ptrIfEEEEPS6_SG_NS0_5tupleIJSF_S6_EEENSH_IJSG_SG_EEES6_PlJNSB_9not_fun_tINSB_14equal_to_valueIfEEEEEEE10hipError_tPvRmT3_T4_T5_T6_T7_T9_mT8_P12ihipStream_tbDpT10_ENKUlT_T0_E_clISt17integral_constantIbLb0EES17_IbLb1EEEEDaS13_S14_EUlS13_E_NS1_11comp_targetILNS1_3genE3ELNS1_11target_archE908ELNS1_3gpuE7ELNS1_3repE0EEENS1_30default_config_static_selectorELNS0_4arch9wavefront6targetE0EEEvT1_.kd
    .uniform_work_group_size: 1
    .uses_dynamic_stack: false
    .vgpr_count:     0
    .vgpr_spill_count: 0
    .wavefront_size: 32
    .workgroup_processor_mode: 1
  - .args:
      - .offset:         0
        .size:           128
        .value_kind:     by_value
    .group_segment_fixed_size: 0
    .kernarg_segment_align: 8
    .kernarg_segment_size: 128
    .language:       OpenCL C
    .language_version:
      - 2
      - 0
    .max_flat_workgroup_size: 256
    .name:           _ZN7rocprim17ROCPRIM_400000_NS6detail17trampoline_kernelINS0_14default_configENS1_25partition_config_selectorILNS1_17partition_subalgoE6EfNS0_10empty_typeEbEEZZNS1_14partition_implILS5_6ELb0ES3_mN6thrust23THRUST_200600_302600_NS6detail15normal_iteratorINSA_10device_ptrIfEEEEPS6_SG_NS0_5tupleIJSF_S6_EEENSH_IJSG_SG_EEES6_PlJNSB_9not_fun_tINSB_14equal_to_valueIfEEEEEEE10hipError_tPvRmT3_T4_T5_T6_T7_T9_mT8_P12ihipStream_tbDpT10_ENKUlT_T0_E_clISt17integral_constantIbLb0EES17_IbLb1EEEEDaS13_S14_EUlS13_E_NS1_11comp_targetILNS1_3genE2ELNS1_11target_archE906ELNS1_3gpuE6ELNS1_3repE0EEENS1_30default_config_static_selectorELNS0_4arch9wavefront6targetE0EEEvT1_
    .private_segment_fixed_size: 0
    .sgpr_count:     0
    .sgpr_spill_count: 0
    .symbol:         _ZN7rocprim17ROCPRIM_400000_NS6detail17trampoline_kernelINS0_14default_configENS1_25partition_config_selectorILNS1_17partition_subalgoE6EfNS0_10empty_typeEbEEZZNS1_14partition_implILS5_6ELb0ES3_mN6thrust23THRUST_200600_302600_NS6detail15normal_iteratorINSA_10device_ptrIfEEEEPS6_SG_NS0_5tupleIJSF_S6_EEENSH_IJSG_SG_EEES6_PlJNSB_9not_fun_tINSB_14equal_to_valueIfEEEEEEE10hipError_tPvRmT3_T4_T5_T6_T7_T9_mT8_P12ihipStream_tbDpT10_ENKUlT_T0_E_clISt17integral_constantIbLb0EES17_IbLb1EEEEDaS13_S14_EUlS13_E_NS1_11comp_targetILNS1_3genE2ELNS1_11target_archE906ELNS1_3gpuE6ELNS1_3repE0EEENS1_30default_config_static_selectorELNS0_4arch9wavefront6targetE0EEEvT1_.kd
    .uniform_work_group_size: 1
    .uses_dynamic_stack: false
    .vgpr_count:     0
    .vgpr_spill_count: 0
    .wavefront_size: 32
    .workgroup_processor_mode: 1
  - .args:
      - .offset:         0
        .size:           128
        .value_kind:     by_value
    .group_segment_fixed_size: 10768
    .kernarg_segment_align: 8
    .kernarg_segment_size: 128
    .language:       OpenCL C
    .language_version:
      - 2
      - 0
    .max_flat_workgroup_size: 384
    .name:           _ZN7rocprim17ROCPRIM_400000_NS6detail17trampoline_kernelINS0_14default_configENS1_25partition_config_selectorILNS1_17partition_subalgoE6EfNS0_10empty_typeEbEEZZNS1_14partition_implILS5_6ELb0ES3_mN6thrust23THRUST_200600_302600_NS6detail15normal_iteratorINSA_10device_ptrIfEEEEPS6_SG_NS0_5tupleIJSF_S6_EEENSH_IJSG_SG_EEES6_PlJNSB_9not_fun_tINSB_14equal_to_valueIfEEEEEEE10hipError_tPvRmT3_T4_T5_T6_T7_T9_mT8_P12ihipStream_tbDpT10_ENKUlT_T0_E_clISt17integral_constantIbLb0EES17_IbLb1EEEEDaS13_S14_EUlS13_E_NS1_11comp_targetILNS1_3genE10ELNS1_11target_archE1200ELNS1_3gpuE4ELNS1_3repE0EEENS1_30default_config_static_selectorELNS0_4arch9wavefront6targetE0EEEvT1_
    .private_segment_fixed_size: 0
    .sgpr_count:     23
    .sgpr_spill_count: 0
    .symbol:         _ZN7rocprim17ROCPRIM_400000_NS6detail17trampoline_kernelINS0_14default_configENS1_25partition_config_selectorILNS1_17partition_subalgoE6EfNS0_10empty_typeEbEEZZNS1_14partition_implILS5_6ELb0ES3_mN6thrust23THRUST_200600_302600_NS6detail15normal_iteratorINSA_10device_ptrIfEEEEPS6_SG_NS0_5tupleIJSF_S6_EEENSH_IJSG_SG_EEES6_PlJNSB_9not_fun_tINSB_14equal_to_valueIfEEEEEEE10hipError_tPvRmT3_T4_T5_T6_T7_T9_mT8_P12ihipStream_tbDpT10_ENKUlT_T0_E_clISt17integral_constantIbLb0EES17_IbLb1EEEEDaS13_S14_EUlS13_E_NS1_11comp_targetILNS1_3genE10ELNS1_11target_archE1200ELNS1_3gpuE4ELNS1_3repE0EEENS1_30default_config_static_selectorELNS0_4arch9wavefront6targetE0EEEvT1_.kd
    .uniform_work_group_size: 1
    .uses_dynamic_stack: false
    .vgpr_count:     51
    .vgpr_spill_count: 0
    .wavefront_size: 32
    .workgroup_processor_mode: 1
  - .args:
      - .offset:         0
        .size:           128
        .value_kind:     by_value
    .group_segment_fixed_size: 0
    .kernarg_segment_align: 8
    .kernarg_segment_size: 128
    .language:       OpenCL C
    .language_version:
      - 2
      - 0
    .max_flat_workgroup_size: 128
    .name:           _ZN7rocprim17ROCPRIM_400000_NS6detail17trampoline_kernelINS0_14default_configENS1_25partition_config_selectorILNS1_17partition_subalgoE6EfNS0_10empty_typeEbEEZZNS1_14partition_implILS5_6ELb0ES3_mN6thrust23THRUST_200600_302600_NS6detail15normal_iteratorINSA_10device_ptrIfEEEEPS6_SG_NS0_5tupleIJSF_S6_EEENSH_IJSG_SG_EEES6_PlJNSB_9not_fun_tINSB_14equal_to_valueIfEEEEEEE10hipError_tPvRmT3_T4_T5_T6_T7_T9_mT8_P12ihipStream_tbDpT10_ENKUlT_T0_E_clISt17integral_constantIbLb0EES17_IbLb1EEEEDaS13_S14_EUlS13_E_NS1_11comp_targetILNS1_3genE9ELNS1_11target_archE1100ELNS1_3gpuE3ELNS1_3repE0EEENS1_30default_config_static_selectorELNS0_4arch9wavefront6targetE0EEEvT1_
    .private_segment_fixed_size: 0
    .sgpr_count:     0
    .sgpr_spill_count: 0
    .symbol:         _ZN7rocprim17ROCPRIM_400000_NS6detail17trampoline_kernelINS0_14default_configENS1_25partition_config_selectorILNS1_17partition_subalgoE6EfNS0_10empty_typeEbEEZZNS1_14partition_implILS5_6ELb0ES3_mN6thrust23THRUST_200600_302600_NS6detail15normal_iteratorINSA_10device_ptrIfEEEEPS6_SG_NS0_5tupleIJSF_S6_EEENSH_IJSG_SG_EEES6_PlJNSB_9not_fun_tINSB_14equal_to_valueIfEEEEEEE10hipError_tPvRmT3_T4_T5_T6_T7_T9_mT8_P12ihipStream_tbDpT10_ENKUlT_T0_E_clISt17integral_constantIbLb0EES17_IbLb1EEEEDaS13_S14_EUlS13_E_NS1_11comp_targetILNS1_3genE9ELNS1_11target_archE1100ELNS1_3gpuE3ELNS1_3repE0EEENS1_30default_config_static_selectorELNS0_4arch9wavefront6targetE0EEEvT1_.kd
    .uniform_work_group_size: 1
    .uses_dynamic_stack: false
    .vgpr_count:     0
    .vgpr_spill_count: 0
    .wavefront_size: 32
    .workgroup_processor_mode: 1
  - .args:
      - .offset:         0
        .size:           128
        .value_kind:     by_value
    .group_segment_fixed_size: 0
    .kernarg_segment_align: 8
    .kernarg_segment_size: 128
    .language:       OpenCL C
    .language_version:
      - 2
      - 0
    .max_flat_workgroup_size: 512
    .name:           _ZN7rocprim17ROCPRIM_400000_NS6detail17trampoline_kernelINS0_14default_configENS1_25partition_config_selectorILNS1_17partition_subalgoE6EfNS0_10empty_typeEbEEZZNS1_14partition_implILS5_6ELb0ES3_mN6thrust23THRUST_200600_302600_NS6detail15normal_iteratorINSA_10device_ptrIfEEEEPS6_SG_NS0_5tupleIJSF_S6_EEENSH_IJSG_SG_EEES6_PlJNSB_9not_fun_tINSB_14equal_to_valueIfEEEEEEE10hipError_tPvRmT3_T4_T5_T6_T7_T9_mT8_P12ihipStream_tbDpT10_ENKUlT_T0_E_clISt17integral_constantIbLb0EES17_IbLb1EEEEDaS13_S14_EUlS13_E_NS1_11comp_targetILNS1_3genE8ELNS1_11target_archE1030ELNS1_3gpuE2ELNS1_3repE0EEENS1_30default_config_static_selectorELNS0_4arch9wavefront6targetE0EEEvT1_
    .private_segment_fixed_size: 0
    .sgpr_count:     0
    .sgpr_spill_count: 0
    .symbol:         _ZN7rocprim17ROCPRIM_400000_NS6detail17trampoline_kernelINS0_14default_configENS1_25partition_config_selectorILNS1_17partition_subalgoE6EfNS0_10empty_typeEbEEZZNS1_14partition_implILS5_6ELb0ES3_mN6thrust23THRUST_200600_302600_NS6detail15normal_iteratorINSA_10device_ptrIfEEEEPS6_SG_NS0_5tupleIJSF_S6_EEENSH_IJSG_SG_EEES6_PlJNSB_9not_fun_tINSB_14equal_to_valueIfEEEEEEE10hipError_tPvRmT3_T4_T5_T6_T7_T9_mT8_P12ihipStream_tbDpT10_ENKUlT_T0_E_clISt17integral_constantIbLb0EES17_IbLb1EEEEDaS13_S14_EUlS13_E_NS1_11comp_targetILNS1_3genE8ELNS1_11target_archE1030ELNS1_3gpuE2ELNS1_3repE0EEENS1_30default_config_static_selectorELNS0_4arch9wavefront6targetE0EEEvT1_.kd
    .uniform_work_group_size: 1
    .uses_dynamic_stack: false
    .vgpr_count:     0
    .vgpr_spill_count: 0
    .wavefront_size: 32
    .workgroup_processor_mode: 1
  - .args:
      - .offset:         0
        .size:           120
        .value_kind:     by_value
    .group_segment_fixed_size: 0
    .kernarg_segment_align: 8
    .kernarg_segment_size: 120
    .language:       OpenCL C
    .language_version:
      - 2
      - 0
    .max_flat_workgroup_size: 128
    .name:           _ZN7rocprim17ROCPRIM_400000_NS6detail17trampoline_kernelINS0_14default_configENS1_25partition_config_selectorILNS1_17partition_subalgoE6EyNS0_10empty_typeEbEEZZNS1_14partition_implILS5_6ELb0ES3_mN6thrust23THRUST_200600_302600_NS6detail15normal_iteratorINSA_10device_ptrIyEEEEPS6_SG_NS0_5tupleIJSF_S6_EEENSH_IJSG_SG_EEES6_PlJNSB_9not_fun_tINSB_14equal_to_valueIyEEEEEEE10hipError_tPvRmT3_T4_T5_T6_T7_T9_mT8_P12ihipStream_tbDpT10_ENKUlT_T0_E_clISt17integral_constantIbLb0EES18_EEDaS13_S14_EUlS13_E_NS1_11comp_targetILNS1_3genE0ELNS1_11target_archE4294967295ELNS1_3gpuE0ELNS1_3repE0EEENS1_30default_config_static_selectorELNS0_4arch9wavefront6targetE0EEEvT1_
    .private_segment_fixed_size: 0
    .sgpr_count:     0
    .sgpr_spill_count: 0
    .symbol:         _ZN7rocprim17ROCPRIM_400000_NS6detail17trampoline_kernelINS0_14default_configENS1_25partition_config_selectorILNS1_17partition_subalgoE6EyNS0_10empty_typeEbEEZZNS1_14partition_implILS5_6ELb0ES3_mN6thrust23THRUST_200600_302600_NS6detail15normal_iteratorINSA_10device_ptrIyEEEEPS6_SG_NS0_5tupleIJSF_S6_EEENSH_IJSG_SG_EEES6_PlJNSB_9not_fun_tINSB_14equal_to_valueIyEEEEEEE10hipError_tPvRmT3_T4_T5_T6_T7_T9_mT8_P12ihipStream_tbDpT10_ENKUlT_T0_E_clISt17integral_constantIbLb0EES18_EEDaS13_S14_EUlS13_E_NS1_11comp_targetILNS1_3genE0ELNS1_11target_archE4294967295ELNS1_3gpuE0ELNS1_3repE0EEENS1_30default_config_static_selectorELNS0_4arch9wavefront6targetE0EEEvT1_.kd
    .uniform_work_group_size: 1
    .uses_dynamic_stack: false
    .vgpr_count:     0
    .vgpr_spill_count: 0
    .wavefront_size: 32
    .workgroup_processor_mode: 1
  - .args:
      - .offset:         0
        .size:           120
        .value_kind:     by_value
    .group_segment_fixed_size: 0
    .kernarg_segment_align: 8
    .kernarg_segment_size: 120
    .language:       OpenCL C
    .language_version:
      - 2
      - 0
    .max_flat_workgroup_size: 512
    .name:           _ZN7rocprim17ROCPRIM_400000_NS6detail17trampoline_kernelINS0_14default_configENS1_25partition_config_selectorILNS1_17partition_subalgoE6EyNS0_10empty_typeEbEEZZNS1_14partition_implILS5_6ELb0ES3_mN6thrust23THRUST_200600_302600_NS6detail15normal_iteratorINSA_10device_ptrIyEEEEPS6_SG_NS0_5tupleIJSF_S6_EEENSH_IJSG_SG_EEES6_PlJNSB_9not_fun_tINSB_14equal_to_valueIyEEEEEEE10hipError_tPvRmT3_T4_T5_T6_T7_T9_mT8_P12ihipStream_tbDpT10_ENKUlT_T0_E_clISt17integral_constantIbLb0EES18_EEDaS13_S14_EUlS13_E_NS1_11comp_targetILNS1_3genE5ELNS1_11target_archE942ELNS1_3gpuE9ELNS1_3repE0EEENS1_30default_config_static_selectorELNS0_4arch9wavefront6targetE0EEEvT1_
    .private_segment_fixed_size: 0
    .sgpr_count:     0
    .sgpr_spill_count: 0
    .symbol:         _ZN7rocprim17ROCPRIM_400000_NS6detail17trampoline_kernelINS0_14default_configENS1_25partition_config_selectorILNS1_17partition_subalgoE6EyNS0_10empty_typeEbEEZZNS1_14partition_implILS5_6ELb0ES3_mN6thrust23THRUST_200600_302600_NS6detail15normal_iteratorINSA_10device_ptrIyEEEEPS6_SG_NS0_5tupleIJSF_S6_EEENSH_IJSG_SG_EEES6_PlJNSB_9not_fun_tINSB_14equal_to_valueIyEEEEEEE10hipError_tPvRmT3_T4_T5_T6_T7_T9_mT8_P12ihipStream_tbDpT10_ENKUlT_T0_E_clISt17integral_constantIbLb0EES18_EEDaS13_S14_EUlS13_E_NS1_11comp_targetILNS1_3genE5ELNS1_11target_archE942ELNS1_3gpuE9ELNS1_3repE0EEENS1_30default_config_static_selectorELNS0_4arch9wavefront6targetE0EEEvT1_.kd
    .uniform_work_group_size: 1
    .uses_dynamic_stack: false
    .vgpr_count:     0
    .vgpr_spill_count: 0
    .wavefront_size: 32
    .workgroup_processor_mode: 1
  - .args:
      - .offset:         0
        .size:           120
        .value_kind:     by_value
    .group_segment_fixed_size: 0
    .kernarg_segment_align: 8
    .kernarg_segment_size: 120
    .language:       OpenCL C
    .language_version:
      - 2
      - 0
    .max_flat_workgroup_size: 512
    .name:           _ZN7rocprim17ROCPRIM_400000_NS6detail17trampoline_kernelINS0_14default_configENS1_25partition_config_selectorILNS1_17partition_subalgoE6EyNS0_10empty_typeEbEEZZNS1_14partition_implILS5_6ELb0ES3_mN6thrust23THRUST_200600_302600_NS6detail15normal_iteratorINSA_10device_ptrIyEEEEPS6_SG_NS0_5tupleIJSF_S6_EEENSH_IJSG_SG_EEES6_PlJNSB_9not_fun_tINSB_14equal_to_valueIyEEEEEEE10hipError_tPvRmT3_T4_T5_T6_T7_T9_mT8_P12ihipStream_tbDpT10_ENKUlT_T0_E_clISt17integral_constantIbLb0EES18_EEDaS13_S14_EUlS13_E_NS1_11comp_targetILNS1_3genE4ELNS1_11target_archE910ELNS1_3gpuE8ELNS1_3repE0EEENS1_30default_config_static_selectorELNS0_4arch9wavefront6targetE0EEEvT1_
    .private_segment_fixed_size: 0
    .sgpr_count:     0
    .sgpr_spill_count: 0
    .symbol:         _ZN7rocprim17ROCPRIM_400000_NS6detail17trampoline_kernelINS0_14default_configENS1_25partition_config_selectorILNS1_17partition_subalgoE6EyNS0_10empty_typeEbEEZZNS1_14partition_implILS5_6ELb0ES3_mN6thrust23THRUST_200600_302600_NS6detail15normal_iteratorINSA_10device_ptrIyEEEEPS6_SG_NS0_5tupleIJSF_S6_EEENSH_IJSG_SG_EEES6_PlJNSB_9not_fun_tINSB_14equal_to_valueIyEEEEEEE10hipError_tPvRmT3_T4_T5_T6_T7_T9_mT8_P12ihipStream_tbDpT10_ENKUlT_T0_E_clISt17integral_constantIbLb0EES18_EEDaS13_S14_EUlS13_E_NS1_11comp_targetILNS1_3genE4ELNS1_11target_archE910ELNS1_3gpuE8ELNS1_3repE0EEENS1_30default_config_static_selectorELNS0_4arch9wavefront6targetE0EEEvT1_.kd
    .uniform_work_group_size: 1
    .uses_dynamic_stack: false
    .vgpr_count:     0
    .vgpr_spill_count: 0
    .wavefront_size: 32
    .workgroup_processor_mode: 1
  - .args:
      - .offset:         0
        .size:           120
        .value_kind:     by_value
    .group_segment_fixed_size: 0
    .kernarg_segment_align: 8
    .kernarg_segment_size: 120
    .language:       OpenCL C
    .language_version:
      - 2
      - 0
    .max_flat_workgroup_size: 128
    .name:           _ZN7rocprim17ROCPRIM_400000_NS6detail17trampoline_kernelINS0_14default_configENS1_25partition_config_selectorILNS1_17partition_subalgoE6EyNS0_10empty_typeEbEEZZNS1_14partition_implILS5_6ELb0ES3_mN6thrust23THRUST_200600_302600_NS6detail15normal_iteratorINSA_10device_ptrIyEEEEPS6_SG_NS0_5tupleIJSF_S6_EEENSH_IJSG_SG_EEES6_PlJNSB_9not_fun_tINSB_14equal_to_valueIyEEEEEEE10hipError_tPvRmT3_T4_T5_T6_T7_T9_mT8_P12ihipStream_tbDpT10_ENKUlT_T0_E_clISt17integral_constantIbLb0EES18_EEDaS13_S14_EUlS13_E_NS1_11comp_targetILNS1_3genE3ELNS1_11target_archE908ELNS1_3gpuE7ELNS1_3repE0EEENS1_30default_config_static_selectorELNS0_4arch9wavefront6targetE0EEEvT1_
    .private_segment_fixed_size: 0
    .sgpr_count:     0
    .sgpr_spill_count: 0
    .symbol:         _ZN7rocprim17ROCPRIM_400000_NS6detail17trampoline_kernelINS0_14default_configENS1_25partition_config_selectorILNS1_17partition_subalgoE6EyNS0_10empty_typeEbEEZZNS1_14partition_implILS5_6ELb0ES3_mN6thrust23THRUST_200600_302600_NS6detail15normal_iteratorINSA_10device_ptrIyEEEEPS6_SG_NS0_5tupleIJSF_S6_EEENSH_IJSG_SG_EEES6_PlJNSB_9not_fun_tINSB_14equal_to_valueIyEEEEEEE10hipError_tPvRmT3_T4_T5_T6_T7_T9_mT8_P12ihipStream_tbDpT10_ENKUlT_T0_E_clISt17integral_constantIbLb0EES18_EEDaS13_S14_EUlS13_E_NS1_11comp_targetILNS1_3genE3ELNS1_11target_archE908ELNS1_3gpuE7ELNS1_3repE0EEENS1_30default_config_static_selectorELNS0_4arch9wavefront6targetE0EEEvT1_.kd
    .uniform_work_group_size: 1
    .uses_dynamic_stack: false
    .vgpr_count:     0
    .vgpr_spill_count: 0
    .wavefront_size: 32
    .workgroup_processor_mode: 1
  - .args:
      - .offset:         0
        .size:           120
        .value_kind:     by_value
    .group_segment_fixed_size: 0
    .kernarg_segment_align: 8
    .kernarg_segment_size: 120
    .language:       OpenCL C
    .language_version:
      - 2
      - 0
    .max_flat_workgroup_size: 256
    .name:           _ZN7rocprim17ROCPRIM_400000_NS6detail17trampoline_kernelINS0_14default_configENS1_25partition_config_selectorILNS1_17partition_subalgoE6EyNS0_10empty_typeEbEEZZNS1_14partition_implILS5_6ELb0ES3_mN6thrust23THRUST_200600_302600_NS6detail15normal_iteratorINSA_10device_ptrIyEEEEPS6_SG_NS0_5tupleIJSF_S6_EEENSH_IJSG_SG_EEES6_PlJNSB_9not_fun_tINSB_14equal_to_valueIyEEEEEEE10hipError_tPvRmT3_T4_T5_T6_T7_T9_mT8_P12ihipStream_tbDpT10_ENKUlT_T0_E_clISt17integral_constantIbLb0EES18_EEDaS13_S14_EUlS13_E_NS1_11comp_targetILNS1_3genE2ELNS1_11target_archE906ELNS1_3gpuE6ELNS1_3repE0EEENS1_30default_config_static_selectorELNS0_4arch9wavefront6targetE0EEEvT1_
    .private_segment_fixed_size: 0
    .sgpr_count:     0
    .sgpr_spill_count: 0
    .symbol:         _ZN7rocprim17ROCPRIM_400000_NS6detail17trampoline_kernelINS0_14default_configENS1_25partition_config_selectorILNS1_17partition_subalgoE6EyNS0_10empty_typeEbEEZZNS1_14partition_implILS5_6ELb0ES3_mN6thrust23THRUST_200600_302600_NS6detail15normal_iteratorINSA_10device_ptrIyEEEEPS6_SG_NS0_5tupleIJSF_S6_EEENSH_IJSG_SG_EEES6_PlJNSB_9not_fun_tINSB_14equal_to_valueIyEEEEEEE10hipError_tPvRmT3_T4_T5_T6_T7_T9_mT8_P12ihipStream_tbDpT10_ENKUlT_T0_E_clISt17integral_constantIbLb0EES18_EEDaS13_S14_EUlS13_E_NS1_11comp_targetILNS1_3genE2ELNS1_11target_archE906ELNS1_3gpuE6ELNS1_3repE0EEENS1_30default_config_static_selectorELNS0_4arch9wavefront6targetE0EEEvT1_.kd
    .uniform_work_group_size: 1
    .uses_dynamic_stack: false
    .vgpr_count:     0
    .vgpr_spill_count: 0
    .wavefront_size: 32
    .workgroup_processor_mode: 1
  - .args:
      - .offset:         0
        .size:           120
        .value_kind:     by_value
    .group_segment_fixed_size: 8464
    .kernarg_segment_align: 8
    .kernarg_segment_size: 120
    .language:       OpenCL C
    .language_version:
      - 2
      - 0
    .max_flat_workgroup_size: 256
    .name:           _ZN7rocprim17ROCPRIM_400000_NS6detail17trampoline_kernelINS0_14default_configENS1_25partition_config_selectorILNS1_17partition_subalgoE6EyNS0_10empty_typeEbEEZZNS1_14partition_implILS5_6ELb0ES3_mN6thrust23THRUST_200600_302600_NS6detail15normal_iteratorINSA_10device_ptrIyEEEEPS6_SG_NS0_5tupleIJSF_S6_EEENSH_IJSG_SG_EEES6_PlJNSB_9not_fun_tINSB_14equal_to_valueIyEEEEEEE10hipError_tPvRmT3_T4_T5_T6_T7_T9_mT8_P12ihipStream_tbDpT10_ENKUlT_T0_E_clISt17integral_constantIbLb0EES18_EEDaS13_S14_EUlS13_E_NS1_11comp_targetILNS1_3genE10ELNS1_11target_archE1200ELNS1_3gpuE4ELNS1_3repE0EEENS1_30default_config_static_selectorELNS0_4arch9wavefront6targetE0EEEvT1_
    .private_segment_fixed_size: 0
    .sgpr_count:     24
    .sgpr_spill_count: 0
    .symbol:         _ZN7rocprim17ROCPRIM_400000_NS6detail17trampoline_kernelINS0_14default_configENS1_25partition_config_selectorILNS1_17partition_subalgoE6EyNS0_10empty_typeEbEEZZNS1_14partition_implILS5_6ELb0ES3_mN6thrust23THRUST_200600_302600_NS6detail15normal_iteratorINSA_10device_ptrIyEEEEPS6_SG_NS0_5tupleIJSF_S6_EEENSH_IJSG_SG_EEES6_PlJNSB_9not_fun_tINSB_14equal_to_valueIyEEEEEEE10hipError_tPvRmT3_T4_T5_T6_T7_T9_mT8_P12ihipStream_tbDpT10_ENKUlT_T0_E_clISt17integral_constantIbLb0EES18_EEDaS13_S14_EUlS13_E_NS1_11comp_targetILNS1_3genE10ELNS1_11target_archE1200ELNS1_3gpuE4ELNS1_3repE0EEENS1_30default_config_static_selectorELNS0_4arch9wavefront6targetE0EEEvT1_.kd
    .uniform_work_group_size: 1
    .uses_dynamic_stack: false
    .vgpr_count:     46
    .vgpr_spill_count: 0
    .wavefront_size: 32
    .workgroup_processor_mode: 1
  - .args:
      - .offset:         0
        .size:           120
        .value_kind:     by_value
    .group_segment_fixed_size: 0
    .kernarg_segment_align: 8
    .kernarg_segment_size: 120
    .language:       OpenCL C
    .language_version:
      - 2
      - 0
    .max_flat_workgroup_size: 384
    .name:           _ZN7rocprim17ROCPRIM_400000_NS6detail17trampoline_kernelINS0_14default_configENS1_25partition_config_selectorILNS1_17partition_subalgoE6EyNS0_10empty_typeEbEEZZNS1_14partition_implILS5_6ELb0ES3_mN6thrust23THRUST_200600_302600_NS6detail15normal_iteratorINSA_10device_ptrIyEEEEPS6_SG_NS0_5tupleIJSF_S6_EEENSH_IJSG_SG_EEES6_PlJNSB_9not_fun_tINSB_14equal_to_valueIyEEEEEEE10hipError_tPvRmT3_T4_T5_T6_T7_T9_mT8_P12ihipStream_tbDpT10_ENKUlT_T0_E_clISt17integral_constantIbLb0EES18_EEDaS13_S14_EUlS13_E_NS1_11comp_targetILNS1_3genE9ELNS1_11target_archE1100ELNS1_3gpuE3ELNS1_3repE0EEENS1_30default_config_static_selectorELNS0_4arch9wavefront6targetE0EEEvT1_
    .private_segment_fixed_size: 0
    .sgpr_count:     0
    .sgpr_spill_count: 0
    .symbol:         _ZN7rocprim17ROCPRIM_400000_NS6detail17trampoline_kernelINS0_14default_configENS1_25partition_config_selectorILNS1_17partition_subalgoE6EyNS0_10empty_typeEbEEZZNS1_14partition_implILS5_6ELb0ES3_mN6thrust23THRUST_200600_302600_NS6detail15normal_iteratorINSA_10device_ptrIyEEEEPS6_SG_NS0_5tupleIJSF_S6_EEENSH_IJSG_SG_EEES6_PlJNSB_9not_fun_tINSB_14equal_to_valueIyEEEEEEE10hipError_tPvRmT3_T4_T5_T6_T7_T9_mT8_P12ihipStream_tbDpT10_ENKUlT_T0_E_clISt17integral_constantIbLb0EES18_EEDaS13_S14_EUlS13_E_NS1_11comp_targetILNS1_3genE9ELNS1_11target_archE1100ELNS1_3gpuE3ELNS1_3repE0EEENS1_30default_config_static_selectorELNS0_4arch9wavefront6targetE0EEEvT1_.kd
    .uniform_work_group_size: 1
    .uses_dynamic_stack: false
    .vgpr_count:     0
    .vgpr_spill_count: 0
    .wavefront_size: 32
    .workgroup_processor_mode: 1
  - .args:
      - .offset:         0
        .size:           120
        .value_kind:     by_value
    .group_segment_fixed_size: 0
    .kernarg_segment_align: 8
    .kernarg_segment_size: 120
    .language:       OpenCL C
    .language_version:
      - 2
      - 0
    .max_flat_workgroup_size: 512
    .name:           _ZN7rocprim17ROCPRIM_400000_NS6detail17trampoline_kernelINS0_14default_configENS1_25partition_config_selectorILNS1_17partition_subalgoE6EyNS0_10empty_typeEbEEZZNS1_14partition_implILS5_6ELb0ES3_mN6thrust23THRUST_200600_302600_NS6detail15normal_iteratorINSA_10device_ptrIyEEEEPS6_SG_NS0_5tupleIJSF_S6_EEENSH_IJSG_SG_EEES6_PlJNSB_9not_fun_tINSB_14equal_to_valueIyEEEEEEE10hipError_tPvRmT3_T4_T5_T6_T7_T9_mT8_P12ihipStream_tbDpT10_ENKUlT_T0_E_clISt17integral_constantIbLb0EES18_EEDaS13_S14_EUlS13_E_NS1_11comp_targetILNS1_3genE8ELNS1_11target_archE1030ELNS1_3gpuE2ELNS1_3repE0EEENS1_30default_config_static_selectorELNS0_4arch9wavefront6targetE0EEEvT1_
    .private_segment_fixed_size: 0
    .sgpr_count:     0
    .sgpr_spill_count: 0
    .symbol:         _ZN7rocprim17ROCPRIM_400000_NS6detail17trampoline_kernelINS0_14default_configENS1_25partition_config_selectorILNS1_17partition_subalgoE6EyNS0_10empty_typeEbEEZZNS1_14partition_implILS5_6ELb0ES3_mN6thrust23THRUST_200600_302600_NS6detail15normal_iteratorINSA_10device_ptrIyEEEEPS6_SG_NS0_5tupleIJSF_S6_EEENSH_IJSG_SG_EEES6_PlJNSB_9not_fun_tINSB_14equal_to_valueIyEEEEEEE10hipError_tPvRmT3_T4_T5_T6_T7_T9_mT8_P12ihipStream_tbDpT10_ENKUlT_T0_E_clISt17integral_constantIbLb0EES18_EEDaS13_S14_EUlS13_E_NS1_11comp_targetILNS1_3genE8ELNS1_11target_archE1030ELNS1_3gpuE2ELNS1_3repE0EEENS1_30default_config_static_selectorELNS0_4arch9wavefront6targetE0EEEvT1_.kd
    .uniform_work_group_size: 1
    .uses_dynamic_stack: false
    .vgpr_count:     0
    .vgpr_spill_count: 0
    .wavefront_size: 32
    .workgroup_processor_mode: 1
  - .args:
      - .offset:         0
        .size:           128
        .value_kind:     by_value
    .group_segment_fixed_size: 0
    .kernarg_segment_align: 8
    .kernarg_segment_size: 128
    .language:       OpenCL C
    .language_version:
      - 2
      - 0
    .max_flat_workgroup_size: 128
    .name:           _ZN7rocprim17ROCPRIM_400000_NS6detail17trampoline_kernelINS0_14default_configENS1_25partition_config_selectorILNS1_17partition_subalgoE6EyNS0_10empty_typeEbEEZZNS1_14partition_implILS5_6ELb0ES3_mN6thrust23THRUST_200600_302600_NS6detail15normal_iteratorINSA_10device_ptrIyEEEEPS6_SG_NS0_5tupleIJSF_S6_EEENSH_IJSG_SG_EEES6_PlJNSB_9not_fun_tINSB_14equal_to_valueIyEEEEEEE10hipError_tPvRmT3_T4_T5_T6_T7_T9_mT8_P12ihipStream_tbDpT10_ENKUlT_T0_E_clISt17integral_constantIbLb1EES18_EEDaS13_S14_EUlS13_E_NS1_11comp_targetILNS1_3genE0ELNS1_11target_archE4294967295ELNS1_3gpuE0ELNS1_3repE0EEENS1_30default_config_static_selectorELNS0_4arch9wavefront6targetE0EEEvT1_
    .private_segment_fixed_size: 0
    .sgpr_count:     0
    .sgpr_spill_count: 0
    .symbol:         _ZN7rocprim17ROCPRIM_400000_NS6detail17trampoline_kernelINS0_14default_configENS1_25partition_config_selectorILNS1_17partition_subalgoE6EyNS0_10empty_typeEbEEZZNS1_14partition_implILS5_6ELb0ES3_mN6thrust23THRUST_200600_302600_NS6detail15normal_iteratorINSA_10device_ptrIyEEEEPS6_SG_NS0_5tupleIJSF_S6_EEENSH_IJSG_SG_EEES6_PlJNSB_9not_fun_tINSB_14equal_to_valueIyEEEEEEE10hipError_tPvRmT3_T4_T5_T6_T7_T9_mT8_P12ihipStream_tbDpT10_ENKUlT_T0_E_clISt17integral_constantIbLb1EES18_EEDaS13_S14_EUlS13_E_NS1_11comp_targetILNS1_3genE0ELNS1_11target_archE4294967295ELNS1_3gpuE0ELNS1_3repE0EEENS1_30default_config_static_selectorELNS0_4arch9wavefront6targetE0EEEvT1_.kd
    .uniform_work_group_size: 1
    .uses_dynamic_stack: false
    .vgpr_count:     0
    .vgpr_spill_count: 0
    .wavefront_size: 32
    .workgroup_processor_mode: 1
  - .args:
      - .offset:         0
        .size:           128
        .value_kind:     by_value
    .group_segment_fixed_size: 0
    .kernarg_segment_align: 8
    .kernarg_segment_size: 128
    .language:       OpenCL C
    .language_version:
      - 2
      - 0
    .max_flat_workgroup_size: 512
    .name:           _ZN7rocprim17ROCPRIM_400000_NS6detail17trampoline_kernelINS0_14default_configENS1_25partition_config_selectorILNS1_17partition_subalgoE6EyNS0_10empty_typeEbEEZZNS1_14partition_implILS5_6ELb0ES3_mN6thrust23THRUST_200600_302600_NS6detail15normal_iteratorINSA_10device_ptrIyEEEEPS6_SG_NS0_5tupleIJSF_S6_EEENSH_IJSG_SG_EEES6_PlJNSB_9not_fun_tINSB_14equal_to_valueIyEEEEEEE10hipError_tPvRmT3_T4_T5_T6_T7_T9_mT8_P12ihipStream_tbDpT10_ENKUlT_T0_E_clISt17integral_constantIbLb1EES18_EEDaS13_S14_EUlS13_E_NS1_11comp_targetILNS1_3genE5ELNS1_11target_archE942ELNS1_3gpuE9ELNS1_3repE0EEENS1_30default_config_static_selectorELNS0_4arch9wavefront6targetE0EEEvT1_
    .private_segment_fixed_size: 0
    .sgpr_count:     0
    .sgpr_spill_count: 0
    .symbol:         _ZN7rocprim17ROCPRIM_400000_NS6detail17trampoline_kernelINS0_14default_configENS1_25partition_config_selectorILNS1_17partition_subalgoE6EyNS0_10empty_typeEbEEZZNS1_14partition_implILS5_6ELb0ES3_mN6thrust23THRUST_200600_302600_NS6detail15normal_iteratorINSA_10device_ptrIyEEEEPS6_SG_NS0_5tupleIJSF_S6_EEENSH_IJSG_SG_EEES6_PlJNSB_9not_fun_tINSB_14equal_to_valueIyEEEEEEE10hipError_tPvRmT3_T4_T5_T6_T7_T9_mT8_P12ihipStream_tbDpT10_ENKUlT_T0_E_clISt17integral_constantIbLb1EES18_EEDaS13_S14_EUlS13_E_NS1_11comp_targetILNS1_3genE5ELNS1_11target_archE942ELNS1_3gpuE9ELNS1_3repE0EEENS1_30default_config_static_selectorELNS0_4arch9wavefront6targetE0EEEvT1_.kd
    .uniform_work_group_size: 1
    .uses_dynamic_stack: false
    .vgpr_count:     0
    .vgpr_spill_count: 0
    .wavefront_size: 32
    .workgroup_processor_mode: 1
  - .args:
      - .offset:         0
        .size:           128
        .value_kind:     by_value
    .group_segment_fixed_size: 0
    .kernarg_segment_align: 8
    .kernarg_segment_size: 128
    .language:       OpenCL C
    .language_version:
      - 2
      - 0
    .max_flat_workgroup_size: 512
    .name:           _ZN7rocprim17ROCPRIM_400000_NS6detail17trampoline_kernelINS0_14default_configENS1_25partition_config_selectorILNS1_17partition_subalgoE6EyNS0_10empty_typeEbEEZZNS1_14partition_implILS5_6ELb0ES3_mN6thrust23THRUST_200600_302600_NS6detail15normal_iteratorINSA_10device_ptrIyEEEEPS6_SG_NS0_5tupleIJSF_S6_EEENSH_IJSG_SG_EEES6_PlJNSB_9not_fun_tINSB_14equal_to_valueIyEEEEEEE10hipError_tPvRmT3_T4_T5_T6_T7_T9_mT8_P12ihipStream_tbDpT10_ENKUlT_T0_E_clISt17integral_constantIbLb1EES18_EEDaS13_S14_EUlS13_E_NS1_11comp_targetILNS1_3genE4ELNS1_11target_archE910ELNS1_3gpuE8ELNS1_3repE0EEENS1_30default_config_static_selectorELNS0_4arch9wavefront6targetE0EEEvT1_
    .private_segment_fixed_size: 0
    .sgpr_count:     0
    .sgpr_spill_count: 0
    .symbol:         _ZN7rocprim17ROCPRIM_400000_NS6detail17trampoline_kernelINS0_14default_configENS1_25partition_config_selectorILNS1_17partition_subalgoE6EyNS0_10empty_typeEbEEZZNS1_14partition_implILS5_6ELb0ES3_mN6thrust23THRUST_200600_302600_NS6detail15normal_iteratorINSA_10device_ptrIyEEEEPS6_SG_NS0_5tupleIJSF_S6_EEENSH_IJSG_SG_EEES6_PlJNSB_9not_fun_tINSB_14equal_to_valueIyEEEEEEE10hipError_tPvRmT3_T4_T5_T6_T7_T9_mT8_P12ihipStream_tbDpT10_ENKUlT_T0_E_clISt17integral_constantIbLb1EES18_EEDaS13_S14_EUlS13_E_NS1_11comp_targetILNS1_3genE4ELNS1_11target_archE910ELNS1_3gpuE8ELNS1_3repE0EEENS1_30default_config_static_selectorELNS0_4arch9wavefront6targetE0EEEvT1_.kd
    .uniform_work_group_size: 1
    .uses_dynamic_stack: false
    .vgpr_count:     0
    .vgpr_spill_count: 0
    .wavefront_size: 32
    .workgroup_processor_mode: 1
  - .args:
      - .offset:         0
        .size:           128
        .value_kind:     by_value
    .group_segment_fixed_size: 0
    .kernarg_segment_align: 8
    .kernarg_segment_size: 128
    .language:       OpenCL C
    .language_version:
      - 2
      - 0
    .max_flat_workgroup_size: 128
    .name:           _ZN7rocprim17ROCPRIM_400000_NS6detail17trampoline_kernelINS0_14default_configENS1_25partition_config_selectorILNS1_17partition_subalgoE6EyNS0_10empty_typeEbEEZZNS1_14partition_implILS5_6ELb0ES3_mN6thrust23THRUST_200600_302600_NS6detail15normal_iteratorINSA_10device_ptrIyEEEEPS6_SG_NS0_5tupleIJSF_S6_EEENSH_IJSG_SG_EEES6_PlJNSB_9not_fun_tINSB_14equal_to_valueIyEEEEEEE10hipError_tPvRmT3_T4_T5_T6_T7_T9_mT8_P12ihipStream_tbDpT10_ENKUlT_T0_E_clISt17integral_constantIbLb1EES18_EEDaS13_S14_EUlS13_E_NS1_11comp_targetILNS1_3genE3ELNS1_11target_archE908ELNS1_3gpuE7ELNS1_3repE0EEENS1_30default_config_static_selectorELNS0_4arch9wavefront6targetE0EEEvT1_
    .private_segment_fixed_size: 0
    .sgpr_count:     0
    .sgpr_spill_count: 0
    .symbol:         _ZN7rocprim17ROCPRIM_400000_NS6detail17trampoline_kernelINS0_14default_configENS1_25partition_config_selectorILNS1_17partition_subalgoE6EyNS0_10empty_typeEbEEZZNS1_14partition_implILS5_6ELb0ES3_mN6thrust23THRUST_200600_302600_NS6detail15normal_iteratorINSA_10device_ptrIyEEEEPS6_SG_NS0_5tupleIJSF_S6_EEENSH_IJSG_SG_EEES6_PlJNSB_9not_fun_tINSB_14equal_to_valueIyEEEEEEE10hipError_tPvRmT3_T4_T5_T6_T7_T9_mT8_P12ihipStream_tbDpT10_ENKUlT_T0_E_clISt17integral_constantIbLb1EES18_EEDaS13_S14_EUlS13_E_NS1_11comp_targetILNS1_3genE3ELNS1_11target_archE908ELNS1_3gpuE7ELNS1_3repE0EEENS1_30default_config_static_selectorELNS0_4arch9wavefront6targetE0EEEvT1_.kd
    .uniform_work_group_size: 1
    .uses_dynamic_stack: false
    .vgpr_count:     0
    .vgpr_spill_count: 0
    .wavefront_size: 32
    .workgroup_processor_mode: 1
  - .args:
      - .offset:         0
        .size:           128
        .value_kind:     by_value
    .group_segment_fixed_size: 0
    .kernarg_segment_align: 8
    .kernarg_segment_size: 128
    .language:       OpenCL C
    .language_version:
      - 2
      - 0
    .max_flat_workgroup_size: 256
    .name:           _ZN7rocprim17ROCPRIM_400000_NS6detail17trampoline_kernelINS0_14default_configENS1_25partition_config_selectorILNS1_17partition_subalgoE6EyNS0_10empty_typeEbEEZZNS1_14partition_implILS5_6ELb0ES3_mN6thrust23THRUST_200600_302600_NS6detail15normal_iteratorINSA_10device_ptrIyEEEEPS6_SG_NS0_5tupleIJSF_S6_EEENSH_IJSG_SG_EEES6_PlJNSB_9not_fun_tINSB_14equal_to_valueIyEEEEEEE10hipError_tPvRmT3_T4_T5_T6_T7_T9_mT8_P12ihipStream_tbDpT10_ENKUlT_T0_E_clISt17integral_constantIbLb1EES18_EEDaS13_S14_EUlS13_E_NS1_11comp_targetILNS1_3genE2ELNS1_11target_archE906ELNS1_3gpuE6ELNS1_3repE0EEENS1_30default_config_static_selectorELNS0_4arch9wavefront6targetE0EEEvT1_
    .private_segment_fixed_size: 0
    .sgpr_count:     0
    .sgpr_spill_count: 0
    .symbol:         _ZN7rocprim17ROCPRIM_400000_NS6detail17trampoline_kernelINS0_14default_configENS1_25partition_config_selectorILNS1_17partition_subalgoE6EyNS0_10empty_typeEbEEZZNS1_14partition_implILS5_6ELb0ES3_mN6thrust23THRUST_200600_302600_NS6detail15normal_iteratorINSA_10device_ptrIyEEEEPS6_SG_NS0_5tupleIJSF_S6_EEENSH_IJSG_SG_EEES6_PlJNSB_9not_fun_tINSB_14equal_to_valueIyEEEEEEE10hipError_tPvRmT3_T4_T5_T6_T7_T9_mT8_P12ihipStream_tbDpT10_ENKUlT_T0_E_clISt17integral_constantIbLb1EES18_EEDaS13_S14_EUlS13_E_NS1_11comp_targetILNS1_3genE2ELNS1_11target_archE906ELNS1_3gpuE6ELNS1_3repE0EEENS1_30default_config_static_selectorELNS0_4arch9wavefront6targetE0EEEvT1_.kd
    .uniform_work_group_size: 1
    .uses_dynamic_stack: false
    .vgpr_count:     0
    .vgpr_spill_count: 0
    .wavefront_size: 32
    .workgroup_processor_mode: 1
  - .args:
      - .offset:         0
        .size:           128
        .value_kind:     by_value
    .group_segment_fixed_size: 0
    .kernarg_segment_align: 8
    .kernarg_segment_size: 128
    .language:       OpenCL C
    .language_version:
      - 2
      - 0
    .max_flat_workgroup_size: 256
    .name:           _ZN7rocprim17ROCPRIM_400000_NS6detail17trampoline_kernelINS0_14default_configENS1_25partition_config_selectorILNS1_17partition_subalgoE6EyNS0_10empty_typeEbEEZZNS1_14partition_implILS5_6ELb0ES3_mN6thrust23THRUST_200600_302600_NS6detail15normal_iteratorINSA_10device_ptrIyEEEEPS6_SG_NS0_5tupleIJSF_S6_EEENSH_IJSG_SG_EEES6_PlJNSB_9not_fun_tINSB_14equal_to_valueIyEEEEEEE10hipError_tPvRmT3_T4_T5_T6_T7_T9_mT8_P12ihipStream_tbDpT10_ENKUlT_T0_E_clISt17integral_constantIbLb1EES18_EEDaS13_S14_EUlS13_E_NS1_11comp_targetILNS1_3genE10ELNS1_11target_archE1200ELNS1_3gpuE4ELNS1_3repE0EEENS1_30default_config_static_selectorELNS0_4arch9wavefront6targetE0EEEvT1_
    .private_segment_fixed_size: 0
    .sgpr_count:     0
    .sgpr_spill_count: 0
    .symbol:         _ZN7rocprim17ROCPRIM_400000_NS6detail17trampoline_kernelINS0_14default_configENS1_25partition_config_selectorILNS1_17partition_subalgoE6EyNS0_10empty_typeEbEEZZNS1_14partition_implILS5_6ELb0ES3_mN6thrust23THRUST_200600_302600_NS6detail15normal_iteratorINSA_10device_ptrIyEEEEPS6_SG_NS0_5tupleIJSF_S6_EEENSH_IJSG_SG_EEES6_PlJNSB_9not_fun_tINSB_14equal_to_valueIyEEEEEEE10hipError_tPvRmT3_T4_T5_T6_T7_T9_mT8_P12ihipStream_tbDpT10_ENKUlT_T0_E_clISt17integral_constantIbLb1EES18_EEDaS13_S14_EUlS13_E_NS1_11comp_targetILNS1_3genE10ELNS1_11target_archE1200ELNS1_3gpuE4ELNS1_3repE0EEENS1_30default_config_static_selectorELNS0_4arch9wavefront6targetE0EEEvT1_.kd
    .uniform_work_group_size: 1
    .uses_dynamic_stack: false
    .vgpr_count:     0
    .vgpr_spill_count: 0
    .wavefront_size: 32
    .workgroup_processor_mode: 1
  - .args:
      - .offset:         0
        .size:           128
        .value_kind:     by_value
    .group_segment_fixed_size: 0
    .kernarg_segment_align: 8
    .kernarg_segment_size: 128
    .language:       OpenCL C
    .language_version:
      - 2
      - 0
    .max_flat_workgroup_size: 384
    .name:           _ZN7rocprim17ROCPRIM_400000_NS6detail17trampoline_kernelINS0_14default_configENS1_25partition_config_selectorILNS1_17partition_subalgoE6EyNS0_10empty_typeEbEEZZNS1_14partition_implILS5_6ELb0ES3_mN6thrust23THRUST_200600_302600_NS6detail15normal_iteratorINSA_10device_ptrIyEEEEPS6_SG_NS0_5tupleIJSF_S6_EEENSH_IJSG_SG_EEES6_PlJNSB_9not_fun_tINSB_14equal_to_valueIyEEEEEEE10hipError_tPvRmT3_T4_T5_T6_T7_T9_mT8_P12ihipStream_tbDpT10_ENKUlT_T0_E_clISt17integral_constantIbLb1EES18_EEDaS13_S14_EUlS13_E_NS1_11comp_targetILNS1_3genE9ELNS1_11target_archE1100ELNS1_3gpuE3ELNS1_3repE0EEENS1_30default_config_static_selectorELNS0_4arch9wavefront6targetE0EEEvT1_
    .private_segment_fixed_size: 0
    .sgpr_count:     0
    .sgpr_spill_count: 0
    .symbol:         _ZN7rocprim17ROCPRIM_400000_NS6detail17trampoline_kernelINS0_14default_configENS1_25partition_config_selectorILNS1_17partition_subalgoE6EyNS0_10empty_typeEbEEZZNS1_14partition_implILS5_6ELb0ES3_mN6thrust23THRUST_200600_302600_NS6detail15normal_iteratorINSA_10device_ptrIyEEEEPS6_SG_NS0_5tupleIJSF_S6_EEENSH_IJSG_SG_EEES6_PlJNSB_9not_fun_tINSB_14equal_to_valueIyEEEEEEE10hipError_tPvRmT3_T4_T5_T6_T7_T9_mT8_P12ihipStream_tbDpT10_ENKUlT_T0_E_clISt17integral_constantIbLb1EES18_EEDaS13_S14_EUlS13_E_NS1_11comp_targetILNS1_3genE9ELNS1_11target_archE1100ELNS1_3gpuE3ELNS1_3repE0EEENS1_30default_config_static_selectorELNS0_4arch9wavefront6targetE0EEEvT1_.kd
    .uniform_work_group_size: 1
    .uses_dynamic_stack: false
    .vgpr_count:     0
    .vgpr_spill_count: 0
    .wavefront_size: 32
    .workgroup_processor_mode: 1
  - .args:
      - .offset:         0
        .size:           128
        .value_kind:     by_value
    .group_segment_fixed_size: 0
    .kernarg_segment_align: 8
    .kernarg_segment_size: 128
    .language:       OpenCL C
    .language_version:
      - 2
      - 0
    .max_flat_workgroup_size: 512
    .name:           _ZN7rocprim17ROCPRIM_400000_NS6detail17trampoline_kernelINS0_14default_configENS1_25partition_config_selectorILNS1_17partition_subalgoE6EyNS0_10empty_typeEbEEZZNS1_14partition_implILS5_6ELb0ES3_mN6thrust23THRUST_200600_302600_NS6detail15normal_iteratorINSA_10device_ptrIyEEEEPS6_SG_NS0_5tupleIJSF_S6_EEENSH_IJSG_SG_EEES6_PlJNSB_9not_fun_tINSB_14equal_to_valueIyEEEEEEE10hipError_tPvRmT3_T4_T5_T6_T7_T9_mT8_P12ihipStream_tbDpT10_ENKUlT_T0_E_clISt17integral_constantIbLb1EES18_EEDaS13_S14_EUlS13_E_NS1_11comp_targetILNS1_3genE8ELNS1_11target_archE1030ELNS1_3gpuE2ELNS1_3repE0EEENS1_30default_config_static_selectorELNS0_4arch9wavefront6targetE0EEEvT1_
    .private_segment_fixed_size: 0
    .sgpr_count:     0
    .sgpr_spill_count: 0
    .symbol:         _ZN7rocprim17ROCPRIM_400000_NS6detail17trampoline_kernelINS0_14default_configENS1_25partition_config_selectorILNS1_17partition_subalgoE6EyNS0_10empty_typeEbEEZZNS1_14partition_implILS5_6ELb0ES3_mN6thrust23THRUST_200600_302600_NS6detail15normal_iteratorINSA_10device_ptrIyEEEEPS6_SG_NS0_5tupleIJSF_S6_EEENSH_IJSG_SG_EEES6_PlJNSB_9not_fun_tINSB_14equal_to_valueIyEEEEEEE10hipError_tPvRmT3_T4_T5_T6_T7_T9_mT8_P12ihipStream_tbDpT10_ENKUlT_T0_E_clISt17integral_constantIbLb1EES18_EEDaS13_S14_EUlS13_E_NS1_11comp_targetILNS1_3genE8ELNS1_11target_archE1030ELNS1_3gpuE2ELNS1_3repE0EEENS1_30default_config_static_selectorELNS0_4arch9wavefront6targetE0EEEvT1_.kd
    .uniform_work_group_size: 1
    .uses_dynamic_stack: false
    .vgpr_count:     0
    .vgpr_spill_count: 0
    .wavefront_size: 32
    .workgroup_processor_mode: 1
  - .args:
      - .offset:         0
        .size:           120
        .value_kind:     by_value
    .group_segment_fixed_size: 0
    .kernarg_segment_align: 8
    .kernarg_segment_size: 120
    .language:       OpenCL C
    .language_version:
      - 2
      - 0
    .max_flat_workgroup_size: 128
    .name:           _ZN7rocprim17ROCPRIM_400000_NS6detail17trampoline_kernelINS0_14default_configENS1_25partition_config_selectorILNS1_17partition_subalgoE6EyNS0_10empty_typeEbEEZZNS1_14partition_implILS5_6ELb0ES3_mN6thrust23THRUST_200600_302600_NS6detail15normal_iteratorINSA_10device_ptrIyEEEEPS6_SG_NS0_5tupleIJSF_S6_EEENSH_IJSG_SG_EEES6_PlJNSB_9not_fun_tINSB_14equal_to_valueIyEEEEEEE10hipError_tPvRmT3_T4_T5_T6_T7_T9_mT8_P12ihipStream_tbDpT10_ENKUlT_T0_E_clISt17integral_constantIbLb1EES17_IbLb0EEEEDaS13_S14_EUlS13_E_NS1_11comp_targetILNS1_3genE0ELNS1_11target_archE4294967295ELNS1_3gpuE0ELNS1_3repE0EEENS1_30default_config_static_selectorELNS0_4arch9wavefront6targetE0EEEvT1_
    .private_segment_fixed_size: 0
    .sgpr_count:     0
    .sgpr_spill_count: 0
    .symbol:         _ZN7rocprim17ROCPRIM_400000_NS6detail17trampoline_kernelINS0_14default_configENS1_25partition_config_selectorILNS1_17partition_subalgoE6EyNS0_10empty_typeEbEEZZNS1_14partition_implILS5_6ELb0ES3_mN6thrust23THRUST_200600_302600_NS6detail15normal_iteratorINSA_10device_ptrIyEEEEPS6_SG_NS0_5tupleIJSF_S6_EEENSH_IJSG_SG_EEES6_PlJNSB_9not_fun_tINSB_14equal_to_valueIyEEEEEEE10hipError_tPvRmT3_T4_T5_T6_T7_T9_mT8_P12ihipStream_tbDpT10_ENKUlT_T0_E_clISt17integral_constantIbLb1EES17_IbLb0EEEEDaS13_S14_EUlS13_E_NS1_11comp_targetILNS1_3genE0ELNS1_11target_archE4294967295ELNS1_3gpuE0ELNS1_3repE0EEENS1_30default_config_static_selectorELNS0_4arch9wavefront6targetE0EEEvT1_.kd
    .uniform_work_group_size: 1
    .uses_dynamic_stack: false
    .vgpr_count:     0
    .vgpr_spill_count: 0
    .wavefront_size: 32
    .workgroup_processor_mode: 1
  - .args:
      - .offset:         0
        .size:           120
        .value_kind:     by_value
    .group_segment_fixed_size: 0
    .kernarg_segment_align: 8
    .kernarg_segment_size: 120
    .language:       OpenCL C
    .language_version:
      - 2
      - 0
    .max_flat_workgroup_size: 512
    .name:           _ZN7rocprim17ROCPRIM_400000_NS6detail17trampoline_kernelINS0_14default_configENS1_25partition_config_selectorILNS1_17partition_subalgoE6EyNS0_10empty_typeEbEEZZNS1_14partition_implILS5_6ELb0ES3_mN6thrust23THRUST_200600_302600_NS6detail15normal_iteratorINSA_10device_ptrIyEEEEPS6_SG_NS0_5tupleIJSF_S6_EEENSH_IJSG_SG_EEES6_PlJNSB_9not_fun_tINSB_14equal_to_valueIyEEEEEEE10hipError_tPvRmT3_T4_T5_T6_T7_T9_mT8_P12ihipStream_tbDpT10_ENKUlT_T0_E_clISt17integral_constantIbLb1EES17_IbLb0EEEEDaS13_S14_EUlS13_E_NS1_11comp_targetILNS1_3genE5ELNS1_11target_archE942ELNS1_3gpuE9ELNS1_3repE0EEENS1_30default_config_static_selectorELNS0_4arch9wavefront6targetE0EEEvT1_
    .private_segment_fixed_size: 0
    .sgpr_count:     0
    .sgpr_spill_count: 0
    .symbol:         _ZN7rocprim17ROCPRIM_400000_NS6detail17trampoline_kernelINS0_14default_configENS1_25partition_config_selectorILNS1_17partition_subalgoE6EyNS0_10empty_typeEbEEZZNS1_14partition_implILS5_6ELb0ES3_mN6thrust23THRUST_200600_302600_NS6detail15normal_iteratorINSA_10device_ptrIyEEEEPS6_SG_NS0_5tupleIJSF_S6_EEENSH_IJSG_SG_EEES6_PlJNSB_9not_fun_tINSB_14equal_to_valueIyEEEEEEE10hipError_tPvRmT3_T4_T5_T6_T7_T9_mT8_P12ihipStream_tbDpT10_ENKUlT_T0_E_clISt17integral_constantIbLb1EES17_IbLb0EEEEDaS13_S14_EUlS13_E_NS1_11comp_targetILNS1_3genE5ELNS1_11target_archE942ELNS1_3gpuE9ELNS1_3repE0EEENS1_30default_config_static_selectorELNS0_4arch9wavefront6targetE0EEEvT1_.kd
    .uniform_work_group_size: 1
    .uses_dynamic_stack: false
    .vgpr_count:     0
    .vgpr_spill_count: 0
    .wavefront_size: 32
    .workgroup_processor_mode: 1
  - .args:
      - .offset:         0
        .size:           120
        .value_kind:     by_value
    .group_segment_fixed_size: 0
    .kernarg_segment_align: 8
    .kernarg_segment_size: 120
    .language:       OpenCL C
    .language_version:
      - 2
      - 0
    .max_flat_workgroup_size: 512
    .name:           _ZN7rocprim17ROCPRIM_400000_NS6detail17trampoline_kernelINS0_14default_configENS1_25partition_config_selectorILNS1_17partition_subalgoE6EyNS0_10empty_typeEbEEZZNS1_14partition_implILS5_6ELb0ES3_mN6thrust23THRUST_200600_302600_NS6detail15normal_iteratorINSA_10device_ptrIyEEEEPS6_SG_NS0_5tupleIJSF_S6_EEENSH_IJSG_SG_EEES6_PlJNSB_9not_fun_tINSB_14equal_to_valueIyEEEEEEE10hipError_tPvRmT3_T4_T5_T6_T7_T9_mT8_P12ihipStream_tbDpT10_ENKUlT_T0_E_clISt17integral_constantIbLb1EES17_IbLb0EEEEDaS13_S14_EUlS13_E_NS1_11comp_targetILNS1_3genE4ELNS1_11target_archE910ELNS1_3gpuE8ELNS1_3repE0EEENS1_30default_config_static_selectorELNS0_4arch9wavefront6targetE0EEEvT1_
    .private_segment_fixed_size: 0
    .sgpr_count:     0
    .sgpr_spill_count: 0
    .symbol:         _ZN7rocprim17ROCPRIM_400000_NS6detail17trampoline_kernelINS0_14default_configENS1_25partition_config_selectorILNS1_17partition_subalgoE6EyNS0_10empty_typeEbEEZZNS1_14partition_implILS5_6ELb0ES3_mN6thrust23THRUST_200600_302600_NS6detail15normal_iteratorINSA_10device_ptrIyEEEEPS6_SG_NS0_5tupleIJSF_S6_EEENSH_IJSG_SG_EEES6_PlJNSB_9not_fun_tINSB_14equal_to_valueIyEEEEEEE10hipError_tPvRmT3_T4_T5_T6_T7_T9_mT8_P12ihipStream_tbDpT10_ENKUlT_T0_E_clISt17integral_constantIbLb1EES17_IbLb0EEEEDaS13_S14_EUlS13_E_NS1_11comp_targetILNS1_3genE4ELNS1_11target_archE910ELNS1_3gpuE8ELNS1_3repE0EEENS1_30default_config_static_selectorELNS0_4arch9wavefront6targetE0EEEvT1_.kd
    .uniform_work_group_size: 1
    .uses_dynamic_stack: false
    .vgpr_count:     0
    .vgpr_spill_count: 0
    .wavefront_size: 32
    .workgroup_processor_mode: 1
  - .args:
      - .offset:         0
        .size:           120
        .value_kind:     by_value
    .group_segment_fixed_size: 0
    .kernarg_segment_align: 8
    .kernarg_segment_size: 120
    .language:       OpenCL C
    .language_version:
      - 2
      - 0
    .max_flat_workgroup_size: 128
    .name:           _ZN7rocprim17ROCPRIM_400000_NS6detail17trampoline_kernelINS0_14default_configENS1_25partition_config_selectorILNS1_17partition_subalgoE6EyNS0_10empty_typeEbEEZZNS1_14partition_implILS5_6ELb0ES3_mN6thrust23THRUST_200600_302600_NS6detail15normal_iteratorINSA_10device_ptrIyEEEEPS6_SG_NS0_5tupleIJSF_S6_EEENSH_IJSG_SG_EEES6_PlJNSB_9not_fun_tINSB_14equal_to_valueIyEEEEEEE10hipError_tPvRmT3_T4_T5_T6_T7_T9_mT8_P12ihipStream_tbDpT10_ENKUlT_T0_E_clISt17integral_constantIbLb1EES17_IbLb0EEEEDaS13_S14_EUlS13_E_NS1_11comp_targetILNS1_3genE3ELNS1_11target_archE908ELNS1_3gpuE7ELNS1_3repE0EEENS1_30default_config_static_selectorELNS0_4arch9wavefront6targetE0EEEvT1_
    .private_segment_fixed_size: 0
    .sgpr_count:     0
    .sgpr_spill_count: 0
    .symbol:         _ZN7rocprim17ROCPRIM_400000_NS6detail17trampoline_kernelINS0_14default_configENS1_25partition_config_selectorILNS1_17partition_subalgoE6EyNS0_10empty_typeEbEEZZNS1_14partition_implILS5_6ELb0ES3_mN6thrust23THRUST_200600_302600_NS6detail15normal_iteratorINSA_10device_ptrIyEEEEPS6_SG_NS0_5tupleIJSF_S6_EEENSH_IJSG_SG_EEES6_PlJNSB_9not_fun_tINSB_14equal_to_valueIyEEEEEEE10hipError_tPvRmT3_T4_T5_T6_T7_T9_mT8_P12ihipStream_tbDpT10_ENKUlT_T0_E_clISt17integral_constantIbLb1EES17_IbLb0EEEEDaS13_S14_EUlS13_E_NS1_11comp_targetILNS1_3genE3ELNS1_11target_archE908ELNS1_3gpuE7ELNS1_3repE0EEENS1_30default_config_static_selectorELNS0_4arch9wavefront6targetE0EEEvT1_.kd
    .uniform_work_group_size: 1
    .uses_dynamic_stack: false
    .vgpr_count:     0
    .vgpr_spill_count: 0
    .wavefront_size: 32
    .workgroup_processor_mode: 1
  - .args:
      - .offset:         0
        .size:           120
        .value_kind:     by_value
    .group_segment_fixed_size: 0
    .kernarg_segment_align: 8
    .kernarg_segment_size: 120
    .language:       OpenCL C
    .language_version:
      - 2
      - 0
    .max_flat_workgroup_size: 256
    .name:           _ZN7rocprim17ROCPRIM_400000_NS6detail17trampoline_kernelINS0_14default_configENS1_25partition_config_selectorILNS1_17partition_subalgoE6EyNS0_10empty_typeEbEEZZNS1_14partition_implILS5_6ELb0ES3_mN6thrust23THRUST_200600_302600_NS6detail15normal_iteratorINSA_10device_ptrIyEEEEPS6_SG_NS0_5tupleIJSF_S6_EEENSH_IJSG_SG_EEES6_PlJNSB_9not_fun_tINSB_14equal_to_valueIyEEEEEEE10hipError_tPvRmT3_T4_T5_T6_T7_T9_mT8_P12ihipStream_tbDpT10_ENKUlT_T0_E_clISt17integral_constantIbLb1EES17_IbLb0EEEEDaS13_S14_EUlS13_E_NS1_11comp_targetILNS1_3genE2ELNS1_11target_archE906ELNS1_3gpuE6ELNS1_3repE0EEENS1_30default_config_static_selectorELNS0_4arch9wavefront6targetE0EEEvT1_
    .private_segment_fixed_size: 0
    .sgpr_count:     0
    .sgpr_spill_count: 0
    .symbol:         _ZN7rocprim17ROCPRIM_400000_NS6detail17trampoline_kernelINS0_14default_configENS1_25partition_config_selectorILNS1_17partition_subalgoE6EyNS0_10empty_typeEbEEZZNS1_14partition_implILS5_6ELb0ES3_mN6thrust23THRUST_200600_302600_NS6detail15normal_iteratorINSA_10device_ptrIyEEEEPS6_SG_NS0_5tupleIJSF_S6_EEENSH_IJSG_SG_EEES6_PlJNSB_9not_fun_tINSB_14equal_to_valueIyEEEEEEE10hipError_tPvRmT3_T4_T5_T6_T7_T9_mT8_P12ihipStream_tbDpT10_ENKUlT_T0_E_clISt17integral_constantIbLb1EES17_IbLb0EEEEDaS13_S14_EUlS13_E_NS1_11comp_targetILNS1_3genE2ELNS1_11target_archE906ELNS1_3gpuE6ELNS1_3repE0EEENS1_30default_config_static_selectorELNS0_4arch9wavefront6targetE0EEEvT1_.kd
    .uniform_work_group_size: 1
    .uses_dynamic_stack: false
    .vgpr_count:     0
    .vgpr_spill_count: 0
    .wavefront_size: 32
    .workgroup_processor_mode: 1
  - .args:
      - .offset:         0
        .size:           120
        .value_kind:     by_value
    .group_segment_fixed_size: 0
    .kernarg_segment_align: 8
    .kernarg_segment_size: 120
    .language:       OpenCL C
    .language_version:
      - 2
      - 0
    .max_flat_workgroup_size: 256
    .name:           _ZN7rocprim17ROCPRIM_400000_NS6detail17trampoline_kernelINS0_14default_configENS1_25partition_config_selectorILNS1_17partition_subalgoE6EyNS0_10empty_typeEbEEZZNS1_14partition_implILS5_6ELb0ES3_mN6thrust23THRUST_200600_302600_NS6detail15normal_iteratorINSA_10device_ptrIyEEEEPS6_SG_NS0_5tupleIJSF_S6_EEENSH_IJSG_SG_EEES6_PlJNSB_9not_fun_tINSB_14equal_to_valueIyEEEEEEE10hipError_tPvRmT3_T4_T5_T6_T7_T9_mT8_P12ihipStream_tbDpT10_ENKUlT_T0_E_clISt17integral_constantIbLb1EES17_IbLb0EEEEDaS13_S14_EUlS13_E_NS1_11comp_targetILNS1_3genE10ELNS1_11target_archE1200ELNS1_3gpuE4ELNS1_3repE0EEENS1_30default_config_static_selectorELNS0_4arch9wavefront6targetE0EEEvT1_
    .private_segment_fixed_size: 0
    .sgpr_count:     0
    .sgpr_spill_count: 0
    .symbol:         _ZN7rocprim17ROCPRIM_400000_NS6detail17trampoline_kernelINS0_14default_configENS1_25partition_config_selectorILNS1_17partition_subalgoE6EyNS0_10empty_typeEbEEZZNS1_14partition_implILS5_6ELb0ES3_mN6thrust23THRUST_200600_302600_NS6detail15normal_iteratorINSA_10device_ptrIyEEEEPS6_SG_NS0_5tupleIJSF_S6_EEENSH_IJSG_SG_EEES6_PlJNSB_9not_fun_tINSB_14equal_to_valueIyEEEEEEE10hipError_tPvRmT3_T4_T5_T6_T7_T9_mT8_P12ihipStream_tbDpT10_ENKUlT_T0_E_clISt17integral_constantIbLb1EES17_IbLb0EEEEDaS13_S14_EUlS13_E_NS1_11comp_targetILNS1_3genE10ELNS1_11target_archE1200ELNS1_3gpuE4ELNS1_3repE0EEENS1_30default_config_static_selectorELNS0_4arch9wavefront6targetE0EEEvT1_.kd
    .uniform_work_group_size: 1
    .uses_dynamic_stack: false
    .vgpr_count:     0
    .vgpr_spill_count: 0
    .wavefront_size: 32
    .workgroup_processor_mode: 1
  - .args:
      - .offset:         0
        .size:           120
        .value_kind:     by_value
    .group_segment_fixed_size: 0
    .kernarg_segment_align: 8
    .kernarg_segment_size: 120
    .language:       OpenCL C
    .language_version:
      - 2
      - 0
    .max_flat_workgroup_size: 384
    .name:           _ZN7rocprim17ROCPRIM_400000_NS6detail17trampoline_kernelINS0_14default_configENS1_25partition_config_selectorILNS1_17partition_subalgoE6EyNS0_10empty_typeEbEEZZNS1_14partition_implILS5_6ELb0ES3_mN6thrust23THRUST_200600_302600_NS6detail15normal_iteratorINSA_10device_ptrIyEEEEPS6_SG_NS0_5tupleIJSF_S6_EEENSH_IJSG_SG_EEES6_PlJNSB_9not_fun_tINSB_14equal_to_valueIyEEEEEEE10hipError_tPvRmT3_T4_T5_T6_T7_T9_mT8_P12ihipStream_tbDpT10_ENKUlT_T0_E_clISt17integral_constantIbLb1EES17_IbLb0EEEEDaS13_S14_EUlS13_E_NS1_11comp_targetILNS1_3genE9ELNS1_11target_archE1100ELNS1_3gpuE3ELNS1_3repE0EEENS1_30default_config_static_selectorELNS0_4arch9wavefront6targetE0EEEvT1_
    .private_segment_fixed_size: 0
    .sgpr_count:     0
    .sgpr_spill_count: 0
    .symbol:         _ZN7rocprim17ROCPRIM_400000_NS6detail17trampoline_kernelINS0_14default_configENS1_25partition_config_selectorILNS1_17partition_subalgoE6EyNS0_10empty_typeEbEEZZNS1_14partition_implILS5_6ELb0ES3_mN6thrust23THRUST_200600_302600_NS6detail15normal_iteratorINSA_10device_ptrIyEEEEPS6_SG_NS0_5tupleIJSF_S6_EEENSH_IJSG_SG_EEES6_PlJNSB_9not_fun_tINSB_14equal_to_valueIyEEEEEEE10hipError_tPvRmT3_T4_T5_T6_T7_T9_mT8_P12ihipStream_tbDpT10_ENKUlT_T0_E_clISt17integral_constantIbLb1EES17_IbLb0EEEEDaS13_S14_EUlS13_E_NS1_11comp_targetILNS1_3genE9ELNS1_11target_archE1100ELNS1_3gpuE3ELNS1_3repE0EEENS1_30default_config_static_selectorELNS0_4arch9wavefront6targetE0EEEvT1_.kd
    .uniform_work_group_size: 1
    .uses_dynamic_stack: false
    .vgpr_count:     0
    .vgpr_spill_count: 0
    .wavefront_size: 32
    .workgroup_processor_mode: 1
  - .args:
      - .offset:         0
        .size:           120
        .value_kind:     by_value
    .group_segment_fixed_size: 0
    .kernarg_segment_align: 8
    .kernarg_segment_size: 120
    .language:       OpenCL C
    .language_version:
      - 2
      - 0
    .max_flat_workgroup_size: 512
    .name:           _ZN7rocprim17ROCPRIM_400000_NS6detail17trampoline_kernelINS0_14default_configENS1_25partition_config_selectorILNS1_17partition_subalgoE6EyNS0_10empty_typeEbEEZZNS1_14partition_implILS5_6ELb0ES3_mN6thrust23THRUST_200600_302600_NS6detail15normal_iteratorINSA_10device_ptrIyEEEEPS6_SG_NS0_5tupleIJSF_S6_EEENSH_IJSG_SG_EEES6_PlJNSB_9not_fun_tINSB_14equal_to_valueIyEEEEEEE10hipError_tPvRmT3_T4_T5_T6_T7_T9_mT8_P12ihipStream_tbDpT10_ENKUlT_T0_E_clISt17integral_constantIbLb1EES17_IbLb0EEEEDaS13_S14_EUlS13_E_NS1_11comp_targetILNS1_3genE8ELNS1_11target_archE1030ELNS1_3gpuE2ELNS1_3repE0EEENS1_30default_config_static_selectorELNS0_4arch9wavefront6targetE0EEEvT1_
    .private_segment_fixed_size: 0
    .sgpr_count:     0
    .sgpr_spill_count: 0
    .symbol:         _ZN7rocprim17ROCPRIM_400000_NS6detail17trampoline_kernelINS0_14default_configENS1_25partition_config_selectorILNS1_17partition_subalgoE6EyNS0_10empty_typeEbEEZZNS1_14partition_implILS5_6ELb0ES3_mN6thrust23THRUST_200600_302600_NS6detail15normal_iteratorINSA_10device_ptrIyEEEEPS6_SG_NS0_5tupleIJSF_S6_EEENSH_IJSG_SG_EEES6_PlJNSB_9not_fun_tINSB_14equal_to_valueIyEEEEEEE10hipError_tPvRmT3_T4_T5_T6_T7_T9_mT8_P12ihipStream_tbDpT10_ENKUlT_T0_E_clISt17integral_constantIbLb1EES17_IbLb0EEEEDaS13_S14_EUlS13_E_NS1_11comp_targetILNS1_3genE8ELNS1_11target_archE1030ELNS1_3gpuE2ELNS1_3repE0EEENS1_30default_config_static_selectorELNS0_4arch9wavefront6targetE0EEEvT1_.kd
    .uniform_work_group_size: 1
    .uses_dynamic_stack: false
    .vgpr_count:     0
    .vgpr_spill_count: 0
    .wavefront_size: 32
    .workgroup_processor_mode: 1
  - .args:
      - .offset:         0
        .size:           128
        .value_kind:     by_value
    .group_segment_fixed_size: 0
    .kernarg_segment_align: 8
    .kernarg_segment_size: 128
    .language:       OpenCL C
    .language_version:
      - 2
      - 0
    .max_flat_workgroup_size: 128
    .name:           _ZN7rocprim17ROCPRIM_400000_NS6detail17trampoline_kernelINS0_14default_configENS1_25partition_config_selectorILNS1_17partition_subalgoE6EyNS0_10empty_typeEbEEZZNS1_14partition_implILS5_6ELb0ES3_mN6thrust23THRUST_200600_302600_NS6detail15normal_iteratorINSA_10device_ptrIyEEEEPS6_SG_NS0_5tupleIJSF_S6_EEENSH_IJSG_SG_EEES6_PlJNSB_9not_fun_tINSB_14equal_to_valueIyEEEEEEE10hipError_tPvRmT3_T4_T5_T6_T7_T9_mT8_P12ihipStream_tbDpT10_ENKUlT_T0_E_clISt17integral_constantIbLb0EES17_IbLb1EEEEDaS13_S14_EUlS13_E_NS1_11comp_targetILNS1_3genE0ELNS1_11target_archE4294967295ELNS1_3gpuE0ELNS1_3repE0EEENS1_30default_config_static_selectorELNS0_4arch9wavefront6targetE0EEEvT1_
    .private_segment_fixed_size: 0
    .sgpr_count:     0
    .sgpr_spill_count: 0
    .symbol:         _ZN7rocprim17ROCPRIM_400000_NS6detail17trampoline_kernelINS0_14default_configENS1_25partition_config_selectorILNS1_17partition_subalgoE6EyNS0_10empty_typeEbEEZZNS1_14partition_implILS5_6ELb0ES3_mN6thrust23THRUST_200600_302600_NS6detail15normal_iteratorINSA_10device_ptrIyEEEEPS6_SG_NS0_5tupleIJSF_S6_EEENSH_IJSG_SG_EEES6_PlJNSB_9not_fun_tINSB_14equal_to_valueIyEEEEEEE10hipError_tPvRmT3_T4_T5_T6_T7_T9_mT8_P12ihipStream_tbDpT10_ENKUlT_T0_E_clISt17integral_constantIbLb0EES17_IbLb1EEEEDaS13_S14_EUlS13_E_NS1_11comp_targetILNS1_3genE0ELNS1_11target_archE4294967295ELNS1_3gpuE0ELNS1_3repE0EEENS1_30default_config_static_selectorELNS0_4arch9wavefront6targetE0EEEvT1_.kd
    .uniform_work_group_size: 1
    .uses_dynamic_stack: false
    .vgpr_count:     0
    .vgpr_spill_count: 0
    .wavefront_size: 32
    .workgroup_processor_mode: 1
  - .args:
      - .offset:         0
        .size:           128
        .value_kind:     by_value
    .group_segment_fixed_size: 0
    .kernarg_segment_align: 8
    .kernarg_segment_size: 128
    .language:       OpenCL C
    .language_version:
      - 2
      - 0
    .max_flat_workgroup_size: 512
    .name:           _ZN7rocprim17ROCPRIM_400000_NS6detail17trampoline_kernelINS0_14default_configENS1_25partition_config_selectorILNS1_17partition_subalgoE6EyNS0_10empty_typeEbEEZZNS1_14partition_implILS5_6ELb0ES3_mN6thrust23THRUST_200600_302600_NS6detail15normal_iteratorINSA_10device_ptrIyEEEEPS6_SG_NS0_5tupleIJSF_S6_EEENSH_IJSG_SG_EEES6_PlJNSB_9not_fun_tINSB_14equal_to_valueIyEEEEEEE10hipError_tPvRmT3_T4_T5_T6_T7_T9_mT8_P12ihipStream_tbDpT10_ENKUlT_T0_E_clISt17integral_constantIbLb0EES17_IbLb1EEEEDaS13_S14_EUlS13_E_NS1_11comp_targetILNS1_3genE5ELNS1_11target_archE942ELNS1_3gpuE9ELNS1_3repE0EEENS1_30default_config_static_selectorELNS0_4arch9wavefront6targetE0EEEvT1_
    .private_segment_fixed_size: 0
    .sgpr_count:     0
    .sgpr_spill_count: 0
    .symbol:         _ZN7rocprim17ROCPRIM_400000_NS6detail17trampoline_kernelINS0_14default_configENS1_25partition_config_selectorILNS1_17partition_subalgoE6EyNS0_10empty_typeEbEEZZNS1_14partition_implILS5_6ELb0ES3_mN6thrust23THRUST_200600_302600_NS6detail15normal_iteratorINSA_10device_ptrIyEEEEPS6_SG_NS0_5tupleIJSF_S6_EEENSH_IJSG_SG_EEES6_PlJNSB_9not_fun_tINSB_14equal_to_valueIyEEEEEEE10hipError_tPvRmT3_T4_T5_T6_T7_T9_mT8_P12ihipStream_tbDpT10_ENKUlT_T0_E_clISt17integral_constantIbLb0EES17_IbLb1EEEEDaS13_S14_EUlS13_E_NS1_11comp_targetILNS1_3genE5ELNS1_11target_archE942ELNS1_3gpuE9ELNS1_3repE0EEENS1_30default_config_static_selectorELNS0_4arch9wavefront6targetE0EEEvT1_.kd
    .uniform_work_group_size: 1
    .uses_dynamic_stack: false
    .vgpr_count:     0
    .vgpr_spill_count: 0
    .wavefront_size: 32
    .workgroup_processor_mode: 1
  - .args:
      - .offset:         0
        .size:           128
        .value_kind:     by_value
    .group_segment_fixed_size: 0
    .kernarg_segment_align: 8
    .kernarg_segment_size: 128
    .language:       OpenCL C
    .language_version:
      - 2
      - 0
    .max_flat_workgroup_size: 512
    .name:           _ZN7rocprim17ROCPRIM_400000_NS6detail17trampoline_kernelINS0_14default_configENS1_25partition_config_selectorILNS1_17partition_subalgoE6EyNS0_10empty_typeEbEEZZNS1_14partition_implILS5_6ELb0ES3_mN6thrust23THRUST_200600_302600_NS6detail15normal_iteratorINSA_10device_ptrIyEEEEPS6_SG_NS0_5tupleIJSF_S6_EEENSH_IJSG_SG_EEES6_PlJNSB_9not_fun_tINSB_14equal_to_valueIyEEEEEEE10hipError_tPvRmT3_T4_T5_T6_T7_T9_mT8_P12ihipStream_tbDpT10_ENKUlT_T0_E_clISt17integral_constantIbLb0EES17_IbLb1EEEEDaS13_S14_EUlS13_E_NS1_11comp_targetILNS1_3genE4ELNS1_11target_archE910ELNS1_3gpuE8ELNS1_3repE0EEENS1_30default_config_static_selectorELNS0_4arch9wavefront6targetE0EEEvT1_
    .private_segment_fixed_size: 0
    .sgpr_count:     0
    .sgpr_spill_count: 0
    .symbol:         _ZN7rocprim17ROCPRIM_400000_NS6detail17trampoline_kernelINS0_14default_configENS1_25partition_config_selectorILNS1_17partition_subalgoE6EyNS0_10empty_typeEbEEZZNS1_14partition_implILS5_6ELb0ES3_mN6thrust23THRUST_200600_302600_NS6detail15normal_iteratorINSA_10device_ptrIyEEEEPS6_SG_NS0_5tupleIJSF_S6_EEENSH_IJSG_SG_EEES6_PlJNSB_9not_fun_tINSB_14equal_to_valueIyEEEEEEE10hipError_tPvRmT3_T4_T5_T6_T7_T9_mT8_P12ihipStream_tbDpT10_ENKUlT_T0_E_clISt17integral_constantIbLb0EES17_IbLb1EEEEDaS13_S14_EUlS13_E_NS1_11comp_targetILNS1_3genE4ELNS1_11target_archE910ELNS1_3gpuE8ELNS1_3repE0EEENS1_30default_config_static_selectorELNS0_4arch9wavefront6targetE0EEEvT1_.kd
    .uniform_work_group_size: 1
    .uses_dynamic_stack: false
    .vgpr_count:     0
    .vgpr_spill_count: 0
    .wavefront_size: 32
    .workgroup_processor_mode: 1
  - .args:
      - .offset:         0
        .size:           128
        .value_kind:     by_value
    .group_segment_fixed_size: 0
    .kernarg_segment_align: 8
    .kernarg_segment_size: 128
    .language:       OpenCL C
    .language_version:
      - 2
      - 0
    .max_flat_workgroup_size: 128
    .name:           _ZN7rocprim17ROCPRIM_400000_NS6detail17trampoline_kernelINS0_14default_configENS1_25partition_config_selectorILNS1_17partition_subalgoE6EyNS0_10empty_typeEbEEZZNS1_14partition_implILS5_6ELb0ES3_mN6thrust23THRUST_200600_302600_NS6detail15normal_iteratorINSA_10device_ptrIyEEEEPS6_SG_NS0_5tupleIJSF_S6_EEENSH_IJSG_SG_EEES6_PlJNSB_9not_fun_tINSB_14equal_to_valueIyEEEEEEE10hipError_tPvRmT3_T4_T5_T6_T7_T9_mT8_P12ihipStream_tbDpT10_ENKUlT_T0_E_clISt17integral_constantIbLb0EES17_IbLb1EEEEDaS13_S14_EUlS13_E_NS1_11comp_targetILNS1_3genE3ELNS1_11target_archE908ELNS1_3gpuE7ELNS1_3repE0EEENS1_30default_config_static_selectorELNS0_4arch9wavefront6targetE0EEEvT1_
    .private_segment_fixed_size: 0
    .sgpr_count:     0
    .sgpr_spill_count: 0
    .symbol:         _ZN7rocprim17ROCPRIM_400000_NS6detail17trampoline_kernelINS0_14default_configENS1_25partition_config_selectorILNS1_17partition_subalgoE6EyNS0_10empty_typeEbEEZZNS1_14partition_implILS5_6ELb0ES3_mN6thrust23THRUST_200600_302600_NS6detail15normal_iteratorINSA_10device_ptrIyEEEEPS6_SG_NS0_5tupleIJSF_S6_EEENSH_IJSG_SG_EEES6_PlJNSB_9not_fun_tINSB_14equal_to_valueIyEEEEEEE10hipError_tPvRmT3_T4_T5_T6_T7_T9_mT8_P12ihipStream_tbDpT10_ENKUlT_T0_E_clISt17integral_constantIbLb0EES17_IbLb1EEEEDaS13_S14_EUlS13_E_NS1_11comp_targetILNS1_3genE3ELNS1_11target_archE908ELNS1_3gpuE7ELNS1_3repE0EEENS1_30default_config_static_selectorELNS0_4arch9wavefront6targetE0EEEvT1_.kd
    .uniform_work_group_size: 1
    .uses_dynamic_stack: false
    .vgpr_count:     0
    .vgpr_spill_count: 0
    .wavefront_size: 32
    .workgroup_processor_mode: 1
  - .args:
      - .offset:         0
        .size:           128
        .value_kind:     by_value
    .group_segment_fixed_size: 0
    .kernarg_segment_align: 8
    .kernarg_segment_size: 128
    .language:       OpenCL C
    .language_version:
      - 2
      - 0
    .max_flat_workgroup_size: 256
    .name:           _ZN7rocprim17ROCPRIM_400000_NS6detail17trampoline_kernelINS0_14default_configENS1_25partition_config_selectorILNS1_17partition_subalgoE6EyNS0_10empty_typeEbEEZZNS1_14partition_implILS5_6ELb0ES3_mN6thrust23THRUST_200600_302600_NS6detail15normal_iteratorINSA_10device_ptrIyEEEEPS6_SG_NS0_5tupleIJSF_S6_EEENSH_IJSG_SG_EEES6_PlJNSB_9not_fun_tINSB_14equal_to_valueIyEEEEEEE10hipError_tPvRmT3_T4_T5_T6_T7_T9_mT8_P12ihipStream_tbDpT10_ENKUlT_T0_E_clISt17integral_constantIbLb0EES17_IbLb1EEEEDaS13_S14_EUlS13_E_NS1_11comp_targetILNS1_3genE2ELNS1_11target_archE906ELNS1_3gpuE6ELNS1_3repE0EEENS1_30default_config_static_selectorELNS0_4arch9wavefront6targetE0EEEvT1_
    .private_segment_fixed_size: 0
    .sgpr_count:     0
    .sgpr_spill_count: 0
    .symbol:         _ZN7rocprim17ROCPRIM_400000_NS6detail17trampoline_kernelINS0_14default_configENS1_25partition_config_selectorILNS1_17partition_subalgoE6EyNS0_10empty_typeEbEEZZNS1_14partition_implILS5_6ELb0ES3_mN6thrust23THRUST_200600_302600_NS6detail15normal_iteratorINSA_10device_ptrIyEEEEPS6_SG_NS0_5tupleIJSF_S6_EEENSH_IJSG_SG_EEES6_PlJNSB_9not_fun_tINSB_14equal_to_valueIyEEEEEEE10hipError_tPvRmT3_T4_T5_T6_T7_T9_mT8_P12ihipStream_tbDpT10_ENKUlT_T0_E_clISt17integral_constantIbLb0EES17_IbLb1EEEEDaS13_S14_EUlS13_E_NS1_11comp_targetILNS1_3genE2ELNS1_11target_archE906ELNS1_3gpuE6ELNS1_3repE0EEENS1_30default_config_static_selectorELNS0_4arch9wavefront6targetE0EEEvT1_.kd
    .uniform_work_group_size: 1
    .uses_dynamic_stack: false
    .vgpr_count:     0
    .vgpr_spill_count: 0
    .wavefront_size: 32
    .workgroup_processor_mode: 1
  - .args:
      - .offset:         0
        .size:           128
        .value_kind:     by_value
    .group_segment_fixed_size: 8464
    .kernarg_segment_align: 8
    .kernarg_segment_size: 128
    .language:       OpenCL C
    .language_version:
      - 2
      - 0
    .max_flat_workgroup_size: 256
    .name:           _ZN7rocprim17ROCPRIM_400000_NS6detail17trampoline_kernelINS0_14default_configENS1_25partition_config_selectorILNS1_17partition_subalgoE6EyNS0_10empty_typeEbEEZZNS1_14partition_implILS5_6ELb0ES3_mN6thrust23THRUST_200600_302600_NS6detail15normal_iteratorINSA_10device_ptrIyEEEEPS6_SG_NS0_5tupleIJSF_S6_EEENSH_IJSG_SG_EEES6_PlJNSB_9not_fun_tINSB_14equal_to_valueIyEEEEEEE10hipError_tPvRmT3_T4_T5_T6_T7_T9_mT8_P12ihipStream_tbDpT10_ENKUlT_T0_E_clISt17integral_constantIbLb0EES17_IbLb1EEEEDaS13_S14_EUlS13_E_NS1_11comp_targetILNS1_3genE10ELNS1_11target_archE1200ELNS1_3gpuE4ELNS1_3repE0EEENS1_30default_config_static_selectorELNS0_4arch9wavefront6targetE0EEEvT1_
    .private_segment_fixed_size: 0
    .sgpr_count:     26
    .sgpr_spill_count: 0
    .symbol:         _ZN7rocprim17ROCPRIM_400000_NS6detail17trampoline_kernelINS0_14default_configENS1_25partition_config_selectorILNS1_17partition_subalgoE6EyNS0_10empty_typeEbEEZZNS1_14partition_implILS5_6ELb0ES3_mN6thrust23THRUST_200600_302600_NS6detail15normal_iteratorINSA_10device_ptrIyEEEEPS6_SG_NS0_5tupleIJSF_S6_EEENSH_IJSG_SG_EEES6_PlJNSB_9not_fun_tINSB_14equal_to_valueIyEEEEEEE10hipError_tPvRmT3_T4_T5_T6_T7_T9_mT8_P12ihipStream_tbDpT10_ENKUlT_T0_E_clISt17integral_constantIbLb0EES17_IbLb1EEEEDaS13_S14_EUlS13_E_NS1_11comp_targetILNS1_3genE10ELNS1_11target_archE1200ELNS1_3gpuE4ELNS1_3repE0EEENS1_30default_config_static_selectorELNS0_4arch9wavefront6targetE0EEEvT1_.kd
    .uniform_work_group_size: 1
    .uses_dynamic_stack: false
    .vgpr_count:     48
    .vgpr_spill_count: 0
    .wavefront_size: 32
    .workgroup_processor_mode: 1
  - .args:
      - .offset:         0
        .size:           128
        .value_kind:     by_value
    .group_segment_fixed_size: 0
    .kernarg_segment_align: 8
    .kernarg_segment_size: 128
    .language:       OpenCL C
    .language_version:
      - 2
      - 0
    .max_flat_workgroup_size: 384
    .name:           _ZN7rocprim17ROCPRIM_400000_NS6detail17trampoline_kernelINS0_14default_configENS1_25partition_config_selectorILNS1_17partition_subalgoE6EyNS0_10empty_typeEbEEZZNS1_14partition_implILS5_6ELb0ES3_mN6thrust23THRUST_200600_302600_NS6detail15normal_iteratorINSA_10device_ptrIyEEEEPS6_SG_NS0_5tupleIJSF_S6_EEENSH_IJSG_SG_EEES6_PlJNSB_9not_fun_tINSB_14equal_to_valueIyEEEEEEE10hipError_tPvRmT3_T4_T5_T6_T7_T9_mT8_P12ihipStream_tbDpT10_ENKUlT_T0_E_clISt17integral_constantIbLb0EES17_IbLb1EEEEDaS13_S14_EUlS13_E_NS1_11comp_targetILNS1_3genE9ELNS1_11target_archE1100ELNS1_3gpuE3ELNS1_3repE0EEENS1_30default_config_static_selectorELNS0_4arch9wavefront6targetE0EEEvT1_
    .private_segment_fixed_size: 0
    .sgpr_count:     0
    .sgpr_spill_count: 0
    .symbol:         _ZN7rocprim17ROCPRIM_400000_NS6detail17trampoline_kernelINS0_14default_configENS1_25partition_config_selectorILNS1_17partition_subalgoE6EyNS0_10empty_typeEbEEZZNS1_14partition_implILS5_6ELb0ES3_mN6thrust23THRUST_200600_302600_NS6detail15normal_iteratorINSA_10device_ptrIyEEEEPS6_SG_NS0_5tupleIJSF_S6_EEENSH_IJSG_SG_EEES6_PlJNSB_9not_fun_tINSB_14equal_to_valueIyEEEEEEE10hipError_tPvRmT3_T4_T5_T6_T7_T9_mT8_P12ihipStream_tbDpT10_ENKUlT_T0_E_clISt17integral_constantIbLb0EES17_IbLb1EEEEDaS13_S14_EUlS13_E_NS1_11comp_targetILNS1_3genE9ELNS1_11target_archE1100ELNS1_3gpuE3ELNS1_3repE0EEENS1_30default_config_static_selectorELNS0_4arch9wavefront6targetE0EEEvT1_.kd
    .uniform_work_group_size: 1
    .uses_dynamic_stack: false
    .vgpr_count:     0
    .vgpr_spill_count: 0
    .wavefront_size: 32
    .workgroup_processor_mode: 1
  - .args:
      - .offset:         0
        .size:           128
        .value_kind:     by_value
    .group_segment_fixed_size: 0
    .kernarg_segment_align: 8
    .kernarg_segment_size: 128
    .language:       OpenCL C
    .language_version:
      - 2
      - 0
    .max_flat_workgroup_size: 512
    .name:           _ZN7rocprim17ROCPRIM_400000_NS6detail17trampoline_kernelINS0_14default_configENS1_25partition_config_selectorILNS1_17partition_subalgoE6EyNS0_10empty_typeEbEEZZNS1_14partition_implILS5_6ELb0ES3_mN6thrust23THRUST_200600_302600_NS6detail15normal_iteratorINSA_10device_ptrIyEEEEPS6_SG_NS0_5tupleIJSF_S6_EEENSH_IJSG_SG_EEES6_PlJNSB_9not_fun_tINSB_14equal_to_valueIyEEEEEEE10hipError_tPvRmT3_T4_T5_T6_T7_T9_mT8_P12ihipStream_tbDpT10_ENKUlT_T0_E_clISt17integral_constantIbLb0EES17_IbLb1EEEEDaS13_S14_EUlS13_E_NS1_11comp_targetILNS1_3genE8ELNS1_11target_archE1030ELNS1_3gpuE2ELNS1_3repE0EEENS1_30default_config_static_selectorELNS0_4arch9wavefront6targetE0EEEvT1_
    .private_segment_fixed_size: 0
    .sgpr_count:     0
    .sgpr_spill_count: 0
    .symbol:         _ZN7rocprim17ROCPRIM_400000_NS6detail17trampoline_kernelINS0_14default_configENS1_25partition_config_selectorILNS1_17partition_subalgoE6EyNS0_10empty_typeEbEEZZNS1_14partition_implILS5_6ELb0ES3_mN6thrust23THRUST_200600_302600_NS6detail15normal_iteratorINSA_10device_ptrIyEEEEPS6_SG_NS0_5tupleIJSF_S6_EEENSH_IJSG_SG_EEES6_PlJNSB_9not_fun_tINSB_14equal_to_valueIyEEEEEEE10hipError_tPvRmT3_T4_T5_T6_T7_T9_mT8_P12ihipStream_tbDpT10_ENKUlT_T0_E_clISt17integral_constantIbLb0EES17_IbLb1EEEEDaS13_S14_EUlS13_E_NS1_11comp_targetILNS1_3genE8ELNS1_11target_archE1030ELNS1_3gpuE2ELNS1_3repE0EEENS1_30default_config_static_selectorELNS0_4arch9wavefront6targetE0EEEvT1_.kd
    .uniform_work_group_size: 1
    .uses_dynamic_stack: false
    .vgpr_count:     0
    .vgpr_spill_count: 0
    .wavefront_size: 32
    .workgroup_processor_mode: 1
  - .args:
      - .offset:         0
        .size:           120
        .value_kind:     by_value
    .group_segment_fixed_size: 0
    .kernarg_segment_align: 8
    .kernarg_segment_size: 120
    .language:       OpenCL C
    .language_version:
      - 2
      - 0
    .max_flat_workgroup_size: 256
    .name:           _ZN7rocprim17ROCPRIM_400000_NS6detail17trampoline_kernelINS0_14default_configENS1_25partition_config_selectorILNS1_17partition_subalgoE6EjNS0_10empty_typeEbEEZZNS1_14partition_implILS5_6ELb0ES3_mN6thrust23THRUST_200600_302600_NS6detail15normal_iteratorINSA_10device_ptrIjEEEEPS6_SG_NS0_5tupleIJSF_S6_EEENSH_IJSG_SG_EEES6_PlJNSB_9not_fun_tINSB_14equal_to_valueIjEEEEEEE10hipError_tPvRmT3_T4_T5_T6_T7_T9_mT8_P12ihipStream_tbDpT10_ENKUlT_T0_E_clISt17integral_constantIbLb0EES18_EEDaS13_S14_EUlS13_E_NS1_11comp_targetILNS1_3genE0ELNS1_11target_archE4294967295ELNS1_3gpuE0ELNS1_3repE0EEENS1_30default_config_static_selectorELNS0_4arch9wavefront6targetE0EEEvT1_
    .private_segment_fixed_size: 0
    .sgpr_count:     0
    .sgpr_spill_count: 0
    .symbol:         _ZN7rocprim17ROCPRIM_400000_NS6detail17trampoline_kernelINS0_14default_configENS1_25partition_config_selectorILNS1_17partition_subalgoE6EjNS0_10empty_typeEbEEZZNS1_14partition_implILS5_6ELb0ES3_mN6thrust23THRUST_200600_302600_NS6detail15normal_iteratorINSA_10device_ptrIjEEEEPS6_SG_NS0_5tupleIJSF_S6_EEENSH_IJSG_SG_EEES6_PlJNSB_9not_fun_tINSB_14equal_to_valueIjEEEEEEE10hipError_tPvRmT3_T4_T5_T6_T7_T9_mT8_P12ihipStream_tbDpT10_ENKUlT_T0_E_clISt17integral_constantIbLb0EES18_EEDaS13_S14_EUlS13_E_NS1_11comp_targetILNS1_3genE0ELNS1_11target_archE4294967295ELNS1_3gpuE0ELNS1_3repE0EEENS1_30default_config_static_selectorELNS0_4arch9wavefront6targetE0EEEvT1_.kd
    .uniform_work_group_size: 1
    .uses_dynamic_stack: false
    .vgpr_count:     0
    .vgpr_spill_count: 0
    .wavefront_size: 32
    .workgroup_processor_mode: 1
  - .args:
      - .offset:         0
        .size:           120
        .value_kind:     by_value
    .group_segment_fixed_size: 0
    .kernarg_segment_align: 8
    .kernarg_segment_size: 120
    .language:       OpenCL C
    .language_version:
      - 2
      - 0
    .max_flat_workgroup_size: 512
    .name:           _ZN7rocprim17ROCPRIM_400000_NS6detail17trampoline_kernelINS0_14default_configENS1_25partition_config_selectorILNS1_17partition_subalgoE6EjNS0_10empty_typeEbEEZZNS1_14partition_implILS5_6ELb0ES3_mN6thrust23THRUST_200600_302600_NS6detail15normal_iteratorINSA_10device_ptrIjEEEEPS6_SG_NS0_5tupleIJSF_S6_EEENSH_IJSG_SG_EEES6_PlJNSB_9not_fun_tINSB_14equal_to_valueIjEEEEEEE10hipError_tPvRmT3_T4_T5_T6_T7_T9_mT8_P12ihipStream_tbDpT10_ENKUlT_T0_E_clISt17integral_constantIbLb0EES18_EEDaS13_S14_EUlS13_E_NS1_11comp_targetILNS1_3genE5ELNS1_11target_archE942ELNS1_3gpuE9ELNS1_3repE0EEENS1_30default_config_static_selectorELNS0_4arch9wavefront6targetE0EEEvT1_
    .private_segment_fixed_size: 0
    .sgpr_count:     0
    .sgpr_spill_count: 0
    .symbol:         _ZN7rocprim17ROCPRIM_400000_NS6detail17trampoline_kernelINS0_14default_configENS1_25partition_config_selectorILNS1_17partition_subalgoE6EjNS0_10empty_typeEbEEZZNS1_14partition_implILS5_6ELb0ES3_mN6thrust23THRUST_200600_302600_NS6detail15normal_iteratorINSA_10device_ptrIjEEEEPS6_SG_NS0_5tupleIJSF_S6_EEENSH_IJSG_SG_EEES6_PlJNSB_9not_fun_tINSB_14equal_to_valueIjEEEEEEE10hipError_tPvRmT3_T4_T5_T6_T7_T9_mT8_P12ihipStream_tbDpT10_ENKUlT_T0_E_clISt17integral_constantIbLb0EES18_EEDaS13_S14_EUlS13_E_NS1_11comp_targetILNS1_3genE5ELNS1_11target_archE942ELNS1_3gpuE9ELNS1_3repE0EEENS1_30default_config_static_selectorELNS0_4arch9wavefront6targetE0EEEvT1_.kd
    .uniform_work_group_size: 1
    .uses_dynamic_stack: false
    .vgpr_count:     0
    .vgpr_spill_count: 0
    .wavefront_size: 32
    .workgroup_processor_mode: 1
  - .args:
      - .offset:         0
        .size:           120
        .value_kind:     by_value
    .group_segment_fixed_size: 0
    .kernarg_segment_align: 8
    .kernarg_segment_size: 120
    .language:       OpenCL C
    .language_version:
      - 2
      - 0
    .max_flat_workgroup_size: 512
    .name:           _ZN7rocprim17ROCPRIM_400000_NS6detail17trampoline_kernelINS0_14default_configENS1_25partition_config_selectorILNS1_17partition_subalgoE6EjNS0_10empty_typeEbEEZZNS1_14partition_implILS5_6ELb0ES3_mN6thrust23THRUST_200600_302600_NS6detail15normal_iteratorINSA_10device_ptrIjEEEEPS6_SG_NS0_5tupleIJSF_S6_EEENSH_IJSG_SG_EEES6_PlJNSB_9not_fun_tINSB_14equal_to_valueIjEEEEEEE10hipError_tPvRmT3_T4_T5_T6_T7_T9_mT8_P12ihipStream_tbDpT10_ENKUlT_T0_E_clISt17integral_constantIbLb0EES18_EEDaS13_S14_EUlS13_E_NS1_11comp_targetILNS1_3genE4ELNS1_11target_archE910ELNS1_3gpuE8ELNS1_3repE0EEENS1_30default_config_static_selectorELNS0_4arch9wavefront6targetE0EEEvT1_
    .private_segment_fixed_size: 0
    .sgpr_count:     0
    .sgpr_spill_count: 0
    .symbol:         _ZN7rocprim17ROCPRIM_400000_NS6detail17trampoline_kernelINS0_14default_configENS1_25partition_config_selectorILNS1_17partition_subalgoE6EjNS0_10empty_typeEbEEZZNS1_14partition_implILS5_6ELb0ES3_mN6thrust23THRUST_200600_302600_NS6detail15normal_iteratorINSA_10device_ptrIjEEEEPS6_SG_NS0_5tupleIJSF_S6_EEENSH_IJSG_SG_EEES6_PlJNSB_9not_fun_tINSB_14equal_to_valueIjEEEEEEE10hipError_tPvRmT3_T4_T5_T6_T7_T9_mT8_P12ihipStream_tbDpT10_ENKUlT_T0_E_clISt17integral_constantIbLb0EES18_EEDaS13_S14_EUlS13_E_NS1_11comp_targetILNS1_3genE4ELNS1_11target_archE910ELNS1_3gpuE8ELNS1_3repE0EEENS1_30default_config_static_selectorELNS0_4arch9wavefront6targetE0EEEvT1_.kd
    .uniform_work_group_size: 1
    .uses_dynamic_stack: false
    .vgpr_count:     0
    .vgpr_spill_count: 0
    .wavefront_size: 32
    .workgroup_processor_mode: 1
  - .args:
      - .offset:         0
        .size:           120
        .value_kind:     by_value
    .group_segment_fixed_size: 0
    .kernarg_segment_align: 8
    .kernarg_segment_size: 120
    .language:       OpenCL C
    .language_version:
      - 2
      - 0
    .max_flat_workgroup_size: 256
    .name:           _ZN7rocprim17ROCPRIM_400000_NS6detail17trampoline_kernelINS0_14default_configENS1_25partition_config_selectorILNS1_17partition_subalgoE6EjNS0_10empty_typeEbEEZZNS1_14partition_implILS5_6ELb0ES3_mN6thrust23THRUST_200600_302600_NS6detail15normal_iteratorINSA_10device_ptrIjEEEEPS6_SG_NS0_5tupleIJSF_S6_EEENSH_IJSG_SG_EEES6_PlJNSB_9not_fun_tINSB_14equal_to_valueIjEEEEEEE10hipError_tPvRmT3_T4_T5_T6_T7_T9_mT8_P12ihipStream_tbDpT10_ENKUlT_T0_E_clISt17integral_constantIbLb0EES18_EEDaS13_S14_EUlS13_E_NS1_11comp_targetILNS1_3genE3ELNS1_11target_archE908ELNS1_3gpuE7ELNS1_3repE0EEENS1_30default_config_static_selectorELNS0_4arch9wavefront6targetE0EEEvT1_
    .private_segment_fixed_size: 0
    .sgpr_count:     0
    .sgpr_spill_count: 0
    .symbol:         _ZN7rocprim17ROCPRIM_400000_NS6detail17trampoline_kernelINS0_14default_configENS1_25partition_config_selectorILNS1_17partition_subalgoE6EjNS0_10empty_typeEbEEZZNS1_14partition_implILS5_6ELb0ES3_mN6thrust23THRUST_200600_302600_NS6detail15normal_iteratorINSA_10device_ptrIjEEEEPS6_SG_NS0_5tupleIJSF_S6_EEENSH_IJSG_SG_EEES6_PlJNSB_9not_fun_tINSB_14equal_to_valueIjEEEEEEE10hipError_tPvRmT3_T4_T5_T6_T7_T9_mT8_P12ihipStream_tbDpT10_ENKUlT_T0_E_clISt17integral_constantIbLb0EES18_EEDaS13_S14_EUlS13_E_NS1_11comp_targetILNS1_3genE3ELNS1_11target_archE908ELNS1_3gpuE7ELNS1_3repE0EEENS1_30default_config_static_selectorELNS0_4arch9wavefront6targetE0EEEvT1_.kd
    .uniform_work_group_size: 1
    .uses_dynamic_stack: false
    .vgpr_count:     0
    .vgpr_spill_count: 0
    .wavefront_size: 32
    .workgroup_processor_mode: 1
  - .args:
      - .offset:         0
        .size:           120
        .value_kind:     by_value
    .group_segment_fixed_size: 0
    .kernarg_segment_align: 8
    .kernarg_segment_size: 120
    .language:       OpenCL C
    .language_version:
      - 2
      - 0
    .max_flat_workgroup_size: 192
    .name:           _ZN7rocprim17ROCPRIM_400000_NS6detail17trampoline_kernelINS0_14default_configENS1_25partition_config_selectorILNS1_17partition_subalgoE6EjNS0_10empty_typeEbEEZZNS1_14partition_implILS5_6ELb0ES3_mN6thrust23THRUST_200600_302600_NS6detail15normal_iteratorINSA_10device_ptrIjEEEEPS6_SG_NS0_5tupleIJSF_S6_EEENSH_IJSG_SG_EEES6_PlJNSB_9not_fun_tINSB_14equal_to_valueIjEEEEEEE10hipError_tPvRmT3_T4_T5_T6_T7_T9_mT8_P12ihipStream_tbDpT10_ENKUlT_T0_E_clISt17integral_constantIbLb0EES18_EEDaS13_S14_EUlS13_E_NS1_11comp_targetILNS1_3genE2ELNS1_11target_archE906ELNS1_3gpuE6ELNS1_3repE0EEENS1_30default_config_static_selectorELNS0_4arch9wavefront6targetE0EEEvT1_
    .private_segment_fixed_size: 0
    .sgpr_count:     0
    .sgpr_spill_count: 0
    .symbol:         _ZN7rocprim17ROCPRIM_400000_NS6detail17trampoline_kernelINS0_14default_configENS1_25partition_config_selectorILNS1_17partition_subalgoE6EjNS0_10empty_typeEbEEZZNS1_14partition_implILS5_6ELb0ES3_mN6thrust23THRUST_200600_302600_NS6detail15normal_iteratorINSA_10device_ptrIjEEEEPS6_SG_NS0_5tupleIJSF_S6_EEENSH_IJSG_SG_EEES6_PlJNSB_9not_fun_tINSB_14equal_to_valueIjEEEEEEE10hipError_tPvRmT3_T4_T5_T6_T7_T9_mT8_P12ihipStream_tbDpT10_ENKUlT_T0_E_clISt17integral_constantIbLb0EES18_EEDaS13_S14_EUlS13_E_NS1_11comp_targetILNS1_3genE2ELNS1_11target_archE906ELNS1_3gpuE6ELNS1_3repE0EEENS1_30default_config_static_selectorELNS0_4arch9wavefront6targetE0EEEvT1_.kd
    .uniform_work_group_size: 1
    .uses_dynamic_stack: false
    .vgpr_count:     0
    .vgpr_spill_count: 0
    .wavefront_size: 32
    .workgroup_processor_mode: 1
  - .args:
      - .offset:         0
        .size:           120
        .value_kind:     by_value
    .group_segment_fixed_size: 10768
    .kernarg_segment_align: 8
    .kernarg_segment_size: 120
    .language:       OpenCL C
    .language_version:
      - 2
      - 0
    .max_flat_workgroup_size: 384
    .name:           _ZN7rocprim17ROCPRIM_400000_NS6detail17trampoline_kernelINS0_14default_configENS1_25partition_config_selectorILNS1_17partition_subalgoE6EjNS0_10empty_typeEbEEZZNS1_14partition_implILS5_6ELb0ES3_mN6thrust23THRUST_200600_302600_NS6detail15normal_iteratorINSA_10device_ptrIjEEEEPS6_SG_NS0_5tupleIJSF_S6_EEENSH_IJSG_SG_EEES6_PlJNSB_9not_fun_tINSB_14equal_to_valueIjEEEEEEE10hipError_tPvRmT3_T4_T5_T6_T7_T9_mT8_P12ihipStream_tbDpT10_ENKUlT_T0_E_clISt17integral_constantIbLb0EES18_EEDaS13_S14_EUlS13_E_NS1_11comp_targetILNS1_3genE10ELNS1_11target_archE1200ELNS1_3gpuE4ELNS1_3repE0EEENS1_30default_config_static_selectorELNS0_4arch9wavefront6targetE0EEEvT1_
    .private_segment_fixed_size: 0
    .sgpr_count:     20
    .sgpr_spill_count: 0
    .symbol:         _ZN7rocprim17ROCPRIM_400000_NS6detail17trampoline_kernelINS0_14default_configENS1_25partition_config_selectorILNS1_17partition_subalgoE6EjNS0_10empty_typeEbEEZZNS1_14partition_implILS5_6ELb0ES3_mN6thrust23THRUST_200600_302600_NS6detail15normal_iteratorINSA_10device_ptrIjEEEEPS6_SG_NS0_5tupleIJSF_S6_EEENSH_IJSG_SG_EEES6_PlJNSB_9not_fun_tINSB_14equal_to_valueIjEEEEEEE10hipError_tPvRmT3_T4_T5_T6_T7_T9_mT8_P12ihipStream_tbDpT10_ENKUlT_T0_E_clISt17integral_constantIbLb0EES18_EEDaS13_S14_EUlS13_E_NS1_11comp_targetILNS1_3genE10ELNS1_11target_archE1200ELNS1_3gpuE4ELNS1_3repE0EEENS1_30default_config_static_selectorELNS0_4arch9wavefront6targetE0EEEvT1_.kd
    .uniform_work_group_size: 1
    .uses_dynamic_stack: false
    .vgpr_count:     49
    .vgpr_spill_count: 0
    .wavefront_size: 32
    .workgroup_processor_mode: 1
  - .args:
      - .offset:         0
        .size:           120
        .value_kind:     by_value
    .group_segment_fixed_size: 0
    .kernarg_segment_align: 8
    .kernarg_segment_size: 120
    .language:       OpenCL C
    .language_version:
      - 2
      - 0
    .max_flat_workgroup_size: 128
    .name:           _ZN7rocprim17ROCPRIM_400000_NS6detail17trampoline_kernelINS0_14default_configENS1_25partition_config_selectorILNS1_17partition_subalgoE6EjNS0_10empty_typeEbEEZZNS1_14partition_implILS5_6ELb0ES3_mN6thrust23THRUST_200600_302600_NS6detail15normal_iteratorINSA_10device_ptrIjEEEEPS6_SG_NS0_5tupleIJSF_S6_EEENSH_IJSG_SG_EEES6_PlJNSB_9not_fun_tINSB_14equal_to_valueIjEEEEEEE10hipError_tPvRmT3_T4_T5_T6_T7_T9_mT8_P12ihipStream_tbDpT10_ENKUlT_T0_E_clISt17integral_constantIbLb0EES18_EEDaS13_S14_EUlS13_E_NS1_11comp_targetILNS1_3genE9ELNS1_11target_archE1100ELNS1_3gpuE3ELNS1_3repE0EEENS1_30default_config_static_selectorELNS0_4arch9wavefront6targetE0EEEvT1_
    .private_segment_fixed_size: 0
    .sgpr_count:     0
    .sgpr_spill_count: 0
    .symbol:         _ZN7rocprim17ROCPRIM_400000_NS6detail17trampoline_kernelINS0_14default_configENS1_25partition_config_selectorILNS1_17partition_subalgoE6EjNS0_10empty_typeEbEEZZNS1_14partition_implILS5_6ELb0ES3_mN6thrust23THRUST_200600_302600_NS6detail15normal_iteratorINSA_10device_ptrIjEEEEPS6_SG_NS0_5tupleIJSF_S6_EEENSH_IJSG_SG_EEES6_PlJNSB_9not_fun_tINSB_14equal_to_valueIjEEEEEEE10hipError_tPvRmT3_T4_T5_T6_T7_T9_mT8_P12ihipStream_tbDpT10_ENKUlT_T0_E_clISt17integral_constantIbLb0EES18_EEDaS13_S14_EUlS13_E_NS1_11comp_targetILNS1_3genE9ELNS1_11target_archE1100ELNS1_3gpuE3ELNS1_3repE0EEENS1_30default_config_static_selectorELNS0_4arch9wavefront6targetE0EEEvT1_.kd
    .uniform_work_group_size: 1
    .uses_dynamic_stack: false
    .vgpr_count:     0
    .vgpr_spill_count: 0
    .wavefront_size: 32
    .workgroup_processor_mode: 1
  - .args:
      - .offset:         0
        .size:           120
        .value_kind:     by_value
    .group_segment_fixed_size: 0
    .kernarg_segment_align: 8
    .kernarg_segment_size: 120
    .language:       OpenCL C
    .language_version:
      - 2
      - 0
    .max_flat_workgroup_size: 512
    .name:           _ZN7rocprim17ROCPRIM_400000_NS6detail17trampoline_kernelINS0_14default_configENS1_25partition_config_selectorILNS1_17partition_subalgoE6EjNS0_10empty_typeEbEEZZNS1_14partition_implILS5_6ELb0ES3_mN6thrust23THRUST_200600_302600_NS6detail15normal_iteratorINSA_10device_ptrIjEEEEPS6_SG_NS0_5tupleIJSF_S6_EEENSH_IJSG_SG_EEES6_PlJNSB_9not_fun_tINSB_14equal_to_valueIjEEEEEEE10hipError_tPvRmT3_T4_T5_T6_T7_T9_mT8_P12ihipStream_tbDpT10_ENKUlT_T0_E_clISt17integral_constantIbLb0EES18_EEDaS13_S14_EUlS13_E_NS1_11comp_targetILNS1_3genE8ELNS1_11target_archE1030ELNS1_3gpuE2ELNS1_3repE0EEENS1_30default_config_static_selectorELNS0_4arch9wavefront6targetE0EEEvT1_
    .private_segment_fixed_size: 0
    .sgpr_count:     0
    .sgpr_spill_count: 0
    .symbol:         _ZN7rocprim17ROCPRIM_400000_NS6detail17trampoline_kernelINS0_14default_configENS1_25partition_config_selectorILNS1_17partition_subalgoE6EjNS0_10empty_typeEbEEZZNS1_14partition_implILS5_6ELb0ES3_mN6thrust23THRUST_200600_302600_NS6detail15normal_iteratorINSA_10device_ptrIjEEEEPS6_SG_NS0_5tupleIJSF_S6_EEENSH_IJSG_SG_EEES6_PlJNSB_9not_fun_tINSB_14equal_to_valueIjEEEEEEE10hipError_tPvRmT3_T4_T5_T6_T7_T9_mT8_P12ihipStream_tbDpT10_ENKUlT_T0_E_clISt17integral_constantIbLb0EES18_EEDaS13_S14_EUlS13_E_NS1_11comp_targetILNS1_3genE8ELNS1_11target_archE1030ELNS1_3gpuE2ELNS1_3repE0EEENS1_30default_config_static_selectorELNS0_4arch9wavefront6targetE0EEEvT1_.kd
    .uniform_work_group_size: 1
    .uses_dynamic_stack: false
    .vgpr_count:     0
    .vgpr_spill_count: 0
    .wavefront_size: 32
    .workgroup_processor_mode: 1
  - .args:
      - .offset:         0
        .size:           128
        .value_kind:     by_value
    .group_segment_fixed_size: 0
    .kernarg_segment_align: 8
    .kernarg_segment_size: 128
    .language:       OpenCL C
    .language_version:
      - 2
      - 0
    .max_flat_workgroup_size: 256
    .name:           _ZN7rocprim17ROCPRIM_400000_NS6detail17trampoline_kernelINS0_14default_configENS1_25partition_config_selectorILNS1_17partition_subalgoE6EjNS0_10empty_typeEbEEZZNS1_14partition_implILS5_6ELb0ES3_mN6thrust23THRUST_200600_302600_NS6detail15normal_iteratorINSA_10device_ptrIjEEEEPS6_SG_NS0_5tupleIJSF_S6_EEENSH_IJSG_SG_EEES6_PlJNSB_9not_fun_tINSB_14equal_to_valueIjEEEEEEE10hipError_tPvRmT3_T4_T5_T6_T7_T9_mT8_P12ihipStream_tbDpT10_ENKUlT_T0_E_clISt17integral_constantIbLb1EES18_EEDaS13_S14_EUlS13_E_NS1_11comp_targetILNS1_3genE0ELNS1_11target_archE4294967295ELNS1_3gpuE0ELNS1_3repE0EEENS1_30default_config_static_selectorELNS0_4arch9wavefront6targetE0EEEvT1_
    .private_segment_fixed_size: 0
    .sgpr_count:     0
    .sgpr_spill_count: 0
    .symbol:         _ZN7rocprim17ROCPRIM_400000_NS6detail17trampoline_kernelINS0_14default_configENS1_25partition_config_selectorILNS1_17partition_subalgoE6EjNS0_10empty_typeEbEEZZNS1_14partition_implILS5_6ELb0ES3_mN6thrust23THRUST_200600_302600_NS6detail15normal_iteratorINSA_10device_ptrIjEEEEPS6_SG_NS0_5tupleIJSF_S6_EEENSH_IJSG_SG_EEES6_PlJNSB_9not_fun_tINSB_14equal_to_valueIjEEEEEEE10hipError_tPvRmT3_T4_T5_T6_T7_T9_mT8_P12ihipStream_tbDpT10_ENKUlT_T0_E_clISt17integral_constantIbLb1EES18_EEDaS13_S14_EUlS13_E_NS1_11comp_targetILNS1_3genE0ELNS1_11target_archE4294967295ELNS1_3gpuE0ELNS1_3repE0EEENS1_30default_config_static_selectorELNS0_4arch9wavefront6targetE0EEEvT1_.kd
    .uniform_work_group_size: 1
    .uses_dynamic_stack: false
    .vgpr_count:     0
    .vgpr_spill_count: 0
    .wavefront_size: 32
    .workgroup_processor_mode: 1
  - .args:
      - .offset:         0
        .size:           128
        .value_kind:     by_value
    .group_segment_fixed_size: 0
    .kernarg_segment_align: 8
    .kernarg_segment_size: 128
    .language:       OpenCL C
    .language_version:
      - 2
      - 0
    .max_flat_workgroup_size: 512
    .name:           _ZN7rocprim17ROCPRIM_400000_NS6detail17trampoline_kernelINS0_14default_configENS1_25partition_config_selectorILNS1_17partition_subalgoE6EjNS0_10empty_typeEbEEZZNS1_14partition_implILS5_6ELb0ES3_mN6thrust23THRUST_200600_302600_NS6detail15normal_iteratorINSA_10device_ptrIjEEEEPS6_SG_NS0_5tupleIJSF_S6_EEENSH_IJSG_SG_EEES6_PlJNSB_9not_fun_tINSB_14equal_to_valueIjEEEEEEE10hipError_tPvRmT3_T4_T5_T6_T7_T9_mT8_P12ihipStream_tbDpT10_ENKUlT_T0_E_clISt17integral_constantIbLb1EES18_EEDaS13_S14_EUlS13_E_NS1_11comp_targetILNS1_3genE5ELNS1_11target_archE942ELNS1_3gpuE9ELNS1_3repE0EEENS1_30default_config_static_selectorELNS0_4arch9wavefront6targetE0EEEvT1_
    .private_segment_fixed_size: 0
    .sgpr_count:     0
    .sgpr_spill_count: 0
    .symbol:         _ZN7rocprim17ROCPRIM_400000_NS6detail17trampoline_kernelINS0_14default_configENS1_25partition_config_selectorILNS1_17partition_subalgoE6EjNS0_10empty_typeEbEEZZNS1_14partition_implILS5_6ELb0ES3_mN6thrust23THRUST_200600_302600_NS6detail15normal_iteratorINSA_10device_ptrIjEEEEPS6_SG_NS0_5tupleIJSF_S6_EEENSH_IJSG_SG_EEES6_PlJNSB_9not_fun_tINSB_14equal_to_valueIjEEEEEEE10hipError_tPvRmT3_T4_T5_T6_T7_T9_mT8_P12ihipStream_tbDpT10_ENKUlT_T0_E_clISt17integral_constantIbLb1EES18_EEDaS13_S14_EUlS13_E_NS1_11comp_targetILNS1_3genE5ELNS1_11target_archE942ELNS1_3gpuE9ELNS1_3repE0EEENS1_30default_config_static_selectorELNS0_4arch9wavefront6targetE0EEEvT1_.kd
    .uniform_work_group_size: 1
    .uses_dynamic_stack: false
    .vgpr_count:     0
    .vgpr_spill_count: 0
    .wavefront_size: 32
    .workgroup_processor_mode: 1
  - .args:
      - .offset:         0
        .size:           128
        .value_kind:     by_value
    .group_segment_fixed_size: 0
    .kernarg_segment_align: 8
    .kernarg_segment_size: 128
    .language:       OpenCL C
    .language_version:
      - 2
      - 0
    .max_flat_workgroup_size: 512
    .name:           _ZN7rocprim17ROCPRIM_400000_NS6detail17trampoline_kernelINS0_14default_configENS1_25partition_config_selectorILNS1_17partition_subalgoE6EjNS0_10empty_typeEbEEZZNS1_14partition_implILS5_6ELb0ES3_mN6thrust23THRUST_200600_302600_NS6detail15normal_iteratorINSA_10device_ptrIjEEEEPS6_SG_NS0_5tupleIJSF_S6_EEENSH_IJSG_SG_EEES6_PlJNSB_9not_fun_tINSB_14equal_to_valueIjEEEEEEE10hipError_tPvRmT3_T4_T5_T6_T7_T9_mT8_P12ihipStream_tbDpT10_ENKUlT_T0_E_clISt17integral_constantIbLb1EES18_EEDaS13_S14_EUlS13_E_NS1_11comp_targetILNS1_3genE4ELNS1_11target_archE910ELNS1_3gpuE8ELNS1_3repE0EEENS1_30default_config_static_selectorELNS0_4arch9wavefront6targetE0EEEvT1_
    .private_segment_fixed_size: 0
    .sgpr_count:     0
    .sgpr_spill_count: 0
    .symbol:         _ZN7rocprim17ROCPRIM_400000_NS6detail17trampoline_kernelINS0_14default_configENS1_25partition_config_selectorILNS1_17partition_subalgoE6EjNS0_10empty_typeEbEEZZNS1_14partition_implILS5_6ELb0ES3_mN6thrust23THRUST_200600_302600_NS6detail15normal_iteratorINSA_10device_ptrIjEEEEPS6_SG_NS0_5tupleIJSF_S6_EEENSH_IJSG_SG_EEES6_PlJNSB_9not_fun_tINSB_14equal_to_valueIjEEEEEEE10hipError_tPvRmT3_T4_T5_T6_T7_T9_mT8_P12ihipStream_tbDpT10_ENKUlT_T0_E_clISt17integral_constantIbLb1EES18_EEDaS13_S14_EUlS13_E_NS1_11comp_targetILNS1_3genE4ELNS1_11target_archE910ELNS1_3gpuE8ELNS1_3repE0EEENS1_30default_config_static_selectorELNS0_4arch9wavefront6targetE0EEEvT1_.kd
    .uniform_work_group_size: 1
    .uses_dynamic_stack: false
    .vgpr_count:     0
    .vgpr_spill_count: 0
    .wavefront_size: 32
    .workgroup_processor_mode: 1
  - .args:
      - .offset:         0
        .size:           128
        .value_kind:     by_value
    .group_segment_fixed_size: 0
    .kernarg_segment_align: 8
    .kernarg_segment_size: 128
    .language:       OpenCL C
    .language_version:
      - 2
      - 0
    .max_flat_workgroup_size: 256
    .name:           _ZN7rocprim17ROCPRIM_400000_NS6detail17trampoline_kernelINS0_14default_configENS1_25partition_config_selectorILNS1_17partition_subalgoE6EjNS0_10empty_typeEbEEZZNS1_14partition_implILS5_6ELb0ES3_mN6thrust23THRUST_200600_302600_NS6detail15normal_iteratorINSA_10device_ptrIjEEEEPS6_SG_NS0_5tupleIJSF_S6_EEENSH_IJSG_SG_EEES6_PlJNSB_9not_fun_tINSB_14equal_to_valueIjEEEEEEE10hipError_tPvRmT3_T4_T5_T6_T7_T9_mT8_P12ihipStream_tbDpT10_ENKUlT_T0_E_clISt17integral_constantIbLb1EES18_EEDaS13_S14_EUlS13_E_NS1_11comp_targetILNS1_3genE3ELNS1_11target_archE908ELNS1_3gpuE7ELNS1_3repE0EEENS1_30default_config_static_selectorELNS0_4arch9wavefront6targetE0EEEvT1_
    .private_segment_fixed_size: 0
    .sgpr_count:     0
    .sgpr_spill_count: 0
    .symbol:         _ZN7rocprim17ROCPRIM_400000_NS6detail17trampoline_kernelINS0_14default_configENS1_25partition_config_selectorILNS1_17partition_subalgoE6EjNS0_10empty_typeEbEEZZNS1_14partition_implILS5_6ELb0ES3_mN6thrust23THRUST_200600_302600_NS6detail15normal_iteratorINSA_10device_ptrIjEEEEPS6_SG_NS0_5tupleIJSF_S6_EEENSH_IJSG_SG_EEES6_PlJNSB_9not_fun_tINSB_14equal_to_valueIjEEEEEEE10hipError_tPvRmT3_T4_T5_T6_T7_T9_mT8_P12ihipStream_tbDpT10_ENKUlT_T0_E_clISt17integral_constantIbLb1EES18_EEDaS13_S14_EUlS13_E_NS1_11comp_targetILNS1_3genE3ELNS1_11target_archE908ELNS1_3gpuE7ELNS1_3repE0EEENS1_30default_config_static_selectorELNS0_4arch9wavefront6targetE0EEEvT1_.kd
    .uniform_work_group_size: 1
    .uses_dynamic_stack: false
    .vgpr_count:     0
    .vgpr_spill_count: 0
    .wavefront_size: 32
    .workgroup_processor_mode: 1
  - .args:
      - .offset:         0
        .size:           128
        .value_kind:     by_value
    .group_segment_fixed_size: 0
    .kernarg_segment_align: 8
    .kernarg_segment_size: 128
    .language:       OpenCL C
    .language_version:
      - 2
      - 0
    .max_flat_workgroup_size: 192
    .name:           _ZN7rocprim17ROCPRIM_400000_NS6detail17trampoline_kernelINS0_14default_configENS1_25partition_config_selectorILNS1_17partition_subalgoE6EjNS0_10empty_typeEbEEZZNS1_14partition_implILS5_6ELb0ES3_mN6thrust23THRUST_200600_302600_NS6detail15normal_iteratorINSA_10device_ptrIjEEEEPS6_SG_NS0_5tupleIJSF_S6_EEENSH_IJSG_SG_EEES6_PlJNSB_9not_fun_tINSB_14equal_to_valueIjEEEEEEE10hipError_tPvRmT3_T4_T5_T6_T7_T9_mT8_P12ihipStream_tbDpT10_ENKUlT_T0_E_clISt17integral_constantIbLb1EES18_EEDaS13_S14_EUlS13_E_NS1_11comp_targetILNS1_3genE2ELNS1_11target_archE906ELNS1_3gpuE6ELNS1_3repE0EEENS1_30default_config_static_selectorELNS0_4arch9wavefront6targetE0EEEvT1_
    .private_segment_fixed_size: 0
    .sgpr_count:     0
    .sgpr_spill_count: 0
    .symbol:         _ZN7rocprim17ROCPRIM_400000_NS6detail17trampoline_kernelINS0_14default_configENS1_25partition_config_selectorILNS1_17partition_subalgoE6EjNS0_10empty_typeEbEEZZNS1_14partition_implILS5_6ELb0ES3_mN6thrust23THRUST_200600_302600_NS6detail15normal_iteratorINSA_10device_ptrIjEEEEPS6_SG_NS0_5tupleIJSF_S6_EEENSH_IJSG_SG_EEES6_PlJNSB_9not_fun_tINSB_14equal_to_valueIjEEEEEEE10hipError_tPvRmT3_T4_T5_T6_T7_T9_mT8_P12ihipStream_tbDpT10_ENKUlT_T0_E_clISt17integral_constantIbLb1EES18_EEDaS13_S14_EUlS13_E_NS1_11comp_targetILNS1_3genE2ELNS1_11target_archE906ELNS1_3gpuE6ELNS1_3repE0EEENS1_30default_config_static_selectorELNS0_4arch9wavefront6targetE0EEEvT1_.kd
    .uniform_work_group_size: 1
    .uses_dynamic_stack: false
    .vgpr_count:     0
    .vgpr_spill_count: 0
    .wavefront_size: 32
    .workgroup_processor_mode: 1
  - .args:
      - .offset:         0
        .size:           128
        .value_kind:     by_value
    .group_segment_fixed_size: 0
    .kernarg_segment_align: 8
    .kernarg_segment_size: 128
    .language:       OpenCL C
    .language_version:
      - 2
      - 0
    .max_flat_workgroup_size: 384
    .name:           _ZN7rocprim17ROCPRIM_400000_NS6detail17trampoline_kernelINS0_14default_configENS1_25partition_config_selectorILNS1_17partition_subalgoE6EjNS0_10empty_typeEbEEZZNS1_14partition_implILS5_6ELb0ES3_mN6thrust23THRUST_200600_302600_NS6detail15normal_iteratorINSA_10device_ptrIjEEEEPS6_SG_NS0_5tupleIJSF_S6_EEENSH_IJSG_SG_EEES6_PlJNSB_9not_fun_tINSB_14equal_to_valueIjEEEEEEE10hipError_tPvRmT3_T4_T5_T6_T7_T9_mT8_P12ihipStream_tbDpT10_ENKUlT_T0_E_clISt17integral_constantIbLb1EES18_EEDaS13_S14_EUlS13_E_NS1_11comp_targetILNS1_3genE10ELNS1_11target_archE1200ELNS1_3gpuE4ELNS1_3repE0EEENS1_30default_config_static_selectorELNS0_4arch9wavefront6targetE0EEEvT1_
    .private_segment_fixed_size: 0
    .sgpr_count:     0
    .sgpr_spill_count: 0
    .symbol:         _ZN7rocprim17ROCPRIM_400000_NS6detail17trampoline_kernelINS0_14default_configENS1_25partition_config_selectorILNS1_17partition_subalgoE6EjNS0_10empty_typeEbEEZZNS1_14partition_implILS5_6ELb0ES3_mN6thrust23THRUST_200600_302600_NS6detail15normal_iteratorINSA_10device_ptrIjEEEEPS6_SG_NS0_5tupleIJSF_S6_EEENSH_IJSG_SG_EEES6_PlJNSB_9not_fun_tINSB_14equal_to_valueIjEEEEEEE10hipError_tPvRmT3_T4_T5_T6_T7_T9_mT8_P12ihipStream_tbDpT10_ENKUlT_T0_E_clISt17integral_constantIbLb1EES18_EEDaS13_S14_EUlS13_E_NS1_11comp_targetILNS1_3genE10ELNS1_11target_archE1200ELNS1_3gpuE4ELNS1_3repE0EEENS1_30default_config_static_selectorELNS0_4arch9wavefront6targetE0EEEvT1_.kd
    .uniform_work_group_size: 1
    .uses_dynamic_stack: false
    .vgpr_count:     0
    .vgpr_spill_count: 0
    .wavefront_size: 32
    .workgroup_processor_mode: 1
  - .args:
      - .offset:         0
        .size:           128
        .value_kind:     by_value
    .group_segment_fixed_size: 0
    .kernarg_segment_align: 8
    .kernarg_segment_size: 128
    .language:       OpenCL C
    .language_version:
      - 2
      - 0
    .max_flat_workgroup_size: 128
    .name:           _ZN7rocprim17ROCPRIM_400000_NS6detail17trampoline_kernelINS0_14default_configENS1_25partition_config_selectorILNS1_17partition_subalgoE6EjNS0_10empty_typeEbEEZZNS1_14partition_implILS5_6ELb0ES3_mN6thrust23THRUST_200600_302600_NS6detail15normal_iteratorINSA_10device_ptrIjEEEEPS6_SG_NS0_5tupleIJSF_S6_EEENSH_IJSG_SG_EEES6_PlJNSB_9not_fun_tINSB_14equal_to_valueIjEEEEEEE10hipError_tPvRmT3_T4_T5_T6_T7_T9_mT8_P12ihipStream_tbDpT10_ENKUlT_T0_E_clISt17integral_constantIbLb1EES18_EEDaS13_S14_EUlS13_E_NS1_11comp_targetILNS1_3genE9ELNS1_11target_archE1100ELNS1_3gpuE3ELNS1_3repE0EEENS1_30default_config_static_selectorELNS0_4arch9wavefront6targetE0EEEvT1_
    .private_segment_fixed_size: 0
    .sgpr_count:     0
    .sgpr_spill_count: 0
    .symbol:         _ZN7rocprim17ROCPRIM_400000_NS6detail17trampoline_kernelINS0_14default_configENS1_25partition_config_selectorILNS1_17partition_subalgoE6EjNS0_10empty_typeEbEEZZNS1_14partition_implILS5_6ELb0ES3_mN6thrust23THRUST_200600_302600_NS6detail15normal_iteratorINSA_10device_ptrIjEEEEPS6_SG_NS0_5tupleIJSF_S6_EEENSH_IJSG_SG_EEES6_PlJNSB_9not_fun_tINSB_14equal_to_valueIjEEEEEEE10hipError_tPvRmT3_T4_T5_T6_T7_T9_mT8_P12ihipStream_tbDpT10_ENKUlT_T0_E_clISt17integral_constantIbLb1EES18_EEDaS13_S14_EUlS13_E_NS1_11comp_targetILNS1_3genE9ELNS1_11target_archE1100ELNS1_3gpuE3ELNS1_3repE0EEENS1_30default_config_static_selectorELNS0_4arch9wavefront6targetE0EEEvT1_.kd
    .uniform_work_group_size: 1
    .uses_dynamic_stack: false
    .vgpr_count:     0
    .vgpr_spill_count: 0
    .wavefront_size: 32
    .workgroup_processor_mode: 1
  - .args:
      - .offset:         0
        .size:           128
        .value_kind:     by_value
    .group_segment_fixed_size: 0
    .kernarg_segment_align: 8
    .kernarg_segment_size: 128
    .language:       OpenCL C
    .language_version:
      - 2
      - 0
    .max_flat_workgroup_size: 512
    .name:           _ZN7rocprim17ROCPRIM_400000_NS6detail17trampoline_kernelINS0_14default_configENS1_25partition_config_selectorILNS1_17partition_subalgoE6EjNS0_10empty_typeEbEEZZNS1_14partition_implILS5_6ELb0ES3_mN6thrust23THRUST_200600_302600_NS6detail15normal_iteratorINSA_10device_ptrIjEEEEPS6_SG_NS0_5tupleIJSF_S6_EEENSH_IJSG_SG_EEES6_PlJNSB_9not_fun_tINSB_14equal_to_valueIjEEEEEEE10hipError_tPvRmT3_T4_T5_T6_T7_T9_mT8_P12ihipStream_tbDpT10_ENKUlT_T0_E_clISt17integral_constantIbLb1EES18_EEDaS13_S14_EUlS13_E_NS1_11comp_targetILNS1_3genE8ELNS1_11target_archE1030ELNS1_3gpuE2ELNS1_3repE0EEENS1_30default_config_static_selectorELNS0_4arch9wavefront6targetE0EEEvT1_
    .private_segment_fixed_size: 0
    .sgpr_count:     0
    .sgpr_spill_count: 0
    .symbol:         _ZN7rocprim17ROCPRIM_400000_NS6detail17trampoline_kernelINS0_14default_configENS1_25partition_config_selectorILNS1_17partition_subalgoE6EjNS0_10empty_typeEbEEZZNS1_14partition_implILS5_6ELb0ES3_mN6thrust23THRUST_200600_302600_NS6detail15normal_iteratorINSA_10device_ptrIjEEEEPS6_SG_NS0_5tupleIJSF_S6_EEENSH_IJSG_SG_EEES6_PlJNSB_9not_fun_tINSB_14equal_to_valueIjEEEEEEE10hipError_tPvRmT3_T4_T5_T6_T7_T9_mT8_P12ihipStream_tbDpT10_ENKUlT_T0_E_clISt17integral_constantIbLb1EES18_EEDaS13_S14_EUlS13_E_NS1_11comp_targetILNS1_3genE8ELNS1_11target_archE1030ELNS1_3gpuE2ELNS1_3repE0EEENS1_30default_config_static_selectorELNS0_4arch9wavefront6targetE0EEEvT1_.kd
    .uniform_work_group_size: 1
    .uses_dynamic_stack: false
    .vgpr_count:     0
    .vgpr_spill_count: 0
    .wavefront_size: 32
    .workgroup_processor_mode: 1
  - .args:
      - .offset:         0
        .size:           120
        .value_kind:     by_value
    .group_segment_fixed_size: 0
    .kernarg_segment_align: 8
    .kernarg_segment_size: 120
    .language:       OpenCL C
    .language_version:
      - 2
      - 0
    .max_flat_workgroup_size: 256
    .name:           _ZN7rocprim17ROCPRIM_400000_NS6detail17trampoline_kernelINS0_14default_configENS1_25partition_config_selectorILNS1_17partition_subalgoE6EjNS0_10empty_typeEbEEZZNS1_14partition_implILS5_6ELb0ES3_mN6thrust23THRUST_200600_302600_NS6detail15normal_iteratorINSA_10device_ptrIjEEEEPS6_SG_NS0_5tupleIJSF_S6_EEENSH_IJSG_SG_EEES6_PlJNSB_9not_fun_tINSB_14equal_to_valueIjEEEEEEE10hipError_tPvRmT3_T4_T5_T6_T7_T9_mT8_P12ihipStream_tbDpT10_ENKUlT_T0_E_clISt17integral_constantIbLb1EES17_IbLb0EEEEDaS13_S14_EUlS13_E_NS1_11comp_targetILNS1_3genE0ELNS1_11target_archE4294967295ELNS1_3gpuE0ELNS1_3repE0EEENS1_30default_config_static_selectorELNS0_4arch9wavefront6targetE0EEEvT1_
    .private_segment_fixed_size: 0
    .sgpr_count:     0
    .sgpr_spill_count: 0
    .symbol:         _ZN7rocprim17ROCPRIM_400000_NS6detail17trampoline_kernelINS0_14default_configENS1_25partition_config_selectorILNS1_17partition_subalgoE6EjNS0_10empty_typeEbEEZZNS1_14partition_implILS5_6ELb0ES3_mN6thrust23THRUST_200600_302600_NS6detail15normal_iteratorINSA_10device_ptrIjEEEEPS6_SG_NS0_5tupleIJSF_S6_EEENSH_IJSG_SG_EEES6_PlJNSB_9not_fun_tINSB_14equal_to_valueIjEEEEEEE10hipError_tPvRmT3_T4_T5_T6_T7_T9_mT8_P12ihipStream_tbDpT10_ENKUlT_T0_E_clISt17integral_constantIbLb1EES17_IbLb0EEEEDaS13_S14_EUlS13_E_NS1_11comp_targetILNS1_3genE0ELNS1_11target_archE4294967295ELNS1_3gpuE0ELNS1_3repE0EEENS1_30default_config_static_selectorELNS0_4arch9wavefront6targetE0EEEvT1_.kd
    .uniform_work_group_size: 1
    .uses_dynamic_stack: false
    .vgpr_count:     0
    .vgpr_spill_count: 0
    .wavefront_size: 32
    .workgroup_processor_mode: 1
  - .args:
      - .offset:         0
        .size:           120
        .value_kind:     by_value
    .group_segment_fixed_size: 0
    .kernarg_segment_align: 8
    .kernarg_segment_size: 120
    .language:       OpenCL C
    .language_version:
      - 2
      - 0
    .max_flat_workgroup_size: 512
    .name:           _ZN7rocprim17ROCPRIM_400000_NS6detail17trampoline_kernelINS0_14default_configENS1_25partition_config_selectorILNS1_17partition_subalgoE6EjNS0_10empty_typeEbEEZZNS1_14partition_implILS5_6ELb0ES3_mN6thrust23THRUST_200600_302600_NS6detail15normal_iteratorINSA_10device_ptrIjEEEEPS6_SG_NS0_5tupleIJSF_S6_EEENSH_IJSG_SG_EEES6_PlJNSB_9not_fun_tINSB_14equal_to_valueIjEEEEEEE10hipError_tPvRmT3_T4_T5_T6_T7_T9_mT8_P12ihipStream_tbDpT10_ENKUlT_T0_E_clISt17integral_constantIbLb1EES17_IbLb0EEEEDaS13_S14_EUlS13_E_NS1_11comp_targetILNS1_3genE5ELNS1_11target_archE942ELNS1_3gpuE9ELNS1_3repE0EEENS1_30default_config_static_selectorELNS0_4arch9wavefront6targetE0EEEvT1_
    .private_segment_fixed_size: 0
    .sgpr_count:     0
    .sgpr_spill_count: 0
    .symbol:         _ZN7rocprim17ROCPRIM_400000_NS6detail17trampoline_kernelINS0_14default_configENS1_25partition_config_selectorILNS1_17partition_subalgoE6EjNS0_10empty_typeEbEEZZNS1_14partition_implILS5_6ELb0ES3_mN6thrust23THRUST_200600_302600_NS6detail15normal_iteratorINSA_10device_ptrIjEEEEPS6_SG_NS0_5tupleIJSF_S6_EEENSH_IJSG_SG_EEES6_PlJNSB_9not_fun_tINSB_14equal_to_valueIjEEEEEEE10hipError_tPvRmT3_T4_T5_T6_T7_T9_mT8_P12ihipStream_tbDpT10_ENKUlT_T0_E_clISt17integral_constantIbLb1EES17_IbLb0EEEEDaS13_S14_EUlS13_E_NS1_11comp_targetILNS1_3genE5ELNS1_11target_archE942ELNS1_3gpuE9ELNS1_3repE0EEENS1_30default_config_static_selectorELNS0_4arch9wavefront6targetE0EEEvT1_.kd
    .uniform_work_group_size: 1
    .uses_dynamic_stack: false
    .vgpr_count:     0
    .vgpr_spill_count: 0
    .wavefront_size: 32
    .workgroup_processor_mode: 1
  - .args:
      - .offset:         0
        .size:           120
        .value_kind:     by_value
    .group_segment_fixed_size: 0
    .kernarg_segment_align: 8
    .kernarg_segment_size: 120
    .language:       OpenCL C
    .language_version:
      - 2
      - 0
    .max_flat_workgroup_size: 512
    .name:           _ZN7rocprim17ROCPRIM_400000_NS6detail17trampoline_kernelINS0_14default_configENS1_25partition_config_selectorILNS1_17partition_subalgoE6EjNS0_10empty_typeEbEEZZNS1_14partition_implILS5_6ELb0ES3_mN6thrust23THRUST_200600_302600_NS6detail15normal_iteratorINSA_10device_ptrIjEEEEPS6_SG_NS0_5tupleIJSF_S6_EEENSH_IJSG_SG_EEES6_PlJNSB_9not_fun_tINSB_14equal_to_valueIjEEEEEEE10hipError_tPvRmT3_T4_T5_T6_T7_T9_mT8_P12ihipStream_tbDpT10_ENKUlT_T0_E_clISt17integral_constantIbLb1EES17_IbLb0EEEEDaS13_S14_EUlS13_E_NS1_11comp_targetILNS1_3genE4ELNS1_11target_archE910ELNS1_3gpuE8ELNS1_3repE0EEENS1_30default_config_static_selectorELNS0_4arch9wavefront6targetE0EEEvT1_
    .private_segment_fixed_size: 0
    .sgpr_count:     0
    .sgpr_spill_count: 0
    .symbol:         _ZN7rocprim17ROCPRIM_400000_NS6detail17trampoline_kernelINS0_14default_configENS1_25partition_config_selectorILNS1_17partition_subalgoE6EjNS0_10empty_typeEbEEZZNS1_14partition_implILS5_6ELb0ES3_mN6thrust23THRUST_200600_302600_NS6detail15normal_iteratorINSA_10device_ptrIjEEEEPS6_SG_NS0_5tupleIJSF_S6_EEENSH_IJSG_SG_EEES6_PlJNSB_9not_fun_tINSB_14equal_to_valueIjEEEEEEE10hipError_tPvRmT3_T4_T5_T6_T7_T9_mT8_P12ihipStream_tbDpT10_ENKUlT_T0_E_clISt17integral_constantIbLb1EES17_IbLb0EEEEDaS13_S14_EUlS13_E_NS1_11comp_targetILNS1_3genE4ELNS1_11target_archE910ELNS1_3gpuE8ELNS1_3repE0EEENS1_30default_config_static_selectorELNS0_4arch9wavefront6targetE0EEEvT1_.kd
    .uniform_work_group_size: 1
    .uses_dynamic_stack: false
    .vgpr_count:     0
    .vgpr_spill_count: 0
    .wavefront_size: 32
    .workgroup_processor_mode: 1
  - .args:
      - .offset:         0
        .size:           120
        .value_kind:     by_value
    .group_segment_fixed_size: 0
    .kernarg_segment_align: 8
    .kernarg_segment_size: 120
    .language:       OpenCL C
    .language_version:
      - 2
      - 0
    .max_flat_workgroup_size: 256
    .name:           _ZN7rocprim17ROCPRIM_400000_NS6detail17trampoline_kernelINS0_14default_configENS1_25partition_config_selectorILNS1_17partition_subalgoE6EjNS0_10empty_typeEbEEZZNS1_14partition_implILS5_6ELb0ES3_mN6thrust23THRUST_200600_302600_NS6detail15normal_iteratorINSA_10device_ptrIjEEEEPS6_SG_NS0_5tupleIJSF_S6_EEENSH_IJSG_SG_EEES6_PlJNSB_9not_fun_tINSB_14equal_to_valueIjEEEEEEE10hipError_tPvRmT3_T4_T5_T6_T7_T9_mT8_P12ihipStream_tbDpT10_ENKUlT_T0_E_clISt17integral_constantIbLb1EES17_IbLb0EEEEDaS13_S14_EUlS13_E_NS1_11comp_targetILNS1_3genE3ELNS1_11target_archE908ELNS1_3gpuE7ELNS1_3repE0EEENS1_30default_config_static_selectorELNS0_4arch9wavefront6targetE0EEEvT1_
    .private_segment_fixed_size: 0
    .sgpr_count:     0
    .sgpr_spill_count: 0
    .symbol:         _ZN7rocprim17ROCPRIM_400000_NS6detail17trampoline_kernelINS0_14default_configENS1_25partition_config_selectorILNS1_17partition_subalgoE6EjNS0_10empty_typeEbEEZZNS1_14partition_implILS5_6ELb0ES3_mN6thrust23THRUST_200600_302600_NS6detail15normal_iteratorINSA_10device_ptrIjEEEEPS6_SG_NS0_5tupleIJSF_S6_EEENSH_IJSG_SG_EEES6_PlJNSB_9not_fun_tINSB_14equal_to_valueIjEEEEEEE10hipError_tPvRmT3_T4_T5_T6_T7_T9_mT8_P12ihipStream_tbDpT10_ENKUlT_T0_E_clISt17integral_constantIbLb1EES17_IbLb0EEEEDaS13_S14_EUlS13_E_NS1_11comp_targetILNS1_3genE3ELNS1_11target_archE908ELNS1_3gpuE7ELNS1_3repE0EEENS1_30default_config_static_selectorELNS0_4arch9wavefront6targetE0EEEvT1_.kd
    .uniform_work_group_size: 1
    .uses_dynamic_stack: false
    .vgpr_count:     0
    .vgpr_spill_count: 0
    .wavefront_size: 32
    .workgroup_processor_mode: 1
  - .args:
      - .offset:         0
        .size:           120
        .value_kind:     by_value
    .group_segment_fixed_size: 0
    .kernarg_segment_align: 8
    .kernarg_segment_size: 120
    .language:       OpenCL C
    .language_version:
      - 2
      - 0
    .max_flat_workgroup_size: 192
    .name:           _ZN7rocprim17ROCPRIM_400000_NS6detail17trampoline_kernelINS0_14default_configENS1_25partition_config_selectorILNS1_17partition_subalgoE6EjNS0_10empty_typeEbEEZZNS1_14partition_implILS5_6ELb0ES3_mN6thrust23THRUST_200600_302600_NS6detail15normal_iteratorINSA_10device_ptrIjEEEEPS6_SG_NS0_5tupleIJSF_S6_EEENSH_IJSG_SG_EEES6_PlJNSB_9not_fun_tINSB_14equal_to_valueIjEEEEEEE10hipError_tPvRmT3_T4_T5_T6_T7_T9_mT8_P12ihipStream_tbDpT10_ENKUlT_T0_E_clISt17integral_constantIbLb1EES17_IbLb0EEEEDaS13_S14_EUlS13_E_NS1_11comp_targetILNS1_3genE2ELNS1_11target_archE906ELNS1_3gpuE6ELNS1_3repE0EEENS1_30default_config_static_selectorELNS0_4arch9wavefront6targetE0EEEvT1_
    .private_segment_fixed_size: 0
    .sgpr_count:     0
    .sgpr_spill_count: 0
    .symbol:         _ZN7rocprim17ROCPRIM_400000_NS6detail17trampoline_kernelINS0_14default_configENS1_25partition_config_selectorILNS1_17partition_subalgoE6EjNS0_10empty_typeEbEEZZNS1_14partition_implILS5_6ELb0ES3_mN6thrust23THRUST_200600_302600_NS6detail15normal_iteratorINSA_10device_ptrIjEEEEPS6_SG_NS0_5tupleIJSF_S6_EEENSH_IJSG_SG_EEES6_PlJNSB_9not_fun_tINSB_14equal_to_valueIjEEEEEEE10hipError_tPvRmT3_T4_T5_T6_T7_T9_mT8_P12ihipStream_tbDpT10_ENKUlT_T0_E_clISt17integral_constantIbLb1EES17_IbLb0EEEEDaS13_S14_EUlS13_E_NS1_11comp_targetILNS1_3genE2ELNS1_11target_archE906ELNS1_3gpuE6ELNS1_3repE0EEENS1_30default_config_static_selectorELNS0_4arch9wavefront6targetE0EEEvT1_.kd
    .uniform_work_group_size: 1
    .uses_dynamic_stack: false
    .vgpr_count:     0
    .vgpr_spill_count: 0
    .wavefront_size: 32
    .workgroup_processor_mode: 1
  - .args:
      - .offset:         0
        .size:           120
        .value_kind:     by_value
    .group_segment_fixed_size: 0
    .kernarg_segment_align: 8
    .kernarg_segment_size: 120
    .language:       OpenCL C
    .language_version:
      - 2
      - 0
    .max_flat_workgroup_size: 384
    .name:           _ZN7rocprim17ROCPRIM_400000_NS6detail17trampoline_kernelINS0_14default_configENS1_25partition_config_selectorILNS1_17partition_subalgoE6EjNS0_10empty_typeEbEEZZNS1_14partition_implILS5_6ELb0ES3_mN6thrust23THRUST_200600_302600_NS6detail15normal_iteratorINSA_10device_ptrIjEEEEPS6_SG_NS0_5tupleIJSF_S6_EEENSH_IJSG_SG_EEES6_PlJNSB_9not_fun_tINSB_14equal_to_valueIjEEEEEEE10hipError_tPvRmT3_T4_T5_T6_T7_T9_mT8_P12ihipStream_tbDpT10_ENKUlT_T0_E_clISt17integral_constantIbLb1EES17_IbLb0EEEEDaS13_S14_EUlS13_E_NS1_11comp_targetILNS1_3genE10ELNS1_11target_archE1200ELNS1_3gpuE4ELNS1_3repE0EEENS1_30default_config_static_selectorELNS0_4arch9wavefront6targetE0EEEvT1_
    .private_segment_fixed_size: 0
    .sgpr_count:     0
    .sgpr_spill_count: 0
    .symbol:         _ZN7rocprim17ROCPRIM_400000_NS6detail17trampoline_kernelINS0_14default_configENS1_25partition_config_selectorILNS1_17partition_subalgoE6EjNS0_10empty_typeEbEEZZNS1_14partition_implILS5_6ELb0ES3_mN6thrust23THRUST_200600_302600_NS6detail15normal_iteratorINSA_10device_ptrIjEEEEPS6_SG_NS0_5tupleIJSF_S6_EEENSH_IJSG_SG_EEES6_PlJNSB_9not_fun_tINSB_14equal_to_valueIjEEEEEEE10hipError_tPvRmT3_T4_T5_T6_T7_T9_mT8_P12ihipStream_tbDpT10_ENKUlT_T0_E_clISt17integral_constantIbLb1EES17_IbLb0EEEEDaS13_S14_EUlS13_E_NS1_11comp_targetILNS1_3genE10ELNS1_11target_archE1200ELNS1_3gpuE4ELNS1_3repE0EEENS1_30default_config_static_selectorELNS0_4arch9wavefront6targetE0EEEvT1_.kd
    .uniform_work_group_size: 1
    .uses_dynamic_stack: false
    .vgpr_count:     0
    .vgpr_spill_count: 0
    .wavefront_size: 32
    .workgroup_processor_mode: 1
  - .args:
      - .offset:         0
        .size:           120
        .value_kind:     by_value
    .group_segment_fixed_size: 0
    .kernarg_segment_align: 8
    .kernarg_segment_size: 120
    .language:       OpenCL C
    .language_version:
      - 2
      - 0
    .max_flat_workgroup_size: 128
    .name:           _ZN7rocprim17ROCPRIM_400000_NS6detail17trampoline_kernelINS0_14default_configENS1_25partition_config_selectorILNS1_17partition_subalgoE6EjNS0_10empty_typeEbEEZZNS1_14partition_implILS5_6ELb0ES3_mN6thrust23THRUST_200600_302600_NS6detail15normal_iteratorINSA_10device_ptrIjEEEEPS6_SG_NS0_5tupleIJSF_S6_EEENSH_IJSG_SG_EEES6_PlJNSB_9not_fun_tINSB_14equal_to_valueIjEEEEEEE10hipError_tPvRmT3_T4_T5_T6_T7_T9_mT8_P12ihipStream_tbDpT10_ENKUlT_T0_E_clISt17integral_constantIbLb1EES17_IbLb0EEEEDaS13_S14_EUlS13_E_NS1_11comp_targetILNS1_3genE9ELNS1_11target_archE1100ELNS1_3gpuE3ELNS1_3repE0EEENS1_30default_config_static_selectorELNS0_4arch9wavefront6targetE0EEEvT1_
    .private_segment_fixed_size: 0
    .sgpr_count:     0
    .sgpr_spill_count: 0
    .symbol:         _ZN7rocprim17ROCPRIM_400000_NS6detail17trampoline_kernelINS0_14default_configENS1_25partition_config_selectorILNS1_17partition_subalgoE6EjNS0_10empty_typeEbEEZZNS1_14partition_implILS5_6ELb0ES3_mN6thrust23THRUST_200600_302600_NS6detail15normal_iteratorINSA_10device_ptrIjEEEEPS6_SG_NS0_5tupleIJSF_S6_EEENSH_IJSG_SG_EEES6_PlJNSB_9not_fun_tINSB_14equal_to_valueIjEEEEEEE10hipError_tPvRmT3_T4_T5_T6_T7_T9_mT8_P12ihipStream_tbDpT10_ENKUlT_T0_E_clISt17integral_constantIbLb1EES17_IbLb0EEEEDaS13_S14_EUlS13_E_NS1_11comp_targetILNS1_3genE9ELNS1_11target_archE1100ELNS1_3gpuE3ELNS1_3repE0EEENS1_30default_config_static_selectorELNS0_4arch9wavefront6targetE0EEEvT1_.kd
    .uniform_work_group_size: 1
    .uses_dynamic_stack: false
    .vgpr_count:     0
    .vgpr_spill_count: 0
    .wavefront_size: 32
    .workgroup_processor_mode: 1
  - .args:
      - .offset:         0
        .size:           120
        .value_kind:     by_value
    .group_segment_fixed_size: 0
    .kernarg_segment_align: 8
    .kernarg_segment_size: 120
    .language:       OpenCL C
    .language_version:
      - 2
      - 0
    .max_flat_workgroup_size: 512
    .name:           _ZN7rocprim17ROCPRIM_400000_NS6detail17trampoline_kernelINS0_14default_configENS1_25partition_config_selectorILNS1_17partition_subalgoE6EjNS0_10empty_typeEbEEZZNS1_14partition_implILS5_6ELb0ES3_mN6thrust23THRUST_200600_302600_NS6detail15normal_iteratorINSA_10device_ptrIjEEEEPS6_SG_NS0_5tupleIJSF_S6_EEENSH_IJSG_SG_EEES6_PlJNSB_9not_fun_tINSB_14equal_to_valueIjEEEEEEE10hipError_tPvRmT3_T4_T5_T6_T7_T9_mT8_P12ihipStream_tbDpT10_ENKUlT_T0_E_clISt17integral_constantIbLb1EES17_IbLb0EEEEDaS13_S14_EUlS13_E_NS1_11comp_targetILNS1_3genE8ELNS1_11target_archE1030ELNS1_3gpuE2ELNS1_3repE0EEENS1_30default_config_static_selectorELNS0_4arch9wavefront6targetE0EEEvT1_
    .private_segment_fixed_size: 0
    .sgpr_count:     0
    .sgpr_spill_count: 0
    .symbol:         _ZN7rocprim17ROCPRIM_400000_NS6detail17trampoline_kernelINS0_14default_configENS1_25partition_config_selectorILNS1_17partition_subalgoE6EjNS0_10empty_typeEbEEZZNS1_14partition_implILS5_6ELb0ES3_mN6thrust23THRUST_200600_302600_NS6detail15normal_iteratorINSA_10device_ptrIjEEEEPS6_SG_NS0_5tupleIJSF_S6_EEENSH_IJSG_SG_EEES6_PlJNSB_9not_fun_tINSB_14equal_to_valueIjEEEEEEE10hipError_tPvRmT3_T4_T5_T6_T7_T9_mT8_P12ihipStream_tbDpT10_ENKUlT_T0_E_clISt17integral_constantIbLb1EES17_IbLb0EEEEDaS13_S14_EUlS13_E_NS1_11comp_targetILNS1_3genE8ELNS1_11target_archE1030ELNS1_3gpuE2ELNS1_3repE0EEENS1_30default_config_static_selectorELNS0_4arch9wavefront6targetE0EEEvT1_.kd
    .uniform_work_group_size: 1
    .uses_dynamic_stack: false
    .vgpr_count:     0
    .vgpr_spill_count: 0
    .wavefront_size: 32
    .workgroup_processor_mode: 1
  - .args:
      - .offset:         0
        .size:           128
        .value_kind:     by_value
    .group_segment_fixed_size: 0
    .kernarg_segment_align: 8
    .kernarg_segment_size: 128
    .language:       OpenCL C
    .language_version:
      - 2
      - 0
    .max_flat_workgroup_size: 256
    .name:           _ZN7rocprim17ROCPRIM_400000_NS6detail17trampoline_kernelINS0_14default_configENS1_25partition_config_selectorILNS1_17partition_subalgoE6EjNS0_10empty_typeEbEEZZNS1_14partition_implILS5_6ELb0ES3_mN6thrust23THRUST_200600_302600_NS6detail15normal_iteratorINSA_10device_ptrIjEEEEPS6_SG_NS0_5tupleIJSF_S6_EEENSH_IJSG_SG_EEES6_PlJNSB_9not_fun_tINSB_14equal_to_valueIjEEEEEEE10hipError_tPvRmT3_T4_T5_T6_T7_T9_mT8_P12ihipStream_tbDpT10_ENKUlT_T0_E_clISt17integral_constantIbLb0EES17_IbLb1EEEEDaS13_S14_EUlS13_E_NS1_11comp_targetILNS1_3genE0ELNS1_11target_archE4294967295ELNS1_3gpuE0ELNS1_3repE0EEENS1_30default_config_static_selectorELNS0_4arch9wavefront6targetE0EEEvT1_
    .private_segment_fixed_size: 0
    .sgpr_count:     0
    .sgpr_spill_count: 0
    .symbol:         _ZN7rocprim17ROCPRIM_400000_NS6detail17trampoline_kernelINS0_14default_configENS1_25partition_config_selectorILNS1_17partition_subalgoE6EjNS0_10empty_typeEbEEZZNS1_14partition_implILS5_6ELb0ES3_mN6thrust23THRUST_200600_302600_NS6detail15normal_iteratorINSA_10device_ptrIjEEEEPS6_SG_NS0_5tupleIJSF_S6_EEENSH_IJSG_SG_EEES6_PlJNSB_9not_fun_tINSB_14equal_to_valueIjEEEEEEE10hipError_tPvRmT3_T4_T5_T6_T7_T9_mT8_P12ihipStream_tbDpT10_ENKUlT_T0_E_clISt17integral_constantIbLb0EES17_IbLb1EEEEDaS13_S14_EUlS13_E_NS1_11comp_targetILNS1_3genE0ELNS1_11target_archE4294967295ELNS1_3gpuE0ELNS1_3repE0EEENS1_30default_config_static_selectorELNS0_4arch9wavefront6targetE0EEEvT1_.kd
    .uniform_work_group_size: 1
    .uses_dynamic_stack: false
    .vgpr_count:     0
    .vgpr_spill_count: 0
    .wavefront_size: 32
    .workgroup_processor_mode: 1
  - .args:
      - .offset:         0
        .size:           128
        .value_kind:     by_value
    .group_segment_fixed_size: 0
    .kernarg_segment_align: 8
    .kernarg_segment_size: 128
    .language:       OpenCL C
    .language_version:
      - 2
      - 0
    .max_flat_workgroup_size: 512
    .name:           _ZN7rocprim17ROCPRIM_400000_NS6detail17trampoline_kernelINS0_14default_configENS1_25partition_config_selectorILNS1_17partition_subalgoE6EjNS0_10empty_typeEbEEZZNS1_14partition_implILS5_6ELb0ES3_mN6thrust23THRUST_200600_302600_NS6detail15normal_iteratorINSA_10device_ptrIjEEEEPS6_SG_NS0_5tupleIJSF_S6_EEENSH_IJSG_SG_EEES6_PlJNSB_9not_fun_tINSB_14equal_to_valueIjEEEEEEE10hipError_tPvRmT3_T4_T5_T6_T7_T9_mT8_P12ihipStream_tbDpT10_ENKUlT_T0_E_clISt17integral_constantIbLb0EES17_IbLb1EEEEDaS13_S14_EUlS13_E_NS1_11comp_targetILNS1_3genE5ELNS1_11target_archE942ELNS1_3gpuE9ELNS1_3repE0EEENS1_30default_config_static_selectorELNS0_4arch9wavefront6targetE0EEEvT1_
    .private_segment_fixed_size: 0
    .sgpr_count:     0
    .sgpr_spill_count: 0
    .symbol:         _ZN7rocprim17ROCPRIM_400000_NS6detail17trampoline_kernelINS0_14default_configENS1_25partition_config_selectorILNS1_17partition_subalgoE6EjNS0_10empty_typeEbEEZZNS1_14partition_implILS5_6ELb0ES3_mN6thrust23THRUST_200600_302600_NS6detail15normal_iteratorINSA_10device_ptrIjEEEEPS6_SG_NS0_5tupleIJSF_S6_EEENSH_IJSG_SG_EEES6_PlJNSB_9not_fun_tINSB_14equal_to_valueIjEEEEEEE10hipError_tPvRmT3_T4_T5_T6_T7_T9_mT8_P12ihipStream_tbDpT10_ENKUlT_T0_E_clISt17integral_constantIbLb0EES17_IbLb1EEEEDaS13_S14_EUlS13_E_NS1_11comp_targetILNS1_3genE5ELNS1_11target_archE942ELNS1_3gpuE9ELNS1_3repE0EEENS1_30default_config_static_selectorELNS0_4arch9wavefront6targetE0EEEvT1_.kd
    .uniform_work_group_size: 1
    .uses_dynamic_stack: false
    .vgpr_count:     0
    .vgpr_spill_count: 0
    .wavefront_size: 32
    .workgroup_processor_mode: 1
  - .args:
      - .offset:         0
        .size:           128
        .value_kind:     by_value
    .group_segment_fixed_size: 0
    .kernarg_segment_align: 8
    .kernarg_segment_size: 128
    .language:       OpenCL C
    .language_version:
      - 2
      - 0
    .max_flat_workgroup_size: 512
    .name:           _ZN7rocprim17ROCPRIM_400000_NS6detail17trampoline_kernelINS0_14default_configENS1_25partition_config_selectorILNS1_17partition_subalgoE6EjNS0_10empty_typeEbEEZZNS1_14partition_implILS5_6ELb0ES3_mN6thrust23THRUST_200600_302600_NS6detail15normal_iteratorINSA_10device_ptrIjEEEEPS6_SG_NS0_5tupleIJSF_S6_EEENSH_IJSG_SG_EEES6_PlJNSB_9not_fun_tINSB_14equal_to_valueIjEEEEEEE10hipError_tPvRmT3_T4_T5_T6_T7_T9_mT8_P12ihipStream_tbDpT10_ENKUlT_T0_E_clISt17integral_constantIbLb0EES17_IbLb1EEEEDaS13_S14_EUlS13_E_NS1_11comp_targetILNS1_3genE4ELNS1_11target_archE910ELNS1_3gpuE8ELNS1_3repE0EEENS1_30default_config_static_selectorELNS0_4arch9wavefront6targetE0EEEvT1_
    .private_segment_fixed_size: 0
    .sgpr_count:     0
    .sgpr_spill_count: 0
    .symbol:         _ZN7rocprim17ROCPRIM_400000_NS6detail17trampoline_kernelINS0_14default_configENS1_25partition_config_selectorILNS1_17partition_subalgoE6EjNS0_10empty_typeEbEEZZNS1_14partition_implILS5_6ELb0ES3_mN6thrust23THRUST_200600_302600_NS6detail15normal_iteratorINSA_10device_ptrIjEEEEPS6_SG_NS0_5tupleIJSF_S6_EEENSH_IJSG_SG_EEES6_PlJNSB_9not_fun_tINSB_14equal_to_valueIjEEEEEEE10hipError_tPvRmT3_T4_T5_T6_T7_T9_mT8_P12ihipStream_tbDpT10_ENKUlT_T0_E_clISt17integral_constantIbLb0EES17_IbLb1EEEEDaS13_S14_EUlS13_E_NS1_11comp_targetILNS1_3genE4ELNS1_11target_archE910ELNS1_3gpuE8ELNS1_3repE0EEENS1_30default_config_static_selectorELNS0_4arch9wavefront6targetE0EEEvT1_.kd
    .uniform_work_group_size: 1
    .uses_dynamic_stack: false
    .vgpr_count:     0
    .vgpr_spill_count: 0
    .wavefront_size: 32
    .workgroup_processor_mode: 1
  - .args:
      - .offset:         0
        .size:           128
        .value_kind:     by_value
    .group_segment_fixed_size: 0
    .kernarg_segment_align: 8
    .kernarg_segment_size: 128
    .language:       OpenCL C
    .language_version:
      - 2
      - 0
    .max_flat_workgroup_size: 256
    .name:           _ZN7rocprim17ROCPRIM_400000_NS6detail17trampoline_kernelINS0_14default_configENS1_25partition_config_selectorILNS1_17partition_subalgoE6EjNS0_10empty_typeEbEEZZNS1_14partition_implILS5_6ELb0ES3_mN6thrust23THRUST_200600_302600_NS6detail15normal_iteratorINSA_10device_ptrIjEEEEPS6_SG_NS0_5tupleIJSF_S6_EEENSH_IJSG_SG_EEES6_PlJNSB_9not_fun_tINSB_14equal_to_valueIjEEEEEEE10hipError_tPvRmT3_T4_T5_T6_T7_T9_mT8_P12ihipStream_tbDpT10_ENKUlT_T0_E_clISt17integral_constantIbLb0EES17_IbLb1EEEEDaS13_S14_EUlS13_E_NS1_11comp_targetILNS1_3genE3ELNS1_11target_archE908ELNS1_3gpuE7ELNS1_3repE0EEENS1_30default_config_static_selectorELNS0_4arch9wavefront6targetE0EEEvT1_
    .private_segment_fixed_size: 0
    .sgpr_count:     0
    .sgpr_spill_count: 0
    .symbol:         _ZN7rocprim17ROCPRIM_400000_NS6detail17trampoline_kernelINS0_14default_configENS1_25partition_config_selectorILNS1_17partition_subalgoE6EjNS0_10empty_typeEbEEZZNS1_14partition_implILS5_6ELb0ES3_mN6thrust23THRUST_200600_302600_NS6detail15normal_iteratorINSA_10device_ptrIjEEEEPS6_SG_NS0_5tupleIJSF_S6_EEENSH_IJSG_SG_EEES6_PlJNSB_9not_fun_tINSB_14equal_to_valueIjEEEEEEE10hipError_tPvRmT3_T4_T5_T6_T7_T9_mT8_P12ihipStream_tbDpT10_ENKUlT_T0_E_clISt17integral_constantIbLb0EES17_IbLb1EEEEDaS13_S14_EUlS13_E_NS1_11comp_targetILNS1_3genE3ELNS1_11target_archE908ELNS1_3gpuE7ELNS1_3repE0EEENS1_30default_config_static_selectorELNS0_4arch9wavefront6targetE0EEEvT1_.kd
    .uniform_work_group_size: 1
    .uses_dynamic_stack: false
    .vgpr_count:     0
    .vgpr_spill_count: 0
    .wavefront_size: 32
    .workgroup_processor_mode: 1
  - .args:
      - .offset:         0
        .size:           128
        .value_kind:     by_value
    .group_segment_fixed_size: 0
    .kernarg_segment_align: 8
    .kernarg_segment_size: 128
    .language:       OpenCL C
    .language_version:
      - 2
      - 0
    .max_flat_workgroup_size: 192
    .name:           _ZN7rocprim17ROCPRIM_400000_NS6detail17trampoline_kernelINS0_14default_configENS1_25partition_config_selectorILNS1_17partition_subalgoE6EjNS0_10empty_typeEbEEZZNS1_14partition_implILS5_6ELb0ES3_mN6thrust23THRUST_200600_302600_NS6detail15normal_iteratorINSA_10device_ptrIjEEEEPS6_SG_NS0_5tupleIJSF_S6_EEENSH_IJSG_SG_EEES6_PlJNSB_9not_fun_tINSB_14equal_to_valueIjEEEEEEE10hipError_tPvRmT3_T4_T5_T6_T7_T9_mT8_P12ihipStream_tbDpT10_ENKUlT_T0_E_clISt17integral_constantIbLb0EES17_IbLb1EEEEDaS13_S14_EUlS13_E_NS1_11comp_targetILNS1_3genE2ELNS1_11target_archE906ELNS1_3gpuE6ELNS1_3repE0EEENS1_30default_config_static_selectorELNS0_4arch9wavefront6targetE0EEEvT1_
    .private_segment_fixed_size: 0
    .sgpr_count:     0
    .sgpr_spill_count: 0
    .symbol:         _ZN7rocprim17ROCPRIM_400000_NS6detail17trampoline_kernelINS0_14default_configENS1_25partition_config_selectorILNS1_17partition_subalgoE6EjNS0_10empty_typeEbEEZZNS1_14partition_implILS5_6ELb0ES3_mN6thrust23THRUST_200600_302600_NS6detail15normal_iteratorINSA_10device_ptrIjEEEEPS6_SG_NS0_5tupleIJSF_S6_EEENSH_IJSG_SG_EEES6_PlJNSB_9not_fun_tINSB_14equal_to_valueIjEEEEEEE10hipError_tPvRmT3_T4_T5_T6_T7_T9_mT8_P12ihipStream_tbDpT10_ENKUlT_T0_E_clISt17integral_constantIbLb0EES17_IbLb1EEEEDaS13_S14_EUlS13_E_NS1_11comp_targetILNS1_3genE2ELNS1_11target_archE906ELNS1_3gpuE6ELNS1_3repE0EEENS1_30default_config_static_selectorELNS0_4arch9wavefront6targetE0EEEvT1_.kd
    .uniform_work_group_size: 1
    .uses_dynamic_stack: false
    .vgpr_count:     0
    .vgpr_spill_count: 0
    .wavefront_size: 32
    .workgroup_processor_mode: 1
  - .args:
      - .offset:         0
        .size:           128
        .value_kind:     by_value
    .group_segment_fixed_size: 10768
    .kernarg_segment_align: 8
    .kernarg_segment_size: 128
    .language:       OpenCL C
    .language_version:
      - 2
      - 0
    .max_flat_workgroup_size: 384
    .name:           _ZN7rocprim17ROCPRIM_400000_NS6detail17trampoline_kernelINS0_14default_configENS1_25partition_config_selectorILNS1_17partition_subalgoE6EjNS0_10empty_typeEbEEZZNS1_14partition_implILS5_6ELb0ES3_mN6thrust23THRUST_200600_302600_NS6detail15normal_iteratorINSA_10device_ptrIjEEEEPS6_SG_NS0_5tupleIJSF_S6_EEENSH_IJSG_SG_EEES6_PlJNSB_9not_fun_tINSB_14equal_to_valueIjEEEEEEE10hipError_tPvRmT3_T4_T5_T6_T7_T9_mT8_P12ihipStream_tbDpT10_ENKUlT_T0_E_clISt17integral_constantIbLb0EES17_IbLb1EEEEDaS13_S14_EUlS13_E_NS1_11comp_targetILNS1_3genE10ELNS1_11target_archE1200ELNS1_3gpuE4ELNS1_3repE0EEENS1_30default_config_static_selectorELNS0_4arch9wavefront6targetE0EEEvT1_
    .private_segment_fixed_size: 0
    .sgpr_count:     23
    .sgpr_spill_count: 0
    .symbol:         _ZN7rocprim17ROCPRIM_400000_NS6detail17trampoline_kernelINS0_14default_configENS1_25partition_config_selectorILNS1_17partition_subalgoE6EjNS0_10empty_typeEbEEZZNS1_14partition_implILS5_6ELb0ES3_mN6thrust23THRUST_200600_302600_NS6detail15normal_iteratorINSA_10device_ptrIjEEEEPS6_SG_NS0_5tupleIJSF_S6_EEENSH_IJSG_SG_EEES6_PlJNSB_9not_fun_tINSB_14equal_to_valueIjEEEEEEE10hipError_tPvRmT3_T4_T5_T6_T7_T9_mT8_P12ihipStream_tbDpT10_ENKUlT_T0_E_clISt17integral_constantIbLb0EES17_IbLb1EEEEDaS13_S14_EUlS13_E_NS1_11comp_targetILNS1_3genE10ELNS1_11target_archE1200ELNS1_3gpuE4ELNS1_3repE0EEENS1_30default_config_static_selectorELNS0_4arch9wavefront6targetE0EEEvT1_.kd
    .uniform_work_group_size: 1
    .uses_dynamic_stack: false
    .vgpr_count:     51
    .vgpr_spill_count: 0
    .wavefront_size: 32
    .workgroup_processor_mode: 1
  - .args:
      - .offset:         0
        .size:           128
        .value_kind:     by_value
    .group_segment_fixed_size: 0
    .kernarg_segment_align: 8
    .kernarg_segment_size: 128
    .language:       OpenCL C
    .language_version:
      - 2
      - 0
    .max_flat_workgroup_size: 128
    .name:           _ZN7rocprim17ROCPRIM_400000_NS6detail17trampoline_kernelINS0_14default_configENS1_25partition_config_selectorILNS1_17partition_subalgoE6EjNS0_10empty_typeEbEEZZNS1_14partition_implILS5_6ELb0ES3_mN6thrust23THRUST_200600_302600_NS6detail15normal_iteratorINSA_10device_ptrIjEEEEPS6_SG_NS0_5tupleIJSF_S6_EEENSH_IJSG_SG_EEES6_PlJNSB_9not_fun_tINSB_14equal_to_valueIjEEEEEEE10hipError_tPvRmT3_T4_T5_T6_T7_T9_mT8_P12ihipStream_tbDpT10_ENKUlT_T0_E_clISt17integral_constantIbLb0EES17_IbLb1EEEEDaS13_S14_EUlS13_E_NS1_11comp_targetILNS1_3genE9ELNS1_11target_archE1100ELNS1_3gpuE3ELNS1_3repE0EEENS1_30default_config_static_selectorELNS0_4arch9wavefront6targetE0EEEvT1_
    .private_segment_fixed_size: 0
    .sgpr_count:     0
    .sgpr_spill_count: 0
    .symbol:         _ZN7rocprim17ROCPRIM_400000_NS6detail17trampoline_kernelINS0_14default_configENS1_25partition_config_selectorILNS1_17partition_subalgoE6EjNS0_10empty_typeEbEEZZNS1_14partition_implILS5_6ELb0ES3_mN6thrust23THRUST_200600_302600_NS6detail15normal_iteratorINSA_10device_ptrIjEEEEPS6_SG_NS0_5tupleIJSF_S6_EEENSH_IJSG_SG_EEES6_PlJNSB_9not_fun_tINSB_14equal_to_valueIjEEEEEEE10hipError_tPvRmT3_T4_T5_T6_T7_T9_mT8_P12ihipStream_tbDpT10_ENKUlT_T0_E_clISt17integral_constantIbLb0EES17_IbLb1EEEEDaS13_S14_EUlS13_E_NS1_11comp_targetILNS1_3genE9ELNS1_11target_archE1100ELNS1_3gpuE3ELNS1_3repE0EEENS1_30default_config_static_selectorELNS0_4arch9wavefront6targetE0EEEvT1_.kd
    .uniform_work_group_size: 1
    .uses_dynamic_stack: false
    .vgpr_count:     0
    .vgpr_spill_count: 0
    .wavefront_size: 32
    .workgroup_processor_mode: 1
  - .args:
      - .offset:         0
        .size:           128
        .value_kind:     by_value
    .group_segment_fixed_size: 0
    .kernarg_segment_align: 8
    .kernarg_segment_size: 128
    .language:       OpenCL C
    .language_version:
      - 2
      - 0
    .max_flat_workgroup_size: 512
    .name:           _ZN7rocprim17ROCPRIM_400000_NS6detail17trampoline_kernelINS0_14default_configENS1_25partition_config_selectorILNS1_17partition_subalgoE6EjNS0_10empty_typeEbEEZZNS1_14partition_implILS5_6ELb0ES3_mN6thrust23THRUST_200600_302600_NS6detail15normal_iteratorINSA_10device_ptrIjEEEEPS6_SG_NS0_5tupleIJSF_S6_EEENSH_IJSG_SG_EEES6_PlJNSB_9not_fun_tINSB_14equal_to_valueIjEEEEEEE10hipError_tPvRmT3_T4_T5_T6_T7_T9_mT8_P12ihipStream_tbDpT10_ENKUlT_T0_E_clISt17integral_constantIbLb0EES17_IbLb1EEEEDaS13_S14_EUlS13_E_NS1_11comp_targetILNS1_3genE8ELNS1_11target_archE1030ELNS1_3gpuE2ELNS1_3repE0EEENS1_30default_config_static_selectorELNS0_4arch9wavefront6targetE0EEEvT1_
    .private_segment_fixed_size: 0
    .sgpr_count:     0
    .sgpr_spill_count: 0
    .symbol:         _ZN7rocprim17ROCPRIM_400000_NS6detail17trampoline_kernelINS0_14default_configENS1_25partition_config_selectorILNS1_17partition_subalgoE6EjNS0_10empty_typeEbEEZZNS1_14partition_implILS5_6ELb0ES3_mN6thrust23THRUST_200600_302600_NS6detail15normal_iteratorINSA_10device_ptrIjEEEEPS6_SG_NS0_5tupleIJSF_S6_EEENSH_IJSG_SG_EEES6_PlJNSB_9not_fun_tINSB_14equal_to_valueIjEEEEEEE10hipError_tPvRmT3_T4_T5_T6_T7_T9_mT8_P12ihipStream_tbDpT10_ENKUlT_T0_E_clISt17integral_constantIbLb0EES17_IbLb1EEEEDaS13_S14_EUlS13_E_NS1_11comp_targetILNS1_3genE8ELNS1_11target_archE1030ELNS1_3gpuE2ELNS1_3repE0EEENS1_30default_config_static_selectorELNS0_4arch9wavefront6targetE0EEEvT1_.kd
    .uniform_work_group_size: 1
    .uses_dynamic_stack: false
    .vgpr_count:     0
    .vgpr_spill_count: 0
    .wavefront_size: 32
    .workgroup_processor_mode: 1
  - .args:
      - .offset:         0
        .size:           112
        .value_kind:     by_value
    .group_segment_fixed_size: 0
    .kernarg_segment_align: 8
    .kernarg_segment_size: 112
    .language:       OpenCL C
    .language_version:
      - 2
      - 0
    .max_flat_workgroup_size: 256
    .name:           _ZN7rocprim17ROCPRIM_400000_NS6detail17trampoline_kernelINS0_14default_configENS1_25partition_config_selectorILNS1_17partition_subalgoE6EtNS0_10empty_typeEbEEZZNS1_14partition_implILS5_6ELb0ES3_mN6thrust23THRUST_200600_302600_NS6detail15normal_iteratorINSA_10device_ptrItEEEEPS6_SG_NS0_5tupleIJSF_S6_EEENSH_IJSG_SG_EEES6_PlJNSB_9not_fun_tINSB_14equal_to_valueItEEEEEEE10hipError_tPvRmT3_T4_T5_T6_T7_T9_mT8_P12ihipStream_tbDpT10_ENKUlT_T0_E_clISt17integral_constantIbLb0EES18_EEDaS13_S14_EUlS13_E_NS1_11comp_targetILNS1_3genE0ELNS1_11target_archE4294967295ELNS1_3gpuE0ELNS1_3repE0EEENS1_30default_config_static_selectorELNS0_4arch9wavefront6targetE0EEEvT1_
    .private_segment_fixed_size: 0
    .sgpr_count:     0
    .sgpr_spill_count: 0
    .symbol:         _ZN7rocprim17ROCPRIM_400000_NS6detail17trampoline_kernelINS0_14default_configENS1_25partition_config_selectorILNS1_17partition_subalgoE6EtNS0_10empty_typeEbEEZZNS1_14partition_implILS5_6ELb0ES3_mN6thrust23THRUST_200600_302600_NS6detail15normal_iteratorINSA_10device_ptrItEEEEPS6_SG_NS0_5tupleIJSF_S6_EEENSH_IJSG_SG_EEES6_PlJNSB_9not_fun_tINSB_14equal_to_valueItEEEEEEE10hipError_tPvRmT3_T4_T5_T6_T7_T9_mT8_P12ihipStream_tbDpT10_ENKUlT_T0_E_clISt17integral_constantIbLb0EES18_EEDaS13_S14_EUlS13_E_NS1_11comp_targetILNS1_3genE0ELNS1_11target_archE4294967295ELNS1_3gpuE0ELNS1_3repE0EEENS1_30default_config_static_selectorELNS0_4arch9wavefront6targetE0EEEvT1_.kd
    .uniform_work_group_size: 1
    .uses_dynamic_stack: false
    .vgpr_count:     0
    .vgpr_spill_count: 0
    .wavefront_size: 32
    .workgroup_processor_mode: 1
  - .args:
      - .offset:         0
        .size:           112
        .value_kind:     by_value
    .group_segment_fixed_size: 0
    .kernarg_segment_align: 8
    .kernarg_segment_size: 112
    .language:       OpenCL C
    .language_version:
      - 2
      - 0
    .max_flat_workgroup_size: 512
    .name:           _ZN7rocprim17ROCPRIM_400000_NS6detail17trampoline_kernelINS0_14default_configENS1_25partition_config_selectorILNS1_17partition_subalgoE6EtNS0_10empty_typeEbEEZZNS1_14partition_implILS5_6ELb0ES3_mN6thrust23THRUST_200600_302600_NS6detail15normal_iteratorINSA_10device_ptrItEEEEPS6_SG_NS0_5tupleIJSF_S6_EEENSH_IJSG_SG_EEES6_PlJNSB_9not_fun_tINSB_14equal_to_valueItEEEEEEE10hipError_tPvRmT3_T4_T5_T6_T7_T9_mT8_P12ihipStream_tbDpT10_ENKUlT_T0_E_clISt17integral_constantIbLb0EES18_EEDaS13_S14_EUlS13_E_NS1_11comp_targetILNS1_3genE5ELNS1_11target_archE942ELNS1_3gpuE9ELNS1_3repE0EEENS1_30default_config_static_selectorELNS0_4arch9wavefront6targetE0EEEvT1_
    .private_segment_fixed_size: 0
    .sgpr_count:     0
    .sgpr_spill_count: 0
    .symbol:         _ZN7rocprim17ROCPRIM_400000_NS6detail17trampoline_kernelINS0_14default_configENS1_25partition_config_selectorILNS1_17partition_subalgoE6EtNS0_10empty_typeEbEEZZNS1_14partition_implILS5_6ELb0ES3_mN6thrust23THRUST_200600_302600_NS6detail15normal_iteratorINSA_10device_ptrItEEEEPS6_SG_NS0_5tupleIJSF_S6_EEENSH_IJSG_SG_EEES6_PlJNSB_9not_fun_tINSB_14equal_to_valueItEEEEEEE10hipError_tPvRmT3_T4_T5_T6_T7_T9_mT8_P12ihipStream_tbDpT10_ENKUlT_T0_E_clISt17integral_constantIbLb0EES18_EEDaS13_S14_EUlS13_E_NS1_11comp_targetILNS1_3genE5ELNS1_11target_archE942ELNS1_3gpuE9ELNS1_3repE0EEENS1_30default_config_static_selectorELNS0_4arch9wavefront6targetE0EEEvT1_.kd
    .uniform_work_group_size: 1
    .uses_dynamic_stack: false
    .vgpr_count:     0
    .vgpr_spill_count: 0
    .wavefront_size: 32
    .workgroup_processor_mode: 1
  - .args:
      - .offset:         0
        .size:           112
        .value_kind:     by_value
    .group_segment_fixed_size: 0
    .kernarg_segment_align: 8
    .kernarg_segment_size: 112
    .language:       OpenCL C
    .language_version:
      - 2
      - 0
    .max_flat_workgroup_size: 256
    .name:           _ZN7rocprim17ROCPRIM_400000_NS6detail17trampoline_kernelINS0_14default_configENS1_25partition_config_selectorILNS1_17partition_subalgoE6EtNS0_10empty_typeEbEEZZNS1_14partition_implILS5_6ELb0ES3_mN6thrust23THRUST_200600_302600_NS6detail15normal_iteratorINSA_10device_ptrItEEEEPS6_SG_NS0_5tupleIJSF_S6_EEENSH_IJSG_SG_EEES6_PlJNSB_9not_fun_tINSB_14equal_to_valueItEEEEEEE10hipError_tPvRmT3_T4_T5_T6_T7_T9_mT8_P12ihipStream_tbDpT10_ENKUlT_T0_E_clISt17integral_constantIbLb0EES18_EEDaS13_S14_EUlS13_E_NS1_11comp_targetILNS1_3genE4ELNS1_11target_archE910ELNS1_3gpuE8ELNS1_3repE0EEENS1_30default_config_static_selectorELNS0_4arch9wavefront6targetE0EEEvT1_
    .private_segment_fixed_size: 0
    .sgpr_count:     0
    .sgpr_spill_count: 0
    .symbol:         _ZN7rocprim17ROCPRIM_400000_NS6detail17trampoline_kernelINS0_14default_configENS1_25partition_config_selectorILNS1_17partition_subalgoE6EtNS0_10empty_typeEbEEZZNS1_14partition_implILS5_6ELb0ES3_mN6thrust23THRUST_200600_302600_NS6detail15normal_iteratorINSA_10device_ptrItEEEEPS6_SG_NS0_5tupleIJSF_S6_EEENSH_IJSG_SG_EEES6_PlJNSB_9not_fun_tINSB_14equal_to_valueItEEEEEEE10hipError_tPvRmT3_T4_T5_T6_T7_T9_mT8_P12ihipStream_tbDpT10_ENKUlT_T0_E_clISt17integral_constantIbLb0EES18_EEDaS13_S14_EUlS13_E_NS1_11comp_targetILNS1_3genE4ELNS1_11target_archE910ELNS1_3gpuE8ELNS1_3repE0EEENS1_30default_config_static_selectorELNS0_4arch9wavefront6targetE0EEEvT1_.kd
    .uniform_work_group_size: 1
    .uses_dynamic_stack: false
    .vgpr_count:     0
    .vgpr_spill_count: 0
    .wavefront_size: 32
    .workgroup_processor_mode: 1
  - .args:
      - .offset:         0
        .size:           112
        .value_kind:     by_value
    .group_segment_fixed_size: 0
    .kernarg_segment_align: 8
    .kernarg_segment_size: 112
    .language:       OpenCL C
    .language_version:
      - 2
      - 0
    .max_flat_workgroup_size: 256
    .name:           _ZN7rocprim17ROCPRIM_400000_NS6detail17trampoline_kernelINS0_14default_configENS1_25partition_config_selectorILNS1_17partition_subalgoE6EtNS0_10empty_typeEbEEZZNS1_14partition_implILS5_6ELb0ES3_mN6thrust23THRUST_200600_302600_NS6detail15normal_iteratorINSA_10device_ptrItEEEEPS6_SG_NS0_5tupleIJSF_S6_EEENSH_IJSG_SG_EEES6_PlJNSB_9not_fun_tINSB_14equal_to_valueItEEEEEEE10hipError_tPvRmT3_T4_T5_T6_T7_T9_mT8_P12ihipStream_tbDpT10_ENKUlT_T0_E_clISt17integral_constantIbLb0EES18_EEDaS13_S14_EUlS13_E_NS1_11comp_targetILNS1_3genE3ELNS1_11target_archE908ELNS1_3gpuE7ELNS1_3repE0EEENS1_30default_config_static_selectorELNS0_4arch9wavefront6targetE0EEEvT1_
    .private_segment_fixed_size: 0
    .sgpr_count:     0
    .sgpr_spill_count: 0
    .symbol:         _ZN7rocprim17ROCPRIM_400000_NS6detail17trampoline_kernelINS0_14default_configENS1_25partition_config_selectorILNS1_17partition_subalgoE6EtNS0_10empty_typeEbEEZZNS1_14partition_implILS5_6ELb0ES3_mN6thrust23THRUST_200600_302600_NS6detail15normal_iteratorINSA_10device_ptrItEEEEPS6_SG_NS0_5tupleIJSF_S6_EEENSH_IJSG_SG_EEES6_PlJNSB_9not_fun_tINSB_14equal_to_valueItEEEEEEE10hipError_tPvRmT3_T4_T5_T6_T7_T9_mT8_P12ihipStream_tbDpT10_ENKUlT_T0_E_clISt17integral_constantIbLb0EES18_EEDaS13_S14_EUlS13_E_NS1_11comp_targetILNS1_3genE3ELNS1_11target_archE908ELNS1_3gpuE7ELNS1_3repE0EEENS1_30default_config_static_selectorELNS0_4arch9wavefront6targetE0EEEvT1_.kd
    .uniform_work_group_size: 1
    .uses_dynamic_stack: false
    .vgpr_count:     0
    .vgpr_spill_count: 0
    .wavefront_size: 32
    .workgroup_processor_mode: 1
  - .args:
      - .offset:         0
        .size:           112
        .value_kind:     by_value
    .group_segment_fixed_size: 0
    .kernarg_segment_align: 8
    .kernarg_segment_size: 112
    .language:       OpenCL C
    .language_version:
      - 2
      - 0
    .max_flat_workgroup_size: 256
    .name:           _ZN7rocprim17ROCPRIM_400000_NS6detail17trampoline_kernelINS0_14default_configENS1_25partition_config_selectorILNS1_17partition_subalgoE6EtNS0_10empty_typeEbEEZZNS1_14partition_implILS5_6ELb0ES3_mN6thrust23THRUST_200600_302600_NS6detail15normal_iteratorINSA_10device_ptrItEEEEPS6_SG_NS0_5tupleIJSF_S6_EEENSH_IJSG_SG_EEES6_PlJNSB_9not_fun_tINSB_14equal_to_valueItEEEEEEE10hipError_tPvRmT3_T4_T5_T6_T7_T9_mT8_P12ihipStream_tbDpT10_ENKUlT_T0_E_clISt17integral_constantIbLb0EES18_EEDaS13_S14_EUlS13_E_NS1_11comp_targetILNS1_3genE2ELNS1_11target_archE906ELNS1_3gpuE6ELNS1_3repE0EEENS1_30default_config_static_selectorELNS0_4arch9wavefront6targetE0EEEvT1_
    .private_segment_fixed_size: 0
    .sgpr_count:     0
    .sgpr_spill_count: 0
    .symbol:         _ZN7rocprim17ROCPRIM_400000_NS6detail17trampoline_kernelINS0_14default_configENS1_25partition_config_selectorILNS1_17partition_subalgoE6EtNS0_10empty_typeEbEEZZNS1_14partition_implILS5_6ELb0ES3_mN6thrust23THRUST_200600_302600_NS6detail15normal_iteratorINSA_10device_ptrItEEEEPS6_SG_NS0_5tupleIJSF_S6_EEENSH_IJSG_SG_EEES6_PlJNSB_9not_fun_tINSB_14equal_to_valueItEEEEEEE10hipError_tPvRmT3_T4_T5_T6_T7_T9_mT8_P12ihipStream_tbDpT10_ENKUlT_T0_E_clISt17integral_constantIbLb0EES18_EEDaS13_S14_EUlS13_E_NS1_11comp_targetILNS1_3genE2ELNS1_11target_archE906ELNS1_3gpuE6ELNS1_3repE0EEENS1_30default_config_static_selectorELNS0_4arch9wavefront6targetE0EEEvT1_.kd
    .uniform_work_group_size: 1
    .uses_dynamic_stack: false
    .vgpr_count:     0
    .vgpr_spill_count: 0
    .wavefront_size: 32
    .workgroup_processor_mode: 1
  - .args:
      - .offset:         0
        .size:           112
        .value_kind:     by_value
    .group_segment_fixed_size: 13840
    .kernarg_segment_align: 8
    .kernarg_segment_size: 112
    .language:       OpenCL C
    .language_version:
      - 2
      - 0
    .max_flat_workgroup_size: 384
    .name:           _ZN7rocprim17ROCPRIM_400000_NS6detail17trampoline_kernelINS0_14default_configENS1_25partition_config_selectorILNS1_17partition_subalgoE6EtNS0_10empty_typeEbEEZZNS1_14partition_implILS5_6ELb0ES3_mN6thrust23THRUST_200600_302600_NS6detail15normal_iteratorINSA_10device_ptrItEEEEPS6_SG_NS0_5tupleIJSF_S6_EEENSH_IJSG_SG_EEES6_PlJNSB_9not_fun_tINSB_14equal_to_valueItEEEEEEE10hipError_tPvRmT3_T4_T5_T6_T7_T9_mT8_P12ihipStream_tbDpT10_ENKUlT_T0_E_clISt17integral_constantIbLb0EES18_EEDaS13_S14_EUlS13_E_NS1_11comp_targetILNS1_3genE10ELNS1_11target_archE1200ELNS1_3gpuE4ELNS1_3repE0EEENS1_30default_config_static_selectorELNS0_4arch9wavefront6targetE0EEEvT1_
    .private_segment_fixed_size: 0
    .sgpr_count:     30
    .sgpr_spill_count: 0
    .symbol:         _ZN7rocprim17ROCPRIM_400000_NS6detail17trampoline_kernelINS0_14default_configENS1_25partition_config_selectorILNS1_17partition_subalgoE6EtNS0_10empty_typeEbEEZZNS1_14partition_implILS5_6ELb0ES3_mN6thrust23THRUST_200600_302600_NS6detail15normal_iteratorINSA_10device_ptrItEEEEPS6_SG_NS0_5tupleIJSF_S6_EEENSH_IJSG_SG_EEES6_PlJNSB_9not_fun_tINSB_14equal_to_valueItEEEEEEE10hipError_tPvRmT3_T4_T5_T6_T7_T9_mT8_P12ihipStream_tbDpT10_ENKUlT_T0_E_clISt17integral_constantIbLb0EES18_EEDaS13_S14_EUlS13_E_NS1_11comp_targetILNS1_3genE10ELNS1_11target_archE1200ELNS1_3gpuE4ELNS1_3repE0EEENS1_30default_config_static_selectorELNS0_4arch9wavefront6targetE0EEEvT1_.kd
    .uniform_work_group_size: 1
    .uses_dynamic_stack: false
    .vgpr_count:     73
    .vgpr_spill_count: 0
    .wavefront_size: 32
    .workgroup_processor_mode: 1
  - .args:
      - .offset:         0
        .size:           112
        .value_kind:     by_value
    .group_segment_fixed_size: 0
    .kernarg_segment_align: 8
    .kernarg_segment_size: 112
    .language:       OpenCL C
    .language_version:
      - 2
      - 0
    .max_flat_workgroup_size: 128
    .name:           _ZN7rocprim17ROCPRIM_400000_NS6detail17trampoline_kernelINS0_14default_configENS1_25partition_config_selectorILNS1_17partition_subalgoE6EtNS0_10empty_typeEbEEZZNS1_14partition_implILS5_6ELb0ES3_mN6thrust23THRUST_200600_302600_NS6detail15normal_iteratorINSA_10device_ptrItEEEEPS6_SG_NS0_5tupleIJSF_S6_EEENSH_IJSG_SG_EEES6_PlJNSB_9not_fun_tINSB_14equal_to_valueItEEEEEEE10hipError_tPvRmT3_T4_T5_T6_T7_T9_mT8_P12ihipStream_tbDpT10_ENKUlT_T0_E_clISt17integral_constantIbLb0EES18_EEDaS13_S14_EUlS13_E_NS1_11comp_targetILNS1_3genE9ELNS1_11target_archE1100ELNS1_3gpuE3ELNS1_3repE0EEENS1_30default_config_static_selectorELNS0_4arch9wavefront6targetE0EEEvT1_
    .private_segment_fixed_size: 0
    .sgpr_count:     0
    .sgpr_spill_count: 0
    .symbol:         _ZN7rocprim17ROCPRIM_400000_NS6detail17trampoline_kernelINS0_14default_configENS1_25partition_config_selectorILNS1_17partition_subalgoE6EtNS0_10empty_typeEbEEZZNS1_14partition_implILS5_6ELb0ES3_mN6thrust23THRUST_200600_302600_NS6detail15normal_iteratorINSA_10device_ptrItEEEEPS6_SG_NS0_5tupleIJSF_S6_EEENSH_IJSG_SG_EEES6_PlJNSB_9not_fun_tINSB_14equal_to_valueItEEEEEEE10hipError_tPvRmT3_T4_T5_T6_T7_T9_mT8_P12ihipStream_tbDpT10_ENKUlT_T0_E_clISt17integral_constantIbLb0EES18_EEDaS13_S14_EUlS13_E_NS1_11comp_targetILNS1_3genE9ELNS1_11target_archE1100ELNS1_3gpuE3ELNS1_3repE0EEENS1_30default_config_static_selectorELNS0_4arch9wavefront6targetE0EEEvT1_.kd
    .uniform_work_group_size: 1
    .uses_dynamic_stack: false
    .vgpr_count:     0
    .vgpr_spill_count: 0
    .wavefront_size: 32
    .workgroup_processor_mode: 1
  - .args:
      - .offset:         0
        .size:           112
        .value_kind:     by_value
    .group_segment_fixed_size: 0
    .kernarg_segment_align: 8
    .kernarg_segment_size: 112
    .language:       OpenCL C
    .language_version:
      - 2
      - 0
    .max_flat_workgroup_size: 256
    .name:           _ZN7rocprim17ROCPRIM_400000_NS6detail17trampoline_kernelINS0_14default_configENS1_25partition_config_selectorILNS1_17partition_subalgoE6EtNS0_10empty_typeEbEEZZNS1_14partition_implILS5_6ELb0ES3_mN6thrust23THRUST_200600_302600_NS6detail15normal_iteratorINSA_10device_ptrItEEEEPS6_SG_NS0_5tupleIJSF_S6_EEENSH_IJSG_SG_EEES6_PlJNSB_9not_fun_tINSB_14equal_to_valueItEEEEEEE10hipError_tPvRmT3_T4_T5_T6_T7_T9_mT8_P12ihipStream_tbDpT10_ENKUlT_T0_E_clISt17integral_constantIbLb0EES18_EEDaS13_S14_EUlS13_E_NS1_11comp_targetILNS1_3genE8ELNS1_11target_archE1030ELNS1_3gpuE2ELNS1_3repE0EEENS1_30default_config_static_selectorELNS0_4arch9wavefront6targetE0EEEvT1_
    .private_segment_fixed_size: 0
    .sgpr_count:     0
    .sgpr_spill_count: 0
    .symbol:         _ZN7rocprim17ROCPRIM_400000_NS6detail17trampoline_kernelINS0_14default_configENS1_25partition_config_selectorILNS1_17partition_subalgoE6EtNS0_10empty_typeEbEEZZNS1_14partition_implILS5_6ELb0ES3_mN6thrust23THRUST_200600_302600_NS6detail15normal_iteratorINSA_10device_ptrItEEEEPS6_SG_NS0_5tupleIJSF_S6_EEENSH_IJSG_SG_EEES6_PlJNSB_9not_fun_tINSB_14equal_to_valueItEEEEEEE10hipError_tPvRmT3_T4_T5_T6_T7_T9_mT8_P12ihipStream_tbDpT10_ENKUlT_T0_E_clISt17integral_constantIbLb0EES18_EEDaS13_S14_EUlS13_E_NS1_11comp_targetILNS1_3genE8ELNS1_11target_archE1030ELNS1_3gpuE2ELNS1_3repE0EEENS1_30default_config_static_selectorELNS0_4arch9wavefront6targetE0EEEvT1_.kd
    .uniform_work_group_size: 1
    .uses_dynamic_stack: false
    .vgpr_count:     0
    .vgpr_spill_count: 0
    .wavefront_size: 32
    .workgroup_processor_mode: 1
  - .args:
      - .offset:         0
        .size:           128
        .value_kind:     by_value
    .group_segment_fixed_size: 0
    .kernarg_segment_align: 8
    .kernarg_segment_size: 128
    .language:       OpenCL C
    .language_version:
      - 2
      - 0
    .max_flat_workgroup_size: 256
    .name:           _ZN7rocprim17ROCPRIM_400000_NS6detail17trampoline_kernelINS0_14default_configENS1_25partition_config_selectorILNS1_17partition_subalgoE6EtNS0_10empty_typeEbEEZZNS1_14partition_implILS5_6ELb0ES3_mN6thrust23THRUST_200600_302600_NS6detail15normal_iteratorINSA_10device_ptrItEEEEPS6_SG_NS0_5tupleIJSF_S6_EEENSH_IJSG_SG_EEES6_PlJNSB_9not_fun_tINSB_14equal_to_valueItEEEEEEE10hipError_tPvRmT3_T4_T5_T6_T7_T9_mT8_P12ihipStream_tbDpT10_ENKUlT_T0_E_clISt17integral_constantIbLb1EES18_EEDaS13_S14_EUlS13_E_NS1_11comp_targetILNS1_3genE0ELNS1_11target_archE4294967295ELNS1_3gpuE0ELNS1_3repE0EEENS1_30default_config_static_selectorELNS0_4arch9wavefront6targetE0EEEvT1_
    .private_segment_fixed_size: 0
    .sgpr_count:     0
    .sgpr_spill_count: 0
    .symbol:         _ZN7rocprim17ROCPRIM_400000_NS6detail17trampoline_kernelINS0_14default_configENS1_25partition_config_selectorILNS1_17partition_subalgoE6EtNS0_10empty_typeEbEEZZNS1_14partition_implILS5_6ELb0ES3_mN6thrust23THRUST_200600_302600_NS6detail15normal_iteratorINSA_10device_ptrItEEEEPS6_SG_NS0_5tupleIJSF_S6_EEENSH_IJSG_SG_EEES6_PlJNSB_9not_fun_tINSB_14equal_to_valueItEEEEEEE10hipError_tPvRmT3_T4_T5_T6_T7_T9_mT8_P12ihipStream_tbDpT10_ENKUlT_T0_E_clISt17integral_constantIbLb1EES18_EEDaS13_S14_EUlS13_E_NS1_11comp_targetILNS1_3genE0ELNS1_11target_archE4294967295ELNS1_3gpuE0ELNS1_3repE0EEENS1_30default_config_static_selectorELNS0_4arch9wavefront6targetE0EEEvT1_.kd
    .uniform_work_group_size: 1
    .uses_dynamic_stack: false
    .vgpr_count:     0
    .vgpr_spill_count: 0
    .wavefront_size: 32
    .workgroup_processor_mode: 1
  - .args:
      - .offset:         0
        .size:           128
        .value_kind:     by_value
    .group_segment_fixed_size: 0
    .kernarg_segment_align: 8
    .kernarg_segment_size: 128
    .language:       OpenCL C
    .language_version:
      - 2
      - 0
    .max_flat_workgroup_size: 512
    .name:           _ZN7rocprim17ROCPRIM_400000_NS6detail17trampoline_kernelINS0_14default_configENS1_25partition_config_selectorILNS1_17partition_subalgoE6EtNS0_10empty_typeEbEEZZNS1_14partition_implILS5_6ELb0ES3_mN6thrust23THRUST_200600_302600_NS6detail15normal_iteratorINSA_10device_ptrItEEEEPS6_SG_NS0_5tupleIJSF_S6_EEENSH_IJSG_SG_EEES6_PlJNSB_9not_fun_tINSB_14equal_to_valueItEEEEEEE10hipError_tPvRmT3_T4_T5_T6_T7_T9_mT8_P12ihipStream_tbDpT10_ENKUlT_T0_E_clISt17integral_constantIbLb1EES18_EEDaS13_S14_EUlS13_E_NS1_11comp_targetILNS1_3genE5ELNS1_11target_archE942ELNS1_3gpuE9ELNS1_3repE0EEENS1_30default_config_static_selectorELNS0_4arch9wavefront6targetE0EEEvT1_
    .private_segment_fixed_size: 0
    .sgpr_count:     0
    .sgpr_spill_count: 0
    .symbol:         _ZN7rocprim17ROCPRIM_400000_NS6detail17trampoline_kernelINS0_14default_configENS1_25partition_config_selectorILNS1_17partition_subalgoE6EtNS0_10empty_typeEbEEZZNS1_14partition_implILS5_6ELb0ES3_mN6thrust23THRUST_200600_302600_NS6detail15normal_iteratorINSA_10device_ptrItEEEEPS6_SG_NS0_5tupleIJSF_S6_EEENSH_IJSG_SG_EEES6_PlJNSB_9not_fun_tINSB_14equal_to_valueItEEEEEEE10hipError_tPvRmT3_T4_T5_T6_T7_T9_mT8_P12ihipStream_tbDpT10_ENKUlT_T0_E_clISt17integral_constantIbLb1EES18_EEDaS13_S14_EUlS13_E_NS1_11comp_targetILNS1_3genE5ELNS1_11target_archE942ELNS1_3gpuE9ELNS1_3repE0EEENS1_30default_config_static_selectorELNS0_4arch9wavefront6targetE0EEEvT1_.kd
    .uniform_work_group_size: 1
    .uses_dynamic_stack: false
    .vgpr_count:     0
    .vgpr_spill_count: 0
    .wavefront_size: 32
    .workgroup_processor_mode: 1
  - .args:
      - .offset:         0
        .size:           128
        .value_kind:     by_value
    .group_segment_fixed_size: 0
    .kernarg_segment_align: 8
    .kernarg_segment_size: 128
    .language:       OpenCL C
    .language_version:
      - 2
      - 0
    .max_flat_workgroup_size: 256
    .name:           _ZN7rocprim17ROCPRIM_400000_NS6detail17trampoline_kernelINS0_14default_configENS1_25partition_config_selectorILNS1_17partition_subalgoE6EtNS0_10empty_typeEbEEZZNS1_14partition_implILS5_6ELb0ES3_mN6thrust23THRUST_200600_302600_NS6detail15normal_iteratorINSA_10device_ptrItEEEEPS6_SG_NS0_5tupleIJSF_S6_EEENSH_IJSG_SG_EEES6_PlJNSB_9not_fun_tINSB_14equal_to_valueItEEEEEEE10hipError_tPvRmT3_T4_T5_T6_T7_T9_mT8_P12ihipStream_tbDpT10_ENKUlT_T0_E_clISt17integral_constantIbLb1EES18_EEDaS13_S14_EUlS13_E_NS1_11comp_targetILNS1_3genE4ELNS1_11target_archE910ELNS1_3gpuE8ELNS1_3repE0EEENS1_30default_config_static_selectorELNS0_4arch9wavefront6targetE0EEEvT1_
    .private_segment_fixed_size: 0
    .sgpr_count:     0
    .sgpr_spill_count: 0
    .symbol:         _ZN7rocprim17ROCPRIM_400000_NS6detail17trampoline_kernelINS0_14default_configENS1_25partition_config_selectorILNS1_17partition_subalgoE6EtNS0_10empty_typeEbEEZZNS1_14partition_implILS5_6ELb0ES3_mN6thrust23THRUST_200600_302600_NS6detail15normal_iteratorINSA_10device_ptrItEEEEPS6_SG_NS0_5tupleIJSF_S6_EEENSH_IJSG_SG_EEES6_PlJNSB_9not_fun_tINSB_14equal_to_valueItEEEEEEE10hipError_tPvRmT3_T4_T5_T6_T7_T9_mT8_P12ihipStream_tbDpT10_ENKUlT_T0_E_clISt17integral_constantIbLb1EES18_EEDaS13_S14_EUlS13_E_NS1_11comp_targetILNS1_3genE4ELNS1_11target_archE910ELNS1_3gpuE8ELNS1_3repE0EEENS1_30default_config_static_selectorELNS0_4arch9wavefront6targetE0EEEvT1_.kd
    .uniform_work_group_size: 1
    .uses_dynamic_stack: false
    .vgpr_count:     0
    .vgpr_spill_count: 0
    .wavefront_size: 32
    .workgroup_processor_mode: 1
  - .args:
      - .offset:         0
        .size:           128
        .value_kind:     by_value
    .group_segment_fixed_size: 0
    .kernarg_segment_align: 8
    .kernarg_segment_size: 128
    .language:       OpenCL C
    .language_version:
      - 2
      - 0
    .max_flat_workgroup_size: 256
    .name:           _ZN7rocprim17ROCPRIM_400000_NS6detail17trampoline_kernelINS0_14default_configENS1_25partition_config_selectorILNS1_17partition_subalgoE6EtNS0_10empty_typeEbEEZZNS1_14partition_implILS5_6ELb0ES3_mN6thrust23THRUST_200600_302600_NS6detail15normal_iteratorINSA_10device_ptrItEEEEPS6_SG_NS0_5tupleIJSF_S6_EEENSH_IJSG_SG_EEES6_PlJNSB_9not_fun_tINSB_14equal_to_valueItEEEEEEE10hipError_tPvRmT3_T4_T5_T6_T7_T9_mT8_P12ihipStream_tbDpT10_ENKUlT_T0_E_clISt17integral_constantIbLb1EES18_EEDaS13_S14_EUlS13_E_NS1_11comp_targetILNS1_3genE3ELNS1_11target_archE908ELNS1_3gpuE7ELNS1_3repE0EEENS1_30default_config_static_selectorELNS0_4arch9wavefront6targetE0EEEvT1_
    .private_segment_fixed_size: 0
    .sgpr_count:     0
    .sgpr_spill_count: 0
    .symbol:         _ZN7rocprim17ROCPRIM_400000_NS6detail17trampoline_kernelINS0_14default_configENS1_25partition_config_selectorILNS1_17partition_subalgoE6EtNS0_10empty_typeEbEEZZNS1_14partition_implILS5_6ELb0ES3_mN6thrust23THRUST_200600_302600_NS6detail15normal_iteratorINSA_10device_ptrItEEEEPS6_SG_NS0_5tupleIJSF_S6_EEENSH_IJSG_SG_EEES6_PlJNSB_9not_fun_tINSB_14equal_to_valueItEEEEEEE10hipError_tPvRmT3_T4_T5_T6_T7_T9_mT8_P12ihipStream_tbDpT10_ENKUlT_T0_E_clISt17integral_constantIbLb1EES18_EEDaS13_S14_EUlS13_E_NS1_11comp_targetILNS1_3genE3ELNS1_11target_archE908ELNS1_3gpuE7ELNS1_3repE0EEENS1_30default_config_static_selectorELNS0_4arch9wavefront6targetE0EEEvT1_.kd
    .uniform_work_group_size: 1
    .uses_dynamic_stack: false
    .vgpr_count:     0
    .vgpr_spill_count: 0
    .wavefront_size: 32
    .workgroup_processor_mode: 1
  - .args:
      - .offset:         0
        .size:           128
        .value_kind:     by_value
    .group_segment_fixed_size: 0
    .kernarg_segment_align: 8
    .kernarg_segment_size: 128
    .language:       OpenCL C
    .language_version:
      - 2
      - 0
    .max_flat_workgroup_size: 256
    .name:           _ZN7rocprim17ROCPRIM_400000_NS6detail17trampoline_kernelINS0_14default_configENS1_25partition_config_selectorILNS1_17partition_subalgoE6EtNS0_10empty_typeEbEEZZNS1_14partition_implILS5_6ELb0ES3_mN6thrust23THRUST_200600_302600_NS6detail15normal_iteratorINSA_10device_ptrItEEEEPS6_SG_NS0_5tupleIJSF_S6_EEENSH_IJSG_SG_EEES6_PlJNSB_9not_fun_tINSB_14equal_to_valueItEEEEEEE10hipError_tPvRmT3_T4_T5_T6_T7_T9_mT8_P12ihipStream_tbDpT10_ENKUlT_T0_E_clISt17integral_constantIbLb1EES18_EEDaS13_S14_EUlS13_E_NS1_11comp_targetILNS1_3genE2ELNS1_11target_archE906ELNS1_3gpuE6ELNS1_3repE0EEENS1_30default_config_static_selectorELNS0_4arch9wavefront6targetE0EEEvT1_
    .private_segment_fixed_size: 0
    .sgpr_count:     0
    .sgpr_spill_count: 0
    .symbol:         _ZN7rocprim17ROCPRIM_400000_NS6detail17trampoline_kernelINS0_14default_configENS1_25partition_config_selectorILNS1_17partition_subalgoE6EtNS0_10empty_typeEbEEZZNS1_14partition_implILS5_6ELb0ES3_mN6thrust23THRUST_200600_302600_NS6detail15normal_iteratorINSA_10device_ptrItEEEEPS6_SG_NS0_5tupleIJSF_S6_EEENSH_IJSG_SG_EEES6_PlJNSB_9not_fun_tINSB_14equal_to_valueItEEEEEEE10hipError_tPvRmT3_T4_T5_T6_T7_T9_mT8_P12ihipStream_tbDpT10_ENKUlT_T0_E_clISt17integral_constantIbLb1EES18_EEDaS13_S14_EUlS13_E_NS1_11comp_targetILNS1_3genE2ELNS1_11target_archE906ELNS1_3gpuE6ELNS1_3repE0EEENS1_30default_config_static_selectorELNS0_4arch9wavefront6targetE0EEEvT1_.kd
    .uniform_work_group_size: 1
    .uses_dynamic_stack: false
    .vgpr_count:     0
    .vgpr_spill_count: 0
    .wavefront_size: 32
    .workgroup_processor_mode: 1
  - .args:
      - .offset:         0
        .size:           128
        .value_kind:     by_value
    .group_segment_fixed_size: 0
    .kernarg_segment_align: 8
    .kernarg_segment_size: 128
    .language:       OpenCL C
    .language_version:
      - 2
      - 0
    .max_flat_workgroup_size: 384
    .name:           _ZN7rocprim17ROCPRIM_400000_NS6detail17trampoline_kernelINS0_14default_configENS1_25partition_config_selectorILNS1_17partition_subalgoE6EtNS0_10empty_typeEbEEZZNS1_14partition_implILS5_6ELb0ES3_mN6thrust23THRUST_200600_302600_NS6detail15normal_iteratorINSA_10device_ptrItEEEEPS6_SG_NS0_5tupleIJSF_S6_EEENSH_IJSG_SG_EEES6_PlJNSB_9not_fun_tINSB_14equal_to_valueItEEEEEEE10hipError_tPvRmT3_T4_T5_T6_T7_T9_mT8_P12ihipStream_tbDpT10_ENKUlT_T0_E_clISt17integral_constantIbLb1EES18_EEDaS13_S14_EUlS13_E_NS1_11comp_targetILNS1_3genE10ELNS1_11target_archE1200ELNS1_3gpuE4ELNS1_3repE0EEENS1_30default_config_static_selectorELNS0_4arch9wavefront6targetE0EEEvT1_
    .private_segment_fixed_size: 0
    .sgpr_count:     0
    .sgpr_spill_count: 0
    .symbol:         _ZN7rocprim17ROCPRIM_400000_NS6detail17trampoline_kernelINS0_14default_configENS1_25partition_config_selectorILNS1_17partition_subalgoE6EtNS0_10empty_typeEbEEZZNS1_14partition_implILS5_6ELb0ES3_mN6thrust23THRUST_200600_302600_NS6detail15normal_iteratorINSA_10device_ptrItEEEEPS6_SG_NS0_5tupleIJSF_S6_EEENSH_IJSG_SG_EEES6_PlJNSB_9not_fun_tINSB_14equal_to_valueItEEEEEEE10hipError_tPvRmT3_T4_T5_T6_T7_T9_mT8_P12ihipStream_tbDpT10_ENKUlT_T0_E_clISt17integral_constantIbLb1EES18_EEDaS13_S14_EUlS13_E_NS1_11comp_targetILNS1_3genE10ELNS1_11target_archE1200ELNS1_3gpuE4ELNS1_3repE0EEENS1_30default_config_static_selectorELNS0_4arch9wavefront6targetE0EEEvT1_.kd
    .uniform_work_group_size: 1
    .uses_dynamic_stack: false
    .vgpr_count:     0
    .vgpr_spill_count: 0
    .wavefront_size: 32
    .workgroup_processor_mode: 1
  - .args:
      - .offset:         0
        .size:           128
        .value_kind:     by_value
    .group_segment_fixed_size: 0
    .kernarg_segment_align: 8
    .kernarg_segment_size: 128
    .language:       OpenCL C
    .language_version:
      - 2
      - 0
    .max_flat_workgroup_size: 128
    .name:           _ZN7rocprim17ROCPRIM_400000_NS6detail17trampoline_kernelINS0_14default_configENS1_25partition_config_selectorILNS1_17partition_subalgoE6EtNS0_10empty_typeEbEEZZNS1_14partition_implILS5_6ELb0ES3_mN6thrust23THRUST_200600_302600_NS6detail15normal_iteratorINSA_10device_ptrItEEEEPS6_SG_NS0_5tupleIJSF_S6_EEENSH_IJSG_SG_EEES6_PlJNSB_9not_fun_tINSB_14equal_to_valueItEEEEEEE10hipError_tPvRmT3_T4_T5_T6_T7_T9_mT8_P12ihipStream_tbDpT10_ENKUlT_T0_E_clISt17integral_constantIbLb1EES18_EEDaS13_S14_EUlS13_E_NS1_11comp_targetILNS1_3genE9ELNS1_11target_archE1100ELNS1_3gpuE3ELNS1_3repE0EEENS1_30default_config_static_selectorELNS0_4arch9wavefront6targetE0EEEvT1_
    .private_segment_fixed_size: 0
    .sgpr_count:     0
    .sgpr_spill_count: 0
    .symbol:         _ZN7rocprim17ROCPRIM_400000_NS6detail17trampoline_kernelINS0_14default_configENS1_25partition_config_selectorILNS1_17partition_subalgoE6EtNS0_10empty_typeEbEEZZNS1_14partition_implILS5_6ELb0ES3_mN6thrust23THRUST_200600_302600_NS6detail15normal_iteratorINSA_10device_ptrItEEEEPS6_SG_NS0_5tupleIJSF_S6_EEENSH_IJSG_SG_EEES6_PlJNSB_9not_fun_tINSB_14equal_to_valueItEEEEEEE10hipError_tPvRmT3_T4_T5_T6_T7_T9_mT8_P12ihipStream_tbDpT10_ENKUlT_T0_E_clISt17integral_constantIbLb1EES18_EEDaS13_S14_EUlS13_E_NS1_11comp_targetILNS1_3genE9ELNS1_11target_archE1100ELNS1_3gpuE3ELNS1_3repE0EEENS1_30default_config_static_selectorELNS0_4arch9wavefront6targetE0EEEvT1_.kd
    .uniform_work_group_size: 1
    .uses_dynamic_stack: false
    .vgpr_count:     0
    .vgpr_spill_count: 0
    .wavefront_size: 32
    .workgroup_processor_mode: 1
  - .args:
      - .offset:         0
        .size:           128
        .value_kind:     by_value
    .group_segment_fixed_size: 0
    .kernarg_segment_align: 8
    .kernarg_segment_size: 128
    .language:       OpenCL C
    .language_version:
      - 2
      - 0
    .max_flat_workgroup_size: 256
    .name:           _ZN7rocprim17ROCPRIM_400000_NS6detail17trampoline_kernelINS0_14default_configENS1_25partition_config_selectorILNS1_17partition_subalgoE6EtNS0_10empty_typeEbEEZZNS1_14partition_implILS5_6ELb0ES3_mN6thrust23THRUST_200600_302600_NS6detail15normal_iteratorINSA_10device_ptrItEEEEPS6_SG_NS0_5tupleIJSF_S6_EEENSH_IJSG_SG_EEES6_PlJNSB_9not_fun_tINSB_14equal_to_valueItEEEEEEE10hipError_tPvRmT3_T4_T5_T6_T7_T9_mT8_P12ihipStream_tbDpT10_ENKUlT_T0_E_clISt17integral_constantIbLb1EES18_EEDaS13_S14_EUlS13_E_NS1_11comp_targetILNS1_3genE8ELNS1_11target_archE1030ELNS1_3gpuE2ELNS1_3repE0EEENS1_30default_config_static_selectorELNS0_4arch9wavefront6targetE0EEEvT1_
    .private_segment_fixed_size: 0
    .sgpr_count:     0
    .sgpr_spill_count: 0
    .symbol:         _ZN7rocprim17ROCPRIM_400000_NS6detail17trampoline_kernelINS0_14default_configENS1_25partition_config_selectorILNS1_17partition_subalgoE6EtNS0_10empty_typeEbEEZZNS1_14partition_implILS5_6ELb0ES3_mN6thrust23THRUST_200600_302600_NS6detail15normal_iteratorINSA_10device_ptrItEEEEPS6_SG_NS0_5tupleIJSF_S6_EEENSH_IJSG_SG_EEES6_PlJNSB_9not_fun_tINSB_14equal_to_valueItEEEEEEE10hipError_tPvRmT3_T4_T5_T6_T7_T9_mT8_P12ihipStream_tbDpT10_ENKUlT_T0_E_clISt17integral_constantIbLb1EES18_EEDaS13_S14_EUlS13_E_NS1_11comp_targetILNS1_3genE8ELNS1_11target_archE1030ELNS1_3gpuE2ELNS1_3repE0EEENS1_30default_config_static_selectorELNS0_4arch9wavefront6targetE0EEEvT1_.kd
    .uniform_work_group_size: 1
    .uses_dynamic_stack: false
    .vgpr_count:     0
    .vgpr_spill_count: 0
    .wavefront_size: 32
    .workgroup_processor_mode: 1
  - .args:
      - .offset:         0
        .size:           112
        .value_kind:     by_value
    .group_segment_fixed_size: 0
    .kernarg_segment_align: 8
    .kernarg_segment_size: 112
    .language:       OpenCL C
    .language_version:
      - 2
      - 0
    .max_flat_workgroup_size: 256
    .name:           _ZN7rocprim17ROCPRIM_400000_NS6detail17trampoline_kernelINS0_14default_configENS1_25partition_config_selectorILNS1_17partition_subalgoE6EtNS0_10empty_typeEbEEZZNS1_14partition_implILS5_6ELb0ES3_mN6thrust23THRUST_200600_302600_NS6detail15normal_iteratorINSA_10device_ptrItEEEEPS6_SG_NS0_5tupleIJSF_S6_EEENSH_IJSG_SG_EEES6_PlJNSB_9not_fun_tINSB_14equal_to_valueItEEEEEEE10hipError_tPvRmT3_T4_T5_T6_T7_T9_mT8_P12ihipStream_tbDpT10_ENKUlT_T0_E_clISt17integral_constantIbLb1EES17_IbLb0EEEEDaS13_S14_EUlS13_E_NS1_11comp_targetILNS1_3genE0ELNS1_11target_archE4294967295ELNS1_3gpuE0ELNS1_3repE0EEENS1_30default_config_static_selectorELNS0_4arch9wavefront6targetE0EEEvT1_
    .private_segment_fixed_size: 0
    .sgpr_count:     0
    .sgpr_spill_count: 0
    .symbol:         _ZN7rocprim17ROCPRIM_400000_NS6detail17trampoline_kernelINS0_14default_configENS1_25partition_config_selectorILNS1_17partition_subalgoE6EtNS0_10empty_typeEbEEZZNS1_14partition_implILS5_6ELb0ES3_mN6thrust23THRUST_200600_302600_NS6detail15normal_iteratorINSA_10device_ptrItEEEEPS6_SG_NS0_5tupleIJSF_S6_EEENSH_IJSG_SG_EEES6_PlJNSB_9not_fun_tINSB_14equal_to_valueItEEEEEEE10hipError_tPvRmT3_T4_T5_T6_T7_T9_mT8_P12ihipStream_tbDpT10_ENKUlT_T0_E_clISt17integral_constantIbLb1EES17_IbLb0EEEEDaS13_S14_EUlS13_E_NS1_11comp_targetILNS1_3genE0ELNS1_11target_archE4294967295ELNS1_3gpuE0ELNS1_3repE0EEENS1_30default_config_static_selectorELNS0_4arch9wavefront6targetE0EEEvT1_.kd
    .uniform_work_group_size: 1
    .uses_dynamic_stack: false
    .vgpr_count:     0
    .vgpr_spill_count: 0
    .wavefront_size: 32
    .workgroup_processor_mode: 1
  - .args:
      - .offset:         0
        .size:           112
        .value_kind:     by_value
    .group_segment_fixed_size: 0
    .kernarg_segment_align: 8
    .kernarg_segment_size: 112
    .language:       OpenCL C
    .language_version:
      - 2
      - 0
    .max_flat_workgroup_size: 512
    .name:           _ZN7rocprim17ROCPRIM_400000_NS6detail17trampoline_kernelINS0_14default_configENS1_25partition_config_selectorILNS1_17partition_subalgoE6EtNS0_10empty_typeEbEEZZNS1_14partition_implILS5_6ELb0ES3_mN6thrust23THRUST_200600_302600_NS6detail15normal_iteratorINSA_10device_ptrItEEEEPS6_SG_NS0_5tupleIJSF_S6_EEENSH_IJSG_SG_EEES6_PlJNSB_9not_fun_tINSB_14equal_to_valueItEEEEEEE10hipError_tPvRmT3_T4_T5_T6_T7_T9_mT8_P12ihipStream_tbDpT10_ENKUlT_T0_E_clISt17integral_constantIbLb1EES17_IbLb0EEEEDaS13_S14_EUlS13_E_NS1_11comp_targetILNS1_3genE5ELNS1_11target_archE942ELNS1_3gpuE9ELNS1_3repE0EEENS1_30default_config_static_selectorELNS0_4arch9wavefront6targetE0EEEvT1_
    .private_segment_fixed_size: 0
    .sgpr_count:     0
    .sgpr_spill_count: 0
    .symbol:         _ZN7rocprim17ROCPRIM_400000_NS6detail17trampoline_kernelINS0_14default_configENS1_25partition_config_selectorILNS1_17partition_subalgoE6EtNS0_10empty_typeEbEEZZNS1_14partition_implILS5_6ELb0ES3_mN6thrust23THRUST_200600_302600_NS6detail15normal_iteratorINSA_10device_ptrItEEEEPS6_SG_NS0_5tupleIJSF_S6_EEENSH_IJSG_SG_EEES6_PlJNSB_9not_fun_tINSB_14equal_to_valueItEEEEEEE10hipError_tPvRmT3_T4_T5_T6_T7_T9_mT8_P12ihipStream_tbDpT10_ENKUlT_T0_E_clISt17integral_constantIbLb1EES17_IbLb0EEEEDaS13_S14_EUlS13_E_NS1_11comp_targetILNS1_3genE5ELNS1_11target_archE942ELNS1_3gpuE9ELNS1_3repE0EEENS1_30default_config_static_selectorELNS0_4arch9wavefront6targetE0EEEvT1_.kd
    .uniform_work_group_size: 1
    .uses_dynamic_stack: false
    .vgpr_count:     0
    .vgpr_spill_count: 0
    .wavefront_size: 32
    .workgroup_processor_mode: 1
  - .args:
      - .offset:         0
        .size:           112
        .value_kind:     by_value
    .group_segment_fixed_size: 0
    .kernarg_segment_align: 8
    .kernarg_segment_size: 112
    .language:       OpenCL C
    .language_version:
      - 2
      - 0
    .max_flat_workgroup_size: 256
    .name:           _ZN7rocprim17ROCPRIM_400000_NS6detail17trampoline_kernelINS0_14default_configENS1_25partition_config_selectorILNS1_17partition_subalgoE6EtNS0_10empty_typeEbEEZZNS1_14partition_implILS5_6ELb0ES3_mN6thrust23THRUST_200600_302600_NS6detail15normal_iteratorINSA_10device_ptrItEEEEPS6_SG_NS0_5tupleIJSF_S6_EEENSH_IJSG_SG_EEES6_PlJNSB_9not_fun_tINSB_14equal_to_valueItEEEEEEE10hipError_tPvRmT3_T4_T5_T6_T7_T9_mT8_P12ihipStream_tbDpT10_ENKUlT_T0_E_clISt17integral_constantIbLb1EES17_IbLb0EEEEDaS13_S14_EUlS13_E_NS1_11comp_targetILNS1_3genE4ELNS1_11target_archE910ELNS1_3gpuE8ELNS1_3repE0EEENS1_30default_config_static_selectorELNS0_4arch9wavefront6targetE0EEEvT1_
    .private_segment_fixed_size: 0
    .sgpr_count:     0
    .sgpr_spill_count: 0
    .symbol:         _ZN7rocprim17ROCPRIM_400000_NS6detail17trampoline_kernelINS0_14default_configENS1_25partition_config_selectorILNS1_17partition_subalgoE6EtNS0_10empty_typeEbEEZZNS1_14partition_implILS5_6ELb0ES3_mN6thrust23THRUST_200600_302600_NS6detail15normal_iteratorINSA_10device_ptrItEEEEPS6_SG_NS0_5tupleIJSF_S6_EEENSH_IJSG_SG_EEES6_PlJNSB_9not_fun_tINSB_14equal_to_valueItEEEEEEE10hipError_tPvRmT3_T4_T5_T6_T7_T9_mT8_P12ihipStream_tbDpT10_ENKUlT_T0_E_clISt17integral_constantIbLb1EES17_IbLb0EEEEDaS13_S14_EUlS13_E_NS1_11comp_targetILNS1_3genE4ELNS1_11target_archE910ELNS1_3gpuE8ELNS1_3repE0EEENS1_30default_config_static_selectorELNS0_4arch9wavefront6targetE0EEEvT1_.kd
    .uniform_work_group_size: 1
    .uses_dynamic_stack: false
    .vgpr_count:     0
    .vgpr_spill_count: 0
    .wavefront_size: 32
    .workgroup_processor_mode: 1
  - .args:
      - .offset:         0
        .size:           112
        .value_kind:     by_value
    .group_segment_fixed_size: 0
    .kernarg_segment_align: 8
    .kernarg_segment_size: 112
    .language:       OpenCL C
    .language_version:
      - 2
      - 0
    .max_flat_workgroup_size: 256
    .name:           _ZN7rocprim17ROCPRIM_400000_NS6detail17trampoline_kernelINS0_14default_configENS1_25partition_config_selectorILNS1_17partition_subalgoE6EtNS0_10empty_typeEbEEZZNS1_14partition_implILS5_6ELb0ES3_mN6thrust23THRUST_200600_302600_NS6detail15normal_iteratorINSA_10device_ptrItEEEEPS6_SG_NS0_5tupleIJSF_S6_EEENSH_IJSG_SG_EEES6_PlJNSB_9not_fun_tINSB_14equal_to_valueItEEEEEEE10hipError_tPvRmT3_T4_T5_T6_T7_T9_mT8_P12ihipStream_tbDpT10_ENKUlT_T0_E_clISt17integral_constantIbLb1EES17_IbLb0EEEEDaS13_S14_EUlS13_E_NS1_11comp_targetILNS1_3genE3ELNS1_11target_archE908ELNS1_3gpuE7ELNS1_3repE0EEENS1_30default_config_static_selectorELNS0_4arch9wavefront6targetE0EEEvT1_
    .private_segment_fixed_size: 0
    .sgpr_count:     0
    .sgpr_spill_count: 0
    .symbol:         _ZN7rocprim17ROCPRIM_400000_NS6detail17trampoline_kernelINS0_14default_configENS1_25partition_config_selectorILNS1_17partition_subalgoE6EtNS0_10empty_typeEbEEZZNS1_14partition_implILS5_6ELb0ES3_mN6thrust23THRUST_200600_302600_NS6detail15normal_iteratorINSA_10device_ptrItEEEEPS6_SG_NS0_5tupleIJSF_S6_EEENSH_IJSG_SG_EEES6_PlJNSB_9not_fun_tINSB_14equal_to_valueItEEEEEEE10hipError_tPvRmT3_T4_T5_T6_T7_T9_mT8_P12ihipStream_tbDpT10_ENKUlT_T0_E_clISt17integral_constantIbLb1EES17_IbLb0EEEEDaS13_S14_EUlS13_E_NS1_11comp_targetILNS1_3genE3ELNS1_11target_archE908ELNS1_3gpuE7ELNS1_3repE0EEENS1_30default_config_static_selectorELNS0_4arch9wavefront6targetE0EEEvT1_.kd
    .uniform_work_group_size: 1
    .uses_dynamic_stack: false
    .vgpr_count:     0
    .vgpr_spill_count: 0
    .wavefront_size: 32
    .workgroup_processor_mode: 1
  - .args:
      - .offset:         0
        .size:           112
        .value_kind:     by_value
    .group_segment_fixed_size: 0
    .kernarg_segment_align: 8
    .kernarg_segment_size: 112
    .language:       OpenCL C
    .language_version:
      - 2
      - 0
    .max_flat_workgroup_size: 256
    .name:           _ZN7rocprim17ROCPRIM_400000_NS6detail17trampoline_kernelINS0_14default_configENS1_25partition_config_selectorILNS1_17partition_subalgoE6EtNS0_10empty_typeEbEEZZNS1_14partition_implILS5_6ELb0ES3_mN6thrust23THRUST_200600_302600_NS6detail15normal_iteratorINSA_10device_ptrItEEEEPS6_SG_NS0_5tupleIJSF_S6_EEENSH_IJSG_SG_EEES6_PlJNSB_9not_fun_tINSB_14equal_to_valueItEEEEEEE10hipError_tPvRmT3_T4_T5_T6_T7_T9_mT8_P12ihipStream_tbDpT10_ENKUlT_T0_E_clISt17integral_constantIbLb1EES17_IbLb0EEEEDaS13_S14_EUlS13_E_NS1_11comp_targetILNS1_3genE2ELNS1_11target_archE906ELNS1_3gpuE6ELNS1_3repE0EEENS1_30default_config_static_selectorELNS0_4arch9wavefront6targetE0EEEvT1_
    .private_segment_fixed_size: 0
    .sgpr_count:     0
    .sgpr_spill_count: 0
    .symbol:         _ZN7rocprim17ROCPRIM_400000_NS6detail17trampoline_kernelINS0_14default_configENS1_25partition_config_selectorILNS1_17partition_subalgoE6EtNS0_10empty_typeEbEEZZNS1_14partition_implILS5_6ELb0ES3_mN6thrust23THRUST_200600_302600_NS6detail15normal_iteratorINSA_10device_ptrItEEEEPS6_SG_NS0_5tupleIJSF_S6_EEENSH_IJSG_SG_EEES6_PlJNSB_9not_fun_tINSB_14equal_to_valueItEEEEEEE10hipError_tPvRmT3_T4_T5_T6_T7_T9_mT8_P12ihipStream_tbDpT10_ENKUlT_T0_E_clISt17integral_constantIbLb1EES17_IbLb0EEEEDaS13_S14_EUlS13_E_NS1_11comp_targetILNS1_3genE2ELNS1_11target_archE906ELNS1_3gpuE6ELNS1_3repE0EEENS1_30default_config_static_selectorELNS0_4arch9wavefront6targetE0EEEvT1_.kd
    .uniform_work_group_size: 1
    .uses_dynamic_stack: false
    .vgpr_count:     0
    .vgpr_spill_count: 0
    .wavefront_size: 32
    .workgroup_processor_mode: 1
  - .args:
      - .offset:         0
        .size:           112
        .value_kind:     by_value
    .group_segment_fixed_size: 0
    .kernarg_segment_align: 8
    .kernarg_segment_size: 112
    .language:       OpenCL C
    .language_version:
      - 2
      - 0
    .max_flat_workgroup_size: 384
    .name:           _ZN7rocprim17ROCPRIM_400000_NS6detail17trampoline_kernelINS0_14default_configENS1_25partition_config_selectorILNS1_17partition_subalgoE6EtNS0_10empty_typeEbEEZZNS1_14partition_implILS5_6ELb0ES3_mN6thrust23THRUST_200600_302600_NS6detail15normal_iteratorINSA_10device_ptrItEEEEPS6_SG_NS0_5tupleIJSF_S6_EEENSH_IJSG_SG_EEES6_PlJNSB_9not_fun_tINSB_14equal_to_valueItEEEEEEE10hipError_tPvRmT3_T4_T5_T6_T7_T9_mT8_P12ihipStream_tbDpT10_ENKUlT_T0_E_clISt17integral_constantIbLb1EES17_IbLb0EEEEDaS13_S14_EUlS13_E_NS1_11comp_targetILNS1_3genE10ELNS1_11target_archE1200ELNS1_3gpuE4ELNS1_3repE0EEENS1_30default_config_static_selectorELNS0_4arch9wavefront6targetE0EEEvT1_
    .private_segment_fixed_size: 0
    .sgpr_count:     0
    .sgpr_spill_count: 0
    .symbol:         _ZN7rocprim17ROCPRIM_400000_NS6detail17trampoline_kernelINS0_14default_configENS1_25partition_config_selectorILNS1_17partition_subalgoE6EtNS0_10empty_typeEbEEZZNS1_14partition_implILS5_6ELb0ES3_mN6thrust23THRUST_200600_302600_NS6detail15normal_iteratorINSA_10device_ptrItEEEEPS6_SG_NS0_5tupleIJSF_S6_EEENSH_IJSG_SG_EEES6_PlJNSB_9not_fun_tINSB_14equal_to_valueItEEEEEEE10hipError_tPvRmT3_T4_T5_T6_T7_T9_mT8_P12ihipStream_tbDpT10_ENKUlT_T0_E_clISt17integral_constantIbLb1EES17_IbLb0EEEEDaS13_S14_EUlS13_E_NS1_11comp_targetILNS1_3genE10ELNS1_11target_archE1200ELNS1_3gpuE4ELNS1_3repE0EEENS1_30default_config_static_selectorELNS0_4arch9wavefront6targetE0EEEvT1_.kd
    .uniform_work_group_size: 1
    .uses_dynamic_stack: false
    .vgpr_count:     0
    .vgpr_spill_count: 0
    .wavefront_size: 32
    .workgroup_processor_mode: 1
  - .args:
      - .offset:         0
        .size:           112
        .value_kind:     by_value
    .group_segment_fixed_size: 0
    .kernarg_segment_align: 8
    .kernarg_segment_size: 112
    .language:       OpenCL C
    .language_version:
      - 2
      - 0
    .max_flat_workgroup_size: 128
    .name:           _ZN7rocprim17ROCPRIM_400000_NS6detail17trampoline_kernelINS0_14default_configENS1_25partition_config_selectorILNS1_17partition_subalgoE6EtNS0_10empty_typeEbEEZZNS1_14partition_implILS5_6ELb0ES3_mN6thrust23THRUST_200600_302600_NS6detail15normal_iteratorINSA_10device_ptrItEEEEPS6_SG_NS0_5tupleIJSF_S6_EEENSH_IJSG_SG_EEES6_PlJNSB_9not_fun_tINSB_14equal_to_valueItEEEEEEE10hipError_tPvRmT3_T4_T5_T6_T7_T9_mT8_P12ihipStream_tbDpT10_ENKUlT_T0_E_clISt17integral_constantIbLb1EES17_IbLb0EEEEDaS13_S14_EUlS13_E_NS1_11comp_targetILNS1_3genE9ELNS1_11target_archE1100ELNS1_3gpuE3ELNS1_3repE0EEENS1_30default_config_static_selectorELNS0_4arch9wavefront6targetE0EEEvT1_
    .private_segment_fixed_size: 0
    .sgpr_count:     0
    .sgpr_spill_count: 0
    .symbol:         _ZN7rocprim17ROCPRIM_400000_NS6detail17trampoline_kernelINS0_14default_configENS1_25partition_config_selectorILNS1_17partition_subalgoE6EtNS0_10empty_typeEbEEZZNS1_14partition_implILS5_6ELb0ES3_mN6thrust23THRUST_200600_302600_NS6detail15normal_iteratorINSA_10device_ptrItEEEEPS6_SG_NS0_5tupleIJSF_S6_EEENSH_IJSG_SG_EEES6_PlJNSB_9not_fun_tINSB_14equal_to_valueItEEEEEEE10hipError_tPvRmT3_T4_T5_T6_T7_T9_mT8_P12ihipStream_tbDpT10_ENKUlT_T0_E_clISt17integral_constantIbLb1EES17_IbLb0EEEEDaS13_S14_EUlS13_E_NS1_11comp_targetILNS1_3genE9ELNS1_11target_archE1100ELNS1_3gpuE3ELNS1_3repE0EEENS1_30default_config_static_selectorELNS0_4arch9wavefront6targetE0EEEvT1_.kd
    .uniform_work_group_size: 1
    .uses_dynamic_stack: false
    .vgpr_count:     0
    .vgpr_spill_count: 0
    .wavefront_size: 32
    .workgroup_processor_mode: 1
  - .args:
      - .offset:         0
        .size:           112
        .value_kind:     by_value
    .group_segment_fixed_size: 0
    .kernarg_segment_align: 8
    .kernarg_segment_size: 112
    .language:       OpenCL C
    .language_version:
      - 2
      - 0
    .max_flat_workgroup_size: 256
    .name:           _ZN7rocprim17ROCPRIM_400000_NS6detail17trampoline_kernelINS0_14default_configENS1_25partition_config_selectorILNS1_17partition_subalgoE6EtNS0_10empty_typeEbEEZZNS1_14partition_implILS5_6ELb0ES3_mN6thrust23THRUST_200600_302600_NS6detail15normal_iteratorINSA_10device_ptrItEEEEPS6_SG_NS0_5tupleIJSF_S6_EEENSH_IJSG_SG_EEES6_PlJNSB_9not_fun_tINSB_14equal_to_valueItEEEEEEE10hipError_tPvRmT3_T4_T5_T6_T7_T9_mT8_P12ihipStream_tbDpT10_ENKUlT_T0_E_clISt17integral_constantIbLb1EES17_IbLb0EEEEDaS13_S14_EUlS13_E_NS1_11comp_targetILNS1_3genE8ELNS1_11target_archE1030ELNS1_3gpuE2ELNS1_3repE0EEENS1_30default_config_static_selectorELNS0_4arch9wavefront6targetE0EEEvT1_
    .private_segment_fixed_size: 0
    .sgpr_count:     0
    .sgpr_spill_count: 0
    .symbol:         _ZN7rocprim17ROCPRIM_400000_NS6detail17trampoline_kernelINS0_14default_configENS1_25partition_config_selectorILNS1_17partition_subalgoE6EtNS0_10empty_typeEbEEZZNS1_14partition_implILS5_6ELb0ES3_mN6thrust23THRUST_200600_302600_NS6detail15normal_iteratorINSA_10device_ptrItEEEEPS6_SG_NS0_5tupleIJSF_S6_EEENSH_IJSG_SG_EEES6_PlJNSB_9not_fun_tINSB_14equal_to_valueItEEEEEEE10hipError_tPvRmT3_T4_T5_T6_T7_T9_mT8_P12ihipStream_tbDpT10_ENKUlT_T0_E_clISt17integral_constantIbLb1EES17_IbLb0EEEEDaS13_S14_EUlS13_E_NS1_11comp_targetILNS1_3genE8ELNS1_11target_archE1030ELNS1_3gpuE2ELNS1_3repE0EEENS1_30default_config_static_selectorELNS0_4arch9wavefront6targetE0EEEvT1_.kd
    .uniform_work_group_size: 1
    .uses_dynamic_stack: false
    .vgpr_count:     0
    .vgpr_spill_count: 0
    .wavefront_size: 32
    .workgroup_processor_mode: 1
  - .args:
      - .offset:         0
        .size:           128
        .value_kind:     by_value
    .group_segment_fixed_size: 0
    .kernarg_segment_align: 8
    .kernarg_segment_size: 128
    .language:       OpenCL C
    .language_version:
      - 2
      - 0
    .max_flat_workgroup_size: 256
    .name:           _ZN7rocprim17ROCPRIM_400000_NS6detail17trampoline_kernelINS0_14default_configENS1_25partition_config_selectorILNS1_17partition_subalgoE6EtNS0_10empty_typeEbEEZZNS1_14partition_implILS5_6ELb0ES3_mN6thrust23THRUST_200600_302600_NS6detail15normal_iteratorINSA_10device_ptrItEEEEPS6_SG_NS0_5tupleIJSF_S6_EEENSH_IJSG_SG_EEES6_PlJNSB_9not_fun_tINSB_14equal_to_valueItEEEEEEE10hipError_tPvRmT3_T4_T5_T6_T7_T9_mT8_P12ihipStream_tbDpT10_ENKUlT_T0_E_clISt17integral_constantIbLb0EES17_IbLb1EEEEDaS13_S14_EUlS13_E_NS1_11comp_targetILNS1_3genE0ELNS1_11target_archE4294967295ELNS1_3gpuE0ELNS1_3repE0EEENS1_30default_config_static_selectorELNS0_4arch9wavefront6targetE0EEEvT1_
    .private_segment_fixed_size: 0
    .sgpr_count:     0
    .sgpr_spill_count: 0
    .symbol:         _ZN7rocprim17ROCPRIM_400000_NS6detail17trampoline_kernelINS0_14default_configENS1_25partition_config_selectorILNS1_17partition_subalgoE6EtNS0_10empty_typeEbEEZZNS1_14partition_implILS5_6ELb0ES3_mN6thrust23THRUST_200600_302600_NS6detail15normal_iteratorINSA_10device_ptrItEEEEPS6_SG_NS0_5tupleIJSF_S6_EEENSH_IJSG_SG_EEES6_PlJNSB_9not_fun_tINSB_14equal_to_valueItEEEEEEE10hipError_tPvRmT3_T4_T5_T6_T7_T9_mT8_P12ihipStream_tbDpT10_ENKUlT_T0_E_clISt17integral_constantIbLb0EES17_IbLb1EEEEDaS13_S14_EUlS13_E_NS1_11comp_targetILNS1_3genE0ELNS1_11target_archE4294967295ELNS1_3gpuE0ELNS1_3repE0EEENS1_30default_config_static_selectorELNS0_4arch9wavefront6targetE0EEEvT1_.kd
    .uniform_work_group_size: 1
    .uses_dynamic_stack: false
    .vgpr_count:     0
    .vgpr_spill_count: 0
    .wavefront_size: 32
    .workgroup_processor_mode: 1
  - .args:
      - .offset:         0
        .size:           128
        .value_kind:     by_value
    .group_segment_fixed_size: 0
    .kernarg_segment_align: 8
    .kernarg_segment_size: 128
    .language:       OpenCL C
    .language_version:
      - 2
      - 0
    .max_flat_workgroup_size: 512
    .name:           _ZN7rocprim17ROCPRIM_400000_NS6detail17trampoline_kernelINS0_14default_configENS1_25partition_config_selectorILNS1_17partition_subalgoE6EtNS0_10empty_typeEbEEZZNS1_14partition_implILS5_6ELb0ES3_mN6thrust23THRUST_200600_302600_NS6detail15normal_iteratorINSA_10device_ptrItEEEEPS6_SG_NS0_5tupleIJSF_S6_EEENSH_IJSG_SG_EEES6_PlJNSB_9not_fun_tINSB_14equal_to_valueItEEEEEEE10hipError_tPvRmT3_T4_T5_T6_T7_T9_mT8_P12ihipStream_tbDpT10_ENKUlT_T0_E_clISt17integral_constantIbLb0EES17_IbLb1EEEEDaS13_S14_EUlS13_E_NS1_11comp_targetILNS1_3genE5ELNS1_11target_archE942ELNS1_3gpuE9ELNS1_3repE0EEENS1_30default_config_static_selectorELNS0_4arch9wavefront6targetE0EEEvT1_
    .private_segment_fixed_size: 0
    .sgpr_count:     0
    .sgpr_spill_count: 0
    .symbol:         _ZN7rocprim17ROCPRIM_400000_NS6detail17trampoline_kernelINS0_14default_configENS1_25partition_config_selectorILNS1_17partition_subalgoE6EtNS0_10empty_typeEbEEZZNS1_14partition_implILS5_6ELb0ES3_mN6thrust23THRUST_200600_302600_NS6detail15normal_iteratorINSA_10device_ptrItEEEEPS6_SG_NS0_5tupleIJSF_S6_EEENSH_IJSG_SG_EEES6_PlJNSB_9not_fun_tINSB_14equal_to_valueItEEEEEEE10hipError_tPvRmT3_T4_T5_T6_T7_T9_mT8_P12ihipStream_tbDpT10_ENKUlT_T0_E_clISt17integral_constantIbLb0EES17_IbLb1EEEEDaS13_S14_EUlS13_E_NS1_11comp_targetILNS1_3genE5ELNS1_11target_archE942ELNS1_3gpuE9ELNS1_3repE0EEENS1_30default_config_static_selectorELNS0_4arch9wavefront6targetE0EEEvT1_.kd
    .uniform_work_group_size: 1
    .uses_dynamic_stack: false
    .vgpr_count:     0
    .vgpr_spill_count: 0
    .wavefront_size: 32
    .workgroup_processor_mode: 1
  - .args:
      - .offset:         0
        .size:           128
        .value_kind:     by_value
    .group_segment_fixed_size: 0
    .kernarg_segment_align: 8
    .kernarg_segment_size: 128
    .language:       OpenCL C
    .language_version:
      - 2
      - 0
    .max_flat_workgroup_size: 256
    .name:           _ZN7rocprim17ROCPRIM_400000_NS6detail17trampoline_kernelINS0_14default_configENS1_25partition_config_selectorILNS1_17partition_subalgoE6EtNS0_10empty_typeEbEEZZNS1_14partition_implILS5_6ELb0ES3_mN6thrust23THRUST_200600_302600_NS6detail15normal_iteratorINSA_10device_ptrItEEEEPS6_SG_NS0_5tupleIJSF_S6_EEENSH_IJSG_SG_EEES6_PlJNSB_9not_fun_tINSB_14equal_to_valueItEEEEEEE10hipError_tPvRmT3_T4_T5_T6_T7_T9_mT8_P12ihipStream_tbDpT10_ENKUlT_T0_E_clISt17integral_constantIbLb0EES17_IbLb1EEEEDaS13_S14_EUlS13_E_NS1_11comp_targetILNS1_3genE4ELNS1_11target_archE910ELNS1_3gpuE8ELNS1_3repE0EEENS1_30default_config_static_selectorELNS0_4arch9wavefront6targetE0EEEvT1_
    .private_segment_fixed_size: 0
    .sgpr_count:     0
    .sgpr_spill_count: 0
    .symbol:         _ZN7rocprim17ROCPRIM_400000_NS6detail17trampoline_kernelINS0_14default_configENS1_25partition_config_selectorILNS1_17partition_subalgoE6EtNS0_10empty_typeEbEEZZNS1_14partition_implILS5_6ELb0ES3_mN6thrust23THRUST_200600_302600_NS6detail15normal_iteratorINSA_10device_ptrItEEEEPS6_SG_NS0_5tupleIJSF_S6_EEENSH_IJSG_SG_EEES6_PlJNSB_9not_fun_tINSB_14equal_to_valueItEEEEEEE10hipError_tPvRmT3_T4_T5_T6_T7_T9_mT8_P12ihipStream_tbDpT10_ENKUlT_T0_E_clISt17integral_constantIbLb0EES17_IbLb1EEEEDaS13_S14_EUlS13_E_NS1_11comp_targetILNS1_3genE4ELNS1_11target_archE910ELNS1_3gpuE8ELNS1_3repE0EEENS1_30default_config_static_selectorELNS0_4arch9wavefront6targetE0EEEvT1_.kd
    .uniform_work_group_size: 1
    .uses_dynamic_stack: false
    .vgpr_count:     0
    .vgpr_spill_count: 0
    .wavefront_size: 32
    .workgroup_processor_mode: 1
  - .args:
      - .offset:         0
        .size:           128
        .value_kind:     by_value
    .group_segment_fixed_size: 0
    .kernarg_segment_align: 8
    .kernarg_segment_size: 128
    .language:       OpenCL C
    .language_version:
      - 2
      - 0
    .max_flat_workgroup_size: 256
    .name:           _ZN7rocprim17ROCPRIM_400000_NS6detail17trampoline_kernelINS0_14default_configENS1_25partition_config_selectorILNS1_17partition_subalgoE6EtNS0_10empty_typeEbEEZZNS1_14partition_implILS5_6ELb0ES3_mN6thrust23THRUST_200600_302600_NS6detail15normal_iteratorINSA_10device_ptrItEEEEPS6_SG_NS0_5tupleIJSF_S6_EEENSH_IJSG_SG_EEES6_PlJNSB_9not_fun_tINSB_14equal_to_valueItEEEEEEE10hipError_tPvRmT3_T4_T5_T6_T7_T9_mT8_P12ihipStream_tbDpT10_ENKUlT_T0_E_clISt17integral_constantIbLb0EES17_IbLb1EEEEDaS13_S14_EUlS13_E_NS1_11comp_targetILNS1_3genE3ELNS1_11target_archE908ELNS1_3gpuE7ELNS1_3repE0EEENS1_30default_config_static_selectorELNS0_4arch9wavefront6targetE0EEEvT1_
    .private_segment_fixed_size: 0
    .sgpr_count:     0
    .sgpr_spill_count: 0
    .symbol:         _ZN7rocprim17ROCPRIM_400000_NS6detail17trampoline_kernelINS0_14default_configENS1_25partition_config_selectorILNS1_17partition_subalgoE6EtNS0_10empty_typeEbEEZZNS1_14partition_implILS5_6ELb0ES3_mN6thrust23THRUST_200600_302600_NS6detail15normal_iteratorINSA_10device_ptrItEEEEPS6_SG_NS0_5tupleIJSF_S6_EEENSH_IJSG_SG_EEES6_PlJNSB_9not_fun_tINSB_14equal_to_valueItEEEEEEE10hipError_tPvRmT3_T4_T5_T6_T7_T9_mT8_P12ihipStream_tbDpT10_ENKUlT_T0_E_clISt17integral_constantIbLb0EES17_IbLb1EEEEDaS13_S14_EUlS13_E_NS1_11comp_targetILNS1_3genE3ELNS1_11target_archE908ELNS1_3gpuE7ELNS1_3repE0EEENS1_30default_config_static_selectorELNS0_4arch9wavefront6targetE0EEEvT1_.kd
    .uniform_work_group_size: 1
    .uses_dynamic_stack: false
    .vgpr_count:     0
    .vgpr_spill_count: 0
    .wavefront_size: 32
    .workgroup_processor_mode: 1
  - .args:
      - .offset:         0
        .size:           128
        .value_kind:     by_value
    .group_segment_fixed_size: 0
    .kernarg_segment_align: 8
    .kernarg_segment_size: 128
    .language:       OpenCL C
    .language_version:
      - 2
      - 0
    .max_flat_workgroup_size: 256
    .name:           _ZN7rocprim17ROCPRIM_400000_NS6detail17trampoline_kernelINS0_14default_configENS1_25partition_config_selectorILNS1_17partition_subalgoE6EtNS0_10empty_typeEbEEZZNS1_14partition_implILS5_6ELb0ES3_mN6thrust23THRUST_200600_302600_NS6detail15normal_iteratorINSA_10device_ptrItEEEEPS6_SG_NS0_5tupleIJSF_S6_EEENSH_IJSG_SG_EEES6_PlJNSB_9not_fun_tINSB_14equal_to_valueItEEEEEEE10hipError_tPvRmT3_T4_T5_T6_T7_T9_mT8_P12ihipStream_tbDpT10_ENKUlT_T0_E_clISt17integral_constantIbLb0EES17_IbLb1EEEEDaS13_S14_EUlS13_E_NS1_11comp_targetILNS1_3genE2ELNS1_11target_archE906ELNS1_3gpuE6ELNS1_3repE0EEENS1_30default_config_static_selectorELNS0_4arch9wavefront6targetE0EEEvT1_
    .private_segment_fixed_size: 0
    .sgpr_count:     0
    .sgpr_spill_count: 0
    .symbol:         _ZN7rocprim17ROCPRIM_400000_NS6detail17trampoline_kernelINS0_14default_configENS1_25partition_config_selectorILNS1_17partition_subalgoE6EtNS0_10empty_typeEbEEZZNS1_14partition_implILS5_6ELb0ES3_mN6thrust23THRUST_200600_302600_NS6detail15normal_iteratorINSA_10device_ptrItEEEEPS6_SG_NS0_5tupleIJSF_S6_EEENSH_IJSG_SG_EEES6_PlJNSB_9not_fun_tINSB_14equal_to_valueItEEEEEEE10hipError_tPvRmT3_T4_T5_T6_T7_T9_mT8_P12ihipStream_tbDpT10_ENKUlT_T0_E_clISt17integral_constantIbLb0EES17_IbLb1EEEEDaS13_S14_EUlS13_E_NS1_11comp_targetILNS1_3genE2ELNS1_11target_archE906ELNS1_3gpuE6ELNS1_3repE0EEENS1_30default_config_static_selectorELNS0_4arch9wavefront6targetE0EEEvT1_.kd
    .uniform_work_group_size: 1
    .uses_dynamic_stack: false
    .vgpr_count:     0
    .vgpr_spill_count: 0
    .wavefront_size: 32
    .workgroup_processor_mode: 1
  - .args:
      - .offset:         0
        .size:           128
        .value_kind:     by_value
    .group_segment_fixed_size: 13840
    .kernarg_segment_align: 8
    .kernarg_segment_size: 128
    .language:       OpenCL C
    .language_version:
      - 2
      - 0
    .max_flat_workgroup_size: 384
    .name:           _ZN7rocprim17ROCPRIM_400000_NS6detail17trampoline_kernelINS0_14default_configENS1_25partition_config_selectorILNS1_17partition_subalgoE6EtNS0_10empty_typeEbEEZZNS1_14partition_implILS5_6ELb0ES3_mN6thrust23THRUST_200600_302600_NS6detail15normal_iteratorINSA_10device_ptrItEEEEPS6_SG_NS0_5tupleIJSF_S6_EEENSH_IJSG_SG_EEES6_PlJNSB_9not_fun_tINSB_14equal_to_valueItEEEEEEE10hipError_tPvRmT3_T4_T5_T6_T7_T9_mT8_P12ihipStream_tbDpT10_ENKUlT_T0_E_clISt17integral_constantIbLb0EES17_IbLb1EEEEDaS13_S14_EUlS13_E_NS1_11comp_targetILNS1_3genE10ELNS1_11target_archE1200ELNS1_3gpuE4ELNS1_3repE0EEENS1_30default_config_static_selectorELNS0_4arch9wavefront6targetE0EEEvT1_
    .private_segment_fixed_size: 0
    .sgpr_count:     33
    .sgpr_spill_count: 0
    .symbol:         _ZN7rocprim17ROCPRIM_400000_NS6detail17trampoline_kernelINS0_14default_configENS1_25partition_config_selectorILNS1_17partition_subalgoE6EtNS0_10empty_typeEbEEZZNS1_14partition_implILS5_6ELb0ES3_mN6thrust23THRUST_200600_302600_NS6detail15normal_iteratorINSA_10device_ptrItEEEEPS6_SG_NS0_5tupleIJSF_S6_EEENSH_IJSG_SG_EEES6_PlJNSB_9not_fun_tINSB_14equal_to_valueItEEEEEEE10hipError_tPvRmT3_T4_T5_T6_T7_T9_mT8_P12ihipStream_tbDpT10_ENKUlT_T0_E_clISt17integral_constantIbLb0EES17_IbLb1EEEEDaS13_S14_EUlS13_E_NS1_11comp_targetILNS1_3genE10ELNS1_11target_archE1200ELNS1_3gpuE4ELNS1_3repE0EEENS1_30default_config_static_selectorELNS0_4arch9wavefront6targetE0EEEvT1_.kd
    .uniform_work_group_size: 1
    .uses_dynamic_stack: false
    .vgpr_count:     78
    .vgpr_spill_count: 0
    .wavefront_size: 32
    .workgroup_processor_mode: 1
  - .args:
      - .offset:         0
        .size:           128
        .value_kind:     by_value
    .group_segment_fixed_size: 0
    .kernarg_segment_align: 8
    .kernarg_segment_size: 128
    .language:       OpenCL C
    .language_version:
      - 2
      - 0
    .max_flat_workgroup_size: 128
    .name:           _ZN7rocprim17ROCPRIM_400000_NS6detail17trampoline_kernelINS0_14default_configENS1_25partition_config_selectorILNS1_17partition_subalgoE6EtNS0_10empty_typeEbEEZZNS1_14partition_implILS5_6ELb0ES3_mN6thrust23THRUST_200600_302600_NS6detail15normal_iteratorINSA_10device_ptrItEEEEPS6_SG_NS0_5tupleIJSF_S6_EEENSH_IJSG_SG_EEES6_PlJNSB_9not_fun_tINSB_14equal_to_valueItEEEEEEE10hipError_tPvRmT3_T4_T5_T6_T7_T9_mT8_P12ihipStream_tbDpT10_ENKUlT_T0_E_clISt17integral_constantIbLb0EES17_IbLb1EEEEDaS13_S14_EUlS13_E_NS1_11comp_targetILNS1_3genE9ELNS1_11target_archE1100ELNS1_3gpuE3ELNS1_3repE0EEENS1_30default_config_static_selectorELNS0_4arch9wavefront6targetE0EEEvT1_
    .private_segment_fixed_size: 0
    .sgpr_count:     0
    .sgpr_spill_count: 0
    .symbol:         _ZN7rocprim17ROCPRIM_400000_NS6detail17trampoline_kernelINS0_14default_configENS1_25partition_config_selectorILNS1_17partition_subalgoE6EtNS0_10empty_typeEbEEZZNS1_14partition_implILS5_6ELb0ES3_mN6thrust23THRUST_200600_302600_NS6detail15normal_iteratorINSA_10device_ptrItEEEEPS6_SG_NS0_5tupleIJSF_S6_EEENSH_IJSG_SG_EEES6_PlJNSB_9not_fun_tINSB_14equal_to_valueItEEEEEEE10hipError_tPvRmT3_T4_T5_T6_T7_T9_mT8_P12ihipStream_tbDpT10_ENKUlT_T0_E_clISt17integral_constantIbLb0EES17_IbLb1EEEEDaS13_S14_EUlS13_E_NS1_11comp_targetILNS1_3genE9ELNS1_11target_archE1100ELNS1_3gpuE3ELNS1_3repE0EEENS1_30default_config_static_selectorELNS0_4arch9wavefront6targetE0EEEvT1_.kd
    .uniform_work_group_size: 1
    .uses_dynamic_stack: false
    .vgpr_count:     0
    .vgpr_spill_count: 0
    .wavefront_size: 32
    .workgroup_processor_mode: 1
  - .args:
      - .offset:         0
        .size:           128
        .value_kind:     by_value
    .group_segment_fixed_size: 0
    .kernarg_segment_align: 8
    .kernarg_segment_size: 128
    .language:       OpenCL C
    .language_version:
      - 2
      - 0
    .max_flat_workgroup_size: 256
    .name:           _ZN7rocprim17ROCPRIM_400000_NS6detail17trampoline_kernelINS0_14default_configENS1_25partition_config_selectorILNS1_17partition_subalgoE6EtNS0_10empty_typeEbEEZZNS1_14partition_implILS5_6ELb0ES3_mN6thrust23THRUST_200600_302600_NS6detail15normal_iteratorINSA_10device_ptrItEEEEPS6_SG_NS0_5tupleIJSF_S6_EEENSH_IJSG_SG_EEES6_PlJNSB_9not_fun_tINSB_14equal_to_valueItEEEEEEE10hipError_tPvRmT3_T4_T5_T6_T7_T9_mT8_P12ihipStream_tbDpT10_ENKUlT_T0_E_clISt17integral_constantIbLb0EES17_IbLb1EEEEDaS13_S14_EUlS13_E_NS1_11comp_targetILNS1_3genE8ELNS1_11target_archE1030ELNS1_3gpuE2ELNS1_3repE0EEENS1_30default_config_static_selectorELNS0_4arch9wavefront6targetE0EEEvT1_
    .private_segment_fixed_size: 0
    .sgpr_count:     0
    .sgpr_spill_count: 0
    .symbol:         _ZN7rocprim17ROCPRIM_400000_NS6detail17trampoline_kernelINS0_14default_configENS1_25partition_config_selectorILNS1_17partition_subalgoE6EtNS0_10empty_typeEbEEZZNS1_14partition_implILS5_6ELb0ES3_mN6thrust23THRUST_200600_302600_NS6detail15normal_iteratorINSA_10device_ptrItEEEEPS6_SG_NS0_5tupleIJSF_S6_EEENSH_IJSG_SG_EEES6_PlJNSB_9not_fun_tINSB_14equal_to_valueItEEEEEEE10hipError_tPvRmT3_T4_T5_T6_T7_T9_mT8_P12ihipStream_tbDpT10_ENKUlT_T0_E_clISt17integral_constantIbLb0EES17_IbLb1EEEEDaS13_S14_EUlS13_E_NS1_11comp_targetILNS1_3genE8ELNS1_11target_archE1030ELNS1_3gpuE2ELNS1_3repE0EEENS1_30default_config_static_selectorELNS0_4arch9wavefront6targetE0EEEvT1_.kd
    .uniform_work_group_size: 1
    .uses_dynamic_stack: false
    .vgpr_count:     0
    .vgpr_spill_count: 0
    .wavefront_size: 32
    .workgroup_processor_mode: 1
  - .args:
      - .offset:         0
        .size:           120
        .value_kind:     by_value
    .group_segment_fixed_size: 0
    .kernarg_segment_align: 8
    .kernarg_segment_size: 120
    .language:       OpenCL C
    .language_version:
      - 2
      - 0
    .max_flat_workgroup_size: 128
    .name:           _ZN7rocprim17ROCPRIM_400000_NS6detail17trampoline_kernelINS0_14default_configENS1_25partition_config_selectorILNS1_17partition_subalgoE6ExNS0_10empty_typeEbEEZZNS1_14partition_implILS5_6ELb0ES3_mN6thrust23THRUST_200600_302600_NS6detail15normal_iteratorINSA_10device_ptrIxEEEEPS6_SG_NS0_5tupleIJSF_S6_EEENSH_IJSG_SG_EEES6_PlJNSB_9not_fun_tINSB_14equal_to_valueIxEEEEEEE10hipError_tPvRmT3_T4_T5_T6_T7_T9_mT8_P12ihipStream_tbDpT10_ENKUlT_T0_E_clISt17integral_constantIbLb0EES18_EEDaS13_S14_EUlS13_E_NS1_11comp_targetILNS1_3genE0ELNS1_11target_archE4294967295ELNS1_3gpuE0ELNS1_3repE0EEENS1_30default_config_static_selectorELNS0_4arch9wavefront6targetE0EEEvT1_
    .private_segment_fixed_size: 0
    .sgpr_count:     0
    .sgpr_spill_count: 0
    .symbol:         _ZN7rocprim17ROCPRIM_400000_NS6detail17trampoline_kernelINS0_14default_configENS1_25partition_config_selectorILNS1_17partition_subalgoE6ExNS0_10empty_typeEbEEZZNS1_14partition_implILS5_6ELb0ES3_mN6thrust23THRUST_200600_302600_NS6detail15normal_iteratorINSA_10device_ptrIxEEEEPS6_SG_NS0_5tupleIJSF_S6_EEENSH_IJSG_SG_EEES6_PlJNSB_9not_fun_tINSB_14equal_to_valueIxEEEEEEE10hipError_tPvRmT3_T4_T5_T6_T7_T9_mT8_P12ihipStream_tbDpT10_ENKUlT_T0_E_clISt17integral_constantIbLb0EES18_EEDaS13_S14_EUlS13_E_NS1_11comp_targetILNS1_3genE0ELNS1_11target_archE4294967295ELNS1_3gpuE0ELNS1_3repE0EEENS1_30default_config_static_selectorELNS0_4arch9wavefront6targetE0EEEvT1_.kd
    .uniform_work_group_size: 1
    .uses_dynamic_stack: false
    .vgpr_count:     0
    .vgpr_spill_count: 0
    .wavefront_size: 32
    .workgroup_processor_mode: 1
  - .args:
      - .offset:         0
        .size:           120
        .value_kind:     by_value
    .group_segment_fixed_size: 0
    .kernarg_segment_align: 8
    .kernarg_segment_size: 120
    .language:       OpenCL C
    .language_version:
      - 2
      - 0
    .max_flat_workgroup_size: 512
    .name:           _ZN7rocprim17ROCPRIM_400000_NS6detail17trampoline_kernelINS0_14default_configENS1_25partition_config_selectorILNS1_17partition_subalgoE6ExNS0_10empty_typeEbEEZZNS1_14partition_implILS5_6ELb0ES3_mN6thrust23THRUST_200600_302600_NS6detail15normal_iteratorINSA_10device_ptrIxEEEEPS6_SG_NS0_5tupleIJSF_S6_EEENSH_IJSG_SG_EEES6_PlJNSB_9not_fun_tINSB_14equal_to_valueIxEEEEEEE10hipError_tPvRmT3_T4_T5_T6_T7_T9_mT8_P12ihipStream_tbDpT10_ENKUlT_T0_E_clISt17integral_constantIbLb0EES18_EEDaS13_S14_EUlS13_E_NS1_11comp_targetILNS1_3genE5ELNS1_11target_archE942ELNS1_3gpuE9ELNS1_3repE0EEENS1_30default_config_static_selectorELNS0_4arch9wavefront6targetE0EEEvT1_
    .private_segment_fixed_size: 0
    .sgpr_count:     0
    .sgpr_spill_count: 0
    .symbol:         _ZN7rocprim17ROCPRIM_400000_NS6detail17trampoline_kernelINS0_14default_configENS1_25partition_config_selectorILNS1_17partition_subalgoE6ExNS0_10empty_typeEbEEZZNS1_14partition_implILS5_6ELb0ES3_mN6thrust23THRUST_200600_302600_NS6detail15normal_iteratorINSA_10device_ptrIxEEEEPS6_SG_NS0_5tupleIJSF_S6_EEENSH_IJSG_SG_EEES6_PlJNSB_9not_fun_tINSB_14equal_to_valueIxEEEEEEE10hipError_tPvRmT3_T4_T5_T6_T7_T9_mT8_P12ihipStream_tbDpT10_ENKUlT_T0_E_clISt17integral_constantIbLb0EES18_EEDaS13_S14_EUlS13_E_NS1_11comp_targetILNS1_3genE5ELNS1_11target_archE942ELNS1_3gpuE9ELNS1_3repE0EEENS1_30default_config_static_selectorELNS0_4arch9wavefront6targetE0EEEvT1_.kd
    .uniform_work_group_size: 1
    .uses_dynamic_stack: false
    .vgpr_count:     0
    .vgpr_spill_count: 0
    .wavefront_size: 32
    .workgroup_processor_mode: 1
  - .args:
      - .offset:         0
        .size:           120
        .value_kind:     by_value
    .group_segment_fixed_size: 0
    .kernarg_segment_align: 8
    .kernarg_segment_size: 120
    .language:       OpenCL C
    .language_version:
      - 2
      - 0
    .max_flat_workgroup_size: 512
    .name:           _ZN7rocprim17ROCPRIM_400000_NS6detail17trampoline_kernelINS0_14default_configENS1_25partition_config_selectorILNS1_17partition_subalgoE6ExNS0_10empty_typeEbEEZZNS1_14partition_implILS5_6ELb0ES3_mN6thrust23THRUST_200600_302600_NS6detail15normal_iteratorINSA_10device_ptrIxEEEEPS6_SG_NS0_5tupleIJSF_S6_EEENSH_IJSG_SG_EEES6_PlJNSB_9not_fun_tINSB_14equal_to_valueIxEEEEEEE10hipError_tPvRmT3_T4_T5_T6_T7_T9_mT8_P12ihipStream_tbDpT10_ENKUlT_T0_E_clISt17integral_constantIbLb0EES18_EEDaS13_S14_EUlS13_E_NS1_11comp_targetILNS1_3genE4ELNS1_11target_archE910ELNS1_3gpuE8ELNS1_3repE0EEENS1_30default_config_static_selectorELNS0_4arch9wavefront6targetE0EEEvT1_
    .private_segment_fixed_size: 0
    .sgpr_count:     0
    .sgpr_spill_count: 0
    .symbol:         _ZN7rocprim17ROCPRIM_400000_NS6detail17trampoline_kernelINS0_14default_configENS1_25partition_config_selectorILNS1_17partition_subalgoE6ExNS0_10empty_typeEbEEZZNS1_14partition_implILS5_6ELb0ES3_mN6thrust23THRUST_200600_302600_NS6detail15normal_iteratorINSA_10device_ptrIxEEEEPS6_SG_NS0_5tupleIJSF_S6_EEENSH_IJSG_SG_EEES6_PlJNSB_9not_fun_tINSB_14equal_to_valueIxEEEEEEE10hipError_tPvRmT3_T4_T5_T6_T7_T9_mT8_P12ihipStream_tbDpT10_ENKUlT_T0_E_clISt17integral_constantIbLb0EES18_EEDaS13_S14_EUlS13_E_NS1_11comp_targetILNS1_3genE4ELNS1_11target_archE910ELNS1_3gpuE8ELNS1_3repE0EEENS1_30default_config_static_selectorELNS0_4arch9wavefront6targetE0EEEvT1_.kd
    .uniform_work_group_size: 1
    .uses_dynamic_stack: false
    .vgpr_count:     0
    .vgpr_spill_count: 0
    .wavefront_size: 32
    .workgroup_processor_mode: 1
  - .args:
      - .offset:         0
        .size:           120
        .value_kind:     by_value
    .group_segment_fixed_size: 0
    .kernarg_segment_align: 8
    .kernarg_segment_size: 120
    .language:       OpenCL C
    .language_version:
      - 2
      - 0
    .max_flat_workgroup_size: 128
    .name:           _ZN7rocprim17ROCPRIM_400000_NS6detail17trampoline_kernelINS0_14default_configENS1_25partition_config_selectorILNS1_17partition_subalgoE6ExNS0_10empty_typeEbEEZZNS1_14partition_implILS5_6ELb0ES3_mN6thrust23THRUST_200600_302600_NS6detail15normal_iteratorINSA_10device_ptrIxEEEEPS6_SG_NS0_5tupleIJSF_S6_EEENSH_IJSG_SG_EEES6_PlJNSB_9not_fun_tINSB_14equal_to_valueIxEEEEEEE10hipError_tPvRmT3_T4_T5_T6_T7_T9_mT8_P12ihipStream_tbDpT10_ENKUlT_T0_E_clISt17integral_constantIbLb0EES18_EEDaS13_S14_EUlS13_E_NS1_11comp_targetILNS1_3genE3ELNS1_11target_archE908ELNS1_3gpuE7ELNS1_3repE0EEENS1_30default_config_static_selectorELNS0_4arch9wavefront6targetE0EEEvT1_
    .private_segment_fixed_size: 0
    .sgpr_count:     0
    .sgpr_spill_count: 0
    .symbol:         _ZN7rocprim17ROCPRIM_400000_NS6detail17trampoline_kernelINS0_14default_configENS1_25partition_config_selectorILNS1_17partition_subalgoE6ExNS0_10empty_typeEbEEZZNS1_14partition_implILS5_6ELb0ES3_mN6thrust23THRUST_200600_302600_NS6detail15normal_iteratorINSA_10device_ptrIxEEEEPS6_SG_NS0_5tupleIJSF_S6_EEENSH_IJSG_SG_EEES6_PlJNSB_9not_fun_tINSB_14equal_to_valueIxEEEEEEE10hipError_tPvRmT3_T4_T5_T6_T7_T9_mT8_P12ihipStream_tbDpT10_ENKUlT_T0_E_clISt17integral_constantIbLb0EES18_EEDaS13_S14_EUlS13_E_NS1_11comp_targetILNS1_3genE3ELNS1_11target_archE908ELNS1_3gpuE7ELNS1_3repE0EEENS1_30default_config_static_selectorELNS0_4arch9wavefront6targetE0EEEvT1_.kd
    .uniform_work_group_size: 1
    .uses_dynamic_stack: false
    .vgpr_count:     0
    .vgpr_spill_count: 0
    .wavefront_size: 32
    .workgroup_processor_mode: 1
  - .args:
      - .offset:         0
        .size:           120
        .value_kind:     by_value
    .group_segment_fixed_size: 0
    .kernarg_segment_align: 8
    .kernarg_segment_size: 120
    .language:       OpenCL C
    .language_version:
      - 2
      - 0
    .max_flat_workgroup_size: 256
    .name:           _ZN7rocprim17ROCPRIM_400000_NS6detail17trampoline_kernelINS0_14default_configENS1_25partition_config_selectorILNS1_17partition_subalgoE6ExNS0_10empty_typeEbEEZZNS1_14partition_implILS5_6ELb0ES3_mN6thrust23THRUST_200600_302600_NS6detail15normal_iteratorINSA_10device_ptrIxEEEEPS6_SG_NS0_5tupleIJSF_S6_EEENSH_IJSG_SG_EEES6_PlJNSB_9not_fun_tINSB_14equal_to_valueIxEEEEEEE10hipError_tPvRmT3_T4_T5_T6_T7_T9_mT8_P12ihipStream_tbDpT10_ENKUlT_T0_E_clISt17integral_constantIbLb0EES18_EEDaS13_S14_EUlS13_E_NS1_11comp_targetILNS1_3genE2ELNS1_11target_archE906ELNS1_3gpuE6ELNS1_3repE0EEENS1_30default_config_static_selectorELNS0_4arch9wavefront6targetE0EEEvT1_
    .private_segment_fixed_size: 0
    .sgpr_count:     0
    .sgpr_spill_count: 0
    .symbol:         _ZN7rocprim17ROCPRIM_400000_NS6detail17trampoline_kernelINS0_14default_configENS1_25partition_config_selectorILNS1_17partition_subalgoE6ExNS0_10empty_typeEbEEZZNS1_14partition_implILS5_6ELb0ES3_mN6thrust23THRUST_200600_302600_NS6detail15normal_iteratorINSA_10device_ptrIxEEEEPS6_SG_NS0_5tupleIJSF_S6_EEENSH_IJSG_SG_EEES6_PlJNSB_9not_fun_tINSB_14equal_to_valueIxEEEEEEE10hipError_tPvRmT3_T4_T5_T6_T7_T9_mT8_P12ihipStream_tbDpT10_ENKUlT_T0_E_clISt17integral_constantIbLb0EES18_EEDaS13_S14_EUlS13_E_NS1_11comp_targetILNS1_3genE2ELNS1_11target_archE906ELNS1_3gpuE6ELNS1_3repE0EEENS1_30default_config_static_selectorELNS0_4arch9wavefront6targetE0EEEvT1_.kd
    .uniform_work_group_size: 1
    .uses_dynamic_stack: false
    .vgpr_count:     0
    .vgpr_spill_count: 0
    .wavefront_size: 32
    .workgroup_processor_mode: 1
  - .args:
      - .offset:         0
        .size:           120
        .value_kind:     by_value
    .group_segment_fixed_size: 8464
    .kernarg_segment_align: 8
    .kernarg_segment_size: 120
    .language:       OpenCL C
    .language_version:
      - 2
      - 0
    .max_flat_workgroup_size: 256
    .name:           _ZN7rocprim17ROCPRIM_400000_NS6detail17trampoline_kernelINS0_14default_configENS1_25partition_config_selectorILNS1_17partition_subalgoE6ExNS0_10empty_typeEbEEZZNS1_14partition_implILS5_6ELb0ES3_mN6thrust23THRUST_200600_302600_NS6detail15normal_iteratorINSA_10device_ptrIxEEEEPS6_SG_NS0_5tupleIJSF_S6_EEENSH_IJSG_SG_EEES6_PlJNSB_9not_fun_tINSB_14equal_to_valueIxEEEEEEE10hipError_tPvRmT3_T4_T5_T6_T7_T9_mT8_P12ihipStream_tbDpT10_ENKUlT_T0_E_clISt17integral_constantIbLb0EES18_EEDaS13_S14_EUlS13_E_NS1_11comp_targetILNS1_3genE10ELNS1_11target_archE1200ELNS1_3gpuE4ELNS1_3repE0EEENS1_30default_config_static_selectorELNS0_4arch9wavefront6targetE0EEEvT1_
    .private_segment_fixed_size: 0
    .sgpr_count:     24
    .sgpr_spill_count: 0
    .symbol:         _ZN7rocprim17ROCPRIM_400000_NS6detail17trampoline_kernelINS0_14default_configENS1_25partition_config_selectorILNS1_17partition_subalgoE6ExNS0_10empty_typeEbEEZZNS1_14partition_implILS5_6ELb0ES3_mN6thrust23THRUST_200600_302600_NS6detail15normal_iteratorINSA_10device_ptrIxEEEEPS6_SG_NS0_5tupleIJSF_S6_EEENSH_IJSG_SG_EEES6_PlJNSB_9not_fun_tINSB_14equal_to_valueIxEEEEEEE10hipError_tPvRmT3_T4_T5_T6_T7_T9_mT8_P12ihipStream_tbDpT10_ENKUlT_T0_E_clISt17integral_constantIbLb0EES18_EEDaS13_S14_EUlS13_E_NS1_11comp_targetILNS1_3genE10ELNS1_11target_archE1200ELNS1_3gpuE4ELNS1_3repE0EEENS1_30default_config_static_selectorELNS0_4arch9wavefront6targetE0EEEvT1_.kd
    .uniform_work_group_size: 1
    .uses_dynamic_stack: false
    .vgpr_count:     46
    .vgpr_spill_count: 0
    .wavefront_size: 32
    .workgroup_processor_mode: 1
  - .args:
      - .offset:         0
        .size:           120
        .value_kind:     by_value
    .group_segment_fixed_size: 0
    .kernarg_segment_align: 8
    .kernarg_segment_size: 120
    .language:       OpenCL C
    .language_version:
      - 2
      - 0
    .max_flat_workgroup_size: 384
    .name:           _ZN7rocprim17ROCPRIM_400000_NS6detail17trampoline_kernelINS0_14default_configENS1_25partition_config_selectorILNS1_17partition_subalgoE6ExNS0_10empty_typeEbEEZZNS1_14partition_implILS5_6ELb0ES3_mN6thrust23THRUST_200600_302600_NS6detail15normal_iteratorINSA_10device_ptrIxEEEEPS6_SG_NS0_5tupleIJSF_S6_EEENSH_IJSG_SG_EEES6_PlJNSB_9not_fun_tINSB_14equal_to_valueIxEEEEEEE10hipError_tPvRmT3_T4_T5_T6_T7_T9_mT8_P12ihipStream_tbDpT10_ENKUlT_T0_E_clISt17integral_constantIbLb0EES18_EEDaS13_S14_EUlS13_E_NS1_11comp_targetILNS1_3genE9ELNS1_11target_archE1100ELNS1_3gpuE3ELNS1_3repE0EEENS1_30default_config_static_selectorELNS0_4arch9wavefront6targetE0EEEvT1_
    .private_segment_fixed_size: 0
    .sgpr_count:     0
    .sgpr_spill_count: 0
    .symbol:         _ZN7rocprim17ROCPRIM_400000_NS6detail17trampoline_kernelINS0_14default_configENS1_25partition_config_selectorILNS1_17partition_subalgoE6ExNS0_10empty_typeEbEEZZNS1_14partition_implILS5_6ELb0ES3_mN6thrust23THRUST_200600_302600_NS6detail15normal_iteratorINSA_10device_ptrIxEEEEPS6_SG_NS0_5tupleIJSF_S6_EEENSH_IJSG_SG_EEES6_PlJNSB_9not_fun_tINSB_14equal_to_valueIxEEEEEEE10hipError_tPvRmT3_T4_T5_T6_T7_T9_mT8_P12ihipStream_tbDpT10_ENKUlT_T0_E_clISt17integral_constantIbLb0EES18_EEDaS13_S14_EUlS13_E_NS1_11comp_targetILNS1_3genE9ELNS1_11target_archE1100ELNS1_3gpuE3ELNS1_3repE0EEENS1_30default_config_static_selectorELNS0_4arch9wavefront6targetE0EEEvT1_.kd
    .uniform_work_group_size: 1
    .uses_dynamic_stack: false
    .vgpr_count:     0
    .vgpr_spill_count: 0
    .wavefront_size: 32
    .workgroup_processor_mode: 1
  - .args:
      - .offset:         0
        .size:           120
        .value_kind:     by_value
    .group_segment_fixed_size: 0
    .kernarg_segment_align: 8
    .kernarg_segment_size: 120
    .language:       OpenCL C
    .language_version:
      - 2
      - 0
    .max_flat_workgroup_size: 512
    .name:           _ZN7rocprim17ROCPRIM_400000_NS6detail17trampoline_kernelINS0_14default_configENS1_25partition_config_selectorILNS1_17partition_subalgoE6ExNS0_10empty_typeEbEEZZNS1_14partition_implILS5_6ELb0ES3_mN6thrust23THRUST_200600_302600_NS6detail15normal_iteratorINSA_10device_ptrIxEEEEPS6_SG_NS0_5tupleIJSF_S6_EEENSH_IJSG_SG_EEES6_PlJNSB_9not_fun_tINSB_14equal_to_valueIxEEEEEEE10hipError_tPvRmT3_T4_T5_T6_T7_T9_mT8_P12ihipStream_tbDpT10_ENKUlT_T0_E_clISt17integral_constantIbLb0EES18_EEDaS13_S14_EUlS13_E_NS1_11comp_targetILNS1_3genE8ELNS1_11target_archE1030ELNS1_3gpuE2ELNS1_3repE0EEENS1_30default_config_static_selectorELNS0_4arch9wavefront6targetE0EEEvT1_
    .private_segment_fixed_size: 0
    .sgpr_count:     0
    .sgpr_spill_count: 0
    .symbol:         _ZN7rocprim17ROCPRIM_400000_NS6detail17trampoline_kernelINS0_14default_configENS1_25partition_config_selectorILNS1_17partition_subalgoE6ExNS0_10empty_typeEbEEZZNS1_14partition_implILS5_6ELb0ES3_mN6thrust23THRUST_200600_302600_NS6detail15normal_iteratorINSA_10device_ptrIxEEEEPS6_SG_NS0_5tupleIJSF_S6_EEENSH_IJSG_SG_EEES6_PlJNSB_9not_fun_tINSB_14equal_to_valueIxEEEEEEE10hipError_tPvRmT3_T4_T5_T6_T7_T9_mT8_P12ihipStream_tbDpT10_ENKUlT_T0_E_clISt17integral_constantIbLb0EES18_EEDaS13_S14_EUlS13_E_NS1_11comp_targetILNS1_3genE8ELNS1_11target_archE1030ELNS1_3gpuE2ELNS1_3repE0EEENS1_30default_config_static_selectorELNS0_4arch9wavefront6targetE0EEEvT1_.kd
    .uniform_work_group_size: 1
    .uses_dynamic_stack: false
    .vgpr_count:     0
    .vgpr_spill_count: 0
    .wavefront_size: 32
    .workgroup_processor_mode: 1
  - .args:
      - .offset:         0
        .size:           128
        .value_kind:     by_value
    .group_segment_fixed_size: 0
    .kernarg_segment_align: 8
    .kernarg_segment_size: 128
    .language:       OpenCL C
    .language_version:
      - 2
      - 0
    .max_flat_workgroup_size: 128
    .name:           _ZN7rocprim17ROCPRIM_400000_NS6detail17trampoline_kernelINS0_14default_configENS1_25partition_config_selectorILNS1_17partition_subalgoE6ExNS0_10empty_typeEbEEZZNS1_14partition_implILS5_6ELb0ES3_mN6thrust23THRUST_200600_302600_NS6detail15normal_iteratorINSA_10device_ptrIxEEEEPS6_SG_NS0_5tupleIJSF_S6_EEENSH_IJSG_SG_EEES6_PlJNSB_9not_fun_tINSB_14equal_to_valueIxEEEEEEE10hipError_tPvRmT3_T4_T5_T6_T7_T9_mT8_P12ihipStream_tbDpT10_ENKUlT_T0_E_clISt17integral_constantIbLb1EES18_EEDaS13_S14_EUlS13_E_NS1_11comp_targetILNS1_3genE0ELNS1_11target_archE4294967295ELNS1_3gpuE0ELNS1_3repE0EEENS1_30default_config_static_selectorELNS0_4arch9wavefront6targetE0EEEvT1_
    .private_segment_fixed_size: 0
    .sgpr_count:     0
    .sgpr_spill_count: 0
    .symbol:         _ZN7rocprim17ROCPRIM_400000_NS6detail17trampoline_kernelINS0_14default_configENS1_25partition_config_selectorILNS1_17partition_subalgoE6ExNS0_10empty_typeEbEEZZNS1_14partition_implILS5_6ELb0ES3_mN6thrust23THRUST_200600_302600_NS6detail15normal_iteratorINSA_10device_ptrIxEEEEPS6_SG_NS0_5tupleIJSF_S6_EEENSH_IJSG_SG_EEES6_PlJNSB_9not_fun_tINSB_14equal_to_valueIxEEEEEEE10hipError_tPvRmT3_T4_T5_T6_T7_T9_mT8_P12ihipStream_tbDpT10_ENKUlT_T0_E_clISt17integral_constantIbLb1EES18_EEDaS13_S14_EUlS13_E_NS1_11comp_targetILNS1_3genE0ELNS1_11target_archE4294967295ELNS1_3gpuE0ELNS1_3repE0EEENS1_30default_config_static_selectorELNS0_4arch9wavefront6targetE0EEEvT1_.kd
    .uniform_work_group_size: 1
    .uses_dynamic_stack: false
    .vgpr_count:     0
    .vgpr_spill_count: 0
    .wavefront_size: 32
    .workgroup_processor_mode: 1
  - .args:
      - .offset:         0
        .size:           128
        .value_kind:     by_value
    .group_segment_fixed_size: 0
    .kernarg_segment_align: 8
    .kernarg_segment_size: 128
    .language:       OpenCL C
    .language_version:
      - 2
      - 0
    .max_flat_workgroup_size: 512
    .name:           _ZN7rocprim17ROCPRIM_400000_NS6detail17trampoline_kernelINS0_14default_configENS1_25partition_config_selectorILNS1_17partition_subalgoE6ExNS0_10empty_typeEbEEZZNS1_14partition_implILS5_6ELb0ES3_mN6thrust23THRUST_200600_302600_NS6detail15normal_iteratorINSA_10device_ptrIxEEEEPS6_SG_NS0_5tupleIJSF_S6_EEENSH_IJSG_SG_EEES6_PlJNSB_9not_fun_tINSB_14equal_to_valueIxEEEEEEE10hipError_tPvRmT3_T4_T5_T6_T7_T9_mT8_P12ihipStream_tbDpT10_ENKUlT_T0_E_clISt17integral_constantIbLb1EES18_EEDaS13_S14_EUlS13_E_NS1_11comp_targetILNS1_3genE5ELNS1_11target_archE942ELNS1_3gpuE9ELNS1_3repE0EEENS1_30default_config_static_selectorELNS0_4arch9wavefront6targetE0EEEvT1_
    .private_segment_fixed_size: 0
    .sgpr_count:     0
    .sgpr_spill_count: 0
    .symbol:         _ZN7rocprim17ROCPRIM_400000_NS6detail17trampoline_kernelINS0_14default_configENS1_25partition_config_selectorILNS1_17partition_subalgoE6ExNS0_10empty_typeEbEEZZNS1_14partition_implILS5_6ELb0ES3_mN6thrust23THRUST_200600_302600_NS6detail15normal_iteratorINSA_10device_ptrIxEEEEPS6_SG_NS0_5tupleIJSF_S6_EEENSH_IJSG_SG_EEES6_PlJNSB_9not_fun_tINSB_14equal_to_valueIxEEEEEEE10hipError_tPvRmT3_T4_T5_T6_T7_T9_mT8_P12ihipStream_tbDpT10_ENKUlT_T0_E_clISt17integral_constantIbLb1EES18_EEDaS13_S14_EUlS13_E_NS1_11comp_targetILNS1_3genE5ELNS1_11target_archE942ELNS1_3gpuE9ELNS1_3repE0EEENS1_30default_config_static_selectorELNS0_4arch9wavefront6targetE0EEEvT1_.kd
    .uniform_work_group_size: 1
    .uses_dynamic_stack: false
    .vgpr_count:     0
    .vgpr_spill_count: 0
    .wavefront_size: 32
    .workgroup_processor_mode: 1
  - .args:
      - .offset:         0
        .size:           128
        .value_kind:     by_value
    .group_segment_fixed_size: 0
    .kernarg_segment_align: 8
    .kernarg_segment_size: 128
    .language:       OpenCL C
    .language_version:
      - 2
      - 0
    .max_flat_workgroup_size: 512
    .name:           _ZN7rocprim17ROCPRIM_400000_NS6detail17trampoline_kernelINS0_14default_configENS1_25partition_config_selectorILNS1_17partition_subalgoE6ExNS0_10empty_typeEbEEZZNS1_14partition_implILS5_6ELb0ES3_mN6thrust23THRUST_200600_302600_NS6detail15normal_iteratorINSA_10device_ptrIxEEEEPS6_SG_NS0_5tupleIJSF_S6_EEENSH_IJSG_SG_EEES6_PlJNSB_9not_fun_tINSB_14equal_to_valueIxEEEEEEE10hipError_tPvRmT3_T4_T5_T6_T7_T9_mT8_P12ihipStream_tbDpT10_ENKUlT_T0_E_clISt17integral_constantIbLb1EES18_EEDaS13_S14_EUlS13_E_NS1_11comp_targetILNS1_3genE4ELNS1_11target_archE910ELNS1_3gpuE8ELNS1_3repE0EEENS1_30default_config_static_selectorELNS0_4arch9wavefront6targetE0EEEvT1_
    .private_segment_fixed_size: 0
    .sgpr_count:     0
    .sgpr_spill_count: 0
    .symbol:         _ZN7rocprim17ROCPRIM_400000_NS6detail17trampoline_kernelINS0_14default_configENS1_25partition_config_selectorILNS1_17partition_subalgoE6ExNS0_10empty_typeEbEEZZNS1_14partition_implILS5_6ELb0ES3_mN6thrust23THRUST_200600_302600_NS6detail15normal_iteratorINSA_10device_ptrIxEEEEPS6_SG_NS0_5tupleIJSF_S6_EEENSH_IJSG_SG_EEES6_PlJNSB_9not_fun_tINSB_14equal_to_valueIxEEEEEEE10hipError_tPvRmT3_T4_T5_T6_T7_T9_mT8_P12ihipStream_tbDpT10_ENKUlT_T0_E_clISt17integral_constantIbLb1EES18_EEDaS13_S14_EUlS13_E_NS1_11comp_targetILNS1_3genE4ELNS1_11target_archE910ELNS1_3gpuE8ELNS1_3repE0EEENS1_30default_config_static_selectorELNS0_4arch9wavefront6targetE0EEEvT1_.kd
    .uniform_work_group_size: 1
    .uses_dynamic_stack: false
    .vgpr_count:     0
    .vgpr_spill_count: 0
    .wavefront_size: 32
    .workgroup_processor_mode: 1
  - .args:
      - .offset:         0
        .size:           128
        .value_kind:     by_value
    .group_segment_fixed_size: 0
    .kernarg_segment_align: 8
    .kernarg_segment_size: 128
    .language:       OpenCL C
    .language_version:
      - 2
      - 0
    .max_flat_workgroup_size: 128
    .name:           _ZN7rocprim17ROCPRIM_400000_NS6detail17trampoline_kernelINS0_14default_configENS1_25partition_config_selectorILNS1_17partition_subalgoE6ExNS0_10empty_typeEbEEZZNS1_14partition_implILS5_6ELb0ES3_mN6thrust23THRUST_200600_302600_NS6detail15normal_iteratorINSA_10device_ptrIxEEEEPS6_SG_NS0_5tupleIJSF_S6_EEENSH_IJSG_SG_EEES6_PlJNSB_9not_fun_tINSB_14equal_to_valueIxEEEEEEE10hipError_tPvRmT3_T4_T5_T6_T7_T9_mT8_P12ihipStream_tbDpT10_ENKUlT_T0_E_clISt17integral_constantIbLb1EES18_EEDaS13_S14_EUlS13_E_NS1_11comp_targetILNS1_3genE3ELNS1_11target_archE908ELNS1_3gpuE7ELNS1_3repE0EEENS1_30default_config_static_selectorELNS0_4arch9wavefront6targetE0EEEvT1_
    .private_segment_fixed_size: 0
    .sgpr_count:     0
    .sgpr_spill_count: 0
    .symbol:         _ZN7rocprim17ROCPRIM_400000_NS6detail17trampoline_kernelINS0_14default_configENS1_25partition_config_selectorILNS1_17partition_subalgoE6ExNS0_10empty_typeEbEEZZNS1_14partition_implILS5_6ELb0ES3_mN6thrust23THRUST_200600_302600_NS6detail15normal_iteratorINSA_10device_ptrIxEEEEPS6_SG_NS0_5tupleIJSF_S6_EEENSH_IJSG_SG_EEES6_PlJNSB_9not_fun_tINSB_14equal_to_valueIxEEEEEEE10hipError_tPvRmT3_T4_T5_T6_T7_T9_mT8_P12ihipStream_tbDpT10_ENKUlT_T0_E_clISt17integral_constantIbLb1EES18_EEDaS13_S14_EUlS13_E_NS1_11comp_targetILNS1_3genE3ELNS1_11target_archE908ELNS1_3gpuE7ELNS1_3repE0EEENS1_30default_config_static_selectorELNS0_4arch9wavefront6targetE0EEEvT1_.kd
    .uniform_work_group_size: 1
    .uses_dynamic_stack: false
    .vgpr_count:     0
    .vgpr_spill_count: 0
    .wavefront_size: 32
    .workgroup_processor_mode: 1
  - .args:
      - .offset:         0
        .size:           128
        .value_kind:     by_value
    .group_segment_fixed_size: 0
    .kernarg_segment_align: 8
    .kernarg_segment_size: 128
    .language:       OpenCL C
    .language_version:
      - 2
      - 0
    .max_flat_workgroup_size: 256
    .name:           _ZN7rocprim17ROCPRIM_400000_NS6detail17trampoline_kernelINS0_14default_configENS1_25partition_config_selectorILNS1_17partition_subalgoE6ExNS0_10empty_typeEbEEZZNS1_14partition_implILS5_6ELb0ES3_mN6thrust23THRUST_200600_302600_NS6detail15normal_iteratorINSA_10device_ptrIxEEEEPS6_SG_NS0_5tupleIJSF_S6_EEENSH_IJSG_SG_EEES6_PlJNSB_9not_fun_tINSB_14equal_to_valueIxEEEEEEE10hipError_tPvRmT3_T4_T5_T6_T7_T9_mT8_P12ihipStream_tbDpT10_ENKUlT_T0_E_clISt17integral_constantIbLb1EES18_EEDaS13_S14_EUlS13_E_NS1_11comp_targetILNS1_3genE2ELNS1_11target_archE906ELNS1_3gpuE6ELNS1_3repE0EEENS1_30default_config_static_selectorELNS0_4arch9wavefront6targetE0EEEvT1_
    .private_segment_fixed_size: 0
    .sgpr_count:     0
    .sgpr_spill_count: 0
    .symbol:         _ZN7rocprim17ROCPRIM_400000_NS6detail17trampoline_kernelINS0_14default_configENS1_25partition_config_selectorILNS1_17partition_subalgoE6ExNS0_10empty_typeEbEEZZNS1_14partition_implILS5_6ELb0ES3_mN6thrust23THRUST_200600_302600_NS6detail15normal_iteratorINSA_10device_ptrIxEEEEPS6_SG_NS0_5tupleIJSF_S6_EEENSH_IJSG_SG_EEES6_PlJNSB_9not_fun_tINSB_14equal_to_valueIxEEEEEEE10hipError_tPvRmT3_T4_T5_T6_T7_T9_mT8_P12ihipStream_tbDpT10_ENKUlT_T0_E_clISt17integral_constantIbLb1EES18_EEDaS13_S14_EUlS13_E_NS1_11comp_targetILNS1_3genE2ELNS1_11target_archE906ELNS1_3gpuE6ELNS1_3repE0EEENS1_30default_config_static_selectorELNS0_4arch9wavefront6targetE0EEEvT1_.kd
    .uniform_work_group_size: 1
    .uses_dynamic_stack: false
    .vgpr_count:     0
    .vgpr_spill_count: 0
    .wavefront_size: 32
    .workgroup_processor_mode: 1
  - .args:
      - .offset:         0
        .size:           128
        .value_kind:     by_value
    .group_segment_fixed_size: 0
    .kernarg_segment_align: 8
    .kernarg_segment_size: 128
    .language:       OpenCL C
    .language_version:
      - 2
      - 0
    .max_flat_workgroup_size: 256
    .name:           _ZN7rocprim17ROCPRIM_400000_NS6detail17trampoline_kernelINS0_14default_configENS1_25partition_config_selectorILNS1_17partition_subalgoE6ExNS0_10empty_typeEbEEZZNS1_14partition_implILS5_6ELb0ES3_mN6thrust23THRUST_200600_302600_NS6detail15normal_iteratorINSA_10device_ptrIxEEEEPS6_SG_NS0_5tupleIJSF_S6_EEENSH_IJSG_SG_EEES6_PlJNSB_9not_fun_tINSB_14equal_to_valueIxEEEEEEE10hipError_tPvRmT3_T4_T5_T6_T7_T9_mT8_P12ihipStream_tbDpT10_ENKUlT_T0_E_clISt17integral_constantIbLb1EES18_EEDaS13_S14_EUlS13_E_NS1_11comp_targetILNS1_3genE10ELNS1_11target_archE1200ELNS1_3gpuE4ELNS1_3repE0EEENS1_30default_config_static_selectorELNS0_4arch9wavefront6targetE0EEEvT1_
    .private_segment_fixed_size: 0
    .sgpr_count:     0
    .sgpr_spill_count: 0
    .symbol:         _ZN7rocprim17ROCPRIM_400000_NS6detail17trampoline_kernelINS0_14default_configENS1_25partition_config_selectorILNS1_17partition_subalgoE6ExNS0_10empty_typeEbEEZZNS1_14partition_implILS5_6ELb0ES3_mN6thrust23THRUST_200600_302600_NS6detail15normal_iteratorINSA_10device_ptrIxEEEEPS6_SG_NS0_5tupleIJSF_S6_EEENSH_IJSG_SG_EEES6_PlJNSB_9not_fun_tINSB_14equal_to_valueIxEEEEEEE10hipError_tPvRmT3_T4_T5_T6_T7_T9_mT8_P12ihipStream_tbDpT10_ENKUlT_T0_E_clISt17integral_constantIbLb1EES18_EEDaS13_S14_EUlS13_E_NS1_11comp_targetILNS1_3genE10ELNS1_11target_archE1200ELNS1_3gpuE4ELNS1_3repE0EEENS1_30default_config_static_selectorELNS0_4arch9wavefront6targetE0EEEvT1_.kd
    .uniform_work_group_size: 1
    .uses_dynamic_stack: false
    .vgpr_count:     0
    .vgpr_spill_count: 0
    .wavefront_size: 32
    .workgroup_processor_mode: 1
  - .args:
      - .offset:         0
        .size:           128
        .value_kind:     by_value
    .group_segment_fixed_size: 0
    .kernarg_segment_align: 8
    .kernarg_segment_size: 128
    .language:       OpenCL C
    .language_version:
      - 2
      - 0
    .max_flat_workgroup_size: 384
    .name:           _ZN7rocprim17ROCPRIM_400000_NS6detail17trampoline_kernelINS0_14default_configENS1_25partition_config_selectorILNS1_17partition_subalgoE6ExNS0_10empty_typeEbEEZZNS1_14partition_implILS5_6ELb0ES3_mN6thrust23THRUST_200600_302600_NS6detail15normal_iteratorINSA_10device_ptrIxEEEEPS6_SG_NS0_5tupleIJSF_S6_EEENSH_IJSG_SG_EEES6_PlJNSB_9not_fun_tINSB_14equal_to_valueIxEEEEEEE10hipError_tPvRmT3_T4_T5_T6_T7_T9_mT8_P12ihipStream_tbDpT10_ENKUlT_T0_E_clISt17integral_constantIbLb1EES18_EEDaS13_S14_EUlS13_E_NS1_11comp_targetILNS1_3genE9ELNS1_11target_archE1100ELNS1_3gpuE3ELNS1_3repE0EEENS1_30default_config_static_selectorELNS0_4arch9wavefront6targetE0EEEvT1_
    .private_segment_fixed_size: 0
    .sgpr_count:     0
    .sgpr_spill_count: 0
    .symbol:         _ZN7rocprim17ROCPRIM_400000_NS6detail17trampoline_kernelINS0_14default_configENS1_25partition_config_selectorILNS1_17partition_subalgoE6ExNS0_10empty_typeEbEEZZNS1_14partition_implILS5_6ELb0ES3_mN6thrust23THRUST_200600_302600_NS6detail15normal_iteratorINSA_10device_ptrIxEEEEPS6_SG_NS0_5tupleIJSF_S6_EEENSH_IJSG_SG_EEES6_PlJNSB_9not_fun_tINSB_14equal_to_valueIxEEEEEEE10hipError_tPvRmT3_T4_T5_T6_T7_T9_mT8_P12ihipStream_tbDpT10_ENKUlT_T0_E_clISt17integral_constantIbLb1EES18_EEDaS13_S14_EUlS13_E_NS1_11comp_targetILNS1_3genE9ELNS1_11target_archE1100ELNS1_3gpuE3ELNS1_3repE0EEENS1_30default_config_static_selectorELNS0_4arch9wavefront6targetE0EEEvT1_.kd
    .uniform_work_group_size: 1
    .uses_dynamic_stack: false
    .vgpr_count:     0
    .vgpr_spill_count: 0
    .wavefront_size: 32
    .workgroup_processor_mode: 1
  - .args:
      - .offset:         0
        .size:           128
        .value_kind:     by_value
    .group_segment_fixed_size: 0
    .kernarg_segment_align: 8
    .kernarg_segment_size: 128
    .language:       OpenCL C
    .language_version:
      - 2
      - 0
    .max_flat_workgroup_size: 512
    .name:           _ZN7rocprim17ROCPRIM_400000_NS6detail17trampoline_kernelINS0_14default_configENS1_25partition_config_selectorILNS1_17partition_subalgoE6ExNS0_10empty_typeEbEEZZNS1_14partition_implILS5_6ELb0ES3_mN6thrust23THRUST_200600_302600_NS6detail15normal_iteratorINSA_10device_ptrIxEEEEPS6_SG_NS0_5tupleIJSF_S6_EEENSH_IJSG_SG_EEES6_PlJNSB_9not_fun_tINSB_14equal_to_valueIxEEEEEEE10hipError_tPvRmT3_T4_T5_T6_T7_T9_mT8_P12ihipStream_tbDpT10_ENKUlT_T0_E_clISt17integral_constantIbLb1EES18_EEDaS13_S14_EUlS13_E_NS1_11comp_targetILNS1_3genE8ELNS1_11target_archE1030ELNS1_3gpuE2ELNS1_3repE0EEENS1_30default_config_static_selectorELNS0_4arch9wavefront6targetE0EEEvT1_
    .private_segment_fixed_size: 0
    .sgpr_count:     0
    .sgpr_spill_count: 0
    .symbol:         _ZN7rocprim17ROCPRIM_400000_NS6detail17trampoline_kernelINS0_14default_configENS1_25partition_config_selectorILNS1_17partition_subalgoE6ExNS0_10empty_typeEbEEZZNS1_14partition_implILS5_6ELb0ES3_mN6thrust23THRUST_200600_302600_NS6detail15normal_iteratorINSA_10device_ptrIxEEEEPS6_SG_NS0_5tupleIJSF_S6_EEENSH_IJSG_SG_EEES6_PlJNSB_9not_fun_tINSB_14equal_to_valueIxEEEEEEE10hipError_tPvRmT3_T4_T5_T6_T7_T9_mT8_P12ihipStream_tbDpT10_ENKUlT_T0_E_clISt17integral_constantIbLb1EES18_EEDaS13_S14_EUlS13_E_NS1_11comp_targetILNS1_3genE8ELNS1_11target_archE1030ELNS1_3gpuE2ELNS1_3repE0EEENS1_30default_config_static_selectorELNS0_4arch9wavefront6targetE0EEEvT1_.kd
    .uniform_work_group_size: 1
    .uses_dynamic_stack: false
    .vgpr_count:     0
    .vgpr_spill_count: 0
    .wavefront_size: 32
    .workgroup_processor_mode: 1
  - .args:
      - .offset:         0
        .size:           120
        .value_kind:     by_value
    .group_segment_fixed_size: 0
    .kernarg_segment_align: 8
    .kernarg_segment_size: 120
    .language:       OpenCL C
    .language_version:
      - 2
      - 0
    .max_flat_workgroup_size: 128
    .name:           _ZN7rocprim17ROCPRIM_400000_NS6detail17trampoline_kernelINS0_14default_configENS1_25partition_config_selectorILNS1_17partition_subalgoE6ExNS0_10empty_typeEbEEZZNS1_14partition_implILS5_6ELb0ES3_mN6thrust23THRUST_200600_302600_NS6detail15normal_iteratorINSA_10device_ptrIxEEEEPS6_SG_NS0_5tupleIJSF_S6_EEENSH_IJSG_SG_EEES6_PlJNSB_9not_fun_tINSB_14equal_to_valueIxEEEEEEE10hipError_tPvRmT3_T4_T5_T6_T7_T9_mT8_P12ihipStream_tbDpT10_ENKUlT_T0_E_clISt17integral_constantIbLb1EES17_IbLb0EEEEDaS13_S14_EUlS13_E_NS1_11comp_targetILNS1_3genE0ELNS1_11target_archE4294967295ELNS1_3gpuE0ELNS1_3repE0EEENS1_30default_config_static_selectorELNS0_4arch9wavefront6targetE0EEEvT1_
    .private_segment_fixed_size: 0
    .sgpr_count:     0
    .sgpr_spill_count: 0
    .symbol:         _ZN7rocprim17ROCPRIM_400000_NS6detail17trampoline_kernelINS0_14default_configENS1_25partition_config_selectorILNS1_17partition_subalgoE6ExNS0_10empty_typeEbEEZZNS1_14partition_implILS5_6ELb0ES3_mN6thrust23THRUST_200600_302600_NS6detail15normal_iteratorINSA_10device_ptrIxEEEEPS6_SG_NS0_5tupleIJSF_S6_EEENSH_IJSG_SG_EEES6_PlJNSB_9not_fun_tINSB_14equal_to_valueIxEEEEEEE10hipError_tPvRmT3_T4_T5_T6_T7_T9_mT8_P12ihipStream_tbDpT10_ENKUlT_T0_E_clISt17integral_constantIbLb1EES17_IbLb0EEEEDaS13_S14_EUlS13_E_NS1_11comp_targetILNS1_3genE0ELNS1_11target_archE4294967295ELNS1_3gpuE0ELNS1_3repE0EEENS1_30default_config_static_selectorELNS0_4arch9wavefront6targetE0EEEvT1_.kd
    .uniform_work_group_size: 1
    .uses_dynamic_stack: false
    .vgpr_count:     0
    .vgpr_spill_count: 0
    .wavefront_size: 32
    .workgroup_processor_mode: 1
  - .args:
      - .offset:         0
        .size:           120
        .value_kind:     by_value
    .group_segment_fixed_size: 0
    .kernarg_segment_align: 8
    .kernarg_segment_size: 120
    .language:       OpenCL C
    .language_version:
      - 2
      - 0
    .max_flat_workgroup_size: 512
    .name:           _ZN7rocprim17ROCPRIM_400000_NS6detail17trampoline_kernelINS0_14default_configENS1_25partition_config_selectorILNS1_17partition_subalgoE6ExNS0_10empty_typeEbEEZZNS1_14partition_implILS5_6ELb0ES3_mN6thrust23THRUST_200600_302600_NS6detail15normal_iteratorINSA_10device_ptrIxEEEEPS6_SG_NS0_5tupleIJSF_S6_EEENSH_IJSG_SG_EEES6_PlJNSB_9not_fun_tINSB_14equal_to_valueIxEEEEEEE10hipError_tPvRmT3_T4_T5_T6_T7_T9_mT8_P12ihipStream_tbDpT10_ENKUlT_T0_E_clISt17integral_constantIbLb1EES17_IbLb0EEEEDaS13_S14_EUlS13_E_NS1_11comp_targetILNS1_3genE5ELNS1_11target_archE942ELNS1_3gpuE9ELNS1_3repE0EEENS1_30default_config_static_selectorELNS0_4arch9wavefront6targetE0EEEvT1_
    .private_segment_fixed_size: 0
    .sgpr_count:     0
    .sgpr_spill_count: 0
    .symbol:         _ZN7rocprim17ROCPRIM_400000_NS6detail17trampoline_kernelINS0_14default_configENS1_25partition_config_selectorILNS1_17partition_subalgoE6ExNS0_10empty_typeEbEEZZNS1_14partition_implILS5_6ELb0ES3_mN6thrust23THRUST_200600_302600_NS6detail15normal_iteratorINSA_10device_ptrIxEEEEPS6_SG_NS0_5tupleIJSF_S6_EEENSH_IJSG_SG_EEES6_PlJNSB_9not_fun_tINSB_14equal_to_valueIxEEEEEEE10hipError_tPvRmT3_T4_T5_T6_T7_T9_mT8_P12ihipStream_tbDpT10_ENKUlT_T0_E_clISt17integral_constantIbLb1EES17_IbLb0EEEEDaS13_S14_EUlS13_E_NS1_11comp_targetILNS1_3genE5ELNS1_11target_archE942ELNS1_3gpuE9ELNS1_3repE0EEENS1_30default_config_static_selectorELNS0_4arch9wavefront6targetE0EEEvT1_.kd
    .uniform_work_group_size: 1
    .uses_dynamic_stack: false
    .vgpr_count:     0
    .vgpr_spill_count: 0
    .wavefront_size: 32
    .workgroup_processor_mode: 1
  - .args:
      - .offset:         0
        .size:           120
        .value_kind:     by_value
    .group_segment_fixed_size: 0
    .kernarg_segment_align: 8
    .kernarg_segment_size: 120
    .language:       OpenCL C
    .language_version:
      - 2
      - 0
    .max_flat_workgroup_size: 512
    .name:           _ZN7rocprim17ROCPRIM_400000_NS6detail17trampoline_kernelINS0_14default_configENS1_25partition_config_selectorILNS1_17partition_subalgoE6ExNS0_10empty_typeEbEEZZNS1_14partition_implILS5_6ELb0ES3_mN6thrust23THRUST_200600_302600_NS6detail15normal_iteratorINSA_10device_ptrIxEEEEPS6_SG_NS0_5tupleIJSF_S6_EEENSH_IJSG_SG_EEES6_PlJNSB_9not_fun_tINSB_14equal_to_valueIxEEEEEEE10hipError_tPvRmT3_T4_T5_T6_T7_T9_mT8_P12ihipStream_tbDpT10_ENKUlT_T0_E_clISt17integral_constantIbLb1EES17_IbLb0EEEEDaS13_S14_EUlS13_E_NS1_11comp_targetILNS1_3genE4ELNS1_11target_archE910ELNS1_3gpuE8ELNS1_3repE0EEENS1_30default_config_static_selectorELNS0_4arch9wavefront6targetE0EEEvT1_
    .private_segment_fixed_size: 0
    .sgpr_count:     0
    .sgpr_spill_count: 0
    .symbol:         _ZN7rocprim17ROCPRIM_400000_NS6detail17trampoline_kernelINS0_14default_configENS1_25partition_config_selectorILNS1_17partition_subalgoE6ExNS0_10empty_typeEbEEZZNS1_14partition_implILS5_6ELb0ES3_mN6thrust23THRUST_200600_302600_NS6detail15normal_iteratorINSA_10device_ptrIxEEEEPS6_SG_NS0_5tupleIJSF_S6_EEENSH_IJSG_SG_EEES6_PlJNSB_9not_fun_tINSB_14equal_to_valueIxEEEEEEE10hipError_tPvRmT3_T4_T5_T6_T7_T9_mT8_P12ihipStream_tbDpT10_ENKUlT_T0_E_clISt17integral_constantIbLb1EES17_IbLb0EEEEDaS13_S14_EUlS13_E_NS1_11comp_targetILNS1_3genE4ELNS1_11target_archE910ELNS1_3gpuE8ELNS1_3repE0EEENS1_30default_config_static_selectorELNS0_4arch9wavefront6targetE0EEEvT1_.kd
    .uniform_work_group_size: 1
    .uses_dynamic_stack: false
    .vgpr_count:     0
    .vgpr_spill_count: 0
    .wavefront_size: 32
    .workgroup_processor_mode: 1
  - .args:
      - .offset:         0
        .size:           120
        .value_kind:     by_value
    .group_segment_fixed_size: 0
    .kernarg_segment_align: 8
    .kernarg_segment_size: 120
    .language:       OpenCL C
    .language_version:
      - 2
      - 0
    .max_flat_workgroup_size: 128
    .name:           _ZN7rocprim17ROCPRIM_400000_NS6detail17trampoline_kernelINS0_14default_configENS1_25partition_config_selectorILNS1_17partition_subalgoE6ExNS0_10empty_typeEbEEZZNS1_14partition_implILS5_6ELb0ES3_mN6thrust23THRUST_200600_302600_NS6detail15normal_iteratorINSA_10device_ptrIxEEEEPS6_SG_NS0_5tupleIJSF_S6_EEENSH_IJSG_SG_EEES6_PlJNSB_9not_fun_tINSB_14equal_to_valueIxEEEEEEE10hipError_tPvRmT3_T4_T5_T6_T7_T9_mT8_P12ihipStream_tbDpT10_ENKUlT_T0_E_clISt17integral_constantIbLb1EES17_IbLb0EEEEDaS13_S14_EUlS13_E_NS1_11comp_targetILNS1_3genE3ELNS1_11target_archE908ELNS1_3gpuE7ELNS1_3repE0EEENS1_30default_config_static_selectorELNS0_4arch9wavefront6targetE0EEEvT1_
    .private_segment_fixed_size: 0
    .sgpr_count:     0
    .sgpr_spill_count: 0
    .symbol:         _ZN7rocprim17ROCPRIM_400000_NS6detail17trampoline_kernelINS0_14default_configENS1_25partition_config_selectorILNS1_17partition_subalgoE6ExNS0_10empty_typeEbEEZZNS1_14partition_implILS5_6ELb0ES3_mN6thrust23THRUST_200600_302600_NS6detail15normal_iteratorINSA_10device_ptrIxEEEEPS6_SG_NS0_5tupleIJSF_S6_EEENSH_IJSG_SG_EEES6_PlJNSB_9not_fun_tINSB_14equal_to_valueIxEEEEEEE10hipError_tPvRmT3_T4_T5_T6_T7_T9_mT8_P12ihipStream_tbDpT10_ENKUlT_T0_E_clISt17integral_constantIbLb1EES17_IbLb0EEEEDaS13_S14_EUlS13_E_NS1_11comp_targetILNS1_3genE3ELNS1_11target_archE908ELNS1_3gpuE7ELNS1_3repE0EEENS1_30default_config_static_selectorELNS0_4arch9wavefront6targetE0EEEvT1_.kd
    .uniform_work_group_size: 1
    .uses_dynamic_stack: false
    .vgpr_count:     0
    .vgpr_spill_count: 0
    .wavefront_size: 32
    .workgroup_processor_mode: 1
  - .args:
      - .offset:         0
        .size:           120
        .value_kind:     by_value
    .group_segment_fixed_size: 0
    .kernarg_segment_align: 8
    .kernarg_segment_size: 120
    .language:       OpenCL C
    .language_version:
      - 2
      - 0
    .max_flat_workgroup_size: 256
    .name:           _ZN7rocprim17ROCPRIM_400000_NS6detail17trampoline_kernelINS0_14default_configENS1_25partition_config_selectorILNS1_17partition_subalgoE6ExNS0_10empty_typeEbEEZZNS1_14partition_implILS5_6ELb0ES3_mN6thrust23THRUST_200600_302600_NS6detail15normal_iteratorINSA_10device_ptrIxEEEEPS6_SG_NS0_5tupleIJSF_S6_EEENSH_IJSG_SG_EEES6_PlJNSB_9not_fun_tINSB_14equal_to_valueIxEEEEEEE10hipError_tPvRmT3_T4_T5_T6_T7_T9_mT8_P12ihipStream_tbDpT10_ENKUlT_T0_E_clISt17integral_constantIbLb1EES17_IbLb0EEEEDaS13_S14_EUlS13_E_NS1_11comp_targetILNS1_3genE2ELNS1_11target_archE906ELNS1_3gpuE6ELNS1_3repE0EEENS1_30default_config_static_selectorELNS0_4arch9wavefront6targetE0EEEvT1_
    .private_segment_fixed_size: 0
    .sgpr_count:     0
    .sgpr_spill_count: 0
    .symbol:         _ZN7rocprim17ROCPRIM_400000_NS6detail17trampoline_kernelINS0_14default_configENS1_25partition_config_selectorILNS1_17partition_subalgoE6ExNS0_10empty_typeEbEEZZNS1_14partition_implILS5_6ELb0ES3_mN6thrust23THRUST_200600_302600_NS6detail15normal_iteratorINSA_10device_ptrIxEEEEPS6_SG_NS0_5tupleIJSF_S6_EEENSH_IJSG_SG_EEES6_PlJNSB_9not_fun_tINSB_14equal_to_valueIxEEEEEEE10hipError_tPvRmT3_T4_T5_T6_T7_T9_mT8_P12ihipStream_tbDpT10_ENKUlT_T0_E_clISt17integral_constantIbLb1EES17_IbLb0EEEEDaS13_S14_EUlS13_E_NS1_11comp_targetILNS1_3genE2ELNS1_11target_archE906ELNS1_3gpuE6ELNS1_3repE0EEENS1_30default_config_static_selectorELNS0_4arch9wavefront6targetE0EEEvT1_.kd
    .uniform_work_group_size: 1
    .uses_dynamic_stack: false
    .vgpr_count:     0
    .vgpr_spill_count: 0
    .wavefront_size: 32
    .workgroup_processor_mode: 1
  - .args:
      - .offset:         0
        .size:           120
        .value_kind:     by_value
    .group_segment_fixed_size: 0
    .kernarg_segment_align: 8
    .kernarg_segment_size: 120
    .language:       OpenCL C
    .language_version:
      - 2
      - 0
    .max_flat_workgroup_size: 256
    .name:           _ZN7rocprim17ROCPRIM_400000_NS6detail17trampoline_kernelINS0_14default_configENS1_25partition_config_selectorILNS1_17partition_subalgoE6ExNS0_10empty_typeEbEEZZNS1_14partition_implILS5_6ELb0ES3_mN6thrust23THRUST_200600_302600_NS6detail15normal_iteratorINSA_10device_ptrIxEEEEPS6_SG_NS0_5tupleIJSF_S6_EEENSH_IJSG_SG_EEES6_PlJNSB_9not_fun_tINSB_14equal_to_valueIxEEEEEEE10hipError_tPvRmT3_T4_T5_T6_T7_T9_mT8_P12ihipStream_tbDpT10_ENKUlT_T0_E_clISt17integral_constantIbLb1EES17_IbLb0EEEEDaS13_S14_EUlS13_E_NS1_11comp_targetILNS1_3genE10ELNS1_11target_archE1200ELNS1_3gpuE4ELNS1_3repE0EEENS1_30default_config_static_selectorELNS0_4arch9wavefront6targetE0EEEvT1_
    .private_segment_fixed_size: 0
    .sgpr_count:     0
    .sgpr_spill_count: 0
    .symbol:         _ZN7rocprim17ROCPRIM_400000_NS6detail17trampoline_kernelINS0_14default_configENS1_25partition_config_selectorILNS1_17partition_subalgoE6ExNS0_10empty_typeEbEEZZNS1_14partition_implILS5_6ELb0ES3_mN6thrust23THRUST_200600_302600_NS6detail15normal_iteratorINSA_10device_ptrIxEEEEPS6_SG_NS0_5tupleIJSF_S6_EEENSH_IJSG_SG_EEES6_PlJNSB_9not_fun_tINSB_14equal_to_valueIxEEEEEEE10hipError_tPvRmT3_T4_T5_T6_T7_T9_mT8_P12ihipStream_tbDpT10_ENKUlT_T0_E_clISt17integral_constantIbLb1EES17_IbLb0EEEEDaS13_S14_EUlS13_E_NS1_11comp_targetILNS1_3genE10ELNS1_11target_archE1200ELNS1_3gpuE4ELNS1_3repE0EEENS1_30default_config_static_selectorELNS0_4arch9wavefront6targetE0EEEvT1_.kd
    .uniform_work_group_size: 1
    .uses_dynamic_stack: false
    .vgpr_count:     0
    .vgpr_spill_count: 0
    .wavefront_size: 32
    .workgroup_processor_mode: 1
  - .args:
      - .offset:         0
        .size:           120
        .value_kind:     by_value
    .group_segment_fixed_size: 0
    .kernarg_segment_align: 8
    .kernarg_segment_size: 120
    .language:       OpenCL C
    .language_version:
      - 2
      - 0
    .max_flat_workgroup_size: 384
    .name:           _ZN7rocprim17ROCPRIM_400000_NS6detail17trampoline_kernelINS0_14default_configENS1_25partition_config_selectorILNS1_17partition_subalgoE6ExNS0_10empty_typeEbEEZZNS1_14partition_implILS5_6ELb0ES3_mN6thrust23THRUST_200600_302600_NS6detail15normal_iteratorINSA_10device_ptrIxEEEEPS6_SG_NS0_5tupleIJSF_S6_EEENSH_IJSG_SG_EEES6_PlJNSB_9not_fun_tINSB_14equal_to_valueIxEEEEEEE10hipError_tPvRmT3_T4_T5_T6_T7_T9_mT8_P12ihipStream_tbDpT10_ENKUlT_T0_E_clISt17integral_constantIbLb1EES17_IbLb0EEEEDaS13_S14_EUlS13_E_NS1_11comp_targetILNS1_3genE9ELNS1_11target_archE1100ELNS1_3gpuE3ELNS1_3repE0EEENS1_30default_config_static_selectorELNS0_4arch9wavefront6targetE0EEEvT1_
    .private_segment_fixed_size: 0
    .sgpr_count:     0
    .sgpr_spill_count: 0
    .symbol:         _ZN7rocprim17ROCPRIM_400000_NS6detail17trampoline_kernelINS0_14default_configENS1_25partition_config_selectorILNS1_17partition_subalgoE6ExNS0_10empty_typeEbEEZZNS1_14partition_implILS5_6ELb0ES3_mN6thrust23THRUST_200600_302600_NS6detail15normal_iteratorINSA_10device_ptrIxEEEEPS6_SG_NS0_5tupleIJSF_S6_EEENSH_IJSG_SG_EEES6_PlJNSB_9not_fun_tINSB_14equal_to_valueIxEEEEEEE10hipError_tPvRmT3_T4_T5_T6_T7_T9_mT8_P12ihipStream_tbDpT10_ENKUlT_T0_E_clISt17integral_constantIbLb1EES17_IbLb0EEEEDaS13_S14_EUlS13_E_NS1_11comp_targetILNS1_3genE9ELNS1_11target_archE1100ELNS1_3gpuE3ELNS1_3repE0EEENS1_30default_config_static_selectorELNS0_4arch9wavefront6targetE0EEEvT1_.kd
    .uniform_work_group_size: 1
    .uses_dynamic_stack: false
    .vgpr_count:     0
    .vgpr_spill_count: 0
    .wavefront_size: 32
    .workgroup_processor_mode: 1
  - .args:
      - .offset:         0
        .size:           120
        .value_kind:     by_value
    .group_segment_fixed_size: 0
    .kernarg_segment_align: 8
    .kernarg_segment_size: 120
    .language:       OpenCL C
    .language_version:
      - 2
      - 0
    .max_flat_workgroup_size: 512
    .name:           _ZN7rocprim17ROCPRIM_400000_NS6detail17trampoline_kernelINS0_14default_configENS1_25partition_config_selectorILNS1_17partition_subalgoE6ExNS0_10empty_typeEbEEZZNS1_14partition_implILS5_6ELb0ES3_mN6thrust23THRUST_200600_302600_NS6detail15normal_iteratorINSA_10device_ptrIxEEEEPS6_SG_NS0_5tupleIJSF_S6_EEENSH_IJSG_SG_EEES6_PlJNSB_9not_fun_tINSB_14equal_to_valueIxEEEEEEE10hipError_tPvRmT3_T4_T5_T6_T7_T9_mT8_P12ihipStream_tbDpT10_ENKUlT_T0_E_clISt17integral_constantIbLb1EES17_IbLb0EEEEDaS13_S14_EUlS13_E_NS1_11comp_targetILNS1_3genE8ELNS1_11target_archE1030ELNS1_3gpuE2ELNS1_3repE0EEENS1_30default_config_static_selectorELNS0_4arch9wavefront6targetE0EEEvT1_
    .private_segment_fixed_size: 0
    .sgpr_count:     0
    .sgpr_spill_count: 0
    .symbol:         _ZN7rocprim17ROCPRIM_400000_NS6detail17trampoline_kernelINS0_14default_configENS1_25partition_config_selectorILNS1_17partition_subalgoE6ExNS0_10empty_typeEbEEZZNS1_14partition_implILS5_6ELb0ES3_mN6thrust23THRUST_200600_302600_NS6detail15normal_iteratorINSA_10device_ptrIxEEEEPS6_SG_NS0_5tupleIJSF_S6_EEENSH_IJSG_SG_EEES6_PlJNSB_9not_fun_tINSB_14equal_to_valueIxEEEEEEE10hipError_tPvRmT3_T4_T5_T6_T7_T9_mT8_P12ihipStream_tbDpT10_ENKUlT_T0_E_clISt17integral_constantIbLb1EES17_IbLb0EEEEDaS13_S14_EUlS13_E_NS1_11comp_targetILNS1_3genE8ELNS1_11target_archE1030ELNS1_3gpuE2ELNS1_3repE0EEENS1_30default_config_static_selectorELNS0_4arch9wavefront6targetE0EEEvT1_.kd
    .uniform_work_group_size: 1
    .uses_dynamic_stack: false
    .vgpr_count:     0
    .vgpr_spill_count: 0
    .wavefront_size: 32
    .workgroup_processor_mode: 1
  - .args:
      - .offset:         0
        .size:           128
        .value_kind:     by_value
    .group_segment_fixed_size: 0
    .kernarg_segment_align: 8
    .kernarg_segment_size: 128
    .language:       OpenCL C
    .language_version:
      - 2
      - 0
    .max_flat_workgroup_size: 128
    .name:           _ZN7rocprim17ROCPRIM_400000_NS6detail17trampoline_kernelINS0_14default_configENS1_25partition_config_selectorILNS1_17partition_subalgoE6ExNS0_10empty_typeEbEEZZNS1_14partition_implILS5_6ELb0ES3_mN6thrust23THRUST_200600_302600_NS6detail15normal_iteratorINSA_10device_ptrIxEEEEPS6_SG_NS0_5tupleIJSF_S6_EEENSH_IJSG_SG_EEES6_PlJNSB_9not_fun_tINSB_14equal_to_valueIxEEEEEEE10hipError_tPvRmT3_T4_T5_T6_T7_T9_mT8_P12ihipStream_tbDpT10_ENKUlT_T0_E_clISt17integral_constantIbLb0EES17_IbLb1EEEEDaS13_S14_EUlS13_E_NS1_11comp_targetILNS1_3genE0ELNS1_11target_archE4294967295ELNS1_3gpuE0ELNS1_3repE0EEENS1_30default_config_static_selectorELNS0_4arch9wavefront6targetE0EEEvT1_
    .private_segment_fixed_size: 0
    .sgpr_count:     0
    .sgpr_spill_count: 0
    .symbol:         _ZN7rocprim17ROCPRIM_400000_NS6detail17trampoline_kernelINS0_14default_configENS1_25partition_config_selectorILNS1_17partition_subalgoE6ExNS0_10empty_typeEbEEZZNS1_14partition_implILS5_6ELb0ES3_mN6thrust23THRUST_200600_302600_NS6detail15normal_iteratorINSA_10device_ptrIxEEEEPS6_SG_NS0_5tupleIJSF_S6_EEENSH_IJSG_SG_EEES6_PlJNSB_9not_fun_tINSB_14equal_to_valueIxEEEEEEE10hipError_tPvRmT3_T4_T5_T6_T7_T9_mT8_P12ihipStream_tbDpT10_ENKUlT_T0_E_clISt17integral_constantIbLb0EES17_IbLb1EEEEDaS13_S14_EUlS13_E_NS1_11comp_targetILNS1_3genE0ELNS1_11target_archE4294967295ELNS1_3gpuE0ELNS1_3repE0EEENS1_30default_config_static_selectorELNS0_4arch9wavefront6targetE0EEEvT1_.kd
    .uniform_work_group_size: 1
    .uses_dynamic_stack: false
    .vgpr_count:     0
    .vgpr_spill_count: 0
    .wavefront_size: 32
    .workgroup_processor_mode: 1
  - .args:
      - .offset:         0
        .size:           128
        .value_kind:     by_value
    .group_segment_fixed_size: 0
    .kernarg_segment_align: 8
    .kernarg_segment_size: 128
    .language:       OpenCL C
    .language_version:
      - 2
      - 0
    .max_flat_workgroup_size: 512
    .name:           _ZN7rocprim17ROCPRIM_400000_NS6detail17trampoline_kernelINS0_14default_configENS1_25partition_config_selectorILNS1_17partition_subalgoE6ExNS0_10empty_typeEbEEZZNS1_14partition_implILS5_6ELb0ES3_mN6thrust23THRUST_200600_302600_NS6detail15normal_iteratorINSA_10device_ptrIxEEEEPS6_SG_NS0_5tupleIJSF_S6_EEENSH_IJSG_SG_EEES6_PlJNSB_9not_fun_tINSB_14equal_to_valueIxEEEEEEE10hipError_tPvRmT3_T4_T5_T6_T7_T9_mT8_P12ihipStream_tbDpT10_ENKUlT_T0_E_clISt17integral_constantIbLb0EES17_IbLb1EEEEDaS13_S14_EUlS13_E_NS1_11comp_targetILNS1_3genE5ELNS1_11target_archE942ELNS1_3gpuE9ELNS1_3repE0EEENS1_30default_config_static_selectorELNS0_4arch9wavefront6targetE0EEEvT1_
    .private_segment_fixed_size: 0
    .sgpr_count:     0
    .sgpr_spill_count: 0
    .symbol:         _ZN7rocprim17ROCPRIM_400000_NS6detail17trampoline_kernelINS0_14default_configENS1_25partition_config_selectorILNS1_17partition_subalgoE6ExNS0_10empty_typeEbEEZZNS1_14partition_implILS5_6ELb0ES3_mN6thrust23THRUST_200600_302600_NS6detail15normal_iteratorINSA_10device_ptrIxEEEEPS6_SG_NS0_5tupleIJSF_S6_EEENSH_IJSG_SG_EEES6_PlJNSB_9not_fun_tINSB_14equal_to_valueIxEEEEEEE10hipError_tPvRmT3_T4_T5_T6_T7_T9_mT8_P12ihipStream_tbDpT10_ENKUlT_T0_E_clISt17integral_constantIbLb0EES17_IbLb1EEEEDaS13_S14_EUlS13_E_NS1_11comp_targetILNS1_3genE5ELNS1_11target_archE942ELNS1_3gpuE9ELNS1_3repE0EEENS1_30default_config_static_selectorELNS0_4arch9wavefront6targetE0EEEvT1_.kd
    .uniform_work_group_size: 1
    .uses_dynamic_stack: false
    .vgpr_count:     0
    .vgpr_spill_count: 0
    .wavefront_size: 32
    .workgroup_processor_mode: 1
  - .args:
      - .offset:         0
        .size:           128
        .value_kind:     by_value
    .group_segment_fixed_size: 0
    .kernarg_segment_align: 8
    .kernarg_segment_size: 128
    .language:       OpenCL C
    .language_version:
      - 2
      - 0
    .max_flat_workgroup_size: 512
    .name:           _ZN7rocprim17ROCPRIM_400000_NS6detail17trampoline_kernelINS0_14default_configENS1_25partition_config_selectorILNS1_17partition_subalgoE6ExNS0_10empty_typeEbEEZZNS1_14partition_implILS5_6ELb0ES3_mN6thrust23THRUST_200600_302600_NS6detail15normal_iteratorINSA_10device_ptrIxEEEEPS6_SG_NS0_5tupleIJSF_S6_EEENSH_IJSG_SG_EEES6_PlJNSB_9not_fun_tINSB_14equal_to_valueIxEEEEEEE10hipError_tPvRmT3_T4_T5_T6_T7_T9_mT8_P12ihipStream_tbDpT10_ENKUlT_T0_E_clISt17integral_constantIbLb0EES17_IbLb1EEEEDaS13_S14_EUlS13_E_NS1_11comp_targetILNS1_3genE4ELNS1_11target_archE910ELNS1_3gpuE8ELNS1_3repE0EEENS1_30default_config_static_selectorELNS0_4arch9wavefront6targetE0EEEvT1_
    .private_segment_fixed_size: 0
    .sgpr_count:     0
    .sgpr_spill_count: 0
    .symbol:         _ZN7rocprim17ROCPRIM_400000_NS6detail17trampoline_kernelINS0_14default_configENS1_25partition_config_selectorILNS1_17partition_subalgoE6ExNS0_10empty_typeEbEEZZNS1_14partition_implILS5_6ELb0ES3_mN6thrust23THRUST_200600_302600_NS6detail15normal_iteratorINSA_10device_ptrIxEEEEPS6_SG_NS0_5tupleIJSF_S6_EEENSH_IJSG_SG_EEES6_PlJNSB_9not_fun_tINSB_14equal_to_valueIxEEEEEEE10hipError_tPvRmT3_T4_T5_T6_T7_T9_mT8_P12ihipStream_tbDpT10_ENKUlT_T0_E_clISt17integral_constantIbLb0EES17_IbLb1EEEEDaS13_S14_EUlS13_E_NS1_11comp_targetILNS1_3genE4ELNS1_11target_archE910ELNS1_3gpuE8ELNS1_3repE0EEENS1_30default_config_static_selectorELNS0_4arch9wavefront6targetE0EEEvT1_.kd
    .uniform_work_group_size: 1
    .uses_dynamic_stack: false
    .vgpr_count:     0
    .vgpr_spill_count: 0
    .wavefront_size: 32
    .workgroup_processor_mode: 1
  - .args:
      - .offset:         0
        .size:           128
        .value_kind:     by_value
    .group_segment_fixed_size: 0
    .kernarg_segment_align: 8
    .kernarg_segment_size: 128
    .language:       OpenCL C
    .language_version:
      - 2
      - 0
    .max_flat_workgroup_size: 128
    .name:           _ZN7rocprim17ROCPRIM_400000_NS6detail17trampoline_kernelINS0_14default_configENS1_25partition_config_selectorILNS1_17partition_subalgoE6ExNS0_10empty_typeEbEEZZNS1_14partition_implILS5_6ELb0ES3_mN6thrust23THRUST_200600_302600_NS6detail15normal_iteratorINSA_10device_ptrIxEEEEPS6_SG_NS0_5tupleIJSF_S6_EEENSH_IJSG_SG_EEES6_PlJNSB_9not_fun_tINSB_14equal_to_valueIxEEEEEEE10hipError_tPvRmT3_T4_T5_T6_T7_T9_mT8_P12ihipStream_tbDpT10_ENKUlT_T0_E_clISt17integral_constantIbLb0EES17_IbLb1EEEEDaS13_S14_EUlS13_E_NS1_11comp_targetILNS1_3genE3ELNS1_11target_archE908ELNS1_3gpuE7ELNS1_3repE0EEENS1_30default_config_static_selectorELNS0_4arch9wavefront6targetE0EEEvT1_
    .private_segment_fixed_size: 0
    .sgpr_count:     0
    .sgpr_spill_count: 0
    .symbol:         _ZN7rocprim17ROCPRIM_400000_NS6detail17trampoline_kernelINS0_14default_configENS1_25partition_config_selectorILNS1_17partition_subalgoE6ExNS0_10empty_typeEbEEZZNS1_14partition_implILS5_6ELb0ES3_mN6thrust23THRUST_200600_302600_NS6detail15normal_iteratorINSA_10device_ptrIxEEEEPS6_SG_NS0_5tupleIJSF_S6_EEENSH_IJSG_SG_EEES6_PlJNSB_9not_fun_tINSB_14equal_to_valueIxEEEEEEE10hipError_tPvRmT3_T4_T5_T6_T7_T9_mT8_P12ihipStream_tbDpT10_ENKUlT_T0_E_clISt17integral_constantIbLb0EES17_IbLb1EEEEDaS13_S14_EUlS13_E_NS1_11comp_targetILNS1_3genE3ELNS1_11target_archE908ELNS1_3gpuE7ELNS1_3repE0EEENS1_30default_config_static_selectorELNS0_4arch9wavefront6targetE0EEEvT1_.kd
    .uniform_work_group_size: 1
    .uses_dynamic_stack: false
    .vgpr_count:     0
    .vgpr_spill_count: 0
    .wavefront_size: 32
    .workgroup_processor_mode: 1
  - .args:
      - .offset:         0
        .size:           128
        .value_kind:     by_value
    .group_segment_fixed_size: 0
    .kernarg_segment_align: 8
    .kernarg_segment_size: 128
    .language:       OpenCL C
    .language_version:
      - 2
      - 0
    .max_flat_workgroup_size: 256
    .name:           _ZN7rocprim17ROCPRIM_400000_NS6detail17trampoline_kernelINS0_14default_configENS1_25partition_config_selectorILNS1_17partition_subalgoE6ExNS0_10empty_typeEbEEZZNS1_14partition_implILS5_6ELb0ES3_mN6thrust23THRUST_200600_302600_NS6detail15normal_iteratorINSA_10device_ptrIxEEEEPS6_SG_NS0_5tupleIJSF_S6_EEENSH_IJSG_SG_EEES6_PlJNSB_9not_fun_tINSB_14equal_to_valueIxEEEEEEE10hipError_tPvRmT3_T4_T5_T6_T7_T9_mT8_P12ihipStream_tbDpT10_ENKUlT_T0_E_clISt17integral_constantIbLb0EES17_IbLb1EEEEDaS13_S14_EUlS13_E_NS1_11comp_targetILNS1_3genE2ELNS1_11target_archE906ELNS1_3gpuE6ELNS1_3repE0EEENS1_30default_config_static_selectorELNS0_4arch9wavefront6targetE0EEEvT1_
    .private_segment_fixed_size: 0
    .sgpr_count:     0
    .sgpr_spill_count: 0
    .symbol:         _ZN7rocprim17ROCPRIM_400000_NS6detail17trampoline_kernelINS0_14default_configENS1_25partition_config_selectorILNS1_17partition_subalgoE6ExNS0_10empty_typeEbEEZZNS1_14partition_implILS5_6ELb0ES3_mN6thrust23THRUST_200600_302600_NS6detail15normal_iteratorINSA_10device_ptrIxEEEEPS6_SG_NS0_5tupleIJSF_S6_EEENSH_IJSG_SG_EEES6_PlJNSB_9not_fun_tINSB_14equal_to_valueIxEEEEEEE10hipError_tPvRmT3_T4_T5_T6_T7_T9_mT8_P12ihipStream_tbDpT10_ENKUlT_T0_E_clISt17integral_constantIbLb0EES17_IbLb1EEEEDaS13_S14_EUlS13_E_NS1_11comp_targetILNS1_3genE2ELNS1_11target_archE906ELNS1_3gpuE6ELNS1_3repE0EEENS1_30default_config_static_selectorELNS0_4arch9wavefront6targetE0EEEvT1_.kd
    .uniform_work_group_size: 1
    .uses_dynamic_stack: false
    .vgpr_count:     0
    .vgpr_spill_count: 0
    .wavefront_size: 32
    .workgroup_processor_mode: 1
  - .args:
      - .offset:         0
        .size:           128
        .value_kind:     by_value
    .group_segment_fixed_size: 8464
    .kernarg_segment_align: 8
    .kernarg_segment_size: 128
    .language:       OpenCL C
    .language_version:
      - 2
      - 0
    .max_flat_workgroup_size: 256
    .name:           _ZN7rocprim17ROCPRIM_400000_NS6detail17trampoline_kernelINS0_14default_configENS1_25partition_config_selectorILNS1_17partition_subalgoE6ExNS0_10empty_typeEbEEZZNS1_14partition_implILS5_6ELb0ES3_mN6thrust23THRUST_200600_302600_NS6detail15normal_iteratorINSA_10device_ptrIxEEEEPS6_SG_NS0_5tupleIJSF_S6_EEENSH_IJSG_SG_EEES6_PlJNSB_9not_fun_tINSB_14equal_to_valueIxEEEEEEE10hipError_tPvRmT3_T4_T5_T6_T7_T9_mT8_P12ihipStream_tbDpT10_ENKUlT_T0_E_clISt17integral_constantIbLb0EES17_IbLb1EEEEDaS13_S14_EUlS13_E_NS1_11comp_targetILNS1_3genE10ELNS1_11target_archE1200ELNS1_3gpuE4ELNS1_3repE0EEENS1_30default_config_static_selectorELNS0_4arch9wavefront6targetE0EEEvT1_
    .private_segment_fixed_size: 0
    .sgpr_count:     26
    .sgpr_spill_count: 0
    .symbol:         _ZN7rocprim17ROCPRIM_400000_NS6detail17trampoline_kernelINS0_14default_configENS1_25partition_config_selectorILNS1_17partition_subalgoE6ExNS0_10empty_typeEbEEZZNS1_14partition_implILS5_6ELb0ES3_mN6thrust23THRUST_200600_302600_NS6detail15normal_iteratorINSA_10device_ptrIxEEEEPS6_SG_NS0_5tupleIJSF_S6_EEENSH_IJSG_SG_EEES6_PlJNSB_9not_fun_tINSB_14equal_to_valueIxEEEEEEE10hipError_tPvRmT3_T4_T5_T6_T7_T9_mT8_P12ihipStream_tbDpT10_ENKUlT_T0_E_clISt17integral_constantIbLb0EES17_IbLb1EEEEDaS13_S14_EUlS13_E_NS1_11comp_targetILNS1_3genE10ELNS1_11target_archE1200ELNS1_3gpuE4ELNS1_3repE0EEENS1_30default_config_static_selectorELNS0_4arch9wavefront6targetE0EEEvT1_.kd
    .uniform_work_group_size: 1
    .uses_dynamic_stack: false
    .vgpr_count:     48
    .vgpr_spill_count: 0
    .wavefront_size: 32
    .workgroup_processor_mode: 1
  - .args:
      - .offset:         0
        .size:           128
        .value_kind:     by_value
    .group_segment_fixed_size: 0
    .kernarg_segment_align: 8
    .kernarg_segment_size: 128
    .language:       OpenCL C
    .language_version:
      - 2
      - 0
    .max_flat_workgroup_size: 384
    .name:           _ZN7rocprim17ROCPRIM_400000_NS6detail17trampoline_kernelINS0_14default_configENS1_25partition_config_selectorILNS1_17partition_subalgoE6ExNS0_10empty_typeEbEEZZNS1_14partition_implILS5_6ELb0ES3_mN6thrust23THRUST_200600_302600_NS6detail15normal_iteratorINSA_10device_ptrIxEEEEPS6_SG_NS0_5tupleIJSF_S6_EEENSH_IJSG_SG_EEES6_PlJNSB_9not_fun_tINSB_14equal_to_valueIxEEEEEEE10hipError_tPvRmT3_T4_T5_T6_T7_T9_mT8_P12ihipStream_tbDpT10_ENKUlT_T0_E_clISt17integral_constantIbLb0EES17_IbLb1EEEEDaS13_S14_EUlS13_E_NS1_11comp_targetILNS1_3genE9ELNS1_11target_archE1100ELNS1_3gpuE3ELNS1_3repE0EEENS1_30default_config_static_selectorELNS0_4arch9wavefront6targetE0EEEvT1_
    .private_segment_fixed_size: 0
    .sgpr_count:     0
    .sgpr_spill_count: 0
    .symbol:         _ZN7rocprim17ROCPRIM_400000_NS6detail17trampoline_kernelINS0_14default_configENS1_25partition_config_selectorILNS1_17partition_subalgoE6ExNS0_10empty_typeEbEEZZNS1_14partition_implILS5_6ELb0ES3_mN6thrust23THRUST_200600_302600_NS6detail15normal_iteratorINSA_10device_ptrIxEEEEPS6_SG_NS0_5tupleIJSF_S6_EEENSH_IJSG_SG_EEES6_PlJNSB_9not_fun_tINSB_14equal_to_valueIxEEEEEEE10hipError_tPvRmT3_T4_T5_T6_T7_T9_mT8_P12ihipStream_tbDpT10_ENKUlT_T0_E_clISt17integral_constantIbLb0EES17_IbLb1EEEEDaS13_S14_EUlS13_E_NS1_11comp_targetILNS1_3genE9ELNS1_11target_archE1100ELNS1_3gpuE3ELNS1_3repE0EEENS1_30default_config_static_selectorELNS0_4arch9wavefront6targetE0EEEvT1_.kd
    .uniform_work_group_size: 1
    .uses_dynamic_stack: false
    .vgpr_count:     0
    .vgpr_spill_count: 0
    .wavefront_size: 32
    .workgroup_processor_mode: 1
  - .args:
      - .offset:         0
        .size:           128
        .value_kind:     by_value
    .group_segment_fixed_size: 0
    .kernarg_segment_align: 8
    .kernarg_segment_size: 128
    .language:       OpenCL C
    .language_version:
      - 2
      - 0
    .max_flat_workgroup_size: 512
    .name:           _ZN7rocprim17ROCPRIM_400000_NS6detail17trampoline_kernelINS0_14default_configENS1_25partition_config_selectorILNS1_17partition_subalgoE6ExNS0_10empty_typeEbEEZZNS1_14partition_implILS5_6ELb0ES3_mN6thrust23THRUST_200600_302600_NS6detail15normal_iteratorINSA_10device_ptrIxEEEEPS6_SG_NS0_5tupleIJSF_S6_EEENSH_IJSG_SG_EEES6_PlJNSB_9not_fun_tINSB_14equal_to_valueIxEEEEEEE10hipError_tPvRmT3_T4_T5_T6_T7_T9_mT8_P12ihipStream_tbDpT10_ENKUlT_T0_E_clISt17integral_constantIbLb0EES17_IbLb1EEEEDaS13_S14_EUlS13_E_NS1_11comp_targetILNS1_3genE8ELNS1_11target_archE1030ELNS1_3gpuE2ELNS1_3repE0EEENS1_30default_config_static_selectorELNS0_4arch9wavefront6targetE0EEEvT1_
    .private_segment_fixed_size: 0
    .sgpr_count:     0
    .sgpr_spill_count: 0
    .symbol:         _ZN7rocprim17ROCPRIM_400000_NS6detail17trampoline_kernelINS0_14default_configENS1_25partition_config_selectorILNS1_17partition_subalgoE6ExNS0_10empty_typeEbEEZZNS1_14partition_implILS5_6ELb0ES3_mN6thrust23THRUST_200600_302600_NS6detail15normal_iteratorINSA_10device_ptrIxEEEEPS6_SG_NS0_5tupleIJSF_S6_EEENSH_IJSG_SG_EEES6_PlJNSB_9not_fun_tINSB_14equal_to_valueIxEEEEEEE10hipError_tPvRmT3_T4_T5_T6_T7_T9_mT8_P12ihipStream_tbDpT10_ENKUlT_T0_E_clISt17integral_constantIbLb0EES17_IbLb1EEEEDaS13_S14_EUlS13_E_NS1_11comp_targetILNS1_3genE8ELNS1_11target_archE1030ELNS1_3gpuE2ELNS1_3repE0EEENS1_30default_config_static_selectorELNS0_4arch9wavefront6targetE0EEEvT1_.kd
    .uniform_work_group_size: 1
    .uses_dynamic_stack: false
    .vgpr_count:     0
    .vgpr_spill_count: 0
    .wavefront_size: 32
    .workgroup_processor_mode: 1
  - .args:
      - .offset:         0
        .size:           120
        .value_kind:     by_value
    .group_segment_fixed_size: 0
    .kernarg_segment_align: 8
    .kernarg_segment_size: 120
    .language:       OpenCL C
    .language_version:
      - 2
      - 0
    .max_flat_workgroup_size: 256
    .name:           _ZN7rocprim17ROCPRIM_400000_NS6detail17trampoline_kernelINS0_14default_configENS1_25partition_config_selectorILNS1_17partition_subalgoE6EiNS0_10empty_typeEbEEZZNS1_14partition_implILS5_6ELb0ES3_mN6thrust23THRUST_200600_302600_NS6detail15normal_iteratorINSA_10device_ptrIiEEEEPS6_SG_NS0_5tupleIJSF_S6_EEENSH_IJSG_SG_EEES6_PlJNSB_9not_fun_tINSB_14equal_to_valueIiEEEEEEE10hipError_tPvRmT3_T4_T5_T6_T7_T9_mT8_P12ihipStream_tbDpT10_ENKUlT_T0_E_clISt17integral_constantIbLb0EES18_EEDaS13_S14_EUlS13_E_NS1_11comp_targetILNS1_3genE0ELNS1_11target_archE4294967295ELNS1_3gpuE0ELNS1_3repE0EEENS1_30default_config_static_selectorELNS0_4arch9wavefront6targetE0EEEvT1_
    .private_segment_fixed_size: 0
    .sgpr_count:     0
    .sgpr_spill_count: 0
    .symbol:         _ZN7rocprim17ROCPRIM_400000_NS6detail17trampoline_kernelINS0_14default_configENS1_25partition_config_selectorILNS1_17partition_subalgoE6EiNS0_10empty_typeEbEEZZNS1_14partition_implILS5_6ELb0ES3_mN6thrust23THRUST_200600_302600_NS6detail15normal_iteratorINSA_10device_ptrIiEEEEPS6_SG_NS0_5tupleIJSF_S6_EEENSH_IJSG_SG_EEES6_PlJNSB_9not_fun_tINSB_14equal_to_valueIiEEEEEEE10hipError_tPvRmT3_T4_T5_T6_T7_T9_mT8_P12ihipStream_tbDpT10_ENKUlT_T0_E_clISt17integral_constantIbLb0EES18_EEDaS13_S14_EUlS13_E_NS1_11comp_targetILNS1_3genE0ELNS1_11target_archE4294967295ELNS1_3gpuE0ELNS1_3repE0EEENS1_30default_config_static_selectorELNS0_4arch9wavefront6targetE0EEEvT1_.kd
    .uniform_work_group_size: 1
    .uses_dynamic_stack: false
    .vgpr_count:     0
    .vgpr_spill_count: 0
    .wavefront_size: 32
    .workgroup_processor_mode: 1
  - .args:
      - .offset:         0
        .size:           120
        .value_kind:     by_value
    .group_segment_fixed_size: 0
    .kernarg_segment_align: 8
    .kernarg_segment_size: 120
    .language:       OpenCL C
    .language_version:
      - 2
      - 0
    .max_flat_workgroup_size: 512
    .name:           _ZN7rocprim17ROCPRIM_400000_NS6detail17trampoline_kernelINS0_14default_configENS1_25partition_config_selectorILNS1_17partition_subalgoE6EiNS0_10empty_typeEbEEZZNS1_14partition_implILS5_6ELb0ES3_mN6thrust23THRUST_200600_302600_NS6detail15normal_iteratorINSA_10device_ptrIiEEEEPS6_SG_NS0_5tupleIJSF_S6_EEENSH_IJSG_SG_EEES6_PlJNSB_9not_fun_tINSB_14equal_to_valueIiEEEEEEE10hipError_tPvRmT3_T4_T5_T6_T7_T9_mT8_P12ihipStream_tbDpT10_ENKUlT_T0_E_clISt17integral_constantIbLb0EES18_EEDaS13_S14_EUlS13_E_NS1_11comp_targetILNS1_3genE5ELNS1_11target_archE942ELNS1_3gpuE9ELNS1_3repE0EEENS1_30default_config_static_selectorELNS0_4arch9wavefront6targetE0EEEvT1_
    .private_segment_fixed_size: 0
    .sgpr_count:     0
    .sgpr_spill_count: 0
    .symbol:         _ZN7rocprim17ROCPRIM_400000_NS6detail17trampoline_kernelINS0_14default_configENS1_25partition_config_selectorILNS1_17partition_subalgoE6EiNS0_10empty_typeEbEEZZNS1_14partition_implILS5_6ELb0ES3_mN6thrust23THRUST_200600_302600_NS6detail15normal_iteratorINSA_10device_ptrIiEEEEPS6_SG_NS0_5tupleIJSF_S6_EEENSH_IJSG_SG_EEES6_PlJNSB_9not_fun_tINSB_14equal_to_valueIiEEEEEEE10hipError_tPvRmT3_T4_T5_T6_T7_T9_mT8_P12ihipStream_tbDpT10_ENKUlT_T0_E_clISt17integral_constantIbLb0EES18_EEDaS13_S14_EUlS13_E_NS1_11comp_targetILNS1_3genE5ELNS1_11target_archE942ELNS1_3gpuE9ELNS1_3repE0EEENS1_30default_config_static_selectorELNS0_4arch9wavefront6targetE0EEEvT1_.kd
    .uniform_work_group_size: 1
    .uses_dynamic_stack: false
    .vgpr_count:     0
    .vgpr_spill_count: 0
    .wavefront_size: 32
    .workgroup_processor_mode: 1
  - .args:
      - .offset:         0
        .size:           120
        .value_kind:     by_value
    .group_segment_fixed_size: 0
    .kernarg_segment_align: 8
    .kernarg_segment_size: 120
    .language:       OpenCL C
    .language_version:
      - 2
      - 0
    .max_flat_workgroup_size: 512
    .name:           _ZN7rocprim17ROCPRIM_400000_NS6detail17trampoline_kernelINS0_14default_configENS1_25partition_config_selectorILNS1_17partition_subalgoE6EiNS0_10empty_typeEbEEZZNS1_14partition_implILS5_6ELb0ES3_mN6thrust23THRUST_200600_302600_NS6detail15normal_iteratorINSA_10device_ptrIiEEEEPS6_SG_NS0_5tupleIJSF_S6_EEENSH_IJSG_SG_EEES6_PlJNSB_9not_fun_tINSB_14equal_to_valueIiEEEEEEE10hipError_tPvRmT3_T4_T5_T6_T7_T9_mT8_P12ihipStream_tbDpT10_ENKUlT_T0_E_clISt17integral_constantIbLb0EES18_EEDaS13_S14_EUlS13_E_NS1_11comp_targetILNS1_3genE4ELNS1_11target_archE910ELNS1_3gpuE8ELNS1_3repE0EEENS1_30default_config_static_selectorELNS0_4arch9wavefront6targetE0EEEvT1_
    .private_segment_fixed_size: 0
    .sgpr_count:     0
    .sgpr_spill_count: 0
    .symbol:         _ZN7rocprim17ROCPRIM_400000_NS6detail17trampoline_kernelINS0_14default_configENS1_25partition_config_selectorILNS1_17partition_subalgoE6EiNS0_10empty_typeEbEEZZNS1_14partition_implILS5_6ELb0ES3_mN6thrust23THRUST_200600_302600_NS6detail15normal_iteratorINSA_10device_ptrIiEEEEPS6_SG_NS0_5tupleIJSF_S6_EEENSH_IJSG_SG_EEES6_PlJNSB_9not_fun_tINSB_14equal_to_valueIiEEEEEEE10hipError_tPvRmT3_T4_T5_T6_T7_T9_mT8_P12ihipStream_tbDpT10_ENKUlT_T0_E_clISt17integral_constantIbLb0EES18_EEDaS13_S14_EUlS13_E_NS1_11comp_targetILNS1_3genE4ELNS1_11target_archE910ELNS1_3gpuE8ELNS1_3repE0EEENS1_30default_config_static_selectorELNS0_4arch9wavefront6targetE0EEEvT1_.kd
    .uniform_work_group_size: 1
    .uses_dynamic_stack: false
    .vgpr_count:     0
    .vgpr_spill_count: 0
    .wavefront_size: 32
    .workgroup_processor_mode: 1
  - .args:
      - .offset:         0
        .size:           120
        .value_kind:     by_value
    .group_segment_fixed_size: 0
    .kernarg_segment_align: 8
    .kernarg_segment_size: 120
    .language:       OpenCL C
    .language_version:
      - 2
      - 0
    .max_flat_workgroup_size: 256
    .name:           _ZN7rocprim17ROCPRIM_400000_NS6detail17trampoline_kernelINS0_14default_configENS1_25partition_config_selectorILNS1_17partition_subalgoE6EiNS0_10empty_typeEbEEZZNS1_14partition_implILS5_6ELb0ES3_mN6thrust23THRUST_200600_302600_NS6detail15normal_iteratorINSA_10device_ptrIiEEEEPS6_SG_NS0_5tupleIJSF_S6_EEENSH_IJSG_SG_EEES6_PlJNSB_9not_fun_tINSB_14equal_to_valueIiEEEEEEE10hipError_tPvRmT3_T4_T5_T6_T7_T9_mT8_P12ihipStream_tbDpT10_ENKUlT_T0_E_clISt17integral_constantIbLb0EES18_EEDaS13_S14_EUlS13_E_NS1_11comp_targetILNS1_3genE3ELNS1_11target_archE908ELNS1_3gpuE7ELNS1_3repE0EEENS1_30default_config_static_selectorELNS0_4arch9wavefront6targetE0EEEvT1_
    .private_segment_fixed_size: 0
    .sgpr_count:     0
    .sgpr_spill_count: 0
    .symbol:         _ZN7rocprim17ROCPRIM_400000_NS6detail17trampoline_kernelINS0_14default_configENS1_25partition_config_selectorILNS1_17partition_subalgoE6EiNS0_10empty_typeEbEEZZNS1_14partition_implILS5_6ELb0ES3_mN6thrust23THRUST_200600_302600_NS6detail15normal_iteratorINSA_10device_ptrIiEEEEPS6_SG_NS0_5tupleIJSF_S6_EEENSH_IJSG_SG_EEES6_PlJNSB_9not_fun_tINSB_14equal_to_valueIiEEEEEEE10hipError_tPvRmT3_T4_T5_T6_T7_T9_mT8_P12ihipStream_tbDpT10_ENKUlT_T0_E_clISt17integral_constantIbLb0EES18_EEDaS13_S14_EUlS13_E_NS1_11comp_targetILNS1_3genE3ELNS1_11target_archE908ELNS1_3gpuE7ELNS1_3repE0EEENS1_30default_config_static_selectorELNS0_4arch9wavefront6targetE0EEEvT1_.kd
    .uniform_work_group_size: 1
    .uses_dynamic_stack: false
    .vgpr_count:     0
    .vgpr_spill_count: 0
    .wavefront_size: 32
    .workgroup_processor_mode: 1
  - .args:
      - .offset:         0
        .size:           120
        .value_kind:     by_value
    .group_segment_fixed_size: 0
    .kernarg_segment_align: 8
    .kernarg_segment_size: 120
    .language:       OpenCL C
    .language_version:
      - 2
      - 0
    .max_flat_workgroup_size: 192
    .name:           _ZN7rocprim17ROCPRIM_400000_NS6detail17trampoline_kernelINS0_14default_configENS1_25partition_config_selectorILNS1_17partition_subalgoE6EiNS0_10empty_typeEbEEZZNS1_14partition_implILS5_6ELb0ES3_mN6thrust23THRUST_200600_302600_NS6detail15normal_iteratorINSA_10device_ptrIiEEEEPS6_SG_NS0_5tupleIJSF_S6_EEENSH_IJSG_SG_EEES6_PlJNSB_9not_fun_tINSB_14equal_to_valueIiEEEEEEE10hipError_tPvRmT3_T4_T5_T6_T7_T9_mT8_P12ihipStream_tbDpT10_ENKUlT_T0_E_clISt17integral_constantIbLb0EES18_EEDaS13_S14_EUlS13_E_NS1_11comp_targetILNS1_3genE2ELNS1_11target_archE906ELNS1_3gpuE6ELNS1_3repE0EEENS1_30default_config_static_selectorELNS0_4arch9wavefront6targetE0EEEvT1_
    .private_segment_fixed_size: 0
    .sgpr_count:     0
    .sgpr_spill_count: 0
    .symbol:         _ZN7rocprim17ROCPRIM_400000_NS6detail17trampoline_kernelINS0_14default_configENS1_25partition_config_selectorILNS1_17partition_subalgoE6EiNS0_10empty_typeEbEEZZNS1_14partition_implILS5_6ELb0ES3_mN6thrust23THRUST_200600_302600_NS6detail15normal_iteratorINSA_10device_ptrIiEEEEPS6_SG_NS0_5tupleIJSF_S6_EEENSH_IJSG_SG_EEES6_PlJNSB_9not_fun_tINSB_14equal_to_valueIiEEEEEEE10hipError_tPvRmT3_T4_T5_T6_T7_T9_mT8_P12ihipStream_tbDpT10_ENKUlT_T0_E_clISt17integral_constantIbLb0EES18_EEDaS13_S14_EUlS13_E_NS1_11comp_targetILNS1_3genE2ELNS1_11target_archE906ELNS1_3gpuE6ELNS1_3repE0EEENS1_30default_config_static_selectorELNS0_4arch9wavefront6targetE0EEEvT1_.kd
    .uniform_work_group_size: 1
    .uses_dynamic_stack: false
    .vgpr_count:     0
    .vgpr_spill_count: 0
    .wavefront_size: 32
    .workgroup_processor_mode: 1
  - .args:
      - .offset:         0
        .size:           120
        .value_kind:     by_value
    .group_segment_fixed_size: 10768
    .kernarg_segment_align: 8
    .kernarg_segment_size: 120
    .language:       OpenCL C
    .language_version:
      - 2
      - 0
    .max_flat_workgroup_size: 384
    .name:           _ZN7rocprim17ROCPRIM_400000_NS6detail17trampoline_kernelINS0_14default_configENS1_25partition_config_selectorILNS1_17partition_subalgoE6EiNS0_10empty_typeEbEEZZNS1_14partition_implILS5_6ELb0ES3_mN6thrust23THRUST_200600_302600_NS6detail15normal_iteratorINSA_10device_ptrIiEEEEPS6_SG_NS0_5tupleIJSF_S6_EEENSH_IJSG_SG_EEES6_PlJNSB_9not_fun_tINSB_14equal_to_valueIiEEEEEEE10hipError_tPvRmT3_T4_T5_T6_T7_T9_mT8_P12ihipStream_tbDpT10_ENKUlT_T0_E_clISt17integral_constantIbLb0EES18_EEDaS13_S14_EUlS13_E_NS1_11comp_targetILNS1_3genE10ELNS1_11target_archE1200ELNS1_3gpuE4ELNS1_3repE0EEENS1_30default_config_static_selectorELNS0_4arch9wavefront6targetE0EEEvT1_
    .private_segment_fixed_size: 0
    .sgpr_count:     20
    .sgpr_spill_count: 0
    .symbol:         _ZN7rocprim17ROCPRIM_400000_NS6detail17trampoline_kernelINS0_14default_configENS1_25partition_config_selectorILNS1_17partition_subalgoE6EiNS0_10empty_typeEbEEZZNS1_14partition_implILS5_6ELb0ES3_mN6thrust23THRUST_200600_302600_NS6detail15normal_iteratorINSA_10device_ptrIiEEEEPS6_SG_NS0_5tupleIJSF_S6_EEENSH_IJSG_SG_EEES6_PlJNSB_9not_fun_tINSB_14equal_to_valueIiEEEEEEE10hipError_tPvRmT3_T4_T5_T6_T7_T9_mT8_P12ihipStream_tbDpT10_ENKUlT_T0_E_clISt17integral_constantIbLb0EES18_EEDaS13_S14_EUlS13_E_NS1_11comp_targetILNS1_3genE10ELNS1_11target_archE1200ELNS1_3gpuE4ELNS1_3repE0EEENS1_30default_config_static_selectorELNS0_4arch9wavefront6targetE0EEEvT1_.kd
    .uniform_work_group_size: 1
    .uses_dynamic_stack: false
    .vgpr_count:     49
    .vgpr_spill_count: 0
    .wavefront_size: 32
    .workgroup_processor_mode: 1
  - .args:
      - .offset:         0
        .size:           120
        .value_kind:     by_value
    .group_segment_fixed_size: 0
    .kernarg_segment_align: 8
    .kernarg_segment_size: 120
    .language:       OpenCL C
    .language_version:
      - 2
      - 0
    .max_flat_workgroup_size: 128
    .name:           _ZN7rocprim17ROCPRIM_400000_NS6detail17trampoline_kernelINS0_14default_configENS1_25partition_config_selectorILNS1_17partition_subalgoE6EiNS0_10empty_typeEbEEZZNS1_14partition_implILS5_6ELb0ES3_mN6thrust23THRUST_200600_302600_NS6detail15normal_iteratorINSA_10device_ptrIiEEEEPS6_SG_NS0_5tupleIJSF_S6_EEENSH_IJSG_SG_EEES6_PlJNSB_9not_fun_tINSB_14equal_to_valueIiEEEEEEE10hipError_tPvRmT3_T4_T5_T6_T7_T9_mT8_P12ihipStream_tbDpT10_ENKUlT_T0_E_clISt17integral_constantIbLb0EES18_EEDaS13_S14_EUlS13_E_NS1_11comp_targetILNS1_3genE9ELNS1_11target_archE1100ELNS1_3gpuE3ELNS1_3repE0EEENS1_30default_config_static_selectorELNS0_4arch9wavefront6targetE0EEEvT1_
    .private_segment_fixed_size: 0
    .sgpr_count:     0
    .sgpr_spill_count: 0
    .symbol:         _ZN7rocprim17ROCPRIM_400000_NS6detail17trampoline_kernelINS0_14default_configENS1_25partition_config_selectorILNS1_17partition_subalgoE6EiNS0_10empty_typeEbEEZZNS1_14partition_implILS5_6ELb0ES3_mN6thrust23THRUST_200600_302600_NS6detail15normal_iteratorINSA_10device_ptrIiEEEEPS6_SG_NS0_5tupleIJSF_S6_EEENSH_IJSG_SG_EEES6_PlJNSB_9not_fun_tINSB_14equal_to_valueIiEEEEEEE10hipError_tPvRmT3_T4_T5_T6_T7_T9_mT8_P12ihipStream_tbDpT10_ENKUlT_T0_E_clISt17integral_constantIbLb0EES18_EEDaS13_S14_EUlS13_E_NS1_11comp_targetILNS1_3genE9ELNS1_11target_archE1100ELNS1_3gpuE3ELNS1_3repE0EEENS1_30default_config_static_selectorELNS0_4arch9wavefront6targetE0EEEvT1_.kd
    .uniform_work_group_size: 1
    .uses_dynamic_stack: false
    .vgpr_count:     0
    .vgpr_spill_count: 0
    .wavefront_size: 32
    .workgroup_processor_mode: 1
  - .args:
      - .offset:         0
        .size:           120
        .value_kind:     by_value
    .group_segment_fixed_size: 0
    .kernarg_segment_align: 8
    .kernarg_segment_size: 120
    .language:       OpenCL C
    .language_version:
      - 2
      - 0
    .max_flat_workgroup_size: 512
    .name:           _ZN7rocprim17ROCPRIM_400000_NS6detail17trampoline_kernelINS0_14default_configENS1_25partition_config_selectorILNS1_17partition_subalgoE6EiNS0_10empty_typeEbEEZZNS1_14partition_implILS5_6ELb0ES3_mN6thrust23THRUST_200600_302600_NS6detail15normal_iteratorINSA_10device_ptrIiEEEEPS6_SG_NS0_5tupleIJSF_S6_EEENSH_IJSG_SG_EEES6_PlJNSB_9not_fun_tINSB_14equal_to_valueIiEEEEEEE10hipError_tPvRmT3_T4_T5_T6_T7_T9_mT8_P12ihipStream_tbDpT10_ENKUlT_T0_E_clISt17integral_constantIbLb0EES18_EEDaS13_S14_EUlS13_E_NS1_11comp_targetILNS1_3genE8ELNS1_11target_archE1030ELNS1_3gpuE2ELNS1_3repE0EEENS1_30default_config_static_selectorELNS0_4arch9wavefront6targetE0EEEvT1_
    .private_segment_fixed_size: 0
    .sgpr_count:     0
    .sgpr_spill_count: 0
    .symbol:         _ZN7rocprim17ROCPRIM_400000_NS6detail17trampoline_kernelINS0_14default_configENS1_25partition_config_selectorILNS1_17partition_subalgoE6EiNS0_10empty_typeEbEEZZNS1_14partition_implILS5_6ELb0ES3_mN6thrust23THRUST_200600_302600_NS6detail15normal_iteratorINSA_10device_ptrIiEEEEPS6_SG_NS0_5tupleIJSF_S6_EEENSH_IJSG_SG_EEES6_PlJNSB_9not_fun_tINSB_14equal_to_valueIiEEEEEEE10hipError_tPvRmT3_T4_T5_T6_T7_T9_mT8_P12ihipStream_tbDpT10_ENKUlT_T0_E_clISt17integral_constantIbLb0EES18_EEDaS13_S14_EUlS13_E_NS1_11comp_targetILNS1_3genE8ELNS1_11target_archE1030ELNS1_3gpuE2ELNS1_3repE0EEENS1_30default_config_static_selectorELNS0_4arch9wavefront6targetE0EEEvT1_.kd
    .uniform_work_group_size: 1
    .uses_dynamic_stack: false
    .vgpr_count:     0
    .vgpr_spill_count: 0
    .wavefront_size: 32
    .workgroup_processor_mode: 1
  - .args:
      - .offset:         0
        .size:           128
        .value_kind:     by_value
    .group_segment_fixed_size: 0
    .kernarg_segment_align: 8
    .kernarg_segment_size: 128
    .language:       OpenCL C
    .language_version:
      - 2
      - 0
    .max_flat_workgroup_size: 256
    .name:           _ZN7rocprim17ROCPRIM_400000_NS6detail17trampoline_kernelINS0_14default_configENS1_25partition_config_selectorILNS1_17partition_subalgoE6EiNS0_10empty_typeEbEEZZNS1_14partition_implILS5_6ELb0ES3_mN6thrust23THRUST_200600_302600_NS6detail15normal_iteratorINSA_10device_ptrIiEEEEPS6_SG_NS0_5tupleIJSF_S6_EEENSH_IJSG_SG_EEES6_PlJNSB_9not_fun_tINSB_14equal_to_valueIiEEEEEEE10hipError_tPvRmT3_T4_T5_T6_T7_T9_mT8_P12ihipStream_tbDpT10_ENKUlT_T0_E_clISt17integral_constantIbLb1EES18_EEDaS13_S14_EUlS13_E_NS1_11comp_targetILNS1_3genE0ELNS1_11target_archE4294967295ELNS1_3gpuE0ELNS1_3repE0EEENS1_30default_config_static_selectorELNS0_4arch9wavefront6targetE0EEEvT1_
    .private_segment_fixed_size: 0
    .sgpr_count:     0
    .sgpr_spill_count: 0
    .symbol:         _ZN7rocprim17ROCPRIM_400000_NS6detail17trampoline_kernelINS0_14default_configENS1_25partition_config_selectorILNS1_17partition_subalgoE6EiNS0_10empty_typeEbEEZZNS1_14partition_implILS5_6ELb0ES3_mN6thrust23THRUST_200600_302600_NS6detail15normal_iteratorINSA_10device_ptrIiEEEEPS6_SG_NS0_5tupleIJSF_S6_EEENSH_IJSG_SG_EEES6_PlJNSB_9not_fun_tINSB_14equal_to_valueIiEEEEEEE10hipError_tPvRmT3_T4_T5_T6_T7_T9_mT8_P12ihipStream_tbDpT10_ENKUlT_T0_E_clISt17integral_constantIbLb1EES18_EEDaS13_S14_EUlS13_E_NS1_11comp_targetILNS1_3genE0ELNS1_11target_archE4294967295ELNS1_3gpuE0ELNS1_3repE0EEENS1_30default_config_static_selectorELNS0_4arch9wavefront6targetE0EEEvT1_.kd
    .uniform_work_group_size: 1
    .uses_dynamic_stack: false
    .vgpr_count:     0
    .vgpr_spill_count: 0
    .wavefront_size: 32
    .workgroup_processor_mode: 1
  - .args:
      - .offset:         0
        .size:           128
        .value_kind:     by_value
    .group_segment_fixed_size: 0
    .kernarg_segment_align: 8
    .kernarg_segment_size: 128
    .language:       OpenCL C
    .language_version:
      - 2
      - 0
    .max_flat_workgroup_size: 512
    .name:           _ZN7rocprim17ROCPRIM_400000_NS6detail17trampoline_kernelINS0_14default_configENS1_25partition_config_selectorILNS1_17partition_subalgoE6EiNS0_10empty_typeEbEEZZNS1_14partition_implILS5_6ELb0ES3_mN6thrust23THRUST_200600_302600_NS6detail15normal_iteratorINSA_10device_ptrIiEEEEPS6_SG_NS0_5tupleIJSF_S6_EEENSH_IJSG_SG_EEES6_PlJNSB_9not_fun_tINSB_14equal_to_valueIiEEEEEEE10hipError_tPvRmT3_T4_T5_T6_T7_T9_mT8_P12ihipStream_tbDpT10_ENKUlT_T0_E_clISt17integral_constantIbLb1EES18_EEDaS13_S14_EUlS13_E_NS1_11comp_targetILNS1_3genE5ELNS1_11target_archE942ELNS1_3gpuE9ELNS1_3repE0EEENS1_30default_config_static_selectorELNS0_4arch9wavefront6targetE0EEEvT1_
    .private_segment_fixed_size: 0
    .sgpr_count:     0
    .sgpr_spill_count: 0
    .symbol:         _ZN7rocprim17ROCPRIM_400000_NS6detail17trampoline_kernelINS0_14default_configENS1_25partition_config_selectorILNS1_17partition_subalgoE6EiNS0_10empty_typeEbEEZZNS1_14partition_implILS5_6ELb0ES3_mN6thrust23THRUST_200600_302600_NS6detail15normal_iteratorINSA_10device_ptrIiEEEEPS6_SG_NS0_5tupleIJSF_S6_EEENSH_IJSG_SG_EEES6_PlJNSB_9not_fun_tINSB_14equal_to_valueIiEEEEEEE10hipError_tPvRmT3_T4_T5_T6_T7_T9_mT8_P12ihipStream_tbDpT10_ENKUlT_T0_E_clISt17integral_constantIbLb1EES18_EEDaS13_S14_EUlS13_E_NS1_11comp_targetILNS1_3genE5ELNS1_11target_archE942ELNS1_3gpuE9ELNS1_3repE0EEENS1_30default_config_static_selectorELNS0_4arch9wavefront6targetE0EEEvT1_.kd
    .uniform_work_group_size: 1
    .uses_dynamic_stack: false
    .vgpr_count:     0
    .vgpr_spill_count: 0
    .wavefront_size: 32
    .workgroup_processor_mode: 1
  - .args:
      - .offset:         0
        .size:           128
        .value_kind:     by_value
    .group_segment_fixed_size: 0
    .kernarg_segment_align: 8
    .kernarg_segment_size: 128
    .language:       OpenCL C
    .language_version:
      - 2
      - 0
    .max_flat_workgroup_size: 512
    .name:           _ZN7rocprim17ROCPRIM_400000_NS6detail17trampoline_kernelINS0_14default_configENS1_25partition_config_selectorILNS1_17partition_subalgoE6EiNS0_10empty_typeEbEEZZNS1_14partition_implILS5_6ELb0ES3_mN6thrust23THRUST_200600_302600_NS6detail15normal_iteratorINSA_10device_ptrIiEEEEPS6_SG_NS0_5tupleIJSF_S6_EEENSH_IJSG_SG_EEES6_PlJNSB_9not_fun_tINSB_14equal_to_valueIiEEEEEEE10hipError_tPvRmT3_T4_T5_T6_T7_T9_mT8_P12ihipStream_tbDpT10_ENKUlT_T0_E_clISt17integral_constantIbLb1EES18_EEDaS13_S14_EUlS13_E_NS1_11comp_targetILNS1_3genE4ELNS1_11target_archE910ELNS1_3gpuE8ELNS1_3repE0EEENS1_30default_config_static_selectorELNS0_4arch9wavefront6targetE0EEEvT1_
    .private_segment_fixed_size: 0
    .sgpr_count:     0
    .sgpr_spill_count: 0
    .symbol:         _ZN7rocprim17ROCPRIM_400000_NS6detail17trampoline_kernelINS0_14default_configENS1_25partition_config_selectorILNS1_17partition_subalgoE6EiNS0_10empty_typeEbEEZZNS1_14partition_implILS5_6ELb0ES3_mN6thrust23THRUST_200600_302600_NS6detail15normal_iteratorINSA_10device_ptrIiEEEEPS6_SG_NS0_5tupleIJSF_S6_EEENSH_IJSG_SG_EEES6_PlJNSB_9not_fun_tINSB_14equal_to_valueIiEEEEEEE10hipError_tPvRmT3_T4_T5_T6_T7_T9_mT8_P12ihipStream_tbDpT10_ENKUlT_T0_E_clISt17integral_constantIbLb1EES18_EEDaS13_S14_EUlS13_E_NS1_11comp_targetILNS1_3genE4ELNS1_11target_archE910ELNS1_3gpuE8ELNS1_3repE0EEENS1_30default_config_static_selectorELNS0_4arch9wavefront6targetE0EEEvT1_.kd
    .uniform_work_group_size: 1
    .uses_dynamic_stack: false
    .vgpr_count:     0
    .vgpr_spill_count: 0
    .wavefront_size: 32
    .workgroup_processor_mode: 1
  - .args:
      - .offset:         0
        .size:           128
        .value_kind:     by_value
    .group_segment_fixed_size: 0
    .kernarg_segment_align: 8
    .kernarg_segment_size: 128
    .language:       OpenCL C
    .language_version:
      - 2
      - 0
    .max_flat_workgroup_size: 256
    .name:           _ZN7rocprim17ROCPRIM_400000_NS6detail17trampoline_kernelINS0_14default_configENS1_25partition_config_selectorILNS1_17partition_subalgoE6EiNS0_10empty_typeEbEEZZNS1_14partition_implILS5_6ELb0ES3_mN6thrust23THRUST_200600_302600_NS6detail15normal_iteratorINSA_10device_ptrIiEEEEPS6_SG_NS0_5tupleIJSF_S6_EEENSH_IJSG_SG_EEES6_PlJNSB_9not_fun_tINSB_14equal_to_valueIiEEEEEEE10hipError_tPvRmT3_T4_T5_T6_T7_T9_mT8_P12ihipStream_tbDpT10_ENKUlT_T0_E_clISt17integral_constantIbLb1EES18_EEDaS13_S14_EUlS13_E_NS1_11comp_targetILNS1_3genE3ELNS1_11target_archE908ELNS1_3gpuE7ELNS1_3repE0EEENS1_30default_config_static_selectorELNS0_4arch9wavefront6targetE0EEEvT1_
    .private_segment_fixed_size: 0
    .sgpr_count:     0
    .sgpr_spill_count: 0
    .symbol:         _ZN7rocprim17ROCPRIM_400000_NS6detail17trampoline_kernelINS0_14default_configENS1_25partition_config_selectorILNS1_17partition_subalgoE6EiNS0_10empty_typeEbEEZZNS1_14partition_implILS5_6ELb0ES3_mN6thrust23THRUST_200600_302600_NS6detail15normal_iteratorINSA_10device_ptrIiEEEEPS6_SG_NS0_5tupleIJSF_S6_EEENSH_IJSG_SG_EEES6_PlJNSB_9not_fun_tINSB_14equal_to_valueIiEEEEEEE10hipError_tPvRmT3_T4_T5_T6_T7_T9_mT8_P12ihipStream_tbDpT10_ENKUlT_T0_E_clISt17integral_constantIbLb1EES18_EEDaS13_S14_EUlS13_E_NS1_11comp_targetILNS1_3genE3ELNS1_11target_archE908ELNS1_3gpuE7ELNS1_3repE0EEENS1_30default_config_static_selectorELNS0_4arch9wavefront6targetE0EEEvT1_.kd
    .uniform_work_group_size: 1
    .uses_dynamic_stack: false
    .vgpr_count:     0
    .vgpr_spill_count: 0
    .wavefront_size: 32
    .workgroup_processor_mode: 1
  - .args:
      - .offset:         0
        .size:           128
        .value_kind:     by_value
    .group_segment_fixed_size: 0
    .kernarg_segment_align: 8
    .kernarg_segment_size: 128
    .language:       OpenCL C
    .language_version:
      - 2
      - 0
    .max_flat_workgroup_size: 192
    .name:           _ZN7rocprim17ROCPRIM_400000_NS6detail17trampoline_kernelINS0_14default_configENS1_25partition_config_selectorILNS1_17partition_subalgoE6EiNS0_10empty_typeEbEEZZNS1_14partition_implILS5_6ELb0ES3_mN6thrust23THRUST_200600_302600_NS6detail15normal_iteratorINSA_10device_ptrIiEEEEPS6_SG_NS0_5tupleIJSF_S6_EEENSH_IJSG_SG_EEES6_PlJNSB_9not_fun_tINSB_14equal_to_valueIiEEEEEEE10hipError_tPvRmT3_T4_T5_T6_T7_T9_mT8_P12ihipStream_tbDpT10_ENKUlT_T0_E_clISt17integral_constantIbLb1EES18_EEDaS13_S14_EUlS13_E_NS1_11comp_targetILNS1_3genE2ELNS1_11target_archE906ELNS1_3gpuE6ELNS1_3repE0EEENS1_30default_config_static_selectorELNS0_4arch9wavefront6targetE0EEEvT1_
    .private_segment_fixed_size: 0
    .sgpr_count:     0
    .sgpr_spill_count: 0
    .symbol:         _ZN7rocprim17ROCPRIM_400000_NS6detail17trampoline_kernelINS0_14default_configENS1_25partition_config_selectorILNS1_17partition_subalgoE6EiNS0_10empty_typeEbEEZZNS1_14partition_implILS5_6ELb0ES3_mN6thrust23THRUST_200600_302600_NS6detail15normal_iteratorINSA_10device_ptrIiEEEEPS6_SG_NS0_5tupleIJSF_S6_EEENSH_IJSG_SG_EEES6_PlJNSB_9not_fun_tINSB_14equal_to_valueIiEEEEEEE10hipError_tPvRmT3_T4_T5_T6_T7_T9_mT8_P12ihipStream_tbDpT10_ENKUlT_T0_E_clISt17integral_constantIbLb1EES18_EEDaS13_S14_EUlS13_E_NS1_11comp_targetILNS1_3genE2ELNS1_11target_archE906ELNS1_3gpuE6ELNS1_3repE0EEENS1_30default_config_static_selectorELNS0_4arch9wavefront6targetE0EEEvT1_.kd
    .uniform_work_group_size: 1
    .uses_dynamic_stack: false
    .vgpr_count:     0
    .vgpr_spill_count: 0
    .wavefront_size: 32
    .workgroup_processor_mode: 1
  - .args:
      - .offset:         0
        .size:           128
        .value_kind:     by_value
    .group_segment_fixed_size: 0
    .kernarg_segment_align: 8
    .kernarg_segment_size: 128
    .language:       OpenCL C
    .language_version:
      - 2
      - 0
    .max_flat_workgroup_size: 384
    .name:           _ZN7rocprim17ROCPRIM_400000_NS6detail17trampoline_kernelINS0_14default_configENS1_25partition_config_selectorILNS1_17partition_subalgoE6EiNS0_10empty_typeEbEEZZNS1_14partition_implILS5_6ELb0ES3_mN6thrust23THRUST_200600_302600_NS6detail15normal_iteratorINSA_10device_ptrIiEEEEPS6_SG_NS0_5tupleIJSF_S6_EEENSH_IJSG_SG_EEES6_PlJNSB_9not_fun_tINSB_14equal_to_valueIiEEEEEEE10hipError_tPvRmT3_T4_T5_T6_T7_T9_mT8_P12ihipStream_tbDpT10_ENKUlT_T0_E_clISt17integral_constantIbLb1EES18_EEDaS13_S14_EUlS13_E_NS1_11comp_targetILNS1_3genE10ELNS1_11target_archE1200ELNS1_3gpuE4ELNS1_3repE0EEENS1_30default_config_static_selectorELNS0_4arch9wavefront6targetE0EEEvT1_
    .private_segment_fixed_size: 0
    .sgpr_count:     0
    .sgpr_spill_count: 0
    .symbol:         _ZN7rocprim17ROCPRIM_400000_NS6detail17trampoline_kernelINS0_14default_configENS1_25partition_config_selectorILNS1_17partition_subalgoE6EiNS0_10empty_typeEbEEZZNS1_14partition_implILS5_6ELb0ES3_mN6thrust23THRUST_200600_302600_NS6detail15normal_iteratorINSA_10device_ptrIiEEEEPS6_SG_NS0_5tupleIJSF_S6_EEENSH_IJSG_SG_EEES6_PlJNSB_9not_fun_tINSB_14equal_to_valueIiEEEEEEE10hipError_tPvRmT3_T4_T5_T6_T7_T9_mT8_P12ihipStream_tbDpT10_ENKUlT_T0_E_clISt17integral_constantIbLb1EES18_EEDaS13_S14_EUlS13_E_NS1_11comp_targetILNS1_3genE10ELNS1_11target_archE1200ELNS1_3gpuE4ELNS1_3repE0EEENS1_30default_config_static_selectorELNS0_4arch9wavefront6targetE0EEEvT1_.kd
    .uniform_work_group_size: 1
    .uses_dynamic_stack: false
    .vgpr_count:     0
    .vgpr_spill_count: 0
    .wavefront_size: 32
    .workgroup_processor_mode: 1
  - .args:
      - .offset:         0
        .size:           128
        .value_kind:     by_value
    .group_segment_fixed_size: 0
    .kernarg_segment_align: 8
    .kernarg_segment_size: 128
    .language:       OpenCL C
    .language_version:
      - 2
      - 0
    .max_flat_workgroup_size: 128
    .name:           _ZN7rocprim17ROCPRIM_400000_NS6detail17trampoline_kernelINS0_14default_configENS1_25partition_config_selectorILNS1_17partition_subalgoE6EiNS0_10empty_typeEbEEZZNS1_14partition_implILS5_6ELb0ES3_mN6thrust23THRUST_200600_302600_NS6detail15normal_iteratorINSA_10device_ptrIiEEEEPS6_SG_NS0_5tupleIJSF_S6_EEENSH_IJSG_SG_EEES6_PlJNSB_9not_fun_tINSB_14equal_to_valueIiEEEEEEE10hipError_tPvRmT3_T4_T5_T6_T7_T9_mT8_P12ihipStream_tbDpT10_ENKUlT_T0_E_clISt17integral_constantIbLb1EES18_EEDaS13_S14_EUlS13_E_NS1_11comp_targetILNS1_3genE9ELNS1_11target_archE1100ELNS1_3gpuE3ELNS1_3repE0EEENS1_30default_config_static_selectorELNS0_4arch9wavefront6targetE0EEEvT1_
    .private_segment_fixed_size: 0
    .sgpr_count:     0
    .sgpr_spill_count: 0
    .symbol:         _ZN7rocprim17ROCPRIM_400000_NS6detail17trampoline_kernelINS0_14default_configENS1_25partition_config_selectorILNS1_17partition_subalgoE6EiNS0_10empty_typeEbEEZZNS1_14partition_implILS5_6ELb0ES3_mN6thrust23THRUST_200600_302600_NS6detail15normal_iteratorINSA_10device_ptrIiEEEEPS6_SG_NS0_5tupleIJSF_S6_EEENSH_IJSG_SG_EEES6_PlJNSB_9not_fun_tINSB_14equal_to_valueIiEEEEEEE10hipError_tPvRmT3_T4_T5_T6_T7_T9_mT8_P12ihipStream_tbDpT10_ENKUlT_T0_E_clISt17integral_constantIbLb1EES18_EEDaS13_S14_EUlS13_E_NS1_11comp_targetILNS1_3genE9ELNS1_11target_archE1100ELNS1_3gpuE3ELNS1_3repE0EEENS1_30default_config_static_selectorELNS0_4arch9wavefront6targetE0EEEvT1_.kd
    .uniform_work_group_size: 1
    .uses_dynamic_stack: false
    .vgpr_count:     0
    .vgpr_spill_count: 0
    .wavefront_size: 32
    .workgroup_processor_mode: 1
  - .args:
      - .offset:         0
        .size:           128
        .value_kind:     by_value
    .group_segment_fixed_size: 0
    .kernarg_segment_align: 8
    .kernarg_segment_size: 128
    .language:       OpenCL C
    .language_version:
      - 2
      - 0
    .max_flat_workgroup_size: 512
    .name:           _ZN7rocprim17ROCPRIM_400000_NS6detail17trampoline_kernelINS0_14default_configENS1_25partition_config_selectorILNS1_17partition_subalgoE6EiNS0_10empty_typeEbEEZZNS1_14partition_implILS5_6ELb0ES3_mN6thrust23THRUST_200600_302600_NS6detail15normal_iteratorINSA_10device_ptrIiEEEEPS6_SG_NS0_5tupleIJSF_S6_EEENSH_IJSG_SG_EEES6_PlJNSB_9not_fun_tINSB_14equal_to_valueIiEEEEEEE10hipError_tPvRmT3_T4_T5_T6_T7_T9_mT8_P12ihipStream_tbDpT10_ENKUlT_T0_E_clISt17integral_constantIbLb1EES18_EEDaS13_S14_EUlS13_E_NS1_11comp_targetILNS1_3genE8ELNS1_11target_archE1030ELNS1_3gpuE2ELNS1_3repE0EEENS1_30default_config_static_selectorELNS0_4arch9wavefront6targetE0EEEvT1_
    .private_segment_fixed_size: 0
    .sgpr_count:     0
    .sgpr_spill_count: 0
    .symbol:         _ZN7rocprim17ROCPRIM_400000_NS6detail17trampoline_kernelINS0_14default_configENS1_25partition_config_selectorILNS1_17partition_subalgoE6EiNS0_10empty_typeEbEEZZNS1_14partition_implILS5_6ELb0ES3_mN6thrust23THRUST_200600_302600_NS6detail15normal_iteratorINSA_10device_ptrIiEEEEPS6_SG_NS0_5tupleIJSF_S6_EEENSH_IJSG_SG_EEES6_PlJNSB_9not_fun_tINSB_14equal_to_valueIiEEEEEEE10hipError_tPvRmT3_T4_T5_T6_T7_T9_mT8_P12ihipStream_tbDpT10_ENKUlT_T0_E_clISt17integral_constantIbLb1EES18_EEDaS13_S14_EUlS13_E_NS1_11comp_targetILNS1_3genE8ELNS1_11target_archE1030ELNS1_3gpuE2ELNS1_3repE0EEENS1_30default_config_static_selectorELNS0_4arch9wavefront6targetE0EEEvT1_.kd
    .uniform_work_group_size: 1
    .uses_dynamic_stack: false
    .vgpr_count:     0
    .vgpr_spill_count: 0
    .wavefront_size: 32
    .workgroup_processor_mode: 1
  - .args:
      - .offset:         0
        .size:           120
        .value_kind:     by_value
    .group_segment_fixed_size: 0
    .kernarg_segment_align: 8
    .kernarg_segment_size: 120
    .language:       OpenCL C
    .language_version:
      - 2
      - 0
    .max_flat_workgroup_size: 256
    .name:           _ZN7rocprim17ROCPRIM_400000_NS6detail17trampoline_kernelINS0_14default_configENS1_25partition_config_selectorILNS1_17partition_subalgoE6EiNS0_10empty_typeEbEEZZNS1_14partition_implILS5_6ELb0ES3_mN6thrust23THRUST_200600_302600_NS6detail15normal_iteratorINSA_10device_ptrIiEEEEPS6_SG_NS0_5tupleIJSF_S6_EEENSH_IJSG_SG_EEES6_PlJNSB_9not_fun_tINSB_14equal_to_valueIiEEEEEEE10hipError_tPvRmT3_T4_T5_T6_T7_T9_mT8_P12ihipStream_tbDpT10_ENKUlT_T0_E_clISt17integral_constantIbLb1EES17_IbLb0EEEEDaS13_S14_EUlS13_E_NS1_11comp_targetILNS1_3genE0ELNS1_11target_archE4294967295ELNS1_3gpuE0ELNS1_3repE0EEENS1_30default_config_static_selectorELNS0_4arch9wavefront6targetE0EEEvT1_
    .private_segment_fixed_size: 0
    .sgpr_count:     0
    .sgpr_spill_count: 0
    .symbol:         _ZN7rocprim17ROCPRIM_400000_NS6detail17trampoline_kernelINS0_14default_configENS1_25partition_config_selectorILNS1_17partition_subalgoE6EiNS0_10empty_typeEbEEZZNS1_14partition_implILS5_6ELb0ES3_mN6thrust23THRUST_200600_302600_NS6detail15normal_iteratorINSA_10device_ptrIiEEEEPS6_SG_NS0_5tupleIJSF_S6_EEENSH_IJSG_SG_EEES6_PlJNSB_9not_fun_tINSB_14equal_to_valueIiEEEEEEE10hipError_tPvRmT3_T4_T5_T6_T7_T9_mT8_P12ihipStream_tbDpT10_ENKUlT_T0_E_clISt17integral_constantIbLb1EES17_IbLb0EEEEDaS13_S14_EUlS13_E_NS1_11comp_targetILNS1_3genE0ELNS1_11target_archE4294967295ELNS1_3gpuE0ELNS1_3repE0EEENS1_30default_config_static_selectorELNS0_4arch9wavefront6targetE0EEEvT1_.kd
    .uniform_work_group_size: 1
    .uses_dynamic_stack: false
    .vgpr_count:     0
    .vgpr_spill_count: 0
    .wavefront_size: 32
    .workgroup_processor_mode: 1
  - .args:
      - .offset:         0
        .size:           120
        .value_kind:     by_value
    .group_segment_fixed_size: 0
    .kernarg_segment_align: 8
    .kernarg_segment_size: 120
    .language:       OpenCL C
    .language_version:
      - 2
      - 0
    .max_flat_workgroup_size: 512
    .name:           _ZN7rocprim17ROCPRIM_400000_NS6detail17trampoline_kernelINS0_14default_configENS1_25partition_config_selectorILNS1_17partition_subalgoE6EiNS0_10empty_typeEbEEZZNS1_14partition_implILS5_6ELb0ES3_mN6thrust23THRUST_200600_302600_NS6detail15normal_iteratorINSA_10device_ptrIiEEEEPS6_SG_NS0_5tupleIJSF_S6_EEENSH_IJSG_SG_EEES6_PlJNSB_9not_fun_tINSB_14equal_to_valueIiEEEEEEE10hipError_tPvRmT3_T4_T5_T6_T7_T9_mT8_P12ihipStream_tbDpT10_ENKUlT_T0_E_clISt17integral_constantIbLb1EES17_IbLb0EEEEDaS13_S14_EUlS13_E_NS1_11comp_targetILNS1_3genE5ELNS1_11target_archE942ELNS1_3gpuE9ELNS1_3repE0EEENS1_30default_config_static_selectorELNS0_4arch9wavefront6targetE0EEEvT1_
    .private_segment_fixed_size: 0
    .sgpr_count:     0
    .sgpr_spill_count: 0
    .symbol:         _ZN7rocprim17ROCPRIM_400000_NS6detail17trampoline_kernelINS0_14default_configENS1_25partition_config_selectorILNS1_17partition_subalgoE6EiNS0_10empty_typeEbEEZZNS1_14partition_implILS5_6ELb0ES3_mN6thrust23THRUST_200600_302600_NS6detail15normal_iteratorINSA_10device_ptrIiEEEEPS6_SG_NS0_5tupleIJSF_S6_EEENSH_IJSG_SG_EEES6_PlJNSB_9not_fun_tINSB_14equal_to_valueIiEEEEEEE10hipError_tPvRmT3_T4_T5_T6_T7_T9_mT8_P12ihipStream_tbDpT10_ENKUlT_T0_E_clISt17integral_constantIbLb1EES17_IbLb0EEEEDaS13_S14_EUlS13_E_NS1_11comp_targetILNS1_3genE5ELNS1_11target_archE942ELNS1_3gpuE9ELNS1_3repE0EEENS1_30default_config_static_selectorELNS0_4arch9wavefront6targetE0EEEvT1_.kd
    .uniform_work_group_size: 1
    .uses_dynamic_stack: false
    .vgpr_count:     0
    .vgpr_spill_count: 0
    .wavefront_size: 32
    .workgroup_processor_mode: 1
  - .args:
      - .offset:         0
        .size:           120
        .value_kind:     by_value
    .group_segment_fixed_size: 0
    .kernarg_segment_align: 8
    .kernarg_segment_size: 120
    .language:       OpenCL C
    .language_version:
      - 2
      - 0
    .max_flat_workgroup_size: 512
    .name:           _ZN7rocprim17ROCPRIM_400000_NS6detail17trampoline_kernelINS0_14default_configENS1_25partition_config_selectorILNS1_17partition_subalgoE6EiNS0_10empty_typeEbEEZZNS1_14partition_implILS5_6ELb0ES3_mN6thrust23THRUST_200600_302600_NS6detail15normal_iteratorINSA_10device_ptrIiEEEEPS6_SG_NS0_5tupleIJSF_S6_EEENSH_IJSG_SG_EEES6_PlJNSB_9not_fun_tINSB_14equal_to_valueIiEEEEEEE10hipError_tPvRmT3_T4_T5_T6_T7_T9_mT8_P12ihipStream_tbDpT10_ENKUlT_T0_E_clISt17integral_constantIbLb1EES17_IbLb0EEEEDaS13_S14_EUlS13_E_NS1_11comp_targetILNS1_3genE4ELNS1_11target_archE910ELNS1_3gpuE8ELNS1_3repE0EEENS1_30default_config_static_selectorELNS0_4arch9wavefront6targetE0EEEvT1_
    .private_segment_fixed_size: 0
    .sgpr_count:     0
    .sgpr_spill_count: 0
    .symbol:         _ZN7rocprim17ROCPRIM_400000_NS6detail17trampoline_kernelINS0_14default_configENS1_25partition_config_selectorILNS1_17partition_subalgoE6EiNS0_10empty_typeEbEEZZNS1_14partition_implILS5_6ELb0ES3_mN6thrust23THRUST_200600_302600_NS6detail15normal_iteratorINSA_10device_ptrIiEEEEPS6_SG_NS0_5tupleIJSF_S6_EEENSH_IJSG_SG_EEES6_PlJNSB_9not_fun_tINSB_14equal_to_valueIiEEEEEEE10hipError_tPvRmT3_T4_T5_T6_T7_T9_mT8_P12ihipStream_tbDpT10_ENKUlT_T0_E_clISt17integral_constantIbLb1EES17_IbLb0EEEEDaS13_S14_EUlS13_E_NS1_11comp_targetILNS1_3genE4ELNS1_11target_archE910ELNS1_3gpuE8ELNS1_3repE0EEENS1_30default_config_static_selectorELNS0_4arch9wavefront6targetE0EEEvT1_.kd
    .uniform_work_group_size: 1
    .uses_dynamic_stack: false
    .vgpr_count:     0
    .vgpr_spill_count: 0
    .wavefront_size: 32
    .workgroup_processor_mode: 1
  - .args:
      - .offset:         0
        .size:           120
        .value_kind:     by_value
    .group_segment_fixed_size: 0
    .kernarg_segment_align: 8
    .kernarg_segment_size: 120
    .language:       OpenCL C
    .language_version:
      - 2
      - 0
    .max_flat_workgroup_size: 256
    .name:           _ZN7rocprim17ROCPRIM_400000_NS6detail17trampoline_kernelINS0_14default_configENS1_25partition_config_selectorILNS1_17partition_subalgoE6EiNS0_10empty_typeEbEEZZNS1_14partition_implILS5_6ELb0ES3_mN6thrust23THRUST_200600_302600_NS6detail15normal_iteratorINSA_10device_ptrIiEEEEPS6_SG_NS0_5tupleIJSF_S6_EEENSH_IJSG_SG_EEES6_PlJNSB_9not_fun_tINSB_14equal_to_valueIiEEEEEEE10hipError_tPvRmT3_T4_T5_T6_T7_T9_mT8_P12ihipStream_tbDpT10_ENKUlT_T0_E_clISt17integral_constantIbLb1EES17_IbLb0EEEEDaS13_S14_EUlS13_E_NS1_11comp_targetILNS1_3genE3ELNS1_11target_archE908ELNS1_3gpuE7ELNS1_3repE0EEENS1_30default_config_static_selectorELNS0_4arch9wavefront6targetE0EEEvT1_
    .private_segment_fixed_size: 0
    .sgpr_count:     0
    .sgpr_spill_count: 0
    .symbol:         _ZN7rocprim17ROCPRIM_400000_NS6detail17trampoline_kernelINS0_14default_configENS1_25partition_config_selectorILNS1_17partition_subalgoE6EiNS0_10empty_typeEbEEZZNS1_14partition_implILS5_6ELb0ES3_mN6thrust23THRUST_200600_302600_NS6detail15normal_iteratorINSA_10device_ptrIiEEEEPS6_SG_NS0_5tupleIJSF_S6_EEENSH_IJSG_SG_EEES6_PlJNSB_9not_fun_tINSB_14equal_to_valueIiEEEEEEE10hipError_tPvRmT3_T4_T5_T6_T7_T9_mT8_P12ihipStream_tbDpT10_ENKUlT_T0_E_clISt17integral_constantIbLb1EES17_IbLb0EEEEDaS13_S14_EUlS13_E_NS1_11comp_targetILNS1_3genE3ELNS1_11target_archE908ELNS1_3gpuE7ELNS1_3repE0EEENS1_30default_config_static_selectorELNS0_4arch9wavefront6targetE0EEEvT1_.kd
    .uniform_work_group_size: 1
    .uses_dynamic_stack: false
    .vgpr_count:     0
    .vgpr_spill_count: 0
    .wavefront_size: 32
    .workgroup_processor_mode: 1
  - .args:
      - .offset:         0
        .size:           120
        .value_kind:     by_value
    .group_segment_fixed_size: 0
    .kernarg_segment_align: 8
    .kernarg_segment_size: 120
    .language:       OpenCL C
    .language_version:
      - 2
      - 0
    .max_flat_workgroup_size: 192
    .name:           _ZN7rocprim17ROCPRIM_400000_NS6detail17trampoline_kernelINS0_14default_configENS1_25partition_config_selectorILNS1_17partition_subalgoE6EiNS0_10empty_typeEbEEZZNS1_14partition_implILS5_6ELb0ES3_mN6thrust23THRUST_200600_302600_NS6detail15normal_iteratorINSA_10device_ptrIiEEEEPS6_SG_NS0_5tupleIJSF_S6_EEENSH_IJSG_SG_EEES6_PlJNSB_9not_fun_tINSB_14equal_to_valueIiEEEEEEE10hipError_tPvRmT3_T4_T5_T6_T7_T9_mT8_P12ihipStream_tbDpT10_ENKUlT_T0_E_clISt17integral_constantIbLb1EES17_IbLb0EEEEDaS13_S14_EUlS13_E_NS1_11comp_targetILNS1_3genE2ELNS1_11target_archE906ELNS1_3gpuE6ELNS1_3repE0EEENS1_30default_config_static_selectorELNS0_4arch9wavefront6targetE0EEEvT1_
    .private_segment_fixed_size: 0
    .sgpr_count:     0
    .sgpr_spill_count: 0
    .symbol:         _ZN7rocprim17ROCPRIM_400000_NS6detail17trampoline_kernelINS0_14default_configENS1_25partition_config_selectorILNS1_17partition_subalgoE6EiNS0_10empty_typeEbEEZZNS1_14partition_implILS5_6ELb0ES3_mN6thrust23THRUST_200600_302600_NS6detail15normal_iteratorINSA_10device_ptrIiEEEEPS6_SG_NS0_5tupleIJSF_S6_EEENSH_IJSG_SG_EEES6_PlJNSB_9not_fun_tINSB_14equal_to_valueIiEEEEEEE10hipError_tPvRmT3_T4_T5_T6_T7_T9_mT8_P12ihipStream_tbDpT10_ENKUlT_T0_E_clISt17integral_constantIbLb1EES17_IbLb0EEEEDaS13_S14_EUlS13_E_NS1_11comp_targetILNS1_3genE2ELNS1_11target_archE906ELNS1_3gpuE6ELNS1_3repE0EEENS1_30default_config_static_selectorELNS0_4arch9wavefront6targetE0EEEvT1_.kd
    .uniform_work_group_size: 1
    .uses_dynamic_stack: false
    .vgpr_count:     0
    .vgpr_spill_count: 0
    .wavefront_size: 32
    .workgroup_processor_mode: 1
  - .args:
      - .offset:         0
        .size:           120
        .value_kind:     by_value
    .group_segment_fixed_size: 0
    .kernarg_segment_align: 8
    .kernarg_segment_size: 120
    .language:       OpenCL C
    .language_version:
      - 2
      - 0
    .max_flat_workgroup_size: 384
    .name:           _ZN7rocprim17ROCPRIM_400000_NS6detail17trampoline_kernelINS0_14default_configENS1_25partition_config_selectorILNS1_17partition_subalgoE6EiNS0_10empty_typeEbEEZZNS1_14partition_implILS5_6ELb0ES3_mN6thrust23THRUST_200600_302600_NS6detail15normal_iteratorINSA_10device_ptrIiEEEEPS6_SG_NS0_5tupleIJSF_S6_EEENSH_IJSG_SG_EEES6_PlJNSB_9not_fun_tINSB_14equal_to_valueIiEEEEEEE10hipError_tPvRmT3_T4_T5_T6_T7_T9_mT8_P12ihipStream_tbDpT10_ENKUlT_T0_E_clISt17integral_constantIbLb1EES17_IbLb0EEEEDaS13_S14_EUlS13_E_NS1_11comp_targetILNS1_3genE10ELNS1_11target_archE1200ELNS1_3gpuE4ELNS1_3repE0EEENS1_30default_config_static_selectorELNS0_4arch9wavefront6targetE0EEEvT1_
    .private_segment_fixed_size: 0
    .sgpr_count:     0
    .sgpr_spill_count: 0
    .symbol:         _ZN7rocprim17ROCPRIM_400000_NS6detail17trampoline_kernelINS0_14default_configENS1_25partition_config_selectorILNS1_17partition_subalgoE6EiNS0_10empty_typeEbEEZZNS1_14partition_implILS5_6ELb0ES3_mN6thrust23THRUST_200600_302600_NS6detail15normal_iteratorINSA_10device_ptrIiEEEEPS6_SG_NS0_5tupleIJSF_S6_EEENSH_IJSG_SG_EEES6_PlJNSB_9not_fun_tINSB_14equal_to_valueIiEEEEEEE10hipError_tPvRmT3_T4_T5_T6_T7_T9_mT8_P12ihipStream_tbDpT10_ENKUlT_T0_E_clISt17integral_constantIbLb1EES17_IbLb0EEEEDaS13_S14_EUlS13_E_NS1_11comp_targetILNS1_3genE10ELNS1_11target_archE1200ELNS1_3gpuE4ELNS1_3repE0EEENS1_30default_config_static_selectorELNS0_4arch9wavefront6targetE0EEEvT1_.kd
    .uniform_work_group_size: 1
    .uses_dynamic_stack: false
    .vgpr_count:     0
    .vgpr_spill_count: 0
    .wavefront_size: 32
    .workgroup_processor_mode: 1
  - .args:
      - .offset:         0
        .size:           120
        .value_kind:     by_value
    .group_segment_fixed_size: 0
    .kernarg_segment_align: 8
    .kernarg_segment_size: 120
    .language:       OpenCL C
    .language_version:
      - 2
      - 0
    .max_flat_workgroup_size: 128
    .name:           _ZN7rocprim17ROCPRIM_400000_NS6detail17trampoline_kernelINS0_14default_configENS1_25partition_config_selectorILNS1_17partition_subalgoE6EiNS0_10empty_typeEbEEZZNS1_14partition_implILS5_6ELb0ES3_mN6thrust23THRUST_200600_302600_NS6detail15normal_iteratorINSA_10device_ptrIiEEEEPS6_SG_NS0_5tupleIJSF_S6_EEENSH_IJSG_SG_EEES6_PlJNSB_9not_fun_tINSB_14equal_to_valueIiEEEEEEE10hipError_tPvRmT3_T4_T5_T6_T7_T9_mT8_P12ihipStream_tbDpT10_ENKUlT_T0_E_clISt17integral_constantIbLb1EES17_IbLb0EEEEDaS13_S14_EUlS13_E_NS1_11comp_targetILNS1_3genE9ELNS1_11target_archE1100ELNS1_3gpuE3ELNS1_3repE0EEENS1_30default_config_static_selectorELNS0_4arch9wavefront6targetE0EEEvT1_
    .private_segment_fixed_size: 0
    .sgpr_count:     0
    .sgpr_spill_count: 0
    .symbol:         _ZN7rocprim17ROCPRIM_400000_NS6detail17trampoline_kernelINS0_14default_configENS1_25partition_config_selectorILNS1_17partition_subalgoE6EiNS0_10empty_typeEbEEZZNS1_14partition_implILS5_6ELb0ES3_mN6thrust23THRUST_200600_302600_NS6detail15normal_iteratorINSA_10device_ptrIiEEEEPS6_SG_NS0_5tupleIJSF_S6_EEENSH_IJSG_SG_EEES6_PlJNSB_9not_fun_tINSB_14equal_to_valueIiEEEEEEE10hipError_tPvRmT3_T4_T5_T6_T7_T9_mT8_P12ihipStream_tbDpT10_ENKUlT_T0_E_clISt17integral_constantIbLb1EES17_IbLb0EEEEDaS13_S14_EUlS13_E_NS1_11comp_targetILNS1_3genE9ELNS1_11target_archE1100ELNS1_3gpuE3ELNS1_3repE0EEENS1_30default_config_static_selectorELNS0_4arch9wavefront6targetE0EEEvT1_.kd
    .uniform_work_group_size: 1
    .uses_dynamic_stack: false
    .vgpr_count:     0
    .vgpr_spill_count: 0
    .wavefront_size: 32
    .workgroup_processor_mode: 1
  - .args:
      - .offset:         0
        .size:           120
        .value_kind:     by_value
    .group_segment_fixed_size: 0
    .kernarg_segment_align: 8
    .kernarg_segment_size: 120
    .language:       OpenCL C
    .language_version:
      - 2
      - 0
    .max_flat_workgroup_size: 512
    .name:           _ZN7rocprim17ROCPRIM_400000_NS6detail17trampoline_kernelINS0_14default_configENS1_25partition_config_selectorILNS1_17partition_subalgoE6EiNS0_10empty_typeEbEEZZNS1_14partition_implILS5_6ELb0ES3_mN6thrust23THRUST_200600_302600_NS6detail15normal_iteratorINSA_10device_ptrIiEEEEPS6_SG_NS0_5tupleIJSF_S6_EEENSH_IJSG_SG_EEES6_PlJNSB_9not_fun_tINSB_14equal_to_valueIiEEEEEEE10hipError_tPvRmT3_T4_T5_T6_T7_T9_mT8_P12ihipStream_tbDpT10_ENKUlT_T0_E_clISt17integral_constantIbLb1EES17_IbLb0EEEEDaS13_S14_EUlS13_E_NS1_11comp_targetILNS1_3genE8ELNS1_11target_archE1030ELNS1_3gpuE2ELNS1_3repE0EEENS1_30default_config_static_selectorELNS0_4arch9wavefront6targetE0EEEvT1_
    .private_segment_fixed_size: 0
    .sgpr_count:     0
    .sgpr_spill_count: 0
    .symbol:         _ZN7rocprim17ROCPRIM_400000_NS6detail17trampoline_kernelINS0_14default_configENS1_25partition_config_selectorILNS1_17partition_subalgoE6EiNS0_10empty_typeEbEEZZNS1_14partition_implILS5_6ELb0ES3_mN6thrust23THRUST_200600_302600_NS6detail15normal_iteratorINSA_10device_ptrIiEEEEPS6_SG_NS0_5tupleIJSF_S6_EEENSH_IJSG_SG_EEES6_PlJNSB_9not_fun_tINSB_14equal_to_valueIiEEEEEEE10hipError_tPvRmT3_T4_T5_T6_T7_T9_mT8_P12ihipStream_tbDpT10_ENKUlT_T0_E_clISt17integral_constantIbLb1EES17_IbLb0EEEEDaS13_S14_EUlS13_E_NS1_11comp_targetILNS1_3genE8ELNS1_11target_archE1030ELNS1_3gpuE2ELNS1_3repE0EEENS1_30default_config_static_selectorELNS0_4arch9wavefront6targetE0EEEvT1_.kd
    .uniform_work_group_size: 1
    .uses_dynamic_stack: false
    .vgpr_count:     0
    .vgpr_spill_count: 0
    .wavefront_size: 32
    .workgroup_processor_mode: 1
  - .args:
      - .offset:         0
        .size:           128
        .value_kind:     by_value
    .group_segment_fixed_size: 0
    .kernarg_segment_align: 8
    .kernarg_segment_size: 128
    .language:       OpenCL C
    .language_version:
      - 2
      - 0
    .max_flat_workgroup_size: 256
    .name:           _ZN7rocprim17ROCPRIM_400000_NS6detail17trampoline_kernelINS0_14default_configENS1_25partition_config_selectorILNS1_17partition_subalgoE6EiNS0_10empty_typeEbEEZZNS1_14partition_implILS5_6ELb0ES3_mN6thrust23THRUST_200600_302600_NS6detail15normal_iteratorINSA_10device_ptrIiEEEEPS6_SG_NS0_5tupleIJSF_S6_EEENSH_IJSG_SG_EEES6_PlJNSB_9not_fun_tINSB_14equal_to_valueIiEEEEEEE10hipError_tPvRmT3_T4_T5_T6_T7_T9_mT8_P12ihipStream_tbDpT10_ENKUlT_T0_E_clISt17integral_constantIbLb0EES17_IbLb1EEEEDaS13_S14_EUlS13_E_NS1_11comp_targetILNS1_3genE0ELNS1_11target_archE4294967295ELNS1_3gpuE0ELNS1_3repE0EEENS1_30default_config_static_selectorELNS0_4arch9wavefront6targetE0EEEvT1_
    .private_segment_fixed_size: 0
    .sgpr_count:     0
    .sgpr_spill_count: 0
    .symbol:         _ZN7rocprim17ROCPRIM_400000_NS6detail17trampoline_kernelINS0_14default_configENS1_25partition_config_selectorILNS1_17partition_subalgoE6EiNS0_10empty_typeEbEEZZNS1_14partition_implILS5_6ELb0ES3_mN6thrust23THRUST_200600_302600_NS6detail15normal_iteratorINSA_10device_ptrIiEEEEPS6_SG_NS0_5tupleIJSF_S6_EEENSH_IJSG_SG_EEES6_PlJNSB_9not_fun_tINSB_14equal_to_valueIiEEEEEEE10hipError_tPvRmT3_T4_T5_T6_T7_T9_mT8_P12ihipStream_tbDpT10_ENKUlT_T0_E_clISt17integral_constantIbLb0EES17_IbLb1EEEEDaS13_S14_EUlS13_E_NS1_11comp_targetILNS1_3genE0ELNS1_11target_archE4294967295ELNS1_3gpuE0ELNS1_3repE0EEENS1_30default_config_static_selectorELNS0_4arch9wavefront6targetE0EEEvT1_.kd
    .uniform_work_group_size: 1
    .uses_dynamic_stack: false
    .vgpr_count:     0
    .vgpr_spill_count: 0
    .wavefront_size: 32
    .workgroup_processor_mode: 1
  - .args:
      - .offset:         0
        .size:           128
        .value_kind:     by_value
    .group_segment_fixed_size: 0
    .kernarg_segment_align: 8
    .kernarg_segment_size: 128
    .language:       OpenCL C
    .language_version:
      - 2
      - 0
    .max_flat_workgroup_size: 512
    .name:           _ZN7rocprim17ROCPRIM_400000_NS6detail17trampoline_kernelINS0_14default_configENS1_25partition_config_selectorILNS1_17partition_subalgoE6EiNS0_10empty_typeEbEEZZNS1_14partition_implILS5_6ELb0ES3_mN6thrust23THRUST_200600_302600_NS6detail15normal_iteratorINSA_10device_ptrIiEEEEPS6_SG_NS0_5tupleIJSF_S6_EEENSH_IJSG_SG_EEES6_PlJNSB_9not_fun_tINSB_14equal_to_valueIiEEEEEEE10hipError_tPvRmT3_T4_T5_T6_T7_T9_mT8_P12ihipStream_tbDpT10_ENKUlT_T0_E_clISt17integral_constantIbLb0EES17_IbLb1EEEEDaS13_S14_EUlS13_E_NS1_11comp_targetILNS1_3genE5ELNS1_11target_archE942ELNS1_3gpuE9ELNS1_3repE0EEENS1_30default_config_static_selectorELNS0_4arch9wavefront6targetE0EEEvT1_
    .private_segment_fixed_size: 0
    .sgpr_count:     0
    .sgpr_spill_count: 0
    .symbol:         _ZN7rocprim17ROCPRIM_400000_NS6detail17trampoline_kernelINS0_14default_configENS1_25partition_config_selectorILNS1_17partition_subalgoE6EiNS0_10empty_typeEbEEZZNS1_14partition_implILS5_6ELb0ES3_mN6thrust23THRUST_200600_302600_NS6detail15normal_iteratorINSA_10device_ptrIiEEEEPS6_SG_NS0_5tupleIJSF_S6_EEENSH_IJSG_SG_EEES6_PlJNSB_9not_fun_tINSB_14equal_to_valueIiEEEEEEE10hipError_tPvRmT3_T4_T5_T6_T7_T9_mT8_P12ihipStream_tbDpT10_ENKUlT_T0_E_clISt17integral_constantIbLb0EES17_IbLb1EEEEDaS13_S14_EUlS13_E_NS1_11comp_targetILNS1_3genE5ELNS1_11target_archE942ELNS1_3gpuE9ELNS1_3repE0EEENS1_30default_config_static_selectorELNS0_4arch9wavefront6targetE0EEEvT1_.kd
    .uniform_work_group_size: 1
    .uses_dynamic_stack: false
    .vgpr_count:     0
    .vgpr_spill_count: 0
    .wavefront_size: 32
    .workgroup_processor_mode: 1
  - .args:
      - .offset:         0
        .size:           128
        .value_kind:     by_value
    .group_segment_fixed_size: 0
    .kernarg_segment_align: 8
    .kernarg_segment_size: 128
    .language:       OpenCL C
    .language_version:
      - 2
      - 0
    .max_flat_workgroup_size: 512
    .name:           _ZN7rocprim17ROCPRIM_400000_NS6detail17trampoline_kernelINS0_14default_configENS1_25partition_config_selectorILNS1_17partition_subalgoE6EiNS0_10empty_typeEbEEZZNS1_14partition_implILS5_6ELb0ES3_mN6thrust23THRUST_200600_302600_NS6detail15normal_iteratorINSA_10device_ptrIiEEEEPS6_SG_NS0_5tupleIJSF_S6_EEENSH_IJSG_SG_EEES6_PlJNSB_9not_fun_tINSB_14equal_to_valueIiEEEEEEE10hipError_tPvRmT3_T4_T5_T6_T7_T9_mT8_P12ihipStream_tbDpT10_ENKUlT_T0_E_clISt17integral_constantIbLb0EES17_IbLb1EEEEDaS13_S14_EUlS13_E_NS1_11comp_targetILNS1_3genE4ELNS1_11target_archE910ELNS1_3gpuE8ELNS1_3repE0EEENS1_30default_config_static_selectorELNS0_4arch9wavefront6targetE0EEEvT1_
    .private_segment_fixed_size: 0
    .sgpr_count:     0
    .sgpr_spill_count: 0
    .symbol:         _ZN7rocprim17ROCPRIM_400000_NS6detail17trampoline_kernelINS0_14default_configENS1_25partition_config_selectorILNS1_17partition_subalgoE6EiNS0_10empty_typeEbEEZZNS1_14partition_implILS5_6ELb0ES3_mN6thrust23THRUST_200600_302600_NS6detail15normal_iteratorINSA_10device_ptrIiEEEEPS6_SG_NS0_5tupleIJSF_S6_EEENSH_IJSG_SG_EEES6_PlJNSB_9not_fun_tINSB_14equal_to_valueIiEEEEEEE10hipError_tPvRmT3_T4_T5_T6_T7_T9_mT8_P12ihipStream_tbDpT10_ENKUlT_T0_E_clISt17integral_constantIbLb0EES17_IbLb1EEEEDaS13_S14_EUlS13_E_NS1_11comp_targetILNS1_3genE4ELNS1_11target_archE910ELNS1_3gpuE8ELNS1_3repE0EEENS1_30default_config_static_selectorELNS0_4arch9wavefront6targetE0EEEvT1_.kd
    .uniform_work_group_size: 1
    .uses_dynamic_stack: false
    .vgpr_count:     0
    .vgpr_spill_count: 0
    .wavefront_size: 32
    .workgroup_processor_mode: 1
  - .args:
      - .offset:         0
        .size:           128
        .value_kind:     by_value
    .group_segment_fixed_size: 0
    .kernarg_segment_align: 8
    .kernarg_segment_size: 128
    .language:       OpenCL C
    .language_version:
      - 2
      - 0
    .max_flat_workgroup_size: 256
    .name:           _ZN7rocprim17ROCPRIM_400000_NS6detail17trampoline_kernelINS0_14default_configENS1_25partition_config_selectorILNS1_17partition_subalgoE6EiNS0_10empty_typeEbEEZZNS1_14partition_implILS5_6ELb0ES3_mN6thrust23THRUST_200600_302600_NS6detail15normal_iteratorINSA_10device_ptrIiEEEEPS6_SG_NS0_5tupleIJSF_S6_EEENSH_IJSG_SG_EEES6_PlJNSB_9not_fun_tINSB_14equal_to_valueIiEEEEEEE10hipError_tPvRmT3_T4_T5_T6_T7_T9_mT8_P12ihipStream_tbDpT10_ENKUlT_T0_E_clISt17integral_constantIbLb0EES17_IbLb1EEEEDaS13_S14_EUlS13_E_NS1_11comp_targetILNS1_3genE3ELNS1_11target_archE908ELNS1_3gpuE7ELNS1_3repE0EEENS1_30default_config_static_selectorELNS0_4arch9wavefront6targetE0EEEvT1_
    .private_segment_fixed_size: 0
    .sgpr_count:     0
    .sgpr_spill_count: 0
    .symbol:         _ZN7rocprim17ROCPRIM_400000_NS6detail17trampoline_kernelINS0_14default_configENS1_25partition_config_selectorILNS1_17partition_subalgoE6EiNS0_10empty_typeEbEEZZNS1_14partition_implILS5_6ELb0ES3_mN6thrust23THRUST_200600_302600_NS6detail15normal_iteratorINSA_10device_ptrIiEEEEPS6_SG_NS0_5tupleIJSF_S6_EEENSH_IJSG_SG_EEES6_PlJNSB_9not_fun_tINSB_14equal_to_valueIiEEEEEEE10hipError_tPvRmT3_T4_T5_T6_T7_T9_mT8_P12ihipStream_tbDpT10_ENKUlT_T0_E_clISt17integral_constantIbLb0EES17_IbLb1EEEEDaS13_S14_EUlS13_E_NS1_11comp_targetILNS1_3genE3ELNS1_11target_archE908ELNS1_3gpuE7ELNS1_3repE0EEENS1_30default_config_static_selectorELNS0_4arch9wavefront6targetE0EEEvT1_.kd
    .uniform_work_group_size: 1
    .uses_dynamic_stack: false
    .vgpr_count:     0
    .vgpr_spill_count: 0
    .wavefront_size: 32
    .workgroup_processor_mode: 1
  - .args:
      - .offset:         0
        .size:           128
        .value_kind:     by_value
    .group_segment_fixed_size: 0
    .kernarg_segment_align: 8
    .kernarg_segment_size: 128
    .language:       OpenCL C
    .language_version:
      - 2
      - 0
    .max_flat_workgroup_size: 192
    .name:           _ZN7rocprim17ROCPRIM_400000_NS6detail17trampoline_kernelINS0_14default_configENS1_25partition_config_selectorILNS1_17partition_subalgoE6EiNS0_10empty_typeEbEEZZNS1_14partition_implILS5_6ELb0ES3_mN6thrust23THRUST_200600_302600_NS6detail15normal_iteratorINSA_10device_ptrIiEEEEPS6_SG_NS0_5tupleIJSF_S6_EEENSH_IJSG_SG_EEES6_PlJNSB_9not_fun_tINSB_14equal_to_valueIiEEEEEEE10hipError_tPvRmT3_T4_T5_T6_T7_T9_mT8_P12ihipStream_tbDpT10_ENKUlT_T0_E_clISt17integral_constantIbLb0EES17_IbLb1EEEEDaS13_S14_EUlS13_E_NS1_11comp_targetILNS1_3genE2ELNS1_11target_archE906ELNS1_3gpuE6ELNS1_3repE0EEENS1_30default_config_static_selectorELNS0_4arch9wavefront6targetE0EEEvT1_
    .private_segment_fixed_size: 0
    .sgpr_count:     0
    .sgpr_spill_count: 0
    .symbol:         _ZN7rocprim17ROCPRIM_400000_NS6detail17trampoline_kernelINS0_14default_configENS1_25partition_config_selectorILNS1_17partition_subalgoE6EiNS0_10empty_typeEbEEZZNS1_14partition_implILS5_6ELb0ES3_mN6thrust23THRUST_200600_302600_NS6detail15normal_iteratorINSA_10device_ptrIiEEEEPS6_SG_NS0_5tupleIJSF_S6_EEENSH_IJSG_SG_EEES6_PlJNSB_9not_fun_tINSB_14equal_to_valueIiEEEEEEE10hipError_tPvRmT3_T4_T5_T6_T7_T9_mT8_P12ihipStream_tbDpT10_ENKUlT_T0_E_clISt17integral_constantIbLb0EES17_IbLb1EEEEDaS13_S14_EUlS13_E_NS1_11comp_targetILNS1_3genE2ELNS1_11target_archE906ELNS1_3gpuE6ELNS1_3repE0EEENS1_30default_config_static_selectorELNS0_4arch9wavefront6targetE0EEEvT1_.kd
    .uniform_work_group_size: 1
    .uses_dynamic_stack: false
    .vgpr_count:     0
    .vgpr_spill_count: 0
    .wavefront_size: 32
    .workgroup_processor_mode: 1
  - .args:
      - .offset:         0
        .size:           128
        .value_kind:     by_value
    .group_segment_fixed_size: 10768
    .kernarg_segment_align: 8
    .kernarg_segment_size: 128
    .language:       OpenCL C
    .language_version:
      - 2
      - 0
    .max_flat_workgroup_size: 384
    .name:           _ZN7rocprim17ROCPRIM_400000_NS6detail17trampoline_kernelINS0_14default_configENS1_25partition_config_selectorILNS1_17partition_subalgoE6EiNS0_10empty_typeEbEEZZNS1_14partition_implILS5_6ELb0ES3_mN6thrust23THRUST_200600_302600_NS6detail15normal_iteratorINSA_10device_ptrIiEEEEPS6_SG_NS0_5tupleIJSF_S6_EEENSH_IJSG_SG_EEES6_PlJNSB_9not_fun_tINSB_14equal_to_valueIiEEEEEEE10hipError_tPvRmT3_T4_T5_T6_T7_T9_mT8_P12ihipStream_tbDpT10_ENKUlT_T0_E_clISt17integral_constantIbLb0EES17_IbLb1EEEEDaS13_S14_EUlS13_E_NS1_11comp_targetILNS1_3genE10ELNS1_11target_archE1200ELNS1_3gpuE4ELNS1_3repE0EEENS1_30default_config_static_selectorELNS0_4arch9wavefront6targetE0EEEvT1_
    .private_segment_fixed_size: 0
    .sgpr_count:     23
    .sgpr_spill_count: 0
    .symbol:         _ZN7rocprim17ROCPRIM_400000_NS6detail17trampoline_kernelINS0_14default_configENS1_25partition_config_selectorILNS1_17partition_subalgoE6EiNS0_10empty_typeEbEEZZNS1_14partition_implILS5_6ELb0ES3_mN6thrust23THRUST_200600_302600_NS6detail15normal_iteratorINSA_10device_ptrIiEEEEPS6_SG_NS0_5tupleIJSF_S6_EEENSH_IJSG_SG_EEES6_PlJNSB_9not_fun_tINSB_14equal_to_valueIiEEEEEEE10hipError_tPvRmT3_T4_T5_T6_T7_T9_mT8_P12ihipStream_tbDpT10_ENKUlT_T0_E_clISt17integral_constantIbLb0EES17_IbLb1EEEEDaS13_S14_EUlS13_E_NS1_11comp_targetILNS1_3genE10ELNS1_11target_archE1200ELNS1_3gpuE4ELNS1_3repE0EEENS1_30default_config_static_selectorELNS0_4arch9wavefront6targetE0EEEvT1_.kd
    .uniform_work_group_size: 1
    .uses_dynamic_stack: false
    .vgpr_count:     51
    .vgpr_spill_count: 0
    .wavefront_size: 32
    .workgroup_processor_mode: 1
  - .args:
      - .offset:         0
        .size:           128
        .value_kind:     by_value
    .group_segment_fixed_size: 0
    .kernarg_segment_align: 8
    .kernarg_segment_size: 128
    .language:       OpenCL C
    .language_version:
      - 2
      - 0
    .max_flat_workgroup_size: 128
    .name:           _ZN7rocprim17ROCPRIM_400000_NS6detail17trampoline_kernelINS0_14default_configENS1_25partition_config_selectorILNS1_17partition_subalgoE6EiNS0_10empty_typeEbEEZZNS1_14partition_implILS5_6ELb0ES3_mN6thrust23THRUST_200600_302600_NS6detail15normal_iteratorINSA_10device_ptrIiEEEEPS6_SG_NS0_5tupleIJSF_S6_EEENSH_IJSG_SG_EEES6_PlJNSB_9not_fun_tINSB_14equal_to_valueIiEEEEEEE10hipError_tPvRmT3_T4_T5_T6_T7_T9_mT8_P12ihipStream_tbDpT10_ENKUlT_T0_E_clISt17integral_constantIbLb0EES17_IbLb1EEEEDaS13_S14_EUlS13_E_NS1_11comp_targetILNS1_3genE9ELNS1_11target_archE1100ELNS1_3gpuE3ELNS1_3repE0EEENS1_30default_config_static_selectorELNS0_4arch9wavefront6targetE0EEEvT1_
    .private_segment_fixed_size: 0
    .sgpr_count:     0
    .sgpr_spill_count: 0
    .symbol:         _ZN7rocprim17ROCPRIM_400000_NS6detail17trampoline_kernelINS0_14default_configENS1_25partition_config_selectorILNS1_17partition_subalgoE6EiNS0_10empty_typeEbEEZZNS1_14partition_implILS5_6ELb0ES3_mN6thrust23THRUST_200600_302600_NS6detail15normal_iteratorINSA_10device_ptrIiEEEEPS6_SG_NS0_5tupleIJSF_S6_EEENSH_IJSG_SG_EEES6_PlJNSB_9not_fun_tINSB_14equal_to_valueIiEEEEEEE10hipError_tPvRmT3_T4_T5_T6_T7_T9_mT8_P12ihipStream_tbDpT10_ENKUlT_T0_E_clISt17integral_constantIbLb0EES17_IbLb1EEEEDaS13_S14_EUlS13_E_NS1_11comp_targetILNS1_3genE9ELNS1_11target_archE1100ELNS1_3gpuE3ELNS1_3repE0EEENS1_30default_config_static_selectorELNS0_4arch9wavefront6targetE0EEEvT1_.kd
    .uniform_work_group_size: 1
    .uses_dynamic_stack: false
    .vgpr_count:     0
    .vgpr_spill_count: 0
    .wavefront_size: 32
    .workgroup_processor_mode: 1
  - .args:
      - .offset:         0
        .size:           128
        .value_kind:     by_value
    .group_segment_fixed_size: 0
    .kernarg_segment_align: 8
    .kernarg_segment_size: 128
    .language:       OpenCL C
    .language_version:
      - 2
      - 0
    .max_flat_workgroup_size: 512
    .name:           _ZN7rocprim17ROCPRIM_400000_NS6detail17trampoline_kernelINS0_14default_configENS1_25partition_config_selectorILNS1_17partition_subalgoE6EiNS0_10empty_typeEbEEZZNS1_14partition_implILS5_6ELb0ES3_mN6thrust23THRUST_200600_302600_NS6detail15normal_iteratorINSA_10device_ptrIiEEEEPS6_SG_NS0_5tupleIJSF_S6_EEENSH_IJSG_SG_EEES6_PlJNSB_9not_fun_tINSB_14equal_to_valueIiEEEEEEE10hipError_tPvRmT3_T4_T5_T6_T7_T9_mT8_P12ihipStream_tbDpT10_ENKUlT_T0_E_clISt17integral_constantIbLb0EES17_IbLb1EEEEDaS13_S14_EUlS13_E_NS1_11comp_targetILNS1_3genE8ELNS1_11target_archE1030ELNS1_3gpuE2ELNS1_3repE0EEENS1_30default_config_static_selectorELNS0_4arch9wavefront6targetE0EEEvT1_
    .private_segment_fixed_size: 0
    .sgpr_count:     0
    .sgpr_spill_count: 0
    .symbol:         _ZN7rocprim17ROCPRIM_400000_NS6detail17trampoline_kernelINS0_14default_configENS1_25partition_config_selectorILNS1_17partition_subalgoE6EiNS0_10empty_typeEbEEZZNS1_14partition_implILS5_6ELb0ES3_mN6thrust23THRUST_200600_302600_NS6detail15normal_iteratorINSA_10device_ptrIiEEEEPS6_SG_NS0_5tupleIJSF_S6_EEENSH_IJSG_SG_EEES6_PlJNSB_9not_fun_tINSB_14equal_to_valueIiEEEEEEE10hipError_tPvRmT3_T4_T5_T6_T7_T9_mT8_P12ihipStream_tbDpT10_ENKUlT_T0_E_clISt17integral_constantIbLb0EES17_IbLb1EEEEDaS13_S14_EUlS13_E_NS1_11comp_targetILNS1_3genE8ELNS1_11target_archE1030ELNS1_3gpuE2ELNS1_3repE0EEENS1_30default_config_static_selectorELNS0_4arch9wavefront6targetE0EEEvT1_.kd
    .uniform_work_group_size: 1
    .uses_dynamic_stack: false
    .vgpr_count:     0
    .vgpr_spill_count: 0
    .wavefront_size: 32
    .workgroup_processor_mode: 1
  - .args:
      - .offset:         0
        .size:           112
        .value_kind:     by_value
    .group_segment_fixed_size: 0
    .kernarg_segment_align: 8
    .kernarg_segment_size: 112
    .language:       OpenCL C
    .language_version:
      - 2
      - 0
    .max_flat_workgroup_size: 256
    .name:           _ZN7rocprim17ROCPRIM_400000_NS6detail17trampoline_kernelINS0_14default_configENS1_25partition_config_selectorILNS1_17partition_subalgoE6EsNS0_10empty_typeEbEEZZNS1_14partition_implILS5_6ELb0ES3_mN6thrust23THRUST_200600_302600_NS6detail15normal_iteratorINSA_10device_ptrIsEEEEPS6_SG_NS0_5tupleIJSF_S6_EEENSH_IJSG_SG_EEES6_PlJNSB_9not_fun_tINSB_14equal_to_valueIsEEEEEEE10hipError_tPvRmT3_T4_T5_T6_T7_T9_mT8_P12ihipStream_tbDpT10_ENKUlT_T0_E_clISt17integral_constantIbLb0EES18_EEDaS13_S14_EUlS13_E_NS1_11comp_targetILNS1_3genE0ELNS1_11target_archE4294967295ELNS1_3gpuE0ELNS1_3repE0EEENS1_30default_config_static_selectorELNS0_4arch9wavefront6targetE0EEEvT1_
    .private_segment_fixed_size: 0
    .sgpr_count:     0
    .sgpr_spill_count: 0
    .symbol:         _ZN7rocprim17ROCPRIM_400000_NS6detail17trampoline_kernelINS0_14default_configENS1_25partition_config_selectorILNS1_17partition_subalgoE6EsNS0_10empty_typeEbEEZZNS1_14partition_implILS5_6ELb0ES3_mN6thrust23THRUST_200600_302600_NS6detail15normal_iteratorINSA_10device_ptrIsEEEEPS6_SG_NS0_5tupleIJSF_S6_EEENSH_IJSG_SG_EEES6_PlJNSB_9not_fun_tINSB_14equal_to_valueIsEEEEEEE10hipError_tPvRmT3_T4_T5_T6_T7_T9_mT8_P12ihipStream_tbDpT10_ENKUlT_T0_E_clISt17integral_constantIbLb0EES18_EEDaS13_S14_EUlS13_E_NS1_11comp_targetILNS1_3genE0ELNS1_11target_archE4294967295ELNS1_3gpuE0ELNS1_3repE0EEENS1_30default_config_static_selectorELNS0_4arch9wavefront6targetE0EEEvT1_.kd
    .uniform_work_group_size: 1
    .uses_dynamic_stack: false
    .vgpr_count:     0
    .vgpr_spill_count: 0
    .wavefront_size: 32
    .workgroup_processor_mode: 1
  - .args:
      - .offset:         0
        .size:           112
        .value_kind:     by_value
    .group_segment_fixed_size: 0
    .kernarg_segment_align: 8
    .kernarg_segment_size: 112
    .language:       OpenCL C
    .language_version:
      - 2
      - 0
    .max_flat_workgroup_size: 512
    .name:           _ZN7rocprim17ROCPRIM_400000_NS6detail17trampoline_kernelINS0_14default_configENS1_25partition_config_selectorILNS1_17partition_subalgoE6EsNS0_10empty_typeEbEEZZNS1_14partition_implILS5_6ELb0ES3_mN6thrust23THRUST_200600_302600_NS6detail15normal_iteratorINSA_10device_ptrIsEEEEPS6_SG_NS0_5tupleIJSF_S6_EEENSH_IJSG_SG_EEES6_PlJNSB_9not_fun_tINSB_14equal_to_valueIsEEEEEEE10hipError_tPvRmT3_T4_T5_T6_T7_T9_mT8_P12ihipStream_tbDpT10_ENKUlT_T0_E_clISt17integral_constantIbLb0EES18_EEDaS13_S14_EUlS13_E_NS1_11comp_targetILNS1_3genE5ELNS1_11target_archE942ELNS1_3gpuE9ELNS1_3repE0EEENS1_30default_config_static_selectorELNS0_4arch9wavefront6targetE0EEEvT1_
    .private_segment_fixed_size: 0
    .sgpr_count:     0
    .sgpr_spill_count: 0
    .symbol:         _ZN7rocprim17ROCPRIM_400000_NS6detail17trampoline_kernelINS0_14default_configENS1_25partition_config_selectorILNS1_17partition_subalgoE6EsNS0_10empty_typeEbEEZZNS1_14partition_implILS5_6ELb0ES3_mN6thrust23THRUST_200600_302600_NS6detail15normal_iteratorINSA_10device_ptrIsEEEEPS6_SG_NS0_5tupleIJSF_S6_EEENSH_IJSG_SG_EEES6_PlJNSB_9not_fun_tINSB_14equal_to_valueIsEEEEEEE10hipError_tPvRmT3_T4_T5_T6_T7_T9_mT8_P12ihipStream_tbDpT10_ENKUlT_T0_E_clISt17integral_constantIbLb0EES18_EEDaS13_S14_EUlS13_E_NS1_11comp_targetILNS1_3genE5ELNS1_11target_archE942ELNS1_3gpuE9ELNS1_3repE0EEENS1_30default_config_static_selectorELNS0_4arch9wavefront6targetE0EEEvT1_.kd
    .uniform_work_group_size: 1
    .uses_dynamic_stack: false
    .vgpr_count:     0
    .vgpr_spill_count: 0
    .wavefront_size: 32
    .workgroup_processor_mode: 1
  - .args:
      - .offset:         0
        .size:           112
        .value_kind:     by_value
    .group_segment_fixed_size: 0
    .kernarg_segment_align: 8
    .kernarg_segment_size: 112
    .language:       OpenCL C
    .language_version:
      - 2
      - 0
    .max_flat_workgroup_size: 256
    .name:           _ZN7rocprim17ROCPRIM_400000_NS6detail17trampoline_kernelINS0_14default_configENS1_25partition_config_selectorILNS1_17partition_subalgoE6EsNS0_10empty_typeEbEEZZNS1_14partition_implILS5_6ELb0ES3_mN6thrust23THRUST_200600_302600_NS6detail15normal_iteratorINSA_10device_ptrIsEEEEPS6_SG_NS0_5tupleIJSF_S6_EEENSH_IJSG_SG_EEES6_PlJNSB_9not_fun_tINSB_14equal_to_valueIsEEEEEEE10hipError_tPvRmT3_T4_T5_T6_T7_T9_mT8_P12ihipStream_tbDpT10_ENKUlT_T0_E_clISt17integral_constantIbLb0EES18_EEDaS13_S14_EUlS13_E_NS1_11comp_targetILNS1_3genE4ELNS1_11target_archE910ELNS1_3gpuE8ELNS1_3repE0EEENS1_30default_config_static_selectorELNS0_4arch9wavefront6targetE0EEEvT1_
    .private_segment_fixed_size: 0
    .sgpr_count:     0
    .sgpr_spill_count: 0
    .symbol:         _ZN7rocprim17ROCPRIM_400000_NS6detail17trampoline_kernelINS0_14default_configENS1_25partition_config_selectorILNS1_17partition_subalgoE6EsNS0_10empty_typeEbEEZZNS1_14partition_implILS5_6ELb0ES3_mN6thrust23THRUST_200600_302600_NS6detail15normal_iteratorINSA_10device_ptrIsEEEEPS6_SG_NS0_5tupleIJSF_S6_EEENSH_IJSG_SG_EEES6_PlJNSB_9not_fun_tINSB_14equal_to_valueIsEEEEEEE10hipError_tPvRmT3_T4_T5_T6_T7_T9_mT8_P12ihipStream_tbDpT10_ENKUlT_T0_E_clISt17integral_constantIbLb0EES18_EEDaS13_S14_EUlS13_E_NS1_11comp_targetILNS1_3genE4ELNS1_11target_archE910ELNS1_3gpuE8ELNS1_3repE0EEENS1_30default_config_static_selectorELNS0_4arch9wavefront6targetE0EEEvT1_.kd
    .uniform_work_group_size: 1
    .uses_dynamic_stack: false
    .vgpr_count:     0
    .vgpr_spill_count: 0
    .wavefront_size: 32
    .workgroup_processor_mode: 1
  - .args:
      - .offset:         0
        .size:           112
        .value_kind:     by_value
    .group_segment_fixed_size: 0
    .kernarg_segment_align: 8
    .kernarg_segment_size: 112
    .language:       OpenCL C
    .language_version:
      - 2
      - 0
    .max_flat_workgroup_size: 256
    .name:           _ZN7rocprim17ROCPRIM_400000_NS6detail17trampoline_kernelINS0_14default_configENS1_25partition_config_selectorILNS1_17partition_subalgoE6EsNS0_10empty_typeEbEEZZNS1_14partition_implILS5_6ELb0ES3_mN6thrust23THRUST_200600_302600_NS6detail15normal_iteratorINSA_10device_ptrIsEEEEPS6_SG_NS0_5tupleIJSF_S6_EEENSH_IJSG_SG_EEES6_PlJNSB_9not_fun_tINSB_14equal_to_valueIsEEEEEEE10hipError_tPvRmT3_T4_T5_T6_T7_T9_mT8_P12ihipStream_tbDpT10_ENKUlT_T0_E_clISt17integral_constantIbLb0EES18_EEDaS13_S14_EUlS13_E_NS1_11comp_targetILNS1_3genE3ELNS1_11target_archE908ELNS1_3gpuE7ELNS1_3repE0EEENS1_30default_config_static_selectorELNS0_4arch9wavefront6targetE0EEEvT1_
    .private_segment_fixed_size: 0
    .sgpr_count:     0
    .sgpr_spill_count: 0
    .symbol:         _ZN7rocprim17ROCPRIM_400000_NS6detail17trampoline_kernelINS0_14default_configENS1_25partition_config_selectorILNS1_17partition_subalgoE6EsNS0_10empty_typeEbEEZZNS1_14partition_implILS5_6ELb0ES3_mN6thrust23THRUST_200600_302600_NS6detail15normal_iteratorINSA_10device_ptrIsEEEEPS6_SG_NS0_5tupleIJSF_S6_EEENSH_IJSG_SG_EEES6_PlJNSB_9not_fun_tINSB_14equal_to_valueIsEEEEEEE10hipError_tPvRmT3_T4_T5_T6_T7_T9_mT8_P12ihipStream_tbDpT10_ENKUlT_T0_E_clISt17integral_constantIbLb0EES18_EEDaS13_S14_EUlS13_E_NS1_11comp_targetILNS1_3genE3ELNS1_11target_archE908ELNS1_3gpuE7ELNS1_3repE0EEENS1_30default_config_static_selectorELNS0_4arch9wavefront6targetE0EEEvT1_.kd
    .uniform_work_group_size: 1
    .uses_dynamic_stack: false
    .vgpr_count:     0
    .vgpr_spill_count: 0
    .wavefront_size: 32
    .workgroup_processor_mode: 1
  - .args:
      - .offset:         0
        .size:           112
        .value_kind:     by_value
    .group_segment_fixed_size: 0
    .kernarg_segment_align: 8
    .kernarg_segment_size: 112
    .language:       OpenCL C
    .language_version:
      - 2
      - 0
    .max_flat_workgroup_size: 256
    .name:           _ZN7rocprim17ROCPRIM_400000_NS6detail17trampoline_kernelINS0_14default_configENS1_25partition_config_selectorILNS1_17partition_subalgoE6EsNS0_10empty_typeEbEEZZNS1_14partition_implILS5_6ELb0ES3_mN6thrust23THRUST_200600_302600_NS6detail15normal_iteratorINSA_10device_ptrIsEEEEPS6_SG_NS0_5tupleIJSF_S6_EEENSH_IJSG_SG_EEES6_PlJNSB_9not_fun_tINSB_14equal_to_valueIsEEEEEEE10hipError_tPvRmT3_T4_T5_T6_T7_T9_mT8_P12ihipStream_tbDpT10_ENKUlT_T0_E_clISt17integral_constantIbLb0EES18_EEDaS13_S14_EUlS13_E_NS1_11comp_targetILNS1_3genE2ELNS1_11target_archE906ELNS1_3gpuE6ELNS1_3repE0EEENS1_30default_config_static_selectorELNS0_4arch9wavefront6targetE0EEEvT1_
    .private_segment_fixed_size: 0
    .sgpr_count:     0
    .sgpr_spill_count: 0
    .symbol:         _ZN7rocprim17ROCPRIM_400000_NS6detail17trampoline_kernelINS0_14default_configENS1_25partition_config_selectorILNS1_17partition_subalgoE6EsNS0_10empty_typeEbEEZZNS1_14partition_implILS5_6ELb0ES3_mN6thrust23THRUST_200600_302600_NS6detail15normal_iteratorINSA_10device_ptrIsEEEEPS6_SG_NS0_5tupleIJSF_S6_EEENSH_IJSG_SG_EEES6_PlJNSB_9not_fun_tINSB_14equal_to_valueIsEEEEEEE10hipError_tPvRmT3_T4_T5_T6_T7_T9_mT8_P12ihipStream_tbDpT10_ENKUlT_T0_E_clISt17integral_constantIbLb0EES18_EEDaS13_S14_EUlS13_E_NS1_11comp_targetILNS1_3genE2ELNS1_11target_archE906ELNS1_3gpuE6ELNS1_3repE0EEENS1_30default_config_static_selectorELNS0_4arch9wavefront6targetE0EEEvT1_.kd
    .uniform_work_group_size: 1
    .uses_dynamic_stack: false
    .vgpr_count:     0
    .vgpr_spill_count: 0
    .wavefront_size: 32
    .workgroup_processor_mode: 1
  - .args:
      - .offset:         0
        .size:           112
        .value_kind:     by_value
    .group_segment_fixed_size: 13840
    .kernarg_segment_align: 8
    .kernarg_segment_size: 112
    .language:       OpenCL C
    .language_version:
      - 2
      - 0
    .max_flat_workgroup_size: 384
    .name:           _ZN7rocprim17ROCPRIM_400000_NS6detail17trampoline_kernelINS0_14default_configENS1_25partition_config_selectorILNS1_17partition_subalgoE6EsNS0_10empty_typeEbEEZZNS1_14partition_implILS5_6ELb0ES3_mN6thrust23THRUST_200600_302600_NS6detail15normal_iteratorINSA_10device_ptrIsEEEEPS6_SG_NS0_5tupleIJSF_S6_EEENSH_IJSG_SG_EEES6_PlJNSB_9not_fun_tINSB_14equal_to_valueIsEEEEEEE10hipError_tPvRmT3_T4_T5_T6_T7_T9_mT8_P12ihipStream_tbDpT10_ENKUlT_T0_E_clISt17integral_constantIbLb0EES18_EEDaS13_S14_EUlS13_E_NS1_11comp_targetILNS1_3genE10ELNS1_11target_archE1200ELNS1_3gpuE4ELNS1_3repE0EEENS1_30default_config_static_selectorELNS0_4arch9wavefront6targetE0EEEvT1_
    .private_segment_fixed_size: 0
    .sgpr_count:     30
    .sgpr_spill_count: 0
    .symbol:         _ZN7rocprim17ROCPRIM_400000_NS6detail17trampoline_kernelINS0_14default_configENS1_25partition_config_selectorILNS1_17partition_subalgoE6EsNS0_10empty_typeEbEEZZNS1_14partition_implILS5_6ELb0ES3_mN6thrust23THRUST_200600_302600_NS6detail15normal_iteratorINSA_10device_ptrIsEEEEPS6_SG_NS0_5tupleIJSF_S6_EEENSH_IJSG_SG_EEES6_PlJNSB_9not_fun_tINSB_14equal_to_valueIsEEEEEEE10hipError_tPvRmT3_T4_T5_T6_T7_T9_mT8_P12ihipStream_tbDpT10_ENKUlT_T0_E_clISt17integral_constantIbLb0EES18_EEDaS13_S14_EUlS13_E_NS1_11comp_targetILNS1_3genE10ELNS1_11target_archE1200ELNS1_3gpuE4ELNS1_3repE0EEENS1_30default_config_static_selectorELNS0_4arch9wavefront6targetE0EEEvT1_.kd
    .uniform_work_group_size: 1
    .uses_dynamic_stack: false
    .vgpr_count:     73
    .vgpr_spill_count: 0
    .wavefront_size: 32
    .workgroup_processor_mode: 1
  - .args:
      - .offset:         0
        .size:           112
        .value_kind:     by_value
    .group_segment_fixed_size: 0
    .kernarg_segment_align: 8
    .kernarg_segment_size: 112
    .language:       OpenCL C
    .language_version:
      - 2
      - 0
    .max_flat_workgroup_size: 128
    .name:           _ZN7rocprim17ROCPRIM_400000_NS6detail17trampoline_kernelINS0_14default_configENS1_25partition_config_selectorILNS1_17partition_subalgoE6EsNS0_10empty_typeEbEEZZNS1_14partition_implILS5_6ELb0ES3_mN6thrust23THRUST_200600_302600_NS6detail15normal_iteratorINSA_10device_ptrIsEEEEPS6_SG_NS0_5tupleIJSF_S6_EEENSH_IJSG_SG_EEES6_PlJNSB_9not_fun_tINSB_14equal_to_valueIsEEEEEEE10hipError_tPvRmT3_T4_T5_T6_T7_T9_mT8_P12ihipStream_tbDpT10_ENKUlT_T0_E_clISt17integral_constantIbLb0EES18_EEDaS13_S14_EUlS13_E_NS1_11comp_targetILNS1_3genE9ELNS1_11target_archE1100ELNS1_3gpuE3ELNS1_3repE0EEENS1_30default_config_static_selectorELNS0_4arch9wavefront6targetE0EEEvT1_
    .private_segment_fixed_size: 0
    .sgpr_count:     0
    .sgpr_spill_count: 0
    .symbol:         _ZN7rocprim17ROCPRIM_400000_NS6detail17trampoline_kernelINS0_14default_configENS1_25partition_config_selectorILNS1_17partition_subalgoE6EsNS0_10empty_typeEbEEZZNS1_14partition_implILS5_6ELb0ES3_mN6thrust23THRUST_200600_302600_NS6detail15normal_iteratorINSA_10device_ptrIsEEEEPS6_SG_NS0_5tupleIJSF_S6_EEENSH_IJSG_SG_EEES6_PlJNSB_9not_fun_tINSB_14equal_to_valueIsEEEEEEE10hipError_tPvRmT3_T4_T5_T6_T7_T9_mT8_P12ihipStream_tbDpT10_ENKUlT_T0_E_clISt17integral_constantIbLb0EES18_EEDaS13_S14_EUlS13_E_NS1_11comp_targetILNS1_3genE9ELNS1_11target_archE1100ELNS1_3gpuE3ELNS1_3repE0EEENS1_30default_config_static_selectorELNS0_4arch9wavefront6targetE0EEEvT1_.kd
    .uniform_work_group_size: 1
    .uses_dynamic_stack: false
    .vgpr_count:     0
    .vgpr_spill_count: 0
    .wavefront_size: 32
    .workgroup_processor_mode: 1
  - .args:
      - .offset:         0
        .size:           112
        .value_kind:     by_value
    .group_segment_fixed_size: 0
    .kernarg_segment_align: 8
    .kernarg_segment_size: 112
    .language:       OpenCL C
    .language_version:
      - 2
      - 0
    .max_flat_workgroup_size: 256
    .name:           _ZN7rocprim17ROCPRIM_400000_NS6detail17trampoline_kernelINS0_14default_configENS1_25partition_config_selectorILNS1_17partition_subalgoE6EsNS0_10empty_typeEbEEZZNS1_14partition_implILS5_6ELb0ES3_mN6thrust23THRUST_200600_302600_NS6detail15normal_iteratorINSA_10device_ptrIsEEEEPS6_SG_NS0_5tupleIJSF_S6_EEENSH_IJSG_SG_EEES6_PlJNSB_9not_fun_tINSB_14equal_to_valueIsEEEEEEE10hipError_tPvRmT3_T4_T5_T6_T7_T9_mT8_P12ihipStream_tbDpT10_ENKUlT_T0_E_clISt17integral_constantIbLb0EES18_EEDaS13_S14_EUlS13_E_NS1_11comp_targetILNS1_3genE8ELNS1_11target_archE1030ELNS1_3gpuE2ELNS1_3repE0EEENS1_30default_config_static_selectorELNS0_4arch9wavefront6targetE0EEEvT1_
    .private_segment_fixed_size: 0
    .sgpr_count:     0
    .sgpr_spill_count: 0
    .symbol:         _ZN7rocprim17ROCPRIM_400000_NS6detail17trampoline_kernelINS0_14default_configENS1_25partition_config_selectorILNS1_17partition_subalgoE6EsNS0_10empty_typeEbEEZZNS1_14partition_implILS5_6ELb0ES3_mN6thrust23THRUST_200600_302600_NS6detail15normal_iteratorINSA_10device_ptrIsEEEEPS6_SG_NS0_5tupleIJSF_S6_EEENSH_IJSG_SG_EEES6_PlJNSB_9not_fun_tINSB_14equal_to_valueIsEEEEEEE10hipError_tPvRmT3_T4_T5_T6_T7_T9_mT8_P12ihipStream_tbDpT10_ENKUlT_T0_E_clISt17integral_constantIbLb0EES18_EEDaS13_S14_EUlS13_E_NS1_11comp_targetILNS1_3genE8ELNS1_11target_archE1030ELNS1_3gpuE2ELNS1_3repE0EEENS1_30default_config_static_selectorELNS0_4arch9wavefront6targetE0EEEvT1_.kd
    .uniform_work_group_size: 1
    .uses_dynamic_stack: false
    .vgpr_count:     0
    .vgpr_spill_count: 0
    .wavefront_size: 32
    .workgroup_processor_mode: 1
  - .args:
      - .offset:         0
        .size:           128
        .value_kind:     by_value
    .group_segment_fixed_size: 0
    .kernarg_segment_align: 8
    .kernarg_segment_size: 128
    .language:       OpenCL C
    .language_version:
      - 2
      - 0
    .max_flat_workgroup_size: 256
    .name:           _ZN7rocprim17ROCPRIM_400000_NS6detail17trampoline_kernelINS0_14default_configENS1_25partition_config_selectorILNS1_17partition_subalgoE6EsNS0_10empty_typeEbEEZZNS1_14partition_implILS5_6ELb0ES3_mN6thrust23THRUST_200600_302600_NS6detail15normal_iteratorINSA_10device_ptrIsEEEEPS6_SG_NS0_5tupleIJSF_S6_EEENSH_IJSG_SG_EEES6_PlJNSB_9not_fun_tINSB_14equal_to_valueIsEEEEEEE10hipError_tPvRmT3_T4_T5_T6_T7_T9_mT8_P12ihipStream_tbDpT10_ENKUlT_T0_E_clISt17integral_constantIbLb1EES18_EEDaS13_S14_EUlS13_E_NS1_11comp_targetILNS1_3genE0ELNS1_11target_archE4294967295ELNS1_3gpuE0ELNS1_3repE0EEENS1_30default_config_static_selectorELNS0_4arch9wavefront6targetE0EEEvT1_
    .private_segment_fixed_size: 0
    .sgpr_count:     0
    .sgpr_spill_count: 0
    .symbol:         _ZN7rocprim17ROCPRIM_400000_NS6detail17trampoline_kernelINS0_14default_configENS1_25partition_config_selectorILNS1_17partition_subalgoE6EsNS0_10empty_typeEbEEZZNS1_14partition_implILS5_6ELb0ES3_mN6thrust23THRUST_200600_302600_NS6detail15normal_iteratorINSA_10device_ptrIsEEEEPS6_SG_NS0_5tupleIJSF_S6_EEENSH_IJSG_SG_EEES6_PlJNSB_9not_fun_tINSB_14equal_to_valueIsEEEEEEE10hipError_tPvRmT3_T4_T5_T6_T7_T9_mT8_P12ihipStream_tbDpT10_ENKUlT_T0_E_clISt17integral_constantIbLb1EES18_EEDaS13_S14_EUlS13_E_NS1_11comp_targetILNS1_3genE0ELNS1_11target_archE4294967295ELNS1_3gpuE0ELNS1_3repE0EEENS1_30default_config_static_selectorELNS0_4arch9wavefront6targetE0EEEvT1_.kd
    .uniform_work_group_size: 1
    .uses_dynamic_stack: false
    .vgpr_count:     0
    .vgpr_spill_count: 0
    .wavefront_size: 32
    .workgroup_processor_mode: 1
  - .args:
      - .offset:         0
        .size:           128
        .value_kind:     by_value
    .group_segment_fixed_size: 0
    .kernarg_segment_align: 8
    .kernarg_segment_size: 128
    .language:       OpenCL C
    .language_version:
      - 2
      - 0
    .max_flat_workgroup_size: 512
    .name:           _ZN7rocprim17ROCPRIM_400000_NS6detail17trampoline_kernelINS0_14default_configENS1_25partition_config_selectorILNS1_17partition_subalgoE6EsNS0_10empty_typeEbEEZZNS1_14partition_implILS5_6ELb0ES3_mN6thrust23THRUST_200600_302600_NS6detail15normal_iteratorINSA_10device_ptrIsEEEEPS6_SG_NS0_5tupleIJSF_S6_EEENSH_IJSG_SG_EEES6_PlJNSB_9not_fun_tINSB_14equal_to_valueIsEEEEEEE10hipError_tPvRmT3_T4_T5_T6_T7_T9_mT8_P12ihipStream_tbDpT10_ENKUlT_T0_E_clISt17integral_constantIbLb1EES18_EEDaS13_S14_EUlS13_E_NS1_11comp_targetILNS1_3genE5ELNS1_11target_archE942ELNS1_3gpuE9ELNS1_3repE0EEENS1_30default_config_static_selectorELNS0_4arch9wavefront6targetE0EEEvT1_
    .private_segment_fixed_size: 0
    .sgpr_count:     0
    .sgpr_spill_count: 0
    .symbol:         _ZN7rocprim17ROCPRIM_400000_NS6detail17trampoline_kernelINS0_14default_configENS1_25partition_config_selectorILNS1_17partition_subalgoE6EsNS0_10empty_typeEbEEZZNS1_14partition_implILS5_6ELb0ES3_mN6thrust23THRUST_200600_302600_NS6detail15normal_iteratorINSA_10device_ptrIsEEEEPS6_SG_NS0_5tupleIJSF_S6_EEENSH_IJSG_SG_EEES6_PlJNSB_9not_fun_tINSB_14equal_to_valueIsEEEEEEE10hipError_tPvRmT3_T4_T5_T6_T7_T9_mT8_P12ihipStream_tbDpT10_ENKUlT_T0_E_clISt17integral_constantIbLb1EES18_EEDaS13_S14_EUlS13_E_NS1_11comp_targetILNS1_3genE5ELNS1_11target_archE942ELNS1_3gpuE9ELNS1_3repE0EEENS1_30default_config_static_selectorELNS0_4arch9wavefront6targetE0EEEvT1_.kd
    .uniform_work_group_size: 1
    .uses_dynamic_stack: false
    .vgpr_count:     0
    .vgpr_spill_count: 0
    .wavefront_size: 32
    .workgroup_processor_mode: 1
  - .args:
      - .offset:         0
        .size:           128
        .value_kind:     by_value
    .group_segment_fixed_size: 0
    .kernarg_segment_align: 8
    .kernarg_segment_size: 128
    .language:       OpenCL C
    .language_version:
      - 2
      - 0
    .max_flat_workgroup_size: 256
    .name:           _ZN7rocprim17ROCPRIM_400000_NS6detail17trampoline_kernelINS0_14default_configENS1_25partition_config_selectorILNS1_17partition_subalgoE6EsNS0_10empty_typeEbEEZZNS1_14partition_implILS5_6ELb0ES3_mN6thrust23THRUST_200600_302600_NS6detail15normal_iteratorINSA_10device_ptrIsEEEEPS6_SG_NS0_5tupleIJSF_S6_EEENSH_IJSG_SG_EEES6_PlJNSB_9not_fun_tINSB_14equal_to_valueIsEEEEEEE10hipError_tPvRmT3_T4_T5_T6_T7_T9_mT8_P12ihipStream_tbDpT10_ENKUlT_T0_E_clISt17integral_constantIbLb1EES18_EEDaS13_S14_EUlS13_E_NS1_11comp_targetILNS1_3genE4ELNS1_11target_archE910ELNS1_3gpuE8ELNS1_3repE0EEENS1_30default_config_static_selectorELNS0_4arch9wavefront6targetE0EEEvT1_
    .private_segment_fixed_size: 0
    .sgpr_count:     0
    .sgpr_spill_count: 0
    .symbol:         _ZN7rocprim17ROCPRIM_400000_NS6detail17trampoline_kernelINS0_14default_configENS1_25partition_config_selectorILNS1_17partition_subalgoE6EsNS0_10empty_typeEbEEZZNS1_14partition_implILS5_6ELb0ES3_mN6thrust23THRUST_200600_302600_NS6detail15normal_iteratorINSA_10device_ptrIsEEEEPS6_SG_NS0_5tupleIJSF_S6_EEENSH_IJSG_SG_EEES6_PlJNSB_9not_fun_tINSB_14equal_to_valueIsEEEEEEE10hipError_tPvRmT3_T4_T5_T6_T7_T9_mT8_P12ihipStream_tbDpT10_ENKUlT_T0_E_clISt17integral_constantIbLb1EES18_EEDaS13_S14_EUlS13_E_NS1_11comp_targetILNS1_3genE4ELNS1_11target_archE910ELNS1_3gpuE8ELNS1_3repE0EEENS1_30default_config_static_selectorELNS0_4arch9wavefront6targetE0EEEvT1_.kd
    .uniform_work_group_size: 1
    .uses_dynamic_stack: false
    .vgpr_count:     0
    .vgpr_spill_count: 0
    .wavefront_size: 32
    .workgroup_processor_mode: 1
  - .args:
      - .offset:         0
        .size:           128
        .value_kind:     by_value
    .group_segment_fixed_size: 0
    .kernarg_segment_align: 8
    .kernarg_segment_size: 128
    .language:       OpenCL C
    .language_version:
      - 2
      - 0
    .max_flat_workgroup_size: 256
    .name:           _ZN7rocprim17ROCPRIM_400000_NS6detail17trampoline_kernelINS0_14default_configENS1_25partition_config_selectorILNS1_17partition_subalgoE6EsNS0_10empty_typeEbEEZZNS1_14partition_implILS5_6ELb0ES3_mN6thrust23THRUST_200600_302600_NS6detail15normal_iteratorINSA_10device_ptrIsEEEEPS6_SG_NS0_5tupleIJSF_S6_EEENSH_IJSG_SG_EEES6_PlJNSB_9not_fun_tINSB_14equal_to_valueIsEEEEEEE10hipError_tPvRmT3_T4_T5_T6_T7_T9_mT8_P12ihipStream_tbDpT10_ENKUlT_T0_E_clISt17integral_constantIbLb1EES18_EEDaS13_S14_EUlS13_E_NS1_11comp_targetILNS1_3genE3ELNS1_11target_archE908ELNS1_3gpuE7ELNS1_3repE0EEENS1_30default_config_static_selectorELNS0_4arch9wavefront6targetE0EEEvT1_
    .private_segment_fixed_size: 0
    .sgpr_count:     0
    .sgpr_spill_count: 0
    .symbol:         _ZN7rocprim17ROCPRIM_400000_NS6detail17trampoline_kernelINS0_14default_configENS1_25partition_config_selectorILNS1_17partition_subalgoE6EsNS0_10empty_typeEbEEZZNS1_14partition_implILS5_6ELb0ES3_mN6thrust23THRUST_200600_302600_NS6detail15normal_iteratorINSA_10device_ptrIsEEEEPS6_SG_NS0_5tupleIJSF_S6_EEENSH_IJSG_SG_EEES6_PlJNSB_9not_fun_tINSB_14equal_to_valueIsEEEEEEE10hipError_tPvRmT3_T4_T5_T6_T7_T9_mT8_P12ihipStream_tbDpT10_ENKUlT_T0_E_clISt17integral_constantIbLb1EES18_EEDaS13_S14_EUlS13_E_NS1_11comp_targetILNS1_3genE3ELNS1_11target_archE908ELNS1_3gpuE7ELNS1_3repE0EEENS1_30default_config_static_selectorELNS0_4arch9wavefront6targetE0EEEvT1_.kd
    .uniform_work_group_size: 1
    .uses_dynamic_stack: false
    .vgpr_count:     0
    .vgpr_spill_count: 0
    .wavefront_size: 32
    .workgroup_processor_mode: 1
  - .args:
      - .offset:         0
        .size:           128
        .value_kind:     by_value
    .group_segment_fixed_size: 0
    .kernarg_segment_align: 8
    .kernarg_segment_size: 128
    .language:       OpenCL C
    .language_version:
      - 2
      - 0
    .max_flat_workgroup_size: 256
    .name:           _ZN7rocprim17ROCPRIM_400000_NS6detail17trampoline_kernelINS0_14default_configENS1_25partition_config_selectorILNS1_17partition_subalgoE6EsNS0_10empty_typeEbEEZZNS1_14partition_implILS5_6ELb0ES3_mN6thrust23THRUST_200600_302600_NS6detail15normal_iteratorINSA_10device_ptrIsEEEEPS6_SG_NS0_5tupleIJSF_S6_EEENSH_IJSG_SG_EEES6_PlJNSB_9not_fun_tINSB_14equal_to_valueIsEEEEEEE10hipError_tPvRmT3_T4_T5_T6_T7_T9_mT8_P12ihipStream_tbDpT10_ENKUlT_T0_E_clISt17integral_constantIbLb1EES18_EEDaS13_S14_EUlS13_E_NS1_11comp_targetILNS1_3genE2ELNS1_11target_archE906ELNS1_3gpuE6ELNS1_3repE0EEENS1_30default_config_static_selectorELNS0_4arch9wavefront6targetE0EEEvT1_
    .private_segment_fixed_size: 0
    .sgpr_count:     0
    .sgpr_spill_count: 0
    .symbol:         _ZN7rocprim17ROCPRIM_400000_NS6detail17trampoline_kernelINS0_14default_configENS1_25partition_config_selectorILNS1_17partition_subalgoE6EsNS0_10empty_typeEbEEZZNS1_14partition_implILS5_6ELb0ES3_mN6thrust23THRUST_200600_302600_NS6detail15normal_iteratorINSA_10device_ptrIsEEEEPS6_SG_NS0_5tupleIJSF_S6_EEENSH_IJSG_SG_EEES6_PlJNSB_9not_fun_tINSB_14equal_to_valueIsEEEEEEE10hipError_tPvRmT3_T4_T5_T6_T7_T9_mT8_P12ihipStream_tbDpT10_ENKUlT_T0_E_clISt17integral_constantIbLb1EES18_EEDaS13_S14_EUlS13_E_NS1_11comp_targetILNS1_3genE2ELNS1_11target_archE906ELNS1_3gpuE6ELNS1_3repE0EEENS1_30default_config_static_selectorELNS0_4arch9wavefront6targetE0EEEvT1_.kd
    .uniform_work_group_size: 1
    .uses_dynamic_stack: false
    .vgpr_count:     0
    .vgpr_spill_count: 0
    .wavefront_size: 32
    .workgroup_processor_mode: 1
  - .args:
      - .offset:         0
        .size:           128
        .value_kind:     by_value
    .group_segment_fixed_size: 0
    .kernarg_segment_align: 8
    .kernarg_segment_size: 128
    .language:       OpenCL C
    .language_version:
      - 2
      - 0
    .max_flat_workgroup_size: 384
    .name:           _ZN7rocprim17ROCPRIM_400000_NS6detail17trampoline_kernelINS0_14default_configENS1_25partition_config_selectorILNS1_17partition_subalgoE6EsNS0_10empty_typeEbEEZZNS1_14partition_implILS5_6ELb0ES3_mN6thrust23THRUST_200600_302600_NS6detail15normal_iteratorINSA_10device_ptrIsEEEEPS6_SG_NS0_5tupleIJSF_S6_EEENSH_IJSG_SG_EEES6_PlJNSB_9not_fun_tINSB_14equal_to_valueIsEEEEEEE10hipError_tPvRmT3_T4_T5_T6_T7_T9_mT8_P12ihipStream_tbDpT10_ENKUlT_T0_E_clISt17integral_constantIbLb1EES18_EEDaS13_S14_EUlS13_E_NS1_11comp_targetILNS1_3genE10ELNS1_11target_archE1200ELNS1_3gpuE4ELNS1_3repE0EEENS1_30default_config_static_selectorELNS0_4arch9wavefront6targetE0EEEvT1_
    .private_segment_fixed_size: 0
    .sgpr_count:     0
    .sgpr_spill_count: 0
    .symbol:         _ZN7rocprim17ROCPRIM_400000_NS6detail17trampoline_kernelINS0_14default_configENS1_25partition_config_selectorILNS1_17partition_subalgoE6EsNS0_10empty_typeEbEEZZNS1_14partition_implILS5_6ELb0ES3_mN6thrust23THRUST_200600_302600_NS6detail15normal_iteratorINSA_10device_ptrIsEEEEPS6_SG_NS0_5tupleIJSF_S6_EEENSH_IJSG_SG_EEES6_PlJNSB_9not_fun_tINSB_14equal_to_valueIsEEEEEEE10hipError_tPvRmT3_T4_T5_T6_T7_T9_mT8_P12ihipStream_tbDpT10_ENKUlT_T0_E_clISt17integral_constantIbLb1EES18_EEDaS13_S14_EUlS13_E_NS1_11comp_targetILNS1_3genE10ELNS1_11target_archE1200ELNS1_3gpuE4ELNS1_3repE0EEENS1_30default_config_static_selectorELNS0_4arch9wavefront6targetE0EEEvT1_.kd
    .uniform_work_group_size: 1
    .uses_dynamic_stack: false
    .vgpr_count:     0
    .vgpr_spill_count: 0
    .wavefront_size: 32
    .workgroup_processor_mode: 1
  - .args:
      - .offset:         0
        .size:           128
        .value_kind:     by_value
    .group_segment_fixed_size: 0
    .kernarg_segment_align: 8
    .kernarg_segment_size: 128
    .language:       OpenCL C
    .language_version:
      - 2
      - 0
    .max_flat_workgroup_size: 128
    .name:           _ZN7rocprim17ROCPRIM_400000_NS6detail17trampoline_kernelINS0_14default_configENS1_25partition_config_selectorILNS1_17partition_subalgoE6EsNS0_10empty_typeEbEEZZNS1_14partition_implILS5_6ELb0ES3_mN6thrust23THRUST_200600_302600_NS6detail15normal_iteratorINSA_10device_ptrIsEEEEPS6_SG_NS0_5tupleIJSF_S6_EEENSH_IJSG_SG_EEES6_PlJNSB_9not_fun_tINSB_14equal_to_valueIsEEEEEEE10hipError_tPvRmT3_T4_T5_T6_T7_T9_mT8_P12ihipStream_tbDpT10_ENKUlT_T0_E_clISt17integral_constantIbLb1EES18_EEDaS13_S14_EUlS13_E_NS1_11comp_targetILNS1_3genE9ELNS1_11target_archE1100ELNS1_3gpuE3ELNS1_3repE0EEENS1_30default_config_static_selectorELNS0_4arch9wavefront6targetE0EEEvT1_
    .private_segment_fixed_size: 0
    .sgpr_count:     0
    .sgpr_spill_count: 0
    .symbol:         _ZN7rocprim17ROCPRIM_400000_NS6detail17trampoline_kernelINS0_14default_configENS1_25partition_config_selectorILNS1_17partition_subalgoE6EsNS0_10empty_typeEbEEZZNS1_14partition_implILS5_6ELb0ES3_mN6thrust23THRUST_200600_302600_NS6detail15normal_iteratorINSA_10device_ptrIsEEEEPS6_SG_NS0_5tupleIJSF_S6_EEENSH_IJSG_SG_EEES6_PlJNSB_9not_fun_tINSB_14equal_to_valueIsEEEEEEE10hipError_tPvRmT3_T4_T5_T6_T7_T9_mT8_P12ihipStream_tbDpT10_ENKUlT_T0_E_clISt17integral_constantIbLb1EES18_EEDaS13_S14_EUlS13_E_NS1_11comp_targetILNS1_3genE9ELNS1_11target_archE1100ELNS1_3gpuE3ELNS1_3repE0EEENS1_30default_config_static_selectorELNS0_4arch9wavefront6targetE0EEEvT1_.kd
    .uniform_work_group_size: 1
    .uses_dynamic_stack: false
    .vgpr_count:     0
    .vgpr_spill_count: 0
    .wavefront_size: 32
    .workgroup_processor_mode: 1
  - .args:
      - .offset:         0
        .size:           128
        .value_kind:     by_value
    .group_segment_fixed_size: 0
    .kernarg_segment_align: 8
    .kernarg_segment_size: 128
    .language:       OpenCL C
    .language_version:
      - 2
      - 0
    .max_flat_workgroup_size: 256
    .name:           _ZN7rocprim17ROCPRIM_400000_NS6detail17trampoline_kernelINS0_14default_configENS1_25partition_config_selectorILNS1_17partition_subalgoE6EsNS0_10empty_typeEbEEZZNS1_14partition_implILS5_6ELb0ES3_mN6thrust23THRUST_200600_302600_NS6detail15normal_iteratorINSA_10device_ptrIsEEEEPS6_SG_NS0_5tupleIJSF_S6_EEENSH_IJSG_SG_EEES6_PlJNSB_9not_fun_tINSB_14equal_to_valueIsEEEEEEE10hipError_tPvRmT3_T4_T5_T6_T7_T9_mT8_P12ihipStream_tbDpT10_ENKUlT_T0_E_clISt17integral_constantIbLb1EES18_EEDaS13_S14_EUlS13_E_NS1_11comp_targetILNS1_3genE8ELNS1_11target_archE1030ELNS1_3gpuE2ELNS1_3repE0EEENS1_30default_config_static_selectorELNS0_4arch9wavefront6targetE0EEEvT1_
    .private_segment_fixed_size: 0
    .sgpr_count:     0
    .sgpr_spill_count: 0
    .symbol:         _ZN7rocprim17ROCPRIM_400000_NS6detail17trampoline_kernelINS0_14default_configENS1_25partition_config_selectorILNS1_17partition_subalgoE6EsNS0_10empty_typeEbEEZZNS1_14partition_implILS5_6ELb0ES3_mN6thrust23THRUST_200600_302600_NS6detail15normal_iteratorINSA_10device_ptrIsEEEEPS6_SG_NS0_5tupleIJSF_S6_EEENSH_IJSG_SG_EEES6_PlJNSB_9not_fun_tINSB_14equal_to_valueIsEEEEEEE10hipError_tPvRmT3_T4_T5_T6_T7_T9_mT8_P12ihipStream_tbDpT10_ENKUlT_T0_E_clISt17integral_constantIbLb1EES18_EEDaS13_S14_EUlS13_E_NS1_11comp_targetILNS1_3genE8ELNS1_11target_archE1030ELNS1_3gpuE2ELNS1_3repE0EEENS1_30default_config_static_selectorELNS0_4arch9wavefront6targetE0EEEvT1_.kd
    .uniform_work_group_size: 1
    .uses_dynamic_stack: false
    .vgpr_count:     0
    .vgpr_spill_count: 0
    .wavefront_size: 32
    .workgroup_processor_mode: 1
  - .args:
      - .offset:         0
        .size:           112
        .value_kind:     by_value
    .group_segment_fixed_size: 0
    .kernarg_segment_align: 8
    .kernarg_segment_size: 112
    .language:       OpenCL C
    .language_version:
      - 2
      - 0
    .max_flat_workgroup_size: 256
    .name:           _ZN7rocprim17ROCPRIM_400000_NS6detail17trampoline_kernelINS0_14default_configENS1_25partition_config_selectorILNS1_17partition_subalgoE6EsNS0_10empty_typeEbEEZZNS1_14partition_implILS5_6ELb0ES3_mN6thrust23THRUST_200600_302600_NS6detail15normal_iteratorINSA_10device_ptrIsEEEEPS6_SG_NS0_5tupleIJSF_S6_EEENSH_IJSG_SG_EEES6_PlJNSB_9not_fun_tINSB_14equal_to_valueIsEEEEEEE10hipError_tPvRmT3_T4_T5_T6_T7_T9_mT8_P12ihipStream_tbDpT10_ENKUlT_T0_E_clISt17integral_constantIbLb1EES17_IbLb0EEEEDaS13_S14_EUlS13_E_NS1_11comp_targetILNS1_3genE0ELNS1_11target_archE4294967295ELNS1_3gpuE0ELNS1_3repE0EEENS1_30default_config_static_selectorELNS0_4arch9wavefront6targetE0EEEvT1_
    .private_segment_fixed_size: 0
    .sgpr_count:     0
    .sgpr_spill_count: 0
    .symbol:         _ZN7rocprim17ROCPRIM_400000_NS6detail17trampoline_kernelINS0_14default_configENS1_25partition_config_selectorILNS1_17partition_subalgoE6EsNS0_10empty_typeEbEEZZNS1_14partition_implILS5_6ELb0ES3_mN6thrust23THRUST_200600_302600_NS6detail15normal_iteratorINSA_10device_ptrIsEEEEPS6_SG_NS0_5tupleIJSF_S6_EEENSH_IJSG_SG_EEES6_PlJNSB_9not_fun_tINSB_14equal_to_valueIsEEEEEEE10hipError_tPvRmT3_T4_T5_T6_T7_T9_mT8_P12ihipStream_tbDpT10_ENKUlT_T0_E_clISt17integral_constantIbLb1EES17_IbLb0EEEEDaS13_S14_EUlS13_E_NS1_11comp_targetILNS1_3genE0ELNS1_11target_archE4294967295ELNS1_3gpuE0ELNS1_3repE0EEENS1_30default_config_static_selectorELNS0_4arch9wavefront6targetE0EEEvT1_.kd
    .uniform_work_group_size: 1
    .uses_dynamic_stack: false
    .vgpr_count:     0
    .vgpr_spill_count: 0
    .wavefront_size: 32
    .workgroup_processor_mode: 1
  - .args:
      - .offset:         0
        .size:           112
        .value_kind:     by_value
    .group_segment_fixed_size: 0
    .kernarg_segment_align: 8
    .kernarg_segment_size: 112
    .language:       OpenCL C
    .language_version:
      - 2
      - 0
    .max_flat_workgroup_size: 512
    .name:           _ZN7rocprim17ROCPRIM_400000_NS6detail17trampoline_kernelINS0_14default_configENS1_25partition_config_selectorILNS1_17partition_subalgoE6EsNS0_10empty_typeEbEEZZNS1_14partition_implILS5_6ELb0ES3_mN6thrust23THRUST_200600_302600_NS6detail15normal_iteratorINSA_10device_ptrIsEEEEPS6_SG_NS0_5tupleIJSF_S6_EEENSH_IJSG_SG_EEES6_PlJNSB_9not_fun_tINSB_14equal_to_valueIsEEEEEEE10hipError_tPvRmT3_T4_T5_T6_T7_T9_mT8_P12ihipStream_tbDpT10_ENKUlT_T0_E_clISt17integral_constantIbLb1EES17_IbLb0EEEEDaS13_S14_EUlS13_E_NS1_11comp_targetILNS1_3genE5ELNS1_11target_archE942ELNS1_3gpuE9ELNS1_3repE0EEENS1_30default_config_static_selectorELNS0_4arch9wavefront6targetE0EEEvT1_
    .private_segment_fixed_size: 0
    .sgpr_count:     0
    .sgpr_spill_count: 0
    .symbol:         _ZN7rocprim17ROCPRIM_400000_NS6detail17trampoline_kernelINS0_14default_configENS1_25partition_config_selectorILNS1_17partition_subalgoE6EsNS0_10empty_typeEbEEZZNS1_14partition_implILS5_6ELb0ES3_mN6thrust23THRUST_200600_302600_NS6detail15normal_iteratorINSA_10device_ptrIsEEEEPS6_SG_NS0_5tupleIJSF_S6_EEENSH_IJSG_SG_EEES6_PlJNSB_9not_fun_tINSB_14equal_to_valueIsEEEEEEE10hipError_tPvRmT3_T4_T5_T6_T7_T9_mT8_P12ihipStream_tbDpT10_ENKUlT_T0_E_clISt17integral_constantIbLb1EES17_IbLb0EEEEDaS13_S14_EUlS13_E_NS1_11comp_targetILNS1_3genE5ELNS1_11target_archE942ELNS1_3gpuE9ELNS1_3repE0EEENS1_30default_config_static_selectorELNS0_4arch9wavefront6targetE0EEEvT1_.kd
    .uniform_work_group_size: 1
    .uses_dynamic_stack: false
    .vgpr_count:     0
    .vgpr_spill_count: 0
    .wavefront_size: 32
    .workgroup_processor_mode: 1
  - .args:
      - .offset:         0
        .size:           112
        .value_kind:     by_value
    .group_segment_fixed_size: 0
    .kernarg_segment_align: 8
    .kernarg_segment_size: 112
    .language:       OpenCL C
    .language_version:
      - 2
      - 0
    .max_flat_workgroup_size: 256
    .name:           _ZN7rocprim17ROCPRIM_400000_NS6detail17trampoline_kernelINS0_14default_configENS1_25partition_config_selectorILNS1_17partition_subalgoE6EsNS0_10empty_typeEbEEZZNS1_14partition_implILS5_6ELb0ES3_mN6thrust23THRUST_200600_302600_NS6detail15normal_iteratorINSA_10device_ptrIsEEEEPS6_SG_NS0_5tupleIJSF_S6_EEENSH_IJSG_SG_EEES6_PlJNSB_9not_fun_tINSB_14equal_to_valueIsEEEEEEE10hipError_tPvRmT3_T4_T5_T6_T7_T9_mT8_P12ihipStream_tbDpT10_ENKUlT_T0_E_clISt17integral_constantIbLb1EES17_IbLb0EEEEDaS13_S14_EUlS13_E_NS1_11comp_targetILNS1_3genE4ELNS1_11target_archE910ELNS1_3gpuE8ELNS1_3repE0EEENS1_30default_config_static_selectorELNS0_4arch9wavefront6targetE0EEEvT1_
    .private_segment_fixed_size: 0
    .sgpr_count:     0
    .sgpr_spill_count: 0
    .symbol:         _ZN7rocprim17ROCPRIM_400000_NS6detail17trampoline_kernelINS0_14default_configENS1_25partition_config_selectorILNS1_17partition_subalgoE6EsNS0_10empty_typeEbEEZZNS1_14partition_implILS5_6ELb0ES3_mN6thrust23THRUST_200600_302600_NS6detail15normal_iteratorINSA_10device_ptrIsEEEEPS6_SG_NS0_5tupleIJSF_S6_EEENSH_IJSG_SG_EEES6_PlJNSB_9not_fun_tINSB_14equal_to_valueIsEEEEEEE10hipError_tPvRmT3_T4_T5_T6_T7_T9_mT8_P12ihipStream_tbDpT10_ENKUlT_T0_E_clISt17integral_constantIbLb1EES17_IbLb0EEEEDaS13_S14_EUlS13_E_NS1_11comp_targetILNS1_3genE4ELNS1_11target_archE910ELNS1_3gpuE8ELNS1_3repE0EEENS1_30default_config_static_selectorELNS0_4arch9wavefront6targetE0EEEvT1_.kd
    .uniform_work_group_size: 1
    .uses_dynamic_stack: false
    .vgpr_count:     0
    .vgpr_spill_count: 0
    .wavefront_size: 32
    .workgroup_processor_mode: 1
  - .args:
      - .offset:         0
        .size:           112
        .value_kind:     by_value
    .group_segment_fixed_size: 0
    .kernarg_segment_align: 8
    .kernarg_segment_size: 112
    .language:       OpenCL C
    .language_version:
      - 2
      - 0
    .max_flat_workgroup_size: 256
    .name:           _ZN7rocprim17ROCPRIM_400000_NS6detail17trampoline_kernelINS0_14default_configENS1_25partition_config_selectorILNS1_17partition_subalgoE6EsNS0_10empty_typeEbEEZZNS1_14partition_implILS5_6ELb0ES3_mN6thrust23THRUST_200600_302600_NS6detail15normal_iteratorINSA_10device_ptrIsEEEEPS6_SG_NS0_5tupleIJSF_S6_EEENSH_IJSG_SG_EEES6_PlJNSB_9not_fun_tINSB_14equal_to_valueIsEEEEEEE10hipError_tPvRmT3_T4_T5_T6_T7_T9_mT8_P12ihipStream_tbDpT10_ENKUlT_T0_E_clISt17integral_constantIbLb1EES17_IbLb0EEEEDaS13_S14_EUlS13_E_NS1_11comp_targetILNS1_3genE3ELNS1_11target_archE908ELNS1_3gpuE7ELNS1_3repE0EEENS1_30default_config_static_selectorELNS0_4arch9wavefront6targetE0EEEvT1_
    .private_segment_fixed_size: 0
    .sgpr_count:     0
    .sgpr_spill_count: 0
    .symbol:         _ZN7rocprim17ROCPRIM_400000_NS6detail17trampoline_kernelINS0_14default_configENS1_25partition_config_selectorILNS1_17partition_subalgoE6EsNS0_10empty_typeEbEEZZNS1_14partition_implILS5_6ELb0ES3_mN6thrust23THRUST_200600_302600_NS6detail15normal_iteratorINSA_10device_ptrIsEEEEPS6_SG_NS0_5tupleIJSF_S6_EEENSH_IJSG_SG_EEES6_PlJNSB_9not_fun_tINSB_14equal_to_valueIsEEEEEEE10hipError_tPvRmT3_T4_T5_T6_T7_T9_mT8_P12ihipStream_tbDpT10_ENKUlT_T0_E_clISt17integral_constantIbLb1EES17_IbLb0EEEEDaS13_S14_EUlS13_E_NS1_11comp_targetILNS1_3genE3ELNS1_11target_archE908ELNS1_3gpuE7ELNS1_3repE0EEENS1_30default_config_static_selectorELNS0_4arch9wavefront6targetE0EEEvT1_.kd
    .uniform_work_group_size: 1
    .uses_dynamic_stack: false
    .vgpr_count:     0
    .vgpr_spill_count: 0
    .wavefront_size: 32
    .workgroup_processor_mode: 1
  - .args:
      - .offset:         0
        .size:           112
        .value_kind:     by_value
    .group_segment_fixed_size: 0
    .kernarg_segment_align: 8
    .kernarg_segment_size: 112
    .language:       OpenCL C
    .language_version:
      - 2
      - 0
    .max_flat_workgroup_size: 256
    .name:           _ZN7rocprim17ROCPRIM_400000_NS6detail17trampoline_kernelINS0_14default_configENS1_25partition_config_selectorILNS1_17partition_subalgoE6EsNS0_10empty_typeEbEEZZNS1_14partition_implILS5_6ELb0ES3_mN6thrust23THRUST_200600_302600_NS6detail15normal_iteratorINSA_10device_ptrIsEEEEPS6_SG_NS0_5tupleIJSF_S6_EEENSH_IJSG_SG_EEES6_PlJNSB_9not_fun_tINSB_14equal_to_valueIsEEEEEEE10hipError_tPvRmT3_T4_T5_T6_T7_T9_mT8_P12ihipStream_tbDpT10_ENKUlT_T0_E_clISt17integral_constantIbLb1EES17_IbLb0EEEEDaS13_S14_EUlS13_E_NS1_11comp_targetILNS1_3genE2ELNS1_11target_archE906ELNS1_3gpuE6ELNS1_3repE0EEENS1_30default_config_static_selectorELNS0_4arch9wavefront6targetE0EEEvT1_
    .private_segment_fixed_size: 0
    .sgpr_count:     0
    .sgpr_spill_count: 0
    .symbol:         _ZN7rocprim17ROCPRIM_400000_NS6detail17trampoline_kernelINS0_14default_configENS1_25partition_config_selectorILNS1_17partition_subalgoE6EsNS0_10empty_typeEbEEZZNS1_14partition_implILS5_6ELb0ES3_mN6thrust23THRUST_200600_302600_NS6detail15normal_iteratorINSA_10device_ptrIsEEEEPS6_SG_NS0_5tupleIJSF_S6_EEENSH_IJSG_SG_EEES6_PlJNSB_9not_fun_tINSB_14equal_to_valueIsEEEEEEE10hipError_tPvRmT3_T4_T5_T6_T7_T9_mT8_P12ihipStream_tbDpT10_ENKUlT_T0_E_clISt17integral_constantIbLb1EES17_IbLb0EEEEDaS13_S14_EUlS13_E_NS1_11comp_targetILNS1_3genE2ELNS1_11target_archE906ELNS1_3gpuE6ELNS1_3repE0EEENS1_30default_config_static_selectorELNS0_4arch9wavefront6targetE0EEEvT1_.kd
    .uniform_work_group_size: 1
    .uses_dynamic_stack: false
    .vgpr_count:     0
    .vgpr_spill_count: 0
    .wavefront_size: 32
    .workgroup_processor_mode: 1
  - .args:
      - .offset:         0
        .size:           112
        .value_kind:     by_value
    .group_segment_fixed_size: 0
    .kernarg_segment_align: 8
    .kernarg_segment_size: 112
    .language:       OpenCL C
    .language_version:
      - 2
      - 0
    .max_flat_workgroup_size: 384
    .name:           _ZN7rocprim17ROCPRIM_400000_NS6detail17trampoline_kernelINS0_14default_configENS1_25partition_config_selectorILNS1_17partition_subalgoE6EsNS0_10empty_typeEbEEZZNS1_14partition_implILS5_6ELb0ES3_mN6thrust23THRUST_200600_302600_NS6detail15normal_iteratorINSA_10device_ptrIsEEEEPS6_SG_NS0_5tupleIJSF_S6_EEENSH_IJSG_SG_EEES6_PlJNSB_9not_fun_tINSB_14equal_to_valueIsEEEEEEE10hipError_tPvRmT3_T4_T5_T6_T7_T9_mT8_P12ihipStream_tbDpT10_ENKUlT_T0_E_clISt17integral_constantIbLb1EES17_IbLb0EEEEDaS13_S14_EUlS13_E_NS1_11comp_targetILNS1_3genE10ELNS1_11target_archE1200ELNS1_3gpuE4ELNS1_3repE0EEENS1_30default_config_static_selectorELNS0_4arch9wavefront6targetE0EEEvT1_
    .private_segment_fixed_size: 0
    .sgpr_count:     0
    .sgpr_spill_count: 0
    .symbol:         _ZN7rocprim17ROCPRIM_400000_NS6detail17trampoline_kernelINS0_14default_configENS1_25partition_config_selectorILNS1_17partition_subalgoE6EsNS0_10empty_typeEbEEZZNS1_14partition_implILS5_6ELb0ES3_mN6thrust23THRUST_200600_302600_NS6detail15normal_iteratorINSA_10device_ptrIsEEEEPS6_SG_NS0_5tupleIJSF_S6_EEENSH_IJSG_SG_EEES6_PlJNSB_9not_fun_tINSB_14equal_to_valueIsEEEEEEE10hipError_tPvRmT3_T4_T5_T6_T7_T9_mT8_P12ihipStream_tbDpT10_ENKUlT_T0_E_clISt17integral_constantIbLb1EES17_IbLb0EEEEDaS13_S14_EUlS13_E_NS1_11comp_targetILNS1_3genE10ELNS1_11target_archE1200ELNS1_3gpuE4ELNS1_3repE0EEENS1_30default_config_static_selectorELNS0_4arch9wavefront6targetE0EEEvT1_.kd
    .uniform_work_group_size: 1
    .uses_dynamic_stack: false
    .vgpr_count:     0
    .vgpr_spill_count: 0
    .wavefront_size: 32
    .workgroup_processor_mode: 1
  - .args:
      - .offset:         0
        .size:           112
        .value_kind:     by_value
    .group_segment_fixed_size: 0
    .kernarg_segment_align: 8
    .kernarg_segment_size: 112
    .language:       OpenCL C
    .language_version:
      - 2
      - 0
    .max_flat_workgroup_size: 128
    .name:           _ZN7rocprim17ROCPRIM_400000_NS6detail17trampoline_kernelINS0_14default_configENS1_25partition_config_selectorILNS1_17partition_subalgoE6EsNS0_10empty_typeEbEEZZNS1_14partition_implILS5_6ELb0ES3_mN6thrust23THRUST_200600_302600_NS6detail15normal_iteratorINSA_10device_ptrIsEEEEPS6_SG_NS0_5tupleIJSF_S6_EEENSH_IJSG_SG_EEES6_PlJNSB_9not_fun_tINSB_14equal_to_valueIsEEEEEEE10hipError_tPvRmT3_T4_T5_T6_T7_T9_mT8_P12ihipStream_tbDpT10_ENKUlT_T0_E_clISt17integral_constantIbLb1EES17_IbLb0EEEEDaS13_S14_EUlS13_E_NS1_11comp_targetILNS1_3genE9ELNS1_11target_archE1100ELNS1_3gpuE3ELNS1_3repE0EEENS1_30default_config_static_selectorELNS0_4arch9wavefront6targetE0EEEvT1_
    .private_segment_fixed_size: 0
    .sgpr_count:     0
    .sgpr_spill_count: 0
    .symbol:         _ZN7rocprim17ROCPRIM_400000_NS6detail17trampoline_kernelINS0_14default_configENS1_25partition_config_selectorILNS1_17partition_subalgoE6EsNS0_10empty_typeEbEEZZNS1_14partition_implILS5_6ELb0ES3_mN6thrust23THRUST_200600_302600_NS6detail15normal_iteratorINSA_10device_ptrIsEEEEPS6_SG_NS0_5tupleIJSF_S6_EEENSH_IJSG_SG_EEES6_PlJNSB_9not_fun_tINSB_14equal_to_valueIsEEEEEEE10hipError_tPvRmT3_T4_T5_T6_T7_T9_mT8_P12ihipStream_tbDpT10_ENKUlT_T0_E_clISt17integral_constantIbLb1EES17_IbLb0EEEEDaS13_S14_EUlS13_E_NS1_11comp_targetILNS1_3genE9ELNS1_11target_archE1100ELNS1_3gpuE3ELNS1_3repE0EEENS1_30default_config_static_selectorELNS0_4arch9wavefront6targetE0EEEvT1_.kd
    .uniform_work_group_size: 1
    .uses_dynamic_stack: false
    .vgpr_count:     0
    .vgpr_spill_count: 0
    .wavefront_size: 32
    .workgroup_processor_mode: 1
  - .args:
      - .offset:         0
        .size:           112
        .value_kind:     by_value
    .group_segment_fixed_size: 0
    .kernarg_segment_align: 8
    .kernarg_segment_size: 112
    .language:       OpenCL C
    .language_version:
      - 2
      - 0
    .max_flat_workgroup_size: 256
    .name:           _ZN7rocprim17ROCPRIM_400000_NS6detail17trampoline_kernelINS0_14default_configENS1_25partition_config_selectorILNS1_17partition_subalgoE6EsNS0_10empty_typeEbEEZZNS1_14partition_implILS5_6ELb0ES3_mN6thrust23THRUST_200600_302600_NS6detail15normal_iteratorINSA_10device_ptrIsEEEEPS6_SG_NS0_5tupleIJSF_S6_EEENSH_IJSG_SG_EEES6_PlJNSB_9not_fun_tINSB_14equal_to_valueIsEEEEEEE10hipError_tPvRmT3_T4_T5_T6_T7_T9_mT8_P12ihipStream_tbDpT10_ENKUlT_T0_E_clISt17integral_constantIbLb1EES17_IbLb0EEEEDaS13_S14_EUlS13_E_NS1_11comp_targetILNS1_3genE8ELNS1_11target_archE1030ELNS1_3gpuE2ELNS1_3repE0EEENS1_30default_config_static_selectorELNS0_4arch9wavefront6targetE0EEEvT1_
    .private_segment_fixed_size: 0
    .sgpr_count:     0
    .sgpr_spill_count: 0
    .symbol:         _ZN7rocprim17ROCPRIM_400000_NS6detail17trampoline_kernelINS0_14default_configENS1_25partition_config_selectorILNS1_17partition_subalgoE6EsNS0_10empty_typeEbEEZZNS1_14partition_implILS5_6ELb0ES3_mN6thrust23THRUST_200600_302600_NS6detail15normal_iteratorINSA_10device_ptrIsEEEEPS6_SG_NS0_5tupleIJSF_S6_EEENSH_IJSG_SG_EEES6_PlJNSB_9not_fun_tINSB_14equal_to_valueIsEEEEEEE10hipError_tPvRmT3_T4_T5_T6_T7_T9_mT8_P12ihipStream_tbDpT10_ENKUlT_T0_E_clISt17integral_constantIbLb1EES17_IbLb0EEEEDaS13_S14_EUlS13_E_NS1_11comp_targetILNS1_3genE8ELNS1_11target_archE1030ELNS1_3gpuE2ELNS1_3repE0EEENS1_30default_config_static_selectorELNS0_4arch9wavefront6targetE0EEEvT1_.kd
    .uniform_work_group_size: 1
    .uses_dynamic_stack: false
    .vgpr_count:     0
    .vgpr_spill_count: 0
    .wavefront_size: 32
    .workgroup_processor_mode: 1
  - .args:
      - .offset:         0
        .size:           128
        .value_kind:     by_value
    .group_segment_fixed_size: 0
    .kernarg_segment_align: 8
    .kernarg_segment_size: 128
    .language:       OpenCL C
    .language_version:
      - 2
      - 0
    .max_flat_workgroup_size: 256
    .name:           _ZN7rocprim17ROCPRIM_400000_NS6detail17trampoline_kernelINS0_14default_configENS1_25partition_config_selectorILNS1_17partition_subalgoE6EsNS0_10empty_typeEbEEZZNS1_14partition_implILS5_6ELb0ES3_mN6thrust23THRUST_200600_302600_NS6detail15normal_iteratorINSA_10device_ptrIsEEEEPS6_SG_NS0_5tupleIJSF_S6_EEENSH_IJSG_SG_EEES6_PlJNSB_9not_fun_tINSB_14equal_to_valueIsEEEEEEE10hipError_tPvRmT3_T4_T5_T6_T7_T9_mT8_P12ihipStream_tbDpT10_ENKUlT_T0_E_clISt17integral_constantIbLb0EES17_IbLb1EEEEDaS13_S14_EUlS13_E_NS1_11comp_targetILNS1_3genE0ELNS1_11target_archE4294967295ELNS1_3gpuE0ELNS1_3repE0EEENS1_30default_config_static_selectorELNS0_4arch9wavefront6targetE0EEEvT1_
    .private_segment_fixed_size: 0
    .sgpr_count:     0
    .sgpr_spill_count: 0
    .symbol:         _ZN7rocprim17ROCPRIM_400000_NS6detail17trampoline_kernelINS0_14default_configENS1_25partition_config_selectorILNS1_17partition_subalgoE6EsNS0_10empty_typeEbEEZZNS1_14partition_implILS5_6ELb0ES3_mN6thrust23THRUST_200600_302600_NS6detail15normal_iteratorINSA_10device_ptrIsEEEEPS6_SG_NS0_5tupleIJSF_S6_EEENSH_IJSG_SG_EEES6_PlJNSB_9not_fun_tINSB_14equal_to_valueIsEEEEEEE10hipError_tPvRmT3_T4_T5_T6_T7_T9_mT8_P12ihipStream_tbDpT10_ENKUlT_T0_E_clISt17integral_constantIbLb0EES17_IbLb1EEEEDaS13_S14_EUlS13_E_NS1_11comp_targetILNS1_3genE0ELNS1_11target_archE4294967295ELNS1_3gpuE0ELNS1_3repE0EEENS1_30default_config_static_selectorELNS0_4arch9wavefront6targetE0EEEvT1_.kd
    .uniform_work_group_size: 1
    .uses_dynamic_stack: false
    .vgpr_count:     0
    .vgpr_spill_count: 0
    .wavefront_size: 32
    .workgroup_processor_mode: 1
  - .args:
      - .offset:         0
        .size:           128
        .value_kind:     by_value
    .group_segment_fixed_size: 0
    .kernarg_segment_align: 8
    .kernarg_segment_size: 128
    .language:       OpenCL C
    .language_version:
      - 2
      - 0
    .max_flat_workgroup_size: 512
    .name:           _ZN7rocprim17ROCPRIM_400000_NS6detail17trampoline_kernelINS0_14default_configENS1_25partition_config_selectorILNS1_17partition_subalgoE6EsNS0_10empty_typeEbEEZZNS1_14partition_implILS5_6ELb0ES3_mN6thrust23THRUST_200600_302600_NS6detail15normal_iteratorINSA_10device_ptrIsEEEEPS6_SG_NS0_5tupleIJSF_S6_EEENSH_IJSG_SG_EEES6_PlJNSB_9not_fun_tINSB_14equal_to_valueIsEEEEEEE10hipError_tPvRmT3_T4_T5_T6_T7_T9_mT8_P12ihipStream_tbDpT10_ENKUlT_T0_E_clISt17integral_constantIbLb0EES17_IbLb1EEEEDaS13_S14_EUlS13_E_NS1_11comp_targetILNS1_3genE5ELNS1_11target_archE942ELNS1_3gpuE9ELNS1_3repE0EEENS1_30default_config_static_selectorELNS0_4arch9wavefront6targetE0EEEvT1_
    .private_segment_fixed_size: 0
    .sgpr_count:     0
    .sgpr_spill_count: 0
    .symbol:         _ZN7rocprim17ROCPRIM_400000_NS6detail17trampoline_kernelINS0_14default_configENS1_25partition_config_selectorILNS1_17partition_subalgoE6EsNS0_10empty_typeEbEEZZNS1_14partition_implILS5_6ELb0ES3_mN6thrust23THRUST_200600_302600_NS6detail15normal_iteratorINSA_10device_ptrIsEEEEPS6_SG_NS0_5tupleIJSF_S6_EEENSH_IJSG_SG_EEES6_PlJNSB_9not_fun_tINSB_14equal_to_valueIsEEEEEEE10hipError_tPvRmT3_T4_T5_T6_T7_T9_mT8_P12ihipStream_tbDpT10_ENKUlT_T0_E_clISt17integral_constantIbLb0EES17_IbLb1EEEEDaS13_S14_EUlS13_E_NS1_11comp_targetILNS1_3genE5ELNS1_11target_archE942ELNS1_3gpuE9ELNS1_3repE0EEENS1_30default_config_static_selectorELNS0_4arch9wavefront6targetE0EEEvT1_.kd
    .uniform_work_group_size: 1
    .uses_dynamic_stack: false
    .vgpr_count:     0
    .vgpr_spill_count: 0
    .wavefront_size: 32
    .workgroup_processor_mode: 1
  - .args:
      - .offset:         0
        .size:           128
        .value_kind:     by_value
    .group_segment_fixed_size: 0
    .kernarg_segment_align: 8
    .kernarg_segment_size: 128
    .language:       OpenCL C
    .language_version:
      - 2
      - 0
    .max_flat_workgroup_size: 256
    .name:           _ZN7rocprim17ROCPRIM_400000_NS6detail17trampoline_kernelINS0_14default_configENS1_25partition_config_selectorILNS1_17partition_subalgoE6EsNS0_10empty_typeEbEEZZNS1_14partition_implILS5_6ELb0ES3_mN6thrust23THRUST_200600_302600_NS6detail15normal_iteratorINSA_10device_ptrIsEEEEPS6_SG_NS0_5tupleIJSF_S6_EEENSH_IJSG_SG_EEES6_PlJNSB_9not_fun_tINSB_14equal_to_valueIsEEEEEEE10hipError_tPvRmT3_T4_T5_T6_T7_T9_mT8_P12ihipStream_tbDpT10_ENKUlT_T0_E_clISt17integral_constantIbLb0EES17_IbLb1EEEEDaS13_S14_EUlS13_E_NS1_11comp_targetILNS1_3genE4ELNS1_11target_archE910ELNS1_3gpuE8ELNS1_3repE0EEENS1_30default_config_static_selectorELNS0_4arch9wavefront6targetE0EEEvT1_
    .private_segment_fixed_size: 0
    .sgpr_count:     0
    .sgpr_spill_count: 0
    .symbol:         _ZN7rocprim17ROCPRIM_400000_NS6detail17trampoline_kernelINS0_14default_configENS1_25partition_config_selectorILNS1_17partition_subalgoE6EsNS0_10empty_typeEbEEZZNS1_14partition_implILS5_6ELb0ES3_mN6thrust23THRUST_200600_302600_NS6detail15normal_iteratorINSA_10device_ptrIsEEEEPS6_SG_NS0_5tupleIJSF_S6_EEENSH_IJSG_SG_EEES6_PlJNSB_9not_fun_tINSB_14equal_to_valueIsEEEEEEE10hipError_tPvRmT3_T4_T5_T6_T7_T9_mT8_P12ihipStream_tbDpT10_ENKUlT_T0_E_clISt17integral_constantIbLb0EES17_IbLb1EEEEDaS13_S14_EUlS13_E_NS1_11comp_targetILNS1_3genE4ELNS1_11target_archE910ELNS1_3gpuE8ELNS1_3repE0EEENS1_30default_config_static_selectorELNS0_4arch9wavefront6targetE0EEEvT1_.kd
    .uniform_work_group_size: 1
    .uses_dynamic_stack: false
    .vgpr_count:     0
    .vgpr_spill_count: 0
    .wavefront_size: 32
    .workgroup_processor_mode: 1
  - .args:
      - .offset:         0
        .size:           128
        .value_kind:     by_value
    .group_segment_fixed_size: 0
    .kernarg_segment_align: 8
    .kernarg_segment_size: 128
    .language:       OpenCL C
    .language_version:
      - 2
      - 0
    .max_flat_workgroup_size: 256
    .name:           _ZN7rocprim17ROCPRIM_400000_NS6detail17trampoline_kernelINS0_14default_configENS1_25partition_config_selectorILNS1_17partition_subalgoE6EsNS0_10empty_typeEbEEZZNS1_14partition_implILS5_6ELb0ES3_mN6thrust23THRUST_200600_302600_NS6detail15normal_iteratorINSA_10device_ptrIsEEEEPS6_SG_NS0_5tupleIJSF_S6_EEENSH_IJSG_SG_EEES6_PlJNSB_9not_fun_tINSB_14equal_to_valueIsEEEEEEE10hipError_tPvRmT3_T4_T5_T6_T7_T9_mT8_P12ihipStream_tbDpT10_ENKUlT_T0_E_clISt17integral_constantIbLb0EES17_IbLb1EEEEDaS13_S14_EUlS13_E_NS1_11comp_targetILNS1_3genE3ELNS1_11target_archE908ELNS1_3gpuE7ELNS1_3repE0EEENS1_30default_config_static_selectorELNS0_4arch9wavefront6targetE0EEEvT1_
    .private_segment_fixed_size: 0
    .sgpr_count:     0
    .sgpr_spill_count: 0
    .symbol:         _ZN7rocprim17ROCPRIM_400000_NS6detail17trampoline_kernelINS0_14default_configENS1_25partition_config_selectorILNS1_17partition_subalgoE6EsNS0_10empty_typeEbEEZZNS1_14partition_implILS5_6ELb0ES3_mN6thrust23THRUST_200600_302600_NS6detail15normal_iteratorINSA_10device_ptrIsEEEEPS6_SG_NS0_5tupleIJSF_S6_EEENSH_IJSG_SG_EEES6_PlJNSB_9not_fun_tINSB_14equal_to_valueIsEEEEEEE10hipError_tPvRmT3_T4_T5_T6_T7_T9_mT8_P12ihipStream_tbDpT10_ENKUlT_T0_E_clISt17integral_constantIbLb0EES17_IbLb1EEEEDaS13_S14_EUlS13_E_NS1_11comp_targetILNS1_3genE3ELNS1_11target_archE908ELNS1_3gpuE7ELNS1_3repE0EEENS1_30default_config_static_selectorELNS0_4arch9wavefront6targetE0EEEvT1_.kd
    .uniform_work_group_size: 1
    .uses_dynamic_stack: false
    .vgpr_count:     0
    .vgpr_spill_count: 0
    .wavefront_size: 32
    .workgroup_processor_mode: 1
  - .args:
      - .offset:         0
        .size:           128
        .value_kind:     by_value
    .group_segment_fixed_size: 0
    .kernarg_segment_align: 8
    .kernarg_segment_size: 128
    .language:       OpenCL C
    .language_version:
      - 2
      - 0
    .max_flat_workgroup_size: 256
    .name:           _ZN7rocprim17ROCPRIM_400000_NS6detail17trampoline_kernelINS0_14default_configENS1_25partition_config_selectorILNS1_17partition_subalgoE6EsNS0_10empty_typeEbEEZZNS1_14partition_implILS5_6ELb0ES3_mN6thrust23THRUST_200600_302600_NS6detail15normal_iteratorINSA_10device_ptrIsEEEEPS6_SG_NS0_5tupleIJSF_S6_EEENSH_IJSG_SG_EEES6_PlJNSB_9not_fun_tINSB_14equal_to_valueIsEEEEEEE10hipError_tPvRmT3_T4_T5_T6_T7_T9_mT8_P12ihipStream_tbDpT10_ENKUlT_T0_E_clISt17integral_constantIbLb0EES17_IbLb1EEEEDaS13_S14_EUlS13_E_NS1_11comp_targetILNS1_3genE2ELNS1_11target_archE906ELNS1_3gpuE6ELNS1_3repE0EEENS1_30default_config_static_selectorELNS0_4arch9wavefront6targetE0EEEvT1_
    .private_segment_fixed_size: 0
    .sgpr_count:     0
    .sgpr_spill_count: 0
    .symbol:         _ZN7rocprim17ROCPRIM_400000_NS6detail17trampoline_kernelINS0_14default_configENS1_25partition_config_selectorILNS1_17partition_subalgoE6EsNS0_10empty_typeEbEEZZNS1_14partition_implILS5_6ELb0ES3_mN6thrust23THRUST_200600_302600_NS6detail15normal_iteratorINSA_10device_ptrIsEEEEPS6_SG_NS0_5tupleIJSF_S6_EEENSH_IJSG_SG_EEES6_PlJNSB_9not_fun_tINSB_14equal_to_valueIsEEEEEEE10hipError_tPvRmT3_T4_T5_T6_T7_T9_mT8_P12ihipStream_tbDpT10_ENKUlT_T0_E_clISt17integral_constantIbLb0EES17_IbLb1EEEEDaS13_S14_EUlS13_E_NS1_11comp_targetILNS1_3genE2ELNS1_11target_archE906ELNS1_3gpuE6ELNS1_3repE0EEENS1_30default_config_static_selectorELNS0_4arch9wavefront6targetE0EEEvT1_.kd
    .uniform_work_group_size: 1
    .uses_dynamic_stack: false
    .vgpr_count:     0
    .vgpr_spill_count: 0
    .wavefront_size: 32
    .workgroup_processor_mode: 1
  - .args:
      - .offset:         0
        .size:           128
        .value_kind:     by_value
    .group_segment_fixed_size: 13840
    .kernarg_segment_align: 8
    .kernarg_segment_size: 128
    .language:       OpenCL C
    .language_version:
      - 2
      - 0
    .max_flat_workgroup_size: 384
    .name:           _ZN7rocprim17ROCPRIM_400000_NS6detail17trampoline_kernelINS0_14default_configENS1_25partition_config_selectorILNS1_17partition_subalgoE6EsNS0_10empty_typeEbEEZZNS1_14partition_implILS5_6ELb0ES3_mN6thrust23THRUST_200600_302600_NS6detail15normal_iteratorINSA_10device_ptrIsEEEEPS6_SG_NS0_5tupleIJSF_S6_EEENSH_IJSG_SG_EEES6_PlJNSB_9not_fun_tINSB_14equal_to_valueIsEEEEEEE10hipError_tPvRmT3_T4_T5_T6_T7_T9_mT8_P12ihipStream_tbDpT10_ENKUlT_T0_E_clISt17integral_constantIbLb0EES17_IbLb1EEEEDaS13_S14_EUlS13_E_NS1_11comp_targetILNS1_3genE10ELNS1_11target_archE1200ELNS1_3gpuE4ELNS1_3repE0EEENS1_30default_config_static_selectorELNS0_4arch9wavefront6targetE0EEEvT1_
    .private_segment_fixed_size: 0
    .sgpr_count:     33
    .sgpr_spill_count: 0
    .symbol:         _ZN7rocprim17ROCPRIM_400000_NS6detail17trampoline_kernelINS0_14default_configENS1_25partition_config_selectorILNS1_17partition_subalgoE6EsNS0_10empty_typeEbEEZZNS1_14partition_implILS5_6ELb0ES3_mN6thrust23THRUST_200600_302600_NS6detail15normal_iteratorINSA_10device_ptrIsEEEEPS6_SG_NS0_5tupleIJSF_S6_EEENSH_IJSG_SG_EEES6_PlJNSB_9not_fun_tINSB_14equal_to_valueIsEEEEEEE10hipError_tPvRmT3_T4_T5_T6_T7_T9_mT8_P12ihipStream_tbDpT10_ENKUlT_T0_E_clISt17integral_constantIbLb0EES17_IbLb1EEEEDaS13_S14_EUlS13_E_NS1_11comp_targetILNS1_3genE10ELNS1_11target_archE1200ELNS1_3gpuE4ELNS1_3repE0EEENS1_30default_config_static_selectorELNS0_4arch9wavefront6targetE0EEEvT1_.kd
    .uniform_work_group_size: 1
    .uses_dynamic_stack: false
    .vgpr_count:     78
    .vgpr_spill_count: 0
    .wavefront_size: 32
    .workgroup_processor_mode: 1
  - .args:
      - .offset:         0
        .size:           128
        .value_kind:     by_value
    .group_segment_fixed_size: 0
    .kernarg_segment_align: 8
    .kernarg_segment_size: 128
    .language:       OpenCL C
    .language_version:
      - 2
      - 0
    .max_flat_workgroup_size: 128
    .name:           _ZN7rocprim17ROCPRIM_400000_NS6detail17trampoline_kernelINS0_14default_configENS1_25partition_config_selectorILNS1_17partition_subalgoE6EsNS0_10empty_typeEbEEZZNS1_14partition_implILS5_6ELb0ES3_mN6thrust23THRUST_200600_302600_NS6detail15normal_iteratorINSA_10device_ptrIsEEEEPS6_SG_NS0_5tupleIJSF_S6_EEENSH_IJSG_SG_EEES6_PlJNSB_9not_fun_tINSB_14equal_to_valueIsEEEEEEE10hipError_tPvRmT3_T4_T5_T6_T7_T9_mT8_P12ihipStream_tbDpT10_ENKUlT_T0_E_clISt17integral_constantIbLb0EES17_IbLb1EEEEDaS13_S14_EUlS13_E_NS1_11comp_targetILNS1_3genE9ELNS1_11target_archE1100ELNS1_3gpuE3ELNS1_3repE0EEENS1_30default_config_static_selectorELNS0_4arch9wavefront6targetE0EEEvT1_
    .private_segment_fixed_size: 0
    .sgpr_count:     0
    .sgpr_spill_count: 0
    .symbol:         _ZN7rocprim17ROCPRIM_400000_NS6detail17trampoline_kernelINS0_14default_configENS1_25partition_config_selectorILNS1_17partition_subalgoE6EsNS0_10empty_typeEbEEZZNS1_14partition_implILS5_6ELb0ES3_mN6thrust23THRUST_200600_302600_NS6detail15normal_iteratorINSA_10device_ptrIsEEEEPS6_SG_NS0_5tupleIJSF_S6_EEENSH_IJSG_SG_EEES6_PlJNSB_9not_fun_tINSB_14equal_to_valueIsEEEEEEE10hipError_tPvRmT3_T4_T5_T6_T7_T9_mT8_P12ihipStream_tbDpT10_ENKUlT_T0_E_clISt17integral_constantIbLb0EES17_IbLb1EEEEDaS13_S14_EUlS13_E_NS1_11comp_targetILNS1_3genE9ELNS1_11target_archE1100ELNS1_3gpuE3ELNS1_3repE0EEENS1_30default_config_static_selectorELNS0_4arch9wavefront6targetE0EEEvT1_.kd
    .uniform_work_group_size: 1
    .uses_dynamic_stack: false
    .vgpr_count:     0
    .vgpr_spill_count: 0
    .wavefront_size: 32
    .workgroup_processor_mode: 1
  - .args:
      - .offset:         0
        .size:           128
        .value_kind:     by_value
    .group_segment_fixed_size: 0
    .kernarg_segment_align: 8
    .kernarg_segment_size: 128
    .language:       OpenCL C
    .language_version:
      - 2
      - 0
    .max_flat_workgroup_size: 256
    .name:           _ZN7rocprim17ROCPRIM_400000_NS6detail17trampoline_kernelINS0_14default_configENS1_25partition_config_selectorILNS1_17partition_subalgoE6EsNS0_10empty_typeEbEEZZNS1_14partition_implILS5_6ELb0ES3_mN6thrust23THRUST_200600_302600_NS6detail15normal_iteratorINSA_10device_ptrIsEEEEPS6_SG_NS0_5tupleIJSF_S6_EEENSH_IJSG_SG_EEES6_PlJNSB_9not_fun_tINSB_14equal_to_valueIsEEEEEEE10hipError_tPvRmT3_T4_T5_T6_T7_T9_mT8_P12ihipStream_tbDpT10_ENKUlT_T0_E_clISt17integral_constantIbLb0EES17_IbLb1EEEEDaS13_S14_EUlS13_E_NS1_11comp_targetILNS1_3genE8ELNS1_11target_archE1030ELNS1_3gpuE2ELNS1_3repE0EEENS1_30default_config_static_selectorELNS0_4arch9wavefront6targetE0EEEvT1_
    .private_segment_fixed_size: 0
    .sgpr_count:     0
    .sgpr_spill_count: 0
    .symbol:         _ZN7rocprim17ROCPRIM_400000_NS6detail17trampoline_kernelINS0_14default_configENS1_25partition_config_selectorILNS1_17partition_subalgoE6EsNS0_10empty_typeEbEEZZNS1_14partition_implILS5_6ELb0ES3_mN6thrust23THRUST_200600_302600_NS6detail15normal_iteratorINSA_10device_ptrIsEEEEPS6_SG_NS0_5tupleIJSF_S6_EEENSH_IJSG_SG_EEES6_PlJNSB_9not_fun_tINSB_14equal_to_valueIsEEEEEEE10hipError_tPvRmT3_T4_T5_T6_T7_T9_mT8_P12ihipStream_tbDpT10_ENKUlT_T0_E_clISt17integral_constantIbLb0EES17_IbLb1EEEEDaS13_S14_EUlS13_E_NS1_11comp_targetILNS1_3genE8ELNS1_11target_archE1030ELNS1_3gpuE2ELNS1_3repE0EEENS1_30default_config_static_selectorELNS0_4arch9wavefront6targetE0EEEvT1_.kd
    .uniform_work_group_size: 1
    .uses_dynamic_stack: false
    .vgpr_count:     0
    .vgpr_spill_count: 0
    .wavefront_size: 32
    .workgroup_processor_mode: 1
  - .args:
      - .offset:         0
        .size:           112
        .value_kind:     by_value
    .group_segment_fixed_size: 0
    .kernarg_segment_align: 8
    .kernarg_segment_size: 112
    .language:       OpenCL C
    .language_version:
      - 2
      - 0
    .max_flat_workgroup_size: 128
    .name:           _ZN7rocprim17ROCPRIM_400000_NS6detail17trampoline_kernelINS0_14default_configENS1_25partition_config_selectorILNS1_17partition_subalgoE6EdNS0_10empty_typeEbEEZZNS1_14partition_implILS5_6ELb0ES3_mN6thrust23THRUST_200600_302600_NS6detail15normal_iteratorINSA_10device_ptrIdEEEEPS6_SG_NS0_5tupleIJSF_S6_EEENSH_IJSG_SG_EEES6_PlJNSB_9not_fun_tI7is_evenIdEEEEEE10hipError_tPvRmT3_T4_T5_T6_T7_T9_mT8_P12ihipStream_tbDpT10_ENKUlT_T0_E_clISt17integral_constantIbLb0EES18_EEDaS13_S14_EUlS13_E_NS1_11comp_targetILNS1_3genE0ELNS1_11target_archE4294967295ELNS1_3gpuE0ELNS1_3repE0EEENS1_30default_config_static_selectorELNS0_4arch9wavefront6targetE0EEEvT1_
    .private_segment_fixed_size: 0
    .sgpr_count:     0
    .sgpr_spill_count: 0
    .symbol:         _ZN7rocprim17ROCPRIM_400000_NS6detail17trampoline_kernelINS0_14default_configENS1_25partition_config_selectorILNS1_17partition_subalgoE6EdNS0_10empty_typeEbEEZZNS1_14partition_implILS5_6ELb0ES3_mN6thrust23THRUST_200600_302600_NS6detail15normal_iteratorINSA_10device_ptrIdEEEEPS6_SG_NS0_5tupleIJSF_S6_EEENSH_IJSG_SG_EEES6_PlJNSB_9not_fun_tI7is_evenIdEEEEEE10hipError_tPvRmT3_T4_T5_T6_T7_T9_mT8_P12ihipStream_tbDpT10_ENKUlT_T0_E_clISt17integral_constantIbLb0EES18_EEDaS13_S14_EUlS13_E_NS1_11comp_targetILNS1_3genE0ELNS1_11target_archE4294967295ELNS1_3gpuE0ELNS1_3repE0EEENS1_30default_config_static_selectorELNS0_4arch9wavefront6targetE0EEEvT1_.kd
    .uniform_work_group_size: 1
    .uses_dynamic_stack: false
    .vgpr_count:     0
    .vgpr_spill_count: 0
    .wavefront_size: 32
    .workgroup_processor_mode: 1
  - .args:
      - .offset:         0
        .size:           112
        .value_kind:     by_value
    .group_segment_fixed_size: 0
    .kernarg_segment_align: 8
    .kernarg_segment_size: 112
    .language:       OpenCL C
    .language_version:
      - 2
      - 0
    .max_flat_workgroup_size: 512
    .name:           _ZN7rocprim17ROCPRIM_400000_NS6detail17trampoline_kernelINS0_14default_configENS1_25partition_config_selectorILNS1_17partition_subalgoE6EdNS0_10empty_typeEbEEZZNS1_14partition_implILS5_6ELb0ES3_mN6thrust23THRUST_200600_302600_NS6detail15normal_iteratorINSA_10device_ptrIdEEEEPS6_SG_NS0_5tupleIJSF_S6_EEENSH_IJSG_SG_EEES6_PlJNSB_9not_fun_tI7is_evenIdEEEEEE10hipError_tPvRmT3_T4_T5_T6_T7_T9_mT8_P12ihipStream_tbDpT10_ENKUlT_T0_E_clISt17integral_constantIbLb0EES18_EEDaS13_S14_EUlS13_E_NS1_11comp_targetILNS1_3genE5ELNS1_11target_archE942ELNS1_3gpuE9ELNS1_3repE0EEENS1_30default_config_static_selectorELNS0_4arch9wavefront6targetE0EEEvT1_
    .private_segment_fixed_size: 0
    .sgpr_count:     0
    .sgpr_spill_count: 0
    .symbol:         _ZN7rocprim17ROCPRIM_400000_NS6detail17trampoline_kernelINS0_14default_configENS1_25partition_config_selectorILNS1_17partition_subalgoE6EdNS0_10empty_typeEbEEZZNS1_14partition_implILS5_6ELb0ES3_mN6thrust23THRUST_200600_302600_NS6detail15normal_iteratorINSA_10device_ptrIdEEEEPS6_SG_NS0_5tupleIJSF_S6_EEENSH_IJSG_SG_EEES6_PlJNSB_9not_fun_tI7is_evenIdEEEEEE10hipError_tPvRmT3_T4_T5_T6_T7_T9_mT8_P12ihipStream_tbDpT10_ENKUlT_T0_E_clISt17integral_constantIbLb0EES18_EEDaS13_S14_EUlS13_E_NS1_11comp_targetILNS1_3genE5ELNS1_11target_archE942ELNS1_3gpuE9ELNS1_3repE0EEENS1_30default_config_static_selectorELNS0_4arch9wavefront6targetE0EEEvT1_.kd
    .uniform_work_group_size: 1
    .uses_dynamic_stack: false
    .vgpr_count:     0
    .vgpr_spill_count: 0
    .wavefront_size: 32
    .workgroup_processor_mode: 1
  - .args:
      - .offset:         0
        .size:           112
        .value_kind:     by_value
    .group_segment_fixed_size: 0
    .kernarg_segment_align: 8
    .kernarg_segment_size: 112
    .language:       OpenCL C
    .language_version:
      - 2
      - 0
    .max_flat_workgroup_size: 128
    .name:           _ZN7rocprim17ROCPRIM_400000_NS6detail17trampoline_kernelINS0_14default_configENS1_25partition_config_selectorILNS1_17partition_subalgoE6EdNS0_10empty_typeEbEEZZNS1_14partition_implILS5_6ELb0ES3_mN6thrust23THRUST_200600_302600_NS6detail15normal_iteratorINSA_10device_ptrIdEEEEPS6_SG_NS0_5tupleIJSF_S6_EEENSH_IJSG_SG_EEES6_PlJNSB_9not_fun_tI7is_evenIdEEEEEE10hipError_tPvRmT3_T4_T5_T6_T7_T9_mT8_P12ihipStream_tbDpT10_ENKUlT_T0_E_clISt17integral_constantIbLb0EES18_EEDaS13_S14_EUlS13_E_NS1_11comp_targetILNS1_3genE4ELNS1_11target_archE910ELNS1_3gpuE8ELNS1_3repE0EEENS1_30default_config_static_selectorELNS0_4arch9wavefront6targetE0EEEvT1_
    .private_segment_fixed_size: 0
    .sgpr_count:     0
    .sgpr_spill_count: 0
    .symbol:         _ZN7rocprim17ROCPRIM_400000_NS6detail17trampoline_kernelINS0_14default_configENS1_25partition_config_selectorILNS1_17partition_subalgoE6EdNS0_10empty_typeEbEEZZNS1_14partition_implILS5_6ELb0ES3_mN6thrust23THRUST_200600_302600_NS6detail15normal_iteratorINSA_10device_ptrIdEEEEPS6_SG_NS0_5tupleIJSF_S6_EEENSH_IJSG_SG_EEES6_PlJNSB_9not_fun_tI7is_evenIdEEEEEE10hipError_tPvRmT3_T4_T5_T6_T7_T9_mT8_P12ihipStream_tbDpT10_ENKUlT_T0_E_clISt17integral_constantIbLb0EES18_EEDaS13_S14_EUlS13_E_NS1_11comp_targetILNS1_3genE4ELNS1_11target_archE910ELNS1_3gpuE8ELNS1_3repE0EEENS1_30default_config_static_selectorELNS0_4arch9wavefront6targetE0EEEvT1_.kd
    .uniform_work_group_size: 1
    .uses_dynamic_stack: false
    .vgpr_count:     0
    .vgpr_spill_count: 0
    .wavefront_size: 32
    .workgroup_processor_mode: 1
  - .args:
      - .offset:         0
        .size:           112
        .value_kind:     by_value
    .group_segment_fixed_size: 0
    .kernarg_segment_align: 8
    .kernarg_segment_size: 112
    .language:       OpenCL C
    .language_version:
      - 2
      - 0
    .max_flat_workgroup_size: 128
    .name:           _ZN7rocprim17ROCPRIM_400000_NS6detail17trampoline_kernelINS0_14default_configENS1_25partition_config_selectorILNS1_17partition_subalgoE6EdNS0_10empty_typeEbEEZZNS1_14partition_implILS5_6ELb0ES3_mN6thrust23THRUST_200600_302600_NS6detail15normal_iteratorINSA_10device_ptrIdEEEEPS6_SG_NS0_5tupleIJSF_S6_EEENSH_IJSG_SG_EEES6_PlJNSB_9not_fun_tI7is_evenIdEEEEEE10hipError_tPvRmT3_T4_T5_T6_T7_T9_mT8_P12ihipStream_tbDpT10_ENKUlT_T0_E_clISt17integral_constantIbLb0EES18_EEDaS13_S14_EUlS13_E_NS1_11comp_targetILNS1_3genE3ELNS1_11target_archE908ELNS1_3gpuE7ELNS1_3repE0EEENS1_30default_config_static_selectorELNS0_4arch9wavefront6targetE0EEEvT1_
    .private_segment_fixed_size: 0
    .sgpr_count:     0
    .sgpr_spill_count: 0
    .symbol:         _ZN7rocprim17ROCPRIM_400000_NS6detail17trampoline_kernelINS0_14default_configENS1_25partition_config_selectorILNS1_17partition_subalgoE6EdNS0_10empty_typeEbEEZZNS1_14partition_implILS5_6ELb0ES3_mN6thrust23THRUST_200600_302600_NS6detail15normal_iteratorINSA_10device_ptrIdEEEEPS6_SG_NS0_5tupleIJSF_S6_EEENSH_IJSG_SG_EEES6_PlJNSB_9not_fun_tI7is_evenIdEEEEEE10hipError_tPvRmT3_T4_T5_T6_T7_T9_mT8_P12ihipStream_tbDpT10_ENKUlT_T0_E_clISt17integral_constantIbLb0EES18_EEDaS13_S14_EUlS13_E_NS1_11comp_targetILNS1_3genE3ELNS1_11target_archE908ELNS1_3gpuE7ELNS1_3repE0EEENS1_30default_config_static_selectorELNS0_4arch9wavefront6targetE0EEEvT1_.kd
    .uniform_work_group_size: 1
    .uses_dynamic_stack: false
    .vgpr_count:     0
    .vgpr_spill_count: 0
    .wavefront_size: 32
    .workgroup_processor_mode: 1
  - .args:
      - .offset:         0
        .size:           112
        .value_kind:     by_value
    .group_segment_fixed_size: 0
    .kernarg_segment_align: 8
    .kernarg_segment_size: 112
    .language:       OpenCL C
    .language_version:
      - 2
      - 0
    .max_flat_workgroup_size: 256
    .name:           _ZN7rocprim17ROCPRIM_400000_NS6detail17trampoline_kernelINS0_14default_configENS1_25partition_config_selectorILNS1_17partition_subalgoE6EdNS0_10empty_typeEbEEZZNS1_14partition_implILS5_6ELb0ES3_mN6thrust23THRUST_200600_302600_NS6detail15normal_iteratorINSA_10device_ptrIdEEEEPS6_SG_NS0_5tupleIJSF_S6_EEENSH_IJSG_SG_EEES6_PlJNSB_9not_fun_tI7is_evenIdEEEEEE10hipError_tPvRmT3_T4_T5_T6_T7_T9_mT8_P12ihipStream_tbDpT10_ENKUlT_T0_E_clISt17integral_constantIbLb0EES18_EEDaS13_S14_EUlS13_E_NS1_11comp_targetILNS1_3genE2ELNS1_11target_archE906ELNS1_3gpuE6ELNS1_3repE0EEENS1_30default_config_static_selectorELNS0_4arch9wavefront6targetE0EEEvT1_
    .private_segment_fixed_size: 0
    .sgpr_count:     0
    .sgpr_spill_count: 0
    .symbol:         _ZN7rocprim17ROCPRIM_400000_NS6detail17trampoline_kernelINS0_14default_configENS1_25partition_config_selectorILNS1_17partition_subalgoE6EdNS0_10empty_typeEbEEZZNS1_14partition_implILS5_6ELb0ES3_mN6thrust23THRUST_200600_302600_NS6detail15normal_iteratorINSA_10device_ptrIdEEEEPS6_SG_NS0_5tupleIJSF_S6_EEENSH_IJSG_SG_EEES6_PlJNSB_9not_fun_tI7is_evenIdEEEEEE10hipError_tPvRmT3_T4_T5_T6_T7_T9_mT8_P12ihipStream_tbDpT10_ENKUlT_T0_E_clISt17integral_constantIbLb0EES18_EEDaS13_S14_EUlS13_E_NS1_11comp_targetILNS1_3genE2ELNS1_11target_archE906ELNS1_3gpuE6ELNS1_3repE0EEENS1_30default_config_static_selectorELNS0_4arch9wavefront6targetE0EEEvT1_.kd
    .uniform_work_group_size: 1
    .uses_dynamic_stack: false
    .vgpr_count:     0
    .vgpr_spill_count: 0
    .wavefront_size: 32
    .workgroup_processor_mode: 1
  - .args:
      - .offset:         0
        .size:           112
        .value_kind:     by_value
    .group_segment_fixed_size: 8464
    .kernarg_segment_align: 8
    .kernarg_segment_size: 112
    .language:       OpenCL C
    .language_version:
      - 2
      - 0
    .max_flat_workgroup_size: 256
    .name:           _ZN7rocprim17ROCPRIM_400000_NS6detail17trampoline_kernelINS0_14default_configENS1_25partition_config_selectorILNS1_17partition_subalgoE6EdNS0_10empty_typeEbEEZZNS1_14partition_implILS5_6ELb0ES3_mN6thrust23THRUST_200600_302600_NS6detail15normal_iteratorINSA_10device_ptrIdEEEEPS6_SG_NS0_5tupleIJSF_S6_EEENSH_IJSG_SG_EEES6_PlJNSB_9not_fun_tI7is_evenIdEEEEEE10hipError_tPvRmT3_T4_T5_T6_T7_T9_mT8_P12ihipStream_tbDpT10_ENKUlT_T0_E_clISt17integral_constantIbLb0EES18_EEDaS13_S14_EUlS13_E_NS1_11comp_targetILNS1_3genE10ELNS1_11target_archE1200ELNS1_3gpuE4ELNS1_3repE0EEENS1_30default_config_static_selectorELNS0_4arch9wavefront6targetE0EEEvT1_
    .private_segment_fixed_size: 0
    .sgpr_count:     24
    .sgpr_spill_count: 0
    .symbol:         _ZN7rocprim17ROCPRIM_400000_NS6detail17trampoline_kernelINS0_14default_configENS1_25partition_config_selectorILNS1_17partition_subalgoE6EdNS0_10empty_typeEbEEZZNS1_14partition_implILS5_6ELb0ES3_mN6thrust23THRUST_200600_302600_NS6detail15normal_iteratorINSA_10device_ptrIdEEEEPS6_SG_NS0_5tupleIJSF_S6_EEENSH_IJSG_SG_EEES6_PlJNSB_9not_fun_tI7is_evenIdEEEEEE10hipError_tPvRmT3_T4_T5_T6_T7_T9_mT8_P12ihipStream_tbDpT10_ENKUlT_T0_E_clISt17integral_constantIbLb0EES18_EEDaS13_S14_EUlS13_E_NS1_11comp_targetILNS1_3genE10ELNS1_11target_archE1200ELNS1_3gpuE4ELNS1_3repE0EEENS1_30default_config_static_selectorELNS0_4arch9wavefront6targetE0EEEvT1_.kd
    .uniform_work_group_size: 1
    .uses_dynamic_stack: false
    .vgpr_count:     47
    .vgpr_spill_count: 0
    .wavefront_size: 32
    .workgroup_processor_mode: 1
  - .args:
      - .offset:         0
        .size:           112
        .value_kind:     by_value
    .group_segment_fixed_size: 0
    .kernarg_segment_align: 8
    .kernarg_segment_size: 112
    .language:       OpenCL C
    .language_version:
      - 2
      - 0
    .max_flat_workgroup_size: 384
    .name:           _ZN7rocprim17ROCPRIM_400000_NS6detail17trampoline_kernelINS0_14default_configENS1_25partition_config_selectorILNS1_17partition_subalgoE6EdNS0_10empty_typeEbEEZZNS1_14partition_implILS5_6ELb0ES3_mN6thrust23THRUST_200600_302600_NS6detail15normal_iteratorINSA_10device_ptrIdEEEEPS6_SG_NS0_5tupleIJSF_S6_EEENSH_IJSG_SG_EEES6_PlJNSB_9not_fun_tI7is_evenIdEEEEEE10hipError_tPvRmT3_T4_T5_T6_T7_T9_mT8_P12ihipStream_tbDpT10_ENKUlT_T0_E_clISt17integral_constantIbLb0EES18_EEDaS13_S14_EUlS13_E_NS1_11comp_targetILNS1_3genE9ELNS1_11target_archE1100ELNS1_3gpuE3ELNS1_3repE0EEENS1_30default_config_static_selectorELNS0_4arch9wavefront6targetE0EEEvT1_
    .private_segment_fixed_size: 0
    .sgpr_count:     0
    .sgpr_spill_count: 0
    .symbol:         _ZN7rocprim17ROCPRIM_400000_NS6detail17trampoline_kernelINS0_14default_configENS1_25partition_config_selectorILNS1_17partition_subalgoE6EdNS0_10empty_typeEbEEZZNS1_14partition_implILS5_6ELb0ES3_mN6thrust23THRUST_200600_302600_NS6detail15normal_iteratorINSA_10device_ptrIdEEEEPS6_SG_NS0_5tupleIJSF_S6_EEENSH_IJSG_SG_EEES6_PlJNSB_9not_fun_tI7is_evenIdEEEEEE10hipError_tPvRmT3_T4_T5_T6_T7_T9_mT8_P12ihipStream_tbDpT10_ENKUlT_T0_E_clISt17integral_constantIbLb0EES18_EEDaS13_S14_EUlS13_E_NS1_11comp_targetILNS1_3genE9ELNS1_11target_archE1100ELNS1_3gpuE3ELNS1_3repE0EEENS1_30default_config_static_selectorELNS0_4arch9wavefront6targetE0EEEvT1_.kd
    .uniform_work_group_size: 1
    .uses_dynamic_stack: false
    .vgpr_count:     0
    .vgpr_spill_count: 0
    .wavefront_size: 32
    .workgroup_processor_mode: 1
  - .args:
      - .offset:         0
        .size:           112
        .value_kind:     by_value
    .group_segment_fixed_size: 0
    .kernarg_segment_align: 8
    .kernarg_segment_size: 112
    .language:       OpenCL C
    .language_version:
      - 2
      - 0
    .max_flat_workgroup_size: 512
    .name:           _ZN7rocprim17ROCPRIM_400000_NS6detail17trampoline_kernelINS0_14default_configENS1_25partition_config_selectorILNS1_17partition_subalgoE6EdNS0_10empty_typeEbEEZZNS1_14partition_implILS5_6ELb0ES3_mN6thrust23THRUST_200600_302600_NS6detail15normal_iteratorINSA_10device_ptrIdEEEEPS6_SG_NS0_5tupleIJSF_S6_EEENSH_IJSG_SG_EEES6_PlJNSB_9not_fun_tI7is_evenIdEEEEEE10hipError_tPvRmT3_T4_T5_T6_T7_T9_mT8_P12ihipStream_tbDpT10_ENKUlT_T0_E_clISt17integral_constantIbLb0EES18_EEDaS13_S14_EUlS13_E_NS1_11comp_targetILNS1_3genE8ELNS1_11target_archE1030ELNS1_3gpuE2ELNS1_3repE0EEENS1_30default_config_static_selectorELNS0_4arch9wavefront6targetE0EEEvT1_
    .private_segment_fixed_size: 0
    .sgpr_count:     0
    .sgpr_spill_count: 0
    .symbol:         _ZN7rocprim17ROCPRIM_400000_NS6detail17trampoline_kernelINS0_14default_configENS1_25partition_config_selectorILNS1_17partition_subalgoE6EdNS0_10empty_typeEbEEZZNS1_14partition_implILS5_6ELb0ES3_mN6thrust23THRUST_200600_302600_NS6detail15normal_iteratorINSA_10device_ptrIdEEEEPS6_SG_NS0_5tupleIJSF_S6_EEENSH_IJSG_SG_EEES6_PlJNSB_9not_fun_tI7is_evenIdEEEEEE10hipError_tPvRmT3_T4_T5_T6_T7_T9_mT8_P12ihipStream_tbDpT10_ENKUlT_T0_E_clISt17integral_constantIbLb0EES18_EEDaS13_S14_EUlS13_E_NS1_11comp_targetILNS1_3genE8ELNS1_11target_archE1030ELNS1_3gpuE2ELNS1_3repE0EEENS1_30default_config_static_selectorELNS0_4arch9wavefront6targetE0EEEvT1_.kd
    .uniform_work_group_size: 1
    .uses_dynamic_stack: false
    .vgpr_count:     0
    .vgpr_spill_count: 0
    .wavefront_size: 32
    .workgroup_processor_mode: 1
  - .args:
      - .offset:         0
        .size:           128
        .value_kind:     by_value
    .group_segment_fixed_size: 0
    .kernarg_segment_align: 8
    .kernarg_segment_size: 128
    .language:       OpenCL C
    .language_version:
      - 2
      - 0
    .max_flat_workgroup_size: 128
    .name:           _ZN7rocprim17ROCPRIM_400000_NS6detail17trampoline_kernelINS0_14default_configENS1_25partition_config_selectorILNS1_17partition_subalgoE6EdNS0_10empty_typeEbEEZZNS1_14partition_implILS5_6ELb0ES3_mN6thrust23THRUST_200600_302600_NS6detail15normal_iteratorINSA_10device_ptrIdEEEEPS6_SG_NS0_5tupleIJSF_S6_EEENSH_IJSG_SG_EEES6_PlJNSB_9not_fun_tI7is_evenIdEEEEEE10hipError_tPvRmT3_T4_T5_T6_T7_T9_mT8_P12ihipStream_tbDpT10_ENKUlT_T0_E_clISt17integral_constantIbLb1EES18_EEDaS13_S14_EUlS13_E_NS1_11comp_targetILNS1_3genE0ELNS1_11target_archE4294967295ELNS1_3gpuE0ELNS1_3repE0EEENS1_30default_config_static_selectorELNS0_4arch9wavefront6targetE0EEEvT1_
    .private_segment_fixed_size: 0
    .sgpr_count:     0
    .sgpr_spill_count: 0
    .symbol:         _ZN7rocprim17ROCPRIM_400000_NS6detail17trampoline_kernelINS0_14default_configENS1_25partition_config_selectorILNS1_17partition_subalgoE6EdNS0_10empty_typeEbEEZZNS1_14partition_implILS5_6ELb0ES3_mN6thrust23THRUST_200600_302600_NS6detail15normal_iteratorINSA_10device_ptrIdEEEEPS6_SG_NS0_5tupleIJSF_S6_EEENSH_IJSG_SG_EEES6_PlJNSB_9not_fun_tI7is_evenIdEEEEEE10hipError_tPvRmT3_T4_T5_T6_T7_T9_mT8_P12ihipStream_tbDpT10_ENKUlT_T0_E_clISt17integral_constantIbLb1EES18_EEDaS13_S14_EUlS13_E_NS1_11comp_targetILNS1_3genE0ELNS1_11target_archE4294967295ELNS1_3gpuE0ELNS1_3repE0EEENS1_30default_config_static_selectorELNS0_4arch9wavefront6targetE0EEEvT1_.kd
    .uniform_work_group_size: 1
    .uses_dynamic_stack: false
    .vgpr_count:     0
    .vgpr_spill_count: 0
    .wavefront_size: 32
    .workgroup_processor_mode: 1
  - .args:
      - .offset:         0
        .size:           128
        .value_kind:     by_value
    .group_segment_fixed_size: 0
    .kernarg_segment_align: 8
    .kernarg_segment_size: 128
    .language:       OpenCL C
    .language_version:
      - 2
      - 0
    .max_flat_workgroup_size: 512
    .name:           _ZN7rocprim17ROCPRIM_400000_NS6detail17trampoline_kernelINS0_14default_configENS1_25partition_config_selectorILNS1_17partition_subalgoE6EdNS0_10empty_typeEbEEZZNS1_14partition_implILS5_6ELb0ES3_mN6thrust23THRUST_200600_302600_NS6detail15normal_iteratorINSA_10device_ptrIdEEEEPS6_SG_NS0_5tupleIJSF_S6_EEENSH_IJSG_SG_EEES6_PlJNSB_9not_fun_tI7is_evenIdEEEEEE10hipError_tPvRmT3_T4_T5_T6_T7_T9_mT8_P12ihipStream_tbDpT10_ENKUlT_T0_E_clISt17integral_constantIbLb1EES18_EEDaS13_S14_EUlS13_E_NS1_11comp_targetILNS1_3genE5ELNS1_11target_archE942ELNS1_3gpuE9ELNS1_3repE0EEENS1_30default_config_static_selectorELNS0_4arch9wavefront6targetE0EEEvT1_
    .private_segment_fixed_size: 0
    .sgpr_count:     0
    .sgpr_spill_count: 0
    .symbol:         _ZN7rocprim17ROCPRIM_400000_NS6detail17trampoline_kernelINS0_14default_configENS1_25partition_config_selectorILNS1_17partition_subalgoE6EdNS0_10empty_typeEbEEZZNS1_14partition_implILS5_6ELb0ES3_mN6thrust23THRUST_200600_302600_NS6detail15normal_iteratorINSA_10device_ptrIdEEEEPS6_SG_NS0_5tupleIJSF_S6_EEENSH_IJSG_SG_EEES6_PlJNSB_9not_fun_tI7is_evenIdEEEEEE10hipError_tPvRmT3_T4_T5_T6_T7_T9_mT8_P12ihipStream_tbDpT10_ENKUlT_T0_E_clISt17integral_constantIbLb1EES18_EEDaS13_S14_EUlS13_E_NS1_11comp_targetILNS1_3genE5ELNS1_11target_archE942ELNS1_3gpuE9ELNS1_3repE0EEENS1_30default_config_static_selectorELNS0_4arch9wavefront6targetE0EEEvT1_.kd
    .uniform_work_group_size: 1
    .uses_dynamic_stack: false
    .vgpr_count:     0
    .vgpr_spill_count: 0
    .wavefront_size: 32
    .workgroup_processor_mode: 1
  - .args:
      - .offset:         0
        .size:           128
        .value_kind:     by_value
    .group_segment_fixed_size: 0
    .kernarg_segment_align: 8
    .kernarg_segment_size: 128
    .language:       OpenCL C
    .language_version:
      - 2
      - 0
    .max_flat_workgroup_size: 128
    .name:           _ZN7rocprim17ROCPRIM_400000_NS6detail17trampoline_kernelINS0_14default_configENS1_25partition_config_selectorILNS1_17partition_subalgoE6EdNS0_10empty_typeEbEEZZNS1_14partition_implILS5_6ELb0ES3_mN6thrust23THRUST_200600_302600_NS6detail15normal_iteratorINSA_10device_ptrIdEEEEPS6_SG_NS0_5tupleIJSF_S6_EEENSH_IJSG_SG_EEES6_PlJNSB_9not_fun_tI7is_evenIdEEEEEE10hipError_tPvRmT3_T4_T5_T6_T7_T9_mT8_P12ihipStream_tbDpT10_ENKUlT_T0_E_clISt17integral_constantIbLb1EES18_EEDaS13_S14_EUlS13_E_NS1_11comp_targetILNS1_3genE4ELNS1_11target_archE910ELNS1_3gpuE8ELNS1_3repE0EEENS1_30default_config_static_selectorELNS0_4arch9wavefront6targetE0EEEvT1_
    .private_segment_fixed_size: 0
    .sgpr_count:     0
    .sgpr_spill_count: 0
    .symbol:         _ZN7rocprim17ROCPRIM_400000_NS6detail17trampoline_kernelINS0_14default_configENS1_25partition_config_selectorILNS1_17partition_subalgoE6EdNS0_10empty_typeEbEEZZNS1_14partition_implILS5_6ELb0ES3_mN6thrust23THRUST_200600_302600_NS6detail15normal_iteratorINSA_10device_ptrIdEEEEPS6_SG_NS0_5tupleIJSF_S6_EEENSH_IJSG_SG_EEES6_PlJNSB_9not_fun_tI7is_evenIdEEEEEE10hipError_tPvRmT3_T4_T5_T6_T7_T9_mT8_P12ihipStream_tbDpT10_ENKUlT_T0_E_clISt17integral_constantIbLb1EES18_EEDaS13_S14_EUlS13_E_NS1_11comp_targetILNS1_3genE4ELNS1_11target_archE910ELNS1_3gpuE8ELNS1_3repE0EEENS1_30default_config_static_selectorELNS0_4arch9wavefront6targetE0EEEvT1_.kd
    .uniform_work_group_size: 1
    .uses_dynamic_stack: false
    .vgpr_count:     0
    .vgpr_spill_count: 0
    .wavefront_size: 32
    .workgroup_processor_mode: 1
  - .args:
      - .offset:         0
        .size:           128
        .value_kind:     by_value
    .group_segment_fixed_size: 0
    .kernarg_segment_align: 8
    .kernarg_segment_size: 128
    .language:       OpenCL C
    .language_version:
      - 2
      - 0
    .max_flat_workgroup_size: 128
    .name:           _ZN7rocprim17ROCPRIM_400000_NS6detail17trampoline_kernelINS0_14default_configENS1_25partition_config_selectorILNS1_17partition_subalgoE6EdNS0_10empty_typeEbEEZZNS1_14partition_implILS5_6ELb0ES3_mN6thrust23THRUST_200600_302600_NS6detail15normal_iteratorINSA_10device_ptrIdEEEEPS6_SG_NS0_5tupleIJSF_S6_EEENSH_IJSG_SG_EEES6_PlJNSB_9not_fun_tI7is_evenIdEEEEEE10hipError_tPvRmT3_T4_T5_T6_T7_T9_mT8_P12ihipStream_tbDpT10_ENKUlT_T0_E_clISt17integral_constantIbLb1EES18_EEDaS13_S14_EUlS13_E_NS1_11comp_targetILNS1_3genE3ELNS1_11target_archE908ELNS1_3gpuE7ELNS1_3repE0EEENS1_30default_config_static_selectorELNS0_4arch9wavefront6targetE0EEEvT1_
    .private_segment_fixed_size: 0
    .sgpr_count:     0
    .sgpr_spill_count: 0
    .symbol:         _ZN7rocprim17ROCPRIM_400000_NS6detail17trampoline_kernelINS0_14default_configENS1_25partition_config_selectorILNS1_17partition_subalgoE6EdNS0_10empty_typeEbEEZZNS1_14partition_implILS5_6ELb0ES3_mN6thrust23THRUST_200600_302600_NS6detail15normal_iteratorINSA_10device_ptrIdEEEEPS6_SG_NS0_5tupleIJSF_S6_EEENSH_IJSG_SG_EEES6_PlJNSB_9not_fun_tI7is_evenIdEEEEEE10hipError_tPvRmT3_T4_T5_T6_T7_T9_mT8_P12ihipStream_tbDpT10_ENKUlT_T0_E_clISt17integral_constantIbLb1EES18_EEDaS13_S14_EUlS13_E_NS1_11comp_targetILNS1_3genE3ELNS1_11target_archE908ELNS1_3gpuE7ELNS1_3repE0EEENS1_30default_config_static_selectorELNS0_4arch9wavefront6targetE0EEEvT1_.kd
    .uniform_work_group_size: 1
    .uses_dynamic_stack: false
    .vgpr_count:     0
    .vgpr_spill_count: 0
    .wavefront_size: 32
    .workgroup_processor_mode: 1
  - .args:
      - .offset:         0
        .size:           128
        .value_kind:     by_value
    .group_segment_fixed_size: 0
    .kernarg_segment_align: 8
    .kernarg_segment_size: 128
    .language:       OpenCL C
    .language_version:
      - 2
      - 0
    .max_flat_workgroup_size: 256
    .name:           _ZN7rocprim17ROCPRIM_400000_NS6detail17trampoline_kernelINS0_14default_configENS1_25partition_config_selectorILNS1_17partition_subalgoE6EdNS0_10empty_typeEbEEZZNS1_14partition_implILS5_6ELb0ES3_mN6thrust23THRUST_200600_302600_NS6detail15normal_iteratorINSA_10device_ptrIdEEEEPS6_SG_NS0_5tupleIJSF_S6_EEENSH_IJSG_SG_EEES6_PlJNSB_9not_fun_tI7is_evenIdEEEEEE10hipError_tPvRmT3_T4_T5_T6_T7_T9_mT8_P12ihipStream_tbDpT10_ENKUlT_T0_E_clISt17integral_constantIbLb1EES18_EEDaS13_S14_EUlS13_E_NS1_11comp_targetILNS1_3genE2ELNS1_11target_archE906ELNS1_3gpuE6ELNS1_3repE0EEENS1_30default_config_static_selectorELNS0_4arch9wavefront6targetE0EEEvT1_
    .private_segment_fixed_size: 0
    .sgpr_count:     0
    .sgpr_spill_count: 0
    .symbol:         _ZN7rocprim17ROCPRIM_400000_NS6detail17trampoline_kernelINS0_14default_configENS1_25partition_config_selectorILNS1_17partition_subalgoE6EdNS0_10empty_typeEbEEZZNS1_14partition_implILS5_6ELb0ES3_mN6thrust23THRUST_200600_302600_NS6detail15normal_iteratorINSA_10device_ptrIdEEEEPS6_SG_NS0_5tupleIJSF_S6_EEENSH_IJSG_SG_EEES6_PlJNSB_9not_fun_tI7is_evenIdEEEEEE10hipError_tPvRmT3_T4_T5_T6_T7_T9_mT8_P12ihipStream_tbDpT10_ENKUlT_T0_E_clISt17integral_constantIbLb1EES18_EEDaS13_S14_EUlS13_E_NS1_11comp_targetILNS1_3genE2ELNS1_11target_archE906ELNS1_3gpuE6ELNS1_3repE0EEENS1_30default_config_static_selectorELNS0_4arch9wavefront6targetE0EEEvT1_.kd
    .uniform_work_group_size: 1
    .uses_dynamic_stack: false
    .vgpr_count:     0
    .vgpr_spill_count: 0
    .wavefront_size: 32
    .workgroup_processor_mode: 1
  - .args:
      - .offset:         0
        .size:           128
        .value_kind:     by_value
    .group_segment_fixed_size: 0
    .kernarg_segment_align: 8
    .kernarg_segment_size: 128
    .language:       OpenCL C
    .language_version:
      - 2
      - 0
    .max_flat_workgroup_size: 256
    .name:           _ZN7rocprim17ROCPRIM_400000_NS6detail17trampoline_kernelINS0_14default_configENS1_25partition_config_selectorILNS1_17partition_subalgoE6EdNS0_10empty_typeEbEEZZNS1_14partition_implILS5_6ELb0ES3_mN6thrust23THRUST_200600_302600_NS6detail15normal_iteratorINSA_10device_ptrIdEEEEPS6_SG_NS0_5tupleIJSF_S6_EEENSH_IJSG_SG_EEES6_PlJNSB_9not_fun_tI7is_evenIdEEEEEE10hipError_tPvRmT3_T4_T5_T6_T7_T9_mT8_P12ihipStream_tbDpT10_ENKUlT_T0_E_clISt17integral_constantIbLb1EES18_EEDaS13_S14_EUlS13_E_NS1_11comp_targetILNS1_3genE10ELNS1_11target_archE1200ELNS1_3gpuE4ELNS1_3repE0EEENS1_30default_config_static_selectorELNS0_4arch9wavefront6targetE0EEEvT1_
    .private_segment_fixed_size: 0
    .sgpr_count:     0
    .sgpr_spill_count: 0
    .symbol:         _ZN7rocprim17ROCPRIM_400000_NS6detail17trampoline_kernelINS0_14default_configENS1_25partition_config_selectorILNS1_17partition_subalgoE6EdNS0_10empty_typeEbEEZZNS1_14partition_implILS5_6ELb0ES3_mN6thrust23THRUST_200600_302600_NS6detail15normal_iteratorINSA_10device_ptrIdEEEEPS6_SG_NS0_5tupleIJSF_S6_EEENSH_IJSG_SG_EEES6_PlJNSB_9not_fun_tI7is_evenIdEEEEEE10hipError_tPvRmT3_T4_T5_T6_T7_T9_mT8_P12ihipStream_tbDpT10_ENKUlT_T0_E_clISt17integral_constantIbLb1EES18_EEDaS13_S14_EUlS13_E_NS1_11comp_targetILNS1_3genE10ELNS1_11target_archE1200ELNS1_3gpuE4ELNS1_3repE0EEENS1_30default_config_static_selectorELNS0_4arch9wavefront6targetE0EEEvT1_.kd
    .uniform_work_group_size: 1
    .uses_dynamic_stack: false
    .vgpr_count:     0
    .vgpr_spill_count: 0
    .wavefront_size: 32
    .workgroup_processor_mode: 1
  - .args:
      - .offset:         0
        .size:           128
        .value_kind:     by_value
    .group_segment_fixed_size: 0
    .kernarg_segment_align: 8
    .kernarg_segment_size: 128
    .language:       OpenCL C
    .language_version:
      - 2
      - 0
    .max_flat_workgroup_size: 384
    .name:           _ZN7rocprim17ROCPRIM_400000_NS6detail17trampoline_kernelINS0_14default_configENS1_25partition_config_selectorILNS1_17partition_subalgoE6EdNS0_10empty_typeEbEEZZNS1_14partition_implILS5_6ELb0ES3_mN6thrust23THRUST_200600_302600_NS6detail15normal_iteratorINSA_10device_ptrIdEEEEPS6_SG_NS0_5tupleIJSF_S6_EEENSH_IJSG_SG_EEES6_PlJNSB_9not_fun_tI7is_evenIdEEEEEE10hipError_tPvRmT3_T4_T5_T6_T7_T9_mT8_P12ihipStream_tbDpT10_ENKUlT_T0_E_clISt17integral_constantIbLb1EES18_EEDaS13_S14_EUlS13_E_NS1_11comp_targetILNS1_3genE9ELNS1_11target_archE1100ELNS1_3gpuE3ELNS1_3repE0EEENS1_30default_config_static_selectorELNS0_4arch9wavefront6targetE0EEEvT1_
    .private_segment_fixed_size: 0
    .sgpr_count:     0
    .sgpr_spill_count: 0
    .symbol:         _ZN7rocprim17ROCPRIM_400000_NS6detail17trampoline_kernelINS0_14default_configENS1_25partition_config_selectorILNS1_17partition_subalgoE6EdNS0_10empty_typeEbEEZZNS1_14partition_implILS5_6ELb0ES3_mN6thrust23THRUST_200600_302600_NS6detail15normal_iteratorINSA_10device_ptrIdEEEEPS6_SG_NS0_5tupleIJSF_S6_EEENSH_IJSG_SG_EEES6_PlJNSB_9not_fun_tI7is_evenIdEEEEEE10hipError_tPvRmT3_T4_T5_T6_T7_T9_mT8_P12ihipStream_tbDpT10_ENKUlT_T0_E_clISt17integral_constantIbLb1EES18_EEDaS13_S14_EUlS13_E_NS1_11comp_targetILNS1_3genE9ELNS1_11target_archE1100ELNS1_3gpuE3ELNS1_3repE0EEENS1_30default_config_static_selectorELNS0_4arch9wavefront6targetE0EEEvT1_.kd
    .uniform_work_group_size: 1
    .uses_dynamic_stack: false
    .vgpr_count:     0
    .vgpr_spill_count: 0
    .wavefront_size: 32
    .workgroup_processor_mode: 1
  - .args:
      - .offset:         0
        .size:           128
        .value_kind:     by_value
    .group_segment_fixed_size: 0
    .kernarg_segment_align: 8
    .kernarg_segment_size: 128
    .language:       OpenCL C
    .language_version:
      - 2
      - 0
    .max_flat_workgroup_size: 512
    .name:           _ZN7rocprim17ROCPRIM_400000_NS6detail17trampoline_kernelINS0_14default_configENS1_25partition_config_selectorILNS1_17partition_subalgoE6EdNS0_10empty_typeEbEEZZNS1_14partition_implILS5_6ELb0ES3_mN6thrust23THRUST_200600_302600_NS6detail15normal_iteratorINSA_10device_ptrIdEEEEPS6_SG_NS0_5tupleIJSF_S6_EEENSH_IJSG_SG_EEES6_PlJNSB_9not_fun_tI7is_evenIdEEEEEE10hipError_tPvRmT3_T4_T5_T6_T7_T9_mT8_P12ihipStream_tbDpT10_ENKUlT_T0_E_clISt17integral_constantIbLb1EES18_EEDaS13_S14_EUlS13_E_NS1_11comp_targetILNS1_3genE8ELNS1_11target_archE1030ELNS1_3gpuE2ELNS1_3repE0EEENS1_30default_config_static_selectorELNS0_4arch9wavefront6targetE0EEEvT1_
    .private_segment_fixed_size: 0
    .sgpr_count:     0
    .sgpr_spill_count: 0
    .symbol:         _ZN7rocprim17ROCPRIM_400000_NS6detail17trampoline_kernelINS0_14default_configENS1_25partition_config_selectorILNS1_17partition_subalgoE6EdNS0_10empty_typeEbEEZZNS1_14partition_implILS5_6ELb0ES3_mN6thrust23THRUST_200600_302600_NS6detail15normal_iteratorINSA_10device_ptrIdEEEEPS6_SG_NS0_5tupleIJSF_S6_EEENSH_IJSG_SG_EEES6_PlJNSB_9not_fun_tI7is_evenIdEEEEEE10hipError_tPvRmT3_T4_T5_T6_T7_T9_mT8_P12ihipStream_tbDpT10_ENKUlT_T0_E_clISt17integral_constantIbLb1EES18_EEDaS13_S14_EUlS13_E_NS1_11comp_targetILNS1_3genE8ELNS1_11target_archE1030ELNS1_3gpuE2ELNS1_3repE0EEENS1_30default_config_static_selectorELNS0_4arch9wavefront6targetE0EEEvT1_.kd
    .uniform_work_group_size: 1
    .uses_dynamic_stack: false
    .vgpr_count:     0
    .vgpr_spill_count: 0
    .wavefront_size: 32
    .workgroup_processor_mode: 1
  - .args:
      - .offset:         0
        .size:           112
        .value_kind:     by_value
    .group_segment_fixed_size: 0
    .kernarg_segment_align: 8
    .kernarg_segment_size: 112
    .language:       OpenCL C
    .language_version:
      - 2
      - 0
    .max_flat_workgroup_size: 128
    .name:           _ZN7rocprim17ROCPRIM_400000_NS6detail17trampoline_kernelINS0_14default_configENS1_25partition_config_selectorILNS1_17partition_subalgoE6EdNS0_10empty_typeEbEEZZNS1_14partition_implILS5_6ELb0ES3_mN6thrust23THRUST_200600_302600_NS6detail15normal_iteratorINSA_10device_ptrIdEEEEPS6_SG_NS0_5tupleIJSF_S6_EEENSH_IJSG_SG_EEES6_PlJNSB_9not_fun_tI7is_evenIdEEEEEE10hipError_tPvRmT3_T4_T5_T6_T7_T9_mT8_P12ihipStream_tbDpT10_ENKUlT_T0_E_clISt17integral_constantIbLb1EES17_IbLb0EEEEDaS13_S14_EUlS13_E_NS1_11comp_targetILNS1_3genE0ELNS1_11target_archE4294967295ELNS1_3gpuE0ELNS1_3repE0EEENS1_30default_config_static_selectorELNS0_4arch9wavefront6targetE0EEEvT1_
    .private_segment_fixed_size: 0
    .sgpr_count:     0
    .sgpr_spill_count: 0
    .symbol:         _ZN7rocprim17ROCPRIM_400000_NS6detail17trampoline_kernelINS0_14default_configENS1_25partition_config_selectorILNS1_17partition_subalgoE6EdNS0_10empty_typeEbEEZZNS1_14partition_implILS5_6ELb0ES3_mN6thrust23THRUST_200600_302600_NS6detail15normal_iteratorINSA_10device_ptrIdEEEEPS6_SG_NS0_5tupleIJSF_S6_EEENSH_IJSG_SG_EEES6_PlJNSB_9not_fun_tI7is_evenIdEEEEEE10hipError_tPvRmT3_T4_T5_T6_T7_T9_mT8_P12ihipStream_tbDpT10_ENKUlT_T0_E_clISt17integral_constantIbLb1EES17_IbLb0EEEEDaS13_S14_EUlS13_E_NS1_11comp_targetILNS1_3genE0ELNS1_11target_archE4294967295ELNS1_3gpuE0ELNS1_3repE0EEENS1_30default_config_static_selectorELNS0_4arch9wavefront6targetE0EEEvT1_.kd
    .uniform_work_group_size: 1
    .uses_dynamic_stack: false
    .vgpr_count:     0
    .vgpr_spill_count: 0
    .wavefront_size: 32
    .workgroup_processor_mode: 1
  - .args:
      - .offset:         0
        .size:           112
        .value_kind:     by_value
    .group_segment_fixed_size: 0
    .kernarg_segment_align: 8
    .kernarg_segment_size: 112
    .language:       OpenCL C
    .language_version:
      - 2
      - 0
    .max_flat_workgroup_size: 512
    .name:           _ZN7rocprim17ROCPRIM_400000_NS6detail17trampoline_kernelINS0_14default_configENS1_25partition_config_selectorILNS1_17partition_subalgoE6EdNS0_10empty_typeEbEEZZNS1_14partition_implILS5_6ELb0ES3_mN6thrust23THRUST_200600_302600_NS6detail15normal_iteratorINSA_10device_ptrIdEEEEPS6_SG_NS0_5tupleIJSF_S6_EEENSH_IJSG_SG_EEES6_PlJNSB_9not_fun_tI7is_evenIdEEEEEE10hipError_tPvRmT3_T4_T5_T6_T7_T9_mT8_P12ihipStream_tbDpT10_ENKUlT_T0_E_clISt17integral_constantIbLb1EES17_IbLb0EEEEDaS13_S14_EUlS13_E_NS1_11comp_targetILNS1_3genE5ELNS1_11target_archE942ELNS1_3gpuE9ELNS1_3repE0EEENS1_30default_config_static_selectorELNS0_4arch9wavefront6targetE0EEEvT1_
    .private_segment_fixed_size: 0
    .sgpr_count:     0
    .sgpr_spill_count: 0
    .symbol:         _ZN7rocprim17ROCPRIM_400000_NS6detail17trampoline_kernelINS0_14default_configENS1_25partition_config_selectorILNS1_17partition_subalgoE6EdNS0_10empty_typeEbEEZZNS1_14partition_implILS5_6ELb0ES3_mN6thrust23THRUST_200600_302600_NS6detail15normal_iteratorINSA_10device_ptrIdEEEEPS6_SG_NS0_5tupleIJSF_S6_EEENSH_IJSG_SG_EEES6_PlJNSB_9not_fun_tI7is_evenIdEEEEEE10hipError_tPvRmT3_T4_T5_T6_T7_T9_mT8_P12ihipStream_tbDpT10_ENKUlT_T0_E_clISt17integral_constantIbLb1EES17_IbLb0EEEEDaS13_S14_EUlS13_E_NS1_11comp_targetILNS1_3genE5ELNS1_11target_archE942ELNS1_3gpuE9ELNS1_3repE0EEENS1_30default_config_static_selectorELNS0_4arch9wavefront6targetE0EEEvT1_.kd
    .uniform_work_group_size: 1
    .uses_dynamic_stack: false
    .vgpr_count:     0
    .vgpr_spill_count: 0
    .wavefront_size: 32
    .workgroup_processor_mode: 1
  - .args:
      - .offset:         0
        .size:           112
        .value_kind:     by_value
    .group_segment_fixed_size: 0
    .kernarg_segment_align: 8
    .kernarg_segment_size: 112
    .language:       OpenCL C
    .language_version:
      - 2
      - 0
    .max_flat_workgroup_size: 128
    .name:           _ZN7rocprim17ROCPRIM_400000_NS6detail17trampoline_kernelINS0_14default_configENS1_25partition_config_selectorILNS1_17partition_subalgoE6EdNS0_10empty_typeEbEEZZNS1_14partition_implILS5_6ELb0ES3_mN6thrust23THRUST_200600_302600_NS6detail15normal_iteratorINSA_10device_ptrIdEEEEPS6_SG_NS0_5tupleIJSF_S6_EEENSH_IJSG_SG_EEES6_PlJNSB_9not_fun_tI7is_evenIdEEEEEE10hipError_tPvRmT3_T4_T5_T6_T7_T9_mT8_P12ihipStream_tbDpT10_ENKUlT_T0_E_clISt17integral_constantIbLb1EES17_IbLb0EEEEDaS13_S14_EUlS13_E_NS1_11comp_targetILNS1_3genE4ELNS1_11target_archE910ELNS1_3gpuE8ELNS1_3repE0EEENS1_30default_config_static_selectorELNS0_4arch9wavefront6targetE0EEEvT1_
    .private_segment_fixed_size: 0
    .sgpr_count:     0
    .sgpr_spill_count: 0
    .symbol:         _ZN7rocprim17ROCPRIM_400000_NS6detail17trampoline_kernelINS0_14default_configENS1_25partition_config_selectorILNS1_17partition_subalgoE6EdNS0_10empty_typeEbEEZZNS1_14partition_implILS5_6ELb0ES3_mN6thrust23THRUST_200600_302600_NS6detail15normal_iteratorINSA_10device_ptrIdEEEEPS6_SG_NS0_5tupleIJSF_S6_EEENSH_IJSG_SG_EEES6_PlJNSB_9not_fun_tI7is_evenIdEEEEEE10hipError_tPvRmT3_T4_T5_T6_T7_T9_mT8_P12ihipStream_tbDpT10_ENKUlT_T0_E_clISt17integral_constantIbLb1EES17_IbLb0EEEEDaS13_S14_EUlS13_E_NS1_11comp_targetILNS1_3genE4ELNS1_11target_archE910ELNS1_3gpuE8ELNS1_3repE0EEENS1_30default_config_static_selectorELNS0_4arch9wavefront6targetE0EEEvT1_.kd
    .uniform_work_group_size: 1
    .uses_dynamic_stack: false
    .vgpr_count:     0
    .vgpr_spill_count: 0
    .wavefront_size: 32
    .workgroup_processor_mode: 1
  - .args:
      - .offset:         0
        .size:           112
        .value_kind:     by_value
    .group_segment_fixed_size: 0
    .kernarg_segment_align: 8
    .kernarg_segment_size: 112
    .language:       OpenCL C
    .language_version:
      - 2
      - 0
    .max_flat_workgroup_size: 128
    .name:           _ZN7rocprim17ROCPRIM_400000_NS6detail17trampoline_kernelINS0_14default_configENS1_25partition_config_selectorILNS1_17partition_subalgoE6EdNS0_10empty_typeEbEEZZNS1_14partition_implILS5_6ELb0ES3_mN6thrust23THRUST_200600_302600_NS6detail15normal_iteratorINSA_10device_ptrIdEEEEPS6_SG_NS0_5tupleIJSF_S6_EEENSH_IJSG_SG_EEES6_PlJNSB_9not_fun_tI7is_evenIdEEEEEE10hipError_tPvRmT3_T4_T5_T6_T7_T9_mT8_P12ihipStream_tbDpT10_ENKUlT_T0_E_clISt17integral_constantIbLb1EES17_IbLb0EEEEDaS13_S14_EUlS13_E_NS1_11comp_targetILNS1_3genE3ELNS1_11target_archE908ELNS1_3gpuE7ELNS1_3repE0EEENS1_30default_config_static_selectorELNS0_4arch9wavefront6targetE0EEEvT1_
    .private_segment_fixed_size: 0
    .sgpr_count:     0
    .sgpr_spill_count: 0
    .symbol:         _ZN7rocprim17ROCPRIM_400000_NS6detail17trampoline_kernelINS0_14default_configENS1_25partition_config_selectorILNS1_17partition_subalgoE6EdNS0_10empty_typeEbEEZZNS1_14partition_implILS5_6ELb0ES3_mN6thrust23THRUST_200600_302600_NS6detail15normal_iteratorINSA_10device_ptrIdEEEEPS6_SG_NS0_5tupleIJSF_S6_EEENSH_IJSG_SG_EEES6_PlJNSB_9not_fun_tI7is_evenIdEEEEEE10hipError_tPvRmT3_T4_T5_T6_T7_T9_mT8_P12ihipStream_tbDpT10_ENKUlT_T0_E_clISt17integral_constantIbLb1EES17_IbLb0EEEEDaS13_S14_EUlS13_E_NS1_11comp_targetILNS1_3genE3ELNS1_11target_archE908ELNS1_3gpuE7ELNS1_3repE0EEENS1_30default_config_static_selectorELNS0_4arch9wavefront6targetE0EEEvT1_.kd
    .uniform_work_group_size: 1
    .uses_dynamic_stack: false
    .vgpr_count:     0
    .vgpr_spill_count: 0
    .wavefront_size: 32
    .workgroup_processor_mode: 1
  - .args:
      - .offset:         0
        .size:           112
        .value_kind:     by_value
    .group_segment_fixed_size: 0
    .kernarg_segment_align: 8
    .kernarg_segment_size: 112
    .language:       OpenCL C
    .language_version:
      - 2
      - 0
    .max_flat_workgroup_size: 256
    .name:           _ZN7rocprim17ROCPRIM_400000_NS6detail17trampoline_kernelINS0_14default_configENS1_25partition_config_selectorILNS1_17partition_subalgoE6EdNS0_10empty_typeEbEEZZNS1_14partition_implILS5_6ELb0ES3_mN6thrust23THRUST_200600_302600_NS6detail15normal_iteratorINSA_10device_ptrIdEEEEPS6_SG_NS0_5tupleIJSF_S6_EEENSH_IJSG_SG_EEES6_PlJNSB_9not_fun_tI7is_evenIdEEEEEE10hipError_tPvRmT3_T4_T5_T6_T7_T9_mT8_P12ihipStream_tbDpT10_ENKUlT_T0_E_clISt17integral_constantIbLb1EES17_IbLb0EEEEDaS13_S14_EUlS13_E_NS1_11comp_targetILNS1_3genE2ELNS1_11target_archE906ELNS1_3gpuE6ELNS1_3repE0EEENS1_30default_config_static_selectorELNS0_4arch9wavefront6targetE0EEEvT1_
    .private_segment_fixed_size: 0
    .sgpr_count:     0
    .sgpr_spill_count: 0
    .symbol:         _ZN7rocprim17ROCPRIM_400000_NS6detail17trampoline_kernelINS0_14default_configENS1_25partition_config_selectorILNS1_17partition_subalgoE6EdNS0_10empty_typeEbEEZZNS1_14partition_implILS5_6ELb0ES3_mN6thrust23THRUST_200600_302600_NS6detail15normal_iteratorINSA_10device_ptrIdEEEEPS6_SG_NS0_5tupleIJSF_S6_EEENSH_IJSG_SG_EEES6_PlJNSB_9not_fun_tI7is_evenIdEEEEEE10hipError_tPvRmT3_T4_T5_T6_T7_T9_mT8_P12ihipStream_tbDpT10_ENKUlT_T0_E_clISt17integral_constantIbLb1EES17_IbLb0EEEEDaS13_S14_EUlS13_E_NS1_11comp_targetILNS1_3genE2ELNS1_11target_archE906ELNS1_3gpuE6ELNS1_3repE0EEENS1_30default_config_static_selectorELNS0_4arch9wavefront6targetE0EEEvT1_.kd
    .uniform_work_group_size: 1
    .uses_dynamic_stack: false
    .vgpr_count:     0
    .vgpr_spill_count: 0
    .wavefront_size: 32
    .workgroup_processor_mode: 1
  - .args:
      - .offset:         0
        .size:           112
        .value_kind:     by_value
    .group_segment_fixed_size: 0
    .kernarg_segment_align: 8
    .kernarg_segment_size: 112
    .language:       OpenCL C
    .language_version:
      - 2
      - 0
    .max_flat_workgroup_size: 256
    .name:           _ZN7rocprim17ROCPRIM_400000_NS6detail17trampoline_kernelINS0_14default_configENS1_25partition_config_selectorILNS1_17partition_subalgoE6EdNS0_10empty_typeEbEEZZNS1_14partition_implILS5_6ELb0ES3_mN6thrust23THRUST_200600_302600_NS6detail15normal_iteratorINSA_10device_ptrIdEEEEPS6_SG_NS0_5tupleIJSF_S6_EEENSH_IJSG_SG_EEES6_PlJNSB_9not_fun_tI7is_evenIdEEEEEE10hipError_tPvRmT3_T4_T5_T6_T7_T9_mT8_P12ihipStream_tbDpT10_ENKUlT_T0_E_clISt17integral_constantIbLb1EES17_IbLb0EEEEDaS13_S14_EUlS13_E_NS1_11comp_targetILNS1_3genE10ELNS1_11target_archE1200ELNS1_3gpuE4ELNS1_3repE0EEENS1_30default_config_static_selectorELNS0_4arch9wavefront6targetE0EEEvT1_
    .private_segment_fixed_size: 0
    .sgpr_count:     0
    .sgpr_spill_count: 0
    .symbol:         _ZN7rocprim17ROCPRIM_400000_NS6detail17trampoline_kernelINS0_14default_configENS1_25partition_config_selectorILNS1_17partition_subalgoE6EdNS0_10empty_typeEbEEZZNS1_14partition_implILS5_6ELb0ES3_mN6thrust23THRUST_200600_302600_NS6detail15normal_iteratorINSA_10device_ptrIdEEEEPS6_SG_NS0_5tupleIJSF_S6_EEENSH_IJSG_SG_EEES6_PlJNSB_9not_fun_tI7is_evenIdEEEEEE10hipError_tPvRmT3_T4_T5_T6_T7_T9_mT8_P12ihipStream_tbDpT10_ENKUlT_T0_E_clISt17integral_constantIbLb1EES17_IbLb0EEEEDaS13_S14_EUlS13_E_NS1_11comp_targetILNS1_3genE10ELNS1_11target_archE1200ELNS1_3gpuE4ELNS1_3repE0EEENS1_30default_config_static_selectorELNS0_4arch9wavefront6targetE0EEEvT1_.kd
    .uniform_work_group_size: 1
    .uses_dynamic_stack: false
    .vgpr_count:     0
    .vgpr_spill_count: 0
    .wavefront_size: 32
    .workgroup_processor_mode: 1
  - .args:
      - .offset:         0
        .size:           112
        .value_kind:     by_value
    .group_segment_fixed_size: 0
    .kernarg_segment_align: 8
    .kernarg_segment_size: 112
    .language:       OpenCL C
    .language_version:
      - 2
      - 0
    .max_flat_workgroup_size: 384
    .name:           _ZN7rocprim17ROCPRIM_400000_NS6detail17trampoline_kernelINS0_14default_configENS1_25partition_config_selectorILNS1_17partition_subalgoE6EdNS0_10empty_typeEbEEZZNS1_14partition_implILS5_6ELb0ES3_mN6thrust23THRUST_200600_302600_NS6detail15normal_iteratorINSA_10device_ptrIdEEEEPS6_SG_NS0_5tupleIJSF_S6_EEENSH_IJSG_SG_EEES6_PlJNSB_9not_fun_tI7is_evenIdEEEEEE10hipError_tPvRmT3_T4_T5_T6_T7_T9_mT8_P12ihipStream_tbDpT10_ENKUlT_T0_E_clISt17integral_constantIbLb1EES17_IbLb0EEEEDaS13_S14_EUlS13_E_NS1_11comp_targetILNS1_3genE9ELNS1_11target_archE1100ELNS1_3gpuE3ELNS1_3repE0EEENS1_30default_config_static_selectorELNS0_4arch9wavefront6targetE0EEEvT1_
    .private_segment_fixed_size: 0
    .sgpr_count:     0
    .sgpr_spill_count: 0
    .symbol:         _ZN7rocprim17ROCPRIM_400000_NS6detail17trampoline_kernelINS0_14default_configENS1_25partition_config_selectorILNS1_17partition_subalgoE6EdNS0_10empty_typeEbEEZZNS1_14partition_implILS5_6ELb0ES3_mN6thrust23THRUST_200600_302600_NS6detail15normal_iteratorINSA_10device_ptrIdEEEEPS6_SG_NS0_5tupleIJSF_S6_EEENSH_IJSG_SG_EEES6_PlJNSB_9not_fun_tI7is_evenIdEEEEEE10hipError_tPvRmT3_T4_T5_T6_T7_T9_mT8_P12ihipStream_tbDpT10_ENKUlT_T0_E_clISt17integral_constantIbLb1EES17_IbLb0EEEEDaS13_S14_EUlS13_E_NS1_11comp_targetILNS1_3genE9ELNS1_11target_archE1100ELNS1_3gpuE3ELNS1_3repE0EEENS1_30default_config_static_selectorELNS0_4arch9wavefront6targetE0EEEvT1_.kd
    .uniform_work_group_size: 1
    .uses_dynamic_stack: false
    .vgpr_count:     0
    .vgpr_spill_count: 0
    .wavefront_size: 32
    .workgroup_processor_mode: 1
  - .args:
      - .offset:         0
        .size:           112
        .value_kind:     by_value
    .group_segment_fixed_size: 0
    .kernarg_segment_align: 8
    .kernarg_segment_size: 112
    .language:       OpenCL C
    .language_version:
      - 2
      - 0
    .max_flat_workgroup_size: 512
    .name:           _ZN7rocprim17ROCPRIM_400000_NS6detail17trampoline_kernelINS0_14default_configENS1_25partition_config_selectorILNS1_17partition_subalgoE6EdNS0_10empty_typeEbEEZZNS1_14partition_implILS5_6ELb0ES3_mN6thrust23THRUST_200600_302600_NS6detail15normal_iteratorINSA_10device_ptrIdEEEEPS6_SG_NS0_5tupleIJSF_S6_EEENSH_IJSG_SG_EEES6_PlJNSB_9not_fun_tI7is_evenIdEEEEEE10hipError_tPvRmT3_T4_T5_T6_T7_T9_mT8_P12ihipStream_tbDpT10_ENKUlT_T0_E_clISt17integral_constantIbLb1EES17_IbLb0EEEEDaS13_S14_EUlS13_E_NS1_11comp_targetILNS1_3genE8ELNS1_11target_archE1030ELNS1_3gpuE2ELNS1_3repE0EEENS1_30default_config_static_selectorELNS0_4arch9wavefront6targetE0EEEvT1_
    .private_segment_fixed_size: 0
    .sgpr_count:     0
    .sgpr_spill_count: 0
    .symbol:         _ZN7rocprim17ROCPRIM_400000_NS6detail17trampoline_kernelINS0_14default_configENS1_25partition_config_selectorILNS1_17partition_subalgoE6EdNS0_10empty_typeEbEEZZNS1_14partition_implILS5_6ELb0ES3_mN6thrust23THRUST_200600_302600_NS6detail15normal_iteratorINSA_10device_ptrIdEEEEPS6_SG_NS0_5tupleIJSF_S6_EEENSH_IJSG_SG_EEES6_PlJNSB_9not_fun_tI7is_evenIdEEEEEE10hipError_tPvRmT3_T4_T5_T6_T7_T9_mT8_P12ihipStream_tbDpT10_ENKUlT_T0_E_clISt17integral_constantIbLb1EES17_IbLb0EEEEDaS13_S14_EUlS13_E_NS1_11comp_targetILNS1_3genE8ELNS1_11target_archE1030ELNS1_3gpuE2ELNS1_3repE0EEENS1_30default_config_static_selectorELNS0_4arch9wavefront6targetE0EEEvT1_.kd
    .uniform_work_group_size: 1
    .uses_dynamic_stack: false
    .vgpr_count:     0
    .vgpr_spill_count: 0
    .wavefront_size: 32
    .workgroup_processor_mode: 1
  - .args:
      - .offset:         0
        .size:           128
        .value_kind:     by_value
    .group_segment_fixed_size: 0
    .kernarg_segment_align: 8
    .kernarg_segment_size: 128
    .language:       OpenCL C
    .language_version:
      - 2
      - 0
    .max_flat_workgroup_size: 128
    .name:           _ZN7rocprim17ROCPRIM_400000_NS6detail17trampoline_kernelINS0_14default_configENS1_25partition_config_selectorILNS1_17partition_subalgoE6EdNS0_10empty_typeEbEEZZNS1_14partition_implILS5_6ELb0ES3_mN6thrust23THRUST_200600_302600_NS6detail15normal_iteratorINSA_10device_ptrIdEEEEPS6_SG_NS0_5tupleIJSF_S6_EEENSH_IJSG_SG_EEES6_PlJNSB_9not_fun_tI7is_evenIdEEEEEE10hipError_tPvRmT3_T4_T5_T6_T7_T9_mT8_P12ihipStream_tbDpT10_ENKUlT_T0_E_clISt17integral_constantIbLb0EES17_IbLb1EEEEDaS13_S14_EUlS13_E_NS1_11comp_targetILNS1_3genE0ELNS1_11target_archE4294967295ELNS1_3gpuE0ELNS1_3repE0EEENS1_30default_config_static_selectorELNS0_4arch9wavefront6targetE0EEEvT1_
    .private_segment_fixed_size: 0
    .sgpr_count:     0
    .sgpr_spill_count: 0
    .symbol:         _ZN7rocprim17ROCPRIM_400000_NS6detail17trampoline_kernelINS0_14default_configENS1_25partition_config_selectorILNS1_17partition_subalgoE6EdNS0_10empty_typeEbEEZZNS1_14partition_implILS5_6ELb0ES3_mN6thrust23THRUST_200600_302600_NS6detail15normal_iteratorINSA_10device_ptrIdEEEEPS6_SG_NS0_5tupleIJSF_S6_EEENSH_IJSG_SG_EEES6_PlJNSB_9not_fun_tI7is_evenIdEEEEEE10hipError_tPvRmT3_T4_T5_T6_T7_T9_mT8_P12ihipStream_tbDpT10_ENKUlT_T0_E_clISt17integral_constantIbLb0EES17_IbLb1EEEEDaS13_S14_EUlS13_E_NS1_11comp_targetILNS1_3genE0ELNS1_11target_archE4294967295ELNS1_3gpuE0ELNS1_3repE0EEENS1_30default_config_static_selectorELNS0_4arch9wavefront6targetE0EEEvT1_.kd
    .uniform_work_group_size: 1
    .uses_dynamic_stack: false
    .vgpr_count:     0
    .vgpr_spill_count: 0
    .wavefront_size: 32
    .workgroup_processor_mode: 1
  - .args:
      - .offset:         0
        .size:           128
        .value_kind:     by_value
    .group_segment_fixed_size: 0
    .kernarg_segment_align: 8
    .kernarg_segment_size: 128
    .language:       OpenCL C
    .language_version:
      - 2
      - 0
    .max_flat_workgroup_size: 512
    .name:           _ZN7rocprim17ROCPRIM_400000_NS6detail17trampoline_kernelINS0_14default_configENS1_25partition_config_selectorILNS1_17partition_subalgoE6EdNS0_10empty_typeEbEEZZNS1_14partition_implILS5_6ELb0ES3_mN6thrust23THRUST_200600_302600_NS6detail15normal_iteratorINSA_10device_ptrIdEEEEPS6_SG_NS0_5tupleIJSF_S6_EEENSH_IJSG_SG_EEES6_PlJNSB_9not_fun_tI7is_evenIdEEEEEE10hipError_tPvRmT3_T4_T5_T6_T7_T9_mT8_P12ihipStream_tbDpT10_ENKUlT_T0_E_clISt17integral_constantIbLb0EES17_IbLb1EEEEDaS13_S14_EUlS13_E_NS1_11comp_targetILNS1_3genE5ELNS1_11target_archE942ELNS1_3gpuE9ELNS1_3repE0EEENS1_30default_config_static_selectorELNS0_4arch9wavefront6targetE0EEEvT1_
    .private_segment_fixed_size: 0
    .sgpr_count:     0
    .sgpr_spill_count: 0
    .symbol:         _ZN7rocprim17ROCPRIM_400000_NS6detail17trampoline_kernelINS0_14default_configENS1_25partition_config_selectorILNS1_17partition_subalgoE6EdNS0_10empty_typeEbEEZZNS1_14partition_implILS5_6ELb0ES3_mN6thrust23THRUST_200600_302600_NS6detail15normal_iteratorINSA_10device_ptrIdEEEEPS6_SG_NS0_5tupleIJSF_S6_EEENSH_IJSG_SG_EEES6_PlJNSB_9not_fun_tI7is_evenIdEEEEEE10hipError_tPvRmT3_T4_T5_T6_T7_T9_mT8_P12ihipStream_tbDpT10_ENKUlT_T0_E_clISt17integral_constantIbLb0EES17_IbLb1EEEEDaS13_S14_EUlS13_E_NS1_11comp_targetILNS1_3genE5ELNS1_11target_archE942ELNS1_3gpuE9ELNS1_3repE0EEENS1_30default_config_static_selectorELNS0_4arch9wavefront6targetE0EEEvT1_.kd
    .uniform_work_group_size: 1
    .uses_dynamic_stack: false
    .vgpr_count:     0
    .vgpr_spill_count: 0
    .wavefront_size: 32
    .workgroup_processor_mode: 1
  - .args:
      - .offset:         0
        .size:           128
        .value_kind:     by_value
    .group_segment_fixed_size: 0
    .kernarg_segment_align: 8
    .kernarg_segment_size: 128
    .language:       OpenCL C
    .language_version:
      - 2
      - 0
    .max_flat_workgroup_size: 128
    .name:           _ZN7rocprim17ROCPRIM_400000_NS6detail17trampoline_kernelINS0_14default_configENS1_25partition_config_selectorILNS1_17partition_subalgoE6EdNS0_10empty_typeEbEEZZNS1_14partition_implILS5_6ELb0ES3_mN6thrust23THRUST_200600_302600_NS6detail15normal_iteratorINSA_10device_ptrIdEEEEPS6_SG_NS0_5tupleIJSF_S6_EEENSH_IJSG_SG_EEES6_PlJNSB_9not_fun_tI7is_evenIdEEEEEE10hipError_tPvRmT3_T4_T5_T6_T7_T9_mT8_P12ihipStream_tbDpT10_ENKUlT_T0_E_clISt17integral_constantIbLb0EES17_IbLb1EEEEDaS13_S14_EUlS13_E_NS1_11comp_targetILNS1_3genE4ELNS1_11target_archE910ELNS1_3gpuE8ELNS1_3repE0EEENS1_30default_config_static_selectorELNS0_4arch9wavefront6targetE0EEEvT1_
    .private_segment_fixed_size: 0
    .sgpr_count:     0
    .sgpr_spill_count: 0
    .symbol:         _ZN7rocprim17ROCPRIM_400000_NS6detail17trampoline_kernelINS0_14default_configENS1_25partition_config_selectorILNS1_17partition_subalgoE6EdNS0_10empty_typeEbEEZZNS1_14partition_implILS5_6ELb0ES3_mN6thrust23THRUST_200600_302600_NS6detail15normal_iteratorINSA_10device_ptrIdEEEEPS6_SG_NS0_5tupleIJSF_S6_EEENSH_IJSG_SG_EEES6_PlJNSB_9not_fun_tI7is_evenIdEEEEEE10hipError_tPvRmT3_T4_T5_T6_T7_T9_mT8_P12ihipStream_tbDpT10_ENKUlT_T0_E_clISt17integral_constantIbLb0EES17_IbLb1EEEEDaS13_S14_EUlS13_E_NS1_11comp_targetILNS1_3genE4ELNS1_11target_archE910ELNS1_3gpuE8ELNS1_3repE0EEENS1_30default_config_static_selectorELNS0_4arch9wavefront6targetE0EEEvT1_.kd
    .uniform_work_group_size: 1
    .uses_dynamic_stack: false
    .vgpr_count:     0
    .vgpr_spill_count: 0
    .wavefront_size: 32
    .workgroup_processor_mode: 1
  - .args:
      - .offset:         0
        .size:           128
        .value_kind:     by_value
    .group_segment_fixed_size: 0
    .kernarg_segment_align: 8
    .kernarg_segment_size: 128
    .language:       OpenCL C
    .language_version:
      - 2
      - 0
    .max_flat_workgroup_size: 128
    .name:           _ZN7rocprim17ROCPRIM_400000_NS6detail17trampoline_kernelINS0_14default_configENS1_25partition_config_selectorILNS1_17partition_subalgoE6EdNS0_10empty_typeEbEEZZNS1_14partition_implILS5_6ELb0ES3_mN6thrust23THRUST_200600_302600_NS6detail15normal_iteratorINSA_10device_ptrIdEEEEPS6_SG_NS0_5tupleIJSF_S6_EEENSH_IJSG_SG_EEES6_PlJNSB_9not_fun_tI7is_evenIdEEEEEE10hipError_tPvRmT3_T4_T5_T6_T7_T9_mT8_P12ihipStream_tbDpT10_ENKUlT_T0_E_clISt17integral_constantIbLb0EES17_IbLb1EEEEDaS13_S14_EUlS13_E_NS1_11comp_targetILNS1_3genE3ELNS1_11target_archE908ELNS1_3gpuE7ELNS1_3repE0EEENS1_30default_config_static_selectorELNS0_4arch9wavefront6targetE0EEEvT1_
    .private_segment_fixed_size: 0
    .sgpr_count:     0
    .sgpr_spill_count: 0
    .symbol:         _ZN7rocprim17ROCPRIM_400000_NS6detail17trampoline_kernelINS0_14default_configENS1_25partition_config_selectorILNS1_17partition_subalgoE6EdNS0_10empty_typeEbEEZZNS1_14partition_implILS5_6ELb0ES3_mN6thrust23THRUST_200600_302600_NS6detail15normal_iteratorINSA_10device_ptrIdEEEEPS6_SG_NS0_5tupleIJSF_S6_EEENSH_IJSG_SG_EEES6_PlJNSB_9not_fun_tI7is_evenIdEEEEEE10hipError_tPvRmT3_T4_T5_T6_T7_T9_mT8_P12ihipStream_tbDpT10_ENKUlT_T0_E_clISt17integral_constantIbLb0EES17_IbLb1EEEEDaS13_S14_EUlS13_E_NS1_11comp_targetILNS1_3genE3ELNS1_11target_archE908ELNS1_3gpuE7ELNS1_3repE0EEENS1_30default_config_static_selectorELNS0_4arch9wavefront6targetE0EEEvT1_.kd
    .uniform_work_group_size: 1
    .uses_dynamic_stack: false
    .vgpr_count:     0
    .vgpr_spill_count: 0
    .wavefront_size: 32
    .workgroup_processor_mode: 1
  - .args:
      - .offset:         0
        .size:           128
        .value_kind:     by_value
    .group_segment_fixed_size: 0
    .kernarg_segment_align: 8
    .kernarg_segment_size: 128
    .language:       OpenCL C
    .language_version:
      - 2
      - 0
    .max_flat_workgroup_size: 256
    .name:           _ZN7rocprim17ROCPRIM_400000_NS6detail17trampoline_kernelINS0_14default_configENS1_25partition_config_selectorILNS1_17partition_subalgoE6EdNS0_10empty_typeEbEEZZNS1_14partition_implILS5_6ELb0ES3_mN6thrust23THRUST_200600_302600_NS6detail15normal_iteratorINSA_10device_ptrIdEEEEPS6_SG_NS0_5tupleIJSF_S6_EEENSH_IJSG_SG_EEES6_PlJNSB_9not_fun_tI7is_evenIdEEEEEE10hipError_tPvRmT3_T4_T5_T6_T7_T9_mT8_P12ihipStream_tbDpT10_ENKUlT_T0_E_clISt17integral_constantIbLb0EES17_IbLb1EEEEDaS13_S14_EUlS13_E_NS1_11comp_targetILNS1_3genE2ELNS1_11target_archE906ELNS1_3gpuE6ELNS1_3repE0EEENS1_30default_config_static_selectorELNS0_4arch9wavefront6targetE0EEEvT1_
    .private_segment_fixed_size: 0
    .sgpr_count:     0
    .sgpr_spill_count: 0
    .symbol:         _ZN7rocprim17ROCPRIM_400000_NS6detail17trampoline_kernelINS0_14default_configENS1_25partition_config_selectorILNS1_17partition_subalgoE6EdNS0_10empty_typeEbEEZZNS1_14partition_implILS5_6ELb0ES3_mN6thrust23THRUST_200600_302600_NS6detail15normal_iteratorINSA_10device_ptrIdEEEEPS6_SG_NS0_5tupleIJSF_S6_EEENSH_IJSG_SG_EEES6_PlJNSB_9not_fun_tI7is_evenIdEEEEEE10hipError_tPvRmT3_T4_T5_T6_T7_T9_mT8_P12ihipStream_tbDpT10_ENKUlT_T0_E_clISt17integral_constantIbLb0EES17_IbLb1EEEEDaS13_S14_EUlS13_E_NS1_11comp_targetILNS1_3genE2ELNS1_11target_archE906ELNS1_3gpuE6ELNS1_3repE0EEENS1_30default_config_static_selectorELNS0_4arch9wavefront6targetE0EEEvT1_.kd
    .uniform_work_group_size: 1
    .uses_dynamic_stack: false
    .vgpr_count:     0
    .vgpr_spill_count: 0
    .wavefront_size: 32
    .workgroup_processor_mode: 1
  - .args:
      - .offset:         0
        .size:           128
        .value_kind:     by_value
    .group_segment_fixed_size: 8464
    .kernarg_segment_align: 8
    .kernarg_segment_size: 128
    .language:       OpenCL C
    .language_version:
      - 2
      - 0
    .max_flat_workgroup_size: 256
    .name:           _ZN7rocprim17ROCPRIM_400000_NS6detail17trampoline_kernelINS0_14default_configENS1_25partition_config_selectorILNS1_17partition_subalgoE6EdNS0_10empty_typeEbEEZZNS1_14partition_implILS5_6ELb0ES3_mN6thrust23THRUST_200600_302600_NS6detail15normal_iteratorINSA_10device_ptrIdEEEEPS6_SG_NS0_5tupleIJSF_S6_EEENSH_IJSG_SG_EEES6_PlJNSB_9not_fun_tI7is_evenIdEEEEEE10hipError_tPvRmT3_T4_T5_T6_T7_T9_mT8_P12ihipStream_tbDpT10_ENKUlT_T0_E_clISt17integral_constantIbLb0EES17_IbLb1EEEEDaS13_S14_EUlS13_E_NS1_11comp_targetILNS1_3genE10ELNS1_11target_archE1200ELNS1_3gpuE4ELNS1_3repE0EEENS1_30default_config_static_selectorELNS0_4arch9wavefront6targetE0EEEvT1_
    .private_segment_fixed_size: 0
    .sgpr_count:     24
    .sgpr_spill_count: 0
    .symbol:         _ZN7rocprim17ROCPRIM_400000_NS6detail17trampoline_kernelINS0_14default_configENS1_25partition_config_selectorILNS1_17partition_subalgoE6EdNS0_10empty_typeEbEEZZNS1_14partition_implILS5_6ELb0ES3_mN6thrust23THRUST_200600_302600_NS6detail15normal_iteratorINSA_10device_ptrIdEEEEPS6_SG_NS0_5tupleIJSF_S6_EEENSH_IJSG_SG_EEES6_PlJNSB_9not_fun_tI7is_evenIdEEEEEE10hipError_tPvRmT3_T4_T5_T6_T7_T9_mT8_P12ihipStream_tbDpT10_ENKUlT_T0_E_clISt17integral_constantIbLb0EES17_IbLb1EEEEDaS13_S14_EUlS13_E_NS1_11comp_targetILNS1_3genE10ELNS1_11target_archE1200ELNS1_3gpuE4ELNS1_3repE0EEENS1_30default_config_static_selectorELNS0_4arch9wavefront6targetE0EEEvT1_.kd
    .uniform_work_group_size: 1
    .uses_dynamic_stack: false
    .vgpr_count:     49
    .vgpr_spill_count: 0
    .wavefront_size: 32
    .workgroup_processor_mode: 1
  - .args:
      - .offset:         0
        .size:           128
        .value_kind:     by_value
    .group_segment_fixed_size: 0
    .kernarg_segment_align: 8
    .kernarg_segment_size: 128
    .language:       OpenCL C
    .language_version:
      - 2
      - 0
    .max_flat_workgroup_size: 384
    .name:           _ZN7rocprim17ROCPRIM_400000_NS6detail17trampoline_kernelINS0_14default_configENS1_25partition_config_selectorILNS1_17partition_subalgoE6EdNS0_10empty_typeEbEEZZNS1_14partition_implILS5_6ELb0ES3_mN6thrust23THRUST_200600_302600_NS6detail15normal_iteratorINSA_10device_ptrIdEEEEPS6_SG_NS0_5tupleIJSF_S6_EEENSH_IJSG_SG_EEES6_PlJNSB_9not_fun_tI7is_evenIdEEEEEE10hipError_tPvRmT3_T4_T5_T6_T7_T9_mT8_P12ihipStream_tbDpT10_ENKUlT_T0_E_clISt17integral_constantIbLb0EES17_IbLb1EEEEDaS13_S14_EUlS13_E_NS1_11comp_targetILNS1_3genE9ELNS1_11target_archE1100ELNS1_3gpuE3ELNS1_3repE0EEENS1_30default_config_static_selectorELNS0_4arch9wavefront6targetE0EEEvT1_
    .private_segment_fixed_size: 0
    .sgpr_count:     0
    .sgpr_spill_count: 0
    .symbol:         _ZN7rocprim17ROCPRIM_400000_NS6detail17trampoline_kernelINS0_14default_configENS1_25partition_config_selectorILNS1_17partition_subalgoE6EdNS0_10empty_typeEbEEZZNS1_14partition_implILS5_6ELb0ES3_mN6thrust23THRUST_200600_302600_NS6detail15normal_iteratorINSA_10device_ptrIdEEEEPS6_SG_NS0_5tupleIJSF_S6_EEENSH_IJSG_SG_EEES6_PlJNSB_9not_fun_tI7is_evenIdEEEEEE10hipError_tPvRmT3_T4_T5_T6_T7_T9_mT8_P12ihipStream_tbDpT10_ENKUlT_T0_E_clISt17integral_constantIbLb0EES17_IbLb1EEEEDaS13_S14_EUlS13_E_NS1_11comp_targetILNS1_3genE9ELNS1_11target_archE1100ELNS1_3gpuE3ELNS1_3repE0EEENS1_30default_config_static_selectorELNS0_4arch9wavefront6targetE0EEEvT1_.kd
    .uniform_work_group_size: 1
    .uses_dynamic_stack: false
    .vgpr_count:     0
    .vgpr_spill_count: 0
    .wavefront_size: 32
    .workgroup_processor_mode: 1
  - .args:
      - .offset:         0
        .size:           128
        .value_kind:     by_value
    .group_segment_fixed_size: 0
    .kernarg_segment_align: 8
    .kernarg_segment_size: 128
    .language:       OpenCL C
    .language_version:
      - 2
      - 0
    .max_flat_workgroup_size: 512
    .name:           _ZN7rocprim17ROCPRIM_400000_NS6detail17trampoline_kernelINS0_14default_configENS1_25partition_config_selectorILNS1_17partition_subalgoE6EdNS0_10empty_typeEbEEZZNS1_14partition_implILS5_6ELb0ES3_mN6thrust23THRUST_200600_302600_NS6detail15normal_iteratorINSA_10device_ptrIdEEEEPS6_SG_NS0_5tupleIJSF_S6_EEENSH_IJSG_SG_EEES6_PlJNSB_9not_fun_tI7is_evenIdEEEEEE10hipError_tPvRmT3_T4_T5_T6_T7_T9_mT8_P12ihipStream_tbDpT10_ENKUlT_T0_E_clISt17integral_constantIbLb0EES17_IbLb1EEEEDaS13_S14_EUlS13_E_NS1_11comp_targetILNS1_3genE8ELNS1_11target_archE1030ELNS1_3gpuE2ELNS1_3repE0EEENS1_30default_config_static_selectorELNS0_4arch9wavefront6targetE0EEEvT1_
    .private_segment_fixed_size: 0
    .sgpr_count:     0
    .sgpr_spill_count: 0
    .symbol:         _ZN7rocprim17ROCPRIM_400000_NS6detail17trampoline_kernelINS0_14default_configENS1_25partition_config_selectorILNS1_17partition_subalgoE6EdNS0_10empty_typeEbEEZZNS1_14partition_implILS5_6ELb0ES3_mN6thrust23THRUST_200600_302600_NS6detail15normal_iteratorINSA_10device_ptrIdEEEEPS6_SG_NS0_5tupleIJSF_S6_EEENSH_IJSG_SG_EEES6_PlJNSB_9not_fun_tI7is_evenIdEEEEEE10hipError_tPvRmT3_T4_T5_T6_T7_T9_mT8_P12ihipStream_tbDpT10_ENKUlT_T0_E_clISt17integral_constantIbLb0EES17_IbLb1EEEEDaS13_S14_EUlS13_E_NS1_11comp_targetILNS1_3genE8ELNS1_11target_archE1030ELNS1_3gpuE2ELNS1_3repE0EEENS1_30default_config_static_selectorELNS0_4arch9wavefront6targetE0EEEvT1_.kd
    .uniform_work_group_size: 1
    .uses_dynamic_stack: false
    .vgpr_count:     0
    .vgpr_spill_count: 0
    .wavefront_size: 32
    .workgroup_processor_mode: 1
  - .args:
      - .offset:         0
        .size:           112
        .value_kind:     by_value
    .group_segment_fixed_size: 0
    .kernarg_segment_align: 8
    .kernarg_segment_size: 112
    .language:       OpenCL C
    .language_version:
      - 2
      - 0
    .max_flat_workgroup_size: 256
    .name:           _ZN7rocprim17ROCPRIM_400000_NS6detail17trampoline_kernelINS0_14default_configENS1_25partition_config_selectorILNS1_17partition_subalgoE6EfNS0_10empty_typeEbEEZZNS1_14partition_implILS5_6ELb0ES3_mN6thrust23THRUST_200600_302600_NS6detail15normal_iteratorINSA_10device_ptrIfEEEEPS6_SG_NS0_5tupleIJSF_S6_EEENSH_IJSG_SG_EEES6_PlJNSB_9not_fun_tI7is_evenIfEEEEEE10hipError_tPvRmT3_T4_T5_T6_T7_T9_mT8_P12ihipStream_tbDpT10_ENKUlT_T0_E_clISt17integral_constantIbLb0EES18_EEDaS13_S14_EUlS13_E_NS1_11comp_targetILNS1_3genE0ELNS1_11target_archE4294967295ELNS1_3gpuE0ELNS1_3repE0EEENS1_30default_config_static_selectorELNS0_4arch9wavefront6targetE0EEEvT1_
    .private_segment_fixed_size: 0
    .sgpr_count:     0
    .sgpr_spill_count: 0
    .symbol:         _ZN7rocprim17ROCPRIM_400000_NS6detail17trampoline_kernelINS0_14default_configENS1_25partition_config_selectorILNS1_17partition_subalgoE6EfNS0_10empty_typeEbEEZZNS1_14partition_implILS5_6ELb0ES3_mN6thrust23THRUST_200600_302600_NS6detail15normal_iteratorINSA_10device_ptrIfEEEEPS6_SG_NS0_5tupleIJSF_S6_EEENSH_IJSG_SG_EEES6_PlJNSB_9not_fun_tI7is_evenIfEEEEEE10hipError_tPvRmT3_T4_T5_T6_T7_T9_mT8_P12ihipStream_tbDpT10_ENKUlT_T0_E_clISt17integral_constantIbLb0EES18_EEDaS13_S14_EUlS13_E_NS1_11comp_targetILNS1_3genE0ELNS1_11target_archE4294967295ELNS1_3gpuE0ELNS1_3repE0EEENS1_30default_config_static_selectorELNS0_4arch9wavefront6targetE0EEEvT1_.kd
    .uniform_work_group_size: 1
    .uses_dynamic_stack: false
    .vgpr_count:     0
    .vgpr_spill_count: 0
    .wavefront_size: 32
    .workgroup_processor_mode: 1
  - .args:
      - .offset:         0
        .size:           112
        .value_kind:     by_value
    .group_segment_fixed_size: 0
    .kernarg_segment_align: 8
    .kernarg_segment_size: 112
    .language:       OpenCL C
    .language_version:
      - 2
      - 0
    .max_flat_workgroup_size: 512
    .name:           _ZN7rocprim17ROCPRIM_400000_NS6detail17trampoline_kernelINS0_14default_configENS1_25partition_config_selectorILNS1_17partition_subalgoE6EfNS0_10empty_typeEbEEZZNS1_14partition_implILS5_6ELb0ES3_mN6thrust23THRUST_200600_302600_NS6detail15normal_iteratorINSA_10device_ptrIfEEEEPS6_SG_NS0_5tupleIJSF_S6_EEENSH_IJSG_SG_EEES6_PlJNSB_9not_fun_tI7is_evenIfEEEEEE10hipError_tPvRmT3_T4_T5_T6_T7_T9_mT8_P12ihipStream_tbDpT10_ENKUlT_T0_E_clISt17integral_constantIbLb0EES18_EEDaS13_S14_EUlS13_E_NS1_11comp_targetILNS1_3genE5ELNS1_11target_archE942ELNS1_3gpuE9ELNS1_3repE0EEENS1_30default_config_static_selectorELNS0_4arch9wavefront6targetE0EEEvT1_
    .private_segment_fixed_size: 0
    .sgpr_count:     0
    .sgpr_spill_count: 0
    .symbol:         _ZN7rocprim17ROCPRIM_400000_NS6detail17trampoline_kernelINS0_14default_configENS1_25partition_config_selectorILNS1_17partition_subalgoE6EfNS0_10empty_typeEbEEZZNS1_14partition_implILS5_6ELb0ES3_mN6thrust23THRUST_200600_302600_NS6detail15normal_iteratorINSA_10device_ptrIfEEEEPS6_SG_NS0_5tupleIJSF_S6_EEENSH_IJSG_SG_EEES6_PlJNSB_9not_fun_tI7is_evenIfEEEEEE10hipError_tPvRmT3_T4_T5_T6_T7_T9_mT8_P12ihipStream_tbDpT10_ENKUlT_T0_E_clISt17integral_constantIbLb0EES18_EEDaS13_S14_EUlS13_E_NS1_11comp_targetILNS1_3genE5ELNS1_11target_archE942ELNS1_3gpuE9ELNS1_3repE0EEENS1_30default_config_static_selectorELNS0_4arch9wavefront6targetE0EEEvT1_.kd
    .uniform_work_group_size: 1
    .uses_dynamic_stack: false
    .vgpr_count:     0
    .vgpr_spill_count: 0
    .wavefront_size: 32
    .workgroup_processor_mode: 1
  - .args:
      - .offset:         0
        .size:           112
        .value_kind:     by_value
    .group_segment_fixed_size: 0
    .kernarg_segment_align: 8
    .kernarg_segment_size: 112
    .language:       OpenCL C
    .language_version:
      - 2
      - 0
    .max_flat_workgroup_size: 512
    .name:           _ZN7rocprim17ROCPRIM_400000_NS6detail17trampoline_kernelINS0_14default_configENS1_25partition_config_selectorILNS1_17partition_subalgoE6EfNS0_10empty_typeEbEEZZNS1_14partition_implILS5_6ELb0ES3_mN6thrust23THRUST_200600_302600_NS6detail15normal_iteratorINSA_10device_ptrIfEEEEPS6_SG_NS0_5tupleIJSF_S6_EEENSH_IJSG_SG_EEES6_PlJNSB_9not_fun_tI7is_evenIfEEEEEE10hipError_tPvRmT3_T4_T5_T6_T7_T9_mT8_P12ihipStream_tbDpT10_ENKUlT_T0_E_clISt17integral_constantIbLb0EES18_EEDaS13_S14_EUlS13_E_NS1_11comp_targetILNS1_3genE4ELNS1_11target_archE910ELNS1_3gpuE8ELNS1_3repE0EEENS1_30default_config_static_selectorELNS0_4arch9wavefront6targetE0EEEvT1_
    .private_segment_fixed_size: 0
    .sgpr_count:     0
    .sgpr_spill_count: 0
    .symbol:         _ZN7rocprim17ROCPRIM_400000_NS6detail17trampoline_kernelINS0_14default_configENS1_25partition_config_selectorILNS1_17partition_subalgoE6EfNS0_10empty_typeEbEEZZNS1_14partition_implILS5_6ELb0ES3_mN6thrust23THRUST_200600_302600_NS6detail15normal_iteratorINSA_10device_ptrIfEEEEPS6_SG_NS0_5tupleIJSF_S6_EEENSH_IJSG_SG_EEES6_PlJNSB_9not_fun_tI7is_evenIfEEEEEE10hipError_tPvRmT3_T4_T5_T6_T7_T9_mT8_P12ihipStream_tbDpT10_ENKUlT_T0_E_clISt17integral_constantIbLb0EES18_EEDaS13_S14_EUlS13_E_NS1_11comp_targetILNS1_3genE4ELNS1_11target_archE910ELNS1_3gpuE8ELNS1_3repE0EEENS1_30default_config_static_selectorELNS0_4arch9wavefront6targetE0EEEvT1_.kd
    .uniform_work_group_size: 1
    .uses_dynamic_stack: false
    .vgpr_count:     0
    .vgpr_spill_count: 0
    .wavefront_size: 32
    .workgroup_processor_mode: 1
  - .args:
      - .offset:         0
        .size:           112
        .value_kind:     by_value
    .group_segment_fixed_size: 0
    .kernarg_segment_align: 8
    .kernarg_segment_size: 112
    .language:       OpenCL C
    .language_version:
      - 2
      - 0
    .max_flat_workgroup_size: 256
    .name:           _ZN7rocprim17ROCPRIM_400000_NS6detail17trampoline_kernelINS0_14default_configENS1_25partition_config_selectorILNS1_17partition_subalgoE6EfNS0_10empty_typeEbEEZZNS1_14partition_implILS5_6ELb0ES3_mN6thrust23THRUST_200600_302600_NS6detail15normal_iteratorINSA_10device_ptrIfEEEEPS6_SG_NS0_5tupleIJSF_S6_EEENSH_IJSG_SG_EEES6_PlJNSB_9not_fun_tI7is_evenIfEEEEEE10hipError_tPvRmT3_T4_T5_T6_T7_T9_mT8_P12ihipStream_tbDpT10_ENKUlT_T0_E_clISt17integral_constantIbLb0EES18_EEDaS13_S14_EUlS13_E_NS1_11comp_targetILNS1_3genE3ELNS1_11target_archE908ELNS1_3gpuE7ELNS1_3repE0EEENS1_30default_config_static_selectorELNS0_4arch9wavefront6targetE0EEEvT1_
    .private_segment_fixed_size: 0
    .sgpr_count:     0
    .sgpr_spill_count: 0
    .symbol:         _ZN7rocprim17ROCPRIM_400000_NS6detail17trampoline_kernelINS0_14default_configENS1_25partition_config_selectorILNS1_17partition_subalgoE6EfNS0_10empty_typeEbEEZZNS1_14partition_implILS5_6ELb0ES3_mN6thrust23THRUST_200600_302600_NS6detail15normal_iteratorINSA_10device_ptrIfEEEEPS6_SG_NS0_5tupleIJSF_S6_EEENSH_IJSG_SG_EEES6_PlJNSB_9not_fun_tI7is_evenIfEEEEEE10hipError_tPvRmT3_T4_T5_T6_T7_T9_mT8_P12ihipStream_tbDpT10_ENKUlT_T0_E_clISt17integral_constantIbLb0EES18_EEDaS13_S14_EUlS13_E_NS1_11comp_targetILNS1_3genE3ELNS1_11target_archE908ELNS1_3gpuE7ELNS1_3repE0EEENS1_30default_config_static_selectorELNS0_4arch9wavefront6targetE0EEEvT1_.kd
    .uniform_work_group_size: 1
    .uses_dynamic_stack: false
    .vgpr_count:     0
    .vgpr_spill_count: 0
    .wavefront_size: 32
    .workgroup_processor_mode: 1
  - .args:
      - .offset:         0
        .size:           112
        .value_kind:     by_value
    .group_segment_fixed_size: 0
    .kernarg_segment_align: 8
    .kernarg_segment_size: 112
    .language:       OpenCL C
    .language_version:
      - 2
      - 0
    .max_flat_workgroup_size: 256
    .name:           _ZN7rocprim17ROCPRIM_400000_NS6detail17trampoline_kernelINS0_14default_configENS1_25partition_config_selectorILNS1_17partition_subalgoE6EfNS0_10empty_typeEbEEZZNS1_14partition_implILS5_6ELb0ES3_mN6thrust23THRUST_200600_302600_NS6detail15normal_iteratorINSA_10device_ptrIfEEEEPS6_SG_NS0_5tupleIJSF_S6_EEENSH_IJSG_SG_EEES6_PlJNSB_9not_fun_tI7is_evenIfEEEEEE10hipError_tPvRmT3_T4_T5_T6_T7_T9_mT8_P12ihipStream_tbDpT10_ENKUlT_T0_E_clISt17integral_constantIbLb0EES18_EEDaS13_S14_EUlS13_E_NS1_11comp_targetILNS1_3genE2ELNS1_11target_archE906ELNS1_3gpuE6ELNS1_3repE0EEENS1_30default_config_static_selectorELNS0_4arch9wavefront6targetE0EEEvT1_
    .private_segment_fixed_size: 0
    .sgpr_count:     0
    .sgpr_spill_count: 0
    .symbol:         _ZN7rocprim17ROCPRIM_400000_NS6detail17trampoline_kernelINS0_14default_configENS1_25partition_config_selectorILNS1_17partition_subalgoE6EfNS0_10empty_typeEbEEZZNS1_14partition_implILS5_6ELb0ES3_mN6thrust23THRUST_200600_302600_NS6detail15normal_iteratorINSA_10device_ptrIfEEEEPS6_SG_NS0_5tupleIJSF_S6_EEENSH_IJSG_SG_EEES6_PlJNSB_9not_fun_tI7is_evenIfEEEEEE10hipError_tPvRmT3_T4_T5_T6_T7_T9_mT8_P12ihipStream_tbDpT10_ENKUlT_T0_E_clISt17integral_constantIbLb0EES18_EEDaS13_S14_EUlS13_E_NS1_11comp_targetILNS1_3genE2ELNS1_11target_archE906ELNS1_3gpuE6ELNS1_3repE0EEENS1_30default_config_static_selectorELNS0_4arch9wavefront6targetE0EEEvT1_.kd
    .uniform_work_group_size: 1
    .uses_dynamic_stack: false
    .vgpr_count:     0
    .vgpr_spill_count: 0
    .wavefront_size: 32
    .workgroup_processor_mode: 1
  - .args:
      - .offset:         0
        .size:           112
        .value_kind:     by_value
    .group_segment_fixed_size: 10768
    .kernarg_segment_align: 8
    .kernarg_segment_size: 112
    .language:       OpenCL C
    .language_version:
      - 2
      - 0
    .max_flat_workgroup_size: 384
    .name:           _ZN7rocprim17ROCPRIM_400000_NS6detail17trampoline_kernelINS0_14default_configENS1_25partition_config_selectorILNS1_17partition_subalgoE6EfNS0_10empty_typeEbEEZZNS1_14partition_implILS5_6ELb0ES3_mN6thrust23THRUST_200600_302600_NS6detail15normal_iteratorINSA_10device_ptrIfEEEEPS6_SG_NS0_5tupleIJSF_S6_EEENSH_IJSG_SG_EEES6_PlJNSB_9not_fun_tI7is_evenIfEEEEEE10hipError_tPvRmT3_T4_T5_T6_T7_T9_mT8_P12ihipStream_tbDpT10_ENKUlT_T0_E_clISt17integral_constantIbLb0EES18_EEDaS13_S14_EUlS13_E_NS1_11comp_targetILNS1_3genE10ELNS1_11target_archE1200ELNS1_3gpuE4ELNS1_3repE0EEENS1_30default_config_static_selectorELNS0_4arch9wavefront6targetE0EEEvT1_
    .private_segment_fixed_size: 0
    .sgpr_count:     21
    .sgpr_spill_count: 0
    .symbol:         _ZN7rocprim17ROCPRIM_400000_NS6detail17trampoline_kernelINS0_14default_configENS1_25partition_config_selectorILNS1_17partition_subalgoE6EfNS0_10empty_typeEbEEZZNS1_14partition_implILS5_6ELb0ES3_mN6thrust23THRUST_200600_302600_NS6detail15normal_iteratorINSA_10device_ptrIfEEEEPS6_SG_NS0_5tupleIJSF_S6_EEENSH_IJSG_SG_EEES6_PlJNSB_9not_fun_tI7is_evenIfEEEEEE10hipError_tPvRmT3_T4_T5_T6_T7_T9_mT8_P12ihipStream_tbDpT10_ENKUlT_T0_E_clISt17integral_constantIbLb0EES18_EEDaS13_S14_EUlS13_E_NS1_11comp_targetILNS1_3genE10ELNS1_11target_archE1200ELNS1_3gpuE4ELNS1_3repE0EEENS1_30default_config_static_selectorELNS0_4arch9wavefront6targetE0EEEvT1_.kd
    .uniform_work_group_size: 1
    .uses_dynamic_stack: false
    .vgpr_count:     50
    .vgpr_spill_count: 0
    .wavefront_size: 32
    .workgroup_processor_mode: 1
  - .args:
      - .offset:         0
        .size:           112
        .value_kind:     by_value
    .group_segment_fixed_size: 0
    .kernarg_segment_align: 8
    .kernarg_segment_size: 112
    .language:       OpenCL C
    .language_version:
      - 2
      - 0
    .max_flat_workgroup_size: 128
    .name:           _ZN7rocprim17ROCPRIM_400000_NS6detail17trampoline_kernelINS0_14default_configENS1_25partition_config_selectorILNS1_17partition_subalgoE6EfNS0_10empty_typeEbEEZZNS1_14partition_implILS5_6ELb0ES3_mN6thrust23THRUST_200600_302600_NS6detail15normal_iteratorINSA_10device_ptrIfEEEEPS6_SG_NS0_5tupleIJSF_S6_EEENSH_IJSG_SG_EEES6_PlJNSB_9not_fun_tI7is_evenIfEEEEEE10hipError_tPvRmT3_T4_T5_T6_T7_T9_mT8_P12ihipStream_tbDpT10_ENKUlT_T0_E_clISt17integral_constantIbLb0EES18_EEDaS13_S14_EUlS13_E_NS1_11comp_targetILNS1_3genE9ELNS1_11target_archE1100ELNS1_3gpuE3ELNS1_3repE0EEENS1_30default_config_static_selectorELNS0_4arch9wavefront6targetE0EEEvT1_
    .private_segment_fixed_size: 0
    .sgpr_count:     0
    .sgpr_spill_count: 0
    .symbol:         _ZN7rocprim17ROCPRIM_400000_NS6detail17trampoline_kernelINS0_14default_configENS1_25partition_config_selectorILNS1_17partition_subalgoE6EfNS0_10empty_typeEbEEZZNS1_14partition_implILS5_6ELb0ES3_mN6thrust23THRUST_200600_302600_NS6detail15normal_iteratorINSA_10device_ptrIfEEEEPS6_SG_NS0_5tupleIJSF_S6_EEENSH_IJSG_SG_EEES6_PlJNSB_9not_fun_tI7is_evenIfEEEEEE10hipError_tPvRmT3_T4_T5_T6_T7_T9_mT8_P12ihipStream_tbDpT10_ENKUlT_T0_E_clISt17integral_constantIbLb0EES18_EEDaS13_S14_EUlS13_E_NS1_11comp_targetILNS1_3genE9ELNS1_11target_archE1100ELNS1_3gpuE3ELNS1_3repE0EEENS1_30default_config_static_selectorELNS0_4arch9wavefront6targetE0EEEvT1_.kd
    .uniform_work_group_size: 1
    .uses_dynamic_stack: false
    .vgpr_count:     0
    .vgpr_spill_count: 0
    .wavefront_size: 32
    .workgroup_processor_mode: 1
  - .args:
      - .offset:         0
        .size:           112
        .value_kind:     by_value
    .group_segment_fixed_size: 0
    .kernarg_segment_align: 8
    .kernarg_segment_size: 112
    .language:       OpenCL C
    .language_version:
      - 2
      - 0
    .max_flat_workgroup_size: 512
    .name:           _ZN7rocprim17ROCPRIM_400000_NS6detail17trampoline_kernelINS0_14default_configENS1_25partition_config_selectorILNS1_17partition_subalgoE6EfNS0_10empty_typeEbEEZZNS1_14partition_implILS5_6ELb0ES3_mN6thrust23THRUST_200600_302600_NS6detail15normal_iteratorINSA_10device_ptrIfEEEEPS6_SG_NS0_5tupleIJSF_S6_EEENSH_IJSG_SG_EEES6_PlJNSB_9not_fun_tI7is_evenIfEEEEEE10hipError_tPvRmT3_T4_T5_T6_T7_T9_mT8_P12ihipStream_tbDpT10_ENKUlT_T0_E_clISt17integral_constantIbLb0EES18_EEDaS13_S14_EUlS13_E_NS1_11comp_targetILNS1_3genE8ELNS1_11target_archE1030ELNS1_3gpuE2ELNS1_3repE0EEENS1_30default_config_static_selectorELNS0_4arch9wavefront6targetE0EEEvT1_
    .private_segment_fixed_size: 0
    .sgpr_count:     0
    .sgpr_spill_count: 0
    .symbol:         _ZN7rocprim17ROCPRIM_400000_NS6detail17trampoline_kernelINS0_14default_configENS1_25partition_config_selectorILNS1_17partition_subalgoE6EfNS0_10empty_typeEbEEZZNS1_14partition_implILS5_6ELb0ES3_mN6thrust23THRUST_200600_302600_NS6detail15normal_iteratorINSA_10device_ptrIfEEEEPS6_SG_NS0_5tupleIJSF_S6_EEENSH_IJSG_SG_EEES6_PlJNSB_9not_fun_tI7is_evenIfEEEEEE10hipError_tPvRmT3_T4_T5_T6_T7_T9_mT8_P12ihipStream_tbDpT10_ENKUlT_T0_E_clISt17integral_constantIbLb0EES18_EEDaS13_S14_EUlS13_E_NS1_11comp_targetILNS1_3genE8ELNS1_11target_archE1030ELNS1_3gpuE2ELNS1_3repE0EEENS1_30default_config_static_selectorELNS0_4arch9wavefront6targetE0EEEvT1_.kd
    .uniform_work_group_size: 1
    .uses_dynamic_stack: false
    .vgpr_count:     0
    .vgpr_spill_count: 0
    .wavefront_size: 32
    .workgroup_processor_mode: 1
  - .args:
      - .offset:         0
        .size:           128
        .value_kind:     by_value
    .group_segment_fixed_size: 0
    .kernarg_segment_align: 8
    .kernarg_segment_size: 128
    .language:       OpenCL C
    .language_version:
      - 2
      - 0
    .max_flat_workgroup_size: 256
    .name:           _ZN7rocprim17ROCPRIM_400000_NS6detail17trampoline_kernelINS0_14default_configENS1_25partition_config_selectorILNS1_17partition_subalgoE6EfNS0_10empty_typeEbEEZZNS1_14partition_implILS5_6ELb0ES3_mN6thrust23THRUST_200600_302600_NS6detail15normal_iteratorINSA_10device_ptrIfEEEEPS6_SG_NS0_5tupleIJSF_S6_EEENSH_IJSG_SG_EEES6_PlJNSB_9not_fun_tI7is_evenIfEEEEEE10hipError_tPvRmT3_T4_T5_T6_T7_T9_mT8_P12ihipStream_tbDpT10_ENKUlT_T0_E_clISt17integral_constantIbLb1EES18_EEDaS13_S14_EUlS13_E_NS1_11comp_targetILNS1_3genE0ELNS1_11target_archE4294967295ELNS1_3gpuE0ELNS1_3repE0EEENS1_30default_config_static_selectorELNS0_4arch9wavefront6targetE0EEEvT1_
    .private_segment_fixed_size: 0
    .sgpr_count:     0
    .sgpr_spill_count: 0
    .symbol:         _ZN7rocprim17ROCPRIM_400000_NS6detail17trampoline_kernelINS0_14default_configENS1_25partition_config_selectorILNS1_17partition_subalgoE6EfNS0_10empty_typeEbEEZZNS1_14partition_implILS5_6ELb0ES3_mN6thrust23THRUST_200600_302600_NS6detail15normal_iteratorINSA_10device_ptrIfEEEEPS6_SG_NS0_5tupleIJSF_S6_EEENSH_IJSG_SG_EEES6_PlJNSB_9not_fun_tI7is_evenIfEEEEEE10hipError_tPvRmT3_T4_T5_T6_T7_T9_mT8_P12ihipStream_tbDpT10_ENKUlT_T0_E_clISt17integral_constantIbLb1EES18_EEDaS13_S14_EUlS13_E_NS1_11comp_targetILNS1_3genE0ELNS1_11target_archE4294967295ELNS1_3gpuE0ELNS1_3repE0EEENS1_30default_config_static_selectorELNS0_4arch9wavefront6targetE0EEEvT1_.kd
    .uniform_work_group_size: 1
    .uses_dynamic_stack: false
    .vgpr_count:     0
    .vgpr_spill_count: 0
    .wavefront_size: 32
    .workgroup_processor_mode: 1
  - .args:
      - .offset:         0
        .size:           128
        .value_kind:     by_value
    .group_segment_fixed_size: 0
    .kernarg_segment_align: 8
    .kernarg_segment_size: 128
    .language:       OpenCL C
    .language_version:
      - 2
      - 0
    .max_flat_workgroup_size: 512
    .name:           _ZN7rocprim17ROCPRIM_400000_NS6detail17trampoline_kernelINS0_14default_configENS1_25partition_config_selectorILNS1_17partition_subalgoE6EfNS0_10empty_typeEbEEZZNS1_14partition_implILS5_6ELb0ES3_mN6thrust23THRUST_200600_302600_NS6detail15normal_iteratorINSA_10device_ptrIfEEEEPS6_SG_NS0_5tupleIJSF_S6_EEENSH_IJSG_SG_EEES6_PlJNSB_9not_fun_tI7is_evenIfEEEEEE10hipError_tPvRmT3_T4_T5_T6_T7_T9_mT8_P12ihipStream_tbDpT10_ENKUlT_T0_E_clISt17integral_constantIbLb1EES18_EEDaS13_S14_EUlS13_E_NS1_11comp_targetILNS1_3genE5ELNS1_11target_archE942ELNS1_3gpuE9ELNS1_3repE0EEENS1_30default_config_static_selectorELNS0_4arch9wavefront6targetE0EEEvT1_
    .private_segment_fixed_size: 0
    .sgpr_count:     0
    .sgpr_spill_count: 0
    .symbol:         _ZN7rocprim17ROCPRIM_400000_NS6detail17trampoline_kernelINS0_14default_configENS1_25partition_config_selectorILNS1_17partition_subalgoE6EfNS0_10empty_typeEbEEZZNS1_14partition_implILS5_6ELb0ES3_mN6thrust23THRUST_200600_302600_NS6detail15normal_iteratorINSA_10device_ptrIfEEEEPS6_SG_NS0_5tupleIJSF_S6_EEENSH_IJSG_SG_EEES6_PlJNSB_9not_fun_tI7is_evenIfEEEEEE10hipError_tPvRmT3_T4_T5_T6_T7_T9_mT8_P12ihipStream_tbDpT10_ENKUlT_T0_E_clISt17integral_constantIbLb1EES18_EEDaS13_S14_EUlS13_E_NS1_11comp_targetILNS1_3genE5ELNS1_11target_archE942ELNS1_3gpuE9ELNS1_3repE0EEENS1_30default_config_static_selectorELNS0_4arch9wavefront6targetE0EEEvT1_.kd
    .uniform_work_group_size: 1
    .uses_dynamic_stack: false
    .vgpr_count:     0
    .vgpr_spill_count: 0
    .wavefront_size: 32
    .workgroup_processor_mode: 1
  - .args:
      - .offset:         0
        .size:           128
        .value_kind:     by_value
    .group_segment_fixed_size: 0
    .kernarg_segment_align: 8
    .kernarg_segment_size: 128
    .language:       OpenCL C
    .language_version:
      - 2
      - 0
    .max_flat_workgroup_size: 512
    .name:           _ZN7rocprim17ROCPRIM_400000_NS6detail17trampoline_kernelINS0_14default_configENS1_25partition_config_selectorILNS1_17partition_subalgoE6EfNS0_10empty_typeEbEEZZNS1_14partition_implILS5_6ELb0ES3_mN6thrust23THRUST_200600_302600_NS6detail15normal_iteratorINSA_10device_ptrIfEEEEPS6_SG_NS0_5tupleIJSF_S6_EEENSH_IJSG_SG_EEES6_PlJNSB_9not_fun_tI7is_evenIfEEEEEE10hipError_tPvRmT3_T4_T5_T6_T7_T9_mT8_P12ihipStream_tbDpT10_ENKUlT_T0_E_clISt17integral_constantIbLb1EES18_EEDaS13_S14_EUlS13_E_NS1_11comp_targetILNS1_3genE4ELNS1_11target_archE910ELNS1_3gpuE8ELNS1_3repE0EEENS1_30default_config_static_selectorELNS0_4arch9wavefront6targetE0EEEvT1_
    .private_segment_fixed_size: 0
    .sgpr_count:     0
    .sgpr_spill_count: 0
    .symbol:         _ZN7rocprim17ROCPRIM_400000_NS6detail17trampoline_kernelINS0_14default_configENS1_25partition_config_selectorILNS1_17partition_subalgoE6EfNS0_10empty_typeEbEEZZNS1_14partition_implILS5_6ELb0ES3_mN6thrust23THRUST_200600_302600_NS6detail15normal_iteratorINSA_10device_ptrIfEEEEPS6_SG_NS0_5tupleIJSF_S6_EEENSH_IJSG_SG_EEES6_PlJNSB_9not_fun_tI7is_evenIfEEEEEE10hipError_tPvRmT3_T4_T5_T6_T7_T9_mT8_P12ihipStream_tbDpT10_ENKUlT_T0_E_clISt17integral_constantIbLb1EES18_EEDaS13_S14_EUlS13_E_NS1_11comp_targetILNS1_3genE4ELNS1_11target_archE910ELNS1_3gpuE8ELNS1_3repE0EEENS1_30default_config_static_selectorELNS0_4arch9wavefront6targetE0EEEvT1_.kd
    .uniform_work_group_size: 1
    .uses_dynamic_stack: false
    .vgpr_count:     0
    .vgpr_spill_count: 0
    .wavefront_size: 32
    .workgroup_processor_mode: 1
  - .args:
      - .offset:         0
        .size:           128
        .value_kind:     by_value
    .group_segment_fixed_size: 0
    .kernarg_segment_align: 8
    .kernarg_segment_size: 128
    .language:       OpenCL C
    .language_version:
      - 2
      - 0
    .max_flat_workgroup_size: 256
    .name:           _ZN7rocprim17ROCPRIM_400000_NS6detail17trampoline_kernelINS0_14default_configENS1_25partition_config_selectorILNS1_17partition_subalgoE6EfNS0_10empty_typeEbEEZZNS1_14partition_implILS5_6ELb0ES3_mN6thrust23THRUST_200600_302600_NS6detail15normal_iteratorINSA_10device_ptrIfEEEEPS6_SG_NS0_5tupleIJSF_S6_EEENSH_IJSG_SG_EEES6_PlJNSB_9not_fun_tI7is_evenIfEEEEEE10hipError_tPvRmT3_T4_T5_T6_T7_T9_mT8_P12ihipStream_tbDpT10_ENKUlT_T0_E_clISt17integral_constantIbLb1EES18_EEDaS13_S14_EUlS13_E_NS1_11comp_targetILNS1_3genE3ELNS1_11target_archE908ELNS1_3gpuE7ELNS1_3repE0EEENS1_30default_config_static_selectorELNS0_4arch9wavefront6targetE0EEEvT1_
    .private_segment_fixed_size: 0
    .sgpr_count:     0
    .sgpr_spill_count: 0
    .symbol:         _ZN7rocprim17ROCPRIM_400000_NS6detail17trampoline_kernelINS0_14default_configENS1_25partition_config_selectorILNS1_17partition_subalgoE6EfNS0_10empty_typeEbEEZZNS1_14partition_implILS5_6ELb0ES3_mN6thrust23THRUST_200600_302600_NS6detail15normal_iteratorINSA_10device_ptrIfEEEEPS6_SG_NS0_5tupleIJSF_S6_EEENSH_IJSG_SG_EEES6_PlJNSB_9not_fun_tI7is_evenIfEEEEEE10hipError_tPvRmT3_T4_T5_T6_T7_T9_mT8_P12ihipStream_tbDpT10_ENKUlT_T0_E_clISt17integral_constantIbLb1EES18_EEDaS13_S14_EUlS13_E_NS1_11comp_targetILNS1_3genE3ELNS1_11target_archE908ELNS1_3gpuE7ELNS1_3repE0EEENS1_30default_config_static_selectorELNS0_4arch9wavefront6targetE0EEEvT1_.kd
    .uniform_work_group_size: 1
    .uses_dynamic_stack: false
    .vgpr_count:     0
    .vgpr_spill_count: 0
    .wavefront_size: 32
    .workgroup_processor_mode: 1
  - .args:
      - .offset:         0
        .size:           128
        .value_kind:     by_value
    .group_segment_fixed_size: 0
    .kernarg_segment_align: 8
    .kernarg_segment_size: 128
    .language:       OpenCL C
    .language_version:
      - 2
      - 0
    .max_flat_workgroup_size: 256
    .name:           _ZN7rocprim17ROCPRIM_400000_NS6detail17trampoline_kernelINS0_14default_configENS1_25partition_config_selectorILNS1_17partition_subalgoE6EfNS0_10empty_typeEbEEZZNS1_14partition_implILS5_6ELb0ES3_mN6thrust23THRUST_200600_302600_NS6detail15normal_iteratorINSA_10device_ptrIfEEEEPS6_SG_NS0_5tupleIJSF_S6_EEENSH_IJSG_SG_EEES6_PlJNSB_9not_fun_tI7is_evenIfEEEEEE10hipError_tPvRmT3_T4_T5_T6_T7_T9_mT8_P12ihipStream_tbDpT10_ENKUlT_T0_E_clISt17integral_constantIbLb1EES18_EEDaS13_S14_EUlS13_E_NS1_11comp_targetILNS1_3genE2ELNS1_11target_archE906ELNS1_3gpuE6ELNS1_3repE0EEENS1_30default_config_static_selectorELNS0_4arch9wavefront6targetE0EEEvT1_
    .private_segment_fixed_size: 0
    .sgpr_count:     0
    .sgpr_spill_count: 0
    .symbol:         _ZN7rocprim17ROCPRIM_400000_NS6detail17trampoline_kernelINS0_14default_configENS1_25partition_config_selectorILNS1_17partition_subalgoE6EfNS0_10empty_typeEbEEZZNS1_14partition_implILS5_6ELb0ES3_mN6thrust23THRUST_200600_302600_NS6detail15normal_iteratorINSA_10device_ptrIfEEEEPS6_SG_NS0_5tupleIJSF_S6_EEENSH_IJSG_SG_EEES6_PlJNSB_9not_fun_tI7is_evenIfEEEEEE10hipError_tPvRmT3_T4_T5_T6_T7_T9_mT8_P12ihipStream_tbDpT10_ENKUlT_T0_E_clISt17integral_constantIbLb1EES18_EEDaS13_S14_EUlS13_E_NS1_11comp_targetILNS1_3genE2ELNS1_11target_archE906ELNS1_3gpuE6ELNS1_3repE0EEENS1_30default_config_static_selectorELNS0_4arch9wavefront6targetE0EEEvT1_.kd
    .uniform_work_group_size: 1
    .uses_dynamic_stack: false
    .vgpr_count:     0
    .vgpr_spill_count: 0
    .wavefront_size: 32
    .workgroup_processor_mode: 1
  - .args:
      - .offset:         0
        .size:           128
        .value_kind:     by_value
    .group_segment_fixed_size: 0
    .kernarg_segment_align: 8
    .kernarg_segment_size: 128
    .language:       OpenCL C
    .language_version:
      - 2
      - 0
    .max_flat_workgroup_size: 384
    .name:           _ZN7rocprim17ROCPRIM_400000_NS6detail17trampoline_kernelINS0_14default_configENS1_25partition_config_selectorILNS1_17partition_subalgoE6EfNS0_10empty_typeEbEEZZNS1_14partition_implILS5_6ELb0ES3_mN6thrust23THRUST_200600_302600_NS6detail15normal_iteratorINSA_10device_ptrIfEEEEPS6_SG_NS0_5tupleIJSF_S6_EEENSH_IJSG_SG_EEES6_PlJNSB_9not_fun_tI7is_evenIfEEEEEE10hipError_tPvRmT3_T4_T5_T6_T7_T9_mT8_P12ihipStream_tbDpT10_ENKUlT_T0_E_clISt17integral_constantIbLb1EES18_EEDaS13_S14_EUlS13_E_NS1_11comp_targetILNS1_3genE10ELNS1_11target_archE1200ELNS1_3gpuE4ELNS1_3repE0EEENS1_30default_config_static_selectorELNS0_4arch9wavefront6targetE0EEEvT1_
    .private_segment_fixed_size: 0
    .sgpr_count:     0
    .sgpr_spill_count: 0
    .symbol:         _ZN7rocprim17ROCPRIM_400000_NS6detail17trampoline_kernelINS0_14default_configENS1_25partition_config_selectorILNS1_17partition_subalgoE6EfNS0_10empty_typeEbEEZZNS1_14partition_implILS5_6ELb0ES3_mN6thrust23THRUST_200600_302600_NS6detail15normal_iteratorINSA_10device_ptrIfEEEEPS6_SG_NS0_5tupleIJSF_S6_EEENSH_IJSG_SG_EEES6_PlJNSB_9not_fun_tI7is_evenIfEEEEEE10hipError_tPvRmT3_T4_T5_T6_T7_T9_mT8_P12ihipStream_tbDpT10_ENKUlT_T0_E_clISt17integral_constantIbLb1EES18_EEDaS13_S14_EUlS13_E_NS1_11comp_targetILNS1_3genE10ELNS1_11target_archE1200ELNS1_3gpuE4ELNS1_3repE0EEENS1_30default_config_static_selectorELNS0_4arch9wavefront6targetE0EEEvT1_.kd
    .uniform_work_group_size: 1
    .uses_dynamic_stack: false
    .vgpr_count:     0
    .vgpr_spill_count: 0
    .wavefront_size: 32
    .workgroup_processor_mode: 1
  - .args:
      - .offset:         0
        .size:           128
        .value_kind:     by_value
    .group_segment_fixed_size: 0
    .kernarg_segment_align: 8
    .kernarg_segment_size: 128
    .language:       OpenCL C
    .language_version:
      - 2
      - 0
    .max_flat_workgroup_size: 128
    .name:           _ZN7rocprim17ROCPRIM_400000_NS6detail17trampoline_kernelINS0_14default_configENS1_25partition_config_selectorILNS1_17partition_subalgoE6EfNS0_10empty_typeEbEEZZNS1_14partition_implILS5_6ELb0ES3_mN6thrust23THRUST_200600_302600_NS6detail15normal_iteratorINSA_10device_ptrIfEEEEPS6_SG_NS0_5tupleIJSF_S6_EEENSH_IJSG_SG_EEES6_PlJNSB_9not_fun_tI7is_evenIfEEEEEE10hipError_tPvRmT3_T4_T5_T6_T7_T9_mT8_P12ihipStream_tbDpT10_ENKUlT_T0_E_clISt17integral_constantIbLb1EES18_EEDaS13_S14_EUlS13_E_NS1_11comp_targetILNS1_3genE9ELNS1_11target_archE1100ELNS1_3gpuE3ELNS1_3repE0EEENS1_30default_config_static_selectorELNS0_4arch9wavefront6targetE0EEEvT1_
    .private_segment_fixed_size: 0
    .sgpr_count:     0
    .sgpr_spill_count: 0
    .symbol:         _ZN7rocprim17ROCPRIM_400000_NS6detail17trampoline_kernelINS0_14default_configENS1_25partition_config_selectorILNS1_17partition_subalgoE6EfNS0_10empty_typeEbEEZZNS1_14partition_implILS5_6ELb0ES3_mN6thrust23THRUST_200600_302600_NS6detail15normal_iteratorINSA_10device_ptrIfEEEEPS6_SG_NS0_5tupleIJSF_S6_EEENSH_IJSG_SG_EEES6_PlJNSB_9not_fun_tI7is_evenIfEEEEEE10hipError_tPvRmT3_T4_T5_T6_T7_T9_mT8_P12ihipStream_tbDpT10_ENKUlT_T0_E_clISt17integral_constantIbLb1EES18_EEDaS13_S14_EUlS13_E_NS1_11comp_targetILNS1_3genE9ELNS1_11target_archE1100ELNS1_3gpuE3ELNS1_3repE0EEENS1_30default_config_static_selectorELNS0_4arch9wavefront6targetE0EEEvT1_.kd
    .uniform_work_group_size: 1
    .uses_dynamic_stack: false
    .vgpr_count:     0
    .vgpr_spill_count: 0
    .wavefront_size: 32
    .workgroup_processor_mode: 1
  - .args:
      - .offset:         0
        .size:           128
        .value_kind:     by_value
    .group_segment_fixed_size: 0
    .kernarg_segment_align: 8
    .kernarg_segment_size: 128
    .language:       OpenCL C
    .language_version:
      - 2
      - 0
    .max_flat_workgroup_size: 512
    .name:           _ZN7rocprim17ROCPRIM_400000_NS6detail17trampoline_kernelINS0_14default_configENS1_25partition_config_selectorILNS1_17partition_subalgoE6EfNS0_10empty_typeEbEEZZNS1_14partition_implILS5_6ELb0ES3_mN6thrust23THRUST_200600_302600_NS6detail15normal_iteratorINSA_10device_ptrIfEEEEPS6_SG_NS0_5tupleIJSF_S6_EEENSH_IJSG_SG_EEES6_PlJNSB_9not_fun_tI7is_evenIfEEEEEE10hipError_tPvRmT3_T4_T5_T6_T7_T9_mT8_P12ihipStream_tbDpT10_ENKUlT_T0_E_clISt17integral_constantIbLb1EES18_EEDaS13_S14_EUlS13_E_NS1_11comp_targetILNS1_3genE8ELNS1_11target_archE1030ELNS1_3gpuE2ELNS1_3repE0EEENS1_30default_config_static_selectorELNS0_4arch9wavefront6targetE0EEEvT1_
    .private_segment_fixed_size: 0
    .sgpr_count:     0
    .sgpr_spill_count: 0
    .symbol:         _ZN7rocprim17ROCPRIM_400000_NS6detail17trampoline_kernelINS0_14default_configENS1_25partition_config_selectorILNS1_17partition_subalgoE6EfNS0_10empty_typeEbEEZZNS1_14partition_implILS5_6ELb0ES3_mN6thrust23THRUST_200600_302600_NS6detail15normal_iteratorINSA_10device_ptrIfEEEEPS6_SG_NS0_5tupleIJSF_S6_EEENSH_IJSG_SG_EEES6_PlJNSB_9not_fun_tI7is_evenIfEEEEEE10hipError_tPvRmT3_T4_T5_T6_T7_T9_mT8_P12ihipStream_tbDpT10_ENKUlT_T0_E_clISt17integral_constantIbLb1EES18_EEDaS13_S14_EUlS13_E_NS1_11comp_targetILNS1_3genE8ELNS1_11target_archE1030ELNS1_3gpuE2ELNS1_3repE0EEENS1_30default_config_static_selectorELNS0_4arch9wavefront6targetE0EEEvT1_.kd
    .uniform_work_group_size: 1
    .uses_dynamic_stack: false
    .vgpr_count:     0
    .vgpr_spill_count: 0
    .wavefront_size: 32
    .workgroup_processor_mode: 1
  - .args:
      - .offset:         0
        .size:           112
        .value_kind:     by_value
    .group_segment_fixed_size: 0
    .kernarg_segment_align: 8
    .kernarg_segment_size: 112
    .language:       OpenCL C
    .language_version:
      - 2
      - 0
    .max_flat_workgroup_size: 256
    .name:           _ZN7rocprim17ROCPRIM_400000_NS6detail17trampoline_kernelINS0_14default_configENS1_25partition_config_selectorILNS1_17partition_subalgoE6EfNS0_10empty_typeEbEEZZNS1_14partition_implILS5_6ELb0ES3_mN6thrust23THRUST_200600_302600_NS6detail15normal_iteratorINSA_10device_ptrIfEEEEPS6_SG_NS0_5tupleIJSF_S6_EEENSH_IJSG_SG_EEES6_PlJNSB_9not_fun_tI7is_evenIfEEEEEE10hipError_tPvRmT3_T4_T5_T6_T7_T9_mT8_P12ihipStream_tbDpT10_ENKUlT_T0_E_clISt17integral_constantIbLb1EES17_IbLb0EEEEDaS13_S14_EUlS13_E_NS1_11comp_targetILNS1_3genE0ELNS1_11target_archE4294967295ELNS1_3gpuE0ELNS1_3repE0EEENS1_30default_config_static_selectorELNS0_4arch9wavefront6targetE0EEEvT1_
    .private_segment_fixed_size: 0
    .sgpr_count:     0
    .sgpr_spill_count: 0
    .symbol:         _ZN7rocprim17ROCPRIM_400000_NS6detail17trampoline_kernelINS0_14default_configENS1_25partition_config_selectorILNS1_17partition_subalgoE6EfNS0_10empty_typeEbEEZZNS1_14partition_implILS5_6ELb0ES3_mN6thrust23THRUST_200600_302600_NS6detail15normal_iteratorINSA_10device_ptrIfEEEEPS6_SG_NS0_5tupleIJSF_S6_EEENSH_IJSG_SG_EEES6_PlJNSB_9not_fun_tI7is_evenIfEEEEEE10hipError_tPvRmT3_T4_T5_T6_T7_T9_mT8_P12ihipStream_tbDpT10_ENKUlT_T0_E_clISt17integral_constantIbLb1EES17_IbLb0EEEEDaS13_S14_EUlS13_E_NS1_11comp_targetILNS1_3genE0ELNS1_11target_archE4294967295ELNS1_3gpuE0ELNS1_3repE0EEENS1_30default_config_static_selectorELNS0_4arch9wavefront6targetE0EEEvT1_.kd
    .uniform_work_group_size: 1
    .uses_dynamic_stack: false
    .vgpr_count:     0
    .vgpr_spill_count: 0
    .wavefront_size: 32
    .workgroup_processor_mode: 1
  - .args:
      - .offset:         0
        .size:           112
        .value_kind:     by_value
    .group_segment_fixed_size: 0
    .kernarg_segment_align: 8
    .kernarg_segment_size: 112
    .language:       OpenCL C
    .language_version:
      - 2
      - 0
    .max_flat_workgroup_size: 512
    .name:           _ZN7rocprim17ROCPRIM_400000_NS6detail17trampoline_kernelINS0_14default_configENS1_25partition_config_selectorILNS1_17partition_subalgoE6EfNS0_10empty_typeEbEEZZNS1_14partition_implILS5_6ELb0ES3_mN6thrust23THRUST_200600_302600_NS6detail15normal_iteratorINSA_10device_ptrIfEEEEPS6_SG_NS0_5tupleIJSF_S6_EEENSH_IJSG_SG_EEES6_PlJNSB_9not_fun_tI7is_evenIfEEEEEE10hipError_tPvRmT3_T4_T5_T6_T7_T9_mT8_P12ihipStream_tbDpT10_ENKUlT_T0_E_clISt17integral_constantIbLb1EES17_IbLb0EEEEDaS13_S14_EUlS13_E_NS1_11comp_targetILNS1_3genE5ELNS1_11target_archE942ELNS1_3gpuE9ELNS1_3repE0EEENS1_30default_config_static_selectorELNS0_4arch9wavefront6targetE0EEEvT1_
    .private_segment_fixed_size: 0
    .sgpr_count:     0
    .sgpr_spill_count: 0
    .symbol:         _ZN7rocprim17ROCPRIM_400000_NS6detail17trampoline_kernelINS0_14default_configENS1_25partition_config_selectorILNS1_17partition_subalgoE6EfNS0_10empty_typeEbEEZZNS1_14partition_implILS5_6ELb0ES3_mN6thrust23THRUST_200600_302600_NS6detail15normal_iteratorINSA_10device_ptrIfEEEEPS6_SG_NS0_5tupleIJSF_S6_EEENSH_IJSG_SG_EEES6_PlJNSB_9not_fun_tI7is_evenIfEEEEEE10hipError_tPvRmT3_T4_T5_T6_T7_T9_mT8_P12ihipStream_tbDpT10_ENKUlT_T0_E_clISt17integral_constantIbLb1EES17_IbLb0EEEEDaS13_S14_EUlS13_E_NS1_11comp_targetILNS1_3genE5ELNS1_11target_archE942ELNS1_3gpuE9ELNS1_3repE0EEENS1_30default_config_static_selectorELNS0_4arch9wavefront6targetE0EEEvT1_.kd
    .uniform_work_group_size: 1
    .uses_dynamic_stack: false
    .vgpr_count:     0
    .vgpr_spill_count: 0
    .wavefront_size: 32
    .workgroup_processor_mode: 1
  - .args:
      - .offset:         0
        .size:           112
        .value_kind:     by_value
    .group_segment_fixed_size: 0
    .kernarg_segment_align: 8
    .kernarg_segment_size: 112
    .language:       OpenCL C
    .language_version:
      - 2
      - 0
    .max_flat_workgroup_size: 512
    .name:           _ZN7rocprim17ROCPRIM_400000_NS6detail17trampoline_kernelINS0_14default_configENS1_25partition_config_selectorILNS1_17partition_subalgoE6EfNS0_10empty_typeEbEEZZNS1_14partition_implILS5_6ELb0ES3_mN6thrust23THRUST_200600_302600_NS6detail15normal_iteratorINSA_10device_ptrIfEEEEPS6_SG_NS0_5tupleIJSF_S6_EEENSH_IJSG_SG_EEES6_PlJNSB_9not_fun_tI7is_evenIfEEEEEE10hipError_tPvRmT3_T4_T5_T6_T7_T9_mT8_P12ihipStream_tbDpT10_ENKUlT_T0_E_clISt17integral_constantIbLb1EES17_IbLb0EEEEDaS13_S14_EUlS13_E_NS1_11comp_targetILNS1_3genE4ELNS1_11target_archE910ELNS1_3gpuE8ELNS1_3repE0EEENS1_30default_config_static_selectorELNS0_4arch9wavefront6targetE0EEEvT1_
    .private_segment_fixed_size: 0
    .sgpr_count:     0
    .sgpr_spill_count: 0
    .symbol:         _ZN7rocprim17ROCPRIM_400000_NS6detail17trampoline_kernelINS0_14default_configENS1_25partition_config_selectorILNS1_17partition_subalgoE6EfNS0_10empty_typeEbEEZZNS1_14partition_implILS5_6ELb0ES3_mN6thrust23THRUST_200600_302600_NS6detail15normal_iteratorINSA_10device_ptrIfEEEEPS6_SG_NS0_5tupleIJSF_S6_EEENSH_IJSG_SG_EEES6_PlJNSB_9not_fun_tI7is_evenIfEEEEEE10hipError_tPvRmT3_T4_T5_T6_T7_T9_mT8_P12ihipStream_tbDpT10_ENKUlT_T0_E_clISt17integral_constantIbLb1EES17_IbLb0EEEEDaS13_S14_EUlS13_E_NS1_11comp_targetILNS1_3genE4ELNS1_11target_archE910ELNS1_3gpuE8ELNS1_3repE0EEENS1_30default_config_static_selectorELNS0_4arch9wavefront6targetE0EEEvT1_.kd
    .uniform_work_group_size: 1
    .uses_dynamic_stack: false
    .vgpr_count:     0
    .vgpr_spill_count: 0
    .wavefront_size: 32
    .workgroup_processor_mode: 1
  - .args:
      - .offset:         0
        .size:           112
        .value_kind:     by_value
    .group_segment_fixed_size: 0
    .kernarg_segment_align: 8
    .kernarg_segment_size: 112
    .language:       OpenCL C
    .language_version:
      - 2
      - 0
    .max_flat_workgroup_size: 256
    .name:           _ZN7rocprim17ROCPRIM_400000_NS6detail17trampoline_kernelINS0_14default_configENS1_25partition_config_selectorILNS1_17partition_subalgoE6EfNS0_10empty_typeEbEEZZNS1_14partition_implILS5_6ELb0ES3_mN6thrust23THRUST_200600_302600_NS6detail15normal_iteratorINSA_10device_ptrIfEEEEPS6_SG_NS0_5tupleIJSF_S6_EEENSH_IJSG_SG_EEES6_PlJNSB_9not_fun_tI7is_evenIfEEEEEE10hipError_tPvRmT3_T4_T5_T6_T7_T9_mT8_P12ihipStream_tbDpT10_ENKUlT_T0_E_clISt17integral_constantIbLb1EES17_IbLb0EEEEDaS13_S14_EUlS13_E_NS1_11comp_targetILNS1_3genE3ELNS1_11target_archE908ELNS1_3gpuE7ELNS1_3repE0EEENS1_30default_config_static_selectorELNS0_4arch9wavefront6targetE0EEEvT1_
    .private_segment_fixed_size: 0
    .sgpr_count:     0
    .sgpr_spill_count: 0
    .symbol:         _ZN7rocprim17ROCPRIM_400000_NS6detail17trampoline_kernelINS0_14default_configENS1_25partition_config_selectorILNS1_17partition_subalgoE6EfNS0_10empty_typeEbEEZZNS1_14partition_implILS5_6ELb0ES3_mN6thrust23THRUST_200600_302600_NS6detail15normal_iteratorINSA_10device_ptrIfEEEEPS6_SG_NS0_5tupleIJSF_S6_EEENSH_IJSG_SG_EEES6_PlJNSB_9not_fun_tI7is_evenIfEEEEEE10hipError_tPvRmT3_T4_T5_T6_T7_T9_mT8_P12ihipStream_tbDpT10_ENKUlT_T0_E_clISt17integral_constantIbLb1EES17_IbLb0EEEEDaS13_S14_EUlS13_E_NS1_11comp_targetILNS1_3genE3ELNS1_11target_archE908ELNS1_3gpuE7ELNS1_3repE0EEENS1_30default_config_static_selectorELNS0_4arch9wavefront6targetE0EEEvT1_.kd
    .uniform_work_group_size: 1
    .uses_dynamic_stack: false
    .vgpr_count:     0
    .vgpr_spill_count: 0
    .wavefront_size: 32
    .workgroup_processor_mode: 1
  - .args:
      - .offset:         0
        .size:           112
        .value_kind:     by_value
    .group_segment_fixed_size: 0
    .kernarg_segment_align: 8
    .kernarg_segment_size: 112
    .language:       OpenCL C
    .language_version:
      - 2
      - 0
    .max_flat_workgroup_size: 256
    .name:           _ZN7rocprim17ROCPRIM_400000_NS6detail17trampoline_kernelINS0_14default_configENS1_25partition_config_selectorILNS1_17partition_subalgoE6EfNS0_10empty_typeEbEEZZNS1_14partition_implILS5_6ELb0ES3_mN6thrust23THRUST_200600_302600_NS6detail15normal_iteratorINSA_10device_ptrIfEEEEPS6_SG_NS0_5tupleIJSF_S6_EEENSH_IJSG_SG_EEES6_PlJNSB_9not_fun_tI7is_evenIfEEEEEE10hipError_tPvRmT3_T4_T5_T6_T7_T9_mT8_P12ihipStream_tbDpT10_ENKUlT_T0_E_clISt17integral_constantIbLb1EES17_IbLb0EEEEDaS13_S14_EUlS13_E_NS1_11comp_targetILNS1_3genE2ELNS1_11target_archE906ELNS1_3gpuE6ELNS1_3repE0EEENS1_30default_config_static_selectorELNS0_4arch9wavefront6targetE0EEEvT1_
    .private_segment_fixed_size: 0
    .sgpr_count:     0
    .sgpr_spill_count: 0
    .symbol:         _ZN7rocprim17ROCPRIM_400000_NS6detail17trampoline_kernelINS0_14default_configENS1_25partition_config_selectorILNS1_17partition_subalgoE6EfNS0_10empty_typeEbEEZZNS1_14partition_implILS5_6ELb0ES3_mN6thrust23THRUST_200600_302600_NS6detail15normal_iteratorINSA_10device_ptrIfEEEEPS6_SG_NS0_5tupleIJSF_S6_EEENSH_IJSG_SG_EEES6_PlJNSB_9not_fun_tI7is_evenIfEEEEEE10hipError_tPvRmT3_T4_T5_T6_T7_T9_mT8_P12ihipStream_tbDpT10_ENKUlT_T0_E_clISt17integral_constantIbLb1EES17_IbLb0EEEEDaS13_S14_EUlS13_E_NS1_11comp_targetILNS1_3genE2ELNS1_11target_archE906ELNS1_3gpuE6ELNS1_3repE0EEENS1_30default_config_static_selectorELNS0_4arch9wavefront6targetE0EEEvT1_.kd
    .uniform_work_group_size: 1
    .uses_dynamic_stack: false
    .vgpr_count:     0
    .vgpr_spill_count: 0
    .wavefront_size: 32
    .workgroup_processor_mode: 1
  - .args:
      - .offset:         0
        .size:           112
        .value_kind:     by_value
    .group_segment_fixed_size: 0
    .kernarg_segment_align: 8
    .kernarg_segment_size: 112
    .language:       OpenCL C
    .language_version:
      - 2
      - 0
    .max_flat_workgroup_size: 384
    .name:           _ZN7rocprim17ROCPRIM_400000_NS6detail17trampoline_kernelINS0_14default_configENS1_25partition_config_selectorILNS1_17partition_subalgoE6EfNS0_10empty_typeEbEEZZNS1_14partition_implILS5_6ELb0ES3_mN6thrust23THRUST_200600_302600_NS6detail15normal_iteratorINSA_10device_ptrIfEEEEPS6_SG_NS0_5tupleIJSF_S6_EEENSH_IJSG_SG_EEES6_PlJNSB_9not_fun_tI7is_evenIfEEEEEE10hipError_tPvRmT3_T4_T5_T6_T7_T9_mT8_P12ihipStream_tbDpT10_ENKUlT_T0_E_clISt17integral_constantIbLb1EES17_IbLb0EEEEDaS13_S14_EUlS13_E_NS1_11comp_targetILNS1_3genE10ELNS1_11target_archE1200ELNS1_3gpuE4ELNS1_3repE0EEENS1_30default_config_static_selectorELNS0_4arch9wavefront6targetE0EEEvT1_
    .private_segment_fixed_size: 0
    .sgpr_count:     0
    .sgpr_spill_count: 0
    .symbol:         _ZN7rocprim17ROCPRIM_400000_NS6detail17trampoline_kernelINS0_14default_configENS1_25partition_config_selectorILNS1_17partition_subalgoE6EfNS0_10empty_typeEbEEZZNS1_14partition_implILS5_6ELb0ES3_mN6thrust23THRUST_200600_302600_NS6detail15normal_iteratorINSA_10device_ptrIfEEEEPS6_SG_NS0_5tupleIJSF_S6_EEENSH_IJSG_SG_EEES6_PlJNSB_9not_fun_tI7is_evenIfEEEEEE10hipError_tPvRmT3_T4_T5_T6_T7_T9_mT8_P12ihipStream_tbDpT10_ENKUlT_T0_E_clISt17integral_constantIbLb1EES17_IbLb0EEEEDaS13_S14_EUlS13_E_NS1_11comp_targetILNS1_3genE10ELNS1_11target_archE1200ELNS1_3gpuE4ELNS1_3repE0EEENS1_30default_config_static_selectorELNS0_4arch9wavefront6targetE0EEEvT1_.kd
    .uniform_work_group_size: 1
    .uses_dynamic_stack: false
    .vgpr_count:     0
    .vgpr_spill_count: 0
    .wavefront_size: 32
    .workgroup_processor_mode: 1
  - .args:
      - .offset:         0
        .size:           112
        .value_kind:     by_value
    .group_segment_fixed_size: 0
    .kernarg_segment_align: 8
    .kernarg_segment_size: 112
    .language:       OpenCL C
    .language_version:
      - 2
      - 0
    .max_flat_workgroup_size: 128
    .name:           _ZN7rocprim17ROCPRIM_400000_NS6detail17trampoline_kernelINS0_14default_configENS1_25partition_config_selectorILNS1_17partition_subalgoE6EfNS0_10empty_typeEbEEZZNS1_14partition_implILS5_6ELb0ES3_mN6thrust23THRUST_200600_302600_NS6detail15normal_iteratorINSA_10device_ptrIfEEEEPS6_SG_NS0_5tupleIJSF_S6_EEENSH_IJSG_SG_EEES6_PlJNSB_9not_fun_tI7is_evenIfEEEEEE10hipError_tPvRmT3_T4_T5_T6_T7_T9_mT8_P12ihipStream_tbDpT10_ENKUlT_T0_E_clISt17integral_constantIbLb1EES17_IbLb0EEEEDaS13_S14_EUlS13_E_NS1_11comp_targetILNS1_3genE9ELNS1_11target_archE1100ELNS1_3gpuE3ELNS1_3repE0EEENS1_30default_config_static_selectorELNS0_4arch9wavefront6targetE0EEEvT1_
    .private_segment_fixed_size: 0
    .sgpr_count:     0
    .sgpr_spill_count: 0
    .symbol:         _ZN7rocprim17ROCPRIM_400000_NS6detail17trampoline_kernelINS0_14default_configENS1_25partition_config_selectorILNS1_17partition_subalgoE6EfNS0_10empty_typeEbEEZZNS1_14partition_implILS5_6ELb0ES3_mN6thrust23THRUST_200600_302600_NS6detail15normal_iteratorINSA_10device_ptrIfEEEEPS6_SG_NS0_5tupleIJSF_S6_EEENSH_IJSG_SG_EEES6_PlJNSB_9not_fun_tI7is_evenIfEEEEEE10hipError_tPvRmT3_T4_T5_T6_T7_T9_mT8_P12ihipStream_tbDpT10_ENKUlT_T0_E_clISt17integral_constantIbLb1EES17_IbLb0EEEEDaS13_S14_EUlS13_E_NS1_11comp_targetILNS1_3genE9ELNS1_11target_archE1100ELNS1_3gpuE3ELNS1_3repE0EEENS1_30default_config_static_selectorELNS0_4arch9wavefront6targetE0EEEvT1_.kd
    .uniform_work_group_size: 1
    .uses_dynamic_stack: false
    .vgpr_count:     0
    .vgpr_spill_count: 0
    .wavefront_size: 32
    .workgroup_processor_mode: 1
  - .args:
      - .offset:         0
        .size:           112
        .value_kind:     by_value
    .group_segment_fixed_size: 0
    .kernarg_segment_align: 8
    .kernarg_segment_size: 112
    .language:       OpenCL C
    .language_version:
      - 2
      - 0
    .max_flat_workgroup_size: 512
    .name:           _ZN7rocprim17ROCPRIM_400000_NS6detail17trampoline_kernelINS0_14default_configENS1_25partition_config_selectorILNS1_17partition_subalgoE6EfNS0_10empty_typeEbEEZZNS1_14partition_implILS5_6ELb0ES3_mN6thrust23THRUST_200600_302600_NS6detail15normal_iteratorINSA_10device_ptrIfEEEEPS6_SG_NS0_5tupleIJSF_S6_EEENSH_IJSG_SG_EEES6_PlJNSB_9not_fun_tI7is_evenIfEEEEEE10hipError_tPvRmT3_T4_T5_T6_T7_T9_mT8_P12ihipStream_tbDpT10_ENKUlT_T0_E_clISt17integral_constantIbLb1EES17_IbLb0EEEEDaS13_S14_EUlS13_E_NS1_11comp_targetILNS1_3genE8ELNS1_11target_archE1030ELNS1_3gpuE2ELNS1_3repE0EEENS1_30default_config_static_selectorELNS0_4arch9wavefront6targetE0EEEvT1_
    .private_segment_fixed_size: 0
    .sgpr_count:     0
    .sgpr_spill_count: 0
    .symbol:         _ZN7rocprim17ROCPRIM_400000_NS6detail17trampoline_kernelINS0_14default_configENS1_25partition_config_selectorILNS1_17partition_subalgoE6EfNS0_10empty_typeEbEEZZNS1_14partition_implILS5_6ELb0ES3_mN6thrust23THRUST_200600_302600_NS6detail15normal_iteratorINSA_10device_ptrIfEEEEPS6_SG_NS0_5tupleIJSF_S6_EEENSH_IJSG_SG_EEES6_PlJNSB_9not_fun_tI7is_evenIfEEEEEE10hipError_tPvRmT3_T4_T5_T6_T7_T9_mT8_P12ihipStream_tbDpT10_ENKUlT_T0_E_clISt17integral_constantIbLb1EES17_IbLb0EEEEDaS13_S14_EUlS13_E_NS1_11comp_targetILNS1_3genE8ELNS1_11target_archE1030ELNS1_3gpuE2ELNS1_3repE0EEENS1_30default_config_static_selectorELNS0_4arch9wavefront6targetE0EEEvT1_.kd
    .uniform_work_group_size: 1
    .uses_dynamic_stack: false
    .vgpr_count:     0
    .vgpr_spill_count: 0
    .wavefront_size: 32
    .workgroup_processor_mode: 1
  - .args:
      - .offset:         0
        .size:           128
        .value_kind:     by_value
    .group_segment_fixed_size: 0
    .kernarg_segment_align: 8
    .kernarg_segment_size: 128
    .language:       OpenCL C
    .language_version:
      - 2
      - 0
    .max_flat_workgroup_size: 256
    .name:           _ZN7rocprim17ROCPRIM_400000_NS6detail17trampoline_kernelINS0_14default_configENS1_25partition_config_selectorILNS1_17partition_subalgoE6EfNS0_10empty_typeEbEEZZNS1_14partition_implILS5_6ELb0ES3_mN6thrust23THRUST_200600_302600_NS6detail15normal_iteratorINSA_10device_ptrIfEEEEPS6_SG_NS0_5tupleIJSF_S6_EEENSH_IJSG_SG_EEES6_PlJNSB_9not_fun_tI7is_evenIfEEEEEE10hipError_tPvRmT3_T4_T5_T6_T7_T9_mT8_P12ihipStream_tbDpT10_ENKUlT_T0_E_clISt17integral_constantIbLb0EES17_IbLb1EEEEDaS13_S14_EUlS13_E_NS1_11comp_targetILNS1_3genE0ELNS1_11target_archE4294967295ELNS1_3gpuE0ELNS1_3repE0EEENS1_30default_config_static_selectorELNS0_4arch9wavefront6targetE0EEEvT1_
    .private_segment_fixed_size: 0
    .sgpr_count:     0
    .sgpr_spill_count: 0
    .symbol:         _ZN7rocprim17ROCPRIM_400000_NS6detail17trampoline_kernelINS0_14default_configENS1_25partition_config_selectorILNS1_17partition_subalgoE6EfNS0_10empty_typeEbEEZZNS1_14partition_implILS5_6ELb0ES3_mN6thrust23THRUST_200600_302600_NS6detail15normal_iteratorINSA_10device_ptrIfEEEEPS6_SG_NS0_5tupleIJSF_S6_EEENSH_IJSG_SG_EEES6_PlJNSB_9not_fun_tI7is_evenIfEEEEEE10hipError_tPvRmT3_T4_T5_T6_T7_T9_mT8_P12ihipStream_tbDpT10_ENKUlT_T0_E_clISt17integral_constantIbLb0EES17_IbLb1EEEEDaS13_S14_EUlS13_E_NS1_11comp_targetILNS1_3genE0ELNS1_11target_archE4294967295ELNS1_3gpuE0ELNS1_3repE0EEENS1_30default_config_static_selectorELNS0_4arch9wavefront6targetE0EEEvT1_.kd
    .uniform_work_group_size: 1
    .uses_dynamic_stack: false
    .vgpr_count:     0
    .vgpr_spill_count: 0
    .wavefront_size: 32
    .workgroup_processor_mode: 1
  - .args:
      - .offset:         0
        .size:           128
        .value_kind:     by_value
    .group_segment_fixed_size: 0
    .kernarg_segment_align: 8
    .kernarg_segment_size: 128
    .language:       OpenCL C
    .language_version:
      - 2
      - 0
    .max_flat_workgroup_size: 512
    .name:           _ZN7rocprim17ROCPRIM_400000_NS6detail17trampoline_kernelINS0_14default_configENS1_25partition_config_selectorILNS1_17partition_subalgoE6EfNS0_10empty_typeEbEEZZNS1_14partition_implILS5_6ELb0ES3_mN6thrust23THRUST_200600_302600_NS6detail15normal_iteratorINSA_10device_ptrIfEEEEPS6_SG_NS0_5tupleIJSF_S6_EEENSH_IJSG_SG_EEES6_PlJNSB_9not_fun_tI7is_evenIfEEEEEE10hipError_tPvRmT3_T4_T5_T6_T7_T9_mT8_P12ihipStream_tbDpT10_ENKUlT_T0_E_clISt17integral_constantIbLb0EES17_IbLb1EEEEDaS13_S14_EUlS13_E_NS1_11comp_targetILNS1_3genE5ELNS1_11target_archE942ELNS1_3gpuE9ELNS1_3repE0EEENS1_30default_config_static_selectorELNS0_4arch9wavefront6targetE0EEEvT1_
    .private_segment_fixed_size: 0
    .sgpr_count:     0
    .sgpr_spill_count: 0
    .symbol:         _ZN7rocprim17ROCPRIM_400000_NS6detail17trampoline_kernelINS0_14default_configENS1_25partition_config_selectorILNS1_17partition_subalgoE6EfNS0_10empty_typeEbEEZZNS1_14partition_implILS5_6ELb0ES3_mN6thrust23THRUST_200600_302600_NS6detail15normal_iteratorINSA_10device_ptrIfEEEEPS6_SG_NS0_5tupleIJSF_S6_EEENSH_IJSG_SG_EEES6_PlJNSB_9not_fun_tI7is_evenIfEEEEEE10hipError_tPvRmT3_T4_T5_T6_T7_T9_mT8_P12ihipStream_tbDpT10_ENKUlT_T0_E_clISt17integral_constantIbLb0EES17_IbLb1EEEEDaS13_S14_EUlS13_E_NS1_11comp_targetILNS1_3genE5ELNS1_11target_archE942ELNS1_3gpuE9ELNS1_3repE0EEENS1_30default_config_static_selectorELNS0_4arch9wavefront6targetE0EEEvT1_.kd
    .uniform_work_group_size: 1
    .uses_dynamic_stack: false
    .vgpr_count:     0
    .vgpr_spill_count: 0
    .wavefront_size: 32
    .workgroup_processor_mode: 1
  - .args:
      - .offset:         0
        .size:           128
        .value_kind:     by_value
    .group_segment_fixed_size: 0
    .kernarg_segment_align: 8
    .kernarg_segment_size: 128
    .language:       OpenCL C
    .language_version:
      - 2
      - 0
    .max_flat_workgroup_size: 512
    .name:           _ZN7rocprim17ROCPRIM_400000_NS6detail17trampoline_kernelINS0_14default_configENS1_25partition_config_selectorILNS1_17partition_subalgoE6EfNS0_10empty_typeEbEEZZNS1_14partition_implILS5_6ELb0ES3_mN6thrust23THRUST_200600_302600_NS6detail15normal_iteratorINSA_10device_ptrIfEEEEPS6_SG_NS0_5tupleIJSF_S6_EEENSH_IJSG_SG_EEES6_PlJNSB_9not_fun_tI7is_evenIfEEEEEE10hipError_tPvRmT3_T4_T5_T6_T7_T9_mT8_P12ihipStream_tbDpT10_ENKUlT_T0_E_clISt17integral_constantIbLb0EES17_IbLb1EEEEDaS13_S14_EUlS13_E_NS1_11comp_targetILNS1_3genE4ELNS1_11target_archE910ELNS1_3gpuE8ELNS1_3repE0EEENS1_30default_config_static_selectorELNS0_4arch9wavefront6targetE0EEEvT1_
    .private_segment_fixed_size: 0
    .sgpr_count:     0
    .sgpr_spill_count: 0
    .symbol:         _ZN7rocprim17ROCPRIM_400000_NS6detail17trampoline_kernelINS0_14default_configENS1_25partition_config_selectorILNS1_17partition_subalgoE6EfNS0_10empty_typeEbEEZZNS1_14partition_implILS5_6ELb0ES3_mN6thrust23THRUST_200600_302600_NS6detail15normal_iteratorINSA_10device_ptrIfEEEEPS6_SG_NS0_5tupleIJSF_S6_EEENSH_IJSG_SG_EEES6_PlJNSB_9not_fun_tI7is_evenIfEEEEEE10hipError_tPvRmT3_T4_T5_T6_T7_T9_mT8_P12ihipStream_tbDpT10_ENKUlT_T0_E_clISt17integral_constantIbLb0EES17_IbLb1EEEEDaS13_S14_EUlS13_E_NS1_11comp_targetILNS1_3genE4ELNS1_11target_archE910ELNS1_3gpuE8ELNS1_3repE0EEENS1_30default_config_static_selectorELNS0_4arch9wavefront6targetE0EEEvT1_.kd
    .uniform_work_group_size: 1
    .uses_dynamic_stack: false
    .vgpr_count:     0
    .vgpr_spill_count: 0
    .wavefront_size: 32
    .workgroup_processor_mode: 1
  - .args:
      - .offset:         0
        .size:           128
        .value_kind:     by_value
    .group_segment_fixed_size: 0
    .kernarg_segment_align: 8
    .kernarg_segment_size: 128
    .language:       OpenCL C
    .language_version:
      - 2
      - 0
    .max_flat_workgroup_size: 256
    .name:           _ZN7rocprim17ROCPRIM_400000_NS6detail17trampoline_kernelINS0_14default_configENS1_25partition_config_selectorILNS1_17partition_subalgoE6EfNS0_10empty_typeEbEEZZNS1_14partition_implILS5_6ELb0ES3_mN6thrust23THRUST_200600_302600_NS6detail15normal_iteratorINSA_10device_ptrIfEEEEPS6_SG_NS0_5tupleIJSF_S6_EEENSH_IJSG_SG_EEES6_PlJNSB_9not_fun_tI7is_evenIfEEEEEE10hipError_tPvRmT3_T4_T5_T6_T7_T9_mT8_P12ihipStream_tbDpT10_ENKUlT_T0_E_clISt17integral_constantIbLb0EES17_IbLb1EEEEDaS13_S14_EUlS13_E_NS1_11comp_targetILNS1_3genE3ELNS1_11target_archE908ELNS1_3gpuE7ELNS1_3repE0EEENS1_30default_config_static_selectorELNS0_4arch9wavefront6targetE0EEEvT1_
    .private_segment_fixed_size: 0
    .sgpr_count:     0
    .sgpr_spill_count: 0
    .symbol:         _ZN7rocprim17ROCPRIM_400000_NS6detail17trampoline_kernelINS0_14default_configENS1_25partition_config_selectorILNS1_17partition_subalgoE6EfNS0_10empty_typeEbEEZZNS1_14partition_implILS5_6ELb0ES3_mN6thrust23THRUST_200600_302600_NS6detail15normal_iteratorINSA_10device_ptrIfEEEEPS6_SG_NS0_5tupleIJSF_S6_EEENSH_IJSG_SG_EEES6_PlJNSB_9not_fun_tI7is_evenIfEEEEEE10hipError_tPvRmT3_T4_T5_T6_T7_T9_mT8_P12ihipStream_tbDpT10_ENKUlT_T0_E_clISt17integral_constantIbLb0EES17_IbLb1EEEEDaS13_S14_EUlS13_E_NS1_11comp_targetILNS1_3genE3ELNS1_11target_archE908ELNS1_3gpuE7ELNS1_3repE0EEENS1_30default_config_static_selectorELNS0_4arch9wavefront6targetE0EEEvT1_.kd
    .uniform_work_group_size: 1
    .uses_dynamic_stack: false
    .vgpr_count:     0
    .vgpr_spill_count: 0
    .wavefront_size: 32
    .workgroup_processor_mode: 1
  - .args:
      - .offset:         0
        .size:           128
        .value_kind:     by_value
    .group_segment_fixed_size: 0
    .kernarg_segment_align: 8
    .kernarg_segment_size: 128
    .language:       OpenCL C
    .language_version:
      - 2
      - 0
    .max_flat_workgroup_size: 256
    .name:           _ZN7rocprim17ROCPRIM_400000_NS6detail17trampoline_kernelINS0_14default_configENS1_25partition_config_selectorILNS1_17partition_subalgoE6EfNS0_10empty_typeEbEEZZNS1_14partition_implILS5_6ELb0ES3_mN6thrust23THRUST_200600_302600_NS6detail15normal_iteratorINSA_10device_ptrIfEEEEPS6_SG_NS0_5tupleIJSF_S6_EEENSH_IJSG_SG_EEES6_PlJNSB_9not_fun_tI7is_evenIfEEEEEE10hipError_tPvRmT3_T4_T5_T6_T7_T9_mT8_P12ihipStream_tbDpT10_ENKUlT_T0_E_clISt17integral_constantIbLb0EES17_IbLb1EEEEDaS13_S14_EUlS13_E_NS1_11comp_targetILNS1_3genE2ELNS1_11target_archE906ELNS1_3gpuE6ELNS1_3repE0EEENS1_30default_config_static_selectorELNS0_4arch9wavefront6targetE0EEEvT1_
    .private_segment_fixed_size: 0
    .sgpr_count:     0
    .sgpr_spill_count: 0
    .symbol:         _ZN7rocprim17ROCPRIM_400000_NS6detail17trampoline_kernelINS0_14default_configENS1_25partition_config_selectorILNS1_17partition_subalgoE6EfNS0_10empty_typeEbEEZZNS1_14partition_implILS5_6ELb0ES3_mN6thrust23THRUST_200600_302600_NS6detail15normal_iteratorINSA_10device_ptrIfEEEEPS6_SG_NS0_5tupleIJSF_S6_EEENSH_IJSG_SG_EEES6_PlJNSB_9not_fun_tI7is_evenIfEEEEEE10hipError_tPvRmT3_T4_T5_T6_T7_T9_mT8_P12ihipStream_tbDpT10_ENKUlT_T0_E_clISt17integral_constantIbLb0EES17_IbLb1EEEEDaS13_S14_EUlS13_E_NS1_11comp_targetILNS1_3genE2ELNS1_11target_archE906ELNS1_3gpuE6ELNS1_3repE0EEENS1_30default_config_static_selectorELNS0_4arch9wavefront6targetE0EEEvT1_.kd
    .uniform_work_group_size: 1
    .uses_dynamic_stack: false
    .vgpr_count:     0
    .vgpr_spill_count: 0
    .wavefront_size: 32
    .workgroup_processor_mode: 1
  - .args:
      - .offset:         0
        .size:           128
        .value_kind:     by_value
    .group_segment_fixed_size: 10768
    .kernarg_segment_align: 8
    .kernarg_segment_size: 128
    .language:       OpenCL C
    .language_version:
      - 2
      - 0
    .max_flat_workgroup_size: 384
    .name:           _ZN7rocprim17ROCPRIM_400000_NS6detail17trampoline_kernelINS0_14default_configENS1_25partition_config_selectorILNS1_17partition_subalgoE6EfNS0_10empty_typeEbEEZZNS1_14partition_implILS5_6ELb0ES3_mN6thrust23THRUST_200600_302600_NS6detail15normal_iteratorINSA_10device_ptrIfEEEEPS6_SG_NS0_5tupleIJSF_S6_EEENSH_IJSG_SG_EEES6_PlJNSB_9not_fun_tI7is_evenIfEEEEEE10hipError_tPvRmT3_T4_T5_T6_T7_T9_mT8_P12ihipStream_tbDpT10_ENKUlT_T0_E_clISt17integral_constantIbLb0EES17_IbLb1EEEEDaS13_S14_EUlS13_E_NS1_11comp_targetILNS1_3genE10ELNS1_11target_archE1200ELNS1_3gpuE4ELNS1_3repE0EEENS1_30default_config_static_selectorELNS0_4arch9wavefront6targetE0EEEvT1_
    .private_segment_fixed_size: 0
    .sgpr_count:     22
    .sgpr_spill_count: 0
    .symbol:         _ZN7rocprim17ROCPRIM_400000_NS6detail17trampoline_kernelINS0_14default_configENS1_25partition_config_selectorILNS1_17partition_subalgoE6EfNS0_10empty_typeEbEEZZNS1_14partition_implILS5_6ELb0ES3_mN6thrust23THRUST_200600_302600_NS6detail15normal_iteratorINSA_10device_ptrIfEEEEPS6_SG_NS0_5tupleIJSF_S6_EEENSH_IJSG_SG_EEES6_PlJNSB_9not_fun_tI7is_evenIfEEEEEE10hipError_tPvRmT3_T4_T5_T6_T7_T9_mT8_P12ihipStream_tbDpT10_ENKUlT_T0_E_clISt17integral_constantIbLb0EES17_IbLb1EEEEDaS13_S14_EUlS13_E_NS1_11comp_targetILNS1_3genE10ELNS1_11target_archE1200ELNS1_3gpuE4ELNS1_3repE0EEENS1_30default_config_static_selectorELNS0_4arch9wavefront6targetE0EEEvT1_.kd
    .uniform_work_group_size: 1
    .uses_dynamic_stack: false
    .vgpr_count:     52
    .vgpr_spill_count: 0
    .wavefront_size: 32
    .workgroup_processor_mode: 1
  - .args:
      - .offset:         0
        .size:           128
        .value_kind:     by_value
    .group_segment_fixed_size: 0
    .kernarg_segment_align: 8
    .kernarg_segment_size: 128
    .language:       OpenCL C
    .language_version:
      - 2
      - 0
    .max_flat_workgroup_size: 128
    .name:           _ZN7rocprim17ROCPRIM_400000_NS6detail17trampoline_kernelINS0_14default_configENS1_25partition_config_selectorILNS1_17partition_subalgoE6EfNS0_10empty_typeEbEEZZNS1_14partition_implILS5_6ELb0ES3_mN6thrust23THRUST_200600_302600_NS6detail15normal_iteratorINSA_10device_ptrIfEEEEPS6_SG_NS0_5tupleIJSF_S6_EEENSH_IJSG_SG_EEES6_PlJNSB_9not_fun_tI7is_evenIfEEEEEE10hipError_tPvRmT3_T4_T5_T6_T7_T9_mT8_P12ihipStream_tbDpT10_ENKUlT_T0_E_clISt17integral_constantIbLb0EES17_IbLb1EEEEDaS13_S14_EUlS13_E_NS1_11comp_targetILNS1_3genE9ELNS1_11target_archE1100ELNS1_3gpuE3ELNS1_3repE0EEENS1_30default_config_static_selectorELNS0_4arch9wavefront6targetE0EEEvT1_
    .private_segment_fixed_size: 0
    .sgpr_count:     0
    .sgpr_spill_count: 0
    .symbol:         _ZN7rocprim17ROCPRIM_400000_NS6detail17trampoline_kernelINS0_14default_configENS1_25partition_config_selectorILNS1_17partition_subalgoE6EfNS0_10empty_typeEbEEZZNS1_14partition_implILS5_6ELb0ES3_mN6thrust23THRUST_200600_302600_NS6detail15normal_iteratorINSA_10device_ptrIfEEEEPS6_SG_NS0_5tupleIJSF_S6_EEENSH_IJSG_SG_EEES6_PlJNSB_9not_fun_tI7is_evenIfEEEEEE10hipError_tPvRmT3_T4_T5_T6_T7_T9_mT8_P12ihipStream_tbDpT10_ENKUlT_T0_E_clISt17integral_constantIbLb0EES17_IbLb1EEEEDaS13_S14_EUlS13_E_NS1_11comp_targetILNS1_3genE9ELNS1_11target_archE1100ELNS1_3gpuE3ELNS1_3repE0EEENS1_30default_config_static_selectorELNS0_4arch9wavefront6targetE0EEEvT1_.kd
    .uniform_work_group_size: 1
    .uses_dynamic_stack: false
    .vgpr_count:     0
    .vgpr_spill_count: 0
    .wavefront_size: 32
    .workgroup_processor_mode: 1
  - .args:
      - .offset:         0
        .size:           128
        .value_kind:     by_value
    .group_segment_fixed_size: 0
    .kernarg_segment_align: 8
    .kernarg_segment_size: 128
    .language:       OpenCL C
    .language_version:
      - 2
      - 0
    .max_flat_workgroup_size: 512
    .name:           _ZN7rocprim17ROCPRIM_400000_NS6detail17trampoline_kernelINS0_14default_configENS1_25partition_config_selectorILNS1_17partition_subalgoE6EfNS0_10empty_typeEbEEZZNS1_14partition_implILS5_6ELb0ES3_mN6thrust23THRUST_200600_302600_NS6detail15normal_iteratorINSA_10device_ptrIfEEEEPS6_SG_NS0_5tupleIJSF_S6_EEENSH_IJSG_SG_EEES6_PlJNSB_9not_fun_tI7is_evenIfEEEEEE10hipError_tPvRmT3_T4_T5_T6_T7_T9_mT8_P12ihipStream_tbDpT10_ENKUlT_T0_E_clISt17integral_constantIbLb0EES17_IbLb1EEEEDaS13_S14_EUlS13_E_NS1_11comp_targetILNS1_3genE8ELNS1_11target_archE1030ELNS1_3gpuE2ELNS1_3repE0EEENS1_30default_config_static_selectorELNS0_4arch9wavefront6targetE0EEEvT1_
    .private_segment_fixed_size: 0
    .sgpr_count:     0
    .sgpr_spill_count: 0
    .symbol:         _ZN7rocprim17ROCPRIM_400000_NS6detail17trampoline_kernelINS0_14default_configENS1_25partition_config_selectorILNS1_17partition_subalgoE6EfNS0_10empty_typeEbEEZZNS1_14partition_implILS5_6ELb0ES3_mN6thrust23THRUST_200600_302600_NS6detail15normal_iteratorINSA_10device_ptrIfEEEEPS6_SG_NS0_5tupleIJSF_S6_EEENSH_IJSG_SG_EEES6_PlJNSB_9not_fun_tI7is_evenIfEEEEEE10hipError_tPvRmT3_T4_T5_T6_T7_T9_mT8_P12ihipStream_tbDpT10_ENKUlT_T0_E_clISt17integral_constantIbLb0EES17_IbLb1EEEEDaS13_S14_EUlS13_E_NS1_11comp_targetILNS1_3genE8ELNS1_11target_archE1030ELNS1_3gpuE2ELNS1_3repE0EEENS1_30default_config_static_selectorELNS0_4arch9wavefront6targetE0EEEvT1_.kd
    .uniform_work_group_size: 1
    .uses_dynamic_stack: false
    .vgpr_count:     0
    .vgpr_spill_count: 0
    .wavefront_size: 32
    .workgroup_processor_mode: 1
  - .args:
      - .offset:         0
        .size:           112
        .value_kind:     by_value
    .group_segment_fixed_size: 0
    .kernarg_segment_align: 8
    .kernarg_segment_size: 112
    .language:       OpenCL C
    .language_version:
      - 2
      - 0
    .max_flat_workgroup_size: 128
    .name:           _ZN7rocprim17ROCPRIM_400000_NS6detail17trampoline_kernelINS0_14default_configENS1_25partition_config_selectorILNS1_17partition_subalgoE6EyNS0_10empty_typeEbEEZZNS1_14partition_implILS5_6ELb0ES3_mN6thrust23THRUST_200600_302600_NS6detail15normal_iteratorINSA_10device_ptrIyEEEEPS6_SG_NS0_5tupleIJSF_S6_EEENSH_IJSG_SG_EEES6_PlJNSB_9not_fun_tI7is_evenIyEEEEEE10hipError_tPvRmT3_T4_T5_T6_T7_T9_mT8_P12ihipStream_tbDpT10_ENKUlT_T0_E_clISt17integral_constantIbLb0EES18_EEDaS13_S14_EUlS13_E_NS1_11comp_targetILNS1_3genE0ELNS1_11target_archE4294967295ELNS1_3gpuE0ELNS1_3repE0EEENS1_30default_config_static_selectorELNS0_4arch9wavefront6targetE0EEEvT1_
    .private_segment_fixed_size: 0
    .sgpr_count:     0
    .sgpr_spill_count: 0
    .symbol:         _ZN7rocprim17ROCPRIM_400000_NS6detail17trampoline_kernelINS0_14default_configENS1_25partition_config_selectorILNS1_17partition_subalgoE6EyNS0_10empty_typeEbEEZZNS1_14partition_implILS5_6ELb0ES3_mN6thrust23THRUST_200600_302600_NS6detail15normal_iteratorINSA_10device_ptrIyEEEEPS6_SG_NS0_5tupleIJSF_S6_EEENSH_IJSG_SG_EEES6_PlJNSB_9not_fun_tI7is_evenIyEEEEEE10hipError_tPvRmT3_T4_T5_T6_T7_T9_mT8_P12ihipStream_tbDpT10_ENKUlT_T0_E_clISt17integral_constantIbLb0EES18_EEDaS13_S14_EUlS13_E_NS1_11comp_targetILNS1_3genE0ELNS1_11target_archE4294967295ELNS1_3gpuE0ELNS1_3repE0EEENS1_30default_config_static_selectorELNS0_4arch9wavefront6targetE0EEEvT1_.kd
    .uniform_work_group_size: 1
    .uses_dynamic_stack: false
    .vgpr_count:     0
    .vgpr_spill_count: 0
    .wavefront_size: 32
    .workgroup_processor_mode: 1
  - .args:
      - .offset:         0
        .size:           112
        .value_kind:     by_value
    .group_segment_fixed_size: 0
    .kernarg_segment_align: 8
    .kernarg_segment_size: 112
    .language:       OpenCL C
    .language_version:
      - 2
      - 0
    .max_flat_workgroup_size: 512
    .name:           _ZN7rocprim17ROCPRIM_400000_NS6detail17trampoline_kernelINS0_14default_configENS1_25partition_config_selectorILNS1_17partition_subalgoE6EyNS0_10empty_typeEbEEZZNS1_14partition_implILS5_6ELb0ES3_mN6thrust23THRUST_200600_302600_NS6detail15normal_iteratorINSA_10device_ptrIyEEEEPS6_SG_NS0_5tupleIJSF_S6_EEENSH_IJSG_SG_EEES6_PlJNSB_9not_fun_tI7is_evenIyEEEEEE10hipError_tPvRmT3_T4_T5_T6_T7_T9_mT8_P12ihipStream_tbDpT10_ENKUlT_T0_E_clISt17integral_constantIbLb0EES18_EEDaS13_S14_EUlS13_E_NS1_11comp_targetILNS1_3genE5ELNS1_11target_archE942ELNS1_3gpuE9ELNS1_3repE0EEENS1_30default_config_static_selectorELNS0_4arch9wavefront6targetE0EEEvT1_
    .private_segment_fixed_size: 0
    .sgpr_count:     0
    .sgpr_spill_count: 0
    .symbol:         _ZN7rocprim17ROCPRIM_400000_NS6detail17trampoline_kernelINS0_14default_configENS1_25partition_config_selectorILNS1_17partition_subalgoE6EyNS0_10empty_typeEbEEZZNS1_14partition_implILS5_6ELb0ES3_mN6thrust23THRUST_200600_302600_NS6detail15normal_iteratorINSA_10device_ptrIyEEEEPS6_SG_NS0_5tupleIJSF_S6_EEENSH_IJSG_SG_EEES6_PlJNSB_9not_fun_tI7is_evenIyEEEEEE10hipError_tPvRmT3_T4_T5_T6_T7_T9_mT8_P12ihipStream_tbDpT10_ENKUlT_T0_E_clISt17integral_constantIbLb0EES18_EEDaS13_S14_EUlS13_E_NS1_11comp_targetILNS1_3genE5ELNS1_11target_archE942ELNS1_3gpuE9ELNS1_3repE0EEENS1_30default_config_static_selectorELNS0_4arch9wavefront6targetE0EEEvT1_.kd
    .uniform_work_group_size: 1
    .uses_dynamic_stack: false
    .vgpr_count:     0
    .vgpr_spill_count: 0
    .wavefront_size: 32
    .workgroup_processor_mode: 1
  - .args:
      - .offset:         0
        .size:           112
        .value_kind:     by_value
    .group_segment_fixed_size: 0
    .kernarg_segment_align: 8
    .kernarg_segment_size: 112
    .language:       OpenCL C
    .language_version:
      - 2
      - 0
    .max_flat_workgroup_size: 512
    .name:           _ZN7rocprim17ROCPRIM_400000_NS6detail17trampoline_kernelINS0_14default_configENS1_25partition_config_selectorILNS1_17partition_subalgoE6EyNS0_10empty_typeEbEEZZNS1_14partition_implILS5_6ELb0ES3_mN6thrust23THRUST_200600_302600_NS6detail15normal_iteratorINSA_10device_ptrIyEEEEPS6_SG_NS0_5tupleIJSF_S6_EEENSH_IJSG_SG_EEES6_PlJNSB_9not_fun_tI7is_evenIyEEEEEE10hipError_tPvRmT3_T4_T5_T6_T7_T9_mT8_P12ihipStream_tbDpT10_ENKUlT_T0_E_clISt17integral_constantIbLb0EES18_EEDaS13_S14_EUlS13_E_NS1_11comp_targetILNS1_3genE4ELNS1_11target_archE910ELNS1_3gpuE8ELNS1_3repE0EEENS1_30default_config_static_selectorELNS0_4arch9wavefront6targetE0EEEvT1_
    .private_segment_fixed_size: 0
    .sgpr_count:     0
    .sgpr_spill_count: 0
    .symbol:         _ZN7rocprim17ROCPRIM_400000_NS6detail17trampoline_kernelINS0_14default_configENS1_25partition_config_selectorILNS1_17partition_subalgoE6EyNS0_10empty_typeEbEEZZNS1_14partition_implILS5_6ELb0ES3_mN6thrust23THRUST_200600_302600_NS6detail15normal_iteratorINSA_10device_ptrIyEEEEPS6_SG_NS0_5tupleIJSF_S6_EEENSH_IJSG_SG_EEES6_PlJNSB_9not_fun_tI7is_evenIyEEEEEE10hipError_tPvRmT3_T4_T5_T6_T7_T9_mT8_P12ihipStream_tbDpT10_ENKUlT_T0_E_clISt17integral_constantIbLb0EES18_EEDaS13_S14_EUlS13_E_NS1_11comp_targetILNS1_3genE4ELNS1_11target_archE910ELNS1_3gpuE8ELNS1_3repE0EEENS1_30default_config_static_selectorELNS0_4arch9wavefront6targetE0EEEvT1_.kd
    .uniform_work_group_size: 1
    .uses_dynamic_stack: false
    .vgpr_count:     0
    .vgpr_spill_count: 0
    .wavefront_size: 32
    .workgroup_processor_mode: 1
  - .args:
      - .offset:         0
        .size:           112
        .value_kind:     by_value
    .group_segment_fixed_size: 0
    .kernarg_segment_align: 8
    .kernarg_segment_size: 112
    .language:       OpenCL C
    .language_version:
      - 2
      - 0
    .max_flat_workgroup_size: 128
    .name:           _ZN7rocprim17ROCPRIM_400000_NS6detail17trampoline_kernelINS0_14default_configENS1_25partition_config_selectorILNS1_17partition_subalgoE6EyNS0_10empty_typeEbEEZZNS1_14partition_implILS5_6ELb0ES3_mN6thrust23THRUST_200600_302600_NS6detail15normal_iteratorINSA_10device_ptrIyEEEEPS6_SG_NS0_5tupleIJSF_S6_EEENSH_IJSG_SG_EEES6_PlJNSB_9not_fun_tI7is_evenIyEEEEEE10hipError_tPvRmT3_T4_T5_T6_T7_T9_mT8_P12ihipStream_tbDpT10_ENKUlT_T0_E_clISt17integral_constantIbLb0EES18_EEDaS13_S14_EUlS13_E_NS1_11comp_targetILNS1_3genE3ELNS1_11target_archE908ELNS1_3gpuE7ELNS1_3repE0EEENS1_30default_config_static_selectorELNS0_4arch9wavefront6targetE0EEEvT1_
    .private_segment_fixed_size: 0
    .sgpr_count:     0
    .sgpr_spill_count: 0
    .symbol:         _ZN7rocprim17ROCPRIM_400000_NS6detail17trampoline_kernelINS0_14default_configENS1_25partition_config_selectorILNS1_17partition_subalgoE6EyNS0_10empty_typeEbEEZZNS1_14partition_implILS5_6ELb0ES3_mN6thrust23THRUST_200600_302600_NS6detail15normal_iteratorINSA_10device_ptrIyEEEEPS6_SG_NS0_5tupleIJSF_S6_EEENSH_IJSG_SG_EEES6_PlJNSB_9not_fun_tI7is_evenIyEEEEEE10hipError_tPvRmT3_T4_T5_T6_T7_T9_mT8_P12ihipStream_tbDpT10_ENKUlT_T0_E_clISt17integral_constantIbLb0EES18_EEDaS13_S14_EUlS13_E_NS1_11comp_targetILNS1_3genE3ELNS1_11target_archE908ELNS1_3gpuE7ELNS1_3repE0EEENS1_30default_config_static_selectorELNS0_4arch9wavefront6targetE0EEEvT1_.kd
    .uniform_work_group_size: 1
    .uses_dynamic_stack: false
    .vgpr_count:     0
    .vgpr_spill_count: 0
    .wavefront_size: 32
    .workgroup_processor_mode: 1
  - .args:
      - .offset:         0
        .size:           112
        .value_kind:     by_value
    .group_segment_fixed_size: 0
    .kernarg_segment_align: 8
    .kernarg_segment_size: 112
    .language:       OpenCL C
    .language_version:
      - 2
      - 0
    .max_flat_workgroup_size: 256
    .name:           _ZN7rocprim17ROCPRIM_400000_NS6detail17trampoline_kernelINS0_14default_configENS1_25partition_config_selectorILNS1_17partition_subalgoE6EyNS0_10empty_typeEbEEZZNS1_14partition_implILS5_6ELb0ES3_mN6thrust23THRUST_200600_302600_NS6detail15normal_iteratorINSA_10device_ptrIyEEEEPS6_SG_NS0_5tupleIJSF_S6_EEENSH_IJSG_SG_EEES6_PlJNSB_9not_fun_tI7is_evenIyEEEEEE10hipError_tPvRmT3_T4_T5_T6_T7_T9_mT8_P12ihipStream_tbDpT10_ENKUlT_T0_E_clISt17integral_constantIbLb0EES18_EEDaS13_S14_EUlS13_E_NS1_11comp_targetILNS1_3genE2ELNS1_11target_archE906ELNS1_3gpuE6ELNS1_3repE0EEENS1_30default_config_static_selectorELNS0_4arch9wavefront6targetE0EEEvT1_
    .private_segment_fixed_size: 0
    .sgpr_count:     0
    .sgpr_spill_count: 0
    .symbol:         _ZN7rocprim17ROCPRIM_400000_NS6detail17trampoline_kernelINS0_14default_configENS1_25partition_config_selectorILNS1_17partition_subalgoE6EyNS0_10empty_typeEbEEZZNS1_14partition_implILS5_6ELb0ES3_mN6thrust23THRUST_200600_302600_NS6detail15normal_iteratorINSA_10device_ptrIyEEEEPS6_SG_NS0_5tupleIJSF_S6_EEENSH_IJSG_SG_EEES6_PlJNSB_9not_fun_tI7is_evenIyEEEEEE10hipError_tPvRmT3_T4_T5_T6_T7_T9_mT8_P12ihipStream_tbDpT10_ENKUlT_T0_E_clISt17integral_constantIbLb0EES18_EEDaS13_S14_EUlS13_E_NS1_11comp_targetILNS1_3genE2ELNS1_11target_archE906ELNS1_3gpuE6ELNS1_3repE0EEENS1_30default_config_static_selectorELNS0_4arch9wavefront6targetE0EEEvT1_.kd
    .uniform_work_group_size: 1
    .uses_dynamic_stack: false
    .vgpr_count:     0
    .vgpr_spill_count: 0
    .wavefront_size: 32
    .workgroup_processor_mode: 1
  - .args:
      - .offset:         0
        .size:           112
        .value_kind:     by_value
    .group_segment_fixed_size: 8464
    .kernarg_segment_align: 8
    .kernarg_segment_size: 112
    .language:       OpenCL C
    .language_version:
      - 2
      - 0
    .max_flat_workgroup_size: 256
    .name:           _ZN7rocprim17ROCPRIM_400000_NS6detail17trampoline_kernelINS0_14default_configENS1_25partition_config_selectorILNS1_17partition_subalgoE6EyNS0_10empty_typeEbEEZZNS1_14partition_implILS5_6ELb0ES3_mN6thrust23THRUST_200600_302600_NS6detail15normal_iteratorINSA_10device_ptrIyEEEEPS6_SG_NS0_5tupleIJSF_S6_EEENSH_IJSG_SG_EEES6_PlJNSB_9not_fun_tI7is_evenIyEEEEEE10hipError_tPvRmT3_T4_T5_T6_T7_T9_mT8_P12ihipStream_tbDpT10_ENKUlT_T0_E_clISt17integral_constantIbLb0EES18_EEDaS13_S14_EUlS13_E_NS1_11comp_targetILNS1_3genE10ELNS1_11target_archE1200ELNS1_3gpuE4ELNS1_3repE0EEENS1_30default_config_static_selectorELNS0_4arch9wavefront6targetE0EEEvT1_
    .private_segment_fixed_size: 0
    .sgpr_count:     24
    .sgpr_spill_count: 0
    .symbol:         _ZN7rocprim17ROCPRIM_400000_NS6detail17trampoline_kernelINS0_14default_configENS1_25partition_config_selectorILNS1_17partition_subalgoE6EyNS0_10empty_typeEbEEZZNS1_14partition_implILS5_6ELb0ES3_mN6thrust23THRUST_200600_302600_NS6detail15normal_iteratorINSA_10device_ptrIyEEEEPS6_SG_NS0_5tupleIJSF_S6_EEENSH_IJSG_SG_EEES6_PlJNSB_9not_fun_tI7is_evenIyEEEEEE10hipError_tPvRmT3_T4_T5_T6_T7_T9_mT8_P12ihipStream_tbDpT10_ENKUlT_T0_E_clISt17integral_constantIbLb0EES18_EEDaS13_S14_EUlS13_E_NS1_11comp_targetILNS1_3genE10ELNS1_11target_archE1200ELNS1_3gpuE4ELNS1_3repE0EEENS1_30default_config_static_selectorELNS0_4arch9wavefront6targetE0EEEvT1_.kd
    .uniform_work_group_size: 1
    .uses_dynamic_stack: false
    .vgpr_count:     47
    .vgpr_spill_count: 0
    .wavefront_size: 32
    .workgroup_processor_mode: 1
  - .args:
      - .offset:         0
        .size:           112
        .value_kind:     by_value
    .group_segment_fixed_size: 0
    .kernarg_segment_align: 8
    .kernarg_segment_size: 112
    .language:       OpenCL C
    .language_version:
      - 2
      - 0
    .max_flat_workgroup_size: 384
    .name:           _ZN7rocprim17ROCPRIM_400000_NS6detail17trampoline_kernelINS0_14default_configENS1_25partition_config_selectorILNS1_17partition_subalgoE6EyNS0_10empty_typeEbEEZZNS1_14partition_implILS5_6ELb0ES3_mN6thrust23THRUST_200600_302600_NS6detail15normal_iteratorINSA_10device_ptrIyEEEEPS6_SG_NS0_5tupleIJSF_S6_EEENSH_IJSG_SG_EEES6_PlJNSB_9not_fun_tI7is_evenIyEEEEEE10hipError_tPvRmT3_T4_T5_T6_T7_T9_mT8_P12ihipStream_tbDpT10_ENKUlT_T0_E_clISt17integral_constantIbLb0EES18_EEDaS13_S14_EUlS13_E_NS1_11comp_targetILNS1_3genE9ELNS1_11target_archE1100ELNS1_3gpuE3ELNS1_3repE0EEENS1_30default_config_static_selectorELNS0_4arch9wavefront6targetE0EEEvT1_
    .private_segment_fixed_size: 0
    .sgpr_count:     0
    .sgpr_spill_count: 0
    .symbol:         _ZN7rocprim17ROCPRIM_400000_NS6detail17trampoline_kernelINS0_14default_configENS1_25partition_config_selectorILNS1_17partition_subalgoE6EyNS0_10empty_typeEbEEZZNS1_14partition_implILS5_6ELb0ES3_mN6thrust23THRUST_200600_302600_NS6detail15normal_iteratorINSA_10device_ptrIyEEEEPS6_SG_NS0_5tupleIJSF_S6_EEENSH_IJSG_SG_EEES6_PlJNSB_9not_fun_tI7is_evenIyEEEEEE10hipError_tPvRmT3_T4_T5_T6_T7_T9_mT8_P12ihipStream_tbDpT10_ENKUlT_T0_E_clISt17integral_constantIbLb0EES18_EEDaS13_S14_EUlS13_E_NS1_11comp_targetILNS1_3genE9ELNS1_11target_archE1100ELNS1_3gpuE3ELNS1_3repE0EEENS1_30default_config_static_selectorELNS0_4arch9wavefront6targetE0EEEvT1_.kd
    .uniform_work_group_size: 1
    .uses_dynamic_stack: false
    .vgpr_count:     0
    .vgpr_spill_count: 0
    .wavefront_size: 32
    .workgroup_processor_mode: 1
  - .args:
      - .offset:         0
        .size:           112
        .value_kind:     by_value
    .group_segment_fixed_size: 0
    .kernarg_segment_align: 8
    .kernarg_segment_size: 112
    .language:       OpenCL C
    .language_version:
      - 2
      - 0
    .max_flat_workgroup_size: 512
    .name:           _ZN7rocprim17ROCPRIM_400000_NS6detail17trampoline_kernelINS0_14default_configENS1_25partition_config_selectorILNS1_17partition_subalgoE6EyNS0_10empty_typeEbEEZZNS1_14partition_implILS5_6ELb0ES3_mN6thrust23THRUST_200600_302600_NS6detail15normal_iteratorINSA_10device_ptrIyEEEEPS6_SG_NS0_5tupleIJSF_S6_EEENSH_IJSG_SG_EEES6_PlJNSB_9not_fun_tI7is_evenIyEEEEEE10hipError_tPvRmT3_T4_T5_T6_T7_T9_mT8_P12ihipStream_tbDpT10_ENKUlT_T0_E_clISt17integral_constantIbLb0EES18_EEDaS13_S14_EUlS13_E_NS1_11comp_targetILNS1_3genE8ELNS1_11target_archE1030ELNS1_3gpuE2ELNS1_3repE0EEENS1_30default_config_static_selectorELNS0_4arch9wavefront6targetE0EEEvT1_
    .private_segment_fixed_size: 0
    .sgpr_count:     0
    .sgpr_spill_count: 0
    .symbol:         _ZN7rocprim17ROCPRIM_400000_NS6detail17trampoline_kernelINS0_14default_configENS1_25partition_config_selectorILNS1_17partition_subalgoE6EyNS0_10empty_typeEbEEZZNS1_14partition_implILS5_6ELb0ES3_mN6thrust23THRUST_200600_302600_NS6detail15normal_iteratorINSA_10device_ptrIyEEEEPS6_SG_NS0_5tupleIJSF_S6_EEENSH_IJSG_SG_EEES6_PlJNSB_9not_fun_tI7is_evenIyEEEEEE10hipError_tPvRmT3_T4_T5_T6_T7_T9_mT8_P12ihipStream_tbDpT10_ENKUlT_T0_E_clISt17integral_constantIbLb0EES18_EEDaS13_S14_EUlS13_E_NS1_11comp_targetILNS1_3genE8ELNS1_11target_archE1030ELNS1_3gpuE2ELNS1_3repE0EEENS1_30default_config_static_selectorELNS0_4arch9wavefront6targetE0EEEvT1_.kd
    .uniform_work_group_size: 1
    .uses_dynamic_stack: false
    .vgpr_count:     0
    .vgpr_spill_count: 0
    .wavefront_size: 32
    .workgroup_processor_mode: 1
  - .args:
      - .offset:         0
        .size:           128
        .value_kind:     by_value
    .group_segment_fixed_size: 0
    .kernarg_segment_align: 8
    .kernarg_segment_size: 128
    .language:       OpenCL C
    .language_version:
      - 2
      - 0
    .max_flat_workgroup_size: 128
    .name:           _ZN7rocprim17ROCPRIM_400000_NS6detail17trampoline_kernelINS0_14default_configENS1_25partition_config_selectorILNS1_17partition_subalgoE6EyNS0_10empty_typeEbEEZZNS1_14partition_implILS5_6ELb0ES3_mN6thrust23THRUST_200600_302600_NS6detail15normal_iteratorINSA_10device_ptrIyEEEEPS6_SG_NS0_5tupleIJSF_S6_EEENSH_IJSG_SG_EEES6_PlJNSB_9not_fun_tI7is_evenIyEEEEEE10hipError_tPvRmT3_T4_T5_T6_T7_T9_mT8_P12ihipStream_tbDpT10_ENKUlT_T0_E_clISt17integral_constantIbLb1EES18_EEDaS13_S14_EUlS13_E_NS1_11comp_targetILNS1_3genE0ELNS1_11target_archE4294967295ELNS1_3gpuE0ELNS1_3repE0EEENS1_30default_config_static_selectorELNS0_4arch9wavefront6targetE0EEEvT1_
    .private_segment_fixed_size: 0
    .sgpr_count:     0
    .sgpr_spill_count: 0
    .symbol:         _ZN7rocprim17ROCPRIM_400000_NS6detail17trampoline_kernelINS0_14default_configENS1_25partition_config_selectorILNS1_17partition_subalgoE6EyNS0_10empty_typeEbEEZZNS1_14partition_implILS5_6ELb0ES3_mN6thrust23THRUST_200600_302600_NS6detail15normal_iteratorINSA_10device_ptrIyEEEEPS6_SG_NS0_5tupleIJSF_S6_EEENSH_IJSG_SG_EEES6_PlJNSB_9not_fun_tI7is_evenIyEEEEEE10hipError_tPvRmT3_T4_T5_T6_T7_T9_mT8_P12ihipStream_tbDpT10_ENKUlT_T0_E_clISt17integral_constantIbLb1EES18_EEDaS13_S14_EUlS13_E_NS1_11comp_targetILNS1_3genE0ELNS1_11target_archE4294967295ELNS1_3gpuE0ELNS1_3repE0EEENS1_30default_config_static_selectorELNS0_4arch9wavefront6targetE0EEEvT1_.kd
    .uniform_work_group_size: 1
    .uses_dynamic_stack: false
    .vgpr_count:     0
    .vgpr_spill_count: 0
    .wavefront_size: 32
    .workgroup_processor_mode: 1
  - .args:
      - .offset:         0
        .size:           128
        .value_kind:     by_value
    .group_segment_fixed_size: 0
    .kernarg_segment_align: 8
    .kernarg_segment_size: 128
    .language:       OpenCL C
    .language_version:
      - 2
      - 0
    .max_flat_workgroup_size: 512
    .name:           _ZN7rocprim17ROCPRIM_400000_NS6detail17trampoline_kernelINS0_14default_configENS1_25partition_config_selectorILNS1_17partition_subalgoE6EyNS0_10empty_typeEbEEZZNS1_14partition_implILS5_6ELb0ES3_mN6thrust23THRUST_200600_302600_NS6detail15normal_iteratorINSA_10device_ptrIyEEEEPS6_SG_NS0_5tupleIJSF_S6_EEENSH_IJSG_SG_EEES6_PlJNSB_9not_fun_tI7is_evenIyEEEEEE10hipError_tPvRmT3_T4_T5_T6_T7_T9_mT8_P12ihipStream_tbDpT10_ENKUlT_T0_E_clISt17integral_constantIbLb1EES18_EEDaS13_S14_EUlS13_E_NS1_11comp_targetILNS1_3genE5ELNS1_11target_archE942ELNS1_3gpuE9ELNS1_3repE0EEENS1_30default_config_static_selectorELNS0_4arch9wavefront6targetE0EEEvT1_
    .private_segment_fixed_size: 0
    .sgpr_count:     0
    .sgpr_spill_count: 0
    .symbol:         _ZN7rocprim17ROCPRIM_400000_NS6detail17trampoline_kernelINS0_14default_configENS1_25partition_config_selectorILNS1_17partition_subalgoE6EyNS0_10empty_typeEbEEZZNS1_14partition_implILS5_6ELb0ES3_mN6thrust23THRUST_200600_302600_NS6detail15normal_iteratorINSA_10device_ptrIyEEEEPS6_SG_NS0_5tupleIJSF_S6_EEENSH_IJSG_SG_EEES6_PlJNSB_9not_fun_tI7is_evenIyEEEEEE10hipError_tPvRmT3_T4_T5_T6_T7_T9_mT8_P12ihipStream_tbDpT10_ENKUlT_T0_E_clISt17integral_constantIbLb1EES18_EEDaS13_S14_EUlS13_E_NS1_11comp_targetILNS1_3genE5ELNS1_11target_archE942ELNS1_3gpuE9ELNS1_3repE0EEENS1_30default_config_static_selectorELNS0_4arch9wavefront6targetE0EEEvT1_.kd
    .uniform_work_group_size: 1
    .uses_dynamic_stack: false
    .vgpr_count:     0
    .vgpr_spill_count: 0
    .wavefront_size: 32
    .workgroup_processor_mode: 1
  - .args:
      - .offset:         0
        .size:           128
        .value_kind:     by_value
    .group_segment_fixed_size: 0
    .kernarg_segment_align: 8
    .kernarg_segment_size: 128
    .language:       OpenCL C
    .language_version:
      - 2
      - 0
    .max_flat_workgroup_size: 512
    .name:           _ZN7rocprim17ROCPRIM_400000_NS6detail17trampoline_kernelINS0_14default_configENS1_25partition_config_selectorILNS1_17partition_subalgoE6EyNS0_10empty_typeEbEEZZNS1_14partition_implILS5_6ELb0ES3_mN6thrust23THRUST_200600_302600_NS6detail15normal_iteratorINSA_10device_ptrIyEEEEPS6_SG_NS0_5tupleIJSF_S6_EEENSH_IJSG_SG_EEES6_PlJNSB_9not_fun_tI7is_evenIyEEEEEE10hipError_tPvRmT3_T4_T5_T6_T7_T9_mT8_P12ihipStream_tbDpT10_ENKUlT_T0_E_clISt17integral_constantIbLb1EES18_EEDaS13_S14_EUlS13_E_NS1_11comp_targetILNS1_3genE4ELNS1_11target_archE910ELNS1_3gpuE8ELNS1_3repE0EEENS1_30default_config_static_selectorELNS0_4arch9wavefront6targetE0EEEvT1_
    .private_segment_fixed_size: 0
    .sgpr_count:     0
    .sgpr_spill_count: 0
    .symbol:         _ZN7rocprim17ROCPRIM_400000_NS6detail17trampoline_kernelINS0_14default_configENS1_25partition_config_selectorILNS1_17partition_subalgoE6EyNS0_10empty_typeEbEEZZNS1_14partition_implILS5_6ELb0ES3_mN6thrust23THRUST_200600_302600_NS6detail15normal_iteratorINSA_10device_ptrIyEEEEPS6_SG_NS0_5tupleIJSF_S6_EEENSH_IJSG_SG_EEES6_PlJNSB_9not_fun_tI7is_evenIyEEEEEE10hipError_tPvRmT3_T4_T5_T6_T7_T9_mT8_P12ihipStream_tbDpT10_ENKUlT_T0_E_clISt17integral_constantIbLb1EES18_EEDaS13_S14_EUlS13_E_NS1_11comp_targetILNS1_3genE4ELNS1_11target_archE910ELNS1_3gpuE8ELNS1_3repE0EEENS1_30default_config_static_selectorELNS0_4arch9wavefront6targetE0EEEvT1_.kd
    .uniform_work_group_size: 1
    .uses_dynamic_stack: false
    .vgpr_count:     0
    .vgpr_spill_count: 0
    .wavefront_size: 32
    .workgroup_processor_mode: 1
  - .args:
      - .offset:         0
        .size:           128
        .value_kind:     by_value
    .group_segment_fixed_size: 0
    .kernarg_segment_align: 8
    .kernarg_segment_size: 128
    .language:       OpenCL C
    .language_version:
      - 2
      - 0
    .max_flat_workgroup_size: 128
    .name:           _ZN7rocprim17ROCPRIM_400000_NS6detail17trampoline_kernelINS0_14default_configENS1_25partition_config_selectorILNS1_17partition_subalgoE6EyNS0_10empty_typeEbEEZZNS1_14partition_implILS5_6ELb0ES3_mN6thrust23THRUST_200600_302600_NS6detail15normal_iteratorINSA_10device_ptrIyEEEEPS6_SG_NS0_5tupleIJSF_S6_EEENSH_IJSG_SG_EEES6_PlJNSB_9not_fun_tI7is_evenIyEEEEEE10hipError_tPvRmT3_T4_T5_T6_T7_T9_mT8_P12ihipStream_tbDpT10_ENKUlT_T0_E_clISt17integral_constantIbLb1EES18_EEDaS13_S14_EUlS13_E_NS1_11comp_targetILNS1_3genE3ELNS1_11target_archE908ELNS1_3gpuE7ELNS1_3repE0EEENS1_30default_config_static_selectorELNS0_4arch9wavefront6targetE0EEEvT1_
    .private_segment_fixed_size: 0
    .sgpr_count:     0
    .sgpr_spill_count: 0
    .symbol:         _ZN7rocprim17ROCPRIM_400000_NS6detail17trampoline_kernelINS0_14default_configENS1_25partition_config_selectorILNS1_17partition_subalgoE6EyNS0_10empty_typeEbEEZZNS1_14partition_implILS5_6ELb0ES3_mN6thrust23THRUST_200600_302600_NS6detail15normal_iteratorINSA_10device_ptrIyEEEEPS6_SG_NS0_5tupleIJSF_S6_EEENSH_IJSG_SG_EEES6_PlJNSB_9not_fun_tI7is_evenIyEEEEEE10hipError_tPvRmT3_T4_T5_T6_T7_T9_mT8_P12ihipStream_tbDpT10_ENKUlT_T0_E_clISt17integral_constantIbLb1EES18_EEDaS13_S14_EUlS13_E_NS1_11comp_targetILNS1_3genE3ELNS1_11target_archE908ELNS1_3gpuE7ELNS1_3repE0EEENS1_30default_config_static_selectorELNS0_4arch9wavefront6targetE0EEEvT1_.kd
    .uniform_work_group_size: 1
    .uses_dynamic_stack: false
    .vgpr_count:     0
    .vgpr_spill_count: 0
    .wavefront_size: 32
    .workgroup_processor_mode: 1
  - .args:
      - .offset:         0
        .size:           128
        .value_kind:     by_value
    .group_segment_fixed_size: 0
    .kernarg_segment_align: 8
    .kernarg_segment_size: 128
    .language:       OpenCL C
    .language_version:
      - 2
      - 0
    .max_flat_workgroup_size: 256
    .name:           _ZN7rocprim17ROCPRIM_400000_NS6detail17trampoline_kernelINS0_14default_configENS1_25partition_config_selectorILNS1_17partition_subalgoE6EyNS0_10empty_typeEbEEZZNS1_14partition_implILS5_6ELb0ES3_mN6thrust23THRUST_200600_302600_NS6detail15normal_iteratorINSA_10device_ptrIyEEEEPS6_SG_NS0_5tupleIJSF_S6_EEENSH_IJSG_SG_EEES6_PlJNSB_9not_fun_tI7is_evenIyEEEEEE10hipError_tPvRmT3_T4_T5_T6_T7_T9_mT8_P12ihipStream_tbDpT10_ENKUlT_T0_E_clISt17integral_constantIbLb1EES18_EEDaS13_S14_EUlS13_E_NS1_11comp_targetILNS1_3genE2ELNS1_11target_archE906ELNS1_3gpuE6ELNS1_3repE0EEENS1_30default_config_static_selectorELNS0_4arch9wavefront6targetE0EEEvT1_
    .private_segment_fixed_size: 0
    .sgpr_count:     0
    .sgpr_spill_count: 0
    .symbol:         _ZN7rocprim17ROCPRIM_400000_NS6detail17trampoline_kernelINS0_14default_configENS1_25partition_config_selectorILNS1_17partition_subalgoE6EyNS0_10empty_typeEbEEZZNS1_14partition_implILS5_6ELb0ES3_mN6thrust23THRUST_200600_302600_NS6detail15normal_iteratorINSA_10device_ptrIyEEEEPS6_SG_NS0_5tupleIJSF_S6_EEENSH_IJSG_SG_EEES6_PlJNSB_9not_fun_tI7is_evenIyEEEEEE10hipError_tPvRmT3_T4_T5_T6_T7_T9_mT8_P12ihipStream_tbDpT10_ENKUlT_T0_E_clISt17integral_constantIbLb1EES18_EEDaS13_S14_EUlS13_E_NS1_11comp_targetILNS1_3genE2ELNS1_11target_archE906ELNS1_3gpuE6ELNS1_3repE0EEENS1_30default_config_static_selectorELNS0_4arch9wavefront6targetE0EEEvT1_.kd
    .uniform_work_group_size: 1
    .uses_dynamic_stack: false
    .vgpr_count:     0
    .vgpr_spill_count: 0
    .wavefront_size: 32
    .workgroup_processor_mode: 1
  - .args:
      - .offset:         0
        .size:           128
        .value_kind:     by_value
    .group_segment_fixed_size: 0
    .kernarg_segment_align: 8
    .kernarg_segment_size: 128
    .language:       OpenCL C
    .language_version:
      - 2
      - 0
    .max_flat_workgroup_size: 256
    .name:           _ZN7rocprim17ROCPRIM_400000_NS6detail17trampoline_kernelINS0_14default_configENS1_25partition_config_selectorILNS1_17partition_subalgoE6EyNS0_10empty_typeEbEEZZNS1_14partition_implILS5_6ELb0ES3_mN6thrust23THRUST_200600_302600_NS6detail15normal_iteratorINSA_10device_ptrIyEEEEPS6_SG_NS0_5tupleIJSF_S6_EEENSH_IJSG_SG_EEES6_PlJNSB_9not_fun_tI7is_evenIyEEEEEE10hipError_tPvRmT3_T4_T5_T6_T7_T9_mT8_P12ihipStream_tbDpT10_ENKUlT_T0_E_clISt17integral_constantIbLb1EES18_EEDaS13_S14_EUlS13_E_NS1_11comp_targetILNS1_3genE10ELNS1_11target_archE1200ELNS1_3gpuE4ELNS1_3repE0EEENS1_30default_config_static_selectorELNS0_4arch9wavefront6targetE0EEEvT1_
    .private_segment_fixed_size: 0
    .sgpr_count:     0
    .sgpr_spill_count: 0
    .symbol:         _ZN7rocprim17ROCPRIM_400000_NS6detail17trampoline_kernelINS0_14default_configENS1_25partition_config_selectorILNS1_17partition_subalgoE6EyNS0_10empty_typeEbEEZZNS1_14partition_implILS5_6ELb0ES3_mN6thrust23THRUST_200600_302600_NS6detail15normal_iteratorINSA_10device_ptrIyEEEEPS6_SG_NS0_5tupleIJSF_S6_EEENSH_IJSG_SG_EEES6_PlJNSB_9not_fun_tI7is_evenIyEEEEEE10hipError_tPvRmT3_T4_T5_T6_T7_T9_mT8_P12ihipStream_tbDpT10_ENKUlT_T0_E_clISt17integral_constantIbLb1EES18_EEDaS13_S14_EUlS13_E_NS1_11comp_targetILNS1_3genE10ELNS1_11target_archE1200ELNS1_3gpuE4ELNS1_3repE0EEENS1_30default_config_static_selectorELNS0_4arch9wavefront6targetE0EEEvT1_.kd
    .uniform_work_group_size: 1
    .uses_dynamic_stack: false
    .vgpr_count:     0
    .vgpr_spill_count: 0
    .wavefront_size: 32
    .workgroup_processor_mode: 1
  - .args:
      - .offset:         0
        .size:           128
        .value_kind:     by_value
    .group_segment_fixed_size: 0
    .kernarg_segment_align: 8
    .kernarg_segment_size: 128
    .language:       OpenCL C
    .language_version:
      - 2
      - 0
    .max_flat_workgroup_size: 384
    .name:           _ZN7rocprim17ROCPRIM_400000_NS6detail17trampoline_kernelINS0_14default_configENS1_25partition_config_selectorILNS1_17partition_subalgoE6EyNS0_10empty_typeEbEEZZNS1_14partition_implILS5_6ELb0ES3_mN6thrust23THRUST_200600_302600_NS6detail15normal_iteratorINSA_10device_ptrIyEEEEPS6_SG_NS0_5tupleIJSF_S6_EEENSH_IJSG_SG_EEES6_PlJNSB_9not_fun_tI7is_evenIyEEEEEE10hipError_tPvRmT3_T4_T5_T6_T7_T9_mT8_P12ihipStream_tbDpT10_ENKUlT_T0_E_clISt17integral_constantIbLb1EES18_EEDaS13_S14_EUlS13_E_NS1_11comp_targetILNS1_3genE9ELNS1_11target_archE1100ELNS1_3gpuE3ELNS1_3repE0EEENS1_30default_config_static_selectorELNS0_4arch9wavefront6targetE0EEEvT1_
    .private_segment_fixed_size: 0
    .sgpr_count:     0
    .sgpr_spill_count: 0
    .symbol:         _ZN7rocprim17ROCPRIM_400000_NS6detail17trampoline_kernelINS0_14default_configENS1_25partition_config_selectorILNS1_17partition_subalgoE6EyNS0_10empty_typeEbEEZZNS1_14partition_implILS5_6ELb0ES3_mN6thrust23THRUST_200600_302600_NS6detail15normal_iteratorINSA_10device_ptrIyEEEEPS6_SG_NS0_5tupleIJSF_S6_EEENSH_IJSG_SG_EEES6_PlJNSB_9not_fun_tI7is_evenIyEEEEEE10hipError_tPvRmT3_T4_T5_T6_T7_T9_mT8_P12ihipStream_tbDpT10_ENKUlT_T0_E_clISt17integral_constantIbLb1EES18_EEDaS13_S14_EUlS13_E_NS1_11comp_targetILNS1_3genE9ELNS1_11target_archE1100ELNS1_3gpuE3ELNS1_3repE0EEENS1_30default_config_static_selectorELNS0_4arch9wavefront6targetE0EEEvT1_.kd
    .uniform_work_group_size: 1
    .uses_dynamic_stack: false
    .vgpr_count:     0
    .vgpr_spill_count: 0
    .wavefront_size: 32
    .workgroup_processor_mode: 1
  - .args:
      - .offset:         0
        .size:           128
        .value_kind:     by_value
    .group_segment_fixed_size: 0
    .kernarg_segment_align: 8
    .kernarg_segment_size: 128
    .language:       OpenCL C
    .language_version:
      - 2
      - 0
    .max_flat_workgroup_size: 512
    .name:           _ZN7rocprim17ROCPRIM_400000_NS6detail17trampoline_kernelINS0_14default_configENS1_25partition_config_selectorILNS1_17partition_subalgoE6EyNS0_10empty_typeEbEEZZNS1_14partition_implILS5_6ELb0ES3_mN6thrust23THRUST_200600_302600_NS6detail15normal_iteratorINSA_10device_ptrIyEEEEPS6_SG_NS0_5tupleIJSF_S6_EEENSH_IJSG_SG_EEES6_PlJNSB_9not_fun_tI7is_evenIyEEEEEE10hipError_tPvRmT3_T4_T5_T6_T7_T9_mT8_P12ihipStream_tbDpT10_ENKUlT_T0_E_clISt17integral_constantIbLb1EES18_EEDaS13_S14_EUlS13_E_NS1_11comp_targetILNS1_3genE8ELNS1_11target_archE1030ELNS1_3gpuE2ELNS1_3repE0EEENS1_30default_config_static_selectorELNS0_4arch9wavefront6targetE0EEEvT1_
    .private_segment_fixed_size: 0
    .sgpr_count:     0
    .sgpr_spill_count: 0
    .symbol:         _ZN7rocprim17ROCPRIM_400000_NS6detail17trampoline_kernelINS0_14default_configENS1_25partition_config_selectorILNS1_17partition_subalgoE6EyNS0_10empty_typeEbEEZZNS1_14partition_implILS5_6ELb0ES3_mN6thrust23THRUST_200600_302600_NS6detail15normal_iteratorINSA_10device_ptrIyEEEEPS6_SG_NS0_5tupleIJSF_S6_EEENSH_IJSG_SG_EEES6_PlJNSB_9not_fun_tI7is_evenIyEEEEEE10hipError_tPvRmT3_T4_T5_T6_T7_T9_mT8_P12ihipStream_tbDpT10_ENKUlT_T0_E_clISt17integral_constantIbLb1EES18_EEDaS13_S14_EUlS13_E_NS1_11comp_targetILNS1_3genE8ELNS1_11target_archE1030ELNS1_3gpuE2ELNS1_3repE0EEENS1_30default_config_static_selectorELNS0_4arch9wavefront6targetE0EEEvT1_.kd
    .uniform_work_group_size: 1
    .uses_dynamic_stack: false
    .vgpr_count:     0
    .vgpr_spill_count: 0
    .wavefront_size: 32
    .workgroup_processor_mode: 1
  - .args:
      - .offset:         0
        .size:           112
        .value_kind:     by_value
    .group_segment_fixed_size: 0
    .kernarg_segment_align: 8
    .kernarg_segment_size: 112
    .language:       OpenCL C
    .language_version:
      - 2
      - 0
    .max_flat_workgroup_size: 128
    .name:           _ZN7rocprim17ROCPRIM_400000_NS6detail17trampoline_kernelINS0_14default_configENS1_25partition_config_selectorILNS1_17partition_subalgoE6EyNS0_10empty_typeEbEEZZNS1_14partition_implILS5_6ELb0ES3_mN6thrust23THRUST_200600_302600_NS6detail15normal_iteratorINSA_10device_ptrIyEEEEPS6_SG_NS0_5tupleIJSF_S6_EEENSH_IJSG_SG_EEES6_PlJNSB_9not_fun_tI7is_evenIyEEEEEE10hipError_tPvRmT3_T4_T5_T6_T7_T9_mT8_P12ihipStream_tbDpT10_ENKUlT_T0_E_clISt17integral_constantIbLb1EES17_IbLb0EEEEDaS13_S14_EUlS13_E_NS1_11comp_targetILNS1_3genE0ELNS1_11target_archE4294967295ELNS1_3gpuE0ELNS1_3repE0EEENS1_30default_config_static_selectorELNS0_4arch9wavefront6targetE0EEEvT1_
    .private_segment_fixed_size: 0
    .sgpr_count:     0
    .sgpr_spill_count: 0
    .symbol:         _ZN7rocprim17ROCPRIM_400000_NS6detail17trampoline_kernelINS0_14default_configENS1_25partition_config_selectorILNS1_17partition_subalgoE6EyNS0_10empty_typeEbEEZZNS1_14partition_implILS5_6ELb0ES3_mN6thrust23THRUST_200600_302600_NS6detail15normal_iteratorINSA_10device_ptrIyEEEEPS6_SG_NS0_5tupleIJSF_S6_EEENSH_IJSG_SG_EEES6_PlJNSB_9not_fun_tI7is_evenIyEEEEEE10hipError_tPvRmT3_T4_T5_T6_T7_T9_mT8_P12ihipStream_tbDpT10_ENKUlT_T0_E_clISt17integral_constantIbLb1EES17_IbLb0EEEEDaS13_S14_EUlS13_E_NS1_11comp_targetILNS1_3genE0ELNS1_11target_archE4294967295ELNS1_3gpuE0ELNS1_3repE0EEENS1_30default_config_static_selectorELNS0_4arch9wavefront6targetE0EEEvT1_.kd
    .uniform_work_group_size: 1
    .uses_dynamic_stack: false
    .vgpr_count:     0
    .vgpr_spill_count: 0
    .wavefront_size: 32
    .workgroup_processor_mode: 1
  - .args:
      - .offset:         0
        .size:           112
        .value_kind:     by_value
    .group_segment_fixed_size: 0
    .kernarg_segment_align: 8
    .kernarg_segment_size: 112
    .language:       OpenCL C
    .language_version:
      - 2
      - 0
    .max_flat_workgroup_size: 512
    .name:           _ZN7rocprim17ROCPRIM_400000_NS6detail17trampoline_kernelINS0_14default_configENS1_25partition_config_selectorILNS1_17partition_subalgoE6EyNS0_10empty_typeEbEEZZNS1_14partition_implILS5_6ELb0ES3_mN6thrust23THRUST_200600_302600_NS6detail15normal_iteratorINSA_10device_ptrIyEEEEPS6_SG_NS0_5tupleIJSF_S6_EEENSH_IJSG_SG_EEES6_PlJNSB_9not_fun_tI7is_evenIyEEEEEE10hipError_tPvRmT3_T4_T5_T6_T7_T9_mT8_P12ihipStream_tbDpT10_ENKUlT_T0_E_clISt17integral_constantIbLb1EES17_IbLb0EEEEDaS13_S14_EUlS13_E_NS1_11comp_targetILNS1_3genE5ELNS1_11target_archE942ELNS1_3gpuE9ELNS1_3repE0EEENS1_30default_config_static_selectorELNS0_4arch9wavefront6targetE0EEEvT1_
    .private_segment_fixed_size: 0
    .sgpr_count:     0
    .sgpr_spill_count: 0
    .symbol:         _ZN7rocprim17ROCPRIM_400000_NS6detail17trampoline_kernelINS0_14default_configENS1_25partition_config_selectorILNS1_17partition_subalgoE6EyNS0_10empty_typeEbEEZZNS1_14partition_implILS5_6ELb0ES3_mN6thrust23THRUST_200600_302600_NS6detail15normal_iteratorINSA_10device_ptrIyEEEEPS6_SG_NS0_5tupleIJSF_S6_EEENSH_IJSG_SG_EEES6_PlJNSB_9not_fun_tI7is_evenIyEEEEEE10hipError_tPvRmT3_T4_T5_T6_T7_T9_mT8_P12ihipStream_tbDpT10_ENKUlT_T0_E_clISt17integral_constantIbLb1EES17_IbLb0EEEEDaS13_S14_EUlS13_E_NS1_11comp_targetILNS1_3genE5ELNS1_11target_archE942ELNS1_3gpuE9ELNS1_3repE0EEENS1_30default_config_static_selectorELNS0_4arch9wavefront6targetE0EEEvT1_.kd
    .uniform_work_group_size: 1
    .uses_dynamic_stack: false
    .vgpr_count:     0
    .vgpr_spill_count: 0
    .wavefront_size: 32
    .workgroup_processor_mode: 1
  - .args:
      - .offset:         0
        .size:           112
        .value_kind:     by_value
    .group_segment_fixed_size: 0
    .kernarg_segment_align: 8
    .kernarg_segment_size: 112
    .language:       OpenCL C
    .language_version:
      - 2
      - 0
    .max_flat_workgroup_size: 512
    .name:           _ZN7rocprim17ROCPRIM_400000_NS6detail17trampoline_kernelINS0_14default_configENS1_25partition_config_selectorILNS1_17partition_subalgoE6EyNS0_10empty_typeEbEEZZNS1_14partition_implILS5_6ELb0ES3_mN6thrust23THRUST_200600_302600_NS6detail15normal_iteratorINSA_10device_ptrIyEEEEPS6_SG_NS0_5tupleIJSF_S6_EEENSH_IJSG_SG_EEES6_PlJNSB_9not_fun_tI7is_evenIyEEEEEE10hipError_tPvRmT3_T4_T5_T6_T7_T9_mT8_P12ihipStream_tbDpT10_ENKUlT_T0_E_clISt17integral_constantIbLb1EES17_IbLb0EEEEDaS13_S14_EUlS13_E_NS1_11comp_targetILNS1_3genE4ELNS1_11target_archE910ELNS1_3gpuE8ELNS1_3repE0EEENS1_30default_config_static_selectorELNS0_4arch9wavefront6targetE0EEEvT1_
    .private_segment_fixed_size: 0
    .sgpr_count:     0
    .sgpr_spill_count: 0
    .symbol:         _ZN7rocprim17ROCPRIM_400000_NS6detail17trampoline_kernelINS0_14default_configENS1_25partition_config_selectorILNS1_17partition_subalgoE6EyNS0_10empty_typeEbEEZZNS1_14partition_implILS5_6ELb0ES3_mN6thrust23THRUST_200600_302600_NS6detail15normal_iteratorINSA_10device_ptrIyEEEEPS6_SG_NS0_5tupleIJSF_S6_EEENSH_IJSG_SG_EEES6_PlJNSB_9not_fun_tI7is_evenIyEEEEEE10hipError_tPvRmT3_T4_T5_T6_T7_T9_mT8_P12ihipStream_tbDpT10_ENKUlT_T0_E_clISt17integral_constantIbLb1EES17_IbLb0EEEEDaS13_S14_EUlS13_E_NS1_11comp_targetILNS1_3genE4ELNS1_11target_archE910ELNS1_3gpuE8ELNS1_3repE0EEENS1_30default_config_static_selectorELNS0_4arch9wavefront6targetE0EEEvT1_.kd
    .uniform_work_group_size: 1
    .uses_dynamic_stack: false
    .vgpr_count:     0
    .vgpr_spill_count: 0
    .wavefront_size: 32
    .workgroup_processor_mode: 1
  - .args:
      - .offset:         0
        .size:           112
        .value_kind:     by_value
    .group_segment_fixed_size: 0
    .kernarg_segment_align: 8
    .kernarg_segment_size: 112
    .language:       OpenCL C
    .language_version:
      - 2
      - 0
    .max_flat_workgroup_size: 128
    .name:           _ZN7rocprim17ROCPRIM_400000_NS6detail17trampoline_kernelINS0_14default_configENS1_25partition_config_selectorILNS1_17partition_subalgoE6EyNS0_10empty_typeEbEEZZNS1_14partition_implILS5_6ELb0ES3_mN6thrust23THRUST_200600_302600_NS6detail15normal_iteratorINSA_10device_ptrIyEEEEPS6_SG_NS0_5tupleIJSF_S6_EEENSH_IJSG_SG_EEES6_PlJNSB_9not_fun_tI7is_evenIyEEEEEE10hipError_tPvRmT3_T4_T5_T6_T7_T9_mT8_P12ihipStream_tbDpT10_ENKUlT_T0_E_clISt17integral_constantIbLb1EES17_IbLb0EEEEDaS13_S14_EUlS13_E_NS1_11comp_targetILNS1_3genE3ELNS1_11target_archE908ELNS1_3gpuE7ELNS1_3repE0EEENS1_30default_config_static_selectorELNS0_4arch9wavefront6targetE0EEEvT1_
    .private_segment_fixed_size: 0
    .sgpr_count:     0
    .sgpr_spill_count: 0
    .symbol:         _ZN7rocprim17ROCPRIM_400000_NS6detail17trampoline_kernelINS0_14default_configENS1_25partition_config_selectorILNS1_17partition_subalgoE6EyNS0_10empty_typeEbEEZZNS1_14partition_implILS5_6ELb0ES3_mN6thrust23THRUST_200600_302600_NS6detail15normal_iteratorINSA_10device_ptrIyEEEEPS6_SG_NS0_5tupleIJSF_S6_EEENSH_IJSG_SG_EEES6_PlJNSB_9not_fun_tI7is_evenIyEEEEEE10hipError_tPvRmT3_T4_T5_T6_T7_T9_mT8_P12ihipStream_tbDpT10_ENKUlT_T0_E_clISt17integral_constantIbLb1EES17_IbLb0EEEEDaS13_S14_EUlS13_E_NS1_11comp_targetILNS1_3genE3ELNS1_11target_archE908ELNS1_3gpuE7ELNS1_3repE0EEENS1_30default_config_static_selectorELNS0_4arch9wavefront6targetE0EEEvT1_.kd
    .uniform_work_group_size: 1
    .uses_dynamic_stack: false
    .vgpr_count:     0
    .vgpr_spill_count: 0
    .wavefront_size: 32
    .workgroup_processor_mode: 1
  - .args:
      - .offset:         0
        .size:           112
        .value_kind:     by_value
    .group_segment_fixed_size: 0
    .kernarg_segment_align: 8
    .kernarg_segment_size: 112
    .language:       OpenCL C
    .language_version:
      - 2
      - 0
    .max_flat_workgroup_size: 256
    .name:           _ZN7rocprim17ROCPRIM_400000_NS6detail17trampoline_kernelINS0_14default_configENS1_25partition_config_selectorILNS1_17partition_subalgoE6EyNS0_10empty_typeEbEEZZNS1_14partition_implILS5_6ELb0ES3_mN6thrust23THRUST_200600_302600_NS6detail15normal_iteratorINSA_10device_ptrIyEEEEPS6_SG_NS0_5tupleIJSF_S6_EEENSH_IJSG_SG_EEES6_PlJNSB_9not_fun_tI7is_evenIyEEEEEE10hipError_tPvRmT3_T4_T5_T6_T7_T9_mT8_P12ihipStream_tbDpT10_ENKUlT_T0_E_clISt17integral_constantIbLb1EES17_IbLb0EEEEDaS13_S14_EUlS13_E_NS1_11comp_targetILNS1_3genE2ELNS1_11target_archE906ELNS1_3gpuE6ELNS1_3repE0EEENS1_30default_config_static_selectorELNS0_4arch9wavefront6targetE0EEEvT1_
    .private_segment_fixed_size: 0
    .sgpr_count:     0
    .sgpr_spill_count: 0
    .symbol:         _ZN7rocprim17ROCPRIM_400000_NS6detail17trampoline_kernelINS0_14default_configENS1_25partition_config_selectorILNS1_17partition_subalgoE6EyNS0_10empty_typeEbEEZZNS1_14partition_implILS5_6ELb0ES3_mN6thrust23THRUST_200600_302600_NS6detail15normal_iteratorINSA_10device_ptrIyEEEEPS6_SG_NS0_5tupleIJSF_S6_EEENSH_IJSG_SG_EEES6_PlJNSB_9not_fun_tI7is_evenIyEEEEEE10hipError_tPvRmT3_T4_T5_T6_T7_T9_mT8_P12ihipStream_tbDpT10_ENKUlT_T0_E_clISt17integral_constantIbLb1EES17_IbLb0EEEEDaS13_S14_EUlS13_E_NS1_11comp_targetILNS1_3genE2ELNS1_11target_archE906ELNS1_3gpuE6ELNS1_3repE0EEENS1_30default_config_static_selectorELNS0_4arch9wavefront6targetE0EEEvT1_.kd
    .uniform_work_group_size: 1
    .uses_dynamic_stack: false
    .vgpr_count:     0
    .vgpr_spill_count: 0
    .wavefront_size: 32
    .workgroup_processor_mode: 1
  - .args:
      - .offset:         0
        .size:           112
        .value_kind:     by_value
    .group_segment_fixed_size: 0
    .kernarg_segment_align: 8
    .kernarg_segment_size: 112
    .language:       OpenCL C
    .language_version:
      - 2
      - 0
    .max_flat_workgroup_size: 256
    .name:           _ZN7rocprim17ROCPRIM_400000_NS6detail17trampoline_kernelINS0_14default_configENS1_25partition_config_selectorILNS1_17partition_subalgoE6EyNS0_10empty_typeEbEEZZNS1_14partition_implILS5_6ELb0ES3_mN6thrust23THRUST_200600_302600_NS6detail15normal_iteratorINSA_10device_ptrIyEEEEPS6_SG_NS0_5tupleIJSF_S6_EEENSH_IJSG_SG_EEES6_PlJNSB_9not_fun_tI7is_evenIyEEEEEE10hipError_tPvRmT3_T4_T5_T6_T7_T9_mT8_P12ihipStream_tbDpT10_ENKUlT_T0_E_clISt17integral_constantIbLb1EES17_IbLb0EEEEDaS13_S14_EUlS13_E_NS1_11comp_targetILNS1_3genE10ELNS1_11target_archE1200ELNS1_3gpuE4ELNS1_3repE0EEENS1_30default_config_static_selectorELNS0_4arch9wavefront6targetE0EEEvT1_
    .private_segment_fixed_size: 0
    .sgpr_count:     0
    .sgpr_spill_count: 0
    .symbol:         _ZN7rocprim17ROCPRIM_400000_NS6detail17trampoline_kernelINS0_14default_configENS1_25partition_config_selectorILNS1_17partition_subalgoE6EyNS0_10empty_typeEbEEZZNS1_14partition_implILS5_6ELb0ES3_mN6thrust23THRUST_200600_302600_NS6detail15normal_iteratorINSA_10device_ptrIyEEEEPS6_SG_NS0_5tupleIJSF_S6_EEENSH_IJSG_SG_EEES6_PlJNSB_9not_fun_tI7is_evenIyEEEEEE10hipError_tPvRmT3_T4_T5_T6_T7_T9_mT8_P12ihipStream_tbDpT10_ENKUlT_T0_E_clISt17integral_constantIbLb1EES17_IbLb0EEEEDaS13_S14_EUlS13_E_NS1_11comp_targetILNS1_3genE10ELNS1_11target_archE1200ELNS1_3gpuE4ELNS1_3repE0EEENS1_30default_config_static_selectorELNS0_4arch9wavefront6targetE0EEEvT1_.kd
    .uniform_work_group_size: 1
    .uses_dynamic_stack: false
    .vgpr_count:     0
    .vgpr_spill_count: 0
    .wavefront_size: 32
    .workgroup_processor_mode: 1
  - .args:
      - .offset:         0
        .size:           112
        .value_kind:     by_value
    .group_segment_fixed_size: 0
    .kernarg_segment_align: 8
    .kernarg_segment_size: 112
    .language:       OpenCL C
    .language_version:
      - 2
      - 0
    .max_flat_workgroup_size: 384
    .name:           _ZN7rocprim17ROCPRIM_400000_NS6detail17trampoline_kernelINS0_14default_configENS1_25partition_config_selectorILNS1_17partition_subalgoE6EyNS0_10empty_typeEbEEZZNS1_14partition_implILS5_6ELb0ES3_mN6thrust23THRUST_200600_302600_NS6detail15normal_iteratorINSA_10device_ptrIyEEEEPS6_SG_NS0_5tupleIJSF_S6_EEENSH_IJSG_SG_EEES6_PlJNSB_9not_fun_tI7is_evenIyEEEEEE10hipError_tPvRmT3_T4_T5_T6_T7_T9_mT8_P12ihipStream_tbDpT10_ENKUlT_T0_E_clISt17integral_constantIbLb1EES17_IbLb0EEEEDaS13_S14_EUlS13_E_NS1_11comp_targetILNS1_3genE9ELNS1_11target_archE1100ELNS1_3gpuE3ELNS1_3repE0EEENS1_30default_config_static_selectorELNS0_4arch9wavefront6targetE0EEEvT1_
    .private_segment_fixed_size: 0
    .sgpr_count:     0
    .sgpr_spill_count: 0
    .symbol:         _ZN7rocprim17ROCPRIM_400000_NS6detail17trampoline_kernelINS0_14default_configENS1_25partition_config_selectorILNS1_17partition_subalgoE6EyNS0_10empty_typeEbEEZZNS1_14partition_implILS5_6ELb0ES3_mN6thrust23THRUST_200600_302600_NS6detail15normal_iteratorINSA_10device_ptrIyEEEEPS6_SG_NS0_5tupleIJSF_S6_EEENSH_IJSG_SG_EEES6_PlJNSB_9not_fun_tI7is_evenIyEEEEEE10hipError_tPvRmT3_T4_T5_T6_T7_T9_mT8_P12ihipStream_tbDpT10_ENKUlT_T0_E_clISt17integral_constantIbLb1EES17_IbLb0EEEEDaS13_S14_EUlS13_E_NS1_11comp_targetILNS1_3genE9ELNS1_11target_archE1100ELNS1_3gpuE3ELNS1_3repE0EEENS1_30default_config_static_selectorELNS0_4arch9wavefront6targetE0EEEvT1_.kd
    .uniform_work_group_size: 1
    .uses_dynamic_stack: false
    .vgpr_count:     0
    .vgpr_spill_count: 0
    .wavefront_size: 32
    .workgroup_processor_mode: 1
  - .args:
      - .offset:         0
        .size:           112
        .value_kind:     by_value
    .group_segment_fixed_size: 0
    .kernarg_segment_align: 8
    .kernarg_segment_size: 112
    .language:       OpenCL C
    .language_version:
      - 2
      - 0
    .max_flat_workgroup_size: 512
    .name:           _ZN7rocprim17ROCPRIM_400000_NS6detail17trampoline_kernelINS0_14default_configENS1_25partition_config_selectorILNS1_17partition_subalgoE6EyNS0_10empty_typeEbEEZZNS1_14partition_implILS5_6ELb0ES3_mN6thrust23THRUST_200600_302600_NS6detail15normal_iteratorINSA_10device_ptrIyEEEEPS6_SG_NS0_5tupleIJSF_S6_EEENSH_IJSG_SG_EEES6_PlJNSB_9not_fun_tI7is_evenIyEEEEEE10hipError_tPvRmT3_T4_T5_T6_T7_T9_mT8_P12ihipStream_tbDpT10_ENKUlT_T0_E_clISt17integral_constantIbLb1EES17_IbLb0EEEEDaS13_S14_EUlS13_E_NS1_11comp_targetILNS1_3genE8ELNS1_11target_archE1030ELNS1_3gpuE2ELNS1_3repE0EEENS1_30default_config_static_selectorELNS0_4arch9wavefront6targetE0EEEvT1_
    .private_segment_fixed_size: 0
    .sgpr_count:     0
    .sgpr_spill_count: 0
    .symbol:         _ZN7rocprim17ROCPRIM_400000_NS6detail17trampoline_kernelINS0_14default_configENS1_25partition_config_selectorILNS1_17partition_subalgoE6EyNS0_10empty_typeEbEEZZNS1_14partition_implILS5_6ELb0ES3_mN6thrust23THRUST_200600_302600_NS6detail15normal_iteratorINSA_10device_ptrIyEEEEPS6_SG_NS0_5tupleIJSF_S6_EEENSH_IJSG_SG_EEES6_PlJNSB_9not_fun_tI7is_evenIyEEEEEE10hipError_tPvRmT3_T4_T5_T6_T7_T9_mT8_P12ihipStream_tbDpT10_ENKUlT_T0_E_clISt17integral_constantIbLb1EES17_IbLb0EEEEDaS13_S14_EUlS13_E_NS1_11comp_targetILNS1_3genE8ELNS1_11target_archE1030ELNS1_3gpuE2ELNS1_3repE0EEENS1_30default_config_static_selectorELNS0_4arch9wavefront6targetE0EEEvT1_.kd
    .uniform_work_group_size: 1
    .uses_dynamic_stack: false
    .vgpr_count:     0
    .vgpr_spill_count: 0
    .wavefront_size: 32
    .workgroup_processor_mode: 1
  - .args:
      - .offset:         0
        .size:           128
        .value_kind:     by_value
    .group_segment_fixed_size: 0
    .kernarg_segment_align: 8
    .kernarg_segment_size: 128
    .language:       OpenCL C
    .language_version:
      - 2
      - 0
    .max_flat_workgroup_size: 128
    .name:           _ZN7rocprim17ROCPRIM_400000_NS6detail17trampoline_kernelINS0_14default_configENS1_25partition_config_selectorILNS1_17partition_subalgoE6EyNS0_10empty_typeEbEEZZNS1_14partition_implILS5_6ELb0ES3_mN6thrust23THRUST_200600_302600_NS6detail15normal_iteratorINSA_10device_ptrIyEEEEPS6_SG_NS0_5tupleIJSF_S6_EEENSH_IJSG_SG_EEES6_PlJNSB_9not_fun_tI7is_evenIyEEEEEE10hipError_tPvRmT3_T4_T5_T6_T7_T9_mT8_P12ihipStream_tbDpT10_ENKUlT_T0_E_clISt17integral_constantIbLb0EES17_IbLb1EEEEDaS13_S14_EUlS13_E_NS1_11comp_targetILNS1_3genE0ELNS1_11target_archE4294967295ELNS1_3gpuE0ELNS1_3repE0EEENS1_30default_config_static_selectorELNS0_4arch9wavefront6targetE0EEEvT1_
    .private_segment_fixed_size: 0
    .sgpr_count:     0
    .sgpr_spill_count: 0
    .symbol:         _ZN7rocprim17ROCPRIM_400000_NS6detail17trampoline_kernelINS0_14default_configENS1_25partition_config_selectorILNS1_17partition_subalgoE6EyNS0_10empty_typeEbEEZZNS1_14partition_implILS5_6ELb0ES3_mN6thrust23THRUST_200600_302600_NS6detail15normal_iteratorINSA_10device_ptrIyEEEEPS6_SG_NS0_5tupleIJSF_S6_EEENSH_IJSG_SG_EEES6_PlJNSB_9not_fun_tI7is_evenIyEEEEEE10hipError_tPvRmT3_T4_T5_T6_T7_T9_mT8_P12ihipStream_tbDpT10_ENKUlT_T0_E_clISt17integral_constantIbLb0EES17_IbLb1EEEEDaS13_S14_EUlS13_E_NS1_11comp_targetILNS1_3genE0ELNS1_11target_archE4294967295ELNS1_3gpuE0ELNS1_3repE0EEENS1_30default_config_static_selectorELNS0_4arch9wavefront6targetE0EEEvT1_.kd
    .uniform_work_group_size: 1
    .uses_dynamic_stack: false
    .vgpr_count:     0
    .vgpr_spill_count: 0
    .wavefront_size: 32
    .workgroup_processor_mode: 1
  - .args:
      - .offset:         0
        .size:           128
        .value_kind:     by_value
    .group_segment_fixed_size: 0
    .kernarg_segment_align: 8
    .kernarg_segment_size: 128
    .language:       OpenCL C
    .language_version:
      - 2
      - 0
    .max_flat_workgroup_size: 512
    .name:           _ZN7rocprim17ROCPRIM_400000_NS6detail17trampoline_kernelINS0_14default_configENS1_25partition_config_selectorILNS1_17partition_subalgoE6EyNS0_10empty_typeEbEEZZNS1_14partition_implILS5_6ELb0ES3_mN6thrust23THRUST_200600_302600_NS6detail15normal_iteratorINSA_10device_ptrIyEEEEPS6_SG_NS0_5tupleIJSF_S6_EEENSH_IJSG_SG_EEES6_PlJNSB_9not_fun_tI7is_evenIyEEEEEE10hipError_tPvRmT3_T4_T5_T6_T7_T9_mT8_P12ihipStream_tbDpT10_ENKUlT_T0_E_clISt17integral_constantIbLb0EES17_IbLb1EEEEDaS13_S14_EUlS13_E_NS1_11comp_targetILNS1_3genE5ELNS1_11target_archE942ELNS1_3gpuE9ELNS1_3repE0EEENS1_30default_config_static_selectorELNS0_4arch9wavefront6targetE0EEEvT1_
    .private_segment_fixed_size: 0
    .sgpr_count:     0
    .sgpr_spill_count: 0
    .symbol:         _ZN7rocprim17ROCPRIM_400000_NS6detail17trampoline_kernelINS0_14default_configENS1_25partition_config_selectorILNS1_17partition_subalgoE6EyNS0_10empty_typeEbEEZZNS1_14partition_implILS5_6ELb0ES3_mN6thrust23THRUST_200600_302600_NS6detail15normal_iteratorINSA_10device_ptrIyEEEEPS6_SG_NS0_5tupleIJSF_S6_EEENSH_IJSG_SG_EEES6_PlJNSB_9not_fun_tI7is_evenIyEEEEEE10hipError_tPvRmT3_T4_T5_T6_T7_T9_mT8_P12ihipStream_tbDpT10_ENKUlT_T0_E_clISt17integral_constantIbLb0EES17_IbLb1EEEEDaS13_S14_EUlS13_E_NS1_11comp_targetILNS1_3genE5ELNS1_11target_archE942ELNS1_3gpuE9ELNS1_3repE0EEENS1_30default_config_static_selectorELNS0_4arch9wavefront6targetE0EEEvT1_.kd
    .uniform_work_group_size: 1
    .uses_dynamic_stack: false
    .vgpr_count:     0
    .vgpr_spill_count: 0
    .wavefront_size: 32
    .workgroup_processor_mode: 1
  - .args:
      - .offset:         0
        .size:           128
        .value_kind:     by_value
    .group_segment_fixed_size: 0
    .kernarg_segment_align: 8
    .kernarg_segment_size: 128
    .language:       OpenCL C
    .language_version:
      - 2
      - 0
    .max_flat_workgroup_size: 512
    .name:           _ZN7rocprim17ROCPRIM_400000_NS6detail17trampoline_kernelINS0_14default_configENS1_25partition_config_selectorILNS1_17partition_subalgoE6EyNS0_10empty_typeEbEEZZNS1_14partition_implILS5_6ELb0ES3_mN6thrust23THRUST_200600_302600_NS6detail15normal_iteratorINSA_10device_ptrIyEEEEPS6_SG_NS0_5tupleIJSF_S6_EEENSH_IJSG_SG_EEES6_PlJNSB_9not_fun_tI7is_evenIyEEEEEE10hipError_tPvRmT3_T4_T5_T6_T7_T9_mT8_P12ihipStream_tbDpT10_ENKUlT_T0_E_clISt17integral_constantIbLb0EES17_IbLb1EEEEDaS13_S14_EUlS13_E_NS1_11comp_targetILNS1_3genE4ELNS1_11target_archE910ELNS1_3gpuE8ELNS1_3repE0EEENS1_30default_config_static_selectorELNS0_4arch9wavefront6targetE0EEEvT1_
    .private_segment_fixed_size: 0
    .sgpr_count:     0
    .sgpr_spill_count: 0
    .symbol:         _ZN7rocprim17ROCPRIM_400000_NS6detail17trampoline_kernelINS0_14default_configENS1_25partition_config_selectorILNS1_17partition_subalgoE6EyNS0_10empty_typeEbEEZZNS1_14partition_implILS5_6ELb0ES3_mN6thrust23THRUST_200600_302600_NS6detail15normal_iteratorINSA_10device_ptrIyEEEEPS6_SG_NS0_5tupleIJSF_S6_EEENSH_IJSG_SG_EEES6_PlJNSB_9not_fun_tI7is_evenIyEEEEEE10hipError_tPvRmT3_T4_T5_T6_T7_T9_mT8_P12ihipStream_tbDpT10_ENKUlT_T0_E_clISt17integral_constantIbLb0EES17_IbLb1EEEEDaS13_S14_EUlS13_E_NS1_11comp_targetILNS1_3genE4ELNS1_11target_archE910ELNS1_3gpuE8ELNS1_3repE0EEENS1_30default_config_static_selectorELNS0_4arch9wavefront6targetE0EEEvT1_.kd
    .uniform_work_group_size: 1
    .uses_dynamic_stack: false
    .vgpr_count:     0
    .vgpr_spill_count: 0
    .wavefront_size: 32
    .workgroup_processor_mode: 1
  - .args:
      - .offset:         0
        .size:           128
        .value_kind:     by_value
    .group_segment_fixed_size: 0
    .kernarg_segment_align: 8
    .kernarg_segment_size: 128
    .language:       OpenCL C
    .language_version:
      - 2
      - 0
    .max_flat_workgroup_size: 128
    .name:           _ZN7rocprim17ROCPRIM_400000_NS6detail17trampoline_kernelINS0_14default_configENS1_25partition_config_selectorILNS1_17partition_subalgoE6EyNS0_10empty_typeEbEEZZNS1_14partition_implILS5_6ELb0ES3_mN6thrust23THRUST_200600_302600_NS6detail15normal_iteratorINSA_10device_ptrIyEEEEPS6_SG_NS0_5tupleIJSF_S6_EEENSH_IJSG_SG_EEES6_PlJNSB_9not_fun_tI7is_evenIyEEEEEE10hipError_tPvRmT3_T4_T5_T6_T7_T9_mT8_P12ihipStream_tbDpT10_ENKUlT_T0_E_clISt17integral_constantIbLb0EES17_IbLb1EEEEDaS13_S14_EUlS13_E_NS1_11comp_targetILNS1_3genE3ELNS1_11target_archE908ELNS1_3gpuE7ELNS1_3repE0EEENS1_30default_config_static_selectorELNS0_4arch9wavefront6targetE0EEEvT1_
    .private_segment_fixed_size: 0
    .sgpr_count:     0
    .sgpr_spill_count: 0
    .symbol:         _ZN7rocprim17ROCPRIM_400000_NS6detail17trampoline_kernelINS0_14default_configENS1_25partition_config_selectorILNS1_17partition_subalgoE6EyNS0_10empty_typeEbEEZZNS1_14partition_implILS5_6ELb0ES3_mN6thrust23THRUST_200600_302600_NS6detail15normal_iteratorINSA_10device_ptrIyEEEEPS6_SG_NS0_5tupleIJSF_S6_EEENSH_IJSG_SG_EEES6_PlJNSB_9not_fun_tI7is_evenIyEEEEEE10hipError_tPvRmT3_T4_T5_T6_T7_T9_mT8_P12ihipStream_tbDpT10_ENKUlT_T0_E_clISt17integral_constantIbLb0EES17_IbLb1EEEEDaS13_S14_EUlS13_E_NS1_11comp_targetILNS1_3genE3ELNS1_11target_archE908ELNS1_3gpuE7ELNS1_3repE0EEENS1_30default_config_static_selectorELNS0_4arch9wavefront6targetE0EEEvT1_.kd
    .uniform_work_group_size: 1
    .uses_dynamic_stack: false
    .vgpr_count:     0
    .vgpr_spill_count: 0
    .wavefront_size: 32
    .workgroup_processor_mode: 1
  - .args:
      - .offset:         0
        .size:           128
        .value_kind:     by_value
    .group_segment_fixed_size: 0
    .kernarg_segment_align: 8
    .kernarg_segment_size: 128
    .language:       OpenCL C
    .language_version:
      - 2
      - 0
    .max_flat_workgroup_size: 256
    .name:           _ZN7rocprim17ROCPRIM_400000_NS6detail17trampoline_kernelINS0_14default_configENS1_25partition_config_selectorILNS1_17partition_subalgoE6EyNS0_10empty_typeEbEEZZNS1_14partition_implILS5_6ELb0ES3_mN6thrust23THRUST_200600_302600_NS6detail15normal_iteratorINSA_10device_ptrIyEEEEPS6_SG_NS0_5tupleIJSF_S6_EEENSH_IJSG_SG_EEES6_PlJNSB_9not_fun_tI7is_evenIyEEEEEE10hipError_tPvRmT3_T4_T5_T6_T7_T9_mT8_P12ihipStream_tbDpT10_ENKUlT_T0_E_clISt17integral_constantIbLb0EES17_IbLb1EEEEDaS13_S14_EUlS13_E_NS1_11comp_targetILNS1_3genE2ELNS1_11target_archE906ELNS1_3gpuE6ELNS1_3repE0EEENS1_30default_config_static_selectorELNS0_4arch9wavefront6targetE0EEEvT1_
    .private_segment_fixed_size: 0
    .sgpr_count:     0
    .sgpr_spill_count: 0
    .symbol:         _ZN7rocprim17ROCPRIM_400000_NS6detail17trampoline_kernelINS0_14default_configENS1_25partition_config_selectorILNS1_17partition_subalgoE6EyNS0_10empty_typeEbEEZZNS1_14partition_implILS5_6ELb0ES3_mN6thrust23THRUST_200600_302600_NS6detail15normal_iteratorINSA_10device_ptrIyEEEEPS6_SG_NS0_5tupleIJSF_S6_EEENSH_IJSG_SG_EEES6_PlJNSB_9not_fun_tI7is_evenIyEEEEEE10hipError_tPvRmT3_T4_T5_T6_T7_T9_mT8_P12ihipStream_tbDpT10_ENKUlT_T0_E_clISt17integral_constantIbLb0EES17_IbLb1EEEEDaS13_S14_EUlS13_E_NS1_11comp_targetILNS1_3genE2ELNS1_11target_archE906ELNS1_3gpuE6ELNS1_3repE0EEENS1_30default_config_static_selectorELNS0_4arch9wavefront6targetE0EEEvT1_.kd
    .uniform_work_group_size: 1
    .uses_dynamic_stack: false
    .vgpr_count:     0
    .vgpr_spill_count: 0
    .wavefront_size: 32
    .workgroup_processor_mode: 1
  - .args:
      - .offset:         0
        .size:           128
        .value_kind:     by_value
    .group_segment_fixed_size: 8464
    .kernarg_segment_align: 8
    .kernarg_segment_size: 128
    .language:       OpenCL C
    .language_version:
      - 2
      - 0
    .max_flat_workgroup_size: 256
    .name:           _ZN7rocprim17ROCPRIM_400000_NS6detail17trampoline_kernelINS0_14default_configENS1_25partition_config_selectorILNS1_17partition_subalgoE6EyNS0_10empty_typeEbEEZZNS1_14partition_implILS5_6ELb0ES3_mN6thrust23THRUST_200600_302600_NS6detail15normal_iteratorINSA_10device_ptrIyEEEEPS6_SG_NS0_5tupleIJSF_S6_EEENSH_IJSG_SG_EEES6_PlJNSB_9not_fun_tI7is_evenIyEEEEEE10hipError_tPvRmT3_T4_T5_T6_T7_T9_mT8_P12ihipStream_tbDpT10_ENKUlT_T0_E_clISt17integral_constantIbLb0EES17_IbLb1EEEEDaS13_S14_EUlS13_E_NS1_11comp_targetILNS1_3genE10ELNS1_11target_archE1200ELNS1_3gpuE4ELNS1_3repE0EEENS1_30default_config_static_selectorELNS0_4arch9wavefront6targetE0EEEvT1_
    .private_segment_fixed_size: 0
    .sgpr_count:     24
    .sgpr_spill_count: 0
    .symbol:         _ZN7rocprim17ROCPRIM_400000_NS6detail17trampoline_kernelINS0_14default_configENS1_25partition_config_selectorILNS1_17partition_subalgoE6EyNS0_10empty_typeEbEEZZNS1_14partition_implILS5_6ELb0ES3_mN6thrust23THRUST_200600_302600_NS6detail15normal_iteratorINSA_10device_ptrIyEEEEPS6_SG_NS0_5tupleIJSF_S6_EEENSH_IJSG_SG_EEES6_PlJNSB_9not_fun_tI7is_evenIyEEEEEE10hipError_tPvRmT3_T4_T5_T6_T7_T9_mT8_P12ihipStream_tbDpT10_ENKUlT_T0_E_clISt17integral_constantIbLb0EES17_IbLb1EEEEDaS13_S14_EUlS13_E_NS1_11comp_targetILNS1_3genE10ELNS1_11target_archE1200ELNS1_3gpuE4ELNS1_3repE0EEENS1_30default_config_static_selectorELNS0_4arch9wavefront6targetE0EEEvT1_.kd
    .uniform_work_group_size: 1
    .uses_dynamic_stack: false
    .vgpr_count:     49
    .vgpr_spill_count: 0
    .wavefront_size: 32
    .workgroup_processor_mode: 1
  - .args:
      - .offset:         0
        .size:           128
        .value_kind:     by_value
    .group_segment_fixed_size: 0
    .kernarg_segment_align: 8
    .kernarg_segment_size: 128
    .language:       OpenCL C
    .language_version:
      - 2
      - 0
    .max_flat_workgroup_size: 384
    .name:           _ZN7rocprim17ROCPRIM_400000_NS6detail17trampoline_kernelINS0_14default_configENS1_25partition_config_selectorILNS1_17partition_subalgoE6EyNS0_10empty_typeEbEEZZNS1_14partition_implILS5_6ELb0ES3_mN6thrust23THRUST_200600_302600_NS6detail15normal_iteratorINSA_10device_ptrIyEEEEPS6_SG_NS0_5tupleIJSF_S6_EEENSH_IJSG_SG_EEES6_PlJNSB_9not_fun_tI7is_evenIyEEEEEE10hipError_tPvRmT3_T4_T5_T6_T7_T9_mT8_P12ihipStream_tbDpT10_ENKUlT_T0_E_clISt17integral_constantIbLb0EES17_IbLb1EEEEDaS13_S14_EUlS13_E_NS1_11comp_targetILNS1_3genE9ELNS1_11target_archE1100ELNS1_3gpuE3ELNS1_3repE0EEENS1_30default_config_static_selectorELNS0_4arch9wavefront6targetE0EEEvT1_
    .private_segment_fixed_size: 0
    .sgpr_count:     0
    .sgpr_spill_count: 0
    .symbol:         _ZN7rocprim17ROCPRIM_400000_NS6detail17trampoline_kernelINS0_14default_configENS1_25partition_config_selectorILNS1_17partition_subalgoE6EyNS0_10empty_typeEbEEZZNS1_14partition_implILS5_6ELb0ES3_mN6thrust23THRUST_200600_302600_NS6detail15normal_iteratorINSA_10device_ptrIyEEEEPS6_SG_NS0_5tupleIJSF_S6_EEENSH_IJSG_SG_EEES6_PlJNSB_9not_fun_tI7is_evenIyEEEEEE10hipError_tPvRmT3_T4_T5_T6_T7_T9_mT8_P12ihipStream_tbDpT10_ENKUlT_T0_E_clISt17integral_constantIbLb0EES17_IbLb1EEEEDaS13_S14_EUlS13_E_NS1_11comp_targetILNS1_3genE9ELNS1_11target_archE1100ELNS1_3gpuE3ELNS1_3repE0EEENS1_30default_config_static_selectorELNS0_4arch9wavefront6targetE0EEEvT1_.kd
    .uniform_work_group_size: 1
    .uses_dynamic_stack: false
    .vgpr_count:     0
    .vgpr_spill_count: 0
    .wavefront_size: 32
    .workgroup_processor_mode: 1
  - .args:
      - .offset:         0
        .size:           128
        .value_kind:     by_value
    .group_segment_fixed_size: 0
    .kernarg_segment_align: 8
    .kernarg_segment_size: 128
    .language:       OpenCL C
    .language_version:
      - 2
      - 0
    .max_flat_workgroup_size: 512
    .name:           _ZN7rocprim17ROCPRIM_400000_NS6detail17trampoline_kernelINS0_14default_configENS1_25partition_config_selectorILNS1_17partition_subalgoE6EyNS0_10empty_typeEbEEZZNS1_14partition_implILS5_6ELb0ES3_mN6thrust23THRUST_200600_302600_NS6detail15normal_iteratorINSA_10device_ptrIyEEEEPS6_SG_NS0_5tupleIJSF_S6_EEENSH_IJSG_SG_EEES6_PlJNSB_9not_fun_tI7is_evenIyEEEEEE10hipError_tPvRmT3_T4_T5_T6_T7_T9_mT8_P12ihipStream_tbDpT10_ENKUlT_T0_E_clISt17integral_constantIbLb0EES17_IbLb1EEEEDaS13_S14_EUlS13_E_NS1_11comp_targetILNS1_3genE8ELNS1_11target_archE1030ELNS1_3gpuE2ELNS1_3repE0EEENS1_30default_config_static_selectorELNS0_4arch9wavefront6targetE0EEEvT1_
    .private_segment_fixed_size: 0
    .sgpr_count:     0
    .sgpr_spill_count: 0
    .symbol:         _ZN7rocprim17ROCPRIM_400000_NS6detail17trampoline_kernelINS0_14default_configENS1_25partition_config_selectorILNS1_17partition_subalgoE6EyNS0_10empty_typeEbEEZZNS1_14partition_implILS5_6ELb0ES3_mN6thrust23THRUST_200600_302600_NS6detail15normal_iteratorINSA_10device_ptrIyEEEEPS6_SG_NS0_5tupleIJSF_S6_EEENSH_IJSG_SG_EEES6_PlJNSB_9not_fun_tI7is_evenIyEEEEEE10hipError_tPvRmT3_T4_T5_T6_T7_T9_mT8_P12ihipStream_tbDpT10_ENKUlT_T0_E_clISt17integral_constantIbLb0EES17_IbLb1EEEEDaS13_S14_EUlS13_E_NS1_11comp_targetILNS1_3genE8ELNS1_11target_archE1030ELNS1_3gpuE2ELNS1_3repE0EEENS1_30default_config_static_selectorELNS0_4arch9wavefront6targetE0EEEvT1_.kd
    .uniform_work_group_size: 1
    .uses_dynamic_stack: false
    .vgpr_count:     0
    .vgpr_spill_count: 0
    .wavefront_size: 32
    .workgroup_processor_mode: 1
  - .args:
      - .offset:         0
        .size:           112
        .value_kind:     by_value
    .group_segment_fixed_size: 0
    .kernarg_segment_align: 8
    .kernarg_segment_size: 112
    .language:       OpenCL C
    .language_version:
      - 2
      - 0
    .max_flat_workgroup_size: 256
    .name:           _ZN7rocprim17ROCPRIM_400000_NS6detail17trampoline_kernelINS0_14default_configENS1_25partition_config_selectorILNS1_17partition_subalgoE6EjNS0_10empty_typeEbEEZZNS1_14partition_implILS5_6ELb0ES3_mN6thrust23THRUST_200600_302600_NS6detail15normal_iteratorINSA_10device_ptrIjEEEEPS6_SG_NS0_5tupleIJSF_S6_EEENSH_IJSG_SG_EEES6_PlJNSB_9not_fun_tI7is_evenIjEEEEEE10hipError_tPvRmT3_T4_T5_T6_T7_T9_mT8_P12ihipStream_tbDpT10_ENKUlT_T0_E_clISt17integral_constantIbLb0EES18_EEDaS13_S14_EUlS13_E_NS1_11comp_targetILNS1_3genE0ELNS1_11target_archE4294967295ELNS1_3gpuE0ELNS1_3repE0EEENS1_30default_config_static_selectorELNS0_4arch9wavefront6targetE0EEEvT1_
    .private_segment_fixed_size: 0
    .sgpr_count:     0
    .sgpr_spill_count: 0
    .symbol:         _ZN7rocprim17ROCPRIM_400000_NS6detail17trampoline_kernelINS0_14default_configENS1_25partition_config_selectorILNS1_17partition_subalgoE6EjNS0_10empty_typeEbEEZZNS1_14partition_implILS5_6ELb0ES3_mN6thrust23THRUST_200600_302600_NS6detail15normal_iteratorINSA_10device_ptrIjEEEEPS6_SG_NS0_5tupleIJSF_S6_EEENSH_IJSG_SG_EEES6_PlJNSB_9not_fun_tI7is_evenIjEEEEEE10hipError_tPvRmT3_T4_T5_T6_T7_T9_mT8_P12ihipStream_tbDpT10_ENKUlT_T0_E_clISt17integral_constantIbLb0EES18_EEDaS13_S14_EUlS13_E_NS1_11comp_targetILNS1_3genE0ELNS1_11target_archE4294967295ELNS1_3gpuE0ELNS1_3repE0EEENS1_30default_config_static_selectorELNS0_4arch9wavefront6targetE0EEEvT1_.kd
    .uniform_work_group_size: 1
    .uses_dynamic_stack: false
    .vgpr_count:     0
    .vgpr_spill_count: 0
    .wavefront_size: 32
    .workgroup_processor_mode: 1
  - .args:
      - .offset:         0
        .size:           112
        .value_kind:     by_value
    .group_segment_fixed_size: 0
    .kernarg_segment_align: 8
    .kernarg_segment_size: 112
    .language:       OpenCL C
    .language_version:
      - 2
      - 0
    .max_flat_workgroup_size: 512
    .name:           _ZN7rocprim17ROCPRIM_400000_NS6detail17trampoline_kernelINS0_14default_configENS1_25partition_config_selectorILNS1_17partition_subalgoE6EjNS0_10empty_typeEbEEZZNS1_14partition_implILS5_6ELb0ES3_mN6thrust23THRUST_200600_302600_NS6detail15normal_iteratorINSA_10device_ptrIjEEEEPS6_SG_NS0_5tupleIJSF_S6_EEENSH_IJSG_SG_EEES6_PlJNSB_9not_fun_tI7is_evenIjEEEEEE10hipError_tPvRmT3_T4_T5_T6_T7_T9_mT8_P12ihipStream_tbDpT10_ENKUlT_T0_E_clISt17integral_constantIbLb0EES18_EEDaS13_S14_EUlS13_E_NS1_11comp_targetILNS1_3genE5ELNS1_11target_archE942ELNS1_3gpuE9ELNS1_3repE0EEENS1_30default_config_static_selectorELNS0_4arch9wavefront6targetE0EEEvT1_
    .private_segment_fixed_size: 0
    .sgpr_count:     0
    .sgpr_spill_count: 0
    .symbol:         _ZN7rocprim17ROCPRIM_400000_NS6detail17trampoline_kernelINS0_14default_configENS1_25partition_config_selectorILNS1_17partition_subalgoE6EjNS0_10empty_typeEbEEZZNS1_14partition_implILS5_6ELb0ES3_mN6thrust23THRUST_200600_302600_NS6detail15normal_iteratorINSA_10device_ptrIjEEEEPS6_SG_NS0_5tupleIJSF_S6_EEENSH_IJSG_SG_EEES6_PlJNSB_9not_fun_tI7is_evenIjEEEEEE10hipError_tPvRmT3_T4_T5_T6_T7_T9_mT8_P12ihipStream_tbDpT10_ENKUlT_T0_E_clISt17integral_constantIbLb0EES18_EEDaS13_S14_EUlS13_E_NS1_11comp_targetILNS1_3genE5ELNS1_11target_archE942ELNS1_3gpuE9ELNS1_3repE0EEENS1_30default_config_static_selectorELNS0_4arch9wavefront6targetE0EEEvT1_.kd
    .uniform_work_group_size: 1
    .uses_dynamic_stack: false
    .vgpr_count:     0
    .vgpr_spill_count: 0
    .wavefront_size: 32
    .workgroup_processor_mode: 1
  - .args:
      - .offset:         0
        .size:           112
        .value_kind:     by_value
    .group_segment_fixed_size: 0
    .kernarg_segment_align: 8
    .kernarg_segment_size: 112
    .language:       OpenCL C
    .language_version:
      - 2
      - 0
    .max_flat_workgroup_size: 512
    .name:           _ZN7rocprim17ROCPRIM_400000_NS6detail17trampoline_kernelINS0_14default_configENS1_25partition_config_selectorILNS1_17partition_subalgoE6EjNS0_10empty_typeEbEEZZNS1_14partition_implILS5_6ELb0ES3_mN6thrust23THRUST_200600_302600_NS6detail15normal_iteratorINSA_10device_ptrIjEEEEPS6_SG_NS0_5tupleIJSF_S6_EEENSH_IJSG_SG_EEES6_PlJNSB_9not_fun_tI7is_evenIjEEEEEE10hipError_tPvRmT3_T4_T5_T6_T7_T9_mT8_P12ihipStream_tbDpT10_ENKUlT_T0_E_clISt17integral_constantIbLb0EES18_EEDaS13_S14_EUlS13_E_NS1_11comp_targetILNS1_3genE4ELNS1_11target_archE910ELNS1_3gpuE8ELNS1_3repE0EEENS1_30default_config_static_selectorELNS0_4arch9wavefront6targetE0EEEvT1_
    .private_segment_fixed_size: 0
    .sgpr_count:     0
    .sgpr_spill_count: 0
    .symbol:         _ZN7rocprim17ROCPRIM_400000_NS6detail17trampoline_kernelINS0_14default_configENS1_25partition_config_selectorILNS1_17partition_subalgoE6EjNS0_10empty_typeEbEEZZNS1_14partition_implILS5_6ELb0ES3_mN6thrust23THRUST_200600_302600_NS6detail15normal_iteratorINSA_10device_ptrIjEEEEPS6_SG_NS0_5tupleIJSF_S6_EEENSH_IJSG_SG_EEES6_PlJNSB_9not_fun_tI7is_evenIjEEEEEE10hipError_tPvRmT3_T4_T5_T6_T7_T9_mT8_P12ihipStream_tbDpT10_ENKUlT_T0_E_clISt17integral_constantIbLb0EES18_EEDaS13_S14_EUlS13_E_NS1_11comp_targetILNS1_3genE4ELNS1_11target_archE910ELNS1_3gpuE8ELNS1_3repE0EEENS1_30default_config_static_selectorELNS0_4arch9wavefront6targetE0EEEvT1_.kd
    .uniform_work_group_size: 1
    .uses_dynamic_stack: false
    .vgpr_count:     0
    .vgpr_spill_count: 0
    .wavefront_size: 32
    .workgroup_processor_mode: 1
  - .args:
      - .offset:         0
        .size:           112
        .value_kind:     by_value
    .group_segment_fixed_size: 0
    .kernarg_segment_align: 8
    .kernarg_segment_size: 112
    .language:       OpenCL C
    .language_version:
      - 2
      - 0
    .max_flat_workgroup_size: 256
    .name:           _ZN7rocprim17ROCPRIM_400000_NS6detail17trampoline_kernelINS0_14default_configENS1_25partition_config_selectorILNS1_17partition_subalgoE6EjNS0_10empty_typeEbEEZZNS1_14partition_implILS5_6ELb0ES3_mN6thrust23THRUST_200600_302600_NS6detail15normal_iteratorINSA_10device_ptrIjEEEEPS6_SG_NS0_5tupleIJSF_S6_EEENSH_IJSG_SG_EEES6_PlJNSB_9not_fun_tI7is_evenIjEEEEEE10hipError_tPvRmT3_T4_T5_T6_T7_T9_mT8_P12ihipStream_tbDpT10_ENKUlT_T0_E_clISt17integral_constantIbLb0EES18_EEDaS13_S14_EUlS13_E_NS1_11comp_targetILNS1_3genE3ELNS1_11target_archE908ELNS1_3gpuE7ELNS1_3repE0EEENS1_30default_config_static_selectorELNS0_4arch9wavefront6targetE0EEEvT1_
    .private_segment_fixed_size: 0
    .sgpr_count:     0
    .sgpr_spill_count: 0
    .symbol:         _ZN7rocprim17ROCPRIM_400000_NS6detail17trampoline_kernelINS0_14default_configENS1_25partition_config_selectorILNS1_17partition_subalgoE6EjNS0_10empty_typeEbEEZZNS1_14partition_implILS5_6ELb0ES3_mN6thrust23THRUST_200600_302600_NS6detail15normal_iteratorINSA_10device_ptrIjEEEEPS6_SG_NS0_5tupleIJSF_S6_EEENSH_IJSG_SG_EEES6_PlJNSB_9not_fun_tI7is_evenIjEEEEEE10hipError_tPvRmT3_T4_T5_T6_T7_T9_mT8_P12ihipStream_tbDpT10_ENKUlT_T0_E_clISt17integral_constantIbLb0EES18_EEDaS13_S14_EUlS13_E_NS1_11comp_targetILNS1_3genE3ELNS1_11target_archE908ELNS1_3gpuE7ELNS1_3repE0EEENS1_30default_config_static_selectorELNS0_4arch9wavefront6targetE0EEEvT1_.kd
    .uniform_work_group_size: 1
    .uses_dynamic_stack: false
    .vgpr_count:     0
    .vgpr_spill_count: 0
    .wavefront_size: 32
    .workgroup_processor_mode: 1
  - .args:
      - .offset:         0
        .size:           112
        .value_kind:     by_value
    .group_segment_fixed_size: 0
    .kernarg_segment_align: 8
    .kernarg_segment_size: 112
    .language:       OpenCL C
    .language_version:
      - 2
      - 0
    .max_flat_workgroup_size: 192
    .name:           _ZN7rocprim17ROCPRIM_400000_NS6detail17trampoline_kernelINS0_14default_configENS1_25partition_config_selectorILNS1_17partition_subalgoE6EjNS0_10empty_typeEbEEZZNS1_14partition_implILS5_6ELb0ES3_mN6thrust23THRUST_200600_302600_NS6detail15normal_iteratorINSA_10device_ptrIjEEEEPS6_SG_NS0_5tupleIJSF_S6_EEENSH_IJSG_SG_EEES6_PlJNSB_9not_fun_tI7is_evenIjEEEEEE10hipError_tPvRmT3_T4_T5_T6_T7_T9_mT8_P12ihipStream_tbDpT10_ENKUlT_T0_E_clISt17integral_constantIbLb0EES18_EEDaS13_S14_EUlS13_E_NS1_11comp_targetILNS1_3genE2ELNS1_11target_archE906ELNS1_3gpuE6ELNS1_3repE0EEENS1_30default_config_static_selectorELNS0_4arch9wavefront6targetE0EEEvT1_
    .private_segment_fixed_size: 0
    .sgpr_count:     0
    .sgpr_spill_count: 0
    .symbol:         _ZN7rocprim17ROCPRIM_400000_NS6detail17trampoline_kernelINS0_14default_configENS1_25partition_config_selectorILNS1_17partition_subalgoE6EjNS0_10empty_typeEbEEZZNS1_14partition_implILS5_6ELb0ES3_mN6thrust23THRUST_200600_302600_NS6detail15normal_iteratorINSA_10device_ptrIjEEEEPS6_SG_NS0_5tupleIJSF_S6_EEENSH_IJSG_SG_EEES6_PlJNSB_9not_fun_tI7is_evenIjEEEEEE10hipError_tPvRmT3_T4_T5_T6_T7_T9_mT8_P12ihipStream_tbDpT10_ENKUlT_T0_E_clISt17integral_constantIbLb0EES18_EEDaS13_S14_EUlS13_E_NS1_11comp_targetILNS1_3genE2ELNS1_11target_archE906ELNS1_3gpuE6ELNS1_3repE0EEENS1_30default_config_static_selectorELNS0_4arch9wavefront6targetE0EEEvT1_.kd
    .uniform_work_group_size: 1
    .uses_dynamic_stack: false
    .vgpr_count:     0
    .vgpr_spill_count: 0
    .wavefront_size: 32
    .workgroup_processor_mode: 1
  - .args:
      - .offset:         0
        .size:           112
        .value_kind:     by_value
    .group_segment_fixed_size: 10768
    .kernarg_segment_align: 8
    .kernarg_segment_size: 112
    .language:       OpenCL C
    .language_version:
      - 2
      - 0
    .max_flat_workgroup_size: 384
    .name:           _ZN7rocprim17ROCPRIM_400000_NS6detail17trampoline_kernelINS0_14default_configENS1_25partition_config_selectorILNS1_17partition_subalgoE6EjNS0_10empty_typeEbEEZZNS1_14partition_implILS5_6ELb0ES3_mN6thrust23THRUST_200600_302600_NS6detail15normal_iteratorINSA_10device_ptrIjEEEEPS6_SG_NS0_5tupleIJSF_S6_EEENSH_IJSG_SG_EEES6_PlJNSB_9not_fun_tI7is_evenIjEEEEEE10hipError_tPvRmT3_T4_T5_T6_T7_T9_mT8_P12ihipStream_tbDpT10_ENKUlT_T0_E_clISt17integral_constantIbLb0EES18_EEDaS13_S14_EUlS13_E_NS1_11comp_targetILNS1_3genE10ELNS1_11target_archE1200ELNS1_3gpuE4ELNS1_3repE0EEENS1_30default_config_static_selectorELNS0_4arch9wavefront6targetE0EEEvT1_
    .private_segment_fixed_size: 0
    .sgpr_count:     21
    .sgpr_spill_count: 0
    .symbol:         _ZN7rocprim17ROCPRIM_400000_NS6detail17trampoline_kernelINS0_14default_configENS1_25partition_config_selectorILNS1_17partition_subalgoE6EjNS0_10empty_typeEbEEZZNS1_14partition_implILS5_6ELb0ES3_mN6thrust23THRUST_200600_302600_NS6detail15normal_iteratorINSA_10device_ptrIjEEEEPS6_SG_NS0_5tupleIJSF_S6_EEENSH_IJSG_SG_EEES6_PlJNSB_9not_fun_tI7is_evenIjEEEEEE10hipError_tPvRmT3_T4_T5_T6_T7_T9_mT8_P12ihipStream_tbDpT10_ENKUlT_T0_E_clISt17integral_constantIbLb0EES18_EEDaS13_S14_EUlS13_E_NS1_11comp_targetILNS1_3genE10ELNS1_11target_archE1200ELNS1_3gpuE4ELNS1_3repE0EEENS1_30default_config_static_selectorELNS0_4arch9wavefront6targetE0EEEvT1_.kd
    .uniform_work_group_size: 1
    .uses_dynamic_stack: false
    .vgpr_count:     50
    .vgpr_spill_count: 0
    .wavefront_size: 32
    .workgroup_processor_mode: 1
  - .args:
      - .offset:         0
        .size:           112
        .value_kind:     by_value
    .group_segment_fixed_size: 0
    .kernarg_segment_align: 8
    .kernarg_segment_size: 112
    .language:       OpenCL C
    .language_version:
      - 2
      - 0
    .max_flat_workgroup_size: 128
    .name:           _ZN7rocprim17ROCPRIM_400000_NS6detail17trampoline_kernelINS0_14default_configENS1_25partition_config_selectorILNS1_17partition_subalgoE6EjNS0_10empty_typeEbEEZZNS1_14partition_implILS5_6ELb0ES3_mN6thrust23THRUST_200600_302600_NS6detail15normal_iteratorINSA_10device_ptrIjEEEEPS6_SG_NS0_5tupleIJSF_S6_EEENSH_IJSG_SG_EEES6_PlJNSB_9not_fun_tI7is_evenIjEEEEEE10hipError_tPvRmT3_T4_T5_T6_T7_T9_mT8_P12ihipStream_tbDpT10_ENKUlT_T0_E_clISt17integral_constantIbLb0EES18_EEDaS13_S14_EUlS13_E_NS1_11comp_targetILNS1_3genE9ELNS1_11target_archE1100ELNS1_3gpuE3ELNS1_3repE0EEENS1_30default_config_static_selectorELNS0_4arch9wavefront6targetE0EEEvT1_
    .private_segment_fixed_size: 0
    .sgpr_count:     0
    .sgpr_spill_count: 0
    .symbol:         _ZN7rocprim17ROCPRIM_400000_NS6detail17trampoline_kernelINS0_14default_configENS1_25partition_config_selectorILNS1_17partition_subalgoE6EjNS0_10empty_typeEbEEZZNS1_14partition_implILS5_6ELb0ES3_mN6thrust23THRUST_200600_302600_NS6detail15normal_iteratorINSA_10device_ptrIjEEEEPS6_SG_NS0_5tupleIJSF_S6_EEENSH_IJSG_SG_EEES6_PlJNSB_9not_fun_tI7is_evenIjEEEEEE10hipError_tPvRmT3_T4_T5_T6_T7_T9_mT8_P12ihipStream_tbDpT10_ENKUlT_T0_E_clISt17integral_constantIbLb0EES18_EEDaS13_S14_EUlS13_E_NS1_11comp_targetILNS1_3genE9ELNS1_11target_archE1100ELNS1_3gpuE3ELNS1_3repE0EEENS1_30default_config_static_selectorELNS0_4arch9wavefront6targetE0EEEvT1_.kd
    .uniform_work_group_size: 1
    .uses_dynamic_stack: false
    .vgpr_count:     0
    .vgpr_spill_count: 0
    .wavefront_size: 32
    .workgroup_processor_mode: 1
  - .args:
      - .offset:         0
        .size:           112
        .value_kind:     by_value
    .group_segment_fixed_size: 0
    .kernarg_segment_align: 8
    .kernarg_segment_size: 112
    .language:       OpenCL C
    .language_version:
      - 2
      - 0
    .max_flat_workgroup_size: 512
    .name:           _ZN7rocprim17ROCPRIM_400000_NS6detail17trampoline_kernelINS0_14default_configENS1_25partition_config_selectorILNS1_17partition_subalgoE6EjNS0_10empty_typeEbEEZZNS1_14partition_implILS5_6ELb0ES3_mN6thrust23THRUST_200600_302600_NS6detail15normal_iteratorINSA_10device_ptrIjEEEEPS6_SG_NS0_5tupleIJSF_S6_EEENSH_IJSG_SG_EEES6_PlJNSB_9not_fun_tI7is_evenIjEEEEEE10hipError_tPvRmT3_T4_T5_T6_T7_T9_mT8_P12ihipStream_tbDpT10_ENKUlT_T0_E_clISt17integral_constantIbLb0EES18_EEDaS13_S14_EUlS13_E_NS1_11comp_targetILNS1_3genE8ELNS1_11target_archE1030ELNS1_3gpuE2ELNS1_3repE0EEENS1_30default_config_static_selectorELNS0_4arch9wavefront6targetE0EEEvT1_
    .private_segment_fixed_size: 0
    .sgpr_count:     0
    .sgpr_spill_count: 0
    .symbol:         _ZN7rocprim17ROCPRIM_400000_NS6detail17trampoline_kernelINS0_14default_configENS1_25partition_config_selectorILNS1_17partition_subalgoE6EjNS0_10empty_typeEbEEZZNS1_14partition_implILS5_6ELb0ES3_mN6thrust23THRUST_200600_302600_NS6detail15normal_iteratorINSA_10device_ptrIjEEEEPS6_SG_NS0_5tupleIJSF_S6_EEENSH_IJSG_SG_EEES6_PlJNSB_9not_fun_tI7is_evenIjEEEEEE10hipError_tPvRmT3_T4_T5_T6_T7_T9_mT8_P12ihipStream_tbDpT10_ENKUlT_T0_E_clISt17integral_constantIbLb0EES18_EEDaS13_S14_EUlS13_E_NS1_11comp_targetILNS1_3genE8ELNS1_11target_archE1030ELNS1_3gpuE2ELNS1_3repE0EEENS1_30default_config_static_selectorELNS0_4arch9wavefront6targetE0EEEvT1_.kd
    .uniform_work_group_size: 1
    .uses_dynamic_stack: false
    .vgpr_count:     0
    .vgpr_spill_count: 0
    .wavefront_size: 32
    .workgroup_processor_mode: 1
  - .args:
      - .offset:         0
        .size:           128
        .value_kind:     by_value
    .group_segment_fixed_size: 0
    .kernarg_segment_align: 8
    .kernarg_segment_size: 128
    .language:       OpenCL C
    .language_version:
      - 2
      - 0
    .max_flat_workgroup_size: 256
    .name:           _ZN7rocprim17ROCPRIM_400000_NS6detail17trampoline_kernelINS0_14default_configENS1_25partition_config_selectorILNS1_17partition_subalgoE6EjNS0_10empty_typeEbEEZZNS1_14partition_implILS5_6ELb0ES3_mN6thrust23THRUST_200600_302600_NS6detail15normal_iteratorINSA_10device_ptrIjEEEEPS6_SG_NS0_5tupleIJSF_S6_EEENSH_IJSG_SG_EEES6_PlJNSB_9not_fun_tI7is_evenIjEEEEEE10hipError_tPvRmT3_T4_T5_T6_T7_T9_mT8_P12ihipStream_tbDpT10_ENKUlT_T0_E_clISt17integral_constantIbLb1EES18_EEDaS13_S14_EUlS13_E_NS1_11comp_targetILNS1_3genE0ELNS1_11target_archE4294967295ELNS1_3gpuE0ELNS1_3repE0EEENS1_30default_config_static_selectorELNS0_4arch9wavefront6targetE0EEEvT1_
    .private_segment_fixed_size: 0
    .sgpr_count:     0
    .sgpr_spill_count: 0
    .symbol:         _ZN7rocprim17ROCPRIM_400000_NS6detail17trampoline_kernelINS0_14default_configENS1_25partition_config_selectorILNS1_17partition_subalgoE6EjNS0_10empty_typeEbEEZZNS1_14partition_implILS5_6ELb0ES3_mN6thrust23THRUST_200600_302600_NS6detail15normal_iteratorINSA_10device_ptrIjEEEEPS6_SG_NS0_5tupleIJSF_S6_EEENSH_IJSG_SG_EEES6_PlJNSB_9not_fun_tI7is_evenIjEEEEEE10hipError_tPvRmT3_T4_T5_T6_T7_T9_mT8_P12ihipStream_tbDpT10_ENKUlT_T0_E_clISt17integral_constantIbLb1EES18_EEDaS13_S14_EUlS13_E_NS1_11comp_targetILNS1_3genE0ELNS1_11target_archE4294967295ELNS1_3gpuE0ELNS1_3repE0EEENS1_30default_config_static_selectorELNS0_4arch9wavefront6targetE0EEEvT1_.kd
    .uniform_work_group_size: 1
    .uses_dynamic_stack: false
    .vgpr_count:     0
    .vgpr_spill_count: 0
    .wavefront_size: 32
    .workgroup_processor_mode: 1
  - .args:
      - .offset:         0
        .size:           128
        .value_kind:     by_value
    .group_segment_fixed_size: 0
    .kernarg_segment_align: 8
    .kernarg_segment_size: 128
    .language:       OpenCL C
    .language_version:
      - 2
      - 0
    .max_flat_workgroup_size: 512
    .name:           _ZN7rocprim17ROCPRIM_400000_NS6detail17trampoline_kernelINS0_14default_configENS1_25partition_config_selectorILNS1_17partition_subalgoE6EjNS0_10empty_typeEbEEZZNS1_14partition_implILS5_6ELb0ES3_mN6thrust23THRUST_200600_302600_NS6detail15normal_iteratorINSA_10device_ptrIjEEEEPS6_SG_NS0_5tupleIJSF_S6_EEENSH_IJSG_SG_EEES6_PlJNSB_9not_fun_tI7is_evenIjEEEEEE10hipError_tPvRmT3_T4_T5_T6_T7_T9_mT8_P12ihipStream_tbDpT10_ENKUlT_T0_E_clISt17integral_constantIbLb1EES18_EEDaS13_S14_EUlS13_E_NS1_11comp_targetILNS1_3genE5ELNS1_11target_archE942ELNS1_3gpuE9ELNS1_3repE0EEENS1_30default_config_static_selectorELNS0_4arch9wavefront6targetE0EEEvT1_
    .private_segment_fixed_size: 0
    .sgpr_count:     0
    .sgpr_spill_count: 0
    .symbol:         _ZN7rocprim17ROCPRIM_400000_NS6detail17trampoline_kernelINS0_14default_configENS1_25partition_config_selectorILNS1_17partition_subalgoE6EjNS0_10empty_typeEbEEZZNS1_14partition_implILS5_6ELb0ES3_mN6thrust23THRUST_200600_302600_NS6detail15normal_iteratorINSA_10device_ptrIjEEEEPS6_SG_NS0_5tupleIJSF_S6_EEENSH_IJSG_SG_EEES6_PlJNSB_9not_fun_tI7is_evenIjEEEEEE10hipError_tPvRmT3_T4_T5_T6_T7_T9_mT8_P12ihipStream_tbDpT10_ENKUlT_T0_E_clISt17integral_constantIbLb1EES18_EEDaS13_S14_EUlS13_E_NS1_11comp_targetILNS1_3genE5ELNS1_11target_archE942ELNS1_3gpuE9ELNS1_3repE0EEENS1_30default_config_static_selectorELNS0_4arch9wavefront6targetE0EEEvT1_.kd
    .uniform_work_group_size: 1
    .uses_dynamic_stack: false
    .vgpr_count:     0
    .vgpr_spill_count: 0
    .wavefront_size: 32
    .workgroup_processor_mode: 1
  - .args:
      - .offset:         0
        .size:           128
        .value_kind:     by_value
    .group_segment_fixed_size: 0
    .kernarg_segment_align: 8
    .kernarg_segment_size: 128
    .language:       OpenCL C
    .language_version:
      - 2
      - 0
    .max_flat_workgroup_size: 512
    .name:           _ZN7rocprim17ROCPRIM_400000_NS6detail17trampoline_kernelINS0_14default_configENS1_25partition_config_selectorILNS1_17partition_subalgoE6EjNS0_10empty_typeEbEEZZNS1_14partition_implILS5_6ELb0ES3_mN6thrust23THRUST_200600_302600_NS6detail15normal_iteratorINSA_10device_ptrIjEEEEPS6_SG_NS0_5tupleIJSF_S6_EEENSH_IJSG_SG_EEES6_PlJNSB_9not_fun_tI7is_evenIjEEEEEE10hipError_tPvRmT3_T4_T5_T6_T7_T9_mT8_P12ihipStream_tbDpT10_ENKUlT_T0_E_clISt17integral_constantIbLb1EES18_EEDaS13_S14_EUlS13_E_NS1_11comp_targetILNS1_3genE4ELNS1_11target_archE910ELNS1_3gpuE8ELNS1_3repE0EEENS1_30default_config_static_selectorELNS0_4arch9wavefront6targetE0EEEvT1_
    .private_segment_fixed_size: 0
    .sgpr_count:     0
    .sgpr_spill_count: 0
    .symbol:         _ZN7rocprim17ROCPRIM_400000_NS6detail17trampoline_kernelINS0_14default_configENS1_25partition_config_selectorILNS1_17partition_subalgoE6EjNS0_10empty_typeEbEEZZNS1_14partition_implILS5_6ELb0ES3_mN6thrust23THRUST_200600_302600_NS6detail15normal_iteratorINSA_10device_ptrIjEEEEPS6_SG_NS0_5tupleIJSF_S6_EEENSH_IJSG_SG_EEES6_PlJNSB_9not_fun_tI7is_evenIjEEEEEE10hipError_tPvRmT3_T4_T5_T6_T7_T9_mT8_P12ihipStream_tbDpT10_ENKUlT_T0_E_clISt17integral_constantIbLb1EES18_EEDaS13_S14_EUlS13_E_NS1_11comp_targetILNS1_3genE4ELNS1_11target_archE910ELNS1_3gpuE8ELNS1_3repE0EEENS1_30default_config_static_selectorELNS0_4arch9wavefront6targetE0EEEvT1_.kd
    .uniform_work_group_size: 1
    .uses_dynamic_stack: false
    .vgpr_count:     0
    .vgpr_spill_count: 0
    .wavefront_size: 32
    .workgroup_processor_mode: 1
  - .args:
      - .offset:         0
        .size:           128
        .value_kind:     by_value
    .group_segment_fixed_size: 0
    .kernarg_segment_align: 8
    .kernarg_segment_size: 128
    .language:       OpenCL C
    .language_version:
      - 2
      - 0
    .max_flat_workgroup_size: 256
    .name:           _ZN7rocprim17ROCPRIM_400000_NS6detail17trampoline_kernelINS0_14default_configENS1_25partition_config_selectorILNS1_17partition_subalgoE6EjNS0_10empty_typeEbEEZZNS1_14partition_implILS5_6ELb0ES3_mN6thrust23THRUST_200600_302600_NS6detail15normal_iteratorINSA_10device_ptrIjEEEEPS6_SG_NS0_5tupleIJSF_S6_EEENSH_IJSG_SG_EEES6_PlJNSB_9not_fun_tI7is_evenIjEEEEEE10hipError_tPvRmT3_T4_T5_T6_T7_T9_mT8_P12ihipStream_tbDpT10_ENKUlT_T0_E_clISt17integral_constantIbLb1EES18_EEDaS13_S14_EUlS13_E_NS1_11comp_targetILNS1_3genE3ELNS1_11target_archE908ELNS1_3gpuE7ELNS1_3repE0EEENS1_30default_config_static_selectorELNS0_4arch9wavefront6targetE0EEEvT1_
    .private_segment_fixed_size: 0
    .sgpr_count:     0
    .sgpr_spill_count: 0
    .symbol:         _ZN7rocprim17ROCPRIM_400000_NS6detail17trampoline_kernelINS0_14default_configENS1_25partition_config_selectorILNS1_17partition_subalgoE6EjNS0_10empty_typeEbEEZZNS1_14partition_implILS5_6ELb0ES3_mN6thrust23THRUST_200600_302600_NS6detail15normal_iteratorINSA_10device_ptrIjEEEEPS6_SG_NS0_5tupleIJSF_S6_EEENSH_IJSG_SG_EEES6_PlJNSB_9not_fun_tI7is_evenIjEEEEEE10hipError_tPvRmT3_T4_T5_T6_T7_T9_mT8_P12ihipStream_tbDpT10_ENKUlT_T0_E_clISt17integral_constantIbLb1EES18_EEDaS13_S14_EUlS13_E_NS1_11comp_targetILNS1_3genE3ELNS1_11target_archE908ELNS1_3gpuE7ELNS1_3repE0EEENS1_30default_config_static_selectorELNS0_4arch9wavefront6targetE0EEEvT1_.kd
    .uniform_work_group_size: 1
    .uses_dynamic_stack: false
    .vgpr_count:     0
    .vgpr_spill_count: 0
    .wavefront_size: 32
    .workgroup_processor_mode: 1
  - .args:
      - .offset:         0
        .size:           128
        .value_kind:     by_value
    .group_segment_fixed_size: 0
    .kernarg_segment_align: 8
    .kernarg_segment_size: 128
    .language:       OpenCL C
    .language_version:
      - 2
      - 0
    .max_flat_workgroup_size: 192
    .name:           _ZN7rocprim17ROCPRIM_400000_NS6detail17trampoline_kernelINS0_14default_configENS1_25partition_config_selectorILNS1_17partition_subalgoE6EjNS0_10empty_typeEbEEZZNS1_14partition_implILS5_6ELb0ES3_mN6thrust23THRUST_200600_302600_NS6detail15normal_iteratorINSA_10device_ptrIjEEEEPS6_SG_NS0_5tupleIJSF_S6_EEENSH_IJSG_SG_EEES6_PlJNSB_9not_fun_tI7is_evenIjEEEEEE10hipError_tPvRmT3_T4_T5_T6_T7_T9_mT8_P12ihipStream_tbDpT10_ENKUlT_T0_E_clISt17integral_constantIbLb1EES18_EEDaS13_S14_EUlS13_E_NS1_11comp_targetILNS1_3genE2ELNS1_11target_archE906ELNS1_3gpuE6ELNS1_3repE0EEENS1_30default_config_static_selectorELNS0_4arch9wavefront6targetE0EEEvT1_
    .private_segment_fixed_size: 0
    .sgpr_count:     0
    .sgpr_spill_count: 0
    .symbol:         _ZN7rocprim17ROCPRIM_400000_NS6detail17trampoline_kernelINS0_14default_configENS1_25partition_config_selectorILNS1_17partition_subalgoE6EjNS0_10empty_typeEbEEZZNS1_14partition_implILS5_6ELb0ES3_mN6thrust23THRUST_200600_302600_NS6detail15normal_iteratorINSA_10device_ptrIjEEEEPS6_SG_NS0_5tupleIJSF_S6_EEENSH_IJSG_SG_EEES6_PlJNSB_9not_fun_tI7is_evenIjEEEEEE10hipError_tPvRmT3_T4_T5_T6_T7_T9_mT8_P12ihipStream_tbDpT10_ENKUlT_T0_E_clISt17integral_constantIbLb1EES18_EEDaS13_S14_EUlS13_E_NS1_11comp_targetILNS1_3genE2ELNS1_11target_archE906ELNS1_3gpuE6ELNS1_3repE0EEENS1_30default_config_static_selectorELNS0_4arch9wavefront6targetE0EEEvT1_.kd
    .uniform_work_group_size: 1
    .uses_dynamic_stack: false
    .vgpr_count:     0
    .vgpr_spill_count: 0
    .wavefront_size: 32
    .workgroup_processor_mode: 1
  - .args:
      - .offset:         0
        .size:           128
        .value_kind:     by_value
    .group_segment_fixed_size: 0
    .kernarg_segment_align: 8
    .kernarg_segment_size: 128
    .language:       OpenCL C
    .language_version:
      - 2
      - 0
    .max_flat_workgroup_size: 384
    .name:           _ZN7rocprim17ROCPRIM_400000_NS6detail17trampoline_kernelINS0_14default_configENS1_25partition_config_selectorILNS1_17partition_subalgoE6EjNS0_10empty_typeEbEEZZNS1_14partition_implILS5_6ELb0ES3_mN6thrust23THRUST_200600_302600_NS6detail15normal_iteratorINSA_10device_ptrIjEEEEPS6_SG_NS0_5tupleIJSF_S6_EEENSH_IJSG_SG_EEES6_PlJNSB_9not_fun_tI7is_evenIjEEEEEE10hipError_tPvRmT3_T4_T5_T6_T7_T9_mT8_P12ihipStream_tbDpT10_ENKUlT_T0_E_clISt17integral_constantIbLb1EES18_EEDaS13_S14_EUlS13_E_NS1_11comp_targetILNS1_3genE10ELNS1_11target_archE1200ELNS1_3gpuE4ELNS1_3repE0EEENS1_30default_config_static_selectorELNS0_4arch9wavefront6targetE0EEEvT1_
    .private_segment_fixed_size: 0
    .sgpr_count:     0
    .sgpr_spill_count: 0
    .symbol:         _ZN7rocprim17ROCPRIM_400000_NS6detail17trampoline_kernelINS0_14default_configENS1_25partition_config_selectorILNS1_17partition_subalgoE6EjNS0_10empty_typeEbEEZZNS1_14partition_implILS5_6ELb0ES3_mN6thrust23THRUST_200600_302600_NS6detail15normal_iteratorINSA_10device_ptrIjEEEEPS6_SG_NS0_5tupleIJSF_S6_EEENSH_IJSG_SG_EEES6_PlJNSB_9not_fun_tI7is_evenIjEEEEEE10hipError_tPvRmT3_T4_T5_T6_T7_T9_mT8_P12ihipStream_tbDpT10_ENKUlT_T0_E_clISt17integral_constantIbLb1EES18_EEDaS13_S14_EUlS13_E_NS1_11comp_targetILNS1_3genE10ELNS1_11target_archE1200ELNS1_3gpuE4ELNS1_3repE0EEENS1_30default_config_static_selectorELNS0_4arch9wavefront6targetE0EEEvT1_.kd
    .uniform_work_group_size: 1
    .uses_dynamic_stack: false
    .vgpr_count:     0
    .vgpr_spill_count: 0
    .wavefront_size: 32
    .workgroup_processor_mode: 1
  - .args:
      - .offset:         0
        .size:           128
        .value_kind:     by_value
    .group_segment_fixed_size: 0
    .kernarg_segment_align: 8
    .kernarg_segment_size: 128
    .language:       OpenCL C
    .language_version:
      - 2
      - 0
    .max_flat_workgroup_size: 128
    .name:           _ZN7rocprim17ROCPRIM_400000_NS6detail17trampoline_kernelINS0_14default_configENS1_25partition_config_selectorILNS1_17partition_subalgoE6EjNS0_10empty_typeEbEEZZNS1_14partition_implILS5_6ELb0ES3_mN6thrust23THRUST_200600_302600_NS6detail15normal_iteratorINSA_10device_ptrIjEEEEPS6_SG_NS0_5tupleIJSF_S6_EEENSH_IJSG_SG_EEES6_PlJNSB_9not_fun_tI7is_evenIjEEEEEE10hipError_tPvRmT3_T4_T5_T6_T7_T9_mT8_P12ihipStream_tbDpT10_ENKUlT_T0_E_clISt17integral_constantIbLb1EES18_EEDaS13_S14_EUlS13_E_NS1_11comp_targetILNS1_3genE9ELNS1_11target_archE1100ELNS1_3gpuE3ELNS1_3repE0EEENS1_30default_config_static_selectorELNS0_4arch9wavefront6targetE0EEEvT1_
    .private_segment_fixed_size: 0
    .sgpr_count:     0
    .sgpr_spill_count: 0
    .symbol:         _ZN7rocprim17ROCPRIM_400000_NS6detail17trampoline_kernelINS0_14default_configENS1_25partition_config_selectorILNS1_17partition_subalgoE6EjNS0_10empty_typeEbEEZZNS1_14partition_implILS5_6ELb0ES3_mN6thrust23THRUST_200600_302600_NS6detail15normal_iteratorINSA_10device_ptrIjEEEEPS6_SG_NS0_5tupleIJSF_S6_EEENSH_IJSG_SG_EEES6_PlJNSB_9not_fun_tI7is_evenIjEEEEEE10hipError_tPvRmT3_T4_T5_T6_T7_T9_mT8_P12ihipStream_tbDpT10_ENKUlT_T0_E_clISt17integral_constantIbLb1EES18_EEDaS13_S14_EUlS13_E_NS1_11comp_targetILNS1_3genE9ELNS1_11target_archE1100ELNS1_3gpuE3ELNS1_3repE0EEENS1_30default_config_static_selectorELNS0_4arch9wavefront6targetE0EEEvT1_.kd
    .uniform_work_group_size: 1
    .uses_dynamic_stack: false
    .vgpr_count:     0
    .vgpr_spill_count: 0
    .wavefront_size: 32
    .workgroup_processor_mode: 1
  - .args:
      - .offset:         0
        .size:           128
        .value_kind:     by_value
    .group_segment_fixed_size: 0
    .kernarg_segment_align: 8
    .kernarg_segment_size: 128
    .language:       OpenCL C
    .language_version:
      - 2
      - 0
    .max_flat_workgroup_size: 512
    .name:           _ZN7rocprim17ROCPRIM_400000_NS6detail17trampoline_kernelINS0_14default_configENS1_25partition_config_selectorILNS1_17partition_subalgoE6EjNS0_10empty_typeEbEEZZNS1_14partition_implILS5_6ELb0ES3_mN6thrust23THRUST_200600_302600_NS6detail15normal_iteratorINSA_10device_ptrIjEEEEPS6_SG_NS0_5tupleIJSF_S6_EEENSH_IJSG_SG_EEES6_PlJNSB_9not_fun_tI7is_evenIjEEEEEE10hipError_tPvRmT3_T4_T5_T6_T7_T9_mT8_P12ihipStream_tbDpT10_ENKUlT_T0_E_clISt17integral_constantIbLb1EES18_EEDaS13_S14_EUlS13_E_NS1_11comp_targetILNS1_3genE8ELNS1_11target_archE1030ELNS1_3gpuE2ELNS1_3repE0EEENS1_30default_config_static_selectorELNS0_4arch9wavefront6targetE0EEEvT1_
    .private_segment_fixed_size: 0
    .sgpr_count:     0
    .sgpr_spill_count: 0
    .symbol:         _ZN7rocprim17ROCPRIM_400000_NS6detail17trampoline_kernelINS0_14default_configENS1_25partition_config_selectorILNS1_17partition_subalgoE6EjNS0_10empty_typeEbEEZZNS1_14partition_implILS5_6ELb0ES3_mN6thrust23THRUST_200600_302600_NS6detail15normal_iteratorINSA_10device_ptrIjEEEEPS6_SG_NS0_5tupleIJSF_S6_EEENSH_IJSG_SG_EEES6_PlJNSB_9not_fun_tI7is_evenIjEEEEEE10hipError_tPvRmT3_T4_T5_T6_T7_T9_mT8_P12ihipStream_tbDpT10_ENKUlT_T0_E_clISt17integral_constantIbLb1EES18_EEDaS13_S14_EUlS13_E_NS1_11comp_targetILNS1_3genE8ELNS1_11target_archE1030ELNS1_3gpuE2ELNS1_3repE0EEENS1_30default_config_static_selectorELNS0_4arch9wavefront6targetE0EEEvT1_.kd
    .uniform_work_group_size: 1
    .uses_dynamic_stack: false
    .vgpr_count:     0
    .vgpr_spill_count: 0
    .wavefront_size: 32
    .workgroup_processor_mode: 1
  - .args:
      - .offset:         0
        .size:           112
        .value_kind:     by_value
    .group_segment_fixed_size: 0
    .kernarg_segment_align: 8
    .kernarg_segment_size: 112
    .language:       OpenCL C
    .language_version:
      - 2
      - 0
    .max_flat_workgroup_size: 256
    .name:           _ZN7rocprim17ROCPRIM_400000_NS6detail17trampoline_kernelINS0_14default_configENS1_25partition_config_selectorILNS1_17partition_subalgoE6EjNS0_10empty_typeEbEEZZNS1_14partition_implILS5_6ELb0ES3_mN6thrust23THRUST_200600_302600_NS6detail15normal_iteratorINSA_10device_ptrIjEEEEPS6_SG_NS0_5tupleIJSF_S6_EEENSH_IJSG_SG_EEES6_PlJNSB_9not_fun_tI7is_evenIjEEEEEE10hipError_tPvRmT3_T4_T5_T6_T7_T9_mT8_P12ihipStream_tbDpT10_ENKUlT_T0_E_clISt17integral_constantIbLb1EES17_IbLb0EEEEDaS13_S14_EUlS13_E_NS1_11comp_targetILNS1_3genE0ELNS1_11target_archE4294967295ELNS1_3gpuE0ELNS1_3repE0EEENS1_30default_config_static_selectorELNS0_4arch9wavefront6targetE0EEEvT1_
    .private_segment_fixed_size: 0
    .sgpr_count:     0
    .sgpr_spill_count: 0
    .symbol:         _ZN7rocprim17ROCPRIM_400000_NS6detail17trampoline_kernelINS0_14default_configENS1_25partition_config_selectorILNS1_17partition_subalgoE6EjNS0_10empty_typeEbEEZZNS1_14partition_implILS5_6ELb0ES3_mN6thrust23THRUST_200600_302600_NS6detail15normal_iteratorINSA_10device_ptrIjEEEEPS6_SG_NS0_5tupleIJSF_S6_EEENSH_IJSG_SG_EEES6_PlJNSB_9not_fun_tI7is_evenIjEEEEEE10hipError_tPvRmT3_T4_T5_T6_T7_T9_mT8_P12ihipStream_tbDpT10_ENKUlT_T0_E_clISt17integral_constantIbLb1EES17_IbLb0EEEEDaS13_S14_EUlS13_E_NS1_11comp_targetILNS1_3genE0ELNS1_11target_archE4294967295ELNS1_3gpuE0ELNS1_3repE0EEENS1_30default_config_static_selectorELNS0_4arch9wavefront6targetE0EEEvT1_.kd
    .uniform_work_group_size: 1
    .uses_dynamic_stack: false
    .vgpr_count:     0
    .vgpr_spill_count: 0
    .wavefront_size: 32
    .workgroup_processor_mode: 1
  - .args:
      - .offset:         0
        .size:           112
        .value_kind:     by_value
    .group_segment_fixed_size: 0
    .kernarg_segment_align: 8
    .kernarg_segment_size: 112
    .language:       OpenCL C
    .language_version:
      - 2
      - 0
    .max_flat_workgroup_size: 512
    .name:           _ZN7rocprim17ROCPRIM_400000_NS6detail17trampoline_kernelINS0_14default_configENS1_25partition_config_selectorILNS1_17partition_subalgoE6EjNS0_10empty_typeEbEEZZNS1_14partition_implILS5_6ELb0ES3_mN6thrust23THRUST_200600_302600_NS6detail15normal_iteratorINSA_10device_ptrIjEEEEPS6_SG_NS0_5tupleIJSF_S6_EEENSH_IJSG_SG_EEES6_PlJNSB_9not_fun_tI7is_evenIjEEEEEE10hipError_tPvRmT3_T4_T5_T6_T7_T9_mT8_P12ihipStream_tbDpT10_ENKUlT_T0_E_clISt17integral_constantIbLb1EES17_IbLb0EEEEDaS13_S14_EUlS13_E_NS1_11comp_targetILNS1_3genE5ELNS1_11target_archE942ELNS1_3gpuE9ELNS1_3repE0EEENS1_30default_config_static_selectorELNS0_4arch9wavefront6targetE0EEEvT1_
    .private_segment_fixed_size: 0
    .sgpr_count:     0
    .sgpr_spill_count: 0
    .symbol:         _ZN7rocprim17ROCPRIM_400000_NS6detail17trampoline_kernelINS0_14default_configENS1_25partition_config_selectorILNS1_17partition_subalgoE6EjNS0_10empty_typeEbEEZZNS1_14partition_implILS5_6ELb0ES3_mN6thrust23THRUST_200600_302600_NS6detail15normal_iteratorINSA_10device_ptrIjEEEEPS6_SG_NS0_5tupleIJSF_S6_EEENSH_IJSG_SG_EEES6_PlJNSB_9not_fun_tI7is_evenIjEEEEEE10hipError_tPvRmT3_T4_T5_T6_T7_T9_mT8_P12ihipStream_tbDpT10_ENKUlT_T0_E_clISt17integral_constantIbLb1EES17_IbLb0EEEEDaS13_S14_EUlS13_E_NS1_11comp_targetILNS1_3genE5ELNS1_11target_archE942ELNS1_3gpuE9ELNS1_3repE0EEENS1_30default_config_static_selectorELNS0_4arch9wavefront6targetE0EEEvT1_.kd
    .uniform_work_group_size: 1
    .uses_dynamic_stack: false
    .vgpr_count:     0
    .vgpr_spill_count: 0
    .wavefront_size: 32
    .workgroup_processor_mode: 1
  - .args:
      - .offset:         0
        .size:           112
        .value_kind:     by_value
    .group_segment_fixed_size: 0
    .kernarg_segment_align: 8
    .kernarg_segment_size: 112
    .language:       OpenCL C
    .language_version:
      - 2
      - 0
    .max_flat_workgroup_size: 512
    .name:           _ZN7rocprim17ROCPRIM_400000_NS6detail17trampoline_kernelINS0_14default_configENS1_25partition_config_selectorILNS1_17partition_subalgoE6EjNS0_10empty_typeEbEEZZNS1_14partition_implILS5_6ELb0ES3_mN6thrust23THRUST_200600_302600_NS6detail15normal_iteratorINSA_10device_ptrIjEEEEPS6_SG_NS0_5tupleIJSF_S6_EEENSH_IJSG_SG_EEES6_PlJNSB_9not_fun_tI7is_evenIjEEEEEE10hipError_tPvRmT3_T4_T5_T6_T7_T9_mT8_P12ihipStream_tbDpT10_ENKUlT_T0_E_clISt17integral_constantIbLb1EES17_IbLb0EEEEDaS13_S14_EUlS13_E_NS1_11comp_targetILNS1_3genE4ELNS1_11target_archE910ELNS1_3gpuE8ELNS1_3repE0EEENS1_30default_config_static_selectorELNS0_4arch9wavefront6targetE0EEEvT1_
    .private_segment_fixed_size: 0
    .sgpr_count:     0
    .sgpr_spill_count: 0
    .symbol:         _ZN7rocprim17ROCPRIM_400000_NS6detail17trampoline_kernelINS0_14default_configENS1_25partition_config_selectorILNS1_17partition_subalgoE6EjNS0_10empty_typeEbEEZZNS1_14partition_implILS5_6ELb0ES3_mN6thrust23THRUST_200600_302600_NS6detail15normal_iteratorINSA_10device_ptrIjEEEEPS6_SG_NS0_5tupleIJSF_S6_EEENSH_IJSG_SG_EEES6_PlJNSB_9not_fun_tI7is_evenIjEEEEEE10hipError_tPvRmT3_T4_T5_T6_T7_T9_mT8_P12ihipStream_tbDpT10_ENKUlT_T0_E_clISt17integral_constantIbLb1EES17_IbLb0EEEEDaS13_S14_EUlS13_E_NS1_11comp_targetILNS1_3genE4ELNS1_11target_archE910ELNS1_3gpuE8ELNS1_3repE0EEENS1_30default_config_static_selectorELNS0_4arch9wavefront6targetE0EEEvT1_.kd
    .uniform_work_group_size: 1
    .uses_dynamic_stack: false
    .vgpr_count:     0
    .vgpr_spill_count: 0
    .wavefront_size: 32
    .workgroup_processor_mode: 1
  - .args:
      - .offset:         0
        .size:           112
        .value_kind:     by_value
    .group_segment_fixed_size: 0
    .kernarg_segment_align: 8
    .kernarg_segment_size: 112
    .language:       OpenCL C
    .language_version:
      - 2
      - 0
    .max_flat_workgroup_size: 256
    .name:           _ZN7rocprim17ROCPRIM_400000_NS6detail17trampoline_kernelINS0_14default_configENS1_25partition_config_selectorILNS1_17partition_subalgoE6EjNS0_10empty_typeEbEEZZNS1_14partition_implILS5_6ELb0ES3_mN6thrust23THRUST_200600_302600_NS6detail15normal_iteratorINSA_10device_ptrIjEEEEPS6_SG_NS0_5tupleIJSF_S6_EEENSH_IJSG_SG_EEES6_PlJNSB_9not_fun_tI7is_evenIjEEEEEE10hipError_tPvRmT3_T4_T5_T6_T7_T9_mT8_P12ihipStream_tbDpT10_ENKUlT_T0_E_clISt17integral_constantIbLb1EES17_IbLb0EEEEDaS13_S14_EUlS13_E_NS1_11comp_targetILNS1_3genE3ELNS1_11target_archE908ELNS1_3gpuE7ELNS1_3repE0EEENS1_30default_config_static_selectorELNS0_4arch9wavefront6targetE0EEEvT1_
    .private_segment_fixed_size: 0
    .sgpr_count:     0
    .sgpr_spill_count: 0
    .symbol:         _ZN7rocprim17ROCPRIM_400000_NS6detail17trampoline_kernelINS0_14default_configENS1_25partition_config_selectorILNS1_17partition_subalgoE6EjNS0_10empty_typeEbEEZZNS1_14partition_implILS5_6ELb0ES3_mN6thrust23THRUST_200600_302600_NS6detail15normal_iteratorINSA_10device_ptrIjEEEEPS6_SG_NS0_5tupleIJSF_S6_EEENSH_IJSG_SG_EEES6_PlJNSB_9not_fun_tI7is_evenIjEEEEEE10hipError_tPvRmT3_T4_T5_T6_T7_T9_mT8_P12ihipStream_tbDpT10_ENKUlT_T0_E_clISt17integral_constantIbLb1EES17_IbLb0EEEEDaS13_S14_EUlS13_E_NS1_11comp_targetILNS1_3genE3ELNS1_11target_archE908ELNS1_3gpuE7ELNS1_3repE0EEENS1_30default_config_static_selectorELNS0_4arch9wavefront6targetE0EEEvT1_.kd
    .uniform_work_group_size: 1
    .uses_dynamic_stack: false
    .vgpr_count:     0
    .vgpr_spill_count: 0
    .wavefront_size: 32
    .workgroup_processor_mode: 1
  - .args:
      - .offset:         0
        .size:           112
        .value_kind:     by_value
    .group_segment_fixed_size: 0
    .kernarg_segment_align: 8
    .kernarg_segment_size: 112
    .language:       OpenCL C
    .language_version:
      - 2
      - 0
    .max_flat_workgroup_size: 192
    .name:           _ZN7rocprim17ROCPRIM_400000_NS6detail17trampoline_kernelINS0_14default_configENS1_25partition_config_selectorILNS1_17partition_subalgoE6EjNS0_10empty_typeEbEEZZNS1_14partition_implILS5_6ELb0ES3_mN6thrust23THRUST_200600_302600_NS6detail15normal_iteratorINSA_10device_ptrIjEEEEPS6_SG_NS0_5tupleIJSF_S6_EEENSH_IJSG_SG_EEES6_PlJNSB_9not_fun_tI7is_evenIjEEEEEE10hipError_tPvRmT3_T4_T5_T6_T7_T9_mT8_P12ihipStream_tbDpT10_ENKUlT_T0_E_clISt17integral_constantIbLb1EES17_IbLb0EEEEDaS13_S14_EUlS13_E_NS1_11comp_targetILNS1_3genE2ELNS1_11target_archE906ELNS1_3gpuE6ELNS1_3repE0EEENS1_30default_config_static_selectorELNS0_4arch9wavefront6targetE0EEEvT1_
    .private_segment_fixed_size: 0
    .sgpr_count:     0
    .sgpr_spill_count: 0
    .symbol:         _ZN7rocprim17ROCPRIM_400000_NS6detail17trampoline_kernelINS0_14default_configENS1_25partition_config_selectorILNS1_17partition_subalgoE6EjNS0_10empty_typeEbEEZZNS1_14partition_implILS5_6ELb0ES3_mN6thrust23THRUST_200600_302600_NS6detail15normal_iteratorINSA_10device_ptrIjEEEEPS6_SG_NS0_5tupleIJSF_S6_EEENSH_IJSG_SG_EEES6_PlJNSB_9not_fun_tI7is_evenIjEEEEEE10hipError_tPvRmT3_T4_T5_T6_T7_T9_mT8_P12ihipStream_tbDpT10_ENKUlT_T0_E_clISt17integral_constantIbLb1EES17_IbLb0EEEEDaS13_S14_EUlS13_E_NS1_11comp_targetILNS1_3genE2ELNS1_11target_archE906ELNS1_3gpuE6ELNS1_3repE0EEENS1_30default_config_static_selectorELNS0_4arch9wavefront6targetE0EEEvT1_.kd
    .uniform_work_group_size: 1
    .uses_dynamic_stack: false
    .vgpr_count:     0
    .vgpr_spill_count: 0
    .wavefront_size: 32
    .workgroup_processor_mode: 1
  - .args:
      - .offset:         0
        .size:           112
        .value_kind:     by_value
    .group_segment_fixed_size: 0
    .kernarg_segment_align: 8
    .kernarg_segment_size: 112
    .language:       OpenCL C
    .language_version:
      - 2
      - 0
    .max_flat_workgroup_size: 384
    .name:           _ZN7rocprim17ROCPRIM_400000_NS6detail17trampoline_kernelINS0_14default_configENS1_25partition_config_selectorILNS1_17partition_subalgoE6EjNS0_10empty_typeEbEEZZNS1_14partition_implILS5_6ELb0ES3_mN6thrust23THRUST_200600_302600_NS6detail15normal_iteratorINSA_10device_ptrIjEEEEPS6_SG_NS0_5tupleIJSF_S6_EEENSH_IJSG_SG_EEES6_PlJNSB_9not_fun_tI7is_evenIjEEEEEE10hipError_tPvRmT3_T4_T5_T6_T7_T9_mT8_P12ihipStream_tbDpT10_ENKUlT_T0_E_clISt17integral_constantIbLb1EES17_IbLb0EEEEDaS13_S14_EUlS13_E_NS1_11comp_targetILNS1_3genE10ELNS1_11target_archE1200ELNS1_3gpuE4ELNS1_3repE0EEENS1_30default_config_static_selectorELNS0_4arch9wavefront6targetE0EEEvT1_
    .private_segment_fixed_size: 0
    .sgpr_count:     0
    .sgpr_spill_count: 0
    .symbol:         _ZN7rocprim17ROCPRIM_400000_NS6detail17trampoline_kernelINS0_14default_configENS1_25partition_config_selectorILNS1_17partition_subalgoE6EjNS0_10empty_typeEbEEZZNS1_14partition_implILS5_6ELb0ES3_mN6thrust23THRUST_200600_302600_NS6detail15normal_iteratorINSA_10device_ptrIjEEEEPS6_SG_NS0_5tupleIJSF_S6_EEENSH_IJSG_SG_EEES6_PlJNSB_9not_fun_tI7is_evenIjEEEEEE10hipError_tPvRmT3_T4_T5_T6_T7_T9_mT8_P12ihipStream_tbDpT10_ENKUlT_T0_E_clISt17integral_constantIbLb1EES17_IbLb0EEEEDaS13_S14_EUlS13_E_NS1_11comp_targetILNS1_3genE10ELNS1_11target_archE1200ELNS1_3gpuE4ELNS1_3repE0EEENS1_30default_config_static_selectorELNS0_4arch9wavefront6targetE0EEEvT1_.kd
    .uniform_work_group_size: 1
    .uses_dynamic_stack: false
    .vgpr_count:     0
    .vgpr_spill_count: 0
    .wavefront_size: 32
    .workgroup_processor_mode: 1
  - .args:
      - .offset:         0
        .size:           112
        .value_kind:     by_value
    .group_segment_fixed_size: 0
    .kernarg_segment_align: 8
    .kernarg_segment_size: 112
    .language:       OpenCL C
    .language_version:
      - 2
      - 0
    .max_flat_workgroup_size: 128
    .name:           _ZN7rocprim17ROCPRIM_400000_NS6detail17trampoline_kernelINS0_14default_configENS1_25partition_config_selectorILNS1_17partition_subalgoE6EjNS0_10empty_typeEbEEZZNS1_14partition_implILS5_6ELb0ES3_mN6thrust23THRUST_200600_302600_NS6detail15normal_iteratorINSA_10device_ptrIjEEEEPS6_SG_NS0_5tupleIJSF_S6_EEENSH_IJSG_SG_EEES6_PlJNSB_9not_fun_tI7is_evenIjEEEEEE10hipError_tPvRmT3_T4_T5_T6_T7_T9_mT8_P12ihipStream_tbDpT10_ENKUlT_T0_E_clISt17integral_constantIbLb1EES17_IbLb0EEEEDaS13_S14_EUlS13_E_NS1_11comp_targetILNS1_3genE9ELNS1_11target_archE1100ELNS1_3gpuE3ELNS1_3repE0EEENS1_30default_config_static_selectorELNS0_4arch9wavefront6targetE0EEEvT1_
    .private_segment_fixed_size: 0
    .sgpr_count:     0
    .sgpr_spill_count: 0
    .symbol:         _ZN7rocprim17ROCPRIM_400000_NS6detail17trampoline_kernelINS0_14default_configENS1_25partition_config_selectorILNS1_17partition_subalgoE6EjNS0_10empty_typeEbEEZZNS1_14partition_implILS5_6ELb0ES3_mN6thrust23THRUST_200600_302600_NS6detail15normal_iteratorINSA_10device_ptrIjEEEEPS6_SG_NS0_5tupleIJSF_S6_EEENSH_IJSG_SG_EEES6_PlJNSB_9not_fun_tI7is_evenIjEEEEEE10hipError_tPvRmT3_T4_T5_T6_T7_T9_mT8_P12ihipStream_tbDpT10_ENKUlT_T0_E_clISt17integral_constantIbLb1EES17_IbLb0EEEEDaS13_S14_EUlS13_E_NS1_11comp_targetILNS1_3genE9ELNS1_11target_archE1100ELNS1_3gpuE3ELNS1_3repE0EEENS1_30default_config_static_selectorELNS0_4arch9wavefront6targetE0EEEvT1_.kd
    .uniform_work_group_size: 1
    .uses_dynamic_stack: false
    .vgpr_count:     0
    .vgpr_spill_count: 0
    .wavefront_size: 32
    .workgroup_processor_mode: 1
  - .args:
      - .offset:         0
        .size:           112
        .value_kind:     by_value
    .group_segment_fixed_size: 0
    .kernarg_segment_align: 8
    .kernarg_segment_size: 112
    .language:       OpenCL C
    .language_version:
      - 2
      - 0
    .max_flat_workgroup_size: 512
    .name:           _ZN7rocprim17ROCPRIM_400000_NS6detail17trampoline_kernelINS0_14default_configENS1_25partition_config_selectorILNS1_17partition_subalgoE6EjNS0_10empty_typeEbEEZZNS1_14partition_implILS5_6ELb0ES3_mN6thrust23THRUST_200600_302600_NS6detail15normal_iteratorINSA_10device_ptrIjEEEEPS6_SG_NS0_5tupleIJSF_S6_EEENSH_IJSG_SG_EEES6_PlJNSB_9not_fun_tI7is_evenIjEEEEEE10hipError_tPvRmT3_T4_T5_T6_T7_T9_mT8_P12ihipStream_tbDpT10_ENKUlT_T0_E_clISt17integral_constantIbLb1EES17_IbLb0EEEEDaS13_S14_EUlS13_E_NS1_11comp_targetILNS1_3genE8ELNS1_11target_archE1030ELNS1_3gpuE2ELNS1_3repE0EEENS1_30default_config_static_selectorELNS0_4arch9wavefront6targetE0EEEvT1_
    .private_segment_fixed_size: 0
    .sgpr_count:     0
    .sgpr_spill_count: 0
    .symbol:         _ZN7rocprim17ROCPRIM_400000_NS6detail17trampoline_kernelINS0_14default_configENS1_25partition_config_selectorILNS1_17partition_subalgoE6EjNS0_10empty_typeEbEEZZNS1_14partition_implILS5_6ELb0ES3_mN6thrust23THRUST_200600_302600_NS6detail15normal_iteratorINSA_10device_ptrIjEEEEPS6_SG_NS0_5tupleIJSF_S6_EEENSH_IJSG_SG_EEES6_PlJNSB_9not_fun_tI7is_evenIjEEEEEE10hipError_tPvRmT3_T4_T5_T6_T7_T9_mT8_P12ihipStream_tbDpT10_ENKUlT_T0_E_clISt17integral_constantIbLb1EES17_IbLb0EEEEDaS13_S14_EUlS13_E_NS1_11comp_targetILNS1_3genE8ELNS1_11target_archE1030ELNS1_3gpuE2ELNS1_3repE0EEENS1_30default_config_static_selectorELNS0_4arch9wavefront6targetE0EEEvT1_.kd
    .uniform_work_group_size: 1
    .uses_dynamic_stack: false
    .vgpr_count:     0
    .vgpr_spill_count: 0
    .wavefront_size: 32
    .workgroup_processor_mode: 1
  - .args:
      - .offset:         0
        .size:           128
        .value_kind:     by_value
    .group_segment_fixed_size: 0
    .kernarg_segment_align: 8
    .kernarg_segment_size: 128
    .language:       OpenCL C
    .language_version:
      - 2
      - 0
    .max_flat_workgroup_size: 256
    .name:           _ZN7rocprim17ROCPRIM_400000_NS6detail17trampoline_kernelINS0_14default_configENS1_25partition_config_selectorILNS1_17partition_subalgoE6EjNS0_10empty_typeEbEEZZNS1_14partition_implILS5_6ELb0ES3_mN6thrust23THRUST_200600_302600_NS6detail15normal_iteratorINSA_10device_ptrIjEEEEPS6_SG_NS0_5tupleIJSF_S6_EEENSH_IJSG_SG_EEES6_PlJNSB_9not_fun_tI7is_evenIjEEEEEE10hipError_tPvRmT3_T4_T5_T6_T7_T9_mT8_P12ihipStream_tbDpT10_ENKUlT_T0_E_clISt17integral_constantIbLb0EES17_IbLb1EEEEDaS13_S14_EUlS13_E_NS1_11comp_targetILNS1_3genE0ELNS1_11target_archE4294967295ELNS1_3gpuE0ELNS1_3repE0EEENS1_30default_config_static_selectorELNS0_4arch9wavefront6targetE0EEEvT1_
    .private_segment_fixed_size: 0
    .sgpr_count:     0
    .sgpr_spill_count: 0
    .symbol:         _ZN7rocprim17ROCPRIM_400000_NS6detail17trampoline_kernelINS0_14default_configENS1_25partition_config_selectorILNS1_17partition_subalgoE6EjNS0_10empty_typeEbEEZZNS1_14partition_implILS5_6ELb0ES3_mN6thrust23THRUST_200600_302600_NS6detail15normal_iteratorINSA_10device_ptrIjEEEEPS6_SG_NS0_5tupleIJSF_S6_EEENSH_IJSG_SG_EEES6_PlJNSB_9not_fun_tI7is_evenIjEEEEEE10hipError_tPvRmT3_T4_T5_T6_T7_T9_mT8_P12ihipStream_tbDpT10_ENKUlT_T0_E_clISt17integral_constantIbLb0EES17_IbLb1EEEEDaS13_S14_EUlS13_E_NS1_11comp_targetILNS1_3genE0ELNS1_11target_archE4294967295ELNS1_3gpuE0ELNS1_3repE0EEENS1_30default_config_static_selectorELNS0_4arch9wavefront6targetE0EEEvT1_.kd
    .uniform_work_group_size: 1
    .uses_dynamic_stack: false
    .vgpr_count:     0
    .vgpr_spill_count: 0
    .wavefront_size: 32
    .workgroup_processor_mode: 1
  - .args:
      - .offset:         0
        .size:           128
        .value_kind:     by_value
    .group_segment_fixed_size: 0
    .kernarg_segment_align: 8
    .kernarg_segment_size: 128
    .language:       OpenCL C
    .language_version:
      - 2
      - 0
    .max_flat_workgroup_size: 512
    .name:           _ZN7rocprim17ROCPRIM_400000_NS6detail17trampoline_kernelINS0_14default_configENS1_25partition_config_selectorILNS1_17partition_subalgoE6EjNS0_10empty_typeEbEEZZNS1_14partition_implILS5_6ELb0ES3_mN6thrust23THRUST_200600_302600_NS6detail15normal_iteratorINSA_10device_ptrIjEEEEPS6_SG_NS0_5tupleIJSF_S6_EEENSH_IJSG_SG_EEES6_PlJNSB_9not_fun_tI7is_evenIjEEEEEE10hipError_tPvRmT3_T4_T5_T6_T7_T9_mT8_P12ihipStream_tbDpT10_ENKUlT_T0_E_clISt17integral_constantIbLb0EES17_IbLb1EEEEDaS13_S14_EUlS13_E_NS1_11comp_targetILNS1_3genE5ELNS1_11target_archE942ELNS1_3gpuE9ELNS1_3repE0EEENS1_30default_config_static_selectorELNS0_4arch9wavefront6targetE0EEEvT1_
    .private_segment_fixed_size: 0
    .sgpr_count:     0
    .sgpr_spill_count: 0
    .symbol:         _ZN7rocprim17ROCPRIM_400000_NS6detail17trampoline_kernelINS0_14default_configENS1_25partition_config_selectorILNS1_17partition_subalgoE6EjNS0_10empty_typeEbEEZZNS1_14partition_implILS5_6ELb0ES3_mN6thrust23THRUST_200600_302600_NS6detail15normal_iteratorINSA_10device_ptrIjEEEEPS6_SG_NS0_5tupleIJSF_S6_EEENSH_IJSG_SG_EEES6_PlJNSB_9not_fun_tI7is_evenIjEEEEEE10hipError_tPvRmT3_T4_T5_T6_T7_T9_mT8_P12ihipStream_tbDpT10_ENKUlT_T0_E_clISt17integral_constantIbLb0EES17_IbLb1EEEEDaS13_S14_EUlS13_E_NS1_11comp_targetILNS1_3genE5ELNS1_11target_archE942ELNS1_3gpuE9ELNS1_3repE0EEENS1_30default_config_static_selectorELNS0_4arch9wavefront6targetE0EEEvT1_.kd
    .uniform_work_group_size: 1
    .uses_dynamic_stack: false
    .vgpr_count:     0
    .vgpr_spill_count: 0
    .wavefront_size: 32
    .workgroup_processor_mode: 1
  - .args:
      - .offset:         0
        .size:           128
        .value_kind:     by_value
    .group_segment_fixed_size: 0
    .kernarg_segment_align: 8
    .kernarg_segment_size: 128
    .language:       OpenCL C
    .language_version:
      - 2
      - 0
    .max_flat_workgroup_size: 512
    .name:           _ZN7rocprim17ROCPRIM_400000_NS6detail17trampoline_kernelINS0_14default_configENS1_25partition_config_selectorILNS1_17partition_subalgoE6EjNS0_10empty_typeEbEEZZNS1_14partition_implILS5_6ELb0ES3_mN6thrust23THRUST_200600_302600_NS6detail15normal_iteratorINSA_10device_ptrIjEEEEPS6_SG_NS0_5tupleIJSF_S6_EEENSH_IJSG_SG_EEES6_PlJNSB_9not_fun_tI7is_evenIjEEEEEE10hipError_tPvRmT3_T4_T5_T6_T7_T9_mT8_P12ihipStream_tbDpT10_ENKUlT_T0_E_clISt17integral_constantIbLb0EES17_IbLb1EEEEDaS13_S14_EUlS13_E_NS1_11comp_targetILNS1_3genE4ELNS1_11target_archE910ELNS1_3gpuE8ELNS1_3repE0EEENS1_30default_config_static_selectorELNS0_4arch9wavefront6targetE0EEEvT1_
    .private_segment_fixed_size: 0
    .sgpr_count:     0
    .sgpr_spill_count: 0
    .symbol:         _ZN7rocprim17ROCPRIM_400000_NS6detail17trampoline_kernelINS0_14default_configENS1_25partition_config_selectorILNS1_17partition_subalgoE6EjNS0_10empty_typeEbEEZZNS1_14partition_implILS5_6ELb0ES3_mN6thrust23THRUST_200600_302600_NS6detail15normal_iteratorINSA_10device_ptrIjEEEEPS6_SG_NS0_5tupleIJSF_S6_EEENSH_IJSG_SG_EEES6_PlJNSB_9not_fun_tI7is_evenIjEEEEEE10hipError_tPvRmT3_T4_T5_T6_T7_T9_mT8_P12ihipStream_tbDpT10_ENKUlT_T0_E_clISt17integral_constantIbLb0EES17_IbLb1EEEEDaS13_S14_EUlS13_E_NS1_11comp_targetILNS1_3genE4ELNS1_11target_archE910ELNS1_3gpuE8ELNS1_3repE0EEENS1_30default_config_static_selectorELNS0_4arch9wavefront6targetE0EEEvT1_.kd
    .uniform_work_group_size: 1
    .uses_dynamic_stack: false
    .vgpr_count:     0
    .vgpr_spill_count: 0
    .wavefront_size: 32
    .workgroup_processor_mode: 1
  - .args:
      - .offset:         0
        .size:           128
        .value_kind:     by_value
    .group_segment_fixed_size: 0
    .kernarg_segment_align: 8
    .kernarg_segment_size: 128
    .language:       OpenCL C
    .language_version:
      - 2
      - 0
    .max_flat_workgroup_size: 256
    .name:           _ZN7rocprim17ROCPRIM_400000_NS6detail17trampoline_kernelINS0_14default_configENS1_25partition_config_selectorILNS1_17partition_subalgoE6EjNS0_10empty_typeEbEEZZNS1_14partition_implILS5_6ELb0ES3_mN6thrust23THRUST_200600_302600_NS6detail15normal_iteratorINSA_10device_ptrIjEEEEPS6_SG_NS0_5tupleIJSF_S6_EEENSH_IJSG_SG_EEES6_PlJNSB_9not_fun_tI7is_evenIjEEEEEE10hipError_tPvRmT3_T4_T5_T6_T7_T9_mT8_P12ihipStream_tbDpT10_ENKUlT_T0_E_clISt17integral_constantIbLb0EES17_IbLb1EEEEDaS13_S14_EUlS13_E_NS1_11comp_targetILNS1_3genE3ELNS1_11target_archE908ELNS1_3gpuE7ELNS1_3repE0EEENS1_30default_config_static_selectorELNS0_4arch9wavefront6targetE0EEEvT1_
    .private_segment_fixed_size: 0
    .sgpr_count:     0
    .sgpr_spill_count: 0
    .symbol:         _ZN7rocprim17ROCPRIM_400000_NS6detail17trampoline_kernelINS0_14default_configENS1_25partition_config_selectorILNS1_17partition_subalgoE6EjNS0_10empty_typeEbEEZZNS1_14partition_implILS5_6ELb0ES3_mN6thrust23THRUST_200600_302600_NS6detail15normal_iteratorINSA_10device_ptrIjEEEEPS6_SG_NS0_5tupleIJSF_S6_EEENSH_IJSG_SG_EEES6_PlJNSB_9not_fun_tI7is_evenIjEEEEEE10hipError_tPvRmT3_T4_T5_T6_T7_T9_mT8_P12ihipStream_tbDpT10_ENKUlT_T0_E_clISt17integral_constantIbLb0EES17_IbLb1EEEEDaS13_S14_EUlS13_E_NS1_11comp_targetILNS1_3genE3ELNS1_11target_archE908ELNS1_3gpuE7ELNS1_3repE0EEENS1_30default_config_static_selectorELNS0_4arch9wavefront6targetE0EEEvT1_.kd
    .uniform_work_group_size: 1
    .uses_dynamic_stack: false
    .vgpr_count:     0
    .vgpr_spill_count: 0
    .wavefront_size: 32
    .workgroup_processor_mode: 1
  - .args:
      - .offset:         0
        .size:           128
        .value_kind:     by_value
    .group_segment_fixed_size: 0
    .kernarg_segment_align: 8
    .kernarg_segment_size: 128
    .language:       OpenCL C
    .language_version:
      - 2
      - 0
    .max_flat_workgroup_size: 192
    .name:           _ZN7rocprim17ROCPRIM_400000_NS6detail17trampoline_kernelINS0_14default_configENS1_25partition_config_selectorILNS1_17partition_subalgoE6EjNS0_10empty_typeEbEEZZNS1_14partition_implILS5_6ELb0ES3_mN6thrust23THRUST_200600_302600_NS6detail15normal_iteratorINSA_10device_ptrIjEEEEPS6_SG_NS0_5tupleIJSF_S6_EEENSH_IJSG_SG_EEES6_PlJNSB_9not_fun_tI7is_evenIjEEEEEE10hipError_tPvRmT3_T4_T5_T6_T7_T9_mT8_P12ihipStream_tbDpT10_ENKUlT_T0_E_clISt17integral_constantIbLb0EES17_IbLb1EEEEDaS13_S14_EUlS13_E_NS1_11comp_targetILNS1_3genE2ELNS1_11target_archE906ELNS1_3gpuE6ELNS1_3repE0EEENS1_30default_config_static_selectorELNS0_4arch9wavefront6targetE0EEEvT1_
    .private_segment_fixed_size: 0
    .sgpr_count:     0
    .sgpr_spill_count: 0
    .symbol:         _ZN7rocprim17ROCPRIM_400000_NS6detail17trampoline_kernelINS0_14default_configENS1_25partition_config_selectorILNS1_17partition_subalgoE6EjNS0_10empty_typeEbEEZZNS1_14partition_implILS5_6ELb0ES3_mN6thrust23THRUST_200600_302600_NS6detail15normal_iteratorINSA_10device_ptrIjEEEEPS6_SG_NS0_5tupleIJSF_S6_EEENSH_IJSG_SG_EEES6_PlJNSB_9not_fun_tI7is_evenIjEEEEEE10hipError_tPvRmT3_T4_T5_T6_T7_T9_mT8_P12ihipStream_tbDpT10_ENKUlT_T0_E_clISt17integral_constantIbLb0EES17_IbLb1EEEEDaS13_S14_EUlS13_E_NS1_11comp_targetILNS1_3genE2ELNS1_11target_archE906ELNS1_3gpuE6ELNS1_3repE0EEENS1_30default_config_static_selectorELNS0_4arch9wavefront6targetE0EEEvT1_.kd
    .uniform_work_group_size: 1
    .uses_dynamic_stack: false
    .vgpr_count:     0
    .vgpr_spill_count: 0
    .wavefront_size: 32
    .workgroup_processor_mode: 1
  - .args:
      - .offset:         0
        .size:           128
        .value_kind:     by_value
    .group_segment_fixed_size: 10768
    .kernarg_segment_align: 8
    .kernarg_segment_size: 128
    .language:       OpenCL C
    .language_version:
      - 2
      - 0
    .max_flat_workgroup_size: 384
    .name:           _ZN7rocprim17ROCPRIM_400000_NS6detail17trampoline_kernelINS0_14default_configENS1_25partition_config_selectorILNS1_17partition_subalgoE6EjNS0_10empty_typeEbEEZZNS1_14partition_implILS5_6ELb0ES3_mN6thrust23THRUST_200600_302600_NS6detail15normal_iteratorINSA_10device_ptrIjEEEEPS6_SG_NS0_5tupleIJSF_S6_EEENSH_IJSG_SG_EEES6_PlJNSB_9not_fun_tI7is_evenIjEEEEEE10hipError_tPvRmT3_T4_T5_T6_T7_T9_mT8_P12ihipStream_tbDpT10_ENKUlT_T0_E_clISt17integral_constantIbLb0EES17_IbLb1EEEEDaS13_S14_EUlS13_E_NS1_11comp_targetILNS1_3genE10ELNS1_11target_archE1200ELNS1_3gpuE4ELNS1_3repE0EEENS1_30default_config_static_selectorELNS0_4arch9wavefront6targetE0EEEvT1_
    .private_segment_fixed_size: 0
    .sgpr_count:     22
    .sgpr_spill_count: 0
    .symbol:         _ZN7rocprim17ROCPRIM_400000_NS6detail17trampoline_kernelINS0_14default_configENS1_25partition_config_selectorILNS1_17partition_subalgoE6EjNS0_10empty_typeEbEEZZNS1_14partition_implILS5_6ELb0ES3_mN6thrust23THRUST_200600_302600_NS6detail15normal_iteratorINSA_10device_ptrIjEEEEPS6_SG_NS0_5tupleIJSF_S6_EEENSH_IJSG_SG_EEES6_PlJNSB_9not_fun_tI7is_evenIjEEEEEE10hipError_tPvRmT3_T4_T5_T6_T7_T9_mT8_P12ihipStream_tbDpT10_ENKUlT_T0_E_clISt17integral_constantIbLb0EES17_IbLb1EEEEDaS13_S14_EUlS13_E_NS1_11comp_targetILNS1_3genE10ELNS1_11target_archE1200ELNS1_3gpuE4ELNS1_3repE0EEENS1_30default_config_static_selectorELNS0_4arch9wavefront6targetE0EEEvT1_.kd
    .uniform_work_group_size: 1
    .uses_dynamic_stack: false
    .vgpr_count:     52
    .vgpr_spill_count: 0
    .wavefront_size: 32
    .workgroup_processor_mode: 1
  - .args:
      - .offset:         0
        .size:           128
        .value_kind:     by_value
    .group_segment_fixed_size: 0
    .kernarg_segment_align: 8
    .kernarg_segment_size: 128
    .language:       OpenCL C
    .language_version:
      - 2
      - 0
    .max_flat_workgroup_size: 128
    .name:           _ZN7rocprim17ROCPRIM_400000_NS6detail17trampoline_kernelINS0_14default_configENS1_25partition_config_selectorILNS1_17partition_subalgoE6EjNS0_10empty_typeEbEEZZNS1_14partition_implILS5_6ELb0ES3_mN6thrust23THRUST_200600_302600_NS6detail15normal_iteratorINSA_10device_ptrIjEEEEPS6_SG_NS0_5tupleIJSF_S6_EEENSH_IJSG_SG_EEES6_PlJNSB_9not_fun_tI7is_evenIjEEEEEE10hipError_tPvRmT3_T4_T5_T6_T7_T9_mT8_P12ihipStream_tbDpT10_ENKUlT_T0_E_clISt17integral_constantIbLb0EES17_IbLb1EEEEDaS13_S14_EUlS13_E_NS1_11comp_targetILNS1_3genE9ELNS1_11target_archE1100ELNS1_3gpuE3ELNS1_3repE0EEENS1_30default_config_static_selectorELNS0_4arch9wavefront6targetE0EEEvT1_
    .private_segment_fixed_size: 0
    .sgpr_count:     0
    .sgpr_spill_count: 0
    .symbol:         _ZN7rocprim17ROCPRIM_400000_NS6detail17trampoline_kernelINS0_14default_configENS1_25partition_config_selectorILNS1_17partition_subalgoE6EjNS0_10empty_typeEbEEZZNS1_14partition_implILS5_6ELb0ES3_mN6thrust23THRUST_200600_302600_NS6detail15normal_iteratorINSA_10device_ptrIjEEEEPS6_SG_NS0_5tupleIJSF_S6_EEENSH_IJSG_SG_EEES6_PlJNSB_9not_fun_tI7is_evenIjEEEEEE10hipError_tPvRmT3_T4_T5_T6_T7_T9_mT8_P12ihipStream_tbDpT10_ENKUlT_T0_E_clISt17integral_constantIbLb0EES17_IbLb1EEEEDaS13_S14_EUlS13_E_NS1_11comp_targetILNS1_3genE9ELNS1_11target_archE1100ELNS1_3gpuE3ELNS1_3repE0EEENS1_30default_config_static_selectorELNS0_4arch9wavefront6targetE0EEEvT1_.kd
    .uniform_work_group_size: 1
    .uses_dynamic_stack: false
    .vgpr_count:     0
    .vgpr_spill_count: 0
    .wavefront_size: 32
    .workgroup_processor_mode: 1
  - .args:
      - .offset:         0
        .size:           128
        .value_kind:     by_value
    .group_segment_fixed_size: 0
    .kernarg_segment_align: 8
    .kernarg_segment_size: 128
    .language:       OpenCL C
    .language_version:
      - 2
      - 0
    .max_flat_workgroup_size: 512
    .name:           _ZN7rocprim17ROCPRIM_400000_NS6detail17trampoline_kernelINS0_14default_configENS1_25partition_config_selectorILNS1_17partition_subalgoE6EjNS0_10empty_typeEbEEZZNS1_14partition_implILS5_6ELb0ES3_mN6thrust23THRUST_200600_302600_NS6detail15normal_iteratorINSA_10device_ptrIjEEEEPS6_SG_NS0_5tupleIJSF_S6_EEENSH_IJSG_SG_EEES6_PlJNSB_9not_fun_tI7is_evenIjEEEEEE10hipError_tPvRmT3_T4_T5_T6_T7_T9_mT8_P12ihipStream_tbDpT10_ENKUlT_T0_E_clISt17integral_constantIbLb0EES17_IbLb1EEEEDaS13_S14_EUlS13_E_NS1_11comp_targetILNS1_3genE8ELNS1_11target_archE1030ELNS1_3gpuE2ELNS1_3repE0EEENS1_30default_config_static_selectorELNS0_4arch9wavefront6targetE0EEEvT1_
    .private_segment_fixed_size: 0
    .sgpr_count:     0
    .sgpr_spill_count: 0
    .symbol:         _ZN7rocprim17ROCPRIM_400000_NS6detail17trampoline_kernelINS0_14default_configENS1_25partition_config_selectorILNS1_17partition_subalgoE6EjNS0_10empty_typeEbEEZZNS1_14partition_implILS5_6ELb0ES3_mN6thrust23THRUST_200600_302600_NS6detail15normal_iteratorINSA_10device_ptrIjEEEEPS6_SG_NS0_5tupleIJSF_S6_EEENSH_IJSG_SG_EEES6_PlJNSB_9not_fun_tI7is_evenIjEEEEEE10hipError_tPvRmT3_T4_T5_T6_T7_T9_mT8_P12ihipStream_tbDpT10_ENKUlT_T0_E_clISt17integral_constantIbLb0EES17_IbLb1EEEEDaS13_S14_EUlS13_E_NS1_11comp_targetILNS1_3genE8ELNS1_11target_archE1030ELNS1_3gpuE2ELNS1_3repE0EEENS1_30default_config_static_selectorELNS0_4arch9wavefront6targetE0EEEvT1_.kd
    .uniform_work_group_size: 1
    .uses_dynamic_stack: false
    .vgpr_count:     0
    .vgpr_spill_count: 0
    .wavefront_size: 32
    .workgroup_processor_mode: 1
  - .args:
      - .offset:         0
        .size:           112
        .value_kind:     by_value
    .group_segment_fixed_size: 0
    .kernarg_segment_align: 8
    .kernarg_segment_size: 112
    .language:       OpenCL C
    .language_version:
      - 2
      - 0
    .max_flat_workgroup_size: 256
    .name:           _ZN7rocprim17ROCPRIM_400000_NS6detail17trampoline_kernelINS0_14default_configENS1_25partition_config_selectorILNS1_17partition_subalgoE6EtNS0_10empty_typeEbEEZZNS1_14partition_implILS5_6ELb0ES3_mN6thrust23THRUST_200600_302600_NS6detail15normal_iteratorINSA_10device_ptrItEEEEPS6_SG_NS0_5tupleIJSF_S6_EEENSH_IJSG_SG_EEES6_PlJNSB_9not_fun_tI7is_evenItEEEEEE10hipError_tPvRmT3_T4_T5_T6_T7_T9_mT8_P12ihipStream_tbDpT10_ENKUlT_T0_E_clISt17integral_constantIbLb0EES18_EEDaS13_S14_EUlS13_E_NS1_11comp_targetILNS1_3genE0ELNS1_11target_archE4294967295ELNS1_3gpuE0ELNS1_3repE0EEENS1_30default_config_static_selectorELNS0_4arch9wavefront6targetE0EEEvT1_
    .private_segment_fixed_size: 0
    .sgpr_count:     0
    .sgpr_spill_count: 0
    .symbol:         _ZN7rocprim17ROCPRIM_400000_NS6detail17trampoline_kernelINS0_14default_configENS1_25partition_config_selectorILNS1_17partition_subalgoE6EtNS0_10empty_typeEbEEZZNS1_14partition_implILS5_6ELb0ES3_mN6thrust23THRUST_200600_302600_NS6detail15normal_iteratorINSA_10device_ptrItEEEEPS6_SG_NS0_5tupleIJSF_S6_EEENSH_IJSG_SG_EEES6_PlJNSB_9not_fun_tI7is_evenItEEEEEE10hipError_tPvRmT3_T4_T5_T6_T7_T9_mT8_P12ihipStream_tbDpT10_ENKUlT_T0_E_clISt17integral_constantIbLb0EES18_EEDaS13_S14_EUlS13_E_NS1_11comp_targetILNS1_3genE0ELNS1_11target_archE4294967295ELNS1_3gpuE0ELNS1_3repE0EEENS1_30default_config_static_selectorELNS0_4arch9wavefront6targetE0EEEvT1_.kd
    .uniform_work_group_size: 1
    .uses_dynamic_stack: false
    .vgpr_count:     0
    .vgpr_spill_count: 0
    .wavefront_size: 32
    .workgroup_processor_mode: 1
  - .args:
      - .offset:         0
        .size:           112
        .value_kind:     by_value
    .group_segment_fixed_size: 0
    .kernarg_segment_align: 8
    .kernarg_segment_size: 112
    .language:       OpenCL C
    .language_version:
      - 2
      - 0
    .max_flat_workgroup_size: 512
    .name:           _ZN7rocprim17ROCPRIM_400000_NS6detail17trampoline_kernelINS0_14default_configENS1_25partition_config_selectorILNS1_17partition_subalgoE6EtNS0_10empty_typeEbEEZZNS1_14partition_implILS5_6ELb0ES3_mN6thrust23THRUST_200600_302600_NS6detail15normal_iteratorINSA_10device_ptrItEEEEPS6_SG_NS0_5tupleIJSF_S6_EEENSH_IJSG_SG_EEES6_PlJNSB_9not_fun_tI7is_evenItEEEEEE10hipError_tPvRmT3_T4_T5_T6_T7_T9_mT8_P12ihipStream_tbDpT10_ENKUlT_T0_E_clISt17integral_constantIbLb0EES18_EEDaS13_S14_EUlS13_E_NS1_11comp_targetILNS1_3genE5ELNS1_11target_archE942ELNS1_3gpuE9ELNS1_3repE0EEENS1_30default_config_static_selectorELNS0_4arch9wavefront6targetE0EEEvT1_
    .private_segment_fixed_size: 0
    .sgpr_count:     0
    .sgpr_spill_count: 0
    .symbol:         _ZN7rocprim17ROCPRIM_400000_NS6detail17trampoline_kernelINS0_14default_configENS1_25partition_config_selectorILNS1_17partition_subalgoE6EtNS0_10empty_typeEbEEZZNS1_14partition_implILS5_6ELb0ES3_mN6thrust23THRUST_200600_302600_NS6detail15normal_iteratorINSA_10device_ptrItEEEEPS6_SG_NS0_5tupleIJSF_S6_EEENSH_IJSG_SG_EEES6_PlJNSB_9not_fun_tI7is_evenItEEEEEE10hipError_tPvRmT3_T4_T5_T6_T7_T9_mT8_P12ihipStream_tbDpT10_ENKUlT_T0_E_clISt17integral_constantIbLb0EES18_EEDaS13_S14_EUlS13_E_NS1_11comp_targetILNS1_3genE5ELNS1_11target_archE942ELNS1_3gpuE9ELNS1_3repE0EEENS1_30default_config_static_selectorELNS0_4arch9wavefront6targetE0EEEvT1_.kd
    .uniform_work_group_size: 1
    .uses_dynamic_stack: false
    .vgpr_count:     0
    .vgpr_spill_count: 0
    .wavefront_size: 32
    .workgroup_processor_mode: 1
  - .args:
      - .offset:         0
        .size:           112
        .value_kind:     by_value
    .group_segment_fixed_size: 0
    .kernarg_segment_align: 8
    .kernarg_segment_size: 112
    .language:       OpenCL C
    .language_version:
      - 2
      - 0
    .max_flat_workgroup_size: 256
    .name:           _ZN7rocprim17ROCPRIM_400000_NS6detail17trampoline_kernelINS0_14default_configENS1_25partition_config_selectorILNS1_17partition_subalgoE6EtNS0_10empty_typeEbEEZZNS1_14partition_implILS5_6ELb0ES3_mN6thrust23THRUST_200600_302600_NS6detail15normal_iteratorINSA_10device_ptrItEEEEPS6_SG_NS0_5tupleIJSF_S6_EEENSH_IJSG_SG_EEES6_PlJNSB_9not_fun_tI7is_evenItEEEEEE10hipError_tPvRmT3_T4_T5_T6_T7_T9_mT8_P12ihipStream_tbDpT10_ENKUlT_T0_E_clISt17integral_constantIbLb0EES18_EEDaS13_S14_EUlS13_E_NS1_11comp_targetILNS1_3genE4ELNS1_11target_archE910ELNS1_3gpuE8ELNS1_3repE0EEENS1_30default_config_static_selectorELNS0_4arch9wavefront6targetE0EEEvT1_
    .private_segment_fixed_size: 0
    .sgpr_count:     0
    .sgpr_spill_count: 0
    .symbol:         _ZN7rocprim17ROCPRIM_400000_NS6detail17trampoline_kernelINS0_14default_configENS1_25partition_config_selectorILNS1_17partition_subalgoE6EtNS0_10empty_typeEbEEZZNS1_14partition_implILS5_6ELb0ES3_mN6thrust23THRUST_200600_302600_NS6detail15normal_iteratorINSA_10device_ptrItEEEEPS6_SG_NS0_5tupleIJSF_S6_EEENSH_IJSG_SG_EEES6_PlJNSB_9not_fun_tI7is_evenItEEEEEE10hipError_tPvRmT3_T4_T5_T6_T7_T9_mT8_P12ihipStream_tbDpT10_ENKUlT_T0_E_clISt17integral_constantIbLb0EES18_EEDaS13_S14_EUlS13_E_NS1_11comp_targetILNS1_3genE4ELNS1_11target_archE910ELNS1_3gpuE8ELNS1_3repE0EEENS1_30default_config_static_selectorELNS0_4arch9wavefront6targetE0EEEvT1_.kd
    .uniform_work_group_size: 1
    .uses_dynamic_stack: false
    .vgpr_count:     0
    .vgpr_spill_count: 0
    .wavefront_size: 32
    .workgroup_processor_mode: 1
  - .args:
      - .offset:         0
        .size:           112
        .value_kind:     by_value
    .group_segment_fixed_size: 0
    .kernarg_segment_align: 8
    .kernarg_segment_size: 112
    .language:       OpenCL C
    .language_version:
      - 2
      - 0
    .max_flat_workgroup_size: 256
    .name:           _ZN7rocprim17ROCPRIM_400000_NS6detail17trampoline_kernelINS0_14default_configENS1_25partition_config_selectorILNS1_17partition_subalgoE6EtNS0_10empty_typeEbEEZZNS1_14partition_implILS5_6ELb0ES3_mN6thrust23THRUST_200600_302600_NS6detail15normal_iteratorINSA_10device_ptrItEEEEPS6_SG_NS0_5tupleIJSF_S6_EEENSH_IJSG_SG_EEES6_PlJNSB_9not_fun_tI7is_evenItEEEEEE10hipError_tPvRmT3_T4_T5_T6_T7_T9_mT8_P12ihipStream_tbDpT10_ENKUlT_T0_E_clISt17integral_constantIbLb0EES18_EEDaS13_S14_EUlS13_E_NS1_11comp_targetILNS1_3genE3ELNS1_11target_archE908ELNS1_3gpuE7ELNS1_3repE0EEENS1_30default_config_static_selectorELNS0_4arch9wavefront6targetE0EEEvT1_
    .private_segment_fixed_size: 0
    .sgpr_count:     0
    .sgpr_spill_count: 0
    .symbol:         _ZN7rocprim17ROCPRIM_400000_NS6detail17trampoline_kernelINS0_14default_configENS1_25partition_config_selectorILNS1_17partition_subalgoE6EtNS0_10empty_typeEbEEZZNS1_14partition_implILS5_6ELb0ES3_mN6thrust23THRUST_200600_302600_NS6detail15normal_iteratorINSA_10device_ptrItEEEEPS6_SG_NS0_5tupleIJSF_S6_EEENSH_IJSG_SG_EEES6_PlJNSB_9not_fun_tI7is_evenItEEEEEE10hipError_tPvRmT3_T4_T5_T6_T7_T9_mT8_P12ihipStream_tbDpT10_ENKUlT_T0_E_clISt17integral_constantIbLb0EES18_EEDaS13_S14_EUlS13_E_NS1_11comp_targetILNS1_3genE3ELNS1_11target_archE908ELNS1_3gpuE7ELNS1_3repE0EEENS1_30default_config_static_selectorELNS0_4arch9wavefront6targetE0EEEvT1_.kd
    .uniform_work_group_size: 1
    .uses_dynamic_stack: false
    .vgpr_count:     0
    .vgpr_spill_count: 0
    .wavefront_size: 32
    .workgroup_processor_mode: 1
  - .args:
      - .offset:         0
        .size:           112
        .value_kind:     by_value
    .group_segment_fixed_size: 0
    .kernarg_segment_align: 8
    .kernarg_segment_size: 112
    .language:       OpenCL C
    .language_version:
      - 2
      - 0
    .max_flat_workgroup_size: 256
    .name:           _ZN7rocprim17ROCPRIM_400000_NS6detail17trampoline_kernelINS0_14default_configENS1_25partition_config_selectorILNS1_17partition_subalgoE6EtNS0_10empty_typeEbEEZZNS1_14partition_implILS5_6ELb0ES3_mN6thrust23THRUST_200600_302600_NS6detail15normal_iteratorINSA_10device_ptrItEEEEPS6_SG_NS0_5tupleIJSF_S6_EEENSH_IJSG_SG_EEES6_PlJNSB_9not_fun_tI7is_evenItEEEEEE10hipError_tPvRmT3_T4_T5_T6_T7_T9_mT8_P12ihipStream_tbDpT10_ENKUlT_T0_E_clISt17integral_constantIbLb0EES18_EEDaS13_S14_EUlS13_E_NS1_11comp_targetILNS1_3genE2ELNS1_11target_archE906ELNS1_3gpuE6ELNS1_3repE0EEENS1_30default_config_static_selectorELNS0_4arch9wavefront6targetE0EEEvT1_
    .private_segment_fixed_size: 0
    .sgpr_count:     0
    .sgpr_spill_count: 0
    .symbol:         _ZN7rocprim17ROCPRIM_400000_NS6detail17trampoline_kernelINS0_14default_configENS1_25partition_config_selectorILNS1_17partition_subalgoE6EtNS0_10empty_typeEbEEZZNS1_14partition_implILS5_6ELb0ES3_mN6thrust23THRUST_200600_302600_NS6detail15normal_iteratorINSA_10device_ptrItEEEEPS6_SG_NS0_5tupleIJSF_S6_EEENSH_IJSG_SG_EEES6_PlJNSB_9not_fun_tI7is_evenItEEEEEE10hipError_tPvRmT3_T4_T5_T6_T7_T9_mT8_P12ihipStream_tbDpT10_ENKUlT_T0_E_clISt17integral_constantIbLb0EES18_EEDaS13_S14_EUlS13_E_NS1_11comp_targetILNS1_3genE2ELNS1_11target_archE906ELNS1_3gpuE6ELNS1_3repE0EEENS1_30default_config_static_selectorELNS0_4arch9wavefront6targetE0EEEvT1_.kd
    .uniform_work_group_size: 1
    .uses_dynamic_stack: false
    .vgpr_count:     0
    .vgpr_spill_count: 0
    .wavefront_size: 32
    .workgroup_processor_mode: 1
  - .args:
      - .offset:         0
        .size:           112
        .value_kind:     by_value
    .group_segment_fixed_size: 13840
    .kernarg_segment_align: 8
    .kernarg_segment_size: 112
    .language:       OpenCL C
    .language_version:
      - 2
      - 0
    .max_flat_workgroup_size: 384
    .name:           _ZN7rocprim17ROCPRIM_400000_NS6detail17trampoline_kernelINS0_14default_configENS1_25partition_config_selectorILNS1_17partition_subalgoE6EtNS0_10empty_typeEbEEZZNS1_14partition_implILS5_6ELb0ES3_mN6thrust23THRUST_200600_302600_NS6detail15normal_iteratorINSA_10device_ptrItEEEEPS6_SG_NS0_5tupleIJSF_S6_EEENSH_IJSG_SG_EEES6_PlJNSB_9not_fun_tI7is_evenItEEEEEE10hipError_tPvRmT3_T4_T5_T6_T7_T9_mT8_P12ihipStream_tbDpT10_ENKUlT_T0_E_clISt17integral_constantIbLb0EES18_EEDaS13_S14_EUlS13_E_NS1_11comp_targetILNS1_3genE10ELNS1_11target_archE1200ELNS1_3gpuE4ELNS1_3repE0EEENS1_30default_config_static_selectorELNS0_4arch9wavefront6targetE0EEEvT1_
    .private_segment_fixed_size: 0
    .sgpr_count:     21
    .sgpr_spill_count: 0
    .symbol:         _ZN7rocprim17ROCPRIM_400000_NS6detail17trampoline_kernelINS0_14default_configENS1_25partition_config_selectorILNS1_17partition_subalgoE6EtNS0_10empty_typeEbEEZZNS1_14partition_implILS5_6ELb0ES3_mN6thrust23THRUST_200600_302600_NS6detail15normal_iteratorINSA_10device_ptrItEEEEPS6_SG_NS0_5tupleIJSF_S6_EEENSH_IJSG_SG_EEES6_PlJNSB_9not_fun_tI7is_evenItEEEEEE10hipError_tPvRmT3_T4_T5_T6_T7_T9_mT8_P12ihipStream_tbDpT10_ENKUlT_T0_E_clISt17integral_constantIbLb0EES18_EEDaS13_S14_EUlS13_E_NS1_11comp_targetILNS1_3genE10ELNS1_11target_archE1200ELNS1_3gpuE4ELNS1_3repE0EEENS1_30default_config_static_selectorELNS0_4arch9wavefront6targetE0EEEvT1_.kd
    .uniform_work_group_size: 1
    .uses_dynamic_stack: false
    .vgpr_count:     73
    .vgpr_spill_count: 0
    .wavefront_size: 32
    .workgroup_processor_mode: 1
  - .args:
      - .offset:         0
        .size:           112
        .value_kind:     by_value
    .group_segment_fixed_size: 0
    .kernarg_segment_align: 8
    .kernarg_segment_size: 112
    .language:       OpenCL C
    .language_version:
      - 2
      - 0
    .max_flat_workgroup_size: 128
    .name:           _ZN7rocprim17ROCPRIM_400000_NS6detail17trampoline_kernelINS0_14default_configENS1_25partition_config_selectorILNS1_17partition_subalgoE6EtNS0_10empty_typeEbEEZZNS1_14partition_implILS5_6ELb0ES3_mN6thrust23THRUST_200600_302600_NS6detail15normal_iteratorINSA_10device_ptrItEEEEPS6_SG_NS0_5tupleIJSF_S6_EEENSH_IJSG_SG_EEES6_PlJNSB_9not_fun_tI7is_evenItEEEEEE10hipError_tPvRmT3_T4_T5_T6_T7_T9_mT8_P12ihipStream_tbDpT10_ENKUlT_T0_E_clISt17integral_constantIbLb0EES18_EEDaS13_S14_EUlS13_E_NS1_11comp_targetILNS1_3genE9ELNS1_11target_archE1100ELNS1_3gpuE3ELNS1_3repE0EEENS1_30default_config_static_selectorELNS0_4arch9wavefront6targetE0EEEvT1_
    .private_segment_fixed_size: 0
    .sgpr_count:     0
    .sgpr_spill_count: 0
    .symbol:         _ZN7rocprim17ROCPRIM_400000_NS6detail17trampoline_kernelINS0_14default_configENS1_25partition_config_selectorILNS1_17partition_subalgoE6EtNS0_10empty_typeEbEEZZNS1_14partition_implILS5_6ELb0ES3_mN6thrust23THRUST_200600_302600_NS6detail15normal_iteratorINSA_10device_ptrItEEEEPS6_SG_NS0_5tupleIJSF_S6_EEENSH_IJSG_SG_EEES6_PlJNSB_9not_fun_tI7is_evenItEEEEEE10hipError_tPvRmT3_T4_T5_T6_T7_T9_mT8_P12ihipStream_tbDpT10_ENKUlT_T0_E_clISt17integral_constantIbLb0EES18_EEDaS13_S14_EUlS13_E_NS1_11comp_targetILNS1_3genE9ELNS1_11target_archE1100ELNS1_3gpuE3ELNS1_3repE0EEENS1_30default_config_static_selectorELNS0_4arch9wavefront6targetE0EEEvT1_.kd
    .uniform_work_group_size: 1
    .uses_dynamic_stack: false
    .vgpr_count:     0
    .vgpr_spill_count: 0
    .wavefront_size: 32
    .workgroup_processor_mode: 1
  - .args:
      - .offset:         0
        .size:           112
        .value_kind:     by_value
    .group_segment_fixed_size: 0
    .kernarg_segment_align: 8
    .kernarg_segment_size: 112
    .language:       OpenCL C
    .language_version:
      - 2
      - 0
    .max_flat_workgroup_size: 256
    .name:           _ZN7rocprim17ROCPRIM_400000_NS6detail17trampoline_kernelINS0_14default_configENS1_25partition_config_selectorILNS1_17partition_subalgoE6EtNS0_10empty_typeEbEEZZNS1_14partition_implILS5_6ELb0ES3_mN6thrust23THRUST_200600_302600_NS6detail15normal_iteratorINSA_10device_ptrItEEEEPS6_SG_NS0_5tupleIJSF_S6_EEENSH_IJSG_SG_EEES6_PlJNSB_9not_fun_tI7is_evenItEEEEEE10hipError_tPvRmT3_T4_T5_T6_T7_T9_mT8_P12ihipStream_tbDpT10_ENKUlT_T0_E_clISt17integral_constantIbLb0EES18_EEDaS13_S14_EUlS13_E_NS1_11comp_targetILNS1_3genE8ELNS1_11target_archE1030ELNS1_3gpuE2ELNS1_3repE0EEENS1_30default_config_static_selectorELNS0_4arch9wavefront6targetE0EEEvT1_
    .private_segment_fixed_size: 0
    .sgpr_count:     0
    .sgpr_spill_count: 0
    .symbol:         _ZN7rocprim17ROCPRIM_400000_NS6detail17trampoline_kernelINS0_14default_configENS1_25partition_config_selectorILNS1_17partition_subalgoE6EtNS0_10empty_typeEbEEZZNS1_14partition_implILS5_6ELb0ES3_mN6thrust23THRUST_200600_302600_NS6detail15normal_iteratorINSA_10device_ptrItEEEEPS6_SG_NS0_5tupleIJSF_S6_EEENSH_IJSG_SG_EEES6_PlJNSB_9not_fun_tI7is_evenItEEEEEE10hipError_tPvRmT3_T4_T5_T6_T7_T9_mT8_P12ihipStream_tbDpT10_ENKUlT_T0_E_clISt17integral_constantIbLb0EES18_EEDaS13_S14_EUlS13_E_NS1_11comp_targetILNS1_3genE8ELNS1_11target_archE1030ELNS1_3gpuE2ELNS1_3repE0EEENS1_30default_config_static_selectorELNS0_4arch9wavefront6targetE0EEEvT1_.kd
    .uniform_work_group_size: 1
    .uses_dynamic_stack: false
    .vgpr_count:     0
    .vgpr_spill_count: 0
    .wavefront_size: 32
    .workgroup_processor_mode: 1
  - .args:
      - .offset:         0
        .size:           128
        .value_kind:     by_value
    .group_segment_fixed_size: 0
    .kernarg_segment_align: 8
    .kernarg_segment_size: 128
    .language:       OpenCL C
    .language_version:
      - 2
      - 0
    .max_flat_workgroup_size: 256
    .name:           _ZN7rocprim17ROCPRIM_400000_NS6detail17trampoline_kernelINS0_14default_configENS1_25partition_config_selectorILNS1_17partition_subalgoE6EtNS0_10empty_typeEbEEZZNS1_14partition_implILS5_6ELb0ES3_mN6thrust23THRUST_200600_302600_NS6detail15normal_iteratorINSA_10device_ptrItEEEEPS6_SG_NS0_5tupleIJSF_S6_EEENSH_IJSG_SG_EEES6_PlJNSB_9not_fun_tI7is_evenItEEEEEE10hipError_tPvRmT3_T4_T5_T6_T7_T9_mT8_P12ihipStream_tbDpT10_ENKUlT_T0_E_clISt17integral_constantIbLb1EES18_EEDaS13_S14_EUlS13_E_NS1_11comp_targetILNS1_3genE0ELNS1_11target_archE4294967295ELNS1_3gpuE0ELNS1_3repE0EEENS1_30default_config_static_selectorELNS0_4arch9wavefront6targetE0EEEvT1_
    .private_segment_fixed_size: 0
    .sgpr_count:     0
    .sgpr_spill_count: 0
    .symbol:         _ZN7rocprim17ROCPRIM_400000_NS6detail17trampoline_kernelINS0_14default_configENS1_25partition_config_selectorILNS1_17partition_subalgoE6EtNS0_10empty_typeEbEEZZNS1_14partition_implILS5_6ELb0ES3_mN6thrust23THRUST_200600_302600_NS6detail15normal_iteratorINSA_10device_ptrItEEEEPS6_SG_NS0_5tupleIJSF_S6_EEENSH_IJSG_SG_EEES6_PlJNSB_9not_fun_tI7is_evenItEEEEEE10hipError_tPvRmT3_T4_T5_T6_T7_T9_mT8_P12ihipStream_tbDpT10_ENKUlT_T0_E_clISt17integral_constantIbLb1EES18_EEDaS13_S14_EUlS13_E_NS1_11comp_targetILNS1_3genE0ELNS1_11target_archE4294967295ELNS1_3gpuE0ELNS1_3repE0EEENS1_30default_config_static_selectorELNS0_4arch9wavefront6targetE0EEEvT1_.kd
    .uniform_work_group_size: 1
    .uses_dynamic_stack: false
    .vgpr_count:     0
    .vgpr_spill_count: 0
    .wavefront_size: 32
    .workgroup_processor_mode: 1
  - .args:
      - .offset:         0
        .size:           128
        .value_kind:     by_value
    .group_segment_fixed_size: 0
    .kernarg_segment_align: 8
    .kernarg_segment_size: 128
    .language:       OpenCL C
    .language_version:
      - 2
      - 0
    .max_flat_workgroup_size: 512
    .name:           _ZN7rocprim17ROCPRIM_400000_NS6detail17trampoline_kernelINS0_14default_configENS1_25partition_config_selectorILNS1_17partition_subalgoE6EtNS0_10empty_typeEbEEZZNS1_14partition_implILS5_6ELb0ES3_mN6thrust23THRUST_200600_302600_NS6detail15normal_iteratorINSA_10device_ptrItEEEEPS6_SG_NS0_5tupleIJSF_S6_EEENSH_IJSG_SG_EEES6_PlJNSB_9not_fun_tI7is_evenItEEEEEE10hipError_tPvRmT3_T4_T5_T6_T7_T9_mT8_P12ihipStream_tbDpT10_ENKUlT_T0_E_clISt17integral_constantIbLb1EES18_EEDaS13_S14_EUlS13_E_NS1_11comp_targetILNS1_3genE5ELNS1_11target_archE942ELNS1_3gpuE9ELNS1_3repE0EEENS1_30default_config_static_selectorELNS0_4arch9wavefront6targetE0EEEvT1_
    .private_segment_fixed_size: 0
    .sgpr_count:     0
    .sgpr_spill_count: 0
    .symbol:         _ZN7rocprim17ROCPRIM_400000_NS6detail17trampoline_kernelINS0_14default_configENS1_25partition_config_selectorILNS1_17partition_subalgoE6EtNS0_10empty_typeEbEEZZNS1_14partition_implILS5_6ELb0ES3_mN6thrust23THRUST_200600_302600_NS6detail15normal_iteratorINSA_10device_ptrItEEEEPS6_SG_NS0_5tupleIJSF_S6_EEENSH_IJSG_SG_EEES6_PlJNSB_9not_fun_tI7is_evenItEEEEEE10hipError_tPvRmT3_T4_T5_T6_T7_T9_mT8_P12ihipStream_tbDpT10_ENKUlT_T0_E_clISt17integral_constantIbLb1EES18_EEDaS13_S14_EUlS13_E_NS1_11comp_targetILNS1_3genE5ELNS1_11target_archE942ELNS1_3gpuE9ELNS1_3repE0EEENS1_30default_config_static_selectorELNS0_4arch9wavefront6targetE0EEEvT1_.kd
    .uniform_work_group_size: 1
    .uses_dynamic_stack: false
    .vgpr_count:     0
    .vgpr_spill_count: 0
    .wavefront_size: 32
    .workgroup_processor_mode: 1
  - .args:
      - .offset:         0
        .size:           128
        .value_kind:     by_value
    .group_segment_fixed_size: 0
    .kernarg_segment_align: 8
    .kernarg_segment_size: 128
    .language:       OpenCL C
    .language_version:
      - 2
      - 0
    .max_flat_workgroup_size: 256
    .name:           _ZN7rocprim17ROCPRIM_400000_NS6detail17trampoline_kernelINS0_14default_configENS1_25partition_config_selectorILNS1_17partition_subalgoE6EtNS0_10empty_typeEbEEZZNS1_14partition_implILS5_6ELb0ES3_mN6thrust23THRUST_200600_302600_NS6detail15normal_iteratorINSA_10device_ptrItEEEEPS6_SG_NS0_5tupleIJSF_S6_EEENSH_IJSG_SG_EEES6_PlJNSB_9not_fun_tI7is_evenItEEEEEE10hipError_tPvRmT3_T4_T5_T6_T7_T9_mT8_P12ihipStream_tbDpT10_ENKUlT_T0_E_clISt17integral_constantIbLb1EES18_EEDaS13_S14_EUlS13_E_NS1_11comp_targetILNS1_3genE4ELNS1_11target_archE910ELNS1_3gpuE8ELNS1_3repE0EEENS1_30default_config_static_selectorELNS0_4arch9wavefront6targetE0EEEvT1_
    .private_segment_fixed_size: 0
    .sgpr_count:     0
    .sgpr_spill_count: 0
    .symbol:         _ZN7rocprim17ROCPRIM_400000_NS6detail17trampoline_kernelINS0_14default_configENS1_25partition_config_selectorILNS1_17partition_subalgoE6EtNS0_10empty_typeEbEEZZNS1_14partition_implILS5_6ELb0ES3_mN6thrust23THRUST_200600_302600_NS6detail15normal_iteratorINSA_10device_ptrItEEEEPS6_SG_NS0_5tupleIJSF_S6_EEENSH_IJSG_SG_EEES6_PlJNSB_9not_fun_tI7is_evenItEEEEEE10hipError_tPvRmT3_T4_T5_T6_T7_T9_mT8_P12ihipStream_tbDpT10_ENKUlT_T0_E_clISt17integral_constantIbLb1EES18_EEDaS13_S14_EUlS13_E_NS1_11comp_targetILNS1_3genE4ELNS1_11target_archE910ELNS1_3gpuE8ELNS1_3repE0EEENS1_30default_config_static_selectorELNS0_4arch9wavefront6targetE0EEEvT1_.kd
    .uniform_work_group_size: 1
    .uses_dynamic_stack: false
    .vgpr_count:     0
    .vgpr_spill_count: 0
    .wavefront_size: 32
    .workgroup_processor_mode: 1
  - .args:
      - .offset:         0
        .size:           128
        .value_kind:     by_value
    .group_segment_fixed_size: 0
    .kernarg_segment_align: 8
    .kernarg_segment_size: 128
    .language:       OpenCL C
    .language_version:
      - 2
      - 0
    .max_flat_workgroup_size: 256
    .name:           _ZN7rocprim17ROCPRIM_400000_NS6detail17trampoline_kernelINS0_14default_configENS1_25partition_config_selectorILNS1_17partition_subalgoE6EtNS0_10empty_typeEbEEZZNS1_14partition_implILS5_6ELb0ES3_mN6thrust23THRUST_200600_302600_NS6detail15normal_iteratorINSA_10device_ptrItEEEEPS6_SG_NS0_5tupleIJSF_S6_EEENSH_IJSG_SG_EEES6_PlJNSB_9not_fun_tI7is_evenItEEEEEE10hipError_tPvRmT3_T4_T5_T6_T7_T9_mT8_P12ihipStream_tbDpT10_ENKUlT_T0_E_clISt17integral_constantIbLb1EES18_EEDaS13_S14_EUlS13_E_NS1_11comp_targetILNS1_3genE3ELNS1_11target_archE908ELNS1_3gpuE7ELNS1_3repE0EEENS1_30default_config_static_selectorELNS0_4arch9wavefront6targetE0EEEvT1_
    .private_segment_fixed_size: 0
    .sgpr_count:     0
    .sgpr_spill_count: 0
    .symbol:         _ZN7rocprim17ROCPRIM_400000_NS6detail17trampoline_kernelINS0_14default_configENS1_25partition_config_selectorILNS1_17partition_subalgoE6EtNS0_10empty_typeEbEEZZNS1_14partition_implILS5_6ELb0ES3_mN6thrust23THRUST_200600_302600_NS6detail15normal_iteratorINSA_10device_ptrItEEEEPS6_SG_NS0_5tupleIJSF_S6_EEENSH_IJSG_SG_EEES6_PlJNSB_9not_fun_tI7is_evenItEEEEEE10hipError_tPvRmT3_T4_T5_T6_T7_T9_mT8_P12ihipStream_tbDpT10_ENKUlT_T0_E_clISt17integral_constantIbLb1EES18_EEDaS13_S14_EUlS13_E_NS1_11comp_targetILNS1_3genE3ELNS1_11target_archE908ELNS1_3gpuE7ELNS1_3repE0EEENS1_30default_config_static_selectorELNS0_4arch9wavefront6targetE0EEEvT1_.kd
    .uniform_work_group_size: 1
    .uses_dynamic_stack: false
    .vgpr_count:     0
    .vgpr_spill_count: 0
    .wavefront_size: 32
    .workgroup_processor_mode: 1
  - .args:
      - .offset:         0
        .size:           128
        .value_kind:     by_value
    .group_segment_fixed_size: 0
    .kernarg_segment_align: 8
    .kernarg_segment_size: 128
    .language:       OpenCL C
    .language_version:
      - 2
      - 0
    .max_flat_workgroup_size: 256
    .name:           _ZN7rocprim17ROCPRIM_400000_NS6detail17trampoline_kernelINS0_14default_configENS1_25partition_config_selectorILNS1_17partition_subalgoE6EtNS0_10empty_typeEbEEZZNS1_14partition_implILS5_6ELb0ES3_mN6thrust23THRUST_200600_302600_NS6detail15normal_iteratorINSA_10device_ptrItEEEEPS6_SG_NS0_5tupleIJSF_S6_EEENSH_IJSG_SG_EEES6_PlJNSB_9not_fun_tI7is_evenItEEEEEE10hipError_tPvRmT3_T4_T5_T6_T7_T9_mT8_P12ihipStream_tbDpT10_ENKUlT_T0_E_clISt17integral_constantIbLb1EES18_EEDaS13_S14_EUlS13_E_NS1_11comp_targetILNS1_3genE2ELNS1_11target_archE906ELNS1_3gpuE6ELNS1_3repE0EEENS1_30default_config_static_selectorELNS0_4arch9wavefront6targetE0EEEvT1_
    .private_segment_fixed_size: 0
    .sgpr_count:     0
    .sgpr_spill_count: 0
    .symbol:         _ZN7rocprim17ROCPRIM_400000_NS6detail17trampoline_kernelINS0_14default_configENS1_25partition_config_selectorILNS1_17partition_subalgoE6EtNS0_10empty_typeEbEEZZNS1_14partition_implILS5_6ELb0ES3_mN6thrust23THRUST_200600_302600_NS6detail15normal_iteratorINSA_10device_ptrItEEEEPS6_SG_NS0_5tupleIJSF_S6_EEENSH_IJSG_SG_EEES6_PlJNSB_9not_fun_tI7is_evenItEEEEEE10hipError_tPvRmT3_T4_T5_T6_T7_T9_mT8_P12ihipStream_tbDpT10_ENKUlT_T0_E_clISt17integral_constantIbLb1EES18_EEDaS13_S14_EUlS13_E_NS1_11comp_targetILNS1_3genE2ELNS1_11target_archE906ELNS1_3gpuE6ELNS1_3repE0EEENS1_30default_config_static_selectorELNS0_4arch9wavefront6targetE0EEEvT1_.kd
    .uniform_work_group_size: 1
    .uses_dynamic_stack: false
    .vgpr_count:     0
    .vgpr_spill_count: 0
    .wavefront_size: 32
    .workgroup_processor_mode: 1
  - .args:
      - .offset:         0
        .size:           128
        .value_kind:     by_value
    .group_segment_fixed_size: 0
    .kernarg_segment_align: 8
    .kernarg_segment_size: 128
    .language:       OpenCL C
    .language_version:
      - 2
      - 0
    .max_flat_workgroup_size: 384
    .name:           _ZN7rocprim17ROCPRIM_400000_NS6detail17trampoline_kernelINS0_14default_configENS1_25partition_config_selectorILNS1_17partition_subalgoE6EtNS0_10empty_typeEbEEZZNS1_14partition_implILS5_6ELb0ES3_mN6thrust23THRUST_200600_302600_NS6detail15normal_iteratorINSA_10device_ptrItEEEEPS6_SG_NS0_5tupleIJSF_S6_EEENSH_IJSG_SG_EEES6_PlJNSB_9not_fun_tI7is_evenItEEEEEE10hipError_tPvRmT3_T4_T5_T6_T7_T9_mT8_P12ihipStream_tbDpT10_ENKUlT_T0_E_clISt17integral_constantIbLb1EES18_EEDaS13_S14_EUlS13_E_NS1_11comp_targetILNS1_3genE10ELNS1_11target_archE1200ELNS1_3gpuE4ELNS1_3repE0EEENS1_30default_config_static_selectorELNS0_4arch9wavefront6targetE0EEEvT1_
    .private_segment_fixed_size: 0
    .sgpr_count:     0
    .sgpr_spill_count: 0
    .symbol:         _ZN7rocprim17ROCPRIM_400000_NS6detail17trampoline_kernelINS0_14default_configENS1_25partition_config_selectorILNS1_17partition_subalgoE6EtNS0_10empty_typeEbEEZZNS1_14partition_implILS5_6ELb0ES3_mN6thrust23THRUST_200600_302600_NS6detail15normal_iteratorINSA_10device_ptrItEEEEPS6_SG_NS0_5tupleIJSF_S6_EEENSH_IJSG_SG_EEES6_PlJNSB_9not_fun_tI7is_evenItEEEEEE10hipError_tPvRmT3_T4_T5_T6_T7_T9_mT8_P12ihipStream_tbDpT10_ENKUlT_T0_E_clISt17integral_constantIbLb1EES18_EEDaS13_S14_EUlS13_E_NS1_11comp_targetILNS1_3genE10ELNS1_11target_archE1200ELNS1_3gpuE4ELNS1_3repE0EEENS1_30default_config_static_selectorELNS0_4arch9wavefront6targetE0EEEvT1_.kd
    .uniform_work_group_size: 1
    .uses_dynamic_stack: false
    .vgpr_count:     0
    .vgpr_spill_count: 0
    .wavefront_size: 32
    .workgroup_processor_mode: 1
  - .args:
      - .offset:         0
        .size:           128
        .value_kind:     by_value
    .group_segment_fixed_size: 0
    .kernarg_segment_align: 8
    .kernarg_segment_size: 128
    .language:       OpenCL C
    .language_version:
      - 2
      - 0
    .max_flat_workgroup_size: 128
    .name:           _ZN7rocprim17ROCPRIM_400000_NS6detail17trampoline_kernelINS0_14default_configENS1_25partition_config_selectorILNS1_17partition_subalgoE6EtNS0_10empty_typeEbEEZZNS1_14partition_implILS5_6ELb0ES3_mN6thrust23THRUST_200600_302600_NS6detail15normal_iteratorINSA_10device_ptrItEEEEPS6_SG_NS0_5tupleIJSF_S6_EEENSH_IJSG_SG_EEES6_PlJNSB_9not_fun_tI7is_evenItEEEEEE10hipError_tPvRmT3_T4_T5_T6_T7_T9_mT8_P12ihipStream_tbDpT10_ENKUlT_T0_E_clISt17integral_constantIbLb1EES18_EEDaS13_S14_EUlS13_E_NS1_11comp_targetILNS1_3genE9ELNS1_11target_archE1100ELNS1_3gpuE3ELNS1_3repE0EEENS1_30default_config_static_selectorELNS0_4arch9wavefront6targetE0EEEvT1_
    .private_segment_fixed_size: 0
    .sgpr_count:     0
    .sgpr_spill_count: 0
    .symbol:         _ZN7rocprim17ROCPRIM_400000_NS6detail17trampoline_kernelINS0_14default_configENS1_25partition_config_selectorILNS1_17partition_subalgoE6EtNS0_10empty_typeEbEEZZNS1_14partition_implILS5_6ELb0ES3_mN6thrust23THRUST_200600_302600_NS6detail15normal_iteratorINSA_10device_ptrItEEEEPS6_SG_NS0_5tupleIJSF_S6_EEENSH_IJSG_SG_EEES6_PlJNSB_9not_fun_tI7is_evenItEEEEEE10hipError_tPvRmT3_T4_T5_T6_T7_T9_mT8_P12ihipStream_tbDpT10_ENKUlT_T0_E_clISt17integral_constantIbLb1EES18_EEDaS13_S14_EUlS13_E_NS1_11comp_targetILNS1_3genE9ELNS1_11target_archE1100ELNS1_3gpuE3ELNS1_3repE0EEENS1_30default_config_static_selectorELNS0_4arch9wavefront6targetE0EEEvT1_.kd
    .uniform_work_group_size: 1
    .uses_dynamic_stack: false
    .vgpr_count:     0
    .vgpr_spill_count: 0
    .wavefront_size: 32
    .workgroup_processor_mode: 1
  - .args:
      - .offset:         0
        .size:           128
        .value_kind:     by_value
    .group_segment_fixed_size: 0
    .kernarg_segment_align: 8
    .kernarg_segment_size: 128
    .language:       OpenCL C
    .language_version:
      - 2
      - 0
    .max_flat_workgroup_size: 256
    .name:           _ZN7rocprim17ROCPRIM_400000_NS6detail17trampoline_kernelINS0_14default_configENS1_25partition_config_selectorILNS1_17partition_subalgoE6EtNS0_10empty_typeEbEEZZNS1_14partition_implILS5_6ELb0ES3_mN6thrust23THRUST_200600_302600_NS6detail15normal_iteratorINSA_10device_ptrItEEEEPS6_SG_NS0_5tupleIJSF_S6_EEENSH_IJSG_SG_EEES6_PlJNSB_9not_fun_tI7is_evenItEEEEEE10hipError_tPvRmT3_T4_T5_T6_T7_T9_mT8_P12ihipStream_tbDpT10_ENKUlT_T0_E_clISt17integral_constantIbLb1EES18_EEDaS13_S14_EUlS13_E_NS1_11comp_targetILNS1_3genE8ELNS1_11target_archE1030ELNS1_3gpuE2ELNS1_3repE0EEENS1_30default_config_static_selectorELNS0_4arch9wavefront6targetE0EEEvT1_
    .private_segment_fixed_size: 0
    .sgpr_count:     0
    .sgpr_spill_count: 0
    .symbol:         _ZN7rocprim17ROCPRIM_400000_NS6detail17trampoline_kernelINS0_14default_configENS1_25partition_config_selectorILNS1_17partition_subalgoE6EtNS0_10empty_typeEbEEZZNS1_14partition_implILS5_6ELb0ES3_mN6thrust23THRUST_200600_302600_NS6detail15normal_iteratorINSA_10device_ptrItEEEEPS6_SG_NS0_5tupleIJSF_S6_EEENSH_IJSG_SG_EEES6_PlJNSB_9not_fun_tI7is_evenItEEEEEE10hipError_tPvRmT3_T4_T5_T6_T7_T9_mT8_P12ihipStream_tbDpT10_ENKUlT_T0_E_clISt17integral_constantIbLb1EES18_EEDaS13_S14_EUlS13_E_NS1_11comp_targetILNS1_3genE8ELNS1_11target_archE1030ELNS1_3gpuE2ELNS1_3repE0EEENS1_30default_config_static_selectorELNS0_4arch9wavefront6targetE0EEEvT1_.kd
    .uniform_work_group_size: 1
    .uses_dynamic_stack: false
    .vgpr_count:     0
    .vgpr_spill_count: 0
    .wavefront_size: 32
    .workgroup_processor_mode: 1
  - .args:
      - .offset:         0
        .size:           112
        .value_kind:     by_value
    .group_segment_fixed_size: 0
    .kernarg_segment_align: 8
    .kernarg_segment_size: 112
    .language:       OpenCL C
    .language_version:
      - 2
      - 0
    .max_flat_workgroup_size: 256
    .name:           _ZN7rocprim17ROCPRIM_400000_NS6detail17trampoline_kernelINS0_14default_configENS1_25partition_config_selectorILNS1_17partition_subalgoE6EtNS0_10empty_typeEbEEZZNS1_14partition_implILS5_6ELb0ES3_mN6thrust23THRUST_200600_302600_NS6detail15normal_iteratorINSA_10device_ptrItEEEEPS6_SG_NS0_5tupleIJSF_S6_EEENSH_IJSG_SG_EEES6_PlJNSB_9not_fun_tI7is_evenItEEEEEE10hipError_tPvRmT3_T4_T5_T6_T7_T9_mT8_P12ihipStream_tbDpT10_ENKUlT_T0_E_clISt17integral_constantIbLb1EES17_IbLb0EEEEDaS13_S14_EUlS13_E_NS1_11comp_targetILNS1_3genE0ELNS1_11target_archE4294967295ELNS1_3gpuE0ELNS1_3repE0EEENS1_30default_config_static_selectorELNS0_4arch9wavefront6targetE0EEEvT1_
    .private_segment_fixed_size: 0
    .sgpr_count:     0
    .sgpr_spill_count: 0
    .symbol:         _ZN7rocprim17ROCPRIM_400000_NS6detail17trampoline_kernelINS0_14default_configENS1_25partition_config_selectorILNS1_17partition_subalgoE6EtNS0_10empty_typeEbEEZZNS1_14partition_implILS5_6ELb0ES3_mN6thrust23THRUST_200600_302600_NS6detail15normal_iteratorINSA_10device_ptrItEEEEPS6_SG_NS0_5tupleIJSF_S6_EEENSH_IJSG_SG_EEES6_PlJNSB_9not_fun_tI7is_evenItEEEEEE10hipError_tPvRmT3_T4_T5_T6_T7_T9_mT8_P12ihipStream_tbDpT10_ENKUlT_T0_E_clISt17integral_constantIbLb1EES17_IbLb0EEEEDaS13_S14_EUlS13_E_NS1_11comp_targetILNS1_3genE0ELNS1_11target_archE4294967295ELNS1_3gpuE0ELNS1_3repE0EEENS1_30default_config_static_selectorELNS0_4arch9wavefront6targetE0EEEvT1_.kd
    .uniform_work_group_size: 1
    .uses_dynamic_stack: false
    .vgpr_count:     0
    .vgpr_spill_count: 0
    .wavefront_size: 32
    .workgroup_processor_mode: 1
  - .args:
      - .offset:         0
        .size:           112
        .value_kind:     by_value
    .group_segment_fixed_size: 0
    .kernarg_segment_align: 8
    .kernarg_segment_size: 112
    .language:       OpenCL C
    .language_version:
      - 2
      - 0
    .max_flat_workgroup_size: 512
    .name:           _ZN7rocprim17ROCPRIM_400000_NS6detail17trampoline_kernelINS0_14default_configENS1_25partition_config_selectorILNS1_17partition_subalgoE6EtNS0_10empty_typeEbEEZZNS1_14partition_implILS5_6ELb0ES3_mN6thrust23THRUST_200600_302600_NS6detail15normal_iteratorINSA_10device_ptrItEEEEPS6_SG_NS0_5tupleIJSF_S6_EEENSH_IJSG_SG_EEES6_PlJNSB_9not_fun_tI7is_evenItEEEEEE10hipError_tPvRmT3_T4_T5_T6_T7_T9_mT8_P12ihipStream_tbDpT10_ENKUlT_T0_E_clISt17integral_constantIbLb1EES17_IbLb0EEEEDaS13_S14_EUlS13_E_NS1_11comp_targetILNS1_3genE5ELNS1_11target_archE942ELNS1_3gpuE9ELNS1_3repE0EEENS1_30default_config_static_selectorELNS0_4arch9wavefront6targetE0EEEvT1_
    .private_segment_fixed_size: 0
    .sgpr_count:     0
    .sgpr_spill_count: 0
    .symbol:         _ZN7rocprim17ROCPRIM_400000_NS6detail17trampoline_kernelINS0_14default_configENS1_25partition_config_selectorILNS1_17partition_subalgoE6EtNS0_10empty_typeEbEEZZNS1_14partition_implILS5_6ELb0ES3_mN6thrust23THRUST_200600_302600_NS6detail15normal_iteratorINSA_10device_ptrItEEEEPS6_SG_NS0_5tupleIJSF_S6_EEENSH_IJSG_SG_EEES6_PlJNSB_9not_fun_tI7is_evenItEEEEEE10hipError_tPvRmT3_T4_T5_T6_T7_T9_mT8_P12ihipStream_tbDpT10_ENKUlT_T0_E_clISt17integral_constantIbLb1EES17_IbLb0EEEEDaS13_S14_EUlS13_E_NS1_11comp_targetILNS1_3genE5ELNS1_11target_archE942ELNS1_3gpuE9ELNS1_3repE0EEENS1_30default_config_static_selectorELNS0_4arch9wavefront6targetE0EEEvT1_.kd
    .uniform_work_group_size: 1
    .uses_dynamic_stack: false
    .vgpr_count:     0
    .vgpr_spill_count: 0
    .wavefront_size: 32
    .workgroup_processor_mode: 1
  - .args:
      - .offset:         0
        .size:           112
        .value_kind:     by_value
    .group_segment_fixed_size: 0
    .kernarg_segment_align: 8
    .kernarg_segment_size: 112
    .language:       OpenCL C
    .language_version:
      - 2
      - 0
    .max_flat_workgroup_size: 256
    .name:           _ZN7rocprim17ROCPRIM_400000_NS6detail17trampoline_kernelINS0_14default_configENS1_25partition_config_selectorILNS1_17partition_subalgoE6EtNS0_10empty_typeEbEEZZNS1_14partition_implILS5_6ELb0ES3_mN6thrust23THRUST_200600_302600_NS6detail15normal_iteratorINSA_10device_ptrItEEEEPS6_SG_NS0_5tupleIJSF_S6_EEENSH_IJSG_SG_EEES6_PlJNSB_9not_fun_tI7is_evenItEEEEEE10hipError_tPvRmT3_T4_T5_T6_T7_T9_mT8_P12ihipStream_tbDpT10_ENKUlT_T0_E_clISt17integral_constantIbLb1EES17_IbLb0EEEEDaS13_S14_EUlS13_E_NS1_11comp_targetILNS1_3genE4ELNS1_11target_archE910ELNS1_3gpuE8ELNS1_3repE0EEENS1_30default_config_static_selectorELNS0_4arch9wavefront6targetE0EEEvT1_
    .private_segment_fixed_size: 0
    .sgpr_count:     0
    .sgpr_spill_count: 0
    .symbol:         _ZN7rocprim17ROCPRIM_400000_NS6detail17trampoline_kernelINS0_14default_configENS1_25partition_config_selectorILNS1_17partition_subalgoE6EtNS0_10empty_typeEbEEZZNS1_14partition_implILS5_6ELb0ES3_mN6thrust23THRUST_200600_302600_NS6detail15normal_iteratorINSA_10device_ptrItEEEEPS6_SG_NS0_5tupleIJSF_S6_EEENSH_IJSG_SG_EEES6_PlJNSB_9not_fun_tI7is_evenItEEEEEE10hipError_tPvRmT3_T4_T5_T6_T7_T9_mT8_P12ihipStream_tbDpT10_ENKUlT_T0_E_clISt17integral_constantIbLb1EES17_IbLb0EEEEDaS13_S14_EUlS13_E_NS1_11comp_targetILNS1_3genE4ELNS1_11target_archE910ELNS1_3gpuE8ELNS1_3repE0EEENS1_30default_config_static_selectorELNS0_4arch9wavefront6targetE0EEEvT1_.kd
    .uniform_work_group_size: 1
    .uses_dynamic_stack: false
    .vgpr_count:     0
    .vgpr_spill_count: 0
    .wavefront_size: 32
    .workgroup_processor_mode: 1
  - .args:
      - .offset:         0
        .size:           112
        .value_kind:     by_value
    .group_segment_fixed_size: 0
    .kernarg_segment_align: 8
    .kernarg_segment_size: 112
    .language:       OpenCL C
    .language_version:
      - 2
      - 0
    .max_flat_workgroup_size: 256
    .name:           _ZN7rocprim17ROCPRIM_400000_NS6detail17trampoline_kernelINS0_14default_configENS1_25partition_config_selectorILNS1_17partition_subalgoE6EtNS0_10empty_typeEbEEZZNS1_14partition_implILS5_6ELb0ES3_mN6thrust23THRUST_200600_302600_NS6detail15normal_iteratorINSA_10device_ptrItEEEEPS6_SG_NS0_5tupleIJSF_S6_EEENSH_IJSG_SG_EEES6_PlJNSB_9not_fun_tI7is_evenItEEEEEE10hipError_tPvRmT3_T4_T5_T6_T7_T9_mT8_P12ihipStream_tbDpT10_ENKUlT_T0_E_clISt17integral_constantIbLb1EES17_IbLb0EEEEDaS13_S14_EUlS13_E_NS1_11comp_targetILNS1_3genE3ELNS1_11target_archE908ELNS1_3gpuE7ELNS1_3repE0EEENS1_30default_config_static_selectorELNS0_4arch9wavefront6targetE0EEEvT1_
    .private_segment_fixed_size: 0
    .sgpr_count:     0
    .sgpr_spill_count: 0
    .symbol:         _ZN7rocprim17ROCPRIM_400000_NS6detail17trampoline_kernelINS0_14default_configENS1_25partition_config_selectorILNS1_17partition_subalgoE6EtNS0_10empty_typeEbEEZZNS1_14partition_implILS5_6ELb0ES3_mN6thrust23THRUST_200600_302600_NS6detail15normal_iteratorINSA_10device_ptrItEEEEPS6_SG_NS0_5tupleIJSF_S6_EEENSH_IJSG_SG_EEES6_PlJNSB_9not_fun_tI7is_evenItEEEEEE10hipError_tPvRmT3_T4_T5_T6_T7_T9_mT8_P12ihipStream_tbDpT10_ENKUlT_T0_E_clISt17integral_constantIbLb1EES17_IbLb0EEEEDaS13_S14_EUlS13_E_NS1_11comp_targetILNS1_3genE3ELNS1_11target_archE908ELNS1_3gpuE7ELNS1_3repE0EEENS1_30default_config_static_selectorELNS0_4arch9wavefront6targetE0EEEvT1_.kd
    .uniform_work_group_size: 1
    .uses_dynamic_stack: false
    .vgpr_count:     0
    .vgpr_spill_count: 0
    .wavefront_size: 32
    .workgroup_processor_mode: 1
  - .args:
      - .offset:         0
        .size:           112
        .value_kind:     by_value
    .group_segment_fixed_size: 0
    .kernarg_segment_align: 8
    .kernarg_segment_size: 112
    .language:       OpenCL C
    .language_version:
      - 2
      - 0
    .max_flat_workgroup_size: 256
    .name:           _ZN7rocprim17ROCPRIM_400000_NS6detail17trampoline_kernelINS0_14default_configENS1_25partition_config_selectorILNS1_17partition_subalgoE6EtNS0_10empty_typeEbEEZZNS1_14partition_implILS5_6ELb0ES3_mN6thrust23THRUST_200600_302600_NS6detail15normal_iteratorINSA_10device_ptrItEEEEPS6_SG_NS0_5tupleIJSF_S6_EEENSH_IJSG_SG_EEES6_PlJNSB_9not_fun_tI7is_evenItEEEEEE10hipError_tPvRmT3_T4_T5_T6_T7_T9_mT8_P12ihipStream_tbDpT10_ENKUlT_T0_E_clISt17integral_constantIbLb1EES17_IbLb0EEEEDaS13_S14_EUlS13_E_NS1_11comp_targetILNS1_3genE2ELNS1_11target_archE906ELNS1_3gpuE6ELNS1_3repE0EEENS1_30default_config_static_selectorELNS0_4arch9wavefront6targetE0EEEvT1_
    .private_segment_fixed_size: 0
    .sgpr_count:     0
    .sgpr_spill_count: 0
    .symbol:         _ZN7rocprim17ROCPRIM_400000_NS6detail17trampoline_kernelINS0_14default_configENS1_25partition_config_selectorILNS1_17partition_subalgoE6EtNS0_10empty_typeEbEEZZNS1_14partition_implILS5_6ELb0ES3_mN6thrust23THRUST_200600_302600_NS6detail15normal_iteratorINSA_10device_ptrItEEEEPS6_SG_NS0_5tupleIJSF_S6_EEENSH_IJSG_SG_EEES6_PlJNSB_9not_fun_tI7is_evenItEEEEEE10hipError_tPvRmT3_T4_T5_T6_T7_T9_mT8_P12ihipStream_tbDpT10_ENKUlT_T0_E_clISt17integral_constantIbLb1EES17_IbLb0EEEEDaS13_S14_EUlS13_E_NS1_11comp_targetILNS1_3genE2ELNS1_11target_archE906ELNS1_3gpuE6ELNS1_3repE0EEENS1_30default_config_static_selectorELNS0_4arch9wavefront6targetE0EEEvT1_.kd
    .uniform_work_group_size: 1
    .uses_dynamic_stack: false
    .vgpr_count:     0
    .vgpr_spill_count: 0
    .wavefront_size: 32
    .workgroup_processor_mode: 1
  - .args:
      - .offset:         0
        .size:           112
        .value_kind:     by_value
    .group_segment_fixed_size: 0
    .kernarg_segment_align: 8
    .kernarg_segment_size: 112
    .language:       OpenCL C
    .language_version:
      - 2
      - 0
    .max_flat_workgroup_size: 384
    .name:           _ZN7rocprim17ROCPRIM_400000_NS6detail17trampoline_kernelINS0_14default_configENS1_25partition_config_selectorILNS1_17partition_subalgoE6EtNS0_10empty_typeEbEEZZNS1_14partition_implILS5_6ELb0ES3_mN6thrust23THRUST_200600_302600_NS6detail15normal_iteratorINSA_10device_ptrItEEEEPS6_SG_NS0_5tupleIJSF_S6_EEENSH_IJSG_SG_EEES6_PlJNSB_9not_fun_tI7is_evenItEEEEEE10hipError_tPvRmT3_T4_T5_T6_T7_T9_mT8_P12ihipStream_tbDpT10_ENKUlT_T0_E_clISt17integral_constantIbLb1EES17_IbLb0EEEEDaS13_S14_EUlS13_E_NS1_11comp_targetILNS1_3genE10ELNS1_11target_archE1200ELNS1_3gpuE4ELNS1_3repE0EEENS1_30default_config_static_selectorELNS0_4arch9wavefront6targetE0EEEvT1_
    .private_segment_fixed_size: 0
    .sgpr_count:     0
    .sgpr_spill_count: 0
    .symbol:         _ZN7rocprim17ROCPRIM_400000_NS6detail17trampoline_kernelINS0_14default_configENS1_25partition_config_selectorILNS1_17partition_subalgoE6EtNS0_10empty_typeEbEEZZNS1_14partition_implILS5_6ELb0ES3_mN6thrust23THRUST_200600_302600_NS6detail15normal_iteratorINSA_10device_ptrItEEEEPS6_SG_NS0_5tupleIJSF_S6_EEENSH_IJSG_SG_EEES6_PlJNSB_9not_fun_tI7is_evenItEEEEEE10hipError_tPvRmT3_T4_T5_T6_T7_T9_mT8_P12ihipStream_tbDpT10_ENKUlT_T0_E_clISt17integral_constantIbLb1EES17_IbLb0EEEEDaS13_S14_EUlS13_E_NS1_11comp_targetILNS1_3genE10ELNS1_11target_archE1200ELNS1_3gpuE4ELNS1_3repE0EEENS1_30default_config_static_selectorELNS0_4arch9wavefront6targetE0EEEvT1_.kd
    .uniform_work_group_size: 1
    .uses_dynamic_stack: false
    .vgpr_count:     0
    .vgpr_spill_count: 0
    .wavefront_size: 32
    .workgroup_processor_mode: 1
  - .args:
      - .offset:         0
        .size:           112
        .value_kind:     by_value
    .group_segment_fixed_size: 0
    .kernarg_segment_align: 8
    .kernarg_segment_size: 112
    .language:       OpenCL C
    .language_version:
      - 2
      - 0
    .max_flat_workgroup_size: 128
    .name:           _ZN7rocprim17ROCPRIM_400000_NS6detail17trampoline_kernelINS0_14default_configENS1_25partition_config_selectorILNS1_17partition_subalgoE6EtNS0_10empty_typeEbEEZZNS1_14partition_implILS5_6ELb0ES3_mN6thrust23THRUST_200600_302600_NS6detail15normal_iteratorINSA_10device_ptrItEEEEPS6_SG_NS0_5tupleIJSF_S6_EEENSH_IJSG_SG_EEES6_PlJNSB_9not_fun_tI7is_evenItEEEEEE10hipError_tPvRmT3_T4_T5_T6_T7_T9_mT8_P12ihipStream_tbDpT10_ENKUlT_T0_E_clISt17integral_constantIbLb1EES17_IbLb0EEEEDaS13_S14_EUlS13_E_NS1_11comp_targetILNS1_3genE9ELNS1_11target_archE1100ELNS1_3gpuE3ELNS1_3repE0EEENS1_30default_config_static_selectorELNS0_4arch9wavefront6targetE0EEEvT1_
    .private_segment_fixed_size: 0
    .sgpr_count:     0
    .sgpr_spill_count: 0
    .symbol:         _ZN7rocprim17ROCPRIM_400000_NS6detail17trampoline_kernelINS0_14default_configENS1_25partition_config_selectorILNS1_17partition_subalgoE6EtNS0_10empty_typeEbEEZZNS1_14partition_implILS5_6ELb0ES3_mN6thrust23THRUST_200600_302600_NS6detail15normal_iteratorINSA_10device_ptrItEEEEPS6_SG_NS0_5tupleIJSF_S6_EEENSH_IJSG_SG_EEES6_PlJNSB_9not_fun_tI7is_evenItEEEEEE10hipError_tPvRmT3_T4_T5_T6_T7_T9_mT8_P12ihipStream_tbDpT10_ENKUlT_T0_E_clISt17integral_constantIbLb1EES17_IbLb0EEEEDaS13_S14_EUlS13_E_NS1_11comp_targetILNS1_3genE9ELNS1_11target_archE1100ELNS1_3gpuE3ELNS1_3repE0EEENS1_30default_config_static_selectorELNS0_4arch9wavefront6targetE0EEEvT1_.kd
    .uniform_work_group_size: 1
    .uses_dynamic_stack: false
    .vgpr_count:     0
    .vgpr_spill_count: 0
    .wavefront_size: 32
    .workgroup_processor_mode: 1
  - .args:
      - .offset:         0
        .size:           112
        .value_kind:     by_value
    .group_segment_fixed_size: 0
    .kernarg_segment_align: 8
    .kernarg_segment_size: 112
    .language:       OpenCL C
    .language_version:
      - 2
      - 0
    .max_flat_workgroup_size: 256
    .name:           _ZN7rocprim17ROCPRIM_400000_NS6detail17trampoline_kernelINS0_14default_configENS1_25partition_config_selectorILNS1_17partition_subalgoE6EtNS0_10empty_typeEbEEZZNS1_14partition_implILS5_6ELb0ES3_mN6thrust23THRUST_200600_302600_NS6detail15normal_iteratorINSA_10device_ptrItEEEEPS6_SG_NS0_5tupleIJSF_S6_EEENSH_IJSG_SG_EEES6_PlJNSB_9not_fun_tI7is_evenItEEEEEE10hipError_tPvRmT3_T4_T5_T6_T7_T9_mT8_P12ihipStream_tbDpT10_ENKUlT_T0_E_clISt17integral_constantIbLb1EES17_IbLb0EEEEDaS13_S14_EUlS13_E_NS1_11comp_targetILNS1_3genE8ELNS1_11target_archE1030ELNS1_3gpuE2ELNS1_3repE0EEENS1_30default_config_static_selectorELNS0_4arch9wavefront6targetE0EEEvT1_
    .private_segment_fixed_size: 0
    .sgpr_count:     0
    .sgpr_spill_count: 0
    .symbol:         _ZN7rocprim17ROCPRIM_400000_NS6detail17trampoline_kernelINS0_14default_configENS1_25partition_config_selectorILNS1_17partition_subalgoE6EtNS0_10empty_typeEbEEZZNS1_14partition_implILS5_6ELb0ES3_mN6thrust23THRUST_200600_302600_NS6detail15normal_iteratorINSA_10device_ptrItEEEEPS6_SG_NS0_5tupleIJSF_S6_EEENSH_IJSG_SG_EEES6_PlJNSB_9not_fun_tI7is_evenItEEEEEE10hipError_tPvRmT3_T4_T5_T6_T7_T9_mT8_P12ihipStream_tbDpT10_ENKUlT_T0_E_clISt17integral_constantIbLb1EES17_IbLb0EEEEDaS13_S14_EUlS13_E_NS1_11comp_targetILNS1_3genE8ELNS1_11target_archE1030ELNS1_3gpuE2ELNS1_3repE0EEENS1_30default_config_static_selectorELNS0_4arch9wavefront6targetE0EEEvT1_.kd
    .uniform_work_group_size: 1
    .uses_dynamic_stack: false
    .vgpr_count:     0
    .vgpr_spill_count: 0
    .wavefront_size: 32
    .workgroup_processor_mode: 1
  - .args:
      - .offset:         0
        .size:           128
        .value_kind:     by_value
    .group_segment_fixed_size: 0
    .kernarg_segment_align: 8
    .kernarg_segment_size: 128
    .language:       OpenCL C
    .language_version:
      - 2
      - 0
    .max_flat_workgroup_size: 256
    .name:           _ZN7rocprim17ROCPRIM_400000_NS6detail17trampoline_kernelINS0_14default_configENS1_25partition_config_selectorILNS1_17partition_subalgoE6EtNS0_10empty_typeEbEEZZNS1_14partition_implILS5_6ELb0ES3_mN6thrust23THRUST_200600_302600_NS6detail15normal_iteratorINSA_10device_ptrItEEEEPS6_SG_NS0_5tupleIJSF_S6_EEENSH_IJSG_SG_EEES6_PlJNSB_9not_fun_tI7is_evenItEEEEEE10hipError_tPvRmT3_T4_T5_T6_T7_T9_mT8_P12ihipStream_tbDpT10_ENKUlT_T0_E_clISt17integral_constantIbLb0EES17_IbLb1EEEEDaS13_S14_EUlS13_E_NS1_11comp_targetILNS1_3genE0ELNS1_11target_archE4294967295ELNS1_3gpuE0ELNS1_3repE0EEENS1_30default_config_static_selectorELNS0_4arch9wavefront6targetE0EEEvT1_
    .private_segment_fixed_size: 0
    .sgpr_count:     0
    .sgpr_spill_count: 0
    .symbol:         _ZN7rocprim17ROCPRIM_400000_NS6detail17trampoline_kernelINS0_14default_configENS1_25partition_config_selectorILNS1_17partition_subalgoE6EtNS0_10empty_typeEbEEZZNS1_14partition_implILS5_6ELb0ES3_mN6thrust23THRUST_200600_302600_NS6detail15normal_iteratorINSA_10device_ptrItEEEEPS6_SG_NS0_5tupleIJSF_S6_EEENSH_IJSG_SG_EEES6_PlJNSB_9not_fun_tI7is_evenItEEEEEE10hipError_tPvRmT3_T4_T5_T6_T7_T9_mT8_P12ihipStream_tbDpT10_ENKUlT_T0_E_clISt17integral_constantIbLb0EES17_IbLb1EEEEDaS13_S14_EUlS13_E_NS1_11comp_targetILNS1_3genE0ELNS1_11target_archE4294967295ELNS1_3gpuE0ELNS1_3repE0EEENS1_30default_config_static_selectorELNS0_4arch9wavefront6targetE0EEEvT1_.kd
    .uniform_work_group_size: 1
    .uses_dynamic_stack: false
    .vgpr_count:     0
    .vgpr_spill_count: 0
    .wavefront_size: 32
    .workgroup_processor_mode: 1
  - .args:
      - .offset:         0
        .size:           128
        .value_kind:     by_value
    .group_segment_fixed_size: 0
    .kernarg_segment_align: 8
    .kernarg_segment_size: 128
    .language:       OpenCL C
    .language_version:
      - 2
      - 0
    .max_flat_workgroup_size: 512
    .name:           _ZN7rocprim17ROCPRIM_400000_NS6detail17trampoline_kernelINS0_14default_configENS1_25partition_config_selectorILNS1_17partition_subalgoE6EtNS0_10empty_typeEbEEZZNS1_14partition_implILS5_6ELb0ES3_mN6thrust23THRUST_200600_302600_NS6detail15normal_iteratorINSA_10device_ptrItEEEEPS6_SG_NS0_5tupleIJSF_S6_EEENSH_IJSG_SG_EEES6_PlJNSB_9not_fun_tI7is_evenItEEEEEE10hipError_tPvRmT3_T4_T5_T6_T7_T9_mT8_P12ihipStream_tbDpT10_ENKUlT_T0_E_clISt17integral_constantIbLb0EES17_IbLb1EEEEDaS13_S14_EUlS13_E_NS1_11comp_targetILNS1_3genE5ELNS1_11target_archE942ELNS1_3gpuE9ELNS1_3repE0EEENS1_30default_config_static_selectorELNS0_4arch9wavefront6targetE0EEEvT1_
    .private_segment_fixed_size: 0
    .sgpr_count:     0
    .sgpr_spill_count: 0
    .symbol:         _ZN7rocprim17ROCPRIM_400000_NS6detail17trampoline_kernelINS0_14default_configENS1_25partition_config_selectorILNS1_17partition_subalgoE6EtNS0_10empty_typeEbEEZZNS1_14partition_implILS5_6ELb0ES3_mN6thrust23THRUST_200600_302600_NS6detail15normal_iteratorINSA_10device_ptrItEEEEPS6_SG_NS0_5tupleIJSF_S6_EEENSH_IJSG_SG_EEES6_PlJNSB_9not_fun_tI7is_evenItEEEEEE10hipError_tPvRmT3_T4_T5_T6_T7_T9_mT8_P12ihipStream_tbDpT10_ENKUlT_T0_E_clISt17integral_constantIbLb0EES17_IbLb1EEEEDaS13_S14_EUlS13_E_NS1_11comp_targetILNS1_3genE5ELNS1_11target_archE942ELNS1_3gpuE9ELNS1_3repE0EEENS1_30default_config_static_selectorELNS0_4arch9wavefront6targetE0EEEvT1_.kd
    .uniform_work_group_size: 1
    .uses_dynamic_stack: false
    .vgpr_count:     0
    .vgpr_spill_count: 0
    .wavefront_size: 32
    .workgroup_processor_mode: 1
  - .args:
      - .offset:         0
        .size:           128
        .value_kind:     by_value
    .group_segment_fixed_size: 0
    .kernarg_segment_align: 8
    .kernarg_segment_size: 128
    .language:       OpenCL C
    .language_version:
      - 2
      - 0
    .max_flat_workgroup_size: 256
    .name:           _ZN7rocprim17ROCPRIM_400000_NS6detail17trampoline_kernelINS0_14default_configENS1_25partition_config_selectorILNS1_17partition_subalgoE6EtNS0_10empty_typeEbEEZZNS1_14partition_implILS5_6ELb0ES3_mN6thrust23THRUST_200600_302600_NS6detail15normal_iteratorINSA_10device_ptrItEEEEPS6_SG_NS0_5tupleIJSF_S6_EEENSH_IJSG_SG_EEES6_PlJNSB_9not_fun_tI7is_evenItEEEEEE10hipError_tPvRmT3_T4_T5_T6_T7_T9_mT8_P12ihipStream_tbDpT10_ENKUlT_T0_E_clISt17integral_constantIbLb0EES17_IbLb1EEEEDaS13_S14_EUlS13_E_NS1_11comp_targetILNS1_3genE4ELNS1_11target_archE910ELNS1_3gpuE8ELNS1_3repE0EEENS1_30default_config_static_selectorELNS0_4arch9wavefront6targetE0EEEvT1_
    .private_segment_fixed_size: 0
    .sgpr_count:     0
    .sgpr_spill_count: 0
    .symbol:         _ZN7rocprim17ROCPRIM_400000_NS6detail17trampoline_kernelINS0_14default_configENS1_25partition_config_selectorILNS1_17partition_subalgoE6EtNS0_10empty_typeEbEEZZNS1_14partition_implILS5_6ELb0ES3_mN6thrust23THRUST_200600_302600_NS6detail15normal_iteratorINSA_10device_ptrItEEEEPS6_SG_NS0_5tupleIJSF_S6_EEENSH_IJSG_SG_EEES6_PlJNSB_9not_fun_tI7is_evenItEEEEEE10hipError_tPvRmT3_T4_T5_T6_T7_T9_mT8_P12ihipStream_tbDpT10_ENKUlT_T0_E_clISt17integral_constantIbLb0EES17_IbLb1EEEEDaS13_S14_EUlS13_E_NS1_11comp_targetILNS1_3genE4ELNS1_11target_archE910ELNS1_3gpuE8ELNS1_3repE0EEENS1_30default_config_static_selectorELNS0_4arch9wavefront6targetE0EEEvT1_.kd
    .uniform_work_group_size: 1
    .uses_dynamic_stack: false
    .vgpr_count:     0
    .vgpr_spill_count: 0
    .wavefront_size: 32
    .workgroup_processor_mode: 1
  - .args:
      - .offset:         0
        .size:           128
        .value_kind:     by_value
    .group_segment_fixed_size: 0
    .kernarg_segment_align: 8
    .kernarg_segment_size: 128
    .language:       OpenCL C
    .language_version:
      - 2
      - 0
    .max_flat_workgroup_size: 256
    .name:           _ZN7rocprim17ROCPRIM_400000_NS6detail17trampoline_kernelINS0_14default_configENS1_25partition_config_selectorILNS1_17partition_subalgoE6EtNS0_10empty_typeEbEEZZNS1_14partition_implILS5_6ELb0ES3_mN6thrust23THRUST_200600_302600_NS6detail15normal_iteratorINSA_10device_ptrItEEEEPS6_SG_NS0_5tupleIJSF_S6_EEENSH_IJSG_SG_EEES6_PlJNSB_9not_fun_tI7is_evenItEEEEEE10hipError_tPvRmT3_T4_T5_T6_T7_T9_mT8_P12ihipStream_tbDpT10_ENKUlT_T0_E_clISt17integral_constantIbLb0EES17_IbLb1EEEEDaS13_S14_EUlS13_E_NS1_11comp_targetILNS1_3genE3ELNS1_11target_archE908ELNS1_3gpuE7ELNS1_3repE0EEENS1_30default_config_static_selectorELNS0_4arch9wavefront6targetE0EEEvT1_
    .private_segment_fixed_size: 0
    .sgpr_count:     0
    .sgpr_spill_count: 0
    .symbol:         _ZN7rocprim17ROCPRIM_400000_NS6detail17trampoline_kernelINS0_14default_configENS1_25partition_config_selectorILNS1_17partition_subalgoE6EtNS0_10empty_typeEbEEZZNS1_14partition_implILS5_6ELb0ES3_mN6thrust23THRUST_200600_302600_NS6detail15normal_iteratorINSA_10device_ptrItEEEEPS6_SG_NS0_5tupleIJSF_S6_EEENSH_IJSG_SG_EEES6_PlJNSB_9not_fun_tI7is_evenItEEEEEE10hipError_tPvRmT3_T4_T5_T6_T7_T9_mT8_P12ihipStream_tbDpT10_ENKUlT_T0_E_clISt17integral_constantIbLb0EES17_IbLb1EEEEDaS13_S14_EUlS13_E_NS1_11comp_targetILNS1_3genE3ELNS1_11target_archE908ELNS1_3gpuE7ELNS1_3repE0EEENS1_30default_config_static_selectorELNS0_4arch9wavefront6targetE0EEEvT1_.kd
    .uniform_work_group_size: 1
    .uses_dynamic_stack: false
    .vgpr_count:     0
    .vgpr_spill_count: 0
    .wavefront_size: 32
    .workgroup_processor_mode: 1
  - .args:
      - .offset:         0
        .size:           128
        .value_kind:     by_value
    .group_segment_fixed_size: 0
    .kernarg_segment_align: 8
    .kernarg_segment_size: 128
    .language:       OpenCL C
    .language_version:
      - 2
      - 0
    .max_flat_workgroup_size: 256
    .name:           _ZN7rocprim17ROCPRIM_400000_NS6detail17trampoline_kernelINS0_14default_configENS1_25partition_config_selectorILNS1_17partition_subalgoE6EtNS0_10empty_typeEbEEZZNS1_14partition_implILS5_6ELb0ES3_mN6thrust23THRUST_200600_302600_NS6detail15normal_iteratorINSA_10device_ptrItEEEEPS6_SG_NS0_5tupleIJSF_S6_EEENSH_IJSG_SG_EEES6_PlJNSB_9not_fun_tI7is_evenItEEEEEE10hipError_tPvRmT3_T4_T5_T6_T7_T9_mT8_P12ihipStream_tbDpT10_ENKUlT_T0_E_clISt17integral_constantIbLb0EES17_IbLb1EEEEDaS13_S14_EUlS13_E_NS1_11comp_targetILNS1_3genE2ELNS1_11target_archE906ELNS1_3gpuE6ELNS1_3repE0EEENS1_30default_config_static_selectorELNS0_4arch9wavefront6targetE0EEEvT1_
    .private_segment_fixed_size: 0
    .sgpr_count:     0
    .sgpr_spill_count: 0
    .symbol:         _ZN7rocprim17ROCPRIM_400000_NS6detail17trampoline_kernelINS0_14default_configENS1_25partition_config_selectorILNS1_17partition_subalgoE6EtNS0_10empty_typeEbEEZZNS1_14partition_implILS5_6ELb0ES3_mN6thrust23THRUST_200600_302600_NS6detail15normal_iteratorINSA_10device_ptrItEEEEPS6_SG_NS0_5tupleIJSF_S6_EEENSH_IJSG_SG_EEES6_PlJNSB_9not_fun_tI7is_evenItEEEEEE10hipError_tPvRmT3_T4_T5_T6_T7_T9_mT8_P12ihipStream_tbDpT10_ENKUlT_T0_E_clISt17integral_constantIbLb0EES17_IbLb1EEEEDaS13_S14_EUlS13_E_NS1_11comp_targetILNS1_3genE2ELNS1_11target_archE906ELNS1_3gpuE6ELNS1_3repE0EEENS1_30default_config_static_selectorELNS0_4arch9wavefront6targetE0EEEvT1_.kd
    .uniform_work_group_size: 1
    .uses_dynamic_stack: false
    .vgpr_count:     0
    .vgpr_spill_count: 0
    .wavefront_size: 32
    .workgroup_processor_mode: 1
  - .args:
      - .offset:         0
        .size:           128
        .value_kind:     by_value
    .group_segment_fixed_size: 13840
    .kernarg_segment_align: 8
    .kernarg_segment_size: 128
    .language:       OpenCL C
    .language_version:
      - 2
      - 0
    .max_flat_workgroup_size: 384
    .name:           _ZN7rocprim17ROCPRIM_400000_NS6detail17trampoline_kernelINS0_14default_configENS1_25partition_config_selectorILNS1_17partition_subalgoE6EtNS0_10empty_typeEbEEZZNS1_14partition_implILS5_6ELb0ES3_mN6thrust23THRUST_200600_302600_NS6detail15normal_iteratorINSA_10device_ptrItEEEEPS6_SG_NS0_5tupleIJSF_S6_EEENSH_IJSG_SG_EEES6_PlJNSB_9not_fun_tI7is_evenItEEEEEE10hipError_tPvRmT3_T4_T5_T6_T7_T9_mT8_P12ihipStream_tbDpT10_ENKUlT_T0_E_clISt17integral_constantIbLb0EES17_IbLb1EEEEDaS13_S14_EUlS13_E_NS1_11comp_targetILNS1_3genE10ELNS1_11target_archE1200ELNS1_3gpuE4ELNS1_3repE0EEENS1_30default_config_static_selectorELNS0_4arch9wavefront6targetE0EEEvT1_
    .private_segment_fixed_size: 0
    .sgpr_count:     22
    .sgpr_spill_count: 0
    .symbol:         _ZN7rocprim17ROCPRIM_400000_NS6detail17trampoline_kernelINS0_14default_configENS1_25partition_config_selectorILNS1_17partition_subalgoE6EtNS0_10empty_typeEbEEZZNS1_14partition_implILS5_6ELb0ES3_mN6thrust23THRUST_200600_302600_NS6detail15normal_iteratorINSA_10device_ptrItEEEEPS6_SG_NS0_5tupleIJSF_S6_EEENSH_IJSG_SG_EEES6_PlJNSB_9not_fun_tI7is_evenItEEEEEE10hipError_tPvRmT3_T4_T5_T6_T7_T9_mT8_P12ihipStream_tbDpT10_ENKUlT_T0_E_clISt17integral_constantIbLb0EES17_IbLb1EEEEDaS13_S14_EUlS13_E_NS1_11comp_targetILNS1_3genE10ELNS1_11target_archE1200ELNS1_3gpuE4ELNS1_3repE0EEENS1_30default_config_static_selectorELNS0_4arch9wavefront6targetE0EEEvT1_.kd
    .uniform_work_group_size: 1
    .uses_dynamic_stack: false
    .vgpr_count:     79
    .vgpr_spill_count: 0
    .wavefront_size: 32
    .workgroup_processor_mode: 1
  - .args:
      - .offset:         0
        .size:           128
        .value_kind:     by_value
    .group_segment_fixed_size: 0
    .kernarg_segment_align: 8
    .kernarg_segment_size: 128
    .language:       OpenCL C
    .language_version:
      - 2
      - 0
    .max_flat_workgroup_size: 128
    .name:           _ZN7rocprim17ROCPRIM_400000_NS6detail17trampoline_kernelINS0_14default_configENS1_25partition_config_selectorILNS1_17partition_subalgoE6EtNS0_10empty_typeEbEEZZNS1_14partition_implILS5_6ELb0ES3_mN6thrust23THRUST_200600_302600_NS6detail15normal_iteratorINSA_10device_ptrItEEEEPS6_SG_NS0_5tupleIJSF_S6_EEENSH_IJSG_SG_EEES6_PlJNSB_9not_fun_tI7is_evenItEEEEEE10hipError_tPvRmT3_T4_T5_T6_T7_T9_mT8_P12ihipStream_tbDpT10_ENKUlT_T0_E_clISt17integral_constantIbLb0EES17_IbLb1EEEEDaS13_S14_EUlS13_E_NS1_11comp_targetILNS1_3genE9ELNS1_11target_archE1100ELNS1_3gpuE3ELNS1_3repE0EEENS1_30default_config_static_selectorELNS0_4arch9wavefront6targetE0EEEvT1_
    .private_segment_fixed_size: 0
    .sgpr_count:     0
    .sgpr_spill_count: 0
    .symbol:         _ZN7rocprim17ROCPRIM_400000_NS6detail17trampoline_kernelINS0_14default_configENS1_25partition_config_selectorILNS1_17partition_subalgoE6EtNS0_10empty_typeEbEEZZNS1_14partition_implILS5_6ELb0ES3_mN6thrust23THRUST_200600_302600_NS6detail15normal_iteratorINSA_10device_ptrItEEEEPS6_SG_NS0_5tupleIJSF_S6_EEENSH_IJSG_SG_EEES6_PlJNSB_9not_fun_tI7is_evenItEEEEEE10hipError_tPvRmT3_T4_T5_T6_T7_T9_mT8_P12ihipStream_tbDpT10_ENKUlT_T0_E_clISt17integral_constantIbLb0EES17_IbLb1EEEEDaS13_S14_EUlS13_E_NS1_11comp_targetILNS1_3genE9ELNS1_11target_archE1100ELNS1_3gpuE3ELNS1_3repE0EEENS1_30default_config_static_selectorELNS0_4arch9wavefront6targetE0EEEvT1_.kd
    .uniform_work_group_size: 1
    .uses_dynamic_stack: false
    .vgpr_count:     0
    .vgpr_spill_count: 0
    .wavefront_size: 32
    .workgroup_processor_mode: 1
  - .args:
      - .offset:         0
        .size:           128
        .value_kind:     by_value
    .group_segment_fixed_size: 0
    .kernarg_segment_align: 8
    .kernarg_segment_size: 128
    .language:       OpenCL C
    .language_version:
      - 2
      - 0
    .max_flat_workgroup_size: 256
    .name:           _ZN7rocprim17ROCPRIM_400000_NS6detail17trampoline_kernelINS0_14default_configENS1_25partition_config_selectorILNS1_17partition_subalgoE6EtNS0_10empty_typeEbEEZZNS1_14partition_implILS5_6ELb0ES3_mN6thrust23THRUST_200600_302600_NS6detail15normal_iteratorINSA_10device_ptrItEEEEPS6_SG_NS0_5tupleIJSF_S6_EEENSH_IJSG_SG_EEES6_PlJNSB_9not_fun_tI7is_evenItEEEEEE10hipError_tPvRmT3_T4_T5_T6_T7_T9_mT8_P12ihipStream_tbDpT10_ENKUlT_T0_E_clISt17integral_constantIbLb0EES17_IbLb1EEEEDaS13_S14_EUlS13_E_NS1_11comp_targetILNS1_3genE8ELNS1_11target_archE1030ELNS1_3gpuE2ELNS1_3repE0EEENS1_30default_config_static_selectorELNS0_4arch9wavefront6targetE0EEEvT1_
    .private_segment_fixed_size: 0
    .sgpr_count:     0
    .sgpr_spill_count: 0
    .symbol:         _ZN7rocprim17ROCPRIM_400000_NS6detail17trampoline_kernelINS0_14default_configENS1_25partition_config_selectorILNS1_17partition_subalgoE6EtNS0_10empty_typeEbEEZZNS1_14partition_implILS5_6ELb0ES3_mN6thrust23THRUST_200600_302600_NS6detail15normal_iteratorINSA_10device_ptrItEEEEPS6_SG_NS0_5tupleIJSF_S6_EEENSH_IJSG_SG_EEES6_PlJNSB_9not_fun_tI7is_evenItEEEEEE10hipError_tPvRmT3_T4_T5_T6_T7_T9_mT8_P12ihipStream_tbDpT10_ENKUlT_T0_E_clISt17integral_constantIbLb0EES17_IbLb1EEEEDaS13_S14_EUlS13_E_NS1_11comp_targetILNS1_3genE8ELNS1_11target_archE1030ELNS1_3gpuE2ELNS1_3repE0EEENS1_30default_config_static_selectorELNS0_4arch9wavefront6targetE0EEEvT1_.kd
    .uniform_work_group_size: 1
    .uses_dynamic_stack: false
    .vgpr_count:     0
    .vgpr_spill_count: 0
    .wavefront_size: 32
    .workgroup_processor_mode: 1
  - .args:
      - .offset:         0
        .size:           112
        .value_kind:     by_value
    .group_segment_fixed_size: 0
    .kernarg_segment_align: 8
    .kernarg_segment_size: 112
    .language:       OpenCL C
    .language_version:
      - 2
      - 0
    .max_flat_workgroup_size: 128
    .name:           _ZN7rocprim17ROCPRIM_400000_NS6detail17trampoline_kernelINS0_14default_configENS1_25partition_config_selectorILNS1_17partition_subalgoE6ExNS0_10empty_typeEbEEZZNS1_14partition_implILS5_6ELb0ES3_mN6thrust23THRUST_200600_302600_NS6detail15normal_iteratorINSA_10device_ptrIxEEEEPS6_SG_NS0_5tupleIJSF_S6_EEENSH_IJSG_SG_EEES6_PlJNSB_9not_fun_tI7is_evenIxEEEEEE10hipError_tPvRmT3_T4_T5_T6_T7_T9_mT8_P12ihipStream_tbDpT10_ENKUlT_T0_E_clISt17integral_constantIbLb0EES18_EEDaS13_S14_EUlS13_E_NS1_11comp_targetILNS1_3genE0ELNS1_11target_archE4294967295ELNS1_3gpuE0ELNS1_3repE0EEENS1_30default_config_static_selectorELNS0_4arch9wavefront6targetE0EEEvT1_
    .private_segment_fixed_size: 0
    .sgpr_count:     0
    .sgpr_spill_count: 0
    .symbol:         _ZN7rocprim17ROCPRIM_400000_NS6detail17trampoline_kernelINS0_14default_configENS1_25partition_config_selectorILNS1_17partition_subalgoE6ExNS0_10empty_typeEbEEZZNS1_14partition_implILS5_6ELb0ES3_mN6thrust23THRUST_200600_302600_NS6detail15normal_iteratorINSA_10device_ptrIxEEEEPS6_SG_NS0_5tupleIJSF_S6_EEENSH_IJSG_SG_EEES6_PlJNSB_9not_fun_tI7is_evenIxEEEEEE10hipError_tPvRmT3_T4_T5_T6_T7_T9_mT8_P12ihipStream_tbDpT10_ENKUlT_T0_E_clISt17integral_constantIbLb0EES18_EEDaS13_S14_EUlS13_E_NS1_11comp_targetILNS1_3genE0ELNS1_11target_archE4294967295ELNS1_3gpuE0ELNS1_3repE0EEENS1_30default_config_static_selectorELNS0_4arch9wavefront6targetE0EEEvT1_.kd
    .uniform_work_group_size: 1
    .uses_dynamic_stack: false
    .vgpr_count:     0
    .vgpr_spill_count: 0
    .wavefront_size: 32
    .workgroup_processor_mode: 1
  - .args:
      - .offset:         0
        .size:           112
        .value_kind:     by_value
    .group_segment_fixed_size: 0
    .kernarg_segment_align: 8
    .kernarg_segment_size: 112
    .language:       OpenCL C
    .language_version:
      - 2
      - 0
    .max_flat_workgroup_size: 512
    .name:           _ZN7rocprim17ROCPRIM_400000_NS6detail17trampoline_kernelINS0_14default_configENS1_25partition_config_selectorILNS1_17partition_subalgoE6ExNS0_10empty_typeEbEEZZNS1_14partition_implILS5_6ELb0ES3_mN6thrust23THRUST_200600_302600_NS6detail15normal_iteratorINSA_10device_ptrIxEEEEPS6_SG_NS0_5tupleIJSF_S6_EEENSH_IJSG_SG_EEES6_PlJNSB_9not_fun_tI7is_evenIxEEEEEE10hipError_tPvRmT3_T4_T5_T6_T7_T9_mT8_P12ihipStream_tbDpT10_ENKUlT_T0_E_clISt17integral_constantIbLb0EES18_EEDaS13_S14_EUlS13_E_NS1_11comp_targetILNS1_3genE5ELNS1_11target_archE942ELNS1_3gpuE9ELNS1_3repE0EEENS1_30default_config_static_selectorELNS0_4arch9wavefront6targetE0EEEvT1_
    .private_segment_fixed_size: 0
    .sgpr_count:     0
    .sgpr_spill_count: 0
    .symbol:         _ZN7rocprim17ROCPRIM_400000_NS6detail17trampoline_kernelINS0_14default_configENS1_25partition_config_selectorILNS1_17partition_subalgoE6ExNS0_10empty_typeEbEEZZNS1_14partition_implILS5_6ELb0ES3_mN6thrust23THRUST_200600_302600_NS6detail15normal_iteratorINSA_10device_ptrIxEEEEPS6_SG_NS0_5tupleIJSF_S6_EEENSH_IJSG_SG_EEES6_PlJNSB_9not_fun_tI7is_evenIxEEEEEE10hipError_tPvRmT3_T4_T5_T6_T7_T9_mT8_P12ihipStream_tbDpT10_ENKUlT_T0_E_clISt17integral_constantIbLb0EES18_EEDaS13_S14_EUlS13_E_NS1_11comp_targetILNS1_3genE5ELNS1_11target_archE942ELNS1_3gpuE9ELNS1_3repE0EEENS1_30default_config_static_selectorELNS0_4arch9wavefront6targetE0EEEvT1_.kd
    .uniform_work_group_size: 1
    .uses_dynamic_stack: false
    .vgpr_count:     0
    .vgpr_spill_count: 0
    .wavefront_size: 32
    .workgroup_processor_mode: 1
  - .args:
      - .offset:         0
        .size:           112
        .value_kind:     by_value
    .group_segment_fixed_size: 0
    .kernarg_segment_align: 8
    .kernarg_segment_size: 112
    .language:       OpenCL C
    .language_version:
      - 2
      - 0
    .max_flat_workgroup_size: 512
    .name:           _ZN7rocprim17ROCPRIM_400000_NS6detail17trampoline_kernelINS0_14default_configENS1_25partition_config_selectorILNS1_17partition_subalgoE6ExNS0_10empty_typeEbEEZZNS1_14partition_implILS5_6ELb0ES3_mN6thrust23THRUST_200600_302600_NS6detail15normal_iteratorINSA_10device_ptrIxEEEEPS6_SG_NS0_5tupleIJSF_S6_EEENSH_IJSG_SG_EEES6_PlJNSB_9not_fun_tI7is_evenIxEEEEEE10hipError_tPvRmT3_T4_T5_T6_T7_T9_mT8_P12ihipStream_tbDpT10_ENKUlT_T0_E_clISt17integral_constantIbLb0EES18_EEDaS13_S14_EUlS13_E_NS1_11comp_targetILNS1_3genE4ELNS1_11target_archE910ELNS1_3gpuE8ELNS1_3repE0EEENS1_30default_config_static_selectorELNS0_4arch9wavefront6targetE0EEEvT1_
    .private_segment_fixed_size: 0
    .sgpr_count:     0
    .sgpr_spill_count: 0
    .symbol:         _ZN7rocprim17ROCPRIM_400000_NS6detail17trampoline_kernelINS0_14default_configENS1_25partition_config_selectorILNS1_17partition_subalgoE6ExNS0_10empty_typeEbEEZZNS1_14partition_implILS5_6ELb0ES3_mN6thrust23THRUST_200600_302600_NS6detail15normal_iteratorINSA_10device_ptrIxEEEEPS6_SG_NS0_5tupleIJSF_S6_EEENSH_IJSG_SG_EEES6_PlJNSB_9not_fun_tI7is_evenIxEEEEEE10hipError_tPvRmT3_T4_T5_T6_T7_T9_mT8_P12ihipStream_tbDpT10_ENKUlT_T0_E_clISt17integral_constantIbLb0EES18_EEDaS13_S14_EUlS13_E_NS1_11comp_targetILNS1_3genE4ELNS1_11target_archE910ELNS1_3gpuE8ELNS1_3repE0EEENS1_30default_config_static_selectorELNS0_4arch9wavefront6targetE0EEEvT1_.kd
    .uniform_work_group_size: 1
    .uses_dynamic_stack: false
    .vgpr_count:     0
    .vgpr_spill_count: 0
    .wavefront_size: 32
    .workgroup_processor_mode: 1
  - .args:
      - .offset:         0
        .size:           112
        .value_kind:     by_value
    .group_segment_fixed_size: 0
    .kernarg_segment_align: 8
    .kernarg_segment_size: 112
    .language:       OpenCL C
    .language_version:
      - 2
      - 0
    .max_flat_workgroup_size: 128
    .name:           _ZN7rocprim17ROCPRIM_400000_NS6detail17trampoline_kernelINS0_14default_configENS1_25partition_config_selectorILNS1_17partition_subalgoE6ExNS0_10empty_typeEbEEZZNS1_14partition_implILS5_6ELb0ES3_mN6thrust23THRUST_200600_302600_NS6detail15normal_iteratorINSA_10device_ptrIxEEEEPS6_SG_NS0_5tupleIJSF_S6_EEENSH_IJSG_SG_EEES6_PlJNSB_9not_fun_tI7is_evenIxEEEEEE10hipError_tPvRmT3_T4_T5_T6_T7_T9_mT8_P12ihipStream_tbDpT10_ENKUlT_T0_E_clISt17integral_constantIbLb0EES18_EEDaS13_S14_EUlS13_E_NS1_11comp_targetILNS1_3genE3ELNS1_11target_archE908ELNS1_3gpuE7ELNS1_3repE0EEENS1_30default_config_static_selectorELNS0_4arch9wavefront6targetE0EEEvT1_
    .private_segment_fixed_size: 0
    .sgpr_count:     0
    .sgpr_spill_count: 0
    .symbol:         _ZN7rocprim17ROCPRIM_400000_NS6detail17trampoline_kernelINS0_14default_configENS1_25partition_config_selectorILNS1_17partition_subalgoE6ExNS0_10empty_typeEbEEZZNS1_14partition_implILS5_6ELb0ES3_mN6thrust23THRUST_200600_302600_NS6detail15normal_iteratorINSA_10device_ptrIxEEEEPS6_SG_NS0_5tupleIJSF_S6_EEENSH_IJSG_SG_EEES6_PlJNSB_9not_fun_tI7is_evenIxEEEEEE10hipError_tPvRmT3_T4_T5_T6_T7_T9_mT8_P12ihipStream_tbDpT10_ENKUlT_T0_E_clISt17integral_constantIbLb0EES18_EEDaS13_S14_EUlS13_E_NS1_11comp_targetILNS1_3genE3ELNS1_11target_archE908ELNS1_3gpuE7ELNS1_3repE0EEENS1_30default_config_static_selectorELNS0_4arch9wavefront6targetE0EEEvT1_.kd
    .uniform_work_group_size: 1
    .uses_dynamic_stack: false
    .vgpr_count:     0
    .vgpr_spill_count: 0
    .wavefront_size: 32
    .workgroup_processor_mode: 1
  - .args:
      - .offset:         0
        .size:           112
        .value_kind:     by_value
    .group_segment_fixed_size: 0
    .kernarg_segment_align: 8
    .kernarg_segment_size: 112
    .language:       OpenCL C
    .language_version:
      - 2
      - 0
    .max_flat_workgroup_size: 256
    .name:           _ZN7rocprim17ROCPRIM_400000_NS6detail17trampoline_kernelINS0_14default_configENS1_25partition_config_selectorILNS1_17partition_subalgoE6ExNS0_10empty_typeEbEEZZNS1_14partition_implILS5_6ELb0ES3_mN6thrust23THRUST_200600_302600_NS6detail15normal_iteratorINSA_10device_ptrIxEEEEPS6_SG_NS0_5tupleIJSF_S6_EEENSH_IJSG_SG_EEES6_PlJNSB_9not_fun_tI7is_evenIxEEEEEE10hipError_tPvRmT3_T4_T5_T6_T7_T9_mT8_P12ihipStream_tbDpT10_ENKUlT_T0_E_clISt17integral_constantIbLb0EES18_EEDaS13_S14_EUlS13_E_NS1_11comp_targetILNS1_3genE2ELNS1_11target_archE906ELNS1_3gpuE6ELNS1_3repE0EEENS1_30default_config_static_selectorELNS0_4arch9wavefront6targetE0EEEvT1_
    .private_segment_fixed_size: 0
    .sgpr_count:     0
    .sgpr_spill_count: 0
    .symbol:         _ZN7rocprim17ROCPRIM_400000_NS6detail17trampoline_kernelINS0_14default_configENS1_25partition_config_selectorILNS1_17partition_subalgoE6ExNS0_10empty_typeEbEEZZNS1_14partition_implILS5_6ELb0ES3_mN6thrust23THRUST_200600_302600_NS6detail15normal_iteratorINSA_10device_ptrIxEEEEPS6_SG_NS0_5tupleIJSF_S6_EEENSH_IJSG_SG_EEES6_PlJNSB_9not_fun_tI7is_evenIxEEEEEE10hipError_tPvRmT3_T4_T5_T6_T7_T9_mT8_P12ihipStream_tbDpT10_ENKUlT_T0_E_clISt17integral_constantIbLb0EES18_EEDaS13_S14_EUlS13_E_NS1_11comp_targetILNS1_3genE2ELNS1_11target_archE906ELNS1_3gpuE6ELNS1_3repE0EEENS1_30default_config_static_selectorELNS0_4arch9wavefront6targetE0EEEvT1_.kd
    .uniform_work_group_size: 1
    .uses_dynamic_stack: false
    .vgpr_count:     0
    .vgpr_spill_count: 0
    .wavefront_size: 32
    .workgroup_processor_mode: 1
  - .args:
      - .offset:         0
        .size:           112
        .value_kind:     by_value
    .group_segment_fixed_size: 8464
    .kernarg_segment_align: 8
    .kernarg_segment_size: 112
    .language:       OpenCL C
    .language_version:
      - 2
      - 0
    .max_flat_workgroup_size: 256
    .name:           _ZN7rocprim17ROCPRIM_400000_NS6detail17trampoline_kernelINS0_14default_configENS1_25partition_config_selectorILNS1_17partition_subalgoE6ExNS0_10empty_typeEbEEZZNS1_14partition_implILS5_6ELb0ES3_mN6thrust23THRUST_200600_302600_NS6detail15normal_iteratorINSA_10device_ptrIxEEEEPS6_SG_NS0_5tupleIJSF_S6_EEENSH_IJSG_SG_EEES6_PlJNSB_9not_fun_tI7is_evenIxEEEEEE10hipError_tPvRmT3_T4_T5_T6_T7_T9_mT8_P12ihipStream_tbDpT10_ENKUlT_T0_E_clISt17integral_constantIbLb0EES18_EEDaS13_S14_EUlS13_E_NS1_11comp_targetILNS1_3genE10ELNS1_11target_archE1200ELNS1_3gpuE4ELNS1_3repE0EEENS1_30default_config_static_selectorELNS0_4arch9wavefront6targetE0EEEvT1_
    .private_segment_fixed_size: 0
    .sgpr_count:     24
    .sgpr_spill_count: 0
    .symbol:         _ZN7rocprim17ROCPRIM_400000_NS6detail17trampoline_kernelINS0_14default_configENS1_25partition_config_selectorILNS1_17partition_subalgoE6ExNS0_10empty_typeEbEEZZNS1_14partition_implILS5_6ELb0ES3_mN6thrust23THRUST_200600_302600_NS6detail15normal_iteratorINSA_10device_ptrIxEEEEPS6_SG_NS0_5tupleIJSF_S6_EEENSH_IJSG_SG_EEES6_PlJNSB_9not_fun_tI7is_evenIxEEEEEE10hipError_tPvRmT3_T4_T5_T6_T7_T9_mT8_P12ihipStream_tbDpT10_ENKUlT_T0_E_clISt17integral_constantIbLb0EES18_EEDaS13_S14_EUlS13_E_NS1_11comp_targetILNS1_3genE10ELNS1_11target_archE1200ELNS1_3gpuE4ELNS1_3repE0EEENS1_30default_config_static_selectorELNS0_4arch9wavefront6targetE0EEEvT1_.kd
    .uniform_work_group_size: 1
    .uses_dynamic_stack: false
    .vgpr_count:     47
    .vgpr_spill_count: 0
    .wavefront_size: 32
    .workgroup_processor_mode: 1
  - .args:
      - .offset:         0
        .size:           112
        .value_kind:     by_value
    .group_segment_fixed_size: 0
    .kernarg_segment_align: 8
    .kernarg_segment_size: 112
    .language:       OpenCL C
    .language_version:
      - 2
      - 0
    .max_flat_workgroup_size: 384
    .name:           _ZN7rocprim17ROCPRIM_400000_NS6detail17trampoline_kernelINS0_14default_configENS1_25partition_config_selectorILNS1_17partition_subalgoE6ExNS0_10empty_typeEbEEZZNS1_14partition_implILS5_6ELb0ES3_mN6thrust23THRUST_200600_302600_NS6detail15normal_iteratorINSA_10device_ptrIxEEEEPS6_SG_NS0_5tupleIJSF_S6_EEENSH_IJSG_SG_EEES6_PlJNSB_9not_fun_tI7is_evenIxEEEEEE10hipError_tPvRmT3_T4_T5_T6_T7_T9_mT8_P12ihipStream_tbDpT10_ENKUlT_T0_E_clISt17integral_constantIbLb0EES18_EEDaS13_S14_EUlS13_E_NS1_11comp_targetILNS1_3genE9ELNS1_11target_archE1100ELNS1_3gpuE3ELNS1_3repE0EEENS1_30default_config_static_selectorELNS0_4arch9wavefront6targetE0EEEvT1_
    .private_segment_fixed_size: 0
    .sgpr_count:     0
    .sgpr_spill_count: 0
    .symbol:         _ZN7rocprim17ROCPRIM_400000_NS6detail17trampoline_kernelINS0_14default_configENS1_25partition_config_selectorILNS1_17partition_subalgoE6ExNS0_10empty_typeEbEEZZNS1_14partition_implILS5_6ELb0ES3_mN6thrust23THRUST_200600_302600_NS6detail15normal_iteratorINSA_10device_ptrIxEEEEPS6_SG_NS0_5tupleIJSF_S6_EEENSH_IJSG_SG_EEES6_PlJNSB_9not_fun_tI7is_evenIxEEEEEE10hipError_tPvRmT3_T4_T5_T6_T7_T9_mT8_P12ihipStream_tbDpT10_ENKUlT_T0_E_clISt17integral_constantIbLb0EES18_EEDaS13_S14_EUlS13_E_NS1_11comp_targetILNS1_3genE9ELNS1_11target_archE1100ELNS1_3gpuE3ELNS1_3repE0EEENS1_30default_config_static_selectorELNS0_4arch9wavefront6targetE0EEEvT1_.kd
    .uniform_work_group_size: 1
    .uses_dynamic_stack: false
    .vgpr_count:     0
    .vgpr_spill_count: 0
    .wavefront_size: 32
    .workgroup_processor_mode: 1
  - .args:
      - .offset:         0
        .size:           112
        .value_kind:     by_value
    .group_segment_fixed_size: 0
    .kernarg_segment_align: 8
    .kernarg_segment_size: 112
    .language:       OpenCL C
    .language_version:
      - 2
      - 0
    .max_flat_workgroup_size: 512
    .name:           _ZN7rocprim17ROCPRIM_400000_NS6detail17trampoline_kernelINS0_14default_configENS1_25partition_config_selectorILNS1_17partition_subalgoE6ExNS0_10empty_typeEbEEZZNS1_14partition_implILS5_6ELb0ES3_mN6thrust23THRUST_200600_302600_NS6detail15normal_iteratorINSA_10device_ptrIxEEEEPS6_SG_NS0_5tupleIJSF_S6_EEENSH_IJSG_SG_EEES6_PlJNSB_9not_fun_tI7is_evenIxEEEEEE10hipError_tPvRmT3_T4_T5_T6_T7_T9_mT8_P12ihipStream_tbDpT10_ENKUlT_T0_E_clISt17integral_constantIbLb0EES18_EEDaS13_S14_EUlS13_E_NS1_11comp_targetILNS1_3genE8ELNS1_11target_archE1030ELNS1_3gpuE2ELNS1_3repE0EEENS1_30default_config_static_selectorELNS0_4arch9wavefront6targetE0EEEvT1_
    .private_segment_fixed_size: 0
    .sgpr_count:     0
    .sgpr_spill_count: 0
    .symbol:         _ZN7rocprim17ROCPRIM_400000_NS6detail17trampoline_kernelINS0_14default_configENS1_25partition_config_selectorILNS1_17partition_subalgoE6ExNS0_10empty_typeEbEEZZNS1_14partition_implILS5_6ELb0ES3_mN6thrust23THRUST_200600_302600_NS6detail15normal_iteratorINSA_10device_ptrIxEEEEPS6_SG_NS0_5tupleIJSF_S6_EEENSH_IJSG_SG_EEES6_PlJNSB_9not_fun_tI7is_evenIxEEEEEE10hipError_tPvRmT3_T4_T5_T6_T7_T9_mT8_P12ihipStream_tbDpT10_ENKUlT_T0_E_clISt17integral_constantIbLb0EES18_EEDaS13_S14_EUlS13_E_NS1_11comp_targetILNS1_3genE8ELNS1_11target_archE1030ELNS1_3gpuE2ELNS1_3repE0EEENS1_30default_config_static_selectorELNS0_4arch9wavefront6targetE0EEEvT1_.kd
    .uniform_work_group_size: 1
    .uses_dynamic_stack: false
    .vgpr_count:     0
    .vgpr_spill_count: 0
    .wavefront_size: 32
    .workgroup_processor_mode: 1
  - .args:
      - .offset:         0
        .size:           128
        .value_kind:     by_value
    .group_segment_fixed_size: 0
    .kernarg_segment_align: 8
    .kernarg_segment_size: 128
    .language:       OpenCL C
    .language_version:
      - 2
      - 0
    .max_flat_workgroup_size: 128
    .name:           _ZN7rocprim17ROCPRIM_400000_NS6detail17trampoline_kernelINS0_14default_configENS1_25partition_config_selectorILNS1_17partition_subalgoE6ExNS0_10empty_typeEbEEZZNS1_14partition_implILS5_6ELb0ES3_mN6thrust23THRUST_200600_302600_NS6detail15normal_iteratorINSA_10device_ptrIxEEEEPS6_SG_NS0_5tupleIJSF_S6_EEENSH_IJSG_SG_EEES6_PlJNSB_9not_fun_tI7is_evenIxEEEEEE10hipError_tPvRmT3_T4_T5_T6_T7_T9_mT8_P12ihipStream_tbDpT10_ENKUlT_T0_E_clISt17integral_constantIbLb1EES18_EEDaS13_S14_EUlS13_E_NS1_11comp_targetILNS1_3genE0ELNS1_11target_archE4294967295ELNS1_3gpuE0ELNS1_3repE0EEENS1_30default_config_static_selectorELNS0_4arch9wavefront6targetE0EEEvT1_
    .private_segment_fixed_size: 0
    .sgpr_count:     0
    .sgpr_spill_count: 0
    .symbol:         _ZN7rocprim17ROCPRIM_400000_NS6detail17trampoline_kernelINS0_14default_configENS1_25partition_config_selectorILNS1_17partition_subalgoE6ExNS0_10empty_typeEbEEZZNS1_14partition_implILS5_6ELb0ES3_mN6thrust23THRUST_200600_302600_NS6detail15normal_iteratorINSA_10device_ptrIxEEEEPS6_SG_NS0_5tupleIJSF_S6_EEENSH_IJSG_SG_EEES6_PlJNSB_9not_fun_tI7is_evenIxEEEEEE10hipError_tPvRmT3_T4_T5_T6_T7_T9_mT8_P12ihipStream_tbDpT10_ENKUlT_T0_E_clISt17integral_constantIbLb1EES18_EEDaS13_S14_EUlS13_E_NS1_11comp_targetILNS1_3genE0ELNS1_11target_archE4294967295ELNS1_3gpuE0ELNS1_3repE0EEENS1_30default_config_static_selectorELNS0_4arch9wavefront6targetE0EEEvT1_.kd
    .uniform_work_group_size: 1
    .uses_dynamic_stack: false
    .vgpr_count:     0
    .vgpr_spill_count: 0
    .wavefront_size: 32
    .workgroup_processor_mode: 1
  - .args:
      - .offset:         0
        .size:           128
        .value_kind:     by_value
    .group_segment_fixed_size: 0
    .kernarg_segment_align: 8
    .kernarg_segment_size: 128
    .language:       OpenCL C
    .language_version:
      - 2
      - 0
    .max_flat_workgroup_size: 512
    .name:           _ZN7rocprim17ROCPRIM_400000_NS6detail17trampoline_kernelINS0_14default_configENS1_25partition_config_selectorILNS1_17partition_subalgoE6ExNS0_10empty_typeEbEEZZNS1_14partition_implILS5_6ELb0ES3_mN6thrust23THRUST_200600_302600_NS6detail15normal_iteratorINSA_10device_ptrIxEEEEPS6_SG_NS0_5tupleIJSF_S6_EEENSH_IJSG_SG_EEES6_PlJNSB_9not_fun_tI7is_evenIxEEEEEE10hipError_tPvRmT3_T4_T5_T6_T7_T9_mT8_P12ihipStream_tbDpT10_ENKUlT_T0_E_clISt17integral_constantIbLb1EES18_EEDaS13_S14_EUlS13_E_NS1_11comp_targetILNS1_3genE5ELNS1_11target_archE942ELNS1_3gpuE9ELNS1_3repE0EEENS1_30default_config_static_selectorELNS0_4arch9wavefront6targetE0EEEvT1_
    .private_segment_fixed_size: 0
    .sgpr_count:     0
    .sgpr_spill_count: 0
    .symbol:         _ZN7rocprim17ROCPRIM_400000_NS6detail17trampoline_kernelINS0_14default_configENS1_25partition_config_selectorILNS1_17partition_subalgoE6ExNS0_10empty_typeEbEEZZNS1_14partition_implILS5_6ELb0ES3_mN6thrust23THRUST_200600_302600_NS6detail15normal_iteratorINSA_10device_ptrIxEEEEPS6_SG_NS0_5tupleIJSF_S6_EEENSH_IJSG_SG_EEES6_PlJNSB_9not_fun_tI7is_evenIxEEEEEE10hipError_tPvRmT3_T4_T5_T6_T7_T9_mT8_P12ihipStream_tbDpT10_ENKUlT_T0_E_clISt17integral_constantIbLb1EES18_EEDaS13_S14_EUlS13_E_NS1_11comp_targetILNS1_3genE5ELNS1_11target_archE942ELNS1_3gpuE9ELNS1_3repE0EEENS1_30default_config_static_selectorELNS0_4arch9wavefront6targetE0EEEvT1_.kd
    .uniform_work_group_size: 1
    .uses_dynamic_stack: false
    .vgpr_count:     0
    .vgpr_spill_count: 0
    .wavefront_size: 32
    .workgroup_processor_mode: 1
  - .args:
      - .offset:         0
        .size:           128
        .value_kind:     by_value
    .group_segment_fixed_size: 0
    .kernarg_segment_align: 8
    .kernarg_segment_size: 128
    .language:       OpenCL C
    .language_version:
      - 2
      - 0
    .max_flat_workgroup_size: 512
    .name:           _ZN7rocprim17ROCPRIM_400000_NS6detail17trampoline_kernelINS0_14default_configENS1_25partition_config_selectorILNS1_17partition_subalgoE6ExNS0_10empty_typeEbEEZZNS1_14partition_implILS5_6ELb0ES3_mN6thrust23THRUST_200600_302600_NS6detail15normal_iteratorINSA_10device_ptrIxEEEEPS6_SG_NS0_5tupleIJSF_S6_EEENSH_IJSG_SG_EEES6_PlJNSB_9not_fun_tI7is_evenIxEEEEEE10hipError_tPvRmT3_T4_T5_T6_T7_T9_mT8_P12ihipStream_tbDpT10_ENKUlT_T0_E_clISt17integral_constantIbLb1EES18_EEDaS13_S14_EUlS13_E_NS1_11comp_targetILNS1_3genE4ELNS1_11target_archE910ELNS1_3gpuE8ELNS1_3repE0EEENS1_30default_config_static_selectorELNS0_4arch9wavefront6targetE0EEEvT1_
    .private_segment_fixed_size: 0
    .sgpr_count:     0
    .sgpr_spill_count: 0
    .symbol:         _ZN7rocprim17ROCPRIM_400000_NS6detail17trampoline_kernelINS0_14default_configENS1_25partition_config_selectorILNS1_17partition_subalgoE6ExNS0_10empty_typeEbEEZZNS1_14partition_implILS5_6ELb0ES3_mN6thrust23THRUST_200600_302600_NS6detail15normal_iteratorINSA_10device_ptrIxEEEEPS6_SG_NS0_5tupleIJSF_S6_EEENSH_IJSG_SG_EEES6_PlJNSB_9not_fun_tI7is_evenIxEEEEEE10hipError_tPvRmT3_T4_T5_T6_T7_T9_mT8_P12ihipStream_tbDpT10_ENKUlT_T0_E_clISt17integral_constantIbLb1EES18_EEDaS13_S14_EUlS13_E_NS1_11comp_targetILNS1_3genE4ELNS1_11target_archE910ELNS1_3gpuE8ELNS1_3repE0EEENS1_30default_config_static_selectorELNS0_4arch9wavefront6targetE0EEEvT1_.kd
    .uniform_work_group_size: 1
    .uses_dynamic_stack: false
    .vgpr_count:     0
    .vgpr_spill_count: 0
    .wavefront_size: 32
    .workgroup_processor_mode: 1
  - .args:
      - .offset:         0
        .size:           128
        .value_kind:     by_value
    .group_segment_fixed_size: 0
    .kernarg_segment_align: 8
    .kernarg_segment_size: 128
    .language:       OpenCL C
    .language_version:
      - 2
      - 0
    .max_flat_workgroup_size: 128
    .name:           _ZN7rocprim17ROCPRIM_400000_NS6detail17trampoline_kernelINS0_14default_configENS1_25partition_config_selectorILNS1_17partition_subalgoE6ExNS0_10empty_typeEbEEZZNS1_14partition_implILS5_6ELb0ES3_mN6thrust23THRUST_200600_302600_NS6detail15normal_iteratorINSA_10device_ptrIxEEEEPS6_SG_NS0_5tupleIJSF_S6_EEENSH_IJSG_SG_EEES6_PlJNSB_9not_fun_tI7is_evenIxEEEEEE10hipError_tPvRmT3_T4_T5_T6_T7_T9_mT8_P12ihipStream_tbDpT10_ENKUlT_T0_E_clISt17integral_constantIbLb1EES18_EEDaS13_S14_EUlS13_E_NS1_11comp_targetILNS1_3genE3ELNS1_11target_archE908ELNS1_3gpuE7ELNS1_3repE0EEENS1_30default_config_static_selectorELNS0_4arch9wavefront6targetE0EEEvT1_
    .private_segment_fixed_size: 0
    .sgpr_count:     0
    .sgpr_spill_count: 0
    .symbol:         _ZN7rocprim17ROCPRIM_400000_NS6detail17trampoline_kernelINS0_14default_configENS1_25partition_config_selectorILNS1_17partition_subalgoE6ExNS0_10empty_typeEbEEZZNS1_14partition_implILS5_6ELb0ES3_mN6thrust23THRUST_200600_302600_NS6detail15normal_iteratorINSA_10device_ptrIxEEEEPS6_SG_NS0_5tupleIJSF_S6_EEENSH_IJSG_SG_EEES6_PlJNSB_9not_fun_tI7is_evenIxEEEEEE10hipError_tPvRmT3_T4_T5_T6_T7_T9_mT8_P12ihipStream_tbDpT10_ENKUlT_T0_E_clISt17integral_constantIbLb1EES18_EEDaS13_S14_EUlS13_E_NS1_11comp_targetILNS1_3genE3ELNS1_11target_archE908ELNS1_3gpuE7ELNS1_3repE0EEENS1_30default_config_static_selectorELNS0_4arch9wavefront6targetE0EEEvT1_.kd
    .uniform_work_group_size: 1
    .uses_dynamic_stack: false
    .vgpr_count:     0
    .vgpr_spill_count: 0
    .wavefront_size: 32
    .workgroup_processor_mode: 1
  - .args:
      - .offset:         0
        .size:           128
        .value_kind:     by_value
    .group_segment_fixed_size: 0
    .kernarg_segment_align: 8
    .kernarg_segment_size: 128
    .language:       OpenCL C
    .language_version:
      - 2
      - 0
    .max_flat_workgroup_size: 256
    .name:           _ZN7rocprim17ROCPRIM_400000_NS6detail17trampoline_kernelINS0_14default_configENS1_25partition_config_selectorILNS1_17partition_subalgoE6ExNS0_10empty_typeEbEEZZNS1_14partition_implILS5_6ELb0ES3_mN6thrust23THRUST_200600_302600_NS6detail15normal_iteratorINSA_10device_ptrIxEEEEPS6_SG_NS0_5tupleIJSF_S6_EEENSH_IJSG_SG_EEES6_PlJNSB_9not_fun_tI7is_evenIxEEEEEE10hipError_tPvRmT3_T4_T5_T6_T7_T9_mT8_P12ihipStream_tbDpT10_ENKUlT_T0_E_clISt17integral_constantIbLb1EES18_EEDaS13_S14_EUlS13_E_NS1_11comp_targetILNS1_3genE2ELNS1_11target_archE906ELNS1_3gpuE6ELNS1_3repE0EEENS1_30default_config_static_selectorELNS0_4arch9wavefront6targetE0EEEvT1_
    .private_segment_fixed_size: 0
    .sgpr_count:     0
    .sgpr_spill_count: 0
    .symbol:         _ZN7rocprim17ROCPRIM_400000_NS6detail17trampoline_kernelINS0_14default_configENS1_25partition_config_selectorILNS1_17partition_subalgoE6ExNS0_10empty_typeEbEEZZNS1_14partition_implILS5_6ELb0ES3_mN6thrust23THRUST_200600_302600_NS6detail15normal_iteratorINSA_10device_ptrIxEEEEPS6_SG_NS0_5tupleIJSF_S6_EEENSH_IJSG_SG_EEES6_PlJNSB_9not_fun_tI7is_evenIxEEEEEE10hipError_tPvRmT3_T4_T5_T6_T7_T9_mT8_P12ihipStream_tbDpT10_ENKUlT_T0_E_clISt17integral_constantIbLb1EES18_EEDaS13_S14_EUlS13_E_NS1_11comp_targetILNS1_3genE2ELNS1_11target_archE906ELNS1_3gpuE6ELNS1_3repE0EEENS1_30default_config_static_selectorELNS0_4arch9wavefront6targetE0EEEvT1_.kd
    .uniform_work_group_size: 1
    .uses_dynamic_stack: false
    .vgpr_count:     0
    .vgpr_spill_count: 0
    .wavefront_size: 32
    .workgroup_processor_mode: 1
  - .args:
      - .offset:         0
        .size:           128
        .value_kind:     by_value
    .group_segment_fixed_size: 0
    .kernarg_segment_align: 8
    .kernarg_segment_size: 128
    .language:       OpenCL C
    .language_version:
      - 2
      - 0
    .max_flat_workgroup_size: 256
    .name:           _ZN7rocprim17ROCPRIM_400000_NS6detail17trampoline_kernelINS0_14default_configENS1_25partition_config_selectorILNS1_17partition_subalgoE6ExNS0_10empty_typeEbEEZZNS1_14partition_implILS5_6ELb0ES3_mN6thrust23THRUST_200600_302600_NS6detail15normal_iteratorINSA_10device_ptrIxEEEEPS6_SG_NS0_5tupleIJSF_S6_EEENSH_IJSG_SG_EEES6_PlJNSB_9not_fun_tI7is_evenIxEEEEEE10hipError_tPvRmT3_T4_T5_T6_T7_T9_mT8_P12ihipStream_tbDpT10_ENKUlT_T0_E_clISt17integral_constantIbLb1EES18_EEDaS13_S14_EUlS13_E_NS1_11comp_targetILNS1_3genE10ELNS1_11target_archE1200ELNS1_3gpuE4ELNS1_3repE0EEENS1_30default_config_static_selectorELNS0_4arch9wavefront6targetE0EEEvT1_
    .private_segment_fixed_size: 0
    .sgpr_count:     0
    .sgpr_spill_count: 0
    .symbol:         _ZN7rocprim17ROCPRIM_400000_NS6detail17trampoline_kernelINS0_14default_configENS1_25partition_config_selectorILNS1_17partition_subalgoE6ExNS0_10empty_typeEbEEZZNS1_14partition_implILS5_6ELb0ES3_mN6thrust23THRUST_200600_302600_NS6detail15normal_iteratorINSA_10device_ptrIxEEEEPS6_SG_NS0_5tupleIJSF_S6_EEENSH_IJSG_SG_EEES6_PlJNSB_9not_fun_tI7is_evenIxEEEEEE10hipError_tPvRmT3_T4_T5_T6_T7_T9_mT8_P12ihipStream_tbDpT10_ENKUlT_T0_E_clISt17integral_constantIbLb1EES18_EEDaS13_S14_EUlS13_E_NS1_11comp_targetILNS1_3genE10ELNS1_11target_archE1200ELNS1_3gpuE4ELNS1_3repE0EEENS1_30default_config_static_selectorELNS0_4arch9wavefront6targetE0EEEvT1_.kd
    .uniform_work_group_size: 1
    .uses_dynamic_stack: false
    .vgpr_count:     0
    .vgpr_spill_count: 0
    .wavefront_size: 32
    .workgroup_processor_mode: 1
  - .args:
      - .offset:         0
        .size:           128
        .value_kind:     by_value
    .group_segment_fixed_size: 0
    .kernarg_segment_align: 8
    .kernarg_segment_size: 128
    .language:       OpenCL C
    .language_version:
      - 2
      - 0
    .max_flat_workgroup_size: 384
    .name:           _ZN7rocprim17ROCPRIM_400000_NS6detail17trampoline_kernelINS0_14default_configENS1_25partition_config_selectorILNS1_17partition_subalgoE6ExNS0_10empty_typeEbEEZZNS1_14partition_implILS5_6ELb0ES3_mN6thrust23THRUST_200600_302600_NS6detail15normal_iteratorINSA_10device_ptrIxEEEEPS6_SG_NS0_5tupleIJSF_S6_EEENSH_IJSG_SG_EEES6_PlJNSB_9not_fun_tI7is_evenIxEEEEEE10hipError_tPvRmT3_T4_T5_T6_T7_T9_mT8_P12ihipStream_tbDpT10_ENKUlT_T0_E_clISt17integral_constantIbLb1EES18_EEDaS13_S14_EUlS13_E_NS1_11comp_targetILNS1_3genE9ELNS1_11target_archE1100ELNS1_3gpuE3ELNS1_3repE0EEENS1_30default_config_static_selectorELNS0_4arch9wavefront6targetE0EEEvT1_
    .private_segment_fixed_size: 0
    .sgpr_count:     0
    .sgpr_spill_count: 0
    .symbol:         _ZN7rocprim17ROCPRIM_400000_NS6detail17trampoline_kernelINS0_14default_configENS1_25partition_config_selectorILNS1_17partition_subalgoE6ExNS0_10empty_typeEbEEZZNS1_14partition_implILS5_6ELb0ES3_mN6thrust23THRUST_200600_302600_NS6detail15normal_iteratorINSA_10device_ptrIxEEEEPS6_SG_NS0_5tupleIJSF_S6_EEENSH_IJSG_SG_EEES6_PlJNSB_9not_fun_tI7is_evenIxEEEEEE10hipError_tPvRmT3_T4_T5_T6_T7_T9_mT8_P12ihipStream_tbDpT10_ENKUlT_T0_E_clISt17integral_constantIbLb1EES18_EEDaS13_S14_EUlS13_E_NS1_11comp_targetILNS1_3genE9ELNS1_11target_archE1100ELNS1_3gpuE3ELNS1_3repE0EEENS1_30default_config_static_selectorELNS0_4arch9wavefront6targetE0EEEvT1_.kd
    .uniform_work_group_size: 1
    .uses_dynamic_stack: false
    .vgpr_count:     0
    .vgpr_spill_count: 0
    .wavefront_size: 32
    .workgroup_processor_mode: 1
  - .args:
      - .offset:         0
        .size:           128
        .value_kind:     by_value
    .group_segment_fixed_size: 0
    .kernarg_segment_align: 8
    .kernarg_segment_size: 128
    .language:       OpenCL C
    .language_version:
      - 2
      - 0
    .max_flat_workgroup_size: 512
    .name:           _ZN7rocprim17ROCPRIM_400000_NS6detail17trampoline_kernelINS0_14default_configENS1_25partition_config_selectorILNS1_17partition_subalgoE6ExNS0_10empty_typeEbEEZZNS1_14partition_implILS5_6ELb0ES3_mN6thrust23THRUST_200600_302600_NS6detail15normal_iteratorINSA_10device_ptrIxEEEEPS6_SG_NS0_5tupleIJSF_S6_EEENSH_IJSG_SG_EEES6_PlJNSB_9not_fun_tI7is_evenIxEEEEEE10hipError_tPvRmT3_T4_T5_T6_T7_T9_mT8_P12ihipStream_tbDpT10_ENKUlT_T0_E_clISt17integral_constantIbLb1EES18_EEDaS13_S14_EUlS13_E_NS1_11comp_targetILNS1_3genE8ELNS1_11target_archE1030ELNS1_3gpuE2ELNS1_3repE0EEENS1_30default_config_static_selectorELNS0_4arch9wavefront6targetE0EEEvT1_
    .private_segment_fixed_size: 0
    .sgpr_count:     0
    .sgpr_spill_count: 0
    .symbol:         _ZN7rocprim17ROCPRIM_400000_NS6detail17trampoline_kernelINS0_14default_configENS1_25partition_config_selectorILNS1_17partition_subalgoE6ExNS0_10empty_typeEbEEZZNS1_14partition_implILS5_6ELb0ES3_mN6thrust23THRUST_200600_302600_NS6detail15normal_iteratorINSA_10device_ptrIxEEEEPS6_SG_NS0_5tupleIJSF_S6_EEENSH_IJSG_SG_EEES6_PlJNSB_9not_fun_tI7is_evenIxEEEEEE10hipError_tPvRmT3_T4_T5_T6_T7_T9_mT8_P12ihipStream_tbDpT10_ENKUlT_T0_E_clISt17integral_constantIbLb1EES18_EEDaS13_S14_EUlS13_E_NS1_11comp_targetILNS1_3genE8ELNS1_11target_archE1030ELNS1_3gpuE2ELNS1_3repE0EEENS1_30default_config_static_selectorELNS0_4arch9wavefront6targetE0EEEvT1_.kd
    .uniform_work_group_size: 1
    .uses_dynamic_stack: false
    .vgpr_count:     0
    .vgpr_spill_count: 0
    .wavefront_size: 32
    .workgroup_processor_mode: 1
  - .args:
      - .offset:         0
        .size:           112
        .value_kind:     by_value
    .group_segment_fixed_size: 0
    .kernarg_segment_align: 8
    .kernarg_segment_size: 112
    .language:       OpenCL C
    .language_version:
      - 2
      - 0
    .max_flat_workgroup_size: 128
    .name:           _ZN7rocprim17ROCPRIM_400000_NS6detail17trampoline_kernelINS0_14default_configENS1_25partition_config_selectorILNS1_17partition_subalgoE6ExNS0_10empty_typeEbEEZZNS1_14partition_implILS5_6ELb0ES3_mN6thrust23THRUST_200600_302600_NS6detail15normal_iteratorINSA_10device_ptrIxEEEEPS6_SG_NS0_5tupleIJSF_S6_EEENSH_IJSG_SG_EEES6_PlJNSB_9not_fun_tI7is_evenIxEEEEEE10hipError_tPvRmT3_T4_T5_T6_T7_T9_mT8_P12ihipStream_tbDpT10_ENKUlT_T0_E_clISt17integral_constantIbLb1EES17_IbLb0EEEEDaS13_S14_EUlS13_E_NS1_11comp_targetILNS1_3genE0ELNS1_11target_archE4294967295ELNS1_3gpuE0ELNS1_3repE0EEENS1_30default_config_static_selectorELNS0_4arch9wavefront6targetE0EEEvT1_
    .private_segment_fixed_size: 0
    .sgpr_count:     0
    .sgpr_spill_count: 0
    .symbol:         _ZN7rocprim17ROCPRIM_400000_NS6detail17trampoline_kernelINS0_14default_configENS1_25partition_config_selectorILNS1_17partition_subalgoE6ExNS0_10empty_typeEbEEZZNS1_14partition_implILS5_6ELb0ES3_mN6thrust23THRUST_200600_302600_NS6detail15normal_iteratorINSA_10device_ptrIxEEEEPS6_SG_NS0_5tupleIJSF_S6_EEENSH_IJSG_SG_EEES6_PlJNSB_9not_fun_tI7is_evenIxEEEEEE10hipError_tPvRmT3_T4_T5_T6_T7_T9_mT8_P12ihipStream_tbDpT10_ENKUlT_T0_E_clISt17integral_constantIbLb1EES17_IbLb0EEEEDaS13_S14_EUlS13_E_NS1_11comp_targetILNS1_3genE0ELNS1_11target_archE4294967295ELNS1_3gpuE0ELNS1_3repE0EEENS1_30default_config_static_selectorELNS0_4arch9wavefront6targetE0EEEvT1_.kd
    .uniform_work_group_size: 1
    .uses_dynamic_stack: false
    .vgpr_count:     0
    .vgpr_spill_count: 0
    .wavefront_size: 32
    .workgroup_processor_mode: 1
  - .args:
      - .offset:         0
        .size:           112
        .value_kind:     by_value
    .group_segment_fixed_size: 0
    .kernarg_segment_align: 8
    .kernarg_segment_size: 112
    .language:       OpenCL C
    .language_version:
      - 2
      - 0
    .max_flat_workgroup_size: 512
    .name:           _ZN7rocprim17ROCPRIM_400000_NS6detail17trampoline_kernelINS0_14default_configENS1_25partition_config_selectorILNS1_17partition_subalgoE6ExNS0_10empty_typeEbEEZZNS1_14partition_implILS5_6ELb0ES3_mN6thrust23THRUST_200600_302600_NS6detail15normal_iteratorINSA_10device_ptrIxEEEEPS6_SG_NS0_5tupleIJSF_S6_EEENSH_IJSG_SG_EEES6_PlJNSB_9not_fun_tI7is_evenIxEEEEEE10hipError_tPvRmT3_T4_T5_T6_T7_T9_mT8_P12ihipStream_tbDpT10_ENKUlT_T0_E_clISt17integral_constantIbLb1EES17_IbLb0EEEEDaS13_S14_EUlS13_E_NS1_11comp_targetILNS1_3genE5ELNS1_11target_archE942ELNS1_3gpuE9ELNS1_3repE0EEENS1_30default_config_static_selectorELNS0_4arch9wavefront6targetE0EEEvT1_
    .private_segment_fixed_size: 0
    .sgpr_count:     0
    .sgpr_spill_count: 0
    .symbol:         _ZN7rocprim17ROCPRIM_400000_NS6detail17trampoline_kernelINS0_14default_configENS1_25partition_config_selectorILNS1_17partition_subalgoE6ExNS0_10empty_typeEbEEZZNS1_14partition_implILS5_6ELb0ES3_mN6thrust23THRUST_200600_302600_NS6detail15normal_iteratorINSA_10device_ptrIxEEEEPS6_SG_NS0_5tupleIJSF_S6_EEENSH_IJSG_SG_EEES6_PlJNSB_9not_fun_tI7is_evenIxEEEEEE10hipError_tPvRmT3_T4_T5_T6_T7_T9_mT8_P12ihipStream_tbDpT10_ENKUlT_T0_E_clISt17integral_constantIbLb1EES17_IbLb0EEEEDaS13_S14_EUlS13_E_NS1_11comp_targetILNS1_3genE5ELNS1_11target_archE942ELNS1_3gpuE9ELNS1_3repE0EEENS1_30default_config_static_selectorELNS0_4arch9wavefront6targetE0EEEvT1_.kd
    .uniform_work_group_size: 1
    .uses_dynamic_stack: false
    .vgpr_count:     0
    .vgpr_spill_count: 0
    .wavefront_size: 32
    .workgroup_processor_mode: 1
  - .args:
      - .offset:         0
        .size:           112
        .value_kind:     by_value
    .group_segment_fixed_size: 0
    .kernarg_segment_align: 8
    .kernarg_segment_size: 112
    .language:       OpenCL C
    .language_version:
      - 2
      - 0
    .max_flat_workgroup_size: 512
    .name:           _ZN7rocprim17ROCPRIM_400000_NS6detail17trampoline_kernelINS0_14default_configENS1_25partition_config_selectorILNS1_17partition_subalgoE6ExNS0_10empty_typeEbEEZZNS1_14partition_implILS5_6ELb0ES3_mN6thrust23THRUST_200600_302600_NS6detail15normal_iteratorINSA_10device_ptrIxEEEEPS6_SG_NS0_5tupleIJSF_S6_EEENSH_IJSG_SG_EEES6_PlJNSB_9not_fun_tI7is_evenIxEEEEEE10hipError_tPvRmT3_T4_T5_T6_T7_T9_mT8_P12ihipStream_tbDpT10_ENKUlT_T0_E_clISt17integral_constantIbLb1EES17_IbLb0EEEEDaS13_S14_EUlS13_E_NS1_11comp_targetILNS1_3genE4ELNS1_11target_archE910ELNS1_3gpuE8ELNS1_3repE0EEENS1_30default_config_static_selectorELNS0_4arch9wavefront6targetE0EEEvT1_
    .private_segment_fixed_size: 0
    .sgpr_count:     0
    .sgpr_spill_count: 0
    .symbol:         _ZN7rocprim17ROCPRIM_400000_NS6detail17trampoline_kernelINS0_14default_configENS1_25partition_config_selectorILNS1_17partition_subalgoE6ExNS0_10empty_typeEbEEZZNS1_14partition_implILS5_6ELb0ES3_mN6thrust23THRUST_200600_302600_NS6detail15normal_iteratorINSA_10device_ptrIxEEEEPS6_SG_NS0_5tupleIJSF_S6_EEENSH_IJSG_SG_EEES6_PlJNSB_9not_fun_tI7is_evenIxEEEEEE10hipError_tPvRmT3_T4_T5_T6_T7_T9_mT8_P12ihipStream_tbDpT10_ENKUlT_T0_E_clISt17integral_constantIbLb1EES17_IbLb0EEEEDaS13_S14_EUlS13_E_NS1_11comp_targetILNS1_3genE4ELNS1_11target_archE910ELNS1_3gpuE8ELNS1_3repE0EEENS1_30default_config_static_selectorELNS0_4arch9wavefront6targetE0EEEvT1_.kd
    .uniform_work_group_size: 1
    .uses_dynamic_stack: false
    .vgpr_count:     0
    .vgpr_spill_count: 0
    .wavefront_size: 32
    .workgroup_processor_mode: 1
  - .args:
      - .offset:         0
        .size:           112
        .value_kind:     by_value
    .group_segment_fixed_size: 0
    .kernarg_segment_align: 8
    .kernarg_segment_size: 112
    .language:       OpenCL C
    .language_version:
      - 2
      - 0
    .max_flat_workgroup_size: 128
    .name:           _ZN7rocprim17ROCPRIM_400000_NS6detail17trampoline_kernelINS0_14default_configENS1_25partition_config_selectorILNS1_17partition_subalgoE6ExNS0_10empty_typeEbEEZZNS1_14partition_implILS5_6ELb0ES3_mN6thrust23THRUST_200600_302600_NS6detail15normal_iteratorINSA_10device_ptrIxEEEEPS6_SG_NS0_5tupleIJSF_S6_EEENSH_IJSG_SG_EEES6_PlJNSB_9not_fun_tI7is_evenIxEEEEEE10hipError_tPvRmT3_T4_T5_T6_T7_T9_mT8_P12ihipStream_tbDpT10_ENKUlT_T0_E_clISt17integral_constantIbLb1EES17_IbLb0EEEEDaS13_S14_EUlS13_E_NS1_11comp_targetILNS1_3genE3ELNS1_11target_archE908ELNS1_3gpuE7ELNS1_3repE0EEENS1_30default_config_static_selectorELNS0_4arch9wavefront6targetE0EEEvT1_
    .private_segment_fixed_size: 0
    .sgpr_count:     0
    .sgpr_spill_count: 0
    .symbol:         _ZN7rocprim17ROCPRIM_400000_NS6detail17trampoline_kernelINS0_14default_configENS1_25partition_config_selectorILNS1_17partition_subalgoE6ExNS0_10empty_typeEbEEZZNS1_14partition_implILS5_6ELb0ES3_mN6thrust23THRUST_200600_302600_NS6detail15normal_iteratorINSA_10device_ptrIxEEEEPS6_SG_NS0_5tupleIJSF_S6_EEENSH_IJSG_SG_EEES6_PlJNSB_9not_fun_tI7is_evenIxEEEEEE10hipError_tPvRmT3_T4_T5_T6_T7_T9_mT8_P12ihipStream_tbDpT10_ENKUlT_T0_E_clISt17integral_constantIbLb1EES17_IbLb0EEEEDaS13_S14_EUlS13_E_NS1_11comp_targetILNS1_3genE3ELNS1_11target_archE908ELNS1_3gpuE7ELNS1_3repE0EEENS1_30default_config_static_selectorELNS0_4arch9wavefront6targetE0EEEvT1_.kd
    .uniform_work_group_size: 1
    .uses_dynamic_stack: false
    .vgpr_count:     0
    .vgpr_spill_count: 0
    .wavefront_size: 32
    .workgroup_processor_mode: 1
  - .args:
      - .offset:         0
        .size:           112
        .value_kind:     by_value
    .group_segment_fixed_size: 0
    .kernarg_segment_align: 8
    .kernarg_segment_size: 112
    .language:       OpenCL C
    .language_version:
      - 2
      - 0
    .max_flat_workgroup_size: 256
    .name:           _ZN7rocprim17ROCPRIM_400000_NS6detail17trampoline_kernelINS0_14default_configENS1_25partition_config_selectorILNS1_17partition_subalgoE6ExNS0_10empty_typeEbEEZZNS1_14partition_implILS5_6ELb0ES3_mN6thrust23THRUST_200600_302600_NS6detail15normal_iteratorINSA_10device_ptrIxEEEEPS6_SG_NS0_5tupleIJSF_S6_EEENSH_IJSG_SG_EEES6_PlJNSB_9not_fun_tI7is_evenIxEEEEEE10hipError_tPvRmT3_T4_T5_T6_T7_T9_mT8_P12ihipStream_tbDpT10_ENKUlT_T0_E_clISt17integral_constantIbLb1EES17_IbLb0EEEEDaS13_S14_EUlS13_E_NS1_11comp_targetILNS1_3genE2ELNS1_11target_archE906ELNS1_3gpuE6ELNS1_3repE0EEENS1_30default_config_static_selectorELNS0_4arch9wavefront6targetE0EEEvT1_
    .private_segment_fixed_size: 0
    .sgpr_count:     0
    .sgpr_spill_count: 0
    .symbol:         _ZN7rocprim17ROCPRIM_400000_NS6detail17trampoline_kernelINS0_14default_configENS1_25partition_config_selectorILNS1_17partition_subalgoE6ExNS0_10empty_typeEbEEZZNS1_14partition_implILS5_6ELb0ES3_mN6thrust23THRUST_200600_302600_NS6detail15normal_iteratorINSA_10device_ptrIxEEEEPS6_SG_NS0_5tupleIJSF_S6_EEENSH_IJSG_SG_EEES6_PlJNSB_9not_fun_tI7is_evenIxEEEEEE10hipError_tPvRmT3_T4_T5_T6_T7_T9_mT8_P12ihipStream_tbDpT10_ENKUlT_T0_E_clISt17integral_constantIbLb1EES17_IbLb0EEEEDaS13_S14_EUlS13_E_NS1_11comp_targetILNS1_3genE2ELNS1_11target_archE906ELNS1_3gpuE6ELNS1_3repE0EEENS1_30default_config_static_selectorELNS0_4arch9wavefront6targetE0EEEvT1_.kd
    .uniform_work_group_size: 1
    .uses_dynamic_stack: false
    .vgpr_count:     0
    .vgpr_spill_count: 0
    .wavefront_size: 32
    .workgroup_processor_mode: 1
  - .args:
      - .offset:         0
        .size:           112
        .value_kind:     by_value
    .group_segment_fixed_size: 0
    .kernarg_segment_align: 8
    .kernarg_segment_size: 112
    .language:       OpenCL C
    .language_version:
      - 2
      - 0
    .max_flat_workgroup_size: 256
    .name:           _ZN7rocprim17ROCPRIM_400000_NS6detail17trampoline_kernelINS0_14default_configENS1_25partition_config_selectorILNS1_17partition_subalgoE6ExNS0_10empty_typeEbEEZZNS1_14partition_implILS5_6ELb0ES3_mN6thrust23THRUST_200600_302600_NS6detail15normal_iteratorINSA_10device_ptrIxEEEEPS6_SG_NS0_5tupleIJSF_S6_EEENSH_IJSG_SG_EEES6_PlJNSB_9not_fun_tI7is_evenIxEEEEEE10hipError_tPvRmT3_T4_T5_T6_T7_T9_mT8_P12ihipStream_tbDpT10_ENKUlT_T0_E_clISt17integral_constantIbLb1EES17_IbLb0EEEEDaS13_S14_EUlS13_E_NS1_11comp_targetILNS1_3genE10ELNS1_11target_archE1200ELNS1_3gpuE4ELNS1_3repE0EEENS1_30default_config_static_selectorELNS0_4arch9wavefront6targetE0EEEvT1_
    .private_segment_fixed_size: 0
    .sgpr_count:     0
    .sgpr_spill_count: 0
    .symbol:         _ZN7rocprim17ROCPRIM_400000_NS6detail17trampoline_kernelINS0_14default_configENS1_25partition_config_selectorILNS1_17partition_subalgoE6ExNS0_10empty_typeEbEEZZNS1_14partition_implILS5_6ELb0ES3_mN6thrust23THRUST_200600_302600_NS6detail15normal_iteratorINSA_10device_ptrIxEEEEPS6_SG_NS0_5tupleIJSF_S6_EEENSH_IJSG_SG_EEES6_PlJNSB_9not_fun_tI7is_evenIxEEEEEE10hipError_tPvRmT3_T4_T5_T6_T7_T9_mT8_P12ihipStream_tbDpT10_ENKUlT_T0_E_clISt17integral_constantIbLb1EES17_IbLb0EEEEDaS13_S14_EUlS13_E_NS1_11comp_targetILNS1_3genE10ELNS1_11target_archE1200ELNS1_3gpuE4ELNS1_3repE0EEENS1_30default_config_static_selectorELNS0_4arch9wavefront6targetE0EEEvT1_.kd
    .uniform_work_group_size: 1
    .uses_dynamic_stack: false
    .vgpr_count:     0
    .vgpr_spill_count: 0
    .wavefront_size: 32
    .workgroup_processor_mode: 1
  - .args:
      - .offset:         0
        .size:           112
        .value_kind:     by_value
    .group_segment_fixed_size: 0
    .kernarg_segment_align: 8
    .kernarg_segment_size: 112
    .language:       OpenCL C
    .language_version:
      - 2
      - 0
    .max_flat_workgroup_size: 384
    .name:           _ZN7rocprim17ROCPRIM_400000_NS6detail17trampoline_kernelINS0_14default_configENS1_25partition_config_selectorILNS1_17partition_subalgoE6ExNS0_10empty_typeEbEEZZNS1_14partition_implILS5_6ELb0ES3_mN6thrust23THRUST_200600_302600_NS6detail15normal_iteratorINSA_10device_ptrIxEEEEPS6_SG_NS0_5tupleIJSF_S6_EEENSH_IJSG_SG_EEES6_PlJNSB_9not_fun_tI7is_evenIxEEEEEE10hipError_tPvRmT3_T4_T5_T6_T7_T9_mT8_P12ihipStream_tbDpT10_ENKUlT_T0_E_clISt17integral_constantIbLb1EES17_IbLb0EEEEDaS13_S14_EUlS13_E_NS1_11comp_targetILNS1_3genE9ELNS1_11target_archE1100ELNS1_3gpuE3ELNS1_3repE0EEENS1_30default_config_static_selectorELNS0_4arch9wavefront6targetE0EEEvT1_
    .private_segment_fixed_size: 0
    .sgpr_count:     0
    .sgpr_spill_count: 0
    .symbol:         _ZN7rocprim17ROCPRIM_400000_NS6detail17trampoline_kernelINS0_14default_configENS1_25partition_config_selectorILNS1_17partition_subalgoE6ExNS0_10empty_typeEbEEZZNS1_14partition_implILS5_6ELb0ES3_mN6thrust23THRUST_200600_302600_NS6detail15normal_iteratorINSA_10device_ptrIxEEEEPS6_SG_NS0_5tupleIJSF_S6_EEENSH_IJSG_SG_EEES6_PlJNSB_9not_fun_tI7is_evenIxEEEEEE10hipError_tPvRmT3_T4_T5_T6_T7_T9_mT8_P12ihipStream_tbDpT10_ENKUlT_T0_E_clISt17integral_constantIbLb1EES17_IbLb0EEEEDaS13_S14_EUlS13_E_NS1_11comp_targetILNS1_3genE9ELNS1_11target_archE1100ELNS1_3gpuE3ELNS1_3repE0EEENS1_30default_config_static_selectorELNS0_4arch9wavefront6targetE0EEEvT1_.kd
    .uniform_work_group_size: 1
    .uses_dynamic_stack: false
    .vgpr_count:     0
    .vgpr_spill_count: 0
    .wavefront_size: 32
    .workgroup_processor_mode: 1
  - .args:
      - .offset:         0
        .size:           112
        .value_kind:     by_value
    .group_segment_fixed_size: 0
    .kernarg_segment_align: 8
    .kernarg_segment_size: 112
    .language:       OpenCL C
    .language_version:
      - 2
      - 0
    .max_flat_workgroup_size: 512
    .name:           _ZN7rocprim17ROCPRIM_400000_NS6detail17trampoline_kernelINS0_14default_configENS1_25partition_config_selectorILNS1_17partition_subalgoE6ExNS0_10empty_typeEbEEZZNS1_14partition_implILS5_6ELb0ES3_mN6thrust23THRUST_200600_302600_NS6detail15normal_iteratorINSA_10device_ptrIxEEEEPS6_SG_NS0_5tupleIJSF_S6_EEENSH_IJSG_SG_EEES6_PlJNSB_9not_fun_tI7is_evenIxEEEEEE10hipError_tPvRmT3_T4_T5_T6_T7_T9_mT8_P12ihipStream_tbDpT10_ENKUlT_T0_E_clISt17integral_constantIbLb1EES17_IbLb0EEEEDaS13_S14_EUlS13_E_NS1_11comp_targetILNS1_3genE8ELNS1_11target_archE1030ELNS1_3gpuE2ELNS1_3repE0EEENS1_30default_config_static_selectorELNS0_4arch9wavefront6targetE0EEEvT1_
    .private_segment_fixed_size: 0
    .sgpr_count:     0
    .sgpr_spill_count: 0
    .symbol:         _ZN7rocprim17ROCPRIM_400000_NS6detail17trampoline_kernelINS0_14default_configENS1_25partition_config_selectorILNS1_17partition_subalgoE6ExNS0_10empty_typeEbEEZZNS1_14partition_implILS5_6ELb0ES3_mN6thrust23THRUST_200600_302600_NS6detail15normal_iteratorINSA_10device_ptrIxEEEEPS6_SG_NS0_5tupleIJSF_S6_EEENSH_IJSG_SG_EEES6_PlJNSB_9not_fun_tI7is_evenIxEEEEEE10hipError_tPvRmT3_T4_T5_T6_T7_T9_mT8_P12ihipStream_tbDpT10_ENKUlT_T0_E_clISt17integral_constantIbLb1EES17_IbLb0EEEEDaS13_S14_EUlS13_E_NS1_11comp_targetILNS1_3genE8ELNS1_11target_archE1030ELNS1_3gpuE2ELNS1_3repE0EEENS1_30default_config_static_selectorELNS0_4arch9wavefront6targetE0EEEvT1_.kd
    .uniform_work_group_size: 1
    .uses_dynamic_stack: false
    .vgpr_count:     0
    .vgpr_spill_count: 0
    .wavefront_size: 32
    .workgroup_processor_mode: 1
  - .args:
      - .offset:         0
        .size:           128
        .value_kind:     by_value
    .group_segment_fixed_size: 0
    .kernarg_segment_align: 8
    .kernarg_segment_size: 128
    .language:       OpenCL C
    .language_version:
      - 2
      - 0
    .max_flat_workgroup_size: 128
    .name:           _ZN7rocprim17ROCPRIM_400000_NS6detail17trampoline_kernelINS0_14default_configENS1_25partition_config_selectorILNS1_17partition_subalgoE6ExNS0_10empty_typeEbEEZZNS1_14partition_implILS5_6ELb0ES3_mN6thrust23THRUST_200600_302600_NS6detail15normal_iteratorINSA_10device_ptrIxEEEEPS6_SG_NS0_5tupleIJSF_S6_EEENSH_IJSG_SG_EEES6_PlJNSB_9not_fun_tI7is_evenIxEEEEEE10hipError_tPvRmT3_T4_T5_T6_T7_T9_mT8_P12ihipStream_tbDpT10_ENKUlT_T0_E_clISt17integral_constantIbLb0EES17_IbLb1EEEEDaS13_S14_EUlS13_E_NS1_11comp_targetILNS1_3genE0ELNS1_11target_archE4294967295ELNS1_3gpuE0ELNS1_3repE0EEENS1_30default_config_static_selectorELNS0_4arch9wavefront6targetE0EEEvT1_
    .private_segment_fixed_size: 0
    .sgpr_count:     0
    .sgpr_spill_count: 0
    .symbol:         _ZN7rocprim17ROCPRIM_400000_NS6detail17trampoline_kernelINS0_14default_configENS1_25partition_config_selectorILNS1_17partition_subalgoE6ExNS0_10empty_typeEbEEZZNS1_14partition_implILS5_6ELb0ES3_mN6thrust23THRUST_200600_302600_NS6detail15normal_iteratorINSA_10device_ptrIxEEEEPS6_SG_NS0_5tupleIJSF_S6_EEENSH_IJSG_SG_EEES6_PlJNSB_9not_fun_tI7is_evenIxEEEEEE10hipError_tPvRmT3_T4_T5_T6_T7_T9_mT8_P12ihipStream_tbDpT10_ENKUlT_T0_E_clISt17integral_constantIbLb0EES17_IbLb1EEEEDaS13_S14_EUlS13_E_NS1_11comp_targetILNS1_3genE0ELNS1_11target_archE4294967295ELNS1_3gpuE0ELNS1_3repE0EEENS1_30default_config_static_selectorELNS0_4arch9wavefront6targetE0EEEvT1_.kd
    .uniform_work_group_size: 1
    .uses_dynamic_stack: false
    .vgpr_count:     0
    .vgpr_spill_count: 0
    .wavefront_size: 32
    .workgroup_processor_mode: 1
  - .args:
      - .offset:         0
        .size:           128
        .value_kind:     by_value
    .group_segment_fixed_size: 0
    .kernarg_segment_align: 8
    .kernarg_segment_size: 128
    .language:       OpenCL C
    .language_version:
      - 2
      - 0
    .max_flat_workgroup_size: 512
    .name:           _ZN7rocprim17ROCPRIM_400000_NS6detail17trampoline_kernelINS0_14default_configENS1_25partition_config_selectorILNS1_17partition_subalgoE6ExNS0_10empty_typeEbEEZZNS1_14partition_implILS5_6ELb0ES3_mN6thrust23THRUST_200600_302600_NS6detail15normal_iteratorINSA_10device_ptrIxEEEEPS6_SG_NS0_5tupleIJSF_S6_EEENSH_IJSG_SG_EEES6_PlJNSB_9not_fun_tI7is_evenIxEEEEEE10hipError_tPvRmT3_T4_T5_T6_T7_T9_mT8_P12ihipStream_tbDpT10_ENKUlT_T0_E_clISt17integral_constantIbLb0EES17_IbLb1EEEEDaS13_S14_EUlS13_E_NS1_11comp_targetILNS1_3genE5ELNS1_11target_archE942ELNS1_3gpuE9ELNS1_3repE0EEENS1_30default_config_static_selectorELNS0_4arch9wavefront6targetE0EEEvT1_
    .private_segment_fixed_size: 0
    .sgpr_count:     0
    .sgpr_spill_count: 0
    .symbol:         _ZN7rocprim17ROCPRIM_400000_NS6detail17trampoline_kernelINS0_14default_configENS1_25partition_config_selectorILNS1_17partition_subalgoE6ExNS0_10empty_typeEbEEZZNS1_14partition_implILS5_6ELb0ES3_mN6thrust23THRUST_200600_302600_NS6detail15normal_iteratorINSA_10device_ptrIxEEEEPS6_SG_NS0_5tupleIJSF_S6_EEENSH_IJSG_SG_EEES6_PlJNSB_9not_fun_tI7is_evenIxEEEEEE10hipError_tPvRmT3_T4_T5_T6_T7_T9_mT8_P12ihipStream_tbDpT10_ENKUlT_T0_E_clISt17integral_constantIbLb0EES17_IbLb1EEEEDaS13_S14_EUlS13_E_NS1_11comp_targetILNS1_3genE5ELNS1_11target_archE942ELNS1_3gpuE9ELNS1_3repE0EEENS1_30default_config_static_selectorELNS0_4arch9wavefront6targetE0EEEvT1_.kd
    .uniform_work_group_size: 1
    .uses_dynamic_stack: false
    .vgpr_count:     0
    .vgpr_spill_count: 0
    .wavefront_size: 32
    .workgroup_processor_mode: 1
  - .args:
      - .offset:         0
        .size:           128
        .value_kind:     by_value
    .group_segment_fixed_size: 0
    .kernarg_segment_align: 8
    .kernarg_segment_size: 128
    .language:       OpenCL C
    .language_version:
      - 2
      - 0
    .max_flat_workgroup_size: 512
    .name:           _ZN7rocprim17ROCPRIM_400000_NS6detail17trampoline_kernelINS0_14default_configENS1_25partition_config_selectorILNS1_17partition_subalgoE6ExNS0_10empty_typeEbEEZZNS1_14partition_implILS5_6ELb0ES3_mN6thrust23THRUST_200600_302600_NS6detail15normal_iteratorINSA_10device_ptrIxEEEEPS6_SG_NS0_5tupleIJSF_S6_EEENSH_IJSG_SG_EEES6_PlJNSB_9not_fun_tI7is_evenIxEEEEEE10hipError_tPvRmT3_T4_T5_T6_T7_T9_mT8_P12ihipStream_tbDpT10_ENKUlT_T0_E_clISt17integral_constantIbLb0EES17_IbLb1EEEEDaS13_S14_EUlS13_E_NS1_11comp_targetILNS1_3genE4ELNS1_11target_archE910ELNS1_3gpuE8ELNS1_3repE0EEENS1_30default_config_static_selectorELNS0_4arch9wavefront6targetE0EEEvT1_
    .private_segment_fixed_size: 0
    .sgpr_count:     0
    .sgpr_spill_count: 0
    .symbol:         _ZN7rocprim17ROCPRIM_400000_NS6detail17trampoline_kernelINS0_14default_configENS1_25partition_config_selectorILNS1_17partition_subalgoE6ExNS0_10empty_typeEbEEZZNS1_14partition_implILS5_6ELb0ES3_mN6thrust23THRUST_200600_302600_NS6detail15normal_iteratorINSA_10device_ptrIxEEEEPS6_SG_NS0_5tupleIJSF_S6_EEENSH_IJSG_SG_EEES6_PlJNSB_9not_fun_tI7is_evenIxEEEEEE10hipError_tPvRmT3_T4_T5_T6_T7_T9_mT8_P12ihipStream_tbDpT10_ENKUlT_T0_E_clISt17integral_constantIbLb0EES17_IbLb1EEEEDaS13_S14_EUlS13_E_NS1_11comp_targetILNS1_3genE4ELNS1_11target_archE910ELNS1_3gpuE8ELNS1_3repE0EEENS1_30default_config_static_selectorELNS0_4arch9wavefront6targetE0EEEvT1_.kd
    .uniform_work_group_size: 1
    .uses_dynamic_stack: false
    .vgpr_count:     0
    .vgpr_spill_count: 0
    .wavefront_size: 32
    .workgroup_processor_mode: 1
  - .args:
      - .offset:         0
        .size:           128
        .value_kind:     by_value
    .group_segment_fixed_size: 0
    .kernarg_segment_align: 8
    .kernarg_segment_size: 128
    .language:       OpenCL C
    .language_version:
      - 2
      - 0
    .max_flat_workgroup_size: 128
    .name:           _ZN7rocprim17ROCPRIM_400000_NS6detail17trampoline_kernelINS0_14default_configENS1_25partition_config_selectorILNS1_17partition_subalgoE6ExNS0_10empty_typeEbEEZZNS1_14partition_implILS5_6ELb0ES3_mN6thrust23THRUST_200600_302600_NS6detail15normal_iteratorINSA_10device_ptrIxEEEEPS6_SG_NS0_5tupleIJSF_S6_EEENSH_IJSG_SG_EEES6_PlJNSB_9not_fun_tI7is_evenIxEEEEEE10hipError_tPvRmT3_T4_T5_T6_T7_T9_mT8_P12ihipStream_tbDpT10_ENKUlT_T0_E_clISt17integral_constantIbLb0EES17_IbLb1EEEEDaS13_S14_EUlS13_E_NS1_11comp_targetILNS1_3genE3ELNS1_11target_archE908ELNS1_3gpuE7ELNS1_3repE0EEENS1_30default_config_static_selectorELNS0_4arch9wavefront6targetE0EEEvT1_
    .private_segment_fixed_size: 0
    .sgpr_count:     0
    .sgpr_spill_count: 0
    .symbol:         _ZN7rocprim17ROCPRIM_400000_NS6detail17trampoline_kernelINS0_14default_configENS1_25partition_config_selectorILNS1_17partition_subalgoE6ExNS0_10empty_typeEbEEZZNS1_14partition_implILS5_6ELb0ES3_mN6thrust23THRUST_200600_302600_NS6detail15normal_iteratorINSA_10device_ptrIxEEEEPS6_SG_NS0_5tupleIJSF_S6_EEENSH_IJSG_SG_EEES6_PlJNSB_9not_fun_tI7is_evenIxEEEEEE10hipError_tPvRmT3_T4_T5_T6_T7_T9_mT8_P12ihipStream_tbDpT10_ENKUlT_T0_E_clISt17integral_constantIbLb0EES17_IbLb1EEEEDaS13_S14_EUlS13_E_NS1_11comp_targetILNS1_3genE3ELNS1_11target_archE908ELNS1_3gpuE7ELNS1_3repE0EEENS1_30default_config_static_selectorELNS0_4arch9wavefront6targetE0EEEvT1_.kd
    .uniform_work_group_size: 1
    .uses_dynamic_stack: false
    .vgpr_count:     0
    .vgpr_spill_count: 0
    .wavefront_size: 32
    .workgroup_processor_mode: 1
  - .args:
      - .offset:         0
        .size:           128
        .value_kind:     by_value
    .group_segment_fixed_size: 0
    .kernarg_segment_align: 8
    .kernarg_segment_size: 128
    .language:       OpenCL C
    .language_version:
      - 2
      - 0
    .max_flat_workgroup_size: 256
    .name:           _ZN7rocprim17ROCPRIM_400000_NS6detail17trampoline_kernelINS0_14default_configENS1_25partition_config_selectorILNS1_17partition_subalgoE6ExNS0_10empty_typeEbEEZZNS1_14partition_implILS5_6ELb0ES3_mN6thrust23THRUST_200600_302600_NS6detail15normal_iteratorINSA_10device_ptrIxEEEEPS6_SG_NS0_5tupleIJSF_S6_EEENSH_IJSG_SG_EEES6_PlJNSB_9not_fun_tI7is_evenIxEEEEEE10hipError_tPvRmT3_T4_T5_T6_T7_T9_mT8_P12ihipStream_tbDpT10_ENKUlT_T0_E_clISt17integral_constantIbLb0EES17_IbLb1EEEEDaS13_S14_EUlS13_E_NS1_11comp_targetILNS1_3genE2ELNS1_11target_archE906ELNS1_3gpuE6ELNS1_3repE0EEENS1_30default_config_static_selectorELNS0_4arch9wavefront6targetE0EEEvT1_
    .private_segment_fixed_size: 0
    .sgpr_count:     0
    .sgpr_spill_count: 0
    .symbol:         _ZN7rocprim17ROCPRIM_400000_NS6detail17trampoline_kernelINS0_14default_configENS1_25partition_config_selectorILNS1_17partition_subalgoE6ExNS0_10empty_typeEbEEZZNS1_14partition_implILS5_6ELb0ES3_mN6thrust23THRUST_200600_302600_NS6detail15normal_iteratorINSA_10device_ptrIxEEEEPS6_SG_NS0_5tupleIJSF_S6_EEENSH_IJSG_SG_EEES6_PlJNSB_9not_fun_tI7is_evenIxEEEEEE10hipError_tPvRmT3_T4_T5_T6_T7_T9_mT8_P12ihipStream_tbDpT10_ENKUlT_T0_E_clISt17integral_constantIbLb0EES17_IbLb1EEEEDaS13_S14_EUlS13_E_NS1_11comp_targetILNS1_3genE2ELNS1_11target_archE906ELNS1_3gpuE6ELNS1_3repE0EEENS1_30default_config_static_selectorELNS0_4arch9wavefront6targetE0EEEvT1_.kd
    .uniform_work_group_size: 1
    .uses_dynamic_stack: false
    .vgpr_count:     0
    .vgpr_spill_count: 0
    .wavefront_size: 32
    .workgroup_processor_mode: 1
  - .args:
      - .offset:         0
        .size:           128
        .value_kind:     by_value
    .group_segment_fixed_size: 8464
    .kernarg_segment_align: 8
    .kernarg_segment_size: 128
    .language:       OpenCL C
    .language_version:
      - 2
      - 0
    .max_flat_workgroup_size: 256
    .name:           _ZN7rocprim17ROCPRIM_400000_NS6detail17trampoline_kernelINS0_14default_configENS1_25partition_config_selectorILNS1_17partition_subalgoE6ExNS0_10empty_typeEbEEZZNS1_14partition_implILS5_6ELb0ES3_mN6thrust23THRUST_200600_302600_NS6detail15normal_iteratorINSA_10device_ptrIxEEEEPS6_SG_NS0_5tupleIJSF_S6_EEENSH_IJSG_SG_EEES6_PlJNSB_9not_fun_tI7is_evenIxEEEEEE10hipError_tPvRmT3_T4_T5_T6_T7_T9_mT8_P12ihipStream_tbDpT10_ENKUlT_T0_E_clISt17integral_constantIbLb0EES17_IbLb1EEEEDaS13_S14_EUlS13_E_NS1_11comp_targetILNS1_3genE10ELNS1_11target_archE1200ELNS1_3gpuE4ELNS1_3repE0EEENS1_30default_config_static_selectorELNS0_4arch9wavefront6targetE0EEEvT1_
    .private_segment_fixed_size: 0
    .sgpr_count:     24
    .sgpr_spill_count: 0
    .symbol:         _ZN7rocprim17ROCPRIM_400000_NS6detail17trampoline_kernelINS0_14default_configENS1_25partition_config_selectorILNS1_17partition_subalgoE6ExNS0_10empty_typeEbEEZZNS1_14partition_implILS5_6ELb0ES3_mN6thrust23THRUST_200600_302600_NS6detail15normal_iteratorINSA_10device_ptrIxEEEEPS6_SG_NS0_5tupleIJSF_S6_EEENSH_IJSG_SG_EEES6_PlJNSB_9not_fun_tI7is_evenIxEEEEEE10hipError_tPvRmT3_T4_T5_T6_T7_T9_mT8_P12ihipStream_tbDpT10_ENKUlT_T0_E_clISt17integral_constantIbLb0EES17_IbLb1EEEEDaS13_S14_EUlS13_E_NS1_11comp_targetILNS1_3genE10ELNS1_11target_archE1200ELNS1_3gpuE4ELNS1_3repE0EEENS1_30default_config_static_selectorELNS0_4arch9wavefront6targetE0EEEvT1_.kd
    .uniform_work_group_size: 1
    .uses_dynamic_stack: false
    .vgpr_count:     49
    .vgpr_spill_count: 0
    .wavefront_size: 32
    .workgroup_processor_mode: 1
  - .args:
      - .offset:         0
        .size:           128
        .value_kind:     by_value
    .group_segment_fixed_size: 0
    .kernarg_segment_align: 8
    .kernarg_segment_size: 128
    .language:       OpenCL C
    .language_version:
      - 2
      - 0
    .max_flat_workgroup_size: 384
    .name:           _ZN7rocprim17ROCPRIM_400000_NS6detail17trampoline_kernelINS0_14default_configENS1_25partition_config_selectorILNS1_17partition_subalgoE6ExNS0_10empty_typeEbEEZZNS1_14partition_implILS5_6ELb0ES3_mN6thrust23THRUST_200600_302600_NS6detail15normal_iteratorINSA_10device_ptrIxEEEEPS6_SG_NS0_5tupleIJSF_S6_EEENSH_IJSG_SG_EEES6_PlJNSB_9not_fun_tI7is_evenIxEEEEEE10hipError_tPvRmT3_T4_T5_T6_T7_T9_mT8_P12ihipStream_tbDpT10_ENKUlT_T0_E_clISt17integral_constantIbLb0EES17_IbLb1EEEEDaS13_S14_EUlS13_E_NS1_11comp_targetILNS1_3genE9ELNS1_11target_archE1100ELNS1_3gpuE3ELNS1_3repE0EEENS1_30default_config_static_selectorELNS0_4arch9wavefront6targetE0EEEvT1_
    .private_segment_fixed_size: 0
    .sgpr_count:     0
    .sgpr_spill_count: 0
    .symbol:         _ZN7rocprim17ROCPRIM_400000_NS6detail17trampoline_kernelINS0_14default_configENS1_25partition_config_selectorILNS1_17partition_subalgoE6ExNS0_10empty_typeEbEEZZNS1_14partition_implILS5_6ELb0ES3_mN6thrust23THRUST_200600_302600_NS6detail15normal_iteratorINSA_10device_ptrIxEEEEPS6_SG_NS0_5tupleIJSF_S6_EEENSH_IJSG_SG_EEES6_PlJNSB_9not_fun_tI7is_evenIxEEEEEE10hipError_tPvRmT3_T4_T5_T6_T7_T9_mT8_P12ihipStream_tbDpT10_ENKUlT_T0_E_clISt17integral_constantIbLb0EES17_IbLb1EEEEDaS13_S14_EUlS13_E_NS1_11comp_targetILNS1_3genE9ELNS1_11target_archE1100ELNS1_3gpuE3ELNS1_3repE0EEENS1_30default_config_static_selectorELNS0_4arch9wavefront6targetE0EEEvT1_.kd
    .uniform_work_group_size: 1
    .uses_dynamic_stack: false
    .vgpr_count:     0
    .vgpr_spill_count: 0
    .wavefront_size: 32
    .workgroup_processor_mode: 1
  - .args:
      - .offset:         0
        .size:           128
        .value_kind:     by_value
    .group_segment_fixed_size: 0
    .kernarg_segment_align: 8
    .kernarg_segment_size: 128
    .language:       OpenCL C
    .language_version:
      - 2
      - 0
    .max_flat_workgroup_size: 512
    .name:           _ZN7rocprim17ROCPRIM_400000_NS6detail17trampoline_kernelINS0_14default_configENS1_25partition_config_selectorILNS1_17partition_subalgoE6ExNS0_10empty_typeEbEEZZNS1_14partition_implILS5_6ELb0ES3_mN6thrust23THRUST_200600_302600_NS6detail15normal_iteratorINSA_10device_ptrIxEEEEPS6_SG_NS0_5tupleIJSF_S6_EEENSH_IJSG_SG_EEES6_PlJNSB_9not_fun_tI7is_evenIxEEEEEE10hipError_tPvRmT3_T4_T5_T6_T7_T9_mT8_P12ihipStream_tbDpT10_ENKUlT_T0_E_clISt17integral_constantIbLb0EES17_IbLb1EEEEDaS13_S14_EUlS13_E_NS1_11comp_targetILNS1_3genE8ELNS1_11target_archE1030ELNS1_3gpuE2ELNS1_3repE0EEENS1_30default_config_static_selectorELNS0_4arch9wavefront6targetE0EEEvT1_
    .private_segment_fixed_size: 0
    .sgpr_count:     0
    .sgpr_spill_count: 0
    .symbol:         _ZN7rocprim17ROCPRIM_400000_NS6detail17trampoline_kernelINS0_14default_configENS1_25partition_config_selectorILNS1_17partition_subalgoE6ExNS0_10empty_typeEbEEZZNS1_14partition_implILS5_6ELb0ES3_mN6thrust23THRUST_200600_302600_NS6detail15normal_iteratorINSA_10device_ptrIxEEEEPS6_SG_NS0_5tupleIJSF_S6_EEENSH_IJSG_SG_EEES6_PlJNSB_9not_fun_tI7is_evenIxEEEEEE10hipError_tPvRmT3_T4_T5_T6_T7_T9_mT8_P12ihipStream_tbDpT10_ENKUlT_T0_E_clISt17integral_constantIbLb0EES17_IbLb1EEEEDaS13_S14_EUlS13_E_NS1_11comp_targetILNS1_3genE8ELNS1_11target_archE1030ELNS1_3gpuE2ELNS1_3repE0EEENS1_30default_config_static_selectorELNS0_4arch9wavefront6targetE0EEEvT1_.kd
    .uniform_work_group_size: 1
    .uses_dynamic_stack: false
    .vgpr_count:     0
    .vgpr_spill_count: 0
    .wavefront_size: 32
    .workgroup_processor_mode: 1
  - .args:
      - .offset:         0
        .size:           112
        .value_kind:     by_value
    .group_segment_fixed_size: 0
    .kernarg_segment_align: 8
    .kernarg_segment_size: 112
    .language:       OpenCL C
    .language_version:
      - 2
      - 0
    .max_flat_workgroup_size: 256
    .name:           _ZN7rocprim17ROCPRIM_400000_NS6detail17trampoline_kernelINS0_14default_configENS1_25partition_config_selectorILNS1_17partition_subalgoE6EiNS0_10empty_typeEbEEZZNS1_14partition_implILS5_6ELb0ES3_mN6thrust23THRUST_200600_302600_NS6detail15normal_iteratorINSA_10device_ptrIiEEEEPS6_SG_NS0_5tupleIJSF_S6_EEENSH_IJSG_SG_EEES6_PlJNSB_9not_fun_tI7is_evenIiEEEEEE10hipError_tPvRmT3_T4_T5_T6_T7_T9_mT8_P12ihipStream_tbDpT10_ENKUlT_T0_E_clISt17integral_constantIbLb0EES18_EEDaS13_S14_EUlS13_E_NS1_11comp_targetILNS1_3genE0ELNS1_11target_archE4294967295ELNS1_3gpuE0ELNS1_3repE0EEENS1_30default_config_static_selectorELNS0_4arch9wavefront6targetE0EEEvT1_
    .private_segment_fixed_size: 0
    .sgpr_count:     0
    .sgpr_spill_count: 0
    .symbol:         _ZN7rocprim17ROCPRIM_400000_NS6detail17trampoline_kernelINS0_14default_configENS1_25partition_config_selectorILNS1_17partition_subalgoE6EiNS0_10empty_typeEbEEZZNS1_14partition_implILS5_6ELb0ES3_mN6thrust23THRUST_200600_302600_NS6detail15normal_iteratorINSA_10device_ptrIiEEEEPS6_SG_NS0_5tupleIJSF_S6_EEENSH_IJSG_SG_EEES6_PlJNSB_9not_fun_tI7is_evenIiEEEEEE10hipError_tPvRmT3_T4_T5_T6_T7_T9_mT8_P12ihipStream_tbDpT10_ENKUlT_T0_E_clISt17integral_constantIbLb0EES18_EEDaS13_S14_EUlS13_E_NS1_11comp_targetILNS1_3genE0ELNS1_11target_archE4294967295ELNS1_3gpuE0ELNS1_3repE0EEENS1_30default_config_static_selectorELNS0_4arch9wavefront6targetE0EEEvT1_.kd
    .uniform_work_group_size: 1
    .uses_dynamic_stack: false
    .vgpr_count:     0
    .vgpr_spill_count: 0
    .wavefront_size: 32
    .workgroup_processor_mode: 1
  - .args:
      - .offset:         0
        .size:           112
        .value_kind:     by_value
    .group_segment_fixed_size: 0
    .kernarg_segment_align: 8
    .kernarg_segment_size: 112
    .language:       OpenCL C
    .language_version:
      - 2
      - 0
    .max_flat_workgroup_size: 512
    .name:           _ZN7rocprim17ROCPRIM_400000_NS6detail17trampoline_kernelINS0_14default_configENS1_25partition_config_selectorILNS1_17partition_subalgoE6EiNS0_10empty_typeEbEEZZNS1_14partition_implILS5_6ELb0ES3_mN6thrust23THRUST_200600_302600_NS6detail15normal_iteratorINSA_10device_ptrIiEEEEPS6_SG_NS0_5tupleIJSF_S6_EEENSH_IJSG_SG_EEES6_PlJNSB_9not_fun_tI7is_evenIiEEEEEE10hipError_tPvRmT3_T4_T5_T6_T7_T9_mT8_P12ihipStream_tbDpT10_ENKUlT_T0_E_clISt17integral_constantIbLb0EES18_EEDaS13_S14_EUlS13_E_NS1_11comp_targetILNS1_3genE5ELNS1_11target_archE942ELNS1_3gpuE9ELNS1_3repE0EEENS1_30default_config_static_selectorELNS0_4arch9wavefront6targetE0EEEvT1_
    .private_segment_fixed_size: 0
    .sgpr_count:     0
    .sgpr_spill_count: 0
    .symbol:         _ZN7rocprim17ROCPRIM_400000_NS6detail17trampoline_kernelINS0_14default_configENS1_25partition_config_selectorILNS1_17partition_subalgoE6EiNS0_10empty_typeEbEEZZNS1_14partition_implILS5_6ELb0ES3_mN6thrust23THRUST_200600_302600_NS6detail15normal_iteratorINSA_10device_ptrIiEEEEPS6_SG_NS0_5tupleIJSF_S6_EEENSH_IJSG_SG_EEES6_PlJNSB_9not_fun_tI7is_evenIiEEEEEE10hipError_tPvRmT3_T4_T5_T6_T7_T9_mT8_P12ihipStream_tbDpT10_ENKUlT_T0_E_clISt17integral_constantIbLb0EES18_EEDaS13_S14_EUlS13_E_NS1_11comp_targetILNS1_3genE5ELNS1_11target_archE942ELNS1_3gpuE9ELNS1_3repE0EEENS1_30default_config_static_selectorELNS0_4arch9wavefront6targetE0EEEvT1_.kd
    .uniform_work_group_size: 1
    .uses_dynamic_stack: false
    .vgpr_count:     0
    .vgpr_spill_count: 0
    .wavefront_size: 32
    .workgroup_processor_mode: 1
  - .args:
      - .offset:         0
        .size:           112
        .value_kind:     by_value
    .group_segment_fixed_size: 0
    .kernarg_segment_align: 8
    .kernarg_segment_size: 112
    .language:       OpenCL C
    .language_version:
      - 2
      - 0
    .max_flat_workgroup_size: 512
    .name:           _ZN7rocprim17ROCPRIM_400000_NS6detail17trampoline_kernelINS0_14default_configENS1_25partition_config_selectorILNS1_17partition_subalgoE6EiNS0_10empty_typeEbEEZZNS1_14partition_implILS5_6ELb0ES3_mN6thrust23THRUST_200600_302600_NS6detail15normal_iteratorINSA_10device_ptrIiEEEEPS6_SG_NS0_5tupleIJSF_S6_EEENSH_IJSG_SG_EEES6_PlJNSB_9not_fun_tI7is_evenIiEEEEEE10hipError_tPvRmT3_T4_T5_T6_T7_T9_mT8_P12ihipStream_tbDpT10_ENKUlT_T0_E_clISt17integral_constantIbLb0EES18_EEDaS13_S14_EUlS13_E_NS1_11comp_targetILNS1_3genE4ELNS1_11target_archE910ELNS1_3gpuE8ELNS1_3repE0EEENS1_30default_config_static_selectorELNS0_4arch9wavefront6targetE0EEEvT1_
    .private_segment_fixed_size: 0
    .sgpr_count:     0
    .sgpr_spill_count: 0
    .symbol:         _ZN7rocprim17ROCPRIM_400000_NS6detail17trampoline_kernelINS0_14default_configENS1_25partition_config_selectorILNS1_17partition_subalgoE6EiNS0_10empty_typeEbEEZZNS1_14partition_implILS5_6ELb0ES3_mN6thrust23THRUST_200600_302600_NS6detail15normal_iteratorINSA_10device_ptrIiEEEEPS6_SG_NS0_5tupleIJSF_S6_EEENSH_IJSG_SG_EEES6_PlJNSB_9not_fun_tI7is_evenIiEEEEEE10hipError_tPvRmT3_T4_T5_T6_T7_T9_mT8_P12ihipStream_tbDpT10_ENKUlT_T0_E_clISt17integral_constantIbLb0EES18_EEDaS13_S14_EUlS13_E_NS1_11comp_targetILNS1_3genE4ELNS1_11target_archE910ELNS1_3gpuE8ELNS1_3repE0EEENS1_30default_config_static_selectorELNS0_4arch9wavefront6targetE0EEEvT1_.kd
    .uniform_work_group_size: 1
    .uses_dynamic_stack: false
    .vgpr_count:     0
    .vgpr_spill_count: 0
    .wavefront_size: 32
    .workgroup_processor_mode: 1
  - .args:
      - .offset:         0
        .size:           112
        .value_kind:     by_value
    .group_segment_fixed_size: 0
    .kernarg_segment_align: 8
    .kernarg_segment_size: 112
    .language:       OpenCL C
    .language_version:
      - 2
      - 0
    .max_flat_workgroup_size: 256
    .name:           _ZN7rocprim17ROCPRIM_400000_NS6detail17trampoline_kernelINS0_14default_configENS1_25partition_config_selectorILNS1_17partition_subalgoE6EiNS0_10empty_typeEbEEZZNS1_14partition_implILS5_6ELb0ES3_mN6thrust23THRUST_200600_302600_NS6detail15normal_iteratorINSA_10device_ptrIiEEEEPS6_SG_NS0_5tupleIJSF_S6_EEENSH_IJSG_SG_EEES6_PlJNSB_9not_fun_tI7is_evenIiEEEEEE10hipError_tPvRmT3_T4_T5_T6_T7_T9_mT8_P12ihipStream_tbDpT10_ENKUlT_T0_E_clISt17integral_constantIbLb0EES18_EEDaS13_S14_EUlS13_E_NS1_11comp_targetILNS1_3genE3ELNS1_11target_archE908ELNS1_3gpuE7ELNS1_3repE0EEENS1_30default_config_static_selectorELNS0_4arch9wavefront6targetE0EEEvT1_
    .private_segment_fixed_size: 0
    .sgpr_count:     0
    .sgpr_spill_count: 0
    .symbol:         _ZN7rocprim17ROCPRIM_400000_NS6detail17trampoline_kernelINS0_14default_configENS1_25partition_config_selectorILNS1_17partition_subalgoE6EiNS0_10empty_typeEbEEZZNS1_14partition_implILS5_6ELb0ES3_mN6thrust23THRUST_200600_302600_NS6detail15normal_iteratorINSA_10device_ptrIiEEEEPS6_SG_NS0_5tupleIJSF_S6_EEENSH_IJSG_SG_EEES6_PlJNSB_9not_fun_tI7is_evenIiEEEEEE10hipError_tPvRmT3_T4_T5_T6_T7_T9_mT8_P12ihipStream_tbDpT10_ENKUlT_T0_E_clISt17integral_constantIbLb0EES18_EEDaS13_S14_EUlS13_E_NS1_11comp_targetILNS1_3genE3ELNS1_11target_archE908ELNS1_3gpuE7ELNS1_3repE0EEENS1_30default_config_static_selectorELNS0_4arch9wavefront6targetE0EEEvT1_.kd
    .uniform_work_group_size: 1
    .uses_dynamic_stack: false
    .vgpr_count:     0
    .vgpr_spill_count: 0
    .wavefront_size: 32
    .workgroup_processor_mode: 1
  - .args:
      - .offset:         0
        .size:           112
        .value_kind:     by_value
    .group_segment_fixed_size: 0
    .kernarg_segment_align: 8
    .kernarg_segment_size: 112
    .language:       OpenCL C
    .language_version:
      - 2
      - 0
    .max_flat_workgroup_size: 192
    .name:           _ZN7rocprim17ROCPRIM_400000_NS6detail17trampoline_kernelINS0_14default_configENS1_25partition_config_selectorILNS1_17partition_subalgoE6EiNS0_10empty_typeEbEEZZNS1_14partition_implILS5_6ELb0ES3_mN6thrust23THRUST_200600_302600_NS6detail15normal_iteratorINSA_10device_ptrIiEEEEPS6_SG_NS0_5tupleIJSF_S6_EEENSH_IJSG_SG_EEES6_PlJNSB_9not_fun_tI7is_evenIiEEEEEE10hipError_tPvRmT3_T4_T5_T6_T7_T9_mT8_P12ihipStream_tbDpT10_ENKUlT_T0_E_clISt17integral_constantIbLb0EES18_EEDaS13_S14_EUlS13_E_NS1_11comp_targetILNS1_3genE2ELNS1_11target_archE906ELNS1_3gpuE6ELNS1_3repE0EEENS1_30default_config_static_selectorELNS0_4arch9wavefront6targetE0EEEvT1_
    .private_segment_fixed_size: 0
    .sgpr_count:     0
    .sgpr_spill_count: 0
    .symbol:         _ZN7rocprim17ROCPRIM_400000_NS6detail17trampoline_kernelINS0_14default_configENS1_25partition_config_selectorILNS1_17partition_subalgoE6EiNS0_10empty_typeEbEEZZNS1_14partition_implILS5_6ELb0ES3_mN6thrust23THRUST_200600_302600_NS6detail15normal_iteratorINSA_10device_ptrIiEEEEPS6_SG_NS0_5tupleIJSF_S6_EEENSH_IJSG_SG_EEES6_PlJNSB_9not_fun_tI7is_evenIiEEEEEE10hipError_tPvRmT3_T4_T5_T6_T7_T9_mT8_P12ihipStream_tbDpT10_ENKUlT_T0_E_clISt17integral_constantIbLb0EES18_EEDaS13_S14_EUlS13_E_NS1_11comp_targetILNS1_3genE2ELNS1_11target_archE906ELNS1_3gpuE6ELNS1_3repE0EEENS1_30default_config_static_selectorELNS0_4arch9wavefront6targetE0EEEvT1_.kd
    .uniform_work_group_size: 1
    .uses_dynamic_stack: false
    .vgpr_count:     0
    .vgpr_spill_count: 0
    .wavefront_size: 32
    .workgroup_processor_mode: 1
  - .args:
      - .offset:         0
        .size:           112
        .value_kind:     by_value
    .group_segment_fixed_size: 10768
    .kernarg_segment_align: 8
    .kernarg_segment_size: 112
    .language:       OpenCL C
    .language_version:
      - 2
      - 0
    .max_flat_workgroup_size: 384
    .name:           _ZN7rocprim17ROCPRIM_400000_NS6detail17trampoline_kernelINS0_14default_configENS1_25partition_config_selectorILNS1_17partition_subalgoE6EiNS0_10empty_typeEbEEZZNS1_14partition_implILS5_6ELb0ES3_mN6thrust23THRUST_200600_302600_NS6detail15normal_iteratorINSA_10device_ptrIiEEEEPS6_SG_NS0_5tupleIJSF_S6_EEENSH_IJSG_SG_EEES6_PlJNSB_9not_fun_tI7is_evenIiEEEEEE10hipError_tPvRmT3_T4_T5_T6_T7_T9_mT8_P12ihipStream_tbDpT10_ENKUlT_T0_E_clISt17integral_constantIbLb0EES18_EEDaS13_S14_EUlS13_E_NS1_11comp_targetILNS1_3genE10ELNS1_11target_archE1200ELNS1_3gpuE4ELNS1_3repE0EEENS1_30default_config_static_selectorELNS0_4arch9wavefront6targetE0EEEvT1_
    .private_segment_fixed_size: 0
    .sgpr_count:     21
    .sgpr_spill_count: 0
    .symbol:         _ZN7rocprim17ROCPRIM_400000_NS6detail17trampoline_kernelINS0_14default_configENS1_25partition_config_selectorILNS1_17partition_subalgoE6EiNS0_10empty_typeEbEEZZNS1_14partition_implILS5_6ELb0ES3_mN6thrust23THRUST_200600_302600_NS6detail15normal_iteratorINSA_10device_ptrIiEEEEPS6_SG_NS0_5tupleIJSF_S6_EEENSH_IJSG_SG_EEES6_PlJNSB_9not_fun_tI7is_evenIiEEEEEE10hipError_tPvRmT3_T4_T5_T6_T7_T9_mT8_P12ihipStream_tbDpT10_ENKUlT_T0_E_clISt17integral_constantIbLb0EES18_EEDaS13_S14_EUlS13_E_NS1_11comp_targetILNS1_3genE10ELNS1_11target_archE1200ELNS1_3gpuE4ELNS1_3repE0EEENS1_30default_config_static_selectorELNS0_4arch9wavefront6targetE0EEEvT1_.kd
    .uniform_work_group_size: 1
    .uses_dynamic_stack: false
    .vgpr_count:     50
    .vgpr_spill_count: 0
    .wavefront_size: 32
    .workgroup_processor_mode: 1
  - .args:
      - .offset:         0
        .size:           112
        .value_kind:     by_value
    .group_segment_fixed_size: 0
    .kernarg_segment_align: 8
    .kernarg_segment_size: 112
    .language:       OpenCL C
    .language_version:
      - 2
      - 0
    .max_flat_workgroup_size: 128
    .name:           _ZN7rocprim17ROCPRIM_400000_NS6detail17trampoline_kernelINS0_14default_configENS1_25partition_config_selectorILNS1_17partition_subalgoE6EiNS0_10empty_typeEbEEZZNS1_14partition_implILS5_6ELb0ES3_mN6thrust23THRUST_200600_302600_NS6detail15normal_iteratorINSA_10device_ptrIiEEEEPS6_SG_NS0_5tupleIJSF_S6_EEENSH_IJSG_SG_EEES6_PlJNSB_9not_fun_tI7is_evenIiEEEEEE10hipError_tPvRmT3_T4_T5_T6_T7_T9_mT8_P12ihipStream_tbDpT10_ENKUlT_T0_E_clISt17integral_constantIbLb0EES18_EEDaS13_S14_EUlS13_E_NS1_11comp_targetILNS1_3genE9ELNS1_11target_archE1100ELNS1_3gpuE3ELNS1_3repE0EEENS1_30default_config_static_selectorELNS0_4arch9wavefront6targetE0EEEvT1_
    .private_segment_fixed_size: 0
    .sgpr_count:     0
    .sgpr_spill_count: 0
    .symbol:         _ZN7rocprim17ROCPRIM_400000_NS6detail17trampoline_kernelINS0_14default_configENS1_25partition_config_selectorILNS1_17partition_subalgoE6EiNS0_10empty_typeEbEEZZNS1_14partition_implILS5_6ELb0ES3_mN6thrust23THRUST_200600_302600_NS6detail15normal_iteratorINSA_10device_ptrIiEEEEPS6_SG_NS0_5tupleIJSF_S6_EEENSH_IJSG_SG_EEES6_PlJNSB_9not_fun_tI7is_evenIiEEEEEE10hipError_tPvRmT3_T4_T5_T6_T7_T9_mT8_P12ihipStream_tbDpT10_ENKUlT_T0_E_clISt17integral_constantIbLb0EES18_EEDaS13_S14_EUlS13_E_NS1_11comp_targetILNS1_3genE9ELNS1_11target_archE1100ELNS1_3gpuE3ELNS1_3repE0EEENS1_30default_config_static_selectorELNS0_4arch9wavefront6targetE0EEEvT1_.kd
    .uniform_work_group_size: 1
    .uses_dynamic_stack: false
    .vgpr_count:     0
    .vgpr_spill_count: 0
    .wavefront_size: 32
    .workgroup_processor_mode: 1
  - .args:
      - .offset:         0
        .size:           112
        .value_kind:     by_value
    .group_segment_fixed_size: 0
    .kernarg_segment_align: 8
    .kernarg_segment_size: 112
    .language:       OpenCL C
    .language_version:
      - 2
      - 0
    .max_flat_workgroup_size: 512
    .name:           _ZN7rocprim17ROCPRIM_400000_NS6detail17trampoline_kernelINS0_14default_configENS1_25partition_config_selectorILNS1_17partition_subalgoE6EiNS0_10empty_typeEbEEZZNS1_14partition_implILS5_6ELb0ES3_mN6thrust23THRUST_200600_302600_NS6detail15normal_iteratorINSA_10device_ptrIiEEEEPS6_SG_NS0_5tupleIJSF_S6_EEENSH_IJSG_SG_EEES6_PlJNSB_9not_fun_tI7is_evenIiEEEEEE10hipError_tPvRmT3_T4_T5_T6_T7_T9_mT8_P12ihipStream_tbDpT10_ENKUlT_T0_E_clISt17integral_constantIbLb0EES18_EEDaS13_S14_EUlS13_E_NS1_11comp_targetILNS1_3genE8ELNS1_11target_archE1030ELNS1_3gpuE2ELNS1_3repE0EEENS1_30default_config_static_selectorELNS0_4arch9wavefront6targetE0EEEvT1_
    .private_segment_fixed_size: 0
    .sgpr_count:     0
    .sgpr_spill_count: 0
    .symbol:         _ZN7rocprim17ROCPRIM_400000_NS6detail17trampoline_kernelINS0_14default_configENS1_25partition_config_selectorILNS1_17partition_subalgoE6EiNS0_10empty_typeEbEEZZNS1_14partition_implILS5_6ELb0ES3_mN6thrust23THRUST_200600_302600_NS6detail15normal_iteratorINSA_10device_ptrIiEEEEPS6_SG_NS0_5tupleIJSF_S6_EEENSH_IJSG_SG_EEES6_PlJNSB_9not_fun_tI7is_evenIiEEEEEE10hipError_tPvRmT3_T4_T5_T6_T7_T9_mT8_P12ihipStream_tbDpT10_ENKUlT_T0_E_clISt17integral_constantIbLb0EES18_EEDaS13_S14_EUlS13_E_NS1_11comp_targetILNS1_3genE8ELNS1_11target_archE1030ELNS1_3gpuE2ELNS1_3repE0EEENS1_30default_config_static_selectorELNS0_4arch9wavefront6targetE0EEEvT1_.kd
    .uniform_work_group_size: 1
    .uses_dynamic_stack: false
    .vgpr_count:     0
    .vgpr_spill_count: 0
    .wavefront_size: 32
    .workgroup_processor_mode: 1
  - .args:
      - .offset:         0
        .size:           128
        .value_kind:     by_value
    .group_segment_fixed_size: 0
    .kernarg_segment_align: 8
    .kernarg_segment_size: 128
    .language:       OpenCL C
    .language_version:
      - 2
      - 0
    .max_flat_workgroup_size: 256
    .name:           _ZN7rocprim17ROCPRIM_400000_NS6detail17trampoline_kernelINS0_14default_configENS1_25partition_config_selectorILNS1_17partition_subalgoE6EiNS0_10empty_typeEbEEZZNS1_14partition_implILS5_6ELb0ES3_mN6thrust23THRUST_200600_302600_NS6detail15normal_iteratorINSA_10device_ptrIiEEEEPS6_SG_NS0_5tupleIJSF_S6_EEENSH_IJSG_SG_EEES6_PlJNSB_9not_fun_tI7is_evenIiEEEEEE10hipError_tPvRmT3_T4_T5_T6_T7_T9_mT8_P12ihipStream_tbDpT10_ENKUlT_T0_E_clISt17integral_constantIbLb1EES18_EEDaS13_S14_EUlS13_E_NS1_11comp_targetILNS1_3genE0ELNS1_11target_archE4294967295ELNS1_3gpuE0ELNS1_3repE0EEENS1_30default_config_static_selectorELNS0_4arch9wavefront6targetE0EEEvT1_
    .private_segment_fixed_size: 0
    .sgpr_count:     0
    .sgpr_spill_count: 0
    .symbol:         _ZN7rocprim17ROCPRIM_400000_NS6detail17trampoline_kernelINS0_14default_configENS1_25partition_config_selectorILNS1_17partition_subalgoE6EiNS0_10empty_typeEbEEZZNS1_14partition_implILS5_6ELb0ES3_mN6thrust23THRUST_200600_302600_NS6detail15normal_iteratorINSA_10device_ptrIiEEEEPS6_SG_NS0_5tupleIJSF_S6_EEENSH_IJSG_SG_EEES6_PlJNSB_9not_fun_tI7is_evenIiEEEEEE10hipError_tPvRmT3_T4_T5_T6_T7_T9_mT8_P12ihipStream_tbDpT10_ENKUlT_T0_E_clISt17integral_constantIbLb1EES18_EEDaS13_S14_EUlS13_E_NS1_11comp_targetILNS1_3genE0ELNS1_11target_archE4294967295ELNS1_3gpuE0ELNS1_3repE0EEENS1_30default_config_static_selectorELNS0_4arch9wavefront6targetE0EEEvT1_.kd
    .uniform_work_group_size: 1
    .uses_dynamic_stack: false
    .vgpr_count:     0
    .vgpr_spill_count: 0
    .wavefront_size: 32
    .workgroup_processor_mode: 1
  - .args:
      - .offset:         0
        .size:           128
        .value_kind:     by_value
    .group_segment_fixed_size: 0
    .kernarg_segment_align: 8
    .kernarg_segment_size: 128
    .language:       OpenCL C
    .language_version:
      - 2
      - 0
    .max_flat_workgroup_size: 512
    .name:           _ZN7rocprim17ROCPRIM_400000_NS6detail17trampoline_kernelINS0_14default_configENS1_25partition_config_selectorILNS1_17partition_subalgoE6EiNS0_10empty_typeEbEEZZNS1_14partition_implILS5_6ELb0ES3_mN6thrust23THRUST_200600_302600_NS6detail15normal_iteratorINSA_10device_ptrIiEEEEPS6_SG_NS0_5tupleIJSF_S6_EEENSH_IJSG_SG_EEES6_PlJNSB_9not_fun_tI7is_evenIiEEEEEE10hipError_tPvRmT3_T4_T5_T6_T7_T9_mT8_P12ihipStream_tbDpT10_ENKUlT_T0_E_clISt17integral_constantIbLb1EES18_EEDaS13_S14_EUlS13_E_NS1_11comp_targetILNS1_3genE5ELNS1_11target_archE942ELNS1_3gpuE9ELNS1_3repE0EEENS1_30default_config_static_selectorELNS0_4arch9wavefront6targetE0EEEvT1_
    .private_segment_fixed_size: 0
    .sgpr_count:     0
    .sgpr_spill_count: 0
    .symbol:         _ZN7rocprim17ROCPRIM_400000_NS6detail17trampoline_kernelINS0_14default_configENS1_25partition_config_selectorILNS1_17partition_subalgoE6EiNS0_10empty_typeEbEEZZNS1_14partition_implILS5_6ELb0ES3_mN6thrust23THRUST_200600_302600_NS6detail15normal_iteratorINSA_10device_ptrIiEEEEPS6_SG_NS0_5tupleIJSF_S6_EEENSH_IJSG_SG_EEES6_PlJNSB_9not_fun_tI7is_evenIiEEEEEE10hipError_tPvRmT3_T4_T5_T6_T7_T9_mT8_P12ihipStream_tbDpT10_ENKUlT_T0_E_clISt17integral_constantIbLb1EES18_EEDaS13_S14_EUlS13_E_NS1_11comp_targetILNS1_3genE5ELNS1_11target_archE942ELNS1_3gpuE9ELNS1_3repE0EEENS1_30default_config_static_selectorELNS0_4arch9wavefront6targetE0EEEvT1_.kd
    .uniform_work_group_size: 1
    .uses_dynamic_stack: false
    .vgpr_count:     0
    .vgpr_spill_count: 0
    .wavefront_size: 32
    .workgroup_processor_mode: 1
  - .args:
      - .offset:         0
        .size:           128
        .value_kind:     by_value
    .group_segment_fixed_size: 0
    .kernarg_segment_align: 8
    .kernarg_segment_size: 128
    .language:       OpenCL C
    .language_version:
      - 2
      - 0
    .max_flat_workgroup_size: 512
    .name:           _ZN7rocprim17ROCPRIM_400000_NS6detail17trampoline_kernelINS0_14default_configENS1_25partition_config_selectorILNS1_17partition_subalgoE6EiNS0_10empty_typeEbEEZZNS1_14partition_implILS5_6ELb0ES3_mN6thrust23THRUST_200600_302600_NS6detail15normal_iteratorINSA_10device_ptrIiEEEEPS6_SG_NS0_5tupleIJSF_S6_EEENSH_IJSG_SG_EEES6_PlJNSB_9not_fun_tI7is_evenIiEEEEEE10hipError_tPvRmT3_T4_T5_T6_T7_T9_mT8_P12ihipStream_tbDpT10_ENKUlT_T0_E_clISt17integral_constantIbLb1EES18_EEDaS13_S14_EUlS13_E_NS1_11comp_targetILNS1_3genE4ELNS1_11target_archE910ELNS1_3gpuE8ELNS1_3repE0EEENS1_30default_config_static_selectorELNS0_4arch9wavefront6targetE0EEEvT1_
    .private_segment_fixed_size: 0
    .sgpr_count:     0
    .sgpr_spill_count: 0
    .symbol:         _ZN7rocprim17ROCPRIM_400000_NS6detail17trampoline_kernelINS0_14default_configENS1_25partition_config_selectorILNS1_17partition_subalgoE6EiNS0_10empty_typeEbEEZZNS1_14partition_implILS5_6ELb0ES3_mN6thrust23THRUST_200600_302600_NS6detail15normal_iteratorINSA_10device_ptrIiEEEEPS6_SG_NS0_5tupleIJSF_S6_EEENSH_IJSG_SG_EEES6_PlJNSB_9not_fun_tI7is_evenIiEEEEEE10hipError_tPvRmT3_T4_T5_T6_T7_T9_mT8_P12ihipStream_tbDpT10_ENKUlT_T0_E_clISt17integral_constantIbLb1EES18_EEDaS13_S14_EUlS13_E_NS1_11comp_targetILNS1_3genE4ELNS1_11target_archE910ELNS1_3gpuE8ELNS1_3repE0EEENS1_30default_config_static_selectorELNS0_4arch9wavefront6targetE0EEEvT1_.kd
    .uniform_work_group_size: 1
    .uses_dynamic_stack: false
    .vgpr_count:     0
    .vgpr_spill_count: 0
    .wavefront_size: 32
    .workgroup_processor_mode: 1
  - .args:
      - .offset:         0
        .size:           128
        .value_kind:     by_value
    .group_segment_fixed_size: 0
    .kernarg_segment_align: 8
    .kernarg_segment_size: 128
    .language:       OpenCL C
    .language_version:
      - 2
      - 0
    .max_flat_workgroup_size: 256
    .name:           _ZN7rocprim17ROCPRIM_400000_NS6detail17trampoline_kernelINS0_14default_configENS1_25partition_config_selectorILNS1_17partition_subalgoE6EiNS0_10empty_typeEbEEZZNS1_14partition_implILS5_6ELb0ES3_mN6thrust23THRUST_200600_302600_NS6detail15normal_iteratorINSA_10device_ptrIiEEEEPS6_SG_NS0_5tupleIJSF_S6_EEENSH_IJSG_SG_EEES6_PlJNSB_9not_fun_tI7is_evenIiEEEEEE10hipError_tPvRmT3_T4_T5_T6_T7_T9_mT8_P12ihipStream_tbDpT10_ENKUlT_T0_E_clISt17integral_constantIbLb1EES18_EEDaS13_S14_EUlS13_E_NS1_11comp_targetILNS1_3genE3ELNS1_11target_archE908ELNS1_3gpuE7ELNS1_3repE0EEENS1_30default_config_static_selectorELNS0_4arch9wavefront6targetE0EEEvT1_
    .private_segment_fixed_size: 0
    .sgpr_count:     0
    .sgpr_spill_count: 0
    .symbol:         _ZN7rocprim17ROCPRIM_400000_NS6detail17trampoline_kernelINS0_14default_configENS1_25partition_config_selectorILNS1_17partition_subalgoE6EiNS0_10empty_typeEbEEZZNS1_14partition_implILS5_6ELb0ES3_mN6thrust23THRUST_200600_302600_NS6detail15normal_iteratorINSA_10device_ptrIiEEEEPS6_SG_NS0_5tupleIJSF_S6_EEENSH_IJSG_SG_EEES6_PlJNSB_9not_fun_tI7is_evenIiEEEEEE10hipError_tPvRmT3_T4_T5_T6_T7_T9_mT8_P12ihipStream_tbDpT10_ENKUlT_T0_E_clISt17integral_constantIbLb1EES18_EEDaS13_S14_EUlS13_E_NS1_11comp_targetILNS1_3genE3ELNS1_11target_archE908ELNS1_3gpuE7ELNS1_3repE0EEENS1_30default_config_static_selectorELNS0_4arch9wavefront6targetE0EEEvT1_.kd
    .uniform_work_group_size: 1
    .uses_dynamic_stack: false
    .vgpr_count:     0
    .vgpr_spill_count: 0
    .wavefront_size: 32
    .workgroup_processor_mode: 1
  - .args:
      - .offset:         0
        .size:           128
        .value_kind:     by_value
    .group_segment_fixed_size: 0
    .kernarg_segment_align: 8
    .kernarg_segment_size: 128
    .language:       OpenCL C
    .language_version:
      - 2
      - 0
    .max_flat_workgroup_size: 192
    .name:           _ZN7rocprim17ROCPRIM_400000_NS6detail17trampoline_kernelINS0_14default_configENS1_25partition_config_selectorILNS1_17partition_subalgoE6EiNS0_10empty_typeEbEEZZNS1_14partition_implILS5_6ELb0ES3_mN6thrust23THRUST_200600_302600_NS6detail15normal_iteratorINSA_10device_ptrIiEEEEPS6_SG_NS0_5tupleIJSF_S6_EEENSH_IJSG_SG_EEES6_PlJNSB_9not_fun_tI7is_evenIiEEEEEE10hipError_tPvRmT3_T4_T5_T6_T7_T9_mT8_P12ihipStream_tbDpT10_ENKUlT_T0_E_clISt17integral_constantIbLb1EES18_EEDaS13_S14_EUlS13_E_NS1_11comp_targetILNS1_3genE2ELNS1_11target_archE906ELNS1_3gpuE6ELNS1_3repE0EEENS1_30default_config_static_selectorELNS0_4arch9wavefront6targetE0EEEvT1_
    .private_segment_fixed_size: 0
    .sgpr_count:     0
    .sgpr_spill_count: 0
    .symbol:         _ZN7rocprim17ROCPRIM_400000_NS6detail17trampoline_kernelINS0_14default_configENS1_25partition_config_selectorILNS1_17partition_subalgoE6EiNS0_10empty_typeEbEEZZNS1_14partition_implILS5_6ELb0ES3_mN6thrust23THRUST_200600_302600_NS6detail15normal_iteratorINSA_10device_ptrIiEEEEPS6_SG_NS0_5tupleIJSF_S6_EEENSH_IJSG_SG_EEES6_PlJNSB_9not_fun_tI7is_evenIiEEEEEE10hipError_tPvRmT3_T4_T5_T6_T7_T9_mT8_P12ihipStream_tbDpT10_ENKUlT_T0_E_clISt17integral_constantIbLb1EES18_EEDaS13_S14_EUlS13_E_NS1_11comp_targetILNS1_3genE2ELNS1_11target_archE906ELNS1_3gpuE6ELNS1_3repE0EEENS1_30default_config_static_selectorELNS0_4arch9wavefront6targetE0EEEvT1_.kd
    .uniform_work_group_size: 1
    .uses_dynamic_stack: false
    .vgpr_count:     0
    .vgpr_spill_count: 0
    .wavefront_size: 32
    .workgroup_processor_mode: 1
  - .args:
      - .offset:         0
        .size:           128
        .value_kind:     by_value
    .group_segment_fixed_size: 0
    .kernarg_segment_align: 8
    .kernarg_segment_size: 128
    .language:       OpenCL C
    .language_version:
      - 2
      - 0
    .max_flat_workgroup_size: 384
    .name:           _ZN7rocprim17ROCPRIM_400000_NS6detail17trampoline_kernelINS0_14default_configENS1_25partition_config_selectorILNS1_17partition_subalgoE6EiNS0_10empty_typeEbEEZZNS1_14partition_implILS5_6ELb0ES3_mN6thrust23THRUST_200600_302600_NS6detail15normal_iteratorINSA_10device_ptrIiEEEEPS6_SG_NS0_5tupleIJSF_S6_EEENSH_IJSG_SG_EEES6_PlJNSB_9not_fun_tI7is_evenIiEEEEEE10hipError_tPvRmT3_T4_T5_T6_T7_T9_mT8_P12ihipStream_tbDpT10_ENKUlT_T0_E_clISt17integral_constantIbLb1EES18_EEDaS13_S14_EUlS13_E_NS1_11comp_targetILNS1_3genE10ELNS1_11target_archE1200ELNS1_3gpuE4ELNS1_3repE0EEENS1_30default_config_static_selectorELNS0_4arch9wavefront6targetE0EEEvT1_
    .private_segment_fixed_size: 0
    .sgpr_count:     0
    .sgpr_spill_count: 0
    .symbol:         _ZN7rocprim17ROCPRIM_400000_NS6detail17trampoline_kernelINS0_14default_configENS1_25partition_config_selectorILNS1_17partition_subalgoE6EiNS0_10empty_typeEbEEZZNS1_14partition_implILS5_6ELb0ES3_mN6thrust23THRUST_200600_302600_NS6detail15normal_iteratorINSA_10device_ptrIiEEEEPS6_SG_NS0_5tupleIJSF_S6_EEENSH_IJSG_SG_EEES6_PlJNSB_9not_fun_tI7is_evenIiEEEEEE10hipError_tPvRmT3_T4_T5_T6_T7_T9_mT8_P12ihipStream_tbDpT10_ENKUlT_T0_E_clISt17integral_constantIbLb1EES18_EEDaS13_S14_EUlS13_E_NS1_11comp_targetILNS1_3genE10ELNS1_11target_archE1200ELNS1_3gpuE4ELNS1_3repE0EEENS1_30default_config_static_selectorELNS0_4arch9wavefront6targetE0EEEvT1_.kd
    .uniform_work_group_size: 1
    .uses_dynamic_stack: false
    .vgpr_count:     0
    .vgpr_spill_count: 0
    .wavefront_size: 32
    .workgroup_processor_mode: 1
  - .args:
      - .offset:         0
        .size:           128
        .value_kind:     by_value
    .group_segment_fixed_size: 0
    .kernarg_segment_align: 8
    .kernarg_segment_size: 128
    .language:       OpenCL C
    .language_version:
      - 2
      - 0
    .max_flat_workgroup_size: 128
    .name:           _ZN7rocprim17ROCPRIM_400000_NS6detail17trampoline_kernelINS0_14default_configENS1_25partition_config_selectorILNS1_17partition_subalgoE6EiNS0_10empty_typeEbEEZZNS1_14partition_implILS5_6ELb0ES3_mN6thrust23THRUST_200600_302600_NS6detail15normal_iteratorINSA_10device_ptrIiEEEEPS6_SG_NS0_5tupleIJSF_S6_EEENSH_IJSG_SG_EEES6_PlJNSB_9not_fun_tI7is_evenIiEEEEEE10hipError_tPvRmT3_T4_T5_T6_T7_T9_mT8_P12ihipStream_tbDpT10_ENKUlT_T0_E_clISt17integral_constantIbLb1EES18_EEDaS13_S14_EUlS13_E_NS1_11comp_targetILNS1_3genE9ELNS1_11target_archE1100ELNS1_3gpuE3ELNS1_3repE0EEENS1_30default_config_static_selectorELNS0_4arch9wavefront6targetE0EEEvT1_
    .private_segment_fixed_size: 0
    .sgpr_count:     0
    .sgpr_spill_count: 0
    .symbol:         _ZN7rocprim17ROCPRIM_400000_NS6detail17trampoline_kernelINS0_14default_configENS1_25partition_config_selectorILNS1_17partition_subalgoE6EiNS0_10empty_typeEbEEZZNS1_14partition_implILS5_6ELb0ES3_mN6thrust23THRUST_200600_302600_NS6detail15normal_iteratorINSA_10device_ptrIiEEEEPS6_SG_NS0_5tupleIJSF_S6_EEENSH_IJSG_SG_EEES6_PlJNSB_9not_fun_tI7is_evenIiEEEEEE10hipError_tPvRmT3_T4_T5_T6_T7_T9_mT8_P12ihipStream_tbDpT10_ENKUlT_T0_E_clISt17integral_constantIbLb1EES18_EEDaS13_S14_EUlS13_E_NS1_11comp_targetILNS1_3genE9ELNS1_11target_archE1100ELNS1_3gpuE3ELNS1_3repE0EEENS1_30default_config_static_selectorELNS0_4arch9wavefront6targetE0EEEvT1_.kd
    .uniform_work_group_size: 1
    .uses_dynamic_stack: false
    .vgpr_count:     0
    .vgpr_spill_count: 0
    .wavefront_size: 32
    .workgroup_processor_mode: 1
  - .args:
      - .offset:         0
        .size:           128
        .value_kind:     by_value
    .group_segment_fixed_size: 0
    .kernarg_segment_align: 8
    .kernarg_segment_size: 128
    .language:       OpenCL C
    .language_version:
      - 2
      - 0
    .max_flat_workgroup_size: 512
    .name:           _ZN7rocprim17ROCPRIM_400000_NS6detail17trampoline_kernelINS0_14default_configENS1_25partition_config_selectorILNS1_17partition_subalgoE6EiNS0_10empty_typeEbEEZZNS1_14partition_implILS5_6ELb0ES3_mN6thrust23THRUST_200600_302600_NS6detail15normal_iteratorINSA_10device_ptrIiEEEEPS6_SG_NS0_5tupleIJSF_S6_EEENSH_IJSG_SG_EEES6_PlJNSB_9not_fun_tI7is_evenIiEEEEEE10hipError_tPvRmT3_T4_T5_T6_T7_T9_mT8_P12ihipStream_tbDpT10_ENKUlT_T0_E_clISt17integral_constantIbLb1EES18_EEDaS13_S14_EUlS13_E_NS1_11comp_targetILNS1_3genE8ELNS1_11target_archE1030ELNS1_3gpuE2ELNS1_3repE0EEENS1_30default_config_static_selectorELNS0_4arch9wavefront6targetE0EEEvT1_
    .private_segment_fixed_size: 0
    .sgpr_count:     0
    .sgpr_spill_count: 0
    .symbol:         _ZN7rocprim17ROCPRIM_400000_NS6detail17trampoline_kernelINS0_14default_configENS1_25partition_config_selectorILNS1_17partition_subalgoE6EiNS0_10empty_typeEbEEZZNS1_14partition_implILS5_6ELb0ES3_mN6thrust23THRUST_200600_302600_NS6detail15normal_iteratorINSA_10device_ptrIiEEEEPS6_SG_NS0_5tupleIJSF_S6_EEENSH_IJSG_SG_EEES6_PlJNSB_9not_fun_tI7is_evenIiEEEEEE10hipError_tPvRmT3_T4_T5_T6_T7_T9_mT8_P12ihipStream_tbDpT10_ENKUlT_T0_E_clISt17integral_constantIbLb1EES18_EEDaS13_S14_EUlS13_E_NS1_11comp_targetILNS1_3genE8ELNS1_11target_archE1030ELNS1_3gpuE2ELNS1_3repE0EEENS1_30default_config_static_selectorELNS0_4arch9wavefront6targetE0EEEvT1_.kd
    .uniform_work_group_size: 1
    .uses_dynamic_stack: false
    .vgpr_count:     0
    .vgpr_spill_count: 0
    .wavefront_size: 32
    .workgroup_processor_mode: 1
  - .args:
      - .offset:         0
        .size:           112
        .value_kind:     by_value
    .group_segment_fixed_size: 0
    .kernarg_segment_align: 8
    .kernarg_segment_size: 112
    .language:       OpenCL C
    .language_version:
      - 2
      - 0
    .max_flat_workgroup_size: 256
    .name:           _ZN7rocprim17ROCPRIM_400000_NS6detail17trampoline_kernelINS0_14default_configENS1_25partition_config_selectorILNS1_17partition_subalgoE6EiNS0_10empty_typeEbEEZZNS1_14partition_implILS5_6ELb0ES3_mN6thrust23THRUST_200600_302600_NS6detail15normal_iteratorINSA_10device_ptrIiEEEEPS6_SG_NS0_5tupleIJSF_S6_EEENSH_IJSG_SG_EEES6_PlJNSB_9not_fun_tI7is_evenIiEEEEEE10hipError_tPvRmT3_T4_T5_T6_T7_T9_mT8_P12ihipStream_tbDpT10_ENKUlT_T0_E_clISt17integral_constantIbLb1EES17_IbLb0EEEEDaS13_S14_EUlS13_E_NS1_11comp_targetILNS1_3genE0ELNS1_11target_archE4294967295ELNS1_3gpuE0ELNS1_3repE0EEENS1_30default_config_static_selectorELNS0_4arch9wavefront6targetE0EEEvT1_
    .private_segment_fixed_size: 0
    .sgpr_count:     0
    .sgpr_spill_count: 0
    .symbol:         _ZN7rocprim17ROCPRIM_400000_NS6detail17trampoline_kernelINS0_14default_configENS1_25partition_config_selectorILNS1_17partition_subalgoE6EiNS0_10empty_typeEbEEZZNS1_14partition_implILS5_6ELb0ES3_mN6thrust23THRUST_200600_302600_NS6detail15normal_iteratorINSA_10device_ptrIiEEEEPS6_SG_NS0_5tupleIJSF_S6_EEENSH_IJSG_SG_EEES6_PlJNSB_9not_fun_tI7is_evenIiEEEEEE10hipError_tPvRmT3_T4_T5_T6_T7_T9_mT8_P12ihipStream_tbDpT10_ENKUlT_T0_E_clISt17integral_constantIbLb1EES17_IbLb0EEEEDaS13_S14_EUlS13_E_NS1_11comp_targetILNS1_3genE0ELNS1_11target_archE4294967295ELNS1_3gpuE0ELNS1_3repE0EEENS1_30default_config_static_selectorELNS0_4arch9wavefront6targetE0EEEvT1_.kd
    .uniform_work_group_size: 1
    .uses_dynamic_stack: false
    .vgpr_count:     0
    .vgpr_spill_count: 0
    .wavefront_size: 32
    .workgroup_processor_mode: 1
  - .args:
      - .offset:         0
        .size:           112
        .value_kind:     by_value
    .group_segment_fixed_size: 0
    .kernarg_segment_align: 8
    .kernarg_segment_size: 112
    .language:       OpenCL C
    .language_version:
      - 2
      - 0
    .max_flat_workgroup_size: 512
    .name:           _ZN7rocprim17ROCPRIM_400000_NS6detail17trampoline_kernelINS0_14default_configENS1_25partition_config_selectorILNS1_17partition_subalgoE6EiNS0_10empty_typeEbEEZZNS1_14partition_implILS5_6ELb0ES3_mN6thrust23THRUST_200600_302600_NS6detail15normal_iteratorINSA_10device_ptrIiEEEEPS6_SG_NS0_5tupleIJSF_S6_EEENSH_IJSG_SG_EEES6_PlJNSB_9not_fun_tI7is_evenIiEEEEEE10hipError_tPvRmT3_T4_T5_T6_T7_T9_mT8_P12ihipStream_tbDpT10_ENKUlT_T0_E_clISt17integral_constantIbLb1EES17_IbLb0EEEEDaS13_S14_EUlS13_E_NS1_11comp_targetILNS1_3genE5ELNS1_11target_archE942ELNS1_3gpuE9ELNS1_3repE0EEENS1_30default_config_static_selectorELNS0_4arch9wavefront6targetE0EEEvT1_
    .private_segment_fixed_size: 0
    .sgpr_count:     0
    .sgpr_spill_count: 0
    .symbol:         _ZN7rocprim17ROCPRIM_400000_NS6detail17trampoline_kernelINS0_14default_configENS1_25partition_config_selectorILNS1_17partition_subalgoE6EiNS0_10empty_typeEbEEZZNS1_14partition_implILS5_6ELb0ES3_mN6thrust23THRUST_200600_302600_NS6detail15normal_iteratorINSA_10device_ptrIiEEEEPS6_SG_NS0_5tupleIJSF_S6_EEENSH_IJSG_SG_EEES6_PlJNSB_9not_fun_tI7is_evenIiEEEEEE10hipError_tPvRmT3_T4_T5_T6_T7_T9_mT8_P12ihipStream_tbDpT10_ENKUlT_T0_E_clISt17integral_constantIbLb1EES17_IbLb0EEEEDaS13_S14_EUlS13_E_NS1_11comp_targetILNS1_3genE5ELNS1_11target_archE942ELNS1_3gpuE9ELNS1_3repE0EEENS1_30default_config_static_selectorELNS0_4arch9wavefront6targetE0EEEvT1_.kd
    .uniform_work_group_size: 1
    .uses_dynamic_stack: false
    .vgpr_count:     0
    .vgpr_spill_count: 0
    .wavefront_size: 32
    .workgroup_processor_mode: 1
  - .args:
      - .offset:         0
        .size:           112
        .value_kind:     by_value
    .group_segment_fixed_size: 0
    .kernarg_segment_align: 8
    .kernarg_segment_size: 112
    .language:       OpenCL C
    .language_version:
      - 2
      - 0
    .max_flat_workgroup_size: 512
    .name:           _ZN7rocprim17ROCPRIM_400000_NS6detail17trampoline_kernelINS0_14default_configENS1_25partition_config_selectorILNS1_17partition_subalgoE6EiNS0_10empty_typeEbEEZZNS1_14partition_implILS5_6ELb0ES3_mN6thrust23THRUST_200600_302600_NS6detail15normal_iteratorINSA_10device_ptrIiEEEEPS6_SG_NS0_5tupleIJSF_S6_EEENSH_IJSG_SG_EEES6_PlJNSB_9not_fun_tI7is_evenIiEEEEEE10hipError_tPvRmT3_T4_T5_T6_T7_T9_mT8_P12ihipStream_tbDpT10_ENKUlT_T0_E_clISt17integral_constantIbLb1EES17_IbLb0EEEEDaS13_S14_EUlS13_E_NS1_11comp_targetILNS1_3genE4ELNS1_11target_archE910ELNS1_3gpuE8ELNS1_3repE0EEENS1_30default_config_static_selectorELNS0_4arch9wavefront6targetE0EEEvT1_
    .private_segment_fixed_size: 0
    .sgpr_count:     0
    .sgpr_spill_count: 0
    .symbol:         _ZN7rocprim17ROCPRIM_400000_NS6detail17trampoline_kernelINS0_14default_configENS1_25partition_config_selectorILNS1_17partition_subalgoE6EiNS0_10empty_typeEbEEZZNS1_14partition_implILS5_6ELb0ES3_mN6thrust23THRUST_200600_302600_NS6detail15normal_iteratorINSA_10device_ptrIiEEEEPS6_SG_NS0_5tupleIJSF_S6_EEENSH_IJSG_SG_EEES6_PlJNSB_9not_fun_tI7is_evenIiEEEEEE10hipError_tPvRmT3_T4_T5_T6_T7_T9_mT8_P12ihipStream_tbDpT10_ENKUlT_T0_E_clISt17integral_constantIbLb1EES17_IbLb0EEEEDaS13_S14_EUlS13_E_NS1_11comp_targetILNS1_3genE4ELNS1_11target_archE910ELNS1_3gpuE8ELNS1_3repE0EEENS1_30default_config_static_selectorELNS0_4arch9wavefront6targetE0EEEvT1_.kd
    .uniform_work_group_size: 1
    .uses_dynamic_stack: false
    .vgpr_count:     0
    .vgpr_spill_count: 0
    .wavefront_size: 32
    .workgroup_processor_mode: 1
  - .args:
      - .offset:         0
        .size:           112
        .value_kind:     by_value
    .group_segment_fixed_size: 0
    .kernarg_segment_align: 8
    .kernarg_segment_size: 112
    .language:       OpenCL C
    .language_version:
      - 2
      - 0
    .max_flat_workgroup_size: 256
    .name:           _ZN7rocprim17ROCPRIM_400000_NS6detail17trampoline_kernelINS0_14default_configENS1_25partition_config_selectorILNS1_17partition_subalgoE6EiNS0_10empty_typeEbEEZZNS1_14partition_implILS5_6ELb0ES3_mN6thrust23THRUST_200600_302600_NS6detail15normal_iteratorINSA_10device_ptrIiEEEEPS6_SG_NS0_5tupleIJSF_S6_EEENSH_IJSG_SG_EEES6_PlJNSB_9not_fun_tI7is_evenIiEEEEEE10hipError_tPvRmT3_T4_T5_T6_T7_T9_mT8_P12ihipStream_tbDpT10_ENKUlT_T0_E_clISt17integral_constantIbLb1EES17_IbLb0EEEEDaS13_S14_EUlS13_E_NS1_11comp_targetILNS1_3genE3ELNS1_11target_archE908ELNS1_3gpuE7ELNS1_3repE0EEENS1_30default_config_static_selectorELNS0_4arch9wavefront6targetE0EEEvT1_
    .private_segment_fixed_size: 0
    .sgpr_count:     0
    .sgpr_spill_count: 0
    .symbol:         _ZN7rocprim17ROCPRIM_400000_NS6detail17trampoline_kernelINS0_14default_configENS1_25partition_config_selectorILNS1_17partition_subalgoE6EiNS0_10empty_typeEbEEZZNS1_14partition_implILS5_6ELb0ES3_mN6thrust23THRUST_200600_302600_NS6detail15normal_iteratorINSA_10device_ptrIiEEEEPS6_SG_NS0_5tupleIJSF_S6_EEENSH_IJSG_SG_EEES6_PlJNSB_9not_fun_tI7is_evenIiEEEEEE10hipError_tPvRmT3_T4_T5_T6_T7_T9_mT8_P12ihipStream_tbDpT10_ENKUlT_T0_E_clISt17integral_constantIbLb1EES17_IbLb0EEEEDaS13_S14_EUlS13_E_NS1_11comp_targetILNS1_3genE3ELNS1_11target_archE908ELNS1_3gpuE7ELNS1_3repE0EEENS1_30default_config_static_selectorELNS0_4arch9wavefront6targetE0EEEvT1_.kd
    .uniform_work_group_size: 1
    .uses_dynamic_stack: false
    .vgpr_count:     0
    .vgpr_spill_count: 0
    .wavefront_size: 32
    .workgroup_processor_mode: 1
  - .args:
      - .offset:         0
        .size:           112
        .value_kind:     by_value
    .group_segment_fixed_size: 0
    .kernarg_segment_align: 8
    .kernarg_segment_size: 112
    .language:       OpenCL C
    .language_version:
      - 2
      - 0
    .max_flat_workgroup_size: 192
    .name:           _ZN7rocprim17ROCPRIM_400000_NS6detail17trampoline_kernelINS0_14default_configENS1_25partition_config_selectorILNS1_17partition_subalgoE6EiNS0_10empty_typeEbEEZZNS1_14partition_implILS5_6ELb0ES3_mN6thrust23THRUST_200600_302600_NS6detail15normal_iteratorINSA_10device_ptrIiEEEEPS6_SG_NS0_5tupleIJSF_S6_EEENSH_IJSG_SG_EEES6_PlJNSB_9not_fun_tI7is_evenIiEEEEEE10hipError_tPvRmT3_T4_T5_T6_T7_T9_mT8_P12ihipStream_tbDpT10_ENKUlT_T0_E_clISt17integral_constantIbLb1EES17_IbLb0EEEEDaS13_S14_EUlS13_E_NS1_11comp_targetILNS1_3genE2ELNS1_11target_archE906ELNS1_3gpuE6ELNS1_3repE0EEENS1_30default_config_static_selectorELNS0_4arch9wavefront6targetE0EEEvT1_
    .private_segment_fixed_size: 0
    .sgpr_count:     0
    .sgpr_spill_count: 0
    .symbol:         _ZN7rocprim17ROCPRIM_400000_NS6detail17trampoline_kernelINS0_14default_configENS1_25partition_config_selectorILNS1_17partition_subalgoE6EiNS0_10empty_typeEbEEZZNS1_14partition_implILS5_6ELb0ES3_mN6thrust23THRUST_200600_302600_NS6detail15normal_iteratorINSA_10device_ptrIiEEEEPS6_SG_NS0_5tupleIJSF_S6_EEENSH_IJSG_SG_EEES6_PlJNSB_9not_fun_tI7is_evenIiEEEEEE10hipError_tPvRmT3_T4_T5_T6_T7_T9_mT8_P12ihipStream_tbDpT10_ENKUlT_T0_E_clISt17integral_constantIbLb1EES17_IbLb0EEEEDaS13_S14_EUlS13_E_NS1_11comp_targetILNS1_3genE2ELNS1_11target_archE906ELNS1_3gpuE6ELNS1_3repE0EEENS1_30default_config_static_selectorELNS0_4arch9wavefront6targetE0EEEvT1_.kd
    .uniform_work_group_size: 1
    .uses_dynamic_stack: false
    .vgpr_count:     0
    .vgpr_spill_count: 0
    .wavefront_size: 32
    .workgroup_processor_mode: 1
  - .args:
      - .offset:         0
        .size:           112
        .value_kind:     by_value
    .group_segment_fixed_size: 0
    .kernarg_segment_align: 8
    .kernarg_segment_size: 112
    .language:       OpenCL C
    .language_version:
      - 2
      - 0
    .max_flat_workgroup_size: 384
    .name:           _ZN7rocprim17ROCPRIM_400000_NS6detail17trampoline_kernelINS0_14default_configENS1_25partition_config_selectorILNS1_17partition_subalgoE6EiNS0_10empty_typeEbEEZZNS1_14partition_implILS5_6ELb0ES3_mN6thrust23THRUST_200600_302600_NS6detail15normal_iteratorINSA_10device_ptrIiEEEEPS6_SG_NS0_5tupleIJSF_S6_EEENSH_IJSG_SG_EEES6_PlJNSB_9not_fun_tI7is_evenIiEEEEEE10hipError_tPvRmT3_T4_T5_T6_T7_T9_mT8_P12ihipStream_tbDpT10_ENKUlT_T0_E_clISt17integral_constantIbLb1EES17_IbLb0EEEEDaS13_S14_EUlS13_E_NS1_11comp_targetILNS1_3genE10ELNS1_11target_archE1200ELNS1_3gpuE4ELNS1_3repE0EEENS1_30default_config_static_selectorELNS0_4arch9wavefront6targetE0EEEvT1_
    .private_segment_fixed_size: 0
    .sgpr_count:     0
    .sgpr_spill_count: 0
    .symbol:         _ZN7rocprim17ROCPRIM_400000_NS6detail17trampoline_kernelINS0_14default_configENS1_25partition_config_selectorILNS1_17partition_subalgoE6EiNS0_10empty_typeEbEEZZNS1_14partition_implILS5_6ELb0ES3_mN6thrust23THRUST_200600_302600_NS6detail15normal_iteratorINSA_10device_ptrIiEEEEPS6_SG_NS0_5tupleIJSF_S6_EEENSH_IJSG_SG_EEES6_PlJNSB_9not_fun_tI7is_evenIiEEEEEE10hipError_tPvRmT3_T4_T5_T6_T7_T9_mT8_P12ihipStream_tbDpT10_ENKUlT_T0_E_clISt17integral_constantIbLb1EES17_IbLb0EEEEDaS13_S14_EUlS13_E_NS1_11comp_targetILNS1_3genE10ELNS1_11target_archE1200ELNS1_3gpuE4ELNS1_3repE0EEENS1_30default_config_static_selectorELNS0_4arch9wavefront6targetE0EEEvT1_.kd
    .uniform_work_group_size: 1
    .uses_dynamic_stack: false
    .vgpr_count:     0
    .vgpr_spill_count: 0
    .wavefront_size: 32
    .workgroup_processor_mode: 1
  - .args:
      - .offset:         0
        .size:           112
        .value_kind:     by_value
    .group_segment_fixed_size: 0
    .kernarg_segment_align: 8
    .kernarg_segment_size: 112
    .language:       OpenCL C
    .language_version:
      - 2
      - 0
    .max_flat_workgroup_size: 128
    .name:           _ZN7rocprim17ROCPRIM_400000_NS6detail17trampoline_kernelINS0_14default_configENS1_25partition_config_selectorILNS1_17partition_subalgoE6EiNS0_10empty_typeEbEEZZNS1_14partition_implILS5_6ELb0ES3_mN6thrust23THRUST_200600_302600_NS6detail15normal_iteratorINSA_10device_ptrIiEEEEPS6_SG_NS0_5tupleIJSF_S6_EEENSH_IJSG_SG_EEES6_PlJNSB_9not_fun_tI7is_evenIiEEEEEE10hipError_tPvRmT3_T4_T5_T6_T7_T9_mT8_P12ihipStream_tbDpT10_ENKUlT_T0_E_clISt17integral_constantIbLb1EES17_IbLb0EEEEDaS13_S14_EUlS13_E_NS1_11comp_targetILNS1_3genE9ELNS1_11target_archE1100ELNS1_3gpuE3ELNS1_3repE0EEENS1_30default_config_static_selectorELNS0_4arch9wavefront6targetE0EEEvT1_
    .private_segment_fixed_size: 0
    .sgpr_count:     0
    .sgpr_spill_count: 0
    .symbol:         _ZN7rocprim17ROCPRIM_400000_NS6detail17trampoline_kernelINS0_14default_configENS1_25partition_config_selectorILNS1_17partition_subalgoE6EiNS0_10empty_typeEbEEZZNS1_14partition_implILS5_6ELb0ES3_mN6thrust23THRUST_200600_302600_NS6detail15normal_iteratorINSA_10device_ptrIiEEEEPS6_SG_NS0_5tupleIJSF_S6_EEENSH_IJSG_SG_EEES6_PlJNSB_9not_fun_tI7is_evenIiEEEEEE10hipError_tPvRmT3_T4_T5_T6_T7_T9_mT8_P12ihipStream_tbDpT10_ENKUlT_T0_E_clISt17integral_constantIbLb1EES17_IbLb0EEEEDaS13_S14_EUlS13_E_NS1_11comp_targetILNS1_3genE9ELNS1_11target_archE1100ELNS1_3gpuE3ELNS1_3repE0EEENS1_30default_config_static_selectorELNS0_4arch9wavefront6targetE0EEEvT1_.kd
    .uniform_work_group_size: 1
    .uses_dynamic_stack: false
    .vgpr_count:     0
    .vgpr_spill_count: 0
    .wavefront_size: 32
    .workgroup_processor_mode: 1
  - .args:
      - .offset:         0
        .size:           112
        .value_kind:     by_value
    .group_segment_fixed_size: 0
    .kernarg_segment_align: 8
    .kernarg_segment_size: 112
    .language:       OpenCL C
    .language_version:
      - 2
      - 0
    .max_flat_workgroup_size: 512
    .name:           _ZN7rocprim17ROCPRIM_400000_NS6detail17trampoline_kernelINS0_14default_configENS1_25partition_config_selectorILNS1_17partition_subalgoE6EiNS0_10empty_typeEbEEZZNS1_14partition_implILS5_6ELb0ES3_mN6thrust23THRUST_200600_302600_NS6detail15normal_iteratorINSA_10device_ptrIiEEEEPS6_SG_NS0_5tupleIJSF_S6_EEENSH_IJSG_SG_EEES6_PlJNSB_9not_fun_tI7is_evenIiEEEEEE10hipError_tPvRmT3_T4_T5_T6_T7_T9_mT8_P12ihipStream_tbDpT10_ENKUlT_T0_E_clISt17integral_constantIbLb1EES17_IbLb0EEEEDaS13_S14_EUlS13_E_NS1_11comp_targetILNS1_3genE8ELNS1_11target_archE1030ELNS1_3gpuE2ELNS1_3repE0EEENS1_30default_config_static_selectorELNS0_4arch9wavefront6targetE0EEEvT1_
    .private_segment_fixed_size: 0
    .sgpr_count:     0
    .sgpr_spill_count: 0
    .symbol:         _ZN7rocprim17ROCPRIM_400000_NS6detail17trampoline_kernelINS0_14default_configENS1_25partition_config_selectorILNS1_17partition_subalgoE6EiNS0_10empty_typeEbEEZZNS1_14partition_implILS5_6ELb0ES3_mN6thrust23THRUST_200600_302600_NS6detail15normal_iteratorINSA_10device_ptrIiEEEEPS6_SG_NS0_5tupleIJSF_S6_EEENSH_IJSG_SG_EEES6_PlJNSB_9not_fun_tI7is_evenIiEEEEEE10hipError_tPvRmT3_T4_T5_T6_T7_T9_mT8_P12ihipStream_tbDpT10_ENKUlT_T0_E_clISt17integral_constantIbLb1EES17_IbLb0EEEEDaS13_S14_EUlS13_E_NS1_11comp_targetILNS1_3genE8ELNS1_11target_archE1030ELNS1_3gpuE2ELNS1_3repE0EEENS1_30default_config_static_selectorELNS0_4arch9wavefront6targetE0EEEvT1_.kd
    .uniform_work_group_size: 1
    .uses_dynamic_stack: false
    .vgpr_count:     0
    .vgpr_spill_count: 0
    .wavefront_size: 32
    .workgroup_processor_mode: 1
  - .args:
      - .offset:         0
        .size:           128
        .value_kind:     by_value
    .group_segment_fixed_size: 0
    .kernarg_segment_align: 8
    .kernarg_segment_size: 128
    .language:       OpenCL C
    .language_version:
      - 2
      - 0
    .max_flat_workgroup_size: 256
    .name:           _ZN7rocprim17ROCPRIM_400000_NS6detail17trampoline_kernelINS0_14default_configENS1_25partition_config_selectorILNS1_17partition_subalgoE6EiNS0_10empty_typeEbEEZZNS1_14partition_implILS5_6ELb0ES3_mN6thrust23THRUST_200600_302600_NS6detail15normal_iteratorINSA_10device_ptrIiEEEEPS6_SG_NS0_5tupleIJSF_S6_EEENSH_IJSG_SG_EEES6_PlJNSB_9not_fun_tI7is_evenIiEEEEEE10hipError_tPvRmT3_T4_T5_T6_T7_T9_mT8_P12ihipStream_tbDpT10_ENKUlT_T0_E_clISt17integral_constantIbLb0EES17_IbLb1EEEEDaS13_S14_EUlS13_E_NS1_11comp_targetILNS1_3genE0ELNS1_11target_archE4294967295ELNS1_3gpuE0ELNS1_3repE0EEENS1_30default_config_static_selectorELNS0_4arch9wavefront6targetE0EEEvT1_
    .private_segment_fixed_size: 0
    .sgpr_count:     0
    .sgpr_spill_count: 0
    .symbol:         _ZN7rocprim17ROCPRIM_400000_NS6detail17trampoline_kernelINS0_14default_configENS1_25partition_config_selectorILNS1_17partition_subalgoE6EiNS0_10empty_typeEbEEZZNS1_14partition_implILS5_6ELb0ES3_mN6thrust23THRUST_200600_302600_NS6detail15normal_iteratorINSA_10device_ptrIiEEEEPS6_SG_NS0_5tupleIJSF_S6_EEENSH_IJSG_SG_EEES6_PlJNSB_9not_fun_tI7is_evenIiEEEEEE10hipError_tPvRmT3_T4_T5_T6_T7_T9_mT8_P12ihipStream_tbDpT10_ENKUlT_T0_E_clISt17integral_constantIbLb0EES17_IbLb1EEEEDaS13_S14_EUlS13_E_NS1_11comp_targetILNS1_3genE0ELNS1_11target_archE4294967295ELNS1_3gpuE0ELNS1_3repE0EEENS1_30default_config_static_selectorELNS0_4arch9wavefront6targetE0EEEvT1_.kd
    .uniform_work_group_size: 1
    .uses_dynamic_stack: false
    .vgpr_count:     0
    .vgpr_spill_count: 0
    .wavefront_size: 32
    .workgroup_processor_mode: 1
  - .args:
      - .offset:         0
        .size:           128
        .value_kind:     by_value
    .group_segment_fixed_size: 0
    .kernarg_segment_align: 8
    .kernarg_segment_size: 128
    .language:       OpenCL C
    .language_version:
      - 2
      - 0
    .max_flat_workgroup_size: 512
    .name:           _ZN7rocprim17ROCPRIM_400000_NS6detail17trampoline_kernelINS0_14default_configENS1_25partition_config_selectorILNS1_17partition_subalgoE6EiNS0_10empty_typeEbEEZZNS1_14partition_implILS5_6ELb0ES3_mN6thrust23THRUST_200600_302600_NS6detail15normal_iteratorINSA_10device_ptrIiEEEEPS6_SG_NS0_5tupleIJSF_S6_EEENSH_IJSG_SG_EEES6_PlJNSB_9not_fun_tI7is_evenIiEEEEEE10hipError_tPvRmT3_T4_T5_T6_T7_T9_mT8_P12ihipStream_tbDpT10_ENKUlT_T0_E_clISt17integral_constantIbLb0EES17_IbLb1EEEEDaS13_S14_EUlS13_E_NS1_11comp_targetILNS1_3genE5ELNS1_11target_archE942ELNS1_3gpuE9ELNS1_3repE0EEENS1_30default_config_static_selectorELNS0_4arch9wavefront6targetE0EEEvT1_
    .private_segment_fixed_size: 0
    .sgpr_count:     0
    .sgpr_spill_count: 0
    .symbol:         _ZN7rocprim17ROCPRIM_400000_NS6detail17trampoline_kernelINS0_14default_configENS1_25partition_config_selectorILNS1_17partition_subalgoE6EiNS0_10empty_typeEbEEZZNS1_14partition_implILS5_6ELb0ES3_mN6thrust23THRUST_200600_302600_NS6detail15normal_iteratorINSA_10device_ptrIiEEEEPS6_SG_NS0_5tupleIJSF_S6_EEENSH_IJSG_SG_EEES6_PlJNSB_9not_fun_tI7is_evenIiEEEEEE10hipError_tPvRmT3_T4_T5_T6_T7_T9_mT8_P12ihipStream_tbDpT10_ENKUlT_T0_E_clISt17integral_constantIbLb0EES17_IbLb1EEEEDaS13_S14_EUlS13_E_NS1_11comp_targetILNS1_3genE5ELNS1_11target_archE942ELNS1_3gpuE9ELNS1_3repE0EEENS1_30default_config_static_selectorELNS0_4arch9wavefront6targetE0EEEvT1_.kd
    .uniform_work_group_size: 1
    .uses_dynamic_stack: false
    .vgpr_count:     0
    .vgpr_spill_count: 0
    .wavefront_size: 32
    .workgroup_processor_mode: 1
  - .args:
      - .offset:         0
        .size:           128
        .value_kind:     by_value
    .group_segment_fixed_size: 0
    .kernarg_segment_align: 8
    .kernarg_segment_size: 128
    .language:       OpenCL C
    .language_version:
      - 2
      - 0
    .max_flat_workgroup_size: 512
    .name:           _ZN7rocprim17ROCPRIM_400000_NS6detail17trampoline_kernelINS0_14default_configENS1_25partition_config_selectorILNS1_17partition_subalgoE6EiNS0_10empty_typeEbEEZZNS1_14partition_implILS5_6ELb0ES3_mN6thrust23THRUST_200600_302600_NS6detail15normal_iteratorINSA_10device_ptrIiEEEEPS6_SG_NS0_5tupleIJSF_S6_EEENSH_IJSG_SG_EEES6_PlJNSB_9not_fun_tI7is_evenIiEEEEEE10hipError_tPvRmT3_T4_T5_T6_T7_T9_mT8_P12ihipStream_tbDpT10_ENKUlT_T0_E_clISt17integral_constantIbLb0EES17_IbLb1EEEEDaS13_S14_EUlS13_E_NS1_11comp_targetILNS1_3genE4ELNS1_11target_archE910ELNS1_3gpuE8ELNS1_3repE0EEENS1_30default_config_static_selectorELNS0_4arch9wavefront6targetE0EEEvT1_
    .private_segment_fixed_size: 0
    .sgpr_count:     0
    .sgpr_spill_count: 0
    .symbol:         _ZN7rocprim17ROCPRIM_400000_NS6detail17trampoline_kernelINS0_14default_configENS1_25partition_config_selectorILNS1_17partition_subalgoE6EiNS0_10empty_typeEbEEZZNS1_14partition_implILS5_6ELb0ES3_mN6thrust23THRUST_200600_302600_NS6detail15normal_iteratorINSA_10device_ptrIiEEEEPS6_SG_NS0_5tupleIJSF_S6_EEENSH_IJSG_SG_EEES6_PlJNSB_9not_fun_tI7is_evenIiEEEEEE10hipError_tPvRmT3_T4_T5_T6_T7_T9_mT8_P12ihipStream_tbDpT10_ENKUlT_T0_E_clISt17integral_constantIbLb0EES17_IbLb1EEEEDaS13_S14_EUlS13_E_NS1_11comp_targetILNS1_3genE4ELNS1_11target_archE910ELNS1_3gpuE8ELNS1_3repE0EEENS1_30default_config_static_selectorELNS0_4arch9wavefront6targetE0EEEvT1_.kd
    .uniform_work_group_size: 1
    .uses_dynamic_stack: false
    .vgpr_count:     0
    .vgpr_spill_count: 0
    .wavefront_size: 32
    .workgroup_processor_mode: 1
  - .args:
      - .offset:         0
        .size:           128
        .value_kind:     by_value
    .group_segment_fixed_size: 0
    .kernarg_segment_align: 8
    .kernarg_segment_size: 128
    .language:       OpenCL C
    .language_version:
      - 2
      - 0
    .max_flat_workgroup_size: 256
    .name:           _ZN7rocprim17ROCPRIM_400000_NS6detail17trampoline_kernelINS0_14default_configENS1_25partition_config_selectorILNS1_17partition_subalgoE6EiNS0_10empty_typeEbEEZZNS1_14partition_implILS5_6ELb0ES3_mN6thrust23THRUST_200600_302600_NS6detail15normal_iteratorINSA_10device_ptrIiEEEEPS6_SG_NS0_5tupleIJSF_S6_EEENSH_IJSG_SG_EEES6_PlJNSB_9not_fun_tI7is_evenIiEEEEEE10hipError_tPvRmT3_T4_T5_T6_T7_T9_mT8_P12ihipStream_tbDpT10_ENKUlT_T0_E_clISt17integral_constantIbLb0EES17_IbLb1EEEEDaS13_S14_EUlS13_E_NS1_11comp_targetILNS1_3genE3ELNS1_11target_archE908ELNS1_3gpuE7ELNS1_3repE0EEENS1_30default_config_static_selectorELNS0_4arch9wavefront6targetE0EEEvT1_
    .private_segment_fixed_size: 0
    .sgpr_count:     0
    .sgpr_spill_count: 0
    .symbol:         _ZN7rocprim17ROCPRIM_400000_NS6detail17trampoline_kernelINS0_14default_configENS1_25partition_config_selectorILNS1_17partition_subalgoE6EiNS0_10empty_typeEbEEZZNS1_14partition_implILS5_6ELb0ES3_mN6thrust23THRUST_200600_302600_NS6detail15normal_iteratorINSA_10device_ptrIiEEEEPS6_SG_NS0_5tupleIJSF_S6_EEENSH_IJSG_SG_EEES6_PlJNSB_9not_fun_tI7is_evenIiEEEEEE10hipError_tPvRmT3_T4_T5_T6_T7_T9_mT8_P12ihipStream_tbDpT10_ENKUlT_T0_E_clISt17integral_constantIbLb0EES17_IbLb1EEEEDaS13_S14_EUlS13_E_NS1_11comp_targetILNS1_3genE3ELNS1_11target_archE908ELNS1_3gpuE7ELNS1_3repE0EEENS1_30default_config_static_selectorELNS0_4arch9wavefront6targetE0EEEvT1_.kd
    .uniform_work_group_size: 1
    .uses_dynamic_stack: false
    .vgpr_count:     0
    .vgpr_spill_count: 0
    .wavefront_size: 32
    .workgroup_processor_mode: 1
  - .args:
      - .offset:         0
        .size:           128
        .value_kind:     by_value
    .group_segment_fixed_size: 0
    .kernarg_segment_align: 8
    .kernarg_segment_size: 128
    .language:       OpenCL C
    .language_version:
      - 2
      - 0
    .max_flat_workgroup_size: 192
    .name:           _ZN7rocprim17ROCPRIM_400000_NS6detail17trampoline_kernelINS0_14default_configENS1_25partition_config_selectorILNS1_17partition_subalgoE6EiNS0_10empty_typeEbEEZZNS1_14partition_implILS5_6ELb0ES3_mN6thrust23THRUST_200600_302600_NS6detail15normal_iteratorINSA_10device_ptrIiEEEEPS6_SG_NS0_5tupleIJSF_S6_EEENSH_IJSG_SG_EEES6_PlJNSB_9not_fun_tI7is_evenIiEEEEEE10hipError_tPvRmT3_T4_T5_T6_T7_T9_mT8_P12ihipStream_tbDpT10_ENKUlT_T0_E_clISt17integral_constantIbLb0EES17_IbLb1EEEEDaS13_S14_EUlS13_E_NS1_11comp_targetILNS1_3genE2ELNS1_11target_archE906ELNS1_3gpuE6ELNS1_3repE0EEENS1_30default_config_static_selectorELNS0_4arch9wavefront6targetE0EEEvT1_
    .private_segment_fixed_size: 0
    .sgpr_count:     0
    .sgpr_spill_count: 0
    .symbol:         _ZN7rocprim17ROCPRIM_400000_NS6detail17trampoline_kernelINS0_14default_configENS1_25partition_config_selectorILNS1_17partition_subalgoE6EiNS0_10empty_typeEbEEZZNS1_14partition_implILS5_6ELb0ES3_mN6thrust23THRUST_200600_302600_NS6detail15normal_iteratorINSA_10device_ptrIiEEEEPS6_SG_NS0_5tupleIJSF_S6_EEENSH_IJSG_SG_EEES6_PlJNSB_9not_fun_tI7is_evenIiEEEEEE10hipError_tPvRmT3_T4_T5_T6_T7_T9_mT8_P12ihipStream_tbDpT10_ENKUlT_T0_E_clISt17integral_constantIbLb0EES17_IbLb1EEEEDaS13_S14_EUlS13_E_NS1_11comp_targetILNS1_3genE2ELNS1_11target_archE906ELNS1_3gpuE6ELNS1_3repE0EEENS1_30default_config_static_selectorELNS0_4arch9wavefront6targetE0EEEvT1_.kd
    .uniform_work_group_size: 1
    .uses_dynamic_stack: false
    .vgpr_count:     0
    .vgpr_spill_count: 0
    .wavefront_size: 32
    .workgroup_processor_mode: 1
  - .args:
      - .offset:         0
        .size:           128
        .value_kind:     by_value
    .group_segment_fixed_size: 10768
    .kernarg_segment_align: 8
    .kernarg_segment_size: 128
    .language:       OpenCL C
    .language_version:
      - 2
      - 0
    .max_flat_workgroup_size: 384
    .name:           _ZN7rocprim17ROCPRIM_400000_NS6detail17trampoline_kernelINS0_14default_configENS1_25partition_config_selectorILNS1_17partition_subalgoE6EiNS0_10empty_typeEbEEZZNS1_14partition_implILS5_6ELb0ES3_mN6thrust23THRUST_200600_302600_NS6detail15normal_iteratorINSA_10device_ptrIiEEEEPS6_SG_NS0_5tupleIJSF_S6_EEENSH_IJSG_SG_EEES6_PlJNSB_9not_fun_tI7is_evenIiEEEEEE10hipError_tPvRmT3_T4_T5_T6_T7_T9_mT8_P12ihipStream_tbDpT10_ENKUlT_T0_E_clISt17integral_constantIbLb0EES17_IbLb1EEEEDaS13_S14_EUlS13_E_NS1_11comp_targetILNS1_3genE10ELNS1_11target_archE1200ELNS1_3gpuE4ELNS1_3repE0EEENS1_30default_config_static_selectorELNS0_4arch9wavefront6targetE0EEEvT1_
    .private_segment_fixed_size: 0
    .sgpr_count:     22
    .sgpr_spill_count: 0
    .symbol:         _ZN7rocprim17ROCPRIM_400000_NS6detail17trampoline_kernelINS0_14default_configENS1_25partition_config_selectorILNS1_17partition_subalgoE6EiNS0_10empty_typeEbEEZZNS1_14partition_implILS5_6ELb0ES3_mN6thrust23THRUST_200600_302600_NS6detail15normal_iteratorINSA_10device_ptrIiEEEEPS6_SG_NS0_5tupleIJSF_S6_EEENSH_IJSG_SG_EEES6_PlJNSB_9not_fun_tI7is_evenIiEEEEEE10hipError_tPvRmT3_T4_T5_T6_T7_T9_mT8_P12ihipStream_tbDpT10_ENKUlT_T0_E_clISt17integral_constantIbLb0EES17_IbLb1EEEEDaS13_S14_EUlS13_E_NS1_11comp_targetILNS1_3genE10ELNS1_11target_archE1200ELNS1_3gpuE4ELNS1_3repE0EEENS1_30default_config_static_selectorELNS0_4arch9wavefront6targetE0EEEvT1_.kd
    .uniform_work_group_size: 1
    .uses_dynamic_stack: false
    .vgpr_count:     52
    .vgpr_spill_count: 0
    .wavefront_size: 32
    .workgroup_processor_mode: 1
  - .args:
      - .offset:         0
        .size:           128
        .value_kind:     by_value
    .group_segment_fixed_size: 0
    .kernarg_segment_align: 8
    .kernarg_segment_size: 128
    .language:       OpenCL C
    .language_version:
      - 2
      - 0
    .max_flat_workgroup_size: 128
    .name:           _ZN7rocprim17ROCPRIM_400000_NS6detail17trampoline_kernelINS0_14default_configENS1_25partition_config_selectorILNS1_17partition_subalgoE6EiNS0_10empty_typeEbEEZZNS1_14partition_implILS5_6ELb0ES3_mN6thrust23THRUST_200600_302600_NS6detail15normal_iteratorINSA_10device_ptrIiEEEEPS6_SG_NS0_5tupleIJSF_S6_EEENSH_IJSG_SG_EEES6_PlJNSB_9not_fun_tI7is_evenIiEEEEEE10hipError_tPvRmT3_T4_T5_T6_T7_T9_mT8_P12ihipStream_tbDpT10_ENKUlT_T0_E_clISt17integral_constantIbLb0EES17_IbLb1EEEEDaS13_S14_EUlS13_E_NS1_11comp_targetILNS1_3genE9ELNS1_11target_archE1100ELNS1_3gpuE3ELNS1_3repE0EEENS1_30default_config_static_selectorELNS0_4arch9wavefront6targetE0EEEvT1_
    .private_segment_fixed_size: 0
    .sgpr_count:     0
    .sgpr_spill_count: 0
    .symbol:         _ZN7rocprim17ROCPRIM_400000_NS6detail17trampoline_kernelINS0_14default_configENS1_25partition_config_selectorILNS1_17partition_subalgoE6EiNS0_10empty_typeEbEEZZNS1_14partition_implILS5_6ELb0ES3_mN6thrust23THRUST_200600_302600_NS6detail15normal_iteratorINSA_10device_ptrIiEEEEPS6_SG_NS0_5tupleIJSF_S6_EEENSH_IJSG_SG_EEES6_PlJNSB_9not_fun_tI7is_evenIiEEEEEE10hipError_tPvRmT3_T4_T5_T6_T7_T9_mT8_P12ihipStream_tbDpT10_ENKUlT_T0_E_clISt17integral_constantIbLb0EES17_IbLb1EEEEDaS13_S14_EUlS13_E_NS1_11comp_targetILNS1_3genE9ELNS1_11target_archE1100ELNS1_3gpuE3ELNS1_3repE0EEENS1_30default_config_static_selectorELNS0_4arch9wavefront6targetE0EEEvT1_.kd
    .uniform_work_group_size: 1
    .uses_dynamic_stack: false
    .vgpr_count:     0
    .vgpr_spill_count: 0
    .wavefront_size: 32
    .workgroup_processor_mode: 1
  - .args:
      - .offset:         0
        .size:           128
        .value_kind:     by_value
    .group_segment_fixed_size: 0
    .kernarg_segment_align: 8
    .kernarg_segment_size: 128
    .language:       OpenCL C
    .language_version:
      - 2
      - 0
    .max_flat_workgroup_size: 512
    .name:           _ZN7rocprim17ROCPRIM_400000_NS6detail17trampoline_kernelINS0_14default_configENS1_25partition_config_selectorILNS1_17partition_subalgoE6EiNS0_10empty_typeEbEEZZNS1_14partition_implILS5_6ELb0ES3_mN6thrust23THRUST_200600_302600_NS6detail15normal_iteratorINSA_10device_ptrIiEEEEPS6_SG_NS0_5tupleIJSF_S6_EEENSH_IJSG_SG_EEES6_PlJNSB_9not_fun_tI7is_evenIiEEEEEE10hipError_tPvRmT3_T4_T5_T6_T7_T9_mT8_P12ihipStream_tbDpT10_ENKUlT_T0_E_clISt17integral_constantIbLb0EES17_IbLb1EEEEDaS13_S14_EUlS13_E_NS1_11comp_targetILNS1_3genE8ELNS1_11target_archE1030ELNS1_3gpuE2ELNS1_3repE0EEENS1_30default_config_static_selectorELNS0_4arch9wavefront6targetE0EEEvT1_
    .private_segment_fixed_size: 0
    .sgpr_count:     0
    .sgpr_spill_count: 0
    .symbol:         _ZN7rocprim17ROCPRIM_400000_NS6detail17trampoline_kernelINS0_14default_configENS1_25partition_config_selectorILNS1_17partition_subalgoE6EiNS0_10empty_typeEbEEZZNS1_14partition_implILS5_6ELb0ES3_mN6thrust23THRUST_200600_302600_NS6detail15normal_iteratorINSA_10device_ptrIiEEEEPS6_SG_NS0_5tupleIJSF_S6_EEENSH_IJSG_SG_EEES6_PlJNSB_9not_fun_tI7is_evenIiEEEEEE10hipError_tPvRmT3_T4_T5_T6_T7_T9_mT8_P12ihipStream_tbDpT10_ENKUlT_T0_E_clISt17integral_constantIbLb0EES17_IbLb1EEEEDaS13_S14_EUlS13_E_NS1_11comp_targetILNS1_3genE8ELNS1_11target_archE1030ELNS1_3gpuE2ELNS1_3repE0EEENS1_30default_config_static_selectorELNS0_4arch9wavefront6targetE0EEEvT1_.kd
    .uniform_work_group_size: 1
    .uses_dynamic_stack: false
    .vgpr_count:     0
    .vgpr_spill_count: 0
    .wavefront_size: 32
    .workgroup_processor_mode: 1
  - .args:
      - .offset:         0
        .size:           112
        .value_kind:     by_value
    .group_segment_fixed_size: 0
    .kernarg_segment_align: 8
    .kernarg_segment_size: 112
    .language:       OpenCL C
    .language_version:
      - 2
      - 0
    .max_flat_workgroup_size: 256
    .name:           _ZN7rocprim17ROCPRIM_400000_NS6detail17trampoline_kernelINS0_14default_configENS1_25partition_config_selectorILNS1_17partition_subalgoE6EsNS0_10empty_typeEbEEZZNS1_14partition_implILS5_6ELb0ES3_mN6thrust23THRUST_200600_302600_NS6detail15normal_iteratorINSA_10device_ptrIsEEEEPS6_SG_NS0_5tupleIJSF_S6_EEENSH_IJSG_SG_EEES6_PlJNSB_9not_fun_tI7is_evenIsEEEEEE10hipError_tPvRmT3_T4_T5_T6_T7_T9_mT8_P12ihipStream_tbDpT10_ENKUlT_T0_E_clISt17integral_constantIbLb0EES18_EEDaS13_S14_EUlS13_E_NS1_11comp_targetILNS1_3genE0ELNS1_11target_archE4294967295ELNS1_3gpuE0ELNS1_3repE0EEENS1_30default_config_static_selectorELNS0_4arch9wavefront6targetE0EEEvT1_
    .private_segment_fixed_size: 0
    .sgpr_count:     0
    .sgpr_spill_count: 0
    .symbol:         _ZN7rocprim17ROCPRIM_400000_NS6detail17trampoline_kernelINS0_14default_configENS1_25partition_config_selectorILNS1_17partition_subalgoE6EsNS0_10empty_typeEbEEZZNS1_14partition_implILS5_6ELb0ES3_mN6thrust23THRUST_200600_302600_NS6detail15normal_iteratorINSA_10device_ptrIsEEEEPS6_SG_NS0_5tupleIJSF_S6_EEENSH_IJSG_SG_EEES6_PlJNSB_9not_fun_tI7is_evenIsEEEEEE10hipError_tPvRmT3_T4_T5_T6_T7_T9_mT8_P12ihipStream_tbDpT10_ENKUlT_T0_E_clISt17integral_constantIbLb0EES18_EEDaS13_S14_EUlS13_E_NS1_11comp_targetILNS1_3genE0ELNS1_11target_archE4294967295ELNS1_3gpuE0ELNS1_3repE0EEENS1_30default_config_static_selectorELNS0_4arch9wavefront6targetE0EEEvT1_.kd
    .uniform_work_group_size: 1
    .uses_dynamic_stack: false
    .vgpr_count:     0
    .vgpr_spill_count: 0
    .wavefront_size: 32
    .workgroup_processor_mode: 1
  - .args:
      - .offset:         0
        .size:           112
        .value_kind:     by_value
    .group_segment_fixed_size: 0
    .kernarg_segment_align: 8
    .kernarg_segment_size: 112
    .language:       OpenCL C
    .language_version:
      - 2
      - 0
    .max_flat_workgroup_size: 512
    .name:           _ZN7rocprim17ROCPRIM_400000_NS6detail17trampoline_kernelINS0_14default_configENS1_25partition_config_selectorILNS1_17partition_subalgoE6EsNS0_10empty_typeEbEEZZNS1_14partition_implILS5_6ELb0ES3_mN6thrust23THRUST_200600_302600_NS6detail15normal_iteratorINSA_10device_ptrIsEEEEPS6_SG_NS0_5tupleIJSF_S6_EEENSH_IJSG_SG_EEES6_PlJNSB_9not_fun_tI7is_evenIsEEEEEE10hipError_tPvRmT3_T4_T5_T6_T7_T9_mT8_P12ihipStream_tbDpT10_ENKUlT_T0_E_clISt17integral_constantIbLb0EES18_EEDaS13_S14_EUlS13_E_NS1_11comp_targetILNS1_3genE5ELNS1_11target_archE942ELNS1_3gpuE9ELNS1_3repE0EEENS1_30default_config_static_selectorELNS0_4arch9wavefront6targetE0EEEvT1_
    .private_segment_fixed_size: 0
    .sgpr_count:     0
    .sgpr_spill_count: 0
    .symbol:         _ZN7rocprim17ROCPRIM_400000_NS6detail17trampoline_kernelINS0_14default_configENS1_25partition_config_selectorILNS1_17partition_subalgoE6EsNS0_10empty_typeEbEEZZNS1_14partition_implILS5_6ELb0ES3_mN6thrust23THRUST_200600_302600_NS6detail15normal_iteratorINSA_10device_ptrIsEEEEPS6_SG_NS0_5tupleIJSF_S6_EEENSH_IJSG_SG_EEES6_PlJNSB_9not_fun_tI7is_evenIsEEEEEE10hipError_tPvRmT3_T4_T5_T6_T7_T9_mT8_P12ihipStream_tbDpT10_ENKUlT_T0_E_clISt17integral_constantIbLb0EES18_EEDaS13_S14_EUlS13_E_NS1_11comp_targetILNS1_3genE5ELNS1_11target_archE942ELNS1_3gpuE9ELNS1_3repE0EEENS1_30default_config_static_selectorELNS0_4arch9wavefront6targetE0EEEvT1_.kd
    .uniform_work_group_size: 1
    .uses_dynamic_stack: false
    .vgpr_count:     0
    .vgpr_spill_count: 0
    .wavefront_size: 32
    .workgroup_processor_mode: 1
  - .args:
      - .offset:         0
        .size:           112
        .value_kind:     by_value
    .group_segment_fixed_size: 0
    .kernarg_segment_align: 8
    .kernarg_segment_size: 112
    .language:       OpenCL C
    .language_version:
      - 2
      - 0
    .max_flat_workgroup_size: 256
    .name:           _ZN7rocprim17ROCPRIM_400000_NS6detail17trampoline_kernelINS0_14default_configENS1_25partition_config_selectorILNS1_17partition_subalgoE6EsNS0_10empty_typeEbEEZZNS1_14partition_implILS5_6ELb0ES3_mN6thrust23THRUST_200600_302600_NS6detail15normal_iteratorINSA_10device_ptrIsEEEEPS6_SG_NS0_5tupleIJSF_S6_EEENSH_IJSG_SG_EEES6_PlJNSB_9not_fun_tI7is_evenIsEEEEEE10hipError_tPvRmT3_T4_T5_T6_T7_T9_mT8_P12ihipStream_tbDpT10_ENKUlT_T0_E_clISt17integral_constantIbLb0EES18_EEDaS13_S14_EUlS13_E_NS1_11comp_targetILNS1_3genE4ELNS1_11target_archE910ELNS1_3gpuE8ELNS1_3repE0EEENS1_30default_config_static_selectorELNS0_4arch9wavefront6targetE0EEEvT1_
    .private_segment_fixed_size: 0
    .sgpr_count:     0
    .sgpr_spill_count: 0
    .symbol:         _ZN7rocprim17ROCPRIM_400000_NS6detail17trampoline_kernelINS0_14default_configENS1_25partition_config_selectorILNS1_17partition_subalgoE6EsNS0_10empty_typeEbEEZZNS1_14partition_implILS5_6ELb0ES3_mN6thrust23THRUST_200600_302600_NS6detail15normal_iteratorINSA_10device_ptrIsEEEEPS6_SG_NS0_5tupleIJSF_S6_EEENSH_IJSG_SG_EEES6_PlJNSB_9not_fun_tI7is_evenIsEEEEEE10hipError_tPvRmT3_T4_T5_T6_T7_T9_mT8_P12ihipStream_tbDpT10_ENKUlT_T0_E_clISt17integral_constantIbLb0EES18_EEDaS13_S14_EUlS13_E_NS1_11comp_targetILNS1_3genE4ELNS1_11target_archE910ELNS1_3gpuE8ELNS1_3repE0EEENS1_30default_config_static_selectorELNS0_4arch9wavefront6targetE0EEEvT1_.kd
    .uniform_work_group_size: 1
    .uses_dynamic_stack: false
    .vgpr_count:     0
    .vgpr_spill_count: 0
    .wavefront_size: 32
    .workgroup_processor_mode: 1
  - .args:
      - .offset:         0
        .size:           112
        .value_kind:     by_value
    .group_segment_fixed_size: 0
    .kernarg_segment_align: 8
    .kernarg_segment_size: 112
    .language:       OpenCL C
    .language_version:
      - 2
      - 0
    .max_flat_workgroup_size: 256
    .name:           _ZN7rocprim17ROCPRIM_400000_NS6detail17trampoline_kernelINS0_14default_configENS1_25partition_config_selectorILNS1_17partition_subalgoE6EsNS0_10empty_typeEbEEZZNS1_14partition_implILS5_6ELb0ES3_mN6thrust23THRUST_200600_302600_NS6detail15normal_iteratorINSA_10device_ptrIsEEEEPS6_SG_NS0_5tupleIJSF_S6_EEENSH_IJSG_SG_EEES6_PlJNSB_9not_fun_tI7is_evenIsEEEEEE10hipError_tPvRmT3_T4_T5_T6_T7_T9_mT8_P12ihipStream_tbDpT10_ENKUlT_T0_E_clISt17integral_constantIbLb0EES18_EEDaS13_S14_EUlS13_E_NS1_11comp_targetILNS1_3genE3ELNS1_11target_archE908ELNS1_3gpuE7ELNS1_3repE0EEENS1_30default_config_static_selectorELNS0_4arch9wavefront6targetE0EEEvT1_
    .private_segment_fixed_size: 0
    .sgpr_count:     0
    .sgpr_spill_count: 0
    .symbol:         _ZN7rocprim17ROCPRIM_400000_NS6detail17trampoline_kernelINS0_14default_configENS1_25partition_config_selectorILNS1_17partition_subalgoE6EsNS0_10empty_typeEbEEZZNS1_14partition_implILS5_6ELb0ES3_mN6thrust23THRUST_200600_302600_NS6detail15normal_iteratorINSA_10device_ptrIsEEEEPS6_SG_NS0_5tupleIJSF_S6_EEENSH_IJSG_SG_EEES6_PlJNSB_9not_fun_tI7is_evenIsEEEEEE10hipError_tPvRmT3_T4_T5_T6_T7_T9_mT8_P12ihipStream_tbDpT10_ENKUlT_T0_E_clISt17integral_constantIbLb0EES18_EEDaS13_S14_EUlS13_E_NS1_11comp_targetILNS1_3genE3ELNS1_11target_archE908ELNS1_3gpuE7ELNS1_3repE0EEENS1_30default_config_static_selectorELNS0_4arch9wavefront6targetE0EEEvT1_.kd
    .uniform_work_group_size: 1
    .uses_dynamic_stack: false
    .vgpr_count:     0
    .vgpr_spill_count: 0
    .wavefront_size: 32
    .workgroup_processor_mode: 1
  - .args:
      - .offset:         0
        .size:           112
        .value_kind:     by_value
    .group_segment_fixed_size: 0
    .kernarg_segment_align: 8
    .kernarg_segment_size: 112
    .language:       OpenCL C
    .language_version:
      - 2
      - 0
    .max_flat_workgroup_size: 256
    .name:           _ZN7rocprim17ROCPRIM_400000_NS6detail17trampoline_kernelINS0_14default_configENS1_25partition_config_selectorILNS1_17partition_subalgoE6EsNS0_10empty_typeEbEEZZNS1_14partition_implILS5_6ELb0ES3_mN6thrust23THRUST_200600_302600_NS6detail15normal_iteratorINSA_10device_ptrIsEEEEPS6_SG_NS0_5tupleIJSF_S6_EEENSH_IJSG_SG_EEES6_PlJNSB_9not_fun_tI7is_evenIsEEEEEE10hipError_tPvRmT3_T4_T5_T6_T7_T9_mT8_P12ihipStream_tbDpT10_ENKUlT_T0_E_clISt17integral_constantIbLb0EES18_EEDaS13_S14_EUlS13_E_NS1_11comp_targetILNS1_3genE2ELNS1_11target_archE906ELNS1_3gpuE6ELNS1_3repE0EEENS1_30default_config_static_selectorELNS0_4arch9wavefront6targetE0EEEvT1_
    .private_segment_fixed_size: 0
    .sgpr_count:     0
    .sgpr_spill_count: 0
    .symbol:         _ZN7rocprim17ROCPRIM_400000_NS6detail17trampoline_kernelINS0_14default_configENS1_25partition_config_selectorILNS1_17partition_subalgoE6EsNS0_10empty_typeEbEEZZNS1_14partition_implILS5_6ELb0ES3_mN6thrust23THRUST_200600_302600_NS6detail15normal_iteratorINSA_10device_ptrIsEEEEPS6_SG_NS0_5tupleIJSF_S6_EEENSH_IJSG_SG_EEES6_PlJNSB_9not_fun_tI7is_evenIsEEEEEE10hipError_tPvRmT3_T4_T5_T6_T7_T9_mT8_P12ihipStream_tbDpT10_ENKUlT_T0_E_clISt17integral_constantIbLb0EES18_EEDaS13_S14_EUlS13_E_NS1_11comp_targetILNS1_3genE2ELNS1_11target_archE906ELNS1_3gpuE6ELNS1_3repE0EEENS1_30default_config_static_selectorELNS0_4arch9wavefront6targetE0EEEvT1_.kd
    .uniform_work_group_size: 1
    .uses_dynamic_stack: false
    .vgpr_count:     0
    .vgpr_spill_count: 0
    .wavefront_size: 32
    .workgroup_processor_mode: 1
  - .args:
      - .offset:         0
        .size:           112
        .value_kind:     by_value
    .group_segment_fixed_size: 13840
    .kernarg_segment_align: 8
    .kernarg_segment_size: 112
    .language:       OpenCL C
    .language_version:
      - 2
      - 0
    .max_flat_workgroup_size: 384
    .name:           _ZN7rocprim17ROCPRIM_400000_NS6detail17trampoline_kernelINS0_14default_configENS1_25partition_config_selectorILNS1_17partition_subalgoE6EsNS0_10empty_typeEbEEZZNS1_14partition_implILS5_6ELb0ES3_mN6thrust23THRUST_200600_302600_NS6detail15normal_iteratorINSA_10device_ptrIsEEEEPS6_SG_NS0_5tupleIJSF_S6_EEENSH_IJSG_SG_EEES6_PlJNSB_9not_fun_tI7is_evenIsEEEEEE10hipError_tPvRmT3_T4_T5_T6_T7_T9_mT8_P12ihipStream_tbDpT10_ENKUlT_T0_E_clISt17integral_constantIbLb0EES18_EEDaS13_S14_EUlS13_E_NS1_11comp_targetILNS1_3genE10ELNS1_11target_archE1200ELNS1_3gpuE4ELNS1_3repE0EEENS1_30default_config_static_selectorELNS0_4arch9wavefront6targetE0EEEvT1_
    .private_segment_fixed_size: 0
    .sgpr_count:     21
    .sgpr_spill_count: 0
    .symbol:         _ZN7rocprim17ROCPRIM_400000_NS6detail17trampoline_kernelINS0_14default_configENS1_25partition_config_selectorILNS1_17partition_subalgoE6EsNS0_10empty_typeEbEEZZNS1_14partition_implILS5_6ELb0ES3_mN6thrust23THRUST_200600_302600_NS6detail15normal_iteratorINSA_10device_ptrIsEEEEPS6_SG_NS0_5tupleIJSF_S6_EEENSH_IJSG_SG_EEES6_PlJNSB_9not_fun_tI7is_evenIsEEEEEE10hipError_tPvRmT3_T4_T5_T6_T7_T9_mT8_P12ihipStream_tbDpT10_ENKUlT_T0_E_clISt17integral_constantIbLb0EES18_EEDaS13_S14_EUlS13_E_NS1_11comp_targetILNS1_3genE10ELNS1_11target_archE1200ELNS1_3gpuE4ELNS1_3repE0EEENS1_30default_config_static_selectorELNS0_4arch9wavefront6targetE0EEEvT1_.kd
    .uniform_work_group_size: 1
    .uses_dynamic_stack: false
    .vgpr_count:     73
    .vgpr_spill_count: 0
    .wavefront_size: 32
    .workgroup_processor_mode: 1
  - .args:
      - .offset:         0
        .size:           112
        .value_kind:     by_value
    .group_segment_fixed_size: 0
    .kernarg_segment_align: 8
    .kernarg_segment_size: 112
    .language:       OpenCL C
    .language_version:
      - 2
      - 0
    .max_flat_workgroup_size: 128
    .name:           _ZN7rocprim17ROCPRIM_400000_NS6detail17trampoline_kernelINS0_14default_configENS1_25partition_config_selectorILNS1_17partition_subalgoE6EsNS0_10empty_typeEbEEZZNS1_14partition_implILS5_6ELb0ES3_mN6thrust23THRUST_200600_302600_NS6detail15normal_iteratorINSA_10device_ptrIsEEEEPS6_SG_NS0_5tupleIJSF_S6_EEENSH_IJSG_SG_EEES6_PlJNSB_9not_fun_tI7is_evenIsEEEEEE10hipError_tPvRmT3_T4_T5_T6_T7_T9_mT8_P12ihipStream_tbDpT10_ENKUlT_T0_E_clISt17integral_constantIbLb0EES18_EEDaS13_S14_EUlS13_E_NS1_11comp_targetILNS1_3genE9ELNS1_11target_archE1100ELNS1_3gpuE3ELNS1_3repE0EEENS1_30default_config_static_selectorELNS0_4arch9wavefront6targetE0EEEvT1_
    .private_segment_fixed_size: 0
    .sgpr_count:     0
    .sgpr_spill_count: 0
    .symbol:         _ZN7rocprim17ROCPRIM_400000_NS6detail17trampoline_kernelINS0_14default_configENS1_25partition_config_selectorILNS1_17partition_subalgoE6EsNS0_10empty_typeEbEEZZNS1_14partition_implILS5_6ELb0ES3_mN6thrust23THRUST_200600_302600_NS6detail15normal_iteratorINSA_10device_ptrIsEEEEPS6_SG_NS0_5tupleIJSF_S6_EEENSH_IJSG_SG_EEES6_PlJNSB_9not_fun_tI7is_evenIsEEEEEE10hipError_tPvRmT3_T4_T5_T6_T7_T9_mT8_P12ihipStream_tbDpT10_ENKUlT_T0_E_clISt17integral_constantIbLb0EES18_EEDaS13_S14_EUlS13_E_NS1_11comp_targetILNS1_3genE9ELNS1_11target_archE1100ELNS1_3gpuE3ELNS1_3repE0EEENS1_30default_config_static_selectorELNS0_4arch9wavefront6targetE0EEEvT1_.kd
    .uniform_work_group_size: 1
    .uses_dynamic_stack: false
    .vgpr_count:     0
    .vgpr_spill_count: 0
    .wavefront_size: 32
    .workgroup_processor_mode: 1
  - .args:
      - .offset:         0
        .size:           112
        .value_kind:     by_value
    .group_segment_fixed_size: 0
    .kernarg_segment_align: 8
    .kernarg_segment_size: 112
    .language:       OpenCL C
    .language_version:
      - 2
      - 0
    .max_flat_workgroup_size: 256
    .name:           _ZN7rocprim17ROCPRIM_400000_NS6detail17trampoline_kernelINS0_14default_configENS1_25partition_config_selectorILNS1_17partition_subalgoE6EsNS0_10empty_typeEbEEZZNS1_14partition_implILS5_6ELb0ES3_mN6thrust23THRUST_200600_302600_NS6detail15normal_iteratorINSA_10device_ptrIsEEEEPS6_SG_NS0_5tupleIJSF_S6_EEENSH_IJSG_SG_EEES6_PlJNSB_9not_fun_tI7is_evenIsEEEEEE10hipError_tPvRmT3_T4_T5_T6_T7_T9_mT8_P12ihipStream_tbDpT10_ENKUlT_T0_E_clISt17integral_constantIbLb0EES18_EEDaS13_S14_EUlS13_E_NS1_11comp_targetILNS1_3genE8ELNS1_11target_archE1030ELNS1_3gpuE2ELNS1_3repE0EEENS1_30default_config_static_selectorELNS0_4arch9wavefront6targetE0EEEvT1_
    .private_segment_fixed_size: 0
    .sgpr_count:     0
    .sgpr_spill_count: 0
    .symbol:         _ZN7rocprim17ROCPRIM_400000_NS6detail17trampoline_kernelINS0_14default_configENS1_25partition_config_selectorILNS1_17partition_subalgoE6EsNS0_10empty_typeEbEEZZNS1_14partition_implILS5_6ELb0ES3_mN6thrust23THRUST_200600_302600_NS6detail15normal_iteratorINSA_10device_ptrIsEEEEPS6_SG_NS0_5tupleIJSF_S6_EEENSH_IJSG_SG_EEES6_PlJNSB_9not_fun_tI7is_evenIsEEEEEE10hipError_tPvRmT3_T4_T5_T6_T7_T9_mT8_P12ihipStream_tbDpT10_ENKUlT_T0_E_clISt17integral_constantIbLb0EES18_EEDaS13_S14_EUlS13_E_NS1_11comp_targetILNS1_3genE8ELNS1_11target_archE1030ELNS1_3gpuE2ELNS1_3repE0EEENS1_30default_config_static_selectorELNS0_4arch9wavefront6targetE0EEEvT1_.kd
    .uniform_work_group_size: 1
    .uses_dynamic_stack: false
    .vgpr_count:     0
    .vgpr_spill_count: 0
    .wavefront_size: 32
    .workgroup_processor_mode: 1
  - .args:
      - .offset:         0
        .size:           128
        .value_kind:     by_value
    .group_segment_fixed_size: 0
    .kernarg_segment_align: 8
    .kernarg_segment_size: 128
    .language:       OpenCL C
    .language_version:
      - 2
      - 0
    .max_flat_workgroup_size: 256
    .name:           _ZN7rocprim17ROCPRIM_400000_NS6detail17trampoline_kernelINS0_14default_configENS1_25partition_config_selectorILNS1_17partition_subalgoE6EsNS0_10empty_typeEbEEZZNS1_14partition_implILS5_6ELb0ES3_mN6thrust23THRUST_200600_302600_NS6detail15normal_iteratorINSA_10device_ptrIsEEEEPS6_SG_NS0_5tupleIJSF_S6_EEENSH_IJSG_SG_EEES6_PlJNSB_9not_fun_tI7is_evenIsEEEEEE10hipError_tPvRmT3_T4_T5_T6_T7_T9_mT8_P12ihipStream_tbDpT10_ENKUlT_T0_E_clISt17integral_constantIbLb1EES18_EEDaS13_S14_EUlS13_E_NS1_11comp_targetILNS1_3genE0ELNS1_11target_archE4294967295ELNS1_3gpuE0ELNS1_3repE0EEENS1_30default_config_static_selectorELNS0_4arch9wavefront6targetE0EEEvT1_
    .private_segment_fixed_size: 0
    .sgpr_count:     0
    .sgpr_spill_count: 0
    .symbol:         _ZN7rocprim17ROCPRIM_400000_NS6detail17trampoline_kernelINS0_14default_configENS1_25partition_config_selectorILNS1_17partition_subalgoE6EsNS0_10empty_typeEbEEZZNS1_14partition_implILS5_6ELb0ES3_mN6thrust23THRUST_200600_302600_NS6detail15normal_iteratorINSA_10device_ptrIsEEEEPS6_SG_NS0_5tupleIJSF_S6_EEENSH_IJSG_SG_EEES6_PlJNSB_9not_fun_tI7is_evenIsEEEEEE10hipError_tPvRmT3_T4_T5_T6_T7_T9_mT8_P12ihipStream_tbDpT10_ENKUlT_T0_E_clISt17integral_constantIbLb1EES18_EEDaS13_S14_EUlS13_E_NS1_11comp_targetILNS1_3genE0ELNS1_11target_archE4294967295ELNS1_3gpuE0ELNS1_3repE0EEENS1_30default_config_static_selectorELNS0_4arch9wavefront6targetE0EEEvT1_.kd
    .uniform_work_group_size: 1
    .uses_dynamic_stack: false
    .vgpr_count:     0
    .vgpr_spill_count: 0
    .wavefront_size: 32
    .workgroup_processor_mode: 1
  - .args:
      - .offset:         0
        .size:           128
        .value_kind:     by_value
    .group_segment_fixed_size: 0
    .kernarg_segment_align: 8
    .kernarg_segment_size: 128
    .language:       OpenCL C
    .language_version:
      - 2
      - 0
    .max_flat_workgroup_size: 512
    .name:           _ZN7rocprim17ROCPRIM_400000_NS6detail17trampoline_kernelINS0_14default_configENS1_25partition_config_selectorILNS1_17partition_subalgoE6EsNS0_10empty_typeEbEEZZNS1_14partition_implILS5_6ELb0ES3_mN6thrust23THRUST_200600_302600_NS6detail15normal_iteratorINSA_10device_ptrIsEEEEPS6_SG_NS0_5tupleIJSF_S6_EEENSH_IJSG_SG_EEES6_PlJNSB_9not_fun_tI7is_evenIsEEEEEE10hipError_tPvRmT3_T4_T5_T6_T7_T9_mT8_P12ihipStream_tbDpT10_ENKUlT_T0_E_clISt17integral_constantIbLb1EES18_EEDaS13_S14_EUlS13_E_NS1_11comp_targetILNS1_3genE5ELNS1_11target_archE942ELNS1_3gpuE9ELNS1_3repE0EEENS1_30default_config_static_selectorELNS0_4arch9wavefront6targetE0EEEvT1_
    .private_segment_fixed_size: 0
    .sgpr_count:     0
    .sgpr_spill_count: 0
    .symbol:         _ZN7rocprim17ROCPRIM_400000_NS6detail17trampoline_kernelINS0_14default_configENS1_25partition_config_selectorILNS1_17partition_subalgoE6EsNS0_10empty_typeEbEEZZNS1_14partition_implILS5_6ELb0ES3_mN6thrust23THRUST_200600_302600_NS6detail15normal_iteratorINSA_10device_ptrIsEEEEPS6_SG_NS0_5tupleIJSF_S6_EEENSH_IJSG_SG_EEES6_PlJNSB_9not_fun_tI7is_evenIsEEEEEE10hipError_tPvRmT3_T4_T5_T6_T7_T9_mT8_P12ihipStream_tbDpT10_ENKUlT_T0_E_clISt17integral_constantIbLb1EES18_EEDaS13_S14_EUlS13_E_NS1_11comp_targetILNS1_3genE5ELNS1_11target_archE942ELNS1_3gpuE9ELNS1_3repE0EEENS1_30default_config_static_selectorELNS0_4arch9wavefront6targetE0EEEvT1_.kd
    .uniform_work_group_size: 1
    .uses_dynamic_stack: false
    .vgpr_count:     0
    .vgpr_spill_count: 0
    .wavefront_size: 32
    .workgroup_processor_mode: 1
  - .args:
      - .offset:         0
        .size:           128
        .value_kind:     by_value
    .group_segment_fixed_size: 0
    .kernarg_segment_align: 8
    .kernarg_segment_size: 128
    .language:       OpenCL C
    .language_version:
      - 2
      - 0
    .max_flat_workgroup_size: 256
    .name:           _ZN7rocprim17ROCPRIM_400000_NS6detail17trampoline_kernelINS0_14default_configENS1_25partition_config_selectorILNS1_17partition_subalgoE6EsNS0_10empty_typeEbEEZZNS1_14partition_implILS5_6ELb0ES3_mN6thrust23THRUST_200600_302600_NS6detail15normal_iteratorINSA_10device_ptrIsEEEEPS6_SG_NS0_5tupleIJSF_S6_EEENSH_IJSG_SG_EEES6_PlJNSB_9not_fun_tI7is_evenIsEEEEEE10hipError_tPvRmT3_T4_T5_T6_T7_T9_mT8_P12ihipStream_tbDpT10_ENKUlT_T0_E_clISt17integral_constantIbLb1EES18_EEDaS13_S14_EUlS13_E_NS1_11comp_targetILNS1_3genE4ELNS1_11target_archE910ELNS1_3gpuE8ELNS1_3repE0EEENS1_30default_config_static_selectorELNS0_4arch9wavefront6targetE0EEEvT1_
    .private_segment_fixed_size: 0
    .sgpr_count:     0
    .sgpr_spill_count: 0
    .symbol:         _ZN7rocprim17ROCPRIM_400000_NS6detail17trampoline_kernelINS0_14default_configENS1_25partition_config_selectorILNS1_17partition_subalgoE6EsNS0_10empty_typeEbEEZZNS1_14partition_implILS5_6ELb0ES3_mN6thrust23THRUST_200600_302600_NS6detail15normal_iteratorINSA_10device_ptrIsEEEEPS6_SG_NS0_5tupleIJSF_S6_EEENSH_IJSG_SG_EEES6_PlJNSB_9not_fun_tI7is_evenIsEEEEEE10hipError_tPvRmT3_T4_T5_T6_T7_T9_mT8_P12ihipStream_tbDpT10_ENKUlT_T0_E_clISt17integral_constantIbLb1EES18_EEDaS13_S14_EUlS13_E_NS1_11comp_targetILNS1_3genE4ELNS1_11target_archE910ELNS1_3gpuE8ELNS1_3repE0EEENS1_30default_config_static_selectorELNS0_4arch9wavefront6targetE0EEEvT1_.kd
    .uniform_work_group_size: 1
    .uses_dynamic_stack: false
    .vgpr_count:     0
    .vgpr_spill_count: 0
    .wavefront_size: 32
    .workgroup_processor_mode: 1
  - .args:
      - .offset:         0
        .size:           128
        .value_kind:     by_value
    .group_segment_fixed_size: 0
    .kernarg_segment_align: 8
    .kernarg_segment_size: 128
    .language:       OpenCL C
    .language_version:
      - 2
      - 0
    .max_flat_workgroup_size: 256
    .name:           _ZN7rocprim17ROCPRIM_400000_NS6detail17trampoline_kernelINS0_14default_configENS1_25partition_config_selectorILNS1_17partition_subalgoE6EsNS0_10empty_typeEbEEZZNS1_14partition_implILS5_6ELb0ES3_mN6thrust23THRUST_200600_302600_NS6detail15normal_iteratorINSA_10device_ptrIsEEEEPS6_SG_NS0_5tupleIJSF_S6_EEENSH_IJSG_SG_EEES6_PlJNSB_9not_fun_tI7is_evenIsEEEEEE10hipError_tPvRmT3_T4_T5_T6_T7_T9_mT8_P12ihipStream_tbDpT10_ENKUlT_T0_E_clISt17integral_constantIbLb1EES18_EEDaS13_S14_EUlS13_E_NS1_11comp_targetILNS1_3genE3ELNS1_11target_archE908ELNS1_3gpuE7ELNS1_3repE0EEENS1_30default_config_static_selectorELNS0_4arch9wavefront6targetE0EEEvT1_
    .private_segment_fixed_size: 0
    .sgpr_count:     0
    .sgpr_spill_count: 0
    .symbol:         _ZN7rocprim17ROCPRIM_400000_NS6detail17trampoline_kernelINS0_14default_configENS1_25partition_config_selectorILNS1_17partition_subalgoE6EsNS0_10empty_typeEbEEZZNS1_14partition_implILS5_6ELb0ES3_mN6thrust23THRUST_200600_302600_NS6detail15normal_iteratorINSA_10device_ptrIsEEEEPS6_SG_NS0_5tupleIJSF_S6_EEENSH_IJSG_SG_EEES6_PlJNSB_9not_fun_tI7is_evenIsEEEEEE10hipError_tPvRmT3_T4_T5_T6_T7_T9_mT8_P12ihipStream_tbDpT10_ENKUlT_T0_E_clISt17integral_constantIbLb1EES18_EEDaS13_S14_EUlS13_E_NS1_11comp_targetILNS1_3genE3ELNS1_11target_archE908ELNS1_3gpuE7ELNS1_3repE0EEENS1_30default_config_static_selectorELNS0_4arch9wavefront6targetE0EEEvT1_.kd
    .uniform_work_group_size: 1
    .uses_dynamic_stack: false
    .vgpr_count:     0
    .vgpr_spill_count: 0
    .wavefront_size: 32
    .workgroup_processor_mode: 1
  - .args:
      - .offset:         0
        .size:           128
        .value_kind:     by_value
    .group_segment_fixed_size: 0
    .kernarg_segment_align: 8
    .kernarg_segment_size: 128
    .language:       OpenCL C
    .language_version:
      - 2
      - 0
    .max_flat_workgroup_size: 256
    .name:           _ZN7rocprim17ROCPRIM_400000_NS6detail17trampoline_kernelINS0_14default_configENS1_25partition_config_selectorILNS1_17partition_subalgoE6EsNS0_10empty_typeEbEEZZNS1_14partition_implILS5_6ELb0ES3_mN6thrust23THRUST_200600_302600_NS6detail15normal_iteratorINSA_10device_ptrIsEEEEPS6_SG_NS0_5tupleIJSF_S6_EEENSH_IJSG_SG_EEES6_PlJNSB_9not_fun_tI7is_evenIsEEEEEE10hipError_tPvRmT3_T4_T5_T6_T7_T9_mT8_P12ihipStream_tbDpT10_ENKUlT_T0_E_clISt17integral_constantIbLb1EES18_EEDaS13_S14_EUlS13_E_NS1_11comp_targetILNS1_3genE2ELNS1_11target_archE906ELNS1_3gpuE6ELNS1_3repE0EEENS1_30default_config_static_selectorELNS0_4arch9wavefront6targetE0EEEvT1_
    .private_segment_fixed_size: 0
    .sgpr_count:     0
    .sgpr_spill_count: 0
    .symbol:         _ZN7rocprim17ROCPRIM_400000_NS6detail17trampoline_kernelINS0_14default_configENS1_25partition_config_selectorILNS1_17partition_subalgoE6EsNS0_10empty_typeEbEEZZNS1_14partition_implILS5_6ELb0ES3_mN6thrust23THRUST_200600_302600_NS6detail15normal_iteratorINSA_10device_ptrIsEEEEPS6_SG_NS0_5tupleIJSF_S6_EEENSH_IJSG_SG_EEES6_PlJNSB_9not_fun_tI7is_evenIsEEEEEE10hipError_tPvRmT3_T4_T5_T6_T7_T9_mT8_P12ihipStream_tbDpT10_ENKUlT_T0_E_clISt17integral_constantIbLb1EES18_EEDaS13_S14_EUlS13_E_NS1_11comp_targetILNS1_3genE2ELNS1_11target_archE906ELNS1_3gpuE6ELNS1_3repE0EEENS1_30default_config_static_selectorELNS0_4arch9wavefront6targetE0EEEvT1_.kd
    .uniform_work_group_size: 1
    .uses_dynamic_stack: false
    .vgpr_count:     0
    .vgpr_spill_count: 0
    .wavefront_size: 32
    .workgroup_processor_mode: 1
  - .args:
      - .offset:         0
        .size:           128
        .value_kind:     by_value
    .group_segment_fixed_size: 0
    .kernarg_segment_align: 8
    .kernarg_segment_size: 128
    .language:       OpenCL C
    .language_version:
      - 2
      - 0
    .max_flat_workgroup_size: 384
    .name:           _ZN7rocprim17ROCPRIM_400000_NS6detail17trampoline_kernelINS0_14default_configENS1_25partition_config_selectorILNS1_17partition_subalgoE6EsNS0_10empty_typeEbEEZZNS1_14partition_implILS5_6ELb0ES3_mN6thrust23THRUST_200600_302600_NS6detail15normal_iteratorINSA_10device_ptrIsEEEEPS6_SG_NS0_5tupleIJSF_S6_EEENSH_IJSG_SG_EEES6_PlJNSB_9not_fun_tI7is_evenIsEEEEEE10hipError_tPvRmT3_T4_T5_T6_T7_T9_mT8_P12ihipStream_tbDpT10_ENKUlT_T0_E_clISt17integral_constantIbLb1EES18_EEDaS13_S14_EUlS13_E_NS1_11comp_targetILNS1_3genE10ELNS1_11target_archE1200ELNS1_3gpuE4ELNS1_3repE0EEENS1_30default_config_static_selectorELNS0_4arch9wavefront6targetE0EEEvT1_
    .private_segment_fixed_size: 0
    .sgpr_count:     0
    .sgpr_spill_count: 0
    .symbol:         _ZN7rocprim17ROCPRIM_400000_NS6detail17trampoline_kernelINS0_14default_configENS1_25partition_config_selectorILNS1_17partition_subalgoE6EsNS0_10empty_typeEbEEZZNS1_14partition_implILS5_6ELb0ES3_mN6thrust23THRUST_200600_302600_NS6detail15normal_iteratorINSA_10device_ptrIsEEEEPS6_SG_NS0_5tupleIJSF_S6_EEENSH_IJSG_SG_EEES6_PlJNSB_9not_fun_tI7is_evenIsEEEEEE10hipError_tPvRmT3_T4_T5_T6_T7_T9_mT8_P12ihipStream_tbDpT10_ENKUlT_T0_E_clISt17integral_constantIbLb1EES18_EEDaS13_S14_EUlS13_E_NS1_11comp_targetILNS1_3genE10ELNS1_11target_archE1200ELNS1_3gpuE4ELNS1_3repE0EEENS1_30default_config_static_selectorELNS0_4arch9wavefront6targetE0EEEvT1_.kd
    .uniform_work_group_size: 1
    .uses_dynamic_stack: false
    .vgpr_count:     0
    .vgpr_spill_count: 0
    .wavefront_size: 32
    .workgroup_processor_mode: 1
  - .args:
      - .offset:         0
        .size:           128
        .value_kind:     by_value
    .group_segment_fixed_size: 0
    .kernarg_segment_align: 8
    .kernarg_segment_size: 128
    .language:       OpenCL C
    .language_version:
      - 2
      - 0
    .max_flat_workgroup_size: 128
    .name:           _ZN7rocprim17ROCPRIM_400000_NS6detail17trampoline_kernelINS0_14default_configENS1_25partition_config_selectorILNS1_17partition_subalgoE6EsNS0_10empty_typeEbEEZZNS1_14partition_implILS5_6ELb0ES3_mN6thrust23THRUST_200600_302600_NS6detail15normal_iteratorINSA_10device_ptrIsEEEEPS6_SG_NS0_5tupleIJSF_S6_EEENSH_IJSG_SG_EEES6_PlJNSB_9not_fun_tI7is_evenIsEEEEEE10hipError_tPvRmT3_T4_T5_T6_T7_T9_mT8_P12ihipStream_tbDpT10_ENKUlT_T0_E_clISt17integral_constantIbLb1EES18_EEDaS13_S14_EUlS13_E_NS1_11comp_targetILNS1_3genE9ELNS1_11target_archE1100ELNS1_3gpuE3ELNS1_3repE0EEENS1_30default_config_static_selectorELNS0_4arch9wavefront6targetE0EEEvT1_
    .private_segment_fixed_size: 0
    .sgpr_count:     0
    .sgpr_spill_count: 0
    .symbol:         _ZN7rocprim17ROCPRIM_400000_NS6detail17trampoline_kernelINS0_14default_configENS1_25partition_config_selectorILNS1_17partition_subalgoE6EsNS0_10empty_typeEbEEZZNS1_14partition_implILS5_6ELb0ES3_mN6thrust23THRUST_200600_302600_NS6detail15normal_iteratorINSA_10device_ptrIsEEEEPS6_SG_NS0_5tupleIJSF_S6_EEENSH_IJSG_SG_EEES6_PlJNSB_9not_fun_tI7is_evenIsEEEEEE10hipError_tPvRmT3_T4_T5_T6_T7_T9_mT8_P12ihipStream_tbDpT10_ENKUlT_T0_E_clISt17integral_constantIbLb1EES18_EEDaS13_S14_EUlS13_E_NS1_11comp_targetILNS1_3genE9ELNS1_11target_archE1100ELNS1_3gpuE3ELNS1_3repE0EEENS1_30default_config_static_selectorELNS0_4arch9wavefront6targetE0EEEvT1_.kd
    .uniform_work_group_size: 1
    .uses_dynamic_stack: false
    .vgpr_count:     0
    .vgpr_spill_count: 0
    .wavefront_size: 32
    .workgroup_processor_mode: 1
  - .args:
      - .offset:         0
        .size:           128
        .value_kind:     by_value
    .group_segment_fixed_size: 0
    .kernarg_segment_align: 8
    .kernarg_segment_size: 128
    .language:       OpenCL C
    .language_version:
      - 2
      - 0
    .max_flat_workgroup_size: 256
    .name:           _ZN7rocprim17ROCPRIM_400000_NS6detail17trampoline_kernelINS0_14default_configENS1_25partition_config_selectorILNS1_17partition_subalgoE6EsNS0_10empty_typeEbEEZZNS1_14partition_implILS5_6ELb0ES3_mN6thrust23THRUST_200600_302600_NS6detail15normal_iteratorINSA_10device_ptrIsEEEEPS6_SG_NS0_5tupleIJSF_S6_EEENSH_IJSG_SG_EEES6_PlJNSB_9not_fun_tI7is_evenIsEEEEEE10hipError_tPvRmT3_T4_T5_T6_T7_T9_mT8_P12ihipStream_tbDpT10_ENKUlT_T0_E_clISt17integral_constantIbLb1EES18_EEDaS13_S14_EUlS13_E_NS1_11comp_targetILNS1_3genE8ELNS1_11target_archE1030ELNS1_3gpuE2ELNS1_3repE0EEENS1_30default_config_static_selectorELNS0_4arch9wavefront6targetE0EEEvT1_
    .private_segment_fixed_size: 0
    .sgpr_count:     0
    .sgpr_spill_count: 0
    .symbol:         _ZN7rocprim17ROCPRIM_400000_NS6detail17trampoline_kernelINS0_14default_configENS1_25partition_config_selectorILNS1_17partition_subalgoE6EsNS0_10empty_typeEbEEZZNS1_14partition_implILS5_6ELb0ES3_mN6thrust23THRUST_200600_302600_NS6detail15normal_iteratorINSA_10device_ptrIsEEEEPS6_SG_NS0_5tupleIJSF_S6_EEENSH_IJSG_SG_EEES6_PlJNSB_9not_fun_tI7is_evenIsEEEEEE10hipError_tPvRmT3_T4_T5_T6_T7_T9_mT8_P12ihipStream_tbDpT10_ENKUlT_T0_E_clISt17integral_constantIbLb1EES18_EEDaS13_S14_EUlS13_E_NS1_11comp_targetILNS1_3genE8ELNS1_11target_archE1030ELNS1_3gpuE2ELNS1_3repE0EEENS1_30default_config_static_selectorELNS0_4arch9wavefront6targetE0EEEvT1_.kd
    .uniform_work_group_size: 1
    .uses_dynamic_stack: false
    .vgpr_count:     0
    .vgpr_spill_count: 0
    .wavefront_size: 32
    .workgroup_processor_mode: 1
  - .args:
      - .offset:         0
        .size:           112
        .value_kind:     by_value
    .group_segment_fixed_size: 0
    .kernarg_segment_align: 8
    .kernarg_segment_size: 112
    .language:       OpenCL C
    .language_version:
      - 2
      - 0
    .max_flat_workgroup_size: 256
    .name:           _ZN7rocprim17ROCPRIM_400000_NS6detail17trampoline_kernelINS0_14default_configENS1_25partition_config_selectorILNS1_17partition_subalgoE6EsNS0_10empty_typeEbEEZZNS1_14partition_implILS5_6ELb0ES3_mN6thrust23THRUST_200600_302600_NS6detail15normal_iteratorINSA_10device_ptrIsEEEEPS6_SG_NS0_5tupleIJSF_S6_EEENSH_IJSG_SG_EEES6_PlJNSB_9not_fun_tI7is_evenIsEEEEEE10hipError_tPvRmT3_T4_T5_T6_T7_T9_mT8_P12ihipStream_tbDpT10_ENKUlT_T0_E_clISt17integral_constantIbLb1EES17_IbLb0EEEEDaS13_S14_EUlS13_E_NS1_11comp_targetILNS1_3genE0ELNS1_11target_archE4294967295ELNS1_3gpuE0ELNS1_3repE0EEENS1_30default_config_static_selectorELNS0_4arch9wavefront6targetE0EEEvT1_
    .private_segment_fixed_size: 0
    .sgpr_count:     0
    .sgpr_spill_count: 0
    .symbol:         _ZN7rocprim17ROCPRIM_400000_NS6detail17trampoline_kernelINS0_14default_configENS1_25partition_config_selectorILNS1_17partition_subalgoE6EsNS0_10empty_typeEbEEZZNS1_14partition_implILS5_6ELb0ES3_mN6thrust23THRUST_200600_302600_NS6detail15normal_iteratorINSA_10device_ptrIsEEEEPS6_SG_NS0_5tupleIJSF_S6_EEENSH_IJSG_SG_EEES6_PlJNSB_9not_fun_tI7is_evenIsEEEEEE10hipError_tPvRmT3_T4_T5_T6_T7_T9_mT8_P12ihipStream_tbDpT10_ENKUlT_T0_E_clISt17integral_constantIbLb1EES17_IbLb0EEEEDaS13_S14_EUlS13_E_NS1_11comp_targetILNS1_3genE0ELNS1_11target_archE4294967295ELNS1_3gpuE0ELNS1_3repE0EEENS1_30default_config_static_selectorELNS0_4arch9wavefront6targetE0EEEvT1_.kd
    .uniform_work_group_size: 1
    .uses_dynamic_stack: false
    .vgpr_count:     0
    .vgpr_spill_count: 0
    .wavefront_size: 32
    .workgroup_processor_mode: 1
  - .args:
      - .offset:         0
        .size:           112
        .value_kind:     by_value
    .group_segment_fixed_size: 0
    .kernarg_segment_align: 8
    .kernarg_segment_size: 112
    .language:       OpenCL C
    .language_version:
      - 2
      - 0
    .max_flat_workgroup_size: 512
    .name:           _ZN7rocprim17ROCPRIM_400000_NS6detail17trampoline_kernelINS0_14default_configENS1_25partition_config_selectorILNS1_17partition_subalgoE6EsNS0_10empty_typeEbEEZZNS1_14partition_implILS5_6ELb0ES3_mN6thrust23THRUST_200600_302600_NS6detail15normal_iteratorINSA_10device_ptrIsEEEEPS6_SG_NS0_5tupleIJSF_S6_EEENSH_IJSG_SG_EEES6_PlJNSB_9not_fun_tI7is_evenIsEEEEEE10hipError_tPvRmT3_T4_T5_T6_T7_T9_mT8_P12ihipStream_tbDpT10_ENKUlT_T0_E_clISt17integral_constantIbLb1EES17_IbLb0EEEEDaS13_S14_EUlS13_E_NS1_11comp_targetILNS1_3genE5ELNS1_11target_archE942ELNS1_3gpuE9ELNS1_3repE0EEENS1_30default_config_static_selectorELNS0_4arch9wavefront6targetE0EEEvT1_
    .private_segment_fixed_size: 0
    .sgpr_count:     0
    .sgpr_spill_count: 0
    .symbol:         _ZN7rocprim17ROCPRIM_400000_NS6detail17trampoline_kernelINS0_14default_configENS1_25partition_config_selectorILNS1_17partition_subalgoE6EsNS0_10empty_typeEbEEZZNS1_14partition_implILS5_6ELb0ES3_mN6thrust23THRUST_200600_302600_NS6detail15normal_iteratorINSA_10device_ptrIsEEEEPS6_SG_NS0_5tupleIJSF_S6_EEENSH_IJSG_SG_EEES6_PlJNSB_9not_fun_tI7is_evenIsEEEEEE10hipError_tPvRmT3_T4_T5_T6_T7_T9_mT8_P12ihipStream_tbDpT10_ENKUlT_T0_E_clISt17integral_constantIbLb1EES17_IbLb0EEEEDaS13_S14_EUlS13_E_NS1_11comp_targetILNS1_3genE5ELNS1_11target_archE942ELNS1_3gpuE9ELNS1_3repE0EEENS1_30default_config_static_selectorELNS0_4arch9wavefront6targetE0EEEvT1_.kd
    .uniform_work_group_size: 1
    .uses_dynamic_stack: false
    .vgpr_count:     0
    .vgpr_spill_count: 0
    .wavefront_size: 32
    .workgroup_processor_mode: 1
  - .args:
      - .offset:         0
        .size:           112
        .value_kind:     by_value
    .group_segment_fixed_size: 0
    .kernarg_segment_align: 8
    .kernarg_segment_size: 112
    .language:       OpenCL C
    .language_version:
      - 2
      - 0
    .max_flat_workgroup_size: 256
    .name:           _ZN7rocprim17ROCPRIM_400000_NS6detail17trampoline_kernelINS0_14default_configENS1_25partition_config_selectorILNS1_17partition_subalgoE6EsNS0_10empty_typeEbEEZZNS1_14partition_implILS5_6ELb0ES3_mN6thrust23THRUST_200600_302600_NS6detail15normal_iteratorINSA_10device_ptrIsEEEEPS6_SG_NS0_5tupleIJSF_S6_EEENSH_IJSG_SG_EEES6_PlJNSB_9not_fun_tI7is_evenIsEEEEEE10hipError_tPvRmT3_T4_T5_T6_T7_T9_mT8_P12ihipStream_tbDpT10_ENKUlT_T0_E_clISt17integral_constantIbLb1EES17_IbLb0EEEEDaS13_S14_EUlS13_E_NS1_11comp_targetILNS1_3genE4ELNS1_11target_archE910ELNS1_3gpuE8ELNS1_3repE0EEENS1_30default_config_static_selectorELNS0_4arch9wavefront6targetE0EEEvT1_
    .private_segment_fixed_size: 0
    .sgpr_count:     0
    .sgpr_spill_count: 0
    .symbol:         _ZN7rocprim17ROCPRIM_400000_NS6detail17trampoline_kernelINS0_14default_configENS1_25partition_config_selectorILNS1_17partition_subalgoE6EsNS0_10empty_typeEbEEZZNS1_14partition_implILS5_6ELb0ES3_mN6thrust23THRUST_200600_302600_NS6detail15normal_iteratorINSA_10device_ptrIsEEEEPS6_SG_NS0_5tupleIJSF_S6_EEENSH_IJSG_SG_EEES6_PlJNSB_9not_fun_tI7is_evenIsEEEEEE10hipError_tPvRmT3_T4_T5_T6_T7_T9_mT8_P12ihipStream_tbDpT10_ENKUlT_T0_E_clISt17integral_constantIbLb1EES17_IbLb0EEEEDaS13_S14_EUlS13_E_NS1_11comp_targetILNS1_3genE4ELNS1_11target_archE910ELNS1_3gpuE8ELNS1_3repE0EEENS1_30default_config_static_selectorELNS0_4arch9wavefront6targetE0EEEvT1_.kd
    .uniform_work_group_size: 1
    .uses_dynamic_stack: false
    .vgpr_count:     0
    .vgpr_spill_count: 0
    .wavefront_size: 32
    .workgroup_processor_mode: 1
  - .args:
      - .offset:         0
        .size:           112
        .value_kind:     by_value
    .group_segment_fixed_size: 0
    .kernarg_segment_align: 8
    .kernarg_segment_size: 112
    .language:       OpenCL C
    .language_version:
      - 2
      - 0
    .max_flat_workgroup_size: 256
    .name:           _ZN7rocprim17ROCPRIM_400000_NS6detail17trampoline_kernelINS0_14default_configENS1_25partition_config_selectorILNS1_17partition_subalgoE6EsNS0_10empty_typeEbEEZZNS1_14partition_implILS5_6ELb0ES3_mN6thrust23THRUST_200600_302600_NS6detail15normal_iteratorINSA_10device_ptrIsEEEEPS6_SG_NS0_5tupleIJSF_S6_EEENSH_IJSG_SG_EEES6_PlJNSB_9not_fun_tI7is_evenIsEEEEEE10hipError_tPvRmT3_T4_T5_T6_T7_T9_mT8_P12ihipStream_tbDpT10_ENKUlT_T0_E_clISt17integral_constantIbLb1EES17_IbLb0EEEEDaS13_S14_EUlS13_E_NS1_11comp_targetILNS1_3genE3ELNS1_11target_archE908ELNS1_3gpuE7ELNS1_3repE0EEENS1_30default_config_static_selectorELNS0_4arch9wavefront6targetE0EEEvT1_
    .private_segment_fixed_size: 0
    .sgpr_count:     0
    .sgpr_spill_count: 0
    .symbol:         _ZN7rocprim17ROCPRIM_400000_NS6detail17trampoline_kernelINS0_14default_configENS1_25partition_config_selectorILNS1_17partition_subalgoE6EsNS0_10empty_typeEbEEZZNS1_14partition_implILS5_6ELb0ES3_mN6thrust23THRUST_200600_302600_NS6detail15normal_iteratorINSA_10device_ptrIsEEEEPS6_SG_NS0_5tupleIJSF_S6_EEENSH_IJSG_SG_EEES6_PlJNSB_9not_fun_tI7is_evenIsEEEEEE10hipError_tPvRmT3_T4_T5_T6_T7_T9_mT8_P12ihipStream_tbDpT10_ENKUlT_T0_E_clISt17integral_constantIbLb1EES17_IbLb0EEEEDaS13_S14_EUlS13_E_NS1_11comp_targetILNS1_3genE3ELNS1_11target_archE908ELNS1_3gpuE7ELNS1_3repE0EEENS1_30default_config_static_selectorELNS0_4arch9wavefront6targetE0EEEvT1_.kd
    .uniform_work_group_size: 1
    .uses_dynamic_stack: false
    .vgpr_count:     0
    .vgpr_spill_count: 0
    .wavefront_size: 32
    .workgroup_processor_mode: 1
  - .args:
      - .offset:         0
        .size:           112
        .value_kind:     by_value
    .group_segment_fixed_size: 0
    .kernarg_segment_align: 8
    .kernarg_segment_size: 112
    .language:       OpenCL C
    .language_version:
      - 2
      - 0
    .max_flat_workgroup_size: 256
    .name:           _ZN7rocprim17ROCPRIM_400000_NS6detail17trampoline_kernelINS0_14default_configENS1_25partition_config_selectorILNS1_17partition_subalgoE6EsNS0_10empty_typeEbEEZZNS1_14partition_implILS5_6ELb0ES3_mN6thrust23THRUST_200600_302600_NS6detail15normal_iteratorINSA_10device_ptrIsEEEEPS6_SG_NS0_5tupleIJSF_S6_EEENSH_IJSG_SG_EEES6_PlJNSB_9not_fun_tI7is_evenIsEEEEEE10hipError_tPvRmT3_T4_T5_T6_T7_T9_mT8_P12ihipStream_tbDpT10_ENKUlT_T0_E_clISt17integral_constantIbLb1EES17_IbLb0EEEEDaS13_S14_EUlS13_E_NS1_11comp_targetILNS1_3genE2ELNS1_11target_archE906ELNS1_3gpuE6ELNS1_3repE0EEENS1_30default_config_static_selectorELNS0_4arch9wavefront6targetE0EEEvT1_
    .private_segment_fixed_size: 0
    .sgpr_count:     0
    .sgpr_spill_count: 0
    .symbol:         _ZN7rocprim17ROCPRIM_400000_NS6detail17trampoline_kernelINS0_14default_configENS1_25partition_config_selectorILNS1_17partition_subalgoE6EsNS0_10empty_typeEbEEZZNS1_14partition_implILS5_6ELb0ES3_mN6thrust23THRUST_200600_302600_NS6detail15normal_iteratorINSA_10device_ptrIsEEEEPS6_SG_NS0_5tupleIJSF_S6_EEENSH_IJSG_SG_EEES6_PlJNSB_9not_fun_tI7is_evenIsEEEEEE10hipError_tPvRmT3_T4_T5_T6_T7_T9_mT8_P12ihipStream_tbDpT10_ENKUlT_T0_E_clISt17integral_constantIbLb1EES17_IbLb0EEEEDaS13_S14_EUlS13_E_NS1_11comp_targetILNS1_3genE2ELNS1_11target_archE906ELNS1_3gpuE6ELNS1_3repE0EEENS1_30default_config_static_selectorELNS0_4arch9wavefront6targetE0EEEvT1_.kd
    .uniform_work_group_size: 1
    .uses_dynamic_stack: false
    .vgpr_count:     0
    .vgpr_spill_count: 0
    .wavefront_size: 32
    .workgroup_processor_mode: 1
  - .args:
      - .offset:         0
        .size:           112
        .value_kind:     by_value
    .group_segment_fixed_size: 0
    .kernarg_segment_align: 8
    .kernarg_segment_size: 112
    .language:       OpenCL C
    .language_version:
      - 2
      - 0
    .max_flat_workgroup_size: 384
    .name:           _ZN7rocprim17ROCPRIM_400000_NS6detail17trampoline_kernelINS0_14default_configENS1_25partition_config_selectorILNS1_17partition_subalgoE6EsNS0_10empty_typeEbEEZZNS1_14partition_implILS5_6ELb0ES3_mN6thrust23THRUST_200600_302600_NS6detail15normal_iteratorINSA_10device_ptrIsEEEEPS6_SG_NS0_5tupleIJSF_S6_EEENSH_IJSG_SG_EEES6_PlJNSB_9not_fun_tI7is_evenIsEEEEEE10hipError_tPvRmT3_T4_T5_T6_T7_T9_mT8_P12ihipStream_tbDpT10_ENKUlT_T0_E_clISt17integral_constantIbLb1EES17_IbLb0EEEEDaS13_S14_EUlS13_E_NS1_11comp_targetILNS1_3genE10ELNS1_11target_archE1200ELNS1_3gpuE4ELNS1_3repE0EEENS1_30default_config_static_selectorELNS0_4arch9wavefront6targetE0EEEvT1_
    .private_segment_fixed_size: 0
    .sgpr_count:     0
    .sgpr_spill_count: 0
    .symbol:         _ZN7rocprim17ROCPRIM_400000_NS6detail17trampoline_kernelINS0_14default_configENS1_25partition_config_selectorILNS1_17partition_subalgoE6EsNS0_10empty_typeEbEEZZNS1_14partition_implILS5_6ELb0ES3_mN6thrust23THRUST_200600_302600_NS6detail15normal_iteratorINSA_10device_ptrIsEEEEPS6_SG_NS0_5tupleIJSF_S6_EEENSH_IJSG_SG_EEES6_PlJNSB_9not_fun_tI7is_evenIsEEEEEE10hipError_tPvRmT3_T4_T5_T6_T7_T9_mT8_P12ihipStream_tbDpT10_ENKUlT_T0_E_clISt17integral_constantIbLb1EES17_IbLb0EEEEDaS13_S14_EUlS13_E_NS1_11comp_targetILNS1_3genE10ELNS1_11target_archE1200ELNS1_3gpuE4ELNS1_3repE0EEENS1_30default_config_static_selectorELNS0_4arch9wavefront6targetE0EEEvT1_.kd
    .uniform_work_group_size: 1
    .uses_dynamic_stack: false
    .vgpr_count:     0
    .vgpr_spill_count: 0
    .wavefront_size: 32
    .workgroup_processor_mode: 1
  - .args:
      - .offset:         0
        .size:           112
        .value_kind:     by_value
    .group_segment_fixed_size: 0
    .kernarg_segment_align: 8
    .kernarg_segment_size: 112
    .language:       OpenCL C
    .language_version:
      - 2
      - 0
    .max_flat_workgroup_size: 128
    .name:           _ZN7rocprim17ROCPRIM_400000_NS6detail17trampoline_kernelINS0_14default_configENS1_25partition_config_selectorILNS1_17partition_subalgoE6EsNS0_10empty_typeEbEEZZNS1_14partition_implILS5_6ELb0ES3_mN6thrust23THRUST_200600_302600_NS6detail15normal_iteratorINSA_10device_ptrIsEEEEPS6_SG_NS0_5tupleIJSF_S6_EEENSH_IJSG_SG_EEES6_PlJNSB_9not_fun_tI7is_evenIsEEEEEE10hipError_tPvRmT3_T4_T5_T6_T7_T9_mT8_P12ihipStream_tbDpT10_ENKUlT_T0_E_clISt17integral_constantIbLb1EES17_IbLb0EEEEDaS13_S14_EUlS13_E_NS1_11comp_targetILNS1_3genE9ELNS1_11target_archE1100ELNS1_3gpuE3ELNS1_3repE0EEENS1_30default_config_static_selectorELNS0_4arch9wavefront6targetE0EEEvT1_
    .private_segment_fixed_size: 0
    .sgpr_count:     0
    .sgpr_spill_count: 0
    .symbol:         _ZN7rocprim17ROCPRIM_400000_NS6detail17trampoline_kernelINS0_14default_configENS1_25partition_config_selectorILNS1_17partition_subalgoE6EsNS0_10empty_typeEbEEZZNS1_14partition_implILS5_6ELb0ES3_mN6thrust23THRUST_200600_302600_NS6detail15normal_iteratorINSA_10device_ptrIsEEEEPS6_SG_NS0_5tupleIJSF_S6_EEENSH_IJSG_SG_EEES6_PlJNSB_9not_fun_tI7is_evenIsEEEEEE10hipError_tPvRmT3_T4_T5_T6_T7_T9_mT8_P12ihipStream_tbDpT10_ENKUlT_T0_E_clISt17integral_constantIbLb1EES17_IbLb0EEEEDaS13_S14_EUlS13_E_NS1_11comp_targetILNS1_3genE9ELNS1_11target_archE1100ELNS1_3gpuE3ELNS1_3repE0EEENS1_30default_config_static_selectorELNS0_4arch9wavefront6targetE0EEEvT1_.kd
    .uniform_work_group_size: 1
    .uses_dynamic_stack: false
    .vgpr_count:     0
    .vgpr_spill_count: 0
    .wavefront_size: 32
    .workgroup_processor_mode: 1
  - .args:
      - .offset:         0
        .size:           112
        .value_kind:     by_value
    .group_segment_fixed_size: 0
    .kernarg_segment_align: 8
    .kernarg_segment_size: 112
    .language:       OpenCL C
    .language_version:
      - 2
      - 0
    .max_flat_workgroup_size: 256
    .name:           _ZN7rocprim17ROCPRIM_400000_NS6detail17trampoline_kernelINS0_14default_configENS1_25partition_config_selectorILNS1_17partition_subalgoE6EsNS0_10empty_typeEbEEZZNS1_14partition_implILS5_6ELb0ES3_mN6thrust23THRUST_200600_302600_NS6detail15normal_iteratorINSA_10device_ptrIsEEEEPS6_SG_NS0_5tupleIJSF_S6_EEENSH_IJSG_SG_EEES6_PlJNSB_9not_fun_tI7is_evenIsEEEEEE10hipError_tPvRmT3_T4_T5_T6_T7_T9_mT8_P12ihipStream_tbDpT10_ENKUlT_T0_E_clISt17integral_constantIbLb1EES17_IbLb0EEEEDaS13_S14_EUlS13_E_NS1_11comp_targetILNS1_3genE8ELNS1_11target_archE1030ELNS1_3gpuE2ELNS1_3repE0EEENS1_30default_config_static_selectorELNS0_4arch9wavefront6targetE0EEEvT1_
    .private_segment_fixed_size: 0
    .sgpr_count:     0
    .sgpr_spill_count: 0
    .symbol:         _ZN7rocprim17ROCPRIM_400000_NS6detail17trampoline_kernelINS0_14default_configENS1_25partition_config_selectorILNS1_17partition_subalgoE6EsNS0_10empty_typeEbEEZZNS1_14partition_implILS5_6ELb0ES3_mN6thrust23THRUST_200600_302600_NS6detail15normal_iteratorINSA_10device_ptrIsEEEEPS6_SG_NS0_5tupleIJSF_S6_EEENSH_IJSG_SG_EEES6_PlJNSB_9not_fun_tI7is_evenIsEEEEEE10hipError_tPvRmT3_T4_T5_T6_T7_T9_mT8_P12ihipStream_tbDpT10_ENKUlT_T0_E_clISt17integral_constantIbLb1EES17_IbLb0EEEEDaS13_S14_EUlS13_E_NS1_11comp_targetILNS1_3genE8ELNS1_11target_archE1030ELNS1_3gpuE2ELNS1_3repE0EEENS1_30default_config_static_selectorELNS0_4arch9wavefront6targetE0EEEvT1_.kd
    .uniform_work_group_size: 1
    .uses_dynamic_stack: false
    .vgpr_count:     0
    .vgpr_spill_count: 0
    .wavefront_size: 32
    .workgroup_processor_mode: 1
  - .args:
      - .offset:         0
        .size:           128
        .value_kind:     by_value
    .group_segment_fixed_size: 0
    .kernarg_segment_align: 8
    .kernarg_segment_size: 128
    .language:       OpenCL C
    .language_version:
      - 2
      - 0
    .max_flat_workgroup_size: 256
    .name:           _ZN7rocprim17ROCPRIM_400000_NS6detail17trampoline_kernelINS0_14default_configENS1_25partition_config_selectorILNS1_17partition_subalgoE6EsNS0_10empty_typeEbEEZZNS1_14partition_implILS5_6ELb0ES3_mN6thrust23THRUST_200600_302600_NS6detail15normal_iteratorINSA_10device_ptrIsEEEEPS6_SG_NS0_5tupleIJSF_S6_EEENSH_IJSG_SG_EEES6_PlJNSB_9not_fun_tI7is_evenIsEEEEEE10hipError_tPvRmT3_T4_T5_T6_T7_T9_mT8_P12ihipStream_tbDpT10_ENKUlT_T0_E_clISt17integral_constantIbLb0EES17_IbLb1EEEEDaS13_S14_EUlS13_E_NS1_11comp_targetILNS1_3genE0ELNS1_11target_archE4294967295ELNS1_3gpuE0ELNS1_3repE0EEENS1_30default_config_static_selectorELNS0_4arch9wavefront6targetE0EEEvT1_
    .private_segment_fixed_size: 0
    .sgpr_count:     0
    .sgpr_spill_count: 0
    .symbol:         _ZN7rocprim17ROCPRIM_400000_NS6detail17trampoline_kernelINS0_14default_configENS1_25partition_config_selectorILNS1_17partition_subalgoE6EsNS0_10empty_typeEbEEZZNS1_14partition_implILS5_6ELb0ES3_mN6thrust23THRUST_200600_302600_NS6detail15normal_iteratorINSA_10device_ptrIsEEEEPS6_SG_NS0_5tupleIJSF_S6_EEENSH_IJSG_SG_EEES6_PlJNSB_9not_fun_tI7is_evenIsEEEEEE10hipError_tPvRmT3_T4_T5_T6_T7_T9_mT8_P12ihipStream_tbDpT10_ENKUlT_T0_E_clISt17integral_constantIbLb0EES17_IbLb1EEEEDaS13_S14_EUlS13_E_NS1_11comp_targetILNS1_3genE0ELNS1_11target_archE4294967295ELNS1_3gpuE0ELNS1_3repE0EEENS1_30default_config_static_selectorELNS0_4arch9wavefront6targetE0EEEvT1_.kd
    .uniform_work_group_size: 1
    .uses_dynamic_stack: false
    .vgpr_count:     0
    .vgpr_spill_count: 0
    .wavefront_size: 32
    .workgroup_processor_mode: 1
  - .args:
      - .offset:         0
        .size:           128
        .value_kind:     by_value
    .group_segment_fixed_size: 0
    .kernarg_segment_align: 8
    .kernarg_segment_size: 128
    .language:       OpenCL C
    .language_version:
      - 2
      - 0
    .max_flat_workgroup_size: 512
    .name:           _ZN7rocprim17ROCPRIM_400000_NS6detail17trampoline_kernelINS0_14default_configENS1_25partition_config_selectorILNS1_17partition_subalgoE6EsNS0_10empty_typeEbEEZZNS1_14partition_implILS5_6ELb0ES3_mN6thrust23THRUST_200600_302600_NS6detail15normal_iteratorINSA_10device_ptrIsEEEEPS6_SG_NS0_5tupleIJSF_S6_EEENSH_IJSG_SG_EEES6_PlJNSB_9not_fun_tI7is_evenIsEEEEEE10hipError_tPvRmT3_T4_T5_T6_T7_T9_mT8_P12ihipStream_tbDpT10_ENKUlT_T0_E_clISt17integral_constantIbLb0EES17_IbLb1EEEEDaS13_S14_EUlS13_E_NS1_11comp_targetILNS1_3genE5ELNS1_11target_archE942ELNS1_3gpuE9ELNS1_3repE0EEENS1_30default_config_static_selectorELNS0_4arch9wavefront6targetE0EEEvT1_
    .private_segment_fixed_size: 0
    .sgpr_count:     0
    .sgpr_spill_count: 0
    .symbol:         _ZN7rocprim17ROCPRIM_400000_NS6detail17trampoline_kernelINS0_14default_configENS1_25partition_config_selectorILNS1_17partition_subalgoE6EsNS0_10empty_typeEbEEZZNS1_14partition_implILS5_6ELb0ES3_mN6thrust23THRUST_200600_302600_NS6detail15normal_iteratorINSA_10device_ptrIsEEEEPS6_SG_NS0_5tupleIJSF_S6_EEENSH_IJSG_SG_EEES6_PlJNSB_9not_fun_tI7is_evenIsEEEEEE10hipError_tPvRmT3_T4_T5_T6_T7_T9_mT8_P12ihipStream_tbDpT10_ENKUlT_T0_E_clISt17integral_constantIbLb0EES17_IbLb1EEEEDaS13_S14_EUlS13_E_NS1_11comp_targetILNS1_3genE5ELNS1_11target_archE942ELNS1_3gpuE9ELNS1_3repE0EEENS1_30default_config_static_selectorELNS0_4arch9wavefront6targetE0EEEvT1_.kd
    .uniform_work_group_size: 1
    .uses_dynamic_stack: false
    .vgpr_count:     0
    .vgpr_spill_count: 0
    .wavefront_size: 32
    .workgroup_processor_mode: 1
  - .args:
      - .offset:         0
        .size:           128
        .value_kind:     by_value
    .group_segment_fixed_size: 0
    .kernarg_segment_align: 8
    .kernarg_segment_size: 128
    .language:       OpenCL C
    .language_version:
      - 2
      - 0
    .max_flat_workgroup_size: 256
    .name:           _ZN7rocprim17ROCPRIM_400000_NS6detail17trampoline_kernelINS0_14default_configENS1_25partition_config_selectorILNS1_17partition_subalgoE6EsNS0_10empty_typeEbEEZZNS1_14partition_implILS5_6ELb0ES3_mN6thrust23THRUST_200600_302600_NS6detail15normal_iteratorINSA_10device_ptrIsEEEEPS6_SG_NS0_5tupleIJSF_S6_EEENSH_IJSG_SG_EEES6_PlJNSB_9not_fun_tI7is_evenIsEEEEEE10hipError_tPvRmT3_T4_T5_T6_T7_T9_mT8_P12ihipStream_tbDpT10_ENKUlT_T0_E_clISt17integral_constantIbLb0EES17_IbLb1EEEEDaS13_S14_EUlS13_E_NS1_11comp_targetILNS1_3genE4ELNS1_11target_archE910ELNS1_3gpuE8ELNS1_3repE0EEENS1_30default_config_static_selectorELNS0_4arch9wavefront6targetE0EEEvT1_
    .private_segment_fixed_size: 0
    .sgpr_count:     0
    .sgpr_spill_count: 0
    .symbol:         _ZN7rocprim17ROCPRIM_400000_NS6detail17trampoline_kernelINS0_14default_configENS1_25partition_config_selectorILNS1_17partition_subalgoE6EsNS0_10empty_typeEbEEZZNS1_14partition_implILS5_6ELb0ES3_mN6thrust23THRUST_200600_302600_NS6detail15normal_iteratorINSA_10device_ptrIsEEEEPS6_SG_NS0_5tupleIJSF_S6_EEENSH_IJSG_SG_EEES6_PlJNSB_9not_fun_tI7is_evenIsEEEEEE10hipError_tPvRmT3_T4_T5_T6_T7_T9_mT8_P12ihipStream_tbDpT10_ENKUlT_T0_E_clISt17integral_constantIbLb0EES17_IbLb1EEEEDaS13_S14_EUlS13_E_NS1_11comp_targetILNS1_3genE4ELNS1_11target_archE910ELNS1_3gpuE8ELNS1_3repE0EEENS1_30default_config_static_selectorELNS0_4arch9wavefront6targetE0EEEvT1_.kd
    .uniform_work_group_size: 1
    .uses_dynamic_stack: false
    .vgpr_count:     0
    .vgpr_spill_count: 0
    .wavefront_size: 32
    .workgroup_processor_mode: 1
  - .args:
      - .offset:         0
        .size:           128
        .value_kind:     by_value
    .group_segment_fixed_size: 0
    .kernarg_segment_align: 8
    .kernarg_segment_size: 128
    .language:       OpenCL C
    .language_version:
      - 2
      - 0
    .max_flat_workgroup_size: 256
    .name:           _ZN7rocprim17ROCPRIM_400000_NS6detail17trampoline_kernelINS0_14default_configENS1_25partition_config_selectorILNS1_17partition_subalgoE6EsNS0_10empty_typeEbEEZZNS1_14partition_implILS5_6ELb0ES3_mN6thrust23THRUST_200600_302600_NS6detail15normal_iteratorINSA_10device_ptrIsEEEEPS6_SG_NS0_5tupleIJSF_S6_EEENSH_IJSG_SG_EEES6_PlJNSB_9not_fun_tI7is_evenIsEEEEEE10hipError_tPvRmT3_T4_T5_T6_T7_T9_mT8_P12ihipStream_tbDpT10_ENKUlT_T0_E_clISt17integral_constantIbLb0EES17_IbLb1EEEEDaS13_S14_EUlS13_E_NS1_11comp_targetILNS1_3genE3ELNS1_11target_archE908ELNS1_3gpuE7ELNS1_3repE0EEENS1_30default_config_static_selectorELNS0_4arch9wavefront6targetE0EEEvT1_
    .private_segment_fixed_size: 0
    .sgpr_count:     0
    .sgpr_spill_count: 0
    .symbol:         _ZN7rocprim17ROCPRIM_400000_NS6detail17trampoline_kernelINS0_14default_configENS1_25partition_config_selectorILNS1_17partition_subalgoE6EsNS0_10empty_typeEbEEZZNS1_14partition_implILS5_6ELb0ES3_mN6thrust23THRUST_200600_302600_NS6detail15normal_iteratorINSA_10device_ptrIsEEEEPS6_SG_NS0_5tupleIJSF_S6_EEENSH_IJSG_SG_EEES6_PlJNSB_9not_fun_tI7is_evenIsEEEEEE10hipError_tPvRmT3_T4_T5_T6_T7_T9_mT8_P12ihipStream_tbDpT10_ENKUlT_T0_E_clISt17integral_constantIbLb0EES17_IbLb1EEEEDaS13_S14_EUlS13_E_NS1_11comp_targetILNS1_3genE3ELNS1_11target_archE908ELNS1_3gpuE7ELNS1_3repE0EEENS1_30default_config_static_selectorELNS0_4arch9wavefront6targetE0EEEvT1_.kd
    .uniform_work_group_size: 1
    .uses_dynamic_stack: false
    .vgpr_count:     0
    .vgpr_spill_count: 0
    .wavefront_size: 32
    .workgroup_processor_mode: 1
  - .args:
      - .offset:         0
        .size:           128
        .value_kind:     by_value
    .group_segment_fixed_size: 0
    .kernarg_segment_align: 8
    .kernarg_segment_size: 128
    .language:       OpenCL C
    .language_version:
      - 2
      - 0
    .max_flat_workgroup_size: 256
    .name:           _ZN7rocprim17ROCPRIM_400000_NS6detail17trampoline_kernelINS0_14default_configENS1_25partition_config_selectorILNS1_17partition_subalgoE6EsNS0_10empty_typeEbEEZZNS1_14partition_implILS5_6ELb0ES3_mN6thrust23THRUST_200600_302600_NS6detail15normal_iteratorINSA_10device_ptrIsEEEEPS6_SG_NS0_5tupleIJSF_S6_EEENSH_IJSG_SG_EEES6_PlJNSB_9not_fun_tI7is_evenIsEEEEEE10hipError_tPvRmT3_T4_T5_T6_T7_T9_mT8_P12ihipStream_tbDpT10_ENKUlT_T0_E_clISt17integral_constantIbLb0EES17_IbLb1EEEEDaS13_S14_EUlS13_E_NS1_11comp_targetILNS1_3genE2ELNS1_11target_archE906ELNS1_3gpuE6ELNS1_3repE0EEENS1_30default_config_static_selectorELNS0_4arch9wavefront6targetE0EEEvT1_
    .private_segment_fixed_size: 0
    .sgpr_count:     0
    .sgpr_spill_count: 0
    .symbol:         _ZN7rocprim17ROCPRIM_400000_NS6detail17trampoline_kernelINS0_14default_configENS1_25partition_config_selectorILNS1_17partition_subalgoE6EsNS0_10empty_typeEbEEZZNS1_14partition_implILS5_6ELb0ES3_mN6thrust23THRUST_200600_302600_NS6detail15normal_iteratorINSA_10device_ptrIsEEEEPS6_SG_NS0_5tupleIJSF_S6_EEENSH_IJSG_SG_EEES6_PlJNSB_9not_fun_tI7is_evenIsEEEEEE10hipError_tPvRmT3_T4_T5_T6_T7_T9_mT8_P12ihipStream_tbDpT10_ENKUlT_T0_E_clISt17integral_constantIbLb0EES17_IbLb1EEEEDaS13_S14_EUlS13_E_NS1_11comp_targetILNS1_3genE2ELNS1_11target_archE906ELNS1_3gpuE6ELNS1_3repE0EEENS1_30default_config_static_selectorELNS0_4arch9wavefront6targetE0EEEvT1_.kd
    .uniform_work_group_size: 1
    .uses_dynamic_stack: false
    .vgpr_count:     0
    .vgpr_spill_count: 0
    .wavefront_size: 32
    .workgroup_processor_mode: 1
  - .args:
      - .offset:         0
        .size:           128
        .value_kind:     by_value
    .group_segment_fixed_size: 13840
    .kernarg_segment_align: 8
    .kernarg_segment_size: 128
    .language:       OpenCL C
    .language_version:
      - 2
      - 0
    .max_flat_workgroup_size: 384
    .name:           _ZN7rocprim17ROCPRIM_400000_NS6detail17trampoline_kernelINS0_14default_configENS1_25partition_config_selectorILNS1_17partition_subalgoE6EsNS0_10empty_typeEbEEZZNS1_14partition_implILS5_6ELb0ES3_mN6thrust23THRUST_200600_302600_NS6detail15normal_iteratorINSA_10device_ptrIsEEEEPS6_SG_NS0_5tupleIJSF_S6_EEENSH_IJSG_SG_EEES6_PlJNSB_9not_fun_tI7is_evenIsEEEEEE10hipError_tPvRmT3_T4_T5_T6_T7_T9_mT8_P12ihipStream_tbDpT10_ENKUlT_T0_E_clISt17integral_constantIbLb0EES17_IbLb1EEEEDaS13_S14_EUlS13_E_NS1_11comp_targetILNS1_3genE10ELNS1_11target_archE1200ELNS1_3gpuE4ELNS1_3repE0EEENS1_30default_config_static_selectorELNS0_4arch9wavefront6targetE0EEEvT1_
    .private_segment_fixed_size: 0
    .sgpr_count:     22
    .sgpr_spill_count: 0
    .symbol:         _ZN7rocprim17ROCPRIM_400000_NS6detail17trampoline_kernelINS0_14default_configENS1_25partition_config_selectorILNS1_17partition_subalgoE6EsNS0_10empty_typeEbEEZZNS1_14partition_implILS5_6ELb0ES3_mN6thrust23THRUST_200600_302600_NS6detail15normal_iteratorINSA_10device_ptrIsEEEEPS6_SG_NS0_5tupleIJSF_S6_EEENSH_IJSG_SG_EEES6_PlJNSB_9not_fun_tI7is_evenIsEEEEEE10hipError_tPvRmT3_T4_T5_T6_T7_T9_mT8_P12ihipStream_tbDpT10_ENKUlT_T0_E_clISt17integral_constantIbLb0EES17_IbLb1EEEEDaS13_S14_EUlS13_E_NS1_11comp_targetILNS1_3genE10ELNS1_11target_archE1200ELNS1_3gpuE4ELNS1_3repE0EEENS1_30default_config_static_selectorELNS0_4arch9wavefront6targetE0EEEvT1_.kd
    .uniform_work_group_size: 1
    .uses_dynamic_stack: false
    .vgpr_count:     79
    .vgpr_spill_count: 0
    .wavefront_size: 32
    .workgroup_processor_mode: 1
  - .args:
      - .offset:         0
        .size:           128
        .value_kind:     by_value
    .group_segment_fixed_size: 0
    .kernarg_segment_align: 8
    .kernarg_segment_size: 128
    .language:       OpenCL C
    .language_version:
      - 2
      - 0
    .max_flat_workgroup_size: 128
    .name:           _ZN7rocprim17ROCPRIM_400000_NS6detail17trampoline_kernelINS0_14default_configENS1_25partition_config_selectorILNS1_17partition_subalgoE6EsNS0_10empty_typeEbEEZZNS1_14partition_implILS5_6ELb0ES3_mN6thrust23THRUST_200600_302600_NS6detail15normal_iteratorINSA_10device_ptrIsEEEEPS6_SG_NS0_5tupleIJSF_S6_EEENSH_IJSG_SG_EEES6_PlJNSB_9not_fun_tI7is_evenIsEEEEEE10hipError_tPvRmT3_T4_T5_T6_T7_T9_mT8_P12ihipStream_tbDpT10_ENKUlT_T0_E_clISt17integral_constantIbLb0EES17_IbLb1EEEEDaS13_S14_EUlS13_E_NS1_11comp_targetILNS1_3genE9ELNS1_11target_archE1100ELNS1_3gpuE3ELNS1_3repE0EEENS1_30default_config_static_selectorELNS0_4arch9wavefront6targetE0EEEvT1_
    .private_segment_fixed_size: 0
    .sgpr_count:     0
    .sgpr_spill_count: 0
    .symbol:         _ZN7rocprim17ROCPRIM_400000_NS6detail17trampoline_kernelINS0_14default_configENS1_25partition_config_selectorILNS1_17partition_subalgoE6EsNS0_10empty_typeEbEEZZNS1_14partition_implILS5_6ELb0ES3_mN6thrust23THRUST_200600_302600_NS6detail15normal_iteratorINSA_10device_ptrIsEEEEPS6_SG_NS0_5tupleIJSF_S6_EEENSH_IJSG_SG_EEES6_PlJNSB_9not_fun_tI7is_evenIsEEEEEE10hipError_tPvRmT3_T4_T5_T6_T7_T9_mT8_P12ihipStream_tbDpT10_ENKUlT_T0_E_clISt17integral_constantIbLb0EES17_IbLb1EEEEDaS13_S14_EUlS13_E_NS1_11comp_targetILNS1_3genE9ELNS1_11target_archE1100ELNS1_3gpuE3ELNS1_3repE0EEENS1_30default_config_static_selectorELNS0_4arch9wavefront6targetE0EEEvT1_.kd
    .uniform_work_group_size: 1
    .uses_dynamic_stack: false
    .vgpr_count:     0
    .vgpr_spill_count: 0
    .wavefront_size: 32
    .workgroup_processor_mode: 1
  - .args:
      - .offset:         0
        .size:           128
        .value_kind:     by_value
    .group_segment_fixed_size: 0
    .kernarg_segment_align: 8
    .kernarg_segment_size: 128
    .language:       OpenCL C
    .language_version:
      - 2
      - 0
    .max_flat_workgroup_size: 256
    .name:           _ZN7rocprim17ROCPRIM_400000_NS6detail17trampoline_kernelINS0_14default_configENS1_25partition_config_selectorILNS1_17partition_subalgoE6EsNS0_10empty_typeEbEEZZNS1_14partition_implILS5_6ELb0ES3_mN6thrust23THRUST_200600_302600_NS6detail15normal_iteratorINSA_10device_ptrIsEEEEPS6_SG_NS0_5tupleIJSF_S6_EEENSH_IJSG_SG_EEES6_PlJNSB_9not_fun_tI7is_evenIsEEEEEE10hipError_tPvRmT3_T4_T5_T6_T7_T9_mT8_P12ihipStream_tbDpT10_ENKUlT_T0_E_clISt17integral_constantIbLb0EES17_IbLb1EEEEDaS13_S14_EUlS13_E_NS1_11comp_targetILNS1_3genE8ELNS1_11target_archE1030ELNS1_3gpuE2ELNS1_3repE0EEENS1_30default_config_static_selectorELNS0_4arch9wavefront6targetE0EEEvT1_
    .private_segment_fixed_size: 0
    .sgpr_count:     0
    .sgpr_spill_count: 0
    .symbol:         _ZN7rocprim17ROCPRIM_400000_NS6detail17trampoline_kernelINS0_14default_configENS1_25partition_config_selectorILNS1_17partition_subalgoE6EsNS0_10empty_typeEbEEZZNS1_14partition_implILS5_6ELb0ES3_mN6thrust23THRUST_200600_302600_NS6detail15normal_iteratorINSA_10device_ptrIsEEEEPS6_SG_NS0_5tupleIJSF_S6_EEENSH_IJSG_SG_EEES6_PlJNSB_9not_fun_tI7is_evenIsEEEEEE10hipError_tPvRmT3_T4_T5_T6_T7_T9_mT8_P12ihipStream_tbDpT10_ENKUlT_T0_E_clISt17integral_constantIbLb0EES17_IbLb1EEEEDaS13_S14_EUlS13_E_NS1_11comp_targetILNS1_3genE8ELNS1_11target_archE1030ELNS1_3gpuE2ELNS1_3repE0EEENS1_30default_config_static_selectorELNS0_4arch9wavefront6targetE0EEEvT1_.kd
    .uniform_work_group_size: 1
    .uses_dynamic_stack: false
    .vgpr_count:     0
    .vgpr_spill_count: 0
    .wavefront_size: 32
    .workgroup_processor_mode: 1
  - .args:
      - .offset:         0
        .size:           120
        .value_kind:     by_value
    .group_segment_fixed_size: 0
    .kernarg_segment_align: 8
    .kernarg_segment_size: 120
    .language:       OpenCL C
    .language_version:
      - 2
      - 0
    .max_flat_workgroup_size: 128
    .name:           _ZN7rocprim17ROCPRIM_400000_NS6detail17trampoline_kernelINS0_14default_configENS1_25partition_config_selectorILNS1_17partition_subalgoE5EdNS0_10empty_typeEbEEZZNS1_14partition_implILS5_5ELb0ES3_mN6thrust23THRUST_200600_302600_NS6detail15normal_iteratorINSA_10device_ptrIdEEEEPS6_NSA_18transform_iteratorINSB_9not_fun_tINSA_8identityIdEEEESF_NSA_11use_defaultESM_EENS0_5tupleIJSF_S6_EEENSO_IJSG_SG_EEES6_PlJS6_EEE10hipError_tPvRmT3_T4_T5_T6_T7_T9_mT8_P12ihipStream_tbDpT10_ENKUlT_T0_E_clISt17integral_constantIbLb0EES1B_EEDaS16_S17_EUlS16_E_NS1_11comp_targetILNS1_3genE0ELNS1_11target_archE4294967295ELNS1_3gpuE0ELNS1_3repE0EEENS1_30default_config_static_selectorELNS0_4arch9wavefront6targetE0EEEvT1_
    .private_segment_fixed_size: 0
    .sgpr_count:     0
    .sgpr_spill_count: 0
    .symbol:         _ZN7rocprim17ROCPRIM_400000_NS6detail17trampoline_kernelINS0_14default_configENS1_25partition_config_selectorILNS1_17partition_subalgoE5EdNS0_10empty_typeEbEEZZNS1_14partition_implILS5_5ELb0ES3_mN6thrust23THRUST_200600_302600_NS6detail15normal_iteratorINSA_10device_ptrIdEEEEPS6_NSA_18transform_iteratorINSB_9not_fun_tINSA_8identityIdEEEESF_NSA_11use_defaultESM_EENS0_5tupleIJSF_S6_EEENSO_IJSG_SG_EEES6_PlJS6_EEE10hipError_tPvRmT3_T4_T5_T6_T7_T9_mT8_P12ihipStream_tbDpT10_ENKUlT_T0_E_clISt17integral_constantIbLb0EES1B_EEDaS16_S17_EUlS16_E_NS1_11comp_targetILNS1_3genE0ELNS1_11target_archE4294967295ELNS1_3gpuE0ELNS1_3repE0EEENS1_30default_config_static_selectorELNS0_4arch9wavefront6targetE0EEEvT1_.kd
    .uniform_work_group_size: 1
    .uses_dynamic_stack: false
    .vgpr_count:     0
    .vgpr_spill_count: 0
    .wavefront_size: 32
    .workgroup_processor_mode: 1
  - .args:
      - .offset:         0
        .size:           120
        .value_kind:     by_value
    .group_segment_fixed_size: 0
    .kernarg_segment_align: 8
    .kernarg_segment_size: 120
    .language:       OpenCL C
    .language_version:
      - 2
      - 0
    .max_flat_workgroup_size: 512
    .name:           _ZN7rocprim17ROCPRIM_400000_NS6detail17trampoline_kernelINS0_14default_configENS1_25partition_config_selectorILNS1_17partition_subalgoE5EdNS0_10empty_typeEbEEZZNS1_14partition_implILS5_5ELb0ES3_mN6thrust23THRUST_200600_302600_NS6detail15normal_iteratorINSA_10device_ptrIdEEEEPS6_NSA_18transform_iteratorINSB_9not_fun_tINSA_8identityIdEEEESF_NSA_11use_defaultESM_EENS0_5tupleIJSF_S6_EEENSO_IJSG_SG_EEES6_PlJS6_EEE10hipError_tPvRmT3_T4_T5_T6_T7_T9_mT8_P12ihipStream_tbDpT10_ENKUlT_T0_E_clISt17integral_constantIbLb0EES1B_EEDaS16_S17_EUlS16_E_NS1_11comp_targetILNS1_3genE5ELNS1_11target_archE942ELNS1_3gpuE9ELNS1_3repE0EEENS1_30default_config_static_selectorELNS0_4arch9wavefront6targetE0EEEvT1_
    .private_segment_fixed_size: 0
    .sgpr_count:     0
    .sgpr_spill_count: 0
    .symbol:         _ZN7rocprim17ROCPRIM_400000_NS6detail17trampoline_kernelINS0_14default_configENS1_25partition_config_selectorILNS1_17partition_subalgoE5EdNS0_10empty_typeEbEEZZNS1_14partition_implILS5_5ELb0ES3_mN6thrust23THRUST_200600_302600_NS6detail15normal_iteratorINSA_10device_ptrIdEEEEPS6_NSA_18transform_iteratorINSB_9not_fun_tINSA_8identityIdEEEESF_NSA_11use_defaultESM_EENS0_5tupleIJSF_S6_EEENSO_IJSG_SG_EEES6_PlJS6_EEE10hipError_tPvRmT3_T4_T5_T6_T7_T9_mT8_P12ihipStream_tbDpT10_ENKUlT_T0_E_clISt17integral_constantIbLb0EES1B_EEDaS16_S17_EUlS16_E_NS1_11comp_targetILNS1_3genE5ELNS1_11target_archE942ELNS1_3gpuE9ELNS1_3repE0EEENS1_30default_config_static_selectorELNS0_4arch9wavefront6targetE0EEEvT1_.kd
    .uniform_work_group_size: 1
    .uses_dynamic_stack: false
    .vgpr_count:     0
    .vgpr_spill_count: 0
    .wavefront_size: 32
    .workgroup_processor_mode: 1
  - .args:
      - .offset:         0
        .size:           120
        .value_kind:     by_value
    .group_segment_fixed_size: 0
    .kernarg_segment_align: 8
    .kernarg_segment_size: 120
    .language:       OpenCL C
    .language_version:
      - 2
      - 0
    .max_flat_workgroup_size: 192
    .name:           _ZN7rocprim17ROCPRIM_400000_NS6detail17trampoline_kernelINS0_14default_configENS1_25partition_config_selectorILNS1_17partition_subalgoE5EdNS0_10empty_typeEbEEZZNS1_14partition_implILS5_5ELb0ES3_mN6thrust23THRUST_200600_302600_NS6detail15normal_iteratorINSA_10device_ptrIdEEEEPS6_NSA_18transform_iteratorINSB_9not_fun_tINSA_8identityIdEEEESF_NSA_11use_defaultESM_EENS0_5tupleIJSF_S6_EEENSO_IJSG_SG_EEES6_PlJS6_EEE10hipError_tPvRmT3_T4_T5_T6_T7_T9_mT8_P12ihipStream_tbDpT10_ENKUlT_T0_E_clISt17integral_constantIbLb0EES1B_EEDaS16_S17_EUlS16_E_NS1_11comp_targetILNS1_3genE4ELNS1_11target_archE910ELNS1_3gpuE8ELNS1_3repE0EEENS1_30default_config_static_selectorELNS0_4arch9wavefront6targetE0EEEvT1_
    .private_segment_fixed_size: 0
    .sgpr_count:     0
    .sgpr_spill_count: 0
    .symbol:         _ZN7rocprim17ROCPRIM_400000_NS6detail17trampoline_kernelINS0_14default_configENS1_25partition_config_selectorILNS1_17partition_subalgoE5EdNS0_10empty_typeEbEEZZNS1_14partition_implILS5_5ELb0ES3_mN6thrust23THRUST_200600_302600_NS6detail15normal_iteratorINSA_10device_ptrIdEEEEPS6_NSA_18transform_iteratorINSB_9not_fun_tINSA_8identityIdEEEESF_NSA_11use_defaultESM_EENS0_5tupleIJSF_S6_EEENSO_IJSG_SG_EEES6_PlJS6_EEE10hipError_tPvRmT3_T4_T5_T6_T7_T9_mT8_P12ihipStream_tbDpT10_ENKUlT_T0_E_clISt17integral_constantIbLb0EES1B_EEDaS16_S17_EUlS16_E_NS1_11comp_targetILNS1_3genE4ELNS1_11target_archE910ELNS1_3gpuE8ELNS1_3repE0EEENS1_30default_config_static_selectorELNS0_4arch9wavefront6targetE0EEEvT1_.kd
    .uniform_work_group_size: 1
    .uses_dynamic_stack: false
    .vgpr_count:     0
    .vgpr_spill_count: 0
    .wavefront_size: 32
    .workgroup_processor_mode: 1
  - .args:
      - .offset:         0
        .size:           120
        .value_kind:     by_value
    .group_segment_fixed_size: 0
    .kernarg_segment_align: 8
    .kernarg_segment_size: 120
    .language:       OpenCL C
    .language_version:
      - 2
      - 0
    .max_flat_workgroup_size: 128
    .name:           _ZN7rocprim17ROCPRIM_400000_NS6detail17trampoline_kernelINS0_14default_configENS1_25partition_config_selectorILNS1_17partition_subalgoE5EdNS0_10empty_typeEbEEZZNS1_14partition_implILS5_5ELb0ES3_mN6thrust23THRUST_200600_302600_NS6detail15normal_iteratorINSA_10device_ptrIdEEEEPS6_NSA_18transform_iteratorINSB_9not_fun_tINSA_8identityIdEEEESF_NSA_11use_defaultESM_EENS0_5tupleIJSF_S6_EEENSO_IJSG_SG_EEES6_PlJS6_EEE10hipError_tPvRmT3_T4_T5_T6_T7_T9_mT8_P12ihipStream_tbDpT10_ENKUlT_T0_E_clISt17integral_constantIbLb0EES1B_EEDaS16_S17_EUlS16_E_NS1_11comp_targetILNS1_3genE3ELNS1_11target_archE908ELNS1_3gpuE7ELNS1_3repE0EEENS1_30default_config_static_selectorELNS0_4arch9wavefront6targetE0EEEvT1_
    .private_segment_fixed_size: 0
    .sgpr_count:     0
    .sgpr_spill_count: 0
    .symbol:         _ZN7rocprim17ROCPRIM_400000_NS6detail17trampoline_kernelINS0_14default_configENS1_25partition_config_selectorILNS1_17partition_subalgoE5EdNS0_10empty_typeEbEEZZNS1_14partition_implILS5_5ELb0ES3_mN6thrust23THRUST_200600_302600_NS6detail15normal_iteratorINSA_10device_ptrIdEEEEPS6_NSA_18transform_iteratorINSB_9not_fun_tINSA_8identityIdEEEESF_NSA_11use_defaultESM_EENS0_5tupleIJSF_S6_EEENSO_IJSG_SG_EEES6_PlJS6_EEE10hipError_tPvRmT3_T4_T5_T6_T7_T9_mT8_P12ihipStream_tbDpT10_ENKUlT_T0_E_clISt17integral_constantIbLb0EES1B_EEDaS16_S17_EUlS16_E_NS1_11comp_targetILNS1_3genE3ELNS1_11target_archE908ELNS1_3gpuE7ELNS1_3repE0EEENS1_30default_config_static_selectorELNS0_4arch9wavefront6targetE0EEEvT1_.kd
    .uniform_work_group_size: 1
    .uses_dynamic_stack: false
    .vgpr_count:     0
    .vgpr_spill_count: 0
    .wavefront_size: 32
    .workgroup_processor_mode: 1
  - .args:
      - .offset:         0
        .size:           120
        .value_kind:     by_value
    .group_segment_fixed_size: 0
    .kernarg_segment_align: 8
    .kernarg_segment_size: 120
    .language:       OpenCL C
    .language_version:
      - 2
      - 0
    .max_flat_workgroup_size: 256
    .name:           _ZN7rocprim17ROCPRIM_400000_NS6detail17trampoline_kernelINS0_14default_configENS1_25partition_config_selectorILNS1_17partition_subalgoE5EdNS0_10empty_typeEbEEZZNS1_14partition_implILS5_5ELb0ES3_mN6thrust23THRUST_200600_302600_NS6detail15normal_iteratorINSA_10device_ptrIdEEEEPS6_NSA_18transform_iteratorINSB_9not_fun_tINSA_8identityIdEEEESF_NSA_11use_defaultESM_EENS0_5tupleIJSF_S6_EEENSO_IJSG_SG_EEES6_PlJS6_EEE10hipError_tPvRmT3_T4_T5_T6_T7_T9_mT8_P12ihipStream_tbDpT10_ENKUlT_T0_E_clISt17integral_constantIbLb0EES1B_EEDaS16_S17_EUlS16_E_NS1_11comp_targetILNS1_3genE2ELNS1_11target_archE906ELNS1_3gpuE6ELNS1_3repE0EEENS1_30default_config_static_selectorELNS0_4arch9wavefront6targetE0EEEvT1_
    .private_segment_fixed_size: 0
    .sgpr_count:     0
    .sgpr_spill_count: 0
    .symbol:         _ZN7rocprim17ROCPRIM_400000_NS6detail17trampoline_kernelINS0_14default_configENS1_25partition_config_selectorILNS1_17partition_subalgoE5EdNS0_10empty_typeEbEEZZNS1_14partition_implILS5_5ELb0ES3_mN6thrust23THRUST_200600_302600_NS6detail15normal_iteratorINSA_10device_ptrIdEEEEPS6_NSA_18transform_iteratorINSB_9not_fun_tINSA_8identityIdEEEESF_NSA_11use_defaultESM_EENS0_5tupleIJSF_S6_EEENSO_IJSG_SG_EEES6_PlJS6_EEE10hipError_tPvRmT3_T4_T5_T6_T7_T9_mT8_P12ihipStream_tbDpT10_ENKUlT_T0_E_clISt17integral_constantIbLb0EES1B_EEDaS16_S17_EUlS16_E_NS1_11comp_targetILNS1_3genE2ELNS1_11target_archE906ELNS1_3gpuE6ELNS1_3repE0EEENS1_30default_config_static_selectorELNS0_4arch9wavefront6targetE0EEEvT1_.kd
    .uniform_work_group_size: 1
    .uses_dynamic_stack: false
    .vgpr_count:     0
    .vgpr_spill_count: 0
    .wavefront_size: 32
    .workgroup_processor_mode: 1
  - .args:
      - .offset:         0
        .size:           120
        .value_kind:     by_value
    .group_segment_fixed_size: 10256
    .kernarg_segment_align: 8
    .kernarg_segment_size: 120
    .language:       OpenCL C
    .language_version:
      - 2
      - 0
    .max_flat_workgroup_size: 256
    .name:           _ZN7rocprim17ROCPRIM_400000_NS6detail17trampoline_kernelINS0_14default_configENS1_25partition_config_selectorILNS1_17partition_subalgoE5EdNS0_10empty_typeEbEEZZNS1_14partition_implILS5_5ELb0ES3_mN6thrust23THRUST_200600_302600_NS6detail15normal_iteratorINSA_10device_ptrIdEEEEPS6_NSA_18transform_iteratorINSB_9not_fun_tINSA_8identityIdEEEESF_NSA_11use_defaultESM_EENS0_5tupleIJSF_S6_EEENSO_IJSG_SG_EEES6_PlJS6_EEE10hipError_tPvRmT3_T4_T5_T6_T7_T9_mT8_P12ihipStream_tbDpT10_ENKUlT_T0_E_clISt17integral_constantIbLb0EES1B_EEDaS16_S17_EUlS16_E_NS1_11comp_targetILNS1_3genE10ELNS1_11target_archE1200ELNS1_3gpuE4ELNS1_3repE0EEENS1_30default_config_static_selectorELNS0_4arch9wavefront6targetE0EEEvT1_
    .private_segment_fixed_size: 0
    .sgpr_count:     22
    .sgpr_spill_count: 0
    .symbol:         _ZN7rocprim17ROCPRIM_400000_NS6detail17trampoline_kernelINS0_14default_configENS1_25partition_config_selectorILNS1_17partition_subalgoE5EdNS0_10empty_typeEbEEZZNS1_14partition_implILS5_5ELb0ES3_mN6thrust23THRUST_200600_302600_NS6detail15normal_iteratorINSA_10device_ptrIdEEEEPS6_NSA_18transform_iteratorINSB_9not_fun_tINSA_8identityIdEEEESF_NSA_11use_defaultESM_EENS0_5tupleIJSF_S6_EEENSO_IJSG_SG_EEES6_PlJS6_EEE10hipError_tPvRmT3_T4_T5_T6_T7_T9_mT8_P12ihipStream_tbDpT10_ENKUlT_T0_E_clISt17integral_constantIbLb0EES1B_EEDaS16_S17_EUlS16_E_NS1_11comp_targetILNS1_3genE10ELNS1_11target_archE1200ELNS1_3gpuE4ELNS1_3repE0EEENS1_30default_config_static_selectorELNS0_4arch9wavefront6targetE0EEEvT1_.kd
    .uniform_work_group_size: 1
    .uses_dynamic_stack: false
    .vgpr_count:     48
    .vgpr_spill_count: 0
    .wavefront_size: 32
    .workgroup_processor_mode: 1
  - .args:
      - .offset:         0
        .size:           120
        .value_kind:     by_value
    .group_segment_fixed_size: 0
    .kernarg_segment_align: 8
    .kernarg_segment_size: 120
    .language:       OpenCL C
    .language_version:
      - 2
      - 0
    .max_flat_workgroup_size: 128
    .name:           _ZN7rocprim17ROCPRIM_400000_NS6detail17trampoline_kernelINS0_14default_configENS1_25partition_config_selectorILNS1_17partition_subalgoE5EdNS0_10empty_typeEbEEZZNS1_14partition_implILS5_5ELb0ES3_mN6thrust23THRUST_200600_302600_NS6detail15normal_iteratorINSA_10device_ptrIdEEEEPS6_NSA_18transform_iteratorINSB_9not_fun_tINSA_8identityIdEEEESF_NSA_11use_defaultESM_EENS0_5tupleIJSF_S6_EEENSO_IJSG_SG_EEES6_PlJS6_EEE10hipError_tPvRmT3_T4_T5_T6_T7_T9_mT8_P12ihipStream_tbDpT10_ENKUlT_T0_E_clISt17integral_constantIbLb0EES1B_EEDaS16_S17_EUlS16_E_NS1_11comp_targetILNS1_3genE9ELNS1_11target_archE1100ELNS1_3gpuE3ELNS1_3repE0EEENS1_30default_config_static_selectorELNS0_4arch9wavefront6targetE0EEEvT1_
    .private_segment_fixed_size: 0
    .sgpr_count:     0
    .sgpr_spill_count: 0
    .symbol:         _ZN7rocprim17ROCPRIM_400000_NS6detail17trampoline_kernelINS0_14default_configENS1_25partition_config_selectorILNS1_17partition_subalgoE5EdNS0_10empty_typeEbEEZZNS1_14partition_implILS5_5ELb0ES3_mN6thrust23THRUST_200600_302600_NS6detail15normal_iteratorINSA_10device_ptrIdEEEEPS6_NSA_18transform_iteratorINSB_9not_fun_tINSA_8identityIdEEEESF_NSA_11use_defaultESM_EENS0_5tupleIJSF_S6_EEENSO_IJSG_SG_EEES6_PlJS6_EEE10hipError_tPvRmT3_T4_T5_T6_T7_T9_mT8_P12ihipStream_tbDpT10_ENKUlT_T0_E_clISt17integral_constantIbLb0EES1B_EEDaS16_S17_EUlS16_E_NS1_11comp_targetILNS1_3genE9ELNS1_11target_archE1100ELNS1_3gpuE3ELNS1_3repE0EEENS1_30default_config_static_selectorELNS0_4arch9wavefront6targetE0EEEvT1_.kd
    .uniform_work_group_size: 1
    .uses_dynamic_stack: false
    .vgpr_count:     0
    .vgpr_spill_count: 0
    .wavefront_size: 32
    .workgroup_processor_mode: 1
  - .args:
      - .offset:         0
        .size:           120
        .value_kind:     by_value
    .group_segment_fixed_size: 0
    .kernarg_segment_align: 8
    .kernarg_segment_size: 120
    .language:       OpenCL C
    .language_version:
      - 2
      - 0
    .max_flat_workgroup_size: 512
    .name:           _ZN7rocprim17ROCPRIM_400000_NS6detail17trampoline_kernelINS0_14default_configENS1_25partition_config_selectorILNS1_17partition_subalgoE5EdNS0_10empty_typeEbEEZZNS1_14partition_implILS5_5ELb0ES3_mN6thrust23THRUST_200600_302600_NS6detail15normal_iteratorINSA_10device_ptrIdEEEEPS6_NSA_18transform_iteratorINSB_9not_fun_tINSA_8identityIdEEEESF_NSA_11use_defaultESM_EENS0_5tupleIJSF_S6_EEENSO_IJSG_SG_EEES6_PlJS6_EEE10hipError_tPvRmT3_T4_T5_T6_T7_T9_mT8_P12ihipStream_tbDpT10_ENKUlT_T0_E_clISt17integral_constantIbLb0EES1B_EEDaS16_S17_EUlS16_E_NS1_11comp_targetILNS1_3genE8ELNS1_11target_archE1030ELNS1_3gpuE2ELNS1_3repE0EEENS1_30default_config_static_selectorELNS0_4arch9wavefront6targetE0EEEvT1_
    .private_segment_fixed_size: 0
    .sgpr_count:     0
    .sgpr_spill_count: 0
    .symbol:         _ZN7rocprim17ROCPRIM_400000_NS6detail17trampoline_kernelINS0_14default_configENS1_25partition_config_selectorILNS1_17partition_subalgoE5EdNS0_10empty_typeEbEEZZNS1_14partition_implILS5_5ELb0ES3_mN6thrust23THRUST_200600_302600_NS6detail15normal_iteratorINSA_10device_ptrIdEEEEPS6_NSA_18transform_iteratorINSB_9not_fun_tINSA_8identityIdEEEESF_NSA_11use_defaultESM_EENS0_5tupleIJSF_S6_EEENSO_IJSG_SG_EEES6_PlJS6_EEE10hipError_tPvRmT3_T4_T5_T6_T7_T9_mT8_P12ihipStream_tbDpT10_ENKUlT_T0_E_clISt17integral_constantIbLb0EES1B_EEDaS16_S17_EUlS16_E_NS1_11comp_targetILNS1_3genE8ELNS1_11target_archE1030ELNS1_3gpuE2ELNS1_3repE0EEENS1_30default_config_static_selectorELNS0_4arch9wavefront6targetE0EEEvT1_.kd
    .uniform_work_group_size: 1
    .uses_dynamic_stack: false
    .vgpr_count:     0
    .vgpr_spill_count: 0
    .wavefront_size: 32
    .workgroup_processor_mode: 1
  - .args:
      - .offset:         0
        .size:           136
        .value_kind:     by_value
    .group_segment_fixed_size: 0
    .kernarg_segment_align: 8
    .kernarg_segment_size: 136
    .language:       OpenCL C
    .language_version:
      - 2
      - 0
    .max_flat_workgroup_size: 128
    .name:           _ZN7rocprim17ROCPRIM_400000_NS6detail17trampoline_kernelINS0_14default_configENS1_25partition_config_selectorILNS1_17partition_subalgoE5EdNS0_10empty_typeEbEEZZNS1_14partition_implILS5_5ELb0ES3_mN6thrust23THRUST_200600_302600_NS6detail15normal_iteratorINSA_10device_ptrIdEEEEPS6_NSA_18transform_iteratorINSB_9not_fun_tINSA_8identityIdEEEESF_NSA_11use_defaultESM_EENS0_5tupleIJSF_S6_EEENSO_IJSG_SG_EEES6_PlJS6_EEE10hipError_tPvRmT3_T4_T5_T6_T7_T9_mT8_P12ihipStream_tbDpT10_ENKUlT_T0_E_clISt17integral_constantIbLb1EES1B_EEDaS16_S17_EUlS16_E_NS1_11comp_targetILNS1_3genE0ELNS1_11target_archE4294967295ELNS1_3gpuE0ELNS1_3repE0EEENS1_30default_config_static_selectorELNS0_4arch9wavefront6targetE0EEEvT1_
    .private_segment_fixed_size: 0
    .sgpr_count:     0
    .sgpr_spill_count: 0
    .symbol:         _ZN7rocprim17ROCPRIM_400000_NS6detail17trampoline_kernelINS0_14default_configENS1_25partition_config_selectorILNS1_17partition_subalgoE5EdNS0_10empty_typeEbEEZZNS1_14partition_implILS5_5ELb0ES3_mN6thrust23THRUST_200600_302600_NS6detail15normal_iteratorINSA_10device_ptrIdEEEEPS6_NSA_18transform_iteratorINSB_9not_fun_tINSA_8identityIdEEEESF_NSA_11use_defaultESM_EENS0_5tupleIJSF_S6_EEENSO_IJSG_SG_EEES6_PlJS6_EEE10hipError_tPvRmT3_T4_T5_T6_T7_T9_mT8_P12ihipStream_tbDpT10_ENKUlT_T0_E_clISt17integral_constantIbLb1EES1B_EEDaS16_S17_EUlS16_E_NS1_11comp_targetILNS1_3genE0ELNS1_11target_archE4294967295ELNS1_3gpuE0ELNS1_3repE0EEENS1_30default_config_static_selectorELNS0_4arch9wavefront6targetE0EEEvT1_.kd
    .uniform_work_group_size: 1
    .uses_dynamic_stack: false
    .vgpr_count:     0
    .vgpr_spill_count: 0
    .wavefront_size: 32
    .workgroup_processor_mode: 1
  - .args:
      - .offset:         0
        .size:           136
        .value_kind:     by_value
    .group_segment_fixed_size: 0
    .kernarg_segment_align: 8
    .kernarg_segment_size: 136
    .language:       OpenCL C
    .language_version:
      - 2
      - 0
    .max_flat_workgroup_size: 512
    .name:           _ZN7rocprim17ROCPRIM_400000_NS6detail17trampoline_kernelINS0_14default_configENS1_25partition_config_selectorILNS1_17partition_subalgoE5EdNS0_10empty_typeEbEEZZNS1_14partition_implILS5_5ELb0ES3_mN6thrust23THRUST_200600_302600_NS6detail15normal_iteratorINSA_10device_ptrIdEEEEPS6_NSA_18transform_iteratorINSB_9not_fun_tINSA_8identityIdEEEESF_NSA_11use_defaultESM_EENS0_5tupleIJSF_S6_EEENSO_IJSG_SG_EEES6_PlJS6_EEE10hipError_tPvRmT3_T4_T5_T6_T7_T9_mT8_P12ihipStream_tbDpT10_ENKUlT_T0_E_clISt17integral_constantIbLb1EES1B_EEDaS16_S17_EUlS16_E_NS1_11comp_targetILNS1_3genE5ELNS1_11target_archE942ELNS1_3gpuE9ELNS1_3repE0EEENS1_30default_config_static_selectorELNS0_4arch9wavefront6targetE0EEEvT1_
    .private_segment_fixed_size: 0
    .sgpr_count:     0
    .sgpr_spill_count: 0
    .symbol:         _ZN7rocprim17ROCPRIM_400000_NS6detail17trampoline_kernelINS0_14default_configENS1_25partition_config_selectorILNS1_17partition_subalgoE5EdNS0_10empty_typeEbEEZZNS1_14partition_implILS5_5ELb0ES3_mN6thrust23THRUST_200600_302600_NS6detail15normal_iteratorINSA_10device_ptrIdEEEEPS6_NSA_18transform_iteratorINSB_9not_fun_tINSA_8identityIdEEEESF_NSA_11use_defaultESM_EENS0_5tupleIJSF_S6_EEENSO_IJSG_SG_EEES6_PlJS6_EEE10hipError_tPvRmT3_T4_T5_T6_T7_T9_mT8_P12ihipStream_tbDpT10_ENKUlT_T0_E_clISt17integral_constantIbLb1EES1B_EEDaS16_S17_EUlS16_E_NS1_11comp_targetILNS1_3genE5ELNS1_11target_archE942ELNS1_3gpuE9ELNS1_3repE0EEENS1_30default_config_static_selectorELNS0_4arch9wavefront6targetE0EEEvT1_.kd
    .uniform_work_group_size: 1
    .uses_dynamic_stack: false
    .vgpr_count:     0
    .vgpr_spill_count: 0
    .wavefront_size: 32
    .workgroup_processor_mode: 1
  - .args:
      - .offset:         0
        .size:           136
        .value_kind:     by_value
    .group_segment_fixed_size: 0
    .kernarg_segment_align: 8
    .kernarg_segment_size: 136
    .language:       OpenCL C
    .language_version:
      - 2
      - 0
    .max_flat_workgroup_size: 192
    .name:           _ZN7rocprim17ROCPRIM_400000_NS6detail17trampoline_kernelINS0_14default_configENS1_25partition_config_selectorILNS1_17partition_subalgoE5EdNS0_10empty_typeEbEEZZNS1_14partition_implILS5_5ELb0ES3_mN6thrust23THRUST_200600_302600_NS6detail15normal_iteratorINSA_10device_ptrIdEEEEPS6_NSA_18transform_iteratorINSB_9not_fun_tINSA_8identityIdEEEESF_NSA_11use_defaultESM_EENS0_5tupleIJSF_S6_EEENSO_IJSG_SG_EEES6_PlJS6_EEE10hipError_tPvRmT3_T4_T5_T6_T7_T9_mT8_P12ihipStream_tbDpT10_ENKUlT_T0_E_clISt17integral_constantIbLb1EES1B_EEDaS16_S17_EUlS16_E_NS1_11comp_targetILNS1_3genE4ELNS1_11target_archE910ELNS1_3gpuE8ELNS1_3repE0EEENS1_30default_config_static_selectorELNS0_4arch9wavefront6targetE0EEEvT1_
    .private_segment_fixed_size: 0
    .sgpr_count:     0
    .sgpr_spill_count: 0
    .symbol:         _ZN7rocprim17ROCPRIM_400000_NS6detail17trampoline_kernelINS0_14default_configENS1_25partition_config_selectorILNS1_17partition_subalgoE5EdNS0_10empty_typeEbEEZZNS1_14partition_implILS5_5ELb0ES3_mN6thrust23THRUST_200600_302600_NS6detail15normal_iteratorINSA_10device_ptrIdEEEEPS6_NSA_18transform_iteratorINSB_9not_fun_tINSA_8identityIdEEEESF_NSA_11use_defaultESM_EENS0_5tupleIJSF_S6_EEENSO_IJSG_SG_EEES6_PlJS6_EEE10hipError_tPvRmT3_T4_T5_T6_T7_T9_mT8_P12ihipStream_tbDpT10_ENKUlT_T0_E_clISt17integral_constantIbLb1EES1B_EEDaS16_S17_EUlS16_E_NS1_11comp_targetILNS1_3genE4ELNS1_11target_archE910ELNS1_3gpuE8ELNS1_3repE0EEENS1_30default_config_static_selectorELNS0_4arch9wavefront6targetE0EEEvT1_.kd
    .uniform_work_group_size: 1
    .uses_dynamic_stack: false
    .vgpr_count:     0
    .vgpr_spill_count: 0
    .wavefront_size: 32
    .workgroup_processor_mode: 1
  - .args:
      - .offset:         0
        .size:           136
        .value_kind:     by_value
    .group_segment_fixed_size: 0
    .kernarg_segment_align: 8
    .kernarg_segment_size: 136
    .language:       OpenCL C
    .language_version:
      - 2
      - 0
    .max_flat_workgroup_size: 128
    .name:           _ZN7rocprim17ROCPRIM_400000_NS6detail17trampoline_kernelINS0_14default_configENS1_25partition_config_selectorILNS1_17partition_subalgoE5EdNS0_10empty_typeEbEEZZNS1_14partition_implILS5_5ELb0ES3_mN6thrust23THRUST_200600_302600_NS6detail15normal_iteratorINSA_10device_ptrIdEEEEPS6_NSA_18transform_iteratorINSB_9not_fun_tINSA_8identityIdEEEESF_NSA_11use_defaultESM_EENS0_5tupleIJSF_S6_EEENSO_IJSG_SG_EEES6_PlJS6_EEE10hipError_tPvRmT3_T4_T5_T6_T7_T9_mT8_P12ihipStream_tbDpT10_ENKUlT_T0_E_clISt17integral_constantIbLb1EES1B_EEDaS16_S17_EUlS16_E_NS1_11comp_targetILNS1_3genE3ELNS1_11target_archE908ELNS1_3gpuE7ELNS1_3repE0EEENS1_30default_config_static_selectorELNS0_4arch9wavefront6targetE0EEEvT1_
    .private_segment_fixed_size: 0
    .sgpr_count:     0
    .sgpr_spill_count: 0
    .symbol:         _ZN7rocprim17ROCPRIM_400000_NS6detail17trampoline_kernelINS0_14default_configENS1_25partition_config_selectorILNS1_17partition_subalgoE5EdNS0_10empty_typeEbEEZZNS1_14partition_implILS5_5ELb0ES3_mN6thrust23THRUST_200600_302600_NS6detail15normal_iteratorINSA_10device_ptrIdEEEEPS6_NSA_18transform_iteratorINSB_9not_fun_tINSA_8identityIdEEEESF_NSA_11use_defaultESM_EENS0_5tupleIJSF_S6_EEENSO_IJSG_SG_EEES6_PlJS6_EEE10hipError_tPvRmT3_T4_T5_T6_T7_T9_mT8_P12ihipStream_tbDpT10_ENKUlT_T0_E_clISt17integral_constantIbLb1EES1B_EEDaS16_S17_EUlS16_E_NS1_11comp_targetILNS1_3genE3ELNS1_11target_archE908ELNS1_3gpuE7ELNS1_3repE0EEENS1_30default_config_static_selectorELNS0_4arch9wavefront6targetE0EEEvT1_.kd
    .uniform_work_group_size: 1
    .uses_dynamic_stack: false
    .vgpr_count:     0
    .vgpr_spill_count: 0
    .wavefront_size: 32
    .workgroup_processor_mode: 1
  - .args:
      - .offset:         0
        .size:           136
        .value_kind:     by_value
    .group_segment_fixed_size: 0
    .kernarg_segment_align: 8
    .kernarg_segment_size: 136
    .language:       OpenCL C
    .language_version:
      - 2
      - 0
    .max_flat_workgroup_size: 256
    .name:           _ZN7rocprim17ROCPRIM_400000_NS6detail17trampoline_kernelINS0_14default_configENS1_25partition_config_selectorILNS1_17partition_subalgoE5EdNS0_10empty_typeEbEEZZNS1_14partition_implILS5_5ELb0ES3_mN6thrust23THRUST_200600_302600_NS6detail15normal_iteratorINSA_10device_ptrIdEEEEPS6_NSA_18transform_iteratorINSB_9not_fun_tINSA_8identityIdEEEESF_NSA_11use_defaultESM_EENS0_5tupleIJSF_S6_EEENSO_IJSG_SG_EEES6_PlJS6_EEE10hipError_tPvRmT3_T4_T5_T6_T7_T9_mT8_P12ihipStream_tbDpT10_ENKUlT_T0_E_clISt17integral_constantIbLb1EES1B_EEDaS16_S17_EUlS16_E_NS1_11comp_targetILNS1_3genE2ELNS1_11target_archE906ELNS1_3gpuE6ELNS1_3repE0EEENS1_30default_config_static_selectorELNS0_4arch9wavefront6targetE0EEEvT1_
    .private_segment_fixed_size: 0
    .sgpr_count:     0
    .sgpr_spill_count: 0
    .symbol:         _ZN7rocprim17ROCPRIM_400000_NS6detail17trampoline_kernelINS0_14default_configENS1_25partition_config_selectorILNS1_17partition_subalgoE5EdNS0_10empty_typeEbEEZZNS1_14partition_implILS5_5ELb0ES3_mN6thrust23THRUST_200600_302600_NS6detail15normal_iteratorINSA_10device_ptrIdEEEEPS6_NSA_18transform_iteratorINSB_9not_fun_tINSA_8identityIdEEEESF_NSA_11use_defaultESM_EENS0_5tupleIJSF_S6_EEENSO_IJSG_SG_EEES6_PlJS6_EEE10hipError_tPvRmT3_T4_T5_T6_T7_T9_mT8_P12ihipStream_tbDpT10_ENKUlT_T0_E_clISt17integral_constantIbLb1EES1B_EEDaS16_S17_EUlS16_E_NS1_11comp_targetILNS1_3genE2ELNS1_11target_archE906ELNS1_3gpuE6ELNS1_3repE0EEENS1_30default_config_static_selectorELNS0_4arch9wavefront6targetE0EEEvT1_.kd
    .uniform_work_group_size: 1
    .uses_dynamic_stack: false
    .vgpr_count:     0
    .vgpr_spill_count: 0
    .wavefront_size: 32
    .workgroup_processor_mode: 1
  - .args:
      - .offset:         0
        .size:           136
        .value_kind:     by_value
    .group_segment_fixed_size: 0
    .kernarg_segment_align: 8
    .kernarg_segment_size: 136
    .language:       OpenCL C
    .language_version:
      - 2
      - 0
    .max_flat_workgroup_size: 256
    .name:           _ZN7rocprim17ROCPRIM_400000_NS6detail17trampoline_kernelINS0_14default_configENS1_25partition_config_selectorILNS1_17partition_subalgoE5EdNS0_10empty_typeEbEEZZNS1_14partition_implILS5_5ELb0ES3_mN6thrust23THRUST_200600_302600_NS6detail15normal_iteratorINSA_10device_ptrIdEEEEPS6_NSA_18transform_iteratorINSB_9not_fun_tINSA_8identityIdEEEESF_NSA_11use_defaultESM_EENS0_5tupleIJSF_S6_EEENSO_IJSG_SG_EEES6_PlJS6_EEE10hipError_tPvRmT3_T4_T5_T6_T7_T9_mT8_P12ihipStream_tbDpT10_ENKUlT_T0_E_clISt17integral_constantIbLb1EES1B_EEDaS16_S17_EUlS16_E_NS1_11comp_targetILNS1_3genE10ELNS1_11target_archE1200ELNS1_3gpuE4ELNS1_3repE0EEENS1_30default_config_static_selectorELNS0_4arch9wavefront6targetE0EEEvT1_
    .private_segment_fixed_size: 0
    .sgpr_count:     0
    .sgpr_spill_count: 0
    .symbol:         _ZN7rocprim17ROCPRIM_400000_NS6detail17trampoline_kernelINS0_14default_configENS1_25partition_config_selectorILNS1_17partition_subalgoE5EdNS0_10empty_typeEbEEZZNS1_14partition_implILS5_5ELb0ES3_mN6thrust23THRUST_200600_302600_NS6detail15normal_iteratorINSA_10device_ptrIdEEEEPS6_NSA_18transform_iteratorINSB_9not_fun_tINSA_8identityIdEEEESF_NSA_11use_defaultESM_EENS0_5tupleIJSF_S6_EEENSO_IJSG_SG_EEES6_PlJS6_EEE10hipError_tPvRmT3_T4_T5_T6_T7_T9_mT8_P12ihipStream_tbDpT10_ENKUlT_T0_E_clISt17integral_constantIbLb1EES1B_EEDaS16_S17_EUlS16_E_NS1_11comp_targetILNS1_3genE10ELNS1_11target_archE1200ELNS1_3gpuE4ELNS1_3repE0EEENS1_30default_config_static_selectorELNS0_4arch9wavefront6targetE0EEEvT1_.kd
    .uniform_work_group_size: 1
    .uses_dynamic_stack: false
    .vgpr_count:     0
    .vgpr_spill_count: 0
    .wavefront_size: 32
    .workgroup_processor_mode: 1
  - .args:
      - .offset:         0
        .size:           136
        .value_kind:     by_value
    .group_segment_fixed_size: 0
    .kernarg_segment_align: 8
    .kernarg_segment_size: 136
    .language:       OpenCL C
    .language_version:
      - 2
      - 0
    .max_flat_workgroup_size: 128
    .name:           _ZN7rocprim17ROCPRIM_400000_NS6detail17trampoline_kernelINS0_14default_configENS1_25partition_config_selectorILNS1_17partition_subalgoE5EdNS0_10empty_typeEbEEZZNS1_14partition_implILS5_5ELb0ES3_mN6thrust23THRUST_200600_302600_NS6detail15normal_iteratorINSA_10device_ptrIdEEEEPS6_NSA_18transform_iteratorINSB_9not_fun_tINSA_8identityIdEEEESF_NSA_11use_defaultESM_EENS0_5tupleIJSF_S6_EEENSO_IJSG_SG_EEES6_PlJS6_EEE10hipError_tPvRmT3_T4_T5_T6_T7_T9_mT8_P12ihipStream_tbDpT10_ENKUlT_T0_E_clISt17integral_constantIbLb1EES1B_EEDaS16_S17_EUlS16_E_NS1_11comp_targetILNS1_3genE9ELNS1_11target_archE1100ELNS1_3gpuE3ELNS1_3repE0EEENS1_30default_config_static_selectorELNS0_4arch9wavefront6targetE0EEEvT1_
    .private_segment_fixed_size: 0
    .sgpr_count:     0
    .sgpr_spill_count: 0
    .symbol:         _ZN7rocprim17ROCPRIM_400000_NS6detail17trampoline_kernelINS0_14default_configENS1_25partition_config_selectorILNS1_17partition_subalgoE5EdNS0_10empty_typeEbEEZZNS1_14partition_implILS5_5ELb0ES3_mN6thrust23THRUST_200600_302600_NS6detail15normal_iteratorINSA_10device_ptrIdEEEEPS6_NSA_18transform_iteratorINSB_9not_fun_tINSA_8identityIdEEEESF_NSA_11use_defaultESM_EENS0_5tupleIJSF_S6_EEENSO_IJSG_SG_EEES6_PlJS6_EEE10hipError_tPvRmT3_T4_T5_T6_T7_T9_mT8_P12ihipStream_tbDpT10_ENKUlT_T0_E_clISt17integral_constantIbLb1EES1B_EEDaS16_S17_EUlS16_E_NS1_11comp_targetILNS1_3genE9ELNS1_11target_archE1100ELNS1_3gpuE3ELNS1_3repE0EEENS1_30default_config_static_selectorELNS0_4arch9wavefront6targetE0EEEvT1_.kd
    .uniform_work_group_size: 1
    .uses_dynamic_stack: false
    .vgpr_count:     0
    .vgpr_spill_count: 0
    .wavefront_size: 32
    .workgroup_processor_mode: 1
  - .args:
      - .offset:         0
        .size:           136
        .value_kind:     by_value
    .group_segment_fixed_size: 0
    .kernarg_segment_align: 8
    .kernarg_segment_size: 136
    .language:       OpenCL C
    .language_version:
      - 2
      - 0
    .max_flat_workgroup_size: 512
    .name:           _ZN7rocprim17ROCPRIM_400000_NS6detail17trampoline_kernelINS0_14default_configENS1_25partition_config_selectorILNS1_17partition_subalgoE5EdNS0_10empty_typeEbEEZZNS1_14partition_implILS5_5ELb0ES3_mN6thrust23THRUST_200600_302600_NS6detail15normal_iteratorINSA_10device_ptrIdEEEEPS6_NSA_18transform_iteratorINSB_9not_fun_tINSA_8identityIdEEEESF_NSA_11use_defaultESM_EENS0_5tupleIJSF_S6_EEENSO_IJSG_SG_EEES6_PlJS6_EEE10hipError_tPvRmT3_T4_T5_T6_T7_T9_mT8_P12ihipStream_tbDpT10_ENKUlT_T0_E_clISt17integral_constantIbLb1EES1B_EEDaS16_S17_EUlS16_E_NS1_11comp_targetILNS1_3genE8ELNS1_11target_archE1030ELNS1_3gpuE2ELNS1_3repE0EEENS1_30default_config_static_selectorELNS0_4arch9wavefront6targetE0EEEvT1_
    .private_segment_fixed_size: 0
    .sgpr_count:     0
    .sgpr_spill_count: 0
    .symbol:         _ZN7rocprim17ROCPRIM_400000_NS6detail17trampoline_kernelINS0_14default_configENS1_25partition_config_selectorILNS1_17partition_subalgoE5EdNS0_10empty_typeEbEEZZNS1_14partition_implILS5_5ELb0ES3_mN6thrust23THRUST_200600_302600_NS6detail15normal_iteratorINSA_10device_ptrIdEEEEPS6_NSA_18transform_iteratorINSB_9not_fun_tINSA_8identityIdEEEESF_NSA_11use_defaultESM_EENS0_5tupleIJSF_S6_EEENSO_IJSG_SG_EEES6_PlJS6_EEE10hipError_tPvRmT3_T4_T5_T6_T7_T9_mT8_P12ihipStream_tbDpT10_ENKUlT_T0_E_clISt17integral_constantIbLb1EES1B_EEDaS16_S17_EUlS16_E_NS1_11comp_targetILNS1_3genE8ELNS1_11target_archE1030ELNS1_3gpuE2ELNS1_3repE0EEENS1_30default_config_static_selectorELNS0_4arch9wavefront6targetE0EEEvT1_.kd
    .uniform_work_group_size: 1
    .uses_dynamic_stack: false
    .vgpr_count:     0
    .vgpr_spill_count: 0
    .wavefront_size: 32
    .workgroup_processor_mode: 1
  - .args:
      - .offset:         0
        .size:           120
        .value_kind:     by_value
    .group_segment_fixed_size: 0
    .kernarg_segment_align: 8
    .kernarg_segment_size: 120
    .language:       OpenCL C
    .language_version:
      - 2
      - 0
    .max_flat_workgroup_size: 128
    .name:           _ZN7rocprim17ROCPRIM_400000_NS6detail17trampoline_kernelINS0_14default_configENS1_25partition_config_selectorILNS1_17partition_subalgoE5EdNS0_10empty_typeEbEEZZNS1_14partition_implILS5_5ELb0ES3_mN6thrust23THRUST_200600_302600_NS6detail15normal_iteratorINSA_10device_ptrIdEEEEPS6_NSA_18transform_iteratorINSB_9not_fun_tINSA_8identityIdEEEESF_NSA_11use_defaultESM_EENS0_5tupleIJSF_S6_EEENSO_IJSG_SG_EEES6_PlJS6_EEE10hipError_tPvRmT3_T4_T5_T6_T7_T9_mT8_P12ihipStream_tbDpT10_ENKUlT_T0_E_clISt17integral_constantIbLb1EES1A_IbLb0EEEEDaS16_S17_EUlS16_E_NS1_11comp_targetILNS1_3genE0ELNS1_11target_archE4294967295ELNS1_3gpuE0ELNS1_3repE0EEENS1_30default_config_static_selectorELNS0_4arch9wavefront6targetE0EEEvT1_
    .private_segment_fixed_size: 0
    .sgpr_count:     0
    .sgpr_spill_count: 0
    .symbol:         _ZN7rocprim17ROCPRIM_400000_NS6detail17trampoline_kernelINS0_14default_configENS1_25partition_config_selectorILNS1_17partition_subalgoE5EdNS0_10empty_typeEbEEZZNS1_14partition_implILS5_5ELb0ES3_mN6thrust23THRUST_200600_302600_NS6detail15normal_iteratorINSA_10device_ptrIdEEEEPS6_NSA_18transform_iteratorINSB_9not_fun_tINSA_8identityIdEEEESF_NSA_11use_defaultESM_EENS0_5tupleIJSF_S6_EEENSO_IJSG_SG_EEES6_PlJS6_EEE10hipError_tPvRmT3_T4_T5_T6_T7_T9_mT8_P12ihipStream_tbDpT10_ENKUlT_T0_E_clISt17integral_constantIbLb1EES1A_IbLb0EEEEDaS16_S17_EUlS16_E_NS1_11comp_targetILNS1_3genE0ELNS1_11target_archE4294967295ELNS1_3gpuE0ELNS1_3repE0EEENS1_30default_config_static_selectorELNS0_4arch9wavefront6targetE0EEEvT1_.kd
    .uniform_work_group_size: 1
    .uses_dynamic_stack: false
    .vgpr_count:     0
    .vgpr_spill_count: 0
    .wavefront_size: 32
    .workgroup_processor_mode: 1
  - .args:
      - .offset:         0
        .size:           120
        .value_kind:     by_value
    .group_segment_fixed_size: 0
    .kernarg_segment_align: 8
    .kernarg_segment_size: 120
    .language:       OpenCL C
    .language_version:
      - 2
      - 0
    .max_flat_workgroup_size: 512
    .name:           _ZN7rocprim17ROCPRIM_400000_NS6detail17trampoline_kernelINS0_14default_configENS1_25partition_config_selectorILNS1_17partition_subalgoE5EdNS0_10empty_typeEbEEZZNS1_14partition_implILS5_5ELb0ES3_mN6thrust23THRUST_200600_302600_NS6detail15normal_iteratorINSA_10device_ptrIdEEEEPS6_NSA_18transform_iteratorINSB_9not_fun_tINSA_8identityIdEEEESF_NSA_11use_defaultESM_EENS0_5tupleIJSF_S6_EEENSO_IJSG_SG_EEES6_PlJS6_EEE10hipError_tPvRmT3_T4_T5_T6_T7_T9_mT8_P12ihipStream_tbDpT10_ENKUlT_T0_E_clISt17integral_constantIbLb1EES1A_IbLb0EEEEDaS16_S17_EUlS16_E_NS1_11comp_targetILNS1_3genE5ELNS1_11target_archE942ELNS1_3gpuE9ELNS1_3repE0EEENS1_30default_config_static_selectorELNS0_4arch9wavefront6targetE0EEEvT1_
    .private_segment_fixed_size: 0
    .sgpr_count:     0
    .sgpr_spill_count: 0
    .symbol:         _ZN7rocprim17ROCPRIM_400000_NS6detail17trampoline_kernelINS0_14default_configENS1_25partition_config_selectorILNS1_17partition_subalgoE5EdNS0_10empty_typeEbEEZZNS1_14partition_implILS5_5ELb0ES3_mN6thrust23THRUST_200600_302600_NS6detail15normal_iteratorINSA_10device_ptrIdEEEEPS6_NSA_18transform_iteratorINSB_9not_fun_tINSA_8identityIdEEEESF_NSA_11use_defaultESM_EENS0_5tupleIJSF_S6_EEENSO_IJSG_SG_EEES6_PlJS6_EEE10hipError_tPvRmT3_T4_T5_T6_T7_T9_mT8_P12ihipStream_tbDpT10_ENKUlT_T0_E_clISt17integral_constantIbLb1EES1A_IbLb0EEEEDaS16_S17_EUlS16_E_NS1_11comp_targetILNS1_3genE5ELNS1_11target_archE942ELNS1_3gpuE9ELNS1_3repE0EEENS1_30default_config_static_selectorELNS0_4arch9wavefront6targetE0EEEvT1_.kd
    .uniform_work_group_size: 1
    .uses_dynamic_stack: false
    .vgpr_count:     0
    .vgpr_spill_count: 0
    .wavefront_size: 32
    .workgroup_processor_mode: 1
  - .args:
      - .offset:         0
        .size:           120
        .value_kind:     by_value
    .group_segment_fixed_size: 0
    .kernarg_segment_align: 8
    .kernarg_segment_size: 120
    .language:       OpenCL C
    .language_version:
      - 2
      - 0
    .max_flat_workgroup_size: 192
    .name:           _ZN7rocprim17ROCPRIM_400000_NS6detail17trampoline_kernelINS0_14default_configENS1_25partition_config_selectorILNS1_17partition_subalgoE5EdNS0_10empty_typeEbEEZZNS1_14partition_implILS5_5ELb0ES3_mN6thrust23THRUST_200600_302600_NS6detail15normal_iteratorINSA_10device_ptrIdEEEEPS6_NSA_18transform_iteratorINSB_9not_fun_tINSA_8identityIdEEEESF_NSA_11use_defaultESM_EENS0_5tupleIJSF_S6_EEENSO_IJSG_SG_EEES6_PlJS6_EEE10hipError_tPvRmT3_T4_T5_T6_T7_T9_mT8_P12ihipStream_tbDpT10_ENKUlT_T0_E_clISt17integral_constantIbLb1EES1A_IbLb0EEEEDaS16_S17_EUlS16_E_NS1_11comp_targetILNS1_3genE4ELNS1_11target_archE910ELNS1_3gpuE8ELNS1_3repE0EEENS1_30default_config_static_selectorELNS0_4arch9wavefront6targetE0EEEvT1_
    .private_segment_fixed_size: 0
    .sgpr_count:     0
    .sgpr_spill_count: 0
    .symbol:         _ZN7rocprim17ROCPRIM_400000_NS6detail17trampoline_kernelINS0_14default_configENS1_25partition_config_selectorILNS1_17partition_subalgoE5EdNS0_10empty_typeEbEEZZNS1_14partition_implILS5_5ELb0ES3_mN6thrust23THRUST_200600_302600_NS6detail15normal_iteratorINSA_10device_ptrIdEEEEPS6_NSA_18transform_iteratorINSB_9not_fun_tINSA_8identityIdEEEESF_NSA_11use_defaultESM_EENS0_5tupleIJSF_S6_EEENSO_IJSG_SG_EEES6_PlJS6_EEE10hipError_tPvRmT3_T4_T5_T6_T7_T9_mT8_P12ihipStream_tbDpT10_ENKUlT_T0_E_clISt17integral_constantIbLb1EES1A_IbLb0EEEEDaS16_S17_EUlS16_E_NS1_11comp_targetILNS1_3genE4ELNS1_11target_archE910ELNS1_3gpuE8ELNS1_3repE0EEENS1_30default_config_static_selectorELNS0_4arch9wavefront6targetE0EEEvT1_.kd
    .uniform_work_group_size: 1
    .uses_dynamic_stack: false
    .vgpr_count:     0
    .vgpr_spill_count: 0
    .wavefront_size: 32
    .workgroup_processor_mode: 1
  - .args:
      - .offset:         0
        .size:           120
        .value_kind:     by_value
    .group_segment_fixed_size: 0
    .kernarg_segment_align: 8
    .kernarg_segment_size: 120
    .language:       OpenCL C
    .language_version:
      - 2
      - 0
    .max_flat_workgroup_size: 128
    .name:           _ZN7rocprim17ROCPRIM_400000_NS6detail17trampoline_kernelINS0_14default_configENS1_25partition_config_selectorILNS1_17partition_subalgoE5EdNS0_10empty_typeEbEEZZNS1_14partition_implILS5_5ELb0ES3_mN6thrust23THRUST_200600_302600_NS6detail15normal_iteratorINSA_10device_ptrIdEEEEPS6_NSA_18transform_iteratorINSB_9not_fun_tINSA_8identityIdEEEESF_NSA_11use_defaultESM_EENS0_5tupleIJSF_S6_EEENSO_IJSG_SG_EEES6_PlJS6_EEE10hipError_tPvRmT3_T4_T5_T6_T7_T9_mT8_P12ihipStream_tbDpT10_ENKUlT_T0_E_clISt17integral_constantIbLb1EES1A_IbLb0EEEEDaS16_S17_EUlS16_E_NS1_11comp_targetILNS1_3genE3ELNS1_11target_archE908ELNS1_3gpuE7ELNS1_3repE0EEENS1_30default_config_static_selectorELNS0_4arch9wavefront6targetE0EEEvT1_
    .private_segment_fixed_size: 0
    .sgpr_count:     0
    .sgpr_spill_count: 0
    .symbol:         _ZN7rocprim17ROCPRIM_400000_NS6detail17trampoline_kernelINS0_14default_configENS1_25partition_config_selectorILNS1_17partition_subalgoE5EdNS0_10empty_typeEbEEZZNS1_14partition_implILS5_5ELb0ES3_mN6thrust23THRUST_200600_302600_NS6detail15normal_iteratorINSA_10device_ptrIdEEEEPS6_NSA_18transform_iteratorINSB_9not_fun_tINSA_8identityIdEEEESF_NSA_11use_defaultESM_EENS0_5tupleIJSF_S6_EEENSO_IJSG_SG_EEES6_PlJS6_EEE10hipError_tPvRmT3_T4_T5_T6_T7_T9_mT8_P12ihipStream_tbDpT10_ENKUlT_T0_E_clISt17integral_constantIbLb1EES1A_IbLb0EEEEDaS16_S17_EUlS16_E_NS1_11comp_targetILNS1_3genE3ELNS1_11target_archE908ELNS1_3gpuE7ELNS1_3repE0EEENS1_30default_config_static_selectorELNS0_4arch9wavefront6targetE0EEEvT1_.kd
    .uniform_work_group_size: 1
    .uses_dynamic_stack: false
    .vgpr_count:     0
    .vgpr_spill_count: 0
    .wavefront_size: 32
    .workgroup_processor_mode: 1
  - .args:
      - .offset:         0
        .size:           120
        .value_kind:     by_value
    .group_segment_fixed_size: 0
    .kernarg_segment_align: 8
    .kernarg_segment_size: 120
    .language:       OpenCL C
    .language_version:
      - 2
      - 0
    .max_flat_workgroup_size: 256
    .name:           _ZN7rocprim17ROCPRIM_400000_NS6detail17trampoline_kernelINS0_14default_configENS1_25partition_config_selectorILNS1_17partition_subalgoE5EdNS0_10empty_typeEbEEZZNS1_14partition_implILS5_5ELb0ES3_mN6thrust23THRUST_200600_302600_NS6detail15normal_iteratorINSA_10device_ptrIdEEEEPS6_NSA_18transform_iteratorINSB_9not_fun_tINSA_8identityIdEEEESF_NSA_11use_defaultESM_EENS0_5tupleIJSF_S6_EEENSO_IJSG_SG_EEES6_PlJS6_EEE10hipError_tPvRmT3_T4_T5_T6_T7_T9_mT8_P12ihipStream_tbDpT10_ENKUlT_T0_E_clISt17integral_constantIbLb1EES1A_IbLb0EEEEDaS16_S17_EUlS16_E_NS1_11comp_targetILNS1_3genE2ELNS1_11target_archE906ELNS1_3gpuE6ELNS1_3repE0EEENS1_30default_config_static_selectorELNS0_4arch9wavefront6targetE0EEEvT1_
    .private_segment_fixed_size: 0
    .sgpr_count:     0
    .sgpr_spill_count: 0
    .symbol:         _ZN7rocprim17ROCPRIM_400000_NS6detail17trampoline_kernelINS0_14default_configENS1_25partition_config_selectorILNS1_17partition_subalgoE5EdNS0_10empty_typeEbEEZZNS1_14partition_implILS5_5ELb0ES3_mN6thrust23THRUST_200600_302600_NS6detail15normal_iteratorINSA_10device_ptrIdEEEEPS6_NSA_18transform_iteratorINSB_9not_fun_tINSA_8identityIdEEEESF_NSA_11use_defaultESM_EENS0_5tupleIJSF_S6_EEENSO_IJSG_SG_EEES6_PlJS6_EEE10hipError_tPvRmT3_T4_T5_T6_T7_T9_mT8_P12ihipStream_tbDpT10_ENKUlT_T0_E_clISt17integral_constantIbLb1EES1A_IbLb0EEEEDaS16_S17_EUlS16_E_NS1_11comp_targetILNS1_3genE2ELNS1_11target_archE906ELNS1_3gpuE6ELNS1_3repE0EEENS1_30default_config_static_selectorELNS0_4arch9wavefront6targetE0EEEvT1_.kd
    .uniform_work_group_size: 1
    .uses_dynamic_stack: false
    .vgpr_count:     0
    .vgpr_spill_count: 0
    .wavefront_size: 32
    .workgroup_processor_mode: 1
  - .args:
      - .offset:         0
        .size:           120
        .value_kind:     by_value
    .group_segment_fixed_size: 0
    .kernarg_segment_align: 8
    .kernarg_segment_size: 120
    .language:       OpenCL C
    .language_version:
      - 2
      - 0
    .max_flat_workgroup_size: 256
    .name:           _ZN7rocprim17ROCPRIM_400000_NS6detail17trampoline_kernelINS0_14default_configENS1_25partition_config_selectorILNS1_17partition_subalgoE5EdNS0_10empty_typeEbEEZZNS1_14partition_implILS5_5ELb0ES3_mN6thrust23THRUST_200600_302600_NS6detail15normal_iteratorINSA_10device_ptrIdEEEEPS6_NSA_18transform_iteratorINSB_9not_fun_tINSA_8identityIdEEEESF_NSA_11use_defaultESM_EENS0_5tupleIJSF_S6_EEENSO_IJSG_SG_EEES6_PlJS6_EEE10hipError_tPvRmT3_T4_T5_T6_T7_T9_mT8_P12ihipStream_tbDpT10_ENKUlT_T0_E_clISt17integral_constantIbLb1EES1A_IbLb0EEEEDaS16_S17_EUlS16_E_NS1_11comp_targetILNS1_3genE10ELNS1_11target_archE1200ELNS1_3gpuE4ELNS1_3repE0EEENS1_30default_config_static_selectorELNS0_4arch9wavefront6targetE0EEEvT1_
    .private_segment_fixed_size: 0
    .sgpr_count:     0
    .sgpr_spill_count: 0
    .symbol:         _ZN7rocprim17ROCPRIM_400000_NS6detail17trampoline_kernelINS0_14default_configENS1_25partition_config_selectorILNS1_17partition_subalgoE5EdNS0_10empty_typeEbEEZZNS1_14partition_implILS5_5ELb0ES3_mN6thrust23THRUST_200600_302600_NS6detail15normal_iteratorINSA_10device_ptrIdEEEEPS6_NSA_18transform_iteratorINSB_9not_fun_tINSA_8identityIdEEEESF_NSA_11use_defaultESM_EENS0_5tupleIJSF_S6_EEENSO_IJSG_SG_EEES6_PlJS6_EEE10hipError_tPvRmT3_T4_T5_T6_T7_T9_mT8_P12ihipStream_tbDpT10_ENKUlT_T0_E_clISt17integral_constantIbLb1EES1A_IbLb0EEEEDaS16_S17_EUlS16_E_NS1_11comp_targetILNS1_3genE10ELNS1_11target_archE1200ELNS1_3gpuE4ELNS1_3repE0EEENS1_30default_config_static_selectorELNS0_4arch9wavefront6targetE0EEEvT1_.kd
    .uniform_work_group_size: 1
    .uses_dynamic_stack: false
    .vgpr_count:     0
    .vgpr_spill_count: 0
    .wavefront_size: 32
    .workgroup_processor_mode: 1
  - .args:
      - .offset:         0
        .size:           120
        .value_kind:     by_value
    .group_segment_fixed_size: 0
    .kernarg_segment_align: 8
    .kernarg_segment_size: 120
    .language:       OpenCL C
    .language_version:
      - 2
      - 0
    .max_flat_workgroup_size: 128
    .name:           _ZN7rocprim17ROCPRIM_400000_NS6detail17trampoline_kernelINS0_14default_configENS1_25partition_config_selectorILNS1_17partition_subalgoE5EdNS0_10empty_typeEbEEZZNS1_14partition_implILS5_5ELb0ES3_mN6thrust23THRUST_200600_302600_NS6detail15normal_iteratorINSA_10device_ptrIdEEEEPS6_NSA_18transform_iteratorINSB_9not_fun_tINSA_8identityIdEEEESF_NSA_11use_defaultESM_EENS0_5tupleIJSF_S6_EEENSO_IJSG_SG_EEES6_PlJS6_EEE10hipError_tPvRmT3_T4_T5_T6_T7_T9_mT8_P12ihipStream_tbDpT10_ENKUlT_T0_E_clISt17integral_constantIbLb1EES1A_IbLb0EEEEDaS16_S17_EUlS16_E_NS1_11comp_targetILNS1_3genE9ELNS1_11target_archE1100ELNS1_3gpuE3ELNS1_3repE0EEENS1_30default_config_static_selectorELNS0_4arch9wavefront6targetE0EEEvT1_
    .private_segment_fixed_size: 0
    .sgpr_count:     0
    .sgpr_spill_count: 0
    .symbol:         _ZN7rocprim17ROCPRIM_400000_NS6detail17trampoline_kernelINS0_14default_configENS1_25partition_config_selectorILNS1_17partition_subalgoE5EdNS0_10empty_typeEbEEZZNS1_14partition_implILS5_5ELb0ES3_mN6thrust23THRUST_200600_302600_NS6detail15normal_iteratorINSA_10device_ptrIdEEEEPS6_NSA_18transform_iteratorINSB_9not_fun_tINSA_8identityIdEEEESF_NSA_11use_defaultESM_EENS0_5tupleIJSF_S6_EEENSO_IJSG_SG_EEES6_PlJS6_EEE10hipError_tPvRmT3_T4_T5_T6_T7_T9_mT8_P12ihipStream_tbDpT10_ENKUlT_T0_E_clISt17integral_constantIbLb1EES1A_IbLb0EEEEDaS16_S17_EUlS16_E_NS1_11comp_targetILNS1_3genE9ELNS1_11target_archE1100ELNS1_3gpuE3ELNS1_3repE0EEENS1_30default_config_static_selectorELNS0_4arch9wavefront6targetE0EEEvT1_.kd
    .uniform_work_group_size: 1
    .uses_dynamic_stack: false
    .vgpr_count:     0
    .vgpr_spill_count: 0
    .wavefront_size: 32
    .workgroup_processor_mode: 1
  - .args:
      - .offset:         0
        .size:           120
        .value_kind:     by_value
    .group_segment_fixed_size: 0
    .kernarg_segment_align: 8
    .kernarg_segment_size: 120
    .language:       OpenCL C
    .language_version:
      - 2
      - 0
    .max_flat_workgroup_size: 512
    .name:           _ZN7rocprim17ROCPRIM_400000_NS6detail17trampoline_kernelINS0_14default_configENS1_25partition_config_selectorILNS1_17partition_subalgoE5EdNS0_10empty_typeEbEEZZNS1_14partition_implILS5_5ELb0ES3_mN6thrust23THRUST_200600_302600_NS6detail15normal_iteratorINSA_10device_ptrIdEEEEPS6_NSA_18transform_iteratorINSB_9not_fun_tINSA_8identityIdEEEESF_NSA_11use_defaultESM_EENS0_5tupleIJSF_S6_EEENSO_IJSG_SG_EEES6_PlJS6_EEE10hipError_tPvRmT3_T4_T5_T6_T7_T9_mT8_P12ihipStream_tbDpT10_ENKUlT_T0_E_clISt17integral_constantIbLb1EES1A_IbLb0EEEEDaS16_S17_EUlS16_E_NS1_11comp_targetILNS1_3genE8ELNS1_11target_archE1030ELNS1_3gpuE2ELNS1_3repE0EEENS1_30default_config_static_selectorELNS0_4arch9wavefront6targetE0EEEvT1_
    .private_segment_fixed_size: 0
    .sgpr_count:     0
    .sgpr_spill_count: 0
    .symbol:         _ZN7rocprim17ROCPRIM_400000_NS6detail17trampoline_kernelINS0_14default_configENS1_25partition_config_selectorILNS1_17partition_subalgoE5EdNS0_10empty_typeEbEEZZNS1_14partition_implILS5_5ELb0ES3_mN6thrust23THRUST_200600_302600_NS6detail15normal_iteratorINSA_10device_ptrIdEEEEPS6_NSA_18transform_iteratorINSB_9not_fun_tINSA_8identityIdEEEESF_NSA_11use_defaultESM_EENS0_5tupleIJSF_S6_EEENSO_IJSG_SG_EEES6_PlJS6_EEE10hipError_tPvRmT3_T4_T5_T6_T7_T9_mT8_P12ihipStream_tbDpT10_ENKUlT_T0_E_clISt17integral_constantIbLb1EES1A_IbLb0EEEEDaS16_S17_EUlS16_E_NS1_11comp_targetILNS1_3genE8ELNS1_11target_archE1030ELNS1_3gpuE2ELNS1_3repE0EEENS1_30default_config_static_selectorELNS0_4arch9wavefront6targetE0EEEvT1_.kd
    .uniform_work_group_size: 1
    .uses_dynamic_stack: false
    .vgpr_count:     0
    .vgpr_spill_count: 0
    .wavefront_size: 32
    .workgroup_processor_mode: 1
  - .args:
      - .offset:         0
        .size:           136
        .value_kind:     by_value
    .group_segment_fixed_size: 0
    .kernarg_segment_align: 8
    .kernarg_segment_size: 136
    .language:       OpenCL C
    .language_version:
      - 2
      - 0
    .max_flat_workgroup_size: 128
    .name:           _ZN7rocprim17ROCPRIM_400000_NS6detail17trampoline_kernelINS0_14default_configENS1_25partition_config_selectorILNS1_17partition_subalgoE5EdNS0_10empty_typeEbEEZZNS1_14partition_implILS5_5ELb0ES3_mN6thrust23THRUST_200600_302600_NS6detail15normal_iteratorINSA_10device_ptrIdEEEEPS6_NSA_18transform_iteratorINSB_9not_fun_tINSA_8identityIdEEEESF_NSA_11use_defaultESM_EENS0_5tupleIJSF_S6_EEENSO_IJSG_SG_EEES6_PlJS6_EEE10hipError_tPvRmT3_T4_T5_T6_T7_T9_mT8_P12ihipStream_tbDpT10_ENKUlT_T0_E_clISt17integral_constantIbLb0EES1A_IbLb1EEEEDaS16_S17_EUlS16_E_NS1_11comp_targetILNS1_3genE0ELNS1_11target_archE4294967295ELNS1_3gpuE0ELNS1_3repE0EEENS1_30default_config_static_selectorELNS0_4arch9wavefront6targetE0EEEvT1_
    .private_segment_fixed_size: 0
    .sgpr_count:     0
    .sgpr_spill_count: 0
    .symbol:         _ZN7rocprim17ROCPRIM_400000_NS6detail17trampoline_kernelINS0_14default_configENS1_25partition_config_selectorILNS1_17partition_subalgoE5EdNS0_10empty_typeEbEEZZNS1_14partition_implILS5_5ELb0ES3_mN6thrust23THRUST_200600_302600_NS6detail15normal_iteratorINSA_10device_ptrIdEEEEPS6_NSA_18transform_iteratorINSB_9not_fun_tINSA_8identityIdEEEESF_NSA_11use_defaultESM_EENS0_5tupleIJSF_S6_EEENSO_IJSG_SG_EEES6_PlJS6_EEE10hipError_tPvRmT3_T4_T5_T6_T7_T9_mT8_P12ihipStream_tbDpT10_ENKUlT_T0_E_clISt17integral_constantIbLb0EES1A_IbLb1EEEEDaS16_S17_EUlS16_E_NS1_11comp_targetILNS1_3genE0ELNS1_11target_archE4294967295ELNS1_3gpuE0ELNS1_3repE0EEENS1_30default_config_static_selectorELNS0_4arch9wavefront6targetE0EEEvT1_.kd
    .uniform_work_group_size: 1
    .uses_dynamic_stack: false
    .vgpr_count:     0
    .vgpr_spill_count: 0
    .wavefront_size: 32
    .workgroup_processor_mode: 1
  - .args:
      - .offset:         0
        .size:           136
        .value_kind:     by_value
    .group_segment_fixed_size: 0
    .kernarg_segment_align: 8
    .kernarg_segment_size: 136
    .language:       OpenCL C
    .language_version:
      - 2
      - 0
    .max_flat_workgroup_size: 512
    .name:           _ZN7rocprim17ROCPRIM_400000_NS6detail17trampoline_kernelINS0_14default_configENS1_25partition_config_selectorILNS1_17partition_subalgoE5EdNS0_10empty_typeEbEEZZNS1_14partition_implILS5_5ELb0ES3_mN6thrust23THRUST_200600_302600_NS6detail15normal_iteratorINSA_10device_ptrIdEEEEPS6_NSA_18transform_iteratorINSB_9not_fun_tINSA_8identityIdEEEESF_NSA_11use_defaultESM_EENS0_5tupleIJSF_S6_EEENSO_IJSG_SG_EEES6_PlJS6_EEE10hipError_tPvRmT3_T4_T5_T6_T7_T9_mT8_P12ihipStream_tbDpT10_ENKUlT_T0_E_clISt17integral_constantIbLb0EES1A_IbLb1EEEEDaS16_S17_EUlS16_E_NS1_11comp_targetILNS1_3genE5ELNS1_11target_archE942ELNS1_3gpuE9ELNS1_3repE0EEENS1_30default_config_static_selectorELNS0_4arch9wavefront6targetE0EEEvT1_
    .private_segment_fixed_size: 0
    .sgpr_count:     0
    .sgpr_spill_count: 0
    .symbol:         _ZN7rocprim17ROCPRIM_400000_NS6detail17trampoline_kernelINS0_14default_configENS1_25partition_config_selectorILNS1_17partition_subalgoE5EdNS0_10empty_typeEbEEZZNS1_14partition_implILS5_5ELb0ES3_mN6thrust23THRUST_200600_302600_NS6detail15normal_iteratorINSA_10device_ptrIdEEEEPS6_NSA_18transform_iteratorINSB_9not_fun_tINSA_8identityIdEEEESF_NSA_11use_defaultESM_EENS0_5tupleIJSF_S6_EEENSO_IJSG_SG_EEES6_PlJS6_EEE10hipError_tPvRmT3_T4_T5_T6_T7_T9_mT8_P12ihipStream_tbDpT10_ENKUlT_T0_E_clISt17integral_constantIbLb0EES1A_IbLb1EEEEDaS16_S17_EUlS16_E_NS1_11comp_targetILNS1_3genE5ELNS1_11target_archE942ELNS1_3gpuE9ELNS1_3repE0EEENS1_30default_config_static_selectorELNS0_4arch9wavefront6targetE0EEEvT1_.kd
    .uniform_work_group_size: 1
    .uses_dynamic_stack: false
    .vgpr_count:     0
    .vgpr_spill_count: 0
    .wavefront_size: 32
    .workgroup_processor_mode: 1
  - .args:
      - .offset:         0
        .size:           136
        .value_kind:     by_value
    .group_segment_fixed_size: 0
    .kernarg_segment_align: 8
    .kernarg_segment_size: 136
    .language:       OpenCL C
    .language_version:
      - 2
      - 0
    .max_flat_workgroup_size: 192
    .name:           _ZN7rocprim17ROCPRIM_400000_NS6detail17trampoline_kernelINS0_14default_configENS1_25partition_config_selectorILNS1_17partition_subalgoE5EdNS0_10empty_typeEbEEZZNS1_14partition_implILS5_5ELb0ES3_mN6thrust23THRUST_200600_302600_NS6detail15normal_iteratorINSA_10device_ptrIdEEEEPS6_NSA_18transform_iteratorINSB_9not_fun_tINSA_8identityIdEEEESF_NSA_11use_defaultESM_EENS0_5tupleIJSF_S6_EEENSO_IJSG_SG_EEES6_PlJS6_EEE10hipError_tPvRmT3_T4_T5_T6_T7_T9_mT8_P12ihipStream_tbDpT10_ENKUlT_T0_E_clISt17integral_constantIbLb0EES1A_IbLb1EEEEDaS16_S17_EUlS16_E_NS1_11comp_targetILNS1_3genE4ELNS1_11target_archE910ELNS1_3gpuE8ELNS1_3repE0EEENS1_30default_config_static_selectorELNS0_4arch9wavefront6targetE0EEEvT1_
    .private_segment_fixed_size: 0
    .sgpr_count:     0
    .sgpr_spill_count: 0
    .symbol:         _ZN7rocprim17ROCPRIM_400000_NS6detail17trampoline_kernelINS0_14default_configENS1_25partition_config_selectorILNS1_17partition_subalgoE5EdNS0_10empty_typeEbEEZZNS1_14partition_implILS5_5ELb0ES3_mN6thrust23THRUST_200600_302600_NS6detail15normal_iteratorINSA_10device_ptrIdEEEEPS6_NSA_18transform_iteratorINSB_9not_fun_tINSA_8identityIdEEEESF_NSA_11use_defaultESM_EENS0_5tupleIJSF_S6_EEENSO_IJSG_SG_EEES6_PlJS6_EEE10hipError_tPvRmT3_T4_T5_T6_T7_T9_mT8_P12ihipStream_tbDpT10_ENKUlT_T0_E_clISt17integral_constantIbLb0EES1A_IbLb1EEEEDaS16_S17_EUlS16_E_NS1_11comp_targetILNS1_3genE4ELNS1_11target_archE910ELNS1_3gpuE8ELNS1_3repE0EEENS1_30default_config_static_selectorELNS0_4arch9wavefront6targetE0EEEvT1_.kd
    .uniform_work_group_size: 1
    .uses_dynamic_stack: false
    .vgpr_count:     0
    .vgpr_spill_count: 0
    .wavefront_size: 32
    .workgroup_processor_mode: 1
  - .args:
      - .offset:         0
        .size:           136
        .value_kind:     by_value
    .group_segment_fixed_size: 0
    .kernarg_segment_align: 8
    .kernarg_segment_size: 136
    .language:       OpenCL C
    .language_version:
      - 2
      - 0
    .max_flat_workgroup_size: 128
    .name:           _ZN7rocprim17ROCPRIM_400000_NS6detail17trampoline_kernelINS0_14default_configENS1_25partition_config_selectorILNS1_17partition_subalgoE5EdNS0_10empty_typeEbEEZZNS1_14partition_implILS5_5ELb0ES3_mN6thrust23THRUST_200600_302600_NS6detail15normal_iteratorINSA_10device_ptrIdEEEEPS6_NSA_18transform_iteratorINSB_9not_fun_tINSA_8identityIdEEEESF_NSA_11use_defaultESM_EENS0_5tupleIJSF_S6_EEENSO_IJSG_SG_EEES6_PlJS6_EEE10hipError_tPvRmT3_T4_T5_T6_T7_T9_mT8_P12ihipStream_tbDpT10_ENKUlT_T0_E_clISt17integral_constantIbLb0EES1A_IbLb1EEEEDaS16_S17_EUlS16_E_NS1_11comp_targetILNS1_3genE3ELNS1_11target_archE908ELNS1_3gpuE7ELNS1_3repE0EEENS1_30default_config_static_selectorELNS0_4arch9wavefront6targetE0EEEvT1_
    .private_segment_fixed_size: 0
    .sgpr_count:     0
    .sgpr_spill_count: 0
    .symbol:         _ZN7rocprim17ROCPRIM_400000_NS6detail17trampoline_kernelINS0_14default_configENS1_25partition_config_selectorILNS1_17partition_subalgoE5EdNS0_10empty_typeEbEEZZNS1_14partition_implILS5_5ELb0ES3_mN6thrust23THRUST_200600_302600_NS6detail15normal_iteratorINSA_10device_ptrIdEEEEPS6_NSA_18transform_iteratorINSB_9not_fun_tINSA_8identityIdEEEESF_NSA_11use_defaultESM_EENS0_5tupleIJSF_S6_EEENSO_IJSG_SG_EEES6_PlJS6_EEE10hipError_tPvRmT3_T4_T5_T6_T7_T9_mT8_P12ihipStream_tbDpT10_ENKUlT_T0_E_clISt17integral_constantIbLb0EES1A_IbLb1EEEEDaS16_S17_EUlS16_E_NS1_11comp_targetILNS1_3genE3ELNS1_11target_archE908ELNS1_3gpuE7ELNS1_3repE0EEENS1_30default_config_static_selectorELNS0_4arch9wavefront6targetE0EEEvT1_.kd
    .uniform_work_group_size: 1
    .uses_dynamic_stack: false
    .vgpr_count:     0
    .vgpr_spill_count: 0
    .wavefront_size: 32
    .workgroup_processor_mode: 1
  - .args:
      - .offset:         0
        .size:           136
        .value_kind:     by_value
    .group_segment_fixed_size: 0
    .kernarg_segment_align: 8
    .kernarg_segment_size: 136
    .language:       OpenCL C
    .language_version:
      - 2
      - 0
    .max_flat_workgroup_size: 256
    .name:           _ZN7rocprim17ROCPRIM_400000_NS6detail17trampoline_kernelINS0_14default_configENS1_25partition_config_selectorILNS1_17partition_subalgoE5EdNS0_10empty_typeEbEEZZNS1_14partition_implILS5_5ELb0ES3_mN6thrust23THRUST_200600_302600_NS6detail15normal_iteratorINSA_10device_ptrIdEEEEPS6_NSA_18transform_iteratorINSB_9not_fun_tINSA_8identityIdEEEESF_NSA_11use_defaultESM_EENS0_5tupleIJSF_S6_EEENSO_IJSG_SG_EEES6_PlJS6_EEE10hipError_tPvRmT3_T4_T5_T6_T7_T9_mT8_P12ihipStream_tbDpT10_ENKUlT_T0_E_clISt17integral_constantIbLb0EES1A_IbLb1EEEEDaS16_S17_EUlS16_E_NS1_11comp_targetILNS1_3genE2ELNS1_11target_archE906ELNS1_3gpuE6ELNS1_3repE0EEENS1_30default_config_static_selectorELNS0_4arch9wavefront6targetE0EEEvT1_
    .private_segment_fixed_size: 0
    .sgpr_count:     0
    .sgpr_spill_count: 0
    .symbol:         _ZN7rocprim17ROCPRIM_400000_NS6detail17trampoline_kernelINS0_14default_configENS1_25partition_config_selectorILNS1_17partition_subalgoE5EdNS0_10empty_typeEbEEZZNS1_14partition_implILS5_5ELb0ES3_mN6thrust23THRUST_200600_302600_NS6detail15normal_iteratorINSA_10device_ptrIdEEEEPS6_NSA_18transform_iteratorINSB_9not_fun_tINSA_8identityIdEEEESF_NSA_11use_defaultESM_EENS0_5tupleIJSF_S6_EEENSO_IJSG_SG_EEES6_PlJS6_EEE10hipError_tPvRmT3_T4_T5_T6_T7_T9_mT8_P12ihipStream_tbDpT10_ENKUlT_T0_E_clISt17integral_constantIbLb0EES1A_IbLb1EEEEDaS16_S17_EUlS16_E_NS1_11comp_targetILNS1_3genE2ELNS1_11target_archE906ELNS1_3gpuE6ELNS1_3repE0EEENS1_30default_config_static_selectorELNS0_4arch9wavefront6targetE0EEEvT1_.kd
    .uniform_work_group_size: 1
    .uses_dynamic_stack: false
    .vgpr_count:     0
    .vgpr_spill_count: 0
    .wavefront_size: 32
    .workgroup_processor_mode: 1
  - .args:
      - .offset:         0
        .size:           136
        .value_kind:     by_value
    .group_segment_fixed_size: 10256
    .kernarg_segment_align: 8
    .kernarg_segment_size: 136
    .language:       OpenCL C
    .language_version:
      - 2
      - 0
    .max_flat_workgroup_size: 256
    .name:           _ZN7rocprim17ROCPRIM_400000_NS6detail17trampoline_kernelINS0_14default_configENS1_25partition_config_selectorILNS1_17partition_subalgoE5EdNS0_10empty_typeEbEEZZNS1_14partition_implILS5_5ELb0ES3_mN6thrust23THRUST_200600_302600_NS6detail15normal_iteratorINSA_10device_ptrIdEEEEPS6_NSA_18transform_iteratorINSB_9not_fun_tINSA_8identityIdEEEESF_NSA_11use_defaultESM_EENS0_5tupleIJSF_S6_EEENSO_IJSG_SG_EEES6_PlJS6_EEE10hipError_tPvRmT3_T4_T5_T6_T7_T9_mT8_P12ihipStream_tbDpT10_ENKUlT_T0_E_clISt17integral_constantIbLb0EES1A_IbLb1EEEEDaS16_S17_EUlS16_E_NS1_11comp_targetILNS1_3genE10ELNS1_11target_archE1200ELNS1_3gpuE4ELNS1_3repE0EEENS1_30default_config_static_selectorELNS0_4arch9wavefront6targetE0EEEvT1_
    .private_segment_fixed_size: 0
    .sgpr_count:     26
    .sgpr_spill_count: 0
    .symbol:         _ZN7rocprim17ROCPRIM_400000_NS6detail17trampoline_kernelINS0_14default_configENS1_25partition_config_selectorILNS1_17partition_subalgoE5EdNS0_10empty_typeEbEEZZNS1_14partition_implILS5_5ELb0ES3_mN6thrust23THRUST_200600_302600_NS6detail15normal_iteratorINSA_10device_ptrIdEEEEPS6_NSA_18transform_iteratorINSB_9not_fun_tINSA_8identityIdEEEESF_NSA_11use_defaultESM_EENS0_5tupleIJSF_S6_EEENSO_IJSG_SG_EEES6_PlJS6_EEE10hipError_tPvRmT3_T4_T5_T6_T7_T9_mT8_P12ihipStream_tbDpT10_ENKUlT_T0_E_clISt17integral_constantIbLb0EES1A_IbLb1EEEEDaS16_S17_EUlS16_E_NS1_11comp_targetILNS1_3genE10ELNS1_11target_archE1200ELNS1_3gpuE4ELNS1_3repE0EEENS1_30default_config_static_selectorELNS0_4arch9wavefront6targetE0EEEvT1_.kd
    .uniform_work_group_size: 1
    .uses_dynamic_stack: false
    .vgpr_count:     50
    .vgpr_spill_count: 0
    .wavefront_size: 32
    .workgroup_processor_mode: 1
  - .args:
      - .offset:         0
        .size:           136
        .value_kind:     by_value
    .group_segment_fixed_size: 0
    .kernarg_segment_align: 8
    .kernarg_segment_size: 136
    .language:       OpenCL C
    .language_version:
      - 2
      - 0
    .max_flat_workgroup_size: 128
    .name:           _ZN7rocprim17ROCPRIM_400000_NS6detail17trampoline_kernelINS0_14default_configENS1_25partition_config_selectorILNS1_17partition_subalgoE5EdNS0_10empty_typeEbEEZZNS1_14partition_implILS5_5ELb0ES3_mN6thrust23THRUST_200600_302600_NS6detail15normal_iteratorINSA_10device_ptrIdEEEEPS6_NSA_18transform_iteratorINSB_9not_fun_tINSA_8identityIdEEEESF_NSA_11use_defaultESM_EENS0_5tupleIJSF_S6_EEENSO_IJSG_SG_EEES6_PlJS6_EEE10hipError_tPvRmT3_T4_T5_T6_T7_T9_mT8_P12ihipStream_tbDpT10_ENKUlT_T0_E_clISt17integral_constantIbLb0EES1A_IbLb1EEEEDaS16_S17_EUlS16_E_NS1_11comp_targetILNS1_3genE9ELNS1_11target_archE1100ELNS1_3gpuE3ELNS1_3repE0EEENS1_30default_config_static_selectorELNS0_4arch9wavefront6targetE0EEEvT1_
    .private_segment_fixed_size: 0
    .sgpr_count:     0
    .sgpr_spill_count: 0
    .symbol:         _ZN7rocprim17ROCPRIM_400000_NS6detail17trampoline_kernelINS0_14default_configENS1_25partition_config_selectorILNS1_17partition_subalgoE5EdNS0_10empty_typeEbEEZZNS1_14partition_implILS5_5ELb0ES3_mN6thrust23THRUST_200600_302600_NS6detail15normal_iteratorINSA_10device_ptrIdEEEEPS6_NSA_18transform_iteratorINSB_9not_fun_tINSA_8identityIdEEEESF_NSA_11use_defaultESM_EENS0_5tupleIJSF_S6_EEENSO_IJSG_SG_EEES6_PlJS6_EEE10hipError_tPvRmT3_T4_T5_T6_T7_T9_mT8_P12ihipStream_tbDpT10_ENKUlT_T0_E_clISt17integral_constantIbLb0EES1A_IbLb1EEEEDaS16_S17_EUlS16_E_NS1_11comp_targetILNS1_3genE9ELNS1_11target_archE1100ELNS1_3gpuE3ELNS1_3repE0EEENS1_30default_config_static_selectorELNS0_4arch9wavefront6targetE0EEEvT1_.kd
    .uniform_work_group_size: 1
    .uses_dynamic_stack: false
    .vgpr_count:     0
    .vgpr_spill_count: 0
    .wavefront_size: 32
    .workgroup_processor_mode: 1
  - .args:
      - .offset:         0
        .size:           136
        .value_kind:     by_value
    .group_segment_fixed_size: 0
    .kernarg_segment_align: 8
    .kernarg_segment_size: 136
    .language:       OpenCL C
    .language_version:
      - 2
      - 0
    .max_flat_workgroup_size: 512
    .name:           _ZN7rocprim17ROCPRIM_400000_NS6detail17trampoline_kernelINS0_14default_configENS1_25partition_config_selectorILNS1_17partition_subalgoE5EdNS0_10empty_typeEbEEZZNS1_14partition_implILS5_5ELb0ES3_mN6thrust23THRUST_200600_302600_NS6detail15normal_iteratorINSA_10device_ptrIdEEEEPS6_NSA_18transform_iteratorINSB_9not_fun_tINSA_8identityIdEEEESF_NSA_11use_defaultESM_EENS0_5tupleIJSF_S6_EEENSO_IJSG_SG_EEES6_PlJS6_EEE10hipError_tPvRmT3_T4_T5_T6_T7_T9_mT8_P12ihipStream_tbDpT10_ENKUlT_T0_E_clISt17integral_constantIbLb0EES1A_IbLb1EEEEDaS16_S17_EUlS16_E_NS1_11comp_targetILNS1_3genE8ELNS1_11target_archE1030ELNS1_3gpuE2ELNS1_3repE0EEENS1_30default_config_static_selectorELNS0_4arch9wavefront6targetE0EEEvT1_
    .private_segment_fixed_size: 0
    .sgpr_count:     0
    .sgpr_spill_count: 0
    .symbol:         _ZN7rocprim17ROCPRIM_400000_NS6detail17trampoline_kernelINS0_14default_configENS1_25partition_config_selectorILNS1_17partition_subalgoE5EdNS0_10empty_typeEbEEZZNS1_14partition_implILS5_5ELb0ES3_mN6thrust23THRUST_200600_302600_NS6detail15normal_iteratorINSA_10device_ptrIdEEEEPS6_NSA_18transform_iteratorINSB_9not_fun_tINSA_8identityIdEEEESF_NSA_11use_defaultESM_EENS0_5tupleIJSF_S6_EEENSO_IJSG_SG_EEES6_PlJS6_EEE10hipError_tPvRmT3_T4_T5_T6_T7_T9_mT8_P12ihipStream_tbDpT10_ENKUlT_T0_E_clISt17integral_constantIbLb0EES1A_IbLb1EEEEDaS16_S17_EUlS16_E_NS1_11comp_targetILNS1_3genE8ELNS1_11target_archE1030ELNS1_3gpuE2ELNS1_3repE0EEENS1_30default_config_static_selectorELNS0_4arch9wavefront6targetE0EEEvT1_.kd
    .uniform_work_group_size: 1
    .uses_dynamic_stack: false
    .vgpr_count:     0
    .vgpr_spill_count: 0
    .wavefront_size: 32
    .workgroup_processor_mode: 1
  - .args:
      - .offset:         0
        .size:           120
        .value_kind:     by_value
    .group_segment_fixed_size: 0
    .kernarg_segment_align: 8
    .kernarg_segment_size: 120
    .language:       OpenCL C
    .language_version:
      - 2
      - 0
    .max_flat_workgroup_size: 512
    .name:           _ZN7rocprim17ROCPRIM_400000_NS6detail17trampoline_kernelINS0_14default_configENS1_25partition_config_selectorILNS1_17partition_subalgoE5EfNS0_10empty_typeEbEEZZNS1_14partition_implILS5_5ELb0ES3_mN6thrust23THRUST_200600_302600_NS6detail15normal_iteratorINSA_10device_ptrIfEEEEPS6_NSA_18transform_iteratorINSB_9not_fun_tINSA_8identityIfEEEESF_NSA_11use_defaultESM_EENS0_5tupleIJSF_S6_EEENSO_IJSG_SG_EEES6_PlJS6_EEE10hipError_tPvRmT3_T4_T5_T6_T7_T9_mT8_P12ihipStream_tbDpT10_ENKUlT_T0_E_clISt17integral_constantIbLb0EES1B_EEDaS16_S17_EUlS16_E_NS1_11comp_targetILNS1_3genE0ELNS1_11target_archE4294967295ELNS1_3gpuE0ELNS1_3repE0EEENS1_30default_config_static_selectorELNS0_4arch9wavefront6targetE0EEEvT1_
    .private_segment_fixed_size: 0
    .sgpr_count:     0
    .sgpr_spill_count: 0
    .symbol:         _ZN7rocprim17ROCPRIM_400000_NS6detail17trampoline_kernelINS0_14default_configENS1_25partition_config_selectorILNS1_17partition_subalgoE5EfNS0_10empty_typeEbEEZZNS1_14partition_implILS5_5ELb0ES3_mN6thrust23THRUST_200600_302600_NS6detail15normal_iteratorINSA_10device_ptrIfEEEEPS6_NSA_18transform_iteratorINSB_9not_fun_tINSA_8identityIfEEEESF_NSA_11use_defaultESM_EENS0_5tupleIJSF_S6_EEENSO_IJSG_SG_EEES6_PlJS6_EEE10hipError_tPvRmT3_T4_T5_T6_T7_T9_mT8_P12ihipStream_tbDpT10_ENKUlT_T0_E_clISt17integral_constantIbLb0EES1B_EEDaS16_S17_EUlS16_E_NS1_11comp_targetILNS1_3genE0ELNS1_11target_archE4294967295ELNS1_3gpuE0ELNS1_3repE0EEENS1_30default_config_static_selectorELNS0_4arch9wavefront6targetE0EEEvT1_.kd
    .uniform_work_group_size: 1
    .uses_dynamic_stack: false
    .vgpr_count:     0
    .vgpr_spill_count: 0
    .wavefront_size: 32
    .workgroup_processor_mode: 1
  - .args:
      - .offset:         0
        .size:           120
        .value_kind:     by_value
    .group_segment_fixed_size: 0
    .kernarg_segment_align: 8
    .kernarg_segment_size: 120
    .language:       OpenCL C
    .language_version:
      - 2
      - 0
    .max_flat_workgroup_size: 512
    .name:           _ZN7rocprim17ROCPRIM_400000_NS6detail17trampoline_kernelINS0_14default_configENS1_25partition_config_selectorILNS1_17partition_subalgoE5EfNS0_10empty_typeEbEEZZNS1_14partition_implILS5_5ELb0ES3_mN6thrust23THRUST_200600_302600_NS6detail15normal_iteratorINSA_10device_ptrIfEEEEPS6_NSA_18transform_iteratorINSB_9not_fun_tINSA_8identityIfEEEESF_NSA_11use_defaultESM_EENS0_5tupleIJSF_S6_EEENSO_IJSG_SG_EEES6_PlJS6_EEE10hipError_tPvRmT3_T4_T5_T6_T7_T9_mT8_P12ihipStream_tbDpT10_ENKUlT_T0_E_clISt17integral_constantIbLb0EES1B_EEDaS16_S17_EUlS16_E_NS1_11comp_targetILNS1_3genE5ELNS1_11target_archE942ELNS1_3gpuE9ELNS1_3repE0EEENS1_30default_config_static_selectorELNS0_4arch9wavefront6targetE0EEEvT1_
    .private_segment_fixed_size: 0
    .sgpr_count:     0
    .sgpr_spill_count: 0
    .symbol:         _ZN7rocprim17ROCPRIM_400000_NS6detail17trampoline_kernelINS0_14default_configENS1_25partition_config_selectorILNS1_17partition_subalgoE5EfNS0_10empty_typeEbEEZZNS1_14partition_implILS5_5ELb0ES3_mN6thrust23THRUST_200600_302600_NS6detail15normal_iteratorINSA_10device_ptrIfEEEEPS6_NSA_18transform_iteratorINSB_9not_fun_tINSA_8identityIfEEEESF_NSA_11use_defaultESM_EENS0_5tupleIJSF_S6_EEENSO_IJSG_SG_EEES6_PlJS6_EEE10hipError_tPvRmT3_T4_T5_T6_T7_T9_mT8_P12ihipStream_tbDpT10_ENKUlT_T0_E_clISt17integral_constantIbLb0EES1B_EEDaS16_S17_EUlS16_E_NS1_11comp_targetILNS1_3genE5ELNS1_11target_archE942ELNS1_3gpuE9ELNS1_3repE0EEENS1_30default_config_static_selectorELNS0_4arch9wavefront6targetE0EEEvT1_.kd
    .uniform_work_group_size: 1
    .uses_dynamic_stack: false
    .vgpr_count:     0
    .vgpr_spill_count: 0
    .wavefront_size: 32
    .workgroup_processor_mode: 1
  - .args:
      - .offset:         0
        .size:           120
        .value_kind:     by_value
    .group_segment_fixed_size: 0
    .kernarg_segment_align: 8
    .kernarg_segment_size: 120
    .language:       OpenCL C
    .language_version:
      - 2
      - 0
    .max_flat_workgroup_size: 256
    .name:           _ZN7rocprim17ROCPRIM_400000_NS6detail17trampoline_kernelINS0_14default_configENS1_25partition_config_selectorILNS1_17partition_subalgoE5EfNS0_10empty_typeEbEEZZNS1_14partition_implILS5_5ELb0ES3_mN6thrust23THRUST_200600_302600_NS6detail15normal_iteratorINSA_10device_ptrIfEEEEPS6_NSA_18transform_iteratorINSB_9not_fun_tINSA_8identityIfEEEESF_NSA_11use_defaultESM_EENS0_5tupleIJSF_S6_EEENSO_IJSG_SG_EEES6_PlJS6_EEE10hipError_tPvRmT3_T4_T5_T6_T7_T9_mT8_P12ihipStream_tbDpT10_ENKUlT_T0_E_clISt17integral_constantIbLb0EES1B_EEDaS16_S17_EUlS16_E_NS1_11comp_targetILNS1_3genE4ELNS1_11target_archE910ELNS1_3gpuE8ELNS1_3repE0EEENS1_30default_config_static_selectorELNS0_4arch9wavefront6targetE0EEEvT1_
    .private_segment_fixed_size: 0
    .sgpr_count:     0
    .sgpr_spill_count: 0
    .symbol:         _ZN7rocprim17ROCPRIM_400000_NS6detail17trampoline_kernelINS0_14default_configENS1_25partition_config_selectorILNS1_17partition_subalgoE5EfNS0_10empty_typeEbEEZZNS1_14partition_implILS5_5ELb0ES3_mN6thrust23THRUST_200600_302600_NS6detail15normal_iteratorINSA_10device_ptrIfEEEEPS6_NSA_18transform_iteratorINSB_9not_fun_tINSA_8identityIfEEEESF_NSA_11use_defaultESM_EENS0_5tupleIJSF_S6_EEENSO_IJSG_SG_EEES6_PlJS6_EEE10hipError_tPvRmT3_T4_T5_T6_T7_T9_mT8_P12ihipStream_tbDpT10_ENKUlT_T0_E_clISt17integral_constantIbLb0EES1B_EEDaS16_S17_EUlS16_E_NS1_11comp_targetILNS1_3genE4ELNS1_11target_archE910ELNS1_3gpuE8ELNS1_3repE0EEENS1_30default_config_static_selectorELNS0_4arch9wavefront6targetE0EEEvT1_.kd
    .uniform_work_group_size: 1
    .uses_dynamic_stack: false
    .vgpr_count:     0
    .vgpr_spill_count: 0
    .wavefront_size: 32
    .workgroup_processor_mode: 1
  - .args:
      - .offset:         0
        .size:           120
        .value_kind:     by_value
    .group_segment_fixed_size: 0
    .kernarg_segment_align: 8
    .kernarg_segment_size: 120
    .language:       OpenCL C
    .language_version:
      - 2
      - 0
    .max_flat_workgroup_size: 512
    .name:           _ZN7rocprim17ROCPRIM_400000_NS6detail17trampoline_kernelINS0_14default_configENS1_25partition_config_selectorILNS1_17partition_subalgoE5EfNS0_10empty_typeEbEEZZNS1_14partition_implILS5_5ELb0ES3_mN6thrust23THRUST_200600_302600_NS6detail15normal_iteratorINSA_10device_ptrIfEEEEPS6_NSA_18transform_iteratorINSB_9not_fun_tINSA_8identityIfEEEESF_NSA_11use_defaultESM_EENS0_5tupleIJSF_S6_EEENSO_IJSG_SG_EEES6_PlJS6_EEE10hipError_tPvRmT3_T4_T5_T6_T7_T9_mT8_P12ihipStream_tbDpT10_ENKUlT_T0_E_clISt17integral_constantIbLb0EES1B_EEDaS16_S17_EUlS16_E_NS1_11comp_targetILNS1_3genE3ELNS1_11target_archE908ELNS1_3gpuE7ELNS1_3repE0EEENS1_30default_config_static_selectorELNS0_4arch9wavefront6targetE0EEEvT1_
    .private_segment_fixed_size: 0
    .sgpr_count:     0
    .sgpr_spill_count: 0
    .symbol:         _ZN7rocprim17ROCPRIM_400000_NS6detail17trampoline_kernelINS0_14default_configENS1_25partition_config_selectorILNS1_17partition_subalgoE5EfNS0_10empty_typeEbEEZZNS1_14partition_implILS5_5ELb0ES3_mN6thrust23THRUST_200600_302600_NS6detail15normal_iteratorINSA_10device_ptrIfEEEEPS6_NSA_18transform_iteratorINSB_9not_fun_tINSA_8identityIfEEEESF_NSA_11use_defaultESM_EENS0_5tupleIJSF_S6_EEENSO_IJSG_SG_EEES6_PlJS6_EEE10hipError_tPvRmT3_T4_T5_T6_T7_T9_mT8_P12ihipStream_tbDpT10_ENKUlT_T0_E_clISt17integral_constantIbLb0EES1B_EEDaS16_S17_EUlS16_E_NS1_11comp_targetILNS1_3genE3ELNS1_11target_archE908ELNS1_3gpuE7ELNS1_3repE0EEENS1_30default_config_static_selectorELNS0_4arch9wavefront6targetE0EEEvT1_.kd
    .uniform_work_group_size: 1
    .uses_dynamic_stack: false
    .vgpr_count:     0
    .vgpr_spill_count: 0
    .wavefront_size: 32
    .workgroup_processor_mode: 1
  - .args:
      - .offset:         0
        .size:           120
        .value_kind:     by_value
    .group_segment_fixed_size: 0
    .kernarg_segment_align: 8
    .kernarg_segment_size: 120
    .language:       OpenCL C
    .language_version:
      - 2
      - 0
    .max_flat_workgroup_size: 256
    .name:           _ZN7rocprim17ROCPRIM_400000_NS6detail17trampoline_kernelINS0_14default_configENS1_25partition_config_selectorILNS1_17partition_subalgoE5EfNS0_10empty_typeEbEEZZNS1_14partition_implILS5_5ELb0ES3_mN6thrust23THRUST_200600_302600_NS6detail15normal_iteratorINSA_10device_ptrIfEEEEPS6_NSA_18transform_iteratorINSB_9not_fun_tINSA_8identityIfEEEESF_NSA_11use_defaultESM_EENS0_5tupleIJSF_S6_EEENSO_IJSG_SG_EEES6_PlJS6_EEE10hipError_tPvRmT3_T4_T5_T6_T7_T9_mT8_P12ihipStream_tbDpT10_ENKUlT_T0_E_clISt17integral_constantIbLb0EES1B_EEDaS16_S17_EUlS16_E_NS1_11comp_targetILNS1_3genE2ELNS1_11target_archE906ELNS1_3gpuE6ELNS1_3repE0EEENS1_30default_config_static_selectorELNS0_4arch9wavefront6targetE0EEEvT1_
    .private_segment_fixed_size: 0
    .sgpr_count:     0
    .sgpr_spill_count: 0
    .symbol:         _ZN7rocprim17ROCPRIM_400000_NS6detail17trampoline_kernelINS0_14default_configENS1_25partition_config_selectorILNS1_17partition_subalgoE5EfNS0_10empty_typeEbEEZZNS1_14partition_implILS5_5ELb0ES3_mN6thrust23THRUST_200600_302600_NS6detail15normal_iteratorINSA_10device_ptrIfEEEEPS6_NSA_18transform_iteratorINSB_9not_fun_tINSA_8identityIfEEEESF_NSA_11use_defaultESM_EENS0_5tupleIJSF_S6_EEENSO_IJSG_SG_EEES6_PlJS6_EEE10hipError_tPvRmT3_T4_T5_T6_T7_T9_mT8_P12ihipStream_tbDpT10_ENKUlT_T0_E_clISt17integral_constantIbLb0EES1B_EEDaS16_S17_EUlS16_E_NS1_11comp_targetILNS1_3genE2ELNS1_11target_archE906ELNS1_3gpuE6ELNS1_3repE0EEENS1_30default_config_static_selectorELNS0_4arch9wavefront6targetE0EEEvT1_.kd
    .uniform_work_group_size: 1
    .uses_dynamic_stack: false
    .vgpr_count:     0
    .vgpr_spill_count: 0
    .wavefront_size: 32
    .workgroup_processor_mode: 1
  - .args:
      - .offset:         0
        .size:           120
        .value_kind:     by_value
    .group_segment_fixed_size: 10768
    .kernarg_segment_align: 8
    .kernarg_segment_size: 120
    .language:       OpenCL C
    .language_version:
      - 2
      - 0
    .max_flat_workgroup_size: 384
    .name:           _ZN7rocprim17ROCPRIM_400000_NS6detail17trampoline_kernelINS0_14default_configENS1_25partition_config_selectorILNS1_17partition_subalgoE5EfNS0_10empty_typeEbEEZZNS1_14partition_implILS5_5ELb0ES3_mN6thrust23THRUST_200600_302600_NS6detail15normal_iteratorINSA_10device_ptrIfEEEEPS6_NSA_18transform_iteratorINSB_9not_fun_tINSA_8identityIfEEEESF_NSA_11use_defaultESM_EENS0_5tupleIJSF_S6_EEENSO_IJSG_SG_EEES6_PlJS6_EEE10hipError_tPvRmT3_T4_T5_T6_T7_T9_mT8_P12ihipStream_tbDpT10_ENKUlT_T0_E_clISt17integral_constantIbLb0EES1B_EEDaS16_S17_EUlS16_E_NS1_11comp_targetILNS1_3genE10ELNS1_11target_archE1200ELNS1_3gpuE4ELNS1_3repE0EEENS1_30default_config_static_selectorELNS0_4arch9wavefront6targetE0EEEvT1_
    .private_segment_fixed_size: 0
    .sgpr_count:     24
    .sgpr_spill_count: 0
    .symbol:         _ZN7rocprim17ROCPRIM_400000_NS6detail17trampoline_kernelINS0_14default_configENS1_25partition_config_selectorILNS1_17partition_subalgoE5EfNS0_10empty_typeEbEEZZNS1_14partition_implILS5_5ELb0ES3_mN6thrust23THRUST_200600_302600_NS6detail15normal_iteratorINSA_10device_ptrIfEEEEPS6_NSA_18transform_iteratorINSB_9not_fun_tINSA_8identityIfEEEESF_NSA_11use_defaultESM_EENS0_5tupleIJSF_S6_EEENSO_IJSG_SG_EEES6_PlJS6_EEE10hipError_tPvRmT3_T4_T5_T6_T7_T9_mT8_P12ihipStream_tbDpT10_ENKUlT_T0_E_clISt17integral_constantIbLb0EES1B_EEDaS16_S17_EUlS16_E_NS1_11comp_targetILNS1_3genE10ELNS1_11target_archE1200ELNS1_3gpuE4ELNS1_3repE0EEENS1_30default_config_static_selectorELNS0_4arch9wavefront6targetE0EEEvT1_.kd
    .uniform_work_group_size: 1
    .uses_dynamic_stack: false
    .vgpr_count:     47
    .vgpr_spill_count: 0
    .wavefront_size: 32
    .workgroup_processor_mode: 1
  - .args:
      - .offset:         0
        .size:           120
        .value_kind:     by_value
    .group_segment_fixed_size: 0
    .kernarg_segment_align: 8
    .kernarg_segment_size: 120
    .language:       OpenCL C
    .language_version:
      - 2
      - 0
    .max_flat_workgroup_size: 128
    .name:           _ZN7rocprim17ROCPRIM_400000_NS6detail17trampoline_kernelINS0_14default_configENS1_25partition_config_selectorILNS1_17partition_subalgoE5EfNS0_10empty_typeEbEEZZNS1_14partition_implILS5_5ELb0ES3_mN6thrust23THRUST_200600_302600_NS6detail15normal_iteratorINSA_10device_ptrIfEEEEPS6_NSA_18transform_iteratorINSB_9not_fun_tINSA_8identityIfEEEESF_NSA_11use_defaultESM_EENS0_5tupleIJSF_S6_EEENSO_IJSG_SG_EEES6_PlJS6_EEE10hipError_tPvRmT3_T4_T5_T6_T7_T9_mT8_P12ihipStream_tbDpT10_ENKUlT_T0_E_clISt17integral_constantIbLb0EES1B_EEDaS16_S17_EUlS16_E_NS1_11comp_targetILNS1_3genE9ELNS1_11target_archE1100ELNS1_3gpuE3ELNS1_3repE0EEENS1_30default_config_static_selectorELNS0_4arch9wavefront6targetE0EEEvT1_
    .private_segment_fixed_size: 0
    .sgpr_count:     0
    .sgpr_spill_count: 0
    .symbol:         _ZN7rocprim17ROCPRIM_400000_NS6detail17trampoline_kernelINS0_14default_configENS1_25partition_config_selectorILNS1_17partition_subalgoE5EfNS0_10empty_typeEbEEZZNS1_14partition_implILS5_5ELb0ES3_mN6thrust23THRUST_200600_302600_NS6detail15normal_iteratorINSA_10device_ptrIfEEEEPS6_NSA_18transform_iteratorINSB_9not_fun_tINSA_8identityIfEEEESF_NSA_11use_defaultESM_EENS0_5tupleIJSF_S6_EEENSO_IJSG_SG_EEES6_PlJS6_EEE10hipError_tPvRmT3_T4_T5_T6_T7_T9_mT8_P12ihipStream_tbDpT10_ENKUlT_T0_E_clISt17integral_constantIbLb0EES1B_EEDaS16_S17_EUlS16_E_NS1_11comp_targetILNS1_3genE9ELNS1_11target_archE1100ELNS1_3gpuE3ELNS1_3repE0EEENS1_30default_config_static_selectorELNS0_4arch9wavefront6targetE0EEEvT1_.kd
    .uniform_work_group_size: 1
    .uses_dynamic_stack: false
    .vgpr_count:     0
    .vgpr_spill_count: 0
    .wavefront_size: 32
    .workgroup_processor_mode: 1
  - .args:
      - .offset:         0
        .size:           120
        .value_kind:     by_value
    .group_segment_fixed_size: 0
    .kernarg_segment_align: 8
    .kernarg_segment_size: 120
    .language:       OpenCL C
    .language_version:
      - 2
      - 0
    .max_flat_workgroup_size: 512
    .name:           _ZN7rocprim17ROCPRIM_400000_NS6detail17trampoline_kernelINS0_14default_configENS1_25partition_config_selectorILNS1_17partition_subalgoE5EfNS0_10empty_typeEbEEZZNS1_14partition_implILS5_5ELb0ES3_mN6thrust23THRUST_200600_302600_NS6detail15normal_iteratorINSA_10device_ptrIfEEEEPS6_NSA_18transform_iteratorINSB_9not_fun_tINSA_8identityIfEEEESF_NSA_11use_defaultESM_EENS0_5tupleIJSF_S6_EEENSO_IJSG_SG_EEES6_PlJS6_EEE10hipError_tPvRmT3_T4_T5_T6_T7_T9_mT8_P12ihipStream_tbDpT10_ENKUlT_T0_E_clISt17integral_constantIbLb0EES1B_EEDaS16_S17_EUlS16_E_NS1_11comp_targetILNS1_3genE8ELNS1_11target_archE1030ELNS1_3gpuE2ELNS1_3repE0EEENS1_30default_config_static_selectorELNS0_4arch9wavefront6targetE0EEEvT1_
    .private_segment_fixed_size: 0
    .sgpr_count:     0
    .sgpr_spill_count: 0
    .symbol:         _ZN7rocprim17ROCPRIM_400000_NS6detail17trampoline_kernelINS0_14default_configENS1_25partition_config_selectorILNS1_17partition_subalgoE5EfNS0_10empty_typeEbEEZZNS1_14partition_implILS5_5ELb0ES3_mN6thrust23THRUST_200600_302600_NS6detail15normal_iteratorINSA_10device_ptrIfEEEEPS6_NSA_18transform_iteratorINSB_9not_fun_tINSA_8identityIfEEEESF_NSA_11use_defaultESM_EENS0_5tupleIJSF_S6_EEENSO_IJSG_SG_EEES6_PlJS6_EEE10hipError_tPvRmT3_T4_T5_T6_T7_T9_mT8_P12ihipStream_tbDpT10_ENKUlT_T0_E_clISt17integral_constantIbLb0EES1B_EEDaS16_S17_EUlS16_E_NS1_11comp_targetILNS1_3genE8ELNS1_11target_archE1030ELNS1_3gpuE2ELNS1_3repE0EEENS1_30default_config_static_selectorELNS0_4arch9wavefront6targetE0EEEvT1_.kd
    .uniform_work_group_size: 1
    .uses_dynamic_stack: false
    .vgpr_count:     0
    .vgpr_spill_count: 0
    .wavefront_size: 32
    .workgroup_processor_mode: 1
  - .args:
      - .offset:         0
        .size:           136
        .value_kind:     by_value
    .group_segment_fixed_size: 0
    .kernarg_segment_align: 8
    .kernarg_segment_size: 136
    .language:       OpenCL C
    .language_version:
      - 2
      - 0
    .max_flat_workgroup_size: 512
    .name:           _ZN7rocprim17ROCPRIM_400000_NS6detail17trampoline_kernelINS0_14default_configENS1_25partition_config_selectorILNS1_17partition_subalgoE5EfNS0_10empty_typeEbEEZZNS1_14partition_implILS5_5ELb0ES3_mN6thrust23THRUST_200600_302600_NS6detail15normal_iteratorINSA_10device_ptrIfEEEEPS6_NSA_18transform_iteratorINSB_9not_fun_tINSA_8identityIfEEEESF_NSA_11use_defaultESM_EENS0_5tupleIJSF_S6_EEENSO_IJSG_SG_EEES6_PlJS6_EEE10hipError_tPvRmT3_T4_T5_T6_T7_T9_mT8_P12ihipStream_tbDpT10_ENKUlT_T0_E_clISt17integral_constantIbLb1EES1B_EEDaS16_S17_EUlS16_E_NS1_11comp_targetILNS1_3genE0ELNS1_11target_archE4294967295ELNS1_3gpuE0ELNS1_3repE0EEENS1_30default_config_static_selectorELNS0_4arch9wavefront6targetE0EEEvT1_
    .private_segment_fixed_size: 0
    .sgpr_count:     0
    .sgpr_spill_count: 0
    .symbol:         _ZN7rocprim17ROCPRIM_400000_NS6detail17trampoline_kernelINS0_14default_configENS1_25partition_config_selectorILNS1_17partition_subalgoE5EfNS0_10empty_typeEbEEZZNS1_14partition_implILS5_5ELb0ES3_mN6thrust23THRUST_200600_302600_NS6detail15normal_iteratorINSA_10device_ptrIfEEEEPS6_NSA_18transform_iteratorINSB_9not_fun_tINSA_8identityIfEEEESF_NSA_11use_defaultESM_EENS0_5tupleIJSF_S6_EEENSO_IJSG_SG_EEES6_PlJS6_EEE10hipError_tPvRmT3_T4_T5_T6_T7_T9_mT8_P12ihipStream_tbDpT10_ENKUlT_T0_E_clISt17integral_constantIbLb1EES1B_EEDaS16_S17_EUlS16_E_NS1_11comp_targetILNS1_3genE0ELNS1_11target_archE4294967295ELNS1_3gpuE0ELNS1_3repE0EEENS1_30default_config_static_selectorELNS0_4arch9wavefront6targetE0EEEvT1_.kd
    .uniform_work_group_size: 1
    .uses_dynamic_stack: false
    .vgpr_count:     0
    .vgpr_spill_count: 0
    .wavefront_size: 32
    .workgroup_processor_mode: 1
  - .args:
      - .offset:         0
        .size:           136
        .value_kind:     by_value
    .group_segment_fixed_size: 0
    .kernarg_segment_align: 8
    .kernarg_segment_size: 136
    .language:       OpenCL C
    .language_version:
      - 2
      - 0
    .max_flat_workgroup_size: 512
    .name:           _ZN7rocprim17ROCPRIM_400000_NS6detail17trampoline_kernelINS0_14default_configENS1_25partition_config_selectorILNS1_17partition_subalgoE5EfNS0_10empty_typeEbEEZZNS1_14partition_implILS5_5ELb0ES3_mN6thrust23THRUST_200600_302600_NS6detail15normal_iteratorINSA_10device_ptrIfEEEEPS6_NSA_18transform_iteratorINSB_9not_fun_tINSA_8identityIfEEEESF_NSA_11use_defaultESM_EENS0_5tupleIJSF_S6_EEENSO_IJSG_SG_EEES6_PlJS6_EEE10hipError_tPvRmT3_T4_T5_T6_T7_T9_mT8_P12ihipStream_tbDpT10_ENKUlT_T0_E_clISt17integral_constantIbLb1EES1B_EEDaS16_S17_EUlS16_E_NS1_11comp_targetILNS1_3genE5ELNS1_11target_archE942ELNS1_3gpuE9ELNS1_3repE0EEENS1_30default_config_static_selectorELNS0_4arch9wavefront6targetE0EEEvT1_
    .private_segment_fixed_size: 0
    .sgpr_count:     0
    .sgpr_spill_count: 0
    .symbol:         _ZN7rocprim17ROCPRIM_400000_NS6detail17trampoline_kernelINS0_14default_configENS1_25partition_config_selectorILNS1_17partition_subalgoE5EfNS0_10empty_typeEbEEZZNS1_14partition_implILS5_5ELb0ES3_mN6thrust23THRUST_200600_302600_NS6detail15normal_iteratorINSA_10device_ptrIfEEEEPS6_NSA_18transform_iteratorINSB_9not_fun_tINSA_8identityIfEEEESF_NSA_11use_defaultESM_EENS0_5tupleIJSF_S6_EEENSO_IJSG_SG_EEES6_PlJS6_EEE10hipError_tPvRmT3_T4_T5_T6_T7_T9_mT8_P12ihipStream_tbDpT10_ENKUlT_T0_E_clISt17integral_constantIbLb1EES1B_EEDaS16_S17_EUlS16_E_NS1_11comp_targetILNS1_3genE5ELNS1_11target_archE942ELNS1_3gpuE9ELNS1_3repE0EEENS1_30default_config_static_selectorELNS0_4arch9wavefront6targetE0EEEvT1_.kd
    .uniform_work_group_size: 1
    .uses_dynamic_stack: false
    .vgpr_count:     0
    .vgpr_spill_count: 0
    .wavefront_size: 32
    .workgroup_processor_mode: 1
  - .args:
      - .offset:         0
        .size:           136
        .value_kind:     by_value
    .group_segment_fixed_size: 0
    .kernarg_segment_align: 8
    .kernarg_segment_size: 136
    .language:       OpenCL C
    .language_version:
      - 2
      - 0
    .max_flat_workgroup_size: 256
    .name:           _ZN7rocprim17ROCPRIM_400000_NS6detail17trampoline_kernelINS0_14default_configENS1_25partition_config_selectorILNS1_17partition_subalgoE5EfNS0_10empty_typeEbEEZZNS1_14partition_implILS5_5ELb0ES3_mN6thrust23THRUST_200600_302600_NS6detail15normal_iteratorINSA_10device_ptrIfEEEEPS6_NSA_18transform_iteratorINSB_9not_fun_tINSA_8identityIfEEEESF_NSA_11use_defaultESM_EENS0_5tupleIJSF_S6_EEENSO_IJSG_SG_EEES6_PlJS6_EEE10hipError_tPvRmT3_T4_T5_T6_T7_T9_mT8_P12ihipStream_tbDpT10_ENKUlT_T0_E_clISt17integral_constantIbLb1EES1B_EEDaS16_S17_EUlS16_E_NS1_11comp_targetILNS1_3genE4ELNS1_11target_archE910ELNS1_3gpuE8ELNS1_3repE0EEENS1_30default_config_static_selectorELNS0_4arch9wavefront6targetE0EEEvT1_
    .private_segment_fixed_size: 0
    .sgpr_count:     0
    .sgpr_spill_count: 0
    .symbol:         _ZN7rocprim17ROCPRIM_400000_NS6detail17trampoline_kernelINS0_14default_configENS1_25partition_config_selectorILNS1_17partition_subalgoE5EfNS0_10empty_typeEbEEZZNS1_14partition_implILS5_5ELb0ES3_mN6thrust23THRUST_200600_302600_NS6detail15normal_iteratorINSA_10device_ptrIfEEEEPS6_NSA_18transform_iteratorINSB_9not_fun_tINSA_8identityIfEEEESF_NSA_11use_defaultESM_EENS0_5tupleIJSF_S6_EEENSO_IJSG_SG_EEES6_PlJS6_EEE10hipError_tPvRmT3_T4_T5_T6_T7_T9_mT8_P12ihipStream_tbDpT10_ENKUlT_T0_E_clISt17integral_constantIbLb1EES1B_EEDaS16_S17_EUlS16_E_NS1_11comp_targetILNS1_3genE4ELNS1_11target_archE910ELNS1_3gpuE8ELNS1_3repE0EEENS1_30default_config_static_selectorELNS0_4arch9wavefront6targetE0EEEvT1_.kd
    .uniform_work_group_size: 1
    .uses_dynamic_stack: false
    .vgpr_count:     0
    .vgpr_spill_count: 0
    .wavefront_size: 32
    .workgroup_processor_mode: 1
  - .args:
      - .offset:         0
        .size:           136
        .value_kind:     by_value
    .group_segment_fixed_size: 0
    .kernarg_segment_align: 8
    .kernarg_segment_size: 136
    .language:       OpenCL C
    .language_version:
      - 2
      - 0
    .max_flat_workgroup_size: 512
    .name:           _ZN7rocprim17ROCPRIM_400000_NS6detail17trampoline_kernelINS0_14default_configENS1_25partition_config_selectorILNS1_17partition_subalgoE5EfNS0_10empty_typeEbEEZZNS1_14partition_implILS5_5ELb0ES3_mN6thrust23THRUST_200600_302600_NS6detail15normal_iteratorINSA_10device_ptrIfEEEEPS6_NSA_18transform_iteratorINSB_9not_fun_tINSA_8identityIfEEEESF_NSA_11use_defaultESM_EENS0_5tupleIJSF_S6_EEENSO_IJSG_SG_EEES6_PlJS6_EEE10hipError_tPvRmT3_T4_T5_T6_T7_T9_mT8_P12ihipStream_tbDpT10_ENKUlT_T0_E_clISt17integral_constantIbLb1EES1B_EEDaS16_S17_EUlS16_E_NS1_11comp_targetILNS1_3genE3ELNS1_11target_archE908ELNS1_3gpuE7ELNS1_3repE0EEENS1_30default_config_static_selectorELNS0_4arch9wavefront6targetE0EEEvT1_
    .private_segment_fixed_size: 0
    .sgpr_count:     0
    .sgpr_spill_count: 0
    .symbol:         _ZN7rocprim17ROCPRIM_400000_NS6detail17trampoline_kernelINS0_14default_configENS1_25partition_config_selectorILNS1_17partition_subalgoE5EfNS0_10empty_typeEbEEZZNS1_14partition_implILS5_5ELb0ES3_mN6thrust23THRUST_200600_302600_NS6detail15normal_iteratorINSA_10device_ptrIfEEEEPS6_NSA_18transform_iteratorINSB_9not_fun_tINSA_8identityIfEEEESF_NSA_11use_defaultESM_EENS0_5tupleIJSF_S6_EEENSO_IJSG_SG_EEES6_PlJS6_EEE10hipError_tPvRmT3_T4_T5_T6_T7_T9_mT8_P12ihipStream_tbDpT10_ENKUlT_T0_E_clISt17integral_constantIbLb1EES1B_EEDaS16_S17_EUlS16_E_NS1_11comp_targetILNS1_3genE3ELNS1_11target_archE908ELNS1_3gpuE7ELNS1_3repE0EEENS1_30default_config_static_selectorELNS0_4arch9wavefront6targetE0EEEvT1_.kd
    .uniform_work_group_size: 1
    .uses_dynamic_stack: false
    .vgpr_count:     0
    .vgpr_spill_count: 0
    .wavefront_size: 32
    .workgroup_processor_mode: 1
  - .args:
      - .offset:         0
        .size:           136
        .value_kind:     by_value
    .group_segment_fixed_size: 0
    .kernarg_segment_align: 8
    .kernarg_segment_size: 136
    .language:       OpenCL C
    .language_version:
      - 2
      - 0
    .max_flat_workgroup_size: 256
    .name:           _ZN7rocprim17ROCPRIM_400000_NS6detail17trampoline_kernelINS0_14default_configENS1_25partition_config_selectorILNS1_17partition_subalgoE5EfNS0_10empty_typeEbEEZZNS1_14partition_implILS5_5ELb0ES3_mN6thrust23THRUST_200600_302600_NS6detail15normal_iteratorINSA_10device_ptrIfEEEEPS6_NSA_18transform_iteratorINSB_9not_fun_tINSA_8identityIfEEEESF_NSA_11use_defaultESM_EENS0_5tupleIJSF_S6_EEENSO_IJSG_SG_EEES6_PlJS6_EEE10hipError_tPvRmT3_T4_T5_T6_T7_T9_mT8_P12ihipStream_tbDpT10_ENKUlT_T0_E_clISt17integral_constantIbLb1EES1B_EEDaS16_S17_EUlS16_E_NS1_11comp_targetILNS1_3genE2ELNS1_11target_archE906ELNS1_3gpuE6ELNS1_3repE0EEENS1_30default_config_static_selectorELNS0_4arch9wavefront6targetE0EEEvT1_
    .private_segment_fixed_size: 0
    .sgpr_count:     0
    .sgpr_spill_count: 0
    .symbol:         _ZN7rocprim17ROCPRIM_400000_NS6detail17trampoline_kernelINS0_14default_configENS1_25partition_config_selectorILNS1_17partition_subalgoE5EfNS0_10empty_typeEbEEZZNS1_14partition_implILS5_5ELb0ES3_mN6thrust23THRUST_200600_302600_NS6detail15normal_iteratorINSA_10device_ptrIfEEEEPS6_NSA_18transform_iteratorINSB_9not_fun_tINSA_8identityIfEEEESF_NSA_11use_defaultESM_EENS0_5tupleIJSF_S6_EEENSO_IJSG_SG_EEES6_PlJS6_EEE10hipError_tPvRmT3_T4_T5_T6_T7_T9_mT8_P12ihipStream_tbDpT10_ENKUlT_T0_E_clISt17integral_constantIbLb1EES1B_EEDaS16_S17_EUlS16_E_NS1_11comp_targetILNS1_3genE2ELNS1_11target_archE906ELNS1_3gpuE6ELNS1_3repE0EEENS1_30default_config_static_selectorELNS0_4arch9wavefront6targetE0EEEvT1_.kd
    .uniform_work_group_size: 1
    .uses_dynamic_stack: false
    .vgpr_count:     0
    .vgpr_spill_count: 0
    .wavefront_size: 32
    .workgroup_processor_mode: 1
  - .args:
      - .offset:         0
        .size:           136
        .value_kind:     by_value
    .group_segment_fixed_size: 0
    .kernarg_segment_align: 8
    .kernarg_segment_size: 136
    .language:       OpenCL C
    .language_version:
      - 2
      - 0
    .max_flat_workgroup_size: 384
    .name:           _ZN7rocprim17ROCPRIM_400000_NS6detail17trampoline_kernelINS0_14default_configENS1_25partition_config_selectorILNS1_17partition_subalgoE5EfNS0_10empty_typeEbEEZZNS1_14partition_implILS5_5ELb0ES3_mN6thrust23THRUST_200600_302600_NS6detail15normal_iteratorINSA_10device_ptrIfEEEEPS6_NSA_18transform_iteratorINSB_9not_fun_tINSA_8identityIfEEEESF_NSA_11use_defaultESM_EENS0_5tupleIJSF_S6_EEENSO_IJSG_SG_EEES6_PlJS6_EEE10hipError_tPvRmT3_T4_T5_T6_T7_T9_mT8_P12ihipStream_tbDpT10_ENKUlT_T0_E_clISt17integral_constantIbLb1EES1B_EEDaS16_S17_EUlS16_E_NS1_11comp_targetILNS1_3genE10ELNS1_11target_archE1200ELNS1_3gpuE4ELNS1_3repE0EEENS1_30default_config_static_selectorELNS0_4arch9wavefront6targetE0EEEvT1_
    .private_segment_fixed_size: 0
    .sgpr_count:     0
    .sgpr_spill_count: 0
    .symbol:         _ZN7rocprim17ROCPRIM_400000_NS6detail17trampoline_kernelINS0_14default_configENS1_25partition_config_selectorILNS1_17partition_subalgoE5EfNS0_10empty_typeEbEEZZNS1_14partition_implILS5_5ELb0ES3_mN6thrust23THRUST_200600_302600_NS6detail15normal_iteratorINSA_10device_ptrIfEEEEPS6_NSA_18transform_iteratorINSB_9not_fun_tINSA_8identityIfEEEESF_NSA_11use_defaultESM_EENS0_5tupleIJSF_S6_EEENSO_IJSG_SG_EEES6_PlJS6_EEE10hipError_tPvRmT3_T4_T5_T6_T7_T9_mT8_P12ihipStream_tbDpT10_ENKUlT_T0_E_clISt17integral_constantIbLb1EES1B_EEDaS16_S17_EUlS16_E_NS1_11comp_targetILNS1_3genE10ELNS1_11target_archE1200ELNS1_3gpuE4ELNS1_3repE0EEENS1_30default_config_static_selectorELNS0_4arch9wavefront6targetE0EEEvT1_.kd
    .uniform_work_group_size: 1
    .uses_dynamic_stack: false
    .vgpr_count:     0
    .vgpr_spill_count: 0
    .wavefront_size: 32
    .workgroup_processor_mode: 1
  - .args:
      - .offset:         0
        .size:           136
        .value_kind:     by_value
    .group_segment_fixed_size: 0
    .kernarg_segment_align: 8
    .kernarg_segment_size: 136
    .language:       OpenCL C
    .language_version:
      - 2
      - 0
    .max_flat_workgroup_size: 128
    .name:           _ZN7rocprim17ROCPRIM_400000_NS6detail17trampoline_kernelINS0_14default_configENS1_25partition_config_selectorILNS1_17partition_subalgoE5EfNS0_10empty_typeEbEEZZNS1_14partition_implILS5_5ELb0ES3_mN6thrust23THRUST_200600_302600_NS6detail15normal_iteratorINSA_10device_ptrIfEEEEPS6_NSA_18transform_iteratorINSB_9not_fun_tINSA_8identityIfEEEESF_NSA_11use_defaultESM_EENS0_5tupleIJSF_S6_EEENSO_IJSG_SG_EEES6_PlJS6_EEE10hipError_tPvRmT3_T4_T5_T6_T7_T9_mT8_P12ihipStream_tbDpT10_ENKUlT_T0_E_clISt17integral_constantIbLb1EES1B_EEDaS16_S17_EUlS16_E_NS1_11comp_targetILNS1_3genE9ELNS1_11target_archE1100ELNS1_3gpuE3ELNS1_3repE0EEENS1_30default_config_static_selectorELNS0_4arch9wavefront6targetE0EEEvT1_
    .private_segment_fixed_size: 0
    .sgpr_count:     0
    .sgpr_spill_count: 0
    .symbol:         _ZN7rocprim17ROCPRIM_400000_NS6detail17trampoline_kernelINS0_14default_configENS1_25partition_config_selectorILNS1_17partition_subalgoE5EfNS0_10empty_typeEbEEZZNS1_14partition_implILS5_5ELb0ES3_mN6thrust23THRUST_200600_302600_NS6detail15normal_iteratorINSA_10device_ptrIfEEEEPS6_NSA_18transform_iteratorINSB_9not_fun_tINSA_8identityIfEEEESF_NSA_11use_defaultESM_EENS0_5tupleIJSF_S6_EEENSO_IJSG_SG_EEES6_PlJS6_EEE10hipError_tPvRmT3_T4_T5_T6_T7_T9_mT8_P12ihipStream_tbDpT10_ENKUlT_T0_E_clISt17integral_constantIbLb1EES1B_EEDaS16_S17_EUlS16_E_NS1_11comp_targetILNS1_3genE9ELNS1_11target_archE1100ELNS1_3gpuE3ELNS1_3repE0EEENS1_30default_config_static_selectorELNS0_4arch9wavefront6targetE0EEEvT1_.kd
    .uniform_work_group_size: 1
    .uses_dynamic_stack: false
    .vgpr_count:     0
    .vgpr_spill_count: 0
    .wavefront_size: 32
    .workgroup_processor_mode: 1
  - .args:
      - .offset:         0
        .size:           136
        .value_kind:     by_value
    .group_segment_fixed_size: 0
    .kernarg_segment_align: 8
    .kernarg_segment_size: 136
    .language:       OpenCL C
    .language_version:
      - 2
      - 0
    .max_flat_workgroup_size: 512
    .name:           _ZN7rocprim17ROCPRIM_400000_NS6detail17trampoline_kernelINS0_14default_configENS1_25partition_config_selectorILNS1_17partition_subalgoE5EfNS0_10empty_typeEbEEZZNS1_14partition_implILS5_5ELb0ES3_mN6thrust23THRUST_200600_302600_NS6detail15normal_iteratorINSA_10device_ptrIfEEEEPS6_NSA_18transform_iteratorINSB_9not_fun_tINSA_8identityIfEEEESF_NSA_11use_defaultESM_EENS0_5tupleIJSF_S6_EEENSO_IJSG_SG_EEES6_PlJS6_EEE10hipError_tPvRmT3_T4_T5_T6_T7_T9_mT8_P12ihipStream_tbDpT10_ENKUlT_T0_E_clISt17integral_constantIbLb1EES1B_EEDaS16_S17_EUlS16_E_NS1_11comp_targetILNS1_3genE8ELNS1_11target_archE1030ELNS1_3gpuE2ELNS1_3repE0EEENS1_30default_config_static_selectorELNS0_4arch9wavefront6targetE0EEEvT1_
    .private_segment_fixed_size: 0
    .sgpr_count:     0
    .sgpr_spill_count: 0
    .symbol:         _ZN7rocprim17ROCPRIM_400000_NS6detail17trampoline_kernelINS0_14default_configENS1_25partition_config_selectorILNS1_17partition_subalgoE5EfNS0_10empty_typeEbEEZZNS1_14partition_implILS5_5ELb0ES3_mN6thrust23THRUST_200600_302600_NS6detail15normal_iteratorINSA_10device_ptrIfEEEEPS6_NSA_18transform_iteratorINSB_9not_fun_tINSA_8identityIfEEEESF_NSA_11use_defaultESM_EENS0_5tupleIJSF_S6_EEENSO_IJSG_SG_EEES6_PlJS6_EEE10hipError_tPvRmT3_T4_T5_T6_T7_T9_mT8_P12ihipStream_tbDpT10_ENKUlT_T0_E_clISt17integral_constantIbLb1EES1B_EEDaS16_S17_EUlS16_E_NS1_11comp_targetILNS1_3genE8ELNS1_11target_archE1030ELNS1_3gpuE2ELNS1_3repE0EEENS1_30default_config_static_selectorELNS0_4arch9wavefront6targetE0EEEvT1_.kd
    .uniform_work_group_size: 1
    .uses_dynamic_stack: false
    .vgpr_count:     0
    .vgpr_spill_count: 0
    .wavefront_size: 32
    .workgroup_processor_mode: 1
  - .args:
      - .offset:         0
        .size:           120
        .value_kind:     by_value
    .group_segment_fixed_size: 0
    .kernarg_segment_align: 8
    .kernarg_segment_size: 120
    .language:       OpenCL C
    .language_version:
      - 2
      - 0
    .max_flat_workgroup_size: 512
    .name:           _ZN7rocprim17ROCPRIM_400000_NS6detail17trampoline_kernelINS0_14default_configENS1_25partition_config_selectorILNS1_17partition_subalgoE5EfNS0_10empty_typeEbEEZZNS1_14partition_implILS5_5ELb0ES3_mN6thrust23THRUST_200600_302600_NS6detail15normal_iteratorINSA_10device_ptrIfEEEEPS6_NSA_18transform_iteratorINSB_9not_fun_tINSA_8identityIfEEEESF_NSA_11use_defaultESM_EENS0_5tupleIJSF_S6_EEENSO_IJSG_SG_EEES6_PlJS6_EEE10hipError_tPvRmT3_T4_T5_T6_T7_T9_mT8_P12ihipStream_tbDpT10_ENKUlT_T0_E_clISt17integral_constantIbLb1EES1A_IbLb0EEEEDaS16_S17_EUlS16_E_NS1_11comp_targetILNS1_3genE0ELNS1_11target_archE4294967295ELNS1_3gpuE0ELNS1_3repE0EEENS1_30default_config_static_selectorELNS0_4arch9wavefront6targetE0EEEvT1_
    .private_segment_fixed_size: 0
    .sgpr_count:     0
    .sgpr_spill_count: 0
    .symbol:         _ZN7rocprim17ROCPRIM_400000_NS6detail17trampoline_kernelINS0_14default_configENS1_25partition_config_selectorILNS1_17partition_subalgoE5EfNS0_10empty_typeEbEEZZNS1_14partition_implILS5_5ELb0ES3_mN6thrust23THRUST_200600_302600_NS6detail15normal_iteratorINSA_10device_ptrIfEEEEPS6_NSA_18transform_iteratorINSB_9not_fun_tINSA_8identityIfEEEESF_NSA_11use_defaultESM_EENS0_5tupleIJSF_S6_EEENSO_IJSG_SG_EEES6_PlJS6_EEE10hipError_tPvRmT3_T4_T5_T6_T7_T9_mT8_P12ihipStream_tbDpT10_ENKUlT_T0_E_clISt17integral_constantIbLb1EES1A_IbLb0EEEEDaS16_S17_EUlS16_E_NS1_11comp_targetILNS1_3genE0ELNS1_11target_archE4294967295ELNS1_3gpuE0ELNS1_3repE0EEENS1_30default_config_static_selectorELNS0_4arch9wavefront6targetE0EEEvT1_.kd
    .uniform_work_group_size: 1
    .uses_dynamic_stack: false
    .vgpr_count:     0
    .vgpr_spill_count: 0
    .wavefront_size: 32
    .workgroup_processor_mode: 1
  - .args:
      - .offset:         0
        .size:           120
        .value_kind:     by_value
    .group_segment_fixed_size: 0
    .kernarg_segment_align: 8
    .kernarg_segment_size: 120
    .language:       OpenCL C
    .language_version:
      - 2
      - 0
    .max_flat_workgroup_size: 512
    .name:           _ZN7rocprim17ROCPRIM_400000_NS6detail17trampoline_kernelINS0_14default_configENS1_25partition_config_selectorILNS1_17partition_subalgoE5EfNS0_10empty_typeEbEEZZNS1_14partition_implILS5_5ELb0ES3_mN6thrust23THRUST_200600_302600_NS6detail15normal_iteratorINSA_10device_ptrIfEEEEPS6_NSA_18transform_iteratorINSB_9not_fun_tINSA_8identityIfEEEESF_NSA_11use_defaultESM_EENS0_5tupleIJSF_S6_EEENSO_IJSG_SG_EEES6_PlJS6_EEE10hipError_tPvRmT3_T4_T5_T6_T7_T9_mT8_P12ihipStream_tbDpT10_ENKUlT_T0_E_clISt17integral_constantIbLb1EES1A_IbLb0EEEEDaS16_S17_EUlS16_E_NS1_11comp_targetILNS1_3genE5ELNS1_11target_archE942ELNS1_3gpuE9ELNS1_3repE0EEENS1_30default_config_static_selectorELNS0_4arch9wavefront6targetE0EEEvT1_
    .private_segment_fixed_size: 0
    .sgpr_count:     0
    .sgpr_spill_count: 0
    .symbol:         _ZN7rocprim17ROCPRIM_400000_NS6detail17trampoline_kernelINS0_14default_configENS1_25partition_config_selectorILNS1_17partition_subalgoE5EfNS0_10empty_typeEbEEZZNS1_14partition_implILS5_5ELb0ES3_mN6thrust23THRUST_200600_302600_NS6detail15normal_iteratorINSA_10device_ptrIfEEEEPS6_NSA_18transform_iteratorINSB_9not_fun_tINSA_8identityIfEEEESF_NSA_11use_defaultESM_EENS0_5tupleIJSF_S6_EEENSO_IJSG_SG_EEES6_PlJS6_EEE10hipError_tPvRmT3_T4_T5_T6_T7_T9_mT8_P12ihipStream_tbDpT10_ENKUlT_T0_E_clISt17integral_constantIbLb1EES1A_IbLb0EEEEDaS16_S17_EUlS16_E_NS1_11comp_targetILNS1_3genE5ELNS1_11target_archE942ELNS1_3gpuE9ELNS1_3repE0EEENS1_30default_config_static_selectorELNS0_4arch9wavefront6targetE0EEEvT1_.kd
    .uniform_work_group_size: 1
    .uses_dynamic_stack: false
    .vgpr_count:     0
    .vgpr_spill_count: 0
    .wavefront_size: 32
    .workgroup_processor_mode: 1
  - .args:
      - .offset:         0
        .size:           120
        .value_kind:     by_value
    .group_segment_fixed_size: 0
    .kernarg_segment_align: 8
    .kernarg_segment_size: 120
    .language:       OpenCL C
    .language_version:
      - 2
      - 0
    .max_flat_workgroup_size: 256
    .name:           _ZN7rocprim17ROCPRIM_400000_NS6detail17trampoline_kernelINS0_14default_configENS1_25partition_config_selectorILNS1_17partition_subalgoE5EfNS0_10empty_typeEbEEZZNS1_14partition_implILS5_5ELb0ES3_mN6thrust23THRUST_200600_302600_NS6detail15normal_iteratorINSA_10device_ptrIfEEEEPS6_NSA_18transform_iteratorINSB_9not_fun_tINSA_8identityIfEEEESF_NSA_11use_defaultESM_EENS0_5tupleIJSF_S6_EEENSO_IJSG_SG_EEES6_PlJS6_EEE10hipError_tPvRmT3_T4_T5_T6_T7_T9_mT8_P12ihipStream_tbDpT10_ENKUlT_T0_E_clISt17integral_constantIbLb1EES1A_IbLb0EEEEDaS16_S17_EUlS16_E_NS1_11comp_targetILNS1_3genE4ELNS1_11target_archE910ELNS1_3gpuE8ELNS1_3repE0EEENS1_30default_config_static_selectorELNS0_4arch9wavefront6targetE0EEEvT1_
    .private_segment_fixed_size: 0
    .sgpr_count:     0
    .sgpr_spill_count: 0
    .symbol:         _ZN7rocprim17ROCPRIM_400000_NS6detail17trampoline_kernelINS0_14default_configENS1_25partition_config_selectorILNS1_17partition_subalgoE5EfNS0_10empty_typeEbEEZZNS1_14partition_implILS5_5ELb0ES3_mN6thrust23THRUST_200600_302600_NS6detail15normal_iteratorINSA_10device_ptrIfEEEEPS6_NSA_18transform_iteratorINSB_9not_fun_tINSA_8identityIfEEEESF_NSA_11use_defaultESM_EENS0_5tupleIJSF_S6_EEENSO_IJSG_SG_EEES6_PlJS6_EEE10hipError_tPvRmT3_T4_T5_T6_T7_T9_mT8_P12ihipStream_tbDpT10_ENKUlT_T0_E_clISt17integral_constantIbLb1EES1A_IbLb0EEEEDaS16_S17_EUlS16_E_NS1_11comp_targetILNS1_3genE4ELNS1_11target_archE910ELNS1_3gpuE8ELNS1_3repE0EEENS1_30default_config_static_selectorELNS0_4arch9wavefront6targetE0EEEvT1_.kd
    .uniform_work_group_size: 1
    .uses_dynamic_stack: false
    .vgpr_count:     0
    .vgpr_spill_count: 0
    .wavefront_size: 32
    .workgroup_processor_mode: 1
  - .args:
      - .offset:         0
        .size:           120
        .value_kind:     by_value
    .group_segment_fixed_size: 0
    .kernarg_segment_align: 8
    .kernarg_segment_size: 120
    .language:       OpenCL C
    .language_version:
      - 2
      - 0
    .max_flat_workgroup_size: 512
    .name:           _ZN7rocprim17ROCPRIM_400000_NS6detail17trampoline_kernelINS0_14default_configENS1_25partition_config_selectorILNS1_17partition_subalgoE5EfNS0_10empty_typeEbEEZZNS1_14partition_implILS5_5ELb0ES3_mN6thrust23THRUST_200600_302600_NS6detail15normal_iteratorINSA_10device_ptrIfEEEEPS6_NSA_18transform_iteratorINSB_9not_fun_tINSA_8identityIfEEEESF_NSA_11use_defaultESM_EENS0_5tupleIJSF_S6_EEENSO_IJSG_SG_EEES6_PlJS6_EEE10hipError_tPvRmT3_T4_T5_T6_T7_T9_mT8_P12ihipStream_tbDpT10_ENKUlT_T0_E_clISt17integral_constantIbLb1EES1A_IbLb0EEEEDaS16_S17_EUlS16_E_NS1_11comp_targetILNS1_3genE3ELNS1_11target_archE908ELNS1_3gpuE7ELNS1_3repE0EEENS1_30default_config_static_selectorELNS0_4arch9wavefront6targetE0EEEvT1_
    .private_segment_fixed_size: 0
    .sgpr_count:     0
    .sgpr_spill_count: 0
    .symbol:         _ZN7rocprim17ROCPRIM_400000_NS6detail17trampoline_kernelINS0_14default_configENS1_25partition_config_selectorILNS1_17partition_subalgoE5EfNS0_10empty_typeEbEEZZNS1_14partition_implILS5_5ELb0ES3_mN6thrust23THRUST_200600_302600_NS6detail15normal_iteratorINSA_10device_ptrIfEEEEPS6_NSA_18transform_iteratorINSB_9not_fun_tINSA_8identityIfEEEESF_NSA_11use_defaultESM_EENS0_5tupleIJSF_S6_EEENSO_IJSG_SG_EEES6_PlJS6_EEE10hipError_tPvRmT3_T4_T5_T6_T7_T9_mT8_P12ihipStream_tbDpT10_ENKUlT_T0_E_clISt17integral_constantIbLb1EES1A_IbLb0EEEEDaS16_S17_EUlS16_E_NS1_11comp_targetILNS1_3genE3ELNS1_11target_archE908ELNS1_3gpuE7ELNS1_3repE0EEENS1_30default_config_static_selectorELNS0_4arch9wavefront6targetE0EEEvT1_.kd
    .uniform_work_group_size: 1
    .uses_dynamic_stack: false
    .vgpr_count:     0
    .vgpr_spill_count: 0
    .wavefront_size: 32
    .workgroup_processor_mode: 1
  - .args:
      - .offset:         0
        .size:           120
        .value_kind:     by_value
    .group_segment_fixed_size: 0
    .kernarg_segment_align: 8
    .kernarg_segment_size: 120
    .language:       OpenCL C
    .language_version:
      - 2
      - 0
    .max_flat_workgroup_size: 256
    .name:           _ZN7rocprim17ROCPRIM_400000_NS6detail17trampoline_kernelINS0_14default_configENS1_25partition_config_selectorILNS1_17partition_subalgoE5EfNS0_10empty_typeEbEEZZNS1_14partition_implILS5_5ELb0ES3_mN6thrust23THRUST_200600_302600_NS6detail15normal_iteratorINSA_10device_ptrIfEEEEPS6_NSA_18transform_iteratorINSB_9not_fun_tINSA_8identityIfEEEESF_NSA_11use_defaultESM_EENS0_5tupleIJSF_S6_EEENSO_IJSG_SG_EEES6_PlJS6_EEE10hipError_tPvRmT3_T4_T5_T6_T7_T9_mT8_P12ihipStream_tbDpT10_ENKUlT_T0_E_clISt17integral_constantIbLb1EES1A_IbLb0EEEEDaS16_S17_EUlS16_E_NS1_11comp_targetILNS1_3genE2ELNS1_11target_archE906ELNS1_3gpuE6ELNS1_3repE0EEENS1_30default_config_static_selectorELNS0_4arch9wavefront6targetE0EEEvT1_
    .private_segment_fixed_size: 0
    .sgpr_count:     0
    .sgpr_spill_count: 0
    .symbol:         _ZN7rocprim17ROCPRIM_400000_NS6detail17trampoline_kernelINS0_14default_configENS1_25partition_config_selectorILNS1_17partition_subalgoE5EfNS0_10empty_typeEbEEZZNS1_14partition_implILS5_5ELb0ES3_mN6thrust23THRUST_200600_302600_NS6detail15normal_iteratorINSA_10device_ptrIfEEEEPS6_NSA_18transform_iteratorINSB_9not_fun_tINSA_8identityIfEEEESF_NSA_11use_defaultESM_EENS0_5tupleIJSF_S6_EEENSO_IJSG_SG_EEES6_PlJS6_EEE10hipError_tPvRmT3_T4_T5_T6_T7_T9_mT8_P12ihipStream_tbDpT10_ENKUlT_T0_E_clISt17integral_constantIbLb1EES1A_IbLb0EEEEDaS16_S17_EUlS16_E_NS1_11comp_targetILNS1_3genE2ELNS1_11target_archE906ELNS1_3gpuE6ELNS1_3repE0EEENS1_30default_config_static_selectorELNS0_4arch9wavefront6targetE0EEEvT1_.kd
    .uniform_work_group_size: 1
    .uses_dynamic_stack: false
    .vgpr_count:     0
    .vgpr_spill_count: 0
    .wavefront_size: 32
    .workgroup_processor_mode: 1
  - .args:
      - .offset:         0
        .size:           120
        .value_kind:     by_value
    .group_segment_fixed_size: 0
    .kernarg_segment_align: 8
    .kernarg_segment_size: 120
    .language:       OpenCL C
    .language_version:
      - 2
      - 0
    .max_flat_workgroup_size: 384
    .name:           _ZN7rocprim17ROCPRIM_400000_NS6detail17trampoline_kernelINS0_14default_configENS1_25partition_config_selectorILNS1_17partition_subalgoE5EfNS0_10empty_typeEbEEZZNS1_14partition_implILS5_5ELb0ES3_mN6thrust23THRUST_200600_302600_NS6detail15normal_iteratorINSA_10device_ptrIfEEEEPS6_NSA_18transform_iteratorINSB_9not_fun_tINSA_8identityIfEEEESF_NSA_11use_defaultESM_EENS0_5tupleIJSF_S6_EEENSO_IJSG_SG_EEES6_PlJS6_EEE10hipError_tPvRmT3_T4_T5_T6_T7_T9_mT8_P12ihipStream_tbDpT10_ENKUlT_T0_E_clISt17integral_constantIbLb1EES1A_IbLb0EEEEDaS16_S17_EUlS16_E_NS1_11comp_targetILNS1_3genE10ELNS1_11target_archE1200ELNS1_3gpuE4ELNS1_3repE0EEENS1_30default_config_static_selectorELNS0_4arch9wavefront6targetE0EEEvT1_
    .private_segment_fixed_size: 0
    .sgpr_count:     0
    .sgpr_spill_count: 0
    .symbol:         _ZN7rocprim17ROCPRIM_400000_NS6detail17trampoline_kernelINS0_14default_configENS1_25partition_config_selectorILNS1_17partition_subalgoE5EfNS0_10empty_typeEbEEZZNS1_14partition_implILS5_5ELb0ES3_mN6thrust23THRUST_200600_302600_NS6detail15normal_iteratorINSA_10device_ptrIfEEEEPS6_NSA_18transform_iteratorINSB_9not_fun_tINSA_8identityIfEEEESF_NSA_11use_defaultESM_EENS0_5tupleIJSF_S6_EEENSO_IJSG_SG_EEES6_PlJS6_EEE10hipError_tPvRmT3_T4_T5_T6_T7_T9_mT8_P12ihipStream_tbDpT10_ENKUlT_T0_E_clISt17integral_constantIbLb1EES1A_IbLb0EEEEDaS16_S17_EUlS16_E_NS1_11comp_targetILNS1_3genE10ELNS1_11target_archE1200ELNS1_3gpuE4ELNS1_3repE0EEENS1_30default_config_static_selectorELNS0_4arch9wavefront6targetE0EEEvT1_.kd
    .uniform_work_group_size: 1
    .uses_dynamic_stack: false
    .vgpr_count:     0
    .vgpr_spill_count: 0
    .wavefront_size: 32
    .workgroup_processor_mode: 1
  - .args:
      - .offset:         0
        .size:           120
        .value_kind:     by_value
    .group_segment_fixed_size: 0
    .kernarg_segment_align: 8
    .kernarg_segment_size: 120
    .language:       OpenCL C
    .language_version:
      - 2
      - 0
    .max_flat_workgroup_size: 128
    .name:           _ZN7rocprim17ROCPRIM_400000_NS6detail17trampoline_kernelINS0_14default_configENS1_25partition_config_selectorILNS1_17partition_subalgoE5EfNS0_10empty_typeEbEEZZNS1_14partition_implILS5_5ELb0ES3_mN6thrust23THRUST_200600_302600_NS6detail15normal_iteratorINSA_10device_ptrIfEEEEPS6_NSA_18transform_iteratorINSB_9not_fun_tINSA_8identityIfEEEESF_NSA_11use_defaultESM_EENS0_5tupleIJSF_S6_EEENSO_IJSG_SG_EEES6_PlJS6_EEE10hipError_tPvRmT3_T4_T5_T6_T7_T9_mT8_P12ihipStream_tbDpT10_ENKUlT_T0_E_clISt17integral_constantIbLb1EES1A_IbLb0EEEEDaS16_S17_EUlS16_E_NS1_11comp_targetILNS1_3genE9ELNS1_11target_archE1100ELNS1_3gpuE3ELNS1_3repE0EEENS1_30default_config_static_selectorELNS0_4arch9wavefront6targetE0EEEvT1_
    .private_segment_fixed_size: 0
    .sgpr_count:     0
    .sgpr_spill_count: 0
    .symbol:         _ZN7rocprim17ROCPRIM_400000_NS6detail17trampoline_kernelINS0_14default_configENS1_25partition_config_selectorILNS1_17partition_subalgoE5EfNS0_10empty_typeEbEEZZNS1_14partition_implILS5_5ELb0ES3_mN6thrust23THRUST_200600_302600_NS6detail15normal_iteratorINSA_10device_ptrIfEEEEPS6_NSA_18transform_iteratorINSB_9not_fun_tINSA_8identityIfEEEESF_NSA_11use_defaultESM_EENS0_5tupleIJSF_S6_EEENSO_IJSG_SG_EEES6_PlJS6_EEE10hipError_tPvRmT3_T4_T5_T6_T7_T9_mT8_P12ihipStream_tbDpT10_ENKUlT_T0_E_clISt17integral_constantIbLb1EES1A_IbLb0EEEEDaS16_S17_EUlS16_E_NS1_11comp_targetILNS1_3genE9ELNS1_11target_archE1100ELNS1_3gpuE3ELNS1_3repE0EEENS1_30default_config_static_selectorELNS0_4arch9wavefront6targetE0EEEvT1_.kd
    .uniform_work_group_size: 1
    .uses_dynamic_stack: false
    .vgpr_count:     0
    .vgpr_spill_count: 0
    .wavefront_size: 32
    .workgroup_processor_mode: 1
  - .args:
      - .offset:         0
        .size:           120
        .value_kind:     by_value
    .group_segment_fixed_size: 0
    .kernarg_segment_align: 8
    .kernarg_segment_size: 120
    .language:       OpenCL C
    .language_version:
      - 2
      - 0
    .max_flat_workgroup_size: 512
    .name:           _ZN7rocprim17ROCPRIM_400000_NS6detail17trampoline_kernelINS0_14default_configENS1_25partition_config_selectorILNS1_17partition_subalgoE5EfNS0_10empty_typeEbEEZZNS1_14partition_implILS5_5ELb0ES3_mN6thrust23THRUST_200600_302600_NS6detail15normal_iteratorINSA_10device_ptrIfEEEEPS6_NSA_18transform_iteratorINSB_9not_fun_tINSA_8identityIfEEEESF_NSA_11use_defaultESM_EENS0_5tupleIJSF_S6_EEENSO_IJSG_SG_EEES6_PlJS6_EEE10hipError_tPvRmT3_T4_T5_T6_T7_T9_mT8_P12ihipStream_tbDpT10_ENKUlT_T0_E_clISt17integral_constantIbLb1EES1A_IbLb0EEEEDaS16_S17_EUlS16_E_NS1_11comp_targetILNS1_3genE8ELNS1_11target_archE1030ELNS1_3gpuE2ELNS1_3repE0EEENS1_30default_config_static_selectorELNS0_4arch9wavefront6targetE0EEEvT1_
    .private_segment_fixed_size: 0
    .sgpr_count:     0
    .sgpr_spill_count: 0
    .symbol:         _ZN7rocprim17ROCPRIM_400000_NS6detail17trampoline_kernelINS0_14default_configENS1_25partition_config_selectorILNS1_17partition_subalgoE5EfNS0_10empty_typeEbEEZZNS1_14partition_implILS5_5ELb0ES3_mN6thrust23THRUST_200600_302600_NS6detail15normal_iteratorINSA_10device_ptrIfEEEEPS6_NSA_18transform_iteratorINSB_9not_fun_tINSA_8identityIfEEEESF_NSA_11use_defaultESM_EENS0_5tupleIJSF_S6_EEENSO_IJSG_SG_EEES6_PlJS6_EEE10hipError_tPvRmT3_T4_T5_T6_T7_T9_mT8_P12ihipStream_tbDpT10_ENKUlT_T0_E_clISt17integral_constantIbLb1EES1A_IbLb0EEEEDaS16_S17_EUlS16_E_NS1_11comp_targetILNS1_3genE8ELNS1_11target_archE1030ELNS1_3gpuE2ELNS1_3repE0EEENS1_30default_config_static_selectorELNS0_4arch9wavefront6targetE0EEEvT1_.kd
    .uniform_work_group_size: 1
    .uses_dynamic_stack: false
    .vgpr_count:     0
    .vgpr_spill_count: 0
    .wavefront_size: 32
    .workgroup_processor_mode: 1
  - .args:
      - .offset:         0
        .size:           136
        .value_kind:     by_value
    .group_segment_fixed_size: 0
    .kernarg_segment_align: 8
    .kernarg_segment_size: 136
    .language:       OpenCL C
    .language_version:
      - 2
      - 0
    .max_flat_workgroup_size: 512
    .name:           _ZN7rocprim17ROCPRIM_400000_NS6detail17trampoline_kernelINS0_14default_configENS1_25partition_config_selectorILNS1_17partition_subalgoE5EfNS0_10empty_typeEbEEZZNS1_14partition_implILS5_5ELb0ES3_mN6thrust23THRUST_200600_302600_NS6detail15normal_iteratorINSA_10device_ptrIfEEEEPS6_NSA_18transform_iteratorINSB_9not_fun_tINSA_8identityIfEEEESF_NSA_11use_defaultESM_EENS0_5tupleIJSF_S6_EEENSO_IJSG_SG_EEES6_PlJS6_EEE10hipError_tPvRmT3_T4_T5_T6_T7_T9_mT8_P12ihipStream_tbDpT10_ENKUlT_T0_E_clISt17integral_constantIbLb0EES1A_IbLb1EEEEDaS16_S17_EUlS16_E_NS1_11comp_targetILNS1_3genE0ELNS1_11target_archE4294967295ELNS1_3gpuE0ELNS1_3repE0EEENS1_30default_config_static_selectorELNS0_4arch9wavefront6targetE0EEEvT1_
    .private_segment_fixed_size: 0
    .sgpr_count:     0
    .sgpr_spill_count: 0
    .symbol:         _ZN7rocprim17ROCPRIM_400000_NS6detail17trampoline_kernelINS0_14default_configENS1_25partition_config_selectorILNS1_17partition_subalgoE5EfNS0_10empty_typeEbEEZZNS1_14partition_implILS5_5ELb0ES3_mN6thrust23THRUST_200600_302600_NS6detail15normal_iteratorINSA_10device_ptrIfEEEEPS6_NSA_18transform_iteratorINSB_9not_fun_tINSA_8identityIfEEEESF_NSA_11use_defaultESM_EENS0_5tupleIJSF_S6_EEENSO_IJSG_SG_EEES6_PlJS6_EEE10hipError_tPvRmT3_T4_T5_T6_T7_T9_mT8_P12ihipStream_tbDpT10_ENKUlT_T0_E_clISt17integral_constantIbLb0EES1A_IbLb1EEEEDaS16_S17_EUlS16_E_NS1_11comp_targetILNS1_3genE0ELNS1_11target_archE4294967295ELNS1_3gpuE0ELNS1_3repE0EEENS1_30default_config_static_selectorELNS0_4arch9wavefront6targetE0EEEvT1_.kd
    .uniform_work_group_size: 1
    .uses_dynamic_stack: false
    .vgpr_count:     0
    .vgpr_spill_count: 0
    .wavefront_size: 32
    .workgroup_processor_mode: 1
  - .args:
      - .offset:         0
        .size:           136
        .value_kind:     by_value
    .group_segment_fixed_size: 0
    .kernarg_segment_align: 8
    .kernarg_segment_size: 136
    .language:       OpenCL C
    .language_version:
      - 2
      - 0
    .max_flat_workgroup_size: 512
    .name:           _ZN7rocprim17ROCPRIM_400000_NS6detail17trampoline_kernelINS0_14default_configENS1_25partition_config_selectorILNS1_17partition_subalgoE5EfNS0_10empty_typeEbEEZZNS1_14partition_implILS5_5ELb0ES3_mN6thrust23THRUST_200600_302600_NS6detail15normal_iteratorINSA_10device_ptrIfEEEEPS6_NSA_18transform_iteratorINSB_9not_fun_tINSA_8identityIfEEEESF_NSA_11use_defaultESM_EENS0_5tupleIJSF_S6_EEENSO_IJSG_SG_EEES6_PlJS6_EEE10hipError_tPvRmT3_T4_T5_T6_T7_T9_mT8_P12ihipStream_tbDpT10_ENKUlT_T0_E_clISt17integral_constantIbLb0EES1A_IbLb1EEEEDaS16_S17_EUlS16_E_NS1_11comp_targetILNS1_3genE5ELNS1_11target_archE942ELNS1_3gpuE9ELNS1_3repE0EEENS1_30default_config_static_selectorELNS0_4arch9wavefront6targetE0EEEvT1_
    .private_segment_fixed_size: 0
    .sgpr_count:     0
    .sgpr_spill_count: 0
    .symbol:         _ZN7rocprim17ROCPRIM_400000_NS6detail17trampoline_kernelINS0_14default_configENS1_25partition_config_selectorILNS1_17partition_subalgoE5EfNS0_10empty_typeEbEEZZNS1_14partition_implILS5_5ELb0ES3_mN6thrust23THRUST_200600_302600_NS6detail15normal_iteratorINSA_10device_ptrIfEEEEPS6_NSA_18transform_iteratorINSB_9not_fun_tINSA_8identityIfEEEESF_NSA_11use_defaultESM_EENS0_5tupleIJSF_S6_EEENSO_IJSG_SG_EEES6_PlJS6_EEE10hipError_tPvRmT3_T4_T5_T6_T7_T9_mT8_P12ihipStream_tbDpT10_ENKUlT_T0_E_clISt17integral_constantIbLb0EES1A_IbLb1EEEEDaS16_S17_EUlS16_E_NS1_11comp_targetILNS1_3genE5ELNS1_11target_archE942ELNS1_3gpuE9ELNS1_3repE0EEENS1_30default_config_static_selectorELNS0_4arch9wavefront6targetE0EEEvT1_.kd
    .uniform_work_group_size: 1
    .uses_dynamic_stack: false
    .vgpr_count:     0
    .vgpr_spill_count: 0
    .wavefront_size: 32
    .workgroup_processor_mode: 1
  - .args:
      - .offset:         0
        .size:           136
        .value_kind:     by_value
    .group_segment_fixed_size: 0
    .kernarg_segment_align: 8
    .kernarg_segment_size: 136
    .language:       OpenCL C
    .language_version:
      - 2
      - 0
    .max_flat_workgroup_size: 256
    .name:           _ZN7rocprim17ROCPRIM_400000_NS6detail17trampoline_kernelINS0_14default_configENS1_25partition_config_selectorILNS1_17partition_subalgoE5EfNS0_10empty_typeEbEEZZNS1_14partition_implILS5_5ELb0ES3_mN6thrust23THRUST_200600_302600_NS6detail15normal_iteratorINSA_10device_ptrIfEEEEPS6_NSA_18transform_iteratorINSB_9not_fun_tINSA_8identityIfEEEESF_NSA_11use_defaultESM_EENS0_5tupleIJSF_S6_EEENSO_IJSG_SG_EEES6_PlJS6_EEE10hipError_tPvRmT3_T4_T5_T6_T7_T9_mT8_P12ihipStream_tbDpT10_ENKUlT_T0_E_clISt17integral_constantIbLb0EES1A_IbLb1EEEEDaS16_S17_EUlS16_E_NS1_11comp_targetILNS1_3genE4ELNS1_11target_archE910ELNS1_3gpuE8ELNS1_3repE0EEENS1_30default_config_static_selectorELNS0_4arch9wavefront6targetE0EEEvT1_
    .private_segment_fixed_size: 0
    .sgpr_count:     0
    .sgpr_spill_count: 0
    .symbol:         _ZN7rocprim17ROCPRIM_400000_NS6detail17trampoline_kernelINS0_14default_configENS1_25partition_config_selectorILNS1_17partition_subalgoE5EfNS0_10empty_typeEbEEZZNS1_14partition_implILS5_5ELb0ES3_mN6thrust23THRUST_200600_302600_NS6detail15normal_iteratorINSA_10device_ptrIfEEEEPS6_NSA_18transform_iteratorINSB_9not_fun_tINSA_8identityIfEEEESF_NSA_11use_defaultESM_EENS0_5tupleIJSF_S6_EEENSO_IJSG_SG_EEES6_PlJS6_EEE10hipError_tPvRmT3_T4_T5_T6_T7_T9_mT8_P12ihipStream_tbDpT10_ENKUlT_T0_E_clISt17integral_constantIbLb0EES1A_IbLb1EEEEDaS16_S17_EUlS16_E_NS1_11comp_targetILNS1_3genE4ELNS1_11target_archE910ELNS1_3gpuE8ELNS1_3repE0EEENS1_30default_config_static_selectorELNS0_4arch9wavefront6targetE0EEEvT1_.kd
    .uniform_work_group_size: 1
    .uses_dynamic_stack: false
    .vgpr_count:     0
    .vgpr_spill_count: 0
    .wavefront_size: 32
    .workgroup_processor_mode: 1
  - .args:
      - .offset:         0
        .size:           136
        .value_kind:     by_value
    .group_segment_fixed_size: 0
    .kernarg_segment_align: 8
    .kernarg_segment_size: 136
    .language:       OpenCL C
    .language_version:
      - 2
      - 0
    .max_flat_workgroup_size: 512
    .name:           _ZN7rocprim17ROCPRIM_400000_NS6detail17trampoline_kernelINS0_14default_configENS1_25partition_config_selectorILNS1_17partition_subalgoE5EfNS0_10empty_typeEbEEZZNS1_14partition_implILS5_5ELb0ES3_mN6thrust23THRUST_200600_302600_NS6detail15normal_iteratorINSA_10device_ptrIfEEEEPS6_NSA_18transform_iteratorINSB_9not_fun_tINSA_8identityIfEEEESF_NSA_11use_defaultESM_EENS0_5tupleIJSF_S6_EEENSO_IJSG_SG_EEES6_PlJS6_EEE10hipError_tPvRmT3_T4_T5_T6_T7_T9_mT8_P12ihipStream_tbDpT10_ENKUlT_T0_E_clISt17integral_constantIbLb0EES1A_IbLb1EEEEDaS16_S17_EUlS16_E_NS1_11comp_targetILNS1_3genE3ELNS1_11target_archE908ELNS1_3gpuE7ELNS1_3repE0EEENS1_30default_config_static_selectorELNS0_4arch9wavefront6targetE0EEEvT1_
    .private_segment_fixed_size: 0
    .sgpr_count:     0
    .sgpr_spill_count: 0
    .symbol:         _ZN7rocprim17ROCPRIM_400000_NS6detail17trampoline_kernelINS0_14default_configENS1_25partition_config_selectorILNS1_17partition_subalgoE5EfNS0_10empty_typeEbEEZZNS1_14partition_implILS5_5ELb0ES3_mN6thrust23THRUST_200600_302600_NS6detail15normal_iteratorINSA_10device_ptrIfEEEEPS6_NSA_18transform_iteratorINSB_9not_fun_tINSA_8identityIfEEEESF_NSA_11use_defaultESM_EENS0_5tupleIJSF_S6_EEENSO_IJSG_SG_EEES6_PlJS6_EEE10hipError_tPvRmT3_T4_T5_T6_T7_T9_mT8_P12ihipStream_tbDpT10_ENKUlT_T0_E_clISt17integral_constantIbLb0EES1A_IbLb1EEEEDaS16_S17_EUlS16_E_NS1_11comp_targetILNS1_3genE3ELNS1_11target_archE908ELNS1_3gpuE7ELNS1_3repE0EEENS1_30default_config_static_selectorELNS0_4arch9wavefront6targetE0EEEvT1_.kd
    .uniform_work_group_size: 1
    .uses_dynamic_stack: false
    .vgpr_count:     0
    .vgpr_spill_count: 0
    .wavefront_size: 32
    .workgroup_processor_mode: 1
  - .args:
      - .offset:         0
        .size:           136
        .value_kind:     by_value
    .group_segment_fixed_size: 0
    .kernarg_segment_align: 8
    .kernarg_segment_size: 136
    .language:       OpenCL C
    .language_version:
      - 2
      - 0
    .max_flat_workgroup_size: 256
    .name:           _ZN7rocprim17ROCPRIM_400000_NS6detail17trampoline_kernelINS0_14default_configENS1_25partition_config_selectorILNS1_17partition_subalgoE5EfNS0_10empty_typeEbEEZZNS1_14partition_implILS5_5ELb0ES3_mN6thrust23THRUST_200600_302600_NS6detail15normal_iteratorINSA_10device_ptrIfEEEEPS6_NSA_18transform_iteratorINSB_9not_fun_tINSA_8identityIfEEEESF_NSA_11use_defaultESM_EENS0_5tupleIJSF_S6_EEENSO_IJSG_SG_EEES6_PlJS6_EEE10hipError_tPvRmT3_T4_T5_T6_T7_T9_mT8_P12ihipStream_tbDpT10_ENKUlT_T0_E_clISt17integral_constantIbLb0EES1A_IbLb1EEEEDaS16_S17_EUlS16_E_NS1_11comp_targetILNS1_3genE2ELNS1_11target_archE906ELNS1_3gpuE6ELNS1_3repE0EEENS1_30default_config_static_selectorELNS0_4arch9wavefront6targetE0EEEvT1_
    .private_segment_fixed_size: 0
    .sgpr_count:     0
    .sgpr_spill_count: 0
    .symbol:         _ZN7rocprim17ROCPRIM_400000_NS6detail17trampoline_kernelINS0_14default_configENS1_25partition_config_selectorILNS1_17partition_subalgoE5EfNS0_10empty_typeEbEEZZNS1_14partition_implILS5_5ELb0ES3_mN6thrust23THRUST_200600_302600_NS6detail15normal_iteratorINSA_10device_ptrIfEEEEPS6_NSA_18transform_iteratorINSB_9not_fun_tINSA_8identityIfEEEESF_NSA_11use_defaultESM_EENS0_5tupleIJSF_S6_EEENSO_IJSG_SG_EEES6_PlJS6_EEE10hipError_tPvRmT3_T4_T5_T6_T7_T9_mT8_P12ihipStream_tbDpT10_ENKUlT_T0_E_clISt17integral_constantIbLb0EES1A_IbLb1EEEEDaS16_S17_EUlS16_E_NS1_11comp_targetILNS1_3genE2ELNS1_11target_archE906ELNS1_3gpuE6ELNS1_3repE0EEENS1_30default_config_static_selectorELNS0_4arch9wavefront6targetE0EEEvT1_.kd
    .uniform_work_group_size: 1
    .uses_dynamic_stack: false
    .vgpr_count:     0
    .vgpr_spill_count: 0
    .wavefront_size: 32
    .workgroup_processor_mode: 1
  - .args:
      - .offset:         0
        .size:           136
        .value_kind:     by_value
    .group_segment_fixed_size: 10768
    .kernarg_segment_align: 8
    .kernarg_segment_size: 136
    .language:       OpenCL C
    .language_version:
      - 2
      - 0
    .max_flat_workgroup_size: 384
    .name:           _ZN7rocprim17ROCPRIM_400000_NS6detail17trampoline_kernelINS0_14default_configENS1_25partition_config_selectorILNS1_17partition_subalgoE5EfNS0_10empty_typeEbEEZZNS1_14partition_implILS5_5ELb0ES3_mN6thrust23THRUST_200600_302600_NS6detail15normal_iteratorINSA_10device_ptrIfEEEEPS6_NSA_18transform_iteratorINSB_9not_fun_tINSA_8identityIfEEEESF_NSA_11use_defaultESM_EENS0_5tupleIJSF_S6_EEENSO_IJSG_SG_EEES6_PlJS6_EEE10hipError_tPvRmT3_T4_T5_T6_T7_T9_mT8_P12ihipStream_tbDpT10_ENKUlT_T0_E_clISt17integral_constantIbLb0EES1A_IbLb1EEEEDaS16_S17_EUlS16_E_NS1_11comp_targetILNS1_3genE10ELNS1_11target_archE1200ELNS1_3gpuE4ELNS1_3repE0EEENS1_30default_config_static_selectorELNS0_4arch9wavefront6targetE0EEEvT1_
    .private_segment_fixed_size: 0
    .sgpr_count:     26
    .sgpr_spill_count: 0
    .symbol:         _ZN7rocprim17ROCPRIM_400000_NS6detail17trampoline_kernelINS0_14default_configENS1_25partition_config_selectorILNS1_17partition_subalgoE5EfNS0_10empty_typeEbEEZZNS1_14partition_implILS5_5ELb0ES3_mN6thrust23THRUST_200600_302600_NS6detail15normal_iteratorINSA_10device_ptrIfEEEEPS6_NSA_18transform_iteratorINSB_9not_fun_tINSA_8identityIfEEEESF_NSA_11use_defaultESM_EENS0_5tupleIJSF_S6_EEENSO_IJSG_SG_EEES6_PlJS6_EEE10hipError_tPvRmT3_T4_T5_T6_T7_T9_mT8_P12ihipStream_tbDpT10_ENKUlT_T0_E_clISt17integral_constantIbLb0EES1A_IbLb1EEEEDaS16_S17_EUlS16_E_NS1_11comp_targetILNS1_3genE10ELNS1_11target_archE1200ELNS1_3gpuE4ELNS1_3repE0EEENS1_30default_config_static_selectorELNS0_4arch9wavefront6targetE0EEEvT1_.kd
    .uniform_work_group_size: 1
    .uses_dynamic_stack: false
    .vgpr_count:     49
    .vgpr_spill_count: 0
    .wavefront_size: 32
    .workgroup_processor_mode: 1
  - .args:
      - .offset:         0
        .size:           136
        .value_kind:     by_value
    .group_segment_fixed_size: 0
    .kernarg_segment_align: 8
    .kernarg_segment_size: 136
    .language:       OpenCL C
    .language_version:
      - 2
      - 0
    .max_flat_workgroup_size: 128
    .name:           _ZN7rocprim17ROCPRIM_400000_NS6detail17trampoline_kernelINS0_14default_configENS1_25partition_config_selectorILNS1_17partition_subalgoE5EfNS0_10empty_typeEbEEZZNS1_14partition_implILS5_5ELb0ES3_mN6thrust23THRUST_200600_302600_NS6detail15normal_iteratorINSA_10device_ptrIfEEEEPS6_NSA_18transform_iteratorINSB_9not_fun_tINSA_8identityIfEEEESF_NSA_11use_defaultESM_EENS0_5tupleIJSF_S6_EEENSO_IJSG_SG_EEES6_PlJS6_EEE10hipError_tPvRmT3_T4_T5_T6_T7_T9_mT8_P12ihipStream_tbDpT10_ENKUlT_T0_E_clISt17integral_constantIbLb0EES1A_IbLb1EEEEDaS16_S17_EUlS16_E_NS1_11comp_targetILNS1_3genE9ELNS1_11target_archE1100ELNS1_3gpuE3ELNS1_3repE0EEENS1_30default_config_static_selectorELNS0_4arch9wavefront6targetE0EEEvT1_
    .private_segment_fixed_size: 0
    .sgpr_count:     0
    .sgpr_spill_count: 0
    .symbol:         _ZN7rocprim17ROCPRIM_400000_NS6detail17trampoline_kernelINS0_14default_configENS1_25partition_config_selectorILNS1_17partition_subalgoE5EfNS0_10empty_typeEbEEZZNS1_14partition_implILS5_5ELb0ES3_mN6thrust23THRUST_200600_302600_NS6detail15normal_iteratorINSA_10device_ptrIfEEEEPS6_NSA_18transform_iteratorINSB_9not_fun_tINSA_8identityIfEEEESF_NSA_11use_defaultESM_EENS0_5tupleIJSF_S6_EEENSO_IJSG_SG_EEES6_PlJS6_EEE10hipError_tPvRmT3_T4_T5_T6_T7_T9_mT8_P12ihipStream_tbDpT10_ENKUlT_T0_E_clISt17integral_constantIbLb0EES1A_IbLb1EEEEDaS16_S17_EUlS16_E_NS1_11comp_targetILNS1_3genE9ELNS1_11target_archE1100ELNS1_3gpuE3ELNS1_3repE0EEENS1_30default_config_static_selectorELNS0_4arch9wavefront6targetE0EEEvT1_.kd
    .uniform_work_group_size: 1
    .uses_dynamic_stack: false
    .vgpr_count:     0
    .vgpr_spill_count: 0
    .wavefront_size: 32
    .workgroup_processor_mode: 1
  - .args:
      - .offset:         0
        .size:           136
        .value_kind:     by_value
    .group_segment_fixed_size: 0
    .kernarg_segment_align: 8
    .kernarg_segment_size: 136
    .language:       OpenCL C
    .language_version:
      - 2
      - 0
    .max_flat_workgroup_size: 512
    .name:           _ZN7rocprim17ROCPRIM_400000_NS6detail17trampoline_kernelINS0_14default_configENS1_25partition_config_selectorILNS1_17partition_subalgoE5EfNS0_10empty_typeEbEEZZNS1_14partition_implILS5_5ELb0ES3_mN6thrust23THRUST_200600_302600_NS6detail15normal_iteratorINSA_10device_ptrIfEEEEPS6_NSA_18transform_iteratorINSB_9not_fun_tINSA_8identityIfEEEESF_NSA_11use_defaultESM_EENS0_5tupleIJSF_S6_EEENSO_IJSG_SG_EEES6_PlJS6_EEE10hipError_tPvRmT3_T4_T5_T6_T7_T9_mT8_P12ihipStream_tbDpT10_ENKUlT_T0_E_clISt17integral_constantIbLb0EES1A_IbLb1EEEEDaS16_S17_EUlS16_E_NS1_11comp_targetILNS1_3genE8ELNS1_11target_archE1030ELNS1_3gpuE2ELNS1_3repE0EEENS1_30default_config_static_selectorELNS0_4arch9wavefront6targetE0EEEvT1_
    .private_segment_fixed_size: 0
    .sgpr_count:     0
    .sgpr_spill_count: 0
    .symbol:         _ZN7rocprim17ROCPRIM_400000_NS6detail17trampoline_kernelINS0_14default_configENS1_25partition_config_selectorILNS1_17partition_subalgoE5EfNS0_10empty_typeEbEEZZNS1_14partition_implILS5_5ELb0ES3_mN6thrust23THRUST_200600_302600_NS6detail15normal_iteratorINSA_10device_ptrIfEEEEPS6_NSA_18transform_iteratorINSB_9not_fun_tINSA_8identityIfEEEESF_NSA_11use_defaultESM_EENS0_5tupleIJSF_S6_EEENSO_IJSG_SG_EEES6_PlJS6_EEE10hipError_tPvRmT3_T4_T5_T6_T7_T9_mT8_P12ihipStream_tbDpT10_ENKUlT_T0_E_clISt17integral_constantIbLb0EES1A_IbLb1EEEEDaS16_S17_EUlS16_E_NS1_11comp_targetILNS1_3genE8ELNS1_11target_archE1030ELNS1_3gpuE2ELNS1_3repE0EEENS1_30default_config_static_selectorELNS0_4arch9wavefront6targetE0EEEvT1_.kd
    .uniform_work_group_size: 1
    .uses_dynamic_stack: false
    .vgpr_count:     0
    .vgpr_spill_count: 0
    .wavefront_size: 32
    .workgroup_processor_mode: 1
  - .args:
      - .offset:         0
        .size:           120
        .value_kind:     by_value
    .group_segment_fixed_size: 0
    .kernarg_segment_align: 8
    .kernarg_segment_size: 120
    .language:       OpenCL C
    .language_version:
      - 2
      - 0
    .max_flat_workgroup_size: 128
    .name:           _ZN7rocprim17ROCPRIM_400000_NS6detail17trampoline_kernelINS0_14default_configENS1_25partition_config_selectorILNS1_17partition_subalgoE5EyNS0_10empty_typeEbEEZZNS1_14partition_implILS5_5ELb0ES3_mN6thrust23THRUST_200600_302600_NS6detail15normal_iteratorINSA_10device_ptrIyEEEEPS6_NSA_18transform_iteratorINSB_9not_fun_tINSA_8identityIyEEEESF_NSA_11use_defaultESM_EENS0_5tupleIJSF_S6_EEENSO_IJSG_SG_EEES6_PlJS6_EEE10hipError_tPvRmT3_T4_T5_T6_T7_T9_mT8_P12ihipStream_tbDpT10_ENKUlT_T0_E_clISt17integral_constantIbLb0EES1B_EEDaS16_S17_EUlS16_E_NS1_11comp_targetILNS1_3genE0ELNS1_11target_archE4294967295ELNS1_3gpuE0ELNS1_3repE0EEENS1_30default_config_static_selectorELNS0_4arch9wavefront6targetE0EEEvT1_
    .private_segment_fixed_size: 0
    .sgpr_count:     0
    .sgpr_spill_count: 0
    .symbol:         _ZN7rocprim17ROCPRIM_400000_NS6detail17trampoline_kernelINS0_14default_configENS1_25partition_config_selectorILNS1_17partition_subalgoE5EyNS0_10empty_typeEbEEZZNS1_14partition_implILS5_5ELb0ES3_mN6thrust23THRUST_200600_302600_NS6detail15normal_iteratorINSA_10device_ptrIyEEEEPS6_NSA_18transform_iteratorINSB_9not_fun_tINSA_8identityIyEEEESF_NSA_11use_defaultESM_EENS0_5tupleIJSF_S6_EEENSO_IJSG_SG_EEES6_PlJS6_EEE10hipError_tPvRmT3_T4_T5_T6_T7_T9_mT8_P12ihipStream_tbDpT10_ENKUlT_T0_E_clISt17integral_constantIbLb0EES1B_EEDaS16_S17_EUlS16_E_NS1_11comp_targetILNS1_3genE0ELNS1_11target_archE4294967295ELNS1_3gpuE0ELNS1_3repE0EEENS1_30default_config_static_selectorELNS0_4arch9wavefront6targetE0EEEvT1_.kd
    .uniform_work_group_size: 1
    .uses_dynamic_stack: false
    .vgpr_count:     0
    .vgpr_spill_count: 0
    .wavefront_size: 32
    .workgroup_processor_mode: 1
  - .args:
      - .offset:         0
        .size:           120
        .value_kind:     by_value
    .group_segment_fixed_size: 0
    .kernarg_segment_align: 8
    .kernarg_segment_size: 120
    .language:       OpenCL C
    .language_version:
      - 2
      - 0
    .max_flat_workgroup_size: 512
    .name:           _ZN7rocprim17ROCPRIM_400000_NS6detail17trampoline_kernelINS0_14default_configENS1_25partition_config_selectorILNS1_17partition_subalgoE5EyNS0_10empty_typeEbEEZZNS1_14partition_implILS5_5ELb0ES3_mN6thrust23THRUST_200600_302600_NS6detail15normal_iteratorINSA_10device_ptrIyEEEEPS6_NSA_18transform_iteratorINSB_9not_fun_tINSA_8identityIyEEEESF_NSA_11use_defaultESM_EENS0_5tupleIJSF_S6_EEENSO_IJSG_SG_EEES6_PlJS6_EEE10hipError_tPvRmT3_T4_T5_T6_T7_T9_mT8_P12ihipStream_tbDpT10_ENKUlT_T0_E_clISt17integral_constantIbLb0EES1B_EEDaS16_S17_EUlS16_E_NS1_11comp_targetILNS1_3genE5ELNS1_11target_archE942ELNS1_3gpuE9ELNS1_3repE0EEENS1_30default_config_static_selectorELNS0_4arch9wavefront6targetE0EEEvT1_
    .private_segment_fixed_size: 0
    .sgpr_count:     0
    .sgpr_spill_count: 0
    .symbol:         _ZN7rocprim17ROCPRIM_400000_NS6detail17trampoline_kernelINS0_14default_configENS1_25partition_config_selectorILNS1_17partition_subalgoE5EyNS0_10empty_typeEbEEZZNS1_14partition_implILS5_5ELb0ES3_mN6thrust23THRUST_200600_302600_NS6detail15normal_iteratorINSA_10device_ptrIyEEEEPS6_NSA_18transform_iteratorINSB_9not_fun_tINSA_8identityIyEEEESF_NSA_11use_defaultESM_EENS0_5tupleIJSF_S6_EEENSO_IJSG_SG_EEES6_PlJS6_EEE10hipError_tPvRmT3_T4_T5_T6_T7_T9_mT8_P12ihipStream_tbDpT10_ENKUlT_T0_E_clISt17integral_constantIbLb0EES1B_EEDaS16_S17_EUlS16_E_NS1_11comp_targetILNS1_3genE5ELNS1_11target_archE942ELNS1_3gpuE9ELNS1_3repE0EEENS1_30default_config_static_selectorELNS0_4arch9wavefront6targetE0EEEvT1_.kd
    .uniform_work_group_size: 1
    .uses_dynamic_stack: false
    .vgpr_count:     0
    .vgpr_spill_count: 0
    .wavefront_size: 32
    .workgroup_processor_mode: 1
  - .args:
      - .offset:         0
        .size:           120
        .value_kind:     by_value
    .group_segment_fixed_size: 0
    .kernarg_segment_align: 8
    .kernarg_segment_size: 120
    .language:       OpenCL C
    .language_version:
      - 2
      - 0
    .max_flat_workgroup_size: 192
    .name:           _ZN7rocprim17ROCPRIM_400000_NS6detail17trampoline_kernelINS0_14default_configENS1_25partition_config_selectorILNS1_17partition_subalgoE5EyNS0_10empty_typeEbEEZZNS1_14partition_implILS5_5ELb0ES3_mN6thrust23THRUST_200600_302600_NS6detail15normal_iteratorINSA_10device_ptrIyEEEEPS6_NSA_18transform_iteratorINSB_9not_fun_tINSA_8identityIyEEEESF_NSA_11use_defaultESM_EENS0_5tupleIJSF_S6_EEENSO_IJSG_SG_EEES6_PlJS6_EEE10hipError_tPvRmT3_T4_T5_T6_T7_T9_mT8_P12ihipStream_tbDpT10_ENKUlT_T0_E_clISt17integral_constantIbLb0EES1B_EEDaS16_S17_EUlS16_E_NS1_11comp_targetILNS1_3genE4ELNS1_11target_archE910ELNS1_3gpuE8ELNS1_3repE0EEENS1_30default_config_static_selectorELNS0_4arch9wavefront6targetE0EEEvT1_
    .private_segment_fixed_size: 0
    .sgpr_count:     0
    .sgpr_spill_count: 0
    .symbol:         _ZN7rocprim17ROCPRIM_400000_NS6detail17trampoline_kernelINS0_14default_configENS1_25partition_config_selectorILNS1_17partition_subalgoE5EyNS0_10empty_typeEbEEZZNS1_14partition_implILS5_5ELb0ES3_mN6thrust23THRUST_200600_302600_NS6detail15normal_iteratorINSA_10device_ptrIyEEEEPS6_NSA_18transform_iteratorINSB_9not_fun_tINSA_8identityIyEEEESF_NSA_11use_defaultESM_EENS0_5tupleIJSF_S6_EEENSO_IJSG_SG_EEES6_PlJS6_EEE10hipError_tPvRmT3_T4_T5_T6_T7_T9_mT8_P12ihipStream_tbDpT10_ENKUlT_T0_E_clISt17integral_constantIbLb0EES1B_EEDaS16_S17_EUlS16_E_NS1_11comp_targetILNS1_3genE4ELNS1_11target_archE910ELNS1_3gpuE8ELNS1_3repE0EEENS1_30default_config_static_selectorELNS0_4arch9wavefront6targetE0EEEvT1_.kd
    .uniform_work_group_size: 1
    .uses_dynamic_stack: false
    .vgpr_count:     0
    .vgpr_spill_count: 0
    .wavefront_size: 32
    .workgroup_processor_mode: 1
  - .args:
      - .offset:         0
        .size:           120
        .value_kind:     by_value
    .group_segment_fixed_size: 0
    .kernarg_segment_align: 8
    .kernarg_segment_size: 120
    .language:       OpenCL C
    .language_version:
      - 2
      - 0
    .max_flat_workgroup_size: 128
    .name:           _ZN7rocprim17ROCPRIM_400000_NS6detail17trampoline_kernelINS0_14default_configENS1_25partition_config_selectorILNS1_17partition_subalgoE5EyNS0_10empty_typeEbEEZZNS1_14partition_implILS5_5ELb0ES3_mN6thrust23THRUST_200600_302600_NS6detail15normal_iteratorINSA_10device_ptrIyEEEEPS6_NSA_18transform_iteratorINSB_9not_fun_tINSA_8identityIyEEEESF_NSA_11use_defaultESM_EENS0_5tupleIJSF_S6_EEENSO_IJSG_SG_EEES6_PlJS6_EEE10hipError_tPvRmT3_T4_T5_T6_T7_T9_mT8_P12ihipStream_tbDpT10_ENKUlT_T0_E_clISt17integral_constantIbLb0EES1B_EEDaS16_S17_EUlS16_E_NS1_11comp_targetILNS1_3genE3ELNS1_11target_archE908ELNS1_3gpuE7ELNS1_3repE0EEENS1_30default_config_static_selectorELNS0_4arch9wavefront6targetE0EEEvT1_
    .private_segment_fixed_size: 0
    .sgpr_count:     0
    .sgpr_spill_count: 0
    .symbol:         _ZN7rocprim17ROCPRIM_400000_NS6detail17trampoline_kernelINS0_14default_configENS1_25partition_config_selectorILNS1_17partition_subalgoE5EyNS0_10empty_typeEbEEZZNS1_14partition_implILS5_5ELb0ES3_mN6thrust23THRUST_200600_302600_NS6detail15normal_iteratorINSA_10device_ptrIyEEEEPS6_NSA_18transform_iteratorINSB_9not_fun_tINSA_8identityIyEEEESF_NSA_11use_defaultESM_EENS0_5tupleIJSF_S6_EEENSO_IJSG_SG_EEES6_PlJS6_EEE10hipError_tPvRmT3_T4_T5_T6_T7_T9_mT8_P12ihipStream_tbDpT10_ENKUlT_T0_E_clISt17integral_constantIbLb0EES1B_EEDaS16_S17_EUlS16_E_NS1_11comp_targetILNS1_3genE3ELNS1_11target_archE908ELNS1_3gpuE7ELNS1_3repE0EEENS1_30default_config_static_selectorELNS0_4arch9wavefront6targetE0EEEvT1_.kd
    .uniform_work_group_size: 1
    .uses_dynamic_stack: false
    .vgpr_count:     0
    .vgpr_spill_count: 0
    .wavefront_size: 32
    .workgroup_processor_mode: 1
  - .args:
      - .offset:         0
        .size:           120
        .value_kind:     by_value
    .group_segment_fixed_size: 0
    .kernarg_segment_align: 8
    .kernarg_segment_size: 120
    .language:       OpenCL C
    .language_version:
      - 2
      - 0
    .max_flat_workgroup_size: 256
    .name:           _ZN7rocprim17ROCPRIM_400000_NS6detail17trampoline_kernelINS0_14default_configENS1_25partition_config_selectorILNS1_17partition_subalgoE5EyNS0_10empty_typeEbEEZZNS1_14partition_implILS5_5ELb0ES3_mN6thrust23THRUST_200600_302600_NS6detail15normal_iteratorINSA_10device_ptrIyEEEEPS6_NSA_18transform_iteratorINSB_9not_fun_tINSA_8identityIyEEEESF_NSA_11use_defaultESM_EENS0_5tupleIJSF_S6_EEENSO_IJSG_SG_EEES6_PlJS6_EEE10hipError_tPvRmT3_T4_T5_T6_T7_T9_mT8_P12ihipStream_tbDpT10_ENKUlT_T0_E_clISt17integral_constantIbLb0EES1B_EEDaS16_S17_EUlS16_E_NS1_11comp_targetILNS1_3genE2ELNS1_11target_archE906ELNS1_3gpuE6ELNS1_3repE0EEENS1_30default_config_static_selectorELNS0_4arch9wavefront6targetE0EEEvT1_
    .private_segment_fixed_size: 0
    .sgpr_count:     0
    .sgpr_spill_count: 0
    .symbol:         _ZN7rocprim17ROCPRIM_400000_NS6detail17trampoline_kernelINS0_14default_configENS1_25partition_config_selectorILNS1_17partition_subalgoE5EyNS0_10empty_typeEbEEZZNS1_14partition_implILS5_5ELb0ES3_mN6thrust23THRUST_200600_302600_NS6detail15normal_iteratorINSA_10device_ptrIyEEEEPS6_NSA_18transform_iteratorINSB_9not_fun_tINSA_8identityIyEEEESF_NSA_11use_defaultESM_EENS0_5tupleIJSF_S6_EEENSO_IJSG_SG_EEES6_PlJS6_EEE10hipError_tPvRmT3_T4_T5_T6_T7_T9_mT8_P12ihipStream_tbDpT10_ENKUlT_T0_E_clISt17integral_constantIbLb0EES1B_EEDaS16_S17_EUlS16_E_NS1_11comp_targetILNS1_3genE2ELNS1_11target_archE906ELNS1_3gpuE6ELNS1_3repE0EEENS1_30default_config_static_selectorELNS0_4arch9wavefront6targetE0EEEvT1_.kd
    .uniform_work_group_size: 1
    .uses_dynamic_stack: false
    .vgpr_count:     0
    .vgpr_spill_count: 0
    .wavefront_size: 32
    .workgroup_processor_mode: 1
  - .args:
      - .offset:         0
        .size:           120
        .value_kind:     by_value
    .group_segment_fixed_size: 8464
    .kernarg_segment_align: 8
    .kernarg_segment_size: 120
    .language:       OpenCL C
    .language_version:
      - 2
      - 0
    .max_flat_workgroup_size: 256
    .name:           _ZN7rocprim17ROCPRIM_400000_NS6detail17trampoline_kernelINS0_14default_configENS1_25partition_config_selectorILNS1_17partition_subalgoE5EyNS0_10empty_typeEbEEZZNS1_14partition_implILS5_5ELb0ES3_mN6thrust23THRUST_200600_302600_NS6detail15normal_iteratorINSA_10device_ptrIyEEEEPS6_NSA_18transform_iteratorINSB_9not_fun_tINSA_8identityIyEEEESF_NSA_11use_defaultESM_EENS0_5tupleIJSF_S6_EEENSO_IJSG_SG_EEES6_PlJS6_EEE10hipError_tPvRmT3_T4_T5_T6_T7_T9_mT8_P12ihipStream_tbDpT10_ENKUlT_T0_E_clISt17integral_constantIbLb0EES1B_EEDaS16_S17_EUlS16_E_NS1_11comp_targetILNS1_3genE10ELNS1_11target_archE1200ELNS1_3gpuE4ELNS1_3repE0EEENS1_30default_config_static_selectorELNS0_4arch9wavefront6targetE0EEEvT1_
    .private_segment_fixed_size: 0
    .sgpr_count:     24
    .sgpr_spill_count: 0
    .symbol:         _ZN7rocprim17ROCPRIM_400000_NS6detail17trampoline_kernelINS0_14default_configENS1_25partition_config_selectorILNS1_17partition_subalgoE5EyNS0_10empty_typeEbEEZZNS1_14partition_implILS5_5ELb0ES3_mN6thrust23THRUST_200600_302600_NS6detail15normal_iteratorINSA_10device_ptrIyEEEEPS6_NSA_18transform_iteratorINSB_9not_fun_tINSA_8identityIyEEEESF_NSA_11use_defaultESM_EENS0_5tupleIJSF_S6_EEENSO_IJSG_SG_EEES6_PlJS6_EEE10hipError_tPvRmT3_T4_T5_T6_T7_T9_mT8_P12ihipStream_tbDpT10_ENKUlT_T0_E_clISt17integral_constantIbLb0EES1B_EEDaS16_S17_EUlS16_E_NS1_11comp_targetILNS1_3genE10ELNS1_11target_archE1200ELNS1_3gpuE4ELNS1_3repE0EEENS1_30default_config_static_selectorELNS0_4arch9wavefront6targetE0EEEvT1_.kd
    .uniform_work_group_size: 1
    .uses_dynamic_stack: false
    .vgpr_count:     46
    .vgpr_spill_count: 0
    .wavefront_size: 32
    .workgroup_processor_mode: 1
  - .args:
      - .offset:         0
        .size:           120
        .value_kind:     by_value
    .group_segment_fixed_size: 0
    .kernarg_segment_align: 8
    .kernarg_segment_size: 120
    .language:       OpenCL C
    .language_version:
      - 2
      - 0
    .max_flat_workgroup_size: 128
    .name:           _ZN7rocprim17ROCPRIM_400000_NS6detail17trampoline_kernelINS0_14default_configENS1_25partition_config_selectorILNS1_17partition_subalgoE5EyNS0_10empty_typeEbEEZZNS1_14partition_implILS5_5ELb0ES3_mN6thrust23THRUST_200600_302600_NS6detail15normal_iteratorINSA_10device_ptrIyEEEEPS6_NSA_18transform_iteratorINSB_9not_fun_tINSA_8identityIyEEEESF_NSA_11use_defaultESM_EENS0_5tupleIJSF_S6_EEENSO_IJSG_SG_EEES6_PlJS6_EEE10hipError_tPvRmT3_T4_T5_T6_T7_T9_mT8_P12ihipStream_tbDpT10_ENKUlT_T0_E_clISt17integral_constantIbLb0EES1B_EEDaS16_S17_EUlS16_E_NS1_11comp_targetILNS1_3genE9ELNS1_11target_archE1100ELNS1_3gpuE3ELNS1_3repE0EEENS1_30default_config_static_selectorELNS0_4arch9wavefront6targetE0EEEvT1_
    .private_segment_fixed_size: 0
    .sgpr_count:     0
    .sgpr_spill_count: 0
    .symbol:         _ZN7rocprim17ROCPRIM_400000_NS6detail17trampoline_kernelINS0_14default_configENS1_25partition_config_selectorILNS1_17partition_subalgoE5EyNS0_10empty_typeEbEEZZNS1_14partition_implILS5_5ELb0ES3_mN6thrust23THRUST_200600_302600_NS6detail15normal_iteratorINSA_10device_ptrIyEEEEPS6_NSA_18transform_iteratorINSB_9not_fun_tINSA_8identityIyEEEESF_NSA_11use_defaultESM_EENS0_5tupleIJSF_S6_EEENSO_IJSG_SG_EEES6_PlJS6_EEE10hipError_tPvRmT3_T4_T5_T6_T7_T9_mT8_P12ihipStream_tbDpT10_ENKUlT_T0_E_clISt17integral_constantIbLb0EES1B_EEDaS16_S17_EUlS16_E_NS1_11comp_targetILNS1_3genE9ELNS1_11target_archE1100ELNS1_3gpuE3ELNS1_3repE0EEENS1_30default_config_static_selectorELNS0_4arch9wavefront6targetE0EEEvT1_.kd
    .uniform_work_group_size: 1
    .uses_dynamic_stack: false
    .vgpr_count:     0
    .vgpr_spill_count: 0
    .wavefront_size: 32
    .workgroup_processor_mode: 1
  - .args:
      - .offset:         0
        .size:           120
        .value_kind:     by_value
    .group_segment_fixed_size: 0
    .kernarg_segment_align: 8
    .kernarg_segment_size: 120
    .language:       OpenCL C
    .language_version:
      - 2
      - 0
    .max_flat_workgroup_size: 512
    .name:           _ZN7rocprim17ROCPRIM_400000_NS6detail17trampoline_kernelINS0_14default_configENS1_25partition_config_selectorILNS1_17partition_subalgoE5EyNS0_10empty_typeEbEEZZNS1_14partition_implILS5_5ELb0ES3_mN6thrust23THRUST_200600_302600_NS6detail15normal_iteratorINSA_10device_ptrIyEEEEPS6_NSA_18transform_iteratorINSB_9not_fun_tINSA_8identityIyEEEESF_NSA_11use_defaultESM_EENS0_5tupleIJSF_S6_EEENSO_IJSG_SG_EEES6_PlJS6_EEE10hipError_tPvRmT3_T4_T5_T6_T7_T9_mT8_P12ihipStream_tbDpT10_ENKUlT_T0_E_clISt17integral_constantIbLb0EES1B_EEDaS16_S17_EUlS16_E_NS1_11comp_targetILNS1_3genE8ELNS1_11target_archE1030ELNS1_3gpuE2ELNS1_3repE0EEENS1_30default_config_static_selectorELNS0_4arch9wavefront6targetE0EEEvT1_
    .private_segment_fixed_size: 0
    .sgpr_count:     0
    .sgpr_spill_count: 0
    .symbol:         _ZN7rocprim17ROCPRIM_400000_NS6detail17trampoline_kernelINS0_14default_configENS1_25partition_config_selectorILNS1_17partition_subalgoE5EyNS0_10empty_typeEbEEZZNS1_14partition_implILS5_5ELb0ES3_mN6thrust23THRUST_200600_302600_NS6detail15normal_iteratorINSA_10device_ptrIyEEEEPS6_NSA_18transform_iteratorINSB_9not_fun_tINSA_8identityIyEEEESF_NSA_11use_defaultESM_EENS0_5tupleIJSF_S6_EEENSO_IJSG_SG_EEES6_PlJS6_EEE10hipError_tPvRmT3_T4_T5_T6_T7_T9_mT8_P12ihipStream_tbDpT10_ENKUlT_T0_E_clISt17integral_constantIbLb0EES1B_EEDaS16_S17_EUlS16_E_NS1_11comp_targetILNS1_3genE8ELNS1_11target_archE1030ELNS1_3gpuE2ELNS1_3repE0EEENS1_30default_config_static_selectorELNS0_4arch9wavefront6targetE0EEEvT1_.kd
    .uniform_work_group_size: 1
    .uses_dynamic_stack: false
    .vgpr_count:     0
    .vgpr_spill_count: 0
    .wavefront_size: 32
    .workgroup_processor_mode: 1
  - .args:
      - .offset:         0
        .size:           136
        .value_kind:     by_value
    .group_segment_fixed_size: 0
    .kernarg_segment_align: 8
    .kernarg_segment_size: 136
    .language:       OpenCL C
    .language_version:
      - 2
      - 0
    .max_flat_workgroup_size: 128
    .name:           _ZN7rocprim17ROCPRIM_400000_NS6detail17trampoline_kernelINS0_14default_configENS1_25partition_config_selectorILNS1_17partition_subalgoE5EyNS0_10empty_typeEbEEZZNS1_14partition_implILS5_5ELb0ES3_mN6thrust23THRUST_200600_302600_NS6detail15normal_iteratorINSA_10device_ptrIyEEEEPS6_NSA_18transform_iteratorINSB_9not_fun_tINSA_8identityIyEEEESF_NSA_11use_defaultESM_EENS0_5tupleIJSF_S6_EEENSO_IJSG_SG_EEES6_PlJS6_EEE10hipError_tPvRmT3_T4_T5_T6_T7_T9_mT8_P12ihipStream_tbDpT10_ENKUlT_T0_E_clISt17integral_constantIbLb1EES1B_EEDaS16_S17_EUlS16_E_NS1_11comp_targetILNS1_3genE0ELNS1_11target_archE4294967295ELNS1_3gpuE0ELNS1_3repE0EEENS1_30default_config_static_selectorELNS0_4arch9wavefront6targetE0EEEvT1_
    .private_segment_fixed_size: 0
    .sgpr_count:     0
    .sgpr_spill_count: 0
    .symbol:         _ZN7rocprim17ROCPRIM_400000_NS6detail17trampoline_kernelINS0_14default_configENS1_25partition_config_selectorILNS1_17partition_subalgoE5EyNS0_10empty_typeEbEEZZNS1_14partition_implILS5_5ELb0ES3_mN6thrust23THRUST_200600_302600_NS6detail15normal_iteratorINSA_10device_ptrIyEEEEPS6_NSA_18transform_iteratorINSB_9not_fun_tINSA_8identityIyEEEESF_NSA_11use_defaultESM_EENS0_5tupleIJSF_S6_EEENSO_IJSG_SG_EEES6_PlJS6_EEE10hipError_tPvRmT3_T4_T5_T6_T7_T9_mT8_P12ihipStream_tbDpT10_ENKUlT_T0_E_clISt17integral_constantIbLb1EES1B_EEDaS16_S17_EUlS16_E_NS1_11comp_targetILNS1_3genE0ELNS1_11target_archE4294967295ELNS1_3gpuE0ELNS1_3repE0EEENS1_30default_config_static_selectorELNS0_4arch9wavefront6targetE0EEEvT1_.kd
    .uniform_work_group_size: 1
    .uses_dynamic_stack: false
    .vgpr_count:     0
    .vgpr_spill_count: 0
    .wavefront_size: 32
    .workgroup_processor_mode: 1
  - .args:
      - .offset:         0
        .size:           136
        .value_kind:     by_value
    .group_segment_fixed_size: 0
    .kernarg_segment_align: 8
    .kernarg_segment_size: 136
    .language:       OpenCL C
    .language_version:
      - 2
      - 0
    .max_flat_workgroup_size: 512
    .name:           _ZN7rocprim17ROCPRIM_400000_NS6detail17trampoline_kernelINS0_14default_configENS1_25partition_config_selectorILNS1_17partition_subalgoE5EyNS0_10empty_typeEbEEZZNS1_14partition_implILS5_5ELb0ES3_mN6thrust23THRUST_200600_302600_NS6detail15normal_iteratorINSA_10device_ptrIyEEEEPS6_NSA_18transform_iteratorINSB_9not_fun_tINSA_8identityIyEEEESF_NSA_11use_defaultESM_EENS0_5tupleIJSF_S6_EEENSO_IJSG_SG_EEES6_PlJS6_EEE10hipError_tPvRmT3_T4_T5_T6_T7_T9_mT8_P12ihipStream_tbDpT10_ENKUlT_T0_E_clISt17integral_constantIbLb1EES1B_EEDaS16_S17_EUlS16_E_NS1_11comp_targetILNS1_3genE5ELNS1_11target_archE942ELNS1_3gpuE9ELNS1_3repE0EEENS1_30default_config_static_selectorELNS0_4arch9wavefront6targetE0EEEvT1_
    .private_segment_fixed_size: 0
    .sgpr_count:     0
    .sgpr_spill_count: 0
    .symbol:         _ZN7rocprim17ROCPRIM_400000_NS6detail17trampoline_kernelINS0_14default_configENS1_25partition_config_selectorILNS1_17partition_subalgoE5EyNS0_10empty_typeEbEEZZNS1_14partition_implILS5_5ELb0ES3_mN6thrust23THRUST_200600_302600_NS6detail15normal_iteratorINSA_10device_ptrIyEEEEPS6_NSA_18transform_iteratorINSB_9not_fun_tINSA_8identityIyEEEESF_NSA_11use_defaultESM_EENS0_5tupleIJSF_S6_EEENSO_IJSG_SG_EEES6_PlJS6_EEE10hipError_tPvRmT3_T4_T5_T6_T7_T9_mT8_P12ihipStream_tbDpT10_ENKUlT_T0_E_clISt17integral_constantIbLb1EES1B_EEDaS16_S17_EUlS16_E_NS1_11comp_targetILNS1_3genE5ELNS1_11target_archE942ELNS1_3gpuE9ELNS1_3repE0EEENS1_30default_config_static_selectorELNS0_4arch9wavefront6targetE0EEEvT1_.kd
    .uniform_work_group_size: 1
    .uses_dynamic_stack: false
    .vgpr_count:     0
    .vgpr_spill_count: 0
    .wavefront_size: 32
    .workgroup_processor_mode: 1
  - .args:
      - .offset:         0
        .size:           136
        .value_kind:     by_value
    .group_segment_fixed_size: 0
    .kernarg_segment_align: 8
    .kernarg_segment_size: 136
    .language:       OpenCL C
    .language_version:
      - 2
      - 0
    .max_flat_workgroup_size: 192
    .name:           _ZN7rocprim17ROCPRIM_400000_NS6detail17trampoline_kernelINS0_14default_configENS1_25partition_config_selectorILNS1_17partition_subalgoE5EyNS0_10empty_typeEbEEZZNS1_14partition_implILS5_5ELb0ES3_mN6thrust23THRUST_200600_302600_NS6detail15normal_iteratorINSA_10device_ptrIyEEEEPS6_NSA_18transform_iteratorINSB_9not_fun_tINSA_8identityIyEEEESF_NSA_11use_defaultESM_EENS0_5tupleIJSF_S6_EEENSO_IJSG_SG_EEES6_PlJS6_EEE10hipError_tPvRmT3_T4_T5_T6_T7_T9_mT8_P12ihipStream_tbDpT10_ENKUlT_T0_E_clISt17integral_constantIbLb1EES1B_EEDaS16_S17_EUlS16_E_NS1_11comp_targetILNS1_3genE4ELNS1_11target_archE910ELNS1_3gpuE8ELNS1_3repE0EEENS1_30default_config_static_selectorELNS0_4arch9wavefront6targetE0EEEvT1_
    .private_segment_fixed_size: 0
    .sgpr_count:     0
    .sgpr_spill_count: 0
    .symbol:         _ZN7rocprim17ROCPRIM_400000_NS6detail17trampoline_kernelINS0_14default_configENS1_25partition_config_selectorILNS1_17partition_subalgoE5EyNS0_10empty_typeEbEEZZNS1_14partition_implILS5_5ELb0ES3_mN6thrust23THRUST_200600_302600_NS6detail15normal_iteratorINSA_10device_ptrIyEEEEPS6_NSA_18transform_iteratorINSB_9not_fun_tINSA_8identityIyEEEESF_NSA_11use_defaultESM_EENS0_5tupleIJSF_S6_EEENSO_IJSG_SG_EEES6_PlJS6_EEE10hipError_tPvRmT3_T4_T5_T6_T7_T9_mT8_P12ihipStream_tbDpT10_ENKUlT_T0_E_clISt17integral_constantIbLb1EES1B_EEDaS16_S17_EUlS16_E_NS1_11comp_targetILNS1_3genE4ELNS1_11target_archE910ELNS1_3gpuE8ELNS1_3repE0EEENS1_30default_config_static_selectorELNS0_4arch9wavefront6targetE0EEEvT1_.kd
    .uniform_work_group_size: 1
    .uses_dynamic_stack: false
    .vgpr_count:     0
    .vgpr_spill_count: 0
    .wavefront_size: 32
    .workgroup_processor_mode: 1
  - .args:
      - .offset:         0
        .size:           136
        .value_kind:     by_value
    .group_segment_fixed_size: 0
    .kernarg_segment_align: 8
    .kernarg_segment_size: 136
    .language:       OpenCL C
    .language_version:
      - 2
      - 0
    .max_flat_workgroup_size: 128
    .name:           _ZN7rocprim17ROCPRIM_400000_NS6detail17trampoline_kernelINS0_14default_configENS1_25partition_config_selectorILNS1_17partition_subalgoE5EyNS0_10empty_typeEbEEZZNS1_14partition_implILS5_5ELb0ES3_mN6thrust23THRUST_200600_302600_NS6detail15normal_iteratorINSA_10device_ptrIyEEEEPS6_NSA_18transform_iteratorINSB_9not_fun_tINSA_8identityIyEEEESF_NSA_11use_defaultESM_EENS0_5tupleIJSF_S6_EEENSO_IJSG_SG_EEES6_PlJS6_EEE10hipError_tPvRmT3_T4_T5_T6_T7_T9_mT8_P12ihipStream_tbDpT10_ENKUlT_T0_E_clISt17integral_constantIbLb1EES1B_EEDaS16_S17_EUlS16_E_NS1_11comp_targetILNS1_3genE3ELNS1_11target_archE908ELNS1_3gpuE7ELNS1_3repE0EEENS1_30default_config_static_selectorELNS0_4arch9wavefront6targetE0EEEvT1_
    .private_segment_fixed_size: 0
    .sgpr_count:     0
    .sgpr_spill_count: 0
    .symbol:         _ZN7rocprim17ROCPRIM_400000_NS6detail17trampoline_kernelINS0_14default_configENS1_25partition_config_selectorILNS1_17partition_subalgoE5EyNS0_10empty_typeEbEEZZNS1_14partition_implILS5_5ELb0ES3_mN6thrust23THRUST_200600_302600_NS6detail15normal_iteratorINSA_10device_ptrIyEEEEPS6_NSA_18transform_iteratorINSB_9not_fun_tINSA_8identityIyEEEESF_NSA_11use_defaultESM_EENS0_5tupleIJSF_S6_EEENSO_IJSG_SG_EEES6_PlJS6_EEE10hipError_tPvRmT3_T4_T5_T6_T7_T9_mT8_P12ihipStream_tbDpT10_ENKUlT_T0_E_clISt17integral_constantIbLb1EES1B_EEDaS16_S17_EUlS16_E_NS1_11comp_targetILNS1_3genE3ELNS1_11target_archE908ELNS1_3gpuE7ELNS1_3repE0EEENS1_30default_config_static_selectorELNS0_4arch9wavefront6targetE0EEEvT1_.kd
    .uniform_work_group_size: 1
    .uses_dynamic_stack: false
    .vgpr_count:     0
    .vgpr_spill_count: 0
    .wavefront_size: 32
    .workgroup_processor_mode: 1
  - .args:
      - .offset:         0
        .size:           136
        .value_kind:     by_value
    .group_segment_fixed_size: 0
    .kernarg_segment_align: 8
    .kernarg_segment_size: 136
    .language:       OpenCL C
    .language_version:
      - 2
      - 0
    .max_flat_workgroup_size: 256
    .name:           _ZN7rocprim17ROCPRIM_400000_NS6detail17trampoline_kernelINS0_14default_configENS1_25partition_config_selectorILNS1_17partition_subalgoE5EyNS0_10empty_typeEbEEZZNS1_14partition_implILS5_5ELb0ES3_mN6thrust23THRUST_200600_302600_NS6detail15normal_iteratorINSA_10device_ptrIyEEEEPS6_NSA_18transform_iteratorINSB_9not_fun_tINSA_8identityIyEEEESF_NSA_11use_defaultESM_EENS0_5tupleIJSF_S6_EEENSO_IJSG_SG_EEES6_PlJS6_EEE10hipError_tPvRmT3_T4_T5_T6_T7_T9_mT8_P12ihipStream_tbDpT10_ENKUlT_T0_E_clISt17integral_constantIbLb1EES1B_EEDaS16_S17_EUlS16_E_NS1_11comp_targetILNS1_3genE2ELNS1_11target_archE906ELNS1_3gpuE6ELNS1_3repE0EEENS1_30default_config_static_selectorELNS0_4arch9wavefront6targetE0EEEvT1_
    .private_segment_fixed_size: 0
    .sgpr_count:     0
    .sgpr_spill_count: 0
    .symbol:         _ZN7rocprim17ROCPRIM_400000_NS6detail17trampoline_kernelINS0_14default_configENS1_25partition_config_selectorILNS1_17partition_subalgoE5EyNS0_10empty_typeEbEEZZNS1_14partition_implILS5_5ELb0ES3_mN6thrust23THRUST_200600_302600_NS6detail15normal_iteratorINSA_10device_ptrIyEEEEPS6_NSA_18transform_iteratorINSB_9not_fun_tINSA_8identityIyEEEESF_NSA_11use_defaultESM_EENS0_5tupleIJSF_S6_EEENSO_IJSG_SG_EEES6_PlJS6_EEE10hipError_tPvRmT3_T4_T5_T6_T7_T9_mT8_P12ihipStream_tbDpT10_ENKUlT_T0_E_clISt17integral_constantIbLb1EES1B_EEDaS16_S17_EUlS16_E_NS1_11comp_targetILNS1_3genE2ELNS1_11target_archE906ELNS1_3gpuE6ELNS1_3repE0EEENS1_30default_config_static_selectorELNS0_4arch9wavefront6targetE0EEEvT1_.kd
    .uniform_work_group_size: 1
    .uses_dynamic_stack: false
    .vgpr_count:     0
    .vgpr_spill_count: 0
    .wavefront_size: 32
    .workgroup_processor_mode: 1
  - .args:
      - .offset:         0
        .size:           136
        .value_kind:     by_value
    .group_segment_fixed_size: 0
    .kernarg_segment_align: 8
    .kernarg_segment_size: 136
    .language:       OpenCL C
    .language_version:
      - 2
      - 0
    .max_flat_workgroup_size: 256
    .name:           _ZN7rocprim17ROCPRIM_400000_NS6detail17trampoline_kernelINS0_14default_configENS1_25partition_config_selectorILNS1_17partition_subalgoE5EyNS0_10empty_typeEbEEZZNS1_14partition_implILS5_5ELb0ES3_mN6thrust23THRUST_200600_302600_NS6detail15normal_iteratorINSA_10device_ptrIyEEEEPS6_NSA_18transform_iteratorINSB_9not_fun_tINSA_8identityIyEEEESF_NSA_11use_defaultESM_EENS0_5tupleIJSF_S6_EEENSO_IJSG_SG_EEES6_PlJS6_EEE10hipError_tPvRmT3_T4_T5_T6_T7_T9_mT8_P12ihipStream_tbDpT10_ENKUlT_T0_E_clISt17integral_constantIbLb1EES1B_EEDaS16_S17_EUlS16_E_NS1_11comp_targetILNS1_3genE10ELNS1_11target_archE1200ELNS1_3gpuE4ELNS1_3repE0EEENS1_30default_config_static_selectorELNS0_4arch9wavefront6targetE0EEEvT1_
    .private_segment_fixed_size: 0
    .sgpr_count:     0
    .sgpr_spill_count: 0
    .symbol:         _ZN7rocprim17ROCPRIM_400000_NS6detail17trampoline_kernelINS0_14default_configENS1_25partition_config_selectorILNS1_17partition_subalgoE5EyNS0_10empty_typeEbEEZZNS1_14partition_implILS5_5ELb0ES3_mN6thrust23THRUST_200600_302600_NS6detail15normal_iteratorINSA_10device_ptrIyEEEEPS6_NSA_18transform_iteratorINSB_9not_fun_tINSA_8identityIyEEEESF_NSA_11use_defaultESM_EENS0_5tupleIJSF_S6_EEENSO_IJSG_SG_EEES6_PlJS6_EEE10hipError_tPvRmT3_T4_T5_T6_T7_T9_mT8_P12ihipStream_tbDpT10_ENKUlT_T0_E_clISt17integral_constantIbLb1EES1B_EEDaS16_S17_EUlS16_E_NS1_11comp_targetILNS1_3genE10ELNS1_11target_archE1200ELNS1_3gpuE4ELNS1_3repE0EEENS1_30default_config_static_selectorELNS0_4arch9wavefront6targetE0EEEvT1_.kd
    .uniform_work_group_size: 1
    .uses_dynamic_stack: false
    .vgpr_count:     0
    .vgpr_spill_count: 0
    .wavefront_size: 32
    .workgroup_processor_mode: 1
  - .args:
      - .offset:         0
        .size:           136
        .value_kind:     by_value
    .group_segment_fixed_size: 0
    .kernarg_segment_align: 8
    .kernarg_segment_size: 136
    .language:       OpenCL C
    .language_version:
      - 2
      - 0
    .max_flat_workgroup_size: 128
    .name:           _ZN7rocprim17ROCPRIM_400000_NS6detail17trampoline_kernelINS0_14default_configENS1_25partition_config_selectorILNS1_17partition_subalgoE5EyNS0_10empty_typeEbEEZZNS1_14partition_implILS5_5ELb0ES3_mN6thrust23THRUST_200600_302600_NS6detail15normal_iteratorINSA_10device_ptrIyEEEEPS6_NSA_18transform_iteratorINSB_9not_fun_tINSA_8identityIyEEEESF_NSA_11use_defaultESM_EENS0_5tupleIJSF_S6_EEENSO_IJSG_SG_EEES6_PlJS6_EEE10hipError_tPvRmT3_T4_T5_T6_T7_T9_mT8_P12ihipStream_tbDpT10_ENKUlT_T0_E_clISt17integral_constantIbLb1EES1B_EEDaS16_S17_EUlS16_E_NS1_11comp_targetILNS1_3genE9ELNS1_11target_archE1100ELNS1_3gpuE3ELNS1_3repE0EEENS1_30default_config_static_selectorELNS0_4arch9wavefront6targetE0EEEvT1_
    .private_segment_fixed_size: 0
    .sgpr_count:     0
    .sgpr_spill_count: 0
    .symbol:         _ZN7rocprim17ROCPRIM_400000_NS6detail17trampoline_kernelINS0_14default_configENS1_25partition_config_selectorILNS1_17partition_subalgoE5EyNS0_10empty_typeEbEEZZNS1_14partition_implILS5_5ELb0ES3_mN6thrust23THRUST_200600_302600_NS6detail15normal_iteratorINSA_10device_ptrIyEEEEPS6_NSA_18transform_iteratorINSB_9not_fun_tINSA_8identityIyEEEESF_NSA_11use_defaultESM_EENS0_5tupleIJSF_S6_EEENSO_IJSG_SG_EEES6_PlJS6_EEE10hipError_tPvRmT3_T4_T5_T6_T7_T9_mT8_P12ihipStream_tbDpT10_ENKUlT_T0_E_clISt17integral_constantIbLb1EES1B_EEDaS16_S17_EUlS16_E_NS1_11comp_targetILNS1_3genE9ELNS1_11target_archE1100ELNS1_3gpuE3ELNS1_3repE0EEENS1_30default_config_static_selectorELNS0_4arch9wavefront6targetE0EEEvT1_.kd
    .uniform_work_group_size: 1
    .uses_dynamic_stack: false
    .vgpr_count:     0
    .vgpr_spill_count: 0
    .wavefront_size: 32
    .workgroup_processor_mode: 1
  - .args:
      - .offset:         0
        .size:           136
        .value_kind:     by_value
    .group_segment_fixed_size: 0
    .kernarg_segment_align: 8
    .kernarg_segment_size: 136
    .language:       OpenCL C
    .language_version:
      - 2
      - 0
    .max_flat_workgroup_size: 512
    .name:           _ZN7rocprim17ROCPRIM_400000_NS6detail17trampoline_kernelINS0_14default_configENS1_25partition_config_selectorILNS1_17partition_subalgoE5EyNS0_10empty_typeEbEEZZNS1_14partition_implILS5_5ELb0ES3_mN6thrust23THRUST_200600_302600_NS6detail15normal_iteratorINSA_10device_ptrIyEEEEPS6_NSA_18transform_iteratorINSB_9not_fun_tINSA_8identityIyEEEESF_NSA_11use_defaultESM_EENS0_5tupleIJSF_S6_EEENSO_IJSG_SG_EEES6_PlJS6_EEE10hipError_tPvRmT3_T4_T5_T6_T7_T9_mT8_P12ihipStream_tbDpT10_ENKUlT_T0_E_clISt17integral_constantIbLb1EES1B_EEDaS16_S17_EUlS16_E_NS1_11comp_targetILNS1_3genE8ELNS1_11target_archE1030ELNS1_3gpuE2ELNS1_3repE0EEENS1_30default_config_static_selectorELNS0_4arch9wavefront6targetE0EEEvT1_
    .private_segment_fixed_size: 0
    .sgpr_count:     0
    .sgpr_spill_count: 0
    .symbol:         _ZN7rocprim17ROCPRIM_400000_NS6detail17trampoline_kernelINS0_14default_configENS1_25partition_config_selectorILNS1_17partition_subalgoE5EyNS0_10empty_typeEbEEZZNS1_14partition_implILS5_5ELb0ES3_mN6thrust23THRUST_200600_302600_NS6detail15normal_iteratorINSA_10device_ptrIyEEEEPS6_NSA_18transform_iteratorINSB_9not_fun_tINSA_8identityIyEEEESF_NSA_11use_defaultESM_EENS0_5tupleIJSF_S6_EEENSO_IJSG_SG_EEES6_PlJS6_EEE10hipError_tPvRmT3_T4_T5_T6_T7_T9_mT8_P12ihipStream_tbDpT10_ENKUlT_T0_E_clISt17integral_constantIbLb1EES1B_EEDaS16_S17_EUlS16_E_NS1_11comp_targetILNS1_3genE8ELNS1_11target_archE1030ELNS1_3gpuE2ELNS1_3repE0EEENS1_30default_config_static_selectorELNS0_4arch9wavefront6targetE0EEEvT1_.kd
    .uniform_work_group_size: 1
    .uses_dynamic_stack: false
    .vgpr_count:     0
    .vgpr_spill_count: 0
    .wavefront_size: 32
    .workgroup_processor_mode: 1
  - .args:
      - .offset:         0
        .size:           120
        .value_kind:     by_value
    .group_segment_fixed_size: 0
    .kernarg_segment_align: 8
    .kernarg_segment_size: 120
    .language:       OpenCL C
    .language_version:
      - 2
      - 0
    .max_flat_workgroup_size: 128
    .name:           _ZN7rocprim17ROCPRIM_400000_NS6detail17trampoline_kernelINS0_14default_configENS1_25partition_config_selectorILNS1_17partition_subalgoE5EyNS0_10empty_typeEbEEZZNS1_14partition_implILS5_5ELb0ES3_mN6thrust23THRUST_200600_302600_NS6detail15normal_iteratorINSA_10device_ptrIyEEEEPS6_NSA_18transform_iteratorINSB_9not_fun_tINSA_8identityIyEEEESF_NSA_11use_defaultESM_EENS0_5tupleIJSF_S6_EEENSO_IJSG_SG_EEES6_PlJS6_EEE10hipError_tPvRmT3_T4_T5_T6_T7_T9_mT8_P12ihipStream_tbDpT10_ENKUlT_T0_E_clISt17integral_constantIbLb1EES1A_IbLb0EEEEDaS16_S17_EUlS16_E_NS1_11comp_targetILNS1_3genE0ELNS1_11target_archE4294967295ELNS1_3gpuE0ELNS1_3repE0EEENS1_30default_config_static_selectorELNS0_4arch9wavefront6targetE0EEEvT1_
    .private_segment_fixed_size: 0
    .sgpr_count:     0
    .sgpr_spill_count: 0
    .symbol:         _ZN7rocprim17ROCPRIM_400000_NS6detail17trampoline_kernelINS0_14default_configENS1_25partition_config_selectorILNS1_17partition_subalgoE5EyNS0_10empty_typeEbEEZZNS1_14partition_implILS5_5ELb0ES3_mN6thrust23THRUST_200600_302600_NS6detail15normal_iteratorINSA_10device_ptrIyEEEEPS6_NSA_18transform_iteratorINSB_9not_fun_tINSA_8identityIyEEEESF_NSA_11use_defaultESM_EENS0_5tupleIJSF_S6_EEENSO_IJSG_SG_EEES6_PlJS6_EEE10hipError_tPvRmT3_T4_T5_T6_T7_T9_mT8_P12ihipStream_tbDpT10_ENKUlT_T0_E_clISt17integral_constantIbLb1EES1A_IbLb0EEEEDaS16_S17_EUlS16_E_NS1_11comp_targetILNS1_3genE0ELNS1_11target_archE4294967295ELNS1_3gpuE0ELNS1_3repE0EEENS1_30default_config_static_selectorELNS0_4arch9wavefront6targetE0EEEvT1_.kd
    .uniform_work_group_size: 1
    .uses_dynamic_stack: false
    .vgpr_count:     0
    .vgpr_spill_count: 0
    .wavefront_size: 32
    .workgroup_processor_mode: 1
  - .args:
      - .offset:         0
        .size:           120
        .value_kind:     by_value
    .group_segment_fixed_size: 0
    .kernarg_segment_align: 8
    .kernarg_segment_size: 120
    .language:       OpenCL C
    .language_version:
      - 2
      - 0
    .max_flat_workgroup_size: 512
    .name:           _ZN7rocprim17ROCPRIM_400000_NS6detail17trampoline_kernelINS0_14default_configENS1_25partition_config_selectorILNS1_17partition_subalgoE5EyNS0_10empty_typeEbEEZZNS1_14partition_implILS5_5ELb0ES3_mN6thrust23THRUST_200600_302600_NS6detail15normal_iteratorINSA_10device_ptrIyEEEEPS6_NSA_18transform_iteratorINSB_9not_fun_tINSA_8identityIyEEEESF_NSA_11use_defaultESM_EENS0_5tupleIJSF_S6_EEENSO_IJSG_SG_EEES6_PlJS6_EEE10hipError_tPvRmT3_T4_T5_T6_T7_T9_mT8_P12ihipStream_tbDpT10_ENKUlT_T0_E_clISt17integral_constantIbLb1EES1A_IbLb0EEEEDaS16_S17_EUlS16_E_NS1_11comp_targetILNS1_3genE5ELNS1_11target_archE942ELNS1_3gpuE9ELNS1_3repE0EEENS1_30default_config_static_selectorELNS0_4arch9wavefront6targetE0EEEvT1_
    .private_segment_fixed_size: 0
    .sgpr_count:     0
    .sgpr_spill_count: 0
    .symbol:         _ZN7rocprim17ROCPRIM_400000_NS6detail17trampoline_kernelINS0_14default_configENS1_25partition_config_selectorILNS1_17partition_subalgoE5EyNS0_10empty_typeEbEEZZNS1_14partition_implILS5_5ELb0ES3_mN6thrust23THRUST_200600_302600_NS6detail15normal_iteratorINSA_10device_ptrIyEEEEPS6_NSA_18transform_iteratorINSB_9not_fun_tINSA_8identityIyEEEESF_NSA_11use_defaultESM_EENS0_5tupleIJSF_S6_EEENSO_IJSG_SG_EEES6_PlJS6_EEE10hipError_tPvRmT3_T4_T5_T6_T7_T9_mT8_P12ihipStream_tbDpT10_ENKUlT_T0_E_clISt17integral_constantIbLb1EES1A_IbLb0EEEEDaS16_S17_EUlS16_E_NS1_11comp_targetILNS1_3genE5ELNS1_11target_archE942ELNS1_3gpuE9ELNS1_3repE0EEENS1_30default_config_static_selectorELNS0_4arch9wavefront6targetE0EEEvT1_.kd
    .uniform_work_group_size: 1
    .uses_dynamic_stack: false
    .vgpr_count:     0
    .vgpr_spill_count: 0
    .wavefront_size: 32
    .workgroup_processor_mode: 1
  - .args:
      - .offset:         0
        .size:           120
        .value_kind:     by_value
    .group_segment_fixed_size: 0
    .kernarg_segment_align: 8
    .kernarg_segment_size: 120
    .language:       OpenCL C
    .language_version:
      - 2
      - 0
    .max_flat_workgroup_size: 192
    .name:           _ZN7rocprim17ROCPRIM_400000_NS6detail17trampoline_kernelINS0_14default_configENS1_25partition_config_selectorILNS1_17partition_subalgoE5EyNS0_10empty_typeEbEEZZNS1_14partition_implILS5_5ELb0ES3_mN6thrust23THRUST_200600_302600_NS6detail15normal_iteratorINSA_10device_ptrIyEEEEPS6_NSA_18transform_iteratorINSB_9not_fun_tINSA_8identityIyEEEESF_NSA_11use_defaultESM_EENS0_5tupleIJSF_S6_EEENSO_IJSG_SG_EEES6_PlJS6_EEE10hipError_tPvRmT3_T4_T5_T6_T7_T9_mT8_P12ihipStream_tbDpT10_ENKUlT_T0_E_clISt17integral_constantIbLb1EES1A_IbLb0EEEEDaS16_S17_EUlS16_E_NS1_11comp_targetILNS1_3genE4ELNS1_11target_archE910ELNS1_3gpuE8ELNS1_3repE0EEENS1_30default_config_static_selectorELNS0_4arch9wavefront6targetE0EEEvT1_
    .private_segment_fixed_size: 0
    .sgpr_count:     0
    .sgpr_spill_count: 0
    .symbol:         _ZN7rocprim17ROCPRIM_400000_NS6detail17trampoline_kernelINS0_14default_configENS1_25partition_config_selectorILNS1_17partition_subalgoE5EyNS0_10empty_typeEbEEZZNS1_14partition_implILS5_5ELb0ES3_mN6thrust23THRUST_200600_302600_NS6detail15normal_iteratorINSA_10device_ptrIyEEEEPS6_NSA_18transform_iteratorINSB_9not_fun_tINSA_8identityIyEEEESF_NSA_11use_defaultESM_EENS0_5tupleIJSF_S6_EEENSO_IJSG_SG_EEES6_PlJS6_EEE10hipError_tPvRmT3_T4_T5_T6_T7_T9_mT8_P12ihipStream_tbDpT10_ENKUlT_T0_E_clISt17integral_constantIbLb1EES1A_IbLb0EEEEDaS16_S17_EUlS16_E_NS1_11comp_targetILNS1_3genE4ELNS1_11target_archE910ELNS1_3gpuE8ELNS1_3repE0EEENS1_30default_config_static_selectorELNS0_4arch9wavefront6targetE0EEEvT1_.kd
    .uniform_work_group_size: 1
    .uses_dynamic_stack: false
    .vgpr_count:     0
    .vgpr_spill_count: 0
    .wavefront_size: 32
    .workgroup_processor_mode: 1
  - .args:
      - .offset:         0
        .size:           120
        .value_kind:     by_value
    .group_segment_fixed_size: 0
    .kernarg_segment_align: 8
    .kernarg_segment_size: 120
    .language:       OpenCL C
    .language_version:
      - 2
      - 0
    .max_flat_workgroup_size: 128
    .name:           _ZN7rocprim17ROCPRIM_400000_NS6detail17trampoline_kernelINS0_14default_configENS1_25partition_config_selectorILNS1_17partition_subalgoE5EyNS0_10empty_typeEbEEZZNS1_14partition_implILS5_5ELb0ES3_mN6thrust23THRUST_200600_302600_NS6detail15normal_iteratorINSA_10device_ptrIyEEEEPS6_NSA_18transform_iteratorINSB_9not_fun_tINSA_8identityIyEEEESF_NSA_11use_defaultESM_EENS0_5tupleIJSF_S6_EEENSO_IJSG_SG_EEES6_PlJS6_EEE10hipError_tPvRmT3_T4_T5_T6_T7_T9_mT8_P12ihipStream_tbDpT10_ENKUlT_T0_E_clISt17integral_constantIbLb1EES1A_IbLb0EEEEDaS16_S17_EUlS16_E_NS1_11comp_targetILNS1_3genE3ELNS1_11target_archE908ELNS1_3gpuE7ELNS1_3repE0EEENS1_30default_config_static_selectorELNS0_4arch9wavefront6targetE0EEEvT1_
    .private_segment_fixed_size: 0
    .sgpr_count:     0
    .sgpr_spill_count: 0
    .symbol:         _ZN7rocprim17ROCPRIM_400000_NS6detail17trampoline_kernelINS0_14default_configENS1_25partition_config_selectorILNS1_17partition_subalgoE5EyNS0_10empty_typeEbEEZZNS1_14partition_implILS5_5ELb0ES3_mN6thrust23THRUST_200600_302600_NS6detail15normal_iteratorINSA_10device_ptrIyEEEEPS6_NSA_18transform_iteratorINSB_9not_fun_tINSA_8identityIyEEEESF_NSA_11use_defaultESM_EENS0_5tupleIJSF_S6_EEENSO_IJSG_SG_EEES6_PlJS6_EEE10hipError_tPvRmT3_T4_T5_T6_T7_T9_mT8_P12ihipStream_tbDpT10_ENKUlT_T0_E_clISt17integral_constantIbLb1EES1A_IbLb0EEEEDaS16_S17_EUlS16_E_NS1_11comp_targetILNS1_3genE3ELNS1_11target_archE908ELNS1_3gpuE7ELNS1_3repE0EEENS1_30default_config_static_selectorELNS0_4arch9wavefront6targetE0EEEvT1_.kd
    .uniform_work_group_size: 1
    .uses_dynamic_stack: false
    .vgpr_count:     0
    .vgpr_spill_count: 0
    .wavefront_size: 32
    .workgroup_processor_mode: 1
  - .args:
      - .offset:         0
        .size:           120
        .value_kind:     by_value
    .group_segment_fixed_size: 0
    .kernarg_segment_align: 8
    .kernarg_segment_size: 120
    .language:       OpenCL C
    .language_version:
      - 2
      - 0
    .max_flat_workgroup_size: 256
    .name:           _ZN7rocprim17ROCPRIM_400000_NS6detail17trampoline_kernelINS0_14default_configENS1_25partition_config_selectorILNS1_17partition_subalgoE5EyNS0_10empty_typeEbEEZZNS1_14partition_implILS5_5ELb0ES3_mN6thrust23THRUST_200600_302600_NS6detail15normal_iteratorINSA_10device_ptrIyEEEEPS6_NSA_18transform_iteratorINSB_9not_fun_tINSA_8identityIyEEEESF_NSA_11use_defaultESM_EENS0_5tupleIJSF_S6_EEENSO_IJSG_SG_EEES6_PlJS6_EEE10hipError_tPvRmT3_T4_T5_T6_T7_T9_mT8_P12ihipStream_tbDpT10_ENKUlT_T0_E_clISt17integral_constantIbLb1EES1A_IbLb0EEEEDaS16_S17_EUlS16_E_NS1_11comp_targetILNS1_3genE2ELNS1_11target_archE906ELNS1_3gpuE6ELNS1_3repE0EEENS1_30default_config_static_selectorELNS0_4arch9wavefront6targetE0EEEvT1_
    .private_segment_fixed_size: 0
    .sgpr_count:     0
    .sgpr_spill_count: 0
    .symbol:         _ZN7rocprim17ROCPRIM_400000_NS6detail17trampoline_kernelINS0_14default_configENS1_25partition_config_selectorILNS1_17partition_subalgoE5EyNS0_10empty_typeEbEEZZNS1_14partition_implILS5_5ELb0ES3_mN6thrust23THRUST_200600_302600_NS6detail15normal_iteratorINSA_10device_ptrIyEEEEPS6_NSA_18transform_iteratorINSB_9not_fun_tINSA_8identityIyEEEESF_NSA_11use_defaultESM_EENS0_5tupleIJSF_S6_EEENSO_IJSG_SG_EEES6_PlJS6_EEE10hipError_tPvRmT3_T4_T5_T6_T7_T9_mT8_P12ihipStream_tbDpT10_ENKUlT_T0_E_clISt17integral_constantIbLb1EES1A_IbLb0EEEEDaS16_S17_EUlS16_E_NS1_11comp_targetILNS1_3genE2ELNS1_11target_archE906ELNS1_3gpuE6ELNS1_3repE0EEENS1_30default_config_static_selectorELNS0_4arch9wavefront6targetE0EEEvT1_.kd
    .uniform_work_group_size: 1
    .uses_dynamic_stack: false
    .vgpr_count:     0
    .vgpr_spill_count: 0
    .wavefront_size: 32
    .workgroup_processor_mode: 1
  - .args:
      - .offset:         0
        .size:           120
        .value_kind:     by_value
    .group_segment_fixed_size: 0
    .kernarg_segment_align: 8
    .kernarg_segment_size: 120
    .language:       OpenCL C
    .language_version:
      - 2
      - 0
    .max_flat_workgroup_size: 256
    .name:           _ZN7rocprim17ROCPRIM_400000_NS6detail17trampoline_kernelINS0_14default_configENS1_25partition_config_selectorILNS1_17partition_subalgoE5EyNS0_10empty_typeEbEEZZNS1_14partition_implILS5_5ELb0ES3_mN6thrust23THRUST_200600_302600_NS6detail15normal_iteratorINSA_10device_ptrIyEEEEPS6_NSA_18transform_iteratorINSB_9not_fun_tINSA_8identityIyEEEESF_NSA_11use_defaultESM_EENS0_5tupleIJSF_S6_EEENSO_IJSG_SG_EEES6_PlJS6_EEE10hipError_tPvRmT3_T4_T5_T6_T7_T9_mT8_P12ihipStream_tbDpT10_ENKUlT_T0_E_clISt17integral_constantIbLb1EES1A_IbLb0EEEEDaS16_S17_EUlS16_E_NS1_11comp_targetILNS1_3genE10ELNS1_11target_archE1200ELNS1_3gpuE4ELNS1_3repE0EEENS1_30default_config_static_selectorELNS0_4arch9wavefront6targetE0EEEvT1_
    .private_segment_fixed_size: 0
    .sgpr_count:     0
    .sgpr_spill_count: 0
    .symbol:         _ZN7rocprim17ROCPRIM_400000_NS6detail17trampoline_kernelINS0_14default_configENS1_25partition_config_selectorILNS1_17partition_subalgoE5EyNS0_10empty_typeEbEEZZNS1_14partition_implILS5_5ELb0ES3_mN6thrust23THRUST_200600_302600_NS6detail15normal_iteratorINSA_10device_ptrIyEEEEPS6_NSA_18transform_iteratorINSB_9not_fun_tINSA_8identityIyEEEESF_NSA_11use_defaultESM_EENS0_5tupleIJSF_S6_EEENSO_IJSG_SG_EEES6_PlJS6_EEE10hipError_tPvRmT3_T4_T5_T6_T7_T9_mT8_P12ihipStream_tbDpT10_ENKUlT_T0_E_clISt17integral_constantIbLb1EES1A_IbLb0EEEEDaS16_S17_EUlS16_E_NS1_11comp_targetILNS1_3genE10ELNS1_11target_archE1200ELNS1_3gpuE4ELNS1_3repE0EEENS1_30default_config_static_selectorELNS0_4arch9wavefront6targetE0EEEvT1_.kd
    .uniform_work_group_size: 1
    .uses_dynamic_stack: false
    .vgpr_count:     0
    .vgpr_spill_count: 0
    .wavefront_size: 32
    .workgroup_processor_mode: 1
  - .args:
      - .offset:         0
        .size:           120
        .value_kind:     by_value
    .group_segment_fixed_size: 0
    .kernarg_segment_align: 8
    .kernarg_segment_size: 120
    .language:       OpenCL C
    .language_version:
      - 2
      - 0
    .max_flat_workgroup_size: 128
    .name:           _ZN7rocprim17ROCPRIM_400000_NS6detail17trampoline_kernelINS0_14default_configENS1_25partition_config_selectorILNS1_17partition_subalgoE5EyNS0_10empty_typeEbEEZZNS1_14partition_implILS5_5ELb0ES3_mN6thrust23THRUST_200600_302600_NS6detail15normal_iteratorINSA_10device_ptrIyEEEEPS6_NSA_18transform_iteratorINSB_9not_fun_tINSA_8identityIyEEEESF_NSA_11use_defaultESM_EENS0_5tupleIJSF_S6_EEENSO_IJSG_SG_EEES6_PlJS6_EEE10hipError_tPvRmT3_T4_T5_T6_T7_T9_mT8_P12ihipStream_tbDpT10_ENKUlT_T0_E_clISt17integral_constantIbLb1EES1A_IbLb0EEEEDaS16_S17_EUlS16_E_NS1_11comp_targetILNS1_3genE9ELNS1_11target_archE1100ELNS1_3gpuE3ELNS1_3repE0EEENS1_30default_config_static_selectorELNS0_4arch9wavefront6targetE0EEEvT1_
    .private_segment_fixed_size: 0
    .sgpr_count:     0
    .sgpr_spill_count: 0
    .symbol:         _ZN7rocprim17ROCPRIM_400000_NS6detail17trampoline_kernelINS0_14default_configENS1_25partition_config_selectorILNS1_17partition_subalgoE5EyNS0_10empty_typeEbEEZZNS1_14partition_implILS5_5ELb0ES3_mN6thrust23THRUST_200600_302600_NS6detail15normal_iteratorINSA_10device_ptrIyEEEEPS6_NSA_18transform_iteratorINSB_9not_fun_tINSA_8identityIyEEEESF_NSA_11use_defaultESM_EENS0_5tupleIJSF_S6_EEENSO_IJSG_SG_EEES6_PlJS6_EEE10hipError_tPvRmT3_T4_T5_T6_T7_T9_mT8_P12ihipStream_tbDpT10_ENKUlT_T0_E_clISt17integral_constantIbLb1EES1A_IbLb0EEEEDaS16_S17_EUlS16_E_NS1_11comp_targetILNS1_3genE9ELNS1_11target_archE1100ELNS1_3gpuE3ELNS1_3repE0EEENS1_30default_config_static_selectorELNS0_4arch9wavefront6targetE0EEEvT1_.kd
    .uniform_work_group_size: 1
    .uses_dynamic_stack: false
    .vgpr_count:     0
    .vgpr_spill_count: 0
    .wavefront_size: 32
    .workgroup_processor_mode: 1
  - .args:
      - .offset:         0
        .size:           120
        .value_kind:     by_value
    .group_segment_fixed_size: 0
    .kernarg_segment_align: 8
    .kernarg_segment_size: 120
    .language:       OpenCL C
    .language_version:
      - 2
      - 0
    .max_flat_workgroup_size: 512
    .name:           _ZN7rocprim17ROCPRIM_400000_NS6detail17trampoline_kernelINS0_14default_configENS1_25partition_config_selectorILNS1_17partition_subalgoE5EyNS0_10empty_typeEbEEZZNS1_14partition_implILS5_5ELb0ES3_mN6thrust23THRUST_200600_302600_NS6detail15normal_iteratorINSA_10device_ptrIyEEEEPS6_NSA_18transform_iteratorINSB_9not_fun_tINSA_8identityIyEEEESF_NSA_11use_defaultESM_EENS0_5tupleIJSF_S6_EEENSO_IJSG_SG_EEES6_PlJS6_EEE10hipError_tPvRmT3_T4_T5_T6_T7_T9_mT8_P12ihipStream_tbDpT10_ENKUlT_T0_E_clISt17integral_constantIbLb1EES1A_IbLb0EEEEDaS16_S17_EUlS16_E_NS1_11comp_targetILNS1_3genE8ELNS1_11target_archE1030ELNS1_3gpuE2ELNS1_3repE0EEENS1_30default_config_static_selectorELNS0_4arch9wavefront6targetE0EEEvT1_
    .private_segment_fixed_size: 0
    .sgpr_count:     0
    .sgpr_spill_count: 0
    .symbol:         _ZN7rocprim17ROCPRIM_400000_NS6detail17trampoline_kernelINS0_14default_configENS1_25partition_config_selectorILNS1_17partition_subalgoE5EyNS0_10empty_typeEbEEZZNS1_14partition_implILS5_5ELb0ES3_mN6thrust23THRUST_200600_302600_NS6detail15normal_iteratorINSA_10device_ptrIyEEEEPS6_NSA_18transform_iteratorINSB_9not_fun_tINSA_8identityIyEEEESF_NSA_11use_defaultESM_EENS0_5tupleIJSF_S6_EEENSO_IJSG_SG_EEES6_PlJS6_EEE10hipError_tPvRmT3_T4_T5_T6_T7_T9_mT8_P12ihipStream_tbDpT10_ENKUlT_T0_E_clISt17integral_constantIbLb1EES1A_IbLb0EEEEDaS16_S17_EUlS16_E_NS1_11comp_targetILNS1_3genE8ELNS1_11target_archE1030ELNS1_3gpuE2ELNS1_3repE0EEENS1_30default_config_static_selectorELNS0_4arch9wavefront6targetE0EEEvT1_.kd
    .uniform_work_group_size: 1
    .uses_dynamic_stack: false
    .vgpr_count:     0
    .vgpr_spill_count: 0
    .wavefront_size: 32
    .workgroup_processor_mode: 1
  - .args:
      - .offset:         0
        .size:           136
        .value_kind:     by_value
    .group_segment_fixed_size: 0
    .kernarg_segment_align: 8
    .kernarg_segment_size: 136
    .language:       OpenCL C
    .language_version:
      - 2
      - 0
    .max_flat_workgroup_size: 128
    .name:           _ZN7rocprim17ROCPRIM_400000_NS6detail17trampoline_kernelINS0_14default_configENS1_25partition_config_selectorILNS1_17partition_subalgoE5EyNS0_10empty_typeEbEEZZNS1_14partition_implILS5_5ELb0ES3_mN6thrust23THRUST_200600_302600_NS6detail15normal_iteratorINSA_10device_ptrIyEEEEPS6_NSA_18transform_iteratorINSB_9not_fun_tINSA_8identityIyEEEESF_NSA_11use_defaultESM_EENS0_5tupleIJSF_S6_EEENSO_IJSG_SG_EEES6_PlJS6_EEE10hipError_tPvRmT3_T4_T5_T6_T7_T9_mT8_P12ihipStream_tbDpT10_ENKUlT_T0_E_clISt17integral_constantIbLb0EES1A_IbLb1EEEEDaS16_S17_EUlS16_E_NS1_11comp_targetILNS1_3genE0ELNS1_11target_archE4294967295ELNS1_3gpuE0ELNS1_3repE0EEENS1_30default_config_static_selectorELNS0_4arch9wavefront6targetE0EEEvT1_
    .private_segment_fixed_size: 0
    .sgpr_count:     0
    .sgpr_spill_count: 0
    .symbol:         _ZN7rocprim17ROCPRIM_400000_NS6detail17trampoline_kernelINS0_14default_configENS1_25partition_config_selectorILNS1_17partition_subalgoE5EyNS0_10empty_typeEbEEZZNS1_14partition_implILS5_5ELb0ES3_mN6thrust23THRUST_200600_302600_NS6detail15normal_iteratorINSA_10device_ptrIyEEEEPS6_NSA_18transform_iteratorINSB_9not_fun_tINSA_8identityIyEEEESF_NSA_11use_defaultESM_EENS0_5tupleIJSF_S6_EEENSO_IJSG_SG_EEES6_PlJS6_EEE10hipError_tPvRmT3_T4_T5_T6_T7_T9_mT8_P12ihipStream_tbDpT10_ENKUlT_T0_E_clISt17integral_constantIbLb0EES1A_IbLb1EEEEDaS16_S17_EUlS16_E_NS1_11comp_targetILNS1_3genE0ELNS1_11target_archE4294967295ELNS1_3gpuE0ELNS1_3repE0EEENS1_30default_config_static_selectorELNS0_4arch9wavefront6targetE0EEEvT1_.kd
    .uniform_work_group_size: 1
    .uses_dynamic_stack: false
    .vgpr_count:     0
    .vgpr_spill_count: 0
    .wavefront_size: 32
    .workgroup_processor_mode: 1
  - .args:
      - .offset:         0
        .size:           136
        .value_kind:     by_value
    .group_segment_fixed_size: 0
    .kernarg_segment_align: 8
    .kernarg_segment_size: 136
    .language:       OpenCL C
    .language_version:
      - 2
      - 0
    .max_flat_workgroup_size: 512
    .name:           _ZN7rocprim17ROCPRIM_400000_NS6detail17trampoline_kernelINS0_14default_configENS1_25partition_config_selectorILNS1_17partition_subalgoE5EyNS0_10empty_typeEbEEZZNS1_14partition_implILS5_5ELb0ES3_mN6thrust23THRUST_200600_302600_NS6detail15normal_iteratorINSA_10device_ptrIyEEEEPS6_NSA_18transform_iteratorINSB_9not_fun_tINSA_8identityIyEEEESF_NSA_11use_defaultESM_EENS0_5tupleIJSF_S6_EEENSO_IJSG_SG_EEES6_PlJS6_EEE10hipError_tPvRmT3_T4_T5_T6_T7_T9_mT8_P12ihipStream_tbDpT10_ENKUlT_T0_E_clISt17integral_constantIbLb0EES1A_IbLb1EEEEDaS16_S17_EUlS16_E_NS1_11comp_targetILNS1_3genE5ELNS1_11target_archE942ELNS1_3gpuE9ELNS1_3repE0EEENS1_30default_config_static_selectorELNS0_4arch9wavefront6targetE0EEEvT1_
    .private_segment_fixed_size: 0
    .sgpr_count:     0
    .sgpr_spill_count: 0
    .symbol:         _ZN7rocprim17ROCPRIM_400000_NS6detail17trampoline_kernelINS0_14default_configENS1_25partition_config_selectorILNS1_17partition_subalgoE5EyNS0_10empty_typeEbEEZZNS1_14partition_implILS5_5ELb0ES3_mN6thrust23THRUST_200600_302600_NS6detail15normal_iteratorINSA_10device_ptrIyEEEEPS6_NSA_18transform_iteratorINSB_9not_fun_tINSA_8identityIyEEEESF_NSA_11use_defaultESM_EENS0_5tupleIJSF_S6_EEENSO_IJSG_SG_EEES6_PlJS6_EEE10hipError_tPvRmT3_T4_T5_T6_T7_T9_mT8_P12ihipStream_tbDpT10_ENKUlT_T0_E_clISt17integral_constantIbLb0EES1A_IbLb1EEEEDaS16_S17_EUlS16_E_NS1_11comp_targetILNS1_3genE5ELNS1_11target_archE942ELNS1_3gpuE9ELNS1_3repE0EEENS1_30default_config_static_selectorELNS0_4arch9wavefront6targetE0EEEvT1_.kd
    .uniform_work_group_size: 1
    .uses_dynamic_stack: false
    .vgpr_count:     0
    .vgpr_spill_count: 0
    .wavefront_size: 32
    .workgroup_processor_mode: 1
  - .args:
      - .offset:         0
        .size:           136
        .value_kind:     by_value
    .group_segment_fixed_size: 0
    .kernarg_segment_align: 8
    .kernarg_segment_size: 136
    .language:       OpenCL C
    .language_version:
      - 2
      - 0
    .max_flat_workgroup_size: 192
    .name:           _ZN7rocprim17ROCPRIM_400000_NS6detail17trampoline_kernelINS0_14default_configENS1_25partition_config_selectorILNS1_17partition_subalgoE5EyNS0_10empty_typeEbEEZZNS1_14partition_implILS5_5ELb0ES3_mN6thrust23THRUST_200600_302600_NS6detail15normal_iteratorINSA_10device_ptrIyEEEEPS6_NSA_18transform_iteratorINSB_9not_fun_tINSA_8identityIyEEEESF_NSA_11use_defaultESM_EENS0_5tupleIJSF_S6_EEENSO_IJSG_SG_EEES6_PlJS6_EEE10hipError_tPvRmT3_T4_T5_T6_T7_T9_mT8_P12ihipStream_tbDpT10_ENKUlT_T0_E_clISt17integral_constantIbLb0EES1A_IbLb1EEEEDaS16_S17_EUlS16_E_NS1_11comp_targetILNS1_3genE4ELNS1_11target_archE910ELNS1_3gpuE8ELNS1_3repE0EEENS1_30default_config_static_selectorELNS0_4arch9wavefront6targetE0EEEvT1_
    .private_segment_fixed_size: 0
    .sgpr_count:     0
    .sgpr_spill_count: 0
    .symbol:         _ZN7rocprim17ROCPRIM_400000_NS6detail17trampoline_kernelINS0_14default_configENS1_25partition_config_selectorILNS1_17partition_subalgoE5EyNS0_10empty_typeEbEEZZNS1_14partition_implILS5_5ELb0ES3_mN6thrust23THRUST_200600_302600_NS6detail15normal_iteratorINSA_10device_ptrIyEEEEPS6_NSA_18transform_iteratorINSB_9not_fun_tINSA_8identityIyEEEESF_NSA_11use_defaultESM_EENS0_5tupleIJSF_S6_EEENSO_IJSG_SG_EEES6_PlJS6_EEE10hipError_tPvRmT3_T4_T5_T6_T7_T9_mT8_P12ihipStream_tbDpT10_ENKUlT_T0_E_clISt17integral_constantIbLb0EES1A_IbLb1EEEEDaS16_S17_EUlS16_E_NS1_11comp_targetILNS1_3genE4ELNS1_11target_archE910ELNS1_3gpuE8ELNS1_3repE0EEENS1_30default_config_static_selectorELNS0_4arch9wavefront6targetE0EEEvT1_.kd
    .uniform_work_group_size: 1
    .uses_dynamic_stack: false
    .vgpr_count:     0
    .vgpr_spill_count: 0
    .wavefront_size: 32
    .workgroup_processor_mode: 1
  - .args:
      - .offset:         0
        .size:           136
        .value_kind:     by_value
    .group_segment_fixed_size: 0
    .kernarg_segment_align: 8
    .kernarg_segment_size: 136
    .language:       OpenCL C
    .language_version:
      - 2
      - 0
    .max_flat_workgroup_size: 128
    .name:           _ZN7rocprim17ROCPRIM_400000_NS6detail17trampoline_kernelINS0_14default_configENS1_25partition_config_selectorILNS1_17partition_subalgoE5EyNS0_10empty_typeEbEEZZNS1_14partition_implILS5_5ELb0ES3_mN6thrust23THRUST_200600_302600_NS6detail15normal_iteratorINSA_10device_ptrIyEEEEPS6_NSA_18transform_iteratorINSB_9not_fun_tINSA_8identityIyEEEESF_NSA_11use_defaultESM_EENS0_5tupleIJSF_S6_EEENSO_IJSG_SG_EEES6_PlJS6_EEE10hipError_tPvRmT3_T4_T5_T6_T7_T9_mT8_P12ihipStream_tbDpT10_ENKUlT_T0_E_clISt17integral_constantIbLb0EES1A_IbLb1EEEEDaS16_S17_EUlS16_E_NS1_11comp_targetILNS1_3genE3ELNS1_11target_archE908ELNS1_3gpuE7ELNS1_3repE0EEENS1_30default_config_static_selectorELNS0_4arch9wavefront6targetE0EEEvT1_
    .private_segment_fixed_size: 0
    .sgpr_count:     0
    .sgpr_spill_count: 0
    .symbol:         _ZN7rocprim17ROCPRIM_400000_NS6detail17trampoline_kernelINS0_14default_configENS1_25partition_config_selectorILNS1_17partition_subalgoE5EyNS0_10empty_typeEbEEZZNS1_14partition_implILS5_5ELb0ES3_mN6thrust23THRUST_200600_302600_NS6detail15normal_iteratorINSA_10device_ptrIyEEEEPS6_NSA_18transform_iteratorINSB_9not_fun_tINSA_8identityIyEEEESF_NSA_11use_defaultESM_EENS0_5tupleIJSF_S6_EEENSO_IJSG_SG_EEES6_PlJS6_EEE10hipError_tPvRmT3_T4_T5_T6_T7_T9_mT8_P12ihipStream_tbDpT10_ENKUlT_T0_E_clISt17integral_constantIbLb0EES1A_IbLb1EEEEDaS16_S17_EUlS16_E_NS1_11comp_targetILNS1_3genE3ELNS1_11target_archE908ELNS1_3gpuE7ELNS1_3repE0EEENS1_30default_config_static_selectorELNS0_4arch9wavefront6targetE0EEEvT1_.kd
    .uniform_work_group_size: 1
    .uses_dynamic_stack: false
    .vgpr_count:     0
    .vgpr_spill_count: 0
    .wavefront_size: 32
    .workgroup_processor_mode: 1
  - .args:
      - .offset:         0
        .size:           136
        .value_kind:     by_value
    .group_segment_fixed_size: 0
    .kernarg_segment_align: 8
    .kernarg_segment_size: 136
    .language:       OpenCL C
    .language_version:
      - 2
      - 0
    .max_flat_workgroup_size: 256
    .name:           _ZN7rocprim17ROCPRIM_400000_NS6detail17trampoline_kernelINS0_14default_configENS1_25partition_config_selectorILNS1_17partition_subalgoE5EyNS0_10empty_typeEbEEZZNS1_14partition_implILS5_5ELb0ES3_mN6thrust23THRUST_200600_302600_NS6detail15normal_iteratorINSA_10device_ptrIyEEEEPS6_NSA_18transform_iteratorINSB_9not_fun_tINSA_8identityIyEEEESF_NSA_11use_defaultESM_EENS0_5tupleIJSF_S6_EEENSO_IJSG_SG_EEES6_PlJS6_EEE10hipError_tPvRmT3_T4_T5_T6_T7_T9_mT8_P12ihipStream_tbDpT10_ENKUlT_T0_E_clISt17integral_constantIbLb0EES1A_IbLb1EEEEDaS16_S17_EUlS16_E_NS1_11comp_targetILNS1_3genE2ELNS1_11target_archE906ELNS1_3gpuE6ELNS1_3repE0EEENS1_30default_config_static_selectorELNS0_4arch9wavefront6targetE0EEEvT1_
    .private_segment_fixed_size: 0
    .sgpr_count:     0
    .sgpr_spill_count: 0
    .symbol:         _ZN7rocprim17ROCPRIM_400000_NS6detail17trampoline_kernelINS0_14default_configENS1_25partition_config_selectorILNS1_17partition_subalgoE5EyNS0_10empty_typeEbEEZZNS1_14partition_implILS5_5ELb0ES3_mN6thrust23THRUST_200600_302600_NS6detail15normal_iteratorINSA_10device_ptrIyEEEEPS6_NSA_18transform_iteratorINSB_9not_fun_tINSA_8identityIyEEEESF_NSA_11use_defaultESM_EENS0_5tupleIJSF_S6_EEENSO_IJSG_SG_EEES6_PlJS6_EEE10hipError_tPvRmT3_T4_T5_T6_T7_T9_mT8_P12ihipStream_tbDpT10_ENKUlT_T0_E_clISt17integral_constantIbLb0EES1A_IbLb1EEEEDaS16_S17_EUlS16_E_NS1_11comp_targetILNS1_3genE2ELNS1_11target_archE906ELNS1_3gpuE6ELNS1_3repE0EEENS1_30default_config_static_selectorELNS0_4arch9wavefront6targetE0EEEvT1_.kd
    .uniform_work_group_size: 1
    .uses_dynamic_stack: false
    .vgpr_count:     0
    .vgpr_spill_count: 0
    .wavefront_size: 32
    .workgroup_processor_mode: 1
  - .args:
      - .offset:         0
        .size:           136
        .value_kind:     by_value
    .group_segment_fixed_size: 8464
    .kernarg_segment_align: 8
    .kernarg_segment_size: 136
    .language:       OpenCL C
    .language_version:
      - 2
      - 0
    .max_flat_workgroup_size: 256
    .name:           _ZN7rocprim17ROCPRIM_400000_NS6detail17trampoline_kernelINS0_14default_configENS1_25partition_config_selectorILNS1_17partition_subalgoE5EyNS0_10empty_typeEbEEZZNS1_14partition_implILS5_5ELb0ES3_mN6thrust23THRUST_200600_302600_NS6detail15normal_iteratorINSA_10device_ptrIyEEEEPS6_NSA_18transform_iteratorINSB_9not_fun_tINSA_8identityIyEEEESF_NSA_11use_defaultESM_EENS0_5tupleIJSF_S6_EEENSO_IJSG_SG_EEES6_PlJS6_EEE10hipError_tPvRmT3_T4_T5_T6_T7_T9_mT8_P12ihipStream_tbDpT10_ENKUlT_T0_E_clISt17integral_constantIbLb0EES1A_IbLb1EEEEDaS16_S17_EUlS16_E_NS1_11comp_targetILNS1_3genE10ELNS1_11target_archE1200ELNS1_3gpuE4ELNS1_3repE0EEENS1_30default_config_static_selectorELNS0_4arch9wavefront6targetE0EEEvT1_
    .private_segment_fixed_size: 0
    .sgpr_count:     28
    .sgpr_spill_count: 0
    .symbol:         _ZN7rocprim17ROCPRIM_400000_NS6detail17trampoline_kernelINS0_14default_configENS1_25partition_config_selectorILNS1_17partition_subalgoE5EyNS0_10empty_typeEbEEZZNS1_14partition_implILS5_5ELb0ES3_mN6thrust23THRUST_200600_302600_NS6detail15normal_iteratorINSA_10device_ptrIyEEEEPS6_NSA_18transform_iteratorINSB_9not_fun_tINSA_8identityIyEEEESF_NSA_11use_defaultESM_EENS0_5tupleIJSF_S6_EEENSO_IJSG_SG_EEES6_PlJS6_EEE10hipError_tPvRmT3_T4_T5_T6_T7_T9_mT8_P12ihipStream_tbDpT10_ENKUlT_T0_E_clISt17integral_constantIbLb0EES1A_IbLb1EEEEDaS16_S17_EUlS16_E_NS1_11comp_targetILNS1_3genE10ELNS1_11target_archE1200ELNS1_3gpuE4ELNS1_3repE0EEENS1_30default_config_static_selectorELNS0_4arch9wavefront6targetE0EEEvT1_.kd
    .uniform_work_group_size: 1
    .uses_dynamic_stack: false
    .vgpr_count:     48
    .vgpr_spill_count: 0
    .wavefront_size: 32
    .workgroup_processor_mode: 1
  - .args:
      - .offset:         0
        .size:           136
        .value_kind:     by_value
    .group_segment_fixed_size: 0
    .kernarg_segment_align: 8
    .kernarg_segment_size: 136
    .language:       OpenCL C
    .language_version:
      - 2
      - 0
    .max_flat_workgroup_size: 128
    .name:           _ZN7rocprim17ROCPRIM_400000_NS6detail17trampoline_kernelINS0_14default_configENS1_25partition_config_selectorILNS1_17partition_subalgoE5EyNS0_10empty_typeEbEEZZNS1_14partition_implILS5_5ELb0ES3_mN6thrust23THRUST_200600_302600_NS6detail15normal_iteratorINSA_10device_ptrIyEEEEPS6_NSA_18transform_iteratorINSB_9not_fun_tINSA_8identityIyEEEESF_NSA_11use_defaultESM_EENS0_5tupleIJSF_S6_EEENSO_IJSG_SG_EEES6_PlJS6_EEE10hipError_tPvRmT3_T4_T5_T6_T7_T9_mT8_P12ihipStream_tbDpT10_ENKUlT_T0_E_clISt17integral_constantIbLb0EES1A_IbLb1EEEEDaS16_S17_EUlS16_E_NS1_11comp_targetILNS1_3genE9ELNS1_11target_archE1100ELNS1_3gpuE3ELNS1_3repE0EEENS1_30default_config_static_selectorELNS0_4arch9wavefront6targetE0EEEvT1_
    .private_segment_fixed_size: 0
    .sgpr_count:     0
    .sgpr_spill_count: 0
    .symbol:         _ZN7rocprim17ROCPRIM_400000_NS6detail17trampoline_kernelINS0_14default_configENS1_25partition_config_selectorILNS1_17partition_subalgoE5EyNS0_10empty_typeEbEEZZNS1_14partition_implILS5_5ELb0ES3_mN6thrust23THRUST_200600_302600_NS6detail15normal_iteratorINSA_10device_ptrIyEEEEPS6_NSA_18transform_iteratorINSB_9not_fun_tINSA_8identityIyEEEESF_NSA_11use_defaultESM_EENS0_5tupleIJSF_S6_EEENSO_IJSG_SG_EEES6_PlJS6_EEE10hipError_tPvRmT3_T4_T5_T6_T7_T9_mT8_P12ihipStream_tbDpT10_ENKUlT_T0_E_clISt17integral_constantIbLb0EES1A_IbLb1EEEEDaS16_S17_EUlS16_E_NS1_11comp_targetILNS1_3genE9ELNS1_11target_archE1100ELNS1_3gpuE3ELNS1_3repE0EEENS1_30default_config_static_selectorELNS0_4arch9wavefront6targetE0EEEvT1_.kd
    .uniform_work_group_size: 1
    .uses_dynamic_stack: false
    .vgpr_count:     0
    .vgpr_spill_count: 0
    .wavefront_size: 32
    .workgroup_processor_mode: 1
  - .args:
      - .offset:         0
        .size:           136
        .value_kind:     by_value
    .group_segment_fixed_size: 0
    .kernarg_segment_align: 8
    .kernarg_segment_size: 136
    .language:       OpenCL C
    .language_version:
      - 2
      - 0
    .max_flat_workgroup_size: 512
    .name:           _ZN7rocprim17ROCPRIM_400000_NS6detail17trampoline_kernelINS0_14default_configENS1_25partition_config_selectorILNS1_17partition_subalgoE5EyNS0_10empty_typeEbEEZZNS1_14partition_implILS5_5ELb0ES3_mN6thrust23THRUST_200600_302600_NS6detail15normal_iteratorINSA_10device_ptrIyEEEEPS6_NSA_18transform_iteratorINSB_9not_fun_tINSA_8identityIyEEEESF_NSA_11use_defaultESM_EENS0_5tupleIJSF_S6_EEENSO_IJSG_SG_EEES6_PlJS6_EEE10hipError_tPvRmT3_T4_T5_T6_T7_T9_mT8_P12ihipStream_tbDpT10_ENKUlT_T0_E_clISt17integral_constantIbLb0EES1A_IbLb1EEEEDaS16_S17_EUlS16_E_NS1_11comp_targetILNS1_3genE8ELNS1_11target_archE1030ELNS1_3gpuE2ELNS1_3repE0EEENS1_30default_config_static_selectorELNS0_4arch9wavefront6targetE0EEEvT1_
    .private_segment_fixed_size: 0
    .sgpr_count:     0
    .sgpr_spill_count: 0
    .symbol:         _ZN7rocprim17ROCPRIM_400000_NS6detail17trampoline_kernelINS0_14default_configENS1_25partition_config_selectorILNS1_17partition_subalgoE5EyNS0_10empty_typeEbEEZZNS1_14partition_implILS5_5ELb0ES3_mN6thrust23THRUST_200600_302600_NS6detail15normal_iteratorINSA_10device_ptrIyEEEEPS6_NSA_18transform_iteratorINSB_9not_fun_tINSA_8identityIyEEEESF_NSA_11use_defaultESM_EENS0_5tupleIJSF_S6_EEENSO_IJSG_SG_EEES6_PlJS6_EEE10hipError_tPvRmT3_T4_T5_T6_T7_T9_mT8_P12ihipStream_tbDpT10_ENKUlT_T0_E_clISt17integral_constantIbLb0EES1A_IbLb1EEEEDaS16_S17_EUlS16_E_NS1_11comp_targetILNS1_3genE8ELNS1_11target_archE1030ELNS1_3gpuE2ELNS1_3repE0EEENS1_30default_config_static_selectorELNS0_4arch9wavefront6targetE0EEEvT1_.kd
    .uniform_work_group_size: 1
    .uses_dynamic_stack: false
    .vgpr_count:     0
    .vgpr_spill_count: 0
    .wavefront_size: 32
    .workgroup_processor_mode: 1
  - .args:
      - .offset:         0
        .size:           120
        .value_kind:     by_value
    .group_segment_fixed_size: 0
    .kernarg_segment_align: 8
    .kernarg_segment_size: 120
    .language:       OpenCL C
    .language_version:
      - 2
      - 0
    .max_flat_workgroup_size: 512
    .name:           _ZN7rocprim17ROCPRIM_400000_NS6detail17trampoline_kernelINS0_14default_configENS1_25partition_config_selectorILNS1_17partition_subalgoE5EjNS0_10empty_typeEbEEZZNS1_14partition_implILS5_5ELb0ES3_mN6thrust23THRUST_200600_302600_NS6detail15normal_iteratorINSA_10device_ptrIjEEEEPS6_NSA_18transform_iteratorINSB_9not_fun_tINSA_8identityIjEEEESF_NSA_11use_defaultESM_EENS0_5tupleIJSF_S6_EEENSO_IJSG_SG_EEES6_PlJS6_EEE10hipError_tPvRmT3_T4_T5_T6_T7_T9_mT8_P12ihipStream_tbDpT10_ENKUlT_T0_E_clISt17integral_constantIbLb0EES1B_EEDaS16_S17_EUlS16_E_NS1_11comp_targetILNS1_3genE0ELNS1_11target_archE4294967295ELNS1_3gpuE0ELNS1_3repE0EEENS1_30default_config_static_selectorELNS0_4arch9wavefront6targetE0EEEvT1_
    .private_segment_fixed_size: 0
    .sgpr_count:     0
    .sgpr_spill_count: 0
    .symbol:         _ZN7rocprim17ROCPRIM_400000_NS6detail17trampoline_kernelINS0_14default_configENS1_25partition_config_selectorILNS1_17partition_subalgoE5EjNS0_10empty_typeEbEEZZNS1_14partition_implILS5_5ELb0ES3_mN6thrust23THRUST_200600_302600_NS6detail15normal_iteratorINSA_10device_ptrIjEEEEPS6_NSA_18transform_iteratorINSB_9not_fun_tINSA_8identityIjEEEESF_NSA_11use_defaultESM_EENS0_5tupleIJSF_S6_EEENSO_IJSG_SG_EEES6_PlJS6_EEE10hipError_tPvRmT3_T4_T5_T6_T7_T9_mT8_P12ihipStream_tbDpT10_ENKUlT_T0_E_clISt17integral_constantIbLb0EES1B_EEDaS16_S17_EUlS16_E_NS1_11comp_targetILNS1_3genE0ELNS1_11target_archE4294967295ELNS1_3gpuE0ELNS1_3repE0EEENS1_30default_config_static_selectorELNS0_4arch9wavefront6targetE0EEEvT1_.kd
    .uniform_work_group_size: 1
    .uses_dynamic_stack: false
    .vgpr_count:     0
    .vgpr_spill_count: 0
    .wavefront_size: 32
    .workgroup_processor_mode: 1
  - .args:
      - .offset:         0
        .size:           120
        .value_kind:     by_value
    .group_segment_fixed_size: 0
    .kernarg_segment_align: 8
    .kernarg_segment_size: 120
    .language:       OpenCL C
    .language_version:
      - 2
      - 0
    .max_flat_workgroup_size: 512
    .name:           _ZN7rocprim17ROCPRIM_400000_NS6detail17trampoline_kernelINS0_14default_configENS1_25partition_config_selectorILNS1_17partition_subalgoE5EjNS0_10empty_typeEbEEZZNS1_14partition_implILS5_5ELb0ES3_mN6thrust23THRUST_200600_302600_NS6detail15normal_iteratorINSA_10device_ptrIjEEEEPS6_NSA_18transform_iteratorINSB_9not_fun_tINSA_8identityIjEEEESF_NSA_11use_defaultESM_EENS0_5tupleIJSF_S6_EEENSO_IJSG_SG_EEES6_PlJS6_EEE10hipError_tPvRmT3_T4_T5_T6_T7_T9_mT8_P12ihipStream_tbDpT10_ENKUlT_T0_E_clISt17integral_constantIbLb0EES1B_EEDaS16_S17_EUlS16_E_NS1_11comp_targetILNS1_3genE5ELNS1_11target_archE942ELNS1_3gpuE9ELNS1_3repE0EEENS1_30default_config_static_selectorELNS0_4arch9wavefront6targetE0EEEvT1_
    .private_segment_fixed_size: 0
    .sgpr_count:     0
    .sgpr_spill_count: 0
    .symbol:         _ZN7rocprim17ROCPRIM_400000_NS6detail17trampoline_kernelINS0_14default_configENS1_25partition_config_selectorILNS1_17partition_subalgoE5EjNS0_10empty_typeEbEEZZNS1_14partition_implILS5_5ELb0ES3_mN6thrust23THRUST_200600_302600_NS6detail15normal_iteratorINSA_10device_ptrIjEEEEPS6_NSA_18transform_iteratorINSB_9not_fun_tINSA_8identityIjEEEESF_NSA_11use_defaultESM_EENS0_5tupleIJSF_S6_EEENSO_IJSG_SG_EEES6_PlJS6_EEE10hipError_tPvRmT3_T4_T5_T6_T7_T9_mT8_P12ihipStream_tbDpT10_ENKUlT_T0_E_clISt17integral_constantIbLb0EES1B_EEDaS16_S17_EUlS16_E_NS1_11comp_targetILNS1_3genE5ELNS1_11target_archE942ELNS1_3gpuE9ELNS1_3repE0EEENS1_30default_config_static_selectorELNS0_4arch9wavefront6targetE0EEEvT1_.kd
    .uniform_work_group_size: 1
    .uses_dynamic_stack: false
    .vgpr_count:     0
    .vgpr_spill_count: 0
    .wavefront_size: 32
    .workgroup_processor_mode: 1
  - .args:
      - .offset:         0
        .size:           120
        .value_kind:     by_value
    .group_segment_fixed_size: 0
    .kernarg_segment_align: 8
    .kernarg_segment_size: 120
    .language:       OpenCL C
    .language_version:
      - 2
      - 0
    .max_flat_workgroup_size: 256
    .name:           _ZN7rocprim17ROCPRIM_400000_NS6detail17trampoline_kernelINS0_14default_configENS1_25partition_config_selectorILNS1_17partition_subalgoE5EjNS0_10empty_typeEbEEZZNS1_14partition_implILS5_5ELb0ES3_mN6thrust23THRUST_200600_302600_NS6detail15normal_iteratorINSA_10device_ptrIjEEEEPS6_NSA_18transform_iteratorINSB_9not_fun_tINSA_8identityIjEEEESF_NSA_11use_defaultESM_EENS0_5tupleIJSF_S6_EEENSO_IJSG_SG_EEES6_PlJS6_EEE10hipError_tPvRmT3_T4_T5_T6_T7_T9_mT8_P12ihipStream_tbDpT10_ENKUlT_T0_E_clISt17integral_constantIbLb0EES1B_EEDaS16_S17_EUlS16_E_NS1_11comp_targetILNS1_3genE4ELNS1_11target_archE910ELNS1_3gpuE8ELNS1_3repE0EEENS1_30default_config_static_selectorELNS0_4arch9wavefront6targetE0EEEvT1_
    .private_segment_fixed_size: 0
    .sgpr_count:     0
    .sgpr_spill_count: 0
    .symbol:         _ZN7rocprim17ROCPRIM_400000_NS6detail17trampoline_kernelINS0_14default_configENS1_25partition_config_selectorILNS1_17partition_subalgoE5EjNS0_10empty_typeEbEEZZNS1_14partition_implILS5_5ELb0ES3_mN6thrust23THRUST_200600_302600_NS6detail15normal_iteratorINSA_10device_ptrIjEEEEPS6_NSA_18transform_iteratorINSB_9not_fun_tINSA_8identityIjEEEESF_NSA_11use_defaultESM_EENS0_5tupleIJSF_S6_EEENSO_IJSG_SG_EEES6_PlJS6_EEE10hipError_tPvRmT3_T4_T5_T6_T7_T9_mT8_P12ihipStream_tbDpT10_ENKUlT_T0_E_clISt17integral_constantIbLb0EES1B_EEDaS16_S17_EUlS16_E_NS1_11comp_targetILNS1_3genE4ELNS1_11target_archE910ELNS1_3gpuE8ELNS1_3repE0EEENS1_30default_config_static_selectorELNS0_4arch9wavefront6targetE0EEEvT1_.kd
    .uniform_work_group_size: 1
    .uses_dynamic_stack: false
    .vgpr_count:     0
    .vgpr_spill_count: 0
    .wavefront_size: 32
    .workgroup_processor_mode: 1
  - .args:
      - .offset:         0
        .size:           120
        .value_kind:     by_value
    .group_segment_fixed_size: 0
    .kernarg_segment_align: 8
    .kernarg_segment_size: 120
    .language:       OpenCL C
    .language_version:
      - 2
      - 0
    .max_flat_workgroup_size: 512
    .name:           _ZN7rocprim17ROCPRIM_400000_NS6detail17trampoline_kernelINS0_14default_configENS1_25partition_config_selectorILNS1_17partition_subalgoE5EjNS0_10empty_typeEbEEZZNS1_14partition_implILS5_5ELb0ES3_mN6thrust23THRUST_200600_302600_NS6detail15normal_iteratorINSA_10device_ptrIjEEEEPS6_NSA_18transform_iteratorINSB_9not_fun_tINSA_8identityIjEEEESF_NSA_11use_defaultESM_EENS0_5tupleIJSF_S6_EEENSO_IJSG_SG_EEES6_PlJS6_EEE10hipError_tPvRmT3_T4_T5_T6_T7_T9_mT8_P12ihipStream_tbDpT10_ENKUlT_T0_E_clISt17integral_constantIbLb0EES1B_EEDaS16_S17_EUlS16_E_NS1_11comp_targetILNS1_3genE3ELNS1_11target_archE908ELNS1_3gpuE7ELNS1_3repE0EEENS1_30default_config_static_selectorELNS0_4arch9wavefront6targetE0EEEvT1_
    .private_segment_fixed_size: 0
    .sgpr_count:     0
    .sgpr_spill_count: 0
    .symbol:         _ZN7rocprim17ROCPRIM_400000_NS6detail17trampoline_kernelINS0_14default_configENS1_25partition_config_selectorILNS1_17partition_subalgoE5EjNS0_10empty_typeEbEEZZNS1_14partition_implILS5_5ELb0ES3_mN6thrust23THRUST_200600_302600_NS6detail15normal_iteratorINSA_10device_ptrIjEEEEPS6_NSA_18transform_iteratorINSB_9not_fun_tINSA_8identityIjEEEESF_NSA_11use_defaultESM_EENS0_5tupleIJSF_S6_EEENSO_IJSG_SG_EEES6_PlJS6_EEE10hipError_tPvRmT3_T4_T5_T6_T7_T9_mT8_P12ihipStream_tbDpT10_ENKUlT_T0_E_clISt17integral_constantIbLb0EES1B_EEDaS16_S17_EUlS16_E_NS1_11comp_targetILNS1_3genE3ELNS1_11target_archE908ELNS1_3gpuE7ELNS1_3repE0EEENS1_30default_config_static_selectorELNS0_4arch9wavefront6targetE0EEEvT1_.kd
    .uniform_work_group_size: 1
    .uses_dynamic_stack: false
    .vgpr_count:     0
    .vgpr_spill_count: 0
    .wavefront_size: 32
    .workgroup_processor_mode: 1
  - .args:
      - .offset:         0
        .size:           120
        .value_kind:     by_value
    .group_segment_fixed_size: 0
    .kernarg_segment_align: 8
    .kernarg_segment_size: 120
    .language:       OpenCL C
    .language_version:
      - 2
      - 0
    .max_flat_workgroup_size: 256
    .name:           _ZN7rocprim17ROCPRIM_400000_NS6detail17trampoline_kernelINS0_14default_configENS1_25partition_config_selectorILNS1_17partition_subalgoE5EjNS0_10empty_typeEbEEZZNS1_14partition_implILS5_5ELb0ES3_mN6thrust23THRUST_200600_302600_NS6detail15normal_iteratorINSA_10device_ptrIjEEEEPS6_NSA_18transform_iteratorINSB_9not_fun_tINSA_8identityIjEEEESF_NSA_11use_defaultESM_EENS0_5tupleIJSF_S6_EEENSO_IJSG_SG_EEES6_PlJS6_EEE10hipError_tPvRmT3_T4_T5_T6_T7_T9_mT8_P12ihipStream_tbDpT10_ENKUlT_T0_E_clISt17integral_constantIbLb0EES1B_EEDaS16_S17_EUlS16_E_NS1_11comp_targetILNS1_3genE2ELNS1_11target_archE906ELNS1_3gpuE6ELNS1_3repE0EEENS1_30default_config_static_selectorELNS0_4arch9wavefront6targetE0EEEvT1_
    .private_segment_fixed_size: 0
    .sgpr_count:     0
    .sgpr_spill_count: 0
    .symbol:         _ZN7rocprim17ROCPRIM_400000_NS6detail17trampoline_kernelINS0_14default_configENS1_25partition_config_selectorILNS1_17partition_subalgoE5EjNS0_10empty_typeEbEEZZNS1_14partition_implILS5_5ELb0ES3_mN6thrust23THRUST_200600_302600_NS6detail15normal_iteratorINSA_10device_ptrIjEEEEPS6_NSA_18transform_iteratorINSB_9not_fun_tINSA_8identityIjEEEESF_NSA_11use_defaultESM_EENS0_5tupleIJSF_S6_EEENSO_IJSG_SG_EEES6_PlJS6_EEE10hipError_tPvRmT3_T4_T5_T6_T7_T9_mT8_P12ihipStream_tbDpT10_ENKUlT_T0_E_clISt17integral_constantIbLb0EES1B_EEDaS16_S17_EUlS16_E_NS1_11comp_targetILNS1_3genE2ELNS1_11target_archE906ELNS1_3gpuE6ELNS1_3repE0EEENS1_30default_config_static_selectorELNS0_4arch9wavefront6targetE0EEEvT1_.kd
    .uniform_work_group_size: 1
    .uses_dynamic_stack: false
    .vgpr_count:     0
    .vgpr_spill_count: 0
    .wavefront_size: 32
    .workgroup_processor_mode: 1
  - .args:
      - .offset:         0
        .size:           120
        .value_kind:     by_value
    .group_segment_fixed_size: 6352
    .kernarg_segment_align: 8
    .kernarg_segment_size: 120
    .language:       OpenCL C
    .language_version:
      - 2
      - 0
    .max_flat_workgroup_size: 192
    .name:           _ZN7rocprim17ROCPRIM_400000_NS6detail17trampoline_kernelINS0_14default_configENS1_25partition_config_selectorILNS1_17partition_subalgoE5EjNS0_10empty_typeEbEEZZNS1_14partition_implILS5_5ELb0ES3_mN6thrust23THRUST_200600_302600_NS6detail15normal_iteratorINSA_10device_ptrIjEEEEPS6_NSA_18transform_iteratorINSB_9not_fun_tINSA_8identityIjEEEESF_NSA_11use_defaultESM_EENS0_5tupleIJSF_S6_EEENSO_IJSG_SG_EEES6_PlJS6_EEE10hipError_tPvRmT3_T4_T5_T6_T7_T9_mT8_P12ihipStream_tbDpT10_ENKUlT_T0_E_clISt17integral_constantIbLb0EES1B_EEDaS16_S17_EUlS16_E_NS1_11comp_targetILNS1_3genE10ELNS1_11target_archE1200ELNS1_3gpuE4ELNS1_3repE0EEENS1_30default_config_static_selectorELNS0_4arch9wavefront6targetE0EEEvT1_
    .private_segment_fixed_size: 0
    .sgpr_count:     24
    .sgpr_spill_count: 0
    .symbol:         _ZN7rocprim17ROCPRIM_400000_NS6detail17trampoline_kernelINS0_14default_configENS1_25partition_config_selectorILNS1_17partition_subalgoE5EjNS0_10empty_typeEbEEZZNS1_14partition_implILS5_5ELb0ES3_mN6thrust23THRUST_200600_302600_NS6detail15normal_iteratorINSA_10device_ptrIjEEEEPS6_NSA_18transform_iteratorINSB_9not_fun_tINSA_8identityIjEEEESF_NSA_11use_defaultESM_EENS0_5tupleIJSF_S6_EEENSO_IJSG_SG_EEES6_PlJS6_EEE10hipError_tPvRmT3_T4_T5_T6_T7_T9_mT8_P12ihipStream_tbDpT10_ENKUlT_T0_E_clISt17integral_constantIbLb0EES1B_EEDaS16_S17_EUlS16_E_NS1_11comp_targetILNS1_3genE10ELNS1_11target_archE1200ELNS1_3gpuE4ELNS1_3repE0EEENS1_30default_config_static_selectorELNS0_4arch9wavefront6targetE0EEEvT1_.kd
    .uniform_work_group_size: 1
    .uses_dynamic_stack: false
    .vgpr_count:     52
    .vgpr_spill_count: 0
    .wavefront_size: 32
    .workgroup_processor_mode: 1
  - .args:
      - .offset:         0
        .size:           120
        .value_kind:     by_value
    .group_segment_fixed_size: 0
    .kernarg_segment_align: 8
    .kernarg_segment_size: 120
    .language:       OpenCL C
    .language_version:
      - 2
      - 0
    .max_flat_workgroup_size: 128
    .name:           _ZN7rocprim17ROCPRIM_400000_NS6detail17trampoline_kernelINS0_14default_configENS1_25partition_config_selectorILNS1_17partition_subalgoE5EjNS0_10empty_typeEbEEZZNS1_14partition_implILS5_5ELb0ES3_mN6thrust23THRUST_200600_302600_NS6detail15normal_iteratorINSA_10device_ptrIjEEEEPS6_NSA_18transform_iteratorINSB_9not_fun_tINSA_8identityIjEEEESF_NSA_11use_defaultESM_EENS0_5tupleIJSF_S6_EEENSO_IJSG_SG_EEES6_PlJS6_EEE10hipError_tPvRmT3_T4_T5_T6_T7_T9_mT8_P12ihipStream_tbDpT10_ENKUlT_T0_E_clISt17integral_constantIbLb0EES1B_EEDaS16_S17_EUlS16_E_NS1_11comp_targetILNS1_3genE9ELNS1_11target_archE1100ELNS1_3gpuE3ELNS1_3repE0EEENS1_30default_config_static_selectorELNS0_4arch9wavefront6targetE0EEEvT1_
    .private_segment_fixed_size: 0
    .sgpr_count:     0
    .sgpr_spill_count: 0
    .symbol:         _ZN7rocprim17ROCPRIM_400000_NS6detail17trampoline_kernelINS0_14default_configENS1_25partition_config_selectorILNS1_17partition_subalgoE5EjNS0_10empty_typeEbEEZZNS1_14partition_implILS5_5ELb0ES3_mN6thrust23THRUST_200600_302600_NS6detail15normal_iteratorINSA_10device_ptrIjEEEEPS6_NSA_18transform_iteratorINSB_9not_fun_tINSA_8identityIjEEEESF_NSA_11use_defaultESM_EENS0_5tupleIJSF_S6_EEENSO_IJSG_SG_EEES6_PlJS6_EEE10hipError_tPvRmT3_T4_T5_T6_T7_T9_mT8_P12ihipStream_tbDpT10_ENKUlT_T0_E_clISt17integral_constantIbLb0EES1B_EEDaS16_S17_EUlS16_E_NS1_11comp_targetILNS1_3genE9ELNS1_11target_archE1100ELNS1_3gpuE3ELNS1_3repE0EEENS1_30default_config_static_selectorELNS0_4arch9wavefront6targetE0EEEvT1_.kd
    .uniform_work_group_size: 1
    .uses_dynamic_stack: false
    .vgpr_count:     0
    .vgpr_spill_count: 0
    .wavefront_size: 32
    .workgroup_processor_mode: 1
  - .args:
      - .offset:         0
        .size:           120
        .value_kind:     by_value
    .group_segment_fixed_size: 0
    .kernarg_segment_align: 8
    .kernarg_segment_size: 120
    .language:       OpenCL C
    .language_version:
      - 2
      - 0
    .max_flat_workgroup_size: 512
    .name:           _ZN7rocprim17ROCPRIM_400000_NS6detail17trampoline_kernelINS0_14default_configENS1_25partition_config_selectorILNS1_17partition_subalgoE5EjNS0_10empty_typeEbEEZZNS1_14partition_implILS5_5ELb0ES3_mN6thrust23THRUST_200600_302600_NS6detail15normal_iteratorINSA_10device_ptrIjEEEEPS6_NSA_18transform_iteratorINSB_9not_fun_tINSA_8identityIjEEEESF_NSA_11use_defaultESM_EENS0_5tupleIJSF_S6_EEENSO_IJSG_SG_EEES6_PlJS6_EEE10hipError_tPvRmT3_T4_T5_T6_T7_T9_mT8_P12ihipStream_tbDpT10_ENKUlT_T0_E_clISt17integral_constantIbLb0EES1B_EEDaS16_S17_EUlS16_E_NS1_11comp_targetILNS1_3genE8ELNS1_11target_archE1030ELNS1_3gpuE2ELNS1_3repE0EEENS1_30default_config_static_selectorELNS0_4arch9wavefront6targetE0EEEvT1_
    .private_segment_fixed_size: 0
    .sgpr_count:     0
    .sgpr_spill_count: 0
    .symbol:         _ZN7rocprim17ROCPRIM_400000_NS6detail17trampoline_kernelINS0_14default_configENS1_25partition_config_selectorILNS1_17partition_subalgoE5EjNS0_10empty_typeEbEEZZNS1_14partition_implILS5_5ELb0ES3_mN6thrust23THRUST_200600_302600_NS6detail15normal_iteratorINSA_10device_ptrIjEEEEPS6_NSA_18transform_iteratorINSB_9not_fun_tINSA_8identityIjEEEESF_NSA_11use_defaultESM_EENS0_5tupleIJSF_S6_EEENSO_IJSG_SG_EEES6_PlJS6_EEE10hipError_tPvRmT3_T4_T5_T6_T7_T9_mT8_P12ihipStream_tbDpT10_ENKUlT_T0_E_clISt17integral_constantIbLb0EES1B_EEDaS16_S17_EUlS16_E_NS1_11comp_targetILNS1_3genE8ELNS1_11target_archE1030ELNS1_3gpuE2ELNS1_3repE0EEENS1_30default_config_static_selectorELNS0_4arch9wavefront6targetE0EEEvT1_.kd
    .uniform_work_group_size: 1
    .uses_dynamic_stack: false
    .vgpr_count:     0
    .vgpr_spill_count: 0
    .wavefront_size: 32
    .workgroup_processor_mode: 1
  - .args:
      - .offset:         0
        .size:           136
        .value_kind:     by_value
    .group_segment_fixed_size: 0
    .kernarg_segment_align: 8
    .kernarg_segment_size: 136
    .language:       OpenCL C
    .language_version:
      - 2
      - 0
    .max_flat_workgroup_size: 512
    .name:           _ZN7rocprim17ROCPRIM_400000_NS6detail17trampoline_kernelINS0_14default_configENS1_25partition_config_selectorILNS1_17partition_subalgoE5EjNS0_10empty_typeEbEEZZNS1_14partition_implILS5_5ELb0ES3_mN6thrust23THRUST_200600_302600_NS6detail15normal_iteratorINSA_10device_ptrIjEEEEPS6_NSA_18transform_iteratorINSB_9not_fun_tINSA_8identityIjEEEESF_NSA_11use_defaultESM_EENS0_5tupleIJSF_S6_EEENSO_IJSG_SG_EEES6_PlJS6_EEE10hipError_tPvRmT3_T4_T5_T6_T7_T9_mT8_P12ihipStream_tbDpT10_ENKUlT_T0_E_clISt17integral_constantIbLb1EES1B_EEDaS16_S17_EUlS16_E_NS1_11comp_targetILNS1_3genE0ELNS1_11target_archE4294967295ELNS1_3gpuE0ELNS1_3repE0EEENS1_30default_config_static_selectorELNS0_4arch9wavefront6targetE0EEEvT1_
    .private_segment_fixed_size: 0
    .sgpr_count:     0
    .sgpr_spill_count: 0
    .symbol:         _ZN7rocprim17ROCPRIM_400000_NS6detail17trampoline_kernelINS0_14default_configENS1_25partition_config_selectorILNS1_17partition_subalgoE5EjNS0_10empty_typeEbEEZZNS1_14partition_implILS5_5ELb0ES3_mN6thrust23THRUST_200600_302600_NS6detail15normal_iteratorINSA_10device_ptrIjEEEEPS6_NSA_18transform_iteratorINSB_9not_fun_tINSA_8identityIjEEEESF_NSA_11use_defaultESM_EENS0_5tupleIJSF_S6_EEENSO_IJSG_SG_EEES6_PlJS6_EEE10hipError_tPvRmT3_T4_T5_T6_T7_T9_mT8_P12ihipStream_tbDpT10_ENKUlT_T0_E_clISt17integral_constantIbLb1EES1B_EEDaS16_S17_EUlS16_E_NS1_11comp_targetILNS1_3genE0ELNS1_11target_archE4294967295ELNS1_3gpuE0ELNS1_3repE0EEENS1_30default_config_static_selectorELNS0_4arch9wavefront6targetE0EEEvT1_.kd
    .uniform_work_group_size: 1
    .uses_dynamic_stack: false
    .vgpr_count:     0
    .vgpr_spill_count: 0
    .wavefront_size: 32
    .workgroup_processor_mode: 1
  - .args:
      - .offset:         0
        .size:           136
        .value_kind:     by_value
    .group_segment_fixed_size: 0
    .kernarg_segment_align: 8
    .kernarg_segment_size: 136
    .language:       OpenCL C
    .language_version:
      - 2
      - 0
    .max_flat_workgroup_size: 512
    .name:           _ZN7rocprim17ROCPRIM_400000_NS6detail17trampoline_kernelINS0_14default_configENS1_25partition_config_selectorILNS1_17partition_subalgoE5EjNS0_10empty_typeEbEEZZNS1_14partition_implILS5_5ELb0ES3_mN6thrust23THRUST_200600_302600_NS6detail15normal_iteratorINSA_10device_ptrIjEEEEPS6_NSA_18transform_iteratorINSB_9not_fun_tINSA_8identityIjEEEESF_NSA_11use_defaultESM_EENS0_5tupleIJSF_S6_EEENSO_IJSG_SG_EEES6_PlJS6_EEE10hipError_tPvRmT3_T4_T5_T6_T7_T9_mT8_P12ihipStream_tbDpT10_ENKUlT_T0_E_clISt17integral_constantIbLb1EES1B_EEDaS16_S17_EUlS16_E_NS1_11comp_targetILNS1_3genE5ELNS1_11target_archE942ELNS1_3gpuE9ELNS1_3repE0EEENS1_30default_config_static_selectorELNS0_4arch9wavefront6targetE0EEEvT1_
    .private_segment_fixed_size: 0
    .sgpr_count:     0
    .sgpr_spill_count: 0
    .symbol:         _ZN7rocprim17ROCPRIM_400000_NS6detail17trampoline_kernelINS0_14default_configENS1_25partition_config_selectorILNS1_17partition_subalgoE5EjNS0_10empty_typeEbEEZZNS1_14partition_implILS5_5ELb0ES3_mN6thrust23THRUST_200600_302600_NS6detail15normal_iteratorINSA_10device_ptrIjEEEEPS6_NSA_18transform_iteratorINSB_9not_fun_tINSA_8identityIjEEEESF_NSA_11use_defaultESM_EENS0_5tupleIJSF_S6_EEENSO_IJSG_SG_EEES6_PlJS6_EEE10hipError_tPvRmT3_T4_T5_T6_T7_T9_mT8_P12ihipStream_tbDpT10_ENKUlT_T0_E_clISt17integral_constantIbLb1EES1B_EEDaS16_S17_EUlS16_E_NS1_11comp_targetILNS1_3genE5ELNS1_11target_archE942ELNS1_3gpuE9ELNS1_3repE0EEENS1_30default_config_static_selectorELNS0_4arch9wavefront6targetE0EEEvT1_.kd
    .uniform_work_group_size: 1
    .uses_dynamic_stack: false
    .vgpr_count:     0
    .vgpr_spill_count: 0
    .wavefront_size: 32
    .workgroup_processor_mode: 1
  - .args:
      - .offset:         0
        .size:           136
        .value_kind:     by_value
    .group_segment_fixed_size: 0
    .kernarg_segment_align: 8
    .kernarg_segment_size: 136
    .language:       OpenCL C
    .language_version:
      - 2
      - 0
    .max_flat_workgroup_size: 256
    .name:           _ZN7rocprim17ROCPRIM_400000_NS6detail17trampoline_kernelINS0_14default_configENS1_25partition_config_selectorILNS1_17partition_subalgoE5EjNS0_10empty_typeEbEEZZNS1_14partition_implILS5_5ELb0ES3_mN6thrust23THRUST_200600_302600_NS6detail15normal_iteratorINSA_10device_ptrIjEEEEPS6_NSA_18transform_iteratorINSB_9not_fun_tINSA_8identityIjEEEESF_NSA_11use_defaultESM_EENS0_5tupleIJSF_S6_EEENSO_IJSG_SG_EEES6_PlJS6_EEE10hipError_tPvRmT3_T4_T5_T6_T7_T9_mT8_P12ihipStream_tbDpT10_ENKUlT_T0_E_clISt17integral_constantIbLb1EES1B_EEDaS16_S17_EUlS16_E_NS1_11comp_targetILNS1_3genE4ELNS1_11target_archE910ELNS1_3gpuE8ELNS1_3repE0EEENS1_30default_config_static_selectorELNS0_4arch9wavefront6targetE0EEEvT1_
    .private_segment_fixed_size: 0
    .sgpr_count:     0
    .sgpr_spill_count: 0
    .symbol:         _ZN7rocprim17ROCPRIM_400000_NS6detail17trampoline_kernelINS0_14default_configENS1_25partition_config_selectorILNS1_17partition_subalgoE5EjNS0_10empty_typeEbEEZZNS1_14partition_implILS5_5ELb0ES3_mN6thrust23THRUST_200600_302600_NS6detail15normal_iteratorINSA_10device_ptrIjEEEEPS6_NSA_18transform_iteratorINSB_9not_fun_tINSA_8identityIjEEEESF_NSA_11use_defaultESM_EENS0_5tupleIJSF_S6_EEENSO_IJSG_SG_EEES6_PlJS6_EEE10hipError_tPvRmT3_T4_T5_T6_T7_T9_mT8_P12ihipStream_tbDpT10_ENKUlT_T0_E_clISt17integral_constantIbLb1EES1B_EEDaS16_S17_EUlS16_E_NS1_11comp_targetILNS1_3genE4ELNS1_11target_archE910ELNS1_3gpuE8ELNS1_3repE0EEENS1_30default_config_static_selectorELNS0_4arch9wavefront6targetE0EEEvT1_.kd
    .uniform_work_group_size: 1
    .uses_dynamic_stack: false
    .vgpr_count:     0
    .vgpr_spill_count: 0
    .wavefront_size: 32
    .workgroup_processor_mode: 1
  - .args:
      - .offset:         0
        .size:           136
        .value_kind:     by_value
    .group_segment_fixed_size: 0
    .kernarg_segment_align: 8
    .kernarg_segment_size: 136
    .language:       OpenCL C
    .language_version:
      - 2
      - 0
    .max_flat_workgroup_size: 512
    .name:           _ZN7rocprim17ROCPRIM_400000_NS6detail17trampoline_kernelINS0_14default_configENS1_25partition_config_selectorILNS1_17partition_subalgoE5EjNS0_10empty_typeEbEEZZNS1_14partition_implILS5_5ELb0ES3_mN6thrust23THRUST_200600_302600_NS6detail15normal_iteratorINSA_10device_ptrIjEEEEPS6_NSA_18transform_iteratorINSB_9not_fun_tINSA_8identityIjEEEESF_NSA_11use_defaultESM_EENS0_5tupleIJSF_S6_EEENSO_IJSG_SG_EEES6_PlJS6_EEE10hipError_tPvRmT3_T4_T5_T6_T7_T9_mT8_P12ihipStream_tbDpT10_ENKUlT_T0_E_clISt17integral_constantIbLb1EES1B_EEDaS16_S17_EUlS16_E_NS1_11comp_targetILNS1_3genE3ELNS1_11target_archE908ELNS1_3gpuE7ELNS1_3repE0EEENS1_30default_config_static_selectorELNS0_4arch9wavefront6targetE0EEEvT1_
    .private_segment_fixed_size: 0
    .sgpr_count:     0
    .sgpr_spill_count: 0
    .symbol:         _ZN7rocprim17ROCPRIM_400000_NS6detail17trampoline_kernelINS0_14default_configENS1_25partition_config_selectorILNS1_17partition_subalgoE5EjNS0_10empty_typeEbEEZZNS1_14partition_implILS5_5ELb0ES3_mN6thrust23THRUST_200600_302600_NS6detail15normal_iteratorINSA_10device_ptrIjEEEEPS6_NSA_18transform_iteratorINSB_9not_fun_tINSA_8identityIjEEEESF_NSA_11use_defaultESM_EENS0_5tupleIJSF_S6_EEENSO_IJSG_SG_EEES6_PlJS6_EEE10hipError_tPvRmT3_T4_T5_T6_T7_T9_mT8_P12ihipStream_tbDpT10_ENKUlT_T0_E_clISt17integral_constantIbLb1EES1B_EEDaS16_S17_EUlS16_E_NS1_11comp_targetILNS1_3genE3ELNS1_11target_archE908ELNS1_3gpuE7ELNS1_3repE0EEENS1_30default_config_static_selectorELNS0_4arch9wavefront6targetE0EEEvT1_.kd
    .uniform_work_group_size: 1
    .uses_dynamic_stack: false
    .vgpr_count:     0
    .vgpr_spill_count: 0
    .wavefront_size: 32
    .workgroup_processor_mode: 1
  - .args:
      - .offset:         0
        .size:           136
        .value_kind:     by_value
    .group_segment_fixed_size: 0
    .kernarg_segment_align: 8
    .kernarg_segment_size: 136
    .language:       OpenCL C
    .language_version:
      - 2
      - 0
    .max_flat_workgroup_size: 256
    .name:           _ZN7rocprim17ROCPRIM_400000_NS6detail17trampoline_kernelINS0_14default_configENS1_25partition_config_selectorILNS1_17partition_subalgoE5EjNS0_10empty_typeEbEEZZNS1_14partition_implILS5_5ELb0ES3_mN6thrust23THRUST_200600_302600_NS6detail15normal_iteratorINSA_10device_ptrIjEEEEPS6_NSA_18transform_iteratorINSB_9not_fun_tINSA_8identityIjEEEESF_NSA_11use_defaultESM_EENS0_5tupleIJSF_S6_EEENSO_IJSG_SG_EEES6_PlJS6_EEE10hipError_tPvRmT3_T4_T5_T6_T7_T9_mT8_P12ihipStream_tbDpT10_ENKUlT_T0_E_clISt17integral_constantIbLb1EES1B_EEDaS16_S17_EUlS16_E_NS1_11comp_targetILNS1_3genE2ELNS1_11target_archE906ELNS1_3gpuE6ELNS1_3repE0EEENS1_30default_config_static_selectorELNS0_4arch9wavefront6targetE0EEEvT1_
    .private_segment_fixed_size: 0
    .sgpr_count:     0
    .sgpr_spill_count: 0
    .symbol:         _ZN7rocprim17ROCPRIM_400000_NS6detail17trampoline_kernelINS0_14default_configENS1_25partition_config_selectorILNS1_17partition_subalgoE5EjNS0_10empty_typeEbEEZZNS1_14partition_implILS5_5ELb0ES3_mN6thrust23THRUST_200600_302600_NS6detail15normal_iteratorINSA_10device_ptrIjEEEEPS6_NSA_18transform_iteratorINSB_9not_fun_tINSA_8identityIjEEEESF_NSA_11use_defaultESM_EENS0_5tupleIJSF_S6_EEENSO_IJSG_SG_EEES6_PlJS6_EEE10hipError_tPvRmT3_T4_T5_T6_T7_T9_mT8_P12ihipStream_tbDpT10_ENKUlT_T0_E_clISt17integral_constantIbLb1EES1B_EEDaS16_S17_EUlS16_E_NS1_11comp_targetILNS1_3genE2ELNS1_11target_archE906ELNS1_3gpuE6ELNS1_3repE0EEENS1_30default_config_static_selectorELNS0_4arch9wavefront6targetE0EEEvT1_.kd
    .uniform_work_group_size: 1
    .uses_dynamic_stack: false
    .vgpr_count:     0
    .vgpr_spill_count: 0
    .wavefront_size: 32
    .workgroup_processor_mode: 1
  - .args:
      - .offset:         0
        .size:           136
        .value_kind:     by_value
    .group_segment_fixed_size: 0
    .kernarg_segment_align: 8
    .kernarg_segment_size: 136
    .language:       OpenCL C
    .language_version:
      - 2
      - 0
    .max_flat_workgroup_size: 192
    .name:           _ZN7rocprim17ROCPRIM_400000_NS6detail17trampoline_kernelINS0_14default_configENS1_25partition_config_selectorILNS1_17partition_subalgoE5EjNS0_10empty_typeEbEEZZNS1_14partition_implILS5_5ELb0ES3_mN6thrust23THRUST_200600_302600_NS6detail15normal_iteratorINSA_10device_ptrIjEEEEPS6_NSA_18transform_iteratorINSB_9not_fun_tINSA_8identityIjEEEESF_NSA_11use_defaultESM_EENS0_5tupleIJSF_S6_EEENSO_IJSG_SG_EEES6_PlJS6_EEE10hipError_tPvRmT3_T4_T5_T6_T7_T9_mT8_P12ihipStream_tbDpT10_ENKUlT_T0_E_clISt17integral_constantIbLb1EES1B_EEDaS16_S17_EUlS16_E_NS1_11comp_targetILNS1_3genE10ELNS1_11target_archE1200ELNS1_3gpuE4ELNS1_3repE0EEENS1_30default_config_static_selectorELNS0_4arch9wavefront6targetE0EEEvT1_
    .private_segment_fixed_size: 0
    .sgpr_count:     0
    .sgpr_spill_count: 0
    .symbol:         _ZN7rocprim17ROCPRIM_400000_NS6detail17trampoline_kernelINS0_14default_configENS1_25partition_config_selectorILNS1_17partition_subalgoE5EjNS0_10empty_typeEbEEZZNS1_14partition_implILS5_5ELb0ES3_mN6thrust23THRUST_200600_302600_NS6detail15normal_iteratorINSA_10device_ptrIjEEEEPS6_NSA_18transform_iteratorINSB_9not_fun_tINSA_8identityIjEEEESF_NSA_11use_defaultESM_EENS0_5tupleIJSF_S6_EEENSO_IJSG_SG_EEES6_PlJS6_EEE10hipError_tPvRmT3_T4_T5_T6_T7_T9_mT8_P12ihipStream_tbDpT10_ENKUlT_T0_E_clISt17integral_constantIbLb1EES1B_EEDaS16_S17_EUlS16_E_NS1_11comp_targetILNS1_3genE10ELNS1_11target_archE1200ELNS1_3gpuE4ELNS1_3repE0EEENS1_30default_config_static_selectorELNS0_4arch9wavefront6targetE0EEEvT1_.kd
    .uniform_work_group_size: 1
    .uses_dynamic_stack: false
    .vgpr_count:     0
    .vgpr_spill_count: 0
    .wavefront_size: 32
    .workgroup_processor_mode: 1
  - .args:
      - .offset:         0
        .size:           136
        .value_kind:     by_value
    .group_segment_fixed_size: 0
    .kernarg_segment_align: 8
    .kernarg_segment_size: 136
    .language:       OpenCL C
    .language_version:
      - 2
      - 0
    .max_flat_workgroup_size: 128
    .name:           _ZN7rocprim17ROCPRIM_400000_NS6detail17trampoline_kernelINS0_14default_configENS1_25partition_config_selectorILNS1_17partition_subalgoE5EjNS0_10empty_typeEbEEZZNS1_14partition_implILS5_5ELb0ES3_mN6thrust23THRUST_200600_302600_NS6detail15normal_iteratorINSA_10device_ptrIjEEEEPS6_NSA_18transform_iteratorINSB_9not_fun_tINSA_8identityIjEEEESF_NSA_11use_defaultESM_EENS0_5tupleIJSF_S6_EEENSO_IJSG_SG_EEES6_PlJS6_EEE10hipError_tPvRmT3_T4_T5_T6_T7_T9_mT8_P12ihipStream_tbDpT10_ENKUlT_T0_E_clISt17integral_constantIbLb1EES1B_EEDaS16_S17_EUlS16_E_NS1_11comp_targetILNS1_3genE9ELNS1_11target_archE1100ELNS1_3gpuE3ELNS1_3repE0EEENS1_30default_config_static_selectorELNS0_4arch9wavefront6targetE0EEEvT1_
    .private_segment_fixed_size: 0
    .sgpr_count:     0
    .sgpr_spill_count: 0
    .symbol:         _ZN7rocprim17ROCPRIM_400000_NS6detail17trampoline_kernelINS0_14default_configENS1_25partition_config_selectorILNS1_17partition_subalgoE5EjNS0_10empty_typeEbEEZZNS1_14partition_implILS5_5ELb0ES3_mN6thrust23THRUST_200600_302600_NS6detail15normal_iteratorINSA_10device_ptrIjEEEEPS6_NSA_18transform_iteratorINSB_9not_fun_tINSA_8identityIjEEEESF_NSA_11use_defaultESM_EENS0_5tupleIJSF_S6_EEENSO_IJSG_SG_EEES6_PlJS6_EEE10hipError_tPvRmT3_T4_T5_T6_T7_T9_mT8_P12ihipStream_tbDpT10_ENKUlT_T0_E_clISt17integral_constantIbLb1EES1B_EEDaS16_S17_EUlS16_E_NS1_11comp_targetILNS1_3genE9ELNS1_11target_archE1100ELNS1_3gpuE3ELNS1_3repE0EEENS1_30default_config_static_selectorELNS0_4arch9wavefront6targetE0EEEvT1_.kd
    .uniform_work_group_size: 1
    .uses_dynamic_stack: false
    .vgpr_count:     0
    .vgpr_spill_count: 0
    .wavefront_size: 32
    .workgroup_processor_mode: 1
  - .args:
      - .offset:         0
        .size:           136
        .value_kind:     by_value
    .group_segment_fixed_size: 0
    .kernarg_segment_align: 8
    .kernarg_segment_size: 136
    .language:       OpenCL C
    .language_version:
      - 2
      - 0
    .max_flat_workgroup_size: 512
    .name:           _ZN7rocprim17ROCPRIM_400000_NS6detail17trampoline_kernelINS0_14default_configENS1_25partition_config_selectorILNS1_17partition_subalgoE5EjNS0_10empty_typeEbEEZZNS1_14partition_implILS5_5ELb0ES3_mN6thrust23THRUST_200600_302600_NS6detail15normal_iteratorINSA_10device_ptrIjEEEEPS6_NSA_18transform_iteratorINSB_9not_fun_tINSA_8identityIjEEEESF_NSA_11use_defaultESM_EENS0_5tupleIJSF_S6_EEENSO_IJSG_SG_EEES6_PlJS6_EEE10hipError_tPvRmT3_T4_T5_T6_T7_T9_mT8_P12ihipStream_tbDpT10_ENKUlT_T0_E_clISt17integral_constantIbLb1EES1B_EEDaS16_S17_EUlS16_E_NS1_11comp_targetILNS1_3genE8ELNS1_11target_archE1030ELNS1_3gpuE2ELNS1_3repE0EEENS1_30default_config_static_selectorELNS0_4arch9wavefront6targetE0EEEvT1_
    .private_segment_fixed_size: 0
    .sgpr_count:     0
    .sgpr_spill_count: 0
    .symbol:         _ZN7rocprim17ROCPRIM_400000_NS6detail17trampoline_kernelINS0_14default_configENS1_25partition_config_selectorILNS1_17partition_subalgoE5EjNS0_10empty_typeEbEEZZNS1_14partition_implILS5_5ELb0ES3_mN6thrust23THRUST_200600_302600_NS6detail15normal_iteratorINSA_10device_ptrIjEEEEPS6_NSA_18transform_iteratorINSB_9not_fun_tINSA_8identityIjEEEESF_NSA_11use_defaultESM_EENS0_5tupleIJSF_S6_EEENSO_IJSG_SG_EEES6_PlJS6_EEE10hipError_tPvRmT3_T4_T5_T6_T7_T9_mT8_P12ihipStream_tbDpT10_ENKUlT_T0_E_clISt17integral_constantIbLb1EES1B_EEDaS16_S17_EUlS16_E_NS1_11comp_targetILNS1_3genE8ELNS1_11target_archE1030ELNS1_3gpuE2ELNS1_3repE0EEENS1_30default_config_static_selectorELNS0_4arch9wavefront6targetE0EEEvT1_.kd
    .uniform_work_group_size: 1
    .uses_dynamic_stack: false
    .vgpr_count:     0
    .vgpr_spill_count: 0
    .wavefront_size: 32
    .workgroup_processor_mode: 1
  - .args:
      - .offset:         0
        .size:           120
        .value_kind:     by_value
    .group_segment_fixed_size: 0
    .kernarg_segment_align: 8
    .kernarg_segment_size: 120
    .language:       OpenCL C
    .language_version:
      - 2
      - 0
    .max_flat_workgroup_size: 512
    .name:           _ZN7rocprim17ROCPRIM_400000_NS6detail17trampoline_kernelINS0_14default_configENS1_25partition_config_selectorILNS1_17partition_subalgoE5EjNS0_10empty_typeEbEEZZNS1_14partition_implILS5_5ELb0ES3_mN6thrust23THRUST_200600_302600_NS6detail15normal_iteratorINSA_10device_ptrIjEEEEPS6_NSA_18transform_iteratorINSB_9not_fun_tINSA_8identityIjEEEESF_NSA_11use_defaultESM_EENS0_5tupleIJSF_S6_EEENSO_IJSG_SG_EEES6_PlJS6_EEE10hipError_tPvRmT3_T4_T5_T6_T7_T9_mT8_P12ihipStream_tbDpT10_ENKUlT_T0_E_clISt17integral_constantIbLb1EES1A_IbLb0EEEEDaS16_S17_EUlS16_E_NS1_11comp_targetILNS1_3genE0ELNS1_11target_archE4294967295ELNS1_3gpuE0ELNS1_3repE0EEENS1_30default_config_static_selectorELNS0_4arch9wavefront6targetE0EEEvT1_
    .private_segment_fixed_size: 0
    .sgpr_count:     0
    .sgpr_spill_count: 0
    .symbol:         _ZN7rocprim17ROCPRIM_400000_NS6detail17trampoline_kernelINS0_14default_configENS1_25partition_config_selectorILNS1_17partition_subalgoE5EjNS0_10empty_typeEbEEZZNS1_14partition_implILS5_5ELb0ES3_mN6thrust23THRUST_200600_302600_NS6detail15normal_iteratorINSA_10device_ptrIjEEEEPS6_NSA_18transform_iteratorINSB_9not_fun_tINSA_8identityIjEEEESF_NSA_11use_defaultESM_EENS0_5tupleIJSF_S6_EEENSO_IJSG_SG_EEES6_PlJS6_EEE10hipError_tPvRmT3_T4_T5_T6_T7_T9_mT8_P12ihipStream_tbDpT10_ENKUlT_T0_E_clISt17integral_constantIbLb1EES1A_IbLb0EEEEDaS16_S17_EUlS16_E_NS1_11comp_targetILNS1_3genE0ELNS1_11target_archE4294967295ELNS1_3gpuE0ELNS1_3repE0EEENS1_30default_config_static_selectorELNS0_4arch9wavefront6targetE0EEEvT1_.kd
    .uniform_work_group_size: 1
    .uses_dynamic_stack: false
    .vgpr_count:     0
    .vgpr_spill_count: 0
    .wavefront_size: 32
    .workgroup_processor_mode: 1
  - .args:
      - .offset:         0
        .size:           120
        .value_kind:     by_value
    .group_segment_fixed_size: 0
    .kernarg_segment_align: 8
    .kernarg_segment_size: 120
    .language:       OpenCL C
    .language_version:
      - 2
      - 0
    .max_flat_workgroup_size: 512
    .name:           _ZN7rocprim17ROCPRIM_400000_NS6detail17trampoline_kernelINS0_14default_configENS1_25partition_config_selectorILNS1_17partition_subalgoE5EjNS0_10empty_typeEbEEZZNS1_14partition_implILS5_5ELb0ES3_mN6thrust23THRUST_200600_302600_NS6detail15normal_iteratorINSA_10device_ptrIjEEEEPS6_NSA_18transform_iteratorINSB_9not_fun_tINSA_8identityIjEEEESF_NSA_11use_defaultESM_EENS0_5tupleIJSF_S6_EEENSO_IJSG_SG_EEES6_PlJS6_EEE10hipError_tPvRmT3_T4_T5_T6_T7_T9_mT8_P12ihipStream_tbDpT10_ENKUlT_T0_E_clISt17integral_constantIbLb1EES1A_IbLb0EEEEDaS16_S17_EUlS16_E_NS1_11comp_targetILNS1_3genE5ELNS1_11target_archE942ELNS1_3gpuE9ELNS1_3repE0EEENS1_30default_config_static_selectorELNS0_4arch9wavefront6targetE0EEEvT1_
    .private_segment_fixed_size: 0
    .sgpr_count:     0
    .sgpr_spill_count: 0
    .symbol:         _ZN7rocprim17ROCPRIM_400000_NS6detail17trampoline_kernelINS0_14default_configENS1_25partition_config_selectorILNS1_17partition_subalgoE5EjNS0_10empty_typeEbEEZZNS1_14partition_implILS5_5ELb0ES3_mN6thrust23THRUST_200600_302600_NS6detail15normal_iteratorINSA_10device_ptrIjEEEEPS6_NSA_18transform_iteratorINSB_9not_fun_tINSA_8identityIjEEEESF_NSA_11use_defaultESM_EENS0_5tupleIJSF_S6_EEENSO_IJSG_SG_EEES6_PlJS6_EEE10hipError_tPvRmT3_T4_T5_T6_T7_T9_mT8_P12ihipStream_tbDpT10_ENKUlT_T0_E_clISt17integral_constantIbLb1EES1A_IbLb0EEEEDaS16_S17_EUlS16_E_NS1_11comp_targetILNS1_3genE5ELNS1_11target_archE942ELNS1_3gpuE9ELNS1_3repE0EEENS1_30default_config_static_selectorELNS0_4arch9wavefront6targetE0EEEvT1_.kd
    .uniform_work_group_size: 1
    .uses_dynamic_stack: false
    .vgpr_count:     0
    .vgpr_spill_count: 0
    .wavefront_size: 32
    .workgroup_processor_mode: 1
  - .args:
      - .offset:         0
        .size:           120
        .value_kind:     by_value
    .group_segment_fixed_size: 0
    .kernarg_segment_align: 8
    .kernarg_segment_size: 120
    .language:       OpenCL C
    .language_version:
      - 2
      - 0
    .max_flat_workgroup_size: 256
    .name:           _ZN7rocprim17ROCPRIM_400000_NS6detail17trampoline_kernelINS0_14default_configENS1_25partition_config_selectorILNS1_17partition_subalgoE5EjNS0_10empty_typeEbEEZZNS1_14partition_implILS5_5ELb0ES3_mN6thrust23THRUST_200600_302600_NS6detail15normal_iteratorINSA_10device_ptrIjEEEEPS6_NSA_18transform_iteratorINSB_9not_fun_tINSA_8identityIjEEEESF_NSA_11use_defaultESM_EENS0_5tupleIJSF_S6_EEENSO_IJSG_SG_EEES6_PlJS6_EEE10hipError_tPvRmT3_T4_T5_T6_T7_T9_mT8_P12ihipStream_tbDpT10_ENKUlT_T0_E_clISt17integral_constantIbLb1EES1A_IbLb0EEEEDaS16_S17_EUlS16_E_NS1_11comp_targetILNS1_3genE4ELNS1_11target_archE910ELNS1_3gpuE8ELNS1_3repE0EEENS1_30default_config_static_selectorELNS0_4arch9wavefront6targetE0EEEvT1_
    .private_segment_fixed_size: 0
    .sgpr_count:     0
    .sgpr_spill_count: 0
    .symbol:         _ZN7rocprim17ROCPRIM_400000_NS6detail17trampoline_kernelINS0_14default_configENS1_25partition_config_selectorILNS1_17partition_subalgoE5EjNS0_10empty_typeEbEEZZNS1_14partition_implILS5_5ELb0ES3_mN6thrust23THRUST_200600_302600_NS6detail15normal_iteratorINSA_10device_ptrIjEEEEPS6_NSA_18transform_iteratorINSB_9not_fun_tINSA_8identityIjEEEESF_NSA_11use_defaultESM_EENS0_5tupleIJSF_S6_EEENSO_IJSG_SG_EEES6_PlJS6_EEE10hipError_tPvRmT3_T4_T5_T6_T7_T9_mT8_P12ihipStream_tbDpT10_ENKUlT_T0_E_clISt17integral_constantIbLb1EES1A_IbLb0EEEEDaS16_S17_EUlS16_E_NS1_11comp_targetILNS1_3genE4ELNS1_11target_archE910ELNS1_3gpuE8ELNS1_3repE0EEENS1_30default_config_static_selectorELNS0_4arch9wavefront6targetE0EEEvT1_.kd
    .uniform_work_group_size: 1
    .uses_dynamic_stack: false
    .vgpr_count:     0
    .vgpr_spill_count: 0
    .wavefront_size: 32
    .workgroup_processor_mode: 1
  - .args:
      - .offset:         0
        .size:           120
        .value_kind:     by_value
    .group_segment_fixed_size: 0
    .kernarg_segment_align: 8
    .kernarg_segment_size: 120
    .language:       OpenCL C
    .language_version:
      - 2
      - 0
    .max_flat_workgroup_size: 512
    .name:           _ZN7rocprim17ROCPRIM_400000_NS6detail17trampoline_kernelINS0_14default_configENS1_25partition_config_selectorILNS1_17partition_subalgoE5EjNS0_10empty_typeEbEEZZNS1_14partition_implILS5_5ELb0ES3_mN6thrust23THRUST_200600_302600_NS6detail15normal_iteratorINSA_10device_ptrIjEEEEPS6_NSA_18transform_iteratorINSB_9not_fun_tINSA_8identityIjEEEESF_NSA_11use_defaultESM_EENS0_5tupleIJSF_S6_EEENSO_IJSG_SG_EEES6_PlJS6_EEE10hipError_tPvRmT3_T4_T5_T6_T7_T9_mT8_P12ihipStream_tbDpT10_ENKUlT_T0_E_clISt17integral_constantIbLb1EES1A_IbLb0EEEEDaS16_S17_EUlS16_E_NS1_11comp_targetILNS1_3genE3ELNS1_11target_archE908ELNS1_3gpuE7ELNS1_3repE0EEENS1_30default_config_static_selectorELNS0_4arch9wavefront6targetE0EEEvT1_
    .private_segment_fixed_size: 0
    .sgpr_count:     0
    .sgpr_spill_count: 0
    .symbol:         _ZN7rocprim17ROCPRIM_400000_NS6detail17trampoline_kernelINS0_14default_configENS1_25partition_config_selectorILNS1_17partition_subalgoE5EjNS0_10empty_typeEbEEZZNS1_14partition_implILS5_5ELb0ES3_mN6thrust23THRUST_200600_302600_NS6detail15normal_iteratorINSA_10device_ptrIjEEEEPS6_NSA_18transform_iteratorINSB_9not_fun_tINSA_8identityIjEEEESF_NSA_11use_defaultESM_EENS0_5tupleIJSF_S6_EEENSO_IJSG_SG_EEES6_PlJS6_EEE10hipError_tPvRmT3_T4_T5_T6_T7_T9_mT8_P12ihipStream_tbDpT10_ENKUlT_T0_E_clISt17integral_constantIbLb1EES1A_IbLb0EEEEDaS16_S17_EUlS16_E_NS1_11comp_targetILNS1_3genE3ELNS1_11target_archE908ELNS1_3gpuE7ELNS1_3repE0EEENS1_30default_config_static_selectorELNS0_4arch9wavefront6targetE0EEEvT1_.kd
    .uniform_work_group_size: 1
    .uses_dynamic_stack: false
    .vgpr_count:     0
    .vgpr_spill_count: 0
    .wavefront_size: 32
    .workgroup_processor_mode: 1
  - .args:
      - .offset:         0
        .size:           120
        .value_kind:     by_value
    .group_segment_fixed_size: 0
    .kernarg_segment_align: 8
    .kernarg_segment_size: 120
    .language:       OpenCL C
    .language_version:
      - 2
      - 0
    .max_flat_workgroup_size: 256
    .name:           _ZN7rocprim17ROCPRIM_400000_NS6detail17trampoline_kernelINS0_14default_configENS1_25partition_config_selectorILNS1_17partition_subalgoE5EjNS0_10empty_typeEbEEZZNS1_14partition_implILS5_5ELb0ES3_mN6thrust23THRUST_200600_302600_NS6detail15normal_iteratorINSA_10device_ptrIjEEEEPS6_NSA_18transform_iteratorINSB_9not_fun_tINSA_8identityIjEEEESF_NSA_11use_defaultESM_EENS0_5tupleIJSF_S6_EEENSO_IJSG_SG_EEES6_PlJS6_EEE10hipError_tPvRmT3_T4_T5_T6_T7_T9_mT8_P12ihipStream_tbDpT10_ENKUlT_T0_E_clISt17integral_constantIbLb1EES1A_IbLb0EEEEDaS16_S17_EUlS16_E_NS1_11comp_targetILNS1_3genE2ELNS1_11target_archE906ELNS1_3gpuE6ELNS1_3repE0EEENS1_30default_config_static_selectorELNS0_4arch9wavefront6targetE0EEEvT1_
    .private_segment_fixed_size: 0
    .sgpr_count:     0
    .sgpr_spill_count: 0
    .symbol:         _ZN7rocprim17ROCPRIM_400000_NS6detail17trampoline_kernelINS0_14default_configENS1_25partition_config_selectorILNS1_17partition_subalgoE5EjNS0_10empty_typeEbEEZZNS1_14partition_implILS5_5ELb0ES3_mN6thrust23THRUST_200600_302600_NS6detail15normal_iteratorINSA_10device_ptrIjEEEEPS6_NSA_18transform_iteratorINSB_9not_fun_tINSA_8identityIjEEEESF_NSA_11use_defaultESM_EENS0_5tupleIJSF_S6_EEENSO_IJSG_SG_EEES6_PlJS6_EEE10hipError_tPvRmT3_T4_T5_T6_T7_T9_mT8_P12ihipStream_tbDpT10_ENKUlT_T0_E_clISt17integral_constantIbLb1EES1A_IbLb0EEEEDaS16_S17_EUlS16_E_NS1_11comp_targetILNS1_3genE2ELNS1_11target_archE906ELNS1_3gpuE6ELNS1_3repE0EEENS1_30default_config_static_selectorELNS0_4arch9wavefront6targetE0EEEvT1_.kd
    .uniform_work_group_size: 1
    .uses_dynamic_stack: false
    .vgpr_count:     0
    .vgpr_spill_count: 0
    .wavefront_size: 32
    .workgroup_processor_mode: 1
  - .args:
      - .offset:         0
        .size:           120
        .value_kind:     by_value
    .group_segment_fixed_size: 0
    .kernarg_segment_align: 8
    .kernarg_segment_size: 120
    .language:       OpenCL C
    .language_version:
      - 2
      - 0
    .max_flat_workgroup_size: 192
    .name:           _ZN7rocprim17ROCPRIM_400000_NS6detail17trampoline_kernelINS0_14default_configENS1_25partition_config_selectorILNS1_17partition_subalgoE5EjNS0_10empty_typeEbEEZZNS1_14partition_implILS5_5ELb0ES3_mN6thrust23THRUST_200600_302600_NS6detail15normal_iteratorINSA_10device_ptrIjEEEEPS6_NSA_18transform_iteratorINSB_9not_fun_tINSA_8identityIjEEEESF_NSA_11use_defaultESM_EENS0_5tupleIJSF_S6_EEENSO_IJSG_SG_EEES6_PlJS6_EEE10hipError_tPvRmT3_T4_T5_T6_T7_T9_mT8_P12ihipStream_tbDpT10_ENKUlT_T0_E_clISt17integral_constantIbLb1EES1A_IbLb0EEEEDaS16_S17_EUlS16_E_NS1_11comp_targetILNS1_3genE10ELNS1_11target_archE1200ELNS1_3gpuE4ELNS1_3repE0EEENS1_30default_config_static_selectorELNS0_4arch9wavefront6targetE0EEEvT1_
    .private_segment_fixed_size: 0
    .sgpr_count:     0
    .sgpr_spill_count: 0
    .symbol:         _ZN7rocprim17ROCPRIM_400000_NS6detail17trampoline_kernelINS0_14default_configENS1_25partition_config_selectorILNS1_17partition_subalgoE5EjNS0_10empty_typeEbEEZZNS1_14partition_implILS5_5ELb0ES3_mN6thrust23THRUST_200600_302600_NS6detail15normal_iteratorINSA_10device_ptrIjEEEEPS6_NSA_18transform_iteratorINSB_9not_fun_tINSA_8identityIjEEEESF_NSA_11use_defaultESM_EENS0_5tupleIJSF_S6_EEENSO_IJSG_SG_EEES6_PlJS6_EEE10hipError_tPvRmT3_T4_T5_T6_T7_T9_mT8_P12ihipStream_tbDpT10_ENKUlT_T0_E_clISt17integral_constantIbLb1EES1A_IbLb0EEEEDaS16_S17_EUlS16_E_NS1_11comp_targetILNS1_3genE10ELNS1_11target_archE1200ELNS1_3gpuE4ELNS1_3repE0EEENS1_30default_config_static_selectorELNS0_4arch9wavefront6targetE0EEEvT1_.kd
    .uniform_work_group_size: 1
    .uses_dynamic_stack: false
    .vgpr_count:     0
    .vgpr_spill_count: 0
    .wavefront_size: 32
    .workgroup_processor_mode: 1
  - .args:
      - .offset:         0
        .size:           120
        .value_kind:     by_value
    .group_segment_fixed_size: 0
    .kernarg_segment_align: 8
    .kernarg_segment_size: 120
    .language:       OpenCL C
    .language_version:
      - 2
      - 0
    .max_flat_workgroup_size: 128
    .name:           _ZN7rocprim17ROCPRIM_400000_NS6detail17trampoline_kernelINS0_14default_configENS1_25partition_config_selectorILNS1_17partition_subalgoE5EjNS0_10empty_typeEbEEZZNS1_14partition_implILS5_5ELb0ES3_mN6thrust23THRUST_200600_302600_NS6detail15normal_iteratorINSA_10device_ptrIjEEEEPS6_NSA_18transform_iteratorINSB_9not_fun_tINSA_8identityIjEEEESF_NSA_11use_defaultESM_EENS0_5tupleIJSF_S6_EEENSO_IJSG_SG_EEES6_PlJS6_EEE10hipError_tPvRmT3_T4_T5_T6_T7_T9_mT8_P12ihipStream_tbDpT10_ENKUlT_T0_E_clISt17integral_constantIbLb1EES1A_IbLb0EEEEDaS16_S17_EUlS16_E_NS1_11comp_targetILNS1_3genE9ELNS1_11target_archE1100ELNS1_3gpuE3ELNS1_3repE0EEENS1_30default_config_static_selectorELNS0_4arch9wavefront6targetE0EEEvT1_
    .private_segment_fixed_size: 0
    .sgpr_count:     0
    .sgpr_spill_count: 0
    .symbol:         _ZN7rocprim17ROCPRIM_400000_NS6detail17trampoline_kernelINS0_14default_configENS1_25partition_config_selectorILNS1_17partition_subalgoE5EjNS0_10empty_typeEbEEZZNS1_14partition_implILS5_5ELb0ES3_mN6thrust23THRUST_200600_302600_NS6detail15normal_iteratorINSA_10device_ptrIjEEEEPS6_NSA_18transform_iteratorINSB_9not_fun_tINSA_8identityIjEEEESF_NSA_11use_defaultESM_EENS0_5tupleIJSF_S6_EEENSO_IJSG_SG_EEES6_PlJS6_EEE10hipError_tPvRmT3_T4_T5_T6_T7_T9_mT8_P12ihipStream_tbDpT10_ENKUlT_T0_E_clISt17integral_constantIbLb1EES1A_IbLb0EEEEDaS16_S17_EUlS16_E_NS1_11comp_targetILNS1_3genE9ELNS1_11target_archE1100ELNS1_3gpuE3ELNS1_3repE0EEENS1_30default_config_static_selectorELNS0_4arch9wavefront6targetE0EEEvT1_.kd
    .uniform_work_group_size: 1
    .uses_dynamic_stack: false
    .vgpr_count:     0
    .vgpr_spill_count: 0
    .wavefront_size: 32
    .workgroup_processor_mode: 1
  - .args:
      - .offset:         0
        .size:           120
        .value_kind:     by_value
    .group_segment_fixed_size: 0
    .kernarg_segment_align: 8
    .kernarg_segment_size: 120
    .language:       OpenCL C
    .language_version:
      - 2
      - 0
    .max_flat_workgroup_size: 512
    .name:           _ZN7rocprim17ROCPRIM_400000_NS6detail17trampoline_kernelINS0_14default_configENS1_25partition_config_selectorILNS1_17partition_subalgoE5EjNS0_10empty_typeEbEEZZNS1_14partition_implILS5_5ELb0ES3_mN6thrust23THRUST_200600_302600_NS6detail15normal_iteratorINSA_10device_ptrIjEEEEPS6_NSA_18transform_iteratorINSB_9not_fun_tINSA_8identityIjEEEESF_NSA_11use_defaultESM_EENS0_5tupleIJSF_S6_EEENSO_IJSG_SG_EEES6_PlJS6_EEE10hipError_tPvRmT3_T4_T5_T6_T7_T9_mT8_P12ihipStream_tbDpT10_ENKUlT_T0_E_clISt17integral_constantIbLb1EES1A_IbLb0EEEEDaS16_S17_EUlS16_E_NS1_11comp_targetILNS1_3genE8ELNS1_11target_archE1030ELNS1_3gpuE2ELNS1_3repE0EEENS1_30default_config_static_selectorELNS0_4arch9wavefront6targetE0EEEvT1_
    .private_segment_fixed_size: 0
    .sgpr_count:     0
    .sgpr_spill_count: 0
    .symbol:         _ZN7rocprim17ROCPRIM_400000_NS6detail17trampoline_kernelINS0_14default_configENS1_25partition_config_selectorILNS1_17partition_subalgoE5EjNS0_10empty_typeEbEEZZNS1_14partition_implILS5_5ELb0ES3_mN6thrust23THRUST_200600_302600_NS6detail15normal_iteratorINSA_10device_ptrIjEEEEPS6_NSA_18transform_iteratorINSB_9not_fun_tINSA_8identityIjEEEESF_NSA_11use_defaultESM_EENS0_5tupleIJSF_S6_EEENSO_IJSG_SG_EEES6_PlJS6_EEE10hipError_tPvRmT3_T4_T5_T6_T7_T9_mT8_P12ihipStream_tbDpT10_ENKUlT_T0_E_clISt17integral_constantIbLb1EES1A_IbLb0EEEEDaS16_S17_EUlS16_E_NS1_11comp_targetILNS1_3genE8ELNS1_11target_archE1030ELNS1_3gpuE2ELNS1_3repE0EEENS1_30default_config_static_selectorELNS0_4arch9wavefront6targetE0EEEvT1_.kd
    .uniform_work_group_size: 1
    .uses_dynamic_stack: false
    .vgpr_count:     0
    .vgpr_spill_count: 0
    .wavefront_size: 32
    .workgroup_processor_mode: 1
  - .args:
      - .offset:         0
        .size:           136
        .value_kind:     by_value
    .group_segment_fixed_size: 0
    .kernarg_segment_align: 8
    .kernarg_segment_size: 136
    .language:       OpenCL C
    .language_version:
      - 2
      - 0
    .max_flat_workgroup_size: 512
    .name:           _ZN7rocprim17ROCPRIM_400000_NS6detail17trampoline_kernelINS0_14default_configENS1_25partition_config_selectorILNS1_17partition_subalgoE5EjNS0_10empty_typeEbEEZZNS1_14partition_implILS5_5ELb0ES3_mN6thrust23THRUST_200600_302600_NS6detail15normal_iteratorINSA_10device_ptrIjEEEEPS6_NSA_18transform_iteratorINSB_9not_fun_tINSA_8identityIjEEEESF_NSA_11use_defaultESM_EENS0_5tupleIJSF_S6_EEENSO_IJSG_SG_EEES6_PlJS6_EEE10hipError_tPvRmT3_T4_T5_T6_T7_T9_mT8_P12ihipStream_tbDpT10_ENKUlT_T0_E_clISt17integral_constantIbLb0EES1A_IbLb1EEEEDaS16_S17_EUlS16_E_NS1_11comp_targetILNS1_3genE0ELNS1_11target_archE4294967295ELNS1_3gpuE0ELNS1_3repE0EEENS1_30default_config_static_selectorELNS0_4arch9wavefront6targetE0EEEvT1_
    .private_segment_fixed_size: 0
    .sgpr_count:     0
    .sgpr_spill_count: 0
    .symbol:         _ZN7rocprim17ROCPRIM_400000_NS6detail17trampoline_kernelINS0_14default_configENS1_25partition_config_selectorILNS1_17partition_subalgoE5EjNS0_10empty_typeEbEEZZNS1_14partition_implILS5_5ELb0ES3_mN6thrust23THRUST_200600_302600_NS6detail15normal_iteratorINSA_10device_ptrIjEEEEPS6_NSA_18transform_iteratorINSB_9not_fun_tINSA_8identityIjEEEESF_NSA_11use_defaultESM_EENS0_5tupleIJSF_S6_EEENSO_IJSG_SG_EEES6_PlJS6_EEE10hipError_tPvRmT3_T4_T5_T6_T7_T9_mT8_P12ihipStream_tbDpT10_ENKUlT_T0_E_clISt17integral_constantIbLb0EES1A_IbLb1EEEEDaS16_S17_EUlS16_E_NS1_11comp_targetILNS1_3genE0ELNS1_11target_archE4294967295ELNS1_3gpuE0ELNS1_3repE0EEENS1_30default_config_static_selectorELNS0_4arch9wavefront6targetE0EEEvT1_.kd
    .uniform_work_group_size: 1
    .uses_dynamic_stack: false
    .vgpr_count:     0
    .vgpr_spill_count: 0
    .wavefront_size: 32
    .workgroup_processor_mode: 1
  - .args:
      - .offset:         0
        .size:           136
        .value_kind:     by_value
    .group_segment_fixed_size: 0
    .kernarg_segment_align: 8
    .kernarg_segment_size: 136
    .language:       OpenCL C
    .language_version:
      - 2
      - 0
    .max_flat_workgroup_size: 512
    .name:           _ZN7rocprim17ROCPRIM_400000_NS6detail17trampoline_kernelINS0_14default_configENS1_25partition_config_selectorILNS1_17partition_subalgoE5EjNS0_10empty_typeEbEEZZNS1_14partition_implILS5_5ELb0ES3_mN6thrust23THRUST_200600_302600_NS6detail15normal_iteratorINSA_10device_ptrIjEEEEPS6_NSA_18transform_iteratorINSB_9not_fun_tINSA_8identityIjEEEESF_NSA_11use_defaultESM_EENS0_5tupleIJSF_S6_EEENSO_IJSG_SG_EEES6_PlJS6_EEE10hipError_tPvRmT3_T4_T5_T6_T7_T9_mT8_P12ihipStream_tbDpT10_ENKUlT_T0_E_clISt17integral_constantIbLb0EES1A_IbLb1EEEEDaS16_S17_EUlS16_E_NS1_11comp_targetILNS1_3genE5ELNS1_11target_archE942ELNS1_3gpuE9ELNS1_3repE0EEENS1_30default_config_static_selectorELNS0_4arch9wavefront6targetE0EEEvT1_
    .private_segment_fixed_size: 0
    .sgpr_count:     0
    .sgpr_spill_count: 0
    .symbol:         _ZN7rocprim17ROCPRIM_400000_NS6detail17trampoline_kernelINS0_14default_configENS1_25partition_config_selectorILNS1_17partition_subalgoE5EjNS0_10empty_typeEbEEZZNS1_14partition_implILS5_5ELb0ES3_mN6thrust23THRUST_200600_302600_NS6detail15normal_iteratorINSA_10device_ptrIjEEEEPS6_NSA_18transform_iteratorINSB_9not_fun_tINSA_8identityIjEEEESF_NSA_11use_defaultESM_EENS0_5tupleIJSF_S6_EEENSO_IJSG_SG_EEES6_PlJS6_EEE10hipError_tPvRmT3_T4_T5_T6_T7_T9_mT8_P12ihipStream_tbDpT10_ENKUlT_T0_E_clISt17integral_constantIbLb0EES1A_IbLb1EEEEDaS16_S17_EUlS16_E_NS1_11comp_targetILNS1_3genE5ELNS1_11target_archE942ELNS1_3gpuE9ELNS1_3repE0EEENS1_30default_config_static_selectorELNS0_4arch9wavefront6targetE0EEEvT1_.kd
    .uniform_work_group_size: 1
    .uses_dynamic_stack: false
    .vgpr_count:     0
    .vgpr_spill_count: 0
    .wavefront_size: 32
    .workgroup_processor_mode: 1
  - .args:
      - .offset:         0
        .size:           136
        .value_kind:     by_value
    .group_segment_fixed_size: 0
    .kernarg_segment_align: 8
    .kernarg_segment_size: 136
    .language:       OpenCL C
    .language_version:
      - 2
      - 0
    .max_flat_workgroup_size: 256
    .name:           _ZN7rocprim17ROCPRIM_400000_NS6detail17trampoline_kernelINS0_14default_configENS1_25partition_config_selectorILNS1_17partition_subalgoE5EjNS0_10empty_typeEbEEZZNS1_14partition_implILS5_5ELb0ES3_mN6thrust23THRUST_200600_302600_NS6detail15normal_iteratorINSA_10device_ptrIjEEEEPS6_NSA_18transform_iteratorINSB_9not_fun_tINSA_8identityIjEEEESF_NSA_11use_defaultESM_EENS0_5tupleIJSF_S6_EEENSO_IJSG_SG_EEES6_PlJS6_EEE10hipError_tPvRmT3_T4_T5_T6_T7_T9_mT8_P12ihipStream_tbDpT10_ENKUlT_T0_E_clISt17integral_constantIbLb0EES1A_IbLb1EEEEDaS16_S17_EUlS16_E_NS1_11comp_targetILNS1_3genE4ELNS1_11target_archE910ELNS1_3gpuE8ELNS1_3repE0EEENS1_30default_config_static_selectorELNS0_4arch9wavefront6targetE0EEEvT1_
    .private_segment_fixed_size: 0
    .sgpr_count:     0
    .sgpr_spill_count: 0
    .symbol:         _ZN7rocprim17ROCPRIM_400000_NS6detail17trampoline_kernelINS0_14default_configENS1_25partition_config_selectorILNS1_17partition_subalgoE5EjNS0_10empty_typeEbEEZZNS1_14partition_implILS5_5ELb0ES3_mN6thrust23THRUST_200600_302600_NS6detail15normal_iteratorINSA_10device_ptrIjEEEEPS6_NSA_18transform_iteratorINSB_9not_fun_tINSA_8identityIjEEEESF_NSA_11use_defaultESM_EENS0_5tupleIJSF_S6_EEENSO_IJSG_SG_EEES6_PlJS6_EEE10hipError_tPvRmT3_T4_T5_T6_T7_T9_mT8_P12ihipStream_tbDpT10_ENKUlT_T0_E_clISt17integral_constantIbLb0EES1A_IbLb1EEEEDaS16_S17_EUlS16_E_NS1_11comp_targetILNS1_3genE4ELNS1_11target_archE910ELNS1_3gpuE8ELNS1_3repE0EEENS1_30default_config_static_selectorELNS0_4arch9wavefront6targetE0EEEvT1_.kd
    .uniform_work_group_size: 1
    .uses_dynamic_stack: false
    .vgpr_count:     0
    .vgpr_spill_count: 0
    .wavefront_size: 32
    .workgroup_processor_mode: 1
  - .args:
      - .offset:         0
        .size:           136
        .value_kind:     by_value
    .group_segment_fixed_size: 0
    .kernarg_segment_align: 8
    .kernarg_segment_size: 136
    .language:       OpenCL C
    .language_version:
      - 2
      - 0
    .max_flat_workgroup_size: 512
    .name:           _ZN7rocprim17ROCPRIM_400000_NS6detail17trampoline_kernelINS0_14default_configENS1_25partition_config_selectorILNS1_17partition_subalgoE5EjNS0_10empty_typeEbEEZZNS1_14partition_implILS5_5ELb0ES3_mN6thrust23THRUST_200600_302600_NS6detail15normal_iteratorINSA_10device_ptrIjEEEEPS6_NSA_18transform_iteratorINSB_9not_fun_tINSA_8identityIjEEEESF_NSA_11use_defaultESM_EENS0_5tupleIJSF_S6_EEENSO_IJSG_SG_EEES6_PlJS6_EEE10hipError_tPvRmT3_T4_T5_T6_T7_T9_mT8_P12ihipStream_tbDpT10_ENKUlT_T0_E_clISt17integral_constantIbLb0EES1A_IbLb1EEEEDaS16_S17_EUlS16_E_NS1_11comp_targetILNS1_3genE3ELNS1_11target_archE908ELNS1_3gpuE7ELNS1_3repE0EEENS1_30default_config_static_selectorELNS0_4arch9wavefront6targetE0EEEvT1_
    .private_segment_fixed_size: 0
    .sgpr_count:     0
    .sgpr_spill_count: 0
    .symbol:         _ZN7rocprim17ROCPRIM_400000_NS6detail17trampoline_kernelINS0_14default_configENS1_25partition_config_selectorILNS1_17partition_subalgoE5EjNS0_10empty_typeEbEEZZNS1_14partition_implILS5_5ELb0ES3_mN6thrust23THRUST_200600_302600_NS6detail15normal_iteratorINSA_10device_ptrIjEEEEPS6_NSA_18transform_iteratorINSB_9not_fun_tINSA_8identityIjEEEESF_NSA_11use_defaultESM_EENS0_5tupleIJSF_S6_EEENSO_IJSG_SG_EEES6_PlJS6_EEE10hipError_tPvRmT3_T4_T5_T6_T7_T9_mT8_P12ihipStream_tbDpT10_ENKUlT_T0_E_clISt17integral_constantIbLb0EES1A_IbLb1EEEEDaS16_S17_EUlS16_E_NS1_11comp_targetILNS1_3genE3ELNS1_11target_archE908ELNS1_3gpuE7ELNS1_3repE0EEENS1_30default_config_static_selectorELNS0_4arch9wavefront6targetE0EEEvT1_.kd
    .uniform_work_group_size: 1
    .uses_dynamic_stack: false
    .vgpr_count:     0
    .vgpr_spill_count: 0
    .wavefront_size: 32
    .workgroup_processor_mode: 1
  - .args:
      - .offset:         0
        .size:           136
        .value_kind:     by_value
    .group_segment_fixed_size: 0
    .kernarg_segment_align: 8
    .kernarg_segment_size: 136
    .language:       OpenCL C
    .language_version:
      - 2
      - 0
    .max_flat_workgroup_size: 256
    .name:           _ZN7rocprim17ROCPRIM_400000_NS6detail17trampoline_kernelINS0_14default_configENS1_25partition_config_selectorILNS1_17partition_subalgoE5EjNS0_10empty_typeEbEEZZNS1_14partition_implILS5_5ELb0ES3_mN6thrust23THRUST_200600_302600_NS6detail15normal_iteratorINSA_10device_ptrIjEEEEPS6_NSA_18transform_iteratorINSB_9not_fun_tINSA_8identityIjEEEESF_NSA_11use_defaultESM_EENS0_5tupleIJSF_S6_EEENSO_IJSG_SG_EEES6_PlJS6_EEE10hipError_tPvRmT3_T4_T5_T6_T7_T9_mT8_P12ihipStream_tbDpT10_ENKUlT_T0_E_clISt17integral_constantIbLb0EES1A_IbLb1EEEEDaS16_S17_EUlS16_E_NS1_11comp_targetILNS1_3genE2ELNS1_11target_archE906ELNS1_3gpuE6ELNS1_3repE0EEENS1_30default_config_static_selectorELNS0_4arch9wavefront6targetE0EEEvT1_
    .private_segment_fixed_size: 0
    .sgpr_count:     0
    .sgpr_spill_count: 0
    .symbol:         _ZN7rocprim17ROCPRIM_400000_NS6detail17trampoline_kernelINS0_14default_configENS1_25partition_config_selectorILNS1_17partition_subalgoE5EjNS0_10empty_typeEbEEZZNS1_14partition_implILS5_5ELb0ES3_mN6thrust23THRUST_200600_302600_NS6detail15normal_iteratorINSA_10device_ptrIjEEEEPS6_NSA_18transform_iteratorINSB_9not_fun_tINSA_8identityIjEEEESF_NSA_11use_defaultESM_EENS0_5tupleIJSF_S6_EEENSO_IJSG_SG_EEES6_PlJS6_EEE10hipError_tPvRmT3_T4_T5_T6_T7_T9_mT8_P12ihipStream_tbDpT10_ENKUlT_T0_E_clISt17integral_constantIbLb0EES1A_IbLb1EEEEDaS16_S17_EUlS16_E_NS1_11comp_targetILNS1_3genE2ELNS1_11target_archE906ELNS1_3gpuE6ELNS1_3repE0EEENS1_30default_config_static_selectorELNS0_4arch9wavefront6targetE0EEEvT1_.kd
    .uniform_work_group_size: 1
    .uses_dynamic_stack: false
    .vgpr_count:     0
    .vgpr_spill_count: 0
    .wavefront_size: 32
    .workgroup_processor_mode: 1
  - .args:
      - .offset:         0
        .size:           136
        .value_kind:     by_value
    .group_segment_fixed_size: 6352
    .kernarg_segment_align: 8
    .kernarg_segment_size: 136
    .language:       OpenCL C
    .language_version:
      - 2
      - 0
    .max_flat_workgroup_size: 192
    .name:           _ZN7rocprim17ROCPRIM_400000_NS6detail17trampoline_kernelINS0_14default_configENS1_25partition_config_selectorILNS1_17partition_subalgoE5EjNS0_10empty_typeEbEEZZNS1_14partition_implILS5_5ELb0ES3_mN6thrust23THRUST_200600_302600_NS6detail15normal_iteratorINSA_10device_ptrIjEEEEPS6_NSA_18transform_iteratorINSB_9not_fun_tINSA_8identityIjEEEESF_NSA_11use_defaultESM_EENS0_5tupleIJSF_S6_EEENSO_IJSG_SG_EEES6_PlJS6_EEE10hipError_tPvRmT3_T4_T5_T6_T7_T9_mT8_P12ihipStream_tbDpT10_ENKUlT_T0_E_clISt17integral_constantIbLb0EES1A_IbLb1EEEEDaS16_S17_EUlS16_E_NS1_11comp_targetILNS1_3genE10ELNS1_11target_archE1200ELNS1_3gpuE4ELNS1_3repE0EEENS1_30default_config_static_selectorELNS0_4arch9wavefront6targetE0EEEvT1_
    .private_segment_fixed_size: 0
    .sgpr_count:     26
    .sgpr_spill_count: 0
    .symbol:         _ZN7rocprim17ROCPRIM_400000_NS6detail17trampoline_kernelINS0_14default_configENS1_25partition_config_selectorILNS1_17partition_subalgoE5EjNS0_10empty_typeEbEEZZNS1_14partition_implILS5_5ELb0ES3_mN6thrust23THRUST_200600_302600_NS6detail15normal_iteratorINSA_10device_ptrIjEEEEPS6_NSA_18transform_iteratorINSB_9not_fun_tINSA_8identityIjEEEESF_NSA_11use_defaultESM_EENS0_5tupleIJSF_S6_EEENSO_IJSG_SG_EEES6_PlJS6_EEE10hipError_tPvRmT3_T4_T5_T6_T7_T9_mT8_P12ihipStream_tbDpT10_ENKUlT_T0_E_clISt17integral_constantIbLb0EES1A_IbLb1EEEEDaS16_S17_EUlS16_E_NS1_11comp_targetILNS1_3genE10ELNS1_11target_archE1200ELNS1_3gpuE4ELNS1_3repE0EEENS1_30default_config_static_selectorELNS0_4arch9wavefront6targetE0EEEvT1_.kd
    .uniform_work_group_size: 1
    .uses_dynamic_stack: false
    .vgpr_count:     54
    .vgpr_spill_count: 0
    .wavefront_size: 32
    .workgroup_processor_mode: 1
  - .args:
      - .offset:         0
        .size:           136
        .value_kind:     by_value
    .group_segment_fixed_size: 0
    .kernarg_segment_align: 8
    .kernarg_segment_size: 136
    .language:       OpenCL C
    .language_version:
      - 2
      - 0
    .max_flat_workgroup_size: 128
    .name:           _ZN7rocprim17ROCPRIM_400000_NS6detail17trampoline_kernelINS0_14default_configENS1_25partition_config_selectorILNS1_17partition_subalgoE5EjNS0_10empty_typeEbEEZZNS1_14partition_implILS5_5ELb0ES3_mN6thrust23THRUST_200600_302600_NS6detail15normal_iteratorINSA_10device_ptrIjEEEEPS6_NSA_18transform_iteratorINSB_9not_fun_tINSA_8identityIjEEEESF_NSA_11use_defaultESM_EENS0_5tupleIJSF_S6_EEENSO_IJSG_SG_EEES6_PlJS6_EEE10hipError_tPvRmT3_T4_T5_T6_T7_T9_mT8_P12ihipStream_tbDpT10_ENKUlT_T0_E_clISt17integral_constantIbLb0EES1A_IbLb1EEEEDaS16_S17_EUlS16_E_NS1_11comp_targetILNS1_3genE9ELNS1_11target_archE1100ELNS1_3gpuE3ELNS1_3repE0EEENS1_30default_config_static_selectorELNS0_4arch9wavefront6targetE0EEEvT1_
    .private_segment_fixed_size: 0
    .sgpr_count:     0
    .sgpr_spill_count: 0
    .symbol:         _ZN7rocprim17ROCPRIM_400000_NS6detail17trampoline_kernelINS0_14default_configENS1_25partition_config_selectorILNS1_17partition_subalgoE5EjNS0_10empty_typeEbEEZZNS1_14partition_implILS5_5ELb0ES3_mN6thrust23THRUST_200600_302600_NS6detail15normal_iteratorINSA_10device_ptrIjEEEEPS6_NSA_18transform_iteratorINSB_9not_fun_tINSA_8identityIjEEEESF_NSA_11use_defaultESM_EENS0_5tupleIJSF_S6_EEENSO_IJSG_SG_EEES6_PlJS6_EEE10hipError_tPvRmT3_T4_T5_T6_T7_T9_mT8_P12ihipStream_tbDpT10_ENKUlT_T0_E_clISt17integral_constantIbLb0EES1A_IbLb1EEEEDaS16_S17_EUlS16_E_NS1_11comp_targetILNS1_3genE9ELNS1_11target_archE1100ELNS1_3gpuE3ELNS1_3repE0EEENS1_30default_config_static_selectorELNS0_4arch9wavefront6targetE0EEEvT1_.kd
    .uniform_work_group_size: 1
    .uses_dynamic_stack: false
    .vgpr_count:     0
    .vgpr_spill_count: 0
    .wavefront_size: 32
    .workgroup_processor_mode: 1
  - .args:
      - .offset:         0
        .size:           136
        .value_kind:     by_value
    .group_segment_fixed_size: 0
    .kernarg_segment_align: 8
    .kernarg_segment_size: 136
    .language:       OpenCL C
    .language_version:
      - 2
      - 0
    .max_flat_workgroup_size: 512
    .name:           _ZN7rocprim17ROCPRIM_400000_NS6detail17trampoline_kernelINS0_14default_configENS1_25partition_config_selectorILNS1_17partition_subalgoE5EjNS0_10empty_typeEbEEZZNS1_14partition_implILS5_5ELb0ES3_mN6thrust23THRUST_200600_302600_NS6detail15normal_iteratorINSA_10device_ptrIjEEEEPS6_NSA_18transform_iteratorINSB_9not_fun_tINSA_8identityIjEEEESF_NSA_11use_defaultESM_EENS0_5tupleIJSF_S6_EEENSO_IJSG_SG_EEES6_PlJS6_EEE10hipError_tPvRmT3_T4_T5_T6_T7_T9_mT8_P12ihipStream_tbDpT10_ENKUlT_T0_E_clISt17integral_constantIbLb0EES1A_IbLb1EEEEDaS16_S17_EUlS16_E_NS1_11comp_targetILNS1_3genE8ELNS1_11target_archE1030ELNS1_3gpuE2ELNS1_3repE0EEENS1_30default_config_static_selectorELNS0_4arch9wavefront6targetE0EEEvT1_
    .private_segment_fixed_size: 0
    .sgpr_count:     0
    .sgpr_spill_count: 0
    .symbol:         _ZN7rocprim17ROCPRIM_400000_NS6detail17trampoline_kernelINS0_14default_configENS1_25partition_config_selectorILNS1_17partition_subalgoE5EjNS0_10empty_typeEbEEZZNS1_14partition_implILS5_5ELb0ES3_mN6thrust23THRUST_200600_302600_NS6detail15normal_iteratorINSA_10device_ptrIjEEEEPS6_NSA_18transform_iteratorINSB_9not_fun_tINSA_8identityIjEEEESF_NSA_11use_defaultESM_EENS0_5tupleIJSF_S6_EEENSO_IJSG_SG_EEES6_PlJS6_EEE10hipError_tPvRmT3_T4_T5_T6_T7_T9_mT8_P12ihipStream_tbDpT10_ENKUlT_T0_E_clISt17integral_constantIbLb0EES1A_IbLb1EEEEDaS16_S17_EUlS16_E_NS1_11comp_targetILNS1_3genE8ELNS1_11target_archE1030ELNS1_3gpuE2ELNS1_3repE0EEENS1_30default_config_static_selectorELNS0_4arch9wavefront6targetE0EEEvT1_.kd
    .uniform_work_group_size: 1
    .uses_dynamic_stack: false
    .vgpr_count:     0
    .vgpr_spill_count: 0
    .wavefront_size: 32
    .workgroup_processor_mode: 1
  - .args:
      - .offset:         0
        .size:           120
        .value_kind:     by_value
    .group_segment_fixed_size: 0
    .kernarg_segment_align: 8
    .kernarg_segment_size: 120
    .language:       OpenCL C
    .language_version:
      - 2
      - 0
    .max_flat_workgroup_size: 256
    .name:           _ZN7rocprim17ROCPRIM_400000_NS6detail17trampoline_kernelINS0_14default_configENS1_25partition_config_selectorILNS1_17partition_subalgoE5EtNS0_10empty_typeEbEEZZNS1_14partition_implILS5_5ELb0ES3_mN6thrust23THRUST_200600_302600_NS6detail15normal_iteratorINSA_10device_ptrItEEEEPS6_NSA_18transform_iteratorINSB_9not_fun_tINSA_8identityItEEEESF_NSA_11use_defaultESM_EENS0_5tupleIJSF_S6_EEENSO_IJSG_SG_EEES6_PlJS6_EEE10hipError_tPvRmT3_T4_T5_T6_T7_T9_mT8_P12ihipStream_tbDpT10_ENKUlT_T0_E_clISt17integral_constantIbLb0EES1B_EEDaS16_S17_EUlS16_E_NS1_11comp_targetILNS1_3genE0ELNS1_11target_archE4294967295ELNS1_3gpuE0ELNS1_3repE0EEENS1_30default_config_static_selectorELNS0_4arch9wavefront6targetE0EEEvT1_
    .private_segment_fixed_size: 0
    .sgpr_count:     0
    .sgpr_spill_count: 0
    .symbol:         _ZN7rocprim17ROCPRIM_400000_NS6detail17trampoline_kernelINS0_14default_configENS1_25partition_config_selectorILNS1_17partition_subalgoE5EtNS0_10empty_typeEbEEZZNS1_14partition_implILS5_5ELb0ES3_mN6thrust23THRUST_200600_302600_NS6detail15normal_iteratorINSA_10device_ptrItEEEEPS6_NSA_18transform_iteratorINSB_9not_fun_tINSA_8identityItEEEESF_NSA_11use_defaultESM_EENS0_5tupleIJSF_S6_EEENSO_IJSG_SG_EEES6_PlJS6_EEE10hipError_tPvRmT3_T4_T5_T6_T7_T9_mT8_P12ihipStream_tbDpT10_ENKUlT_T0_E_clISt17integral_constantIbLb0EES1B_EEDaS16_S17_EUlS16_E_NS1_11comp_targetILNS1_3genE0ELNS1_11target_archE4294967295ELNS1_3gpuE0ELNS1_3repE0EEENS1_30default_config_static_selectorELNS0_4arch9wavefront6targetE0EEEvT1_.kd
    .uniform_work_group_size: 1
    .uses_dynamic_stack: false
    .vgpr_count:     0
    .vgpr_spill_count: 0
    .wavefront_size: 32
    .workgroup_processor_mode: 1
  - .args:
      - .offset:         0
        .size:           120
        .value_kind:     by_value
    .group_segment_fixed_size: 0
    .kernarg_segment_align: 8
    .kernarg_segment_size: 120
    .language:       OpenCL C
    .language_version:
      - 2
      - 0
    .max_flat_workgroup_size: 512
    .name:           _ZN7rocprim17ROCPRIM_400000_NS6detail17trampoline_kernelINS0_14default_configENS1_25partition_config_selectorILNS1_17partition_subalgoE5EtNS0_10empty_typeEbEEZZNS1_14partition_implILS5_5ELb0ES3_mN6thrust23THRUST_200600_302600_NS6detail15normal_iteratorINSA_10device_ptrItEEEEPS6_NSA_18transform_iteratorINSB_9not_fun_tINSA_8identityItEEEESF_NSA_11use_defaultESM_EENS0_5tupleIJSF_S6_EEENSO_IJSG_SG_EEES6_PlJS6_EEE10hipError_tPvRmT3_T4_T5_T6_T7_T9_mT8_P12ihipStream_tbDpT10_ENKUlT_T0_E_clISt17integral_constantIbLb0EES1B_EEDaS16_S17_EUlS16_E_NS1_11comp_targetILNS1_3genE5ELNS1_11target_archE942ELNS1_3gpuE9ELNS1_3repE0EEENS1_30default_config_static_selectorELNS0_4arch9wavefront6targetE0EEEvT1_
    .private_segment_fixed_size: 0
    .sgpr_count:     0
    .sgpr_spill_count: 0
    .symbol:         _ZN7rocprim17ROCPRIM_400000_NS6detail17trampoline_kernelINS0_14default_configENS1_25partition_config_selectorILNS1_17partition_subalgoE5EtNS0_10empty_typeEbEEZZNS1_14partition_implILS5_5ELb0ES3_mN6thrust23THRUST_200600_302600_NS6detail15normal_iteratorINSA_10device_ptrItEEEEPS6_NSA_18transform_iteratorINSB_9not_fun_tINSA_8identityItEEEESF_NSA_11use_defaultESM_EENS0_5tupleIJSF_S6_EEENSO_IJSG_SG_EEES6_PlJS6_EEE10hipError_tPvRmT3_T4_T5_T6_T7_T9_mT8_P12ihipStream_tbDpT10_ENKUlT_T0_E_clISt17integral_constantIbLb0EES1B_EEDaS16_S17_EUlS16_E_NS1_11comp_targetILNS1_3genE5ELNS1_11target_archE942ELNS1_3gpuE9ELNS1_3repE0EEENS1_30default_config_static_selectorELNS0_4arch9wavefront6targetE0EEEvT1_.kd
    .uniform_work_group_size: 1
    .uses_dynamic_stack: false
    .vgpr_count:     0
    .vgpr_spill_count: 0
    .wavefront_size: 32
    .workgroup_processor_mode: 1
  - .args:
      - .offset:         0
        .size:           120
        .value_kind:     by_value
    .group_segment_fixed_size: 0
    .kernarg_segment_align: 8
    .kernarg_segment_size: 120
    .language:       OpenCL C
    .language_version:
      - 2
      - 0
    .max_flat_workgroup_size: 256
    .name:           _ZN7rocprim17ROCPRIM_400000_NS6detail17trampoline_kernelINS0_14default_configENS1_25partition_config_selectorILNS1_17partition_subalgoE5EtNS0_10empty_typeEbEEZZNS1_14partition_implILS5_5ELb0ES3_mN6thrust23THRUST_200600_302600_NS6detail15normal_iteratorINSA_10device_ptrItEEEEPS6_NSA_18transform_iteratorINSB_9not_fun_tINSA_8identityItEEEESF_NSA_11use_defaultESM_EENS0_5tupleIJSF_S6_EEENSO_IJSG_SG_EEES6_PlJS6_EEE10hipError_tPvRmT3_T4_T5_T6_T7_T9_mT8_P12ihipStream_tbDpT10_ENKUlT_T0_E_clISt17integral_constantIbLb0EES1B_EEDaS16_S17_EUlS16_E_NS1_11comp_targetILNS1_3genE4ELNS1_11target_archE910ELNS1_3gpuE8ELNS1_3repE0EEENS1_30default_config_static_selectorELNS0_4arch9wavefront6targetE0EEEvT1_
    .private_segment_fixed_size: 0
    .sgpr_count:     0
    .sgpr_spill_count: 0
    .symbol:         _ZN7rocprim17ROCPRIM_400000_NS6detail17trampoline_kernelINS0_14default_configENS1_25partition_config_selectorILNS1_17partition_subalgoE5EtNS0_10empty_typeEbEEZZNS1_14partition_implILS5_5ELb0ES3_mN6thrust23THRUST_200600_302600_NS6detail15normal_iteratorINSA_10device_ptrItEEEEPS6_NSA_18transform_iteratorINSB_9not_fun_tINSA_8identityItEEEESF_NSA_11use_defaultESM_EENS0_5tupleIJSF_S6_EEENSO_IJSG_SG_EEES6_PlJS6_EEE10hipError_tPvRmT3_T4_T5_T6_T7_T9_mT8_P12ihipStream_tbDpT10_ENKUlT_T0_E_clISt17integral_constantIbLb0EES1B_EEDaS16_S17_EUlS16_E_NS1_11comp_targetILNS1_3genE4ELNS1_11target_archE910ELNS1_3gpuE8ELNS1_3repE0EEENS1_30default_config_static_selectorELNS0_4arch9wavefront6targetE0EEEvT1_.kd
    .uniform_work_group_size: 1
    .uses_dynamic_stack: false
    .vgpr_count:     0
    .vgpr_spill_count: 0
    .wavefront_size: 32
    .workgroup_processor_mode: 1
  - .args:
      - .offset:         0
        .size:           120
        .value_kind:     by_value
    .group_segment_fixed_size: 0
    .kernarg_segment_align: 8
    .kernarg_segment_size: 120
    .language:       OpenCL C
    .language_version:
      - 2
      - 0
    .max_flat_workgroup_size: 256
    .name:           _ZN7rocprim17ROCPRIM_400000_NS6detail17trampoline_kernelINS0_14default_configENS1_25partition_config_selectorILNS1_17partition_subalgoE5EtNS0_10empty_typeEbEEZZNS1_14partition_implILS5_5ELb0ES3_mN6thrust23THRUST_200600_302600_NS6detail15normal_iteratorINSA_10device_ptrItEEEEPS6_NSA_18transform_iteratorINSB_9not_fun_tINSA_8identityItEEEESF_NSA_11use_defaultESM_EENS0_5tupleIJSF_S6_EEENSO_IJSG_SG_EEES6_PlJS6_EEE10hipError_tPvRmT3_T4_T5_T6_T7_T9_mT8_P12ihipStream_tbDpT10_ENKUlT_T0_E_clISt17integral_constantIbLb0EES1B_EEDaS16_S17_EUlS16_E_NS1_11comp_targetILNS1_3genE3ELNS1_11target_archE908ELNS1_3gpuE7ELNS1_3repE0EEENS1_30default_config_static_selectorELNS0_4arch9wavefront6targetE0EEEvT1_
    .private_segment_fixed_size: 0
    .sgpr_count:     0
    .sgpr_spill_count: 0
    .symbol:         _ZN7rocprim17ROCPRIM_400000_NS6detail17trampoline_kernelINS0_14default_configENS1_25partition_config_selectorILNS1_17partition_subalgoE5EtNS0_10empty_typeEbEEZZNS1_14partition_implILS5_5ELb0ES3_mN6thrust23THRUST_200600_302600_NS6detail15normal_iteratorINSA_10device_ptrItEEEEPS6_NSA_18transform_iteratorINSB_9not_fun_tINSA_8identityItEEEESF_NSA_11use_defaultESM_EENS0_5tupleIJSF_S6_EEENSO_IJSG_SG_EEES6_PlJS6_EEE10hipError_tPvRmT3_T4_T5_T6_T7_T9_mT8_P12ihipStream_tbDpT10_ENKUlT_T0_E_clISt17integral_constantIbLb0EES1B_EEDaS16_S17_EUlS16_E_NS1_11comp_targetILNS1_3genE3ELNS1_11target_archE908ELNS1_3gpuE7ELNS1_3repE0EEENS1_30default_config_static_selectorELNS0_4arch9wavefront6targetE0EEEvT1_.kd
    .uniform_work_group_size: 1
    .uses_dynamic_stack: false
    .vgpr_count:     0
    .vgpr_spill_count: 0
    .wavefront_size: 32
    .workgroup_processor_mode: 1
  - .args:
      - .offset:         0
        .size:           120
        .value_kind:     by_value
    .group_segment_fixed_size: 0
    .kernarg_segment_align: 8
    .kernarg_segment_size: 120
    .language:       OpenCL C
    .language_version:
      - 2
      - 0
    .max_flat_workgroup_size: 256
    .name:           _ZN7rocprim17ROCPRIM_400000_NS6detail17trampoline_kernelINS0_14default_configENS1_25partition_config_selectorILNS1_17partition_subalgoE5EtNS0_10empty_typeEbEEZZNS1_14partition_implILS5_5ELb0ES3_mN6thrust23THRUST_200600_302600_NS6detail15normal_iteratorINSA_10device_ptrItEEEEPS6_NSA_18transform_iteratorINSB_9not_fun_tINSA_8identityItEEEESF_NSA_11use_defaultESM_EENS0_5tupleIJSF_S6_EEENSO_IJSG_SG_EEES6_PlJS6_EEE10hipError_tPvRmT3_T4_T5_T6_T7_T9_mT8_P12ihipStream_tbDpT10_ENKUlT_T0_E_clISt17integral_constantIbLb0EES1B_EEDaS16_S17_EUlS16_E_NS1_11comp_targetILNS1_3genE2ELNS1_11target_archE906ELNS1_3gpuE6ELNS1_3repE0EEENS1_30default_config_static_selectorELNS0_4arch9wavefront6targetE0EEEvT1_
    .private_segment_fixed_size: 0
    .sgpr_count:     0
    .sgpr_spill_count: 0
    .symbol:         _ZN7rocprim17ROCPRIM_400000_NS6detail17trampoline_kernelINS0_14default_configENS1_25partition_config_selectorILNS1_17partition_subalgoE5EtNS0_10empty_typeEbEEZZNS1_14partition_implILS5_5ELb0ES3_mN6thrust23THRUST_200600_302600_NS6detail15normal_iteratorINSA_10device_ptrItEEEEPS6_NSA_18transform_iteratorINSB_9not_fun_tINSA_8identityItEEEESF_NSA_11use_defaultESM_EENS0_5tupleIJSF_S6_EEENSO_IJSG_SG_EEES6_PlJS6_EEE10hipError_tPvRmT3_T4_T5_T6_T7_T9_mT8_P12ihipStream_tbDpT10_ENKUlT_T0_E_clISt17integral_constantIbLb0EES1B_EEDaS16_S17_EUlS16_E_NS1_11comp_targetILNS1_3genE2ELNS1_11target_archE906ELNS1_3gpuE6ELNS1_3repE0EEENS1_30default_config_static_selectorELNS0_4arch9wavefront6targetE0EEEvT1_.kd
    .uniform_work_group_size: 1
    .uses_dynamic_stack: false
    .vgpr_count:     0
    .vgpr_spill_count: 0
    .wavefront_size: 32
    .workgroup_processor_mode: 1
  - .args:
      - .offset:         0
        .size:           120
        .value_kind:     by_value
    .group_segment_fixed_size: 6160
    .kernarg_segment_align: 8
    .kernarg_segment_size: 120
    .language:       OpenCL C
    .language_version:
      - 2
      - 0
    .max_flat_workgroup_size: 256
    .name:           _ZN7rocprim17ROCPRIM_400000_NS6detail17trampoline_kernelINS0_14default_configENS1_25partition_config_selectorILNS1_17partition_subalgoE5EtNS0_10empty_typeEbEEZZNS1_14partition_implILS5_5ELb0ES3_mN6thrust23THRUST_200600_302600_NS6detail15normal_iteratorINSA_10device_ptrItEEEEPS6_NSA_18transform_iteratorINSB_9not_fun_tINSA_8identityItEEEESF_NSA_11use_defaultESM_EENS0_5tupleIJSF_S6_EEENSO_IJSG_SG_EEES6_PlJS6_EEE10hipError_tPvRmT3_T4_T5_T6_T7_T9_mT8_P12ihipStream_tbDpT10_ENKUlT_T0_E_clISt17integral_constantIbLb0EES1B_EEDaS16_S17_EUlS16_E_NS1_11comp_targetILNS1_3genE10ELNS1_11target_archE1200ELNS1_3gpuE4ELNS1_3repE0EEENS1_30default_config_static_selectorELNS0_4arch9wavefront6targetE0EEEvT1_
    .private_segment_fixed_size: 0
    .sgpr_count:     24
    .sgpr_spill_count: 0
    .symbol:         _ZN7rocprim17ROCPRIM_400000_NS6detail17trampoline_kernelINS0_14default_configENS1_25partition_config_selectorILNS1_17partition_subalgoE5EtNS0_10empty_typeEbEEZZNS1_14partition_implILS5_5ELb0ES3_mN6thrust23THRUST_200600_302600_NS6detail15normal_iteratorINSA_10device_ptrItEEEEPS6_NSA_18transform_iteratorINSB_9not_fun_tINSA_8identityItEEEESF_NSA_11use_defaultESM_EENS0_5tupleIJSF_S6_EEENSO_IJSG_SG_EEES6_PlJS6_EEE10hipError_tPvRmT3_T4_T5_T6_T7_T9_mT8_P12ihipStream_tbDpT10_ENKUlT_T0_E_clISt17integral_constantIbLb0EES1B_EEDaS16_S17_EUlS16_E_NS1_11comp_targetILNS1_3genE10ELNS1_11target_archE1200ELNS1_3gpuE4ELNS1_3repE0EEENS1_30default_config_static_selectorELNS0_4arch9wavefront6targetE0EEEvT1_.kd
    .uniform_work_group_size: 1
    .uses_dynamic_stack: false
    .vgpr_count:     63
    .vgpr_spill_count: 0
    .wavefront_size: 32
    .workgroup_processor_mode: 1
  - .args:
      - .offset:         0
        .size:           120
        .value_kind:     by_value
    .group_segment_fixed_size: 0
    .kernarg_segment_align: 8
    .kernarg_segment_size: 120
    .language:       OpenCL C
    .language_version:
      - 2
      - 0
    .max_flat_workgroup_size: 128
    .name:           _ZN7rocprim17ROCPRIM_400000_NS6detail17trampoline_kernelINS0_14default_configENS1_25partition_config_selectorILNS1_17partition_subalgoE5EtNS0_10empty_typeEbEEZZNS1_14partition_implILS5_5ELb0ES3_mN6thrust23THRUST_200600_302600_NS6detail15normal_iteratorINSA_10device_ptrItEEEEPS6_NSA_18transform_iteratorINSB_9not_fun_tINSA_8identityItEEEESF_NSA_11use_defaultESM_EENS0_5tupleIJSF_S6_EEENSO_IJSG_SG_EEES6_PlJS6_EEE10hipError_tPvRmT3_T4_T5_T6_T7_T9_mT8_P12ihipStream_tbDpT10_ENKUlT_T0_E_clISt17integral_constantIbLb0EES1B_EEDaS16_S17_EUlS16_E_NS1_11comp_targetILNS1_3genE9ELNS1_11target_archE1100ELNS1_3gpuE3ELNS1_3repE0EEENS1_30default_config_static_selectorELNS0_4arch9wavefront6targetE0EEEvT1_
    .private_segment_fixed_size: 0
    .sgpr_count:     0
    .sgpr_spill_count: 0
    .symbol:         _ZN7rocprim17ROCPRIM_400000_NS6detail17trampoline_kernelINS0_14default_configENS1_25partition_config_selectorILNS1_17partition_subalgoE5EtNS0_10empty_typeEbEEZZNS1_14partition_implILS5_5ELb0ES3_mN6thrust23THRUST_200600_302600_NS6detail15normal_iteratorINSA_10device_ptrItEEEEPS6_NSA_18transform_iteratorINSB_9not_fun_tINSA_8identityItEEEESF_NSA_11use_defaultESM_EENS0_5tupleIJSF_S6_EEENSO_IJSG_SG_EEES6_PlJS6_EEE10hipError_tPvRmT3_T4_T5_T6_T7_T9_mT8_P12ihipStream_tbDpT10_ENKUlT_T0_E_clISt17integral_constantIbLb0EES1B_EEDaS16_S17_EUlS16_E_NS1_11comp_targetILNS1_3genE9ELNS1_11target_archE1100ELNS1_3gpuE3ELNS1_3repE0EEENS1_30default_config_static_selectorELNS0_4arch9wavefront6targetE0EEEvT1_.kd
    .uniform_work_group_size: 1
    .uses_dynamic_stack: false
    .vgpr_count:     0
    .vgpr_spill_count: 0
    .wavefront_size: 32
    .workgroup_processor_mode: 1
  - .args:
      - .offset:         0
        .size:           120
        .value_kind:     by_value
    .group_segment_fixed_size: 0
    .kernarg_segment_align: 8
    .kernarg_segment_size: 120
    .language:       OpenCL C
    .language_version:
      - 2
      - 0
    .max_flat_workgroup_size: 256
    .name:           _ZN7rocprim17ROCPRIM_400000_NS6detail17trampoline_kernelINS0_14default_configENS1_25partition_config_selectorILNS1_17partition_subalgoE5EtNS0_10empty_typeEbEEZZNS1_14partition_implILS5_5ELb0ES3_mN6thrust23THRUST_200600_302600_NS6detail15normal_iteratorINSA_10device_ptrItEEEEPS6_NSA_18transform_iteratorINSB_9not_fun_tINSA_8identityItEEEESF_NSA_11use_defaultESM_EENS0_5tupleIJSF_S6_EEENSO_IJSG_SG_EEES6_PlJS6_EEE10hipError_tPvRmT3_T4_T5_T6_T7_T9_mT8_P12ihipStream_tbDpT10_ENKUlT_T0_E_clISt17integral_constantIbLb0EES1B_EEDaS16_S17_EUlS16_E_NS1_11comp_targetILNS1_3genE8ELNS1_11target_archE1030ELNS1_3gpuE2ELNS1_3repE0EEENS1_30default_config_static_selectorELNS0_4arch9wavefront6targetE0EEEvT1_
    .private_segment_fixed_size: 0
    .sgpr_count:     0
    .sgpr_spill_count: 0
    .symbol:         _ZN7rocprim17ROCPRIM_400000_NS6detail17trampoline_kernelINS0_14default_configENS1_25partition_config_selectorILNS1_17partition_subalgoE5EtNS0_10empty_typeEbEEZZNS1_14partition_implILS5_5ELb0ES3_mN6thrust23THRUST_200600_302600_NS6detail15normal_iteratorINSA_10device_ptrItEEEEPS6_NSA_18transform_iteratorINSB_9not_fun_tINSA_8identityItEEEESF_NSA_11use_defaultESM_EENS0_5tupleIJSF_S6_EEENSO_IJSG_SG_EEES6_PlJS6_EEE10hipError_tPvRmT3_T4_T5_T6_T7_T9_mT8_P12ihipStream_tbDpT10_ENKUlT_T0_E_clISt17integral_constantIbLb0EES1B_EEDaS16_S17_EUlS16_E_NS1_11comp_targetILNS1_3genE8ELNS1_11target_archE1030ELNS1_3gpuE2ELNS1_3repE0EEENS1_30default_config_static_selectorELNS0_4arch9wavefront6targetE0EEEvT1_.kd
    .uniform_work_group_size: 1
    .uses_dynamic_stack: false
    .vgpr_count:     0
    .vgpr_spill_count: 0
    .wavefront_size: 32
    .workgroup_processor_mode: 1
  - .args:
      - .offset:         0
        .size:           136
        .value_kind:     by_value
    .group_segment_fixed_size: 0
    .kernarg_segment_align: 8
    .kernarg_segment_size: 136
    .language:       OpenCL C
    .language_version:
      - 2
      - 0
    .max_flat_workgroup_size: 256
    .name:           _ZN7rocprim17ROCPRIM_400000_NS6detail17trampoline_kernelINS0_14default_configENS1_25partition_config_selectorILNS1_17partition_subalgoE5EtNS0_10empty_typeEbEEZZNS1_14partition_implILS5_5ELb0ES3_mN6thrust23THRUST_200600_302600_NS6detail15normal_iteratorINSA_10device_ptrItEEEEPS6_NSA_18transform_iteratorINSB_9not_fun_tINSA_8identityItEEEESF_NSA_11use_defaultESM_EENS0_5tupleIJSF_S6_EEENSO_IJSG_SG_EEES6_PlJS6_EEE10hipError_tPvRmT3_T4_T5_T6_T7_T9_mT8_P12ihipStream_tbDpT10_ENKUlT_T0_E_clISt17integral_constantIbLb1EES1B_EEDaS16_S17_EUlS16_E_NS1_11comp_targetILNS1_3genE0ELNS1_11target_archE4294967295ELNS1_3gpuE0ELNS1_3repE0EEENS1_30default_config_static_selectorELNS0_4arch9wavefront6targetE0EEEvT1_
    .private_segment_fixed_size: 0
    .sgpr_count:     0
    .sgpr_spill_count: 0
    .symbol:         _ZN7rocprim17ROCPRIM_400000_NS6detail17trampoline_kernelINS0_14default_configENS1_25partition_config_selectorILNS1_17partition_subalgoE5EtNS0_10empty_typeEbEEZZNS1_14partition_implILS5_5ELb0ES3_mN6thrust23THRUST_200600_302600_NS6detail15normal_iteratorINSA_10device_ptrItEEEEPS6_NSA_18transform_iteratorINSB_9not_fun_tINSA_8identityItEEEESF_NSA_11use_defaultESM_EENS0_5tupleIJSF_S6_EEENSO_IJSG_SG_EEES6_PlJS6_EEE10hipError_tPvRmT3_T4_T5_T6_T7_T9_mT8_P12ihipStream_tbDpT10_ENKUlT_T0_E_clISt17integral_constantIbLb1EES1B_EEDaS16_S17_EUlS16_E_NS1_11comp_targetILNS1_3genE0ELNS1_11target_archE4294967295ELNS1_3gpuE0ELNS1_3repE0EEENS1_30default_config_static_selectorELNS0_4arch9wavefront6targetE0EEEvT1_.kd
    .uniform_work_group_size: 1
    .uses_dynamic_stack: false
    .vgpr_count:     0
    .vgpr_spill_count: 0
    .wavefront_size: 32
    .workgroup_processor_mode: 1
  - .args:
      - .offset:         0
        .size:           136
        .value_kind:     by_value
    .group_segment_fixed_size: 0
    .kernarg_segment_align: 8
    .kernarg_segment_size: 136
    .language:       OpenCL C
    .language_version:
      - 2
      - 0
    .max_flat_workgroup_size: 512
    .name:           _ZN7rocprim17ROCPRIM_400000_NS6detail17trampoline_kernelINS0_14default_configENS1_25partition_config_selectorILNS1_17partition_subalgoE5EtNS0_10empty_typeEbEEZZNS1_14partition_implILS5_5ELb0ES3_mN6thrust23THRUST_200600_302600_NS6detail15normal_iteratorINSA_10device_ptrItEEEEPS6_NSA_18transform_iteratorINSB_9not_fun_tINSA_8identityItEEEESF_NSA_11use_defaultESM_EENS0_5tupleIJSF_S6_EEENSO_IJSG_SG_EEES6_PlJS6_EEE10hipError_tPvRmT3_T4_T5_T6_T7_T9_mT8_P12ihipStream_tbDpT10_ENKUlT_T0_E_clISt17integral_constantIbLb1EES1B_EEDaS16_S17_EUlS16_E_NS1_11comp_targetILNS1_3genE5ELNS1_11target_archE942ELNS1_3gpuE9ELNS1_3repE0EEENS1_30default_config_static_selectorELNS0_4arch9wavefront6targetE0EEEvT1_
    .private_segment_fixed_size: 0
    .sgpr_count:     0
    .sgpr_spill_count: 0
    .symbol:         _ZN7rocprim17ROCPRIM_400000_NS6detail17trampoline_kernelINS0_14default_configENS1_25partition_config_selectorILNS1_17partition_subalgoE5EtNS0_10empty_typeEbEEZZNS1_14partition_implILS5_5ELb0ES3_mN6thrust23THRUST_200600_302600_NS6detail15normal_iteratorINSA_10device_ptrItEEEEPS6_NSA_18transform_iteratorINSB_9not_fun_tINSA_8identityItEEEESF_NSA_11use_defaultESM_EENS0_5tupleIJSF_S6_EEENSO_IJSG_SG_EEES6_PlJS6_EEE10hipError_tPvRmT3_T4_T5_T6_T7_T9_mT8_P12ihipStream_tbDpT10_ENKUlT_T0_E_clISt17integral_constantIbLb1EES1B_EEDaS16_S17_EUlS16_E_NS1_11comp_targetILNS1_3genE5ELNS1_11target_archE942ELNS1_3gpuE9ELNS1_3repE0EEENS1_30default_config_static_selectorELNS0_4arch9wavefront6targetE0EEEvT1_.kd
    .uniform_work_group_size: 1
    .uses_dynamic_stack: false
    .vgpr_count:     0
    .vgpr_spill_count: 0
    .wavefront_size: 32
    .workgroup_processor_mode: 1
  - .args:
      - .offset:         0
        .size:           136
        .value_kind:     by_value
    .group_segment_fixed_size: 0
    .kernarg_segment_align: 8
    .kernarg_segment_size: 136
    .language:       OpenCL C
    .language_version:
      - 2
      - 0
    .max_flat_workgroup_size: 256
    .name:           _ZN7rocprim17ROCPRIM_400000_NS6detail17trampoline_kernelINS0_14default_configENS1_25partition_config_selectorILNS1_17partition_subalgoE5EtNS0_10empty_typeEbEEZZNS1_14partition_implILS5_5ELb0ES3_mN6thrust23THRUST_200600_302600_NS6detail15normal_iteratorINSA_10device_ptrItEEEEPS6_NSA_18transform_iteratorINSB_9not_fun_tINSA_8identityItEEEESF_NSA_11use_defaultESM_EENS0_5tupleIJSF_S6_EEENSO_IJSG_SG_EEES6_PlJS6_EEE10hipError_tPvRmT3_T4_T5_T6_T7_T9_mT8_P12ihipStream_tbDpT10_ENKUlT_T0_E_clISt17integral_constantIbLb1EES1B_EEDaS16_S17_EUlS16_E_NS1_11comp_targetILNS1_3genE4ELNS1_11target_archE910ELNS1_3gpuE8ELNS1_3repE0EEENS1_30default_config_static_selectorELNS0_4arch9wavefront6targetE0EEEvT1_
    .private_segment_fixed_size: 0
    .sgpr_count:     0
    .sgpr_spill_count: 0
    .symbol:         _ZN7rocprim17ROCPRIM_400000_NS6detail17trampoline_kernelINS0_14default_configENS1_25partition_config_selectorILNS1_17partition_subalgoE5EtNS0_10empty_typeEbEEZZNS1_14partition_implILS5_5ELb0ES3_mN6thrust23THRUST_200600_302600_NS6detail15normal_iteratorINSA_10device_ptrItEEEEPS6_NSA_18transform_iteratorINSB_9not_fun_tINSA_8identityItEEEESF_NSA_11use_defaultESM_EENS0_5tupleIJSF_S6_EEENSO_IJSG_SG_EEES6_PlJS6_EEE10hipError_tPvRmT3_T4_T5_T6_T7_T9_mT8_P12ihipStream_tbDpT10_ENKUlT_T0_E_clISt17integral_constantIbLb1EES1B_EEDaS16_S17_EUlS16_E_NS1_11comp_targetILNS1_3genE4ELNS1_11target_archE910ELNS1_3gpuE8ELNS1_3repE0EEENS1_30default_config_static_selectorELNS0_4arch9wavefront6targetE0EEEvT1_.kd
    .uniform_work_group_size: 1
    .uses_dynamic_stack: false
    .vgpr_count:     0
    .vgpr_spill_count: 0
    .wavefront_size: 32
    .workgroup_processor_mode: 1
  - .args:
      - .offset:         0
        .size:           136
        .value_kind:     by_value
    .group_segment_fixed_size: 0
    .kernarg_segment_align: 8
    .kernarg_segment_size: 136
    .language:       OpenCL C
    .language_version:
      - 2
      - 0
    .max_flat_workgroup_size: 256
    .name:           _ZN7rocprim17ROCPRIM_400000_NS6detail17trampoline_kernelINS0_14default_configENS1_25partition_config_selectorILNS1_17partition_subalgoE5EtNS0_10empty_typeEbEEZZNS1_14partition_implILS5_5ELb0ES3_mN6thrust23THRUST_200600_302600_NS6detail15normal_iteratorINSA_10device_ptrItEEEEPS6_NSA_18transform_iteratorINSB_9not_fun_tINSA_8identityItEEEESF_NSA_11use_defaultESM_EENS0_5tupleIJSF_S6_EEENSO_IJSG_SG_EEES6_PlJS6_EEE10hipError_tPvRmT3_T4_T5_T6_T7_T9_mT8_P12ihipStream_tbDpT10_ENKUlT_T0_E_clISt17integral_constantIbLb1EES1B_EEDaS16_S17_EUlS16_E_NS1_11comp_targetILNS1_3genE3ELNS1_11target_archE908ELNS1_3gpuE7ELNS1_3repE0EEENS1_30default_config_static_selectorELNS0_4arch9wavefront6targetE0EEEvT1_
    .private_segment_fixed_size: 0
    .sgpr_count:     0
    .sgpr_spill_count: 0
    .symbol:         _ZN7rocprim17ROCPRIM_400000_NS6detail17trampoline_kernelINS0_14default_configENS1_25partition_config_selectorILNS1_17partition_subalgoE5EtNS0_10empty_typeEbEEZZNS1_14partition_implILS5_5ELb0ES3_mN6thrust23THRUST_200600_302600_NS6detail15normal_iteratorINSA_10device_ptrItEEEEPS6_NSA_18transform_iteratorINSB_9not_fun_tINSA_8identityItEEEESF_NSA_11use_defaultESM_EENS0_5tupleIJSF_S6_EEENSO_IJSG_SG_EEES6_PlJS6_EEE10hipError_tPvRmT3_T4_T5_T6_T7_T9_mT8_P12ihipStream_tbDpT10_ENKUlT_T0_E_clISt17integral_constantIbLb1EES1B_EEDaS16_S17_EUlS16_E_NS1_11comp_targetILNS1_3genE3ELNS1_11target_archE908ELNS1_3gpuE7ELNS1_3repE0EEENS1_30default_config_static_selectorELNS0_4arch9wavefront6targetE0EEEvT1_.kd
    .uniform_work_group_size: 1
    .uses_dynamic_stack: false
    .vgpr_count:     0
    .vgpr_spill_count: 0
    .wavefront_size: 32
    .workgroup_processor_mode: 1
  - .args:
      - .offset:         0
        .size:           136
        .value_kind:     by_value
    .group_segment_fixed_size: 0
    .kernarg_segment_align: 8
    .kernarg_segment_size: 136
    .language:       OpenCL C
    .language_version:
      - 2
      - 0
    .max_flat_workgroup_size: 256
    .name:           _ZN7rocprim17ROCPRIM_400000_NS6detail17trampoline_kernelINS0_14default_configENS1_25partition_config_selectorILNS1_17partition_subalgoE5EtNS0_10empty_typeEbEEZZNS1_14partition_implILS5_5ELb0ES3_mN6thrust23THRUST_200600_302600_NS6detail15normal_iteratorINSA_10device_ptrItEEEEPS6_NSA_18transform_iteratorINSB_9not_fun_tINSA_8identityItEEEESF_NSA_11use_defaultESM_EENS0_5tupleIJSF_S6_EEENSO_IJSG_SG_EEES6_PlJS6_EEE10hipError_tPvRmT3_T4_T5_T6_T7_T9_mT8_P12ihipStream_tbDpT10_ENKUlT_T0_E_clISt17integral_constantIbLb1EES1B_EEDaS16_S17_EUlS16_E_NS1_11comp_targetILNS1_3genE2ELNS1_11target_archE906ELNS1_3gpuE6ELNS1_3repE0EEENS1_30default_config_static_selectorELNS0_4arch9wavefront6targetE0EEEvT1_
    .private_segment_fixed_size: 0
    .sgpr_count:     0
    .sgpr_spill_count: 0
    .symbol:         _ZN7rocprim17ROCPRIM_400000_NS6detail17trampoline_kernelINS0_14default_configENS1_25partition_config_selectorILNS1_17partition_subalgoE5EtNS0_10empty_typeEbEEZZNS1_14partition_implILS5_5ELb0ES3_mN6thrust23THRUST_200600_302600_NS6detail15normal_iteratorINSA_10device_ptrItEEEEPS6_NSA_18transform_iteratorINSB_9not_fun_tINSA_8identityItEEEESF_NSA_11use_defaultESM_EENS0_5tupleIJSF_S6_EEENSO_IJSG_SG_EEES6_PlJS6_EEE10hipError_tPvRmT3_T4_T5_T6_T7_T9_mT8_P12ihipStream_tbDpT10_ENKUlT_T0_E_clISt17integral_constantIbLb1EES1B_EEDaS16_S17_EUlS16_E_NS1_11comp_targetILNS1_3genE2ELNS1_11target_archE906ELNS1_3gpuE6ELNS1_3repE0EEENS1_30default_config_static_selectorELNS0_4arch9wavefront6targetE0EEEvT1_.kd
    .uniform_work_group_size: 1
    .uses_dynamic_stack: false
    .vgpr_count:     0
    .vgpr_spill_count: 0
    .wavefront_size: 32
    .workgroup_processor_mode: 1
  - .args:
      - .offset:         0
        .size:           136
        .value_kind:     by_value
    .group_segment_fixed_size: 0
    .kernarg_segment_align: 8
    .kernarg_segment_size: 136
    .language:       OpenCL C
    .language_version:
      - 2
      - 0
    .max_flat_workgroup_size: 256
    .name:           _ZN7rocprim17ROCPRIM_400000_NS6detail17trampoline_kernelINS0_14default_configENS1_25partition_config_selectorILNS1_17partition_subalgoE5EtNS0_10empty_typeEbEEZZNS1_14partition_implILS5_5ELb0ES3_mN6thrust23THRUST_200600_302600_NS6detail15normal_iteratorINSA_10device_ptrItEEEEPS6_NSA_18transform_iteratorINSB_9not_fun_tINSA_8identityItEEEESF_NSA_11use_defaultESM_EENS0_5tupleIJSF_S6_EEENSO_IJSG_SG_EEES6_PlJS6_EEE10hipError_tPvRmT3_T4_T5_T6_T7_T9_mT8_P12ihipStream_tbDpT10_ENKUlT_T0_E_clISt17integral_constantIbLb1EES1B_EEDaS16_S17_EUlS16_E_NS1_11comp_targetILNS1_3genE10ELNS1_11target_archE1200ELNS1_3gpuE4ELNS1_3repE0EEENS1_30default_config_static_selectorELNS0_4arch9wavefront6targetE0EEEvT1_
    .private_segment_fixed_size: 0
    .sgpr_count:     0
    .sgpr_spill_count: 0
    .symbol:         _ZN7rocprim17ROCPRIM_400000_NS6detail17trampoline_kernelINS0_14default_configENS1_25partition_config_selectorILNS1_17partition_subalgoE5EtNS0_10empty_typeEbEEZZNS1_14partition_implILS5_5ELb0ES3_mN6thrust23THRUST_200600_302600_NS6detail15normal_iteratorINSA_10device_ptrItEEEEPS6_NSA_18transform_iteratorINSB_9not_fun_tINSA_8identityItEEEESF_NSA_11use_defaultESM_EENS0_5tupleIJSF_S6_EEENSO_IJSG_SG_EEES6_PlJS6_EEE10hipError_tPvRmT3_T4_T5_T6_T7_T9_mT8_P12ihipStream_tbDpT10_ENKUlT_T0_E_clISt17integral_constantIbLb1EES1B_EEDaS16_S17_EUlS16_E_NS1_11comp_targetILNS1_3genE10ELNS1_11target_archE1200ELNS1_3gpuE4ELNS1_3repE0EEENS1_30default_config_static_selectorELNS0_4arch9wavefront6targetE0EEEvT1_.kd
    .uniform_work_group_size: 1
    .uses_dynamic_stack: false
    .vgpr_count:     0
    .vgpr_spill_count: 0
    .wavefront_size: 32
    .workgroup_processor_mode: 1
  - .args:
      - .offset:         0
        .size:           136
        .value_kind:     by_value
    .group_segment_fixed_size: 0
    .kernarg_segment_align: 8
    .kernarg_segment_size: 136
    .language:       OpenCL C
    .language_version:
      - 2
      - 0
    .max_flat_workgroup_size: 128
    .name:           _ZN7rocprim17ROCPRIM_400000_NS6detail17trampoline_kernelINS0_14default_configENS1_25partition_config_selectorILNS1_17partition_subalgoE5EtNS0_10empty_typeEbEEZZNS1_14partition_implILS5_5ELb0ES3_mN6thrust23THRUST_200600_302600_NS6detail15normal_iteratorINSA_10device_ptrItEEEEPS6_NSA_18transform_iteratorINSB_9not_fun_tINSA_8identityItEEEESF_NSA_11use_defaultESM_EENS0_5tupleIJSF_S6_EEENSO_IJSG_SG_EEES6_PlJS6_EEE10hipError_tPvRmT3_T4_T5_T6_T7_T9_mT8_P12ihipStream_tbDpT10_ENKUlT_T0_E_clISt17integral_constantIbLb1EES1B_EEDaS16_S17_EUlS16_E_NS1_11comp_targetILNS1_3genE9ELNS1_11target_archE1100ELNS1_3gpuE3ELNS1_3repE0EEENS1_30default_config_static_selectorELNS0_4arch9wavefront6targetE0EEEvT1_
    .private_segment_fixed_size: 0
    .sgpr_count:     0
    .sgpr_spill_count: 0
    .symbol:         _ZN7rocprim17ROCPRIM_400000_NS6detail17trampoline_kernelINS0_14default_configENS1_25partition_config_selectorILNS1_17partition_subalgoE5EtNS0_10empty_typeEbEEZZNS1_14partition_implILS5_5ELb0ES3_mN6thrust23THRUST_200600_302600_NS6detail15normal_iteratorINSA_10device_ptrItEEEEPS6_NSA_18transform_iteratorINSB_9not_fun_tINSA_8identityItEEEESF_NSA_11use_defaultESM_EENS0_5tupleIJSF_S6_EEENSO_IJSG_SG_EEES6_PlJS6_EEE10hipError_tPvRmT3_T4_T5_T6_T7_T9_mT8_P12ihipStream_tbDpT10_ENKUlT_T0_E_clISt17integral_constantIbLb1EES1B_EEDaS16_S17_EUlS16_E_NS1_11comp_targetILNS1_3genE9ELNS1_11target_archE1100ELNS1_3gpuE3ELNS1_3repE0EEENS1_30default_config_static_selectorELNS0_4arch9wavefront6targetE0EEEvT1_.kd
    .uniform_work_group_size: 1
    .uses_dynamic_stack: false
    .vgpr_count:     0
    .vgpr_spill_count: 0
    .wavefront_size: 32
    .workgroup_processor_mode: 1
  - .args:
      - .offset:         0
        .size:           136
        .value_kind:     by_value
    .group_segment_fixed_size: 0
    .kernarg_segment_align: 8
    .kernarg_segment_size: 136
    .language:       OpenCL C
    .language_version:
      - 2
      - 0
    .max_flat_workgroup_size: 256
    .name:           _ZN7rocprim17ROCPRIM_400000_NS6detail17trampoline_kernelINS0_14default_configENS1_25partition_config_selectorILNS1_17partition_subalgoE5EtNS0_10empty_typeEbEEZZNS1_14partition_implILS5_5ELb0ES3_mN6thrust23THRUST_200600_302600_NS6detail15normal_iteratorINSA_10device_ptrItEEEEPS6_NSA_18transform_iteratorINSB_9not_fun_tINSA_8identityItEEEESF_NSA_11use_defaultESM_EENS0_5tupleIJSF_S6_EEENSO_IJSG_SG_EEES6_PlJS6_EEE10hipError_tPvRmT3_T4_T5_T6_T7_T9_mT8_P12ihipStream_tbDpT10_ENKUlT_T0_E_clISt17integral_constantIbLb1EES1B_EEDaS16_S17_EUlS16_E_NS1_11comp_targetILNS1_3genE8ELNS1_11target_archE1030ELNS1_3gpuE2ELNS1_3repE0EEENS1_30default_config_static_selectorELNS0_4arch9wavefront6targetE0EEEvT1_
    .private_segment_fixed_size: 0
    .sgpr_count:     0
    .sgpr_spill_count: 0
    .symbol:         _ZN7rocprim17ROCPRIM_400000_NS6detail17trampoline_kernelINS0_14default_configENS1_25partition_config_selectorILNS1_17partition_subalgoE5EtNS0_10empty_typeEbEEZZNS1_14partition_implILS5_5ELb0ES3_mN6thrust23THRUST_200600_302600_NS6detail15normal_iteratorINSA_10device_ptrItEEEEPS6_NSA_18transform_iteratorINSB_9not_fun_tINSA_8identityItEEEESF_NSA_11use_defaultESM_EENS0_5tupleIJSF_S6_EEENSO_IJSG_SG_EEES6_PlJS6_EEE10hipError_tPvRmT3_T4_T5_T6_T7_T9_mT8_P12ihipStream_tbDpT10_ENKUlT_T0_E_clISt17integral_constantIbLb1EES1B_EEDaS16_S17_EUlS16_E_NS1_11comp_targetILNS1_3genE8ELNS1_11target_archE1030ELNS1_3gpuE2ELNS1_3repE0EEENS1_30default_config_static_selectorELNS0_4arch9wavefront6targetE0EEEvT1_.kd
    .uniform_work_group_size: 1
    .uses_dynamic_stack: false
    .vgpr_count:     0
    .vgpr_spill_count: 0
    .wavefront_size: 32
    .workgroup_processor_mode: 1
  - .args:
      - .offset:         0
        .size:           120
        .value_kind:     by_value
    .group_segment_fixed_size: 0
    .kernarg_segment_align: 8
    .kernarg_segment_size: 120
    .language:       OpenCL C
    .language_version:
      - 2
      - 0
    .max_flat_workgroup_size: 256
    .name:           _ZN7rocprim17ROCPRIM_400000_NS6detail17trampoline_kernelINS0_14default_configENS1_25partition_config_selectorILNS1_17partition_subalgoE5EtNS0_10empty_typeEbEEZZNS1_14partition_implILS5_5ELb0ES3_mN6thrust23THRUST_200600_302600_NS6detail15normal_iteratorINSA_10device_ptrItEEEEPS6_NSA_18transform_iteratorINSB_9not_fun_tINSA_8identityItEEEESF_NSA_11use_defaultESM_EENS0_5tupleIJSF_S6_EEENSO_IJSG_SG_EEES6_PlJS6_EEE10hipError_tPvRmT3_T4_T5_T6_T7_T9_mT8_P12ihipStream_tbDpT10_ENKUlT_T0_E_clISt17integral_constantIbLb1EES1A_IbLb0EEEEDaS16_S17_EUlS16_E_NS1_11comp_targetILNS1_3genE0ELNS1_11target_archE4294967295ELNS1_3gpuE0ELNS1_3repE0EEENS1_30default_config_static_selectorELNS0_4arch9wavefront6targetE0EEEvT1_
    .private_segment_fixed_size: 0
    .sgpr_count:     0
    .sgpr_spill_count: 0
    .symbol:         _ZN7rocprim17ROCPRIM_400000_NS6detail17trampoline_kernelINS0_14default_configENS1_25partition_config_selectorILNS1_17partition_subalgoE5EtNS0_10empty_typeEbEEZZNS1_14partition_implILS5_5ELb0ES3_mN6thrust23THRUST_200600_302600_NS6detail15normal_iteratorINSA_10device_ptrItEEEEPS6_NSA_18transform_iteratorINSB_9not_fun_tINSA_8identityItEEEESF_NSA_11use_defaultESM_EENS0_5tupleIJSF_S6_EEENSO_IJSG_SG_EEES6_PlJS6_EEE10hipError_tPvRmT3_T4_T5_T6_T7_T9_mT8_P12ihipStream_tbDpT10_ENKUlT_T0_E_clISt17integral_constantIbLb1EES1A_IbLb0EEEEDaS16_S17_EUlS16_E_NS1_11comp_targetILNS1_3genE0ELNS1_11target_archE4294967295ELNS1_3gpuE0ELNS1_3repE0EEENS1_30default_config_static_selectorELNS0_4arch9wavefront6targetE0EEEvT1_.kd
    .uniform_work_group_size: 1
    .uses_dynamic_stack: false
    .vgpr_count:     0
    .vgpr_spill_count: 0
    .wavefront_size: 32
    .workgroup_processor_mode: 1
  - .args:
      - .offset:         0
        .size:           120
        .value_kind:     by_value
    .group_segment_fixed_size: 0
    .kernarg_segment_align: 8
    .kernarg_segment_size: 120
    .language:       OpenCL C
    .language_version:
      - 2
      - 0
    .max_flat_workgroup_size: 512
    .name:           _ZN7rocprim17ROCPRIM_400000_NS6detail17trampoline_kernelINS0_14default_configENS1_25partition_config_selectorILNS1_17partition_subalgoE5EtNS0_10empty_typeEbEEZZNS1_14partition_implILS5_5ELb0ES3_mN6thrust23THRUST_200600_302600_NS6detail15normal_iteratorINSA_10device_ptrItEEEEPS6_NSA_18transform_iteratorINSB_9not_fun_tINSA_8identityItEEEESF_NSA_11use_defaultESM_EENS0_5tupleIJSF_S6_EEENSO_IJSG_SG_EEES6_PlJS6_EEE10hipError_tPvRmT3_T4_T5_T6_T7_T9_mT8_P12ihipStream_tbDpT10_ENKUlT_T0_E_clISt17integral_constantIbLb1EES1A_IbLb0EEEEDaS16_S17_EUlS16_E_NS1_11comp_targetILNS1_3genE5ELNS1_11target_archE942ELNS1_3gpuE9ELNS1_3repE0EEENS1_30default_config_static_selectorELNS0_4arch9wavefront6targetE0EEEvT1_
    .private_segment_fixed_size: 0
    .sgpr_count:     0
    .sgpr_spill_count: 0
    .symbol:         _ZN7rocprim17ROCPRIM_400000_NS6detail17trampoline_kernelINS0_14default_configENS1_25partition_config_selectorILNS1_17partition_subalgoE5EtNS0_10empty_typeEbEEZZNS1_14partition_implILS5_5ELb0ES3_mN6thrust23THRUST_200600_302600_NS6detail15normal_iteratorINSA_10device_ptrItEEEEPS6_NSA_18transform_iteratorINSB_9not_fun_tINSA_8identityItEEEESF_NSA_11use_defaultESM_EENS0_5tupleIJSF_S6_EEENSO_IJSG_SG_EEES6_PlJS6_EEE10hipError_tPvRmT3_T4_T5_T6_T7_T9_mT8_P12ihipStream_tbDpT10_ENKUlT_T0_E_clISt17integral_constantIbLb1EES1A_IbLb0EEEEDaS16_S17_EUlS16_E_NS1_11comp_targetILNS1_3genE5ELNS1_11target_archE942ELNS1_3gpuE9ELNS1_3repE0EEENS1_30default_config_static_selectorELNS0_4arch9wavefront6targetE0EEEvT1_.kd
    .uniform_work_group_size: 1
    .uses_dynamic_stack: false
    .vgpr_count:     0
    .vgpr_spill_count: 0
    .wavefront_size: 32
    .workgroup_processor_mode: 1
  - .args:
      - .offset:         0
        .size:           120
        .value_kind:     by_value
    .group_segment_fixed_size: 0
    .kernarg_segment_align: 8
    .kernarg_segment_size: 120
    .language:       OpenCL C
    .language_version:
      - 2
      - 0
    .max_flat_workgroup_size: 256
    .name:           _ZN7rocprim17ROCPRIM_400000_NS6detail17trampoline_kernelINS0_14default_configENS1_25partition_config_selectorILNS1_17partition_subalgoE5EtNS0_10empty_typeEbEEZZNS1_14partition_implILS5_5ELb0ES3_mN6thrust23THRUST_200600_302600_NS6detail15normal_iteratorINSA_10device_ptrItEEEEPS6_NSA_18transform_iteratorINSB_9not_fun_tINSA_8identityItEEEESF_NSA_11use_defaultESM_EENS0_5tupleIJSF_S6_EEENSO_IJSG_SG_EEES6_PlJS6_EEE10hipError_tPvRmT3_T4_T5_T6_T7_T9_mT8_P12ihipStream_tbDpT10_ENKUlT_T0_E_clISt17integral_constantIbLb1EES1A_IbLb0EEEEDaS16_S17_EUlS16_E_NS1_11comp_targetILNS1_3genE4ELNS1_11target_archE910ELNS1_3gpuE8ELNS1_3repE0EEENS1_30default_config_static_selectorELNS0_4arch9wavefront6targetE0EEEvT1_
    .private_segment_fixed_size: 0
    .sgpr_count:     0
    .sgpr_spill_count: 0
    .symbol:         _ZN7rocprim17ROCPRIM_400000_NS6detail17trampoline_kernelINS0_14default_configENS1_25partition_config_selectorILNS1_17partition_subalgoE5EtNS0_10empty_typeEbEEZZNS1_14partition_implILS5_5ELb0ES3_mN6thrust23THRUST_200600_302600_NS6detail15normal_iteratorINSA_10device_ptrItEEEEPS6_NSA_18transform_iteratorINSB_9not_fun_tINSA_8identityItEEEESF_NSA_11use_defaultESM_EENS0_5tupleIJSF_S6_EEENSO_IJSG_SG_EEES6_PlJS6_EEE10hipError_tPvRmT3_T4_T5_T6_T7_T9_mT8_P12ihipStream_tbDpT10_ENKUlT_T0_E_clISt17integral_constantIbLb1EES1A_IbLb0EEEEDaS16_S17_EUlS16_E_NS1_11comp_targetILNS1_3genE4ELNS1_11target_archE910ELNS1_3gpuE8ELNS1_3repE0EEENS1_30default_config_static_selectorELNS0_4arch9wavefront6targetE0EEEvT1_.kd
    .uniform_work_group_size: 1
    .uses_dynamic_stack: false
    .vgpr_count:     0
    .vgpr_spill_count: 0
    .wavefront_size: 32
    .workgroup_processor_mode: 1
  - .args:
      - .offset:         0
        .size:           120
        .value_kind:     by_value
    .group_segment_fixed_size: 0
    .kernarg_segment_align: 8
    .kernarg_segment_size: 120
    .language:       OpenCL C
    .language_version:
      - 2
      - 0
    .max_flat_workgroup_size: 256
    .name:           _ZN7rocprim17ROCPRIM_400000_NS6detail17trampoline_kernelINS0_14default_configENS1_25partition_config_selectorILNS1_17partition_subalgoE5EtNS0_10empty_typeEbEEZZNS1_14partition_implILS5_5ELb0ES3_mN6thrust23THRUST_200600_302600_NS6detail15normal_iteratorINSA_10device_ptrItEEEEPS6_NSA_18transform_iteratorINSB_9not_fun_tINSA_8identityItEEEESF_NSA_11use_defaultESM_EENS0_5tupleIJSF_S6_EEENSO_IJSG_SG_EEES6_PlJS6_EEE10hipError_tPvRmT3_T4_T5_T6_T7_T9_mT8_P12ihipStream_tbDpT10_ENKUlT_T0_E_clISt17integral_constantIbLb1EES1A_IbLb0EEEEDaS16_S17_EUlS16_E_NS1_11comp_targetILNS1_3genE3ELNS1_11target_archE908ELNS1_3gpuE7ELNS1_3repE0EEENS1_30default_config_static_selectorELNS0_4arch9wavefront6targetE0EEEvT1_
    .private_segment_fixed_size: 0
    .sgpr_count:     0
    .sgpr_spill_count: 0
    .symbol:         _ZN7rocprim17ROCPRIM_400000_NS6detail17trampoline_kernelINS0_14default_configENS1_25partition_config_selectorILNS1_17partition_subalgoE5EtNS0_10empty_typeEbEEZZNS1_14partition_implILS5_5ELb0ES3_mN6thrust23THRUST_200600_302600_NS6detail15normal_iteratorINSA_10device_ptrItEEEEPS6_NSA_18transform_iteratorINSB_9not_fun_tINSA_8identityItEEEESF_NSA_11use_defaultESM_EENS0_5tupleIJSF_S6_EEENSO_IJSG_SG_EEES6_PlJS6_EEE10hipError_tPvRmT3_T4_T5_T6_T7_T9_mT8_P12ihipStream_tbDpT10_ENKUlT_T0_E_clISt17integral_constantIbLb1EES1A_IbLb0EEEEDaS16_S17_EUlS16_E_NS1_11comp_targetILNS1_3genE3ELNS1_11target_archE908ELNS1_3gpuE7ELNS1_3repE0EEENS1_30default_config_static_selectorELNS0_4arch9wavefront6targetE0EEEvT1_.kd
    .uniform_work_group_size: 1
    .uses_dynamic_stack: false
    .vgpr_count:     0
    .vgpr_spill_count: 0
    .wavefront_size: 32
    .workgroup_processor_mode: 1
  - .args:
      - .offset:         0
        .size:           120
        .value_kind:     by_value
    .group_segment_fixed_size: 0
    .kernarg_segment_align: 8
    .kernarg_segment_size: 120
    .language:       OpenCL C
    .language_version:
      - 2
      - 0
    .max_flat_workgroup_size: 256
    .name:           _ZN7rocprim17ROCPRIM_400000_NS6detail17trampoline_kernelINS0_14default_configENS1_25partition_config_selectorILNS1_17partition_subalgoE5EtNS0_10empty_typeEbEEZZNS1_14partition_implILS5_5ELb0ES3_mN6thrust23THRUST_200600_302600_NS6detail15normal_iteratorINSA_10device_ptrItEEEEPS6_NSA_18transform_iteratorINSB_9not_fun_tINSA_8identityItEEEESF_NSA_11use_defaultESM_EENS0_5tupleIJSF_S6_EEENSO_IJSG_SG_EEES6_PlJS6_EEE10hipError_tPvRmT3_T4_T5_T6_T7_T9_mT8_P12ihipStream_tbDpT10_ENKUlT_T0_E_clISt17integral_constantIbLb1EES1A_IbLb0EEEEDaS16_S17_EUlS16_E_NS1_11comp_targetILNS1_3genE2ELNS1_11target_archE906ELNS1_3gpuE6ELNS1_3repE0EEENS1_30default_config_static_selectorELNS0_4arch9wavefront6targetE0EEEvT1_
    .private_segment_fixed_size: 0
    .sgpr_count:     0
    .sgpr_spill_count: 0
    .symbol:         _ZN7rocprim17ROCPRIM_400000_NS6detail17trampoline_kernelINS0_14default_configENS1_25partition_config_selectorILNS1_17partition_subalgoE5EtNS0_10empty_typeEbEEZZNS1_14partition_implILS5_5ELb0ES3_mN6thrust23THRUST_200600_302600_NS6detail15normal_iteratorINSA_10device_ptrItEEEEPS6_NSA_18transform_iteratorINSB_9not_fun_tINSA_8identityItEEEESF_NSA_11use_defaultESM_EENS0_5tupleIJSF_S6_EEENSO_IJSG_SG_EEES6_PlJS6_EEE10hipError_tPvRmT3_T4_T5_T6_T7_T9_mT8_P12ihipStream_tbDpT10_ENKUlT_T0_E_clISt17integral_constantIbLb1EES1A_IbLb0EEEEDaS16_S17_EUlS16_E_NS1_11comp_targetILNS1_3genE2ELNS1_11target_archE906ELNS1_3gpuE6ELNS1_3repE0EEENS1_30default_config_static_selectorELNS0_4arch9wavefront6targetE0EEEvT1_.kd
    .uniform_work_group_size: 1
    .uses_dynamic_stack: false
    .vgpr_count:     0
    .vgpr_spill_count: 0
    .wavefront_size: 32
    .workgroup_processor_mode: 1
  - .args:
      - .offset:         0
        .size:           120
        .value_kind:     by_value
    .group_segment_fixed_size: 0
    .kernarg_segment_align: 8
    .kernarg_segment_size: 120
    .language:       OpenCL C
    .language_version:
      - 2
      - 0
    .max_flat_workgroup_size: 256
    .name:           _ZN7rocprim17ROCPRIM_400000_NS6detail17trampoline_kernelINS0_14default_configENS1_25partition_config_selectorILNS1_17partition_subalgoE5EtNS0_10empty_typeEbEEZZNS1_14partition_implILS5_5ELb0ES3_mN6thrust23THRUST_200600_302600_NS6detail15normal_iteratorINSA_10device_ptrItEEEEPS6_NSA_18transform_iteratorINSB_9not_fun_tINSA_8identityItEEEESF_NSA_11use_defaultESM_EENS0_5tupleIJSF_S6_EEENSO_IJSG_SG_EEES6_PlJS6_EEE10hipError_tPvRmT3_T4_T5_T6_T7_T9_mT8_P12ihipStream_tbDpT10_ENKUlT_T0_E_clISt17integral_constantIbLb1EES1A_IbLb0EEEEDaS16_S17_EUlS16_E_NS1_11comp_targetILNS1_3genE10ELNS1_11target_archE1200ELNS1_3gpuE4ELNS1_3repE0EEENS1_30default_config_static_selectorELNS0_4arch9wavefront6targetE0EEEvT1_
    .private_segment_fixed_size: 0
    .sgpr_count:     0
    .sgpr_spill_count: 0
    .symbol:         _ZN7rocprim17ROCPRIM_400000_NS6detail17trampoline_kernelINS0_14default_configENS1_25partition_config_selectorILNS1_17partition_subalgoE5EtNS0_10empty_typeEbEEZZNS1_14partition_implILS5_5ELb0ES3_mN6thrust23THRUST_200600_302600_NS6detail15normal_iteratorINSA_10device_ptrItEEEEPS6_NSA_18transform_iteratorINSB_9not_fun_tINSA_8identityItEEEESF_NSA_11use_defaultESM_EENS0_5tupleIJSF_S6_EEENSO_IJSG_SG_EEES6_PlJS6_EEE10hipError_tPvRmT3_T4_T5_T6_T7_T9_mT8_P12ihipStream_tbDpT10_ENKUlT_T0_E_clISt17integral_constantIbLb1EES1A_IbLb0EEEEDaS16_S17_EUlS16_E_NS1_11comp_targetILNS1_3genE10ELNS1_11target_archE1200ELNS1_3gpuE4ELNS1_3repE0EEENS1_30default_config_static_selectorELNS0_4arch9wavefront6targetE0EEEvT1_.kd
    .uniform_work_group_size: 1
    .uses_dynamic_stack: false
    .vgpr_count:     0
    .vgpr_spill_count: 0
    .wavefront_size: 32
    .workgroup_processor_mode: 1
  - .args:
      - .offset:         0
        .size:           120
        .value_kind:     by_value
    .group_segment_fixed_size: 0
    .kernarg_segment_align: 8
    .kernarg_segment_size: 120
    .language:       OpenCL C
    .language_version:
      - 2
      - 0
    .max_flat_workgroup_size: 128
    .name:           _ZN7rocprim17ROCPRIM_400000_NS6detail17trampoline_kernelINS0_14default_configENS1_25partition_config_selectorILNS1_17partition_subalgoE5EtNS0_10empty_typeEbEEZZNS1_14partition_implILS5_5ELb0ES3_mN6thrust23THRUST_200600_302600_NS6detail15normal_iteratorINSA_10device_ptrItEEEEPS6_NSA_18transform_iteratorINSB_9not_fun_tINSA_8identityItEEEESF_NSA_11use_defaultESM_EENS0_5tupleIJSF_S6_EEENSO_IJSG_SG_EEES6_PlJS6_EEE10hipError_tPvRmT3_T4_T5_T6_T7_T9_mT8_P12ihipStream_tbDpT10_ENKUlT_T0_E_clISt17integral_constantIbLb1EES1A_IbLb0EEEEDaS16_S17_EUlS16_E_NS1_11comp_targetILNS1_3genE9ELNS1_11target_archE1100ELNS1_3gpuE3ELNS1_3repE0EEENS1_30default_config_static_selectorELNS0_4arch9wavefront6targetE0EEEvT1_
    .private_segment_fixed_size: 0
    .sgpr_count:     0
    .sgpr_spill_count: 0
    .symbol:         _ZN7rocprim17ROCPRIM_400000_NS6detail17trampoline_kernelINS0_14default_configENS1_25partition_config_selectorILNS1_17partition_subalgoE5EtNS0_10empty_typeEbEEZZNS1_14partition_implILS5_5ELb0ES3_mN6thrust23THRUST_200600_302600_NS6detail15normal_iteratorINSA_10device_ptrItEEEEPS6_NSA_18transform_iteratorINSB_9not_fun_tINSA_8identityItEEEESF_NSA_11use_defaultESM_EENS0_5tupleIJSF_S6_EEENSO_IJSG_SG_EEES6_PlJS6_EEE10hipError_tPvRmT3_T4_T5_T6_T7_T9_mT8_P12ihipStream_tbDpT10_ENKUlT_T0_E_clISt17integral_constantIbLb1EES1A_IbLb0EEEEDaS16_S17_EUlS16_E_NS1_11comp_targetILNS1_3genE9ELNS1_11target_archE1100ELNS1_3gpuE3ELNS1_3repE0EEENS1_30default_config_static_selectorELNS0_4arch9wavefront6targetE0EEEvT1_.kd
    .uniform_work_group_size: 1
    .uses_dynamic_stack: false
    .vgpr_count:     0
    .vgpr_spill_count: 0
    .wavefront_size: 32
    .workgroup_processor_mode: 1
  - .args:
      - .offset:         0
        .size:           120
        .value_kind:     by_value
    .group_segment_fixed_size: 0
    .kernarg_segment_align: 8
    .kernarg_segment_size: 120
    .language:       OpenCL C
    .language_version:
      - 2
      - 0
    .max_flat_workgroup_size: 256
    .name:           _ZN7rocprim17ROCPRIM_400000_NS6detail17trampoline_kernelINS0_14default_configENS1_25partition_config_selectorILNS1_17partition_subalgoE5EtNS0_10empty_typeEbEEZZNS1_14partition_implILS5_5ELb0ES3_mN6thrust23THRUST_200600_302600_NS6detail15normal_iteratorINSA_10device_ptrItEEEEPS6_NSA_18transform_iteratorINSB_9not_fun_tINSA_8identityItEEEESF_NSA_11use_defaultESM_EENS0_5tupleIJSF_S6_EEENSO_IJSG_SG_EEES6_PlJS6_EEE10hipError_tPvRmT3_T4_T5_T6_T7_T9_mT8_P12ihipStream_tbDpT10_ENKUlT_T0_E_clISt17integral_constantIbLb1EES1A_IbLb0EEEEDaS16_S17_EUlS16_E_NS1_11comp_targetILNS1_3genE8ELNS1_11target_archE1030ELNS1_3gpuE2ELNS1_3repE0EEENS1_30default_config_static_selectorELNS0_4arch9wavefront6targetE0EEEvT1_
    .private_segment_fixed_size: 0
    .sgpr_count:     0
    .sgpr_spill_count: 0
    .symbol:         _ZN7rocprim17ROCPRIM_400000_NS6detail17trampoline_kernelINS0_14default_configENS1_25partition_config_selectorILNS1_17partition_subalgoE5EtNS0_10empty_typeEbEEZZNS1_14partition_implILS5_5ELb0ES3_mN6thrust23THRUST_200600_302600_NS6detail15normal_iteratorINSA_10device_ptrItEEEEPS6_NSA_18transform_iteratorINSB_9not_fun_tINSA_8identityItEEEESF_NSA_11use_defaultESM_EENS0_5tupleIJSF_S6_EEENSO_IJSG_SG_EEES6_PlJS6_EEE10hipError_tPvRmT3_T4_T5_T6_T7_T9_mT8_P12ihipStream_tbDpT10_ENKUlT_T0_E_clISt17integral_constantIbLb1EES1A_IbLb0EEEEDaS16_S17_EUlS16_E_NS1_11comp_targetILNS1_3genE8ELNS1_11target_archE1030ELNS1_3gpuE2ELNS1_3repE0EEENS1_30default_config_static_selectorELNS0_4arch9wavefront6targetE0EEEvT1_.kd
    .uniform_work_group_size: 1
    .uses_dynamic_stack: false
    .vgpr_count:     0
    .vgpr_spill_count: 0
    .wavefront_size: 32
    .workgroup_processor_mode: 1
  - .args:
      - .offset:         0
        .size:           136
        .value_kind:     by_value
    .group_segment_fixed_size: 0
    .kernarg_segment_align: 8
    .kernarg_segment_size: 136
    .language:       OpenCL C
    .language_version:
      - 2
      - 0
    .max_flat_workgroup_size: 256
    .name:           _ZN7rocprim17ROCPRIM_400000_NS6detail17trampoline_kernelINS0_14default_configENS1_25partition_config_selectorILNS1_17partition_subalgoE5EtNS0_10empty_typeEbEEZZNS1_14partition_implILS5_5ELb0ES3_mN6thrust23THRUST_200600_302600_NS6detail15normal_iteratorINSA_10device_ptrItEEEEPS6_NSA_18transform_iteratorINSB_9not_fun_tINSA_8identityItEEEESF_NSA_11use_defaultESM_EENS0_5tupleIJSF_S6_EEENSO_IJSG_SG_EEES6_PlJS6_EEE10hipError_tPvRmT3_T4_T5_T6_T7_T9_mT8_P12ihipStream_tbDpT10_ENKUlT_T0_E_clISt17integral_constantIbLb0EES1A_IbLb1EEEEDaS16_S17_EUlS16_E_NS1_11comp_targetILNS1_3genE0ELNS1_11target_archE4294967295ELNS1_3gpuE0ELNS1_3repE0EEENS1_30default_config_static_selectorELNS0_4arch9wavefront6targetE0EEEvT1_
    .private_segment_fixed_size: 0
    .sgpr_count:     0
    .sgpr_spill_count: 0
    .symbol:         _ZN7rocprim17ROCPRIM_400000_NS6detail17trampoline_kernelINS0_14default_configENS1_25partition_config_selectorILNS1_17partition_subalgoE5EtNS0_10empty_typeEbEEZZNS1_14partition_implILS5_5ELb0ES3_mN6thrust23THRUST_200600_302600_NS6detail15normal_iteratorINSA_10device_ptrItEEEEPS6_NSA_18transform_iteratorINSB_9not_fun_tINSA_8identityItEEEESF_NSA_11use_defaultESM_EENS0_5tupleIJSF_S6_EEENSO_IJSG_SG_EEES6_PlJS6_EEE10hipError_tPvRmT3_T4_T5_T6_T7_T9_mT8_P12ihipStream_tbDpT10_ENKUlT_T0_E_clISt17integral_constantIbLb0EES1A_IbLb1EEEEDaS16_S17_EUlS16_E_NS1_11comp_targetILNS1_3genE0ELNS1_11target_archE4294967295ELNS1_3gpuE0ELNS1_3repE0EEENS1_30default_config_static_selectorELNS0_4arch9wavefront6targetE0EEEvT1_.kd
    .uniform_work_group_size: 1
    .uses_dynamic_stack: false
    .vgpr_count:     0
    .vgpr_spill_count: 0
    .wavefront_size: 32
    .workgroup_processor_mode: 1
  - .args:
      - .offset:         0
        .size:           136
        .value_kind:     by_value
    .group_segment_fixed_size: 0
    .kernarg_segment_align: 8
    .kernarg_segment_size: 136
    .language:       OpenCL C
    .language_version:
      - 2
      - 0
    .max_flat_workgroup_size: 512
    .name:           _ZN7rocprim17ROCPRIM_400000_NS6detail17trampoline_kernelINS0_14default_configENS1_25partition_config_selectorILNS1_17partition_subalgoE5EtNS0_10empty_typeEbEEZZNS1_14partition_implILS5_5ELb0ES3_mN6thrust23THRUST_200600_302600_NS6detail15normal_iteratorINSA_10device_ptrItEEEEPS6_NSA_18transform_iteratorINSB_9not_fun_tINSA_8identityItEEEESF_NSA_11use_defaultESM_EENS0_5tupleIJSF_S6_EEENSO_IJSG_SG_EEES6_PlJS6_EEE10hipError_tPvRmT3_T4_T5_T6_T7_T9_mT8_P12ihipStream_tbDpT10_ENKUlT_T0_E_clISt17integral_constantIbLb0EES1A_IbLb1EEEEDaS16_S17_EUlS16_E_NS1_11comp_targetILNS1_3genE5ELNS1_11target_archE942ELNS1_3gpuE9ELNS1_3repE0EEENS1_30default_config_static_selectorELNS0_4arch9wavefront6targetE0EEEvT1_
    .private_segment_fixed_size: 0
    .sgpr_count:     0
    .sgpr_spill_count: 0
    .symbol:         _ZN7rocprim17ROCPRIM_400000_NS6detail17trampoline_kernelINS0_14default_configENS1_25partition_config_selectorILNS1_17partition_subalgoE5EtNS0_10empty_typeEbEEZZNS1_14partition_implILS5_5ELb0ES3_mN6thrust23THRUST_200600_302600_NS6detail15normal_iteratorINSA_10device_ptrItEEEEPS6_NSA_18transform_iteratorINSB_9not_fun_tINSA_8identityItEEEESF_NSA_11use_defaultESM_EENS0_5tupleIJSF_S6_EEENSO_IJSG_SG_EEES6_PlJS6_EEE10hipError_tPvRmT3_T4_T5_T6_T7_T9_mT8_P12ihipStream_tbDpT10_ENKUlT_T0_E_clISt17integral_constantIbLb0EES1A_IbLb1EEEEDaS16_S17_EUlS16_E_NS1_11comp_targetILNS1_3genE5ELNS1_11target_archE942ELNS1_3gpuE9ELNS1_3repE0EEENS1_30default_config_static_selectorELNS0_4arch9wavefront6targetE0EEEvT1_.kd
    .uniform_work_group_size: 1
    .uses_dynamic_stack: false
    .vgpr_count:     0
    .vgpr_spill_count: 0
    .wavefront_size: 32
    .workgroup_processor_mode: 1
  - .args:
      - .offset:         0
        .size:           136
        .value_kind:     by_value
    .group_segment_fixed_size: 0
    .kernarg_segment_align: 8
    .kernarg_segment_size: 136
    .language:       OpenCL C
    .language_version:
      - 2
      - 0
    .max_flat_workgroup_size: 256
    .name:           _ZN7rocprim17ROCPRIM_400000_NS6detail17trampoline_kernelINS0_14default_configENS1_25partition_config_selectorILNS1_17partition_subalgoE5EtNS0_10empty_typeEbEEZZNS1_14partition_implILS5_5ELb0ES3_mN6thrust23THRUST_200600_302600_NS6detail15normal_iteratorINSA_10device_ptrItEEEEPS6_NSA_18transform_iteratorINSB_9not_fun_tINSA_8identityItEEEESF_NSA_11use_defaultESM_EENS0_5tupleIJSF_S6_EEENSO_IJSG_SG_EEES6_PlJS6_EEE10hipError_tPvRmT3_T4_T5_T6_T7_T9_mT8_P12ihipStream_tbDpT10_ENKUlT_T0_E_clISt17integral_constantIbLb0EES1A_IbLb1EEEEDaS16_S17_EUlS16_E_NS1_11comp_targetILNS1_3genE4ELNS1_11target_archE910ELNS1_3gpuE8ELNS1_3repE0EEENS1_30default_config_static_selectorELNS0_4arch9wavefront6targetE0EEEvT1_
    .private_segment_fixed_size: 0
    .sgpr_count:     0
    .sgpr_spill_count: 0
    .symbol:         _ZN7rocprim17ROCPRIM_400000_NS6detail17trampoline_kernelINS0_14default_configENS1_25partition_config_selectorILNS1_17partition_subalgoE5EtNS0_10empty_typeEbEEZZNS1_14partition_implILS5_5ELb0ES3_mN6thrust23THRUST_200600_302600_NS6detail15normal_iteratorINSA_10device_ptrItEEEEPS6_NSA_18transform_iteratorINSB_9not_fun_tINSA_8identityItEEEESF_NSA_11use_defaultESM_EENS0_5tupleIJSF_S6_EEENSO_IJSG_SG_EEES6_PlJS6_EEE10hipError_tPvRmT3_T4_T5_T6_T7_T9_mT8_P12ihipStream_tbDpT10_ENKUlT_T0_E_clISt17integral_constantIbLb0EES1A_IbLb1EEEEDaS16_S17_EUlS16_E_NS1_11comp_targetILNS1_3genE4ELNS1_11target_archE910ELNS1_3gpuE8ELNS1_3repE0EEENS1_30default_config_static_selectorELNS0_4arch9wavefront6targetE0EEEvT1_.kd
    .uniform_work_group_size: 1
    .uses_dynamic_stack: false
    .vgpr_count:     0
    .vgpr_spill_count: 0
    .wavefront_size: 32
    .workgroup_processor_mode: 1
  - .args:
      - .offset:         0
        .size:           136
        .value_kind:     by_value
    .group_segment_fixed_size: 0
    .kernarg_segment_align: 8
    .kernarg_segment_size: 136
    .language:       OpenCL C
    .language_version:
      - 2
      - 0
    .max_flat_workgroup_size: 256
    .name:           _ZN7rocprim17ROCPRIM_400000_NS6detail17trampoline_kernelINS0_14default_configENS1_25partition_config_selectorILNS1_17partition_subalgoE5EtNS0_10empty_typeEbEEZZNS1_14partition_implILS5_5ELb0ES3_mN6thrust23THRUST_200600_302600_NS6detail15normal_iteratorINSA_10device_ptrItEEEEPS6_NSA_18transform_iteratorINSB_9not_fun_tINSA_8identityItEEEESF_NSA_11use_defaultESM_EENS0_5tupleIJSF_S6_EEENSO_IJSG_SG_EEES6_PlJS6_EEE10hipError_tPvRmT3_T4_T5_T6_T7_T9_mT8_P12ihipStream_tbDpT10_ENKUlT_T0_E_clISt17integral_constantIbLb0EES1A_IbLb1EEEEDaS16_S17_EUlS16_E_NS1_11comp_targetILNS1_3genE3ELNS1_11target_archE908ELNS1_3gpuE7ELNS1_3repE0EEENS1_30default_config_static_selectorELNS0_4arch9wavefront6targetE0EEEvT1_
    .private_segment_fixed_size: 0
    .sgpr_count:     0
    .sgpr_spill_count: 0
    .symbol:         _ZN7rocprim17ROCPRIM_400000_NS6detail17trampoline_kernelINS0_14default_configENS1_25partition_config_selectorILNS1_17partition_subalgoE5EtNS0_10empty_typeEbEEZZNS1_14partition_implILS5_5ELb0ES3_mN6thrust23THRUST_200600_302600_NS6detail15normal_iteratorINSA_10device_ptrItEEEEPS6_NSA_18transform_iteratorINSB_9not_fun_tINSA_8identityItEEEESF_NSA_11use_defaultESM_EENS0_5tupleIJSF_S6_EEENSO_IJSG_SG_EEES6_PlJS6_EEE10hipError_tPvRmT3_T4_T5_T6_T7_T9_mT8_P12ihipStream_tbDpT10_ENKUlT_T0_E_clISt17integral_constantIbLb0EES1A_IbLb1EEEEDaS16_S17_EUlS16_E_NS1_11comp_targetILNS1_3genE3ELNS1_11target_archE908ELNS1_3gpuE7ELNS1_3repE0EEENS1_30default_config_static_selectorELNS0_4arch9wavefront6targetE0EEEvT1_.kd
    .uniform_work_group_size: 1
    .uses_dynamic_stack: false
    .vgpr_count:     0
    .vgpr_spill_count: 0
    .wavefront_size: 32
    .workgroup_processor_mode: 1
  - .args:
      - .offset:         0
        .size:           136
        .value_kind:     by_value
    .group_segment_fixed_size: 0
    .kernarg_segment_align: 8
    .kernarg_segment_size: 136
    .language:       OpenCL C
    .language_version:
      - 2
      - 0
    .max_flat_workgroup_size: 256
    .name:           _ZN7rocprim17ROCPRIM_400000_NS6detail17trampoline_kernelINS0_14default_configENS1_25partition_config_selectorILNS1_17partition_subalgoE5EtNS0_10empty_typeEbEEZZNS1_14partition_implILS5_5ELb0ES3_mN6thrust23THRUST_200600_302600_NS6detail15normal_iteratorINSA_10device_ptrItEEEEPS6_NSA_18transform_iteratorINSB_9not_fun_tINSA_8identityItEEEESF_NSA_11use_defaultESM_EENS0_5tupleIJSF_S6_EEENSO_IJSG_SG_EEES6_PlJS6_EEE10hipError_tPvRmT3_T4_T5_T6_T7_T9_mT8_P12ihipStream_tbDpT10_ENKUlT_T0_E_clISt17integral_constantIbLb0EES1A_IbLb1EEEEDaS16_S17_EUlS16_E_NS1_11comp_targetILNS1_3genE2ELNS1_11target_archE906ELNS1_3gpuE6ELNS1_3repE0EEENS1_30default_config_static_selectorELNS0_4arch9wavefront6targetE0EEEvT1_
    .private_segment_fixed_size: 0
    .sgpr_count:     0
    .sgpr_spill_count: 0
    .symbol:         _ZN7rocprim17ROCPRIM_400000_NS6detail17trampoline_kernelINS0_14default_configENS1_25partition_config_selectorILNS1_17partition_subalgoE5EtNS0_10empty_typeEbEEZZNS1_14partition_implILS5_5ELb0ES3_mN6thrust23THRUST_200600_302600_NS6detail15normal_iteratorINSA_10device_ptrItEEEEPS6_NSA_18transform_iteratorINSB_9not_fun_tINSA_8identityItEEEESF_NSA_11use_defaultESM_EENS0_5tupleIJSF_S6_EEENSO_IJSG_SG_EEES6_PlJS6_EEE10hipError_tPvRmT3_T4_T5_T6_T7_T9_mT8_P12ihipStream_tbDpT10_ENKUlT_T0_E_clISt17integral_constantIbLb0EES1A_IbLb1EEEEDaS16_S17_EUlS16_E_NS1_11comp_targetILNS1_3genE2ELNS1_11target_archE906ELNS1_3gpuE6ELNS1_3repE0EEENS1_30default_config_static_selectorELNS0_4arch9wavefront6targetE0EEEvT1_.kd
    .uniform_work_group_size: 1
    .uses_dynamic_stack: false
    .vgpr_count:     0
    .vgpr_spill_count: 0
    .wavefront_size: 32
    .workgroup_processor_mode: 1
  - .args:
      - .offset:         0
        .size:           136
        .value_kind:     by_value
    .group_segment_fixed_size: 6160
    .kernarg_segment_align: 8
    .kernarg_segment_size: 136
    .language:       OpenCL C
    .language_version:
      - 2
      - 0
    .max_flat_workgroup_size: 256
    .name:           _ZN7rocprim17ROCPRIM_400000_NS6detail17trampoline_kernelINS0_14default_configENS1_25partition_config_selectorILNS1_17partition_subalgoE5EtNS0_10empty_typeEbEEZZNS1_14partition_implILS5_5ELb0ES3_mN6thrust23THRUST_200600_302600_NS6detail15normal_iteratorINSA_10device_ptrItEEEEPS6_NSA_18transform_iteratorINSB_9not_fun_tINSA_8identityItEEEESF_NSA_11use_defaultESM_EENS0_5tupleIJSF_S6_EEENSO_IJSG_SG_EEES6_PlJS6_EEE10hipError_tPvRmT3_T4_T5_T6_T7_T9_mT8_P12ihipStream_tbDpT10_ENKUlT_T0_E_clISt17integral_constantIbLb0EES1A_IbLb1EEEEDaS16_S17_EUlS16_E_NS1_11comp_targetILNS1_3genE10ELNS1_11target_archE1200ELNS1_3gpuE4ELNS1_3repE0EEENS1_30default_config_static_selectorELNS0_4arch9wavefront6targetE0EEEvT1_
    .private_segment_fixed_size: 0
    .sgpr_count:     26
    .sgpr_spill_count: 0
    .symbol:         _ZN7rocprim17ROCPRIM_400000_NS6detail17trampoline_kernelINS0_14default_configENS1_25partition_config_selectorILNS1_17partition_subalgoE5EtNS0_10empty_typeEbEEZZNS1_14partition_implILS5_5ELb0ES3_mN6thrust23THRUST_200600_302600_NS6detail15normal_iteratorINSA_10device_ptrItEEEEPS6_NSA_18transform_iteratorINSB_9not_fun_tINSA_8identityItEEEESF_NSA_11use_defaultESM_EENS0_5tupleIJSF_S6_EEENSO_IJSG_SG_EEES6_PlJS6_EEE10hipError_tPvRmT3_T4_T5_T6_T7_T9_mT8_P12ihipStream_tbDpT10_ENKUlT_T0_E_clISt17integral_constantIbLb0EES1A_IbLb1EEEEDaS16_S17_EUlS16_E_NS1_11comp_targetILNS1_3genE10ELNS1_11target_archE1200ELNS1_3gpuE4ELNS1_3repE0EEENS1_30default_config_static_selectorELNS0_4arch9wavefront6targetE0EEEvT1_.kd
    .uniform_work_group_size: 1
    .uses_dynamic_stack: false
    .vgpr_count:     65
    .vgpr_spill_count: 0
    .wavefront_size: 32
    .workgroup_processor_mode: 1
  - .args:
      - .offset:         0
        .size:           136
        .value_kind:     by_value
    .group_segment_fixed_size: 0
    .kernarg_segment_align: 8
    .kernarg_segment_size: 136
    .language:       OpenCL C
    .language_version:
      - 2
      - 0
    .max_flat_workgroup_size: 128
    .name:           _ZN7rocprim17ROCPRIM_400000_NS6detail17trampoline_kernelINS0_14default_configENS1_25partition_config_selectorILNS1_17partition_subalgoE5EtNS0_10empty_typeEbEEZZNS1_14partition_implILS5_5ELb0ES3_mN6thrust23THRUST_200600_302600_NS6detail15normal_iteratorINSA_10device_ptrItEEEEPS6_NSA_18transform_iteratorINSB_9not_fun_tINSA_8identityItEEEESF_NSA_11use_defaultESM_EENS0_5tupleIJSF_S6_EEENSO_IJSG_SG_EEES6_PlJS6_EEE10hipError_tPvRmT3_T4_T5_T6_T7_T9_mT8_P12ihipStream_tbDpT10_ENKUlT_T0_E_clISt17integral_constantIbLb0EES1A_IbLb1EEEEDaS16_S17_EUlS16_E_NS1_11comp_targetILNS1_3genE9ELNS1_11target_archE1100ELNS1_3gpuE3ELNS1_3repE0EEENS1_30default_config_static_selectorELNS0_4arch9wavefront6targetE0EEEvT1_
    .private_segment_fixed_size: 0
    .sgpr_count:     0
    .sgpr_spill_count: 0
    .symbol:         _ZN7rocprim17ROCPRIM_400000_NS6detail17trampoline_kernelINS0_14default_configENS1_25partition_config_selectorILNS1_17partition_subalgoE5EtNS0_10empty_typeEbEEZZNS1_14partition_implILS5_5ELb0ES3_mN6thrust23THRUST_200600_302600_NS6detail15normal_iteratorINSA_10device_ptrItEEEEPS6_NSA_18transform_iteratorINSB_9not_fun_tINSA_8identityItEEEESF_NSA_11use_defaultESM_EENS0_5tupleIJSF_S6_EEENSO_IJSG_SG_EEES6_PlJS6_EEE10hipError_tPvRmT3_T4_T5_T6_T7_T9_mT8_P12ihipStream_tbDpT10_ENKUlT_T0_E_clISt17integral_constantIbLb0EES1A_IbLb1EEEEDaS16_S17_EUlS16_E_NS1_11comp_targetILNS1_3genE9ELNS1_11target_archE1100ELNS1_3gpuE3ELNS1_3repE0EEENS1_30default_config_static_selectorELNS0_4arch9wavefront6targetE0EEEvT1_.kd
    .uniform_work_group_size: 1
    .uses_dynamic_stack: false
    .vgpr_count:     0
    .vgpr_spill_count: 0
    .wavefront_size: 32
    .workgroup_processor_mode: 1
  - .args:
      - .offset:         0
        .size:           136
        .value_kind:     by_value
    .group_segment_fixed_size: 0
    .kernarg_segment_align: 8
    .kernarg_segment_size: 136
    .language:       OpenCL C
    .language_version:
      - 2
      - 0
    .max_flat_workgroup_size: 256
    .name:           _ZN7rocprim17ROCPRIM_400000_NS6detail17trampoline_kernelINS0_14default_configENS1_25partition_config_selectorILNS1_17partition_subalgoE5EtNS0_10empty_typeEbEEZZNS1_14partition_implILS5_5ELb0ES3_mN6thrust23THRUST_200600_302600_NS6detail15normal_iteratorINSA_10device_ptrItEEEEPS6_NSA_18transform_iteratorINSB_9not_fun_tINSA_8identityItEEEESF_NSA_11use_defaultESM_EENS0_5tupleIJSF_S6_EEENSO_IJSG_SG_EEES6_PlJS6_EEE10hipError_tPvRmT3_T4_T5_T6_T7_T9_mT8_P12ihipStream_tbDpT10_ENKUlT_T0_E_clISt17integral_constantIbLb0EES1A_IbLb1EEEEDaS16_S17_EUlS16_E_NS1_11comp_targetILNS1_3genE8ELNS1_11target_archE1030ELNS1_3gpuE2ELNS1_3repE0EEENS1_30default_config_static_selectorELNS0_4arch9wavefront6targetE0EEEvT1_
    .private_segment_fixed_size: 0
    .sgpr_count:     0
    .sgpr_spill_count: 0
    .symbol:         _ZN7rocprim17ROCPRIM_400000_NS6detail17trampoline_kernelINS0_14default_configENS1_25partition_config_selectorILNS1_17partition_subalgoE5EtNS0_10empty_typeEbEEZZNS1_14partition_implILS5_5ELb0ES3_mN6thrust23THRUST_200600_302600_NS6detail15normal_iteratorINSA_10device_ptrItEEEEPS6_NSA_18transform_iteratorINSB_9not_fun_tINSA_8identityItEEEESF_NSA_11use_defaultESM_EENS0_5tupleIJSF_S6_EEENSO_IJSG_SG_EEES6_PlJS6_EEE10hipError_tPvRmT3_T4_T5_T6_T7_T9_mT8_P12ihipStream_tbDpT10_ENKUlT_T0_E_clISt17integral_constantIbLb0EES1A_IbLb1EEEEDaS16_S17_EUlS16_E_NS1_11comp_targetILNS1_3genE8ELNS1_11target_archE1030ELNS1_3gpuE2ELNS1_3repE0EEENS1_30default_config_static_selectorELNS0_4arch9wavefront6targetE0EEEvT1_.kd
    .uniform_work_group_size: 1
    .uses_dynamic_stack: false
    .vgpr_count:     0
    .vgpr_spill_count: 0
    .wavefront_size: 32
    .workgroup_processor_mode: 1
  - .args:
      - .offset:         0
        .size:           120
        .value_kind:     by_value
    .group_segment_fixed_size: 0
    .kernarg_segment_align: 8
    .kernarg_segment_size: 120
    .language:       OpenCL C
    .language_version:
      - 2
      - 0
    .max_flat_workgroup_size: 128
    .name:           _ZN7rocprim17ROCPRIM_400000_NS6detail17trampoline_kernelINS0_14default_configENS1_25partition_config_selectorILNS1_17partition_subalgoE5ExNS0_10empty_typeEbEEZZNS1_14partition_implILS5_5ELb0ES3_mN6thrust23THRUST_200600_302600_NS6detail15normal_iteratorINSA_10device_ptrIxEEEEPS6_NSA_18transform_iteratorINSB_9not_fun_tINSA_8identityIxEEEESF_NSA_11use_defaultESM_EENS0_5tupleIJSF_S6_EEENSO_IJSG_SG_EEES6_PlJS6_EEE10hipError_tPvRmT3_T4_T5_T6_T7_T9_mT8_P12ihipStream_tbDpT10_ENKUlT_T0_E_clISt17integral_constantIbLb0EES1B_EEDaS16_S17_EUlS16_E_NS1_11comp_targetILNS1_3genE0ELNS1_11target_archE4294967295ELNS1_3gpuE0ELNS1_3repE0EEENS1_30default_config_static_selectorELNS0_4arch9wavefront6targetE0EEEvT1_
    .private_segment_fixed_size: 0
    .sgpr_count:     0
    .sgpr_spill_count: 0
    .symbol:         _ZN7rocprim17ROCPRIM_400000_NS6detail17trampoline_kernelINS0_14default_configENS1_25partition_config_selectorILNS1_17partition_subalgoE5ExNS0_10empty_typeEbEEZZNS1_14partition_implILS5_5ELb0ES3_mN6thrust23THRUST_200600_302600_NS6detail15normal_iteratorINSA_10device_ptrIxEEEEPS6_NSA_18transform_iteratorINSB_9not_fun_tINSA_8identityIxEEEESF_NSA_11use_defaultESM_EENS0_5tupleIJSF_S6_EEENSO_IJSG_SG_EEES6_PlJS6_EEE10hipError_tPvRmT3_T4_T5_T6_T7_T9_mT8_P12ihipStream_tbDpT10_ENKUlT_T0_E_clISt17integral_constantIbLb0EES1B_EEDaS16_S17_EUlS16_E_NS1_11comp_targetILNS1_3genE0ELNS1_11target_archE4294967295ELNS1_3gpuE0ELNS1_3repE0EEENS1_30default_config_static_selectorELNS0_4arch9wavefront6targetE0EEEvT1_.kd
    .uniform_work_group_size: 1
    .uses_dynamic_stack: false
    .vgpr_count:     0
    .vgpr_spill_count: 0
    .wavefront_size: 32
    .workgroup_processor_mode: 1
  - .args:
      - .offset:         0
        .size:           120
        .value_kind:     by_value
    .group_segment_fixed_size: 0
    .kernarg_segment_align: 8
    .kernarg_segment_size: 120
    .language:       OpenCL C
    .language_version:
      - 2
      - 0
    .max_flat_workgroup_size: 512
    .name:           _ZN7rocprim17ROCPRIM_400000_NS6detail17trampoline_kernelINS0_14default_configENS1_25partition_config_selectorILNS1_17partition_subalgoE5ExNS0_10empty_typeEbEEZZNS1_14partition_implILS5_5ELb0ES3_mN6thrust23THRUST_200600_302600_NS6detail15normal_iteratorINSA_10device_ptrIxEEEEPS6_NSA_18transform_iteratorINSB_9not_fun_tINSA_8identityIxEEEESF_NSA_11use_defaultESM_EENS0_5tupleIJSF_S6_EEENSO_IJSG_SG_EEES6_PlJS6_EEE10hipError_tPvRmT3_T4_T5_T6_T7_T9_mT8_P12ihipStream_tbDpT10_ENKUlT_T0_E_clISt17integral_constantIbLb0EES1B_EEDaS16_S17_EUlS16_E_NS1_11comp_targetILNS1_3genE5ELNS1_11target_archE942ELNS1_3gpuE9ELNS1_3repE0EEENS1_30default_config_static_selectorELNS0_4arch9wavefront6targetE0EEEvT1_
    .private_segment_fixed_size: 0
    .sgpr_count:     0
    .sgpr_spill_count: 0
    .symbol:         _ZN7rocprim17ROCPRIM_400000_NS6detail17trampoline_kernelINS0_14default_configENS1_25partition_config_selectorILNS1_17partition_subalgoE5ExNS0_10empty_typeEbEEZZNS1_14partition_implILS5_5ELb0ES3_mN6thrust23THRUST_200600_302600_NS6detail15normal_iteratorINSA_10device_ptrIxEEEEPS6_NSA_18transform_iteratorINSB_9not_fun_tINSA_8identityIxEEEESF_NSA_11use_defaultESM_EENS0_5tupleIJSF_S6_EEENSO_IJSG_SG_EEES6_PlJS6_EEE10hipError_tPvRmT3_T4_T5_T6_T7_T9_mT8_P12ihipStream_tbDpT10_ENKUlT_T0_E_clISt17integral_constantIbLb0EES1B_EEDaS16_S17_EUlS16_E_NS1_11comp_targetILNS1_3genE5ELNS1_11target_archE942ELNS1_3gpuE9ELNS1_3repE0EEENS1_30default_config_static_selectorELNS0_4arch9wavefront6targetE0EEEvT1_.kd
    .uniform_work_group_size: 1
    .uses_dynamic_stack: false
    .vgpr_count:     0
    .vgpr_spill_count: 0
    .wavefront_size: 32
    .workgroup_processor_mode: 1
  - .args:
      - .offset:         0
        .size:           120
        .value_kind:     by_value
    .group_segment_fixed_size: 0
    .kernarg_segment_align: 8
    .kernarg_segment_size: 120
    .language:       OpenCL C
    .language_version:
      - 2
      - 0
    .max_flat_workgroup_size: 192
    .name:           _ZN7rocprim17ROCPRIM_400000_NS6detail17trampoline_kernelINS0_14default_configENS1_25partition_config_selectorILNS1_17partition_subalgoE5ExNS0_10empty_typeEbEEZZNS1_14partition_implILS5_5ELb0ES3_mN6thrust23THRUST_200600_302600_NS6detail15normal_iteratorINSA_10device_ptrIxEEEEPS6_NSA_18transform_iteratorINSB_9not_fun_tINSA_8identityIxEEEESF_NSA_11use_defaultESM_EENS0_5tupleIJSF_S6_EEENSO_IJSG_SG_EEES6_PlJS6_EEE10hipError_tPvRmT3_T4_T5_T6_T7_T9_mT8_P12ihipStream_tbDpT10_ENKUlT_T0_E_clISt17integral_constantIbLb0EES1B_EEDaS16_S17_EUlS16_E_NS1_11comp_targetILNS1_3genE4ELNS1_11target_archE910ELNS1_3gpuE8ELNS1_3repE0EEENS1_30default_config_static_selectorELNS0_4arch9wavefront6targetE0EEEvT1_
    .private_segment_fixed_size: 0
    .sgpr_count:     0
    .sgpr_spill_count: 0
    .symbol:         _ZN7rocprim17ROCPRIM_400000_NS6detail17trampoline_kernelINS0_14default_configENS1_25partition_config_selectorILNS1_17partition_subalgoE5ExNS0_10empty_typeEbEEZZNS1_14partition_implILS5_5ELb0ES3_mN6thrust23THRUST_200600_302600_NS6detail15normal_iteratorINSA_10device_ptrIxEEEEPS6_NSA_18transform_iteratorINSB_9not_fun_tINSA_8identityIxEEEESF_NSA_11use_defaultESM_EENS0_5tupleIJSF_S6_EEENSO_IJSG_SG_EEES6_PlJS6_EEE10hipError_tPvRmT3_T4_T5_T6_T7_T9_mT8_P12ihipStream_tbDpT10_ENKUlT_T0_E_clISt17integral_constantIbLb0EES1B_EEDaS16_S17_EUlS16_E_NS1_11comp_targetILNS1_3genE4ELNS1_11target_archE910ELNS1_3gpuE8ELNS1_3repE0EEENS1_30default_config_static_selectorELNS0_4arch9wavefront6targetE0EEEvT1_.kd
    .uniform_work_group_size: 1
    .uses_dynamic_stack: false
    .vgpr_count:     0
    .vgpr_spill_count: 0
    .wavefront_size: 32
    .workgroup_processor_mode: 1
  - .args:
      - .offset:         0
        .size:           120
        .value_kind:     by_value
    .group_segment_fixed_size: 0
    .kernarg_segment_align: 8
    .kernarg_segment_size: 120
    .language:       OpenCL C
    .language_version:
      - 2
      - 0
    .max_flat_workgroup_size: 128
    .name:           _ZN7rocprim17ROCPRIM_400000_NS6detail17trampoline_kernelINS0_14default_configENS1_25partition_config_selectorILNS1_17partition_subalgoE5ExNS0_10empty_typeEbEEZZNS1_14partition_implILS5_5ELb0ES3_mN6thrust23THRUST_200600_302600_NS6detail15normal_iteratorINSA_10device_ptrIxEEEEPS6_NSA_18transform_iteratorINSB_9not_fun_tINSA_8identityIxEEEESF_NSA_11use_defaultESM_EENS0_5tupleIJSF_S6_EEENSO_IJSG_SG_EEES6_PlJS6_EEE10hipError_tPvRmT3_T4_T5_T6_T7_T9_mT8_P12ihipStream_tbDpT10_ENKUlT_T0_E_clISt17integral_constantIbLb0EES1B_EEDaS16_S17_EUlS16_E_NS1_11comp_targetILNS1_3genE3ELNS1_11target_archE908ELNS1_3gpuE7ELNS1_3repE0EEENS1_30default_config_static_selectorELNS0_4arch9wavefront6targetE0EEEvT1_
    .private_segment_fixed_size: 0
    .sgpr_count:     0
    .sgpr_spill_count: 0
    .symbol:         _ZN7rocprim17ROCPRIM_400000_NS6detail17trampoline_kernelINS0_14default_configENS1_25partition_config_selectorILNS1_17partition_subalgoE5ExNS0_10empty_typeEbEEZZNS1_14partition_implILS5_5ELb0ES3_mN6thrust23THRUST_200600_302600_NS6detail15normal_iteratorINSA_10device_ptrIxEEEEPS6_NSA_18transform_iteratorINSB_9not_fun_tINSA_8identityIxEEEESF_NSA_11use_defaultESM_EENS0_5tupleIJSF_S6_EEENSO_IJSG_SG_EEES6_PlJS6_EEE10hipError_tPvRmT3_T4_T5_T6_T7_T9_mT8_P12ihipStream_tbDpT10_ENKUlT_T0_E_clISt17integral_constantIbLb0EES1B_EEDaS16_S17_EUlS16_E_NS1_11comp_targetILNS1_3genE3ELNS1_11target_archE908ELNS1_3gpuE7ELNS1_3repE0EEENS1_30default_config_static_selectorELNS0_4arch9wavefront6targetE0EEEvT1_.kd
    .uniform_work_group_size: 1
    .uses_dynamic_stack: false
    .vgpr_count:     0
    .vgpr_spill_count: 0
    .wavefront_size: 32
    .workgroup_processor_mode: 1
  - .args:
      - .offset:         0
        .size:           120
        .value_kind:     by_value
    .group_segment_fixed_size: 0
    .kernarg_segment_align: 8
    .kernarg_segment_size: 120
    .language:       OpenCL C
    .language_version:
      - 2
      - 0
    .max_flat_workgroup_size: 256
    .name:           _ZN7rocprim17ROCPRIM_400000_NS6detail17trampoline_kernelINS0_14default_configENS1_25partition_config_selectorILNS1_17partition_subalgoE5ExNS0_10empty_typeEbEEZZNS1_14partition_implILS5_5ELb0ES3_mN6thrust23THRUST_200600_302600_NS6detail15normal_iteratorINSA_10device_ptrIxEEEEPS6_NSA_18transform_iteratorINSB_9not_fun_tINSA_8identityIxEEEESF_NSA_11use_defaultESM_EENS0_5tupleIJSF_S6_EEENSO_IJSG_SG_EEES6_PlJS6_EEE10hipError_tPvRmT3_T4_T5_T6_T7_T9_mT8_P12ihipStream_tbDpT10_ENKUlT_T0_E_clISt17integral_constantIbLb0EES1B_EEDaS16_S17_EUlS16_E_NS1_11comp_targetILNS1_3genE2ELNS1_11target_archE906ELNS1_3gpuE6ELNS1_3repE0EEENS1_30default_config_static_selectorELNS0_4arch9wavefront6targetE0EEEvT1_
    .private_segment_fixed_size: 0
    .sgpr_count:     0
    .sgpr_spill_count: 0
    .symbol:         _ZN7rocprim17ROCPRIM_400000_NS6detail17trampoline_kernelINS0_14default_configENS1_25partition_config_selectorILNS1_17partition_subalgoE5ExNS0_10empty_typeEbEEZZNS1_14partition_implILS5_5ELb0ES3_mN6thrust23THRUST_200600_302600_NS6detail15normal_iteratorINSA_10device_ptrIxEEEEPS6_NSA_18transform_iteratorINSB_9not_fun_tINSA_8identityIxEEEESF_NSA_11use_defaultESM_EENS0_5tupleIJSF_S6_EEENSO_IJSG_SG_EEES6_PlJS6_EEE10hipError_tPvRmT3_T4_T5_T6_T7_T9_mT8_P12ihipStream_tbDpT10_ENKUlT_T0_E_clISt17integral_constantIbLb0EES1B_EEDaS16_S17_EUlS16_E_NS1_11comp_targetILNS1_3genE2ELNS1_11target_archE906ELNS1_3gpuE6ELNS1_3repE0EEENS1_30default_config_static_selectorELNS0_4arch9wavefront6targetE0EEEvT1_.kd
    .uniform_work_group_size: 1
    .uses_dynamic_stack: false
    .vgpr_count:     0
    .vgpr_spill_count: 0
    .wavefront_size: 32
    .workgroup_processor_mode: 1
  - .args:
      - .offset:         0
        .size:           120
        .value_kind:     by_value
    .group_segment_fixed_size: 8464
    .kernarg_segment_align: 8
    .kernarg_segment_size: 120
    .language:       OpenCL C
    .language_version:
      - 2
      - 0
    .max_flat_workgroup_size: 256
    .name:           _ZN7rocprim17ROCPRIM_400000_NS6detail17trampoline_kernelINS0_14default_configENS1_25partition_config_selectorILNS1_17partition_subalgoE5ExNS0_10empty_typeEbEEZZNS1_14partition_implILS5_5ELb0ES3_mN6thrust23THRUST_200600_302600_NS6detail15normal_iteratorINSA_10device_ptrIxEEEEPS6_NSA_18transform_iteratorINSB_9not_fun_tINSA_8identityIxEEEESF_NSA_11use_defaultESM_EENS0_5tupleIJSF_S6_EEENSO_IJSG_SG_EEES6_PlJS6_EEE10hipError_tPvRmT3_T4_T5_T6_T7_T9_mT8_P12ihipStream_tbDpT10_ENKUlT_T0_E_clISt17integral_constantIbLb0EES1B_EEDaS16_S17_EUlS16_E_NS1_11comp_targetILNS1_3genE10ELNS1_11target_archE1200ELNS1_3gpuE4ELNS1_3repE0EEENS1_30default_config_static_selectorELNS0_4arch9wavefront6targetE0EEEvT1_
    .private_segment_fixed_size: 0
    .sgpr_count:     24
    .sgpr_spill_count: 0
    .symbol:         _ZN7rocprim17ROCPRIM_400000_NS6detail17trampoline_kernelINS0_14default_configENS1_25partition_config_selectorILNS1_17partition_subalgoE5ExNS0_10empty_typeEbEEZZNS1_14partition_implILS5_5ELb0ES3_mN6thrust23THRUST_200600_302600_NS6detail15normal_iteratorINSA_10device_ptrIxEEEEPS6_NSA_18transform_iteratorINSB_9not_fun_tINSA_8identityIxEEEESF_NSA_11use_defaultESM_EENS0_5tupleIJSF_S6_EEENSO_IJSG_SG_EEES6_PlJS6_EEE10hipError_tPvRmT3_T4_T5_T6_T7_T9_mT8_P12ihipStream_tbDpT10_ENKUlT_T0_E_clISt17integral_constantIbLb0EES1B_EEDaS16_S17_EUlS16_E_NS1_11comp_targetILNS1_3genE10ELNS1_11target_archE1200ELNS1_3gpuE4ELNS1_3repE0EEENS1_30default_config_static_selectorELNS0_4arch9wavefront6targetE0EEEvT1_.kd
    .uniform_work_group_size: 1
    .uses_dynamic_stack: false
    .vgpr_count:     46
    .vgpr_spill_count: 0
    .wavefront_size: 32
    .workgroup_processor_mode: 1
  - .args:
      - .offset:         0
        .size:           120
        .value_kind:     by_value
    .group_segment_fixed_size: 0
    .kernarg_segment_align: 8
    .kernarg_segment_size: 120
    .language:       OpenCL C
    .language_version:
      - 2
      - 0
    .max_flat_workgroup_size: 128
    .name:           _ZN7rocprim17ROCPRIM_400000_NS6detail17trampoline_kernelINS0_14default_configENS1_25partition_config_selectorILNS1_17partition_subalgoE5ExNS0_10empty_typeEbEEZZNS1_14partition_implILS5_5ELb0ES3_mN6thrust23THRUST_200600_302600_NS6detail15normal_iteratorINSA_10device_ptrIxEEEEPS6_NSA_18transform_iteratorINSB_9not_fun_tINSA_8identityIxEEEESF_NSA_11use_defaultESM_EENS0_5tupleIJSF_S6_EEENSO_IJSG_SG_EEES6_PlJS6_EEE10hipError_tPvRmT3_T4_T5_T6_T7_T9_mT8_P12ihipStream_tbDpT10_ENKUlT_T0_E_clISt17integral_constantIbLb0EES1B_EEDaS16_S17_EUlS16_E_NS1_11comp_targetILNS1_3genE9ELNS1_11target_archE1100ELNS1_3gpuE3ELNS1_3repE0EEENS1_30default_config_static_selectorELNS0_4arch9wavefront6targetE0EEEvT1_
    .private_segment_fixed_size: 0
    .sgpr_count:     0
    .sgpr_spill_count: 0
    .symbol:         _ZN7rocprim17ROCPRIM_400000_NS6detail17trampoline_kernelINS0_14default_configENS1_25partition_config_selectorILNS1_17partition_subalgoE5ExNS0_10empty_typeEbEEZZNS1_14partition_implILS5_5ELb0ES3_mN6thrust23THRUST_200600_302600_NS6detail15normal_iteratorINSA_10device_ptrIxEEEEPS6_NSA_18transform_iteratorINSB_9not_fun_tINSA_8identityIxEEEESF_NSA_11use_defaultESM_EENS0_5tupleIJSF_S6_EEENSO_IJSG_SG_EEES6_PlJS6_EEE10hipError_tPvRmT3_T4_T5_T6_T7_T9_mT8_P12ihipStream_tbDpT10_ENKUlT_T0_E_clISt17integral_constantIbLb0EES1B_EEDaS16_S17_EUlS16_E_NS1_11comp_targetILNS1_3genE9ELNS1_11target_archE1100ELNS1_3gpuE3ELNS1_3repE0EEENS1_30default_config_static_selectorELNS0_4arch9wavefront6targetE0EEEvT1_.kd
    .uniform_work_group_size: 1
    .uses_dynamic_stack: false
    .vgpr_count:     0
    .vgpr_spill_count: 0
    .wavefront_size: 32
    .workgroup_processor_mode: 1
  - .args:
      - .offset:         0
        .size:           120
        .value_kind:     by_value
    .group_segment_fixed_size: 0
    .kernarg_segment_align: 8
    .kernarg_segment_size: 120
    .language:       OpenCL C
    .language_version:
      - 2
      - 0
    .max_flat_workgroup_size: 512
    .name:           _ZN7rocprim17ROCPRIM_400000_NS6detail17trampoline_kernelINS0_14default_configENS1_25partition_config_selectorILNS1_17partition_subalgoE5ExNS0_10empty_typeEbEEZZNS1_14partition_implILS5_5ELb0ES3_mN6thrust23THRUST_200600_302600_NS6detail15normal_iteratorINSA_10device_ptrIxEEEEPS6_NSA_18transform_iteratorINSB_9not_fun_tINSA_8identityIxEEEESF_NSA_11use_defaultESM_EENS0_5tupleIJSF_S6_EEENSO_IJSG_SG_EEES6_PlJS6_EEE10hipError_tPvRmT3_T4_T5_T6_T7_T9_mT8_P12ihipStream_tbDpT10_ENKUlT_T0_E_clISt17integral_constantIbLb0EES1B_EEDaS16_S17_EUlS16_E_NS1_11comp_targetILNS1_3genE8ELNS1_11target_archE1030ELNS1_3gpuE2ELNS1_3repE0EEENS1_30default_config_static_selectorELNS0_4arch9wavefront6targetE0EEEvT1_
    .private_segment_fixed_size: 0
    .sgpr_count:     0
    .sgpr_spill_count: 0
    .symbol:         _ZN7rocprim17ROCPRIM_400000_NS6detail17trampoline_kernelINS0_14default_configENS1_25partition_config_selectorILNS1_17partition_subalgoE5ExNS0_10empty_typeEbEEZZNS1_14partition_implILS5_5ELb0ES3_mN6thrust23THRUST_200600_302600_NS6detail15normal_iteratorINSA_10device_ptrIxEEEEPS6_NSA_18transform_iteratorINSB_9not_fun_tINSA_8identityIxEEEESF_NSA_11use_defaultESM_EENS0_5tupleIJSF_S6_EEENSO_IJSG_SG_EEES6_PlJS6_EEE10hipError_tPvRmT3_T4_T5_T6_T7_T9_mT8_P12ihipStream_tbDpT10_ENKUlT_T0_E_clISt17integral_constantIbLb0EES1B_EEDaS16_S17_EUlS16_E_NS1_11comp_targetILNS1_3genE8ELNS1_11target_archE1030ELNS1_3gpuE2ELNS1_3repE0EEENS1_30default_config_static_selectorELNS0_4arch9wavefront6targetE0EEEvT1_.kd
    .uniform_work_group_size: 1
    .uses_dynamic_stack: false
    .vgpr_count:     0
    .vgpr_spill_count: 0
    .wavefront_size: 32
    .workgroup_processor_mode: 1
  - .args:
      - .offset:         0
        .size:           136
        .value_kind:     by_value
    .group_segment_fixed_size: 0
    .kernarg_segment_align: 8
    .kernarg_segment_size: 136
    .language:       OpenCL C
    .language_version:
      - 2
      - 0
    .max_flat_workgroup_size: 128
    .name:           _ZN7rocprim17ROCPRIM_400000_NS6detail17trampoline_kernelINS0_14default_configENS1_25partition_config_selectorILNS1_17partition_subalgoE5ExNS0_10empty_typeEbEEZZNS1_14partition_implILS5_5ELb0ES3_mN6thrust23THRUST_200600_302600_NS6detail15normal_iteratorINSA_10device_ptrIxEEEEPS6_NSA_18transform_iteratorINSB_9not_fun_tINSA_8identityIxEEEESF_NSA_11use_defaultESM_EENS0_5tupleIJSF_S6_EEENSO_IJSG_SG_EEES6_PlJS6_EEE10hipError_tPvRmT3_T4_T5_T6_T7_T9_mT8_P12ihipStream_tbDpT10_ENKUlT_T0_E_clISt17integral_constantIbLb1EES1B_EEDaS16_S17_EUlS16_E_NS1_11comp_targetILNS1_3genE0ELNS1_11target_archE4294967295ELNS1_3gpuE0ELNS1_3repE0EEENS1_30default_config_static_selectorELNS0_4arch9wavefront6targetE0EEEvT1_
    .private_segment_fixed_size: 0
    .sgpr_count:     0
    .sgpr_spill_count: 0
    .symbol:         _ZN7rocprim17ROCPRIM_400000_NS6detail17trampoline_kernelINS0_14default_configENS1_25partition_config_selectorILNS1_17partition_subalgoE5ExNS0_10empty_typeEbEEZZNS1_14partition_implILS5_5ELb0ES3_mN6thrust23THRUST_200600_302600_NS6detail15normal_iteratorINSA_10device_ptrIxEEEEPS6_NSA_18transform_iteratorINSB_9not_fun_tINSA_8identityIxEEEESF_NSA_11use_defaultESM_EENS0_5tupleIJSF_S6_EEENSO_IJSG_SG_EEES6_PlJS6_EEE10hipError_tPvRmT3_T4_T5_T6_T7_T9_mT8_P12ihipStream_tbDpT10_ENKUlT_T0_E_clISt17integral_constantIbLb1EES1B_EEDaS16_S17_EUlS16_E_NS1_11comp_targetILNS1_3genE0ELNS1_11target_archE4294967295ELNS1_3gpuE0ELNS1_3repE0EEENS1_30default_config_static_selectorELNS0_4arch9wavefront6targetE0EEEvT1_.kd
    .uniform_work_group_size: 1
    .uses_dynamic_stack: false
    .vgpr_count:     0
    .vgpr_spill_count: 0
    .wavefront_size: 32
    .workgroup_processor_mode: 1
  - .args:
      - .offset:         0
        .size:           136
        .value_kind:     by_value
    .group_segment_fixed_size: 0
    .kernarg_segment_align: 8
    .kernarg_segment_size: 136
    .language:       OpenCL C
    .language_version:
      - 2
      - 0
    .max_flat_workgroup_size: 512
    .name:           _ZN7rocprim17ROCPRIM_400000_NS6detail17trampoline_kernelINS0_14default_configENS1_25partition_config_selectorILNS1_17partition_subalgoE5ExNS0_10empty_typeEbEEZZNS1_14partition_implILS5_5ELb0ES3_mN6thrust23THRUST_200600_302600_NS6detail15normal_iteratorINSA_10device_ptrIxEEEEPS6_NSA_18transform_iteratorINSB_9not_fun_tINSA_8identityIxEEEESF_NSA_11use_defaultESM_EENS0_5tupleIJSF_S6_EEENSO_IJSG_SG_EEES6_PlJS6_EEE10hipError_tPvRmT3_T4_T5_T6_T7_T9_mT8_P12ihipStream_tbDpT10_ENKUlT_T0_E_clISt17integral_constantIbLb1EES1B_EEDaS16_S17_EUlS16_E_NS1_11comp_targetILNS1_3genE5ELNS1_11target_archE942ELNS1_3gpuE9ELNS1_3repE0EEENS1_30default_config_static_selectorELNS0_4arch9wavefront6targetE0EEEvT1_
    .private_segment_fixed_size: 0
    .sgpr_count:     0
    .sgpr_spill_count: 0
    .symbol:         _ZN7rocprim17ROCPRIM_400000_NS6detail17trampoline_kernelINS0_14default_configENS1_25partition_config_selectorILNS1_17partition_subalgoE5ExNS0_10empty_typeEbEEZZNS1_14partition_implILS5_5ELb0ES3_mN6thrust23THRUST_200600_302600_NS6detail15normal_iteratorINSA_10device_ptrIxEEEEPS6_NSA_18transform_iteratorINSB_9not_fun_tINSA_8identityIxEEEESF_NSA_11use_defaultESM_EENS0_5tupleIJSF_S6_EEENSO_IJSG_SG_EEES6_PlJS6_EEE10hipError_tPvRmT3_T4_T5_T6_T7_T9_mT8_P12ihipStream_tbDpT10_ENKUlT_T0_E_clISt17integral_constantIbLb1EES1B_EEDaS16_S17_EUlS16_E_NS1_11comp_targetILNS1_3genE5ELNS1_11target_archE942ELNS1_3gpuE9ELNS1_3repE0EEENS1_30default_config_static_selectorELNS0_4arch9wavefront6targetE0EEEvT1_.kd
    .uniform_work_group_size: 1
    .uses_dynamic_stack: false
    .vgpr_count:     0
    .vgpr_spill_count: 0
    .wavefront_size: 32
    .workgroup_processor_mode: 1
  - .args:
      - .offset:         0
        .size:           136
        .value_kind:     by_value
    .group_segment_fixed_size: 0
    .kernarg_segment_align: 8
    .kernarg_segment_size: 136
    .language:       OpenCL C
    .language_version:
      - 2
      - 0
    .max_flat_workgroup_size: 192
    .name:           _ZN7rocprim17ROCPRIM_400000_NS6detail17trampoline_kernelINS0_14default_configENS1_25partition_config_selectorILNS1_17partition_subalgoE5ExNS0_10empty_typeEbEEZZNS1_14partition_implILS5_5ELb0ES3_mN6thrust23THRUST_200600_302600_NS6detail15normal_iteratorINSA_10device_ptrIxEEEEPS6_NSA_18transform_iteratorINSB_9not_fun_tINSA_8identityIxEEEESF_NSA_11use_defaultESM_EENS0_5tupleIJSF_S6_EEENSO_IJSG_SG_EEES6_PlJS6_EEE10hipError_tPvRmT3_T4_T5_T6_T7_T9_mT8_P12ihipStream_tbDpT10_ENKUlT_T0_E_clISt17integral_constantIbLb1EES1B_EEDaS16_S17_EUlS16_E_NS1_11comp_targetILNS1_3genE4ELNS1_11target_archE910ELNS1_3gpuE8ELNS1_3repE0EEENS1_30default_config_static_selectorELNS0_4arch9wavefront6targetE0EEEvT1_
    .private_segment_fixed_size: 0
    .sgpr_count:     0
    .sgpr_spill_count: 0
    .symbol:         _ZN7rocprim17ROCPRIM_400000_NS6detail17trampoline_kernelINS0_14default_configENS1_25partition_config_selectorILNS1_17partition_subalgoE5ExNS0_10empty_typeEbEEZZNS1_14partition_implILS5_5ELb0ES3_mN6thrust23THRUST_200600_302600_NS6detail15normal_iteratorINSA_10device_ptrIxEEEEPS6_NSA_18transform_iteratorINSB_9not_fun_tINSA_8identityIxEEEESF_NSA_11use_defaultESM_EENS0_5tupleIJSF_S6_EEENSO_IJSG_SG_EEES6_PlJS6_EEE10hipError_tPvRmT3_T4_T5_T6_T7_T9_mT8_P12ihipStream_tbDpT10_ENKUlT_T0_E_clISt17integral_constantIbLb1EES1B_EEDaS16_S17_EUlS16_E_NS1_11comp_targetILNS1_3genE4ELNS1_11target_archE910ELNS1_3gpuE8ELNS1_3repE0EEENS1_30default_config_static_selectorELNS0_4arch9wavefront6targetE0EEEvT1_.kd
    .uniform_work_group_size: 1
    .uses_dynamic_stack: false
    .vgpr_count:     0
    .vgpr_spill_count: 0
    .wavefront_size: 32
    .workgroup_processor_mode: 1
  - .args:
      - .offset:         0
        .size:           136
        .value_kind:     by_value
    .group_segment_fixed_size: 0
    .kernarg_segment_align: 8
    .kernarg_segment_size: 136
    .language:       OpenCL C
    .language_version:
      - 2
      - 0
    .max_flat_workgroup_size: 128
    .name:           _ZN7rocprim17ROCPRIM_400000_NS6detail17trampoline_kernelINS0_14default_configENS1_25partition_config_selectorILNS1_17partition_subalgoE5ExNS0_10empty_typeEbEEZZNS1_14partition_implILS5_5ELb0ES3_mN6thrust23THRUST_200600_302600_NS6detail15normal_iteratorINSA_10device_ptrIxEEEEPS6_NSA_18transform_iteratorINSB_9not_fun_tINSA_8identityIxEEEESF_NSA_11use_defaultESM_EENS0_5tupleIJSF_S6_EEENSO_IJSG_SG_EEES6_PlJS6_EEE10hipError_tPvRmT3_T4_T5_T6_T7_T9_mT8_P12ihipStream_tbDpT10_ENKUlT_T0_E_clISt17integral_constantIbLb1EES1B_EEDaS16_S17_EUlS16_E_NS1_11comp_targetILNS1_3genE3ELNS1_11target_archE908ELNS1_3gpuE7ELNS1_3repE0EEENS1_30default_config_static_selectorELNS0_4arch9wavefront6targetE0EEEvT1_
    .private_segment_fixed_size: 0
    .sgpr_count:     0
    .sgpr_spill_count: 0
    .symbol:         _ZN7rocprim17ROCPRIM_400000_NS6detail17trampoline_kernelINS0_14default_configENS1_25partition_config_selectorILNS1_17partition_subalgoE5ExNS0_10empty_typeEbEEZZNS1_14partition_implILS5_5ELb0ES3_mN6thrust23THRUST_200600_302600_NS6detail15normal_iteratorINSA_10device_ptrIxEEEEPS6_NSA_18transform_iteratorINSB_9not_fun_tINSA_8identityIxEEEESF_NSA_11use_defaultESM_EENS0_5tupleIJSF_S6_EEENSO_IJSG_SG_EEES6_PlJS6_EEE10hipError_tPvRmT3_T4_T5_T6_T7_T9_mT8_P12ihipStream_tbDpT10_ENKUlT_T0_E_clISt17integral_constantIbLb1EES1B_EEDaS16_S17_EUlS16_E_NS1_11comp_targetILNS1_3genE3ELNS1_11target_archE908ELNS1_3gpuE7ELNS1_3repE0EEENS1_30default_config_static_selectorELNS0_4arch9wavefront6targetE0EEEvT1_.kd
    .uniform_work_group_size: 1
    .uses_dynamic_stack: false
    .vgpr_count:     0
    .vgpr_spill_count: 0
    .wavefront_size: 32
    .workgroup_processor_mode: 1
  - .args:
      - .offset:         0
        .size:           136
        .value_kind:     by_value
    .group_segment_fixed_size: 0
    .kernarg_segment_align: 8
    .kernarg_segment_size: 136
    .language:       OpenCL C
    .language_version:
      - 2
      - 0
    .max_flat_workgroup_size: 256
    .name:           _ZN7rocprim17ROCPRIM_400000_NS6detail17trampoline_kernelINS0_14default_configENS1_25partition_config_selectorILNS1_17partition_subalgoE5ExNS0_10empty_typeEbEEZZNS1_14partition_implILS5_5ELb0ES3_mN6thrust23THRUST_200600_302600_NS6detail15normal_iteratorINSA_10device_ptrIxEEEEPS6_NSA_18transform_iteratorINSB_9not_fun_tINSA_8identityIxEEEESF_NSA_11use_defaultESM_EENS0_5tupleIJSF_S6_EEENSO_IJSG_SG_EEES6_PlJS6_EEE10hipError_tPvRmT3_T4_T5_T6_T7_T9_mT8_P12ihipStream_tbDpT10_ENKUlT_T0_E_clISt17integral_constantIbLb1EES1B_EEDaS16_S17_EUlS16_E_NS1_11comp_targetILNS1_3genE2ELNS1_11target_archE906ELNS1_3gpuE6ELNS1_3repE0EEENS1_30default_config_static_selectorELNS0_4arch9wavefront6targetE0EEEvT1_
    .private_segment_fixed_size: 0
    .sgpr_count:     0
    .sgpr_spill_count: 0
    .symbol:         _ZN7rocprim17ROCPRIM_400000_NS6detail17trampoline_kernelINS0_14default_configENS1_25partition_config_selectorILNS1_17partition_subalgoE5ExNS0_10empty_typeEbEEZZNS1_14partition_implILS5_5ELb0ES3_mN6thrust23THRUST_200600_302600_NS6detail15normal_iteratorINSA_10device_ptrIxEEEEPS6_NSA_18transform_iteratorINSB_9not_fun_tINSA_8identityIxEEEESF_NSA_11use_defaultESM_EENS0_5tupleIJSF_S6_EEENSO_IJSG_SG_EEES6_PlJS6_EEE10hipError_tPvRmT3_T4_T5_T6_T7_T9_mT8_P12ihipStream_tbDpT10_ENKUlT_T0_E_clISt17integral_constantIbLb1EES1B_EEDaS16_S17_EUlS16_E_NS1_11comp_targetILNS1_3genE2ELNS1_11target_archE906ELNS1_3gpuE6ELNS1_3repE0EEENS1_30default_config_static_selectorELNS0_4arch9wavefront6targetE0EEEvT1_.kd
    .uniform_work_group_size: 1
    .uses_dynamic_stack: false
    .vgpr_count:     0
    .vgpr_spill_count: 0
    .wavefront_size: 32
    .workgroup_processor_mode: 1
  - .args:
      - .offset:         0
        .size:           136
        .value_kind:     by_value
    .group_segment_fixed_size: 0
    .kernarg_segment_align: 8
    .kernarg_segment_size: 136
    .language:       OpenCL C
    .language_version:
      - 2
      - 0
    .max_flat_workgroup_size: 256
    .name:           _ZN7rocprim17ROCPRIM_400000_NS6detail17trampoline_kernelINS0_14default_configENS1_25partition_config_selectorILNS1_17partition_subalgoE5ExNS0_10empty_typeEbEEZZNS1_14partition_implILS5_5ELb0ES3_mN6thrust23THRUST_200600_302600_NS6detail15normal_iteratorINSA_10device_ptrIxEEEEPS6_NSA_18transform_iteratorINSB_9not_fun_tINSA_8identityIxEEEESF_NSA_11use_defaultESM_EENS0_5tupleIJSF_S6_EEENSO_IJSG_SG_EEES6_PlJS6_EEE10hipError_tPvRmT3_T4_T5_T6_T7_T9_mT8_P12ihipStream_tbDpT10_ENKUlT_T0_E_clISt17integral_constantIbLb1EES1B_EEDaS16_S17_EUlS16_E_NS1_11comp_targetILNS1_3genE10ELNS1_11target_archE1200ELNS1_3gpuE4ELNS1_3repE0EEENS1_30default_config_static_selectorELNS0_4arch9wavefront6targetE0EEEvT1_
    .private_segment_fixed_size: 0
    .sgpr_count:     0
    .sgpr_spill_count: 0
    .symbol:         _ZN7rocprim17ROCPRIM_400000_NS6detail17trampoline_kernelINS0_14default_configENS1_25partition_config_selectorILNS1_17partition_subalgoE5ExNS0_10empty_typeEbEEZZNS1_14partition_implILS5_5ELb0ES3_mN6thrust23THRUST_200600_302600_NS6detail15normal_iteratorINSA_10device_ptrIxEEEEPS6_NSA_18transform_iteratorINSB_9not_fun_tINSA_8identityIxEEEESF_NSA_11use_defaultESM_EENS0_5tupleIJSF_S6_EEENSO_IJSG_SG_EEES6_PlJS6_EEE10hipError_tPvRmT3_T4_T5_T6_T7_T9_mT8_P12ihipStream_tbDpT10_ENKUlT_T0_E_clISt17integral_constantIbLb1EES1B_EEDaS16_S17_EUlS16_E_NS1_11comp_targetILNS1_3genE10ELNS1_11target_archE1200ELNS1_3gpuE4ELNS1_3repE0EEENS1_30default_config_static_selectorELNS0_4arch9wavefront6targetE0EEEvT1_.kd
    .uniform_work_group_size: 1
    .uses_dynamic_stack: false
    .vgpr_count:     0
    .vgpr_spill_count: 0
    .wavefront_size: 32
    .workgroup_processor_mode: 1
  - .args:
      - .offset:         0
        .size:           136
        .value_kind:     by_value
    .group_segment_fixed_size: 0
    .kernarg_segment_align: 8
    .kernarg_segment_size: 136
    .language:       OpenCL C
    .language_version:
      - 2
      - 0
    .max_flat_workgroup_size: 128
    .name:           _ZN7rocprim17ROCPRIM_400000_NS6detail17trampoline_kernelINS0_14default_configENS1_25partition_config_selectorILNS1_17partition_subalgoE5ExNS0_10empty_typeEbEEZZNS1_14partition_implILS5_5ELb0ES3_mN6thrust23THRUST_200600_302600_NS6detail15normal_iteratorINSA_10device_ptrIxEEEEPS6_NSA_18transform_iteratorINSB_9not_fun_tINSA_8identityIxEEEESF_NSA_11use_defaultESM_EENS0_5tupleIJSF_S6_EEENSO_IJSG_SG_EEES6_PlJS6_EEE10hipError_tPvRmT3_T4_T5_T6_T7_T9_mT8_P12ihipStream_tbDpT10_ENKUlT_T0_E_clISt17integral_constantIbLb1EES1B_EEDaS16_S17_EUlS16_E_NS1_11comp_targetILNS1_3genE9ELNS1_11target_archE1100ELNS1_3gpuE3ELNS1_3repE0EEENS1_30default_config_static_selectorELNS0_4arch9wavefront6targetE0EEEvT1_
    .private_segment_fixed_size: 0
    .sgpr_count:     0
    .sgpr_spill_count: 0
    .symbol:         _ZN7rocprim17ROCPRIM_400000_NS6detail17trampoline_kernelINS0_14default_configENS1_25partition_config_selectorILNS1_17partition_subalgoE5ExNS0_10empty_typeEbEEZZNS1_14partition_implILS5_5ELb0ES3_mN6thrust23THRUST_200600_302600_NS6detail15normal_iteratorINSA_10device_ptrIxEEEEPS6_NSA_18transform_iteratorINSB_9not_fun_tINSA_8identityIxEEEESF_NSA_11use_defaultESM_EENS0_5tupleIJSF_S6_EEENSO_IJSG_SG_EEES6_PlJS6_EEE10hipError_tPvRmT3_T4_T5_T6_T7_T9_mT8_P12ihipStream_tbDpT10_ENKUlT_T0_E_clISt17integral_constantIbLb1EES1B_EEDaS16_S17_EUlS16_E_NS1_11comp_targetILNS1_3genE9ELNS1_11target_archE1100ELNS1_3gpuE3ELNS1_3repE0EEENS1_30default_config_static_selectorELNS0_4arch9wavefront6targetE0EEEvT1_.kd
    .uniform_work_group_size: 1
    .uses_dynamic_stack: false
    .vgpr_count:     0
    .vgpr_spill_count: 0
    .wavefront_size: 32
    .workgroup_processor_mode: 1
  - .args:
      - .offset:         0
        .size:           136
        .value_kind:     by_value
    .group_segment_fixed_size: 0
    .kernarg_segment_align: 8
    .kernarg_segment_size: 136
    .language:       OpenCL C
    .language_version:
      - 2
      - 0
    .max_flat_workgroup_size: 512
    .name:           _ZN7rocprim17ROCPRIM_400000_NS6detail17trampoline_kernelINS0_14default_configENS1_25partition_config_selectorILNS1_17partition_subalgoE5ExNS0_10empty_typeEbEEZZNS1_14partition_implILS5_5ELb0ES3_mN6thrust23THRUST_200600_302600_NS6detail15normal_iteratorINSA_10device_ptrIxEEEEPS6_NSA_18transform_iteratorINSB_9not_fun_tINSA_8identityIxEEEESF_NSA_11use_defaultESM_EENS0_5tupleIJSF_S6_EEENSO_IJSG_SG_EEES6_PlJS6_EEE10hipError_tPvRmT3_T4_T5_T6_T7_T9_mT8_P12ihipStream_tbDpT10_ENKUlT_T0_E_clISt17integral_constantIbLb1EES1B_EEDaS16_S17_EUlS16_E_NS1_11comp_targetILNS1_3genE8ELNS1_11target_archE1030ELNS1_3gpuE2ELNS1_3repE0EEENS1_30default_config_static_selectorELNS0_4arch9wavefront6targetE0EEEvT1_
    .private_segment_fixed_size: 0
    .sgpr_count:     0
    .sgpr_spill_count: 0
    .symbol:         _ZN7rocprim17ROCPRIM_400000_NS6detail17trampoline_kernelINS0_14default_configENS1_25partition_config_selectorILNS1_17partition_subalgoE5ExNS0_10empty_typeEbEEZZNS1_14partition_implILS5_5ELb0ES3_mN6thrust23THRUST_200600_302600_NS6detail15normal_iteratorINSA_10device_ptrIxEEEEPS6_NSA_18transform_iteratorINSB_9not_fun_tINSA_8identityIxEEEESF_NSA_11use_defaultESM_EENS0_5tupleIJSF_S6_EEENSO_IJSG_SG_EEES6_PlJS6_EEE10hipError_tPvRmT3_T4_T5_T6_T7_T9_mT8_P12ihipStream_tbDpT10_ENKUlT_T0_E_clISt17integral_constantIbLb1EES1B_EEDaS16_S17_EUlS16_E_NS1_11comp_targetILNS1_3genE8ELNS1_11target_archE1030ELNS1_3gpuE2ELNS1_3repE0EEENS1_30default_config_static_selectorELNS0_4arch9wavefront6targetE0EEEvT1_.kd
    .uniform_work_group_size: 1
    .uses_dynamic_stack: false
    .vgpr_count:     0
    .vgpr_spill_count: 0
    .wavefront_size: 32
    .workgroup_processor_mode: 1
  - .args:
      - .offset:         0
        .size:           120
        .value_kind:     by_value
    .group_segment_fixed_size: 0
    .kernarg_segment_align: 8
    .kernarg_segment_size: 120
    .language:       OpenCL C
    .language_version:
      - 2
      - 0
    .max_flat_workgroup_size: 128
    .name:           _ZN7rocprim17ROCPRIM_400000_NS6detail17trampoline_kernelINS0_14default_configENS1_25partition_config_selectorILNS1_17partition_subalgoE5ExNS0_10empty_typeEbEEZZNS1_14partition_implILS5_5ELb0ES3_mN6thrust23THRUST_200600_302600_NS6detail15normal_iteratorINSA_10device_ptrIxEEEEPS6_NSA_18transform_iteratorINSB_9not_fun_tINSA_8identityIxEEEESF_NSA_11use_defaultESM_EENS0_5tupleIJSF_S6_EEENSO_IJSG_SG_EEES6_PlJS6_EEE10hipError_tPvRmT3_T4_T5_T6_T7_T9_mT8_P12ihipStream_tbDpT10_ENKUlT_T0_E_clISt17integral_constantIbLb1EES1A_IbLb0EEEEDaS16_S17_EUlS16_E_NS1_11comp_targetILNS1_3genE0ELNS1_11target_archE4294967295ELNS1_3gpuE0ELNS1_3repE0EEENS1_30default_config_static_selectorELNS0_4arch9wavefront6targetE0EEEvT1_
    .private_segment_fixed_size: 0
    .sgpr_count:     0
    .sgpr_spill_count: 0
    .symbol:         _ZN7rocprim17ROCPRIM_400000_NS6detail17trampoline_kernelINS0_14default_configENS1_25partition_config_selectorILNS1_17partition_subalgoE5ExNS0_10empty_typeEbEEZZNS1_14partition_implILS5_5ELb0ES3_mN6thrust23THRUST_200600_302600_NS6detail15normal_iteratorINSA_10device_ptrIxEEEEPS6_NSA_18transform_iteratorINSB_9not_fun_tINSA_8identityIxEEEESF_NSA_11use_defaultESM_EENS0_5tupleIJSF_S6_EEENSO_IJSG_SG_EEES6_PlJS6_EEE10hipError_tPvRmT3_T4_T5_T6_T7_T9_mT8_P12ihipStream_tbDpT10_ENKUlT_T0_E_clISt17integral_constantIbLb1EES1A_IbLb0EEEEDaS16_S17_EUlS16_E_NS1_11comp_targetILNS1_3genE0ELNS1_11target_archE4294967295ELNS1_3gpuE0ELNS1_3repE0EEENS1_30default_config_static_selectorELNS0_4arch9wavefront6targetE0EEEvT1_.kd
    .uniform_work_group_size: 1
    .uses_dynamic_stack: false
    .vgpr_count:     0
    .vgpr_spill_count: 0
    .wavefront_size: 32
    .workgroup_processor_mode: 1
  - .args:
      - .offset:         0
        .size:           120
        .value_kind:     by_value
    .group_segment_fixed_size: 0
    .kernarg_segment_align: 8
    .kernarg_segment_size: 120
    .language:       OpenCL C
    .language_version:
      - 2
      - 0
    .max_flat_workgroup_size: 512
    .name:           _ZN7rocprim17ROCPRIM_400000_NS6detail17trampoline_kernelINS0_14default_configENS1_25partition_config_selectorILNS1_17partition_subalgoE5ExNS0_10empty_typeEbEEZZNS1_14partition_implILS5_5ELb0ES3_mN6thrust23THRUST_200600_302600_NS6detail15normal_iteratorINSA_10device_ptrIxEEEEPS6_NSA_18transform_iteratorINSB_9not_fun_tINSA_8identityIxEEEESF_NSA_11use_defaultESM_EENS0_5tupleIJSF_S6_EEENSO_IJSG_SG_EEES6_PlJS6_EEE10hipError_tPvRmT3_T4_T5_T6_T7_T9_mT8_P12ihipStream_tbDpT10_ENKUlT_T0_E_clISt17integral_constantIbLb1EES1A_IbLb0EEEEDaS16_S17_EUlS16_E_NS1_11comp_targetILNS1_3genE5ELNS1_11target_archE942ELNS1_3gpuE9ELNS1_3repE0EEENS1_30default_config_static_selectorELNS0_4arch9wavefront6targetE0EEEvT1_
    .private_segment_fixed_size: 0
    .sgpr_count:     0
    .sgpr_spill_count: 0
    .symbol:         _ZN7rocprim17ROCPRIM_400000_NS6detail17trampoline_kernelINS0_14default_configENS1_25partition_config_selectorILNS1_17partition_subalgoE5ExNS0_10empty_typeEbEEZZNS1_14partition_implILS5_5ELb0ES3_mN6thrust23THRUST_200600_302600_NS6detail15normal_iteratorINSA_10device_ptrIxEEEEPS6_NSA_18transform_iteratorINSB_9not_fun_tINSA_8identityIxEEEESF_NSA_11use_defaultESM_EENS0_5tupleIJSF_S6_EEENSO_IJSG_SG_EEES6_PlJS6_EEE10hipError_tPvRmT3_T4_T5_T6_T7_T9_mT8_P12ihipStream_tbDpT10_ENKUlT_T0_E_clISt17integral_constantIbLb1EES1A_IbLb0EEEEDaS16_S17_EUlS16_E_NS1_11comp_targetILNS1_3genE5ELNS1_11target_archE942ELNS1_3gpuE9ELNS1_3repE0EEENS1_30default_config_static_selectorELNS0_4arch9wavefront6targetE0EEEvT1_.kd
    .uniform_work_group_size: 1
    .uses_dynamic_stack: false
    .vgpr_count:     0
    .vgpr_spill_count: 0
    .wavefront_size: 32
    .workgroup_processor_mode: 1
  - .args:
      - .offset:         0
        .size:           120
        .value_kind:     by_value
    .group_segment_fixed_size: 0
    .kernarg_segment_align: 8
    .kernarg_segment_size: 120
    .language:       OpenCL C
    .language_version:
      - 2
      - 0
    .max_flat_workgroup_size: 192
    .name:           _ZN7rocprim17ROCPRIM_400000_NS6detail17trampoline_kernelINS0_14default_configENS1_25partition_config_selectorILNS1_17partition_subalgoE5ExNS0_10empty_typeEbEEZZNS1_14partition_implILS5_5ELb0ES3_mN6thrust23THRUST_200600_302600_NS6detail15normal_iteratorINSA_10device_ptrIxEEEEPS6_NSA_18transform_iteratorINSB_9not_fun_tINSA_8identityIxEEEESF_NSA_11use_defaultESM_EENS0_5tupleIJSF_S6_EEENSO_IJSG_SG_EEES6_PlJS6_EEE10hipError_tPvRmT3_T4_T5_T6_T7_T9_mT8_P12ihipStream_tbDpT10_ENKUlT_T0_E_clISt17integral_constantIbLb1EES1A_IbLb0EEEEDaS16_S17_EUlS16_E_NS1_11comp_targetILNS1_3genE4ELNS1_11target_archE910ELNS1_3gpuE8ELNS1_3repE0EEENS1_30default_config_static_selectorELNS0_4arch9wavefront6targetE0EEEvT1_
    .private_segment_fixed_size: 0
    .sgpr_count:     0
    .sgpr_spill_count: 0
    .symbol:         _ZN7rocprim17ROCPRIM_400000_NS6detail17trampoline_kernelINS0_14default_configENS1_25partition_config_selectorILNS1_17partition_subalgoE5ExNS0_10empty_typeEbEEZZNS1_14partition_implILS5_5ELb0ES3_mN6thrust23THRUST_200600_302600_NS6detail15normal_iteratorINSA_10device_ptrIxEEEEPS6_NSA_18transform_iteratorINSB_9not_fun_tINSA_8identityIxEEEESF_NSA_11use_defaultESM_EENS0_5tupleIJSF_S6_EEENSO_IJSG_SG_EEES6_PlJS6_EEE10hipError_tPvRmT3_T4_T5_T6_T7_T9_mT8_P12ihipStream_tbDpT10_ENKUlT_T0_E_clISt17integral_constantIbLb1EES1A_IbLb0EEEEDaS16_S17_EUlS16_E_NS1_11comp_targetILNS1_3genE4ELNS1_11target_archE910ELNS1_3gpuE8ELNS1_3repE0EEENS1_30default_config_static_selectorELNS0_4arch9wavefront6targetE0EEEvT1_.kd
    .uniform_work_group_size: 1
    .uses_dynamic_stack: false
    .vgpr_count:     0
    .vgpr_spill_count: 0
    .wavefront_size: 32
    .workgroup_processor_mode: 1
  - .args:
      - .offset:         0
        .size:           120
        .value_kind:     by_value
    .group_segment_fixed_size: 0
    .kernarg_segment_align: 8
    .kernarg_segment_size: 120
    .language:       OpenCL C
    .language_version:
      - 2
      - 0
    .max_flat_workgroup_size: 128
    .name:           _ZN7rocprim17ROCPRIM_400000_NS6detail17trampoline_kernelINS0_14default_configENS1_25partition_config_selectorILNS1_17partition_subalgoE5ExNS0_10empty_typeEbEEZZNS1_14partition_implILS5_5ELb0ES3_mN6thrust23THRUST_200600_302600_NS6detail15normal_iteratorINSA_10device_ptrIxEEEEPS6_NSA_18transform_iteratorINSB_9not_fun_tINSA_8identityIxEEEESF_NSA_11use_defaultESM_EENS0_5tupleIJSF_S6_EEENSO_IJSG_SG_EEES6_PlJS6_EEE10hipError_tPvRmT3_T4_T5_T6_T7_T9_mT8_P12ihipStream_tbDpT10_ENKUlT_T0_E_clISt17integral_constantIbLb1EES1A_IbLb0EEEEDaS16_S17_EUlS16_E_NS1_11comp_targetILNS1_3genE3ELNS1_11target_archE908ELNS1_3gpuE7ELNS1_3repE0EEENS1_30default_config_static_selectorELNS0_4arch9wavefront6targetE0EEEvT1_
    .private_segment_fixed_size: 0
    .sgpr_count:     0
    .sgpr_spill_count: 0
    .symbol:         _ZN7rocprim17ROCPRIM_400000_NS6detail17trampoline_kernelINS0_14default_configENS1_25partition_config_selectorILNS1_17partition_subalgoE5ExNS0_10empty_typeEbEEZZNS1_14partition_implILS5_5ELb0ES3_mN6thrust23THRUST_200600_302600_NS6detail15normal_iteratorINSA_10device_ptrIxEEEEPS6_NSA_18transform_iteratorINSB_9not_fun_tINSA_8identityIxEEEESF_NSA_11use_defaultESM_EENS0_5tupleIJSF_S6_EEENSO_IJSG_SG_EEES6_PlJS6_EEE10hipError_tPvRmT3_T4_T5_T6_T7_T9_mT8_P12ihipStream_tbDpT10_ENKUlT_T0_E_clISt17integral_constantIbLb1EES1A_IbLb0EEEEDaS16_S17_EUlS16_E_NS1_11comp_targetILNS1_3genE3ELNS1_11target_archE908ELNS1_3gpuE7ELNS1_3repE0EEENS1_30default_config_static_selectorELNS0_4arch9wavefront6targetE0EEEvT1_.kd
    .uniform_work_group_size: 1
    .uses_dynamic_stack: false
    .vgpr_count:     0
    .vgpr_spill_count: 0
    .wavefront_size: 32
    .workgroup_processor_mode: 1
  - .args:
      - .offset:         0
        .size:           120
        .value_kind:     by_value
    .group_segment_fixed_size: 0
    .kernarg_segment_align: 8
    .kernarg_segment_size: 120
    .language:       OpenCL C
    .language_version:
      - 2
      - 0
    .max_flat_workgroup_size: 256
    .name:           _ZN7rocprim17ROCPRIM_400000_NS6detail17trampoline_kernelINS0_14default_configENS1_25partition_config_selectorILNS1_17partition_subalgoE5ExNS0_10empty_typeEbEEZZNS1_14partition_implILS5_5ELb0ES3_mN6thrust23THRUST_200600_302600_NS6detail15normal_iteratorINSA_10device_ptrIxEEEEPS6_NSA_18transform_iteratorINSB_9not_fun_tINSA_8identityIxEEEESF_NSA_11use_defaultESM_EENS0_5tupleIJSF_S6_EEENSO_IJSG_SG_EEES6_PlJS6_EEE10hipError_tPvRmT3_T4_T5_T6_T7_T9_mT8_P12ihipStream_tbDpT10_ENKUlT_T0_E_clISt17integral_constantIbLb1EES1A_IbLb0EEEEDaS16_S17_EUlS16_E_NS1_11comp_targetILNS1_3genE2ELNS1_11target_archE906ELNS1_3gpuE6ELNS1_3repE0EEENS1_30default_config_static_selectorELNS0_4arch9wavefront6targetE0EEEvT1_
    .private_segment_fixed_size: 0
    .sgpr_count:     0
    .sgpr_spill_count: 0
    .symbol:         _ZN7rocprim17ROCPRIM_400000_NS6detail17trampoline_kernelINS0_14default_configENS1_25partition_config_selectorILNS1_17partition_subalgoE5ExNS0_10empty_typeEbEEZZNS1_14partition_implILS5_5ELb0ES3_mN6thrust23THRUST_200600_302600_NS6detail15normal_iteratorINSA_10device_ptrIxEEEEPS6_NSA_18transform_iteratorINSB_9not_fun_tINSA_8identityIxEEEESF_NSA_11use_defaultESM_EENS0_5tupleIJSF_S6_EEENSO_IJSG_SG_EEES6_PlJS6_EEE10hipError_tPvRmT3_T4_T5_T6_T7_T9_mT8_P12ihipStream_tbDpT10_ENKUlT_T0_E_clISt17integral_constantIbLb1EES1A_IbLb0EEEEDaS16_S17_EUlS16_E_NS1_11comp_targetILNS1_3genE2ELNS1_11target_archE906ELNS1_3gpuE6ELNS1_3repE0EEENS1_30default_config_static_selectorELNS0_4arch9wavefront6targetE0EEEvT1_.kd
    .uniform_work_group_size: 1
    .uses_dynamic_stack: false
    .vgpr_count:     0
    .vgpr_spill_count: 0
    .wavefront_size: 32
    .workgroup_processor_mode: 1
  - .args:
      - .offset:         0
        .size:           120
        .value_kind:     by_value
    .group_segment_fixed_size: 0
    .kernarg_segment_align: 8
    .kernarg_segment_size: 120
    .language:       OpenCL C
    .language_version:
      - 2
      - 0
    .max_flat_workgroup_size: 256
    .name:           _ZN7rocprim17ROCPRIM_400000_NS6detail17trampoline_kernelINS0_14default_configENS1_25partition_config_selectorILNS1_17partition_subalgoE5ExNS0_10empty_typeEbEEZZNS1_14partition_implILS5_5ELb0ES3_mN6thrust23THRUST_200600_302600_NS6detail15normal_iteratorINSA_10device_ptrIxEEEEPS6_NSA_18transform_iteratorINSB_9not_fun_tINSA_8identityIxEEEESF_NSA_11use_defaultESM_EENS0_5tupleIJSF_S6_EEENSO_IJSG_SG_EEES6_PlJS6_EEE10hipError_tPvRmT3_T4_T5_T6_T7_T9_mT8_P12ihipStream_tbDpT10_ENKUlT_T0_E_clISt17integral_constantIbLb1EES1A_IbLb0EEEEDaS16_S17_EUlS16_E_NS1_11comp_targetILNS1_3genE10ELNS1_11target_archE1200ELNS1_3gpuE4ELNS1_3repE0EEENS1_30default_config_static_selectorELNS0_4arch9wavefront6targetE0EEEvT1_
    .private_segment_fixed_size: 0
    .sgpr_count:     0
    .sgpr_spill_count: 0
    .symbol:         _ZN7rocprim17ROCPRIM_400000_NS6detail17trampoline_kernelINS0_14default_configENS1_25partition_config_selectorILNS1_17partition_subalgoE5ExNS0_10empty_typeEbEEZZNS1_14partition_implILS5_5ELb0ES3_mN6thrust23THRUST_200600_302600_NS6detail15normal_iteratorINSA_10device_ptrIxEEEEPS6_NSA_18transform_iteratorINSB_9not_fun_tINSA_8identityIxEEEESF_NSA_11use_defaultESM_EENS0_5tupleIJSF_S6_EEENSO_IJSG_SG_EEES6_PlJS6_EEE10hipError_tPvRmT3_T4_T5_T6_T7_T9_mT8_P12ihipStream_tbDpT10_ENKUlT_T0_E_clISt17integral_constantIbLb1EES1A_IbLb0EEEEDaS16_S17_EUlS16_E_NS1_11comp_targetILNS1_3genE10ELNS1_11target_archE1200ELNS1_3gpuE4ELNS1_3repE0EEENS1_30default_config_static_selectorELNS0_4arch9wavefront6targetE0EEEvT1_.kd
    .uniform_work_group_size: 1
    .uses_dynamic_stack: false
    .vgpr_count:     0
    .vgpr_spill_count: 0
    .wavefront_size: 32
    .workgroup_processor_mode: 1
  - .args:
      - .offset:         0
        .size:           120
        .value_kind:     by_value
    .group_segment_fixed_size: 0
    .kernarg_segment_align: 8
    .kernarg_segment_size: 120
    .language:       OpenCL C
    .language_version:
      - 2
      - 0
    .max_flat_workgroup_size: 128
    .name:           _ZN7rocprim17ROCPRIM_400000_NS6detail17trampoline_kernelINS0_14default_configENS1_25partition_config_selectorILNS1_17partition_subalgoE5ExNS0_10empty_typeEbEEZZNS1_14partition_implILS5_5ELb0ES3_mN6thrust23THRUST_200600_302600_NS6detail15normal_iteratorINSA_10device_ptrIxEEEEPS6_NSA_18transform_iteratorINSB_9not_fun_tINSA_8identityIxEEEESF_NSA_11use_defaultESM_EENS0_5tupleIJSF_S6_EEENSO_IJSG_SG_EEES6_PlJS6_EEE10hipError_tPvRmT3_T4_T5_T6_T7_T9_mT8_P12ihipStream_tbDpT10_ENKUlT_T0_E_clISt17integral_constantIbLb1EES1A_IbLb0EEEEDaS16_S17_EUlS16_E_NS1_11comp_targetILNS1_3genE9ELNS1_11target_archE1100ELNS1_3gpuE3ELNS1_3repE0EEENS1_30default_config_static_selectorELNS0_4arch9wavefront6targetE0EEEvT1_
    .private_segment_fixed_size: 0
    .sgpr_count:     0
    .sgpr_spill_count: 0
    .symbol:         _ZN7rocprim17ROCPRIM_400000_NS6detail17trampoline_kernelINS0_14default_configENS1_25partition_config_selectorILNS1_17partition_subalgoE5ExNS0_10empty_typeEbEEZZNS1_14partition_implILS5_5ELb0ES3_mN6thrust23THRUST_200600_302600_NS6detail15normal_iteratorINSA_10device_ptrIxEEEEPS6_NSA_18transform_iteratorINSB_9not_fun_tINSA_8identityIxEEEESF_NSA_11use_defaultESM_EENS0_5tupleIJSF_S6_EEENSO_IJSG_SG_EEES6_PlJS6_EEE10hipError_tPvRmT3_T4_T5_T6_T7_T9_mT8_P12ihipStream_tbDpT10_ENKUlT_T0_E_clISt17integral_constantIbLb1EES1A_IbLb0EEEEDaS16_S17_EUlS16_E_NS1_11comp_targetILNS1_3genE9ELNS1_11target_archE1100ELNS1_3gpuE3ELNS1_3repE0EEENS1_30default_config_static_selectorELNS0_4arch9wavefront6targetE0EEEvT1_.kd
    .uniform_work_group_size: 1
    .uses_dynamic_stack: false
    .vgpr_count:     0
    .vgpr_spill_count: 0
    .wavefront_size: 32
    .workgroup_processor_mode: 1
  - .args:
      - .offset:         0
        .size:           120
        .value_kind:     by_value
    .group_segment_fixed_size: 0
    .kernarg_segment_align: 8
    .kernarg_segment_size: 120
    .language:       OpenCL C
    .language_version:
      - 2
      - 0
    .max_flat_workgroup_size: 512
    .name:           _ZN7rocprim17ROCPRIM_400000_NS6detail17trampoline_kernelINS0_14default_configENS1_25partition_config_selectorILNS1_17partition_subalgoE5ExNS0_10empty_typeEbEEZZNS1_14partition_implILS5_5ELb0ES3_mN6thrust23THRUST_200600_302600_NS6detail15normal_iteratorINSA_10device_ptrIxEEEEPS6_NSA_18transform_iteratorINSB_9not_fun_tINSA_8identityIxEEEESF_NSA_11use_defaultESM_EENS0_5tupleIJSF_S6_EEENSO_IJSG_SG_EEES6_PlJS6_EEE10hipError_tPvRmT3_T4_T5_T6_T7_T9_mT8_P12ihipStream_tbDpT10_ENKUlT_T0_E_clISt17integral_constantIbLb1EES1A_IbLb0EEEEDaS16_S17_EUlS16_E_NS1_11comp_targetILNS1_3genE8ELNS1_11target_archE1030ELNS1_3gpuE2ELNS1_3repE0EEENS1_30default_config_static_selectorELNS0_4arch9wavefront6targetE0EEEvT1_
    .private_segment_fixed_size: 0
    .sgpr_count:     0
    .sgpr_spill_count: 0
    .symbol:         _ZN7rocprim17ROCPRIM_400000_NS6detail17trampoline_kernelINS0_14default_configENS1_25partition_config_selectorILNS1_17partition_subalgoE5ExNS0_10empty_typeEbEEZZNS1_14partition_implILS5_5ELb0ES3_mN6thrust23THRUST_200600_302600_NS6detail15normal_iteratorINSA_10device_ptrIxEEEEPS6_NSA_18transform_iteratorINSB_9not_fun_tINSA_8identityIxEEEESF_NSA_11use_defaultESM_EENS0_5tupleIJSF_S6_EEENSO_IJSG_SG_EEES6_PlJS6_EEE10hipError_tPvRmT3_T4_T5_T6_T7_T9_mT8_P12ihipStream_tbDpT10_ENKUlT_T0_E_clISt17integral_constantIbLb1EES1A_IbLb0EEEEDaS16_S17_EUlS16_E_NS1_11comp_targetILNS1_3genE8ELNS1_11target_archE1030ELNS1_3gpuE2ELNS1_3repE0EEENS1_30default_config_static_selectorELNS0_4arch9wavefront6targetE0EEEvT1_.kd
    .uniform_work_group_size: 1
    .uses_dynamic_stack: false
    .vgpr_count:     0
    .vgpr_spill_count: 0
    .wavefront_size: 32
    .workgroup_processor_mode: 1
  - .args:
      - .offset:         0
        .size:           136
        .value_kind:     by_value
    .group_segment_fixed_size: 0
    .kernarg_segment_align: 8
    .kernarg_segment_size: 136
    .language:       OpenCL C
    .language_version:
      - 2
      - 0
    .max_flat_workgroup_size: 128
    .name:           _ZN7rocprim17ROCPRIM_400000_NS6detail17trampoline_kernelINS0_14default_configENS1_25partition_config_selectorILNS1_17partition_subalgoE5ExNS0_10empty_typeEbEEZZNS1_14partition_implILS5_5ELb0ES3_mN6thrust23THRUST_200600_302600_NS6detail15normal_iteratorINSA_10device_ptrIxEEEEPS6_NSA_18transform_iteratorINSB_9not_fun_tINSA_8identityIxEEEESF_NSA_11use_defaultESM_EENS0_5tupleIJSF_S6_EEENSO_IJSG_SG_EEES6_PlJS6_EEE10hipError_tPvRmT3_T4_T5_T6_T7_T9_mT8_P12ihipStream_tbDpT10_ENKUlT_T0_E_clISt17integral_constantIbLb0EES1A_IbLb1EEEEDaS16_S17_EUlS16_E_NS1_11comp_targetILNS1_3genE0ELNS1_11target_archE4294967295ELNS1_3gpuE0ELNS1_3repE0EEENS1_30default_config_static_selectorELNS0_4arch9wavefront6targetE0EEEvT1_
    .private_segment_fixed_size: 0
    .sgpr_count:     0
    .sgpr_spill_count: 0
    .symbol:         _ZN7rocprim17ROCPRIM_400000_NS6detail17trampoline_kernelINS0_14default_configENS1_25partition_config_selectorILNS1_17partition_subalgoE5ExNS0_10empty_typeEbEEZZNS1_14partition_implILS5_5ELb0ES3_mN6thrust23THRUST_200600_302600_NS6detail15normal_iteratorINSA_10device_ptrIxEEEEPS6_NSA_18transform_iteratorINSB_9not_fun_tINSA_8identityIxEEEESF_NSA_11use_defaultESM_EENS0_5tupleIJSF_S6_EEENSO_IJSG_SG_EEES6_PlJS6_EEE10hipError_tPvRmT3_T4_T5_T6_T7_T9_mT8_P12ihipStream_tbDpT10_ENKUlT_T0_E_clISt17integral_constantIbLb0EES1A_IbLb1EEEEDaS16_S17_EUlS16_E_NS1_11comp_targetILNS1_3genE0ELNS1_11target_archE4294967295ELNS1_3gpuE0ELNS1_3repE0EEENS1_30default_config_static_selectorELNS0_4arch9wavefront6targetE0EEEvT1_.kd
    .uniform_work_group_size: 1
    .uses_dynamic_stack: false
    .vgpr_count:     0
    .vgpr_spill_count: 0
    .wavefront_size: 32
    .workgroup_processor_mode: 1
  - .args:
      - .offset:         0
        .size:           136
        .value_kind:     by_value
    .group_segment_fixed_size: 0
    .kernarg_segment_align: 8
    .kernarg_segment_size: 136
    .language:       OpenCL C
    .language_version:
      - 2
      - 0
    .max_flat_workgroup_size: 512
    .name:           _ZN7rocprim17ROCPRIM_400000_NS6detail17trampoline_kernelINS0_14default_configENS1_25partition_config_selectorILNS1_17partition_subalgoE5ExNS0_10empty_typeEbEEZZNS1_14partition_implILS5_5ELb0ES3_mN6thrust23THRUST_200600_302600_NS6detail15normal_iteratorINSA_10device_ptrIxEEEEPS6_NSA_18transform_iteratorINSB_9not_fun_tINSA_8identityIxEEEESF_NSA_11use_defaultESM_EENS0_5tupleIJSF_S6_EEENSO_IJSG_SG_EEES6_PlJS6_EEE10hipError_tPvRmT3_T4_T5_T6_T7_T9_mT8_P12ihipStream_tbDpT10_ENKUlT_T0_E_clISt17integral_constantIbLb0EES1A_IbLb1EEEEDaS16_S17_EUlS16_E_NS1_11comp_targetILNS1_3genE5ELNS1_11target_archE942ELNS1_3gpuE9ELNS1_3repE0EEENS1_30default_config_static_selectorELNS0_4arch9wavefront6targetE0EEEvT1_
    .private_segment_fixed_size: 0
    .sgpr_count:     0
    .sgpr_spill_count: 0
    .symbol:         _ZN7rocprim17ROCPRIM_400000_NS6detail17trampoline_kernelINS0_14default_configENS1_25partition_config_selectorILNS1_17partition_subalgoE5ExNS0_10empty_typeEbEEZZNS1_14partition_implILS5_5ELb0ES3_mN6thrust23THRUST_200600_302600_NS6detail15normal_iteratorINSA_10device_ptrIxEEEEPS6_NSA_18transform_iteratorINSB_9not_fun_tINSA_8identityIxEEEESF_NSA_11use_defaultESM_EENS0_5tupleIJSF_S6_EEENSO_IJSG_SG_EEES6_PlJS6_EEE10hipError_tPvRmT3_T4_T5_T6_T7_T9_mT8_P12ihipStream_tbDpT10_ENKUlT_T0_E_clISt17integral_constantIbLb0EES1A_IbLb1EEEEDaS16_S17_EUlS16_E_NS1_11comp_targetILNS1_3genE5ELNS1_11target_archE942ELNS1_3gpuE9ELNS1_3repE0EEENS1_30default_config_static_selectorELNS0_4arch9wavefront6targetE0EEEvT1_.kd
    .uniform_work_group_size: 1
    .uses_dynamic_stack: false
    .vgpr_count:     0
    .vgpr_spill_count: 0
    .wavefront_size: 32
    .workgroup_processor_mode: 1
  - .args:
      - .offset:         0
        .size:           136
        .value_kind:     by_value
    .group_segment_fixed_size: 0
    .kernarg_segment_align: 8
    .kernarg_segment_size: 136
    .language:       OpenCL C
    .language_version:
      - 2
      - 0
    .max_flat_workgroup_size: 192
    .name:           _ZN7rocprim17ROCPRIM_400000_NS6detail17trampoline_kernelINS0_14default_configENS1_25partition_config_selectorILNS1_17partition_subalgoE5ExNS0_10empty_typeEbEEZZNS1_14partition_implILS5_5ELb0ES3_mN6thrust23THRUST_200600_302600_NS6detail15normal_iteratorINSA_10device_ptrIxEEEEPS6_NSA_18transform_iteratorINSB_9not_fun_tINSA_8identityIxEEEESF_NSA_11use_defaultESM_EENS0_5tupleIJSF_S6_EEENSO_IJSG_SG_EEES6_PlJS6_EEE10hipError_tPvRmT3_T4_T5_T6_T7_T9_mT8_P12ihipStream_tbDpT10_ENKUlT_T0_E_clISt17integral_constantIbLb0EES1A_IbLb1EEEEDaS16_S17_EUlS16_E_NS1_11comp_targetILNS1_3genE4ELNS1_11target_archE910ELNS1_3gpuE8ELNS1_3repE0EEENS1_30default_config_static_selectorELNS0_4arch9wavefront6targetE0EEEvT1_
    .private_segment_fixed_size: 0
    .sgpr_count:     0
    .sgpr_spill_count: 0
    .symbol:         _ZN7rocprim17ROCPRIM_400000_NS6detail17trampoline_kernelINS0_14default_configENS1_25partition_config_selectorILNS1_17partition_subalgoE5ExNS0_10empty_typeEbEEZZNS1_14partition_implILS5_5ELb0ES3_mN6thrust23THRUST_200600_302600_NS6detail15normal_iteratorINSA_10device_ptrIxEEEEPS6_NSA_18transform_iteratorINSB_9not_fun_tINSA_8identityIxEEEESF_NSA_11use_defaultESM_EENS0_5tupleIJSF_S6_EEENSO_IJSG_SG_EEES6_PlJS6_EEE10hipError_tPvRmT3_T4_T5_T6_T7_T9_mT8_P12ihipStream_tbDpT10_ENKUlT_T0_E_clISt17integral_constantIbLb0EES1A_IbLb1EEEEDaS16_S17_EUlS16_E_NS1_11comp_targetILNS1_3genE4ELNS1_11target_archE910ELNS1_3gpuE8ELNS1_3repE0EEENS1_30default_config_static_selectorELNS0_4arch9wavefront6targetE0EEEvT1_.kd
    .uniform_work_group_size: 1
    .uses_dynamic_stack: false
    .vgpr_count:     0
    .vgpr_spill_count: 0
    .wavefront_size: 32
    .workgroup_processor_mode: 1
  - .args:
      - .offset:         0
        .size:           136
        .value_kind:     by_value
    .group_segment_fixed_size: 0
    .kernarg_segment_align: 8
    .kernarg_segment_size: 136
    .language:       OpenCL C
    .language_version:
      - 2
      - 0
    .max_flat_workgroup_size: 128
    .name:           _ZN7rocprim17ROCPRIM_400000_NS6detail17trampoline_kernelINS0_14default_configENS1_25partition_config_selectorILNS1_17partition_subalgoE5ExNS0_10empty_typeEbEEZZNS1_14partition_implILS5_5ELb0ES3_mN6thrust23THRUST_200600_302600_NS6detail15normal_iteratorINSA_10device_ptrIxEEEEPS6_NSA_18transform_iteratorINSB_9not_fun_tINSA_8identityIxEEEESF_NSA_11use_defaultESM_EENS0_5tupleIJSF_S6_EEENSO_IJSG_SG_EEES6_PlJS6_EEE10hipError_tPvRmT3_T4_T5_T6_T7_T9_mT8_P12ihipStream_tbDpT10_ENKUlT_T0_E_clISt17integral_constantIbLb0EES1A_IbLb1EEEEDaS16_S17_EUlS16_E_NS1_11comp_targetILNS1_3genE3ELNS1_11target_archE908ELNS1_3gpuE7ELNS1_3repE0EEENS1_30default_config_static_selectorELNS0_4arch9wavefront6targetE0EEEvT1_
    .private_segment_fixed_size: 0
    .sgpr_count:     0
    .sgpr_spill_count: 0
    .symbol:         _ZN7rocprim17ROCPRIM_400000_NS6detail17trampoline_kernelINS0_14default_configENS1_25partition_config_selectorILNS1_17partition_subalgoE5ExNS0_10empty_typeEbEEZZNS1_14partition_implILS5_5ELb0ES3_mN6thrust23THRUST_200600_302600_NS6detail15normal_iteratorINSA_10device_ptrIxEEEEPS6_NSA_18transform_iteratorINSB_9not_fun_tINSA_8identityIxEEEESF_NSA_11use_defaultESM_EENS0_5tupleIJSF_S6_EEENSO_IJSG_SG_EEES6_PlJS6_EEE10hipError_tPvRmT3_T4_T5_T6_T7_T9_mT8_P12ihipStream_tbDpT10_ENKUlT_T0_E_clISt17integral_constantIbLb0EES1A_IbLb1EEEEDaS16_S17_EUlS16_E_NS1_11comp_targetILNS1_3genE3ELNS1_11target_archE908ELNS1_3gpuE7ELNS1_3repE0EEENS1_30default_config_static_selectorELNS0_4arch9wavefront6targetE0EEEvT1_.kd
    .uniform_work_group_size: 1
    .uses_dynamic_stack: false
    .vgpr_count:     0
    .vgpr_spill_count: 0
    .wavefront_size: 32
    .workgroup_processor_mode: 1
  - .args:
      - .offset:         0
        .size:           136
        .value_kind:     by_value
    .group_segment_fixed_size: 0
    .kernarg_segment_align: 8
    .kernarg_segment_size: 136
    .language:       OpenCL C
    .language_version:
      - 2
      - 0
    .max_flat_workgroup_size: 256
    .name:           _ZN7rocprim17ROCPRIM_400000_NS6detail17trampoline_kernelINS0_14default_configENS1_25partition_config_selectorILNS1_17partition_subalgoE5ExNS0_10empty_typeEbEEZZNS1_14partition_implILS5_5ELb0ES3_mN6thrust23THRUST_200600_302600_NS6detail15normal_iteratorINSA_10device_ptrIxEEEEPS6_NSA_18transform_iteratorINSB_9not_fun_tINSA_8identityIxEEEESF_NSA_11use_defaultESM_EENS0_5tupleIJSF_S6_EEENSO_IJSG_SG_EEES6_PlJS6_EEE10hipError_tPvRmT3_T4_T5_T6_T7_T9_mT8_P12ihipStream_tbDpT10_ENKUlT_T0_E_clISt17integral_constantIbLb0EES1A_IbLb1EEEEDaS16_S17_EUlS16_E_NS1_11comp_targetILNS1_3genE2ELNS1_11target_archE906ELNS1_3gpuE6ELNS1_3repE0EEENS1_30default_config_static_selectorELNS0_4arch9wavefront6targetE0EEEvT1_
    .private_segment_fixed_size: 0
    .sgpr_count:     0
    .sgpr_spill_count: 0
    .symbol:         _ZN7rocprim17ROCPRIM_400000_NS6detail17trampoline_kernelINS0_14default_configENS1_25partition_config_selectorILNS1_17partition_subalgoE5ExNS0_10empty_typeEbEEZZNS1_14partition_implILS5_5ELb0ES3_mN6thrust23THRUST_200600_302600_NS6detail15normal_iteratorINSA_10device_ptrIxEEEEPS6_NSA_18transform_iteratorINSB_9not_fun_tINSA_8identityIxEEEESF_NSA_11use_defaultESM_EENS0_5tupleIJSF_S6_EEENSO_IJSG_SG_EEES6_PlJS6_EEE10hipError_tPvRmT3_T4_T5_T6_T7_T9_mT8_P12ihipStream_tbDpT10_ENKUlT_T0_E_clISt17integral_constantIbLb0EES1A_IbLb1EEEEDaS16_S17_EUlS16_E_NS1_11comp_targetILNS1_3genE2ELNS1_11target_archE906ELNS1_3gpuE6ELNS1_3repE0EEENS1_30default_config_static_selectorELNS0_4arch9wavefront6targetE0EEEvT1_.kd
    .uniform_work_group_size: 1
    .uses_dynamic_stack: false
    .vgpr_count:     0
    .vgpr_spill_count: 0
    .wavefront_size: 32
    .workgroup_processor_mode: 1
  - .args:
      - .offset:         0
        .size:           136
        .value_kind:     by_value
    .group_segment_fixed_size: 8464
    .kernarg_segment_align: 8
    .kernarg_segment_size: 136
    .language:       OpenCL C
    .language_version:
      - 2
      - 0
    .max_flat_workgroup_size: 256
    .name:           _ZN7rocprim17ROCPRIM_400000_NS6detail17trampoline_kernelINS0_14default_configENS1_25partition_config_selectorILNS1_17partition_subalgoE5ExNS0_10empty_typeEbEEZZNS1_14partition_implILS5_5ELb0ES3_mN6thrust23THRUST_200600_302600_NS6detail15normal_iteratorINSA_10device_ptrIxEEEEPS6_NSA_18transform_iteratorINSB_9not_fun_tINSA_8identityIxEEEESF_NSA_11use_defaultESM_EENS0_5tupleIJSF_S6_EEENSO_IJSG_SG_EEES6_PlJS6_EEE10hipError_tPvRmT3_T4_T5_T6_T7_T9_mT8_P12ihipStream_tbDpT10_ENKUlT_T0_E_clISt17integral_constantIbLb0EES1A_IbLb1EEEEDaS16_S17_EUlS16_E_NS1_11comp_targetILNS1_3genE10ELNS1_11target_archE1200ELNS1_3gpuE4ELNS1_3repE0EEENS1_30default_config_static_selectorELNS0_4arch9wavefront6targetE0EEEvT1_
    .private_segment_fixed_size: 0
    .sgpr_count:     28
    .sgpr_spill_count: 0
    .symbol:         _ZN7rocprim17ROCPRIM_400000_NS6detail17trampoline_kernelINS0_14default_configENS1_25partition_config_selectorILNS1_17partition_subalgoE5ExNS0_10empty_typeEbEEZZNS1_14partition_implILS5_5ELb0ES3_mN6thrust23THRUST_200600_302600_NS6detail15normal_iteratorINSA_10device_ptrIxEEEEPS6_NSA_18transform_iteratorINSB_9not_fun_tINSA_8identityIxEEEESF_NSA_11use_defaultESM_EENS0_5tupleIJSF_S6_EEENSO_IJSG_SG_EEES6_PlJS6_EEE10hipError_tPvRmT3_T4_T5_T6_T7_T9_mT8_P12ihipStream_tbDpT10_ENKUlT_T0_E_clISt17integral_constantIbLb0EES1A_IbLb1EEEEDaS16_S17_EUlS16_E_NS1_11comp_targetILNS1_3genE10ELNS1_11target_archE1200ELNS1_3gpuE4ELNS1_3repE0EEENS1_30default_config_static_selectorELNS0_4arch9wavefront6targetE0EEEvT1_.kd
    .uniform_work_group_size: 1
    .uses_dynamic_stack: false
    .vgpr_count:     48
    .vgpr_spill_count: 0
    .wavefront_size: 32
    .workgroup_processor_mode: 1
  - .args:
      - .offset:         0
        .size:           136
        .value_kind:     by_value
    .group_segment_fixed_size: 0
    .kernarg_segment_align: 8
    .kernarg_segment_size: 136
    .language:       OpenCL C
    .language_version:
      - 2
      - 0
    .max_flat_workgroup_size: 128
    .name:           _ZN7rocprim17ROCPRIM_400000_NS6detail17trampoline_kernelINS0_14default_configENS1_25partition_config_selectorILNS1_17partition_subalgoE5ExNS0_10empty_typeEbEEZZNS1_14partition_implILS5_5ELb0ES3_mN6thrust23THRUST_200600_302600_NS6detail15normal_iteratorINSA_10device_ptrIxEEEEPS6_NSA_18transform_iteratorINSB_9not_fun_tINSA_8identityIxEEEESF_NSA_11use_defaultESM_EENS0_5tupleIJSF_S6_EEENSO_IJSG_SG_EEES6_PlJS6_EEE10hipError_tPvRmT3_T4_T5_T6_T7_T9_mT8_P12ihipStream_tbDpT10_ENKUlT_T0_E_clISt17integral_constantIbLb0EES1A_IbLb1EEEEDaS16_S17_EUlS16_E_NS1_11comp_targetILNS1_3genE9ELNS1_11target_archE1100ELNS1_3gpuE3ELNS1_3repE0EEENS1_30default_config_static_selectorELNS0_4arch9wavefront6targetE0EEEvT1_
    .private_segment_fixed_size: 0
    .sgpr_count:     0
    .sgpr_spill_count: 0
    .symbol:         _ZN7rocprim17ROCPRIM_400000_NS6detail17trampoline_kernelINS0_14default_configENS1_25partition_config_selectorILNS1_17partition_subalgoE5ExNS0_10empty_typeEbEEZZNS1_14partition_implILS5_5ELb0ES3_mN6thrust23THRUST_200600_302600_NS6detail15normal_iteratorINSA_10device_ptrIxEEEEPS6_NSA_18transform_iteratorINSB_9not_fun_tINSA_8identityIxEEEESF_NSA_11use_defaultESM_EENS0_5tupleIJSF_S6_EEENSO_IJSG_SG_EEES6_PlJS6_EEE10hipError_tPvRmT3_T4_T5_T6_T7_T9_mT8_P12ihipStream_tbDpT10_ENKUlT_T0_E_clISt17integral_constantIbLb0EES1A_IbLb1EEEEDaS16_S17_EUlS16_E_NS1_11comp_targetILNS1_3genE9ELNS1_11target_archE1100ELNS1_3gpuE3ELNS1_3repE0EEENS1_30default_config_static_selectorELNS0_4arch9wavefront6targetE0EEEvT1_.kd
    .uniform_work_group_size: 1
    .uses_dynamic_stack: false
    .vgpr_count:     0
    .vgpr_spill_count: 0
    .wavefront_size: 32
    .workgroup_processor_mode: 1
  - .args:
      - .offset:         0
        .size:           136
        .value_kind:     by_value
    .group_segment_fixed_size: 0
    .kernarg_segment_align: 8
    .kernarg_segment_size: 136
    .language:       OpenCL C
    .language_version:
      - 2
      - 0
    .max_flat_workgroup_size: 512
    .name:           _ZN7rocprim17ROCPRIM_400000_NS6detail17trampoline_kernelINS0_14default_configENS1_25partition_config_selectorILNS1_17partition_subalgoE5ExNS0_10empty_typeEbEEZZNS1_14partition_implILS5_5ELb0ES3_mN6thrust23THRUST_200600_302600_NS6detail15normal_iteratorINSA_10device_ptrIxEEEEPS6_NSA_18transform_iteratorINSB_9not_fun_tINSA_8identityIxEEEESF_NSA_11use_defaultESM_EENS0_5tupleIJSF_S6_EEENSO_IJSG_SG_EEES6_PlJS6_EEE10hipError_tPvRmT3_T4_T5_T6_T7_T9_mT8_P12ihipStream_tbDpT10_ENKUlT_T0_E_clISt17integral_constantIbLb0EES1A_IbLb1EEEEDaS16_S17_EUlS16_E_NS1_11comp_targetILNS1_3genE8ELNS1_11target_archE1030ELNS1_3gpuE2ELNS1_3repE0EEENS1_30default_config_static_selectorELNS0_4arch9wavefront6targetE0EEEvT1_
    .private_segment_fixed_size: 0
    .sgpr_count:     0
    .sgpr_spill_count: 0
    .symbol:         _ZN7rocprim17ROCPRIM_400000_NS6detail17trampoline_kernelINS0_14default_configENS1_25partition_config_selectorILNS1_17partition_subalgoE5ExNS0_10empty_typeEbEEZZNS1_14partition_implILS5_5ELb0ES3_mN6thrust23THRUST_200600_302600_NS6detail15normal_iteratorINSA_10device_ptrIxEEEEPS6_NSA_18transform_iteratorINSB_9not_fun_tINSA_8identityIxEEEESF_NSA_11use_defaultESM_EENS0_5tupleIJSF_S6_EEENSO_IJSG_SG_EEES6_PlJS6_EEE10hipError_tPvRmT3_T4_T5_T6_T7_T9_mT8_P12ihipStream_tbDpT10_ENKUlT_T0_E_clISt17integral_constantIbLb0EES1A_IbLb1EEEEDaS16_S17_EUlS16_E_NS1_11comp_targetILNS1_3genE8ELNS1_11target_archE1030ELNS1_3gpuE2ELNS1_3repE0EEENS1_30default_config_static_selectorELNS0_4arch9wavefront6targetE0EEEvT1_.kd
    .uniform_work_group_size: 1
    .uses_dynamic_stack: false
    .vgpr_count:     0
    .vgpr_spill_count: 0
    .wavefront_size: 32
    .workgroup_processor_mode: 1
  - .args:
      - .offset:         0
        .size:           120
        .value_kind:     by_value
    .group_segment_fixed_size: 0
    .kernarg_segment_align: 8
    .kernarg_segment_size: 120
    .language:       OpenCL C
    .language_version:
      - 2
      - 0
    .max_flat_workgroup_size: 512
    .name:           _ZN7rocprim17ROCPRIM_400000_NS6detail17trampoline_kernelINS0_14default_configENS1_25partition_config_selectorILNS1_17partition_subalgoE5EiNS0_10empty_typeEbEEZZNS1_14partition_implILS5_5ELb0ES3_mN6thrust23THRUST_200600_302600_NS6detail15normal_iteratorINSA_10device_ptrIiEEEEPS6_NSA_18transform_iteratorINSB_9not_fun_tINSA_8identityIiEEEESF_NSA_11use_defaultESM_EENS0_5tupleIJSF_S6_EEENSO_IJSG_SG_EEES6_PlJS6_EEE10hipError_tPvRmT3_T4_T5_T6_T7_T9_mT8_P12ihipStream_tbDpT10_ENKUlT_T0_E_clISt17integral_constantIbLb0EES1B_EEDaS16_S17_EUlS16_E_NS1_11comp_targetILNS1_3genE0ELNS1_11target_archE4294967295ELNS1_3gpuE0ELNS1_3repE0EEENS1_30default_config_static_selectorELNS0_4arch9wavefront6targetE0EEEvT1_
    .private_segment_fixed_size: 0
    .sgpr_count:     0
    .sgpr_spill_count: 0
    .symbol:         _ZN7rocprim17ROCPRIM_400000_NS6detail17trampoline_kernelINS0_14default_configENS1_25partition_config_selectorILNS1_17partition_subalgoE5EiNS0_10empty_typeEbEEZZNS1_14partition_implILS5_5ELb0ES3_mN6thrust23THRUST_200600_302600_NS6detail15normal_iteratorINSA_10device_ptrIiEEEEPS6_NSA_18transform_iteratorINSB_9not_fun_tINSA_8identityIiEEEESF_NSA_11use_defaultESM_EENS0_5tupleIJSF_S6_EEENSO_IJSG_SG_EEES6_PlJS6_EEE10hipError_tPvRmT3_T4_T5_T6_T7_T9_mT8_P12ihipStream_tbDpT10_ENKUlT_T0_E_clISt17integral_constantIbLb0EES1B_EEDaS16_S17_EUlS16_E_NS1_11comp_targetILNS1_3genE0ELNS1_11target_archE4294967295ELNS1_3gpuE0ELNS1_3repE0EEENS1_30default_config_static_selectorELNS0_4arch9wavefront6targetE0EEEvT1_.kd
    .uniform_work_group_size: 1
    .uses_dynamic_stack: false
    .vgpr_count:     0
    .vgpr_spill_count: 0
    .wavefront_size: 32
    .workgroup_processor_mode: 1
  - .args:
      - .offset:         0
        .size:           120
        .value_kind:     by_value
    .group_segment_fixed_size: 0
    .kernarg_segment_align: 8
    .kernarg_segment_size: 120
    .language:       OpenCL C
    .language_version:
      - 2
      - 0
    .max_flat_workgroup_size: 512
    .name:           _ZN7rocprim17ROCPRIM_400000_NS6detail17trampoline_kernelINS0_14default_configENS1_25partition_config_selectorILNS1_17partition_subalgoE5EiNS0_10empty_typeEbEEZZNS1_14partition_implILS5_5ELb0ES3_mN6thrust23THRUST_200600_302600_NS6detail15normal_iteratorINSA_10device_ptrIiEEEEPS6_NSA_18transform_iteratorINSB_9not_fun_tINSA_8identityIiEEEESF_NSA_11use_defaultESM_EENS0_5tupleIJSF_S6_EEENSO_IJSG_SG_EEES6_PlJS6_EEE10hipError_tPvRmT3_T4_T5_T6_T7_T9_mT8_P12ihipStream_tbDpT10_ENKUlT_T0_E_clISt17integral_constantIbLb0EES1B_EEDaS16_S17_EUlS16_E_NS1_11comp_targetILNS1_3genE5ELNS1_11target_archE942ELNS1_3gpuE9ELNS1_3repE0EEENS1_30default_config_static_selectorELNS0_4arch9wavefront6targetE0EEEvT1_
    .private_segment_fixed_size: 0
    .sgpr_count:     0
    .sgpr_spill_count: 0
    .symbol:         _ZN7rocprim17ROCPRIM_400000_NS6detail17trampoline_kernelINS0_14default_configENS1_25partition_config_selectorILNS1_17partition_subalgoE5EiNS0_10empty_typeEbEEZZNS1_14partition_implILS5_5ELb0ES3_mN6thrust23THRUST_200600_302600_NS6detail15normal_iteratorINSA_10device_ptrIiEEEEPS6_NSA_18transform_iteratorINSB_9not_fun_tINSA_8identityIiEEEESF_NSA_11use_defaultESM_EENS0_5tupleIJSF_S6_EEENSO_IJSG_SG_EEES6_PlJS6_EEE10hipError_tPvRmT3_T4_T5_T6_T7_T9_mT8_P12ihipStream_tbDpT10_ENKUlT_T0_E_clISt17integral_constantIbLb0EES1B_EEDaS16_S17_EUlS16_E_NS1_11comp_targetILNS1_3genE5ELNS1_11target_archE942ELNS1_3gpuE9ELNS1_3repE0EEENS1_30default_config_static_selectorELNS0_4arch9wavefront6targetE0EEEvT1_.kd
    .uniform_work_group_size: 1
    .uses_dynamic_stack: false
    .vgpr_count:     0
    .vgpr_spill_count: 0
    .wavefront_size: 32
    .workgroup_processor_mode: 1
  - .args:
      - .offset:         0
        .size:           120
        .value_kind:     by_value
    .group_segment_fixed_size: 0
    .kernarg_segment_align: 8
    .kernarg_segment_size: 120
    .language:       OpenCL C
    .language_version:
      - 2
      - 0
    .max_flat_workgroup_size: 256
    .name:           _ZN7rocprim17ROCPRIM_400000_NS6detail17trampoline_kernelINS0_14default_configENS1_25partition_config_selectorILNS1_17partition_subalgoE5EiNS0_10empty_typeEbEEZZNS1_14partition_implILS5_5ELb0ES3_mN6thrust23THRUST_200600_302600_NS6detail15normal_iteratorINSA_10device_ptrIiEEEEPS6_NSA_18transform_iteratorINSB_9not_fun_tINSA_8identityIiEEEESF_NSA_11use_defaultESM_EENS0_5tupleIJSF_S6_EEENSO_IJSG_SG_EEES6_PlJS6_EEE10hipError_tPvRmT3_T4_T5_T6_T7_T9_mT8_P12ihipStream_tbDpT10_ENKUlT_T0_E_clISt17integral_constantIbLb0EES1B_EEDaS16_S17_EUlS16_E_NS1_11comp_targetILNS1_3genE4ELNS1_11target_archE910ELNS1_3gpuE8ELNS1_3repE0EEENS1_30default_config_static_selectorELNS0_4arch9wavefront6targetE0EEEvT1_
    .private_segment_fixed_size: 0
    .sgpr_count:     0
    .sgpr_spill_count: 0
    .symbol:         _ZN7rocprim17ROCPRIM_400000_NS6detail17trampoline_kernelINS0_14default_configENS1_25partition_config_selectorILNS1_17partition_subalgoE5EiNS0_10empty_typeEbEEZZNS1_14partition_implILS5_5ELb0ES3_mN6thrust23THRUST_200600_302600_NS6detail15normal_iteratorINSA_10device_ptrIiEEEEPS6_NSA_18transform_iteratorINSB_9not_fun_tINSA_8identityIiEEEESF_NSA_11use_defaultESM_EENS0_5tupleIJSF_S6_EEENSO_IJSG_SG_EEES6_PlJS6_EEE10hipError_tPvRmT3_T4_T5_T6_T7_T9_mT8_P12ihipStream_tbDpT10_ENKUlT_T0_E_clISt17integral_constantIbLb0EES1B_EEDaS16_S17_EUlS16_E_NS1_11comp_targetILNS1_3genE4ELNS1_11target_archE910ELNS1_3gpuE8ELNS1_3repE0EEENS1_30default_config_static_selectorELNS0_4arch9wavefront6targetE0EEEvT1_.kd
    .uniform_work_group_size: 1
    .uses_dynamic_stack: false
    .vgpr_count:     0
    .vgpr_spill_count: 0
    .wavefront_size: 32
    .workgroup_processor_mode: 1
  - .args:
      - .offset:         0
        .size:           120
        .value_kind:     by_value
    .group_segment_fixed_size: 0
    .kernarg_segment_align: 8
    .kernarg_segment_size: 120
    .language:       OpenCL C
    .language_version:
      - 2
      - 0
    .max_flat_workgroup_size: 512
    .name:           _ZN7rocprim17ROCPRIM_400000_NS6detail17trampoline_kernelINS0_14default_configENS1_25partition_config_selectorILNS1_17partition_subalgoE5EiNS0_10empty_typeEbEEZZNS1_14partition_implILS5_5ELb0ES3_mN6thrust23THRUST_200600_302600_NS6detail15normal_iteratorINSA_10device_ptrIiEEEEPS6_NSA_18transform_iteratorINSB_9not_fun_tINSA_8identityIiEEEESF_NSA_11use_defaultESM_EENS0_5tupleIJSF_S6_EEENSO_IJSG_SG_EEES6_PlJS6_EEE10hipError_tPvRmT3_T4_T5_T6_T7_T9_mT8_P12ihipStream_tbDpT10_ENKUlT_T0_E_clISt17integral_constantIbLb0EES1B_EEDaS16_S17_EUlS16_E_NS1_11comp_targetILNS1_3genE3ELNS1_11target_archE908ELNS1_3gpuE7ELNS1_3repE0EEENS1_30default_config_static_selectorELNS0_4arch9wavefront6targetE0EEEvT1_
    .private_segment_fixed_size: 0
    .sgpr_count:     0
    .sgpr_spill_count: 0
    .symbol:         _ZN7rocprim17ROCPRIM_400000_NS6detail17trampoline_kernelINS0_14default_configENS1_25partition_config_selectorILNS1_17partition_subalgoE5EiNS0_10empty_typeEbEEZZNS1_14partition_implILS5_5ELb0ES3_mN6thrust23THRUST_200600_302600_NS6detail15normal_iteratorINSA_10device_ptrIiEEEEPS6_NSA_18transform_iteratorINSB_9not_fun_tINSA_8identityIiEEEESF_NSA_11use_defaultESM_EENS0_5tupleIJSF_S6_EEENSO_IJSG_SG_EEES6_PlJS6_EEE10hipError_tPvRmT3_T4_T5_T6_T7_T9_mT8_P12ihipStream_tbDpT10_ENKUlT_T0_E_clISt17integral_constantIbLb0EES1B_EEDaS16_S17_EUlS16_E_NS1_11comp_targetILNS1_3genE3ELNS1_11target_archE908ELNS1_3gpuE7ELNS1_3repE0EEENS1_30default_config_static_selectorELNS0_4arch9wavefront6targetE0EEEvT1_.kd
    .uniform_work_group_size: 1
    .uses_dynamic_stack: false
    .vgpr_count:     0
    .vgpr_spill_count: 0
    .wavefront_size: 32
    .workgroup_processor_mode: 1
  - .args:
      - .offset:         0
        .size:           120
        .value_kind:     by_value
    .group_segment_fixed_size: 0
    .kernarg_segment_align: 8
    .kernarg_segment_size: 120
    .language:       OpenCL C
    .language_version:
      - 2
      - 0
    .max_flat_workgroup_size: 256
    .name:           _ZN7rocprim17ROCPRIM_400000_NS6detail17trampoline_kernelINS0_14default_configENS1_25partition_config_selectorILNS1_17partition_subalgoE5EiNS0_10empty_typeEbEEZZNS1_14partition_implILS5_5ELb0ES3_mN6thrust23THRUST_200600_302600_NS6detail15normal_iteratorINSA_10device_ptrIiEEEEPS6_NSA_18transform_iteratorINSB_9not_fun_tINSA_8identityIiEEEESF_NSA_11use_defaultESM_EENS0_5tupleIJSF_S6_EEENSO_IJSG_SG_EEES6_PlJS6_EEE10hipError_tPvRmT3_T4_T5_T6_T7_T9_mT8_P12ihipStream_tbDpT10_ENKUlT_T0_E_clISt17integral_constantIbLb0EES1B_EEDaS16_S17_EUlS16_E_NS1_11comp_targetILNS1_3genE2ELNS1_11target_archE906ELNS1_3gpuE6ELNS1_3repE0EEENS1_30default_config_static_selectorELNS0_4arch9wavefront6targetE0EEEvT1_
    .private_segment_fixed_size: 0
    .sgpr_count:     0
    .sgpr_spill_count: 0
    .symbol:         _ZN7rocprim17ROCPRIM_400000_NS6detail17trampoline_kernelINS0_14default_configENS1_25partition_config_selectorILNS1_17partition_subalgoE5EiNS0_10empty_typeEbEEZZNS1_14partition_implILS5_5ELb0ES3_mN6thrust23THRUST_200600_302600_NS6detail15normal_iteratorINSA_10device_ptrIiEEEEPS6_NSA_18transform_iteratorINSB_9not_fun_tINSA_8identityIiEEEESF_NSA_11use_defaultESM_EENS0_5tupleIJSF_S6_EEENSO_IJSG_SG_EEES6_PlJS6_EEE10hipError_tPvRmT3_T4_T5_T6_T7_T9_mT8_P12ihipStream_tbDpT10_ENKUlT_T0_E_clISt17integral_constantIbLb0EES1B_EEDaS16_S17_EUlS16_E_NS1_11comp_targetILNS1_3genE2ELNS1_11target_archE906ELNS1_3gpuE6ELNS1_3repE0EEENS1_30default_config_static_selectorELNS0_4arch9wavefront6targetE0EEEvT1_.kd
    .uniform_work_group_size: 1
    .uses_dynamic_stack: false
    .vgpr_count:     0
    .vgpr_spill_count: 0
    .wavefront_size: 32
    .workgroup_processor_mode: 1
  - .args:
      - .offset:         0
        .size:           120
        .value_kind:     by_value
    .group_segment_fixed_size: 6352
    .kernarg_segment_align: 8
    .kernarg_segment_size: 120
    .language:       OpenCL C
    .language_version:
      - 2
      - 0
    .max_flat_workgroup_size: 192
    .name:           _ZN7rocprim17ROCPRIM_400000_NS6detail17trampoline_kernelINS0_14default_configENS1_25partition_config_selectorILNS1_17partition_subalgoE5EiNS0_10empty_typeEbEEZZNS1_14partition_implILS5_5ELb0ES3_mN6thrust23THRUST_200600_302600_NS6detail15normal_iteratorINSA_10device_ptrIiEEEEPS6_NSA_18transform_iteratorINSB_9not_fun_tINSA_8identityIiEEEESF_NSA_11use_defaultESM_EENS0_5tupleIJSF_S6_EEENSO_IJSG_SG_EEES6_PlJS6_EEE10hipError_tPvRmT3_T4_T5_T6_T7_T9_mT8_P12ihipStream_tbDpT10_ENKUlT_T0_E_clISt17integral_constantIbLb0EES1B_EEDaS16_S17_EUlS16_E_NS1_11comp_targetILNS1_3genE10ELNS1_11target_archE1200ELNS1_3gpuE4ELNS1_3repE0EEENS1_30default_config_static_selectorELNS0_4arch9wavefront6targetE0EEEvT1_
    .private_segment_fixed_size: 0
    .sgpr_count:     24
    .sgpr_spill_count: 0
    .symbol:         _ZN7rocprim17ROCPRIM_400000_NS6detail17trampoline_kernelINS0_14default_configENS1_25partition_config_selectorILNS1_17partition_subalgoE5EiNS0_10empty_typeEbEEZZNS1_14partition_implILS5_5ELb0ES3_mN6thrust23THRUST_200600_302600_NS6detail15normal_iteratorINSA_10device_ptrIiEEEEPS6_NSA_18transform_iteratorINSB_9not_fun_tINSA_8identityIiEEEESF_NSA_11use_defaultESM_EENS0_5tupleIJSF_S6_EEENSO_IJSG_SG_EEES6_PlJS6_EEE10hipError_tPvRmT3_T4_T5_T6_T7_T9_mT8_P12ihipStream_tbDpT10_ENKUlT_T0_E_clISt17integral_constantIbLb0EES1B_EEDaS16_S17_EUlS16_E_NS1_11comp_targetILNS1_3genE10ELNS1_11target_archE1200ELNS1_3gpuE4ELNS1_3repE0EEENS1_30default_config_static_selectorELNS0_4arch9wavefront6targetE0EEEvT1_.kd
    .uniform_work_group_size: 1
    .uses_dynamic_stack: false
    .vgpr_count:     52
    .vgpr_spill_count: 0
    .wavefront_size: 32
    .workgroup_processor_mode: 1
  - .args:
      - .offset:         0
        .size:           120
        .value_kind:     by_value
    .group_segment_fixed_size: 0
    .kernarg_segment_align: 8
    .kernarg_segment_size: 120
    .language:       OpenCL C
    .language_version:
      - 2
      - 0
    .max_flat_workgroup_size: 128
    .name:           _ZN7rocprim17ROCPRIM_400000_NS6detail17trampoline_kernelINS0_14default_configENS1_25partition_config_selectorILNS1_17partition_subalgoE5EiNS0_10empty_typeEbEEZZNS1_14partition_implILS5_5ELb0ES3_mN6thrust23THRUST_200600_302600_NS6detail15normal_iteratorINSA_10device_ptrIiEEEEPS6_NSA_18transform_iteratorINSB_9not_fun_tINSA_8identityIiEEEESF_NSA_11use_defaultESM_EENS0_5tupleIJSF_S6_EEENSO_IJSG_SG_EEES6_PlJS6_EEE10hipError_tPvRmT3_T4_T5_T6_T7_T9_mT8_P12ihipStream_tbDpT10_ENKUlT_T0_E_clISt17integral_constantIbLb0EES1B_EEDaS16_S17_EUlS16_E_NS1_11comp_targetILNS1_3genE9ELNS1_11target_archE1100ELNS1_3gpuE3ELNS1_3repE0EEENS1_30default_config_static_selectorELNS0_4arch9wavefront6targetE0EEEvT1_
    .private_segment_fixed_size: 0
    .sgpr_count:     0
    .sgpr_spill_count: 0
    .symbol:         _ZN7rocprim17ROCPRIM_400000_NS6detail17trampoline_kernelINS0_14default_configENS1_25partition_config_selectorILNS1_17partition_subalgoE5EiNS0_10empty_typeEbEEZZNS1_14partition_implILS5_5ELb0ES3_mN6thrust23THRUST_200600_302600_NS6detail15normal_iteratorINSA_10device_ptrIiEEEEPS6_NSA_18transform_iteratorINSB_9not_fun_tINSA_8identityIiEEEESF_NSA_11use_defaultESM_EENS0_5tupleIJSF_S6_EEENSO_IJSG_SG_EEES6_PlJS6_EEE10hipError_tPvRmT3_T4_T5_T6_T7_T9_mT8_P12ihipStream_tbDpT10_ENKUlT_T0_E_clISt17integral_constantIbLb0EES1B_EEDaS16_S17_EUlS16_E_NS1_11comp_targetILNS1_3genE9ELNS1_11target_archE1100ELNS1_3gpuE3ELNS1_3repE0EEENS1_30default_config_static_selectorELNS0_4arch9wavefront6targetE0EEEvT1_.kd
    .uniform_work_group_size: 1
    .uses_dynamic_stack: false
    .vgpr_count:     0
    .vgpr_spill_count: 0
    .wavefront_size: 32
    .workgroup_processor_mode: 1
  - .args:
      - .offset:         0
        .size:           120
        .value_kind:     by_value
    .group_segment_fixed_size: 0
    .kernarg_segment_align: 8
    .kernarg_segment_size: 120
    .language:       OpenCL C
    .language_version:
      - 2
      - 0
    .max_flat_workgroup_size: 512
    .name:           _ZN7rocprim17ROCPRIM_400000_NS6detail17trampoline_kernelINS0_14default_configENS1_25partition_config_selectorILNS1_17partition_subalgoE5EiNS0_10empty_typeEbEEZZNS1_14partition_implILS5_5ELb0ES3_mN6thrust23THRUST_200600_302600_NS6detail15normal_iteratorINSA_10device_ptrIiEEEEPS6_NSA_18transform_iteratorINSB_9not_fun_tINSA_8identityIiEEEESF_NSA_11use_defaultESM_EENS0_5tupleIJSF_S6_EEENSO_IJSG_SG_EEES6_PlJS6_EEE10hipError_tPvRmT3_T4_T5_T6_T7_T9_mT8_P12ihipStream_tbDpT10_ENKUlT_T0_E_clISt17integral_constantIbLb0EES1B_EEDaS16_S17_EUlS16_E_NS1_11comp_targetILNS1_3genE8ELNS1_11target_archE1030ELNS1_3gpuE2ELNS1_3repE0EEENS1_30default_config_static_selectorELNS0_4arch9wavefront6targetE0EEEvT1_
    .private_segment_fixed_size: 0
    .sgpr_count:     0
    .sgpr_spill_count: 0
    .symbol:         _ZN7rocprim17ROCPRIM_400000_NS6detail17trampoline_kernelINS0_14default_configENS1_25partition_config_selectorILNS1_17partition_subalgoE5EiNS0_10empty_typeEbEEZZNS1_14partition_implILS5_5ELb0ES3_mN6thrust23THRUST_200600_302600_NS6detail15normal_iteratorINSA_10device_ptrIiEEEEPS6_NSA_18transform_iteratorINSB_9not_fun_tINSA_8identityIiEEEESF_NSA_11use_defaultESM_EENS0_5tupleIJSF_S6_EEENSO_IJSG_SG_EEES6_PlJS6_EEE10hipError_tPvRmT3_T4_T5_T6_T7_T9_mT8_P12ihipStream_tbDpT10_ENKUlT_T0_E_clISt17integral_constantIbLb0EES1B_EEDaS16_S17_EUlS16_E_NS1_11comp_targetILNS1_3genE8ELNS1_11target_archE1030ELNS1_3gpuE2ELNS1_3repE0EEENS1_30default_config_static_selectorELNS0_4arch9wavefront6targetE0EEEvT1_.kd
    .uniform_work_group_size: 1
    .uses_dynamic_stack: false
    .vgpr_count:     0
    .vgpr_spill_count: 0
    .wavefront_size: 32
    .workgroup_processor_mode: 1
  - .args:
      - .offset:         0
        .size:           136
        .value_kind:     by_value
    .group_segment_fixed_size: 0
    .kernarg_segment_align: 8
    .kernarg_segment_size: 136
    .language:       OpenCL C
    .language_version:
      - 2
      - 0
    .max_flat_workgroup_size: 512
    .name:           _ZN7rocprim17ROCPRIM_400000_NS6detail17trampoline_kernelINS0_14default_configENS1_25partition_config_selectorILNS1_17partition_subalgoE5EiNS0_10empty_typeEbEEZZNS1_14partition_implILS5_5ELb0ES3_mN6thrust23THRUST_200600_302600_NS6detail15normal_iteratorINSA_10device_ptrIiEEEEPS6_NSA_18transform_iteratorINSB_9not_fun_tINSA_8identityIiEEEESF_NSA_11use_defaultESM_EENS0_5tupleIJSF_S6_EEENSO_IJSG_SG_EEES6_PlJS6_EEE10hipError_tPvRmT3_T4_T5_T6_T7_T9_mT8_P12ihipStream_tbDpT10_ENKUlT_T0_E_clISt17integral_constantIbLb1EES1B_EEDaS16_S17_EUlS16_E_NS1_11comp_targetILNS1_3genE0ELNS1_11target_archE4294967295ELNS1_3gpuE0ELNS1_3repE0EEENS1_30default_config_static_selectorELNS0_4arch9wavefront6targetE0EEEvT1_
    .private_segment_fixed_size: 0
    .sgpr_count:     0
    .sgpr_spill_count: 0
    .symbol:         _ZN7rocprim17ROCPRIM_400000_NS6detail17trampoline_kernelINS0_14default_configENS1_25partition_config_selectorILNS1_17partition_subalgoE5EiNS0_10empty_typeEbEEZZNS1_14partition_implILS5_5ELb0ES3_mN6thrust23THRUST_200600_302600_NS6detail15normal_iteratorINSA_10device_ptrIiEEEEPS6_NSA_18transform_iteratorINSB_9not_fun_tINSA_8identityIiEEEESF_NSA_11use_defaultESM_EENS0_5tupleIJSF_S6_EEENSO_IJSG_SG_EEES6_PlJS6_EEE10hipError_tPvRmT3_T4_T5_T6_T7_T9_mT8_P12ihipStream_tbDpT10_ENKUlT_T0_E_clISt17integral_constantIbLb1EES1B_EEDaS16_S17_EUlS16_E_NS1_11comp_targetILNS1_3genE0ELNS1_11target_archE4294967295ELNS1_3gpuE0ELNS1_3repE0EEENS1_30default_config_static_selectorELNS0_4arch9wavefront6targetE0EEEvT1_.kd
    .uniform_work_group_size: 1
    .uses_dynamic_stack: false
    .vgpr_count:     0
    .vgpr_spill_count: 0
    .wavefront_size: 32
    .workgroup_processor_mode: 1
  - .args:
      - .offset:         0
        .size:           136
        .value_kind:     by_value
    .group_segment_fixed_size: 0
    .kernarg_segment_align: 8
    .kernarg_segment_size: 136
    .language:       OpenCL C
    .language_version:
      - 2
      - 0
    .max_flat_workgroup_size: 512
    .name:           _ZN7rocprim17ROCPRIM_400000_NS6detail17trampoline_kernelINS0_14default_configENS1_25partition_config_selectorILNS1_17partition_subalgoE5EiNS0_10empty_typeEbEEZZNS1_14partition_implILS5_5ELb0ES3_mN6thrust23THRUST_200600_302600_NS6detail15normal_iteratorINSA_10device_ptrIiEEEEPS6_NSA_18transform_iteratorINSB_9not_fun_tINSA_8identityIiEEEESF_NSA_11use_defaultESM_EENS0_5tupleIJSF_S6_EEENSO_IJSG_SG_EEES6_PlJS6_EEE10hipError_tPvRmT3_T4_T5_T6_T7_T9_mT8_P12ihipStream_tbDpT10_ENKUlT_T0_E_clISt17integral_constantIbLb1EES1B_EEDaS16_S17_EUlS16_E_NS1_11comp_targetILNS1_3genE5ELNS1_11target_archE942ELNS1_3gpuE9ELNS1_3repE0EEENS1_30default_config_static_selectorELNS0_4arch9wavefront6targetE0EEEvT1_
    .private_segment_fixed_size: 0
    .sgpr_count:     0
    .sgpr_spill_count: 0
    .symbol:         _ZN7rocprim17ROCPRIM_400000_NS6detail17trampoline_kernelINS0_14default_configENS1_25partition_config_selectorILNS1_17partition_subalgoE5EiNS0_10empty_typeEbEEZZNS1_14partition_implILS5_5ELb0ES3_mN6thrust23THRUST_200600_302600_NS6detail15normal_iteratorINSA_10device_ptrIiEEEEPS6_NSA_18transform_iteratorINSB_9not_fun_tINSA_8identityIiEEEESF_NSA_11use_defaultESM_EENS0_5tupleIJSF_S6_EEENSO_IJSG_SG_EEES6_PlJS6_EEE10hipError_tPvRmT3_T4_T5_T6_T7_T9_mT8_P12ihipStream_tbDpT10_ENKUlT_T0_E_clISt17integral_constantIbLb1EES1B_EEDaS16_S17_EUlS16_E_NS1_11comp_targetILNS1_3genE5ELNS1_11target_archE942ELNS1_3gpuE9ELNS1_3repE0EEENS1_30default_config_static_selectorELNS0_4arch9wavefront6targetE0EEEvT1_.kd
    .uniform_work_group_size: 1
    .uses_dynamic_stack: false
    .vgpr_count:     0
    .vgpr_spill_count: 0
    .wavefront_size: 32
    .workgroup_processor_mode: 1
  - .args:
      - .offset:         0
        .size:           136
        .value_kind:     by_value
    .group_segment_fixed_size: 0
    .kernarg_segment_align: 8
    .kernarg_segment_size: 136
    .language:       OpenCL C
    .language_version:
      - 2
      - 0
    .max_flat_workgroup_size: 256
    .name:           _ZN7rocprim17ROCPRIM_400000_NS6detail17trampoline_kernelINS0_14default_configENS1_25partition_config_selectorILNS1_17partition_subalgoE5EiNS0_10empty_typeEbEEZZNS1_14partition_implILS5_5ELb0ES3_mN6thrust23THRUST_200600_302600_NS6detail15normal_iteratorINSA_10device_ptrIiEEEEPS6_NSA_18transform_iteratorINSB_9not_fun_tINSA_8identityIiEEEESF_NSA_11use_defaultESM_EENS0_5tupleIJSF_S6_EEENSO_IJSG_SG_EEES6_PlJS6_EEE10hipError_tPvRmT3_T4_T5_T6_T7_T9_mT8_P12ihipStream_tbDpT10_ENKUlT_T0_E_clISt17integral_constantIbLb1EES1B_EEDaS16_S17_EUlS16_E_NS1_11comp_targetILNS1_3genE4ELNS1_11target_archE910ELNS1_3gpuE8ELNS1_3repE0EEENS1_30default_config_static_selectorELNS0_4arch9wavefront6targetE0EEEvT1_
    .private_segment_fixed_size: 0
    .sgpr_count:     0
    .sgpr_spill_count: 0
    .symbol:         _ZN7rocprim17ROCPRIM_400000_NS6detail17trampoline_kernelINS0_14default_configENS1_25partition_config_selectorILNS1_17partition_subalgoE5EiNS0_10empty_typeEbEEZZNS1_14partition_implILS5_5ELb0ES3_mN6thrust23THRUST_200600_302600_NS6detail15normal_iteratorINSA_10device_ptrIiEEEEPS6_NSA_18transform_iteratorINSB_9not_fun_tINSA_8identityIiEEEESF_NSA_11use_defaultESM_EENS0_5tupleIJSF_S6_EEENSO_IJSG_SG_EEES6_PlJS6_EEE10hipError_tPvRmT3_T4_T5_T6_T7_T9_mT8_P12ihipStream_tbDpT10_ENKUlT_T0_E_clISt17integral_constantIbLb1EES1B_EEDaS16_S17_EUlS16_E_NS1_11comp_targetILNS1_3genE4ELNS1_11target_archE910ELNS1_3gpuE8ELNS1_3repE0EEENS1_30default_config_static_selectorELNS0_4arch9wavefront6targetE0EEEvT1_.kd
    .uniform_work_group_size: 1
    .uses_dynamic_stack: false
    .vgpr_count:     0
    .vgpr_spill_count: 0
    .wavefront_size: 32
    .workgroup_processor_mode: 1
  - .args:
      - .offset:         0
        .size:           136
        .value_kind:     by_value
    .group_segment_fixed_size: 0
    .kernarg_segment_align: 8
    .kernarg_segment_size: 136
    .language:       OpenCL C
    .language_version:
      - 2
      - 0
    .max_flat_workgroup_size: 512
    .name:           _ZN7rocprim17ROCPRIM_400000_NS6detail17trampoline_kernelINS0_14default_configENS1_25partition_config_selectorILNS1_17partition_subalgoE5EiNS0_10empty_typeEbEEZZNS1_14partition_implILS5_5ELb0ES3_mN6thrust23THRUST_200600_302600_NS6detail15normal_iteratorINSA_10device_ptrIiEEEEPS6_NSA_18transform_iteratorINSB_9not_fun_tINSA_8identityIiEEEESF_NSA_11use_defaultESM_EENS0_5tupleIJSF_S6_EEENSO_IJSG_SG_EEES6_PlJS6_EEE10hipError_tPvRmT3_T4_T5_T6_T7_T9_mT8_P12ihipStream_tbDpT10_ENKUlT_T0_E_clISt17integral_constantIbLb1EES1B_EEDaS16_S17_EUlS16_E_NS1_11comp_targetILNS1_3genE3ELNS1_11target_archE908ELNS1_3gpuE7ELNS1_3repE0EEENS1_30default_config_static_selectorELNS0_4arch9wavefront6targetE0EEEvT1_
    .private_segment_fixed_size: 0
    .sgpr_count:     0
    .sgpr_spill_count: 0
    .symbol:         _ZN7rocprim17ROCPRIM_400000_NS6detail17trampoline_kernelINS0_14default_configENS1_25partition_config_selectorILNS1_17partition_subalgoE5EiNS0_10empty_typeEbEEZZNS1_14partition_implILS5_5ELb0ES3_mN6thrust23THRUST_200600_302600_NS6detail15normal_iteratorINSA_10device_ptrIiEEEEPS6_NSA_18transform_iteratorINSB_9not_fun_tINSA_8identityIiEEEESF_NSA_11use_defaultESM_EENS0_5tupleIJSF_S6_EEENSO_IJSG_SG_EEES6_PlJS6_EEE10hipError_tPvRmT3_T4_T5_T6_T7_T9_mT8_P12ihipStream_tbDpT10_ENKUlT_T0_E_clISt17integral_constantIbLb1EES1B_EEDaS16_S17_EUlS16_E_NS1_11comp_targetILNS1_3genE3ELNS1_11target_archE908ELNS1_3gpuE7ELNS1_3repE0EEENS1_30default_config_static_selectorELNS0_4arch9wavefront6targetE0EEEvT1_.kd
    .uniform_work_group_size: 1
    .uses_dynamic_stack: false
    .vgpr_count:     0
    .vgpr_spill_count: 0
    .wavefront_size: 32
    .workgroup_processor_mode: 1
  - .args:
      - .offset:         0
        .size:           136
        .value_kind:     by_value
    .group_segment_fixed_size: 0
    .kernarg_segment_align: 8
    .kernarg_segment_size: 136
    .language:       OpenCL C
    .language_version:
      - 2
      - 0
    .max_flat_workgroup_size: 256
    .name:           _ZN7rocprim17ROCPRIM_400000_NS6detail17trampoline_kernelINS0_14default_configENS1_25partition_config_selectorILNS1_17partition_subalgoE5EiNS0_10empty_typeEbEEZZNS1_14partition_implILS5_5ELb0ES3_mN6thrust23THRUST_200600_302600_NS6detail15normal_iteratorINSA_10device_ptrIiEEEEPS6_NSA_18transform_iteratorINSB_9not_fun_tINSA_8identityIiEEEESF_NSA_11use_defaultESM_EENS0_5tupleIJSF_S6_EEENSO_IJSG_SG_EEES6_PlJS6_EEE10hipError_tPvRmT3_T4_T5_T6_T7_T9_mT8_P12ihipStream_tbDpT10_ENKUlT_T0_E_clISt17integral_constantIbLb1EES1B_EEDaS16_S17_EUlS16_E_NS1_11comp_targetILNS1_3genE2ELNS1_11target_archE906ELNS1_3gpuE6ELNS1_3repE0EEENS1_30default_config_static_selectorELNS0_4arch9wavefront6targetE0EEEvT1_
    .private_segment_fixed_size: 0
    .sgpr_count:     0
    .sgpr_spill_count: 0
    .symbol:         _ZN7rocprim17ROCPRIM_400000_NS6detail17trampoline_kernelINS0_14default_configENS1_25partition_config_selectorILNS1_17partition_subalgoE5EiNS0_10empty_typeEbEEZZNS1_14partition_implILS5_5ELb0ES3_mN6thrust23THRUST_200600_302600_NS6detail15normal_iteratorINSA_10device_ptrIiEEEEPS6_NSA_18transform_iteratorINSB_9not_fun_tINSA_8identityIiEEEESF_NSA_11use_defaultESM_EENS0_5tupleIJSF_S6_EEENSO_IJSG_SG_EEES6_PlJS6_EEE10hipError_tPvRmT3_T4_T5_T6_T7_T9_mT8_P12ihipStream_tbDpT10_ENKUlT_T0_E_clISt17integral_constantIbLb1EES1B_EEDaS16_S17_EUlS16_E_NS1_11comp_targetILNS1_3genE2ELNS1_11target_archE906ELNS1_3gpuE6ELNS1_3repE0EEENS1_30default_config_static_selectorELNS0_4arch9wavefront6targetE0EEEvT1_.kd
    .uniform_work_group_size: 1
    .uses_dynamic_stack: false
    .vgpr_count:     0
    .vgpr_spill_count: 0
    .wavefront_size: 32
    .workgroup_processor_mode: 1
  - .args:
      - .offset:         0
        .size:           136
        .value_kind:     by_value
    .group_segment_fixed_size: 0
    .kernarg_segment_align: 8
    .kernarg_segment_size: 136
    .language:       OpenCL C
    .language_version:
      - 2
      - 0
    .max_flat_workgroup_size: 192
    .name:           _ZN7rocprim17ROCPRIM_400000_NS6detail17trampoline_kernelINS0_14default_configENS1_25partition_config_selectorILNS1_17partition_subalgoE5EiNS0_10empty_typeEbEEZZNS1_14partition_implILS5_5ELb0ES3_mN6thrust23THRUST_200600_302600_NS6detail15normal_iteratorINSA_10device_ptrIiEEEEPS6_NSA_18transform_iteratorINSB_9not_fun_tINSA_8identityIiEEEESF_NSA_11use_defaultESM_EENS0_5tupleIJSF_S6_EEENSO_IJSG_SG_EEES6_PlJS6_EEE10hipError_tPvRmT3_T4_T5_T6_T7_T9_mT8_P12ihipStream_tbDpT10_ENKUlT_T0_E_clISt17integral_constantIbLb1EES1B_EEDaS16_S17_EUlS16_E_NS1_11comp_targetILNS1_3genE10ELNS1_11target_archE1200ELNS1_3gpuE4ELNS1_3repE0EEENS1_30default_config_static_selectorELNS0_4arch9wavefront6targetE0EEEvT1_
    .private_segment_fixed_size: 0
    .sgpr_count:     0
    .sgpr_spill_count: 0
    .symbol:         _ZN7rocprim17ROCPRIM_400000_NS6detail17trampoline_kernelINS0_14default_configENS1_25partition_config_selectorILNS1_17partition_subalgoE5EiNS0_10empty_typeEbEEZZNS1_14partition_implILS5_5ELb0ES3_mN6thrust23THRUST_200600_302600_NS6detail15normal_iteratorINSA_10device_ptrIiEEEEPS6_NSA_18transform_iteratorINSB_9not_fun_tINSA_8identityIiEEEESF_NSA_11use_defaultESM_EENS0_5tupleIJSF_S6_EEENSO_IJSG_SG_EEES6_PlJS6_EEE10hipError_tPvRmT3_T4_T5_T6_T7_T9_mT8_P12ihipStream_tbDpT10_ENKUlT_T0_E_clISt17integral_constantIbLb1EES1B_EEDaS16_S17_EUlS16_E_NS1_11comp_targetILNS1_3genE10ELNS1_11target_archE1200ELNS1_3gpuE4ELNS1_3repE0EEENS1_30default_config_static_selectorELNS0_4arch9wavefront6targetE0EEEvT1_.kd
    .uniform_work_group_size: 1
    .uses_dynamic_stack: false
    .vgpr_count:     0
    .vgpr_spill_count: 0
    .wavefront_size: 32
    .workgroup_processor_mode: 1
  - .args:
      - .offset:         0
        .size:           136
        .value_kind:     by_value
    .group_segment_fixed_size: 0
    .kernarg_segment_align: 8
    .kernarg_segment_size: 136
    .language:       OpenCL C
    .language_version:
      - 2
      - 0
    .max_flat_workgroup_size: 128
    .name:           _ZN7rocprim17ROCPRIM_400000_NS6detail17trampoline_kernelINS0_14default_configENS1_25partition_config_selectorILNS1_17partition_subalgoE5EiNS0_10empty_typeEbEEZZNS1_14partition_implILS5_5ELb0ES3_mN6thrust23THRUST_200600_302600_NS6detail15normal_iteratorINSA_10device_ptrIiEEEEPS6_NSA_18transform_iteratorINSB_9not_fun_tINSA_8identityIiEEEESF_NSA_11use_defaultESM_EENS0_5tupleIJSF_S6_EEENSO_IJSG_SG_EEES6_PlJS6_EEE10hipError_tPvRmT3_T4_T5_T6_T7_T9_mT8_P12ihipStream_tbDpT10_ENKUlT_T0_E_clISt17integral_constantIbLb1EES1B_EEDaS16_S17_EUlS16_E_NS1_11comp_targetILNS1_3genE9ELNS1_11target_archE1100ELNS1_3gpuE3ELNS1_3repE0EEENS1_30default_config_static_selectorELNS0_4arch9wavefront6targetE0EEEvT1_
    .private_segment_fixed_size: 0
    .sgpr_count:     0
    .sgpr_spill_count: 0
    .symbol:         _ZN7rocprim17ROCPRIM_400000_NS6detail17trampoline_kernelINS0_14default_configENS1_25partition_config_selectorILNS1_17partition_subalgoE5EiNS0_10empty_typeEbEEZZNS1_14partition_implILS5_5ELb0ES3_mN6thrust23THRUST_200600_302600_NS6detail15normal_iteratorINSA_10device_ptrIiEEEEPS6_NSA_18transform_iteratorINSB_9not_fun_tINSA_8identityIiEEEESF_NSA_11use_defaultESM_EENS0_5tupleIJSF_S6_EEENSO_IJSG_SG_EEES6_PlJS6_EEE10hipError_tPvRmT3_T4_T5_T6_T7_T9_mT8_P12ihipStream_tbDpT10_ENKUlT_T0_E_clISt17integral_constantIbLb1EES1B_EEDaS16_S17_EUlS16_E_NS1_11comp_targetILNS1_3genE9ELNS1_11target_archE1100ELNS1_3gpuE3ELNS1_3repE0EEENS1_30default_config_static_selectorELNS0_4arch9wavefront6targetE0EEEvT1_.kd
    .uniform_work_group_size: 1
    .uses_dynamic_stack: false
    .vgpr_count:     0
    .vgpr_spill_count: 0
    .wavefront_size: 32
    .workgroup_processor_mode: 1
  - .args:
      - .offset:         0
        .size:           136
        .value_kind:     by_value
    .group_segment_fixed_size: 0
    .kernarg_segment_align: 8
    .kernarg_segment_size: 136
    .language:       OpenCL C
    .language_version:
      - 2
      - 0
    .max_flat_workgroup_size: 512
    .name:           _ZN7rocprim17ROCPRIM_400000_NS6detail17trampoline_kernelINS0_14default_configENS1_25partition_config_selectorILNS1_17partition_subalgoE5EiNS0_10empty_typeEbEEZZNS1_14partition_implILS5_5ELb0ES3_mN6thrust23THRUST_200600_302600_NS6detail15normal_iteratorINSA_10device_ptrIiEEEEPS6_NSA_18transform_iteratorINSB_9not_fun_tINSA_8identityIiEEEESF_NSA_11use_defaultESM_EENS0_5tupleIJSF_S6_EEENSO_IJSG_SG_EEES6_PlJS6_EEE10hipError_tPvRmT3_T4_T5_T6_T7_T9_mT8_P12ihipStream_tbDpT10_ENKUlT_T0_E_clISt17integral_constantIbLb1EES1B_EEDaS16_S17_EUlS16_E_NS1_11comp_targetILNS1_3genE8ELNS1_11target_archE1030ELNS1_3gpuE2ELNS1_3repE0EEENS1_30default_config_static_selectorELNS0_4arch9wavefront6targetE0EEEvT1_
    .private_segment_fixed_size: 0
    .sgpr_count:     0
    .sgpr_spill_count: 0
    .symbol:         _ZN7rocprim17ROCPRIM_400000_NS6detail17trampoline_kernelINS0_14default_configENS1_25partition_config_selectorILNS1_17partition_subalgoE5EiNS0_10empty_typeEbEEZZNS1_14partition_implILS5_5ELb0ES3_mN6thrust23THRUST_200600_302600_NS6detail15normal_iteratorINSA_10device_ptrIiEEEEPS6_NSA_18transform_iteratorINSB_9not_fun_tINSA_8identityIiEEEESF_NSA_11use_defaultESM_EENS0_5tupleIJSF_S6_EEENSO_IJSG_SG_EEES6_PlJS6_EEE10hipError_tPvRmT3_T4_T5_T6_T7_T9_mT8_P12ihipStream_tbDpT10_ENKUlT_T0_E_clISt17integral_constantIbLb1EES1B_EEDaS16_S17_EUlS16_E_NS1_11comp_targetILNS1_3genE8ELNS1_11target_archE1030ELNS1_3gpuE2ELNS1_3repE0EEENS1_30default_config_static_selectorELNS0_4arch9wavefront6targetE0EEEvT1_.kd
    .uniform_work_group_size: 1
    .uses_dynamic_stack: false
    .vgpr_count:     0
    .vgpr_spill_count: 0
    .wavefront_size: 32
    .workgroup_processor_mode: 1
  - .args:
      - .offset:         0
        .size:           120
        .value_kind:     by_value
    .group_segment_fixed_size: 0
    .kernarg_segment_align: 8
    .kernarg_segment_size: 120
    .language:       OpenCL C
    .language_version:
      - 2
      - 0
    .max_flat_workgroup_size: 512
    .name:           _ZN7rocprim17ROCPRIM_400000_NS6detail17trampoline_kernelINS0_14default_configENS1_25partition_config_selectorILNS1_17partition_subalgoE5EiNS0_10empty_typeEbEEZZNS1_14partition_implILS5_5ELb0ES3_mN6thrust23THRUST_200600_302600_NS6detail15normal_iteratorINSA_10device_ptrIiEEEEPS6_NSA_18transform_iteratorINSB_9not_fun_tINSA_8identityIiEEEESF_NSA_11use_defaultESM_EENS0_5tupleIJSF_S6_EEENSO_IJSG_SG_EEES6_PlJS6_EEE10hipError_tPvRmT3_T4_T5_T6_T7_T9_mT8_P12ihipStream_tbDpT10_ENKUlT_T0_E_clISt17integral_constantIbLb1EES1A_IbLb0EEEEDaS16_S17_EUlS16_E_NS1_11comp_targetILNS1_3genE0ELNS1_11target_archE4294967295ELNS1_3gpuE0ELNS1_3repE0EEENS1_30default_config_static_selectorELNS0_4arch9wavefront6targetE0EEEvT1_
    .private_segment_fixed_size: 0
    .sgpr_count:     0
    .sgpr_spill_count: 0
    .symbol:         _ZN7rocprim17ROCPRIM_400000_NS6detail17trampoline_kernelINS0_14default_configENS1_25partition_config_selectorILNS1_17partition_subalgoE5EiNS0_10empty_typeEbEEZZNS1_14partition_implILS5_5ELb0ES3_mN6thrust23THRUST_200600_302600_NS6detail15normal_iteratorINSA_10device_ptrIiEEEEPS6_NSA_18transform_iteratorINSB_9not_fun_tINSA_8identityIiEEEESF_NSA_11use_defaultESM_EENS0_5tupleIJSF_S6_EEENSO_IJSG_SG_EEES6_PlJS6_EEE10hipError_tPvRmT3_T4_T5_T6_T7_T9_mT8_P12ihipStream_tbDpT10_ENKUlT_T0_E_clISt17integral_constantIbLb1EES1A_IbLb0EEEEDaS16_S17_EUlS16_E_NS1_11comp_targetILNS1_3genE0ELNS1_11target_archE4294967295ELNS1_3gpuE0ELNS1_3repE0EEENS1_30default_config_static_selectorELNS0_4arch9wavefront6targetE0EEEvT1_.kd
    .uniform_work_group_size: 1
    .uses_dynamic_stack: false
    .vgpr_count:     0
    .vgpr_spill_count: 0
    .wavefront_size: 32
    .workgroup_processor_mode: 1
  - .args:
      - .offset:         0
        .size:           120
        .value_kind:     by_value
    .group_segment_fixed_size: 0
    .kernarg_segment_align: 8
    .kernarg_segment_size: 120
    .language:       OpenCL C
    .language_version:
      - 2
      - 0
    .max_flat_workgroup_size: 512
    .name:           _ZN7rocprim17ROCPRIM_400000_NS6detail17trampoline_kernelINS0_14default_configENS1_25partition_config_selectorILNS1_17partition_subalgoE5EiNS0_10empty_typeEbEEZZNS1_14partition_implILS5_5ELb0ES3_mN6thrust23THRUST_200600_302600_NS6detail15normal_iteratorINSA_10device_ptrIiEEEEPS6_NSA_18transform_iteratorINSB_9not_fun_tINSA_8identityIiEEEESF_NSA_11use_defaultESM_EENS0_5tupleIJSF_S6_EEENSO_IJSG_SG_EEES6_PlJS6_EEE10hipError_tPvRmT3_T4_T5_T6_T7_T9_mT8_P12ihipStream_tbDpT10_ENKUlT_T0_E_clISt17integral_constantIbLb1EES1A_IbLb0EEEEDaS16_S17_EUlS16_E_NS1_11comp_targetILNS1_3genE5ELNS1_11target_archE942ELNS1_3gpuE9ELNS1_3repE0EEENS1_30default_config_static_selectorELNS0_4arch9wavefront6targetE0EEEvT1_
    .private_segment_fixed_size: 0
    .sgpr_count:     0
    .sgpr_spill_count: 0
    .symbol:         _ZN7rocprim17ROCPRIM_400000_NS6detail17trampoline_kernelINS0_14default_configENS1_25partition_config_selectorILNS1_17partition_subalgoE5EiNS0_10empty_typeEbEEZZNS1_14partition_implILS5_5ELb0ES3_mN6thrust23THRUST_200600_302600_NS6detail15normal_iteratorINSA_10device_ptrIiEEEEPS6_NSA_18transform_iteratorINSB_9not_fun_tINSA_8identityIiEEEESF_NSA_11use_defaultESM_EENS0_5tupleIJSF_S6_EEENSO_IJSG_SG_EEES6_PlJS6_EEE10hipError_tPvRmT3_T4_T5_T6_T7_T9_mT8_P12ihipStream_tbDpT10_ENKUlT_T0_E_clISt17integral_constantIbLb1EES1A_IbLb0EEEEDaS16_S17_EUlS16_E_NS1_11comp_targetILNS1_3genE5ELNS1_11target_archE942ELNS1_3gpuE9ELNS1_3repE0EEENS1_30default_config_static_selectorELNS0_4arch9wavefront6targetE0EEEvT1_.kd
    .uniform_work_group_size: 1
    .uses_dynamic_stack: false
    .vgpr_count:     0
    .vgpr_spill_count: 0
    .wavefront_size: 32
    .workgroup_processor_mode: 1
  - .args:
      - .offset:         0
        .size:           120
        .value_kind:     by_value
    .group_segment_fixed_size: 0
    .kernarg_segment_align: 8
    .kernarg_segment_size: 120
    .language:       OpenCL C
    .language_version:
      - 2
      - 0
    .max_flat_workgroup_size: 256
    .name:           _ZN7rocprim17ROCPRIM_400000_NS6detail17trampoline_kernelINS0_14default_configENS1_25partition_config_selectorILNS1_17partition_subalgoE5EiNS0_10empty_typeEbEEZZNS1_14partition_implILS5_5ELb0ES3_mN6thrust23THRUST_200600_302600_NS6detail15normal_iteratorINSA_10device_ptrIiEEEEPS6_NSA_18transform_iteratorINSB_9not_fun_tINSA_8identityIiEEEESF_NSA_11use_defaultESM_EENS0_5tupleIJSF_S6_EEENSO_IJSG_SG_EEES6_PlJS6_EEE10hipError_tPvRmT3_T4_T5_T6_T7_T9_mT8_P12ihipStream_tbDpT10_ENKUlT_T0_E_clISt17integral_constantIbLb1EES1A_IbLb0EEEEDaS16_S17_EUlS16_E_NS1_11comp_targetILNS1_3genE4ELNS1_11target_archE910ELNS1_3gpuE8ELNS1_3repE0EEENS1_30default_config_static_selectorELNS0_4arch9wavefront6targetE0EEEvT1_
    .private_segment_fixed_size: 0
    .sgpr_count:     0
    .sgpr_spill_count: 0
    .symbol:         _ZN7rocprim17ROCPRIM_400000_NS6detail17trampoline_kernelINS0_14default_configENS1_25partition_config_selectorILNS1_17partition_subalgoE5EiNS0_10empty_typeEbEEZZNS1_14partition_implILS5_5ELb0ES3_mN6thrust23THRUST_200600_302600_NS6detail15normal_iteratorINSA_10device_ptrIiEEEEPS6_NSA_18transform_iteratorINSB_9not_fun_tINSA_8identityIiEEEESF_NSA_11use_defaultESM_EENS0_5tupleIJSF_S6_EEENSO_IJSG_SG_EEES6_PlJS6_EEE10hipError_tPvRmT3_T4_T5_T6_T7_T9_mT8_P12ihipStream_tbDpT10_ENKUlT_T0_E_clISt17integral_constantIbLb1EES1A_IbLb0EEEEDaS16_S17_EUlS16_E_NS1_11comp_targetILNS1_3genE4ELNS1_11target_archE910ELNS1_3gpuE8ELNS1_3repE0EEENS1_30default_config_static_selectorELNS0_4arch9wavefront6targetE0EEEvT1_.kd
    .uniform_work_group_size: 1
    .uses_dynamic_stack: false
    .vgpr_count:     0
    .vgpr_spill_count: 0
    .wavefront_size: 32
    .workgroup_processor_mode: 1
  - .args:
      - .offset:         0
        .size:           120
        .value_kind:     by_value
    .group_segment_fixed_size: 0
    .kernarg_segment_align: 8
    .kernarg_segment_size: 120
    .language:       OpenCL C
    .language_version:
      - 2
      - 0
    .max_flat_workgroup_size: 512
    .name:           _ZN7rocprim17ROCPRIM_400000_NS6detail17trampoline_kernelINS0_14default_configENS1_25partition_config_selectorILNS1_17partition_subalgoE5EiNS0_10empty_typeEbEEZZNS1_14partition_implILS5_5ELb0ES3_mN6thrust23THRUST_200600_302600_NS6detail15normal_iteratorINSA_10device_ptrIiEEEEPS6_NSA_18transform_iteratorINSB_9not_fun_tINSA_8identityIiEEEESF_NSA_11use_defaultESM_EENS0_5tupleIJSF_S6_EEENSO_IJSG_SG_EEES6_PlJS6_EEE10hipError_tPvRmT3_T4_T5_T6_T7_T9_mT8_P12ihipStream_tbDpT10_ENKUlT_T0_E_clISt17integral_constantIbLb1EES1A_IbLb0EEEEDaS16_S17_EUlS16_E_NS1_11comp_targetILNS1_3genE3ELNS1_11target_archE908ELNS1_3gpuE7ELNS1_3repE0EEENS1_30default_config_static_selectorELNS0_4arch9wavefront6targetE0EEEvT1_
    .private_segment_fixed_size: 0
    .sgpr_count:     0
    .sgpr_spill_count: 0
    .symbol:         _ZN7rocprim17ROCPRIM_400000_NS6detail17trampoline_kernelINS0_14default_configENS1_25partition_config_selectorILNS1_17partition_subalgoE5EiNS0_10empty_typeEbEEZZNS1_14partition_implILS5_5ELb0ES3_mN6thrust23THRUST_200600_302600_NS6detail15normal_iteratorINSA_10device_ptrIiEEEEPS6_NSA_18transform_iteratorINSB_9not_fun_tINSA_8identityIiEEEESF_NSA_11use_defaultESM_EENS0_5tupleIJSF_S6_EEENSO_IJSG_SG_EEES6_PlJS6_EEE10hipError_tPvRmT3_T4_T5_T6_T7_T9_mT8_P12ihipStream_tbDpT10_ENKUlT_T0_E_clISt17integral_constantIbLb1EES1A_IbLb0EEEEDaS16_S17_EUlS16_E_NS1_11comp_targetILNS1_3genE3ELNS1_11target_archE908ELNS1_3gpuE7ELNS1_3repE0EEENS1_30default_config_static_selectorELNS0_4arch9wavefront6targetE0EEEvT1_.kd
    .uniform_work_group_size: 1
    .uses_dynamic_stack: false
    .vgpr_count:     0
    .vgpr_spill_count: 0
    .wavefront_size: 32
    .workgroup_processor_mode: 1
  - .args:
      - .offset:         0
        .size:           120
        .value_kind:     by_value
    .group_segment_fixed_size: 0
    .kernarg_segment_align: 8
    .kernarg_segment_size: 120
    .language:       OpenCL C
    .language_version:
      - 2
      - 0
    .max_flat_workgroup_size: 256
    .name:           _ZN7rocprim17ROCPRIM_400000_NS6detail17trampoline_kernelINS0_14default_configENS1_25partition_config_selectorILNS1_17partition_subalgoE5EiNS0_10empty_typeEbEEZZNS1_14partition_implILS5_5ELb0ES3_mN6thrust23THRUST_200600_302600_NS6detail15normal_iteratorINSA_10device_ptrIiEEEEPS6_NSA_18transform_iteratorINSB_9not_fun_tINSA_8identityIiEEEESF_NSA_11use_defaultESM_EENS0_5tupleIJSF_S6_EEENSO_IJSG_SG_EEES6_PlJS6_EEE10hipError_tPvRmT3_T4_T5_T6_T7_T9_mT8_P12ihipStream_tbDpT10_ENKUlT_T0_E_clISt17integral_constantIbLb1EES1A_IbLb0EEEEDaS16_S17_EUlS16_E_NS1_11comp_targetILNS1_3genE2ELNS1_11target_archE906ELNS1_3gpuE6ELNS1_3repE0EEENS1_30default_config_static_selectorELNS0_4arch9wavefront6targetE0EEEvT1_
    .private_segment_fixed_size: 0
    .sgpr_count:     0
    .sgpr_spill_count: 0
    .symbol:         _ZN7rocprim17ROCPRIM_400000_NS6detail17trampoline_kernelINS0_14default_configENS1_25partition_config_selectorILNS1_17partition_subalgoE5EiNS0_10empty_typeEbEEZZNS1_14partition_implILS5_5ELb0ES3_mN6thrust23THRUST_200600_302600_NS6detail15normal_iteratorINSA_10device_ptrIiEEEEPS6_NSA_18transform_iteratorINSB_9not_fun_tINSA_8identityIiEEEESF_NSA_11use_defaultESM_EENS0_5tupleIJSF_S6_EEENSO_IJSG_SG_EEES6_PlJS6_EEE10hipError_tPvRmT3_T4_T5_T6_T7_T9_mT8_P12ihipStream_tbDpT10_ENKUlT_T0_E_clISt17integral_constantIbLb1EES1A_IbLb0EEEEDaS16_S17_EUlS16_E_NS1_11comp_targetILNS1_3genE2ELNS1_11target_archE906ELNS1_3gpuE6ELNS1_3repE0EEENS1_30default_config_static_selectorELNS0_4arch9wavefront6targetE0EEEvT1_.kd
    .uniform_work_group_size: 1
    .uses_dynamic_stack: false
    .vgpr_count:     0
    .vgpr_spill_count: 0
    .wavefront_size: 32
    .workgroup_processor_mode: 1
  - .args:
      - .offset:         0
        .size:           120
        .value_kind:     by_value
    .group_segment_fixed_size: 0
    .kernarg_segment_align: 8
    .kernarg_segment_size: 120
    .language:       OpenCL C
    .language_version:
      - 2
      - 0
    .max_flat_workgroup_size: 192
    .name:           _ZN7rocprim17ROCPRIM_400000_NS6detail17trampoline_kernelINS0_14default_configENS1_25partition_config_selectorILNS1_17partition_subalgoE5EiNS0_10empty_typeEbEEZZNS1_14partition_implILS5_5ELb0ES3_mN6thrust23THRUST_200600_302600_NS6detail15normal_iteratorINSA_10device_ptrIiEEEEPS6_NSA_18transform_iteratorINSB_9not_fun_tINSA_8identityIiEEEESF_NSA_11use_defaultESM_EENS0_5tupleIJSF_S6_EEENSO_IJSG_SG_EEES6_PlJS6_EEE10hipError_tPvRmT3_T4_T5_T6_T7_T9_mT8_P12ihipStream_tbDpT10_ENKUlT_T0_E_clISt17integral_constantIbLb1EES1A_IbLb0EEEEDaS16_S17_EUlS16_E_NS1_11comp_targetILNS1_3genE10ELNS1_11target_archE1200ELNS1_3gpuE4ELNS1_3repE0EEENS1_30default_config_static_selectorELNS0_4arch9wavefront6targetE0EEEvT1_
    .private_segment_fixed_size: 0
    .sgpr_count:     0
    .sgpr_spill_count: 0
    .symbol:         _ZN7rocprim17ROCPRIM_400000_NS6detail17trampoline_kernelINS0_14default_configENS1_25partition_config_selectorILNS1_17partition_subalgoE5EiNS0_10empty_typeEbEEZZNS1_14partition_implILS5_5ELb0ES3_mN6thrust23THRUST_200600_302600_NS6detail15normal_iteratorINSA_10device_ptrIiEEEEPS6_NSA_18transform_iteratorINSB_9not_fun_tINSA_8identityIiEEEESF_NSA_11use_defaultESM_EENS0_5tupleIJSF_S6_EEENSO_IJSG_SG_EEES6_PlJS6_EEE10hipError_tPvRmT3_T4_T5_T6_T7_T9_mT8_P12ihipStream_tbDpT10_ENKUlT_T0_E_clISt17integral_constantIbLb1EES1A_IbLb0EEEEDaS16_S17_EUlS16_E_NS1_11comp_targetILNS1_3genE10ELNS1_11target_archE1200ELNS1_3gpuE4ELNS1_3repE0EEENS1_30default_config_static_selectorELNS0_4arch9wavefront6targetE0EEEvT1_.kd
    .uniform_work_group_size: 1
    .uses_dynamic_stack: false
    .vgpr_count:     0
    .vgpr_spill_count: 0
    .wavefront_size: 32
    .workgroup_processor_mode: 1
  - .args:
      - .offset:         0
        .size:           120
        .value_kind:     by_value
    .group_segment_fixed_size: 0
    .kernarg_segment_align: 8
    .kernarg_segment_size: 120
    .language:       OpenCL C
    .language_version:
      - 2
      - 0
    .max_flat_workgroup_size: 128
    .name:           _ZN7rocprim17ROCPRIM_400000_NS6detail17trampoline_kernelINS0_14default_configENS1_25partition_config_selectorILNS1_17partition_subalgoE5EiNS0_10empty_typeEbEEZZNS1_14partition_implILS5_5ELb0ES3_mN6thrust23THRUST_200600_302600_NS6detail15normal_iteratorINSA_10device_ptrIiEEEEPS6_NSA_18transform_iteratorINSB_9not_fun_tINSA_8identityIiEEEESF_NSA_11use_defaultESM_EENS0_5tupleIJSF_S6_EEENSO_IJSG_SG_EEES6_PlJS6_EEE10hipError_tPvRmT3_T4_T5_T6_T7_T9_mT8_P12ihipStream_tbDpT10_ENKUlT_T0_E_clISt17integral_constantIbLb1EES1A_IbLb0EEEEDaS16_S17_EUlS16_E_NS1_11comp_targetILNS1_3genE9ELNS1_11target_archE1100ELNS1_3gpuE3ELNS1_3repE0EEENS1_30default_config_static_selectorELNS0_4arch9wavefront6targetE0EEEvT1_
    .private_segment_fixed_size: 0
    .sgpr_count:     0
    .sgpr_spill_count: 0
    .symbol:         _ZN7rocprim17ROCPRIM_400000_NS6detail17trampoline_kernelINS0_14default_configENS1_25partition_config_selectorILNS1_17partition_subalgoE5EiNS0_10empty_typeEbEEZZNS1_14partition_implILS5_5ELb0ES3_mN6thrust23THRUST_200600_302600_NS6detail15normal_iteratorINSA_10device_ptrIiEEEEPS6_NSA_18transform_iteratorINSB_9not_fun_tINSA_8identityIiEEEESF_NSA_11use_defaultESM_EENS0_5tupleIJSF_S6_EEENSO_IJSG_SG_EEES6_PlJS6_EEE10hipError_tPvRmT3_T4_T5_T6_T7_T9_mT8_P12ihipStream_tbDpT10_ENKUlT_T0_E_clISt17integral_constantIbLb1EES1A_IbLb0EEEEDaS16_S17_EUlS16_E_NS1_11comp_targetILNS1_3genE9ELNS1_11target_archE1100ELNS1_3gpuE3ELNS1_3repE0EEENS1_30default_config_static_selectorELNS0_4arch9wavefront6targetE0EEEvT1_.kd
    .uniform_work_group_size: 1
    .uses_dynamic_stack: false
    .vgpr_count:     0
    .vgpr_spill_count: 0
    .wavefront_size: 32
    .workgroup_processor_mode: 1
  - .args:
      - .offset:         0
        .size:           120
        .value_kind:     by_value
    .group_segment_fixed_size: 0
    .kernarg_segment_align: 8
    .kernarg_segment_size: 120
    .language:       OpenCL C
    .language_version:
      - 2
      - 0
    .max_flat_workgroup_size: 512
    .name:           _ZN7rocprim17ROCPRIM_400000_NS6detail17trampoline_kernelINS0_14default_configENS1_25partition_config_selectorILNS1_17partition_subalgoE5EiNS0_10empty_typeEbEEZZNS1_14partition_implILS5_5ELb0ES3_mN6thrust23THRUST_200600_302600_NS6detail15normal_iteratorINSA_10device_ptrIiEEEEPS6_NSA_18transform_iteratorINSB_9not_fun_tINSA_8identityIiEEEESF_NSA_11use_defaultESM_EENS0_5tupleIJSF_S6_EEENSO_IJSG_SG_EEES6_PlJS6_EEE10hipError_tPvRmT3_T4_T5_T6_T7_T9_mT8_P12ihipStream_tbDpT10_ENKUlT_T0_E_clISt17integral_constantIbLb1EES1A_IbLb0EEEEDaS16_S17_EUlS16_E_NS1_11comp_targetILNS1_3genE8ELNS1_11target_archE1030ELNS1_3gpuE2ELNS1_3repE0EEENS1_30default_config_static_selectorELNS0_4arch9wavefront6targetE0EEEvT1_
    .private_segment_fixed_size: 0
    .sgpr_count:     0
    .sgpr_spill_count: 0
    .symbol:         _ZN7rocprim17ROCPRIM_400000_NS6detail17trampoline_kernelINS0_14default_configENS1_25partition_config_selectorILNS1_17partition_subalgoE5EiNS0_10empty_typeEbEEZZNS1_14partition_implILS5_5ELb0ES3_mN6thrust23THRUST_200600_302600_NS6detail15normal_iteratorINSA_10device_ptrIiEEEEPS6_NSA_18transform_iteratorINSB_9not_fun_tINSA_8identityIiEEEESF_NSA_11use_defaultESM_EENS0_5tupleIJSF_S6_EEENSO_IJSG_SG_EEES6_PlJS6_EEE10hipError_tPvRmT3_T4_T5_T6_T7_T9_mT8_P12ihipStream_tbDpT10_ENKUlT_T0_E_clISt17integral_constantIbLb1EES1A_IbLb0EEEEDaS16_S17_EUlS16_E_NS1_11comp_targetILNS1_3genE8ELNS1_11target_archE1030ELNS1_3gpuE2ELNS1_3repE0EEENS1_30default_config_static_selectorELNS0_4arch9wavefront6targetE0EEEvT1_.kd
    .uniform_work_group_size: 1
    .uses_dynamic_stack: false
    .vgpr_count:     0
    .vgpr_spill_count: 0
    .wavefront_size: 32
    .workgroup_processor_mode: 1
  - .args:
      - .offset:         0
        .size:           136
        .value_kind:     by_value
    .group_segment_fixed_size: 0
    .kernarg_segment_align: 8
    .kernarg_segment_size: 136
    .language:       OpenCL C
    .language_version:
      - 2
      - 0
    .max_flat_workgroup_size: 512
    .name:           _ZN7rocprim17ROCPRIM_400000_NS6detail17trampoline_kernelINS0_14default_configENS1_25partition_config_selectorILNS1_17partition_subalgoE5EiNS0_10empty_typeEbEEZZNS1_14partition_implILS5_5ELb0ES3_mN6thrust23THRUST_200600_302600_NS6detail15normal_iteratorINSA_10device_ptrIiEEEEPS6_NSA_18transform_iteratorINSB_9not_fun_tINSA_8identityIiEEEESF_NSA_11use_defaultESM_EENS0_5tupleIJSF_S6_EEENSO_IJSG_SG_EEES6_PlJS6_EEE10hipError_tPvRmT3_T4_T5_T6_T7_T9_mT8_P12ihipStream_tbDpT10_ENKUlT_T0_E_clISt17integral_constantIbLb0EES1A_IbLb1EEEEDaS16_S17_EUlS16_E_NS1_11comp_targetILNS1_3genE0ELNS1_11target_archE4294967295ELNS1_3gpuE0ELNS1_3repE0EEENS1_30default_config_static_selectorELNS0_4arch9wavefront6targetE0EEEvT1_
    .private_segment_fixed_size: 0
    .sgpr_count:     0
    .sgpr_spill_count: 0
    .symbol:         _ZN7rocprim17ROCPRIM_400000_NS6detail17trampoline_kernelINS0_14default_configENS1_25partition_config_selectorILNS1_17partition_subalgoE5EiNS0_10empty_typeEbEEZZNS1_14partition_implILS5_5ELb0ES3_mN6thrust23THRUST_200600_302600_NS6detail15normal_iteratorINSA_10device_ptrIiEEEEPS6_NSA_18transform_iteratorINSB_9not_fun_tINSA_8identityIiEEEESF_NSA_11use_defaultESM_EENS0_5tupleIJSF_S6_EEENSO_IJSG_SG_EEES6_PlJS6_EEE10hipError_tPvRmT3_T4_T5_T6_T7_T9_mT8_P12ihipStream_tbDpT10_ENKUlT_T0_E_clISt17integral_constantIbLb0EES1A_IbLb1EEEEDaS16_S17_EUlS16_E_NS1_11comp_targetILNS1_3genE0ELNS1_11target_archE4294967295ELNS1_3gpuE0ELNS1_3repE0EEENS1_30default_config_static_selectorELNS0_4arch9wavefront6targetE0EEEvT1_.kd
    .uniform_work_group_size: 1
    .uses_dynamic_stack: false
    .vgpr_count:     0
    .vgpr_spill_count: 0
    .wavefront_size: 32
    .workgroup_processor_mode: 1
  - .args:
      - .offset:         0
        .size:           136
        .value_kind:     by_value
    .group_segment_fixed_size: 0
    .kernarg_segment_align: 8
    .kernarg_segment_size: 136
    .language:       OpenCL C
    .language_version:
      - 2
      - 0
    .max_flat_workgroup_size: 512
    .name:           _ZN7rocprim17ROCPRIM_400000_NS6detail17trampoline_kernelINS0_14default_configENS1_25partition_config_selectorILNS1_17partition_subalgoE5EiNS0_10empty_typeEbEEZZNS1_14partition_implILS5_5ELb0ES3_mN6thrust23THRUST_200600_302600_NS6detail15normal_iteratorINSA_10device_ptrIiEEEEPS6_NSA_18transform_iteratorINSB_9not_fun_tINSA_8identityIiEEEESF_NSA_11use_defaultESM_EENS0_5tupleIJSF_S6_EEENSO_IJSG_SG_EEES6_PlJS6_EEE10hipError_tPvRmT3_T4_T5_T6_T7_T9_mT8_P12ihipStream_tbDpT10_ENKUlT_T0_E_clISt17integral_constantIbLb0EES1A_IbLb1EEEEDaS16_S17_EUlS16_E_NS1_11comp_targetILNS1_3genE5ELNS1_11target_archE942ELNS1_3gpuE9ELNS1_3repE0EEENS1_30default_config_static_selectorELNS0_4arch9wavefront6targetE0EEEvT1_
    .private_segment_fixed_size: 0
    .sgpr_count:     0
    .sgpr_spill_count: 0
    .symbol:         _ZN7rocprim17ROCPRIM_400000_NS6detail17trampoline_kernelINS0_14default_configENS1_25partition_config_selectorILNS1_17partition_subalgoE5EiNS0_10empty_typeEbEEZZNS1_14partition_implILS5_5ELb0ES3_mN6thrust23THRUST_200600_302600_NS6detail15normal_iteratorINSA_10device_ptrIiEEEEPS6_NSA_18transform_iteratorINSB_9not_fun_tINSA_8identityIiEEEESF_NSA_11use_defaultESM_EENS0_5tupleIJSF_S6_EEENSO_IJSG_SG_EEES6_PlJS6_EEE10hipError_tPvRmT3_T4_T5_T6_T7_T9_mT8_P12ihipStream_tbDpT10_ENKUlT_T0_E_clISt17integral_constantIbLb0EES1A_IbLb1EEEEDaS16_S17_EUlS16_E_NS1_11comp_targetILNS1_3genE5ELNS1_11target_archE942ELNS1_3gpuE9ELNS1_3repE0EEENS1_30default_config_static_selectorELNS0_4arch9wavefront6targetE0EEEvT1_.kd
    .uniform_work_group_size: 1
    .uses_dynamic_stack: false
    .vgpr_count:     0
    .vgpr_spill_count: 0
    .wavefront_size: 32
    .workgroup_processor_mode: 1
  - .args:
      - .offset:         0
        .size:           136
        .value_kind:     by_value
    .group_segment_fixed_size: 0
    .kernarg_segment_align: 8
    .kernarg_segment_size: 136
    .language:       OpenCL C
    .language_version:
      - 2
      - 0
    .max_flat_workgroup_size: 256
    .name:           _ZN7rocprim17ROCPRIM_400000_NS6detail17trampoline_kernelINS0_14default_configENS1_25partition_config_selectorILNS1_17partition_subalgoE5EiNS0_10empty_typeEbEEZZNS1_14partition_implILS5_5ELb0ES3_mN6thrust23THRUST_200600_302600_NS6detail15normal_iteratorINSA_10device_ptrIiEEEEPS6_NSA_18transform_iteratorINSB_9not_fun_tINSA_8identityIiEEEESF_NSA_11use_defaultESM_EENS0_5tupleIJSF_S6_EEENSO_IJSG_SG_EEES6_PlJS6_EEE10hipError_tPvRmT3_T4_T5_T6_T7_T9_mT8_P12ihipStream_tbDpT10_ENKUlT_T0_E_clISt17integral_constantIbLb0EES1A_IbLb1EEEEDaS16_S17_EUlS16_E_NS1_11comp_targetILNS1_3genE4ELNS1_11target_archE910ELNS1_3gpuE8ELNS1_3repE0EEENS1_30default_config_static_selectorELNS0_4arch9wavefront6targetE0EEEvT1_
    .private_segment_fixed_size: 0
    .sgpr_count:     0
    .sgpr_spill_count: 0
    .symbol:         _ZN7rocprim17ROCPRIM_400000_NS6detail17trampoline_kernelINS0_14default_configENS1_25partition_config_selectorILNS1_17partition_subalgoE5EiNS0_10empty_typeEbEEZZNS1_14partition_implILS5_5ELb0ES3_mN6thrust23THRUST_200600_302600_NS6detail15normal_iteratorINSA_10device_ptrIiEEEEPS6_NSA_18transform_iteratorINSB_9not_fun_tINSA_8identityIiEEEESF_NSA_11use_defaultESM_EENS0_5tupleIJSF_S6_EEENSO_IJSG_SG_EEES6_PlJS6_EEE10hipError_tPvRmT3_T4_T5_T6_T7_T9_mT8_P12ihipStream_tbDpT10_ENKUlT_T0_E_clISt17integral_constantIbLb0EES1A_IbLb1EEEEDaS16_S17_EUlS16_E_NS1_11comp_targetILNS1_3genE4ELNS1_11target_archE910ELNS1_3gpuE8ELNS1_3repE0EEENS1_30default_config_static_selectorELNS0_4arch9wavefront6targetE0EEEvT1_.kd
    .uniform_work_group_size: 1
    .uses_dynamic_stack: false
    .vgpr_count:     0
    .vgpr_spill_count: 0
    .wavefront_size: 32
    .workgroup_processor_mode: 1
  - .args:
      - .offset:         0
        .size:           136
        .value_kind:     by_value
    .group_segment_fixed_size: 0
    .kernarg_segment_align: 8
    .kernarg_segment_size: 136
    .language:       OpenCL C
    .language_version:
      - 2
      - 0
    .max_flat_workgroup_size: 512
    .name:           _ZN7rocprim17ROCPRIM_400000_NS6detail17trampoline_kernelINS0_14default_configENS1_25partition_config_selectorILNS1_17partition_subalgoE5EiNS0_10empty_typeEbEEZZNS1_14partition_implILS5_5ELb0ES3_mN6thrust23THRUST_200600_302600_NS6detail15normal_iteratorINSA_10device_ptrIiEEEEPS6_NSA_18transform_iteratorINSB_9not_fun_tINSA_8identityIiEEEESF_NSA_11use_defaultESM_EENS0_5tupleIJSF_S6_EEENSO_IJSG_SG_EEES6_PlJS6_EEE10hipError_tPvRmT3_T4_T5_T6_T7_T9_mT8_P12ihipStream_tbDpT10_ENKUlT_T0_E_clISt17integral_constantIbLb0EES1A_IbLb1EEEEDaS16_S17_EUlS16_E_NS1_11comp_targetILNS1_3genE3ELNS1_11target_archE908ELNS1_3gpuE7ELNS1_3repE0EEENS1_30default_config_static_selectorELNS0_4arch9wavefront6targetE0EEEvT1_
    .private_segment_fixed_size: 0
    .sgpr_count:     0
    .sgpr_spill_count: 0
    .symbol:         _ZN7rocprim17ROCPRIM_400000_NS6detail17trampoline_kernelINS0_14default_configENS1_25partition_config_selectorILNS1_17partition_subalgoE5EiNS0_10empty_typeEbEEZZNS1_14partition_implILS5_5ELb0ES3_mN6thrust23THRUST_200600_302600_NS6detail15normal_iteratorINSA_10device_ptrIiEEEEPS6_NSA_18transform_iteratorINSB_9not_fun_tINSA_8identityIiEEEESF_NSA_11use_defaultESM_EENS0_5tupleIJSF_S6_EEENSO_IJSG_SG_EEES6_PlJS6_EEE10hipError_tPvRmT3_T4_T5_T6_T7_T9_mT8_P12ihipStream_tbDpT10_ENKUlT_T0_E_clISt17integral_constantIbLb0EES1A_IbLb1EEEEDaS16_S17_EUlS16_E_NS1_11comp_targetILNS1_3genE3ELNS1_11target_archE908ELNS1_3gpuE7ELNS1_3repE0EEENS1_30default_config_static_selectorELNS0_4arch9wavefront6targetE0EEEvT1_.kd
    .uniform_work_group_size: 1
    .uses_dynamic_stack: false
    .vgpr_count:     0
    .vgpr_spill_count: 0
    .wavefront_size: 32
    .workgroup_processor_mode: 1
  - .args:
      - .offset:         0
        .size:           136
        .value_kind:     by_value
    .group_segment_fixed_size: 0
    .kernarg_segment_align: 8
    .kernarg_segment_size: 136
    .language:       OpenCL C
    .language_version:
      - 2
      - 0
    .max_flat_workgroup_size: 256
    .name:           _ZN7rocprim17ROCPRIM_400000_NS6detail17trampoline_kernelINS0_14default_configENS1_25partition_config_selectorILNS1_17partition_subalgoE5EiNS0_10empty_typeEbEEZZNS1_14partition_implILS5_5ELb0ES3_mN6thrust23THRUST_200600_302600_NS6detail15normal_iteratorINSA_10device_ptrIiEEEEPS6_NSA_18transform_iteratorINSB_9not_fun_tINSA_8identityIiEEEESF_NSA_11use_defaultESM_EENS0_5tupleIJSF_S6_EEENSO_IJSG_SG_EEES6_PlJS6_EEE10hipError_tPvRmT3_T4_T5_T6_T7_T9_mT8_P12ihipStream_tbDpT10_ENKUlT_T0_E_clISt17integral_constantIbLb0EES1A_IbLb1EEEEDaS16_S17_EUlS16_E_NS1_11comp_targetILNS1_3genE2ELNS1_11target_archE906ELNS1_3gpuE6ELNS1_3repE0EEENS1_30default_config_static_selectorELNS0_4arch9wavefront6targetE0EEEvT1_
    .private_segment_fixed_size: 0
    .sgpr_count:     0
    .sgpr_spill_count: 0
    .symbol:         _ZN7rocprim17ROCPRIM_400000_NS6detail17trampoline_kernelINS0_14default_configENS1_25partition_config_selectorILNS1_17partition_subalgoE5EiNS0_10empty_typeEbEEZZNS1_14partition_implILS5_5ELb0ES3_mN6thrust23THRUST_200600_302600_NS6detail15normal_iteratorINSA_10device_ptrIiEEEEPS6_NSA_18transform_iteratorINSB_9not_fun_tINSA_8identityIiEEEESF_NSA_11use_defaultESM_EENS0_5tupleIJSF_S6_EEENSO_IJSG_SG_EEES6_PlJS6_EEE10hipError_tPvRmT3_T4_T5_T6_T7_T9_mT8_P12ihipStream_tbDpT10_ENKUlT_T0_E_clISt17integral_constantIbLb0EES1A_IbLb1EEEEDaS16_S17_EUlS16_E_NS1_11comp_targetILNS1_3genE2ELNS1_11target_archE906ELNS1_3gpuE6ELNS1_3repE0EEENS1_30default_config_static_selectorELNS0_4arch9wavefront6targetE0EEEvT1_.kd
    .uniform_work_group_size: 1
    .uses_dynamic_stack: false
    .vgpr_count:     0
    .vgpr_spill_count: 0
    .wavefront_size: 32
    .workgroup_processor_mode: 1
  - .args:
      - .offset:         0
        .size:           136
        .value_kind:     by_value
    .group_segment_fixed_size: 6352
    .kernarg_segment_align: 8
    .kernarg_segment_size: 136
    .language:       OpenCL C
    .language_version:
      - 2
      - 0
    .max_flat_workgroup_size: 192
    .name:           _ZN7rocprim17ROCPRIM_400000_NS6detail17trampoline_kernelINS0_14default_configENS1_25partition_config_selectorILNS1_17partition_subalgoE5EiNS0_10empty_typeEbEEZZNS1_14partition_implILS5_5ELb0ES3_mN6thrust23THRUST_200600_302600_NS6detail15normal_iteratorINSA_10device_ptrIiEEEEPS6_NSA_18transform_iteratorINSB_9not_fun_tINSA_8identityIiEEEESF_NSA_11use_defaultESM_EENS0_5tupleIJSF_S6_EEENSO_IJSG_SG_EEES6_PlJS6_EEE10hipError_tPvRmT3_T4_T5_T6_T7_T9_mT8_P12ihipStream_tbDpT10_ENKUlT_T0_E_clISt17integral_constantIbLb0EES1A_IbLb1EEEEDaS16_S17_EUlS16_E_NS1_11comp_targetILNS1_3genE10ELNS1_11target_archE1200ELNS1_3gpuE4ELNS1_3repE0EEENS1_30default_config_static_selectorELNS0_4arch9wavefront6targetE0EEEvT1_
    .private_segment_fixed_size: 0
    .sgpr_count:     26
    .sgpr_spill_count: 0
    .symbol:         _ZN7rocprim17ROCPRIM_400000_NS6detail17trampoline_kernelINS0_14default_configENS1_25partition_config_selectorILNS1_17partition_subalgoE5EiNS0_10empty_typeEbEEZZNS1_14partition_implILS5_5ELb0ES3_mN6thrust23THRUST_200600_302600_NS6detail15normal_iteratorINSA_10device_ptrIiEEEEPS6_NSA_18transform_iteratorINSB_9not_fun_tINSA_8identityIiEEEESF_NSA_11use_defaultESM_EENS0_5tupleIJSF_S6_EEENSO_IJSG_SG_EEES6_PlJS6_EEE10hipError_tPvRmT3_T4_T5_T6_T7_T9_mT8_P12ihipStream_tbDpT10_ENKUlT_T0_E_clISt17integral_constantIbLb0EES1A_IbLb1EEEEDaS16_S17_EUlS16_E_NS1_11comp_targetILNS1_3genE10ELNS1_11target_archE1200ELNS1_3gpuE4ELNS1_3repE0EEENS1_30default_config_static_selectorELNS0_4arch9wavefront6targetE0EEEvT1_.kd
    .uniform_work_group_size: 1
    .uses_dynamic_stack: false
    .vgpr_count:     54
    .vgpr_spill_count: 0
    .wavefront_size: 32
    .workgroup_processor_mode: 1
  - .args:
      - .offset:         0
        .size:           136
        .value_kind:     by_value
    .group_segment_fixed_size: 0
    .kernarg_segment_align: 8
    .kernarg_segment_size: 136
    .language:       OpenCL C
    .language_version:
      - 2
      - 0
    .max_flat_workgroup_size: 128
    .name:           _ZN7rocprim17ROCPRIM_400000_NS6detail17trampoline_kernelINS0_14default_configENS1_25partition_config_selectorILNS1_17partition_subalgoE5EiNS0_10empty_typeEbEEZZNS1_14partition_implILS5_5ELb0ES3_mN6thrust23THRUST_200600_302600_NS6detail15normal_iteratorINSA_10device_ptrIiEEEEPS6_NSA_18transform_iteratorINSB_9not_fun_tINSA_8identityIiEEEESF_NSA_11use_defaultESM_EENS0_5tupleIJSF_S6_EEENSO_IJSG_SG_EEES6_PlJS6_EEE10hipError_tPvRmT3_T4_T5_T6_T7_T9_mT8_P12ihipStream_tbDpT10_ENKUlT_T0_E_clISt17integral_constantIbLb0EES1A_IbLb1EEEEDaS16_S17_EUlS16_E_NS1_11comp_targetILNS1_3genE9ELNS1_11target_archE1100ELNS1_3gpuE3ELNS1_3repE0EEENS1_30default_config_static_selectorELNS0_4arch9wavefront6targetE0EEEvT1_
    .private_segment_fixed_size: 0
    .sgpr_count:     0
    .sgpr_spill_count: 0
    .symbol:         _ZN7rocprim17ROCPRIM_400000_NS6detail17trampoline_kernelINS0_14default_configENS1_25partition_config_selectorILNS1_17partition_subalgoE5EiNS0_10empty_typeEbEEZZNS1_14partition_implILS5_5ELb0ES3_mN6thrust23THRUST_200600_302600_NS6detail15normal_iteratorINSA_10device_ptrIiEEEEPS6_NSA_18transform_iteratorINSB_9not_fun_tINSA_8identityIiEEEESF_NSA_11use_defaultESM_EENS0_5tupleIJSF_S6_EEENSO_IJSG_SG_EEES6_PlJS6_EEE10hipError_tPvRmT3_T4_T5_T6_T7_T9_mT8_P12ihipStream_tbDpT10_ENKUlT_T0_E_clISt17integral_constantIbLb0EES1A_IbLb1EEEEDaS16_S17_EUlS16_E_NS1_11comp_targetILNS1_3genE9ELNS1_11target_archE1100ELNS1_3gpuE3ELNS1_3repE0EEENS1_30default_config_static_selectorELNS0_4arch9wavefront6targetE0EEEvT1_.kd
    .uniform_work_group_size: 1
    .uses_dynamic_stack: false
    .vgpr_count:     0
    .vgpr_spill_count: 0
    .wavefront_size: 32
    .workgroup_processor_mode: 1
  - .args:
      - .offset:         0
        .size:           136
        .value_kind:     by_value
    .group_segment_fixed_size: 0
    .kernarg_segment_align: 8
    .kernarg_segment_size: 136
    .language:       OpenCL C
    .language_version:
      - 2
      - 0
    .max_flat_workgroup_size: 512
    .name:           _ZN7rocprim17ROCPRIM_400000_NS6detail17trampoline_kernelINS0_14default_configENS1_25partition_config_selectorILNS1_17partition_subalgoE5EiNS0_10empty_typeEbEEZZNS1_14partition_implILS5_5ELb0ES3_mN6thrust23THRUST_200600_302600_NS6detail15normal_iteratorINSA_10device_ptrIiEEEEPS6_NSA_18transform_iteratorINSB_9not_fun_tINSA_8identityIiEEEESF_NSA_11use_defaultESM_EENS0_5tupleIJSF_S6_EEENSO_IJSG_SG_EEES6_PlJS6_EEE10hipError_tPvRmT3_T4_T5_T6_T7_T9_mT8_P12ihipStream_tbDpT10_ENKUlT_T0_E_clISt17integral_constantIbLb0EES1A_IbLb1EEEEDaS16_S17_EUlS16_E_NS1_11comp_targetILNS1_3genE8ELNS1_11target_archE1030ELNS1_3gpuE2ELNS1_3repE0EEENS1_30default_config_static_selectorELNS0_4arch9wavefront6targetE0EEEvT1_
    .private_segment_fixed_size: 0
    .sgpr_count:     0
    .sgpr_spill_count: 0
    .symbol:         _ZN7rocprim17ROCPRIM_400000_NS6detail17trampoline_kernelINS0_14default_configENS1_25partition_config_selectorILNS1_17partition_subalgoE5EiNS0_10empty_typeEbEEZZNS1_14partition_implILS5_5ELb0ES3_mN6thrust23THRUST_200600_302600_NS6detail15normal_iteratorINSA_10device_ptrIiEEEEPS6_NSA_18transform_iteratorINSB_9not_fun_tINSA_8identityIiEEEESF_NSA_11use_defaultESM_EENS0_5tupleIJSF_S6_EEENSO_IJSG_SG_EEES6_PlJS6_EEE10hipError_tPvRmT3_T4_T5_T6_T7_T9_mT8_P12ihipStream_tbDpT10_ENKUlT_T0_E_clISt17integral_constantIbLb0EES1A_IbLb1EEEEDaS16_S17_EUlS16_E_NS1_11comp_targetILNS1_3genE8ELNS1_11target_archE1030ELNS1_3gpuE2ELNS1_3repE0EEENS1_30default_config_static_selectorELNS0_4arch9wavefront6targetE0EEEvT1_.kd
    .uniform_work_group_size: 1
    .uses_dynamic_stack: false
    .vgpr_count:     0
    .vgpr_spill_count: 0
    .wavefront_size: 32
    .workgroup_processor_mode: 1
  - .args:
      - .offset:         0
        .size:           120
        .value_kind:     by_value
    .group_segment_fixed_size: 0
    .kernarg_segment_align: 8
    .kernarg_segment_size: 120
    .language:       OpenCL C
    .language_version:
      - 2
      - 0
    .max_flat_workgroup_size: 256
    .name:           _ZN7rocprim17ROCPRIM_400000_NS6detail17trampoline_kernelINS0_14default_configENS1_25partition_config_selectorILNS1_17partition_subalgoE5EsNS0_10empty_typeEbEEZZNS1_14partition_implILS5_5ELb0ES3_mN6thrust23THRUST_200600_302600_NS6detail15normal_iteratorINSA_10device_ptrIsEEEEPS6_NSA_18transform_iteratorINSB_9not_fun_tINSA_8identityIsEEEESF_NSA_11use_defaultESM_EENS0_5tupleIJSF_S6_EEENSO_IJSG_SG_EEES6_PlJS6_EEE10hipError_tPvRmT3_T4_T5_T6_T7_T9_mT8_P12ihipStream_tbDpT10_ENKUlT_T0_E_clISt17integral_constantIbLb0EES1B_EEDaS16_S17_EUlS16_E_NS1_11comp_targetILNS1_3genE0ELNS1_11target_archE4294967295ELNS1_3gpuE0ELNS1_3repE0EEENS1_30default_config_static_selectorELNS0_4arch9wavefront6targetE0EEEvT1_
    .private_segment_fixed_size: 0
    .sgpr_count:     0
    .sgpr_spill_count: 0
    .symbol:         _ZN7rocprim17ROCPRIM_400000_NS6detail17trampoline_kernelINS0_14default_configENS1_25partition_config_selectorILNS1_17partition_subalgoE5EsNS0_10empty_typeEbEEZZNS1_14partition_implILS5_5ELb0ES3_mN6thrust23THRUST_200600_302600_NS6detail15normal_iteratorINSA_10device_ptrIsEEEEPS6_NSA_18transform_iteratorINSB_9not_fun_tINSA_8identityIsEEEESF_NSA_11use_defaultESM_EENS0_5tupleIJSF_S6_EEENSO_IJSG_SG_EEES6_PlJS6_EEE10hipError_tPvRmT3_T4_T5_T6_T7_T9_mT8_P12ihipStream_tbDpT10_ENKUlT_T0_E_clISt17integral_constantIbLb0EES1B_EEDaS16_S17_EUlS16_E_NS1_11comp_targetILNS1_3genE0ELNS1_11target_archE4294967295ELNS1_3gpuE0ELNS1_3repE0EEENS1_30default_config_static_selectorELNS0_4arch9wavefront6targetE0EEEvT1_.kd
    .uniform_work_group_size: 1
    .uses_dynamic_stack: false
    .vgpr_count:     0
    .vgpr_spill_count: 0
    .wavefront_size: 32
    .workgroup_processor_mode: 1
  - .args:
      - .offset:         0
        .size:           120
        .value_kind:     by_value
    .group_segment_fixed_size: 0
    .kernarg_segment_align: 8
    .kernarg_segment_size: 120
    .language:       OpenCL C
    .language_version:
      - 2
      - 0
    .max_flat_workgroup_size: 512
    .name:           _ZN7rocprim17ROCPRIM_400000_NS6detail17trampoline_kernelINS0_14default_configENS1_25partition_config_selectorILNS1_17partition_subalgoE5EsNS0_10empty_typeEbEEZZNS1_14partition_implILS5_5ELb0ES3_mN6thrust23THRUST_200600_302600_NS6detail15normal_iteratorINSA_10device_ptrIsEEEEPS6_NSA_18transform_iteratorINSB_9not_fun_tINSA_8identityIsEEEESF_NSA_11use_defaultESM_EENS0_5tupleIJSF_S6_EEENSO_IJSG_SG_EEES6_PlJS6_EEE10hipError_tPvRmT3_T4_T5_T6_T7_T9_mT8_P12ihipStream_tbDpT10_ENKUlT_T0_E_clISt17integral_constantIbLb0EES1B_EEDaS16_S17_EUlS16_E_NS1_11comp_targetILNS1_3genE5ELNS1_11target_archE942ELNS1_3gpuE9ELNS1_3repE0EEENS1_30default_config_static_selectorELNS0_4arch9wavefront6targetE0EEEvT1_
    .private_segment_fixed_size: 0
    .sgpr_count:     0
    .sgpr_spill_count: 0
    .symbol:         _ZN7rocprim17ROCPRIM_400000_NS6detail17trampoline_kernelINS0_14default_configENS1_25partition_config_selectorILNS1_17partition_subalgoE5EsNS0_10empty_typeEbEEZZNS1_14partition_implILS5_5ELb0ES3_mN6thrust23THRUST_200600_302600_NS6detail15normal_iteratorINSA_10device_ptrIsEEEEPS6_NSA_18transform_iteratorINSB_9not_fun_tINSA_8identityIsEEEESF_NSA_11use_defaultESM_EENS0_5tupleIJSF_S6_EEENSO_IJSG_SG_EEES6_PlJS6_EEE10hipError_tPvRmT3_T4_T5_T6_T7_T9_mT8_P12ihipStream_tbDpT10_ENKUlT_T0_E_clISt17integral_constantIbLb0EES1B_EEDaS16_S17_EUlS16_E_NS1_11comp_targetILNS1_3genE5ELNS1_11target_archE942ELNS1_3gpuE9ELNS1_3repE0EEENS1_30default_config_static_selectorELNS0_4arch9wavefront6targetE0EEEvT1_.kd
    .uniform_work_group_size: 1
    .uses_dynamic_stack: false
    .vgpr_count:     0
    .vgpr_spill_count: 0
    .wavefront_size: 32
    .workgroup_processor_mode: 1
  - .args:
      - .offset:         0
        .size:           120
        .value_kind:     by_value
    .group_segment_fixed_size: 0
    .kernarg_segment_align: 8
    .kernarg_segment_size: 120
    .language:       OpenCL C
    .language_version:
      - 2
      - 0
    .max_flat_workgroup_size: 256
    .name:           _ZN7rocprim17ROCPRIM_400000_NS6detail17trampoline_kernelINS0_14default_configENS1_25partition_config_selectorILNS1_17partition_subalgoE5EsNS0_10empty_typeEbEEZZNS1_14partition_implILS5_5ELb0ES3_mN6thrust23THRUST_200600_302600_NS6detail15normal_iteratorINSA_10device_ptrIsEEEEPS6_NSA_18transform_iteratorINSB_9not_fun_tINSA_8identityIsEEEESF_NSA_11use_defaultESM_EENS0_5tupleIJSF_S6_EEENSO_IJSG_SG_EEES6_PlJS6_EEE10hipError_tPvRmT3_T4_T5_T6_T7_T9_mT8_P12ihipStream_tbDpT10_ENKUlT_T0_E_clISt17integral_constantIbLb0EES1B_EEDaS16_S17_EUlS16_E_NS1_11comp_targetILNS1_3genE4ELNS1_11target_archE910ELNS1_3gpuE8ELNS1_3repE0EEENS1_30default_config_static_selectorELNS0_4arch9wavefront6targetE0EEEvT1_
    .private_segment_fixed_size: 0
    .sgpr_count:     0
    .sgpr_spill_count: 0
    .symbol:         _ZN7rocprim17ROCPRIM_400000_NS6detail17trampoline_kernelINS0_14default_configENS1_25partition_config_selectorILNS1_17partition_subalgoE5EsNS0_10empty_typeEbEEZZNS1_14partition_implILS5_5ELb0ES3_mN6thrust23THRUST_200600_302600_NS6detail15normal_iteratorINSA_10device_ptrIsEEEEPS6_NSA_18transform_iteratorINSB_9not_fun_tINSA_8identityIsEEEESF_NSA_11use_defaultESM_EENS0_5tupleIJSF_S6_EEENSO_IJSG_SG_EEES6_PlJS6_EEE10hipError_tPvRmT3_T4_T5_T6_T7_T9_mT8_P12ihipStream_tbDpT10_ENKUlT_T0_E_clISt17integral_constantIbLb0EES1B_EEDaS16_S17_EUlS16_E_NS1_11comp_targetILNS1_3genE4ELNS1_11target_archE910ELNS1_3gpuE8ELNS1_3repE0EEENS1_30default_config_static_selectorELNS0_4arch9wavefront6targetE0EEEvT1_.kd
    .uniform_work_group_size: 1
    .uses_dynamic_stack: false
    .vgpr_count:     0
    .vgpr_spill_count: 0
    .wavefront_size: 32
    .workgroup_processor_mode: 1
  - .args:
      - .offset:         0
        .size:           120
        .value_kind:     by_value
    .group_segment_fixed_size: 0
    .kernarg_segment_align: 8
    .kernarg_segment_size: 120
    .language:       OpenCL C
    .language_version:
      - 2
      - 0
    .max_flat_workgroup_size: 256
    .name:           _ZN7rocprim17ROCPRIM_400000_NS6detail17trampoline_kernelINS0_14default_configENS1_25partition_config_selectorILNS1_17partition_subalgoE5EsNS0_10empty_typeEbEEZZNS1_14partition_implILS5_5ELb0ES3_mN6thrust23THRUST_200600_302600_NS6detail15normal_iteratorINSA_10device_ptrIsEEEEPS6_NSA_18transform_iteratorINSB_9not_fun_tINSA_8identityIsEEEESF_NSA_11use_defaultESM_EENS0_5tupleIJSF_S6_EEENSO_IJSG_SG_EEES6_PlJS6_EEE10hipError_tPvRmT3_T4_T5_T6_T7_T9_mT8_P12ihipStream_tbDpT10_ENKUlT_T0_E_clISt17integral_constantIbLb0EES1B_EEDaS16_S17_EUlS16_E_NS1_11comp_targetILNS1_3genE3ELNS1_11target_archE908ELNS1_3gpuE7ELNS1_3repE0EEENS1_30default_config_static_selectorELNS0_4arch9wavefront6targetE0EEEvT1_
    .private_segment_fixed_size: 0
    .sgpr_count:     0
    .sgpr_spill_count: 0
    .symbol:         _ZN7rocprim17ROCPRIM_400000_NS6detail17trampoline_kernelINS0_14default_configENS1_25partition_config_selectorILNS1_17partition_subalgoE5EsNS0_10empty_typeEbEEZZNS1_14partition_implILS5_5ELb0ES3_mN6thrust23THRUST_200600_302600_NS6detail15normal_iteratorINSA_10device_ptrIsEEEEPS6_NSA_18transform_iteratorINSB_9not_fun_tINSA_8identityIsEEEESF_NSA_11use_defaultESM_EENS0_5tupleIJSF_S6_EEENSO_IJSG_SG_EEES6_PlJS6_EEE10hipError_tPvRmT3_T4_T5_T6_T7_T9_mT8_P12ihipStream_tbDpT10_ENKUlT_T0_E_clISt17integral_constantIbLb0EES1B_EEDaS16_S17_EUlS16_E_NS1_11comp_targetILNS1_3genE3ELNS1_11target_archE908ELNS1_3gpuE7ELNS1_3repE0EEENS1_30default_config_static_selectorELNS0_4arch9wavefront6targetE0EEEvT1_.kd
    .uniform_work_group_size: 1
    .uses_dynamic_stack: false
    .vgpr_count:     0
    .vgpr_spill_count: 0
    .wavefront_size: 32
    .workgroup_processor_mode: 1
  - .args:
      - .offset:         0
        .size:           120
        .value_kind:     by_value
    .group_segment_fixed_size: 0
    .kernarg_segment_align: 8
    .kernarg_segment_size: 120
    .language:       OpenCL C
    .language_version:
      - 2
      - 0
    .max_flat_workgroup_size: 256
    .name:           _ZN7rocprim17ROCPRIM_400000_NS6detail17trampoline_kernelINS0_14default_configENS1_25partition_config_selectorILNS1_17partition_subalgoE5EsNS0_10empty_typeEbEEZZNS1_14partition_implILS5_5ELb0ES3_mN6thrust23THRUST_200600_302600_NS6detail15normal_iteratorINSA_10device_ptrIsEEEEPS6_NSA_18transform_iteratorINSB_9not_fun_tINSA_8identityIsEEEESF_NSA_11use_defaultESM_EENS0_5tupleIJSF_S6_EEENSO_IJSG_SG_EEES6_PlJS6_EEE10hipError_tPvRmT3_T4_T5_T6_T7_T9_mT8_P12ihipStream_tbDpT10_ENKUlT_T0_E_clISt17integral_constantIbLb0EES1B_EEDaS16_S17_EUlS16_E_NS1_11comp_targetILNS1_3genE2ELNS1_11target_archE906ELNS1_3gpuE6ELNS1_3repE0EEENS1_30default_config_static_selectorELNS0_4arch9wavefront6targetE0EEEvT1_
    .private_segment_fixed_size: 0
    .sgpr_count:     0
    .sgpr_spill_count: 0
    .symbol:         _ZN7rocprim17ROCPRIM_400000_NS6detail17trampoline_kernelINS0_14default_configENS1_25partition_config_selectorILNS1_17partition_subalgoE5EsNS0_10empty_typeEbEEZZNS1_14partition_implILS5_5ELb0ES3_mN6thrust23THRUST_200600_302600_NS6detail15normal_iteratorINSA_10device_ptrIsEEEEPS6_NSA_18transform_iteratorINSB_9not_fun_tINSA_8identityIsEEEESF_NSA_11use_defaultESM_EENS0_5tupleIJSF_S6_EEENSO_IJSG_SG_EEES6_PlJS6_EEE10hipError_tPvRmT3_T4_T5_T6_T7_T9_mT8_P12ihipStream_tbDpT10_ENKUlT_T0_E_clISt17integral_constantIbLb0EES1B_EEDaS16_S17_EUlS16_E_NS1_11comp_targetILNS1_3genE2ELNS1_11target_archE906ELNS1_3gpuE6ELNS1_3repE0EEENS1_30default_config_static_selectorELNS0_4arch9wavefront6targetE0EEEvT1_.kd
    .uniform_work_group_size: 1
    .uses_dynamic_stack: false
    .vgpr_count:     0
    .vgpr_spill_count: 0
    .wavefront_size: 32
    .workgroup_processor_mode: 1
  - .args:
      - .offset:         0
        .size:           120
        .value_kind:     by_value
    .group_segment_fixed_size: 6160
    .kernarg_segment_align: 8
    .kernarg_segment_size: 120
    .language:       OpenCL C
    .language_version:
      - 2
      - 0
    .max_flat_workgroup_size: 256
    .name:           _ZN7rocprim17ROCPRIM_400000_NS6detail17trampoline_kernelINS0_14default_configENS1_25partition_config_selectorILNS1_17partition_subalgoE5EsNS0_10empty_typeEbEEZZNS1_14partition_implILS5_5ELb0ES3_mN6thrust23THRUST_200600_302600_NS6detail15normal_iteratorINSA_10device_ptrIsEEEEPS6_NSA_18transform_iteratorINSB_9not_fun_tINSA_8identityIsEEEESF_NSA_11use_defaultESM_EENS0_5tupleIJSF_S6_EEENSO_IJSG_SG_EEES6_PlJS6_EEE10hipError_tPvRmT3_T4_T5_T6_T7_T9_mT8_P12ihipStream_tbDpT10_ENKUlT_T0_E_clISt17integral_constantIbLb0EES1B_EEDaS16_S17_EUlS16_E_NS1_11comp_targetILNS1_3genE10ELNS1_11target_archE1200ELNS1_3gpuE4ELNS1_3repE0EEENS1_30default_config_static_selectorELNS0_4arch9wavefront6targetE0EEEvT1_
    .private_segment_fixed_size: 0
    .sgpr_count:     24
    .sgpr_spill_count: 0
    .symbol:         _ZN7rocprim17ROCPRIM_400000_NS6detail17trampoline_kernelINS0_14default_configENS1_25partition_config_selectorILNS1_17partition_subalgoE5EsNS0_10empty_typeEbEEZZNS1_14partition_implILS5_5ELb0ES3_mN6thrust23THRUST_200600_302600_NS6detail15normal_iteratorINSA_10device_ptrIsEEEEPS6_NSA_18transform_iteratorINSB_9not_fun_tINSA_8identityIsEEEESF_NSA_11use_defaultESM_EENS0_5tupleIJSF_S6_EEENSO_IJSG_SG_EEES6_PlJS6_EEE10hipError_tPvRmT3_T4_T5_T6_T7_T9_mT8_P12ihipStream_tbDpT10_ENKUlT_T0_E_clISt17integral_constantIbLb0EES1B_EEDaS16_S17_EUlS16_E_NS1_11comp_targetILNS1_3genE10ELNS1_11target_archE1200ELNS1_3gpuE4ELNS1_3repE0EEENS1_30default_config_static_selectorELNS0_4arch9wavefront6targetE0EEEvT1_.kd
    .uniform_work_group_size: 1
    .uses_dynamic_stack: false
    .vgpr_count:     63
    .vgpr_spill_count: 0
    .wavefront_size: 32
    .workgroup_processor_mode: 1
  - .args:
      - .offset:         0
        .size:           120
        .value_kind:     by_value
    .group_segment_fixed_size: 0
    .kernarg_segment_align: 8
    .kernarg_segment_size: 120
    .language:       OpenCL C
    .language_version:
      - 2
      - 0
    .max_flat_workgroup_size: 128
    .name:           _ZN7rocprim17ROCPRIM_400000_NS6detail17trampoline_kernelINS0_14default_configENS1_25partition_config_selectorILNS1_17partition_subalgoE5EsNS0_10empty_typeEbEEZZNS1_14partition_implILS5_5ELb0ES3_mN6thrust23THRUST_200600_302600_NS6detail15normal_iteratorINSA_10device_ptrIsEEEEPS6_NSA_18transform_iteratorINSB_9not_fun_tINSA_8identityIsEEEESF_NSA_11use_defaultESM_EENS0_5tupleIJSF_S6_EEENSO_IJSG_SG_EEES6_PlJS6_EEE10hipError_tPvRmT3_T4_T5_T6_T7_T9_mT8_P12ihipStream_tbDpT10_ENKUlT_T0_E_clISt17integral_constantIbLb0EES1B_EEDaS16_S17_EUlS16_E_NS1_11comp_targetILNS1_3genE9ELNS1_11target_archE1100ELNS1_3gpuE3ELNS1_3repE0EEENS1_30default_config_static_selectorELNS0_4arch9wavefront6targetE0EEEvT1_
    .private_segment_fixed_size: 0
    .sgpr_count:     0
    .sgpr_spill_count: 0
    .symbol:         _ZN7rocprim17ROCPRIM_400000_NS6detail17trampoline_kernelINS0_14default_configENS1_25partition_config_selectorILNS1_17partition_subalgoE5EsNS0_10empty_typeEbEEZZNS1_14partition_implILS5_5ELb0ES3_mN6thrust23THRUST_200600_302600_NS6detail15normal_iteratorINSA_10device_ptrIsEEEEPS6_NSA_18transform_iteratorINSB_9not_fun_tINSA_8identityIsEEEESF_NSA_11use_defaultESM_EENS0_5tupleIJSF_S6_EEENSO_IJSG_SG_EEES6_PlJS6_EEE10hipError_tPvRmT3_T4_T5_T6_T7_T9_mT8_P12ihipStream_tbDpT10_ENKUlT_T0_E_clISt17integral_constantIbLb0EES1B_EEDaS16_S17_EUlS16_E_NS1_11comp_targetILNS1_3genE9ELNS1_11target_archE1100ELNS1_3gpuE3ELNS1_3repE0EEENS1_30default_config_static_selectorELNS0_4arch9wavefront6targetE0EEEvT1_.kd
    .uniform_work_group_size: 1
    .uses_dynamic_stack: false
    .vgpr_count:     0
    .vgpr_spill_count: 0
    .wavefront_size: 32
    .workgroup_processor_mode: 1
  - .args:
      - .offset:         0
        .size:           120
        .value_kind:     by_value
    .group_segment_fixed_size: 0
    .kernarg_segment_align: 8
    .kernarg_segment_size: 120
    .language:       OpenCL C
    .language_version:
      - 2
      - 0
    .max_flat_workgroup_size: 256
    .name:           _ZN7rocprim17ROCPRIM_400000_NS6detail17trampoline_kernelINS0_14default_configENS1_25partition_config_selectorILNS1_17partition_subalgoE5EsNS0_10empty_typeEbEEZZNS1_14partition_implILS5_5ELb0ES3_mN6thrust23THRUST_200600_302600_NS6detail15normal_iteratorINSA_10device_ptrIsEEEEPS6_NSA_18transform_iteratorINSB_9not_fun_tINSA_8identityIsEEEESF_NSA_11use_defaultESM_EENS0_5tupleIJSF_S6_EEENSO_IJSG_SG_EEES6_PlJS6_EEE10hipError_tPvRmT3_T4_T5_T6_T7_T9_mT8_P12ihipStream_tbDpT10_ENKUlT_T0_E_clISt17integral_constantIbLb0EES1B_EEDaS16_S17_EUlS16_E_NS1_11comp_targetILNS1_3genE8ELNS1_11target_archE1030ELNS1_3gpuE2ELNS1_3repE0EEENS1_30default_config_static_selectorELNS0_4arch9wavefront6targetE0EEEvT1_
    .private_segment_fixed_size: 0
    .sgpr_count:     0
    .sgpr_spill_count: 0
    .symbol:         _ZN7rocprim17ROCPRIM_400000_NS6detail17trampoline_kernelINS0_14default_configENS1_25partition_config_selectorILNS1_17partition_subalgoE5EsNS0_10empty_typeEbEEZZNS1_14partition_implILS5_5ELb0ES3_mN6thrust23THRUST_200600_302600_NS6detail15normal_iteratorINSA_10device_ptrIsEEEEPS6_NSA_18transform_iteratorINSB_9not_fun_tINSA_8identityIsEEEESF_NSA_11use_defaultESM_EENS0_5tupleIJSF_S6_EEENSO_IJSG_SG_EEES6_PlJS6_EEE10hipError_tPvRmT3_T4_T5_T6_T7_T9_mT8_P12ihipStream_tbDpT10_ENKUlT_T0_E_clISt17integral_constantIbLb0EES1B_EEDaS16_S17_EUlS16_E_NS1_11comp_targetILNS1_3genE8ELNS1_11target_archE1030ELNS1_3gpuE2ELNS1_3repE0EEENS1_30default_config_static_selectorELNS0_4arch9wavefront6targetE0EEEvT1_.kd
    .uniform_work_group_size: 1
    .uses_dynamic_stack: false
    .vgpr_count:     0
    .vgpr_spill_count: 0
    .wavefront_size: 32
    .workgroup_processor_mode: 1
  - .args:
      - .offset:         0
        .size:           136
        .value_kind:     by_value
    .group_segment_fixed_size: 0
    .kernarg_segment_align: 8
    .kernarg_segment_size: 136
    .language:       OpenCL C
    .language_version:
      - 2
      - 0
    .max_flat_workgroup_size: 256
    .name:           _ZN7rocprim17ROCPRIM_400000_NS6detail17trampoline_kernelINS0_14default_configENS1_25partition_config_selectorILNS1_17partition_subalgoE5EsNS0_10empty_typeEbEEZZNS1_14partition_implILS5_5ELb0ES3_mN6thrust23THRUST_200600_302600_NS6detail15normal_iteratorINSA_10device_ptrIsEEEEPS6_NSA_18transform_iteratorINSB_9not_fun_tINSA_8identityIsEEEESF_NSA_11use_defaultESM_EENS0_5tupleIJSF_S6_EEENSO_IJSG_SG_EEES6_PlJS6_EEE10hipError_tPvRmT3_T4_T5_T6_T7_T9_mT8_P12ihipStream_tbDpT10_ENKUlT_T0_E_clISt17integral_constantIbLb1EES1B_EEDaS16_S17_EUlS16_E_NS1_11comp_targetILNS1_3genE0ELNS1_11target_archE4294967295ELNS1_3gpuE0ELNS1_3repE0EEENS1_30default_config_static_selectorELNS0_4arch9wavefront6targetE0EEEvT1_
    .private_segment_fixed_size: 0
    .sgpr_count:     0
    .sgpr_spill_count: 0
    .symbol:         _ZN7rocprim17ROCPRIM_400000_NS6detail17trampoline_kernelINS0_14default_configENS1_25partition_config_selectorILNS1_17partition_subalgoE5EsNS0_10empty_typeEbEEZZNS1_14partition_implILS5_5ELb0ES3_mN6thrust23THRUST_200600_302600_NS6detail15normal_iteratorINSA_10device_ptrIsEEEEPS6_NSA_18transform_iteratorINSB_9not_fun_tINSA_8identityIsEEEESF_NSA_11use_defaultESM_EENS0_5tupleIJSF_S6_EEENSO_IJSG_SG_EEES6_PlJS6_EEE10hipError_tPvRmT3_T4_T5_T6_T7_T9_mT8_P12ihipStream_tbDpT10_ENKUlT_T0_E_clISt17integral_constantIbLb1EES1B_EEDaS16_S17_EUlS16_E_NS1_11comp_targetILNS1_3genE0ELNS1_11target_archE4294967295ELNS1_3gpuE0ELNS1_3repE0EEENS1_30default_config_static_selectorELNS0_4arch9wavefront6targetE0EEEvT1_.kd
    .uniform_work_group_size: 1
    .uses_dynamic_stack: false
    .vgpr_count:     0
    .vgpr_spill_count: 0
    .wavefront_size: 32
    .workgroup_processor_mode: 1
  - .args:
      - .offset:         0
        .size:           136
        .value_kind:     by_value
    .group_segment_fixed_size: 0
    .kernarg_segment_align: 8
    .kernarg_segment_size: 136
    .language:       OpenCL C
    .language_version:
      - 2
      - 0
    .max_flat_workgroup_size: 512
    .name:           _ZN7rocprim17ROCPRIM_400000_NS6detail17trampoline_kernelINS0_14default_configENS1_25partition_config_selectorILNS1_17partition_subalgoE5EsNS0_10empty_typeEbEEZZNS1_14partition_implILS5_5ELb0ES3_mN6thrust23THRUST_200600_302600_NS6detail15normal_iteratorINSA_10device_ptrIsEEEEPS6_NSA_18transform_iteratorINSB_9not_fun_tINSA_8identityIsEEEESF_NSA_11use_defaultESM_EENS0_5tupleIJSF_S6_EEENSO_IJSG_SG_EEES6_PlJS6_EEE10hipError_tPvRmT3_T4_T5_T6_T7_T9_mT8_P12ihipStream_tbDpT10_ENKUlT_T0_E_clISt17integral_constantIbLb1EES1B_EEDaS16_S17_EUlS16_E_NS1_11comp_targetILNS1_3genE5ELNS1_11target_archE942ELNS1_3gpuE9ELNS1_3repE0EEENS1_30default_config_static_selectorELNS0_4arch9wavefront6targetE0EEEvT1_
    .private_segment_fixed_size: 0
    .sgpr_count:     0
    .sgpr_spill_count: 0
    .symbol:         _ZN7rocprim17ROCPRIM_400000_NS6detail17trampoline_kernelINS0_14default_configENS1_25partition_config_selectorILNS1_17partition_subalgoE5EsNS0_10empty_typeEbEEZZNS1_14partition_implILS5_5ELb0ES3_mN6thrust23THRUST_200600_302600_NS6detail15normal_iteratorINSA_10device_ptrIsEEEEPS6_NSA_18transform_iteratorINSB_9not_fun_tINSA_8identityIsEEEESF_NSA_11use_defaultESM_EENS0_5tupleIJSF_S6_EEENSO_IJSG_SG_EEES6_PlJS6_EEE10hipError_tPvRmT3_T4_T5_T6_T7_T9_mT8_P12ihipStream_tbDpT10_ENKUlT_T0_E_clISt17integral_constantIbLb1EES1B_EEDaS16_S17_EUlS16_E_NS1_11comp_targetILNS1_3genE5ELNS1_11target_archE942ELNS1_3gpuE9ELNS1_3repE0EEENS1_30default_config_static_selectorELNS0_4arch9wavefront6targetE0EEEvT1_.kd
    .uniform_work_group_size: 1
    .uses_dynamic_stack: false
    .vgpr_count:     0
    .vgpr_spill_count: 0
    .wavefront_size: 32
    .workgroup_processor_mode: 1
  - .args:
      - .offset:         0
        .size:           136
        .value_kind:     by_value
    .group_segment_fixed_size: 0
    .kernarg_segment_align: 8
    .kernarg_segment_size: 136
    .language:       OpenCL C
    .language_version:
      - 2
      - 0
    .max_flat_workgroup_size: 256
    .name:           _ZN7rocprim17ROCPRIM_400000_NS6detail17trampoline_kernelINS0_14default_configENS1_25partition_config_selectorILNS1_17partition_subalgoE5EsNS0_10empty_typeEbEEZZNS1_14partition_implILS5_5ELb0ES3_mN6thrust23THRUST_200600_302600_NS6detail15normal_iteratorINSA_10device_ptrIsEEEEPS6_NSA_18transform_iteratorINSB_9not_fun_tINSA_8identityIsEEEESF_NSA_11use_defaultESM_EENS0_5tupleIJSF_S6_EEENSO_IJSG_SG_EEES6_PlJS6_EEE10hipError_tPvRmT3_T4_T5_T6_T7_T9_mT8_P12ihipStream_tbDpT10_ENKUlT_T0_E_clISt17integral_constantIbLb1EES1B_EEDaS16_S17_EUlS16_E_NS1_11comp_targetILNS1_3genE4ELNS1_11target_archE910ELNS1_3gpuE8ELNS1_3repE0EEENS1_30default_config_static_selectorELNS0_4arch9wavefront6targetE0EEEvT1_
    .private_segment_fixed_size: 0
    .sgpr_count:     0
    .sgpr_spill_count: 0
    .symbol:         _ZN7rocprim17ROCPRIM_400000_NS6detail17trampoline_kernelINS0_14default_configENS1_25partition_config_selectorILNS1_17partition_subalgoE5EsNS0_10empty_typeEbEEZZNS1_14partition_implILS5_5ELb0ES3_mN6thrust23THRUST_200600_302600_NS6detail15normal_iteratorINSA_10device_ptrIsEEEEPS6_NSA_18transform_iteratorINSB_9not_fun_tINSA_8identityIsEEEESF_NSA_11use_defaultESM_EENS0_5tupleIJSF_S6_EEENSO_IJSG_SG_EEES6_PlJS6_EEE10hipError_tPvRmT3_T4_T5_T6_T7_T9_mT8_P12ihipStream_tbDpT10_ENKUlT_T0_E_clISt17integral_constantIbLb1EES1B_EEDaS16_S17_EUlS16_E_NS1_11comp_targetILNS1_3genE4ELNS1_11target_archE910ELNS1_3gpuE8ELNS1_3repE0EEENS1_30default_config_static_selectorELNS0_4arch9wavefront6targetE0EEEvT1_.kd
    .uniform_work_group_size: 1
    .uses_dynamic_stack: false
    .vgpr_count:     0
    .vgpr_spill_count: 0
    .wavefront_size: 32
    .workgroup_processor_mode: 1
  - .args:
      - .offset:         0
        .size:           136
        .value_kind:     by_value
    .group_segment_fixed_size: 0
    .kernarg_segment_align: 8
    .kernarg_segment_size: 136
    .language:       OpenCL C
    .language_version:
      - 2
      - 0
    .max_flat_workgroup_size: 256
    .name:           _ZN7rocprim17ROCPRIM_400000_NS6detail17trampoline_kernelINS0_14default_configENS1_25partition_config_selectorILNS1_17partition_subalgoE5EsNS0_10empty_typeEbEEZZNS1_14partition_implILS5_5ELb0ES3_mN6thrust23THRUST_200600_302600_NS6detail15normal_iteratorINSA_10device_ptrIsEEEEPS6_NSA_18transform_iteratorINSB_9not_fun_tINSA_8identityIsEEEESF_NSA_11use_defaultESM_EENS0_5tupleIJSF_S6_EEENSO_IJSG_SG_EEES6_PlJS6_EEE10hipError_tPvRmT3_T4_T5_T6_T7_T9_mT8_P12ihipStream_tbDpT10_ENKUlT_T0_E_clISt17integral_constantIbLb1EES1B_EEDaS16_S17_EUlS16_E_NS1_11comp_targetILNS1_3genE3ELNS1_11target_archE908ELNS1_3gpuE7ELNS1_3repE0EEENS1_30default_config_static_selectorELNS0_4arch9wavefront6targetE0EEEvT1_
    .private_segment_fixed_size: 0
    .sgpr_count:     0
    .sgpr_spill_count: 0
    .symbol:         _ZN7rocprim17ROCPRIM_400000_NS6detail17trampoline_kernelINS0_14default_configENS1_25partition_config_selectorILNS1_17partition_subalgoE5EsNS0_10empty_typeEbEEZZNS1_14partition_implILS5_5ELb0ES3_mN6thrust23THRUST_200600_302600_NS6detail15normal_iteratorINSA_10device_ptrIsEEEEPS6_NSA_18transform_iteratorINSB_9not_fun_tINSA_8identityIsEEEESF_NSA_11use_defaultESM_EENS0_5tupleIJSF_S6_EEENSO_IJSG_SG_EEES6_PlJS6_EEE10hipError_tPvRmT3_T4_T5_T6_T7_T9_mT8_P12ihipStream_tbDpT10_ENKUlT_T0_E_clISt17integral_constantIbLb1EES1B_EEDaS16_S17_EUlS16_E_NS1_11comp_targetILNS1_3genE3ELNS1_11target_archE908ELNS1_3gpuE7ELNS1_3repE0EEENS1_30default_config_static_selectorELNS0_4arch9wavefront6targetE0EEEvT1_.kd
    .uniform_work_group_size: 1
    .uses_dynamic_stack: false
    .vgpr_count:     0
    .vgpr_spill_count: 0
    .wavefront_size: 32
    .workgroup_processor_mode: 1
  - .args:
      - .offset:         0
        .size:           136
        .value_kind:     by_value
    .group_segment_fixed_size: 0
    .kernarg_segment_align: 8
    .kernarg_segment_size: 136
    .language:       OpenCL C
    .language_version:
      - 2
      - 0
    .max_flat_workgroup_size: 256
    .name:           _ZN7rocprim17ROCPRIM_400000_NS6detail17trampoline_kernelINS0_14default_configENS1_25partition_config_selectorILNS1_17partition_subalgoE5EsNS0_10empty_typeEbEEZZNS1_14partition_implILS5_5ELb0ES3_mN6thrust23THRUST_200600_302600_NS6detail15normal_iteratorINSA_10device_ptrIsEEEEPS6_NSA_18transform_iteratorINSB_9not_fun_tINSA_8identityIsEEEESF_NSA_11use_defaultESM_EENS0_5tupleIJSF_S6_EEENSO_IJSG_SG_EEES6_PlJS6_EEE10hipError_tPvRmT3_T4_T5_T6_T7_T9_mT8_P12ihipStream_tbDpT10_ENKUlT_T0_E_clISt17integral_constantIbLb1EES1B_EEDaS16_S17_EUlS16_E_NS1_11comp_targetILNS1_3genE2ELNS1_11target_archE906ELNS1_3gpuE6ELNS1_3repE0EEENS1_30default_config_static_selectorELNS0_4arch9wavefront6targetE0EEEvT1_
    .private_segment_fixed_size: 0
    .sgpr_count:     0
    .sgpr_spill_count: 0
    .symbol:         _ZN7rocprim17ROCPRIM_400000_NS6detail17trampoline_kernelINS0_14default_configENS1_25partition_config_selectorILNS1_17partition_subalgoE5EsNS0_10empty_typeEbEEZZNS1_14partition_implILS5_5ELb0ES3_mN6thrust23THRUST_200600_302600_NS6detail15normal_iteratorINSA_10device_ptrIsEEEEPS6_NSA_18transform_iteratorINSB_9not_fun_tINSA_8identityIsEEEESF_NSA_11use_defaultESM_EENS0_5tupleIJSF_S6_EEENSO_IJSG_SG_EEES6_PlJS6_EEE10hipError_tPvRmT3_T4_T5_T6_T7_T9_mT8_P12ihipStream_tbDpT10_ENKUlT_T0_E_clISt17integral_constantIbLb1EES1B_EEDaS16_S17_EUlS16_E_NS1_11comp_targetILNS1_3genE2ELNS1_11target_archE906ELNS1_3gpuE6ELNS1_3repE0EEENS1_30default_config_static_selectorELNS0_4arch9wavefront6targetE0EEEvT1_.kd
    .uniform_work_group_size: 1
    .uses_dynamic_stack: false
    .vgpr_count:     0
    .vgpr_spill_count: 0
    .wavefront_size: 32
    .workgroup_processor_mode: 1
  - .args:
      - .offset:         0
        .size:           136
        .value_kind:     by_value
    .group_segment_fixed_size: 0
    .kernarg_segment_align: 8
    .kernarg_segment_size: 136
    .language:       OpenCL C
    .language_version:
      - 2
      - 0
    .max_flat_workgroup_size: 256
    .name:           _ZN7rocprim17ROCPRIM_400000_NS6detail17trampoline_kernelINS0_14default_configENS1_25partition_config_selectorILNS1_17partition_subalgoE5EsNS0_10empty_typeEbEEZZNS1_14partition_implILS5_5ELb0ES3_mN6thrust23THRUST_200600_302600_NS6detail15normal_iteratorINSA_10device_ptrIsEEEEPS6_NSA_18transform_iteratorINSB_9not_fun_tINSA_8identityIsEEEESF_NSA_11use_defaultESM_EENS0_5tupleIJSF_S6_EEENSO_IJSG_SG_EEES6_PlJS6_EEE10hipError_tPvRmT3_T4_T5_T6_T7_T9_mT8_P12ihipStream_tbDpT10_ENKUlT_T0_E_clISt17integral_constantIbLb1EES1B_EEDaS16_S17_EUlS16_E_NS1_11comp_targetILNS1_3genE10ELNS1_11target_archE1200ELNS1_3gpuE4ELNS1_3repE0EEENS1_30default_config_static_selectorELNS0_4arch9wavefront6targetE0EEEvT1_
    .private_segment_fixed_size: 0
    .sgpr_count:     0
    .sgpr_spill_count: 0
    .symbol:         _ZN7rocprim17ROCPRIM_400000_NS6detail17trampoline_kernelINS0_14default_configENS1_25partition_config_selectorILNS1_17partition_subalgoE5EsNS0_10empty_typeEbEEZZNS1_14partition_implILS5_5ELb0ES3_mN6thrust23THRUST_200600_302600_NS6detail15normal_iteratorINSA_10device_ptrIsEEEEPS6_NSA_18transform_iteratorINSB_9not_fun_tINSA_8identityIsEEEESF_NSA_11use_defaultESM_EENS0_5tupleIJSF_S6_EEENSO_IJSG_SG_EEES6_PlJS6_EEE10hipError_tPvRmT3_T4_T5_T6_T7_T9_mT8_P12ihipStream_tbDpT10_ENKUlT_T0_E_clISt17integral_constantIbLb1EES1B_EEDaS16_S17_EUlS16_E_NS1_11comp_targetILNS1_3genE10ELNS1_11target_archE1200ELNS1_3gpuE4ELNS1_3repE0EEENS1_30default_config_static_selectorELNS0_4arch9wavefront6targetE0EEEvT1_.kd
    .uniform_work_group_size: 1
    .uses_dynamic_stack: false
    .vgpr_count:     0
    .vgpr_spill_count: 0
    .wavefront_size: 32
    .workgroup_processor_mode: 1
  - .args:
      - .offset:         0
        .size:           136
        .value_kind:     by_value
    .group_segment_fixed_size: 0
    .kernarg_segment_align: 8
    .kernarg_segment_size: 136
    .language:       OpenCL C
    .language_version:
      - 2
      - 0
    .max_flat_workgroup_size: 128
    .name:           _ZN7rocprim17ROCPRIM_400000_NS6detail17trampoline_kernelINS0_14default_configENS1_25partition_config_selectorILNS1_17partition_subalgoE5EsNS0_10empty_typeEbEEZZNS1_14partition_implILS5_5ELb0ES3_mN6thrust23THRUST_200600_302600_NS6detail15normal_iteratorINSA_10device_ptrIsEEEEPS6_NSA_18transform_iteratorINSB_9not_fun_tINSA_8identityIsEEEESF_NSA_11use_defaultESM_EENS0_5tupleIJSF_S6_EEENSO_IJSG_SG_EEES6_PlJS6_EEE10hipError_tPvRmT3_T4_T5_T6_T7_T9_mT8_P12ihipStream_tbDpT10_ENKUlT_T0_E_clISt17integral_constantIbLb1EES1B_EEDaS16_S17_EUlS16_E_NS1_11comp_targetILNS1_3genE9ELNS1_11target_archE1100ELNS1_3gpuE3ELNS1_3repE0EEENS1_30default_config_static_selectorELNS0_4arch9wavefront6targetE0EEEvT1_
    .private_segment_fixed_size: 0
    .sgpr_count:     0
    .sgpr_spill_count: 0
    .symbol:         _ZN7rocprim17ROCPRIM_400000_NS6detail17trampoline_kernelINS0_14default_configENS1_25partition_config_selectorILNS1_17partition_subalgoE5EsNS0_10empty_typeEbEEZZNS1_14partition_implILS5_5ELb0ES3_mN6thrust23THRUST_200600_302600_NS6detail15normal_iteratorINSA_10device_ptrIsEEEEPS6_NSA_18transform_iteratorINSB_9not_fun_tINSA_8identityIsEEEESF_NSA_11use_defaultESM_EENS0_5tupleIJSF_S6_EEENSO_IJSG_SG_EEES6_PlJS6_EEE10hipError_tPvRmT3_T4_T5_T6_T7_T9_mT8_P12ihipStream_tbDpT10_ENKUlT_T0_E_clISt17integral_constantIbLb1EES1B_EEDaS16_S17_EUlS16_E_NS1_11comp_targetILNS1_3genE9ELNS1_11target_archE1100ELNS1_3gpuE3ELNS1_3repE0EEENS1_30default_config_static_selectorELNS0_4arch9wavefront6targetE0EEEvT1_.kd
    .uniform_work_group_size: 1
    .uses_dynamic_stack: false
    .vgpr_count:     0
    .vgpr_spill_count: 0
    .wavefront_size: 32
    .workgroup_processor_mode: 1
  - .args:
      - .offset:         0
        .size:           136
        .value_kind:     by_value
    .group_segment_fixed_size: 0
    .kernarg_segment_align: 8
    .kernarg_segment_size: 136
    .language:       OpenCL C
    .language_version:
      - 2
      - 0
    .max_flat_workgroup_size: 256
    .name:           _ZN7rocprim17ROCPRIM_400000_NS6detail17trampoline_kernelINS0_14default_configENS1_25partition_config_selectorILNS1_17partition_subalgoE5EsNS0_10empty_typeEbEEZZNS1_14partition_implILS5_5ELb0ES3_mN6thrust23THRUST_200600_302600_NS6detail15normal_iteratorINSA_10device_ptrIsEEEEPS6_NSA_18transform_iteratorINSB_9not_fun_tINSA_8identityIsEEEESF_NSA_11use_defaultESM_EENS0_5tupleIJSF_S6_EEENSO_IJSG_SG_EEES6_PlJS6_EEE10hipError_tPvRmT3_T4_T5_T6_T7_T9_mT8_P12ihipStream_tbDpT10_ENKUlT_T0_E_clISt17integral_constantIbLb1EES1B_EEDaS16_S17_EUlS16_E_NS1_11comp_targetILNS1_3genE8ELNS1_11target_archE1030ELNS1_3gpuE2ELNS1_3repE0EEENS1_30default_config_static_selectorELNS0_4arch9wavefront6targetE0EEEvT1_
    .private_segment_fixed_size: 0
    .sgpr_count:     0
    .sgpr_spill_count: 0
    .symbol:         _ZN7rocprim17ROCPRIM_400000_NS6detail17trampoline_kernelINS0_14default_configENS1_25partition_config_selectorILNS1_17partition_subalgoE5EsNS0_10empty_typeEbEEZZNS1_14partition_implILS5_5ELb0ES3_mN6thrust23THRUST_200600_302600_NS6detail15normal_iteratorINSA_10device_ptrIsEEEEPS6_NSA_18transform_iteratorINSB_9not_fun_tINSA_8identityIsEEEESF_NSA_11use_defaultESM_EENS0_5tupleIJSF_S6_EEENSO_IJSG_SG_EEES6_PlJS6_EEE10hipError_tPvRmT3_T4_T5_T6_T7_T9_mT8_P12ihipStream_tbDpT10_ENKUlT_T0_E_clISt17integral_constantIbLb1EES1B_EEDaS16_S17_EUlS16_E_NS1_11comp_targetILNS1_3genE8ELNS1_11target_archE1030ELNS1_3gpuE2ELNS1_3repE0EEENS1_30default_config_static_selectorELNS0_4arch9wavefront6targetE0EEEvT1_.kd
    .uniform_work_group_size: 1
    .uses_dynamic_stack: false
    .vgpr_count:     0
    .vgpr_spill_count: 0
    .wavefront_size: 32
    .workgroup_processor_mode: 1
  - .args:
      - .offset:         0
        .size:           120
        .value_kind:     by_value
    .group_segment_fixed_size: 0
    .kernarg_segment_align: 8
    .kernarg_segment_size: 120
    .language:       OpenCL C
    .language_version:
      - 2
      - 0
    .max_flat_workgroup_size: 256
    .name:           _ZN7rocprim17ROCPRIM_400000_NS6detail17trampoline_kernelINS0_14default_configENS1_25partition_config_selectorILNS1_17partition_subalgoE5EsNS0_10empty_typeEbEEZZNS1_14partition_implILS5_5ELb0ES3_mN6thrust23THRUST_200600_302600_NS6detail15normal_iteratorINSA_10device_ptrIsEEEEPS6_NSA_18transform_iteratorINSB_9not_fun_tINSA_8identityIsEEEESF_NSA_11use_defaultESM_EENS0_5tupleIJSF_S6_EEENSO_IJSG_SG_EEES6_PlJS6_EEE10hipError_tPvRmT3_T4_T5_T6_T7_T9_mT8_P12ihipStream_tbDpT10_ENKUlT_T0_E_clISt17integral_constantIbLb1EES1A_IbLb0EEEEDaS16_S17_EUlS16_E_NS1_11comp_targetILNS1_3genE0ELNS1_11target_archE4294967295ELNS1_3gpuE0ELNS1_3repE0EEENS1_30default_config_static_selectorELNS0_4arch9wavefront6targetE0EEEvT1_
    .private_segment_fixed_size: 0
    .sgpr_count:     0
    .sgpr_spill_count: 0
    .symbol:         _ZN7rocprim17ROCPRIM_400000_NS6detail17trampoline_kernelINS0_14default_configENS1_25partition_config_selectorILNS1_17partition_subalgoE5EsNS0_10empty_typeEbEEZZNS1_14partition_implILS5_5ELb0ES3_mN6thrust23THRUST_200600_302600_NS6detail15normal_iteratorINSA_10device_ptrIsEEEEPS6_NSA_18transform_iteratorINSB_9not_fun_tINSA_8identityIsEEEESF_NSA_11use_defaultESM_EENS0_5tupleIJSF_S6_EEENSO_IJSG_SG_EEES6_PlJS6_EEE10hipError_tPvRmT3_T4_T5_T6_T7_T9_mT8_P12ihipStream_tbDpT10_ENKUlT_T0_E_clISt17integral_constantIbLb1EES1A_IbLb0EEEEDaS16_S17_EUlS16_E_NS1_11comp_targetILNS1_3genE0ELNS1_11target_archE4294967295ELNS1_3gpuE0ELNS1_3repE0EEENS1_30default_config_static_selectorELNS0_4arch9wavefront6targetE0EEEvT1_.kd
    .uniform_work_group_size: 1
    .uses_dynamic_stack: false
    .vgpr_count:     0
    .vgpr_spill_count: 0
    .wavefront_size: 32
    .workgroup_processor_mode: 1
  - .args:
      - .offset:         0
        .size:           120
        .value_kind:     by_value
    .group_segment_fixed_size: 0
    .kernarg_segment_align: 8
    .kernarg_segment_size: 120
    .language:       OpenCL C
    .language_version:
      - 2
      - 0
    .max_flat_workgroup_size: 512
    .name:           _ZN7rocprim17ROCPRIM_400000_NS6detail17trampoline_kernelINS0_14default_configENS1_25partition_config_selectorILNS1_17partition_subalgoE5EsNS0_10empty_typeEbEEZZNS1_14partition_implILS5_5ELb0ES3_mN6thrust23THRUST_200600_302600_NS6detail15normal_iteratorINSA_10device_ptrIsEEEEPS6_NSA_18transform_iteratorINSB_9not_fun_tINSA_8identityIsEEEESF_NSA_11use_defaultESM_EENS0_5tupleIJSF_S6_EEENSO_IJSG_SG_EEES6_PlJS6_EEE10hipError_tPvRmT3_T4_T5_T6_T7_T9_mT8_P12ihipStream_tbDpT10_ENKUlT_T0_E_clISt17integral_constantIbLb1EES1A_IbLb0EEEEDaS16_S17_EUlS16_E_NS1_11comp_targetILNS1_3genE5ELNS1_11target_archE942ELNS1_3gpuE9ELNS1_3repE0EEENS1_30default_config_static_selectorELNS0_4arch9wavefront6targetE0EEEvT1_
    .private_segment_fixed_size: 0
    .sgpr_count:     0
    .sgpr_spill_count: 0
    .symbol:         _ZN7rocprim17ROCPRIM_400000_NS6detail17trampoline_kernelINS0_14default_configENS1_25partition_config_selectorILNS1_17partition_subalgoE5EsNS0_10empty_typeEbEEZZNS1_14partition_implILS5_5ELb0ES3_mN6thrust23THRUST_200600_302600_NS6detail15normal_iteratorINSA_10device_ptrIsEEEEPS6_NSA_18transform_iteratorINSB_9not_fun_tINSA_8identityIsEEEESF_NSA_11use_defaultESM_EENS0_5tupleIJSF_S6_EEENSO_IJSG_SG_EEES6_PlJS6_EEE10hipError_tPvRmT3_T4_T5_T6_T7_T9_mT8_P12ihipStream_tbDpT10_ENKUlT_T0_E_clISt17integral_constantIbLb1EES1A_IbLb0EEEEDaS16_S17_EUlS16_E_NS1_11comp_targetILNS1_3genE5ELNS1_11target_archE942ELNS1_3gpuE9ELNS1_3repE0EEENS1_30default_config_static_selectorELNS0_4arch9wavefront6targetE0EEEvT1_.kd
    .uniform_work_group_size: 1
    .uses_dynamic_stack: false
    .vgpr_count:     0
    .vgpr_spill_count: 0
    .wavefront_size: 32
    .workgroup_processor_mode: 1
  - .args:
      - .offset:         0
        .size:           120
        .value_kind:     by_value
    .group_segment_fixed_size: 0
    .kernarg_segment_align: 8
    .kernarg_segment_size: 120
    .language:       OpenCL C
    .language_version:
      - 2
      - 0
    .max_flat_workgroup_size: 256
    .name:           _ZN7rocprim17ROCPRIM_400000_NS6detail17trampoline_kernelINS0_14default_configENS1_25partition_config_selectorILNS1_17partition_subalgoE5EsNS0_10empty_typeEbEEZZNS1_14partition_implILS5_5ELb0ES3_mN6thrust23THRUST_200600_302600_NS6detail15normal_iteratorINSA_10device_ptrIsEEEEPS6_NSA_18transform_iteratorINSB_9not_fun_tINSA_8identityIsEEEESF_NSA_11use_defaultESM_EENS0_5tupleIJSF_S6_EEENSO_IJSG_SG_EEES6_PlJS6_EEE10hipError_tPvRmT3_T4_T5_T6_T7_T9_mT8_P12ihipStream_tbDpT10_ENKUlT_T0_E_clISt17integral_constantIbLb1EES1A_IbLb0EEEEDaS16_S17_EUlS16_E_NS1_11comp_targetILNS1_3genE4ELNS1_11target_archE910ELNS1_3gpuE8ELNS1_3repE0EEENS1_30default_config_static_selectorELNS0_4arch9wavefront6targetE0EEEvT1_
    .private_segment_fixed_size: 0
    .sgpr_count:     0
    .sgpr_spill_count: 0
    .symbol:         _ZN7rocprim17ROCPRIM_400000_NS6detail17trampoline_kernelINS0_14default_configENS1_25partition_config_selectorILNS1_17partition_subalgoE5EsNS0_10empty_typeEbEEZZNS1_14partition_implILS5_5ELb0ES3_mN6thrust23THRUST_200600_302600_NS6detail15normal_iteratorINSA_10device_ptrIsEEEEPS6_NSA_18transform_iteratorINSB_9not_fun_tINSA_8identityIsEEEESF_NSA_11use_defaultESM_EENS0_5tupleIJSF_S6_EEENSO_IJSG_SG_EEES6_PlJS6_EEE10hipError_tPvRmT3_T4_T5_T6_T7_T9_mT8_P12ihipStream_tbDpT10_ENKUlT_T0_E_clISt17integral_constantIbLb1EES1A_IbLb0EEEEDaS16_S17_EUlS16_E_NS1_11comp_targetILNS1_3genE4ELNS1_11target_archE910ELNS1_3gpuE8ELNS1_3repE0EEENS1_30default_config_static_selectorELNS0_4arch9wavefront6targetE0EEEvT1_.kd
    .uniform_work_group_size: 1
    .uses_dynamic_stack: false
    .vgpr_count:     0
    .vgpr_spill_count: 0
    .wavefront_size: 32
    .workgroup_processor_mode: 1
  - .args:
      - .offset:         0
        .size:           120
        .value_kind:     by_value
    .group_segment_fixed_size: 0
    .kernarg_segment_align: 8
    .kernarg_segment_size: 120
    .language:       OpenCL C
    .language_version:
      - 2
      - 0
    .max_flat_workgroup_size: 256
    .name:           _ZN7rocprim17ROCPRIM_400000_NS6detail17trampoline_kernelINS0_14default_configENS1_25partition_config_selectorILNS1_17partition_subalgoE5EsNS0_10empty_typeEbEEZZNS1_14partition_implILS5_5ELb0ES3_mN6thrust23THRUST_200600_302600_NS6detail15normal_iteratorINSA_10device_ptrIsEEEEPS6_NSA_18transform_iteratorINSB_9not_fun_tINSA_8identityIsEEEESF_NSA_11use_defaultESM_EENS0_5tupleIJSF_S6_EEENSO_IJSG_SG_EEES6_PlJS6_EEE10hipError_tPvRmT3_T4_T5_T6_T7_T9_mT8_P12ihipStream_tbDpT10_ENKUlT_T0_E_clISt17integral_constantIbLb1EES1A_IbLb0EEEEDaS16_S17_EUlS16_E_NS1_11comp_targetILNS1_3genE3ELNS1_11target_archE908ELNS1_3gpuE7ELNS1_3repE0EEENS1_30default_config_static_selectorELNS0_4arch9wavefront6targetE0EEEvT1_
    .private_segment_fixed_size: 0
    .sgpr_count:     0
    .sgpr_spill_count: 0
    .symbol:         _ZN7rocprim17ROCPRIM_400000_NS6detail17trampoline_kernelINS0_14default_configENS1_25partition_config_selectorILNS1_17partition_subalgoE5EsNS0_10empty_typeEbEEZZNS1_14partition_implILS5_5ELb0ES3_mN6thrust23THRUST_200600_302600_NS6detail15normal_iteratorINSA_10device_ptrIsEEEEPS6_NSA_18transform_iteratorINSB_9not_fun_tINSA_8identityIsEEEESF_NSA_11use_defaultESM_EENS0_5tupleIJSF_S6_EEENSO_IJSG_SG_EEES6_PlJS6_EEE10hipError_tPvRmT3_T4_T5_T6_T7_T9_mT8_P12ihipStream_tbDpT10_ENKUlT_T0_E_clISt17integral_constantIbLb1EES1A_IbLb0EEEEDaS16_S17_EUlS16_E_NS1_11comp_targetILNS1_3genE3ELNS1_11target_archE908ELNS1_3gpuE7ELNS1_3repE0EEENS1_30default_config_static_selectorELNS0_4arch9wavefront6targetE0EEEvT1_.kd
    .uniform_work_group_size: 1
    .uses_dynamic_stack: false
    .vgpr_count:     0
    .vgpr_spill_count: 0
    .wavefront_size: 32
    .workgroup_processor_mode: 1
  - .args:
      - .offset:         0
        .size:           120
        .value_kind:     by_value
    .group_segment_fixed_size: 0
    .kernarg_segment_align: 8
    .kernarg_segment_size: 120
    .language:       OpenCL C
    .language_version:
      - 2
      - 0
    .max_flat_workgroup_size: 256
    .name:           _ZN7rocprim17ROCPRIM_400000_NS6detail17trampoline_kernelINS0_14default_configENS1_25partition_config_selectorILNS1_17partition_subalgoE5EsNS0_10empty_typeEbEEZZNS1_14partition_implILS5_5ELb0ES3_mN6thrust23THRUST_200600_302600_NS6detail15normal_iteratorINSA_10device_ptrIsEEEEPS6_NSA_18transform_iteratorINSB_9not_fun_tINSA_8identityIsEEEESF_NSA_11use_defaultESM_EENS0_5tupleIJSF_S6_EEENSO_IJSG_SG_EEES6_PlJS6_EEE10hipError_tPvRmT3_T4_T5_T6_T7_T9_mT8_P12ihipStream_tbDpT10_ENKUlT_T0_E_clISt17integral_constantIbLb1EES1A_IbLb0EEEEDaS16_S17_EUlS16_E_NS1_11comp_targetILNS1_3genE2ELNS1_11target_archE906ELNS1_3gpuE6ELNS1_3repE0EEENS1_30default_config_static_selectorELNS0_4arch9wavefront6targetE0EEEvT1_
    .private_segment_fixed_size: 0
    .sgpr_count:     0
    .sgpr_spill_count: 0
    .symbol:         _ZN7rocprim17ROCPRIM_400000_NS6detail17trampoline_kernelINS0_14default_configENS1_25partition_config_selectorILNS1_17partition_subalgoE5EsNS0_10empty_typeEbEEZZNS1_14partition_implILS5_5ELb0ES3_mN6thrust23THRUST_200600_302600_NS6detail15normal_iteratorINSA_10device_ptrIsEEEEPS6_NSA_18transform_iteratorINSB_9not_fun_tINSA_8identityIsEEEESF_NSA_11use_defaultESM_EENS0_5tupleIJSF_S6_EEENSO_IJSG_SG_EEES6_PlJS6_EEE10hipError_tPvRmT3_T4_T5_T6_T7_T9_mT8_P12ihipStream_tbDpT10_ENKUlT_T0_E_clISt17integral_constantIbLb1EES1A_IbLb0EEEEDaS16_S17_EUlS16_E_NS1_11comp_targetILNS1_3genE2ELNS1_11target_archE906ELNS1_3gpuE6ELNS1_3repE0EEENS1_30default_config_static_selectorELNS0_4arch9wavefront6targetE0EEEvT1_.kd
    .uniform_work_group_size: 1
    .uses_dynamic_stack: false
    .vgpr_count:     0
    .vgpr_spill_count: 0
    .wavefront_size: 32
    .workgroup_processor_mode: 1
  - .args:
      - .offset:         0
        .size:           120
        .value_kind:     by_value
    .group_segment_fixed_size: 0
    .kernarg_segment_align: 8
    .kernarg_segment_size: 120
    .language:       OpenCL C
    .language_version:
      - 2
      - 0
    .max_flat_workgroup_size: 256
    .name:           _ZN7rocprim17ROCPRIM_400000_NS6detail17trampoline_kernelINS0_14default_configENS1_25partition_config_selectorILNS1_17partition_subalgoE5EsNS0_10empty_typeEbEEZZNS1_14partition_implILS5_5ELb0ES3_mN6thrust23THRUST_200600_302600_NS6detail15normal_iteratorINSA_10device_ptrIsEEEEPS6_NSA_18transform_iteratorINSB_9not_fun_tINSA_8identityIsEEEESF_NSA_11use_defaultESM_EENS0_5tupleIJSF_S6_EEENSO_IJSG_SG_EEES6_PlJS6_EEE10hipError_tPvRmT3_T4_T5_T6_T7_T9_mT8_P12ihipStream_tbDpT10_ENKUlT_T0_E_clISt17integral_constantIbLb1EES1A_IbLb0EEEEDaS16_S17_EUlS16_E_NS1_11comp_targetILNS1_3genE10ELNS1_11target_archE1200ELNS1_3gpuE4ELNS1_3repE0EEENS1_30default_config_static_selectorELNS0_4arch9wavefront6targetE0EEEvT1_
    .private_segment_fixed_size: 0
    .sgpr_count:     0
    .sgpr_spill_count: 0
    .symbol:         _ZN7rocprim17ROCPRIM_400000_NS6detail17trampoline_kernelINS0_14default_configENS1_25partition_config_selectorILNS1_17partition_subalgoE5EsNS0_10empty_typeEbEEZZNS1_14partition_implILS5_5ELb0ES3_mN6thrust23THRUST_200600_302600_NS6detail15normal_iteratorINSA_10device_ptrIsEEEEPS6_NSA_18transform_iteratorINSB_9not_fun_tINSA_8identityIsEEEESF_NSA_11use_defaultESM_EENS0_5tupleIJSF_S6_EEENSO_IJSG_SG_EEES6_PlJS6_EEE10hipError_tPvRmT3_T4_T5_T6_T7_T9_mT8_P12ihipStream_tbDpT10_ENKUlT_T0_E_clISt17integral_constantIbLb1EES1A_IbLb0EEEEDaS16_S17_EUlS16_E_NS1_11comp_targetILNS1_3genE10ELNS1_11target_archE1200ELNS1_3gpuE4ELNS1_3repE0EEENS1_30default_config_static_selectorELNS0_4arch9wavefront6targetE0EEEvT1_.kd
    .uniform_work_group_size: 1
    .uses_dynamic_stack: false
    .vgpr_count:     0
    .vgpr_spill_count: 0
    .wavefront_size: 32
    .workgroup_processor_mode: 1
  - .args:
      - .offset:         0
        .size:           120
        .value_kind:     by_value
    .group_segment_fixed_size: 0
    .kernarg_segment_align: 8
    .kernarg_segment_size: 120
    .language:       OpenCL C
    .language_version:
      - 2
      - 0
    .max_flat_workgroup_size: 128
    .name:           _ZN7rocprim17ROCPRIM_400000_NS6detail17trampoline_kernelINS0_14default_configENS1_25partition_config_selectorILNS1_17partition_subalgoE5EsNS0_10empty_typeEbEEZZNS1_14partition_implILS5_5ELb0ES3_mN6thrust23THRUST_200600_302600_NS6detail15normal_iteratorINSA_10device_ptrIsEEEEPS6_NSA_18transform_iteratorINSB_9not_fun_tINSA_8identityIsEEEESF_NSA_11use_defaultESM_EENS0_5tupleIJSF_S6_EEENSO_IJSG_SG_EEES6_PlJS6_EEE10hipError_tPvRmT3_T4_T5_T6_T7_T9_mT8_P12ihipStream_tbDpT10_ENKUlT_T0_E_clISt17integral_constantIbLb1EES1A_IbLb0EEEEDaS16_S17_EUlS16_E_NS1_11comp_targetILNS1_3genE9ELNS1_11target_archE1100ELNS1_3gpuE3ELNS1_3repE0EEENS1_30default_config_static_selectorELNS0_4arch9wavefront6targetE0EEEvT1_
    .private_segment_fixed_size: 0
    .sgpr_count:     0
    .sgpr_spill_count: 0
    .symbol:         _ZN7rocprim17ROCPRIM_400000_NS6detail17trampoline_kernelINS0_14default_configENS1_25partition_config_selectorILNS1_17partition_subalgoE5EsNS0_10empty_typeEbEEZZNS1_14partition_implILS5_5ELb0ES3_mN6thrust23THRUST_200600_302600_NS6detail15normal_iteratorINSA_10device_ptrIsEEEEPS6_NSA_18transform_iteratorINSB_9not_fun_tINSA_8identityIsEEEESF_NSA_11use_defaultESM_EENS0_5tupleIJSF_S6_EEENSO_IJSG_SG_EEES6_PlJS6_EEE10hipError_tPvRmT3_T4_T5_T6_T7_T9_mT8_P12ihipStream_tbDpT10_ENKUlT_T0_E_clISt17integral_constantIbLb1EES1A_IbLb0EEEEDaS16_S17_EUlS16_E_NS1_11comp_targetILNS1_3genE9ELNS1_11target_archE1100ELNS1_3gpuE3ELNS1_3repE0EEENS1_30default_config_static_selectorELNS0_4arch9wavefront6targetE0EEEvT1_.kd
    .uniform_work_group_size: 1
    .uses_dynamic_stack: false
    .vgpr_count:     0
    .vgpr_spill_count: 0
    .wavefront_size: 32
    .workgroup_processor_mode: 1
  - .args:
      - .offset:         0
        .size:           120
        .value_kind:     by_value
    .group_segment_fixed_size: 0
    .kernarg_segment_align: 8
    .kernarg_segment_size: 120
    .language:       OpenCL C
    .language_version:
      - 2
      - 0
    .max_flat_workgroup_size: 256
    .name:           _ZN7rocprim17ROCPRIM_400000_NS6detail17trampoline_kernelINS0_14default_configENS1_25partition_config_selectorILNS1_17partition_subalgoE5EsNS0_10empty_typeEbEEZZNS1_14partition_implILS5_5ELb0ES3_mN6thrust23THRUST_200600_302600_NS6detail15normal_iteratorINSA_10device_ptrIsEEEEPS6_NSA_18transform_iteratorINSB_9not_fun_tINSA_8identityIsEEEESF_NSA_11use_defaultESM_EENS0_5tupleIJSF_S6_EEENSO_IJSG_SG_EEES6_PlJS6_EEE10hipError_tPvRmT3_T4_T5_T6_T7_T9_mT8_P12ihipStream_tbDpT10_ENKUlT_T0_E_clISt17integral_constantIbLb1EES1A_IbLb0EEEEDaS16_S17_EUlS16_E_NS1_11comp_targetILNS1_3genE8ELNS1_11target_archE1030ELNS1_3gpuE2ELNS1_3repE0EEENS1_30default_config_static_selectorELNS0_4arch9wavefront6targetE0EEEvT1_
    .private_segment_fixed_size: 0
    .sgpr_count:     0
    .sgpr_spill_count: 0
    .symbol:         _ZN7rocprim17ROCPRIM_400000_NS6detail17trampoline_kernelINS0_14default_configENS1_25partition_config_selectorILNS1_17partition_subalgoE5EsNS0_10empty_typeEbEEZZNS1_14partition_implILS5_5ELb0ES3_mN6thrust23THRUST_200600_302600_NS6detail15normal_iteratorINSA_10device_ptrIsEEEEPS6_NSA_18transform_iteratorINSB_9not_fun_tINSA_8identityIsEEEESF_NSA_11use_defaultESM_EENS0_5tupleIJSF_S6_EEENSO_IJSG_SG_EEES6_PlJS6_EEE10hipError_tPvRmT3_T4_T5_T6_T7_T9_mT8_P12ihipStream_tbDpT10_ENKUlT_T0_E_clISt17integral_constantIbLb1EES1A_IbLb0EEEEDaS16_S17_EUlS16_E_NS1_11comp_targetILNS1_3genE8ELNS1_11target_archE1030ELNS1_3gpuE2ELNS1_3repE0EEENS1_30default_config_static_selectorELNS0_4arch9wavefront6targetE0EEEvT1_.kd
    .uniform_work_group_size: 1
    .uses_dynamic_stack: false
    .vgpr_count:     0
    .vgpr_spill_count: 0
    .wavefront_size: 32
    .workgroup_processor_mode: 1
  - .args:
      - .offset:         0
        .size:           136
        .value_kind:     by_value
    .group_segment_fixed_size: 0
    .kernarg_segment_align: 8
    .kernarg_segment_size: 136
    .language:       OpenCL C
    .language_version:
      - 2
      - 0
    .max_flat_workgroup_size: 256
    .name:           _ZN7rocprim17ROCPRIM_400000_NS6detail17trampoline_kernelINS0_14default_configENS1_25partition_config_selectorILNS1_17partition_subalgoE5EsNS0_10empty_typeEbEEZZNS1_14partition_implILS5_5ELb0ES3_mN6thrust23THRUST_200600_302600_NS6detail15normal_iteratorINSA_10device_ptrIsEEEEPS6_NSA_18transform_iteratorINSB_9not_fun_tINSA_8identityIsEEEESF_NSA_11use_defaultESM_EENS0_5tupleIJSF_S6_EEENSO_IJSG_SG_EEES6_PlJS6_EEE10hipError_tPvRmT3_T4_T5_T6_T7_T9_mT8_P12ihipStream_tbDpT10_ENKUlT_T0_E_clISt17integral_constantIbLb0EES1A_IbLb1EEEEDaS16_S17_EUlS16_E_NS1_11comp_targetILNS1_3genE0ELNS1_11target_archE4294967295ELNS1_3gpuE0ELNS1_3repE0EEENS1_30default_config_static_selectorELNS0_4arch9wavefront6targetE0EEEvT1_
    .private_segment_fixed_size: 0
    .sgpr_count:     0
    .sgpr_spill_count: 0
    .symbol:         _ZN7rocprim17ROCPRIM_400000_NS6detail17trampoline_kernelINS0_14default_configENS1_25partition_config_selectorILNS1_17partition_subalgoE5EsNS0_10empty_typeEbEEZZNS1_14partition_implILS5_5ELb0ES3_mN6thrust23THRUST_200600_302600_NS6detail15normal_iteratorINSA_10device_ptrIsEEEEPS6_NSA_18transform_iteratorINSB_9not_fun_tINSA_8identityIsEEEESF_NSA_11use_defaultESM_EENS0_5tupleIJSF_S6_EEENSO_IJSG_SG_EEES6_PlJS6_EEE10hipError_tPvRmT3_T4_T5_T6_T7_T9_mT8_P12ihipStream_tbDpT10_ENKUlT_T0_E_clISt17integral_constantIbLb0EES1A_IbLb1EEEEDaS16_S17_EUlS16_E_NS1_11comp_targetILNS1_3genE0ELNS1_11target_archE4294967295ELNS1_3gpuE0ELNS1_3repE0EEENS1_30default_config_static_selectorELNS0_4arch9wavefront6targetE0EEEvT1_.kd
    .uniform_work_group_size: 1
    .uses_dynamic_stack: false
    .vgpr_count:     0
    .vgpr_spill_count: 0
    .wavefront_size: 32
    .workgroup_processor_mode: 1
  - .args:
      - .offset:         0
        .size:           136
        .value_kind:     by_value
    .group_segment_fixed_size: 0
    .kernarg_segment_align: 8
    .kernarg_segment_size: 136
    .language:       OpenCL C
    .language_version:
      - 2
      - 0
    .max_flat_workgroup_size: 512
    .name:           _ZN7rocprim17ROCPRIM_400000_NS6detail17trampoline_kernelINS0_14default_configENS1_25partition_config_selectorILNS1_17partition_subalgoE5EsNS0_10empty_typeEbEEZZNS1_14partition_implILS5_5ELb0ES3_mN6thrust23THRUST_200600_302600_NS6detail15normal_iteratorINSA_10device_ptrIsEEEEPS6_NSA_18transform_iteratorINSB_9not_fun_tINSA_8identityIsEEEESF_NSA_11use_defaultESM_EENS0_5tupleIJSF_S6_EEENSO_IJSG_SG_EEES6_PlJS6_EEE10hipError_tPvRmT3_T4_T5_T6_T7_T9_mT8_P12ihipStream_tbDpT10_ENKUlT_T0_E_clISt17integral_constantIbLb0EES1A_IbLb1EEEEDaS16_S17_EUlS16_E_NS1_11comp_targetILNS1_3genE5ELNS1_11target_archE942ELNS1_3gpuE9ELNS1_3repE0EEENS1_30default_config_static_selectorELNS0_4arch9wavefront6targetE0EEEvT1_
    .private_segment_fixed_size: 0
    .sgpr_count:     0
    .sgpr_spill_count: 0
    .symbol:         _ZN7rocprim17ROCPRIM_400000_NS6detail17trampoline_kernelINS0_14default_configENS1_25partition_config_selectorILNS1_17partition_subalgoE5EsNS0_10empty_typeEbEEZZNS1_14partition_implILS5_5ELb0ES3_mN6thrust23THRUST_200600_302600_NS6detail15normal_iteratorINSA_10device_ptrIsEEEEPS6_NSA_18transform_iteratorINSB_9not_fun_tINSA_8identityIsEEEESF_NSA_11use_defaultESM_EENS0_5tupleIJSF_S6_EEENSO_IJSG_SG_EEES6_PlJS6_EEE10hipError_tPvRmT3_T4_T5_T6_T7_T9_mT8_P12ihipStream_tbDpT10_ENKUlT_T0_E_clISt17integral_constantIbLb0EES1A_IbLb1EEEEDaS16_S17_EUlS16_E_NS1_11comp_targetILNS1_3genE5ELNS1_11target_archE942ELNS1_3gpuE9ELNS1_3repE0EEENS1_30default_config_static_selectorELNS0_4arch9wavefront6targetE0EEEvT1_.kd
    .uniform_work_group_size: 1
    .uses_dynamic_stack: false
    .vgpr_count:     0
    .vgpr_spill_count: 0
    .wavefront_size: 32
    .workgroup_processor_mode: 1
  - .args:
      - .offset:         0
        .size:           136
        .value_kind:     by_value
    .group_segment_fixed_size: 0
    .kernarg_segment_align: 8
    .kernarg_segment_size: 136
    .language:       OpenCL C
    .language_version:
      - 2
      - 0
    .max_flat_workgroup_size: 256
    .name:           _ZN7rocprim17ROCPRIM_400000_NS6detail17trampoline_kernelINS0_14default_configENS1_25partition_config_selectorILNS1_17partition_subalgoE5EsNS0_10empty_typeEbEEZZNS1_14partition_implILS5_5ELb0ES3_mN6thrust23THRUST_200600_302600_NS6detail15normal_iteratorINSA_10device_ptrIsEEEEPS6_NSA_18transform_iteratorINSB_9not_fun_tINSA_8identityIsEEEESF_NSA_11use_defaultESM_EENS0_5tupleIJSF_S6_EEENSO_IJSG_SG_EEES6_PlJS6_EEE10hipError_tPvRmT3_T4_T5_T6_T7_T9_mT8_P12ihipStream_tbDpT10_ENKUlT_T0_E_clISt17integral_constantIbLb0EES1A_IbLb1EEEEDaS16_S17_EUlS16_E_NS1_11comp_targetILNS1_3genE4ELNS1_11target_archE910ELNS1_3gpuE8ELNS1_3repE0EEENS1_30default_config_static_selectorELNS0_4arch9wavefront6targetE0EEEvT1_
    .private_segment_fixed_size: 0
    .sgpr_count:     0
    .sgpr_spill_count: 0
    .symbol:         _ZN7rocprim17ROCPRIM_400000_NS6detail17trampoline_kernelINS0_14default_configENS1_25partition_config_selectorILNS1_17partition_subalgoE5EsNS0_10empty_typeEbEEZZNS1_14partition_implILS5_5ELb0ES3_mN6thrust23THRUST_200600_302600_NS6detail15normal_iteratorINSA_10device_ptrIsEEEEPS6_NSA_18transform_iteratorINSB_9not_fun_tINSA_8identityIsEEEESF_NSA_11use_defaultESM_EENS0_5tupleIJSF_S6_EEENSO_IJSG_SG_EEES6_PlJS6_EEE10hipError_tPvRmT3_T4_T5_T6_T7_T9_mT8_P12ihipStream_tbDpT10_ENKUlT_T0_E_clISt17integral_constantIbLb0EES1A_IbLb1EEEEDaS16_S17_EUlS16_E_NS1_11comp_targetILNS1_3genE4ELNS1_11target_archE910ELNS1_3gpuE8ELNS1_3repE0EEENS1_30default_config_static_selectorELNS0_4arch9wavefront6targetE0EEEvT1_.kd
    .uniform_work_group_size: 1
    .uses_dynamic_stack: false
    .vgpr_count:     0
    .vgpr_spill_count: 0
    .wavefront_size: 32
    .workgroup_processor_mode: 1
  - .args:
      - .offset:         0
        .size:           136
        .value_kind:     by_value
    .group_segment_fixed_size: 0
    .kernarg_segment_align: 8
    .kernarg_segment_size: 136
    .language:       OpenCL C
    .language_version:
      - 2
      - 0
    .max_flat_workgroup_size: 256
    .name:           _ZN7rocprim17ROCPRIM_400000_NS6detail17trampoline_kernelINS0_14default_configENS1_25partition_config_selectorILNS1_17partition_subalgoE5EsNS0_10empty_typeEbEEZZNS1_14partition_implILS5_5ELb0ES3_mN6thrust23THRUST_200600_302600_NS6detail15normal_iteratorINSA_10device_ptrIsEEEEPS6_NSA_18transform_iteratorINSB_9not_fun_tINSA_8identityIsEEEESF_NSA_11use_defaultESM_EENS0_5tupleIJSF_S6_EEENSO_IJSG_SG_EEES6_PlJS6_EEE10hipError_tPvRmT3_T4_T5_T6_T7_T9_mT8_P12ihipStream_tbDpT10_ENKUlT_T0_E_clISt17integral_constantIbLb0EES1A_IbLb1EEEEDaS16_S17_EUlS16_E_NS1_11comp_targetILNS1_3genE3ELNS1_11target_archE908ELNS1_3gpuE7ELNS1_3repE0EEENS1_30default_config_static_selectorELNS0_4arch9wavefront6targetE0EEEvT1_
    .private_segment_fixed_size: 0
    .sgpr_count:     0
    .sgpr_spill_count: 0
    .symbol:         _ZN7rocprim17ROCPRIM_400000_NS6detail17trampoline_kernelINS0_14default_configENS1_25partition_config_selectorILNS1_17partition_subalgoE5EsNS0_10empty_typeEbEEZZNS1_14partition_implILS5_5ELb0ES3_mN6thrust23THRUST_200600_302600_NS6detail15normal_iteratorINSA_10device_ptrIsEEEEPS6_NSA_18transform_iteratorINSB_9not_fun_tINSA_8identityIsEEEESF_NSA_11use_defaultESM_EENS0_5tupleIJSF_S6_EEENSO_IJSG_SG_EEES6_PlJS6_EEE10hipError_tPvRmT3_T4_T5_T6_T7_T9_mT8_P12ihipStream_tbDpT10_ENKUlT_T0_E_clISt17integral_constantIbLb0EES1A_IbLb1EEEEDaS16_S17_EUlS16_E_NS1_11comp_targetILNS1_3genE3ELNS1_11target_archE908ELNS1_3gpuE7ELNS1_3repE0EEENS1_30default_config_static_selectorELNS0_4arch9wavefront6targetE0EEEvT1_.kd
    .uniform_work_group_size: 1
    .uses_dynamic_stack: false
    .vgpr_count:     0
    .vgpr_spill_count: 0
    .wavefront_size: 32
    .workgroup_processor_mode: 1
  - .args:
      - .offset:         0
        .size:           136
        .value_kind:     by_value
    .group_segment_fixed_size: 0
    .kernarg_segment_align: 8
    .kernarg_segment_size: 136
    .language:       OpenCL C
    .language_version:
      - 2
      - 0
    .max_flat_workgroup_size: 256
    .name:           _ZN7rocprim17ROCPRIM_400000_NS6detail17trampoline_kernelINS0_14default_configENS1_25partition_config_selectorILNS1_17partition_subalgoE5EsNS0_10empty_typeEbEEZZNS1_14partition_implILS5_5ELb0ES3_mN6thrust23THRUST_200600_302600_NS6detail15normal_iteratorINSA_10device_ptrIsEEEEPS6_NSA_18transform_iteratorINSB_9not_fun_tINSA_8identityIsEEEESF_NSA_11use_defaultESM_EENS0_5tupleIJSF_S6_EEENSO_IJSG_SG_EEES6_PlJS6_EEE10hipError_tPvRmT3_T4_T5_T6_T7_T9_mT8_P12ihipStream_tbDpT10_ENKUlT_T0_E_clISt17integral_constantIbLb0EES1A_IbLb1EEEEDaS16_S17_EUlS16_E_NS1_11comp_targetILNS1_3genE2ELNS1_11target_archE906ELNS1_3gpuE6ELNS1_3repE0EEENS1_30default_config_static_selectorELNS0_4arch9wavefront6targetE0EEEvT1_
    .private_segment_fixed_size: 0
    .sgpr_count:     0
    .sgpr_spill_count: 0
    .symbol:         _ZN7rocprim17ROCPRIM_400000_NS6detail17trampoline_kernelINS0_14default_configENS1_25partition_config_selectorILNS1_17partition_subalgoE5EsNS0_10empty_typeEbEEZZNS1_14partition_implILS5_5ELb0ES3_mN6thrust23THRUST_200600_302600_NS6detail15normal_iteratorINSA_10device_ptrIsEEEEPS6_NSA_18transform_iteratorINSB_9not_fun_tINSA_8identityIsEEEESF_NSA_11use_defaultESM_EENS0_5tupleIJSF_S6_EEENSO_IJSG_SG_EEES6_PlJS6_EEE10hipError_tPvRmT3_T4_T5_T6_T7_T9_mT8_P12ihipStream_tbDpT10_ENKUlT_T0_E_clISt17integral_constantIbLb0EES1A_IbLb1EEEEDaS16_S17_EUlS16_E_NS1_11comp_targetILNS1_3genE2ELNS1_11target_archE906ELNS1_3gpuE6ELNS1_3repE0EEENS1_30default_config_static_selectorELNS0_4arch9wavefront6targetE0EEEvT1_.kd
    .uniform_work_group_size: 1
    .uses_dynamic_stack: false
    .vgpr_count:     0
    .vgpr_spill_count: 0
    .wavefront_size: 32
    .workgroup_processor_mode: 1
  - .args:
      - .offset:         0
        .size:           136
        .value_kind:     by_value
    .group_segment_fixed_size: 6160
    .kernarg_segment_align: 8
    .kernarg_segment_size: 136
    .language:       OpenCL C
    .language_version:
      - 2
      - 0
    .max_flat_workgroup_size: 256
    .name:           _ZN7rocprim17ROCPRIM_400000_NS6detail17trampoline_kernelINS0_14default_configENS1_25partition_config_selectorILNS1_17partition_subalgoE5EsNS0_10empty_typeEbEEZZNS1_14partition_implILS5_5ELb0ES3_mN6thrust23THRUST_200600_302600_NS6detail15normal_iteratorINSA_10device_ptrIsEEEEPS6_NSA_18transform_iteratorINSB_9not_fun_tINSA_8identityIsEEEESF_NSA_11use_defaultESM_EENS0_5tupleIJSF_S6_EEENSO_IJSG_SG_EEES6_PlJS6_EEE10hipError_tPvRmT3_T4_T5_T6_T7_T9_mT8_P12ihipStream_tbDpT10_ENKUlT_T0_E_clISt17integral_constantIbLb0EES1A_IbLb1EEEEDaS16_S17_EUlS16_E_NS1_11comp_targetILNS1_3genE10ELNS1_11target_archE1200ELNS1_3gpuE4ELNS1_3repE0EEENS1_30default_config_static_selectorELNS0_4arch9wavefront6targetE0EEEvT1_
    .private_segment_fixed_size: 0
    .sgpr_count:     26
    .sgpr_spill_count: 0
    .symbol:         _ZN7rocprim17ROCPRIM_400000_NS6detail17trampoline_kernelINS0_14default_configENS1_25partition_config_selectorILNS1_17partition_subalgoE5EsNS0_10empty_typeEbEEZZNS1_14partition_implILS5_5ELb0ES3_mN6thrust23THRUST_200600_302600_NS6detail15normal_iteratorINSA_10device_ptrIsEEEEPS6_NSA_18transform_iteratorINSB_9not_fun_tINSA_8identityIsEEEESF_NSA_11use_defaultESM_EENS0_5tupleIJSF_S6_EEENSO_IJSG_SG_EEES6_PlJS6_EEE10hipError_tPvRmT3_T4_T5_T6_T7_T9_mT8_P12ihipStream_tbDpT10_ENKUlT_T0_E_clISt17integral_constantIbLb0EES1A_IbLb1EEEEDaS16_S17_EUlS16_E_NS1_11comp_targetILNS1_3genE10ELNS1_11target_archE1200ELNS1_3gpuE4ELNS1_3repE0EEENS1_30default_config_static_selectorELNS0_4arch9wavefront6targetE0EEEvT1_.kd
    .uniform_work_group_size: 1
    .uses_dynamic_stack: false
    .vgpr_count:     65
    .vgpr_spill_count: 0
    .wavefront_size: 32
    .workgroup_processor_mode: 1
  - .args:
      - .offset:         0
        .size:           136
        .value_kind:     by_value
    .group_segment_fixed_size: 0
    .kernarg_segment_align: 8
    .kernarg_segment_size: 136
    .language:       OpenCL C
    .language_version:
      - 2
      - 0
    .max_flat_workgroup_size: 128
    .name:           _ZN7rocprim17ROCPRIM_400000_NS6detail17trampoline_kernelINS0_14default_configENS1_25partition_config_selectorILNS1_17partition_subalgoE5EsNS0_10empty_typeEbEEZZNS1_14partition_implILS5_5ELb0ES3_mN6thrust23THRUST_200600_302600_NS6detail15normal_iteratorINSA_10device_ptrIsEEEEPS6_NSA_18transform_iteratorINSB_9not_fun_tINSA_8identityIsEEEESF_NSA_11use_defaultESM_EENS0_5tupleIJSF_S6_EEENSO_IJSG_SG_EEES6_PlJS6_EEE10hipError_tPvRmT3_T4_T5_T6_T7_T9_mT8_P12ihipStream_tbDpT10_ENKUlT_T0_E_clISt17integral_constantIbLb0EES1A_IbLb1EEEEDaS16_S17_EUlS16_E_NS1_11comp_targetILNS1_3genE9ELNS1_11target_archE1100ELNS1_3gpuE3ELNS1_3repE0EEENS1_30default_config_static_selectorELNS0_4arch9wavefront6targetE0EEEvT1_
    .private_segment_fixed_size: 0
    .sgpr_count:     0
    .sgpr_spill_count: 0
    .symbol:         _ZN7rocprim17ROCPRIM_400000_NS6detail17trampoline_kernelINS0_14default_configENS1_25partition_config_selectorILNS1_17partition_subalgoE5EsNS0_10empty_typeEbEEZZNS1_14partition_implILS5_5ELb0ES3_mN6thrust23THRUST_200600_302600_NS6detail15normal_iteratorINSA_10device_ptrIsEEEEPS6_NSA_18transform_iteratorINSB_9not_fun_tINSA_8identityIsEEEESF_NSA_11use_defaultESM_EENS0_5tupleIJSF_S6_EEENSO_IJSG_SG_EEES6_PlJS6_EEE10hipError_tPvRmT3_T4_T5_T6_T7_T9_mT8_P12ihipStream_tbDpT10_ENKUlT_T0_E_clISt17integral_constantIbLb0EES1A_IbLb1EEEEDaS16_S17_EUlS16_E_NS1_11comp_targetILNS1_3genE9ELNS1_11target_archE1100ELNS1_3gpuE3ELNS1_3repE0EEENS1_30default_config_static_selectorELNS0_4arch9wavefront6targetE0EEEvT1_.kd
    .uniform_work_group_size: 1
    .uses_dynamic_stack: false
    .vgpr_count:     0
    .vgpr_spill_count: 0
    .wavefront_size: 32
    .workgroup_processor_mode: 1
  - .args:
      - .offset:         0
        .size:           136
        .value_kind:     by_value
    .group_segment_fixed_size: 0
    .kernarg_segment_align: 8
    .kernarg_segment_size: 136
    .language:       OpenCL C
    .language_version:
      - 2
      - 0
    .max_flat_workgroup_size: 256
    .name:           _ZN7rocprim17ROCPRIM_400000_NS6detail17trampoline_kernelINS0_14default_configENS1_25partition_config_selectorILNS1_17partition_subalgoE5EsNS0_10empty_typeEbEEZZNS1_14partition_implILS5_5ELb0ES3_mN6thrust23THRUST_200600_302600_NS6detail15normal_iteratorINSA_10device_ptrIsEEEEPS6_NSA_18transform_iteratorINSB_9not_fun_tINSA_8identityIsEEEESF_NSA_11use_defaultESM_EENS0_5tupleIJSF_S6_EEENSO_IJSG_SG_EEES6_PlJS6_EEE10hipError_tPvRmT3_T4_T5_T6_T7_T9_mT8_P12ihipStream_tbDpT10_ENKUlT_T0_E_clISt17integral_constantIbLb0EES1A_IbLb1EEEEDaS16_S17_EUlS16_E_NS1_11comp_targetILNS1_3genE8ELNS1_11target_archE1030ELNS1_3gpuE2ELNS1_3repE0EEENS1_30default_config_static_selectorELNS0_4arch9wavefront6targetE0EEEvT1_
    .private_segment_fixed_size: 0
    .sgpr_count:     0
    .sgpr_spill_count: 0
    .symbol:         _ZN7rocprim17ROCPRIM_400000_NS6detail17trampoline_kernelINS0_14default_configENS1_25partition_config_selectorILNS1_17partition_subalgoE5EsNS0_10empty_typeEbEEZZNS1_14partition_implILS5_5ELb0ES3_mN6thrust23THRUST_200600_302600_NS6detail15normal_iteratorINSA_10device_ptrIsEEEEPS6_NSA_18transform_iteratorINSB_9not_fun_tINSA_8identityIsEEEESF_NSA_11use_defaultESM_EENS0_5tupleIJSF_S6_EEENSO_IJSG_SG_EEES6_PlJS6_EEE10hipError_tPvRmT3_T4_T5_T6_T7_T9_mT8_P12ihipStream_tbDpT10_ENKUlT_T0_E_clISt17integral_constantIbLb0EES1A_IbLb1EEEEDaS16_S17_EUlS16_E_NS1_11comp_targetILNS1_3genE8ELNS1_11target_archE1030ELNS1_3gpuE2ELNS1_3repE0EEENS1_30default_config_static_selectorELNS0_4arch9wavefront6targetE0EEEvT1_.kd
    .uniform_work_group_size: 1
    .uses_dynamic_stack: false
    .vgpr_count:     0
    .vgpr_spill_count: 0
    .wavefront_size: 32
    .workgroup_processor_mode: 1
  - .args:
      - .offset:         0
        .size:           112
        .value_kind:     by_value
    .group_segment_fixed_size: 0
    .kernarg_segment_align: 8
    .kernarg_segment_size: 112
    .language:       OpenCL C
    .language_version:
      - 2
      - 0
    .max_flat_workgroup_size: 128
    .name:           _ZN7rocprim17ROCPRIM_400000_NS6detail17trampoline_kernelINS0_14default_configENS1_25partition_config_selectorILNS1_17partition_subalgoE6EdNS0_10empty_typeEbEEZZNS1_14partition_implILS5_6ELb0ES3_mN6thrust23THRUST_200600_302600_NS6detail15normal_iteratorINSA_10device_ptrIdEEEEPS6_SG_NS0_5tupleIJSF_S6_EEENSH_IJSG_SG_EEES6_PlJNSB_9not_fun_tI7is_trueIdEEEEEE10hipError_tPvRmT3_T4_T5_T6_T7_T9_mT8_P12ihipStream_tbDpT10_ENKUlT_T0_E_clISt17integral_constantIbLb0EES18_EEDaS13_S14_EUlS13_E_NS1_11comp_targetILNS1_3genE0ELNS1_11target_archE4294967295ELNS1_3gpuE0ELNS1_3repE0EEENS1_30default_config_static_selectorELNS0_4arch9wavefront6targetE0EEEvT1_
    .private_segment_fixed_size: 0
    .sgpr_count:     0
    .sgpr_spill_count: 0
    .symbol:         _ZN7rocprim17ROCPRIM_400000_NS6detail17trampoline_kernelINS0_14default_configENS1_25partition_config_selectorILNS1_17partition_subalgoE6EdNS0_10empty_typeEbEEZZNS1_14partition_implILS5_6ELb0ES3_mN6thrust23THRUST_200600_302600_NS6detail15normal_iteratorINSA_10device_ptrIdEEEEPS6_SG_NS0_5tupleIJSF_S6_EEENSH_IJSG_SG_EEES6_PlJNSB_9not_fun_tI7is_trueIdEEEEEE10hipError_tPvRmT3_T4_T5_T6_T7_T9_mT8_P12ihipStream_tbDpT10_ENKUlT_T0_E_clISt17integral_constantIbLb0EES18_EEDaS13_S14_EUlS13_E_NS1_11comp_targetILNS1_3genE0ELNS1_11target_archE4294967295ELNS1_3gpuE0ELNS1_3repE0EEENS1_30default_config_static_selectorELNS0_4arch9wavefront6targetE0EEEvT1_.kd
    .uniform_work_group_size: 1
    .uses_dynamic_stack: false
    .vgpr_count:     0
    .vgpr_spill_count: 0
    .wavefront_size: 32
    .workgroup_processor_mode: 1
  - .args:
      - .offset:         0
        .size:           112
        .value_kind:     by_value
    .group_segment_fixed_size: 0
    .kernarg_segment_align: 8
    .kernarg_segment_size: 112
    .language:       OpenCL C
    .language_version:
      - 2
      - 0
    .max_flat_workgroup_size: 512
    .name:           _ZN7rocprim17ROCPRIM_400000_NS6detail17trampoline_kernelINS0_14default_configENS1_25partition_config_selectorILNS1_17partition_subalgoE6EdNS0_10empty_typeEbEEZZNS1_14partition_implILS5_6ELb0ES3_mN6thrust23THRUST_200600_302600_NS6detail15normal_iteratorINSA_10device_ptrIdEEEEPS6_SG_NS0_5tupleIJSF_S6_EEENSH_IJSG_SG_EEES6_PlJNSB_9not_fun_tI7is_trueIdEEEEEE10hipError_tPvRmT3_T4_T5_T6_T7_T9_mT8_P12ihipStream_tbDpT10_ENKUlT_T0_E_clISt17integral_constantIbLb0EES18_EEDaS13_S14_EUlS13_E_NS1_11comp_targetILNS1_3genE5ELNS1_11target_archE942ELNS1_3gpuE9ELNS1_3repE0EEENS1_30default_config_static_selectorELNS0_4arch9wavefront6targetE0EEEvT1_
    .private_segment_fixed_size: 0
    .sgpr_count:     0
    .sgpr_spill_count: 0
    .symbol:         _ZN7rocprim17ROCPRIM_400000_NS6detail17trampoline_kernelINS0_14default_configENS1_25partition_config_selectorILNS1_17partition_subalgoE6EdNS0_10empty_typeEbEEZZNS1_14partition_implILS5_6ELb0ES3_mN6thrust23THRUST_200600_302600_NS6detail15normal_iteratorINSA_10device_ptrIdEEEEPS6_SG_NS0_5tupleIJSF_S6_EEENSH_IJSG_SG_EEES6_PlJNSB_9not_fun_tI7is_trueIdEEEEEE10hipError_tPvRmT3_T4_T5_T6_T7_T9_mT8_P12ihipStream_tbDpT10_ENKUlT_T0_E_clISt17integral_constantIbLb0EES18_EEDaS13_S14_EUlS13_E_NS1_11comp_targetILNS1_3genE5ELNS1_11target_archE942ELNS1_3gpuE9ELNS1_3repE0EEENS1_30default_config_static_selectorELNS0_4arch9wavefront6targetE0EEEvT1_.kd
    .uniform_work_group_size: 1
    .uses_dynamic_stack: false
    .vgpr_count:     0
    .vgpr_spill_count: 0
    .wavefront_size: 32
    .workgroup_processor_mode: 1
  - .args:
      - .offset:         0
        .size:           112
        .value_kind:     by_value
    .group_segment_fixed_size: 0
    .kernarg_segment_align: 8
    .kernarg_segment_size: 112
    .language:       OpenCL C
    .language_version:
      - 2
      - 0
    .max_flat_workgroup_size: 128
    .name:           _ZN7rocprim17ROCPRIM_400000_NS6detail17trampoline_kernelINS0_14default_configENS1_25partition_config_selectorILNS1_17partition_subalgoE6EdNS0_10empty_typeEbEEZZNS1_14partition_implILS5_6ELb0ES3_mN6thrust23THRUST_200600_302600_NS6detail15normal_iteratorINSA_10device_ptrIdEEEEPS6_SG_NS0_5tupleIJSF_S6_EEENSH_IJSG_SG_EEES6_PlJNSB_9not_fun_tI7is_trueIdEEEEEE10hipError_tPvRmT3_T4_T5_T6_T7_T9_mT8_P12ihipStream_tbDpT10_ENKUlT_T0_E_clISt17integral_constantIbLb0EES18_EEDaS13_S14_EUlS13_E_NS1_11comp_targetILNS1_3genE4ELNS1_11target_archE910ELNS1_3gpuE8ELNS1_3repE0EEENS1_30default_config_static_selectorELNS0_4arch9wavefront6targetE0EEEvT1_
    .private_segment_fixed_size: 0
    .sgpr_count:     0
    .sgpr_spill_count: 0
    .symbol:         _ZN7rocprim17ROCPRIM_400000_NS6detail17trampoline_kernelINS0_14default_configENS1_25partition_config_selectorILNS1_17partition_subalgoE6EdNS0_10empty_typeEbEEZZNS1_14partition_implILS5_6ELb0ES3_mN6thrust23THRUST_200600_302600_NS6detail15normal_iteratorINSA_10device_ptrIdEEEEPS6_SG_NS0_5tupleIJSF_S6_EEENSH_IJSG_SG_EEES6_PlJNSB_9not_fun_tI7is_trueIdEEEEEE10hipError_tPvRmT3_T4_T5_T6_T7_T9_mT8_P12ihipStream_tbDpT10_ENKUlT_T0_E_clISt17integral_constantIbLb0EES18_EEDaS13_S14_EUlS13_E_NS1_11comp_targetILNS1_3genE4ELNS1_11target_archE910ELNS1_3gpuE8ELNS1_3repE0EEENS1_30default_config_static_selectorELNS0_4arch9wavefront6targetE0EEEvT1_.kd
    .uniform_work_group_size: 1
    .uses_dynamic_stack: false
    .vgpr_count:     0
    .vgpr_spill_count: 0
    .wavefront_size: 32
    .workgroup_processor_mode: 1
  - .args:
      - .offset:         0
        .size:           112
        .value_kind:     by_value
    .group_segment_fixed_size: 0
    .kernarg_segment_align: 8
    .kernarg_segment_size: 112
    .language:       OpenCL C
    .language_version:
      - 2
      - 0
    .max_flat_workgroup_size: 128
    .name:           _ZN7rocprim17ROCPRIM_400000_NS6detail17trampoline_kernelINS0_14default_configENS1_25partition_config_selectorILNS1_17partition_subalgoE6EdNS0_10empty_typeEbEEZZNS1_14partition_implILS5_6ELb0ES3_mN6thrust23THRUST_200600_302600_NS6detail15normal_iteratorINSA_10device_ptrIdEEEEPS6_SG_NS0_5tupleIJSF_S6_EEENSH_IJSG_SG_EEES6_PlJNSB_9not_fun_tI7is_trueIdEEEEEE10hipError_tPvRmT3_T4_T5_T6_T7_T9_mT8_P12ihipStream_tbDpT10_ENKUlT_T0_E_clISt17integral_constantIbLb0EES18_EEDaS13_S14_EUlS13_E_NS1_11comp_targetILNS1_3genE3ELNS1_11target_archE908ELNS1_3gpuE7ELNS1_3repE0EEENS1_30default_config_static_selectorELNS0_4arch9wavefront6targetE0EEEvT1_
    .private_segment_fixed_size: 0
    .sgpr_count:     0
    .sgpr_spill_count: 0
    .symbol:         _ZN7rocprim17ROCPRIM_400000_NS6detail17trampoline_kernelINS0_14default_configENS1_25partition_config_selectorILNS1_17partition_subalgoE6EdNS0_10empty_typeEbEEZZNS1_14partition_implILS5_6ELb0ES3_mN6thrust23THRUST_200600_302600_NS6detail15normal_iteratorINSA_10device_ptrIdEEEEPS6_SG_NS0_5tupleIJSF_S6_EEENSH_IJSG_SG_EEES6_PlJNSB_9not_fun_tI7is_trueIdEEEEEE10hipError_tPvRmT3_T4_T5_T6_T7_T9_mT8_P12ihipStream_tbDpT10_ENKUlT_T0_E_clISt17integral_constantIbLb0EES18_EEDaS13_S14_EUlS13_E_NS1_11comp_targetILNS1_3genE3ELNS1_11target_archE908ELNS1_3gpuE7ELNS1_3repE0EEENS1_30default_config_static_selectorELNS0_4arch9wavefront6targetE0EEEvT1_.kd
    .uniform_work_group_size: 1
    .uses_dynamic_stack: false
    .vgpr_count:     0
    .vgpr_spill_count: 0
    .wavefront_size: 32
    .workgroup_processor_mode: 1
  - .args:
      - .offset:         0
        .size:           112
        .value_kind:     by_value
    .group_segment_fixed_size: 0
    .kernarg_segment_align: 8
    .kernarg_segment_size: 112
    .language:       OpenCL C
    .language_version:
      - 2
      - 0
    .max_flat_workgroup_size: 256
    .name:           _ZN7rocprim17ROCPRIM_400000_NS6detail17trampoline_kernelINS0_14default_configENS1_25partition_config_selectorILNS1_17partition_subalgoE6EdNS0_10empty_typeEbEEZZNS1_14partition_implILS5_6ELb0ES3_mN6thrust23THRUST_200600_302600_NS6detail15normal_iteratorINSA_10device_ptrIdEEEEPS6_SG_NS0_5tupleIJSF_S6_EEENSH_IJSG_SG_EEES6_PlJNSB_9not_fun_tI7is_trueIdEEEEEE10hipError_tPvRmT3_T4_T5_T6_T7_T9_mT8_P12ihipStream_tbDpT10_ENKUlT_T0_E_clISt17integral_constantIbLb0EES18_EEDaS13_S14_EUlS13_E_NS1_11comp_targetILNS1_3genE2ELNS1_11target_archE906ELNS1_3gpuE6ELNS1_3repE0EEENS1_30default_config_static_selectorELNS0_4arch9wavefront6targetE0EEEvT1_
    .private_segment_fixed_size: 0
    .sgpr_count:     0
    .sgpr_spill_count: 0
    .symbol:         _ZN7rocprim17ROCPRIM_400000_NS6detail17trampoline_kernelINS0_14default_configENS1_25partition_config_selectorILNS1_17partition_subalgoE6EdNS0_10empty_typeEbEEZZNS1_14partition_implILS5_6ELb0ES3_mN6thrust23THRUST_200600_302600_NS6detail15normal_iteratorINSA_10device_ptrIdEEEEPS6_SG_NS0_5tupleIJSF_S6_EEENSH_IJSG_SG_EEES6_PlJNSB_9not_fun_tI7is_trueIdEEEEEE10hipError_tPvRmT3_T4_T5_T6_T7_T9_mT8_P12ihipStream_tbDpT10_ENKUlT_T0_E_clISt17integral_constantIbLb0EES18_EEDaS13_S14_EUlS13_E_NS1_11comp_targetILNS1_3genE2ELNS1_11target_archE906ELNS1_3gpuE6ELNS1_3repE0EEENS1_30default_config_static_selectorELNS0_4arch9wavefront6targetE0EEEvT1_.kd
    .uniform_work_group_size: 1
    .uses_dynamic_stack: false
    .vgpr_count:     0
    .vgpr_spill_count: 0
    .wavefront_size: 32
    .workgroup_processor_mode: 1
  - .args:
      - .offset:         0
        .size:           112
        .value_kind:     by_value
    .group_segment_fixed_size: 8464
    .kernarg_segment_align: 8
    .kernarg_segment_size: 112
    .language:       OpenCL C
    .language_version:
      - 2
      - 0
    .max_flat_workgroup_size: 256
    .name:           _ZN7rocprim17ROCPRIM_400000_NS6detail17trampoline_kernelINS0_14default_configENS1_25partition_config_selectorILNS1_17partition_subalgoE6EdNS0_10empty_typeEbEEZZNS1_14partition_implILS5_6ELb0ES3_mN6thrust23THRUST_200600_302600_NS6detail15normal_iteratorINSA_10device_ptrIdEEEEPS6_SG_NS0_5tupleIJSF_S6_EEENSH_IJSG_SG_EEES6_PlJNSB_9not_fun_tI7is_trueIdEEEEEE10hipError_tPvRmT3_T4_T5_T6_T7_T9_mT8_P12ihipStream_tbDpT10_ENKUlT_T0_E_clISt17integral_constantIbLb0EES18_EEDaS13_S14_EUlS13_E_NS1_11comp_targetILNS1_3genE10ELNS1_11target_archE1200ELNS1_3gpuE4ELNS1_3repE0EEENS1_30default_config_static_selectorELNS0_4arch9wavefront6targetE0EEEvT1_
    .private_segment_fixed_size: 0
    .sgpr_count:     24
    .sgpr_spill_count: 0
    .symbol:         _ZN7rocprim17ROCPRIM_400000_NS6detail17trampoline_kernelINS0_14default_configENS1_25partition_config_selectorILNS1_17partition_subalgoE6EdNS0_10empty_typeEbEEZZNS1_14partition_implILS5_6ELb0ES3_mN6thrust23THRUST_200600_302600_NS6detail15normal_iteratorINSA_10device_ptrIdEEEEPS6_SG_NS0_5tupleIJSF_S6_EEENSH_IJSG_SG_EEES6_PlJNSB_9not_fun_tI7is_trueIdEEEEEE10hipError_tPvRmT3_T4_T5_T6_T7_T9_mT8_P12ihipStream_tbDpT10_ENKUlT_T0_E_clISt17integral_constantIbLb0EES18_EEDaS13_S14_EUlS13_E_NS1_11comp_targetILNS1_3genE10ELNS1_11target_archE1200ELNS1_3gpuE4ELNS1_3repE0EEENS1_30default_config_static_selectorELNS0_4arch9wavefront6targetE0EEEvT1_.kd
    .uniform_work_group_size: 1
    .uses_dynamic_stack: false
    .vgpr_count:     46
    .vgpr_spill_count: 0
    .wavefront_size: 32
    .workgroup_processor_mode: 1
  - .args:
      - .offset:         0
        .size:           112
        .value_kind:     by_value
    .group_segment_fixed_size: 0
    .kernarg_segment_align: 8
    .kernarg_segment_size: 112
    .language:       OpenCL C
    .language_version:
      - 2
      - 0
    .max_flat_workgroup_size: 384
    .name:           _ZN7rocprim17ROCPRIM_400000_NS6detail17trampoline_kernelINS0_14default_configENS1_25partition_config_selectorILNS1_17partition_subalgoE6EdNS0_10empty_typeEbEEZZNS1_14partition_implILS5_6ELb0ES3_mN6thrust23THRUST_200600_302600_NS6detail15normal_iteratorINSA_10device_ptrIdEEEEPS6_SG_NS0_5tupleIJSF_S6_EEENSH_IJSG_SG_EEES6_PlJNSB_9not_fun_tI7is_trueIdEEEEEE10hipError_tPvRmT3_T4_T5_T6_T7_T9_mT8_P12ihipStream_tbDpT10_ENKUlT_T0_E_clISt17integral_constantIbLb0EES18_EEDaS13_S14_EUlS13_E_NS1_11comp_targetILNS1_3genE9ELNS1_11target_archE1100ELNS1_3gpuE3ELNS1_3repE0EEENS1_30default_config_static_selectorELNS0_4arch9wavefront6targetE0EEEvT1_
    .private_segment_fixed_size: 0
    .sgpr_count:     0
    .sgpr_spill_count: 0
    .symbol:         _ZN7rocprim17ROCPRIM_400000_NS6detail17trampoline_kernelINS0_14default_configENS1_25partition_config_selectorILNS1_17partition_subalgoE6EdNS0_10empty_typeEbEEZZNS1_14partition_implILS5_6ELb0ES3_mN6thrust23THRUST_200600_302600_NS6detail15normal_iteratorINSA_10device_ptrIdEEEEPS6_SG_NS0_5tupleIJSF_S6_EEENSH_IJSG_SG_EEES6_PlJNSB_9not_fun_tI7is_trueIdEEEEEE10hipError_tPvRmT3_T4_T5_T6_T7_T9_mT8_P12ihipStream_tbDpT10_ENKUlT_T0_E_clISt17integral_constantIbLb0EES18_EEDaS13_S14_EUlS13_E_NS1_11comp_targetILNS1_3genE9ELNS1_11target_archE1100ELNS1_3gpuE3ELNS1_3repE0EEENS1_30default_config_static_selectorELNS0_4arch9wavefront6targetE0EEEvT1_.kd
    .uniform_work_group_size: 1
    .uses_dynamic_stack: false
    .vgpr_count:     0
    .vgpr_spill_count: 0
    .wavefront_size: 32
    .workgroup_processor_mode: 1
  - .args:
      - .offset:         0
        .size:           112
        .value_kind:     by_value
    .group_segment_fixed_size: 0
    .kernarg_segment_align: 8
    .kernarg_segment_size: 112
    .language:       OpenCL C
    .language_version:
      - 2
      - 0
    .max_flat_workgroup_size: 512
    .name:           _ZN7rocprim17ROCPRIM_400000_NS6detail17trampoline_kernelINS0_14default_configENS1_25partition_config_selectorILNS1_17partition_subalgoE6EdNS0_10empty_typeEbEEZZNS1_14partition_implILS5_6ELb0ES3_mN6thrust23THRUST_200600_302600_NS6detail15normal_iteratorINSA_10device_ptrIdEEEEPS6_SG_NS0_5tupleIJSF_S6_EEENSH_IJSG_SG_EEES6_PlJNSB_9not_fun_tI7is_trueIdEEEEEE10hipError_tPvRmT3_T4_T5_T6_T7_T9_mT8_P12ihipStream_tbDpT10_ENKUlT_T0_E_clISt17integral_constantIbLb0EES18_EEDaS13_S14_EUlS13_E_NS1_11comp_targetILNS1_3genE8ELNS1_11target_archE1030ELNS1_3gpuE2ELNS1_3repE0EEENS1_30default_config_static_selectorELNS0_4arch9wavefront6targetE0EEEvT1_
    .private_segment_fixed_size: 0
    .sgpr_count:     0
    .sgpr_spill_count: 0
    .symbol:         _ZN7rocprim17ROCPRIM_400000_NS6detail17trampoline_kernelINS0_14default_configENS1_25partition_config_selectorILNS1_17partition_subalgoE6EdNS0_10empty_typeEbEEZZNS1_14partition_implILS5_6ELb0ES3_mN6thrust23THRUST_200600_302600_NS6detail15normal_iteratorINSA_10device_ptrIdEEEEPS6_SG_NS0_5tupleIJSF_S6_EEENSH_IJSG_SG_EEES6_PlJNSB_9not_fun_tI7is_trueIdEEEEEE10hipError_tPvRmT3_T4_T5_T6_T7_T9_mT8_P12ihipStream_tbDpT10_ENKUlT_T0_E_clISt17integral_constantIbLb0EES18_EEDaS13_S14_EUlS13_E_NS1_11comp_targetILNS1_3genE8ELNS1_11target_archE1030ELNS1_3gpuE2ELNS1_3repE0EEENS1_30default_config_static_selectorELNS0_4arch9wavefront6targetE0EEEvT1_.kd
    .uniform_work_group_size: 1
    .uses_dynamic_stack: false
    .vgpr_count:     0
    .vgpr_spill_count: 0
    .wavefront_size: 32
    .workgroup_processor_mode: 1
  - .args:
      - .offset:         0
        .size:           128
        .value_kind:     by_value
    .group_segment_fixed_size: 0
    .kernarg_segment_align: 8
    .kernarg_segment_size: 128
    .language:       OpenCL C
    .language_version:
      - 2
      - 0
    .max_flat_workgroup_size: 128
    .name:           _ZN7rocprim17ROCPRIM_400000_NS6detail17trampoline_kernelINS0_14default_configENS1_25partition_config_selectorILNS1_17partition_subalgoE6EdNS0_10empty_typeEbEEZZNS1_14partition_implILS5_6ELb0ES3_mN6thrust23THRUST_200600_302600_NS6detail15normal_iteratorINSA_10device_ptrIdEEEEPS6_SG_NS0_5tupleIJSF_S6_EEENSH_IJSG_SG_EEES6_PlJNSB_9not_fun_tI7is_trueIdEEEEEE10hipError_tPvRmT3_T4_T5_T6_T7_T9_mT8_P12ihipStream_tbDpT10_ENKUlT_T0_E_clISt17integral_constantIbLb1EES18_EEDaS13_S14_EUlS13_E_NS1_11comp_targetILNS1_3genE0ELNS1_11target_archE4294967295ELNS1_3gpuE0ELNS1_3repE0EEENS1_30default_config_static_selectorELNS0_4arch9wavefront6targetE0EEEvT1_
    .private_segment_fixed_size: 0
    .sgpr_count:     0
    .sgpr_spill_count: 0
    .symbol:         _ZN7rocprim17ROCPRIM_400000_NS6detail17trampoline_kernelINS0_14default_configENS1_25partition_config_selectorILNS1_17partition_subalgoE6EdNS0_10empty_typeEbEEZZNS1_14partition_implILS5_6ELb0ES3_mN6thrust23THRUST_200600_302600_NS6detail15normal_iteratorINSA_10device_ptrIdEEEEPS6_SG_NS0_5tupleIJSF_S6_EEENSH_IJSG_SG_EEES6_PlJNSB_9not_fun_tI7is_trueIdEEEEEE10hipError_tPvRmT3_T4_T5_T6_T7_T9_mT8_P12ihipStream_tbDpT10_ENKUlT_T0_E_clISt17integral_constantIbLb1EES18_EEDaS13_S14_EUlS13_E_NS1_11comp_targetILNS1_3genE0ELNS1_11target_archE4294967295ELNS1_3gpuE0ELNS1_3repE0EEENS1_30default_config_static_selectorELNS0_4arch9wavefront6targetE0EEEvT1_.kd
    .uniform_work_group_size: 1
    .uses_dynamic_stack: false
    .vgpr_count:     0
    .vgpr_spill_count: 0
    .wavefront_size: 32
    .workgroup_processor_mode: 1
  - .args:
      - .offset:         0
        .size:           128
        .value_kind:     by_value
    .group_segment_fixed_size: 0
    .kernarg_segment_align: 8
    .kernarg_segment_size: 128
    .language:       OpenCL C
    .language_version:
      - 2
      - 0
    .max_flat_workgroup_size: 512
    .name:           _ZN7rocprim17ROCPRIM_400000_NS6detail17trampoline_kernelINS0_14default_configENS1_25partition_config_selectorILNS1_17partition_subalgoE6EdNS0_10empty_typeEbEEZZNS1_14partition_implILS5_6ELb0ES3_mN6thrust23THRUST_200600_302600_NS6detail15normal_iteratorINSA_10device_ptrIdEEEEPS6_SG_NS0_5tupleIJSF_S6_EEENSH_IJSG_SG_EEES6_PlJNSB_9not_fun_tI7is_trueIdEEEEEE10hipError_tPvRmT3_T4_T5_T6_T7_T9_mT8_P12ihipStream_tbDpT10_ENKUlT_T0_E_clISt17integral_constantIbLb1EES18_EEDaS13_S14_EUlS13_E_NS1_11comp_targetILNS1_3genE5ELNS1_11target_archE942ELNS1_3gpuE9ELNS1_3repE0EEENS1_30default_config_static_selectorELNS0_4arch9wavefront6targetE0EEEvT1_
    .private_segment_fixed_size: 0
    .sgpr_count:     0
    .sgpr_spill_count: 0
    .symbol:         _ZN7rocprim17ROCPRIM_400000_NS6detail17trampoline_kernelINS0_14default_configENS1_25partition_config_selectorILNS1_17partition_subalgoE6EdNS0_10empty_typeEbEEZZNS1_14partition_implILS5_6ELb0ES3_mN6thrust23THRUST_200600_302600_NS6detail15normal_iteratorINSA_10device_ptrIdEEEEPS6_SG_NS0_5tupleIJSF_S6_EEENSH_IJSG_SG_EEES6_PlJNSB_9not_fun_tI7is_trueIdEEEEEE10hipError_tPvRmT3_T4_T5_T6_T7_T9_mT8_P12ihipStream_tbDpT10_ENKUlT_T0_E_clISt17integral_constantIbLb1EES18_EEDaS13_S14_EUlS13_E_NS1_11comp_targetILNS1_3genE5ELNS1_11target_archE942ELNS1_3gpuE9ELNS1_3repE0EEENS1_30default_config_static_selectorELNS0_4arch9wavefront6targetE0EEEvT1_.kd
    .uniform_work_group_size: 1
    .uses_dynamic_stack: false
    .vgpr_count:     0
    .vgpr_spill_count: 0
    .wavefront_size: 32
    .workgroup_processor_mode: 1
  - .args:
      - .offset:         0
        .size:           128
        .value_kind:     by_value
    .group_segment_fixed_size: 0
    .kernarg_segment_align: 8
    .kernarg_segment_size: 128
    .language:       OpenCL C
    .language_version:
      - 2
      - 0
    .max_flat_workgroup_size: 128
    .name:           _ZN7rocprim17ROCPRIM_400000_NS6detail17trampoline_kernelINS0_14default_configENS1_25partition_config_selectorILNS1_17partition_subalgoE6EdNS0_10empty_typeEbEEZZNS1_14partition_implILS5_6ELb0ES3_mN6thrust23THRUST_200600_302600_NS6detail15normal_iteratorINSA_10device_ptrIdEEEEPS6_SG_NS0_5tupleIJSF_S6_EEENSH_IJSG_SG_EEES6_PlJNSB_9not_fun_tI7is_trueIdEEEEEE10hipError_tPvRmT3_T4_T5_T6_T7_T9_mT8_P12ihipStream_tbDpT10_ENKUlT_T0_E_clISt17integral_constantIbLb1EES18_EEDaS13_S14_EUlS13_E_NS1_11comp_targetILNS1_3genE4ELNS1_11target_archE910ELNS1_3gpuE8ELNS1_3repE0EEENS1_30default_config_static_selectorELNS0_4arch9wavefront6targetE0EEEvT1_
    .private_segment_fixed_size: 0
    .sgpr_count:     0
    .sgpr_spill_count: 0
    .symbol:         _ZN7rocprim17ROCPRIM_400000_NS6detail17trampoline_kernelINS0_14default_configENS1_25partition_config_selectorILNS1_17partition_subalgoE6EdNS0_10empty_typeEbEEZZNS1_14partition_implILS5_6ELb0ES3_mN6thrust23THRUST_200600_302600_NS6detail15normal_iteratorINSA_10device_ptrIdEEEEPS6_SG_NS0_5tupleIJSF_S6_EEENSH_IJSG_SG_EEES6_PlJNSB_9not_fun_tI7is_trueIdEEEEEE10hipError_tPvRmT3_T4_T5_T6_T7_T9_mT8_P12ihipStream_tbDpT10_ENKUlT_T0_E_clISt17integral_constantIbLb1EES18_EEDaS13_S14_EUlS13_E_NS1_11comp_targetILNS1_3genE4ELNS1_11target_archE910ELNS1_3gpuE8ELNS1_3repE0EEENS1_30default_config_static_selectorELNS0_4arch9wavefront6targetE0EEEvT1_.kd
    .uniform_work_group_size: 1
    .uses_dynamic_stack: false
    .vgpr_count:     0
    .vgpr_spill_count: 0
    .wavefront_size: 32
    .workgroup_processor_mode: 1
  - .args:
      - .offset:         0
        .size:           128
        .value_kind:     by_value
    .group_segment_fixed_size: 0
    .kernarg_segment_align: 8
    .kernarg_segment_size: 128
    .language:       OpenCL C
    .language_version:
      - 2
      - 0
    .max_flat_workgroup_size: 128
    .name:           _ZN7rocprim17ROCPRIM_400000_NS6detail17trampoline_kernelINS0_14default_configENS1_25partition_config_selectorILNS1_17partition_subalgoE6EdNS0_10empty_typeEbEEZZNS1_14partition_implILS5_6ELb0ES3_mN6thrust23THRUST_200600_302600_NS6detail15normal_iteratorINSA_10device_ptrIdEEEEPS6_SG_NS0_5tupleIJSF_S6_EEENSH_IJSG_SG_EEES6_PlJNSB_9not_fun_tI7is_trueIdEEEEEE10hipError_tPvRmT3_T4_T5_T6_T7_T9_mT8_P12ihipStream_tbDpT10_ENKUlT_T0_E_clISt17integral_constantIbLb1EES18_EEDaS13_S14_EUlS13_E_NS1_11comp_targetILNS1_3genE3ELNS1_11target_archE908ELNS1_3gpuE7ELNS1_3repE0EEENS1_30default_config_static_selectorELNS0_4arch9wavefront6targetE0EEEvT1_
    .private_segment_fixed_size: 0
    .sgpr_count:     0
    .sgpr_spill_count: 0
    .symbol:         _ZN7rocprim17ROCPRIM_400000_NS6detail17trampoline_kernelINS0_14default_configENS1_25partition_config_selectorILNS1_17partition_subalgoE6EdNS0_10empty_typeEbEEZZNS1_14partition_implILS5_6ELb0ES3_mN6thrust23THRUST_200600_302600_NS6detail15normal_iteratorINSA_10device_ptrIdEEEEPS6_SG_NS0_5tupleIJSF_S6_EEENSH_IJSG_SG_EEES6_PlJNSB_9not_fun_tI7is_trueIdEEEEEE10hipError_tPvRmT3_T4_T5_T6_T7_T9_mT8_P12ihipStream_tbDpT10_ENKUlT_T0_E_clISt17integral_constantIbLb1EES18_EEDaS13_S14_EUlS13_E_NS1_11comp_targetILNS1_3genE3ELNS1_11target_archE908ELNS1_3gpuE7ELNS1_3repE0EEENS1_30default_config_static_selectorELNS0_4arch9wavefront6targetE0EEEvT1_.kd
    .uniform_work_group_size: 1
    .uses_dynamic_stack: false
    .vgpr_count:     0
    .vgpr_spill_count: 0
    .wavefront_size: 32
    .workgroup_processor_mode: 1
  - .args:
      - .offset:         0
        .size:           128
        .value_kind:     by_value
    .group_segment_fixed_size: 0
    .kernarg_segment_align: 8
    .kernarg_segment_size: 128
    .language:       OpenCL C
    .language_version:
      - 2
      - 0
    .max_flat_workgroup_size: 256
    .name:           _ZN7rocprim17ROCPRIM_400000_NS6detail17trampoline_kernelINS0_14default_configENS1_25partition_config_selectorILNS1_17partition_subalgoE6EdNS0_10empty_typeEbEEZZNS1_14partition_implILS5_6ELb0ES3_mN6thrust23THRUST_200600_302600_NS6detail15normal_iteratorINSA_10device_ptrIdEEEEPS6_SG_NS0_5tupleIJSF_S6_EEENSH_IJSG_SG_EEES6_PlJNSB_9not_fun_tI7is_trueIdEEEEEE10hipError_tPvRmT3_T4_T5_T6_T7_T9_mT8_P12ihipStream_tbDpT10_ENKUlT_T0_E_clISt17integral_constantIbLb1EES18_EEDaS13_S14_EUlS13_E_NS1_11comp_targetILNS1_3genE2ELNS1_11target_archE906ELNS1_3gpuE6ELNS1_3repE0EEENS1_30default_config_static_selectorELNS0_4arch9wavefront6targetE0EEEvT1_
    .private_segment_fixed_size: 0
    .sgpr_count:     0
    .sgpr_spill_count: 0
    .symbol:         _ZN7rocprim17ROCPRIM_400000_NS6detail17trampoline_kernelINS0_14default_configENS1_25partition_config_selectorILNS1_17partition_subalgoE6EdNS0_10empty_typeEbEEZZNS1_14partition_implILS5_6ELb0ES3_mN6thrust23THRUST_200600_302600_NS6detail15normal_iteratorINSA_10device_ptrIdEEEEPS6_SG_NS0_5tupleIJSF_S6_EEENSH_IJSG_SG_EEES6_PlJNSB_9not_fun_tI7is_trueIdEEEEEE10hipError_tPvRmT3_T4_T5_T6_T7_T9_mT8_P12ihipStream_tbDpT10_ENKUlT_T0_E_clISt17integral_constantIbLb1EES18_EEDaS13_S14_EUlS13_E_NS1_11comp_targetILNS1_3genE2ELNS1_11target_archE906ELNS1_3gpuE6ELNS1_3repE0EEENS1_30default_config_static_selectorELNS0_4arch9wavefront6targetE0EEEvT1_.kd
    .uniform_work_group_size: 1
    .uses_dynamic_stack: false
    .vgpr_count:     0
    .vgpr_spill_count: 0
    .wavefront_size: 32
    .workgroup_processor_mode: 1
  - .args:
      - .offset:         0
        .size:           128
        .value_kind:     by_value
    .group_segment_fixed_size: 0
    .kernarg_segment_align: 8
    .kernarg_segment_size: 128
    .language:       OpenCL C
    .language_version:
      - 2
      - 0
    .max_flat_workgroup_size: 256
    .name:           _ZN7rocprim17ROCPRIM_400000_NS6detail17trampoline_kernelINS0_14default_configENS1_25partition_config_selectorILNS1_17partition_subalgoE6EdNS0_10empty_typeEbEEZZNS1_14partition_implILS5_6ELb0ES3_mN6thrust23THRUST_200600_302600_NS6detail15normal_iteratorINSA_10device_ptrIdEEEEPS6_SG_NS0_5tupleIJSF_S6_EEENSH_IJSG_SG_EEES6_PlJNSB_9not_fun_tI7is_trueIdEEEEEE10hipError_tPvRmT3_T4_T5_T6_T7_T9_mT8_P12ihipStream_tbDpT10_ENKUlT_T0_E_clISt17integral_constantIbLb1EES18_EEDaS13_S14_EUlS13_E_NS1_11comp_targetILNS1_3genE10ELNS1_11target_archE1200ELNS1_3gpuE4ELNS1_3repE0EEENS1_30default_config_static_selectorELNS0_4arch9wavefront6targetE0EEEvT1_
    .private_segment_fixed_size: 0
    .sgpr_count:     0
    .sgpr_spill_count: 0
    .symbol:         _ZN7rocprim17ROCPRIM_400000_NS6detail17trampoline_kernelINS0_14default_configENS1_25partition_config_selectorILNS1_17partition_subalgoE6EdNS0_10empty_typeEbEEZZNS1_14partition_implILS5_6ELb0ES3_mN6thrust23THRUST_200600_302600_NS6detail15normal_iteratorINSA_10device_ptrIdEEEEPS6_SG_NS0_5tupleIJSF_S6_EEENSH_IJSG_SG_EEES6_PlJNSB_9not_fun_tI7is_trueIdEEEEEE10hipError_tPvRmT3_T4_T5_T6_T7_T9_mT8_P12ihipStream_tbDpT10_ENKUlT_T0_E_clISt17integral_constantIbLb1EES18_EEDaS13_S14_EUlS13_E_NS1_11comp_targetILNS1_3genE10ELNS1_11target_archE1200ELNS1_3gpuE4ELNS1_3repE0EEENS1_30default_config_static_selectorELNS0_4arch9wavefront6targetE0EEEvT1_.kd
    .uniform_work_group_size: 1
    .uses_dynamic_stack: false
    .vgpr_count:     0
    .vgpr_spill_count: 0
    .wavefront_size: 32
    .workgroup_processor_mode: 1
  - .args:
      - .offset:         0
        .size:           128
        .value_kind:     by_value
    .group_segment_fixed_size: 0
    .kernarg_segment_align: 8
    .kernarg_segment_size: 128
    .language:       OpenCL C
    .language_version:
      - 2
      - 0
    .max_flat_workgroup_size: 384
    .name:           _ZN7rocprim17ROCPRIM_400000_NS6detail17trampoline_kernelINS0_14default_configENS1_25partition_config_selectorILNS1_17partition_subalgoE6EdNS0_10empty_typeEbEEZZNS1_14partition_implILS5_6ELb0ES3_mN6thrust23THRUST_200600_302600_NS6detail15normal_iteratorINSA_10device_ptrIdEEEEPS6_SG_NS0_5tupleIJSF_S6_EEENSH_IJSG_SG_EEES6_PlJNSB_9not_fun_tI7is_trueIdEEEEEE10hipError_tPvRmT3_T4_T5_T6_T7_T9_mT8_P12ihipStream_tbDpT10_ENKUlT_T0_E_clISt17integral_constantIbLb1EES18_EEDaS13_S14_EUlS13_E_NS1_11comp_targetILNS1_3genE9ELNS1_11target_archE1100ELNS1_3gpuE3ELNS1_3repE0EEENS1_30default_config_static_selectorELNS0_4arch9wavefront6targetE0EEEvT1_
    .private_segment_fixed_size: 0
    .sgpr_count:     0
    .sgpr_spill_count: 0
    .symbol:         _ZN7rocprim17ROCPRIM_400000_NS6detail17trampoline_kernelINS0_14default_configENS1_25partition_config_selectorILNS1_17partition_subalgoE6EdNS0_10empty_typeEbEEZZNS1_14partition_implILS5_6ELb0ES3_mN6thrust23THRUST_200600_302600_NS6detail15normal_iteratorINSA_10device_ptrIdEEEEPS6_SG_NS0_5tupleIJSF_S6_EEENSH_IJSG_SG_EEES6_PlJNSB_9not_fun_tI7is_trueIdEEEEEE10hipError_tPvRmT3_T4_T5_T6_T7_T9_mT8_P12ihipStream_tbDpT10_ENKUlT_T0_E_clISt17integral_constantIbLb1EES18_EEDaS13_S14_EUlS13_E_NS1_11comp_targetILNS1_3genE9ELNS1_11target_archE1100ELNS1_3gpuE3ELNS1_3repE0EEENS1_30default_config_static_selectorELNS0_4arch9wavefront6targetE0EEEvT1_.kd
    .uniform_work_group_size: 1
    .uses_dynamic_stack: false
    .vgpr_count:     0
    .vgpr_spill_count: 0
    .wavefront_size: 32
    .workgroup_processor_mode: 1
  - .args:
      - .offset:         0
        .size:           128
        .value_kind:     by_value
    .group_segment_fixed_size: 0
    .kernarg_segment_align: 8
    .kernarg_segment_size: 128
    .language:       OpenCL C
    .language_version:
      - 2
      - 0
    .max_flat_workgroup_size: 512
    .name:           _ZN7rocprim17ROCPRIM_400000_NS6detail17trampoline_kernelINS0_14default_configENS1_25partition_config_selectorILNS1_17partition_subalgoE6EdNS0_10empty_typeEbEEZZNS1_14partition_implILS5_6ELb0ES3_mN6thrust23THRUST_200600_302600_NS6detail15normal_iteratorINSA_10device_ptrIdEEEEPS6_SG_NS0_5tupleIJSF_S6_EEENSH_IJSG_SG_EEES6_PlJNSB_9not_fun_tI7is_trueIdEEEEEE10hipError_tPvRmT3_T4_T5_T6_T7_T9_mT8_P12ihipStream_tbDpT10_ENKUlT_T0_E_clISt17integral_constantIbLb1EES18_EEDaS13_S14_EUlS13_E_NS1_11comp_targetILNS1_3genE8ELNS1_11target_archE1030ELNS1_3gpuE2ELNS1_3repE0EEENS1_30default_config_static_selectorELNS0_4arch9wavefront6targetE0EEEvT1_
    .private_segment_fixed_size: 0
    .sgpr_count:     0
    .sgpr_spill_count: 0
    .symbol:         _ZN7rocprim17ROCPRIM_400000_NS6detail17trampoline_kernelINS0_14default_configENS1_25partition_config_selectorILNS1_17partition_subalgoE6EdNS0_10empty_typeEbEEZZNS1_14partition_implILS5_6ELb0ES3_mN6thrust23THRUST_200600_302600_NS6detail15normal_iteratorINSA_10device_ptrIdEEEEPS6_SG_NS0_5tupleIJSF_S6_EEENSH_IJSG_SG_EEES6_PlJNSB_9not_fun_tI7is_trueIdEEEEEE10hipError_tPvRmT3_T4_T5_T6_T7_T9_mT8_P12ihipStream_tbDpT10_ENKUlT_T0_E_clISt17integral_constantIbLb1EES18_EEDaS13_S14_EUlS13_E_NS1_11comp_targetILNS1_3genE8ELNS1_11target_archE1030ELNS1_3gpuE2ELNS1_3repE0EEENS1_30default_config_static_selectorELNS0_4arch9wavefront6targetE0EEEvT1_.kd
    .uniform_work_group_size: 1
    .uses_dynamic_stack: false
    .vgpr_count:     0
    .vgpr_spill_count: 0
    .wavefront_size: 32
    .workgroup_processor_mode: 1
  - .args:
      - .offset:         0
        .size:           112
        .value_kind:     by_value
    .group_segment_fixed_size: 0
    .kernarg_segment_align: 8
    .kernarg_segment_size: 112
    .language:       OpenCL C
    .language_version:
      - 2
      - 0
    .max_flat_workgroup_size: 128
    .name:           _ZN7rocprim17ROCPRIM_400000_NS6detail17trampoline_kernelINS0_14default_configENS1_25partition_config_selectorILNS1_17partition_subalgoE6EdNS0_10empty_typeEbEEZZNS1_14partition_implILS5_6ELb0ES3_mN6thrust23THRUST_200600_302600_NS6detail15normal_iteratorINSA_10device_ptrIdEEEEPS6_SG_NS0_5tupleIJSF_S6_EEENSH_IJSG_SG_EEES6_PlJNSB_9not_fun_tI7is_trueIdEEEEEE10hipError_tPvRmT3_T4_T5_T6_T7_T9_mT8_P12ihipStream_tbDpT10_ENKUlT_T0_E_clISt17integral_constantIbLb1EES17_IbLb0EEEEDaS13_S14_EUlS13_E_NS1_11comp_targetILNS1_3genE0ELNS1_11target_archE4294967295ELNS1_3gpuE0ELNS1_3repE0EEENS1_30default_config_static_selectorELNS0_4arch9wavefront6targetE0EEEvT1_
    .private_segment_fixed_size: 0
    .sgpr_count:     0
    .sgpr_spill_count: 0
    .symbol:         _ZN7rocprim17ROCPRIM_400000_NS6detail17trampoline_kernelINS0_14default_configENS1_25partition_config_selectorILNS1_17partition_subalgoE6EdNS0_10empty_typeEbEEZZNS1_14partition_implILS5_6ELb0ES3_mN6thrust23THRUST_200600_302600_NS6detail15normal_iteratorINSA_10device_ptrIdEEEEPS6_SG_NS0_5tupleIJSF_S6_EEENSH_IJSG_SG_EEES6_PlJNSB_9not_fun_tI7is_trueIdEEEEEE10hipError_tPvRmT3_T4_T5_T6_T7_T9_mT8_P12ihipStream_tbDpT10_ENKUlT_T0_E_clISt17integral_constantIbLb1EES17_IbLb0EEEEDaS13_S14_EUlS13_E_NS1_11comp_targetILNS1_3genE0ELNS1_11target_archE4294967295ELNS1_3gpuE0ELNS1_3repE0EEENS1_30default_config_static_selectorELNS0_4arch9wavefront6targetE0EEEvT1_.kd
    .uniform_work_group_size: 1
    .uses_dynamic_stack: false
    .vgpr_count:     0
    .vgpr_spill_count: 0
    .wavefront_size: 32
    .workgroup_processor_mode: 1
  - .args:
      - .offset:         0
        .size:           112
        .value_kind:     by_value
    .group_segment_fixed_size: 0
    .kernarg_segment_align: 8
    .kernarg_segment_size: 112
    .language:       OpenCL C
    .language_version:
      - 2
      - 0
    .max_flat_workgroup_size: 512
    .name:           _ZN7rocprim17ROCPRIM_400000_NS6detail17trampoline_kernelINS0_14default_configENS1_25partition_config_selectorILNS1_17partition_subalgoE6EdNS0_10empty_typeEbEEZZNS1_14partition_implILS5_6ELb0ES3_mN6thrust23THRUST_200600_302600_NS6detail15normal_iteratorINSA_10device_ptrIdEEEEPS6_SG_NS0_5tupleIJSF_S6_EEENSH_IJSG_SG_EEES6_PlJNSB_9not_fun_tI7is_trueIdEEEEEE10hipError_tPvRmT3_T4_T5_T6_T7_T9_mT8_P12ihipStream_tbDpT10_ENKUlT_T0_E_clISt17integral_constantIbLb1EES17_IbLb0EEEEDaS13_S14_EUlS13_E_NS1_11comp_targetILNS1_3genE5ELNS1_11target_archE942ELNS1_3gpuE9ELNS1_3repE0EEENS1_30default_config_static_selectorELNS0_4arch9wavefront6targetE0EEEvT1_
    .private_segment_fixed_size: 0
    .sgpr_count:     0
    .sgpr_spill_count: 0
    .symbol:         _ZN7rocprim17ROCPRIM_400000_NS6detail17trampoline_kernelINS0_14default_configENS1_25partition_config_selectorILNS1_17partition_subalgoE6EdNS0_10empty_typeEbEEZZNS1_14partition_implILS5_6ELb0ES3_mN6thrust23THRUST_200600_302600_NS6detail15normal_iteratorINSA_10device_ptrIdEEEEPS6_SG_NS0_5tupleIJSF_S6_EEENSH_IJSG_SG_EEES6_PlJNSB_9not_fun_tI7is_trueIdEEEEEE10hipError_tPvRmT3_T4_T5_T6_T7_T9_mT8_P12ihipStream_tbDpT10_ENKUlT_T0_E_clISt17integral_constantIbLb1EES17_IbLb0EEEEDaS13_S14_EUlS13_E_NS1_11comp_targetILNS1_3genE5ELNS1_11target_archE942ELNS1_3gpuE9ELNS1_3repE0EEENS1_30default_config_static_selectorELNS0_4arch9wavefront6targetE0EEEvT1_.kd
    .uniform_work_group_size: 1
    .uses_dynamic_stack: false
    .vgpr_count:     0
    .vgpr_spill_count: 0
    .wavefront_size: 32
    .workgroup_processor_mode: 1
  - .args:
      - .offset:         0
        .size:           112
        .value_kind:     by_value
    .group_segment_fixed_size: 0
    .kernarg_segment_align: 8
    .kernarg_segment_size: 112
    .language:       OpenCL C
    .language_version:
      - 2
      - 0
    .max_flat_workgroup_size: 128
    .name:           _ZN7rocprim17ROCPRIM_400000_NS6detail17trampoline_kernelINS0_14default_configENS1_25partition_config_selectorILNS1_17partition_subalgoE6EdNS0_10empty_typeEbEEZZNS1_14partition_implILS5_6ELb0ES3_mN6thrust23THRUST_200600_302600_NS6detail15normal_iteratorINSA_10device_ptrIdEEEEPS6_SG_NS0_5tupleIJSF_S6_EEENSH_IJSG_SG_EEES6_PlJNSB_9not_fun_tI7is_trueIdEEEEEE10hipError_tPvRmT3_T4_T5_T6_T7_T9_mT8_P12ihipStream_tbDpT10_ENKUlT_T0_E_clISt17integral_constantIbLb1EES17_IbLb0EEEEDaS13_S14_EUlS13_E_NS1_11comp_targetILNS1_3genE4ELNS1_11target_archE910ELNS1_3gpuE8ELNS1_3repE0EEENS1_30default_config_static_selectorELNS0_4arch9wavefront6targetE0EEEvT1_
    .private_segment_fixed_size: 0
    .sgpr_count:     0
    .sgpr_spill_count: 0
    .symbol:         _ZN7rocprim17ROCPRIM_400000_NS6detail17trampoline_kernelINS0_14default_configENS1_25partition_config_selectorILNS1_17partition_subalgoE6EdNS0_10empty_typeEbEEZZNS1_14partition_implILS5_6ELb0ES3_mN6thrust23THRUST_200600_302600_NS6detail15normal_iteratorINSA_10device_ptrIdEEEEPS6_SG_NS0_5tupleIJSF_S6_EEENSH_IJSG_SG_EEES6_PlJNSB_9not_fun_tI7is_trueIdEEEEEE10hipError_tPvRmT3_T4_T5_T6_T7_T9_mT8_P12ihipStream_tbDpT10_ENKUlT_T0_E_clISt17integral_constantIbLb1EES17_IbLb0EEEEDaS13_S14_EUlS13_E_NS1_11comp_targetILNS1_3genE4ELNS1_11target_archE910ELNS1_3gpuE8ELNS1_3repE0EEENS1_30default_config_static_selectorELNS0_4arch9wavefront6targetE0EEEvT1_.kd
    .uniform_work_group_size: 1
    .uses_dynamic_stack: false
    .vgpr_count:     0
    .vgpr_spill_count: 0
    .wavefront_size: 32
    .workgroup_processor_mode: 1
  - .args:
      - .offset:         0
        .size:           112
        .value_kind:     by_value
    .group_segment_fixed_size: 0
    .kernarg_segment_align: 8
    .kernarg_segment_size: 112
    .language:       OpenCL C
    .language_version:
      - 2
      - 0
    .max_flat_workgroup_size: 128
    .name:           _ZN7rocprim17ROCPRIM_400000_NS6detail17trampoline_kernelINS0_14default_configENS1_25partition_config_selectorILNS1_17partition_subalgoE6EdNS0_10empty_typeEbEEZZNS1_14partition_implILS5_6ELb0ES3_mN6thrust23THRUST_200600_302600_NS6detail15normal_iteratorINSA_10device_ptrIdEEEEPS6_SG_NS0_5tupleIJSF_S6_EEENSH_IJSG_SG_EEES6_PlJNSB_9not_fun_tI7is_trueIdEEEEEE10hipError_tPvRmT3_T4_T5_T6_T7_T9_mT8_P12ihipStream_tbDpT10_ENKUlT_T0_E_clISt17integral_constantIbLb1EES17_IbLb0EEEEDaS13_S14_EUlS13_E_NS1_11comp_targetILNS1_3genE3ELNS1_11target_archE908ELNS1_3gpuE7ELNS1_3repE0EEENS1_30default_config_static_selectorELNS0_4arch9wavefront6targetE0EEEvT1_
    .private_segment_fixed_size: 0
    .sgpr_count:     0
    .sgpr_spill_count: 0
    .symbol:         _ZN7rocprim17ROCPRIM_400000_NS6detail17trampoline_kernelINS0_14default_configENS1_25partition_config_selectorILNS1_17partition_subalgoE6EdNS0_10empty_typeEbEEZZNS1_14partition_implILS5_6ELb0ES3_mN6thrust23THRUST_200600_302600_NS6detail15normal_iteratorINSA_10device_ptrIdEEEEPS6_SG_NS0_5tupleIJSF_S6_EEENSH_IJSG_SG_EEES6_PlJNSB_9not_fun_tI7is_trueIdEEEEEE10hipError_tPvRmT3_T4_T5_T6_T7_T9_mT8_P12ihipStream_tbDpT10_ENKUlT_T0_E_clISt17integral_constantIbLb1EES17_IbLb0EEEEDaS13_S14_EUlS13_E_NS1_11comp_targetILNS1_3genE3ELNS1_11target_archE908ELNS1_3gpuE7ELNS1_3repE0EEENS1_30default_config_static_selectorELNS0_4arch9wavefront6targetE0EEEvT1_.kd
    .uniform_work_group_size: 1
    .uses_dynamic_stack: false
    .vgpr_count:     0
    .vgpr_spill_count: 0
    .wavefront_size: 32
    .workgroup_processor_mode: 1
  - .args:
      - .offset:         0
        .size:           112
        .value_kind:     by_value
    .group_segment_fixed_size: 0
    .kernarg_segment_align: 8
    .kernarg_segment_size: 112
    .language:       OpenCL C
    .language_version:
      - 2
      - 0
    .max_flat_workgroup_size: 256
    .name:           _ZN7rocprim17ROCPRIM_400000_NS6detail17trampoline_kernelINS0_14default_configENS1_25partition_config_selectorILNS1_17partition_subalgoE6EdNS0_10empty_typeEbEEZZNS1_14partition_implILS5_6ELb0ES3_mN6thrust23THRUST_200600_302600_NS6detail15normal_iteratorINSA_10device_ptrIdEEEEPS6_SG_NS0_5tupleIJSF_S6_EEENSH_IJSG_SG_EEES6_PlJNSB_9not_fun_tI7is_trueIdEEEEEE10hipError_tPvRmT3_T4_T5_T6_T7_T9_mT8_P12ihipStream_tbDpT10_ENKUlT_T0_E_clISt17integral_constantIbLb1EES17_IbLb0EEEEDaS13_S14_EUlS13_E_NS1_11comp_targetILNS1_3genE2ELNS1_11target_archE906ELNS1_3gpuE6ELNS1_3repE0EEENS1_30default_config_static_selectorELNS0_4arch9wavefront6targetE0EEEvT1_
    .private_segment_fixed_size: 0
    .sgpr_count:     0
    .sgpr_spill_count: 0
    .symbol:         _ZN7rocprim17ROCPRIM_400000_NS6detail17trampoline_kernelINS0_14default_configENS1_25partition_config_selectorILNS1_17partition_subalgoE6EdNS0_10empty_typeEbEEZZNS1_14partition_implILS5_6ELb0ES3_mN6thrust23THRUST_200600_302600_NS6detail15normal_iteratorINSA_10device_ptrIdEEEEPS6_SG_NS0_5tupleIJSF_S6_EEENSH_IJSG_SG_EEES6_PlJNSB_9not_fun_tI7is_trueIdEEEEEE10hipError_tPvRmT3_T4_T5_T6_T7_T9_mT8_P12ihipStream_tbDpT10_ENKUlT_T0_E_clISt17integral_constantIbLb1EES17_IbLb0EEEEDaS13_S14_EUlS13_E_NS1_11comp_targetILNS1_3genE2ELNS1_11target_archE906ELNS1_3gpuE6ELNS1_3repE0EEENS1_30default_config_static_selectorELNS0_4arch9wavefront6targetE0EEEvT1_.kd
    .uniform_work_group_size: 1
    .uses_dynamic_stack: false
    .vgpr_count:     0
    .vgpr_spill_count: 0
    .wavefront_size: 32
    .workgroup_processor_mode: 1
  - .args:
      - .offset:         0
        .size:           112
        .value_kind:     by_value
    .group_segment_fixed_size: 0
    .kernarg_segment_align: 8
    .kernarg_segment_size: 112
    .language:       OpenCL C
    .language_version:
      - 2
      - 0
    .max_flat_workgroup_size: 256
    .name:           _ZN7rocprim17ROCPRIM_400000_NS6detail17trampoline_kernelINS0_14default_configENS1_25partition_config_selectorILNS1_17partition_subalgoE6EdNS0_10empty_typeEbEEZZNS1_14partition_implILS5_6ELb0ES3_mN6thrust23THRUST_200600_302600_NS6detail15normal_iteratorINSA_10device_ptrIdEEEEPS6_SG_NS0_5tupleIJSF_S6_EEENSH_IJSG_SG_EEES6_PlJNSB_9not_fun_tI7is_trueIdEEEEEE10hipError_tPvRmT3_T4_T5_T6_T7_T9_mT8_P12ihipStream_tbDpT10_ENKUlT_T0_E_clISt17integral_constantIbLb1EES17_IbLb0EEEEDaS13_S14_EUlS13_E_NS1_11comp_targetILNS1_3genE10ELNS1_11target_archE1200ELNS1_3gpuE4ELNS1_3repE0EEENS1_30default_config_static_selectorELNS0_4arch9wavefront6targetE0EEEvT1_
    .private_segment_fixed_size: 0
    .sgpr_count:     0
    .sgpr_spill_count: 0
    .symbol:         _ZN7rocprim17ROCPRIM_400000_NS6detail17trampoline_kernelINS0_14default_configENS1_25partition_config_selectorILNS1_17partition_subalgoE6EdNS0_10empty_typeEbEEZZNS1_14partition_implILS5_6ELb0ES3_mN6thrust23THRUST_200600_302600_NS6detail15normal_iteratorINSA_10device_ptrIdEEEEPS6_SG_NS0_5tupleIJSF_S6_EEENSH_IJSG_SG_EEES6_PlJNSB_9not_fun_tI7is_trueIdEEEEEE10hipError_tPvRmT3_T4_T5_T6_T7_T9_mT8_P12ihipStream_tbDpT10_ENKUlT_T0_E_clISt17integral_constantIbLb1EES17_IbLb0EEEEDaS13_S14_EUlS13_E_NS1_11comp_targetILNS1_3genE10ELNS1_11target_archE1200ELNS1_3gpuE4ELNS1_3repE0EEENS1_30default_config_static_selectorELNS0_4arch9wavefront6targetE0EEEvT1_.kd
    .uniform_work_group_size: 1
    .uses_dynamic_stack: false
    .vgpr_count:     0
    .vgpr_spill_count: 0
    .wavefront_size: 32
    .workgroup_processor_mode: 1
  - .args:
      - .offset:         0
        .size:           112
        .value_kind:     by_value
    .group_segment_fixed_size: 0
    .kernarg_segment_align: 8
    .kernarg_segment_size: 112
    .language:       OpenCL C
    .language_version:
      - 2
      - 0
    .max_flat_workgroup_size: 384
    .name:           _ZN7rocprim17ROCPRIM_400000_NS6detail17trampoline_kernelINS0_14default_configENS1_25partition_config_selectorILNS1_17partition_subalgoE6EdNS0_10empty_typeEbEEZZNS1_14partition_implILS5_6ELb0ES3_mN6thrust23THRUST_200600_302600_NS6detail15normal_iteratorINSA_10device_ptrIdEEEEPS6_SG_NS0_5tupleIJSF_S6_EEENSH_IJSG_SG_EEES6_PlJNSB_9not_fun_tI7is_trueIdEEEEEE10hipError_tPvRmT3_T4_T5_T6_T7_T9_mT8_P12ihipStream_tbDpT10_ENKUlT_T0_E_clISt17integral_constantIbLb1EES17_IbLb0EEEEDaS13_S14_EUlS13_E_NS1_11comp_targetILNS1_3genE9ELNS1_11target_archE1100ELNS1_3gpuE3ELNS1_3repE0EEENS1_30default_config_static_selectorELNS0_4arch9wavefront6targetE0EEEvT1_
    .private_segment_fixed_size: 0
    .sgpr_count:     0
    .sgpr_spill_count: 0
    .symbol:         _ZN7rocprim17ROCPRIM_400000_NS6detail17trampoline_kernelINS0_14default_configENS1_25partition_config_selectorILNS1_17partition_subalgoE6EdNS0_10empty_typeEbEEZZNS1_14partition_implILS5_6ELb0ES3_mN6thrust23THRUST_200600_302600_NS6detail15normal_iteratorINSA_10device_ptrIdEEEEPS6_SG_NS0_5tupleIJSF_S6_EEENSH_IJSG_SG_EEES6_PlJNSB_9not_fun_tI7is_trueIdEEEEEE10hipError_tPvRmT3_T4_T5_T6_T7_T9_mT8_P12ihipStream_tbDpT10_ENKUlT_T0_E_clISt17integral_constantIbLb1EES17_IbLb0EEEEDaS13_S14_EUlS13_E_NS1_11comp_targetILNS1_3genE9ELNS1_11target_archE1100ELNS1_3gpuE3ELNS1_3repE0EEENS1_30default_config_static_selectorELNS0_4arch9wavefront6targetE0EEEvT1_.kd
    .uniform_work_group_size: 1
    .uses_dynamic_stack: false
    .vgpr_count:     0
    .vgpr_spill_count: 0
    .wavefront_size: 32
    .workgroup_processor_mode: 1
  - .args:
      - .offset:         0
        .size:           112
        .value_kind:     by_value
    .group_segment_fixed_size: 0
    .kernarg_segment_align: 8
    .kernarg_segment_size: 112
    .language:       OpenCL C
    .language_version:
      - 2
      - 0
    .max_flat_workgroup_size: 512
    .name:           _ZN7rocprim17ROCPRIM_400000_NS6detail17trampoline_kernelINS0_14default_configENS1_25partition_config_selectorILNS1_17partition_subalgoE6EdNS0_10empty_typeEbEEZZNS1_14partition_implILS5_6ELb0ES3_mN6thrust23THRUST_200600_302600_NS6detail15normal_iteratorINSA_10device_ptrIdEEEEPS6_SG_NS0_5tupleIJSF_S6_EEENSH_IJSG_SG_EEES6_PlJNSB_9not_fun_tI7is_trueIdEEEEEE10hipError_tPvRmT3_T4_T5_T6_T7_T9_mT8_P12ihipStream_tbDpT10_ENKUlT_T0_E_clISt17integral_constantIbLb1EES17_IbLb0EEEEDaS13_S14_EUlS13_E_NS1_11comp_targetILNS1_3genE8ELNS1_11target_archE1030ELNS1_3gpuE2ELNS1_3repE0EEENS1_30default_config_static_selectorELNS0_4arch9wavefront6targetE0EEEvT1_
    .private_segment_fixed_size: 0
    .sgpr_count:     0
    .sgpr_spill_count: 0
    .symbol:         _ZN7rocprim17ROCPRIM_400000_NS6detail17trampoline_kernelINS0_14default_configENS1_25partition_config_selectorILNS1_17partition_subalgoE6EdNS0_10empty_typeEbEEZZNS1_14partition_implILS5_6ELb0ES3_mN6thrust23THRUST_200600_302600_NS6detail15normal_iteratorINSA_10device_ptrIdEEEEPS6_SG_NS0_5tupleIJSF_S6_EEENSH_IJSG_SG_EEES6_PlJNSB_9not_fun_tI7is_trueIdEEEEEE10hipError_tPvRmT3_T4_T5_T6_T7_T9_mT8_P12ihipStream_tbDpT10_ENKUlT_T0_E_clISt17integral_constantIbLb1EES17_IbLb0EEEEDaS13_S14_EUlS13_E_NS1_11comp_targetILNS1_3genE8ELNS1_11target_archE1030ELNS1_3gpuE2ELNS1_3repE0EEENS1_30default_config_static_selectorELNS0_4arch9wavefront6targetE0EEEvT1_.kd
    .uniform_work_group_size: 1
    .uses_dynamic_stack: false
    .vgpr_count:     0
    .vgpr_spill_count: 0
    .wavefront_size: 32
    .workgroup_processor_mode: 1
  - .args:
      - .offset:         0
        .size:           128
        .value_kind:     by_value
    .group_segment_fixed_size: 0
    .kernarg_segment_align: 8
    .kernarg_segment_size: 128
    .language:       OpenCL C
    .language_version:
      - 2
      - 0
    .max_flat_workgroup_size: 128
    .name:           _ZN7rocprim17ROCPRIM_400000_NS6detail17trampoline_kernelINS0_14default_configENS1_25partition_config_selectorILNS1_17partition_subalgoE6EdNS0_10empty_typeEbEEZZNS1_14partition_implILS5_6ELb0ES3_mN6thrust23THRUST_200600_302600_NS6detail15normal_iteratorINSA_10device_ptrIdEEEEPS6_SG_NS0_5tupleIJSF_S6_EEENSH_IJSG_SG_EEES6_PlJNSB_9not_fun_tI7is_trueIdEEEEEE10hipError_tPvRmT3_T4_T5_T6_T7_T9_mT8_P12ihipStream_tbDpT10_ENKUlT_T0_E_clISt17integral_constantIbLb0EES17_IbLb1EEEEDaS13_S14_EUlS13_E_NS1_11comp_targetILNS1_3genE0ELNS1_11target_archE4294967295ELNS1_3gpuE0ELNS1_3repE0EEENS1_30default_config_static_selectorELNS0_4arch9wavefront6targetE0EEEvT1_
    .private_segment_fixed_size: 0
    .sgpr_count:     0
    .sgpr_spill_count: 0
    .symbol:         _ZN7rocprim17ROCPRIM_400000_NS6detail17trampoline_kernelINS0_14default_configENS1_25partition_config_selectorILNS1_17partition_subalgoE6EdNS0_10empty_typeEbEEZZNS1_14partition_implILS5_6ELb0ES3_mN6thrust23THRUST_200600_302600_NS6detail15normal_iteratorINSA_10device_ptrIdEEEEPS6_SG_NS0_5tupleIJSF_S6_EEENSH_IJSG_SG_EEES6_PlJNSB_9not_fun_tI7is_trueIdEEEEEE10hipError_tPvRmT3_T4_T5_T6_T7_T9_mT8_P12ihipStream_tbDpT10_ENKUlT_T0_E_clISt17integral_constantIbLb0EES17_IbLb1EEEEDaS13_S14_EUlS13_E_NS1_11comp_targetILNS1_3genE0ELNS1_11target_archE4294967295ELNS1_3gpuE0ELNS1_3repE0EEENS1_30default_config_static_selectorELNS0_4arch9wavefront6targetE0EEEvT1_.kd
    .uniform_work_group_size: 1
    .uses_dynamic_stack: false
    .vgpr_count:     0
    .vgpr_spill_count: 0
    .wavefront_size: 32
    .workgroup_processor_mode: 1
  - .args:
      - .offset:         0
        .size:           128
        .value_kind:     by_value
    .group_segment_fixed_size: 0
    .kernarg_segment_align: 8
    .kernarg_segment_size: 128
    .language:       OpenCL C
    .language_version:
      - 2
      - 0
    .max_flat_workgroup_size: 512
    .name:           _ZN7rocprim17ROCPRIM_400000_NS6detail17trampoline_kernelINS0_14default_configENS1_25partition_config_selectorILNS1_17partition_subalgoE6EdNS0_10empty_typeEbEEZZNS1_14partition_implILS5_6ELb0ES3_mN6thrust23THRUST_200600_302600_NS6detail15normal_iteratorINSA_10device_ptrIdEEEEPS6_SG_NS0_5tupleIJSF_S6_EEENSH_IJSG_SG_EEES6_PlJNSB_9not_fun_tI7is_trueIdEEEEEE10hipError_tPvRmT3_T4_T5_T6_T7_T9_mT8_P12ihipStream_tbDpT10_ENKUlT_T0_E_clISt17integral_constantIbLb0EES17_IbLb1EEEEDaS13_S14_EUlS13_E_NS1_11comp_targetILNS1_3genE5ELNS1_11target_archE942ELNS1_3gpuE9ELNS1_3repE0EEENS1_30default_config_static_selectorELNS0_4arch9wavefront6targetE0EEEvT1_
    .private_segment_fixed_size: 0
    .sgpr_count:     0
    .sgpr_spill_count: 0
    .symbol:         _ZN7rocprim17ROCPRIM_400000_NS6detail17trampoline_kernelINS0_14default_configENS1_25partition_config_selectorILNS1_17partition_subalgoE6EdNS0_10empty_typeEbEEZZNS1_14partition_implILS5_6ELb0ES3_mN6thrust23THRUST_200600_302600_NS6detail15normal_iteratorINSA_10device_ptrIdEEEEPS6_SG_NS0_5tupleIJSF_S6_EEENSH_IJSG_SG_EEES6_PlJNSB_9not_fun_tI7is_trueIdEEEEEE10hipError_tPvRmT3_T4_T5_T6_T7_T9_mT8_P12ihipStream_tbDpT10_ENKUlT_T0_E_clISt17integral_constantIbLb0EES17_IbLb1EEEEDaS13_S14_EUlS13_E_NS1_11comp_targetILNS1_3genE5ELNS1_11target_archE942ELNS1_3gpuE9ELNS1_3repE0EEENS1_30default_config_static_selectorELNS0_4arch9wavefront6targetE0EEEvT1_.kd
    .uniform_work_group_size: 1
    .uses_dynamic_stack: false
    .vgpr_count:     0
    .vgpr_spill_count: 0
    .wavefront_size: 32
    .workgroup_processor_mode: 1
  - .args:
      - .offset:         0
        .size:           128
        .value_kind:     by_value
    .group_segment_fixed_size: 0
    .kernarg_segment_align: 8
    .kernarg_segment_size: 128
    .language:       OpenCL C
    .language_version:
      - 2
      - 0
    .max_flat_workgroup_size: 128
    .name:           _ZN7rocprim17ROCPRIM_400000_NS6detail17trampoline_kernelINS0_14default_configENS1_25partition_config_selectorILNS1_17partition_subalgoE6EdNS0_10empty_typeEbEEZZNS1_14partition_implILS5_6ELb0ES3_mN6thrust23THRUST_200600_302600_NS6detail15normal_iteratorINSA_10device_ptrIdEEEEPS6_SG_NS0_5tupleIJSF_S6_EEENSH_IJSG_SG_EEES6_PlJNSB_9not_fun_tI7is_trueIdEEEEEE10hipError_tPvRmT3_T4_T5_T6_T7_T9_mT8_P12ihipStream_tbDpT10_ENKUlT_T0_E_clISt17integral_constantIbLb0EES17_IbLb1EEEEDaS13_S14_EUlS13_E_NS1_11comp_targetILNS1_3genE4ELNS1_11target_archE910ELNS1_3gpuE8ELNS1_3repE0EEENS1_30default_config_static_selectorELNS0_4arch9wavefront6targetE0EEEvT1_
    .private_segment_fixed_size: 0
    .sgpr_count:     0
    .sgpr_spill_count: 0
    .symbol:         _ZN7rocprim17ROCPRIM_400000_NS6detail17trampoline_kernelINS0_14default_configENS1_25partition_config_selectorILNS1_17partition_subalgoE6EdNS0_10empty_typeEbEEZZNS1_14partition_implILS5_6ELb0ES3_mN6thrust23THRUST_200600_302600_NS6detail15normal_iteratorINSA_10device_ptrIdEEEEPS6_SG_NS0_5tupleIJSF_S6_EEENSH_IJSG_SG_EEES6_PlJNSB_9not_fun_tI7is_trueIdEEEEEE10hipError_tPvRmT3_T4_T5_T6_T7_T9_mT8_P12ihipStream_tbDpT10_ENKUlT_T0_E_clISt17integral_constantIbLb0EES17_IbLb1EEEEDaS13_S14_EUlS13_E_NS1_11comp_targetILNS1_3genE4ELNS1_11target_archE910ELNS1_3gpuE8ELNS1_3repE0EEENS1_30default_config_static_selectorELNS0_4arch9wavefront6targetE0EEEvT1_.kd
    .uniform_work_group_size: 1
    .uses_dynamic_stack: false
    .vgpr_count:     0
    .vgpr_spill_count: 0
    .wavefront_size: 32
    .workgroup_processor_mode: 1
  - .args:
      - .offset:         0
        .size:           128
        .value_kind:     by_value
    .group_segment_fixed_size: 0
    .kernarg_segment_align: 8
    .kernarg_segment_size: 128
    .language:       OpenCL C
    .language_version:
      - 2
      - 0
    .max_flat_workgroup_size: 128
    .name:           _ZN7rocprim17ROCPRIM_400000_NS6detail17trampoline_kernelINS0_14default_configENS1_25partition_config_selectorILNS1_17partition_subalgoE6EdNS0_10empty_typeEbEEZZNS1_14partition_implILS5_6ELb0ES3_mN6thrust23THRUST_200600_302600_NS6detail15normal_iteratorINSA_10device_ptrIdEEEEPS6_SG_NS0_5tupleIJSF_S6_EEENSH_IJSG_SG_EEES6_PlJNSB_9not_fun_tI7is_trueIdEEEEEE10hipError_tPvRmT3_T4_T5_T6_T7_T9_mT8_P12ihipStream_tbDpT10_ENKUlT_T0_E_clISt17integral_constantIbLb0EES17_IbLb1EEEEDaS13_S14_EUlS13_E_NS1_11comp_targetILNS1_3genE3ELNS1_11target_archE908ELNS1_3gpuE7ELNS1_3repE0EEENS1_30default_config_static_selectorELNS0_4arch9wavefront6targetE0EEEvT1_
    .private_segment_fixed_size: 0
    .sgpr_count:     0
    .sgpr_spill_count: 0
    .symbol:         _ZN7rocprim17ROCPRIM_400000_NS6detail17trampoline_kernelINS0_14default_configENS1_25partition_config_selectorILNS1_17partition_subalgoE6EdNS0_10empty_typeEbEEZZNS1_14partition_implILS5_6ELb0ES3_mN6thrust23THRUST_200600_302600_NS6detail15normal_iteratorINSA_10device_ptrIdEEEEPS6_SG_NS0_5tupleIJSF_S6_EEENSH_IJSG_SG_EEES6_PlJNSB_9not_fun_tI7is_trueIdEEEEEE10hipError_tPvRmT3_T4_T5_T6_T7_T9_mT8_P12ihipStream_tbDpT10_ENKUlT_T0_E_clISt17integral_constantIbLb0EES17_IbLb1EEEEDaS13_S14_EUlS13_E_NS1_11comp_targetILNS1_3genE3ELNS1_11target_archE908ELNS1_3gpuE7ELNS1_3repE0EEENS1_30default_config_static_selectorELNS0_4arch9wavefront6targetE0EEEvT1_.kd
    .uniform_work_group_size: 1
    .uses_dynamic_stack: false
    .vgpr_count:     0
    .vgpr_spill_count: 0
    .wavefront_size: 32
    .workgroup_processor_mode: 1
  - .args:
      - .offset:         0
        .size:           128
        .value_kind:     by_value
    .group_segment_fixed_size: 0
    .kernarg_segment_align: 8
    .kernarg_segment_size: 128
    .language:       OpenCL C
    .language_version:
      - 2
      - 0
    .max_flat_workgroup_size: 256
    .name:           _ZN7rocprim17ROCPRIM_400000_NS6detail17trampoline_kernelINS0_14default_configENS1_25partition_config_selectorILNS1_17partition_subalgoE6EdNS0_10empty_typeEbEEZZNS1_14partition_implILS5_6ELb0ES3_mN6thrust23THRUST_200600_302600_NS6detail15normal_iteratorINSA_10device_ptrIdEEEEPS6_SG_NS0_5tupleIJSF_S6_EEENSH_IJSG_SG_EEES6_PlJNSB_9not_fun_tI7is_trueIdEEEEEE10hipError_tPvRmT3_T4_T5_T6_T7_T9_mT8_P12ihipStream_tbDpT10_ENKUlT_T0_E_clISt17integral_constantIbLb0EES17_IbLb1EEEEDaS13_S14_EUlS13_E_NS1_11comp_targetILNS1_3genE2ELNS1_11target_archE906ELNS1_3gpuE6ELNS1_3repE0EEENS1_30default_config_static_selectorELNS0_4arch9wavefront6targetE0EEEvT1_
    .private_segment_fixed_size: 0
    .sgpr_count:     0
    .sgpr_spill_count: 0
    .symbol:         _ZN7rocprim17ROCPRIM_400000_NS6detail17trampoline_kernelINS0_14default_configENS1_25partition_config_selectorILNS1_17partition_subalgoE6EdNS0_10empty_typeEbEEZZNS1_14partition_implILS5_6ELb0ES3_mN6thrust23THRUST_200600_302600_NS6detail15normal_iteratorINSA_10device_ptrIdEEEEPS6_SG_NS0_5tupleIJSF_S6_EEENSH_IJSG_SG_EEES6_PlJNSB_9not_fun_tI7is_trueIdEEEEEE10hipError_tPvRmT3_T4_T5_T6_T7_T9_mT8_P12ihipStream_tbDpT10_ENKUlT_T0_E_clISt17integral_constantIbLb0EES17_IbLb1EEEEDaS13_S14_EUlS13_E_NS1_11comp_targetILNS1_3genE2ELNS1_11target_archE906ELNS1_3gpuE6ELNS1_3repE0EEENS1_30default_config_static_selectorELNS0_4arch9wavefront6targetE0EEEvT1_.kd
    .uniform_work_group_size: 1
    .uses_dynamic_stack: false
    .vgpr_count:     0
    .vgpr_spill_count: 0
    .wavefront_size: 32
    .workgroup_processor_mode: 1
  - .args:
      - .offset:         0
        .size:           128
        .value_kind:     by_value
    .group_segment_fixed_size: 8464
    .kernarg_segment_align: 8
    .kernarg_segment_size: 128
    .language:       OpenCL C
    .language_version:
      - 2
      - 0
    .max_flat_workgroup_size: 256
    .name:           _ZN7rocprim17ROCPRIM_400000_NS6detail17trampoline_kernelINS0_14default_configENS1_25partition_config_selectorILNS1_17partition_subalgoE6EdNS0_10empty_typeEbEEZZNS1_14partition_implILS5_6ELb0ES3_mN6thrust23THRUST_200600_302600_NS6detail15normal_iteratorINSA_10device_ptrIdEEEEPS6_SG_NS0_5tupleIJSF_S6_EEENSH_IJSG_SG_EEES6_PlJNSB_9not_fun_tI7is_trueIdEEEEEE10hipError_tPvRmT3_T4_T5_T6_T7_T9_mT8_P12ihipStream_tbDpT10_ENKUlT_T0_E_clISt17integral_constantIbLb0EES17_IbLb1EEEEDaS13_S14_EUlS13_E_NS1_11comp_targetILNS1_3genE10ELNS1_11target_archE1200ELNS1_3gpuE4ELNS1_3repE0EEENS1_30default_config_static_selectorELNS0_4arch9wavefront6targetE0EEEvT1_
    .private_segment_fixed_size: 0
    .sgpr_count:     24
    .sgpr_spill_count: 0
    .symbol:         _ZN7rocprim17ROCPRIM_400000_NS6detail17trampoline_kernelINS0_14default_configENS1_25partition_config_selectorILNS1_17partition_subalgoE6EdNS0_10empty_typeEbEEZZNS1_14partition_implILS5_6ELb0ES3_mN6thrust23THRUST_200600_302600_NS6detail15normal_iteratorINSA_10device_ptrIdEEEEPS6_SG_NS0_5tupleIJSF_S6_EEENSH_IJSG_SG_EEES6_PlJNSB_9not_fun_tI7is_trueIdEEEEEE10hipError_tPvRmT3_T4_T5_T6_T7_T9_mT8_P12ihipStream_tbDpT10_ENKUlT_T0_E_clISt17integral_constantIbLb0EES17_IbLb1EEEEDaS13_S14_EUlS13_E_NS1_11comp_targetILNS1_3genE10ELNS1_11target_archE1200ELNS1_3gpuE4ELNS1_3repE0EEENS1_30default_config_static_selectorELNS0_4arch9wavefront6targetE0EEEvT1_.kd
    .uniform_work_group_size: 1
    .uses_dynamic_stack: false
    .vgpr_count:     48
    .vgpr_spill_count: 0
    .wavefront_size: 32
    .workgroup_processor_mode: 1
  - .args:
      - .offset:         0
        .size:           128
        .value_kind:     by_value
    .group_segment_fixed_size: 0
    .kernarg_segment_align: 8
    .kernarg_segment_size: 128
    .language:       OpenCL C
    .language_version:
      - 2
      - 0
    .max_flat_workgroup_size: 384
    .name:           _ZN7rocprim17ROCPRIM_400000_NS6detail17trampoline_kernelINS0_14default_configENS1_25partition_config_selectorILNS1_17partition_subalgoE6EdNS0_10empty_typeEbEEZZNS1_14partition_implILS5_6ELb0ES3_mN6thrust23THRUST_200600_302600_NS6detail15normal_iteratorINSA_10device_ptrIdEEEEPS6_SG_NS0_5tupleIJSF_S6_EEENSH_IJSG_SG_EEES6_PlJNSB_9not_fun_tI7is_trueIdEEEEEE10hipError_tPvRmT3_T4_T5_T6_T7_T9_mT8_P12ihipStream_tbDpT10_ENKUlT_T0_E_clISt17integral_constantIbLb0EES17_IbLb1EEEEDaS13_S14_EUlS13_E_NS1_11comp_targetILNS1_3genE9ELNS1_11target_archE1100ELNS1_3gpuE3ELNS1_3repE0EEENS1_30default_config_static_selectorELNS0_4arch9wavefront6targetE0EEEvT1_
    .private_segment_fixed_size: 0
    .sgpr_count:     0
    .sgpr_spill_count: 0
    .symbol:         _ZN7rocprim17ROCPRIM_400000_NS6detail17trampoline_kernelINS0_14default_configENS1_25partition_config_selectorILNS1_17partition_subalgoE6EdNS0_10empty_typeEbEEZZNS1_14partition_implILS5_6ELb0ES3_mN6thrust23THRUST_200600_302600_NS6detail15normal_iteratorINSA_10device_ptrIdEEEEPS6_SG_NS0_5tupleIJSF_S6_EEENSH_IJSG_SG_EEES6_PlJNSB_9not_fun_tI7is_trueIdEEEEEE10hipError_tPvRmT3_T4_T5_T6_T7_T9_mT8_P12ihipStream_tbDpT10_ENKUlT_T0_E_clISt17integral_constantIbLb0EES17_IbLb1EEEEDaS13_S14_EUlS13_E_NS1_11comp_targetILNS1_3genE9ELNS1_11target_archE1100ELNS1_3gpuE3ELNS1_3repE0EEENS1_30default_config_static_selectorELNS0_4arch9wavefront6targetE0EEEvT1_.kd
    .uniform_work_group_size: 1
    .uses_dynamic_stack: false
    .vgpr_count:     0
    .vgpr_spill_count: 0
    .wavefront_size: 32
    .workgroup_processor_mode: 1
  - .args:
      - .offset:         0
        .size:           128
        .value_kind:     by_value
    .group_segment_fixed_size: 0
    .kernarg_segment_align: 8
    .kernarg_segment_size: 128
    .language:       OpenCL C
    .language_version:
      - 2
      - 0
    .max_flat_workgroup_size: 512
    .name:           _ZN7rocprim17ROCPRIM_400000_NS6detail17trampoline_kernelINS0_14default_configENS1_25partition_config_selectorILNS1_17partition_subalgoE6EdNS0_10empty_typeEbEEZZNS1_14partition_implILS5_6ELb0ES3_mN6thrust23THRUST_200600_302600_NS6detail15normal_iteratorINSA_10device_ptrIdEEEEPS6_SG_NS0_5tupleIJSF_S6_EEENSH_IJSG_SG_EEES6_PlJNSB_9not_fun_tI7is_trueIdEEEEEE10hipError_tPvRmT3_T4_T5_T6_T7_T9_mT8_P12ihipStream_tbDpT10_ENKUlT_T0_E_clISt17integral_constantIbLb0EES17_IbLb1EEEEDaS13_S14_EUlS13_E_NS1_11comp_targetILNS1_3genE8ELNS1_11target_archE1030ELNS1_3gpuE2ELNS1_3repE0EEENS1_30default_config_static_selectorELNS0_4arch9wavefront6targetE0EEEvT1_
    .private_segment_fixed_size: 0
    .sgpr_count:     0
    .sgpr_spill_count: 0
    .symbol:         _ZN7rocprim17ROCPRIM_400000_NS6detail17trampoline_kernelINS0_14default_configENS1_25partition_config_selectorILNS1_17partition_subalgoE6EdNS0_10empty_typeEbEEZZNS1_14partition_implILS5_6ELb0ES3_mN6thrust23THRUST_200600_302600_NS6detail15normal_iteratorINSA_10device_ptrIdEEEEPS6_SG_NS0_5tupleIJSF_S6_EEENSH_IJSG_SG_EEES6_PlJNSB_9not_fun_tI7is_trueIdEEEEEE10hipError_tPvRmT3_T4_T5_T6_T7_T9_mT8_P12ihipStream_tbDpT10_ENKUlT_T0_E_clISt17integral_constantIbLb0EES17_IbLb1EEEEDaS13_S14_EUlS13_E_NS1_11comp_targetILNS1_3genE8ELNS1_11target_archE1030ELNS1_3gpuE2ELNS1_3repE0EEENS1_30default_config_static_selectorELNS0_4arch9wavefront6targetE0EEEvT1_.kd
    .uniform_work_group_size: 1
    .uses_dynamic_stack: false
    .vgpr_count:     0
    .vgpr_spill_count: 0
    .wavefront_size: 32
    .workgroup_processor_mode: 1
  - .args:
      - .offset:         0
        .size:           112
        .value_kind:     by_value
    .group_segment_fixed_size: 0
    .kernarg_segment_align: 8
    .kernarg_segment_size: 112
    .language:       OpenCL C
    .language_version:
      - 2
      - 0
    .max_flat_workgroup_size: 256
    .name:           _ZN7rocprim17ROCPRIM_400000_NS6detail17trampoline_kernelINS0_14default_configENS1_25partition_config_selectorILNS1_17partition_subalgoE6EfNS0_10empty_typeEbEEZZNS1_14partition_implILS5_6ELb0ES3_mN6thrust23THRUST_200600_302600_NS6detail15normal_iteratorINSA_10device_ptrIfEEEEPS6_SG_NS0_5tupleIJSF_S6_EEENSH_IJSG_SG_EEES6_PlJNSB_9not_fun_tI7is_trueIfEEEEEE10hipError_tPvRmT3_T4_T5_T6_T7_T9_mT8_P12ihipStream_tbDpT10_ENKUlT_T0_E_clISt17integral_constantIbLb0EES18_EEDaS13_S14_EUlS13_E_NS1_11comp_targetILNS1_3genE0ELNS1_11target_archE4294967295ELNS1_3gpuE0ELNS1_3repE0EEENS1_30default_config_static_selectorELNS0_4arch9wavefront6targetE0EEEvT1_
    .private_segment_fixed_size: 0
    .sgpr_count:     0
    .sgpr_spill_count: 0
    .symbol:         _ZN7rocprim17ROCPRIM_400000_NS6detail17trampoline_kernelINS0_14default_configENS1_25partition_config_selectorILNS1_17partition_subalgoE6EfNS0_10empty_typeEbEEZZNS1_14partition_implILS5_6ELb0ES3_mN6thrust23THRUST_200600_302600_NS6detail15normal_iteratorINSA_10device_ptrIfEEEEPS6_SG_NS0_5tupleIJSF_S6_EEENSH_IJSG_SG_EEES6_PlJNSB_9not_fun_tI7is_trueIfEEEEEE10hipError_tPvRmT3_T4_T5_T6_T7_T9_mT8_P12ihipStream_tbDpT10_ENKUlT_T0_E_clISt17integral_constantIbLb0EES18_EEDaS13_S14_EUlS13_E_NS1_11comp_targetILNS1_3genE0ELNS1_11target_archE4294967295ELNS1_3gpuE0ELNS1_3repE0EEENS1_30default_config_static_selectorELNS0_4arch9wavefront6targetE0EEEvT1_.kd
    .uniform_work_group_size: 1
    .uses_dynamic_stack: false
    .vgpr_count:     0
    .vgpr_spill_count: 0
    .wavefront_size: 32
    .workgroup_processor_mode: 1
  - .args:
      - .offset:         0
        .size:           112
        .value_kind:     by_value
    .group_segment_fixed_size: 0
    .kernarg_segment_align: 8
    .kernarg_segment_size: 112
    .language:       OpenCL C
    .language_version:
      - 2
      - 0
    .max_flat_workgroup_size: 512
    .name:           _ZN7rocprim17ROCPRIM_400000_NS6detail17trampoline_kernelINS0_14default_configENS1_25partition_config_selectorILNS1_17partition_subalgoE6EfNS0_10empty_typeEbEEZZNS1_14partition_implILS5_6ELb0ES3_mN6thrust23THRUST_200600_302600_NS6detail15normal_iteratorINSA_10device_ptrIfEEEEPS6_SG_NS0_5tupleIJSF_S6_EEENSH_IJSG_SG_EEES6_PlJNSB_9not_fun_tI7is_trueIfEEEEEE10hipError_tPvRmT3_T4_T5_T6_T7_T9_mT8_P12ihipStream_tbDpT10_ENKUlT_T0_E_clISt17integral_constantIbLb0EES18_EEDaS13_S14_EUlS13_E_NS1_11comp_targetILNS1_3genE5ELNS1_11target_archE942ELNS1_3gpuE9ELNS1_3repE0EEENS1_30default_config_static_selectorELNS0_4arch9wavefront6targetE0EEEvT1_
    .private_segment_fixed_size: 0
    .sgpr_count:     0
    .sgpr_spill_count: 0
    .symbol:         _ZN7rocprim17ROCPRIM_400000_NS6detail17trampoline_kernelINS0_14default_configENS1_25partition_config_selectorILNS1_17partition_subalgoE6EfNS0_10empty_typeEbEEZZNS1_14partition_implILS5_6ELb0ES3_mN6thrust23THRUST_200600_302600_NS6detail15normal_iteratorINSA_10device_ptrIfEEEEPS6_SG_NS0_5tupleIJSF_S6_EEENSH_IJSG_SG_EEES6_PlJNSB_9not_fun_tI7is_trueIfEEEEEE10hipError_tPvRmT3_T4_T5_T6_T7_T9_mT8_P12ihipStream_tbDpT10_ENKUlT_T0_E_clISt17integral_constantIbLb0EES18_EEDaS13_S14_EUlS13_E_NS1_11comp_targetILNS1_3genE5ELNS1_11target_archE942ELNS1_3gpuE9ELNS1_3repE0EEENS1_30default_config_static_selectorELNS0_4arch9wavefront6targetE0EEEvT1_.kd
    .uniform_work_group_size: 1
    .uses_dynamic_stack: false
    .vgpr_count:     0
    .vgpr_spill_count: 0
    .wavefront_size: 32
    .workgroup_processor_mode: 1
  - .args:
      - .offset:         0
        .size:           112
        .value_kind:     by_value
    .group_segment_fixed_size: 0
    .kernarg_segment_align: 8
    .kernarg_segment_size: 112
    .language:       OpenCL C
    .language_version:
      - 2
      - 0
    .max_flat_workgroup_size: 512
    .name:           _ZN7rocprim17ROCPRIM_400000_NS6detail17trampoline_kernelINS0_14default_configENS1_25partition_config_selectorILNS1_17partition_subalgoE6EfNS0_10empty_typeEbEEZZNS1_14partition_implILS5_6ELb0ES3_mN6thrust23THRUST_200600_302600_NS6detail15normal_iteratorINSA_10device_ptrIfEEEEPS6_SG_NS0_5tupleIJSF_S6_EEENSH_IJSG_SG_EEES6_PlJNSB_9not_fun_tI7is_trueIfEEEEEE10hipError_tPvRmT3_T4_T5_T6_T7_T9_mT8_P12ihipStream_tbDpT10_ENKUlT_T0_E_clISt17integral_constantIbLb0EES18_EEDaS13_S14_EUlS13_E_NS1_11comp_targetILNS1_3genE4ELNS1_11target_archE910ELNS1_3gpuE8ELNS1_3repE0EEENS1_30default_config_static_selectorELNS0_4arch9wavefront6targetE0EEEvT1_
    .private_segment_fixed_size: 0
    .sgpr_count:     0
    .sgpr_spill_count: 0
    .symbol:         _ZN7rocprim17ROCPRIM_400000_NS6detail17trampoline_kernelINS0_14default_configENS1_25partition_config_selectorILNS1_17partition_subalgoE6EfNS0_10empty_typeEbEEZZNS1_14partition_implILS5_6ELb0ES3_mN6thrust23THRUST_200600_302600_NS6detail15normal_iteratorINSA_10device_ptrIfEEEEPS6_SG_NS0_5tupleIJSF_S6_EEENSH_IJSG_SG_EEES6_PlJNSB_9not_fun_tI7is_trueIfEEEEEE10hipError_tPvRmT3_T4_T5_T6_T7_T9_mT8_P12ihipStream_tbDpT10_ENKUlT_T0_E_clISt17integral_constantIbLb0EES18_EEDaS13_S14_EUlS13_E_NS1_11comp_targetILNS1_3genE4ELNS1_11target_archE910ELNS1_3gpuE8ELNS1_3repE0EEENS1_30default_config_static_selectorELNS0_4arch9wavefront6targetE0EEEvT1_.kd
    .uniform_work_group_size: 1
    .uses_dynamic_stack: false
    .vgpr_count:     0
    .vgpr_spill_count: 0
    .wavefront_size: 32
    .workgroup_processor_mode: 1
  - .args:
      - .offset:         0
        .size:           112
        .value_kind:     by_value
    .group_segment_fixed_size: 0
    .kernarg_segment_align: 8
    .kernarg_segment_size: 112
    .language:       OpenCL C
    .language_version:
      - 2
      - 0
    .max_flat_workgroup_size: 256
    .name:           _ZN7rocprim17ROCPRIM_400000_NS6detail17trampoline_kernelINS0_14default_configENS1_25partition_config_selectorILNS1_17partition_subalgoE6EfNS0_10empty_typeEbEEZZNS1_14partition_implILS5_6ELb0ES3_mN6thrust23THRUST_200600_302600_NS6detail15normal_iteratorINSA_10device_ptrIfEEEEPS6_SG_NS0_5tupleIJSF_S6_EEENSH_IJSG_SG_EEES6_PlJNSB_9not_fun_tI7is_trueIfEEEEEE10hipError_tPvRmT3_T4_T5_T6_T7_T9_mT8_P12ihipStream_tbDpT10_ENKUlT_T0_E_clISt17integral_constantIbLb0EES18_EEDaS13_S14_EUlS13_E_NS1_11comp_targetILNS1_3genE3ELNS1_11target_archE908ELNS1_3gpuE7ELNS1_3repE0EEENS1_30default_config_static_selectorELNS0_4arch9wavefront6targetE0EEEvT1_
    .private_segment_fixed_size: 0
    .sgpr_count:     0
    .sgpr_spill_count: 0
    .symbol:         _ZN7rocprim17ROCPRIM_400000_NS6detail17trampoline_kernelINS0_14default_configENS1_25partition_config_selectorILNS1_17partition_subalgoE6EfNS0_10empty_typeEbEEZZNS1_14partition_implILS5_6ELb0ES3_mN6thrust23THRUST_200600_302600_NS6detail15normal_iteratorINSA_10device_ptrIfEEEEPS6_SG_NS0_5tupleIJSF_S6_EEENSH_IJSG_SG_EEES6_PlJNSB_9not_fun_tI7is_trueIfEEEEEE10hipError_tPvRmT3_T4_T5_T6_T7_T9_mT8_P12ihipStream_tbDpT10_ENKUlT_T0_E_clISt17integral_constantIbLb0EES18_EEDaS13_S14_EUlS13_E_NS1_11comp_targetILNS1_3genE3ELNS1_11target_archE908ELNS1_3gpuE7ELNS1_3repE0EEENS1_30default_config_static_selectorELNS0_4arch9wavefront6targetE0EEEvT1_.kd
    .uniform_work_group_size: 1
    .uses_dynamic_stack: false
    .vgpr_count:     0
    .vgpr_spill_count: 0
    .wavefront_size: 32
    .workgroup_processor_mode: 1
  - .args:
      - .offset:         0
        .size:           112
        .value_kind:     by_value
    .group_segment_fixed_size: 0
    .kernarg_segment_align: 8
    .kernarg_segment_size: 112
    .language:       OpenCL C
    .language_version:
      - 2
      - 0
    .max_flat_workgroup_size: 256
    .name:           _ZN7rocprim17ROCPRIM_400000_NS6detail17trampoline_kernelINS0_14default_configENS1_25partition_config_selectorILNS1_17partition_subalgoE6EfNS0_10empty_typeEbEEZZNS1_14partition_implILS5_6ELb0ES3_mN6thrust23THRUST_200600_302600_NS6detail15normal_iteratorINSA_10device_ptrIfEEEEPS6_SG_NS0_5tupleIJSF_S6_EEENSH_IJSG_SG_EEES6_PlJNSB_9not_fun_tI7is_trueIfEEEEEE10hipError_tPvRmT3_T4_T5_T6_T7_T9_mT8_P12ihipStream_tbDpT10_ENKUlT_T0_E_clISt17integral_constantIbLb0EES18_EEDaS13_S14_EUlS13_E_NS1_11comp_targetILNS1_3genE2ELNS1_11target_archE906ELNS1_3gpuE6ELNS1_3repE0EEENS1_30default_config_static_selectorELNS0_4arch9wavefront6targetE0EEEvT1_
    .private_segment_fixed_size: 0
    .sgpr_count:     0
    .sgpr_spill_count: 0
    .symbol:         _ZN7rocprim17ROCPRIM_400000_NS6detail17trampoline_kernelINS0_14default_configENS1_25partition_config_selectorILNS1_17partition_subalgoE6EfNS0_10empty_typeEbEEZZNS1_14partition_implILS5_6ELb0ES3_mN6thrust23THRUST_200600_302600_NS6detail15normal_iteratorINSA_10device_ptrIfEEEEPS6_SG_NS0_5tupleIJSF_S6_EEENSH_IJSG_SG_EEES6_PlJNSB_9not_fun_tI7is_trueIfEEEEEE10hipError_tPvRmT3_T4_T5_T6_T7_T9_mT8_P12ihipStream_tbDpT10_ENKUlT_T0_E_clISt17integral_constantIbLb0EES18_EEDaS13_S14_EUlS13_E_NS1_11comp_targetILNS1_3genE2ELNS1_11target_archE906ELNS1_3gpuE6ELNS1_3repE0EEENS1_30default_config_static_selectorELNS0_4arch9wavefront6targetE0EEEvT1_.kd
    .uniform_work_group_size: 1
    .uses_dynamic_stack: false
    .vgpr_count:     0
    .vgpr_spill_count: 0
    .wavefront_size: 32
    .workgroup_processor_mode: 1
  - .args:
      - .offset:         0
        .size:           112
        .value_kind:     by_value
    .group_segment_fixed_size: 10768
    .kernarg_segment_align: 8
    .kernarg_segment_size: 112
    .language:       OpenCL C
    .language_version:
      - 2
      - 0
    .max_flat_workgroup_size: 384
    .name:           _ZN7rocprim17ROCPRIM_400000_NS6detail17trampoline_kernelINS0_14default_configENS1_25partition_config_selectorILNS1_17partition_subalgoE6EfNS0_10empty_typeEbEEZZNS1_14partition_implILS5_6ELb0ES3_mN6thrust23THRUST_200600_302600_NS6detail15normal_iteratorINSA_10device_ptrIfEEEEPS6_SG_NS0_5tupleIJSF_S6_EEENSH_IJSG_SG_EEES6_PlJNSB_9not_fun_tI7is_trueIfEEEEEE10hipError_tPvRmT3_T4_T5_T6_T7_T9_mT8_P12ihipStream_tbDpT10_ENKUlT_T0_E_clISt17integral_constantIbLb0EES18_EEDaS13_S14_EUlS13_E_NS1_11comp_targetILNS1_3genE10ELNS1_11target_archE1200ELNS1_3gpuE4ELNS1_3repE0EEENS1_30default_config_static_selectorELNS0_4arch9wavefront6targetE0EEEvT1_
    .private_segment_fixed_size: 0
    .sgpr_count:     21
    .sgpr_spill_count: 0
    .symbol:         _ZN7rocprim17ROCPRIM_400000_NS6detail17trampoline_kernelINS0_14default_configENS1_25partition_config_selectorILNS1_17partition_subalgoE6EfNS0_10empty_typeEbEEZZNS1_14partition_implILS5_6ELb0ES3_mN6thrust23THRUST_200600_302600_NS6detail15normal_iteratorINSA_10device_ptrIfEEEEPS6_SG_NS0_5tupleIJSF_S6_EEENSH_IJSG_SG_EEES6_PlJNSB_9not_fun_tI7is_trueIfEEEEEE10hipError_tPvRmT3_T4_T5_T6_T7_T9_mT8_P12ihipStream_tbDpT10_ENKUlT_T0_E_clISt17integral_constantIbLb0EES18_EEDaS13_S14_EUlS13_E_NS1_11comp_targetILNS1_3genE10ELNS1_11target_archE1200ELNS1_3gpuE4ELNS1_3repE0EEENS1_30default_config_static_selectorELNS0_4arch9wavefront6targetE0EEEvT1_.kd
    .uniform_work_group_size: 1
    .uses_dynamic_stack: false
    .vgpr_count:     49
    .vgpr_spill_count: 0
    .wavefront_size: 32
    .workgroup_processor_mode: 1
  - .args:
      - .offset:         0
        .size:           112
        .value_kind:     by_value
    .group_segment_fixed_size: 0
    .kernarg_segment_align: 8
    .kernarg_segment_size: 112
    .language:       OpenCL C
    .language_version:
      - 2
      - 0
    .max_flat_workgroup_size: 128
    .name:           _ZN7rocprim17ROCPRIM_400000_NS6detail17trampoline_kernelINS0_14default_configENS1_25partition_config_selectorILNS1_17partition_subalgoE6EfNS0_10empty_typeEbEEZZNS1_14partition_implILS5_6ELb0ES3_mN6thrust23THRUST_200600_302600_NS6detail15normal_iteratorINSA_10device_ptrIfEEEEPS6_SG_NS0_5tupleIJSF_S6_EEENSH_IJSG_SG_EEES6_PlJNSB_9not_fun_tI7is_trueIfEEEEEE10hipError_tPvRmT3_T4_T5_T6_T7_T9_mT8_P12ihipStream_tbDpT10_ENKUlT_T0_E_clISt17integral_constantIbLb0EES18_EEDaS13_S14_EUlS13_E_NS1_11comp_targetILNS1_3genE9ELNS1_11target_archE1100ELNS1_3gpuE3ELNS1_3repE0EEENS1_30default_config_static_selectorELNS0_4arch9wavefront6targetE0EEEvT1_
    .private_segment_fixed_size: 0
    .sgpr_count:     0
    .sgpr_spill_count: 0
    .symbol:         _ZN7rocprim17ROCPRIM_400000_NS6detail17trampoline_kernelINS0_14default_configENS1_25partition_config_selectorILNS1_17partition_subalgoE6EfNS0_10empty_typeEbEEZZNS1_14partition_implILS5_6ELb0ES3_mN6thrust23THRUST_200600_302600_NS6detail15normal_iteratorINSA_10device_ptrIfEEEEPS6_SG_NS0_5tupleIJSF_S6_EEENSH_IJSG_SG_EEES6_PlJNSB_9not_fun_tI7is_trueIfEEEEEE10hipError_tPvRmT3_T4_T5_T6_T7_T9_mT8_P12ihipStream_tbDpT10_ENKUlT_T0_E_clISt17integral_constantIbLb0EES18_EEDaS13_S14_EUlS13_E_NS1_11comp_targetILNS1_3genE9ELNS1_11target_archE1100ELNS1_3gpuE3ELNS1_3repE0EEENS1_30default_config_static_selectorELNS0_4arch9wavefront6targetE0EEEvT1_.kd
    .uniform_work_group_size: 1
    .uses_dynamic_stack: false
    .vgpr_count:     0
    .vgpr_spill_count: 0
    .wavefront_size: 32
    .workgroup_processor_mode: 1
  - .args:
      - .offset:         0
        .size:           112
        .value_kind:     by_value
    .group_segment_fixed_size: 0
    .kernarg_segment_align: 8
    .kernarg_segment_size: 112
    .language:       OpenCL C
    .language_version:
      - 2
      - 0
    .max_flat_workgroup_size: 512
    .name:           _ZN7rocprim17ROCPRIM_400000_NS6detail17trampoline_kernelINS0_14default_configENS1_25partition_config_selectorILNS1_17partition_subalgoE6EfNS0_10empty_typeEbEEZZNS1_14partition_implILS5_6ELb0ES3_mN6thrust23THRUST_200600_302600_NS6detail15normal_iteratorINSA_10device_ptrIfEEEEPS6_SG_NS0_5tupleIJSF_S6_EEENSH_IJSG_SG_EEES6_PlJNSB_9not_fun_tI7is_trueIfEEEEEE10hipError_tPvRmT3_T4_T5_T6_T7_T9_mT8_P12ihipStream_tbDpT10_ENKUlT_T0_E_clISt17integral_constantIbLb0EES18_EEDaS13_S14_EUlS13_E_NS1_11comp_targetILNS1_3genE8ELNS1_11target_archE1030ELNS1_3gpuE2ELNS1_3repE0EEENS1_30default_config_static_selectorELNS0_4arch9wavefront6targetE0EEEvT1_
    .private_segment_fixed_size: 0
    .sgpr_count:     0
    .sgpr_spill_count: 0
    .symbol:         _ZN7rocprim17ROCPRIM_400000_NS6detail17trampoline_kernelINS0_14default_configENS1_25partition_config_selectorILNS1_17partition_subalgoE6EfNS0_10empty_typeEbEEZZNS1_14partition_implILS5_6ELb0ES3_mN6thrust23THRUST_200600_302600_NS6detail15normal_iteratorINSA_10device_ptrIfEEEEPS6_SG_NS0_5tupleIJSF_S6_EEENSH_IJSG_SG_EEES6_PlJNSB_9not_fun_tI7is_trueIfEEEEEE10hipError_tPvRmT3_T4_T5_T6_T7_T9_mT8_P12ihipStream_tbDpT10_ENKUlT_T0_E_clISt17integral_constantIbLb0EES18_EEDaS13_S14_EUlS13_E_NS1_11comp_targetILNS1_3genE8ELNS1_11target_archE1030ELNS1_3gpuE2ELNS1_3repE0EEENS1_30default_config_static_selectorELNS0_4arch9wavefront6targetE0EEEvT1_.kd
    .uniform_work_group_size: 1
    .uses_dynamic_stack: false
    .vgpr_count:     0
    .vgpr_spill_count: 0
    .wavefront_size: 32
    .workgroup_processor_mode: 1
  - .args:
      - .offset:         0
        .size:           128
        .value_kind:     by_value
    .group_segment_fixed_size: 0
    .kernarg_segment_align: 8
    .kernarg_segment_size: 128
    .language:       OpenCL C
    .language_version:
      - 2
      - 0
    .max_flat_workgroup_size: 256
    .name:           _ZN7rocprim17ROCPRIM_400000_NS6detail17trampoline_kernelINS0_14default_configENS1_25partition_config_selectorILNS1_17partition_subalgoE6EfNS0_10empty_typeEbEEZZNS1_14partition_implILS5_6ELb0ES3_mN6thrust23THRUST_200600_302600_NS6detail15normal_iteratorINSA_10device_ptrIfEEEEPS6_SG_NS0_5tupleIJSF_S6_EEENSH_IJSG_SG_EEES6_PlJNSB_9not_fun_tI7is_trueIfEEEEEE10hipError_tPvRmT3_T4_T5_T6_T7_T9_mT8_P12ihipStream_tbDpT10_ENKUlT_T0_E_clISt17integral_constantIbLb1EES18_EEDaS13_S14_EUlS13_E_NS1_11comp_targetILNS1_3genE0ELNS1_11target_archE4294967295ELNS1_3gpuE0ELNS1_3repE0EEENS1_30default_config_static_selectorELNS0_4arch9wavefront6targetE0EEEvT1_
    .private_segment_fixed_size: 0
    .sgpr_count:     0
    .sgpr_spill_count: 0
    .symbol:         _ZN7rocprim17ROCPRIM_400000_NS6detail17trampoline_kernelINS0_14default_configENS1_25partition_config_selectorILNS1_17partition_subalgoE6EfNS0_10empty_typeEbEEZZNS1_14partition_implILS5_6ELb0ES3_mN6thrust23THRUST_200600_302600_NS6detail15normal_iteratorINSA_10device_ptrIfEEEEPS6_SG_NS0_5tupleIJSF_S6_EEENSH_IJSG_SG_EEES6_PlJNSB_9not_fun_tI7is_trueIfEEEEEE10hipError_tPvRmT3_T4_T5_T6_T7_T9_mT8_P12ihipStream_tbDpT10_ENKUlT_T0_E_clISt17integral_constantIbLb1EES18_EEDaS13_S14_EUlS13_E_NS1_11comp_targetILNS1_3genE0ELNS1_11target_archE4294967295ELNS1_3gpuE0ELNS1_3repE0EEENS1_30default_config_static_selectorELNS0_4arch9wavefront6targetE0EEEvT1_.kd
    .uniform_work_group_size: 1
    .uses_dynamic_stack: false
    .vgpr_count:     0
    .vgpr_spill_count: 0
    .wavefront_size: 32
    .workgroup_processor_mode: 1
  - .args:
      - .offset:         0
        .size:           128
        .value_kind:     by_value
    .group_segment_fixed_size: 0
    .kernarg_segment_align: 8
    .kernarg_segment_size: 128
    .language:       OpenCL C
    .language_version:
      - 2
      - 0
    .max_flat_workgroup_size: 512
    .name:           _ZN7rocprim17ROCPRIM_400000_NS6detail17trampoline_kernelINS0_14default_configENS1_25partition_config_selectorILNS1_17partition_subalgoE6EfNS0_10empty_typeEbEEZZNS1_14partition_implILS5_6ELb0ES3_mN6thrust23THRUST_200600_302600_NS6detail15normal_iteratorINSA_10device_ptrIfEEEEPS6_SG_NS0_5tupleIJSF_S6_EEENSH_IJSG_SG_EEES6_PlJNSB_9not_fun_tI7is_trueIfEEEEEE10hipError_tPvRmT3_T4_T5_T6_T7_T9_mT8_P12ihipStream_tbDpT10_ENKUlT_T0_E_clISt17integral_constantIbLb1EES18_EEDaS13_S14_EUlS13_E_NS1_11comp_targetILNS1_3genE5ELNS1_11target_archE942ELNS1_3gpuE9ELNS1_3repE0EEENS1_30default_config_static_selectorELNS0_4arch9wavefront6targetE0EEEvT1_
    .private_segment_fixed_size: 0
    .sgpr_count:     0
    .sgpr_spill_count: 0
    .symbol:         _ZN7rocprim17ROCPRIM_400000_NS6detail17trampoline_kernelINS0_14default_configENS1_25partition_config_selectorILNS1_17partition_subalgoE6EfNS0_10empty_typeEbEEZZNS1_14partition_implILS5_6ELb0ES3_mN6thrust23THRUST_200600_302600_NS6detail15normal_iteratorINSA_10device_ptrIfEEEEPS6_SG_NS0_5tupleIJSF_S6_EEENSH_IJSG_SG_EEES6_PlJNSB_9not_fun_tI7is_trueIfEEEEEE10hipError_tPvRmT3_T4_T5_T6_T7_T9_mT8_P12ihipStream_tbDpT10_ENKUlT_T0_E_clISt17integral_constantIbLb1EES18_EEDaS13_S14_EUlS13_E_NS1_11comp_targetILNS1_3genE5ELNS1_11target_archE942ELNS1_3gpuE9ELNS1_3repE0EEENS1_30default_config_static_selectorELNS0_4arch9wavefront6targetE0EEEvT1_.kd
    .uniform_work_group_size: 1
    .uses_dynamic_stack: false
    .vgpr_count:     0
    .vgpr_spill_count: 0
    .wavefront_size: 32
    .workgroup_processor_mode: 1
  - .args:
      - .offset:         0
        .size:           128
        .value_kind:     by_value
    .group_segment_fixed_size: 0
    .kernarg_segment_align: 8
    .kernarg_segment_size: 128
    .language:       OpenCL C
    .language_version:
      - 2
      - 0
    .max_flat_workgroup_size: 512
    .name:           _ZN7rocprim17ROCPRIM_400000_NS6detail17trampoline_kernelINS0_14default_configENS1_25partition_config_selectorILNS1_17partition_subalgoE6EfNS0_10empty_typeEbEEZZNS1_14partition_implILS5_6ELb0ES3_mN6thrust23THRUST_200600_302600_NS6detail15normal_iteratorINSA_10device_ptrIfEEEEPS6_SG_NS0_5tupleIJSF_S6_EEENSH_IJSG_SG_EEES6_PlJNSB_9not_fun_tI7is_trueIfEEEEEE10hipError_tPvRmT3_T4_T5_T6_T7_T9_mT8_P12ihipStream_tbDpT10_ENKUlT_T0_E_clISt17integral_constantIbLb1EES18_EEDaS13_S14_EUlS13_E_NS1_11comp_targetILNS1_3genE4ELNS1_11target_archE910ELNS1_3gpuE8ELNS1_3repE0EEENS1_30default_config_static_selectorELNS0_4arch9wavefront6targetE0EEEvT1_
    .private_segment_fixed_size: 0
    .sgpr_count:     0
    .sgpr_spill_count: 0
    .symbol:         _ZN7rocprim17ROCPRIM_400000_NS6detail17trampoline_kernelINS0_14default_configENS1_25partition_config_selectorILNS1_17partition_subalgoE6EfNS0_10empty_typeEbEEZZNS1_14partition_implILS5_6ELb0ES3_mN6thrust23THRUST_200600_302600_NS6detail15normal_iteratorINSA_10device_ptrIfEEEEPS6_SG_NS0_5tupleIJSF_S6_EEENSH_IJSG_SG_EEES6_PlJNSB_9not_fun_tI7is_trueIfEEEEEE10hipError_tPvRmT3_T4_T5_T6_T7_T9_mT8_P12ihipStream_tbDpT10_ENKUlT_T0_E_clISt17integral_constantIbLb1EES18_EEDaS13_S14_EUlS13_E_NS1_11comp_targetILNS1_3genE4ELNS1_11target_archE910ELNS1_3gpuE8ELNS1_3repE0EEENS1_30default_config_static_selectorELNS0_4arch9wavefront6targetE0EEEvT1_.kd
    .uniform_work_group_size: 1
    .uses_dynamic_stack: false
    .vgpr_count:     0
    .vgpr_spill_count: 0
    .wavefront_size: 32
    .workgroup_processor_mode: 1
  - .args:
      - .offset:         0
        .size:           128
        .value_kind:     by_value
    .group_segment_fixed_size: 0
    .kernarg_segment_align: 8
    .kernarg_segment_size: 128
    .language:       OpenCL C
    .language_version:
      - 2
      - 0
    .max_flat_workgroup_size: 256
    .name:           _ZN7rocprim17ROCPRIM_400000_NS6detail17trampoline_kernelINS0_14default_configENS1_25partition_config_selectorILNS1_17partition_subalgoE6EfNS0_10empty_typeEbEEZZNS1_14partition_implILS5_6ELb0ES3_mN6thrust23THRUST_200600_302600_NS6detail15normal_iteratorINSA_10device_ptrIfEEEEPS6_SG_NS0_5tupleIJSF_S6_EEENSH_IJSG_SG_EEES6_PlJNSB_9not_fun_tI7is_trueIfEEEEEE10hipError_tPvRmT3_T4_T5_T6_T7_T9_mT8_P12ihipStream_tbDpT10_ENKUlT_T0_E_clISt17integral_constantIbLb1EES18_EEDaS13_S14_EUlS13_E_NS1_11comp_targetILNS1_3genE3ELNS1_11target_archE908ELNS1_3gpuE7ELNS1_3repE0EEENS1_30default_config_static_selectorELNS0_4arch9wavefront6targetE0EEEvT1_
    .private_segment_fixed_size: 0
    .sgpr_count:     0
    .sgpr_spill_count: 0
    .symbol:         _ZN7rocprim17ROCPRIM_400000_NS6detail17trampoline_kernelINS0_14default_configENS1_25partition_config_selectorILNS1_17partition_subalgoE6EfNS0_10empty_typeEbEEZZNS1_14partition_implILS5_6ELb0ES3_mN6thrust23THRUST_200600_302600_NS6detail15normal_iteratorINSA_10device_ptrIfEEEEPS6_SG_NS0_5tupleIJSF_S6_EEENSH_IJSG_SG_EEES6_PlJNSB_9not_fun_tI7is_trueIfEEEEEE10hipError_tPvRmT3_T4_T5_T6_T7_T9_mT8_P12ihipStream_tbDpT10_ENKUlT_T0_E_clISt17integral_constantIbLb1EES18_EEDaS13_S14_EUlS13_E_NS1_11comp_targetILNS1_3genE3ELNS1_11target_archE908ELNS1_3gpuE7ELNS1_3repE0EEENS1_30default_config_static_selectorELNS0_4arch9wavefront6targetE0EEEvT1_.kd
    .uniform_work_group_size: 1
    .uses_dynamic_stack: false
    .vgpr_count:     0
    .vgpr_spill_count: 0
    .wavefront_size: 32
    .workgroup_processor_mode: 1
  - .args:
      - .offset:         0
        .size:           128
        .value_kind:     by_value
    .group_segment_fixed_size: 0
    .kernarg_segment_align: 8
    .kernarg_segment_size: 128
    .language:       OpenCL C
    .language_version:
      - 2
      - 0
    .max_flat_workgroup_size: 256
    .name:           _ZN7rocprim17ROCPRIM_400000_NS6detail17trampoline_kernelINS0_14default_configENS1_25partition_config_selectorILNS1_17partition_subalgoE6EfNS0_10empty_typeEbEEZZNS1_14partition_implILS5_6ELb0ES3_mN6thrust23THRUST_200600_302600_NS6detail15normal_iteratorINSA_10device_ptrIfEEEEPS6_SG_NS0_5tupleIJSF_S6_EEENSH_IJSG_SG_EEES6_PlJNSB_9not_fun_tI7is_trueIfEEEEEE10hipError_tPvRmT3_T4_T5_T6_T7_T9_mT8_P12ihipStream_tbDpT10_ENKUlT_T0_E_clISt17integral_constantIbLb1EES18_EEDaS13_S14_EUlS13_E_NS1_11comp_targetILNS1_3genE2ELNS1_11target_archE906ELNS1_3gpuE6ELNS1_3repE0EEENS1_30default_config_static_selectorELNS0_4arch9wavefront6targetE0EEEvT1_
    .private_segment_fixed_size: 0
    .sgpr_count:     0
    .sgpr_spill_count: 0
    .symbol:         _ZN7rocprim17ROCPRIM_400000_NS6detail17trampoline_kernelINS0_14default_configENS1_25partition_config_selectorILNS1_17partition_subalgoE6EfNS0_10empty_typeEbEEZZNS1_14partition_implILS5_6ELb0ES3_mN6thrust23THRUST_200600_302600_NS6detail15normal_iteratorINSA_10device_ptrIfEEEEPS6_SG_NS0_5tupleIJSF_S6_EEENSH_IJSG_SG_EEES6_PlJNSB_9not_fun_tI7is_trueIfEEEEEE10hipError_tPvRmT3_T4_T5_T6_T7_T9_mT8_P12ihipStream_tbDpT10_ENKUlT_T0_E_clISt17integral_constantIbLb1EES18_EEDaS13_S14_EUlS13_E_NS1_11comp_targetILNS1_3genE2ELNS1_11target_archE906ELNS1_3gpuE6ELNS1_3repE0EEENS1_30default_config_static_selectorELNS0_4arch9wavefront6targetE0EEEvT1_.kd
    .uniform_work_group_size: 1
    .uses_dynamic_stack: false
    .vgpr_count:     0
    .vgpr_spill_count: 0
    .wavefront_size: 32
    .workgroup_processor_mode: 1
  - .args:
      - .offset:         0
        .size:           128
        .value_kind:     by_value
    .group_segment_fixed_size: 0
    .kernarg_segment_align: 8
    .kernarg_segment_size: 128
    .language:       OpenCL C
    .language_version:
      - 2
      - 0
    .max_flat_workgroup_size: 384
    .name:           _ZN7rocprim17ROCPRIM_400000_NS6detail17trampoline_kernelINS0_14default_configENS1_25partition_config_selectorILNS1_17partition_subalgoE6EfNS0_10empty_typeEbEEZZNS1_14partition_implILS5_6ELb0ES3_mN6thrust23THRUST_200600_302600_NS6detail15normal_iteratorINSA_10device_ptrIfEEEEPS6_SG_NS0_5tupleIJSF_S6_EEENSH_IJSG_SG_EEES6_PlJNSB_9not_fun_tI7is_trueIfEEEEEE10hipError_tPvRmT3_T4_T5_T6_T7_T9_mT8_P12ihipStream_tbDpT10_ENKUlT_T0_E_clISt17integral_constantIbLb1EES18_EEDaS13_S14_EUlS13_E_NS1_11comp_targetILNS1_3genE10ELNS1_11target_archE1200ELNS1_3gpuE4ELNS1_3repE0EEENS1_30default_config_static_selectorELNS0_4arch9wavefront6targetE0EEEvT1_
    .private_segment_fixed_size: 0
    .sgpr_count:     0
    .sgpr_spill_count: 0
    .symbol:         _ZN7rocprim17ROCPRIM_400000_NS6detail17trampoline_kernelINS0_14default_configENS1_25partition_config_selectorILNS1_17partition_subalgoE6EfNS0_10empty_typeEbEEZZNS1_14partition_implILS5_6ELb0ES3_mN6thrust23THRUST_200600_302600_NS6detail15normal_iteratorINSA_10device_ptrIfEEEEPS6_SG_NS0_5tupleIJSF_S6_EEENSH_IJSG_SG_EEES6_PlJNSB_9not_fun_tI7is_trueIfEEEEEE10hipError_tPvRmT3_T4_T5_T6_T7_T9_mT8_P12ihipStream_tbDpT10_ENKUlT_T0_E_clISt17integral_constantIbLb1EES18_EEDaS13_S14_EUlS13_E_NS1_11comp_targetILNS1_3genE10ELNS1_11target_archE1200ELNS1_3gpuE4ELNS1_3repE0EEENS1_30default_config_static_selectorELNS0_4arch9wavefront6targetE0EEEvT1_.kd
    .uniform_work_group_size: 1
    .uses_dynamic_stack: false
    .vgpr_count:     0
    .vgpr_spill_count: 0
    .wavefront_size: 32
    .workgroup_processor_mode: 1
  - .args:
      - .offset:         0
        .size:           128
        .value_kind:     by_value
    .group_segment_fixed_size: 0
    .kernarg_segment_align: 8
    .kernarg_segment_size: 128
    .language:       OpenCL C
    .language_version:
      - 2
      - 0
    .max_flat_workgroup_size: 128
    .name:           _ZN7rocprim17ROCPRIM_400000_NS6detail17trampoline_kernelINS0_14default_configENS1_25partition_config_selectorILNS1_17partition_subalgoE6EfNS0_10empty_typeEbEEZZNS1_14partition_implILS5_6ELb0ES3_mN6thrust23THRUST_200600_302600_NS6detail15normal_iteratorINSA_10device_ptrIfEEEEPS6_SG_NS0_5tupleIJSF_S6_EEENSH_IJSG_SG_EEES6_PlJNSB_9not_fun_tI7is_trueIfEEEEEE10hipError_tPvRmT3_T4_T5_T6_T7_T9_mT8_P12ihipStream_tbDpT10_ENKUlT_T0_E_clISt17integral_constantIbLb1EES18_EEDaS13_S14_EUlS13_E_NS1_11comp_targetILNS1_3genE9ELNS1_11target_archE1100ELNS1_3gpuE3ELNS1_3repE0EEENS1_30default_config_static_selectorELNS0_4arch9wavefront6targetE0EEEvT1_
    .private_segment_fixed_size: 0
    .sgpr_count:     0
    .sgpr_spill_count: 0
    .symbol:         _ZN7rocprim17ROCPRIM_400000_NS6detail17trampoline_kernelINS0_14default_configENS1_25partition_config_selectorILNS1_17partition_subalgoE6EfNS0_10empty_typeEbEEZZNS1_14partition_implILS5_6ELb0ES3_mN6thrust23THRUST_200600_302600_NS6detail15normal_iteratorINSA_10device_ptrIfEEEEPS6_SG_NS0_5tupleIJSF_S6_EEENSH_IJSG_SG_EEES6_PlJNSB_9not_fun_tI7is_trueIfEEEEEE10hipError_tPvRmT3_T4_T5_T6_T7_T9_mT8_P12ihipStream_tbDpT10_ENKUlT_T0_E_clISt17integral_constantIbLb1EES18_EEDaS13_S14_EUlS13_E_NS1_11comp_targetILNS1_3genE9ELNS1_11target_archE1100ELNS1_3gpuE3ELNS1_3repE0EEENS1_30default_config_static_selectorELNS0_4arch9wavefront6targetE0EEEvT1_.kd
    .uniform_work_group_size: 1
    .uses_dynamic_stack: false
    .vgpr_count:     0
    .vgpr_spill_count: 0
    .wavefront_size: 32
    .workgroup_processor_mode: 1
  - .args:
      - .offset:         0
        .size:           128
        .value_kind:     by_value
    .group_segment_fixed_size: 0
    .kernarg_segment_align: 8
    .kernarg_segment_size: 128
    .language:       OpenCL C
    .language_version:
      - 2
      - 0
    .max_flat_workgroup_size: 512
    .name:           _ZN7rocprim17ROCPRIM_400000_NS6detail17trampoline_kernelINS0_14default_configENS1_25partition_config_selectorILNS1_17partition_subalgoE6EfNS0_10empty_typeEbEEZZNS1_14partition_implILS5_6ELb0ES3_mN6thrust23THRUST_200600_302600_NS6detail15normal_iteratorINSA_10device_ptrIfEEEEPS6_SG_NS0_5tupleIJSF_S6_EEENSH_IJSG_SG_EEES6_PlJNSB_9not_fun_tI7is_trueIfEEEEEE10hipError_tPvRmT3_T4_T5_T6_T7_T9_mT8_P12ihipStream_tbDpT10_ENKUlT_T0_E_clISt17integral_constantIbLb1EES18_EEDaS13_S14_EUlS13_E_NS1_11comp_targetILNS1_3genE8ELNS1_11target_archE1030ELNS1_3gpuE2ELNS1_3repE0EEENS1_30default_config_static_selectorELNS0_4arch9wavefront6targetE0EEEvT1_
    .private_segment_fixed_size: 0
    .sgpr_count:     0
    .sgpr_spill_count: 0
    .symbol:         _ZN7rocprim17ROCPRIM_400000_NS6detail17trampoline_kernelINS0_14default_configENS1_25partition_config_selectorILNS1_17partition_subalgoE6EfNS0_10empty_typeEbEEZZNS1_14partition_implILS5_6ELb0ES3_mN6thrust23THRUST_200600_302600_NS6detail15normal_iteratorINSA_10device_ptrIfEEEEPS6_SG_NS0_5tupleIJSF_S6_EEENSH_IJSG_SG_EEES6_PlJNSB_9not_fun_tI7is_trueIfEEEEEE10hipError_tPvRmT3_T4_T5_T6_T7_T9_mT8_P12ihipStream_tbDpT10_ENKUlT_T0_E_clISt17integral_constantIbLb1EES18_EEDaS13_S14_EUlS13_E_NS1_11comp_targetILNS1_3genE8ELNS1_11target_archE1030ELNS1_3gpuE2ELNS1_3repE0EEENS1_30default_config_static_selectorELNS0_4arch9wavefront6targetE0EEEvT1_.kd
    .uniform_work_group_size: 1
    .uses_dynamic_stack: false
    .vgpr_count:     0
    .vgpr_spill_count: 0
    .wavefront_size: 32
    .workgroup_processor_mode: 1
  - .args:
      - .offset:         0
        .size:           112
        .value_kind:     by_value
    .group_segment_fixed_size: 0
    .kernarg_segment_align: 8
    .kernarg_segment_size: 112
    .language:       OpenCL C
    .language_version:
      - 2
      - 0
    .max_flat_workgroup_size: 256
    .name:           _ZN7rocprim17ROCPRIM_400000_NS6detail17trampoline_kernelINS0_14default_configENS1_25partition_config_selectorILNS1_17partition_subalgoE6EfNS0_10empty_typeEbEEZZNS1_14partition_implILS5_6ELb0ES3_mN6thrust23THRUST_200600_302600_NS6detail15normal_iteratorINSA_10device_ptrIfEEEEPS6_SG_NS0_5tupleIJSF_S6_EEENSH_IJSG_SG_EEES6_PlJNSB_9not_fun_tI7is_trueIfEEEEEE10hipError_tPvRmT3_T4_T5_T6_T7_T9_mT8_P12ihipStream_tbDpT10_ENKUlT_T0_E_clISt17integral_constantIbLb1EES17_IbLb0EEEEDaS13_S14_EUlS13_E_NS1_11comp_targetILNS1_3genE0ELNS1_11target_archE4294967295ELNS1_3gpuE0ELNS1_3repE0EEENS1_30default_config_static_selectorELNS0_4arch9wavefront6targetE0EEEvT1_
    .private_segment_fixed_size: 0
    .sgpr_count:     0
    .sgpr_spill_count: 0
    .symbol:         _ZN7rocprim17ROCPRIM_400000_NS6detail17trampoline_kernelINS0_14default_configENS1_25partition_config_selectorILNS1_17partition_subalgoE6EfNS0_10empty_typeEbEEZZNS1_14partition_implILS5_6ELb0ES3_mN6thrust23THRUST_200600_302600_NS6detail15normal_iteratorINSA_10device_ptrIfEEEEPS6_SG_NS0_5tupleIJSF_S6_EEENSH_IJSG_SG_EEES6_PlJNSB_9not_fun_tI7is_trueIfEEEEEE10hipError_tPvRmT3_T4_T5_T6_T7_T9_mT8_P12ihipStream_tbDpT10_ENKUlT_T0_E_clISt17integral_constantIbLb1EES17_IbLb0EEEEDaS13_S14_EUlS13_E_NS1_11comp_targetILNS1_3genE0ELNS1_11target_archE4294967295ELNS1_3gpuE0ELNS1_3repE0EEENS1_30default_config_static_selectorELNS0_4arch9wavefront6targetE0EEEvT1_.kd
    .uniform_work_group_size: 1
    .uses_dynamic_stack: false
    .vgpr_count:     0
    .vgpr_spill_count: 0
    .wavefront_size: 32
    .workgroup_processor_mode: 1
  - .args:
      - .offset:         0
        .size:           112
        .value_kind:     by_value
    .group_segment_fixed_size: 0
    .kernarg_segment_align: 8
    .kernarg_segment_size: 112
    .language:       OpenCL C
    .language_version:
      - 2
      - 0
    .max_flat_workgroup_size: 512
    .name:           _ZN7rocprim17ROCPRIM_400000_NS6detail17trampoline_kernelINS0_14default_configENS1_25partition_config_selectorILNS1_17partition_subalgoE6EfNS0_10empty_typeEbEEZZNS1_14partition_implILS5_6ELb0ES3_mN6thrust23THRUST_200600_302600_NS6detail15normal_iteratorINSA_10device_ptrIfEEEEPS6_SG_NS0_5tupleIJSF_S6_EEENSH_IJSG_SG_EEES6_PlJNSB_9not_fun_tI7is_trueIfEEEEEE10hipError_tPvRmT3_T4_T5_T6_T7_T9_mT8_P12ihipStream_tbDpT10_ENKUlT_T0_E_clISt17integral_constantIbLb1EES17_IbLb0EEEEDaS13_S14_EUlS13_E_NS1_11comp_targetILNS1_3genE5ELNS1_11target_archE942ELNS1_3gpuE9ELNS1_3repE0EEENS1_30default_config_static_selectorELNS0_4arch9wavefront6targetE0EEEvT1_
    .private_segment_fixed_size: 0
    .sgpr_count:     0
    .sgpr_spill_count: 0
    .symbol:         _ZN7rocprim17ROCPRIM_400000_NS6detail17trampoline_kernelINS0_14default_configENS1_25partition_config_selectorILNS1_17partition_subalgoE6EfNS0_10empty_typeEbEEZZNS1_14partition_implILS5_6ELb0ES3_mN6thrust23THRUST_200600_302600_NS6detail15normal_iteratorINSA_10device_ptrIfEEEEPS6_SG_NS0_5tupleIJSF_S6_EEENSH_IJSG_SG_EEES6_PlJNSB_9not_fun_tI7is_trueIfEEEEEE10hipError_tPvRmT3_T4_T5_T6_T7_T9_mT8_P12ihipStream_tbDpT10_ENKUlT_T0_E_clISt17integral_constantIbLb1EES17_IbLb0EEEEDaS13_S14_EUlS13_E_NS1_11comp_targetILNS1_3genE5ELNS1_11target_archE942ELNS1_3gpuE9ELNS1_3repE0EEENS1_30default_config_static_selectorELNS0_4arch9wavefront6targetE0EEEvT1_.kd
    .uniform_work_group_size: 1
    .uses_dynamic_stack: false
    .vgpr_count:     0
    .vgpr_spill_count: 0
    .wavefront_size: 32
    .workgroup_processor_mode: 1
  - .args:
      - .offset:         0
        .size:           112
        .value_kind:     by_value
    .group_segment_fixed_size: 0
    .kernarg_segment_align: 8
    .kernarg_segment_size: 112
    .language:       OpenCL C
    .language_version:
      - 2
      - 0
    .max_flat_workgroup_size: 512
    .name:           _ZN7rocprim17ROCPRIM_400000_NS6detail17trampoline_kernelINS0_14default_configENS1_25partition_config_selectorILNS1_17partition_subalgoE6EfNS0_10empty_typeEbEEZZNS1_14partition_implILS5_6ELb0ES3_mN6thrust23THRUST_200600_302600_NS6detail15normal_iteratorINSA_10device_ptrIfEEEEPS6_SG_NS0_5tupleIJSF_S6_EEENSH_IJSG_SG_EEES6_PlJNSB_9not_fun_tI7is_trueIfEEEEEE10hipError_tPvRmT3_T4_T5_T6_T7_T9_mT8_P12ihipStream_tbDpT10_ENKUlT_T0_E_clISt17integral_constantIbLb1EES17_IbLb0EEEEDaS13_S14_EUlS13_E_NS1_11comp_targetILNS1_3genE4ELNS1_11target_archE910ELNS1_3gpuE8ELNS1_3repE0EEENS1_30default_config_static_selectorELNS0_4arch9wavefront6targetE0EEEvT1_
    .private_segment_fixed_size: 0
    .sgpr_count:     0
    .sgpr_spill_count: 0
    .symbol:         _ZN7rocprim17ROCPRIM_400000_NS6detail17trampoline_kernelINS0_14default_configENS1_25partition_config_selectorILNS1_17partition_subalgoE6EfNS0_10empty_typeEbEEZZNS1_14partition_implILS5_6ELb0ES3_mN6thrust23THRUST_200600_302600_NS6detail15normal_iteratorINSA_10device_ptrIfEEEEPS6_SG_NS0_5tupleIJSF_S6_EEENSH_IJSG_SG_EEES6_PlJNSB_9not_fun_tI7is_trueIfEEEEEE10hipError_tPvRmT3_T4_T5_T6_T7_T9_mT8_P12ihipStream_tbDpT10_ENKUlT_T0_E_clISt17integral_constantIbLb1EES17_IbLb0EEEEDaS13_S14_EUlS13_E_NS1_11comp_targetILNS1_3genE4ELNS1_11target_archE910ELNS1_3gpuE8ELNS1_3repE0EEENS1_30default_config_static_selectorELNS0_4arch9wavefront6targetE0EEEvT1_.kd
    .uniform_work_group_size: 1
    .uses_dynamic_stack: false
    .vgpr_count:     0
    .vgpr_spill_count: 0
    .wavefront_size: 32
    .workgroup_processor_mode: 1
  - .args:
      - .offset:         0
        .size:           112
        .value_kind:     by_value
    .group_segment_fixed_size: 0
    .kernarg_segment_align: 8
    .kernarg_segment_size: 112
    .language:       OpenCL C
    .language_version:
      - 2
      - 0
    .max_flat_workgroup_size: 256
    .name:           _ZN7rocprim17ROCPRIM_400000_NS6detail17trampoline_kernelINS0_14default_configENS1_25partition_config_selectorILNS1_17partition_subalgoE6EfNS0_10empty_typeEbEEZZNS1_14partition_implILS5_6ELb0ES3_mN6thrust23THRUST_200600_302600_NS6detail15normal_iteratorINSA_10device_ptrIfEEEEPS6_SG_NS0_5tupleIJSF_S6_EEENSH_IJSG_SG_EEES6_PlJNSB_9not_fun_tI7is_trueIfEEEEEE10hipError_tPvRmT3_T4_T5_T6_T7_T9_mT8_P12ihipStream_tbDpT10_ENKUlT_T0_E_clISt17integral_constantIbLb1EES17_IbLb0EEEEDaS13_S14_EUlS13_E_NS1_11comp_targetILNS1_3genE3ELNS1_11target_archE908ELNS1_3gpuE7ELNS1_3repE0EEENS1_30default_config_static_selectorELNS0_4arch9wavefront6targetE0EEEvT1_
    .private_segment_fixed_size: 0
    .sgpr_count:     0
    .sgpr_spill_count: 0
    .symbol:         _ZN7rocprim17ROCPRIM_400000_NS6detail17trampoline_kernelINS0_14default_configENS1_25partition_config_selectorILNS1_17partition_subalgoE6EfNS0_10empty_typeEbEEZZNS1_14partition_implILS5_6ELb0ES3_mN6thrust23THRUST_200600_302600_NS6detail15normal_iteratorINSA_10device_ptrIfEEEEPS6_SG_NS0_5tupleIJSF_S6_EEENSH_IJSG_SG_EEES6_PlJNSB_9not_fun_tI7is_trueIfEEEEEE10hipError_tPvRmT3_T4_T5_T6_T7_T9_mT8_P12ihipStream_tbDpT10_ENKUlT_T0_E_clISt17integral_constantIbLb1EES17_IbLb0EEEEDaS13_S14_EUlS13_E_NS1_11comp_targetILNS1_3genE3ELNS1_11target_archE908ELNS1_3gpuE7ELNS1_3repE0EEENS1_30default_config_static_selectorELNS0_4arch9wavefront6targetE0EEEvT1_.kd
    .uniform_work_group_size: 1
    .uses_dynamic_stack: false
    .vgpr_count:     0
    .vgpr_spill_count: 0
    .wavefront_size: 32
    .workgroup_processor_mode: 1
  - .args:
      - .offset:         0
        .size:           112
        .value_kind:     by_value
    .group_segment_fixed_size: 0
    .kernarg_segment_align: 8
    .kernarg_segment_size: 112
    .language:       OpenCL C
    .language_version:
      - 2
      - 0
    .max_flat_workgroup_size: 256
    .name:           _ZN7rocprim17ROCPRIM_400000_NS6detail17trampoline_kernelINS0_14default_configENS1_25partition_config_selectorILNS1_17partition_subalgoE6EfNS0_10empty_typeEbEEZZNS1_14partition_implILS5_6ELb0ES3_mN6thrust23THRUST_200600_302600_NS6detail15normal_iteratorINSA_10device_ptrIfEEEEPS6_SG_NS0_5tupleIJSF_S6_EEENSH_IJSG_SG_EEES6_PlJNSB_9not_fun_tI7is_trueIfEEEEEE10hipError_tPvRmT3_T4_T5_T6_T7_T9_mT8_P12ihipStream_tbDpT10_ENKUlT_T0_E_clISt17integral_constantIbLb1EES17_IbLb0EEEEDaS13_S14_EUlS13_E_NS1_11comp_targetILNS1_3genE2ELNS1_11target_archE906ELNS1_3gpuE6ELNS1_3repE0EEENS1_30default_config_static_selectorELNS0_4arch9wavefront6targetE0EEEvT1_
    .private_segment_fixed_size: 0
    .sgpr_count:     0
    .sgpr_spill_count: 0
    .symbol:         _ZN7rocprim17ROCPRIM_400000_NS6detail17trampoline_kernelINS0_14default_configENS1_25partition_config_selectorILNS1_17partition_subalgoE6EfNS0_10empty_typeEbEEZZNS1_14partition_implILS5_6ELb0ES3_mN6thrust23THRUST_200600_302600_NS6detail15normal_iteratorINSA_10device_ptrIfEEEEPS6_SG_NS0_5tupleIJSF_S6_EEENSH_IJSG_SG_EEES6_PlJNSB_9not_fun_tI7is_trueIfEEEEEE10hipError_tPvRmT3_T4_T5_T6_T7_T9_mT8_P12ihipStream_tbDpT10_ENKUlT_T0_E_clISt17integral_constantIbLb1EES17_IbLb0EEEEDaS13_S14_EUlS13_E_NS1_11comp_targetILNS1_3genE2ELNS1_11target_archE906ELNS1_3gpuE6ELNS1_3repE0EEENS1_30default_config_static_selectorELNS0_4arch9wavefront6targetE0EEEvT1_.kd
    .uniform_work_group_size: 1
    .uses_dynamic_stack: false
    .vgpr_count:     0
    .vgpr_spill_count: 0
    .wavefront_size: 32
    .workgroup_processor_mode: 1
  - .args:
      - .offset:         0
        .size:           112
        .value_kind:     by_value
    .group_segment_fixed_size: 0
    .kernarg_segment_align: 8
    .kernarg_segment_size: 112
    .language:       OpenCL C
    .language_version:
      - 2
      - 0
    .max_flat_workgroup_size: 384
    .name:           _ZN7rocprim17ROCPRIM_400000_NS6detail17trampoline_kernelINS0_14default_configENS1_25partition_config_selectorILNS1_17partition_subalgoE6EfNS0_10empty_typeEbEEZZNS1_14partition_implILS5_6ELb0ES3_mN6thrust23THRUST_200600_302600_NS6detail15normal_iteratorINSA_10device_ptrIfEEEEPS6_SG_NS0_5tupleIJSF_S6_EEENSH_IJSG_SG_EEES6_PlJNSB_9not_fun_tI7is_trueIfEEEEEE10hipError_tPvRmT3_T4_T5_T6_T7_T9_mT8_P12ihipStream_tbDpT10_ENKUlT_T0_E_clISt17integral_constantIbLb1EES17_IbLb0EEEEDaS13_S14_EUlS13_E_NS1_11comp_targetILNS1_3genE10ELNS1_11target_archE1200ELNS1_3gpuE4ELNS1_3repE0EEENS1_30default_config_static_selectorELNS0_4arch9wavefront6targetE0EEEvT1_
    .private_segment_fixed_size: 0
    .sgpr_count:     0
    .sgpr_spill_count: 0
    .symbol:         _ZN7rocprim17ROCPRIM_400000_NS6detail17trampoline_kernelINS0_14default_configENS1_25partition_config_selectorILNS1_17partition_subalgoE6EfNS0_10empty_typeEbEEZZNS1_14partition_implILS5_6ELb0ES3_mN6thrust23THRUST_200600_302600_NS6detail15normal_iteratorINSA_10device_ptrIfEEEEPS6_SG_NS0_5tupleIJSF_S6_EEENSH_IJSG_SG_EEES6_PlJNSB_9not_fun_tI7is_trueIfEEEEEE10hipError_tPvRmT3_T4_T5_T6_T7_T9_mT8_P12ihipStream_tbDpT10_ENKUlT_T0_E_clISt17integral_constantIbLb1EES17_IbLb0EEEEDaS13_S14_EUlS13_E_NS1_11comp_targetILNS1_3genE10ELNS1_11target_archE1200ELNS1_3gpuE4ELNS1_3repE0EEENS1_30default_config_static_selectorELNS0_4arch9wavefront6targetE0EEEvT1_.kd
    .uniform_work_group_size: 1
    .uses_dynamic_stack: false
    .vgpr_count:     0
    .vgpr_spill_count: 0
    .wavefront_size: 32
    .workgroup_processor_mode: 1
  - .args:
      - .offset:         0
        .size:           112
        .value_kind:     by_value
    .group_segment_fixed_size: 0
    .kernarg_segment_align: 8
    .kernarg_segment_size: 112
    .language:       OpenCL C
    .language_version:
      - 2
      - 0
    .max_flat_workgroup_size: 128
    .name:           _ZN7rocprim17ROCPRIM_400000_NS6detail17trampoline_kernelINS0_14default_configENS1_25partition_config_selectorILNS1_17partition_subalgoE6EfNS0_10empty_typeEbEEZZNS1_14partition_implILS5_6ELb0ES3_mN6thrust23THRUST_200600_302600_NS6detail15normal_iteratorINSA_10device_ptrIfEEEEPS6_SG_NS0_5tupleIJSF_S6_EEENSH_IJSG_SG_EEES6_PlJNSB_9not_fun_tI7is_trueIfEEEEEE10hipError_tPvRmT3_T4_T5_T6_T7_T9_mT8_P12ihipStream_tbDpT10_ENKUlT_T0_E_clISt17integral_constantIbLb1EES17_IbLb0EEEEDaS13_S14_EUlS13_E_NS1_11comp_targetILNS1_3genE9ELNS1_11target_archE1100ELNS1_3gpuE3ELNS1_3repE0EEENS1_30default_config_static_selectorELNS0_4arch9wavefront6targetE0EEEvT1_
    .private_segment_fixed_size: 0
    .sgpr_count:     0
    .sgpr_spill_count: 0
    .symbol:         _ZN7rocprim17ROCPRIM_400000_NS6detail17trampoline_kernelINS0_14default_configENS1_25partition_config_selectorILNS1_17partition_subalgoE6EfNS0_10empty_typeEbEEZZNS1_14partition_implILS5_6ELb0ES3_mN6thrust23THRUST_200600_302600_NS6detail15normal_iteratorINSA_10device_ptrIfEEEEPS6_SG_NS0_5tupleIJSF_S6_EEENSH_IJSG_SG_EEES6_PlJNSB_9not_fun_tI7is_trueIfEEEEEE10hipError_tPvRmT3_T4_T5_T6_T7_T9_mT8_P12ihipStream_tbDpT10_ENKUlT_T0_E_clISt17integral_constantIbLb1EES17_IbLb0EEEEDaS13_S14_EUlS13_E_NS1_11comp_targetILNS1_3genE9ELNS1_11target_archE1100ELNS1_3gpuE3ELNS1_3repE0EEENS1_30default_config_static_selectorELNS0_4arch9wavefront6targetE0EEEvT1_.kd
    .uniform_work_group_size: 1
    .uses_dynamic_stack: false
    .vgpr_count:     0
    .vgpr_spill_count: 0
    .wavefront_size: 32
    .workgroup_processor_mode: 1
  - .args:
      - .offset:         0
        .size:           112
        .value_kind:     by_value
    .group_segment_fixed_size: 0
    .kernarg_segment_align: 8
    .kernarg_segment_size: 112
    .language:       OpenCL C
    .language_version:
      - 2
      - 0
    .max_flat_workgroup_size: 512
    .name:           _ZN7rocprim17ROCPRIM_400000_NS6detail17trampoline_kernelINS0_14default_configENS1_25partition_config_selectorILNS1_17partition_subalgoE6EfNS0_10empty_typeEbEEZZNS1_14partition_implILS5_6ELb0ES3_mN6thrust23THRUST_200600_302600_NS6detail15normal_iteratorINSA_10device_ptrIfEEEEPS6_SG_NS0_5tupleIJSF_S6_EEENSH_IJSG_SG_EEES6_PlJNSB_9not_fun_tI7is_trueIfEEEEEE10hipError_tPvRmT3_T4_T5_T6_T7_T9_mT8_P12ihipStream_tbDpT10_ENKUlT_T0_E_clISt17integral_constantIbLb1EES17_IbLb0EEEEDaS13_S14_EUlS13_E_NS1_11comp_targetILNS1_3genE8ELNS1_11target_archE1030ELNS1_3gpuE2ELNS1_3repE0EEENS1_30default_config_static_selectorELNS0_4arch9wavefront6targetE0EEEvT1_
    .private_segment_fixed_size: 0
    .sgpr_count:     0
    .sgpr_spill_count: 0
    .symbol:         _ZN7rocprim17ROCPRIM_400000_NS6detail17trampoline_kernelINS0_14default_configENS1_25partition_config_selectorILNS1_17partition_subalgoE6EfNS0_10empty_typeEbEEZZNS1_14partition_implILS5_6ELb0ES3_mN6thrust23THRUST_200600_302600_NS6detail15normal_iteratorINSA_10device_ptrIfEEEEPS6_SG_NS0_5tupleIJSF_S6_EEENSH_IJSG_SG_EEES6_PlJNSB_9not_fun_tI7is_trueIfEEEEEE10hipError_tPvRmT3_T4_T5_T6_T7_T9_mT8_P12ihipStream_tbDpT10_ENKUlT_T0_E_clISt17integral_constantIbLb1EES17_IbLb0EEEEDaS13_S14_EUlS13_E_NS1_11comp_targetILNS1_3genE8ELNS1_11target_archE1030ELNS1_3gpuE2ELNS1_3repE0EEENS1_30default_config_static_selectorELNS0_4arch9wavefront6targetE0EEEvT1_.kd
    .uniform_work_group_size: 1
    .uses_dynamic_stack: false
    .vgpr_count:     0
    .vgpr_spill_count: 0
    .wavefront_size: 32
    .workgroup_processor_mode: 1
  - .args:
      - .offset:         0
        .size:           128
        .value_kind:     by_value
    .group_segment_fixed_size: 0
    .kernarg_segment_align: 8
    .kernarg_segment_size: 128
    .language:       OpenCL C
    .language_version:
      - 2
      - 0
    .max_flat_workgroup_size: 256
    .name:           _ZN7rocprim17ROCPRIM_400000_NS6detail17trampoline_kernelINS0_14default_configENS1_25partition_config_selectorILNS1_17partition_subalgoE6EfNS0_10empty_typeEbEEZZNS1_14partition_implILS5_6ELb0ES3_mN6thrust23THRUST_200600_302600_NS6detail15normal_iteratorINSA_10device_ptrIfEEEEPS6_SG_NS0_5tupleIJSF_S6_EEENSH_IJSG_SG_EEES6_PlJNSB_9not_fun_tI7is_trueIfEEEEEE10hipError_tPvRmT3_T4_T5_T6_T7_T9_mT8_P12ihipStream_tbDpT10_ENKUlT_T0_E_clISt17integral_constantIbLb0EES17_IbLb1EEEEDaS13_S14_EUlS13_E_NS1_11comp_targetILNS1_3genE0ELNS1_11target_archE4294967295ELNS1_3gpuE0ELNS1_3repE0EEENS1_30default_config_static_selectorELNS0_4arch9wavefront6targetE0EEEvT1_
    .private_segment_fixed_size: 0
    .sgpr_count:     0
    .sgpr_spill_count: 0
    .symbol:         _ZN7rocprim17ROCPRIM_400000_NS6detail17trampoline_kernelINS0_14default_configENS1_25partition_config_selectorILNS1_17partition_subalgoE6EfNS0_10empty_typeEbEEZZNS1_14partition_implILS5_6ELb0ES3_mN6thrust23THRUST_200600_302600_NS6detail15normal_iteratorINSA_10device_ptrIfEEEEPS6_SG_NS0_5tupleIJSF_S6_EEENSH_IJSG_SG_EEES6_PlJNSB_9not_fun_tI7is_trueIfEEEEEE10hipError_tPvRmT3_T4_T5_T6_T7_T9_mT8_P12ihipStream_tbDpT10_ENKUlT_T0_E_clISt17integral_constantIbLb0EES17_IbLb1EEEEDaS13_S14_EUlS13_E_NS1_11comp_targetILNS1_3genE0ELNS1_11target_archE4294967295ELNS1_3gpuE0ELNS1_3repE0EEENS1_30default_config_static_selectorELNS0_4arch9wavefront6targetE0EEEvT1_.kd
    .uniform_work_group_size: 1
    .uses_dynamic_stack: false
    .vgpr_count:     0
    .vgpr_spill_count: 0
    .wavefront_size: 32
    .workgroup_processor_mode: 1
  - .args:
      - .offset:         0
        .size:           128
        .value_kind:     by_value
    .group_segment_fixed_size: 0
    .kernarg_segment_align: 8
    .kernarg_segment_size: 128
    .language:       OpenCL C
    .language_version:
      - 2
      - 0
    .max_flat_workgroup_size: 512
    .name:           _ZN7rocprim17ROCPRIM_400000_NS6detail17trampoline_kernelINS0_14default_configENS1_25partition_config_selectorILNS1_17partition_subalgoE6EfNS0_10empty_typeEbEEZZNS1_14partition_implILS5_6ELb0ES3_mN6thrust23THRUST_200600_302600_NS6detail15normal_iteratorINSA_10device_ptrIfEEEEPS6_SG_NS0_5tupleIJSF_S6_EEENSH_IJSG_SG_EEES6_PlJNSB_9not_fun_tI7is_trueIfEEEEEE10hipError_tPvRmT3_T4_T5_T6_T7_T9_mT8_P12ihipStream_tbDpT10_ENKUlT_T0_E_clISt17integral_constantIbLb0EES17_IbLb1EEEEDaS13_S14_EUlS13_E_NS1_11comp_targetILNS1_3genE5ELNS1_11target_archE942ELNS1_3gpuE9ELNS1_3repE0EEENS1_30default_config_static_selectorELNS0_4arch9wavefront6targetE0EEEvT1_
    .private_segment_fixed_size: 0
    .sgpr_count:     0
    .sgpr_spill_count: 0
    .symbol:         _ZN7rocprim17ROCPRIM_400000_NS6detail17trampoline_kernelINS0_14default_configENS1_25partition_config_selectorILNS1_17partition_subalgoE6EfNS0_10empty_typeEbEEZZNS1_14partition_implILS5_6ELb0ES3_mN6thrust23THRUST_200600_302600_NS6detail15normal_iteratorINSA_10device_ptrIfEEEEPS6_SG_NS0_5tupleIJSF_S6_EEENSH_IJSG_SG_EEES6_PlJNSB_9not_fun_tI7is_trueIfEEEEEE10hipError_tPvRmT3_T4_T5_T6_T7_T9_mT8_P12ihipStream_tbDpT10_ENKUlT_T0_E_clISt17integral_constantIbLb0EES17_IbLb1EEEEDaS13_S14_EUlS13_E_NS1_11comp_targetILNS1_3genE5ELNS1_11target_archE942ELNS1_3gpuE9ELNS1_3repE0EEENS1_30default_config_static_selectorELNS0_4arch9wavefront6targetE0EEEvT1_.kd
    .uniform_work_group_size: 1
    .uses_dynamic_stack: false
    .vgpr_count:     0
    .vgpr_spill_count: 0
    .wavefront_size: 32
    .workgroup_processor_mode: 1
  - .args:
      - .offset:         0
        .size:           128
        .value_kind:     by_value
    .group_segment_fixed_size: 0
    .kernarg_segment_align: 8
    .kernarg_segment_size: 128
    .language:       OpenCL C
    .language_version:
      - 2
      - 0
    .max_flat_workgroup_size: 512
    .name:           _ZN7rocprim17ROCPRIM_400000_NS6detail17trampoline_kernelINS0_14default_configENS1_25partition_config_selectorILNS1_17partition_subalgoE6EfNS0_10empty_typeEbEEZZNS1_14partition_implILS5_6ELb0ES3_mN6thrust23THRUST_200600_302600_NS6detail15normal_iteratorINSA_10device_ptrIfEEEEPS6_SG_NS0_5tupleIJSF_S6_EEENSH_IJSG_SG_EEES6_PlJNSB_9not_fun_tI7is_trueIfEEEEEE10hipError_tPvRmT3_T4_T5_T6_T7_T9_mT8_P12ihipStream_tbDpT10_ENKUlT_T0_E_clISt17integral_constantIbLb0EES17_IbLb1EEEEDaS13_S14_EUlS13_E_NS1_11comp_targetILNS1_3genE4ELNS1_11target_archE910ELNS1_3gpuE8ELNS1_3repE0EEENS1_30default_config_static_selectorELNS0_4arch9wavefront6targetE0EEEvT1_
    .private_segment_fixed_size: 0
    .sgpr_count:     0
    .sgpr_spill_count: 0
    .symbol:         _ZN7rocprim17ROCPRIM_400000_NS6detail17trampoline_kernelINS0_14default_configENS1_25partition_config_selectorILNS1_17partition_subalgoE6EfNS0_10empty_typeEbEEZZNS1_14partition_implILS5_6ELb0ES3_mN6thrust23THRUST_200600_302600_NS6detail15normal_iteratorINSA_10device_ptrIfEEEEPS6_SG_NS0_5tupleIJSF_S6_EEENSH_IJSG_SG_EEES6_PlJNSB_9not_fun_tI7is_trueIfEEEEEE10hipError_tPvRmT3_T4_T5_T6_T7_T9_mT8_P12ihipStream_tbDpT10_ENKUlT_T0_E_clISt17integral_constantIbLb0EES17_IbLb1EEEEDaS13_S14_EUlS13_E_NS1_11comp_targetILNS1_3genE4ELNS1_11target_archE910ELNS1_3gpuE8ELNS1_3repE0EEENS1_30default_config_static_selectorELNS0_4arch9wavefront6targetE0EEEvT1_.kd
    .uniform_work_group_size: 1
    .uses_dynamic_stack: false
    .vgpr_count:     0
    .vgpr_spill_count: 0
    .wavefront_size: 32
    .workgroup_processor_mode: 1
  - .args:
      - .offset:         0
        .size:           128
        .value_kind:     by_value
    .group_segment_fixed_size: 0
    .kernarg_segment_align: 8
    .kernarg_segment_size: 128
    .language:       OpenCL C
    .language_version:
      - 2
      - 0
    .max_flat_workgroup_size: 256
    .name:           _ZN7rocprim17ROCPRIM_400000_NS6detail17trampoline_kernelINS0_14default_configENS1_25partition_config_selectorILNS1_17partition_subalgoE6EfNS0_10empty_typeEbEEZZNS1_14partition_implILS5_6ELb0ES3_mN6thrust23THRUST_200600_302600_NS6detail15normal_iteratorINSA_10device_ptrIfEEEEPS6_SG_NS0_5tupleIJSF_S6_EEENSH_IJSG_SG_EEES6_PlJNSB_9not_fun_tI7is_trueIfEEEEEE10hipError_tPvRmT3_T4_T5_T6_T7_T9_mT8_P12ihipStream_tbDpT10_ENKUlT_T0_E_clISt17integral_constantIbLb0EES17_IbLb1EEEEDaS13_S14_EUlS13_E_NS1_11comp_targetILNS1_3genE3ELNS1_11target_archE908ELNS1_3gpuE7ELNS1_3repE0EEENS1_30default_config_static_selectorELNS0_4arch9wavefront6targetE0EEEvT1_
    .private_segment_fixed_size: 0
    .sgpr_count:     0
    .sgpr_spill_count: 0
    .symbol:         _ZN7rocprim17ROCPRIM_400000_NS6detail17trampoline_kernelINS0_14default_configENS1_25partition_config_selectorILNS1_17partition_subalgoE6EfNS0_10empty_typeEbEEZZNS1_14partition_implILS5_6ELb0ES3_mN6thrust23THRUST_200600_302600_NS6detail15normal_iteratorINSA_10device_ptrIfEEEEPS6_SG_NS0_5tupleIJSF_S6_EEENSH_IJSG_SG_EEES6_PlJNSB_9not_fun_tI7is_trueIfEEEEEE10hipError_tPvRmT3_T4_T5_T6_T7_T9_mT8_P12ihipStream_tbDpT10_ENKUlT_T0_E_clISt17integral_constantIbLb0EES17_IbLb1EEEEDaS13_S14_EUlS13_E_NS1_11comp_targetILNS1_3genE3ELNS1_11target_archE908ELNS1_3gpuE7ELNS1_3repE0EEENS1_30default_config_static_selectorELNS0_4arch9wavefront6targetE0EEEvT1_.kd
    .uniform_work_group_size: 1
    .uses_dynamic_stack: false
    .vgpr_count:     0
    .vgpr_spill_count: 0
    .wavefront_size: 32
    .workgroup_processor_mode: 1
  - .args:
      - .offset:         0
        .size:           128
        .value_kind:     by_value
    .group_segment_fixed_size: 0
    .kernarg_segment_align: 8
    .kernarg_segment_size: 128
    .language:       OpenCL C
    .language_version:
      - 2
      - 0
    .max_flat_workgroup_size: 256
    .name:           _ZN7rocprim17ROCPRIM_400000_NS6detail17trampoline_kernelINS0_14default_configENS1_25partition_config_selectorILNS1_17partition_subalgoE6EfNS0_10empty_typeEbEEZZNS1_14partition_implILS5_6ELb0ES3_mN6thrust23THRUST_200600_302600_NS6detail15normal_iteratorINSA_10device_ptrIfEEEEPS6_SG_NS0_5tupleIJSF_S6_EEENSH_IJSG_SG_EEES6_PlJNSB_9not_fun_tI7is_trueIfEEEEEE10hipError_tPvRmT3_T4_T5_T6_T7_T9_mT8_P12ihipStream_tbDpT10_ENKUlT_T0_E_clISt17integral_constantIbLb0EES17_IbLb1EEEEDaS13_S14_EUlS13_E_NS1_11comp_targetILNS1_3genE2ELNS1_11target_archE906ELNS1_3gpuE6ELNS1_3repE0EEENS1_30default_config_static_selectorELNS0_4arch9wavefront6targetE0EEEvT1_
    .private_segment_fixed_size: 0
    .sgpr_count:     0
    .sgpr_spill_count: 0
    .symbol:         _ZN7rocprim17ROCPRIM_400000_NS6detail17trampoline_kernelINS0_14default_configENS1_25partition_config_selectorILNS1_17partition_subalgoE6EfNS0_10empty_typeEbEEZZNS1_14partition_implILS5_6ELb0ES3_mN6thrust23THRUST_200600_302600_NS6detail15normal_iteratorINSA_10device_ptrIfEEEEPS6_SG_NS0_5tupleIJSF_S6_EEENSH_IJSG_SG_EEES6_PlJNSB_9not_fun_tI7is_trueIfEEEEEE10hipError_tPvRmT3_T4_T5_T6_T7_T9_mT8_P12ihipStream_tbDpT10_ENKUlT_T0_E_clISt17integral_constantIbLb0EES17_IbLb1EEEEDaS13_S14_EUlS13_E_NS1_11comp_targetILNS1_3genE2ELNS1_11target_archE906ELNS1_3gpuE6ELNS1_3repE0EEENS1_30default_config_static_selectorELNS0_4arch9wavefront6targetE0EEEvT1_.kd
    .uniform_work_group_size: 1
    .uses_dynamic_stack: false
    .vgpr_count:     0
    .vgpr_spill_count: 0
    .wavefront_size: 32
    .workgroup_processor_mode: 1
  - .args:
      - .offset:         0
        .size:           128
        .value_kind:     by_value
    .group_segment_fixed_size: 10768
    .kernarg_segment_align: 8
    .kernarg_segment_size: 128
    .language:       OpenCL C
    .language_version:
      - 2
      - 0
    .max_flat_workgroup_size: 384
    .name:           _ZN7rocprim17ROCPRIM_400000_NS6detail17trampoline_kernelINS0_14default_configENS1_25partition_config_selectorILNS1_17partition_subalgoE6EfNS0_10empty_typeEbEEZZNS1_14partition_implILS5_6ELb0ES3_mN6thrust23THRUST_200600_302600_NS6detail15normal_iteratorINSA_10device_ptrIfEEEEPS6_SG_NS0_5tupleIJSF_S6_EEENSH_IJSG_SG_EEES6_PlJNSB_9not_fun_tI7is_trueIfEEEEEE10hipError_tPvRmT3_T4_T5_T6_T7_T9_mT8_P12ihipStream_tbDpT10_ENKUlT_T0_E_clISt17integral_constantIbLb0EES17_IbLb1EEEEDaS13_S14_EUlS13_E_NS1_11comp_targetILNS1_3genE10ELNS1_11target_archE1200ELNS1_3gpuE4ELNS1_3repE0EEENS1_30default_config_static_selectorELNS0_4arch9wavefront6targetE0EEEvT1_
    .private_segment_fixed_size: 0
    .sgpr_count:     22
    .sgpr_spill_count: 0
    .symbol:         _ZN7rocprim17ROCPRIM_400000_NS6detail17trampoline_kernelINS0_14default_configENS1_25partition_config_selectorILNS1_17partition_subalgoE6EfNS0_10empty_typeEbEEZZNS1_14partition_implILS5_6ELb0ES3_mN6thrust23THRUST_200600_302600_NS6detail15normal_iteratorINSA_10device_ptrIfEEEEPS6_SG_NS0_5tupleIJSF_S6_EEENSH_IJSG_SG_EEES6_PlJNSB_9not_fun_tI7is_trueIfEEEEEE10hipError_tPvRmT3_T4_T5_T6_T7_T9_mT8_P12ihipStream_tbDpT10_ENKUlT_T0_E_clISt17integral_constantIbLb0EES17_IbLb1EEEEDaS13_S14_EUlS13_E_NS1_11comp_targetILNS1_3genE10ELNS1_11target_archE1200ELNS1_3gpuE4ELNS1_3repE0EEENS1_30default_config_static_selectorELNS0_4arch9wavefront6targetE0EEEvT1_.kd
    .uniform_work_group_size: 1
    .uses_dynamic_stack: false
    .vgpr_count:     51
    .vgpr_spill_count: 0
    .wavefront_size: 32
    .workgroup_processor_mode: 1
  - .args:
      - .offset:         0
        .size:           128
        .value_kind:     by_value
    .group_segment_fixed_size: 0
    .kernarg_segment_align: 8
    .kernarg_segment_size: 128
    .language:       OpenCL C
    .language_version:
      - 2
      - 0
    .max_flat_workgroup_size: 128
    .name:           _ZN7rocprim17ROCPRIM_400000_NS6detail17trampoline_kernelINS0_14default_configENS1_25partition_config_selectorILNS1_17partition_subalgoE6EfNS0_10empty_typeEbEEZZNS1_14partition_implILS5_6ELb0ES3_mN6thrust23THRUST_200600_302600_NS6detail15normal_iteratorINSA_10device_ptrIfEEEEPS6_SG_NS0_5tupleIJSF_S6_EEENSH_IJSG_SG_EEES6_PlJNSB_9not_fun_tI7is_trueIfEEEEEE10hipError_tPvRmT3_T4_T5_T6_T7_T9_mT8_P12ihipStream_tbDpT10_ENKUlT_T0_E_clISt17integral_constantIbLb0EES17_IbLb1EEEEDaS13_S14_EUlS13_E_NS1_11comp_targetILNS1_3genE9ELNS1_11target_archE1100ELNS1_3gpuE3ELNS1_3repE0EEENS1_30default_config_static_selectorELNS0_4arch9wavefront6targetE0EEEvT1_
    .private_segment_fixed_size: 0
    .sgpr_count:     0
    .sgpr_spill_count: 0
    .symbol:         _ZN7rocprim17ROCPRIM_400000_NS6detail17trampoline_kernelINS0_14default_configENS1_25partition_config_selectorILNS1_17partition_subalgoE6EfNS0_10empty_typeEbEEZZNS1_14partition_implILS5_6ELb0ES3_mN6thrust23THRUST_200600_302600_NS6detail15normal_iteratorINSA_10device_ptrIfEEEEPS6_SG_NS0_5tupleIJSF_S6_EEENSH_IJSG_SG_EEES6_PlJNSB_9not_fun_tI7is_trueIfEEEEEE10hipError_tPvRmT3_T4_T5_T6_T7_T9_mT8_P12ihipStream_tbDpT10_ENKUlT_T0_E_clISt17integral_constantIbLb0EES17_IbLb1EEEEDaS13_S14_EUlS13_E_NS1_11comp_targetILNS1_3genE9ELNS1_11target_archE1100ELNS1_3gpuE3ELNS1_3repE0EEENS1_30default_config_static_selectorELNS0_4arch9wavefront6targetE0EEEvT1_.kd
    .uniform_work_group_size: 1
    .uses_dynamic_stack: false
    .vgpr_count:     0
    .vgpr_spill_count: 0
    .wavefront_size: 32
    .workgroup_processor_mode: 1
  - .args:
      - .offset:         0
        .size:           128
        .value_kind:     by_value
    .group_segment_fixed_size: 0
    .kernarg_segment_align: 8
    .kernarg_segment_size: 128
    .language:       OpenCL C
    .language_version:
      - 2
      - 0
    .max_flat_workgroup_size: 512
    .name:           _ZN7rocprim17ROCPRIM_400000_NS6detail17trampoline_kernelINS0_14default_configENS1_25partition_config_selectorILNS1_17partition_subalgoE6EfNS0_10empty_typeEbEEZZNS1_14partition_implILS5_6ELb0ES3_mN6thrust23THRUST_200600_302600_NS6detail15normal_iteratorINSA_10device_ptrIfEEEEPS6_SG_NS0_5tupleIJSF_S6_EEENSH_IJSG_SG_EEES6_PlJNSB_9not_fun_tI7is_trueIfEEEEEE10hipError_tPvRmT3_T4_T5_T6_T7_T9_mT8_P12ihipStream_tbDpT10_ENKUlT_T0_E_clISt17integral_constantIbLb0EES17_IbLb1EEEEDaS13_S14_EUlS13_E_NS1_11comp_targetILNS1_3genE8ELNS1_11target_archE1030ELNS1_3gpuE2ELNS1_3repE0EEENS1_30default_config_static_selectorELNS0_4arch9wavefront6targetE0EEEvT1_
    .private_segment_fixed_size: 0
    .sgpr_count:     0
    .sgpr_spill_count: 0
    .symbol:         _ZN7rocprim17ROCPRIM_400000_NS6detail17trampoline_kernelINS0_14default_configENS1_25partition_config_selectorILNS1_17partition_subalgoE6EfNS0_10empty_typeEbEEZZNS1_14partition_implILS5_6ELb0ES3_mN6thrust23THRUST_200600_302600_NS6detail15normal_iteratorINSA_10device_ptrIfEEEEPS6_SG_NS0_5tupleIJSF_S6_EEENSH_IJSG_SG_EEES6_PlJNSB_9not_fun_tI7is_trueIfEEEEEE10hipError_tPvRmT3_T4_T5_T6_T7_T9_mT8_P12ihipStream_tbDpT10_ENKUlT_T0_E_clISt17integral_constantIbLb0EES17_IbLb1EEEEDaS13_S14_EUlS13_E_NS1_11comp_targetILNS1_3genE8ELNS1_11target_archE1030ELNS1_3gpuE2ELNS1_3repE0EEENS1_30default_config_static_selectorELNS0_4arch9wavefront6targetE0EEEvT1_.kd
    .uniform_work_group_size: 1
    .uses_dynamic_stack: false
    .vgpr_count:     0
    .vgpr_spill_count: 0
    .wavefront_size: 32
    .workgroup_processor_mode: 1
  - .args:
      - .offset:         0
        .size:           112
        .value_kind:     by_value
    .group_segment_fixed_size: 0
    .kernarg_segment_align: 8
    .kernarg_segment_size: 112
    .language:       OpenCL C
    .language_version:
      - 2
      - 0
    .max_flat_workgroup_size: 128
    .name:           _ZN7rocprim17ROCPRIM_400000_NS6detail17trampoline_kernelINS0_14default_configENS1_25partition_config_selectorILNS1_17partition_subalgoE6EyNS0_10empty_typeEbEEZZNS1_14partition_implILS5_6ELb0ES3_mN6thrust23THRUST_200600_302600_NS6detail15normal_iteratorINSA_10device_ptrIyEEEEPS6_SG_NS0_5tupleIJSF_S6_EEENSH_IJSG_SG_EEES6_PlJNSB_9not_fun_tI7is_trueIyEEEEEE10hipError_tPvRmT3_T4_T5_T6_T7_T9_mT8_P12ihipStream_tbDpT10_ENKUlT_T0_E_clISt17integral_constantIbLb0EES18_EEDaS13_S14_EUlS13_E_NS1_11comp_targetILNS1_3genE0ELNS1_11target_archE4294967295ELNS1_3gpuE0ELNS1_3repE0EEENS1_30default_config_static_selectorELNS0_4arch9wavefront6targetE0EEEvT1_
    .private_segment_fixed_size: 0
    .sgpr_count:     0
    .sgpr_spill_count: 0
    .symbol:         _ZN7rocprim17ROCPRIM_400000_NS6detail17trampoline_kernelINS0_14default_configENS1_25partition_config_selectorILNS1_17partition_subalgoE6EyNS0_10empty_typeEbEEZZNS1_14partition_implILS5_6ELb0ES3_mN6thrust23THRUST_200600_302600_NS6detail15normal_iteratorINSA_10device_ptrIyEEEEPS6_SG_NS0_5tupleIJSF_S6_EEENSH_IJSG_SG_EEES6_PlJNSB_9not_fun_tI7is_trueIyEEEEEE10hipError_tPvRmT3_T4_T5_T6_T7_T9_mT8_P12ihipStream_tbDpT10_ENKUlT_T0_E_clISt17integral_constantIbLb0EES18_EEDaS13_S14_EUlS13_E_NS1_11comp_targetILNS1_3genE0ELNS1_11target_archE4294967295ELNS1_3gpuE0ELNS1_3repE0EEENS1_30default_config_static_selectorELNS0_4arch9wavefront6targetE0EEEvT1_.kd
    .uniform_work_group_size: 1
    .uses_dynamic_stack: false
    .vgpr_count:     0
    .vgpr_spill_count: 0
    .wavefront_size: 32
    .workgroup_processor_mode: 1
  - .args:
      - .offset:         0
        .size:           112
        .value_kind:     by_value
    .group_segment_fixed_size: 0
    .kernarg_segment_align: 8
    .kernarg_segment_size: 112
    .language:       OpenCL C
    .language_version:
      - 2
      - 0
    .max_flat_workgroup_size: 512
    .name:           _ZN7rocprim17ROCPRIM_400000_NS6detail17trampoline_kernelINS0_14default_configENS1_25partition_config_selectorILNS1_17partition_subalgoE6EyNS0_10empty_typeEbEEZZNS1_14partition_implILS5_6ELb0ES3_mN6thrust23THRUST_200600_302600_NS6detail15normal_iteratorINSA_10device_ptrIyEEEEPS6_SG_NS0_5tupleIJSF_S6_EEENSH_IJSG_SG_EEES6_PlJNSB_9not_fun_tI7is_trueIyEEEEEE10hipError_tPvRmT3_T4_T5_T6_T7_T9_mT8_P12ihipStream_tbDpT10_ENKUlT_T0_E_clISt17integral_constantIbLb0EES18_EEDaS13_S14_EUlS13_E_NS1_11comp_targetILNS1_3genE5ELNS1_11target_archE942ELNS1_3gpuE9ELNS1_3repE0EEENS1_30default_config_static_selectorELNS0_4arch9wavefront6targetE0EEEvT1_
    .private_segment_fixed_size: 0
    .sgpr_count:     0
    .sgpr_spill_count: 0
    .symbol:         _ZN7rocprim17ROCPRIM_400000_NS6detail17trampoline_kernelINS0_14default_configENS1_25partition_config_selectorILNS1_17partition_subalgoE6EyNS0_10empty_typeEbEEZZNS1_14partition_implILS5_6ELb0ES3_mN6thrust23THRUST_200600_302600_NS6detail15normal_iteratorINSA_10device_ptrIyEEEEPS6_SG_NS0_5tupleIJSF_S6_EEENSH_IJSG_SG_EEES6_PlJNSB_9not_fun_tI7is_trueIyEEEEEE10hipError_tPvRmT3_T4_T5_T6_T7_T9_mT8_P12ihipStream_tbDpT10_ENKUlT_T0_E_clISt17integral_constantIbLb0EES18_EEDaS13_S14_EUlS13_E_NS1_11comp_targetILNS1_3genE5ELNS1_11target_archE942ELNS1_3gpuE9ELNS1_3repE0EEENS1_30default_config_static_selectorELNS0_4arch9wavefront6targetE0EEEvT1_.kd
    .uniform_work_group_size: 1
    .uses_dynamic_stack: false
    .vgpr_count:     0
    .vgpr_spill_count: 0
    .wavefront_size: 32
    .workgroup_processor_mode: 1
  - .args:
      - .offset:         0
        .size:           112
        .value_kind:     by_value
    .group_segment_fixed_size: 0
    .kernarg_segment_align: 8
    .kernarg_segment_size: 112
    .language:       OpenCL C
    .language_version:
      - 2
      - 0
    .max_flat_workgroup_size: 512
    .name:           _ZN7rocprim17ROCPRIM_400000_NS6detail17trampoline_kernelINS0_14default_configENS1_25partition_config_selectorILNS1_17partition_subalgoE6EyNS0_10empty_typeEbEEZZNS1_14partition_implILS5_6ELb0ES3_mN6thrust23THRUST_200600_302600_NS6detail15normal_iteratorINSA_10device_ptrIyEEEEPS6_SG_NS0_5tupleIJSF_S6_EEENSH_IJSG_SG_EEES6_PlJNSB_9not_fun_tI7is_trueIyEEEEEE10hipError_tPvRmT3_T4_T5_T6_T7_T9_mT8_P12ihipStream_tbDpT10_ENKUlT_T0_E_clISt17integral_constantIbLb0EES18_EEDaS13_S14_EUlS13_E_NS1_11comp_targetILNS1_3genE4ELNS1_11target_archE910ELNS1_3gpuE8ELNS1_3repE0EEENS1_30default_config_static_selectorELNS0_4arch9wavefront6targetE0EEEvT1_
    .private_segment_fixed_size: 0
    .sgpr_count:     0
    .sgpr_spill_count: 0
    .symbol:         _ZN7rocprim17ROCPRIM_400000_NS6detail17trampoline_kernelINS0_14default_configENS1_25partition_config_selectorILNS1_17partition_subalgoE6EyNS0_10empty_typeEbEEZZNS1_14partition_implILS5_6ELb0ES3_mN6thrust23THRUST_200600_302600_NS6detail15normal_iteratorINSA_10device_ptrIyEEEEPS6_SG_NS0_5tupleIJSF_S6_EEENSH_IJSG_SG_EEES6_PlJNSB_9not_fun_tI7is_trueIyEEEEEE10hipError_tPvRmT3_T4_T5_T6_T7_T9_mT8_P12ihipStream_tbDpT10_ENKUlT_T0_E_clISt17integral_constantIbLb0EES18_EEDaS13_S14_EUlS13_E_NS1_11comp_targetILNS1_3genE4ELNS1_11target_archE910ELNS1_3gpuE8ELNS1_3repE0EEENS1_30default_config_static_selectorELNS0_4arch9wavefront6targetE0EEEvT1_.kd
    .uniform_work_group_size: 1
    .uses_dynamic_stack: false
    .vgpr_count:     0
    .vgpr_spill_count: 0
    .wavefront_size: 32
    .workgroup_processor_mode: 1
  - .args:
      - .offset:         0
        .size:           112
        .value_kind:     by_value
    .group_segment_fixed_size: 0
    .kernarg_segment_align: 8
    .kernarg_segment_size: 112
    .language:       OpenCL C
    .language_version:
      - 2
      - 0
    .max_flat_workgroup_size: 128
    .name:           _ZN7rocprim17ROCPRIM_400000_NS6detail17trampoline_kernelINS0_14default_configENS1_25partition_config_selectorILNS1_17partition_subalgoE6EyNS0_10empty_typeEbEEZZNS1_14partition_implILS5_6ELb0ES3_mN6thrust23THRUST_200600_302600_NS6detail15normal_iteratorINSA_10device_ptrIyEEEEPS6_SG_NS0_5tupleIJSF_S6_EEENSH_IJSG_SG_EEES6_PlJNSB_9not_fun_tI7is_trueIyEEEEEE10hipError_tPvRmT3_T4_T5_T6_T7_T9_mT8_P12ihipStream_tbDpT10_ENKUlT_T0_E_clISt17integral_constantIbLb0EES18_EEDaS13_S14_EUlS13_E_NS1_11comp_targetILNS1_3genE3ELNS1_11target_archE908ELNS1_3gpuE7ELNS1_3repE0EEENS1_30default_config_static_selectorELNS0_4arch9wavefront6targetE0EEEvT1_
    .private_segment_fixed_size: 0
    .sgpr_count:     0
    .sgpr_spill_count: 0
    .symbol:         _ZN7rocprim17ROCPRIM_400000_NS6detail17trampoline_kernelINS0_14default_configENS1_25partition_config_selectorILNS1_17partition_subalgoE6EyNS0_10empty_typeEbEEZZNS1_14partition_implILS5_6ELb0ES3_mN6thrust23THRUST_200600_302600_NS6detail15normal_iteratorINSA_10device_ptrIyEEEEPS6_SG_NS0_5tupleIJSF_S6_EEENSH_IJSG_SG_EEES6_PlJNSB_9not_fun_tI7is_trueIyEEEEEE10hipError_tPvRmT3_T4_T5_T6_T7_T9_mT8_P12ihipStream_tbDpT10_ENKUlT_T0_E_clISt17integral_constantIbLb0EES18_EEDaS13_S14_EUlS13_E_NS1_11comp_targetILNS1_3genE3ELNS1_11target_archE908ELNS1_3gpuE7ELNS1_3repE0EEENS1_30default_config_static_selectorELNS0_4arch9wavefront6targetE0EEEvT1_.kd
    .uniform_work_group_size: 1
    .uses_dynamic_stack: false
    .vgpr_count:     0
    .vgpr_spill_count: 0
    .wavefront_size: 32
    .workgroup_processor_mode: 1
  - .args:
      - .offset:         0
        .size:           112
        .value_kind:     by_value
    .group_segment_fixed_size: 0
    .kernarg_segment_align: 8
    .kernarg_segment_size: 112
    .language:       OpenCL C
    .language_version:
      - 2
      - 0
    .max_flat_workgroup_size: 256
    .name:           _ZN7rocprim17ROCPRIM_400000_NS6detail17trampoline_kernelINS0_14default_configENS1_25partition_config_selectorILNS1_17partition_subalgoE6EyNS0_10empty_typeEbEEZZNS1_14partition_implILS5_6ELb0ES3_mN6thrust23THRUST_200600_302600_NS6detail15normal_iteratorINSA_10device_ptrIyEEEEPS6_SG_NS0_5tupleIJSF_S6_EEENSH_IJSG_SG_EEES6_PlJNSB_9not_fun_tI7is_trueIyEEEEEE10hipError_tPvRmT3_T4_T5_T6_T7_T9_mT8_P12ihipStream_tbDpT10_ENKUlT_T0_E_clISt17integral_constantIbLb0EES18_EEDaS13_S14_EUlS13_E_NS1_11comp_targetILNS1_3genE2ELNS1_11target_archE906ELNS1_3gpuE6ELNS1_3repE0EEENS1_30default_config_static_selectorELNS0_4arch9wavefront6targetE0EEEvT1_
    .private_segment_fixed_size: 0
    .sgpr_count:     0
    .sgpr_spill_count: 0
    .symbol:         _ZN7rocprim17ROCPRIM_400000_NS6detail17trampoline_kernelINS0_14default_configENS1_25partition_config_selectorILNS1_17partition_subalgoE6EyNS0_10empty_typeEbEEZZNS1_14partition_implILS5_6ELb0ES3_mN6thrust23THRUST_200600_302600_NS6detail15normal_iteratorINSA_10device_ptrIyEEEEPS6_SG_NS0_5tupleIJSF_S6_EEENSH_IJSG_SG_EEES6_PlJNSB_9not_fun_tI7is_trueIyEEEEEE10hipError_tPvRmT3_T4_T5_T6_T7_T9_mT8_P12ihipStream_tbDpT10_ENKUlT_T0_E_clISt17integral_constantIbLb0EES18_EEDaS13_S14_EUlS13_E_NS1_11comp_targetILNS1_3genE2ELNS1_11target_archE906ELNS1_3gpuE6ELNS1_3repE0EEENS1_30default_config_static_selectorELNS0_4arch9wavefront6targetE0EEEvT1_.kd
    .uniform_work_group_size: 1
    .uses_dynamic_stack: false
    .vgpr_count:     0
    .vgpr_spill_count: 0
    .wavefront_size: 32
    .workgroup_processor_mode: 1
  - .args:
      - .offset:         0
        .size:           112
        .value_kind:     by_value
    .group_segment_fixed_size: 8464
    .kernarg_segment_align: 8
    .kernarg_segment_size: 112
    .language:       OpenCL C
    .language_version:
      - 2
      - 0
    .max_flat_workgroup_size: 256
    .name:           _ZN7rocprim17ROCPRIM_400000_NS6detail17trampoline_kernelINS0_14default_configENS1_25partition_config_selectorILNS1_17partition_subalgoE6EyNS0_10empty_typeEbEEZZNS1_14partition_implILS5_6ELb0ES3_mN6thrust23THRUST_200600_302600_NS6detail15normal_iteratorINSA_10device_ptrIyEEEEPS6_SG_NS0_5tupleIJSF_S6_EEENSH_IJSG_SG_EEES6_PlJNSB_9not_fun_tI7is_trueIyEEEEEE10hipError_tPvRmT3_T4_T5_T6_T7_T9_mT8_P12ihipStream_tbDpT10_ENKUlT_T0_E_clISt17integral_constantIbLb0EES18_EEDaS13_S14_EUlS13_E_NS1_11comp_targetILNS1_3genE10ELNS1_11target_archE1200ELNS1_3gpuE4ELNS1_3repE0EEENS1_30default_config_static_selectorELNS0_4arch9wavefront6targetE0EEEvT1_
    .private_segment_fixed_size: 0
    .sgpr_count:     24
    .sgpr_spill_count: 0
    .symbol:         _ZN7rocprim17ROCPRIM_400000_NS6detail17trampoline_kernelINS0_14default_configENS1_25partition_config_selectorILNS1_17partition_subalgoE6EyNS0_10empty_typeEbEEZZNS1_14partition_implILS5_6ELb0ES3_mN6thrust23THRUST_200600_302600_NS6detail15normal_iteratorINSA_10device_ptrIyEEEEPS6_SG_NS0_5tupleIJSF_S6_EEENSH_IJSG_SG_EEES6_PlJNSB_9not_fun_tI7is_trueIyEEEEEE10hipError_tPvRmT3_T4_T5_T6_T7_T9_mT8_P12ihipStream_tbDpT10_ENKUlT_T0_E_clISt17integral_constantIbLb0EES18_EEDaS13_S14_EUlS13_E_NS1_11comp_targetILNS1_3genE10ELNS1_11target_archE1200ELNS1_3gpuE4ELNS1_3repE0EEENS1_30default_config_static_selectorELNS0_4arch9wavefront6targetE0EEEvT1_.kd
    .uniform_work_group_size: 1
    .uses_dynamic_stack: false
    .vgpr_count:     46
    .vgpr_spill_count: 0
    .wavefront_size: 32
    .workgroup_processor_mode: 1
  - .args:
      - .offset:         0
        .size:           112
        .value_kind:     by_value
    .group_segment_fixed_size: 0
    .kernarg_segment_align: 8
    .kernarg_segment_size: 112
    .language:       OpenCL C
    .language_version:
      - 2
      - 0
    .max_flat_workgroup_size: 384
    .name:           _ZN7rocprim17ROCPRIM_400000_NS6detail17trampoline_kernelINS0_14default_configENS1_25partition_config_selectorILNS1_17partition_subalgoE6EyNS0_10empty_typeEbEEZZNS1_14partition_implILS5_6ELb0ES3_mN6thrust23THRUST_200600_302600_NS6detail15normal_iteratorINSA_10device_ptrIyEEEEPS6_SG_NS0_5tupleIJSF_S6_EEENSH_IJSG_SG_EEES6_PlJNSB_9not_fun_tI7is_trueIyEEEEEE10hipError_tPvRmT3_T4_T5_T6_T7_T9_mT8_P12ihipStream_tbDpT10_ENKUlT_T0_E_clISt17integral_constantIbLb0EES18_EEDaS13_S14_EUlS13_E_NS1_11comp_targetILNS1_3genE9ELNS1_11target_archE1100ELNS1_3gpuE3ELNS1_3repE0EEENS1_30default_config_static_selectorELNS0_4arch9wavefront6targetE0EEEvT1_
    .private_segment_fixed_size: 0
    .sgpr_count:     0
    .sgpr_spill_count: 0
    .symbol:         _ZN7rocprim17ROCPRIM_400000_NS6detail17trampoline_kernelINS0_14default_configENS1_25partition_config_selectorILNS1_17partition_subalgoE6EyNS0_10empty_typeEbEEZZNS1_14partition_implILS5_6ELb0ES3_mN6thrust23THRUST_200600_302600_NS6detail15normal_iteratorINSA_10device_ptrIyEEEEPS6_SG_NS0_5tupleIJSF_S6_EEENSH_IJSG_SG_EEES6_PlJNSB_9not_fun_tI7is_trueIyEEEEEE10hipError_tPvRmT3_T4_T5_T6_T7_T9_mT8_P12ihipStream_tbDpT10_ENKUlT_T0_E_clISt17integral_constantIbLb0EES18_EEDaS13_S14_EUlS13_E_NS1_11comp_targetILNS1_3genE9ELNS1_11target_archE1100ELNS1_3gpuE3ELNS1_3repE0EEENS1_30default_config_static_selectorELNS0_4arch9wavefront6targetE0EEEvT1_.kd
    .uniform_work_group_size: 1
    .uses_dynamic_stack: false
    .vgpr_count:     0
    .vgpr_spill_count: 0
    .wavefront_size: 32
    .workgroup_processor_mode: 1
  - .args:
      - .offset:         0
        .size:           112
        .value_kind:     by_value
    .group_segment_fixed_size: 0
    .kernarg_segment_align: 8
    .kernarg_segment_size: 112
    .language:       OpenCL C
    .language_version:
      - 2
      - 0
    .max_flat_workgroup_size: 512
    .name:           _ZN7rocprim17ROCPRIM_400000_NS6detail17trampoline_kernelINS0_14default_configENS1_25partition_config_selectorILNS1_17partition_subalgoE6EyNS0_10empty_typeEbEEZZNS1_14partition_implILS5_6ELb0ES3_mN6thrust23THRUST_200600_302600_NS6detail15normal_iteratorINSA_10device_ptrIyEEEEPS6_SG_NS0_5tupleIJSF_S6_EEENSH_IJSG_SG_EEES6_PlJNSB_9not_fun_tI7is_trueIyEEEEEE10hipError_tPvRmT3_T4_T5_T6_T7_T9_mT8_P12ihipStream_tbDpT10_ENKUlT_T0_E_clISt17integral_constantIbLb0EES18_EEDaS13_S14_EUlS13_E_NS1_11comp_targetILNS1_3genE8ELNS1_11target_archE1030ELNS1_3gpuE2ELNS1_3repE0EEENS1_30default_config_static_selectorELNS0_4arch9wavefront6targetE0EEEvT1_
    .private_segment_fixed_size: 0
    .sgpr_count:     0
    .sgpr_spill_count: 0
    .symbol:         _ZN7rocprim17ROCPRIM_400000_NS6detail17trampoline_kernelINS0_14default_configENS1_25partition_config_selectorILNS1_17partition_subalgoE6EyNS0_10empty_typeEbEEZZNS1_14partition_implILS5_6ELb0ES3_mN6thrust23THRUST_200600_302600_NS6detail15normal_iteratorINSA_10device_ptrIyEEEEPS6_SG_NS0_5tupleIJSF_S6_EEENSH_IJSG_SG_EEES6_PlJNSB_9not_fun_tI7is_trueIyEEEEEE10hipError_tPvRmT3_T4_T5_T6_T7_T9_mT8_P12ihipStream_tbDpT10_ENKUlT_T0_E_clISt17integral_constantIbLb0EES18_EEDaS13_S14_EUlS13_E_NS1_11comp_targetILNS1_3genE8ELNS1_11target_archE1030ELNS1_3gpuE2ELNS1_3repE0EEENS1_30default_config_static_selectorELNS0_4arch9wavefront6targetE0EEEvT1_.kd
    .uniform_work_group_size: 1
    .uses_dynamic_stack: false
    .vgpr_count:     0
    .vgpr_spill_count: 0
    .wavefront_size: 32
    .workgroup_processor_mode: 1
  - .args:
      - .offset:         0
        .size:           128
        .value_kind:     by_value
    .group_segment_fixed_size: 0
    .kernarg_segment_align: 8
    .kernarg_segment_size: 128
    .language:       OpenCL C
    .language_version:
      - 2
      - 0
    .max_flat_workgroup_size: 128
    .name:           _ZN7rocprim17ROCPRIM_400000_NS6detail17trampoline_kernelINS0_14default_configENS1_25partition_config_selectorILNS1_17partition_subalgoE6EyNS0_10empty_typeEbEEZZNS1_14partition_implILS5_6ELb0ES3_mN6thrust23THRUST_200600_302600_NS6detail15normal_iteratorINSA_10device_ptrIyEEEEPS6_SG_NS0_5tupleIJSF_S6_EEENSH_IJSG_SG_EEES6_PlJNSB_9not_fun_tI7is_trueIyEEEEEE10hipError_tPvRmT3_T4_T5_T6_T7_T9_mT8_P12ihipStream_tbDpT10_ENKUlT_T0_E_clISt17integral_constantIbLb1EES18_EEDaS13_S14_EUlS13_E_NS1_11comp_targetILNS1_3genE0ELNS1_11target_archE4294967295ELNS1_3gpuE0ELNS1_3repE0EEENS1_30default_config_static_selectorELNS0_4arch9wavefront6targetE0EEEvT1_
    .private_segment_fixed_size: 0
    .sgpr_count:     0
    .sgpr_spill_count: 0
    .symbol:         _ZN7rocprim17ROCPRIM_400000_NS6detail17trampoline_kernelINS0_14default_configENS1_25partition_config_selectorILNS1_17partition_subalgoE6EyNS0_10empty_typeEbEEZZNS1_14partition_implILS5_6ELb0ES3_mN6thrust23THRUST_200600_302600_NS6detail15normal_iteratorINSA_10device_ptrIyEEEEPS6_SG_NS0_5tupleIJSF_S6_EEENSH_IJSG_SG_EEES6_PlJNSB_9not_fun_tI7is_trueIyEEEEEE10hipError_tPvRmT3_T4_T5_T6_T7_T9_mT8_P12ihipStream_tbDpT10_ENKUlT_T0_E_clISt17integral_constantIbLb1EES18_EEDaS13_S14_EUlS13_E_NS1_11comp_targetILNS1_3genE0ELNS1_11target_archE4294967295ELNS1_3gpuE0ELNS1_3repE0EEENS1_30default_config_static_selectorELNS0_4arch9wavefront6targetE0EEEvT1_.kd
    .uniform_work_group_size: 1
    .uses_dynamic_stack: false
    .vgpr_count:     0
    .vgpr_spill_count: 0
    .wavefront_size: 32
    .workgroup_processor_mode: 1
  - .args:
      - .offset:         0
        .size:           128
        .value_kind:     by_value
    .group_segment_fixed_size: 0
    .kernarg_segment_align: 8
    .kernarg_segment_size: 128
    .language:       OpenCL C
    .language_version:
      - 2
      - 0
    .max_flat_workgroup_size: 512
    .name:           _ZN7rocprim17ROCPRIM_400000_NS6detail17trampoline_kernelINS0_14default_configENS1_25partition_config_selectorILNS1_17partition_subalgoE6EyNS0_10empty_typeEbEEZZNS1_14partition_implILS5_6ELb0ES3_mN6thrust23THRUST_200600_302600_NS6detail15normal_iteratorINSA_10device_ptrIyEEEEPS6_SG_NS0_5tupleIJSF_S6_EEENSH_IJSG_SG_EEES6_PlJNSB_9not_fun_tI7is_trueIyEEEEEE10hipError_tPvRmT3_T4_T5_T6_T7_T9_mT8_P12ihipStream_tbDpT10_ENKUlT_T0_E_clISt17integral_constantIbLb1EES18_EEDaS13_S14_EUlS13_E_NS1_11comp_targetILNS1_3genE5ELNS1_11target_archE942ELNS1_3gpuE9ELNS1_3repE0EEENS1_30default_config_static_selectorELNS0_4arch9wavefront6targetE0EEEvT1_
    .private_segment_fixed_size: 0
    .sgpr_count:     0
    .sgpr_spill_count: 0
    .symbol:         _ZN7rocprim17ROCPRIM_400000_NS6detail17trampoline_kernelINS0_14default_configENS1_25partition_config_selectorILNS1_17partition_subalgoE6EyNS0_10empty_typeEbEEZZNS1_14partition_implILS5_6ELb0ES3_mN6thrust23THRUST_200600_302600_NS6detail15normal_iteratorINSA_10device_ptrIyEEEEPS6_SG_NS0_5tupleIJSF_S6_EEENSH_IJSG_SG_EEES6_PlJNSB_9not_fun_tI7is_trueIyEEEEEE10hipError_tPvRmT3_T4_T5_T6_T7_T9_mT8_P12ihipStream_tbDpT10_ENKUlT_T0_E_clISt17integral_constantIbLb1EES18_EEDaS13_S14_EUlS13_E_NS1_11comp_targetILNS1_3genE5ELNS1_11target_archE942ELNS1_3gpuE9ELNS1_3repE0EEENS1_30default_config_static_selectorELNS0_4arch9wavefront6targetE0EEEvT1_.kd
    .uniform_work_group_size: 1
    .uses_dynamic_stack: false
    .vgpr_count:     0
    .vgpr_spill_count: 0
    .wavefront_size: 32
    .workgroup_processor_mode: 1
  - .args:
      - .offset:         0
        .size:           128
        .value_kind:     by_value
    .group_segment_fixed_size: 0
    .kernarg_segment_align: 8
    .kernarg_segment_size: 128
    .language:       OpenCL C
    .language_version:
      - 2
      - 0
    .max_flat_workgroup_size: 512
    .name:           _ZN7rocprim17ROCPRIM_400000_NS6detail17trampoline_kernelINS0_14default_configENS1_25partition_config_selectorILNS1_17partition_subalgoE6EyNS0_10empty_typeEbEEZZNS1_14partition_implILS5_6ELb0ES3_mN6thrust23THRUST_200600_302600_NS6detail15normal_iteratorINSA_10device_ptrIyEEEEPS6_SG_NS0_5tupleIJSF_S6_EEENSH_IJSG_SG_EEES6_PlJNSB_9not_fun_tI7is_trueIyEEEEEE10hipError_tPvRmT3_T4_T5_T6_T7_T9_mT8_P12ihipStream_tbDpT10_ENKUlT_T0_E_clISt17integral_constantIbLb1EES18_EEDaS13_S14_EUlS13_E_NS1_11comp_targetILNS1_3genE4ELNS1_11target_archE910ELNS1_3gpuE8ELNS1_3repE0EEENS1_30default_config_static_selectorELNS0_4arch9wavefront6targetE0EEEvT1_
    .private_segment_fixed_size: 0
    .sgpr_count:     0
    .sgpr_spill_count: 0
    .symbol:         _ZN7rocprim17ROCPRIM_400000_NS6detail17trampoline_kernelINS0_14default_configENS1_25partition_config_selectorILNS1_17partition_subalgoE6EyNS0_10empty_typeEbEEZZNS1_14partition_implILS5_6ELb0ES3_mN6thrust23THRUST_200600_302600_NS6detail15normal_iteratorINSA_10device_ptrIyEEEEPS6_SG_NS0_5tupleIJSF_S6_EEENSH_IJSG_SG_EEES6_PlJNSB_9not_fun_tI7is_trueIyEEEEEE10hipError_tPvRmT3_T4_T5_T6_T7_T9_mT8_P12ihipStream_tbDpT10_ENKUlT_T0_E_clISt17integral_constantIbLb1EES18_EEDaS13_S14_EUlS13_E_NS1_11comp_targetILNS1_3genE4ELNS1_11target_archE910ELNS1_3gpuE8ELNS1_3repE0EEENS1_30default_config_static_selectorELNS0_4arch9wavefront6targetE0EEEvT1_.kd
    .uniform_work_group_size: 1
    .uses_dynamic_stack: false
    .vgpr_count:     0
    .vgpr_spill_count: 0
    .wavefront_size: 32
    .workgroup_processor_mode: 1
  - .args:
      - .offset:         0
        .size:           128
        .value_kind:     by_value
    .group_segment_fixed_size: 0
    .kernarg_segment_align: 8
    .kernarg_segment_size: 128
    .language:       OpenCL C
    .language_version:
      - 2
      - 0
    .max_flat_workgroup_size: 128
    .name:           _ZN7rocprim17ROCPRIM_400000_NS6detail17trampoline_kernelINS0_14default_configENS1_25partition_config_selectorILNS1_17partition_subalgoE6EyNS0_10empty_typeEbEEZZNS1_14partition_implILS5_6ELb0ES3_mN6thrust23THRUST_200600_302600_NS6detail15normal_iteratorINSA_10device_ptrIyEEEEPS6_SG_NS0_5tupleIJSF_S6_EEENSH_IJSG_SG_EEES6_PlJNSB_9not_fun_tI7is_trueIyEEEEEE10hipError_tPvRmT3_T4_T5_T6_T7_T9_mT8_P12ihipStream_tbDpT10_ENKUlT_T0_E_clISt17integral_constantIbLb1EES18_EEDaS13_S14_EUlS13_E_NS1_11comp_targetILNS1_3genE3ELNS1_11target_archE908ELNS1_3gpuE7ELNS1_3repE0EEENS1_30default_config_static_selectorELNS0_4arch9wavefront6targetE0EEEvT1_
    .private_segment_fixed_size: 0
    .sgpr_count:     0
    .sgpr_spill_count: 0
    .symbol:         _ZN7rocprim17ROCPRIM_400000_NS6detail17trampoline_kernelINS0_14default_configENS1_25partition_config_selectorILNS1_17partition_subalgoE6EyNS0_10empty_typeEbEEZZNS1_14partition_implILS5_6ELb0ES3_mN6thrust23THRUST_200600_302600_NS6detail15normal_iteratorINSA_10device_ptrIyEEEEPS6_SG_NS0_5tupleIJSF_S6_EEENSH_IJSG_SG_EEES6_PlJNSB_9not_fun_tI7is_trueIyEEEEEE10hipError_tPvRmT3_T4_T5_T6_T7_T9_mT8_P12ihipStream_tbDpT10_ENKUlT_T0_E_clISt17integral_constantIbLb1EES18_EEDaS13_S14_EUlS13_E_NS1_11comp_targetILNS1_3genE3ELNS1_11target_archE908ELNS1_3gpuE7ELNS1_3repE0EEENS1_30default_config_static_selectorELNS0_4arch9wavefront6targetE0EEEvT1_.kd
    .uniform_work_group_size: 1
    .uses_dynamic_stack: false
    .vgpr_count:     0
    .vgpr_spill_count: 0
    .wavefront_size: 32
    .workgroup_processor_mode: 1
  - .args:
      - .offset:         0
        .size:           128
        .value_kind:     by_value
    .group_segment_fixed_size: 0
    .kernarg_segment_align: 8
    .kernarg_segment_size: 128
    .language:       OpenCL C
    .language_version:
      - 2
      - 0
    .max_flat_workgroup_size: 256
    .name:           _ZN7rocprim17ROCPRIM_400000_NS6detail17trampoline_kernelINS0_14default_configENS1_25partition_config_selectorILNS1_17partition_subalgoE6EyNS0_10empty_typeEbEEZZNS1_14partition_implILS5_6ELb0ES3_mN6thrust23THRUST_200600_302600_NS6detail15normal_iteratorINSA_10device_ptrIyEEEEPS6_SG_NS0_5tupleIJSF_S6_EEENSH_IJSG_SG_EEES6_PlJNSB_9not_fun_tI7is_trueIyEEEEEE10hipError_tPvRmT3_T4_T5_T6_T7_T9_mT8_P12ihipStream_tbDpT10_ENKUlT_T0_E_clISt17integral_constantIbLb1EES18_EEDaS13_S14_EUlS13_E_NS1_11comp_targetILNS1_3genE2ELNS1_11target_archE906ELNS1_3gpuE6ELNS1_3repE0EEENS1_30default_config_static_selectorELNS0_4arch9wavefront6targetE0EEEvT1_
    .private_segment_fixed_size: 0
    .sgpr_count:     0
    .sgpr_spill_count: 0
    .symbol:         _ZN7rocprim17ROCPRIM_400000_NS6detail17trampoline_kernelINS0_14default_configENS1_25partition_config_selectorILNS1_17partition_subalgoE6EyNS0_10empty_typeEbEEZZNS1_14partition_implILS5_6ELb0ES3_mN6thrust23THRUST_200600_302600_NS6detail15normal_iteratorINSA_10device_ptrIyEEEEPS6_SG_NS0_5tupleIJSF_S6_EEENSH_IJSG_SG_EEES6_PlJNSB_9not_fun_tI7is_trueIyEEEEEE10hipError_tPvRmT3_T4_T5_T6_T7_T9_mT8_P12ihipStream_tbDpT10_ENKUlT_T0_E_clISt17integral_constantIbLb1EES18_EEDaS13_S14_EUlS13_E_NS1_11comp_targetILNS1_3genE2ELNS1_11target_archE906ELNS1_3gpuE6ELNS1_3repE0EEENS1_30default_config_static_selectorELNS0_4arch9wavefront6targetE0EEEvT1_.kd
    .uniform_work_group_size: 1
    .uses_dynamic_stack: false
    .vgpr_count:     0
    .vgpr_spill_count: 0
    .wavefront_size: 32
    .workgroup_processor_mode: 1
  - .args:
      - .offset:         0
        .size:           128
        .value_kind:     by_value
    .group_segment_fixed_size: 0
    .kernarg_segment_align: 8
    .kernarg_segment_size: 128
    .language:       OpenCL C
    .language_version:
      - 2
      - 0
    .max_flat_workgroup_size: 256
    .name:           _ZN7rocprim17ROCPRIM_400000_NS6detail17trampoline_kernelINS0_14default_configENS1_25partition_config_selectorILNS1_17partition_subalgoE6EyNS0_10empty_typeEbEEZZNS1_14partition_implILS5_6ELb0ES3_mN6thrust23THRUST_200600_302600_NS6detail15normal_iteratorINSA_10device_ptrIyEEEEPS6_SG_NS0_5tupleIJSF_S6_EEENSH_IJSG_SG_EEES6_PlJNSB_9not_fun_tI7is_trueIyEEEEEE10hipError_tPvRmT3_T4_T5_T6_T7_T9_mT8_P12ihipStream_tbDpT10_ENKUlT_T0_E_clISt17integral_constantIbLb1EES18_EEDaS13_S14_EUlS13_E_NS1_11comp_targetILNS1_3genE10ELNS1_11target_archE1200ELNS1_3gpuE4ELNS1_3repE0EEENS1_30default_config_static_selectorELNS0_4arch9wavefront6targetE0EEEvT1_
    .private_segment_fixed_size: 0
    .sgpr_count:     0
    .sgpr_spill_count: 0
    .symbol:         _ZN7rocprim17ROCPRIM_400000_NS6detail17trampoline_kernelINS0_14default_configENS1_25partition_config_selectorILNS1_17partition_subalgoE6EyNS0_10empty_typeEbEEZZNS1_14partition_implILS5_6ELb0ES3_mN6thrust23THRUST_200600_302600_NS6detail15normal_iteratorINSA_10device_ptrIyEEEEPS6_SG_NS0_5tupleIJSF_S6_EEENSH_IJSG_SG_EEES6_PlJNSB_9not_fun_tI7is_trueIyEEEEEE10hipError_tPvRmT3_T4_T5_T6_T7_T9_mT8_P12ihipStream_tbDpT10_ENKUlT_T0_E_clISt17integral_constantIbLb1EES18_EEDaS13_S14_EUlS13_E_NS1_11comp_targetILNS1_3genE10ELNS1_11target_archE1200ELNS1_3gpuE4ELNS1_3repE0EEENS1_30default_config_static_selectorELNS0_4arch9wavefront6targetE0EEEvT1_.kd
    .uniform_work_group_size: 1
    .uses_dynamic_stack: false
    .vgpr_count:     0
    .vgpr_spill_count: 0
    .wavefront_size: 32
    .workgroup_processor_mode: 1
  - .args:
      - .offset:         0
        .size:           128
        .value_kind:     by_value
    .group_segment_fixed_size: 0
    .kernarg_segment_align: 8
    .kernarg_segment_size: 128
    .language:       OpenCL C
    .language_version:
      - 2
      - 0
    .max_flat_workgroup_size: 384
    .name:           _ZN7rocprim17ROCPRIM_400000_NS6detail17trampoline_kernelINS0_14default_configENS1_25partition_config_selectorILNS1_17partition_subalgoE6EyNS0_10empty_typeEbEEZZNS1_14partition_implILS5_6ELb0ES3_mN6thrust23THRUST_200600_302600_NS6detail15normal_iteratorINSA_10device_ptrIyEEEEPS6_SG_NS0_5tupleIJSF_S6_EEENSH_IJSG_SG_EEES6_PlJNSB_9not_fun_tI7is_trueIyEEEEEE10hipError_tPvRmT3_T4_T5_T6_T7_T9_mT8_P12ihipStream_tbDpT10_ENKUlT_T0_E_clISt17integral_constantIbLb1EES18_EEDaS13_S14_EUlS13_E_NS1_11comp_targetILNS1_3genE9ELNS1_11target_archE1100ELNS1_3gpuE3ELNS1_3repE0EEENS1_30default_config_static_selectorELNS0_4arch9wavefront6targetE0EEEvT1_
    .private_segment_fixed_size: 0
    .sgpr_count:     0
    .sgpr_spill_count: 0
    .symbol:         _ZN7rocprim17ROCPRIM_400000_NS6detail17trampoline_kernelINS0_14default_configENS1_25partition_config_selectorILNS1_17partition_subalgoE6EyNS0_10empty_typeEbEEZZNS1_14partition_implILS5_6ELb0ES3_mN6thrust23THRUST_200600_302600_NS6detail15normal_iteratorINSA_10device_ptrIyEEEEPS6_SG_NS0_5tupleIJSF_S6_EEENSH_IJSG_SG_EEES6_PlJNSB_9not_fun_tI7is_trueIyEEEEEE10hipError_tPvRmT3_T4_T5_T6_T7_T9_mT8_P12ihipStream_tbDpT10_ENKUlT_T0_E_clISt17integral_constantIbLb1EES18_EEDaS13_S14_EUlS13_E_NS1_11comp_targetILNS1_3genE9ELNS1_11target_archE1100ELNS1_3gpuE3ELNS1_3repE0EEENS1_30default_config_static_selectorELNS0_4arch9wavefront6targetE0EEEvT1_.kd
    .uniform_work_group_size: 1
    .uses_dynamic_stack: false
    .vgpr_count:     0
    .vgpr_spill_count: 0
    .wavefront_size: 32
    .workgroup_processor_mode: 1
  - .args:
      - .offset:         0
        .size:           128
        .value_kind:     by_value
    .group_segment_fixed_size: 0
    .kernarg_segment_align: 8
    .kernarg_segment_size: 128
    .language:       OpenCL C
    .language_version:
      - 2
      - 0
    .max_flat_workgroup_size: 512
    .name:           _ZN7rocprim17ROCPRIM_400000_NS6detail17trampoline_kernelINS0_14default_configENS1_25partition_config_selectorILNS1_17partition_subalgoE6EyNS0_10empty_typeEbEEZZNS1_14partition_implILS5_6ELb0ES3_mN6thrust23THRUST_200600_302600_NS6detail15normal_iteratorINSA_10device_ptrIyEEEEPS6_SG_NS0_5tupleIJSF_S6_EEENSH_IJSG_SG_EEES6_PlJNSB_9not_fun_tI7is_trueIyEEEEEE10hipError_tPvRmT3_T4_T5_T6_T7_T9_mT8_P12ihipStream_tbDpT10_ENKUlT_T0_E_clISt17integral_constantIbLb1EES18_EEDaS13_S14_EUlS13_E_NS1_11comp_targetILNS1_3genE8ELNS1_11target_archE1030ELNS1_3gpuE2ELNS1_3repE0EEENS1_30default_config_static_selectorELNS0_4arch9wavefront6targetE0EEEvT1_
    .private_segment_fixed_size: 0
    .sgpr_count:     0
    .sgpr_spill_count: 0
    .symbol:         _ZN7rocprim17ROCPRIM_400000_NS6detail17trampoline_kernelINS0_14default_configENS1_25partition_config_selectorILNS1_17partition_subalgoE6EyNS0_10empty_typeEbEEZZNS1_14partition_implILS5_6ELb0ES3_mN6thrust23THRUST_200600_302600_NS6detail15normal_iteratorINSA_10device_ptrIyEEEEPS6_SG_NS0_5tupleIJSF_S6_EEENSH_IJSG_SG_EEES6_PlJNSB_9not_fun_tI7is_trueIyEEEEEE10hipError_tPvRmT3_T4_T5_T6_T7_T9_mT8_P12ihipStream_tbDpT10_ENKUlT_T0_E_clISt17integral_constantIbLb1EES18_EEDaS13_S14_EUlS13_E_NS1_11comp_targetILNS1_3genE8ELNS1_11target_archE1030ELNS1_3gpuE2ELNS1_3repE0EEENS1_30default_config_static_selectorELNS0_4arch9wavefront6targetE0EEEvT1_.kd
    .uniform_work_group_size: 1
    .uses_dynamic_stack: false
    .vgpr_count:     0
    .vgpr_spill_count: 0
    .wavefront_size: 32
    .workgroup_processor_mode: 1
  - .args:
      - .offset:         0
        .size:           112
        .value_kind:     by_value
    .group_segment_fixed_size: 0
    .kernarg_segment_align: 8
    .kernarg_segment_size: 112
    .language:       OpenCL C
    .language_version:
      - 2
      - 0
    .max_flat_workgroup_size: 128
    .name:           _ZN7rocprim17ROCPRIM_400000_NS6detail17trampoline_kernelINS0_14default_configENS1_25partition_config_selectorILNS1_17partition_subalgoE6EyNS0_10empty_typeEbEEZZNS1_14partition_implILS5_6ELb0ES3_mN6thrust23THRUST_200600_302600_NS6detail15normal_iteratorINSA_10device_ptrIyEEEEPS6_SG_NS0_5tupleIJSF_S6_EEENSH_IJSG_SG_EEES6_PlJNSB_9not_fun_tI7is_trueIyEEEEEE10hipError_tPvRmT3_T4_T5_T6_T7_T9_mT8_P12ihipStream_tbDpT10_ENKUlT_T0_E_clISt17integral_constantIbLb1EES17_IbLb0EEEEDaS13_S14_EUlS13_E_NS1_11comp_targetILNS1_3genE0ELNS1_11target_archE4294967295ELNS1_3gpuE0ELNS1_3repE0EEENS1_30default_config_static_selectorELNS0_4arch9wavefront6targetE0EEEvT1_
    .private_segment_fixed_size: 0
    .sgpr_count:     0
    .sgpr_spill_count: 0
    .symbol:         _ZN7rocprim17ROCPRIM_400000_NS6detail17trampoline_kernelINS0_14default_configENS1_25partition_config_selectorILNS1_17partition_subalgoE6EyNS0_10empty_typeEbEEZZNS1_14partition_implILS5_6ELb0ES3_mN6thrust23THRUST_200600_302600_NS6detail15normal_iteratorINSA_10device_ptrIyEEEEPS6_SG_NS0_5tupleIJSF_S6_EEENSH_IJSG_SG_EEES6_PlJNSB_9not_fun_tI7is_trueIyEEEEEE10hipError_tPvRmT3_T4_T5_T6_T7_T9_mT8_P12ihipStream_tbDpT10_ENKUlT_T0_E_clISt17integral_constantIbLb1EES17_IbLb0EEEEDaS13_S14_EUlS13_E_NS1_11comp_targetILNS1_3genE0ELNS1_11target_archE4294967295ELNS1_3gpuE0ELNS1_3repE0EEENS1_30default_config_static_selectorELNS0_4arch9wavefront6targetE0EEEvT1_.kd
    .uniform_work_group_size: 1
    .uses_dynamic_stack: false
    .vgpr_count:     0
    .vgpr_spill_count: 0
    .wavefront_size: 32
    .workgroup_processor_mode: 1
  - .args:
      - .offset:         0
        .size:           112
        .value_kind:     by_value
    .group_segment_fixed_size: 0
    .kernarg_segment_align: 8
    .kernarg_segment_size: 112
    .language:       OpenCL C
    .language_version:
      - 2
      - 0
    .max_flat_workgroup_size: 512
    .name:           _ZN7rocprim17ROCPRIM_400000_NS6detail17trampoline_kernelINS0_14default_configENS1_25partition_config_selectorILNS1_17partition_subalgoE6EyNS0_10empty_typeEbEEZZNS1_14partition_implILS5_6ELb0ES3_mN6thrust23THRUST_200600_302600_NS6detail15normal_iteratorINSA_10device_ptrIyEEEEPS6_SG_NS0_5tupleIJSF_S6_EEENSH_IJSG_SG_EEES6_PlJNSB_9not_fun_tI7is_trueIyEEEEEE10hipError_tPvRmT3_T4_T5_T6_T7_T9_mT8_P12ihipStream_tbDpT10_ENKUlT_T0_E_clISt17integral_constantIbLb1EES17_IbLb0EEEEDaS13_S14_EUlS13_E_NS1_11comp_targetILNS1_3genE5ELNS1_11target_archE942ELNS1_3gpuE9ELNS1_3repE0EEENS1_30default_config_static_selectorELNS0_4arch9wavefront6targetE0EEEvT1_
    .private_segment_fixed_size: 0
    .sgpr_count:     0
    .sgpr_spill_count: 0
    .symbol:         _ZN7rocprim17ROCPRIM_400000_NS6detail17trampoline_kernelINS0_14default_configENS1_25partition_config_selectorILNS1_17partition_subalgoE6EyNS0_10empty_typeEbEEZZNS1_14partition_implILS5_6ELb0ES3_mN6thrust23THRUST_200600_302600_NS6detail15normal_iteratorINSA_10device_ptrIyEEEEPS6_SG_NS0_5tupleIJSF_S6_EEENSH_IJSG_SG_EEES6_PlJNSB_9not_fun_tI7is_trueIyEEEEEE10hipError_tPvRmT3_T4_T5_T6_T7_T9_mT8_P12ihipStream_tbDpT10_ENKUlT_T0_E_clISt17integral_constantIbLb1EES17_IbLb0EEEEDaS13_S14_EUlS13_E_NS1_11comp_targetILNS1_3genE5ELNS1_11target_archE942ELNS1_3gpuE9ELNS1_3repE0EEENS1_30default_config_static_selectorELNS0_4arch9wavefront6targetE0EEEvT1_.kd
    .uniform_work_group_size: 1
    .uses_dynamic_stack: false
    .vgpr_count:     0
    .vgpr_spill_count: 0
    .wavefront_size: 32
    .workgroup_processor_mode: 1
  - .args:
      - .offset:         0
        .size:           112
        .value_kind:     by_value
    .group_segment_fixed_size: 0
    .kernarg_segment_align: 8
    .kernarg_segment_size: 112
    .language:       OpenCL C
    .language_version:
      - 2
      - 0
    .max_flat_workgroup_size: 512
    .name:           _ZN7rocprim17ROCPRIM_400000_NS6detail17trampoline_kernelINS0_14default_configENS1_25partition_config_selectorILNS1_17partition_subalgoE6EyNS0_10empty_typeEbEEZZNS1_14partition_implILS5_6ELb0ES3_mN6thrust23THRUST_200600_302600_NS6detail15normal_iteratorINSA_10device_ptrIyEEEEPS6_SG_NS0_5tupleIJSF_S6_EEENSH_IJSG_SG_EEES6_PlJNSB_9not_fun_tI7is_trueIyEEEEEE10hipError_tPvRmT3_T4_T5_T6_T7_T9_mT8_P12ihipStream_tbDpT10_ENKUlT_T0_E_clISt17integral_constantIbLb1EES17_IbLb0EEEEDaS13_S14_EUlS13_E_NS1_11comp_targetILNS1_3genE4ELNS1_11target_archE910ELNS1_3gpuE8ELNS1_3repE0EEENS1_30default_config_static_selectorELNS0_4arch9wavefront6targetE0EEEvT1_
    .private_segment_fixed_size: 0
    .sgpr_count:     0
    .sgpr_spill_count: 0
    .symbol:         _ZN7rocprim17ROCPRIM_400000_NS6detail17trampoline_kernelINS0_14default_configENS1_25partition_config_selectorILNS1_17partition_subalgoE6EyNS0_10empty_typeEbEEZZNS1_14partition_implILS5_6ELb0ES3_mN6thrust23THRUST_200600_302600_NS6detail15normal_iteratorINSA_10device_ptrIyEEEEPS6_SG_NS0_5tupleIJSF_S6_EEENSH_IJSG_SG_EEES6_PlJNSB_9not_fun_tI7is_trueIyEEEEEE10hipError_tPvRmT3_T4_T5_T6_T7_T9_mT8_P12ihipStream_tbDpT10_ENKUlT_T0_E_clISt17integral_constantIbLb1EES17_IbLb0EEEEDaS13_S14_EUlS13_E_NS1_11comp_targetILNS1_3genE4ELNS1_11target_archE910ELNS1_3gpuE8ELNS1_3repE0EEENS1_30default_config_static_selectorELNS0_4arch9wavefront6targetE0EEEvT1_.kd
    .uniform_work_group_size: 1
    .uses_dynamic_stack: false
    .vgpr_count:     0
    .vgpr_spill_count: 0
    .wavefront_size: 32
    .workgroup_processor_mode: 1
  - .args:
      - .offset:         0
        .size:           112
        .value_kind:     by_value
    .group_segment_fixed_size: 0
    .kernarg_segment_align: 8
    .kernarg_segment_size: 112
    .language:       OpenCL C
    .language_version:
      - 2
      - 0
    .max_flat_workgroup_size: 128
    .name:           _ZN7rocprim17ROCPRIM_400000_NS6detail17trampoline_kernelINS0_14default_configENS1_25partition_config_selectorILNS1_17partition_subalgoE6EyNS0_10empty_typeEbEEZZNS1_14partition_implILS5_6ELb0ES3_mN6thrust23THRUST_200600_302600_NS6detail15normal_iteratorINSA_10device_ptrIyEEEEPS6_SG_NS0_5tupleIJSF_S6_EEENSH_IJSG_SG_EEES6_PlJNSB_9not_fun_tI7is_trueIyEEEEEE10hipError_tPvRmT3_T4_T5_T6_T7_T9_mT8_P12ihipStream_tbDpT10_ENKUlT_T0_E_clISt17integral_constantIbLb1EES17_IbLb0EEEEDaS13_S14_EUlS13_E_NS1_11comp_targetILNS1_3genE3ELNS1_11target_archE908ELNS1_3gpuE7ELNS1_3repE0EEENS1_30default_config_static_selectorELNS0_4arch9wavefront6targetE0EEEvT1_
    .private_segment_fixed_size: 0
    .sgpr_count:     0
    .sgpr_spill_count: 0
    .symbol:         _ZN7rocprim17ROCPRIM_400000_NS6detail17trampoline_kernelINS0_14default_configENS1_25partition_config_selectorILNS1_17partition_subalgoE6EyNS0_10empty_typeEbEEZZNS1_14partition_implILS5_6ELb0ES3_mN6thrust23THRUST_200600_302600_NS6detail15normal_iteratorINSA_10device_ptrIyEEEEPS6_SG_NS0_5tupleIJSF_S6_EEENSH_IJSG_SG_EEES6_PlJNSB_9not_fun_tI7is_trueIyEEEEEE10hipError_tPvRmT3_T4_T5_T6_T7_T9_mT8_P12ihipStream_tbDpT10_ENKUlT_T0_E_clISt17integral_constantIbLb1EES17_IbLb0EEEEDaS13_S14_EUlS13_E_NS1_11comp_targetILNS1_3genE3ELNS1_11target_archE908ELNS1_3gpuE7ELNS1_3repE0EEENS1_30default_config_static_selectorELNS0_4arch9wavefront6targetE0EEEvT1_.kd
    .uniform_work_group_size: 1
    .uses_dynamic_stack: false
    .vgpr_count:     0
    .vgpr_spill_count: 0
    .wavefront_size: 32
    .workgroup_processor_mode: 1
  - .args:
      - .offset:         0
        .size:           112
        .value_kind:     by_value
    .group_segment_fixed_size: 0
    .kernarg_segment_align: 8
    .kernarg_segment_size: 112
    .language:       OpenCL C
    .language_version:
      - 2
      - 0
    .max_flat_workgroup_size: 256
    .name:           _ZN7rocprim17ROCPRIM_400000_NS6detail17trampoline_kernelINS0_14default_configENS1_25partition_config_selectorILNS1_17partition_subalgoE6EyNS0_10empty_typeEbEEZZNS1_14partition_implILS5_6ELb0ES3_mN6thrust23THRUST_200600_302600_NS6detail15normal_iteratorINSA_10device_ptrIyEEEEPS6_SG_NS0_5tupleIJSF_S6_EEENSH_IJSG_SG_EEES6_PlJNSB_9not_fun_tI7is_trueIyEEEEEE10hipError_tPvRmT3_T4_T5_T6_T7_T9_mT8_P12ihipStream_tbDpT10_ENKUlT_T0_E_clISt17integral_constantIbLb1EES17_IbLb0EEEEDaS13_S14_EUlS13_E_NS1_11comp_targetILNS1_3genE2ELNS1_11target_archE906ELNS1_3gpuE6ELNS1_3repE0EEENS1_30default_config_static_selectorELNS0_4arch9wavefront6targetE0EEEvT1_
    .private_segment_fixed_size: 0
    .sgpr_count:     0
    .sgpr_spill_count: 0
    .symbol:         _ZN7rocprim17ROCPRIM_400000_NS6detail17trampoline_kernelINS0_14default_configENS1_25partition_config_selectorILNS1_17partition_subalgoE6EyNS0_10empty_typeEbEEZZNS1_14partition_implILS5_6ELb0ES3_mN6thrust23THRUST_200600_302600_NS6detail15normal_iteratorINSA_10device_ptrIyEEEEPS6_SG_NS0_5tupleIJSF_S6_EEENSH_IJSG_SG_EEES6_PlJNSB_9not_fun_tI7is_trueIyEEEEEE10hipError_tPvRmT3_T4_T5_T6_T7_T9_mT8_P12ihipStream_tbDpT10_ENKUlT_T0_E_clISt17integral_constantIbLb1EES17_IbLb0EEEEDaS13_S14_EUlS13_E_NS1_11comp_targetILNS1_3genE2ELNS1_11target_archE906ELNS1_3gpuE6ELNS1_3repE0EEENS1_30default_config_static_selectorELNS0_4arch9wavefront6targetE0EEEvT1_.kd
    .uniform_work_group_size: 1
    .uses_dynamic_stack: false
    .vgpr_count:     0
    .vgpr_spill_count: 0
    .wavefront_size: 32
    .workgroup_processor_mode: 1
  - .args:
      - .offset:         0
        .size:           112
        .value_kind:     by_value
    .group_segment_fixed_size: 0
    .kernarg_segment_align: 8
    .kernarg_segment_size: 112
    .language:       OpenCL C
    .language_version:
      - 2
      - 0
    .max_flat_workgroup_size: 256
    .name:           _ZN7rocprim17ROCPRIM_400000_NS6detail17trampoline_kernelINS0_14default_configENS1_25partition_config_selectorILNS1_17partition_subalgoE6EyNS0_10empty_typeEbEEZZNS1_14partition_implILS5_6ELb0ES3_mN6thrust23THRUST_200600_302600_NS6detail15normal_iteratorINSA_10device_ptrIyEEEEPS6_SG_NS0_5tupleIJSF_S6_EEENSH_IJSG_SG_EEES6_PlJNSB_9not_fun_tI7is_trueIyEEEEEE10hipError_tPvRmT3_T4_T5_T6_T7_T9_mT8_P12ihipStream_tbDpT10_ENKUlT_T0_E_clISt17integral_constantIbLb1EES17_IbLb0EEEEDaS13_S14_EUlS13_E_NS1_11comp_targetILNS1_3genE10ELNS1_11target_archE1200ELNS1_3gpuE4ELNS1_3repE0EEENS1_30default_config_static_selectorELNS0_4arch9wavefront6targetE0EEEvT1_
    .private_segment_fixed_size: 0
    .sgpr_count:     0
    .sgpr_spill_count: 0
    .symbol:         _ZN7rocprim17ROCPRIM_400000_NS6detail17trampoline_kernelINS0_14default_configENS1_25partition_config_selectorILNS1_17partition_subalgoE6EyNS0_10empty_typeEbEEZZNS1_14partition_implILS5_6ELb0ES3_mN6thrust23THRUST_200600_302600_NS6detail15normal_iteratorINSA_10device_ptrIyEEEEPS6_SG_NS0_5tupleIJSF_S6_EEENSH_IJSG_SG_EEES6_PlJNSB_9not_fun_tI7is_trueIyEEEEEE10hipError_tPvRmT3_T4_T5_T6_T7_T9_mT8_P12ihipStream_tbDpT10_ENKUlT_T0_E_clISt17integral_constantIbLb1EES17_IbLb0EEEEDaS13_S14_EUlS13_E_NS1_11comp_targetILNS1_3genE10ELNS1_11target_archE1200ELNS1_3gpuE4ELNS1_3repE0EEENS1_30default_config_static_selectorELNS0_4arch9wavefront6targetE0EEEvT1_.kd
    .uniform_work_group_size: 1
    .uses_dynamic_stack: false
    .vgpr_count:     0
    .vgpr_spill_count: 0
    .wavefront_size: 32
    .workgroup_processor_mode: 1
  - .args:
      - .offset:         0
        .size:           112
        .value_kind:     by_value
    .group_segment_fixed_size: 0
    .kernarg_segment_align: 8
    .kernarg_segment_size: 112
    .language:       OpenCL C
    .language_version:
      - 2
      - 0
    .max_flat_workgroup_size: 384
    .name:           _ZN7rocprim17ROCPRIM_400000_NS6detail17trampoline_kernelINS0_14default_configENS1_25partition_config_selectorILNS1_17partition_subalgoE6EyNS0_10empty_typeEbEEZZNS1_14partition_implILS5_6ELb0ES3_mN6thrust23THRUST_200600_302600_NS6detail15normal_iteratorINSA_10device_ptrIyEEEEPS6_SG_NS0_5tupleIJSF_S6_EEENSH_IJSG_SG_EEES6_PlJNSB_9not_fun_tI7is_trueIyEEEEEE10hipError_tPvRmT3_T4_T5_T6_T7_T9_mT8_P12ihipStream_tbDpT10_ENKUlT_T0_E_clISt17integral_constantIbLb1EES17_IbLb0EEEEDaS13_S14_EUlS13_E_NS1_11comp_targetILNS1_3genE9ELNS1_11target_archE1100ELNS1_3gpuE3ELNS1_3repE0EEENS1_30default_config_static_selectorELNS0_4arch9wavefront6targetE0EEEvT1_
    .private_segment_fixed_size: 0
    .sgpr_count:     0
    .sgpr_spill_count: 0
    .symbol:         _ZN7rocprim17ROCPRIM_400000_NS6detail17trampoline_kernelINS0_14default_configENS1_25partition_config_selectorILNS1_17partition_subalgoE6EyNS0_10empty_typeEbEEZZNS1_14partition_implILS5_6ELb0ES3_mN6thrust23THRUST_200600_302600_NS6detail15normal_iteratorINSA_10device_ptrIyEEEEPS6_SG_NS0_5tupleIJSF_S6_EEENSH_IJSG_SG_EEES6_PlJNSB_9not_fun_tI7is_trueIyEEEEEE10hipError_tPvRmT3_T4_T5_T6_T7_T9_mT8_P12ihipStream_tbDpT10_ENKUlT_T0_E_clISt17integral_constantIbLb1EES17_IbLb0EEEEDaS13_S14_EUlS13_E_NS1_11comp_targetILNS1_3genE9ELNS1_11target_archE1100ELNS1_3gpuE3ELNS1_3repE0EEENS1_30default_config_static_selectorELNS0_4arch9wavefront6targetE0EEEvT1_.kd
    .uniform_work_group_size: 1
    .uses_dynamic_stack: false
    .vgpr_count:     0
    .vgpr_spill_count: 0
    .wavefront_size: 32
    .workgroup_processor_mode: 1
  - .args:
      - .offset:         0
        .size:           112
        .value_kind:     by_value
    .group_segment_fixed_size: 0
    .kernarg_segment_align: 8
    .kernarg_segment_size: 112
    .language:       OpenCL C
    .language_version:
      - 2
      - 0
    .max_flat_workgroup_size: 512
    .name:           _ZN7rocprim17ROCPRIM_400000_NS6detail17trampoline_kernelINS0_14default_configENS1_25partition_config_selectorILNS1_17partition_subalgoE6EyNS0_10empty_typeEbEEZZNS1_14partition_implILS5_6ELb0ES3_mN6thrust23THRUST_200600_302600_NS6detail15normal_iteratorINSA_10device_ptrIyEEEEPS6_SG_NS0_5tupleIJSF_S6_EEENSH_IJSG_SG_EEES6_PlJNSB_9not_fun_tI7is_trueIyEEEEEE10hipError_tPvRmT3_T4_T5_T6_T7_T9_mT8_P12ihipStream_tbDpT10_ENKUlT_T0_E_clISt17integral_constantIbLb1EES17_IbLb0EEEEDaS13_S14_EUlS13_E_NS1_11comp_targetILNS1_3genE8ELNS1_11target_archE1030ELNS1_3gpuE2ELNS1_3repE0EEENS1_30default_config_static_selectorELNS0_4arch9wavefront6targetE0EEEvT1_
    .private_segment_fixed_size: 0
    .sgpr_count:     0
    .sgpr_spill_count: 0
    .symbol:         _ZN7rocprim17ROCPRIM_400000_NS6detail17trampoline_kernelINS0_14default_configENS1_25partition_config_selectorILNS1_17partition_subalgoE6EyNS0_10empty_typeEbEEZZNS1_14partition_implILS5_6ELb0ES3_mN6thrust23THRUST_200600_302600_NS6detail15normal_iteratorINSA_10device_ptrIyEEEEPS6_SG_NS0_5tupleIJSF_S6_EEENSH_IJSG_SG_EEES6_PlJNSB_9not_fun_tI7is_trueIyEEEEEE10hipError_tPvRmT3_T4_T5_T6_T7_T9_mT8_P12ihipStream_tbDpT10_ENKUlT_T0_E_clISt17integral_constantIbLb1EES17_IbLb0EEEEDaS13_S14_EUlS13_E_NS1_11comp_targetILNS1_3genE8ELNS1_11target_archE1030ELNS1_3gpuE2ELNS1_3repE0EEENS1_30default_config_static_selectorELNS0_4arch9wavefront6targetE0EEEvT1_.kd
    .uniform_work_group_size: 1
    .uses_dynamic_stack: false
    .vgpr_count:     0
    .vgpr_spill_count: 0
    .wavefront_size: 32
    .workgroup_processor_mode: 1
  - .args:
      - .offset:         0
        .size:           128
        .value_kind:     by_value
    .group_segment_fixed_size: 0
    .kernarg_segment_align: 8
    .kernarg_segment_size: 128
    .language:       OpenCL C
    .language_version:
      - 2
      - 0
    .max_flat_workgroup_size: 128
    .name:           _ZN7rocprim17ROCPRIM_400000_NS6detail17trampoline_kernelINS0_14default_configENS1_25partition_config_selectorILNS1_17partition_subalgoE6EyNS0_10empty_typeEbEEZZNS1_14partition_implILS5_6ELb0ES3_mN6thrust23THRUST_200600_302600_NS6detail15normal_iteratorINSA_10device_ptrIyEEEEPS6_SG_NS0_5tupleIJSF_S6_EEENSH_IJSG_SG_EEES6_PlJNSB_9not_fun_tI7is_trueIyEEEEEE10hipError_tPvRmT3_T4_T5_T6_T7_T9_mT8_P12ihipStream_tbDpT10_ENKUlT_T0_E_clISt17integral_constantIbLb0EES17_IbLb1EEEEDaS13_S14_EUlS13_E_NS1_11comp_targetILNS1_3genE0ELNS1_11target_archE4294967295ELNS1_3gpuE0ELNS1_3repE0EEENS1_30default_config_static_selectorELNS0_4arch9wavefront6targetE0EEEvT1_
    .private_segment_fixed_size: 0
    .sgpr_count:     0
    .sgpr_spill_count: 0
    .symbol:         _ZN7rocprim17ROCPRIM_400000_NS6detail17trampoline_kernelINS0_14default_configENS1_25partition_config_selectorILNS1_17partition_subalgoE6EyNS0_10empty_typeEbEEZZNS1_14partition_implILS5_6ELb0ES3_mN6thrust23THRUST_200600_302600_NS6detail15normal_iteratorINSA_10device_ptrIyEEEEPS6_SG_NS0_5tupleIJSF_S6_EEENSH_IJSG_SG_EEES6_PlJNSB_9not_fun_tI7is_trueIyEEEEEE10hipError_tPvRmT3_T4_T5_T6_T7_T9_mT8_P12ihipStream_tbDpT10_ENKUlT_T0_E_clISt17integral_constantIbLb0EES17_IbLb1EEEEDaS13_S14_EUlS13_E_NS1_11comp_targetILNS1_3genE0ELNS1_11target_archE4294967295ELNS1_3gpuE0ELNS1_3repE0EEENS1_30default_config_static_selectorELNS0_4arch9wavefront6targetE0EEEvT1_.kd
    .uniform_work_group_size: 1
    .uses_dynamic_stack: false
    .vgpr_count:     0
    .vgpr_spill_count: 0
    .wavefront_size: 32
    .workgroup_processor_mode: 1
  - .args:
      - .offset:         0
        .size:           128
        .value_kind:     by_value
    .group_segment_fixed_size: 0
    .kernarg_segment_align: 8
    .kernarg_segment_size: 128
    .language:       OpenCL C
    .language_version:
      - 2
      - 0
    .max_flat_workgroup_size: 512
    .name:           _ZN7rocprim17ROCPRIM_400000_NS6detail17trampoline_kernelINS0_14default_configENS1_25partition_config_selectorILNS1_17partition_subalgoE6EyNS0_10empty_typeEbEEZZNS1_14partition_implILS5_6ELb0ES3_mN6thrust23THRUST_200600_302600_NS6detail15normal_iteratorINSA_10device_ptrIyEEEEPS6_SG_NS0_5tupleIJSF_S6_EEENSH_IJSG_SG_EEES6_PlJNSB_9not_fun_tI7is_trueIyEEEEEE10hipError_tPvRmT3_T4_T5_T6_T7_T9_mT8_P12ihipStream_tbDpT10_ENKUlT_T0_E_clISt17integral_constantIbLb0EES17_IbLb1EEEEDaS13_S14_EUlS13_E_NS1_11comp_targetILNS1_3genE5ELNS1_11target_archE942ELNS1_3gpuE9ELNS1_3repE0EEENS1_30default_config_static_selectorELNS0_4arch9wavefront6targetE0EEEvT1_
    .private_segment_fixed_size: 0
    .sgpr_count:     0
    .sgpr_spill_count: 0
    .symbol:         _ZN7rocprim17ROCPRIM_400000_NS6detail17trampoline_kernelINS0_14default_configENS1_25partition_config_selectorILNS1_17partition_subalgoE6EyNS0_10empty_typeEbEEZZNS1_14partition_implILS5_6ELb0ES3_mN6thrust23THRUST_200600_302600_NS6detail15normal_iteratorINSA_10device_ptrIyEEEEPS6_SG_NS0_5tupleIJSF_S6_EEENSH_IJSG_SG_EEES6_PlJNSB_9not_fun_tI7is_trueIyEEEEEE10hipError_tPvRmT3_T4_T5_T6_T7_T9_mT8_P12ihipStream_tbDpT10_ENKUlT_T0_E_clISt17integral_constantIbLb0EES17_IbLb1EEEEDaS13_S14_EUlS13_E_NS1_11comp_targetILNS1_3genE5ELNS1_11target_archE942ELNS1_3gpuE9ELNS1_3repE0EEENS1_30default_config_static_selectorELNS0_4arch9wavefront6targetE0EEEvT1_.kd
    .uniform_work_group_size: 1
    .uses_dynamic_stack: false
    .vgpr_count:     0
    .vgpr_spill_count: 0
    .wavefront_size: 32
    .workgroup_processor_mode: 1
  - .args:
      - .offset:         0
        .size:           128
        .value_kind:     by_value
    .group_segment_fixed_size: 0
    .kernarg_segment_align: 8
    .kernarg_segment_size: 128
    .language:       OpenCL C
    .language_version:
      - 2
      - 0
    .max_flat_workgroup_size: 512
    .name:           _ZN7rocprim17ROCPRIM_400000_NS6detail17trampoline_kernelINS0_14default_configENS1_25partition_config_selectorILNS1_17partition_subalgoE6EyNS0_10empty_typeEbEEZZNS1_14partition_implILS5_6ELb0ES3_mN6thrust23THRUST_200600_302600_NS6detail15normal_iteratorINSA_10device_ptrIyEEEEPS6_SG_NS0_5tupleIJSF_S6_EEENSH_IJSG_SG_EEES6_PlJNSB_9not_fun_tI7is_trueIyEEEEEE10hipError_tPvRmT3_T4_T5_T6_T7_T9_mT8_P12ihipStream_tbDpT10_ENKUlT_T0_E_clISt17integral_constantIbLb0EES17_IbLb1EEEEDaS13_S14_EUlS13_E_NS1_11comp_targetILNS1_3genE4ELNS1_11target_archE910ELNS1_3gpuE8ELNS1_3repE0EEENS1_30default_config_static_selectorELNS0_4arch9wavefront6targetE0EEEvT1_
    .private_segment_fixed_size: 0
    .sgpr_count:     0
    .sgpr_spill_count: 0
    .symbol:         _ZN7rocprim17ROCPRIM_400000_NS6detail17trampoline_kernelINS0_14default_configENS1_25partition_config_selectorILNS1_17partition_subalgoE6EyNS0_10empty_typeEbEEZZNS1_14partition_implILS5_6ELb0ES3_mN6thrust23THRUST_200600_302600_NS6detail15normal_iteratorINSA_10device_ptrIyEEEEPS6_SG_NS0_5tupleIJSF_S6_EEENSH_IJSG_SG_EEES6_PlJNSB_9not_fun_tI7is_trueIyEEEEEE10hipError_tPvRmT3_T4_T5_T6_T7_T9_mT8_P12ihipStream_tbDpT10_ENKUlT_T0_E_clISt17integral_constantIbLb0EES17_IbLb1EEEEDaS13_S14_EUlS13_E_NS1_11comp_targetILNS1_3genE4ELNS1_11target_archE910ELNS1_3gpuE8ELNS1_3repE0EEENS1_30default_config_static_selectorELNS0_4arch9wavefront6targetE0EEEvT1_.kd
    .uniform_work_group_size: 1
    .uses_dynamic_stack: false
    .vgpr_count:     0
    .vgpr_spill_count: 0
    .wavefront_size: 32
    .workgroup_processor_mode: 1
  - .args:
      - .offset:         0
        .size:           128
        .value_kind:     by_value
    .group_segment_fixed_size: 0
    .kernarg_segment_align: 8
    .kernarg_segment_size: 128
    .language:       OpenCL C
    .language_version:
      - 2
      - 0
    .max_flat_workgroup_size: 128
    .name:           _ZN7rocprim17ROCPRIM_400000_NS6detail17trampoline_kernelINS0_14default_configENS1_25partition_config_selectorILNS1_17partition_subalgoE6EyNS0_10empty_typeEbEEZZNS1_14partition_implILS5_6ELb0ES3_mN6thrust23THRUST_200600_302600_NS6detail15normal_iteratorINSA_10device_ptrIyEEEEPS6_SG_NS0_5tupleIJSF_S6_EEENSH_IJSG_SG_EEES6_PlJNSB_9not_fun_tI7is_trueIyEEEEEE10hipError_tPvRmT3_T4_T5_T6_T7_T9_mT8_P12ihipStream_tbDpT10_ENKUlT_T0_E_clISt17integral_constantIbLb0EES17_IbLb1EEEEDaS13_S14_EUlS13_E_NS1_11comp_targetILNS1_3genE3ELNS1_11target_archE908ELNS1_3gpuE7ELNS1_3repE0EEENS1_30default_config_static_selectorELNS0_4arch9wavefront6targetE0EEEvT1_
    .private_segment_fixed_size: 0
    .sgpr_count:     0
    .sgpr_spill_count: 0
    .symbol:         _ZN7rocprim17ROCPRIM_400000_NS6detail17trampoline_kernelINS0_14default_configENS1_25partition_config_selectorILNS1_17partition_subalgoE6EyNS0_10empty_typeEbEEZZNS1_14partition_implILS5_6ELb0ES3_mN6thrust23THRUST_200600_302600_NS6detail15normal_iteratorINSA_10device_ptrIyEEEEPS6_SG_NS0_5tupleIJSF_S6_EEENSH_IJSG_SG_EEES6_PlJNSB_9not_fun_tI7is_trueIyEEEEEE10hipError_tPvRmT3_T4_T5_T6_T7_T9_mT8_P12ihipStream_tbDpT10_ENKUlT_T0_E_clISt17integral_constantIbLb0EES17_IbLb1EEEEDaS13_S14_EUlS13_E_NS1_11comp_targetILNS1_3genE3ELNS1_11target_archE908ELNS1_3gpuE7ELNS1_3repE0EEENS1_30default_config_static_selectorELNS0_4arch9wavefront6targetE0EEEvT1_.kd
    .uniform_work_group_size: 1
    .uses_dynamic_stack: false
    .vgpr_count:     0
    .vgpr_spill_count: 0
    .wavefront_size: 32
    .workgroup_processor_mode: 1
  - .args:
      - .offset:         0
        .size:           128
        .value_kind:     by_value
    .group_segment_fixed_size: 0
    .kernarg_segment_align: 8
    .kernarg_segment_size: 128
    .language:       OpenCL C
    .language_version:
      - 2
      - 0
    .max_flat_workgroup_size: 256
    .name:           _ZN7rocprim17ROCPRIM_400000_NS6detail17trampoline_kernelINS0_14default_configENS1_25partition_config_selectorILNS1_17partition_subalgoE6EyNS0_10empty_typeEbEEZZNS1_14partition_implILS5_6ELb0ES3_mN6thrust23THRUST_200600_302600_NS6detail15normal_iteratorINSA_10device_ptrIyEEEEPS6_SG_NS0_5tupleIJSF_S6_EEENSH_IJSG_SG_EEES6_PlJNSB_9not_fun_tI7is_trueIyEEEEEE10hipError_tPvRmT3_T4_T5_T6_T7_T9_mT8_P12ihipStream_tbDpT10_ENKUlT_T0_E_clISt17integral_constantIbLb0EES17_IbLb1EEEEDaS13_S14_EUlS13_E_NS1_11comp_targetILNS1_3genE2ELNS1_11target_archE906ELNS1_3gpuE6ELNS1_3repE0EEENS1_30default_config_static_selectorELNS0_4arch9wavefront6targetE0EEEvT1_
    .private_segment_fixed_size: 0
    .sgpr_count:     0
    .sgpr_spill_count: 0
    .symbol:         _ZN7rocprim17ROCPRIM_400000_NS6detail17trampoline_kernelINS0_14default_configENS1_25partition_config_selectorILNS1_17partition_subalgoE6EyNS0_10empty_typeEbEEZZNS1_14partition_implILS5_6ELb0ES3_mN6thrust23THRUST_200600_302600_NS6detail15normal_iteratorINSA_10device_ptrIyEEEEPS6_SG_NS0_5tupleIJSF_S6_EEENSH_IJSG_SG_EEES6_PlJNSB_9not_fun_tI7is_trueIyEEEEEE10hipError_tPvRmT3_T4_T5_T6_T7_T9_mT8_P12ihipStream_tbDpT10_ENKUlT_T0_E_clISt17integral_constantIbLb0EES17_IbLb1EEEEDaS13_S14_EUlS13_E_NS1_11comp_targetILNS1_3genE2ELNS1_11target_archE906ELNS1_3gpuE6ELNS1_3repE0EEENS1_30default_config_static_selectorELNS0_4arch9wavefront6targetE0EEEvT1_.kd
    .uniform_work_group_size: 1
    .uses_dynamic_stack: false
    .vgpr_count:     0
    .vgpr_spill_count: 0
    .wavefront_size: 32
    .workgroup_processor_mode: 1
  - .args:
      - .offset:         0
        .size:           128
        .value_kind:     by_value
    .group_segment_fixed_size: 8464
    .kernarg_segment_align: 8
    .kernarg_segment_size: 128
    .language:       OpenCL C
    .language_version:
      - 2
      - 0
    .max_flat_workgroup_size: 256
    .name:           _ZN7rocprim17ROCPRIM_400000_NS6detail17trampoline_kernelINS0_14default_configENS1_25partition_config_selectorILNS1_17partition_subalgoE6EyNS0_10empty_typeEbEEZZNS1_14partition_implILS5_6ELb0ES3_mN6thrust23THRUST_200600_302600_NS6detail15normal_iteratorINSA_10device_ptrIyEEEEPS6_SG_NS0_5tupleIJSF_S6_EEENSH_IJSG_SG_EEES6_PlJNSB_9not_fun_tI7is_trueIyEEEEEE10hipError_tPvRmT3_T4_T5_T6_T7_T9_mT8_P12ihipStream_tbDpT10_ENKUlT_T0_E_clISt17integral_constantIbLb0EES17_IbLb1EEEEDaS13_S14_EUlS13_E_NS1_11comp_targetILNS1_3genE10ELNS1_11target_archE1200ELNS1_3gpuE4ELNS1_3repE0EEENS1_30default_config_static_selectorELNS0_4arch9wavefront6targetE0EEEvT1_
    .private_segment_fixed_size: 0
    .sgpr_count:     24
    .sgpr_spill_count: 0
    .symbol:         _ZN7rocprim17ROCPRIM_400000_NS6detail17trampoline_kernelINS0_14default_configENS1_25partition_config_selectorILNS1_17partition_subalgoE6EyNS0_10empty_typeEbEEZZNS1_14partition_implILS5_6ELb0ES3_mN6thrust23THRUST_200600_302600_NS6detail15normal_iteratorINSA_10device_ptrIyEEEEPS6_SG_NS0_5tupleIJSF_S6_EEENSH_IJSG_SG_EEES6_PlJNSB_9not_fun_tI7is_trueIyEEEEEE10hipError_tPvRmT3_T4_T5_T6_T7_T9_mT8_P12ihipStream_tbDpT10_ENKUlT_T0_E_clISt17integral_constantIbLb0EES17_IbLb1EEEEDaS13_S14_EUlS13_E_NS1_11comp_targetILNS1_3genE10ELNS1_11target_archE1200ELNS1_3gpuE4ELNS1_3repE0EEENS1_30default_config_static_selectorELNS0_4arch9wavefront6targetE0EEEvT1_.kd
    .uniform_work_group_size: 1
    .uses_dynamic_stack: false
    .vgpr_count:     48
    .vgpr_spill_count: 0
    .wavefront_size: 32
    .workgroup_processor_mode: 1
  - .args:
      - .offset:         0
        .size:           128
        .value_kind:     by_value
    .group_segment_fixed_size: 0
    .kernarg_segment_align: 8
    .kernarg_segment_size: 128
    .language:       OpenCL C
    .language_version:
      - 2
      - 0
    .max_flat_workgroup_size: 384
    .name:           _ZN7rocprim17ROCPRIM_400000_NS6detail17trampoline_kernelINS0_14default_configENS1_25partition_config_selectorILNS1_17partition_subalgoE6EyNS0_10empty_typeEbEEZZNS1_14partition_implILS5_6ELb0ES3_mN6thrust23THRUST_200600_302600_NS6detail15normal_iteratorINSA_10device_ptrIyEEEEPS6_SG_NS0_5tupleIJSF_S6_EEENSH_IJSG_SG_EEES6_PlJNSB_9not_fun_tI7is_trueIyEEEEEE10hipError_tPvRmT3_T4_T5_T6_T7_T9_mT8_P12ihipStream_tbDpT10_ENKUlT_T0_E_clISt17integral_constantIbLb0EES17_IbLb1EEEEDaS13_S14_EUlS13_E_NS1_11comp_targetILNS1_3genE9ELNS1_11target_archE1100ELNS1_3gpuE3ELNS1_3repE0EEENS1_30default_config_static_selectorELNS0_4arch9wavefront6targetE0EEEvT1_
    .private_segment_fixed_size: 0
    .sgpr_count:     0
    .sgpr_spill_count: 0
    .symbol:         _ZN7rocprim17ROCPRIM_400000_NS6detail17trampoline_kernelINS0_14default_configENS1_25partition_config_selectorILNS1_17partition_subalgoE6EyNS0_10empty_typeEbEEZZNS1_14partition_implILS5_6ELb0ES3_mN6thrust23THRUST_200600_302600_NS6detail15normal_iteratorINSA_10device_ptrIyEEEEPS6_SG_NS0_5tupleIJSF_S6_EEENSH_IJSG_SG_EEES6_PlJNSB_9not_fun_tI7is_trueIyEEEEEE10hipError_tPvRmT3_T4_T5_T6_T7_T9_mT8_P12ihipStream_tbDpT10_ENKUlT_T0_E_clISt17integral_constantIbLb0EES17_IbLb1EEEEDaS13_S14_EUlS13_E_NS1_11comp_targetILNS1_3genE9ELNS1_11target_archE1100ELNS1_3gpuE3ELNS1_3repE0EEENS1_30default_config_static_selectorELNS0_4arch9wavefront6targetE0EEEvT1_.kd
    .uniform_work_group_size: 1
    .uses_dynamic_stack: false
    .vgpr_count:     0
    .vgpr_spill_count: 0
    .wavefront_size: 32
    .workgroup_processor_mode: 1
  - .args:
      - .offset:         0
        .size:           128
        .value_kind:     by_value
    .group_segment_fixed_size: 0
    .kernarg_segment_align: 8
    .kernarg_segment_size: 128
    .language:       OpenCL C
    .language_version:
      - 2
      - 0
    .max_flat_workgroup_size: 512
    .name:           _ZN7rocprim17ROCPRIM_400000_NS6detail17trampoline_kernelINS0_14default_configENS1_25partition_config_selectorILNS1_17partition_subalgoE6EyNS0_10empty_typeEbEEZZNS1_14partition_implILS5_6ELb0ES3_mN6thrust23THRUST_200600_302600_NS6detail15normal_iteratorINSA_10device_ptrIyEEEEPS6_SG_NS0_5tupleIJSF_S6_EEENSH_IJSG_SG_EEES6_PlJNSB_9not_fun_tI7is_trueIyEEEEEE10hipError_tPvRmT3_T4_T5_T6_T7_T9_mT8_P12ihipStream_tbDpT10_ENKUlT_T0_E_clISt17integral_constantIbLb0EES17_IbLb1EEEEDaS13_S14_EUlS13_E_NS1_11comp_targetILNS1_3genE8ELNS1_11target_archE1030ELNS1_3gpuE2ELNS1_3repE0EEENS1_30default_config_static_selectorELNS0_4arch9wavefront6targetE0EEEvT1_
    .private_segment_fixed_size: 0
    .sgpr_count:     0
    .sgpr_spill_count: 0
    .symbol:         _ZN7rocprim17ROCPRIM_400000_NS6detail17trampoline_kernelINS0_14default_configENS1_25partition_config_selectorILNS1_17partition_subalgoE6EyNS0_10empty_typeEbEEZZNS1_14partition_implILS5_6ELb0ES3_mN6thrust23THRUST_200600_302600_NS6detail15normal_iteratorINSA_10device_ptrIyEEEEPS6_SG_NS0_5tupleIJSF_S6_EEENSH_IJSG_SG_EEES6_PlJNSB_9not_fun_tI7is_trueIyEEEEEE10hipError_tPvRmT3_T4_T5_T6_T7_T9_mT8_P12ihipStream_tbDpT10_ENKUlT_T0_E_clISt17integral_constantIbLb0EES17_IbLb1EEEEDaS13_S14_EUlS13_E_NS1_11comp_targetILNS1_3genE8ELNS1_11target_archE1030ELNS1_3gpuE2ELNS1_3repE0EEENS1_30default_config_static_selectorELNS0_4arch9wavefront6targetE0EEEvT1_.kd
    .uniform_work_group_size: 1
    .uses_dynamic_stack: false
    .vgpr_count:     0
    .vgpr_spill_count: 0
    .wavefront_size: 32
    .workgroup_processor_mode: 1
  - .args:
      - .offset:         0
        .size:           112
        .value_kind:     by_value
    .group_segment_fixed_size: 0
    .kernarg_segment_align: 8
    .kernarg_segment_size: 112
    .language:       OpenCL C
    .language_version:
      - 2
      - 0
    .max_flat_workgroup_size: 256
    .name:           _ZN7rocprim17ROCPRIM_400000_NS6detail17trampoline_kernelINS0_14default_configENS1_25partition_config_selectorILNS1_17partition_subalgoE6EjNS0_10empty_typeEbEEZZNS1_14partition_implILS5_6ELb0ES3_mN6thrust23THRUST_200600_302600_NS6detail15normal_iteratorINSA_10device_ptrIjEEEEPS6_SG_NS0_5tupleIJSF_S6_EEENSH_IJSG_SG_EEES6_PlJNSB_9not_fun_tI7is_trueIjEEEEEE10hipError_tPvRmT3_T4_T5_T6_T7_T9_mT8_P12ihipStream_tbDpT10_ENKUlT_T0_E_clISt17integral_constantIbLb0EES18_EEDaS13_S14_EUlS13_E_NS1_11comp_targetILNS1_3genE0ELNS1_11target_archE4294967295ELNS1_3gpuE0ELNS1_3repE0EEENS1_30default_config_static_selectorELNS0_4arch9wavefront6targetE0EEEvT1_
    .private_segment_fixed_size: 0
    .sgpr_count:     0
    .sgpr_spill_count: 0
    .symbol:         _ZN7rocprim17ROCPRIM_400000_NS6detail17trampoline_kernelINS0_14default_configENS1_25partition_config_selectorILNS1_17partition_subalgoE6EjNS0_10empty_typeEbEEZZNS1_14partition_implILS5_6ELb0ES3_mN6thrust23THRUST_200600_302600_NS6detail15normal_iteratorINSA_10device_ptrIjEEEEPS6_SG_NS0_5tupleIJSF_S6_EEENSH_IJSG_SG_EEES6_PlJNSB_9not_fun_tI7is_trueIjEEEEEE10hipError_tPvRmT3_T4_T5_T6_T7_T9_mT8_P12ihipStream_tbDpT10_ENKUlT_T0_E_clISt17integral_constantIbLb0EES18_EEDaS13_S14_EUlS13_E_NS1_11comp_targetILNS1_3genE0ELNS1_11target_archE4294967295ELNS1_3gpuE0ELNS1_3repE0EEENS1_30default_config_static_selectorELNS0_4arch9wavefront6targetE0EEEvT1_.kd
    .uniform_work_group_size: 1
    .uses_dynamic_stack: false
    .vgpr_count:     0
    .vgpr_spill_count: 0
    .wavefront_size: 32
    .workgroup_processor_mode: 1
  - .args:
      - .offset:         0
        .size:           112
        .value_kind:     by_value
    .group_segment_fixed_size: 0
    .kernarg_segment_align: 8
    .kernarg_segment_size: 112
    .language:       OpenCL C
    .language_version:
      - 2
      - 0
    .max_flat_workgroup_size: 512
    .name:           _ZN7rocprim17ROCPRIM_400000_NS6detail17trampoline_kernelINS0_14default_configENS1_25partition_config_selectorILNS1_17partition_subalgoE6EjNS0_10empty_typeEbEEZZNS1_14partition_implILS5_6ELb0ES3_mN6thrust23THRUST_200600_302600_NS6detail15normal_iteratorINSA_10device_ptrIjEEEEPS6_SG_NS0_5tupleIJSF_S6_EEENSH_IJSG_SG_EEES6_PlJNSB_9not_fun_tI7is_trueIjEEEEEE10hipError_tPvRmT3_T4_T5_T6_T7_T9_mT8_P12ihipStream_tbDpT10_ENKUlT_T0_E_clISt17integral_constantIbLb0EES18_EEDaS13_S14_EUlS13_E_NS1_11comp_targetILNS1_3genE5ELNS1_11target_archE942ELNS1_3gpuE9ELNS1_3repE0EEENS1_30default_config_static_selectorELNS0_4arch9wavefront6targetE0EEEvT1_
    .private_segment_fixed_size: 0
    .sgpr_count:     0
    .sgpr_spill_count: 0
    .symbol:         _ZN7rocprim17ROCPRIM_400000_NS6detail17trampoline_kernelINS0_14default_configENS1_25partition_config_selectorILNS1_17partition_subalgoE6EjNS0_10empty_typeEbEEZZNS1_14partition_implILS5_6ELb0ES3_mN6thrust23THRUST_200600_302600_NS6detail15normal_iteratorINSA_10device_ptrIjEEEEPS6_SG_NS0_5tupleIJSF_S6_EEENSH_IJSG_SG_EEES6_PlJNSB_9not_fun_tI7is_trueIjEEEEEE10hipError_tPvRmT3_T4_T5_T6_T7_T9_mT8_P12ihipStream_tbDpT10_ENKUlT_T0_E_clISt17integral_constantIbLb0EES18_EEDaS13_S14_EUlS13_E_NS1_11comp_targetILNS1_3genE5ELNS1_11target_archE942ELNS1_3gpuE9ELNS1_3repE0EEENS1_30default_config_static_selectorELNS0_4arch9wavefront6targetE0EEEvT1_.kd
    .uniform_work_group_size: 1
    .uses_dynamic_stack: false
    .vgpr_count:     0
    .vgpr_spill_count: 0
    .wavefront_size: 32
    .workgroup_processor_mode: 1
  - .args:
      - .offset:         0
        .size:           112
        .value_kind:     by_value
    .group_segment_fixed_size: 0
    .kernarg_segment_align: 8
    .kernarg_segment_size: 112
    .language:       OpenCL C
    .language_version:
      - 2
      - 0
    .max_flat_workgroup_size: 512
    .name:           _ZN7rocprim17ROCPRIM_400000_NS6detail17trampoline_kernelINS0_14default_configENS1_25partition_config_selectorILNS1_17partition_subalgoE6EjNS0_10empty_typeEbEEZZNS1_14partition_implILS5_6ELb0ES3_mN6thrust23THRUST_200600_302600_NS6detail15normal_iteratorINSA_10device_ptrIjEEEEPS6_SG_NS0_5tupleIJSF_S6_EEENSH_IJSG_SG_EEES6_PlJNSB_9not_fun_tI7is_trueIjEEEEEE10hipError_tPvRmT3_T4_T5_T6_T7_T9_mT8_P12ihipStream_tbDpT10_ENKUlT_T0_E_clISt17integral_constantIbLb0EES18_EEDaS13_S14_EUlS13_E_NS1_11comp_targetILNS1_3genE4ELNS1_11target_archE910ELNS1_3gpuE8ELNS1_3repE0EEENS1_30default_config_static_selectorELNS0_4arch9wavefront6targetE0EEEvT1_
    .private_segment_fixed_size: 0
    .sgpr_count:     0
    .sgpr_spill_count: 0
    .symbol:         _ZN7rocprim17ROCPRIM_400000_NS6detail17trampoline_kernelINS0_14default_configENS1_25partition_config_selectorILNS1_17partition_subalgoE6EjNS0_10empty_typeEbEEZZNS1_14partition_implILS5_6ELb0ES3_mN6thrust23THRUST_200600_302600_NS6detail15normal_iteratorINSA_10device_ptrIjEEEEPS6_SG_NS0_5tupleIJSF_S6_EEENSH_IJSG_SG_EEES6_PlJNSB_9not_fun_tI7is_trueIjEEEEEE10hipError_tPvRmT3_T4_T5_T6_T7_T9_mT8_P12ihipStream_tbDpT10_ENKUlT_T0_E_clISt17integral_constantIbLb0EES18_EEDaS13_S14_EUlS13_E_NS1_11comp_targetILNS1_3genE4ELNS1_11target_archE910ELNS1_3gpuE8ELNS1_3repE0EEENS1_30default_config_static_selectorELNS0_4arch9wavefront6targetE0EEEvT1_.kd
    .uniform_work_group_size: 1
    .uses_dynamic_stack: false
    .vgpr_count:     0
    .vgpr_spill_count: 0
    .wavefront_size: 32
    .workgroup_processor_mode: 1
  - .args:
      - .offset:         0
        .size:           112
        .value_kind:     by_value
    .group_segment_fixed_size: 0
    .kernarg_segment_align: 8
    .kernarg_segment_size: 112
    .language:       OpenCL C
    .language_version:
      - 2
      - 0
    .max_flat_workgroup_size: 256
    .name:           _ZN7rocprim17ROCPRIM_400000_NS6detail17trampoline_kernelINS0_14default_configENS1_25partition_config_selectorILNS1_17partition_subalgoE6EjNS0_10empty_typeEbEEZZNS1_14partition_implILS5_6ELb0ES3_mN6thrust23THRUST_200600_302600_NS6detail15normal_iteratorINSA_10device_ptrIjEEEEPS6_SG_NS0_5tupleIJSF_S6_EEENSH_IJSG_SG_EEES6_PlJNSB_9not_fun_tI7is_trueIjEEEEEE10hipError_tPvRmT3_T4_T5_T6_T7_T9_mT8_P12ihipStream_tbDpT10_ENKUlT_T0_E_clISt17integral_constantIbLb0EES18_EEDaS13_S14_EUlS13_E_NS1_11comp_targetILNS1_3genE3ELNS1_11target_archE908ELNS1_3gpuE7ELNS1_3repE0EEENS1_30default_config_static_selectorELNS0_4arch9wavefront6targetE0EEEvT1_
    .private_segment_fixed_size: 0
    .sgpr_count:     0
    .sgpr_spill_count: 0
    .symbol:         _ZN7rocprim17ROCPRIM_400000_NS6detail17trampoline_kernelINS0_14default_configENS1_25partition_config_selectorILNS1_17partition_subalgoE6EjNS0_10empty_typeEbEEZZNS1_14partition_implILS5_6ELb0ES3_mN6thrust23THRUST_200600_302600_NS6detail15normal_iteratorINSA_10device_ptrIjEEEEPS6_SG_NS0_5tupleIJSF_S6_EEENSH_IJSG_SG_EEES6_PlJNSB_9not_fun_tI7is_trueIjEEEEEE10hipError_tPvRmT3_T4_T5_T6_T7_T9_mT8_P12ihipStream_tbDpT10_ENKUlT_T0_E_clISt17integral_constantIbLb0EES18_EEDaS13_S14_EUlS13_E_NS1_11comp_targetILNS1_3genE3ELNS1_11target_archE908ELNS1_3gpuE7ELNS1_3repE0EEENS1_30default_config_static_selectorELNS0_4arch9wavefront6targetE0EEEvT1_.kd
    .uniform_work_group_size: 1
    .uses_dynamic_stack: false
    .vgpr_count:     0
    .vgpr_spill_count: 0
    .wavefront_size: 32
    .workgroup_processor_mode: 1
  - .args:
      - .offset:         0
        .size:           112
        .value_kind:     by_value
    .group_segment_fixed_size: 0
    .kernarg_segment_align: 8
    .kernarg_segment_size: 112
    .language:       OpenCL C
    .language_version:
      - 2
      - 0
    .max_flat_workgroup_size: 192
    .name:           _ZN7rocprim17ROCPRIM_400000_NS6detail17trampoline_kernelINS0_14default_configENS1_25partition_config_selectorILNS1_17partition_subalgoE6EjNS0_10empty_typeEbEEZZNS1_14partition_implILS5_6ELb0ES3_mN6thrust23THRUST_200600_302600_NS6detail15normal_iteratorINSA_10device_ptrIjEEEEPS6_SG_NS0_5tupleIJSF_S6_EEENSH_IJSG_SG_EEES6_PlJNSB_9not_fun_tI7is_trueIjEEEEEE10hipError_tPvRmT3_T4_T5_T6_T7_T9_mT8_P12ihipStream_tbDpT10_ENKUlT_T0_E_clISt17integral_constantIbLb0EES18_EEDaS13_S14_EUlS13_E_NS1_11comp_targetILNS1_3genE2ELNS1_11target_archE906ELNS1_3gpuE6ELNS1_3repE0EEENS1_30default_config_static_selectorELNS0_4arch9wavefront6targetE0EEEvT1_
    .private_segment_fixed_size: 0
    .sgpr_count:     0
    .sgpr_spill_count: 0
    .symbol:         _ZN7rocprim17ROCPRIM_400000_NS6detail17trampoline_kernelINS0_14default_configENS1_25partition_config_selectorILNS1_17partition_subalgoE6EjNS0_10empty_typeEbEEZZNS1_14partition_implILS5_6ELb0ES3_mN6thrust23THRUST_200600_302600_NS6detail15normal_iteratorINSA_10device_ptrIjEEEEPS6_SG_NS0_5tupleIJSF_S6_EEENSH_IJSG_SG_EEES6_PlJNSB_9not_fun_tI7is_trueIjEEEEEE10hipError_tPvRmT3_T4_T5_T6_T7_T9_mT8_P12ihipStream_tbDpT10_ENKUlT_T0_E_clISt17integral_constantIbLb0EES18_EEDaS13_S14_EUlS13_E_NS1_11comp_targetILNS1_3genE2ELNS1_11target_archE906ELNS1_3gpuE6ELNS1_3repE0EEENS1_30default_config_static_selectorELNS0_4arch9wavefront6targetE0EEEvT1_.kd
    .uniform_work_group_size: 1
    .uses_dynamic_stack: false
    .vgpr_count:     0
    .vgpr_spill_count: 0
    .wavefront_size: 32
    .workgroup_processor_mode: 1
  - .args:
      - .offset:         0
        .size:           112
        .value_kind:     by_value
    .group_segment_fixed_size: 10768
    .kernarg_segment_align: 8
    .kernarg_segment_size: 112
    .language:       OpenCL C
    .language_version:
      - 2
      - 0
    .max_flat_workgroup_size: 384
    .name:           _ZN7rocprim17ROCPRIM_400000_NS6detail17trampoline_kernelINS0_14default_configENS1_25partition_config_selectorILNS1_17partition_subalgoE6EjNS0_10empty_typeEbEEZZNS1_14partition_implILS5_6ELb0ES3_mN6thrust23THRUST_200600_302600_NS6detail15normal_iteratorINSA_10device_ptrIjEEEEPS6_SG_NS0_5tupleIJSF_S6_EEENSH_IJSG_SG_EEES6_PlJNSB_9not_fun_tI7is_trueIjEEEEEE10hipError_tPvRmT3_T4_T5_T6_T7_T9_mT8_P12ihipStream_tbDpT10_ENKUlT_T0_E_clISt17integral_constantIbLb0EES18_EEDaS13_S14_EUlS13_E_NS1_11comp_targetILNS1_3genE10ELNS1_11target_archE1200ELNS1_3gpuE4ELNS1_3repE0EEENS1_30default_config_static_selectorELNS0_4arch9wavefront6targetE0EEEvT1_
    .private_segment_fixed_size: 0
    .sgpr_count:     21
    .sgpr_spill_count: 0
    .symbol:         _ZN7rocprim17ROCPRIM_400000_NS6detail17trampoline_kernelINS0_14default_configENS1_25partition_config_selectorILNS1_17partition_subalgoE6EjNS0_10empty_typeEbEEZZNS1_14partition_implILS5_6ELb0ES3_mN6thrust23THRUST_200600_302600_NS6detail15normal_iteratorINSA_10device_ptrIjEEEEPS6_SG_NS0_5tupleIJSF_S6_EEENSH_IJSG_SG_EEES6_PlJNSB_9not_fun_tI7is_trueIjEEEEEE10hipError_tPvRmT3_T4_T5_T6_T7_T9_mT8_P12ihipStream_tbDpT10_ENKUlT_T0_E_clISt17integral_constantIbLb0EES18_EEDaS13_S14_EUlS13_E_NS1_11comp_targetILNS1_3genE10ELNS1_11target_archE1200ELNS1_3gpuE4ELNS1_3repE0EEENS1_30default_config_static_selectorELNS0_4arch9wavefront6targetE0EEEvT1_.kd
    .uniform_work_group_size: 1
    .uses_dynamic_stack: false
    .vgpr_count:     49
    .vgpr_spill_count: 0
    .wavefront_size: 32
    .workgroup_processor_mode: 1
  - .args:
      - .offset:         0
        .size:           112
        .value_kind:     by_value
    .group_segment_fixed_size: 0
    .kernarg_segment_align: 8
    .kernarg_segment_size: 112
    .language:       OpenCL C
    .language_version:
      - 2
      - 0
    .max_flat_workgroup_size: 128
    .name:           _ZN7rocprim17ROCPRIM_400000_NS6detail17trampoline_kernelINS0_14default_configENS1_25partition_config_selectorILNS1_17partition_subalgoE6EjNS0_10empty_typeEbEEZZNS1_14partition_implILS5_6ELb0ES3_mN6thrust23THRUST_200600_302600_NS6detail15normal_iteratorINSA_10device_ptrIjEEEEPS6_SG_NS0_5tupleIJSF_S6_EEENSH_IJSG_SG_EEES6_PlJNSB_9not_fun_tI7is_trueIjEEEEEE10hipError_tPvRmT3_T4_T5_T6_T7_T9_mT8_P12ihipStream_tbDpT10_ENKUlT_T0_E_clISt17integral_constantIbLb0EES18_EEDaS13_S14_EUlS13_E_NS1_11comp_targetILNS1_3genE9ELNS1_11target_archE1100ELNS1_3gpuE3ELNS1_3repE0EEENS1_30default_config_static_selectorELNS0_4arch9wavefront6targetE0EEEvT1_
    .private_segment_fixed_size: 0
    .sgpr_count:     0
    .sgpr_spill_count: 0
    .symbol:         _ZN7rocprim17ROCPRIM_400000_NS6detail17trampoline_kernelINS0_14default_configENS1_25partition_config_selectorILNS1_17partition_subalgoE6EjNS0_10empty_typeEbEEZZNS1_14partition_implILS5_6ELb0ES3_mN6thrust23THRUST_200600_302600_NS6detail15normal_iteratorINSA_10device_ptrIjEEEEPS6_SG_NS0_5tupleIJSF_S6_EEENSH_IJSG_SG_EEES6_PlJNSB_9not_fun_tI7is_trueIjEEEEEE10hipError_tPvRmT3_T4_T5_T6_T7_T9_mT8_P12ihipStream_tbDpT10_ENKUlT_T0_E_clISt17integral_constantIbLb0EES18_EEDaS13_S14_EUlS13_E_NS1_11comp_targetILNS1_3genE9ELNS1_11target_archE1100ELNS1_3gpuE3ELNS1_3repE0EEENS1_30default_config_static_selectorELNS0_4arch9wavefront6targetE0EEEvT1_.kd
    .uniform_work_group_size: 1
    .uses_dynamic_stack: false
    .vgpr_count:     0
    .vgpr_spill_count: 0
    .wavefront_size: 32
    .workgroup_processor_mode: 1
  - .args:
      - .offset:         0
        .size:           112
        .value_kind:     by_value
    .group_segment_fixed_size: 0
    .kernarg_segment_align: 8
    .kernarg_segment_size: 112
    .language:       OpenCL C
    .language_version:
      - 2
      - 0
    .max_flat_workgroup_size: 512
    .name:           _ZN7rocprim17ROCPRIM_400000_NS6detail17trampoline_kernelINS0_14default_configENS1_25partition_config_selectorILNS1_17partition_subalgoE6EjNS0_10empty_typeEbEEZZNS1_14partition_implILS5_6ELb0ES3_mN6thrust23THRUST_200600_302600_NS6detail15normal_iteratorINSA_10device_ptrIjEEEEPS6_SG_NS0_5tupleIJSF_S6_EEENSH_IJSG_SG_EEES6_PlJNSB_9not_fun_tI7is_trueIjEEEEEE10hipError_tPvRmT3_T4_T5_T6_T7_T9_mT8_P12ihipStream_tbDpT10_ENKUlT_T0_E_clISt17integral_constantIbLb0EES18_EEDaS13_S14_EUlS13_E_NS1_11comp_targetILNS1_3genE8ELNS1_11target_archE1030ELNS1_3gpuE2ELNS1_3repE0EEENS1_30default_config_static_selectorELNS0_4arch9wavefront6targetE0EEEvT1_
    .private_segment_fixed_size: 0
    .sgpr_count:     0
    .sgpr_spill_count: 0
    .symbol:         _ZN7rocprim17ROCPRIM_400000_NS6detail17trampoline_kernelINS0_14default_configENS1_25partition_config_selectorILNS1_17partition_subalgoE6EjNS0_10empty_typeEbEEZZNS1_14partition_implILS5_6ELb0ES3_mN6thrust23THRUST_200600_302600_NS6detail15normal_iteratorINSA_10device_ptrIjEEEEPS6_SG_NS0_5tupleIJSF_S6_EEENSH_IJSG_SG_EEES6_PlJNSB_9not_fun_tI7is_trueIjEEEEEE10hipError_tPvRmT3_T4_T5_T6_T7_T9_mT8_P12ihipStream_tbDpT10_ENKUlT_T0_E_clISt17integral_constantIbLb0EES18_EEDaS13_S14_EUlS13_E_NS1_11comp_targetILNS1_3genE8ELNS1_11target_archE1030ELNS1_3gpuE2ELNS1_3repE0EEENS1_30default_config_static_selectorELNS0_4arch9wavefront6targetE0EEEvT1_.kd
    .uniform_work_group_size: 1
    .uses_dynamic_stack: false
    .vgpr_count:     0
    .vgpr_spill_count: 0
    .wavefront_size: 32
    .workgroup_processor_mode: 1
  - .args:
      - .offset:         0
        .size:           128
        .value_kind:     by_value
    .group_segment_fixed_size: 0
    .kernarg_segment_align: 8
    .kernarg_segment_size: 128
    .language:       OpenCL C
    .language_version:
      - 2
      - 0
    .max_flat_workgroup_size: 256
    .name:           _ZN7rocprim17ROCPRIM_400000_NS6detail17trampoline_kernelINS0_14default_configENS1_25partition_config_selectorILNS1_17partition_subalgoE6EjNS0_10empty_typeEbEEZZNS1_14partition_implILS5_6ELb0ES3_mN6thrust23THRUST_200600_302600_NS6detail15normal_iteratorINSA_10device_ptrIjEEEEPS6_SG_NS0_5tupleIJSF_S6_EEENSH_IJSG_SG_EEES6_PlJNSB_9not_fun_tI7is_trueIjEEEEEE10hipError_tPvRmT3_T4_T5_T6_T7_T9_mT8_P12ihipStream_tbDpT10_ENKUlT_T0_E_clISt17integral_constantIbLb1EES18_EEDaS13_S14_EUlS13_E_NS1_11comp_targetILNS1_3genE0ELNS1_11target_archE4294967295ELNS1_3gpuE0ELNS1_3repE0EEENS1_30default_config_static_selectorELNS0_4arch9wavefront6targetE0EEEvT1_
    .private_segment_fixed_size: 0
    .sgpr_count:     0
    .sgpr_spill_count: 0
    .symbol:         _ZN7rocprim17ROCPRIM_400000_NS6detail17trampoline_kernelINS0_14default_configENS1_25partition_config_selectorILNS1_17partition_subalgoE6EjNS0_10empty_typeEbEEZZNS1_14partition_implILS5_6ELb0ES3_mN6thrust23THRUST_200600_302600_NS6detail15normal_iteratorINSA_10device_ptrIjEEEEPS6_SG_NS0_5tupleIJSF_S6_EEENSH_IJSG_SG_EEES6_PlJNSB_9not_fun_tI7is_trueIjEEEEEE10hipError_tPvRmT3_T4_T5_T6_T7_T9_mT8_P12ihipStream_tbDpT10_ENKUlT_T0_E_clISt17integral_constantIbLb1EES18_EEDaS13_S14_EUlS13_E_NS1_11comp_targetILNS1_3genE0ELNS1_11target_archE4294967295ELNS1_3gpuE0ELNS1_3repE0EEENS1_30default_config_static_selectorELNS0_4arch9wavefront6targetE0EEEvT1_.kd
    .uniform_work_group_size: 1
    .uses_dynamic_stack: false
    .vgpr_count:     0
    .vgpr_spill_count: 0
    .wavefront_size: 32
    .workgroup_processor_mode: 1
  - .args:
      - .offset:         0
        .size:           128
        .value_kind:     by_value
    .group_segment_fixed_size: 0
    .kernarg_segment_align: 8
    .kernarg_segment_size: 128
    .language:       OpenCL C
    .language_version:
      - 2
      - 0
    .max_flat_workgroup_size: 512
    .name:           _ZN7rocprim17ROCPRIM_400000_NS6detail17trampoline_kernelINS0_14default_configENS1_25partition_config_selectorILNS1_17partition_subalgoE6EjNS0_10empty_typeEbEEZZNS1_14partition_implILS5_6ELb0ES3_mN6thrust23THRUST_200600_302600_NS6detail15normal_iteratorINSA_10device_ptrIjEEEEPS6_SG_NS0_5tupleIJSF_S6_EEENSH_IJSG_SG_EEES6_PlJNSB_9not_fun_tI7is_trueIjEEEEEE10hipError_tPvRmT3_T4_T5_T6_T7_T9_mT8_P12ihipStream_tbDpT10_ENKUlT_T0_E_clISt17integral_constantIbLb1EES18_EEDaS13_S14_EUlS13_E_NS1_11comp_targetILNS1_3genE5ELNS1_11target_archE942ELNS1_3gpuE9ELNS1_3repE0EEENS1_30default_config_static_selectorELNS0_4arch9wavefront6targetE0EEEvT1_
    .private_segment_fixed_size: 0
    .sgpr_count:     0
    .sgpr_spill_count: 0
    .symbol:         _ZN7rocprim17ROCPRIM_400000_NS6detail17trampoline_kernelINS0_14default_configENS1_25partition_config_selectorILNS1_17partition_subalgoE6EjNS0_10empty_typeEbEEZZNS1_14partition_implILS5_6ELb0ES3_mN6thrust23THRUST_200600_302600_NS6detail15normal_iteratorINSA_10device_ptrIjEEEEPS6_SG_NS0_5tupleIJSF_S6_EEENSH_IJSG_SG_EEES6_PlJNSB_9not_fun_tI7is_trueIjEEEEEE10hipError_tPvRmT3_T4_T5_T6_T7_T9_mT8_P12ihipStream_tbDpT10_ENKUlT_T0_E_clISt17integral_constantIbLb1EES18_EEDaS13_S14_EUlS13_E_NS1_11comp_targetILNS1_3genE5ELNS1_11target_archE942ELNS1_3gpuE9ELNS1_3repE0EEENS1_30default_config_static_selectorELNS0_4arch9wavefront6targetE0EEEvT1_.kd
    .uniform_work_group_size: 1
    .uses_dynamic_stack: false
    .vgpr_count:     0
    .vgpr_spill_count: 0
    .wavefront_size: 32
    .workgroup_processor_mode: 1
  - .args:
      - .offset:         0
        .size:           128
        .value_kind:     by_value
    .group_segment_fixed_size: 0
    .kernarg_segment_align: 8
    .kernarg_segment_size: 128
    .language:       OpenCL C
    .language_version:
      - 2
      - 0
    .max_flat_workgroup_size: 512
    .name:           _ZN7rocprim17ROCPRIM_400000_NS6detail17trampoline_kernelINS0_14default_configENS1_25partition_config_selectorILNS1_17partition_subalgoE6EjNS0_10empty_typeEbEEZZNS1_14partition_implILS5_6ELb0ES3_mN6thrust23THRUST_200600_302600_NS6detail15normal_iteratorINSA_10device_ptrIjEEEEPS6_SG_NS0_5tupleIJSF_S6_EEENSH_IJSG_SG_EEES6_PlJNSB_9not_fun_tI7is_trueIjEEEEEE10hipError_tPvRmT3_T4_T5_T6_T7_T9_mT8_P12ihipStream_tbDpT10_ENKUlT_T0_E_clISt17integral_constantIbLb1EES18_EEDaS13_S14_EUlS13_E_NS1_11comp_targetILNS1_3genE4ELNS1_11target_archE910ELNS1_3gpuE8ELNS1_3repE0EEENS1_30default_config_static_selectorELNS0_4arch9wavefront6targetE0EEEvT1_
    .private_segment_fixed_size: 0
    .sgpr_count:     0
    .sgpr_spill_count: 0
    .symbol:         _ZN7rocprim17ROCPRIM_400000_NS6detail17trampoline_kernelINS0_14default_configENS1_25partition_config_selectorILNS1_17partition_subalgoE6EjNS0_10empty_typeEbEEZZNS1_14partition_implILS5_6ELb0ES3_mN6thrust23THRUST_200600_302600_NS6detail15normal_iteratorINSA_10device_ptrIjEEEEPS6_SG_NS0_5tupleIJSF_S6_EEENSH_IJSG_SG_EEES6_PlJNSB_9not_fun_tI7is_trueIjEEEEEE10hipError_tPvRmT3_T4_T5_T6_T7_T9_mT8_P12ihipStream_tbDpT10_ENKUlT_T0_E_clISt17integral_constantIbLb1EES18_EEDaS13_S14_EUlS13_E_NS1_11comp_targetILNS1_3genE4ELNS1_11target_archE910ELNS1_3gpuE8ELNS1_3repE0EEENS1_30default_config_static_selectorELNS0_4arch9wavefront6targetE0EEEvT1_.kd
    .uniform_work_group_size: 1
    .uses_dynamic_stack: false
    .vgpr_count:     0
    .vgpr_spill_count: 0
    .wavefront_size: 32
    .workgroup_processor_mode: 1
  - .args:
      - .offset:         0
        .size:           128
        .value_kind:     by_value
    .group_segment_fixed_size: 0
    .kernarg_segment_align: 8
    .kernarg_segment_size: 128
    .language:       OpenCL C
    .language_version:
      - 2
      - 0
    .max_flat_workgroup_size: 256
    .name:           _ZN7rocprim17ROCPRIM_400000_NS6detail17trampoline_kernelINS0_14default_configENS1_25partition_config_selectorILNS1_17partition_subalgoE6EjNS0_10empty_typeEbEEZZNS1_14partition_implILS5_6ELb0ES3_mN6thrust23THRUST_200600_302600_NS6detail15normal_iteratorINSA_10device_ptrIjEEEEPS6_SG_NS0_5tupleIJSF_S6_EEENSH_IJSG_SG_EEES6_PlJNSB_9not_fun_tI7is_trueIjEEEEEE10hipError_tPvRmT3_T4_T5_T6_T7_T9_mT8_P12ihipStream_tbDpT10_ENKUlT_T0_E_clISt17integral_constantIbLb1EES18_EEDaS13_S14_EUlS13_E_NS1_11comp_targetILNS1_3genE3ELNS1_11target_archE908ELNS1_3gpuE7ELNS1_3repE0EEENS1_30default_config_static_selectorELNS0_4arch9wavefront6targetE0EEEvT1_
    .private_segment_fixed_size: 0
    .sgpr_count:     0
    .sgpr_spill_count: 0
    .symbol:         _ZN7rocprim17ROCPRIM_400000_NS6detail17trampoline_kernelINS0_14default_configENS1_25partition_config_selectorILNS1_17partition_subalgoE6EjNS0_10empty_typeEbEEZZNS1_14partition_implILS5_6ELb0ES3_mN6thrust23THRUST_200600_302600_NS6detail15normal_iteratorINSA_10device_ptrIjEEEEPS6_SG_NS0_5tupleIJSF_S6_EEENSH_IJSG_SG_EEES6_PlJNSB_9not_fun_tI7is_trueIjEEEEEE10hipError_tPvRmT3_T4_T5_T6_T7_T9_mT8_P12ihipStream_tbDpT10_ENKUlT_T0_E_clISt17integral_constantIbLb1EES18_EEDaS13_S14_EUlS13_E_NS1_11comp_targetILNS1_3genE3ELNS1_11target_archE908ELNS1_3gpuE7ELNS1_3repE0EEENS1_30default_config_static_selectorELNS0_4arch9wavefront6targetE0EEEvT1_.kd
    .uniform_work_group_size: 1
    .uses_dynamic_stack: false
    .vgpr_count:     0
    .vgpr_spill_count: 0
    .wavefront_size: 32
    .workgroup_processor_mode: 1
  - .args:
      - .offset:         0
        .size:           128
        .value_kind:     by_value
    .group_segment_fixed_size: 0
    .kernarg_segment_align: 8
    .kernarg_segment_size: 128
    .language:       OpenCL C
    .language_version:
      - 2
      - 0
    .max_flat_workgroup_size: 192
    .name:           _ZN7rocprim17ROCPRIM_400000_NS6detail17trampoline_kernelINS0_14default_configENS1_25partition_config_selectorILNS1_17partition_subalgoE6EjNS0_10empty_typeEbEEZZNS1_14partition_implILS5_6ELb0ES3_mN6thrust23THRUST_200600_302600_NS6detail15normal_iteratorINSA_10device_ptrIjEEEEPS6_SG_NS0_5tupleIJSF_S6_EEENSH_IJSG_SG_EEES6_PlJNSB_9not_fun_tI7is_trueIjEEEEEE10hipError_tPvRmT3_T4_T5_T6_T7_T9_mT8_P12ihipStream_tbDpT10_ENKUlT_T0_E_clISt17integral_constantIbLb1EES18_EEDaS13_S14_EUlS13_E_NS1_11comp_targetILNS1_3genE2ELNS1_11target_archE906ELNS1_3gpuE6ELNS1_3repE0EEENS1_30default_config_static_selectorELNS0_4arch9wavefront6targetE0EEEvT1_
    .private_segment_fixed_size: 0
    .sgpr_count:     0
    .sgpr_spill_count: 0
    .symbol:         _ZN7rocprim17ROCPRIM_400000_NS6detail17trampoline_kernelINS0_14default_configENS1_25partition_config_selectorILNS1_17partition_subalgoE6EjNS0_10empty_typeEbEEZZNS1_14partition_implILS5_6ELb0ES3_mN6thrust23THRUST_200600_302600_NS6detail15normal_iteratorINSA_10device_ptrIjEEEEPS6_SG_NS0_5tupleIJSF_S6_EEENSH_IJSG_SG_EEES6_PlJNSB_9not_fun_tI7is_trueIjEEEEEE10hipError_tPvRmT3_T4_T5_T6_T7_T9_mT8_P12ihipStream_tbDpT10_ENKUlT_T0_E_clISt17integral_constantIbLb1EES18_EEDaS13_S14_EUlS13_E_NS1_11comp_targetILNS1_3genE2ELNS1_11target_archE906ELNS1_3gpuE6ELNS1_3repE0EEENS1_30default_config_static_selectorELNS0_4arch9wavefront6targetE0EEEvT1_.kd
    .uniform_work_group_size: 1
    .uses_dynamic_stack: false
    .vgpr_count:     0
    .vgpr_spill_count: 0
    .wavefront_size: 32
    .workgroup_processor_mode: 1
  - .args:
      - .offset:         0
        .size:           128
        .value_kind:     by_value
    .group_segment_fixed_size: 0
    .kernarg_segment_align: 8
    .kernarg_segment_size: 128
    .language:       OpenCL C
    .language_version:
      - 2
      - 0
    .max_flat_workgroup_size: 384
    .name:           _ZN7rocprim17ROCPRIM_400000_NS6detail17trampoline_kernelINS0_14default_configENS1_25partition_config_selectorILNS1_17partition_subalgoE6EjNS0_10empty_typeEbEEZZNS1_14partition_implILS5_6ELb0ES3_mN6thrust23THRUST_200600_302600_NS6detail15normal_iteratorINSA_10device_ptrIjEEEEPS6_SG_NS0_5tupleIJSF_S6_EEENSH_IJSG_SG_EEES6_PlJNSB_9not_fun_tI7is_trueIjEEEEEE10hipError_tPvRmT3_T4_T5_T6_T7_T9_mT8_P12ihipStream_tbDpT10_ENKUlT_T0_E_clISt17integral_constantIbLb1EES18_EEDaS13_S14_EUlS13_E_NS1_11comp_targetILNS1_3genE10ELNS1_11target_archE1200ELNS1_3gpuE4ELNS1_3repE0EEENS1_30default_config_static_selectorELNS0_4arch9wavefront6targetE0EEEvT1_
    .private_segment_fixed_size: 0
    .sgpr_count:     0
    .sgpr_spill_count: 0
    .symbol:         _ZN7rocprim17ROCPRIM_400000_NS6detail17trampoline_kernelINS0_14default_configENS1_25partition_config_selectorILNS1_17partition_subalgoE6EjNS0_10empty_typeEbEEZZNS1_14partition_implILS5_6ELb0ES3_mN6thrust23THRUST_200600_302600_NS6detail15normal_iteratorINSA_10device_ptrIjEEEEPS6_SG_NS0_5tupleIJSF_S6_EEENSH_IJSG_SG_EEES6_PlJNSB_9not_fun_tI7is_trueIjEEEEEE10hipError_tPvRmT3_T4_T5_T6_T7_T9_mT8_P12ihipStream_tbDpT10_ENKUlT_T0_E_clISt17integral_constantIbLb1EES18_EEDaS13_S14_EUlS13_E_NS1_11comp_targetILNS1_3genE10ELNS1_11target_archE1200ELNS1_3gpuE4ELNS1_3repE0EEENS1_30default_config_static_selectorELNS0_4arch9wavefront6targetE0EEEvT1_.kd
    .uniform_work_group_size: 1
    .uses_dynamic_stack: false
    .vgpr_count:     0
    .vgpr_spill_count: 0
    .wavefront_size: 32
    .workgroup_processor_mode: 1
  - .args:
      - .offset:         0
        .size:           128
        .value_kind:     by_value
    .group_segment_fixed_size: 0
    .kernarg_segment_align: 8
    .kernarg_segment_size: 128
    .language:       OpenCL C
    .language_version:
      - 2
      - 0
    .max_flat_workgroup_size: 128
    .name:           _ZN7rocprim17ROCPRIM_400000_NS6detail17trampoline_kernelINS0_14default_configENS1_25partition_config_selectorILNS1_17partition_subalgoE6EjNS0_10empty_typeEbEEZZNS1_14partition_implILS5_6ELb0ES3_mN6thrust23THRUST_200600_302600_NS6detail15normal_iteratorINSA_10device_ptrIjEEEEPS6_SG_NS0_5tupleIJSF_S6_EEENSH_IJSG_SG_EEES6_PlJNSB_9not_fun_tI7is_trueIjEEEEEE10hipError_tPvRmT3_T4_T5_T6_T7_T9_mT8_P12ihipStream_tbDpT10_ENKUlT_T0_E_clISt17integral_constantIbLb1EES18_EEDaS13_S14_EUlS13_E_NS1_11comp_targetILNS1_3genE9ELNS1_11target_archE1100ELNS1_3gpuE3ELNS1_3repE0EEENS1_30default_config_static_selectorELNS0_4arch9wavefront6targetE0EEEvT1_
    .private_segment_fixed_size: 0
    .sgpr_count:     0
    .sgpr_spill_count: 0
    .symbol:         _ZN7rocprim17ROCPRIM_400000_NS6detail17trampoline_kernelINS0_14default_configENS1_25partition_config_selectorILNS1_17partition_subalgoE6EjNS0_10empty_typeEbEEZZNS1_14partition_implILS5_6ELb0ES3_mN6thrust23THRUST_200600_302600_NS6detail15normal_iteratorINSA_10device_ptrIjEEEEPS6_SG_NS0_5tupleIJSF_S6_EEENSH_IJSG_SG_EEES6_PlJNSB_9not_fun_tI7is_trueIjEEEEEE10hipError_tPvRmT3_T4_T5_T6_T7_T9_mT8_P12ihipStream_tbDpT10_ENKUlT_T0_E_clISt17integral_constantIbLb1EES18_EEDaS13_S14_EUlS13_E_NS1_11comp_targetILNS1_3genE9ELNS1_11target_archE1100ELNS1_3gpuE3ELNS1_3repE0EEENS1_30default_config_static_selectorELNS0_4arch9wavefront6targetE0EEEvT1_.kd
    .uniform_work_group_size: 1
    .uses_dynamic_stack: false
    .vgpr_count:     0
    .vgpr_spill_count: 0
    .wavefront_size: 32
    .workgroup_processor_mode: 1
  - .args:
      - .offset:         0
        .size:           128
        .value_kind:     by_value
    .group_segment_fixed_size: 0
    .kernarg_segment_align: 8
    .kernarg_segment_size: 128
    .language:       OpenCL C
    .language_version:
      - 2
      - 0
    .max_flat_workgroup_size: 512
    .name:           _ZN7rocprim17ROCPRIM_400000_NS6detail17trampoline_kernelINS0_14default_configENS1_25partition_config_selectorILNS1_17partition_subalgoE6EjNS0_10empty_typeEbEEZZNS1_14partition_implILS5_6ELb0ES3_mN6thrust23THRUST_200600_302600_NS6detail15normal_iteratorINSA_10device_ptrIjEEEEPS6_SG_NS0_5tupleIJSF_S6_EEENSH_IJSG_SG_EEES6_PlJNSB_9not_fun_tI7is_trueIjEEEEEE10hipError_tPvRmT3_T4_T5_T6_T7_T9_mT8_P12ihipStream_tbDpT10_ENKUlT_T0_E_clISt17integral_constantIbLb1EES18_EEDaS13_S14_EUlS13_E_NS1_11comp_targetILNS1_3genE8ELNS1_11target_archE1030ELNS1_3gpuE2ELNS1_3repE0EEENS1_30default_config_static_selectorELNS0_4arch9wavefront6targetE0EEEvT1_
    .private_segment_fixed_size: 0
    .sgpr_count:     0
    .sgpr_spill_count: 0
    .symbol:         _ZN7rocprim17ROCPRIM_400000_NS6detail17trampoline_kernelINS0_14default_configENS1_25partition_config_selectorILNS1_17partition_subalgoE6EjNS0_10empty_typeEbEEZZNS1_14partition_implILS5_6ELb0ES3_mN6thrust23THRUST_200600_302600_NS6detail15normal_iteratorINSA_10device_ptrIjEEEEPS6_SG_NS0_5tupleIJSF_S6_EEENSH_IJSG_SG_EEES6_PlJNSB_9not_fun_tI7is_trueIjEEEEEE10hipError_tPvRmT3_T4_T5_T6_T7_T9_mT8_P12ihipStream_tbDpT10_ENKUlT_T0_E_clISt17integral_constantIbLb1EES18_EEDaS13_S14_EUlS13_E_NS1_11comp_targetILNS1_3genE8ELNS1_11target_archE1030ELNS1_3gpuE2ELNS1_3repE0EEENS1_30default_config_static_selectorELNS0_4arch9wavefront6targetE0EEEvT1_.kd
    .uniform_work_group_size: 1
    .uses_dynamic_stack: false
    .vgpr_count:     0
    .vgpr_spill_count: 0
    .wavefront_size: 32
    .workgroup_processor_mode: 1
  - .args:
      - .offset:         0
        .size:           112
        .value_kind:     by_value
    .group_segment_fixed_size: 0
    .kernarg_segment_align: 8
    .kernarg_segment_size: 112
    .language:       OpenCL C
    .language_version:
      - 2
      - 0
    .max_flat_workgroup_size: 256
    .name:           _ZN7rocprim17ROCPRIM_400000_NS6detail17trampoline_kernelINS0_14default_configENS1_25partition_config_selectorILNS1_17partition_subalgoE6EjNS0_10empty_typeEbEEZZNS1_14partition_implILS5_6ELb0ES3_mN6thrust23THRUST_200600_302600_NS6detail15normal_iteratorINSA_10device_ptrIjEEEEPS6_SG_NS0_5tupleIJSF_S6_EEENSH_IJSG_SG_EEES6_PlJNSB_9not_fun_tI7is_trueIjEEEEEE10hipError_tPvRmT3_T4_T5_T6_T7_T9_mT8_P12ihipStream_tbDpT10_ENKUlT_T0_E_clISt17integral_constantIbLb1EES17_IbLb0EEEEDaS13_S14_EUlS13_E_NS1_11comp_targetILNS1_3genE0ELNS1_11target_archE4294967295ELNS1_3gpuE0ELNS1_3repE0EEENS1_30default_config_static_selectorELNS0_4arch9wavefront6targetE0EEEvT1_
    .private_segment_fixed_size: 0
    .sgpr_count:     0
    .sgpr_spill_count: 0
    .symbol:         _ZN7rocprim17ROCPRIM_400000_NS6detail17trampoline_kernelINS0_14default_configENS1_25partition_config_selectorILNS1_17partition_subalgoE6EjNS0_10empty_typeEbEEZZNS1_14partition_implILS5_6ELb0ES3_mN6thrust23THRUST_200600_302600_NS6detail15normal_iteratorINSA_10device_ptrIjEEEEPS6_SG_NS0_5tupleIJSF_S6_EEENSH_IJSG_SG_EEES6_PlJNSB_9not_fun_tI7is_trueIjEEEEEE10hipError_tPvRmT3_T4_T5_T6_T7_T9_mT8_P12ihipStream_tbDpT10_ENKUlT_T0_E_clISt17integral_constantIbLb1EES17_IbLb0EEEEDaS13_S14_EUlS13_E_NS1_11comp_targetILNS1_3genE0ELNS1_11target_archE4294967295ELNS1_3gpuE0ELNS1_3repE0EEENS1_30default_config_static_selectorELNS0_4arch9wavefront6targetE0EEEvT1_.kd
    .uniform_work_group_size: 1
    .uses_dynamic_stack: false
    .vgpr_count:     0
    .vgpr_spill_count: 0
    .wavefront_size: 32
    .workgroup_processor_mode: 1
  - .args:
      - .offset:         0
        .size:           112
        .value_kind:     by_value
    .group_segment_fixed_size: 0
    .kernarg_segment_align: 8
    .kernarg_segment_size: 112
    .language:       OpenCL C
    .language_version:
      - 2
      - 0
    .max_flat_workgroup_size: 512
    .name:           _ZN7rocprim17ROCPRIM_400000_NS6detail17trampoline_kernelINS0_14default_configENS1_25partition_config_selectorILNS1_17partition_subalgoE6EjNS0_10empty_typeEbEEZZNS1_14partition_implILS5_6ELb0ES3_mN6thrust23THRUST_200600_302600_NS6detail15normal_iteratorINSA_10device_ptrIjEEEEPS6_SG_NS0_5tupleIJSF_S6_EEENSH_IJSG_SG_EEES6_PlJNSB_9not_fun_tI7is_trueIjEEEEEE10hipError_tPvRmT3_T4_T5_T6_T7_T9_mT8_P12ihipStream_tbDpT10_ENKUlT_T0_E_clISt17integral_constantIbLb1EES17_IbLb0EEEEDaS13_S14_EUlS13_E_NS1_11comp_targetILNS1_3genE5ELNS1_11target_archE942ELNS1_3gpuE9ELNS1_3repE0EEENS1_30default_config_static_selectorELNS0_4arch9wavefront6targetE0EEEvT1_
    .private_segment_fixed_size: 0
    .sgpr_count:     0
    .sgpr_spill_count: 0
    .symbol:         _ZN7rocprim17ROCPRIM_400000_NS6detail17trampoline_kernelINS0_14default_configENS1_25partition_config_selectorILNS1_17partition_subalgoE6EjNS0_10empty_typeEbEEZZNS1_14partition_implILS5_6ELb0ES3_mN6thrust23THRUST_200600_302600_NS6detail15normal_iteratorINSA_10device_ptrIjEEEEPS6_SG_NS0_5tupleIJSF_S6_EEENSH_IJSG_SG_EEES6_PlJNSB_9not_fun_tI7is_trueIjEEEEEE10hipError_tPvRmT3_T4_T5_T6_T7_T9_mT8_P12ihipStream_tbDpT10_ENKUlT_T0_E_clISt17integral_constantIbLb1EES17_IbLb0EEEEDaS13_S14_EUlS13_E_NS1_11comp_targetILNS1_3genE5ELNS1_11target_archE942ELNS1_3gpuE9ELNS1_3repE0EEENS1_30default_config_static_selectorELNS0_4arch9wavefront6targetE0EEEvT1_.kd
    .uniform_work_group_size: 1
    .uses_dynamic_stack: false
    .vgpr_count:     0
    .vgpr_spill_count: 0
    .wavefront_size: 32
    .workgroup_processor_mode: 1
  - .args:
      - .offset:         0
        .size:           112
        .value_kind:     by_value
    .group_segment_fixed_size: 0
    .kernarg_segment_align: 8
    .kernarg_segment_size: 112
    .language:       OpenCL C
    .language_version:
      - 2
      - 0
    .max_flat_workgroup_size: 512
    .name:           _ZN7rocprim17ROCPRIM_400000_NS6detail17trampoline_kernelINS0_14default_configENS1_25partition_config_selectorILNS1_17partition_subalgoE6EjNS0_10empty_typeEbEEZZNS1_14partition_implILS5_6ELb0ES3_mN6thrust23THRUST_200600_302600_NS6detail15normal_iteratorINSA_10device_ptrIjEEEEPS6_SG_NS0_5tupleIJSF_S6_EEENSH_IJSG_SG_EEES6_PlJNSB_9not_fun_tI7is_trueIjEEEEEE10hipError_tPvRmT3_T4_T5_T6_T7_T9_mT8_P12ihipStream_tbDpT10_ENKUlT_T0_E_clISt17integral_constantIbLb1EES17_IbLb0EEEEDaS13_S14_EUlS13_E_NS1_11comp_targetILNS1_3genE4ELNS1_11target_archE910ELNS1_3gpuE8ELNS1_3repE0EEENS1_30default_config_static_selectorELNS0_4arch9wavefront6targetE0EEEvT1_
    .private_segment_fixed_size: 0
    .sgpr_count:     0
    .sgpr_spill_count: 0
    .symbol:         _ZN7rocprim17ROCPRIM_400000_NS6detail17trampoline_kernelINS0_14default_configENS1_25partition_config_selectorILNS1_17partition_subalgoE6EjNS0_10empty_typeEbEEZZNS1_14partition_implILS5_6ELb0ES3_mN6thrust23THRUST_200600_302600_NS6detail15normal_iteratorINSA_10device_ptrIjEEEEPS6_SG_NS0_5tupleIJSF_S6_EEENSH_IJSG_SG_EEES6_PlJNSB_9not_fun_tI7is_trueIjEEEEEE10hipError_tPvRmT3_T4_T5_T6_T7_T9_mT8_P12ihipStream_tbDpT10_ENKUlT_T0_E_clISt17integral_constantIbLb1EES17_IbLb0EEEEDaS13_S14_EUlS13_E_NS1_11comp_targetILNS1_3genE4ELNS1_11target_archE910ELNS1_3gpuE8ELNS1_3repE0EEENS1_30default_config_static_selectorELNS0_4arch9wavefront6targetE0EEEvT1_.kd
    .uniform_work_group_size: 1
    .uses_dynamic_stack: false
    .vgpr_count:     0
    .vgpr_spill_count: 0
    .wavefront_size: 32
    .workgroup_processor_mode: 1
  - .args:
      - .offset:         0
        .size:           112
        .value_kind:     by_value
    .group_segment_fixed_size: 0
    .kernarg_segment_align: 8
    .kernarg_segment_size: 112
    .language:       OpenCL C
    .language_version:
      - 2
      - 0
    .max_flat_workgroup_size: 256
    .name:           _ZN7rocprim17ROCPRIM_400000_NS6detail17trampoline_kernelINS0_14default_configENS1_25partition_config_selectorILNS1_17partition_subalgoE6EjNS0_10empty_typeEbEEZZNS1_14partition_implILS5_6ELb0ES3_mN6thrust23THRUST_200600_302600_NS6detail15normal_iteratorINSA_10device_ptrIjEEEEPS6_SG_NS0_5tupleIJSF_S6_EEENSH_IJSG_SG_EEES6_PlJNSB_9not_fun_tI7is_trueIjEEEEEE10hipError_tPvRmT3_T4_T5_T6_T7_T9_mT8_P12ihipStream_tbDpT10_ENKUlT_T0_E_clISt17integral_constantIbLb1EES17_IbLb0EEEEDaS13_S14_EUlS13_E_NS1_11comp_targetILNS1_3genE3ELNS1_11target_archE908ELNS1_3gpuE7ELNS1_3repE0EEENS1_30default_config_static_selectorELNS0_4arch9wavefront6targetE0EEEvT1_
    .private_segment_fixed_size: 0
    .sgpr_count:     0
    .sgpr_spill_count: 0
    .symbol:         _ZN7rocprim17ROCPRIM_400000_NS6detail17trampoline_kernelINS0_14default_configENS1_25partition_config_selectorILNS1_17partition_subalgoE6EjNS0_10empty_typeEbEEZZNS1_14partition_implILS5_6ELb0ES3_mN6thrust23THRUST_200600_302600_NS6detail15normal_iteratorINSA_10device_ptrIjEEEEPS6_SG_NS0_5tupleIJSF_S6_EEENSH_IJSG_SG_EEES6_PlJNSB_9not_fun_tI7is_trueIjEEEEEE10hipError_tPvRmT3_T4_T5_T6_T7_T9_mT8_P12ihipStream_tbDpT10_ENKUlT_T0_E_clISt17integral_constantIbLb1EES17_IbLb0EEEEDaS13_S14_EUlS13_E_NS1_11comp_targetILNS1_3genE3ELNS1_11target_archE908ELNS1_3gpuE7ELNS1_3repE0EEENS1_30default_config_static_selectorELNS0_4arch9wavefront6targetE0EEEvT1_.kd
    .uniform_work_group_size: 1
    .uses_dynamic_stack: false
    .vgpr_count:     0
    .vgpr_spill_count: 0
    .wavefront_size: 32
    .workgroup_processor_mode: 1
  - .args:
      - .offset:         0
        .size:           112
        .value_kind:     by_value
    .group_segment_fixed_size: 0
    .kernarg_segment_align: 8
    .kernarg_segment_size: 112
    .language:       OpenCL C
    .language_version:
      - 2
      - 0
    .max_flat_workgroup_size: 192
    .name:           _ZN7rocprim17ROCPRIM_400000_NS6detail17trampoline_kernelINS0_14default_configENS1_25partition_config_selectorILNS1_17partition_subalgoE6EjNS0_10empty_typeEbEEZZNS1_14partition_implILS5_6ELb0ES3_mN6thrust23THRUST_200600_302600_NS6detail15normal_iteratorINSA_10device_ptrIjEEEEPS6_SG_NS0_5tupleIJSF_S6_EEENSH_IJSG_SG_EEES6_PlJNSB_9not_fun_tI7is_trueIjEEEEEE10hipError_tPvRmT3_T4_T5_T6_T7_T9_mT8_P12ihipStream_tbDpT10_ENKUlT_T0_E_clISt17integral_constantIbLb1EES17_IbLb0EEEEDaS13_S14_EUlS13_E_NS1_11comp_targetILNS1_3genE2ELNS1_11target_archE906ELNS1_3gpuE6ELNS1_3repE0EEENS1_30default_config_static_selectorELNS0_4arch9wavefront6targetE0EEEvT1_
    .private_segment_fixed_size: 0
    .sgpr_count:     0
    .sgpr_spill_count: 0
    .symbol:         _ZN7rocprim17ROCPRIM_400000_NS6detail17trampoline_kernelINS0_14default_configENS1_25partition_config_selectorILNS1_17partition_subalgoE6EjNS0_10empty_typeEbEEZZNS1_14partition_implILS5_6ELb0ES3_mN6thrust23THRUST_200600_302600_NS6detail15normal_iteratorINSA_10device_ptrIjEEEEPS6_SG_NS0_5tupleIJSF_S6_EEENSH_IJSG_SG_EEES6_PlJNSB_9not_fun_tI7is_trueIjEEEEEE10hipError_tPvRmT3_T4_T5_T6_T7_T9_mT8_P12ihipStream_tbDpT10_ENKUlT_T0_E_clISt17integral_constantIbLb1EES17_IbLb0EEEEDaS13_S14_EUlS13_E_NS1_11comp_targetILNS1_3genE2ELNS1_11target_archE906ELNS1_3gpuE6ELNS1_3repE0EEENS1_30default_config_static_selectorELNS0_4arch9wavefront6targetE0EEEvT1_.kd
    .uniform_work_group_size: 1
    .uses_dynamic_stack: false
    .vgpr_count:     0
    .vgpr_spill_count: 0
    .wavefront_size: 32
    .workgroup_processor_mode: 1
  - .args:
      - .offset:         0
        .size:           112
        .value_kind:     by_value
    .group_segment_fixed_size: 0
    .kernarg_segment_align: 8
    .kernarg_segment_size: 112
    .language:       OpenCL C
    .language_version:
      - 2
      - 0
    .max_flat_workgroup_size: 384
    .name:           _ZN7rocprim17ROCPRIM_400000_NS6detail17trampoline_kernelINS0_14default_configENS1_25partition_config_selectorILNS1_17partition_subalgoE6EjNS0_10empty_typeEbEEZZNS1_14partition_implILS5_6ELb0ES3_mN6thrust23THRUST_200600_302600_NS6detail15normal_iteratorINSA_10device_ptrIjEEEEPS6_SG_NS0_5tupleIJSF_S6_EEENSH_IJSG_SG_EEES6_PlJNSB_9not_fun_tI7is_trueIjEEEEEE10hipError_tPvRmT3_T4_T5_T6_T7_T9_mT8_P12ihipStream_tbDpT10_ENKUlT_T0_E_clISt17integral_constantIbLb1EES17_IbLb0EEEEDaS13_S14_EUlS13_E_NS1_11comp_targetILNS1_3genE10ELNS1_11target_archE1200ELNS1_3gpuE4ELNS1_3repE0EEENS1_30default_config_static_selectorELNS0_4arch9wavefront6targetE0EEEvT1_
    .private_segment_fixed_size: 0
    .sgpr_count:     0
    .sgpr_spill_count: 0
    .symbol:         _ZN7rocprim17ROCPRIM_400000_NS6detail17trampoline_kernelINS0_14default_configENS1_25partition_config_selectorILNS1_17partition_subalgoE6EjNS0_10empty_typeEbEEZZNS1_14partition_implILS5_6ELb0ES3_mN6thrust23THRUST_200600_302600_NS6detail15normal_iteratorINSA_10device_ptrIjEEEEPS6_SG_NS0_5tupleIJSF_S6_EEENSH_IJSG_SG_EEES6_PlJNSB_9not_fun_tI7is_trueIjEEEEEE10hipError_tPvRmT3_T4_T5_T6_T7_T9_mT8_P12ihipStream_tbDpT10_ENKUlT_T0_E_clISt17integral_constantIbLb1EES17_IbLb0EEEEDaS13_S14_EUlS13_E_NS1_11comp_targetILNS1_3genE10ELNS1_11target_archE1200ELNS1_3gpuE4ELNS1_3repE0EEENS1_30default_config_static_selectorELNS0_4arch9wavefront6targetE0EEEvT1_.kd
    .uniform_work_group_size: 1
    .uses_dynamic_stack: false
    .vgpr_count:     0
    .vgpr_spill_count: 0
    .wavefront_size: 32
    .workgroup_processor_mode: 1
  - .args:
      - .offset:         0
        .size:           112
        .value_kind:     by_value
    .group_segment_fixed_size: 0
    .kernarg_segment_align: 8
    .kernarg_segment_size: 112
    .language:       OpenCL C
    .language_version:
      - 2
      - 0
    .max_flat_workgroup_size: 128
    .name:           _ZN7rocprim17ROCPRIM_400000_NS6detail17trampoline_kernelINS0_14default_configENS1_25partition_config_selectorILNS1_17partition_subalgoE6EjNS0_10empty_typeEbEEZZNS1_14partition_implILS5_6ELb0ES3_mN6thrust23THRUST_200600_302600_NS6detail15normal_iteratorINSA_10device_ptrIjEEEEPS6_SG_NS0_5tupleIJSF_S6_EEENSH_IJSG_SG_EEES6_PlJNSB_9not_fun_tI7is_trueIjEEEEEE10hipError_tPvRmT3_T4_T5_T6_T7_T9_mT8_P12ihipStream_tbDpT10_ENKUlT_T0_E_clISt17integral_constantIbLb1EES17_IbLb0EEEEDaS13_S14_EUlS13_E_NS1_11comp_targetILNS1_3genE9ELNS1_11target_archE1100ELNS1_3gpuE3ELNS1_3repE0EEENS1_30default_config_static_selectorELNS0_4arch9wavefront6targetE0EEEvT1_
    .private_segment_fixed_size: 0
    .sgpr_count:     0
    .sgpr_spill_count: 0
    .symbol:         _ZN7rocprim17ROCPRIM_400000_NS6detail17trampoline_kernelINS0_14default_configENS1_25partition_config_selectorILNS1_17partition_subalgoE6EjNS0_10empty_typeEbEEZZNS1_14partition_implILS5_6ELb0ES3_mN6thrust23THRUST_200600_302600_NS6detail15normal_iteratorINSA_10device_ptrIjEEEEPS6_SG_NS0_5tupleIJSF_S6_EEENSH_IJSG_SG_EEES6_PlJNSB_9not_fun_tI7is_trueIjEEEEEE10hipError_tPvRmT3_T4_T5_T6_T7_T9_mT8_P12ihipStream_tbDpT10_ENKUlT_T0_E_clISt17integral_constantIbLb1EES17_IbLb0EEEEDaS13_S14_EUlS13_E_NS1_11comp_targetILNS1_3genE9ELNS1_11target_archE1100ELNS1_3gpuE3ELNS1_3repE0EEENS1_30default_config_static_selectorELNS0_4arch9wavefront6targetE0EEEvT1_.kd
    .uniform_work_group_size: 1
    .uses_dynamic_stack: false
    .vgpr_count:     0
    .vgpr_spill_count: 0
    .wavefront_size: 32
    .workgroup_processor_mode: 1
  - .args:
      - .offset:         0
        .size:           112
        .value_kind:     by_value
    .group_segment_fixed_size: 0
    .kernarg_segment_align: 8
    .kernarg_segment_size: 112
    .language:       OpenCL C
    .language_version:
      - 2
      - 0
    .max_flat_workgroup_size: 512
    .name:           _ZN7rocprim17ROCPRIM_400000_NS6detail17trampoline_kernelINS0_14default_configENS1_25partition_config_selectorILNS1_17partition_subalgoE6EjNS0_10empty_typeEbEEZZNS1_14partition_implILS5_6ELb0ES3_mN6thrust23THRUST_200600_302600_NS6detail15normal_iteratorINSA_10device_ptrIjEEEEPS6_SG_NS0_5tupleIJSF_S6_EEENSH_IJSG_SG_EEES6_PlJNSB_9not_fun_tI7is_trueIjEEEEEE10hipError_tPvRmT3_T4_T5_T6_T7_T9_mT8_P12ihipStream_tbDpT10_ENKUlT_T0_E_clISt17integral_constantIbLb1EES17_IbLb0EEEEDaS13_S14_EUlS13_E_NS1_11comp_targetILNS1_3genE8ELNS1_11target_archE1030ELNS1_3gpuE2ELNS1_3repE0EEENS1_30default_config_static_selectorELNS0_4arch9wavefront6targetE0EEEvT1_
    .private_segment_fixed_size: 0
    .sgpr_count:     0
    .sgpr_spill_count: 0
    .symbol:         _ZN7rocprim17ROCPRIM_400000_NS6detail17trampoline_kernelINS0_14default_configENS1_25partition_config_selectorILNS1_17partition_subalgoE6EjNS0_10empty_typeEbEEZZNS1_14partition_implILS5_6ELb0ES3_mN6thrust23THRUST_200600_302600_NS6detail15normal_iteratorINSA_10device_ptrIjEEEEPS6_SG_NS0_5tupleIJSF_S6_EEENSH_IJSG_SG_EEES6_PlJNSB_9not_fun_tI7is_trueIjEEEEEE10hipError_tPvRmT3_T4_T5_T6_T7_T9_mT8_P12ihipStream_tbDpT10_ENKUlT_T0_E_clISt17integral_constantIbLb1EES17_IbLb0EEEEDaS13_S14_EUlS13_E_NS1_11comp_targetILNS1_3genE8ELNS1_11target_archE1030ELNS1_3gpuE2ELNS1_3repE0EEENS1_30default_config_static_selectorELNS0_4arch9wavefront6targetE0EEEvT1_.kd
    .uniform_work_group_size: 1
    .uses_dynamic_stack: false
    .vgpr_count:     0
    .vgpr_spill_count: 0
    .wavefront_size: 32
    .workgroup_processor_mode: 1
  - .args:
      - .offset:         0
        .size:           128
        .value_kind:     by_value
    .group_segment_fixed_size: 0
    .kernarg_segment_align: 8
    .kernarg_segment_size: 128
    .language:       OpenCL C
    .language_version:
      - 2
      - 0
    .max_flat_workgroup_size: 256
    .name:           _ZN7rocprim17ROCPRIM_400000_NS6detail17trampoline_kernelINS0_14default_configENS1_25partition_config_selectorILNS1_17partition_subalgoE6EjNS0_10empty_typeEbEEZZNS1_14partition_implILS5_6ELb0ES3_mN6thrust23THRUST_200600_302600_NS6detail15normal_iteratorINSA_10device_ptrIjEEEEPS6_SG_NS0_5tupleIJSF_S6_EEENSH_IJSG_SG_EEES6_PlJNSB_9not_fun_tI7is_trueIjEEEEEE10hipError_tPvRmT3_T4_T5_T6_T7_T9_mT8_P12ihipStream_tbDpT10_ENKUlT_T0_E_clISt17integral_constantIbLb0EES17_IbLb1EEEEDaS13_S14_EUlS13_E_NS1_11comp_targetILNS1_3genE0ELNS1_11target_archE4294967295ELNS1_3gpuE0ELNS1_3repE0EEENS1_30default_config_static_selectorELNS0_4arch9wavefront6targetE0EEEvT1_
    .private_segment_fixed_size: 0
    .sgpr_count:     0
    .sgpr_spill_count: 0
    .symbol:         _ZN7rocprim17ROCPRIM_400000_NS6detail17trampoline_kernelINS0_14default_configENS1_25partition_config_selectorILNS1_17partition_subalgoE6EjNS0_10empty_typeEbEEZZNS1_14partition_implILS5_6ELb0ES3_mN6thrust23THRUST_200600_302600_NS6detail15normal_iteratorINSA_10device_ptrIjEEEEPS6_SG_NS0_5tupleIJSF_S6_EEENSH_IJSG_SG_EEES6_PlJNSB_9not_fun_tI7is_trueIjEEEEEE10hipError_tPvRmT3_T4_T5_T6_T7_T9_mT8_P12ihipStream_tbDpT10_ENKUlT_T0_E_clISt17integral_constantIbLb0EES17_IbLb1EEEEDaS13_S14_EUlS13_E_NS1_11comp_targetILNS1_3genE0ELNS1_11target_archE4294967295ELNS1_3gpuE0ELNS1_3repE0EEENS1_30default_config_static_selectorELNS0_4arch9wavefront6targetE0EEEvT1_.kd
    .uniform_work_group_size: 1
    .uses_dynamic_stack: false
    .vgpr_count:     0
    .vgpr_spill_count: 0
    .wavefront_size: 32
    .workgroup_processor_mode: 1
  - .args:
      - .offset:         0
        .size:           128
        .value_kind:     by_value
    .group_segment_fixed_size: 0
    .kernarg_segment_align: 8
    .kernarg_segment_size: 128
    .language:       OpenCL C
    .language_version:
      - 2
      - 0
    .max_flat_workgroup_size: 512
    .name:           _ZN7rocprim17ROCPRIM_400000_NS6detail17trampoline_kernelINS0_14default_configENS1_25partition_config_selectorILNS1_17partition_subalgoE6EjNS0_10empty_typeEbEEZZNS1_14partition_implILS5_6ELb0ES3_mN6thrust23THRUST_200600_302600_NS6detail15normal_iteratorINSA_10device_ptrIjEEEEPS6_SG_NS0_5tupleIJSF_S6_EEENSH_IJSG_SG_EEES6_PlJNSB_9not_fun_tI7is_trueIjEEEEEE10hipError_tPvRmT3_T4_T5_T6_T7_T9_mT8_P12ihipStream_tbDpT10_ENKUlT_T0_E_clISt17integral_constantIbLb0EES17_IbLb1EEEEDaS13_S14_EUlS13_E_NS1_11comp_targetILNS1_3genE5ELNS1_11target_archE942ELNS1_3gpuE9ELNS1_3repE0EEENS1_30default_config_static_selectorELNS0_4arch9wavefront6targetE0EEEvT1_
    .private_segment_fixed_size: 0
    .sgpr_count:     0
    .sgpr_spill_count: 0
    .symbol:         _ZN7rocprim17ROCPRIM_400000_NS6detail17trampoline_kernelINS0_14default_configENS1_25partition_config_selectorILNS1_17partition_subalgoE6EjNS0_10empty_typeEbEEZZNS1_14partition_implILS5_6ELb0ES3_mN6thrust23THRUST_200600_302600_NS6detail15normal_iteratorINSA_10device_ptrIjEEEEPS6_SG_NS0_5tupleIJSF_S6_EEENSH_IJSG_SG_EEES6_PlJNSB_9not_fun_tI7is_trueIjEEEEEE10hipError_tPvRmT3_T4_T5_T6_T7_T9_mT8_P12ihipStream_tbDpT10_ENKUlT_T0_E_clISt17integral_constantIbLb0EES17_IbLb1EEEEDaS13_S14_EUlS13_E_NS1_11comp_targetILNS1_3genE5ELNS1_11target_archE942ELNS1_3gpuE9ELNS1_3repE0EEENS1_30default_config_static_selectorELNS0_4arch9wavefront6targetE0EEEvT1_.kd
    .uniform_work_group_size: 1
    .uses_dynamic_stack: false
    .vgpr_count:     0
    .vgpr_spill_count: 0
    .wavefront_size: 32
    .workgroup_processor_mode: 1
  - .args:
      - .offset:         0
        .size:           128
        .value_kind:     by_value
    .group_segment_fixed_size: 0
    .kernarg_segment_align: 8
    .kernarg_segment_size: 128
    .language:       OpenCL C
    .language_version:
      - 2
      - 0
    .max_flat_workgroup_size: 512
    .name:           _ZN7rocprim17ROCPRIM_400000_NS6detail17trampoline_kernelINS0_14default_configENS1_25partition_config_selectorILNS1_17partition_subalgoE6EjNS0_10empty_typeEbEEZZNS1_14partition_implILS5_6ELb0ES3_mN6thrust23THRUST_200600_302600_NS6detail15normal_iteratorINSA_10device_ptrIjEEEEPS6_SG_NS0_5tupleIJSF_S6_EEENSH_IJSG_SG_EEES6_PlJNSB_9not_fun_tI7is_trueIjEEEEEE10hipError_tPvRmT3_T4_T5_T6_T7_T9_mT8_P12ihipStream_tbDpT10_ENKUlT_T0_E_clISt17integral_constantIbLb0EES17_IbLb1EEEEDaS13_S14_EUlS13_E_NS1_11comp_targetILNS1_3genE4ELNS1_11target_archE910ELNS1_3gpuE8ELNS1_3repE0EEENS1_30default_config_static_selectorELNS0_4arch9wavefront6targetE0EEEvT1_
    .private_segment_fixed_size: 0
    .sgpr_count:     0
    .sgpr_spill_count: 0
    .symbol:         _ZN7rocprim17ROCPRIM_400000_NS6detail17trampoline_kernelINS0_14default_configENS1_25partition_config_selectorILNS1_17partition_subalgoE6EjNS0_10empty_typeEbEEZZNS1_14partition_implILS5_6ELb0ES3_mN6thrust23THRUST_200600_302600_NS6detail15normal_iteratorINSA_10device_ptrIjEEEEPS6_SG_NS0_5tupleIJSF_S6_EEENSH_IJSG_SG_EEES6_PlJNSB_9not_fun_tI7is_trueIjEEEEEE10hipError_tPvRmT3_T4_T5_T6_T7_T9_mT8_P12ihipStream_tbDpT10_ENKUlT_T0_E_clISt17integral_constantIbLb0EES17_IbLb1EEEEDaS13_S14_EUlS13_E_NS1_11comp_targetILNS1_3genE4ELNS1_11target_archE910ELNS1_3gpuE8ELNS1_3repE0EEENS1_30default_config_static_selectorELNS0_4arch9wavefront6targetE0EEEvT1_.kd
    .uniform_work_group_size: 1
    .uses_dynamic_stack: false
    .vgpr_count:     0
    .vgpr_spill_count: 0
    .wavefront_size: 32
    .workgroup_processor_mode: 1
  - .args:
      - .offset:         0
        .size:           128
        .value_kind:     by_value
    .group_segment_fixed_size: 0
    .kernarg_segment_align: 8
    .kernarg_segment_size: 128
    .language:       OpenCL C
    .language_version:
      - 2
      - 0
    .max_flat_workgroup_size: 256
    .name:           _ZN7rocprim17ROCPRIM_400000_NS6detail17trampoline_kernelINS0_14default_configENS1_25partition_config_selectorILNS1_17partition_subalgoE6EjNS0_10empty_typeEbEEZZNS1_14partition_implILS5_6ELb0ES3_mN6thrust23THRUST_200600_302600_NS6detail15normal_iteratorINSA_10device_ptrIjEEEEPS6_SG_NS0_5tupleIJSF_S6_EEENSH_IJSG_SG_EEES6_PlJNSB_9not_fun_tI7is_trueIjEEEEEE10hipError_tPvRmT3_T4_T5_T6_T7_T9_mT8_P12ihipStream_tbDpT10_ENKUlT_T0_E_clISt17integral_constantIbLb0EES17_IbLb1EEEEDaS13_S14_EUlS13_E_NS1_11comp_targetILNS1_3genE3ELNS1_11target_archE908ELNS1_3gpuE7ELNS1_3repE0EEENS1_30default_config_static_selectorELNS0_4arch9wavefront6targetE0EEEvT1_
    .private_segment_fixed_size: 0
    .sgpr_count:     0
    .sgpr_spill_count: 0
    .symbol:         _ZN7rocprim17ROCPRIM_400000_NS6detail17trampoline_kernelINS0_14default_configENS1_25partition_config_selectorILNS1_17partition_subalgoE6EjNS0_10empty_typeEbEEZZNS1_14partition_implILS5_6ELb0ES3_mN6thrust23THRUST_200600_302600_NS6detail15normal_iteratorINSA_10device_ptrIjEEEEPS6_SG_NS0_5tupleIJSF_S6_EEENSH_IJSG_SG_EEES6_PlJNSB_9not_fun_tI7is_trueIjEEEEEE10hipError_tPvRmT3_T4_T5_T6_T7_T9_mT8_P12ihipStream_tbDpT10_ENKUlT_T0_E_clISt17integral_constantIbLb0EES17_IbLb1EEEEDaS13_S14_EUlS13_E_NS1_11comp_targetILNS1_3genE3ELNS1_11target_archE908ELNS1_3gpuE7ELNS1_3repE0EEENS1_30default_config_static_selectorELNS0_4arch9wavefront6targetE0EEEvT1_.kd
    .uniform_work_group_size: 1
    .uses_dynamic_stack: false
    .vgpr_count:     0
    .vgpr_spill_count: 0
    .wavefront_size: 32
    .workgroup_processor_mode: 1
  - .args:
      - .offset:         0
        .size:           128
        .value_kind:     by_value
    .group_segment_fixed_size: 0
    .kernarg_segment_align: 8
    .kernarg_segment_size: 128
    .language:       OpenCL C
    .language_version:
      - 2
      - 0
    .max_flat_workgroup_size: 192
    .name:           _ZN7rocprim17ROCPRIM_400000_NS6detail17trampoline_kernelINS0_14default_configENS1_25partition_config_selectorILNS1_17partition_subalgoE6EjNS0_10empty_typeEbEEZZNS1_14partition_implILS5_6ELb0ES3_mN6thrust23THRUST_200600_302600_NS6detail15normal_iteratorINSA_10device_ptrIjEEEEPS6_SG_NS0_5tupleIJSF_S6_EEENSH_IJSG_SG_EEES6_PlJNSB_9not_fun_tI7is_trueIjEEEEEE10hipError_tPvRmT3_T4_T5_T6_T7_T9_mT8_P12ihipStream_tbDpT10_ENKUlT_T0_E_clISt17integral_constantIbLb0EES17_IbLb1EEEEDaS13_S14_EUlS13_E_NS1_11comp_targetILNS1_3genE2ELNS1_11target_archE906ELNS1_3gpuE6ELNS1_3repE0EEENS1_30default_config_static_selectorELNS0_4arch9wavefront6targetE0EEEvT1_
    .private_segment_fixed_size: 0
    .sgpr_count:     0
    .sgpr_spill_count: 0
    .symbol:         _ZN7rocprim17ROCPRIM_400000_NS6detail17trampoline_kernelINS0_14default_configENS1_25partition_config_selectorILNS1_17partition_subalgoE6EjNS0_10empty_typeEbEEZZNS1_14partition_implILS5_6ELb0ES3_mN6thrust23THRUST_200600_302600_NS6detail15normal_iteratorINSA_10device_ptrIjEEEEPS6_SG_NS0_5tupleIJSF_S6_EEENSH_IJSG_SG_EEES6_PlJNSB_9not_fun_tI7is_trueIjEEEEEE10hipError_tPvRmT3_T4_T5_T6_T7_T9_mT8_P12ihipStream_tbDpT10_ENKUlT_T0_E_clISt17integral_constantIbLb0EES17_IbLb1EEEEDaS13_S14_EUlS13_E_NS1_11comp_targetILNS1_3genE2ELNS1_11target_archE906ELNS1_3gpuE6ELNS1_3repE0EEENS1_30default_config_static_selectorELNS0_4arch9wavefront6targetE0EEEvT1_.kd
    .uniform_work_group_size: 1
    .uses_dynamic_stack: false
    .vgpr_count:     0
    .vgpr_spill_count: 0
    .wavefront_size: 32
    .workgroup_processor_mode: 1
  - .args:
      - .offset:         0
        .size:           128
        .value_kind:     by_value
    .group_segment_fixed_size: 10768
    .kernarg_segment_align: 8
    .kernarg_segment_size: 128
    .language:       OpenCL C
    .language_version:
      - 2
      - 0
    .max_flat_workgroup_size: 384
    .name:           _ZN7rocprim17ROCPRIM_400000_NS6detail17trampoline_kernelINS0_14default_configENS1_25partition_config_selectorILNS1_17partition_subalgoE6EjNS0_10empty_typeEbEEZZNS1_14partition_implILS5_6ELb0ES3_mN6thrust23THRUST_200600_302600_NS6detail15normal_iteratorINSA_10device_ptrIjEEEEPS6_SG_NS0_5tupleIJSF_S6_EEENSH_IJSG_SG_EEES6_PlJNSB_9not_fun_tI7is_trueIjEEEEEE10hipError_tPvRmT3_T4_T5_T6_T7_T9_mT8_P12ihipStream_tbDpT10_ENKUlT_T0_E_clISt17integral_constantIbLb0EES17_IbLb1EEEEDaS13_S14_EUlS13_E_NS1_11comp_targetILNS1_3genE10ELNS1_11target_archE1200ELNS1_3gpuE4ELNS1_3repE0EEENS1_30default_config_static_selectorELNS0_4arch9wavefront6targetE0EEEvT1_
    .private_segment_fixed_size: 0
    .sgpr_count:     22
    .sgpr_spill_count: 0
    .symbol:         _ZN7rocprim17ROCPRIM_400000_NS6detail17trampoline_kernelINS0_14default_configENS1_25partition_config_selectorILNS1_17partition_subalgoE6EjNS0_10empty_typeEbEEZZNS1_14partition_implILS5_6ELb0ES3_mN6thrust23THRUST_200600_302600_NS6detail15normal_iteratorINSA_10device_ptrIjEEEEPS6_SG_NS0_5tupleIJSF_S6_EEENSH_IJSG_SG_EEES6_PlJNSB_9not_fun_tI7is_trueIjEEEEEE10hipError_tPvRmT3_T4_T5_T6_T7_T9_mT8_P12ihipStream_tbDpT10_ENKUlT_T0_E_clISt17integral_constantIbLb0EES17_IbLb1EEEEDaS13_S14_EUlS13_E_NS1_11comp_targetILNS1_3genE10ELNS1_11target_archE1200ELNS1_3gpuE4ELNS1_3repE0EEENS1_30default_config_static_selectorELNS0_4arch9wavefront6targetE0EEEvT1_.kd
    .uniform_work_group_size: 1
    .uses_dynamic_stack: false
    .vgpr_count:     51
    .vgpr_spill_count: 0
    .wavefront_size: 32
    .workgroup_processor_mode: 1
  - .args:
      - .offset:         0
        .size:           128
        .value_kind:     by_value
    .group_segment_fixed_size: 0
    .kernarg_segment_align: 8
    .kernarg_segment_size: 128
    .language:       OpenCL C
    .language_version:
      - 2
      - 0
    .max_flat_workgroup_size: 128
    .name:           _ZN7rocprim17ROCPRIM_400000_NS6detail17trampoline_kernelINS0_14default_configENS1_25partition_config_selectorILNS1_17partition_subalgoE6EjNS0_10empty_typeEbEEZZNS1_14partition_implILS5_6ELb0ES3_mN6thrust23THRUST_200600_302600_NS6detail15normal_iteratorINSA_10device_ptrIjEEEEPS6_SG_NS0_5tupleIJSF_S6_EEENSH_IJSG_SG_EEES6_PlJNSB_9not_fun_tI7is_trueIjEEEEEE10hipError_tPvRmT3_T4_T5_T6_T7_T9_mT8_P12ihipStream_tbDpT10_ENKUlT_T0_E_clISt17integral_constantIbLb0EES17_IbLb1EEEEDaS13_S14_EUlS13_E_NS1_11comp_targetILNS1_3genE9ELNS1_11target_archE1100ELNS1_3gpuE3ELNS1_3repE0EEENS1_30default_config_static_selectorELNS0_4arch9wavefront6targetE0EEEvT1_
    .private_segment_fixed_size: 0
    .sgpr_count:     0
    .sgpr_spill_count: 0
    .symbol:         _ZN7rocprim17ROCPRIM_400000_NS6detail17trampoline_kernelINS0_14default_configENS1_25partition_config_selectorILNS1_17partition_subalgoE6EjNS0_10empty_typeEbEEZZNS1_14partition_implILS5_6ELb0ES3_mN6thrust23THRUST_200600_302600_NS6detail15normal_iteratorINSA_10device_ptrIjEEEEPS6_SG_NS0_5tupleIJSF_S6_EEENSH_IJSG_SG_EEES6_PlJNSB_9not_fun_tI7is_trueIjEEEEEE10hipError_tPvRmT3_T4_T5_T6_T7_T9_mT8_P12ihipStream_tbDpT10_ENKUlT_T0_E_clISt17integral_constantIbLb0EES17_IbLb1EEEEDaS13_S14_EUlS13_E_NS1_11comp_targetILNS1_3genE9ELNS1_11target_archE1100ELNS1_3gpuE3ELNS1_3repE0EEENS1_30default_config_static_selectorELNS0_4arch9wavefront6targetE0EEEvT1_.kd
    .uniform_work_group_size: 1
    .uses_dynamic_stack: false
    .vgpr_count:     0
    .vgpr_spill_count: 0
    .wavefront_size: 32
    .workgroup_processor_mode: 1
  - .args:
      - .offset:         0
        .size:           128
        .value_kind:     by_value
    .group_segment_fixed_size: 0
    .kernarg_segment_align: 8
    .kernarg_segment_size: 128
    .language:       OpenCL C
    .language_version:
      - 2
      - 0
    .max_flat_workgroup_size: 512
    .name:           _ZN7rocprim17ROCPRIM_400000_NS6detail17trampoline_kernelINS0_14default_configENS1_25partition_config_selectorILNS1_17partition_subalgoE6EjNS0_10empty_typeEbEEZZNS1_14partition_implILS5_6ELb0ES3_mN6thrust23THRUST_200600_302600_NS6detail15normal_iteratorINSA_10device_ptrIjEEEEPS6_SG_NS0_5tupleIJSF_S6_EEENSH_IJSG_SG_EEES6_PlJNSB_9not_fun_tI7is_trueIjEEEEEE10hipError_tPvRmT3_T4_T5_T6_T7_T9_mT8_P12ihipStream_tbDpT10_ENKUlT_T0_E_clISt17integral_constantIbLb0EES17_IbLb1EEEEDaS13_S14_EUlS13_E_NS1_11comp_targetILNS1_3genE8ELNS1_11target_archE1030ELNS1_3gpuE2ELNS1_3repE0EEENS1_30default_config_static_selectorELNS0_4arch9wavefront6targetE0EEEvT1_
    .private_segment_fixed_size: 0
    .sgpr_count:     0
    .sgpr_spill_count: 0
    .symbol:         _ZN7rocprim17ROCPRIM_400000_NS6detail17trampoline_kernelINS0_14default_configENS1_25partition_config_selectorILNS1_17partition_subalgoE6EjNS0_10empty_typeEbEEZZNS1_14partition_implILS5_6ELb0ES3_mN6thrust23THRUST_200600_302600_NS6detail15normal_iteratorINSA_10device_ptrIjEEEEPS6_SG_NS0_5tupleIJSF_S6_EEENSH_IJSG_SG_EEES6_PlJNSB_9not_fun_tI7is_trueIjEEEEEE10hipError_tPvRmT3_T4_T5_T6_T7_T9_mT8_P12ihipStream_tbDpT10_ENKUlT_T0_E_clISt17integral_constantIbLb0EES17_IbLb1EEEEDaS13_S14_EUlS13_E_NS1_11comp_targetILNS1_3genE8ELNS1_11target_archE1030ELNS1_3gpuE2ELNS1_3repE0EEENS1_30default_config_static_selectorELNS0_4arch9wavefront6targetE0EEEvT1_.kd
    .uniform_work_group_size: 1
    .uses_dynamic_stack: false
    .vgpr_count:     0
    .vgpr_spill_count: 0
    .wavefront_size: 32
    .workgroup_processor_mode: 1
  - .args:
      - .offset:         0
        .size:           112
        .value_kind:     by_value
    .group_segment_fixed_size: 0
    .kernarg_segment_align: 8
    .kernarg_segment_size: 112
    .language:       OpenCL C
    .language_version:
      - 2
      - 0
    .max_flat_workgroup_size: 256
    .name:           _ZN7rocprim17ROCPRIM_400000_NS6detail17trampoline_kernelINS0_14default_configENS1_25partition_config_selectorILNS1_17partition_subalgoE6EtNS0_10empty_typeEbEEZZNS1_14partition_implILS5_6ELb0ES3_mN6thrust23THRUST_200600_302600_NS6detail15normal_iteratorINSA_10device_ptrItEEEEPS6_SG_NS0_5tupleIJSF_S6_EEENSH_IJSG_SG_EEES6_PlJNSB_9not_fun_tI7is_trueItEEEEEE10hipError_tPvRmT3_T4_T5_T6_T7_T9_mT8_P12ihipStream_tbDpT10_ENKUlT_T0_E_clISt17integral_constantIbLb0EES18_EEDaS13_S14_EUlS13_E_NS1_11comp_targetILNS1_3genE0ELNS1_11target_archE4294967295ELNS1_3gpuE0ELNS1_3repE0EEENS1_30default_config_static_selectorELNS0_4arch9wavefront6targetE0EEEvT1_
    .private_segment_fixed_size: 0
    .sgpr_count:     0
    .sgpr_spill_count: 0
    .symbol:         _ZN7rocprim17ROCPRIM_400000_NS6detail17trampoline_kernelINS0_14default_configENS1_25partition_config_selectorILNS1_17partition_subalgoE6EtNS0_10empty_typeEbEEZZNS1_14partition_implILS5_6ELb0ES3_mN6thrust23THRUST_200600_302600_NS6detail15normal_iteratorINSA_10device_ptrItEEEEPS6_SG_NS0_5tupleIJSF_S6_EEENSH_IJSG_SG_EEES6_PlJNSB_9not_fun_tI7is_trueItEEEEEE10hipError_tPvRmT3_T4_T5_T6_T7_T9_mT8_P12ihipStream_tbDpT10_ENKUlT_T0_E_clISt17integral_constantIbLb0EES18_EEDaS13_S14_EUlS13_E_NS1_11comp_targetILNS1_3genE0ELNS1_11target_archE4294967295ELNS1_3gpuE0ELNS1_3repE0EEENS1_30default_config_static_selectorELNS0_4arch9wavefront6targetE0EEEvT1_.kd
    .uniform_work_group_size: 1
    .uses_dynamic_stack: false
    .vgpr_count:     0
    .vgpr_spill_count: 0
    .wavefront_size: 32
    .workgroup_processor_mode: 1
  - .args:
      - .offset:         0
        .size:           112
        .value_kind:     by_value
    .group_segment_fixed_size: 0
    .kernarg_segment_align: 8
    .kernarg_segment_size: 112
    .language:       OpenCL C
    .language_version:
      - 2
      - 0
    .max_flat_workgroup_size: 512
    .name:           _ZN7rocprim17ROCPRIM_400000_NS6detail17trampoline_kernelINS0_14default_configENS1_25partition_config_selectorILNS1_17partition_subalgoE6EtNS0_10empty_typeEbEEZZNS1_14partition_implILS5_6ELb0ES3_mN6thrust23THRUST_200600_302600_NS6detail15normal_iteratorINSA_10device_ptrItEEEEPS6_SG_NS0_5tupleIJSF_S6_EEENSH_IJSG_SG_EEES6_PlJNSB_9not_fun_tI7is_trueItEEEEEE10hipError_tPvRmT3_T4_T5_T6_T7_T9_mT8_P12ihipStream_tbDpT10_ENKUlT_T0_E_clISt17integral_constantIbLb0EES18_EEDaS13_S14_EUlS13_E_NS1_11comp_targetILNS1_3genE5ELNS1_11target_archE942ELNS1_3gpuE9ELNS1_3repE0EEENS1_30default_config_static_selectorELNS0_4arch9wavefront6targetE0EEEvT1_
    .private_segment_fixed_size: 0
    .sgpr_count:     0
    .sgpr_spill_count: 0
    .symbol:         _ZN7rocprim17ROCPRIM_400000_NS6detail17trampoline_kernelINS0_14default_configENS1_25partition_config_selectorILNS1_17partition_subalgoE6EtNS0_10empty_typeEbEEZZNS1_14partition_implILS5_6ELb0ES3_mN6thrust23THRUST_200600_302600_NS6detail15normal_iteratorINSA_10device_ptrItEEEEPS6_SG_NS0_5tupleIJSF_S6_EEENSH_IJSG_SG_EEES6_PlJNSB_9not_fun_tI7is_trueItEEEEEE10hipError_tPvRmT3_T4_T5_T6_T7_T9_mT8_P12ihipStream_tbDpT10_ENKUlT_T0_E_clISt17integral_constantIbLb0EES18_EEDaS13_S14_EUlS13_E_NS1_11comp_targetILNS1_3genE5ELNS1_11target_archE942ELNS1_3gpuE9ELNS1_3repE0EEENS1_30default_config_static_selectorELNS0_4arch9wavefront6targetE0EEEvT1_.kd
    .uniform_work_group_size: 1
    .uses_dynamic_stack: false
    .vgpr_count:     0
    .vgpr_spill_count: 0
    .wavefront_size: 32
    .workgroup_processor_mode: 1
  - .args:
      - .offset:         0
        .size:           112
        .value_kind:     by_value
    .group_segment_fixed_size: 0
    .kernarg_segment_align: 8
    .kernarg_segment_size: 112
    .language:       OpenCL C
    .language_version:
      - 2
      - 0
    .max_flat_workgroup_size: 256
    .name:           _ZN7rocprim17ROCPRIM_400000_NS6detail17trampoline_kernelINS0_14default_configENS1_25partition_config_selectorILNS1_17partition_subalgoE6EtNS0_10empty_typeEbEEZZNS1_14partition_implILS5_6ELb0ES3_mN6thrust23THRUST_200600_302600_NS6detail15normal_iteratorINSA_10device_ptrItEEEEPS6_SG_NS0_5tupleIJSF_S6_EEENSH_IJSG_SG_EEES6_PlJNSB_9not_fun_tI7is_trueItEEEEEE10hipError_tPvRmT3_T4_T5_T6_T7_T9_mT8_P12ihipStream_tbDpT10_ENKUlT_T0_E_clISt17integral_constantIbLb0EES18_EEDaS13_S14_EUlS13_E_NS1_11comp_targetILNS1_3genE4ELNS1_11target_archE910ELNS1_3gpuE8ELNS1_3repE0EEENS1_30default_config_static_selectorELNS0_4arch9wavefront6targetE0EEEvT1_
    .private_segment_fixed_size: 0
    .sgpr_count:     0
    .sgpr_spill_count: 0
    .symbol:         _ZN7rocprim17ROCPRIM_400000_NS6detail17trampoline_kernelINS0_14default_configENS1_25partition_config_selectorILNS1_17partition_subalgoE6EtNS0_10empty_typeEbEEZZNS1_14partition_implILS5_6ELb0ES3_mN6thrust23THRUST_200600_302600_NS6detail15normal_iteratorINSA_10device_ptrItEEEEPS6_SG_NS0_5tupleIJSF_S6_EEENSH_IJSG_SG_EEES6_PlJNSB_9not_fun_tI7is_trueItEEEEEE10hipError_tPvRmT3_T4_T5_T6_T7_T9_mT8_P12ihipStream_tbDpT10_ENKUlT_T0_E_clISt17integral_constantIbLb0EES18_EEDaS13_S14_EUlS13_E_NS1_11comp_targetILNS1_3genE4ELNS1_11target_archE910ELNS1_3gpuE8ELNS1_3repE0EEENS1_30default_config_static_selectorELNS0_4arch9wavefront6targetE0EEEvT1_.kd
    .uniform_work_group_size: 1
    .uses_dynamic_stack: false
    .vgpr_count:     0
    .vgpr_spill_count: 0
    .wavefront_size: 32
    .workgroup_processor_mode: 1
  - .args:
      - .offset:         0
        .size:           112
        .value_kind:     by_value
    .group_segment_fixed_size: 0
    .kernarg_segment_align: 8
    .kernarg_segment_size: 112
    .language:       OpenCL C
    .language_version:
      - 2
      - 0
    .max_flat_workgroup_size: 256
    .name:           _ZN7rocprim17ROCPRIM_400000_NS6detail17trampoline_kernelINS0_14default_configENS1_25partition_config_selectorILNS1_17partition_subalgoE6EtNS0_10empty_typeEbEEZZNS1_14partition_implILS5_6ELb0ES3_mN6thrust23THRUST_200600_302600_NS6detail15normal_iteratorINSA_10device_ptrItEEEEPS6_SG_NS0_5tupleIJSF_S6_EEENSH_IJSG_SG_EEES6_PlJNSB_9not_fun_tI7is_trueItEEEEEE10hipError_tPvRmT3_T4_T5_T6_T7_T9_mT8_P12ihipStream_tbDpT10_ENKUlT_T0_E_clISt17integral_constantIbLb0EES18_EEDaS13_S14_EUlS13_E_NS1_11comp_targetILNS1_3genE3ELNS1_11target_archE908ELNS1_3gpuE7ELNS1_3repE0EEENS1_30default_config_static_selectorELNS0_4arch9wavefront6targetE0EEEvT1_
    .private_segment_fixed_size: 0
    .sgpr_count:     0
    .sgpr_spill_count: 0
    .symbol:         _ZN7rocprim17ROCPRIM_400000_NS6detail17trampoline_kernelINS0_14default_configENS1_25partition_config_selectorILNS1_17partition_subalgoE6EtNS0_10empty_typeEbEEZZNS1_14partition_implILS5_6ELb0ES3_mN6thrust23THRUST_200600_302600_NS6detail15normal_iteratorINSA_10device_ptrItEEEEPS6_SG_NS0_5tupleIJSF_S6_EEENSH_IJSG_SG_EEES6_PlJNSB_9not_fun_tI7is_trueItEEEEEE10hipError_tPvRmT3_T4_T5_T6_T7_T9_mT8_P12ihipStream_tbDpT10_ENKUlT_T0_E_clISt17integral_constantIbLb0EES18_EEDaS13_S14_EUlS13_E_NS1_11comp_targetILNS1_3genE3ELNS1_11target_archE908ELNS1_3gpuE7ELNS1_3repE0EEENS1_30default_config_static_selectorELNS0_4arch9wavefront6targetE0EEEvT1_.kd
    .uniform_work_group_size: 1
    .uses_dynamic_stack: false
    .vgpr_count:     0
    .vgpr_spill_count: 0
    .wavefront_size: 32
    .workgroup_processor_mode: 1
  - .args:
      - .offset:         0
        .size:           112
        .value_kind:     by_value
    .group_segment_fixed_size: 0
    .kernarg_segment_align: 8
    .kernarg_segment_size: 112
    .language:       OpenCL C
    .language_version:
      - 2
      - 0
    .max_flat_workgroup_size: 256
    .name:           _ZN7rocprim17ROCPRIM_400000_NS6detail17trampoline_kernelINS0_14default_configENS1_25partition_config_selectorILNS1_17partition_subalgoE6EtNS0_10empty_typeEbEEZZNS1_14partition_implILS5_6ELb0ES3_mN6thrust23THRUST_200600_302600_NS6detail15normal_iteratorINSA_10device_ptrItEEEEPS6_SG_NS0_5tupleIJSF_S6_EEENSH_IJSG_SG_EEES6_PlJNSB_9not_fun_tI7is_trueItEEEEEE10hipError_tPvRmT3_T4_T5_T6_T7_T9_mT8_P12ihipStream_tbDpT10_ENKUlT_T0_E_clISt17integral_constantIbLb0EES18_EEDaS13_S14_EUlS13_E_NS1_11comp_targetILNS1_3genE2ELNS1_11target_archE906ELNS1_3gpuE6ELNS1_3repE0EEENS1_30default_config_static_selectorELNS0_4arch9wavefront6targetE0EEEvT1_
    .private_segment_fixed_size: 0
    .sgpr_count:     0
    .sgpr_spill_count: 0
    .symbol:         _ZN7rocprim17ROCPRIM_400000_NS6detail17trampoline_kernelINS0_14default_configENS1_25partition_config_selectorILNS1_17partition_subalgoE6EtNS0_10empty_typeEbEEZZNS1_14partition_implILS5_6ELb0ES3_mN6thrust23THRUST_200600_302600_NS6detail15normal_iteratorINSA_10device_ptrItEEEEPS6_SG_NS0_5tupleIJSF_S6_EEENSH_IJSG_SG_EEES6_PlJNSB_9not_fun_tI7is_trueItEEEEEE10hipError_tPvRmT3_T4_T5_T6_T7_T9_mT8_P12ihipStream_tbDpT10_ENKUlT_T0_E_clISt17integral_constantIbLb0EES18_EEDaS13_S14_EUlS13_E_NS1_11comp_targetILNS1_3genE2ELNS1_11target_archE906ELNS1_3gpuE6ELNS1_3repE0EEENS1_30default_config_static_selectorELNS0_4arch9wavefront6targetE0EEEvT1_.kd
    .uniform_work_group_size: 1
    .uses_dynamic_stack: false
    .vgpr_count:     0
    .vgpr_spill_count: 0
    .wavefront_size: 32
    .workgroup_processor_mode: 1
  - .args:
      - .offset:         0
        .size:           112
        .value_kind:     by_value
    .group_segment_fixed_size: 13840
    .kernarg_segment_align: 8
    .kernarg_segment_size: 112
    .language:       OpenCL C
    .language_version:
      - 2
      - 0
    .max_flat_workgroup_size: 384
    .name:           _ZN7rocprim17ROCPRIM_400000_NS6detail17trampoline_kernelINS0_14default_configENS1_25partition_config_selectorILNS1_17partition_subalgoE6EtNS0_10empty_typeEbEEZZNS1_14partition_implILS5_6ELb0ES3_mN6thrust23THRUST_200600_302600_NS6detail15normal_iteratorINSA_10device_ptrItEEEEPS6_SG_NS0_5tupleIJSF_S6_EEENSH_IJSG_SG_EEES6_PlJNSB_9not_fun_tI7is_trueItEEEEEE10hipError_tPvRmT3_T4_T5_T6_T7_T9_mT8_P12ihipStream_tbDpT10_ENKUlT_T0_E_clISt17integral_constantIbLb0EES18_EEDaS13_S14_EUlS13_E_NS1_11comp_targetILNS1_3genE10ELNS1_11target_archE1200ELNS1_3gpuE4ELNS1_3repE0EEENS1_30default_config_static_selectorELNS0_4arch9wavefront6targetE0EEEvT1_
    .private_segment_fixed_size: 0
    .sgpr_count:     29
    .sgpr_spill_count: 0
    .symbol:         _ZN7rocprim17ROCPRIM_400000_NS6detail17trampoline_kernelINS0_14default_configENS1_25partition_config_selectorILNS1_17partition_subalgoE6EtNS0_10empty_typeEbEEZZNS1_14partition_implILS5_6ELb0ES3_mN6thrust23THRUST_200600_302600_NS6detail15normal_iteratorINSA_10device_ptrItEEEEPS6_SG_NS0_5tupleIJSF_S6_EEENSH_IJSG_SG_EEES6_PlJNSB_9not_fun_tI7is_trueItEEEEEE10hipError_tPvRmT3_T4_T5_T6_T7_T9_mT8_P12ihipStream_tbDpT10_ENKUlT_T0_E_clISt17integral_constantIbLb0EES18_EEDaS13_S14_EUlS13_E_NS1_11comp_targetILNS1_3genE10ELNS1_11target_archE1200ELNS1_3gpuE4ELNS1_3repE0EEENS1_30default_config_static_selectorELNS0_4arch9wavefront6targetE0EEEvT1_.kd
    .uniform_work_group_size: 1
    .uses_dynamic_stack: false
    .vgpr_count:     72
    .vgpr_spill_count: 0
    .wavefront_size: 32
    .workgroup_processor_mode: 1
  - .args:
      - .offset:         0
        .size:           112
        .value_kind:     by_value
    .group_segment_fixed_size: 0
    .kernarg_segment_align: 8
    .kernarg_segment_size: 112
    .language:       OpenCL C
    .language_version:
      - 2
      - 0
    .max_flat_workgroup_size: 128
    .name:           _ZN7rocprim17ROCPRIM_400000_NS6detail17trampoline_kernelINS0_14default_configENS1_25partition_config_selectorILNS1_17partition_subalgoE6EtNS0_10empty_typeEbEEZZNS1_14partition_implILS5_6ELb0ES3_mN6thrust23THRUST_200600_302600_NS6detail15normal_iteratorINSA_10device_ptrItEEEEPS6_SG_NS0_5tupleIJSF_S6_EEENSH_IJSG_SG_EEES6_PlJNSB_9not_fun_tI7is_trueItEEEEEE10hipError_tPvRmT3_T4_T5_T6_T7_T9_mT8_P12ihipStream_tbDpT10_ENKUlT_T0_E_clISt17integral_constantIbLb0EES18_EEDaS13_S14_EUlS13_E_NS1_11comp_targetILNS1_3genE9ELNS1_11target_archE1100ELNS1_3gpuE3ELNS1_3repE0EEENS1_30default_config_static_selectorELNS0_4arch9wavefront6targetE0EEEvT1_
    .private_segment_fixed_size: 0
    .sgpr_count:     0
    .sgpr_spill_count: 0
    .symbol:         _ZN7rocprim17ROCPRIM_400000_NS6detail17trampoline_kernelINS0_14default_configENS1_25partition_config_selectorILNS1_17partition_subalgoE6EtNS0_10empty_typeEbEEZZNS1_14partition_implILS5_6ELb0ES3_mN6thrust23THRUST_200600_302600_NS6detail15normal_iteratorINSA_10device_ptrItEEEEPS6_SG_NS0_5tupleIJSF_S6_EEENSH_IJSG_SG_EEES6_PlJNSB_9not_fun_tI7is_trueItEEEEEE10hipError_tPvRmT3_T4_T5_T6_T7_T9_mT8_P12ihipStream_tbDpT10_ENKUlT_T0_E_clISt17integral_constantIbLb0EES18_EEDaS13_S14_EUlS13_E_NS1_11comp_targetILNS1_3genE9ELNS1_11target_archE1100ELNS1_3gpuE3ELNS1_3repE0EEENS1_30default_config_static_selectorELNS0_4arch9wavefront6targetE0EEEvT1_.kd
    .uniform_work_group_size: 1
    .uses_dynamic_stack: false
    .vgpr_count:     0
    .vgpr_spill_count: 0
    .wavefront_size: 32
    .workgroup_processor_mode: 1
  - .args:
      - .offset:         0
        .size:           112
        .value_kind:     by_value
    .group_segment_fixed_size: 0
    .kernarg_segment_align: 8
    .kernarg_segment_size: 112
    .language:       OpenCL C
    .language_version:
      - 2
      - 0
    .max_flat_workgroup_size: 256
    .name:           _ZN7rocprim17ROCPRIM_400000_NS6detail17trampoline_kernelINS0_14default_configENS1_25partition_config_selectorILNS1_17partition_subalgoE6EtNS0_10empty_typeEbEEZZNS1_14partition_implILS5_6ELb0ES3_mN6thrust23THRUST_200600_302600_NS6detail15normal_iteratorINSA_10device_ptrItEEEEPS6_SG_NS0_5tupleIJSF_S6_EEENSH_IJSG_SG_EEES6_PlJNSB_9not_fun_tI7is_trueItEEEEEE10hipError_tPvRmT3_T4_T5_T6_T7_T9_mT8_P12ihipStream_tbDpT10_ENKUlT_T0_E_clISt17integral_constantIbLb0EES18_EEDaS13_S14_EUlS13_E_NS1_11comp_targetILNS1_3genE8ELNS1_11target_archE1030ELNS1_3gpuE2ELNS1_3repE0EEENS1_30default_config_static_selectorELNS0_4arch9wavefront6targetE0EEEvT1_
    .private_segment_fixed_size: 0
    .sgpr_count:     0
    .sgpr_spill_count: 0
    .symbol:         _ZN7rocprim17ROCPRIM_400000_NS6detail17trampoline_kernelINS0_14default_configENS1_25partition_config_selectorILNS1_17partition_subalgoE6EtNS0_10empty_typeEbEEZZNS1_14partition_implILS5_6ELb0ES3_mN6thrust23THRUST_200600_302600_NS6detail15normal_iteratorINSA_10device_ptrItEEEEPS6_SG_NS0_5tupleIJSF_S6_EEENSH_IJSG_SG_EEES6_PlJNSB_9not_fun_tI7is_trueItEEEEEE10hipError_tPvRmT3_T4_T5_T6_T7_T9_mT8_P12ihipStream_tbDpT10_ENKUlT_T0_E_clISt17integral_constantIbLb0EES18_EEDaS13_S14_EUlS13_E_NS1_11comp_targetILNS1_3genE8ELNS1_11target_archE1030ELNS1_3gpuE2ELNS1_3repE0EEENS1_30default_config_static_selectorELNS0_4arch9wavefront6targetE0EEEvT1_.kd
    .uniform_work_group_size: 1
    .uses_dynamic_stack: false
    .vgpr_count:     0
    .vgpr_spill_count: 0
    .wavefront_size: 32
    .workgroup_processor_mode: 1
  - .args:
      - .offset:         0
        .size:           128
        .value_kind:     by_value
    .group_segment_fixed_size: 0
    .kernarg_segment_align: 8
    .kernarg_segment_size: 128
    .language:       OpenCL C
    .language_version:
      - 2
      - 0
    .max_flat_workgroup_size: 256
    .name:           _ZN7rocprim17ROCPRIM_400000_NS6detail17trampoline_kernelINS0_14default_configENS1_25partition_config_selectorILNS1_17partition_subalgoE6EtNS0_10empty_typeEbEEZZNS1_14partition_implILS5_6ELb0ES3_mN6thrust23THRUST_200600_302600_NS6detail15normal_iteratorINSA_10device_ptrItEEEEPS6_SG_NS0_5tupleIJSF_S6_EEENSH_IJSG_SG_EEES6_PlJNSB_9not_fun_tI7is_trueItEEEEEE10hipError_tPvRmT3_T4_T5_T6_T7_T9_mT8_P12ihipStream_tbDpT10_ENKUlT_T0_E_clISt17integral_constantIbLb1EES18_EEDaS13_S14_EUlS13_E_NS1_11comp_targetILNS1_3genE0ELNS1_11target_archE4294967295ELNS1_3gpuE0ELNS1_3repE0EEENS1_30default_config_static_selectorELNS0_4arch9wavefront6targetE0EEEvT1_
    .private_segment_fixed_size: 0
    .sgpr_count:     0
    .sgpr_spill_count: 0
    .symbol:         _ZN7rocprim17ROCPRIM_400000_NS6detail17trampoline_kernelINS0_14default_configENS1_25partition_config_selectorILNS1_17partition_subalgoE6EtNS0_10empty_typeEbEEZZNS1_14partition_implILS5_6ELb0ES3_mN6thrust23THRUST_200600_302600_NS6detail15normal_iteratorINSA_10device_ptrItEEEEPS6_SG_NS0_5tupleIJSF_S6_EEENSH_IJSG_SG_EEES6_PlJNSB_9not_fun_tI7is_trueItEEEEEE10hipError_tPvRmT3_T4_T5_T6_T7_T9_mT8_P12ihipStream_tbDpT10_ENKUlT_T0_E_clISt17integral_constantIbLb1EES18_EEDaS13_S14_EUlS13_E_NS1_11comp_targetILNS1_3genE0ELNS1_11target_archE4294967295ELNS1_3gpuE0ELNS1_3repE0EEENS1_30default_config_static_selectorELNS0_4arch9wavefront6targetE0EEEvT1_.kd
    .uniform_work_group_size: 1
    .uses_dynamic_stack: false
    .vgpr_count:     0
    .vgpr_spill_count: 0
    .wavefront_size: 32
    .workgroup_processor_mode: 1
  - .args:
      - .offset:         0
        .size:           128
        .value_kind:     by_value
    .group_segment_fixed_size: 0
    .kernarg_segment_align: 8
    .kernarg_segment_size: 128
    .language:       OpenCL C
    .language_version:
      - 2
      - 0
    .max_flat_workgroup_size: 512
    .name:           _ZN7rocprim17ROCPRIM_400000_NS6detail17trampoline_kernelINS0_14default_configENS1_25partition_config_selectorILNS1_17partition_subalgoE6EtNS0_10empty_typeEbEEZZNS1_14partition_implILS5_6ELb0ES3_mN6thrust23THRUST_200600_302600_NS6detail15normal_iteratorINSA_10device_ptrItEEEEPS6_SG_NS0_5tupleIJSF_S6_EEENSH_IJSG_SG_EEES6_PlJNSB_9not_fun_tI7is_trueItEEEEEE10hipError_tPvRmT3_T4_T5_T6_T7_T9_mT8_P12ihipStream_tbDpT10_ENKUlT_T0_E_clISt17integral_constantIbLb1EES18_EEDaS13_S14_EUlS13_E_NS1_11comp_targetILNS1_3genE5ELNS1_11target_archE942ELNS1_3gpuE9ELNS1_3repE0EEENS1_30default_config_static_selectorELNS0_4arch9wavefront6targetE0EEEvT1_
    .private_segment_fixed_size: 0
    .sgpr_count:     0
    .sgpr_spill_count: 0
    .symbol:         _ZN7rocprim17ROCPRIM_400000_NS6detail17trampoline_kernelINS0_14default_configENS1_25partition_config_selectorILNS1_17partition_subalgoE6EtNS0_10empty_typeEbEEZZNS1_14partition_implILS5_6ELb0ES3_mN6thrust23THRUST_200600_302600_NS6detail15normal_iteratorINSA_10device_ptrItEEEEPS6_SG_NS0_5tupleIJSF_S6_EEENSH_IJSG_SG_EEES6_PlJNSB_9not_fun_tI7is_trueItEEEEEE10hipError_tPvRmT3_T4_T5_T6_T7_T9_mT8_P12ihipStream_tbDpT10_ENKUlT_T0_E_clISt17integral_constantIbLb1EES18_EEDaS13_S14_EUlS13_E_NS1_11comp_targetILNS1_3genE5ELNS1_11target_archE942ELNS1_3gpuE9ELNS1_3repE0EEENS1_30default_config_static_selectorELNS0_4arch9wavefront6targetE0EEEvT1_.kd
    .uniform_work_group_size: 1
    .uses_dynamic_stack: false
    .vgpr_count:     0
    .vgpr_spill_count: 0
    .wavefront_size: 32
    .workgroup_processor_mode: 1
  - .args:
      - .offset:         0
        .size:           128
        .value_kind:     by_value
    .group_segment_fixed_size: 0
    .kernarg_segment_align: 8
    .kernarg_segment_size: 128
    .language:       OpenCL C
    .language_version:
      - 2
      - 0
    .max_flat_workgroup_size: 256
    .name:           _ZN7rocprim17ROCPRIM_400000_NS6detail17trampoline_kernelINS0_14default_configENS1_25partition_config_selectorILNS1_17partition_subalgoE6EtNS0_10empty_typeEbEEZZNS1_14partition_implILS5_6ELb0ES3_mN6thrust23THRUST_200600_302600_NS6detail15normal_iteratorINSA_10device_ptrItEEEEPS6_SG_NS0_5tupleIJSF_S6_EEENSH_IJSG_SG_EEES6_PlJNSB_9not_fun_tI7is_trueItEEEEEE10hipError_tPvRmT3_T4_T5_T6_T7_T9_mT8_P12ihipStream_tbDpT10_ENKUlT_T0_E_clISt17integral_constantIbLb1EES18_EEDaS13_S14_EUlS13_E_NS1_11comp_targetILNS1_3genE4ELNS1_11target_archE910ELNS1_3gpuE8ELNS1_3repE0EEENS1_30default_config_static_selectorELNS0_4arch9wavefront6targetE0EEEvT1_
    .private_segment_fixed_size: 0
    .sgpr_count:     0
    .sgpr_spill_count: 0
    .symbol:         _ZN7rocprim17ROCPRIM_400000_NS6detail17trampoline_kernelINS0_14default_configENS1_25partition_config_selectorILNS1_17partition_subalgoE6EtNS0_10empty_typeEbEEZZNS1_14partition_implILS5_6ELb0ES3_mN6thrust23THRUST_200600_302600_NS6detail15normal_iteratorINSA_10device_ptrItEEEEPS6_SG_NS0_5tupleIJSF_S6_EEENSH_IJSG_SG_EEES6_PlJNSB_9not_fun_tI7is_trueItEEEEEE10hipError_tPvRmT3_T4_T5_T6_T7_T9_mT8_P12ihipStream_tbDpT10_ENKUlT_T0_E_clISt17integral_constantIbLb1EES18_EEDaS13_S14_EUlS13_E_NS1_11comp_targetILNS1_3genE4ELNS1_11target_archE910ELNS1_3gpuE8ELNS1_3repE0EEENS1_30default_config_static_selectorELNS0_4arch9wavefront6targetE0EEEvT1_.kd
    .uniform_work_group_size: 1
    .uses_dynamic_stack: false
    .vgpr_count:     0
    .vgpr_spill_count: 0
    .wavefront_size: 32
    .workgroup_processor_mode: 1
  - .args:
      - .offset:         0
        .size:           128
        .value_kind:     by_value
    .group_segment_fixed_size: 0
    .kernarg_segment_align: 8
    .kernarg_segment_size: 128
    .language:       OpenCL C
    .language_version:
      - 2
      - 0
    .max_flat_workgroup_size: 256
    .name:           _ZN7rocprim17ROCPRIM_400000_NS6detail17trampoline_kernelINS0_14default_configENS1_25partition_config_selectorILNS1_17partition_subalgoE6EtNS0_10empty_typeEbEEZZNS1_14partition_implILS5_6ELb0ES3_mN6thrust23THRUST_200600_302600_NS6detail15normal_iteratorINSA_10device_ptrItEEEEPS6_SG_NS0_5tupleIJSF_S6_EEENSH_IJSG_SG_EEES6_PlJNSB_9not_fun_tI7is_trueItEEEEEE10hipError_tPvRmT3_T4_T5_T6_T7_T9_mT8_P12ihipStream_tbDpT10_ENKUlT_T0_E_clISt17integral_constantIbLb1EES18_EEDaS13_S14_EUlS13_E_NS1_11comp_targetILNS1_3genE3ELNS1_11target_archE908ELNS1_3gpuE7ELNS1_3repE0EEENS1_30default_config_static_selectorELNS0_4arch9wavefront6targetE0EEEvT1_
    .private_segment_fixed_size: 0
    .sgpr_count:     0
    .sgpr_spill_count: 0
    .symbol:         _ZN7rocprim17ROCPRIM_400000_NS6detail17trampoline_kernelINS0_14default_configENS1_25partition_config_selectorILNS1_17partition_subalgoE6EtNS0_10empty_typeEbEEZZNS1_14partition_implILS5_6ELb0ES3_mN6thrust23THRUST_200600_302600_NS6detail15normal_iteratorINSA_10device_ptrItEEEEPS6_SG_NS0_5tupleIJSF_S6_EEENSH_IJSG_SG_EEES6_PlJNSB_9not_fun_tI7is_trueItEEEEEE10hipError_tPvRmT3_T4_T5_T6_T7_T9_mT8_P12ihipStream_tbDpT10_ENKUlT_T0_E_clISt17integral_constantIbLb1EES18_EEDaS13_S14_EUlS13_E_NS1_11comp_targetILNS1_3genE3ELNS1_11target_archE908ELNS1_3gpuE7ELNS1_3repE0EEENS1_30default_config_static_selectorELNS0_4arch9wavefront6targetE0EEEvT1_.kd
    .uniform_work_group_size: 1
    .uses_dynamic_stack: false
    .vgpr_count:     0
    .vgpr_spill_count: 0
    .wavefront_size: 32
    .workgroup_processor_mode: 1
  - .args:
      - .offset:         0
        .size:           128
        .value_kind:     by_value
    .group_segment_fixed_size: 0
    .kernarg_segment_align: 8
    .kernarg_segment_size: 128
    .language:       OpenCL C
    .language_version:
      - 2
      - 0
    .max_flat_workgroup_size: 256
    .name:           _ZN7rocprim17ROCPRIM_400000_NS6detail17trampoline_kernelINS0_14default_configENS1_25partition_config_selectorILNS1_17partition_subalgoE6EtNS0_10empty_typeEbEEZZNS1_14partition_implILS5_6ELb0ES3_mN6thrust23THRUST_200600_302600_NS6detail15normal_iteratorINSA_10device_ptrItEEEEPS6_SG_NS0_5tupleIJSF_S6_EEENSH_IJSG_SG_EEES6_PlJNSB_9not_fun_tI7is_trueItEEEEEE10hipError_tPvRmT3_T4_T5_T6_T7_T9_mT8_P12ihipStream_tbDpT10_ENKUlT_T0_E_clISt17integral_constantIbLb1EES18_EEDaS13_S14_EUlS13_E_NS1_11comp_targetILNS1_3genE2ELNS1_11target_archE906ELNS1_3gpuE6ELNS1_3repE0EEENS1_30default_config_static_selectorELNS0_4arch9wavefront6targetE0EEEvT1_
    .private_segment_fixed_size: 0
    .sgpr_count:     0
    .sgpr_spill_count: 0
    .symbol:         _ZN7rocprim17ROCPRIM_400000_NS6detail17trampoline_kernelINS0_14default_configENS1_25partition_config_selectorILNS1_17partition_subalgoE6EtNS0_10empty_typeEbEEZZNS1_14partition_implILS5_6ELb0ES3_mN6thrust23THRUST_200600_302600_NS6detail15normal_iteratorINSA_10device_ptrItEEEEPS6_SG_NS0_5tupleIJSF_S6_EEENSH_IJSG_SG_EEES6_PlJNSB_9not_fun_tI7is_trueItEEEEEE10hipError_tPvRmT3_T4_T5_T6_T7_T9_mT8_P12ihipStream_tbDpT10_ENKUlT_T0_E_clISt17integral_constantIbLb1EES18_EEDaS13_S14_EUlS13_E_NS1_11comp_targetILNS1_3genE2ELNS1_11target_archE906ELNS1_3gpuE6ELNS1_3repE0EEENS1_30default_config_static_selectorELNS0_4arch9wavefront6targetE0EEEvT1_.kd
    .uniform_work_group_size: 1
    .uses_dynamic_stack: false
    .vgpr_count:     0
    .vgpr_spill_count: 0
    .wavefront_size: 32
    .workgroup_processor_mode: 1
  - .args:
      - .offset:         0
        .size:           128
        .value_kind:     by_value
    .group_segment_fixed_size: 0
    .kernarg_segment_align: 8
    .kernarg_segment_size: 128
    .language:       OpenCL C
    .language_version:
      - 2
      - 0
    .max_flat_workgroup_size: 384
    .name:           _ZN7rocprim17ROCPRIM_400000_NS6detail17trampoline_kernelINS0_14default_configENS1_25partition_config_selectorILNS1_17partition_subalgoE6EtNS0_10empty_typeEbEEZZNS1_14partition_implILS5_6ELb0ES3_mN6thrust23THRUST_200600_302600_NS6detail15normal_iteratorINSA_10device_ptrItEEEEPS6_SG_NS0_5tupleIJSF_S6_EEENSH_IJSG_SG_EEES6_PlJNSB_9not_fun_tI7is_trueItEEEEEE10hipError_tPvRmT3_T4_T5_T6_T7_T9_mT8_P12ihipStream_tbDpT10_ENKUlT_T0_E_clISt17integral_constantIbLb1EES18_EEDaS13_S14_EUlS13_E_NS1_11comp_targetILNS1_3genE10ELNS1_11target_archE1200ELNS1_3gpuE4ELNS1_3repE0EEENS1_30default_config_static_selectorELNS0_4arch9wavefront6targetE0EEEvT1_
    .private_segment_fixed_size: 0
    .sgpr_count:     0
    .sgpr_spill_count: 0
    .symbol:         _ZN7rocprim17ROCPRIM_400000_NS6detail17trampoline_kernelINS0_14default_configENS1_25partition_config_selectorILNS1_17partition_subalgoE6EtNS0_10empty_typeEbEEZZNS1_14partition_implILS5_6ELb0ES3_mN6thrust23THRUST_200600_302600_NS6detail15normal_iteratorINSA_10device_ptrItEEEEPS6_SG_NS0_5tupleIJSF_S6_EEENSH_IJSG_SG_EEES6_PlJNSB_9not_fun_tI7is_trueItEEEEEE10hipError_tPvRmT3_T4_T5_T6_T7_T9_mT8_P12ihipStream_tbDpT10_ENKUlT_T0_E_clISt17integral_constantIbLb1EES18_EEDaS13_S14_EUlS13_E_NS1_11comp_targetILNS1_3genE10ELNS1_11target_archE1200ELNS1_3gpuE4ELNS1_3repE0EEENS1_30default_config_static_selectorELNS0_4arch9wavefront6targetE0EEEvT1_.kd
    .uniform_work_group_size: 1
    .uses_dynamic_stack: false
    .vgpr_count:     0
    .vgpr_spill_count: 0
    .wavefront_size: 32
    .workgroup_processor_mode: 1
  - .args:
      - .offset:         0
        .size:           128
        .value_kind:     by_value
    .group_segment_fixed_size: 0
    .kernarg_segment_align: 8
    .kernarg_segment_size: 128
    .language:       OpenCL C
    .language_version:
      - 2
      - 0
    .max_flat_workgroup_size: 128
    .name:           _ZN7rocprim17ROCPRIM_400000_NS6detail17trampoline_kernelINS0_14default_configENS1_25partition_config_selectorILNS1_17partition_subalgoE6EtNS0_10empty_typeEbEEZZNS1_14partition_implILS5_6ELb0ES3_mN6thrust23THRUST_200600_302600_NS6detail15normal_iteratorINSA_10device_ptrItEEEEPS6_SG_NS0_5tupleIJSF_S6_EEENSH_IJSG_SG_EEES6_PlJNSB_9not_fun_tI7is_trueItEEEEEE10hipError_tPvRmT3_T4_T5_T6_T7_T9_mT8_P12ihipStream_tbDpT10_ENKUlT_T0_E_clISt17integral_constantIbLb1EES18_EEDaS13_S14_EUlS13_E_NS1_11comp_targetILNS1_3genE9ELNS1_11target_archE1100ELNS1_3gpuE3ELNS1_3repE0EEENS1_30default_config_static_selectorELNS0_4arch9wavefront6targetE0EEEvT1_
    .private_segment_fixed_size: 0
    .sgpr_count:     0
    .sgpr_spill_count: 0
    .symbol:         _ZN7rocprim17ROCPRIM_400000_NS6detail17trampoline_kernelINS0_14default_configENS1_25partition_config_selectorILNS1_17partition_subalgoE6EtNS0_10empty_typeEbEEZZNS1_14partition_implILS5_6ELb0ES3_mN6thrust23THRUST_200600_302600_NS6detail15normal_iteratorINSA_10device_ptrItEEEEPS6_SG_NS0_5tupleIJSF_S6_EEENSH_IJSG_SG_EEES6_PlJNSB_9not_fun_tI7is_trueItEEEEEE10hipError_tPvRmT3_T4_T5_T6_T7_T9_mT8_P12ihipStream_tbDpT10_ENKUlT_T0_E_clISt17integral_constantIbLb1EES18_EEDaS13_S14_EUlS13_E_NS1_11comp_targetILNS1_3genE9ELNS1_11target_archE1100ELNS1_3gpuE3ELNS1_3repE0EEENS1_30default_config_static_selectorELNS0_4arch9wavefront6targetE0EEEvT1_.kd
    .uniform_work_group_size: 1
    .uses_dynamic_stack: false
    .vgpr_count:     0
    .vgpr_spill_count: 0
    .wavefront_size: 32
    .workgroup_processor_mode: 1
  - .args:
      - .offset:         0
        .size:           128
        .value_kind:     by_value
    .group_segment_fixed_size: 0
    .kernarg_segment_align: 8
    .kernarg_segment_size: 128
    .language:       OpenCL C
    .language_version:
      - 2
      - 0
    .max_flat_workgroup_size: 256
    .name:           _ZN7rocprim17ROCPRIM_400000_NS6detail17trampoline_kernelINS0_14default_configENS1_25partition_config_selectorILNS1_17partition_subalgoE6EtNS0_10empty_typeEbEEZZNS1_14partition_implILS5_6ELb0ES3_mN6thrust23THRUST_200600_302600_NS6detail15normal_iteratorINSA_10device_ptrItEEEEPS6_SG_NS0_5tupleIJSF_S6_EEENSH_IJSG_SG_EEES6_PlJNSB_9not_fun_tI7is_trueItEEEEEE10hipError_tPvRmT3_T4_T5_T6_T7_T9_mT8_P12ihipStream_tbDpT10_ENKUlT_T0_E_clISt17integral_constantIbLb1EES18_EEDaS13_S14_EUlS13_E_NS1_11comp_targetILNS1_3genE8ELNS1_11target_archE1030ELNS1_3gpuE2ELNS1_3repE0EEENS1_30default_config_static_selectorELNS0_4arch9wavefront6targetE0EEEvT1_
    .private_segment_fixed_size: 0
    .sgpr_count:     0
    .sgpr_spill_count: 0
    .symbol:         _ZN7rocprim17ROCPRIM_400000_NS6detail17trampoline_kernelINS0_14default_configENS1_25partition_config_selectorILNS1_17partition_subalgoE6EtNS0_10empty_typeEbEEZZNS1_14partition_implILS5_6ELb0ES3_mN6thrust23THRUST_200600_302600_NS6detail15normal_iteratorINSA_10device_ptrItEEEEPS6_SG_NS0_5tupleIJSF_S6_EEENSH_IJSG_SG_EEES6_PlJNSB_9not_fun_tI7is_trueItEEEEEE10hipError_tPvRmT3_T4_T5_T6_T7_T9_mT8_P12ihipStream_tbDpT10_ENKUlT_T0_E_clISt17integral_constantIbLb1EES18_EEDaS13_S14_EUlS13_E_NS1_11comp_targetILNS1_3genE8ELNS1_11target_archE1030ELNS1_3gpuE2ELNS1_3repE0EEENS1_30default_config_static_selectorELNS0_4arch9wavefront6targetE0EEEvT1_.kd
    .uniform_work_group_size: 1
    .uses_dynamic_stack: false
    .vgpr_count:     0
    .vgpr_spill_count: 0
    .wavefront_size: 32
    .workgroup_processor_mode: 1
  - .args:
      - .offset:         0
        .size:           112
        .value_kind:     by_value
    .group_segment_fixed_size: 0
    .kernarg_segment_align: 8
    .kernarg_segment_size: 112
    .language:       OpenCL C
    .language_version:
      - 2
      - 0
    .max_flat_workgroup_size: 256
    .name:           _ZN7rocprim17ROCPRIM_400000_NS6detail17trampoline_kernelINS0_14default_configENS1_25partition_config_selectorILNS1_17partition_subalgoE6EtNS0_10empty_typeEbEEZZNS1_14partition_implILS5_6ELb0ES3_mN6thrust23THRUST_200600_302600_NS6detail15normal_iteratorINSA_10device_ptrItEEEEPS6_SG_NS0_5tupleIJSF_S6_EEENSH_IJSG_SG_EEES6_PlJNSB_9not_fun_tI7is_trueItEEEEEE10hipError_tPvRmT3_T4_T5_T6_T7_T9_mT8_P12ihipStream_tbDpT10_ENKUlT_T0_E_clISt17integral_constantIbLb1EES17_IbLb0EEEEDaS13_S14_EUlS13_E_NS1_11comp_targetILNS1_3genE0ELNS1_11target_archE4294967295ELNS1_3gpuE0ELNS1_3repE0EEENS1_30default_config_static_selectorELNS0_4arch9wavefront6targetE0EEEvT1_
    .private_segment_fixed_size: 0
    .sgpr_count:     0
    .sgpr_spill_count: 0
    .symbol:         _ZN7rocprim17ROCPRIM_400000_NS6detail17trampoline_kernelINS0_14default_configENS1_25partition_config_selectorILNS1_17partition_subalgoE6EtNS0_10empty_typeEbEEZZNS1_14partition_implILS5_6ELb0ES3_mN6thrust23THRUST_200600_302600_NS6detail15normal_iteratorINSA_10device_ptrItEEEEPS6_SG_NS0_5tupleIJSF_S6_EEENSH_IJSG_SG_EEES6_PlJNSB_9not_fun_tI7is_trueItEEEEEE10hipError_tPvRmT3_T4_T5_T6_T7_T9_mT8_P12ihipStream_tbDpT10_ENKUlT_T0_E_clISt17integral_constantIbLb1EES17_IbLb0EEEEDaS13_S14_EUlS13_E_NS1_11comp_targetILNS1_3genE0ELNS1_11target_archE4294967295ELNS1_3gpuE0ELNS1_3repE0EEENS1_30default_config_static_selectorELNS0_4arch9wavefront6targetE0EEEvT1_.kd
    .uniform_work_group_size: 1
    .uses_dynamic_stack: false
    .vgpr_count:     0
    .vgpr_spill_count: 0
    .wavefront_size: 32
    .workgroup_processor_mode: 1
  - .args:
      - .offset:         0
        .size:           112
        .value_kind:     by_value
    .group_segment_fixed_size: 0
    .kernarg_segment_align: 8
    .kernarg_segment_size: 112
    .language:       OpenCL C
    .language_version:
      - 2
      - 0
    .max_flat_workgroup_size: 512
    .name:           _ZN7rocprim17ROCPRIM_400000_NS6detail17trampoline_kernelINS0_14default_configENS1_25partition_config_selectorILNS1_17partition_subalgoE6EtNS0_10empty_typeEbEEZZNS1_14partition_implILS5_6ELb0ES3_mN6thrust23THRUST_200600_302600_NS6detail15normal_iteratorINSA_10device_ptrItEEEEPS6_SG_NS0_5tupleIJSF_S6_EEENSH_IJSG_SG_EEES6_PlJNSB_9not_fun_tI7is_trueItEEEEEE10hipError_tPvRmT3_T4_T5_T6_T7_T9_mT8_P12ihipStream_tbDpT10_ENKUlT_T0_E_clISt17integral_constantIbLb1EES17_IbLb0EEEEDaS13_S14_EUlS13_E_NS1_11comp_targetILNS1_3genE5ELNS1_11target_archE942ELNS1_3gpuE9ELNS1_3repE0EEENS1_30default_config_static_selectorELNS0_4arch9wavefront6targetE0EEEvT1_
    .private_segment_fixed_size: 0
    .sgpr_count:     0
    .sgpr_spill_count: 0
    .symbol:         _ZN7rocprim17ROCPRIM_400000_NS6detail17trampoline_kernelINS0_14default_configENS1_25partition_config_selectorILNS1_17partition_subalgoE6EtNS0_10empty_typeEbEEZZNS1_14partition_implILS5_6ELb0ES3_mN6thrust23THRUST_200600_302600_NS6detail15normal_iteratorINSA_10device_ptrItEEEEPS6_SG_NS0_5tupleIJSF_S6_EEENSH_IJSG_SG_EEES6_PlJNSB_9not_fun_tI7is_trueItEEEEEE10hipError_tPvRmT3_T4_T5_T6_T7_T9_mT8_P12ihipStream_tbDpT10_ENKUlT_T0_E_clISt17integral_constantIbLb1EES17_IbLb0EEEEDaS13_S14_EUlS13_E_NS1_11comp_targetILNS1_3genE5ELNS1_11target_archE942ELNS1_3gpuE9ELNS1_3repE0EEENS1_30default_config_static_selectorELNS0_4arch9wavefront6targetE0EEEvT1_.kd
    .uniform_work_group_size: 1
    .uses_dynamic_stack: false
    .vgpr_count:     0
    .vgpr_spill_count: 0
    .wavefront_size: 32
    .workgroup_processor_mode: 1
  - .args:
      - .offset:         0
        .size:           112
        .value_kind:     by_value
    .group_segment_fixed_size: 0
    .kernarg_segment_align: 8
    .kernarg_segment_size: 112
    .language:       OpenCL C
    .language_version:
      - 2
      - 0
    .max_flat_workgroup_size: 256
    .name:           _ZN7rocprim17ROCPRIM_400000_NS6detail17trampoline_kernelINS0_14default_configENS1_25partition_config_selectorILNS1_17partition_subalgoE6EtNS0_10empty_typeEbEEZZNS1_14partition_implILS5_6ELb0ES3_mN6thrust23THRUST_200600_302600_NS6detail15normal_iteratorINSA_10device_ptrItEEEEPS6_SG_NS0_5tupleIJSF_S6_EEENSH_IJSG_SG_EEES6_PlJNSB_9not_fun_tI7is_trueItEEEEEE10hipError_tPvRmT3_T4_T5_T6_T7_T9_mT8_P12ihipStream_tbDpT10_ENKUlT_T0_E_clISt17integral_constantIbLb1EES17_IbLb0EEEEDaS13_S14_EUlS13_E_NS1_11comp_targetILNS1_3genE4ELNS1_11target_archE910ELNS1_3gpuE8ELNS1_3repE0EEENS1_30default_config_static_selectorELNS0_4arch9wavefront6targetE0EEEvT1_
    .private_segment_fixed_size: 0
    .sgpr_count:     0
    .sgpr_spill_count: 0
    .symbol:         _ZN7rocprim17ROCPRIM_400000_NS6detail17trampoline_kernelINS0_14default_configENS1_25partition_config_selectorILNS1_17partition_subalgoE6EtNS0_10empty_typeEbEEZZNS1_14partition_implILS5_6ELb0ES3_mN6thrust23THRUST_200600_302600_NS6detail15normal_iteratorINSA_10device_ptrItEEEEPS6_SG_NS0_5tupleIJSF_S6_EEENSH_IJSG_SG_EEES6_PlJNSB_9not_fun_tI7is_trueItEEEEEE10hipError_tPvRmT3_T4_T5_T6_T7_T9_mT8_P12ihipStream_tbDpT10_ENKUlT_T0_E_clISt17integral_constantIbLb1EES17_IbLb0EEEEDaS13_S14_EUlS13_E_NS1_11comp_targetILNS1_3genE4ELNS1_11target_archE910ELNS1_3gpuE8ELNS1_3repE0EEENS1_30default_config_static_selectorELNS0_4arch9wavefront6targetE0EEEvT1_.kd
    .uniform_work_group_size: 1
    .uses_dynamic_stack: false
    .vgpr_count:     0
    .vgpr_spill_count: 0
    .wavefront_size: 32
    .workgroup_processor_mode: 1
  - .args:
      - .offset:         0
        .size:           112
        .value_kind:     by_value
    .group_segment_fixed_size: 0
    .kernarg_segment_align: 8
    .kernarg_segment_size: 112
    .language:       OpenCL C
    .language_version:
      - 2
      - 0
    .max_flat_workgroup_size: 256
    .name:           _ZN7rocprim17ROCPRIM_400000_NS6detail17trampoline_kernelINS0_14default_configENS1_25partition_config_selectorILNS1_17partition_subalgoE6EtNS0_10empty_typeEbEEZZNS1_14partition_implILS5_6ELb0ES3_mN6thrust23THRUST_200600_302600_NS6detail15normal_iteratorINSA_10device_ptrItEEEEPS6_SG_NS0_5tupleIJSF_S6_EEENSH_IJSG_SG_EEES6_PlJNSB_9not_fun_tI7is_trueItEEEEEE10hipError_tPvRmT3_T4_T5_T6_T7_T9_mT8_P12ihipStream_tbDpT10_ENKUlT_T0_E_clISt17integral_constantIbLb1EES17_IbLb0EEEEDaS13_S14_EUlS13_E_NS1_11comp_targetILNS1_3genE3ELNS1_11target_archE908ELNS1_3gpuE7ELNS1_3repE0EEENS1_30default_config_static_selectorELNS0_4arch9wavefront6targetE0EEEvT1_
    .private_segment_fixed_size: 0
    .sgpr_count:     0
    .sgpr_spill_count: 0
    .symbol:         _ZN7rocprim17ROCPRIM_400000_NS6detail17trampoline_kernelINS0_14default_configENS1_25partition_config_selectorILNS1_17partition_subalgoE6EtNS0_10empty_typeEbEEZZNS1_14partition_implILS5_6ELb0ES3_mN6thrust23THRUST_200600_302600_NS6detail15normal_iteratorINSA_10device_ptrItEEEEPS6_SG_NS0_5tupleIJSF_S6_EEENSH_IJSG_SG_EEES6_PlJNSB_9not_fun_tI7is_trueItEEEEEE10hipError_tPvRmT3_T4_T5_T6_T7_T9_mT8_P12ihipStream_tbDpT10_ENKUlT_T0_E_clISt17integral_constantIbLb1EES17_IbLb0EEEEDaS13_S14_EUlS13_E_NS1_11comp_targetILNS1_3genE3ELNS1_11target_archE908ELNS1_3gpuE7ELNS1_3repE0EEENS1_30default_config_static_selectorELNS0_4arch9wavefront6targetE0EEEvT1_.kd
    .uniform_work_group_size: 1
    .uses_dynamic_stack: false
    .vgpr_count:     0
    .vgpr_spill_count: 0
    .wavefront_size: 32
    .workgroup_processor_mode: 1
  - .args:
      - .offset:         0
        .size:           112
        .value_kind:     by_value
    .group_segment_fixed_size: 0
    .kernarg_segment_align: 8
    .kernarg_segment_size: 112
    .language:       OpenCL C
    .language_version:
      - 2
      - 0
    .max_flat_workgroup_size: 256
    .name:           _ZN7rocprim17ROCPRIM_400000_NS6detail17trampoline_kernelINS0_14default_configENS1_25partition_config_selectorILNS1_17partition_subalgoE6EtNS0_10empty_typeEbEEZZNS1_14partition_implILS5_6ELb0ES3_mN6thrust23THRUST_200600_302600_NS6detail15normal_iteratorINSA_10device_ptrItEEEEPS6_SG_NS0_5tupleIJSF_S6_EEENSH_IJSG_SG_EEES6_PlJNSB_9not_fun_tI7is_trueItEEEEEE10hipError_tPvRmT3_T4_T5_T6_T7_T9_mT8_P12ihipStream_tbDpT10_ENKUlT_T0_E_clISt17integral_constantIbLb1EES17_IbLb0EEEEDaS13_S14_EUlS13_E_NS1_11comp_targetILNS1_3genE2ELNS1_11target_archE906ELNS1_3gpuE6ELNS1_3repE0EEENS1_30default_config_static_selectorELNS0_4arch9wavefront6targetE0EEEvT1_
    .private_segment_fixed_size: 0
    .sgpr_count:     0
    .sgpr_spill_count: 0
    .symbol:         _ZN7rocprim17ROCPRIM_400000_NS6detail17trampoline_kernelINS0_14default_configENS1_25partition_config_selectorILNS1_17partition_subalgoE6EtNS0_10empty_typeEbEEZZNS1_14partition_implILS5_6ELb0ES3_mN6thrust23THRUST_200600_302600_NS6detail15normal_iteratorINSA_10device_ptrItEEEEPS6_SG_NS0_5tupleIJSF_S6_EEENSH_IJSG_SG_EEES6_PlJNSB_9not_fun_tI7is_trueItEEEEEE10hipError_tPvRmT3_T4_T5_T6_T7_T9_mT8_P12ihipStream_tbDpT10_ENKUlT_T0_E_clISt17integral_constantIbLb1EES17_IbLb0EEEEDaS13_S14_EUlS13_E_NS1_11comp_targetILNS1_3genE2ELNS1_11target_archE906ELNS1_3gpuE6ELNS1_3repE0EEENS1_30default_config_static_selectorELNS0_4arch9wavefront6targetE0EEEvT1_.kd
    .uniform_work_group_size: 1
    .uses_dynamic_stack: false
    .vgpr_count:     0
    .vgpr_spill_count: 0
    .wavefront_size: 32
    .workgroup_processor_mode: 1
  - .args:
      - .offset:         0
        .size:           112
        .value_kind:     by_value
    .group_segment_fixed_size: 0
    .kernarg_segment_align: 8
    .kernarg_segment_size: 112
    .language:       OpenCL C
    .language_version:
      - 2
      - 0
    .max_flat_workgroup_size: 384
    .name:           _ZN7rocprim17ROCPRIM_400000_NS6detail17trampoline_kernelINS0_14default_configENS1_25partition_config_selectorILNS1_17partition_subalgoE6EtNS0_10empty_typeEbEEZZNS1_14partition_implILS5_6ELb0ES3_mN6thrust23THRUST_200600_302600_NS6detail15normal_iteratorINSA_10device_ptrItEEEEPS6_SG_NS0_5tupleIJSF_S6_EEENSH_IJSG_SG_EEES6_PlJNSB_9not_fun_tI7is_trueItEEEEEE10hipError_tPvRmT3_T4_T5_T6_T7_T9_mT8_P12ihipStream_tbDpT10_ENKUlT_T0_E_clISt17integral_constantIbLb1EES17_IbLb0EEEEDaS13_S14_EUlS13_E_NS1_11comp_targetILNS1_3genE10ELNS1_11target_archE1200ELNS1_3gpuE4ELNS1_3repE0EEENS1_30default_config_static_selectorELNS0_4arch9wavefront6targetE0EEEvT1_
    .private_segment_fixed_size: 0
    .sgpr_count:     0
    .sgpr_spill_count: 0
    .symbol:         _ZN7rocprim17ROCPRIM_400000_NS6detail17trampoline_kernelINS0_14default_configENS1_25partition_config_selectorILNS1_17partition_subalgoE6EtNS0_10empty_typeEbEEZZNS1_14partition_implILS5_6ELb0ES3_mN6thrust23THRUST_200600_302600_NS6detail15normal_iteratorINSA_10device_ptrItEEEEPS6_SG_NS0_5tupleIJSF_S6_EEENSH_IJSG_SG_EEES6_PlJNSB_9not_fun_tI7is_trueItEEEEEE10hipError_tPvRmT3_T4_T5_T6_T7_T9_mT8_P12ihipStream_tbDpT10_ENKUlT_T0_E_clISt17integral_constantIbLb1EES17_IbLb0EEEEDaS13_S14_EUlS13_E_NS1_11comp_targetILNS1_3genE10ELNS1_11target_archE1200ELNS1_3gpuE4ELNS1_3repE0EEENS1_30default_config_static_selectorELNS0_4arch9wavefront6targetE0EEEvT1_.kd
    .uniform_work_group_size: 1
    .uses_dynamic_stack: false
    .vgpr_count:     0
    .vgpr_spill_count: 0
    .wavefront_size: 32
    .workgroup_processor_mode: 1
  - .args:
      - .offset:         0
        .size:           112
        .value_kind:     by_value
    .group_segment_fixed_size: 0
    .kernarg_segment_align: 8
    .kernarg_segment_size: 112
    .language:       OpenCL C
    .language_version:
      - 2
      - 0
    .max_flat_workgroup_size: 128
    .name:           _ZN7rocprim17ROCPRIM_400000_NS6detail17trampoline_kernelINS0_14default_configENS1_25partition_config_selectorILNS1_17partition_subalgoE6EtNS0_10empty_typeEbEEZZNS1_14partition_implILS5_6ELb0ES3_mN6thrust23THRUST_200600_302600_NS6detail15normal_iteratorINSA_10device_ptrItEEEEPS6_SG_NS0_5tupleIJSF_S6_EEENSH_IJSG_SG_EEES6_PlJNSB_9not_fun_tI7is_trueItEEEEEE10hipError_tPvRmT3_T4_T5_T6_T7_T9_mT8_P12ihipStream_tbDpT10_ENKUlT_T0_E_clISt17integral_constantIbLb1EES17_IbLb0EEEEDaS13_S14_EUlS13_E_NS1_11comp_targetILNS1_3genE9ELNS1_11target_archE1100ELNS1_3gpuE3ELNS1_3repE0EEENS1_30default_config_static_selectorELNS0_4arch9wavefront6targetE0EEEvT1_
    .private_segment_fixed_size: 0
    .sgpr_count:     0
    .sgpr_spill_count: 0
    .symbol:         _ZN7rocprim17ROCPRIM_400000_NS6detail17trampoline_kernelINS0_14default_configENS1_25partition_config_selectorILNS1_17partition_subalgoE6EtNS0_10empty_typeEbEEZZNS1_14partition_implILS5_6ELb0ES3_mN6thrust23THRUST_200600_302600_NS6detail15normal_iteratorINSA_10device_ptrItEEEEPS6_SG_NS0_5tupleIJSF_S6_EEENSH_IJSG_SG_EEES6_PlJNSB_9not_fun_tI7is_trueItEEEEEE10hipError_tPvRmT3_T4_T5_T6_T7_T9_mT8_P12ihipStream_tbDpT10_ENKUlT_T0_E_clISt17integral_constantIbLb1EES17_IbLb0EEEEDaS13_S14_EUlS13_E_NS1_11comp_targetILNS1_3genE9ELNS1_11target_archE1100ELNS1_3gpuE3ELNS1_3repE0EEENS1_30default_config_static_selectorELNS0_4arch9wavefront6targetE0EEEvT1_.kd
    .uniform_work_group_size: 1
    .uses_dynamic_stack: false
    .vgpr_count:     0
    .vgpr_spill_count: 0
    .wavefront_size: 32
    .workgroup_processor_mode: 1
  - .args:
      - .offset:         0
        .size:           112
        .value_kind:     by_value
    .group_segment_fixed_size: 0
    .kernarg_segment_align: 8
    .kernarg_segment_size: 112
    .language:       OpenCL C
    .language_version:
      - 2
      - 0
    .max_flat_workgroup_size: 256
    .name:           _ZN7rocprim17ROCPRIM_400000_NS6detail17trampoline_kernelINS0_14default_configENS1_25partition_config_selectorILNS1_17partition_subalgoE6EtNS0_10empty_typeEbEEZZNS1_14partition_implILS5_6ELb0ES3_mN6thrust23THRUST_200600_302600_NS6detail15normal_iteratorINSA_10device_ptrItEEEEPS6_SG_NS0_5tupleIJSF_S6_EEENSH_IJSG_SG_EEES6_PlJNSB_9not_fun_tI7is_trueItEEEEEE10hipError_tPvRmT3_T4_T5_T6_T7_T9_mT8_P12ihipStream_tbDpT10_ENKUlT_T0_E_clISt17integral_constantIbLb1EES17_IbLb0EEEEDaS13_S14_EUlS13_E_NS1_11comp_targetILNS1_3genE8ELNS1_11target_archE1030ELNS1_3gpuE2ELNS1_3repE0EEENS1_30default_config_static_selectorELNS0_4arch9wavefront6targetE0EEEvT1_
    .private_segment_fixed_size: 0
    .sgpr_count:     0
    .sgpr_spill_count: 0
    .symbol:         _ZN7rocprim17ROCPRIM_400000_NS6detail17trampoline_kernelINS0_14default_configENS1_25partition_config_selectorILNS1_17partition_subalgoE6EtNS0_10empty_typeEbEEZZNS1_14partition_implILS5_6ELb0ES3_mN6thrust23THRUST_200600_302600_NS6detail15normal_iteratorINSA_10device_ptrItEEEEPS6_SG_NS0_5tupleIJSF_S6_EEENSH_IJSG_SG_EEES6_PlJNSB_9not_fun_tI7is_trueItEEEEEE10hipError_tPvRmT3_T4_T5_T6_T7_T9_mT8_P12ihipStream_tbDpT10_ENKUlT_T0_E_clISt17integral_constantIbLb1EES17_IbLb0EEEEDaS13_S14_EUlS13_E_NS1_11comp_targetILNS1_3genE8ELNS1_11target_archE1030ELNS1_3gpuE2ELNS1_3repE0EEENS1_30default_config_static_selectorELNS0_4arch9wavefront6targetE0EEEvT1_.kd
    .uniform_work_group_size: 1
    .uses_dynamic_stack: false
    .vgpr_count:     0
    .vgpr_spill_count: 0
    .wavefront_size: 32
    .workgroup_processor_mode: 1
  - .args:
      - .offset:         0
        .size:           128
        .value_kind:     by_value
    .group_segment_fixed_size: 0
    .kernarg_segment_align: 8
    .kernarg_segment_size: 128
    .language:       OpenCL C
    .language_version:
      - 2
      - 0
    .max_flat_workgroup_size: 256
    .name:           _ZN7rocprim17ROCPRIM_400000_NS6detail17trampoline_kernelINS0_14default_configENS1_25partition_config_selectorILNS1_17partition_subalgoE6EtNS0_10empty_typeEbEEZZNS1_14partition_implILS5_6ELb0ES3_mN6thrust23THRUST_200600_302600_NS6detail15normal_iteratorINSA_10device_ptrItEEEEPS6_SG_NS0_5tupleIJSF_S6_EEENSH_IJSG_SG_EEES6_PlJNSB_9not_fun_tI7is_trueItEEEEEE10hipError_tPvRmT3_T4_T5_T6_T7_T9_mT8_P12ihipStream_tbDpT10_ENKUlT_T0_E_clISt17integral_constantIbLb0EES17_IbLb1EEEEDaS13_S14_EUlS13_E_NS1_11comp_targetILNS1_3genE0ELNS1_11target_archE4294967295ELNS1_3gpuE0ELNS1_3repE0EEENS1_30default_config_static_selectorELNS0_4arch9wavefront6targetE0EEEvT1_
    .private_segment_fixed_size: 0
    .sgpr_count:     0
    .sgpr_spill_count: 0
    .symbol:         _ZN7rocprim17ROCPRIM_400000_NS6detail17trampoline_kernelINS0_14default_configENS1_25partition_config_selectorILNS1_17partition_subalgoE6EtNS0_10empty_typeEbEEZZNS1_14partition_implILS5_6ELb0ES3_mN6thrust23THRUST_200600_302600_NS6detail15normal_iteratorINSA_10device_ptrItEEEEPS6_SG_NS0_5tupleIJSF_S6_EEENSH_IJSG_SG_EEES6_PlJNSB_9not_fun_tI7is_trueItEEEEEE10hipError_tPvRmT3_T4_T5_T6_T7_T9_mT8_P12ihipStream_tbDpT10_ENKUlT_T0_E_clISt17integral_constantIbLb0EES17_IbLb1EEEEDaS13_S14_EUlS13_E_NS1_11comp_targetILNS1_3genE0ELNS1_11target_archE4294967295ELNS1_3gpuE0ELNS1_3repE0EEENS1_30default_config_static_selectorELNS0_4arch9wavefront6targetE0EEEvT1_.kd
    .uniform_work_group_size: 1
    .uses_dynamic_stack: false
    .vgpr_count:     0
    .vgpr_spill_count: 0
    .wavefront_size: 32
    .workgroup_processor_mode: 1
  - .args:
      - .offset:         0
        .size:           128
        .value_kind:     by_value
    .group_segment_fixed_size: 0
    .kernarg_segment_align: 8
    .kernarg_segment_size: 128
    .language:       OpenCL C
    .language_version:
      - 2
      - 0
    .max_flat_workgroup_size: 512
    .name:           _ZN7rocprim17ROCPRIM_400000_NS6detail17trampoline_kernelINS0_14default_configENS1_25partition_config_selectorILNS1_17partition_subalgoE6EtNS0_10empty_typeEbEEZZNS1_14partition_implILS5_6ELb0ES3_mN6thrust23THRUST_200600_302600_NS6detail15normal_iteratorINSA_10device_ptrItEEEEPS6_SG_NS0_5tupleIJSF_S6_EEENSH_IJSG_SG_EEES6_PlJNSB_9not_fun_tI7is_trueItEEEEEE10hipError_tPvRmT3_T4_T5_T6_T7_T9_mT8_P12ihipStream_tbDpT10_ENKUlT_T0_E_clISt17integral_constantIbLb0EES17_IbLb1EEEEDaS13_S14_EUlS13_E_NS1_11comp_targetILNS1_3genE5ELNS1_11target_archE942ELNS1_3gpuE9ELNS1_3repE0EEENS1_30default_config_static_selectorELNS0_4arch9wavefront6targetE0EEEvT1_
    .private_segment_fixed_size: 0
    .sgpr_count:     0
    .sgpr_spill_count: 0
    .symbol:         _ZN7rocprim17ROCPRIM_400000_NS6detail17trampoline_kernelINS0_14default_configENS1_25partition_config_selectorILNS1_17partition_subalgoE6EtNS0_10empty_typeEbEEZZNS1_14partition_implILS5_6ELb0ES3_mN6thrust23THRUST_200600_302600_NS6detail15normal_iteratorINSA_10device_ptrItEEEEPS6_SG_NS0_5tupleIJSF_S6_EEENSH_IJSG_SG_EEES6_PlJNSB_9not_fun_tI7is_trueItEEEEEE10hipError_tPvRmT3_T4_T5_T6_T7_T9_mT8_P12ihipStream_tbDpT10_ENKUlT_T0_E_clISt17integral_constantIbLb0EES17_IbLb1EEEEDaS13_S14_EUlS13_E_NS1_11comp_targetILNS1_3genE5ELNS1_11target_archE942ELNS1_3gpuE9ELNS1_3repE0EEENS1_30default_config_static_selectorELNS0_4arch9wavefront6targetE0EEEvT1_.kd
    .uniform_work_group_size: 1
    .uses_dynamic_stack: false
    .vgpr_count:     0
    .vgpr_spill_count: 0
    .wavefront_size: 32
    .workgroup_processor_mode: 1
  - .args:
      - .offset:         0
        .size:           128
        .value_kind:     by_value
    .group_segment_fixed_size: 0
    .kernarg_segment_align: 8
    .kernarg_segment_size: 128
    .language:       OpenCL C
    .language_version:
      - 2
      - 0
    .max_flat_workgroup_size: 256
    .name:           _ZN7rocprim17ROCPRIM_400000_NS6detail17trampoline_kernelINS0_14default_configENS1_25partition_config_selectorILNS1_17partition_subalgoE6EtNS0_10empty_typeEbEEZZNS1_14partition_implILS5_6ELb0ES3_mN6thrust23THRUST_200600_302600_NS6detail15normal_iteratorINSA_10device_ptrItEEEEPS6_SG_NS0_5tupleIJSF_S6_EEENSH_IJSG_SG_EEES6_PlJNSB_9not_fun_tI7is_trueItEEEEEE10hipError_tPvRmT3_T4_T5_T6_T7_T9_mT8_P12ihipStream_tbDpT10_ENKUlT_T0_E_clISt17integral_constantIbLb0EES17_IbLb1EEEEDaS13_S14_EUlS13_E_NS1_11comp_targetILNS1_3genE4ELNS1_11target_archE910ELNS1_3gpuE8ELNS1_3repE0EEENS1_30default_config_static_selectorELNS0_4arch9wavefront6targetE0EEEvT1_
    .private_segment_fixed_size: 0
    .sgpr_count:     0
    .sgpr_spill_count: 0
    .symbol:         _ZN7rocprim17ROCPRIM_400000_NS6detail17trampoline_kernelINS0_14default_configENS1_25partition_config_selectorILNS1_17partition_subalgoE6EtNS0_10empty_typeEbEEZZNS1_14partition_implILS5_6ELb0ES3_mN6thrust23THRUST_200600_302600_NS6detail15normal_iteratorINSA_10device_ptrItEEEEPS6_SG_NS0_5tupleIJSF_S6_EEENSH_IJSG_SG_EEES6_PlJNSB_9not_fun_tI7is_trueItEEEEEE10hipError_tPvRmT3_T4_T5_T6_T7_T9_mT8_P12ihipStream_tbDpT10_ENKUlT_T0_E_clISt17integral_constantIbLb0EES17_IbLb1EEEEDaS13_S14_EUlS13_E_NS1_11comp_targetILNS1_3genE4ELNS1_11target_archE910ELNS1_3gpuE8ELNS1_3repE0EEENS1_30default_config_static_selectorELNS0_4arch9wavefront6targetE0EEEvT1_.kd
    .uniform_work_group_size: 1
    .uses_dynamic_stack: false
    .vgpr_count:     0
    .vgpr_spill_count: 0
    .wavefront_size: 32
    .workgroup_processor_mode: 1
  - .args:
      - .offset:         0
        .size:           128
        .value_kind:     by_value
    .group_segment_fixed_size: 0
    .kernarg_segment_align: 8
    .kernarg_segment_size: 128
    .language:       OpenCL C
    .language_version:
      - 2
      - 0
    .max_flat_workgroup_size: 256
    .name:           _ZN7rocprim17ROCPRIM_400000_NS6detail17trampoline_kernelINS0_14default_configENS1_25partition_config_selectorILNS1_17partition_subalgoE6EtNS0_10empty_typeEbEEZZNS1_14partition_implILS5_6ELb0ES3_mN6thrust23THRUST_200600_302600_NS6detail15normal_iteratorINSA_10device_ptrItEEEEPS6_SG_NS0_5tupleIJSF_S6_EEENSH_IJSG_SG_EEES6_PlJNSB_9not_fun_tI7is_trueItEEEEEE10hipError_tPvRmT3_T4_T5_T6_T7_T9_mT8_P12ihipStream_tbDpT10_ENKUlT_T0_E_clISt17integral_constantIbLb0EES17_IbLb1EEEEDaS13_S14_EUlS13_E_NS1_11comp_targetILNS1_3genE3ELNS1_11target_archE908ELNS1_3gpuE7ELNS1_3repE0EEENS1_30default_config_static_selectorELNS0_4arch9wavefront6targetE0EEEvT1_
    .private_segment_fixed_size: 0
    .sgpr_count:     0
    .sgpr_spill_count: 0
    .symbol:         _ZN7rocprim17ROCPRIM_400000_NS6detail17trampoline_kernelINS0_14default_configENS1_25partition_config_selectorILNS1_17partition_subalgoE6EtNS0_10empty_typeEbEEZZNS1_14partition_implILS5_6ELb0ES3_mN6thrust23THRUST_200600_302600_NS6detail15normal_iteratorINSA_10device_ptrItEEEEPS6_SG_NS0_5tupleIJSF_S6_EEENSH_IJSG_SG_EEES6_PlJNSB_9not_fun_tI7is_trueItEEEEEE10hipError_tPvRmT3_T4_T5_T6_T7_T9_mT8_P12ihipStream_tbDpT10_ENKUlT_T0_E_clISt17integral_constantIbLb0EES17_IbLb1EEEEDaS13_S14_EUlS13_E_NS1_11comp_targetILNS1_3genE3ELNS1_11target_archE908ELNS1_3gpuE7ELNS1_3repE0EEENS1_30default_config_static_selectorELNS0_4arch9wavefront6targetE0EEEvT1_.kd
    .uniform_work_group_size: 1
    .uses_dynamic_stack: false
    .vgpr_count:     0
    .vgpr_spill_count: 0
    .wavefront_size: 32
    .workgroup_processor_mode: 1
  - .args:
      - .offset:         0
        .size:           128
        .value_kind:     by_value
    .group_segment_fixed_size: 0
    .kernarg_segment_align: 8
    .kernarg_segment_size: 128
    .language:       OpenCL C
    .language_version:
      - 2
      - 0
    .max_flat_workgroup_size: 256
    .name:           _ZN7rocprim17ROCPRIM_400000_NS6detail17trampoline_kernelINS0_14default_configENS1_25partition_config_selectorILNS1_17partition_subalgoE6EtNS0_10empty_typeEbEEZZNS1_14partition_implILS5_6ELb0ES3_mN6thrust23THRUST_200600_302600_NS6detail15normal_iteratorINSA_10device_ptrItEEEEPS6_SG_NS0_5tupleIJSF_S6_EEENSH_IJSG_SG_EEES6_PlJNSB_9not_fun_tI7is_trueItEEEEEE10hipError_tPvRmT3_T4_T5_T6_T7_T9_mT8_P12ihipStream_tbDpT10_ENKUlT_T0_E_clISt17integral_constantIbLb0EES17_IbLb1EEEEDaS13_S14_EUlS13_E_NS1_11comp_targetILNS1_3genE2ELNS1_11target_archE906ELNS1_3gpuE6ELNS1_3repE0EEENS1_30default_config_static_selectorELNS0_4arch9wavefront6targetE0EEEvT1_
    .private_segment_fixed_size: 0
    .sgpr_count:     0
    .sgpr_spill_count: 0
    .symbol:         _ZN7rocprim17ROCPRIM_400000_NS6detail17trampoline_kernelINS0_14default_configENS1_25partition_config_selectorILNS1_17partition_subalgoE6EtNS0_10empty_typeEbEEZZNS1_14partition_implILS5_6ELb0ES3_mN6thrust23THRUST_200600_302600_NS6detail15normal_iteratorINSA_10device_ptrItEEEEPS6_SG_NS0_5tupleIJSF_S6_EEENSH_IJSG_SG_EEES6_PlJNSB_9not_fun_tI7is_trueItEEEEEE10hipError_tPvRmT3_T4_T5_T6_T7_T9_mT8_P12ihipStream_tbDpT10_ENKUlT_T0_E_clISt17integral_constantIbLb0EES17_IbLb1EEEEDaS13_S14_EUlS13_E_NS1_11comp_targetILNS1_3genE2ELNS1_11target_archE906ELNS1_3gpuE6ELNS1_3repE0EEENS1_30default_config_static_selectorELNS0_4arch9wavefront6targetE0EEEvT1_.kd
    .uniform_work_group_size: 1
    .uses_dynamic_stack: false
    .vgpr_count:     0
    .vgpr_spill_count: 0
    .wavefront_size: 32
    .workgroup_processor_mode: 1
  - .args:
      - .offset:         0
        .size:           128
        .value_kind:     by_value
    .group_segment_fixed_size: 13840
    .kernarg_segment_align: 8
    .kernarg_segment_size: 128
    .language:       OpenCL C
    .language_version:
      - 2
      - 0
    .max_flat_workgroup_size: 384
    .name:           _ZN7rocprim17ROCPRIM_400000_NS6detail17trampoline_kernelINS0_14default_configENS1_25partition_config_selectorILNS1_17partition_subalgoE6EtNS0_10empty_typeEbEEZZNS1_14partition_implILS5_6ELb0ES3_mN6thrust23THRUST_200600_302600_NS6detail15normal_iteratorINSA_10device_ptrItEEEEPS6_SG_NS0_5tupleIJSF_S6_EEENSH_IJSG_SG_EEES6_PlJNSB_9not_fun_tI7is_trueItEEEEEE10hipError_tPvRmT3_T4_T5_T6_T7_T9_mT8_P12ihipStream_tbDpT10_ENKUlT_T0_E_clISt17integral_constantIbLb0EES17_IbLb1EEEEDaS13_S14_EUlS13_E_NS1_11comp_targetILNS1_3genE10ELNS1_11target_archE1200ELNS1_3gpuE4ELNS1_3repE0EEENS1_30default_config_static_selectorELNS0_4arch9wavefront6targetE0EEEvT1_
    .private_segment_fixed_size: 0
    .sgpr_count:     31
    .sgpr_spill_count: 0
    .symbol:         _ZN7rocprim17ROCPRIM_400000_NS6detail17trampoline_kernelINS0_14default_configENS1_25partition_config_selectorILNS1_17partition_subalgoE6EtNS0_10empty_typeEbEEZZNS1_14partition_implILS5_6ELb0ES3_mN6thrust23THRUST_200600_302600_NS6detail15normal_iteratorINSA_10device_ptrItEEEEPS6_SG_NS0_5tupleIJSF_S6_EEENSH_IJSG_SG_EEES6_PlJNSB_9not_fun_tI7is_trueItEEEEEE10hipError_tPvRmT3_T4_T5_T6_T7_T9_mT8_P12ihipStream_tbDpT10_ENKUlT_T0_E_clISt17integral_constantIbLb0EES17_IbLb1EEEEDaS13_S14_EUlS13_E_NS1_11comp_targetILNS1_3genE10ELNS1_11target_archE1200ELNS1_3gpuE4ELNS1_3repE0EEENS1_30default_config_static_selectorELNS0_4arch9wavefront6targetE0EEEvT1_.kd
    .uniform_work_group_size: 1
    .uses_dynamic_stack: false
    .vgpr_count:     78
    .vgpr_spill_count: 0
    .wavefront_size: 32
    .workgroup_processor_mode: 1
  - .args:
      - .offset:         0
        .size:           128
        .value_kind:     by_value
    .group_segment_fixed_size: 0
    .kernarg_segment_align: 8
    .kernarg_segment_size: 128
    .language:       OpenCL C
    .language_version:
      - 2
      - 0
    .max_flat_workgroup_size: 128
    .name:           _ZN7rocprim17ROCPRIM_400000_NS6detail17trampoline_kernelINS0_14default_configENS1_25partition_config_selectorILNS1_17partition_subalgoE6EtNS0_10empty_typeEbEEZZNS1_14partition_implILS5_6ELb0ES3_mN6thrust23THRUST_200600_302600_NS6detail15normal_iteratorINSA_10device_ptrItEEEEPS6_SG_NS0_5tupleIJSF_S6_EEENSH_IJSG_SG_EEES6_PlJNSB_9not_fun_tI7is_trueItEEEEEE10hipError_tPvRmT3_T4_T5_T6_T7_T9_mT8_P12ihipStream_tbDpT10_ENKUlT_T0_E_clISt17integral_constantIbLb0EES17_IbLb1EEEEDaS13_S14_EUlS13_E_NS1_11comp_targetILNS1_3genE9ELNS1_11target_archE1100ELNS1_3gpuE3ELNS1_3repE0EEENS1_30default_config_static_selectorELNS0_4arch9wavefront6targetE0EEEvT1_
    .private_segment_fixed_size: 0
    .sgpr_count:     0
    .sgpr_spill_count: 0
    .symbol:         _ZN7rocprim17ROCPRIM_400000_NS6detail17trampoline_kernelINS0_14default_configENS1_25partition_config_selectorILNS1_17partition_subalgoE6EtNS0_10empty_typeEbEEZZNS1_14partition_implILS5_6ELb0ES3_mN6thrust23THRUST_200600_302600_NS6detail15normal_iteratorINSA_10device_ptrItEEEEPS6_SG_NS0_5tupleIJSF_S6_EEENSH_IJSG_SG_EEES6_PlJNSB_9not_fun_tI7is_trueItEEEEEE10hipError_tPvRmT3_T4_T5_T6_T7_T9_mT8_P12ihipStream_tbDpT10_ENKUlT_T0_E_clISt17integral_constantIbLb0EES17_IbLb1EEEEDaS13_S14_EUlS13_E_NS1_11comp_targetILNS1_3genE9ELNS1_11target_archE1100ELNS1_3gpuE3ELNS1_3repE0EEENS1_30default_config_static_selectorELNS0_4arch9wavefront6targetE0EEEvT1_.kd
    .uniform_work_group_size: 1
    .uses_dynamic_stack: false
    .vgpr_count:     0
    .vgpr_spill_count: 0
    .wavefront_size: 32
    .workgroup_processor_mode: 1
  - .args:
      - .offset:         0
        .size:           128
        .value_kind:     by_value
    .group_segment_fixed_size: 0
    .kernarg_segment_align: 8
    .kernarg_segment_size: 128
    .language:       OpenCL C
    .language_version:
      - 2
      - 0
    .max_flat_workgroup_size: 256
    .name:           _ZN7rocprim17ROCPRIM_400000_NS6detail17trampoline_kernelINS0_14default_configENS1_25partition_config_selectorILNS1_17partition_subalgoE6EtNS0_10empty_typeEbEEZZNS1_14partition_implILS5_6ELb0ES3_mN6thrust23THRUST_200600_302600_NS6detail15normal_iteratorINSA_10device_ptrItEEEEPS6_SG_NS0_5tupleIJSF_S6_EEENSH_IJSG_SG_EEES6_PlJNSB_9not_fun_tI7is_trueItEEEEEE10hipError_tPvRmT3_T4_T5_T6_T7_T9_mT8_P12ihipStream_tbDpT10_ENKUlT_T0_E_clISt17integral_constantIbLb0EES17_IbLb1EEEEDaS13_S14_EUlS13_E_NS1_11comp_targetILNS1_3genE8ELNS1_11target_archE1030ELNS1_3gpuE2ELNS1_3repE0EEENS1_30default_config_static_selectorELNS0_4arch9wavefront6targetE0EEEvT1_
    .private_segment_fixed_size: 0
    .sgpr_count:     0
    .sgpr_spill_count: 0
    .symbol:         _ZN7rocprim17ROCPRIM_400000_NS6detail17trampoline_kernelINS0_14default_configENS1_25partition_config_selectorILNS1_17partition_subalgoE6EtNS0_10empty_typeEbEEZZNS1_14partition_implILS5_6ELb0ES3_mN6thrust23THRUST_200600_302600_NS6detail15normal_iteratorINSA_10device_ptrItEEEEPS6_SG_NS0_5tupleIJSF_S6_EEENSH_IJSG_SG_EEES6_PlJNSB_9not_fun_tI7is_trueItEEEEEE10hipError_tPvRmT3_T4_T5_T6_T7_T9_mT8_P12ihipStream_tbDpT10_ENKUlT_T0_E_clISt17integral_constantIbLb0EES17_IbLb1EEEEDaS13_S14_EUlS13_E_NS1_11comp_targetILNS1_3genE8ELNS1_11target_archE1030ELNS1_3gpuE2ELNS1_3repE0EEENS1_30default_config_static_selectorELNS0_4arch9wavefront6targetE0EEEvT1_.kd
    .uniform_work_group_size: 1
    .uses_dynamic_stack: false
    .vgpr_count:     0
    .vgpr_spill_count: 0
    .wavefront_size: 32
    .workgroup_processor_mode: 1
  - .args:
      - .offset:         0
        .size:           112
        .value_kind:     by_value
    .group_segment_fixed_size: 0
    .kernarg_segment_align: 8
    .kernarg_segment_size: 112
    .language:       OpenCL C
    .language_version:
      - 2
      - 0
    .max_flat_workgroup_size: 128
    .name:           _ZN7rocprim17ROCPRIM_400000_NS6detail17trampoline_kernelINS0_14default_configENS1_25partition_config_selectorILNS1_17partition_subalgoE6ExNS0_10empty_typeEbEEZZNS1_14partition_implILS5_6ELb0ES3_mN6thrust23THRUST_200600_302600_NS6detail15normal_iteratorINSA_10device_ptrIxEEEEPS6_SG_NS0_5tupleIJSF_S6_EEENSH_IJSG_SG_EEES6_PlJNSB_9not_fun_tI7is_trueIxEEEEEE10hipError_tPvRmT3_T4_T5_T6_T7_T9_mT8_P12ihipStream_tbDpT10_ENKUlT_T0_E_clISt17integral_constantIbLb0EES18_EEDaS13_S14_EUlS13_E_NS1_11comp_targetILNS1_3genE0ELNS1_11target_archE4294967295ELNS1_3gpuE0ELNS1_3repE0EEENS1_30default_config_static_selectorELNS0_4arch9wavefront6targetE0EEEvT1_
    .private_segment_fixed_size: 0
    .sgpr_count:     0
    .sgpr_spill_count: 0
    .symbol:         _ZN7rocprim17ROCPRIM_400000_NS6detail17trampoline_kernelINS0_14default_configENS1_25partition_config_selectorILNS1_17partition_subalgoE6ExNS0_10empty_typeEbEEZZNS1_14partition_implILS5_6ELb0ES3_mN6thrust23THRUST_200600_302600_NS6detail15normal_iteratorINSA_10device_ptrIxEEEEPS6_SG_NS0_5tupleIJSF_S6_EEENSH_IJSG_SG_EEES6_PlJNSB_9not_fun_tI7is_trueIxEEEEEE10hipError_tPvRmT3_T4_T5_T6_T7_T9_mT8_P12ihipStream_tbDpT10_ENKUlT_T0_E_clISt17integral_constantIbLb0EES18_EEDaS13_S14_EUlS13_E_NS1_11comp_targetILNS1_3genE0ELNS1_11target_archE4294967295ELNS1_3gpuE0ELNS1_3repE0EEENS1_30default_config_static_selectorELNS0_4arch9wavefront6targetE0EEEvT1_.kd
    .uniform_work_group_size: 1
    .uses_dynamic_stack: false
    .vgpr_count:     0
    .vgpr_spill_count: 0
    .wavefront_size: 32
    .workgroup_processor_mode: 1
  - .args:
      - .offset:         0
        .size:           112
        .value_kind:     by_value
    .group_segment_fixed_size: 0
    .kernarg_segment_align: 8
    .kernarg_segment_size: 112
    .language:       OpenCL C
    .language_version:
      - 2
      - 0
    .max_flat_workgroup_size: 512
    .name:           _ZN7rocprim17ROCPRIM_400000_NS6detail17trampoline_kernelINS0_14default_configENS1_25partition_config_selectorILNS1_17partition_subalgoE6ExNS0_10empty_typeEbEEZZNS1_14partition_implILS5_6ELb0ES3_mN6thrust23THRUST_200600_302600_NS6detail15normal_iteratorINSA_10device_ptrIxEEEEPS6_SG_NS0_5tupleIJSF_S6_EEENSH_IJSG_SG_EEES6_PlJNSB_9not_fun_tI7is_trueIxEEEEEE10hipError_tPvRmT3_T4_T5_T6_T7_T9_mT8_P12ihipStream_tbDpT10_ENKUlT_T0_E_clISt17integral_constantIbLb0EES18_EEDaS13_S14_EUlS13_E_NS1_11comp_targetILNS1_3genE5ELNS1_11target_archE942ELNS1_3gpuE9ELNS1_3repE0EEENS1_30default_config_static_selectorELNS0_4arch9wavefront6targetE0EEEvT1_
    .private_segment_fixed_size: 0
    .sgpr_count:     0
    .sgpr_spill_count: 0
    .symbol:         _ZN7rocprim17ROCPRIM_400000_NS6detail17trampoline_kernelINS0_14default_configENS1_25partition_config_selectorILNS1_17partition_subalgoE6ExNS0_10empty_typeEbEEZZNS1_14partition_implILS5_6ELb0ES3_mN6thrust23THRUST_200600_302600_NS6detail15normal_iteratorINSA_10device_ptrIxEEEEPS6_SG_NS0_5tupleIJSF_S6_EEENSH_IJSG_SG_EEES6_PlJNSB_9not_fun_tI7is_trueIxEEEEEE10hipError_tPvRmT3_T4_T5_T6_T7_T9_mT8_P12ihipStream_tbDpT10_ENKUlT_T0_E_clISt17integral_constantIbLb0EES18_EEDaS13_S14_EUlS13_E_NS1_11comp_targetILNS1_3genE5ELNS1_11target_archE942ELNS1_3gpuE9ELNS1_3repE0EEENS1_30default_config_static_selectorELNS0_4arch9wavefront6targetE0EEEvT1_.kd
    .uniform_work_group_size: 1
    .uses_dynamic_stack: false
    .vgpr_count:     0
    .vgpr_spill_count: 0
    .wavefront_size: 32
    .workgroup_processor_mode: 1
  - .args:
      - .offset:         0
        .size:           112
        .value_kind:     by_value
    .group_segment_fixed_size: 0
    .kernarg_segment_align: 8
    .kernarg_segment_size: 112
    .language:       OpenCL C
    .language_version:
      - 2
      - 0
    .max_flat_workgroup_size: 512
    .name:           _ZN7rocprim17ROCPRIM_400000_NS6detail17trampoline_kernelINS0_14default_configENS1_25partition_config_selectorILNS1_17partition_subalgoE6ExNS0_10empty_typeEbEEZZNS1_14partition_implILS5_6ELb0ES3_mN6thrust23THRUST_200600_302600_NS6detail15normal_iteratorINSA_10device_ptrIxEEEEPS6_SG_NS0_5tupleIJSF_S6_EEENSH_IJSG_SG_EEES6_PlJNSB_9not_fun_tI7is_trueIxEEEEEE10hipError_tPvRmT3_T4_T5_T6_T7_T9_mT8_P12ihipStream_tbDpT10_ENKUlT_T0_E_clISt17integral_constantIbLb0EES18_EEDaS13_S14_EUlS13_E_NS1_11comp_targetILNS1_3genE4ELNS1_11target_archE910ELNS1_3gpuE8ELNS1_3repE0EEENS1_30default_config_static_selectorELNS0_4arch9wavefront6targetE0EEEvT1_
    .private_segment_fixed_size: 0
    .sgpr_count:     0
    .sgpr_spill_count: 0
    .symbol:         _ZN7rocprim17ROCPRIM_400000_NS6detail17trampoline_kernelINS0_14default_configENS1_25partition_config_selectorILNS1_17partition_subalgoE6ExNS0_10empty_typeEbEEZZNS1_14partition_implILS5_6ELb0ES3_mN6thrust23THRUST_200600_302600_NS6detail15normal_iteratorINSA_10device_ptrIxEEEEPS6_SG_NS0_5tupleIJSF_S6_EEENSH_IJSG_SG_EEES6_PlJNSB_9not_fun_tI7is_trueIxEEEEEE10hipError_tPvRmT3_T4_T5_T6_T7_T9_mT8_P12ihipStream_tbDpT10_ENKUlT_T0_E_clISt17integral_constantIbLb0EES18_EEDaS13_S14_EUlS13_E_NS1_11comp_targetILNS1_3genE4ELNS1_11target_archE910ELNS1_3gpuE8ELNS1_3repE0EEENS1_30default_config_static_selectorELNS0_4arch9wavefront6targetE0EEEvT1_.kd
    .uniform_work_group_size: 1
    .uses_dynamic_stack: false
    .vgpr_count:     0
    .vgpr_spill_count: 0
    .wavefront_size: 32
    .workgroup_processor_mode: 1
  - .args:
      - .offset:         0
        .size:           112
        .value_kind:     by_value
    .group_segment_fixed_size: 0
    .kernarg_segment_align: 8
    .kernarg_segment_size: 112
    .language:       OpenCL C
    .language_version:
      - 2
      - 0
    .max_flat_workgroup_size: 128
    .name:           _ZN7rocprim17ROCPRIM_400000_NS6detail17trampoline_kernelINS0_14default_configENS1_25partition_config_selectorILNS1_17partition_subalgoE6ExNS0_10empty_typeEbEEZZNS1_14partition_implILS5_6ELb0ES3_mN6thrust23THRUST_200600_302600_NS6detail15normal_iteratorINSA_10device_ptrIxEEEEPS6_SG_NS0_5tupleIJSF_S6_EEENSH_IJSG_SG_EEES6_PlJNSB_9not_fun_tI7is_trueIxEEEEEE10hipError_tPvRmT3_T4_T5_T6_T7_T9_mT8_P12ihipStream_tbDpT10_ENKUlT_T0_E_clISt17integral_constantIbLb0EES18_EEDaS13_S14_EUlS13_E_NS1_11comp_targetILNS1_3genE3ELNS1_11target_archE908ELNS1_3gpuE7ELNS1_3repE0EEENS1_30default_config_static_selectorELNS0_4arch9wavefront6targetE0EEEvT1_
    .private_segment_fixed_size: 0
    .sgpr_count:     0
    .sgpr_spill_count: 0
    .symbol:         _ZN7rocprim17ROCPRIM_400000_NS6detail17trampoline_kernelINS0_14default_configENS1_25partition_config_selectorILNS1_17partition_subalgoE6ExNS0_10empty_typeEbEEZZNS1_14partition_implILS5_6ELb0ES3_mN6thrust23THRUST_200600_302600_NS6detail15normal_iteratorINSA_10device_ptrIxEEEEPS6_SG_NS0_5tupleIJSF_S6_EEENSH_IJSG_SG_EEES6_PlJNSB_9not_fun_tI7is_trueIxEEEEEE10hipError_tPvRmT3_T4_T5_T6_T7_T9_mT8_P12ihipStream_tbDpT10_ENKUlT_T0_E_clISt17integral_constantIbLb0EES18_EEDaS13_S14_EUlS13_E_NS1_11comp_targetILNS1_3genE3ELNS1_11target_archE908ELNS1_3gpuE7ELNS1_3repE0EEENS1_30default_config_static_selectorELNS0_4arch9wavefront6targetE0EEEvT1_.kd
    .uniform_work_group_size: 1
    .uses_dynamic_stack: false
    .vgpr_count:     0
    .vgpr_spill_count: 0
    .wavefront_size: 32
    .workgroup_processor_mode: 1
  - .args:
      - .offset:         0
        .size:           112
        .value_kind:     by_value
    .group_segment_fixed_size: 0
    .kernarg_segment_align: 8
    .kernarg_segment_size: 112
    .language:       OpenCL C
    .language_version:
      - 2
      - 0
    .max_flat_workgroup_size: 256
    .name:           _ZN7rocprim17ROCPRIM_400000_NS6detail17trampoline_kernelINS0_14default_configENS1_25partition_config_selectorILNS1_17partition_subalgoE6ExNS0_10empty_typeEbEEZZNS1_14partition_implILS5_6ELb0ES3_mN6thrust23THRUST_200600_302600_NS6detail15normal_iteratorINSA_10device_ptrIxEEEEPS6_SG_NS0_5tupleIJSF_S6_EEENSH_IJSG_SG_EEES6_PlJNSB_9not_fun_tI7is_trueIxEEEEEE10hipError_tPvRmT3_T4_T5_T6_T7_T9_mT8_P12ihipStream_tbDpT10_ENKUlT_T0_E_clISt17integral_constantIbLb0EES18_EEDaS13_S14_EUlS13_E_NS1_11comp_targetILNS1_3genE2ELNS1_11target_archE906ELNS1_3gpuE6ELNS1_3repE0EEENS1_30default_config_static_selectorELNS0_4arch9wavefront6targetE0EEEvT1_
    .private_segment_fixed_size: 0
    .sgpr_count:     0
    .sgpr_spill_count: 0
    .symbol:         _ZN7rocprim17ROCPRIM_400000_NS6detail17trampoline_kernelINS0_14default_configENS1_25partition_config_selectorILNS1_17partition_subalgoE6ExNS0_10empty_typeEbEEZZNS1_14partition_implILS5_6ELb0ES3_mN6thrust23THRUST_200600_302600_NS6detail15normal_iteratorINSA_10device_ptrIxEEEEPS6_SG_NS0_5tupleIJSF_S6_EEENSH_IJSG_SG_EEES6_PlJNSB_9not_fun_tI7is_trueIxEEEEEE10hipError_tPvRmT3_T4_T5_T6_T7_T9_mT8_P12ihipStream_tbDpT10_ENKUlT_T0_E_clISt17integral_constantIbLb0EES18_EEDaS13_S14_EUlS13_E_NS1_11comp_targetILNS1_3genE2ELNS1_11target_archE906ELNS1_3gpuE6ELNS1_3repE0EEENS1_30default_config_static_selectorELNS0_4arch9wavefront6targetE0EEEvT1_.kd
    .uniform_work_group_size: 1
    .uses_dynamic_stack: false
    .vgpr_count:     0
    .vgpr_spill_count: 0
    .wavefront_size: 32
    .workgroup_processor_mode: 1
  - .args:
      - .offset:         0
        .size:           112
        .value_kind:     by_value
    .group_segment_fixed_size: 8464
    .kernarg_segment_align: 8
    .kernarg_segment_size: 112
    .language:       OpenCL C
    .language_version:
      - 2
      - 0
    .max_flat_workgroup_size: 256
    .name:           _ZN7rocprim17ROCPRIM_400000_NS6detail17trampoline_kernelINS0_14default_configENS1_25partition_config_selectorILNS1_17partition_subalgoE6ExNS0_10empty_typeEbEEZZNS1_14partition_implILS5_6ELb0ES3_mN6thrust23THRUST_200600_302600_NS6detail15normal_iteratorINSA_10device_ptrIxEEEEPS6_SG_NS0_5tupleIJSF_S6_EEENSH_IJSG_SG_EEES6_PlJNSB_9not_fun_tI7is_trueIxEEEEEE10hipError_tPvRmT3_T4_T5_T6_T7_T9_mT8_P12ihipStream_tbDpT10_ENKUlT_T0_E_clISt17integral_constantIbLb0EES18_EEDaS13_S14_EUlS13_E_NS1_11comp_targetILNS1_3genE10ELNS1_11target_archE1200ELNS1_3gpuE4ELNS1_3repE0EEENS1_30default_config_static_selectorELNS0_4arch9wavefront6targetE0EEEvT1_
    .private_segment_fixed_size: 0
    .sgpr_count:     24
    .sgpr_spill_count: 0
    .symbol:         _ZN7rocprim17ROCPRIM_400000_NS6detail17trampoline_kernelINS0_14default_configENS1_25partition_config_selectorILNS1_17partition_subalgoE6ExNS0_10empty_typeEbEEZZNS1_14partition_implILS5_6ELb0ES3_mN6thrust23THRUST_200600_302600_NS6detail15normal_iteratorINSA_10device_ptrIxEEEEPS6_SG_NS0_5tupleIJSF_S6_EEENSH_IJSG_SG_EEES6_PlJNSB_9not_fun_tI7is_trueIxEEEEEE10hipError_tPvRmT3_T4_T5_T6_T7_T9_mT8_P12ihipStream_tbDpT10_ENKUlT_T0_E_clISt17integral_constantIbLb0EES18_EEDaS13_S14_EUlS13_E_NS1_11comp_targetILNS1_3genE10ELNS1_11target_archE1200ELNS1_3gpuE4ELNS1_3repE0EEENS1_30default_config_static_selectorELNS0_4arch9wavefront6targetE0EEEvT1_.kd
    .uniform_work_group_size: 1
    .uses_dynamic_stack: false
    .vgpr_count:     46
    .vgpr_spill_count: 0
    .wavefront_size: 32
    .workgroup_processor_mode: 1
  - .args:
      - .offset:         0
        .size:           112
        .value_kind:     by_value
    .group_segment_fixed_size: 0
    .kernarg_segment_align: 8
    .kernarg_segment_size: 112
    .language:       OpenCL C
    .language_version:
      - 2
      - 0
    .max_flat_workgroup_size: 384
    .name:           _ZN7rocprim17ROCPRIM_400000_NS6detail17trampoline_kernelINS0_14default_configENS1_25partition_config_selectorILNS1_17partition_subalgoE6ExNS0_10empty_typeEbEEZZNS1_14partition_implILS5_6ELb0ES3_mN6thrust23THRUST_200600_302600_NS6detail15normal_iteratorINSA_10device_ptrIxEEEEPS6_SG_NS0_5tupleIJSF_S6_EEENSH_IJSG_SG_EEES6_PlJNSB_9not_fun_tI7is_trueIxEEEEEE10hipError_tPvRmT3_T4_T5_T6_T7_T9_mT8_P12ihipStream_tbDpT10_ENKUlT_T0_E_clISt17integral_constantIbLb0EES18_EEDaS13_S14_EUlS13_E_NS1_11comp_targetILNS1_3genE9ELNS1_11target_archE1100ELNS1_3gpuE3ELNS1_3repE0EEENS1_30default_config_static_selectorELNS0_4arch9wavefront6targetE0EEEvT1_
    .private_segment_fixed_size: 0
    .sgpr_count:     0
    .sgpr_spill_count: 0
    .symbol:         _ZN7rocprim17ROCPRIM_400000_NS6detail17trampoline_kernelINS0_14default_configENS1_25partition_config_selectorILNS1_17partition_subalgoE6ExNS0_10empty_typeEbEEZZNS1_14partition_implILS5_6ELb0ES3_mN6thrust23THRUST_200600_302600_NS6detail15normal_iteratorINSA_10device_ptrIxEEEEPS6_SG_NS0_5tupleIJSF_S6_EEENSH_IJSG_SG_EEES6_PlJNSB_9not_fun_tI7is_trueIxEEEEEE10hipError_tPvRmT3_T4_T5_T6_T7_T9_mT8_P12ihipStream_tbDpT10_ENKUlT_T0_E_clISt17integral_constantIbLb0EES18_EEDaS13_S14_EUlS13_E_NS1_11comp_targetILNS1_3genE9ELNS1_11target_archE1100ELNS1_3gpuE3ELNS1_3repE0EEENS1_30default_config_static_selectorELNS0_4arch9wavefront6targetE0EEEvT1_.kd
    .uniform_work_group_size: 1
    .uses_dynamic_stack: false
    .vgpr_count:     0
    .vgpr_spill_count: 0
    .wavefront_size: 32
    .workgroup_processor_mode: 1
  - .args:
      - .offset:         0
        .size:           112
        .value_kind:     by_value
    .group_segment_fixed_size: 0
    .kernarg_segment_align: 8
    .kernarg_segment_size: 112
    .language:       OpenCL C
    .language_version:
      - 2
      - 0
    .max_flat_workgroup_size: 512
    .name:           _ZN7rocprim17ROCPRIM_400000_NS6detail17trampoline_kernelINS0_14default_configENS1_25partition_config_selectorILNS1_17partition_subalgoE6ExNS0_10empty_typeEbEEZZNS1_14partition_implILS5_6ELb0ES3_mN6thrust23THRUST_200600_302600_NS6detail15normal_iteratorINSA_10device_ptrIxEEEEPS6_SG_NS0_5tupleIJSF_S6_EEENSH_IJSG_SG_EEES6_PlJNSB_9not_fun_tI7is_trueIxEEEEEE10hipError_tPvRmT3_T4_T5_T6_T7_T9_mT8_P12ihipStream_tbDpT10_ENKUlT_T0_E_clISt17integral_constantIbLb0EES18_EEDaS13_S14_EUlS13_E_NS1_11comp_targetILNS1_3genE8ELNS1_11target_archE1030ELNS1_3gpuE2ELNS1_3repE0EEENS1_30default_config_static_selectorELNS0_4arch9wavefront6targetE0EEEvT1_
    .private_segment_fixed_size: 0
    .sgpr_count:     0
    .sgpr_spill_count: 0
    .symbol:         _ZN7rocprim17ROCPRIM_400000_NS6detail17trampoline_kernelINS0_14default_configENS1_25partition_config_selectorILNS1_17partition_subalgoE6ExNS0_10empty_typeEbEEZZNS1_14partition_implILS5_6ELb0ES3_mN6thrust23THRUST_200600_302600_NS6detail15normal_iteratorINSA_10device_ptrIxEEEEPS6_SG_NS0_5tupleIJSF_S6_EEENSH_IJSG_SG_EEES6_PlJNSB_9not_fun_tI7is_trueIxEEEEEE10hipError_tPvRmT3_T4_T5_T6_T7_T9_mT8_P12ihipStream_tbDpT10_ENKUlT_T0_E_clISt17integral_constantIbLb0EES18_EEDaS13_S14_EUlS13_E_NS1_11comp_targetILNS1_3genE8ELNS1_11target_archE1030ELNS1_3gpuE2ELNS1_3repE0EEENS1_30default_config_static_selectorELNS0_4arch9wavefront6targetE0EEEvT1_.kd
    .uniform_work_group_size: 1
    .uses_dynamic_stack: false
    .vgpr_count:     0
    .vgpr_spill_count: 0
    .wavefront_size: 32
    .workgroup_processor_mode: 1
  - .args:
      - .offset:         0
        .size:           128
        .value_kind:     by_value
    .group_segment_fixed_size: 0
    .kernarg_segment_align: 8
    .kernarg_segment_size: 128
    .language:       OpenCL C
    .language_version:
      - 2
      - 0
    .max_flat_workgroup_size: 128
    .name:           _ZN7rocprim17ROCPRIM_400000_NS6detail17trampoline_kernelINS0_14default_configENS1_25partition_config_selectorILNS1_17partition_subalgoE6ExNS0_10empty_typeEbEEZZNS1_14partition_implILS5_6ELb0ES3_mN6thrust23THRUST_200600_302600_NS6detail15normal_iteratorINSA_10device_ptrIxEEEEPS6_SG_NS0_5tupleIJSF_S6_EEENSH_IJSG_SG_EEES6_PlJNSB_9not_fun_tI7is_trueIxEEEEEE10hipError_tPvRmT3_T4_T5_T6_T7_T9_mT8_P12ihipStream_tbDpT10_ENKUlT_T0_E_clISt17integral_constantIbLb1EES18_EEDaS13_S14_EUlS13_E_NS1_11comp_targetILNS1_3genE0ELNS1_11target_archE4294967295ELNS1_3gpuE0ELNS1_3repE0EEENS1_30default_config_static_selectorELNS0_4arch9wavefront6targetE0EEEvT1_
    .private_segment_fixed_size: 0
    .sgpr_count:     0
    .sgpr_spill_count: 0
    .symbol:         _ZN7rocprim17ROCPRIM_400000_NS6detail17trampoline_kernelINS0_14default_configENS1_25partition_config_selectorILNS1_17partition_subalgoE6ExNS0_10empty_typeEbEEZZNS1_14partition_implILS5_6ELb0ES3_mN6thrust23THRUST_200600_302600_NS6detail15normal_iteratorINSA_10device_ptrIxEEEEPS6_SG_NS0_5tupleIJSF_S6_EEENSH_IJSG_SG_EEES6_PlJNSB_9not_fun_tI7is_trueIxEEEEEE10hipError_tPvRmT3_T4_T5_T6_T7_T9_mT8_P12ihipStream_tbDpT10_ENKUlT_T0_E_clISt17integral_constantIbLb1EES18_EEDaS13_S14_EUlS13_E_NS1_11comp_targetILNS1_3genE0ELNS1_11target_archE4294967295ELNS1_3gpuE0ELNS1_3repE0EEENS1_30default_config_static_selectorELNS0_4arch9wavefront6targetE0EEEvT1_.kd
    .uniform_work_group_size: 1
    .uses_dynamic_stack: false
    .vgpr_count:     0
    .vgpr_spill_count: 0
    .wavefront_size: 32
    .workgroup_processor_mode: 1
  - .args:
      - .offset:         0
        .size:           128
        .value_kind:     by_value
    .group_segment_fixed_size: 0
    .kernarg_segment_align: 8
    .kernarg_segment_size: 128
    .language:       OpenCL C
    .language_version:
      - 2
      - 0
    .max_flat_workgroup_size: 512
    .name:           _ZN7rocprim17ROCPRIM_400000_NS6detail17trampoline_kernelINS0_14default_configENS1_25partition_config_selectorILNS1_17partition_subalgoE6ExNS0_10empty_typeEbEEZZNS1_14partition_implILS5_6ELb0ES3_mN6thrust23THRUST_200600_302600_NS6detail15normal_iteratorINSA_10device_ptrIxEEEEPS6_SG_NS0_5tupleIJSF_S6_EEENSH_IJSG_SG_EEES6_PlJNSB_9not_fun_tI7is_trueIxEEEEEE10hipError_tPvRmT3_T4_T5_T6_T7_T9_mT8_P12ihipStream_tbDpT10_ENKUlT_T0_E_clISt17integral_constantIbLb1EES18_EEDaS13_S14_EUlS13_E_NS1_11comp_targetILNS1_3genE5ELNS1_11target_archE942ELNS1_3gpuE9ELNS1_3repE0EEENS1_30default_config_static_selectorELNS0_4arch9wavefront6targetE0EEEvT1_
    .private_segment_fixed_size: 0
    .sgpr_count:     0
    .sgpr_spill_count: 0
    .symbol:         _ZN7rocprim17ROCPRIM_400000_NS6detail17trampoline_kernelINS0_14default_configENS1_25partition_config_selectorILNS1_17partition_subalgoE6ExNS0_10empty_typeEbEEZZNS1_14partition_implILS5_6ELb0ES3_mN6thrust23THRUST_200600_302600_NS6detail15normal_iteratorINSA_10device_ptrIxEEEEPS6_SG_NS0_5tupleIJSF_S6_EEENSH_IJSG_SG_EEES6_PlJNSB_9not_fun_tI7is_trueIxEEEEEE10hipError_tPvRmT3_T4_T5_T6_T7_T9_mT8_P12ihipStream_tbDpT10_ENKUlT_T0_E_clISt17integral_constantIbLb1EES18_EEDaS13_S14_EUlS13_E_NS1_11comp_targetILNS1_3genE5ELNS1_11target_archE942ELNS1_3gpuE9ELNS1_3repE0EEENS1_30default_config_static_selectorELNS0_4arch9wavefront6targetE0EEEvT1_.kd
    .uniform_work_group_size: 1
    .uses_dynamic_stack: false
    .vgpr_count:     0
    .vgpr_spill_count: 0
    .wavefront_size: 32
    .workgroup_processor_mode: 1
  - .args:
      - .offset:         0
        .size:           128
        .value_kind:     by_value
    .group_segment_fixed_size: 0
    .kernarg_segment_align: 8
    .kernarg_segment_size: 128
    .language:       OpenCL C
    .language_version:
      - 2
      - 0
    .max_flat_workgroup_size: 512
    .name:           _ZN7rocprim17ROCPRIM_400000_NS6detail17trampoline_kernelINS0_14default_configENS1_25partition_config_selectorILNS1_17partition_subalgoE6ExNS0_10empty_typeEbEEZZNS1_14partition_implILS5_6ELb0ES3_mN6thrust23THRUST_200600_302600_NS6detail15normal_iteratorINSA_10device_ptrIxEEEEPS6_SG_NS0_5tupleIJSF_S6_EEENSH_IJSG_SG_EEES6_PlJNSB_9not_fun_tI7is_trueIxEEEEEE10hipError_tPvRmT3_T4_T5_T6_T7_T9_mT8_P12ihipStream_tbDpT10_ENKUlT_T0_E_clISt17integral_constantIbLb1EES18_EEDaS13_S14_EUlS13_E_NS1_11comp_targetILNS1_3genE4ELNS1_11target_archE910ELNS1_3gpuE8ELNS1_3repE0EEENS1_30default_config_static_selectorELNS0_4arch9wavefront6targetE0EEEvT1_
    .private_segment_fixed_size: 0
    .sgpr_count:     0
    .sgpr_spill_count: 0
    .symbol:         _ZN7rocprim17ROCPRIM_400000_NS6detail17trampoline_kernelINS0_14default_configENS1_25partition_config_selectorILNS1_17partition_subalgoE6ExNS0_10empty_typeEbEEZZNS1_14partition_implILS5_6ELb0ES3_mN6thrust23THRUST_200600_302600_NS6detail15normal_iteratorINSA_10device_ptrIxEEEEPS6_SG_NS0_5tupleIJSF_S6_EEENSH_IJSG_SG_EEES6_PlJNSB_9not_fun_tI7is_trueIxEEEEEE10hipError_tPvRmT3_T4_T5_T6_T7_T9_mT8_P12ihipStream_tbDpT10_ENKUlT_T0_E_clISt17integral_constantIbLb1EES18_EEDaS13_S14_EUlS13_E_NS1_11comp_targetILNS1_3genE4ELNS1_11target_archE910ELNS1_3gpuE8ELNS1_3repE0EEENS1_30default_config_static_selectorELNS0_4arch9wavefront6targetE0EEEvT1_.kd
    .uniform_work_group_size: 1
    .uses_dynamic_stack: false
    .vgpr_count:     0
    .vgpr_spill_count: 0
    .wavefront_size: 32
    .workgroup_processor_mode: 1
  - .args:
      - .offset:         0
        .size:           128
        .value_kind:     by_value
    .group_segment_fixed_size: 0
    .kernarg_segment_align: 8
    .kernarg_segment_size: 128
    .language:       OpenCL C
    .language_version:
      - 2
      - 0
    .max_flat_workgroup_size: 128
    .name:           _ZN7rocprim17ROCPRIM_400000_NS6detail17trampoline_kernelINS0_14default_configENS1_25partition_config_selectorILNS1_17partition_subalgoE6ExNS0_10empty_typeEbEEZZNS1_14partition_implILS5_6ELb0ES3_mN6thrust23THRUST_200600_302600_NS6detail15normal_iteratorINSA_10device_ptrIxEEEEPS6_SG_NS0_5tupleIJSF_S6_EEENSH_IJSG_SG_EEES6_PlJNSB_9not_fun_tI7is_trueIxEEEEEE10hipError_tPvRmT3_T4_T5_T6_T7_T9_mT8_P12ihipStream_tbDpT10_ENKUlT_T0_E_clISt17integral_constantIbLb1EES18_EEDaS13_S14_EUlS13_E_NS1_11comp_targetILNS1_3genE3ELNS1_11target_archE908ELNS1_3gpuE7ELNS1_3repE0EEENS1_30default_config_static_selectorELNS0_4arch9wavefront6targetE0EEEvT1_
    .private_segment_fixed_size: 0
    .sgpr_count:     0
    .sgpr_spill_count: 0
    .symbol:         _ZN7rocprim17ROCPRIM_400000_NS6detail17trampoline_kernelINS0_14default_configENS1_25partition_config_selectorILNS1_17partition_subalgoE6ExNS0_10empty_typeEbEEZZNS1_14partition_implILS5_6ELb0ES3_mN6thrust23THRUST_200600_302600_NS6detail15normal_iteratorINSA_10device_ptrIxEEEEPS6_SG_NS0_5tupleIJSF_S6_EEENSH_IJSG_SG_EEES6_PlJNSB_9not_fun_tI7is_trueIxEEEEEE10hipError_tPvRmT3_T4_T5_T6_T7_T9_mT8_P12ihipStream_tbDpT10_ENKUlT_T0_E_clISt17integral_constantIbLb1EES18_EEDaS13_S14_EUlS13_E_NS1_11comp_targetILNS1_3genE3ELNS1_11target_archE908ELNS1_3gpuE7ELNS1_3repE0EEENS1_30default_config_static_selectorELNS0_4arch9wavefront6targetE0EEEvT1_.kd
    .uniform_work_group_size: 1
    .uses_dynamic_stack: false
    .vgpr_count:     0
    .vgpr_spill_count: 0
    .wavefront_size: 32
    .workgroup_processor_mode: 1
  - .args:
      - .offset:         0
        .size:           128
        .value_kind:     by_value
    .group_segment_fixed_size: 0
    .kernarg_segment_align: 8
    .kernarg_segment_size: 128
    .language:       OpenCL C
    .language_version:
      - 2
      - 0
    .max_flat_workgroup_size: 256
    .name:           _ZN7rocprim17ROCPRIM_400000_NS6detail17trampoline_kernelINS0_14default_configENS1_25partition_config_selectorILNS1_17partition_subalgoE6ExNS0_10empty_typeEbEEZZNS1_14partition_implILS5_6ELb0ES3_mN6thrust23THRUST_200600_302600_NS6detail15normal_iteratorINSA_10device_ptrIxEEEEPS6_SG_NS0_5tupleIJSF_S6_EEENSH_IJSG_SG_EEES6_PlJNSB_9not_fun_tI7is_trueIxEEEEEE10hipError_tPvRmT3_T4_T5_T6_T7_T9_mT8_P12ihipStream_tbDpT10_ENKUlT_T0_E_clISt17integral_constantIbLb1EES18_EEDaS13_S14_EUlS13_E_NS1_11comp_targetILNS1_3genE2ELNS1_11target_archE906ELNS1_3gpuE6ELNS1_3repE0EEENS1_30default_config_static_selectorELNS0_4arch9wavefront6targetE0EEEvT1_
    .private_segment_fixed_size: 0
    .sgpr_count:     0
    .sgpr_spill_count: 0
    .symbol:         _ZN7rocprim17ROCPRIM_400000_NS6detail17trampoline_kernelINS0_14default_configENS1_25partition_config_selectorILNS1_17partition_subalgoE6ExNS0_10empty_typeEbEEZZNS1_14partition_implILS5_6ELb0ES3_mN6thrust23THRUST_200600_302600_NS6detail15normal_iteratorINSA_10device_ptrIxEEEEPS6_SG_NS0_5tupleIJSF_S6_EEENSH_IJSG_SG_EEES6_PlJNSB_9not_fun_tI7is_trueIxEEEEEE10hipError_tPvRmT3_T4_T5_T6_T7_T9_mT8_P12ihipStream_tbDpT10_ENKUlT_T0_E_clISt17integral_constantIbLb1EES18_EEDaS13_S14_EUlS13_E_NS1_11comp_targetILNS1_3genE2ELNS1_11target_archE906ELNS1_3gpuE6ELNS1_3repE0EEENS1_30default_config_static_selectorELNS0_4arch9wavefront6targetE0EEEvT1_.kd
    .uniform_work_group_size: 1
    .uses_dynamic_stack: false
    .vgpr_count:     0
    .vgpr_spill_count: 0
    .wavefront_size: 32
    .workgroup_processor_mode: 1
  - .args:
      - .offset:         0
        .size:           128
        .value_kind:     by_value
    .group_segment_fixed_size: 0
    .kernarg_segment_align: 8
    .kernarg_segment_size: 128
    .language:       OpenCL C
    .language_version:
      - 2
      - 0
    .max_flat_workgroup_size: 256
    .name:           _ZN7rocprim17ROCPRIM_400000_NS6detail17trampoline_kernelINS0_14default_configENS1_25partition_config_selectorILNS1_17partition_subalgoE6ExNS0_10empty_typeEbEEZZNS1_14partition_implILS5_6ELb0ES3_mN6thrust23THRUST_200600_302600_NS6detail15normal_iteratorINSA_10device_ptrIxEEEEPS6_SG_NS0_5tupleIJSF_S6_EEENSH_IJSG_SG_EEES6_PlJNSB_9not_fun_tI7is_trueIxEEEEEE10hipError_tPvRmT3_T4_T5_T6_T7_T9_mT8_P12ihipStream_tbDpT10_ENKUlT_T0_E_clISt17integral_constantIbLb1EES18_EEDaS13_S14_EUlS13_E_NS1_11comp_targetILNS1_3genE10ELNS1_11target_archE1200ELNS1_3gpuE4ELNS1_3repE0EEENS1_30default_config_static_selectorELNS0_4arch9wavefront6targetE0EEEvT1_
    .private_segment_fixed_size: 0
    .sgpr_count:     0
    .sgpr_spill_count: 0
    .symbol:         _ZN7rocprim17ROCPRIM_400000_NS6detail17trampoline_kernelINS0_14default_configENS1_25partition_config_selectorILNS1_17partition_subalgoE6ExNS0_10empty_typeEbEEZZNS1_14partition_implILS5_6ELb0ES3_mN6thrust23THRUST_200600_302600_NS6detail15normal_iteratorINSA_10device_ptrIxEEEEPS6_SG_NS0_5tupleIJSF_S6_EEENSH_IJSG_SG_EEES6_PlJNSB_9not_fun_tI7is_trueIxEEEEEE10hipError_tPvRmT3_T4_T5_T6_T7_T9_mT8_P12ihipStream_tbDpT10_ENKUlT_T0_E_clISt17integral_constantIbLb1EES18_EEDaS13_S14_EUlS13_E_NS1_11comp_targetILNS1_3genE10ELNS1_11target_archE1200ELNS1_3gpuE4ELNS1_3repE0EEENS1_30default_config_static_selectorELNS0_4arch9wavefront6targetE0EEEvT1_.kd
    .uniform_work_group_size: 1
    .uses_dynamic_stack: false
    .vgpr_count:     0
    .vgpr_spill_count: 0
    .wavefront_size: 32
    .workgroup_processor_mode: 1
  - .args:
      - .offset:         0
        .size:           128
        .value_kind:     by_value
    .group_segment_fixed_size: 0
    .kernarg_segment_align: 8
    .kernarg_segment_size: 128
    .language:       OpenCL C
    .language_version:
      - 2
      - 0
    .max_flat_workgroup_size: 384
    .name:           _ZN7rocprim17ROCPRIM_400000_NS6detail17trampoline_kernelINS0_14default_configENS1_25partition_config_selectorILNS1_17partition_subalgoE6ExNS0_10empty_typeEbEEZZNS1_14partition_implILS5_6ELb0ES3_mN6thrust23THRUST_200600_302600_NS6detail15normal_iteratorINSA_10device_ptrIxEEEEPS6_SG_NS0_5tupleIJSF_S6_EEENSH_IJSG_SG_EEES6_PlJNSB_9not_fun_tI7is_trueIxEEEEEE10hipError_tPvRmT3_T4_T5_T6_T7_T9_mT8_P12ihipStream_tbDpT10_ENKUlT_T0_E_clISt17integral_constantIbLb1EES18_EEDaS13_S14_EUlS13_E_NS1_11comp_targetILNS1_3genE9ELNS1_11target_archE1100ELNS1_3gpuE3ELNS1_3repE0EEENS1_30default_config_static_selectorELNS0_4arch9wavefront6targetE0EEEvT1_
    .private_segment_fixed_size: 0
    .sgpr_count:     0
    .sgpr_spill_count: 0
    .symbol:         _ZN7rocprim17ROCPRIM_400000_NS6detail17trampoline_kernelINS0_14default_configENS1_25partition_config_selectorILNS1_17partition_subalgoE6ExNS0_10empty_typeEbEEZZNS1_14partition_implILS5_6ELb0ES3_mN6thrust23THRUST_200600_302600_NS6detail15normal_iteratorINSA_10device_ptrIxEEEEPS6_SG_NS0_5tupleIJSF_S6_EEENSH_IJSG_SG_EEES6_PlJNSB_9not_fun_tI7is_trueIxEEEEEE10hipError_tPvRmT3_T4_T5_T6_T7_T9_mT8_P12ihipStream_tbDpT10_ENKUlT_T0_E_clISt17integral_constantIbLb1EES18_EEDaS13_S14_EUlS13_E_NS1_11comp_targetILNS1_3genE9ELNS1_11target_archE1100ELNS1_3gpuE3ELNS1_3repE0EEENS1_30default_config_static_selectorELNS0_4arch9wavefront6targetE0EEEvT1_.kd
    .uniform_work_group_size: 1
    .uses_dynamic_stack: false
    .vgpr_count:     0
    .vgpr_spill_count: 0
    .wavefront_size: 32
    .workgroup_processor_mode: 1
  - .args:
      - .offset:         0
        .size:           128
        .value_kind:     by_value
    .group_segment_fixed_size: 0
    .kernarg_segment_align: 8
    .kernarg_segment_size: 128
    .language:       OpenCL C
    .language_version:
      - 2
      - 0
    .max_flat_workgroup_size: 512
    .name:           _ZN7rocprim17ROCPRIM_400000_NS6detail17trampoline_kernelINS0_14default_configENS1_25partition_config_selectorILNS1_17partition_subalgoE6ExNS0_10empty_typeEbEEZZNS1_14partition_implILS5_6ELb0ES3_mN6thrust23THRUST_200600_302600_NS6detail15normal_iteratorINSA_10device_ptrIxEEEEPS6_SG_NS0_5tupleIJSF_S6_EEENSH_IJSG_SG_EEES6_PlJNSB_9not_fun_tI7is_trueIxEEEEEE10hipError_tPvRmT3_T4_T5_T6_T7_T9_mT8_P12ihipStream_tbDpT10_ENKUlT_T0_E_clISt17integral_constantIbLb1EES18_EEDaS13_S14_EUlS13_E_NS1_11comp_targetILNS1_3genE8ELNS1_11target_archE1030ELNS1_3gpuE2ELNS1_3repE0EEENS1_30default_config_static_selectorELNS0_4arch9wavefront6targetE0EEEvT1_
    .private_segment_fixed_size: 0
    .sgpr_count:     0
    .sgpr_spill_count: 0
    .symbol:         _ZN7rocprim17ROCPRIM_400000_NS6detail17trampoline_kernelINS0_14default_configENS1_25partition_config_selectorILNS1_17partition_subalgoE6ExNS0_10empty_typeEbEEZZNS1_14partition_implILS5_6ELb0ES3_mN6thrust23THRUST_200600_302600_NS6detail15normal_iteratorINSA_10device_ptrIxEEEEPS6_SG_NS0_5tupleIJSF_S6_EEENSH_IJSG_SG_EEES6_PlJNSB_9not_fun_tI7is_trueIxEEEEEE10hipError_tPvRmT3_T4_T5_T6_T7_T9_mT8_P12ihipStream_tbDpT10_ENKUlT_T0_E_clISt17integral_constantIbLb1EES18_EEDaS13_S14_EUlS13_E_NS1_11comp_targetILNS1_3genE8ELNS1_11target_archE1030ELNS1_3gpuE2ELNS1_3repE0EEENS1_30default_config_static_selectorELNS0_4arch9wavefront6targetE0EEEvT1_.kd
    .uniform_work_group_size: 1
    .uses_dynamic_stack: false
    .vgpr_count:     0
    .vgpr_spill_count: 0
    .wavefront_size: 32
    .workgroup_processor_mode: 1
  - .args:
      - .offset:         0
        .size:           112
        .value_kind:     by_value
    .group_segment_fixed_size: 0
    .kernarg_segment_align: 8
    .kernarg_segment_size: 112
    .language:       OpenCL C
    .language_version:
      - 2
      - 0
    .max_flat_workgroup_size: 128
    .name:           _ZN7rocprim17ROCPRIM_400000_NS6detail17trampoline_kernelINS0_14default_configENS1_25partition_config_selectorILNS1_17partition_subalgoE6ExNS0_10empty_typeEbEEZZNS1_14partition_implILS5_6ELb0ES3_mN6thrust23THRUST_200600_302600_NS6detail15normal_iteratorINSA_10device_ptrIxEEEEPS6_SG_NS0_5tupleIJSF_S6_EEENSH_IJSG_SG_EEES6_PlJNSB_9not_fun_tI7is_trueIxEEEEEE10hipError_tPvRmT3_T4_T5_T6_T7_T9_mT8_P12ihipStream_tbDpT10_ENKUlT_T0_E_clISt17integral_constantIbLb1EES17_IbLb0EEEEDaS13_S14_EUlS13_E_NS1_11comp_targetILNS1_3genE0ELNS1_11target_archE4294967295ELNS1_3gpuE0ELNS1_3repE0EEENS1_30default_config_static_selectorELNS0_4arch9wavefront6targetE0EEEvT1_
    .private_segment_fixed_size: 0
    .sgpr_count:     0
    .sgpr_spill_count: 0
    .symbol:         _ZN7rocprim17ROCPRIM_400000_NS6detail17trampoline_kernelINS0_14default_configENS1_25partition_config_selectorILNS1_17partition_subalgoE6ExNS0_10empty_typeEbEEZZNS1_14partition_implILS5_6ELb0ES3_mN6thrust23THRUST_200600_302600_NS6detail15normal_iteratorINSA_10device_ptrIxEEEEPS6_SG_NS0_5tupleIJSF_S6_EEENSH_IJSG_SG_EEES6_PlJNSB_9not_fun_tI7is_trueIxEEEEEE10hipError_tPvRmT3_T4_T5_T6_T7_T9_mT8_P12ihipStream_tbDpT10_ENKUlT_T0_E_clISt17integral_constantIbLb1EES17_IbLb0EEEEDaS13_S14_EUlS13_E_NS1_11comp_targetILNS1_3genE0ELNS1_11target_archE4294967295ELNS1_3gpuE0ELNS1_3repE0EEENS1_30default_config_static_selectorELNS0_4arch9wavefront6targetE0EEEvT1_.kd
    .uniform_work_group_size: 1
    .uses_dynamic_stack: false
    .vgpr_count:     0
    .vgpr_spill_count: 0
    .wavefront_size: 32
    .workgroup_processor_mode: 1
  - .args:
      - .offset:         0
        .size:           112
        .value_kind:     by_value
    .group_segment_fixed_size: 0
    .kernarg_segment_align: 8
    .kernarg_segment_size: 112
    .language:       OpenCL C
    .language_version:
      - 2
      - 0
    .max_flat_workgroup_size: 512
    .name:           _ZN7rocprim17ROCPRIM_400000_NS6detail17trampoline_kernelINS0_14default_configENS1_25partition_config_selectorILNS1_17partition_subalgoE6ExNS0_10empty_typeEbEEZZNS1_14partition_implILS5_6ELb0ES3_mN6thrust23THRUST_200600_302600_NS6detail15normal_iteratorINSA_10device_ptrIxEEEEPS6_SG_NS0_5tupleIJSF_S6_EEENSH_IJSG_SG_EEES6_PlJNSB_9not_fun_tI7is_trueIxEEEEEE10hipError_tPvRmT3_T4_T5_T6_T7_T9_mT8_P12ihipStream_tbDpT10_ENKUlT_T0_E_clISt17integral_constantIbLb1EES17_IbLb0EEEEDaS13_S14_EUlS13_E_NS1_11comp_targetILNS1_3genE5ELNS1_11target_archE942ELNS1_3gpuE9ELNS1_3repE0EEENS1_30default_config_static_selectorELNS0_4arch9wavefront6targetE0EEEvT1_
    .private_segment_fixed_size: 0
    .sgpr_count:     0
    .sgpr_spill_count: 0
    .symbol:         _ZN7rocprim17ROCPRIM_400000_NS6detail17trampoline_kernelINS0_14default_configENS1_25partition_config_selectorILNS1_17partition_subalgoE6ExNS0_10empty_typeEbEEZZNS1_14partition_implILS5_6ELb0ES3_mN6thrust23THRUST_200600_302600_NS6detail15normal_iteratorINSA_10device_ptrIxEEEEPS6_SG_NS0_5tupleIJSF_S6_EEENSH_IJSG_SG_EEES6_PlJNSB_9not_fun_tI7is_trueIxEEEEEE10hipError_tPvRmT3_T4_T5_T6_T7_T9_mT8_P12ihipStream_tbDpT10_ENKUlT_T0_E_clISt17integral_constantIbLb1EES17_IbLb0EEEEDaS13_S14_EUlS13_E_NS1_11comp_targetILNS1_3genE5ELNS1_11target_archE942ELNS1_3gpuE9ELNS1_3repE0EEENS1_30default_config_static_selectorELNS0_4arch9wavefront6targetE0EEEvT1_.kd
    .uniform_work_group_size: 1
    .uses_dynamic_stack: false
    .vgpr_count:     0
    .vgpr_spill_count: 0
    .wavefront_size: 32
    .workgroup_processor_mode: 1
  - .args:
      - .offset:         0
        .size:           112
        .value_kind:     by_value
    .group_segment_fixed_size: 0
    .kernarg_segment_align: 8
    .kernarg_segment_size: 112
    .language:       OpenCL C
    .language_version:
      - 2
      - 0
    .max_flat_workgroup_size: 512
    .name:           _ZN7rocprim17ROCPRIM_400000_NS6detail17trampoline_kernelINS0_14default_configENS1_25partition_config_selectorILNS1_17partition_subalgoE6ExNS0_10empty_typeEbEEZZNS1_14partition_implILS5_6ELb0ES3_mN6thrust23THRUST_200600_302600_NS6detail15normal_iteratorINSA_10device_ptrIxEEEEPS6_SG_NS0_5tupleIJSF_S6_EEENSH_IJSG_SG_EEES6_PlJNSB_9not_fun_tI7is_trueIxEEEEEE10hipError_tPvRmT3_T4_T5_T6_T7_T9_mT8_P12ihipStream_tbDpT10_ENKUlT_T0_E_clISt17integral_constantIbLb1EES17_IbLb0EEEEDaS13_S14_EUlS13_E_NS1_11comp_targetILNS1_3genE4ELNS1_11target_archE910ELNS1_3gpuE8ELNS1_3repE0EEENS1_30default_config_static_selectorELNS0_4arch9wavefront6targetE0EEEvT1_
    .private_segment_fixed_size: 0
    .sgpr_count:     0
    .sgpr_spill_count: 0
    .symbol:         _ZN7rocprim17ROCPRIM_400000_NS6detail17trampoline_kernelINS0_14default_configENS1_25partition_config_selectorILNS1_17partition_subalgoE6ExNS0_10empty_typeEbEEZZNS1_14partition_implILS5_6ELb0ES3_mN6thrust23THRUST_200600_302600_NS6detail15normal_iteratorINSA_10device_ptrIxEEEEPS6_SG_NS0_5tupleIJSF_S6_EEENSH_IJSG_SG_EEES6_PlJNSB_9not_fun_tI7is_trueIxEEEEEE10hipError_tPvRmT3_T4_T5_T6_T7_T9_mT8_P12ihipStream_tbDpT10_ENKUlT_T0_E_clISt17integral_constantIbLb1EES17_IbLb0EEEEDaS13_S14_EUlS13_E_NS1_11comp_targetILNS1_3genE4ELNS1_11target_archE910ELNS1_3gpuE8ELNS1_3repE0EEENS1_30default_config_static_selectorELNS0_4arch9wavefront6targetE0EEEvT1_.kd
    .uniform_work_group_size: 1
    .uses_dynamic_stack: false
    .vgpr_count:     0
    .vgpr_spill_count: 0
    .wavefront_size: 32
    .workgroup_processor_mode: 1
  - .args:
      - .offset:         0
        .size:           112
        .value_kind:     by_value
    .group_segment_fixed_size: 0
    .kernarg_segment_align: 8
    .kernarg_segment_size: 112
    .language:       OpenCL C
    .language_version:
      - 2
      - 0
    .max_flat_workgroup_size: 128
    .name:           _ZN7rocprim17ROCPRIM_400000_NS6detail17trampoline_kernelINS0_14default_configENS1_25partition_config_selectorILNS1_17partition_subalgoE6ExNS0_10empty_typeEbEEZZNS1_14partition_implILS5_6ELb0ES3_mN6thrust23THRUST_200600_302600_NS6detail15normal_iteratorINSA_10device_ptrIxEEEEPS6_SG_NS0_5tupleIJSF_S6_EEENSH_IJSG_SG_EEES6_PlJNSB_9not_fun_tI7is_trueIxEEEEEE10hipError_tPvRmT3_T4_T5_T6_T7_T9_mT8_P12ihipStream_tbDpT10_ENKUlT_T0_E_clISt17integral_constantIbLb1EES17_IbLb0EEEEDaS13_S14_EUlS13_E_NS1_11comp_targetILNS1_3genE3ELNS1_11target_archE908ELNS1_3gpuE7ELNS1_3repE0EEENS1_30default_config_static_selectorELNS0_4arch9wavefront6targetE0EEEvT1_
    .private_segment_fixed_size: 0
    .sgpr_count:     0
    .sgpr_spill_count: 0
    .symbol:         _ZN7rocprim17ROCPRIM_400000_NS6detail17trampoline_kernelINS0_14default_configENS1_25partition_config_selectorILNS1_17partition_subalgoE6ExNS0_10empty_typeEbEEZZNS1_14partition_implILS5_6ELb0ES3_mN6thrust23THRUST_200600_302600_NS6detail15normal_iteratorINSA_10device_ptrIxEEEEPS6_SG_NS0_5tupleIJSF_S6_EEENSH_IJSG_SG_EEES6_PlJNSB_9not_fun_tI7is_trueIxEEEEEE10hipError_tPvRmT3_T4_T5_T6_T7_T9_mT8_P12ihipStream_tbDpT10_ENKUlT_T0_E_clISt17integral_constantIbLb1EES17_IbLb0EEEEDaS13_S14_EUlS13_E_NS1_11comp_targetILNS1_3genE3ELNS1_11target_archE908ELNS1_3gpuE7ELNS1_3repE0EEENS1_30default_config_static_selectorELNS0_4arch9wavefront6targetE0EEEvT1_.kd
    .uniform_work_group_size: 1
    .uses_dynamic_stack: false
    .vgpr_count:     0
    .vgpr_spill_count: 0
    .wavefront_size: 32
    .workgroup_processor_mode: 1
  - .args:
      - .offset:         0
        .size:           112
        .value_kind:     by_value
    .group_segment_fixed_size: 0
    .kernarg_segment_align: 8
    .kernarg_segment_size: 112
    .language:       OpenCL C
    .language_version:
      - 2
      - 0
    .max_flat_workgroup_size: 256
    .name:           _ZN7rocprim17ROCPRIM_400000_NS6detail17trampoline_kernelINS0_14default_configENS1_25partition_config_selectorILNS1_17partition_subalgoE6ExNS0_10empty_typeEbEEZZNS1_14partition_implILS5_6ELb0ES3_mN6thrust23THRUST_200600_302600_NS6detail15normal_iteratorINSA_10device_ptrIxEEEEPS6_SG_NS0_5tupleIJSF_S6_EEENSH_IJSG_SG_EEES6_PlJNSB_9not_fun_tI7is_trueIxEEEEEE10hipError_tPvRmT3_T4_T5_T6_T7_T9_mT8_P12ihipStream_tbDpT10_ENKUlT_T0_E_clISt17integral_constantIbLb1EES17_IbLb0EEEEDaS13_S14_EUlS13_E_NS1_11comp_targetILNS1_3genE2ELNS1_11target_archE906ELNS1_3gpuE6ELNS1_3repE0EEENS1_30default_config_static_selectorELNS0_4arch9wavefront6targetE0EEEvT1_
    .private_segment_fixed_size: 0
    .sgpr_count:     0
    .sgpr_spill_count: 0
    .symbol:         _ZN7rocprim17ROCPRIM_400000_NS6detail17trampoline_kernelINS0_14default_configENS1_25partition_config_selectorILNS1_17partition_subalgoE6ExNS0_10empty_typeEbEEZZNS1_14partition_implILS5_6ELb0ES3_mN6thrust23THRUST_200600_302600_NS6detail15normal_iteratorINSA_10device_ptrIxEEEEPS6_SG_NS0_5tupleIJSF_S6_EEENSH_IJSG_SG_EEES6_PlJNSB_9not_fun_tI7is_trueIxEEEEEE10hipError_tPvRmT3_T4_T5_T6_T7_T9_mT8_P12ihipStream_tbDpT10_ENKUlT_T0_E_clISt17integral_constantIbLb1EES17_IbLb0EEEEDaS13_S14_EUlS13_E_NS1_11comp_targetILNS1_3genE2ELNS1_11target_archE906ELNS1_3gpuE6ELNS1_3repE0EEENS1_30default_config_static_selectorELNS0_4arch9wavefront6targetE0EEEvT1_.kd
    .uniform_work_group_size: 1
    .uses_dynamic_stack: false
    .vgpr_count:     0
    .vgpr_spill_count: 0
    .wavefront_size: 32
    .workgroup_processor_mode: 1
  - .args:
      - .offset:         0
        .size:           112
        .value_kind:     by_value
    .group_segment_fixed_size: 0
    .kernarg_segment_align: 8
    .kernarg_segment_size: 112
    .language:       OpenCL C
    .language_version:
      - 2
      - 0
    .max_flat_workgroup_size: 256
    .name:           _ZN7rocprim17ROCPRIM_400000_NS6detail17trampoline_kernelINS0_14default_configENS1_25partition_config_selectorILNS1_17partition_subalgoE6ExNS0_10empty_typeEbEEZZNS1_14partition_implILS5_6ELb0ES3_mN6thrust23THRUST_200600_302600_NS6detail15normal_iteratorINSA_10device_ptrIxEEEEPS6_SG_NS0_5tupleIJSF_S6_EEENSH_IJSG_SG_EEES6_PlJNSB_9not_fun_tI7is_trueIxEEEEEE10hipError_tPvRmT3_T4_T5_T6_T7_T9_mT8_P12ihipStream_tbDpT10_ENKUlT_T0_E_clISt17integral_constantIbLb1EES17_IbLb0EEEEDaS13_S14_EUlS13_E_NS1_11comp_targetILNS1_3genE10ELNS1_11target_archE1200ELNS1_3gpuE4ELNS1_3repE0EEENS1_30default_config_static_selectorELNS0_4arch9wavefront6targetE0EEEvT1_
    .private_segment_fixed_size: 0
    .sgpr_count:     0
    .sgpr_spill_count: 0
    .symbol:         _ZN7rocprim17ROCPRIM_400000_NS6detail17trampoline_kernelINS0_14default_configENS1_25partition_config_selectorILNS1_17partition_subalgoE6ExNS0_10empty_typeEbEEZZNS1_14partition_implILS5_6ELb0ES3_mN6thrust23THRUST_200600_302600_NS6detail15normal_iteratorINSA_10device_ptrIxEEEEPS6_SG_NS0_5tupleIJSF_S6_EEENSH_IJSG_SG_EEES6_PlJNSB_9not_fun_tI7is_trueIxEEEEEE10hipError_tPvRmT3_T4_T5_T6_T7_T9_mT8_P12ihipStream_tbDpT10_ENKUlT_T0_E_clISt17integral_constantIbLb1EES17_IbLb0EEEEDaS13_S14_EUlS13_E_NS1_11comp_targetILNS1_3genE10ELNS1_11target_archE1200ELNS1_3gpuE4ELNS1_3repE0EEENS1_30default_config_static_selectorELNS0_4arch9wavefront6targetE0EEEvT1_.kd
    .uniform_work_group_size: 1
    .uses_dynamic_stack: false
    .vgpr_count:     0
    .vgpr_spill_count: 0
    .wavefront_size: 32
    .workgroup_processor_mode: 1
  - .args:
      - .offset:         0
        .size:           112
        .value_kind:     by_value
    .group_segment_fixed_size: 0
    .kernarg_segment_align: 8
    .kernarg_segment_size: 112
    .language:       OpenCL C
    .language_version:
      - 2
      - 0
    .max_flat_workgroup_size: 384
    .name:           _ZN7rocprim17ROCPRIM_400000_NS6detail17trampoline_kernelINS0_14default_configENS1_25partition_config_selectorILNS1_17partition_subalgoE6ExNS0_10empty_typeEbEEZZNS1_14partition_implILS5_6ELb0ES3_mN6thrust23THRUST_200600_302600_NS6detail15normal_iteratorINSA_10device_ptrIxEEEEPS6_SG_NS0_5tupleIJSF_S6_EEENSH_IJSG_SG_EEES6_PlJNSB_9not_fun_tI7is_trueIxEEEEEE10hipError_tPvRmT3_T4_T5_T6_T7_T9_mT8_P12ihipStream_tbDpT10_ENKUlT_T0_E_clISt17integral_constantIbLb1EES17_IbLb0EEEEDaS13_S14_EUlS13_E_NS1_11comp_targetILNS1_3genE9ELNS1_11target_archE1100ELNS1_3gpuE3ELNS1_3repE0EEENS1_30default_config_static_selectorELNS0_4arch9wavefront6targetE0EEEvT1_
    .private_segment_fixed_size: 0
    .sgpr_count:     0
    .sgpr_spill_count: 0
    .symbol:         _ZN7rocprim17ROCPRIM_400000_NS6detail17trampoline_kernelINS0_14default_configENS1_25partition_config_selectorILNS1_17partition_subalgoE6ExNS0_10empty_typeEbEEZZNS1_14partition_implILS5_6ELb0ES3_mN6thrust23THRUST_200600_302600_NS6detail15normal_iteratorINSA_10device_ptrIxEEEEPS6_SG_NS0_5tupleIJSF_S6_EEENSH_IJSG_SG_EEES6_PlJNSB_9not_fun_tI7is_trueIxEEEEEE10hipError_tPvRmT3_T4_T5_T6_T7_T9_mT8_P12ihipStream_tbDpT10_ENKUlT_T0_E_clISt17integral_constantIbLb1EES17_IbLb0EEEEDaS13_S14_EUlS13_E_NS1_11comp_targetILNS1_3genE9ELNS1_11target_archE1100ELNS1_3gpuE3ELNS1_3repE0EEENS1_30default_config_static_selectorELNS0_4arch9wavefront6targetE0EEEvT1_.kd
    .uniform_work_group_size: 1
    .uses_dynamic_stack: false
    .vgpr_count:     0
    .vgpr_spill_count: 0
    .wavefront_size: 32
    .workgroup_processor_mode: 1
  - .args:
      - .offset:         0
        .size:           112
        .value_kind:     by_value
    .group_segment_fixed_size: 0
    .kernarg_segment_align: 8
    .kernarg_segment_size: 112
    .language:       OpenCL C
    .language_version:
      - 2
      - 0
    .max_flat_workgroup_size: 512
    .name:           _ZN7rocprim17ROCPRIM_400000_NS6detail17trampoline_kernelINS0_14default_configENS1_25partition_config_selectorILNS1_17partition_subalgoE6ExNS0_10empty_typeEbEEZZNS1_14partition_implILS5_6ELb0ES3_mN6thrust23THRUST_200600_302600_NS6detail15normal_iteratorINSA_10device_ptrIxEEEEPS6_SG_NS0_5tupleIJSF_S6_EEENSH_IJSG_SG_EEES6_PlJNSB_9not_fun_tI7is_trueIxEEEEEE10hipError_tPvRmT3_T4_T5_T6_T7_T9_mT8_P12ihipStream_tbDpT10_ENKUlT_T0_E_clISt17integral_constantIbLb1EES17_IbLb0EEEEDaS13_S14_EUlS13_E_NS1_11comp_targetILNS1_3genE8ELNS1_11target_archE1030ELNS1_3gpuE2ELNS1_3repE0EEENS1_30default_config_static_selectorELNS0_4arch9wavefront6targetE0EEEvT1_
    .private_segment_fixed_size: 0
    .sgpr_count:     0
    .sgpr_spill_count: 0
    .symbol:         _ZN7rocprim17ROCPRIM_400000_NS6detail17trampoline_kernelINS0_14default_configENS1_25partition_config_selectorILNS1_17partition_subalgoE6ExNS0_10empty_typeEbEEZZNS1_14partition_implILS5_6ELb0ES3_mN6thrust23THRUST_200600_302600_NS6detail15normal_iteratorINSA_10device_ptrIxEEEEPS6_SG_NS0_5tupleIJSF_S6_EEENSH_IJSG_SG_EEES6_PlJNSB_9not_fun_tI7is_trueIxEEEEEE10hipError_tPvRmT3_T4_T5_T6_T7_T9_mT8_P12ihipStream_tbDpT10_ENKUlT_T0_E_clISt17integral_constantIbLb1EES17_IbLb0EEEEDaS13_S14_EUlS13_E_NS1_11comp_targetILNS1_3genE8ELNS1_11target_archE1030ELNS1_3gpuE2ELNS1_3repE0EEENS1_30default_config_static_selectorELNS0_4arch9wavefront6targetE0EEEvT1_.kd
    .uniform_work_group_size: 1
    .uses_dynamic_stack: false
    .vgpr_count:     0
    .vgpr_spill_count: 0
    .wavefront_size: 32
    .workgroup_processor_mode: 1
  - .args:
      - .offset:         0
        .size:           128
        .value_kind:     by_value
    .group_segment_fixed_size: 0
    .kernarg_segment_align: 8
    .kernarg_segment_size: 128
    .language:       OpenCL C
    .language_version:
      - 2
      - 0
    .max_flat_workgroup_size: 128
    .name:           _ZN7rocprim17ROCPRIM_400000_NS6detail17trampoline_kernelINS0_14default_configENS1_25partition_config_selectorILNS1_17partition_subalgoE6ExNS0_10empty_typeEbEEZZNS1_14partition_implILS5_6ELb0ES3_mN6thrust23THRUST_200600_302600_NS6detail15normal_iteratorINSA_10device_ptrIxEEEEPS6_SG_NS0_5tupleIJSF_S6_EEENSH_IJSG_SG_EEES6_PlJNSB_9not_fun_tI7is_trueIxEEEEEE10hipError_tPvRmT3_T4_T5_T6_T7_T9_mT8_P12ihipStream_tbDpT10_ENKUlT_T0_E_clISt17integral_constantIbLb0EES17_IbLb1EEEEDaS13_S14_EUlS13_E_NS1_11comp_targetILNS1_3genE0ELNS1_11target_archE4294967295ELNS1_3gpuE0ELNS1_3repE0EEENS1_30default_config_static_selectorELNS0_4arch9wavefront6targetE0EEEvT1_
    .private_segment_fixed_size: 0
    .sgpr_count:     0
    .sgpr_spill_count: 0
    .symbol:         _ZN7rocprim17ROCPRIM_400000_NS6detail17trampoline_kernelINS0_14default_configENS1_25partition_config_selectorILNS1_17partition_subalgoE6ExNS0_10empty_typeEbEEZZNS1_14partition_implILS5_6ELb0ES3_mN6thrust23THRUST_200600_302600_NS6detail15normal_iteratorINSA_10device_ptrIxEEEEPS6_SG_NS0_5tupleIJSF_S6_EEENSH_IJSG_SG_EEES6_PlJNSB_9not_fun_tI7is_trueIxEEEEEE10hipError_tPvRmT3_T4_T5_T6_T7_T9_mT8_P12ihipStream_tbDpT10_ENKUlT_T0_E_clISt17integral_constantIbLb0EES17_IbLb1EEEEDaS13_S14_EUlS13_E_NS1_11comp_targetILNS1_3genE0ELNS1_11target_archE4294967295ELNS1_3gpuE0ELNS1_3repE0EEENS1_30default_config_static_selectorELNS0_4arch9wavefront6targetE0EEEvT1_.kd
    .uniform_work_group_size: 1
    .uses_dynamic_stack: false
    .vgpr_count:     0
    .vgpr_spill_count: 0
    .wavefront_size: 32
    .workgroup_processor_mode: 1
  - .args:
      - .offset:         0
        .size:           128
        .value_kind:     by_value
    .group_segment_fixed_size: 0
    .kernarg_segment_align: 8
    .kernarg_segment_size: 128
    .language:       OpenCL C
    .language_version:
      - 2
      - 0
    .max_flat_workgroup_size: 512
    .name:           _ZN7rocprim17ROCPRIM_400000_NS6detail17trampoline_kernelINS0_14default_configENS1_25partition_config_selectorILNS1_17partition_subalgoE6ExNS0_10empty_typeEbEEZZNS1_14partition_implILS5_6ELb0ES3_mN6thrust23THRUST_200600_302600_NS6detail15normal_iteratorINSA_10device_ptrIxEEEEPS6_SG_NS0_5tupleIJSF_S6_EEENSH_IJSG_SG_EEES6_PlJNSB_9not_fun_tI7is_trueIxEEEEEE10hipError_tPvRmT3_T4_T5_T6_T7_T9_mT8_P12ihipStream_tbDpT10_ENKUlT_T0_E_clISt17integral_constantIbLb0EES17_IbLb1EEEEDaS13_S14_EUlS13_E_NS1_11comp_targetILNS1_3genE5ELNS1_11target_archE942ELNS1_3gpuE9ELNS1_3repE0EEENS1_30default_config_static_selectorELNS0_4arch9wavefront6targetE0EEEvT1_
    .private_segment_fixed_size: 0
    .sgpr_count:     0
    .sgpr_spill_count: 0
    .symbol:         _ZN7rocprim17ROCPRIM_400000_NS6detail17trampoline_kernelINS0_14default_configENS1_25partition_config_selectorILNS1_17partition_subalgoE6ExNS0_10empty_typeEbEEZZNS1_14partition_implILS5_6ELb0ES3_mN6thrust23THRUST_200600_302600_NS6detail15normal_iteratorINSA_10device_ptrIxEEEEPS6_SG_NS0_5tupleIJSF_S6_EEENSH_IJSG_SG_EEES6_PlJNSB_9not_fun_tI7is_trueIxEEEEEE10hipError_tPvRmT3_T4_T5_T6_T7_T9_mT8_P12ihipStream_tbDpT10_ENKUlT_T0_E_clISt17integral_constantIbLb0EES17_IbLb1EEEEDaS13_S14_EUlS13_E_NS1_11comp_targetILNS1_3genE5ELNS1_11target_archE942ELNS1_3gpuE9ELNS1_3repE0EEENS1_30default_config_static_selectorELNS0_4arch9wavefront6targetE0EEEvT1_.kd
    .uniform_work_group_size: 1
    .uses_dynamic_stack: false
    .vgpr_count:     0
    .vgpr_spill_count: 0
    .wavefront_size: 32
    .workgroup_processor_mode: 1
  - .args:
      - .offset:         0
        .size:           128
        .value_kind:     by_value
    .group_segment_fixed_size: 0
    .kernarg_segment_align: 8
    .kernarg_segment_size: 128
    .language:       OpenCL C
    .language_version:
      - 2
      - 0
    .max_flat_workgroup_size: 512
    .name:           _ZN7rocprim17ROCPRIM_400000_NS6detail17trampoline_kernelINS0_14default_configENS1_25partition_config_selectorILNS1_17partition_subalgoE6ExNS0_10empty_typeEbEEZZNS1_14partition_implILS5_6ELb0ES3_mN6thrust23THRUST_200600_302600_NS6detail15normal_iteratorINSA_10device_ptrIxEEEEPS6_SG_NS0_5tupleIJSF_S6_EEENSH_IJSG_SG_EEES6_PlJNSB_9not_fun_tI7is_trueIxEEEEEE10hipError_tPvRmT3_T4_T5_T6_T7_T9_mT8_P12ihipStream_tbDpT10_ENKUlT_T0_E_clISt17integral_constantIbLb0EES17_IbLb1EEEEDaS13_S14_EUlS13_E_NS1_11comp_targetILNS1_3genE4ELNS1_11target_archE910ELNS1_3gpuE8ELNS1_3repE0EEENS1_30default_config_static_selectorELNS0_4arch9wavefront6targetE0EEEvT1_
    .private_segment_fixed_size: 0
    .sgpr_count:     0
    .sgpr_spill_count: 0
    .symbol:         _ZN7rocprim17ROCPRIM_400000_NS6detail17trampoline_kernelINS0_14default_configENS1_25partition_config_selectorILNS1_17partition_subalgoE6ExNS0_10empty_typeEbEEZZNS1_14partition_implILS5_6ELb0ES3_mN6thrust23THRUST_200600_302600_NS6detail15normal_iteratorINSA_10device_ptrIxEEEEPS6_SG_NS0_5tupleIJSF_S6_EEENSH_IJSG_SG_EEES6_PlJNSB_9not_fun_tI7is_trueIxEEEEEE10hipError_tPvRmT3_T4_T5_T6_T7_T9_mT8_P12ihipStream_tbDpT10_ENKUlT_T0_E_clISt17integral_constantIbLb0EES17_IbLb1EEEEDaS13_S14_EUlS13_E_NS1_11comp_targetILNS1_3genE4ELNS1_11target_archE910ELNS1_3gpuE8ELNS1_3repE0EEENS1_30default_config_static_selectorELNS0_4arch9wavefront6targetE0EEEvT1_.kd
    .uniform_work_group_size: 1
    .uses_dynamic_stack: false
    .vgpr_count:     0
    .vgpr_spill_count: 0
    .wavefront_size: 32
    .workgroup_processor_mode: 1
  - .args:
      - .offset:         0
        .size:           128
        .value_kind:     by_value
    .group_segment_fixed_size: 0
    .kernarg_segment_align: 8
    .kernarg_segment_size: 128
    .language:       OpenCL C
    .language_version:
      - 2
      - 0
    .max_flat_workgroup_size: 128
    .name:           _ZN7rocprim17ROCPRIM_400000_NS6detail17trampoline_kernelINS0_14default_configENS1_25partition_config_selectorILNS1_17partition_subalgoE6ExNS0_10empty_typeEbEEZZNS1_14partition_implILS5_6ELb0ES3_mN6thrust23THRUST_200600_302600_NS6detail15normal_iteratorINSA_10device_ptrIxEEEEPS6_SG_NS0_5tupleIJSF_S6_EEENSH_IJSG_SG_EEES6_PlJNSB_9not_fun_tI7is_trueIxEEEEEE10hipError_tPvRmT3_T4_T5_T6_T7_T9_mT8_P12ihipStream_tbDpT10_ENKUlT_T0_E_clISt17integral_constantIbLb0EES17_IbLb1EEEEDaS13_S14_EUlS13_E_NS1_11comp_targetILNS1_3genE3ELNS1_11target_archE908ELNS1_3gpuE7ELNS1_3repE0EEENS1_30default_config_static_selectorELNS0_4arch9wavefront6targetE0EEEvT1_
    .private_segment_fixed_size: 0
    .sgpr_count:     0
    .sgpr_spill_count: 0
    .symbol:         _ZN7rocprim17ROCPRIM_400000_NS6detail17trampoline_kernelINS0_14default_configENS1_25partition_config_selectorILNS1_17partition_subalgoE6ExNS0_10empty_typeEbEEZZNS1_14partition_implILS5_6ELb0ES3_mN6thrust23THRUST_200600_302600_NS6detail15normal_iteratorINSA_10device_ptrIxEEEEPS6_SG_NS0_5tupleIJSF_S6_EEENSH_IJSG_SG_EEES6_PlJNSB_9not_fun_tI7is_trueIxEEEEEE10hipError_tPvRmT3_T4_T5_T6_T7_T9_mT8_P12ihipStream_tbDpT10_ENKUlT_T0_E_clISt17integral_constantIbLb0EES17_IbLb1EEEEDaS13_S14_EUlS13_E_NS1_11comp_targetILNS1_3genE3ELNS1_11target_archE908ELNS1_3gpuE7ELNS1_3repE0EEENS1_30default_config_static_selectorELNS0_4arch9wavefront6targetE0EEEvT1_.kd
    .uniform_work_group_size: 1
    .uses_dynamic_stack: false
    .vgpr_count:     0
    .vgpr_spill_count: 0
    .wavefront_size: 32
    .workgroup_processor_mode: 1
  - .args:
      - .offset:         0
        .size:           128
        .value_kind:     by_value
    .group_segment_fixed_size: 0
    .kernarg_segment_align: 8
    .kernarg_segment_size: 128
    .language:       OpenCL C
    .language_version:
      - 2
      - 0
    .max_flat_workgroup_size: 256
    .name:           _ZN7rocprim17ROCPRIM_400000_NS6detail17trampoline_kernelINS0_14default_configENS1_25partition_config_selectorILNS1_17partition_subalgoE6ExNS0_10empty_typeEbEEZZNS1_14partition_implILS5_6ELb0ES3_mN6thrust23THRUST_200600_302600_NS6detail15normal_iteratorINSA_10device_ptrIxEEEEPS6_SG_NS0_5tupleIJSF_S6_EEENSH_IJSG_SG_EEES6_PlJNSB_9not_fun_tI7is_trueIxEEEEEE10hipError_tPvRmT3_T4_T5_T6_T7_T9_mT8_P12ihipStream_tbDpT10_ENKUlT_T0_E_clISt17integral_constantIbLb0EES17_IbLb1EEEEDaS13_S14_EUlS13_E_NS1_11comp_targetILNS1_3genE2ELNS1_11target_archE906ELNS1_3gpuE6ELNS1_3repE0EEENS1_30default_config_static_selectorELNS0_4arch9wavefront6targetE0EEEvT1_
    .private_segment_fixed_size: 0
    .sgpr_count:     0
    .sgpr_spill_count: 0
    .symbol:         _ZN7rocprim17ROCPRIM_400000_NS6detail17trampoline_kernelINS0_14default_configENS1_25partition_config_selectorILNS1_17partition_subalgoE6ExNS0_10empty_typeEbEEZZNS1_14partition_implILS5_6ELb0ES3_mN6thrust23THRUST_200600_302600_NS6detail15normal_iteratorINSA_10device_ptrIxEEEEPS6_SG_NS0_5tupleIJSF_S6_EEENSH_IJSG_SG_EEES6_PlJNSB_9not_fun_tI7is_trueIxEEEEEE10hipError_tPvRmT3_T4_T5_T6_T7_T9_mT8_P12ihipStream_tbDpT10_ENKUlT_T0_E_clISt17integral_constantIbLb0EES17_IbLb1EEEEDaS13_S14_EUlS13_E_NS1_11comp_targetILNS1_3genE2ELNS1_11target_archE906ELNS1_3gpuE6ELNS1_3repE0EEENS1_30default_config_static_selectorELNS0_4arch9wavefront6targetE0EEEvT1_.kd
    .uniform_work_group_size: 1
    .uses_dynamic_stack: false
    .vgpr_count:     0
    .vgpr_spill_count: 0
    .wavefront_size: 32
    .workgroup_processor_mode: 1
  - .args:
      - .offset:         0
        .size:           128
        .value_kind:     by_value
    .group_segment_fixed_size: 8464
    .kernarg_segment_align: 8
    .kernarg_segment_size: 128
    .language:       OpenCL C
    .language_version:
      - 2
      - 0
    .max_flat_workgroup_size: 256
    .name:           _ZN7rocprim17ROCPRIM_400000_NS6detail17trampoline_kernelINS0_14default_configENS1_25partition_config_selectorILNS1_17partition_subalgoE6ExNS0_10empty_typeEbEEZZNS1_14partition_implILS5_6ELb0ES3_mN6thrust23THRUST_200600_302600_NS6detail15normal_iteratorINSA_10device_ptrIxEEEEPS6_SG_NS0_5tupleIJSF_S6_EEENSH_IJSG_SG_EEES6_PlJNSB_9not_fun_tI7is_trueIxEEEEEE10hipError_tPvRmT3_T4_T5_T6_T7_T9_mT8_P12ihipStream_tbDpT10_ENKUlT_T0_E_clISt17integral_constantIbLb0EES17_IbLb1EEEEDaS13_S14_EUlS13_E_NS1_11comp_targetILNS1_3genE10ELNS1_11target_archE1200ELNS1_3gpuE4ELNS1_3repE0EEENS1_30default_config_static_selectorELNS0_4arch9wavefront6targetE0EEEvT1_
    .private_segment_fixed_size: 0
    .sgpr_count:     24
    .sgpr_spill_count: 0
    .symbol:         _ZN7rocprim17ROCPRIM_400000_NS6detail17trampoline_kernelINS0_14default_configENS1_25partition_config_selectorILNS1_17partition_subalgoE6ExNS0_10empty_typeEbEEZZNS1_14partition_implILS5_6ELb0ES3_mN6thrust23THRUST_200600_302600_NS6detail15normal_iteratorINSA_10device_ptrIxEEEEPS6_SG_NS0_5tupleIJSF_S6_EEENSH_IJSG_SG_EEES6_PlJNSB_9not_fun_tI7is_trueIxEEEEEE10hipError_tPvRmT3_T4_T5_T6_T7_T9_mT8_P12ihipStream_tbDpT10_ENKUlT_T0_E_clISt17integral_constantIbLb0EES17_IbLb1EEEEDaS13_S14_EUlS13_E_NS1_11comp_targetILNS1_3genE10ELNS1_11target_archE1200ELNS1_3gpuE4ELNS1_3repE0EEENS1_30default_config_static_selectorELNS0_4arch9wavefront6targetE0EEEvT1_.kd
    .uniform_work_group_size: 1
    .uses_dynamic_stack: false
    .vgpr_count:     48
    .vgpr_spill_count: 0
    .wavefront_size: 32
    .workgroup_processor_mode: 1
  - .args:
      - .offset:         0
        .size:           128
        .value_kind:     by_value
    .group_segment_fixed_size: 0
    .kernarg_segment_align: 8
    .kernarg_segment_size: 128
    .language:       OpenCL C
    .language_version:
      - 2
      - 0
    .max_flat_workgroup_size: 384
    .name:           _ZN7rocprim17ROCPRIM_400000_NS6detail17trampoline_kernelINS0_14default_configENS1_25partition_config_selectorILNS1_17partition_subalgoE6ExNS0_10empty_typeEbEEZZNS1_14partition_implILS5_6ELb0ES3_mN6thrust23THRUST_200600_302600_NS6detail15normal_iteratorINSA_10device_ptrIxEEEEPS6_SG_NS0_5tupleIJSF_S6_EEENSH_IJSG_SG_EEES6_PlJNSB_9not_fun_tI7is_trueIxEEEEEE10hipError_tPvRmT3_T4_T5_T6_T7_T9_mT8_P12ihipStream_tbDpT10_ENKUlT_T0_E_clISt17integral_constantIbLb0EES17_IbLb1EEEEDaS13_S14_EUlS13_E_NS1_11comp_targetILNS1_3genE9ELNS1_11target_archE1100ELNS1_3gpuE3ELNS1_3repE0EEENS1_30default_config_static_selectorELNS0_4arch9wavefront6targetE0EEEvT1_
    .private_segment_fixed_size: 0
    .sgpr_count:     0
    .sgpr_spill_count: 0
    .symbol:         _ZN7rocprim17ROCPRIM_400000_NS6detail17trampoline_kernelINS0_14default_configENS1_25partition_config_selectorILNS1_17partition_subalgoE6ExNS0_10empty_typeEbEEZZNS1_14partition_implILS5_6ELb0ES3_mN6thrust23THRUST_200600_302600_NS6detail15normal_iteratorINSA_10device_ptrIxEEEEPS6_SG_NS0_5tupleIJSF_S6_EEENSH_IJSG_SG_EEES6_PlJNSB_9not_fun_tI7is_trueIxEEEEEE10hipError_tPvRmT3_T4_T5_T6_T7_T9_mT8_P12ihipStream_tbDpT10_ENKUlT_T0_E_clISt17integral_constantIbLb0EES17_IbLb1EEEEDaS13_S14_EUlS13_E_NS1_11comp_targetILNS1_3genE9ELNS1_11target_archE1100ELNS1_3gpuE3ELNS1_3repE0EEENS1_30default_config_static_selectorELNS0_4arch9wavefront6targetE0EEEvT1_.kd
    .uniform_work_group_size: 1
    .uses_dynamic_stack: false
    .vgpr_count:     0
    .vgpr_spill_count: 0
    .wavefront_size: 32
    .workgroup_processor_mode: 1
  - .args:
      - .offset:         0
        .size:           128
        .value_kind:     by_value
    .group_segment_fixed_size: 0
    .kernarg_segment_align: 8
    .kernarg_segment_size: 128
    .language:       OpenCL C
    .language_version:
      - 2
      - 0
    .max_flat_workgroup_size: 512
    .name:           _ZN7rocprim17ROCPRIM_400000_NS6detail17trampoline_kernelINS0_14default_configENS1_25partition_config_selectorILNS1_17partition_subalgoE6ExNS0_10empty_typeEbEEZZNS1_14partition_implILS5_6ELb0ES3_mN6thrust23THRUST_200600_302600_NS6detail15normal_iteratorINSA_10device_ptrIxEEEEPS6_SG_NS0_5tupleIJSF_S6_EEENSH_IJSG_SG_EEES6_PlJNSB_9not_fun_tI7is_trueIxEEEEEE10hipError_tPvRmT3_T4_T5_T6_T7_T9_mT8_P12ihipStream_tbDpT10_ENKUlT_T0_E_clISt17integral_constantIbLb0EES17_IbLb1EEEEDaS13_S14_EUlS13_E_NS1_11comp_targetILNS1_3genE8ELNS1_11target_archE1030ELNS1_3gpuE2ELNS1_3repE0EEENS1_30default_config_static_selectorELNS0_4arch9wavefront6targetE0EEEvT1_
    .private_segment_fixed_size: 0
    .sgpr_count:     0
    .sgpr_spill_count: 0
    .symbol:         _ZN7rocprim17ROCPRIM_400000_NS6detail17trampoline_kernelINS0_14default_configENS1_25partition_config_selectorILNS1_17partition_subalgoE6ExNS0_10empty_typeEbEEZZNS1_14partition_implILS5_6ELb0ES3_mN6thrust23THRUST_200600_302600_NS6detail15normal_iteratorINSA_10device_ptrIxEEEEPS6_SG_NS0_5tupleIJSF_S6_EEENSH_IJSG_SG_EEES6_PlJNSB_9not_fun_tI7is_trueIxEEEEEE10hipError_tPvRmT3_T4_T5_T6_T7_T9_mT8_P12ihipStream_tbDpT10_ENKUlT_T0_E_clISt17integral_constantIbLb0EES17_IbLb1EEEEDaS13_S14_EUlS13_E_NS1_11comp_targetILNS1_3genE8ELNS1_11target_archE1030ELNS1_3gpuE2ELNS1_3repE0EEENS1_30default_config_static_selectorELNS0_4arch9wavefront6targetE0EEEvT1_.kd
    .uniform_work_group_size: 1
    .uses_dynamic_stack: false
    .vgpr_count:     0
    .vgpr_spill_count: 0
    .wavefront_size: 32
    .workgroup_processor_mode: 1
  - .args:
      - .offset:         0
        .size:           112
        .value_kind:     by_value
    .group_segment_fixed_size: 0
    .kernarg_segment_align: 8
    .kernarg_segment_size: 112
    .language:       OpenCL C
    .language_version:
      - 2
      - 0
    .max_flat_workgroup_size: 256
    .name:           _ZN7rocprim17ROCPRIM_400000_NS6detail17trampoline_kernelINS0_14default_configENS1_25partition_config_selectorILNS1_17partition_subalgoE6EiNS0_10empty_typeEbEEZZNS1_14partition_implILS5_6ELb0ES3_mN6thrust23THRUST_200600_302600_NS6detail15normal_iteratorINSA_10device_ptrIiEEEEPS6_SG_NS0_5tupleIJSF_S6_EEENSH_IJSG_SG_EEES6_PlJNSB_9not_fun_tI7is_trueIiEEEEEE10hipError_tPvRmT3_T4_T5_T6_T7_T9_mT8_P12ihipStream_tbDpT10_ENKUlT_T0_E_clISt17integral_constantIbLb0EES18_EEDaS13_S14_EUlS13_E_NS1_11comp_targetILNS1_3genE0ELNS1_11target_archE4294967295ELNS1_3gpuE0ELNS1_3repE0EEENS1_30default_config_static_selectorELNS0_4arch9wavefront6targetE0EEEvT1_
    .private_segment_fixed_size: 0
    .sgpr_count:     0
    .sgpr_spill_count: 0
    .symbol:         _ZN7rocprim17ROCPRIM_400000_NS6detail17trampoline_kernelINS0_14default_configENS1_25partition_config_selectorILNS1_17partition_subalgoE6EiNS0_10empty_typeEbEEZZNS1_14partition_implILS5_6ELb0ES3_mN6thrust23THRUST_200600_302600_NS6detail15normal_iteratorINSA_10device_ptrIiEEEEPS6_SG_NS0_5tupleIJSF_S6_EEENSH_IJSG_SG_EEES6_PlJNSB_9not_fun_tI7is_trueIiEEEEEE10hipError_tPvRmT3_T4_T5_T6_T7_T9_mT8_P12ihipStream_tbDpT10_ENKUlT_T0_E_clISt17integral_constantIbLb0EES18_EEDaS13_S14_EUlS13_E_NS1_11comp_targetILNS1_3genE0ELNS1_11target_archE4294967295ELNS1_3gpuE0ELNS1_3repE0EEENS1_30default_config_static_selectorELNS0_4arch9wavefront6targetE0EEEvT1_.kd
    .uniform_work_group_size: 1
    .uses_dynamic_stack: false
    .vgpr_count:     0
    .vgpr_spill_count: 0
    .wavefront_size: 32
    .workgroup_processor_mode: 1
  - .args:
      - .offset:         0
        .size:           112
        .value_kind:     by_value
    .group_segment_fixed_size: 0
    .kernarg_segment_align: 8
    .kernarg_segment_size: 112
    .language:       OpenCL C
    .language_version:
      - 2
      - 0
    .max_flat_workgroup_size: 512
    .name:           _ZN7rocprim17ROCPRIM_400000_NS6detail17trampoline_kernelINS0_14default_configENS1_25partition_config_selectorILNS1_17partition_subalgoE6EiNS0_10empty_typeEbEEZZNS1_14partition_implILS5_6ELb0ES3_mN6thrust23THRUST_200600_302600_NS6detail15normal_iteratorINSA_10device_ptrIiEEEEPS6_SG_NS0_5tupleIJSF_S6_EEENSH_IJSG_SG_EEES6_PlJNSB_9not_fun_tI7is_trueIiEEEEEE10hipError_tPvRmT3_T4_T5_T6_T7_T9_mT8_P12ihipStream_tbDpT10_ENKUlT_T0_E_clISt17integral_constantIbLb0EES18_EEDaS13_S14_EUlS13_E_NS1_11comp_targetILNS1_3genE5ELNS1_11target_archE942ELNS1_3gpuE9ELNS1_3repE0EEENS1_30default_config_static_selectorELNS0_4arch9wavefront6targetE0EEEvT1_
    .private_segment_fixed_size: 0
    .sgpr_count:     0
    .sgpr_spill_count: 0
    .symbol:         _ZN7rocprim17ROCPRIM_400000_NS6detail17trampoline_kernelINS0_14default_configENS1_25partition_config_selectorILNS1_17partition_subalgoE6EiNS0_10empty_typeEbEEZZNS1_14partition_implILS5_6ELb0ES3_mN6thrust23THRUST_200600_302600_NS6detail15normal_iteratorINSA_10device_ptrIiEEEEPS6_SG_NS0_5tupleIJSF_S6_EEENSH_IJSG_SG_EEES6_PlJNSB_9not_fun_tI7is_trueIiEEEEEE10hipError_tPvRmT3_T4_T5_T6_T7_T9_mT8_P12ihipStream_tbDpT10_ENKUlT_T0_E_clISt17integral_constantIbLb0EES18_EEDaS13_S14_EUlS13_E_NS1_11comp_targetILNS1_3genE5ELNS1_11target_archE942ELNS1_3gpuE9ELNS1_3repE0EEENS1_30default_config_static_selectorELNS0_4arch9wavefront6targetE0EEEvT1_.kd
    .uniform_work_group_size: 1
    .uses_dynamic_stack: false
    .vgpr_count:     0
    .vgpr_spill_count: 0
    .wavefront_size: 32
    .workgroup_processor_mode: 1
  - .args:
      - .offset:         0
        .size:           112
        .value_kind:     by_value
    .group_segment_fixed_size: 0
    .kernarg_segment_align: 8
    .kernarg_segment_size: 112
    .language:       OpenCL C
    .language_version:
      - 2
      - 0
    .max_flat_workgroup_size: 512
    .name:           _ZN7rocprim17ROCPRIM_400000_NS6detail17trampoline_kernelINS0_14default_configENS1_25partition_config_selectorILNS1_17partition_subalgoE6EiNS0_10empty_typeEbEEZZNS1_14partition_implILS5_6ELb0ES3_mN6thrust23THRUST_200600_302600_NS6detail15normal_iteratorINSA_10device_ptrIiEEEEPS6_SG_NS0_5tupleIJSF_S6_EEENSH_IJSG_SG_EEES6_PlJNSB_9not_fun_tI7is_trueIiEEEEEE10hipError_tPvRmT3_T4_T5_T6_T7_T9_mT8_P12ihipStream_tbDpT10_ENKUlT_T0_E_clISt17integral_constantIbLb0EES18_EEDaS13_S14_EUlS13_E_NS1_11comp_targetILNS1_3genE4ELNS1_11target_archE910ELNS1_3gpuE8ELNS1_3repE0EEENS1_30default_config_static_selectorELNS0_4arch9wavefront6targetE0EEEvT1_
    .private_segment_fixed_size: 0
    .sgpr_count:     0
    .sgpr_spill_count: 0
    .symbol:         _ZN7rocprim17ROCPRIM_400000_NS6detail17trampoline_kernelINS0_14default_configENS1_25partition_config_selectorILNS1_17partition_subalgoE6EiNS0_10empty_typeEbEEZZNS1_14partition_implILS5_6ELb0ES3_mN6thrust23THRUST_200600_302600_NS6detail15normal_iteratorINSA_10device_ptrIiEEEEPS6_SG_NS0_5tupleIJSF_S6_EEENSH_IJSG_SG_EEES6_PlJNSB_9not_fun_tI7is_trueIiEEEEEE10hipError_tPvRmT3_T4_T5_T6_T7_T9_mT8_P12ihipStream_tbDpT10_ENKUlT_T0_E_clISt17integral_constantIbLb0EES18_EEDaS13_S14_EUlS13_E_NS1_11comp_targetILNS1_3genE4ELNS1_11target_archE910ELNS1_3gpuE8ELNS1_3repE0EEENS1_30default_config_static_selectorELNS0_4arch9wavefront6targetE0EEEvT1_.kd
    .uniform_work_group_size: 1
    .uses_dynamic_stack: false
    .vgpr_count:     0
    .vgpr_spill_count: 0
    .wavefront_size: 32
    .workgroup_processor_mode: 1
  - .args:
      - .offset:         0
        .size:           112
        .value_kind:     by_value
    .group_segment_fixed_size: 0
    .kernarg_segment_align: 8
    .kernarg_segment_size: 112
    .language:       OpenCL C
    .language_version:
      - 2
      - 0
    .max_flat_workgroup_size: 256
    .name:           _ZN7rocprim17ROCPRIM_400000_NS6detail17trampoline_kernelINS0_14default_configENS1_25partition_config_selectorILNS1_17partition_subalgoE6EiNS0_10empty_typeEbEEZZNS1_14partition_implILS5_6ELb0ES3_mN6thrust23THRUST_200600_302600_NS6detail15normal_iteratorINSA_10device_ptrIiEEEEPS6_SG_NS0_5tupleIJSF_S6_EEENSH_IJSG_SG_EEES6_PlJNSB_9not_fun_tI7is_trueIiEEEEEE10hipError_tPvRmT3_T4_T5_T6_T7_T9_mT8_P12ihipStream_tbDpT10_ENKUlT_T0_E_clISt17integral_constantIbLb0EES18_EEDaS13_S14_EUlS13_E_NS1_11comp_targetILNS1_3genE3ELNS1_11target_archE908ELNS1_3gpuE7ELNS1_3repE0EEENS1_30default_config_static_selectorELNS0_4arch9wavefront6targetE0EEEvT1_
    .private_segment_fixed_size: 0
    .sgpr_count:     0
    .sgpr_spill_count: 0
    .symbol:         _ZN7rocprim17ROCPRIM_400000_NS6detail17trampoline_kernelINS0_14default_configENS1_25partition_config_selectorILNS1_17partition_subalgoE6EiNS0_10empty_typeEbEEZZNS1_14partition_implILS5_6ELb0ES3_mN6thrust23THRUST_200600_302600_NS6detail15normal_iteratorINSA_10device_ptrIiEEEEPS6_SG_NS0_5tupleIJSF_S6_EEENSH_IJSG_SG_EEES6_PlJNSB_9not_fun_tI7is_trueIiEEEEEE10hipError_tPvRmT3_T4_T5_T6_T7_T9_mT8_P12ihipStream_tbDpT10_ENKUlT_T0_E_clISt17integral_constantIbLb0EES18_EEDaS13_S14_EUlS13_E_NS1_11comp_targetILNS1_3genE3ELNS1_11target_archE908ELNS1_3gpuE7ELNS1_3repE0EEENS1_30default_config_static_selectorELNS0_4arch9wavefront6targetE0EEEvT1_.kd
    .uniform_work_group_size: 1
    .uses_dynamic_stack: false
    .vgpr_count:     0
    .vgpr_spill_count: 0
    .wavefront_size: 32
    .workgroup_processor_mode: 1
  - .args:
      - .offset:         0
        .size:           112
        .value_kind:     by_value
    .group_segment_fixed_size: 0
    .kernarg_segment_align: 8
    .kernarg_segment_size: 112
    .language:       OpenCL C
    .language_version:
      - 2
      - 0
    .max_flat_workgroup_size: 192
    .name:           _ZN7rocprim17ROCPRIM_400000_NS6detail17trampoline_kernelINS0_14default_configENS1_25partition_config_selectorILNS1_17partition_subalgoE6EiNS0_10empty_typeEbEEZZNS1_14partition_implILS5_6ELb0ES3_mN6thrust23THRUST_200600_302600_NS6detail15normal_iteratorINSA_10device_ptrIiEEEEPS6_SG_NS0_5tupleIJSF_S6_EEENSH_IJSG_SG_EEES6_PlJNSB_9not_fun_tI7is_trueIiEEEEEE10hipError_tPvRmT3_T4_T5_T6_T7_T9_mT8_P12ihipStream_tbDpT10_ENKUlT_T0_E_clISt17integral_constantIbLb0EES18_EEDaS13_S14_EUlS13_E_NS1_11comp_targetILNS1_3genE2ELNS1_11target_archE906ELNS1_3gpuE6ELNS1_3repE0EEENS1_30default_config_static_selectorELNS0_4arch9wavefront6targetE0EEEvT1_
    .private_segment_fixed_size: 0
    .sgpr_count:     0
    .sgpr_spill_count: 0
    .symbol:         _ZN7rocprim17ROCPRIM_400000_NS6detail17trampoline_kernelINS0_14default_configENS1_25partition_config_selectorILNS1_17partition_subalgoE6EiNS0_10empty_typeEbEEZZNS1_14partition_implILS5_6ELb0ES3_mN6thrust23THRUST_200600_302600_NS6detail15normal_iteratorINSA_10device_ptrIiEEEEPS6_SG_NS0_5tupleIJSF_S6_EEENSH_IJSG_SG_EEES6_PlJNSB_9not_fun_tI7is_trueIiEEEEEE10hipError_tPvRmT3_T4_T5_T6_T7_T9_mT8_P12ihipStream_tbDpT10_ENKUlT_T0_E_clISt17integral_constantIbLb0EES18_EEDaS13_S14_EUlS13_E_NS1_11comp_targetILNS1_3genE2ELNS1_11target_archE906ELNS1_3gpuE6ELNS1_3repE0EEENS1_30default_config_static_selectorELNS0_4arch9wavefront6targetE0EEEvT1_.kd
    .uniform_work_group_size: 1
    .uses_dynamic_stack: false
    .vgpr_count:     0
    .vgpr_spill_count: 0
    .wavefront_size: 32
    .workgroup_processor_mode: 1
  - .args:
      - .offset:         0
        .size:           112
        .value_kind:     by_value
    .group_segment_fixed_size: 10768
    .kernarg_segment_align: 8
    .kernarg_segment_size: 112
    .language:       OpenCL C
    .language_version:
      - 2
      - 0
    .max_flat_workgroup_size: 384
    .name:           _ZN7rocprim17ROCPRIM_400000_NS6detail17trampoline_kernelINS0_14default_configENS1_25partition_config_selectorILNS1_17partition_subalgoE6EiNS0_10empty_typeEbEEZZNS1_14partition_implILS5_6ELb0ES3_mN6thrust23THRUST_200600_302600_NS6detail15normal_iteratorINSA_10device_ptrIiEEEEPS6_SG_NS0_5tupleIJSF_S6_EEENSH_IJSG_SG_EEES6_PlJNSB_9not_fun_tI7is_trueIiEEEEEE10hipError_tPvRmT3_T4_T5_T6_T7_T9_mT8_P12ihipStream_tbDpT10_ENKUlT_T0_E_clISt17integral_constantIbLb0EES18_EEDaS13_S14_EUlS13_E_NS1_11comp_targetILNS1_3genE10ELNS1_11target_archE1200ELNS1_3gpuE4ELNS1_3repE0EEENS1_30default_config_static_selectorELNS0_4arch9wavefront6targetE0EEEvT1_
    .private_segment_fixed_size: 0
    .sgpr_count:     21
    .sgpr_spill_count: 0
    .symbol:         _ZN7rocprim17ROCPRIM_400000_NS6detail17trampoline_kernelINS0_14default_configENS1_25partition_config_selectorILNS1_17partition_subalgoE6EiNS0_10empty_typeEbEEZZNS1_14partition_implILS5_6ELb0ES3_mN6thrust23THRUST_200600_302600_NS6detail15normal_iteratorINSA_10device_ptrIiEEEEPS6_SG_NS0_5tupleIJSF_S6_EEENSH_IJSG_SG_EEES6_PlJNSB_9not_fun_tI7is_trueIiEEEEEE10hipError_tPvRmT3_T4_T5_T6_T7_T9_mT8_P12ihipStream_tbDpT10_ENKUlT_T0_E_clISt17integral_constantIbLb0EES18_EEDaS13_S14_EUlS13_E_NS1_11comp_targetILNS1_3genE10ELNS1_11target_archE1200ELNS1_3gpuE4ELNS1_3repE0EEENS1_30default_config_static_selectorELNS0_4arch9wavefront6targetE0EEEvT1_.kd
    .uniform_work_group_size: 1
    .uses_dynamic_stack: false
    .vgpr_count:     49
    .vgpr_spill_count: 0
    .wavefront_size: 32
    .workgroup_processor_mode: 1
  - .args:
      - .offset:         0
        .size:           112
        .value_kind:     by_value
    .group_segment_fixed_size: 0
    .kernarg_segment_align: 8
    .kernarg_segment_size: 112
    .language:       OpenCL C
    .language_version:
      - 2
      - 0
    .max_flat_workgroup_size: 128
    .name:           _ZN7rocprim17ROCPRIM_400000_NS6detail17trampoline_kernelINS0_14default_configENS1_25partition_config_selectorILNS1_17partition_subalgoE6EiNS0_10empty_typeEbEEZZNS1_14partition_implILS5_6ELb0ES3_mN6thrust23THRUST_200600_302600_NS6detail15normal_iteratorINSA_10device_ptrIiEEEEPS6_SG_NS0_5tupleIJSF_S6_EEENSH_IJSG_SG_EEES6_PlJNSB_9not_fun_tI7is_trueIiEEEEEE10hipError_tPvRmT3_T4_T5_T6_T7_T9_mT8_P12ihipStream_tbDpT10_ENKUlT_T0_E_clISt17integral_constantIbLb0EES18_EEDaS13_S14_EUlS13_E_NS1_11comp_targetILNS1_3genE9ELNS1_11target_archE1100ELNS1_3gpuE3ELNS1_3repE0EEENS1_30default_config_static_selectorELNS0_4arch9wavefront6targetE0EEEvT1_
    .private_segment_fixed_size: 0
    .sgpr_count:     0
    .sgpr_spill_count: 0
    .symbol:         _ZN7rocprim17ROCPRIM_400000_NS6detail17trampoline_kernelINS0_14default_configENS1_25partition_config_selectorILNS1_17partition_subalgoE6EiNS0_10empty_typeEbEEZZNS1_14partition_implILS5_6ELb0ES3_mN6thrust23THRUST_200600_302600_NS6detail15normal_iteratorINSA_10device_ptrIiEEEEPS6_SG_NS0_5tupleIJSF_S6_EEENSH_IJSG_SG_EEES6_PlJNSB_9not_fun_tI7is_trueIiEEEEEE10hipError_tPvRmT3_T4_T5_T6_T7_T9_mT8_P12ihipStream_tbDpT10_ENKUlT_T0_E_clISt17integral_constantIbLb0EES18_EEDaS13_S14_EUlS13_E_NS1_11comp_targetILNS1_3genE9ELNS1_11target_archE1100ELNS1_3gpuE3ELNS1_3repE0EEENS1_30default_config_static_selectorELNS0_4arch9wavefront6targetE0EEEvT1_.kd
    .uniform_work_group_size: 1
    .uses_dynamic_stack: false
    .vgpr_count:     0
    .vgpr_spill_count: 0
    .wavefront_size: 32
    .workgroup_processor_mode: 1
  - .args:
      - .offset:         0
        .size:           112
        .value_kind:     by_value
    .group_segment_fixed_size: 0
    .kernarg_segment_align: 8
    .kernarg_segment_size: 112
    .language:       OpenCL C
    .language_version:
      - 2
      - 0
    .max_flat_workgroup_size: 512
    .name:           _ZN7rocprim17ROCPRIM_400000_NS6detail17trampoline_kernelINS0_14default_configENS1_25partition_config_selectorILNS1_17partition_subalgoE6EiNS0_10empty_typeEbEEZZNS1_14partition_implILS5_6ELb0ES3_mN6thrust23THRUST_200600_302600_NS6detail15normal_iteratorINSA_10device_ptrIiEEEEPS6_SG_NS0_5tupleIJSF_S6_EEENSH_IJSG_SG_EEES6_PlJNSB_9not_fun_tI7is_trueIiEEEEEE10hipError_tPvRmT3_T4_T5_T6_T7_T9_mT8_P12ihipStream_tbDpT10_ENKUlT_T0_E_clISt17integral_constantIbLb0EES18_EEDaS13_S14_EUlS13_E_NS1_11comp_targetILNS1_3genE8ELNS1_11target_archE1030ELNS1_3gpuE2ELNS1_3repE0EEENS1_30default_config_static_selectorELNS0_4arch9wavefront6targetE0EEEvT1_
    .private_segment_fixed_size: 0
    .sgpr_count:     0
    .sgpr_spill_count: 0
    .symbol:         _ZN7rocprim17ROCPRIM_400000_NS6detail17trampoline_kernelINS0_14default_configENS1_25partition_config_selectorILNS1_17partition_subalgoE6EiNS0_10empty_typeEbEEZZNS1_14partition_implILS5_6ELb0ES3_mN6thrust23THRUST_200600_302600_NS6detail15normal_iteratorINSA_10device_ptrIiEEEEPS6_SG_NS0_5tupleIJSF_S6_EEENSH_IJSG_SG_EEES6_PlJNSB_9not_fun_tI7is_trueIiEEEEEE10hipError_tPvRmT3_T4_T5_T6_T7_T9_mT8_P12ihipStream_tbDpT10_ENKUlT_T0_E_clISt17integral_constantIbLb0EES18_EEDaS13_S14_EUlS13_E_NS1_11comp_targetILNS1_3genE8ELNS1_11target_archE1030ELNS1_3gpuE2ELNS1_3repE0EEENS1_30default_config_static_selectorELNS0_4arch9wavefront6targetE0EEEvT1_.kd
    .uniform_work_group_size: 1
    .uses_dynamic_stack: false
    .vgpr_count:     0
    .vgpr_spill_count: 0
    .wavefront_size: 32
    .workgroup_processor_mode: 1
  - .args:
      - .offset:         0
        .size:           128
        .value_kind:     by_value
    .group_segment_fixed_size: 0
    .kernarg_segment_align: 8
    .kernarg_segment_size: 128
    .language:       OpenCL C
    .language_version:
      - 2
      - 0
    .max_flat_workgroup_size: 256
    .name:           _ZN7rocprim17ROCPRIM_400000_NS6detail17trampoline_kernelINS0_14default_configENS1_25partition_config_selectorILNS1_17partition_subalgoE6EiNS0_10empty_typeEbEEZZNS1_14partition_implILS5_6ELb0ES3_mN6thrust23THRUST_200600_302600_NS6detail15normal_iteratorINSA_10device_ptrIiEEEEPS6_SG_NS0_5tupleIJSF_S6_EEENSH_IJSG_SG_EEES6_PlJNSB_9not_fun_tI7is_trueIiEEEEEE10hipError_tPvRmT3_T4_T5_T6_T7_T9_mT8_P12ihipStream_tbDpT10_ENKUlT_T0_E_clISt17integral_constantIbLb1EES18_EEDaS13_S14_EUlS13_E_NS1_11comp_targetILNS1_3genE0ELNS1_11target_archE4294967295ELNS1_3gpuE0ELNS1_3repE0EEENS1_30default_config_static_selectorELNS0_4arch9wavefront6targetE0EEEvT1_
    .private_segment_fixed_size: 0
    .sgpr_count:     0
    .sgpr_spill_count: 0
    .symbol:         _ZN7rocprim17ROCPRIM_400000_NS6detail17trampoline_kernelINS0_14default_configENS1_25partition_config_selectorILNS1_17partition_subalgoE6EiNS0_10empty_typeEbEEZZNS1_14partition_implILS5_6ELb0ES3_mN6thrust23THRUST_200600_302600_NS6detail15normal_iteratorINSA_10device_ptrIiEEEEPS6_SG_NS0_5tupleIJSF_S6_EEENSH_IJSG_SG_EEES6_PlJNSB_9not_fun_tI7is_trueIiEEEEEE10hipError_tPvRmT3_T4_T5_T6_T7_T9_mT8_P12ihipStream_tbDpT10_ENKUlT_T0_E_clISt17integral_constantIbLb1EES18_EEDaS13_S14_EUlS13_E_NS1_11comp_targetILNS1_3genE0ELNS1_11target_archE4294967295ELNS1_3gpuE0ELNS1_3repE0EEENS1_30default_config_static_selectorELNS0_4arch9wavefront6targetE0EEEvT1_.kd
    .uniform_work_group_size: 1
    .uses_dynamic_stack: false
    .vgpr_count:     0
    .vgpr_spill_count: 0
    .wavefront_size: 32
    .workgroup_processor_mode: 1
  - .args:
      - .offset:         0
        .size:           128
        .value_kind:     by_value
    .group_segment_fixed_size: 0
    .kernarg_segment_align: 8
    .kernarg_segment_size: 128
    .language:       OpenCL C
    .language_version:
      - 2
      - 0
    .max_flat_workgroup_size: 512
    .name:           _ZN7rocprim17ROCPRIM_400000_NS6detail17trampoline_kernelINS0_14default_configENS1_25partition_config_selectorILNS1_17partition_subalgoE6EiNS0_10empty_typeEbEEZZNS1_14partition_implILS5_6ELb0ES3_mN6thrust23THRUST_200600_302600_NS6detail15normal_iteratorINSA_10device_ptrIiEEEEPS6_SG_NS0_5tupleIJSF_S6_EEENSH_IJSG_SG_EEES6_PlJNSB_9not_fun_tI7is_trueIiEEEEEE10hipError_tPvRmT3_T4_T5_T6_T7_T9_mT8_P12ihipStream_tbDpT10_ENKUlT_T0_E_clISt17integral_constantIbLb1EES18_EEDaS13_S14_EUlS13_E_NS1_11comp_targetILNS1_3genE5ELNS1_11target_archE942ELNS1_3gpuE9ELNS1_3repE0EEENS1_30default_config_static_selectorELNS0_4arch9wavefront6targetE0EEEvT1_
    .private_segment_fixed_size: 0
    .sgpr_count:     0
    .sgpr_spill_count: 0
    .symbol:         _ZN7rocprim17ROCPRIM_400000_NS6detail17trampoline_kernelINS0_14default_configENS1_25partition_config_selectorILNS1_17partition_subalgoE6EiNS0_10empty_typeEbEEZZNS1_14partition_implILS5_6ELb0ES3_mN6thrust23THRUST_200600_302600_NS6detail15normal_iteratorINSA_10device_ptrIiEEEEPS6_SG_NS0_5tupleIJSF_S6_EEENSH_IJSG_SG_EEES6_PlJNSB_9not_fun_tI7is_trueIiEEEEEE10hipError_tPvRmT3_T4_T5_T6_T7_T9_mT8_P12ihipStream_tbDpT10_ENKUlT_T0_E_clISt17integral_constantIbLb1EES18_EEDaS13_S14_EUlS13_E_NS1_11comp_targetILNS1_3genE5ELNS1_11target_archE942ELNS1_3gpuE9ELNS1_3repE0EEENS1_30default_config_static_selectorELNS0_4arch9wavefront6targetE0EEEvT1_.kd
    .uniform_work_group_size: 1
    .uses_dynamic_stack: false
    .vgpr_count:     0
    .vgpr_spill_count: 0
    .wavefront_size: 32
    .workgroup_processor_mode: 1
  - .args:
      - .offset:         0
        .size:           128
        .value_kind:     by_value
    .group_segment_fixed_size: 0
    .kernarg_segment_align: 8
    .kernarg_segment_size: 128
    .language:       OpenCL C
    .language_version:
      - 2
      - 0
    .max_flat_workgroup_size: 512
    .name:           _ZN7rocprim17ROCPRIM_400000_NS6detail17trampoline_kernelINS0_14default_configENS1_25partition_config_selectorILNS1_17partition_subalgoE6EiNS0_10empty_typeEbEEZZNS1_14partition_implILS5_6ELb0ES3_mN6thrust23THRUST_200600_302600_NS6detail15normal_iteratorINSA_10device_ptrIiEEEEPS6_SG_NS0_5tupleIJSF_S6_EEENSH_IJSG_SG_EEES6_PlJNSB_9not_fun_tI7is_trueIiEEEEEE10hipError_tPvRmT3_T4_T5_T6_T7_T9_mT8_P12ihipStream_tbDpT10_ENKUlT_T0_E_clISt17integral_constantIbLb1EES18_EEDaS13_S14_EUlS13_E_NS1_11comp_targetILNS1_3genE4ELNS1_11target_archE910ELNS1_3gpuE8ELNS1_3repE0EEENS1_30default_config_static_selectorELNS0_4arch9wavefront6targetE0EEEvT1_
    .private_segment_fixed_size: 0
    .sgpr_count:     0
    .sgpr_spill_count: 0
    .symbol:         _ZN7rocprim17ROCPRIM_400000_NS6detail17trampoline_kernelINS0_14default_configENS1_25partition_config_selectorILNS1_17partition_subalgoE6EiNS0_10empty_typeEbEEZZNS1_14partition_implILS5_6ELb0ES3_mN6thrust23THRUST_200600_302600_NS6detail15normal_iteratorINSA_10device_ptrIiEEEEPS6_SG_NS0_5tupleIJSF_S6_EEENSH_IJSG_SG_EEES6_PlJNSB_9not_fun_tI7is_trueIiEEEEEE10hipError_tPvRmT3_T4_T5_T6_T7_T9_mT8_P12ihipStream_tbDpT10_ENKUlT_T0_E_clISt17integral_constantIbLb1EES18_EEDaS13_S14_EUlS13_E_NS1_11comp_targetILNS1_3genE4ELNS1_11target_archE910ELNS1_3gpuE8ELNS1_3repE0EEENS1_30default_config_static_selectorELNS0_4arch9wavefront6targetE0EEEvT1_.kd
    .uniform_work_group_size: 1
    .uses_dynamic_stack: false
    .vgpr_count:     0
    .vgpr_spill_count: 0
    .wavefront_size: 32
    .workgroup_processor_mode: 1
  - .args:
      - .offset:         0
        .size:           128
        .value_kind:     by_value
    .group_segment_fixed_size: 0
    .kernarg_segment_align: 8
    .kernarg_segment_size: 128
    .language:       OpenCL C
    .language_version:
      - 2
      - 0
    .max_flat_workgroup_size: 256
    .name:           _ZN7rocprim17ROCPRIM_400000_NS6detail17trampoline_kernelINS0_14default_configENS1_25partition_config_selectorILNS1_17partition_subalgoE6EiNS0_10empty_typeEbEEZZNS1_14partition_implILS5_6ELb0ES3_mN6thrust23THRUST_200600_302600_NS6detail15normal_iteratorINSA_10device_ptrIiEEEEPS6_SG_NS0_5tupleIJSF_S6_EEENSH_IJSG_SG_EEES6_PlJNSB_9not_fun_tI7is_trueIiEEEEEE10hipError_tPvRmT3_T4_T5_T6_T7_T9_mT8_P12ihipStream_tbDpT10_ENKUlT_T0_E_clISt17integral_constantIbLb1EES18_EEDaS13_S14_EUlS13_E_NS1_11comp_targetILNS1_3genE3ELNS1_11target_archE908ELNS1_3gpuE7ELNS1_3repE0EEENS1_30default_config_static_selectorELNS0_4arch9wavefront6targetE0EEEvT1_
    .private_segment_fixed_size: 0
    .sgpr_count:     0
    .sgpr_spill_count: 0
    .symbol:         _ZN7rocprim17ROCPRIM_400000_NS6detail17trampoline_kernelINS0_14default_configENS1_25partition_config_selectorILNS1_17partition_subalgoE6EiNS0_10empty_typeEbEEZZNS1_14partition_implILS5_6ELb0ES3_mN6thrust23THRUST_200600_302600_NS6detail15normal_iteratorINSA_10device_ptrIiEEEEPS6_SG_NS0_5tupleIJSF_S6_EEENSH_IJSG_SG_EEES6_PlJNSB_9not_fun_tI7is_trueIiEEEEEE10hipError_tPvRmT3_T4_T5_T6_T7_T9_mT8_P12ihipStream_tbDpT10_ENKUlT_T0_E_clISt17integral_constantIbLb1EES18_EEDaS13_S14_EUlS13_E_NS1_11comp_targetILNS1_3genE3ELNS1_11target_archE908ELNS1_3gpuE7ELNS1_3repE0EEENS1_30default_config_static_selectorELNS0_4arch9wavefront6targetE0EEEvT1_.kd
    .uniform_work_group_size: 1
    .uses_dynamic_stack: false
    .vgpr_count:     0
    .vgpr_spill_count: 0
    .wavefront_size: 32
    .workgroup_processor_mode: 1
  - .args:
      - .offset:         0
        .size:           128
        .value_kind:     by_value
    .group_segment_fixed_size: 0
    .kernarg_segment_align: 8
    .kernarg_segment_size: 128
    .language:       OpenCL C
    .language_version:
      - 2
      - 0
    .max_flat_workgroup_size: 192
    .name:           _ZN7rocprim17ROCPRIM_400000_NS6detail17trampoline_kernelINS0_14default_configENS1_25partition_config_selectorILNS1_17partition_subalgoE6EiNS0_10empty_typeEbEEZZNS1_14partition_implILS5_6ELb0ES3_mN6thrust23THRUST_200600_302600_NS6detail15normal_iteratorINSA_10device_ptrIiEEEEPS6_SG_NS0_5tupleIJSF_S6_EEENSH_IJSG_SG_EEES6_PlJNSB_9not_fun_tI7is_trueIiEEEEEE10hipError_tPvRmT3_T4_T5_T6_T7_T9_mT8_P12ihipStream_tbDpT10_ENKUlT_T0_E_clISt17integral_constantIbLb1EES18_EEDaS13_S14_EUlS13_E_NS1_11comp_targetILNS1_3genE2ELNS1_11target_archE906ELNS1_3gpuE6ELNS1_3repE0EEENS1_30default_config_static_selectorELNS0_4arch9wavefront6targetE0EEEvT1_
    .private_segment_fixed_size: 0
    .sgpr_count:     0
    .sgpr_spill_count: 0
    .symbol:         _ZN7rocprim17ROCPRIM_400000_NS6detail17trampoline_kernelINS0_14default_configENS1_25partition_config_selectorILNS1_17partition_subalgoE6EiNS0_10empty_typeEbEEZZNS1_14partition_implILS5_6ELb0ES3_mN6thrust23THRUST_200600_302600_NS6detail15normal_iteratorINSA_10device_ptrIiEEEEPS6_SG_NS0_5tupleIJSF_S6_EEENSH_IJSG_SG_EEES6_PlJNSB_9not_fun_tI7is_trueIiEEEEEE10hipError_tPvRmT3_T4_T5_T6_T7_T9_mT8_P12ihipStream_tbDpT10_ENKUlT_T0_E_clISt17integral_constantIbLb1EES18_EEDaS13_S14_EUlS13_E_NS1_11comp_targetILNS1_3genE2ELNS1_11target_archE906ELNS1_3gpuE6ELNS1_3repE0EEENS1_30default_config_static_selectorELNS0_4arch9wavefront6targetE0EEEvT1_.kd
    .uniform_work_group_size: 1
    .uses_dynamic_stack: false
    .vgpr_count:     0
    .vgpr_spill_count: 0
    .wavefront_size: 32
    .workgroup_processor_mode: 1
  - .args:
      - .offset:         0
        .size:           128
        .value_kind:     by_value
    .group_segment_fixed_size: 0
    .kernarg_segment_align: 8
    .kernarg_segment_size: 128
    .language:       OpenCL C
    .language_version:
      - 2
      - 0
    .max_flat_workgroup_size: 384
    .name:           _ZN7rocprim17ROCPRIM_400000_NS6detail17trampoline_kernelINS0_14default_configENS1_25partition_config_selectorILNS1_17partition_subalgoE6EiNS0_10empty_typeEbEEZZNS1_14partition_implILS5_6ELb0ES3_mN6thrust23THRUST_200600_302600_NS6detail15normal_iteratorINSA_10device_ptrIiEEEEPS6_SG_NS0_5tupleIJSF_S6_EEENSH_IJSG_SG_EEES6_PlJNSB_9not_fun_tI7is_trueIiEEEEEE10hipError_tPvRmT3_T4_T5_T6_T7_T9_mT8_P12ihipStream_tbDpT10_ENKUlT_T0_E_clISt17integral_constantIbLb1EES18_EEDaS13_S14_EUlS13_E_NS1_11comp_targetILNS1_3genE10ELNS1_11target_archE1200ELNS1_3gpuE4ELNS1_3repE0EEENS1_30default_config_static_selectorELNS0_4arch9wavefront6targetE0EEEvT1_
    .private_segment_fixed_size: 0
    .sgpr_count:     0
    .sgpr_spill_count: 0
    .symbol:         _ZN7rocprim17ROCPRIM_400000_NS6detail17trampoline_kernelINS0_14default_configENS1_25partition_config_selectorILNS1_17partition_subalgoE6EiNS0_10empty_typeEbEEZZNS1_14partition_implILS5_6ELb0ES3_mN6thrust23THRUST_200600_302600_NS6detail15normal_iteratorINSA_10device_ptrIiEEEEPS6_SG_NS0_5tupleIJSF_S6_EEENSH_IJSG_SG_EEES6_PlJNSB_9not_fun_tI7is_trueIiEEEEEE10hipError_tPvRmT3_T4_T5_T6_T7_T9_mT8_P12ihipStream_tbDpT10_ENKUlT_T0_E_clISt17integral_constantIbLb1EES18_EEDaS13_S14_EUlS13_E_NS1_11comp_targetILNS1_3genE10ELNS1_11target_archE1200ELNS1_3gpuE4ELNS1_3repE0EEENS1_30default_config_static_selectorELNS0_4arch9wavefront6targetE0EEEvT1_.kd
    .uniform_work_group_size: 1
    .uses_dynamic_stack: false
    .vgpr_count:     0
    .vgpr_spill_count: 0
    .wavefront_size: 32
    .workgroup_processor_mode: 1
  - .args:
      - .offset:         0
        .size:           128
        .value_kind:     by_value
    .group_segment_fixed_size: 0
    .kernarg_segment_align: 8
    .kernarg_segment_size: 128
    .language:       OpenCL C
    .language_version:
      - 2
      - 0
    .max_flat_workgroup_size: 128
    .name:           _ZN7rocprim17ROCPRIM_400000_NS6detail17trampoline_kernelINS0_14default_configENS1_25partition_config_selectorILNS1_17partition_subalgoE6EiNS0_10empty_typeEbEEZZNS1_14partition_implILS5_6ELb0ES3_mN6thrust23THRUST_200600_302600_NS6detail15normal_iteratorINSA_10device_ptrIiEEEEPS6_SG_NS0_5tupleIJSF_S6_EEENSH_IJSG_SG_EEES6_PlJNSB_9not_fun_tI7is_trueIiEEEEEE10hipError_tPvRmT3_T4_T5_T6_T7_T9_mT8_P12ihipStream_tbDpT10_ENKUlT_T0_E_clISt17integral_constantIbLb1EES18_EEDaS13_S14_EUlS13_E_NS1_11comp_targetILNS1_3genE9ELNS1_11target_archE1100ELNS1_3gpuE3ELNS1_3repE0EEENS1_30default_config_static_selectorELNS0_4arch9wavefront6targetE0EEEvT1_
    .private_segment_fixed_size: 0
    .sgpr_count:     0
    .sgpr_spill_count: 0
    .symbol:         _ZN7rocprim17ROCPRIM_400000_NS6detail17trampoline_kernelINS0_14default_configENS1_25partition_config_selectorILNS1_17partition_subalgoE6EiNS0_10empty_typeEbEEZZNS1_14partition_implILS5_6ELb0ES3_mN6thrust23THRUST_200600_302600_NS6detail15normal_iteratorINSA_10device_ptrIiEEEEPS6_SG_NS0_5tupleIJSF_S6_EEENSH_IJSG_SG_EEES6_PlJNSB_9not_fun_tI7is_trueIiEEEEEE10hipError_tPvRmT3_T4_T5_T6_T7_T9_mT8_P12ihipStream_tbDpT10_ENKUlT_T0_E_clISt17integral_constantIbLb1EES18_EEDaS13_S14_EUlS13_E_NS1_11comp_targetILNS1_3genE9ELNS1_11target_archE1100ELNS1_3gpuE3ELNS1_3repE0EEENS1_30default_config_static_selectorELNS0_4arch9wavefront6targetE0EEEvT1_.kd
    .uniform_work_group_size: 1
    .uses_dynamic_stack: false
    .vgpr_count:     0
    .vgpr_spill_count: 0
    .wavefront_size: 32
    .workgroup_processor_mode: 1
  - .args:
      - .offset:         0
        .size:           128
        .value_kind:     by_value
    .group_segment_fixed_size: 0
    .kernarg_segment_align: 8
    .kernarg_segment_size: 128
    .language:       OpenCL C
    .language_version:
      - 2
      - 0
    .max_flat_workgroup_size: 512
    .name:           _ZN7rocprim17ROCPRIM_400000_NS6detail17trampoline_kernelINS0_14default_configENS1_25partition_config_selectorILNS1_17partition_subalgoE6EiNS0_10empty_typeEbEEZZNS1_14partition_implILS5_6ELb0ES3_mN6thrust23THRUST_200600_302600_NS6detail15normal_iteratorINSA_10device_ptrIiEEEEPS6_SG_NS0_5tupleIJSF_S6_EEENSH_IJSG_SG_EEES6_PlJNSB_9not_fun_tI7is_trueIiEEEEEE10hipError_tPvRmT3_T4_T5_T6_T7_T9_mT8_P12ihipStream_tbDpT10_ENKUlT_T0_E_clISt17integral_constantIbLb1EES18_EEDaS13_S14_EUlS13_E_NS1_11comp_targetILNS1_3genE8ELNS1_11target_archE1030ELNS1_3gpuE2ELNS1_3repE0EEENS1_30default_config_static_selectorELNS0_4arch9wavefront6targetE0EEEvT1_
    .private_segment_fixed_size: 0
    .sgpr_count:     0
    .sgpr_spill_count: 0
    .symbol:         _ZN7rocprim17ROCPRIM_400000_NS6detail17trampoline_kernelINS0_14default_configENS1_25partition_config_selectorILNS1_17partition_subalgoE6EiNS0_10empty_typeEbEEZZNS1_14partition_implILS5_6ELb0ES3_mN6thrust23THRUST_200600_302600_NS6detail15normal_iteratorINSA_10device_ptrIiEEEEPS6_SG_NS0_5tupleIJSF_S6_EEENSH_IJSG_SG_EEES6_PlJNSB_9not_fun_tI7is_trueIiEEEEEE10hipError_tPvRmT3_T4_T5_T6_T7_T9_mT8_P12ihipStream_tbDpT10_ENKUlT_T0_E_clISt17integral_constantIbLb1EES18_EEDaS13_S14_EUlS13_E_NS1_11comp_targetILNS1_3genE8ELNS1_11target_archE1030ELNS1_3gpuE2ELNS1_3repE0EEENS1_30default_config_static_selectorELNS0_4arch9wavefront6targetE0EEEvT1_.kd
    .uniform_work_group_size: 1
    .uses_dynamic_stack: false
    .vgpr_count:     0
    .vgpr_spill_count: 0
    .wavefront_size: 32
    .workgroup_processor_mode: 1
  - .args:
      - .offset:         0
        .size:           112
        .value_kind:     by_value
    .group_segment_fixed_size: 0
    .kernarg_segment_align: 8
    .kernarg_segment_size: 112
    .language:       OpenCL C
    .language_version:
      - 2
      - 0
    .max_flat_workgroup_size: 256
    .name:           _ZN7rocprim17ROCPRIM_400000_NS6detail17trampoline_kernelINS0_14default_configENS1_25partition_config_selectorILNS1_17partition_subalgoE6EiNS0_10empty_typeEbEEZZNS1_14partition_implILS5_6ELb0ES3_mN6thrust23THRUST_200600_302600_NS6detail15normal_iteratorINSA_10device_ptrIiEEEEPS6_SG_NS0_5tupleIJSF_S6_EEENSH_IJSG_SG_EEES6_PlJNSB_9not_fun_tI7is_trueIiEEEEEE10hipError_tPvRmT3_T4_T5_T6_T7_T9_mT8_P12ihipStream_tbDpT10_ENKUlT_T0_E_clISt17integral_constantIbLb1EES17_IbLb0EEEEDaS13_S14_EUlS13_E_NS1_11comp_targetILNS1_3genE0ELNS1_11target_archE4294967295ELNS1_3gpuE0ELNS1_3repE0EEENS1_30default_config_static_selectorELNS0_4arch9wavefront6targetE0EEEvT1_
    .private_segment_fixed_size: 0
    .sgpr_count:     0
    .sgpr_spill_count: 0
    .symbol:         _ZN7rocprim17ROCPRIM_400000_NS6detail17trampoline_kernelINS0_14default_configENS1_25partition_config_selectorILNS1_17partition_subalgoE6EiNS0_10empty_typeEbEEZZNS1_14partition_implILS5_6ELb0ES3_mN6thrust23THRUST_200600_302600_NS6detail15normal_iteratorINSA_10device_ptrIiEEEEPS6_SG_NS0_5tupleIJSF_S6_EEENSH_IJSG_SG_EEES6_PlJNSB_9not_fun_tI7is_trueIiEEEEEE10hipError_tPvRmT3_T4_T5_T6_T7_T9_mT8_P12ihipStream_tbDpT10_ENKUlT_T0_E_clISt17integral_constantIbLb1EES17_IbLb0EEEEDaS13_S14_EUlS13_E_NS1_11comp_targetILNS1_3genE0ELNS1_11target_archE4294967295ELNS1_3gpuE0ELNS1_3repE0EEENS1_30default_config_static_selectorELNS0_4arch9wavefront6targetE0EEEvT1_.kd
    .uniform_work_group_size: 1
    .uses_dynamic_stack: false
    .vgpr_count:     0
    .vgpr_spill_count: 0
    .wavefront_size: 32
    .workgroup_processor_mode: 1
  - .args:
      - .offset:         0
        .size:           112
        .value_kind:     by_value
    .group_segment_fixed_size: 0
    .kernarg_segment_align: 8
    .kernarg_segment_size: 112
    .language:       OpenCL C
    .language_version:
      - 2
      - 0
    .max_flat_workgroup_size: 512
    .name:           _ZN7rocprim17ROCPRIM_400000_NS6detail17trampoline_kernelINS0_14default_configENS1_25partition_config_selectorILNS1_17partition_subalgoE6EiNS0_10empty_typeEbEEZZNS1_14partition_implILS5_6ELb0ES3_mN6thrust23THRUST_200600_302600_NS6detail15normal_iteratorINSA_10device_ptrIiEEEEPS6_SG_NS0_5tupleIJSF_S6_EEENSH_IJSG_SG_EEES6_PlJNSB_9not_fun_tI7is_trueIiEEEEEE10hipError_tPvRmT3_T4_T5_T6_T7_T9_mT8_P12ihipStream_tbDpT10_ENKUlT_T0_E_clISt17integral_constantIbLb1EES17_IbLb0EEEEDaS13_S14_EUlS13_E_NS1_11comp_targetILNS1_3genE5ELNS1_11target_archE942ELNS1_3gpuE9ELNS1_3repE0EEENS1_30default_config_static_selectorELNS0_4arch9wavefront6targetE0EEEvT1_
    .private_segment_fixed_size: 0
    .sgpr_count:     0
    .sgpr_spill_count: 0
    .symbol:         _ZN7rocprim17ROCPRIM_400000_NS6detail17trampoline_kernelINS0_14default_configENS1_25partition_config_selectorILNS1_17partition_subalgoE6EiNS0_10empty_typeEbEEZZNS1_14partition_implILS5_6ELb0ES3_mN6thrust23THRUST_200600_302600_NS6detail15normal_iteratorINSA_10device_ptrIiEEEEPS6_SG_NS0_5tupleIJSF_S6_EEENSH_IJSG_SG_EEES6_PlJNSB_9not_fun_tI7is_trueIiEEEEEE10hipError_tPvRmT3_T4_T5_T6_T7_T9_mT8_P12ihipStream_tbDpT10_ENKUlT_T0_E_clISt17integral_constantIbLb1EES17_IbLb0EEEEDaS13_S14_EUlS13_E_NS1_11comp_targetILNS1_3genE5ELNS1_11target_archE942ELNS1_3gpuE9ELNS1_3repE0EEENS1_30default_config_static_selectorELNS0_4arch9wavefront6targetE0EEEvT1_.kd
    .uniform_work_group_size: 1
    .uses_dynamic_stack: false
    .vgpr_count:     0
    .vgpr_spill_count: 0
    .wavefront_size: 32
    .workgroup_processor_mode: 1
  - .args:
      - .offset:         0
        .size:           112
        .value_kind:     by_value
    .group_segment_fixed_size: 0
    .kernarg_segment_align: 8
    .kernarg_segment_size: 112
    .language:       OpenCL C
    .language_version:
      - 2
      - 0
    .max_flat_workgroup_size: 512
    .name:           _ZN7rocprim17ROCPRIM_400000_NS6detail17trampoline_kernelINS0_14default_configENS1_25partition_config_selectorILNS1_17partition_subalgoE6EiNS0_10empty_typeEbEEZZNS1_14partition_implILS5_6ELb0ES3_mN6thrust23THRUST_200600_302600_NS6detail15normal_iteratorINSA_10device_ptrIiEEEEPS6_SG_NS0_5tupleIJSF_S6_EEENSH_IJSG_SG_EEES6_PlJNSB_9not_fun_tI7is_trueIiEEEEEE10hipError_tPvRmT3_T4_T5_T6_T7_T9_mT8_P12ihipStream_tbDpT10_ENKUlT_T0_E_clISt17integral_constantIbLb1EES17_IbLb0EEEEDaS13_S14_EUlS13_E_NS1_11comp_targetILNS1_3genE4ELNS1_11target_archE910ELNS1_3gpuE8ELNS1_3repE0EEENS1_30default_config_static_selectorELNS0_4arch9wavefront6targetE0EEEvT1_
    .private_segment_fixed_size: 0
    .sgpr_count:     0
    .sgpr_spill_count: 0
    .symbol:         _ZN7rocprim17ROCPRIM_400000_NS6detail17trampoline_kernelINS0_14default_configENS1_25partition_config_selectorILNS1_17partition_subalgoE6EiNS0_10empty_typeEbEEZZNS1_14partition_implILS5_6ELb0ES3_mN6thrust23THRUST_200600_302600_NS6detail15normal_iteratorINSA_10device_ptrIiEEEEPS6_SG_NS0_5tupleIJSF_S6_EEENSH_IJSG_SG_EEES6_PlJNSB_9not_fun_tI7is_trueIiEEEEEE10hipError_tPvRmT3_T4_T5_T6_T7_T9_mT8_P12ihipStream_tbDpT10_ENKUlT_T0_E_clISt17integral_constantIbLb1EES17_IbLb0EEEEDaS13_S14_EUlS13_E_NS1_11comp_targetILNS1_3genE4ELNS1_11target_archE910ELNS1_3gpuE8ELNS1_3repE0EEENS1_30default_config_static_selectorELNS0_4arch9wavefront6targetE0EEEvT1_.kd
    .uniform_work_group_size: 1
    .uses_dynamic_stack: false
    .vgpr_count:     0
    .vgpr_spill_count: 0
    .wavefront_size: 32
    .workgroup_processor_mode: 1
  - .args:
      - .offset:         0
        .size:           112
        .value_kind:     by_value
    .group_segment_fixed_size: 0
    .kernarg_segment_align: 8
    .kernarg_segment_size: 112
    .language:       OpenCL C
    .language_version:
      - 2
      - 0
    .max_flat_workgroup_size: 256
    .name:           _ZN7rocprim17ROCPRIM_400000_NS6detail17trampoline_kernelINS0_14default_configENS1_25partition_config_selectorILNS1_17partition_subalgoE6EiNS0_10empty_typeEbEEZZNS1_14partition_implILS5_6ELb0ES3_mN6thrust23THRUST_200600_302600_NS6detail15normal_iteratorINSA_10device_ptrIiEEEEPS6_SG_NS0_5tupleIJSF_S6_EEENSH_IJSG_SG_EEES6_PlJNSB_9not_fun_tI7is_trueIiEEEEEE10hipError_tPvRmT3_T4_T5_T6_T7_T9_mT8_P12ihipStream_tbDpT10_ENKUlT_T0_E_clISt17integral_constantIbLb1EES17_IbLb0EEEEDaS13_S14_EUlS13_E_NS1_11comp_targetILNS1_3genE3ELNS1_11target_archE908ELNS1_3gpuE7ELNS1_3repE0EEENS1_30default_config_static_selectorELNS0_4arch9wavefront6targetE0EEEvT1_
    .private_segment_fixed_size: 0
    .sgpr_count:     0
    .sgpr_spill_count: 0
    .symbol:         _ZN7rocprim17ROCPRIM_400000_NS6detail17trampoline_kernelINS0_14default_configENS1_25partition_config_selectorILNS1_17partition_subalgoE6EiNS0_10empty_typeEbEEZZNS1_14partition_implILS5_6ELb0ES3_mN6thrust23THRUST_200600_302600_NS6detail15normal_iteratorINSA_10device_ptrIiEEEEPS6_SG_NS0_5tupleIJSF_S6_EEENSH_IJSG_SG_EEES6_PlJNSB_9not_fun_tI7is_trueIiEEEEEE10hipError_tPvRmT3_T4_T5_T6_T7_T9_mT8_P12ihipStream_tbDpT10_ENKUlT_T0_E_clISt17integral_constantIbLb1EES17_IbLb0EEEEDaS13_S14_EUlS13_E_NS1_11comp_targetILNS1_3genE3ELNS1_11target_archE908ELNS1_3gpuE7ELNS1_3repE0EEENS1_30default_config_static_selectorELNS0_4arch9wavefront6targetE0EEEvT1_.kd
    .uniform_work_group_size: 1
    .uses_dynamic_stack: false
    .vgpr_count:     0
    .vgpr_spill_count: 0
    .wavefront_size: 32
    .workgroup_processor_mode: 1
  - .args:
      - .offset:         0
        .size:           112
        .value_kind:     by_value
    .group_segment_fixed_size: 0
    .kernarg_segment_align: 8
    .kernarg_segment_size: 112
    .language:       OpenCL C
    .language_version:
      - 2
      - 0
    .max_flat_workgroup_size: 192
    .name:           _ZN7rocprim17ROCPRIM_400000_NS6detail17trampoline_kernelINS0_14default_configENS1_25partition_config_selectorILNS1_17partition_subalgoE6EiNS0_10empty_typeEbEEZZNS1_14partition_implILS5_6ELb0ES3_mN6thrust23THRUST_200600_302600_NS6detail15normal_iteratorINSA_10device_ptrIiEEEEPS6_SG_NS0_5tupleIJSF_S6_EEENSH_IJSG_SG_EEES6_PlJNSB_9not_fun_tI7is_trueIiEEEEEE10hipError_tPvRmT3_T4_T5_T6_T7_T9_mT8_P12ihipStream_tbDpT10_ENKUlT_T0_E_clISt17integral_constantIbLb1EES17_IbLb0EEEEDaS13_S14_EUlS13_E_NS1_11comp_targetILNS1_3genE2ELNS1_11target_archE906ELNS1_3gpuE6ELNS1_3repE0EEENS1_30default_config_static_selectorELNS0_4arch9wavefront6targetE0EEEvT1_
    .private_segment_fixed_size: 0
    .sgpr_count:     0
    .sgpr_spill_count: 0
    .symbol:         _ZN7rocprim17ROCPRIM_400000_NS6detail17trampoline_kernelINS0_14default_configENS1_25partition_config_selectorILNS1_17partition_subalgoE6EiNS0_10empty_typeEbEEZZNS1_14partition_implILS5_6ELb0ES3_mN6thrust23THRUST_200600_302600_NS6detail15normal_iteratorINSA_10device_ptrIiEEEEPS6_SG_NS0_5tupleIJSF_S6_EEENSH_IJSG_SG_EEES6_PlJNSB_9not_fun_tI7is_trueIiEEEEEE10hipError_tPvRmT3_T4_T5_T6_T7_T9_mT8_P12ihipStream_tbDpT10_ENKUlT_T0_E_clISt17integral_constantIbLb1EES17_IbLb0EEEEDaS13_S14_EUlS13_E_NS1_11comp_targetILNS1_3genE2ELNS1_11target_archE906ELNS1_3gpuE6ELNS1_3repE0EEENS1_30default_config_static_selectorELNS0_4arch9wavefront6targetE0EEEvT1_.kd
    .uniform_work_group_size: 1
    .uses_dynamic_stack: false
    .vgpr_count:     0
    .vgpr_spill_count: 0
    .wavefront_size: 32
    .workgroup_processor_mode: 1
  - .args:
      - .offset:         0
        .size:           112
        .value_kind:     by_value
    .group_segment_fixed_size: 0
    .kernarg_segment_align: 8
    .kernarg_segment_size: 112
    .language:       OpenCL C
    .language_version:
      - 2
      - 0
    .max_flat_workgroup_size: 384
    .name:           _ZN7rocprim17ROCPRIM_400000_NS6detail17trampoline_kernelINS0_14default_configENS1_25partition_config_selectorILNS1_17partition_subalgoE6EiNS0_10empty_typeEbEEZZNS1_14partition_implILS5_6ELb0ES3_mN6thrust23THRUST_200600_302600_NS6detail15normal_iteratorINSA_10device_ptrIiEEEEPS6_SG_NS0_5tupleIJSF_S6_EEENSH_IJSG_SG_EEES6_PlJNSB_9not_fun_tI7is_trueIiEEEEEE10hipError_tPvRmT3_T4_T5_T6_T7_T9_mT8_P12ihipStream_tbDpT10_ENKUlT_T0_E_clISt17integral_constantIbLb1EES17_IbLb0EEEEDaS13_S14_EUlS13_E_NS1_11comp_targetILNS1_3genE10ELNS1_11target_archE1200ELNS1_3gpuE4ELNS1_3repE0EEENS1_30default_config_static_selectorELNS0_4arch9wavefront6targetE0EEEvT1_
    .private_segment_fixed_size: 0
    .sgpr_count:     0
    .sgpr_spill_count: 0
    .symbol:         _ZN7rocprim17ROCPRIM_400000_NS6detail17trampoline_kernelINS0_14default_configENS1_25partition_config_selectorILNS1_17partition_subalgoE6EiNS0_10empty_typeEbEEZZNS1_14partition_implILS5_6ELb0ES3_mN6thrust23THRUST_200600_302600_NS6detail15normal_iteratorINSA_10device_ptrIiEEEEPS6_SG_NS0_5tupleIJSF_S6_EEENSH_IJSG_SG_EEES6_PlJNSB_9not_fun_tI7is_trueIiEEEEEE10hipError_tPvRmT3_T4_T5_T6_T7_T9_mT8_P12ihipStream_tbDpT10_ENKUlT_T0_E_clISt17integral_constantIbLb1EES17_IbLb0EEEEDaS13_S14_EUlS13_E_NS1_11comp_targetILNS1_3genE10ELNS1_11target_archE1200ELNS1_3gpuE4ELNS1_3repE0EEENS1_30default_config_static_selectorELNS0_4arch9wavefront6targetE0EEEvT1_.kd
    .uniform_work_group_size: 1
    .uses_dynamic_stack: false
    .vgpr_count:     0
    .vgpr_spill_count: 0
    .wavefront_size: 32
    .workgroup_processor_mode: 1
  - .args:
      - .offset:         0
        .size:           112
        .value_kind:     by_value
    .group_segment_fixed_size: 0
    .kernarg_segment_align: 8
    .kernarg_segment_size: 112
    .language:       OpenCL C
    .language_version:
      - 2
      - 0
    .max_flat_workgroup_size: 128
    .name:           _ZN7rocprim17ROCPRIM_400000_NS6detail17trampoline_kernelINS0_14default_configENS1_25partition_config_selectorILNS1_17partition_subalgoE6EiNS0_10empty_typeEbEEZZNS1_14partition_implILS5_6ELb0ES3_mN6thrust23THRUST_200600_302600_NS6detail15normal_iteratorINSA_10device_ptrIiEEEEPS6_SG_NS0_5tupleIJSF_S6_EEENSH_IJSG_SG_EEES6_PlJNSB_9not_fun_tI7is_trueIiEEEEEE10hipError_tPvRmT3_T4_T5_T6_T7_T9_mT8_P12ihipStream_tbDpT10_ENKUlT_T0_E_clISt17integral_constantIbLb1EES17_IbLb0EEEEDaS13_S14_EUlS13_E_NS1_11comp_targetILNS1_3genE9ELNS1_11target_archE1100ELNS1_3gpuE3ELNS1_3repE0EEENS1_30default_config_static_selectorELNS0_4arch9wavefront6targetE0EEEvT1_
    .private_segment_fixed_size: 0
    .sgpr_count:     0
    .sgpr_spill_count: 0
    .symbol:         _ZN7rocprim17ROCPRIM_400000_NS6detail17trampoline_kernelINS0_14default_configENS1_25partition_config_selectorILNS1_17partition_subalgoE6EiNS0_10empty_typeEbEEZZNS1_14partition_implILS5_6ELb0ES3_mN6thrust23THRUST_200600_302600_NS6detail15normal_iteratorINSA_10device_ptrIiEEEEPS6_SG_NS0_5tupleIJSF_S6_EEENSH_IJSG_SG_EEES6_PlJNSB_9not_fun_tI7is_trueIiEEEEEE10hipError_tPvRmT3_T4_T5_T6_T7_T9_mT8_P12ihipStream_tbDpT10_ENKUlT_T0_E_clISt17integral_constantIbLb1EES17_IbLb0EEEEDaS13_S14_EUlS13_E_NS1_11comp_targetILNS1_3genE9ELNS1_11target_archE1100ELNS1_3gpuE3ELNS1_3repE0EEENS1_30default_config_static_selectorELNS0_4arch9wavefront6targetE0EEEvT1_.kd
    .uniform_work_group_size: 1
    .uses_dynamic_stack: false
    .vgpr_count:     0
    .vgpr_spill_count: 0
    .wavefront_size: 32
    .workgroup_processor_mode: 1
  - .args:
      - .offset:         0
        .size:           112
        .value_kind:     by_value
    .group_segment_fixed_size: 0
    .kernarg_segment_align: 8
    .kernarg_segment_size: 112
    .language:       OpenCL C
    .language_version:
      - 2
      - 0
    .max_flat_workgroup_size: 512
    .name:           _ZN7rocprim17ROCPRIM_400000_NS6detail17trampoline_kernelINS0_14default_configENS1_25partition_config_selectorILNS1_17partition_subalgoE6EiNS0_10empty_typeEbEEZZNS1_14partition_implILS5_6ELb0ES3_mN6thrust23THRUST_200600_302600_NS6detail15normal_iteratorINSA_10device_ptrIiEEEEPS6_SG_NS0_5tupleIJSF_S6_EEENSH_IJSG_SG_EEES6_PlJNSB_9not_fun_tI7is_trueIiEEEEEE10hipError_tPvRmT3_T4_T5_T6_T7_T9_mT8_P12ihipStream_tbDpT10_ENKUlT_T0_E_clISt17integral_constantIbLb1EES17_IbLb0EEEEDaS13_S14_EUlS13_E_NS1_11comp_targetILNS1_3genE8ELNS1_11target_archE1030ELNS1_3gpuE2ELNS1_3repE0EEENS1_30default_config_static_selectorELNS0_4arch9wavefront6targetE0EEEvT1_
    .private_segment_fixed_size: 0
    .sgpr_count:     0
    .sgpr_spill_count: 0
    .symbol:         _ZN7rocprim17ROCPRIM_400000_NS6detail17trampoline_kernelINS0_14default_configENS1_25partition_config_selectorILNS1_17partition_subalgoE6EiNS0_10empty_typeEbEEZZNS1_14partition_implILS5_6ELb0ES3_mN6thrust23THRUST_200600_302600_NS6detail15normal_iteratorINSA_10device_ptrIiEEEEPS6_SG_NS0_5tupleIJSF_S6_EEENSH_IJSG_SG_EEES6_PlJNSB_9not_fun_tI7is_trueIiEEEEEE10hipError_tPvRmT3_T4_T5_T6_T7_T9_mT8_P12ihipStream_tbDpT10_ENKUlT_T0_E_clISt17integral_constantIbLb1EES17_IbLb0EEEEDaS13_S14_EUlS13_E_NS1_11comp_targetILNS1_3genE8ELNS1_11target_archE1030ELNS1_3gpuE2ELNS1_3repE0EEENS1_30default_config_static_selectorELNS0_4arch9wavefront6targetE0EEEvT1_.kd
    .uniform_work_group_size: 1
    .uses_dynamic_stack: false
    .vgpr_count:     0
    .vgpr_spill_count: 0
    .wavefront_size: 32
    .workgroup_processor_mode: 1
  - .args:
      - .offset:         0
        .size:           128
        .value_kind:     by_value
    .group_segment_fixed_size: 0
    .kernarg_segment_align: 8
    .kernarg_segment_size: 128
    .language:       OpenCL C
    .language_version:
      - 2
      - 0
    .max_flat_workgroup_size: 256
    .name:           _ZN7rocprim17ROCPRIM_400000_NS6detail17trampoline_kernelINS0_14default_configENS1_25partition_config_selectorILNS1_17partition_subalgoE6EiNS0_10empty_typeEbEEZZNS1_14partition_implILS5_6ELb0ES3_mN6thrust23THRUST_200600_302600_NS6detail15normal_iteratorINSA_10device_ptrIiEEEEPS6_SG_NS0_5tupleIJSF_S6_EEENSH_IJSG_SG_EEES6_PlJNSB_9not_fun_tI7is_trueIiEEEEEE10hipError_tPvRmT3_T4_T5_T6_T7_T9_mT8_P12ihipStream_tbDpT10_ENKUlT_T0_E_clISt17integral_constantIbLb0EES17_IbLb1EEEEDaS13_S14_EUlS13_E_NS1_11comp_targetILNS1_3genE0ELNS1_11target_archE4294967295ELNS1_3gpuE0ELNS1_3repE0EEENS1_30default_config_static_selectorELNS0_4arch9wavefront6targetE0EEEvT1_
    .private_segment_fixed_size: 0
    .sgpr_count:     0
    .sgpr_spill_count: 0
    .symbol:         _ZN7rocprim17ROCPRIM_400000_NS6detail17trampoline_kernelINS0_14default_configENS1_25partition_config_selectorILNS1_17partition_subalgoE6EiNS0_10empty_typeEbEEZZNS1_14partition_implILS5_6ELb0ES3_mN6thrust23THRUST_200600_302600_NS6detail15normal_iteratorINSA_10device_ptrIiEEEEPS6_SG_NS0_5tupleIJSF_S6_EEENSH_IJSG_SG_EEES6_PlJNSB_9not_fun_tI7is_trueIiEEEEEE10hipError_tPvRmT3_T4_T5_T6_T7_T9_mT8_P12ihipStream_tbDpT10_ENKUlT_T0_E_clISt17integral_constantIbLb0EES17_IbLb1EEEEDaS13_S14_EUlS13_E_NS1_11comp_targetILNS1_3genE0ELNS1_11target_archE4294967295ELNS1_3gpuE0ELNS1_3repE0EEENS1_30default_config_static_selectorELNS0_4arch9wavefront6targetE0EEEvT1_.kd
    .uniform_work_group_size: 1
    .uses_dynamic_stack: false
    .vgpr_count:     0
    .vgpr_spill_count: 0
    .wavefront_size: 32
    .workgroup_processor_mode: 1
  - .args:
      - .offset:         0
        .size:           128
        .value_kind:     by_value
    .group_segment_fixed_size: 0
    .kernarg_segment_align: 8
    .kernarg_segment_size: 128
    .language:       OpenCL C
    .language_version:
      - 2
      - 0
    .max_flat_workgroup_size: 512
    .name:           _ZN7rocprim17ROCPRIM_400000_NS6detail17trampoline_kernelINS0_14default_configENS1_25partition_config_selectorILNS1_17partition_subalgoE6EiNS0_10empty_typeEbEEZZNS1_14partition_implILS5_6ELb0ES3_mN6thrust23THRUST_200600_302600_NS6detail15normal_iteratorINSA_10device_ptrIiEEEEPS6_SG_NS0_5tupleIJSF_S6_EEENSH_IJSG_SG_EEES6_PlJNSB_9not_fun_tI7is_trueIiEEEEEE10hipError_tPvRmT3_T4_T5_T6_T7_T9_mT8_P12ihipStream_tbDpT10_ENKUlT_T0_E_clISt17integral_constantIbLb0EES17_IbLb1EEEEDaS13_S14_EUlS13_E_NS1_11comp_targetILNS1_3genE5ELNS1_11target_archE942ELNS1_3gpuE9ELNS1_3repE0EEENS1_30default_config_static_selectorELNS0_4arch9wavefront6targetE0EEEvT1_
    .private_segment_fixed_size: 0
    .sgpr_count:     0
    .sgpr_spill_count: 0
    .symbol:         _ZN7rocprim17ROCPRIM_400000_NS6detail17trampoline_kernelINS0_14default_configENS1_25partition_config_selectorILNS1_17partition_subalgoE6EiNS0_10empty_typeEbEEZZNS1_14partition_implILS5_6ELb0ES3_mN6thrust23THRUST_200600_302600_NS6detail15normal_iteratorINSA_10device_ptrIiEEEEPS6_SG_NS0_5tupleIJSF_S6_EEENSH_IJSG_SG_EEES6_PlJNSB_9not_fun_tI7is_trueIiEEEEEE10hipError_tPvRmT3_T4_T5_T6_T7_T9_mT8_P12ihipStream_tbDpT10_ENKUlT_T0_E_clISt17integral_constantIbLb0EES17_IbLb1EEEEDaS13_S14_EUlS13_E_NS1_11comp_targetILNS1_3genE5ELNS1_11target_archE942ELNS1_3gpuE9ELNS1_3repE0EEENS1_30default_config_static_selectorELNS0_4arch9wavefront6targetE0EEEvT1_.kd
    .uniform_work_group_size: 1
    .uses_dynamic_stack: false
    .vgpr_count:     0
    .vgpr_spill_count: 0
    .wavefront_size: 32
    .workgroup_processor_mode: 1
  - .args:
      - .offset:         0
        .size:           128
        .value_kind:     by_value
    .group_segment_fixed_size: 0
    .kernarg_segment_align: 8
    .kernarg_segment_size: 128
    .language:       OpenCL C
    .language_version:
      - 2
      - 0
    .max_flat_workgroup_size: 512
    .name:           _ZN7rocprim17ROCPRIM_400000_NS6detail17trampoline_kernelINS0_14default_configENS1_25partition_config_selectorILNS1_17partition_subalgoE6EiNS0_10empty_typeEbEEZZNS1_14partition_implILS5_6ELb0ES3_mN6thrust23THRUST_200600_302600_NS6detail15normal_iteratorINSA_10device_ptrIiEEEEPS6_SG_NS0_5tupleIJSF_S6_EEENSH_IJSG_SG_EEES6_PlJNSB_9not_fun_tI7is_trueIiEEEEEE10hipError_tPvRmT3_T4_T5_T6_T7_T9_mT8_P12ihipStream_tbDpT10_ENKUlT_T0_E_clISt17integral_constantIbLb0EES17_IbLb1EEEEDaS13_S14_EUlS13_E_NS1_11comp_targetILNS1_3genE4ELNS1_11target_archE910ELNS1_3gpuE8ELNS1_3repE0EEENS1_30default_config_static_selectorELNS0_4arch9wavefront6targetE0EEEvT1_
    .private_segment_fixed_size: 0
    .sgpr_count:     0
    .sgpr_spill_count: 0
    .symbol:         _ZN7rocprim17ROCPRIM_400000_NS6detail17trampoline_kernelINS0_14default_configENS1_25partition_config_selectorILNS1_17partition_subalgoE6EiNS0_10empty_typeEbEEZZNS1_14partition_implILS5_6ELb0ES3_mN6thrust23THRUST_200600_302600_NS6detail15normal_iteratorINSA_10device_ptrIiEEEEPS6_SG_NS0_5tupleIJSF_S6_EEENSH_IJSG_SG_EEES6_PlJNSB_9not_fun_tI7is_trueIiEEEEEE10hipError_tPvRmT3_T4_T5_T6_T7_T9_mT8_P12ihipStream_tbDpT10_ENKUlT_T0_E_clISt17integral_constantIbLb0EES17_IbLb1EEEEDaS13_S14_EUlS13_E_NS1_11comp_targetILNS1_3genE4ELNS1_11target_archE910ELNS1_3gpuE8ELNS1_3repE0EEENS1_30default_config_static_selectorELNS0_4arch9wavefront6targetE0EEEvT1_.kd
    .uniform_work_group_size: 1
    .uses_dynamic_stack: false
    .vgpr_count:     0
    .vgpr_spill_count: 0
    .wavefront_size: 32
    .workgroup_processor_mode: 1
  - .args:
      - .offset:         0
        .size:           128
        .value_kind:     by_value
    .group_segment_fixed_size: 0
    .kernarg_segment_align: 8
    .kernarg_segment_size: 128
    .language:       OpenCL C
    .language_version:
      - 2
      - 0
    .max_flat_workgroup_size: 256
    .name:           _ZN7rocprim17ROCPRIM_400000_NS6detail17trampoline_kernelINS0_14default_configENS1_25partition_config_selectorILNS1_17partition_subalgoE6EiNS0_10empty_typeEbEEZZNS1_14partition_implILS5_6ELb0ES3_mN6thrust23THRUST_200600_302600_NS6detail15normal_iteratorINSA_10device_ptrIiEEEEPS6_SG_NS0_5tupleIJSF_S6_EEENSH_IJSG_SG_EEES6_PlJNSB_9not_fun_tI7is_trueIiEEEEEE10hipError_tPvRmT3_T4_T5_T6_T7_T9_mT8_P12ihipStream_tbDpT10_ENKUlT_T0_E_clISt17integral_constantIbLb0EES17_IbLb1EEEEDaS13_S14_EUlS13_E_NS1_11comp_targetILNS1_3genE3ELNS1_11target_archE908ELNS1_3gpuE7ELNS1_3repE0EEENS1_30default_config_static_selectorELNS0_4arch9wavefront6targetE0EEEvT1_
    .private_segment_fixed_size: 0
    .sgpr_count:     0
    .sgpr_spill_count: 0
    .symbol:         _ZN7rocprim17ROCPRIM_400000_NS6detail17trampoline_kernelINS0_14default_configENS1_25partition_config_selectorILNS1_17partition_subalgoE6EiNS0_10empty_typeEbEEZZNS1_14partition_implILS5_6ELb0ES3_mN6thrust23THRUST_200600_302600_NS6detail15normal_iteratorINSA_10device_ptrIiEEEEPS6_SG_NS0_5tupleIJSF_S6_EEENSH_IJSG_SG_EEES6_PlJNSB_9not_fun_tI7is_trueIiEEEEEE10hipError_tPvRmT3_T4_T5_T6_T7_T9_mT8_P12ihipStream_tbDpT10_ENKUlT_T0_E_clISt17integral_constantIbLb0EES17_IbLb1EEEEDaS13_S14_EUlS13_E_NS1_11comp_targetILNS1_3genE3ELNS1_11target_archE908ELNS1_3gpuE7ELNS1_3repE0EEENS1_30default_config_static_selectorELNS0_4arch9wavefront6targetE0EEEvT1_.kd
    .uniform_work_group_size: 1
    .uses_dynamic_stack: false
    .vgpr_count:     0
    .vgpr_spill_count: 0
    .wavefront_size: 32
    .workgroup_processor_mode: 1
  - .args:
      - .offset:         0
        .size:           128
        .value_kind:     by_value
    .group_segment_fixed_size: 0
    .kernarg_segment_align: 8
    .kernarg_segment_size: 128
    .language:       OpenCL C
    .language_version:
      - 2
      - 0
    .max_flat_workgroup_size: 192
    .name:           _ZN7rocprim17ROCPRIM_400000_NS6detail17trampoline_kernelINS0_14default_configENS1_25partition_config_selectorILNS1_17partition_subalgoE6EiNS0_10empty_typeEbEEZZNS1_14partition_implILS5_6ELb0ES3_mN6thrust23THRUST_200600_302600_NS6detail15normal_iteratorINSA_10device_ptrIiEEEEPS6_SG_NS0_5tupleIJSF_S6_EEENSH_IJSG_SG_EEES6_PlJNSB_9not_fun_tI7is_trueIiEEEEEE10hipError_tPvRmT3_T4_T5_T6_T7_T9_mT8_P12ihipStream_tbDpT10_ENKUlT_T0_E_clISt17integral_constantIbLb0EES17_IbLb1EEEEDaS13_S14_EUlS13_E_NS1_11comp_targetILNS1_3genE2ELNS1_11target_archE906ELNS1_3gpuE6ELNS1_3repE0EEENS1_30default_config_static_selectorELNS0_4arch9wavefront6targetE0EEEvT1_
    .private_segment_fixed_size: 0
    .sgpr_count:     0
    .sgpr_spill_count: 0
    .symbol:         _ZN7rocprim17ROCPRIM_400000_NS6detail17trampoline_kernelINS0_14default_configENS1_25partition_config_selectorILNS1_17partition_subalgoE6EiNS0_10empty_typeEbEEZZNS1_14partition_implILS5_6ELb0ES3_mN6thrust23THRUST_200600_302600_NS6detail15normal_iteratorINSA_10device_ptrIiEEEEPS6_SG_NS0_5tupleIJSF_S6_EEENSH_IJSG_SG_EEES6_PlJNSB_9not_fun_tI7is_trueIiEEEEEE10hipError_tPvRmT3_T4_T5_T6_T7_T9_mT8_P12ihipStream_tbDpT10_ENKUlT_T0_E_clISt17integral_constantIbLb0EES17_IbLb1EEEEDaS13_S14_EUlS13_E_NS1_11comp_targetILNS1_3genE2ELNS1_11target_archE906ELNS1_3gpuE6ELNS1_3repE0EEENS1_30default_config_static_selectorELNS0_4arch9wavefront6targetE0EEEvT1_.kd
    .uniform_work_group_size: 1
    .uses_dynamic_stack: false
    .vgpr_count:     0
    .vgpr_spill_count: 0
    .wavefront_size: 32
    .workgroup_processor_mode: 1
  - .args:
      - .offset:         0
        .size:           128
        .value_kind:     by_value
    .group_segment_fixed_size: 10768
    .kernarg_segment_align: 8
    .kernarg_segment_size: 128
    .language:       OpenCL C
    .language_version:
      - 2
      - 0
    .max_flat_workgroup_size: 384
    .name:           _ZN7rocprim17ROCPRIM_400000_NS6detail17trampoline_kernelINS0_14default_configENS1_25partition_config_selectorILNS1_17partition_subalgoE6EiNS0_10empty_typeEbEEZZNS1_14partition_implILS5_6ELb0ES3_mN6thrust23THRUST_200600_302600_NS6detail15normal_iteratorINSA_10device_ptrIiEEEEPS6_SG_NS0_5tupleIJSF_S6_EEENSH_IJSG_SG_EEES6_PlJNSB_9not_fun_tI7is_trueIiEEEEEE10hipError_tPvRmT3_T4_T5_T6_T7_T9_mT8_P12ihipStream_tbDpT10_ENKUlT_T0_E_clISt17integral_constantIbLb0EES17_IbLb1EEEEDaS13_S14_EUlS13_E_NS1_11comp_targetILNS1_3genE10ELNS1_11target_archE1200ELNS1_3gpuE4ELNS1_3repE0EEENS1_30default_config_static_selectorELNS0_4arch9wavefront6targetE0EEEvT1_
    .private_segment_fixed_size: 0
    .sgpr_count:     22
    .sgpr_spill_count: 0
    .symbol:         _ZN7rocprim17ROCPRIM_400000_NS6detail17trampoline_kernelINS0_14default_configENS1_25partition_config_selectorILNS1_17partition_subalgoE6EiNS0_10empty_typeEbEEZZNS1_14partition_implILS5_6ELb0ES3_mN6thrust23THRUST_200600_302600_NS6detail15normal_iteratorINSA_10device_ptrIiEEEEPS6_SG_NS0_5tupleIJSF_S6_EEENSH_IJSG_SG_EEES6_PlJNSB_9not_fun_tI7is_trueIiEEEEEE10hipError_tPvRmT3_T4_T5_T6_T7_T9_mT8_P12ihipStream_tbDpT10_ENKUlT_T0_E_clISt17integral_constantIbLb0EES17_IbLb1EEEEDaS13_S14_EUlS13_E_NS1_11comp_targetILNS1_3genE10ELNS1_11target_archE1200ELNS1_3gpuE4ELNS1_3repE0EEENS1_30default_config_static_selectorELNS0_4arch9wavefront6targetE0EEEvT1_.kd
    .uniform_work_group_size: 1
    .uses_dynamic_stack: false
    .vgpr_count:     51
    .vgpr_spill_count: 0
    .wavefront_size: 32
    .workgroup_processor_mode: 1
  - .args:
      - .offset:         0
        .size:           128
        .value_kind:     by_value
    .group_segment_fixed_size: 0
    .kernarg_segment_align: 8
    .kernarg_segment_size: 128
    .language:       OpenCL C
    .language_version:
      - 2
      - 0
    .max_flat_workgroup_size: 128
    .name:           _ZN7rocprim17ROCPRIM_400000_NS6detail17trampoline_kernelINS0_14default_configENS1_25partition_config_selectorILNS1_17partition_subalgoE6EiNS0_10empty_typeEbEEZZNS1_14partition_implILS5_6ELb0ES3_mN6thrust23THRUST_200600_302600_NS6detail15normal_iteratorINSA_10device_ptrIiEEEEPS6_SG_NS0_5tupleIJSF_S6_EEENSH_IJSG_SG_EEES6_PlJNSB_9not_fun_tI7is_trueIiEEEEEE10hipError_tPvRmT3_T4_T5_T6_T7_T9_mT8_P12ihipStream_tbDpT10_ENKUlT_T0_E_clISt17integral_constantIbLb0EES17_IbLb1EEEEDaS13_S14_EUlS13_E_NS1_11comp_targetILNS1_3genE9ELNS1_11target_archE1100ELNS1_3gpuE3ELNS1_3repE0EEENS1_30default_config_static_selectorELNS0_4arch9wavefront6targetE0EEEvT1_
    .private_segment_fixed_size: 0
    .sgpr_count:     0
    .sgpr_spill_count: 0
    .symbol:         _ZN7rocprim17ROCPRIM_400000_NS6detail17trampoline_kernelINS0_14default_configENS1_25partition_config_selectorILNS1_17partition_subalgoE6EiNS0_10empty_typeEbEEZZNS1_14partition_implILS5_6ELb0ES3_mN6thrust23THRUST_200600_302600_NS6detail15normal_iteratorINSA_10device_ptrIiEEEEPS6_SG_NS0_5tupleIJSF_S6_EEENSH_IJSG_SG_EEES6_PlJNSB_9not_fun_tI7is_trueIiEEEEEE10hipError_tPvRmT3_T4_T5_T6_T7_T9_mT8_P12ihipStream_tbDpT10_ENKUlT_T0_E_clISt17integral_constantIbLb0EES17_IbLb1EEEEDaS13_S14_EUlS13_E_NS1_11comp_targetILNS1_3genE9ELNS1_11target_archE1100ELNS1_3gpuE3ELNS1_3repE0EEENS1_30default_config_static_selectorELNS0_4arch9wavefront6targetE0EEEvT1_.kd
    .uniform_work_group_size: 1
    .uses_dynamic_stack: false
    .vgpr_count:     0
    .vgpr_spill_count: 0
    .wavefront_size: 32
    .workgroup_processor_mode: 1
  - .args:
      - .offset:         0
        .size:           128
        .value_kind:     by_value
    .group_segment_fixed_size: 0
    .kernarg_segment_align: 8
    .kernarg_segment_size: 128
    .language:       OpenCL C
    .language_version:
      - 2
      - 0
    .max_flat_workgroup_size: 512
    .name:           _ZN7rocprim17ROCPRIM_400000_NS6detail17trampoline_kernelINS0_14default_configENS1_25partition_config_selectorILNS1_17partition_subalgoE6EiNS0_10empty_typeEbEEZZNS1_14partition_implILS5_6ELb0ES3_mN6thrust23THRUST_200600_302600_NS6detail15normal_iteratorINSA_10device_ptrIiEEEEPS6_SG_NS0_5tupleIJSF_S6_EEENSH_IJSG_SG_EEES6_PlJNSB_9not_fun_tI7is_trueIiEEEEEE10hipError_tPvRmT3_T4_T5_T6_T7_T9_mT8_P12ihipStream_tbDpT10_ENKUlT_T0_E_clISt17integral_constantIbLb0EES17_IbLb1EEEEDaS13_S14_EUlS13_E_NS1_11comp_targetILNS1_3genE8ELNS1_11target_archE1030ELNS1_3gpuE2ELNS1_3repE0EEENS1_30default_config_static_selectorELNS0_4arch9wavefront6targetE0EEEvT1_
    .private_segment_fixed_size: 0
    .sgpr_count:     0
    .sgpr_spill_count: 0
    .symbol:         _ZN7rocprim17ROCPRIM_400000_NS6detail17trampoline_kernelINS0_14default_configENS1_25partition_config_selectorILNS1_17partition_subalgoE6EiNS0_10empty_typeEbEEZZNS1_14partition_implILS5_6ELb0ES3_mN6thrust23THRUST_200600_302600_NS6detail15normal_iteratorINSA_10device_ptrIiEEEEPS6_SG_NS0_5tupleIJSF_S6_EEENSH_IJSG_SG_EEES6_PlJNSB_9not_fun_tI7is_trueIiEEEEEE10hipError_tPvRmT3_T4_T5_T6_T7_T9_mT8_P12ihipStream_tbDpT10_ENKUlT_T0_E_clISt17integral_constantIbLb0EES17_IbLb1EEEEDaS13_S14_EUlS13_E_NS1_11comp_targetILNS1_3genE8ELNS1_11target_archE1030ELNS1_3gpuE2ELNS1_3repE0EEENS1_30default_config_static_selectorELNS0_4arch9wavefront6targetE0EEEvT1_.kd
    .uniform_work_group_size: 1
    .uses_dynamic_stack: false
    .vgpr_count:     0
    .vgpr_spill_count: 0
    .wavefront_size: 32
    .workgroup_processor_mode: 1
  - .args:
      - .offset:         0
        .size:           112
        .value_kind:     by_value
    .group_segment_fixed_size: 0
    .kernarg_segment_align: 8
    .kernarg_segment_size: 112
    .language:       OpenCL C
    .language_version:
      - 2
      - 0
    .max_flat_workgroup_size: 256
    .name:           _ZN7rocprim17ROCPRIM_400000_NS6detail17trampoline_kernelINS0_14default_configENS1_25partition_config_selectorILNS1_17partition_subalgoE6EsNS0_10empty_typeEbEEZZNS1_14partition_implILS5_6ELb0ES3_mN6thrust23THRUST_200600_302600_NS6detail15normal_iteratorINSA_10device_ptrIsEEEEPS6_SG_NS0_5tupleIJSF_S6_EEENSH_IJSG_SG_EEES6_PlJNSB_9not_fun_tI7is_trueIsEEEEEE10hipError_tPvRmT3_T4_T5_T6_T7_T9_mT8_P12ihipStream_tbDpT10_ENKUlT_T0_E_clISt17integral_constantIbLb0EES18_EEDaS13_S14_EUlS13_E_NS1_11comp_targetILNS1_3genE0ELNS1_11target_archE4294967295ELNS1_3gpuE0ELNS1_3repE0EEENS1_30default_config_static_selectorELNS0_4arch9wavefront6targetE0EEEvT1_
    .private_segment_fixed_size: 0
    .sgpr_count:     0
    .sgpr_spill_count: 0
    .symbol:         _ZN7rocprim17ROCPRIM_400000_NS6detail17trampoline_kernelINS0_14default_configENS1_25partition_config_selectorILNS1_17partition_subalgoE6EsNS0_10empty_typeEbEEZZNS1_14partition_implILS5_6ELb0ES3_mN6thrust23THRUST_200600_302600_NS6detail15normal_iteratorINSA_10device_ptrIsEEEEPS6_SG_NS0_5tupleIJSF_S6_EEENSH_IJSG_SG_EEES6_PlJNSB_9not_fun_tI7is_trueIsEEEEEE10hipError_tPvRmT3_T4_T5_T6_T7_T9_mT8_P12ihipStream_tbDpT10_ENKUlT_T0_E_clISt17integral_constantIbLb0EES18_EEDaS13_S14_EUlS13_E_NS1_11comp_targetILNS1_3genE0ELNS1_11target_archE4294967295ELNS1_3gpuE0ELNS1_3repE0EEENS1_30default_config_static_selectorELNS0_4arch9wavefront6targetE0EEEvT1_.kd
    .uniform_work_group_size: 1
    .uses_dynamic_stack: false
    .vgpr_count:     0
    .vgpr_spill_count: 0
    .wavefront_size: 32
    .workgroup_processor_mode: 1
  - .args:
      - .offset:         0
        .size:           112
        .value_kind:     by_value
    .group_segment_fixed_size: 0
    .kernarg_segment_align: 8
    .kernarg_segment_size: 112
    .language:       OpenCL C
    .language_version:
      - 2
      - 0
    .max_flat_workgroup_size: 512
    .name:           _ZN7rocprim17ROCPRIM_400000_NS6detail17trampoline_kernelINS0_14default_configENS1_25partition_config_selectorILNS1_17partition_subalgoE6EsNS0_10empty_typeEbEEZZNS1_14partition_implILS5_6ELb0ES3_mN6thrust23THRUST_200600_302600_NS6detail15normal_iteratorINSA_10device_ptrIsEEEEPS6_SG_NS0_5tupleIJSF_S6_EEENSH_IJSG_SG_EEES6_PlJNSB_9not_fun_tI7is_trueIsEEEEEE10hipError_tPvRmT3_T4_T5_T6_T7_T9_mT8_P12ihipStream_tbDpT10_ENKUlT_T0_E_clISt17integral_constantIbLb0EES18_EEDaS13_S14_EUlS13_E_NS1_11comp_targetILNS1_3genE5ELNS1_11target_archE942ELNS1_3gpuE9ELNS1_3repE0EEENS1_30default_config_static_selectorELNS0_4arch9wavefront6targetE0EEEvT1_
    .private_segment_fixed_size: 0
    .sgpr_count:     0
    .sgpr_spill_count: 0
    .symbol:         _ZN7rocprim17ROCPRIM_400000_NS6detail17trampoline_kernelINS0_14default_configENS1_25partition_config_selectorILNS1_17partition_subalgoE6EsNS0_10empty_typeEbEEZZNS1_14partition_implILS5_6ELb0ES3_mN6thrust23THRUST_200600_302600_NS6detail15normal_iteratorINSA_10device_ptrIsEEEEPS6_SG_NS0_5tupleIJSF_S6_EEENSH_IJSG_SG_EEES6_PlJNSB_9not_fun_tI7is_trueIsEEEEEE10hipError_tPvRmT3_T4_T5_T6_T7_T9_mT8_P12ihipStream_tbDpT10_ENKUlT_T0_E_clISt17integral_constantIbLb0EES18_EEDaS13_S14_EUlS13_E_NS1_11comp_targetILNS1_3genE5ELNS1_11target_archE942ELNS1_3gpuE9ELNS1_3repE0EEENS1_30default_config_static_selectorELNS0_4arch9wavefront6targetE0EEEvT1_.kd
    .uniform_work_group_size: 1
    .uses_dynamic_stack: false
    .vgpr_count:     0
    .vgpr_spill_count: 0
    .wavefront_size: 32
    .workgroup_processor_mode: 1
  - .args:
      - .offset:         0
        .size:           112
        .value_kind:     by_value
    .group_segment_fixed_size: 0
    .kernarg_segment_align: 8
    .kernarg_segment_size: 112
    .language:       OpenCL C
    .language_version:
      - 2
      - 0
    .max_flat_workgroup_size: 256
    .name:           _ZN7rocprim17ROCPRIM_400000_NS6detail17trampoline_kernelINS0_14default_configENS1_25partition_config_selectorILNS1_17partition_subalgoE6EsNS0_10empty_typeEbEEZZNS1_14partition_implILS5_6ELb0ES3_mN6thrust23THRUST_200600_302600_NS6detail15normal_iteratorINSA_10device_ptrIsEEEEPS6_SG_NS0_5tupleIJSF_S6_EEENSH_IJSG_SG_EEES6_PlJNSB_9not_fun_tI7is_trueIsEEEEEE10hipError_tPvRmT3_T4_T5_T6_T7_T9_mT8_P12ihipStream_tbDpT10_ENKUlT_T0_E_clISt17integral_constantIbLb0EES18_EEDaS13_S14_EUlS13_E_NS1_11comp_targetILNS1_3genE4ELNS1_11target_archE910ELNS1_3gpuE8ELNS1_3repE0EEENS1_30default_config_static_selectorELNS0_4arch9wavefront6targetE0EEEvT1_
    .private_segment_fixed_size: 0
    .sgpr_count:     0
    .sgpr_spill_count: 0
    .symbol:         _ZN7rocprim17ROCPRIM_400000_NS6detail17trampoline_kernelINS0_14default_configENS1_25partition_config_selectorILNS1_17partition_subalgoE6EsNS0_10empty_typeEbEEZZNS1_14partition_implILS5_6ELb0ES3_mN6thrust23THRUST_200600_302600_NS6detail15normal_iteratorINSA_10device_ptrIsEEEEPS6_SG_NS0_5tupleIJSF_S6_EEENSH_IJSG_SG_EEES6_PlJNSB_9not_fun_tI7is_trueIsEEEEEE10hipError_tPvRmT3_T4_T5_T6_T7_T9_mT8_P12ihipStream_tbDpT10_ENKUlT_T0_E_clISt17integral_constantIbLb0EES18_EEDaS13_S14_EUlS13_E_NS1_11comp_targetILNS1_3genE4ELNS1_11target_archE910ELNS1_3gpuE8ELNS1_3repE0EEENS1_30default_config_static_selectorELNS0_4arch9wavefront6targetE0EEEvT1_.kd
    .uniform_work_group_size: 1
    .uses_dynamic_stack: false
    .vgpr_count:     0
    .vgpr_spill_count: 0
    .wavefront_size: 32
    .workgroup_processor_mode: 1
  - .args:
      - .offset:         0
        .size:           112
        .value_kind:     by_value
    .group_segment_fixed_size: 0
    .kernarg_segment_align: 8
    .kernarg_segment_size: 112
    .language:       OpenCL C
    .language_version:
      - 2
      - 0
    .max_flat_workgroup_size: 256
    .name:           _ZN7rocprim17ROCPRIM_400000_NS6detail17trampoline_kernelINS0_14default_configENS1_25partition_config_selectorILNS1_17partition_subalgoE6EsNS0_10empty_typeEbEEZZNS1_14partition_implILS5_6ELb0ES3_mN6thrust23THRUST_200600_302600_NS6detail15normal_iteratorINSA_10device_ptrIsEEEEPS6_SG_NS0_5tupleIJSF_S6_EEENSH_IJSG_SG_EEES6_PlJNSB_9not_fun_tI7is_trueIsEEEEEE10hipError_tPvRmT3_T4_T5_T6_T7_T9_mT8_P12ihipStream_tbDpT10_ENKUlT_T0_E_clISt17integral_constantIbLb0EES18_EEDaS13_S14_EUlS13_E_NS1_11comp_targetILNS1_3genE3ELNS1_11target_archE908ELNS1_3gpuE7ELNS1_3repE0EEENS1_30default_config_static_selectorELNS0_4arch9wavefront6targetE0EEEvT1_
    .private_segment_fixed_size: 0
    .sgpr_count:     0
    .sgpr_spill_count: 0
    .symbol:         _ZN7rocprim17ROCPRIM_400000_NS6detail17trampoline_kernelINS0_14default_configENS1_25partition_config_selectorILNS1_17partition_subalgoE6EsNS0_10empty_typeEbEEZZNS1_14partition_implILS5_6ELb0ES3_mN6thrust23THRUST_200600_302600_NS6detail15normal_iteratorINSA_10device_ptrIsEEEEPS6_SG_NS0_5tupleIJSF_S6_EEENSH_IJSG_SG_EEES6_PlJNSB_9not_fun_tI7is_trueIsEEEEEE10hipError_tPvRmT3_T4_T5_T6_T7_T9_mT8_P12ihipStream_tbDpT10_ENKUlT_T0_E_clISt17integral_constantIbLb0EES18_EEDaS13_S14_EUlS13_E_NS1_11comp_targetILNS1_3genE3ELNS1_11target_archE908ELNS1_3gpuE7ELNS1_3repE0EEENS1_30default_config_static_selectorELNS0_4arch9wavefront6targetE0EEEvT1_.kd
    .uniform_work_group_size: 1
    .uses_dynamic_stack: false
    .vgpr_count:     0
    .vgpr_spill_count: 0
    .wavefront_size: 32
    .workgroup_processor_mode: 1
  - .args:
      - .offset:         0
        .size:           112
        .value_kind:     by_value
    .group_segment_fixed_size: 0
    .kernarg_segment_align: 8
    .kernarg_segment_size: 112
    .language:       OpenCL C
    .language_version:
      - 2
      - 0
    .max_flat_workgroup_size: 256
    .name:           _ZN7rocprim17ROCPRIM_400000_NS6detail17trampoline_kernelINS0_14default_configENS1_25partition_config_selectorILNS1_17partition_subalgoE6EsNS0_10empty_typeEbEEZZNS1_14partition_implILS5_6ELb0ES3_mN6thrust23THRUST_200600_302600_NS6detail15normal_iteratorINSA_10device_ptrIsEEEEPS6_SG_NS0_5tupleIJSF_S6_EEENSH_IJSG_SG_EEES6_PlJNSB_9not_fun_tI7is_trueIsEEEEEE10hipError_tPvRmT3_T4_T5_T6_T7_T9_mT8_P12ihipStream_tbDpT10_ENKUlT_T0_E_clISt17integral_constantIbLb0EES18_EEDaS13_S14_EUlS13_E_NS1_11comp_targetILNS1_3genE2ELNS1_11target_archE906ELNS1_3gpuE6ELNS1_3repE0EEENS1_30default_config_static_selectorELNS0_4arch9wavefront6targetE0EEEvT1_
    .private_segment_fixed_size: 0
    .sgpr_count:     0
    .sgpr_spill_count: 0
    .symbol:         _ZN7rocprim17ROCPRIM_400000_NS6detail17trampoline_kernelINS0_14default_configENS1_25partition_config_selectorILNS1_17partition_subalgoE6EsNS0_10empty_typeEbEEZZNS1_14partition_implILS5_6ELb0ES3_mN6thrust23THRUST_200600_302600_NS6detail15normal_iteratorINSA_10device_ptrIsEEEEPS6_SG_NS0_5tupleIJSF_S6_EEENSH_IJSG_SG_EEES6_PlJNSB_9not_fun_tI7is_trueIsEEEEEE10hipError_tPvRmT3_T4_T5_T6_T7_T9_mT8_P12ihipStream_tbDpT10_ENKUlT_T0_E_clISt17integral_constantIbLb0EES18_EEDaS13_S14_EUlS13_E_NS1_11comp_targetILNS1_3genE2ELNS1_11target_archE906ELNS1_3gpuE6ELNS1_3repE0EEENS1_30default_config_static_selectorELNS0_4arch9wavefront6targetE0EEEvT1_.kd
    .uniform_work_group_size: 1
    .uses_dynamic_stack: false
    .vgpr_count:     0
    .vgpr_spill_count: 0
    .wavefront_size: 32
    .workgroup_processor_mode: 1
  - .args:
      - .offset:         0
        .size:           112
        .value_kind:     by_value
    .group_segment_fixed_size: 13840
    .kernarg_segment_align: 8
    .kernarg_segment_size: 112
    .language:       OpenCL C
    .language_version:
      - 2
      - 0
    .max_flat_workgroup_size: 384
    .name:           _ZN7rocprim17ROCPRIM_400000_NS6detail17trampoline_kernelINS0_14default_configENS1_25partition_config_selectorILNS1_17partition_subalgoE6EsNS0_10empty_typeEbEEZZNS1_14partition_implILS5_6ELb0ES3_mN6thrust23THRUST_200600_302600_NS6detail15normal_iteratorINSA_10device_ptrIsEEEEPS6_SG_NS0_5tupleIJSF_S6_EEENSH_IJSG_SG_EEES6_PlJNSB_9not_fun_tI7is_trueIsEEEEEE10hipError_tPvRmT3_T4_T5_T6_T7_T9_mT8_P12ihipStream_tbDpT10_ENKUlT_T0_E_clISt17integral_constantIbLb0EES18_EEDaS13_S14_EUlS13_E_NS1_11comp_targetILNS1_3genE10ELNS1_11target_archE1200ELNS1_3gpuE4ELNS1_3repE0EEENS1_30default_config_static_selectorELNS0_4arch9wavefront6targetE0EEEvT1_
    .private_segment_fixed_size: 0
    .sgpr_count:     29
    .sgpr_spill_count: 0
    .symbol:         _ZN7rocprim17ROCPRIM_400000_NS6detail17trampoline_kernelINS0_14default_configENS1_25partition_config_selectorILNS1_17partition_subalgoE6EsNS0_10empty_typeEbEEZZNS1_14partition_implILS5_6ELb0ES3_mN6thrust23THRUST_200600_302600_NS6detail15normal_iteratorINSA_10device_ptrIsEEEEPS6_SG_NS0_5tupleIJSF_S6_EEENSH_IJSG_SG_EEES6_PlJNSB_9not_fun_tI7is_trueIsEEEEEE10hipError_tPvRmT3_T4_T5_T6_T7_T9_mT8_P12ihipStream_tbDpT10_ENKUlT_T0_E_clISt17integral_constantIbLb0EES18_EEDaS13_S14_EUlS13_E_NS1_11comp_targetILNS1_3genE10ELNS1_11target_archE1200ELNS1_3gpuE4ELNS1_3repE0EEENS1_30default_config_static_selectorELNS0_4arch9wavefront6targetE0EEEvT1_.kd
    .uniform_work_group_size: 1
    .uses_dynamic_stack: false
    .vgpr_count:     72
    .vgpr_spill_count: 0
    .wavefront_size: 32
    .workgroup_processor_mode: 1
  - .args:
      - .offset:         0
        .size:           112
        .value_kind:     by_value
    .group_segment_fixed_size: 0
    .kernarg_segment_align: 8
    .kernarg_segment_size: 112
    .language:       OpenCL C
    .language_version:
      - 2
      - 0
    .max_flat_workgroup_size: 128
    .name:           _ZN7rocprim17ROCPRIM_400000_NS6detail17trampoline_kernelINS0_14default_configENS1_25partition_config_selectorILNS1_17partition_subalgoE6EsNS0_10empty_typeEbEEZZNS1_14partition_implILS5_6ELb0ES3_mN6thrust23THRUST_200600_302600_NS6detail15normal_iteratorINSA_10device_ptrIsEEEEPS6_SG_NS0_5tupleIJSF_S6_EEENSH_IJSG_SG_EEES6_PlJNSB_9not_fun_tI7is_trueIsEEEEEE10hipError_tPvRmT3_T4_T5_T6_T7_T9_mT8_P12ihipStream_tbDpT10_ENKUlT_T0_E_clISt17integral_constantIbLb0EES18_EEDaS13_S14_EUlS13_E_NS1_11comp_targetILNS1_3genE9ELNS1_11target_archE1100ELNS1_3gpuE3ELNS1_3repE0EEENS1_30default_config_static_selectorELNS0_4arch9wavefront6targetE0EEEvT1_
    .private_segment_fixed_size: 0
    .sgpr_count:     0
    .sgpr_spill_count: 0
    .symbol:         _ZN7rocprim17ROCPRIM_400000_NS6detail17trampoline_kernelINS0_14default_configENS1_25partition_config_selectorILNS1_17partition_subalgoE6EsNS0_10empty_typeEbEEZZNS1_14partition_implILS5_6ELb0ES3_mN6thrust23THRUST_200600_302600_NS6detail15normal_iteratorINSA_10device_ptrIsEEEEPS6_SG_NS0_5tupleIJSF_S6_EEENSH_IJSG_SG_EEES6_PlJNSB_9not_fun_tI7is_trueIsEEEEEE10hipError_tPvRmT3_T4_T5_T6_T7_T9_mT8_P12ihipStream_tbDpT10_ENKUlT_T0_E_clISt17integral_constantIbLb0EES18_EEDaS13_S14_EUlS13_E_NS1_11comp_targetILNS1_3genE9ELNS1_11target_archE1100ELNS1_3gpuE3ELNS1_3repE0EEENS1_30default_config_static_selectorELNS0_4arch9wavefront6targetE0EEEvT1_.kd
    .uniform_work_group_size: 1
    .uses_dynamic_stack: false
    .vgpr_count:     0
    .vgpr_spill_count: 0
    .wavefront_size: 32
    .workgroup_processor_mode: 1
  - .args:
      - .offset:         0
        .size:           112
        .value_kind:     by_value
    .group_segment_fixed_size: 0
    .kernarg_segment_align: 8
    .kernarg_segment_size: 112
    .language:       OpenCL C
    .language_version:
      - 2
      - 0
    .max_flat_workgroup_size: 256
    .name:           _ZN7rocprim17ROCPRIM_400000_NS6detail17trampoline_kernelINS0_14default_configENS1_25partition_config_selectorILNS1_17partition_subalgoE6EsNS0_10empty_typeEbEEZZNS1_14partition_implILS5_6ELb0ES3_mN6thrust23THRUST_200600_302600_NS6detail15normal_iteratorINSA_10device_ptrIsEEEEPS6_SG_NS0_5tupleIJSF_S6_EEENSH_IJSG_SG_EEES6_PlJNSB_9not_fun_tI7is_trueIsEEEEEE10hipError_tPvRmT3_T4_T5_T6_T7_T9_mT8_P12ihipStream_tbDpT10_ENKUlT_T0_E_clISt17integral_constantIbLb0EES18_EEDaS13_S14_EUlS13_E_NS1_11comp_targetILNS1_3genE8ELNS1_11target_archE1030ELNS1_3gpuE2ELNS1_3repE0EEENS1_30default_config_static_selectorELNS0_4arch9wavefront6targetE0EEEvT1_
    .private_segment_fixed_size: 0
    .sgpr_count:     0
    .sgpr_spill_count: 0
    .symbol:         _ZN7rocprim17ROCPRIM_400000_NS6detail17trampoline_kernelINS0_14default_configENS1_25partition_config_selectorILNS1_17partition_subalgoE6EsNS0_10empty_typeEbEEZZNS1_14partition_implILS5_6ELb0ES3_mN6thrust23THRUST_200600_302600_NS6detail15normal_iteratorINSA_10device_ptrIsEEEEPS6_SG_NS0_5tupleIJSF_S6_EEENSH_IJSG_SG_EEES6_PlJNSB_9not_fun_tI7is_trueIsEEEEEE10hipError_tPvRmT3_T4_T5_T6_T7_T9_mT8_P12ihipStream_tbDpT10_ENKUlT_T0_E_clISt17integral_constantIbLb0EES18_EEDaS13_S14_EUlS13_E_NS1_11comp_targetILNS1_3genE8ELNS1_11target_archE1030ELNS1_3gpuE2ELNS1_3repE0EEENS1_30default_config_static_selectorELNS0_4arch9wavefront6targetE0EEEvT1_.kd
    .uniform_work_group_size: 1
    .uses_dynamic_stack: false
    .vgpr_count:     0
    .vgpr_spill_count: 0
    .wavefront_size: 32
    .workgroup_processor_mode: 1
  - .args:
      - .offset:         0
        .size:           128
        .value_kind:     by_value
    .group_segment_fixed_size: 0
    .kernarg_segment_align: 8
    .kernarg_segment_size: 128
    .language:       OpenCL C
    .language_version:
      - 2
      - 0
    .max_flat_workgroup_size: 256
    .name:           _ZN7rocprim17ROCPRIM_400000_NS6detail17trampoline_kernelINS0_14default_configENS1_25partition_config_selectorILNS1_17partition_subalgoE6EsNS0_10empty_typeEbEEZZNS1_14partition_implILS5_6ELb0ES3_mN6thrust23THRUST_200600_302600_NS6detail15normal_iteratorINSA_10device_ptrIsEEEEPS6_SG_NS0_5tupleIJSF_S6_EEENSH_IJSG_SG_EEES6_PlJNSB_9not_fun_tI7is_trueIsEEEEEE10hipError_tPvRmT3_T4_T5_T6_T7_T9_mT8_P12ihipStream_tbDpT10_ENKUlT_T0_E_clISt17integral_constantIbLb1EES18_EEDaS13_S14_EUlS13_E_NS1_11comp_targetILNS1_3genE0ELNS1_11target_archE4294967295ELNS1_3gpuE0ELNS1_3repE0EEENS1_30default_config_static_selectorELNS0_4arch9wavefront6targetE0EEEvT1_
    .private_segment_fixed_size: 0
    .sgpr_count:     0
    .sgpr_spill_count: 0
    .symbol:         _ZN7rocprim17ROCPRIM_400000_NS6detail17trampoline_kernelINS0_14default_configENS1_25partition_config_selectorILNS1_17partition_subalgoE6EsNS0_10empty_typeEbEEZZNS1_14partition_implILS5_6ELb0ES3_mN6thrust23THRUST_200600_302600_NS6detail15normal_iteratorINSA_10device_ptrIsEEEEPS6_SG_NS0_5tupleIJSF_S6_EEENSH_IJSG_SG_EEES6_PlJNSB_9not_fun_tI7is_trueIsEEEEEE10hipError_tPvRmT3_T4_T5_T6_T7_T9_mT8_P12ihipStream_tbDpT10_ENKUlT_T0_E_clISt17integral_constantIbLb1EES18_EEDaS13_S14_EUlS13_E_NS1_11comp_targetILNS1_3genE0ELNS1_11target_archE4294967295ELNS1_3gpuE0ELNS1_3repE0EEENS1_30default_config_static_selectorELNS0_4arch9wavefront6targetE0EEEvT1_.kd
    .uniform_work_group_size: 1
    .uses_dynamic_stack: false
    .vgpr_count:     0
    .vgpr_spill_count: 0
    .wavefront_size: 32
    .workgroup_processor_mode: 1
  - .args:
      - .offset:         0
        .size:           128
        .value_kind:     by_value
    .group_segment_fixed_size: 0
    .kernarg_segment_align: 8
    .kernarg_segment_size: 128
    .language:       OpenCL C
    .language_version:
      - 2
      - 0
    .max_flat_workgroup_size: 512
    .name:           _ZN7rocprim17ROCPRIM_400000_NS6detail17trampoline_kernelINS0_14default_configENS1_25partition_config_selectorILNS1_17partition_subalgoE6EsNS0_10empty_typeEbEEZZNS1_14partition_implILS5_6ELb0ES3_mN6thrust23THRUST_200600_302600_NS6detail15normal_iteratorINSA_10device_ptrIsEEEEPS6_SG_NS0_5tupleIJSF_S6_EEENSH_IJSG_SG_EEES6_PlJNSB_9not_fun_tI7is_trueIsEEEEEE10hipError_tPvRmT3_T4_T5_T6_T7_T9_mT8_P12ihipStream_tbDpT10_ENKUlT_T0_E_clISt17integral_constantIbLb1EES18_EEDaS13_S14_EUlS13_E_NS1_11comp_targetILNS1_3genE5ELNS1_11target_archE942ELNS1_3gpuE9ELNS1_3repE0EEENS1_30default_config_static_selectorELNS0_4arch9wavefront6targetE0EEEvT1_
    .private_segment_fixed_size: 0
    .sgpr_count:     0
    .sgpr_spill_count: 0
    .symbol:         _ZN7rocprim17ROCPRIM_400000_NS6detail17trampoline_kernelINS0_14default_configENS1_25partition_config_selectorILNS1_17partition_subalgoE6EsNS0_10empty_typeEbEEZZNS1_14partition_implILS5_6ELb0ES3_mN6thrust23THRUST_200600_302600_NS6detail15normal_iteratorINSA_10device_ptrIsEEEEPS6_SG_NS0_5tupleIJSF_S6_EEENSH_IJSG_SG_EEES6_PlJNSB_9not_fun_tI7is_trueIsEEEEEE10hipError_tPvRmT3_T4_T5_T6_T7_T9_mT8_P12ihipStream_tbDpT10_ENKUlT_T0_E_clISt17integral_constantIbLb1EES18_EEDaS13_S14_EUlS13_E_NS1_11comp_targetILNS1_3genE5ELNS1_11target_archE942ELNS1_3gpuE9ELNS1_3repE0EEENS1_30default_config_static_selectorELNS0_4arch9wavefront6targetE0EEEvT1_.kd
    .uniform_work_group_size: 1
    .uses_dynamic_stack: false
    .vgpr_count:     0
    .vgpr_spill_count: 0
    .wavefront_size: 32
    .workgroup_processor_mode: 1
  - .args:
      - .offset:         0
        .size:           128
        .value_kind:     by_value
    .group_segment_fixed_size: 0
    .kernarg_segment_align: 8
    .kernarg_segment_size: 128
    .language:       OpenCL C
    .language_version:
      - 2
      - 0
    .max_flat_workgroup_size: 256
    .name:           _ZN7rocprim17ROCPRIM_400000_NS6detail17trampoline_kernelINS0_14default_configENS1_25partition_config_selectorILNS1_17partition_subalgoE6EsNS0_10empty_typeEbEEZZNS1_14partition_implILS5_6ELb0ES3_mN6thrust23THRUST_200600_302600_NS6detail15normal_iteratorINSA_10device_ptrIsEEEEPS6_SG_NS0_5tupleIJSF_S6_EEENSH_IJSG_SG_EEES6_PlJNSB_9not_fun_tI7is_trueIsEEEEEE10hipError_tPvRmT3_T4_T5_T6_T7_T9_mT8_P12ihipStream_tbDpT10_ENKUlT_T0_E_clISt17integral_constantIbLb1EES18_EEDaS13_S14_EUlS13_E_NS1_11comp_targetILNS1_3genE4ELNS1_11target_archE910ELNS1_3gpuE8ELNS1_3repE0EEENS1_30default_config_static_selectorELNS0_4arch9wavefront6targetE0EEEvT1_
    .private_segment_fixed_size: 0
    .sgpr_count:     0
    .sgpr_spill_count: 0
    .symbol:         _ZN7rocprim17ROCPRIM_400000_NS6detail17trampoline_kernelINS0_14default_configENS1_25partition_config_selectorILNS1_17partition_subalgoE6EsNS0_10empty_typeEbEEZZNS1_14partition_implILS5_6ELb0ES3_mN6thrust23THRUST_200600_302600_NS6detail15normal_iteratorINSA_10device_ptrIsEEEEPS6_SG_NS0_5tupleIJSF_S6_EEENSH_IJSG_SG_EEES6_PlJNSB_9not_fun_tI7is_trueIsEEEEEE10hipError_tPvRmT3_T4_T5_T6_T7_T9_mT8_P12ihipStream_tbDpT10_ENKUlT_T0_E_clISt17integral_constantIbLb1EES18_EEDaS13_S14_EUlS13_E_NS1_11comp_targetILNS1_3genE4ELNS1_11target_archE910ELNS1_3gpuE8ELNS1_3repE0EEENS1_30default_config_static_selectorELNS0_4arch9wavefront6targetE0EEEvT1_.kd
    .uniform_work_group_size: 1
    .uses_dynamic_stack: false
    .vgpr_count:     0
    .vgpr_spill_count: 0
    .wavefront_size: 32
    .workgroup_processor_mode: 1
  - .args:
      - .offset:         0
        .size:           128
        .value_kind:     by_value
    .group_segment_fixed_size: 0
    .kernarg_segment_align: 8
    .kernarg_segment_size: 128
    .language:       OpenCL C
    .language_version:
      - 2
      - 0
    .max_flat_workgroup_size: 256
    .name:           _ZN7rocprim17ROCPRIM_400000_NS6detail17trampoline_kernelINS0_14default_configENS1_25partition_config_selectorILNS1_17partition_subalgoE6EsNS0_10empty_typeEbEEZZNS1_14partition_implILS5_6ELb0ES3_mN6thrust23THRUST_200600_302600_NS6detail15normal_iteratorINSA_10device_ptrIsEEEEPS6_SG_NS0_5tupleIJSF_S6_EEENSH_IJSG_SG_EEES6_PlJNSB_9not_fun_tI7is_trueIsEEEEEE10hipError_tPvRmT3_T4_T5_T6_T7_T9_mT8_P12ihipStream_tbDpT10_ENKUlT_T0_E_clISt17integral_constantIbLb1EES18_EEDaS13_S14_EUlS13_E_NS1_11comp_targetILNS1_3genE3ELNS1_11target_archE908ELNS1_3gpuE7ELNS1_3repE0EEENS1_30default_config_static_selectorELNS0_4arch9wavefront6targetE0EEEvT1_
    .private_segment_fixed_size: 0
    .sgpr_count:     0
    .sgpr_spill_count: 0
    .symbol:         _ZN7rocprim17ROCPRIM_400000_NS6detail17trampoline_kernelINS0_14default_configENS1_25partition_config_selectorILNS1_17partition_subalgoE6EsNS0_10empty_typeEbEEZZNS1_14partition_implILS5_6ELb0ES3_mN6thrust23THRUST_200600_302600_NS6detail15normal_iteratorINSA_10device_ptrIsEEEEPS6_SG_NS0_5tupleIJSF_S6_EEENSH_IJSG_SG_EEES6_PlJNSB_9not_fun_tI7is_trueIsEEEEEE10hipError_tPvRmT3_T4_T5_T6_T7_T9_mT8_P12ihipStream_tbDpT10_ENKUlT_T0_E_clISt17integral_constantIbLb1EES18_EEDaS13_S14_EUlS13_E_NS1_11comp_targetILNS1_3genE3ELNS1_11target_archE908ELNS1_3gpuE7ELNS1_3repE0EEENS1_30default_config_static_selectorELNS0_4arch9wavefront6targetE0EEEvT1_.kd
    .uniform_work_group_size: 1
    .uses_dynamic_stack: false
    .vgpr_count:     0
    .vgpr_spill_count: 0
    .wavefront_size: 32
    .workgroup_processor_mode: 1
  - .args:
      - .offset:         0
        .size:           128
        .value_kind:     by_value
    .group_segment_fixed_size: 0
    .kernarg_segment_align: 8
    .kernarg_segment_size: 128
    .language:       OpenCL C
    .language_version:
      - 2
      - 0
    .max_flat_workgroup_size: 256
    .name:           _ZN7rocprim17ROCPRIM_400000_NS6detail17trampoline_kernelINS0_14default_configENS1_25partition_config_selectorILNS1_17partition_subalgoE6EsNS0_10empty_typeEbEEZZNS1_14partition_implILS5_6ELb0ES3_mN6thrust23THRUST_200600_302600_NS6detail15normal_iteratorINSA_10device_ptrIsEEEEPS6_SG_NS0_5tupleIJSF_S6_EEENSH_IJSG_SG_EEES6_PlJNSB_9not_fun_tI7is_trueIsEEEEEE10hipError_tPvRmT3_T4_T5_T6_T7_T9_mT8_P12ihipStream_tbDpT10_ENKUlT_T0_E_clISt17integral_constantIbLb1EES18_EEDaS13_S14_EUlS13_E_NS1_11comp_targetILNS1_3genE2ELNS1_11target_archE906ELNS1_3gpuE6ELNS1_3repE0EEENS1_30default_config_static_selectorELNS0_4arch9wavefront6targetE0EEEvT1_
    .private_segment_fixed_size: 0
    .sgpr_count:     0
    .sgpr_spill_count: 0
    .symbol:         _ZN7rocprim17ROCPRIM_400000_NS6detail17trampoline_kernelINS0_14default_configENS1_25partition_config_selectorILNS1_17partition_subalgoE6EsNS0_10empty_typeEbEEZZNS1_14partition_implILS5_6ELb0ES3_mN6thrust23THRUST_200600_302600_NS6detail15normal_iteratorINSA_10device_ptrIsEEEEPS6_SG_NS0_5tupleIJSF_S6_EEENSH_IJSG_SG_EEES6_PlJNSB_9not_fun_tI7is_trueIsEEEEEE10hipError_tPvRmT3_T4_T5_T6_T7_T9_mT8_P12ihipStream_tbDpT10_ENKUlT_T0_E_clISt17integral_constantIbLb1EES18_EEDaS13_S14_EUlS13_E_NS1_11comp_targetILNS1_3genE2ELNS1_11target_archE906ELNS1_3gpuE6ELNS1_3repE0EEENS1_30default_config_static_selectorELNS0_4arch9wavefront6targetE0EEEvT1_.kd
    .uniform_work_group_size: 1
    .uses_dynamic_stack: false
    .vgpr_count:     0
    .vgpr_spill_count: 0
    .wavefront_size: 32
    .workgroup_processor_mode: 1
  - .args:
      - .offset:         0
        .size:           128
        .value_kind:     by_value
    .group_segment_fixed_size: 0
    .kernarg_segment_align: 8
    .kernarg_segment_size: 128
    .language:       OpenCL C
    .language_version:
      - 2
      - 0
    .max_flat_workgroup_size: 384
    .name:           _ZN7rocprim17ROCPRIM_400000_NS6detail17trampoline_kernelINS0_14default_configENS1_25partition_config_selectorILNS1_17partition_subalgoE6EsNS0_10empty_typeEbEEZZNS1_14partition_implILS5_6ELb0ES3_mN6thrust23THRUST_200600_302600_NS6detail15normal_iteratorINSA_10device_ptrIsEEEEPS6_SG_NS0_5tupleIJSF_S6_EEENSH_IJSG_SG_EEES6_PlJNSB_9not_fun_tI7is_trueIsEEEEEE10hipError_tPvRmT3_T4_T5_T6_T7_T9_mT8_P12ihipStream_tbDpT10_ENKUlT_T0_E_clISt17integral_constantIbLb1EES18_EEDaS13_S14_EUlS13_E_NS1_11comp_targetILNS1_3genE10ELNS1_11target_archE1200ELNS1_3gpuE4ELNS1_3repE0EEENS1_30default_config_static_selectorELNS0_4arch9wavefront6targetE0EEEvT1_
    .private_segment_fixed_size: 0
    .sgpr_count:     0
    .sgpr_spill_count: 0
    .symbol:         _ZN7rocprim17ROCPRIM_400000_NS6detail17trampoline_kernelINS0_14default_configENS1_25partition_config_selectorILNS1_17partition_subalgoE6EsNS0_10empty_typeEbEEZZNS1_14partition_implILS5_6ELb0ES3_mN6thrust23THRUST_200600_302600_NS6detail15normal_iteratorINSA_10device_ptrIsEEEEPS6_SG_NS0_5tupleIJSF_S6_EEENSH_IJSG_SG_EEES6_PlJNSB_9not_fun_tI7is_trueIsEEEEEE10hipError_tPvRmT3_T4_T5_T6_T7_T9_mT8_P12ihipStream_tbDpT10_ENKUlT_T0_E_clISt17integral_constantIbLb1EES18_EEDaS13_S14_EUlS13_E_NS1_11comp_targetILNS1_3genE10ELNS1_11target_archE1200ELNS1_3gpuE4ELNS1_3repE0EEENS1_30default_config_static_selectorELNS0_4arch9wavefront6targetE0EEEvT1_.kd
    .uniform_work_group_size: 1
    .uses_dynamic_stack: false
    .vgpr_count:     0
    .vgpr_spill_count: 0
    .wavefront_size: 32
    .workgroup_processor_mode: 1
  - .args:
      - .offset:         0
        .size:           128
        .value_kind:     by_value
    .group_segment_fixed_size: 0
    .kernarg_segment_align: 8
    .kernarg_segment_size: 128
    .language:       OpenCL C
    .language_version:
      - 2
      - 0
    .max_flat_workgroup_size: 128
    .name:           _ZN7rocprim17ROCPRIM_400000_NS6detail17trampoline_kernelINS0_14default_configENS1_25partition_config_selectorILNS1_17partition_subalgoE6EsNS0_10empty_typeEbEEZZNS1_14partition_implILS5_6ELb0ES3_mN6thrust23THRUST_200600_302600_NS6detail15normal_iteratorINSA_10device_ptrIsEEEEPS6_SG_NS0_5tupleIJSF_S6_EEENSH_IJSG_SG_EEES6_PlJNSB_9not_fun_tI7is_trueIsEEEEEE10hipError_tPvRmT3_T4_T5_T6_T7_T9_mT8_P12ihipStream_tbDpT10_ENKUlT_T0_E_clISt17integral_constantIbLb1EES18_EEDaS13_S14_EUlS13_E_NS1_11comp_targetILNS1_3genE9ELNS1_11target_archE1100ELNS1_3gpuE3ELNS1_3repE0EEENS1_30default_config_static_selectorELNS0_4arch9wavefront6targetE0EEEvT1_
    .private_segment_fixed_size: 0
    .sgpr_count:     0
    .sgpr_spill_count: 0
    .symbol:         _ZN7rocprim17ROCPRIM_400000_NS6detail17trampoline_kernelINS0_14default_configENS1_25partition_config_selectorILNS1_17partition_subalgoE6EsNS0_10empty_typeEbEEZZNS1_14partition_implILS5_6ELb0ES3_mN6thrust23THRUST_200600_302600_NS6detail15normal_iteratorINSA_10device_ptrIsEEEEPS6_SG_NS0_5tupleIJSF_S6_EEENSH_IJSG_SG_EEES6_PlJNSB_9not_fun_tI7is_trueIsEEEEEE10hipError_tPvRmT3_T4_T5_T6_T7_T9_mT8_P12ihipStream_tbDpT10_ENKUlT_T0_E_clISt17integral_constantIbLb1EES18_EEDaS13_S14_EUlS13_E_NS1_11comp_targetILNS1_3genE9ELNS1_11target_archE1100ELNS1_3gpuE3ELNS1_3repE0EEENS1_30default_config_static_selectorELNS0_4arch9wavefront6targetE0EEEvT1_.kd
    .uniform_work_group_size: 1
    .uses_dynamic_stack: false
    .vgpr_count:     0
    .vgpr_spill_count: 0
    .wavefront_size: 32
    .workgroup_processor_mode: 1
  - .args:
      - .offset:         0
        .size:           128
        .value_kind:     by_value
    .group_segment_fixed_size: 0
    .kernarg_segment_align: 8
    .kernarg_segment_size: 128
    .language:       OpenCL C
    .language_version:
      - 2
      - 0
    .max_flat_workgroup_size: 256
    .name:           _ZN7rocprim17ROCPRIM_400000_NS6detail17trampoline_kernelINS0_14default_configENS1_25partition_config_selectorILNS1_17partition_subalgoE6EsNS0_10empty_typeEbEEZZNS1_14partition_implILS5_6ELb0ES3_mN6thrust23THRUST_200600_302600_NS6detail15normal_iteratorINSA_10device_ptrIsEEEEPS6_SG_NS0_5tupleIJSF_S6_EEENSH_IJSG_SG_EEES6_PlJNSB_9not_fun_tI7is_trueIsEEEEEE10hipError_tPvRmT3_T4_T5_T6_T7_T9_mT8_P12ihipStream_tbDpT10_ENKUlT_T0_E_clISt17integral_constantIbLb1EES18_EEDaS13_S14_EUlS13_E_NS1_11comp_targetILNS1_3genE8ELNS1_11target_archE1030ELNS1_3gpuE2ELNS1_3repE0EEENS1_30default_config_static_selectorELNS0_4arch9wavefront6targetE0EEEvT1_
    .private_segment_fixed_size: 0
    .sgpr_count:     0
    .sgpr_spill_count: 0
    .symbol:         _ZN7rocprim17ROCPRIM_400000_NS6detail17trampoline_kernelINS0_14default_configENS1_25partition_config_selectorILNS1_17partition_subalgoE6EsNS0_10empty_typeEbEEZZNS1_14partition_implILS5_6ELb0ES3_mN6thrust23THRUST_200600_302600_NS6detail15normal_iteratorINSA_10device_ptrIsEEEEPS6_SG_NS0_5tupleIJSF_S6_EEENSH_IJSG_SG_EEES6_PlJNSB_9not_fun_tI7is_trueIsEEEEEE10hipError_tPvRmT3_T4_T5_T6_T7_T9_mT8_P12ihipStream_tbDpT10_ENKUlT_T0_E_clISt17integral_constantIbLb1EES18_EEDaS13_S14_EUlS13_E_NS1_11comp_targetILNS1_3genE8ELNS1_11target_archE1030ELNS1_3gpuE2ELNS1_3repE0EEENS1_30default_config_static_selectorELNS0_4arch9wavefront6targetE0EEEvT1_.kd
    .uniform_work_group_size: 1
    .uses_dynamic_stack: false
    .vgpr_count:     0
    .vgpr_spill_count: 0
    .wavefront_size: 32
    .workgroup_processor_mode: 1
  - .args:
      - .offset:         0
        .size:           112
        .value_kind:     by_value
    .group_segment_fixed_size: 0
    .kernarg_segment_align: 8
    .kernarg_segment_size: 112
    .language:       OpenCL C
    .language_version:
      - 2
      - 0
    .max_flat_workgroup_size: 256
    .name:           _ZN7rocprim17ROCPRIM_400000_NS6detail17trampoline_kernelINS0_14default_configENS1_25partition_config_selectorILNS1_17partition_subalgoE6EsNS0_10empty_typeEbEEZZNS1_14partition_implILS5_6ELb0ES3_mN6thrust23THRUST_200600_302600_NS6detail15normal_iteratorINSA_10device_ptrIsEEEEPS6_SG_NS0_5tupleIJSF_S6_EEENSH_IJSG_SG_EEES6_PlJNSB_9not_fun_tI7is_trueIsEEEEEE10hipError_tPvRmT3_T4_T5_T6_T7_T9_mT8_P12ihipStream_tbDpT10_ENKUlT_T0_E_clISt17integral_constantIbLb1EES17_IbLb0EEEEDaS13_S14_EUlS13_E_NS1_11comp_targetILNS1_3genE0ELNS1_11target_archE4294967295ELNS1_3gpuE0ELNS1_3repE0EEENS1_30default_config_static_selectorELNS0_4arch9wavefront6targetE0EEEvT1_
    .private_segment_fixed_size: 0
    .sgpr_count:     0
    .sgpr_spill_count: 0
    .symbol:         _ZN7rocprim17ROCPRIM_400000_NS6detail17trampoline_kernelINS0_14default_configENS1_25partition_config_selectorILNS1_17partition_subalgoE6EsNS0_10empty_typeEbEEZZNS1_14partition_implILS5_6ELb0ES3_mN6thrust23THRUST_200600_302600_NS6detail15normal_iteratorINSA_10device_ptrIsEEEEPS6_SG_NS0_5tupleIJSF_S6_EEENSH_IJSG_SG_EEES6_PlJNSB_9not_fun_tI7is_trueIsEEEEEE10hipError_tPvRmT3_T4_T5_T6_T7_T9_mT8_P12ihipStream_tbDpT10_ENKUlT_T0_E_clISt17integral_constantIbLb1EES17_IbLb0EEEEDaS13_S14_EUlS13_E_NS1_11comp_targetILNS1_3genE0ELNS1_11target_archE4294967295ELNS1_3gpuE0ELNS1_3repE0EEENS1_30default_config_static_selectorELNS0_4arch9wavefront6targetE0EEEvT1_.kd
    .uniform_work_group_size: 1
    .uses_dynamic_stack: false
    .vgpr_count:     0
    .vgpr_spill_count: 0
    .wavefront_size: 32
    .workgroup_processor_mode: 1
  - .args:
      - .offset:         0
        .size:           112
        .value_kind:     by_value
    .group_segment_fixed_size: 0
    .kernarg_segment_align: 8
    .kernarg_segment_size: 112
    .language:       OpenCL C
    .language_version:
      - 2
      - 0
    .max_flat_workgroup_size: 512
    .name:           _ZN7rocprim17ROCPRIM_400000_NS6detail17trampoline_kernelINS0_14default_configENS1_25partition_config_selectorILNS1_17partition_subalgoE6EsNS0_10empty_typeEbEEZZNS1_14partition_implILS5_6ELb0ES3_mN6thrust23THRUST_200600_302600_NS6detail15normal_iteratorINSA_10device_ptrIsEEEEPS6_SG_NS0_5tupleIJSF_S6_EEENSH_IJSG_SG_EEES6_PlJNSB_9not_fun_tI7is_trueIsEEEEEE10hipError_tPvRmT3_T4_T5_T6_T7_T9_mT8_P12ihipStream_tbDpT10_ENKUlT_T0_E_clISt17integral_constantIbLb1EES17_IbLb0EEEEDaS13_S14_EUlS13_E_NS1_11comp_targetILNS1_3genE5ELNS1_11target_archE942ELNS1_3gpuE9ELNS1_3repE0EEENS1_30default_config_static_selectorELNS0_4arch9wavefront6targetE0EEEvT1_
    .private_segment_fixed_size: 0
    .sgpr_count:     0
    .sgpr_spill_count: 0
    .symbol:         _ZN7rocprim17ROCPRIM_400000_NS6detail17trampoline_kernelINS0_14default_configENS1_25partition_config_selectorILNS1_17partition_subalgoE6EsNS0_10empty_typeEbEEZZNS1_14partition_implILS5_6ELb0ES3_mN6thrust23THRUST_200600_302600_NS6detail15normal_iteratorINSA_10device_ptrIsEEEEPS6_SG_NS0_5tupleIJSF_S6_EEENSH_IJSG_SG_EEES6_PlJNSB_9not_fun_tI7is_trueIsEEEEEE10hipError_tPvRmT3_T4_T5_T6_T7_T9_mT8_P12ihipStream_tbDpT10_ENKUlT_T0_E_clISt17integral_constantIbLb1EES17_IbLb0EEEEDaS13_S14_EUlS13_E_NS1_11comp_targetILNS1_3genE5ELNS1_11target_archE942ELNS1_3gpuE9ELNS1_3repE0EEENS1_30default_config_static_selectorELNS0_4arch9wavefront6targetE0EEEvT1_.kd
    .uniform_work_group_size: 1
    .uses_dynamic_stack: false
    .vgpr_count:     0
    .vgpr_spill_count: 0
    .wavefront_size: 32
    .workgroup_processor_mode: 1
  - .args:
      - .offset:         0
        .size:           112
        .value_kind:     by_value
    .group_segment_fixed_size: 0
    .kernarg_segment_align: 8
    .kernarg_segment_size: 112
    .language:       OpenCL C
    .language_version:
      - 2
      - 0
    .max_flat_workgroup_size: 256
    .name:           _ZN7rocprim17ROCPRIM_400000_NS6detail17trampoline_kernelINS0_14default_configENS1_25partition_config_selectorILNS1_17partition_subalgoE6EsNS0_10empty_typeEbEEZZNS1_14partition_implILS5_6ELb0ES3_mN6thrust23THRUST_200600_302600_NS6detail15normal_iteratorINSA_10device_ptrIsEEEEPS6_SG_NS0_5tupleIJSF_S6_EEENSH_IJSG_SG_EEES6_PlJNSB_9not_fun_tI7is_trueIsEEEEEE10hipError_tPvRmT3_T4_T5_T6_T7_T9_mT8_P12ihipStream_tbDpT10_ENKUlT_T0_E_clISt17integral_constantIbLb1EES17_IbLb0EEEEDaS13_S14_EUlS13_E_NS1_11comp_targetILNS1_3genE4ELNS1_11target_archE910ELNS1_3gpuE8ELNS1_3repE0EEENS1_30default_config_static_selectorELNS0_4arch9wavefront6targetE0EEEvT1_
    .private_segment_fixed_size: 0
    .sgpr_count:     0
    .sgpr_spill_count: 0
    .symbol:         _ZN7rocprim17ROCPRIM_400000_NS6detail17trampoline_kernelINS0_14default_configENS1_25partition_config_selectorILNS1_17partition_subalgoE6EsNS0_10empty_typeEbEEZZNS1_14partition_implILS5_6ELb0ES3_mN6thrust23THRUST_200600_302600_NS6detail15normal_iteratorINSA_10device_ptrIsEEEEPS6_SG_NS0_5tupleIJSF_S6_EEENSH_IJSG_SG_EEES6_PlJNSB_9not_fun_tI7is_trueIsEEEEEE10hipError_tPvRmT3_T4_T5_T6_T7_T9_mT8_P12ihipStream_tbDpT10_ENKUlT_T0_E_clISt17integral_constantIbLb1EES17_IbLb0EEEEDaS13_S14_EUlS13_E_NS1_11comp_targetILNS1_3genE4ELNS1_11target_archE910ELNS1_3gpuE8ELNS1_3repE0EEENS1_30default_config_static_selectorELNS0_4arch9wavefront6targetE0EEEvT1_.kd
    .uniform_work_group_size: 1
    .uses_dynamic_stack: false
    .vgpr_count:     0
    .vgpr_spill_count: 0
    .wavefront_size: 32
    .workgroup_processor_mode: 1
  - .args:
      - .offset:         0
        .size:           112
        .value_kind:     by_value
    .group_segment_fixed_size: 0
    .kernarg_segment_align: 8
    .kernarg_segment_size: 112
    .language:       OpenCL C
    .language_version:
      - 2
      - 0
    .max_flat_workgroup_size: 256
    .name:           _ZN7rocprim17ROCPRIM_400000_NS6detail17trampoline_kernelINS0_14default_configENS1_25partition_config_selectorILNS1_17partition_subalgoE6EsNS0_10empty_typeEbEEZZNS1_14partition_implILS5_6ELb0ES3_mN6thrust23THRUST_200600_302600_NS6detail15normal_iteratorINSA_10device_ptrIsEEEEPS6_SG_NS0_5tupleIJSF_S6_EEENSH_IJSG_SG_EEES6_PlJNSB_9not_fun_tI7is_trueIsEEEEEE10hipError_tPvRmT3_T4_T5_T6_T7_T9_mT8_P12ihipStream_tbDpT10_ENKUlT_T0_E_clISt17integral_constantIbLb1EES17_IbLb0EEEEDaS13_S14_EUlS13_E_NS1_11comp_targetILNS1_3genE3ELNS1_11target_archE908ELNS1_3gpuE7ELNS1_3repE0EEENS1_30default_config_static_selectorELNS0_4arch9wavefront6targetE0EEEvT1_
    .private_segment_fixed_size: 0
    .sgpr_count:     0
    .sgpr_spill_count: 0
    .symbol:         _ZN7rocprim17ROCPRIM_400000_NS6detail17trampoline_kernelINS0_14default_configENS1_25partition_config_selectorILNS1_17partition_subalgoE6EsNS0_10empty_typeEbEEZZNS1_14partition_implILS5_6ELb0ES3_mN6thrust23THRUST_200600_302600_NS6detail15normal_iteratorINSA_10device_ptrIsEEEEPS6_SG_NS0_5tupleIJSF_S6_EEENSH_IJSG_SG_EEES6_PlJNSB_9not_fun_tI7is_trueIsEEEEEE10hipError_tPvRmT3_T4_T5_T6_T7_T9_mT8_P12ihipStream_tbDpT10_ENKUlT_T0_E_clISt17integral_constantIbLb1EES17_IbLb0EEEEDaS13_S14_EUlS13_E_NS1_11comp_targetILNS1_3genE3ELNS1_11target_archE908ELNS1_3gpuE7ELNS1_3repE0EEENS1_30default_config_static_selectorELNS0_4arch9wavefront6targetE0EEEvT1_.kd
    .uniform_work_group_size: 1
    .uses_dynamic_stack: false
    .vgpr_count:     0
    .vgpr_spill_count: 0
    .wavefront_size: 32
    .workgroup_processor_mode: 1
  - .args:
      - .offset:         0
        .size:           112
        .value_kind:     by_value
    .group_segment_fixed_size: 0
    .kernarg_segment_align: 8
    .kernarg_segment_size: 112
    .language:       OpenCL C
    .language_version:
      - 2
      - 0
    .max_flat_workgroup_size: 256
    .name:           _ZN7rocprim17ROCPRIM_400000_NS6detail17trampoline_kernelINS0_14default_configENS1_25partition_config_selectorILNS1_17partition_subalgoE6EsNS0_10empty_typeEbEEZZNS1_14partition_implILS5_6ELb0ES3_mN6thrust23THRUST_200600_302600_NS6detail15normal_iteratorINSA_10device_ptrIsEEEEPS6_SG_NS0_5tupleIJSF_S6_EEENSH_IJSG_SG_EEES6_PlJNSB_9not_fun_tI7is_trueIsEEEEEE10hipError_tPvRmT3_T4_T5_T6_T7_T9_mT8_P12ihipStream_tbDpT10_ENKUlT_T0_E_clISt17integral_constantIbLb1EES17_IbLb0EEEEDaS13_S14_EUlS13_E_NS1_11comp_targetILNS1_3genE2ELNS1_11target_archE906ELNS1_3gpuE6ELNS1_3repE0EEENS1_30default_config_static_selectorELNS0_4arch9wavefront6targetE0EEEvT1_
    .private_segment_fixed_size: 0
    .sgpr_count:     0
    .sgpr_spill_count: 0
    .symbol:         _ZN7rocprim17ROCPRIM_400000_NS6detail17trampoline_kernelINS0_14default_configENS1_25partition_config_selectorILNS1_17partition_subalgoE6EsNS0_10empty_typeEbEEZZNS1_14partition_implILS5_6ELb0ES3_mN6thrust23THRUST_200600_302600_NS6detail15normal_iteratorINSA_10device_ptrIsEEEEPS6_SG_NS0_5tupleIJSF_S6_EEENSH_IJSG_SG_EEES6_PlJNSB_9not_fun_tI7is_trueIsEEEEEE10hipError_tPvRmT3_T4_T5_T6_T7_T9_mT8_P12ihipStream_tbDpT10_ENKUlT_T0_E_clISt17integral_constantIbLb1EES17_IbLb0EEEEDaS13_S14_EUlS13_E_NS1_11comp_targetILNS1_3genE2ELNS1_11target_archE906ELNS1_3gpuE6ELNS1_3repE0EEENS1_30default_config_static_selectorELNS0_4arch9wavefront6targetE0EEEvT1_.kd
    .uniform_work_group_size: 1
    .uses_dynamic_stack: false
    .vgpr_count:     0
    .vgpr_spill_count: 0
    .wavefront_size: 32
    .workgroup_processor_mode: 1
  - .args:
      - .offset:         0
        .size:           112
        .value_kind:     by_value
    .group_segment_fixed_size: 0
    .kernarg_segment_align: 8
    .kernarg_segment_size: 112
    .language:       OpenCL C
    .language_version:
      - 2
      - 0
    .max_flat_workgroup_size: 384
    .name:           _ZN7rocprim17ROCPRIM_400000_NS6detail17trampoline_kernelINS0_14default_configENS1_25partition_config_selectorILNS1_17partition_subalgoE6EsNS0_10empty_typeEbEEZZNS1_14partition_implILS5_6ELb0ES3_mN6thrust23THRUST_200600_302600_NS6detail15normal_iteratorINSA_10device_ptrIsEEEEPS6_SG_NS0_5tupleIJSF_S6_EEENSH_IJSG_SG_EEES6_PlJNSB_9not_fun_tI7is_trueIsEEEEEE10hipError_tPvRmT3_T4_T5_T6_T7_T9_mT8_P12ihipStream_tbDpT10_ENKUlT_T0_E_clISt17integral_constantIbLb1EES17_IbLb0EEEEDaS13_S14_EUlS13_E_NS1_11comp_targetILNS1_3genE10ELNS1_11target_archE1200ELNS1_3gpuE4ELNS1_3repE0EEENS1_30default_config_static_selectorELNS0_4arch9wavefront6targetE0EEEvT1_
    .private_segment_fixed_size: 0
    .sgpr_count:     0
    .sgpr_spill_count: 0
    .symbol:         _ZN7rocprim17ROCPRIM_400000_NS6detail17trampoline_kernelINS0_14default_configENS1_25partition_config_selectorILNS1_17partition_subalgoE6EsNS0_10empty_typeEbEEZZNS1_14partition_implILS5_6ELb0ES3_mN6thrust23THRUST_200600_302600_NS6detail15normal_iteratorINSA_10device_ptrIsEEEEPS6_SG_NS0_5tupleIJSF_S6_EEENSH_IJSG_SG_EEES6_PlJNSB_9not_fun_tI7is_trueIsEEEEEE10hipError_tPvRmT3_T4_T5_T6_T7_T9_mT8_P12ihipStream_tbDpT10_ENKUlT_T0_E_clISt17integral_constantIbLb1EES17_IbLb0EEEEDaS13_S14_EUlS13_E_NS1_11comp_targetILNS1_3genE10ELNS1_11target_archE1200ELNS1_3gpuE4ELNS1_3repE0EEENS1_30default_config_static_selectorELNS0_4arch9wavefront6targetE0EEEvT1_.kd
    .uniform_work_group_size: 1
    .uses_dynamic_stack: false
    .vgpr_count:     0
    .vgpr_spill_count: 0
    .wavefront_size: 32
    .workgroup_processor_mode: 1
  - .args:
      - .offset:         0
        .size:           112
        .value_kind:     by_value
    .group_segment_fixed_size: 0
    .kernarg_segment_align: 8
    .kernarg_segment_size: 112
    .language:       OpenCL C
    .language_version:
      - 2
      - 0
    .max_flat_workgroup_size: 128
    .name:           _ZN7rocprim17ROCPRIM_400000_NS6detail17trampoline_kernelINS0_14default_configENS1_25partition_config_selectorILNS1_17partition_subalgoE6EsNS0_10empty_typeEbEEZZNS1_14partition_implILS5_6ELb0ES3_mN6thrust23THRUST_200600_302600_NS6detail15normal_iteratorINSA_10device_ptrIsEEEEPS6_SG_NS0_5tupleIJSF_S6_EEENSH_IJSG_SG_EEES6_PlJNSB_9not_fun_tI7is_trueIsEEEEEE10hipError_tPvRmT3_T4_T5_T6_T7_T9_mT8_P12ihipStream_tbDpT10_ENKUlT_T0_E_clISt17integral_constantIbLb1EES17_IbLb0EEEEDaS13_S14_EUlS13_E_NS1_11comp_targetILNS1_3genE9ELNS1_11target_archE1100ELNS1_3gpuE3ELNS1_3repE0EEENS1_30default_config_static_selectorELNS0_4arch9wavefront6targetE0EEEvT1_
    .private_segment_fixed_size: 0
    .sgpr_count:     0
    .sgpr_spill_count: 0
    .symbol:         _ZN7rocprim17ROCPRIM_400000_NS6detail17trampoline_kernelINS0_14default_configENS1_25partition_config_selectorILNS1_17partition_subalgoE6EsNS0_10empty_typeEbEEZZNS1_14partition_implILS5_6ELb0ES3_mN6thrust23THRUST_200600_302600_NS6detail15normal_iteratorINSA_10device_ptrIsEEEEPS6_SG_NS0_5tupleIJSF_S6_EEENSH_IJSG_SG_EEES6_PlJNSB_9not_fun_tI7is_trueIsEEEEEE10hipError_tPvRmT3_T4_T5_T6_T7_T9_mT8_P12ihipStream_tbDpT10_ENKUlT_T0_E_clISt17integral_constantIbLb1EES17_IbLb0EEEEDaS13_S14_EUlS13_E_NS1_11comp_targetILNS1_3genE9ELNS1_11target_archE1100ELNS1_3gpuE3ELNS1_3repE0EEENS1_30default_config_static_selectorELNS0_4arch9wavefront6targetE0EEEvT1_.kd
    .uniform_work_group_size: 1
    .uses_dynamic_stack: false
    .vgpr_count:     0
    .vgpr_spill_count: 0
    .wavefront_size: 32
    .workgroup_processor_mode: 1
  - .args:
      - .offset:         0
        .size:           112
        .value_kind:     by_value
    .group_segment_fixed_size: 0
    .kernarg_segment_align: 8
    .kernarg_segment_size: 112
    .language:       OpenCL C
    .language_version:
      - 2
      - 0
    .max_flat_workgroup_size: 256
    .name:           _ZN7rocprim17ROCPRIM_400000_NS6detail17trampoline_kernelINS0_14default_configENS1_25partition_config_selectorILNS1_17partition_subalgoE6EsNS0_10empty_typeEbEEZZNS1_14partition_implILS5_6ELb0ES3_mN6thrust23THRUST_200600_302600_NS6detail15normal_iteratorINSA_10device_ptrIsEEEEPS6_SG_NS0_5tupleIJSF_S6_EEENSH_IJSG_SG_EEES6_PlJNSB_9not_fun_tI7is_trueIsEEEEEE10hipError_tPvRmT3_T4_T5_T6_T7_T9_mT8_P12ihipStream_tbDpT10_ENKUlT_T0_E_clISt17integral_constantIbLb1EES17_IbLb0EEEEDaS13_S14_EUlS13_E_NS1_11comp_targetILNS1_3genE8ELNS1_11target_archE1030ELNS1_3gpuE2ELNS1_3repE0EEENS1_30default_config_static_selectorELNS0_4arch9wavefront6targetE0EEEvT1_
    .private_segment_fixed_size: 0
    .sgpr_count:     0
    .sgpr_spill_count: 0
    .symbol:         _ZN7rocprim17ROCPRIM_400000_NS6detail17trampoline_kernelINS0_14default_configENS1_25partition_config_selectorILNS1_17partition_subalgoE6EsNS0_10empty_typeEbEEZZNS1_14partition_implILS5_6ELb0ES3_mN6thrust23THRUST_200600_302600_NS6detail15normal_iteratorINSA_10device_ptrIsEEEEPS6_SG_NS0_5tupleIJSF_S6_EEENSH_IJSG_SG_EEES6_PlJNSB_9not_fun_tI7is_trueIsEEEEEE10hipError_tPvRmT3_T4_T5_T6_T7_T9_mT8_P12ihipStream_tbDpT10_ENKUlT_T0_E_clISt17integral_constantIbLb1EES17_IbLb0EEEEDaS13_S14_EUlS13_E_NS1_11comp_targetILNS1_3genE8ELNS1_11target_archE1030ELNS1_3gpuE2ELNS1_3repE0EEENS1_30default_config_static_selectorELNS0_4arch9wavefront6targetE0EEEvT1_.kd
    .uniform_work_group_size: 1
    .uses_dynamic_stack: false
    .vgpr_count:     0
    .vgpr_spill_count: 0
    .wavefront_size: 32
    .workgroup_processor_mode: 1
  - .args:
      - .offset:         0
        .size:           128
        .value_kind:     by_value
    .group_segment_fixed_size: 0
    .kernarg_segment_align: 8
    .kernarg_segment_size: 128
    .language:       OpenCL C
    .language_version:
      - 2
      - 0
    .max_flat_workgroup_size: 256
    .name:           _ZN7rocprim17ROCPRIM_400000_NS6detail17trampoline_kernelINS0_14default_configENS1_25partition_config_selectorILNS1_17partition_subalgoE6EsNS0_10empty_typeEbEEZZNS1_14partition_implILS5_6ELb0ES3_mN6thrust23THRUST_200600_302600_NS6detail15normal_iteratorINSA_10device_ptrIsEEEEPS6_SG_NS0_5tupleIJSF_S6_EEENSH_IJSG_SG_EEES6_PlJNSB_9not_fun_tI7is_trueIsEEEEEE10hipError_tPvRmT3_T4_T5_T6_T7_T9_mT8_P12ihipStream_tbDpT10_ENKUlT_T0_E_clISt17integral_constantIbLb0EES17_IbLb1EEEEDaS13_S14_EUlS13_E_NS1_11comp_targetILNS1_3genE0ELNS1_11target_archE4294967295ELNS1_3gpuE0ELNS1_3repE0EEENS1_30default_config_static_selectorELNS0_4arch9wavefront6targetE0EEEvT1_
    .private_segment_fixed_size: 0
    .sgpr_count:     0
    .sgpr_spill_count: 0
    .symbol:         _ZN7rocprim17ROCPRIM_400000_NS6detail17trampoline_kernelINS0_14default_configENS1_25partition_config_selectorILNS1_17partition_subalgoE6EsNS0_10empty_typeEbEEZZNS1_14partition_implILS5_6ELb0ES3_mN6thrust23THRUST_200600_302600_NS6detail15normal_iteratorINSA_10device_ptrIsEEEEPS6_SG_NS0_5tupleIJSF_S6_EEENSH_IJSG_SG_EEES6_PlJNSB_9not_fun_tI7is_trueIsEEEEEE10hipError_tPvRmT3_T4_T5_T6_T7_T9_mT8_P12ihipStream_tbDpT10_ENKUlT_T0_E_clISt17integral_constantIbLb0EES17_IbLb1EEEEDaS13_S14_EUlS13_E_NS1_11comp_targetILNS1_3genE0ELNS1_11target_archE4294967295ELNS1_3gpuE0ELNS1_3repE0EEENS1_30default_config_static_selectorELNS0_4arch9wavefront6targetE0EEEvT1_.kd
    .uniform_work_group_size: 1
    .uses_dynamic_stack: false
    .vgpr_count:     0
    .vgpr_spill_count: 0
    .wavefront_size: 32
    .workgroup_processor_mode: 1
  - .args:
      - .offset:         0
        .size:           128
        .value_kind:     by_value
    .group_segment_fixed_size: 0
    .kernarg_segment_align: 8
    .kernarg_segment_size: 128
    .language:       OpenCL C
    .language_version:
      - 2
      - 0
    .max_flat_workgroup_size: 512
    .name:           _ZN7rocprim17ROCPRIM_400000_NS6detail17trampoline_kernelINS0_14default_configENS1_25partition_config_selectorILNS1_17partition_subalgoE6EsNS0_10empty_typeEbEEZZNS1_14partition_implILS5_6ELb0ES3_mN6thrust23THRUST_200600_302600_NS6detail15normal_iteratorINSA_10device_ptrIsEEEEPS6_SG_NS0_5tupleIJSF_S6_EEENSH_IJSG_SG_EEES6_PlJNSB_9not_fun_tI7is_trueIsEEEEEE10hipError_tPvRmT3_T4_T5_T6_T7_T9_mT8_P12ihipStream_tbDpT10_ENKUlT_T0_E_clISt17integral_constantIbLb0EES17_IbLb1EEEEDaS13_S14_EUlS13_E_NS1_11comp_targetILNS1_3genE5ELNS1_11target_archE942ELNS1_3gpuE9ELNS1_3repE0EEENS1_30default_config_static_selectorELNS0_4arch9wavefront6targetE0EEEvT1_
    .private_segment_fixed_size: 0
    .sgpr_count:     0
    .sgpr_spill_count: 0
    .symbol:         _ZN7rocprim17ROCPRIM_400000_NS6detail17trampoline_kernelINS0_14default_configENS1_25partition_config_selectorILNS1_17partition_subalgoE6EsNS0_10empty_typeEbEEZZNS1_14partition_implILS5_6ELb0ES3_mN6thrust23THRUST_200600_302600_NS6detail15normal_iteratorINSA_10device_ptrIsEEEEPS6_SG_NS0_5tupleIJSF_S6_EEENSH_IJSG_SG_EEES6_PlJNSB_9not_fun_tI7is_trueIsEEEEEE10hipError_tPvRmT3_T4_T5_T6_T7_T9_mT8_P12ihipStream_tbDpT10_ENKUlT_T0_E_clISt17integral_constantIbLb0EES17_IbLb1EEEEDaS13_S14_EUlS13_E_NS1_11comp_targetILNS1_3genE5ELNS1_11target_archE942ELNS1_3gpuE9ELNS1_3repE0EEENS1_30default_config_static_selectorELNS0_4arch9wavefront6targetE0EEEvT1_.kd
    .uniform_work_group_size: 1
    .uses_dynamic_stack: false
    .vgpr_count:     0
    .vgpr_spill_count: 0
    .wavefront_size: 32
    .workgroup_processor_mode: 1
  - .args:
      - .offset:         0
        .size:           128
        .value_kind:     by_value
    .group_segment_fixed_size: 0
    .kernarg_segment_align: 8
    .kernarg_segment_size: 128
    .language:       OpenCL C
    .language_version:
      - 2
      - 0
    .max_flat_workgroup_size: 256
    .name:           _ZN7rocprim17ROCPRIM_400000_NS6detail17trampoline_kernelINS0_14default_configENS1_25partition_config_selectorILNS1_17partition_subalgoE6EsNS0_10empty_typeEbEEZZNS1_14partition_implILS5_6ELb0ES3_mN6thrust23THRUST_200600_302600_NS6detail15normal_iteratorINSA_10device_ptrIsEEEEPS6_SG_NS0_5tupleIJSF_S6_EEENSH_IJSG_SG_EEES6_PlJNSB_9not_fun_tI7is_trueIsEEEEEE10hipError_tPvRmT3_T4_T5_T6_T7_T9_mT8_P12ihipStream_tbDpT10_ENKUlT_T0_E_clISt17integral_constantIbLb0EES17_IbLb1EEEEDaS13_S14_EUlS13_E_NS1_11comp_targetILNS1_3genE4ELNS1_11target_archE910ELNS1_3gpuE8ELNS1_3repE0EEENS1_30default_config_static_selectorELNS0_4arch9wavefront6targetE0EEEvT1_
    .private_segment_fixed_size: 0
    .sgpr_count:     0
    .sgpr_spill_count: 0
    .symbol:         _ZN7rocprim17ROCPRIM_400000_NS6detail17trampoline_kernelINS0_14default_configENS1_25partition_config_selectorILNS1_17partition_subalgoE6EsNS0_10empty_typeEbEEZZNS1_14partition_implILS5_6ELb0ES3_mN6thrust23THRUST_200600_302600_NS6detail15normal_iteratorINSA_10device_ptrIsEEEEPS6_SG_NS0_5tupleIJSF_S6_EEENSH_IJSG_SG_EEES6_PlJNSB_9not_fun_tI7is_trueIsEEEEEE10hipError_tPvRmT3_T4_T5_T6_T7_T9_mT8_P12ihipStream_tbDpT10_ENKUlT_T0_E_clISt17integral_constantIbLb0EES17_IbLb1EEEEDaS13_S14_EUlS13_E_NS1_11comp_targetILNS1_3genE4ELNS1_11target_archE910ELNS1_3gpuE8ELNS1_3repE0EEENS1_30default_config_static_selectorELNS0_4arch9wavefront6targetE0EEEvT1_.kd
    .uniform_work_group_size: 1
    .uses_dynamic_stack: false
    .vgpr_count:     0
    .vgpr_spill_count: 0
    .wavefront_size: 32
    .workgroup_processor_mode: 1
  - .args:
      - .offset:         0
        .size:           128
        .value_kind:     by_value
    .group_segment_fixed_size: 0
    .kernarg_segment_align: 8
    .kernarg_segment_size: 128
    .language:       OpenCL C
    .language_version:
      - 2
      - 0
    .max_flat_workgroup_size: 256
    .name:           _ZN7rocprim17ROCPRIM_400000_NS6detail17trampoline_kernelINS0_14default_configENS1_25partition_config_selectorILNS1_17partition_subalgoE6EsNS0_10empty_typeEbEEZZNS1_14partition_implILS5_6ELb0ES3_mN6thrust23THRUST_200600_302600_NS6detail15normal_iteratorINSA_10device_ptrIsEEEEPS6_SG_NS0_5tupleIJSF_S6_EEENSH_IJSG_SG_EEES6_PlJNSB_9not_fun_tI7is_trueIsEEEEEE10hipError_tPvRmT3_T4_T5_T6_T7_T9_mT8_P12ihipStream_tbDpT10_ENKUlT_T0_E_clISt17integral_constantIbLb0EES17_IbLb1EEEEDaS13_S14_EUlS13_E_NS1_11comp_targetILNS1_3genE3ELNS1_11target_archE908ELNS1_3gpuE7ELNS1_3repE0EEENS1_30default_config_static_selectorELNS0_4arch9wavefront6targetE0EEEvT1_
    .private_segment_fixed_size: 0
    .sgpr_count:     0
    .sgpr_spill_count: 0
    .symbol:         _ZN7rocprim17ROCPRIM_400000_NS6detail17trampoline_kernelINS0_14default_configENS1_25partition_config_selectorILNS1_17partition_subalgoE6EsNS0_10empty_typeEbEEZZNS1_14partition_implILS5_6ELb0ES3_mN6thrust23THRUST_200600_302600_NS6detail15normal_iteratorINSA_10device_ptrIsEEEEPS6_SG_NS0_5tupleIJSF_S6_EEENSH_IJSG_SG_EEES6_PlJNSB_9not_fun_tI7is_trueIsEEEEEE10hipError_tPvRmT3_T4_T5_T6_T7_T9_mT8_P12ihipStream_tbDpT10_ENKUlT_T0_E_clISt17integral_constantIbLb0EES17_IbLb1EEEEDaS13_S14_EUlS13_E_NS1_11comp_targetILNS1_3genE3ELNS1_11target_archE908ELNS1_3gpuE7ELNS1_3repE0EEENS1_30default_config_static_selectorELNS0_4arch9wavefront6targetE0EEEvT1_.kd
    .uniform_work_group_size: 1
    .uses_dynamic_stack: false
    .vgpr_count:     0
    .vgpr_spill_count: 0
    .wavefront_size: 32
    .workgroup_processor_mode: 1
  - .args:
      - .offset:         0
        .size:           128
        .value_kind:     by_value
    .group_segment_fixed_size: 0
    .kernarg_segment_align: 8
    .kernarg_segment_size: 128
    .language:       OpenCL C
    .language_version:
      - 2
      - 0
    .max_flat_workgroup_size: 256
    .name:           _ZN7rocprim17ROCPRIM_400000_NS6detail17trampoline_kernelINS0_14default_configENS1_25partition_config_selectorILNS1_17partition_subalgoE6EsNS0_10empty_typeEbEEZZNS1_14partition_implILS5_6ELb0ES3_mN6thrust23THRUST_200600_302600_NS6detail15normal_iteratorINSA_10device_ptrIsEEEEPS6_SG_NS0_5tupleIJSF_S6_EEENSH_IJSG_SG_EEES6_PlJNSB_9not_fun_tI7is_trueIsEEEEEE10hipError_tPvRmT3_T4_T5_T6_T7_T9_mT8_P12ihipStream_tbDpT10_ENKUlT_T0_E_clISt17integral_constantIbLb0EES17_IbLb1EEEEDaS13_S14_EUlS13_E_NS1_11comp_targetILNS1_3genE2ELNS1_11target_archE906ELNS1_3gpuE6ELNS1_3repE0EEENS1_30default_config_static_selectorELNS0_4arch9wavefront6targetE0EEEvT1_
    .private_segment_fixed_size: 0
    .sgpr_count:     0
    .sgpr_spill_count: 0
    .symbol:         _ZN7rocprim17ROCPRIM_400000_NS6detail17trampoline_kernelINS0_14default_configENS1_25partition_config_selectorILNS1_17partition_subalgoE6EsNS0_10empty_typeEbEEZZNS1_14partition_implILS5_6ELb0ES3_mN6thrust23THRUST_200600_302600_NS6detail15normal_iteratorINSA_10device_ptrIsEEEEPS6_SG_NS0_5tupleIJSF_S6_EEENSH_IJSG_SG_EEES6_PlJNSB_9not_fun_tI7is_trueIsEEEEEE10hipError_tPvRmT3_T4_T5_T6_T7_T9_mT8_P12ihipStream_tbDpT10_ENKUlT_T0_E_clISt17integral_constantIbLb0EES17_IbLb1EEEEDaS13_S14_EUlS13_E_NS1_11comp_targetILNS1_3genE2ELNS1_11target_archE906ELNS1_3gpuE6ELNS1_3repE0EEENS1_30default_config_static_selectorELNS0_4arch9wavefront6targetE0EEEvT1_.kd
    .uniform_work_group_size: 1
    .uses_dynamic_stack: false
    .vgpr_count:     0
    .vgpr_spill_count: 0
    .wavefront_size: 32
    .workgroup_processor_mode: 1
  - .args:
      - .offset:         0
        .size:           128
        .value_kind:     by_value
    .group_segment_fixed_size: 13840
    .kernarg_segment_align: 8
    .kernarg_segment_size: 128
    .language:       OpenCL C
    .language_version:
      - 2
      - 0
    .max_flat_workgroup_size: 384
    .name:           _ZN7rocprim17ROCPRIM_400000_NS6detail17trampoline_kernelINS0_14default_configENS1_25partition_config_selectorILNS1_17partition_subalgoE6EsNS0_10empty_typeEbEEZZNS1_14partition_implILS5_6ELb0ES3_mN6thrust23THRUST_200600_302600_NS6detail15normal_iteratorINSA_10device_ptrIsEEEEPS6_SG_NS0_5tupleIJSF_S6_EEENSH_IJSG_SG_EEES6_PlJNSB_9not_fun_tI7is_trueIsEEEEEE10hipError_tPvRmT3_T4_T5_T6_T7_T9_mT8_P12ihipStream_tbDpT10_ENKUlT_T0_E_clISt17integral_constantIbLb0EES17_IbLb1EEEEDaS13_S14_EUlS13_E_NS1_11comp_targetILNS1_3genE10ELNS1_11target_archE1200ELNS1_3gpuE4ELNS1_3repE0EEENS1_30default_config_static_selectorELNS0_4arch9wavefront6targetE0EEEvT1_
    .private_segment_fixed_size: 0
    .sgpr_count:     31
    .sgpr_spill_count: 0
    .symbol:         _ZN7rocprim17ROCPRIM_400000_NS6detail17trampoline_kernelINS0_14default_configENS1_25partition_config_selectorILNS1_17partition_subalgoE6EsNS0_10empty_typeEbEEZZNS1_14partition_implILS5_6ELb0ES3_mN6thrust23THRUST_200600_302600_NS6detail15normal_iteratorINSA_10device_ptrIsEEEEPS6_SG_NS0_5tupleIJSF_S6_EEENSH_IJSG_SG_EEES6_PlJNSB_9not_fun_tI7is_trueIsEEEEEE10hipError_tPvRmT3_T4_T5_T6_T7_T9_mT8_P12ihipStream_tbDpT10_ENKUlT_T0_E_clISt17integral_constantIbLb0EES17_IbLb1EEEEDaS13_S14_EUlS13_E_NS1_11comp_targetILNS1_3genE10ELNS1_11target_archE1200ELNS1_3gpuE4ELNS1_3repE0EEENS1_30default_config_static_selectorELNS0_4arch9wavefront6targetE0EEEvT1_.kd
    .uniform_work_group_size: 1
    .uses_dynamic_stack: false
    .vgpr_count:     78
    .vgpr_spill_count: 0
    .wavefront_size: 32
    .workgroup_processor_mode: 1
  - .args:
      - .offset:         0
        .size:           128
        .value_kind:     by_value
    .group_segment_fixed_size: 0
    .kernarg_segment_align: 8
    .kernarg_segment_size: 128
    .language:       OpenCL C
    .language_version:
      - 2
      - 0
    .max_flat_workgroup_size: 128
    .name:           _ZN7rocprim17ROCPRIM_400000_NS6detail17trampoline_kernelINS0_14default_configENS1_25partition_config_selectorILNS1_17partition_subalgoE6EsNS0_10empty_typeEbEEZZNS1_14partition_implILS5_6ELb0ES3_mN6thrust23THRUST_200600_302600_NS6detail15normal_iteratorINSA_10device_ptrIsEEEEPS6_SG_NS0_5tupleIJSF_S6_EEENSH_IJSG_SG_EEES6_PlJNSB_9not_fun_tI7is_trueIsEEEEEE10hipError_tPvRmT3_T4_T5_T6_T7_T9_mT8_P12ihipStream_tbDpT10_ENKUlT_T0_E_clISt17integral_constantIbLb0EES17_IbLb1EEEEDaS13_S14_EUlS13_E_NS1_11comp_targetILNS1_3genE9ELNS1_11target_archE1100ELNS1_3gpuE3ELNS1_3repE0EEENS1_30default_config_static_selectorELNS0_4arch9wavefront6targetE0EEEvT1_
    .private_segment_fixed_size: 0
    .sgpr_count:     0
    .sgpr_spill_count: 0
    .symbol:         _ZN7rocprim17ROCPRIM_400000_NS6detail17trampoline_kernelINS0_14default_configENS1_25partition_config_selectorILNS1_17partition_subalgoE6EsNS0_10empty_typeEbEEZZNS1_14partition_implILS5_6ELb0ES3_mN6thrust23THRUST_200600_302600_NS6detail15normal_iteratorINSA_10device_ptrIsEEEEPS6_SG_NS0_5tupleIJSF_S6_EEENSH_IJSG_SG_EEES6_PlJNSB_9not_fun_tI7is_trueIsEEEEEE10hipError_tPvRmT3_T4_T5_T6_T7_T9_mT8_P12ihipStream_tbDpT10_ENKUlT_T0_E_clISt17integral_constantIbLb0EES17_IbLb1EEEEDaS13_S14_EUlS13_E_NS1_11comp_targetILNS1_3genE9ELNS1_11target_archE1100ELNS1_3gpuE3ELNS1_3repE0EEENS1_30default_config_static_selectorELNS0_4arch9wavefront6targetE0EEEvT1_.kd
    .uniform_work_group_size: 1
    .uses_dynamic_stack: false
    .vgpr_count:     0
    .vgpr_spill_count: 0
    .wavefront_size: 32
    .workgroup_processor_mode: 1
  - .args:
      - .offset:         0
        .size:           128
        .value_kind:     by_value
    .group_segment_fixed_size: 0
    .kernarg_segment_align: 8
    .kernarg_segment_size: 128
    .language:       OpenCL C
    .language_version:
      - 2
      - 0
    .max_flat_workgroup_size: 256
    .name:           _ZN7rocprim17ROCPRIM_400000_NS6detail17trampoline_kernelINS0_14default_configENS1_25partition_config_selectorILNS1_17partition_subalgoE6EsNS0_10empty_typeEbEEZZNS1_14partition_implILS5_6ELb0ES3_mN6thrust23THRUST_200600_302600_NS6detail15normal_iteratorINSA_10device_ptrIsEEEEPS6_SG_NS0_5tupleIJSF_S6_EEENSH_IJSG_SG_EEES6_PlJNSB_9not_fun_tI7is_trueIsEEEEEE10hipError_tPvRmT3_T4_T5_T6_T7_T9_mT8_P12ihipStream_tbDpT10_ENKUlT_T0_E_clISt17integral_constantIbLb0EES17_IbLb1EEEEDaS13_S14_EUlS13_E_NS1_11comp_targetILNS1_3genE8ELNS1_11target_archE1030ELNS1_3gpuE2ELNS1_3repE0EEENS1_30default_config_static_selectorELNS0_4arch9wavefront6targetE0EEEvT1_
    .private_segment_fixed_size: 0
    .sgpr_count:     0
    .sgpr_spill_count: 0
    .symbol:         _ZN7rocprim17ROCPRIM_400000_NS6detail17trampoline_kernelINS0_14default_configENS1_25partition_config_selectorILNS1_17partition_subalgoE6EsNS0_10empty_typeEbEEZZNS1_14partition_implILS5_6ELb0ES3_mN6thrust23THRUST_200600_302600_NS6detail15normal_iteratorINSA_10device_ptrIsEEEEPS6_SG_NS0_5tupleIJSF_S6_EEENSH_IJSG_SG_EEES6_PlJNSB_9not_fun_tI7is_trueIsEEEEEE10hipError_tPvRmT3_T4_T5_T6_T7_T9_mT8_P12ihipStream_tbDpT10_ENKUlT_T0_E_clISt17integral_constantIbLb0EES17_IbLb1EEEEDaS13_S14_EUlS13_E_NS1_11comp_targetILNS1_3genE8ELNS1_11target_archE1030ELNS1_3gpuE2ELNS1_3repE0EEENS1_30default_config_static_selectorELNS0_4arch9wavefront6targetE0EEEvT1_.kd
    .uniform_work_group_size: 1
    .uses_dynamic_stack: false
    .vgpr_count:     0
    .vgpr_spill_count: 0
    .wavefront_size: 32
    .workgroup_processor_mode: 1
  - .args:
      - .offset:         0
        .size:           24
        .value_kind:     by_value
      - .offset:         24
        .size:           8
        .value_kind:     by_value
      - .offset:         32
        .size:           8
        .value_kind:     by_value
    .group_segment_fixed_size: 0
    .kernarg_segment_align: 8
    .kernarg_segment_size: 40
    .language:       OpenCL C
    .language_version:
      - 2
      - 0
    .max_flat_workgroup_size: 256
    .name:           _ZN6thrust23THRUST_200600_302600_NS11hip_rocprim14__parallel_for6kernelILj256ENS1_11__transform17unary_transform_fINS0_7pointerIbNS1_3tagENS0_11use_defaultES8_EENS0_10device_ptrIdEENS4_14no_stencil_tagENS0_8identityIbEENS4_21always_true_predicateEEElLj1EEEvT0_T1_SI_
    .private_segment_fixed_size: 0
    .sgpr_count:     14
    .sgpr_spill_count: 0
    .symbol:         _ZN6thrust23THRUST_200600_302600_NS11hip_rocprim14__parallel_for6kernelILj256ENS1_11__transform17unary_transform_fINS0_7pointerIbNS1_3tagENS0_11use_defaultES8_EENS0_10device_ptrIdEENS4_14no_stencil_tagENS0_8identityIbEENS4_21always_true_predicateEEElLj1EEEvT0_T1_SI_.kd
    .uniform_work_group_size: 1
    .uses_dynamic_stack: false
    .vgpr_count:     5
    .vgpr_spill_count: 0
    .wavefront_size: 32
    .workgroup_processor_mode: 1
  - .args:
      - .offset:         0
        .size:           120
        .value_kind:     by_value
    .group_segment_fixed_size: 0
    .kernarg_segment_align: 8
    .kernarg_segment_size: 120
    .language:       OpenCL C
    .language_version:
      - 2
      - 0
    .max_flat_workgroup_size: 128
    .name:           _ZN7rocprim17ROCPRIM_400000_NS6detail17trampoline_kernelINS0_14default_configENS1_25partition_config_selectorILNS1_17partition_subalgoE5EdNS0_10empty_typeEbEEZZNS1_14partition_implILS5_5ELb0ES3_mN6thrust23THRUST_200600_302600_NS6detail15normal_iteratorINSA_10device_ptrIdEEEEPS6_NSA_18transform_iteratorINSB_9not_fun_tI7is_trueIdEEESF_NSA_11use_defaultESM_EENS0_5tupleIJSF_S6_EEENSO_IJSG_SG_EEES6_PlJS6_EEE10hipError_tPvRmT3_T4_T5_T6_T7_T9_mT8_P12ihipStream_tbDpT10_ENKUlT_T0_E_clISt17integral_constantIbLb0EES1B_EEDaS16_S17_EUlS16_E_NS1_11comp_targetILNS1_3genE0ELNS1_11target_archE4294967295ELNS1_3gpuE0ELNS1_3repE0EEENS1_30default_config_static_selectorELNS0_4arch9wavefront6targetE0EEEvT1_
    .private_segment_fixed_size: 0
    .sgpr_count:     0
    .sgpr_spill_count: 0
    .symbol:         _ZN7rocprim17ROCPRIM_400000_NS6detail17trampoline_kernelINS0_14default_configENS1_25partition_config_selectorILNS1_17partition_subalgoE5EdNS0_10empty_typeEbEEZZNS1_14partition_implILS5_5ELb0ES3_mN6thrust23THRUST_200600_302600_NS6detail15normal_iteratorINSA_10device_ptrIdEEEEPS6_NSA_18transform_iteratorINSB_9not_fun_tI7is_trueIdEEESF_NSA_11use_defaultESM_EENS0_5tupleIJSF_S6_EEENSO_IJSG_SG_EEES6_PlJS6_EEE10hipError_tPvRmT3_T4_T5_T6_T7_T9_mT8_P12ihipStream_tbDpT10_ENKUlT_T0_E_clISt17integral_constantIbLb0EES1B_EEDaS16_S17_EUlS16_E_NS1_11comp_targetILNS1_3genE0ELNS1_11target_archE4294967295ELNS1_3gpuE0ELNS1_3repE0EEENS1_30default_config_static_selectorELNS0_4arch9wavefront6targetE0EEEvT1_.kd
    .uniform_work_group_size: 1
    .uses_dynamic_stack: false
    .vgpr_count:     0
    .vgpr_spill_count: 0
    .wavefront_size: 32
    .workgroup_processor_mode: 1
  - .args:
      - .offset:         0
        .size:           120
        .value_kind:     by_value
    .group_segment_fixed_size: 0
    .kernarg_segment_align: 8
    .kernarg_segment_size: 120
    .language:       OpenCL C
    .language_version:
      - 2
      - 0
    .max_flat_workgroup_size: 512
    .name:           _ZN7rocprim17ROCPRIM_400000_NS6detail17trampoline_kernelINS0_14default_configENS1_25partition_config_selectorILNS1_17partition_subalgoE5EdNS0_10empty_typeEbEEZZNS1_14partition_implILS5_5ELb0ES3_mN6thrust23THRUST_200600_302600_NS6detail15normal_iteratorINSA_10device_ptrIdEEEEPS6_NSA_18transform_iteratorINSB_9not_fun_tI7is_trueIdEEESF_NSA_11use_defaultESM_EENS0_5tupleIJSF_S6_EEENSO_IJSG_SG_EEES6_PlJS6_EEE10hipError_tPvRmT3_T4_T5_T6_T7_T9_mT8_P12ihipStream_tbDpT10_ENKUlT_T0_E_clISt17integral_constantIbLb0EES1B_EEDaS16_S17_EUlS16_E_NS1_11comp_targetILNS1_3genE5ELNS1_11target_archE942ELNS1_3gpuE9ELNS1_3repE0EEENS1_30default_config_static_selectorELNS0_4arch9wavefront6targetE0EEEvT1_
    .private_segment_fixed_size: 0
    .sgpr_count:     0
    .sgpr_spill_count: 0
    .symbol:         _ZN7rocprim17ROCPRIM_400000_NS6detail17trampoline_kernelINS0_14default_configENS1_25partition_config_selectorILNS1_17partition_subalgoE5EdNS0_10empty_typeEbEEZZNS1_14partition_implILS5_5ELb0ES3_mN6thrust23THRUST_200600_302600_NS6detail15normal_iteratorINSA_10device_ptrIdEEEEPS6_NSA_18transform_iteratorINSB_9not_fun_tI7is_trueIdEEESF_NSA_11use_defaultESM_EENS0_5tupleIJSF_S6_EEENSO_IJSG_SG_EEES6_PlJS6_EEE10hipError_tPvRmT3_T4_T5_T6_T7_T9_mT8_P12ihipStream_tbDpT10_ENKUlT_T0_E_clISt17integral_constantIbLb0EES1B_EEDaS16_S17_EUlS16_E_NS1_11comp_targetILNS1_3genE5ELNS1_11target_archE942ELNS1_3gpuE9ELNS1_3repE0EEENS1_30default_config_static_selectorELNS0_4arch9wavefront6targetE0EEEvT1_.kd
    .uniform_work_group_size: 1
    .uses_dynamic_stack: false
    .vgpr_count:     0
    .vgpr_spill_count: 0
    .wavefront_size: 32
    .workgroup_processor_mode: 1
  - .args:
      - .offset:         0
        .size:           120
        .value_kind:     by_value
    .group_segment_fixed_size: 0
    .kernarg_segment_align: 8
    .kernarg_segment_size: 120
    .language:       OpenCL C
    .language_version:
      - 2
      - 0
    .max_flat_workgroup_size: 192
    .name:           _ZN7rocprim17ROCPRIM_400000_NS6detail17trampoline_kernelINS0_14default_configENS1_25partition_config_selectorILNS1_17partition_subalgoE5EdNS0_10empty_typeEbEEZZNS1_14partition_implILS5_5ELb0ES3_mN6thrust23THRUST_200600_302600_NS6detail15normal_iteratorINSA_10device_ptrIdEEEEPS6_NSA_18transform_iteratorINSB_9not_fun_tI7is_trueIdEEESF_NSA_11use_defaultESM_EENS0_5tupleIJSF_S6_EEENSO_IJSG_SG_EEES6_PlJS6_EEE10hipError_tPvRmT3_T4_T5_T6_T7_T9_mT8_P12ihipStream_tbDpT10_ENKUlT_T0_E_clISt17integral_constantIbLb0EES1B_EEDaS16_S17_EUlS16_E_NS1_11comp_targetILNS1_3genE4ELNS1_11target_archE910ELNS1_3gpuE8ELNS1_3repE0EEENS1_30default_config_static_selectorELNS0_4arch9wavefront6targetE0EEEvT1_
    .private_segment_fixed_size: 0
    .sgpr_count:     0
    .sgpr_spill_count: 0
    .symbol:         _ZN7rocprim17ROCPRIM_400000_NS6detail17trampoline_kernelINS0_14default_configENS1_25partition_config_selectorILNS1_17partition_subalgoE5EdNS0_10empty_typeEbEEZZNS1_14partition_implILS5_5ELb0ES3_mN6thrust23THRUST_200600_302600_NS6detail15normal_iteratorINSA_10device_ptrIdEEEEPS6_NSA_18transform_iteratorINSB_9not_fun_tI7is_trueIdEEESF_NSA_11use_defaultESM_EENS0_5tupleIJSF_S6_EEENSO_IJSG_SG_EEES6_PlJS6_EEE10hipError_tPvRmT3_T4_T5_T6_T7_T9_mT8_P12ihipStream_tbDpT10_ENKUlT_T0_E_clISt17integral_constantIbLb0EES1B_EEDaS16_S17_EUlS16_E_NS1_11comp_targetILNS1_3genE4ELNS1_11target_archE910ELNS1_3gpuE8ELNS1_3repE0EEENS1_30default_config_static_selectorELNS0_4arch9wavefront6targetE0EEEvT1_.kd
    .uniform_work_group_size: 1
    .uses_dynamic_stack: false
    .vgpr_count:     0
    .vgpr_spill_count: 0
    .wavefront_size: 32
    .workgroup_processor_mode: 1
  - .args:
      - .offset:         0
        .size:           120
        .value_kind:     by_value
    .group_segment_fixed_size: 0
    .kernarg_segment_align: 8
    .kernarg_segment_size: 120
    .language:       OpenCL C
    .language_version:
      - 2
      - 0
    .max_flat_workgroup_size: 128
    .name:           _ZN7rocprim17ROCPRIM_400000_NS6detail17trampoline_kernelINS0_14default_configENS1_25partition_config_selectorILNS1_17partition_subalgoE5EdNS0_10empty_typeEbEEZZNS1_14partition_implILS5_5ELb0ES3_mN6thrust23THRUST_200600_302600_NS6detail15normal_iteratorINSA_10device_ptrIdEEEEPS6_NSA_18transform_iteratorINSB_9not_fun_tI7is_trueIdEEESF_NSA_11use_defaultESM_EENS0_5tupleIJSF_S6_EEENSO_IJSG_SG_EEES6_PlJS6_EEE10hipError_tPvRmT3_T4_T5_T6_T7_T9_mT8_P12ihipStream_tbDpT10_ENKUlT_T0_E_clISt17integral_constantIbLb0EES1B_EEDaS16_S17_EUlS16_E_NS1_11comp_targetILNS1_3genE3ELNS1_11target_archE908ELNS1_3gpuE7ELNS1_3repE0EEENS1_30default_config_static_selectorELNS0_4arch9wavefront6targetE0EEEvT1_
    .private_segment_fixed_size: 0
    .sgpr_count:     0
    .sgpr_spill_count: 0
    .symbol:         _ZN7rocprim17ROCPRIM_400000_NS6detail17trampoline_kernelINS0_14default_configENS1_25partition_config_selectorILNS1_17partition_subalgoE5EdNS0_10empty_typeEbEEZZNS1_14partition_implILS5_5ELb0ES3_mN6thrust23THRUST_200600_302600_NS6detail15normal_iteratorINSA_10device_ptrIdEEEEPS6_NSA_18transform_iteratorINSB_9not_fun_tI7is_trueIdEEESF_NSA_11use_defaultESM_EENS0_5tupleIJSF_S6_EEENSO_IJSG_SG_EEES6_PlJS6_EEE10hipError_tPvRmT3_T4_T5_T6_T7_T9_mT8_P12ihipStream_tbDpT10_ENKUlT_T0_E_clISt17integral_constantIbLb0EES1B_EEDaS16_S17_EUlS16_E_NS1_11comp_targetILNS1_3genE3ELNS1_11target_archE908ELNS1_3gpuE7ELNS1_3repE0EEENS1_30default_config_static_selectorELNS0_4arch9wavefront6targetE0EEEvT1_.kd
    .uniform_work_group_size: 1
    .uses_dynamic_stack: false
    .vgpr_count:     0
    .vgpr_spill_count: 0
    .wavefront_size: 32
    .workgroup_processor_mode: 1
  - .args:
      - .offset:         0
        .size:           120
        .value_kind:     by_value
    .group_segment_fixed_size: 0
    .kernarg_segment_align: 8
    .kernarg_segment_size: 120
    .language:       OpenCL C
    .language_version:
      - 2
      - 0
    .max_flat_workgroup_size: 256
    .name:           _ZN7rocprim17ROCPRIM_400000_NS6detail17trampoline_kernelINS0_14default_configENS1_25partition_config_selectorILNS1_17partition_subalgoE5EdNS0_10empty_typeEbEEZZNS1_14partition_implILS5_5ELb0ES3_mN6thrust23THRUST_200600_302600_NS6detail15normal_iteratorINSA_10device_ptrIdEEEEPS6_NSA_18transform_iteratorINSB_9not_fun_tI7is_trueIdEEESF_NSA_11use_defaultESM_EENS0_5tupleIJSF_S6_EEENSO_IJSG_SG_EEES6_PlJS6_EEE10hipError_tPvRmT3_T4_T5_T6_T7_T9_mT8_P12ihipStream_tbDpT10_ENKUlT_T0_E_clISt17integral_constantIbLb0EES1B_EEDaS16_S17_EUlS16_E_NS1_11comp_targetILNS1_3genE2ELNS1_11target_archE906ELNS1_3gpuE6ELNS1_3repE0EEENS1_30default_config_static_selectorELNS0_4arch9wavefront6targetE0EEEvT1_
    .private_segment_fixed_size: 0
    .sgpr_count:     0
    .sgpr_spill_count: 0
    .symbol:         _ZN7rocprim17ROCPRIM_400000_NS6detail17trampoline_kernelINS0_14default_configENS1_25partition_config_selectorILNS1_17partition_subalgoE5EdNS0_10empty_typeEbEEZZNS1_14partition_implILS5_5ELb0ES3_mN6thrust23THRUST_200600_302600_NS6detail15normal_iteratorINSA_10device_ptrIdEEEEPS6_NSA_18transform_iteratorINSB_9not_fun_tI7is_trueIdEEESF_NSA_11use_defaultESM_EENS0_5tupleIJSF_S6_EEENSO_IJSG_SG_EEES6_PlJS6_EEE10hipError_tPvRmT3_T4_T5_T6_T7_T9_mT8_P12ihipStream_tbDpT10_ENKUlT_T0_E_clISt17integral_constantIbLb0EES1B_EEDaS16_S17_EUlS16_E_NS1_11comp_targetILNS1_3genE2ELNS1_11target_archE906ELNS1_3gpuE6ELNS1_3repE0EEENS1_30default_config_static_selectorELNS0_4arch9wavefront6targetE0EEEvT1_.kd
    .uniform_work_group_size: 1
    .uses_dynamic_stack: false
    .vgpr_count:     0
    .vgpr_spill_count: 0
    .wavefront_size: 32
    .workgroup_processor_mode: 1
  - .args:
      - .offset:         0
        .size:           120
        .value_kind:     by_value
    .group_segment_fixed_size: 10256
    .kernarg_segment_align: 8
    .kernarg_segment_size: 120
    .language:       OpenCL C
    .language_version:
      - 2
      - 0
    .max_flat_workgroup_size: 256
    .name:           _ZN7rocprim17ROCPRIM_400000_NS6detail17trampoline_kernelINS0_14default_configENS1_25partition_config_selectorILNS1_17partition_subalgoE5EdNS0_10empty_typeEbEEZZNS1_14partition_implILS5_5ELb0ES3_mN6thrust23THRUST_200600_302600_NS6detail15normal_iteratorINSA_10device_ptrIdEEEEPS6_NSA_18transform_iteratorINSB_9not_fun_tI7is_trueIdEEESF_NSA_11use_defaultESM_EENS0_5tupleIJSF_S6_EEENSO_IJSG_SG_EEES6_PlJS6_EEE10hipError_tPvRmT3_T4_T5_T6_T7_T9_mT8_P12ihipStream_tbDpT10_ENKUlT_T0_E_clISt17integral_constantIbLb0EES1B_EEDaS16_S17_EUlS16_E_NS1_11comp_targetILNS1_3genE10ELNS1_11target_archE1200ELNS1_3gpuE4ELNS1_3repE0EEENS1_30default_config_static_selectorELNS0_4arch9wavefront6targetE0EEEvT1_
    .private_segment_fixed_size: 0
    .sgpr_count:     22
    .sgpr_spill_count: 0
    .symbol:         _ZN7rocprim17ROCPRIM_400000_NS6detail17trampoline_kernelINS0_14default_configENS1_25partition_config_selectorILNS1_17partition_subalgoE5EdNS0_10empty_typeEbEEZZNS1_14partition_implILS5_5ELb0ES3_mN6thrust23THRUST_200600_302600_NS6detail15normal_iteratorINSA_10device_ptrIdEEEEPS6_NSA_18transform_iteratorINSB_9not_fun_tI7is_trueIdEEESF_NSA_11use_defaultESM_EENS0_5tupleIJSF_S6_EEENSO_IJSG_SG_EEES6_PlJS6_EEE10hipError_tPvRmT3_T4_T5_T6_T7_T9_mT8_P12ihipStream_tbDpT10_ENKUlT_T0_E_clISt17integral_constantIbLb0EES1B_EEDaS16_S17_EUlS16_E_NS1_11comp_targetILNS1_3genE10ELNS1_11target_archE1200ELNS1_3gpuE4ELNS1_3repE0EEENS1_30default_config_static_selectorELNS0_4arch9wavefront6targetE0EEEvT1_.kd
    .uniform_work_group_size: 1
    .uses_dynamic_stack: false
    .vgpr_count:     48
    .vgpr_spill_count: 0
    .wavefront_size: 32
    .workgroup_processor_mode: 1
  - .args:
      - .offset:         0
        .size:           120
        .value_kind:     by_value
    .group_segment_fixed_size: 0
    .kernarg_segment_align: 8
    .kernarg_segment_size: 120
    .language:       OpenCL C
    .language_version:
      - 2
      - 0
    .max_flat_workgroup_size: 128
    .name:           _ZN7rocprim17ROCPRIM_400000_NS6detail17trampoline_kernelINS0_14default_configENS1_25partition_config_selectorILNS1_17partition_subalgoE5EdNS0_10empty_typeEbEEZZNS1_14partition_implILS5_5ELb0ES3_mN6thrust23THRUST_200600_302600_NS6detail15normal_iteratorINSA_10device_ptrIdEEEEPS6_NSA_18transform_iteratorINSB_9not_fun_tI7is_trueIdEEESF_NSA_11use_defaultESM_EENS0_5tupleIJSF_S6_EEENSO_IJSG_SG_EEES6_PlJS6_EEE10hipError_tPvRmT3_T4_T5_T6_T7_T9_mT8_P12ihipStream_tbDpT10_ENKUlT_T0_E_clISt17integral_constantIbLb0EES1B_EEDaS16_S17_EUlS16_E_NS1_11comp_targetILNS1_3genE9ELNS1_11target_archE1100ELNS1_3gpuE3ELNS1_3repE0EEENS1_30default_config_static_selectorELNS0_4arch9wavefront6targetE0EEEvT1_
    .private_segment_fixed_size: 0
    .sgpr_count:     0
    .sgpr_spill_count: 0
    .symbol:         _ZN7rocprim17ROCPRIM_400000_NS6detail17trampoline_kernelINS0_14default_configENS1_25partition_config_selectorILNS1_17partition_subalgoE5EdNS0_10empty_typeEbEEZZNS1_14partition_implILS5_5ELb0ES3_mN6thrust23THRUST_200600_302600_NS6detail15normal_iteratorINSA_10device_ptrIdEEEEPS6_NSA_18transform_iteratorINSB_9not_fun_tI7is_trueIdEEESF_NSA_11use_defaultESM_EENS0_5tupleIJSF_S6_EEENSO_IJSG_SG_EEES6_PlJS6_EEE10hipError_tPvRmT3_T4_T5_T6_T7_T9_mT8_P12ihipStream_tbDpT10_ENKUlT_T0_E_clISt17integral_constantIbLb0EES1B_EEDaS16_S17_EUlS16_E_NS1_11comp_targetILNS1_3genE9ELNS1_11target_archE1100ELNS1_3gpuE3ELNS1_3repE0EEENS1_30default_config_static_selectorELNS0_4arch9wavefront6targetE0EEEvT1_.kd
    .uniform_work_group_size: 1
    .uses_dynamic_stack: false
    .vgpr_count:     0
    .vgpr_spill_count: 0
    .wavefront_size: 32
    .workgroup_processor_mode: 1
  - .args:
      - .offset:         0
        .size:           120
        .value_kind:     by_value
    .group_segment_fixed_size: 0
    .kernarg_segment_align: 8
    .kernarg_segment_size: 120
    .language:       OpenCL C
    .language_version:
      - 2
      - 0
    .max_flat_workgroup_size: 512
    .name:           _ZN7rocprim17ROCPRIM_400000_NS6detail17trampoline_kernelINS0_14default_configENS1_25partition_config_selectorILNS1_17partition_subalgoE5EdNS0_10empty_typeEbEEZZNS1_14partition_implILS5_5ELb0ES3_mN6thrust23THRUST_200600_302600_NS6detail15normal_iteratorINSA_10device_ptrIdEEEEPS6_NSA_18transform_iteratorINSB_9not_fun_tI7is_trueIdEEESF_NSA_11use_defaultESM_EENS0_5tupleIJSF_S6_EEENSO_IJSG_SG_EEES6_PlJS6_EEE10hipError_tPvRmT3_T4_T5_T6_T7_T9_mT8_P12ihipStream_tbDpT10_ENKUlT_T0_E_clISt17integral_constantIbLb0EES1B_EEDaS16_S17_EUlS16_E_NS1_11comp_targetILNS1_3genE8ELNS1_11target_archE1030ELNS1_3gpuE2ELNS1_3repE0EEENS1_30default_config_static_selectorELNS0_4arch9wavefront6targetE0EEEvT1_
    .private_segment_fixed_size: 0
    .sgpr_count:     0
    .sgpr_spill_count: 0
    .symbol:         _ZN7rocprim17ROCPRIM_400000_NS6detail17trampoline_kernelINS0_14default_configENS1_25partition_config_selectorILNS1_17partition_subalgoE5EdNS0_10empty_typeEbEEZZNS1_14partition_implILS5_5ELb0ES3_mN6thrust23THRUST_200600_302600_NS6detail15normal_iteratorINSA_10device_ptrIdEEEEPS6_NSA_18transform_iteratorINSB_9not_fun_tI7is_trueIdEEESF_NSA_11use_defaultESM_EENS0_5tupleIJSF_S6_EEENSO_IJSG_SG_EEES6_PlJS6_EEE10hipError_tPvRmT3_T4_T5_T6_T7_T9_mT8_P12ihipStream_tbDpT10_ENKUlT_T0_E_clISt17integral_constantIbLb0EES1B_EEDaS16_S17_EUlS16_E_NS1_11comp_targetILNS1_3genE8ELNS1_11target_archE1030ELNS1_3gpuE2ELNS1_3repE0EEENS1_30default_config_static_selectorELNS0_4arch9wavefront6targetE0EEEvT1_.kd
    .uniform_work_group_size: 1
    .uses_dynamic_stack: false
    .vgpr_count:     0
    .vgpr_spill_count: 0
    .wavefront_size: 32
    .workgroup_processor_mode: 1
  - .args:
      - .offset:         0
        .size:           136
        .value_kind:     by_value
    .group_segment_fixed_size: 0
    .kernarg_segment_align: 8
    .kernarg_segment_size: 136
    .language:       OpenCL C
    .language_version:
      - 2
      - 0
    .max_flat_workgroup_size: 128
    .name:           _ZN7rocprim17ROCPRIM_400000_NS6detail17trampoline_kernelINS0_14default_configENS1_25partition_config_selectorILNS1_17partition_subalgoE5EdNS0_10empty_typeEbEEZZNS1_14partition_implILS5_5ELb0ES3_mN6thrust23THRUST_200600_302600_NS6detail15normal_iteratorINSA_10device_ptrIdEEEEPS6_NSA_18transform_iteratorINSB_9not_fun_tI7is_trueIdEEESF_NSA_11use_defaultESM_EENS0_5tupleIJSF_S6_EEENSO_IJSG_SG_EEES6_PlJS6_EEE10hipError_tPvRmT3_T4_T5_T6_T7_T9_mT8_P12ihipStream_tbDpT10_ENKUlT_T0_E_clISt17integral_constantIbLb1EES1B_EEDaS16_S17_EUlS16_E_NS1_11comp_targetILNS1_3genE0ELNS1_11target_archE4294967295ELNS1_3gpuE0ELNS1_3repE0EEENS1_30default_config_static_selectorELNS0_4arch9wavefront6targetE0EEEvT1_
    .private_segment_fixed_size: 0
    .sgpr_count:     0
    .sgpr_spill_count: 0
    .symbol:         _ZN7rocprim17ROCPRIM_400000_NS6detail17trampoline_kernelINS0_14default_configENS1_25partition_config_selectorILNS1_17partition_subalgoE5EdNS0_10empty_typeEbEEZZNS1_14partition_implILS5_5ELb0ES3_mN6thrust23THRUST_200600_302600_NS6detail15normal_iteratorINSA_10device_ptrIdEEEEPS6_NSA_18transform_iteratorINSB_9not_fun_tI7is_trueIdEEESF_NSA_11use_defaultESM_EENS0_5tupleIJSF_S6_EEENSO_IJSG_SG_EEES6_PlJS6_EEE10hipError_tPvRmT3_T4_T5_T6_T7_T9_mT8_P12ihipStream_tbDpT10_ENKUlT_T0_E_clISt17integral_constantIbLb1EES1B_EEDaS16_S17_EUlS16_E_NS1_11comp_targetILNS1_3genE0ELNS1_11target_archE4294967295ELNS1_3gpuE0ELNS1_3repE0EEENS1_30default_config_static_selectorELNS0_4arch9wavefront6targetE0EEEvT1_.kd
    .uniform_work_group_size: 1
    .uses_dynamic_stack: false
    .vgpr_count:     0
    .vgpr_spill_count: 0
    .wavefront_size: 32
    .workgroup_processor_mode: 1
  - .args:
      - .offset:         0
        .size:           136
        .value_kind:     by_value
    .group_segment_fixed_size: 0
    .kernarg_segment_align: 8
    .kernarg_segment_size: 136
    .language:       OpenCL C
    .language_version:
      - 2
      - 0
    .max_flat_workgroup_size: 512
    .name:           _ZN7rocprim17ROCPRIM_400000_NS6detail17trampoline_kernelINS0_14default_configENS1_25partition_config_selectorILNS1_17partition_subalgoE5EdNS0_10empty_typeEbEEZZNS1_14partition_implILS5_5ELb0ES3_mN6thrust23THRUST_200600_302600_NS6detail15normal_iteratorINSA_10device_ptrIdEEEEPS6_NSA_18transform_iteratorINSB_9not_fun_tI7is_trueIdEEESF_NSA_11use_defaultESM_EENS0_5tupleIJSF_S6_EEENSO_IJSG_SG_EEES6_PlJS6_EEE10hipError_tPvRmT3_T4_T5_T6_T7_T9_mT8_P12ihipStream_tbDpT10_ENKUlT_T0_E_clISt17integral_constantIbLb1EES1B_EEDaS16_S17_EUlS16_E_NS1_11comp_targetILNS1_3genE5ELNS1_11target_archE942ELNS1_3gpuE9ELNS1_3repE0EEENS1_30default_config_static_selectorELNS0_4arch9wavefront6targetE0EEEvT1_
    .private_segment_fixed_size: 0
    .sgpr_count:     0
    .sgpr_spill_count: 0
    .symbol:         _ZN7rocprim17ROCPRIM_400000_NS6detail17trampoline_kernelINS0_14default_configENS1_25partition_config_selectorILNS1_17partition_subalgoE5EdNS0_10empty_typeEbEEZZNS1_14partition_implILS5_5ELb0ES3_mN6thrust23THRUST_200600_302600_NS6detail15normal_iteratorINSA_10device_ptrIdEEEEPS6_NSA_18transform_iteratorINSB_9not_fun_tI7is_trueIdEEESF_NSA_11use_defaultESM_EENS0_5tupleIJSF_S6_EEENSO_IJSG_SG_EEES6_PlJS6_EEE10hipError_tPvRmT3_T4_T5_T6_T7_T9_mT8_P12ihipStream_tbDpT10_ENKUlT_T0_E_clISt17integral_constantIbLb1EES1B_EEDaS16_S17_EUlS16_E_NS1_11comp_targetILNS1_3genE5ELNS1_11target_archE942ELNS1_3gpuE9ELNS1_3repE0EEENS1_30default_config_static_selectorELNS0_4arch9wavefront6targetE0EEEvT1_.kd
    .uniform_work_group_size: 1
    .uses_dynamic_stack: false
    .vgpr_count:     0
    .vgpr_spill_count: 0
    .wavefront_size: 32
    .workgroup_processor_mode: 1
  - .args:
      - .offset:         0
        .size:           136
        .value_kind:     by_value
    .group_segment_fixed_size: 0
    .kernarg_segment_align: 8
    .kernarg_segment_size: 136
    .language:       OpenCL C
    .language_version:
      - 2
      - 0
    .max_flat_workgroup_size: 192
    .name:           _ZN7rocprim17ROCPRIM_400000_NS6detail17trampoline_kernelINS0_14default_configENS1_25partition_config_selectorILNS1_17partition_subalgoE5EdNS0_10empty_typeEbEEZZNS1_14partition_implILS5_5ELb0ES3_mN6thrust23THRUST_200600_302600_NS6detail15normal_iteratorINSA_10device_ptrIdEEEEPS6_NSA_18transform_iteratorINSB_9not_fun_tI7is_trueIdEEESF_NSA_11use_defaultESM_EENS0_5tupleIJSF_S6_EEENSO_IJSG_SG_EEES6_PlJS6_EEE10hipError_tPvRmT3_T4_T5_T6_T7_T9_mT8_P12ihipStream_tbDpT10_ENKUlT_T0_E_clISt17integral_constantIbLb1EES1B_EEDaS16_S17_EUlS16_E_NS1_11comp_targetILNS1_3genE4ELNS1_11target_archE910ELNS1_3gpuE8ELNS1_3repE0EEENS1_30default_config_static_selectorELNS0_4arch9wavefront6targetE0EEEvT1_
    .private_segment_fixed_size: 0
    .sgpr_count:     0
    .sgpr_spill_count: 0
    .symbol:         _ZN7rocprim17ROCPRIM_400000_NS6detail17trampoline_kernelINS0_14default_configENS1_25partition_config_selectorILNS1_17partition_subalgoE5EdNS0_10empty_typeEbEEZZNS1_14partition_implILS5_5ELb0ES3_mN6thrust23THRUST_200600_302600_NS6detail15normal_iteratorINSA_10device_ptrIdEEEEPS6_NSA_18transform_iteratorINSB_9not_fun_tI7is_trueIdEEESF_NSA_11use_defaultESM_EENS0_5tupleIJSF_S6_EEENSO_IJSG_SG_EEES6_PlJS6_EEE10hipError_tPvRmT3_T4_T5_T6_T7_T9_mT8_P12ihipStream_tbDpT10_ENKUlT_T0_E_clISt17integral_constantIbLb1EES1B_EEDaS16_S17_EUlS16_E_NS1_11comp_targetILNS1_3genE4ELNS1_11target_archE910ELNS1_3gpuE8ELNS1_3repE0EEENS1_30default_config_static_selectorELNS0_4arch9wavefront6targetE0EEEvT1_.kd
    .uniform_work_group_size: 1
    .uses_dynamic_stack: false
    .vgpr_count:     0
    .vgpr_spill_count: 0
    .wavefront_size: 32
    .workgroup_processor_mode: 1
  - .args:
      - .offset:         0
        .size:           136
        .value_kind:     by_value
    .group_segment_fixed_size: 0
    .kernarg_segment_align: 8
    .kernarg_segment_size: 136
    .language:       OpenCL C
    .language_version:
      - 2
      - 0
    .max_flat_workgroup_size: 128
    .name:           _ZN7rocprim17ROCPRIM_400000_NS6detail17trampoline_kernelINS0_14default_configENS1_25partition_config_selectorILNS1_17partition_subalgoE5EdNS0_10empty_typeEbEEZZNS1_14partition_implILS5_5ELb0ES3_mN6thrust23THRUST_200600_302600_NS6detail15normal_iteratorINSA_10device_ptrIdEEEEPS6_NSA_18transform_iteratorINSB_9not_fun_tI7is_trueIdEEESF_NSA_11use_defaultESM_EENS0_5tupleIJSF_S6_EEENSO_IJSG_SG_EEES6_PlJS6_EEE10hipError_tPvRmT3_T4_T5_T6_T7_T9_mT8_P12ihipStream_tbDpT10_ENKUlT_T0_E_clISt17integral_constantIbLb1EES1B_EEDaS16_S17_EUlS16_E_NS1_11comp_targetILNS1_3genE3ELNS1_11target_archE908ELNS1_3gpuE7ELNS1_3repE0EEENS1_30default_config_static_selectorELNS0_4arch9wavefront6targetE0EEEvT1_
    .private_segment_fixed_size: 0
    .sgpr_count:     0
    .sgpr_spill_count: 0
    .symbol:         _ZN7rocprim17ROCPRIM_400000_NS6detail17trampoline_kernelINS0_14default_configENS1_25partition_config_selectorILNS1_17partition_subalgoE5EdNS0_10empty_typeEbEEZZNS1_14partition_implILS5_5ELb0ES3_mN6thrust23THRUST_200600_302600_NS6detail15normal_iteratorINSA_10device_ptrIdEEEEPS6_NSA_18transform_iteratorINSB_9not_fun_tI7is_trueIdEEESF_NSA_11use_defaultESM_EENS0_5tupleIJSF_S6_EEENSO_IJSG_SG_EEES6_PlJS6_EEE10hipError_tPvRmT3_T4_T5_T6_T7_T9_mT8_P12ihipStream_tbDpT10_ENKUlT_T0_E_clISt17integral_constantIbLb1EES1B_EEDaS16_S17_EUlS16_E_NS1_11comp_targetILNS1_3genE3ELNS1_11target_archE908ELNS1_3gpuE7ELNS1_3repE0EEENS1_30default_config_static_selectorELNS0_4arch9wavefront6targetE0EEEvT1_.kd
    .uniform_work_group_size: 1
    .uses_dynamic_stack: false
    .vgpr_count:     0
    .vgpr_spill_count: 0
    .wavefront_size: 32
    .workgroup_processor_mode: 1
  - .args:
      - .offset:         0
        .size:           136
        .value_kind:     by_value
    .group_segment_fixed_size: 0
    .kernarg_segment_align: 8
    .kernarg_segment_size: 136
    .language:       OpenCL C
    .language_version:
      - 2
      - 0
    .max_flat_workgroup_size: 256
    .name:           _ZN7rocprim17ROCPRIM_400000_NS6detail17trampoline_kernelINS0_14default_configENS1_25partition_config_selectorILNS1_17partition_subalgoE5EdNS0_10empty_typeEbEEZZNS1_14partition_implILS5_5ELb0ES3_mN6thrust23THRUST_200600_302600_NS6detail15normal_iteratorINSA_10device_ptrIdEEEEPS6_NSA_18transform_iteratorINSB_9not_fun_tI7is_trueIdEEESF_NSA_11use_defaultESM_EENS0_5tupleIJSF_S6_EEENSO_IJSG_SG_EEES6_PlJS6_EEE10hipError_tPvRmT3_T4_T5_T6_T7_T9_mT8_P12ihipStream_tbDpT10_ENKUlT_T0_E_clISt17integral_constantIbLb1EES1B_EEDaS16_S17_EUlS16_E_NS1_11comp_targetILNS1_3genE2ELNS1_11target_archE906ELNS1_3gpuE6ELNS1_3repE0EEENS1_30default_config_static_selectorELNS0_4arch9wavefront6targetE0EEEvT1_
    .private_segment_fixed_size: 0
    .sgpr_count:     0
    .sgpr_spill_count: 0
    .symbol:         _ZN7rocprim17ROCPRIM_400000_NS6detail17trampoline_kernelINS0_14default_configENS1_25partition_config_selectorILNS1_17partition_subalgoE5EdNS0_10empty_typeEbEEZZNS1_14partition_implILS5_5ELb0ES3_mN6thrust23THRUST_200600_302600_NS6detail15normal_iteratorINSA_10device_ptrIdEEEEPS6_NSA_18transform_iteratorINSB_9not_fun_tI7is_trueIdEEESF_NSA_11use_defaultESM_EENS0_5tupleIJSF_S6_EEENSO_IJSG_SG_EEES6_PlJS6_EEE10hipError_tPvRmT3_T4_T5_T6_T7_T9_mT8_P12ihipStream_tbDpT10_ENKUlT_T0_E_clISt17integral_constantIbLb1EES1B_EEDaS16_S17_EUlS16_E_NS1_11comp_targetILNS1_3genE2ELNS1_11target_archE906ELNS1_3gpuE6ELNS1_3repE0EEENS1_30default_config_static_selectorELNS0_4arch9wavefront6targetE0EEEvT1_.kd
    .uniform_work_group_size: 1
    .uses_dynamic_stack: false
    .vgpr_count:     0
    .vgpr_spill_count: 0
    .wavefront_size: 32
    .workgroup_processor_mode: 1
  - .args:
      - .offset:         0
        .size:           136
        .value_kind:     by_value
    .group_segment_fixed_size: 0
    .kernarg_segment_align: 8
    .kernarg_segment_size: 136
    .language:       OpenCL C
    .language_version:
      - 2
      - 0
    .max_flat_workgroup_size: 256
    .name:           _ZN7rocprim17ROCPRIM_400000_NS6detail17trampoline_kernelINS0_14default_configENS1_25partition_config_selectorILNS1_17partition_subalgoE5EdNS0_10empty_typeEbEEZZNS1_14partition_implILS5_5ELb0ES3_mN6thrust23THRUST_200600_302600_NS6detail15normal_iteratorINSA_10device_ptrIdEEEEPS6_NSA_18transform_iteratorINSB_9not_fun_tI7is_trueIdEEESF_NSA_11use_defaultESM_EENS0_5tupleIJSF_S6_EEENSO_IJSG_SG_EEES6_PlJS6_EEE10hipError_tPvRmT3_T4_T5_T6_T7_T9_mT8_P12ihipStream_tbDpT10_ENKUlT_T0_E_clISt17integral_constantIbLb1EES1B_EEDaS16_S17_EUlS16_E_NS1_11comp_targetILNS1_3genE10ELNS1_11target_archE1200ELNS1_3gpuE4ELNS1_3repE0EEENS1_30default_config_static_selectorELNS0_4arch9wavefront6targetE0EEEvT1_
    .private_segment_fixed_size: 0
    .sgpr_count:     0
    .sgpr_spill_count: 0
    .symbol:         _ZN7rocprim17ROCPRIM_400000_NS6detail17trampoline_kernelINS0_14default_configENS1_25partition_config_selectorILNS1_17partition_subalgoE5EdNS0_10empty_typeEbEEZZNS1_14partition_implILS5_5ELb0ES3_mN6thrust23THRUST_200600_302600_NS6detail15normal_iteratorINSA_10device_ptrIdEEEEPS6_NSA_18transform_iteratorINSB_9not_fun_tI7is_trueIdEEESF_NSA_11use_defaultESM_EENS0_5tupleIJSF_S6_EEENSO_IJSG_SG_EEES6_PlJS6_EEE10hipError_tPvRmT3_T4_T5_T6_T7_T9_mT8_P12ihipStream_tbDpT10_ENKUlT_T0_E_clISt17integral_constantIbLb1EES1B_EEDaS16_S17_EUlS16_E_NS1_11comp_targetILNS1_3genE10ELNS1_11target_archE1200ELNS1_3gpuE4ELNS1_3repE0EEENS1_30default_config_static_selectorELNS0_4arch9wavefront6targetE0EEEvT1_.kd
    .uniform_work_group_size: 1
    .uses_dynamic_stack: false
    .vgpr_count:     0
    .vgpr_spill_count: 0
    .wavefront_size: 32
    .workgroup_processor_mode: 1
  - .args:
      - .offset:         0
        .size:           136
        .value_kind:     by_value
    .group_segment_fixed_size: 0
    .kernarg_segment_align: 8
    .kernarg_segment_size: 136
    .language:       OpenCL C
    .language_version:
      - 2
      - 0
    .max_flat_workgroup_size: 128
    .name:           _ZN7rocprim17ROCPRIM_400000_NS6detail17trampoline_kernelINS0_14default_configENS1_25partition_config_selectorILNS1_17partition_subalgoE5EdNS0_10empty_typeEbEEZZNS1_14partition_implILS5_5ELb0ES3_mN6thrust23THRUST_200600_302600_NS6detail15normal_iteratorINSA_10device_ptrIdEEEEPS6_NSA_18transform_iteratorINSB_9not_fun_tI7is_trueIdEEESF_NSA_11use_defaultESM_EENS0_5tupleIJSF_S6_EEENSO_IJSG_SG_EEES6_PlJS6_EEE10hipError_tPvRmT3_T4_T5_T6_T7_T9_mT8_P12ihipStream_tbDpT10_ENKUlT_T0_E_clISt17integral_constantIbLb1EES1B_EEDaS16_S17_EUlS16_E_NS1_11comp_targetILNS1_3genE9ELNS1_11target_archE1100ELNS1_3gpuE3ELNS1_3repE0EEENS1_30default_config_static_selectorELNS0_4arch9wavefront6targetE0EEEvT1_
    .private_segment_fixed_size: 0
    .sgpr_count:     0
    .sgpr_spill_count: 0
    .symbol:         _ZN7rocprim17ROCPRIM_400000_NS6detail17trampoline_kernelINS0_14default_configENS1_25partition_config_selectorILNS1_17partition_subalgoE5EdNS0_10empty_typeEbEEZZNS1_14partition_implILS5_5ELb0ES3_mN6thrust23THRUST_200600_302600_NS6detail15normal_iteratorINSA_10device_ptrIdEEEEPS6_NSA_18transform_iteratorINSB_9not_fun_tI7is_trueIdEEESF_NSA_11use_defaultESM_EENS0_5tupleIJSF_S6_EEENSO_IJSG_SG_EEES6_PlJS6_EEE10hipError_tPvRmT3_T4_T5_T6_T7_T9_mT8_P12ihipStream_tbDpT10_ENKUlT_T0_E_clISt17integral_constantIbLb1EES1B_EEDaS16_S17_EUlS16_E_NS1_11comp_targetILNS1_3genE9ELNS1_11target_archE1100ELNS1_3gpuE3ELNS1_3repE0EEENS1_30default_config_static_selectorELNS0_4arch9wavefront6targetE0EEEvT1_.kd
    .uniform_work_group_size: 1
    .uses_dynamic_stack: false
    .vgpr_count:     0
    .vgpr_spill_count: 0
    .wavefront_size: 32
    .workgroup_processor_mode: 1
  - .args:
      - .offset:         0
        .size:           136
        .value_kind:     by_value
    .group_segment_fixed_size: 0
    .kernarg_segment_align: 8
    .kernarg_segment_size: 136
    .language:       OpenCL C
    .language_version:
      - 2
      - 0
    .max_flat_workgroup_size: 512
    .name:           _ZN7rocprim17ROCPRIM_400000_NS6detail17trampoline_kernelINS0_14default_configENS1_25partition_config_selectorILNS1_17partition_subalgoE5EdNS0_10empty_typeEbEEZZNS1_14partition_implILS5_5ELb0ES3_mN6thrust23THRUST_200600_302600_NS6detail15normal_iteratorINSA_10device_ptrIdEEEEPS6_NSA_18transform_iteratorINSB_9not_fun_tI7is_trueIdEEESF_NSA_11use_defaultESM_EENS0_5tupleIJSF_S6_EEENSO_IJSG_SG_EEES6_PlJS6_EEE10hipError_tPvRmT3_T4_T5_T6_T7_T9_mT8_P12ihipStream_tbDpT10_ENKUlT_T0_E_clISt17integral_constantIbLb1EES1B_EEDaS16_S17_EUlS16_E_NS1_11comp_targetILNS1_3genE8ELNS1_11target_archE1030ELNS1_3gpuE2ELNS1_3repE0EEENS1_30default_config_static_selectorELNS0_4arch9wavefront6targetE0EEEvT1_
    .private_segment_fixed_size: 0
    .sgpr_count:     0
    .sgpr_spill_count: 0
    .symbol:         _ZN7rocprim17ROCPRIM_400000_NS6detail17trampoline_kernelINS0_14default_configENS1_25partition_config_selectorILNS1_17partition_subalgoE5EdNS0_10empty_typeEbEEZZNS1_14partition_implILS5_5ELb0ES3_mN6thrust23THRUST_200600_302600_NS6detail15normal_iteratorINSA_10device_ptrIdEEEEPS6_NSA_18transform_iteratorINSB_9not_fun_tI7is_trueIdEEESF_NSA_11use_defaultESM_EENS0_5tupleIJSF_S6_EEENSO_IJSG_SG_EEES6_PlJS6_EEE10hipError_tPvRmT3_T4_T5_T6_T7_T9_mT8_P12ihipStream_tbDpT10_ENKUlT_T0_E_clISt17integral_constantIbLb1EES1B_EEDaS16_S17_EUlS16_E_NS1_11comp_targetILNS1_3genE8ELNS1_11target_archE1030ELNS1_3gpuE2ELNS1_3repE0EEENS1_30default_config_static_selectorELNS0_4arch9wavefront6targetE0EEEvT1_.kd
    .uniform_work_group_size: 1
    .uses_dynamic_stack: false
    .vgpr_count:     0
    .vgpr_spill_count: 0
    .wavefront_size: 32
    .workgroup_processor_mode: 1
  - .args:
      - .offset:         0
        .size:           120
        .value_kind:     by_value
    .group_segment_fixed_size: 0
    .kernarg_segment_align: 8
    .kernarg_segment_size: 120
    .language:       OpenCL C
    .language_version:
      - 2
      - 0
    .max_flat_workgroup_size: 128
    .name:           _ZN7rocprim17ROCPRIM_400000_NS6detail17trampoline_kernelINS0_14default_configENS1_25partition_config_selectorILNS1_17partition_subalgoE5EdNS0_10empty_typeEbEEZZNS1_14partition_implILS5_5ELb0ES3_mN6thrust23THRUST_200600_302600_NS6detail15normal_iteratorINSA_10device_ptrIdEEEEPS6_NSA_18transform_iteratorINSB_9not_fun_tI7is_trueIdEEESF_NSA_11use_defaultESM_EENS0_5tupleIJSF_S6_EEENSO_IJSG_SG_EEES6_PlJS6_EEE10hipError_tPvRmT3_T4_T5_T6_T7_T9_mT8_P12ihipStream_tbDpT10_ENKUlT_T0_E_clISt17integral_constantIbLb1EES1A_IbLb0EEEEDaS16_S17_EUlS16_E_NS1_11comp_targetILNS1_3genE0ELNS1_11target_archE4294967295ELNS1_3gpuE0ELNS1_3repE0EEENS1_30default_config_static_selectorELNS0_4arch9wavefront6targetE0EEEvT1_
    .private_segment_fixed_size: 0
    .sgpr_count:     0
    .sgpr_spill_count: 0
    .symbol:         _ZN7rocprim17ROCPRIM_400000_NS6detail17trampoline_kernelINS0_14default_configENS1_25partition_config_selectorILNS1_17partition_subalgoE5EdNS0_10empty_typeEbEEZZNS1_14partition_implILS5_5ELb0ES3_mN6thrust23THRUST_200600_302600_NS6detail15normal_iteratorINSA_10device_ptrIdEEEEPS6_NSA_18transform_iteratorINSB_9not_fun_tI7is_trueIdEEESF_NSA_11use_defaultESM_EENS0_5tupleIJSF_S6_EEENSO_IJSG_SG_EEES6_PlJS6_EEE10hipError_tPvRmT3_T4_T5_T6_T7_T9_mT8_P12ihipStream_tbDpT10_ENKUlT_T0_E_clISt17integral_constantIbLb1EES1A_IbLb0EEEEDaS16_S17_EUlS16_E_NS1_11comp_targetILNS1_3genE0ELNS1_11target_archE4294967295ELNS1_3gpuE0ELNS1_3repE0EEENS1_30default_config_static_selectorELNS0_4arch9wavefront6targetE0EEEvT1_.kd
    .uniform_work_group_size: 1
    .uses_dynamic_stack: false
    .vgpr_count:     0
    .vgpr_spill_count: 0
    .wavefront_size: 32
    .workgroup_processor_mode: 1
  - .args:
      - .offset:         0
        .size:           120
        .value_kind:     by_value
    .group_segment_fixed_size: 0
    .kernarg_segment_align: 8
    .kernarg_segment_size: 120
    .language:       OpenCL C
    .language_version:
      - 2
      - 0
    .max_flat_workgroup_size: 512
    .name:           _ZN7rocprim17ROCPRIM_400000_NS6detail17trampoline_kernelINS0_14default_configENS1_25partition_config_selectorILNS1_17partition_subalgoE5EdNS0_10empty_typeEbEEZZNS1_14partition_implILS5_5ELb0ES3_mN6thrust23THRUST_200600_302600_NS6detail15normal_iteratorINSA_10device_ptrIdEEEEPS6_NSA_18transform_iteratorINSB_9not_fun_tI7is_trueIdEEESF_NSA_11use_defaultESM_EENS0_5tupleIJSF_S6_EEENSO_IJSG_SG_EEES6_PlJS6_EEE10hipError_tPvRmT3_T4_T5_T6_T7_T9_mT8_P12ihipStream_tbDpT10_ENKUlT_T0_E_clISt17integral_constantIbLb1EES1A_IbLb0EEEEDaS16_S17_EUlS16_E_NS1_11comp_targetILNS1_3genE5ELNS1_11target_archE942ELNS1_3gpuE9ELNS1_3repE0EEENS1_30default_config_static_selectorELNS0_4arch9wavefront6targetE0EEEvT1_
    .private_segment_fixed_size: 0
    .sgpr_count:     0
    .sgpr_spill_count: 0
    .symbol:         _ZN7rocprim17ROCPRIM_400000_NS6detail17trampoline_kernelINS0_14default_configENS1_25partition_config_selectorILNS1_17partition_subalgoE5EdNS0_10empty_typeEbEEZZNS1_14partition_implILS5_5ELb0ES3_mN6thrust23THRUST_200600_302600_NS6detail15normal_iteratorINSA_10device_ptrIdEEEEPS6_NSA_18transform_iteratorINSB_9not_fun_tI7is_trueIdEEESF_NSA_11use_defaultESM_EENS0_5tupleIJSF_S6_EEENSO_IJSG_SG_EEES6_PlJS6_EEE10hipError_tPvRmT3_T4_T5_T6_T7_T9_mT8_P12ihipStream_tbDpT10_ENKUlT_T0_E_clISt17integral_constantIbLb1EES1A_IbLb0EEEEDaS16_S17_EUlS16_E_NS1_11comp_targetILNS1_3genE5ELNS1_11target_archE942ELNS1_3gpuE9ELNS1_3repE0EEENS1_30default_config_static_selectorELNS0_4arch9wavefront6targetE0EEEvT1_.kd
    .uniform_work_group_size: 1
    .uses_dynamic_stack: false
    .vgpr_count:     0
    .vgpr_spill_count: 0
    .wavefront_size: 32
    .workgroup_processor_mode: 1
  - .args:
      - .offset:         0
        .size:           120
        .value_kind:     by_value
    .group_segment_fixed_size: 0
    .kernarg_segment_align: 8
    .kernarg_segment_size: 120
    .language:       OpenCL C
    .language_version:
      - 2
      - 0
    .max_flat_workgroup_size: 192
    .name:           _ZN7rocprim17ROCPRIM_400000_NS6detail17trampoline_kernelINS0_14default_configENS1_25partition_config_selectorILNS1_17partition_subalgoE5EdNS0_10empty_typeEbEEZZNS1_14partition_implILS5_5ELb0ES3_mN6thrust23THRUST_200600_302600_NS6detail15normal_iteratorINSA_10device_ptrIdEEEEPS6_NSA_18transform_iteratorINSB_9not_fun_tI7is_trueIdEEESF_NSA_11use_defaultESM_EENS0_5tupleIJSF_S6_EEENSO_IJSG_SG_EEES6_PlJS6_EEE10hipError_tPvRmT3_T4_T5_T6_T7_T9_mT8_P12ihipStream_tbDpT10_ENKUlT_T0_E_clISt17integral_constantIbLb1EES1A_IbLb0EEEEDaS16_S17_EUlS16_E_NS1_11comp_targetILNS1_3genE4ELNS1_11target_archE910ELNS1_3gpuE8ELNS1_3repE0EEENS1_30default_config_static_selectorELNS0_4arch9wavefront6targetE0EEEvT1_
    .private_segment_fixed_size: 0
    .sgpr_count:     0
    .sgpr_spill_count: 0
    .symbol:         _ZN7rocprim17ROCPRIM_400000_NS6detail17trampoline_kernelINS0_14default_configENS1_25partition_config_selectorILNS1_17partition_subalgoE5EdNS0_10empty_typeEbEEZZNS1_14partition_implILS5_5ELb0ES3_mN6thrust23THRUST_200600_302600_NS6detail15normal_iteratorINSA_10device_ptrIdEEEEPS6_NSA_18transform_iteratorINSB_9not_fun_tI7is_trueIdEEESF_NSA_11use_defaultESM_EENS0_5tupleIJSF_S6_EEENSO_IJSG_SG_EEES6_PlJS6_EEE10hipError_tPvRmT3_T4_T5_T6_T7_T9_mT8_P12ihipStream_tbDpT10_ENKUlT_T0_E_clISt17integral_constantIbLb1EES1A_IbLb0EEEEDaS16_S17_EUlS16_E_NS1_11comp_targetILNS1_3genE4ELNS1_11target_archE910ELNS1_3gpuE8ELNS1_3repE0EEENS1_30default_config_static_selectorELNS0_4arch9wavefront6targetE0EEEvT1_.kd
    .uniform_work_group_size: 1
    .uses_dynamic_stack: false
    .vgpr_count:     0
    .vgpr_spill_count: 0
    .wavefront_size: 32
    .workgroup_processor_mode: 1
  - .args:
      - .offset:         0
        .size:           120
        .value_kind:     by_value
    .group_segment_fixed_size: 0
    .kernarg_segment_align: 8
    .kernarg_segment_size: 120
    .language:       OpenCL C
    .language_version:
      - 2
      - 0
    .max_flat_workgroup_size: 128
    .name:           _ZN7rocprim17ROCPRIM_400000_NS6detail17trampoline_kernelINS0_14default_configENS1_25partition_config_selectorILNS1_17partition_subalgoE5EdNS0_10empty_typeEbEEZZNS1_14partition_implILS5_5ELb0ES3_mN6thrust23THRUST_200600_302600_NS6detail15normal_iteratorINSA_10device_ptrIdEEEEPS6_NSA_18transform_iteratorINSB_9not_fun_tI7is_trueIdEEESF_NSA_11use_defaultESM_EENS0_5tupleIJSF_S6_EEENSO_IJSG_SG_EEES6_PlJS6_EEE10hipError_tPvRmT3_T4_T5_T6_T7_T9_mT8_P12ihipStream_tbDpT10_ENKUlT_T0_E_clISt17integral_constantIbLb1EES1A_IbLb0EEEEDaS16_S17_EUlS16_E_NS1_11comp_targetILNS1_3genE3ELNS1_11target_archE908ELNS1_3gpuE7ELNS1_3repE0EEENS1_30default_config_static_selectorELNS0_4arch9wavefront6targetE0EEEvT1_
    .private_segment_fixed_size: 0
    .sgpr_count:     0
    .sgpr_spill_count: 0
    .symbol:         _ZN7rocprim17ROCPRIM_400000_NS6detail17trampoline_kernelINS0_14default_configENS1_25partition_config_selectorILNS1_17partition_subalgoE5EdNS0_10empty_typeEbEEZZNS1_14partition_implILS5_5ELb0ES3_mN6thrust23THRUST_200600_302600_NS6detail15normal_iteratorINSA_10device_ptrIdEEEEPS6_NSA_18transform_iteratorINSB_9not_fun_tI7is_trueIdEEESF_NSA_11use_defaultESM_EENS0_5tupleIJSF_S6_EEENSO_IJSG_SG_EEES6_PlJS6_EEE10hipError_tPvRmT3_T4_T5_T6_T7_T9_mT8_P12ihipStream_tbDpT10_ENKUlT_T0_E_clISt17integral_constantIbLb1EES1A_IbLb0EEEEDaS16_S17_EUlS16_E_NS1_11comp_targetILNS1_3genE3ELNS1_11target_archE908ELNS1_3gpuE7ELNS1_3repE0EEENS1_30default_config_static_selectorELNS0_4arch9wavefront6targetE0EEEvT1_.kd
    .uniform_work_group_size: 1
    .uses_dynamic_stack: false
    .vgpr_count:     0
    .vgpr_spill_count: 0
    .wavefront_size: 32
    .workgroup_processor_mode: 1
  - .args:
      - .offset:         0
        .size:           120
        .value_kind:     by_value
    .group_segment_fixed_size: 0
    .kernarg_segment_align: 8
    .kernarg_segment_size: 120
    .language:       OpenCL C
    .language_version:
      - 2
      - 0
    .max_flat_workgroup_size: 256
    .name:           _ZN7rocprim17ROCPRIM_400000_NS6detail17trampoline_kernelINS0_14default_configENS1_25partition_config_selectorILNS1_17partition_subalgoE5EdNS0_10empty_typeEbEEZZNS1_14partition_implILS5_5ELb0ES3_mN6thrust23THRUST_200600_302600_NS6detail15normal_iteratorINSA_10device_ptrIdEEEEPS6_NSA_18transform_iteratorINSB_9not_fun_tI7is_trueIdEEESF_NSA_11use_defaultESM_EENS0_5tupleIJSF_S6_EEENSO_IJSG_SG_EEES6_PlJS6_EEE10hipError_tPvRmT3_T4_T5_T6_T7_T9_mT8_P12ihipStream_tbDpT10_ENKUlT_T0_E_clISt17integral_constantIbLb1EES1A_IbLb0EEEEDaS16_S17_EUlS16_E_NS1_11comp_targetILNS1_3genE2ELNS1_11target_archE906ELNS1_3gpuE6ELNS1_3repE0EEENS1_30default_config_static_selectorELNS0_4arch9wavefront6targetE0EEEvT1_
    .private_segment_fixed_size: 0
    .sgpr_count:     0
    .sgpr_spill_count: 0
    .symbol:         _ZN7rocprim17ROCPRIM_400000_NS6detail17trampoline_kernelINS0_14default_configENS1_25partition_config_selectorILNS1_17partition_subalgoE5EdNS0_10empty_typeEbEEZZNS1_14partition_implILS5_5ELb0ES3_mN6thrust23THRUST_200600_302600_NS6detail15normal_iteratorINSA_10device_ptrIdEEEEPS6_NSA_18transform_iteratorINSB_9not_fun_tI7is_trueIdEEESF_NSA_11use_defaultESM_EENS0_5tupleIJSF_S6_EEENSO_IJSG_SG_EEES6_PlJS6_EEE10hipError_tPvRmT3_T4_T5_T6_T7_T9_mT8_P12ihipStream_tbDpT10_ENKUlT_T0_E_clISt17integral_constantIbLb1EES1A_IbLb0EEEEDaS16_S17_EUlS16_E_NS1_11comp_targetILNS1_3genE2ELNS1_11target_archE906ELNS1_3gpuE6ELNS1_3repE0EEENS1_30default_config_static_selectorELNS0_4arch9wavefront6targetE0EEEvT1_.kd
    .uniform_work_group_size: 1
    .uses_dynamic_stack: false
    .vgpr_count:     0
    .vgpr_spill_count: 0
    .wavefront_size: 32
    .workgroup_processor_mode: 1
  - .args:
      - .offset:         0
        .size:           120
        .value_kind:     by_value
    .group_segment_fixed_size: 0
    .kernarg_segment_align: 8
    .kernarg_segment_size: 120
    .language:       OpenCL C
    .language_version:
      - 2
      - 0
    .max_flat_workgroup_size: 256
    .name:           _ZN7rocprim17ROCPRIM_400000_NS6detail17trampoline_kernelINS0_14default_configENS1_25partition_config_selectorILNS1_17partition_subalgoE5EdNS0_10empty_typeEbEEZZNS1_14partition_implILS5_5ELb0ES3_mN6thrust23THRUST_200600_302600_NS6detail15normal_iteratorINSA_10device_ptrIdEEEEPS6_NSA_18transform_iteratorINSB_9not_fun_tI7is_trueIdEEESF_NSA_11use_defaultESM_EENS0_5tupleIJSF_S6_EEENSO_IJSG_SG_EEES6_PlJS6_EEE10hipError_tPvRmT3_T4_T5_T6_T7_T9_mT8_P12ihipStream_tbDpT10_ENKUlT_T0_E_clISt17integral_constantIbLb1EES1A_IbLb0EEEEDaS16_S17_EUlS16_E_NS1_11comp_targetILNS1_3genE10ELNS1_11target_archE1200ELNS1_3gpuE4ELNS1_3repE0EEENS1_30default_config_static_selectorELNS0_4arch9wavefront6targetE0EEEvT1_
    .private_segment_fixed_size: 0
    .sgpr_count:     0
    .sgpr_spill_count: 0
    .symbol:         _ZN7rocprim17ROCPRIM_400000_NS6detail17trampoline_kernelINS0_14default_configENS1_25partition_config_selectorILNS1_17partition_subalgoE5EdNS0_10empty_typeEbEEZZNS1_14partition_implILS5_5ELb0ES3_mN6thrust23THRUST_200600_302600_NS6detail15normal_iteratorINSA_10device_ptrIdEEEEPS6_NSA_18transform_iteratorINSB_9not_fun_tI7is_trueIdEEESF_NSA_11use_defaultESM_EENS0_5tupleIJSF_S6_EEENSO_IJSG_SG_EEES6_PlJS6_EEE10hipError_tPvRmT3_T4_T5_T6_T7_T9_mT8_P12ihipStream_tbDpT10_ENKUlT_T0_E_clISt17integral_constantIbLb1EES1A_IbLb0EEEEDaS16_S17_EUlS16_E_NS1_11comp_targetILNS1_3genE10ELNS1_11target_archE1200ELNS1_3gpuE4ELNS1_3repE0EEENS1_30default_config_static_selectorELNS0_4arch9wavefront6targetE0EEEvT1_.kd
    .uniform_work_group_size: 1
    .uses_dynamic_stack: false
    .vgpr_count:     0
    .vgpr_spill_count: 0
    .wavefront_size: 32
    .workgroup_processor_mode: 1
  - .args:
      - .offset:         0
        .size:           120
        .value_kind:     by_value
    .group_segment_fixed_size: 0
    .kernarg_segment_align: 8
    .kernarg_segment_size: 120
    .language:       OpenCL C
    .language_version:
      - 2
      - 0
    .max_flat_workgroup_size: 128
    .name:           _ZN7rocprim17ROCPRIM_400000_NS6detail17trampoline_kernelINS0_14default_configENS1_25partition_config_selectorILNS1_17partition_subalgoE5EdNS0_10empty_typeEbEEZZNS1_14partition_implILS5_5ELb0ES3_mN6thrust23THRUST_200600_302600_NS6detail15normal_iteratorINSA_10device_ptrIdEEEEPS6_NSA_18transform_iteratorINSB_9not_fun_tI7is_trueIdEEESF_NSA_11use_defaultESM_EENS0_5tupleIJSF_S6_EEENSO_IJSG_SG_EEES6_PlJS6_EEE10hipError_tPvRmT3_T4_T5_T6_T7_T9_mT8_P12ihipStream_tbDpT10_ENKUlT_T0_E_clISt17integral_constantIbLb1EES1A_IbLb0EEEEDaS16_S17_EUlS16_E_NS1_11comp_targetILNS1_3genE9ELNS1_11target_archE1100ELNS1_3gpuE3ELNS1_3repE0EEENS1_30default_config_static_selectorELNS0_4arch9wavefront6targetE0EEEvT1_
    .private_segment_fixed_size: 0
    .sgpr_count:     0
    .sgpr_spill_count: 0
    .symbol:         _ZN7rocprim17ROCPRIM_400000_NS6detail17trampoline_kernelINS0_14default_configENS1_25partition_config_selectorILNS1_17partition_subalgoE5EdNS0_10empty_typeEbEEZZNS1_14partition_implILS5_5ELb0ES3_mN6thrust23THRUST_200600_302600_NS6detail15normal_iteratorINSA_10device_ptrIdEEEEPS6_NSA_18transform_iteratorINSB_9not_fun_tI7is_trueIdEEESF_NSA_11use_defaultESM_EENS0_5tupleIJSF_S6_EEENSO_IJSG_SG_EEES6_PlJS6_EEE10hipError_tPvRmT3_T4_T5_T6_T7_T9_mT8_P12ihipStream_tbDpT10_ENKUlT_T0_E_clISt17integral_constantIbLb1EES1A_IbLb0EEEEDaS16_S17_EUlS16_E_NS1_11comp_targetILNS1_3genE9ELNS1_11target_archE1100ELNS1_3gpuE3ELNS1_3repE0EEENS1_30default_config_static_selectorELNS0_4arch9wavefront6targetE0EEEvT1_.kd
    .uniform_work_group_size: 1
    .uses_dynamic_stack: false
    .vgpr_count:     0
    .vgpr_spill_count: 0
    .wavefront_size: 32
    .workgroup_processor_mode: 1
  - .args:
      - .offset:         0
        .size:           120
        .value_kind:     by_value
    .group_segment_fixed_size: 0
    .kernarg_segment_align: 8
    .kernarg_segment_size: 120
    .language:       OpenCL C
    .language_version:
      - 2
      - 0
    .max_flat_workgroup_size: 512
    .name:           _ZN7rocprim17ROCPRIM_400000_NS6detail17trampoline_kernelINS0_14default_configENS1_25partition_config_selectorILNS1_17partition_subalgoE5EdNS0_10empty_typeEbEEZZNS1_14partition_implILS5_5ELb0ES3_mN6thrust23THRUST_200600_302600_NS6detail15normal_iteratorINSA_10device_ptrIdEEEEPS6_NSA_18transform_iteratorINSB_9not_fun_tI7is_trueIdEEESF_NSA_11use_defaultESM_EENS0_5tupleIJSF_S6_EEENSO_IJSG_SG_EEES6_PlJS6_EEE10hipError_tPvRmT3_T4_T5_T6_T7_T9_mT8_P12ihipStream_tbDpT10_ENKUlT_T0_E_clISt17integral_constantIbLb1EES1A_IbLb0EEEEDaS16_S17_EUlS16_E_NS1_11comp_targetILNS1_3genE8ELNS1_11target_archE1030ELNS1_3gpuE2ELNS1_3repE0EEENS1_30default_config_static_selectorELNS0_4arch9wavefront6targetE0EEEvT1_
    .private_segment_fixed_size: 0
    .sgpr_count:     0
    .sgpr_spill_count: 0
    .symbol:         _ZN7rocprim17ROCPRIM_400000_NS6detail17trampoline_kernelINS0_14default_configENS1_25partition_config_selectorILNS1_17partition_subalgoE5EdNS0_10empty_typeEbEEZZNS1_14partition_implILS5_5ELb0ES3_mN6thrust23THRUST_200600_302600_NS6detail15normal_iteratorINSA_10device_ptrIdEEEEPS6_NSA_18transform_iteratorINSB_9not_fun_tI7is_trueIdEEESF_NSA_11use_defaultESM_EENS0_5tupleIJSF_S6_EEENSO_IJSG_SG_EEES6_PlJS6_EEE10hipError_tPvRmT3_T4_T5_T6_T7_T9_mT8_P12ihipStream_tbDpT10_ENKUlT_T0_E_clISt17integral_constantIbLb1EES1A_IbLb0EEEEDaS16_S17_EUlS16_E_NS1_11comp_targetILNS1_3genE8ELNS1_11target_archE1030ELNS1_3gpuE2ELNS1_3repE0EEENS1_30default_config_static_selectorELNS0_4arch9wavefront6targetE0EEEvT1_.kd
    .uniform_work_group_size: 1
    .uses_dynamic_stack: false
    .vgpr_count:     0
    .vgpr_spill_count: 0
    .wavefront_size: 32
    .workgroup_processor_mode: 1
  - .args:
      - .offset:         0
        .size:           136
        .value_kind:     by_value
    .group_segment_fixed_size: 0
    .kernarg_segment_align: 8
    .kernarg_segment_size: 136
    .language:       OpenCL C
    .language_version:
      - 2
      - 0
    .max_flat_workgroup_size: 128
    .name:           _ZN7rocprim17ROCPRIM_400000_NS6detail17trampoline_kernelINS0_14default_configENS1_25partition_config_selectorILNS1_17partition_subalgoE5EdNS0_10empty_typeEbEEZZNS1_14partition_implILS5_5ELb0ES3_mN6thrust23THRUST_200600_302600_NS6detail15normal_iteratorINSA_10device_ptrIdEEEEPS6_NSA_18transform_iteratorINSB_9not_fun_tI7is_trueIdEEESF_NSA_11use_defaultESM_EENS0_5tupleIJSF_S6_EEENSO_IJSG_SG_EEES6_PlJS6_EEE10hipError_tPvRmT3_T4_T5_T6_T7_T9_mT8_P12ihipStream_tbDpT10_ENKUlT_T0_E_clISt17integral_constantIbLb0EES1A_IbLb1EEEEDaS16_S17_EUlS16_E_NS1_11comp_targetILNS1_3genE0ELNS1_11target_archE4294967295ELNS1_3gpuE0ELNS1_3repE0EEENS1_30default_config_static_selectorELNS0_4arch9wavefront6targetE0EEEvT1_
    .private_segment_fixed_size: 0
    .sgpr_count:     0
    .sgpr_spill_count: 0
    .symbol:         _ZN7rocprim17ROCPRIM_400000_NS6detail17trampoline_kernelINS0_14default_configENS1_25partition_config_selectorILNS1_17partition_subalgoE5EdNS0_10empty_typeEbEEZZNS1_14partition_implILS5_5ELb0ES3_mN6thrust23THRUST_200600_302600_NS6detail15normal_iteratorINSA_10device_ptrIdEEEEPS6_NSA_18transform_iteratorINSB_9not_fun_tI7is_trueIdEEESF_NSA_11use_defaultESM_EENS0_5tupleIJSF_S6_EEENSO_IJSG_SG_EEES6_PlJS6_EEE10hipError_tPvRmT3_T4_T5_T6_T7_T9_mT8_P12ihipStream_tbDpT10_ENKUlT_T0_E_clISt17integral_constantIbLb0EES1A_IbLb1EEEEDaS16_S17_EUlS16_E_NS1_11comp_targetILNS1_3genE0ELNS1_11target_archE4294967295ELNS1_3gpuE0ELNS1_3repE0EEENS1_30default_config_static_selectorELNS0_4arch9wavefront6targetE0EEEvT1_.kd
    .uniform_work_group_size: 1
    .uses_dynamic_stack: false
    .vgpr_count:     0
    .vgpr_spill_count: 0
    .wavefront_size: 32
    .workgroup_processor_mode: 1
  - .args:
      - .offset:         0
        .size:           136
        .value_kind:     by_value
    .group_segment_fixed_size: 0
    .kernarg_segment_align: 8
    .kernarg_segment_size: 136
    .language:       OpenCL C
    .language_version:
      - 2
      - 0
    .max_flat_workgroup_size: 512
    .name:           _ZN7rocprim17ROCPRIM_400000_NS6detail17trampoline_kernelINS0_14default_configENS1_25partition_config_selectorILNS1_17partition_subalgoE5EdNS0_10empty_typeEbEEZZNS1_14partition_implILS5_5ELb0ES3_mN6thrust23THRUST_200600_302600_NS6detail15normal_iteratorINSA_10device_ptrIdEEEEPS6_NSA_18transform_iteratorINSB_9not_fun_tI7is_trueIdEEESF_NSA_11use_defaultESM_EENS0_5tupleIJSF_S6_EEENSO_IJSG_SG_EEES6_PlJS6_EEE10hipError_tPvRmT3_T4_T5_T6_T7_T9_mT8_P12ihipStream_tbDpT10_ENKUlT_T0_E_clISt17integral_constantIbLb0EES1A_IbLb1EEEEDaS16_S17_EUlS16_E_NS1_11comp_targetILNS1_3genE5ELNS1_11target_archE942ELNS1_3gpuE9ELNS1_3repE0EEENS1_30default_config_static_selectorELNS0_4arch9wavefront6targetE0EEEvT1_
    .private_segment_fixed_size: 0
    .sgpr_count:     0
    .sgpr_spill_count: 0
    .symbol:         _ZN7rocprim17ROCPRIM_400000_NS6detail17trampoline_kernelINS0_14default_configENS1_25partition_config_selectorILNS1_17partition_subalgoE5EdNS0_10empty_typeEbEEZZNS1_14partition_implILS5_5ELb0ES3_mN6thrust23THRUST_200600_302600_NS6detail15normal_iteratorINSA_10device_ptrIdEEEEPS6_NSA_18transform_iteratorINSB_9not_fun_tI7is_trueIdEEESF_NSA_11use_defaultESM_EENS0_5tupleIJSF_S6_EEENSO_IJSG_SG_EEES6_PlJS6_EEE10hipError_tPvRmT3_T4_T5_T6_T7_T9_mT8_P12ihipStream_tbDpT10_ENKUlT_T0_E_clISt17integral_constantIbLb0EES1A_IbLb1EEEEDaS16_S17_EUlS16_E_NS1_11comp_targetILNS1_3genE5ELNS1_11target_archE942ELNS1_3gpuE9ELNS1_3repE0EEENS1_30default_config_static_selectorELNS0_4arch9wavefront6targetE0EEEvT1_.kd
    .uniform_work_group_size: 1
    .uses_dynamic_stack: false
    .vgpr_count:     0
    .vgpr_spill_count: 0
    .wavefront_size: 32
    .workgroup_processor_mode: 1
  - .args:
      - .offset:         0
        .size:           136
        .value_kind:     by_value
    .group_segment_fixed_size: 0
    .kernarg_segment_align: 8
    .kernarg_segment_size: 136
    .language:       OpenCL C
    .language_version:
      - 2
      - 0
    .max_flat_workgroup_size: 192
    .name:           _ZN7rocprim17ROCPRIM_400000_NS6detail17trampoline_kernelINS0_14default_configENS1_25partition_config_selectorILNS1_17partition_subalgoE5EdNS0_10empty_typeEbEEZZNS1_14partition_implILS5_5ELb0ES3_mN6thrust23THRUST_200600_302600_NS6detail15normal_iteratorINSA_10device_ptrIdEEEEPS6_NSA_18transform_iteratorINSB_9not_fun_tI7is_trueIdEEESF_NSA_11use_defaultESM_EENS0_5tupleIJSF_S6_EEENSO_IJSG_SG_EEES6_PlJS6_EEE10hipError_tPvRmT3_T4_T5_T6_T7_T9_mT8_P12ihipStream_tbDpT10_ENKUlT_T0_E_clISt17integral_constantIbLb0EES1A_IbLb1EEEEDaS16_S17_EUlS16_E_NS1_11comp_targetILNS1_3genE4ELNS1_11target_archE910ELNS1_3gpuE8ELNS1_3repE0EEENS1_30default_config_static_selectorELNS0_4arch9wavefront6targetE0EEEvT1_
    .private_segment_fixed_size: 0
    .sgpr_count:     0
    .sgpr_spill_count: 0
    .symbol:         _ZN7rocprim17ROCPRIM_400000_NS6detail17trampoline_kernelINS0_14default_configENS1_25partition_config_selectorILNS1_17partition_subalgoE5EdNS0_10empty_typeEbEEZZNS1_14partition_implILS5_5ELb0ES3_mN6thrust23THRUST_200600_302600_NS6detail15normal_iteratorINSA_10device_ptrIdEEEEPS6_NSA_18transform_iteratorINSB_9not_fun_tI7is_trueIdEEESF_NSA_11use_defaultESM_EENS0_5tupleIJSF_S6_EEENSO_IJSG_SG_EEES6_PlJS6_EEE10hipError_tPvRmT3_T4_T5_T6_T7_T9_mT8_P12ihipStream_tbDpT10_ENKUlT_T0_E_clISt17integral_constantIbLb0EES1A_IbLb1EEEEDaS16_S17_EUlS16_E_NS1_11comp_targetILNS1_3genE4ELNS1_11target_archE910ELNS1_3gpuE8ELNS1_3repE0EEENS1_30default_config_static_selectorELNS0_4arch9wavefront6targetE0EEEvT1_.kd
    .uniform_work_group_size: 1
    .uses_dynamic_stack: false
    .vgpr_count:     0
    .vgpr_spill_count: 0
    .wavefront_size: 32
    .workgroup_processor_mode: 1
  - .args:
      - .offset:         0
        .size:           136
        .value_kind:     by_value
    .group_segment_fixed_size: 0
    .kernarg_segment_align: 8
    .kernarg_segment_size: 136
    .language:       OpenCL C
    .language_version:
      - 2
      - 0
    .max_flat_workgroup_size: 128
    .name:           _ZN7rocprim17ROCPRIM_400000_NS6detail17trampoline_kernelINS0_14default_configENS1_25partition_config_selectorILNS1_17partition_subalgoE5EdNS0_10empty_typeEbEEZZNS1_14partition_implILS5_5ELb0ES3_mN6thrust23THRUST_200600_302600_NS6detail15normal_iteratorINSA_10device_ptrIdEEEEPS6_NSA_18transform_iteratorINSB_9not_fun_tI7is_trueIdEEESF_NSA_11use_defaultESM_EENS0_5tupleIJSF_S6_EEENSO_IJSG_SG_EEES6_PlJS6_EEE10hipError_tPvRmT3_T4_T5_T6_T7_T9_mT8_P12ihipStream_tbDpT10_ENKUlT_T0_E_clISt17integral_constantIbLb0EES1A_IbLb1EEEEDaS16_S17_EUlS16_E_NS1_11comp_targetILNS1_3genE3ELNS1_11target_archE908ELNS1_3gpuE7ELNS1_3repE0EEENS1_30default_config_static_selectorELNS0_4arch9wavefront6targetE0EEEvT1_
    .private_segment_fixed_size: 0
    .sgpr_count:     0
    .sgpr_spill_count: 0
    .symbol:         _ZN7rocprim17ROCPRIM_400000_NS6detail17trampoline_kernelINS0_14default_configENS1_25partition_config_selectorILNS1_17partition_subalgoE5EdNS0_10empty_typeEbEEZZNS1_14partition_implILS5_5ELb0ES3_mN6thrust23THRUST_200600_302600_NS6detail15normal_iteratorINSA_10device_ptrIdEEEEPS6_NSA_18transform_iteratorINSB_9not_fun_tI7is_trueIdEEESF_NSA_11use_defaultESM_EENS0_5tupleIJSF_S6_EEENSO_IJSG_SG_EEES6_PlJS6_EEE10hipError_tPvRmT3_T4_T5_T6_T7_T9_mT8_P12ihipStream_tbDpT10_ENKUlT_T0_E_clISt17integral_constantIbLb0EES1A_IbLb1EEEEDaS16_S17_EUlS16_E_NS1_11comp_targetILNS1_3genE3ELNS1_11target_archE908ELNS1_3gpuE7ELNS1_3repE0EEENS1_30default_config_static_selectorELNS0_4arch9wavefront6targetE0EEEvT1_.kd
    .uniform_work_group_size: 1
    .uses_dynamic_stack: false
    .vgpr_count:     0
    .vgpr_spill_count: 0
    .wavefront_size: 32
    .workgroup_processor_mode: 1
  - .args:
      - .offset:         0
        .size:           136
        .value_kind:     by_value
    .group_segment_fixed_size: 0
    .kernarg_segment_align: 8
    .kernarg_segment_size: 136
    .language:       OpenCL C
    .language_version:
      - 2
      - 0
    .max_flat_workgroup_size: 256
    .name:           _ZN7rocprim17ROCPRIM_400000_NS6detail17trampoline_kernelINS0_14default_configENS1_25partition_config_selectorILNS1_17partition_subalgoE5EdNS0_10empty_typeEbEEZZNS1_14partition_implILS5_5ELb0ES3_mN6thrust23THRUST_200600_302600_NS6detail15normal_iteratorINSA_10device_ptrIdEEEEPS6_NSA_18transform_iteratorINSB_9not_fun_tI7is_trueIdEEESF_NSA_11use_defaultESM_EENS0_5tupleIJSF_S6_EEENSO_IJSG_SG_EEES6_PlJS6_EEE10hipError_tPvRmT3_T4_T5_T6_T7_T9_mT8_P12ihipStream_tbDpT10_ENKUlT_T0_E_clISt17integral_constantIbLb0EES1A_IbLb1EEEEDaS16_S17_EUlS16_E_NS1_11comp_targetILNS1_3genE2ELNS1_11target_archE906ELNS1_3gpuE6ELNS1_3repE0EEENS1_30default_config_static_selectorELNS0_4arch9wavefront6targetE0EEEvT1_
    .private_segment_fixed_size: 0
    .sgpr_count:     0
    .sgpr_spill_count: 0
    .symbol:         _ZN7rocprim17ROCPRIM_400000_NS6detail17trampoline_kernelINS0_14default_configENS1_25partition_config_selectorILNS1_17partition_subalgoE5EdNS0_10empty_typeEbEEZZNS1_14partition_implILS5_5ELb0ES3_mN6thrust23THRUST_200600_302600_NS6detail15normal_iteratorINSA_10device_ptrIdEEEEPS6_NSA_18transform_iteratorINSB_9not_fun_tI7is_trueIdEEESF_NSA_11use_defaultESM_EENS0_5tupleIJSF_S6_EEENSO_IJSG_SG_EEES6_PlJS6_EEE10hipError_tPvRmT3_T4_T5_T6_T7_T9_mT8_P12ihipStream_tbDpT10_ENKUlT_T0_E_clISt17integral_constantIbLb0EES1A_IbLb1EEEEDaS16_S17_EUlS16_E_NS1_11comp_targetILNS1_3genE2ELNS1_11target_archE906ELNS1_3gpuE6ELNS1_3repE0EEENS1_30default_config_static_selectorELNS0_4arch9wavefront6targetE0EEEvT1_.kd
    .uniform_work_group_size: 1
    .uses_dynamic_stack: false
    .vgpr_count:     0
    .vgpr_spill_count: 0
    .wavefront_size: 32
    .workgroup_processor_mode: 1
  - .args:
      - .offset:         0
        .size:           136
        .value_kind:     by_value
    .group_segment_fixed_size: 10256
    .kernarg_segment_align: 8
    .kernarg_segment_size: 136
    .language:       OpenCL C
    .language_version:
      - 2
      - 0
    .max_flat_workgroup_size: 256
    .name:           _ZN7rocprim17ROCPRIM_400000_NS6detail17trampoline_kernelINS0_14default_configENS1_25partition_config_selectorILNS1_17partition_subalgoE5EdNS0_10empty_typeEbEEZZNS1_14partition_implILS5_5ELb0ES3_mN6thrust23THRUST_200600_302600_NS6detail15normal_iteratorINSA_10device_ptrIdEEEEPS6_NSA_18transform_iteratorINSB_9not_fun_tI7is_trueIdEEESF_NSA_11use_defaultESM_EENS0_5tupleIJSF_S6_EEENSO_IJSG_SG_EEES6_PlJS6_EEE10hipError_tPvRmT3_T4_T5_T6_T7_T9_mT8_P12ihipStream_tbDpT10_ENKUlT_T0_E_clISt17integral_constantIbLb0EES1A_IbLb1EEEEDaS16_S17_EUlS16_E_NS1_11comp_targetILNS1_3genE10ELNS1_11target_archE1200ELNS1_3gpuE4ELNS1_3repE0EEENS1_30default_config_static_selectorELNS0_4arch9wavefront6targetE0EEEvT1_
    .private_segment_fixed_size: 0
    .sgpr_count:     26
    .sgpr_spill_count: 0
    .symbol:         _ZN7rocprim17ROCPRIM_400000_NS6detail17trampoline_kernelINS0_14default_configENS1_25partition_config_selectorILNS1_17partition_subalgoE5EdNS0_10empty_typeEbEEZZNS1_14partition_implILS5_5ELb0ES3_mN6thrust23THRUST_200600_302600_NS6detail15normal_iteratorINSA_10device_ptrIdEEEEPS6_NSA_18transform_iteratorINSB_9not_fun_tI7is_trueIdEEESF_NSA_11use_defaultESM_EENS0_5tupleIJSF_S6_EEENSO_IJSG_SG_EEES6_PlJS6_EEE10hipError_tPvRmT3_T4_T5_T6_T7_T9_mT8_P12ihipStream_tbDpT10_ENKUlT_T0_E_clISt17integral_constantIbLb0EES1A_IbLb1EEEEDaS16_S17_EUlS16_E_NS1_11comp_targetILNS1_3genE10ELNS1_11target_archE1200ELNS1_3gpuE4ELNS1_3repE0EEENS1_30default_config_static_selectorELNS0_4arch9wavefront6targetE0EEEvT1_.kd
    .uniform_work_group_size: 1
    .uses_dynamic_stack: false
    .vgpr_count:     50
    .vgpr_spill_count: 0
    .wavefront_size: 32
    .workgroup_processor_mode: 1
  - .args:
      - .offset:         0
        .size:           136
        .value_kind:     by_value
    .group_segment_fixed_size: 0
    .kernarg_segment_align: 8
    .kernarg_segment_size: 136
    .language:       OpenCL C
    .language_version:
      - 2
      - 0
    .max_flat_workgroup_size: 128
    .name:           _ZN7rocprim17ROCPRIM_400000_NS6detail17trampoline_kernelINS0_14default_configENS1_25partition_config_selectorILNS1_17partition_subalgoE5EdNS0_10empty_typeEbEEZZNS1_14partition_implILS5_5ELb0ES3_mN6thrust23THRUST_200600_302600_NS6detail15normal_iteratorINSA_10device_ptrIdEEEEPS6_NSA_18transform_iteratorINSB_9not_fun_tI7is_trueIdEEESF_NSA_11use_defaultESM_EENS0_5tupleIJSF_S6_EEENSO_IJSG_SG_EEES6_PlJS6_EEE10hipError_tPvRmT3_T4_T5_T6_T7_T9_mT8_P12ihipStream_tbDpT10_ENKUlT_T0_E_clISt17integral_constantIbLb0EES1A_IbLb1EEEEDaS16_S17_EUlS16_E_NS1_11comp_targetILNS1_3genE9ELNS1_11target_archE1100ELNS1_3gpuE3ELNS1_3repE0EEENS1_30default_config_static_selectorELNS0_4arch9wavefront6targetE0EEEvT1_
    .private_segment_fixed_size: 0
    .sgpr_count:     0
    .sgpr_spill_count: 0
    .symbol:         _ZN7rocprim17ROCPRIM_400000_NS6detail17trampoline_kernelINS0_14default_configENS1_25partition_config_selectorILNS1_17partition_subalgoE5EdNS0_10empty_typeEbEEZZNS1_14partition_implILS5_5ELb0ES3_mN6thrust23THRUST_200600_302600_NS6detail15normal_iteratorINSA_10device_ptrIdEEEEPS6_NSA_18transform_iteratorINSB_9not_fun_tI7is_trueIdEEESF_NSA_11use_defaultESM_EENS0_5tupleIJSF_S6_EEENSO_IJSG_SG_EEES6_PlJS6_EEE10hipError_tPvRmT3_T4_T5_T6_T7_T9_mT8_P12ihipStream_tbDpT10_ENKUlT_T0_E_clISt17integral_constantIbLb0EES1A_IbLb1EEEEDaS16_S17_EUlS16_E_NS1_11comp_targetILNS1_3genE9ELNS1_11target_archE1100ELNS1_3gpuE3ELNS1_3repE0EEENS1_30default_config_static_selectorELNS0_4arch9wavefront6targetE0EEEvT1_.kd
    .uniform_work_group_size: 1
    .uses_dynamic_stack: false
    .vgpr_count:     0
    .vgpr_spill_count: 0
    .wavefront_size: 32
    .workgroup_processor_mode: 1
  - .args:
      - .offset:         0
        .size:           136
        .value_kind:     by_value
    .group_segment_fixed_size: 0
    .kernarg_segment_align: 8
    .kernarg_segment_size: 136
    .language:       OpenCL C
    .language_version:
      - 2
      - 0
    .max_flat_workgroup_size: 512
    .name:           _ZN7rocprim17ROCPRIM_400000_NS6detail17trampoline_kernelINS0_14default_configENS1_25partition_config_selectorILNS1_17partition_subalgoE5EdNS0_10empty_typeEbEEZZNS1_14partition_implILS5_5ELb0ES3_mN6thrust23THRUST_200600_302600_NS6detail15normal_iteratorINSA_10device_ptrIdEEEEPS6_NSA_18transform_iteratorINSB_9not_fun_tI7is_trueIdEEESF_NSA_11use_defaultESM_EENS0_5tupleIJSF_S6_EEENSO_IJSG_SG_EEES6_PlJS6_EEE10hipError_tPvRmT3_T4_T5_T6_T7_T9_mT8_P12ihipStream_tbDpT10_ENKUlT_T0_E_clISt17integral_constantIbLb0EES1A_IbLb1EEEEDaS16_S17_EUlS16_E_NS1_11comp_targetILNS1_3genE8ELNS1_11target_archE1030ELNS1_3gpuE2ELNS1_3repE0EEENS1_30default_config_static_selectorELNS0_4arch9wavefront6targetE0EEEvT1_
    .private_segment_fixed_size: 0
    .sgpr_count:     0
    .sgpr_spill_count: 0
    .symbol:         _ZN7rocprim17ROCPRIM_400000_NS6detail17trampoline_kernelINS0_14default_configENS1_25partition_config_selectorILNS1_17partition_subalgoE5EdNS0_10empty_typeEbEEZZNS1_14partition_implILS5_5ELb0ES3_mN6thrust23THRUST_200600_302600_NS6detail15normal_iteratorINSA_10device_ptrIdEEEEPS6_NSA_18transform_iteratorINSB_9not_fun_tI7is_trueIdEEESF_NSA_11use_defaultESM_EENS0_5tupleIJSF_S6_EEENSO_IJSG_SG_EEES6_PlJS6_EEE10hipError_tPvRmT3_T4_T5_T6_T7_T9_mT8_P12ihipStream_tbDpT10_ENKUlT_T0_E_clISt17integral_constantIbLb0EES1A_IbLb1EEEEDaS16_S17_EUlS16_E_NS1_11comp_targetILNS1_3genE8ELNS1_11target_archE1030ELNS1_3gpuE2ELNS1_3repE0EEENS1_30default_config_static_selectorELNS0_4arch9wavefront6targetE0EEEvT1_.kd
    .uniform_work_group_size: 1
    .uses_dynamic_stack: false
    .vgpr_count:     0
    .vgpr_spill_count: 0
    .wavefront_size: 32
    .workgroup_processor_mode: 1
  - .args:
      - .offset:         0
        .size:           24
        .value_kind:     by_value
      - .offset:         24
        .size:           8
        .value_kind:     by_value
      - .offset:         32
        .size:           8
        .value_kind:     by_value
    .group_segment_fixed_size: 0
    .kernarg_segment_align: 8
    .kernarg_segment_size: 40
    .language:       OpenCL C
    .language_version:
      - 2
      - 0
    .max_flat_workgroup_size: 256
    .name:           _ZN6thrust23THRUST_200600_302600_NS11hip_rocprim14__parallel_for6kernelILj256ENS1_11__transform17unary_transform_fINS0_7pointerIbNS1_3tagENS0_11use_defaultES8_EENS0_10device_ptrIfEENS4_14no_stencil_tagENS0_8identityIbEENS4_21always_true_predicateEEElLj1EEEvT0_T1_SI_
    .private_segment_fixed_size: 0
    .sgpr_count:     14
    .sgpr_spill_count: 0
    .symbol:         _ZN6thrust23THRUST_200600_302600_NS11hip_rocprim14__parallel_for6kernelILj256ENS1_11__transform17unary_transform_fINS0_7pointerIbNS1_3tagENS0_11use_defaultES8_EENS0_10device_ptrIfEENS4_14no_stencil_tagENS0_8identityIbEENS4_21always_true_predicateEEElLj1EEEvT0_T1_SI_.kd
    .uniform_work_group_size: 1
    .uses_dynamic_stack: false
    .vgpr_count:     5
    .vgpr_spill_count: 0
    .wavefront_size: 32
    .workgroup_processor_mode: 1
  - .args:
      - .offset:         0
        .size:           120
        .value_kind:     by_value
    .group_segment_fixed_size: 0
    .kernarg_segment_align: 8
    .kernarg_segment_size: 120
    .language:       OpenCL C
    .language_version:
      - 2
      - 0
    .max_flat_workgroup_size: 512
    .name:           _ZN7rocprim17ROCPRIM_400000_NS6detail17trampoline_kernelINS0_14default_configENS1_25partition_config_selectorILNS1_17partition_subalgoE5EfNS0_10empty_typeEbEEZZNS1_14partition_implILS5_5ELb0ES3_mN6thrust23THRUST_200600_302600_NS6detail15normal_iteratorINSA_10device_ptrIfEEEEPS6_NSA_18transform_iteratorINSB_9not_fun_tI7is_trueIfEEESF_NSA_11use_defaultESM_EENS0_5tupleIJSF_S6_EEENSO_IJSG_SG_EEES6_PlJS6_EEE10hipError_tPvRmT3_T4_T5_T6_T7_T9_mT8_P12ihipStream_tbDpT10_ENKUlT_T0_E_clISt17integral_constantIbLb0EES1B_EEDaS16_S17_EUlS16_E_NS1_11comp_targetILNS1_3genE0ELNS1_11target_archE4294967295ELNS1_3gpuE0ELNS1_3repE0EEENS1_30default_config_static_selectorELNS0_4arch9wavefront6targetE0EEEvT1_
    .private_segment_fixed_size: 0
    .sgpr_count:     0
    .sgpr_spill_count: 0
    .symbol:         _ZN7rocprim17ROCPRIM_400000_NS6detail17trampoline_kernelINS0_14default_configENS1_25partition_config_selectorILNS1_17partition_subalgoE5EfNS0_10empty_typeEbEEZZNS1_14partition_implILS5_5ELb0ES3_mN6thrust23THRUST_200600_302600_NS6detail15normal_iteratorINSA_10device_ptrIfEEEEPS6_NSA_18transform_iteratorINSB_9not_fun_tI7is_trueIfEEESF_NSA_11use_defaultESM_EENS0_5tupleIJSF_S6_EEENSO_IJSG_SG_EEES6_PlJS6_EEE10hipError_tPvRmT3_T4_T5_T6_T7_T9_mT8_P12ihipStream_tbDpT10_ENKUlT_T0_E_clISt17integral_constantIbLb0EES1B_EEDaS16_S17_EUlS16_E_NS1_11comp_targetILNS1_3genE0ELNS1_11target_archE4294967295ELNS1_3gpuE0ELNS1_3repE0EEENS1_30default_config_static_selectorELNS0_4arch9wavefront6targetE0EEEvT1_.kd
    .uniform_work_group_size: 1
    .uses_dynamic_stack: false
    .vgpr_count:     0
    .vgpr_spill_count: 0
    .wavefront_size: 32
    .workgroup_processor_mode: 1
  - .args:
      - .offset:         0
        .size:           120
        .value_kind:     by_value
    .group_segment_fixed_size: 0
    .kernarg_segment_align: 8
    .kernarg_segment_size: 120
    .language:       OpenCL C
    .language_version:
      - 2
      - 0
    .max_flat_workgroup_size: 512
    .name:           _ZN7rocprim17ROCPRIM_400000_NS6detail17trampoline_kernelINS0_14default_configENS1_25partition_config_selectorILNS1_17partition_subalgoE5EfNS0_10empty_typeEbEEZZNS1_14partition_implILS5_5ELb0ES3_mN6thrust23THRUST_200600_302600_NS6detail15normal_iteratorINSA_10device_ptrIfEEEEPS6_NSA_18transform_iteratorINSB_9not_fun_tI7is_trueIfEEESF_NSA_11use_defaultESM_EENS0_5tupleIJSF_S6_EEENSO_IJSG_SG_EEES6_PlJS6_EEE10hipError_tPvRmT3_T4_T5_T6_T7_T9_mT8_P12ihipStream_tbDpT10_ENKUlT_T0_E_clISt17integral_constantIbLb0EES1B_EEDaS16_S17_EUlS16_E_NS1_11comp_targetILNS1_3genE5ELNS1_11target_archE942ELNS1_3gpuE9ELNS1_3repE0EEENS1_30default_config_static_selectorELNS0_4arch9wavefront6targetE0EEEvT1_
    .private_segment_fixed_size: 0
    .sgpr_count:     0
    .sgpr_spill_count: 0
    .symbol:         _ZN7rocprim17ROCPRIM_400000_NS6detail17trampoline_kernelINS0_14default_configENS1_25partition_config_selectorILNS1_17partition_subalgoE5EfNS0_10empty_typeEbEEZZNS1_14partition_implILS5_5ELb0ES3_mN6thrust23THRUST_200600_302600_NS6detail15normal_iteratorINSA_10device_ptrIfEEEEPS6_NSA_18transform_iteratorINSB_9not_fun_tI7is_trueIfEEESF_NSA_11use_defaultESM_EENS0_5tupleIJSF_S6_EEENSO_IJSG_SG_EEES6_PlJS6_EEE10hipError_tPvRmT3_T4_T5_T6_T7_T9_mT8_P12ihipStream_tbDpT10_ENKUlT_T0_E_clISt17integral_constantIbLb0EES1B_EEDaS16_S17_EUlS16_E_NS1_11comp_targetILNS1_3genE5ELNS1_11target_archE942ELNS1_3gpuE9ELNS1_3repE0EEENS1_30default_config_static_selectorELNS0_4arch9wavefront6targetE0EEEvT1_.kd
    .uniform_work_group_size: 1
    .uses_dynamic_stack: false
    .vgpr_count:     0
    .vgpr_spill_count: 0
    .wavefront_size: 32
    .workgroup_processor_mode: 1
  - .args:
      - .offset:         0
        .size:           120
        .value_kind:     by_value
    .group_segment_fixed_size: 0
    .kernarg_segment_align: 8
    .kernarg_segment_size: 120
    .language:       OpenCL C
    .language_version:
      - 2
      - 0
    .max_flat_workgroup_size: 256
    .name:           _ZN7rocprim17ROCPRIM_400000_NS6detail17trampoline_kernelINS0_14default_configENS1_25partition_config_selectorILNS1_17partition_subalgoE5EfNS0_10empty_typeEbEEZZNS1_14partition_implILS5_5ELb0ES3_mN6thrust23THRUST_200600_302600_NS6detail15normal_iteratorINSA_10device_ptrIfEEEEPS6_NSA_18transform_iteratorINSB_9not_fun_tI7is_trueIfEEESF_NSA_11use_defaultESM_EENS0_5tupleIJSF_S6_EEENSO_IJSG_SG_EEES6_PlJS6_EEE10hipError_tPvRmT3_T4_T5_T6_T7_T9_mT8_P12ihipStream_tbDpT10_ENKUlT_T0_E_clISt17integral_constantIbLb0EES1B_EEDaS16_S17_EUlS16_E_NS1_11comp_targetILNS1_3genE4ELNS1_11target_archE910ELNS1_3gpuE8ELNS1_3repE0EEENS1_30default_config_static_selectorELNS0_4arch9wavefront6targetE0EEEvT1_
    .private_segment_fixed_size: 0
    .sgpr_count:     0
    .sgpr_spill_count: 0
    .symbol:         _ZN7rocprim17ROCPRIM_400000_NS6detail17trampoline_kernelINS0_14default_configENS1_25partition_config_selectorILNS1_17partition_subalgoE5EfNS0_10empty_typeEbEEZZNS1_14partition_implILS5_5ELb0ES3_mN6thrust23THRUST_200600_302600_NS6detail15normal_iteratorINSA_10device_ptrIfEEEEPS6_NSA_18transform_iteratorINSB_9not_fun_tI7is_trueIfEEESF_NSA_11use_defaultESM_EENS0_5tupleIJSF_S6_EEENSO_IJSG_SG_EEES6_PlJS6_EEE10hipError_tPvRmT3_T4_T5_T6_T7_T9_mT8_P12ihipStream_tbDpT10_ENKUlT_T0_E_clISt17integral_constantIbLb0EES1B_EEDaS16_S17_EUlS16_E_NS1_11comp_targetILNS1_3genE4ELNS1_11target_archE910ELNS1_3gpuE8ELNS1_3repE0EEENS1_30default_config_static_selectorELNS0_4arch9wavefront6targetE0EEEvT1_.kd
    .uniform_work_group_size: 1
    .uses_dynamic_stack: false
    .vgpr_count:     0
    .vgpr_spill_count: 0
    .wavefront_size: 32
    .workgroup_processor_mode: 1
  - .args:
      - .offset:         0
        .size:           120
        .value_kind:     by_value
    .group_segment_fixed_size: 0
    .kernarg_segment_align: 8
    .kernarg_segment_size: 120
    .language:       OpenCL C
    .language_version:
      - 2
      - 0
    .max_flat_workgroup_size: 512
    .name:           _ZN7rocprim17ROCPRIM_400000_NS6detail17trampoline_kernelINS0_14default_configENS1_25partition_config_selectorILNS1_17partition_subalgoE5EfNS0_10empty_typeEbEEZZNS1_14partition_implILS5_5ELb0ES3_mN6thrust23THRUST_200600_302600_NS6detail15normal_iteratorINSA_10device_ptrIfEEEEPS6_NSA_18transform_iteratorINSB_9not_fun_tI7is_trueIfEEESF_NSA_11use_defaultESM_EENS0_5tupleIJSF_S6_EEENSO_IJSG_SG_EEES6_PlJS6_EEE10hipError_tPvRmT3_T4_T5_T6_T7_T9_mT8_P12ihipStream_tbDpT10_ENKUlT_T0_E_clISt17integral_constantIbLb0EES1B_EEDaS16_S17_EUlS16_E_NS1_11comp_targetILNS1_3genE3ELNS1_11target_archE908ELNS1_3gpuE7ELNS1_3repE0EEENS1_30default_config_static_selectorELNS0_4arch9wavefront6targetE0EEEvT1_
    .private_segment_fixed_size: 0
    .sgpr_count:     0
    .sgpr_spill_count: 0
    .symbol:         _ZN7rocprim17ROCPRIM_400000_NS6detail17trampoline_kernelINS0_14default_configENS1_25partition_config_selectorILNS1_17partition_subalgoE5EfNS0_10empty_typeEbEEZZNS1_14partition_implILS5_5ELb0ES3_mN6thrust23THRUST_200600_302600_NS6detail15normal_iteratorINSA_10device_ptrIfEEEEPS6_NSA_18transform_iteratorINSB_9not_fun_tI7is_trueIfEEESF_NSA_11use_defaultESM_EENS0_5tupleIJSF_S6_EEENSO_IJSG_SG_EEES6_PlJS6_EEE10hipError_tPvRmT3_T4_T5_T6_T7_T9_mT8_P12ihipStream_tbDpT10_ENKUlT_T0_E_clISt17integral_constantIbLb0EES1B_EEDaS16_S17_EUlS16_E_NS1_11comp_targetILNS1_3genE3ELNS1_11target_archE908ELNS1_3gpuE7ELNS1_3repE0EEENS1_30default_config_static_selectorELNS0_4arch9wavefront6targetE0EEEvT1_.kd
    .uniform_work_group_size: 1
    .uses_dynamic_stack: false
    .vgpr_count:     0
    .vgpr_spill_count: 0
    .wavefront_size: 32
    .workgroup_processor_mode: 1
  - .args:
      - .offset:         0
        .size:           120
        .value_kind:     by_value
    .group_segment_fixed_size: 0
    .kernarg_segment_align: 8
    .kernarg_segment_size: 120
    .language:       OpenCL C
    .language_version:
      - 2
      - 0
    .max_flat_workgroup_size: 256
    .name:           _ZN7rocprim17ROCPRIM_400000_NS6detail17trampoline_kernelINS0_14default_configENS1_25partition_config_selectorILNS1_17partition_subalgoE5EfNS0_10empty_typeEbEEZZNS1_14partition_implILS5_5ELb0ES3_mN6thrust23THRUST_200600_302600_NS6detail15normal_iteratorINSA_10device_ptrIfEEEEPS6_NSA_18transform_iteratorINSB_9not_fun_tI7is_trueIfEEESF_NSA_11use_defaultESM_EENS0_5tupleIJSF_S6_EEENSO_IJSG_SG_EEES6_PlJS6_EEE10hipError_tPvRmT3_T4_T5_T6_T7_T9_mT8_P12ihipStream_tbDpT10_ENKUlT_T0_E_clISt17integral_constantIbLb0EES1B_EEDaS16_S17_EUlS16_E_NS1_11comp_targetILNS1_3genE2ELNS1_11target_archE906ELNS1_3gpuE6ELNS1_3repE0EEENS1_30default_config_static_selectorELNS0_4arch9wavefront6targetE0EEEvT1_
    .private_segment_fixed_size: 0
    .sgpr_count:     0
    .sgpr_spill_count: 0
    .symbol:         _ZN7rocprim17ROCPRIM_400000_NS6detail17trampoline_kernelINS0_14default_configENS1_25partition_config_selectorILNS1_17partition_subalgoE5EfNS0_10empty_typeEbEEZZNS1_14partition_implILS5_5ELb0ES3_mN6thrust23THRUST_200600_302600_NS6detail15normal_iteratorINSA_10device_ptrIfEEEEPS6_NSA_18transform_iteratorINSB_9not_fun_tI7is_trueIfEEESF_NSA_11use_defaultESM_EENS0_5tupleIJSF_S6_EEENSO_IJSG_SG_EEES6_PlJS6_EEE10hipError_tPvRmT3_T4_T5_T6_T7_T9_mT8_P12ihipStream_tbDpT10_ENKUlT_T0_E_clISt17integral_constantIbLb0EES1B_EEDaS16_S17_EUlS16_E_NS1_11comp_targetILNS1_3genE2ELNS1_11target_archE906ELNS1_3gpuE6ELNS1_3repE0EEENS1_30default_config_static_selectorELNS0_4arch9wavefront6targetE0EEEvT1_.kd
    .uniform_work_group_size: 1
    .uses_dynamic_stack: false
    .vgpr_count:     0
    .vgpr_spill_count: 0
    .wavefront_size: 32
    .workgroup_processor_mode: 1
  - .args:
      - .offset:         0
        .size:           120
        .value_kind:     by_value
    .group_segment_fixed_size: 10768
    .kernarg_segment_align: 8
    .kernarg_segment_size: 120
    .language:       OpenCL C
    .language_version:
      - 2
      - 0
    .max_flat_workgroup_size: 384
    .name:           _ZN7rocprim17ROCPRIM_400000_NS6detail17trampoline_kernelINS0_14default_configENS1_25partition_config_selectorILNS1_17partition_subalgoE5EfNS0_10empty_typeEbEEZZNS1_14partition_implILS5_5ELb0ES3_mN6thrust23THRUST_200600_302600_NS6detail15normal_iteratorINSA_10device_ptrIfEEEEPS6_NSA_18transform_iteratorINSB_9not_fun_tI7is_trueIfEEESF_NSA_11use_defaultESM_EENS0_5tupleIJSF_S6_EEENSO_IJSG_SG_EEES6_PlJS6_EEE10hipError_tPvRmT3_T4_T5_T6_T7_T9_mT8_P12ihipStream_tbDpT10_ENKUlT_T0_E_clISt17integral_constantIbLb0EES1B_EEDaS16_S17_EUlS16_E_NS1_11comp_targetILNS1_3genE10ELNS1_11target_archE1200ELNS1_3gpuE4ELNS1_3repE0EEENS1_30default_config_static_selectorELNS0_4arch9wavefront6targetE0EEEvT1_
    .private_segment_fixed_size: 0
    .sgpr_count:     24
    .sgpr_spill_count: 0
    .symbol:         _ZN7rocprim17ROCPRIM_400000_NS6detail17trampoline_kernelINS0_14default_configENS1_25partition_config_selectorILNS1_17partition_subalgoE5EfNS0_10empty_typeEbEEZZNS1_14partition_implILS5_5ELb0ES3_mN6thrust23THRUST_200600_302600_NS6detail15normal_iteratorINSA_10device_ptrIfEEEEPS6_NSA_18transform_iteratorINSB_9not_fun_tI7is_trueIfEEESF_NSA_11use_defaultESM_EENS0_5tupleIJSF_S6_EEENSO_IJSG_SG_EEES6_PlJS6_EEE10hipError_tPvRmT3_T4_T5_T6_T7_T9_mT8_P12ihipStream_tbDpT10_ENKUlT_T0_E_clISt17integral_constantIbLb0EES1B_EEDaS16_S17_EUlS16_E_NS1_11comp_targetILNS1_3genE10ELNS1_11target_archE1200ELNS1_3gpuE4ELNS1_3repE0EEENS1_30default_config_static_selectorELNS0_4arch9wavefront6targetE0EEEvT1_.kd
    .uniform_work_group_size: 1
    .uses_dynamic_stack: false
    .vgpr_count:     47
    .vgpr_spill_count: 0
    .wavefront_size: 32
    .workgroup_processor_mode: 1
  - .args:
      - .offset:         0
        .size:           120
        .value_kind:     by_value
    .group_segment_fixed_size: 0
    .kernarg_segment_align: 8
    .kernarg_segment_size: 120
    .language:       OpenCL C
    .language_version:
      - 2
      - 0
    .max_flat_workgroup_size: 128
    .name:           _ZN7rocprim17ROCPRIM_400000_NS6detail17trampoline_kernelINS0_14default_configENS1_25partition_config_selectorILNS1_17partition_subalgoE5EfNS0_10empty_typeEbEEZZNS1_14partition_implILS5_5ELb0ES3_mN6thrust23THRUST_200600_302600_NS6detail15normal_iteratorINSA_10device_ptrIfEEEEPS6_NSA_18transform_iteratorINSB_9not_fun_tI7is_trueIfEEESF_NSA_11use_defaultESM_EENS0_5tupleIJSF_S6_EEENSO_IJSG_SG_EEES6_PlJS6_EEE10hipError_tPvRmT3_T4_T5_T6_T7_T9_mT8_P12ihipStream_tbDpT10_ENKUlT_T0_E_clISt17integral_constantIbLb0EES1B_EEDaS16_S17_EUlS16_E_NS1_11comp_targetILNS1_3genE9ELNS1_11target_archE1100ELNS1_3gpuE3ELNS1_3repE0EEENS1_30default_config_static_selectorELNS0_4arch9wavefront6targetE0EEEvT1_
    .private_segment_fixed_size: 0
    .sgpr_count:     0
    .sgpr_spill_count: 0
    .symbol:         _ZN7rocprim17ROCPRIM_400000_NS6detail17trampoline_kernelINS0_14default_configENS1_25partition_config_selectorILNS1_17partition_subalgoE5EfNS0_10empty_typeEbEEZZNS1_14partition_implILS5_5ELb0ES3_mN6thrust23THRUST_200600_302600_NS6detail15normal_iteratorINSA_10device_ptrIfEEEEPS6_NSA_18transform_iteratorINSB_9not_fun_tI7is_trueIfEEESF_NSA_11use_defaultESM_EENS0_5tupleIJSF_S6_EEENSO_IJSG_SG_EEES6_PlJS6_EEE10hipError_tPvRmT3_T4_T5_T6_T7_T9_mT8_P12ihipStream_tbDpT10_ENKUlT_T0_E_clISt17integral_constantIbLb0EES1B_EEDaS16_S17_EUlS16_E_NS1_11comp_targetILNS1_3genE9ELNS1_11target_archE1100ELNS1_3gpuE3ELNS1_3repE0EEENS1_30default_config_static_selectorELNS0_4arch9wavefront6targetE0EEEvT1_.kd
    .uniform_work_group_size: 1
    .uses_dynamic_stack: false
    .vgpr_count:     0
    .vgpr_spill_count: 0
    .wavefront_size: 32
    .workgroup_processor_mode: 1
  - .args:
      - .offset:         0
        .size:           120
        .value_kind:     by_value
    .group_segment_fixed_size: 0
    .kernarg_segment_align: 8
    .kernarg_segment_size: 120
    .language:       OpenCL C
    .language_version:
      - 2
      - 0
    .max_flat_workgroup_size: 512
    .name:           _ZN7rocprim17ROCPRIM_400000_NS6detail17trampoline_kernelINS0_14default_configENS1_25partition_config_selectorILNS1_17partition_subalgoE5EfNS0_10empty_typeEbEEZZNS1_14partition_implILS5_5ELb0ES3_mN6thrust23THRUST_200600_302600_NS6detail15normal_iteratorINSA_10device_ptrIfEEEEPS6_NSA_18transform_iteratorINSB_9not_fun_tI7is_trueIfEEESF_NSA_11use_defaultESM_EENS0_5tupleIJSF_S6_EEENSO_IJSG_SG_EEES6_PlJS6_EEE10hipError_tPvRmT3_T4_T5_T6_T7_T9_mT8_P12ihipStream_tbDpT10_ENKUlT_T0_E_clISt17integral_constantIbLb0EES1B_EEDaS16_S17_EUlS16_E_NS1_11comp_targetILNS1_3genE8ELNS1_11target_archE1030ELNS1_3gpuE2ELNS1_3repE0EEENS1_30default_config_static_selectorELNS0_4arch9wavefront6targetE0EEEvT1_
    .private_segment_fixed_size: 0
    .sgpr_count:     0
    .sgpr_spill_count: 0
    .symbol:         _ZN7rocprim17ROCPRIM_400000_NS6detail17trampoline_kernelINS0_14default_configENS1_25partition_config_selectorILNS1_17partition_subalgoE5EfNS0_10empty_typeEbEEZZNS1_14partition_implILS5_5ELb0ES3_mN6thrust23THRUST_200600_302600_NS6detail15normal_iteratorINSA_10device_ptrIfEEEEPS6_NSA_18transform_iteratorINSB_9not_fun_tI7is_trueIfEEESF_NSA_11use_defaultESM_EENS0_5tupleIJSF_S6_EEENSO_IJSG_SG_EEES6_PlJS6_EEE10hipError_tPvRmT3_T4_T5_T6_T7_T9_mT8_P12ihipStream_tbDpT10_ENKUlT_T0_E_clISt17integral_constantIbLb0EES1B_EEDaS16_S17_EUlS16_E_NS1_11comp_targetILNS1_3genE8ELNS1_11target_archE1030ELNS1_3gpuE2ELNS1_3repE0EEENS1_30default_config_static_selectorELNS0_4arch9wavefront6targetE0EEEvT1_.kd
    .uniform_work_group_size: 1
    .uses_dynamic_stack: false
    .vgpr_count:     0
    .vgpr_spill_count: 0
    .wavefront_size: 32
    .workgroup_processor_mode: 1
  - .args:
      - .offset:         0
        .size:           136
        .value_kind:     by_value
    .group_segment_fixed_size: 0
    .kernarg_segment_align: 8
    .kernarg_segment_size: 136
    .language:       OpenCL C
    .language_version:
      - 2
      - 0
    .max_flat_workgroup_size: 512
    .name:           _ZN7rocprim17ROCPRIM_400000_NS6detail17trampoline_kernelINS0_14default_configENS1_25partition_config_selectorILNS1_17partition_subalgoE5EfNS0_10empty_typeEbEEZZNS1_14partition_implILS5_5ELb0ES3_mN6thrust23THRUST_200600_302600_NS6detail15normal_iteratorINSA_10device_ptrIfEEEEPS6_NSA_18transform_iteratorINSB_9not_fun_tI7is_trueIfEEESF_NSA_11use_defaultESM_EENS0_5tupleIJSF_S6_EEENSO_IJSG_SG_EEES6_PlJS6_EEE10hipError_tPvRmT3_T4_T5_T6_T7_T9_mT8_P12ihipStream_tbDpT10_ENKUlT_T0_E_clISt17integral_constantIbLb1EES1B_EEDaS16_S17_EUlS16_E_NS1_11comp_targetILNS1_3genE0ELNS1_11target_archE4294967295ELNS1_3gpuE0ELNS1_3repE0EEENS1_30default_config_static_selectorELNS0_4arch9wavefront6targetE0EEEvT1_
    .private_segment_fixed_size: 0
    .sgpr_count:     0
    .sgpr_spill_count: 0
    .symbol:         _ZN7rocprim17ROCPRIM_400000_NS6detail17trampoline_kernelINS0_14default_configENS1_25partition_config_selectorILNS1_17partition_subalgoE5EfNS0_10empty_typeEbEEZZNS1_14partition_implILS5_5ELb0ES3_mN6thrust23THRUST_200600_302600_NS6detail15normal_iteratorINSA_10device_ptrIfEEEEPS6_NSA_18transform_iteratorINSB_9not_fun_tI7is_trueIfEEESF_NSA_11use_defaultESM_EENS0_5tupleIJSF_S6_EEENSO_IJSG_SG_EEES6_PlJS6_EEE10hipError_tPvRmT3_T4_T5_T6_T7_T9_mT8_P12ihipStream_tbDpT10_ENKUlT_T0_E_clISt17integral_constantIbLb1EES1B_EEDaS16_S17_EUlS16_E_NS1_11comp_targetILNS1_3genE0ELNS1_11target_archE4294967295ELNS1_3gpuE0ELNS1_3repE0EEENS1_30default_config_static_selectorELNS0_4arch9wavefront6targetE0EEEvT1_.kd
    .uniform_work_group_size: 1
    .uses_dynamic_stack: false
    .vgpr_count:     0
    .vgpr_spill_count: 0
    .wavefront_size: 32
    .workgroup_processor_mode: 1
  - .args:
      - .offset:         0
        .size:           136
        .value_kind:     by_value
    .group_segment_fixed_size: 0
    .kernarg_segment_align: 8
    .kernarg_segment_size: 136
    .language:       OpenCL C
    .language_version:
      - 2
      - 0
    .max_flat_workgroup_size: 512
    .name:           _ZN7rocprim17ROCPRIM_400000_NS6detail17trampoline_kernelINS0_14default_configENS1_25partition_config_selectorILNS1_17partition_subalgoE5EfNS0_10empty_typeEbEEZZNS1_14partition_implILS5_5ELb0ES3_mN6thrust23THRUST_200600_302600_NS6detail15normal_iteratorINSA_10device_ptrIfEEEEPS6_NSA_18transform_iteratorINSB_9not_fun_tI7is_trueIfEEESF_NSA_11use_defaultESM_EENS0_5tupleIJSF_S6_EEENSO_IJSG_SG_EEES6_PlJS6_EEE10hipError_tPvRmT3_T4_T5_T6_T7_T9_mT8_P12ihipStream_tbDpT10_ENKUlT_T0_E_clISt17integral_constantIbLb1EES1B_EEDaS16_S17_EUlS16_E_NS1_11comp_targetILNS1_3genE5ELNS1_11target_archE942ELNS1_3gpuE9ELNS1_3repE0EEENS1_30default_config_static_selectorELNS0_4arch9wavefront6targetE0EEEvT1_
    .private_segment_fixed_size: 0
    .sgpr_count:     0
    .sgpr_spill_count: 0
    .symbol:         _ZN7rocprim17ROCPRIM_400000_NS6detail17trampoline_kernelINS0_14default_configENS1_25partition_config_selectorILNS1_17partition_subalgoE5EfNS0_10empty_typeEbEEZZNS1_14partition_implILS5_5ELb0ES3_mN6thrust23THRUST_200600_302600_NS6detail15normal_iteratorINSA_10device_ptrIfEEEEPS6_NSA_18transform_iteratorINSB_9not_fun_tI7is_trueIfEEESF_NSA_11use_defaultESM_EENS0_5tupleIJSF_S6_EEENSO_IJSG_SG_EEES6_PlJS6_EEE10hipError_tPvRmT3_T4_T5_T6_T7_T9_mT8_P12ihipStream_tbDpT10_ENKUlT_T0_E_clISt17integral_constantIbLb1EES1B_EEDaS16_S17_EUlS16_E_NS1_11comp_targetILNS1_3genE5ELNS1_11target_archE942ELNS1_3gpuE9ELNS1_3repE0EEENS1_30default_config_static_selectorELNS0_4arch9wavefront6targetE0EEEvT1_.kd
    .uniform_work_group_size: 1
    .uses_dynamic_stack: false
    .vgpr_count:     0
    .vgpr_spill_count: 0
    .wavefront_size: 32
    .workgroup_processor_mode: 1
  - .args:
      - .offset:         0
        .size:           136
        .value_kind:     by_value
    .group_segment_fixed_size: 0
    .kernarg_segment_align: 8
    .kernarg_segment_size: 136
    .language:       OpenCL C
    .language_version:
      - 2
      - 0
    .max_flat_workgroup_size: 256
    .name:           _ZN7rocprim17ROCPRIM_400000_NS6detail17trampoline_kernelINS0_14default_configENS1_25partition_config_selectorILNS1_17partition_subalgoE5EfNS0_10empty_typeEbEEZZNS1_14partition_implILS5_5ELb0ES3_mN6thrust23THRUST_200600_302600_NS6detail15normal_iteratorINSA_10device_ptrIfEEEEPS6_NSA_18transform_iteratorINSB_9not_fun_tI7is_trueIfEEESF_NSA_11use_defaultESM_EENS0_5tupleIJSF_S6_EEENSO_IJSG_SG_EEES6_PlJS6_EEE10hipError_tPvRmT3_T4_T5_T6_T7_T9_mT8_P12ihipStream_tbDpT10_ENKUlT_T0_E_clISt17integral_constantIbLb1EES1B_EEDaS16_S17_EUlS16_E_NS1_11comp_targetILNS1_3genE4ELNS1_11target_archE910ELNS1_3gpuE8ELNS1_3repE0EEENS1_30default_config_static_selectorELNS0_4arch9wavefront6targetE0EEEvT1_
    .private_segment_fixed_size: 0
    .sgpr_count:     0
    .sgpr_spill_count: 0
    .symbol:         _ZN7rocprim17ROCPRIM_400000_NS6detail17trampoline_kernelINS0_14default_configENS1_25partition_config_selectorILNS1_17partition_subalgoE5EfNS0_10empty_typeEbEEZZNS1_14partition_implILS5_5ELb0ES3_mN6thrust23THRUST_200600_302600_NS6detail15normal_iteratorINSA_10device_ptrIfEEEEPS6_NSA_18transform_iteratorINSB_9not_fun_tI7is_trueIfEEESF_NSA_11use_defaultESM_EENS0_5tupleIJSF_S6_EEENSO_IJSG_SG_EEES6_PlJS6_EEE10hipError_tPvRmT3_T4_T5_T6_T7_T9_mT8_P12ihipStream_tbDpT10_ENKUlT_T0_E_clISt17integral_constantIbLb1EES1B_EEDaS16_S17_EUlS16_E_NS1_11comp_targetILNS1_3genE4ELNS1_11target_archE910ELNS1_3gpuE8ELNS1_3repE0EEENS1_30default_config_static_selectorELNS0_4arch9wavefront6targetE0EEEvT1_.kd
    .uniform_work_group_size: 1
    .uses_dynamic_stack: false
    .vgpr_count:     0
    .vgpr_spill_count: 0
    .wavefront_size: 32
    .workgroup_processor_mode: 1
  - .args:
      - .offset:         0
        .size:           136
        .value_kind:     by_value
    .group_segment_fixed_size: 0
    .kernarg_segment_align: 8
    .kernarg_segment_size: 136
    .language:       OpenCL C
    .language_version:
      - 2
      - 0
    .max_flat_workgroup_size: 512
    .name:           _ZN7rocprim17ROCPRIM_400000_NS6detail17trampoline_kernelINS0_14default_configENS1_25partition_config_selectorILNS1_17partition_subalgoE5EfNS0_10empty_typeEbEEZZNS1_14partition_implILS5_5ELb0ES3_mN6thrust23THRUST_200600_302600_NS6detail15normal_iteratorINSA_10device_ptrIfEEEEPS6_NSA_18transform_iteratorINSB_9not_fun_tI7is_trueIfEEESF_NSA_11use_defaultESM_EENS0_5tupleIJSF_S6_EEENSO_IJSG_SG_EEES6_PlJS6_EEE10hipError_tPvRmT3_T4_T5_T6_T7_T9_mT8_P12ihipStream_tbDpT10_ENKUlT_T0_E_clISt17integral_constantIbLb1EES1B_EEDaS16_S17_EUlS16_E_NS1_11comp_targetILNS1_3genE3ELNS1_11target_archE908ELNS1_3gpuE7ELNS1_3repE0EEENS1_30default_config_static_selectorELNS0_4arch9wavefront6targetE0EEEvT1_
    .private_segment_fixed_size: 0
    .sgpr_count:     0
    .sgpr_spill_count: 0
    .symbol:         _ZN7rocprim17ROCPRIM_400000_NS6detail17trampoline_kernelINS0_14default_configENS1_25partition_config_selectorILNS1_17partition_subalgoE5EfNS0_10empty_typeEbEEZZNS1_14partition_implILS5_5ELb0ES3_mN6thrust23THRUST_200600_302600_NS6detail15normal_iteratorINSA_10device_ptrIfEEEEPS6_NSA_18transform_iteratorINSB_9not_fun_tI7is_trueIfEEESF_NSA_11use_defaultESM_EENS0_5tupleIJSF_S6_EEENSO_IJSG_SG_EEES6_PlJS6_EEE10hipError_tPvRmT3_T4_T5_T6_T7_T9_mT8_P12ihipStream_tbDpT10_ENKUlT_T0_E_clISt17integral_constantIbLb1EES1B_EEDaS16_S17_EUlS16_E_NS1_11comp_targetILNS1_3genE3ELNS1_11target_archE908ELNS1_3gpuE7ELNS1_3repE0EEENS1_30default_config_static_selectorELNS0_4arch9wavefront6targetE0EEEvT1_.kd
    .uniform_work_group_size: 1
    .uses_dynamic_stack: false
    .vgpr_count:     0
    .vgpr_spill_count: 0
    .wavefront_size: 32
    .workgroup_processor_mode: 1
  - .args:
      - .offset:         0
        .size:           136
        .value_kind:     by_value
    .group_segment_fixed_size: 0
    .kernarg_segment_align: 8
    .kernarg_segment_size: 136
    .language:       OpenCL C
    .language_version:
      - 2
      - 0
    .max_flat_workgroup_size: 256
    .name:           _ZN7rocprim17ROCPRIM_400000_NS6detail17trampoline_kernelINS0_14default_configENS1_25partition_config_selectorILNS1_17partition_subalgoE5EfNS0_10empty_typeEbEEZZNS1_14partition_implILS5_5ELb0ES3_mN6thrust23THRUST_200600_302600_NS6detail15normal_iteratorINSA_10device_ptrIfEEEEPS6_NSA_18transform_iteratorINSB_9not_fun_tI7is_trueIfEEESF_NSA_11use_defaultESM_EENS0_5tupleIJSF_S6_EEENSO_IJSG_SG_EEES6_PlJS6_EEE10hipError_tPvRmT3_T4_T5_T6_T7_T9_mT8_P12ihipStream_tbDpT10_ENKUlT_T0_E_clISt17integral_constantIbLb1EES1B_EEDaS16_S17_EUlS16_E_NS1_11comp_targetILNS1_3genE2ELNS1_11target_archE906ELNS1_3gpuE6ELNS1_3repE0EEENS1_30default_config_static_selectorELNS0_4arch9wavefront6targetE0EEEvT1_
    .private_segment_fixed_size: 0
    .sgpr_count:     0
    .sgpr_spill_count: 0
    .symbol:         _ZN7rocprim17ROCPRIM_400000_NS6detail17trampoline_kernelINS0_14default_configENS1_25partition_config_selectorILNS1_17partition_subalgoE5EfNS0_10empty_typeEbEEZZNS1_14partition_implILS5_5ELb0ES3_mN6thrust23THRUST_200600_302600_NS6detail15normal_iteratorINSA_10device_ptrIfEEEEPS6_NSA_18transform_iteratorINSB_9not_fun_tI7is_trueIfEEESF_NSA_11use_defaultESM_EENS0_5tupleIJSF_S6_EEENSO_IJSG_SG_EEES6_PlJS6_EEE10hipError_tPvRmT3_T4_T5_T6_T7_T9_mT8_P12ihipStream_tbDpT10_ENKUlT_T0_E_clISt17integral_constantIbLb1EES1B_EEDaS16_S17_EUlS16_E_NS1_11comp_targetILNS1_3genE2ELNS1_11target_archE906ELNS1_3gpuE6ELNS1_3repE0EEENS1_30default_config_static_selectorELNS0_4arch9wavefront6targetE0EEEvT1_.kd
    .uniform_work_group_size: 1
    .uses_dynamic_stack: false
    .vgpr_count:     0
    .vgpr_spill_count: 0
    .wavefront_size: 32
    .workgroup_processor_mode: 1
  - .args:
      - .offset:         0
        .size:           136
        .value_kind:     by_value
    .group_segment_fixed_size: 0
    .kernarg_segment_align: 8
    .kernarg_segment_size: 136
    .language:       OpenCL C
    .language_version:
      - 2
      - 0
    .max_flat_workgroup_size: 384
    .name:           _ZN7rocprim17ROCPRIM_400000_NS6detail17trampoline_kernelINS0_14default_configENS1_25partition_config_selectorILNS1_17partition_subalgoE5EfNS0_10empty_typeEbEEZZNS1_14partition_implILS5_5ELb0ES3_mN6thrust23THRUST_200600_302600_NS6detail15normal_iteratorINSA_10device_ptrIfEEEEPS6_NSA_18transform_iteratorINSB_9not_fun_tI7is_trueIfEEESF_NSA_11use_defaultESM_EENS0_5tupleIJSF_S6_EEENSO_IJSG_SG_EEES6_PlJS6_EEE10hipError_tPvRmT3_T4_T5_T6_T7_T9_mT8_P12ihipStream_tbDpT10_ENKUlT_T0_E_clISt17integral_constantIbLb1EES1B_EEDaS16_S17_EUlS16_E_NS1_11comp_targetILNS1_3genE10ELNS1_11target_archE1200ELNS1_3gpuE4ELNS1_3repE0EEENS1_30default_config_static_selectorELNS0_4arch9wavefront6targetE0EEEvT1_
    .private_segment_fixed_size: 0
    .sgpr_count:     0
    .sgpr_spill_count: 0
    .symbol:         _ZN7rocprim17ROCPRIM_400000_NS6detail17trampoline_kernelINS0_14default_configENS1_25partition_config_selectorILNS1_17partition_subalgoE5EfNS0_10empty_typeEbEEZZNS1_14partition_implILS5_5ELb0ES3_mN6thrust23THRUST_200600_302600_NS6detail15normal_iteratorINSA_10device_ptrIfEEEEPS6_NSA_18transform_iteratorINSB_9not_fun_tI7is_trueIfEEESF_NSA_11use_defaultESM_EENS0_5tupleIJSF_S6_EEENSO_IJSG_SG_EEES6_PlJS6_EEE10hipError_tPvRmT3_T4_T5_T6_T7_T9_mT8_P12ihipStream_tbDpT10_ENKUlT_T0_E_clISt17integral_constantIbLb1EES1B_EEDaS16_S17_EUlS16_E_NS1_11comp_targetILNS1_3genE10ELNS1_11target_archE1200ELNS1_3gpuE4ELNS1_3repE0EEENS1_30default_config_static_selectorELNS0_4arch9wavefront6targetE0EEEvT1_.kd
    .uniform_work_group_size: 1
    .uses_dynamic_stack: false
    .vgpr_count:     0
    .vgpr_spill_count: 0
    .wavefront_size: 32
    .workgroup_processor_mode: 1
  - .args:
      - .offset:         0
        .size:           136
        .value_kind:     by_value
    .group_segment_fixed_size: 0
    .kernarg_segment_align: 8
    .kernarg_segment_size: 136
    .language:       OpenCL C
    .language_version:
      - 2
      - 0
    .max_flat_workgroup_size: 128
    .name:           _ZN7rocprim17ROCPRIM_400000_NS6detail17trampoline_kernelINS0_14default_configENS1_25partition_config_selectorILNS1_17partition_subalgoE5EfNS0_10empty_typeEbEEZZNS1_14partition_implILS5_5ELb0ES3_mN6thrust23THRUST_200600_302600_NS6detail15normal_iteratorINSA_10device_ptrIfEEEEPS6_NSA_18transform_iteratorINSB_9not_fun_tI7is_trueIfEEESF_NSA_11use_defaultESM_EENS0_5tupleIJSF_S6_EEENSO_IJSG_SG_EEES6_PlJS6_EEE10hipError_tPvRmT3_T4_T5_T6_T7_T9_mT8_P12ihipStream_tbDpT10_ENKUlT_T0_E_clISt17integral_constantIbLb1EES1B_EEDaS16_S17_EUlS16_E_NS1_11comp_targetILNS1_3genE9ELNS1_11target_archE1100ELNS1_3gpuE3ELNS1_3repE0EEENS1_30default_config_static_selectorELNS0_4arch9wavefront6targetE0EEEvT1_
    .private_segment_fixed_size: 0
    .sgpr_count:     0
    .sgpr_spill_count: 0
    .symbol:         _ZN7rocprim17ROCPRIM_400000_NS6detail17trampoline_kernelINS0_14default_configENS1_25partition_config_selectorILNS1_17partition_subalgoE5EfNS0_10empty_typeEbEEZZNS1_14partition_implILS5_5ELb0ES3_mN6thrust23THRUST_200600_302600_NS6detail15normal_iteratorINSA_10device_ptrIfEEEEPS6_NSA_18transform_iteratorINSB_9not_fun_tI7is_trueIfEEESF_NSA_11use_defaultESM_EENS0_5tupleIJSF_S6_EEENSO_IJSG_SG_EEES6_PlJS6_EEE10hipError_tPvRmT3_T4_T5_T6_T7_T9_mT8_P12ihipStream_tbDpT10_ENKUlT_T0_E_clISt17integral_constantIbLb1EES1B_EEDaS16_S17_EUlS16_E_NS1_11comp_targetILNS1_3genE9ELNS1_11target_archE1100ELNS1_3gpuE3ELNS1_3repE0EEENS1_30default_config_static_selectorELNS0_4arch9wavefront6targetE0EEEvT1_.kd
    .uniform_work_group_size: 1
    .uses_dynamic_stack: false
    .vgpr_count:     0
    .vgpr_spill_count: 0
    .wavefront_size: 32
    .workgroup_processor_mode: 1
  - .args:
      - .offset:         0
        .size:           136
        .value_kind:     by_value
    .group_segment_fixed_size: 0
    .kernarg_segment_align: 8
    .kernarg_segment_size: 136
    .language:       OpenCL C
    .language_version:
      - 2
      - 0
    .max_flat_workgroup_size: 512
    .name:           _ZN7rocprim17ROCPRIM_400000_NS6detail17trampoline_kernelINS0_14default_configENS1_25partition_config_selectorILNS1_17partition_subalgoE5EfNS0_10empty_typeEbEEZZNS1_14partition_implILS5_5ELb0ES3_mN6thrust23THRUST_200600_302600_NS6detail15normal_iteratorINSA_10device_ptrIfEEEEPS6_NSA_18transform_iteratorINSB_9not_fun_tI7is_trueIfEEESF_NSA_11use_defaultESM_EENS0_5tupleIJSF_S6_EEENSO_IJSG_SG_EEES6_PlJS6_EEE10hipError_tPvRmT3_T4_T5_T6_T7_T9_mT8_P12ihipStream_tbDpT10_ENKUlT_T0_E_clISt17integral_constantIbLb1EES1B_EEDaS16_S17_EUlS16_E_NS1_11comp_targetILNS1_3genE8ELNS1_11target_archE1030ELNS1_3gpuE2ELNS1_3repE0EEENS1_30default_config_static_selectorELNS0_4arch9wavefront6targetE0EEEvT1_
    .private_segment_fixed_size: 0
    .sgpr_count:     0
    .sgpr_spill_count: 0
    .symbol:         _ZN7rocprim17ROCPRIM_400000_NS6detail17trampoline_kernelINS0_14default_configENS1_25partition_config_selectorILNS1_17partition_subalgoE5EfNS0_10empty_typeEbEEZZNS1_14partition_implILS5_5ELb0ES3_mN6thrust23THRUST_200600_302600_NS6detail15normal_iteratorINSA_10device_ptrIfEEEEPS6_NSA_18transform_iteratorINSB_9not_fun_tI7is_trueIfEEESF_NSA_11use_defaultESM_EENS0_5tupleIJSF_S6_EEENSO_IJSG_SG_EEES6_PlJS6_EEE10hipError_tPvRmT3_T4_T5_T6_T7_T9_mT8_P12ihipStream_tbDpT10_ENKUlT_T0_E_clISt17integral_constantIbLb1EES1B_EEDaS16_S17_EUlS16_E_NS1_11comp_targetILNS1_3genE8ELNS1_11target_archE1030ELNS1_3gpuE2ELNS1_3repE0EEENS1_30default_config_static_selectorELNS0_4arch9wavefront6targetE0EEEvT1_.kd
    .uniform_work_group_size: 1
    .uses_dynamic_stack: false
    .vgpr_count:     0
    .vgpr_spill_count: 0
    .wavefront_size: 32
    .workgroup_processor_mode: 1
  - .args:
      - .offset:         0
        .size:           120
        .value_kind:     by_value
    .group_segment_fixed_size: 0
    .kernarg_segment_align: 8
    .kernarg_segment_size: 120
    .language:       OpenCL C
    .language_version:
      - 2
      - 0
    .max_flat_workgroup_size: 512
    .name:           _ZN7rocprim17ROCPRIM_400000_NS6detail17trampoline_kernelINS0_14default_configENS1_25partition_config_selectorILNS1_17partition_subalgoE5EfNS0_10empty_typeEbEEZZNS1_14partition_implILS5_5ELb0ES3_mN6thrust23THRUST_200600_302600_NS6detail15normal_iteratorINSA_10device_ptrIfEEEEPS6_NSA_18transform_iteratorINSB_9not_fun_tI7is_trueIfEEESF_NSA_11use_defaultESM_EENS0_5tupleIJSF_S6_EEENSO_IJSG_SG_EEES6_PlJS6_EEE10hipError_tPvRmT3_T4_T5_T6_T7_T9_mT8_P12ihipStream_tbDpT10_ENKUlT_T0_E_clISt17integral_constantIbLb1EES1A_IbLb0EEEEDaS16_S17_EUlS16_E_NS1_11comp_targetILNS1_3genE0ELNS1_11target_archE4294967295ELNS1_3gpuE0ELNS1_3repE0EEENS1_30default_config_static_selectorELNS0_4arch9wavefront6targetE0EEEvT1_
    .private_segment_fixed_size: 0
    .sgpr_count:     0
    .sgpr_spill_count: 0
    .symbol:         _ZN7rocprim17ROCPRIM_400000_NS6detail17trampoline_kernelINS0_14default_configENS1_25partition_config_selectorILNS1_17partition_subalgoE5EfNS0_10empty_typeEbEEZZNS1_14partition_implILS5_5ELb0ES3_mN6thrust23THRUST_200600_302600_NS6detail15normal_iteratorINSA_10device_ptrIfEEEEPS6_NSA_18transform_iteratorINSB_9not_fun_tI7is_trueIfEEESF_NSA_11use_defaultESM_EENS0_5tupleIJSF_S6_EEENSO_IJSG_SG_EEES6_PlJS6_EEE10hipError_tPvRmT3_T4_T5_T6_T7_T9_mT8_P12ihipStream_tbDpT10_ENKUlT_T0_E_clISt17integral_constantIbLb1EES1A_IbLb0EEEEDaS16_S17_EUlS16_E_NS1_11comp_targetILNS1_3genE0ELNS1_11target_archE4294967295ELNS1_3gpuE0ELNS1_3repE0EEENS1_30default_config_static_selectorELNS0_4arch9wavefront6targetE0EEEvT1_.kd
    .uniform_work_group_size: 1
    .uses_dynamic_stack: false
    .vgpr_count:     0
    .vgpr_spill_count: 0
    .wavefront_size: 32
    .workgroup_processor_mode: 1
  - .args:
      - .offset:         0
        .size:           120
        .value_kind:     by_value
    .group_segment_fixed_size: 0
    .kernarg_segment_align: 8
    .kernarg_segment_size: 120
    .language:       OpenCL C
    .language_version:
      - 2
      - 0
    .max_flat_workgroup_size: 512
    .name:           _ZN7rocprim17ROCPRIM_400000_NS6detail17trampoline_kernelINS0_14default_configENS1_25partition_config_selectorILNS1_17partition_subalgoE5EfNS0_10empty_typeEbEEZZNS1_14partition_implILS5_5ELb0ES3_mN6thrust23THRUST_200600_302600_NS6detail15normal_iteratorINSA_10device_ptrIfEEEEPS6_NSA_18transform_iteratorINSB_9not_fun_tI7is_trueIfEEESF_NSA_11use_defaultESM_EENS0_5tupleIJSF_S6_EEENSO_IJSG_SG_EEES6_PlJS6_EEE10hipError_tPvRmT3_T4_T5_T6_T7_T9_mT8_P12ihipStream_tbDpT10_ENKUlT_T0_E_clISt17integral_constantIbLb1EES1A_IbLb0EEEEDaS16_S17_EUlS16_E_NS1_11comp_targetILNS1_3genE5ELNS1_11target_archE942ELNS1_3gpuE9ELNS1_3repE0EEENS1_30default_config_static_selectorELNS0_4arch9wavefront6targetE0EEEvT1_
    .private_segment_fixed_size: 0
    .sgpr_count:     0
    .sgpr_spill_count: 0
    .symbol:         _ZN7rocprim17ROCPRIM_400000_NS6detail17trampoline_kernelINS0_14default_configENS1_25partition_config_selectorILNS1_17partition_subalgoE5EfNS0_10empty_typeEbEEZZNS1_14partition_implILS5_5ELb0ES3_mN6thrust23THRUST_200600_302600_NS6detail15normal_iteratorINSA_10device_ptrIfEEEEPS6_NSA_18transform_iteratorINSB_9not_fun_tI7is_trueIfEEESF_NSA_11use_defaultESM_EENS0_5tupleIJSF_S6_EEENSO_IJSG_SG_EEES6_PlJS6_EEE10hipError_tPvRmT3_T4_T5_T6_T7_T9_mT8_P12ihipStream_tbDpT10_ENKUlT_T0_E_clISt17integral_constantIbLb1EES1A_IbLb0EEEEDaS16_S17_EUlS16_E_NS1_11comp_targetILNS1_3genE5ELNS1_11target_archE942ELNS1_3gpuE9ELNS1_3repE0EEENS1_30default_config_static_selectorELNS0_4arch9wavefront6targetE0EEEvT1_.kd
    .uniform_work_group_size: 1
    .uses_dynamic_stack: false
    .vgpr_count:     0
    .vgpr_spill_count: 0
    .wavefront_size: 32
    .workgroup_processor_mode: 1
  - .args:
      - .offset:         0
        .size:           120
        .value_kind:     by_value
    .group_segment_fixed_size: 0
    .kernarg_segment_align: 8
    .kernarg_segment_size: 120
    .language:       OpenCL C
    .language_version:
      - 2
      - 0
    .max_flat_workgroup_size: 256
    .name:           _ZN7rocprim17ROCPRIM_400000_NS6detail17trampoline_kernelINS0_14default_configENS1_25partition_config_selectorILNS1_17partition_subalgoE5EfNS0_10empty_typeEbEEZZNS1_14partition_implILS5_5ELb0ES3_mN6thrust23THRUST_200600_302600_NS6detail15normal_iteratorINSA_10device_ptrIfEEEEPS6_NSA_18transform_iteratorINSB_9not_fun_tI7is_trueIfEEESF_NSA_11use_defaultESM_EENS0_5tupleIJSF_S6_EEENSO_IJSG_SG_EEES6_PlJS6_EEE10hipError_tPvRmT3_T4_T5_T6_T7_T9_mT8_P12ihipStream_tbDpT10_ENKUlT_T0_E_clISt17integral_constantIbLb1EES1A_IbLb0EEEEDaS16_S17_EUlS16_E_NS1_11comp_targetILNS1_3genE4ELNS1_11target_archE910ELNS1_3gpuE8ELNS1_3repE0EEENS1_30default_config_static_selectorELNS0_4arch9wavefront6targetE0EEEvT1_
    .private_segment_fixed_size: 0
    .sgpr_count:     0
    .sgpr_spill_count: 0
    .symbol:         _ZN7rocprim17ROCPRIM_400000_NS6detail17trampoline_kernelINS0_14default_configENS1_25partition_config_selectorILNS1_17partition_subalgoE5EfNS0_10empty_typeEbEEZZNS1_14partition_implILS5_5ELb0ES3_mN6thrust23THRUST_200600_302600_NS6detail15normal_iteratorINSA_10device_ptrIfEEEEPS6_NSA_18transform_iteratorINSB_9not_fun_tI7is_trueIfEEESF_NSA_11use_defaultESM_EENS0_5tupleIJSF_S6_EEENSO_IJSG_SG_EEES6_PlJS6_EEE10hipError_tPvRmT3_T4_T5_T6_T7_T9_mT8_P12ihipStream_tbDpT10_ENKUlT_T0_E_clISt17integral_constantIbLb1EES1A_IbLb0EEEEDaS16_S17_EUlS16_E_NS1_11comp_targetILNS1_3genE4ELNS1_11target_archE910ELNS1_3gpuE8ELNS1_3repE0EEENS1_30default_config_static_selectorELNS0_4arch9wavefront6targetE0EEEvT1_.kd
    .uniform_work_group_size: 1
    .uses_dynamic_stack: false
    .vgpr_count:     0
    .vgpr_spill_count: 0
    .wavefront_size: 32
    .workgroup_processor_mode: 1
  - .args:
      - .offset:         0
        .size:           120
        .value_kind:     by_value
    .group_segment_fixed_size: 0
    .kernarg_segment_align: 8
    .kernarg_segment_size: 120
    .language:       OpenCL C
    .language_version:
      - 2
      - 0
    .max_flat_workgroup_size: 512
    .name:           _ZN7rocprim17ROCPRIM_400000_NS6detail17trampoline_kernelINS0_14default_configENS1_25partition_config_selectorILNS1_17partition_subalgoE5EfNS0_10empty_typeEbEEZZNS1_14partition_implILS5_5ELb0ES3_mN6thrust23THRUST_200600_302600_NS6detail15normal_iteratorINSA_10device_ptrIfEEEEPS6_NSA_18transform_iteratorINSB_9not_fun_tI7is_trueIfEEESF_NSA_11use_defaultESM_EENS0_5tupleIJSF_S6_EEENSO_IJSG_SG_EEES6_PlJS6_EEE10hipError_tPvRmT3_T4_T5_T6_T7_T9_mT8_P12ihipStream_tbDpT10_ENKUlT_T0_E_clISt17integral_constantIbLb1EES1A_IbLb0EEEEDaS16_S17_EUlS16_E_NS1_11comp_targetILNS1_3genE3ELNS1_11target_archE908ELNS1_3gpuE7ELNS1_3repE0EEENS1_30default_config_static_selectorELNS0_4arch9wavefront6targetE0EEEvT1_
    .private_segment_fixed_size: 0
    .sgpr_count:     0
    .sgpr_spill_count: 0
    .symbol:         _ZN7rocprim17ROCPRIM_400000_NS6detail17trampoline_kernelINS0_14default_configENS1_25partition_config_selectorILNS1_17partition_subalgoE5EfNS0_10empty_typeEbEEZZNS1_14partition_implILS5_5ELb0ES3_mN6thrust23THRUST_200600_302600_NS6detail15normal_iteratorINSA_10device_ptrIfEEEEPS6_NSA_18transform_iteratorINSB_9not_fun_tI7is_trueIfEEESF_NSA_11use_defaultESM_EENS0_5tupleIJSF_S6_EEENSO_IJSG_SG_EEES6_PlJS6_EEE10hipError_tPvRmT3_T4_T5_T6_T7_T9_mT8_P12ihipStream_tbDpT10_ENKUlT_T0_E_clISt17integral_constantIbLb1EES1A_IbLb0EEEEDaS16_S17_EUlS16_E_NS1_11comp_targetILNS1_3genE3ELNS1_11target_archE908ELNS1_3gpuE7ELNS1_3repE0EEENS1_30default_config_static_selectorELNS0_4arch9wavefront6targetE0EEEvT1_.kd
    .uniform_work_group_size: 1
    .uses_dynamic_stack: false
    .vgpr_count:     0
    .vgpr_spill_count: 0
    .wavefront_size: 32
    .workgroup_processor_mode: 1
  - .args:
      - .offset:         0
        .size:           120
        .value_kind:     by_value
    .group_segment_fixed_size: 0
    .kernarg_segment_align: 8
    .kernarg_segment_size: 120
    .language:       OpenCL C
    .language_version:
      - 2
      - 0
    .max_flat_workgroup_size: 256
    .name:           _ZN7rocprim17ROCPRIM_400000_NS6detail17trampoline_kernelINS0_14default_configENS1_25partition_config_selectorILNS1_17partition_subalgoE5EfNS0_10empty_typeEbEEZZNS1_14partition_implILS5_5ELb0ES3_mN6thrust23THRUST_200600_302600_NS6detail15normal_iteratorINSA_10device_ptrIfEEEEPS6_NSA_18transform_iteratorINSB_9not_fun_tI7is_trueIfEEESF_NSA_11use_defaultESM_EENS0_5tupleIJSF_S6_EEENSO_IJSG_SG_EEES6_PlJS6_EEE10hipError_tPvRmT3_T4_T5_T6_T7_T9_mT8_P12ihipStream_tbDpT10_ENKUlT_T0_E_clISt17integral_constantIbLb1EES1A_IbLb0EEEEDaS16_S17_EUlS16_E_NS1_11comp_targetILNS1_3genE2ELNS1_11target_archE906ELNS1_3gpuE6ELNS1_3repE0EEENS1_30default_config_static_selectorELNS0_4arch9wavefront6targetE0EEEvT1_
    .private_segment_fixed_size: 0
    .sgpr_count:     0
    .sgpr_spill_count: 0
    .symbol:         _ZN7rocprim17ROCPRIM_400000_NS6detail17trampoline_kernelINS0_14default_configENS1_25partition_config_selectorILNS1_17partition_subalgoE5EfNS0_10empty_typeEbEEZZNS1_14partition_implILS5_5ELb0ES3_mN6thrust23THRUST_200600_302600_NS6detail15normal_iteratorINSA_10device_ptrIfEEEEPS6_NSA_18transform_iteratorINSB_9not_fun_tI7is_trueIfEEESF_NSA_11use_defaultESM_EENS0_5tupleIJSF_S6_EEENSO_IJSG_SG_EEES6_PlJS6_EEE10hipError_tPvRmT3_T4_T5_T6_T7_T9_mT8_P12ihipStream_tbDpT10_ENKUlT_T0_E_clISt17integral_constantIbLb1EES1A_IbLb0EEEEDaS16_S17_EUlS16_E_NS1_11comp_targetILNS1_3genE2ELNS1_11target_archE906ELNS1_3gpuE6ELNS1_3repE0EEENS1_30default_config_static_selectorELNS0_4arch9wavefront6targetE0EEEvT1_.kd
    .uniform_work_group_size: 1
    .uses_dynamic_stack: false
    .vgpr_count:     0
    .vgpr_spill_count: 0
    .wavefront_size: 32
    .workgroup_processor_mode: 1
  - .args:
      - .offset:         0
        .size:           120
        .value_kind:     by_value
    .group_segment_fixed_size: 0
    .kernarg_segment_align: 8
    .kernarg_segment_size: 120
    .language:       OpenCL C
    .language_version:
      - 2
      - 0
    .max_flat_workgroup_size: 384
    .name:           _ZN7rocprim17ROCPRIM_400000_NS6detail17trampoline_kernelINS0_14default_configENS1_25partition_config_selectorILNS1_17partition_subalgoE5EfNS0_10empty_typeEbEEZZNS1_14partition_implILS5_5ELb0ES3_mN6thrust23THRUST_200600_302600_NS6detail15normal_iteratorINSA_10device_ptrIfEEEEPS6_NSA_18transform_iteratorINSB_9not_fun_tI7is_trueIfEEESF_NSA_11use_defaultESM_EENS0_5tupleIJSF_S6_EEENSO_IJSG_SG_EEES6_PlJS6_EEE10hipError_tPvRmT3_T4_T5_T6_T7_T9_mT8_P12ihipStream_tbDpT10_ENKUlT_T0_E_clISt17integral_constantIbLb1EES1A_IbLb0EEEEDaS16_S17_EUlS16_E_NS1_11comp_targetILNS1_3genE10ELNS1_11target_archE1200ELNS1_3gpuE4ELNS1_3repE0EEENS1_30default_config_static_selectorELNS0_4arch9wavefront6targetE0EEEvT1_
    .private_segment_fixed_size: 0
    .sgpr_count:     0
    .sgpr_spill_count: 0
    .symbol:         _ZN7rocprim17ROCPRIM_400000_NS6detail17trampoline_kernelINS0_14default_configENS1_25partition_config_selectorILNS1_17partition_subalgoE5EfNS0_10empty_typeEbEEZZNS1_14partition_implILS5_5ELb0ES3_mN6thrust23THRUST_200600_302600_NS6detail15normal_iteratorINSA_10device_ptrIfEEEEPS6_NSA_18transform_iteratorINSB_9not_fun_tI7is_trueIfEEESF_NSA_11use_defaultESM_EENS0_5tupleIJSF_S6_EEENSO_IJSG_SG_EEES6_PlJS6_EEE10hipError_tPvRmT3_T4_T5_T6_T7_T9_mT8_P12ihipStream_tbDpT10_ENKUlT_T0_E_clISt17integral_constantIbLb1EES1A_IbLb0EEEEDaS16_S17_EUlS16_E_NS1_11comp_targetILNS1_3genE10ELNS1_11target_archE1200ELNS1_3gpuE4ELNS1_3repE0EEENS1_30default_config_static_selectorELNS0_4arch9wavefront6targetE0EEEvT1_.kd
    .uniform_work_group_size: 1
    .uses_dynamic_stack: false
    .vgpr_count:     0
    .vgpr_spill_count: 0
    .wavefront_size: 32
    .workgroup_processor_mode: 1
  - .args:
      - .offset:         0
        .size:           120
        .value_kind:     by_value
    .group_segment_fixed_size: 0
    .kernarg_segment_align: 8
    .kernarg_segment_size: 120
    .language:       OpenCL C
    .language_version:
      - 2
      - 0
    .max_flat_workgroup_size: 128
    .name:           _ZN7rocprim17ROCPRIM_400000_NS6detail17trampoline_kernelINS0_14default_configENS1_25partition_config_selectorILNS1_17partition_subalgoE5EfNS0_10empty_typeEbEEZZNS1_14partition_implILS5_5ELb0ES3_mN6thrust23THRUST_200600_302600_NS6detail15normal_iteratorINSA_10device_ptrIfEEEEPS6_NSA_18transform_iteratorINSB_9not_fun_tI7is_trueIfEEESF_NSA_11use_defaultESM_EENS0_5tupleIJSF_S6_EEENSO_IJSG_SG_EEES6_PlJS6_EEE10hipError_tPvRmT3_T4_T5_T6_T7_T9_mT8_P12ihipStream_tbDpT10_ENKUlT_T0_E_clISt17integral_constantIbLb1EES1A_IbLb0EEEEDaS16_S17_EUlS16_E_NS1_11comp_targetILNS1_3genE9ELNS1_11target_archE1100ELNS1_3gpuE3ELNS1_3repE0EEENS1_30default_config_static_selectorELNS0_4arch9wavefront6targetE0EEEvT1_
    .private_segment_fixed_size: 0
    .sgpr_count:     0
    .sgpr_spill_count: 0
    .symbol:         _ZN7rocprim17ROCPRIM_400000_NS6detail17trampoline_kernelINS0_14default_configENS1_25partition_config_selectorILNS1_17partition_subalgoE5EfNS0_10empty_typeEbEEZZNS1_14partition_implILS5_5ELb0ES3_mN6thrust23THRUST_200600_302600_NS6detail15normal_iteratorINSA_10device_ptrIfEEEEPS6_NSA_18transform_iteratorINSB_9not_fun_tI7is_trueIfEEESF_NSA_11use_defaultESM_EENS0_5tupleIJSF_S6_EEENSO_IJSG_SG_EEES6_PlJS6_EEE10hipError_tPvRmT3_T4_T5_T6_T7_T9_mT8_P12ihipStream_tbDpT10_ENKUlT_T0_E_clISt17integral_constantIbLb1EES1A_IbLb0EEEEDaS16_S17_EUlS16_E_NS1_11comp_targetILNS1_3genE9ELNS1_11target_archE1100ELNS1_3gpuE3ELNS1_3repE0EEENS1_30default_config_static_selectorELNS0_4arch9wavefront6targetE0EEEvT1_.kd
    .uniform_work_group_size: 1
    .uses_dynamic_stack: false
    .vgpr_count:     0
    .vgpr_spill_count: 0
    .wavefront_size: 32
    .workgroup_processor_mode: 1
  - .args:
      - .offset:         0
        .size:           120
        .value_kind:     by_value
    .group_segment_fixed_size: 0
    .kernarg_segment_align: 8
    .kernarg_segment_size: 120
    .language:       OpenCL C
    .language_version:
      - 2
      - 0
    .max_flat_workgroup_size: 512
    .name:           _ZN7rocprim17ROCPRIM_400000_NS6detail17trampoline_kernelINS0_14default_configENS1_25partition_config_selectorILNS1_17partition_subalgoE5EfNS0_10empty_typeEbEEZZNS1_14partition_implILS5_5ELb0ES3_mN6thrust23THRUST_200600_302600_NS6detail15normal_iteratorINSA_10device_ptrIfEEEEPS6_NSA_18transform_iteratorINSB_9not_fun_tI7is_trueIfEEESF_NSA_11use_defaultESM_EENS0_5tupleIJSF_S6_EEENSO_IJSG_SG_EEES6_PlJS6_EEE10hipError_tPvRmT3_T4_T5_T6_T7_T9_mT8_P12ihipStream_tbDpT10_ENKUlT_T0_E_clISt17integral_constantIbLb1EES1A_IbLb0EEEEDaS16_S17_EUlS16_E_NS1_11comp_targetILNS1_3genE8ELNS1_11target_archE1030ELNS1_3gpuE2ELNS1_3repE0EEENS1_30default_config_static_selectorELNS0_4arch9wavefront6targetE0EEEvT1_
    .private_segment_fixed_size: 0
    .sgpr_count:     0
    .sgpr_spill_count: 0
    .symbol:         _ZN7rocprim17ROCPRIM_400000_NS6detail17trampoline_kernelINS0_14default_configENS1_25partition_config_selectorILNS1_17partition_subalgoE5EfNS0_10empty_typeEbEEZZNS1_14partition_implILS5_5ELb0ES3_mN6thrust23THRUST_200600_302600_NS6detail15normal_iteratorINSA_10device_ptrIfEEEEPS6_NSA_18transform_iteratorINSB_9not_fun_tI7is_trueIfEEESF_NSA_11use_defaultESM_EENS0_5tupleIJSF_S6_EEENSO_IJSG_SG_EEES6_PlJS6_EEE10hipError_tPvRmT3_T4_T5_T6_T7_T9_mT8_P12ihipStream_tbDpT10_ENKUlT_T0_E_clISt17integral_constantIbLb1EES1A_IbLb0EEEEDaS16_S17_EUlS16_E_NS1_11comp_targetILNS1_3genE8ELNS1_11target_archE1030ELNS1_3gpuE2ELNS1_3repE0EEENS1_30default_config_static_selectorELNS0_4arch9wavefront6targetE0EEEvT1_.kd
    .uniform_work_group_size: 1
    .uses_dynamic_stack: false
    .vgpr_count:     0
    .vgpr_spill_count: 0
    .wavefront_size: 32
    .workgroup_processor_mode: 1
  - .args:
      - .offset:         0
        .size:           136
        .value_kind:     by_value
    .group_segment_fixed_size: 0
    .kernarg_segment_align: 8
    .kernarg_segment_size: 136
    .language:       OpenCL C
    .language_version:
      - 2
      - 0
    .max_flat_workgroup_size: 512
    .name:           _ZN7rocprim17ROCPRIM_400000_NS6detail17trampoline_kernelINS0_14default_configENS1_25partition_config_selectorILNS1_17partition_subalgoE5EfNS0_10empty_typeEbEEZZNS1_14partition_implILS5_5ELb0ES3_mN6thrust23THRUST_200600_302600_NS6detail15normal_iteratorINSA_10device_ptrIfEEEEPS6_NSA_18transform_iteratorINSB_9not_fun_tI7is_trueIfEEESF_NSA_11use_defaultESM_EENS0_5tupleIJSF_S6_EEENSO_IJSG_SG_EEES6_PlJS6_EEE10hipError_tPvRmT3_T4_T5_T6_T7_T9_mT8_P12ihipStream_tbDpT10_ENKUlT_T0_E_clISt17integral_constantIbLb0EES1A_IbLb1EEEEDaS16_S17_EUlS16_E_NS1_11comp_targetILNS1_3genE0ELNS1_11target_archE4294967295ELNS1_3gpuE0ELNS1_3repE0EEENS1_30default_config_static_selectorELNS0_4arch9wavefront6targetE0EEEvT1_
    .private_segment_fixed_size: 0
    .sgpr_count:     0
    .sgpr_spill_count: 0
    .symbol:         _ZN7rocprim17ROCPRIM_400000_NS6detail17trampoline_kernelINS0_14default_configENS1_25partition_config_selectorILNS1_17partition_subalgoE5EfNS0_10empty_typeEbEEZZNS1_14partition_implILS5_5ELb0ES3_mN6thrust23THRUST_200600_302600_NS6detail15normal_iteratorINSA_10device_ptrIfEEEEPS6_NSA_18transform_iteratorINSB_9not_fun_tI7is_trueIfEEESF_NSA_11use_defaultESM_EENS0_5tupleIJSF_S6_EEENSO_IJSG_SG_EEES6_PlJS6_EEE10hipError_tPvRmT3_T4_T5_T6_T7_T9_mT8_P12ihipStream_tbDpT10_ENKUlT_T0_E_clISt17integral_constantIbLb0EES1A_IbLb1EEEEDaS16_S17_EUlS16_E_NS1_11comp_targetILNS1_3genE0ELNS1_11target_archE4294967295ELNS1_3gpuE0ELNS1_3repE0EEENS1_30default_config_static_selectorELNS0_4arch9wavefront6targetE0EEEvT1_.kd
    .uniform_work_group_size: 1
    .uses_dynamic_stack: false
    .vgpr_count:     0
    .vgpr_spill_count: 0
    .wavefront_size: 32
    .workgroup_processor_mode: 1
  - .args:
      - .offset:         0
        .size:           136
        .value_kind:     by_value
    .group_segment_fixed_size: 0
    .kernarg_segment_align: 8
    .kernarg_segment_size: 136
    .language:       OpenCL C
    .language_version:
      - 2
      - 0
    .max_flat_workgroup_size: 512
    .name:           _ZN7rocprim17ROCPRIM_400000_NS6detail17trampoline_kernelINS0_14default_configENS1_25partition_config_selectorILNS1_17partition_subalgoE5EfNS0_10empty_typeEbEEZZNS1_14partition_implILS5_5ELb0ES3_mN6thrust23THRUST_200600_302600_NS6detail15normal_iteratorINSA_10device_ptrIfEEEEPS6_NSA_18transform_iteratorINSB_9not_fun_tI7is_trueIfEEESF_NSA_11use_defaultESM_EENS0_5tupleIJSF_S6_EEENSO_IJSG_SG_EEES6_PlJS6_EEE10hipError_tPvRmT3_T4_T5_T6_T7_T9_mT8_P12ihipStream_tbDpT10_ENKUlT_T0_E_clISt17integral_constantIbLb0EES1A_IbLb1EEEEDaS16_S17_EUlS16_E_NS1_11comp_targetILNS1_3genE5ELNS1_11target_archE942ELNS1_3gpuE9ELNS1_3repE0EEENS1_30default_config_static_selectorELNS0_4arch9wavefront6targetE0EEEvT1_
    .private_segment_fixed_size: 0
    .sgpr_count:     0
    .sgpr_spill_count: 0
    .symbol:         _ZN7rocprim17ROCPRIM_400000_NS6detail17trampoline_kernelINS0_14default_configENS1_25partition_config_selectorILNS1_17partition_subalgoE5EfNS0_10empty_typeEbEEZZNS1_14partition_implILS5_5ELb0ES3_mN6thrust23THRUST_200600_302600_NS6detail15normal_iteratorINSA_10device_ptrIfEEEEPS6_NSA_18transform_iteratorINSB_9not_fun_tI7is_trueIfEEESF_NSA_11use_defaultESM_EENS0_5tupleIJSF_S6_EEENSO_IJSG_SG_EEES6_PlJS6_EEE10hipError_tPvRmT3_T4_T5_T6_T7_T9_mT8_P12ihipStream_tbDpT10_ENKUlT_T0_E_clISt17integral_constantIbLb0EES1A_IbLb1EEEEDaS16_S17_EUlS16_E_NS1_11comp_targetILNS1_3genE5ELNS1_11target_archE942ELNS1_3gpuE9ELNS1_3repE0EEENS1_30default_config_static_selectorELNS0_4arch9wavefront6targetE0EEEvT1_.kd
    .uniform_work_group_size: 1
    .uses_dynamic_stack: false
    .vgpr_count:     0
    .vgpr_spill_count: 0
    .wavefront_size: 32
    .workgroup_processor_mode: 1
  - .args:
      - .offset:         0
        .size:           136
        .value_kind:     by_value
    .group_segment_fixed_size: 0
    .kernarg_segment_align: 8
    .kernarg_segment_size: 136
    .language:       OpenCL C
    .language_version:
      - 2
      - 0
    .max_flat_workgroup_size: 256
    .name:           _ZN7rocprim17ROCPRIM_400000_NS6detail17trampoline_kernelINS0_14default_configENS1_25partition_config_selectorILNS1_17partition_subalgoE5EfNS0_10empty_typeEbEEZZNS1_14partition_implILS5_5ELb0ES3_mN6thrust23THRUST_200600_302600_NS6detail15normal_iteratorINSA_10device_ptrIfEEEEPS6_NSA_18transform_iteratorINSB_9not_fun_tI7is_trueIfEEESF_NSA_11use_defaultESM_EENS0_5tupleIJSF_S6_EEENSO_IJSG_SG_EEES6_PlJS6_EEE10hipError_tPvRmT3_T4_T5_T6_T7_T9_mT8_P12ihipStream_tbDpT10_ENKUlT_T0_E_clISt17integral_constantIbLb0EES1A_IbLb1EEEEDaS16_S17_EUlS16_E_NS1_11comp_targetILNS1_3genE4ELNS1_11target_archE910ELNS1_3gpuE8ELNS1_3repE0EEENS1_30default_config_static_selectorELNS0_4arch9wavefront6targetE0EEEvT1_
    .private_segment_fixed_size: 0
    .sgpr_count:     0
    .sgpr_spill_count: 0
    .symbol:         _ZN7rocprim17ROCPRIM_400000_NS6detail17trampoline_kernelINS0_14default_configENS1_25partition_config_selectorILNS1_17partition_subalgoE5EfNS0_10empty_typeEbEEZZNS1_14partition_implILS5_5ELb0ES3_mN6thrust23THRUST_200600_302600_NS6detail15normal_iteratorINSA_10device_ptrIfEEEEPS6_NSA_18transform_iteratorINSB_9not_fun_tI7is_trueIfEEESF_NSA_11use_defaultESM_EENS0_5tupleIJSF_S6_EEENSO_IJSG_SG_EEES6_PlJS6_EEE10hipError_tPvRmT3_T4_T5_T6_T7_T9_mT8_P12ihipStream_tbDpT10_ENKUlT_T0_E_clISt17integral_constantIbLb0EES1A_IbLb1EEEEDaS16_S17_EUlS16_E_NS1_11comp_targetILNS1_3genE4ELNS1_11target_archE910ELNS1_3gpuE8ELNS1_3repE0EEENS1_30default_config_static_selectorELNS0_4arch9wavefront6targetE0EEEvT1_.kd
    .uniform_work_group_size: 1
    .uses_dynamic_stack: false
    .vgpr_count:     0
    .vgpr_spill_count: 0
    .wavefront_size: 32
    .workgroup_processor_mode: 1
  - .args:
      - .offset:         0
        .size:           136
        .value_kind:     by_value
    .group_segment_fixed_size: 0
    .kernarg_segment_align: 8
    .kernarg_segment_size: 136
    .language:       OpenCL C
    .language_version:
      - 2
      - 0
    .max_flat_workgroup_size: 512
    .name:           _ZN7rocprim17ROCPRIM_400000_NS6detail17trampoline_kernelINS0_14default_configENS1_25partition_config_selectorILNS1_17partition_subalgoE5EfNS0_10empty_typeEbEEZZNS1_14partition_implILS5_5ELb0ES3_mN6thrust23THRUST_200600_302600_NS6detail15normal_iteratorINSA_10device_ptrIfEEEEPS6_NSA_18transform_iteratorINSB_9not_fun_tI7is_trueIfEEESF_NSA_11use_defaultESM_EENS0_5tupleIJSF_S6_EEENSO_IJSG_SG_EEES6_PlJS6_EEE10hipError_tPvRmT3_T4_T5_T6_T7_T9_mT8_P12ihipStream_tbDpT10_ENKUlT_T0_E_clISt17integral_constantIbLb0EES1A_IbLb1EEEEDaS16_S17_EUlS16_E_NS1_11comp_targetILNS1_3genE3ELNS1_11target_archE908ELNS1_3gpuE7ELNS1_3repE0EEENS1_30default_config_static_selectorELNS0_4arch9wavefront6targetE0EEEvT1_
    .private_segment_fixed_size: 0
    .sgpr_count:     0
    .sgpr_spill_count: 0
    .symbol:         _ZN7rocprim17ROCPRIM_400000_NS6detail17trampoline_kernelINS0_14default_configENS1_25partition_config_selectorILNS1_17partition_subalgoE5EfNS0_10empty_typeEbEEZZNS1_14partition_implILS5_5ELb0ES3_mN6thrust23THRUST_200600_302600_NS6detail15normal_iteratorINSA_10device_ptrIfEEEEPS6_NSA_18transform_iteratorINSB_9not_fun_tI7is_trueIfEEESF_NSA_11use_defaultESM_EENS0_5tupleIJSF_S6_EEENSO_IJSG_SG_EEES6_PlJS6_EEE10hipError_tPvRmT3_T4_T5_T6_T7_T9_mT8_P12ihipStream_tbDpT10_ENKUlT_T0_E_clISt17integral_constantIbLb0EES1A_IbLb1EEEEDaS16_S17_EUlS16_E_NS1_11comp_targetILNS1_3genE3ELNS1_11target_archE908ELNS1_3gpuE7ELNS1_3repE0EEENS1_30default_config_static_selectorELNS0_4arch9wavefront6targetE0EEEvT1_.kd
    .uniform_work_group_size: 1
    .uses_dynamic_stack: false
    .vgpr_count:     0
    .vgpr_spill_count: 0
    .wavefront_size: 32
    .workgroup_processor_mode: 1
  - .args:
      - .offset:         0
        .size:           136
        .value_kind:     by_value
    .group_segment_fixed_size: 0
    .kernarg_segment_align: 8
    .kernarg_segment_size: 136
    .language:       OpenCL C
    .language_version:
      - 2
      - 0
    .max_flat_workgroup_size: 256
    .name:           _ZN7rocprim17ROCPRIM_400000_NS6detail17trampoline_kernelINS0_14default_configENS1_25partition_config_selectorILNS1_17partition_subalgoE5EfNS0_10empty_typeEbEEZZNS1_14partition_implILS5_5ELb0ES3_mN6thrust23THRUST_200600_302600_NS6detail15normal_iteratorINSA_10device_ptrIfEEEEPS6_NSA_18transform_iteratorINSB_9not_fun_tI7is_trueIfEEESF_NSA_11use_defaultESM_EENS0_5tupleIJSF_S6_EEENSO_IJSG_SG_EEES6_PlJS6_EEE10hipError_tPvRmT3_T4_T5_T6_T7_T9_mT8_P12ihipStream_tbDpT10_ENKUlT_T0_E_clISt17integral_constantIbLb0EES1A_IbLb1EEEEDaS16_S17_EUlS16_E_NS1_11comp_targetILNS1_3genE2ELNS1_11target_archE906ELNS1_3gpuE6ELNS1_3repE0EEENS1_30default_config_static_selectorELNS0_4arch9wavefront6targetE0EEEvT1_
    .private_segment_fixed_size: 0
    .sgpr_count:     0
    .sgpr_spill_count: 0
    .symbol:         _ZN7rocprim17ROCPRIM_400000_NS6detail17trampoline_kernelINS0_14default_configENS1_25partition_config_selectorILNS1_17partition_subalgoE5EfNS0_10empty_typeEbEEZZNS1_14partition_implILS5_5ELb0ES3_mN6thrust23THRUST_200600_302600_NS6detail15normal_iteratorINSA_10device_ptrIfEEEEPS6_NSA_18transform_iteratorINSB_9not_fun_tI7is_trueIfEEESF_NSA_11use_defaultESM_EENS0_5tupleIJSF_S6_EEENSO_IJSG_SG_EEES6_PlJS6_EEE10hipError_tPvRmT3_T4_T5_T6_T7_T9_mT8_P12ihipStream_tbDpT10_ENKUlT_T0_E_clISt17integral_constantIbLb0EES1A_IbLb1EEEEDaS16_S17_EUlS16_E_NS1_11comp_targetILNS1_3genE2ELNS1_11target_archE906ELNS1_3gpuE6ELNS1_3repE0EEENS1_30default_config_static_selectorELNS0_4arch9wavefront6targetE0EEEvT1_.kd
    .uniform_work_group_size: 1
    .uses_dynamic_stack: false
    .vgpr_count:     0
    .vgpr_spill_count: 0
    .wavefront_size: 32
    .workgroup_processor_mode: 1
  - .args:
      - .offset:         0
        .size:           136
        .value_kind:     by_value
    .group_segment_fixed_size: 10768
    .kernarg_segment_align: 8
    .kernarg_segment_size: 136
    .language:       OpenCL C
    .language_version:
      - 2
      - 0
    .max_flat_workgroup_size: 384
    .name:           _ZN7rocprim17ROCPRIM_400000_NS6detail17trampoline_kernelINS0_14default_configENS1_25partition_config_selectorILNS1_17partition_subalgoE5EfNS0_10empty_typeEbEEZZNS1_14partition_implILS5_5ELb0ES3_mN6thrust23THRUST_200600_302600_NS6detail15normal_iteratorINSA_10device_ptrIfEEEEPS6_NSA_18transform_iteratorINSB_9not_fun_tI7is_trueIfEEESF_NSA_11use_defaultESM_EENS0_5tupleIJSF_S6_EEENSO_IJSG_SG_EEES6_PlJS6_EEE10hipError_tPvRmT3_T4_T5_T6_T7_T9_mT8_P12ihipStream_tbDpT10_ENKUlT_T0_E_clISt17integral_constantIbLb0EES1A_IbLb1EEEEDaS16_S17_EUlS16_E_NS1_11comp_targetILNS1_3genE10ELNS1_11target_archE1200ELNS1_3gpuE4ELNS1_3repE0EEENS1_30default_config_static_selectorELNS0_4arch9wavefront6targetE0EEEvT1_
    .private_segment_fixed_size: 0
    .sgpr_count:     26
    .sgpr_spill_count: 0
    .symbol:         _ZN7rocprim17ROCPRIM_400000_NS6detail17trampoline_kernelINS0_14default_configENS1_25partition_config_selectorILNS1_17partition_subalgoE5EfNS0_10empty_typeEbEEZZNS1_14partition_implILS5_5ELb0ES3_mN6thrust23THRUST_200600_302600_NS6detail15normal_iteratorINSA_10device_ptrIfEEEEPS6_NSA_18transform_iteratorINSB_9not_fun_tI7is_trueIfEEESF_NSA_11use_defaultESM_EENS0_5tupleIJSF_S6_EEENSO_IJSG_SG_EEES6_PlJS6_EEE10hipError_tPvRmT3_T4_T5_T6_T7_T9_mT8_P12ihipStream_tbDpT10_ENKUlT_T0_E_clISt17integral_constantIbLb0EES1A_IbLb1EEEEDaS16_S17_EUlS16_E_NS1_11comp_targetILNS1_3genE10ELNS1_11target_archE1200ELNS1_3gpuE4ELNS1_3repE0EEENS1_30default_config_static_selectorELNS0_4arch9wavefront6targetE0EEEvT1_.kd
    .uniform_work_group_size: 1
    .uses_dynamic_stack: false
    .vgpr_count:     49
    .vgpr_spill_count: 0
    .wavefront_size: 32
    .workgroup_processor_mode: 1
  - .args:
      - .offset:         0
        .size:           136
        .value_kind:     by_value
    .group_segment_fixed_size: 0
    .kernarg_segment_align: 8
    .kernarg_segment_size: 136
    .language:       OpenCL C
    .language_version:
      - 2
      - 0
    .max_flat_workgroup_size: 128
    .name:           _ZN7rocprim17ROCPRIM_400000_NS6detail17trampoline_kernelINS0_14default_configENS1_25partition_config_selectorILNS1_17partition_subalgoE5EfNS0_10empty_typeEbEEZZNS1_14partition_implILS5_5ELb0ES3_mN6thrust23THRUST_200600_302600_NS6detail15normal_iteratorINSA_10device_ptrIfEEEEPS6_NSA_18transform_iteratorINSB_9not_fun_tI7is_trueIfEEESF_NSA_11use_defaultESM_EENS0_5tupleIJSF_S6_EEENSO_IJSG_SG_EEES6_PlJS6_EEE10hipError_tPvRmT3_T4_T5_T6_T7_T9_mT8_P12ihipStream_tbDpT10_ENKUlT_T0_E_clISt17integral_constantIbLb0EES1A_IbLb1EEEEDaS16_S17_EUlS16_E_NS1_11comp_targetILNS1_3genE9ELNS1_11target_archE1100ELNS1_3gpuE3ELNS1_3repE0EEENS1_30default_config_static_selectorELNS0_4arch9wavefront6targetE0EEEvT1_
    .private_segment_fixed_size: 0
    .sgpr_count:     0
    .sgpr_spill_count: 0
    .symbol:         _ZN7rocprim17ROCPRIM_400000_NS6detail17trampoline_kernelINS0_14default_configENS1_25partition_config_selectorILNS1_17partition_subalgoE5EfNS0_10empty_typeEbEEZZNS1_14partition_implILS5_5ELb0ES3_mN6thrust23THRUST_200600_302600_NS6detail15normal_iteratorINSA_10device_ptrIfEEEEPS6_NSA_18transform_iteratorINSB_9not_fun_tI7is_trueIfEEESF_NSA_11use_defaultESM_EENS0_5tupleIJSF_S6_EEENSO_IJSG_SG_EEES6_PlJS6_EEE10hipError_tPvRmT3_T4_T5_T6_T7_T9_mT8_P12ihipStream_tbDpT10_ENKUlT_T0_E_clISt17integral_constantIbLb0EES1A_IbLb1EEEEDaS16_S17_EUlS16_E_NS1_11comp_targetILNS1_3genE9ELNS1_11target_archE1100ELNS1_3gpuE3ELNS1_3repE0EEENS1_30default_config_static_selectorELNS0_4arch9wavefront6targetE0EEEvT1_.kd
    .uniform_work_group_size: 1
    .uses_dynamic_stack: false
    .vgpr_count:     0
    .vgpr_spill_count: 0
    .wavefront_size: 32
    .workgroup_processor_mode: 1
  - .args:
      - .offset:         0
        .size:           136
        .value_kind:     by_value
    .group_segment_fixed_size: 0
    .kernarg_segment_align: 8
    .kernarg_segment_size: 136
    .language:       OpenCL C
    .language_version:
      - 2
      - 0
    .max_flat_workgroup_size: 512
    .name:           _ZN7rocprim17ROCPRIM_400000_NS6detail17trampoline_kernelINS0_14default_configENS1_25partition_config_selectorILNS1_17partition_subalgoE5EfNS0_10empty_typeEbEEZZNS1_14partition_implILS5_5ELb0ES3_mN6thrust23THRUST_200600_302600_NS6detail15normal_iteratorINSA_10device_ptrIfEEEEPS6_NSA_18transform_iteratorINSB_9not_fun_tI7is_trueIfEEESF_NSA_11use_defaultESM_EENS0_5tupleIJSF_S6_EEENSO_IJSG_SG_EEES6_PlJS6_EEE10hipError_tPvRmT3_T4_T5_T6_T7_T9_mT8_P12ihipStream_tbDpT10_ENKUlT_T0_E_clISt17integral_constantIbLb0EES1A_IbLb1EEEEDaS16_S17_EUlS16_E_NS1_11comp_targetILNS1_3genE8ELNS1_11target_archE1030ELNS1_3gpuE2ELNS1_3repE0EEENS1_30default_config_static_selectorELNS0_4arch9wavefront6targetE0EEEvT1_
    .private_segment_fixed_size: 0
    .sgpr_count:     0
    .sgpr_spill_count: 0
    .symbol:         _ZN7rocprim17ROCPRIM_400000_NS6detail17trampoline_kernelINS0_14default_configENS1_25partition_config_selectorILNS1_17partition_subalgoE5EfNS0_10empty_typeEbEEZZNS1_14partition_implILS5_5ELb0ES3_mN6thrust23THRUST_200600_302600_NS6detail15normal_iteratorINSA_10device_ptrIfEEEEPS6_NSA_18transform_iteratorINSB_9not_fun_tI7is_trueIfEEESF_NSA_11use_defaultESM_EENS0_5tupleIJSF_S6_EEENSO_IJSG_SG_EEES6_PlJS6_EEE10hipError_tPvRmT3_T4_T5_T6_T7_T9_mT8_P12ihipStream_tbDpT10_ENKUlT_T0_E_clISt17integral_constantIbLb0EES1A_IbLb1EEEEDaS16_S17_EUlS16_E_NS1_11comp_targetILNS1_3genE8ELNS1_11target_archE1030ELNS1_3gpuE2ELNS1_3repE0EEENS1_30default_config_static_selectorELNS0_4arch9wavefront6targetE0EEEvT1_.kd
    .uniform_work_group_size: 1
    .uses_dynamic_stack: false
    .vgpr_count:     0
    .vgpr_spill_count: 0
    .wavefront_size: 32
    .workgroup_processor_mode: 1
  - .args:
      - .offset:         0
        .size:           24
        .value_kind:     by_value
      - .offset:         24
        .size:           8
        .value_kind:     by_value
      - .offset:         32
        .size:           8
        .value_kind:     by_value
    .group_segment_fixed_size: 0
    .kernarg_segment_align: 8
    .kernarg_segment_size: 40
    .language:       OpenCL C
    .language_version:
      - 2
      - 0
    .max_flat_workgroup_size: 256
    .name:           _ZN6thrust23THRUST_200600_302600_NS11hip_rocprim14__parallel_for6kernelILj256ENS1_11__transform17unary_transform_fINS0_7pointerIbNS1_3tagENS0_11use_defaultES8_EENS0_10device_ptrIyEENS4_14no_stencil_tagENS0_8identityIbEENS4_21always_true_predicateEEElLj1EEEvT0_T1_SI_
    .private_segment_fixed_size: 0
    .sgpr_count:     14
    .sgpr_spill_count: 0
    .symbol:         _ZN6thrust23THRUST_200600_302600_NS11hip_rocprim14__parallel_for6kernelILj256ENS1_11__transform17unary_transform_fINS0_7pointerIbNS1_3tagENS0_11use_defaultES8_EENS0_10device_ptrIyEENS4_14no_stencil_tagENS0_8identityIbEENS4_21always_true_predicateEEElLj1EEEvT0_T1_SI_.kd
    .uniform_work_group_size: 1
    .uses_dynamic_stack: false
    .vgpr_count:     5
    .vgpr_spill_count: 0
    .wavefront_size: 32
    .workgroup_processor_mode: 1
  - .args:
      - .offset:         0
        .size:           120
        .value_kind:     by_value
    .group_segment_fixed_size: 0
    .kernarg_segment_align: 8
    .kernarg_segment_size: 120
    .language:       OpenCL C
    .language_version:
      - 2
      - 0
    .max_flat_workgroup_size: 128
    .name:           _ZN7rocprim17ROCPRIM_400000_NS6detail17trampoline_kernelINS0_14default_configENS1_25partition_config_selectorILNS1_17partition_subalgoE5EyNS0_10empty_typeEbEEZZNS1_14partition_implILS5_5ELb0ES3_mN6thrust23THRUST_200600_302600_NS6detail15normal_iteratorINSA_10device_ptrIyEEEEPS6_NSA_18transform_iteratorINSB_9not_fun_tI7is_trueIyEEESF_NSA_11use_defaultESM_EENS0_5tupleIJSF_S6_EEENSO_IJSG_SG_EEES6_PlJS6_EEE10hipError_tPvRmT3_T4_T5_T6_T7_T9_mT8_P12ihipStream_tbDpT10_ENKUlT_T0_E_clISt17integral_constantIbLb0EES1B_EEDaS16_S17_EUlS16_E_NS1_11comp_targetILNS1_3genE0ELNS1_11target_archE4294967295ELNS1_3gpuE0ELNS1_3repE0EEENS1_30default_config_static_selectorELNS0_4arch9wavefront6targetE0EEEvT1_
    .private_segment_fixed_size: 0
    .sgpr_count:     0
    .sgpr_spill_count: 0
    .symbol:         _ZN7rocprim17ROCPRIM_400000_NS6detail17trampoline_kernelINS0_14default_configENS1_25partition_config_selectorILNS1_17partition_subalgoE5EyNS0_10empty_typeEbEEZZNS1_14partition_implILS5_5ELb0ES3_mN6thrust23THRUST_200600_302600_NS6detail15normal_iteratorINSA_10device_ptrIyEEEEPS6_NSA_18transform_iteratorINSB_9not_fun_tI7is_trueIyEEESF_NSA_11use_defaultESM_EENS0_5tupleIJSF_S6_EEENSO_IJSG_SG_EEES6_PlJS6_EEE10hipError_tPvRmT3_T4_T5_T6_T7_T9_mT8_P12ihipStream_tbDpT10_ENKUlT_T0_E_clISt17integral_constantIbLb0EES1B_EEDaS16_S17_EUlS16_E_NS1_11comp_targetILNS1_3genE0ELNS1_11target_archE4294967295ELNS1_3gpuE0ELNS1_3repE0EEENS1_30default_config_static_selectorELNS0_4arch9wavefront6targetE0EEEvT1_.kd
    .uniform_work_group_size: 1
    .uses_dynamic_stack: false
    .vgpr_count:     0
    .vgpr_spill_count: 0
    .wavefront_size: 32
    .workgroup_processor_mode: 1
  - .args:
      - .offset:         0
        .size:           120
        .value_kind:     by_value
    .group_segment_fixed_size: 0
    .kernarg_segment_align: 8
    .kernarg_segment_size: 120
    .language:       OpenCL C
    .language_version:
      - 2
      - 0
    .max_flat_workgroup_size: 512
    .name:           _ZN7rocprim17ROCPRIM_400000_NS6detail17trampoline_kernelINS0_14default_configENS1_25partition_config_selectorILNS1_17partition_subalgoE5EyNS0_10empty_typeEbEEZZNS1_14partition_implILS5_5ELb0ES3_mN6thrust23THRUST_200600_302600_NS6detail15normal_iteratorINSA_10device_ptrIyEEEEPS6_NSA_18transform_iteratorINSB_9not_fun_tI7is_trueIyEEESF_NSA_11use_defaultESM_EENS0_5tupleIJSF_S6_EEENSO_IJSG_SG_EEES6_PlJS6_EEE10hipError_tPvRmT3_T4_T5_T6_T7_T9_mT8_P12ihipStream_tbDpT10_ENKUlT_T0_E_clISt17integral_constantIbLb0EES1B_EEDaS16_S17_EUlS16_E_NS1_11comp_targetILNS1_3genE5ELNS1_11target_archE942ELNS1_3gpuE9ELNS1_3repE0EEENS1_30default_config_static_selectorELNS0_4arch9wavefront6targetE0EEEvT1_
    .private_segment_fixed_size: 0
    .sgpr_count:     0
    .sgpr_spill_count: 0
    .symbol:         _ZN7rocprim17ROCPRIM_400000_NS6detail17trampoline_kernelINS0_14default_configENS1_25partition_config_selectorILNS1_17partition_subalgoE5EyNS0_10empty_typeEbEEZZNS1_14partition_implILS5_5ELb0ES3_mN6thrust23THRUST_200600_302600_NS6detail15normal_iteratorINSA_10device_ptrIyEEEEPS6_NSA_18transform_iteratorINSB_9not_fun_tI7is_trueIyEEESF_NSA_11use_defaultESM_EENS0_5tupleIJSF_S6_EEENSO_IJSG_SG_EEES6_PlJS6_EEE10hipError_tPvRmT3_T4_T5_T6_T7_T9_mT8_P12ihipStream_tbDpT10_ENKUlT_T0_E_clISt17integral_constantIbLb0EES1B_EEDaS16_S17_EUlS16_E_NS1_11comp_targetILNS1_3genE5ELNS1_11target_archE942ELNS1_3gpuE9ELNS1_3repE0EEENS1_30default_config_static_selectorELNS0_4arch9wavefront6targetE0EEEvT1_.kd
    .uniform_work_group_size: 1
    .uses_dynamic_stack: false
    .vgpr_count:     0
    .vgpr_spill_count: 0
    .wavefront_size: 32
    .workgroup_processor_mode: 1
  - .args:
      - .offset:         0
        .size:           120
        .value_kind:     by_value
    .group_segment_fixed_size: 0
    .kernarg_segment_align: 8
    .kernarg_segment_size: 120
    .language:       OpenCL C
    .language_version:
      - 2
      - 0
    .max_flat_workgroup_size: 192
    .name:           _ZN7rocprim17ROCPRIM_400000_NS6detail17trampoline_kernelINS0_14default_configENS1_25partition_config_selectorILNS1_17partition_subalgoE5EyNS0_10empty_typeEbEEZZNS1_14partition_implILS5_5ELb0ES3_mN6thrust23THRUST_200600_302600_NS6detail15normal_iteratorINSA_10device_ptrIyEEEEPS6_NSA_18transform_iteratorINSB_9not_fun_tI7is_trueIyEEESF_NSA_11use_defaultESM_EENS0_5tupleIJSF_S6_EEENSO_IJSG_SG_EEES6_PlJS6_EEE10hipError_tPvRmT3_T4_T5_T6_T7_T9_mT8_P12ihipStream_tbDpT10_ENKUlT_T0_E_clISt17integral_constantIbLb0EES1B_EEDaS16_S17_EUlS16_E_NS1_11comp_targetILNS1_3genE4ELNS1_11target_archE910ELNS1_3gpuE8ELNS1_3repE0EEENS1_30default_config_static_selectorELNS0_4arch9wavefront6targetE0EEEvT1_
    .private_segment_fixed_size: 0
    .sgpr_count:     0
    .sgpr_spill_count: 0
    .symbol:         _ZN7rocprim17ROCPRIM_400000_NS6detail17trampoline_kernelINS0_14default_configENS1_25partition_config_selectorILNS1_17partition_subalgoE5EyNS0_10empty_typeEbEEZZNS1_14partition_implILS5_5ELb0ES3_mN6thrust23THRUST_200600_302600_NS6detail15normal_iteratorINSA_10device_ptrIyEEEEPS6_NSA_18transform_iteratorINSB_9not_fun_tI7is_trueIyEEESF_NSA_11use_defaultESM_EENS0_5tupleIJSF_S6_EEENSO_IJSG_SG_EEES6_PlJS6_EEE10hipError_tPvRmT3_T4_T5_T6_T7_T9_mT8_P12ihipStream_tbDpT10_ENKUlT_T0_E_clISt17integral_constantIbLb0EES1B_EEDaS16_S17_EUlS16_E_NS1_11comp_targetILNS1_3genE4ELNS1_11target_archE910ELNS1_3gpuE8ELNS1_3repE0EEENS1_30default_config_static_selectorELNS0_4arch9wavefront6targetE0EEEvT1_.kd
    .uniform_work_group_size: 1
    .uses_dynamic_stack: false
    .vgpr_count:     0
    .vgpr_spill_count: 0
    .wavefront_size: 32
    .workgroup_processor_mode: 1
  - .args:
      - .offset:         0
        .size:           120
        .value_kind:     by_value
    .group_segment_fixed_size: 0
    .kernarg_segment_align: 8
    .kernarg_segment_size: 120
    .language:       OpenCL C
    .language_version:
      - 2
      - 0
    .max_flat_workgroup_size: 128
    .name:           _ZN7rocprim17ROCPRIM_400000_NS6detail17trampoline_kernelINS0_14default_configENS1_25partition_config_selectorILNS1_17partition_subalgoE5EyNS0_10empty_typeEbEEZZNS1_14partition_implILS5_5ELb0ES3_mN6thrust23THRUST_200600_302600_NS6detail15normal_iteratorINSA_10device_ptrIyEEEEPS6_NSA_18transform_iteratorINSB_9not_fun_tI7is_trueIyEEESF_NSA_11use_defaultESM_EENS0_5tupleIJSF_S6_EEENSO_IJSG_SG_EEES6_PlJS6_EEE10hipError_tPvRmT3_T4_T5_T6_T7_T9_mT8_P12ihipStream_tbDpT10_ENKUlT_T0_E_clISt17integral_constantIbLb0EES1B_EEDaS16_S17_EUlS16_E_NS1_11comp_targetILNS1_3genE3ELNS1_11target_archE908ELNS1_3gpuE7ELNS1_3repE0EEENS1_30default_config_static_selectorELNS0_4arch9wavefront6targetE0EEEvT1_
    .private_segment_fixed_size: 0
    .sgpr_count:     0
    .sgpr_spill_count: 0
    .symbol:         _ZN7rocprim17ROCPRIM_400000_NS6detail17trampoline_kernelINS0_14default_configENS1_25partition_config_selectorILNS1_17partition_subalgoE5EyNS0_10empty_typeEbEEZZNS1_14partition_implILS5_5ELb0ES3_mN6thrust23THRUST_200600_302600_NS6detail15normal_iteratorINSA_10device_ptrIyEEEEPS6_NSA_18transform_iteratorINSB_9not_fun_tI7is_trueIyEEESF_NSA_11use_defaultESM_EENS0_5tupleIJSF_S6_EEENSO_IJSG_SG_EEES6_PlJS6_EEE10hipError_tPvRmT3_T4_T5_T6_T7_T9_mT8_P12ihipStream_tbDpT10_ENKUlT_T0_E_clISt17integral_constantIbLb0EES1B_EEDaS16_S17_EUlS16_E_NS1_11comp_targetILNS1_3genE3ELNS1_11target_archE908ELNS1_3gpuE7ELNS1_3repE0EEENS1_30default_config_static_selectorELNS0_4arch9wavefront6targetE0EEEvT1_.kd
    .uniform_work_group_size: 1
    .uses_dynamic_stack: false
    .vgpr_count:     0
    .vgpr_spill_count: 0
    .wavefront_size: 32
    .workgroup_processor_mode: 1
  - .args:
      - .offset:         0
        .size:           120
        .value_kind:     by_value
    .group_segment_fixed_size: 0
    .kernarg_segment_align: 8
    .kernarg_segment_size: 120
    .language:       OpenCL C
    .language_version:
      - 2
      - 0
    .max_flat_workgroup_size: 256
    .name:           _ZN7rocprim17ROCPRIM_400000_NS6detail17trampoline_kernelINS0_14default_configENS1_25partition_config_selectorILNS1_17partition_subalgoE5EyNS0_10empty_typeEbEEZZNS1_14partition_implILS5_5ELb0ES3_mN6thrust23THRUST_200600_302600_NS6detail15normal_iteratorINSA_10device_ptrIyEEEEPS6_NSA_18transform_iteratorINSB_9not_fun_tI7is_trueIyEEESF_NSA_11use_defaultESM_EENS0_5tupleIJSF_S6_EEENSO_IJSG_SG_EEES6_PlJS6_EEE10hipError_tPvRmT3_T4_T5_T6_T7_T9_mT8_P12ihipStream_tbDpT10_ENKUlT_T0_E_clISt17integral_constantIbLb0EES1B_EEDaS16_S17_EUlS16_E_NS1_11comp_targetILNS1_3genE2ELNS1_11target_archE906ELNS1_3gpuE6ELNS1_3repE0EEENS1_30default_config_static_selectorELNS0_4arch9wavefront6targetE0EEEvT1_
    .private_segment_fixed_size: 0
    .sgpr_count:     0
    .sgpr_spill_count: 0
    .symbol:         _ZN7rocprim17ROCPRIM_400000_NS6detail17trampoline_kernelINS0_14default_configENS1_25partition_config_selectorILNS1_17partition_subalgoE5EyNS0_10empty_typeEbEEZZNS1_14partition_implILS5_5ELb0ES3_mN6thrust23THRUST_200600_302600_NS6detail15normal_iteratorINSA_10device_ptrIyEEEEPS6_NSA_18transform_iteratorINSB_9not_fun_tI7is_trueIyEEESF_NSA_11use_defaultESM_EENS0_5tupleIJSF_S6_EEENSO_IJSG_SG_EEES6_PlJS6_EEE10hipError_tPvRmT3_T4_T5_T6_T7_T9_mT8_P12ihipStream_tbDpT10_ENKUlT_T0_E_clISt17integral_constantIbLb0EES1B_EEDaS16_S17_EUlS16_E_NS1_11comp_targetILNS1_3genE2ELNS1_11target_archE906ELNS1_3gpuE6ELNS1_3repE0EEENS1_30default_config_static_selectorELNS0_4arch9wavefront6targetE0EEEvT1_.kd
    .uniform_work_group_size: 1
    .uses_dynamic_stack: false
    .vgpr_count:     0
    .vgpr_spill_count: 0
    .wavefront_size: 32
    .workgroup_processor_mode: 1
  - .args:
      - .offset:         0
        .size:           120
        .value_kind:     by_value
    .group_segment_fixed_size: 8464
    .kernarg_segment_align: 8
    .kernarg_segment_size: 120
    .language:       OpenCL C
    .language_version:
      - 2
      - 0
    .max_flat_workgroup_size: 256
    .name:           _ZN7rocprim17ROCPRIM_400000_NS6detail17trampoline_kernelINS0_14default_configENS1_25partition_config_selectorILNS1_17partition_subalgoE5EyNS0_10empty_typeEbEEZZNS1_14partition_implILS5_5ELb0ES3_mN6thrust23THRUST_200600_302600_NS6detail15normal_iteratorINSA_10device_ptrIyEEEEPS6_NSA_18transform_iteratorINSB_9not_fun_tI7is_trueIyEEESF_NSA_11use_defaultESM_EENS0_5tupleIJSF_S6_EEENSO_IJSG_SG_EEES6_PlJS6_EEE10hipError_tPvRmT3_T4_T5_T6_T7_T9_mT8_P12ihipStream_tbDpT10_ENKUlT_T0_E_clISt17integral_constantIbLb0EES1B_EEDaS16_S17_EUlS16_E_NS1_11comp_targetILNS1_3genE10ELNS1_11target_archE1200ELNS1_3gpuE4ELNS1_3repE0EEENS1_30default_config_static_selectorELNS0_4arch9wavefront6targetE0EEEvT1_
    .private_segment_fixed_size: 0
    .sgpr_count:     24
    .sgpr_spill_count: 0
    .symbol:         _ZN7rocprim17ROCPRIM_400000_NS6detail17trampoline_kernelINS0_14default_configENS1_25partition_config_selectorILNS1_17partition_subalgoE5EyNS0_10empty_typeEbEEZZNS1_14partition_implILS5_5ELb0ES3_mN6thrust23THRUST_200600_302600_NS6detail15normal_iteratorINSA_10device_ptrIyEEEEPS6_NSA_18transform_iteratorINSB_9not_fun_tI7is_trueIyEEESF_NSA_11use_defaultESM_EENS0_5tupleIJSF_S6_EEENSO_IJSG_SG_EEES6_PlJS6_EEE10hipError_tPvRmT3_T4_T5_T6_T7_T9_mT8_P12ihipStream_tbDpT10_ENKUlT_T0_E_clISt17integral_constantIbLb0EES1B_EEDaS16_S17_EUlS16_E_NS1_11comp_targetILNS1_3genE10ELNS1_11target_archE1200ELNS1_3gpuE4ELNS1_3repE0EEENS1_30default_config_static_selectorELNS0_4arch9wavefront6targetE0EEEvT1_.kd
    .uniform_work_group_size: 1
    .uses_dynamic_stack: false
    .vgpr_count:     46
    .vgpr_spill_count: 0
    .wavefront_size: 32
    .workgroup_processor_mode: 1
  - .args:
      - .offset:         0
        .size:           120
        .value_kind:     by_value
    .group_segment_fixed_size: 0
    .kernarg_segment_align: 8
    .kernarg_segment_size: 120
    .language:       OpenCL C
    .language_version:
      - 2
      - 0
    .max_flat_workgroup_size: 128
    .name:           _ZN7rocprim17ROCPRIM_400000_NS6detail17trampoline_kernelINS0_14default_configENS1_25partition_config_selectorILNS1_17partition_subalgoE5EyNS0_10empty_typeEbEEZZNS1_14partition_implILS5_5ELb0ES3_mN6thrust23THRUST_200600_302600_NS6detail15normal_iteratorINSA_10device_ptrIyEEEEPS6_NSA_18transform_iteratorINSB_9not_fun_tI7is_trueIyEEESF_NSA_11use_defaultESM_EENS0_5tupleIJSF_S6_EEENSO_IJSG_SG_EEES6_PlJS6_EEE10hipError_tPvRmT3_T4_T5_T6_T7_T9_mT8_P12ihipStream_tbDpT10_ENKUlT_T0_E_clISt17integral_constantIbLb0EES1B_EEDaS16_S17_EUlS16_E_NS1_11comp_targetILNS1_3genE9ELNS1_11target_archE1100ELNS1_3gpuE3ELNS1_3repE0EEENS1_30default_config_static_selectorELNS0_4arch9wavefront6targetE0EEEvT1_
    .private_segment_fixed_size: 0
    .sgpr_count:     0
    .sgpr_spill_count: 0
    .symbol:         _ZN7rocprim17ROCPRIM_400000_NS6detail17trampoline_kernelINS0_14default_configENS1_25partition_config_selectorILNS1_17partition_subalgoE5EyNS0_10empty_typeEbEEZZNS1_14partition_implILS5_5ELb0ES3_mN6thrust23THRUST_200600_302600_NS6detail15normal_iteratorINSA_10device_ptrIyEEEEPS6_NSA_18transform_iteratorINSB_9not_fun_tI7is_trueIyEEESF_NSA_11use_defaultESM_EENS0_5tupleIJSF_S6_EEENSO_IJSG_SG_EEES6_PlJS6_EEE10hipError_tPvRmT3_T4_T5_T6_T7_T9_mT8_P12ihipStream_tbDpT10_ENKUlT_T0_E_clISt17integral_constantIbLb0EES1B_EEDaS16_S17_EUlS16_E_NS1_11comp_targetILNS1_3genE9ELNS1_11target_archE1100ELNS1_3gpuE3ELNS1_3repE0EEENS1_30default_config_static_selectorELNS0_4arch9wavefront6targetE0EEEvT1_.kd
    .uniform_work_group_size: 1
    .uses_dynamic_stack: false
    .vgpr_count:     0
    .vgpr_spill_count: 0
    .wavefront_size: 32
    .workgroup_processor_mode: 1
  - .args:
      - .offset:         0
        .size:           120
        .value_kind:     by_value
    .group_segment_fixed_size: 0
    .kernarg_segment_align: 8
    .kernarg_segment_size: 120
    .language:       OpenCL C
    .language_version:
      - 2
      - 0
    .max_flat_workgroup_size: 512
    .name:           _ZN7rocprim17ROCPRIM_400000_NS6detail17trampoline_kernelINS0_14default_configENS1_25partition_config_selectorILNS1_17partition_subalgoE5EyNS0_10empty_typeEbEEZZNS1_14partition_implILS5_5ELb0ES3_mN6thrust23THRUST_200600_302600_NS6detail15normal_iteratorINSA_10device_ptrIyEEEEPS6_NSA_18transform_iteratorINSB_9not_fun_tI7is_trueIyEEESF_NSA_11use_defaultESM_EENS0_5tupleIJSF_S6_EEENSO_IJSG_SG_EEES6_PlJS6_EEE10hipError_tPvRmT3_T4_T5_T6_T7_T9_mT8_P12ihipStream_tbDpT10_ENKUlT_T0_E_clISt17integral_constantIbLb0EES1B_EEDaS16_S17_EUlS16_E_NS1_11comp_targetILNS1_3genE8ELNS1_11target_archE1030ELNS1_3gpuE2ELNS1_3repE0EEENS1_30default_config_static_selectorELNS0_4arch9wavefront6targetE0EEEvT1_
    .private_segment_fixed_size: 0
    .sgpr_count:     0
    .sgpr_spill_count: 0
    .symbol:         _ZN7rocprim17ROCPRIM_400000_NS6detail17trampoline_kernelINS0_14default_configENS1_25partition_config_selectorILNS1_17partition_subalgoE5EyNS0_10empty_typeEbEEZZNS1_14partition_implILS5_5ELb0ES3_mN6thrust23THRUST_200600_302600_NS6detail15normal_iteratorINSA_10device_ptrIyEEEEPS6_NSA_18transform_iteratorINSB_9not_fun_tI7is_trueIyEEESF_NSA_11use_defaultESM_EENS0_5tupleIJSF_S6_EEENSO_IJSG_SG_EEES6_PlJS6_EEE10hipError_tPvRmT3_T4_T5_T6_T7_T9_mT8_P12ihipStream_tbDpT10_ENKUlT_T0_E_clISt17integral_constantIbLb0EES1B_EEDaS16_S17_EUlS16_E_NS1_11comp_targetILNS1_3genE8ELNS1_11target_archE1030ELNS1_3gpuE2ELNS1_3repE0EEENS1_30default_config_static_selectorELNS0_4arch9wavefront6targetE0EEEvT1_.kd
    .uniform_work_group_size: 1
    .uses_dynamic_stack: false
    .vgpr_count:     0
    .vgpr_spill_count: 0
    .wavefront_size: 32
    .workgroup_processor_mode: 1
  - .args:
      - .offset:         0
        .size:           136
        .value_kind:     by_value
    .group_segment_fixed_size: 0
    .kernarg_segment_align: 8
    .kernarg_segment_size: 136
    .language:       OpenCL C
    .language_version:
      - 2
      - 0
    .max_flat_workgroup_size: 128
    .name:           _ZN7rocprim17ROCPRIM_400000_NS6detail17trampoline_kernelINS0_14default_configENS1_25partition_config_selectorILNS1_17partition_subalgoE5EyNS0_10empty_typeEbEEZZNS1_14partition_implILS5_5ELb0ES3_mN6thrust23THRUST_200600_302600_NS6detail15normal_iteratorINSA_10device_ptrIyEEEEPS6_NSA_18transform_iteratorINSB_9not_fun_tI7is_trueIyEEESF_NSA_11use_defaultESM_EENS0_5tupleIJSF_S6_EEENSO_IJSG_SG_EEES6_PlJS6_EEE10hipError_tPvRmT3_T4_T5_T6_T7_T9_mT8_P12ihipStream_tbDpT10_ENKUlT_T0_E_clISt17integral_constantIbLb1EES1B_EEDaS16_S17_EUlS16_E_NS1_11comp_targetILNS1_3genE0ELNS1_11target_archE4294967295ELNS1_3gpuE0ELNS1_3repE0EEENS1_30default_config_static_selectorELNS0_4arch9wavefront6targetE0EEEvT1_
    .private_segment_fixed_size: 0
    .sgpr_count:     0
    .sgpr_spill_count: 0
    .symbol:         _ZN7rocprim17ROCPRIM_400000_NS6detail17trampoline_kernelINS0_14default_configENS1_25partition_config_selectorILNS1_17partition_subalgoE5EyNS0_10empty_typeEbEEZZNS1_14partition_implILS5_5ELb0ES3_mN6thrust23THRUST_200600_302600_NS6detail15normal_iteratorINSA_10device_ptrIyEEEEPS6_NSA_18transform_iteratorINSB_9not_fun_tI7is_trueIyEEESF_NSA_11use_defaultESM_EENS0_5tupleIJSF_S6_EEENSO_IJSG_SG_EEES6_PlJS6_EEE10hipError_tPvRmT3_T4_T5_T6_T7_T9_mT8_P12ihipStream_tbDpT10_ENKUlT_T0_E_clISt17integral_constantIbLb1EES1B_EEDaS16_S17_EUlS16_E_NS1_11comp_targetILNS1_3genE0ELNS1_11target_archE4294967295ELNS1_3gpuE0ELNS1_3repE0EEENS1_30default_config_static_selectorELNS0_4arch9wavefront6targetE0EEEvT1_.kd
    .uniform_work_group_size: 1
    .uses_dynamic_stack: false
    .vgpr_count:     0
    .vgpr_spill_count: 0
    .wavefront_size: 32
    .workgroup_processor_mode: 1
  - .args:
      - .offset:         0
        .size:           136
        .value_kind:     by_value
    .group_segment_fixed_size: 0
    .kernarg_segment_align: 8
    .kernarg_segment_size: 136
    .language:       OpenCL C
    .language_version:
      - 2
      - 0
    .max_flat_workgroup_size: 512
    .name:           _ZN7rocprim17ROCPRIM_400000_NS6detail17trampoline_kernelINS0_14default_configENS1_25partition_config_selectorILNS1_17partition_subalgoE5EyNS0_10empty_typeEbEEZZNS1_14partition_implILS5_5ELb0ES3_mN6thrust23THRUST_200600_302600_NS6detail15normal_iteratorINSA_10device_ptrIyEEEEPS6_NSA_18transform_iteratorINSB_9not_fun_tI7is_trueIyEEESF_NSA_11use_defaultESM_EENS0_5tupleIJSF_S6_EEENSO_IJSG_SG_EEES6_PlJS6_EEE10hipError_tPvRmT3_T4_T5_T6_T7_T9_mT8_P12ihipStream_tbDpT10_ENKUlT_T0_E_clISt17integral_constantIbLb1EES1B_EEDaS16_S17_EUlS16_E_NS1_11comp_targetILNS1_3genE5ELNS1_11target_archE942ELNS1_3gpuE9ELNS1_3repE0EEENS1_30default_config_static_selectorELNS0_4arch9wavefront6targetE0EEEvT1_
    .private_segment_fixed_size: 0
    .sgpr_count:     0
    .sgpr_spill_count: 0
    .symbol:         _ZN7rocprim17ROCPRIM_400000_NS6detail17trampoline_kernelINS0_14default_configENS1_25partition_config_selectorILNS1_17partition_subalgoE5EyNS0_10empty_typeEbEEZZNS1_14partition_implILS5_5ELb0ES3_mN6thrust23THRUST_200600_302600_NS6detail15normal_iteratorINSA_10device_ptrIyEEEEPS6_NSA_18transform_iteratorINSB_9not_fun_tI7is_trueIyEEESF_NSA_11use_defaultESM_EENS0_5tupleIJSF_S6_EEENSO_IJSG_SG_EEES6_PlJS6_EEE10hipError_tPvRmT3_T4_T5_T6_T7_T9_mT8_P12ihipStream_tbDpT10_ENKUlT_T0_E_clISt17integral_constantIbLb1EES1B_EEDaS16_S17_EUlS16_E_NS1_11comp_targetILNS1_3genE5ELNS1_11target_archE942ELNS1_3gpuE9ELNS1_3repE0EEENS1_30default_config_static_selectorELNS0_4arch9wavefront6targetE0EEEvT1_.kd
    .uniform_work_group_size: 1
    .uses_dynamic_stack: false
    .vgpr_count:     0
    .vgpr_spill_count: 0
    .wavefront_size: 32
    .workgroup_processor_mode: 1
  - .args:
      - .offset:         0
        .size:           136
        .value_kind:     by_value
    .group_segment_fixed_size: 0
    .kernarg_segment_align: 8
    .kernarg_segment_size: 136
    .language:       OpenCL C
    .language_version:
      - 2
      - 0
    .max_flat_workgroup_size: 192
    .name:           _ZN7rocprim17ROCPRIM_400000_NS6detail17trampoline_kernelINS0_14default_configENS1_25partition_config_selectorILNS1_17partition_subalgoE5EyNS0_10empty_typeEbEEZZNS1_14partition_implILS5_5ELb0ES3_mN6thrust23THRUST_200600_302600_NS6detail15normal_iteratorINSA_10device_ptrIyEEEEPS6_NSA_18transform_iteratorINSB_9not_fun_tI7is_trueIyEEESF_NSA_11use_defaultESM_EENS0_5tupleIJSF_S6_EEENSO_IJSG_SG_EEES6_PlJS6_EEE10hipError_tPvRmT3_T4_T5_T6_T7_T9_mT8_P12ihipStream_tbDpT10_ENKUlT_T0_E_clISt17integral_constantIbLb1EES1B_EEDaS16_S17_EUlS16_E_NS1_11comp_targetILNS1_3genE4ELNS1_11target_archE910ELNS1_3gpuE8ELNS1_3repE0EEENS1_30default_config_static_selectorELNS0_4arch9wavefront6targetE0EEEvT1_
    .private_segment_fixed_size: 0
    .sgpr_count:     0
    .sgpr_spill_count: 0
    .symbol:         _ZN7rocprim17ROCPRIM_400000_NS6detail17trampoline_kernelINS0_14default_configENS1_25partition_config_selectorILNS1_17partition_subalgoE5EyNS0_10empty_typeEbEEZZNS1_14partition_implILS5_5ELb0ES3_mN6thrust23THRUST_200600_302600_NS6detail15normal_iteratorINSA_10device_ptrIyEEEEPS6_NSA_18transform_iteratorINSB_9not_fun_tI7is_trueIyEEESF_NSA_11use_defaultESM_EENS0_5tupleIJSF_S6_EEENSO_IJSG_SG_EEES6_PlJS6_EEE10hipError_tPvRmT3_T4_T5_T6_T7_T9_mT8_P12ihipStream_tbDpT10_ENKUlT_T0_E_clISt17integral_constantIbLb1EES1B_EEDaS16_S17_EUlS16_E_NS1_11comp_targetILNS1_3genE4ELNS1_11target_archE910ELNS1_3gpuE8ELNS1_3repE0EEENS1_30default_config_static_selectorELNS0_4arch9wavefront6targetE0EEEvT1_.kd
    .uniform_work_group_size: 1
    .uses_dynamic_stack: false
    .vgpr_count:     0
    .vgpr_spill_count: 0
    .wavefront_size: 32
    .workgroup_processor_mode: 1
  - .args:
      - .offset:         0
        .size:           136
        .value_kind:     by_value
    .group_segment_fixed_size: 0
    .kernarg_segment_align: 8
    .kernarg_segment_size: 136
    .language:       OpenCL C
    .language_version:
      - 2
      - 0
    .max_flat_workgroup_size: 128
    .name:           _ZN7rocprim17ROCPRIM_400000_NS6detail17trampoline_kernelINS0_14default_configENS1_25partition_config_selectorILNS1_17partition_subalgoE5EyNS0_10empty_typeEbEEZZNS1_14partition_implILS5_5ELb0ES3_mN6thrust23THRUST_200600_302600_NS6detail15normal_iteratorINSA_10device_ptrIyEEEEPS6_NSA_18transform_iteratorINSB_9not_fun_tI7is_trueIyEEESF_NSA_11use_defaultESM_EENS0_5tupleIJSF_S6_EEENSO_IJSG_SG_EEES6_PlJS6_EEE10hipError_tPvRmT3_T4_T5_T6_T7_T9_mT8_P12ihipStream_tbDpT10_ENKUlT_T0_E_clISt17integral_constantIbLb1EES1B_EEDaS16_S17_EUlS16_E_NS1_11comp_targetILNS1_3genE3ELNS1_11target_archE908ELNS1_3gpuE7ELNS1_3repE0EEENS1_30default_config_static_selectorELNS0_4arch9wavefront6targetE0EEEvT1_
    .private_segment_fixed_size: 0
    .sgpr_count:     0
    .sgpr_spill_count: 0
    .symbol:         _ZN7rocprim17ROCPRIM_400000_NS6detail17trampoline_kernelINS0_14default_configENS1_25partition_config_selectorILNS1_17partition_subalgoE5EyNS0_10empty_typeEbEEZZNS1_14partition_implILS5_5ELb0ES3_mN6thrust23THRUST_200600_302600_NS6detail15normal_iteratorINSA_10device_ptrIyEEEEPS6_NSA_18transform_iteratorINSB_9not_fun_tI7is_trueIyEEESF_NSA_11use_defaultESM_EENS0_5tupleIJSF_S6_EEENSO_IJSG_SG_EEES6_PlJS6_EEE10hipError_tPvRmT3_T4_T5_T6_T7_T9_mT8_P12ihipStream_tbDpT10_ENKUlT_T0_E_clISt17integral_constantIbLb1EES1B_EEDaS16_S17_EUlS16_E_NS1_11comp_targetILNS1_3genE3ELNS1_11target_archE908ELNS1_3gpuE7ELNS1_3repE0EEENS1_30default_config_static_selectorELNS0_4arch9wavefront6targetE0EEEvT1_.kd
    .uniform_work_group_size: 1
    .uses_dynamic_stack: false
    .vgpr_count:     0
    .vgpr_spill_count: 0
    .wavefront_size: 32
    .workgroup_processor_mode: 1
  - .args:
      - .offset:         0
        .size:           136
        .value_kind:     by_value
    .group_segment_fixed_size: 0
    .kernarg_segment_align: 8
    .kernarg_segment_size: 136
    .language:       OpenCL C
    .language_version:
      - 2
      - 0
    .max_flat_workgroup_size: 256
    .name:           _ZN7rocprim17ROCPRIM_400000_NS6detail17trampoline_kernelINS0_14default_configENS1_25partition_config_selectorILNS1_17partition_subalgoE5EyNS0_10empty_typeEbEEZZNS1_14partition_implILS5_5ELb0ES3_mN6thrust23THRUST_200600_302600_NS6detail15normal_iteratorINSA_10device_ptrIyEEEEPS6_NSA_18transform_iteratorINSB_9not_fun_tI7is_trueIyEEESF_NSA_11use_defaultESM_EENS0_5tupleIJSF_S6_EEENSO_IJSG_SG_EEES6_PlJS6_EEE10hipError_tPvRmT3_T4_T5_T6_T7_T9_mT8_P12ihipStream_tbDpT10_ENKUlT_T0_E_clISt17integral_constantIbLb1EES1B_EEDaS16_S17_EUlS16_E_NS1_11comp_targetILNS1_3genE2ELNS1_11target_archE906ELNS1_3gpuE6ELNS1_3repE0EEENS1_30default_config_static_selectorELNS0_4arch9wavefront6targetE0EEEvT1_
    .private_segment_fixed_size: 0
    .sgpr_count:     0
    .sgpr_spill_count: 0
    .symbol:         _ZN7rocprim17ROCPRIM_400000_NS6detail17trampoline_kernelINS0_14default_configENS1_25partition_config_selectorILNS1_17partition_subalgoE5EyNS0_10empty_typeEbEEZZNS1_14partition_implILS5_5ELb0ES3_mN6thrust23THRUST_200600_302600_NS6detail15normal_iteratorINSA_10device_ptrIyEEEEPS6_NSA_18transform_iteratorINSB_9not_fun_tI7is_trueIyEEESF_NSA_11use_defaultESM_EENS0_5tupleIJSF_S6_EEENSO_IJSG_SG_EEES6_PlJS6_EEE10hipError_tPvRmT3_T4_T5_T6_T7_T9_mT8_P12ihipStream_tbDpT10_ENKUlT_T0_E_clISt17integral_constantIbLb1EES1B_EEDaS16_S17_EUlS16_E_NS1_11comp_targetILNS1_3genE2ELNS1_11target_archE906ELNS1_3gpuE6ELNS1_3repE0EEENS1_30default_config_static_selectorELNS0_4arch9wavefront6targetE0EEEvT1_.kd
    .uniform_work_group_size: 1
    .uses_dynamic_stack: false
    .vgpr_count:     0
    .vgpr_spill_count: 0
    .wavefront_size: 32
    .workgroup_processor_mode: 1
  - .args:
      - .offset:         0
        .size:           136
        .value_kind:     by_value
    .group_segment_fixed_size: 0
    .kernarg_segment_align: 8
    .kernarg_segment_size: 136
    .language:       OpenCL C
    .language_version:
      - 2
      - 0
    .max_flat_workgroup_size: 256
    .name:           _ZN7rocprim17ROCPRIM_400000_NS6detail17trampoline_kernelINS0_14default_configENS1_25partition_config_selectorILNS1_17partition_subalgoE5EyNS0_10empty_typeEbEEZZNS1_14partition_implILS5_5ELb0ES3_mN6thrust23THRUST_200600_302600_NS6detail15normal_iteratorINSA_10device_ptrIyEEEEPS6_NSA_18transform_iteratorINSB_9not_fun_tI7is_trueIyEEESF_NSA_11use_defaultESM_EENS0_5tupleIJSF_S6_EEENSO_IJSG_SG_EEES6_PlJS6_EEE10hipError_tPvRmT3_T4_T5_T6_T7_T9_mT8_P12ihipStream_tbDpT10_ENKUlT_T0_E_clISt17integral_constantIbLb1EES1B_EEDaS16_S17_EUlS16_E_NS1_11comp_targetILNS1_3genE10ELNS1_11target_archE1200ELNS1_3gpuE4ELNS1_3repE0EEENS1_30default_config_static_selectorELNS0_4arch9wavefront6targetE0EEEvT1_
    .private_segment_fixed_size: 0
    .sgpr_count:     0
    .sgpr_spill_count: 0
    .symbol:         _ZN7rocprim17ROCPRIM_400000_NS6detail17trampoline_kernelINS0_14default_configENS1_25partition_config_selectorILNS1_17partition_subalgoE5EyNS0_10empty_typeEbEEZZNS1_14partition_implILS5_5ELb0ES3_mN6thrust23THRUST_200600_302600_NS6detail15normal_iteratorINSA_10device_ptrIyEEEEPS6_NSA_18transform_iteratorINSB_9not_fun_tI7is_trueIyEEESF_NSA_11use_defaultESM_EENS0_5tupleIJSF_S6_EEENSO_IJSG_SG_EEES6_PlJS6_EEE10hipError_tPvRmT3_T4_T5_T6_T7_T9_mT8_P12ihipStream_tbDpT10_ENKUlT_T0_E_clISt17integral_constantIbLb1EES1B_EEDaS16_S17_EUlS16_E_NS1_11comp_targetILNS1_3genE10ELNS1_11target_archE1200ELNS1_3gpuE4ELNS1_3repE0EEENS1_30default_config_static_selectorELNS0_4arch9wavefront6targetE0EEEvT1_.kd
    .uniform_work_group_size: 1
    .uses_dynamic_stack: false
    .vgpr_count:     0
    .vgpr_spill_count: 0
    .wavefront_size: 32
    .workgroup_processor_mode: 1
  - .args:
      - .offset:         0
        .size:           136
        .value_kind:     by_value
    .group_segment_fixed_size: 0
    .kernarg_segment_align: 8
    .kernarg_segment_size: 136
    .language:       OpenCL C
    .language_version:
      - 2
      - 0
    .max_flat_workgroup_size: 128
    .name:           _ZN7rocprim17ROCPRIM_400000_NS6detail17trampoline_kernelINS0_14default_configENS1_25partition_config_selectorILNS1_17partition_subalgoE5EyNS0_10empty_typeEbEEZZNS1_14partition_implILS5_5ELb0ES3_mN6thrust23THRUST_200600_302600_NS6detail15normal_iteratorINSA_10device_ptrIyEEEEPS6_NSA_18transform_iteratorINSB_9not_fun_tI7is_trueIyEEESF_NSA_11use_defaultESM_EENS0_5tupleIJSF_S6_EEENSO_IJSG_SG_EEES6_PlJS6_EEE10hipError_tPvRmT3_T4_T5_T6_T7_T9_mT8_P12ihipStream_tbDpT10_ENKUlT_T0_E_clISt17integral_constantIbLb1EES1B_EEDaS16_S17_EUlS16_E_NS1_11comp_targetILNS1_3genE9ELNS1_11target_archE1100ELNS1_3gpuE3ELNS1_3repE0EEENS1_30default_config_static_selectorELNS0_4arch9wavefront6targetE0EEEvT1_
    .private_segment_fixed_size: 0
    .sgpr_count:     0
    .sgpr_spill_count: 0
    .symbol:         _ZN7rocprim17ROCPRIM_400000_NS6detail17trampoline_kernelINS0_14default_configENS1_25partition_config_selectorILNS1_17partition_subalgoE5EyNS0_10empty_typeEbEEZZNS1_14partition_implILS5_5ELb0ES3_mN6thrust23THRUST_200600_302600_NS6detail15normal_iteratorINSA_10device_ptrIyEEEEPS6_NSA_18transform_iteratorINSB_9not_fun_tI7is_trueIyEEESF_NSA_11use_defaultESM_EENS0_5tupleIJSF_S6_EEENSO_IJSG_SG_EEES6_PlJS6_EEE10hipError_tPvRmT3_T4_T5_T6_T7_T9_mT8_P12ihipStream_tbDpT10_ENKUlT_T0_E_clISt17integral_constantIbLb1EES1B_EEDaS16_S17_EUlS16_E_NS1_11comp_targetILNS1_3genE9ELNS1_11target_archE1100ELNS1_3gpuE3ELNS1_3repE0EEENS1_30default_config_static_selectorELNS0_4arch9wavefront6targetE0EEEvT1_.kd
    .uniform_work_group_size: 1
    .uses_dynamic_stack: false
    .vgpr_count:     0
    .vgpr_spill_count: 0
    .wavefront_size: 32
    .workgroup_processor_mode: 1
  - .args:
      - .offset:         0
        .size:           136
        .value_kind:     by_value
    .group_segment_fixed_size: 0
    .kernarg_segment_align: 8
    .kernarg_segment_size: 136
    .language:       OpenCL C
    .language_version:
      - 2
      - 0
    .max_flat_workgroup_size: 512
    .name:           _ZN7rocprim17ROCPRIM_400000_NS6detail17trampoline_kernelINS0_14default_configENS1_25partition_config_selectorILNS1_17partition_subalgoE5EyNS0_10empty_typeEbEEZZNS1_14partition_implILS5_5ELb0ES3_mN6thrust23THRUST_200600_302600_NS6detail15normal_iteratorINSA_10device_ptrIyEEEEPS6_NSA_18transform_iteratorINSB_9not_fun_tI7is_trueIyEEESF_NSA_11use_defaultESM_EENS0_5tupleIJSF_S6_EEENSO_IJSG_SG_EEES6_PlJS6_EEE10hipError_tPvRmT3_T4_T5_T6_T7_T9_mT8_P12ihipStream_tbDpT10_ENKUlT_T0_E_clISt17integral_constantIbLb1EES1B_EEDaS16_S17_EUlS16_E_NS1_11comp_targetILNS1_3genE8ELNS1_11target_archE1030ELNS1_3gpuE2ELNS1_3repE0EEENS1_30default_config_static_selectorELNS0_4arch9wavefront6targetE0EEEvT1_
    .private_segment_fixed_size: 0
    .sgpr_count:     0
    .sgpr_spill_count: 0
    .symbol:         _ZN7rocprim17ROCPRIM_400000_NS6detail17trampoline_kernelINS0_14default_configENS1_25partition_config_selectorILNS1_17partition_subalgoE5EyNS0_10empty_typeEbEEZZNS1_14partition_implILS5_5ELb0ES3_mN6thrust23THRUST_200600_302600_NS6detail15normal_iteratorINSA_10device_ptrIyEEEEPS6_NSA_18transform_iteratorINSB_9not_fun_tI7is_trueIyEEESF_NSA_11use_defaultESM_EENS0_5tupleIJSF_S6_EEENSO_IJSG_SG_EEES6_PlJS6_EEE10hipError_tPvRmT3_T4_T5_T6_T7_T9_mT8_P12ihipStream_tbDpT10_ENKUlT_T0_E_clISt17integral_constantIbLb1EES1B_EEDaS16_S17_EUlS16_E_NS1_11comp_targetILNS1_3genE8ELNS1_11target_archE1030ELNS1_3gpuE2ELNS1_3repE0EEENS1_30default_config_static_selectorELNS0_4arch9wavefront6targetE0EEEvT1_.kd
    .uniform_work_group_size: 1
    .uses_dynamic_stack: false
    .vgpr_count:     0
    .vgpr_spill_count: 0
    .wavefront_size: 32
    .workgroup_processor_mode: 1
  - .args:
      - .offset:         0
        .size:           120
        .value_kind:     by_value
    .group_segment_fixed_size: 0
    .kernarg_segment_align: 8
    .kernarg_segment_size: 120
    .language:       OpenCL C
    .language_version:
      - 2
      - 0
    .max_flat_workgroup_size: 128
    .name:           _ZN7rocprim17ROCPRIM_400000_NS6detail17trampoline_kernelINS0_14default_configENS1_25partition_config_selectorILNS1_17partition_subalgoE5EyNS0_10empty_typeEbEEZZNS1_14partition_implILS5_5ELb0ES3_mN6thrust23THRUST_200600_302600_NS6detail15normal_iteratorINSA_10device_ptrIyEEEEPS6_NSA_18transform_iteratorINSB_9not_fun_tI7is_trueIyEEESF_NSA_11use_defaultESM_EENS0_5tupleIJSF_S6_EEENSO_IJSG_SG_EEES6_PlJS6_EEE10hipError_tPvRmT3_T4_T5_T6_T7_T9_mT8_P12ihipStream_tbDpT10_ENKUlT_T0_E_clISt17integral_constantIbLb1EES1A_IbLb0EEEEDaS16_S17_EUlS16_E_NS1_11comp_targetILNS1_3genE0ELNS1_11target_archE4294967295ELNS1_3gpuE0ELNS1_3repE0EEENS1_30default_config_static_selectorELNS0_4arch9wavefront6targetE0EEEvT1_
    .private_segment_fixed_size: 0
    .sgpr_count:     0
    .sgpr_spill_count: 0
    .symbol:         _ZN7rocprim17ROCPRIM_400000_NS6detail17trampoline_kernelINS0_14default_configENS1_25partition_config_selectorILNS1_17partition_subalgoE5EyNS0_10empty_typeEbEEZZNS1_14partition_implILS5_5ELb0ES3_mN6thrust23THRUST_200600_302600_NS6detail15normal_iteratorINSA_10device_ptrIyEEEEPS6_NSA_18transform_iteratorINSB_9not_fun_tI7is_trueIyEEESF_NSA_11use_defaultESM_EENS0_5tupleIJSF_S6_EEENSO_IJSG_SG_EEES6_PlJS6_EEE10hipError_tPvRmT3_T4_T5_T6_T7_T9_mT8_P12ihipStream_tbDpT10_ENKUlT_T0_E_clISt17integral_constantIbLb1EES1A_IbLb0EEEEDaS16_S17_EUlS16_E_NS1_11comp_targetILNS1_3genE0ELNS1_11target_archE4294967295ELNS1_3gpuE0ELNS1_3repE0EEENS1_30default_config_static_selectorELNS0_4arch9wavefront6targetE0EEEvT1_.kd
    .uniform_work_group_size: 1
    .uses_dynamic_stack: false
    .vgpr_count:     0
    .vgpr_spill_count: 0
    .wavefront_size: 32
    .workgroup_processor_mode: 1
  - .args:
      - .offset:         0
        .size:           120
        .value_kind:     by_value
    .group_segment_fixed_size: 0
    .kernarg_segment_align: 8
    .kernarg_segment_size: 120
    .language:       OpenCL C
    .language_version:
      - 2
      - 0
    .max_flat_workgroup_size: 512
    .name:           _ZN7rocprim17ROCPRIM_400000_NS6detail17trampoline_kernelINS0_14default_configENS1_25partition_config_selectorILNS1_17partition_subalgoE5EyNS0_10empty_typeEbEEZZNS1_14partition_implILS5_5ELb0ES3_mN6thrust23THRUST_200600_302600_NS6detail15normal_iteratorINSA_10device_ptrIyEEEEPS6_NSA_18transform_iteratorINSB_9not_fun_tI7is_trueIyEEESF_NSA_11use_defaultESM_EENS0_5tupleIJSF_S6_EEENSO_IJSG_SG_EEES6_PlJS6_EEE10hipError_tPvRmT3_T4_T5_T6_T7_T9_mT8_P12ihipStream_tbDpT10_ENKUlT_T0_E_clISt17integral_constantIbLb1EES1A_IbLb0EEEEDaS16_S17_EUlS16_E_NS1_11comp_targetILNS1_3genE5ELNS1_11target_archE942ELNS1_3gpuE9ELNS1_3repE0EEENS1_30default_config_static_selectorELNS0_4arch9wavefront6targetE0EEEvT1_
    .private_segment_fixed_size: 0
    .sgpr_count:     0
    .sgpr_spill_count: 0
    .symbol:         _ZN7rocprim17ROCPRIM_400000_NS6detail17trampoline_kernelINS0_14default_configENS1_25partition_config_selectorILNS1_17partition_subalgoE5EyNS0_10empty_typeEbEEZZNS1_14partition_implILS5_5ELb0ES3_mN6thrust23THRUST_200600_302600_NS6detail15normal_iteratorINSA_10device_ptrIyEEEEPS6_NSA_18transform_iteratorINSB_9not_fun_tI7is_trueIyEEESF_NSA_11use_defaultESM_EENS0_5tupleIJSF_S6_EEENSO_IJSG_SG_EEES6_PlJS6_EEE10hipError_tPvRmT3_T4_T5_T6_T7_T9_mT8_P12ihipStream_tbDpT10_ENKUlT_T0_E_clISt17integral_constantIbLb1EES1A_IbLb0EEEEDaS16_S17_EUlS16_E_NS1_11comp_targetILNS1_3genE5ELNS1_11target_archE942ELNS1_3gpuE9ELNS1_3repE0EEENS1_30default_config_static_selectorELNS0_4arch9wavefront6targetE0EEEvT1_.kd
    .uniform_work_group_size: 1
    .uses_dynamic_stack: false
    .vgpr_count:     0
    .vgpr_spill_count: 0
    .wavefront_size: 32
    .workgroup_processor_mode: 1
  - .args:
      - .offset:         0
        .size:           120
        .value_kind:     by_value
    .group_segment_fixed_size: 0
    .kernarg_segment_align: 8
    .kernarg_segment_size: 120
    .language:       OpenCL C
    .language_version:
      - 2
      - 0
    .max_flat_workgroup_size: 192
    .name:           _ZN7rocprim17ROCPRIM_400000_NS6detail17trampoline_kernelINS0_14default_configENS1_25partition_config_selectorILNS1_17partition_subalgoE5EyNS0_10empty_typeEbEEZZNS1_14partition_implILS5_5ELb0ES3_mN6thrust23THRUST_200600_302600_NS6detail15normal_iteratorINSA_10device_ptrIyEEEEPS6_NSA_18transform_iteratorINSB_9not_fun_tI7is_trueIyEEESF_NSA_11use_defaultESM_EENS0_5tupleIJSF_S6_EEENSO_IJSG_SG_EEES6_PlJS6_EEE10hipError_tPvRmT3_T4_T5_T6_T7_T9_mT8_P12ihipStream_tbDpT10_ENKUlT_T0_E_clISt17integral_constantIbLb1EES1A_IbLb0EEEEDaS16_S17_EUlS16_E_NS1_11comp_targetILNS1_3genE4ELNS1_11target_archE910ELNS1_3gpuE8ELNS1_3repE0EEENS1_30default_config_static_selectorELNS0_4arch9wavefront6targetE0EEEvT1_
    .private_segment_fixed_size: 0
    .sgpr_count:     0
    .sgpr_spill_count: 0
    .symbol:         _ZN7rocprim17ROCPRIM_400000_NS6detail17trampoline_kernelINS0_14default_configENS1_25partition_config_selectorILNS1_17partition_subalgoE5EyNS0_10empty_typeEbEEZZNS1_14partition_implILS5_5ELb0ES3_mN6thrust23THRUST_200600_302600_NS6detail15normal_iteratorINSA_10device_ptrIyEEEEPS6_NSA_18transform_iteratorINSB_9not_fun_tI7is_trueIyEEESF_NSA_11use_defaultESM_EENS0_5tupleIJSF_S6_EEENSO_IJSG_SG_EEES6_PlJS6_EEE10hipError_tPvRmT3_T4_T5_T6_T7_T9_mT8_P12ihipStream_tbDpT10_ENKUlT_T0_E_clISt17integral_constantIbLb1EES1A_IbLb0EEEEDaS16_S17_EUlS16_E_NS1_11comp_targetILNS1_3genE4ELNS1_11target_archE910ELNS1_3gpuE8ELNS1_3repE0EEENS1_30default_config_static_selectorELNS0_4arch9wavefront6targetE0EEEvT1_.kd
    .uniform_work_group_size: 1
    .uses_dynamic_stack: false
    .vgpr_count:     0
    .vgpr_spill_count: 0
    .wavefront_size: 32
    .workgroup_processor_mode: 1
  - .args:
      - .offset:         0
        .size:           120
        .value_kind:     by_value
    .group_segment_fixed_size: 0
    .kernarg_segment_align: 8
    .kernarg_segment_size: 120
    .language:       OpenCL C
    .language_version:
      - 2
      - 0
    .max_flat_workgroup_size: 128
    .name:           _ZN7rocprim17ROCPRIM_400000_NS6detail17trampoline_kernelINS0_14default_configENS1_25partition_config_selectorILNS1_17partition_subalgoE5EyNS0_10empty_typeEbEEZZNS1_14partition_implILS5_5ELb0ES3_mN6thrust23THRUST_200600_302600_NS6detail15normal_iteratorINSA_10device_ptrIyEEEEPS6_NSA_18transform_iteratorINSB_9not_fun_tI7is_trueIyEEESF_NSA_11use_defaultESM_EENS0_5tupleIJSF_S6_EEENSO_IJSG_SG_EEES6_PlJS6_EEE10hipError_tPvRmT3_T4_T5_T6_T7_T9_mT8_P12ihipStream_tbDpT10_ENKUlT_T0_E_clISt17integral_constantIbLb1EES1A_IbLb0EEEEDaS16_S17_EUlS16_E_NS1_11comp_targetILNS1_3genE3ELNS1_11target_archE908ELNS1_3gpuE7ELNS1_3repE0EEENS1_30default_config_static_selectorELNS0_4arch9wavefront6targetE0EEEvT1_
    .private_segment_fixed_size: 0
    .sgpr_count:     0
    .sgpr_spill_count: 0
    .symbol:         _ZN7rocprim17ROCPRIM_400000_NS6detail17trampoline_kernelINS0_14default_configENS1_25partition_config_selectorILNS1_17partition_subalgoE5EyNS0_10empty_typeEbEEZZNS1_14partition_implILS5_5ELb0ES3_mN6thrust23THRUST_200600_302600_NS6detail15normal_iteratorINSA_10device_ptrIyEEEEPS6_NSA_18transform_iteratorINSB_9not_fun_tI7is_trueIyEEESF_NSA_11use_defaultESM_EENS0_5tupleIJSF_S6_EEENSO_IJSG_SG_EEES6_PlJS6_EEE10hipError_tPvRmT3_T4_T5_T6_T7_T9_mT8_P12ihipStream_tbDpT10_ENKUlT_T0_E_clISt17integral_constantIbLb1EES1A_IbLb0EEEEDaS16_S17_EUlS16_E_NS1_11comp_targetILNS1_3genE3ELNS1_11target_archE908ELNS1_3gpuE7ELNS1_3repE0EEENS1_30default_config_static_selectorELNS0_4arch9wavefront6targetE0EEEvT1_.kd
    .uniform_work_group_size: 1
    .uses_dynamic_stack: false
    .vgpr_count:     0
    .vgpr_spill_count: 0
    .wavefront_size: 32
    .workgroup_processor_mode: 1
  - .args:
      - .offset:         0
        .size:           120
        .value_kind:     by_value
    .group_segment_fixed_size: 0
    .kernarg_segment_align: 8
    .kernarg_segment_size: 120
    .language:       OpenCL C
    .language_version:
      - 2
      - 0
    .max_flat_workgroup_size: 256
    .name:           _ZN7rocprim17ROCPRIM_400000_NS6detail17trampoline_kernelINS0_14default_configENS1_25partition_config_selectorILNS1_17partition_subalgoE5EyNS0_10empty_typeEbEEZZNS1_14partition_implILS5_5ELb0ES3_mN6thrust23THRUST_200600_302600_NS6detail15normal_iteratorINSA_10device_ptrIyEEEEPS6_NSA_18transform_iteratorINSB_9not_fun_tI7is_trueIyEEESF_NSA_11use_defaultESM_EENS0_5tupleIJSF_S6_EEENSO_IJSG_SG_EEES6_PlJS6_EEE10hipError_tPvRmT3_T4_T5_T6_T7_T9_mT8_P12ihipStream_tbDpT10_ENKUlT_T0_E_clISt17integral_constantIbLb1EES1A_IbLb0EEEEDaS16_S17_EUlS16_E_NS1_11comp_targetILNS1_3genE2ELNS1_11target_archE906ELNS1_3gpuE6ELNS1_3repE0EEENS1_30default_config_static_selectorELNS0_4arch9wavefront6targetE0EEEvT1_
    .private_segment_fixed_size: 0
    .sgpr_count:     0
    .sgpr_spill_count: 0
    .symbol:         _ZN7rocprim17ROCPRIM_400000_NS6detail17trampoline_kernelINS0_14default_configENS1_25partition_config_selectorILNS1_17partition_subalgoE5EyNS0_10empty_typeEbEEZZNS1_14partition_implILS5_5ELb0ES3_mN6thrust23THRUST_200600_302600_NS6detail15normal_iteratorINSA_10device_ptrIyEEEEPS6_NSA_18transform_iteratorINSB_9not_fun_tI7is_trueIyEEESF_NSA_11use_defaultESM_EENS0_5tupleIJSF_S6_EEENSO_IJSG_SG_EEES6_PlJS6_EEE10hipError_tPvRmT3_T4_T5_T6_T7_T9_mT8_P12ihipStream_tbDpT10_ENKUlT_T0_E_clISt17integral_constantIbLb1EES1A_IbLb0EEEEDaS16_S17_EUlS16_E_NS1_11comp_targetILNS1_3genE2ELNS1_11target_archE906ELNS1_3gpuE6ELNS1_3repE0EEENS1_30default_config_static_selectorELNS0_4arch9wavefront6targetE0EEEvT1_.kd
    .uniform_work_group_size: 1
    .uses_dynamic_stack: false
    .vgpr_count:     0
    .vgpr_spill_count: 0
    .wavefront_size: 32
    .workgroup_processor_mode: 1
  - .args:
      - .offset:         0
        .size:           120
        .value_kind:     by_value
    .group_segment_fixed_size: 0
    .kernarg_segment_align: 8
    .kernarg_segment_size: 120
    .language:       OpenCL C
    .language_version:
      - 2
      - 0
    .max_flat_workgroup_size: 256
    .name:           _ZN7rocprim17ROCPRIM_400000_NS6detail17trampoline_kernelINS0_14default_configENS1_25partition_config_selectorILNS1_17partition_subalgoE5EyNS0_10empty_typeEbEEZZNS1_14partition_implILS5_5ELb0ES3_mN6thrust23THRUST_200600_302600_NS6detail15normal_iteratorINSA_10device_ptrIyEEEEPS6_NSA_18transform_iteratorINSB_9not_fun_tI7is_trueIyEEESF_NSA_11use_defaultESM_EENS0_5tupleIJSF_S6_EEENSO_IJSG_SG_EEES6_PlJS6_EEE10hipError_tPvRmT3_T4_T5_T6_T7_T9_mT8_P12ihipStream_tbDpT10_ENKUlT_T0_E_clISt17integral_constantIbLb1EES1A_IbLb0EEEEDaS16_S17_EUlS16_E_NS1_11comp_targetILNS1_3genE10ELNS1_11target_archE1200ELNS1_3gpuE4ELNS1_3repE0EEENS1_30default_config_static_selectorELNS0_4arch9wavefront6targetE0EEEvT1_
    .private_segment_fixed_size: 0
    .sgpr_count:     0
    .sgpr_spill_count: 0
    .symbol:         _ZN7rocprim17ROCPRIM_400000_NS6detail17trampoline_kernelINS0_14default_configENS1_25partition_config_selectorILNS1_17partition_subalgoE5EyNS0_10empty_typeEbEEZZNS1_14partition_implILS5_5ELb0ES3_mN6thrust23THRUST_200600_302600_NS6detail15normal_iteratorINSA_10device_ptrIyEEEEPS6_NSA_18transform_iteratorINSB_9not_fun_tI7is_trueIyEEESF_NSA_11use_defaultESM_EENS0_5tupleIJSF_S6_EEENSO_IJSG_SG_EEES6_PlJS6_EEE10hipError_tPvRmT3_T4_T5_T6_T7_T9_mT8_P12ihipStream_tbDpT10_ENKUlT_T0_E_clISt17integral_constantIbLb1EES1A_IbLb0EEEEDaS16_S17_EUlS16_E_NS1_11comp_targetILNS1_3genE10ELNS1_11target_archE1200ELNS1_3gpuE4ELNS1_3repE0EEENS1_30default_config_static_selectorELNS0_4arch9wavefront6targetE0EEEvT1_.kd
    .uniform_work_group_size: 1
    .uses_dynamic_stack: false
    .vgpr_count:     0
    .vgpr_spill_count: 0
    .wavefront_size: 32
    .workgroup_processor_mode: 1
  - .args:
      - .offset:         0
        .size:           120
        .value_kind:     by_value
    .group_segment_fixed_size: 0
    .kernarg_segment_align: 8
    .kernarg_segment_size: 120
    .language:       OpenCL C
    .language_version:
      - 2
      - 0
    .max_flat_workgroup_size: 128
    .name:           _ZN7rocprim17ROCPRIM_400000_NS6detail17trampoline_kernelINS0_14default_configENS1_25partition_config_selectorILNS1_17partition_subalgoE5EyNS0_10empty_typeEbEEZZNS1_14partition_implILS5_5ELb0ES3_mN6thrust23THRUST_200600_302600_NS6detail15normal_iteratorINSA_10device_ptrIyEEEEPS6_NSA_18transform_iteratorINSB_9not_fun_tI7is_trueIyEEESF_NSA_11use_defaultESM_EENS0_5tupleIJSF_S6_EEENSO_IJSG_SG_EEES6_PlJS6_EEE10hipError_tPvRmT3_T4_T5_T6_T7_T9_mT8_P12ihipStream_tbDpT10_ENKUlT_T0_E_clISt17integral_constantIbLb1EES1A_IbLb0EEEEDaS16_S17_EUlS16_E_NS1_11comp_targetILNS1_3genE9ELNS1_11target_archE1100ELNS1_3gpuE3ELNS1_3repE0EEENS1_30default_config_static_selectorELNS0_4arch9wavefront6targetE0EEEvT1_
    .private_segment_fixed_size: 0
    .sgpr_count:     0
    .sgpr_spill_count: 0
    .symbol:         _ZN7rocprim17ROCPRIM_400000_NS6detail17trampoline_kernelINS0_14default_configENS1_25partition_config_selectorILNS1_17partition_subalgoE5EyNS0_10empty_typeEbEEZZNS1_14partition_implILS5_5ELb0ES3_mN6thrust23THRUST_200600_302600_NS6detail15normal_iteratorINSA_10device_ptrIyEEEEPS6_NSA_18transform_iteratorINSB_9not_fun_tI7is_trueIyEEESF_NSA_11use_defaultESM_EENS0_5tupleIJSF_S6_EEENSO_IJSG_SG_EEES6_PlJS6_EEE10hipError_tPvRmT3_T4_T5_T6_T7_T9_mT8_P12ihipStream_tbDpT10_ENKUlT_T0_E_clISt17integral_constantIbLb1EES1A_IbLb0EEEEDaS16_S17_EUlS16_E_NS1_11comp_targetILNS1_3genE9ELNS1_11target_archE1100ELNS1_3gpuE3ELNS1_3repE0EEENS1_30default_config_static_selectorELNS0_4arch9wavefront6targetE0EEEvT1_.kd
    .uniform_work_group_size: 1
    .uses_dynamic_stack: false
    .vgpr_count:     0
    .vgpr_spill_count: 0
    .wavefront_size: 32
    .workgroup_processor_mode: 1
  - .args:
      - .offset:         0
        .size:           120
        .value_kind:     by_value
    .group_segment_fixed_size: 0
    .kernarg_segment_align: 8
    .kernarg_segment_size: 120
    .language:       OpenCL C
    .language_version:
      - 2
      - 0
    .max_flat_workgroup_size: 512
    .name:           _ZN7rocprim17ROCPRIM_400000_NS6detail17trampoline_kernelINS0_14default_configENS1_25partition_config_selectorILNS1_17partition_subalgoE5EyNS0_10empty_typeEbEEZZNS1_14partition_implILS5_5ELb0ES3_mN6thrust23THRUST_200600_302600_NS6detail15normal_iteratorINSA_10device_ptrIyEEEEPS6_NSA_18transform_iteratorINSB_9not_fun_tI7is_trueIyEEESF_NSA_11use_defaultESM_EENS0_5tupleIJSF_S6_EEENSO_IJSG_SG_EEES6_PlJS6_EEE10hipError_tPvRmT3_T4_T5_T6_T7_T9_mT8_P12ihipStream_tbDpT10_ENKUlT_T0_E_clISt17integral_constantIbLb1EES1A_IbLb0EEEEDaS16_S17_EUlS16_E_NS1_11comp_targetILNS1_3genE8ELNS1_11target_archE1030ELNS1_3gpuE2ELNS1_3repE0EEENS1_30default_config_static_selectorELNS0_4arch9wavefront6targetE0EEEvT1_
    .private_segment_fixed_size: 0
    .sgpr_count:     0
    .sgpr_spill_count: 0
    .symbol:         _ZN7rocprim17ROCPRIM_400000_NS6detail17trampoline_kernelINS0_14default_configENS1_25partition_config_selectorILNS1_17partition_subalgoE5EyNS0_10empty_typeEbEEZZNS1_14partition_implILS5_5ELb0ES3_mN6thrust23THRUST_200600_302600_NS6detail15normal_iteratorINSA_10device_ptrIyEEEEPS6_NSA_18transform_iteratorINSB_9not_fun_tI7is_trueIyEEESF_NSA_11use_defaultESM_EENS0_5tupleIJSF_S6_EEENSO_IJSG_SG_EEES6_PlJS6_EEE10hipError_tPvRmT3_T4_T5_T6_T7_T9_mT8_P12ihipStream_tbDpT10_ENKUlT_T0_E_clISt17integral_constantIbLb1EES1A_IbLb0EEEEDaS16_S17_EUlS16_E_NS1_11comp_targetILNS1_3genE8ELNS1_11target_archE1030ELNS1_3gpuE2ELNS1_3repE0EEENS1_30default_config_static_selectorELNS0_4arch9wavefront6targetE0EEEvT1_.kd
    .uniform_work_group_size: 1
    .uses_dynamic_stack: false
    .vgpr_count:     0
    .vgpr_spill_count: 0
    .wavefront_size: 32
    .workgroup_processor_mode: 1
  - .args:
      - .offset:         0
        .size:           136
        .value_kind:     by_value
    .group_segment_fixed_size: 0
    .kernarg_segment_align: 8
    .kernarg_segment_size: 136
    .language:       OpenCL C
    .language_version:
      - 2
      - 0
    .max_flat_workgroup_size: 128
    .name:           _ZN7rocprim17ROCPRIM_400000_NS6detail17trampoline_kernelINS0_14default_configENS1_25partition_config_selectorILNS1_17partition_subalgoE5EyNS0_10empty_typeEbEEZZNS1_14partition_implILS5_5ELb0ES3_mN6thrust23THRUST_200600_302600_NS6detail15normal_iteratorINSA_10device_ptrIyEEEEPS6_NSA_18transform_iteratorINSB_9not_fun_tI7is_trueIyEEESF_NSA_11use_defaultESM_EENS0_5tupleIJSF_S6_EEENSO_IJSG_SG_EEES6_PlJS6_EEE10hipError_tPvRmT3_T4_T5_T6_T7_T9_mT8_P12ihipStream_tbDpT10_ENKUlT_T0_E_clISt17integral_constantIbLb0EES1A_IbLb1EEEEDaS16_S17_EUlS16_E_NS1_11comp_targetILNS1_3genE0ELNS1_11target_archE4294967295ELNS1_3gpuE0ELNS1_3repE0EEENS1_30default_config_static_selectorELNS0_4arch9wavefront6targetE0EEEvT1_
    .private_segment_fixed_size: 0
    .sgpr_count:     0
    .sgpr_spill_count: 0
    .symbol:         _ZN7rocprim17ROCPRIM_400000_NS6detail17trampoline_kernelINS0_14default_configENS1_25partition_config_selectorILNS1_17partition_subalgoE5EyNS0_10empty_typeEbEEZZNS1_14partition_implILS5_5ELb0ES3_mN6thrust23THRUST_200600_302600_NS6detail15normal_iteratorINSA_10device_ptrIyEEEEPS6_NSA_18transform_iteratorINSB_9not_fun_tI7is_trueIyEEESF_NSA_11use_defaultESM_EENS0_5tupleIJSF_S6_EEENSO_IJSG_SG_EEES6_PlJS6_EEE10hipError_tPvRmT3_T4_T5_T6_T7_T9_mT8_P12ihipStream_tbDpT10_ENKUlT_T0_E_clISt17integral_constantIbLb0EES1A_IbLb1EEEEDaS16_S17_EUlS16_E_NS1_11comp_targetILNS1_3genE0ELNS1_11target_archE4294967295ELNS1_3gpuE0ELNS1_3repE0EEENS1_30default_config_static_selectorELNS0_4arch9wavefront6targetE0EEEvT1_.kd
    .uniform_work_group_size: 1
    .uses_dynamic_stack: false
    .vgpr_count:     0
    .vgpr_spill_count: 0
    .wavefront_size: 32
    .workgroup_processor_mode: 1
  - .args:
      - .offset:         0
        .size:           136
        .value_kind:     by_value
    .group_segment_fixed_size: 0
    .kernarg_segment_align: 8
    .kernarg_segment_size: 136
    .language:       OpenCL C
    .language_version:
      - 2
      - 0
    .max_flat_workgroup_size: 512
    .name:           _ZN7rocprim17ROCPRIM_400000_NS6detail17trampoline_kernelINS0_14default_configENS1_25partition_config_selectorILNS1_17partition_subalgoE5EyNS0_10empty_typeEbEEZZNS1_14partition_implILS5_5ELb0ES3_mN6thrust23THRUST_200600_302600_NS6detail15normal_iteratorINSA_10device_ptrIyEEEEPS6_NSA_18transform_iteratorINSB_9not_fun_tI7is_trueIyEEESF_NSA_11use_defaultESM_EENS0_5tupleIJSF_S6_EEENSO_IJSG_SG_EEES6_PlJS6_EEE10hipError_tPvRmT3_T4_T5_T6_T7_T9_mT8_P12ihipStream_tbDpT10_ENKUlT_T0_E_clISt17integral_constantIbLb0EES1A_IbLb1EEEEDaS16_S17_EUlS16_E_NS1_11comp_targetILNS1_3genE5ELNS1_11target_archE942ELNS1_3gpuE9ELNS1_3repE0EEENS1_30default_config_static_selectorELNS0_4arch9wavefront6targetE0EEEvT1_
    .private_segment_fixed_size: 0
    .sgpr_count:     0
    .sgpr_spill_count: 0
    .symbol:         _ZN7rocprim17ROCPRIM_400000_NS6detail17trampoline_kernelINS0_14default_configENS1_25partition_config_selectorILNS1_17partition_subalgoE5EyNS0_10empty_typeEbEEZZNS1_14partition_implILS5_5ELb0ES3_mN6thrust23THRUST_200600_302600_NS6detail15normal_iteratorINSA_10device_ptrIyEEEEPS6_NSA_18transform_iteratorINSB_9not_fun_tI7is_trueIyEEESF_NSA_11use_defaultESM_EENS0_5tupleIJSF_S6_EEENSO_IJSG_SG_EEES6_PlJS6_EEE10hipError_tPvRmT3_T4_T5_T6_T7_T9_mT8_P12ihipStream_tbDpT10_ENKUlT_T0_E_clISt17integral_constantIbLb0EES1A_IbLb1EEEEDaS16_S17_EUlS16_E_NS1_11comp_targetILNS1_3genE5ELNS1_11target_archE942ELNS1_3gpuE9ELNS1_3repE0EEENS1_30default_config_static_selectorELNS0_4arch9wavefront6targetE0EEEvT1_.kd
    .uniform_work_group_size: 1
    .uses_dynamic_stack: false
    .vgpr_count:     0
    .vgpr_spill_count: 0
    .wavefront_size: 32
    .workgroup_processor_mode: 1
  - .args:
      - .offset:         0
        .size:           136
        .value_kind:     by_value
    .group_segment_fixed_size: 0
    .kernarg_segment_align: 8
    .kernarg_segment_size: 136
    .language:       OpenCL C
    .language_version:
      - 2
      - 0
    .max_flat_workgroup_size: 192
    .name:           _ZN7rocprim17ROCPRIM_400000_NS6detail17trampoline_kernelINS0_14default_configENS1_25partition_config_selectorILNS1_17partition_subalgoE5EyNS0_10empty_typeEbEEZZNS1_14partition_implILS5_5ELb0ES3_mN6thrust23THRUST_200600_302600_NS6detail15normal_iteratorINSA_10device_ptrIyEEEEPS6_NSA_18transform_iteratorINSB_9not_fun_tI7is_trueIyEEESF_NSA_11use_defaultESM_EENS0_5tupleIJSF_S6_EEENSO_IJSG_SG_EEES6_PlJS6_EEE10hipError_tPvRmT3_T4_T5_T6_T7_T9_mT8_P12ihipStream_tbDpT10_ENKUlT_T0_E_clISt17integral_constantIbLb0EES1A_IbLb1EEEEDaS16_S17_EUlS16_E_NS1_11comp_targetILNS1_3genE4ELNS1_11target_archE910ELNS1_3gpuE8ELNS1_3repE0EEENS1_30default_config_static_selectorELNS0_4arch9wavefront6targetE0EEEvT1_
    .private_segment_fixed_size: 0
    .sgpr_count:     0
    .sgpr_spill_count: 0
    .symbol:         _ZN7rocprim17ROCPRIM_400000_NS6detail17trampoline_kernelINS0_14default_configENS1_25partition_config_selectorILNS1_17partition_subalgoE5EyNS0_10empty_typeEbEEZZNS1_14partition_implILS5_5ELb0ES3_mN6thrust23THRUST_200600_302600_NS6detail15normal_iteratorINSA_10device_ptrIyEEEEPS6_NSA_18transform_iteratorINSB_9not_fun_tI7is_trueIyEEESF_NSA_11use_defaultESM_EENS0_5tupleIJSF_S6_EEENSO_IJSG_SG_EEES6_PlJS6_EEE10hipError_tPvRmT3_T4_T5_T6_T7_T9_mT8_P12ihipStream_tbDpT10_ENKUlT_T0_E_clISt17integral_constantIbLb0EES1A_IbLb1EEEEDaS16_S17_EUlS16_E_NS1_11comp_targetILNS1_3genE4ELNS1_11target_archE910ELNS1_3gpuE8ELNS1_3repE0EEENS1_30default_config_static_selectorELNS0_4arch9wavefront6targetE0EEEvT1_.kd
    .uniform_work_group_size: 1
    .uses_dynamic_stack: false
    .vgpr_count:     0
    .vgpr_spill_count: 0
    .wavefront_size: 32
    .workgroup_processor_mode: 1
  - .args:
      - .offset:         0
        .size:           136
        .value_kind:     by_value
    .group_segment_fixed_size: 0
    .kernarg_segment_align: 8
    .kernarg_segment_size: 136
    .language:       OpenCL C
    .language_version:
      - 2
      - 0
    .max_flat_workgroup_size: 128
    .name:           _ZN7rocprim17ROCPRIM_400000_NS6detail17trampoline_kernelINS0_14default_configENS1_25partition_config_selectorILNS1_17partition_subalgoE5EyNS0_10empty_typeEbEEZZNS1_14partition_implILS5_5ELb0ES3_mN6thrust23THRUST_200600_302600_NS6detail15normal_iteratorINSA_10device_ptrIyEEEEPS6_NSA_18transform_iteratorINSB_9not_fun_tI7is_trueIyEEESF_NSA_11use_defaultESM_EENS0_5tupleIJSF_S6_EEENSO_IJSG_SG_EEES6_PlJS6_EEE10hipError_tPvRmT3_T4_T5_T6_T7_T9_mT8_P12ihipStream_tbDpT10_ENKUlT_T0_E_clISt17integral_constantIbLb0EES1A_IbLb1EEEEDaS16_S17_EUlS16_E_NS1_11comp_targetILNS1_3genE3ELNS1_11target_archE908ELNS1_3gpuE7ELNS1_3repE0EEENS1_30default_config_static_selectorELNS0_4arch9wavefront6targetE0EEEvT1_
    .private_segment_fixed_size: 0
    .sgpr_count:     0
    .sgpr_spill_count: 0
    .symbol:         _ZN7rocprim17ROCPRIM_400000_NS6detail17trampoline_kernelINS0_14default_configENS1_25partition_config_selectorILNS1_17partition_subalgoE5EyNS0_10empty_typeEbEEZZNS1_14partition_implILS5_5ELb0ES3_mN6thrust23THRUST_200600_302600_NS6detail15normal_iteratorINSA_10device_ptrIyEEEEPS6_NSA_18transform_iteratorINSB_9not_fun_tI7is_trueIyEEESF_NSA_11use_defaultESM_EENS0_5tupleIJSF_S6_EEENSO_IJSG_SG_EEES6_PlJS6_EEE10hipError_tPvRmT3_T4_T5_T6_T7_T9_mT8_P12ihipStream_tbDpT10_ENKUlT_T0_E_clISt17integral_constantIbLb0EES1A_IbLb1EEEEDaS16_S17_EUlS16_E_NS1_11comp_targetILNS1_3genE3ELNS1_11target_archE908ELNS1_3gpuE7ELNS1_3repE0EEENS1_30default_config_static_selectorELNS0_4arch9wavefront6targetE0EEEvT1_.kd
    .uniform_work_group_size: 1
    .uses_dynamic_stack: false
    .vgpr_count:     0
    .vgpr_spill_count: 0
    .wavefront_size: 32
    .workgroup_processor_mode: 1
  - .args:
      - .offset:         0
        .size:           136
        .value_kind:     by_value
    .group_segment_fixed_size: 0
    .kernarg_segment_align: 8
    .kernarg_segment_size: 136
    .language:       OpenCL C
    .language_version:
      - 2
      - 0
    .max_flat_workgroup_size: 256
    .name:           _ZN7rocprim17ROCPRIM_400000_NS6detail17trampoline_kernelINS0_14default_configENS1_25partition_config_selectorILNS1_17partition_subalgoE5EyNS0_10empty_typeEbEEZZNS1_14partition_implILS5_5ELb0ES3_mN6thrust23THRUST_200600_302600_NS6detail15normal_iteratorINSA_10device_ptrIyEEEEPS6_NSA_18transform_iteratorINSB_9not_fun_tI7is_trueIyEEESF_NSA_11use_defaultESM_EENS0_5tupleIJSF_S6_EEENSO_IJSG_SG_EEES6_PlJS6_EEE10hipError_tPvRmT3_T4_T5_T6_T7_T9_mT8_P12ihipStream_tbDpT10_ENKUlT_T0_E_clISt17integral_constantIbLb0EES1A_IbLb1EEEEDaS16_S17_EUlS16_E_NS1_11comp_targetILNS1_3genE2ELNS1_11target_archE906ELNS1_3gpuE6ELNS1_3repE0EEENS1_30default_config_static_selectorELNS0_4arch9wavefront6targetE0EEEvT1_
    .private_segment_fixed_size: 0
    .sgpr_count:     0
    .sgpr_spill_count: 0
    .symbol:         _ZN7rocprim17ROCPRIM_400000_NS6detail17trampoline_kernelINS0_14default_configENS1_25partition_config_selectorILNS1_17partition_subalgoE5EyNS0_10empty_typeEbEEZZNS1_14partition_implILS5_5ELb0ES3_mN6thrust23THRUST_200600_302600_NS6detail15normal_iteratorINSA_10device_ptrIyEEEEPS6_NSA_18transform_iteratorINSB_9not_fun_tI7is_trueIyEEESF_NSA_11use_defaultESM_EENS0_5tupleIJSF_S6_EEENSO_IJSG_SG_EEES6_PlJS6_EEE10hipError_tPvRmT3_T4_T5_T6_T7_T9_mT8_P12ihipStream_tbDpT10_ENKUlT_T0_E_clISt17integral_constantIbLb0EES1A_IbLb1EEEEDaS16_S17_EUlS16_E_NS1_11comp_targetILNS1_3genE2ELNS1_11target_archE906ELNS1_3gpuE6ELNS1_3repE0EEENS1_30default_config_static_selectorELNS0_4arch9wavefront6targetE0EEEvT1_.kd
    .uniform_work_group_size: 1
    .uses_dynamic_stack: false
    .vgpr_count:     0
    .vgpr_spill_count: 0
    .wavefront_size: 32
    .workgroup_processor_mode: 1
  - .args:
      - .offset:         0
        .size:           136
        .value_kind:     by_value
    .group_segment_fixed_size: 8464
    .kernarg_segment_align: 8
    .kernarg_segment_size: 136
    .language:       OpenCL C
    .language_version:
      - 2
      - 0
    .max_flat_workgroup_size: 256
    .name:           _ZN7rocprim17ROCPRIM_400000_NS6detail17trampoline_kernelINS0_14default_configENS1_25partition_config_selectorILNS1_17partition_subalgoE5EyNS0_10empty_typeEbEEZZNS1_14partition_implILS5_5ELb0ES3_mN6thrust23THRUST_200600_302600_NS6detail15normal_iteratorINSA_10device_ptrIyEEEEPS6_NSA_18transform_iteratorINSB_9not_fun_tI7is_trueIyEEESF_NSA_11use_defaultESM_EENS0_5tupleIJSF_S6_EEENSO_IJSG_SG_EEES6_PlJS6_EEE10hipError_tPvRmT3_T4_T5_T6_T7_T9_mT8_P12ihipStream_tbDpT10_ENKUlT_T0_E_clISt17integral_constantIbLb0EES1A_IbLb1EEEEDaS16_S17_EUlS16_E_NS1_11comp_targetILNS1_3genE10ELNS1_11target_archE1200ELNS1_3gpuE4ELNS1_3repE0EEENS1_30default_config_static_selectorELNS0_4arch9wavefront6targetE0EEEvT1_
    .private_segment_fixed_size: 0
    .sgpr_count:     28
    .sgpr_spill_count: 0
    .symbol:         _ZN7rocprim17ROCPRIM_400000_NS6detail17trampoline_kernelINS0_14default_configENS1_25partition_config_selectorILNS1_17partition_subalgoE5EyNS0_10empty_typeEbEEZZNS1_14partition_implILS5_5ELb0ES3_mN6thrust23THRUST_200600_302600_NS6detail15normal_iteratorINSA_10device_ptrIyEEEEPS6_NSA_18transform_iteratorINSB_9not_fun_tI7is_trueIyEEESF_NSA_11use_defaultESM_EENS0_5tupleIJSF_S6_EEENSO_IJSG_SG_EEES6_PlJS6_EEE10hipError_tPvRmT3_T4_T5_T6_T7_T9_mT8_P12ihipStream_tbDpT10_ENKUlT_T0_E_clISt17integral_constantIbLb0EES1A_IbLb1EEEEDaS16_S17_EUlS16_E_NS1_11comp_targetILNS1_3genE10ELNS1_11target_archE1200ELNS1_3gpuE4ELNS1_3repE0EEENS1_30default_config_static_selectorELNS0_4arch9wavefront6targetE0EEEvT1_.kd
    .uniform_work_group_size: 1
    .uses_dynamic_stack: false
    .vgpr_count:     48
    .vgpr_spill_count: 0
    .wavefront_size: 32
    .workgroup_processor_mode: 1
  - .args:
      - .offset:         0
        .size:           136
        .value_kind:     by_value
    .group_segment_fixed_size: 0
    .kernarg_segment_align: 8
    .kernarg_segment_size: 136
    .language:       OpenCL C
    .language_version:
      - 2
      - 0
    .max_flat_workgroup_size: 128
    .name:           _ZN7rocprim17ROCPRIM_400000_NS6detail17trampoline_kernelINS0_14default_configENS1_25partition_config_selectorILNS1_17partition_subalgoE5EyNS0_10empty_typeEbEEZZNS1_14partition_implILS5_5ELb0ES3_mN6thrust23THRUST_200600_302600_NS6detail15normal_iteratorINSA_10device_ptrIyEEEEPS6_NSA_18transform_iteratorINSB_9not_fun_tI7is_trueIyEEESF_NSA_11use_defaultESM_EENS0_5tupleIJSF_S6_EEENSO_IJSG_SG_EEES6_PlJS6_EEE10hipError_tPvRmT3_T4_T5_T6_T7_T9_mT8_P12ihipStream_tbDpT10_ENKUlT_T0_E_clISt17integral_constantIbLb0EES1A_IbLb1EEEEDaS16_S17_EUlS16_E_NS1_11comp_targetILNS1_3genE9ELNS1_11target_archE1100ELNS1_3gpuE3ELNS1_3repE0EEENS1_30default_config_static_selectorELNS0_4arch9wavefront6targetE0EEEvT1_
    .private_segment_fixed_size: 0
    .sgpr_count:     0
    .sgpr_spill_count: 0
    .symbol:         _ZN7rocprim17ROCPRIM_400000_NS6detail17trampoline_kernelINS0_14default_configENS1_25partition_config_selectorILNS1_17partition_subalgoE5EyNS0_10empty_typeEbEEZZNS1_14partition_implILS5_5ELb0ES3_mN6thrust23THRUST_200600_302600_NS6detail15normal_iteratorINSA_10device_ptrIyEEEEPS6_NSA_18transform_iteratorINSB_9not_fun_tI7is_trueIyEEESF_NSA_11use_defaultESM_EENS0_5tupleIJSF_S6_EEENSO_IJSG_SG_EEES6_PlJS6_EEE10hipError_tPvRmT3_T4_T5_T6_T7_T9_mT8_P12ihipStream_tbDpT10_ENKUlT_T0_E_clISt17integral_constantIbLb0EES1A_IbLb1EEEEDaS16_S17_EUlS16_E_NS1_11comp_targetILNS1_3genE9ELNS1_11target_archE1100ELNS1_3gpuE3ELNS1_3repE0EEENS1_30default_config_static_selectorELNS0_4arch9wavefront6targetE0EEEvT1_.kd
    .uniform_work_group_size: 1
    .uses_dynamic_stack: false
    .vgpr_count:     0
    .vgpr_spill_count: 0
    .wavefront_size: 32
    .workgroup_processor_mode: 1
  - .args:
      - .offset:         0
        .size:           136
        .value_kind:     by_value
    .group_segment_fixed_size: 0
    .kernarg_segment_align: 8
    .kernarg_segment_size: 136
    .language:       OpenCL C
    .language_version:
      - 2
      - 0
    .max_flat_workgroup_size: 512
    .name:           _ZN7rocprim17ROCPRIM_400000_NS6detail17trampoline_kernelINS0_14default_configENS1_25partition_config_selectorILNS1_17partition_subalgoE5EyNS0_10empty_typeEbEEZZNS1_14partition_implILS5_5ELb0ES3_mN6thrust23THRUST_200600_302600_NS6detail15normal_iteratorINSA_10device_ptrIyEEEEPS6_NSA_18transform_iteratorINSB_9not_fun_tI7is_trueIyEEESF_NSA_11use_defaultESM_EENS0_5tupleIJSF_S6_EEENSO_IJSG_SG_EEES6_PlJS6_EEE10hipError_tPvRmT3_T4_T5_T6_T7_T9_mT8_P12ihipStream_tbDpT10_ENKUlT_T0_E_clISt17integral_constantIbLb0EES1A_IbLb1EEEEDaS16_S17_EUlS16_E_NS1_11comp_targetILNS1_3genE8ELNS1_11target_archE1030ELNS1_3gpuE2ELNS1_3repE0EEENS1_30default_config_static_selectorELNS0_4arch9wavefront6targetE0EEEvT1_
    .private_segment_fixed_size: 0
    .sgpr_count:     0
    .sgpr_spill_count: 0
    .symbol:         _ZN7rocprim17ROCPRIM_400000_NS6detail17trampoline_kernelINS0_14default_configENS1_25partition_config_selectorILNS1_17partition_subalgoE5EyNS0_10empty_typeEbEEZZNS1_14partition_implILS5_5ELb0ES3_mN6thrust23THRUST_200600_302600_NS6detail15normal_iteratorINSA_10device_ptrIyEEEEPS6_NSA_18transform_iteratorINSB_9not_fun_tI7is_trueIyEEESF_NSA_11use_defaultESM_EENS0_5tupleIJSF_S6_EEENSO_IJSG_SG_EEES6_PlJS6_EEE10hipError_tPvRmT3_T4_T5_T6_T7_T9_mT8_P12ihipStream_tbDpT10_ENKUlT_T0_E_clISt17integral_constantIbLb0EES1A_IbLb1EEEEDaS16_S17_EUlS16_E_NS1_11comp_targetILNS1_3genE8ELNS1_11target_archE1030ELNS1_3gpuE2ELNS1_3repE0EEENS1_30default_config_static_selectorELNS0_4arch9wavefront6targetE0EEEvT1_.kd
    .uniform_work_group_size: 1
    .uses_dynamic_stack: false
    .vgpr_count:     0
    .vgpr_spill_count: 0
    .wavefront_size: 32
    .workgroup_processor_mode: 1
  - .args:
      - .offset:         0
        .size:           24
        .value_kind:     by_value
      - .offset:         24
        .size:           8
        .value_kind:     by_value
      - .offset:         32
        .size:           8
        .value_kind:     by_value
    .group_segment_fixed_size: 0
    .kernarg_segment_align: 8
    .kernarg_segment_size: 40
    .language:       OpenCL C
    .language_version:
      - 2
      - 0
    .max_flat_workgroup_size: 256
    .name:           _ZN6thrust23THRUST_200600_302600_NS11hip_rocprim14__parallel_for6kernelILj256ENS1_11__transform17unary_transform_fINS0_7pointerIbNS1_3tagENS0_11use_defaultES8_EENS0_10device_ptrIjEENS4_14no_stencil_tagENS0_8identityIbEENS4_21always_true_predicateEEElLj1EEEvT0_T1_SI_
    .private_segment_fixed_size: 0
    .sgpr_count:     14
    .sgpr_spill_count: 0
    .symbol:         _ZN6thrust23THRUST_200600_302600_NS11hip_rocprim14__parallel_for6kernelILj256ENS1_11__transform17unary_transform_fINS0_7pointerIbNS1_3tagENS0_11use_defaultES8_EENS0_10device_ptrIjEENS4_14no_stencil_tagENS0_8identityIbEENS4_21always_true_predicateEEElLj1EEEvT0_T1_SI_.kd
    .uniform_work_group_size: 1
    .uses_dynamic_stack: false
    .vgpr_count:     5
    .vgpr_spill_count: 0
    .wavefront_size: 32
    .workgroup_processor_mode: 1
  - .args:
      - .offset:         0
        .size:           120
        .value_kind:     by_value
    .group_segment_fixed_size: 0
    .kernarg_segment_align: 8
    .kernarg_segment_size: 120
    .language:       OpenCL C
    .language_version:
      - 2
      - 0
    .max_flat_workgroup_size: 512
    .name:           _ZN7rocprim17ROCPRIM_400000_NS6detail17trampoline_kernelINS0_14default_configENS1_25partition_config_selectorILNS1_17partition_subalgoE5EjNS0_10empty_typeEbEEZZNS1_14partition_implILS5_5ELb0ES3_mN6thrust23THRUST_200600_302600_NS6detail15normal_iteratorINSA_10device_ptrIjEEEEPS6_NSA_18transform_iteratorINSB_9not_fun_tI7is_trueIjEEESF_NSA_11use_defaultESM_EENS0_5tupleIJSF_S6_EEENSO_IJSG_SG_EEES6_PlJS6_EEE10hipError_tPvRmT3_T4_T5_T6_T7_T9_mT8_P12ihipStream_tbDpT10_ENKUlT_T0_E_clISt17integral_constantIbLb0EES1B_EEDaS16_S17_EUlS16_E_NS1_11comp_targetILNS1_3genE0ELNS1_11target_archE4294967295ELNS1_3gpuE0ELNS1_3repE0EEENS1_30default_config_static_selectorELNS0_4arch9wavefront6targetE0EEEvT1_
    .private_segment_fixed_size: 0
    .sgpr_count:     0
    .sgpr_spill_count: 0
    .symbol:         _ZN7rocprim17ROCPRIM_400000_NS6detail17trampoline_kernelINS0_14default_configENS1_25partition_config_selectorILNS1_17partition_subalgoE5EjNS0_10empty_typeEbEEZZNS1_14partition_implILS5_5ELb0ES3_mN6thrust23THRUST_200600_302600_NS6detail15normal_iteratorINSA_10device_ptrIjEEEEPS6_NSA_18transform_iteratorINSB_9not_fun_tI7is_trueIjEEESF_NSA_11use_defaultESM_EENS0_5tupleIJSF_S6_EEENSO_IJSG_SG_EEES6_PlJS6_EEE10hipError_tPvRmT3_T4_T5_T6_T7_T9_mT8_P12ihipStream_tbDpT10_ENKUlT_T0_E_clISt17integral_constantIbLb0EES1B_EEDaS16_S17_EUlS16_E_NS1_11comp_targetILNS1_3genE0ELNS1_11target_archE4294967295ELNS1_3gpuE0ELNS1_3repE0EEENS1_30default_config_static_selectorELNS0_4arch9wavefront6targetE0EEEvT1_.kd
    .uniform_work_group_size: 1
    .uses_dynamic_stack: false
    .vgpr_count:     0
    .vgpr_spill_count: 0
    .wavefront_size: 32
    .workgroup_processor_mode: 1
  - .args:
      - .offset:         0
        .size:           120
        .value_kind:     by_value
    .group_segment_fixed_size: 0
    .kernarg_segment_align: 8
    .kernarg_segment_size: 120
    .language:       OpenCL C
    .language_version:
      - 2
      - 0
    .max_flat_workgroup_size: 512
    .name:           _ZN7rocprim17ROCPRIM_400000_NS6detail17trampoline_kernelINS0_14default_configENS1_25partition_config_selectorILNS1_17partition_subalgoE5EjNS0_10empty_typeEbEEZZNS1_14partition_implILS5_5ELb0ES3_mN6thrust23THRUST_200600_302600_NS6detail15normal_iteratorINSA_10device_ptrIjEEEEPS6_NSA_18transform_iteratorINSB_9not_fun_tI7is_trueIjEEESF_NSA_11use_defaultESM_EENS0_5tupleIJSF_S6_EEENSO_IJSG_SG_EEES6_PlJS6_EEE10hipError_tPvRmT3_T4_T5_T6_T7_T9_mT8_P12ihipStream_tbDpT10_ENKUlT_T0_E_clISt17integral_constantIbLb0EES1B_EEDaS16_S17_EUlS16_E_NS1_11comp_targetILNS1_3genE5ELNS1_11target_archE942ELNS1_3gpuE9ELNS1_3repE0EEENS1_30default_config_static_selectorELNS0_4arch9wavefront6targetE0EEEvT1_
    .private_segment_fixed_size: 0
    .sgpr_count:     0
    .sgpr_spill_count: 0
    .symbol:         _ZN7rocprim17ROCPRIM_400000_NS6detail17trampoline_kernelINS0_14default_configENS1_25partition_config_selectorILNS1_17partition_subalgoE5EjNS0_10empty_typeEbEEZZNS1_14partition_implILS5_5ELb0ES3_mN6thrust23THRUST_200600_302600_NS6detail15normal_iteratorINSA_10device_ptrIjEEEEPS6_NSA_18transform_iteratorINSB_9not_fun_tI7is_trueIjEEESF_NSA_11use_defaultESM_EENS0_5tupleIJSF_S6_EEENSO_IJSG_SG_EEES6_PlJS6_EEE10hipError_tPvRmT3_T4_T5_T6_T7_T9_mT8_P12ihipStream_tbDpT10_ENKUlT_T0_E_clISt17integral_constantIbLb0EES1B_EEDaS16_S17_EUlS16_E_NS1_11comp_targetILNS1_3genE5ELNS1_11target_archE942ELNS1_3gpuE9ELNS1_3repE0EEENS1_30default_config_static_selectorELNS0_4arch9wavefront6targetE0EEEvT1_.kd
    .uniform_work_group_size: 1
    .uses_dynamic_stack: false
    .vgpr_count:     0
    .vgpr_spill_count: 0
    .wavefront_size: 32
    .workgroup_processor_mode: 1
  - .args:
      - .offset:         0
        .size:           120
        .value_kind:     by_value
    .group_segment_fixed_size: 0
    .kernarg_segment_align: 8
    .kernarg_segment_size: 120
    .language:       OpenCL C
    .language_version:
      - 2
      - 0
    .max_flat_workgroup_size: 256
    .name:           _ZN7rocprim17ROCPRIM_400000_NS6detail17trampoline_kernelINS0_14default_configENS1_25partition_config_selectorILNS1_17partition_subalgoE5EjNS0_10empty_typeEbEEZZNS1_14partition_implILS5_5ELb0ES3_mN6thrust23THRUST_200600_302600_NS6detail15normal_iteratorINSA_10device_ptrIjEEEEPS6_NSA_18transform_iteratorINSB_9not_fun_tI7is_trueIjEEESF_NSA_11use_defaultESM_EENS0_5tupleIJSF_S6_EEENSO_IJSG_SG_EEES6_PlJS6_EEE10hipError_tPvRmT3_T4_T5_T6_T7_T9_mT8_P12ihipStream_tbDpT10_ENKUlT_T0_E_clISt17integral_constantIbLb0EES1B_EEDaS16_S17_EUlS16_E_NS1_11comp_targetILNS1_3genE4ELNS1_11target_archE910ELNS1_3gpuE8ELNS1_3repE0EEENS1_30default_config_static_selectorELNS0_4arch9wavefront6targetE0EEEvT1_
    .private_segment_fixed_size: 0
    .sgpr_count:     0
    .sgpr_spill_count: 0
    .symbol:         _ZN7rocprim17ROCPRIM_400000_NS6detail17trampoline_kernelINS0_14default_configENS1_25partition_config_selectorILNS1_17partition_subalgoE5EjNS0_10empty_typeEbEEZZNS1_14partition_implILS5_5ELb0ES3_mN6thrust23THRUST_200600_302600_NS6detail15normal_iteratorINSA_10device_ptrIjEEEEPS6_NSA_18transform_iteratorINSB_9not_fun_tI7is_trueIjEEESF_NSA_11use_defaultESM_EENS0_5tupleIJSF_S6_EEENSO_IJSG_SG_EEES6_PlJS6_EEE10hipError_tPvRmT3_T4_T5_T6_T7_T9_mT8_P12ihipStream_tbDpT10_ENKUlT_T0_E_clISt17integral_constantIbLb0EES1B_EEDaS16_S17_EUlS16_E_NS1_11comp_targetILNS1_3genE4ELNS1_11target_archE910ELNS1_3gpuE8ELNS1_3repE0EEENS1_30default_config_static_selectorELNS0_4arch9wavefront6targetE0EEEvT1_.kd
    .uniform_work_group_size: 1
    .uses_dynamic_stack: false
    .vgpr_count:     0
    .vgpr_spill_count: 0
    .wavefront_size: 32
    .workgroup_processor_mode: 1
  - .args:
      - .offset:         0
        .size:           120
        .value_kind:     by_value
    .group_segment_fixed_size: 0
    .kernarg_segment_align: 8
    .kernarg_segment_size: 120
    .language:       OpenCL C
    .language_version:
      - 2
      - 0
    .max_flat_workgroup_size: 512
    .name:           _ZN7rocprim17ROCPRIM_400000_NS6detail17trampoline_kernelINS0_14default_configENS1_25partition_config_selectorILNS1_17partition_subalgoE5EjNS0_10empty_typeEbEEZZNS1_14partition_implILS5_5ELb0ES3_mN6thrust23THRUST_200600_302600_NS6detail15normal_iteratorINSA_10device_ptrIjEEEEPS6_NSA_18transform_iteratorINSB_9not_fun_tI7is_trueIjEEESF_NSA_11use_defaultESM_EENS0_5tupleIJSF_S6_EEENSO_IJSG_SG_EEES6_PlJS6_EEE10hipError_tPvRmT3_T4_T5_T6_T7_T9_mT8_P12ihipStream_tbDpT10_ENKUlT_T0_E_clISt17integral_constantIbLb0EES1B_EEDaS16_S17_EUlS16_E_NS1_11comp_targetILNS1_3genE3ELNS1_11target_archE908ELNS1_3gpuE7ELNS1_3repE0EEENS1_30default_config_static_selectorELNS0_4arch9wavefront6targetE0EEEvT1_
    .private_segment_fixed_size: 0
    .sgpr_count:     0
    .sgpr_spill_count: 0
    .symbol:         _ZN7rocprim17ROCPRIM_400000_NS6detail17trampoline_kernelINS0_14default_configENS1_25partition_config_selectorILNS1_17partition_subalgoE5EjNS0_10empty_typeEbEEZZNS1_14partition_implILS5_5ELb0ES3_mN6thrust23THRUST_200600_302600_NS6detail15normal_iteratorINSA_10device_ptrIjEEEEPS6_NSA_18transform_iteratorINSB_9not_fun_tI7is_trueIjEEESF_NSA_11use_defaultESM_EENS0_5tupleIJSF_S6_EEENSO_IJSG_SG_EEES6_PlJS6_EEE10hipError_tPvRmT3_T4_T5_T6_T7_T9_mT8_P12ihipStream_tbDpT10_ENKUlT_T0_E_clISt17integral_constantIbLb0EES1B_EEDaS16_S17_EUlS16_E_NS1_11comp_targetILNS1_3genE3ELNS1_11target_archE908ELNS1_3gpuE7ELNS1_3repE0EEENS1_30default_config_static_selectorELNS0_4arch9wavefront6targetE0EEEvT1_.kd
    .uniform_work_group_size: 1
    .uses_dynamic_stack: false
    .vgpr_count:     0
    .vgpr_spill_count: 0
    .wavefront_size: 32
    .workgroup_processor_mode: 1
  - .args:
      - .offset:         0
        .size:           120
        .value_kind:     by_value
    .group_segment_fixed_size: 0
    .kernarg_segment_align: 8
    .kernarg_segment_size: 120
    .language:       OpenCL C
    .language_version:
      - 2
      - 0
    .max_flat_workgroup_size: 256
    .name:           _ZN7rocprim17ROCPRIM_400000_NS6detail17trampoline_kernelINS0_14default_configENS1_25partition_config_selectorILNS1_17partition_subalgoE5EjNS0_10empty_typeEbEEZZNS1_14partition_implILS5_5ELb0ES3_mN6thrust23THRUST_200600_302600_NS6detail15normal_iteratorINSA_10device_ptrIjEEEEPS6_NSA_18transform_iteratorINSB_9not_fun_tI7is_trueIjEEESF_NSA_11use_defaultESM_EENS0_5tupleIJSF_S6_EEENSO_IJSG_SG_EEES6_PlJS6_EEE10hipError_tPvRmT3_T4_T5_T6_T7_T9_mT8_P12ihipStream_tbDpT10_ENKUlT_T0_E_clISt17integral_constantIbLb0EES1B_EEDaS16_S17_EUlS16_E_NS1_11comp_targetILNS1_3genE2ELNS1_11target_archE906ELNS1_3gpuE6ELNS1_3repE0EEENS1_30default_config_static_selectorELNS0_4arch9wavefront6targetE0EEEvT1_
    .private_segment_fixed_size: 0
    .sgpr_count:     0
    .sgpr_spill_count: 0
    .symbol:         _ZN7rocprim17ROCPRIM_400000_NS6detail17trampoline_kernelINS0_14default_configENS1_25partition_config_selectorILNS1_17partition_subalgoE5EjNS0_10empty_typeEbEEZZNS1_14partition_implILS5_5ELb0ES3_mN6thrust23THRUST_200600_302600_NS6detail15normal_iteratorINSA_10device_ptrIjEEEEPS6_NSA_18transform_iteratorINSB_9not_fun_tI7is_trueIjEEESF_NSA_11use_defaultESM_EENS0_5tupleIJSF_S6_EEENSO_IJSG_SG_EEES6_PlJS6_EEE10hipError_tPvRmT3_T4_T5_T6_T7_T9_mT8_P12ihipStream_tbDpT10_ENKUlT_T0_E_clISt17integral_constantIbLb0EES1B_EEDaS16_S17_EUlS16_E_NS1_11comp_targetILNS1_3genE2ELNS1_11target_archE906ELNS1_3gpuE6ELNS1_3repE0EEENS1_30default_config_static_selectorELNS0_4arch9wavefront6targetE0EEEvT1_.kd
    .uniform_work_group_size: 1
    .uses_dynamic_stack: false
    .vgpr_count:     0
    .vgpr_spill_count: 0
    .wavefront_size: 32
    .workgroup_processor_mode: 1
  - .args:
      - .offset:         0
        .size:           120
        .value_kind:     by_value
    .group_segment_fixed_size: 6352
    .kernarg_segment_align: 8
    .kernarg_segment_size: 120
    .language:       OpenCL C
    .language_version:
      - 2
      - 0
    .max_flat_workgroup_size: 192
    .name:           _ZN7rocprim17ROCPRIM_400000_NS6detail17trampoline_kernelINS0_14default_configENS1_25partition_config_selectorILNS1_17partition_subalgoE5EjNS0_10empty_typeEbEEZZNS1_14partition_implILS5_5ELb0ES3_mN6thrust23THRUST_200600_302600_NS6detail15normal_iteratorINSA_10device_ptrIjEEEEPS6_NSA_18transform_iteratorINSB_9not_fun_tI7is_trueIjEEESF_NSA_11use_defaultESM_EENS0_5tupleIJSF_S6_EEENSO_IJSG_SG_EEES6_PlJS6_EEE10hipError_tPvRmT3_T4_T5_T6_T7_T9_mT8_P12ihipStream_tbDpT10_ENKUlT_T0_E_clISt17integral_constantIbLb0EES1B_EEDaS16_S17_EUlS16_E_NS1_11comp_targetILNS1_3genE10ELNS1_11target_archE1200ELNS1_3gpuE4ELNS1_3repE0EEENS1_30default_config_static_selectorELNS0_4arch9wavefront6targetE0EEEvT1_
    .private_segment_fixed_size: 0
    .sgpr_count:     24
    .sgpr_spill_count: 0
    .symbol:         _ZN7rocprim17ROCPRIM_400000_NS6detail17trampoline_kernelINS0_14default_configENS1_25partition_config_selectorILNS1_17partition_subalgoE5EjNS0_10empty_typeEbEEZZNS1_14partition_implILS5_5ELb0ES3_mN6thrust23THRUST_200600_302600_NS6detail15normal_iteratorINSA_10device_ptrIjEEEEPS6_NSA_18transform_iteratorINSB_9not_fun_tI7is_trueIjEEESF_NSA_11use_defaultESM_EENS0_5tupleIJSF_S6_EEENSO_IJSG_SG_EEES6_PlJS6_EEE10hipError_tPvRmT3_T4_T5_T6_T7_T9_mT8_P12ihipStream_tbDpT10_ENKUlT_T0_E_clISt17integral_constantIbLb0EES1B_EEDaS16_S17_EUlS16_E_NS1_11comp_targetILNS1_3genE10ELNS1_11target_archE1200ELNS1_3gpuE4ELNS1_3repE0EEENS1_30default_config_static_selectorELNS0_4arch9wavefront6targetE0EEEvT1_.kd
    .uniform_work_group_size: 1
    .uses_dynamic_stack: false
    .vgpr_count:     52
    .vgpr_spill_count: 0
    .wavefront_size: 32
    .workgroup_processor_mode: 1
  - .args:
      - .offset:         0
        .size:           120
        .value_kind:     by_value
    .group_segment_fixed_size: 0
    .kernarg_segment_align: 8
    .kernarg_segment_size: 120
    .language:       OpenCL C
    .language_version:
      - 2
      - 0
    .max_flat_workgroup_size: 128
    .name:           _ZN7rocprim17ROCPRIM_400000_NS6detail17trampoline_kernelINS0_14default_configENS1_25partition_config_selectorILNS1_17partition_subalgoE5EjNS0_10empty_typeEbEEZZNS1_14partition_implILS5_5ELb0ES3_mN6thrust23THRUST_200600_302600_NS6detail15normal_iteratorINSA_10device_ptrIjEEEEPS6_NSA_18transform_iteratorINSB_9not_fun_tI7is_trueIjEEESF_NSA_11use_defaultESM_EENS0_5tupleIJSF_S6_EEENSO_IJSG_SG_EEES6_PlJS6_EEE10hipError_tPvRmT3_T4_T5_T6_T7_T9_mT8_P12ihipStream_tbDpT10_ENKUlT_T0_E_clISt17integral_constantIbLb0EES1B_EEDaS16_S17_EUlS16_E_NS1_11comp_targetILNS1_3genE9ELNS1_11target_archE1100ELNS1_3gpuE3ELNS1_3repE0EEENS1_30default_config_static_selectorELNS0_4arch9wavefront6targetE0EEEvT1_
    .private_segment_fixed_size: 0
    .sgpr_count:     0
    .sgpr_spill_count: 0
    .symbol:         _ZN7rocprim17ROCPRIM_400000_NS6detail17trampoline_kernelINS0_14default_configENS1_25partition_config_selectorILNS1_17partition_subalgoE5EjNS0_10empty_typeEbEEZZNS1_14partition_implILS5_5ELb0ES3_mN6thrust23THRUST_200600_302600_NS6detail15normal_iteratorINSA_10device_ptrIjEEEEPS6_NSA_18transform_iteratorINSB_9not_fun_tI7is_trueIjEEESF_NSA_11use_defaultESM_EENS0_5tupleIJSF_S6_EEENSO_IJSG_SG_EEES6_PlJS6_EEE10hipError_tPvRmT3_T4_T5_T6_T7_T9_mT8_P12ihipStream_tbDpT10_ENKUlT_T0_E_clISt17integral_constantIbLb0EES1B_EEDaS16_S17_EUlS16_E_NS1_11comp_targetILNS1_3genE9ELNS1_11target_archE1100ELNS1_3gpuE3ELNS1_3repE0EEENS1_30default_config_static_selectorELNS0_4arch9wavefront6targetE0EEEvT1_.kd
    .uniform_work_group_size: 1
    .uses_dynamic_stack: false
    .vgpr_count:     0
    .vgpr_spill_count: 0
    .wavefront_size: 32
    .workgroup_processor_mode: 1
  - .args:
      - .offset:         0
        .size:           120
        .value_kind:     by_value
    .group_segment_fixed_size: 0
    .kernarg_segment_align: 8
    .kernarg_segment_size: 120
    .language:       OpenCL C
    .language_version:
      - 2
      - 0
    .max_flat_workgroup_size: 512
    .name:           _ZN7rocprim17ROCPRIM_400000_NS6detail17trampoline_kernelINS0_14default_configENS1_25partition_config_selectorILNS1_17partition_subalgoE5EjNS0_10empty_typeEbEEZZNS1_14partition_implILS5_5ELb0ES3_mN6thrust23THRUST_200600_302600_NS6detail15normal_iteratorINSA_10device_ptrIjEEEEPS6_NSA_18transform_iteratorINSB_9not_fun_tI7is_trueIjEEESF_NSA_11use_defaultESM_EENS0_5tupleIJSF_S6_EEENSO_IJSG_SG_EEES6_PlJS6_EEE10hipError_tPvRmT3_T4_T5_T6_T7_T9_mT8_P12ihipStream_tbDpT10_ENKUlT_T0_E_clISt17integral_constantIbLb0EES1B_EEDaS16_S17_EUlS16_E_NS1_11comp_targetILNS1_3genE8ELNS1_11target_archE1030ELNS1_3gpuE2ELNS1_3repE0EEENS1_30default_config_static_selectorELNS0_4arch9wavefront6targetE0EEEvT1_
    .private_segment_fixed_size: 0
    .sgpr_count:     0
    .sgpr_spill_count: 0
    .symbol:         _ZN7rocprim17ROCPRIM_400000_NS6detail17trampoline_kernelINS0_14default_configENS1_25partition_config_selectorILNS1_17partition_subalgoE5EjNS0_10empty_typeEbEEZZNS1_14partition_implILS5_5ELb0ES3_mN6thrust23THRUST_200600_302600_NS6detail15normal_iteratorINSA_10device_ptrIjEEEEPS6_NSA_18transform_iteratorINSB_9not_fun_tI7is_trueIjEEESF_NSA_11use_defaultESM_EENS0_5tupleIJSF_S6_EEENSO_IJSG_SG_EEES6_PlJS6_EEE10hipError_tPvRmT3_T4_T5_T6_T7_T9_mT8_P12ihipStream_tbDpT10_ENKUlT_T0_E_clISt17integral_constantIbLb0EES1B_EEDaS16_S17_EUlS16_E_NS1_11comp_targetILNS1_3genE8ELNS1_11target_archE1030ELNS1_3gpuE2ELNS1_3repE0EEENS1_30default_config_static_selectorELNS0_4arch9wavefront6targetE0EEEvT1_.kd
    .uniform_work_group_size: 1
    .uses_dynamic_stack: false
    .vgpr_count:     0
    .vgpr_spill_count: 0
    .wavefront_size: 32
    .workgroup_processor_mode: 1
  - .args:
      - .offset:         0
        .size:           136
        .value_kind:     by_value
    .group_segment_fixed_size: 0
    .kernarg_segment_align: 8
    .kernarg_segment_size: 136
    .language:       OpenCL C
    .language_version:
      - 2
      - 0
    .max_flat_workgroup_size: 512
    .name:           _ZN7rocprim17ROCPRIM_400000_NS6detail17trampoline_kernelINS0_14default_configENS1_25partition_config_selectorILNS1_17partition_subalgoE5EjNS0_10empty_typeEbEEZZNS1_14partition_implILS5_5ELb0ES3_mN6thrust23THRUST_200600_302600_NS6detail15normal_iteratorINSA_10device_ptrIjEEEEPS6_NSA_18transform_iteratorINSB_9not_fun_tI7is_trueIjEEESF_NSA_11use_defaultESM_EENS0_5tupleIJSF_S6_EEENSO_IJSG_SG_EEES6_PlJS6_EEE10hipError_tPvRmT3_T4_T5_T6_T7_T9_mT8_P12ihipStream_tbDpT10_ENKUlT_T0_E_clISt17integral_constantIbLb1EES1B_EEDaS16_S17_EUlS16_E_NS1_11comp_targetILNS1_3genE0ELNS1_11target_archE4294967295ELNS1_3gpuE0ELNS1_3repE0EEENS1_30default_config_static_selectorELNS0_4arch9wavefront6targetE0EEEvT1_
    .private_segment_fixed_size: 0
    .sgpr_count:     0
    .sgpr_spill_count: 0
    .symbol:         _ZN7rocprim17ROCPRIM_400000_NS6detail17trampoline_kernelINS0_14default_configENS1_25partition_config_selectorILNS1_17partition_subalgoE5EjNS0_10empty_typeEbEEZZNS1_14partition_implILS5_5ELb0ES3_mN6thrust23THRUST_200600_302600_NS6detail15normal_iteratorINSA_10device_ptrIjEEEEPS6_NSA_18transform_iteratorINSB_9not_fun_tI7is_trueIjEEESF_NSA_11use_defaultESM_EENS0_5tupleIJSF_S6_EEENSO_IJSG_SG_EEES6_PlJS6_EEE10hipError_tPvRmT3_T4_T5_T6_T7_T9_mT8_P12ihipStream_tbDpT10_ENKUlT_T0_E_clISt17integral_constantIbLb1EES1B_EEDaS16_S17_EUlS16_E_NS1_11comp_targetILNS1_3genE0ELNS1_11target_archE4294967295ELNS1_3gpuE0ELNS1_3repE0EEENS1_30default_config_static_selectorELNS0_4arch9wavefront6targetE0EEEvT1_.kd
    .uniform_work_group_size: 1
    .uses_dynamic_stack: false
    .vgpr_count:     0
    .vgpr_spill_count: 0
    .wavefront_size: 32
    .workgroup_processor_mode: 1
  - .args:
      - .offset:         0
        .size:           136
        .value_kind:     by_value
    .group_segment_fixed_size: 0
    .kernarg_segment_align: 8
    .kernarg_segment_size: 136
    .language:       OpenCL C
    .language_version:
      - 2
      - 0
    .max_flat_workgroup_size: 512
    .name:           _ZN7rocprim17ROCPRIM_400000_NS6detail17trampoline_kernelINS0_14default_configENS1_25partition_config_selectorILNS1_17partition_subalgoE5EjNS0_10empty_typeEbEEZZNS1_14partition_implILS5_5ELb0ES3_mN6thrust23THRUST_200600_302600_NS6detail15normal_iteratorINSA_10device_ptrIjEEEEPS6_NSA_18transform_iteratorINSB_9not_fun_tI7is_trueIjEEESF_NSA_11use_defaultESM_EENS0_5tupleIJSF_S6_EEENSO_IJSG_SG_EEES6_PlJS6_EEE10hipError_tPvRmT3_T4_T5_T6_T7_T9_mT8_P12ihipStream_tbDpT10_ENKUlT_T0_E_clISt17integral_constantIbLb1EES1B_EEDaS16_S17_EUlS16_E_NS1_11comp_targetILNS1_3genE5ELNS1_11target_archE942ELNS1_3gpuE9ELNS1_3repE0EEENS1_30default_config_static_selectorELNS0_4arch9wavefront6targetE0EEEvT1_
    .private_segment_fixed_size: 0
    .sgpr_count:     0
    .sgpr_spill_count: 0
    .symbol:         _ZN7rocprim17ROCPRIM_400000_NS6detail17trampoline_kernelINS0_14default_configENS1_25partition_config_selectorILNS1_17partition_subalgoE5EjNS0_10empty_typeEbEEZZNS1_14partition_implILS5_5ELb0ES3_mN6thrust23THRUST_200600_302600_NS6detail15normal_iteratorINSA_10device_ptrIjEEEEPS6_NSA_18transform_iteratorINSB_9not_fun_tI7is_trueIjEEESF_NSA_11use_defaultESM_EENS0_5tupleIJSF_S6_EEENSO_IJSG_SG_EEES6_PlJS6_EEE10hipError_tPvRmT3_T4_T5_T6_T7_T9_mT8_P12ihipStream_tbDpT10_ENKUlT_T0_E_clISt17integral_constantIbLb1EES1B_EEDaS16_S17_EUlS16_E_NS1_11comp_targetILNS1_3genE5ELNS1_11target_archE942ELNS1_3gpuE9ELNS1_3repE0EEENS1_30default_config_static_selectorELNS0_4arch9wavefront6targetE0EEEvT1_.kd
    .uniform_work_group_size: 1
    .uses_dynamic_stack: false
    .vgpr_count:     0
    .vgpr_spill_count: 0
    .wavefront_size: 32
    .workgroup_processor_mode: 1
  - .args:
      - .offset:         0
        .size:           136
        .value_kind:     by_value
    .group_segment_fixed_size: 0
    .kernarg_segment_align: 8
    .kernarg_segment_size: 136
    .language:       OpenCL C
    .language_version:
      - 2
      - 0
    .max_flat_workgroup_size: 256
    .name:           _ZN7rocprim17ROCPRIM_400000_NS6detail17trampoline_kernelINS0_14default_configENS1_25partition_config_selectorILNS1_17partition_subalgoE5EjNS0_10empty_typeEbEEZZNS1_14partition_implILS5_5ELb0ES3_mN6thrust23THRUST_200600_302600_NS6detail15normal_iteratorINSA_10device_ptrIjEEEEPS6_NSA_18transform_iteratorINSB_9not_fun_tI7is_trueIjEEESF_NSA_11use_defaultESM_EENS0_5tupleIJSF_S6_EEENSO_IJSG_SG_EEES6_PlJS6_EEE10hipError_tPvRmT3_T4_T5_T6_T7_T9_mT8_P12ihipStream_tbDpT10_ENKUlT_T0_E_clISt17integral_constantIbLb1EES1B_EEDaS16_S17_EUlS16_E_NS1_11comp_targetILNS1_3genE4ELNS1_11target_archE910ELNS1_3gpuE8ELNS1_3repE0EEENS1_30default_config_static_selectorELNS0_4arch9wavefront6targetE0EEEvT1_
    .private_segment_fixed_size: 0
    .sgpr_count:     0
    .sgpr_spill_count: 0
    .symbol:         _ZN7rocprim17ROCPRIM_400000_NS6detail17trampoline_kernelINS0_14default_configENS1_25partition_config_selectorILNS1_17partition_subalgoE5EjNS0_10empty_typeEbEEZZNS1_14partition_implILS5_5ELb0ES3_mN6thrust23THRUST_200600_302600_NS6detail15normal_iteratorINSA_10device_ptrIjEEEEPS6_NSA_18transform_iteratorINSB_9not_fun_tI7is_trueIjEEESF_NSA_11use_defaultESM_EENS0_5tupleIJSF_S6_EEENSO_IJSG_SG_EEES6_PlJS6_EEE10hipError_tPvRmT3_T4_T5_T6_T7_T9_mT8_P12ihipStream_tbDpT10_ENKUlT_T0_E_clISt17integral_constantIbLb1EES1B_EEDaS16_S17_EUlS16_E_NS1_11comp_targetILNS1_3genE4ELNS1_11target_archE910ELNS1_3gpuE8ELNS1_3repE0EEENS1_30default_config_static_selectorELNS0_4arch9wavefront6targetE0EEEvT1_.kd
    .uniform_work_group_size: 1
    .uses_dynamic_stack: false
    .vgpr_count:     0
    .vgpr_spill_count: 0
    .wavefront_size: 32
    .workgroup_processor_mode: 1
  - .args:
      - .offset:         0
        .size:           136
        .value_kind:     by_value
    .group_segment_fixed_size: 0
    .kernarg_segment_align: 8
    .kernarg_segment_size: 136
    .language:       OpenCL C
    .language_version:
      - 2
      - 0
    .max_flat_workgroup_size: 512
    .name:           _ZN7rocprim17ROCPRIM_400000_NS6detail17trampoline_kernelINS0_14default_configENS1_25partition_config_selectorILNS1_17partition_subalgoE5EjNS0_10empty_typeEbEEZZNS1_14partition_implILS5_5ELb0ES3_mN6thrust23THRUST_200600_302600_NS6detail15normal_iteratorINSA_10device_ptrIjEEEEPS6_NSA_18transform_iteratorINSB_9not_fun_tI7is_trueIjEEESF_NSA_11use_defaultESM_EENS0_5tupleIJSF_S6_EEENSO_IJSG_SG_EEES6_PlJS6_EEE10hipError_tPvRmT3_T4_T5_T6_T7_T9_mT8_P12ihipStream_tbDpT10_ENKUlT_T0_E_clISt17integral_constantIbLb1EES1B_EEDaS16_S17_EUlS16_E_NS1_11comp_targetILNS1_3genE3ELNS1_11target_archE908ELNS1_3gpuE7ELNS1_3repE0EEENS1_30default_config_static_selectorELNS0_4arch9wavefront6targetE0EEEvT1_
    .private_segment_fixed_size: 0
    .sgpr_count:     0
    .sgpr_spill_count: 0
    .symbol:         _ZN7rocprim17ROCPRIM_400000_NS6detail17trampoline_kernelINS0_14default_configENS1_25partition_config_selectorILNS1_17partition_subalgoE5EjNS0_10empty_typeEbEEZZNS1_14partition_implILS5_5ELb0ES3_mN6thrust23THRUST_200600_302600_NS6detail15normal_iteratorINSA_10device_ptrIjEEEEPS6_NSA_18transform_iteratorINSB_9not_fun_tI7is_trueIjEEESF_NSA_11use_defaultESM_EENS0_5tupleIJSF_S6_EEENSO_IJSG_SG_EEES6_PlJS6_EEE10hipError_tPvRmT3_T4_T5_T6_T7_T9_mT8_P12ihipStream_tbDpT10_ENKUlT_T0_E_clISt17integral_constantIbLb1EES1B_EEDaS16_S17_EUlS16_E_NS1_11comp_targetILNS1_3genE3ELNS1_11target_archE908ELNS1_3gpuE7ELNS1_3repE0EEENS1_30default_config_static_selectorELNS0_4arch9wavefront6targetE0EEEvT1_.kd
    .uniform_work_group_size: 1
    .uses_dynamic_stack: false
    .vgpr_count:     0
    .vgpr_spill_count: 0
    .wavefront_size: 32
    .workgroup_processor_mode: 1
  - .args:
      - .offset:         0
        .size:           136
        .value_kind:     by_value
    .group_segment_fixed_size: 0
    .kernarg_segment_align: 8
    .kernarg_segment_size: 136
    .language:       OpenCL C
    .language_version:
      - 2
      - 0
    .max_flat_workgroup_size: 256
    .name:           _ZN7rocprim17ROCPRIM_400000_NS6detail17trampoline_kernelINS0_14default_configENS1_25partition_config_selectorILNS1_17partition_subalgoE5EjNS0_10empty_typeEbEEZZNS1_14partition_implILS5_5ELb0ES3_mN6thrust23THRUST_200600_302600_NS6detail15normal_iteratorINSA_10device_ptrIjEEEEPS6_NSA_18transform_iteratorINSB_9not_fun_tI7is_trueIjEEESF_NSA_11use_defaultESM_EENS0_5tupleIJSF_S6_EEENSO_IJSG_SG_EEES6_PlJS6_EEE10hipError_tPvRmT3_T4_T5_T6_T7_T9_mT8_P12ihipStream_tbDpT10_ENKUlT_T0_E_clISt17integral_constantIbLb1EES1B_EEDaS16_S17_EUlS16_E_NS1_11comp_targetILNS1_3genE2ELNS1_11target_archE906ELNS1_3gpuE6ELNS1_3repE0EEENS1_30default_config_static_selectorELNS0_4arch9wavefront6targetE0EEEvT1_
    .private_segment_fixed_size: 0
    .sgpr_count:     0
    .sgpr_spill_count: 0
    .symbol:         _ZN7rocprim17ROCPRIM_400000_NS6detail17trampoline_kernelINS0_14default_configENS1_25partition_config_selectorILNS1_17partition_subalgoE5EjNS0_10empty_typeEbEEZZNS1_14partition_implILS5_5ELb0ES3_mN6thrust23THRUST_200600_302600_NS6detail15normal_iteratorINSA_10device_ptrIjEEEEPS6_NSA_18transform_iteratorINSB_9not_fun_tI7is_trueIjEEESF_NSA_11use_defaultESM_EENS0_5tupleIJSF_S6_EEENSO_IJSG_SG_EEES6_PlJS6_EEE10hipError_tPvRmT3_T4_T5_T6_T7_T9_mT8_P12ihipStream_tbDpT10_ENKUlT_T0_E_clISt17integral_constantIbLb1EES1B_EEDaS16_S17_EUlS16_E_NS1_11comp_targetILNS1_3genE2ELNS1_11target_archE906ELNS1_3gpuE6ELNS1_3repE0EEENS1_30default_config_static_selectorELNS0_4arch9wavefront6targetE0EEEvT1_.kd
    .uniform_work_group_size: 1
    .uses_dynamic_stack: false
    .vgpr_count:     0
    .vgpr_spill_count: 0
    .wavefront_size: 32
    .workgroup_processor_mode: 1
  - .args:
      - .offset:         0
        .size:           136
        .value_kind:     by_value
    .group_segment_fixed_size: 0
    .kernarg_segment_align: 8
    .kernarg_segment_size: 136
    .language:       OpenCL C
    .language_version:
      - 2
      - 0
    .max_flat_workgroup_size: 192
    .name:           _ZN7rocprim17ROCPRIM_400000_NS6detail17trampoline_kernelINS0_14default_configENS1_25partition_config_selectorILNS1_17partition_subalgoE5EjNS0_10empty_typeEbEEZZNS1_14partition_implILS5_5ELb0ES3_mN6thrust23THRUST_200600_302600_NS6detail15normal_iteratorINSA_10device_ptrIjEEEEPS6_NSA_18transform_iteratorINSB_9not_fun_tI7is_trueIjEEESF_NSA_11use_defaultESM_EENS0_5tupleIJSF_S6_EEENSO_IJSG_SG_EEES6_PlJS6_EEE10hipError_tPvRmT3_T4_T5_T6_T7_T9_mT8_P12ihipStream_tbDpT10_ENKUlT_T0_E_clISt17integral_constantIbLb1EES1B_EEDaS16_S17_EUlS16_E_NS1_11comp_targetILNS1_3genE10ELNS1_11target_archE1200ELNS1_3gpuE4ELNS1_3repE0EEENS1_30default_config_static_selectorELNS0_4arch9wavefront6targetE0EEEvT1_
    .private_segment_fixed_size: 0
    .sgpr_count:     0
    .sgpr_spill_count: 0
    .symbol:         _ZN7rocprim17ROCPRIM_400000_NS6detail17trampoline_kernelINS0_14default_configENS1_25partition_config_selectorILNS1_17partition_subalgoE5EjNS0_10empty_typeEbEEZZNS1_14partition_implILS5_5ELb0ES3_mN6thrust23THRUST_200600_302600_NS6detail15normal_iteratorINSA_10device_ptrIjEEEEPS6_NSA_18transform_iteratorINSB_9not_fun_tI7is_trueIjEEESF_NSA_11use_defaultESM_EENS0_5tupleIJSF_S6_EEENSO_IJSG_SG_EEES6_PlJS6_EEE10hipError_tPvRmT3_T4_T5_T6_T7_T9_mT8_P12ihipStream_tbDpT10_ENKUlT_T0_E_clISt17integral_constantIbLb1EES1B_EEDaS16_S17_EUlS16_E_NS1_11comp_targetILNS1_3genE10ELNS1_11target_archE1200ELNS1_3gpuE4ELNS1_3repE0EEENS1_30default_config_static_selectorELNS0_4arch9wavefront6targetE0EEEvT1_.kd
    .uniform_work_group_size: 1
    .uses_dynamic_stack: false
    .vgpr_count:     0
    .vgpr_spill_count: 0
    .wavefront_size: 32
    .workgroup_processor_mode: 1
  - .args:
      - .offset:         0
        .size:           136
        .value_kind:     by_value
    .group_segment_fixed_size: 0
    .kernarg_segment_align: 8
    .kernarg_segment_size: 136
    .language:       OpenCL C
    .language_version:
      - 2
      - 0
    .max_flat_workgroup_size: 128
    .name:           _ZN7rocprim17ROCPRIM_400000_NS6detail17trampoline_kernelINS0_14default_configENS1_25partition_config_selectorILNS1_17partition_subalgoE5EjNS0_10empty_typeEbEEZZNS1_14partition_implILS5_5ELb0ES3_mN6thrust23THRUST_200600_302600_NS6detail15normal_iteratorINSA_10device_ptrIjEEEEPS6_NSA_18transform_iteratorINSB_9not_fun_tI7is_trueIjEEESF_NSA_11use_defaultESM_EENS0_5tupleIJSF_S6_EEENSO_IJSG_SG_EEES6_PlJS6_EEE10hipError_tPvRmT3_T4_T5_T6_T7_T9_mT8_P12ihipStream_tbDpT10_ENKUlT_T0_E_clISt17integral_constantIbLb1EES1B_EEDaS16_S17_EUlS16_E_NS1_11comp_targetILNS1_3genE9ELNS1_11target_archE1100ELNS1_3gpuE3ELNS1_3repE0EEENS1_30default_config_static_selectorELNS0_4arch9wavefront6targetE0EEEvT1_
    .private_segment_fixed_size: 0
    .sgpr_count:     0
    .sgpr_spill_count: 0
    .symbol:         _ZN7rocprim17ROCPRIM_400000_NS6detail17trampoline_kernelINS0_14default_configENS1_25partition_config_selectorILNS1_17partition_subalgoE5EjNS0_10empty_typeEbEEZZNS1_14partition_implILS5_5ELb0ES3_mN6thrust23THRUST_200600_302600_NS6detail15normal_iteratorINSA_10device_ptrIjEEEEPS6_NSA_18transform_iteratorINSB_9not_fun_tI7is_trueIjEEESF_NSA_11use_defaultESM_EENS0_5tupleIJSF_S6_EEENSO_IJSG_SG_EEES6_PlJS6_EEE10hipError_tPvRmT3_T4_T5_T6_T7_T9_mT8_P12ihipStream_tbDpT10_ENKUlT_T0_E_clISt17integral_constantIbLb1EES1B_EEDaS16_S17_EUlS16_E_NS1_11comp_targetILNS1_3genE9ELNS1_11target_archE1100ELNS1_3gpuE3ELNS1_3repE0EEENS1_30default_config_static_selectorELNS0_4arch9wavefront6targetE0EEEvT1_.kd
    .uniform_work_group_size: 1
    .uses_dynamic_stack: false
    .vgpr_count:     0
    .vgpr_spill_count: 0
    .wavefront_size: 32
    .workgroup_processor_mode: 1
  - .args:
      - .offset:         0
        .size:           136
        .value_kind:     by_value
    .group_segment_fixed_size: 0
    .kernarg_segment_align: 8
    .kernarg_segment_size: 136
    .language:       OpenCL C
    .language_version:
      - 2
      - 0
    .max_flat_workgroup_size: 512
    .name:           _ZN7rocprim17ROCPRIM_400000_NS6detail17trampoline_kernelINS0_14default_configENS1_25partition_config_selectorILNS1_17partition_subalgoE5EjNS0_10empty_typeEbEEZZNS1_14partition_implILS5_5ELb0ES3_mN6thrust23THRUST_200600_302600_NS6detail15normal_iteratorINSA_10device_ptrIjEEEEPS6_NSA_18transform_iteratorINSB_9not_fun_tI7is_trueIjEEESF_NSA_11use_defaultESM_EENS0_5tupleIJSF_S6_EEENSO_IJSG_SG_EEES6_PlJS6_EEE10hipError_tPvRmT3_T4_T5_T6_T7_T9_mT8_P12ihipStream_tbDpT10_ENKUlT_T0_E_clISt17integral_constantIbLb1EES1B_EEDaS16_S17_EUlS16_E_NS1_11comp_targetILNS1_3genE8ELNS1_11target_archE1030ELNS1_3gpuE2ELNS1_3repE0EEENS1_30default_config_static_selectorELNS0_4arch9wavefront6targetE0EEEvT1_
    .private_segment_fixed_size: 0
    .sgpr_count:     0
    .sgpr_spill_count: 0
    .symbol:         _ZN7rocprim17ROCPRIM_400000_NS6detail17trampoline_kernelINS0_14default_configENS1_25partition_config_selectorILNS1_17partition_subalgoE5EjNS0_10empty_typeEbEEZZNS1_14partition_implILS5_5ELb0ES3_mN6thrust23THRUST_200600_302600_NS6detail15normal_iteratorINSA_10device_ptrIjEEEEPS6_NSA_18transform_iteratorINSB_9not_fun_tI7is_trueIjEEESF_NSA_11use_defaultESM_EENS0_5tupleIJSF_S6_EEENSO_IJSG_SG_EEES6_PlJS6_EEE10hipError_tPvRmT3_T4_T5_T6_T7_T9_mT8_P12ihipStream_tbDpT10_ENKUlT_T0_E_clISt17integral_constantIbLb1EES1B_EEDaS16_S17_EUlS16_E_NS1_11comp_targetILNS1_3genE8ELNS1_11target_archE1030ELNS1_3gpuE2ELNS1_3repE0EEENS1_30default_config_static_selectorELNS0_4arch9wavefront6targetE0EEEvT1_.kd
    .uniform_work_group_size: 1
    .uses_dynamic_stack: false
    .vgpr_count:     0
    .vgpr_spill_count: 0
    .wavefront_size: 32
    .workgroup_processor_mode: 1
  - .args:
      - .offset:         0
        .size:           120
        .value_kind:     by_value
    .group_segment_fixed_size: 0
    .kernarg_segment_align: 8
    .kernarg_segment_size: 120
    .language:       OpenCL C
    .language_version:
      - 2
      - 0
    .max_flat_workgroup_size: 512
    .name:           _ZN7rocprim17ROCPRIM_400000_NS6detail17trampoline_kernelINS0_14default_configENS1_25partition_config_selectorILNS1_17partition_subalgoE5EjNS0_10empty_typeEbEEZZNS1_14partition_implILS5_5ELb0ES3_mN6thrust23THRUST_200600_302600_NS6detail15normal_iteratorINSA_10device_ptrIjEEEEPS6_NSA_18transform_iteratorINSB_9not_fun_tI7is_trueIjEEESF_NSA_11use_defaultESM_EENS0_5tupleIJSF_S6_EEENSO_IJSG_SG_EEES6_PlJS6_EEE10hipError_tPvRmT3_T4_T5_T6_T7_T9_mT8_P12ihipStream_tbDpT10_ENKUlT_T0_E_clISt17integral_constantIbLb1EES1A_IbLb0EEEEDaS16_S17_EUlS16_E_NS1_11comp_targetILNS1_3genE0ELNS1_11target_archE4294967295ELNS1_3gpuE0ELNS1_3repE0EEENS1_30default_config_static_selectorELNS0_4arch9wavefront6targetE0EEEvT1_
    .private_segment_fixed_size: 0
    .sgpr_count:     0
    .sgpr_spill_count: 0
    .symbol:         _ZN7rocprim17ROCPRIM_400000_NS6detail17trampoline_kernelINS0_14default_configENS1_25partition_config_selectorILNS1_17partition_subalgoE5EjNS0_10empty_typeEbEEZZNS1_14partition_implILS5_5ELb0ES3_mN6thrust23THRUST_200600_302600_NS6detail15normal_iteratorINSA_10device_ptrIjEEEEPS6_NSA_18transform_iteratorINSB_9not_fun_tI7is_trueIjEEESF_NSA_11use_defaultESM_EENS0_5tupleIJSF_S6_EEENSO_IJSG_SG_EEES6_PlJS6_EEE10hipError_tPvRmT3_T4_T5_T6_T7_T9_mT8_P12ihipStream_tbDpT10_ENKUlT_T0_E_clISt17integral_constantIbLb1EES1A_IbLb0EEEEDaS16_S17_EUlS16_E_NS1_11comp_targetILNS1_3genE0ELNS1_11target_archE4294967295ELNS1_3gpuE0ELNS1_3repE0EEENS1_30default_config_static_selectorELNS0_4arch9wavefront6targetE0EEEvT1_.kd
    .uniform_work_group_size: 1
    .uses_dynamic_stack: false
    .vgpr_count:     0
    .vgpr_spill_count: 0
    .wavefront_size: 32
    .workgroup_processor_mode: 1
  - .args:
      - .offset:         0
        .size:           120
        .value_kind:     by_value
    .group_segment_fixed_size: 0
    .kernarg_segment_align: 8
    .kernarg_segment_size: 120
    .language:       OpenCL C
    .language_version:
      - 2
      - 0
    .max_flat_workgroup_size: 512
    .name:           _ZN7rocprim17ROCPRIM_400000_NS6detail17trampoline_kernelINS0_14default_configENS1_25partition_config_selectorILNS1_17partition_subalgoE5EjNS0_10empty_typeEbEEZZNS1_14partition_implILS5_5ELb0ES3_mN6thrust23THRUST_200600_302600_NS6detail15normal_iteratorINSA_10device_ptrIjEEEEPS6_NSA_18transform_iteratorINSB_9not_fun_tI7is_trueIjEEESF_NSA_11use_defaultESM_EENS0_5tupleIJSF_S6_EEENSO_IJSG_SG_EEES6_PlJS6_EEE10hipError_tPvRmT3_T4_T5_T6_T7_T9_mT8_P12ihipStream_tbDpT10_ENKUlT_T0_E_clISt17integral_constantIbLb1EES1A_IbLb0EEEEDaS16_S17_EUlS16_E_NS1_11comp_targetILNS1_3genE5ELNS1_11target_archE942ELNS1_3gpuE9ELNS1_3repE0EEENS1_30default_config_static_selectorELNS0_4arch9wavefront6targetE0EEEvT1_
    .private_segment_fixed_size: 0
    .sgpr_count:     0
    .sgpr_spill_count: 0
    .symbol:         _ZN7rocprim17ROCPRIM_400000_NS6detail17trampoline_kernelINS0_14default_configENS1_25partition_config_selectorILNS1_17partition_subalgoE5EjNS0_10empty_typeEbEEZZNS1_14partition_implILS5_5ELb0ES3_mN6thrust23THRUST_200600_302600_NS6detail15normal_iteratorINSA_10device_ptrIjEEEEPS6_NSA_18transform_iteratorINSB_9not_fun_tI7is_trueIjEEESF_NSA_11use_defaultESM_EENS0_5tupleIJSF_S6_EEENSO_IJSG_SG_EEES6_PlJS6_EEE10hipError_tPvRmT3_T4_T5_T6_T7_T9_mT8_P12ihipStream_tbDpT10_ENKUlT_T0_E_clISt17integral_constantIbLb1EES1A_IbLb0EEEEDaS16_S17_EUlS16_E_NS1_11comp_targetILNS1_3genE5ELNS1_11target_archE942ELNS1_3gpuE9ELNS1_3repE0EEENS1_30default_config_static_selectorELNS0_4arch9wavefront6targetE0EEEvT1_.kd
    .uniform_work_group_size: 1
    .uses_dynamic_stack: false
    .vgpr_count:     0
    .vgpr_spill_count: 0
    .wavefront_size: 32
    .workgroup_processor_mode: 1
  - .args:
      - .offset:         0
        .size:           120
        .value_kind:     by_value
    .group_segment_fixed_size: 0
    .kernarg_segment_align: 8
    .kernarg_segment_size: 120
    .language:       OpenCL C
    .language_version:
      - 2
      - 0
    .max_flat_workgroup_size: 256
    .name:           _ZN7rocprim17ROCPRIM_400000_NS6detail17trampoline_kernelINS0_14default_configENS1_25partition_config_selectorILNS1_17partition_subalgoE5EjNS0_10empty_typeEbEEZZNS1_14partition_implILS5_5ELb0ES3_mN6thrust23THRUST_200600_302600_NS6detail15normal_iteratorINSA_10device_ptrIjEEEEPS6_NSA_18transform_iteratorINSB_9not_fun_tI7is_trueIjEEESF_NSA_11use_defaultESM_EENS0_5tupleIJSF_S6_EEENSO_IJSG_SG_EEES6_PlJS6_EEE10hipError_tPvRmT3_T4_T5_T6_T7_T9_mT8_P12ihipStream_tbDpT10_ENKUlT_T0_E_clISt17integral_constantIbLb1EES1A_IbLb0EEEEDaS16_S17_EUlS16_E_NS1_11comp_targetILNS1_3genE4ELNS1_11target_archE910ELNS1_3gpuE8ELNS1_3repE0EEENS1_30default_config_static_selectorELNS0_4arch9wavefront6targetE0EEEvT1_
    .private_segment_fixed_size: 0
    .sgpr_count:     0
    .sgpr_spill_count: 0
    .symbol:         _ZN7rocprim17ROCPRIM_400000_NS6detail17trampoline_kernelINS0_14default_configENS1_25partition_config_selectorILNS1_17partition_subalgoE5EjNS0_10empty_typeEbEEZZNS1_14partition_implILS5_5ELb0ES3_mN6thrust23THRUST_200600_302600_NS6detail15normal_iteratorINSA_10device_ptrIjEEEEPS6_NSA_18transform_iteratorINSB_9not_fun_tI7is_trueIjEEESF_NSA_11use_defaultESM_EENS0_5tupleIJSF_S6_EEENSO_IJSG_SG_EEES6_PlJS6_EEE10hipError_tPvRmT3_T4_T5_T6_T7_T9_mT8_P12ihipStream_tbDpT10_ENKUlT_T0_E_clISt17integral_constantIbLb1EES1A_IbLb0EEEEDaS16_S17_EUlS16_E_NS1_11comp_targetILNS1_3genE4ELNS1_11target_archE910ELNS1_3gpuE8ELNS1_3repE0EEENS1_30default_config_static_selectorELNS0_4arch9wavefront6targetE0EEEvT1_.kd
    .uniform_work_group_size: 1
    .uses_dynamic_stack: false
    .vgpr_count:     0
    .vgpr_spill_count: 0
    .wavefront_size: 32
    .workgroup_processor_mode: 1
  - .args:
      - .offset:         0
        .size:           120
        .value_kind:     by_value
    .group_segment_fixed_size: 0
    .kernarg_segment_align: 8
    .kernarg_segment_size: 120
    .language:       OpenCL C
    .language_version:
      - 2
      - 0
    .max_flat_workgroup_size: 512
    .name:           _ZN7rocprim17ROCPRIM_400000_NS6detail17trampoline_kernelINS0_14default_configENS1_25partition_config_selectorILNS1_17partition_subalgoE5EjNS0_10empty_typeEbEEZZNS1_14partition_implILS5_5ELb0ES3_mN6thrust23THRUST_200600_302600_NS6detail15normal_iteratorINSA_10device_ptrIjEEEEPS6_NSA_18transform_iteratorINSB_9not_fun_tI7is_trueIjEEESF_NSA_11use_defaultESM_EENS0_5tupleIJSF_S6_EEENSO_IJSG_SG_EEES6_PlJS6_EEE10hipError_tPvRmT3_T4_T5_T6_T7_T9_mT8_P12ihipStream_tbDpT10_ENKUlT_T0_E_clISt17integral_constantIbLb1EES1A_IbLb0EEEEDaS16_S17_EUlS16_E_NS1_11comp_targetILNS1_3genE3ELNS1_11target_archE908ELNS1_3gpuE7ELNS1_3repE0EEENS1_30default_config_static_selectorELNS0_4arch9wavefront6targetE0EEEvT1_
    .private_segment_fixed_size: 0
    .sgpr_count:     0
    .sgpr_spill_count: 0
    .symbol:         _ZN7rocprim17ROCPRIM_400000_NS6detail17trampoline_kernelINS0_14default_configENS1_25partition_config_selectorILNS1_17partition_subalgoE5EjNS0_10empty_typeEbEEZZNS1_14partition_implILS5_5ELb0ES3_mN6thrust23THRUST_200600_302600_NS6detail15normal_iteratorINSA_10device_ptrIjEEEEPS6_NSA_18transform_iteratorINSB_9not_fun_tI7is_trueIjEEESF_NSA_11use_defaultESM_EENS0_5tupleIJSF_S6_EEENSO_IJSG_SG_EEES6_PlJS6_EEE10hipError_tPvRmT3_T4_T5_T6_T7_T9_mT8_P12ihipStream_tbDpT10_ENKUlT_T0_E_clISt17integral_constantIbLb1EES1A_IbLb0EEEEDaS16_S17_EUlS16_E_NS1_11comp_targetILNS1_3genE3ELNS1_11target_archE908ELNS1_3gpuE7ELNS1_3repE0EEENS1_30default_config_static_selectorELNS0_4arch9wavefront6targetE0EEEvT1_.kd
    .uniform_work_group_size: 1
    .uses_dynamic_stack: false
    .vgpr_count:     0
    .vgpr_spill_count: 0
    .wavefront_size: 32
    .workgroup_processor_mode: 1
  - .args:
      - .offset:         0
        .size:           120
        .value_kind:     by_value
    .group_segment_fixed_size: 0
    .kernarg_segment_align: 8
    .kernarg_segment_size: 120
    .language:       OpenCL C
    .language_version:
      - 2
      - 0
    .max_flat_workgroup_size: 256
    .name:           _ZN7rocprim17ROCPRIM_400000_NS6detail17trampoline_kernelINS0_14default_configENS1_25partition_config_selectorILNS1_17partition_subalgoE5EjNS0_10empty_typeEbEEZZNS1_14partition_implILS5_5ELb0ES3_mN6thrust23THRUST_200600_302600_NS6detail15normal_iteratorINSA_10device_ptrIjEEEEPS6_NSA_18transform_iteratorINSB_9not_fun_tI7is_trueIjEEESF_NSA_11use_defaultESM_EENS0_5tupleIJSF_S6_EEENSO_IJSG_SG_EEES6_PlJS6_EEE10hipError_tPvRmT3_T4_T5_T6_T7_T9_mT8_P12ihipStream_tbDpT10_ENKUlT_T0_E_clISt17integral_constantIbLb1EES1A_IbLb0EEEEDaS16_S17_EUlS16_E_NS1_11comp_targetILNS1_3genE2ELNS1_11target_archE906ELNS1_3gpuE6ELNS1_3repE0EEENS1_30default_config_static_selectorELNS0_4arch9wavefront6targetE0EEEvT1_
    .private_segment_fixed_size: 0
    .sgpr_count:     0
    .sgpr_spill_count: 0
    .symbol:         _ZN7rocprim17ROCPRIM_400000_NS6detail17trampoline_kernelINS0_14default_configENS1_25partition_config_selectorILNS1_17partition_subalgoE5EjNS0_10empty_typeEbEEZZNS1_14partition_implILS5_5ELb0ES3_mN6thrust23THRUST_200600_302600_NS6detail15normal_iteratorINSA_10device_ptrIjEEEEPS6_NSA_18transform_iteratorINSB_9not_fun_tI7is_trueIjEEESF_NSA_11use_defaultESM_EENS0_5tupleIJSF_S6_EEENSO_IJSG_SG_EEES6_PlJS6_EEE10hipError_tPvRmT3_T4_T5_T6_T7_T9_mT8_P12ihipStream_tbDpT10_ENKUlT_T0_E_clISt17integral_constantIbLb1EES1A_IbLb0EEEEDaS16_S17_EUlS16_E_NS1_11comp_targetILNS1_3genE2ELNS1_11target_archE906ELNS1_3gpuE6ELNS1_3repE0EEENS1_30default_config_static_selectorELNS0_4arch9wavefront6targetE0EEEvT1_.kd
    .uniform_work_group_size: 1
    .uses_dynamic_stack: false
    .vgpr_count:     0
    .vgpr_spill_count: 0
    .wavefront_size: 32
    .workgroup_processor_mode: 1
  - .args:
      - .offset:         0
        .size:           120
        .value_kind:     by_value
    .group_segment_fixed_size: 0
    .kernarg_segment_align: 8
    .kernarg_segment_size: 120
    .language:       OpenCL C
    .language_version:
      - 2
      - 0
    .max_flat_workgroup_size: 192
    .name:           _ZN7rocprim17ROCPRIM_400000_NS6detail17trampoline_kernelINS0_14default_configENS1_25partition_config_selectorILNS1_17partition_subalgoE5EjNS0_10empty_typeEbEEZZNS1_14partition_implILS5_5ELb0ES3_mN6thrust23THRUST_200600_302600_NS6detail15normal_iteratorINSA_10device_ptrIjEEEEPS6_NSA_18transform_iteratorINSB_9not_fun_tI7is_trueIjEEESF_NSA_11use_defaultESM_EENS0_5tupleIJSF_S6_EEENSO_IJSG_SG_EEES6_PlJS6_EEE10hipError_tPvRmT3_T4_T5_T6_T7_T9_mT8_P12ihipStream_tbDpT10_ENKUlT_T0_E_clISt17integral_constantIbLb1EES1A_IbLb0EEEEDaS16_S17_EUlS16_E_NS1_11comp_targetILNS1_3genE10ELNS1_11target_archE1200ELNS1_3gpuE4ELNS1_3repE0EEENS1_30default_config_static_selectorELNS0_4arch9wavefront6targetE0EEEvT1_
    .private_segment_fixed_size: 0
    .sgpr_count:     0
    .sgpr_spill_count: 0
    .symbol:         _ZN7rocprim17ROCPRIM_400000_NS6detail17trampoline_kernelINS0_14default_configENS1_25partition_config_selectorILNS1_17partition_subalgoE5EjNS0_10empty_typeEbEEZZNS1_14partition_implILS5_5ELb0ES3_mN6thrust23THRUST_200600_302600_NS6detail15normal_iteratorINSA_10device_ptrIjEEEEPS6_NSA_18transform_iteratorINSB_9not_fun_tI7is_trueIjEEESF_NSA_11use_defaultESM_EENS0_5tupleIJSF_S6_EEENSO_IJSG_SG_EEES6_PlJS6_EEE10hipError_tPvRmT3_T4_T5_T6_T7_T9_mT8_P12ihipStream_tbDpT10_ENKUlT_T0_E_clISt17integral_constantIbLb1EES1A_IbLb0EEEEDaS16_S17_EUlS16_E_NS1_11comp_targetILNS1_3genE10ELNS1_11target_archE1200ELNS1_3gpuE4ELNS1_3repE0EEENS1_30default_config_static_selectorELNS0_4arch9wavefront6targetE0EEEvT1_.kd
    .uniform_work_group_size: 1
    .uses_dynamic_stack: false
    .vgpr_count:     0
    .vgpr_spill_count: 0
    .wavefront_size: 32
    .workgroup_processor_mode: 1
  - .args:
      - .offset:         0
        .size:           120
        .value_kind:     by_value
    .group_segment_fixed_size: 0
    .kernarg_segment_align: 8
    .kernarg_segment_size: 120
    .language:       OpenCL C
    .language_version:
      - 2
      - 0
    .max_flat_workgroup_size: 128
    .name:           _ZN7rocprim17ROCPRIM_400000_NS6detail17trampoline_kernelINS0_14default_configENS1_25partition_config_selectorILNS1_17partition_subalgoE5EjNS0_10empty_typeEbEEZZNS1_14partition_implILS5_5ELb0ES3_mN6thrust23THRUST_200600_302600_NS6detail15normal_iteratorINSA_10device_ptrIjEEEEPS6_NSA_18transform_iteratorINSB_9not_fun_tI7is_trueIjEEESF_NSA_11use_defaultESM_EENS0_5tupleIJSF_S6_EEENSO_IJSG_SG_EEES6_PlJS6_EEE10hipError_tPvRmT3_T4_T5_T6_T7_T9_mT8_P12ihipStream_tbDpT10_ENKUlT_T0_E_clISt17integral_constantIbLb1EES1A_IbLb0EEEEDaS16_S17_EUlS16_E_NS1_11comp_targetILNS1_3genE9ELNS1_11target_archE1100ELNS1_3gpuE3ELNS1_3repE0EEENS1_30default_config_static_selectorELNS0_4arch9wavefront6targetE0EEEvT1_
    .private_segment_fixed_size: 0
    .sgpr_count:     0
    .sgpr_spill_count: 0
    .symbol:         _ZN7rocprim17ROCPRIM_400000_NS6detail17trampoline_kernelINS0_14default_configENS1_25partition_config_selectorILNS1_17partition_subalgoE5EjNS0_10empty_typeEbEEZZNS1_14partition_implILS5_5ELb0ES3_mN6thrust23THRUST_200600_302600_NS6detail15normal_iteratorINSA_10device_ptrIjEEEEPS6_NSA_18transform_iteratorINSB_9not_fun_tI7is_trueIjEEESF_NSA_11use_defaultESM_EENS0_5tupleIJSF_S6_EEENSO_IJSG_SG_EEES6_PlJS6_EEE10hipError_tPvRmT3_T4_T5_T6_T7_T9_mT8_P12ihipStream_tbDpT10_ENKUlT_T0_E_clISt17integral_constantIbLb1EES1A_IbLb0EEEEDaS16_S17_EUlS16_E_NS1_11comp_targetILNS1_3genE9ELNS1_11target_archE1100ELNS1_3gpuE3ELNS1_3repE0EEENS1_30default_config_static_selectorELNS0_4arch9wavefront6targetE0EEEvT1_.kd
    .uniform_work_group_size: 1
    .uses_dynamic_stack: false
    .vgpr_count:     0
    .vgpr_spill_count: 0
    .wavefront_size: 32
    .workgroup_processor_mode: 1
  - .args:
      - .offset:         0
        .size:           120
        .value_kind:     by_value
    .group_segment_fixed_size: 0
    .kernarg_segment_align: 8
    .kernarg_segment_size: 120
    .language:       OpenCL C
    .language_version:
      - 2
      - 0
    .max_flat_workgroup_size: 512
    .name:           _ZN7rocprim17ROCPRIM_400000_NS6detail17trampoline_kernelINS0_14default_configENS1_25partition_config_selectorILNS1_17partition_subalgoE5EjNS0_10empty_typeEbEEZZNS1_14partition_implILS5_5ELb0ES3_mN6thrust23THRUST_200600_302600_NS6detail15normal_iteratorINSA_10device_ptrIjEEEEPS6_NSA_18transform_iteratorINSB_9not_fun_tI7is_trueIjEEESF_NSA_11use_defaultESM_EENS0_5tupleIJSF_S6_EEENSO_IJSG_SG_EEES6_PlJS6_EEE10hipError_tPvRmT3_T4_T5_T6_T7_T9_mT8_P12ihipStream_tbDpT10_ENKUlT_T0_E_clISt17integral_constantIbLb1EES1A_IbLb0EEEEDaS16_S17_EUlS16_E_NS1_11comp_targetILNS1_3genE8ELNS1_11target_archE1030ELNS1_3gpuE2ELNS1_3repE0EEENS1_30default_config_static_selectorELNS0_4arch9wavefront6targetE0EEEvT1_
    .private_segment_fixed_size: 0
    .sgpr_count:     0
    .sgpr_spill_count: 0
    .symbol:         _ZN7rocprim17ROCPRIM_400000_NS6detail17trampoline_kernelINS0_14default_configENS1_25partition_config_selectorILNS1_17partition_subalgoE5EjNS0_10empty_typeEbEEZZNS1_14partition_implILS5_5ELb0ES3_mN6thrust23THRUST_200600_302600_NS6detail15normal_iteratorINSA_10device_ptrIjEEEEPS6_NSA_18transform_iteratorINSB_9not_fun_tI7is_trueIjEEESF_NSA_11use_defaultESM_EENS0_5tupleIJSF_S6_EEENSO_IJSG_SG_EEES6_PlJS6_EEE10hipError_tPvRmT3_T4_T5_T6_T7_T9_mT8_P12ihipStream_tbDpT10_ENKUlT_T0_E_clISt17integral_constantIbLb1EES1A_IbLb0EEEEDaS16_S17_EUlS16_E_NS1_11comp_targetILNS1_3genE8ELNS1_11target_archE1030ELNS1_3gpuE2ELNS1_3repE0EEENS1_30default_config_static_selectorELNS0_4arch9wavefront6targetE0EEEvT1_.kd
    .uniform_work_group_size: 1
    .uses_dynamic_stack: false
    .vgpr_count:     0
    .vgpr_spill_count: 0
    .wavefront_size: 32
    .workgroup_processor_mode: 1
  - .args:
      - .offset:         0
        .size:           136
        .value_kind:     by_value
    .group_segment_fixed_size: 0
    .kernarg_segment_align: 8
    .kernarg_segment_size: 136
    .language:       OpenCL C
    .language_version:
      - 2
      - 0
    .max_flat_workgroup_size: 512
    .name:           _ZN7rocprim17ROCPRIM_400000_NS6detail17trampoline_kernelINS0_14default_configENS1_25partition_config_selectorILNS1_17partition_subalgoE5EjNS0_10empty_typeEbEEZZNS1_14partition_implILS5_5ELb0ES3_mN6thrust23THRUST_200600_302600_NS6detail15normal_iteratorINSA_10device_ptrIjEEEEPS6_NSA_18transform_iteratorINSB_9not_fun_tI7is_trueIjEEESF_NSA_11use_defaultESM_EENS0_5tupleIJSF_S6_EEENSO_IJSG_SG_EEES6_PlJS6_EEE10hipError_tPvRmT3_T4_T5_T6_T7_T9_mT8_P12ihipStream_tbDpT10_ENKUlT_T0_E_clISt17integral_constantIbLb0EES1A_IbLb1EEEEDaS16_S17_EUlS16_E_NS1_11comp_targetILNS1_3genE0ELNS1_11target_archE4294967295ELNS1_3gpuE0ELNS1_3repE0EEENS1_30default_config_static_selectorELNS0_4arch9wavefront6targetE0EEEvT1_
    .private_segment_fixed_size: 0
    .sgpr_count:     0
    .sgpr_spill_count: 0
    .symbol:         _ZN7rocprim17ROCPRIM_400000_NS6detail17trampoline_kernelINS0_14default_configENS1_25partition_config_selectorILNS1_17partition_subalgoE5EjNS0_10empty_typeEbEEZZNS1_14partition_implILS5_5ELb0ES3_mN6thrust23THRUST_200600_302600_NS6detail15normal_iteratorINSA_10device_ptrIjEEEEPS6_NSA_18transform_iteratorINSB_9not_fun_tI7is_trueIjEEESF_NSA_11use_defaultESM_EENS0_5tupleIJSF_S6_EEENSO_IJSG_SG_EEES6_PlJS6_EEE10hipError_tPvRmT3_T4_T5_T6_T7_T9_mT8_P12ihipStream_tbDpT10_ENKUlT_T0_E_clISt17integral_constantIbLb0EES1A_IbLb1EEEEDaS16_S17_EUlS16_E_NS1_11comp_targetILNS1_3genE0ELNS1_11target_archE4294967295ELNS1_3gpuE0ELNS1_3repE0EEENS1_30default_config_static_selectorELNS0_4arch9wavefront6targetE0EEEvT1_.kd
    .uniform_work_group_size: 1
    .uses_dynamic_stack: false
    .vgpr_count:     0
    .vgpr_spill_count: 0
    .wavefront_size: 32
    .workgroup_processor_mode: 1
  - .args:
      - .offset:         0
        .size:           136
        .value_kind:     by_value
    .group_segment_fixed_size: 0
    .kernarg_segment_align: 8
    .kernarg_segment_size: 136
    .language:       OpenCL C
    .language_version:
      - 2
      - 0
    .max_flat_workgroup_size: 512
    .name:           _ZN7rocprim17ROCPRIM_400000_NS6detail17trampoline_kernelINS0_14default_configENS1_25partition_config_selectorILNS1_17partition_subalgoE5EjNS0_10empty_typeEbEEZZNS1_14partition_implILS5_5ELb0ES3_mN6thrust23THRUST_200600_302600_NS6detail15normal_iteratorINSA_10device_ptrIjEEEEPS6_NSA_18transform_iteratorINSB_9not_fun_tI7is_trueIjEEESF_NSA_11use_defaultESM_EENS0_5tupleIJSF_S6_EEENSO_IJSG_SG_EEES6_PlJS6_EEE10hipError_tPvRmT3_T4_T5_T6_T7_T9_mT8_P12ihipStream_tbDpT10_ENKUlT_T0_E_clISt17integral_constantIbLb0EES1A_IbLb1EEEEDaS16_S17_EUlS16_E_NS1_11comp_targetILNS1_3genE5ELNS1_11target_archE942ELNS1_3gpuE9ELNS1_3repE0EEENS1_30default_config_static_selectorELNS0_4arch9wavefront6targetE0EEEvT1_
    .private_segment_fixed_size: 0
    .sgpr_count:     0
    .sgpr_spill_count: 0
    .symbol:         _ZN7rocprim17ROCPRIM_400000_NS6detail17trampoline_kernelINS0_14default_configENS1_25partition_config_selectorILNS1_17partition_subalgoE5EjNS0_10empty_typeEbEEZZNS1_14partition_implILS5_5ELb0ES3_mN6thrust23THRUST_200600_302600_NS6detail15normal_iteratorINSA_10device_ptrIjEEEEPS6_NSA_18transform_iteratorINSB_9not_fun_tI7is_trueIjEEESF_NSA_11use_defaultESM_EENS0_5tupleIJSF_S6_EEENSO_IJSG_SG_EEES6_PlJS6_EEE10hipError_tPvRmT3_T4_T5_T6_T7_T9_mT8_P12ihipStream_tbDpT10_ENKUlT_T0_E_clISt17integral_constantIbLb0EES1A_IbLb1EEEEDaS16_S17_EUlS16_E_NS1_11comp_targetILNS1_3genE5ELNS1_11target_archE942ELNS1_3gpuE9ELNS1_3repE0EEENS1_30default_config_static_selectorELNS0_4arch9wavefront6targetE0EEEvT1_.kd
    .uniform_work_group_size: 1
    .uses_dynamic_stack: false
    .vgpr_count:     0
    .vgpr_spill_count: 0
    .wavefront_size: 32
    .workgroup_processor_mode: 1
  - .args:
      - .offset:         0
        .size:           136
        .value_kind:     by_value
    .group_segment_fixed_size: 0
    .kernarg_segment_align: 8
    .kernarg_segment_size: 136
    .language:       OpenCL C
    .language_version:
      - 2
      - 0
    .max_flat_workgroup_size: 256
    .name:           _ZN7rocprim17ROCPRIM_400000_NS6detail17trampoline_kernelINS0_14default_configENS1_25partition_config_selectorILNS1_17partition_subalgoE5EjNS0_10empty_typeEbEEZZNS1_14partition_implILS5_5ELb0ES3_mN6thrust23THRUST_200600_302600_NS6detail15normal_iteratorINSA_10device_ptrIjEEEEPS6_NSA_18transform_iteratorINSB_9not_fun_tI7is_trueIjEEESF_NSA_11use_defaultESM_EENS0_5tupleIJSF_S6_EEENSO_IJSG_SG_EEES6_PlJS6_EEE10hipError_tPvRmT3_T4_T5_T6_T7_T9_mT8_P12ihipStream_tbDpT10_ENKUlT_T0_E_clISt17integral_constantIbLb0EES1A_IbLb1EEEEDaS16_S17_EUlS16_E_NS1_11comp_targetILNS1_3genE4ELNS1_11target_archE910ELNS1_3gpuE8ELNS1_3repE0EEENS1_30default_config_static_selectorELNS0_4arch9wavefront6targetE0EEEvT1_
    .private_segment_fixed_size: 0
    .sgpr_count:     0
    .sgpr_spill_count: 0
    .symbol:         _ZN7rocprim17ROCPRIM_400000_NS6detail17trampoline_kernelINS0_14default_configENS1_25partition_config_selectorILNS1_17partition_subalgoE5EjNS0_10empty_typeEbEEZZNS1_14partition_implILS5_5ELb0ES3_mN6thrust23THRUST_200600_302600_NS6detail15normal_iteratorINSA_10device_ptrIjEEEEPS6_NSA_18transform_iteratorINSB_9not_fun_tI7is_trueIjEEESF_NSA_11use_defaultESM_EENS0_5tupleIJSF_S6_EEENSO_IJSG_SG_EEES6_PlJS6_EEE10hipError_tPvRmT3_T4_T5_T6_T7_T9_mT8_P12ihipStream_tbDpT10_ENKUlT_T0_E_clISt17integral_constantIbLb0EES1A_IbLb1EEEEDaS16_S17_EUlS16_E_NS1_11comp_targetILNS1_3genE4ELNS1_11target_archE910ELNS1_3gpuE8ELNS1_3repE0EEENS1_30default_config_static_selectorELNS0_4arch9wavefront6targetE0EEEvT1_.kd
    .uniform_work_group_size: 1
    .uses_dynamic_stack: false
    .vgpr_count:     0
    .vgpr_spill_count: 0
    .wavefront_size: 32
    .workgroup_processor_mode: 1
  - .args:
      - .offset:         0
        .size:           136
        .value_kind:     by_value
    .group_segment_fixed_size: 0
    .kernarg_segment_align: 8
    .kernarg_segment_size: 136
    .language:       OpenCL C
    .language_version:
      - 2
      - 0
    .max_flat_workgroup_size: 512
    .name:           _ZN7rocprim17ROCPRIM_400000_NS6detail17trampoline_kernelINS0_14default_configENS1_25partition_config_selectorILNS1_17partition_subalgoE5EjNS0_10empty_typeEbEEZZNS1_14partition_implILS5_5ELb0ES3_mN6thrust23THRUST_200600_302600_NS6detail15normal_iteratorINSA_10device_ptrIjEEEEPS6_NSA_18transform_iteratorINSB_9not_fun_tI7is_trueIjEEESF_NSA_11use_defaultESM_EENS0_5tupleIJSF_S6_EEENSO_IJSG_SG_EEES6_PlJS6_EEE10hipError_tPvRmT3_T4_T5_T6_T7_T9_mT8_P12ihipStream_tbDpT10_ENKUlT_T0_E_clISt17integral_constantIbLb0EES1A_IbLb1EEEEDaS16_S17_EUlS16_E_NS1_11comp_targetILNS1_3genE3ELNS1_11target_archE908ELNS1_3gpuE7ELNS1_3repE0EEENS1_30default_config_static_selectorELNS0_4arch9wavefront6targetE0EEEvT1_
    .private_segment_fixed_size: 0
    .sgpr_count:     0
    .sgpr_spill_count: 0
    .symbol:         _ZN7rocprim17ROCPRIM_400000_NS6detail17trampoline_kernelINS0_14default_configENS1_25partition_config_selectorILNS1_17partition_subalgoE5EjNS0_10empty_typeEbEEZZNS1_14partition_implILS5_5ELb0ES3_mN6thrust23THRUST_200600_302600_NS6detail15normal_iteratorINSA_10device_ptrIjEEEEPS6_NSA_18transform_iteratorINSB_9not_fun_tI7is_trueIjEEESF_NSA_11use_defaultESM_EENS0_5tupleIJSF_S6_EEENSO_IJSG_SG_EEES6_PlJS6_EEE10hipError_tPvRmT3_T4_T5_T6_T7_T9_mT8_P12ihipStream_tbDpT10_ENKUlT_T0_E_clISt17integral_constantIbLb0EES1A_IbLb1EEEEDaS16_S17_EUlS16_E_NS1_11comp_targetILNS1_3genE3ELNS1_11target_archE908ELNS1_3gpuE7ELNS1_3repE0EEENS1_30default_config_static_selectorELNS0_4arch9wavefront6targetE0EEEvT1_.kd
    .uniform_work_group_size: 1
    .uses_dynamic_stack: false
    .vgpr_count:     0
    .vgpr_spill_count: 0
    .wavefront_size: 32
    .workgroup_processor_mode: 1
  - .args:
      - .offset:         0
        .size:           136
        .value_kind:     by_value
    .group_segment_fixed_size: 0
    .kernarg_segment_align: 8
    .kernarg_segment_size: 136
    .language:       OpenCL C
    .language_version:
      - 2
      - 0
    .max_flat_workgroup_size: 256
    .name:           _ZN7rocprim17ROCPRIM_400000_NS6detail17trampoline_kernelINS0_14default_configENS1_25partition_config_selectorILNS1_17partition_subalgoE5EjNS0_10empty_typeEbEEZZNS1_14partition_implILS5_5ELb0ES3_mN6thrust23THRUST_200600_302600_NS6detail15normal_iteratorINSA_10device_ptrIjEEEEPS6_NSA_18transform_iteratorINSB_9not_fun_tI7is_trueIjEEESF_NSA_11use_defaultESM_EENS0_5tupleIJSF_S6_EEENSO_IJSG_SG_EEES6_PlJS6_EEE10hipError_tPvRmT3_T4_T5_T6_T7_T9_mT8_P12ihipStream_tbDpT10_ENKUlT_T0_E_clISt17integral_constantIbLb0EES1A_IbLb1EEEEDaS16_S17_EUlS16_E_NS1_11comp_targetILNS1_3genE2ELNS1_11target_archE906ELNS1_3gpuE6ELNS1_3repE0EEENS1_30default_config_static_selectorELNS0_4arch9wavefront6targetE0EEEvT1_
    .private_segment_fixed_size: 0
    .sgpr_count:     0
    .sgpr_spill_count: 0
    .symbol:         _ZN7rocprim17ROCPRIM_400000_NS6detail17trampoline_kernelINS0_14default_configENS1_25partition_config_selectorILNS1_17partition_subalgoE5EjNS0_10empty_typeEbEEZZNS1_14partition_implILS5_5ELb0ES3_mN6thrust23THRUST_200600_302600_NS6detail15normal_iteratorINSA_10device_ptrIjEEEEPS6_NSA_18transform_iteratorINSB_9not_fun_tI7is_trueIjEEESF_NSA_11use_defaultESM_EENS0_5tupleIJSF_S6_EEENSO_IJSG_SG_EEES6_PlJS6_EEE10hipError_tPvRmT3_T4_T5_T6_T7_T9_mT8_P12ihipStream_tbDpT10_ENKUlT_T0_E_clISt17integral_constantIbLb0EES1A_IbLb1EEEEDaS16_S17_EUlS16_E_NS1_11comp_targetILNS1_3genE2ELNS1_11target_archE906ELNS1_3gpuE6ELNS1_3repE0EEENS1_30default_config_static_selectorELNS0_4arch9wavefront6targetE0EEEvT1_.kd
    .uniform_work_group_size: 1
    .uses_dynamic_stack: false
    .vgpr_count:     0
    .vgpr_spill_count: 0
    .wavefront_size: 32
    .workgroup_processor_mode: 1
  - .args:
      - .offset:         0
        .size:           136
        .value_kind:     by_value
    .group_segment_fixed_size: 6352
    .kernarg_segment_align: 8
    .kernarg_segment_size: 136
    .language:       OpenCL C
    .language_version:
      - 2
      - 0
    .max_flat_workgroup_size: 192
    .name:           _ZN7rocprim17ROCPRIM_400000_NS6detail17trampoline_kernelINS0_14default_configENS1_25partition_config_selectorILNS1_17partition_subalgoE5EjNS0_10empty_typeEbEEZZNS1_14partition_implILS5_5ELb0ES3_mN6thrust23THRUST_200600_302600_NS6detail15normal_iteratorINSA_10device_ptrIjEEEEPS6_NSA_18transform_iteratorINSB_9not_fun_tI7is_trueIjEEESF_NSA_11use_defaultESM_EENS0_5tupleIJSF_S6_EEENSO_IJSG_SG_EEES6_PlJS6_EEE10hipError_tPvRmT3_T4_T5_T6_T7_T9_mT8_P12ihipStream_tbDpT10_ENKUlT_T0_E_clISt17integral_constantIbLb0EES1A_IbLb1EEEEDaS16_S17_EUlS16_E_NS1_11comp_targetILNS1_3genE10ELNS1_11target_archE1200ELNS1_3gpuE4ELNS1_3repE0EEENS1_30default_config_static_selectorELNS0_4arch9wavefront6targetE0EEEvT1_
    .private_segment_fixed_size: 0
    .sgpr_count:     26
    .sgpr_spill_count: 0
    .symbol:         _ZN7rocprim17ROCPRIM_400000_NS6detail17trampoline_kernelINS0_14default_configENS1_25partition_config_selectorILNS1_17partition_subalgoE5EjNS0_10empty_typeEbEEZZNS1_14partition_implILS5_5ELb0ES3_mN6thrust23THRUST_200600_302600_NS6detail15normal_iteratorINSA_10device_ptrIjEEEEPS6_NSA_18transform_iteratorINSB_9not_fun_tI7is_trueIjEEESF_NSA_11use_defaultESM_EENS0_5tupleIJSF_S6_EEENSO_IJSG_SG_EEES6_PlJS6_EEE10hipError_tPvRmT3_T4_T5_T6_T7_T9_mT8_P12ihipStream_tbDpT10_ENKUlT_T0_E_clISt17integral_constantIbLb0EES1A_IbLb1EEEEDaS16_S17_EUlS16_E_NS1_11comp_targetILNS1_3genE10ELNS1_11target_archE1200ELNS1_3gpuE4ELNS1_3repE0EEENS1_30default_config_static_selectorELNS0_4arch9wavefront6targetE0EEEvT1_.kd
    .uniform_work_group_size: 1
    .uses_dynamic_stack: false
    .vgpr_count:     54
    .vgpr_spill_count: 0
    .wavefront_size: 32
    .workgroup_processor_mode: 1
  - .args:
      - .offset:         0
        .size:           136
        .value_kind:     by_value
    .group_segment_fixed_size: 0
    .kernarg_segment_align: 8
    .kernarg_segment_size: 136
    .language:       OpenCL C
    .language_version:
      - 2
      - 0
    .max_flat_workgroup_size: 128
    .name:           _ZN7rocprim17ROCPRIM_400000_NS6detail17trampoline_kernelINS0_14default_configENS1_25partition_config_selectorILNS1_17partition_subalgoE5EjNS0_10empty_typeEbEEZZNS1_14partition_implILS5_5ELb0ES3_mN6thrust23THRUST_200600_302600_NS6detail15normal_iteratorINSA_10device_ptrIjEEEEPS6_NSA_18transform_iteratorINSB_9not_fun_tI7is_trueIjEEESF_NSA_11use_defaultESM_EENS0_5tupleIJSF_S6_EEENSO_IJSG_SG_EEES6_PlJS6_EEE10hipError_tPvRmT3_T4_T5_T6_T7_T9_mT8_P12ihipStream_tbDpT10_ENKUlT_T0_E_clISt17integral_constantIbLb0EES1A_IbLb1EEEEDaS16_S17_EUlS16_E_NS1_11comp_targetILNS1_3genE9ELNS1_11target_archE1100ELNS1_3gpuE3ELNS1_3repE0EEENS1_30default_config_static_selectorELNS0_4arch9wavefront6targetE0EEEvT1_
    .private_segment_fixed_size: 0
    .sgpr_count:     0
    .sgpr_spill_count: 0
    .symbol:         _ZN7rocprim17ROCPRIM_400000_NS6detail17trampoline_kernelINS0_14default_configENS1_25partition_config_selectorILNS1_17partition_subalgoE5EjNS0_10empty_typeEbEEZZNS1_14partition_implILS5_5ELb0ES3_mN6thrust23THRUST_200600_302600_NS6detail15normal_iteratorINSA_10device_ptrIjEEEEPS6_NSA_18transform_iteratorINSB_9not_fun_tI7is_trueIjEEESF_NSA_11use_defaultESM_EENS0_5tupleIJSF_S6_EEENSO_IJSG_SG_EEES6_PlJS6_EEE10hipError_tPvRmT3_T4_T5_T6_T7_T9_mT8_P12ihipStream_tbDpT10_ENKUlT_T0_E_clISt17integral_constantIbLb0EES1A_IbLb1EEEEDaS16_S17_EUlS16_E_NS1_11comp_targetILNS1_3genE9ELNS1_11target_archE1100ELNS1_3gpuE3ELNS1_3repE0EEENS1_30default_config_static_selectorELNS0_4arch9wavefront6targetE0EEEvT1_.kd
    .uniform_work_group_size: 1
    .uses_dynamic_stack: false
    .vgpr_count:     0
    .vgpr_spill_count: 0
    .wavefront_size: 32
    .workgroup_processor_mode: 1
  - .args:
      - .offset:         0
        .size:           136
        .value_kind:     by_value
    .group_segment_fixed_size: 0
    .kernarg_segment_align: 8
    .kernarg_segment_size: 136
    .language:       OpenCL C
    .language_version:
      - 2
      - 0
    .max_flat_workgroup_size: 512
    .name:           _ZN7rocprim17ROCPRIM_400000_NS6detail17trampoline_kernelINS0_14default_configENS1_25partition_config_selectorILNS1_17partition_subalgoE5EjNS0_10empty_typeEbEEZZNS1_14partition_implILS5_5ELb0ES3_mN6thrust23THRUST_200600_302600_NS6detail15normal_iteratorINSA_10device_ptrIjEEEEPS6_NSA_18transform_iteratorINSB_9not_fun_tI7is_trueIjEEESF_NSA_11use_defaultESM_EENS0_5tupleIJSF_S6_EEENSO_IJSG_SG_EEES6_PlJS6_EEE10hipError_tPvRmT3_T4_T5_T6_T7_T9_mT8_P12ihipStream_tbDpT10_ENKUlT_T0_E_clISt17integral_constantIbLb0EES1A_IbLb1EEEEDaS16_S17_EUlS16_E_NS1_11comp_targetILNS1_3genE8ELNS1_11target_archE1030ELNS1_3gpuE2ELNS1_3repE0EEENS1_30default_config_static_selectorELNS0_4arch9wavefront6targetE0EEEvT1_
    .private_segment_fixed_size: 0
    .sgpr_count:     0
    .sgpr_spill_count: 0
    .symbol:         _ZN7rocprim17ROCPRIM_400000_NS6detail17trampoline_kernelINS0_14default_configENS1_25partition_config_selectorILNS1_17partition_subalgoE5EjNS0_10empty_typeEbEEZZNS1_14partition_implILS5_5ELb0ES3_mN6thrust23THRUST_200600_302600_NS6detail15normal_iteratorINSA_10device_ptrIjEEEEPS6_NSA_18transform_iteratorINSB_9not_fun_tI7is_trueIjEEESF_NSA_11use_defaultESM_EENS0_5tupleIJSF_S6_EEENSO_IJSG_SG_EEES6_PlJS6_EEE10hipError_tPvRmT3_T4_T5_T6_T7_T9_mT8_P12ihipStream_tbDpT10_ENKUlT_T0_E_clISt17integral_constantIbLb0EES1A_IbLb1EEEEDaS16_S17_EUlS16_E_NS1_11comp_targetILNS1_3genE8ELNS1_11target_archE1030ELNS1_3gpuE2ELNS1_3repE0EEENS1_30default_config_static_selectorELNS0_4arch9wavefront6targetE0EEEvT1_.kd
    .uniform_work_group_size: 1
    .uses_dynamic_stack: false
    .vgpr_count:     0
    .vgpr_spill_count: 0
    .wavefront_size: 32
    .workgroup_processor_mode: 1
  - .args:
      - .offset:         0
        .size:           24
        .value_kind:     by_value
      - .offset:         24
        .size:           8
        .value_kind:     by_value
      - .offset:         32
        .size:           8
        .value_kind:     by_value
    .group_segment_fixed_size: 0
    .kernarg_segment_align: 8
    .kernarg_segment_size: 40
    .language:       OpenCL C
    .language_version:
      - 2
      - 0
    .max_flat_workgroup_size: 256
    .name:           _ZN6thrust23THRUST_200600_302600_NS11hip_rocprim14__parallel_for6kernelILj256ENS1_11__transform17unary_transform_fINS0_7pointerIbNS1_3tagENS0_11use_defaultES8_EENS0_10device_ptrItEENS4_14no_stencil_tagENS0_8identityIbEENS4_21always_true_predicateEEElLj1EEEvT0_T1_SI_
    .private_segment_fixed_size: 0
    .sgpr_count:     14
    .sgpr_spill_count: 0
    .symbol:         _ZN6thrust23THRUST_200600_302600_NS11hip_rocprim14__parallel_for6kernelILj256ENS1_11__transform17unary_transform_fINS0_7pointerIbNS1_3tagENS0_11use_defaultES8_EENS0_10device_ptrItEENS4_14no_stencil_tagENS0_8identityIbEENS4_21always_true_predicateEEElLj1EEEvT0_T1_SI_.kd
    .uniform_work_group_size: 1
    .uses_dynamic_stack: false
    .vgpr_count:     5
    .vgpr_spill_count: 0
    .wavefront_size: 32
    .workgroup_processor_mode: 1
  - .args:
      - .offset:         0
        .size:           120
        .value_kind:     by_value
    .group_segment_fixed_size: 0
    .kernarg_segment_align: 8
    .kernarg_segment_size: 120
    .language:       OpenCL C
    .language_version:
      - 2
      - 0
    .max_flat_workgroup_size: 256
    .name:           _ZN7rocprim17ROCPRIM_400000_NS6detail17trampoline_kernelINS0_14default_configENS1_25partition_config_selectorILNS1_17partition_subalgoE5EtNS0_10empty_typeEbEEZZNS1_14partition_implILS5_5ELb0ES3_mN6thrust23THRUST_200600_302600_NS6detail15normal_iteratorINSA_10device_ptrItEEEEPS6_NSA_18transform_iteratorINSB_9not_fun_tI7is_trueItEEESF_NSA_11use_defaultESM_EENS0_5tupleIJSF_S6_EEENSO_IJSG_SG_EEES6_PlJS6_EEE10hipError_tPvRmT3_T4_T5_T6_T7_T9_mT8_P12ihipStream_tbDpT10_ENKUlT_T0_E_clISt17integral_constantIbLb0EES1B_EEDaS16_S17_EUlS16_E_NS1_11comp_targetILNS1_3genE0ELNS1_11target_archE4294967295ELNS1_3gpuE0ELNS1_3repE0EEENS1_30default_config_static_selectorELNS0_4arch9wavefront6targetE0EEEvT1_
    .private_segment_fixed_size: 0
    .sgpr_count:     0
    .sgpr_spill_count: 0
    .symbol:         _ZN7rocprim17ROCPRIM_400000_NS6detail17trampoline_kernelINS0_14default_configENS1_25partition_config_selectorILNS1_17partition_subalgoE5EtNS0_10empty_typeEbEEZZNS1_14partition_implILS5_5ELb0ES3_mN6thrust23THRUST_200600_302600_NS6detail15normal_iteratorINSA_10device_ptrItEEEEPS6_NSA_18transform_iteratorINSB_9not_fun_tI7is_trueItEEESF_NSA_11use_defaultESM_EENS0_5tupleIJSF_S6_EEENSO_IJSG_SG_EEES6_PlJS6_EEE10hipError_tPvRmT3_T4_T5_T6_T7_T9_mT8_P12ihipStream_tbDpT10_ENKUlT_T0_E_clISt17integral_constantIbLb0EES1B_EEDaS16_S17_EUlS16_E_NS1_11comp_targetILNS1_3genE0ELNS1_11target_archE4294967295ELNS1_3gpuE0ELNS1_3repE0EEENS1_30default_config_static_selectorELNS0_4arch9wavefront6targetE0EEEvT1_.kd
    .uniform_work_group_size: 1
    .uses_dynamic_stack: false
    .vgpr_count:     0
    .vgpr_spill_count: 0
    .wavefront_size: 32
    .workgroup_processor_mode: 1
  - .args:
      - .offset:         0
        .size:           120
        .value_kind:     by_value
    .group_segment_fixed_size: 0
    .kernarg_segment_align: 8
    .kernarg_segment_size: 120
    .language:       OpenCL C
    .language_version:
      - 2
      - 0
    .max_flat_workgroup_size: 512
    .name:           _ZN7rocprim17ROCPRIM_400000_NS6detail17trampoline_kernelINS0_14default_configENS1_25partition_config_selectorILNS1_17partition_subalgoE5EtNS0_10empty_typeEbEEZZNS1_14partition_implILS5_5ELb0ES3_mN6thrust23THRUST_200600_302600_NS6detail15normal_iteratorINSA_10device_ptrItEEEEPS6_NSA_18transform_iteratorINSB_9not_fun_tI7is_trueItEEESF_NSA_11use_defaultESM_EENS0_5tupleIJSF_S6_EEENSO_IJSG_SG_EEES6_PlJS6_EEE10hipError_tPvRmT3_T4_T5_T6_T7_T9_mT8_P12ihipStream_tbDpT10_ENKUlT_T0_E_clISt17integral_constantIbLb0EES1B_EEDaS16_S17_EUlS16_E_NS1_11comp_targetILNS1_3genE5ELNS1_11target_archE942ELNS1_3gpuE9ELNS1_3repE0EEENS1_30default_config_static_selectorELNS0_4arch9wavefront6targetE0EEEvT1_
    .private_segment_fixed_size: 0
    .sgpr_count:     0
    .sgpr_spill_count: 0
    .symbol:         _ZN7rocprim17ROCPRIM_400000_NS6detail17trampoline_kernelINS0_14default_configENS1_25partition_config_selectorILNS1_17partition_subalgoE5EtNS0_10empty_typeEbEEZZNS1_14partition_implILS5_5ELb0ES3_mN6thrust23THRUST_200600_302600_NS6detail15normal_iteratorINSA_10device_ptrItEEEEPS6_NSA_18transform_iteratorINSB_9not_fun_tI7is_trueItEEESF_NSA_11use_defaultESM_EENS0_5tupleIJSF_S6_EEENSO_IJSG_SG_EEES6_PlJS6_EEE10hipError_tPvRmT3_T4_T5_T6_T7_T9_mT8_P12ihipStream_tbDpT10_ENKUlT_T0_E_clISt17integral_constantIbLb0EES1B_EEDaS16_S17_EUlS16_E_NS1_11comp_targetILNS1_3genE5ELNS1_11target_archE942ELNS1_3gpuE9ELNS1_3repE0EEENS1_30default_config_static_selectorELNS0_4arch9wavefront6targetE0EEEvT1_.kd
    .uniform_work_group_size: 1
    .uses_dynamic_stack: false
    .vgpr_count:     0
    .vgpr_spill_count: 0
    .wavefront_size: 32
    .workgroup_processor_mode: 1
  - .args:
      - .offset:         0
        .size:           120
        .value_kind:     by_value
    .group_segment_fixed_size: 0
    .kernarg_segment_align: 8
    .kernarg_segment_size: 120
    .language:       OpenCL C
    .language_version:
      - 2
      - 0
    .max_flat_workgroup_size: 256
    .name:           _ZN7rocprim17ROCPRIM_400000_NS6detail17trampoline_kernelINS0_14default_configENS1_25partition_config_selectorILNS1_17partition_subalgoE5EtNS0_10empty_typeEbEEZZNS1_14partition_implILS5_5ELb0ES3_mN6thrust23THRUST_200600_302600_NS6detail15normal_iteratorINSA_10device_ptrItEEEEPS6_NSA_18transform_iteratorINSB_9not_fun_tI7is_trueItEEESF_NSA_11use_defaultESM_EENS0_5tupleIJSF_S6_EEENSO_IJSG_SG_EEES6_PlJS6_EEE10hipError_tPvRmT3_T4_T5_T6_T7_T9_mT8_P12ihipStream_tbDpT10_ENKUlT_T0_E_clISt17integral_constantIbLb0EES1B_EEDaS16_S17_EUlS16_E_NS1_11comp_targetILNS1_3genE4ELNS1_11target_archE910ELNS1_3gpuE8ELNS1_3repE0EEENS1_30default_config_static_selectorELNS0_4arch9wavefront6targetE0EEEvT1_
    .private_segment_fixed_size: 0
    .sgpr_count:     0
    .sgpr_spill_count: 0
    .symbol:         _ZN7rocprim17ROCPRIM_400000_NS6detail17trampoline_kernelINS0_14default_configENS1_25partition_config_selectorILNS1_17partition_subalgoE5EtNS0_10empty_typeEbEEZZNS1_14partition_implILS5_5ELb0ES3_mN6thrust23THRUST_200600_302600_NS6detail15normal_iteratorINSA_10device_ptrItEEEEPS6_NSA_18transform_iteratorINSB_9not_fun_tI7is_trueItEEESF_NSA_11use_defaultESM_EENS0_5tupleIJSF_S6_EEENSO_IJSG_SG_EEES6_PlJS6_EEE10hipError_tPvRmT3_T4_T5_T6_T7_T9_mT8_P12ihipStream_tbDpT10_ENKUlT_T0_E_clISt17integral_constantIbLb0EES1B_EEDaS16_S17_EUlS16_E_NS1_11comp_targetILNS1_3genE4ELNS1_11target_archE910ELNS1_3gpuE8ELNS1_3repE0EEENS1_30default_config_static_selectorELNS0_4arch9wavefront6targetE0EEEvT1_.kd
    .uniform_work_group_size: 1
    .uses_dynamic_stack: false
    .vgpr_count:     0
    .vgpr_spill_count: 0
    .wavefront_size: 32
    .workgroup_processor_mode: 1
  - .args:
      - .offset:         0
        .size:           120
        .value_kind:     by_value
    .group_segment_fixed_size: 0
    .kernarg_segment_align: 8
    .kernarg_segment_size: 120
    .language:       OpenCL C
    .language_version:
      - 2
      - 0
    .max_flat_workgroup_size: 256
    .name:           _ZN7rocprim17ROCPRIM_400000_NS6detail17trampoline_kernelINS0_14default_configENS1_25partition_config_selectorILNS1_17partition_subalgoE5EtNS0_10empty_typeEbEEZZNS1_14partition_implILS5_5ELb0ES3_mN6thrust23THRUST_200600_302600_NS6detail15normal_iteratorINSA_10device_ptrItEEEEPS6_NSA_18transform_iteratorINSB_9not_fun_tI7is_trueItEEESF_NSA_11use_defaultESM_EENS0_5tupleIJSF_S6_EEENSO_IJSG_SG_EEES6_PlJS6_EEE10hipError_tPvRmT3_T4_T5_T6_T7_T9_mT8_P12ihipStream_tbDpT10_ENKUlT_T0_E_clISt17integral_constantIbLb0EES1B_EEDaS16_S17_EUlS16_E_NS1_11comp_targetILNS1_3genE3ELNS1_11target_archE908ELNS1_3gpuE7ELNS1_3repE0EEENS1_30default_config_static_selectorELNS0_4arch9wavefront6targetE0EEEvT1_
    .private_segment_fixed_size: 0
    .sgpr_count:     0
    .sgpr_spill_count: 0
    .symbol:         _ZN7rocprim17ROCPRIM_400000_NS6detail17trampoline_kernelINS0_14default_configENS1_25partition_config_selectorILNS1_17partition_subalgoE5EtNS0_10empty_typeEbEEZZNS1_14partition_implILS5_5ELb0ES3_mN6thrust23THRUST_200600_302600_NS6detail15normal_iteratorINSA_10device_ptrItEEEEPS6_NSA_18transform_iteratorINSB_9not_fun_tI7is_trueItEEESF_NSA_11use_defaultESM_EENS0_5tupleIJSF_S6_EEENSO_IJSG_SG_EEES6_PlJS6_EEE10hipError_tPvRmT3_T4_T5_T6_T7_T9_mT8_P12ihipStream_tbDpT10_ENKUlT_T0_E_clISt17integral_constantIbLb0EES1B_EEDaS16_S17_EUlS16_E_NS1_11comp_targetILNS1_3genE3ELNS1_11target_archE908ELNS1_3gpuE7ELNS1_3repE0EEENS1_30default_config_static_selectorELNS0_4arch9wavefront6targetE0EEEvT1_.kd
    .uniform_work_group_size: 1
    .uses_dynamic_stack: false
    .vgpr_count:     0
    .vgpr_spill_count: 0
    .wavefront_size: 32
    .workgroup_processor_mode: 1
  - .args:
      - .offset:         0
        .size:           120
        .value_kind:     by_value
    .group_segment_fixed_size: 0
    .kernarg_segment_align: 8
    .kernarg_segment_size: 120
    .language:       OpenCL C
    .language_version:
      - 2
      - 0
    .max_flat_workgroup_size: 256
    .name:           _ZN7rocprim17ROCPRIM_400000_NS6detail17trampoline_kernelINS0_14default_configENS1_25partition_config_selectorILNS1_17partition_subalgoE5EtNS0_10empty_typeEbEEZZNS1_14partition_implILS5_5ELb0ES3_mN6thrust23THRUST_200600_302600_NS6detail15normal_iteratorINSA_10device_ptrItEEEEPS6_NSA_18transform_iteratorINSB_9not_fun_tI7is_trueItEEESF_NSA_11use_defaultESM_EENS0_5tupleIJSF_S6_EEENSO_IJSG_SG_EEES6_PlJS6_EEE10hipError_tPvRmT3_T4_T5_T6_T7_T9_mT8_P12ihipStream_tbDpT10_ENKUlT_T0_E_clISt17integral_constantIbLb0EES1B_EEDaS16_S17_EUlS16_E_NS1_11comp_targetILNS1_3genE2ELNS1_11target_archE906ELNS1_3gpuE6ELNS1_3repE0EEENS1_30default_config_static_selectorELNS0_4arch9wavefront6targetE0EEEvT1_
    .private_segment_fixed_size: 0
    .sgpr_count:     0
    .sgpr_spill_count: 0
    .symbol:         _ZN7rocprim17ROCPRIM_400000_NS6detail17trampoline_kernelINS0_14default_configENS1_25partition_config_selectorILNS1_17partition_subalgoE5EtNS0_10empty_typeEbEEZZNS1_14partition_implILS5_5ELb0ES3_mN6thrust23THRUST_200600_302600_NS6detail15normal_iteratorINSA_10device_ptrItEEEEPS6_NSA_18transform_iteratorINSB_9not_fun_tI7is_trueItEEESF_NSA_11use_defaultESM_EENS0_5tupleIJSF_S6_EEENSO_IJSG_SG_EEES6_PlJS6_EEE10hipError_tPvRmT3_T4_T5_T6_T7_T9_mT8_P12ihipStream_tbDpT10_ENKUlT_T0_E_clISt17integral_constantIbLb0EES1B_EEDaS16_S17_EUlS16_E_NS1_11comp_targetILNS1_3genE2ELNS1_11target_archE906ELNS1_3gpuE6ELNS1_3repE0EEENS1_30default_config_static_selectorELNS0_4arch9wavefront6targetE0EEEvT1_.kd
    .uniform_work_group_size: 1
    .uses_dynamic_stack: false
    .vgpr_count:     0
    .vgpr_spill_count: 0
    .wavefront_size: 32
    .workgroup_processor_mode: 1
  - .args:
      - .offset:         0
        .size:           120
        .value_kind:     by_value
    .group_segment_fixed_size: 6160
    .kernarg_segment_align: 8
    .kernarg_segment_size: 120
    .language:       OpenCL C
    .language_version:
      - 2
      - 0
    .max_flat_workgroup_size: 256
    .name:           _ZN7rocprim17ROCPRIM_400000_NS6detail17trampoline_kernelINS0_14default_configENS1_25partition_config_selectorILNS1_17partition_subalgoE5EtNS0_10empty_typeEbEEZZNS1_14partition_implILS5_5ELb0ES3_mN6thrust23THRUST_200600_302600_NS6detail15normal_iteratorINSA_10device_ptrItEEEEPS6_NSA_18transform_iteratorINSB_9not_fun_tI7is_trueItEEESF_NSA_11use_defaultESM_EENS0_5tupleIJSF_S6_EEENSO_IJSG_SG_EEES6_PlJS6_EEE10hipError_tPvRmT3_T4_T5_T6_T7_T9_mT8_P12ihipStream_tbDpT10_ENKUlT_T0_E_clISt17integral_constantIbLb0EES1B_EEDaS16_S17_EUlS16_E_NS1_11comp_targetILNS1_3genE10ELNS1_11target_archE1200ELNS1_3gpuE4ELNS1_3repE0EEENS1_30default_config_static_selectorELNS0_4arch9wavefront6targetE0EEEvT1_
    .private_segment_fixed_size: 0
    .sgpr_count:     24
    .sgpr_spill_count: 0
    .symbol:         _ZN7rocprim17ROCPRIM_400000_NS6detail17trampoline_kernelINS0_14default_configENS1_25partition_config_selectorILNS1_17partition_subalgoE5EtNS0_10empty_typeEbEEZZNS1_14partition_implILS5_5ELb0ES3_mN6thrust23THRUST_200600_302600_NS6detail15normal_iteratorINSA_10device_ptrItEEEEPS6_NSA_18transform_iteratorINSB_9not_fun_tI7is_trueItEEESF_NSA_11use_defaultESM_EENS0_5tupleIJSF_S6_EEENSO_IJSG_SG_EEES6_PlJS6_EEE10hipError_tPvRmT3_T4_T5_T6_T7_T9_mT8_P12ihipStream_tbDpT10_ENKUlT_T0_E_clISt17integral_constantIbLb0EES1B_EEDaS16_S17_EUlS16_E_NS1_11comp_targetILNS1_3genE10ELNS1_11target_archE1200ELNS1_3gpuE4ELNS1_3repE0EEENS1_30default_config_static_selectorELNS0_4arch9wavefront6targetE0EEEvT1_.kd
    .uniform_work_group_size: 1
    .uses_dynamic_stack: false
    .vgpr_count:     63
    .vgpr_spill_count: 0
    .wavefront_size: 32
    .workgroup_processor_mode: 1
  - .args:
      - .offset:         0
        .size:           120
        .value_kind:     by_value
    .group_segment_fixed_size: 0
    .kernarg_segment_align: 8
    .kernarg_segment_size: 120
    .language:       OpenCL C
    .language_version:
      - 2
      - 0
    .max_flat_workgroup_size: 128
    .name:           _ZN7rocprim17ROCPRIM_400000_NS6detail17trampoline_kernelINS0_14default_configENS1_25partition_config_selectorILNS1_17partition_subalgoE5EtNS0_10empty_typeEbEEZZNS1_14partition_implILS5_5ELb0ES3_mN6thrust23THRUST_200600_302600_NS6detail15normal_iteratorINSA_10device_ptrItEEEEPS6_NSA_18transform_iteratorINSB_9not_fun_tI7is_trueItEEESF_NSA_11use_defaultESM_EENS0_5tupleIJSF_S6_EEENSO_IJSG_SG_EEES6_PlJS6_EEE10hipError_tPvRmT3_T4_T5_T6_T7_T9_mT8_P12ihipStream_tbDpT10_ENKUlT_T0_E_clISt17integral_constantIbLb0EES1B_EEDaS16_S17_EUlS16_E_NS1_11comp_targetILNS1_3genE9ELNS1_11target_archE1100ELNS1_3gpuE3ELNS1_3repE0EEENS1_30default_config_static_selectorELNS0_4arch9wavefront6targetE0EEEvT1_
    .private_segment_fixed_size: 0
    .sgpr_count:     0
    .sgpr_spill_count: 0
    .symbol:         _ZN7rocprim17ROCPRIM_400000_NS6detail17trampoline_kernelINS0_14default_configENS1_25partition_config_selectorILNS1_17partition_subalgoE5EtNS0_10empty_typeEbEEZZNS1_14partition_implILS5_5ELb0ES3_mN6thrust23THRUST_200600_302600_NS6detail15normal_iteratorINSA_10device_ptrItEEEEPS6_NSA_18transform_iteratorINSB_9not_fun_tI7is_trueItEEESF_NSA_11use_defaultESM_EENS0_5tupleIJSF_S6_EEENSO_IJSG_SG_EEES6_PlJS6_EEE10hipError_tPvRmT3_T4_T5_T6_T7_T9_mT8_P12ihipStream_tbDpT10_ENKUlT_T0_E_clISt17integral_constantIbLb0EES1B_EEDaS16_S17_EUlS16_E_NS1_11comp_targetILNS1_3genE9ELNS1_11target_archE1100ELNS1_3gpuE3ELNS1_3repE0EEENS1_30default_config_static_selectorELNS0_4arch9wavefront6targetE0EEEvT1_.kd
    .uniform_work_group_size: 1
    .uses_dynamic_stack: false
    .vgpr_count:     0
    .vgpr_spill_count: 0
    .wavefront_size: 32
    .workgroup_processor_mode: 1
  - .args:
      - .offset:         0
        .size:           120
        .value_kind:     by_value
    .group_segment_fixed_size: 0
    .kernarg_segment_align: 8
    .kernarg_segment_size: 120
    .language:       OpenCL C
    .language_version:
      - 2
      - 0
    .max_flat_workgroup_size: 256
    .name:           _ZN7rocprim17ROCPRIM_400000_NS6detail17trampoline_kernelINS0_14default_configENS1_25partition_config_selectorILNS1_17partition_subalgoE5EtNS0_10empty_typeEbEEZZNS1_14partition_implILS5_5ELb0ES3_mN6thrust23THRUST_200600_302600_NS6detail15normal_iteratorINSA_10device_ptrItEEEEPS6_NSA_18transform_iteratorINSB_9not_fun_tI7is_trueItEEESF_NSA_11use_defaultESM_EENS0_5tupleIJSF_S6_EEENSO_IJSG_SG_EEES6_PlJS6_EEE10hipError_tPvRmT3_T4_T5_T6_T7_T9_mT8_P12ihipStream_tbDpT10_ENKUlT_T0_E_clISt17integral_constantIbLb0EES1B_EEDaS16_S17_EUlS16_E_NS1_11comp_targetILNS1_3genE8ELNS1_11target_archE1030ELNS1_3gpuE2ELNS1_3repE0EEENS1_30default_config_static_selectorELNS0_4arch9wavefront6targetE0EEEvT1_
    .private_segment_fixed_size: 0
    .sgpr_count:     0
    .sgpr_spill_count: 0
    .symbol:         _ZN7rocprim17ROCPRIM_400000_NS6detail17trampoline_kernelINS0_14default_configENS1_25partition_config_selectorILNS1_17partition_subalgoE5EtNS0_10empty_typeEbEEZZNS1_14partition_implILS5_5ELb0ES3_mN6thrust23THRUST_200600_302600_NS6detail15normal_iteratorINSA_10device_ptrItEEEEPS6_NSA_18transform_iteratorINSB_9not_fun_tI7is_trueItEEESF_NSA_11use_defaultESM_EENS0_5tupleIJSF_S6_EEENSO_IJSG_SG_EEES6_PlJS6_EEE10hipError_tPvRmT3_T4_T5_T6_T7_T9_mT8_P12ihipStream_tbDpT10_ENKUlT_T0_E_clISt17integral_constantIbLb0EES1B_EEDaS16_S17_EUlS16_E_NS1_11comp_targetILNS1_3genE8ELNS1_11target_archE1030ELNS1_3gpuE2ELNS1_3repE0EEENS1_30default_config_static_selectorELNS0_4arch9wavefront6targetE0EEEvT1_.kd
    .uniform_work_group_size: 1
    .uses_dynamic_stack: false
    .vgpr_count:     0
    .vgpr_spill_count: 0
    .wavefront_size: 32
    .workgroup_processor_mode: 1
  - .args:
      - .offset:         0
        .size:           136
        .value_kind:     by_value
    .group_segment_fixed_size: 0
    .kernarg_segment_align: 8
    .kernarg_segment_size: 136
    .language:       OpenCL C
    .language_version:
      - 2
      - 0
    .max_flat_workgroup_size: 256
    .name:           _ZN7rocprim17ROCPRIM_400000_NS6detail17trampoline_kernelINS0_14default_configENS1_25partition_config_selectorILNS1_17partition_subalgoE5EtNS0_10empty_typeEbEEZZNS1_14partition_implILS5_5ELb0ES3_mN6thrust23THRUST_200600_302600_NS6detail15normal_iteratorINSA_10device_ptrItEEEEPS6_NSA_18transform_iteratorINSB_9not_fun_tI7is_trueItEEESF_NSA_11use_defaultESM_EENS0_5tupleIJSF_S6_EEENSO_IJSG_SG_EEES6_PlJS6_EEE10hipError_tPvRmT3_T4_T5_T6_T7_T9_mT8_P12ihipStream_tbDpT10_ENKUlT_T0_E_clISt17integral_constantIbLb1EES1B_EEDaS16_S17_EUlS16_E_NS1_11comp_targetILNS1_3genE0ELNS1_11target_archE4294967295ELNS1_3gpuE0ELNS1_3repE0EEENS1_30default_config_static_selectorELNS0_4arch9wavefront6targetE0EEEvT1_
    .private_segment_fixed_size: 0
    .sgpr_count:     0
    .sgpr_spill_count: 0
    .symbol:         _ZN7rocprim17ROCPRIM_400000_NS6detail17trampoline_kernelINS0_14default_configENS1_25partition_config_selectorILNS1_17partition_subalgoE5EtNS0_10empty_typeEbEEZZNS1_14partition_implILS5_5ELb0ES3_mN6thrust23THRUST_200600_302600_NS6detail15normal_iteratorINSA_10device_ptrItEEEEPS6_NSA_18transform_iteratorINSB_9not_fun_tI7is_trueItEEESF_NSA_11use_defaultESM_EENS0_5tupleIJSF_S6_EEENSO_IJSG_SG_EEES6_PlJS6_EEE10hipError_tPvRmT3_T4_T5_T6_T7_T9_mT8_P12ihipStream_tbDpT10_ENKUlT_T0_E_clISt17integral_constantIbLb1EES1B_EEDaS16_S17_EUlS16_E_NS1_11comp_targetILNS1_3genE0ELNS1_11target_archE4294967295ELNS1_3gpuE0ELNS1_3repE0EEENS1_30default_config_static_selectorELNS0_4arch9wavefront6targetE0EEEvT1_.kd
    .uniform_work_group_size: 1
    .uses_dynamic_stack: false
    .vgpr_count:     0
    .vgpr_spill_count: 0
    .wavefront_size: 32
    .workgroup_processor_mode: 1
  - .args:
      - .offset:         0
        .size:           136
        .value_kind:     by_value
    .group_segment_fixed_size: 0
    .kernarg_segment_align: 8
    .kernarg_segment_size: 136
    .language:       OpenCL C
    .language_version:
      - 2
      - 0
    .max_flat_workgroup_size: 512
    .name:           _ZN7rocprim17ROCPRIM_400000_NS6detail17trampoline_kernelINS0_14default_configENS1_25partition_config_selectorILNS1_17partition_subalgoE5EtNS0_10empty_typeEbEEZZNS1_14partition_implILS5_5ELb0ES3_mN6thrust23THRUST_200600_302600_NS6detail15normal_iteratorINSA_10device_ptrItEEEEPS6_NSA_18transform_iteratorINSB_9not_fun_tI7is_trueItEEESF_NSA_11use_defaultESM_EENS0_5tupleIJSF_S6_EEENSO_IJSG_SG_EEES6_PlJS6_EEE10hipError_tPvRmT3_T4_T5_T6_T7_T9_mT8_P12ihipStream_tbDpT10_ENKUlT_T0_E_clISt17integral_constantIbLb1EES1B_EEDaS16_S17_EUlS16_E_NS1_11comp_targetILNS1_3genE5ELNS1_11target_archE942ELNS1_3gpuE9ELNS1_3repE0EEENS1_30default_config_static_selectorELNS0_4arch9wavefront6targetE0EEEvT1_
    .private_segment_fixed_size: 0
    .sgpr_count:     0
    .sgpr_spill_count: 0
    .symbol:         _ZN7rocprim17ROCPRIM_400000_NS6detail17trampoline_kernelINS0_14default_configENS1_25partition_config_selectorILNS1_17partition_subalgoE5EtNS0_10empty_typeEbEEZZNS1_14partition_implILS5_5ELb0ES3_mN6thrust23THRUST_200600_302600_NS6detail15normal_iteratorINSA_10device_ptrItEEEEPS6_NSA_18transform_iteratorINSB_9not_fun_tI7is_trueItEEESF_NSA_11use_defaultESM_EENS0_5tupleIJSF_S6_EEENSO_IJSG_SG_EEES6_PlJS6_EEE10hipError_tPvRmT3_T4_T5_T6_T7_T9_mT8_P12ihipStream_tbDpT10_ENKUlT_T0_E_clISt17integral_constantIbLb1EES1B_EEDaS16_S17_EUlS16_E_NS1_11comp_targetILNS1_3genE5ELNS1_11target_archE942ELNS1_3gpuE9ELNS1_3repE0EEENS1_30default_config_static_selectorELNS0_4arch9wavefront6targetE0EEEvT1_.kd
    .uniform_work_group_size: 1
    .uses_dynamic_stack: false
    .vgpr_count:     0
    .vgpr_spill_count: 0
    .wavefront_size: 32
    .workgroup_processor_mode: 1
  - .args:
      - .offset:         0
        .size:           136
        .value_kind:     by_value
    .group_segment_fixed_size: 0
    .kernarg_segment_align: 8
    .kernarg_segment_size: 136
    .language:       OpenCL C
    .language_version:
      - 2
      - 0
    .max_flat_workgroup_size: 256
    .name:           _ZN7rocprim17ROCPRIM_400000_NS6detail17trampoline_kernelINS0_14default_configENS1_25partition_config_selectorILNS1_17partition_subalgoE5EtNS0_10empty_typeEbEEZZNS1_14partition_implILS5_5ELb0ES3_mN6thrust23THRUST_200600_302600_NS6detail15normal_iteratorINSA_10device_ptrItEEEEPS6_NSA_18transform_iteratorINSB_9not_fun_tI7is_trueItEEESF_NSA_11use_defaultESM_EENS0_5tupleIJSF_S6_EEENSO_IJSG_SG_EEES6_PlJS6_EEE10hipError_tPvRmT3_T4_T5_T6_T7_T9_mT8_P12ihipStream_tbDpT10_ENKUlT_T0_E_clISt17integral_constantIbLb1EES1B_EEDaS16_S17_EUlS16_E_NS1_11comp_targetILNS1_3genE4ELNS1_11target_archE910ELNS1_3gpuE8ELNS1_3repE0EEENS1_30default_config_static_selectorELNS0_4arch9wavefront6targetE0EEEvT1_
    .private_segment_fixed_size: 0
    .sgpr_count:     0
    .sgpr_spill_count: 0
    .symbol:         _ZN7rocprim17ROCPRIM_400000_NS6detail17trampoline_kernelINS0_14default_configENS1_25partition_config_selectorILNS1_17partition_subalgoE5EtNS0_10empty_typeEbEEZZNS1_14partition_implILS5_5ELb0ES3_mN6thrust23THRUST_200600_302600_NS6detail15normal_iteratorINSA_10device_ptrItEEEEPS6_NSA_18transform_iteratorINSB_9not_fun_tI7is_trueItEEESF_NSA_11use_defaultESM_EENS0_5tupleIJSF_S6_EEENSO_IJSG_SG_EEES6_PlJS6_EEE10hipError_tPvRmT3_T4_T5_T6_T7_T9_mT8_P12ihipStream_tbDpT10_ENKUlT_T0_E_clISt17integral_constantIbLb1EES1B_EEDaS16_S17_EUlS16_E_NS1_11comp_targetILNS1_3genE4ELNS1_11target_archE910ELNS1_3gpuE8ELNS1_3repE0EEENS1_30default_config_static_selectorELNS0_4arch9wavefront6targetE0EEEvT1_.kd
    .uniform_work_group_size: 1
    .uses_dynamic_stack: false
    .vgpr_count:     0
    .vgpr_spill_count: 0
    .wavefront_size: 32
    .workgroup_processor_mode: 1
  - .args:
      - .offset:         0
        .size:           136
        .value_kind:     by_value
    .group_segment_fixed_size: 0
    .kernarg_segment_align: 8
    .kernarg_segment_size: 136
    .language:       OpenCL C
    .language_version:
      - 2
      - 0
    .max_flat_workgroup_size: 256
    .name:           _ZN7rocprim17ROCPRIM_400000_NS6detail17trampoline_kernelINS0_14default_configENS1_25partition_config_selectorILNS1_17partition_subalgoE5EtNS0_10empty_typeEbEEZZNS1_14partition_implILS5_5ELb0ES3_mN6thrust23THRUST_200600_302600_NS6detail15normal_iteratorINSA_10device_ptrItEEEEPS6_NSA_18transform_iteratorINSB_9not_fun_tI7is_trueItEEESF_NSA_11use_defaultESM_EENS0_5tupleIJSF_S6_EEENSO_IJSG_SG_EEES6_PlJS6_EEE10hipError_tPvRmT3_T4_T5_T6_T7_T9_mT8_P12ihipStream_tbDpT10_ENKUlT_T0_E_clISt17integral_constantIbLb1EES1B_EEDaS16_S17_EUlS16_E_NS1_11comp_targetILNS1_3genE3ELNS1_11target_archE908ELNS1_3gpuE7ELNS1_3repE0EEENS1_30default_config_static_selectorELNS0_4arch9wavefront6targetE0EEEvT1_
    .private_segment_fixed_size: 0
    .sgpr_count:     0
    .sgpr_spill_count: 0
    .symbol:         _ZN7rocprim17ROCPRIM_400000_NS6detail17trampoline_kernelINS0_14default_configENS1_25partition_config_selectorILNS1_17partition_subalgoE5EtNS0_10empty_typeEbEEZZNS1_14partition_implILS5_5ELb0ES3_mN6thrust23THRUST_200600_302600_NS6detail15normal_iteratorINSA_10device_ptrItEEEEPS6_NSA_18transform_iteratorINSB_9not_fun_tI7is_trueItEEESF_NSA_11use_defaultESM_EENS0_5tupleIJSF_S6_EEENSO_IJSG_SG_EEES6_PlJS6_EEE10hipError_tPvRmT3_T4_T5_T6_T7_T9_mT8_P12ihipStream_tbDpT10_ENKUlT_T0_E_clISt17integral_constantIbLb1EES1B_EEDaS16_S17_EUlS16_E_NS1_11comp_targetILNS1_3genE3ELNS1_11target_archE908ELNS1_3gpuE7ELNS1_3repE0EEENS1_30default_config_static_selectorELNS0_4arch9wavefront6targetE0EEEvT1_.kd
    .uniform_work_group_size: 1
    .uses_dynamic_stack: false
    .vgpr_count:     0
    .vgpr_spill_count: 0
    .wavefront_size: 32
    .workgroup_processor_mode: 1
  - .args:
      - .offset:         0
        .size:           136
        .value_kind:     by_value
    .group_segment_fixed_size: 0
    .kernarg_segment_align: 8
    .kernarg_segment_size: 136
    .language:       OpenCL C
    .language_version:
      - 2
      - 0
    .max_flat_workgroup_size: 256
    .name:           _ZN7rocprim17ROCPRIM_400000_NS6detail17trampoline_kernelINS0_14default_configENS1_25partition_config_selectorILNS1_17partition_subalgoE5EtNS0_10empty_typeEbEEZZNS1_14partition_implILS5_5ELb0ES3_mN6thrust23THRUST_200600_302600_NS6detail15normal_iteratorINSA_10device_ptrItEEEEPS6_NSA_18transform_iteratorINSB_9not_fun_tI7is_trueItEEESF_NSA_11use_defaultESM_EENS0_5tupleIJSF_S6_EEENSO_IJSG_SG_EEES6_PlJS6_EEE10hipError_tPvRmT3_T4_T5_T6_T7_T9_mT8_P12ihipStream_tbDpT10_ENKUlT_T0_E_clISt17integral_constantIbLb1EES1B_EEDaS16_S17_EUlS16_E_NS1_11comp_targetILNS1_3genE2ELNS1_11target_archE906ELNS1_3gpuE6ELNS1_3repE0EEENS1_30default_config_static_selectorELNS0_4arch9wavefront6targetE0EEEvT1_
    .private_segment_fixed_size: 0
    .sgpr_count:     0
    .sgpr_spill_count: 0
    .symbol:         _ZN7rocprim17ROCPRIM_400000_NS6detail17trampoline_kernelINS0_14default_configENS1_25partition_config_selectorILNS1_17partition_subalgoE5EtNS0_10empty_typeEbEEZZNS1_14partition_implILS5_5ELb0ES3_mN6thrust23THRUST_200600_302600_NS6detail15normal_iteratorINSA_10device_ptrItEEEEPS6_NSA_18transform_iteratorINSB_9not_fun_tI7is_trueItEEESF_NSA_11use_defaultESM_EENS0_5tupleIJSF_S6_EEENSO_IJSG_SG_EEES6_PlJS6_EEE10hipError_tPvRmT3_T4_T5_T6_T7_T9_mT8_P12ihipStream_tbDpT10_ENKUlT_T0_E_clISt17integral_constantIbLb1EES1B_EEDaS16_S17_EUlS16_E_NS1_11comp_targetILNS1_3genE2ELNS1_11target_archE906ELNS1_3gpuE6ELNS1_3repE0EEENS1_30default_config_static_selectorELNS0_4arch9wavefront6targetE0EEEvT1_.kd
    .uniform_work_group_size: 1
    .uses_dynamic_stack: false
    .vgpr_count:     0
    .vgpr_spill_count: 0
    .wavefront_size: 32
    .workgroup_processor_mode: 1
  - .args:
      - .offset:         0
        .size:           136
        .value_kind:     by_value
    .group_segment_fixed_size: 0
    .kernarg_segment_align: 8
    .kernarg_segment_size: 136
    .language:       OpenCL C
    .language_version:
      - 2
      - 0
    .max_flat_workgroup_size: 256
    .name:           _ZN7rocprim17ROCPRIM_400000_NS6detail17trampoline_kernelINS0_14default_configENS1_25partition_config_selectorILNS1_17partition_subalgoE5EtNS0_10empty_typeEbEEZZNS1_14partition_implILS5_5ELb0ES3_mN6thrust23THRUST_200600_302600_NS6detail15normal_iteratorINSA_10device_ptrItEEEEPS6_NSA_18transform_iteratorINSB_9not_fun_tI7is_trueItEEESF_NSA_11use_defaultESM_EENS0_5tupleIJSF_S6_EEENSO_IJSG_SG_EEES6_PlJS6_EEE10hipError_tPvRmT3_T4_T5_T6_T7_T9_mT8_P12ihipStream_tbDpT10_ENKUlT_T0_E_clISt17integral_constantIbLb1EES1B_EEDaS16_S17_EUlS16_E_NS1_11comp_targetILNS1_3genE10ELNS1_11target_archE1200ELNS1_3gpuE4ELNS1_3repE0EEENS1_30default_config_static_selectorELNS0_4arch9wavefront6targetE0EEEvT1_
    .private_segment_fixed_size: 0
    .sgpr_count:     0
    .sgpr_spill_count: 0
    .symbol:         _ZN7rocprim17ROCPRIM_400000_NS6detail17trampoline_kernelINS0_14default_configENS1_25partition_config_selectorILNS1_17partition_subalgoE5EtNS0_10empty_typeEbEEZZNS1_14partition_implILS5_5ELb0ES3_mN6thrust23THRUST_200600_302600_NS6detail15normal_iteratorINSA_10device_ptrItEEEEPS6_NSA_18transform_iteratorINSB_9not_fun_tI7is_trueItEEESF_NSA_11use_defaultESM_EENS0_5tupleIJSF_S6_EEENSO_IJSG_SG_EEES6_PlJS6_EEE10hipError_tPvRmT3_T4_T5_T6_T7_T9_mT8_P12ihipStream_tbDpT10_ENKUlT_T0_E_clISt17integral_constantIbLb1EES1B_EEDaS16_S17_EUlS16_E_NS1_11comp_targetILNS1_3genE10ELNS1_11target_archE1200ELNS1_3gpuE4ELNS1_3repE0EEENS1_30default_config_static_selectorELNS0_4arch9wavefront6targetE0EEEvT1_.kd
    .uniform_work_group_size: 1
    .uses_dynamic_stack: false
    .vgpr_count:     0
    .vgpr_spill_count: 0
    .wavefront_size: 32
    .workgroup_processor_mode: 1
  - .args:
      - .offset:         0
        .size:           136
        .value_kind:     by_value
    .group_segment_fixed_size: 0
    .kernarg_segment_align: 8
    .kernarg_segment_size: 136
    .language:       OpenCL C
    .language_version:
      - 2
      - 0
    .max_flat_workgroup_size: 128
    .name:           _ZN7rocprim17ROCPRIM_400000_NS6detail17trampoline_kernelINS0_14default_configENS1_25partition_config_selectorILNS1_17partition_subalgoE5EtNS0_10empty_typeEbEEZZNS1_14partition_implILS5_5ELb0ES3_mN6thrust23THRUST_200600_302600_NS6detail15normal_iteratorINSA_10device_ptrItEEEEPS6_NSA_18transform_iteratorINSB_9not_fun_tI7is_trueItEEESF_NSA_11use_defaultESM_EENS0_5tupleIJSF_S6_EEENSO_IJSG_SG_EEES6_PlJS6_EEE10hipError_tPvRmT3_T4_T5_T6_T7_T9_mT8_P12ihipStream_tbDpT10_ENKUlT_T0_E_clISt17integral_constantIbLb1EES1B_EEDaS16_S17_EUlS16_E_NS1_11comp_targetILNS1_3genE9ELNS1_11target_archE1100ELNS1_3gpuE3ELNS1_3repE0EEENS1_30default_config_static_selectorELNS0_4arch9wavefront6targetE0EEEvT1_
    .private_segment_fixed_size: 0
    .sgpr_count:     0
    .sgpr_spill_count: 0
    .symbol:         _ZN7rocprim17ROCPRIM_400000_NS6detail17trampoline_kernelINS0_14default_configENS1_25partition_config_selectorILNS1_17partition_subalgoE5EtNS0_10empty_typeEbEEZZNS1_14partition_implILS5_5ELb0ES3_mN6thrust23THRUST_200600_302600_NS6detail15normal_iteratorINSA_10device_ptrItEEEEPS6_NSA_18transform_iteratorINSB_9not_fun_tI7is_trueItEEESF_NSA_11use_defaultESM_EENS0_5tupleIJSF_S6_EEENSO_IJSG_SG_EEES6_PlJS6_EEE10hipError_tPvRmT3_T4_T5_T6_T7_T9_mT8_P12ihipStream_tbDpT10_ENKUlT_T0_E_clISt17integral_constantIbLb1EES1B_EEDaS16_S17_EUlS16_E_NS1_11comp_targetILNS1_3genE9ELNS1_11target_archE1100ELNS1_3gpuE3ELNS1_3repE0EEENS1_30default_config_static_selectorELNS0_4arch9wavefront6targetE0EEEvT1_.kd
    .uniform_work_group_size: 1
    .uses_dynamic_stack: false
    .vgpr_count:     0
    .vgpr_spill_count: 0
    .wavefront_size: 32
    .workgroup_processor_mode: 1
  - .args:
      - .offset:         0
        .size:           136
        .value_kind:     by_value
    .group_segment_fixed_size: 0
    .kernarg_segment_align: 8
    .kernarg_segment_size: 136
    .language:       OpenCL C
    .language_version:
      - 2
      - 0
    .max_flat_workgroup_size: 256
    .name:           _ZN7rocprim17ROCPRIM_400000_NS6detail17trampoline_kernelINS0_14default_configENS1_25partition_config_selectorILNS1_17partition_subalgoE5EtNS0_10empty_typeEbEEZZNS1_14partition_implILS5_5ELb0ES3_mN6thrust23THRUST_200600_302600_NS6detail15normal_iteratorINSA_10device_ptrItEEEEPS6_NSA_18transform_iteratorINSB_9not_fun_tI7is_trueItEEESF_NSA_11use_defaultESM_EENS0_5tupleIJSF_S6_EEENSO_IJSG_SG_EEES6_PlJS6_EEE10hipError_tPvRmT3_T4_T5_T6_T7_T9_mT8_P12ihipStream_tbDpT10_ENKUlT_T0_E_clISt17integral_constantIbLb1EES1B_EEDaS16_S17_EUlS16_E_NS1_11comp_targetILNS1_3genE8ELNS1_11target_archE1030ELNS1_3gpuE2ELNS1_3repE0EEENS1_30default_config_static_selectorELNS0_4arch9wavefront6targetE0EEEvT1_
    .private_segment_fixed_size: 0
    .sgpr_count:     0
    .sgpr_spill_count: 0
    .symbol:         _ZN7rocprim17ROCPRIM_400000_NS6detail17trampoline_kernelINS0_14default_configENS1_25partition_config_selectorILNS1_17partition_subalgoE5EtNS0_10empty_typeEbEEZZNS1_14partition_implILS5_5ELb0ES3_mN6thrust23THRUST_200600_302600_NS6detail15normal_iteratorINSA_10device_ptrItEEEEPS6_NSA_18transform_iteratorINSB_9not_fun_tI7is_trueItEEESF_NSA_11use_defaultESM_EENS0_5tupleIJSF_S6_EEENSO_IJSG_SG_EEES6_PlJS6_EEE10hipError_tPvRmT3_T4_T5_T6_T7_T9_mT8_P12ihipStream_tbDpT10_ENKUlT_T0_E_clISt17integral_constantIbLb1EES1B_EEDaS16_S17_EUlS16_E_NS1_11comp_targetILNS1_3genE8ELNS1_11target_archE1030ELNS1_3gpuE2ELNS1_3repE0EEENS1_30default_config_static_selectorELNS0_4arch9wavefront6targetE0EEEvT1_.kd
    .uniform_work_group_size: 1
    .uses_dynamic_stack: false
    .vgpr_count:     0
    .vgpr_spill_count: 0
    .wavefront_size: 32
    .workgroup_processor_mode: 1
  - .args:
      - .offset:         0
        .size:           120
        .value_kind:     by_value
    .group_segment_fixed_size: 0
    .kernarg_segment_align: 8
    .kernarg_segment_size: 120
    .language:       OpenCL C
    .language_version:
      - 2
      - 0
    .max_flat_workgroup_size: 256
    .name:           _ZN7rocprim17ROCPRIM_400000_NS6detail17trampoline_kernelINS0_14default_configENS1_25partition_config_selectorILNS1_17partition_subalgoE5EtNS0_10empty_typeEbEEZZNS1_14partition_implILS5_5ELb0ES3_mN6thrust23THRUST_200600_302600_NS6detail15normal_iteratorINSA_10device_ptrItEEEEPS6_NSA_18transform_iteratorINSB_9not_fun_tI7is_trueItEEESF_NSA_11use_defaultESM_EENS0_5tupleIJSF_S6_EEENSO_IJSG_SG_EEES6_PlJS6_EEE10hipError_tPvRmT3_T4_T5_T6_T7_T9_mT8_P12ihipStream_tbDpT10_ENKUlT_T0_E_clISt17integral_constantIbLb1EES1A_IbLb0EEEEDaS16_S17_EUlS16_E_NS1_11comp_targetILNS1_3genE0ELNS1_11target_archE4294967295ELNS1_3gpuE0ELNS1_3repE0EEENS1_30default_config_static_selectorELNS0_4arch9wavefront6targetE0EEEvT1_
    .private_segment_fixed_size: 0
    .sgpr_count:     0
    .sgpr_spill_count: 0
    .symbol:         _ZN7rocprim17ROCPRIM_400000_NS6detail17trampoline_kernelINS0_14default_configENS1_25partition_config_selectorILNS1_17partition_subalgoE5EtNS0_10empty_typeEbEEZZNS1_14partition_implILS5_5ELb0ES3_mN6thrust23THRUST_200600_302600_NS6detail15normal_iteratorINSA_10device_ptrItEEEEPS6_NSA_18transform_iteratorINSB_9not_fun_tI7is_trueItEEESF_NSA_11use_defaultESM_EENS0_5tupleIJSF_S6_EEENSO_IJSG_SG_EEES6_PlJS6_EEE10hipError_tPvRmT3_T4_T5_T6_T7_T9_mT8_P12ihipStream_tbDpT10_ENKUlT_T0_E_clISt17integral_constantIbLb1EES1A_IbLb0EEEEDaS16_S17_EUlS16_E_NS1_11comp_targetILNS1_3genE0ELNS1_11target_archE4294967295ELNS1_3gpuE0ELNS1_3repE0EEENS1_30default_config_static_selectorELNS0_4arch9wavefront6targetE0EEEvT1_.kd
    .uniform_work_group_size: 1
    .uses_dynamic_stack: false
    .vgpr_count:     0
    .vgpr_spill_count: 0
    .wavefront_size: 32
    .workgroup_processor_mode: 1
  - .args:
      - .offset:         0
        .size:           120
        .value_kind:     by_value
    .group_segment_fixed_size: 0
    .kernarg_segment_align: 8
    .kernarg_segment_size: 120
    .language:       OpenCL C
    .language_version:
      - 2
      - 0
    .max_flat_workgroup_size: 512
    .name:           _ZN7rocprim17ROCPRIM_400000_NS6detail17trampoline_kernelINS0_14default_configENS1_25partition_config_selectorILNS1_17partition_subalgoE5EtNS0_10empty_typeEbEEZZNS1_14partition_implILS5_5ELb0ES3_mN6thrust23THRUST_200600_302600_NS6detail15normal_iteratorINSA_10device_ptrItEEEEPS6_NSA_18transform_iteratorINSB_9not_fun_tI7is_trueItEEESF_NSA_11use_defaultESM_EENS0_5tupleIJSF_S6_EEENSO_IJSG_SG_EEES6_PlJS6_EEE10hipError_tPvRmT3_T4_T5_T6_T7_T9_mT8_P12ihipStream_tbDpT10_ENKUlT_T0_E_clISt17integral_constantIbLb1EES1A_IbLb0EEEEDaS16_S17_EUlS16_E_NS1_11comp_targetILNS1_3genE5ELNS1_11target_archE942ELNS1_3gpuE9ELNS1_3repE0EEENS1_30default_config_static_selectorELNS0_4arch9wavefront6targetE0EEEvT1_
    .private_segment_fixed_size: 0
    .sgpr_count:     0
    .sgpr_spill_count: 0
    .symbol:         _ZN7rocprim17ROCPRIM_400000_NS6detail17trampoline_kernelINS0_14default_configENS1_25partition_config_selectorILNS1_17partition_subalgoE5EtNS0_10empty_typeEbEEZZNS1_14partition_implILS5_5ELb0ES3_mN6thrust23THRUST_200600_302600_NS6detail15normal_iteratorINSA_10device_ptrItEEEEPS6_NSA_18transform_iteratorINSB_9not_fun_tI7is_trueItEEESF_NSA_11use_defaultESM_EENS0_5tupleIJSF_S6_EEENSO_IJSG_SG_EEES6_PlJS6_EEE10hipError_tPvRmT3_T4_T5_T6_T7_T9_mT8_P12ihipStream_tbDpT10_ENKUlT_T0_E_clISt17integral_constantIbLb1EES1A_IbLb0EEEEDaS16_S17_EUlS16_E_NS1_11comp_targetILNS1_3genE5ELNS1_11target_archE942ELNS1_3gpuE9ELNS1_3repE0EEENS1_30default_config_static_selectorELNS0_4arch9wavefront6targetE0EEEvT1_.kd
    .uniform_work_group_size: 1
    .uses_dynamic_stack: false
    .vgpr_count:     0
    .vgpr_spill_count: 0
    .wavefront_size: 32
    .workgroup_processor_mode: 1
  - .args:
      - .offset:         0
        .size:           120
        .value_kind:     by_value
    .group_segment_fixed_size: 0
    .kernarg_segment_align: 8
    .kernarg_segment_size: 120
    .language:       OpenCL C
    .language_version:
      - 2
      - 0
    .max_flat_workgroup_size: 256
    .name:           _ZN7rocprim17ROCPRIM_400000_NS6detail17trampoline_kernelINS0_14default_configENS1_25partition_config_selectorILNS1_17partition_subalgoE5EtNS0_10empty_typeEbEEZZNS1_14partition_implILS5_5ELb0ES3_mN6thrust23THRUST_200600_302600_NS6detail15normal_iteratorINSA_10device_ptrItEEEEPS6_NSA_18transform_iteratorINSB_9not_fun_tI7is_trueItEEESF_NSA_11use_defaultESM_EENS0_5tupleIJSF_S6_EEENSO_IJSG_SG_EEES6_PlJS6_EEE10hipError_tPvRmT3_T4_T5_T6_T7_T9_mT8_P12ihipStream_tbDpT10_ENKUlT_T0_E_clISt17integral_constantIbLb1EES1A_IbLb0EEEEDaS16_S17_EUlS16_E_NS1_11comp_targetILNS1_3genE4ELNS1_11target_archE910ELNS1_3gpuE8ELNS1_3repE0EEENS1_30default_config_static_selectorELNS0_4arch9wavefront6targetE0EEEvT1_
    .private_segment_fixed_size: 0
    .sgpr_count:     0
    .sgpr_spill_count: 0
    .symbol:         _ZN7rocprim17ROCPRIM_400000_NS6detail17trampoline_kernelINS0_14default_configENS1_25partition_config_selectorILNS1_17partition_subalgoE5EtNS0_10empty_typeEbEEZZNS1_14partition_implILS5_5ELb0ES3_mN6thrust23THRUST_200600_302600_NS6detail15normal_iteratorINSA_10device_ptrItEEEEPS6_NSA_18transform_iteratorINSB_9not_fun_tI7is_trueItEEESF_NSA_11use_defaultESM_EENS0_5tupleIJSF_S6_EEENSO_IJSG_SG_EEES6_PlJS6_EEE10hipError_tPvRmT3_T4_T5_T6_T7_T9_mT8_P12ihipStream_tbDpT10_ENKUlT_T0_E_clISt17integral_constantIbLb1EES1A_IbLb0EEEEDaS16_S17_EUlS16_E_NS1_11comp_targetILNS1_3genE4ELNS1_11target_archE910ELNS1_3gpuE8ELNS1_3repE0EEENS1_30default_config_static_selectorELNS0_4arch9wavefront6targetE0EEEvT1_.kd
    .uniform_work_group_size: 1
    .uses_dynamic_stack: false
    .vgpr_count:     0
    .vgpr_spill_count: 0
    .wavefront_size: 32
    .workgroup_processor_mode: 1
  - .args:
      - .offset:         0
        .size:           120
        .value_kind:     by_value
    .group_segment_fixed_size: 0
    .kernarg_segment_align: 8
    .kernarg_segment_size: 120
    .language:       OpenCL C
    .language_version:
      - 2
      - 0
    .max_flat_workgroup_size: 256
    .name:           _ZN7rocprim17ROCPRIM_400000_NS6detail17trampoline_kernelINS0_14default_configENS1_25partition_config_selectorILNS1_17partition_subalgoE5EtNS0_10empty_typeEbEEZZNS1_14partition_implILS5_5ELb0ES3_mN6thrust23THRUST_200600_302600_NS6detail15normal_iteratorINSA_10device_ptrItEEEEPS6_NSA_18transform_iteratorINSB_9not_fun_tI7is_trueItEEESF_NSA_11use_defaultESM_EENS0_5tupleIJSF_S6_EEENSO_IJSG_SG_EEES6_PlJS6_EEE10hipError_tPvRmT3_T4_T5_T6_T7_T9_mT8_P12ihipStream_tbDpT10_ENKUlT_T0_E_clISt17integral_constantIbLb1EES1A_IbLb0EEEEDaS16_S17_EUlS16_E_NS1_11comp_targetILNS1_3genE3ELNS1_11target_archE908ELNS1_3gpuE7ELNS1_3repE0EEENS1_30default_config_static_selectorELNS0_4arch9wavefront6targetE0EEEvT1_
    .private_segment_fixed_size: 0
    .sgpr_count:     0
    .sgpr_spill_count: 0
    .symbol:         _ZN7rocprim17ROCPRIM_400000_NS6detail17trampoline_kernelINS0_14default_configENS1_25partition_config_selectorILNS1_17partition_subalgoE5EtNS0_10empty_typeEbEEZZNS1_14partition_implILS5_5ELb0ES3_mN6thrust23THRUST_200600_302600_NS6detail15normal_iteratorINSA_10device_ptrItEEEEPS6_NSA_18transform_iteratorINSB_9not_fun_tI7is_trueItEEESF_NSA_11use_defaultESM_EENS0_5tupleIJSF_S6_EEENSO_IJSG_SG_EEES6_PlJS6_EEE10hipError_tPvRmT3_T4_T5_T6_T7_T9_mT8_P12ihipStream_tbDpT10_ENKUlT_T0_E_clISt17integral_constantIbLb1EES1A_IbLb0EEEEDaS16_S17_EUlS16_E_NS1_11comp_targetILNS1_3genE3ELNS1_11target_archE908ELNS1_3gpuE7ELNS1_3repE0EEENS1_30default_config_static_selectorELNS0_4arch9wavefront6targetE0EEEvT1_.kd
    .uniform_work_group_size: 1
    .uses_dynamic_stack: false
    .vgpr_count:     0
    .vgpr_spill_count: 0
    .wavefront_size: 32
    .workgroup_processor_mode: 1
  - .args:
      - .offset:         0
        .size:           120
        .value_kind:     by_value
    .group_segment_fixed_size: 0
    .kernarg_segment_align: 8
    .kernarg_segment_size: 120
    .language:       OpenCL C
    .language_version:
      - 2
      - 0
    .max_flat_workgroup_size: 256
    .name:           _ZN7rocprim17ROCPRIM_400000_NS6detail17trampoline_kernelINS0_14default_configENS1_25partition_config_selectorILNS1_17partition_subalgoE5EtNS0_10empty_typeEbEEZZNS1_14partition_implILS5_5ELb0ES3_mN6thrust23THRUST_200600_302600_NS6detail15normal_iteratorINSA_10device_ptrItEEEEPS6_NSA_18transform_iteratorINSB_9not_fun_tI7is_trueItEEESF_NSA_11use_defaultESM_EENS0_5tupleIJSF_S6_EEENSO_IJSG_SG_EEES6_PlJS6_EEE10hipError_tPvRmT3_T4_T5_T6_T7_T9_mT8_P12ihipStream_tbDpT10_ENKUlT_T0_E_clISt17integral_constantIbLb1EES1A_IbLb0EEEEDaS16_S17_EUlS16_E_NS1_11comp_targetILNS1_3genE2ELNS1_11target_archE906ELNS1_3gpuE6ELNS1_3repE0EEENS1_30default_config_static_selectorELNS0_4arch9wavefront6targetE0EEEvT1_
    .private_segment_fixed_size: 0
    .sgpr_count:     0
    .sgpr_spill_count: 0
    .symbol:         _ZN7rocprim17ROCPRIM_400000_NS6detail17trampoline_kernelINS0_14default_configENS1_25partition_config_selectorILNS1_17partition_subalgoE5EtNS0_10empty_typeEbEEZZNS1_14partition_implILS5_5ELb0ES3_mN6thrust23THRUST_200600_302600_NS6detail15normal_iteratorINSA_10device_ptrItEEEEPS6_NSA_18transform_iteratorINSB_9not_fun_tI7is_trueItEEESF_NSA_11use_defaultESM_EENS0_5tupleIJSF_S6_EEENSO_IJSG_SG_EEES6_PlJS6_EEE10hipError_tPvRmT3_T4_T5_T6_T7_T9_mT8_P12ihipStream_tbDpT10_ENKUlT_T0_E_clISt17integral_constantIbLb1EES1A_IbLb0EEEEDaS16_S17_EUlS16_E_NS1_11comp_targetILNS1_3genE2ELNS1_11target_archE906ELNS1_3gpuE6ELNS1_3repE0EEENS1_30default_config_static_selectorELNS0_4arch9wavefront6targetE0EEEvT1_.kd
    .uniform_work_group_size: 1
    .uses_dynamic_stack: false
    .vgpr_count:     0
    .vgpr_spill_count: 0
    .wavefront_size: 32
    .workgroup_processor_mode: 1
  - .args:
      - .offset:         0
        .size:           120
        .value_kind:     by_value
    .group_segment_fixed_size: 0
    .kernarg_segment_align: 8
    .kernarg_segment_size: 120
    .language:       OpenCL C
    .language_version:
      - 2
      - 0
    .max_flat_workgroup_size: 256
    .name:           _ZN7rocprim17ROCPRIM_400000_NS6detail17trampoline_kernelINS0_14default_configENS1_25partition_config_selectorILNS1_17partition_subalgoE5EtNS0_10empty_typeEbEEZZNS1_14partition_implILS5_5ELb0ES3_mN6thrust23THRUST_200600_302600_NS6detail15normal_iteratorINSA_10device_ptrItEEEEPS6_NSA_18transform_iteratorINSB_9not_fun_tI7is_trueItEEESF_NSA_11use_defaultESM_EENS0_5tupleIJSF_S6_EEENSO_IJSG_SG_EEES6_PlJS6_EEE10hipError_tPvRmT3_T4_T5_T6_T7_T9_mT8_P12ihipStream_tbDpT10_ENKUlT_T0_E_clISt17integral_constantIbLb1EES1A_IbLb0EEEEDaS16_S17_EUlS16_E_NS1_11comp_targetILNS1_3genE10ELNS1_11target_archE1200ELNS1_3gpuE4ELNS1_3repE0EEENS1_30default_config_static_selectorELNS0_4arch9wavefront6targetE0EEEvT1_
    .private_segment_fixed_size: 0
    .sgpr_count:     0
    .sgpr_spill_count: 0
    .symbol:         _ZN7rocprim17ROCPRIM_400000_NS6detail17trampoline_kernelINS0_14default_configENS1_25partition_config_selectorILNS1_17partition_subalgoE5EtNS0_10empty_typeEbEEZZNS1_14partition_implILS5_5ELb0ES3_mN6thrust23THRUST_200600_302600_NS6detail15normal_iteratorINSA_10device_ptrItEEEEPS6_NSA_18transform_iteratorINSB_9not_fun_tI7is_trueItEEESF_NSA_11use_defaultESM_EENS0_5tupleIJSF_S6_EEENSO_IJSG_SG_EEES6_PlJS6_EEE10hipError_tPvRmT3_T4_T5_T6_T7_T9_mT8_P12ihipStream_tbDpT10_ENKUlT_T0_E_clISt17integral_constantIbLb1EES1A_IbLb0EEEEDaS16_S17_EUlS16_E_NS1_11comp_targetILNS1_3genE10ELNS1_11target_archE1200ELNS1_3gpuE4ELNS1_3repE0EEENS1_30default_config_static_selectorELNS0_4arch9wavefront6targetE0EEEvT1_.kd
    .uniform_work_group_size: 1
    .uses_dynamic_stack: false
    .vgpr_count:     0
    .vgpr_spill_count: 0
    .wavefront_size: 32
    .workgroup_processor_mode: 1
  - .args:
      - .offset:         0
        .size:           120
        .value_kind:     by_value
    .group_segment_fixed_size: 0
    .kernarg_segment_align: 8
    .kernarg_segment_size: 120
    .language:       OpenCL C
    .language_version:
      - 2
      - 0
    .max_flat_workgroup_size: 128
    .name:           _ZN7rocprim17ROCPRIM_400000_NS6detail17trampoline_kernelINS0_14default_configENS1_25partition_config_selectorILNS1_17partition_subalgoE5EtNS0_10empty_typeEbEEZZNS1_14partition_implILS5_5ELb0ES3_mN6thrust23THRUST_200600_302600_NS6detail15normal_iteratorINSA_10device_ptrItEEEEPS6_NSA_18transform_iteratorINSB_9not_fun_tI7is_trueItEEESF_NSA_11use_defaultESM_EENS0_5tupleIJSF_S6_EEENSO_IJSG_SG_EEES6_PlJS6_EEE10hipError_tPvRmT3_T4_T5_T6_T7_T9_mT8_P12ihipStream_tbDpT10_ENKUlT_T0_E_clISt17integral_constantIbLb1EES1A_IbLb0EEEEDaS16_S17_EUlS16_E_NS1_11comp_targetILNS1_3genE9ELNS1_11target_archE1100ELNS1_3gpuE3ELNS1_3repE0EEENS1_30default_config_static_selectorELNS0_4arch9wavefront6targetE0EEEvT1_
    .private_segment_fixed_size: 0
    .sgpr_count:     0
    .sgpr_spill_count: 0
    .symbol:         _ZN7rocprim17ROCPRIM_400000_NS6detail17trampoline_kernelINS0_14default_configENS1_25partition_config_selectorILNS1_17partition_subalgoE5EtNS0_10empty_typeEbEEZZNS1_14partition_implILS5_5ELb0ES3_mN6thrust23THRUST_200600_302600_NS6detail15normal_iteratorINSA_10device_ptrItEEEEPS6_NSA_18transform_iteratorINSB_9not_fun_tI7is_trueItEEESF_NSA_11use_defaultESM_EENS0_5tupleIJSF_S6_EEENSO_IJSG_SG_EEES6_PlJS6_EEE10hipError_tPvRmT3_T4_T5_T6_T7_T9_mT8_P12ihipStream_tbDpT10_ENKUlT_T0_E_clISt17integral_constantIbLb1EES1A_IbLb0EEEEDaS16_S17_EUlS16_E_NS1_11comp_targetILNS1_3genE9ELNS1_11target_archE1100ELNS1_3gpuE3ELNS1_3repE0EEENS1_30default_config_static_selectorELNS0_4arch9wavefront6targetE0EEEvT1_.kd
    .uniform_work_group_size: 1
    .uses_dynamic_stack: false
    .vgpr_count:     0
    .vgpr_spill_count: 0
    .wavefront_size: 32
    .workgroup_processor_mode: 1
  - .args:
      - .offset:         0
        .size:           120
        .value_kind:     by_value
    .group_segment_fixed_size: 0
    .kernarg_segment_align: 8
    .kernarg_segment_size: 120
    .language:       OpenCL C
    .language_version:
      - 2
      - 0
    .max_flat_workgroup_size: 256
    .name:           _ZN7rocprim17ROCPRIM_400000_NS6detail17trampoline_kernelINS0_14default_configENS1_25partition_config_selectorILNS1_17partition_subalgoE5EtNS0_10empty_typeEbEEZZNS1_14partition_implILS5_5ELb0ES3_mN6thrust23THRUST_200600_302600_NS6detail15normal_iteratorINSA_10device_ptrItEEEEPS6_NSA_18transform_iteratorINSB_9not_fun_tI7is_trueItEEESF_NSA_11use_defaultESM_EENS0_5tupleIJSF_S6_EEENSO_IJSG_SG_EEES6_PlJS6_EEE10hipError_tPvRmT3_T4_T5_T6_T7_T9_mT8_P12ihipStream_tbDpT10_ENKUlT_T0_E_clISt17integral_constantIbLb1EES1A_IbLb0EEEEDaS16_S17_EUlS16_E_NS1_11comp_targetILNS1_3genE8ELNS1_11target_archE1030ELNS1_3gpuE2ELNS1_3repE0EEENS1_30default_config_static_selectorELNS0_4arch9wavefront6targetE0EEEvT1_
    .private_segment_fixed_size: 0
    .sgpr_count:     0
    .sgpr_spill_count: 0
    .symbol:         _ZN7rocprim17ROCPRIM_400000_NS6detail17trampoline_kernelINS0_14default_configENS1_25partition_config_selectorILNS1_17partition_subalgoE5EtNS0_10empty_typeEbEEZZNS1_14partition_implILS5_5ELb0ES3_mN6thrust23THRUST_200600_302600_NS6detail15normal_iteratorINSA_10device_ptrItEEEEPS6_NSA_18transform_iteratorINSB_9not_fun_tI7is_trueItEEESF_NSA_11use_defaultESM_EENS0_5tupleIJSF_S6_EEENSO_IJSG_SG_EEES6_PlJS6_EEE10hipError_tPvRmT3_T4_T5_T6_T7_T9_mT8_P12ihipStream_tbDpT10_ENKUlT_T0_E_clISt17integral_constantIbLb1EES1A_IbLb0EEEEDaS16_S17_EUlS16_E_NS1_11comp_targetILNS1_3genE8ELNS1_11target_archE1030ELNS1_3gpuE2ELNS1_3repE0EEENS1_30default_config_static_selectorELNS0_4arch9wavefront6targetE0EEEvT1_.kd
    .uniform_work_group_size: 1
    .uses_dynamic_stack: false
    .vgpr_count:     0
    .vgpr_spill_count: 0
    .wavefront_size: 32
    .workgroup_processor_mode: 1
  - .args:
      - .offset:         0
        .size:           136
        .value_kind:     by_value
    .group_segment_fixed_size: 0
    .kernarg_segment_align: 8
    .kernarg_segment_size: 136
    .language:       OpenCL C
    .language_version:
      - 2
      - 0
    .max_flat_workgroup_size: 256
    .name:           _ZN7rocprim17ROCPRIM_400000_NS6detail17trampoline_kernelINS0_14default_configENS1_25partition_config_selectorILNS1_17partition_subalgoE5EtNS0_10empty_typeEbEEZZNS1_14partition_implILS5_5ELb0ES3_mN6thrust23THRUST_200600_302600_NS6detail15normal_iteratorINSA_10device_ptrItEEEEPS6_NSA_18transform_iteratorINSB_9not_fun_tI7is_trueItEEESF_NSA_11use_defaultESM_EENS0_5tupleIJSF_S6_EEENSO_IJSG_SG_EEES6_PlJS6_EEE10hipError_tPvRmT3_T4_T5_T6_T7_T9_mT8_P12ihipStream_tbDpT10_ENKUlT_T0_E_clISt17integral_constantIbLb0EES1A_IbLb1EEEEDaS16_S17_EUlS16_E_NS1_11comp_targetILNS1_3genE0ELNS1_11target_archE4294967295ELNS1_3gpuE0ELNS1_3repE0EEENS1_30default_config_static_selectorELNS0_4arch9wavefront6targetE0EEEvT1_
    .private_segment_fixed_size: 0
    .sgpr_count:     0
    .sgpr_spill_count: 0
    .symbol:         _ZN7rocprim17ROCPRIM_400000_NS6detail17trampoline_kernelINS0_14default_configENS1_25partition_config_selectorILNS1_17partition_subalgoE5EtNS0_10empty_typeEbEEZZNS1_14partition_implILS5_5ELb0ES3_mN6thrust23THRUST_200600_302600_NS6detail15normal_iteratorINSA_10device_ptrItEEEEPS6_NSA_18transform_iteratorINSB_9not_fun_tI7is_trueItEEESF_NSA_11use_defaultESM_EENS0_5tupleIJSF_S6_EEENSO_IJSG_SG_EEES6_PlJS6_EEE10hipError_tPvRmT3_T4_T5_T6_T7_T9_mT8_P12ihipStream_tbDpT10_ENKUlT_T0_E_clISt17integral_constantIbLb0EES1A_IbLb1EEEEDaS16_S17_EUlS16_E_NS1_11comp_targetILNS1_3genE0ELNS1_11target_archE4294967295ELNS1_3gpuE0ELNS1_3repE0EEENS1_30default_config_static_selectorELNS0_4arch9wavefront6targetE0EEEvT1_.kd
    .uniform_work_group_size: 1
    .uses_dynamic_stack: false
    .vgpr_count:     0
    .vgpr_spill_count: 0
    .wavefront_size: 32
    .workgroup_processor_mode: 1
  - .args:
      - .offset:         0
        .size:           136
        .value_kind:     by_value
    .group_segment_fixed_size: 0
    .kernarg_segment_align: 8
    .kernarg_segment_size: 136
    .language:       OpenCL C
    .language_version:
      - 2
      - 0
    .max_flat_workgroup_size: 512
    .name:           _ZN7rocprim17ROCPRIM_400000_NS6detail17trampoline_kernelINS0_14default_configENS1_25partition_config_selectorILNS1_17partition_subalgoE5EtNS0_10empty_typeEbEEZZNS1_14partition_implILS5_5ELb0ES3_mN6thrust23THRUST_200600_302600_NS6detail15normal_iteratorINSA_10device_ptrItEEEEPS6_NSA_18transform_iteratorINSB_9not_fun_tI7is_trueItEEESF_NSA_11use_defaultESM_EENS0_5tupleIJSF_S6_EEENSO_IJSG_SG_EEES6_PlJS6_EEE10hipError_tPvRmT3_T4_T5_T6_T7_T9_mT8_P12ihipStream_tbDpT10_ENKUlT_T0_E_clISt17integral_constantIbLb0EES1A_IbLb1EEEEDaS16_S17_EUlS16_E_NS1_11comp_targetILNS1_3genE5ELNS1_11target_archE942ELNS1_3gpuE9ELNS1_3repE0EEENS1_30default_config_static_selectorELNS0_4arch9wavefront6targetE0EEEvT1_
    .private_segment_fixed_size: 0
    .sgpr_count:     0
    .sgpr_spill_count: 0
    .symbol:         _ZN7rocprim17ROCPRIM_400000_NS6detail17trampoline_kernelINS0_14default_configENS1_25partition_config_selectorILNS1_17partition_subalgoE5EtNS0_10empty_typeEbEEZZNS1_14partition_implILS5_5ELb0ES3_mN6thrust23THRUST_200600_302600_NS6detail15normal_iteratorINSA_10device_ptrItEEEEPS6_NSA_18transform_iteratorINSB_9not_fun_tI7is_trueItEEESF_NSA_11use_defaultESM_EENS0_5tupleIJSF_S6_EEENSO_IJSG_SG_EEES6_PlJS6_EEE10hipError_tPvRmT3_T4_T5_T6_T7_T9_mT8_P12ihipStream_tbDpT10_ENKUlT_T0_E_clISt17integral_constantIbLb0EES1A_IbLb1EEEEDaS16_S17_EUlS16_E_NS1_11comp_targetILNS1_3genE5ELNS1_11target_archE942ELNS1_3gpuE9ELNS1_3repE0EEENS1_30default_config_static_selectorELNS0_4arch9wavefront6targetE0EEEvT1_.kd
    .uniform_work_group_size: 1
    .uses_dynamic_stack: false
    .vgpr_count:     0
    .vgpr_spill_count: 0
    .wavefront_size: 32
    .workgroup_processor_mode: 1
  - .args:
      - .offset:         0
        .size:           136
        .value_kind:     by_value
    .group_segment_fixed_size: 0
    .kernarg_segment_align: 8
    .kernarg_segment_size: 136
    .language:       OpenCL C
    .language_version:
      - 2
      - 0
    .max_flat_workgroup_size: 256
    .name:           _ZN7rocprim17ROCPRIM_400000_NS6detail17trampoline_kernelINS0_14default_configENS1_25partition_config_selectorILNS1_17partition_subalgoE5EtNS0_10empty_typeEbEEZZNS1_14partition_implILS5_5ELb0ES3_mN6thrust23THRUST_200600_302600_NS6detail15normal_iteratorINSA_10device_ptrItEEEEPS6_NSA_18transform_iteratorINSB_9not_fun_tI7is_trueItEEESF_NSA_11use_defaultESM_EENS0_5tupleIJSF_S6_EEENSO_IJSG_SG_EEES6_PlJS6_EEE10hipError_tPvRmT3_T4_T5_T6_T7_T9_mT8_P12ihipStream_tbDpT10_ENKUlT_T0_E_clISt17integral_constantIbLb0EES1A_IbLb1EEEEDaS16_S17_EUlS16_E_NS1_11comp_targetILNS1_3genE4ELNS1_11target_archE910ELNS1_3gpuE8ELNS1_3repE0EEENS1_30default_config_static_selectorELNS0_4arch9wavefront6targetE0EEEvT1_
    .private_segment_fixed_size: 0
    .sgpr_count:     0
    .sgpr_spill_count: 0
    .symbol:         _ZN7rocprim17ROCPRIM_400000_NS6detail17trampoline_kernelINS0_14default_configENS1_25partition_config_selectorILNS1_17partition_subalgoE5EtNS0_10empty_typeEbEEZZNS1_14partition_implILS5_5ELb0ES3_mN6thrust23THRUST_200600_302600_NS6detail15normal_iteratorINSA_10device_ptrItEEEEPS6_NSA_18transform_iteratorINSB_9not_fun_tI7is_trueItEEESF_NSA_11use_defaultESM_EENS0_5tupleIJSF_S6_EEENSO_IJSG_SG_EEES6_PlJS6_EEE10hipError_tPvRmT3_T4_T5_T6_T7_T9_mT8_P12ihipStream_tbDpT10_ENKUlT_T0_E_clISt17integral_constantIbLb0EES1A_IbLb1EEEEDaS16_S17_EUlS16_E_NS1_11comp_targetILNS1_3genE4ELNS1_11target_archE910ELNS1_3gpuE8ELNS1_3repE0EEENS1_30default_config_static_selectorELNS0_4arch9wavefront6targetE0EEEvT1_.kd
    .uniform_work_group_size: 1
    .uses_dynamic_stack: false
    .vgpr_count:     0
    .vgpr_spill_count: 0
    .wavefront_size: 32
    .workgroup_processor_mode: 1
  - .args:
      - .offset:         0
        .size:           136
        .value_kind:     by_value
    .group_segment_fixed_size: 0
    .kernarg_segment_align: 8
    .kernarg_segment_size: 136
    .language:       OpenCL C
    .language_version:
      - 2
      - 0
    .max_flat_workgroup_size: 256
    .name:           _ZN7rocprim17ROCPRIM_400000_NS6detail17trampoline_kernelINS0_14default_configENS1_25partition_config_selectorILNS1_17partition_subalgoE5EtNS0_10empty_typeEbEEZZNS1_14partition_implILS5_5ELb0ES3_mN6thrust23THRUST_200600_302600_NS6detail15normal_iteratorINSA_10device_ptrItEEEEPS6_NSA_18transform_iteratorINSB_9not_fun_tI7is_trueItEEESF_NSA_11use_defaultESM_EENS0_5tupleIJSF_S6_EEENSO_IJSG_SG_EEES6_PlJS6_EEE10hipError_tPvRmT3_T4_T5_T6_T7_T9_mT8_P12ihipStream_tbDpT10_ENKUlT_T0_E_clISt17integral_constantIbLb0EES1A_IbLb1EEEEDaS16_S17_EUlS16_E_NS1_11comp_targetILNS1_3genE3ELNS1_11target_archE908ELNS1_3gpuE7ELNS1_3repE0EEENS1_30default_config_static_selectorELNS0_4arch9wavefront6targetE0EEEvT1_
    .private_segment_fixed_size: 0
    .sgpr_count:     0
    .sgpr_spill_count: 0
    .symbol:         _ZN7rocprim17ROCPRIM_400000_NS6detail17trampoline_kernelINS0_14default_configENS1_25partition_config_selectorILNS1_17partition_subalgoE5EtNS0_10empty_typeEbEEZZNS1_14partition_implILS5_5ELb0ES3_mN6thrust23THRUST_200600_302600_NS6detail15normal_iteratorINSA_10device_ptrItEEEEPS6_NSA_18transform_iteratorINSB_9not_fun_tI7is_trueItEEESF_NSA_11use_defaultESM_EENS0_5tupleIJSF_S6_EEENSO_IJSG_SG_EEES6_PlJS6_EEE10hipError_tPvRmT3_T4_T5_T6_T7_T9_mT8_P12ihipStream_tbDpT10_ENKUlT_T0_E_clISt17integral_constantIbLb0EES1A_IbLb1EEEEDaS16_S17_EUlS16_E_NS1_11comp_targetILNS1_3genE3ELNS1_11target_archE908ELNS1_3gpuE7ELNS1_3repE0EEENS1_30default_config_static_selectorELNS0_4arch9wavefront6targetE0EEEvT1_.kd
    .uniform_work_group_size: 1
    .uses_dynamic_stack: false
    .vgpr_count:     0
    .vgpr_spill_count: 0
    .wavefront_size: 32
    .workgroup_processor_mode: 1
  - .args:
      - .offset:         0
        .size:           136
        .value_kind:     by_value
    .group_segment_fixed_size: 0
    .kernarg_segment_align: 8
    .kernarg_segment_size: 136
    .language:       OpenCL C
    .language_version:
      - 2
      - 0
    .max_flat_workgroup_size: 256
    .name:           _ZN7rocprim17ROCPRIM_400000_NS6detail17trampoline_kernelINS0_14default_configENS1_25partition_config_selectorILNS1_17partition_subalgoE5EtNS0_10empty_typeEbEEZZNS1_14partition_implILS5_5ELb0ES3_mN6thrust23THRUST_200600_302600_NS6detail15normal_iteratorINSA_10device_ptrItEEEEPS6_NSA_18transform_iteratorINSB_9not_fun_tI7is_trueItEEESF_NSA_11use_defaultESM_EENS0_5tupleIJSF_S6_EEENSO_IJSG_SG_EEES6_PlJS6_EEE10hipError_tPvRmT3_T4_T5_T6_T7_T9_mT8_P12ihipStream_tbDpT10_ENKUlT_T0_E_clISt17integral_constantIbLb0EES1A_IbLb1EEEEDaS16_S17_EUlS16_E_NS1_11comp_targetILNS1_3genE2ELNS1_11target_archE906ELNS1_3gpuE6ELNS1_3repE0EEENS1_30default_config_static_selectorELNS0_4arch9wavefront6targetE0EEEvT1_
    .private_segment_fixed_size: 0
    .sgpr_count:     0
    .sgpr_spill_count: 0
    .symbol:         _ZN7rocprim17ROCPRIM_400000_NS6detail17trampoline_kernelINS0_14default_configENS1_25partition_config_selectorILNS1_17partition_subalgoE5EtNS0_10empty_typeEbEEZZNS1_14partition_implILS5_5ELb0ES3_mN6thrust23THRUST_200600_302600_NS6detail15normal_iteratorINSA_10device_ptrItEEEEPS6_NSA_18transform_iteratorINSB_9not_fun_tI7is_trueItEEESF_NSA_11use_defaultESM_EENS0_5tupleIJSF_S6_EEENSO_IJSG_SG_EEES6_PlJS6_EEE10hipError_tPvRmT3_T4_T5_T6_T7_T9_mT8_P12ihipStream_tbDpT10_ENKUlT_T0_E_clISt17integral_constantIbLb0EES1A_IbLb1EEEEDaS16_S17_EUlS16_E_NS1_11comp_targetILNS1_3genE2ELNS1_11target_archE906ELNS1_3gpuE6ELNS1_3repE0EEENS1_30default_config_static_selectorELNS0_4arch9wavefront6targetE0EEEvT1_.kd
    .uniform_work_group_size: 1
    .uses_dynamic_stack: false
    .vgpr_count:     0
    .vgpr_spill_count: 0
    .wavefront_size: 32
    .workgroup_processor_mode: 1
  - .args:
      - .offset:         0
        .size:           136
        .value_kind:     by_value
    .group_segment_fixed_size: 6160
    .kernarg_segment_align: 8
    .kernarg_segment_size: 136
    .language:       OpenCL C
    .language_version:
      - 2
      - 0
    .max_flat_workgroup_size: 256
    .name:           _ZN7rocprim17ROCPRIM_400000_NS6detail17trampoline_kernelINS0_14default_configENS1_25partition_config_selectorILNS1_17partition_subalgoE5EtNS0_10empty_typeEbEEZZNS1_14partition_implILS5_5ELb0ES3_mN6thrust23THRUST_200600_302600_NS6detail15normal_iteratorINSA_10device_ptrItEEEEPS6_NSA_18transform_iteratorINSB_9not_fun_tI7is_trueItEEESF_NSA_11use_defaultESM_EENS0_5tupleIJSF_S6_EEENSO_IJSG_SG_EEES6_PlJS6_EEE10hipError_tPvRmT3_T4_T5_T6_T7_T9_mT8_P12ihipStream_tbDpT10_ENKUlT_T0_E_clISt17integral_constantIbLb0EES1A_IbLb1EEEEDaS16_S17_EUlS16_E_NS1_11comp_targetILNS1_3genE10ELNS1_11target_archE1200ELNS1_3gpuE4ELNS1_3repE0EEENS1_30default_config_static_selectorELNS0_4arch9wavefront6targetE0EEEvT1_
    .private_segment_fixed_size: 0
    .sgpr_count:     26
    .sgpr_spill_count: 0
    .symbol:         _ZN7rocprim17ROCPRIM_400000_NS6detail17trampoline_kernelINS0_14default_configENS1_25partition_config_selectorILNS1_17partition_subalgoE5EtNS0_10empty_typeEbEEZZNS1_14partition_implILS5_5ELb0ES3_mN6thrust23THRUST_200600_302600_NS6detail15normal_iteratorINSA_10device_ptrItEEEEPS6_NSA_18transform_iteratorINSB_9not_fun_tI7is_trueItEEESF_NSA_11use_defaultESM_EENS0_5tupleIJSF_S6_EEENSO_IJSG_SG_EEES6_PlJS6_EEE10hipError_tPvRmT3_T4_T5_T6_T7_T9_mT8_P12ihipStream_tbDpT10_ENKUlT_T0_E_clISt17integral_constantIbLb0EES1A_IbLb1EEEEDaS16_S17_EUlS16_E_NS1_11comp_targetILNS1_3genE10ELNS1_11target_archE1200ELNS1_3gpuE4ELNS1_3repE0EEENS1_30default_config_static_selectorELNS0_4arch9wavefront6targetE0EEEvT1_.kd
    .uniform_work_group_size: 1
    .uses_dynamic_stack: false
    .vgpr_count:     65
    .vgpr_spill_count: 0
    .wavefront_size: 32
    .workgroup_processor_mode: 1
  - .args:
      - .offset:         0
        .size:           136
        .value_kind:     by_value
    .group_segment_fixed_size: 0
    .kernarg_segment_align: 8
    .kernarg_segment_size: 136
    .language:       OpenCL C
    .language_version:
      - 2
      - 0
    .max_flat_workgroup_size: 128
    .name:           _ZN7rocprim17ROCPRIM_400000_NS6detail17trampoline_kernelINS0_14default_configENS1_25partition_config_selectorILNS1_17partition_subalgoE5EtNS0_10empty_typeEbEEZZNS1_14partition_implILS5_5ELb0ES3_mN6thrust23THRUST_200600_302600_NS6detail15normal_iteratorINSA_10device_ptrItEEEEPS6_NSA_18transform_iteratorINSB_9not_fun_tI7is_trueItEEESF_NSA_11use_defaultESM_EENS0_5tupleIJSF_S6_EEENSO_IJSG_SG_EEES6_PlJS6_EEE10hipError_tPvRmT3_T4_T5_T6_T7_T9_mT8_P12ihipStream_tbDpT10_ENKUlT_T0_E_clISt17integral_constantIbLb0EES1A_IbLb1EEEEDaS16_S17_EUlS16_E_NS1_11comp_targetILNS1_3genE9ELNS1_11target_archE1100ELNS1_3gpuE3ELNS1_3repE0EEENS1_30default_config_static_selectorELNS0_4arch9wavefront6targetE0EEEvT1_
    .private_segment_fixed_size: 0
    .sgpr_count:     0
    .sgpr_spill_count: 0
    .symbol:         _ZN7rocprim17ROCPRIM_400000_NS6detail17trampoline_kernelINS0_14default_configENS1_25partition_config_selectorILNS1_17partition_subalgoE5EtNS0_10empty_typeEbEEZZNS1_14partition_implILS5_5ELb0ES3_mN6thrust23THRUST_200600_302600_NS6detail15normal_iteratorINSA_10device_ptrItEEEEPS6_NSA_18transform_iteratorINSB_9not_fun_tI7is_trueItEEESF_NSA_11use_defaultESM_EENS0_5tupleIJSF_S6_EEENSO_IJSG_SG_EEES6_PlJS6_EEE10hipError_tPvRmT3_T4_T5_T6_T7_T9_mT8_P12ihipStream_tbDpT10_ENKUlT_T0_E_clISt17integral_constantIbLb0EES1A_IbLb1EEEEDaS16_S17_EUlS16_E_NS1_11comp_targetILNS1_3genE9ELNS1_11target_archE1100ELNS1_3gpuE3ELNS1_3repE0EEENS1_30default_config_static_selectorELNS0_4arch9wavefront6targetE0EEEvT1_.kd
    .uniform_work_group_size: 1
    .uses_dynamic_stack: false
    .vgpr_count:     0
    .vgpr_spill_count: 0
    .wavefront_size: 32
    .workgroup_processor_mode: 1
  - .args:
      - .offset:         0
        .size:           136
        .value_kind:     by_value
    .group_segment_fixed_size: 0
    .kernarg_segment_align: 8
    .kernarg_segment_size: 136
    .language:       OpenCL C
    .language_version:
      - 2
      - 0
    .max_flat_workgroup_size: 256
    .name:           _ZN7rocprim17ROCPRIM_400000_NS6detail17trampoline_kernelINS0_14default_configENS1_25partition_config_selectorILNS1_17partition_subalgoE5EtNS0_10empty_typeEbEEZZNS1_14partition_implILS5_5ELb0ES3_mN6thrust23THRUST_200600_302600_NS6detail15normal_iteratorINSA_10device_ptrItEEEEPS6_NSA_18transform_iteratorINSB_9not_fun_tI7is_trueItEEESF_NSA_11use_defaultESM_EENS0_5tupleIJSF_S6_EEENSO_IJSG_SG_EEES6_PlJS6_EEE10hipError_tPvRmT3_T4_T5_T6_T7_T9_mT8_P12ihipStream_tbDpT10_ENKUlT_T0_E_clISt17integral_constantIbLb0EES1A_IbLb1EEEEDaS16_S17_EUlS16_E_NS1_11comp_targetILNS1_3genE8ELNS1_11target_archE1030ELNS1_3gpuE2ELNS1_3repE0EEENS1_30default_config_static_selectorELNS0_4arch9wavefront6targetE0EEEvT1_
    .private_segment_fixed_size: 0
    .sgpr_count:     0
    .sgpr_spill_count: 0
    .symbol:         _ZN7rocprim17ROCPRIM_400000_NS6detail17trampoline_kernelINS0_14default_configENS1_25partition_config_selectorILNS1_17partition_subalgoE5EtNS0_10empty_typeEbEEZZNS1_14partition_implILS5_5ELb0ES3_mN6thrust23THRUST_200600_302600_NS6detail15normal_iteratorINSA_10device_ptrItEEEEPS6_NSA_18transform_iteratorINSB_9not_fun_tI7is_trueItEEESF_NSA_11use_defaultESM_EENS0_5tupleIJSF_S6_EEENSO_IJSG_SG_EEES6_PlJS6_EEE10hipError_tPvRmT3_T4_T5_T6_T7_T9_mT8_P12ihipStream_tbDpT10_ENKUlT_T0_E_clISt17integral_constantIbLb0EES1A_IbLb1EEEEDaS16_S17_EUlS16_E_NS1_11comp_targetILNS1_3genE8ELNS1_11target_archE1030ELNS1_3gpuE2ELNS1_3repE0EEENS1_30default_config_static_selectorELNS0_4arch9wavefront6targetE0EEEvT1_.kd
    .uniform_work_group_size: 1
    .uses_dynamic_stack: false
    .vgpr_count:     0
    .vgpr_spill_count: 0
    .wavefront_size: 32
    .workgroup_processor_mode: 1
  - .args:
      - .offset:         0
        .size:           24
        .value_kind:     by_value
      - .offset:         24
        .size:           8
        .value_kind:     by_value
      - .offset:         32
        .size:           8
        .value_kind:     by_value
    .group_segment_fixed_size: 0
    .kernarg_segment_align: 8
    .kernarg_segment_size: 40
    .language:       OpenCL C
    .language_version:
      - 2
      - 0
    .max_flat_workgroup_size: 256
    .name:           _ZN6thrust23THRUST_200600_302600_NS11hip_rocprim14__parallel_for6kernelILj256ENS1_11__transform17unary_transform_fINS0_7pointerIbNS1_3tagENS0_11use_defaultES8_EENS0_10device_ptrIxEENS4_14no_stencil_tagENS0_8identityIbEENS4_21always_true_predicateEEElLj1EEEvT0_T1_SI_
    .private_segment_fixed_size: 0
    .sgpr_count:     14
    .sgpr_spill_count: 0
    .symbol:         _ZN6thrust23THRUST_200600_302600_NS11hip_rocprim14__parallel_for6kernelILj256ENS1_11__transform17unary_transform_fINS0_7pointerIbNS1_3tagENS0_11use_defaultES8_EENS0_10device_ptrIxEENS4_14no_stencil_tagENS0_8identityIbEENS4_21always_true_predicateEEElLj1EEEvT0_T1_SI_.kd
    .uniform_work_group_size: 1
    .uses_dynamic_stack: false
    .vgpr_count:     5
    .vgpr_spill_count: 0
    .wavefront_size: 32
    .workgroup_processor_mode: 1
  - .args:
      - .offset:         0
        .size:           120
        .value_kind:     by_value
    .group_segment_fixed_size: 0
    .kernarg_segment_align: 8
    .kernarg_segment_size: 120
    .language:       OpenCL C
    .language_version:
      - 2
      - 0
    .max_flat_workgroup_size: 128
    .name:           _ZN7rocprim17ROCPRIM_400000_NS6detail17trampoline_kernelINS0_14default_configENS1_25partition_config_selectorILNS1_17partition_subalgoE5ExNS0_10empty_typeEbEEZZNS1_14partition_implILS5_5ELb0ES3_mN6thrust23THRUST_200600_302600_NS6detail15normal_iteratorINSA_10device_ptrIxEEEEPS6_NSA_18transform_iteratorINSB_9not_fun_tI7is_trueIxEEESF_NSA_11use_defaultESM_EENS0_5tupleIJSF_S6_EEENSO_IJSG_SG_EEES6_PlJS6_EEE10hipError_tPvRmT3_T4_T5_T6_T7_T9_mT8_P12ihipStream_tbDpT10_ENKUlT_T0_E_clISt17integral_constantIbLb0EES1B_EEDaS16_S17_EUlS16_E_NS1_11comp_targetILNS1_3genE0ELNS1_11target_archE4294967295ELNS1_3gpuE0ELNS1_3repE0EEENS1_30default_config_static_selectorELNS0_4arch9wavefront6targetE0EEEvT1_
    .private_segment_fixed_size: 0
    .sgpr_count:     0
    .sgpr_spill_count: 0
    .symbol:         _ZN7rocprim17ROCPRIM_400000_NS6detail17trampoline_kernelINS0_14default_configENS1_25partition_config_selectorILNS1_17partition_subalgoE5ExNS0_10empty_typeEbEEZZNS1_14partition_implILS5_5ELb0ES3_mN6thrust23THRUST_200600_302600_NS6detail15normal_iteratorINSA_10device_ptrIxEEEEPS6_NSA_18transform_iteratorINSB_9not_fun_tI7is_trueIxEEESF_NSA_11use_defaultESM_EENS0_5tupleIJSF_S6_EEENSO_IJSG_SG_EEES6_PlJS6_EEE10hipError_tPvRmT3_T4_T5_T6_T7_T9_mT8_P12ihipStream_tbDpT10_ENKUlT_T0_E_clISt17integral_constantIbLb0EES1B_EEDaS16_S17_EUlS16_E_NS1_11comp_targetILNS1_3genE0ELNS1_11target_archE4294967295ELNS1_3gpuE0ELNS1_3repE0EEENS1_30default_config_static_selectorELNS0_4arch9wavefront6targetE0EEEvT1_.kd
    .uniform_work_group_size: 1
    .uses_dynamic_stack: false
    .vgpr_count:     0
    .vgpr_spill_count: 0
    .wavefront_size: 32
    .workgroup_processor_mode: 1
  - .args:
      - .offset:         0
        .size:           120
        .value_kind:     by_value
    .group_segment_fixed_size: 0
    .kernarg_segment_align: 8
    .kernarg_segment_size: 120
    .language:       OpenCL C
    .language_version:
      - 2
      - 0
    .max_flat_workgroup_size: 512
    .name:           _ZN7rocprim17ROCPRIM_400000_NS6detail17trampoline_kernelINS0_14default_configENS1_25partition_config_selectorILNS1_17partition_subalgoE5ExNS0_10empty_typeEbEEZZNS1_14partition_implILS5_5ELb0ES3_mN6thrust23THRUST_200600_302600_NS6detail15normal_iteratorINSA_10device_ptrIxEEEEPS6_NSA_18transform_iteratorINSB_9not_fun_tI7is_trueIxEEESF_NSA_11use_defaultESM_EENS0_5tupleIJSF_S6_EEENSO_IJSG_SG_EEES6_PlJS6_EEE10hipError_tPvRmT3_T4_T5_T6_T7_T9_mT8_P12ihipStream_tbDpT10_ENKUlT_T0_E_clISt17integral_constantIbLb0EES1B_EEDaS16_S17_EUlS16_E_NS1_11comp_targetILNS1_3genE5ELNS1_11target_archE942ELNS1_3gpuE9ELNS1_3repE0EEENS1_30default_config_static_selectorELNS0_4arch9wavefront6targetE0EEEvT1_
    .private_segment_fixed_size: 0
    .sgpr_count:     0
    .sgpr_spill_count: 0
    .symbol:         _ZN7rocprim17ROCPRIM_400000_NS6detail17trampoline_kernelINS0_14default_configENS1_25partition_config_selectorILNS1_17partition_subalgoE5ExNS0_10empty_typeEbEEZZNS1_14partition_implILS5_5ELb0ES3_mN6thrust23THRUST_200600_302600_NS6detail15normal_iteratorINSA_10device_ptrIxEEEEPS6_NSA_18transform_iteratorINSB_9not_fun_tI7is_trueIxEEESF_NSA_11use_defaultESM_EENS0_5tupleIJSF_S6_EEENSO_IJSG_SG_EEES6_PlJS6_EEE10hipError_tPvRmT3_T4_T5_T6_T7_T9_mT8_P12ihipStream_tbDpT10_ENKUlT_T0_E_clISt17integral_constantIbLb0EES1B_EEDaS16_S17_EUlS16_E_NS1_11comp_targetILNS1_3genE5ELNS1_11target_archE942ELNS1_3gpuE9ELNS1_3repE0EEENS1_30default_config_static_selectorELNS0_4arch9wavefront6targetE0EEEvT1_.kd
    .uniform_work_group_size: 1
    .uses_dynamic_stack: false
    .vgpr_count:     0
    .vgpr_spill_count: 0
    .wavefront_size: 32
    .workgroup_processor_mode: 1
  - .args:
      - .offset:         0
        .size:           120
        .value_kind:     by_value
    .group_segment_fixed_size: 0
    .kernarg_segment_align: 8
    .kernarg_segment_size: 120
    .language:       OpenCL C
    .language_version:
      - 2
      - 0
    .max_flat_workgroup_size: 192
    .name:           _ZN7rocprim17ROCPRIM_400000_NS6detail17trampoline_kernelINS0_14default_configENS1_25partition_config_selectorILNS1_17partition_subalgoE5ExNS0_10empty_typeEbEEZZNS1_14partition_implILS5_5ELb0ES3_mN6thrust23THRUST_200600_302600_NS6detail15normal_iteratorINSA_10device_ptrIxEEEEPS6_NSA_18transform_iteratorINSB_9not_fun_tI7is_trueIxEEESF_NSA_11use_defaultESM_EENS0_5tupleIJSF_S6_EEENSO_IJSG_SG_EEES6_PlJS6_EEE10hipError_tPvRmT3_T4_T5_T6_T7_T9_mT8_P12ihipStream_tbDpT10_ENKUlT_T0_E_clISt17integral_constantIbLb0EES1B_EEDaS16_S17_EUlS16_E_NS1_11comp_targetILNS1_3genE4ELNS1_11target_archE910ELNS1_3gpuE8ELNS1_3repE0EEENS1_30default_config_static_selectorELNS0_4arch9wavefront6targetE0EEEvT1_
    .private_segment_fixed_size: 0
    .sgpr_count:     0
    .sgpr_spill_count: 0
    .symbol:         _ZN7rocprim17ROCPRIM_400000_NS6detail17trampoline_kernelINS0_14default_configENS1_25partition_config_selectorILNS1_17partition_subalgoE5ExNS0_10empty_typeEbEEZZNS1_14partition_implILS5_5ELb0ES3_mN6thrust23THRUST_200600_302600_NS6detail15normal_iteratorINSA_10device_ptrIxEEEEPS6_NSA_18transform_iteratorINSB_9not_fun_tI7is_trueIxEEESF_NSA_11use_defaultESM_EENS0_5tupleIJSF_S6_EEENSO_IJSG_SG_EEES6_PlJS6_EEE10hipError_tPvRmT3_T4_T5_T6_T7_T9_mT8_P12ihipStream_tbDpT10_ENKUlT_T0_E_clISt17integral_constantIbLb0EES1B_EEDaS16_S17_EUlS16_E_NS1_11comp_targetILNS1_3genE4ELNS1_11target_archE910ELNS1_3gpuE8ELNS1_3repE0EEENS1_30default_config_static_selectorELNS0_4arch9wavefront6targetE0EEEvT1_.kd
    .uniform_work_group_size: 1
    .uses_dynamic_stack: false
    .vgpr_count:     0
    .vgpr_spill_count: 0
    .wavefront_size: 32
    .workgroup_processor_mode: 1
  - .args:
      - .offset:         0
        .size:           120
        .value_kind:     by_value
    .group_segment_fixed_size: 0
    .kernarg_segment_align: 8
    .kernarg_segment_size: 120
    .language:       OpenCL C
    .language_version:
      - 2
      - 0
    .max_flat_workgroup_size: 128
    .name:           _ZN7rocprim17ROCPRIM_400000_NS6detail17trampoline_kernelINS0_14default_configENS1_25partition_config_selectorILNS1_17partition_subalgoE5ExNS0_10empty_typeEbEEZZNS1_14partition_implILS5_5ELb0ES3_mN6thrust23THRUST_200600_302600_NS6detail15normal_iteratorINSA_10device_ptrIxEEEEPS6_NSA_18transform_iteratorINSB_9not_fun_tI7is_trueIxEEESF_NSA_11use_defaultESM_EENS0_5tupleIJSF_S6_EEENSO_IJSG_SG_EEES6_PlJS6_EEE10hipError_tPvRmT3_T4_T5_T6_T7_T9_mT8_P12ihipStream_tbDpT10_ENKUlT_T0_E_clISt17integral_constantIbLb0EES1B_EEDaS16_S17_EUlS16_E_NS1_11comp_targetILNS1_3genE3ELNS1_11target_archE908ELNS1_3gpuE7ELNS1_3repE0EEENS1_30default_config_static_selectorELNS0_4arch9wavefront6targetE0EEEvT1_
    .private_segment_fixed_size: 0
    .sgpr_count:     0
    .sgpr_spill_count: 0
    .symbol:         _ZN7rocprim17ROCPRIM_400000_NS6detail17trampoline_kernelINS0_14default_configENS1_25partition_config_selectorILNS1_17partition_subalgoE5ExNS0_10empty_typeEbEEZZNS1_14partition_implILS5_5ELb0ES3_mN6thrust23THRUST_200600_302600_NS6detail15normal_iteratorINSA_10device_ptrIxEEEEPS6_NSA_18transform_iteratorINSB_9not_fun_tI7is_trueIxEEESF_NSA_11use_defaultESM_EENS0_5tupleIJSF_S6_EEENSO_IJSG_SG_EEES6_PlJS6_EEE10hipError_tPvRmT3_T4_T5_T6_T7_T9_mT8_P12ihipStream_tbDpT10_ENKUlT_T0_E_clISt17integral_constantIbLb0EES1B_EEDaS16_S17_EUlS16_E_NS1_11comp_targetILNS1_3genE3ELNS1_11target_archE908ELNS1_3gpuE7ELNS1_3repE0EEENS1_30default_config_static_selectorELNS0_4arch9wavefront6targetE0EEEvT1_.kd
    .uniform_work_group_size: 1
    .uses_dynamic_stack: false
    .vgpr_count:     0
    .vgpr_spill_count: 0
    .wavefront_size: 32
    .workgroup_processor_mode: 1
  - .args:
      - .offset:         0
        .size:           120
        .value_kind:     by_value
    .group_segment_fixed_size: 0
    .kernarg_segment_align: 8
    .kernarg_segment_size: 120
    .language:       OpenCL C
    .language_version:
      - 2
      - 0
    .max_flat_workgroup_size: 256
    .name:           _ZN7rocprim17ROCPRIM_400000_NS6detail17trampoline_kernelINS0_14default_configENS1_25partition_config_selectorILNS1_17partition_subalgoE5ExNS0_10empty_typeEbEEZZNS1_14partition_implILS5_5ELb0ES3_mN6thrust23THRUST_200600_302600_NS6detail15normal_iteratorINSA_10device_ptrIxEEEEPS6_NSA_18transform_iteratorINSB_9not_fun_tI7is_trueIxEEESF_NSA_11use_defaultESM_EENS0_5tupleIJSF_S6_EEENSO_IJSG_SG_EEES6_PlJS6_EEE10hipError_tPvRmT3_T4_T5_T6_T7_T9_mT8_P12ihipStream_tbDpT10_ENKUlT_T0_E_clISt17integral_constantIbLb0EES1B_EEDaS16_S17_EUlS16_E_NS1_11comp_targetILNS1_3genE2ELNS1_11target_archE906ELNS1_3gpuE6ELNS1_3repE0EEENS1_30default_config_static_selectorELNS0_4arch9wavefront6targetE0EEEvT1_
    .private_segment_fixed_size: 0
    .sgpr_count:     0
    .sgpr_spill_count: 0
    .symbol:         _ZN7rocprim17ROCPRIM_400000_NS6detail17trampoline_kernelINS0_14default_configENS1_25partition_config_selectorILNS1_17partition_subalgoE5ExNS0_10empty_typeEbEEZZNS1_14partition_implILS5_5ELb0ES3_mN6thrust23THRUST_200600_302600_NS6detail15normal_iteratorINSA_10device_ptrIxEEEEPS6_NSA_18transform_iteratorINSB_9not_fun_tI7is_trueIxEEESF_NSA_11use_defaultESM_EENS0_5tupleIJSF_S6_EEENSO_IJSG_SG_EEES6_PlJS6_EEE10hipError_tPvRmT3_T4_T5_T6_T7_T9_mT8_P12ihipStream_tbDpT10_ENKUlT_T0_E_clISt17integral_constantIbLb0EES1B_EEDaS16_S17_EUlS16_E_NS1_11comp_targetILNS1_3genE2ELNS1_11target_archE906ELNS1_3gpuE6ELNS1_3repE0EEENS1_30default_config_static_selectorELNS0_4arch9wavefront6targetE0EEEvT1_.kd
    .uniform_work_group_size: 1
    .uses_dynamic_stack: false
    .vgpr_count:     0
    .vgpr_spill_count: 0
    .wavefront_size: 32
    .workgroup_processor_mode: 1
  - .args:
      - .offset:         0
        .size:           120
        .value_kind:     by_value
    .group_segment_fixed_size: 8464
    .kernarg_segment_align: 8
    .kernarg_segment_size: 120
    .language:       OpenCL C
    .language_version:
      - 2
      - 0
    .max_flat_workgroup_size: 256
    .name:           _ZN7rocprim17ROCPRIM_400000_NS6detail17trampoline_kernelINS0_14default_configENS1_25partition_config_selectorILNS1_17partition_subalgoE5ExNS0_10empty_typeEbEEZZNS1_14partition_implILS5_5ELb0ES3_mN6thrust23THRUST_200600_302600_NS6detail15normal_iteratorINSA_10device_ptrIxEEEEPS6_NSA_18transform_iteratorINSB_9not_fun_tI7is_trueIxEEESF_NSA_11use_defaultESM_EENS0_5tupleIJSF_S6_EEENSO_IJSG_SG_EEES6_PlJS6_EEE10hipError_tPvRmT3_T4_T5_T6_T7_T9_mT8_P12ihipStream_tbDpT10_ENKUlT_T0_E_clISt17integral_constantIbLb0EES1B_EEDaS16_S17_EUlS16_E_NS1_11comp_targetILNS1_3genE10ELNS1_11target_archE1200ELNS1_3gpuE4ELNS1_3repE0EEENS1_30default_config_static_selectorELNS0_4arch9wavefront6targetE0EEEvT1_
    .private_segment_fixed_size: 0
    .sgpr_count:     24
    .sgpr_spill_count: 0
    .symbol:         _ZN7rocprim17ROCPRIM_400000_NS6detail17trampoline_kernelINS0_14default_configENS1_25partition_config_selectorILNS1_17partition_subalgoE5ExNS0_10empty_typeEbEEZZNS1_14partition_implILS5_5ELb0ES3_mN6thrust23THRUST_200600_302600_NS6detail15normal_iteratorINSA_10device_ptrIxEEEEPS6_NSA_18transform_iteratorINSB_9not_fun_tI7is_trueIxEEESF_NSA_11use_defaultESM_EENS0_5tupleIJSF_S6_EEENSO_IJSG_SG_EEES6_PlJS6_EEE10hipError_tPvRmT3_T4_T5_T6_T7_T9_mT8_P12ihipStream_tbDpT10_ENKUlT_T0_E_clISt17integral_constantIbLb0EES1B_EEDaS16_S17_EUlS16_E_NS1_11comp_targetILNS1_3genE10ELNS1_11target_archE1200ELNS1_3gpuE4ELNS1_3repE0EEENS1_30default_config_static_selectorELNS0_4arch9wavefront6targetE0EEEvT1_.kd
    .uniform_work_group_size: 1
    .uses_dynamic_stack: false
    .vgpr_count:     46
    .vgpr_spill_count: 0
    .wavefront_size: 32
    .workgroup_processor_mode: 1
  - .args:
      - .offset:         0
        .size:           120
        .value_kind:     by_value
    .group_segment_fixed_size: 0
    .kernarg_segment_align: 8
    .kernarg_segment_size: 120
    .language:       OpenCL C
    .language_version:
      - 2
      - 0
    .max_flat_workgroup_size: 128
    .name:           _ZN7rocprim17ROCPRIM_400000_NS6detail17trampoline_kernelINS0_14default_configENS1_25partition_config_selectorILNS1_17partition_subalgoE5ExNS0_10empty_typeEbEEZZNS1_14partition_implILS5_5ELb0ES3_mN6thrust23THRUST_200600_302600_NS6detail15normal_iteratorINSA_10device_ptrIxEEEEPS6_NSA_18transform_iteratorINSB_9not_fun_tI7is_trueIxEEESF_NSA_11use_defaultESM_EENS0_5tupleIJSF_S6_EEENSO_IJSG_SG_EEES6_PlJS6_EEE10hipError_tPvRmT3_T4_T5_T6_T7_T9_mT8_P12ihipStream_tbDpT10_ENKUlT_T0_E_clISt17integral_constantIbLb0EES1B_EEDaS16_S17_EUlS16_E_NS1_11comp_targetILNS1_3genE9ELNS1_11target_archE1100ELNS1_3gpuE3ELNS1_3repE0EEENS1_30default_config_static_selectorELNS0_4arch9wavefront6targetE0EEEvT1_
    .private_segment_fixed_size: 0
    .sgpr_count:     0
    .sgpr_spill_count: 0
    .symbol:         _ZN7rocprim17ROCPRIM_400000_NS6detail17trampoline_kernelINS0_14default_configENS1_25partition_config_selectorILNS1_17partition_subalgoE5ExNS0_10empty_typeEbEEZZNS1_14partition_implILS5_5ELb0ES3_mN6thrust23THRUST_200600_302600_NS6detail15normal_iteratorINSA_10device_ptrIxEEEEPS6_NSA_18transform_iteratorINSB_9not_fun_tI7is_trueIxEEESF_NSA_11use_defaultESM_EENS0_5tupleIJSF_S6_EEENSO_IJSG_SG_EEES6_PlJS6_EEE10hipError_tPvRmT3_T4_T5_T6_T7_T9_mT8_P12ihipStream_tbDpT10_ENKUlT_T0_E_clISt17integral_constantIbLb0EES1B_EEDaS16_S17_EUlS16_E_NS1_11comp_targetILNS1_3genE9ELNS1_11target_archE1100ELNS1_3gpuE3ELNS1_3repE0EEENS1_30default_config_static_selectorELNS0_4arch9wavefront6targetE0EEEvT1_.kd
    .uniform_work_group_size: 1
    .uses_dynamic_stack: false
    .vgpr_count:     0
    .vgpr_spill_count: 0
    .wavefront_size: 32
    .workgroup_processor_mode: 1
  - .args:
      - .offset:         0
        .size:           120
        .value_kind:     by_value
    .group_segment_fixed_size: 0
    .kernarg_segment_align: 8
    .kernarg_segment_size: 120
    .language:       OpenCL C
    .language_version:
      - 2
      - 0
    .max_flat_workgroup_size: 512
    .name:           _ZN7rocprim17ROCPRIM_400000_NS6detail17trampoline_kernelINS0_14default_configENS1_25partition_config_selectorILNS1_17partition_subalgoE5ExNS0_10empty_typeEbEEZZNS1_14partition_implILS5_5ELb0ES3_mN6thrust23THRUST_200600_302600_NS6detail15normal_iteratorINSA_10device_ptrIxEEEEPS6_NSA_18transform_iteratorINSB_9not_fun_tI7is_trueIxEEESF_NSA_11use_defaultESM_EENS0_5tupleIJSF_S6_EEENSO_IJSG_SG_EEES6_PlJS6_EEE10hipError_tPvRmT3_T4_T5_T6_T7_T9_mT8_P12ihipStream_tbDpT10_ENKUlT_T0_E_clISt17integral_constantIbLb0EES1B_EEDaS16_S17_EUlS16_E_NS1_11comp_targetILNS1_3genE8ELNS1_11target_archE1030ELNS1_3gpuE2ELNS1_3repE0EEENS1_30default_config_static_selectorELNS0_4arch9wavefront6targetE0EEEvT1_
    .private_segment_fixed_size: 0
    .sgpr_count:     0
    .sgpr_spill_count: 0
    .symbol:         _ZN7rocprim17ROCPRIM_400000_NS6detail17trampoline_kernelINS0_14default_configENS1_25partition_config_selectorILNS1_17partition_subalgoE5ExNS0_10empty_typeEbEEZZNS1_14partition_implILS5_5ELb0ES3_mN6thrust23THRUST_200600_302600_NS6detail15normal_iteratorINSA_10device_ptrIxEEEEPS6_NSA_18transform_iteratorINSB_9not_fun_tI7is_trueIxEEESF_NSA_11use_defaultESM_EENS0_5tupleIJSF_S6_EEENSO_IJSG_SG_EEES6_PlJS6_EEE10hipError_tPvRmT3_T4_T5_T6_T7_T9_mT8_P12ihipStream_tbDpT10_ENKUlT_T0_E_clISt17integral_constantIbLb0EES1B_EEDaS16_S17_EUlS16_E_NS1_11comp_targetILNS1_3genE8ELNS1_11target_archE1030ELNS1_3gpuE2ELNS1_3repE0EEENS1_30default_config_static_selectorELNS0_4arch9wavefront6targetE0EEEvT1_.kd
    .uniform_work_group_size: 1
    .uses_dynamic_stack: false
    .vgpr_count:     0
    .vgpr_spill_count: 0
    .wavefront_size: 32
    .workgroup_processor_mode: 1
  - .args:
      - .offset:         0
        .size:           136
        .value_kind:     by_value
    .group_segment_fixed_size: 0
    .kernarg_segment_align: 8
    .kernarg_segment_size: 136
    .language:       OpenCL C
    .language_version:
      - 2
      - 0
    .max_flat_workgroup_size: 128
    .name:           _ZN7rocprim17ROCPRIM_400000_NS6detail17trampoline_kernelINS0_14default_configENS1_25partition_config_selectorILNS1_17partition_subalgoE5ExNS0_10empty_typeEbEEZZNS1_14partition_implILS5_5ELb0ES3_mN6thrust23THRUST_200600_302600_NS6detail15normal_iteratorINSA_10device_ptrIxEEEEPS6_NSA_18transform_iteratorINSB_9not_fun_tI7is_trueIxEEESF_NSA_11use_defaultESM_EENS0_5tupleIJSF_S6_EEENSO_IJSG_SG_EEES6_PlJS6_EEE10hipError_tPvRmT3_T4_T5_T6_T7_T9_mT8_P12ihipStream_tbDpT10_ENKUlT_T0_E_clISt17integral_constantIbLb1EES1B_EEDaS16_S17_EUlS16_E_NS1_11comp_targetILNS1_3genE0ELNS1_11target_archE4294967295ELNS1_3gpuE0ELNS1_3repE0EEENS1_30default_config_static_selectorELNS0_4arch9wavefront6targetE0EEEvT1_
    .private_segment_fixed_size: 0
    .sgpr_count:     0
    .sgpr_spill_count: 0
    .symbol:         _ZN7rocprim17ROCPRIM_400000_NS6detail17trampoline_kernelINS0_14default_configENS1_25partition_config_selectorILNS1_17partition_subalgoE5ExNS0_10empty_typeEbEEZZNS1_14partition_implILS5_5ELb0ES3_mN6thrust23THRUST_200600_302600_NS6detail15normal_iteratorINSA_10device_ptrIxEEEEPS6_NSA_18transform_iteratorINSB_9not_fun_tI7is_trueIxEEESF_NSA_11use_defaultESM_EENS0_5tupleIJSF_S6_EEENSO_IJSG_SG_EEES6_PlJS6_EEE10hipError_tPvRmT3_T4_T5_T6_T7_T9_mT8_P12ihipStream_tbDpT10_ENKUlT_T0_E_clISt17integral_constantIbLb1EES1B_EEDaS16_S17_EUlS16_E_NS1_11comp_targetILNS1_3genE0ELNS1_11target_archE4294967295ELNS1_3gpuE0ELNS1_3repE0EEENS1_30default_config_static_selectorELNS0_4arch9wavefront6targetE0EEEvT1_.kd
    .uniform_work_group_size: 1
    .uses_dynamic_stack: false
    .vgpr_count:     0
    .vgpr_spill_count: 0
    .wavefront_size: 32
    .workgroup_processor_mode: 1
  - .args:
      - .offset:         0
        .size:           136
        .value_kind:     by_value
    .group_segment_fixed_size: 0
    .kernarg_segment_align: 8
    .kernarg_segment_size: 136
    .language:       OpenCL C
    .language_version:
      - 2
      - 0
    .max_flat_workgroup_size: 512
    .name:           _ZN7rocprim17ROCPRIM_400000_NS6detail17trampoline_kernelINS0_14default_configENS1_25partition_config_selectorILNS1_17partition_subalgoE5ExNS0_10empty_typeEbEEZZNS1_14partition_implILS5_5ELb0ES3_mN6thrust23THRUST_200600_302600_NS6detail15normal_iteratorINSA_10device_ptrIxEEEEPS6_NSA_18transform_iteratorINSB_9not_fun_tI7is_trueIxEEESF_NSA_11use_defaultESM_EENS0_5tupleIJSF_S6_EEENSO_IJSG_SG_EEES6_PlJS6_EEE10hipError_tPvRmT3_T4_T5_T6_T7_T9_mT8_P12ihipStream_tbDpT10_ENKUlT_T0_E_clISt17integral_constantIbLb1EES1B_EEDaS16_S17_EUlS16_E_NS1_11comp_targetILNS1_3genE5ELNS1_11target_archE942ELNS1_3gpuE9ELNS1_3repE0EEENS1_30default_config_static_selectorELNS0_4arch9wavefront6targetE0EEEvT1_
    .private_segment_fixed_size: 0
    .sgpr_count:     0
    .sgpr_spill_count: 0
    .symbol:         _ZN7rocprim17ROCPRIM_400000_NS6detail17trampoline_kernelINS0_14default_configENS1_25partition_config_selectorILNS1_17partition_subalgoE5ExNS0_10empty_typeEbEEZZNS1_14partition_implILS5_5ELb0ES3_mN6thrust23THRUST_200600_302600_NS6detail15normal_iteratorINSA_10device_ptrIxEEEEPS6_NSA_18transform_iteratorINSB_9not_fun_tI7is_trueIxEEESF_NSA_11use_defaultESM_EENS0_5tupleIJSF_S6_EEENSO_IJSG_SG_EEES6_PlJS6_EEE10hipError_tPvRmT3_T4_T5_T6_T7_T9_mT8_P12ihipStream_tbDpT10_ENKUlT_T0_E_clISt17integral_constantIbLb1EES1B_EEDaS16_S17_EUlS16_E_NS1_11comp_targetILNS1_3genE5ELNS1_11target_archE942ELNS1_3gpuE9ELNS1_3repE0EEENS1_30default_config_static_selectorELNS0_4arch9wavefront6targetE0EEEvT1_.kd
    .uniform_work_group_size: 1
    .uses_dynamic_stack: false
    .vgpr_count:     0
    .vgpr_spill_count: 0
    .wavefront_size: 32
    .workgroup_processor_mode: 1
  - .args:
      - .offset:         0
        .size:           136
        .value_kind:     by_value
    .group_segment_fixed_size: 0
    .kernarg_segment_align: 8
    .kernarg_segment_size: 136
    .language:       OpenCL C
    .language_version:
      - 2
      - 0
    .max_flat_workgroup_size: 192
    .name:           _ZN7rocprim17ROCPRIM_400000_NS6detail17trampoline_kernelINS0_14default_configENS1_25partition_config_selectorILNS1_17partition_subalgoE5ExNS0_10empty_typeEbEEZZNS1_14partition_implILS5_5ELb0ES3_mN6thrust23THRUST_200600_302600_NS6detail15normal_iteratorINSA_10device_ptrIxEEEEPS6_NSA_18transform_iteratorINSB_9not_fun_tI7is_trueIxEEESF_NSA_11use_defaultESM_EENS0_5tupleIJSF_S6_EEENSO_IJSG_SG_EEES6_PlJS6_EEE10hipError_tPvRmT3_T4_T5_T6_T7_T9_mT8_P12ihipStream_tbDpT10_ENKUlT_T0_E_clISt17integral_constantIbLb1EES1B_EEDaS16_S17_EUlS16_E_NS1_11comp_targetILNS1_3genE4ELNS1_11target_archE910ELNS1_3gpuE8ELNS1_3repE0EEENS1_30default_config_static_selectorELNS0_4arch9wavefront6targetE0EEEvT1_
    .private_segment_fixed_size: 0
    .sgpr_count:     0
    .sgpr_spill_count: 0
    .symbol:         _ZN7rocprim17ROCPRIM_400000_NS6detail17trampoline_kernelINS0_14default_configENS1_25partition_config_selectorILNS1_17partition_subalgoE5ExNS0_10empty_typeEbEEZZNS1_14partition_implILS5_5ELb0ES3_mN6thrust23THRUST_200600_302600_NS6detail15normal_iteratorINSA_10device_ptrIxEEEEPS6_NSA_18transform_iteratorINSB_9not_fun_tI7is_trueIxEEESF_NSA_11use_defaultESM_EENS0_5tupleIJSF_S6_EEENSO_IJSG_SG_EEES6_PlJS6_EEE10hipError_tPvRmT3_T4_T5_T6_T7_T9_mT8_P12ihipStream_tbDpT10_ENKUlT_T0_E_clISt17integral_constantIbLb1EES1B_EEDaS16_S17_EUlS16_E_NS1_11comp_targetILNS1_3genE4ELNS1_11target_archE910ELNS1_3gpuE8ELNS1_3repE0EEENS1_30default_config_static_selectorELNS0_4arch9wavefront6targetE0EEEvT1_.kd
    .uniform_work_group_size: 1
    .uses_dynamic_stack: false
    .vgpr_count:     0
    .vgpr_spill_count: 0
    .wavefront_size: 32
    .workgroup_processor_mode: 1
  - .args:
      - .offset:         0
        .size:           136
        .value_kind:     by_value
    .group_segment_fixed_size: 0
    .kernarg_segment_align: 8
    .kernarg_segment_size: 136
    .language:       OpenCL C
    .language_version:
      - 2
      - 0
    .max_flat_workgroup_size: 128
    .name:           _ZN7rocprim17ROCPRIM_400000_NS6detail17trampoline_kernelINS0_14default_configENS1_25partition_config_selectorILNS1_17partition_subalgoE5ExNS0_10empty_typeEbEEZZNS1_14partition_implILS5_5ELb0ES3_mN6thrust23THRUST_200600_302600_NS6detail15normal_iteratorINSA_10device_ptrIxEEEEPS6_NSA_18transform_iteratorINSB_9not_fun_tI7is_trueIxEEESF_NSA_11use_defaultESM_EENS0_5tupleIJSF_S6_EEENSO_IJSG_SG_EEES6_PlJS6_EEE10hipError_tPvRmT3_T4_T5_T6_T7_T9_mT8_P12ihipStream_tbDpT10_ENKUlT_T0_E_clISt17integral_constantIbLb1EES1B_EEDaS16_S17_EUlS16_E_NS1_11comp_targetILNS1_3genE3ELNS1_11target_archE908ELNS1_3gpuE7ELNS1_3repE0EEENS1_30default_config_static_selectorELNS0_4arch9wavefront6targetE0EEEvT1_
    .private_segment_fixed_size: 0
    .sgpr_count:     0
    .sgpr_spill_count: 0
    .symbol:         _ZN7rocprim17ROCPRIM_400000_NS6detail17trampoline_kernelINS0_14default_configENS1_25partition_config_selectorILNS1_17partition_subalgoE5ExNS0_10empty_typeEbEEZZNS1_14partition_implILS5_5ELb0ES3_mN6thrust23THRUST_200600_302600_NS6detail15normal_iteratorINSA_10device_ptrIxEEEEPS6_NSA_18transform_iteratorINSB_9not_fun_tI7is_trueIxEEESF_NSA_11use_defaultESM_EENS0_5tupleIJSF_S6_EEENSO_IJSG_SG_EEES6_PlJS6_EEE10hipError_tPvRmT3_T4_T5_T6_T7_T9_mT8_P12ihipStream_tbDpT10_ENKUlT_T0_E_clISt17integral_constantIbLb1EES1B_EEDaS16_S17_EUlS16_E_NS1_11comp_targetILNS1_3genE3ELNS1_11target_archE908ELNS1_3gpuE7ELNS1_3repE0EEENS1_30default_config_static_selectorELNS0_4arch9wavefront6targetE0EEEvT1_.kd
    .uniform_work_group_size: 1
    .uses_dynamic_stack: false
    .vgpr_count:     0
    .vgpr_spill_count: 0
    .wavefront_size: 32
    .workgroup_processor_mode: 1
  - .args:
      - .offset:         0
        .size:           136
        .value_kind:     by_value
    .group_segment_fixed_size: 0
    .kernarg_segment_align: 8
    .kernarg_segment_size: 136
    .language:       OpenCL C
    .language_version:
      - 2
      - 0
    .max_flat_workgroup_size: 256
    .name:           _ZN7rocprim17ROCPRIM_400000_NS6detail17trampoline_kernelINS0_14default_configENS1_25partition_config_selectorILNS1_17partition_subalgoE5ExNS0_10empty_typeEbEEZZNS1_14partition_implILS5_5ELb0ES3_mN6thrust23THRUST_200600_302600_NS6detail15normal_iteratorINSA_10device_ptrIxEEEEPS6_NSA_18transform_iteratorINSB_9not_fun_tI7is_trueIxEEESF_NSA_11use_defaultESM_EENS0_5tupleIJSF_S6_EEENSO_IJSG_SG_EEES6_PlJS6_EEE10hipError_tPvRmT3_T4_T5_T6_T7_T9_mT8_P12ihipStream_tbDpT10_ENKUlT_T0_E_clISt17integral_constantIbLb1EES1B_EEDaS16_S17_EUlS16_E_NS1_11comp_targetILNS1_3genE2ELNS1_11target_archE906ELNS1_3gpuE6ELNS1_3repE0EEENS1_30default_config_static_selectorELNS0_4arch9wavefront6targetE0EEEvT1_
    .private_segment_fixed_size: 0
    .sgpr_count:     0
    .sgpr_spill_count: 0
    .symbol:         _ZN7rocprim17ROCPRIM_400000_NS6detail17trampoline_kernelINS0_14default_configENS1_25partition_config_selectorILNS1_17partition_subalgoE5ExNS0_10empty_typeEbEEZZNS1_14partition_implILS5_5ELb0ES3_mN6thrust23THRUST_200600_302600_NS6detail15normal_iteratorINSA_10device_ptrIxEEEEPS6_NSA_18transform_iteratorINSB_9not_fun_tI7is_trueIxEEESF_NSA_11use_defaultESM_EENS0_5tupleIJSF_S6_EEENSO_IJSG_SG_EEES6_PlJS6_EEE10hipError_tPvRmT3_T4_T5_T6_T7_T9_mT8_P12ihipStream_tbDpT10_ENKUlT_T0_E_clISt17integral_constantIbLb1EES1B_EEDaS16_S17_EUlS16_E_NS1_11comp_targetILNS1_3genE2ELNS1_11target_archE906ELNS1_3gpuE6ELNS1_3repE0EEENS1_30default_config_static_selectorELNS0_4arch9wavefront6targetE0EEEvT1_.kd
    .uniform_work_group_size: 1
    .uses_dynamic_stack: false
    .vgpr_count:     0
    .vgpr_spill_count: 0
    .wavefront_size: 32
    .workgroup_processor_mode: 1
  - .args:
      - .offset:         0
        .size:           136
        .value_kind:     by_value
    .group_segment_fixed_size: 0
    .kernarg_segment_align: 8
    .kernarg_segment_size: 136
    .language:       OpenCL C
    .language_version:
      - 2
      - 0
    .max_flat_workgroup_size: 256
    .name:           _ZN7rocprim17ROCPRIM_400000_NS6detail17trampoline_kernelINS0_14default_configENS1_25partition_config_selectorILNS1_17partition_subalgoE5ExNS0_10empty_typeEbEEZZNS1_14partition_implILS5_5ELb0ES3_mN6thrust23THRUST_200600_302600_NS6detail15normal_iteratorINSA_10device_ptrIxEEEEPS6_NSA_18transform_iteratorINSB_9not_fun_tI7is_trueIxEEESF_NSA_11use_defaultESM_EENS0_5tupleIJSF_S6_EEENSO_IJSG_SG_EEES6_PlJS6_EEE10hipError_tPvRmT3_T4_T5_T6_T7_T9_mT8_P12ihipStream_tbDpT10_ENKUlT_T0_E_clISt17integral_constantIbLb1EES1B_EEDaS16_S17_EUlS16_E_NS1_11comp_targetILNS1_3genE10ELNS1_11target_archE1200ELNS1_3gpuE4ELNS1_3repE0EEENS1_30default_config_static_selectorELNS0_4arch9wavefront6targetE0EEEvT1_
    .private_segment_fixed_size: 0
    .sgpr_count:     0
    .sgpr_spill_count: 0
    .symbol:         _ZN7rocprim17ROCPRIM_400000_NS6detail17trampoline_kernelINS0_14default_configENS1_25partition_config_selectorILNS1_17partition_subalgoE5ExNS0_10empty_typeEbEEZZNS1_14partition_implILS5_5ELb0ES3_mN6thrust23THRUST_200600_302600_NS6detail15normal_iteratorINSA_10device_ptrIxEEEEPS6_NSA_18transform_iteratorINSB_9not_fun_tI7is_trueIxEEESF_NSA_11use_defaultESM_EENS0_5tupleIJSF_S6_EEENSO_IJSG_SG_EEES6_PlJS6_EEE10hipError_tPvRmT3_T4_T5_T6_T7_T9_mT8_P12ihipStream_tbDpT10_ENKUlT_T0_E_clISt17integral_constantIbLb1EES1B_EEDaS16_S17_EUlS16_E_NS1_11comp_targetILNS1_3genE10ELNS1_11target_archE1200ELNS1_3gpuE4ELNS1_3repE0EEENS1_30default_config_static_selectorELNS0_4arch9wavefront6targetE0EEEvT1_.kd
    .uniform_work_group_size: 1
    .uses_dynamic_stack: false
    .vgpr_count:     0
    .vgpr_spill_count: 0
    .wavefront_size: 32
    .workgroup_processor_mode: 1
  - .args:
      - .offset:         0
        .size:           136
        .value_kind:     by_value
    .group_segment_fixed_size: 0
    .kernarg_segment_align: 8
    .kernarg_segment_size: 136
    .language:       OpenCL C
    .language_version:
      - 2
      - 0
    .max_flat_workgroup_size: 128
    .name:           _ZN7rocprim17ROCPRIM_400000_NS6detail17trampoline_kernelINS0_14default_configENS1_25partition_config_selectorILNS1_17partition_subalgoE5ExNS0_10empty_typeEbEEZZNS1_14partition_implILS5_5ELb0ES3_mN6thrust23THRUST_200600_302600_NS6detail15normal_iteratorINSA_10device_ptrIxEEEEPS6_NSA_18transform_iteratorINSB_9not_fun_tI7is_trueIxEEESF_NSA_11use_defaultESM_EENS0_5tupleIJSF_S6_EEENSO_IJSG_SG_EEES6_PlJS6_EEE10hipError_tPvRmT3_T4_T5_T6_T7_T9_mT8_P12ihipStream_tbDpT10_ENKUlT_T0_E_clISt17integral_constantIbLb1EES1B_EEDaS16_S17_EUlS16_E_NS1_11comp_targetILNS1_3genE9ELNS1_11target_archE1100ELNS1_3gpuE3ELNS1_3repE0EEENS1_30default_config_static_selectorELNS0_4arch9wavefront6targetE0EEEvT1_
    .private_segment_fixed_size: 0
    .sgpr_count:     0
    .sgpr_spill_count: 0
    .symbol:         _ZN7rocprim17ROCPRIM_400000_NS6detail17trampoline_kernelINS0_14default_configENS1_25partition_config_selectorILNS1_17partition_subalgoE5ExNS0_10empty_typeEbEEZZNS1_14partition_implILS5_5ELb0ES3_mN6thrust23THRUST_200600_302600_NS6detail15normal_iteratorINSA_10device_ptrIxEEEEPS6_NSA_18transform_iteratorINSB_9not_fun_tI7is_trueIxEEESF_NSA_11use_defaultESM_EENS0_5tupleIJSF_S6_EEENSO_IJSG_SG_EEES6_PlJS6_EEE10hipError_tPvRmT3_T4_T5_T6_T7_T9_mT8_P12ihipStream_tbDpT10_ENKUlT_T0_E_clISt17integral_constantIbLb1EES1B_EEDaS16_S17_EUlS16_E_NS1_11comp_targetILNS1_3genE9ELNS1_11target_archE1100ELNS1_3gpuE3ELNS1_3repE0EEENS1_30default_config_static_selectorELNS0_4arch9wavefront6targetE0EEEvT1_.kd
    .uniform_work_group_size: 1
    .uses_dynamic_stack: false
    .vgpr_count:     0
    .vgpr_spill_count: 0
    .wavefront_size: 32
    .workgroup_processor_mode: 1
  - .args:
      - .offset:         0
        .size:           136
        .value_kind:     by_value
    .group_segment_fixed_size: 0
    .kernarg_segment_align: 8
    .kernarg_segment_size: 136
    .language:       OpenCL C
    .language_version:
      - 2
      - 0
    .max_flat_workgroup_size: 512
    .name:           _ZN7rocprim17ROCPRIM_400000_NS6detail17trampoline_kernelINS0_14default_configENS1_25partition_config_selectorILNS1_17partition_subalgoE5ExNS0_10empty_typeEbEEZZNS1_14partition_implILS5_5ELb0ES3_mN6thrust23THRUST_200600_302600_NS6detail15normal_iteratorINSA_10device_ptrIxEEEEPS6_NSA_18transform_iteratorINSB_9not_fun_tI7is_trueIxEEESF_NSA_11use_defaultESM_EENS0_5tupleIJSF_S6_EEENSO_IJSG_SG_EEES6_PlJS6_EEE10hipError_tPvRmT3_T4_T5_T6_T7_T9_mT8_P12ihipStream_tbDpT10_ENKUlT_T0_E_clISt17integral_constantIbLb1EES1B_EEDaS16_S17_EUlS16_E_NS1_11comp_targetILNS1_3genE8ELNS1_11target_archE1030ELNS1_3gpuE2ELNS1_3repE0EEENS1_30default_config_static_selectorELNS0_4arch9wavefront6targetE0EEEvT1_
    .private_segment_fixed_size: 0
    .sgpr_count:     0
    .sgpr_spill_count: 0
    .symbol:         _ZN7rocprim17ROCPRIM_400000_NS6detail17trampoline_kernelINS0_14default_configENS1_25partition_config_selectorILNS1_17partition_subalgoE5ExNS0_10empty_typeEbEEZZNS1_14partition_implILS5_5ELb0ES3_mN6thrust23THRUST_200600_302600_NS6detail15normal_iteratorINSA_10device_ptrIxEEEEPS6_NSA_18transform_iteratorINSB_9not_fun_tI7is_trueIxEEESF_NSA_11use_defaultESM_EENS0_5tupleIJSF_S6_EEENSO_IJSG_SG_EEES6_PlJS6_EEE10hipError_tPvRmT3_T4_T5_T6_T7_T9_mT8_P12ihipStream_tbDpT10_ENKUlT_T0_E_clISt17integral_constantIbLb1EES1B_EEDaS16_S17_EUlS16_E_NS1_11comp_targetILNS1_3genE8ELNS1_11target_archE1030ELNS1_3gpuE2ELNS1_3repE0EEENS1_30default_config_static_selectorELNS0_4arch9wavefront6targetE0EEEvT1_.kd
    .uniform_work_group_size: 1
    .uses_dynamic_stack: false
    .vgpr_count:     0
    .vgpr_spill_count: 0
    .wavefront_size: 32
    .workgroup_processor_mode: 1
  - .args:
      - .offset:         0
        .size:           120
        .value_kind:     by_value
    .group_segment_fixed_size: 0
    .kernarg_segment_align: 8
    .kernarg_segment_size: 120
    .language:       OpenCL C
    .language_version:
      - 2
      - 0
    .max_flat_workgroup_size: 128
    .name:           _ZN7rocprim17ROCPRIM_400000_NS6detail17trampoline_kernelINS0_14default_configENS1_25partition_config_selectorILNS1_17partition_subalgoE5ExNS0_10empty_typeEbEEZZNS1_14partition_implILS5_5ELb0ES3_mN6thrust23THRUST_200600_302600_NS6detail15normal_iteratorINSA_10device_ptrIxEEEEPS6_NSA_18transform_iteratorINSB_9not_fun_tI7is_trueIxEEESF_NSA_11use_defaultESM_EENS0_5tupleIJSF_S6_EEENSO_IJSG_SG_EEES6_PlJS6_EEE10hipError_tPvRmT3_T4_T5_T6_T7_T9_mT8_P12ihipStream_tbDpT10_ENKUlT_T0_E_clISt17integral_constantIbLb1EES1A_IbLb0EEEEDaS16_S17_EUlS16_E_NS1_11comp_targetILNS1_3genE0ELNS1_11target_archE4294967295ELNS1_3gpuE0ELNS1_3repE0EEENS1_30default_config_static_selectorELNS0_4arch9wavefront6targetE0EEEvT1_
    .private_segment_fixed_size: 0
    .sgpr_count:     0
    .sgpr_spill_count: 0
    .symbol:         _ZN7rocprim17ROCPRIM_400000_NS6detail17trampoline_kernelINS0_14default_configENS1_25partition_config_selectorILNS1_17partition_subalgoE5ExNS0_10empty_typeEbEEZZNS1_14partition_implILS5_5ELb0ES3_mN6thrust23THRUST_200600_302600_NS6detail15normal_iteratorINSA_10device_ptrIxEEEEPS6_NSA_18transform_iteratorINSB_9not_fun_tI7is_trueIxEEESF_NSA_11use_defaultESM_EENS0_5tupleIJSF_S6_EEENSO_IJSG_SG_EEES6_PlJS6_EEE10hipError_tPvRmT3_T4_T5_T6_T7_T9_mT8_P12ihipStream_tbDpT10_ENKUlT_T0_E_clISt17integral_constantIbLb1EES1A_IbLb0EEEEDaS16_S17_EUlS16_E_NS1_11comp_targetILNS1_3genE0ELNS1_11target_archE4294967295ELNS1_3gpuE0ELNS1_3repE0EEENS1_30default_config_static_selectorELNS0_4arch9wavefront6targetE0EEEvT1_.kd
    .uniform_work_group_size: 1
    .uses_dynamic_stack: false
    .vgpr_count:     0
    .vgpr_spill_count: 0
    .wavefront_size: 32
    .workgroup_processor_mode: 1
  - .args:
      - .offset:         0
        .size:           120
        .value_kind:     by_value
    .group_segment_fixed_size: 0
    .kernarg_segment_align: 8
    .kernarg_segment_size: 120
    .language:       OpenCL C
    .language_version:
      - 2
      - 0
    .max_flat_workgroup_size: 512
    .name:           _ZN7rocprim17ROCPRIM_400000_NS6detail17trampoline_kernelINS0_14default_configENS1_25partition_config_selectorILNS1_17partition_subalgoE5ExNS0_10empty_typeEbEEZZNS1_14partition_implILS5_5ELb0ES3_mN6thrust23THRUST_200600_302600_NS6detail15normal_iteratorINSA_10device_ptrIxEEEEPS6_NSA_18transform_iteratorINSB_9not_fun_tI7is_trueIxEEESF_NSA_11use_defaultESM_EENS0_5tupleIJSF_S6_EEENSO_IJSG_SG_EEES6_PlJS6_EEE10hipError_tPvRmT3_T4_T5_T6_T7_T9_mT8_P12ihipStream_tbDpT10_ENKUlT_T0_E_clISt17integral_constantIbLb1EES1A_IbLb0EEEEDaS16_S17_EUlS16_E_NS1_11comp_targetILNS1_3genE5ELNS1_11target_archE942ELNS1_3gpuE9ELNS1_3repE0EEENS1_30default_config_static_selectorELNS0_4arch9wavefront6targetE0EEEvT1_
    .private_segment_fixed_size: 0
    .sgpr_count:     0
    .sgpr_spill_count: 0
    .symbol:         _ZN7rocprim17ROCPRIM_400000_NS6detail17trampoline_kernelINS0_14default_configENS1_25partition_config_selectorILNS1_17partition_subalgoE5ExNS0_10empty_typeEbEEZZNS1_14partition_implILS5_5ELb0ES3_mN6thrust23THRUST_200600_302600_NS6detail15normal_iteratorINSA_10device_ptrIxEEEEPS6_NSA_18transform_iteratorINSB_9not_fun_tI7is_trueIxEEESF_NSA_11use_defaultESM_EENS0_5tupleIJSF_S6_EEENSO_IJSG_SG_EEES6_PlJS6_EEE10hipError_tPvRmT3_T4_T5_T6_T7_T9_mT8_P12ihipStream_tbDpT10_ENKUlT_T0_E_clISt17integral_constantIbLb1EES1A_IbLb0EEEEDaS16_S17_EUlS16_E_NS1_11comp_targetILNS1_3genE5ELNS1_11target_archE942ELNS1_3gpuE9ELNS1_3repE0EEENS1_30default_config_static_selectorELNS0_4arch9wavefront6targetE0EEEvT1_.kd
    .uniform_work_group_size: 1
    .uses_dynamic_stack: false
    .vgpr_count:     0
    .vgpr_spill_count: 0
    .wavefront_size: 32
    .workgroup_processor_mode: 1
  - .args:
      - .offset:         0
        .size:           120
        .value_kind:     by_value
    .group_segment_fixed_size: 0
    .kernarg_segment_align: 8
    .kernarg_segment_size: 120
    .language:       OpenCL C
    .language_version:
      - 2
      - 0
    .max_flat_workgroup_size: 192
    .name:           _ZN7rocprim17ROCPRIM_400000_NS6detail17trampoline_kernelINS0_14default_configENS1_25partition_config_selectorILNS1_17partition_subalgoE5ExNS0_10empty_typeEbEEZZNS1_14partition_implILS5_5ELb0ES3_mN6thrust23THRUST_200600_302600_NS6detail15normal_iteratorINSA_10device_ptrIxEEEEPS6_NSA_18transform_iteratorINSB_9not_fun_tI7is_trueIxEEESF_NSA_11use_defaultESM_EENS0_5tupleIJSF_S6_EEENSO_IJSG_SG_EEES6_PlJS6_EEE10hipError_tPvRmT3_T4_T5_T6_T7_T9_mT8_P12ihipStream_tbDpT10_ENKUlT_T0_E_clISt17integral_constantIbLb1EES1A_IbLb0EEEEDaS16_S17_EUlS16_E_NS1_11comp_targetILNS1_3genE4ELNS1_11target_archE910ELNS1_3gpuE8ELNS1_3repE0EEENS1_30default_config_static_selectorELNS0_4arch9wavefront6targetE0EEEvT1_
    .private_segment_fixed_size: 0
    .sgpr_count:     0
    .sgpr_spill_count: 0
    .symbol:         _ZN7rocprim17ROCPRIM_400000_NS6detail17trampoline_kernelINS0_14default_configENS1_25partition_config_selectorILNS1_17partition_subalgoE5ExNS0_10empty_typeEbEEZZNS1_14partition_implILS5_5ELb0ES3_mN6thrust23THRUST_200600_302600_NS6detail15normal_iteratorINSA_10device_ptrIxEEEEPS6_NSA_18transform_iteratorINSB_9not_fun_tI7is_trueIxEEESF_NSA_11use_defaultESM_EENS0_5tupleIJSF_S6_EEENSO_IJSG_SG_EEES6_PlJS6_EEE10hipError_tPvRmT3_T4_T5_T6_T7_T9_mT8_P12ihipStream_tbDpT10_ENKUlT_T0_E_clISt17integral_constantIbLb1EES1A_IbLb0EEEEDaS16_S17_EUlS16_E_NS1_11comp_targetILNS1_3genE4ELNS1_11target_archE910ELNS1_3gpuE8ELNS1_3repE0EEENS1_30default_config_static_selectorELNS0_4arch9wavefront6targetE0EEEvT1_.kd
    .uniform_work_group_size: 1
    .uses_dynamic_stack: false
    .vgpr_count:     0
    .vgpr_spill_count: 0
    .wavefront_size: 32
    .workgroup_processor_mode: 1
  - .args:
      - .offset:         0
        .size:           120
        .value_kind:     by_value
    .group_segment_fixed_size: 0
    .kernarg_segment_align: 8
    .kernarg_segment_size: 120
    .language:       OpenCL C
    .language_version:
      - 2
      - 0
    .max_flat_workgroup_size: 128
    .name:           _ZN7rocprim17ROCPRIM_400000_NS6detail17trampoline_kernelINS0_14default_configENS1_25partition_config_selectorILNS1_17partition_subalgoE5ExNS0_10empty_typeEbEEZZNS1_14partition_implILS5_5ELb0ES3_mN6thrust23THRUST_200600_302600_NS6detail15normal_iteratorINSA_10device_ptrIxEEEEPS6_NSA_18transform_iteratorINSB_9not_fun_tI7is_trueIxEEESF_NSA_11use_defaultESM_EENS0_5tupleIJSF_S6_EEENSO_IJSG_SG_EEES6_PlJS6_EEE10hipError_tPvRmT3_T4_T5_T6_T7_T9_mT8_P12ihipStream_tbDpT10_ENKUlT_T0_E_clISt17integral_constantIbLb1EES1A_IbLb0EEEEDaS16_S17_EUlS16_E_NS1_11comp_targetILNS1_3genE3ELNS1_11target_archE908ELNS1_3gpuE7ELNS1_3repE0EEENS1_30default_config_static_selectorELNS0_4arch9wavefront6targetE0EEEvT1_
    .private_segment_fixed_size: 0
    .sgpr_count:     0
    .sgpr_spill_count: 0
    .symbol:         _ZN7rocprim17ROCPRIM_400000_NS6detail17trampoline_kernelINS0_14default_configENS1_25partition_config_selectorILNS1_17partition_subalgoE5ExNS0_10empty_typeEbEEZZNS1_14partition_implILS5_5ELb0ES3_mN6thrust23THRUST_200600_302600_NS6detail15normal_iteratorINSA_10device_ptrIxEEEEPS6_NSA_18transform_iteratorINSB_9not_fun_tI7is_trueIxEEESF_NSA_11use_defaultESM_EENS0_5tupleIJSF_S6_EEENSO_IJSG_SG_EEES6_PlJS6_EEE10hipError_tPvRmT3_T4_T5_T6_T7_T9_mT8_P12ihipStream_tbDpT10_ENKUlT_T0_E_clISt17integral_constantIbLb1EES1A_IbLb0EEEEDaS16_S17_EUlS16_E_NS1_11comp_targetILNS1_3genE3ELNS1_11target_archE908ELNS1_3gpuE7ELNS1_3repE0EEENS1_30default_config_static_selectorELNS0_4arch9wavefront6targetE0EEEvT1_.kd
    .uniform_work_group_size: 1
    .uses_dynamic_stack: false
    .vgpr_count:     0
    .vgpr_spill_count: 0
    .wavefront_size: 32
    .workgroup_processor_mode: 1
  - .args:
      - .offset:         0
        .size:           120
        .value_kind:     by_value
    .group_segment_fixed_size: 0
    .kernarg_segment_align: 8
    .kernarg_segment_size: 120
    .language:       OpenCL C
    .language_version:
      - 2
      - 0
    .max_flat_workgroup_size: 256
    .name:           _ZN7rocprim17ROCPRIM_400000_NS6detail17trampoline_kernelINS0_14default_configENS1_25partition_config_selectorILNS1_17partition_subalgoE5ExNS0_10empty_typeEbEEZZNS1_14partition_implILS5_5ELb0ES3_mN6thrust23THRUST_200600_302600_NS6detail15normal_iteratorINSA_10device_ptrIxEEEEPS6_NSA_18transform_iteratorINSB_9not_fun_tI7is_trueIxEEESF_NSA_11use_defaultESM_EENS0_5tupleIJSF_S6_EEENSO_IJSG_SG_EEES6_PlJS6_EEE10hipError_tPvRmT3_T4_T5_T6_T7_T9_mT8_P12ihipStream_tbDpT10_ENKUlT_T0_E_clISt17integral_constantIbLb1EES1A_IbLb0EEEEDaS16_S17_EUlS16_E_NS1_11comp_targetILNS1_3genE2ELNS1_11target_archE906ELNS1_3gpuE6ELNS1_3repE0EEENS1_30default_config_static_selectorELNS0_4arch9wavefront6targetE0EEEvT1_
    .private_segment_fixed_size: 0
    .sgpr_count:     0
    .sgpr_spill_count: 0
    .symbol:         _ZN7rocprim17ROCPRIM_400000_NS6detail17trampoline_kernelINS0_14default_configENS1_25partition_config_selectorILNS1_17partition_subalgoE5ExNS0_10empty_typeEbEEZZNS1_14partition_implILS5_5ELb0ES3_mN6thrust23THRUST_200600_302600_NS6detail15normal_iteratorINSA_10device_ptrIxEEEEPS6_NSA_18transform_iteratorINSB_9not_fun_tI7is_trueIxEEESF_NSA_11use_defaultESM_EENS0_5tupleIJSF_S6_EEENSO_IJSG_SG_EEES6_PlJS6_EEE10hipError_tPvRmT3_T4_T5_T6_T7_T9_mT8_P12ihipStream_tbDpT10_ENKUlT_T0_E_clISt17integral_constantIbLb1EES1A_IbLb0EEEEDaS16_S17_EUlS16_E_NS1_11comp_targetILNS1_3genE2ELNS1_11target_archE906ELNS1_3gpuE6ELNS1_3repE0EEENS1_30default_config_static_selectorELNS0_4arch9wavefront6targetE0EEEvT1_.kd
    .uniform_work_group_size: 1
    .uses_dynamic_stack: false
    .vgpr_count:     0
    .vgpr_spill_count: 0
    .wavefront_size: 32
    .workgroup_processor_mode: 1
  - .args:
      - .offset:         0
        .size:           120
        .value_kind:     by_value
    .group_segment_fixed_size: 0
    .kernarg_segment_align: 8
    .kernarg_segment_size: 120
    .language:       OpenCL C
    .language_version:
      - 2
      - 0
    .max_flat_workgroup_size: 256
    .name:           _ZN7rocprim17ROCPRIM_400000_NS6detail17trampoline_kernelINS0_14default_configENS1_25partition_config_selectorILNS1_17partition_subalgoE5ExNS0_10empty_typeEbEEZZNS1_14partition_implILS5_5ELb0ES3_mN6thrust23THRUST_200600_302600_NS6detail15normal_iteratorINSA_10device_ptrIxEEEEPS6_NSA_18transform_iteratorINSB_9not_fun_tI7is_trueIxEEESF_NSA_11use_defaultESM_EENS0_5tupleIJSF_S6_EEENSO_IJSG_SG_EEES6_PlJS6_EEE10hipError_tPvRmT3_T4_T5_T6_T7_T9_mT8_P12ihipStream_tbDpT10_ENKUlT_T0_E_clISt17integral_constantIbLb1EES1A_IbLb0EEEEDaS16_S17_EUlS16_E_NS1_11comp_targetILNS1_3genE10ELNS1_11target_archE1200ELNS1_3gpuE4ELNS1_3repE0EEENS1_30default_config_static_selectorELNS0_4arch9wavefront6targetE0EEEvT1_
    .private_segment_fixed_size: 0
    .sgpr_count:     0
    .sgpr_spill_count: 0
    .symbol:         _ZN7rocprim17ROCPRIM_400000_NS6detail17trampoline_kernelINS0_14default_configENS1_25partition_config_selectorILNS1_17partition_subalgoE5ExNS0_10empty_typeEbEEZZNS1_14partition_implILS5_5ELb0ES3_mN6thrust23THRUST_200600_302600_NS6detail15normal_iteratorINSA_10device_ptrIxEEEEPS6_NSA_18transform_iteratorINSB_9not_fun_tI7is_trueIxEEESF_NSA_11use_defaultESM_EENS0_5tupleIJSF_S6_EEENSO_IJSG_SG_EEES6_PlJS6_EEE10hipError_tPvRmT3_T4_T5_T6_T7_T9_mT8_P12ihipStream_tbDpT10_ENKUlT_T0_E_clISt17integral_constantIbLb1EES1A_IbLb0EEEEDaS16_S17_EUlS16_E_NS1_11comp_targetILNS1_3genE10ELNS1_11target_archE1200ELNS1_3gpuE4ELNS1_3repE0EEENS1_30default_config_static_selectorELNS0_4arch9wavefront6targetE0EEEvT1_.kd
    .uniform_work_group_size: 1
    .uses_dynamic_stack: false
    .vgpr_count:     0
    .vgpr_spill_count: 0
    .wavefront_size: 32
    .workgroup_processor_mode: 1
  - .args:
      - .offset:         0
        .size:           120
        .value_kind:     by_value
    .group_segment_fixed_size: 0
    .kernarg_segment_align: 8
    .kernarg_segment_size: 120
    .language:       OpenCL C
    .language_version:
      - 2
      - 0
    .max_flat_workgroup_size: 128
    .name:           _ZN7rocprim17ROCPRIM_400000_NS6detail17trampoline_kernelINS0_14default_configENS1_25partition_config_selectorILNS1_17partition_subalgoE5ExNS0_10empty_typeEbEEZZNS1_14partition_implILS5_5ELb0ES3_mN6thrust23THRUST_200600_302600_NS6detail15normal_iteratorINSA_10device_ptrIxEEEEPS6_NSA_18transform_iteratorINSB_9not_fun_tI7is_trueIxEEESF_NSA_11use_defaultESM_EENS0_5tupleIJSF_S6_EEENSO_IJSG_SG_EEES6_PlJS6_EEE10hipError_tPvRmT3_T4_T5_T6_T7_T9_mT8_P12ihipStream_tbDpT10_ENKUlT_T0_E_clISt17integral_constantIbLb1EES1A_IbLb0EEEEDaS16_S17_EUlS16_E_NS1_11comp_targetILNS1_3genE9ELNS1_11target_archE1100ELNS1_3gpuE3ELNS1_3repE0EEENS1_30default_config_static_selectorELNS0_4arch9wavefront6targetE0EEEvT1_
    .private_segment_fixed_size: 0
    .sgpr_count:     0
    .sgpr_spill_count: 0
    .symbol:         _ZN7rocprim17ROCPRIM_400000_NS6detail17trampoline_kernelINS0_14default_configENS1_25partition_config_selectorILNS1_17partition_subalgoE5ExNS0_10empty_typeEbEEZZNS1_14partition_implILS5_5ELb0ES3_mN6thrust23THRUST_200600_302600_NS6detail15normal_iteratorINSA_10device_ptrIxEEEEPS6_NSA_18transform_iteratorINSB_9not_fun_tI7is_trueIxEEESF_NSA_11use_defaultESM_EENS0_5tupleIJSF_S6_EEENSO_IJSG_SG_EEES6_PlJS6_EEE10hipError_tPvRmT3_T4_T5_T6_T7_T9_mT8_P12ihipStream_tbDpT10_ENKUlT_T0_E_clISt17integral_constantIbLb1EES1A_IbLb0EEEEDaS16_S17_EUlS16_E_NS1_11comp_targetILNS1_3genE9ELNS1_11target_archE1100ELNS1_3gpuE3ELNS1_3repE0EEENS1_30default_config_static_selectorELNS0_4arch9wavefront6targetE0EEEvT1_.kd
    .uniform_work_group_size: 1
    .uses_dynamic_stack: false
    .vgpr_count:     0
    .vgpr_spill_count: 0
    .wavefront_size: 32
    .workgroup_processor_mode: 1
  - .args:
      - .offset:         0
        .size:           120
        .value_kind:     by_value
    .group_segment_fixed_size: 0
    .kernarg_segment_align: 8
    .kernarg_segment_size: 120
    .language:       OpenCL C
    .language_version:
      - 2
      - 0
    .max_flat_workgroup_size: 512
    .name:           _ZN7rocprim17ROCPRIM_400000_NS6detail17trampoline_kernelINS0_14default_configENS1_25partition_config_selectorILNS1_17partition_subalgoE5ExNS0_10empty_typeEbEEZZNS1_14partition_implILS5_5ELb0ES3_mN6thrust23THRUST_200600_302600_NS6detail15normal_iteratorINSA_10device_ptrIxEEEEPS6_NSA_18transform_iteratorINSB_9not_fun_tI7is_trueIxEEESF_NSA_11use_defaultESM_EENS0_5tupleIJSF_S6_EEENSO_IJSG_SG_EEES6_PlJS6_EEE10hipError_tPvRmT3_T4_T5_T6_T7_T9_mT8_P12ihipStream_tbDpT10_ENKUlT_T0_E_clISt17integral_constantIbLb1EES1A_IbLb0EEEEDaS16_S17_EUlS16_E_NS1_11comp_targetILNS1_3genE8ELNS1_11target_archE1030ELNS1_3gpuE2ELNS1_3repE0EEENS1_30default_config_static_selectorELNS0_4arch9wavefront6targetE0EEEvT1_
    .private_segment_fixed_size: 0
    .sgpr_count:     0
    .sgpr_spill_count: 0
    .symbol:         _ZN7rocprim17ROCPRIM_400000_NS6detail17trampoline_kernelINS0_14default_configENS1_25partition_config_selectorILNS1_17partition_subalgoE5ExNS0_10empty_typeEbEEZZNS1_14partition_implILS5_5ELb0ES3_mN6thrust23THRUST_200600_302600_NS6detail15normal_iteratorINSA_10device_ptrIxEEEEPS6_NSA_18transform_iteratorINSB_9not_fun_tI7is_trueIxEEESF_NSA_11use_defaultESM_EENS0_5tupleIJSF_S6_EEENSO_IJSG_SG_EEES6_PlJS6_EEE10hipError_tPvRmT3_T4_T5_T6_T7_T9_mT8_P12ihipStream_tbDpT10_ENKUlT_T0_E_clISt17integral_constantIbLb1EES1A_IbLb0EEEEDaS16_S17_EUlS16_E_NS1_11comp_targetILNS1_3genE8ELNS1_11target_archE1030ELNS1_3gpuE2ELNS1_3repE0EEENS1_30default_config_static_selectorELNS0_4arch9wavefront6targetE0EEEvT1_.kd
    .uniform_work_group_size: 1
    .uses_dynamic_stack: false
    .vgpr_count:     0
    .vgpr_spill_count: 0
    .wavefront_size: 32
    .workgroup_processor_mode: 1
  - .args:
      - .offset:         0
        .size:           136
        .value_kind:     by_value
    .group_segment_fixed_size: 0
    .kernarg_segment_align: 8
    .kernarg_segment_size: 136
    .language:       OpenCL C
    .language_version:
      - 2
      - 0
    .max_flat_workgroup_size: 128
    .name:           _ZN7rocprim17ROCPRIM_400000_NS6detail17trampoline_kernelINS0_14default_configENS1_25partition_config_selectorILNS1_17partition_subalgoE5ExNS0_10empty_typeEbEEZZNS1_14partition_implILS5_5ELb0ES3_mN6thrust23THRUST_200600_302600_NS6detail15normal_iteratorINSA_10device_ptrIxEEEEPS6_NSA_18transform_iteratorINSB_9not_fun_tI7is_trueIxEEESF_NSA_11use_defaultESM_EENS0_5tupleIJSF_S6_EEENSO_IJSG_SG_EEES6_PlJS6_EEE10hipError_tPvRmT3_T4_T5_T6_T7_T9_mT8_P12ihipStream_tbDpT10_ENKUlT_T0_E_clISt17integral_constantIbLb0EES1A_IbLb1EEEEDaS16_S17_EUlS16_E_NS1_11comp_targetILNS1_3genE0ELNS1_11target_archE4294967295ELNS1_3gpuE0ELNS1_3repE0EEENS1_30default_config_static_selectorELNS0_4arch9wavefront6targetE0EEEvT1_
    .private_segment_fixed_size: 0
    .sgpr_count:     0
    .sgpr_spill_count: 0
    .symbol:         _ZN7rocprim17ROCPRIM_400000_NS6detail17trampoline_kernelINS0_14default_configENS1_25partition_config_selectorILNS1_17partition_subalgoE5ExNS0_10empty_typeEbEEZZNS1_14partition_implILS5_5ELb0ES3_mN6thrust23THRUST_200600_302600_NS6detail15normal_iteratorINSA_10device_ptrIxEEEEPS6_NSA_18transform_iteratorINSB_9not_fun_tI7is_trueIxEEESF_NSA_11use_defaultESM_EENS0_5tupleIJSF_S6_EEENSO_IJSG_SG_EEES6_PlJS6_EEE10hipError_tPvRmT3_T4_T5_T6_T7_T9_mT8_P12ihipStream_tbDpT10_ENKUlT_T0_E_clISt17integral_constantIbLb0EES1A_IbLb1EEEEDaS16_S17_EUlS16_E_NS1_11comp_targetILNS1_3genE0ELNS1_11target_archE4294967295ELNS1_3gpuE0ELNS1_3repE0EEENS1_30default_config_static_selectorELNS0_4arch9wavefront6targetE0EEEvT1_.kd
    .uniform_work_group_size: 1
    .uses_dynamic_stack: false
    .vgpr_count:     0
    .vgpr_spill_count: 0
    .wavefront_size: 32
    .workgroup_processor_mode: 1
  - .args:
      - .offset:         0
        .size:           136
        .value_kind:     by_value
    .group_segment_fixed_size: 0
    .kernarg_segment_align: 8
    .kernarg_segment_size: 136
    .language:       OpenCL C
    .language_version:
      - 2
      - 0
    .max_flat_workgroup_size: 512
    .name:           _ZN7rocprim17ROCPRIM_400000_NS6detail17trampoline_kernelINS0_14default_configENS1_25partition_config_selectorILNS1_17partition_subalgoE5ExNS0_10empty_typeEbEEZZNS1_14partition_implILS5_5ELb0ES3_mN6thrust23THRUST_200600_302600_NS6detail15normal_iteratorINSA_10device_ptrIxEEEEPS6_NSA_18transform_iteratorINSB_9not_fun_tI7is_trueIxEEESF_NSA_11use_defaultESM_EENS0_5tupleIJSF_S6_EEENSO_IJSG_SG_EEES6_PlJS6_EEE10hipError_tPvRmT3_T4_T5_T6_T7_T9_mT8_P12ihipStream_tbDpT10_ENKUlT_T0_E_clISt17integral_constantIbLb0EES1A_IbLb1EEEEDaS16_S17_EUlS16_E_NS1_11comp_targetILNS1_3genE5ELNS1_11target_archE942ELNS1_3gpuE9ELNS1_3repE0EEENS1_30default_config_static_selectorELNS0_4arch9wavefront6targetE0EEEvT1_
    .private_segment_fixed_size: 0
    .sgpr_count:     0
    .sgpr_spill_count: 0
    .symbol:         _ZN7rocprim17ROCPRIM_400000_NS6detail17trampoline_kernelINS0_14default_configENS1_25partition_config_selectorILNS1_17partition_subalgoE5ExNS0_10empty_typeEbEEZZNS1_14partition_implILS5_5ELb0ES3_mN6thrust23THRUST_200600_302600_NS6detail15normal_iteratorINSA_10device_ptrIxEEEEPS6_NSA_18transform_iteratorINSB_9not_fun_tI7is_trueIxEEESF_NSA_11use_defaultESM_EENS0_5tupleIJSF_S6_EEENSO_IJSG_SG_EEES6_PlJS6_EEE10hipError_tPvRmT3_T4_T5_T6_T7_T9_mT8_P12ihipStream_tbDpT10_ENKUlT_T0_E_clISt17integral_constantIbLb0EES1A_IbLb1EEEEDaS16_S17_EUlS16_E_NS1_11comp_targetILNS1_3genE5ELNS1_11target_archE942ELNS1_3gpuE9ELNS1_3repE0EEENS1_30default_config_static_selectorELNS0_4arch9wavefront6targetE0EEEvT1_.kd
    .uniform_work_group_size: 1
    .uses_dynamic_stack: false
    .vgpr_count:     0
    .vgpr_spill_count: 0
    .wavefront_size: 32
    .workgroup_processor_mode: 1
  - .args:
      - .offset:         0
        .size:           136
        .value_kind:     by_value
    .group_segment_fixed_size: 0
    .kernarg_segment_align: 8
    .kernarg_segment_size: 136
    .language:       OpenCL C
    .language_version:
      - 2
      - 0
    .max_flat_workgroup_size: 192
    .name:           _ZN7rocprim17ROCPRIM_400000_NS6detail17trampoline_kernelINS0_14default_configENS1_25partition_config_selectorILNS1_17partition_subalgoE5ExNS0_10empty_typeEbEEZZNS1_14partition_implILS5_5ELb0ES3_mN6thrust23THRUST_200600_302600_NS6detail15normal_iteratorINSA_10device_ptrIxEEEEPS6_NSA_18transform_iteratorINSB_9not_fun_tI7is_trueIxEEESF_NSA_11use_defaultESM_EENS0_5tupleIJSF_S6_EEENSO_IJSG_SG_EEES6_PlJS6_EEE10hipError_tPvRmT3_T4_T5_T6_T7_T9_mT8_P12ihipStream_tbDpT10_ENKUlT_T0_E_clISt17integral_constantIbLb0EES1A_IbLb1EEEEDaS16_S17_EUlS16_E_NS1_11comp_targetILNS1_3genE4ELNS1_11target_archE910ELNS1_3gpuE8ELNS1_3repE0EEENS1_30default_config_static_selectorELNS0_4arch9wavefront6targetE0EEEvT1_
    .private_segment_fixed_size: 0
    .sgpr_count:     0
    .sgpr_spill_count: 0
    .symbol:         _ZN7rocprim17ROCPRIM_400000_NS6detail17trampoline_kernelINS0_14default_configENS1_25partition_config_selectorILNS1_17partition_subalgoE5ExNS0_10empty_typeEbEEZZNS1_14partition_implILS5_5ELb0ES3_mN6thrust23THRUST_200600_302600_NS6detail15normal_iteratorINSA_10device_ptrIxEEEEPS6_NSA_18transform_iteratorINSB_9not_fun_tI7is_trueIxEEESF_NSA_11use_defaultESM_EENS0_5tupleIJSF_S6_EEENSO_IJSG_SG_EEES6_PlJS6_EEE10hipError_tPvRmT3_T4_T5_T6_T7_T9_mT8_P12ihipStream_tbDpT10_ENKUlT_T0_E_clISt17integral_constantIbLb0EES1A_IbLb1EEEEDaS16_S17_EUlS16_E_NS1_11comp_targetILNS1_3genE4ELNS1_11target_archE910ELNS1_3gpuE8ELNS1_3repE0EEENS1_30default_config_static_selectorELNS0_4arch9wavefront6targetE0EEEvT1_.kd
    .uniform_work_group_size: 1
    .uses_dynamic_stack: false
    .vgpr_count:     0
    .vgpr_spill_count: 0
    .wavefront_size: 32
    .workgroup_processor_mode: 1
  - .args:
      - .offset:         0
        .size:           136
        .value_kind:     by_value
    .group_segment_fixed_size: 0
    .kernarg_segment_align: 8
    .kernarg_segment_size: 136
    .language:       OpenCL C
    .language_version:
      - 2
      - 0
    .max_flat_workgroup_size: 128
    .name:           _ZN7rocprim17ROCPRIM_400000_NS6detail17trampoline_kernelINS0_14default_configENS1_25partition_config_selectorILNS1_17partition_subalgoE5ExNS0_10empty_typeEbEEZZNS1_14partition_implILS5_5ELb0ES3_mN6thrust23THRUST_200600_302600_NS6detail15normal_iteratorINSA_10device_ptrIxEEEEPS6_NSA_18transform_iteratorINSB_9not_fun_tI7is_trueIxEEESF_NSA_11use_defaultESM_EENS0_5tupleIJSF_S6_EEENSO_IJSG_SG_EEES6_PlJS6_EEE10hipError_tPvRmT3_T4_T5_T6_T7_T9_mT8_P12ihipStream_tbDpT10_ENKUlT_T0_E_clISt17integral_constantIbLb0EES1A_IbLb1EEEEDaS16_S17_EUlS16_E_NS1_11comp_targetILNS1_3genE3ELNS1_11target_archE908ELNS1_3gpuE7ELNS1_3repE0EEENS1_30default_config_static_selectorELNS0_4arch9wavefront6targetE0EEEvT1_
    .private_segment_fixed_size: 0
    .sgpr_count:     0
    .sgpr_spill_count: 0
    .symbol:         _ZN7rocprim17ROCPRIM_400000_NS6detail17trampoline_kernelINS0_14default_configENS1_25partition_config_selectorILNS1_17partition_subalgoE5ExNS0_10empty_typeEbEEZZNS1_14partition_implILS5_5ELb0ES3_mN6thrust23THRUST_200600_302600_NS6detail15normal_iteratorINSA_10device_ptrIxEEEEPS6_NSA_18transform_iteratorINSB_9not_fun_tI7is_trueIxEEESF_NSA_11use_defaultESM_EENS0_5tupleIJSF_S6_EEENSO_IJSG_SG_EEES6_PlJS6_EEE10hipError_tPvRmT3_T4_T5_T6_T7_T9_mT8_P12ihipStream_tbDpT10_ENKUlT_T0_E_clISt17integral_constantIbLb0EES1A_IbLb1EEEEDaS16_S17_EUlS16_E_NS1_11comp_targetILNS1_3genE3ELNS1_11target_archE908ELNS1_3gpuE7ELNS1_3repE0EEENS1_30default_config_static_selectorELNS0_4arch9wavefront6targetE0EEEvT1_.kd
    .uniform_work_group_size: 1
    .uses_dynamic_stack: false
    .vgpr_count:     0
    .vgpr_spill_count: 0
    .wavefront_size: 32
    .workgroup_processor_mode: 1
  - .args:
      - .offset:         0
        .size:           136
        .value_kind:     by_value
    .group_segment_fixed_size: 0
    .kernarg_segment_align: 8
    .kernarg_segment_size: 136
    .language:       OpenCL C
    .language_version:
      - 2
      - 0
    .max_flat_workgroup_size: 256
    .name:           _ZN7rocprim17ROCPRIM_400000_NS6detail17trampoline_kernelINS0_14default_configENS1_25partition_config_selectorILNS1_17partition_subalgoE5ExNS0_10empty_typeEbEEZZNS1_14partition_implILS5_5ELb0ES3_mN6thrust23THRUST_200600_302600_NS6detail15normal_iteratorINSA_10device_ptrIxEEEEPS6_NSA_18transform_iteratorINSB_9not_fun_tI7is_trueIxEEESF_NSA_11use_defaultESM_EENS0_5tupleIJSF_S6_EEENSO_IJSG_SG_EEES6_PlJS6_EEE10hipError_tPvRmT3_T4_T5_T6_T7_T9_mT8_P12ihipStream_tbDpT10_ENKUlT_T0_E_clISt17integral_constantIbLb0EES1A_IbLb1EEEEDaS16_S17_EUlS16_E_NS1_11comp_targetILNS1_3genE2ELNS1_11target_archE906ELNS1_3gpuE6ELNS1_3repE0EEENS1_30default_config_static_selectorELNS0_4arch9wavefront6targetE0EEEvT1_
    .private_segment_fixed_size: 0
    .sgpr_count:     0
    .sgpr_spill_count: 0
    .symbol:         _ZN7rocprim17ROCPRIM_400000_NS6detail17trampoline_kernelINS0_14default_configENS1_25partition_config_selectorILNS1_17partition_subalgoE5ExNS0_10empty_typeEbEEZZNS1_14partition_implILS5_5ELb0ES3_mN6thrust23THRUST_200600_302600_NS6detail15normal_iteratorINSA_10device_ptrIxEEEEPS6_NSA_18transform_iteratorINSB_9not_fun_tI7is_trueIxEEESF_NSA_11use_defaultESM_EENS0_5tupleIJSF_S6_EEENSO_IJSG_SG_EEES6_PlJS6_EEE10hipError_tPvRmT3_T4_T5_T6_T7_T9_mT8_P12ihipStream_tbDpT10_ENKUlT_T0_E_clISt17integral_constantIbLb0EES1A_IbLb1EEEEDaS16_S17_EUlS16_E_NS1_11comp_targetILNS1_3genE2ELNS1_11target_archE906ELNS1_3gpuE6ELNS1_3repE0EEENS1_30default_config_static_selectorELNS0_4arch9wavefront6targetE0EEEvT1_.kd
    .uniform_work_group_size: 1
    .uses_dynamic_stack: false
    .vgpr_count:     0
    .vgpr_spill_count: 0
    .wavefront_size: 32
    .workgroup_processor_mode: 1
  - .args:
      - .offset:         0
        .size:           136
        .value_kind:     by_value
    .group_segment_fixed_size: 8464
    .kernarg_segment_align: 8
    .kernarg_segment_size: 136
    .language:       OpenCL C
    .language_version:
      - 2
      - 0
    .max_flat_workgroup_size: 256
    .name:           _ZN7rocprim17ROCPRIM_400000_NS6detail17trampoline_kernelINS0_14default_configENS1_25partition_config_selectorILNS1_17partition_subalgoE5ExNS0_10empty_typeEbEEZZNS1_14partition_implILS5_5ELb0ES3_mN6thrust23THRUST_200600_302600_NS6detail15normal_iteratorINSA_10device_ptrIxEEEEPS6_NSA_18transform_iteratorINSB_9not_fun_tI7is_trueIxEEESF_NSA_11use_defaultESM_EENS0_5tupleIJSF_S6_EEENSO_IJSG_SG_EEES6_PlJS6_EEE10hipError_tPvRmT3_T4_T5_T6_T7_T9_mT8_P12ihipStream_tbDpT10_ENKUlT_T0_E_clISt17integral_constantIbLb0EES1A_IbLb1EEEEDaS16_S17_EUlS16_E_NS1_11comp_targetILNS1_3genE10ELNS1_11target_archE1200ELNS1_3gpuE4ELNS1_3repE0EEENS1_30default_config_static_selectorELNS0_4arch9wavefront6targetE0EEEvT1_
    .private_segment_fixed_size: 0
    .sgpr_count:     28
    .sgpr_spill_count: 0
    .symbol:         _ZN7rocprim17ROCPRIM_400000_NS6detail17trampoline_kernelINS0_14default_configENS1_25partition_config_selectorILNS1_17partition_subalgoE5ExNS0_10empty_typeEbEEZZNS1_14partition_implILS5_5ELb0ES3_mN6thrust23THRUST_200600_302600_NS6detail15normal_iteratorINSA_10device_ptrIxEEEEPS6_NSA_18transform_iteratorINSB_9not_fun_tI7is_trueIxEEESF_NSA_11use_defaultESM_EENS0_5tupleIJSF_S6_EEENSO_IJSG_SG_EEES6_PlJS6_EEE10hipError_tPvRmT3_T4_T5_T6_T7_T9_mT8_P12ihipStream_tbDpT10_ENKUlT_T0_E_clISt17integral_constantIbLb0EES1A_IbLb1EEEEDaS16_S17_EUlS16_E_NS1_11comp_targetILNS1_3genE10ELNS1_11target_archE1200ELNS1_3gpuE4ELNS1_3repE0EEENS1_30default_config_static_selectorELNS0_4arch9wavefront6targetE0EEEvT1_.kd
    .uniform_work_group_size: 1
    .uses_dynamic_stack: false
    .vgpr_count:     48
    .vgpr_spill_count: 0
    .wavefront_size: 32
    .workgroup_processor_mode: 1
  - .args:
      - .offset:         0
        .size:           136
        .value_kind:     by_value
    .group_segment_fixed_size: 0
    .kernarg_segment_align: 8
    .kernarg_segment_size: 136
    .language:       OpenCL C
    .language_version:
      - 2
      - 0
    .max_flat_workgroup_size: 128
    .name:           _ZN7rocprim17ROCPRIM_400000_NS6detail17trampoline_kernelINS0_14default_configENS1_25partition_config_selectorILNS1_17partition_subalgoE5ExNS0_10empty_typeEbEEZZNS1_14partition_implILS5_5ELb0ES3_mN6thrust23THRUST_200600_302600_NS6detail15normal_iteratorINSA_10device_ptrIxEEEEPS6_NSA_18transform_iteratorINSB_9not_fun_tI7is_trueIxEEESF_NSA_11use_defaultESM_EENS0_5tupleIJSF_S6_EEENSO_IJSG_SG_EEES6_PlJS6_EEE10hipError_tPvRmT3_T4_T5_T6_T7_T9_mT8_P12ihipStream_tbDpT10_ENKUlT_T0_E_clISt17integral_constantIbLb0EES1A_IbLb1EEEEDaS16_S17_EUlS16_E_NS1_11comp_targetILNS1_3genE9ELNS1_11target_archE1100ELNS1_3gpuE3ELNS1_3repE0EEENS1_30default_config_static_selectorELNS0_4arch9wavefront6targetE0EEEvT1_
    .private_segment_fixed_size: 0
    .sgpr_count:     0
    .sgpr_spill_count: 0
    .symbol:         _ZN7rocprim17ROCPRIM_400000_NS6detail17trampoline_kernelINS0_14default_configENS1_25partition_config_selectorILNS1_17partition_subalgoE5ExNS0_10empty_typeEbEEZZNS1_14partition_implILS5_5ELb0ES3_mN6thrust23THRUST_200600_302600_NS6detail15normal_iteratorINSA_10device_ptrIxEEEEPS6_NSA_18transform_iteratorINSB_9not_fun_tI7is_trueIxEEESF_NSA_11use_defaultESM_EENS0_5tupleIJSF_S6_EEENSO_IJSG_SG_EEES6_PlJS6_EEE10hipError_tPvRmT3_T4_T5_T6_T7_T9_mT8_P12ihipStream_tbDpT10_ENKUlT_T0_E_clISt17integral_constantIbLb0EES1A_IbLb1EEEEDaS16_S17_EUlS16_E_NS1_11comp_targetILNS1_3genE9ELNS1_11target_archE1100ELNS1_3gpuE3ELNS1_3repE0EEENS1_30default_config_static_selectorELNS0_4arch9wavefront6targetE0EEEvT1_.kd
    .uniform_work_group_size: 1
    .uses_dynamic_stack: false
    .vgpr_count:     0
    .vgpr_spill_count: 0
    .wavefront_size: 32
    .workgroup_processor_mode: 1
  - .args:
      - .offset:         0
        .size:           136
        .value_kind:     by_value
    .group_segment_fixed_size: 0
    .kernarg_segment_align: 8
    .kernarg_segment_size: 136
    .language:       OpenCL C
    .language_version:
      - 2
      - 0
    .max_flat_workgroup_size: 512
    .name:           _ZN7rocprim17ROCPRIM_400000_NS6detail17trampoline_kernelINS0_14default_configENS1_25partition_config_selectorILNS1_17partition_subalgoE5ExNS0_10empty_typeEbEEZZNS1_14partition_implILS5_5ELb0ES3_mN6thrust23THRUST_200600_302600_NS6detail15normal_iteratorINSA_10device_ptrIxEEEEPS6_NSA_18transform_iteratorINSB_9not_fun_tI7is_trueIxEEESF_NSA_11use_defaultESM_EENS0_5tupleIJSF_S6_EEENSO_IJSG_SG_EEES6_PlJS6_EEE10hipError_tPvRmT3_T4_T5_T6_T7_T9_mT8_P12ihipStream_tbDpT10_ENKUlT_T0_E_clISt17integral_constantIbLb0EES1A_IbLb1EEEEDaS16_S17_EUlS16_E_NS1_11comp_targetILNS1_3genE8ELNS1_11target_archE1030ELNS1_3gpuE2ELNS1_3repE0EEENS1_30default_config_static_selectorELNS0_4arch9wavefront6targetE0EEEvT1_
    .private_segment_fixed_size: 0
    .sgpr_count:     0
    .sgpr_spill_count: 0
    .symbol:         _ZN7rocprim17ROCPRIM_400000_NS6detail17trampoline_kernelINS0_14default_configENS1_25partition_config_selectorILNS1_17partition_subalgoE5ExNS0_10empty_typeEbEEZZNS1_14partition_implILS5_5ELb0ES3_mN6thrust23THRUST_200600_302600_NS6detail15normal_iteratorINSA_10device_ptrIxEEEEPS6_NSA_18transform_iteratorINSB_9not_fun_tI7is_trueIxEEESF_NSA_11use_defaultESM_EENS0_5tupleIJSF_S6_EEENSO_IJSG_SG_EEES6_PlJS6_EEE10hipError_tPvRmT3_T4_T5_T6_T7_T9_mT8_P12ihipStream_tbDpT10_ENKUlT_T0_E_clISt17integral_constantIbLb0EES1A_IbLb1EEEEDaS16_S17_EUlS16_E_NS1_11comp_targetILNS1_3genE8ELNS1_11target_archE1030ELNS1_3gpuE2ELNS1_3repE0EEENS1_30default_config_static_selectorELNS0_4arch9wavefront6targetE0EEEvT1_.kd
    .uniform_work_group_size: 1
    .uses_dynamic_stack: false
    .vgpr_count:     0
    .vgpr_spill_count: 0
    .wavefront_size: 32
    .workgroup_processor_mode: 1
  - .args:
      - .offset:         0
        .size:           24
        .value_kind:     by_value
      - .offset:         24
        .size:           8
        .value_kind:     by_value
      - .offset:         32
        .size:           8
        .value_kind:     by_value
    .group_segment_fixed_size: 0
    .kernarg_segment_align: 8
    .kernarg_segment_size: 40
    .language:       OpenCL C
    .language_version:
      - 2
      - 0
    .max_flat_workgroup_size: 256
    .name:           _ZN6thrust23THRUST_200600_302600_NS11hip_rocprim14__parallel_for6kernelILj256ENS1_11__transform17unary_transform_fINS0_7pointerIbNS1_3tagENS0_11use_defaultES8_EENS0_10device_ptrIiEENS4_14no_stencil_tagENS0_8identityIbEENS4_21always_true_predicateEEElLj1EEEvT0_T1_SI_
    .private_segment_fixed_size: 0
    .sgpr_count:     14
    .sgpr_spill_count: 0
    .symbol:         _ZN6thrust23THRUST_200600_302600_NS11hip_rocprim14__parallel_for6kernelILj256ENS1_11__transform17unary_transform_fINS0_7pointerIbNS1_3tagENS0_11use_defaultES8_EENS0_10device_ptrIiEENS4_14no_stencil_tagENS0_8identityIbEENS4_21always_true_predicateEEElLj1EEEvT0_T1_SI_.kd
    .uniform_work_group_size: 1
    .uses_dynamic_stack: false
    .vgpr_count:     5
    .vgpr_spill_count: 0
    .wavefront_size: 32
    .workgroup_processor_mode: 1
  - .args:
      - .offset:         0
        .size:           120
        .value_kind:     by_value
    .group_segment_fixed_size: 0
    .kernarg_segment_align: 8
    .kernarg_segment_size: 120
    .language:       OpenCL C
    .language_version:
      - 2
      - 0
    .max_flat_workgroup_size: 512
    .name:           _ZN7rocprim17ROCPRIM_400000_NS6detail17trampoline_kernelINS0_14default_configENS1_25partition_config_selectorILNS1_17partition_subalgoE5EiNS0_10empty_typeEbEEZZNS1_14partition_implILS5_5ELb0ES3_mN6thrust23THRUST_200600_302600_NS6detail15normal_iteratorINSA_10device_ptrIiEEEEPS6_NSA_18transform_iteratorINSB_9not_fun_tI7is_trueIiEEESF_NSA_11use_defaultESM_EENS0_5tupleIJSF_S6_EEENSO_IJSG_SG_EEES6_PlJS6_EEE10hipError_tPvRmT3_T4_T5_T6_T7_T9_mT8_P12ihipStream_tbDpT10_ENKUlT_T0_E_clISt17integral_constantIbLb0EES1B_EEDaS16_S17_EUlS16_E_NS1_11comp_targetILNS1_3genE0ELNS1_11target_archE4294967295ELNS1_3gpuE0ELNS1_3repE0EEENS1_30default_config_static_selectorELNS0_4arch9wavefront6targetE0EEEvT1_
    .private_segment_fixed_size: 0
    .sgpr_count:     0
    .sgpr_spill_count: 0
    .symbol:         _ZN7rocprim17ROCPRIM_400000_NS6detail17trampoline_kernelINS0_14default_configENS1_25partition_config_selectorILNS1_17partition_subalgoE5EiNS0_10empty_typeEbEEZZNS1_14partition_implILS5_5ELb0ES3_mN6thrust23THRUST_200600_302600_NS6detail15normal_iteratorINSA_10device_ptrIiEEEEPS6_NSA_18transform_iteratorINSB_9not_fun_tI7is_trueIiEEESF_NSA_11use_defaultESM_EENS0_5tupleIJSF_S6_EEENSO_IJSG_SG_EEES6_PlJS6_EEE10hipError_tPvRmT3_T4_T5_T6_T7_T9_mT8_P12ihipStream_tbDpT10_ENKUlT_T0_E_clISt17integral_constantIbLb0EES1B_EEDaS16_S17_EUlS16_E_NS1_11comp_targetILNS1_3genE0ELNS1_11target_archE4294967295ELNS1_3gpuE0ELNS1_3repE0EEENS1_30default_config_static_selectorELNS0_4arch9wavefront6targetE0EEEvT1_.kd
    .uniform_work_group_size: 1
    .uses_dynamic_stack: false
    .vgpr_count:     0
    .vgpr_spill_count: 0
    .wavefront_size: 32
    .workgroup_processor_mode: 1
  - .args:
      - .offset:         0
        .size:           120
        .value_kind:     by_value
    .group_segment_fixed_size: 0
    .kernarg_segment_align: 8
    .kernarg_segment_size: 120
    .language:       OpenCL C
    .language_version:
      - 2
      - 0
    .max_flat_workgroup_size: 512
    .name:           _ZN7rocprim17ROCPRIM_400000_NS6detail17trampoline_kernelINS0_14default_configENS1_25partition_config_selectorILNS1_17partition_subalgoE5EiNS0_10empty_typeEbEEZZNS1_14partition_implILS5_5ELb0ES3_mN6thrust23THRUST_200600_302600_NS6detail15normal_iteratorINSA_10device_ptrIiEEEEPS6_NSA_18transform_iteratorINSB_9not_fun_tI7is_trueIiEEESF_NSA_11use_defaultESM_EENS0_5tupleIJSF_S6_EEENSO_IJSG_SG_EEES6_PlJS6_EEE10hipError_tPvRmT3_T4_T5_T6_T7_T9_mT8_P12ihipStream_tbDpT10_ENKUlT_T0_E_clISt17integral_constantIbLb0EES1B_EEDaS16_S17_EUlS16_E_NS1_11comp_targetILNS1_3genE5ELNS1_11target_archE942ELNS1_3gpuE9ELNS1_3repE0EEENS1_30default_config_static_selectorELNS0_4arch9wavefront6targetE0EEEvT1_
    .private_segment_fixed_size: 0
    .sgpr_count:     0
    .sgpr_spill_count: 0
    .symbol:         _ZN7rocprim17ROCPRIM_400000_NS6detail17trampoline_kernelINS0_14default_configENS1_25partition_config_selectorILNS1_17partition_subalgoE5EiNS0_10empty_typeEbEEZZNS1_14partition_implILS5_5ELb0ES3_mN6thrust23THRUST_200600_302600_NS6detail15normal_iteratorINSA_10device_ptrIiEEEEPS6_NSA_18transform_iteratorINSB_9not_fun_tI7is_trueIiEEESF_NSA_11use_defaultESM_EENS0_5tupleIJSF_S6_EEENSO_IJSG_SG_EEES6_PlJS6_EEE10hipError_tPvRmT3_T4_T5_T6_T7_T9_mT8_P12ihipStream_tbDpT10_ENKUlT_T0_E_clISt17integral_constantIbLb0EES1B_EEDaS16_S17_EUlS16_E_NS1_11comp_targetILNS1_3genE5ELNS1_11target_archE942ELNS1_3gpuE9ELNS1_3repE0EEENS1_30default_config_static_selectorELNS0_4arch9wavefront6targetE0EEEvT1_.kd
    .uniform_work_group_size: 1
    .uses_dynamic_stack: false
    .vgpr_count:     0
    .vgpr_spill_count: 0
    .wavefront_size: 32
    .workgroup_processor_mode: 1
  - .args:
      - .offset:         0
        .size:           120
        .value_kind:     by_value
    .group_segment_fixed_size: 0
    .kernarg_segment_align: 8
    .kernarg_segment_size: 120
    .language:       OpenCL C
    .language_version:
      - 2
      - 0
    .max_flat_workgroup_size: 256
    .name:           _ZN7rocprim17ROCPRIM_400000_NS6detail17trampoline_kernelINS0_14default_configENS1_25partition_config_selectorILNS1_17partition_subalgoE5EiNS0_10empty_typeEbEEZZNS1_14partition_implILS5_5ELb0ES3_mN6thrust23THRUST_200600_302600_NS6detail15normal_iteratorINSA_10device_ptrIiEEEEPS6_NSA_18transform_iteratorINSB_9not_fun_tI7is_trueIiEEESF_NSA_11use_defaultESM_EENS0_5tupleIJSF_S6_EEENSO_IJSG_SG_EEES6_PlJS6_EEE10hipError_tPvRmT3_T4_T5_T6_T7_T9_mT8_P12ihipStream_tbDpT10_ENKUlT_T0_E_clISt17integral_constantIbLb0EES1B_EEDaS16_S17_EUlS16_E_NS1_11comp_targetILNS1_3genE4ELNS1_11target_archE910ELNS1_3gpuE8ELNS1_3repE0EEENS1_30default_config_static_selectorELNS0_4arch9wavefront6targetE0EEEvT1_
    .private_segment_fixed_size: 0
    .sgpr_count:     0
    .sgpr_spill_count: 0
    .symbol:         _ZN7rocprim17ROCPRIM_400000_NS6detail17trampoline_kernelINS0_14default_configENS1_25partition_config_selectorILNS1_17partition_subalgoE5EiNS0_10empty_typeEbEEZZNS1_14partition_implILS5_5ELb0ES3_mN6thrust23THRUST_200600_302600_NS6detail15normal_iteratorINSA_10device_ptrIiEEEEPS6_NSA_18transform_iteratorINSB_9not_fun_tI7is_trueIiEEESF_NSA_11use_defaultESM_EENS0_5tupleIJSF_S6_EEENSO_IJSG_SG_EEES6_PlJS6_EEE10hipError_tPvRmT3_T4_T5_T6_T7_T9_mT8_P12ihipStream_tbDpT10_ENKUlT_T0_E_clISt17integral_constantIbLb0EES1B_EEDaS16_S17_EUlS16_E_NS1_11comp_targetILNS1_3genE4ELNS1_11target_archE910ELNS1_3gpuE8ELNS1_3repE0EEENS1_30default_config_static_selectorELNS0_4arch9wavefront6targetE0EEEvT1_.kd
    .uniform_work_group_size: 1
    .uses_dynamic_stack: false
    .vgpr_count:     0
    .vgpr_spill_count: 0
    .wavefront_size: 32
    .workgroup_processor_mode: 1
  - .args:
      - .offset:         0
        .size:           120
        .value_kind:     by_value
    .group_segment_fixed_size: 0
    .kernarg_segment_align: 8
    .kernarg_segment_size: 120
    .language:       OpenCL C
    .language_version:
      - 2
      - 0
    .max_flat_workgroup_size: 512
    .name:           _ZN7rocprim17ROCPRIM_400000_NS6detail17trampoline_kernelINS0_14default_configENS1_25partition_config_selectorILNS1_17partition_subalgoE5EiNS0_10empty_typeEbEEZZNS1_14partition_implILS5_5ELb0ES3_mN6thrust23THRUST_200600_302600_NS6detail15normal_iteratorINSA_10device_ptrIiEEEEPS6_NSA_18transform_iteratorINSB_9not_fun_tI7is_trueIiEEESF_NSA_11use_defaultESM_EENS0_5tupleIJSF_S6_EEENSO_IJSG_SG_EEES6_PlJS6_EEE10hipError_tPvRmT3_T4_T5_T6_T7_T9_mT8_P12ihipStream_tbDpT10_ENKUlT_T0_E_clISt17integral_constantIbLb0EES1B_EEDaS16_S17_EUlS16_E_NS1_11comp_targetILNS1_3genE3ELNS1_11target_archE908ELNS1_3gpuE7ELNS1_3repE0EEENS1_30default_config_static_selectorELNS0_4arch9wavefront6targetE0EEEvT1_
    .private_segment_fixed_size: 0
    .sgpr_count:     0
    .sgpr_spill_count: 0
    .symbol:         _ZN7rocprim17ROCPRIM_400000_NS6detail17trampoline_kernelINS0_14default_configENS1_25partition_config_selectorILNS1_17partition_subalgoE5EiNS0_10empty_typeEbEEZZNS1_14partition_implILS5_5ELb0ES3_mN6thrust23THRUST_200600_302600_NS6detail15normal_iteratorINSA_10device_ptrIiEEEEPS6_NSA_18transform_iteratorINSB_9not_fun_tI7is_trueIiEEESF_NSA_11use_defaultESM_EENS0_5tupleIJSF_S6_EEENSO_IJSG_SG_EEES6_PlJS6_EEE10hipError_tPvRmT3_T4_T5_T6_T7_T9_mT8_P12ihipStream_tbDpT10_ENKUlT_T0_E_clISt17integral_constantIbLb0EES1B_EEDaS16_S17_EUlS16_E_NS1_11comp_targetILNS1_3genE3ELNS1_11target_archE908ELNS1_3gpuE7ELNS1_3repE0EEENS1_30default_config_static_selectorELNS0_4arch9wavefront6targetE0EEEvT1_.kd
    .uniform_work_group_size: 1
    .uses_dynamic_stack: false
    .vgpr_count:     0
    .vgpr_spill_count: 0
    .wavefront_size: 32
    .workgroup_processor_mode: 1
  - .args:
      - .offset:         0
        .size:           120
        .value_kind:     by_value
    .group_segment_fixed_size: 0
    .kernarg_segment_align: 8
    .kernarg_segment_size: 120
    .language:       OpenCL C
    .language_version:
      - 2
      - 0
    .max_flat_workgroup_size: 256
    .name:           _ZN7rocprim17ROCPRIM_400000_NS6detail17trampoline_kernelINS0_14default_configENS1_25partition_config_selectorILNS1_17partition_subalgoE5EiNS0_10empty_typeEbEEZZNS1_14partition_implILS5_5ELb0ES3_mN6thrust23THRUST_200600_302600_NS6detail15normal_iteratorINSA_10device_ptrIiEEEEPS6_NSA_18transform_iteratorINSB_9not_fun_tI7is_trueIiEEESF_NSA_11use_defaultESM_EENS0_5tupleIJSF_S6_EEENSO_IJSG_SG_EEES6_PlJS6_EEE10hipError_tPvRmT3_T4_T5_T6_T7_T9_mT8_P12ihipStream_tbDpT10_ENKUlT_T0_E_clISt17integral_constantIbLb0EES1B_EEDaS16_S17_EUlS16_E_NS1_11comp_targetILNS1_3genE2ELNS1_11target_archE906ELNS1_3gpuE6ELNS1_3repE0EEENS1_30default_config_static_selectorELNS0_4arch9wavefront6targetE0EEEvT1_
    .private_segment_fixed_size: 0
    .sgpr_count:     0
    .sgpr_spill_count: 0
    .symbol:         _ZN7rocprim17ROCPRIM_400000_NS6detail17trampoline_kernelINS0_14default_configENS1_25partition_config_selectorILNS1_17partition_subalgoE5EiNS0_10empty_typeEbEEZZNS1_14partition_implILS5_5ELb0ES3_mN6thrust23THRUST_200600_302600_NS6detail15normal_iteratorINSA_10device_ptrIiEEEEPS6_NSA_18transform_iteratorINSB_9not_fun_tI7is_trueIiEEESF_NSA_11use_defaultESM_EENS0_5tupleIJSF_S6_EEENSO_IJSG_SG_EEES6_PlJS6_EEE10hipError_tPvRmT3_T4_T5_T6_T7_T9_mT8_P12ihipStream_tbDpT10_ENKUlT_T0_E_clISt17integral_constantIbLb0EES1B_EEDaS16_S17_EUlS16_E_NS1_11comp_targetILNS1_3genE2ELNS1_11target_archE906ELNS1_3gpuE6ELNS1_3repE0EEENS1_30default_config_static_selectorELNS0_4arch9wavefront6targetE0EEEvT1_.kd
    .uniform_work_group_size: 1
    .uses_dynamic_stack: false
    .vgpr_count:     0
    .vgpr_spill_count: 0
    .wavefront_size: 32
    .workgroup_processor_mode: 1
  - .args:
      - .offset:         0
        .size:           120
        .value_kind:     by_value
    .group_segment_fixed_size: 6352
    .kernarg_segment_align: 8
    .kernarg_segment_size: 120
    .language:       OpenCL C
    .language_version:
      - 2
      - 0
    .max_flat_workgroup_size: 192
    .name:           _ZN7rocprim17ROCPRIM_400000_NS6detail17trampoline_kernelINS0_14default_configENS1_25partition_config_selectorILNS1_17partition_subalgoE5EiNS0_10empty_typeEbEEZZNS1_14partition_implILS5_5ELb0ES3_mN6thrust23THRUST_200600_302600_NS6detail15normal_iteratorINSA_10device_ptrIiEEEEPS6_NSA_18transform_iteratorINSB_9not_fun_tI7is_trueIiEEESF_NSA_11use_defaultESM_EENS0_5tupleIJSF_S6_EEENSO_IJSG_SG_EEES6_PlJS6_EEE10hipError_tPvRmT3_T4_T5_T6_T7_T9_mT8_P12ihipStream_tbDpT10_ENKUlT_T0_E_clISt17integral_constantIbLb0EES1B_EEDaS16_S17_EUlS16_E_NS1_11comp_targetILNS1_3genE10ELNS1_11target_archE1200ELNS1_3gpuE4ELNS1_3repE0EEENS1_30default_config_static_selectorELNS0_4arch9wavefront6targetE0EEEvT1_
    .private_segment_fixed_size: 0
    .sgpr_count:     24
    .sgpr_spill_count: 0
    .symbol:         _ZN7rocprim17ROCPRIM_400000_NS6detail17trampoline_kernelINS0_14default_configENS1_25partition_config_selectorILNS1_17partition_subalgoE5EiNS0_10empty_typeEbEEZZNS1_14partition_implILS5_5ELb0ES3_mN6thrust23THRUST_200600_302600_NS6detail15normal_iteratorINSA_10device_ptrIiEEEEPS6_NSA_18transform_iteratorINSB_9not_fun_tI7is_trueIiEEESF_NSA_11use_defaultESM_EENS0_5tupleIJSF_S6_EEENSO_IJSG_SG_EEES6_PlJS6_EEE10hipError_tPvRmT3_T4_T5_T6_T7_T9_mT8_P12ihipStream_tbDpT10_ENKUlT_T0_E_clISt17integral_constantIbLb0EES1B_EEDaS16_S17_EUlS16_E_NS1_11comp_targetILNS1_3genE10ELNS1_11target_archE1200ELNS1_3gpuE4ELNS1_3repE0EEENS1_30default_config_static_selectorELNS0_4arch9wavefront6targetE0EEEvT1_.kd
    .uniform_work_group_size: 1
    .uses_dynamic_stack: false
    .vgpr_count:     52
    .vgpr_spill_count: 0
    .wavefront_size: 32
    .workgroup_processor_mode: 1
  - .args:
      - .offset:         0
        .size:           120
        .value_kind:     by_value
    .group_segment_fixed_size: 0
    .kernarg_segment_align: 8
    .kernarg_segment_size: 120
    .language:       OpenCL C
    .language_version:
      - 2
      - 0
    .max_flat_workgroup_size: 128
    .name:           _ZN7rocprim17ROCPRIM_400000_NS6detail17trampoline_kernelINS0_14default_configENS1_25partition_config_selectorILNS1_17partition_subalgoE5EiNS0_10empty_typeEbEEZZNS1_14partition_implILS5_5ELb0ES3_mN6thrust23THRUST_200600_302600_NS6detail15normal_iteratorINSA_10device_ptrIiEEEEPS6_NSA_18transform_iteratorINSB_9not_fun_tI7is_trueIiEEESF_NSA_11use_defaultESM_EENS0_5tupleIJSF_S6_EEENSO_IJSG_SG_EEES6_PlJS6_EEE10hipError_tPvRmT3_T4_T5_T6_T7_T9_mT8_P12ihipStream_tbDpT10_ENKUlT_T0_E_clISt17integral_constantIbLb0EES1B_EEDaS16_S17_EUlS16_E_NS1_11comp_targetILNS1_3genE9ELNS1_11target_archE1100ELNS1_3gpuE3ELNS1_3repE0EEENS1_30default_config_static_selectorELNS0_4arch9wavefront6targetE0EEEvT1_
    .private_segment_fixed_size: 0
    .sgpr_count:     0
    .sgpr_spill_count: 0
    .symbol:         _ZN7rocprim17ROCPRIM_400000_NS6detail17trampoline_kernelINS0_14default_configENS1_25partition_config_selectorILNS1_17partition_subalgoE5EiNS0_10empty_typeEbEEZZNS1_14partition_implILS5_5ELb0ES3_mN6thrust23THRUST_200600_302600_NS6detail15normal_iteratorINSA_10device_ptrIiEEEEPS6_NSA_18transform_iteratorINSB_9not_fun_tI7is_trueIiEEESF_NSA_11use_defaultESM_EENS0_5tupleIJSF_S6_EEENSO_IJSG_SG_EEES6_PlJS6_EEE10hipError_tPvRmT3_T4_T5_T6_T7_T9_mT8_P12ihipStream_tbDpT10_ENKUlT_T0_E_clISt17integral_constantIbLb0EES1B_EEDaS16_S17_EUlS16_E_NS1_11comp_targetILNS1_3genE9ELNS1_11target_archE1100ELNS1_3gpuE3ELNS1_3repE0EEENS1_30default_config_static_selectorELNS0_4arch9wavefront6targetE0EEEvT1_.kd
    .uniform_work_group_size: 1
    .uses_dynamic_stack: false
    .vgpr_count:     0
    .vgpr_spill_count: 0
    .wavefront_size: 32
    .workgroup_processor_mode: 1
  - .args:
      - .offset:         0
        .size:           120
        .value_kind:     by_value
    .group_segment_fixed_size: 0
    .kernarg_segment_align: 8
    .kernarg_segment_size: 120
    .language:       OpenCL C
    .language_version:
      - 2
      - 0
    .max_flat_workgroup_size: 512
    .name:           _ZN7rocprim17ROCPRIM_400000_NS6detail17trampoline_kernelINS0_14default_configENS1_25partition_config_selectorILNS1_17partition_subalgoE5EiNS0_10empty_typeEbEEZZNS1_14partition_implILS5_5ELb0ES3_mN6thrust23THRUST_200600_302600_NS6detail15normal_iteratorINSA_10device_ptrIiEEEEPS6_NSA_18transform_iteratorINSB_9not_fun_tI7is_trueIiEEESF_NSA_11use_defaultESM_EENS0_5tupleIJSF_S6_EEENSO_IJSG_SG_EEES6_PlJS6_EEE10hipError_tPvRmT3_T4_T5_T6_T7_T9_mT8_P12ihipStream_tbDpT10_ENKUlT_T0_E_clISt17integral_constantIbLb0EES1B_EEDaS16_S17_EUlS16_E_NS1_11comp_targetILNS1_3genE8ELNS1_11target_archE1030ELNS1_3gpuE2ELNS1_3repE0EEENS1_30default_config_static_selectorELNS0_4arch9wavefront6targetE0EEEvT1_
    .private_segment_fixed_size: 0
    .sgpr_count:     0
    .sgpr_spill_count: 0
    .symbol:         _ZN7rocprim17ROCPRIM_400000_NS6detail17trampoline_kernelINS0_14default_configENS1_25partition_config_selectorILNS1_17partition_subalgoE5EiNS0_10empty_typeEbEEZZNS1_14partition_implILS5_5ELb0ES3_mN6thrust23THRUST_200600_302600_NS6detail15normal_iteratorINSA_10device_ptrIiEEEEPS6_NSA_18transform_iteratorINSB_9not_fun_tI7is_trueIiEEESF_NSA_11use_defaultESM_EENS0_5tupleIJSF_S6_EEENSO_IJSG_SG_EEES6_PlJS6_EEE10hipError_tPvRmT3_T4_T5_T6_T7_T9_mT8_P12ihipStream_tbDpT10_ENKUlT_T0_E_clISt17integral_constantIbLb0EES1B_EEDaS16_S17_EUlS16_E_NS1_11comp_targetILNS1_3genE8ELNS1_11target_archE1030ELNS1_3gpuE2ELNS1_3repE0EEENS1_30default_config_static_selectorELNS0_4arch9wavefront6targetE0EEEvT1_.kd
    .uniform_work_group_size: 1
    .uses_dynamic_stack: false
    .vgpr_count:     0
    .vgpr_spill_count: 0
    .wavefront_size: 32
    .workgroup_processor_mode: 1
  - .args:
      - .offset:         0
        .size:           136
        .value_kind:     by_value
    .group_segment_fixed_size: 0
    .kernarg_segment_align: 8
    .kernarg_segment_size: 136
    .language:       OpenCL C
    .language_version:
      - 2
      - 0
    .max_flat_workgroup_size: 512
    .name:           _ZN7rocprim17ROCPRIM_400000_NS6detail17trampoline_kernelINS0_14default_configENS1_25partition_config_selectorILNS1_17partition_subalgoE5EiNS0_10empty_typeEbEEZZNS1_14partition_implILS5_5ELb0ES3_mN6thrust23THRUST_200600_302600_NS6detail15normal_iteratorINSA_10device_ptrIiEEEEPS6_NSA_18transform_iteratorINSB_9not_fun_tI7is_trueIiEEESF_NSA_11use_defaultESM_EENS0_5tupleIJSF_S6_EEENSO_IJSG_SG_EEES6_PlJS6_EEE10hipError_tPvRmT3_T4_T5_T6_T7_T9_mT8_P12ihipStream_tbDpT10_ENKUlT_T0_E_clISt17integral_constantIbLb1EES1B_EEDaS16_S17_EUlS16_E_NS1_11comp_targetILNS1_3genE0ELNS1_11target_archE4294967295ELNS1_3gpuE0ELNS1_3repE0EEENS1_30default_config_static_selectorELNS0_4arch9wavefront6targetE0EEEvT1_
    .private_segment_fixed_size: 0
    .sgpr_count:     0
    .sgpr_spill_count: 0
    .symbol:         _ZN7rocprim17ROCPRIM_400000_NS6detail17trampoline_kernelINS0_14default_configENS1_25partition_config_selectorILNS1_17partition_subalgoE5EiNS0_10empty_typeEbEEZZNS1_14partition_implILS5_5ELb0ES3_mN6thrust23THRUST_200600_302600_NS6detail15normal_iteratorINSA_10device_ptrIiEEEEPS6_NSA_18transform_iteratorINSB_9not_fun_tI7is_trueIiEEESF_NSA_11use_defaultESM_EENS0_5tupleIJSF_S6_EEENSO_IJSG_SG_EEES6_PlJS6_EEE10hipError_tPvRmT3_T4_T5_T6_T7_T9_mT8_P12ihipStream_tbDpT10_ENKUlT_T0_E_clISt17integral_constantIbLb1EES1B_EEDaS16_S17_EUlS16_E_NS1_11comp_targetILNS1_3genE0ELNS1_11target_archE4294967295ELNS1_3gpuE0ELNS1_3repE0EEENS1_30default_config_static_selectorELNS0_4arch9wavefront6targetE0EEEvT1_.kd
    .uniform_work_group_size: 1
    .uses_dynamic_stack: false
    .vgpr_count:     0
    .vgpr_spill_count: 0
    .wavefront_size: 32
    .workgroup_processor_mode: 1
  - .args:
      - .offset:         0
        .size:           136
        .value_kind:     by_value
    .group_segment_fixed_size: 0
    .kernarg_segment_align: 8
    .kernarg_segment_size: 136
    .language:       OpenCL C
    .language_version:
      - 2
      - 0
    .max_flat_workgroup_size: 512
    .name:           _ZN7rocprim17ROCPRIM_400000_NS6detail17trampoline_kernelINS0_14default_configENS1_25partition_config_selectorILNS1_17partition_subalgoE5EiNS0_10empty_typeEbEEZZNS1_14partition_implILS5_5ELb0ES3_mN6thrust23THRUST_200600_302600_NS6detail15normal_iteratorINSA_10device_ptrIiEEEEPS6_NSA_18transform_iteratorINSB_9not_fun_tI7is_trueIiEEESF_NSA_11use_defaultESM_EENS0_5tupleIJSF_S6_EEENSO_IJSG_SG_EEES6_PlJS6_EEE10hipError_tPvRmT3_T4_T5_T6_T7_T9_mT8_P12ihipStream_tbDpT10_ENKUlT_T0_E_clISt17integral_constantIbLb1EES1B_EEDaS16_S17_EUlS16_E_NS1_11comp_targetILNS1_3genE5ELNS1_11target_archE942ELNS1_3gpuE9ELNS1_3repE0EEENS1_30default_config_static_selectorELNS0_4arch9wavefront6targetE0EEEvT1_
    .private_segment_fixed_size: 0
    .sgpr_count:     0
    .sgpr_spill_count: 0
    .symbol:         _ZN7rocprim17ROCPRIM_400000_NS6detail17trampoline_kernelINS0_14default_configENS1_25partition_config_selectorILNS1_17partition_subalgoE5EiNS0_10empty_typeEbEEZZNS1_14partition_implILS5_5ELb0ES3_mN6thrust23THRUST_200600_302600_NS6detail15normal_iteratorINSA_10device_ptrIiEEEEPS6_NSA_18transform_iteratorINSB_9not_fun_tI7is_trueIiEEESF_NSA_11use_defaultESM_EENS0_5tupleIJSF_S6_EEENSO_IJSG_SG_EEES6_PlJS6_EEE10hipError_tPvRmT3_T4_T5_T6_T7_T9_mT8_P12ihipStream_tbDpT10_ENKUlT_T0_E_clISt17integral_constantIbLb1EES1B_EEDaS16_S17_EUlS16_E_NS1_11comp_targetILNS1_3genE5ELNS1_11target_archE942ELNS1_3gpuE9ELNS1_3repE0EEENS1_30default_config_static_selectorELNS0_4arch9wavefront6targetE0EEEvT1_.kd
    .uniform_work_group_size: 1
    .uses_dynamic_stack: false
    .vgpr_count:     0
    .vgpr_spill_count: 0
    .wavefront_size: 32
    .workgroup_processor_mode: 1
  - .args:
      - .offset:         0
        .size:           136
        .value_kind:     by_value
    .group_segment_fixed_size: 0
    .kernarg_segment_align: 8
    .kernarg_segment_size: 136
    .language:       OpenCL C
    .language_version:
      - 2
      - 0
    .max_flat_workgroup_size: 256
    .name:           _ZN7rocprim17ROCPRIM_400000_NS6detail17trampoline_kernelINS0_14default_configENS1_25partition_config_selectorILNS1_17partition_subalgoE5EiNS0_10empty_typeEbEEZZNS1_14partition_implILS5_5ELb0ES3_mN6thrust23THRUST_200600_302600_NS6detail15normal_iteratorINSA_10device_ptrIiEEEEPS6_NSA_18transform_iteratorINSB_9not_fun_tI7is_trueIiEEESF_NSA_11use_defaultESM_EENS0_5tupleIJSF_S6_EEENSO_IJSG_SG_EEES6_PlJS6_EEE10hipError_tPvRmT3_T4_T5_T6_T7_T9_mT8_P12ihipStream_tbDpT10_ENKUlT_T0_E_clISt17integral_constantIbLb1EES1B_EEDaS16_S17_EUlS16_E_NS1_11comp_targetILNS1_3genE4ELNS1_11target_archE910ELNS1_3gpuE8ELNS1_3repE0EEENS1_30default_config_static_selectorELNS0_4arch9wavefront6targetE0EEEvT1_
    .private_segment_fixed_size: 0
    .sgpr_count:     0
    .sgpr_spill_count: 0
    .symbol:         _ZN7rocprim17ROCPRIM_400000_NS6detail17trampoline_kernelINS0_14default_configENS1_25partition_config_selectorILNS1_17partition_subalgoE5EiNS0_10empty_typeEbEEZZNS1_14partition_implILS5_5ELb0ES3_mN6thrust23THRUST_200600_302600_NS6detail15normal_iteratorINSA_10device_ptrIiEEEEPS6_NSA_18transform_iteratorINSB_9not_fun_tI7is_trueIiEEESF_NSA_11use_defaultESM_EENS0_5tupleIJSF_S6_EEENSO_IJSG_SG_EEES6_PlJS6_EEE10hipError_tPvRmT3_T4_T5_T6_T7_T9_mT8_P12ihipStream_tbDpT10_ENKUlT_T0_E_clISt17integral_constantIbLb1EES1B_EEDaS16_S17_EUlS16_E_NS1_11comp_targetILNS1_3genE4ELNS1_11target_archE910ELNS1_3gpuE8ELNS1_3repE0EEENS1_30default_config_static_selectorELNS0_4arch9wavefront6targetE0EEEvT1_.kd
    .uniform_work_group_size: 1
    .uses_dynamic_stack: false
    .vgpr_count:     0
    .vgpr_spill_count: 0
    .wavefront_size: 32
    .workgroup_processor_mode: 1
  - .args:
      - .offset:         0
        .size:           136
        .value_kind:     by_value
    .group_segment_fixed_size: 0
    .kernarg_segment_align: 8
    .kernarg_segment_size: 136
    .language:       OpenCL C
    .language_version:
      - 2
      - 0
    .max_flat_workgroup_size: 512
    .name:           _ZN7rocprim17ROCPRIM_400000_NS6detail17trampoline_kernelINS0_14default_configENS1_25partition_config_selectorILNS1_17partition_subalgoE5EiNS0_10empty_typeEbEEZZNS1_14partition_implILS5_5ELb0ES3_mN6thrust23THRUST_200600_302600_NS6detail15normal_iteratorINSA_10device_ptrIiEEEEPS6_NSA_18transform_iteratorINSB_9not_fun_tI7is_trueIiEEESF_NSA_11use_defaultESM_EENS0_5tupleIJSF_S6_EEENSO_IJSG_SG_EEES6_PlJS6_EEE10hipError_tPvRmT3_T4_T5_T6_T7_T9_mT8_P12ihipStream_tbDpT10_ENKUlT_T0_E_clISt17integral_constantIbLb1EES1B_EEDaS16_S17_EUlS16_E_NS1_11comp_targetILNS1_3genE3ELNS1_11target_archE908ELNS1_3gpuE7ELNS1_3repE0EEENS1_30default_config_static_selectorELNS0_4arch9wavefront6targetE0EEEvT1_
    .private_segment_fixed_size: 0
    .sgpr_count:     0
    .sgpr_spill_count: 0
    .symbol:         _ZN7rocprim17ROCPRIM_400000_NS6detail17trampoline_kernelINS0_14default_configENS1_25partition_config_selectorILNS1_17partition_subalgoE5EiNS0_10empty_typeEbEEZZNS1_14partition_implILS5_5ELb0ES3_mN6thrust23THRUST_200600_302600_NS6detail15normal_iteratorINSA_10device_ptrIiEEEEPS6_NSA_18transform_iteratorINSB_9not_fun_tI7is_trueIiEEESF_NSA_11use_defaultESM_EENS0_5tupleIJSF_S6_EEENSO_IJSG_SG_EEES6_PlJS6_EEE10hipError_tPvRmT3_T4_T5_T6_T7_T9_mT8_P12ihipStream_tbDpT10_ENKUlT_T0_E_clISt17integral_constantIbLb1EES1B_EEDaS16_S17_EUlS16_E_NS1_11comp_targetILNS1_3genE3ELNS1_11target_archE908ELNS1_3gpuE7ELNS1_3repE0EEENS1_30default_config_static_selectorELNS0_4arch9wavefront6targetE0EEEvT1_.kd
    .uniform_work_group_size: 1
    .uses_dynamic_stack: false
    .vgpr_count:     0
    .vgpr_spill_count: 0
    .wavefront_size: 32
    .workgroup_processor_mode: 1
  - .args:
      - .offset:         0
        .size:           136
        .value_kind:     by_value
    .group_segment_fixed_size: 0
    .kernarg_segment_align: 8
    .kernarg_segment_size: 136
    .language:       OpenCL C
    .language_version:
      - 2
      - 0
    .max_flat_workgroup_size: 256
    .name:           _ZN7rocprim17ROCPRIM_400000_NS6detail17trampoline_kernelINS0_14default_configENS1_25partition_config_selectorILNS1_17partition_subalgoE5EiNS0_10empty_typeEbEEZZNS1_14partition_implILS5_5ELb0ES3_mN6thrust23THRUST_200600_302600_NS6detail15normal_iteratorINSA_10device_ptrIiEEEEPS6_NSA_18transform_iteratorINSB_9not_fun_tI7is_trueIiEEESF_NSA_11use_defaultESM_EENS0_5tupleIJSF_S6_EEENSO_IJSG_SG_EEES6_PlJS6_EEE10hipError_tPvRmT3_T4_T5_T6_T7_T9_mT8_P12ihipStream_tbDpT10_ENKUlT_T0_E_clISt17integral_constantIbLb1EES1B_EEDaS16_S17_EUlS16_E_NS1_11comp_targetILNS1_3genE2ELNS1_11target_archE906ELNS1_3gpuE6ELNS1_3repE0EEENS1_30default_config_static_selectorELNS0_4arch9wavefront6targetE0EEEvT1_
    .private_segment_fixed_size: 0
    .sgpr_count:     0
    .sgpr_spill_count: 0
    .symbol:         _ZN7rocprim17ROCPRIM_400000_NS6detail17trampoline_kernelINS0_14default_configENS1_25partition_config_selectorILNS1_17partition_subalgoE5EiNS0_10empty_typeEbEEZZNS1_14partition_implILS5_5ELb0ES3_mN6thrust23THRUST_200600_302600_NS6detail15normal_iteratorINSA_10device_ptrIiEEEEPS6_NSA_18transform_iteratorINSB_9not_fun_tI7is_trueIiEEESF_NSA_11use_defaultESM_EENS0_5tupleIJSF_S6_EEENSO_IJSG_SG_EEES6_PlJS6_EEE10hipError_tPvRmT3_T4_T5_T6_T7_T9_mT8_P12ihipStream_tbDpT10_ENKUlT_T0_E_clISt17integral_constantIbLb1EES1B_EEDaS16_S17_EUlS16_E_NS1_11comp_targetILNS1_3genE2ELNS1_11target_archE906ELNS1_3gpuE6ELNS1_3repE0EEENS1_30default_config_static_selectorELNS0_4arch9wavefront6targetE0EEEvT1_.kd
    .uniform_work_group_size: 1
    .uses_dynamic_stack: false
    .vgpr_count:     0
    .vgpr_spill_count: 0
    .wavefront_size: 32
    .workgroup_processor_mode: 1
  - .args:
      - .offset:         0
        .size:           136
        .value_kind:     by_value
    .group_segment_fixed_size: 0
    .kernarg_segment_align: 8
    .kernarg_segment_size: 136
    .language:       OpenCL C
    .language_version:
      - 2
      - 0
    .max_flat_workgroup_size: 192
    .name:           _ZN7rocprim17ROCPRIM_400000_NS6detail17trampoline_kernelINS0_14default_configENS1_25partition_config_selectorILNS1_17partition_subalgoE5EiNS0_10empty_typeEbEEZZNS1_14partition_implILS5_5ELb0ES3_mN6thrust23THRUST_200600_302600_NS6detail15normal_iteratorINSA_10device_ptrIiEEEEPS6_NSA_18transform_iteratorINSB_9not_fun_tI7is_trueIiEEESF_NSA_11use_defaultESM_EENS0_5tupleIJSF_S6_EEENSO_IJSG_SG_EEES6_PlJS6_EEE10hipError_tPvRmT3_T4_T5_T6_T7_T9_mT8_P12ihipStream_tbDpT10_ENKUlT_T0_E_clISt17integral_constantIbLb1EES1B_EEDaS16_S17_EUlS16_E_NS1_11comp_targetILNS1_3genE10ELNS1_11target_archE1200ELNS1_3gpuE4ELNS1_3repE0EEENS1_30default_config_static_selectorELNS0_4arch9wavefront6targetE0EEEvT1_
    .private_segment_fixed_size: 0
    .sgpr_count:     0
    .sgpr_spill_count: 0
    .symbol:         _ZN7rocprim17ROCPRIM_400000_NS6detail17trampoline_kernelINS0_14default_configENS1_25partition_config_selectorILNS1_17partition_subalgoE5EiNS0_10empty_typeEbEEZZNS1_14partition_implILS5_5ELb0ES3_mN6thrust23THRUST_200600_302600_NS6detail15normal_iteratorINSA_10device_ptrIiEEEEPS6_NSA_18transform_iteratorINSB_9not_fun_tI7is_trueIiEEESF_NSA_11use_defaultESM_EENS0_5tupleIJSF_S6_EEENSO_IJSG_SG_EEES6_PlJS6_EEE10hipError_tPvRmT3_T4_T5_T6_T7_T9_mT8_P12ihipStream_tbDpT10_ENKUlT_T0_E_clISt17integral_constantIbLb1EES1B_EEDaS16_S17_EUlS16_E_NS1_11comp_targetILNS1_3genE10ELNS1_11target_archE1200ELNS1_3gpuE4ELNS1_3repE0EEENS1_30default_config_static_selectorELNS0_4arch9wavefront6targetE0EEEvT1_.kd
    .uniform_work_group_size: 1
    .uses_dynamic_stack: false
    .vgpr_count:     0
    .vgpr_spill_count: 0
    .wavefront_size: 32
    .workgroup_processor_mode: 1
  - .args:
      - .offset:         0
        .size:           136
        .value_kind:     by_value
    .group_segment_fixed_size: 0
    .kernarg_segment_align: 8
    .kernarg_segment_size: 136
    .language:       OpenCL C
    .language_version:
      - 2
      - 0
    .max_flat_workgroup_size: 128
    .name:           _ZN7rocprim17ROCPRIM_400000_NS6detail17trampoline_kernelINS0_14default_configENS1_25partition_config_selectorILNS1_17partition_subalgoE5EiNS0_10empty_typeEbEEZZNS1_14partition_implILS5_5ELb0ES3_mN6thrust23THRUST_200600_302600_NS6detail15normal_iteratorINSA_10device_ptrIiEEEEPS6_NSA_18transform_iteratorINSB_9not_fun_tI7is_trueIiEEESF_NSA_11use_defaultESM_EENS0_5tupleIJSF_S6_EEENSO_IJSG_SG_EEES6_PlJS6_EEE10hipError_tPvRmT3_T4_T5_T6_T7_T9_mT8_P12ihipStream_tbDpT10_ENKUlT_T0_E_clISt17integral_constantIbLb1EES1B_EEDaS16_S17_EUlS16_E_NS1_11comp_targetILNS1_3genE9ELNS1_11target_archE1100ELNS1_3gpuE3ELNS1_3repE0EEENS1_30default_config_static_selectorELNS0_4arch9wavefront6targetE0EEEvT1_
    .private_segment_fixed_size: 0
    .sgpr_count:     0
    .sgpr_spill_count: 0
    .symbol:         _ZN7rocprim17ROCPRIM_400000_NS6detail17trampoline_kernelINS0_14default_configENS1_25partition_config_selectorILNS1_17partition_subalgoE5EiNS0_10empty_typeEbEEZZNS1_14partition_implILS5_5ELb0ES3_mN6thrust23THRUST_200600_302600_NS6detail15normal_iteratorINSA_10device_ptrIiEEEEPS6_NSA_18transform_iteratorINSB_9not_fun_tI7is_trueIiEEESF_NSA_11use_defaultESM_EENS0_5tupleIJSF_S6_EEENSO_IJSG_SG_EEES6_PlJS6_EEE10hipError_tPvRmT3_T4_T5_T6_T7_T9_mT8_P12ihipStream_tbDpT10_ENKUlT_T0_E_clISt17integral_constantIbLb1EES1B_EEDaS16_S17_EUlS16_E_NS1_11comp_targetILNS1_3genE9ELNS1_11target_archE1100ELNS1_3gpuE3ELNS1_3repE0EEENS1_30default_config_static_selectorELNS0_4arch9wavefront6targetE0EEEvT1_.kd
    .uniform_work_group_size: 1
    .uses_dynamic_stack: false
    .vgpr_count:     0
    .vgpr_spill_count: 0
    .wavefront_size: 32
    .workgroup_processor_mode: 1
  - .args:
      - .offset:         0
        .size:           136
        .value_kind:     by_value
    .group_segment_fixed_size: 0
    .kernarg_segment_align: 8
    .kernarg_segment_size: 136
    .language:       OpenCL C
    .language_version:
      - 2
      - 0
    .max_flat_workgroup_size: 512
    .name:           _ZN7rocprim17ROCPRIM_400000_NS6detail17trampoline_kernelINS0_14default_configENS1_25partition_config_selectorILNS1_17partition_subalgoE5EiNS0_10empty_typeEbEEZZNS1_14partition_implILS5_5ELb0ES3_mN6thrust23THRUST_200600_302600_NS6detail15normal_iteratorINSA_10device_ptrIiEEEEPS6_NSA_18transform_iteratorINSB_9not_fun_tI7is_trueIiEEESF_NSA_11use_defaultESM_EENS0_5tupleIJSF_S6_EEENSO_IJSG_SG_EEES6_PlJS6_EEE10hipError_tPvRmT3_T4_T5_T6_T7_T9_mT8_P12ihipStream_tbDpT10_ENKUlT_T0_E_clISt17integral_constantIbLb1EES1B_EEDaS16_S17_EUlS16_E_NS1_11comp_targetILNS1_3genE8ELNS1_11target_archE1030ELNS1_3gpuE2ELNS1_3repE0EEENS1_30default_config_static_selectorELNS0_4arch9wavefront6targetE0EEEvT1_
    .private_segment_fixed_size: 0
    .sgpr_count:     0
    .sgpr_spill_count: 0
    .symbol:         _ZN7rocprim17ROCPRIM_400000_NS6detail17trampoline_kernelINS0_14default_configENS1_25partition_config_selectorILNS1_17partition_subalgoE5EiNS0_10empty_typeEbEEZZNS1_14partition_implILS5_5ELb0ES3_mN6thrust23THRUST_200600_302600_NS6detail15normal_iteratorINSA_10device_ptrIiEEEEPS6_NSA_18transform_iteratorINSB_9not_fun_tI7is_trueIiEEESF_NSA_11use_defaultESM_EENS0_5tupleIJSF_S6_EEENSO_IJSG_SG_EEES6_PlJS6_EEE10hipError_tPvRmT3_T4_T5_T6_T7_T9_mT8_P12ihipStream_tbDpT10_ENKUlT_T0_E_clISt17integral_constantIbLb1EES1B_EEDaS16_S17_EUlS16_E_NS1_11comp_targetILNS1_3genE8ELNS1_11target_archE1030ELNS1_3gpuE2ELNS1_3repE0EEENS1_30default_config_static_selectorELNS0_4arch9wavefront6targetE0EEEvT1_.kd
    .uniform_work_group_size: 1
    .uses_dynamic_stack: false
    .vgpr_count:     0
    .vgpr_spill_count: 0
    .wavefront_size: 32
    .workgroup_processor_mode: 1
  - .args:
      - .offset:         0
        .size:           120
        .value_kind:     by_value
    .group_segment_fixed_size: 0
    .kernarg_segment_align: 8
    .kernarg_segment_size: 120
    .language:       OpenCL C
    .language_version:
      - 2
      - 0
    .max_flat_workgroup_size: 512
    .name:           _ZN7rocprim17ROCPRIM_400000_NS6detail17trampoline_kernelINS0_14default_configENS1_25partition_config_selectorILNS1_17partition_subalgoE5EiNS0_10empty_typeEbEEZZNS1_14partition_implILS5_5ELb0ES3_mN6thrust23THRUST_200600_302600_NS6detail15normal_iteratorINSA_10device_ptrIiEEEEPS6_NSA_18transform_iteratorINSB_9not_fun_tI7is_trueIiEEESF_NSA_11use_defaultESM_EENS0_5tupleIJSF_S6_EEENSO_IJSG_SG_EEES6_PlJS6_EEE10hipError_tPvRmT3_T4_T5_T6_T7_T9_mT8_P12ihipStream_tbDpT10_ENKUlT_T0_E_clISt17integral_constantIbLb1EES1A_IbLb0EEEEDaS16_S17_EUlS16_E_NS1_11comp_targetILNS1_3genE0ELNS1_11target_archE4294967295ELNS1_3gpuE0ELNS1_3repE0EEENS1_30default_config_static_selectorELNS0_4arch9wavefront6targetE0EEEvT1_
    .private_segment_fixed_size: 0
    .sgpr_count:     0
    .sgpr_spill_count: 0
    .symbol:         _ZN7rocprim17ROCPRIM_400000_NS6detail17trampoline_kernelINS0_14default_configENS1_25partition_config_selectorILNS1_17partition_subalgoE5EiNS0_10empty_typeEbEEZZNS1_14partition_implILS5_5ELb0ES3_mN6thrust23THRUST_200600_302600_NS6detail15normal_iteratorINSA_10device_ptrIiEEEEPS6_NSA_18transform_iteratorINSB_9not_fun_tI7is_trueIiEEESF_NSA_11use_defaultESM_EENS0_5tupleIJSF_S6_EEENSO_IJSG_SG_EEES6_PlJS6_EEE10hipError_tPvRmT3_T4_T5_T6_T7_T9_mT8_P12ihipStream_tbDpT10_ENKUlT_T0_E_clISt17integral_constantIbLb1EES1A_IbLb0EEEEDaS16_S17_EUlS16_E_NS1_11comp_targetILNS1_3genE0ELNS1_11target_archE4294967295ELNS1_3gpuE0ELNS1_3repE0EEENS1_30default_config_static_selectorELNS0_4arch9wavefront6targetE0EEEvT1_.kd
    .uniform_work_group_size: 1
    .uses_dynamic_stack: false
    .vgpr_count:     0
    .vgpr_spill_count: 0
    .wavefront_size: 32
    .workgroup_processor_mode: 1
  - .args:
      - .offset:         0
        .size:           120
        .value_kind:     by_value
    .group_segment_fixed_size: 0
    .kernarg_segment_align: 8
    .kernarg_segment_size: 120
    .language:       OpenCL C
    .language_version:
      - 2
      - 0
    .max_flat_workgroup_size: 512
    .name:           _ZN7rocprim17ROCPRIM_400000_NS6detail17trampoline_kernelINS0_14default_configENS1_25partition_config_selectorILNS1_17partition_subalgoE5EiNS0_10empty_typeEbEEZZNS1_14partition_implILS5_5ELb0ES3_mN6thrust23THRUST_200600_302600_NS6detail15normal_iteratorINSA_10device_ptrIiEEEEPS6_NSA_18transform_iteratorINSB_9not_fun_tI7is_trueIiEEESF_NSA_11use_defaultESM_EENS0_5tupleIJSF_S6_EEENSO_IJSG_SG_EEES6_PlJS6_EEE10hipError_tPvRmT3_T4_T5_T6_T7_T9_mT8_P12ihipStream_tbDpT10_ENKUlT_T0_E_clISt17integral_constantIbLb1EES1A_IbLb0EEEEDaS16_S17_EUlS16_E_NS1_11comp_targetILNS1_3genE5ELNS1_11target_archE942ELNS1_3gpuE9ELNS1_3repE0EEENS1_30default_config_static_selectorELNS0_4arch9wavefront6targetE0EEEvT1_
    .private_segment_fixed_size: 0
    .sgpr_count:     0
    .sgpr_spill_count: 0
    .symbol:         _ZN7rocprim17ROCPRIM_400000_NS6detail17trampoline_kernelINS0_14default_configENS1_25partition_config_selectorILNS1_17partition_subalgoE5EiNS0_10empty_typeEbEEZZNS1_14partition_implILS5_5ELb0ES3_mN6thrust23THRUST_200600_302600_NS6detail15normal_iteratorINSA_10device_ptrIiEEEEPS6_NSA_18transform_iteratorINSB_9not_fun_tI7is_trueIiEEESF_NSA_11use_defaultESM_EENS0_5tupleIJSF_S6_EEENSO_IJSG_SG_EEES6_PlJS6_EEE10hipError_tPvRmT3_T4_T5_T6_T7_T9_mT8_P12ihipStream_tbDpT10_ENKUlT_T0_E_clISt17integral_constantIbLb1EES1A_IbLb0EEEEDaS16_S17_EUlS16_E_NS1_11comp_targetILNS1_3genE5ELNS1_11target_archE942ELNS1_3gpuE9ELNS1_3repE0EEENS1_30default_config_static_selectorELNS0_4arch9wavefront6targetE0EEEvT1_.kd
    .uniform_work_group_size: 1
    .uses_dynamic_stack: false
    .vgpr_count:     0
    .vgpr_spill_count: 0
    .wavefront_size: 32
    .workgroup_processor_mode: 1
  - .args:
      - .offset:         0
        .size:           120
        .value_kind:     by_value
    .group_segment_fixed_size: 0
    .kernarg_segment_align: 8
    .kernarg_segment_size: 120
    .language:       OpenCL C
    .language_version:
      - 2
      - 0
    .max_flat_workgroup_size: 256
    .name:           _ZN7rocprim17ROCPRIM_400000_NS6detail17trampoline_kernelINS0_14default_configENS1_25partition_config_selectorILNS1_17partition_subalgoE5EiNS0_10empty_typeEbEEZZNS1_14partition_implILS5_5ELb0ES3_mN6thrust23THRUST_200600_302600_NS6detail15normal_iteratorINSA_10device_ptrIiEEEEPS6_NSA_18transform_iteratorINSB_9not_fun_tI7is_trueIiEEESF_NSA_11use_defaultESM_EENS0_5tupleIJSF_S6_EEENSO_IJSG_SG_EEES6_PlJS6_EEE10hipError_tPvRmT3_T4_T5_T6_T7_T9_mT8_P12ihipStream_tbDpT10_ENKUlT_T0_E_clISt17integral_constantIbLb1EES1A_IbLb0EEEEDaS16_S17_EUlS16_E_NS1_11comp_targetILNS1_3genE4ELNS1_11target_archE910ELNS1_3gpuE8ELNS1_3repE0EEENS1_30default_config_static_selectorELNS0_4arch9wavefront6targetE0EEEvT1_
    .private_segment_fixed_size: 0
    .sgpr_count:     0
    .sgpr_spill_count: 0
    .symbol:         _ZN7rocprim17ROCPRIM_400000_NS6detail17trampoline_kernelINS0_14default_configENS1_25partition_config_selectorILNS1_17partition_subalgoE5EiNS0_10empty_typeEbEEZZNS1_14partition_implILS5_5ELb0ES3_mN6thrust23THRUST_200600_302600_NS6detail15normal_iteratorINSA_10device_ptrIiEEEEPS6_NSA_18transform_iteratorINSB_9not_fun_tI7is_trueIiEEESF_NSA_11use_defaultESM_EENS0_5tupleIJSF_S6_EEENSO_IJSG_SG_EEES6_PlJS6_EEE10hipError_tPvRmT3_T4_T5_T6_T7_T9_mT8_P12ihipStream_tbDpT10_ENKUlT_T0_E_clISt17integral_constantIbLb1EES1A_IbLb0EEEEDaS16_S17_EUlS16_E_NS1_11comp_targetILNS1_3genE4ELNS1_11target_archE910ELNS1_3gpuE8ELNS1_3repE0EEENS1_30default_config_static_selectorELNS0_4arch9wavefront6targetE0EEEvT1_.kd
    .uniform_work_group_size: 1
    .uses_dynamic_stack: false
    .vgpr_count:     0
    .vgpr_spill_count: 0
    .wavefront_size: 32
    .workgroup_processor_mode: 1
  - .args:
      - .offset:         0
        .size:           120
        .value_kind:     by_value
    .group_segment_fixed_size: 0
    .kernarg_segment_align: 8
    .kernarg_segment_size: 120
    .language:       OpenCL C
    .language_version:
      - 2
      - 0
    .max_flat_workgroup_size: 512
    .name:           _ZN7rocprim17ROCPRIM_400000_NS6detail17trampoline_kernelINS0_14default_configENS1_25partition_config_selectorILNS1_17partition_subalgoE5EiNS0_10empty_typeEbEEZZNS1_14partition_implILS5_5ELb0ES3_mN6thrust23THRUST_200600_302600_NS6detail15normal_iteratorINSA_10device_ptrIiEEEEPS6_NSA_18transform_iteratorINSB_9not_fun_tI7is_trueIiEEESF_NSA_11use_defaultESM_EENS0_5tupleIJSF_S6_EEENSO_IJSG_SG_EEES6_PlJS6_EEE10hipError_tPvRmT3_T4_T5_T6_T7_T9_mT8_P12ihipStream_tbDpT10_ENKUlT_T0_E_clISt17integral_constantIbLb1EES1A_IbLb0EEEEDaS16_S17_EUlS16_E_NS1_11comp_targetILNS1_3genE3ELNS1_11target_archE908ELNS1_3gpuE7ELNS1_3repE0EEENS1_30default_config_static_selectorELNS0_4arch9wavefront6targetE0EEEvT1_
    .private_segment_fixed_size: 0
    .sgpr_count:     0
    .sgpr_spill_count: 0
    .symbol:         _ZN7rocprim17ROCPRIM_400000_NS6detail17trampoline_kernelINS0_14default_configENS1_25partition_config_selectorILNS1_17partition_subalgoE5EiNS0_10empty_typeEbEEZZNS1_14partition_implILS5_5ELb0ES3_mN6thrust23THRUST_200600_302600_NS6detail15normal_iteratorINSA_10device_ptrIiEEEEPS6_NSA_18transform_iteratorINSB_9not_fun_tI7is_trueIiEEESF_NSA_11use_defaultESM_EENS0_5tupleIJSF_S6_EEENSO_IJSG_SG_EEES6_PlJS6_EEE10hipError_tPvRmT3_T4_T5_T6_T7_T9_mT8_P12ihipStream_tbDpT10_ENKUlT_T0_E_clISt17integral_constantIbLb1EES1A_IbLb0EEEEDaS16_S17_EUlS16_E_NS1_11comp_targetILNS1_3genE3ELNS1_11target_archE908ELNS1_3gpuE7ELNS1_3repE0EEENS1_30default_config_static_selectorELNS0_4arch9wavefront6targetE0EEEvT1_.kd
    .uniform_work_group_size: 1
    .uses_dynamic_stack: false
    .vgpr_count:     0
    .vgpr_spill_count: 0
    .wavefront_size: 32
    .workgroup_processor_mode: 1
  - .args:
      - .offset:         0
        .size:           120
        .value_kind:     by_value
    .group_segment_fixed_size: 0
    .kernarg_segment_align: 8
    .kernarg_segment_size: 120
    .language:       OpenCL C
    .language_version:
      - 2
      - 0
    .max_flat_workgroup_size: 256
    .name:           _ZN7rocprim17ROCPRIM_400000_NS6detail17trampoline_kernelINS0_14default_configENS1_25partition_config_selectorILNS1_17partition_subalgoE5EiNS0_10empty_typeEbEEZZNS1_14partition_implILS5_5ELb0ES3_mN6thrust23THRUST_200600_302600_NS6detail15normal_iteratorINSA_10device_ptrIiEEEEPS6_NSA_18transform_iteratorINSB_9not_fun_tI7is_trueIiEEESF_NSA_11use_defaultESM_EENS0_5tupleIJSF_S6_EEENSO_IJSG_SG_EEES6_PlJS6_EEE10hipError_tPvRmT3_T4_T5_T6_T7_T9_mT8_P12ihipStream_tbDpT10_ENKUlT_T0_E_clISt17integral_constantIbLb1EES1A_IbLb0EEEEDaS16_S17_EUlS16_E_NS1_11comp_targetILNS1_3genE2ELNS1_11target_archE906ELNS1_3gpuE6ELNS1_3repE0EEENS1_30default_config_static_selectorELNS0_4arch9wavefront6targetE0EEEvT1_
    .private_segment_fixed_size: 0
    .sgpr_count:     0
    .sgpr_spill_count: 0
    .symbol:         _ZN7rocprim17ROCPRIM_400000_NS6detail17trampoline_kernelINS0_14default_configENS1_25partition_config_selectorILNS1_17partition_subalgoE5EiNS0_10empty_typeEbEEZZNS1_14partition_implILS5_5ELb0ES3_mN6thrust23THRUST_200600_302600_NS6detail15normal_iteratorINSA_10device_ptrIiEEEEPS6_NSA_18transform_iteratorINSB_9not_fun_tI7is_trueIiEEESF_NSA_11use_defaultESM_EENS0_5tupleIJSF_S6_EEENSO_IJSG_SG_EEES6_PlJS6_EEE10hipError_tPvRmT3_T4_T5_T6_T7_T9_mT8_P12ihipStream_tbDpT10_ENKUlT_T0_E_clISt17integral_constantIbLb1EES1A_IbLb0EEEEDaS16_S17_EUlS16_E_NS1_11comp_targetILNS1_3genE2ELNS1_11target_archE906ELNS1_3gpuE6ELNS1_3repE0EEENS1_30default_config_static_selectorELNS0_4arch9wavefront6targetE0EEEvT1_.kd
    .uniform_work_group_size: 1
    .uses_dynamic_stack: false
    .vgpr_count:     0
    .vgpr_spill_count: 0
    .wavefront_size: 32
    .workgroup_processor_mode: 1
  - .args:
      - .offset:         0
        .size:           120
        .value_kind:     by_value
    .group_segment_fixed_size: 0
    .kernarg_segment_align: 8
    .kernarg_segment_size: 120
    .language:       OpenCL C
    .language_version:
      - 2
      - 0
    .max_flat_workgroup_size: 192
    .name:           _ZN7rocprim17ROCPRIM_400000_NS6detail17trampoline_kernelINS0_14default_configENS1_25partition_config_selectorILNS1_17partition_subalgoE5EiNS0_10empty_typeEbEEZZNS1_14partition_implILS5_5ELb0ES3_mN6thrust23THRUST_200600_302600_NS6detail15normal_iteratorINSA_10device_ptrIiEEEEPS6_NSA_18transform_iteratorINSB_9not_fun_tI7is_trueIiEEESF_NSA_11use_defaultESM_EENS0_5tupleIJSF_S6_EEENSO_IJSG_SG_EEES6_PlJS6_EEE10hipError_tPvRmT3_T4_T5_T6_T7_T9_mT8_P12ihipStream_tbDpT10_ENKUlT_T0_E_clISt17integral_constantIbLb1EES1A_IbLb0EEEEDaS16_S17_EUlS16_E_NS1_11comp_targetILNS1_3genE10ELNS1_11target_archE1200ELNS1_3gpuE4ELNS1_3repE0EEENS1_30default_config_static_selectorELNS0_4arch9wavefront6targetE0EEEvT1_
    .private_segment_fixed_size: 0
    .sgpr_count:     0
    .sgpr_spill_count: 0
    .symbol:         _ZN7rocprim17ROCPRIM_400000_NS6detail17trampoline_kernelINS0_14default_configENS1_25partition_config_selectorILNS1_17partition_subalgoE5EiNS0_10empty_typeEbEEZZNS1_14partition_implILS5_5ELb0ES3_mN6thrust23THRUST_200600_302600_NS6detail15normal_iteratorINSA_10device_ptrIiEEEEPS6_NSA_18transform_iteratorINSB_9not_fun_tI7is_trueIiEEESF_NSA_11use_defaultESM_EENS0_5tupleIJSF_S6_EEENSO_IJSG_SG_EEES6_PlJS6_EEE10hipError_tPvRmT3_T4_T5_T6_T7_T9_mT8_P12ihipStream_tbDpT10_ENKUlT_T0_E_clISt17integral_constantIbLb1EES1A_IbLb0EEEEDaS16_S17_EUlS16_E_NS1_11comp_targetILNS1_3genE10ELNS1_11target_archE1200ELNS1_3gpuE4ELNS1_3repE0EEENS1_30default_config_static_selectorELNS0_4arch9wavefront6targetE0EEEvT1_.kd
    .uniform_work_group_size: 1
    .uses_dynamic_stack: false
    .vgpr_count:     0
    .vgpr_spill_count: 0
    .wavefront_size: 32
    .workgroup_processor_mode: 1
  - .args:
      - .offset:         0
        .size:           120
        .value_kind:     by_value
    .group_segment_fixed_size: 0
    .kernarg_segment_align: 8
    .kernarg_segment_size: 120
    .language:       OpenCL C
    .language_version:
      - 2
      - 0
    .max_flat_workgroup_size: 128
    .name:           _ZN7rocprim17ROCPRIM_400000_NS6detail17trampoline_kernelINS0_14default_configENS1_25partition_config_selectorILNS1_17partition_subalgoE5EiNS0_10empty_typeEbEEZZNS1_14partition_implILS5_5ELb0ES3_mN6thrust23THRUST_200600_302600_NS6detail15normal_iteratorINSA_10device_ptrIiEEEEPS6_NSA_18transform_iteratorINSB_9not_fun_tI7is_trueIiEEESF_NSA_11use_defaultESM_EENS0_5tupleIJSF_S6_EEENSO_IJSG_SG_EEES6_PlJS6_EEE10hipError_tPvRmT3_T4_T5_T6_T7_T9_mT8_P12ihipStream_tbDpT10_ENKUlT_T0_E_clISt17integral_constantIbLb1EES1A_IbLb0EEEEDaS16_S17_EUlS16_E_NS1_11comp_targetILNS1_3genE9ELNS1_11target_archE1100ELNS1_3gpuE3ELNS1_3repE0EEENS1_30default_config_static_selectorELNS0_4arch9wavefront6targetE0EEEvT1_
    .private_segment_fixed_size: 0
    .sgpr_count:     0
    .sgpr_spill_count: 0
    .symbol:         _ZN7rocprim17ROCPRIM_400000_NS6detail17trampoline_kernelINS0_14default_configENS1_25partition_config_selectorILNS1_17partition_subalgoE5EiNS0_10empty_typeEbEEZZNS1_14partition_implILS5_5ELb0ES3_mN6thrust23THRUST_200600_302600_NS6detail15normal_iteratorINSA_10device_ptrIiEEEEPS6_NSA_18transform_iteratorINSB_9not_fun_tI7is_trueIiEEESF_NSA_11use_defaultESM_EENS0_5tupleIJSF_S6_EEENSO_IJSG_SG_EEES6_PlJS6_EEE10hipError_tPvRmT3_T4_T5_T6_T7_T9_mT8_P12ihipStream_tbDpT10_ENKUlT_T0_E_clISt17integral_constantIbLb1EES1A_IbLb0EEEEDaS16_S17_EUlS16_E_NS1_11comp_targetILNS1_3genE9ELNS1_11target_archE1100ELNS1_3gpuE3ELNS1_3repE0EEENS1_30default_config_static_selectorELNS0_4arch9wavefront6targetE0EEEvT1_.kd
    .uniform_work_group_size: 1
    .uses_dynamic_stack: false
    .vgpr_count:     0
    .vgpr_spill_count: 0
    .wavefront_size: 32
    .workgroup_processor_mode: 1
  - .args:
      - .offset:         0
        .size:           120
        .value_kind:     by_value
    .group_segment_fixed_size: 0
    .kernarg_segment_align: 8
    .kernarg_segment_size: 120
    .language:       OpenCL C
    .language_version:
      - 2
      - 0
    .max_flat_workgroup_size: 512
    .name:           _ZN7rocprim17ROCPRIM_400000_NS6detail17trampoline_kernelINS0_14default_configENS1_25partition_config_selectorILNS1_17partition_subalgoE5EiNS0_10empty_typeEbEEZZNS1_14partition_implILS5_5ELb0ES3_mN6thrust23THRUST_200600_302600_NS6detail15normal_iteratorINSA_10device_ptrIiEEEEPS6_NSA_18transform_iteratorINSB_9not_fun_tI7is_trueIiEEESF_NSA_11use_defaultESM_EENS0_5tupleIJSF_S6_EEENSO_IJSG_SG_EEES6_PlJS6_EEE10hipError_tPvRmT3_T4_T5_T6_T7_T9_mT8_P12ihipStream_tbDpT10_ENKUlT_T0_E_clISt17integral_constantIbLb1EES1A_IbLb0EEEEDaS16_S17_EUlS16_E_NS1_11comp_targetILNS1_3genE8ELNS1_11target_archE1030ELNS1_3gpuE2ELNS1_3repE0EEENS1_30default_config_static_selectorELNS0_4arch9wavefront6targetE0EEEvT1_
    .private_segment_fixed_size: 0
    .sgpr_count:     0
    .sgpr_spill_count: 0
    .symbol:         _ZN7rocprim17ROCPRIM_400000_NS6detail17trampoline_kernelINS0_14default_configENS1_25partition_config_selectorILNS1_17partition_subalgoE5EiNS0_10empty_typeEbEEZZNS1_14partition_implILS5_5ELb0ES3_mN6thrust23THRUST_200600_302600_NS6detail15normal_iteratorINSA_10device_ptrIiEEEEPS6_NSA_18transform_iteratorINSB_9not_fun_tI7is_trueIiEEESF_NSA_11use_defaultESM_EENS0_5tupleIJSF_S6_EEENSO_IJSG_SG_EEES6_PlJS6_EEE10hipError_tPvRmT3_T4_T5_T6_T7_T9_mT8_P12ihipStream_tbDpT10_ENKUlT_T0_E_clISt17integral_constantIbLb1EES1A_IbLb0EEEEDaS16_S17_EUlS16_E_NS1_11comp_targetILNS1_3genE8ELNS1_11target_archE1030ELNS1_3gpuE2ELNS1_3repE0EEENS1_30default_config_static_selectorELNS0_4arch9wavefront6targetE0EEEvT1_.kd
    .uniform_work_group_size: 1
    .uses_dynamic_stack: false
    .vgpr_count:     0
    .vgpr_spill_count: 0
    .wavefront_size: 32
    .workgroup_processor_mode: 1
  - .args:
      - .offset:         0
        .size:           136
        .value_kind:     by_value
    .group_segment_fixed_size: 0
    .kernarg_segment_align: 8
    .kernarg_segment_size: 136
    .language:       OpenCL C
    .language_version:
      - 2
      - 0
    .max_flat_workgroup_size: 512
    .name:           _ZN7rocprim17ROCPRIM_400000_NS6detail17trampoline_kernelINS0_14default_configENS1_25partition_config_selectorILNS1_17partition_subalgoE5EiNS0_10empty_typeEbEEZZNS1_14partition_implILS5_5ELb0ES3_mN6thrust23THRUST_200600_302600_NS6detail15normal_iteratorINSA_10device_ptrIiEEEEPS6_NSA_18transform_iteratorINSB_9not_fun_tI7is_trueIiEEESF_NSA_11use_defaultESM_EENS0_5tupleIJSF_S6_EEENSO_IJSG_SG_EEES6_PlJS6_EEE10hipError_tPvRmT3_T4_T5_T6_T7_T9_mT8_P12ihipStream_tbDpT10_ENKUlT_T0_E_clISt17integral_constantIbLb0EES1A_IbLb1EEEEDaS16_S17_EUlS16_E_NS1_11comp_targetILNS1_3genE0ELNS1_11target_archE4294967295ELNS1_3gpuE0ELNS1_3repE0EEENS1_30default_config_static_selectorELNS0_4arch9wavefront6targetE0EEEvT1_
    .private_segment_fixed_size: 0
    .sgpr_count:     0
    .sgpr_spill_count: 0
    .symbol:         _ZN7rocprim17ROCPRIM_400000_NS6detail17trampoline_kernelINS0_14default_configENS1_25partition_config_selectorILNS1_17partition_subalgoE5EiNS0_10empty_typeEbEEZZNS1_14partition_implILS5_5ELb0ES3_mN6thrust23THRUST_200600_302600_NS6detail15normal_iteratorINSA_10device_ptrIiEEEEPS6_NSA_18transform_iteratorINSB_9not_fun_tI7is_trueIiEEESF_NSA_11use_defaultESM_EENS0_5tupleIJSF_S6_EEENSO_IJSG_SG_EEES6_PlJS6_EEE10hipError_tPvRmT3_T4_T5_T6_T7_T9_mT8_P12ihipStream_tbDpT10_ENKUlT_T0_E_clISt17integral_constantIbLb0EES1A_IbLb1EEEEDaS16_S17_EUlS16_E_NS1_11comp_targetILNS1_3genE0ELNS1_11target_archE4294967295ELNS1_3gpuE0ELNS1_3repE0EEENS1_30default_config_static_selectorELNS0_4arch9wavefront6targetE0EEEvT1_.kd
    .uniform_work_group_size: 1
    .uses_dynamic_stack: false
    .vgpr_count:     0
    .vgpr_spill_count: 0
    .wavefront_size: 32
    .workgroup_processor_mode: 1
  - .args:
      - .offset:         0
        .size:           136
        .value_kind:     by_value
    .group_segment_fixed_size: 0
    .kernarg_segment_align: 8
    .kernarg_segment_size: 136
    .language:       OpenCL C
    .language_version:
      - 2
      - 0
    .max_flat_workgroup_size: 512
    .name:           _ZN7rocprim17ROCPRIM_400000_NS6detail17trampoline_kernelINS0_14default_configENS1_25partition_config_selectorILNS1_17partition_subalgoE5EiNS0_10empty_typeEbEEZZNS1_14partition_implILS5_5ELb0ES3_mN6thrust23THRUST_200600_302600_NS6detail15normal_iteratorINSA_10device_ptrIiEEEEPS6_NSA_18transform_iteratorINSB_9not_fun_tI7is_trueIiEEESF_NSA_11use_defaultESM_EENS0_5tupleIJSF_S6_EEENSO_IJSG_SG_EEES6_PlJS6_EEE10hipError_tPvRmT3_T4_T5_T6_T7_T9_mT8_P12ihipStream_tbDpT10_ENKUlT_T0_E_clISt17integral_constantIbLb0EES1A_IbLb1EEEEDaS16_S17_EUlS16_E_NS1_11comp_targetILNS1_3genE5ELNS1_11target_archE942ELNS1_3gpuE9ELNS1_3repE0EEENS1_30default_config_static_selectorELNS0_4arch9wavefront6targetE0EEEvT1_
    .private_segment_fixed_size: 0
    .sgpr_count:     0
    .sgpr_spill_count: 0
    .symbol:         _ZN7rocprim17ROCPRIM_400000_NS6detail17trampoline_kernelINS0_14default_configENS1_25partition_config_selectorILNS1_17partition_subalgoE5EiNS0_10empty_typeEbEEZZNS1_14partition_implILS5_5ELb0ES3_mN6thrust23THRUST_200600_302600_NS6detail15normal_iteratorINSA_10device_ptrIiEEEEPS6_NSA_18transform_iteratorINSB_9not_fun_tI7is_trueIiEEESF_NSA_11use_defaultESM_EENS0_5tupleIJSF_S6_EEENSO_IJSG_SG_EEES6_PlJS6_EEE10hipError_tPvRmT3_T4_T5_T6_T7_T9_mT8_P12ihipStream_tbDpT10_ENKUlT_T0_E_clISt17integral_constantIbLb0EES1A_IbLb1EEEEDaS16_S17_EUlS16_E_NS1_11comp_targetILNS1_3genE5ELNS1_11target_archE942ELNS1_3gpuE9ELNS1_3repE0EEENS1_30default_config_static_selectorELNS0_4arch9wavefront6targetE0EEEvT1_.kd
    .uniform_work_group_size: 1
    .uses_dynamic_stack: false
    .vgpr_count:     0
    .vgpr_spill_count: 0
    .wavefront_size: 32
    .workgroup_processor_mode: 1
  - .args:
      - .offset:         0
        .size:           136
        .value_kind:     by_value
    .group_segment_fixed_size: 0
    .kernarg_segment_align: 8
    .kernarg_segment_size: 136
    .language:       OpenCL C
    .language_version:
      - 2
      - 0
    .max_flat_workgroup_size: 256
    .name:           _ZN7rocprim17ROCPRIM_400000_NS6detail17trampoline_kernelINS0_14default_configENS1_25partition_config_selectorILNS1_17partition_subalgoE5EiNS0_10empty_typeEbEEZZNS1_14partition_implILS5_5ELb0ES3_mN6thrust23THRUST_200600_302600_NS6detail15normal_iteratorINSA_10device_ptrIiEEEEPS6_NSA_18transform_iteratorINSB_9not_fun_tI7is_trueIiEEESF_NSA_11use_defaultESM_EENS0_5tupleIJSF_S6_EEENSO_IJSG_SG_EEES6_PlJS6_EEE10hipError_tPvRmT3_T4_T5_T6_T7_T9_mT8_P12ihipStream_tbDpT10_ENKUlT_T0_E_clISt17integral_constantIbLb0EES1A_IbLb1EEEEDaS16_S17_EUlS16_E_NS1_11comp_targetILNS1_3genE4ELNS1_11target_archE910ELNS1_3gpuE8ELNS1_3repE0EEENS1_30default_config_static_selectorELNS0_4arch9wavefront6targetE0EEEvT1_
    .private_segment_fixed_size: 0
    .sgpr_count:     0
    .sgpr_spill_count: 0
    .symbol:         _ZN7rocprim17ROCPRIM_400000_NS6detail17trampoline_kernelINS0_14default_configENS1_25partition_config_selectorILNS1_17partition_subalgoE5EiNS0_10empty_typeEbEEZZNS1_14partition_implILS5_5ELb0ES3_mN6thrust23THRUST_200600_302600_NS6detail15normal_iteratorINSA_10device_ptrIiEEEEPS6_NSA_18transform_iteratorINSB_9not_fun_tI7is_trueIiEEESF_NSA_11use_defaultESM_EENS0_5tupleIJSF_S6_EEENSO_IJSG_SG_EEES6_PlJS6_EEE10hipError_tPvRmT3_T4_T5_T6_T7_T9_mT8_P12ihipStream_tbDpT10_ENKUlT_T0_E_clISt17integral_constantIbLb0EES1A_IbLb1EEEEDaS16_S17_EUlS16_E_NS1_11comp_targetILNS1_3genE4ELNS1_11target_archE910ELNS1_3gpuE8ELNS1_3repE0EEENS1_30default_config_static_selectorELNS0_4arch9wavefront6targetE0EEEvT1_.kd
    .uniform_work_group_size: 1
    .uses_dynamic_stack: false
    .vgpr_count:     0
    .vgpr_spill_count: 0
    .wavefront_size: 32
    .workgroup_processor_mode: 1
  - .args:
      - .offset:         0
        .size:           136
        .value_kind:     by_value
    .group_segment_fixed_size: 0
    .kernarg_segment_align: 8
    .kernarg_segment_size: 136
    .language:       OpenCL C
    .language_version:
      - 2
      - 0
    .max_flat_workgroup_size: 512
    .name:           _ZN7rocprim17ROCPRIM_400000_NS6detail17trampoline_kernelINS0_14default_configENS1_25partition_config_selectorILNS1_17partition_subalgoE5EiNS0_10empty_typeEbEEZZNS1_14partition_implILS5_5ELb0ES3_mN6thrust23THRUST_200600_302600_NS6detail15normal_iteratorINSA_10device_ptrIiEEEEPS6_NSA_18transform_iteratorINSB_9not_fun_tI7is_trueIiEEESF_NSA_11use_defaultESM_EENS0_5tupleIJSF_S6_EEENSO_IJSG_SG_EEES6_PlJS6_EEE10hipError_tPvRmT3_T4_T5_T6_T7_T9_mT8_P12ihipStream_tbDpT10_ENKUlT_T0_E_clISt17integral_constantIbLb0EES1A_IbLb1EEEEDaS16_S17_EUlS16_E_NS1_11comp_targetILNS1_3genE3ELNS1_11target_archE908ELNS1_3gpuE7ELNS1_3repE0EEENS1_30default_config_static_selectorELNS0_4arch9wavefront6targetE0EEEvT1_
    .private_segment_fixed_size: 0
    .sgpr_count:     0
    .sgpr_spill_count: 0
    .symbol:         _ZN7rocprim17ROCPRIM_400000_NS6detail17trampoline_kernelINS0_14default_configENS1_25partition_config_selectorILNS1_17partition_subalgoE5EiNS0_10empty_typeEbEEZZNS1_14partition_implILS5_5ELb0ES3_mN6thrust23THRUST_200600_302600_NS6detail15normal_iteratorINSA_10device_ptrIiEEEEPS6_NSA_18transform_iteratorINSB_9not_fun_tI7is_trueIiEEESF_NSA_11use_defaultESM_EENS0_5tupleIJSF_S6_EEENSO_IJSG_SG_EEES6_PlJS6_EEE10hipError_tPvRmT3_T4_T5_T6_T7_T9_mT8_P12ihipStream_tbDpT10_ENKUlT_T0_E_clISt17integral_constantIbLb0EES1A_IbLb1EEEEDaS16_S17_EUlS16_E_NS1_11comp_targetILNS1_3genE3ELNS1_11target_archE908ELNS1_3gpuE7ELNS1_3repE0EEENS1_30default_config_static_selectorELNS0_4arch9wavefront6targetE0EEEvT1_.kd
    .uniform_work_group_size: 1
    .uses_dynamic_stack: false
    .vgpr_count:     0
    .vgpr_spill_count: 0
    .wavefront_size: 32
    .workgroup_processor_mode: 1
  - .args:
      - .offset:         0
        .size:           136
        .value_kind:     by_value
    .group_segment_fixed_size: 0
    .kernarg_segment_align: 8
    .kernarg_segment_size: 136
    .language:       OpenCL C
    .language_version:
      - 2
      - 0
    .max_flat_workgroup_size: 256
    .name:           _ZN7rocprim17ROCPRIM_400000_NS6detail17trampoline_kernelINS0_14default_configENS1_25partition_config_selectorILNS1_17partition_subalgoE5EiNS0_10empty_typeEbEEZZNS1_14partition_implILS5_5ELb0ES3_mN6thrust23THRUST_200600_302600_NS6detail15normal_iteratorINSA_10device_ptrIiEEEEPS6_NSA_18transform_iteratorINSB_9not_fun_tI7is_trueIiEEESF_NSA_11use_defaultESM_EENS0_5tupleIJSF_S6_EEENSO_IJSG_SG_EEES6_PlJS6_EEE10hipError_tPvRmT3_T4_T5_T6_T7_T9_mT8_P12ihipStream_tbDpT10_ENKUlT_T0_E_clISt17integral_constantIbLb0EES1A_IbLb1EEEEDaS16_S17_EUlS16_E_NS1_11comp_targetILNS1_3genE2ELNS1_11target_archE906ELNS1_3gpuE6ELNS1_3repE0EEENS1_30default_config_static_selectorELNS0_4arch9wavefront6targetE0EEEvT1_
    .private_segment_fixed_size: 0
    .sgpr_count:     0
    .sgpr_spill_count: 0
    .symbol:         _ZN7rocprim17ROCPRIM_400000_NS6detail17trampoline_kernelINS0_14default_configENS1_25partition_config_selectorILNS1_17partition_subalgoE5EiNS0_10empty_typeEbEEZZNS1_14partition_implILS5_5ELb0ES3_mN6thrust23THRUST_200600_302600_NS6detail15normal_iteratorINSA_10device_ptrIiEEEEPS6_NSA_18transform_iteratorINSB_9not_fun_tI7is_trueIiEEESF_NSA_11use_defaultESM_EENS0_5tupleIJSF_S6_EEENSO_IJSG_SG_EEES6_PlJS6_EEE10hipError_tPvRmT3_T4_T5_T6_T7_T9_mT8_P12ihipStream_tbDpT10_ENKUlT_T0_E_clISt17integral_constantIbLb0EES1A_IbLb1EEEEDaS16_S17_EUlS16_E_NS1_11comp_targetILNS1_3genE2ELNS1_11target_archE906ELNS1_3gpuE6ELNS1_3repE0EEENS1_30default_config_static_selectorELNS0_4arch9wavefront6targetE0EEEvT1_.kd
    .uniform_work_group_size: 1
    .uses_dynamic_stack: false
    .vgpr_count:     0
    .vgpr_spill_count: 0
    .wavefront_size: 32
    .workgroup_processor_mode: 1
  - .args:
      - .offset:         0
        .size:           136
        .value_kind:     by_value
    .group_segment_fixed_size: 6352
    .kernarg_segment_align: 8
    .kernarg_segment_size: 136
    .language:       OpenCL C
    .language_version:
      - 2
      - 0
    .max_flat_workgroup_size: 192
    .name:           _ZN7rocprim17ROCPRIM_400000_NS6detail17trampoline_kernelINS0_14default_configENS1_25partition_config_selectorILNS1_17partition_subalgoE5EiNS0_10empty_typeEbEEZZNS1_14partition_implILS5_5ELb0ES3_mN6thrust23THRUST_200600_302600_NS6detail15normal_iteratorINSA_10device_ptrIiEEEEPS6_NSA_18transform_iteratorINSB_9not_fun_tI7is_trueIiEEESF_NSA_11use_defaultESM_EENS0_5tupleIJSF_S6_EEENSO_IJSG_SG_EEES6_PlJS6_EEE10hipError_tPvRmT3_T4_T5_T6_T7_T9_mT8_P12ihipStream_tbDpT10_ENKUlT_T0_E_clISt17integral_constantIbLb0EES1A_IbLb1EEEEDaS16_S17_EUlS16_E_NS1_11comp_targetILNS1_3genE10ELNS1_11target_archE1200ELNS1_3gpuE4ELNS1_3repE0EEENS1_30default_config_static_selectorELNS0_4arch9wavefront6targetE0EEEvT1_
    .private_segment_fixed_size: 0
    .sgpr_count:     26
    .sgpr_spill_count: 0
    .symbol:         _ZN7rocprim17ROCPRIM_400000_NS6detail17trampoline_kernelINS0_14default_configENS1_25partition_config_selectorILNS1_17partition_subalgoE5EiNS0_10empty_typeEbEEZZNS1_14partition_implILS5_5ELb0ES3_mN6thrust23THRUST_200600_302600_NS6detail15normal_iteratorINSA_10device_ptrIiEEEEPS6_NSA_18transform_iteratorINSB_9not_fun_tI7is_trueIiEEESF_NSA_11use_defaultESM_EENS0_5tupleIJSF_S6_EEENSO_IJSG_SG_EEES6_PlJS6_EEE10hipError_tPvRmT3_T4_T5_T6_T7_T9_mT8_P12ihipStream_tbDpT10_ENKUlT_T0_E_clISt17integral_constantIbLb0EES1A_IbLb1EEEEDaS16_S17_EUlS16_E_NS1_11comp_targetILNS1_3genE10ELNS1_11target_archE1200ELNS1_3gpuE4ELNS1_3repE0EEENS1_30default_config_static_selectorELNS0_4arch9wavefront6targetE0EEEvT1_.kd
    .uniform_work_group_size: 1
    .uses_dynamic_stack: false
    .vgpr_count:     54
    .vgpr_spill_count: 0
    .wavefront_size: 32
    .workgroup_processor_mode: 1
  - .args:
      - .offset:         0
        .size:           136
        .value_kind:     by_value
    .group_segment_fixed_size: 0
    .kernarg_segment_align: 8
    .kernarg_segment_size: 136
    .language:       OpenCL C
    .language_version:
      - 2
      - 0
    .max_flat_workgroup_size: 128
    .name:           _ZN7rocprim17ROCPRIM_400000_NS6detail17trampoline_kernelINS0_14default_configENS1_25partition_config_selectorILNS1_17partition_subalgoE5EiNS0_10empty_typeEbEEZZNS1_14partition_implILS5_5ELb0ES3_mN6thrust23THRUST_200600_302600_NS6detail15normal_iteratorINSA_10device_ptrIiEEEEPS6_NSA_18transform_iteratorINSB_9not_fun_tI7is_trueIiEEESF_NSA_11use_defaultESM_EENS0_5tupleIJSF_S6_EEENSO_IJSG_SG_EEES6_PlJS6_EEE10hipError_tPvRmT3_T4_T5_T6_T7_T9_mT8_P12ihipStream_tbDpT10_ENKUlT_T0_E_clISt17integral_constantIbLb0EES1A_IbLb1EEEEDaS16_S17_EUlS16_E_NS1_11comp_targetILNS1_3genE9ELNS1_11target_archE1100ELNS1_3gpuE3ELNS1_3repE0EEENS1_30default_config_static_selectorELNS0_4arch9wavefront6targetE0EEEvT1_
    .private_segment_fixed_size: 0
    .sgpr_count:     0
    .sgpr_spill_count: 0
    .symbol:         _ZN7rocprim17ROCPRIM_400000_NS6detail17trampoline_kernelINS0_14default_configENS1_25partition_config_selectorILNS1_17partition_subalgoE5EiNS0_10empty_typeEbEEZZNS1_14partition_implILS5_5ELb0ES3_mN6thrust23THRUST_200600_302600_NS6detail15normal_iteratorINSA_10device_ptrIiEEEEPS6_NSA_18transform_iteratorINSB_9not_fun_tI7is_trueIiEEESF_NSA_11use_defaultESM_EENS0_5tupleIJSF_S6_EEENSO_IJSG_SG_EEES6_PlJS6_EEE10hipError_tPvRmT3_T4_T5_T6_T7_T9_mT8_P12ihipStream_tbDpT10_ENKUlT_T0_E_clISt17integral_constantIbLb0EES1A_IbLb1EEEEDaS16_S17_EUlS16_E_NS1_11comp_targetILNS1_3genE9ELNS1_11target_archE1100ELNS1_3gpuE3ELNS1_3repE0EEENS1_30default_config_static_selectorELNS0_4arch9wavefront6targetE0EEEvT1_.kd
    .uniform_work_group_size: 1
    .uses_dynamic_stack: false
    .vgpr_count:     0
    .vgpr_spill_count: 0
    .wavefront_size: 32
    .workgroup_processor_mode: 1
  - .args:
      - .offset:         0
        .size:           136
        .value_kind:     by_value
    .group_segment_fixed_size: 0
    .kernarg_segment_align: 8
    .kernarg_segment_size: 136
    .language:       OpenCL C
    .language_version:
      - 2
      - 0
    .max_flat_workgroup_size: 512
    .name:           _ZN7rocprim17ROCPRIM_400000_NS6detail17trampoline_kernelINS0_14default_configENS1_25partition_config_selectorILNS1_17partition_subalgoE5EiNS0_10empty_typeEbEEZZNS1_14partition_implILS5_5ELb0ES3_mN6thrust23THRUST_200600_302600_NS6detail15normal_iteratorINSA_10device_ptrIiEEEEPS6_NSA_18transform_iteratorINSB_9not_fun_tI7is_trueIiEEESF_NSA_11use_defaultESM_EENS0_5tupleIJSF_S6_EEENSO_IJSG_SG_EEES6_PlJS6_EEE10hipError_tPvRmT3_T4_T5_T6_T7_T9_mT8_P12ihipStream_tbDpT10_ENKUlT_T0_E_clISt17integral_constantIbLb0EES1A_IbLb1EEEEDaS16_S17_EUlS16_E_NS1_11comp_targetILNS1_3genE8ELNS1_11target_archE1030ELNS1_3gpuE2ELNS1_3repE0EEENS1_30default_config_static_selectorELNS0_4arch9wavefront6targetE0EEEvT1_
    .private_segment_fixed_size: 0
    .sgpr_count:     0
    .sgpr_spill_count: 0
    .symbol:         _ZN7rocprim17ROCPRIM_400000_NS6detail17trampoline_kernelINS0_14default_configENS1_25partition_config_selectorILNS1_17partition_subalgoE5EiNS0_10empty_typeEbEEZZNS1_14partition_implILS5_5ELb0ES3_mN6thrust23THRUST_200600_302600_NS6detail15normal_iteratorINSA_10device_ptrIiEEEEPS6_NSA_18transform_iteratorINSB_9not_fun_tI7is_trueIiEEESF_NSA_11use_defaultESM_EENS0_5tupleIJSF_S6_EEENSO_IJSG_SG_EEES6_PlJS6_EEE10hipError_tPvRmT3_T4_T5_T6_T7_T9_mT8_P12ihipStream_tbDpT10_ENKUlT_T0_E_clISt17integral_constantIbLb0EES1A_IbLb1EEEEDaS16_S17_EUlS16_E_NS1_11comp_targetILNS1_3genE8ELNS1_11target_archE1030ELNS1_3gpuE2ELNS1_3repE0EEENS1_30default_config_static_selectorELNS0_4arch9wavefront6targetE0EEEvT1_.kd
    .uniform_work_group_size: 1
    .uses_dynamic_stack: false
    .vgpr_count:     0
    .vgpr_spill_count: 0
    .wavefront_size: 32
    .workgroup_processor_mode: 1
  - .args:
      - .offset:         0
        .size:           24
        .value_kind:     by_value
      - .offset:         24
        .size:           8
        .value_kind:     by_value
      - .offset:         32
        .size:           8
        .value_kind:     by_value
    .group_segment_fixed_size: 0
    .kernarg_segment_align: 8
    .kernarg_segment_size: 40
    .language:       OpenCL C
    .language_version:
      - 2
      - 0
    .max_flat_workgroup_size: 256
    .name:           _ZN6thrust23THRUST_200600_302600_NS11hip_rocprim14__parallel_for6kernelILj256ENS1_11__transform17unary_transform_fINS0_7pointerIbNS1_3tagENS0_11use_defaultES8_EENS0_10device_ptrIsEENS4_14no_stencil_tagENS0_8identityIbEENS4_21always_true_predicateEEElLj1EEEvT0_T1_SI_
    .private_segment_fixed_size: 0
    .sgpr_count:     14
    .sgpr_spill_count: 0
    .symbol:         _ZN6thrust23THRUST_200600_302600_NS11hip_rocprim14__parallel_for6kernelILj256ENS1_11__transform17unary_transform_fINS0_7pointerIbNS1_3tagENS0_11use_defaultES8_EENS0_10device_ptrIsEENS4_14no_stencil_tagENS0_8identityIbEENS4_21always_true_predicateEEElLj1EEEvT0_T1_SI_.kd
    .uniform_work_group_size: 1
    .uses_dynamic_stack: false
    .vgpr_count:     5
    .vgpr_spill_count: 0
    .wavefront_size: 32
    .workgroup_processor_mode: 1
  - .args:
      - .offset:         0
        .size:           120
        .value_kind:     by_value
    .group_segment_fixed_size: 0
    .kernarg_segment_align: 8
    .kernarg_segment_size: 120
    .language:       OpenCL C
    .language_version:
      - 2
      - 0
    .max_flat_workgroup_size: 256
    .name:           _ZN7rocprim17ROCPRIM_400000_NS6detail17trampoline_kernelINS0_14default_configENS1_25partition_config_selectorILNS1_17partition_subalgoE5EsNS0_10empty_typeEbEEZZNS1_14partition_implILS5_5ELb0ES3_mN6thrust23THRUST_200600_302600_NS6detail15normal_iteratorINSA_10device_ptrIsEEEEPS6_NSA_18transform_iteratorINSB_9not_fun_tI7is_trueIsEEESF_NSA_11use_defaultESM_EENS0_5tupleIJSF_S6_EEENSO_IJSG_SG_EEES6_PlJS6_EEE10hipError_tPvRmT3_T4_T5_T6_T7_T9_mT8_P12ihipStream_tbDpT10_ENKUlT_T0_E_clISt17integral_constantIbLb0EES1B_EEDaS16_S17_EUlS16_E_NS1_11comp_targetILNS1_3genE0ELNS1_11target_archE4294967295ELNS1_3gpuE0ELNS1_3repE0EEENS1_30default_config_static_selectorELNS0_4arch9wavefront6targetE0EEEvT1_
    .private_segment_fixed_size: 0
    .sgpr_count:     0
    .sgpr_spill_count: 0
    .symbol:         _ZN7rocprim17ROCPRIM_400000_NS6detail17trampoline_kernelINS0_14default_configENS1_25partition_config_selectorILNS1_17partition_subalgoE5EsNS0_10empty_typeEbEEZZNS1_14partition_implILS5_5ELb0ES3_mN6thrust23THRUST_200600_302600_NS6detail15normal_iteratorINSA_10device_ptrIsEEEEPS6_NSA_18transform_iteratorINSB_9not_fun_tI7is_trueIsEEESF_NSA_11use_defaultESM_EENS0_5tupleIJSF_S6_EEENSO_IJSG_SG_EEES6_PlJS6_EEE10hipError_tPvRmT3_T4_T5_T6_T7_T9_mT8_P12ihipStream_tbDpT10_ENKUlT_T0_E_clISt17integral_constantIbLb0EES1B_EEDaS16_S17_EUlS16_E_NS1_11comp_targetILNS1_3genE0ELNS1_11target_archE4294967295ELNS1_3gpuE0ELNS1_3repE0EEENS1_30default_config_static_selectorELNS0_4arch9wavefront6targetE0EEEvT1_.kd
    .uniform_work_group_size: 1
    .uses_dynamic_stack: false
    .vgpr_count:     0
    .vgpr_spill_count: 0
    .wavefront_size: 32
    .workgroup_processor_mode: 1
  - .args:
      - .offset:         0
        .size:           120
        .value_kind:     by_value
    .group_segment_fixed_size: 0
    .kernarg_segment_align: 8
    .kernarg_segment_size: 120
    .language:       OpenCL C
    .language_version:
      - 2
      - 0
    .max_flat_workgroup_size: 512
    .name:           _ZN7rocprim17ROCPRIM_400000_NS6detail17trampoline_kernelINS0_14default_configENS1_25partition_config_selectorILNS1_17partition_subalgoE5EsNS0_10empty_typeEbEEZZNS1_14partition_implILS5_5ELb0ES3_mN6thrust23THRUST_200600_302600_NS6detail15normal_iteratorINSA_10device_ptrIsEEEEPS6_NSA_18transform_iteratorINSB_9not_fun_tI7is_trueIsEEESF_NSA_11use_defaultESM_EENS0_5tupleIJSF_S6_EEENSO_IJSG_SG_EEES6_PlJS6_EEE10hipError_tPvRmT3_T4_T5_T6_T7_T9_mT8_P12ihipStream_tbDpT10_ENKUlT_T0_E_clISt17integral_constantIbLb0EES1B_EEDaS16_S17_EUlS16_E_NS1_11comp_targetILNS1_3genE5ELNS1_11target_archE942ELNS1_3gpuE9ELNS1_3repE0EEENS1_30default_config_static_selectorELNS0_4arch9wavefront6targetE0EEEvT1_
    .private_segment_fixed_size: 0
    .sgpr_count:     0
    .sgpr_spill_count: 0
    .symbol:         _ZN7rocprim17ROCPRIM_400000_NS6detail17trampoline_kernelINS0_14default_configENS1_25partition_config_selectorILNS1_17partition_subalgoE5EsNS0_10empty_typeEbEEZZNS1_14partition_implILS5_5ELb0ES3_mN6thrust23THRUST_200600_302600_NS6detail15normal_iteratorINSA_10device_ptrIsEEEEPS6_NSA_18transform_iteratorINSB_9not_fun_tI7is_trueIsEEESF_NSA_11use_defaultESM_EENS0_5tupleIJSF_S6_EEENSO_IJSG_SG_EEES6_PlJS6_EEE10hipError_tPvRmT3_T4_T5_T6_T7_T9_mT8_P12ihipStream_tbDpT10_ENKUlT_T0_E_clISt17integral_constantIbLb0EES1B_EEDaS16_S17_EUlS16_E_NS1_11comp_targetILNS1_3genE5ELNS1_11target_archE942ELNS1_3gpuE9ELNS1_3repE0EEENS1_30default_config_static_selectorELNS0_4arch9wavefront6targetE0EEEvT1_.kd
    .uniform_work_group_size: 1
    .uses_dynamic_stack: false
    .vgpr_count:     0
    .vgpr_spill_count: 0
    .wavefront_size: 32
    .workgroup_processor_mode: 1
  - .args:
      - .offset:         0
        .size:           120
        .value_kind:     by_value
    .group_segment_fixed_size: 0
    .kernarg_segment_align: 8
    .kernarg_segment_size: 120
    .language:       OpenCL C
    .language_version:
      - 2
      - 0
    .max_flat_workgroup_size: 256
    .name:           _ZN7rocprim17ROCPRIM_400000_NS6detail17trampoline_kernelINS0_14default_configENS1_25partition_config_selectorILNS1_17partition_subalgoE5EsNS0_10empty_typeEbEEZZNS1_14partition_implILS5_5ELb0ES3_mN6thrust23THRUST_200600_302600_NS6detail15normal_iteratorINSA_10device_ptrIsEEEEPS6_NSA_18transform_iteratorINSB_9not_fun_tI7is_trueIsEEESF_NSA_11use_defaultESM_EENS0_5tupleIJSF_S6_EEENSO_IJSG_SG_EEES6_PlJS6_EEE10hipError_tPvRmT3_T4_T5_T6_T7_T9_mT8_P12ihipStream_tbDpT10_ENKUlT_T0_E_clISt17integral_constantIbLb0EES1B_EEDaS16_S17_EUlS16_E_NS1_11comp_targetILNS1_3genE4ELNS1_11target_archE910ELNS1_3gpuE8ELNS1_3repE0EEENS1_30default_config_static_selectorELNS0_4arch9wavefront6targetE0EEEvT1_
    .private_segment_fixed_size: 0
    .sgpr_count:     0
    .sgpr_spill_count: 0
    .symbol:         _ZN7rocprim17ROCPRIM_400000_NS6detail17trampoline_kernelINS0_14default_configENS1_25partition_config_selectorILNS1_17partition_subalgoE5EsNS0_10empty_typeEbEEZZNS1_14partition_implILS5_5ELb0ES3_mN6thrust23THRUST_200600_302600_NS6detail15normal_iteratorINSA_10device_ptrIsEEEEPS6_NSA_18transform_iteratorINSB_9not_fun_tI7is_trueIsEEESF_NSA_11use_defaultESM_EENS0_5tupleIJSF_S6_EEENSO_IJSG_SG_EEES6_PlJS6_EEE10hipError_tPvRmT3_T4_T5_T6_T7_T9_mT8_P12ihipStream_tbDpT10_ENKUlT_T0_E_clISt17integral_constantIbLb0EES1B_EEDaS16_S17_EUlS16_E_NS1_11comp_targetILNS1_3genE4ELNS1_11target_archE910ELNS1_3gpuE8ELNS1_3repE0EEENS1_30default_config_static_selectorELNS0_4arch9wavefront6targetE0EEEvT1_.kd
    .uniform_work_group_size: 1
    .uses_dynamic_stack: false
    .vgpr_count:     0
    .vgpr_spill_count: 0
    .wavefront_size: 32
    .workgroup_processor_mode: 1
  - .args:
      - .offset:         0
        .size:           120
        .value_kind:     by_value
    .group_segment_fixed_size: 0
    .kernarg_segment_align: 8
    .kernarg_segment_size: 120
    .language:       OpenCL C
    .language_version:
      - 2
      - 0
    .max_flat_workgroup_size: 256
    .name:           _ZN7rocprim17ROCPRIM_400000_NS6detail17trampoline_kernelINS0_14default_configENS1_25partition_config_selectorILNS1_17partition_subalgoE5EsNS0_10empty_typeEbEEZZNS1_14partition_implILS5_5ELb0ES3_mN6thrust23THRUST_200600_302600_NS6detail15normal_iteratorINSA_10device_ptrIsEEEEPS6_NSA_18transform_iteratorINSB_9not_fun_tI7is_trueIsEEESF_NSA_11use_defaultESM_EENS0_5tupleIJSF_S6_EEENSO_IJSG_SG_EEES6_PlJS6_EEE10hipError_tPvRmT3_T4_T5_T6_T7_T9_mT8_P12ihipStream_tbDpT10_ENKUlT_T0_E_clISt17integral_constantIbLb0EES1B_EEDaS16_S17_EUlS16_E_NS1_11comp_targetILNS1_3genE3ELNS1_11target_archE908ELNS1_3gpuE7ELNS1_3repE0EEENS1_30default_config_static_selectorELNS0_4arch9wavefront6targetE0EEEvT1_
    .private_segment_fixed_size: 0
    .sgpr_count:     0
    .sgpr_spill_count: 0
    .symbol:         _ZN7rocprim17ROCPRIM_400000_NS6detail17trampoline_kernelINS0_14default_configENS1_25partition_config_selectorILNS1_17partition_subalgoE5EsNS0_10empty_typeEbEEZZNS1_14partition_implILS5_5ELb0ES3_mN6thrust23THRUST_200600_302600_NS6detail15normal_iteratorINSA_10device_ptrIsEEEEPS6_NSA_18transform_iteratorINSB_9not_fun_tI7is_trueIsEEESF_NSA_11use_defaultESM_EENS0_5tupleIJSF_S6_EEENSO_IJSG_SG_EEES6_PlJS6_EEE10hipError_tPvRmT3_T4_T5_T6_T7_T9_mT8_P12ihipStream_tbDpT10_ENKUlT_T0_E_clISt17integral_constantIbLb0EES1B_EEDaS16_S17_EUlS16_E_NS1_11comp_targetILNS1_3genE3ELNS1_11target_archE908ELNS1_3gpuE7ELNS1_3repE0EEENS1_30default_config_static_selectorELNS0_4arch9wavefront6targetE0EEEvT1_.kd
    .uniform_work_group_size: 1
    .uses_dynamic_stack: false
    .vgpr_count:     0
    .vgpr_spill_count: 0
    .wavefront_size: 32
    .workgroup_processor_mode: 1
  - .args:
      - .offset:         0
        .size:           120
        .value_kind:     by_value
    .group_segment_fixed_size: 0
    .kernarg_segment_align: 8
    .kernarg_segment_size: 120
    .language:       OpenCL C
    .language_version:
      - 2
      - 0
    .max_flat_workgroup_size: 256
    .name:           _ZN7rocprim17ROCPRIM_400000_NS6detail17trampoline_kernelINS0_14default_configENS1_25partition_config_selectorILNS1_17partition_subalgoE5EsNS0_10empty_typeEbEEZZNS1_14partition_implILS5_5ELb0ES3_mN6thrust23THRUST_200600_302600_NS6detail15normal_iteratorINSA_10device_ptrIsEEEEPS6_NSA_18transform_iteratorINSB_9not_fun_tI7is_trueIsEEESF_NSA_11use_defaultESM_EENS0_5tupleIJSF_S6_EEENSO_IJSG_SG_EEES6_PlJS6_EEE10hipError_tPvRmT3_T4_T5_T6_T7_T9_mT8_P12ihipStream_tbDpT10_ENKUlT_T0_E_clISt17integral_constantIbLb0EES1B_EEDaS16_S17_EUlS16_E_NS1_11comp_targetILNS1_3genE2ELNS1_11target_archE906ELNS1_3gpuE6ELNS1_3repE0EEENS1_30default_config_static_selectorELNS0_4arch9wavefront6targetE0EEEvT1_
    .private_segment_fixed_size: 0
    .sgpr_count:     0
    .sgpr_spill_count: 0
    .symbol:         _ZN7rocprim17ROCPRIM_400000_NS6detail17trampoline_kernelINS0_14default_configENS1_25partition_config_selectorILNS1_17partition_subalgoE5EsNS0_10empty_typeEbEEZZNS1_14partition_implILS5_5ELb0ES3_mN6thrust23THRUST_200600_302600_NS6detail15normal_iteratorINSA_10device_ptrIsEEEEPS6_NSA_18transform_iteratorINSB_9not_fun_tI7is_trueIsEEESF_NSA_11use_defaultESM_EENS0_5tupleIJSF_S6_EEENSO_IJSG_SG_EEES6_PlJS6_EEE10hipError_tPvRmT3_T4_T5_T6_T7_T9_mT8_P12ihipStream_tbDpT10_ENKUlT_T0_E_clISt17integral_constantIbLb0EES1B_EEDaS16_S17_EUlS16_E_NS1_11comp_targetILNS1_3genE2ELNS1_11target_archE906ELNS1_3gpuE6ELNS1_3repE0EEENS1_30default_config_static_selectorELNS0_4arch9wavefront6targetE0EEEvT1_.kd
    .uniform_work_group_size: 1
    .uses_dynamic_stack: false
    .vgpr_count:     0
    .vgpr_spill_count: 0
    .wavefront_size: 32
    .workgroup_processor_mode: 1
  - .args:
      - .offset:         0
        .size:           120
        .value_kind:     by_value
    .group_segment_fixed_size: 6160
    .kernarg_segment_align: 8
    .kernarg_segment_size: 120
    .language:       OpenCL C
    .language_version:
      - 2
      - 0
    .max_flat_workgroup_size: 256
    .name:           _ZN7rocprim17ROCPRIM_400000_NS6detail17trampoline_kernelINS0_14default_configENS1_25partition_config_selectorILNS1_17partition_subalgoE5EsNS0_10empty_typeEbEEZZNS1_14partition_implILS5_5ELb0ES3_mN6thrust23THRUST_200600_302600_NS6detail15normal_iteratorINSA_10device_ptrIsEEEEPS6_NSA_18transform_iteratorINSB_9not_fun_tI7is_trueIsEEESF_NSA_11use_defaultESM_EENS0_5tupleIJSF_S6_EEENSO_IJSG_SG_EEES6_PlJS6_EEE10hipError_tPvRmT3_T4_T5_T6_T7_T9_mT8_P12ihipStream_tbDpT10_ENKUlT_T0_E_clISt17integral_constantIbLb0EES1B_EEDaS16_S17_EUlS16_E_NS1_11comp_targetILNS1_3genE10ELNS1_11target_archE1200ELNS1_3gpuE4ELNS1_3repE0EEENS1_30default_config_static_selectorELNS0_4arch9wavefront6targetE0EEEvT1_
    .private_segment_fixed_size: 0
    .sgpr_count:     24
    .sgpr_spill_count: 0
    .symbol:         _ZN7rocprim17ROCPRIM_400000_NS6detail17trampoline_kernelINS0_14default_configENS1_25partition_config_selectorILNS1_17partition_subalgoE5EsNS0_10empty_typeEbEEZZNS1_14partition_implILS5_5ELb0ES3_mN6thrust23THRUST_200600_302600_NS6detail15normal_iteratorINSA_10device_ptrIsEEEEPS6_NSA_18transform_iteratorINSB_9not_fun_tI7is_trueIsEEESF_NSA_11use_defaultESM_EENS0_5tupleIJSF_S6_EEENSO_IJSG_SG_EEES6_PlJS6_EEE10hipError_tPvRmT3_T4_T5_T6_T7_T9_mT8_P12ihipStream_tbDpT10_ENKUlT_T0_E_clISt17integral_constantIbLb0EES1B_EEDaS16_S17_EUlS16_E_NS1_11comp_targetILNS1_3genE10ELNS1_11target_archE1200ELNS1_3gpuE4ELNS1_3repE0EEENS1_30default_config_static_selectorELNS0_4arch9wavefront6targetE0EEEvT1_.kd
    .uniform_work_group_size: 1
    .uses_dynamic_stack: false
    .vgpr_count:     63
    .vgpr_spill_count: 0
    .wavefront_size: 32
    .workgroup_processor_mode: 1
  - .args:
      - .offset:         0
        .size:           120
        .value_kind:     by_value
    .group_segment_fixed_size: 0
    .kernarg_segment_align: 8
    .kernarg_segment_size: 120
    .language:       OpenCL C
    .language_version:
      - 2
      - 0
    .max_flat_workgroup_size: 128
    .name:           _ZN7rocprim17ROCPRIM_400000_NS6detail17trampoline_kernelINS0_14default_configENS1_25partition_config_selectorILNS1_17partition_subalgoE5EsNS0_10empty_typeEbEEZZNS1_14partition_implILS5_5ELb0ES3_mN6thrust23THRUST_200600_302600_NS6detail15normal_iteratorINSA_10device_ptrIsEEEEPS6_NSA_18transform_iteratorINSB_9not_fun_tI7is_trueIsEEESF_NSA_11use_defaultESM_EENS0_5tupleIJSF_S6_EEENSO_IJSG_SG_EEES6_PlJS6_EEE10hipError_tPvRmT3_T4_T5_T6_T7_T9_mT8_P12ihipStream_tbDpT10_ENKUlT_T0_E_clISt17integral_constantIbLb0EES1B_EEDaS16_S17_EUlS16_E_NS1_11comp_targetILNS1_3genE9ELNS1_11target_archE1100ELNS1_3gpuE3ELNS1_3repE0EEENS1_30default_config_static_selectorELNS0_4arch9wavefront6targetE0EEEvT1_
    .private_segment_fixed_size: 0
    .sgpr_count:     0
    .sgpr_spill_count: 0
    .symbol:         _ZN7rocprim17ROCPRIM_400000_NS6detail17trampoline_kernelINS0_14default_configENS1_25partition_config_selectorILNS1_17partition_subalgoE5EsNS0_10empty_typeEbEEZZNS1_14partition_implILS5_5ELb0ES3_mN6thrust23THRUST_200600_302600_NS6detail15normal_iteratorINSA_10device_ptrIsEEEEPS6_NSA_18transform_iteratorINSB_9not_fun_tI7is_trueIsEEESF_NSA_11use_defaultESM_EENS0_5tupleIJSF_S6_EEENSO_IJSG_SG_EEES6_PlJS6_EEE10hipError_tPvRmT3_T4_T5_T6_T7_T9_mT8_P12ihipStream_tbDpT10_ENKUlT_T0_E_clISt17integral_constantIbLb0EES1B_EEDaS16_S17_EUlS16_E_NS1_11comp_targetILNS1_3genE9ELNS1_11target_archE1100ELNS1_3gpuE3ELNS1_3repE0EEENS1_30default_config_static_selectorELNS0_4arch9wavefront6targetE0EEEvT1_.kd
    .uniform_work_group_size: 1
    .uses_dynamic_stack: false
    .vgpr_count:     0
    .vgpr_spill_count: 0
    .wavefront_size: 32
    .workgroup_processor_mode: 1
  - .args:
      - .offset:         0
        .size:           120
        .value_kind:     by_value
    .group_segment_fixed_size: 0
    .kernarg_segment_align: 8
    .kernarg_segment_size: 120
    .language:       OpenCL C
    .language_version:
      - 2
      - 0
    .max_flat_workgroup_size: 256
    .name:           _ZN7rocprim17ROCPRIM_400000_NS6detail17trampoline_kernelINS0_14default_configENS1_25partition_config_selectorILNS1_17partition_subalgoE5EsNS0_10empty_typeEbEEZZNS1_14partition_implILS5_5ELb0ES3_mN6thrust23THRUST_200600_302600_NS6detail15normal_iteratorINSA_10device_ptrIsEEEEPS6_NSA_18transform_iteratorINSB_9not_fun_tI7is_trueIsEEESF_NSA_11use_defaultESM_EENS0_5tupleIJSF_S6_EEENSO_IJSG_SG_EEES6_PlJS6_EEE10hipError_tPvRmT3_T4_T5_T6_T7_T9_mT8_P12ihipStream_tbDpT10_ENKUlT_T0_E_clISt17integral_constantIbLb0EES1B_EEDaS16_S17_EUlS16_E_NS1_11comp_targetILNS1_3genE8ELNS1_11target_archE1030ELNS1_3gpuE2ELNS1_3repE0EEENS1_30default_config_static_selectorELNS0_4arch9wavefront6targetE0EEEvT1_
    .private_segment_fixed_size: 0
    .sgpr_count:     0
    .sgpr_spill_count: 0
    .symbol:         _ZN7rocprim17ROCPRIM_400000_NS6detail17trampoline_kernelINS0_14default_configENS1_25partition_config_selectorILNS1_17partition_subalgoE5EsNS0_10empty_typeEbEEZZNS1_14partition_implILS5_5ELb0ES3_mN6thrust23THRUST_200600_302600_NS6detail15normal_iteratorINSA_10device_ptrIsEEEEPS6_NSA_18transform_iteratorINSB_9not_fun_tI7is_trueIsEEESF_NSA_11use_defaultESM_EENS0_5tupleIJSF_S6_EEENSO_IJSG_SG_EEES6_PlJS6_EEE10hipError_tPvRmT3_T4_T5_T6_T7_T9_mT8_P12ihipStream_tbDpT10_ENKUlT_T0_E_clISt17integral_constantIbLb0EES1B_EEDaS16_S17_EUlS16_E_NS1_11comp_targetILNS1_3genE8ELNS1_11target_archE1030ELNS1_3gpuE2ELNS1_3repE0EEENS1_30default_config_static_selectorELNS0_4arch9wavefront6targetE0EEEvT1_.kd
    .uniform_work_group_size: 1
    .uses_dynamic_stack: false
    .vgpr_count:     0
    .vgpr_spill_count: 0
    .wavefront_size: 32
    .workgroup_processor_mode: 1
  - .args:
      - .offset:         0
        .size:           136
        .value_kind:     by_value
    .group_segment_fixed_size: 0
    .kernarg_segment_align: 8
    .kernarg_segment_size: 136
    .language:       OpenCL C
    .language_version:
      - 2
      - 0
    .max_flat_workgroup_size: 256
    .name:           _ZN7rocprim17ROCPRIM_400000_NS6detail17trampoline_kernelINS0_14default_configENS1_25partition_config_selectorILNS1_17partition_subalgoE5EsNS0_10empty_typeEbEEZZNS1_14partition_implILS5_5ELb0ES3_mN6thrust23THRUST_200600_302600_NS6detail15normal_iteratorINSA_10device_ptrIsEEEEPS6_NSA_18transform_iteratorINSB_9not_fun_tI7is_trueIsEEESF_NSA_11use_defaultESM_EENS0_5tupleIJSF_S6_EEENSO_IJSG_SG_EEES6_PlJS6_EEE10hipError_tPvRmT3_T4_T5_T6_T7_T9_mT8_P12ihipStream_tbDpT10_ENKUlT_T0_E_clISt17integral_constantIbLb1EES1B_EEDaS16_S17_EUlS16_E_NS1_11comp_targetILNS1_3genE0ELNS1_11target_archE4294967295ELNS1_3gpuE0ELNS1_3repE0EEENS1_30default_config_static_selectorELNS0_4arch9wavefront6targetE0EEEvT1_
    .private_segment_fixed_size: 0
    .sgpr_count:     0
    .sgpr_spill_count: 0
    .symbol:         _ZN7rocprim17ROCPRIM_400000_NS6detail17trampoline_kernelINS0_14default_configENS1_25partition_config_selectorILNS1_17partition_subalgoE5EsNS0_10empty_typeEbEEZZNS1_14partition_implILS5_5ELb0ES3_mN6thrust23THRUST_200600_302600_NS6detail15normal_iteratorINSA_10device_ptrIsEEEEPS6_NSA_18transform_iteratorINSB_9not_fun_tI7is_trueIsEEESF_NSA_11use_defaultESM_EENS0_5tupleIJSF_S6_EEENSO_IJSG_SG_EEES6_PlJS6_EEE10hipError_tPvRmT3_T4_T5_T6_T7_T9_mT8_P12ihipStream_tbDpT10_ENKUlT_T0_E_clISt17integral_constantIbLb1EES1B_EEDaS16_S17_EUlS16_E_NS1_11comp_targetILNS1_3genE0ELNS1_11target_archE4294967295ELNS1_3gpuE0ELNS1_3repE0EEENS1_30default_config_static_selectorELNS0_4arch9wavefront6targetE0EEEvT1_.kd
    .uniform_work_group_size: 1
    .uses_dynamic_stack: false
    .vgpr_count:     0
    .vgpr_spill_count: 0
    .wavefront_size: 32
    .workgroup_processor_mode: 1
  - .args:
      - .offset:         0
        .size:           136
        .value_kind:     by_value
    .group_segment_fixed_size: 0
    .kernarg_segment_align: 8
    .kernarg_segment_size: 136
    .language:       OpenCL C
    .language_version:
      - 2
      - 0
    .max_flat_workgroup_size: 512
    .name:           _ZN7rocprim17ROCPRIM_400000_NS6detail17trampoline_kernelINS0_14default_configENS1_25partition_config_selectorILNS1_17partition_subalgoE5EsNS0_10empty_typeEbEEZZNS1_14partition_implILS5_5ELb0ES3_mN6thrust23THRUST_200600_302600_NS6detail15normal_iteratorINSA_10device_ptrIsEEEEPS6_NSA_18transform_iteratorINSB_9not_fun_tI7is_trueIsEEESF_NSA_11use_defaultESM_EENS0_5tupleIJSF_S6_EEENSO_IJSG_SG_EEES6_PlJS6_EEE10hipError_tPvRmT3_T4_T5_T6_T7_T9_mT8_P12ihipStream_tbDpT10_ENKUlT_T0_E_clISt17integral_constantIbLb1EES1B_EEDaS16_S17_EUlS16_E_NS1_11comp_targetILNS1_3genE5ELNS1_11target_archE942ELNS1_3gpuE9ELNS1_3repE0EEENS1_30default_config_static_selectorELNS0_4arch9wavefront6targetE0EEEvT1_
    .private_segment_fixed_size: 0
    .sgpr_count:     0
    .sgpr_spill_count: 0
    .symbol:         _ZN7rocprim17ROCPRIM_400000_NS6detail17trampoline_kernelINS0_14default_configENS1_25partition_config_selectorILNS1_17partition_subalgoE5EsNS0_10empty_typeEbEEZZNS1_14partition_implILS5_5ELb0ES3_mN6thrust23THRUST_200600_302600_NS6detail15normal_iteratorINSA_10device_ptrIsEEEEPS6_NSA_18transform_iteratorINSB_9not_fun_tI7is_trueIsEEESF_NSA_11use_defaultESM_EENS0_5tupleIJSF_S6_EEENSO_IJSG_SG_EEES6_PlJS6_EEE10hipError_tPvRmT3_T4_T5_T6_T7_T9_mT8_P12ihipStream_tbDpT10_ENKUlT_T0_E_clISt17integral_constantIbLb1EES1B_EEDaS16_S17_EUlS16_E_NS1_11comp_targetILNS1_3genE5ELNS1_11target_archE942ELNS1_3gpuE9ELNS1_3repE0EEENS1_30default_config_static_selectorELNS0_4arch9wavefront6targetE0EEEvT1_.kd
    .uniform_work_group_size: 1
    .uses_dynamic_stack: false
    .vgpr_count:     0
    .vgpr_spill_count: 0
    .wavefront_size: 32
    .workgroup_processor_mode: 1
  - .args:
      - .offset:         0
        .size:           136
        .value_kind:     by_value
    .group_segment_fixed_size: 0
    .kernarg_segment_align: 8
    .kernarg_segment_size: 136
    .language:       OpenCL C
    .language_version:
      - 2
      - 0
    .max_flat_workgroup_size: 256
    .name:           _ZN7rocprim17ROCPRIM_400000_NS6detail17trampoline_kernelINS0_14default_configENS1_25partition_config_selectorILNS1_17partition_subalgoE5EsNS0_10empty_typeEbEEZZNS1_14partition_implILS5_5ELb0ES3_mN6thrust23THRUST_200600_302600_NS6detail15normal_iteratorINSA_10device_ptrIsEEEEPS6_NSA_18transform_iteratorINSB_9not_fun_tI7is_trueIsEEESF_NSA_11use_defaultESM_EENS0_5tupleIJSF_S6_EEENSO_IJSG_SG_EEES6_PlJS6_EEE10hipError_tPvRmT3_T4_T5_T6_T7_T9_mT8_P12ihipStream_tbDpT10_ENKUlT_T0_E_clISt17integral_constantIbLb1EES1B_EEDaS16_S17_EUlS16_E_NS1_11comp_targetILNS1_3genE4ELNS1_11target_archE910ELNS1_3gpuE8ELNS1_3repE0EEENS1_30default_config_static_selectorELNS0_4arch9wavefront6targetE0EEEvT1_
    .private_segment_fixed_size: 0
    .sgpr_count:     0
    .sgpr_spill_count: 0
    .symbol:         _ZN7rocprim17ROCPRIM_400000_NS6detail17trampoline_kernelINS0_14default_configENS1_25partition_config_selectorILNS1_17partition_subalgoE5EsNS0_10empty_typeEbEEZZNS1_14partition_implILS5_5ELb0ES3_mN6thrust23THRUST_200600_302600_NS6detail15normal_iteratorINSA_10device_ptrIsEEEEPS6_NSA_18transform_iteratorINSB_9not_fun_tI7is_trueIsEEESF_NSA_11use_defaultESM_EENS0_5tupleIJSF_S6_EEENSO_IJSG_SG_EEES6_PlJS6_EEE10hipError_tPvRmT3_T4_T5_T6_T7_T9_mT8_P12ihipStream_tbDpT10_ENKUlT_T0_E_clISt17integral_constantIbLb1EES1B_EEDaS16_S17_EUlS16_E_NS1_11comp_targetILNS1_3genE4ELNS1_11target_archE910ELNS1_3gpuE8ELNS1_3repE0EEENS1_30default_config_static_selectorELNS0_4arch9wavefront6targetE0EEEvT1_.kd
    .uniform_work_group_size: 1
    .uses_dynamic_stack: false
    .vgpr_count:     0
    .vgpr_spill_count: 0
    .wavefront_size: 32
    .workgroup_processor_mode: 1
  - .args:
      - .offset:         0
        .size:           136
        .value_kind:     by_value
    .group_segment_fixed_size: 0
    .kernarg_segment_align: 8
    .kernarg_segment_size: 136
    .language:       OpenCL C
    .language_version:
      - 2
      - 0
    .max_flat_workgroup_size: 256
    .name:           _ZN7rocprim17ROCPRIM_400000_NS6detail17trampoline_kernelINS0_14default_configENS1_25partition_config_selectorILNS1_17partition_subalgoE5EsNS0_10empty_typeEbEEZZNS1_14partition_implILS5_5ELb0ES3_mN6thrust23THRUST_200600_302600_NS6detail15normal_iteratorINSA_10device_ptrIsEEEEPS6_NSA_18transform_iteratorINSB_9not_fun_tI7is_trueIsEEESF_NSA_11use_defaultESM_EENS0_5tupleIJSF_S6_EEENSO_IJSG_SG_EEES6_PlJS6_EEE10hipError_tPvRmT3_T4_T5_T6_T7_T9_mT8_P12ihipStream_tbDpT10_ENKUlT_T0_E_clISt17integral_constantIbLb1EES1B_EEDaS16_S17_EUlS16_E_NS1_11comp_targetILNS1_3genE3ELNS1_11target_archE908ELNS1_3gpuE7ELNS1_3repE0EEENS1_30default_config_static_selectorELNS0_4arch9wavefront6targetE0EEEvT1_
    .private_segment_fixed_size: 0
    .sgpr_count:     0
    .sgpr_spill_count: 0
    .symbol:         _ZN7rocprim17ROCPRIM_400000_NS6detail17trampoline_kernelINS0_14default_configENS1_25partition_config_selectorILNS1_17partition_subalgoE5EsNS0_10empty_typeEbEEZZNS1_14partition_implILS5_5ELb0ES3_mN6thrust23THRUST_200600_302600_NS6detail15normal_iteratorINSA_10device_ptrIsEEEEPS6_NSA_18transform_iteratorINSB_9not_fun_tI7is_trueIsEEESF_NSA_11use_defaultESM_EENS0_5tupleIJSF_S6_EEENSO_IJSG_SG_EEES6_PlJS6_EEE10hipError_tPvRmT3_T4_T5_T6_T7_T9_mT8_P12ihipStream_tbDpT10_ENKUlT_T0_E_clISt17integral_constantIbLb1EES1B_EEDaS16_S17_EUlS16_E_NS1_11comp_targetILNS1_3genE3ELNS1_11target_archE908ELNS1_3gpuE7ELNS1_3repE0EEENS1_30default_config_static_selectorELNS0_4arch9wavefront6targetE0EEEvT1_.kd
    .uniform_work_group_size: 1
    .uses_dynamic_stack: false
    .vgpr_count:     0
    .vgpr_spill_count: 0
    .wavefront_size: 32
    .workgroup_processor_mode: 1
  - .args:
      - .offset:         0
        .size:           136
        .value_kind:     by_value
    .group_segment_fixed_size: 0
    .kernarg_segment_align: 8
    .kernarg_segment_size: 136
    .language:       OpenCL C
    .language_version:
      - 2
      - 0
    .max_flat_workgroup_size: 256
    .name:           _ZN7rocprim17ROCPRIM_400000_NS6detail17trampoline_kernelINS0_14default_configENS1_25partition_config_selectorILNS1_17partition_subalgoE5EsNS0_10empty_typeEbEEZZNS1_14partition_implILS5_5ELb0ES3_mN6thrust23THRUST_200600_302600_NS6detail15normal_iteratorINSA_10device_ptrIsEEEEPS6_NSA_18transform_iteratorINSB_9not_fun_tI7is_trueIsEEESF_NSA_11use_defaultESM_EENS0_5tupleIJSF_S6_EEENSO_IJSG_SG_EEES6_PlJS6_EEE10hipError_tPvRmT3_T4_T5_T6_T7_T9_mT8_P12ihipStream_tbDpT10_ENKUlT_T0_E_clISt17integral_constantIbLb1EES1B_EEDaS16_S17_EUlS16_E_NS1_11comp_targetILNS1_3genE2ELNS1_11target_archE906ELNS1_3gpuE6ELNS1_3repE0EEENS1_30default_config_static_selectorELNS0_4arch9wavefront6targetE0EEEvT1_
    .private_segment_fixed_size: 0
    .sgpr_count:     0
    .sgpr_spill_count: 0
    .symbol:         _ZN7rocprim17ROCPRIM_400000_NS6detail17trampoline_kernelINS0_14default_configENS1_25partition_config_selectorILNS1_17partition_subalgoE5EsNS0_10empty_typeEbEEZZNS1_14partition_implILS5_5ELb0ES3_mN6thrust23THRUST_200600_302600_NS6detail15normal_iteratorINSA_10device_ptrIsEEEEPS6_NSA_18transform_iteratorINSB_9not_fun_tI7is_trueIsEEESF_NSA_11use_defaultESM_EENS0_5tupleIJSF_S6_EEENSO_IJSG_SG_EEES6_PlJS6_EEE10hipError_tPvRmT3_T4_T5_T6_T7_T9_mT8_P12ihipStream_tbDpT10_ENKUlT_T0_E_clISt17integral_constantIbLb1EES1B_EEDaS16_S17_EUlS16_E_NS1_11comp_targetILNS1_3genE2ELNS1_11target_archE906ELNS1_3gpuE6ELNS1_3repE0EEENS1_30default_config_static_selectorELNS0_4arch9wavefront6targetE0EEEvT1_.kd
    .uniform_work_group_size: 1
    .uses_dynamic_stack: false
    .vgpr_count:     0
    .vgpr_spill_count: 0
    .wavefront_size: 32
    .workgroup_processor_mode: 1
  - .args:
      - .offset:         0
        .size:           136
        .value_kind:     by_value
    .group_segment_fixed_size: 0
    .kernarg_segment_align: 8
    .kernarg_segment_size: 136
    .language:       OpenCL C
    .language_version:
      - 2
      - 0
    .max_flat_workgroup_size: 256
    .name:           _ZN7rocprim17ROCPRIM_400000_NS6detail17trampoline_kernelINS0_14default_configENS1_25partition_config_selectorILNS1_17partition_subalgoE5EsNS0_10empty_typeEbEEZZNS1_14partition_implILS5_5ELb0ES3_mN6thrust23THRUST_200600_302600_NS6detail15normal_iteratorINSA_10device_ptrIsEEEEPS6_NSA_18transform_iteratorINSB_9not_fun_tI7is_trueIsEEESF_NSA_11use_defaultESM_EENS0_5tupleIJSF_S6_EEENSO_IJSG_SG_EEES6_PlJS6_EEE10hipError_tPvRmT3_T4_T5_T6_T7_T9_mT8_P12ihipStream_tbDpT10_ENKUlT_T0_E_clISt17integral_constantIbLb1EES1B_EEDaS16_S17_EUlS16_E_NS1_11comp_targetILNS1_3genE10ELNS1_11target_archE1200ELNS1_3gpuE4ELNS1_3repE0EEENS1_30default_config_static_selectorELNS0_4arch9wavefront6targetE0EEEvT1_
    .private_segment_fixed_size: 0
    .sgpr_count:     0
    .sgpr_spill_count: 0
    .symbol:         _ZN7rocprim17ROCPRIM_400000_NS6detail17trampoline_kernelINS0_14default_configENS1_25partition_config_selectorILNS1_17partition_subalgoE5EsNS0_10empty_typeEbEEZZNS1_14partition_implILS5_5ELb0ES3_mN6thrust23THRUST_200600_302600_NS6detail15normal_iteratorINSA_10device_ptrIsEEEEPS6_NSA_18transform_iteratorINSB_9not_fun_tI7is_trueIsEEESF_NSA_11use_defaultESM_EENS0_5tupleIJSF_S6_EEENSO_IJSG_SG_EEES6_PlJS6_EEE10hipError_tPvRmT3_T4_T5_T6_T7_T9_mT8_P12ihipStream_tbDpT10_ENKUlT_T0_E_clISt17integral_constantIbLb1EES1B_EEDaS16_S17_EUlS16_E_NS1_11comp_targetILNS1_3genE10ELNS1_11target_archE1200ELNS1_3gpuE4ELNS1_3repE0EEENS1_30default_config_static_selectorELNS0_4arch9wavefront6targetE0EEEvT1_.kd
    .uniform_work_group_size: 1
    .uses_dynamic_stack: false
    .vgpr_count:     0
    .vgpr_spill_count: 0
    .wavefront_size: 32
    .workgroup_processor_mode: 1
  - .args:
      - .offset:         0
        .size:           136
        .value_kind:     by_value
    .group_segment_fixed_size: 0
    .kernarg_segment_align: 8
    .kernarg_segment_size: 136
    .language:       OpenCL C
    .language_version:
      - 2
      - 0
    .max_flat_workgroup_size: 128
    .name:           _ZN7rocprim17ROCPRIM_400000_NS6detail17trampoline_kernelINS0_14default_configENS1_25partition_config_selectorILNS1_17partition_subalgoE5EsNS0_10empty_typeEbEEZZNS1_14partition_implILS5_5ELb0ES3_mN6thrust23THRUST_200600_302600_NS6detail15normal_iteratorINSA_10device_ptrIsEEEEPS6_NSA_18transform_iteratorINSB_9not_fun_tI7is_trueIsEEESF_NSA_11use_defaultESM_EENS0_5tupleIJSF_S6_EEENSO_IJSG_SG_EEES6_PlJS6_EEE10hipError_tPvRmT3_T4_T5_T6_T7_T9_mT8_P12ihipStream_tbDpT10_ENKUlT_T0_E_clISt17integral_constantIbLb1EES1B_EEDaS16_S17_EUlS16_E_NS1_11comp_targetILNS1_3genE9ELNS1_11target_archE1100ELNS1_3gpuE3ELNS1_3repE0EEENS1_30default_config_static_selectorELNS0_4arch9wavefront6targetE0EEEvT1_
    .private_segment_fixed_size: 0
    .sgpr_count:     0
    .sgpr_spill_count: 0
    .symbol:         _ZN7rocprim17ROCPRIM_400000_NS6detail17trampoline_kernelINS0_14default_configENS1_25partition_config_selectorILNS1_17partition_subalgoE5EsNS0_10empty_typeEbEEZZNS1_14partition_implILS5_5ELb0ES3_mN6thrust23THRUST_200600_302600_NS6detail15normal_iteratorINSA_10device_ptrIsEEEEPS6_NSA_18transform_iteratorINSB_9not_fun_tI7is_trueIsEEESF_NSA_11use_defaultESM_EENS0_5tupleIJSF_S6_EEENSO_IJSG_SG_EEES6_PlJS6_EEE10hipError_tPvRmT3_T4_T5_T6_T7_T9_mT8_P12ihipStream_tbDpT10_ENKUlT_T0_E_clISt17integral_constantIbLb1EES1B_EEDaS16_S17_EUlS16_E_NS1_11comp_targetILNS1_3genE9ELNS1_11target_archE1100ELNS1_3gpuE3ELNS1_3repE0EEENS1_30default_config_static_selectorELNS0_4arch9wavefront6targetE0EEEvT1_.kd
    .uniform_work_group_size: 1
    .uses_dynamic_stack: false
    .vgpr_count:     0
    .vgpr_spill_count: 0
    .wavefront_size: 32
    .workgroup_processor_mode: 1
  - .args:
      - .offset:         0
        .size:           136
        .value_kind:     by_value
    .group_segment_fixed_size: 0
    .kernarg_segment_align: 8
    .kernarg_segment_size: 136
    .language:       OpenCL C
    .language_version:
      - 2
      - 0
    .max_flat_workgroup_size: 256
    .name:           _ZN7rocprim17ROCPRIM_400000_NS6detail17trampoline_kernelINS0_14default_configENS1_25partition_config_selectorILNS1_17partition_subalgoE5EsNS0_10empty_typeEbEEZZNS1_14partition_implILS5_5ELb0ES3_mN6thrust23THRUST_200600_302600_NS6detail15normal_iteratorINSA_10device_ptrIsEEEEPS6_NSA_18transform_iteratorINSB_9not_fun_tI7is_trueIsEEESF_NSA_11use_defaultESM_EENS0_5tupleIJSF_S6_EEENSO_IJSG_SG_EEES6_PlJS6_EEE10hipError_tPvRmT3_T4_T5_T6_T7_T9_mT8_P12ihipStream_tbDpT10_ENKUlT_T0_E_clISt17integral_constantIbLb1EES1B_EEDaS16_S17_EUlS16_E_NS1_11comp_targetILNS1_3genE8ELNS1_11target_archE1030ELNS1_3gpuE2ELNS1_3repE0EEENS1_30default_config_static_selectorELNS0_4arch9wavefront6targetE0EEEvT1_
    .private_segment_fixed_size: 0
    .sgpr_count:     0
    .sgpr_spill_count: 0
    .symbol:         _ZN7rocprim17ROCPRIM_400000_NS6detail17trampoline_kernelINS0_14default_configENS1_25partition_config_selectorILNS1_17partition_subalgoE5EsNS0_10empty_typeEbEEZZNS1_14partition_implILS5_5ELb0ES3_mN6thrust23THRUST_200600_302600_NS6detail15normal_iteratorINSA_10device_ptrIsEEEEPS6_NSA_18transform_iteratorINSB_9not_fun_tI7is_trueIsEEESF_NSA_11use_defaultESM_EENS0_5tupleIJSF_S6_EEENSO_IJSG_SG_EEES6_PlJS6_EEE10hipError_tPvRmT3_T4_T5_T6_T7_T9_mT8_P12ihipStream_tbDpT10_ENKUlT_T0_E_clISt17integral_constantIbLb1EES1B_EEDaS16_S17_EUlS16_E_NS1_11comp_targetILNS1_3genE8ELNS1_11target_archE1030ELNS1_3gpuE2ELNS1_3repE0EEENS1_30default_config_static_selectorELNS0_4arch9wavefront6targetE0EEEvT1_.kd
    .uniform_work_group_size: 1
    .uses_dynamic_stack: false
    .vgpr_count:     0
    .vgpr_spill_count: 0
    .wavefront_size: 32
    .workgroup_processor_mode: 1
  - .args:
      - .offset:         0
        .size:           120
        .value_kind:     by_value
    .group_segment_fixed_size: 0
    .kernarg_segment_align: 8
    .kernarg_segment_size: 120
    .language:       OpenCL C
    .language_version:
      - 2
      - 0
    .max_flat_workgroup_size: 256
    .name:           _ZN7rocprim17ROCPRIM_400000_NS6detail17trampoline_kernelINS0_14default_configENS1_25partition_config_selectorILNS1_17partition_subalgoE5EsNS0_10empty_typeEbEEZZNS1_14partition_implILS5_5ELb0ES3_mN6thrust23THRUST_200600_302600_NS6detail15normal_iteratorINSA_10device_ptrIsEEEEPS6_NSA_18transform_iteratorINSB_9not_fun_tI7is_trueIsEEESF_NSA_11use_defaultESM_EENS0_5tupleIJSF_S6_EEENSO_IJSG_SG_EEES6_PlJS6_EEE10hipError_tPvRmT3_T4_T5_T6_T7_T9_mT8_P12ihipStream_tbDpT10_ENKUlT_T0_E_clISt17integral_constantIbLb1EES1A_IbLb0EEEEDaS16_S17_EUlS16_E_NS1_11comp_targetILNS1_3genE0ELNS1_11target_archE4294967295ELNS1_3gpuE0ELNS1_3repE0EEENS1_30default_config_static_selectorELNS0_4arch9wavefront6targetE0EEEvT1_
    .private_segment_fixed_size: 0
    .sgpr_count:     0
    .sgpr_spill_count: 0
    .symbol:         _ZN7rocprim17ROCPRIM_400000_NS6detail17trampoline_kernelINS0_14default_configENS1_25partition_config_selectorILNS1_17partition_subalgoE5EsNS0_10empty_typeEbEEZZNS1_14partition_implILS5_5ELb0ES3_mN6thrust23THRUST_200600_302600_NS6detail15normal_iteratorINSA_10device_ptrIsEEEEPS6_NSA_18transform_iteratorINSB_9not_fun_tI7is_trueIsEEESF_NSA_11use_defaultESM_EENS0_5tupleIJSF_S6_EEENSO_IJSG_SG_EEES6_PlJS6_EEE10hipError_tPvRmT3_T4_T5_T6_T7_T9_mT8_P12ihipStream_tbDpT10_ENKUlT_T0_E_clISt17integral_constantIbLb1EES1A_IbLb0EEEEDaS16_S17_EUlS16_E_NS1_11comp_targetILNS1_3genE0ELNS1_11target_archE4294967295ELNS1_3gpuE0ELNS1_3repE0EEENS1_30default_config_static_selectorELNS0_4arch9wavefront6targetE0EEEvT1_.kd
    .uniform_work_group_size: 1
    .uses_dynamic_stack: false
    .vgpr_count:     0
    .vgpr_spill_count: 0
    .wavefront_size: 32
    .workgroup_processor_mode: 1
  - .args:
      - .offset:         0
        .size:           120
        .value_kind:     by_value
    .group_segment_fixed_size: 0
    .kernarg_segment_align: 8
    .kernarg_segment_size: 120
    .language:       OpenCL C
    .language_version:
      - 2
      - 0
    .max_flat_workgroup_size: 512
    .name:           _ZN7rocprim17ROCPRIM_400000_NS6detail17trampoline_kernelINS0_14default_configENS1_25partition_config_selectorILNS1_17partition_subalgoE5EsNS0_10empty_typeEbEEZZNS1_14partition_implILS5_5ELb0ES3_mN6thrust23THRUST_200600_302600_NS6detail15normal_iteratorINSA_10device_ptrIsEEEEPS6_NSA_18transform_iteratorINSB_9not_fun_tI7is_trueIsEEESF_NSA_11use_defaultESM_EENS0_5tupleIJSF_S6_EEENSO_IJSG_SG_EEES6_PlJS6_EEE10hipError_tPvRmT3_T4_T5_T6_T7_T9_mT8_P12ihipStream_tbDpT10_ENKUlT_T0_E_clISt17integral_constantIbLb1EES1A_IbLb0EEEEDaS16_S17_EUlS16_E_NS1_11comp_targetILNS1_3genE5ELNS1_11target_archE942ELNS1_3gpuE9ELNS1_3repE0EEENS1_30default_config_static_selectorELNS0_4arch9wavefront6targetE0EEEvT1_
    .private_segment_fixed_size: 0
    .sgpr_count:     0
    .sgpr_spill_count: 0
    .symbol:         _ZN7rocprim17ROCPRIM_400000_NS6detail17trampoline_kernelINS0_14default_configENS1_25partition_config_selectorILNS1_17partition_subalgoE5EsNS0_10empty_typeEbEEZZNS1_14partition_implILS5_5ELb0ES3_mN6thrust23THRUST_200600_302600_NS6detail15normal_iteratorINSA_10device_ptrIsEEEEPS6_NSA_18transform_iteratorINSB_9not_fun_tI7is_trueIsEEESF_NSA_11use_defaultESM_EENS0_5tupleIJSF_S6_EEENSO_IJSG_SG_EEES6_PlJS6_EEE10hipError_tPvRmT3_T4_T5_T6_T7_T9_mT8_P12ihipStream_tbDpT10_ENKUlT_T0_E_clISt17integral_constantIbLb1EES1A_IbLb0EEEEDaS16_S17_EUlS16_E_NS1_11comp_targetILNS1_3genE5ELNS1_11target_archE942ELNS1_3gpuE9ELNS1_3repE0EEENS1_30default_config_static_selectorELNS0_4arch9wavefront6targetE0EEEvT1_.kd
    .uniform_work_group_size: 1
    .uses_dynamic_stack: false
    .vgpr_count:     0
    .vgpr_spill_count: 0
    .wavefront_size: 32
    .workgroup_processor_mode: 1
  - .args:
      - .offset:         0
        .size:           120
        .value_kind:     by_value
    .group_segment_fixed_size: 0
    .kernarg_segment_align: 8
    .kernarg_segment_size: 120
    .language:       OpenCL C
    .language_version:
      - 2
      - 0
    .max_flat_workgroup_size: 256
    .name:           _ZN7rocprim17ROCPRIM_400000_NS6detail17trampoline_kernelINS0_14default_configENS1_25partition_config_selectorILNS1_17partition_subalgoE5EsNS0_10empty_typeEbEEZZNS1_14partition_implILS5_5ELb0ES3_mN6thrust23THRUST_200600_302600_NS6detail15normal_iteratorINSA_10device_ptrIsEEEEPS6_NSA_18transform_iteratorINSB_9not_fun_tI7is_trueIsEEESF_NSA_11use_defaultESM_EENS0_5tupleIJSF_S6_EEENSO_IJSG_SG_EEES6_PlJS6_EEE10hipError_tPvRmT3_T4_T5_T6_T7_T9_mT8_P12ihipStream_tbDpT10_ENKUlT_T0_E_clISt17integral_constantIbLb1EES1A_IbLb0EEEEDaS16_S17_EUlS16_E_NS1_11comp_targetILNS1_3genE4ELNS1_11target_archE910ELNS1_3gpuE8ELNS1_3repE0EEENS1_30default_config_static_selectorELNS0_4arch9wavefront6targetE0EEEvT1_
    .private_segment_fixed_size: 0
    .sgpr_count:     0
    .sgpr_spill_count: 0
    .symbol:         _ZN7rocprim17ROCPRIM_400000_NS6detail17trampoline_kernelINS0_14default_configENS1_25partition_config_selectorILNS1_17partition_subalgoE5EsNS0_10empty_typeEbEEZZNS1_14partition_implILS5_5ELb0ES3_mN6thrust23THRUST_200600_302600_NS6detail15normal_iteratorINSA_10device_ptrIsEEEEPS6_NSA_18transform_iteratorINSB_9not_fun_tI7is_trueIsEEESF_NSA_11use_defaultESM_EENS0_5tupleIJSF_S6_EEENSO_IJSG_SG_EEES6_PlJS6_EEE10hipError_tPvRmT3_T4_T5_T6_T7_T9_mT8_P12ihipStream_tbDpT10_ENKUlT_T0_E_clISt17integral_constantIbLb1EES1A_IbLb0EEEEDaS16_S17_EUlS16_E_NS1_11comp_targetILNS1_3genE4ELNS1_11target_archE910ELNS1_3gpuE8ELNS1_3repE0EEENS1_30default_config_static_selectorELNS0_4arch9wavefront6targetE0EEEvT1_.kd
    .uniform_work_group_size: 1
    .uses_dynamic_stack: false
    .vgpr_count:     0
    .vgpr_spill_count: 0
    .wavefront_size: 32
    .workgroup_processor_mode: 1
  - .args:
      - .offset:         0
        .size:           120
        .value_kind:     by_value
    .group_segment_fixed_size: 0
    .kernarg_segment_align: 8
    .kernarg_segment_size: 120
    .language:       OpenCL C
    .language_version:
      - 2
      - 0
    .max_flat_workgroup_size: 256
    .name:           _ZN7rocprim17ROCPRIM_400000_NS6detail17trampoline_kernelINS0_14default_configENS1_25partition_config_selectorILNS1_17partition_subalgoE5EsNS0_10empty_typeEbEEZZNS1_14partition_implILS5_5ELb0ES3_mN6thrust23THRUST_200600_302600_NS6detail15normal_iteratorINSA_10device_ptrIsEEEEPS6_NSA_18transform_iteratorINSB_9not_fun_tI7is_trueIsEEESF_NSA_11use_defaultESM_EENS0_5tupleIJSF_S6_EEENSO_IJSG_SG_EEES6_PlJS6_EEE10hipError_tPvRmT3_T4_T5_T6_T7_T9_mT8_P12ihipStream_tbDpT10_ENKUlT_T0_E_clISt17integral_constantIbLb1EES1A_IbLb0EEEEDaS16_S17_EUlS16_E_NS1_11comp_targetILNS1_3genE3ELNS1_11target_archE908ELNS1_3gpuE7ELNS1_3repE0EEENS1_30default_config_static_selectorELNS0_4arch9wavefront6targetE0EEEvT1_
    .private_segment_fixed_size: 0
    .sgpr_count:     0
    .sgpr_spill_count: 0
    .symbol:         _ZN7rocprim17ROCPRIM_400000_NS6detail17trampoline_kernelINS0_14default_configENS1_25partition_config_selectorILNS1_17partition_subalgoE5EsNS0_10empty_typeEbEEZZNS1_14partition_implILS5_5ELb0ES3_mN6thrust23THRUST_200600_302600_NS6detail15normal_iteratorINSA_10device_ptrIsEEEEPS6_NSA_18transform_iteratorINSB_9not_fun_tI7is_trueIsEEESF_NSA_11use_defaultESM_EENS0_5tupleIJSF_S6_EEENSO_IJSG_SG_EEES6_PlJS6_EEE10hipError_tPvRmT3_T4_T5_T6_T7_T9_mT8_P12ihipStream_tbDpT10_ENKUlT_T0_E_clISt17integral_constantIbLb1EES1A_IbLb0EEEEDaS16_S17_EUlS16_E_NS1_11comp_targetILNS1_3genE3ELNS1_11target_archE908ELNS1_3gpuE7ELNS1_3repE0EEENS1_30default_config_static_selectorELNS0_4arch9wavefront6targetE0EEEvT1_.kd
    .uniform_work_group_size: 1
    .uses_dynamic_stack: false
    .vgpr_count:     0
    .vgpr_spill_count: 0
    .wavefront_size: 32
    .workgroup_processor_mode: 1
  - .args:
      - .offset:         0
        .size:           120
        .value_kind:     by_value
    .group_segment_fixed_size: 0
    .kernarg_segment_align: 8
    .kernarg_segment_size: 120
    .language:       OpenCL C
    .language_version:
      - 2
      - 0
    .max_flat_workgroup_size: 256
    .name:           _ZN7rocprim17ROCPRIM_400000_NS6detail17trampoline_kernelINS0_14default_configENS1_25partition_config_selectorILNS1_17partition_subalgoE5EsNS0_10empty_typeEbEEZZNS1_14partition_implILS5_5ELb0ES3_mN6thrust23THRUST_200600_302600_NS6detail15normal_iteratorINSA_10device_ptrIsEEEEPS6_NSA_18transform_iteratorINSB_9not_fun_tI7is_trueIsEEESF_NSA_11use_defaultESM_EENS0_5tupleIJSF_S6_EEENSO_IJSG_SG_EEES6_PlJS6_EEE10hipError_tPvRmT3_T4_T5_T6_T7_T9_mT8_P12ihipStream_tbDpT10_ENKUlT_T0_E_clISt17integral_constantIbLb1EES1A_IbLb0EEEEDaS16_S17_EUlS16_E_NS1_11comp_targetILNS1_3genE2ELNS1_11target_archE906ELNS1_3gpuE6ELNS1_3repE0EEENS1_30default_config_static_selectorELNS0_4arch9wavefront6targetE0EEEvT1_
    .private_segment_fixed_size: 0
    .sgpr_count:     0
    .sgpr_spill_count: 0
    .symbol:         _ZN7rocprim17ROCPRIM_400000_NS6detail17trampoline_kernelINS0_14default_configENS1_25partition_config_selectorILNS1_17partition_subalgoE5EsNS0_10empty_typeEbEEZZNS1_14partition_implILS5_5ELb0ES3_mN6thrust23THRUST_200600_302600_NS6detail15normal_iteratorINSA_10device_ptrIsEEEEPS6_NSA_18transform_iteratorINSB_9not_fun_tI7is_trueIsEEESF_NSA_11use_defaultESM_EENS0_5tupleIJSF_S6_EEENSO_IJSG_SG_EEES6_PlJS6_EEE10hipError_tPvRmT3_T4_T5_T6_T7_T9_mT8_P12ihipStream_tbDpT10_ENKUlT_T0_E_clISt17integral_constantIbLb1EES1A_IbLb0EEEEDaS16_S17_EUlS16_E_NS1_11comp_targetILNS1_3genE2ELNS1_11target_archE906ELNS1_3gpuE6ELNS1_3repE0EEENS1_30default_config_static_selectorELNS0_4arch9wavefront6targetE0EEEvT1_.kd
    .uniform_work_group_size: 1
    .uses_dynamic_stack: false
    .vgpr_count:     0
    .vgpr_spill_count: 0
    .wavefront_size: 32
    .workgroup_processor_mode: 1
  - .args:
      - .offset:         0
        .size:           120
        .value_kind:     by_value
    .group_segment_fixed_size: 0
    .kernarg_segment_align: 8
    .kernarg_segment_size: 120
    .language:       OpenCL C
    .language_version:
      - 2
      - 0
    .max_flat_workgroup_size: 256
    .name:           _ZN7rocprim17ROCPRIM_400000_NS6detail17trampoline_kernelINS0_14default_configENS1_25partition_config_selectorILNS1_17partition_subalgoE5EsNS0_10empty_typeEbEEZZNS1_14partition_implILS5_5ELb0ES3_mN6thrust23THRUST_200600_302600_NS6detail15normal_iteratorINSA_10device_ptrIsEEEEPS6_NSA_18transform_iteratorINSB_9not_fun_tI7is_trueIsEEESF_NSA_11use_defaultESM_EENS0_5tupleIJSF_S6_EEENSO_IJSG_SG_EEES6_PlJS6_EEE10hipError_tPvRmT3_T4_T5_T6_T7_T9_mT8_P12ihipStream_tbDpT10_ENKUlT_T0_E_clISt17integral_constantIbLb1EES1A_IbLb0EEEEDaS16_S17_EUlS16_E_NS1_11comp_targetILNS1_3genE10ELNS1_11target_archE1200ELNS1_3gpuE4ELNS1_3repE0EEENS1_30default_config_static_selectorELNS0_4arch9wavefront6targetE0EEEvT1_
    .private_segment_fixed_size: 0
    .sgpr_count:     0
    .sgpr_spill_count: 0
    .symbol:         _ZN7rocprim17ROCPRIM_400000_NS6detail17trampoline_kernelINS0_14default_configENS1_25partition_config_selectorILNS1_17partition_subalgoE5EsNS0_10empty_typeEbEEZZNS1_14partition_implILS5_5ELb0ES3_mN6thrust23THRUST_200600_302600_NS6detail15normal_iteratorINSA_10device_ptrIsEEEEPS6_NSA_18transform_iteratorINSB_9not_fun_tI7is_trueIsEEESF_NSA_11use_defaultESM_EENS0_5tupleIJSF_S6_EEENSO_IJSG_SG_EEES6_PlJS6_EEE10hipError_tPvRmT3_T4_T5_T6_T7_T9_mT8_P12ihipStream_tbDpT10_ENKUlT_T0_E_clISt17integral_constantIbLb1EES1A_IbLb0EEEEDaS16_S17_EUlS16_E_NS1_11comp_targetILNS1_3genE10ELNS1_11target_archE1200ELNS1_3gpuE4ELNS1_3repE0EEENS1_30default_config_static_selectorELNS0_4arch9wavefront6targetE0EEEvT1_.kd
    .uniform_work_group_size: 1
    .uses_dynamic_stack: false
    .vgpr_count:     0
    .vgpr_spill_count: 0
    .wavefront_size: 32
    .workgroup_processor_mode: 1
  - .args:
      - .offset:         0
        .size:           120
        .value_kind:     by_value
    .group_segment_fixed_size: 0
    .kernarg_segment_align: 8
    .kernarg_segment_size: 120
    .language:       OpenCL C
    .language_version:
      - 2
      - 0
    .max_flat_workgroup_size: 128
    .name:           _ZN7rocprim17ROCPRIM_400000_NS6detail17trampoline_kernelINS0_14default_configENS1_25partition_config_selectorILNS1_17partition_subalgoE5EsNS0_10empty_typeEbEEZZNS1_14partition_implILS5_5ELb0ES3_mN6thrust23THRUST_200600_302600_NS6detail15normal_iteratorINSA_10device_ptrIsEEEEPS6_NSA_18transform_iteratorINSB_9not_fun_tI7is_trueIsEEESF_NSA_11use_defaultESM_EENS0_5tupleIJSF_S6_EEENSO_IJSG_SG_EEES6_PlJS6_EEE10hipError_tPvRmT3_T4_T5_T6_T7_T9_mT8_P12ihipStream_tbDpT10_ENKUlT_T0_E_clISt17integral_constantIbLb1EES1A_IbLb0EEEEDaS16_S17_EUlS16_E_NS1_11comp_targetILNS1_3genE9ELNS1_11target_archE1100ELNS1_3gpuE3ELNS1_3repE0EEENS1_30default_config_static_selectorELNS0_4arch9wavefront6targetE0EEEvT1_
    .private_segment_fixed_size: 0
    .sgpr_count:     0
    .sgpr_spill_count: 0
    .symbol:         _ZN7rocprim17ROCPRIM_400000_NS6detail17trampoline_kernelINS0_14default_configENS1_25partition_config_selectorILNS1_17partition_subalgoE5EsNS0_10empty_typeEbEEZZNS1_14partition_implILS5_5ELb0ES3_mN6thrust23THRUST_200600_302600_NS6detail15normal_iteratorINSA_10device_ptrIsEEEEPS6_NSA_18transform_iteratorINSB_9not_fun_tI7is_trueIsEEESF_NSA_11use_defaultESM_EENS0_5tupleIJSF_S6_EEENSO_IJSG_SG_EEES6_PlJS6_EEE10hipError_tPvRmT3_T4_T5_T6_T7_T9_mT8_P12ihipStream_tbDpT10_ENKUlT_T0_E_clISt17integral_constantIbLb1EES1A_IbLb0EEEEDaS16_S17_EUlS16_E_NS1_11comp_targetILNS1_3genE9ELNS1_11target_archE1100ELNS1_3gpuE3ELNS1_3repE0EEENS1_30default_config_static_selectorELNS0_4arch9wavefront6targetE0EEEvT1_.kd
    .uniform_work_group_size: 1
    .uses_dynamic_stack: false
    .vgpr_count:     0
    .vgpr_spill_count: 0
    .wavefront_size: 32
    .workgroup_processor_mode: 1
  - .args:
      - .offset:         0
        .size:           120
        .value_kind:     by_value
    .group_segment_fixed_size: 0
    .kernarg_segment_align: 8
    .kernarg_segment_size: 120
    .language:       OpenCL C
    .language_version:
      - 2
      - 0
    .max_flat_workgroup_size: 256
    .name:           _ZN7rocprim17ROCPRIM_400000_NS6detail17trampoline_kernelINS0_14default_configENS1_25partition_config_selectorILNS1_17partition_subalgoE5EsNS0_10empty_typeEbEEZZNS1_14partition_implILS5_5ELb0ES3_mN6thrust23THRUST_200600_302600_NS6detail15normal_iteratorINSA_10device_ptrIsEEEEPS6_NSA_18transform_iteratorINSB_9not_fun_tI7is_trueIsEEESF_NSA_11use_defaultESM_EENS0_5tupleIJSF_S6_EEENSO_IJSG_SG_EEES6_PlJS6_EEE10hipError_tPvRmT3_T4_T5_T6_T7_T9_mT8_P12ihipStream_tbDpT10_ENKUlT_T0_E_clISt17integral_constantIbLb1EES1A_IbLb0EEEEDaS16_S17_EUlS16_E_NS1_11comp_targetILNS1_3genE8ELNS1_11target_archE1030ELNS1_3gpuE2ELNS1_3repE0EEENS1_30default_config_static_selectorELNS0_4arch9wavefront6targetE0EEEvT1_
    .private_segment_fixed_size: 0
    .sgpr_count:     0
    .sgpr_spill_count: 0
    .symbol:         _ZN7rocprim17ROCPRIM_400000_NS6detail17trampoline_kernelINS0_14default_configENS1_25partition_config_selectorILNS1_17partition_subalgoE5EsNS0_10empty_typeEbEEZZNS1_14partition_implILS5_5ELb0ES3_mN6thrust23THRUST_200600_302600_NS6detail15normal_iteratorINSA_10device_ptrIsEEEEPS6_NSA_18transform_iteratorINSB_9not_fun_tI7is_trueIsEEESF_NSA_11use_defaultESM_EENS0_5tupleIJSF_S6_EEENSO_IJSG_SG_EEES6_PlJS6_EEE10hipError_tPvRmT3_T4_T5_T6_T7_T9_mT8_P12ihipStream_tbDpT10_ENKUlT_T0_E_clISt17integral_constantIbLb1EES1A_IbLb0EEEEDaS16_S17_EUlS16_E_NS1_11comp_targetILNS1_3genE8ELNS1_11target_archE1030ELNS1_3gpuE2ELNS1_3repE0EEENS1_30default_config_static_selectorELNS0_4arch9wavefront6targetE0EEEvT1_.kd
    .uniform_work_group_size: 1
    .uses_dynamic_stack: false
    .vgpr_count:     0
    .vgpr_spill_count: 0
    .wavefront_size: 32
    .workgroup_processor_mode: 1
  - .args:
      - .offset:         0
        .size:           136
        .value_kind:     by_value
    .group_segment_fixed_size: 0
    .kernarg_segment_align: 8
    .kernarg_segment_size: 136
    .language:       OpenCL C
    .language_version:
      - 2
      - 0
    .max_flat_workgroup_size: 256
    .name:           _ZN7rocprim17ROCPRIM_400000_NS6detail17trampoline_kernelINS0_14default_configENS1_25partition_config_selectorILNS1_17partition_subalgoE5EsNS0_10empty_typeEbEEZZNS1_14partition_implILS5_5ELb0ES3_mN6thrust23THRUST_200600_302600_NS6detail15normal_iteratorINSA_10device_ptrIsEEEEPS6_NSA_18transform_iteratorINSB_9not_fun_tI7is_trueIsEEESF_NSA_11use_defaultESM_EENS0_5tupleIJSF_S6_EEENSO_IJSG_SG_EEES6_PlJS6_EEE10hipError_tPvRmT3_T4_T5_T6_T7_T9_mT8_P12ihipStream_tbDpT10_ENKUlT_T0_E_clISt17integral_constantIbLb0EES1A_IbLb1EEEEDaS16_S17_EUlS16_E_NS1_11comp_targetILNS1_3genE0ELNS1_11target_archE4294967295ELNS1_3gpuE0ELNS1_3repE0EEENS1_30default_config_static_selectorELNS0_4arch9wavefront6targetE0EEEvT1_
    .private_segment_fixed_size: 0
    .sgpr_count:     0
    .sgpr_spill_count: 0
    .symbol:         _ZN7rocprim17ROCPRIM_400000_NS6detail17trampoline_kernelINS0_14default_configENS1_25partition_config_selectorILNS1_17partition_subalgoE5EsNS0_10empty_typeEbEEZZNS1_14partition_implILS5_5ELb0ES3_mN6thrust23THRUST_200600_302600_NS6detail15normal_iteratorINSA_10device_ptrIsEEEEPS6_NSA_18transform_iteratorINSB_9not_fun_tI7is_trueIsEEESF_NSA_11use_defaultESM_EENS0_5tupleIJSF_S6_EEENSO_IJSG_SG_EEES6_PlJS6_EEE10hipError_tPvRmT3_T4_T5_T6_T7_T9_mT8_P12ihipStream_tbDpT10_ENKUlT_T0_E_clISt17integral_constantIbLb0EES1A_IbLb1EEEEDaS16_S17_EUlS16_E_NS1_11comp_targetILNS1_3genE0ELNS1_11target_archE4294967295ELNS1_3gpuE0ELNS1_3repE0EEENS1_30default_config_static_selectorELNS0_4arch9wavefront6targetE0EEEvT1_.kd
    .uniform_work_group_size: 1
    .uses_dynamic_stack: false
    .vgpr_count:     0
    .vgpr_spill_count: 0
    .wavefront_size: 32
    .workgroup_processor_mode: 1
  - .args:
      - .offset:         0
        .size:           136
        .value_kind:     by_value
    .group_segment_fixed_size: 0
    .kernarg_segment_align: 8
    .kernarg_segment_size: 136
    .language:       OpenCL C
    .language_version:
      - 2
      - 0
    .max_flat_workgroup_size: 512
    .name:           _ZN7rocprim17ROCPRIM_400000_NS6detail17trampoline_kernelINS0_14default_configENS1_25partition_config_selectorILNS1_17partition_subalgoE5EsNS0_10empty_typeEbEEZZNS1_14partition_implILS5_5ELb0ES3_mN6thrust23THRUST_200600_302600_NS6detail15normal_iteratorINSA_10device_ptrIsEEEEPS6_NSA_18transform_iteratorINSB_9not_fun_tI7is_trueIsEEESF_NSA_11use_defaultESM_EENS0_5tupleIJSF_S6_EEENSO_IJSG_SG_EEES6_PlJS6_EEE10hipError_tPvRmT3_T4_T5_T6_T7_T9_mT8_P12ihipStream_tbDpT10_ENKUlT_T0_E_clISt17integral_constantIbLb0EES1A_IbLb1EEEEDaS16_S17_EUlS16_E_NS1_11comp_targetILNS1_3genE5ELNS1_11target_archE942ELNS1_3gpuE9ELNS1_3repE0EEENS1_30default_config_static_selectorELNS0_4arch9wavefront6targetE0EEEvT1_
    .private_segment_fixed_size: 0
    .sgpr_count:     0
    .sgpr_spill_count: 0
    .symbol:         _ZN7rocprim17ROCPRIM_400000_NS6detail17trampoline_kernelINS0_14default_configENS1_25partition_config_selectorILNS1_17partition_subalgoE5EsNS0_10empty_typeEbEEZZNS1_14partition_implILS5_5ELb0ES3_mN6thrust23THRUST_200600_302600_NS6detail15normal_iteratorINSA_10device_ptrIsEEEEPS6_NSA_18transform_iteratorINSB_9not_fun_tI7is_trueIsEEESF_NSA_11use_defaultESM_EENS0_5tupleIJSF_S6_EEENSO_IJSG_SG_EEES6_PlJS6_EEE10hipError_tPvRmT3_T4_T5_T6_T7_T9_mT8_P12ihipStream_tbDpT10_ENKUlT_T0_E_clISt17integral_constantIbLb0EES1A_IbLb1EEEEDaS16_S17_EUlS16_E_NS1_11comp_targetILNS1_3genE5ELNS1_11target_archE942ELNS1_3gpuE9ELNS1_3repE0EEENS1_30default_config_static_selectorELNS0_4arch9wavefront6targetE0EEEvT1_.kd
    .uniform_work_group_size: 1
    .uses_dynamic_stack: false
    .vgpr_count:     0
    .vgpr_spill_count: 0
    .wavefront_size: 32
    .workgroup_processor_mode: 1
  - .args:
      - .offset:         0
        .size:           136
        .value_kind:     by_value
    .group_segment_fixed_size: 0
    .kernarg_segment_align: 8
    .kernarg_segment_size: 136
    .language:       OpenCL C
    .language_version:
      - 2
      - 0
    .max_flat_workgroup_size: 256
    .name:           _ZN7rocprim17ROCPRIM_400000_NS6detail17trampoline_kernelINS0_14default_configENS1_25partition_config_selectorILNS1_17partition_subalgoE5EsNS0_10empty_typeEbEEZZNS1_14partition_implILS5_5ELb0ES3_mN6thrust23THRUST_200600_302600_NS6detail15normal_iteratorINSA_10device_ptrIsEEEEPS6_NSA_18transform_iteratorINSB_9not_fun_tI7is_trueIsEEESF_NSA_11use_defaultESM_EENS0_5tupleIJSF_S6_EEENSO_IJSG_SG_EEES6_PlJS6_EEE10hipError_tPvRmT3_T4_T5_T6_T7_T9_mT8_P12ihipStream_tbDpT10_ENKUlT_T0_E_clISt17integral_constantIbLb0EES1A_IbLb1EEEEDaS16_S17_EUlS16_E_NS1_11comp_targetILNS1_3genE4ELNS1_11target_archE910ELNS1_3gpuE8ELNS1_3repE0EEENS1_30default_config_static_selectorELNS0_4arch9wavefront6targetE0EEEvT1_
    .private_segment_fixed_size: 0
    .sgpr_count:     0
    .sgpr_spill_count: 0
    .symbol:         _ZN7rocprim17ROCPRIM_400000_NS6detail17trampoline_kernelINS0_14default_configENS1_25partition_config_selectorILNS1_17partition_subalgoE5EsNS0_10empty_typeEbEEZZNS1_14partition_implILS5_5ELb0ES3_mN6thrust23THRUST_200600_302600_NS6detail15normal_iteratorINSA_10device_ptrIsEEEEPS6_NSA_18transform_iteratorINSB_9not_fun_tI7is_trueIsEEESF_NSA_11use_defaultESM_EENS0_5tupleIJSF_S6_EEENSO_IJSG_SG_EEES6_PlJS6_EEE10hipError_tPvRmT3_T4_T5_T6_T7_T9_mT8_P12ihipStream_tbDpT10_ENKUlT_T0_E_clISt17integral_constantIbLb0EES1A_IbLb1EEEEDaS16_S17_EUlS16_E_NS1_11comp_targetILNS1_3genE4ELNS1_11target_archE910ELNS1_3gpuE8ELNS1_3repE0EEENS1_30default_config_static_selectorELNS0_4arch9wavefront6targetE0EEEvT1_.kd
    .uniform_work_group_size: 1
    .uses_dynamic_stack: false
    .vgpr_count:     0
    .vgpr_spill_count: 0
    .wavefront_size: 32
    .workgroup_processor_mode: 1
  - .args:
      - .offset:         0
        .size:           136
        .value_kind:     by_value
    .group_segment_fixed_size: 0
    .kernarg_segment_align: 8
    .kernarg_segment_size: 136
    .language:       OpenCL C
    .language_version:
      - 2
      - 0
    .max_flat_workgroup_size: 256
    .name:           _ZN7rocprim17ROCPRIM_400000_NS6detail17trampoline_kernelINS0_14default_configENS1_25partition_config_selectorILNS1_17partition_subalgoE5EsNS0_10empty_typeEbEEZZNS1_14partition_implILS5_5ELb0ES3_mN6thrust23THRUST_200600_302600_NS6detail15normal_iteratorINSA_10device_ptrIsEEEEPS6_NSA_18transform_iteratorINSB_9not_fun_tI7is_trueIsEEESF_NSA_11use_defaultESM_EENS0_5tupleIJSF_S6_EEENSO_IJSG_SG_EEES6_PlJS6_EEE10hipError_tPvRmT3_T4_T5_T6_T7_T9_mT8_P12ihipStream_tbDpT10_ENKUlT_T0_E_clISt17integral_constantIbLb0EES1A_IbLb1EEEEDaS16_S17_EUlS16_E_NS1_11comp_targetILNS1_3genE3ELNS1_11target_archE908ELNS1_3gpuE7ELNS1_3repE0EEENS1_30default_config_static_selectorELNS0_4arch9wavefront6targetE0EEEvT1_
    .private_segment_fixed_size: 0
    .sgpr_count:     0
    .sgpr_spill_count: 0
    .symbol:         _ZN7rocprim17ROCPRIM_400000_NS6detail17trampoline_kernelINS0_14default_configENS1_25partition_config_selectorILNS1_17partition_subalgoE5EsNS0_10empty_typeEbEEZZNS1_14partition_implILS5_5ELb0ES3_mN6thrust23THRUST_200600_302600_NS6detail15normal_iteratorINSA_10device_ptrIsEEEEPS6_NSA_18transform_iteratorINSB_9not_fun_tI7is_trueIsEEESF_NSA_11use_defaultESM_EENS0_5tupleIJSF_S6_EEENSO_IJSG_SG_EEES6_PlJS6_EEE10hipError_tPvRmT3_T4_T5_T6_T7_T9_mT8_P12ihipStream_tbDpT10_ENKUlT_T0_E_clISt17integral_constantIbLb0EES1A_IbLb1EEEEDaS16_S17_EUlS16_E_NS1_11comp_targetILNS1_3genE3ELNS1_11target_archE908ELNS1_3gpuE7ELNS1_3repE0EEENS1_30default_config_static_selectorELNS0_4arch9wavefront6targetE0EEEvT1_.kd
    .uniform_work_group_size: 1
    .uses_dynamic_stack: false
    .vgpr_count:     0
    .vgpr_spill_count: 0
    .wavefront_size: 32
    .workgroup_processor_mode: 1
  - .args:
      - .offset:         0
        .size:           136
        .value_kind:     by_value
    .group_segment_fixed_size: 0
    .kernarg_segment_align: 8
    .kernarg_segment_size: 136
    .language:       OpenCL C
    .language_version:
      - 2
      - 0
    .max_flat_workgroup_size: 256
    .name:           _ZN7rocprim17ROCPRIM_400000_NS6detail17trampoline_kernelINS0_14default_configENS1_25partition_config_selectorILNS1_17partition_subalgoE5EsNS0_10empty_typeEbEEZZNS1_14partition_implILS5_5ELb0ES3_mN6thrust23THRUST_200600_302600_NS6detail15normal_iteratorINSA_10device_ptrIsEEEEPS6_NSA_18transform_iteratorINSB_9not_fun_tI7is_trueIsEEESF_NSA_11use_defaultESM_EENS0_5tupleIJSF_S6_EEENSO_IJSG_SG_EEES6_PlJS6_EEE10hipError_tPvRmT3_T4_T5_T6_T7_T9_mT8_P12ihipStream_tbDpT10_ENKUlT_T0_E_clISt17integral_constantIbLb0EES1A_IbLb1EEEEDaS16_S17_EUlS16_E_NS1_11comp_targetILNS1_3genE2ELNS1_11target_archE906ELNS1_3gpuE6ELNS1_3repE0EEENS1_30default_config_static_selectorELNS0_4arch9wavefront6targetE0EEEvT1_
    .private_segment_fixed_size: 0
    .sgpr_count:     0
    .sgpr_spill_count: 0
    .symbol:         _ZN7rocprim17ROCPRIM_400000_NS6detail17trampoline_kernelINS0_14default_configENS1_25partition_config_selectorILNS1_17partition_subalgoE5EsNS0_10empty_typeEbEEZZNS1_14partition_implILS5_5ELb0ES3_mN6thrust23THRUST_200600_302600_NS6detail15normal_iteratorINSA_10device_ptrIsEEEEPS6_NSA_18transform_iteratorINSB_9not_fun_tI7is_trueIsEEESF_NSA_11use_defaultESM_EENS0_5tupleIJSF_S6_EEENSO_IJSG_SG_EEES6_PlJS6_EEE10hipError_tPvRmT3_T4_T5_T6_T7_T9_mT8_P12ihipStream_tbDpT10_ENKUlT_T0_E_clISt17integral_constantIbLb0EES1A_IbLb1EEEEDaS16_S17_EUlS16_E_NS1_11comp_targetILNS1_3genE2ELNS1_11target_archE906ELNS1_3gpuE6ELNS1_3repE0EEENS1_30default_config_static_selectorELNS0_4arch9wavefront6targetE0EEEvT1_.kd
    .uniform_work_group_size: 1
    .uses_dynamic_stack: false
    .vgpr_count:     0
    .vgpr_spill_count: 0
    .wavefront_size: 32
    .workgroup_processor_mode: 1
  - .args:
      - .offset:         0
        .size:           136
        .value_kind:     by_value
    .group_segment_fixed_size: 6160
    .kernarg_segment_align: 8
    .kernarg_segment_size: 136
    .language:       OpenCL C
    .language_version:
      - 2
      - 0
    .max_flat_workgroup_size: 256
    .name:           _ZN7rocprim17ROCPRIM_400000_NS6detail17trampoline_kernelINS0_14default_configENS1_25partition_config_selectorILNS1_17partition_subalgoE5EsNS0_10empty_typeEbEEZZNS1_14partition_implILS5_5ELb0ES3_mN6thrust23THRUST_200600_302600_NS6detail15normal_iteratorINSA_10device_ptrIsEEEEPS6_NSA_18transform_iteratorINSB_9not_fun_tI7is_trueIsEEESF_NSA_11use_defaultESM_EENS0_5tupleIJSF_S6_EEENSO_IJSG_SG_EEES6_PlJS6_EEE10hipError_tPvRmT3_T4_T5_T6_T7_T9_mT8_P12ihipStream_tbDpT10_ENKUlT_T0_E_clISt17integral_constantIbLb0EES1A_IbLb1EEEEDaS16_S17_EUlS16_E_NS1_11comp_targetILNS1_3genE10ELNS1_11target_archE1200ELNS1_3gpuE4ELNS1_3repE0EEENS1_30default_config_static_selectorELNS0_4arch9wavefront6targetE0EEEvT1_
    .private_segment_fixed_size: 0
    .sgpr_count:     26
    .sgpr_spill_count: 0
    .symbol:         _ZN7rocprim17ROCPRIM_400000_NS6detail17trampoline_kernelINS0_14default_configENS1_25partition_config_selectorILNS1_17partition_subalgoE5EsNS0_10empty_typeEbEEZZNS1_14partition_implILS5_5ELb0ES3_mN6thrust23THRUST_200600_302600_NS6detail15normal_iteratorINSA_10device_ptrIsEEEEPS6_NSA_18transform_iteratorINSB_9not_fun_tI7is_trueIsEEESF_NSA_11use_defaultESM_EENS0_5tupleIJSF_S6_EEENSO_IJSG_SG_EEES6_PlJS6_EEE10hipError_tPvRmT3_T4_T5_T6_T7_T9_mT8_P12ihipStream_tbDpT10_ENKUlT_T0_E_clISt17integral_constantIbLb0EES1A_IbLb1EEEEDaS16_S17_EUlS16_E_NS1_11comp_targetILNS1_3genE10ELNS1_11target_archE1200ELNS1_3gpuE4ELNS1_3repE0EEENS1_30default_config_static_selectorELNS0_4arch9wavefront6targetE0EEEvT1_.kd
    .uniform_work_group_size: 1
    .uses_dynamic_stack: false
    .vgpr_count:     65
    .vgpr_spill_count: 0
    .wavefront_size: 32
    .workgroup_processor_mode: 1
  - .args:
      - .offset:         0
        .size:           136
        .value_kind:     by_value
    .group_segment_fixed_size: 0
    .kernarg_segment_align: 8
    .kernarg_segment_size: 136
    .language:       OpenCL C
    .language_version:
      - 2
      - 0
    .max_flat_workgroup_size: 128
    .name:           _ZN7rocprim17ROCPRIM_400000_NS6detail17trampoline_kernelINS0_14default_configENS1_25partition_config_selectorILNS1_17partition_subalgoE5EsNS0_10empty_typeEbEEZZNS1_14partition_implILS5_5ELb0ES3_mN6thrust23THRUST_200600_302600_NS6detail15normal_iteratorINSA_10device_ptrIsEEEEPS6_NSA_18transform_iteratorINSB_9not_fun_tI7is_trueIsEEESF_NSA_11use_defaultESM_EENS0_5tupleIJSF_S6_EEENSO_IJSG_SG_EEES6_PlJS6_EEE10hipError_tPvRmT3_T4_T5_T6_T7_T9_mT8_P12ihipStream_tbDpT10_ENKUlT_T0_E_clISt17integral_constantIbLb0EES1A_IbLb1EEEEDaS16_S17_EUlS16_E_NS1_11comp_targetILNS1_3genE9ELNS1_11target_archE1100ELNS1_3gpuE3ELNS1_3repE0EEENS1_30default_config_static_selectorELNS0_4arch9wavefront6targetE0EEEvT1_
    .private_segment_fixed_size: 0
    .sgpr_count:     0
    .sgpr_spill_count: 0
    .symbol:         _ZN7rocprim17ROCPRIM_400000_NS6detail17trampoline_kernelINS0_14default_configENS1_25partition_config_selectorILNS1_17partition_subalgoE5EsNS0_10empty_typeEbEEZZNS1_14partition_implILS5_5ELb0ES3_mN6thrust23THRUST_200600_302600_NS6detail15normal_iteratorINSA_10device_ptrIsEEEEPS6_NSA_18transform_iteratorINSB_9not_fun_tI7is_trueIsEEESF_NSA_11use_defaultESM_EENS0_5tupleIJSF_S6_EEENSO_IJSG_SG_EEES6_PlJS6_EEE10hipError_tPvRmT3_T4_T5_T6_T7_T9_mT8_P12ihipStream_tbDpT10_ENKUlT_T0_E_clISt17integral_constantIbLb0EES1A_IbLb1EEEEDaS16_S17_EUlS16_E_NS1_11comp_targetILNS1_3genE9ELNS1_11target_archE1100ELNS1_3gpuE3ELNS1_3repE0EEENS1_30default_config_static_selectorELNS0_4arch9wavefront6targetE0EEEvT1_.kd
    .uniform_work_group_size: 1
    .uses_dynamic_stack: false
    .vgpr_count:     0
    .vgpr_spill_count: 0
    .wavefront_size: 32
    .workgroup_processor_mode: 1
  - .args:
      - .offset:         0
        .size:           136
        .value_kind:     by_value
    .group_segment_fixed_size: 0
    .kernarg_segment_align: 8
    .kernarg_segment_size: 136
    .language:       OpenCL C
    .language_version:
      - 2
      - 0
    .max_flat_workgroup_size: 256
    .name:           _ZN7rocprim17ROCPRIM_400000_NS6detail17trampoline_kernelINS0_14default_configENS1_25partition_config_selectorILNS1_17partition_subalgoE5EsNS0_10empty_typeEbEEZZNS1_14partition_implILS5_5ELb0ES3_mN6thrust23THRUST_200600_302600_NS6detail15normal_iteratorINSA_10device_ptrIsEEEEPS6_NSA_18transform_iteratorINSB_9not_fun_tI7is_trueIsEEESF_NSA_11use_defaultESM_EENS0_5tupleIJSF_S6_EEENSO_IJSG_SG_EEES6_PlJS6_EEE10hipError_tPvRmT3_T4_T5_T6_T7_T9_mT8_P12ihipStream_tbDpT10_ENKUlT_T0_E_clISt17integral_constantIbLb0EES1A_IbLb1EEEEDaS16_S17_EUlS16_E_NS1_11comp_targetILNS1_3genE8ELNS1_11target_archE1030ELNS1_3gpuE2ELNS1_3repE0EEENS1_30default_config_static_selectorELNS0_4arch9wavefront6targetE0EEEvT1_
    .private_segment_fixed_size: 0
    .sgpr_count:     0
    .sgpr_spill_count: 0
    .symbol:         _ZN7rocprim17ROCPRIM_400000_NS6detail17trampoline_kernelINS0_14default_configENS1_25partition_config_selectorILNS1_17partition_subalgoE5EsNS0_10empty_typeEbEEZZNS1_14partition_implILS5_5ELb0ES3_mN6thrust23THRUST_200600_302600_NS6detail15normal_iteratorINSA_10device_ptrIsEEEEPS6_NSA_18transform_iteratorINSB_9not_fun_tI7is_trueIsEEESF_NSA_11use_defaultESM_EENS0_5tupleIJSF_S6_EEENSO_IJSG_SG_EEES6_PlJS6_EEE10hipError_tPvRmT3_T4_T5_T6_T7_T9_mT8_P12ihipStream_tbDpT10_ENKUlT_T0_E_clISt17integral_constantIbLb0EES1A_IbLb1EEEEDaS16_S17_EUlS16_E_NS1_11comp_targetILNS1_3genE8ELNS1_11target_archE1030ELNS1_3gpuE2ELNS1_3repE0EEENS1_30default_config_static_selectorELNS0_4arch9wavefront6targetE0EEEvT1_.kd
    .uniform_work_group_size: 1
    .uses_dynamic_stack: false
    .vgpr_count:     0
    .vgpr_spill_count: 0
    .wavefront_size: 32
    .workgroup_processor_mode: 1
  - .args:
      - .offset:         0
        .size:           128
        .value_kind:     by_value
    .group_segment_fixed_size: 0
    .kernarg_segment_align: 8
    .kernarg_segment_size: 128
    .language:       OpenCL C
    .language_version:
      - 2
      - 0
    .max_flat_workgroup_size: 128
    .name:           _ZN7rocprim17ROCPRIM_400000_NS6detail17trampoline_kernelINS0_14default_configENS1_25partition_config_selectorILNS1_17partition_subalgoE6EdNS0_10empty_typeEbEEZZNS1_14partition_implILS5_6ELb0ES3_mN6thrust23THRUST_200600_302600_NS6detail15normal_iteratorINSA_10device_ptrIdEEEEPS6_SG_NS0_5tupleIJNSA_16discard_iteratorINSA_11use_defaultEEES6_EEENSH_IJSG_SG_EEES6_PlJNSB_9not_fun_tINSB_14equal_to_valueIdEEEEEEE10hipError_tPvRmT3_T4_T5_T6_T7_T9_mT8_P12ihipStream_tbDpT10_ENKUlT_T0_E_clISt17integral_constantIbLb0EES1B_EEDaS16_S17_EUlS16_E_NS1_11comp_targetILNS1_3genE0ELNS1_11target_archE4294967295ELNS1_3gpuE0ELNS1_3repE0EEENS1_30default_config_static_selectorELNS0_4arch9wavefront6targetE0EEEvT1_
    .private_segment_fixed_size: 0
    .sgpr_count:     0
    .sgpr_spill_count: 0
    .symbol:         _ZN7rocprim17ROCPRIM_400000_NS6detail17trampoline_kernelINS0_14default_configENS1_25partition_config_selectorILNS1_17partition_subalgoE6EdNS0_10empty_typeEbEEZZNS1_14partition_implILS5_6ELb0ES3_mN6thrust23THRUST_200600_302600_NS6detail15normal_iteratorINSA_10device_ptrIdEEEEPS6_SG_NS0_5tupleIJNSA_16discard_iteratorINSA_11use_defaultEEES6_EEENSH_IJSG_SG_EEES6_PlJNSB_9not_fun_tINSB_14equal_to_valueIdEEEEEEE10hipError_tPvRmT3_T4_T5_T6_T7_T9_mT8_P12ihipStream_tbDpT10_ENKUlT_T0_E_clISt17integral_constantIbLb0EES1B_EEDaS16_S17_EUlS16_E_NS1_11comp_targetILNS1_3genE0ELNS1_11target_archE4294967295ELNS1_3gpuE0ELNS1_3repE0EEENS1_30default_config_static_selectorELNS0_4arch9wavefront6targetE0EEEvT1_.kd
    .uniform_work_group_size: 1
    .uses_dynamic_stack: false
    .vgpr_count:     0
    .vgpr_spill_count: 0
    .wavefront_size: 32
    .workgroup_processor_mode: 1
  - .args:
      - .offset:         0
        .size:           128
        .value_kind:     by_value
    .group_segment_fixed_size: 0
    .kernarg_segment_align: 8
    .kernarg_segment_size: 128
    .language:       OpenCL C
    .language_version:
      - 2
      - 0
    .max_flat_workgroup_size: 512
    .name:           _ZN7rocprim17ROCPRIM_400000_NS6detail17trampoline_kernelINS0_14default_configENS1_25partition_config_selectorILNS1_17partition_subalgoE6EdNS0_10empty_typeEbEEZZNS1_14partition_implILS5_6ELb0ES3_mN6thrust23THRUST_200600_302600_NS6detail15normal_iteratorINSA_10device_ptrIdEEEEPS6_SG_NS0_5tupleIJNSA_16discard_iteratorINSA_11use_defaultEEES6_EEENSH_IJSG_SG_EEES6_PlJNSB_9not_fun_tINSB_14equal_to_valueIdEEEEEEE10hipError_tPvRmT3_T4_T5_T6_T7_T9_mT8_P12ihipStream_tbDpT10_ENKUlT_T0_E_clISt17integral_constantIbLb0EES1B_EEDaS16_S17_EUlS16_E_NS1_11comp_targetILNS1_3genE5ELNS1_11target_archE942ELNS1_3gpuE9ELNS1_3repE0EEENS1_30default_config_static_selectorELNS0_4arch9wavefront6targetE0EEEvT1_
    .private_segment_fixed_size: 0
    .sgpr_count:     0
    .sgpr_spill_count: 0
    .symbol:         _ZN7rocprim17ROCPRIM_400000_NS6detail17trampoline_kernelINS0_14default_configENS1_25partition_config_selectorILNS1_17partition_subalgoE6EdNS0_10empty_typeEbEEZZNS1_14partition_implILS5_6ELb0ES3_mN6thrust23THRUST_200600_302600_NS6detail15normal_iteratorINSA_10device_ptrIdEEEEPS6_SG_NS0_5tupleIJNSA_16discard_iteratorINSA_11use_defaultEEES6_EEENSH_IJSG_SG_EEES6_PlJNSB_9not_fun_tINSB_14equal_to_valueIdEEEEEEE10hipError_tPvRmT3_T4_T5_T6_T7_T9_mT8_P12ihipStream_tbDpT10_ENKUlT_T0_E_clISt17integral_constantIbLb0EES1B_EEDaS16_S17_EUlS16_E_NS1_11comp_targetILNS1_3genE5ELNS1_11target_archE942ELNS1_3gpuE9ELNS1_3repE0EEENS1_30default_config_static_selectorELNS0_4arch9wavefront6targetE0EEEvT1_.kd
    .uniform_work_group_size: 1
    .uses_dynamic_stack: false
    .vgpr_count:     0
    .vgpr_spill_count: 0
    .wavefront_size: 32
    .workgroup_processor_mode: 1
  - .args:
      - .offset:         0
        .size:           128
        .value_kind:     by_value
    .group_segment_fixed_size: 0
    .kernarg_segment_align: 8
    .kernarg_segment_size: 128
    .language:       OpenCL C
    .language_version:
      - 2
      - 0
    .max_flat_workgroup_size: 128
    .name:           _ZN7rocprim17ROCPRIM_400000_NS6detail17trampoline_kernelINS0_14default_configENS1_25partition_config_selectorILNS1_17partition_subalgoE6EdNS0_10empty_typeEbEEZZNS1_14partition_implILS5_6ELb0ES3_mN6thrust23THRUST_200600_302600_NS6detail15normal_iteratorINSA_10device_ptrIdEEEEPS6_SG_NS0_5tupleIJNSA_16discard_iteratorINSA_11use_defaultEEES6_EEENSH_IJSG_SG_EEES6_PlJNSB_9not_fun_tINSB_14equal_to_valueIdEEEEEEE10hipError_tPvRmT3_T4_T5_T6_T7_T9_mT8_P12ihipStream_tbDpT10_ENKUlT_T0_E_clISt17integral_constantIbLb0EES1B_EEDaS16_S17_EUlS16_E_NS1_11comp_targetILNS1_3genE4ELNS1_11target_archE910ELNS1_3gpuE8ELNS1_3repE0EEENS1_30default_config_static_selectorELNS0_4arch9wavefront6targetE0EEEvT1_
    .private_segment_fixed_size: 0
    .sgpr_count:     0
    .sgpr_spill_count: 0
    .symbol:         _ZN7rocprim17ROCPRIM_400000_NS6detail17trampoline_kernelINS0_14default_configENS1_25partition_config_selectorILNS1_17partition_subalgoE6EdNS0_10empty_typeEbEEZZNS1_14partition_implILS5_6ELb0ES3_mN6thrust23THRUST_200600_302600_NS6detail15normal_iteratorINSA_10device_ptrIdEEEEPS6_SG_NS0_5tupleIJNSA_16discard_iteratorINSA_11use_defaultEEES6_EEENSH_IJSG_SG_EEES6_PlJNSB_9not_fun_tINSB_14equal_to_valueIdEEEEEEE10hipError_tPvRmT3_T4_T5_T6_T7_T9_mT8_P12ihipStream_tbDpT10_ENKUlT_T0_E_clISt17integral_constantIbLb0EES1B_EEDaS16_S17_EUlS16_E_NS1_11comp_targetILNS1_3genE4ELNS1_11target_archE910ELNS1_3gpuE8ELNS1_3repE0EEENS1_30default_config_static_selectorELNS0_4arch9wavefront6targetE0EEEvT1_.kd
    .uniform_work_group_size: 1
    .uses_dynamic_stack: false
    .vgpr_count:     0
    .vgpr_spill_count: 0
    .wavefront_size: 32
    .workgroup_processor_mode: 1
  - .args:
      - .offset:         0
        .size:           128
        .value_kind:     by_value
    .group_segment_fixed_size: 0
    .kernarg_segment_align: 8
    .kernarg_segment_size: 128
    .language:       OpenCL C
    .language_version:
      - 2
      - 0
    .max_flat_workgroup_size: 128
    .name:           _ZN7rocprim17ROCPRIM_400000_NS6detail17trampoline_kernelINS0_14default_configENS1_25partition_config_selectorILNS1_17partition_subalgoE6EdNS0_10empty_typeEbEEZZNS1_14partition_implILS5_6ELb0ES3_mN6thrust23THRUST_200600_302600_NS6detail15normal_iteratorINSA_10device_ptrIdEEEEPS6_SG_NS0_5tupleIJNSA_16discard_iteratorINSA_11use_defaultEEES6_EEENSH_IJSG_SG_EEES6_PlJNSB_9not_fun_tINSB_14equal_to_valueIdEEEEEEE10hipError_tPvRmT3_T4_T5_T6_T7_T9_mT8_P12ihipStream_tbDpT10_ENKUlT_T0_E_clISt17integral_constantIbLb0EES1B_EEDaS16_S17_EUlS16_E_NS1_11comp_targetILNS1_3genE3ELNS1_11target_archE908ELNS1_3gpuE7ELNS1_3repE0EEENS1_30default_config_static_selectorELNS0_4arch9wavefront6targetE0EEEvT1_
    .private_segment_fixed_size: 0
    .sgpr_count:     0
    .sgpr_spill_count: 0
    .symbol:         _ZN7rocprim17ROCPRIM_400000_NS6detail17trampoline_kernelINS0_14default_configENS1_25partition_config_selectorILNS1_17partition_subalgoE6EdNS0_10empty_typeEbEEZZNS1_14partition_implILS5_6ELb0ES3_mN6thrust23THRUST_200600_302600_NS6detail15normal_iteratorINSA_10device_ptrIdEEEEPS6_SG_NS0_5tupleIJNSA_16discard_iteratorINSA_11use_defaultEEES6_EEENSH_IJSG_SG_EEES6_PlJNSB_9not_fun_tINSB_14equal_to_valueIdEEEEEEE10hipError_tPvRmT3_T4_T5_T6_T7_T9_mT8_P12ihipStream_tbDpT10_ENKUlT_T0_E_clISt17integral_constantIbLb0EES1B_EEDaS16_S17_EUlS16_E_NS1_11comp_targetILNS1_3genE3ELNS1_11target_archE908ELNS1_3gpuE7ELNS1_3repE0EEENS1_30default_config_static_selectorELNS0_4arch9wavefront6targetE0EEEvT1_.kd
    .uniform_work_group_size: 1
    .uses_dynamic_stack: false
    .vgpr_count:     0
    .vgpr_spill_count: 0
    .wavefront_size: 32
    .workgroup_processor_mode: 1
  - .args:
      - .offset:         0
        .size:           128
        .value_kind:     by_value
    .group_segment_fixed_size: 0
    .kernarg_segment_align: 8
    .kernarg_segment_size: 128
    .language:       OpenCL C
    .language_version:
      - 2
      - 0
    .max_flat_workgroup_size: 256
    .name:           _ZN7rocprim17ROCPRIM_400000_NS6detail17trampoline_kernelINS0_14default_configENS1_25partition_config_selectorILNS1_17partition_subalgoE6EdNS0_10empty_typeEbEEZZNS1_14partition_implILS5_6ELb0ES3_mN6thrust23THRUST_200600_302600_NS6detail15normal_iteratorINSA_10device_ptrIdEEEEPS6_SG_NS0_5tupleIJNSA_16discard_iteratorINSA_11use_defaultEEES6_EEENSH_IJSG_SG_EEES6_PlJNSB_9not_fun_tINSB_14equal_to_valueIdEEEEEEE10hipError_tPvRmT3_T4_T5_T6_T7_T9_mT8_P12ihipStream_tbDpT10_ENKUlT_T0_E_clISt17integral_constantIbLb0EES1B_EEDaS16_S17_EUlS16_E_NS1_11comp_targetILNS1_3genE2ELNS1_11target_archE906ELNS1_3gpuE6ELNS1_3repE0EEENS1_30default_config_static_selectorELNS0_4arch9wavefront6targetE0EEEvT1_
    .private_segment_fixed_size: 0
    .sgpr_count:     0
    .sgpr_spill_count: 0
    .symbol:         _ZN7rocprim17ROCPRIM_400000_NS6detail17trampoline_kernelINS0_14default_configENS1_25partition_config_selectorILNS1_17partition_subalgoE6EdNS0_10empty_typeEbEEZZNS1_14partition_implILS5_6ELb0ES3_mN6thrust23THRUST_200600_302600_NS6detail15normal_iteratorINSA_10device_ptrIdEEEEPS6_SG_NS0_5tupleIJNSA_16discard_iteratorINSA_11use_defaultEEES6_EEENSH_IJSG_SG_EEES6_PlJNSB_9not_fun_tINSB_14equal_to_valueIdEEEEEEE10hipError_tPvRmT3_T4_T5_T6_T7_T9_mT8_P12ihipStream_tbDpT10_ENKUlT_T0_E_clISt17integral_constantIbLb0EES1B_EEDaS16_S17_EUlS16_E_NS1_11comp_targetILNS1_3genE2ELNS1_11target_archE906ELNS1_3gpuE6ELNS1_3repE0EEENS1_30default_config_static_selectorELNS0_4arch9wavefront6targetE0EEEvT1_.kd
    .uniform_work_group_size: 1
    .uses_dynamic_stack: false
    .vgpr_count:     0
    .vgpr_spill_count: 0
    .wavefront_size: 32
    .workgroup_processor_mode: 1
  - .args:
      - .offset:         0
        .size:           128
        .value_kind:     by_value
    .group_segment_fixed_size: 8464
    .kernarg_segment_align: 8
    .kernarg_segment_size: 128
    .language:       OpenCL C
    .language_version:
      - 2
      - 0
    .max_flat_workgroup_size: 256
    .name:           _ZN7rocprim17ROCPRIM_400000_NS6detail17trampoline_kernelINS0_14default_configENS1_25partition_config_selectorILNS1_17partition_subalgoE6EdNS0_10empty_typeEbEEZZNS1_14partition_implILS5_6ELb0ES3_mN6thrust23THRUST_200600_302600_NS6detail15normal_iteratorINSA_10device_ptrIdEEEEPS6_SG_NS0_5tupleIJNSA_16discard_iteratorINSA_11use_defaultEEES6_EEENSH_IJSG_SG_EEES6_PlJNSB_9not_fun_tINSB_14equal_to_valueIdEEEEEEE10hipError_tPvRmT3_T4_T5_T6_T7_T9_mT8_P12ihipStream_tbDpT10_ENKUlT_T0_E_clISt17integral_constantIbLb0EES1B_EEDaS16_S17_EUlS16_E_NS1_11comp_targetILNS1_3genE10ELNS1_11target_archE1200ELNS1_3gpuE4ELNS1_3repE0EEENS1_30default_config_static_selectorELNS0_4arch9wavefront6targetE0EEEvT1_
    .private_segment_fixed_size: 0
    .sgpr_count:     23
    .sgpr_spill_count: 0
    .symbol:         _ZN7rocprim17ROCPRIM_400000_NS6detail17trampoline_kernelINS0_14default_configENS1_25partition_config_selectorILNS1_17partition_subalgoE6EdNS0_10empty_typeEbEEZZNS1_14partition_implILS5_6ELb0ES3_mN6thrust23THRUST_200600_302600_NS6detail15normal_iteratorINSA_10device_ptrIdEEEEPS6_SG_NS0_5tupleIJNSA_16discard_iteratorINSA_11use_defaultEEES6_EEENSH_IJSG_SG_EEES6_PlJNSB_9not_fun_tINSB_14equal_to_valueIdEEEEEEE10hipError_tPvRmT3_T4_T5_T6_T7_T9_mT8_P12ihipStream_tbDpT10_ENKUlT_T0_E_clISt17integral_constantIbLb0EES1B_EEDaS16_S17_EUlS16_E_NS1_11comp_targetILNS1_3genE10ELNS1_11target_archE1200ELNS1_3gpuE4ELNS1_3repE0EEENS1_30default_config_static_selectorELNS0_4arch9wavefront6targetE0EEEvT1_.kd
    .uniform_work_group_size: 1
    .uses_dynamic_stack: false
    .vgpr_count:     45
    .vgpr_spill_count: 0
    .wavefront_size: 32
    .workgroup_processor_mode: 1
  - .args:
      - .offset:         0
        .size:           128
        .value_kind:     by_value
    .group_segment_fixed_size: 0
    .kernarg_segment_align: 8
    .kernarg_segment_size: 128
    .language:       OpenCL C
    .language_version:
      - 2
      - 0
    .max_flat_workgroup_size: 384
    .name:           _ZN7rocprim17ROCPRIM_400000_NS6detail17trampoline_kernelINS0_14default_configENS1_25partition_config_selectorILNS1_17partition_subalgoE6EdNS0_10empty_typeEbEEZZNS1_14partition_implILS5_6ELb0ES3_mN6thrust23THRUST_200600_302600_NS6detail15normal_iteratorINSA_10device_ptrIdEEEEPS6_SG_NS0_5tupleIJNSA_16discard_iteratorINSA_11use_defaultEEES6_EEENSH_IJSG_SG_EEES6_PlJNSB_9not_fun_tINSB_14equal_to_valueIdEEEEEEE10hipError_tPvRmT3_T4_T5_T6_T7_T9_mT8_P12ihipStream_tbDpT10_ENKUlT_T0_E_clISt17integral_constantIbLb0EES1B_EEDaS16_S17_EUlS16_E_NS1_11comp_targetILNS1_3genE9ELNS1_11target_archE1100ELNS1_3gpuE3ELNS1_3repE0EEENS1_30default_config_static_selectorELNS0_4arch9wavefront6targetE0EEEvT1_
    .private_segment_fixed_size: 0
    .sgpr_count:     0
    .sgpr_spill_count: 0
    .symbol:         _ZN7rocprim17ROCPRIM_400000_NS6detail17trampoline_kernelINS0_14default_configENS1_25partition_config_selectorILNS1_17partition_subalgoE6EdNS0_10empty_typeEbEEZZNS1_14partition_implILS5_6ELb0ES3_mN6thrust23THRUST_200600_302600_NS6detail15normal_iteratorINSA_10device_ptrIdEEEEPS6_SG_NS0_5tupleIJNSA_16discard_iteratorINSA_11use_defaultEEES6_EEENSH_IJSG_SG_EEES6_PlJNSB_9not_fun_tINSB_14equal_to_valueIdEEEEEEE10hipError_tPvRmT3_T4_T5_T6_T7_T9_mT8_P12ihipStream_tbDpT10_ENKUlT_T0_E_clISt17integral_constantIbLb0EES1B_EEDaS16_S17_EUlS16_E_NS1_11comp_targetILNS1_3genE9ELNS1_11target_archE1100ELNS1_3gpuE3ELNS1_3repE0EEENS1_30default_config_static_selectorELNS0_4arch9wavefront6targetE0EEEvT1_.kd
    .uniform_work_group_size: 1
    .uses_dynamic_stack: false
    .vgpr_count:     0
    .vgpr_spill_count: 0
    .wavefront_size: 32
    .workgroup_processor_mode: 1
  - .args:
      - .offset:         0
        .size:           128
        .value_kind:     by_value
    .group_segment_fixed_size: 0
    .kernarg_segment_align: 8
    .kernarg_segment_size: 128
    .language:       OpenCL C
    .language_version:
      - 2
      - 0
    .max_flat_workgroup_size: 512
    .name:           _ZN7rocprim17ROCPRIM_400000_NS6detail17trampoline_kernelINS0_14default_configENS1_25partition_config_selectorILNS1_17partition_subalgoE6EdNS0_10empty_typeEbEEZZNS1_14partition_implILS5_6ELb0ES3_mN6thrust23THRUST_200600_302600_NS6detail15normal_iteratorINSA_10device_ptrIdEEEEPS6_SG_NS0_5tupleIJNSA_16discard_iteratorINSA_11use_defaultEEES6_EEENSH_IJSG_SG_EEES6_PlJNSB_9not_fun_tINSB_14equal_to_valueIdEEEEEEE10hipError_tPvRmT3_T4_T5_T6_T7_T9_mT8_P12ihipStream_tbDpT10_ENKUlT_T0_E_clISt17integral_constantIbLb0EES1B_EEDaS16_S17_EUlS16_E_NS1_11comp_targetILNS1_3genE8ELNS1_11target_archE1030ELNS1_3gpuE2ELNS1_3repE0EEENS1_30default_config_static_selectorELNS0_4arch9wavefront6targetE0EEEvT1_
    .private_segment_fixed_size: 0
    .sgpr_count:     0
    .sgpr_spill_count: 0
    .symbol:         _ZN7rocprim17ROCPRIM_400000_NS6detail17trampoline_kernelINS0_14default_configENS1_25partition_config_selectorILNS1_17partition_subalgoE6EdNS0_10empty_typeEbEEZZNS1_14partition_implILS5_6ELb0ES3_mN6thrust23THRUST_200600_302600_NS6detail15normal_iteratorINSA_10device_ptrIdEEEEPS6_SG_NS0_5tupleIJNSA_16discard_iteratorINSA_11use_defaultEEES6_EEENSH_IJSG_SG_EEES6_PlJNSB_9not_fun_tINSB_14equal_to_valueIdEEEEEEE10hipError_tPvRmT3_T4_T5_T6_T7_T9_mT8_P12ihipStream_tbDpT10_ENKUlT_T0_E_clISt17integral_constantIbLb0EES1B_EEDaS16_S17_EUlS16_E_NS1_11comp_targetILNS1_3genE8ELNS1_11target_archE1030ELNS1_3gpuE2ELNS1_3repE0EEENS1_30default_config_static_selectorELNS0_4arch9wavefront6targetE0EEEvT1_.kd
    .uniform_work_group_size: 1
    .uses_dynamic_stack: false
    .vgpr_count:     0
    .vgpr_spill_count: 0
    .wavefront_size: 32
    .workgroup_processor_mode: 1
  - .args:
      - .offset:         0
        .size:           136
        .value_kind:     by_value
    .group_segment_fixed_size: 0
    .kernarg_segment_align: 8
    .kernarg_segment_size: 136
    .language:       OpenCL C
    .language_version:
      - 2
      - 0
    .max_flat_workgroup_size: 128
    .name:           _ZN7rocprim17ROCPRIM_400000_NS6detail17trampoline_kernelINS0_14default_configENS1_25partition_config_selectorILNS1_17partition_subalgoE6EdNS0_10empty_typeEbEEZZNS1_14partition_implILS5_6ELb0ES3_mN6thrust23THRUST_200600_302600_NS6detail15normal_iteratorINSA_10device_ptrIdEEEEPS6_SG_NS0_5tupleIJNSA_16discard_iteratorINSA_11use_defaultEEES6_EEENSH_IJSG_SG_EEES6_PlJNSB_9not_fun_tINSB_14equal_to_valueIdEEEEEEE10hipError_tPvRmT3_T4_T5_T6_T7_T9_mT8_P12ihipStream_tbDpT10_ENKUlT_T0_E_clISt17integral_constantIbLb1EES1B_EEDaS16_S17_EUlS16_E_NS1_11comp_targetILNS1_3genE0ELNS1_11target_archE4294967295ELNS1_3gpuE0ELNS1_3repE0EEENS1_30default_config_static_selectorELNS0_4arch9wavefront6targetE0EEEvT1_
    .private_segment_fixed_size: 0
    .sgpr_count:     0
    .sgpr_spill_count: 0
    .symbol:         _ZN7rocprim17ROCPRIM_400000_NS6detail17trampoline_kernelINS0_14default_configENS1_25partition_config_selectorILNS1_17partition_subalgoE6EdNS0_10empty_typeEbEEZZNS1_14partition_implILS5_6ELb0ES3_mN6thrust23THRUST_200600_302600_NS6detail15normal_iteratorINSA_10device_ptrIdEEEEPS6_SG_NS0_5tupleIJNSA_16discard_iteratorINSA_11use_defaultEEES6_EEENSH_IJSG_SG_EEES6_PlJNSB_9not_fun_tINSB_14equal_to_valueIdEEEEEEE10hipError_tPvRmT3_T4_T5_T6_T7_T9_mT8_P12ihipStream_tbDpT10_ENKUlT_T0_E_clISt17integral_constantIbLb1EES1B_EEDaS16_S17_EUlS16_E_NS1_11comp_targetILNS1_3genE0ELNS1_11target_archE4294967295ELNS1_3gpuE0ELNS1_3repE0EEENS1_30default_config_static_selectorELNS0_4arch9wavefront6targetE0EEEvT1_.kd
    .uniform_work_group_size: 1
    .uses_dynamic_stack: false
    .vgpr_count:     0
    .vgpr_spill_count: 0
    .wavefront_size: 32
    .workgroup_processor_mode: 1
  - .args:
      - .offset:         0
        .size:           136
        .value_kind:     by_value
    .group_segment_fixed_size: 0
    .kernarg_segment_align: 8
    .kernarg_segment_size: 136
    .language:       OpenCL C
    .language_version:
      - 2
      - 0
    .max_flat_workgroup_size: 512
    .name:           _ZN7rocprim17ROCPRIM_400000_NS6detail17trampoline_kernelINS0_14default_configENS1_25partition_config_selectorILNS1_17partition_subalgoE6EdNS0_10empty_typeEbEEZZNS1_14partition_implILS5_6ELb0ES3_mN6thrust23THRUST_200600_302600_NS6detail15normal_iteratorINSA_10device_ptrIdEEEEPS6_SG_NS0_5tupleIJNSA_16discard_iteratorINSA_11use_defaultEEES6_EEENSH_IJSG_SG_EEES6_PlJNSB_9not_fun_tINSB_14equal_to_valueIdEEEEEEE10hipError_tPvRmT3_T4_T5_T6_T7_T9_mT8_P12ihipStream_tbDpT10_ENKUlT_T0_E_clISt17integral_constantIbLb1EES1B_EEDaS16_S17_EUlS16_E_NS1_11comp_targetILNS1_3genE5ELNS1_11target_archE942ELNS1_3gpuE9ELNS1_3repE0EEENS1_30default_config_static_selectorELNS0_4arch9wavefront6targetE0EEEvT1_
    .private_segment_fixed_size: 0
    .sgpr_count:     0
    .sgpr_spill_count: 0
    .symbol:         _ZN7rocprim17ROCPRIM_400000_NS6detail17trampoline_kernelINS0_14default_configENS1_25partition_config_selectorILNS1_17partition_subalgoE6EdNS0_10empty_typeEbEEZZNS1_14partition_implILS5_6ELb0ES3_mN6thrust23THRUST_200600_302600_NS6detail15normal_iteratorINSA_10device_ptrIdEEEEPS6_SG_NS0_5tupleIJNSA_16discard_iteratorINSA_11use_defaultEEES6_EEENSH_IJSG_SG_EEES6_PlJNSB_9not_fun_tINSB_14equal_to_valueIdEEEEEEE10hipError_tPvRmT3_T4_T5_T6_T7_T9_mT8_P12ihipStream_tbDpT10_ENKUlT_T0_E_clISt17integral_constantIbLb1EES1B_EEDaS16_S17_EUlS16_E_NS1_11comp_targetILNS1_3genE5ELNS1_11target_archE942ELNS1_3gpuE9ELNS1_3repE0EEENS1_30default_config_static_selectorELNS0_4arch9wavefront6targetE0EEEvT1_.kd
    .uniform_work_group_size: 1
    .uses_dynamic_stack: false
    .vgpr_count:     0
    .vgpr_spill_count: 0
    .wavefront_size: 32
    .workgroup_processor_mode: 1
  - .args:
      - .offset:         0
        .size:           136
        .value_kind:     by_value
    .group_segment_fixed_size: 0
    .kernarg_segment_align: 8
    .kernarg_segment_size: 136
    .language:       OpenCL C
    .language_version:
      - 2
      - 0
    .max_flat_workgroup_size: 128
    .name:           _ZN7rocprim17ROCPRIM_400000_NS6detail17trampoline_kernelINS0_14default_configENS1_25partition_config_selectorILNS1_17partition_subalgoE6EdNS0_10empty_typeEbEEZZNS1_14partition_implILS5_6ELb0ES3_mN6thrust23THRUST_200600_302600_NS6detail15normal_iteratorINSA_10device_ptrIdEEEEPS6_SG_NS0_5tupleIJNSA_16discard_iteratorINSA_11use_defaultEEES6_EEENSH_IJSG_SG_EEES6_PlJNSB_9not_fun_tINSB_14equal_to_valueIdEEEEEEE10hipError_tPvRmT3_T4_T5_T6_T7_T9_mT8_P12ihipStream_tbDpT10_ENKUlT_T0_E_clISt17integral_constantIbLb1EES1B_EEDaS16_S17_EUlS16_E_NS1_11comp_targetILNS1_3genE4ELNS1_11target_archE910ELNS1_3gpuE8ELNS1_3repE0EEENS1_30default_config_static_selectorELNS0_4arch9wavefront6targetE0EEEvT1_
    .private_segment_fixed_size: 0
    .sgpr_count:     0
    .sgpr_spill_count: 0
    .symbol:         _ZN7rocprim17ROCPRIM_400000_NS6detail17trampoline_kernelINS0_14default_configENS1_25partition_config_selectorILNS1_17partition_subalgoE6EdNS0_10empty_typeEbEEZZNS1_14partition_implILS5_6ELb0ES3_mN6thrust23THRUST_200600_302600_NS6detail15normal_iteratorINSA_10device_ptrIdEEEEPS6_SG_NS0_5tupleIJNSA_16discard_iteratorINSA_11use_defaultEEES6_EEENSH_IJSG_SG_EEES6_PlJNSB_9not_fun_tINSB_14equal_to_valueIdEEEEEEE10hipError_tPvRmT3_T4_T5_T6_T7_T9_mT8_P12ihipStream_tbDpT10_ENKUlT_T0_E_clISt17integral_constantIbLb1EES1B_EEDaS16_S17_EUlS16_E_NS1_11comp_targetILNS1_3genE4ELNS1_11target_archE910ELNS1_3gpuE8ELNS1_3repE0EEENS1_30default_config_static_selectorELNS0_4arch9wavefront6targetE0EEEvT1_.kd
    .uniform_work_group_size: 1
    .uses_dynamic_stack: false
    .vgpr_count:     0
    .vgpr_spill_count: 0
    .wavefront_size: 32
    .workgroup_processor_mode: 1
  - .args:
      - .offset:         0
        .size:           136
        .value_kind:     by_value
    .group_segment_fixed_size: 0
    .kernarg_segment_align: 8
    .kernarg_segment_size: 136
    .language:       OpenCL C
    .language_version:
      - 2
      - 0
    .max_flat_workgroup_size: 128
    .name:           _ZN7rocprim17ROCPRIM_400000_NS6detail17trampoline_kernelINS0_14default_configENS1_25partition_config_selectorILNS1_17partition_subalgoE6EdNS0_10empty_typeEbEEZZNS1_14partition_implILS5_6ELb0ES3_mN6thrust23THRUST_200600_302600_NS6detail15normal_iteratorINSA_10device_ptrIdEEEEPS6_SG_NS0_5tupleIJNSA_16discard_iteratorINSA_11use_defaultEEES6_EEENSH_IJSG_SG_EEES6_PlJNSB_9not_fun_tINSB_14equal_to_valueIdEEEEEEE10hipError_tPvRmT3_T4_T5_T6_T7_T9_mT8_P12ihipStream_tbDpT10_ENKUlT_T0_E_clISt17integral_constantIbLb1EES1B_EEDaS16_S17_EUlS16_E_NS1_11comp_targetILNS1_3genE3ELNS1_11target_archE908ELNS1_3gpuE7ELNS1_3repE0EEENS1_30default_config_static_selectorELNS0_4arch9wavefront6targetE0EEEvT1_
    .private_segment_fixed_size: 0
    .sgpr_count:     0
    .sgpr_spill_count: 0
    .symbol:         _ZN7rocprim17ROCPRIM_400000_NS6detail17trampoline_kernelINS0_14default_configENS1_25partition_config_selectorILNS1_17partition_subalgoE6EdNS0_10empty_typeEbEEZZNS1_14partition_implILS5_6ELb0ES3_mN6thrust23THRUST_200600_302600_NS6detail15normal_iteratorINSA_10device_ptrIdEEEEPS6_SG_NS0_5tupleIJNSA_16discard_iteratorINSA_11use_defaultEEES6_EEENSH_IJSG_SG_EEES6_PlJNSB_9not_fun_tINSB_14equal_to_valueIdEEEEEEE10hipError_tPvRmT3_T4_T5_T6_T7_T9_mT8_P12ihipStream_tbDpT10_ENKUlT_T0_E_clISt17integral_constantIbLb1EES1B_EEDaS16_S17_EUlS16_E_NS1_11comp_targetILNS1_3genE3ELNS1_11target_archE908ELNS1_3gpuE7ELNS1_3repE0EEENS1_30default_config_static_selectorELNS0_4arch9wavefront6targetE0EEEvT1_.kd
    .uniform_work_group_size: 1
    .uses_dynamic_stack: false
    .vgpr_count:     0
    .vgpr_spill_count: 0
    .wavefront_size: 32
    .workgroup_processor_mode: 1
  - .args:
      - .offset:         0
        .size:           136
        .value_kind:     by_value
    .group_segment_fixed_size: 0
    .kernarg_segment_align: 8
    .kernarg_segment_size: 136
    .language:       OpenCL C
    .language_version:
      - 2
      - 0
    .max_flat_workgroup_size: 256
    .name:           _ZN7rocprim17ROCPRIM_400000_NS6detail17trampoline_kernelINS0_14default_configENS1_25partition_config_selectorILNS1_17partition_subalgoE6EdNS0_10empty_typeEbEEZZNS1_14partition_implILS5_6ELb0ES3_mN6thrust23THRUST_200600_302600_NS6detail15normal_iteratorINSA_10device_ptrIdEEEEPS6_SG_NS0_5tupleIJNSA_16discard_iteratorINSA_11use_defaultEEES6_EEENSH_IJSG_SG_EEES6_PlJNSB_9not_fun_tINSB_14equal_to_valueIdEEEEEEE10hipError_tPvRmT3_T4_T5_T6_T7_T9_mT8_P12ihipStream_tbDpT10_ENKUlT_T0_E_clISt17integral_constantIbLb1EES1B_EEDaS16_S17_EUlS16_E_NS1_11comp_targetILNS1_3genE2ELNS1_11target_archE906ELNS1_3gpuE6ELNS1_3repE0EEENS1_30default_config_static_selectorELNS0_4arch9wavefront6targetE0EEEvT1_
    .private_segment_fixed_size: 0
    .sgpr_count:     0
    .sgpr_spill_count: 0
    .symbol:         _ZN7rocprim17ROCPRIM_400000_NS6detail17trampoline_kernelINS0_14default_configENS1_25partition_config_selectorILNS1_17partition_subalgoE6EdNS0_10empty_typeEbEEZZNS1_14partition_implILS5_6ELb0ES3_mN6thrust23THRUST_200600_302600_NS6detail15normal_iteratorINSA_10device_ptrIdEEEEPS6_SG_NS0_5tupleIJNSA_16discard_iteratorINSA_11use_defaultEEES6_EEENSH_IJSG_SG_EEES6_PlJNSB_9not_fun_tINSB_14equal_to_valueIdEEEEEEE10hipError_tPvRmT3_T4_T5_T6_T7_T9_mT8_P12ihipStream_tbDpT10_ENKUlT_T0_E_clISt17integral_constantIbLb1EES1B_EEDaS16_S17_EUlS16_E_NS1_11comp_targetILNS1_3genE2ELNS1_11target_archE906ELNS1_3gpuE6ELNS1_3repE0EEENS1_30default_config_static_selectorELNS0_4arch9wavefront6targetE0EEEvT1_.kd
    .uniform_work_group_size: 1
    .uses_dynamic_stack: false
    .vgpr_count:     0
    .vgpr_spill_count: 0
    .wavefront_size: 32
    .workgroup_processor_mode: 1
  - .args:
      - .offset:         0
        .size:           136
        .value_kind:     by_value
    .group_segment_fixed_size: 0
    .kernarg_segment_align: 8
    .kernarg_segment_size: 136
    .language:       OpenCL C
    .language_version:
      - 2
      - 0
    .max_flat_workgroup_size: 256
    .name:           _ZN7rocprim17ROCPRIM_400000_NS6detail17trampoline_kernelINS0_14default_configENS1_25partition_config_selectorILNS1_17partition_subalgoE6EdNS0_10empty_typeEbEEZZNS1_14partition_implILS5_6ELb0ES3_mN6thrust23THRUST_200600_302600_NS6detail15normal_iteratorINSA_10device_ptrIdEEEEPS6_SG_NS0_5tupleIJNSA_16discard_iteratorINSA_11use_defaultEEES6_EEENSH_IJSG_SG_EEES6_PlJNSB_9not_fun_tINSB_14equal_to_valueIdEEEEEEE10hipError_tPvRmT3_T4_T5_T6_T7_T9_mT8_P12ihipStream_tbDpT10_ENKUlT_T0_E_clISt17integral_constantIbLb1EES1B_EEDaS16_S17_EUlS16_E_NS1_11comp_targetILNS1_3genE10ELNS1_11target_archE1200ELNS1_3gpuE4ELNS1_3repE0EEENS1_30default_config_static_selectorELNS0_4arch9wavefront6targetE0EEEvT1_
    .private_segment_fixed_size: 0
    .sgpr_count:     0
    .sgpr_spill_count: 0
    .symbol:         _ZN7rocprim17ROCPRIM_400000_NS6detail17trampoline_kernelINS0_14default_configENS1_25partition_config_selectorILNS1_17partition_subalgoE6EdNS0_10empty_typeEbEEZZNS1_14partition_implILS5_6ELb0ES3_mN6thrust23THRUST_200600_302600_NS6detail15normal_iteratorINSA_10device_ptrIdEEEEPS6_SG_NS0_5tupleIJNSA_16discard_iteratorINSA_11use_defaultEEES6_EEENSH_IJSG_SG_EEES6_PlJNSB_9not_fun_tINSB_14equal_to_valueIdEEEEEEE10hipError_tPvRmT3_T4_T5_T6_T7_T9_mT8_P12ihipStream_tbDpT10_ENKUlT_T0_E_clISt17integral_constantIbLb1EES1B_EEDaS16_S17_EUlS16_E_NS1_11comp_targetILNS1_3genE10ELNS1_11target_archE1200ELNS1_3gpuE4ELNS1_3repE0EEENS1_30default_config_static_selectorELNS0_4arch9wavefront6targetE0EEEvT1_.kd
    .uniform_work_group_size: 1
    .uses_dynamic_stack: false
    .vgpr_count:     0
    .vgpr_spill_count: 0
    .wavefront_size: 32
    .workgroup_processor_mode: 1
  - .args:
      - .offset:         0
        .size:           136
        .value_kind:     by_value
    .group_segment_fixed_size: 0
    .kernarg_segment_align: 8
    .kernarg_segment_size: 136
    .language:       OpenCL C
    .language_version:
      - 2
      - 0
    .max_flat_workgroup_size: 384
    .name:           _ZN7rocprim17ROCPRIM_400000_NS6detail17trampoline_kernelINS0_14default_configENS1_25partition_config_selectorILNS1_17partition_subalgoE6EdNS0_10empty_typeEbEEZZNS1_14partition_implILS5_6ELb0ES3_mN6thrust23THRUST_200600_302600_NS6detail15normal_iteratorINSA_10device_ptrIdEEEEPS6_SG_NS0_5tupleIJNSA_16discard_iteratorINSA_11use_defaultEEES6_EEENSH_IJSG_SG_EEES6_PlJNSB_9not_fun_tINSB_14equal_to_valueIdEEEEEEE10hipError_tPvRmT3_T4_T5_T6_T7_T9_mT8_P12ihipStream_tbDpT10_ENKUlT_T0_E_clISt17integral_constantIbLb1EES1B_EEDaS16_S17_EUlS16_E_NS1_11comp_targetILNS1_3genE9ELNS1_11target_archE1100ELNS1_3gpuE3ELNS1_3repE0EEENS1_30default_config_static_selectorELNS0_4arch9wavefront6targetE0EEEvT1_
    .private_segment_fixed_size: 0
    .sgpr_count:     0
    .sgpr_spill_count: 0
    .symbol:         _ZN7rocprim17ROCPRIM_400000_NS6detail17trampoline_kernelINS0_14default_configENS1_25partition_config_selectorILNS1_17partition_subalgoE6EdNS0_10empty_typeEbEEZZNS1_14partition_implILS5_6ELb0ES3_mN6thrust23THRUST_200600_302600_NS6detail15normal_iteratorINSA_10device_ptrIdEEEEPS6_SG_NS0_5tupleIJNSA_16discard_iteratorINSA_11use_defaultEEES6_EEENSH_IJSG_SG_EEES6_PlJNSB_9not_fun_tINSB_14equal_to_valueIdEEEEEEE10hipError_tPvRmT3_T4_T5_T6_T7_T9_mT8_P12ihipStream_tbDpT10_ENKUlT_T0_E_clISt17integral_constantIbLb1EES1B_EEDaS16_S17_EUlS16_E_NS1_11comp_targetILNS1_3genE9ELNS1_11target_archE1100ELNS1_3gpuE3ELNS1_3repE0EEENS1_30default_config_static_selectorELNS0_4arch9wavefront6targetE0EEEvT1_.kd
    .uniform_work_group_size: 1
    .uses_dynamic_stack: false
    .vgpr_count:     0
    .vgpr_spill_count: 0
    .wavefront_size: 32
    .workgroup_processor_mode: 1
  - .args:
      - .offset:         0
        .size:           136
        .value_kind:     by_value
    .group_segment_fixed_size: 0
    .kernarg_segment_align: 8
    .kernarg_segment_size: 136
    .language:       OpenCL C
    .language_version:
      - 2
      - 0
    .max_flat_workgroup_size: 512
    .name:           _ZN7rocprim17ROCPRIM_400000_NS6detail17trampoline_kernelINS0_14default_configENS1_25partition_config_selectorILNS1_17partition_subalgoE6EdNS0_10empty_typeEbEEZZNS1_14partition_implILS5_6ELb0ES3_mN6thrust23THRUST_200600_302600_NS6detail15normal_iteratorINSA_10device_ptrIdEEEEPS6_SG_NS0_5tupleIJNSA_16discard_iteratorINSA_11use_defaultEEES6_EEENSH_IJSG_SG_EEES6_PlJNSB_9not_fun_tINSB_14equal_to_valueIdEEEEEEE10hipError_tPvRmT3_T4_T5_T6_T7_T9_mT8_P12ihipStream_tbDpT10_ENKUlT_T0_E_clISt17integral_constantIbLb1EES1B_EEDaS16_S17_EUlS16_E_NS1_11comp_targetILNS1_3genE8ELNS1_11target_archE1030ELNS1_3gpuE2ELNS1_3repE0EEENS1_30default_config_static_selectorELNS0_4arch9wavefront6targetE0EEEvT1_
    .private_segment_fixed_size: 0
    .sgpr_count:     0
    .sgpr_spill_count: 0
    .symbol:         _ZN7rocprim17ROCPRIM_400000_NS6detail17trampoline_kernelINS0_14default_configENS1_25partition_config_selectorILNS1_17partition_subalgoE6EdNS0_10empty_typeEbEEZZNS1_14partition_implILS5_6ELb0ES3_mN6thrust23THRUST_200600_302600_NS6detail15normal_iteratorINSA_10device_ptrIdEEEEPS6_SG_NS0_5tupleIJNSA_16discard_iteratorINSA_11use_defaultEEES6_EEENSH_IJSG_SG_EEES6_PlJNSB_9not_fun_tINSB_14equal_to_valueIdEEEEEEE10hipError_tPvRmT3_T4_T5_T6_T7_T9_mT8_P12ihipStream_tbDpT10_ENKUlT_T0_E_clISt17integral_constantIbLb1EES1B_EEDaS16_S17_EUlS16_E_NS1_11comp_targetILNS1_3genE8ELNS1_11target_archE1030ELNS1_3gpuE2ELNS1_3repE0EEENS1_30default_config_static_selectorELNS0_4arch9wavefront6targetE0EEEvT1_.kd
    .uniform_work_group_size: 1
    .uses_dynamic_stack: false
    .vgpr_count:     0
    .vgpr_spill_count: 0
    .wavefront_size: 32
    .workgroup_processor_mode: 1
  - .args:
      - .offset:         0
        .size:           128
        .value_kind:     by_value
    .group_segment_fixed_size: 0
    .kernarg_segment_align: 8
    .kernarg_segment_size: 128
    .language:       OpenCL C
    .language_version:
      - 2
      - 0
    .max_flat_workgroup_size: 128
    .name:           _ZN7rocprim17ROCPRIM_400000_NS6detail17trampoline_kernelINS0_14default_configENS1_25partition_config_selectorILNS1_17partition_subalgoE6EdNS0_10empty_typeEbEEZZNS1_14partition_implILS5_6ELb0ES3_mN6thrust23THRUST_200600_302600_NS6detail15normal_iteratorINSA_10device_ptrIdEEEEPS6_SG_NS0_5tupleIJNSA_16discard_iteratorINSA_11use_defaultEEES6_EEENSH_IJSG_SG_EEES6_PlJNSB_9not_fun_tINSB_14equal_to_valueIdEEEEEEE10hipError_tPvRmT3_T4_T5_T6_T7_T9_mT8_P12ihipStream_tbDpT10_ENKUlT_T0_E_clISt17integral_constantIbLb1EES1A_IbLb0EEEEDaS16_S17_EUlS16_E_NS1_11comp_targetILNS1_3genE0ELNS1_11target_archE4294967295ELNS1_3gpuE0ELNS1_3repE0EEENS1_30default_config_static_selectorELNS0_4arch9wavefront6targetE0EEEvT1_
    .private_segment_fixed_size: 0
    .sgpr_count:     0
    .sgpr_spill_count: 0
    .symbol:         _ZN7rocprim17ROCPRIM_400000_NS6detail17trampoline_kernelINS0_14default_configENS1_25partition_config_selectorILNS1_17partition_subalgoE6EdNS0_10empty_typeEbEEZZNS1_14partition_implILS5_6ELb0ES3_mN6thrust23THRUST_200600_302600_NS6detail15normal_iteratorINSA_10device_ptrIdEEEEPS6_SG_NS0_5tupleIJNSA_16discard_iteratorINSA_11use_defaultEEES6_EEENSH_IJSG_SG_EEES6_PlJNSB_9not_fun_tINSB_14equal_to_valueIdEEEEEEE10hipError_tPvRmT3_T4_T5_T6_T7_T9_mT8_P12ihipStream_tbDpT10_ENKUlT_T0_E_clISt17integral_constantIbLb1EES1A_IbLb0EEEEDaS16_S17_EUlS16_E_NS1_11comp_targetILNS1_3genE0ELNS1_11target_archE4294967295ELNS1_3gpuE0ELNS1_3repE0EEENS1_30default_config_static_selectorELNS0_4arch9wavefront6targetE0EEEvT1_.kd
    .uniform_work_group_size: 1
    .uses_dynamic_stack: false
    .vgpr_count:     0
    .vgpr_spill_count: 0
    .wavefront_size: 32
    .workgroup_processor_mode: 1
  - .args:
      - .offset:         0
        .size:           128
        .value_kind:     by_value
    .group_segment_fixed_size: 0
    .kernarg_segment_align: 8
    .kernarg_segment_size: 128
    .language:       OpenCL C
    .language_version:
      - 2
      - 0
    .max_flat_workgroup_size: 512
    .name:           _ZN7rocprim17ROCPRIM_400000_NS6detail17trampoline_kernelINS0_14default_configENS1_25partition_config_selectorILNS1_17partition_subalgoE6EdNS0_10empty_typeEbEEZZNS1_14partition_implILS5_6ELb0ES3_mN6thrust23THRUST_200600_302600_NS6detail15normal_iteratorINSA_10device_ptrIdEEEEPS6_SG_NS0_5tupleIJNSA_16discard_iteratorINSA_11use_defaultEEES6_EEENSH_IJSG_SG_EEES6_PlJNSB_9not_fun_tINSB_14equal_to_valueIdEEEEEEE10hipError_tPvRmT3_T4_T5_T6_T7_T9_mT8_P12ihipStream_tbDpT10_ENKUlT_T0_E_clISt17integral_constantIbLb1EES1A_IbLb0EEEEDaS16_S17_EUlS16_E_NS1_11comp_targetILNS1_3genE5ELNS1_11target_archE942ELNS1_3gpuE9ELNS1_3repE0EEENS1_30default_config_static_selectorELNS0_4arch9wavefront6targetE0EEEvT1_
    .private_segment_fixed_size: 0
    .sgpr_count:     0
    .sgpr_spill_count: 0
    .symbol:         _ZN7rocprim17ROCPRIM_400000_NS6detail17trampoline_kernelINS0_14default_configENS1_25partition_config_selectorILNS1_17partition_subalgoE6EdNS0_10empty_typeEbEEZZNS1_14partition_implILS5_6ELb0ES3_mN6thrust23THRUST_200600_302600_NS6detail15normal_iteratorINSA_10device_ptrIdEEEEPS6_SG_NS0_5tupleIJNSA_16discard_iteratorINSA_11use_defaultEEES6_EEENSH_IJSG_SG_EEES6_PlJNSB_9not_fun_tINSB_14equal_to_valueIdEEEEEEE10hipError_tPvRmT3_T4_T5_T6_T7_T9_mT8_P12ihipStream_tbDpT10_ENKUlT_T0_E_clISt17integral_constantIbLb1EES1A_IbLb0EEEEDaS16_S17_EUlS16_E_NS1_11comp_targetILNS1_3genE5ELNS1_11target_archE942ELNS1_3gpuE9ELNS1_3repE0EEENS1_30default_config_static_selectorELNS0_4arch9wavefront6targetE0EEEvT1_.kd
    .uniform_work_group_size: 1
    .uses_dynamic_stack: false
    .vgpr_count:     0
    .vgpr_spill_count: 0
    .wavefront_size: 32
    .workgroup_processor_mode: 1
  - .args:
      - .offset:         0
        .size:           128
        .value_kind:     by_value
    .group_segment_fixed_size: 0
    .kernarg_segment_align: 8
    .kernarg_segment_size: 128
    .language:       OpenCL C
    .language_version:
      - 2
      - 0
    .max_flat_workgroup_size: 128
    .name:           _ZN7rocprim17ROCPRIM_400000_NS6detail17trampoline_kernelINS0_14default_configENS1_25partition_config_selectorILNS1_17partition_subalgoE6EdNS0_10empty_typeEbEEZZNS1_14partition_implILS5_6ELb0ES3_mN6thrust23THRUST_200600_302600_NS6detail15normal_iteratorINSA_10device_ptrIdEEEEPS6_SG_NS0_5tupleIJNSA_16discard_iteratorINSA_11use_defaultEEES6_EEENSH_IJSG_SG_EEES6_PlJNSB_9not_fun_tINSB_14equal_to_valueIdEEEEEEE10hipError_tPvRmT3_T4_T5_T6_T7_T9_mT8_P12ihipStream_tbDpT10_ENKUlT_T0_E_clISt17integral_constantIbLb1EES1A_IbLb0EEEEDaS16_S17_EUlS16_E_NS1_11comp_targetILNS1_3genE4ELNS1_11target_archE910ELNS1_3gpuE8ELNS1_3repE0EEENS1_30default_config_static_selectorELNS0_4arch9wavefront6targetE0EEEvT1_
    .private_segment_fixed_size: 0
    .sgpr_count:     0
    .sgpr_spill_count: 0
    .symbol:         _ZN7rocprim17ROCPRIM_400000_NS6detail17trampoline_kernelINS0_14default_configENS1_25partition_config_selectorILNS1_17partition_subalgoE6EdNS0_10empty_typeEbEEZZNS1_14partition_implILS5_6ELb0ES3_mN6thrust23THRUST_200600_302600_NS6detail15normal_iteratorINSA_10device_ptrIdEEEEPS6_SG_NS0_5tupleIJNSA_16discard_iteratorINSA_11use_defaultEEES6_EEENSH_IJSG_SG_EEES6_PlJNSB_9not_fun_tINSB_14equal_to_valueIdEEEEEEE10hipError_tPvRmT3_T4_T5_T6_T7_T9_mT8_P12ihipStream_tbDpT10_ENKUlT_T0_E_clISt17integral_constantIbLb1EES1A_IbLb0EEEEDaS16_S17_EUlS16_E_NS1_11comp_targetILNS1_3genE4ELNS1_11target_archE910ELNS1_3gpuE8ELNS1_3repE0EEENS1_30default_config_static_selectorELNS0_4arch9wavefront6targetE0EEEvT1_.kd
    .uniform_work_group_size: 1
    .uses_dynamic_stack: false
    .vgpr_count:     0
    .vgpr_spill_count: 0
    .wavefront_size: 32
    .workgroup_processor_mode: 1
  - .args:
      - .offset:         0
        .size:           128
        .value_kind:     by_value
    .group_segment_fixed_size: 0
    .kernarg_segment_align: 8
    .kernarg_segment_size: 128
    .language:       OpenCL C
    .language_version:
      - 2
      - 0
    .max_flat_workgroup_size: 128
    .name:           _ZN7rocprim17ROCPRIM_400000_NS6detail17trampoline_kernelINS0_14default_configENS1_25partition_config_selectorILNS1_17partition_subalgoE6EdNS0_10empty_typeEbEEZZNS1_14partition_implILS5_6ELb0ES3_mN6thrust23THRUST_200600_302600_NS6detail15normal_iteratorINSA_10device_ptrIdEEEEPS6_SG_NS0_5tupleIJNSA_16discard_iteratorINSA_11use_defaultEEES6_EEENSH_IJSG_SG_EEES6_PlJNSB_9not_fun_tINSB_14equal_to_valueIdEEEEEEE10hipError_tPvRmT3_T4_T5_T6_T7_T9_mT8_P12ihipStream_tbDpT10_ENKUlT_T0_E_clISt17integral_constantIbLb1EES1A_IbLb0EEEEDaS16_S17_EUlS16_E_NS1_11comp_targetILNS1_3genE3ELNS1_11target_archE908ELNS1_3gpuE7ELNS1_3repE0EEENS1_30default_config_static_selectorELNS0_4arch9wavefront6targetE0EEEvT1_
    .private_segment_fixed_size: 0
    .sgpr_count:     0
    .sgpr_spill_count: 0
    .symbol:         _ZN7rocprim17ROCPRIM_400000_NS6detail17trampoline_kernelINS0_14default_configENS1_25partition_config_selectorILNS1_17partition_subalgoE6EdNS0_10empty_typeEbEEZZNS1_14partition_implILS5_6ELb0ES3_mN6thrust23THRUST_200600_302600_NS6detail15normal_iteratorINSA_10device_ptrIdEEEEPS6_SG_NS0_5tupleIJNSA_16discard_iteratorINSA_11use_defaultEEES6_EEENSH_IJSG_SG_EEES6_PlJNSB_9not_fun_tINSB_14equal_to_valueIdEEEEEEE10hipError_tPvRmT3_T4_T5_T6_T7_T9_mT8_P12ihipStream_tbDpT10_ENKUlT_T0_E_clISt17integral_constantIbLb1EES1A_IbLb0EEEEDaS16_S17_EUlS16_E_NS1_11comp_targetILNS1_3genE3ELNS1_11target_archE908ELNS1_3gpuE7ELNS1_3repE0EEENS1_30default_config_static_selectorELNS0_4arch9wavefront6targetE0EEEvT1_.kd
    .uniform_work_group_size: 1
    .uses_dynamic_stack: false
    .vgpr_count:     0
    .vgpr_spill_count: 0
    .wavefront_size: 32
    .workgroup_processor_mode: 1
  - .args:
      - .offset:         0
        .size:           128
        .value_kind:     by_value
    .group_segment_fixed_size: 0
    .kernarg_segment_align: 8
    .kernarg_segment_size: 128
    .language:       OpenCL C
    .language_version:
      - 2
      - 0
    .max_flat_workgroup_size: 256
    .name:           _ZN7rocprim17ROCPRIM_400000_NS6detail17trampoline_kernelINS0_14default_configENS1_25partition_config_selectorILNS1_17partition_subalgoE6EdNS0_10empty_typeEbEEZZNS1_14partition_implILS5_6ELb0ES3_mN6thrust23THRUST_200600_302600_NS6detail15normal_iteratorINSA_10device_ptrIdEEEEPS6_SG_NS0_5tupleIJNSA_16discard_iteratorINSA_11use_defaultEEES6_EEENSH_IJSG_SG_EEES6_PlJNSB_9not_fun_tINSB_14equal_to_valueIdEEEEEEE10hipError_tPvRmT3_T4_T5_T6_T7_T9_mT8_P12ihipStream_tbDpT10_ENKUlT_T0_E_clISt17integral_constantIbLb1EES1A_IbLb0EEEEDaS16_S17_EUlS16_E_NS1_11comp_targetILNS1_3genE2ELNS1_11target_archE906ELNS1_3gpuE6ELNS1_3repE0EEENS1_30default_config_static_selectorELNS0_4arch9wavefront6targetE0EEEvT1_
    .private_segment_fixed_size: 0
    .sgpr_count:     0
    .sgpr_spill_count: 0
    .symbol:         _ZN7rocprim17ROCPRIM_400000_NS6detail17trampoline_kernelINS0_14default_configENS1_25partition_config_selectorILNS1_17partition_subalgoE6EdNS0_10empty_typeEbEEZZNS1_14partition_implILS5_6ELb0ES3_mN6thrust23THRUST_200600_302600_NS6detail15normal_iteratorINSA_10device_ptrIdEEEEPS6_SG_NS0_5tupleIJNSA_16discard_iteratorINSA_11use_defaultEEES6_EEENSH_IJSG_SG_EEES6_PlJNSB_9not_fun_tINSB_14equal_to_valueIdEEEEEEE10hipError_tPvRmT3_T4_T5_T6_T7_T9_mT8_P12ihipStream_tbDpT10_ENKUlT_T0_E_clISt17integral_constantIbLb1EES1A_IbLb0EEEEDaS16_S17_EUlS16_E_NS1_11comp_targetILNS1_3genE2ELNS1_11target_archE906ELNS1_3gpuE6ELNS1_3repE0EEENS1_30default_config_static_selectorELNS0_4arch9wavefront6targetE0EEEvT1_.kd
    .uniform_work_group_size: 1
    .uses_dynamic_stack: false
    .vgpr_count:     0
    .vgpr_spill_count: 0
    .wavefront_size: 32
    .workgroup_processor_mode: 1
  - .args:
      - .offset:         0
        .size:           128
        .value_kind:     by_value
    .group_segment_fixed_size: 0
    .kernarg_segment_align: 8
    .kernarg_segment_size: 128
    .language:       OpenCL C
    .language_version:
      - 2
      - 0
    .max_flat_workgroup_size: 256
    .name:           _ZN7rocprim17ROCPRIM_400000_NS6detail17trampoline_kernelINS0_14default_configENS1_25partition_config_selectorILNS1_17partition_subalgoE6EdNS0_10empty_typeEbEEZZNS1_14partition_implILS5_6ELb0ES3_mN6thrust23THRUST_200600_302600_NS6detail15normal_iteratorINSA_10device_ptrIdEEEEPS6_SG_NS0_5tupleIJNSA_16discard_iteratorINSA_11use_defaultEEES6_EEENSH_IJSG_SG_EEES6_PlJNSB_9not_fun_tINSB_14equal_to_valueIdEEEEEEE10hipError_tPvRmT3_T4_T5_T6_T7_T9_mT8_P12ihipStream_tbDpT10_ENKUlT_T0_E_clISt17integral_constantIbLb1EES1A_IbLb0EEEEDaS16_S17_EUlS16_E_NS1_11comp_targetILNS1_3genE10ELNS1_11target_archE1200ELNS1_3gpuE4ELNS1_3repE0EEENS1_30default_config_static_selectorELNS0_4arch9wavefront6targetE0EEEvT1_
    .private_segment_fixed_size: 0
    .sgpr_count:     0
    .sgpr_spill_count: 0
    .symbol:         _ZN7rocprim17ROCPRIM_400000_NS6detail17trampoline_kernelINS0_14default_configENS1_25partition_config_selectorILNS1_17partition_subalgoE6EdNS0_10empty_typeEbEEZZNS1_14partition_implILS5_6ELb0ES3_mN6thrust23THRUST_200600_302600_NS6detail15normal_iteratorINSA_10device_ptrIdEEEEPS6_SG_NS0_5tupleIJNSA_16discard_iteratorINSA_11use_defaultEEES6_EEENSH_IJSG_SG_EEES6_PlJNSB_9not_fun_tINSB_14equal_to_valueIdEEEEEEE10hipError_tPvRmT3_T4_T5_T6_T7_T9_mT8_P12ihipStream_tbDpT10_ENKUlT_T0_E_clISt17integral_constantIbLb1EES1A_IbLb0EEEEDaS16_S17_EUlS16_E_NS1_11comp_targetILNS1_3genE10ELNS1_11target_archE1200ELNS1_3gpuE4ELNS1_3repE0EEENS1_30default_config_static_selectorELNS0_4arch9wavefront6targetE0EEEvT1_.kd
    .uniform_work_group_size: 1
    .uses_dynamic_stack: false
    .vgpr_count:     0
    .vgpr_spill_count: 0
    .wavefront_size: 32
    .workgroup_processor_mode: 1
  - .args:
      - .offset:         0
        .size:           128
        .value_kind:     by_value
    .group_segment_fixed_size: 0
    .kernarg_segment_align: 8
    .kernarg_segment_size: 128
    .language:       OpenCL C
    .language_version:
      - 2
      - 0
    .max_flat_workgroup_size: 384
    .name:           _ZN7rocprim17ROCPRIM_400000_NS6detail17trampoline_kernelINS0_14default_configENS1_25partition_config_selectorILNS1_17partition_subalgoE6EdNS0_10empty_typeEbEEZZNS1_14partition_implILS5_6ELb0ES3_mN6thrust23THRUST_200600_302600_NS6detail15normal_iteratorINSA_10device_ptrIdEEEEPS6_SG_NS0_5tupleIJNSA_16discard_iteratorINSA_11use_defaultEEES6_EEENSH_IJSG_SG_EEES6_PlJNSB_9not_fun_tINSB_14equal_to_valueIdEEEEEEE10hipError_tPvRmT3_T4_T5_T6_T7_T9_mT8_P12ihipStream_tbDpT10_ENKUlT_T0_E_clISt17integral_constantIbLb1EES1A_IbLb0EEEEDaS16_S17_EUlS16_E_NS1_11comp_targetILNS1_3genE9ELNS1_11target_archE1100ELNS1_3gpuE3ELNS1_3repE0EEENS1_30default_config_static_selectorELNS0_4arch9wavefront6targetE0EEEvT1_
    .private_segment_fixed_size: 0
    .sgpr_count:     0
    .sgpr_spill_count: 0
    .symbol:         _ZN7rocprim17ROCPRIM_400000_NS6detail17trampoline_kernelINS0_14default_configENS1_25partition_config_selectorILNS1_17partition_subalgoE6EdNS0_10empty_typeEbEEZZNS1_14partition_implILS5_6ELb0ES3_mN6thrust23THRUST_200600_302600_NS6detail15normal_iteratorINSA_10device_ptrIdEEEEPS6_SG_NS0_5tupleIJNSA_16discard_iteratorINSA_11use_defaultEEES6_EEENSH_IJSG_SG_EEES6_PlJNSB_9not_fun_tINSB_14equal_to_valueIdEEEEEEE10hipError_tPvRmT3_T4_T5_T6_T7_T9_mT8_P12ihipStream_tbDpT10_ENKUlT_T0_E_clISt17integral_constantIbLb1EES1A_IbLb0EEEEDaS16_S17_EUlS16_E_NS1_11comp_targetILNS1_3genE9ELNS1_11target_archE1100ELNS1_3gpuE3ELNS1_3repE0EEENS1_30default_config_static_selectorELNS0_4arch9wavefront6targetE0EEEvT1_.kd
    .uniform_work_group_size: 1
    .uses_dynamic_stack: false
    .vgpr_count:     0
    .vgpr_spill_count: 0
    .wavefront_size: 32
    .workgroup_processor_mode: 1
  - .args:
      - .offset:         0
        .size:           128
        .value_kind:     by_value
    .group_segment_fixed_size: 0
    .kernarg_segment_align: 8
    .kernarg_segment_size: 128
    .language:       OpenCL C
    .language_version:
      - 2
      - 0
    .max_flat_workgroup_size: 512
    .name:           _ZN7rocprim17ROCPRIM_400000_NS6detail17trampoline_kernelINS0_14default_configENS1_25partition_config_selectorILNS1_17partition_subalgoE6EdNS0_10empty_typeEbEEZZNS1_14partition_implILS5_6ELb0ES3_mN6thrust23THRUST_200600_302600_NS6detail15normal_iteratorINSA_10device_ptrIdEEEEPS6_SG_NS0_5tupleIJNSA_16discard_iteratorINSA_11use_defaultEEES6_EEENSH_IJSG_SG_EEES6_PlJNSB_9not_fun_tINSB_14equal_to_valueIdEEEEEEE10hipError_tPvRmT3_T4_T5_T6_T7_T9_mT8_P12ihipStream_tbDpT10_ENKUlT_T0_E_clISt17integral_constantIbLb1EES1A_IbLb0EEEEDaS16_S17_EUlS16_E_NS1_11comp_targetILNS1_3genE8ELNS1_11target_archE1030ELNS1_3gpuE2ELNS1_3repE0EEENS1_30default_config_static_selectorELNS0_4arch9wavefront6targetE0EEEvT1_
    .private_segment_fixed_size: 0
    .sgpr_count:     0
    .sgpr_spill_count: 0
    .symbol:         _ZN7rocprim17ROCPRIM_400000_NS6detail17trampoline_kernelINS0_14default_configENS1_25partition_config_selectorILNS1_17partition_subalgoE6EdNS0_10empty_typeEbEEZZNS1_14partition_implILS5_6ELb0ES3_mN6thrust23THRUST_200600_302600_NS6detail15normal_iteratorINSA_10device_ptrIdEEEEPS6_SG_NS0_5tupleIJNSA_16discard_iteratorINSA_11use_defaultEEES6_EEENSH_IJSG_SG_EEES6_PlJNSB_9not_fun_tINSB_14equal_to_valueIdEEEEEEE10hipError_tPvRmT3_T4_T5_T6_T7_T9_mT8_P12ihipStream_tbDpT10_ENKUlT_T0_E_clISt17integral_constantIbLb1EES1A_IbLb0EEEEDaS16_S17_EUlS16_E_NS1_11comp_targetILNS1_3genE8ELNS1_11target_archE1030ELNS1_3gpuE2ELNS1_3repE0EEENS1_30default_config_static_selectorELNS0_4arch9wavefront6targetE0EEEvT1_.kd
    .uniform_work_group_size: 1
    .uses_dynamic_stack: false
    .vgpr_count:     0
    .vgpr_spill_count: 0
    .wavefront_size: 32
    .workgroup_processor_mode: 1
  - .args:
      - .offset:         0
        .size:           136
        .value_kind:     by_value
    .group_segment_fixed_size: 0
    .kernarg_segment_align: 8
    .kernarg_segment_size: 136
    .language:       OpenCL C
    .language_version:
      - 2
      - 0
    .max_flat_workgroup_size: 128
    .name:           _ZN7rocprim17ROCPRIM_400000_NS6detail17trampoline_kernelINS0_14default_configENS1_25partition_config_selectorILNS1_17partition_subalgoE6EdNS0_10empty_typeEbEEZZNS1_14partition_implILS5_6ELb0ES3_mN6thrust23THRUST_200600_302600_NS6detail15normal_iteratorINSA_10device_ptrIdEEEEPS6_SG_NS0_5tupleIJNSA_16discard_iteratorINSA_11use_defaultEEES6_EEENSH_IJSG_SG_EEES6_PlJNSB_9not_fun_tINSB_14equal_to_valueIdEEEEEEE10hipError_tPvRmT3_T4_T5_T6_T7_T9_mT8_P12ihipStream_tbDpT10_ENKUlT_T0_E_clISt17integral_constantIbLb0EES1A_IbLb1EEEEDaS16_S17_EUlS16_E_NS1_11comp_targetILNS1_3genE0ELNS1_11target_archE4294967295ELNS1_3gpuE0ELNS1_3repE0EEENS1_30default_config_static_selectorELNS0_4arch9wavefront6targetE0EEEvT1_
    .private_segment_fixed_size: 0
    .sgpr_count:     0
    .sgpr_spill_count: 0
    .symbol:         _ZN7rocprim17ROCPRIM_400000_NS6detail17trampoline_kernelINS0_14default_configENS1_25partition_config_selectorILNS1_17partition_subalgoE6EdNS0_10empty_typeEbEEZZNS1_14partition_implILS5_6ELb0ES3_mN6thrust23THRUST_200600_302600_NS6detail15normal_iteratorINSA_10device_ptrIdEEEEPS6_SG_NS0_5tupleIJNSA_16discard_iteratorINSA_11use_defaultEEES6_EEENSH_IJSG_SG_EEES6_PlJNSB_9not_fun_tINSB_14equal_to_valueIdEEEEEEE10hipError_tPvRmT3_T4_T5_T6_T7_T9_mT8_P12ihipStream_tbDpT10_ENKUlT_T0_E_clISt17integral_constantIbLb0EES1A_IbLb1EEEEDaS16_S17_EUlS16_E_NS1_11comp_targetILNS1_3genE0ELNS1_11target_archE4294967295ELNS1_3gpuE0ELNS1_3repE0EEENS1_30default_config_static_selectorELNS0_4arch9wavefront6targetE0EEEvT1_.kd
    .uniform_work_group_size: 1
    .uses_dynamic_stack: false
    .vgpr_count:     0
    .vgpr_spill_count: 0
    .wavefront_size: 32
    .workgroup_processor_mode: 1
  - .args:
      - .offset:         0
        .size:           136
        .value_kind:     by_value
    .group_segment_fixed_size: 0
    .kernarg_segment_align: 8
    .kernarg_segment_size: 136
    .language:       OpenCL C
    .language_version:
      - 2
      - 0
    .max_flat_workgroup_size: 512
    .name:           _ZN7rocprim17ROCPRIM_400000_NS6detail17trampoline_kernelINS0_14default_configENS1_25partition_config_selectorILNS1_17partition_subalgoE6EdNS0_10empty_typeEbEEZZNS1_14partition_implILS5_6ELb0ES3_mN6thrust23THRUST_200600_302600_NS6detail15normal_iteratorINSA_10device_ptrIdEEEEPS6_SG_NS0_5tupleIJNSA_16discard_iteratorINSA_11use_defaultEEES6_EEENSH_IJSG_SG_EEES6_PlJNSB_9not_fun_tINSB_14equal_to_valueIdEEEEEEE10hipError_tPvRmT3_T4_T5_T6_T7_T9_mT8_P12ihipStream_tbDpT10_ENKUlT_T0_E_clISt17integral_constantIbLb0EES1A_IbLb1EEEEDaS16_S17_EUlS16_E_NS1_11comp_targetILNS1_3genE5ELNS1_11target_archE942ELNS1_3gpuE9ELNS1_3repE0EEENS1_30default_config_static_selectorELNS0_4arch9wavefront6targetE0EEEvT1_
    .private_segment_fixed_size: 0
    .sgpr_count:     0
    .sgpr_spill_count: 0
    .symbol:         _ZN7rocprim17ROCPRIM_400000_NS6detail17trampoline_kernelINS0_14default_configENS1_25partition_config_selectorILNS1_17partition_subalgoE6EdNS0_10empty_typeEbEEZZNS1_14partition_implILS5_6ELb0ES3_mN6thrust23THRUST_200600_302600_NS6detail15normal_iteratorINSA_10device_ptrIdEEEEPS6_SG_NS0_5tupleIJNSA_16discard_iteratorINSA_11use_defaultEEES6_EEENSH_IJSG_SG_EEES6_PlJNSB_9not_fun_tINSB_14equal_to_valueIdEEEEEEE10hipError_tPvRmT3_T4_T5_T6_T7_T9_mT8_P12ihipStream_tbDpT10_ENKUlT_T0_E_clISt17integral_constantIbLb0EES1A_IbLb1EEEEDaS16_S17_EUlS16_E_NS1_11comp_targetILNS1_3genE5ELNS1_11target_archE942ELNS1_3gpuE9ELNS1_3repE0EEENS1_30default_config_static_selectorELNS0_4arch9wavefront6targetE0EEEvT1_.kd
    .uniform_work_group_size: 1
    .uses_dynamic_stack: false
    .vgpr_count:     0
    .vgpr_spill_count: 0
    .wavefront_size: 32
    .workgroup_processor_mode: 1
  - .args:
      - .offset:         0
        .size:           136
        .value_kind:     by_value
    .group_segment_fixed_size: 0
    .kernarg_segment_align: 8
    .kernarg_segment_size: 136
    .language:       OpenCL C
    .language_version:
      - 2
      - 0
    .max_flat_workgroup_size: 128
    .name:           _ZN7rocprim17ROCPRIM_400000_NS6detail17trampoline_kernelINS0_14default_configENS1_25partition_config_selectorILNS1_17partition_subalgoE6EdNS0_10empty_typeEbEEZZNS1_14partition_implILS5_6ELb0ES3_mN6thrust23THRUST_200600_302600_NS6detail15normal_iteratorINSA_10device_ptrIdEEEEPS6_SG_NS0_5tupleIJNSA_16discard_iteratorINSA_11use_defaultEEES6_EEENSH_IJSG_SG_EEES6_PlJNSB_9not_fun_tINSB_14equal_to_valueIdEEEEEEE10hipError_tPvRmT3_T4_T5_T6_T7_T9_mT8_P12ihipStream_tbDpT10_ENKUlT_T0_E_clISt17integral_constantIbLb0EES1A_IbLb1EEEEDaS16_S17_EUlS16_E_NS1_11comp_targetILNS1_3genE4ELNS1_11target_archE910ELNS1_3gpuE8ELNS1_3repE0EEENS1_30default_config_static_selectorELNS0_4arch9wavefront6targetE0EEEvT1_
    .private_segment_fixed_size: 0
    .sgpr_count:     0
    .sgpr_spill_count: 0
    .symbol:         _ZN7rocprim17ROCPRIM_400000_NS6detail17trampoline_kernelINS0_14default_configENS1_25partition_config_selectorILNS1_17partition_subalgoE6EdNS0_10empty_typeEbEEZZNS1_14partition_implILS5_6ELb0ES3_mN6thrust23THRUST_200600_302600_NS6detail15normal_iteratorINSA_10device_ptrIdEEEEPS6_SG_NS0_5tupleIJNSA_16discard_iteratorINSA_11use_defaultEEES6_EEENSH_IJSG_SG_EEES6_PlJNSB_9not_fun_tINSB_14equal_to_valueIdEEEEEEE10hipError_tPvRmT3_T4_T5_T6_T7_T9_mT8_P12ihipStream_tbDpT10_ENKUlT_T0_E_clISt17integral_constantIbLb0EES1A_IbLb1EEEEDaS16_S17_EUlS16_E_NS1_11comp_targetILNS1_3genE4ELNS1_11target_archE910ELNS1_3gpuE8ELNS1_3repE0EEENS1_30default_config_static_selectorELNS0_4arch9wavefront6targetE0EEEvT1_.kd
    .uniform_work_group_size: 1
    .uses_dynamic_stack: false
    .vgpr_count:     0
    .vgpr_spill_count: 0
    .wavefront_size: 32
    .workgroup_processor_mode: 1
  - .args:
      - .offset:         0
        .size:           136
        .value_kind:     by_value
    .group_segment_fixed_size: 0
    .kernarg_segment_align: 8
    .kernarg_segment_size: 136
    .language:       OpenCL C
    .language_version:
      - 2
      - 0
    .max_flat_workgroup_size: 128
    .name:           _ZN7rocprim17ROCPRIM_400000_NS6detail17trampoline_kernelINS0_14default_configENS1_25partition_config_selectorILNS1_17partition_subalgoE6EdNS0_10empty_typeEbEEZZNS1_14partition_implILS5_6ELb0ES3_mN6thrust23THRUST_200600_302600_NS6detail15normal_iteratorINSA_10device_ptrIdEEEEPS6_SG_NS0_5tupleIJNSA_16discard_iteratorINSA_11use_defaultEEES6_EEENSH_IJSG_SG_EEES6_PlJNSB_9not_fun_tINSB_14equal_to_valueIdEEEEEEE10hipError_tPvRmT3_T4_T5_T6_T7_T9_mT8_P12ihipStream_tbDpT10_ENKUlT_T0_E_clISt17integral_constantIbLb0EES1A_IbLb1EEEEDaS16_S17_EUlS16_E_NS1_11comp_targetILNS1_3genE3ELNS1_11target_archE908ELNS1_3gpuE7ELNS1_3repE0EEENS1_30default_config_static_selectorELNS0_4arch9wavefront6targetE0EEEvT1_
    .private_segment_fixed_size: 0
    .sgpr_count:     0
    .sgpr_spill_count: 0
    .symbol:         _ZN7rocprim17ROCPRIM_400000_NS6detail17trampoline_kernelINS0_14default_configENS1_25partition_config_selectorILNS1_17partition_subalgoE6EdNS0_10empty_typeEbEEZZNS1_14partition_implILS5_6ELb0ES3_mN6thrust23THRUST_200600_302600_NS6detail15normal_iteratorINSA_10device_ptrIdEEEEPS6_SG_NS0_5tupleIJNSA_16discard_iteratorINSA_11use_defaultEEES6_EEENSH_IJSG_SG_EEES6_PlJNSB_9not_fun_tINSB_14equal_to_valueIdEEEEEEE10hipError_tPvRmT3_T4_T5_T6_T7_T9_mT8_P12ihipStream_tbDpT10_ENKUlT_T0_E_clISt17integral_constantIbLb0EES1A_IbLb1EEEEDaS16_S17_EUlS16_E_NS1_11comp_targetILNS1_3genE3ELNS1_11target_archE908ELNS1_3gpuE7ELNS1_3repE0EEENS1_30default_config_static_selectorELNS0_4arch9wavefront6targetE0EEEvT1_.kd
    .uniform_work_group_size: 1
    .uses_dynamic_stack: false
    .vgpr_count:     0
    .vgpr_spill_count: 0
    .wavefront_size: 32
    .workgroup_processor_mode: 1
  - .args:
      - .offset:         0
        .size:           136
        .value_kind:     by_value
    .group_segment_fixed_size: 0
    .kernarg_segment_align: 8
    .kernarg_segment_size: 136
    .language:       OpenCL C
    .language_version:
      - 2
      - 0
    .max_flat_workgroup_size: 256
    .name:           _ZN7rocprim17ROCPRIM_400000_NS6detail17trampoline_kernelINS0_14default_configENS1_25partition_config_selectorILNS1_17partition_subalgoE6EdNS0_10empty_typeEbEEZZNS1_14partition_implILS5_6ELb0ES3_mN6thrust23THRUST_200600_302600_NS6detail15normal_iteratorINSA_10device_ptrIdEEEEPS6_SG_NS0_5tupleIJNSA_16discard_iteratorINSA_11use_defaultEEES6_EEENSH_IJSG_SG_EEES6_PlJNSB_9not_fun_tINSB_14equal_to_valueIdEEEEEEE10hipError_tPvRmT3_T4_T5_T6_T7_T9_mT8_P12ihipStream_tbDpT10_ENKUlT_T0_E_clISt17integral_constantIbLb0EES1A_IbLb1EEEEDaS16_S17_EUlS16_E_NS1_11comp_targetILNS1_3genE2ELNS1_11target_archE906ELNS1_3gpuE6ELNS1_3repE0EEENS1_30default_config_static_selectorELNS0_4arch9wavefront6targetE0EEEvT1_
    .private_segment_fixed_size: 0
    .sgpr_count:     0
    .sgpr_spill_count: 0
    .symbol:         _ZN7rocprim17ROCPRIM_400000_NS6detail17trampoline_kernelINS0_14default_configENS1_25partition_config_selectorILNS1_17partition_subalgoE6EdNS0_10empty_typeEbEEZZNS1_14partition_implILS5_6ELb0ES3_mN6thrust23THRUST_200600_302600_NS6detail15normal_iteratorINSA_10device_ptrIdEEEEPS6_SG_NS0_5tupleIJNSA_16discard_iteratorINSA_11use_defaultEEES6_EEENSH_IJSG_SG_EEES6_PlJNSB_9not_fun_tINSB_14equal_to_valueIdEEEEEEE10hipError_tPvRmT3_T4_T5_T6_T7_T9_mT8_P12ihipStream_tbDpT10_ENKUlT_T0_E_clISt17integral_constantIbLb0EES1A_IbLb1EEEEDaS16_S17_EUlS16_E_NS1_11comp_targetILNS1_3genE2ELNS1_11target_archE906ELNS1_3gpuE6ELNS1_3repE0EEENS1_30default_config_static_selectorELNS0_4arch9wavefront6targetE0EEEvT1_.kd
    .uniform_work_group_size: 1
    .uses_dynamic_stack: false
    .vgpr_count:     0
    .vgpr_spill_count: 0
    .wavefront_size: 32
    .workgroup_processor_mode: 1
  - .args:
      - .offset:         0
        .size:           136
        .value_kind:     by_value
    .group_segment_fixed_size: 8464
    .kernarg_segment_align: 8
    .kernarg_segment_size: 136
    .language:       OpenCL C
    .language_version:
      - 2
      - 0
    .max_flat_workgroup_size: 256
    .name:           _ZN7rocprim17ROCPRIM_400000_NS6detail17trampoline_kernelINS0_14default_configENS1_25partition_config_selectorILNS1_17partition_subalgoE6EdNS0_10empty_typeEbEEZZNS1_14partition_implILS5_6ELb0ES3_mN6thrust23THRUST_200600_302600_NS6detail15normal_iteratorINSA_10device_ptrIdEEEEPS6_SG_NS0_5tupleIJNSA_16discard_iteratorINSA_11use_defaultEEES6_EEENSH_IJSG_SG_EEES6_PlJNSB_9not_fun_tINSB_14equal_to_valueIdEEEEEEE10hipError_tPvRmT3_T4_T5_T6_T7_T9_mT8_P12ihipStream_tbDpT10_ENKUlT_T0_E_clISt17integral_constantIbLb0EES1A_IbLb1EEEEDaS16_S17_EUlS16_E_NS1_11comp_targetILNS1_3genE10ELNS1_11target_archE1200ELNS1_3gpuE4ELNS1_3repE0EEENS1_30default_config_static_selectorELNS0_4arch9wavefront6targetE0EEEvT1_
    .private_segment_fixed_size: 0
    .sgpr_count:     24
    .sgpr_spill_count: 0
    .symbol:         _ZN7rocprim17ROCPRIM_400000_NS6detail17trampoline_kernelINS0_14default_configENS1_25partition_config_selectorILNS1_17partition_subalgoE6EdNS0_10empty_typeEbEEZZNS1_14partition_implILS5_6ELb0ES3_mN6thrust23THRUST_200600_302600_NS6detail15normal_iteratorINSA_10device_ptrIdEEEEPS6_SG_NS0_5tupleIJNSA_16discard_iteratorINSA_11use_defaultEEES6_EEENSH_IJSG_SG_EEES6_PlJNSB_9not_fun_tINSB_14equal_to_valueIdEEEEEEE10hipError_tPvRmT3_T4_T5_T6_T7_T9_mT8_P12ihipStream_tbDpT10_ENKUlT_T0_E_clISt17integral_constantIbLb0EES1A_IbLb1EEEEDaS16_S17_EUlS16_E_NS1_11comp_targetILNS1_3genE10ELNS1_11target_archE1200ELNS1_3gpuE4ELNS1_3repE0EEENS1_30default_config_static_selectorELNS0_4arch9wavefront6targetE0EEEvT1_.kd
    .uniform_work_group_size: 1
    .uses_dynamic_stack: false
    .vgpr_count:     47
    .vgpr_spill_count: 0
    .wavefront_size: 32
    .workgroup_processor_mode: 1
  - .args:
      - .offset:         0
        .size:           136
        .value_kind:     by_value
    .group_segment_fixed_size: 0
    .kernarg_segment_align: 8
    .kernarg_segment_size: 136
    .language:       OpenCL C
    .language_version:
      - 2
      - 0
    .max_flat_workgroup_size: 384
    .name:           _ZN7rocprim17ROCPRIM_400000_NS6detail17trampoline_kernelINS0_14default_configENS1_25partition_config_selectorILNS1_17partition_subalgoE6EdNS0_10empty_typeEbEEZZNS1_14partition_implILS5_6ELb0ES3_mN6thrust23THRUST_200600_302600_NS6detail15normal_iteratorINSA_10device_ptrIdEEEEPS6_SG_NS0_5tupleIJNSA_16discard_iteratorINSA_11use_defaultEEES6_EEENSH_IJSG_SG_EEES6_PlJNSB_9not_fun_tINSB_14equal_to_valueIdEEEEEEE10hipError_tPvRmT3_T4_T5_T6_T7_T9_mT8_P12ihipStream_tbDpT10_ENKUlT_T0_E_clISt17integral_constantIbLb0EES1A_IbLb1EEEEDaS16_S17_EUlS16_E_NS1_11comp_targetILNS1_3genE9ELNS1_11target_archE1100ELNS1_3gpuE3ELNS1_3repE0EEENS1_30default_config_static_selectorELNS0_4arch9wavefront6targetE0EEEvT1_
    .private_segment_fixed_size: 0
    .sgpr_count:     0
    .sgpr_spill_count: 0
    .symbol:         _ZN7rocprim17ROCPRIM_400000_NS6detail17trampoline_kernelINS0_14default_configENS1_25partition_config_selectorILNS1_17partition_subalgoE6EdNS0_10empty_typeEbEEZZNS1_14partition_implILS5_6ELb0ES3_mN6thrust23THRUST_200600_302600_NS6detail15normal_iteratorINSA_10device_ptrIdEEEEPS6_SG_NS0_5tupleIJNSA_16discard_iteratorINSA_11use_defaultEEES6_EEENSH_IJSG_SG_EEES6_PlJNSB_9not_fun_tINSB_14equal_to_valueIdEEEEEEE10hipError_tPvRmT3_T4_T5_T6_T7_T9_mT8_P12ihipStream_tbDpT10_ENKUlT_T0_E_clISt17integral_constantIbLb0EES1A_IbLb1EEEEDaS16_S17_EUlS16_E_NS1_11comp_targetILNS1_3genE9ELNS1_11target_archE1100ELNS1_3gpuE3ELNS1_3repE0EEENS1_30default_config_static_selectorELNS0_4arch9wavefront6targetE0EEEvT1_.kd
    .uniform_work_group_size: 1
    .uses_dynamic_stack: false
    .vgpr_count:     0
    .vgpr_spill_count: 0
    .wavefront_size: 32
    .workgroup_processor_mode: 1
  - .args:
      - .offset:         0
        .size:           136
        .value_kind:     by_value
    .group_segment_fixed_size: 0
    .kernarg_segment_align: 8
    .kernarg_segment_size: 136
    .language:       OpenCL C
    .language_version:
      - 2
      - 0
    .max_flat_workgroup_size: 512
    .name:           _ZN7rocprim17ROCPRIM_400000_NS6detail17trampoline_kernelINS0_14default_configENS1_25partition_config_selectorILNS1_17partition_subalgoE6EdNS0_10empty_typeEbEEZZNS1_14partition_implILS5_6ELb0ES3_mN6thrust23THRUST_200600_302600_NS6detail15normal_iteratorINSA_10device_ptrIdEEEEPS6_SG_NS0_5tupleIJNSA_16discard_iteratorINSA_11use_defaultEEES6_EEENSH_IJSG_SG_EEES6_PlJNSB_9not_fun_tINSB_14equal_to_valueIdEEEEEEE10hipError_tPvRmT3_T4_T5_T6_T7_T9_mT8_P12ihipStream_tbDpT10_ENKUlT_T0_E_clISt17integral_constantIbLb0EES1A_IbLb1EEEEDaS16_S17_EUlS16_E_NS1_11comp_targetILNS1_3genE8ELNS1_11target_archE1030ELNS1_3gpuE2ELNS1_3repE0EEENS1_30default_config_static_selectorELNS0_4arch9wavefront6targetE0EEEvT1_
    .private_segment_fixed_size: 0
    .sgpr_count:     0
    .sgpr_spill_count: 0
    .symbol:         _ZN7rocprim17ROCPRIM_400000_NS6detail17trampoline_kernelINS0_14default_configENS1_25partition_config_selectorILNS1_17partition_subalgoE6EdNS0_10empty_typeEbEEZZNS1_14partition_implILS5_6ELb0ES3_mN6thrust23THRUST_200600_302600_NS6detail15normal_iteratorINSA_10device_ptrIdEEEEPS6_SG_NS0_5tupleIJNSA_16discard_iteratorINSA_11use_defaultEEES6_EEENSH_IJSG_SG_EEES6_PlJNSB_9not_fun_tINSB_14equal_to_valueIdEEEEEEE10hipError_tPvRmT3_T4_T5_T6_T7_T9_mT8_P12ihipStream_tbDpT10_ENKUlT_T0_E_clISt17integral_constantIbLb0EES1A_IbLb1EEEEDaS16_S17_EUlS16_E_NS1_11comp_targetILNS1_3genE8ELNS1_11target_archE1030ELNS1_3gpuE2ELNS1_3repE0EEENS1_30default_config_static_selectorELNS0_4arch9wavefront6targetE0EEEvT1_.kd
    .uniform_work_group_size: 1
    .uses_dynamic_stack: false
    .vgpr_count:     0
    .vgpr_spill_count: 0
    .wavefront_size: 32
    .workgroup_processor_mode: 1
  - .args:
      - .offset:         0
        .size:           128
        .value_kind:     by_value
    .group_segment_fixed_size: 0
    .kernarg_segment_align: 8
    .kernarg_segment_size: 128
    .language:       OpenCL C
    .language_version:
      - 2
      - 0
    .max_flat_workgroup_size: 256
    .name:           _ZN7rocprim17ROCPRIM_400000_NS6detail17trampoline_kernelINS0_14default_configENS1_25partition_config_selectorILNS1_17partition_subalgoE6EfNS0_10empty_typeEbEEZZNS1_14partition_implILS5_6ELb0ES3_mN6thrust23THRUST_200600_302600_NS6detail15normal_iteratorINSA_10device_ptrIfEEEEPS6_SG_NS0_5tupleIJNSA_16discard_iteratorINSA_11use_defaultEEES6_EEENSH_IJSG_SG_EEES6_PlJNSB_9not_fun_tINSB_14equal_to_valueIfEEEEEEE10hipError_tPvRmT3_T4_T5_T6_T7_T9_mT8_P12ihipStream_tbDpT10_ENKUlT_T0_E_clISt17integral_constantIbLb0EES1B_EEDaS16_S17_EUlS16_E_NS1_11comp_targetILNS1_3genE0ELNS1_11target_archE4294967295ELNS1_3gpuE0ELNS1_3repE0EEENS1_30default_config_static_selectorELNS0_4arch9wavefront6targetE0EEEvT1_
    .private_segment_fixed_size: 0
    .sgpr_count:     0
    .sgpr_spill_count: 0
    .symbol:         _ZN7rocprim17ROCPRIM_400000_NS6detail17trampoline_kernelINS0_14default_configENS1_25partition_config_selectorILNS1_17partition_subalgoE6EfNS0_10empty_typeEbEEZZNS1_14partition_implILS5_6ELb0ES3_mN6thrust23THRUST_200600_302600_NS6detail15normal_iteratorINSA_10device_ptrIfEEEEPS6_SG_NS0_5tupleIJNSA_16discard_iteratorINSA_11use_defaultEEES6_EEENSH_IJSG_SG_EEES6_PlJNSB_9not_fun_tINSB_14equal_to_valueIfEEEEEEE10hipError_tPvRmT3_T4_T5_T6_T7_T9_mT8_P12ihipStream_tbDpT10_ENKUlT_T0_E_clISt17integral_constantIbLb0EES1B_EEDaS16_S17_EUlS16_E_NS1_11comp_targetILNS1_3genE0ELNS1_11target_archE4294967295ELNS1_3gpuE0ELNS1_3repE0EEENS1_30default_config_static_selectorELNS0_4arch9wavefront6targetE0EEEvT1_.kd
    .uniform_work_group_size: 1
    .uses_dynamic_stack: false
    .vgpr_count:     0
    .vgpr_spill_count: 0
    .wavefront_size: 32
    .workgroup_processor_mode: 1
  - .args:
      - .offset:         0
        .size:           128
        .value_kind:     by_value
    .group_segment_fixed_size: 0
    .kernarg_segment_align: 8
    .kernarg_segment_size: 128
    .language:       OpenCL C
    .language_version:
      - 2
      - 0
    .max_flat_workgroup_size: 512
    .name:           _ZN7rocprim17ROCPRIM_400000_NS6detail17trampoline_kernelINS0_14default_configENS1_25partition_config_selectorILNS1_17partition_subalgoE6EfNS0_10empty_typeEbEEZZNS1_14partition_implILS5_6ELb0ES3_mN6thrust23THRUST_200600_302600_NS6detail15normal_iteratorINSA_10device_ptrIfEEEEPS6_SG_NS0_5tupleIJNSA_16discard_iteratorINSA_11use_defaultEEES6_EEENSH_IJSG_SG_EEES6_PlJNSB_9not_fun_tINSB_14equal_to_valueIfEEEEEEE10hipError_tPvRmT3_T4_T5_T6_T7_T9_mT8_P12ihipStream_tbDpT10_ENKUlT_T0_E_clISt17integral_constantIbLb0EES1B_EEDaS16_S17_EUlS16_E_NS1_11comp_targetILNS1_3genE5ELNS1_11target_archE942ELNS1_3gpuE9ELNS1_3repE0EEENS1_30default_config_static_selectorELNS0_4arch9wavefront6targetE0EEEvT1_
    .private_segment_fixed_size: 0
    .sgpr_count:     0
    .sgpr_spill_count: 0
    .symbol:         _ZN7rocprim17ROCPRIM_400000_NS6detail17trampoline_kernelINS0_14default_configENS1_25partition_config_selectorILNS1_17partition_subalgoE6EfNS0_10empty_typeEbEEZZNS1_14partition_implILS5_6ELb0ES3_mN6thrust23THRUST_200600_302600_NS6detail15normal_iteratorINSA_10device_ptrIfEEEEPS6_SG_NS0_5tupleIJNSA_16discard_iteratorINSA_11use_defaultEEES6_EEENSH_IJSG_SG_EEES6_PlJNSB_9not_fun_tINSB_14equal_to_valueIfEEEEEEE10hipError_tPvRmT3_T4_T5_T6_T7_T9_mT8_P12ihipStream_tbDpT10_ENKUlT_T0_E_clISt17integral_constantIbLb0EES1B_EEDaS16_S17_EUlS16_E_NS1_11comp_targetILNS1_3genE5ELNS1_11target_archE942ELNS1_3gpuE9ELNS1_3repE0EEENS1_30default_config_static_selectorELNS0_4arch9wavefront6targetE0EEEvT1_.kd
    .uniform_work_group_size: 1
    .uses_dynamic_stack: false
    .vgpr_count:     0
    .vgpr_spill_count: 0
    .wavefront_size: 32
    .workgroup_processor_mode: 1
  - .args:
      - .offset:         0
        .size:           128
        .value_kind:     by_value
    .group_segment_fixed_size: 0
    .kernarg_segment_align: 8
    .kernarg_segment_size: 128
    .language:       OpenCL C
    .language_version:
      - 2
      - 0
    .max_flat_workgroup_size: 512
    .name:           _ZN7rocprim17ROCPRIM_400000_NS6detail17trampoline_kernelINS0_14default_configENS1_25partition_config_selectorILNS1_17partition_subalgoE6EfNS0_10empty_typeEbEEZZNS1_14partition_implILS5_6ELb0ES3_mN6thrust23THRUST_200600_302600_NS6detail15normal_iteratorINSA_10device_ptrIfEEEEPS6_SG_NS0_5tupleIJNSA_16discard_iteratorINSA_11use_defaultEEES6_EEENSH_IJSG_SG_EEES6_PlJNSB_9not_fun_tINSB_14equal_to_valueIfEEEEEEE10hipError_tPvRmT3_T4_T5_T6_T7_T9_mT8_P12ihipStream_tbDpT10_ENKUlT_T0_E_clISt17integral_constantIbLb0EES1B_EEDaS16_S17_EUlS16_E_NS1_11comp_targetILNS1_3genE4ELNS1_11target_archE910ELNS1_3gpuE8ELNS1_3repE0EEENS1_30default_config_static_selectorELNS0_4arch9wavefront6targetE0EEEvT1_
    .private_segment_fixed_size: 0
    .sgpr_count:     0
    .sgpr_spill_count: 0
    .symbol:         _ZN7rocprim17ROCPRIM_400000_NS6detail17trampoline_kernelINS0_14default_configENS1_25partition_config_selectorILNS1_17partition_subalgoE6EfNS0_10empty_typeEbEEZZNS1_14partition_implILS5_6ELb0ES3_mN6thrust23THRUST_200600_302600_NS6detail15normal_iteratorINSA_10device_ptrIfEEEEPS6_SG_NS0_5tupleIJNSA_16discard_iteratorINSA_11use_defaultEEES6_EEENSH_IJSG_SG_EEES6_PlJNSB_9not_fun_tINSB_14equal_to_valueIfEEEEEEE10hipError_tPvRmT3_T4_T5_T6_T7_T9_mT8_P12ihipStream_tbDpT10_ENKUlT_T0_E_clISt17integral_constantIbLb0EES1B_EEDaS16_S17_EUlS16_E_NS1_11comp_targetILNS1_3genE4ELNS1_11target_archE910ELNS1_3gpuE8ELNS1_3repE0EEENS1_30default_config_static_selectorELNS0_4arch9wavefront6targetE0EEEvT1_.kd
    .uniform_work_group_size: 1
    .uses_dynamic_stack: false
    .vgpr_count:     0
    .vgpr_spill_count: 0
    .wavefront_size: 32
    .workgroup_processor_mode: 1
  - .args:
      - .offset:         0
        .size:           128
        .value_kind:     by_value
    .group_segment_fixed_size: 0
    .kernarg_segment_align: 8
    .kernarg_segment_size: 128
    .language:       OpenCL C
    .language_version:
      - 2
      - 0
    .max_flat_workgroup_size: 256
    .name:           _ZN7rocprim17ROCPRIM_400000_NS6detail17trampoline_kernelINS0_14default_configENS1_25partition_config_selectorILNS1_17partition_subalgoE6EfNS0_10empty_typeEbEEZZNS1_14partition_implILS5_6ELb0ES3_mN6thrust23THRUST_200600_302600_NS6detail15normal_iteratorINSA_10device_ptrIfEEEEPS6_SG_NS0_5tupleIJNSA_16discard_iteratorINSA_11use_defaultEEES6_EEENSH_IJSG_SG_EEES6_PlJNSB_9not_fun_tINSB_14equal_to_valueIfEEEEEEE10hipError_tPvRmT3_T4_T5_T6_T7_T9_mT8_P12ihipStream_tbDpT10_ENKUlT_T0_E_clISt17integral_constantIbLb0EES1B_EEDaS16_S17_EUlS16_E_NS1_11comp_targetILNS1_3genE3ELNS1_11target_archE908ELNS1_3gpuE7ELNS1_3repE0EEENS1_30default_config_static_selectorELNS0_4arch9wavefront6targetE0EEEvT1_
    .private_segment_fixed_size: 0
    .sgpr_count:     0
    .sgpr_spill_count: 0
    .symbol:         _ZN7rocprim17ROCPRIM_400000_NS6detail17trampoline_kernelINS0_14default_configENS1_25partition_config_selectorILNS1_17partition_subalgoE6EfNS0_10empty_typeEbEEZZNS1_14partition_implILS5_6ELb0ES3_mN6thrust23THRUST_200600_302600_NS6detail15normal_iteratorINSA_10device_ptrIfEEEEPS6_SG_NS0_5tupleIJNSA_16discard_iteratorINSA_11use_defaultEEES6_EEENSH_IJSG_SG_EEES6_PlJNSB_9not_fun_tINSB_14equal_to_valueIfEEEEEEE10hipError_tPvRmT3_T4_T5_T6_T7_T9_mT8_P12ihipStream_tbDpT10_ENKUlT_T0_E_clISt17integral_constantIbLb0EES1B_EEDaS16_S17_EUlS16_E_NS1_11comp_targetILNS1_3genE3ELNS1_11target_archE908ELNS1_3gpuE7ELNS1_3repE0EEENS1_30default_config_static_selectorELNS0_4arch9wavefront6targetE0EEEvT1_.kd
    .uniform_work_group_size: 1
    .uses_dynamic_stack: false
    .vgpr_count:     0
    .vgpr_spill_count: 0
    .wavefront_size: 32
    .workgroup_processor_mode: 1
  - .args:
      - .offset:         0
        .size:           128
        .value_kind:     by_value
    .group_segment_fixed_size: 0
    .kernarg_segment_align: 8
    .kernarg_segment_size: 128
    .language:       OpenCL C
    .language_version:
      - 2
      - 0
    .max_flat_workgroup_size: 256
    .name:           _ZN7rocprim17ROCPRIM_400000_NS6detail17trampoline_kernelINS0_14default_configENS1_25partition_config_selectorILNS1_17partition_subalgoE6EfNS0_10empty_typeEbEEZZNS1_14partition_implILS5_6ELb0ES3_mN6thrust23THRUST_200600_302600_NS6detail15normal_iteratorINSA_10device_ptrIfEEEEPS6_SG_NS0_5tupleIJNSA_16discard_iteratorINSA_11use_defaultEEES6_EEENSH_IJSG_SG_EEES6_PlJNSB_9not_fun_tINSB_14equal_to_valueIfEEEEEEE10hipError_tPvRmT3_T4_T5_T6_T7_T9_mT8_P12ihipStream_tbDpT10_ENKUlT_T0_E_clISt17integral_constantIbLb0EES1B_EEDaS16_S17_EUlS16_E_NS1_11comp_targetILNS1_3genE2ELNS1_11target_archE906ELNS1_3gpuE6ELNS1_3repE0EEENS1_30default_config_static_selectorELNS0_4arch9wavefront6targetE0EEEvT1_
    .private_segment_fixed_size: 0
    .sgpr_count:     0
    .sgpr_spill_count: 0
    .symbol:         _ZN7rocprim17ROCPRIM_400000_NS6detail17trampoline_kernelINS0_14default_configENS1_25partition_config_selectorILNS1_17partition_subalgoE6EfNS0_10empty_typeEbEEZZNS1_14partition_implILS5_6ELb0ES3_mN6thrust23THRUST_200600_302600_NS6detail15normal_iteratorINSA_10device_ptrIfEEEEPS6_SG_NS0_5tupleIJNSA_16discard_iteratorINSA_11use_defaultEEES6_EEENSH_IJSG_SG_EEES6_PlJNSB_9not_fun_tINSB_14equal_to_valueIfEEEEEEE10hipError_tPvRmT3_T4_T5_T6_T7_T9_mT8_P12ihipStream_tbDpT10_ENKUlT_T0_E_clISt17integral_constantIbLb0EES1B_EEDaS16_S17_EUlS16_E_NS1_11comp_targetILNS1_3genE2ELNS1_11target_archE906ELNS1_3gpuE6ELNS1_3repE0EEENS1_30default_config_static_selectorELNS0_4arch9wavefront6targetE0EEEvT1_.kd
    .uniform_work_group_size: 1
    .uses_dynamic_stack: false
    .vgpr_count:     0
    .vgpr_spill_count: 0
    .wavefront_size: 32
    .workgroup_processor_mode: 1
  - .args:
      - .offset:         0
        .size:           128
        .value_kind:     by_value
    .group_segment_fixed_size: 10768
    .kernarg_segment_align: 8
    .kernarg_segment_size: 128
    .language:       OpenCL C
    .language_version:
      - 2
      - 0
    .max_flat_workgroup_size: 384
    .name:           _ZN7rocprim17ROCPRIM_400000_NS6detail17trampoline_kernelINS0_14default_configENS1_25partition_config_selectorILNS1_17partition_subalgoE6EfNS0_10empty_typeEbEEZZNS1_14partition_implILS5_6ELb0ES3_mN6thrust23THRUST_200600_302600_NS6detail15normal_iteratorINSA_10device_ptrIfEEEEPS6_SG_NS0_5tupleIJNSA_16discard_iteratorINSA_11use_defaultEEES6_EEENSH_IJSG_SG_EEES6_PlJNSB_9not_fun_tINSB_14equal_to_valueIfEEEEEEE10hipError_tPvRmT3_T4_T5_T6_T7_T9_mT8_P12ihipStream_tbDpT10_ENKUlT_T0_E_clISt17integral_constantIbLb0EES1B_EEDaS16_S17_EUlS16_E_NS1_11comp_targetILNS1_3genE10ELNS1_11target_archE1200ELNS1_3gpuE4ELNS1_3repE0EEENS1_30default_config_static_selectorELNS0_4arch9wavefront6targetE0EEEvT1_
    .private_segment_fixed_size: 0
    .sgpr_count:     24
    .sgpr_spill_count: 0
    .symbol:         _ZN7rocprim17ROCPRIM_400000_NS6detail17trampoline_kernelINS0_14default_configENS1_25partition_config_selectorILNS1_17partition_subalgoE6EfNS0_10empty_typeEbEEZZNS1_14partition_implILS5_6ELb0ES3_mN6thrust23THRUST_200600_302600_NS6detail15normal_iteratorINSA_10device_ptrIfEEEEPS6_SG_NS0_5tupleIJNSA_16discard_iteratorINSA_11use_defaultEEES6_EEENSH_IJSG_SG_EEES6_PlJNSB_9not_fun_tINSB_14equal_to_valueIfEEEEEEE10hipError_tPvRmT3_T4_T5_T6_T7_T9_mT8_P12ihipStream_tbDpT10_ENKUlT_T0_E_clISt17integral_constantIbLb0EES1B_EEDaS16_S17_EUlS16_E_NS1_11comp_targetILNS1_3genE10ELNS1_11target_archE1200ELNS1_3gpuE4ELNS1_3repE0EEENS1_30default_config_static_selectorELNS0_4arch9wavefront6targetE0EEEvT1_.kd
    .uniform_work_group_size: 1
    .uses_dynamic_stack: false
    .vgpr_count:     48
    .vgpr_spill_count: 0
    .wavefront_size: 32
    .workgroup_processor_mode: 1
  - .args:
      - .offset:         0
        .size:           128
        .value_kind:     by_value
    .group_segment_fixed_size: 0
    .kernarg_segment_align: 8
    .kernarg_segment_size: 128
    .language:       OpenCL C
    .language_version:
      - 2
      - 0
    .max_flat_workgroup_size: 128
    .name:           _ZN7rocprim17ROCPRIM_400000_NS6detail17trampoline_kernelINS0_14default_configENS1_25partition_config_selectorILNS1_17partition_subalgoE6EfNS0_10empty_typeEbEEZZNS1_14partition_implILS5_6ELb0ES3_mN6thrust23THRUST_200600_302600_NS6detail15normal_iteratorINSA_10device_ptrIfEEEEPS6_SG_NS0_5tupleIJNSA_16discard_iteratorINSA_11use_defaultEEES6_EEENSH_IJSG_SG_EEES6_PlJNSB_9not_fun_tINSB_14equal_to_valueIfEEEEEEE10hipError_tPvRmT3_T4_T5_T6_T7_T9_mT8_P12ihipStream_tbDpT10_ENKUlT_T0_E_clISt17integral_constantIbLb0EES1B_EEDaS16_S17_EUlS16_E_NS1_11comp_targetILNS1_3genE9ELNS1_11target_archE1100ELNS1_3gpuE3ELNS1_3repE0EEENS1_30default_config_static_selectorELNS0_4arch9wavefront6targetE0EEEvT1_
    .private_segment_fixed_size: 0
    .sgpr_count:     0
    .sgpr_spill_count: 0
    .symbol:         _ZN7rocprim17ROCPRIM_400000_NS6detail17trampoline_kernelINS0_14default_configENS1_25partition_config_selectorILNS1_17partition_subalgoE6EfNS0_10empty_typeEbEEZZNS1_14partition_implILS5_6ELb0ES3_mN6thrust23THRUST_200600_302600_NS6detail15normal_iteratorINSA_10device_ptrIfEEEEPS6_SG_NS0_5tupleIJNSA_16discard_iteratorINSA_11use_defaultEEES6_EEENSH_IJSG_SG_EEES6_PlJNSB_9not_fun_tINSB_14equal_to_valueIfEEEEEEE10hipError_tPvRmT3_T4_T5_T6_T7_T9_mT8_P12ihipStream_tbDpT10_ENKUlT_T0_E_clISt17integral_constantIbLb0EES1B_EEDaS16_S17_EUlS16_E_NS1_11comp_targetILNS1_3genE9ELNS1_11target_archE1100ELNS1_3gpuE3ELNS1_3repE0EEENS1_30default_config_static_selectorELNS0_4arch9wavefront6targetE0EEEvT1_.kd
    .uniform_work_group_size: 1
    .uses_dynamic_stack: false
    .vgpr_count:     0
    .vgpr_spill_count: 0
    .wavefront_size: 32
    .workgroup_processor_mode: 1
  - .args:
      - .offset:         0
        .size:           128
        .value_kind:     by_value
    .group_segment_fixed_size: 0
    .kernarg_segment_align: 8
    .kernarg_segment_size: 128
    .language:       OpenCL C
    .language_version:
      - 2
      - 0
    .max_flat_workgroup_size: 512
    .name:           _ZN7rocprim17ROCPRIM_400000_NS6detail17trampoline_kernelINS0_14default_configENS1_25partition_config_selectorILNS1_17partition_subalgoE6EfNS0_10empty_typeEbEEZZNS1_14partition_implILS5_6ELb0ES3_mN6thrust23THRUST_200600_302600_NS6detail15normal_iteratorINSA_10device_ptrIfEEEEPS6_SG_NS0_5tupleIJNSA_16discard_iteratorINSA_11use_defaultEEES6_EEENSH_IJSG_SG_EEES6_PlJNSB_9not_fun_tINSB_14equal_to_valueIfEEEEEEE10hipError_tPvRmT3_T4_T5_T6_T7_T9_mT8_P12ihipStream_tbDpT10_ENKUlT_T0_E_clISt17integral_constantIbLb0EES1B_EEDaS16_S17_EUlS16_E_NS1_11comp_targetILNS1_3genE8ELNS1_11target_archE1030ELNS1_3gpuE2ELNS1_3repE0EEENS1_30default_config_static_selectorELNS0_4arch9wavefront6targetE0EEEvT1_
    .private_segment_fixed_size: 0
    .sgpr_count:     0
    .sgpr_spill_count: 0
    .symbol:         _ZN7rocprim17ROCPRIM_400000_NS6detail17trampoline_kernelINS0_14default_configENS1_25partition_config_selectorILNS1_17partition_subalgoE6EfNS0_10empty_typeEbEEZZNS1_14partition_implILS5_6ELb0ES3_mN6thrust23THRUST_200600_302600_NS6detail15normal_iteratorINSA_10device_ptrIfEEEEPS6_SG_NS0_5tupleIJNSA_16discard_iteratorINSA_11use_defaultEEES6_EEENSH_IJSG_SG_EEES6_PlJNSB_9not_fun_tINSB_14equal_to_valueIfEEEEEEE10hipError_tPvRmT3_T4_T5_T6_T7_T9_mT8_P12ihipStream_tbDpT10_ENKUlT_T0_E_clISt17integral_constantIbLb0EES1B_EEDaS16_S17_EUlS16_E_NS1_11comp_targetILNS1_3genE8ELNS1_11target_archE1030ELNS1_3gpuE2ELNS1_3repE0EEENS1_30default_config_static_selectorELNS0_4arch9wavefront6targetE0EEEvT1_.kd
    .uniform_work_group_size: 1
    .uses_dynamic_stack: false
    .vgpr_count:     0
    .vgpr_spill_count: 0
    .wavefront_size: 32
    .workgroup_processor_mode: 1
  - .args:
      - .offset:         0
        .size:           136
        .value_kind:     by_value
    .group_segment_fixed_size: 0
    .kernarg_segment_align: 8
    .kernarg_segment_size: 136
    .language:       OpenCL C
    .language_version:
      - 2
      - 0
    .max_flat_workgroup_size: 256
    .name:           _ZN7rocprim17ROCPRIM_400000_NS6detail17trampoline_kernelINS0_14default_configENS1_25partition_config_selectorILNS1_17partition_subalgoE6EfNS0_10empty_typeEbEEZZNS1_14partition_implILS5_6ELb0ES3_mN6thrust23THRUST_200600_302600_NS6detail15normal_iteratorINSA_10device_ptrIfEEEEPS6_SG_NS0_5tupleIJNSA_16discard_iteratorINSA_11use_defaultEEES6_EEENSH_IJSG_SG_EEES6_PlJNSB_9not_fun_tINSB_14equal_to_valueIfEEEEEEE10hipError_tPvRmT3_T4_T5_T6_T7_T9_mT8_P12ihipStream_tbDpT10_ENKUlT_T0_E_clISt17integral_constantIbLb1EES1B_EEDaS16_S17_EUlS16_E_NS1_11comp_targetILNS1_3genE0ELNS1_11target_archE4294967295ELNS1_3gpuE0ELNS1_3repE0EEENS1_30default_config_static_selectorELNS0_4arch9wavefront6targetE0EEEvT1_
    .private_segment_fixed_size: 0
    .sgpr_count:     0
    .sgpr_spill_count: 0
    .symbol:         _ZN7rocprim17ROCPRIM_400000_NS6detail17trampoline_kernelINS0_14default_configENS1_25partition_config_selectorILNS1_17partition_subalgoE6EfNS0_10empty_typeEbEEZZNS1_14partition_implILS5_6ELb0ES3_mN6thrust23THRUST_200600_302600_NS6detail15normal_iteratorINSA_10device_ptrIfEEEEPS6_SG_NS0_5tupleIJNSA_16discard_iteratorINSA_11use_defaultEEES6_EEENSH_IJSG_SG_EEES6_PlJNSB_9not_fun_tINSB_14equal_to_valueIfEEEEEEE10hipError_tPvRmT3_T4_T5_T6_T7_T9_mT8_P12ihipStream_tbDpT10_ENKUlT_T0_E_clISt17integral_constantIbLb1EES1B_EEDaS16_S17_EUlS16_E_NS1_11comp_targetILNS1_3genE0ELNS1_11target_archE4294967295ELNS1_3gpuE0ELNS1_3repE0EEENS1_30default_config_static_selectorELNS0_4arch9wavefront6targetE0EEEvT1_.kd
    .uniform_work_group_size: 1
    .uses_dynamic_stack: false
    .vgpr_count:     0
    .vgpr_spill_count: 0
    .wavefront_size: 32
    .workgroup_processor_mode: 1
  - .args:
      - .offset:         0
        .size:           136
        .value_kind:     by_value
    .group_segment_fixed_size: 0
    .kernarg_segment_align: 8
    .kernarg_segment_size: 136
    .language:       OpenCL C
    .language_version:
      - 2
      - 0
    .max_flat_workgroup_size: 512
    .name:           _ZN7rocprim17ROCPRIM_400000_NS6detail17trampoline_kernelINS0_14default_configENS1_25partition_config_selectorILNS1_17partition_subalgoE6EfNS0_10empty_typeEbEEZZNS1_14partition_implILS5_6ELb0ES3_mN6thrust23THRUST_200600_302600_NS6detail15normal_iteratorINSA_10device_ptrIfEEEEPS6_SG_NS0_5tupleIJNSA_16discard_iteratorINSA_11use_defaultEEES6_EEENSH_IJSG_SG_EEES6_PlJNSB_9not_fun_tINSB_14equal_to_valueIfEEEEEEE10hipError_tPvRmT3_T4_T5_T6_T7_T9_mT8_P12ihipStream_tbDpT10_ENKUlT_T0_E_clISt17integral_constantIbLb1EES1B_EEDaS16_S17_EUlS16_E_NS1_11comp_targetILNS1_3genE5ELNS1_11target_archE942ELNS1_3gpuE9ELNS1_3repE0EEENS1_30default_config_static_selectorELNS0_4arch9wavefront6targetE0EEEvT1_
    .private_segment_fixed_size: 0
    .sgpr_count:     0
    .sgpr_spill_count: 0
    .symbol:         _ZN7rocprim17ROCPRIM_400000_NS6detail17trampoline_kernelINS0_14default_configENS1_25partition_config_selectorILNS1_17partition_subalgoE6EfNS0_10empty_typeEbEEZZNS1_14partition_implILS5_6ELb0ES3_mN6thrust23THRUST_200600_302600_NS6detail15normal_iteratorINSA_10device_ptrIfEEEEPS6_SG_NS0_5tupleIJNSA_16discard_iteratorINSA_11use_defaultEEES6_EEENSH_IJSG_SG_EEES6_PlJNSB_9not_fun_tINSB_14equal_to_valueIfEEEEEEE10hipError_tPvRmT3_T4_T5_T6_T7_T9_mT8_P12ihipStream_tbDpT10_ENKUlT_T0_E_clISt17integral_constantIbLb1EES1B_EEDaS16_S17_EUlS16_E_NS1_11comp_targetILNS1_3genE5ELNS1_11target_archE942ELNS1_3gpuE9ELNS1_3repE0EEENS1_30default_config_static_selectorELNS0_4arch9wavefront6targetE0EEEvT1_.kd
    .uniform_work_group_size: 1
    .uses_dynamic_stack: false
    .vgpr_count:     0
    .vgpr_spill_count: 0
    .wavefront_size: 32
    .workgroup_processor_mode: 1
  - .args:
      - .offset:         0
        .size:           136
        .value_kind:     by_value
    .group_segment_fixed_size: 0
    .kernarg_segment_align: 8
    .kernarg_segment_size: 136
    .language:       OpenCL C
    .language_version:
      - 2
      - 0
    .max_flat_workgroup_size: 512
    .name:           _ZN7rocprim17ROCPRIM_400000_NS6detail17trampoline_kernelINS0_14default_configENS1_25partition_config_selectorILNS1_17partition_subalgoE6EfNS0_10empty_typeEbEEZZNS1_14partition_implILS5_6ELb0ES3_mN6thrust23THRUST_200600_302600_NS6detail15normal_iteratorINSA_10device_ptrIfEEEEPS6_SG_NS0_5tupleIJNSA_16discard_iteratorINSA_11use_defaultEEES6_EEENSH_IJSG_SG_EEES6_PlJNSB_9not_fun_tINSB_14equal_to_valueIfEEEEEEE10hipError_tPvRmT3_T4_T5_T6_T7_T9_mT8_P12ihipStream_tbDpT10_ENKUlT_T0_E_clISt17integral_constantIbLb1EES1B_EEDaS16_S17_EUlS16_E_NS1_11comp_targetILNS1_3genE4ELNS1_11target_archE910ELNS1_3gpuE8ELNS1_3repE0EEENS1_30default_config_static_selectorELNS0_4arch9wavefront6targetE0EEEvT1_
    .private_segment_fixed_size: 0
    .sgpr_count:     0
    .sgpr_spill_count: 0
    .symbol:         _ZN7rocprim17ROCPRIM_400000_NS6detail17trampoline_kernelINS0_14default_configENS1_25partition_config_selectorILNS1_17partition_subalgoE6EfNS0_10empty_typeEbEEZZNS1_14partition_implILS5_6ELb0ES3_mN6thrust23THRUST_200600_302600_NS6detail15normal_iteratorINSA_10device_ptrIfEEEEPS6_SG_NS0_5tupleIJNSA_16discard_iteratorINSA_11use_defaultEEES6_EEENSH_IJSG_SG_EEES6_PlJNSB_9not_fun_tINSB_14equal_to_valueIfEEEEEEE10hipError_tPvRmT3_T4_T5_T6_T7_T9_mT8_P12ihipStream_tbDpT10_ENKUlT_T0_E_clISt17integral_constantIbLb1EES1B_EEDaS16_S17_EUlS16_E_NS1_11comp_targetILNS1_3genE4ELNS1_11target_archE910ELNS1_3gpuE8ELNS1_3repE0EEENS1_30default_config_static_selectorELNS0_4arch9wavefront6targetE0EEEvT1_.kd
    .uniform_work_group_size: 1
    .uses_dynamic_stack: false
    .vgpr_count:     0
    .vgpr_spill_count: 0
    .wavefront_size: 32
    .workgroup_processor_mode: 1
  - .args:
      - .offset:         0
        .size:           136
        .value_kind:     by_value
    .group_segment_fixed_size: 0
    .kernarg_segment_align: 8
    .kernarg_segment_size: 136
    .language:       OpenCL C
    .language_version:
      - 2
      - 0
    .max_flat_workgroup_size: 256
    .name:           _ZN7rocprim17ROCPRIM_400000_NS6detail17trampoline_kernelINS0_14default_configENS1_25partition_config_selectorILNS1_17partition_subalgoE6EfNS0_10empty_typeEbEEZZNS1_14partition_implILS5_6ELb0ES3_mN6thrust23THRUST_200600_302600_NS6detail15normal_iteratorINSA_10device_ptrIfEEEEPS6_SG_NS0_5tupleIJNSA_16discard_iteratorINSA_11use_defaultEEES6_EEENSH_IJSG_SG_EEES6_PlJNSB_9not_fun_tINSB_14equal_to_valueIfEEEEEEE10hipError_tPvRmT3_T4_T5_T6_T7_T9_mT8_P12ihipStream_tbDpT10_ENKUlT_T0_E_clISt17integral_constantIbLb1EES1B_EEDaS16_S17_EUlS16_E_NS1_11comp_targetILNS1_3genE3ELNS1_11target_archE908ELNS1_3gpuE7ELNS1_3repE0EEENS1_30default_config_static_selectorELNS0_4arch9wavefront6targetE0EEEvT1_
    .private_segment_fixed_size: 0
    .sgpr_count:     0
    .sgpr_spill_count: 0
    .symbol:         _ZN7rocprim17ROCPRIM_400000_NS6detail17trampoline_kernelINS0_14default_configENS1_25partition_config_selectorILNS1_17partition_subalgoE6EfNS0_10empty_typeEbEEZZNS1_14partition_implILS5_6ELb0ES3_mN6thrust23THRUST_200600_302600_NS6detail15normal_iteratorINSA_10device_ptrIfEEEEPS6_SG_NS0_5tupleIJNSA_16discard_iteratorINSA_11use_defaultEEES6_EEENSH_IJSG_SG_EEES6_PlJNSB_9not_fun_tINSB_14equal_to_valueIfEEEEEEE10hipError_tPvRmT3_T4_T5_T6_T7_T9_mT8_P12ihipStream_tbDpT10_ENKUlT_T0_E_clISt17integral_constantIbLb1EES1B_EEDaS16_S17_EUlS16_E_NS1_11comp_targetILNS1_3genE3ELNS1_11target_archE908ELNS1_3gpuE7ELNS1_3repE0EEENS1_30default_config_static_selectorELNS0_4arch9wavefront6targetE0EEEvT1_.kd
    .uniform_work_group_size: 1
    .uses_dynamic_stack: false
    .vgpr_count:     0
    .vgpr_spill_count: 0
    .wavefront_size: 32
    .workgroup_processor_mode: 1
  - .args:
      - .offset:         0
        .size:           136
        .value_kind:     by_value
    .group_segment_fixed_size: 0
    .kernarg_segment_align: 8
    .kernarg_segment_size: 136
    .language:       OpenCL C
    .language_version:
      - 2
      - 0
    .max_flat_workgroup_size: 256
    .name:           _ZN7rocprim17ROCPRIM_400000_NS6detail17trampoline_kernelINS0_14default_configENS1_25partition_config_selectorILNS1_17partition_subalgoE6EfNS0_10empty_typeEbEEZZNS1_14partition_implILS5_6ELb0ES3_mN6thrust23THRUST_200600_302600_NS6detail15normal_iteratorINSA_10device_ptrIfEEEEPS6_SG_NS0_5tupleIJNSA_16discard_iteratorINSA_11use_defaultEEES6_EEENSH_IJSG_SG_EEES6_PlJNSB_9not_fun_tINSB_14equal_to_valueIfEEEEEEE10hipError_tPvRmT3_T4_T5_T6_T7_T9_mT8_P12ihipStream_tbDpT10_ENKUlT_T0_E_clISt17integral_constantIbLb1EES1B_EEDaS16_S17_EUlS16_E_NS1_11comp_targetILNS1_3genE2ELNS1_11target_archE906ELNS1_3gpuE6ELNS1_3repE0EEENS1_30default_config_static_selectorELNS0_4arch9wavefront6targetE0EEEvT1_
    .private_segment_fixed_size: 0
    .sgpr_count:     0
    .sgpr_spill_count: 0
    .symbol:         _ZN7rocprim17ROCPRIM_400000_NS6detail17trampoline_kernelINS0_14default_configENS1_25partition_config_selectorILNS1_17partition_subalgoE6EfNS0_10empty_typeEbEEZZNS1_14partition_implILS5_6ELb0ES3_mN6thrust23THRUST_200600_302600_NS6detail15normal_iteratorINSA_10device_ptrIfEEEEPS6_SG_NS0_5tupleIJNSA_16discard_iteratorINSA_11use_defaultEEES6_EEENSH_IJSG_SG_EEES6_PlJNSB_9not_fun_tINSB_14equal_to_valueIfEEEEEEE10hipError_tPvRmT3_T4_T5_T6_T7_T9_mT8_P12ihipStream_tbDpT10_ENKUlT_T0_E_clISt17integral_constantIbLb1EES1B_EEDaS16_S17_EUlS16_E_NS1_11comp_targetILNS1_3genE2ELNS1_11target_archE906ELNS1_3gpuE6ELNS1_3repE0EEENS1_30default_config_static_selectorELNS0_4arch9wavefront6targetE0EEEvT1_.kd
    .uniform_work_group_size: 1
    .uses_dynamic_stack: false
    .vgpr_count:     0
    .vgpr_spill_count: 0
    .wavefront_size: 32
    .workgroup_processor_mode: 1
  - .args:
      - .offset:         0
        .size:           136
        .value_kind:     by_value
    .group_segment_fixed_size: 0
    .kernarg_segment_align: 8
    .kernarg_segment_size: 136
    .language:       OpenCL C
    .language_version:
      - 2
      - 0
    .max_flat_workgroup_size: 384
    .name:           _ZN7rocprim17ROCPRIM_400000_NS6detail17trampoline_kernelINS0_14default_configENS1_25partition_config_selectorILNS1_17partition_subalgoE6EfNS0_10empty_typeEbEEZZNS1_14partition_implILS5_6ELb0ES3_mN6thrust23THRUST_200600_302600_NS6detail15normal_iteratorINSA_10device_ptrIfEEEEPS6_SG_NS0_5tupleIJNSA_16discard_iteratorINSA_11use_defaultEEES6_EEENSH_IJSG_SG_EEES6_PlJNSB_9not_fun_tINSB_14equal_to_valueIfEEEEEEE10hipError_tPvRmT3_T4_T5_T6_T7_T9_mT8_P12ihipStream_tbDpT10_ENKUlT_T0_E_clISt17integral_constantIbLb1EES1B_EEDaS16_S17_EUlS16_E_NS1_11comp_targetILNS1_3genE10ELNS1_11target_archE1200ELNS1_3gpuE4ELNS1_3repE0EEENS1_30default_config_static_selectorELNS0_4arch9wavefront6targetE0EEEvT1_
    .private_segment_fixed_size: 0
    .sgpr_count:     0
    .sgpr_spill_count: 0
    .symbol:         _ZN7rocprim17ROCPRIM_400000_NS6detail17trampoline_kernelINS0_14default_configENS1_25partition_config_selectorILNS1_17partition_subalgoE6EfNS0_10empty_typeEbEEZZNS1_14partition_implILS5_6ELb0ES3_mN6thrust23THRUST_200600_302600_NS6detail15normal_iteratorINSA_10device_ptrIfEEEEPS6_SG_NS0_5tupleIJNSA_16discard_iteratorINSA_11use_defaultEEES6_EEENSH_IJSG_SG_EEES6_PlJNSB_9not_fun_tINSB_14equal_to_valueIfEEEEEEE10hipError_tPvRmT3_T4_T5_T6_T7_T9_mT8_P12ihipStream_tbDpT10_ENKUlT_T0_E_clISt17integral_constantIbLb1EES1B_EEDaS16_S17_EUlS16_E_NS1_11comp_targetILNS1_3genE10ELNS1_11target_archE1200ELNS1_3gpuE4ELNS1_3repE0EEENS1_30default_config_static_selectorELNS0_4arch9wavefront6targetE0EEEvT1_.kd
    .uniform_work_group_size: 1
    .uses_dynamic_stack: false
    .vgpr_count:     0
    .vgpr_spill_count: 0
    .wavefront_size: 32
    .workgroup_processor_mode: 1
  - .args:
      - .offset:         0
        .size:           136
        .value_kind:     by_value
    .group_segment_fixed_size: 0
    .kernarg_segment_align: 8
    .kernarg_segment_size: 136
    .language:       OpenCL C
    .language_version:
      - 2
      - 0
    .max_flat_workgroup_size: 128
    .name:           _ZN7rocprim17ROCPRIM_400000_NS6detail17trampoline_kernelINS0_14default_configENS1_25partition_config_selectorILNS1_17partition_subalgoE6EfNS0_10empty_typeEbEEZZNS1_14partition_implILS5_6ELb0ES3_mN6thrust23THRUST_200600_302600_NS6detail15normal_iteratorINSA_10device_ptrIfEEEEPS6_SG_NS0_5tupleIJNSA_16discard_iteratorINSA_11use_defaultEEES6_EEENSH_IJSG_SG_EEES6_PlJNSB_9not_fun_tINSB_14equal_to_valueIfEEEEEEE10hipError_tPvRmT3_T4_T5_T6_T7_T9_mT8_P12ihipStream_tbDpT10_ENKUlT_T0_E_clISt17integral_constantIbLb1EES1B_EEDaS16_S17_EUlS16_E_NS1_11comp_targetILNS1_3genE9ELNS1_11target_archE1100ELNS1_3gpuE3ELNS1_3repE0EEENS1_30default_config_static_selectorELNS0_4arch9wavefront6targetE0EEEvT1_
    .private_segment_fixed_size: 0
    .sgpr_count:     0
    .sgpr_spill_count: 0
    .symbol:         _ZN7rocprim17ROCPRIM_400000_NS6detail17trampoline_kernelINS0_14default_configENS1_25partition_config_selectorILNS1_17partition_subalgoE6EfNS0_10empty_typeEbEEZZNS1_14partition_implILS5_6ELb0ES3_mN6thrust23THRUST_200600_302600_NS6detail15normal_iteratorINSA_10device_ptrIfEEEEPS6_SG_NS0_5tupleIJNSA_16discard_iteratorINSA_11use_defaultEEES6_EEENSH_IJSG_SG_EEES6_PlJNSB_9not_fun_tINSB_14equal_to_valueIfEEEEEEE10hipError_tPvRmT3_T4_T5_T6_T7_T9_mT8_P12ihipStream_tbDpT10_ENKUlT_T0_E_clISt17integral_constantIbLb1EES1B_EEDaS16_S17_EUlS16_E_NS1_11comp_targetILNS1_3genE9ELNS1_11target_archE1100ELNS1_3gpuE3ELNS1_3repE0EEENS1_30default_config_static_selectorELNS0_4arch9wavefront6targetE0EEEvT1_.kd
    .uniform_work_group_size: 1
    .uses_dynamic_stack: false
    .vgpr_count:     0
    .vgpr_spill_count: 0
    .wavefront_size: 32
    .workgroup_processor_mode: 1
  - .args:
      - .offset:         0
        .size:           136
        .value_kind:     by_value
    .group_segment_fixed_size: 0
    .kernarg_segment_align: 8
    .kernarg_segment_size: 136
    .language:       OpenCL C
    .language_version:
      - 2
      - 0
    .max_flat_workgroup_size: 512
    .name:           _ZN7rocprim17ROCPRIM_400000_NS6detail17trampoline_kernelINS0_14default_configENS1_25partition_config_selectorILNS1_17partition_subalgoE6EfNS0_10empty_typeEbEEZZNS1_14partition_implILS5_6ELb0ES3_mN6thrust23THRUST_200600_302600_NS6detail15normal_iteratorINSA_10device_ptrIfEEEEPS6_SG_NS0_5tupleIJNSA_16discard_iteratorINSA_11use_defaultEEES6_EEENSH_IJSG_SG_EEES6_PlJNSB_9not_fun_tINSB_14equal_to_valueIfEEEEEEE10hipError_tPvRmT3_T4_T5_T6_T7_T9_mT8_P12ihipStream_tbDpT10_ENKUlT_T0_E_clISt17integral_constantIbLb1EES1B_EEDaS16_S17_EUlS16_E_NS1_11comp_targetILNS1_3genE8ELNS1_11target_archE1030ELNS1_3gpuE2ELNS1_3repE0EEENS1_30default_config_static_selectorELNS0_4arch9wavefront6targetE0EEEvT1_
    .private_segment_fixed_size: 0
    .sgpr_count:     0
    .sgpr_spill_count: 0
    .symbol:         _ZN7rocprim17ROCPRIM_400000_NS6detail17trampoline_kernelINS0_14default_configENS1_25partition_config_selectorILNS1_17partition_subalgoE6EfNS0_10empty_typeEbEEZZNS1_14partition_implILS5_6ELb0ES3_mN6thrust23THRUST_200600_302600_NS6detail15normal_iteratorINSA_10device_ptrIfEEEEPS6_SG_NS0_5tupleIJNSA_16discard_iteratorINSA_11use_defaultEEES6_EEENSH_IJSG_SG_EEES6_PlJNSB_9not_fun_tINSB_14equal_to_valueIfEEEEEEE10hipError_tPvRmT3_T4_T5_T6_T7_T9_mT8_P12ihipStream_tbDpT10_ENKUlT_T0_E_clISt17integral_constantIbLb1EES1B_EEDaS16_S17_EUlS16_E_NS1_11comp_targetILNS1_3genE8ELNS1_11target_archE1030ELNS1_3gpuE2ELNS1_3repE0EEENS1_30default_config_static_selectorELNS0_4arch9wavefront6targetE0EEEvT1_.kd
    .uniform_work_group_size: 1
    .uses_dynamic_stack: false
    .vgpr_count:     0
    .vgpr_spill_count: 0
    .wavefront_size: 32
    .workgroup_processor_mode: 1
  - .args:
      - .offset:         0
        .size:           128
        .value_kind:     by_value
    .group_segment_fixed_size: 0
    .kernarg_segment_align: 8
    .kernarg_segment_size: 128
    .language:       OpenCL C
    .language_version:
      - 2
      - 0
    .max_flat_workgroup_size: 256
    .name:           _ZN7rocprim17ROCPRIM_400000_NS6detail17trampoline_kernelINS0_14default_configENS1_25partition_config_selectorILNS1_17partition_subalgoE6EfNS0_10empty_typeEbEEZZNS1_14partition_implILS5_6ELb0ES3_mN6thrust23THRUST_200600_302600_NS6detail15normal_iteratorINSA_10device_ptrIfEEEEPS6_SG_NS0_5tupleIJNSA_16discard_iteratorINSA_11use_defaultEEES6_EEENSH_IJSG_SG_EEES6_PlJNSB_9not_fun_tINSB_14equal_to_valueIfEEEEEEE10hipError_tPvRmT3_T4_T5_T6_T7_T9_mT8_P12ihipStream_tbDpT10_ENKUlT_T0_E_clISt17integral_constantIbLb1EES1A_IbLb0EEEEDaS16_S17_EUlS16_E_NS1_11comp_targetILNS1_3genE0ELNS1_11target_archE4294967295ELNS1_3gpuE0ELNS1_3repE0EEENS1_30default_config_static_selectorELNS0_4arch9wavefront6targetE0EEEvT1_
    .private_segment_fixed_size: 0
    .sgpr_count:     0
    .sgpr_spill_count: 0
    .symbol:         _ZN7rocprim17ROCPRIM_400000_NS6detail17trampoline_kernelINS0_14default_configENS1_25partition_config_selectorILNS1_17partition_subalgoE6EfNS0_10empty_typeEbEEZZNS1_14partition_implILS5_6ELb0ES3_mN6thrust23THRUST_200600_302600_NS6detail15normal_iteratorINSA_10device_ptrIfEEEEPS6_SG_NS0_5tupleIJNSA_16discard_iteratorINSA_11use_defaultEEES6_EEENSH_IJSG_SG_EEES6_PlJNSB_9not_fun_tINSB_14equal_to_valueIfEEEEEEE10hipError_tPvRmT3_T4_T5_T6_T7_T9_mT8_P12ihipStream_tbDpT10_ENKUlT_T0_E_clISt17integral_constantIbLb1EES1A_IbLb0EEEEDaS16_S17_EUlS16_E_NS1_11comp_targetILNS1_3genE0ELNS1_11target_archE4294967295ELNS1_3gpuE0ELNS1_3repE0EEENS1_30default_config_static_selectorELNS0_4arch9wavefront6targetE0EEEvT1_.kd
    .uniform_work_group_size: 1
    .uses_dynamic_stack: false
    .vgpr_count:     0
    .vgpr_spill_count: 0
    .wavefront_size: 32
    .workgroup_processor_mode: 1
  - .args:
      - .offset:         0
        .size:           128
        .value_kind:     by_value
    .group_segment_fixed_size: 0
    .kernarg_segment_align: 8
    .kernarg_segment_size: 128
    .language:       OpenCL C
    .language_version:
      - 2
      - 0
    .max_flat_workgroup_size: 512
    .name:           _ZN7rocprim17ROCPRIM_400000_NS6detail17trampoline_kernelINS0_14default_configENS1_25partition_config_selectorILNS1_17partition_subalgoE6EfNS0_10empty_typeEbEEZZNS1_14partition_implILS5_6ELb0ES3_mN6thrust23THRUST_200600_302600_NS6detail15normal_iteratorINSA_10device_ptrIfEEEEPS6_SG_NS0_5tupleIJNSA_16discard_iteratorINSA_11use_defaultEEES6_EEENSH_IJSG_SG_EEES6_PlJNSB_9not_fun_tINSB_14equal_to_valueIfEEEEEEE10hipError_tPvRmT3_T4_T5_T6_T7_T9_mT8_P12ihipStream_tbDpT10_ENKUlT_T0_E_clISt17integral_constantIbLb1EES1A_IbLb0EEEEDaS16_S17_EUlS16_E_NS1_11comp_targetILNS1_3genE5ELNS1_11target_archE942ELNS1_3gpuE9ELNS1_3repE0EEENS1_30default_config_static_selectorELNS0_4arch9wavefront6targetE0EEEvT1_
    .private_segment_fixed_size: 0
    .sgpr_count:     0
    .sgpr_spill_count: 0
    .symbol:         _ZN7rocprim17ROCPRIM_400000_NS6detail17trampoline_kernelINS0_14default_configENS1_25partition_config_selectorILNS1_17partition_subalgoE6EfNS0_10empty_typeEbEEZZNS1_14partition_implILS5_6ELb0ES3_mN6thrust23THRUST_200600_302600_NS6detail15normal_iteratorINSA_10device_ptrIfEEEEPS6_SG_NS0_5tupleIJNSA_16discard_iteratorINSA_11use_defaultEEES6_EEENSH_IJSG_SG_EEES6_PlJNSB_9not_fun_tINSB_14equal_to_valueIfEEEEEEE10hipError_tPvRmT3_T4_T5_T6_T7_T9_mT8_P12ihipStream_tbDpT10_ENKUlT_T0_E_clISt17integral_constantIbLb1EES1A_IbLb0EEEEDaS16_S17_EUlS16_E_NS1_11comp_targetILNS1_3genE5ELNS1_11target_archE942ELNS1_3gpuE9ELNS1_3repE0EEENS1_30default_config_static_selectorELNS0_4arch9wavefront6targetE0EEEvT1_.kd
    .uniform_work_group_size: 1
    .uses_dynamic_stack: false
    .vgpr_count:     0
    .vgpr_spill_count: 0
    .wavefront_size: 32
    .workgroup_processor_mode: 1
  - .args:
      - .offset:         0
        .size:           128
        .value_kind:     by_value
    .group_segment_fixed_size: 0
    .kernarg_segment_align: 8
    .kernarg_segment_size: 128
    .language:       OpenCL C
    .language_version:
      - 2
      - 0
    .max_flat_workgroup_size: 512
    .name:           _ZN7rocprim17ROCPRIM_400000_NS6detail17trampoline_kernelINS0_14default_configENS1_25partition_config_selectorILNS1_17partition_subalgoE6EfNS0_10empty_typeEbEEZZNS1_14partition_implILS5_6ELb0ES3_mN6thrust23THRUST_200600_302600_NS6detail15normal_iteratorINSA_10device_ptrIfEEEEPS6_SG_NS0_5tupleIJNSA_16discard_iteratorINSA_11use_defaultEEES6_EEENSH_IJSG_SG_EEES6_PlJNSB_9not_fun_tINSB_14equal_to_valueIfEEEEEEE10hipError_tPvRmT3_T4_T5_T6_T7_T9_mT8_P12ihipStream_tbDpT10_ENKUlT_T0_E_clISt17integral_constantIbLb1EES1A_IbLb0EEEEDaS16_S17_EUlS16_E_NS1_11comp_targetILNS1_3genE4ELNS1_11target_archE910ELNS1_3gpuE8ELNS1_3repE0EEENS1_30default_config_static_selectorELNS0_4arch9wavefront6targetE0EEEvT1_
    .private_segment_fixed_size: 0
    .sgpr_count:     0
    .sgpr_spill_count: 0
    .symbol:         _ZN7rocprim17ROCPRIM_400000_NS6detail17trampoline_kernelINS0_14default_configENS1_25partition_config_selectorILNS1_17partition_subalgoE6EfNS0_10empty_typeEbEEZZNS1_14partition_implILS5_6ELb0ES3_mN6thrust23THRUST_200600_302600_NS6detail15normal_iteratorINSA_10device_ptrIfEEEEPS6_SG_NS0_5tupleIJNSA_16discard_iteratorINSA_11use_defaultEEES6_EEENSH_IJSG_SG_EEES6_PlJNSB_9not_fun_tINSB_14equal_to_valueIfEEEEEEE10hipError_tPvRmT3_T4_T5_T6_T7_T9_mT8_P12ihipStream_tbDpT10_ENKUlT_T0_E_clISt17integral_constantIbLb1EES1A_IbLb0EEEEDaS16_S17_EUlS16_E_NS1_11comp_targetILNS1_3genE4ELNS1_11target_archE910ELNS1_3gpuE8ELNS1_3repE0EEENS1_30default_config_static_selectorELNS0_4arch9wavefront6targetE0EEEvT1_.kd
    .uniform_work_group_size: 1
    .uses_dynamic_stack: false
    .vgpr_count:     0
    .vgpr_spill_count: 0
    .wavefront_size: 32
    .workgroup_processor_mode: 1
  - .args:
      - .offset:         0
        .size:           128
        .value_kind:     by_value
    .group_segment_fixed_size: 0
    .kernarg_segment_align: 8
    .kernarg_segment_size: 128
    .language:       OpenCL C
    .language_version:
      - 2
      - 0
    .max_flat_workgroup_size: 256
    .name:           _ZN7rocprim17ROCPRIM_400000_NS6detail17trampoline_kernelINS0_14default_configENS1_25partition_config_selectorILNS1_17partition_subalgoE6EfNS0_10empty_typeEbEEZZNS1_14partition_implILS5_6ELb0ES3_mN6thrust23THRUST_200600_302600_NS6detail15normal_iteratorINSA_10device_ptrIfEEEEPS6_SG_NS0_5tupleIJNSA_16discard_iteratorINSA_11use_defaultEEES6_EEENSH_IJSG_SG_EEES6_PlJNSB_9not_fun_tINSB_14equal_to_valueIfEEEEEEE10hipError_tPvRmT3_T4_T5_T6_T7_T9_mT8_P12ihipStream_tbDpT10_ENKUlT_T0_E_clISt17integral_constantIbLb1EES1A_IbLb0EEEEDaS16_S17_EUlS16_E_NS1_11comp_targetILNS1_3genE3ELNS1_11target_archE908ELNS1_3gpuE7ELNS1_3repE0EEENS1_30default_config_static_selectorELNS0_4arch9wavefront6targetE0EEEvT1_
    .private_segment_fixed_size: 0
    .sgpr_count:     0
    .sgpr_spill_count: 0
    .symbol:         _ZN7rocprim17ROCPRIM_400000_NS6detail17trampoline_kernelINS0_14default_configENS1_25partition_config_selectorILNS1_17partition_subalgoE6EfNS0_10empty_typeEbEEZZNS1_14partition_implILS5_6ELb0ES3_mN6thrust23THRUST_200600_302600_NS6detail15normal_iteratorINSA_10device_ptrIfEEEEPS6_SG_NS0_5tupleIJNSA_16discard_iteratorINSA_11use_defaultEEES6_EEENSH_IJSG_SG_EEES6_PlJNSB_9not_fun_tINSB_14equal_to_valueIfEEEEEEE10hipError_tPvRmT3_T4_T5_T6_T7_T9_mT8_P12ihipStream_tbDpT10_ENKUlT_T0_E_clISt17integral_constantIbLb1EES1A_IbLb0EEEEDaS16_S17_EUlS16_E_NS1_11comp_targetILNS1_3genE3ELNS1_11target_archE908ELNS1_3gpuE7ELNS1_3repE0EEENS1_30default_config_static_selectorELNS0_4arch9wavefront6targetE0EEEvT1_.kd
    .uniform_work_group_size: 1
    .uses_dynamic_stack: false
    .vgpr_count:     0
    .vgpr_spill_count: 0
    .wavefront_size: 32
    .workgroup_processor_mode: 1
  - .args:
      - .offset:         0
        .size:           128
        .value_kind:     by_value
    .group_segment_fixed_size: 0
    .kernarg_segment_align: 8
    .kernarg_segment_size: 128
    .language:       OpenCL C
    .language_version:
      - 2
      - 0
    .max_flat_workgroup_size: 256
    .name:           _ZN7rocprim17ROCPRIM_400000_NS6detail17trampoline_kernelINS0_14default_configENS1_25partition_config_selectorILNS1_17partition_subalgoE6EfNS0_10empty_typeEbEEZZNS1_14partition_implILS5_6ELb0ES3_mN6thrust23THRUST_200600_302600_NS6detail15normal_iteratorINSA_10device_ptrIfEEEEPS6_SG_NS0_5tupleIJNSA_16discard_iteratorINSA_11use_defaultEEES6_EEENSH_IJSG_SG_EEES6_PlJNSB_9not_fun_tINSB_14equal_to_valueIfEEEEEEE10hipError_tPvRmT3_T4_T5_T6_T7_T9_mT8_P12ihipStream_tbDpT10_ENKUlT_T0_E_clISt17integral_constantIbLb1EES1A_IbLb0EEEEDaS16_S17_EUlS16_E_NS1_11comp_targetILNS1_3genE2ELNS1_11target_archE906ELNS1_3gpuE6ELNS1_3repE0EEENS1_30default_config_static_selectorELNS0_4arch9wavefront6targetE0EEEvT1_
    .private_segment_fixed_size: 0
    .sgpr_count:     0
    .sgpr_spill_count: 0
    .symbol:         _ZN7rocprim17ROCPRIM_400000_NS6detail17trampoline_kernelINS0_14default_configENS1_25partition_config_selectorILNS1_17partition_subalgoE6EfNS0_10empty_typeEbEEZZNS1_14partition_implILS5_6ELb0ES3_mN6thrust23THRUST_200600_302600_NS6detail15normal_iteratorINSA_10device_ptrIfEEEEPS6_SG_NS0_5tupleIJNSA_16discard_iteratorINSA_11use_defaultEEES6_EEENSH_IJSG_SG_EEES6_PlJNSB_9not_fun_tINSB_14equal_to_valueIfEEEEEEE10hipError_tPvRmT3_T4_T5_T6_T7_T9_mT8_P12ihipStream_tbDpT10_ENKUlT_T0_E_clISt17integral_constantIbLb1EES1A_IbLb0EEEEDaS16_S17_EUlS16_E_NS1_11comp_targetILNS1_3genE2ELNS1_11target_archE906ELNS1_3gpuE6ELNS1_3repE0EEENS1_30default_config_static_selectorELNS0_4arch9wavefront6targetE0EEEvT1_.kd
    .uniform_work_group_size: 1
    .uses_dynamic_stack: false
    .vgpr_count:     0
    .vgpr_spill_count: 0
    .wavefront_size: 32
    .workgroup_processor_mode: 1
  - .args:
      - .offset:         0
        .size:           128
        .value_kind:     by_value
    .group_segment_fixed_size: 0
    .kernarg_segment_align: 8
    .kernarg_segment_size: 128
    .language:       OpenCL C
    .language_version:
      - 2
      - 0
    .max_flat_workgroup_size: 384
    .name:           _ZN7rocprim17ROCPRIM_400000_NS6detail17trampoline_kernelINS0_14default_configENS1_25partition_config_selectorILNS1_17partition_subalgoE6EfNS0_10empty_typeEbEEZZNS1_14partition_implILS5_6ELb0ES3_mN6thrust23THRUST_200600_302600_NS6detail15normal_iteratorINSA_10device_ptrIfEEEEPS6_SG_NS0_5tupleIJNSA_16discard_iteratorINSA_11use_defaultEEES6_EEENSH_IJSG_SG_EEES6_PlJNSB_9not_fun_tINSB_14equal_to_valueIfEEEEEEE10hipError_tPvRmT3_T4_T5_T6_T7_T9_mT8_P12ihipStream_tbDpT10_ENKUlT_T0_E_clISt17integral_constantIbLb1EES1A_IbLb0EEEEDaS16_S17_EUlS16_E_NS1_11comp_targetILNS1_3genE10ELNS1_11target_archE1200ELNS1_3gpuE4ELNS1_3repE0EEENS1_30default_config_static_selectorELNS0_4arch9wavefront6targetE0EEEvT1_
    .private_segment_fixed_size: 0
    .sgpr_count:     0
    .sgpr_spill_count: 0
    .symbol:         _ZN7rocprim17ROCPRIM_400000_NS6detail17trampoline_kernelINS0_14default_configENS1_25partition_config_selectorILNS1_17partition_subalgoE6EfNS0_10empty_typeEbEEZZNS1_14partition_implILS5_6ELb0ES3_mN6thrust23THRUST_200600_302600_NS6detail15normal_iteratorINSA_10device_ptrIfEEEEPS6_SG_NS0_5tupleIJNSA_16discard_iteratorINSA_11use_defaultEEES6_EEENSH_IJSG_SG_EEES6_PlJNSB_9not_fun_tINSB_14equal_to_valueIfEEEEEEE10hipError_tPvRmT3_T4_T5_T6_T7_T9_mT8_P12ihipStream_tbDpT10_ENKUlT_T0_E_clISt17integral_constantIbLb1EES1A_IbLb0EEEEDaS16_S17_EUlS16_E_NS1_11comp_targetILNS1_3genE10ELNS1_11target_archE1200ELNS1_3gpuE4ELNS1_3repE0EEENS1_30default_config_static_selectorELNS0_4arch9wavefront6targetE0EEEvT1_.kd
    .uniform_work_group_size: 1
    .uses_dynamic_stack: false
    .vgpr_count:     0
    .vgpr_spill_count: 0
    .wavefront_size: 32
    .workgroup_processor_mode: 1
  - .args:
      - .offset:         0
        .size:           128
        .value_kind:     by_value
    .group_segment_fixed_size: 0
    .kernarg_segment_align: 8
    .kernarg_segment_size: 128
    .language:       OpenCL C
    .language_version:
      - 2
      - 0
    .max_flat_workgroup_size: 128
    .name:           _ZN7rocprim17ROCPRIM_400000_NS6detail17trampoline_kernelINS0_14default_configENS1_25partition_config_selectorILNS1_17partition_subalgoE6EfNS0_10empty_typeEbEEZZNS1_14partition_implILS5_6ELb0ES3_mN6thrust23THRUST_200600_302600_NS6detail15normal_iteratorINSA_10device_ptrIfEEEEPS6_SG_NS0_5tupleIJNSA_16discard_iteratorINSA_11use_defaultEEES6_EEENSH_IJSG_SG_EEES6_PlJNSB_9not_fun_tINSB_14equal_to_valueIfEEEEEEE10hipError_tPvRmT3_T4_T5_T6_T7_T9_mT8_P12ihipStream_tbDpT10_ENKUlT_T0_E_clISt17integral_constantIbLb1EES1A_IbLb0EEEEDaS16_S17_EUlS16_E_NS1_11comp_targetILNS1_3genE9ELNS1_11target_archE1100ELNS1_3gpuE3ELNS1_3repE0EEENS1_30default_config_static_selectorELNS0_4arch9wavefront6targetE0EEEvT1_
    .private_segment_fixed_size: 0
    .sgpr_count:     0
    .sgpr_spill_count: 0
    .symbol:         _ZN7rocprim17ROCPRIM_400000_NS6detail17trampoline_kernelINS0_14default_configENS1_25partition_config_selectorILNS1_17partition_subalgoE6EfNS0_10empty_typeEbEEZZNS1_14partition_implILS5_6ELb0ES3_mN6thrust23THRUST_200600_302600_NS6detail15normal_iteratorINSA_10device_ptrIfEEEEPS6_SG_NS0_5tupleIJNSA_16discard_iteratorINSA_11use_defaultEEES6_EEENSH_IJSG_SG_EEES6_PlJNSB_9not_fun_tINSB_14equal_to_valueIfEEEEEEE10hipError_tPvRmT3_T4_T5_T6_T7_T9_mT8_P12ihipStream_tbDpT10_ENKUlT_T0_E_clISt17integral_constantIbLb1EES1A_IbLb0EEEEDaS16_S17_EUlS16_E_NS1_11comp_targetILNS1_3genE9ELNS1_11target_archE1100ELNS1_3gpuE3ELNS1_3repE0EEENS1_30default_config_static_selectorELNS0_4arch9wavefront6targetE0EEEvT1_.kd
    .uniform_work_group_size: 1
    .uses_dynamic_stack: false
    .vgpr_count:     0
    .vgpr_spill_count: 0
    .wavefront_size: 32
    .workgroup_processor_mode: 1
  - .args:
      - .offset:         0
        .size:           128
        .value_kind:     by_value
    .group_segment_fixed_size: 0
    .kernarg_segment_align: 8
    .kernarg_segment_size: 128
    .language:       OpenCL C
    .language_version:
      - 2
      - 0
    .max_flat_workgroup_size: 512
    .name:           _ZN7rocprim17ROCPRIM_400000_NS6detail17trampoline_kernelINS0_14default_configENS1_25partition_config_selectorILNS1_17partition_subalgoE6EfNS0_10empty_typeEbEEZZNS1_14partition_implILS5_6ELb0ES3_mN6thrust23THRUST_200600_302600_NS6detail15normal_iteratorINSA_10device_ptrIfEEEEPS6_SG_NS0_5tupleIJNSA_16discard_iteratorINSA_11use_defaultEEES6_EEENSH_IJSG_SG_EEES6_PlJNSB_9not_fun_tINSB_14equal_to_valueIfEEEEEEE10hipError_tPvRmT3_T4_T5_T6_T7_T9_mT8_P12ihipStream_tbDpT10_ENKUlT_T0_E_clISt17integral_constantIbLb1EES1A_IbLb0EEEEDaS16_S17_EUlS16_E_NS1_11comp_targetILNS1_3genE8ELNS1_11target_archE1030ELNS1_3gpuE2ELNS1_3repE0EEENS1_30default_config_static_selectorELNS0_4arch9wavefront6targetE0EEEvT1_
    .private_segment_fixed_size: 0
    .sgpr_count:     0
    .sgpr_spill_count: 0
    .symbol:         _ZN7rocprim17ROCPRIM_400000_NS6detail17trampoline_kernelINS0_14default_configENS1_25partition_config_selectorILNS1_17partition_subalgoE6EfNS0_10empty_typeEbEEZZNS1_14partition_implILS5_6ELb0ES3_mN6thrust23THRUST_200600_302600_NS6detail15normal_iteratorINSA_10device_ptrIfEEEEPS6_SG_NS0_5tupleIJNSA_16discard_iteratorINSA_11use_defaultEEES6_EEENSH_IJSG_SG_EEES6_PlJNSB_9not_fun_tINSB_14equal_to_valueIfEEEEEEE10hipError_tPvRmT3_T4_T5_T6_T7_T9_mT8_P12ihipStream_tbDpT10_ENKUlT_T0_E_clISt17integral_constantIbLb1EES1A_IbLb0EEEEDaS16_S17_EUlS16_E_NS1_11comp_targetILNS1_3genE8ELNS1_11target_archE1030ELNS1_3gpuE2ELNS1_3repE0EEENS1_30default_config_static_selectorELNS0_4arch9wavefront6targetE0EEEvT1_.kd
    .uniform_work_group_size: 1
    .uses_dynamic_stack: false
    .vgpr_count:     0
    .vgpr_spill_count: 0
    .wavefront_size: 32
    .workgroup_processor_mode: 1
  - .args:
      - .offset:         0
        .size:           136
        .value_kind:     by_value
    .group_segment_fixed_size: 0
    .kernarg_segment_align: 8
    .kernarg_segment_size: 136
    .language:       OpenCL C
    .language_version:
      - 2
      - 0
    .max_flat_workgroup_size: 256
    .name:           _ZN7rocprim17ROCPRIM_400000_NS6detail17trampoline_kernelINS0_14default_configENS1_25partition_config_selectorILNS1_17partition_subalgoE6EfNS0_10empty_typeEbEEZZNS1_14partition_implILS5_6ELb0ES3_mN6thrust23THRUST_200600_302600_NS6detail15normal_iteratorINSA_10device_ptrIfEEEEPS6_SG_NS0_5tupleIJNSA_16discard_iteratorINSA_11use_defaultEEES6_EEENSH_IJSG_SG_EEES6_PlJNSB_9not_fun_tINSB_14equal_to_valueIfEEEEEEE10hipError_tPvRmT3_T4_T5_T6_T7_T9_mT8_P12ihipStream_tbDpT10_ENKUlT_T0_E_clISt17integral_constantIbLb0EES1A_IbLb1EEEEDaS16_S17_EUlS16_E_NS1_11comp_targetILNS1_3genE0ELNS1_11target_archE4294967295ELNS1_3gpuE0ELNS1_3repE0EEENS1_30default_config_static_selectorELNS0_4arch9wavefront6targetE0EEEvT1_
    .private_segment_fixed_size: 0
    .sgpr_count:     0
    .sgpr_spill_count: 0
    .symbol:         _ZN7rocprim17ROCPRIM_400000_NS6detail17trampoline_kernelINS0_14default_configENS1_25partition_config_selectorILNS1_17partition_subalgoE6EfNS0_10empty_typeEbEEZZNS1_14partition_implILS5_6ELb0ES3_mN6thrust23THRUST_200600_302600_NS6detail15normal_iteratorINSA_10device_ptrIfEEEEPS6_SG_NS0_5tupleIJNSA_16discard_iteratorINSA_11use_defaultEEES6_EEENSH_IJSG_SG_EEES6_PlJNSB_9not_fun_tINSB_14equal_to_valueIfEEEEEEE10hipError_tPvRmT3_T4_T5_T6_T7_T9_mT8_P12ihipStream_tbDpT10_ENKUlT_T0_E_clISt17integral_constantIbLb0EES1A_IbLb1EEEEDaS16_S17_EUlS16_E_NS1_11comp_targetILNS1_3genE0ELNS1_11target_archE4294967295ELNS1_3gpuE0ELNS1_3repE0EEENS1_30default_config_static_selectorELNS0_4arch9wavefront6targetE0EEEvT1_.kd
    .uniform_work_group_size: 1
    .uses_dynamic_stack: false
    .vgpr_count:     0
    .vgpr_spill_count: 0
    .wavefront_size: 32
    .workgroup_processor_mode: 1
  - .args:
      - .offset:         0
        .size:           136
        .value_kind:     by_value
    .group_segment_fixed_size: 0
    .kernarg_segment_align: 8
    .kernarg_segment_size: 136
    .language:       OpenCL C
    .language_version:
      - 2
      - 0
    .max_flat_workgroup_size: 512
    .name:           _ZN7rocprim17ROCPRIM_400000_NS6detail17trampoline_kernelINS0_14default_configENS1_25partition_config_selectorILNS1_17partition_subalgoE6EfNS0_10empty_typeEbEEZZNS1_14partition_implILS5_6ELb0ES3_mN6thrust23THRUST_200600_302600_NS6detail15normal_iteratorINSA_10device_ptrIfEEEEPS6_SG_NS0_5tupleIJNSA_16discard_iteratorINSA_11use_defaultEEES6_EEENSH_IJSG_SG_EEES6_PlJNSB_9not_fun_tINSB_14equal_to_valueIfEEEEEEE10hipError_tPvRmT3_T4_T5_T6_T7_T9_mT8_P12ihipStream_tbDpT10_ENKUlT_T0_E_clISt17integral_constantIbLb0EES1A_IbLb1EEEEDaS16_S17_EUlS16_E_NS1_11comp_targetILNS1_3genE5ELNS1_11target_archE942ELNS1_3gpuE9ELNS1_3repE0EEENS1_30default_config_static_selectorELNS0_4arch9wavefront6targetE0EEEvT1_
    .private_segment_fixed_size: 0
    .sgpr_count:     0
    .sgpr_spill_count: 0
    .symbol:         _ZN7rocprim17ROCPRIM_400000_NS6detail17trampoline_kernelINS0_14default_configENS1_25partition_config_selectorILNS1_17partition_subalgoE6EfNS0_10empty_typeEbEEZZNS1_14partition_implILS5_6ELb0ES3_mN6thrust23THRUST_200600_302600_NS6detail15normal_iteratorINSA_10device_ptrIfEEEEPS6_SG_NS0_5tupleIJNSA_16discard_iteratorINSA_11use_defaultEEES6_EEENSH_IJSG_SG_EEES6_PlJNSB_9not_fun_tINSB_14equal_to_valueIfEEEEEEE10hipError_tPvRmT3_T4_T5_T6_T7_T9_mT8_P12ihipStream_tbDpT10_ENKUlT_T0_E_clISt17integral_constantIbLb0EES1A_IbLb1EEEEDaS16_S17_EUlS16_E_NS1_11comp_targetILNS1_3genE5ELNS1_11target_archE942ELNS1_3gpuE9ELNS1_3repE0EEENS1_30default_config_static_selectorELNS0_4arch9wavefront6targetE0EEEvT1_.kd
    .uniform_work_group_size: 1
    .uses_dynamic_stack: false
    .vgpr_count:     0
    .vgpr_spill_count: 0
    .wavefront_size: 32
    .workgroup_processor_mode: 1
  - .args:
      - .offset:         0
        .size:           136
        .value_kind:     by_value
    .group_segment_fixed_size: 0
    .kernarg_segment_align: 8
    .kernarg_segment_size: 136
    .language:       OpenCL C
    .language_version:
      - 2
      - 0
    .max_flat_workgroup_size: 512
    .name:           _ZN7rocprim17ROCPRIM_400000_NS6detail17trampoline_kernelINS0_14default_configENS1_25partition_config_selectorILNS1_17partition_subalgoE6EfNS0_10empty_typeEbEEZZNS1_14partition_implILS5_6ELb0ES3_mN6thrust23THRUST_200600_302600_NS6detail15normal_iteratorINSA_10device_ptrIfEEEEPS6_SG_NS0_5tupleIJNSA_16discard_iteratorINSA_11use_defaultEEES6_EEENSH_IJSG_SG_EEES6_PlJNSB_9not_fun_tINSB_14equal_to_valueIfEEEEEEE10hipError_tPvRmT3_T4_T5_T6_T7_T9_mT8_P12ihipStream_tbDpT10_ENKUlT_T0_E_clISt17integral_constantIbLb0EES1A_IbLb1EEEEDaS16_S17_EUlS16_E_NS1_11comp_targetILNS1_3genE4ELNS1_11target_archE910ELNS1_3gpuE8ELNS1_3repE0EEENS1_30default_config_static_selectorELNS0_4arch9wavefront6targetE0EEEvT1_
    .private_segment_fixed_size: 0
    .sgpr_count:     0
    .sgpr_spill_count: 0
    .symbol:         _ZN7rocprim17ROCPRIM_400000_NS6detail17trampoline_kernelINS0_14default_configENS1_25partition_config_selectorILNS1_17partition_subalgoE6EfNS0_10empty_typeEbEEZZNS1_14partition_implILS5_6ELb0ES3_mN6thrust23THRUST_200600_302600_NS6detail15normal_iteratorINSA_10device_ptrIfEEEEPS6_SG_NS0_5tupleIJNSA_16discard_iteratorINSA_11use_defaultEEES6_EEENSH_IJSG_SG_EEES6_PlJNSB_9not_fun_tINSB_14equal_to_valueIfEEEEEEE10hipError_tPvRmT3_T4_T5_T6_T7_T9_mT8_P12ihipStream_tbDpT10_ENKUlT_T0_E_clISt17integral_constantIbLb0EES1A_IbLb1EEEEDaS16_S17_EUlS16_E_NS1_11comp_targetILNS1_3genE4ELNS1_11target_archE910ELNS1_3gpuE8ELNS1_3repE0EEENS1_30default_config_static_selectorELNS0_4arch9wavefront6targetE0EEEvT1_.kd
    .uniform_work_group_size: 1
    .uses_dynamic_stack: false
    .vgpr_count:     0
    .vgpr_spill_count: 0
    .wavefront_size: 32
    .workgroup_processor_mode: 1
  - .args:
      - .offset:         0
        .size:           136
        .value_kind:     by_value
    .group_segment_fixed_size: 0
    .kernarg_segment_align: 8
    .kernarg_segment_size: 136
    .language:       OpenCL C
    .language_version:
      - 2
      - 0
    .max_flat_workgroup_size: 256
    .name:           _ZN7rocprim17ROCPRIM_400000_NS6detail17trampoline_kernelINS0_14default_configENS1_25partition_config_selectorILNS1_17partition_subalgoE6EfNS0_10empty_typeEbEEZZNS1_14partition_implILS5_6ELb0ES3_mN6thrust23THRUST_200600_302600_NS6detail15normal_iteratorINSA_10device_ptrIfEEEEPS6_SG_NS0_5tupleIJNSA_16discard_iteratorINSA_11use_defaultEEES6_EEENSH_IJSG_SG_EEES6_PlJNSB_9not_fun_tINSB_14equal_to_valueIfEEEEEEE10hipError_tPvRmT3_T4_T5_T6_T7_T9_mT8_P12ihipStream_tbDpT10_ENKUlT_T0_E_clISt17integral_constantIbLb0EES1A_IbLb1EEEEDaS16_S17_EUlS16_E_NS1_11comp_targetILNS1_3genE3ELNS1_11target_archE908ELNS1_3gpuE7ELNS1_3repE0EEENS1_30default_config_static_selectorELNS0_4arch9wavefront6targetE0EEEvT1_
    .private_segment_fixed_size: 0
    .sgpr_count:     0
    .sgpr_spill_count: 0
    .symbol:         _ZN7rocprim17ROCPRIM_400000_NS6detail17trampoline_kernelINS0_14default_configENS1_25partition_config_selectorILNS1_17partition_subalgoE6EfNS0_10empty_typeEbEEZZNS1_14partition_implILS5_6ELb0ES3_mN6thrust23THRUST_200600_302600_NS6detail15normal_iteratorINSA_10device_ptrIfEEEEPS6_SG_NS0_5tupleIJNSA_16discard_iteratorINSA_11use_defaultEEES6_EEENSH_IJSG_SG_EEES6_PlJNSB_9not_fun_tINSB_14equal_to_valueIfEEEEEEE10hipError_tPvRmT3_T4_T5_T6_T7_T9_mT8_P12ihipStream_tbDpT10_ENKUlT_T0_E_clISt17integral_constantIbLb0EES1A_IbLb1EEEEDaS16_S17_EUlS16_E_NS1_11comp_targetILNS1_3genE3ELNS1_11target_archE908ELNS1_3gpuE7ELNS1_3repE0EEENS1_30default_config_static_selectorELNS0_4arch9wavefront6targetE0EEEvT1_.kd
    .uniform_work_group_size: 1
    .uses_dynamic_stack: false
    .vgpr_count:     0
    .vgpr_spill_count: 0
    .wavefront_size: 32
    .workgroup_processor_mode: 1
  - .args:
      - .offset:         0
        .size:           136
        .value_kind:     by_value
    .group_segment_fixed_size: 0
    .kernarg_segment_align: 8
    .kernarg_segment_size: 136
    .language:       OpenCL C
    .language_version:
      - 2
      - 0
    .max_flat_workgroup_size: 256
    .name:           _ZN7rocprim17ROCPRIM_400000_NS6detail17trampoline_kernelINS0_14default_configENS1_25partition_config_selectorILNS1_17partition_subalgoE6EfNS0_10empty_typeEbEEZZNS1_14partition_implILS5_6ELb0ES3_mN6thrust23THRUST_200600_302600_NS6detail15normal_iteratorINSA_10device_ptrIfEEEEPS6_SG_NS0_5tupleIJNSA_16discard_iteratorINSA_11use_defaultEEES6_EEENSH_IJSG_SG_EEES6_PlJNSB_9not_fun_tINSB_14equal_to_valueIfEEEEEEE10hipError_tPvRmT3_T4_T5_T6_T7_T9_mT8_P12ihipStream_tbDpT10_ENKUlT_T0_E_clISt17integral_constantIbLb0EES1A_IbLb1EEEEDaS16_S17_EUlS16_E_NS1_11comp_targetILNS1_3genE2ELNS1_11target_archE906ELNS1_3gpuE6ELNS1_3repE0EEENS1_30default_config_static_selectorELNS0_4arch9wavefront6targetE0EEEvT1_
    .private_segment_fixed_size: 0
    .sgpr_count:     0
    .sgpr_spill_count: 0
    .symbol:         _ZN7rocprim17ROCPRIM_400000_NS6detail17trampoline_kernelINS0_14default_configENS1_25partition_config_selectorILNS1_17partition_subalgoE6EfNS0_10empty_typeEbEEZZNS1_14partition_implILS5_6ELb0ES3_mN6thrust23THRUST_200600_302600_NS6detail15normal_iteratorINSA_10device_ptrIfEEEEPS6_SG_NS0_5tupleIJNSA_16discard_iteratorINSA_11use_defaultEEES6_EEENSH_IJSG_SG_EEES6_PlJNSB_9not_fun_tINSB_14equal_to_valueIfEEEEEEE10hipError_tPvRmT3_T4_T5_T6_T7_T9_mT8_P12ihipStream_tbDpT10_ENKUlT_T0_E_clISt17integral_constantIbLb0EES1A_IbLb1EEEEDaS16_S17_EUlS16_E_NS1_11comp_targetILNS1_3genE2ELNS1_11target_archE906ELNS1_3gpuE6ELNS1_3repE0EEENS1_30default_config_static_selectorELNS0_4arch9wavefront6targetE0EEEvT1_.kd
    .uniform_work_group_size: 1
    .uses_dynamic_stack: false
    .vgpr_count:     0
    .vgpr_spill_count: 0
    .wavefront_size: 32
    .workgroup_processor_mode: 1
  - .args:
      - .offset:         0
        .size:           136
        .value_kind:     by_value
    .group_segment_fixed_size: 10768
    .kernarg_segment_align: 8
    .kernarg_segment_size: 136
    .language:       OpenCL C
    .language_version:
      - 2
      - 0
    .max_flat_workgroup_size: 384
    .name:           _ZN7rocprim17ROCPRIM_400000_NS6detail17trampoline_kernelINS0_14default_configENS1_25partition_config_selectorILNS1_17partition_subalgoE6EfNS0_10empty_typeEbEEZZNS1_14partition_implILS5_6ELb0ES3_mN6thrust23THRUST_200600_302600_NS6detail15normal_iteratorINSA_10device_ptrIfEEEEPS6_SG_NS0_5tupleIJNSA_16discard_iteratorINSA_11use_defaultEEES6_EEENSH_IJSG_SG_EEES6_PlJNSB_9not_fun_tINSB_14equal_to_valueIfEEEEEEE10hipError_tPvRmT3_T4_T5_T6_T7_T9_mT8_P12ihipStream_tbDpT10_ENKUlT_T0_E_clISt17integral_constantIbLb0EES1A_IbLb1EEEEDaS16_S17_EUlS16_E_NS1_11comp_targetILNS1_3genE10ELNS1_11target_archE1200ELNS1_3gpuE4ELNS1_3repE0EEENS1_30default_config_static_selectorELNS0_4arch9wavefront6targetE0EEEvT1_
    .private_segment_fixed_size: 0
    .sgpr_count:     22
    .sgpr_spill_count: 0
    .symbol:         _ZN7rocprim17ROCPRIM_400000_NS6detail17trampoline_kernelINS0_14default_configENS1_25partition_config_selectorILNS1_17partition_subalgoE6EfNS0_10empty_typeEbEEZZNS1_14partition_implILS5_6ELb0ES3_mN6thrust23THRUST_200600_302600_NS6detail15normal_iteratorINSA_10device_ptrIfEEEEPS6_SG_NS0_5tupleIJNSA_16discard_iteratorINSA_11use_defaultEEES6_EEENSH_IJSG_SG_EEES6_PlJNSB_9not_fun_tINSB_14equal_to_valueIfEEEEEEE10hipError_tPvRmT3_T4_T5_T6_T7_T9_mT8_P12ihipStream_tbDpT10_ENKUlT_T0_E_clISt17integral_constantIbLb0EES1A_IbLb1EEEEDaS16_S17_EUlS16_E_NS1_11comp_targetILNS1_3genE10ELNS1_11target_archE1200ELNS1_3gpuE4ELNS1_3repE0EEENS1_30default_config_static_selectorELNS0_4arch9wavefront6targetE0EEEvT1_.kd
    .uniform_work_group_size: 1
    .uses_dynamic_stack: false
    .vgpr_count:     50
    .vgpr_spill_count: 0
    .wavefront_size: 32
    .workgroup_processor_mode: 1
  - .args:
      - .offset:         0
        .size:           136
        .value_kind:     by_value
    .group_segment_fixed_size: 0
    .kernarg_segment_align: 8
    .kernarg_segment_size: 136
    .language:       OpenCL C
    .language_version:
      - 2
      - 0
    .max_flat_workgroup_size: 128
    .name:           _ZN7rocprim17ROCPRIM_400000_NS6detail17trampoline_kernelINS0_14default_configENS1_25partition_config_selectorILNS1_17partition_subalgoE6EfNS0_10empty_typeEbEEZZNS1_14partition_implILS5_6ELb0ES3_mN6thrust23THRUST_200600_302600_NS6detail15normal_iteratorINSA_10device_ptrIfEEEEPS6_SG_NS0_5tupleIJNSA_16discard_iteratorINSA_11use_defaultEEES6_EEENSH_IJSG_SG_EEES6_PlJNSB_9not_fun_tINSB_14equal_to_valueIfEEEEEEE10hipError_tPvRmT3_T4_T5_T6_T7_T9_mT8_P12ihipStream_tbDpT10_ENKUlT_T0_E_clISt17integral_constantIbLb0EES1A_IbLb1EEEEDaS16_S17_EUlS16_E_NS1_11comp_targetILNS1_3genE9ELNS1_11target_archE1100ELNS1_3gpuE3ELNS1_3repE0EEENS1_30default_config_static_selectorELNS0_4arch9wavefront6targetE0EEEvT1_
    .private_segment_fixed_size: 0
    .sgpr_count:     0
    .sgpr_spill_count: 0
    .symbol:         _ZN7rocprim17ROCPRIM_400000_NS6detail17trampoline_kernelINS0_14default_configENS1_25partition_config_selectorILNS1_17partition_subalgoE6EfNS0_10empty_typeEbEEZZNS1_14partition_implILS5_6ELb0ES3_mN6thrust23THRUST_200600_302600_NS6detail15normal_iteratorINSA_10device_ptrIfEEEEPS6_SG_NS0_5tupleIJNSA_16discard_iteratorINSA_11use_defaultEEES6_EEENSH_IJSG_SG_EEES6_PlJNSB_9not_fun_tINSB_14equal_to_valueIfEEEEEEE10hipError_tPvRmT3_T4_T5_T6_T7_T9_mT8_P12ihipStream_tbDpT10_ENKUlT_T0_E_clISt17integral_constantIbLb0EES1A_IbLb1EEEEDaS16_S17_EUlS16_E_NS1_11comp_targetILNS1_3genE9ELNS1_11target_archE1100ELNS1_3gpuE3ELNS1_3repE0EEENS1_30default_config_static_selectorELNS0_4arch9wavefront6targetE0EEEvT1_.kd
    .uniform_work_group_size: 1
    .uses_dynamic_stack: false
    .vgpr_count:     0
    .vgpr_spill_count: 0
    .wavefront_size: 32
    .workgroup_processor_mode: 1
  - .args:
      - .offset:         0
        .size:           136
        .value_kind:     by_value
    .group_segment_fixed_size: 0
    .kernarg_segment_align: 8
    .kernarg_segment_size: 136
    .language:       OpenCL C
    .language_version:
      - 2
      - 0
    .max_flat_workgroup_size: 512
    .name:           _ZN7rocprim17ROCPRIM_400000_NS6detail17trampoline_kernelINS0_14default_configENS1_25partition_config_selectorILNS1_17partition_subalgoE6EfNS0_10empty_typeEbEEZZNS1_14partition_implILS5_6ELb0ES3_mN6thrust23THRUST_200600_302600_NS6detail15normal_iteratorINSA_10device_ptrIfEEEEPS6_SG_NS0_5tupleIJNSA_16discard_iteratorINSA_11use_defaultEEES6_EEENSH_IJSG_SG_EEES6_PlJNSB_9not_fun_tINSB_14equal_to_valueIfEEEEEEE10hipError_tPvRmT3_T4_T5_T6_T7_T9_mT8_P12ihipStream_tbDpT10_ENKUlT_T0_E_clISt17integral_constantIbLb0EES1A_IbLb1EEEEDaS16_S17_EUlS16_E_NS1_11comp_targetILNS1_3genE8ELNS1_11target_archE1030ELNS1_3gpuE2ELNS1_3repE0EEENS1_30default_config_static_selectorELNS0_4arch9wavefront6targetE0EEEvT1_
    .private_segment_fixed_size: 0
    .sgpr_count:     0
    .sgpr_spill_count: 0
    .symbol:         _ZN7rocprim17ROCPRIM_400000_NS6detail17trampoline_kernelINS0_14default_configENS1_25partition_config_selectorILNS1_17partition_subalgoE6EfNS0_10empty_typeEbEEZZNS1_14partition_implILS5_6ELb0ES3_mN6thrust23THRUST_200600_302600_NS6detail15normal_iteratorINSA_10device_ptrIfEEEEPS6_SG_NS0_5tupleIJNSA_16discard_iteratorINSA_11use_defaultEEES6_EEENSH_IJSG_SG_EEES6_PlJNSB_9not_fun_tINSB_14equal_to_valueIfEEEEEEE10hipError_tPvRmT3_T4_T5_T6_T7_T9_mT8_P12ihipStream_tbDpT10_ENKUlT_T0_E_clISt17integral_constantIbLb0EES1A_IbLb1EEEEDaS16_S17_EUlS16_E_NS1_11comp_targetILNS1_3genE8ELNS1_11target_archE1030ELNS1_3gpuE2ELNS1_3repE0EEENS1_30default_config_static_selectorELNS0_4arch9wavefront6targetE0EEEvT1_.kd
    .uniform_work_group_size: 1
    .uses_dynamic_stack: false
    .vgpr_count:     0
    .vgpr_spill_count: 0
    .wavefront_size: 32
    .workgroup_processor_mode: 1
  - .args:
      - .offset:         0
        .size:           128
        .value_kind:     by_value
    .group_segment_fixed_size: 0
    .kernarg_segment_align: 8
    .kernarg_segment_size: 128
    .language:       OpenCL C
    .language_version:
      - 2
      - 0
    .max_flat_workgroup_size: 128
    .name:           _ZN7rocprim17ROCPRIM_400000_NS6detail17trampoline_kernelINS0_14default_configENS1_25partition_config_selectorILNS1_17partition_subalgoE6EyNS0_10empty_typeEbEEZZNS1_14partition_implILS5_6ELb0ES3_mN6thrust23THRUST_200600_302600_NS6detail15normal_iteratorINSA_10device_ptrIyEEEEPS6_SG_NS0_5tupleIJNSA_16discard_iteratorINSA_11use_defaultEEES6_EEENSH_IJSG_SG_EEES6_PlJNSB_9not_fun_tINSB_14equal_to_valueIyEEEEEEE10hipError_tPvRmT3_T4_T5_T6_T7_T9_mT8_P12ihipStream_tbDpT10_ENKUlT_T0_E_clISt17integral_constantIbLb0EES1B_EEDaS16_S17_EUlS16_E_NS1_11comp_targetILNS1_3genE0ELNS1_11target_archE4294967295ELNS1_3gpuE0ELNS1_3repE0EEENS1_30default_config_static_selectorELNS0_4arch9wavefront6targetE0EEEvT1_
    .private_segment_fixed_size: 0
    .sgpr_count:     0
    .sgpr_spill_count: 0
    .symbol:         _ZN7rocprim17ROCPRIM_400000_NS6detail17trampoline_kernelINS0_14default_configENS1_25partition_config_selectorILNS1_17partition_subalgoE6EyNS0_10empty_typeEbEEZZNS1_14partition_implILS5_6ELb0ES3_mN6thrust23THRUST_200600_302600_NS6detail15normal_iteratorINSA_10device_ptrIyEEEEPS6_SG_NS0_5tupleIJNSA_16discard_iteratorINSA_11use_defaultEEES6_EEENSH_IJSG_SG_EEES6_PlJNSB_9not_fun_tINSB_14equal_to_valueIyEEEEEEE10hipError_tPvRmT3_T4_T5_T6_T7_T9_mT8_P12ihipStream_tbDpT10_ENKUlT_T0_E_clISt17integral_constantIbLb0EES1B_EEDaS16_S17_EUlS16_E_NS1_11comp_targetILNS1_3genE0ELNS1_11target_archE4294967295ELNS1_3gpuE0ELNS1_3repE0EEENS1_30default_config_static_selectorELNS0_4arch9wavefront6targetE0EEEvT1_.kd
    .uniform_work_group_size: 1
    .uses_dynamic_stack: false
    .vgpr_count:     0
    .vgpr_spill_count: 0
    .wavefront_size: 32
    .workgroup_processor_mode: 1
  - .args:
      - .offset:         0
        .size:           128
        .value_kind:     by_value
    .group_segment_fixed_size: 0
    .kernarg_segment_align: 8
    .kernarg_segment_size: 128
    .language:       OpenCL C
    .language_version:
      - 2
      - 0
    .max_flat_workgroup_size: 512
    .name:           _ZN7rocprim17ROCPRIM_400000_NS6detail17trampoline_kernelINS0_14default_configENS1_25partition_config_selectorILNS1_17partition_subalgoE6EyNS0_10empty_typeEbEEZZNS1_14partition_implILS5_6ELb0ES3_mN6thrust23THRUST_200600_302600_NS6detail15normal_iteratorINSA_10device_ptrIyEEEEPS6_SG_NS0_5tupleIJNSA_16discard_iteratorINSA_11use_defaultEEES6_EEENSH_IJSG_SG_EEES6_PlJNSB_9not_fun_tINSB_14equal_to_valueIyEEEEEEE10hipError_tPvRmT3_T4_T5_T6_T7_T9_mT8_P12ihipStream_tbDpT10_ENKUlT_T0_E_clISt17integral_constantIbLb0EES1B_EEDaS16_S17_EUlS16_E_NS1_11comp_targetILNS1_3genE5ELNS1_11target_archE942ELNS1_3gpuE9ELNS1_3repE0EEENS1_30default_config_static_selectorELNS0_4arch9wavefront6targetE0EEEvT1_
    .private_segment_fixed_size: 0
    .sgpr_count:     0
    .sgpr_spill_count: 0
    .symbol:         _ZN7rocprim17ROCPRIM_400000_NS6detail17trampoline_kernelINS0_14default_configENS1_25partition_config_selectorILNS1_17partition_subalgoE6EyNS0_10empty_typeEbEEZZNS1_14partition_implILS5_6ELb0ES3_mN6thrust23THRUST_200600_302600_NS6detail15normal_iteratorINSA_10device_ptrIyEEEEPS6_SG_NS0_5tupleIJNSA_16discard_iteratorINSA_11use_defaultEEES6_EEENSH_IJSG_SG_EEES6_PlJNSB_9not_fun_tINSB_14equal_to_valueIyEEEEEEE10hipError_tPvRmT3_T4_T5_T6_T7_T9_mT8_P12ihipStream_tbDpT10_ENKUlT_T0_E_clISt17integral_constantIbLb0EES1B_EEDaS16_S17_EUlS16_E_NS1_11comp_targetILNS1_3genE5ELNS1_11target_archE942ELNS1_3gpuE9ELNS1_3repE0EEENS1_30default_config_static_selectorELNS0_4arch9wavefront6targetE0EEEvT1_.kd
    .uniform_work_group_size: 1
    .uses_dynamic_stack: false
    .vgpr_count:     0
    .vgpr_spill_count: 0
    .wavefront_size: 32
    .workgroup_processor_mode: 1
  - .args:
      - .offset:         0
        .size:           128
        .value_kind:     by_value
    .group_segment_fixed_size: 0
    .kernarg_segment_align: 8
    .kernarg_segment_size: 128
    .language:       OpenCL C
    .language_version:
      - 2
      - 0
    .max_flat_workgroup_size: 512
    .name:           _ZN7rocprim17ROCPRIM_400000_NS6detail17trampoline_kernelINS0_14default_configENS1_25partition_config_selectorILNS1_17partition_subalgoE6EyNS0_10empty_typeEbEEZZNS1_14partition_implILS5_6ELb0ES3_mN6thrust23THRUST_200600_302600_NS6detail15normal_iteratorINSA_10device_ptrIyEEEEPS6_SG_NS0_5tupleIJNSA_16discard_iteratorINSA_11use_defaultEEES6_EEENSH_IJSG_SG_EEES6_PlJNSB_9not_fun_tINSB_14equal_to_valueIyEEEEEEE10hipError_tPvRmT3_T4_T5_T6_T7_T9_mT8_P12ihipStream_tbDpT10_ENKUlT_T0_E_clISt17integral_constantIbLb0EES1B_EEDaS16_S17_EUlS16_E_NS1_11comp_targetILNS1_3genE4ELNS1_11target_archE910ELNS1_3gpuE8ELNS1_3repE0EEENS1_30default_config_static_selectorELNS0_4arch9wavefront6targetE0EEEvT1_
    .private_segment_fixed_size: 0
    .sgpr_count:     0
    .sgpr_spill_count: 0
    .symbol:         _ZN7rocprim17ROCPRIM_400000_NS6detail17trampoline_kernelINS0_14default_configENS1_25partition_config_selectorILNS1_17partition_subalgoE6EyNS0_10empty_typeEbEEZZNS1_14partition_implILS5_6ELb0ES3_mN6thrust23THRUST_200600_302600_NS6detail15normal_iteratorINSA_10device_ptrIyEEEEPS6_SG_NS0_5tupleIJNSA_16discard_iteratorINSA_11use_defaultEEES6_EEENSH_IJSG_SG_EEES6_PlJNSB_9not_fun_tINSB_14equal_to_valueIyEEEEEEE10hipError_tPvRmT3_T4_T5_T6_T7_T9_mT8_P12ihipStream_tbDpT10_ENKUlT_T0_E_clISt17integral_constantIbLb0EES1B_EEDaS16_S17_EUlS16_E_NS1_11comp_targetILNS1_3genE4ELNS1_11target_archE910ELNS1_3gpuE8ELNS1_3repE0EEENS1_30default_config_static_selectorELNS0_4arch9wavefront6targetE0EEEvT1_.kd
    .uniform_work_group_size: 1
    .uses_dynamic_stack: false
    .vgpr_count:     0
    .vgpr_spill_count: 0
    .wavefront_size: 32
    .workgroup_processor_mode: 1
  - .args:
      - .offset:         0
        .size:           128
        .value_kind:     by_value
    .group_segment_fixed_size: 0
    .kernarg_segment_align: 8
    .kernarg_segment_size: 128
    .language:       OpenCL C
    .language_version:
      - 2
      - 0
    .max_flat_workgroup_size: 128
    .name:           _ZN7rocprim17ROCPRIM_400000_NS6detail17trampoline_kernelINS0_14default_configENS1_25partition_config_selectorILNS1_17partition_subalgoE6EyNS0_10empty_typeEbEEZZNS1_14partition_implILS5_6ELb0ES3_mN6thrust23THRUST_200600_302600_NS6detail15normal_iteratorINSA_10device_ptrIyEEEEPS6_SG_NS0_5tupleIJNSA_16discard_iteratorINSA_11use_defaultEEES6_EEENSH_IJSG_SG_EEES6_PlJNSB_9not_fun_tINSB_14equal_to_valueIyEEEEEEE10hipError_tPvRmT3_T4_T5_T6_T7_T9_mT8_P12ihipStream_tbDpT10_ENKUlT_T0_E_clISt17integral_constantIbLb0EES1B_EEDaS16_S17_EUlS16_E_NS1_11comp_targetILNS1_3genE3ELNS1_11target_archE908ELNS1_3gpuE7ELNS1_3repE0EEENS1_30default_config_static_selectorELNS0_4arch9wavefront6targetE0EEEvT1_
    .private_segment_fixed_size: 0
    .sgpr_count:     0
    .sgpr_spill_count: 0
    .symbol:         _ZN7rocprim17ROCPRIM_400000_NS6detail17trampoline_kernelINS0_14default_configENS1_25partition_config_selectorILNS1_17partition_subalgoE6EyNS0_10empty_typeEbEEZZNS1_14partition_implILS5_6ELb0ES3_mN6thrust23THRUST_200600_302600_NS6detail15normal_iteratorINSA_10device_ptrIyEEEEPS6_SG_NS0_5tupleIJNSA_16discard_iteratorINSA_11use_defaultEEES6_EEENSH_IJSG_SG_EEES6_PlJNSB_9not_fun_tINSB_14equal_to_valueIyEEEEEEE10hipError_tPvRmT3_T4_T5_T6_T7_T9_mT8_P12ihipStream_tbDpT10_ENKUlT_T0_E_clISt17integral_constantIbLb0EES1B_EEDaS16_S17_EUlS16_E_NS1_11comp_targetILNS1_3genE3ELNS1_11target_archE908ELNS1_3gpuE7ELNS1_3repE0EEENS1_30default_config_static_selectorELNS0_4arch9wavefront6targetE0EEEvT1_.kd
    .uniform_work_group_size: 1
    .uses_dynamic_stack: false
    .vgpr_count:     0
    .vgpr_spill_count: 0
    .wavefront_size: 32
    .workgroup_processor_mode: 1
  - .args:
      - .offset:         0
        .size:           128
        .value_kind:     by_value
    .group_segment_fixed_size: 0
    .kernarg_segment_align: 8
    .kernarg_segment_size: 128
    .language:       OpenCL C
    .language_version:
      - 2
      - 0
    .max_flat_workgroup_size: 256
    .name:           _ZN7rocprim17ROCPRIM_400000_NS6detail17trampoline_kernelINS0_14default_configENS1_25partition_config_selectorILNS1_17partition_subalgoE6EyNS0_10empty_typeEbEEZZNS1_14partition_implILS5_6ELb0ES3_mN6thrust23THRUST_200600_302600_NS6detail15normal_iteratorINSA_10device_ptrIyEEEEPS6_SG_NS0_5tupleIJNSA_16discard_iteratorINSA_11use_defaultEEES6_EEENSH_IJSG_SG_EEES6_PlJNSB_9not_fun_tINSB_14equal_to_valueIyEEEEEEE10hipError_tPvRmT3_T4_T5_T6_T7_T9_mT8_P12ihipStream_tbDpT10_ENKUlT_T0_E_clISt17integral_constantIbLb0EES1B_EEDaS16_S17_EUlS16_E_NS1_11comp_targetILNS1_3genE2ELNS1_11target_archE906ELNS1_3gpuE6ELNS1_3repE0EEENS1_30default_config_static_selectorELNS0_4arch9wavefront6targetE0EEEvT1_
    .private_segment_fixed_size: 0
    .sgpr_count:     0
    .sgpr_spill_count: 0
    .symbol:         _ZN7rocprim17ROCPRIM_400000_NS6detail17trampoline_kernelINS0_14default_configENS1_25partition_config_selectorILNS1_17partition_subalgoE6EyNS0_10empty_typeEbEEZZNS1_14partition_implILS5_6ELb0ES3_mN6thrust23THRUST_200600_302600_NS6detail15normal_iteratorINSA_10device_ptrIyEEEEPS6_SG_NS0_5tupleIJNSA_16discard_iteratorINSA_11use_defaultEEES6_EEENSH_IJSG_SG_EEES6_PlJNSB_9not_fun_tINSB_14equal_to_valueIyEEEEEEE10hipError_tPvRmT3_T4_T5_T6_T7_T9_mT8_P12ihipStream_tbDpT10_ENKUlT_T0_E_clISt17integral_constantIbLb0EES1B_EEDaS16_S17_EUlS16_E_NS1_11comp_targetILNS1_3genE2ELNS1_11target_archE906ELNS1_3gpuE6ELNS1_3repE0EEENS1_30default_config_static_selectorELNS0_4arch9wavefront6targetE0EEEvT1_.kd
    .uniform_work_group_size: 1
    .uses_dynamic_stack: false
    .vgpr_count:     0
    .vgpr_spill_count: 0
    .wavefront_size: 32
    .workgroup_processor_mode: 1
  - .args:
      - .offset:         0
        .size:           128
        .value_kind:     by_value
    .group_segment_fixed_size: 8464
    .kernarg_segment_align: 8
    .kernarg_segment_size: 128
    .language:       OpenCL C
    .language_version:
      - 2
      - 0
    .max_flat_workgroup_size: 256
    .name:           _ZN7rocprim17ROCPRIM_400000_NS6detail17trampoline_kernelINS0_14default_configENS1_25partition_config_selectorILNS1_17partition_subalgoE6EyNS0_10empty_typeEbEEZZNS1_14partition_implILS5_6ELb0ES3_mN6thrust23THRUST_200600_302600_NS6detail15normal_iteratorINSA_10device_ptrIyEEEEPS6_SG_NS0_5tupleIJNSA_16discard_iteratorINSA_11use_defaultEEES6_EEENSH_IJSG_SG_EEES6_PlJNSB_9not_fun_tINSB_14equal_to_valueIyEEEEEEE10hipError_tPvRmT3_T4_T5_T6_T7_T9_mT8_P12ihipStream_tbDpT10_ENKUlT_T0_E_clISt17integral_constantIbLb0EES1B_EEDaS16_S17_EUlS16_E_NS1_11comp_targetILNS1_3genE10ELNS1_11target_archE1200ELNS1_3gpuE4ELNS1_3repE0EEENS1_30default_config_static_selectorELNS0_4arch9wavefront6targetE0EEEvT1_
    .private_segment_fixed_size: 0
    .sgpr_count:     23
    .sgpr_spill_count: 0
    .symbol:         _ZN7rocprim17ROCPRIM_400000_NS6detail17trampoline_kernelINS0_14default_configENS1_25partition_config_selectorILNS1_17partition_subalgoE6EyNS0_10empty_typeEbEEZZNS1_14partition_implILS5_6ELb0ES3_mN6thrust23THRUST_200600_302600_NS6detail15normal_iteratorINSA_10device_ptrIyEEEEPS6_SG_NS0_5tupleIJNSA_16discard_iteratorINSA_11use_defaultEEES6_EEENSH_IJSG_SG_EEES6_PlJNSB_9not_fun_tINSB_14equal_to_valueIyEEEEEEE10hipError_tPvRmT3_T4_T5_T6_T7_T9_mT8_P12ihipStream_tbDpT10_ENKUlT_T0_E_clISt17integral_constantIbLb0EES1B_EEDaS16_S17_EUlS16_E_NS1_11comp_targetILNS1_3genE10ELNS1_11target_archE1200ELNS1_3gpuE4ELNS1_3repE0EEENS1_30default_config_static_selectorELNS0_4arch9wavefront6targetE0EEEvT1_.kd
    .uniform_work_group_size: 1
    .uses_dynamic_stack: false
    .vgpr_count:     45
    .vgpr_spill_count: 0
    .wavefront_size: 32
    .workgroup_processor_mode: 1
  - .args:
      - .offset:         0
        .size:           128
        .value_kind:     by_value
    .group_segment_fixed_size: 0
    .kernarg_segment_align: 8
    .kernarg_segment_size: 128
    .language:       OpenCL C
    .language_version:
      - 2
      - 0
    .max_flat_workgroup_size: 384
    .name:           _ZN7rocprim17ROCPRIM_400000_NS6detail17trampoline_kernelINS0_14default_configENS1_25partition_config_selectorILNS1_17partition_subalgoE6EyNS0_10empty_typeEbEEZZNS1_14partition_implILS5_6ELb0ES3_mN6thrust23THRUST_200600_302600_NS6detail15normal_iteratorINSA_10device_ptrIyEEEEPS6_SG_NS0_5tupleIJNSA_16discard_iteratorINSA_11use_defaultEEES6_EEENSH_IJSG_SG_EEES6_PlJNSB_9not_fun_tINSB_14equal_to_valueIyEEEEEEE10hipError_tPvRmT3_T4_T5_T6_T7_T9_mT8_P12ihipStream_tbDpT10_ENKUlT_T0_E_clISt17integral_constantIbLb0EES1B_EEDaS16_S17_EUlS16_E_NS1_11comp_targetILNS1_3genE9ELNS1_11target_archE1100ELNS1_3gpuE3ELNS1_3repE0EEENS1_30default_config_static_selectorELNS0_4arch9wavefront6targetE0EEEvT1_
    .private_segment_fixed_size: 0
    .sgpr_count:     0
    .sgpr_spill_count: 0
    .symbol:         _ZN7rocprim17ROCPRIM_400000_NS6detail17trampoline_kernelINS0_14default_configENS1_25partition_config_selectorILNS1_17partition_subalgoE6EyNS0_10empty_typeEbEEZZNS1_14partition_implILS5_6ELb0ES3_mN6thrust23THRUST_200600_302600_NS6detail15normal_iteratorINSA_10device_ptrIyEEEEPS6_SG_NS0_5tupleIJNSA_16discard_iteratorINSA_11use_defaultEEES6_EEENSH_IJSG_SG_EEES6_PlJNSB_9not_fun_tINSB_14equal_to_valueIyEEEEEEE10hipError_tPvRmT3_T4_T5_T6_T7_T9_mT8_P12ihipStream_tbDpT10_ENKUlT_T0_E_clISt17integral_constantIbLb0EES1B_EEDaS16_S17_EUlS16_E_NS1_11comp_targetILNS1_3genE9ELNS1_11target_archE1100ELNS1_3gpuE3ELNS1_3repE0EEENS1_30default_config_static_selectorELNS0_4arch9wavefront6targetE0EEEvT1_.kd
    .uniform_work_group_size: 1
    .uses_dynamic_stack: false
    .vgpr_count:     0
    .vgpr_spill_count: 0
    .wavefront_size: 32
    .workgroup_processor_mode: 1
  - .args:
      - .offset:         0
        .size:           128
        .value_kind:     by_value
    .group_segment_fixed_size: 0
    .kernarg_segment_align: 8
    .kernarg_segment_size: 128
    .language:       OpenCL C
    .language_version:
      - 2
      - 0
    .max_flat_workgroup_size: 512
    .name:           _ZN7rocprim17ROCPRIM_400000_NS6detail17trampoline_kernelINS0_14default_configENS1_25partition_config_selectorILNS1_17partition_subalgoE6EyNS0_10empty_typeEbEEZZNS1_14partition_implILS5_6ELb0ES3_mN6thrust23THRUST_200600_302600_NS6detail15normal_iteratorINSA_10device_ptrIyEEEEPS6_SG_NS0_5tupleIJNSA_16discard_iteratorINSA_11use_defaultEEES6_EEENSH_IJSG_SG_EEES6_PlJNSB_9not_fun_tINSB_14equal_to_valueIyEEEEEEE10hipError_tPvRmT3_T4_T5_T6_T7_T9_mT8_P12ihipStream_tbDpT10_ENKUlT_T0_E_clISt17integral_constantIbLb0EES1B_EEDaS16_S17_EUlS16_E_NS1_11comp_targetILNS1_3genE8ELNS1_11target_archE1030ELNS1_3gpuE2ELNS1_3repE0EEENS1_30default_config_static_selectorELNS0_4arch9wavefront6targetE0EEEvT1_
    .private_segment_fixed_size: 0
    .sgpr_count:     0
    .sgpr_spill_count: 0
    .symbol:         _ZN7rocprim17ROCPRIM_400000_NS6detail17trampoline_kernelINS0_14default_configENS1_25partition_config_selectorILNS1_17partition_subalgoE6EyNS0_10empty_typeEbEEZZNS1_14partition_implILS5_6ELb0ES3_mN6thrust23THRUST_200600_302600_NS6detail15normal_iteratorINSA_10device_ptrIyEEEEPS6_SG_NS0_5tupleIJNSA_16discard_iteratorINSA_11use_defaultEEES6_EEENSH_IJSG_SG_EEES6_PlJNSB_9not_fun_tINSB_14equal_to_valueIyEEEEEEE10hipError_tPvRmT3_T4_T5_T6_T7_T9_mT8_P12ihipStream_tbDpT10_ENKUlT_T0_E_clISt17integral_constantIbLb0EES1B_EEDaS16_S17_EUlS16_E_NS1_11comp_targetILNS1_3genE8ELNS1_11target_archE1030ELNS1_3gpuE2ELNS1_3repE0EEENS1_30default_config_static_selectorELNS0_4arch9wavefront6targetE0EEEvT1_.kd
    .uniform_work_group_size: 1
    .uses_dynamic_stack: false
    .vgpr_count:     0
    .vgpr_spill_count: 0
    .wavefront_size: 32
    .workgroup_processor_mode: 1
  - .args:
      - .offset:         0
        .size:           136
        .value_kind:     by_value
    .group_segment_fixed_size: 0
    .kernarg_segment_align: 8
    .kernarg_segment_size: 136
    .language:       OpenCL C
    .language_version:
      - 2
      - 0
    .max_flat_workgroup_size: 128
    .name:           _ZN7rocprim17ROCPRIM_400000_NS6detail17trampoline_kernelINS0_14default_configENS1_25partition_config_selectorILNS1_17partition_subalgoE6EyNS0_10empty_typeEbEEZZNS1_14partition_implILS5_6ELb0ES3_mN6thrust23THRUST_200600_302600_NS6detail15normal_iteratorINSA_10device_ptrIyEEEEPS6_SG_NS0_5tupleIJNSA_16discard_iteratorINSA_11use_defaultEEES6_EEENSH_IJSG_SG_EEES6_PlJNSB_9not_fun_tINSB_14equal_to_valueIyEEEEEEE10hipError_tPvRmT3_T4_T5_T6_T7_T9_mT8_P12ihipStream_tbDpT10_ENKUlT_T0_E_clISt17integral_constantIbLb1EES1B_EEDaS16_S17_EUlS16_E_NS1_11comp_targetILNS1_3genE0ELNS1_11target_archE4294967295ELNS1_3gpuE0ELNS1_3repE0EEENS1_30default_config_static_selectorELNS0_4arch9wavefront6targetE0EEEvT1_
    .private_segment_fixed_size: 0
    .sgpr_count:     0
    .sgpr_spill_count: 0
    .symbol:         _ZN7rocprim17ROCPRIM_400000_NS6detail17trampoline_kernelINS0_14default_configENS1_25partition_config_selectorILNS1_17partition_subalgoE6EyNS0_10empty_typeEbEEZZNS1_14partition_implILS5_6ELb0ES3_mN6thrust23THRUST_200600_302600_NS6detail15normal_iteratorINSA_10device_ptrIyEEEEPS6_SG_NS0_5tupleIJNSA_16discard_iteratorINSA_11use_defaultEEES6_EEENSH_IJSG_SG_EEES6_PlJNSB_9not_fun_tINSB_14equal_to_valueIyEEEEEEE10hipError_tPvRmT3_T4_T5_T6_T7_T9_mT8_P12ihipStream_tbDpT10_ENKUlT_T0_E_clISt17integral_constantIbLb1EES1B_EEDaS16_S17_EUlS16_E_NS1_11comp_targetILNS1_3genE0ELNS1_11target_archE4294967295ELNS1_3gpuE0ELNS1_3repE0EEENS1_30default_config_static_selectorELNS0_4arch9wavefront6targetE0EEEvT1_.kd
    .uniform_work_group_size: 1
    .uses_dynamic_stack: false
    .vgpr_count:     0
    .vgpr_spill_count: 0
    .wavefront_size: 32
    .workgroup_processor_mode: 1
  - .args:
      - .offset:         0
        .size:           136
        .value_kind:     by_value
    .group_segment_fixed_size: 0
    .kernarg_segment_align: 8
    .kernarg_segment_size: 136
    .language:       OpenCL C
    .language_version:
      - 2
      - 0
    .max_flat_workgroup_size: 512
    .name:           _ZN7rocprim17ROCPRIM_400000_NS6detail17trampoline_kernelINS0_14default_configENS1_25partition_config_selectorILNS1_17partition_subalgoE6EyNS0_10empty_typeEbEEZZNS1_14partition_implILS5_6ELb0ES3_mN6thrust23THRUST_200600_302600_NS6detail15normal_iteratorINSA_10device_ptrIyEEEEPS6_SG_NS0_5tupleIJNSA_16discard_iteratorINSA_11use_defaultEEES6_EEENSH_IJSG_SG_EEES6_PlJNSB_9not_fun_tINSB_14equal_to_valueIyEEEEEEE10hipError_tPvRmT3_T4_T5_T6_T7_T9_mT8_P12ihipStream_tbDpT10_ENKUlT_T0_E_clISt17integral_constantIbLb1EES1B_EEDaS16_S17_EUlS16_E_NS1_11comp_targetILNS1_3genE5ELNS1_11target_archE942ELNS1_3gpuE9ELNS1_3repE0EEENS1_30default_config_static_selectorELNS0_4arch9wavefront6targetE0EEEvT1_
    .private_segment_fixed_size: 0
    .sgpr_count:     0
    .sgpr_spill_count: 0
    .symbol:         _ZN7rocprim17ROCPRIM_400000_NS6detail17trampoline_kernelINS0_14default_configENS1_25partition_config_selectorILNS1_17partition_subalgoE6EyNS0_10empty_typeEbEEZZNS1_14partition_implILS5_6ELb0ES3_mN6thrust23THRUST_200600_302600_NS6detail15normal_iteratorINSA_10device_ptrIyEEEEPS6_SG_NS0_5tupleIJNSA_16discard_iteratorINSA_11use_defaultEEES6_EEENSH_IJSG_SG_EEES6_PlJNSB_9not_fun_tINSB_14equal_to_valueIyEEEEEEE10hipError_tPvRmT3_T4_T5_T6_T7_T9_mT8_P12ihipStream_tbDpT10_ENKUlT_T0_E_clISt17integral_constantIbLb1EES1B_EEDaS16_S17_EUlS16_E_NS1_11comp_targetILNS1_3genE5ELNS1_11target_archE942ELNS1_3gpuE9ELNS1_3repE0EEENS1_30default_config_static_selectorELNS0_4arch9wavefront6targetE0EEEvT1_.kd
    .uniform_work_group_size: 1
    .uses_dynamic_stack: false
    .vgpr_count:     0
    .vgpr_spill_count: 0
    .wavefront_size: 32
    .workgroup_processor_mode: 1
  - .args:
      - .offset:         0
        .size:           136
        .value_kind:     by_value
    .group_segment_fixed_size: 0
    .kernarg_segment_align: 8
    .kernarg_segment_size: 136
    .language:       OpenCL C
    .language_version:
      - 2
      - 0
    .max_flat_workgroup_size: 512
    .name:           _ZN7rocprim17ROCPRIM_400000_NS6detail17trampoline_kernelINS0_14default_configENS1_25partition_config_selectorILNS1_17partition_subalgoE6EyNS0_10empty_typeEbEEZZNS1_14partition_implILS5_6ELb0ES3_mN6thrust23THRUST_200600_302600_NS6detail15normal_iteratorINSA_10device_ptrIyEEEEPS6_SG_NS0_5tupleIJNSA_16discard_iteratorINSA_11use_defaultEEES6_EEENSH_IJSG_SG_EEES6_PlJNSB_9not_fun_tINSB_14equal_to_valueIyEEEEEEE10hipError_tPvRmT3_T4_T5_T6_T7_T9_mT8_P12ihipStream_tbDpT10_ENKUlT_T0_E_clISt17integral_constantIbLb1EES1B_EEDaS16_S17_EUlS16_E_NS1_11comp_targetILNS1_3genE4ELNS1_11target_archE910ELNS1_3gpuE8ELNS1_3repE0EEENS1_30default_config_static_selectorELNS0_4arch9wavefront6targetE0EEEvT1_
    .private_segment_fixed_size: 0
    .sgpr_count:     0
    .sgpr_spill_count: 0
    .symbol:         _ZN7rocprim17ROCPRIM_400000_NS6detail17trampoline_kernelINS0_14default_configENS1_25partition_config_selectorILNS1_17partition_subalgoE6EyNS0_10empty_typeEbEEZZNS1_14partition_implILS5_6ELb0ES3_mN6thrust23THRUST_200600_302600_NS6detail15normal_iteratorINSA_10device_ptrIyEEEEPS6_SG_NS0_5tupleIJNSA_16discard_iteratorINSA_11use_defaultEEES6_EEENSH_IJSG_SG_EEES6_PlJNSB_9not_fun_tINSB_14equal_to_valueIyEEEEEEE10hipError_tPvRmT3_T4_T5_T6_T7_T9_mT8_P12ihipStream_tbDpT10_ENKUlT_T0_E_clISt17integral_constantIbLb1EES1B_EEDaS16_S17_EUlS16_E_NS1_11comp_targetILNS1_3genE4ELNS1_11target_archE910ELNS1_3gpuE8ELNS1_3repE0EEENS1_30default_config_static_selectorELNS0_4arch9wavefront6targetE0EEEvT1_.kd
    .uniform_work_group_size: 1
    .uses_dynamic_stack: false
    .vgpr_count:     0
    .vgpr_spill_count: 0
    .wavefront_size: 32
    .workgroup_processor_mode: 1
  - .args:
      - .offset:         0
        .size:           136
        .value_kind:     by_value
    .group_segment_fixed_size: 0
    .kernarg_segment_align: 8
    .kernarg_segment_size: 136
    .language:       OpenCL C
    .language_version:
      - 2
      - 0
    .max_flat_workgroup_size: 128
    .name:           _ZN7rocprim17ROCPRIM_400000_NS6detail17trampoline_kernelINS0_14default_configENS1_25partition_config_selectorILNS1_17partition_subalgoE6EyNS0_10empty_typeEbEEZZNS1_14partition_implILS5_6ELb0ES3_mN6thrust23THRUST_200600_302600_NS6detail15normal_iteratorINSA_10device_ptrIyEEEEPS6_SG_NS0_5tupleIJNSA_16discard_iteratorINSA_11use_defaultEEES6_EEENSH_IJSG_SG_EEES6_PlJNSB_9not_fun_tINSB_14equal_to_valueIyEEEEEEE10hipError_tPvRmT3_T4_T5_T6_T7_T9_mT8_P12ihipStream_tbDpT10_ENKUlT_T0_E_clISt17integral_constantIbLb1EES1B_EEDaS16_S17_EUlS16_E_NS1_11comp_targetILNS1_3genE3ELNS1_11target_archE908ELNS1_3gpuE7ELNS1_3repE0EEENS1_30default_config_static_selectorELNS0_4arch9wavefront6targetE0EEEvT1_
    .private_segment_fixed_size: 0
    .sgpr_count:     0
    .sgpr_spill_count: 0
    .symbol:         _ZN7rocprim17ROCPRIM_400000_NS6detail17trampoline_kernelINS0_14default_configENS1_25partition_config_selectorILNS1_17partition_subalgoE6EyNS0_10empty_typeEbEEZZNS1_14partition_implILS5_6ELb0ES3_mN6thrust23THRUST_200600_302600_NS6detail15normal_iteratorINSA_10device_ptrIyEEEEPS6_SG_NS0_5tupleIJNSA_16discard_iteratorINSA_11use_defaultEEES6_EEENSH_IJSG_SG_EEES6_PlJNSB_9not_fun_tINSB_14equal_to_valueIyEEEEEEE10hipError_tPvRmT3_T4_T5_T6_T7_T9_mT8_P12ihipStream_tbDpT10_ENKUlT_T0_E_clISt17integral_constantIbLb1EES1B_EEDaS16_S17_EUlS16_E_NS1_11comp_targetILNS1_3genE3ELNS1_11target_archE908ELNS1_3gpuE7ELNS1_3repE0EEENS1_30default_config_static_selectorELNS0_4arch9wavefront6targetE0EEEvT1_.kd
    .uniform_work_group_size: 1
    .uses_dynamic_stack: false
    .vgpr_count:     0
    .vgpr_spill_count: 0
    .wavefront_size: 32
    .workgroup_processor_mode: 1
  - .args:
      - .offset:         0
        .size:           136
        .value_kind:     by_value
    .group_segment_fixed_size: 0
    .kernarg_segment_align: 8
    .kernarg_segment_size: 136
    .language:       OpenCL C
    .language_version:
      - 2
      - 0
    .max_flat_workgroup_size: 256
    .name:           _ZN7rocprim17ROCPRIM_400000_NS6detail17trampoline_kernelINS0_14default_configENS1_25partition_config_selectorILNS1_17partition_subalgoE6EyNS0_10empty_typeEbEEZZNS1_14partition_implILS5_6ELb0ES3_mN6thrust23THRUST_200600_302600_NS6detail15normal_iteratorINSA_10device_ptrIyEEEEPS6_SG_NS0_5tupleIJNSA_16discard_iteratorINSA_11use_defaultEEES6_EEENSH_IJSG_SG_EEES6_PlJNSB_9not_fun_tINSB_14equal_to_valueIyEEEEEEE10hipError_tPvRmT3_T4_T5_T6_T7_T9_mT8_P12ihipStream_tbDpT10_ENKUlT_T0_E_clISt17integral_constantIbLb1EES1B_EEDaS16_S17_EUlS16_E_NS1_11comp_targetILNS1_3genE2ELNS1_11target_archE906ELNS1_3gpuE6ELNS1_3repE0EEENS1_30default_config_static_selectorELNS0_4arch9wavefront6targetE0EEEvT1_
    .private_segment_fixed_size: 0
    .sgpr_count:     0
    .sgpr_spill_count: 0
    .symbol:         _ZN7rocprim17ROCPRIM_400000_NS6detail17trampoline_kernelINS0_14default_configENS1_25partition_config_selectorILNS1_17partition_subalgoE6EyNS0_10empty_typeEbEEZZNS1_14partition_implILS5_6ELb0ES3_mN6thrust23THRUST_200600_302600_NS6detail15normal_iteratorINSA_10device_ptrIyEEEEPS6_SG_NS0_5tupleIJNSA_16discard_iteratorINSA_11use_defaultEEES6_EEENSH_IJSG_SG_EEES6_PlJNSB_9not_fun_tINSB_14equal_to_valueIyEEEEEEE10hipError_tPvRmT3_T4_T5_T6_T7_T9_mT8_P12ihipStream_tbDpT10_ENKUlT_T0_E_clISt17integral_constantIbLb1EES1B_EEDaS16_S17_EUlS16_E_NS1_11comp_targetILNS1_3genE2ELNS1_11target_archE906ELNS1_3gpuE6ELNS1_3repE0EEENS1_30default_config_static_selectorELNS0_4arch9wavefront6targetE0EEEvT1_.kd
    .uniform_work_group_size: 1
    .uses_dynamic_stack: false
    .vgpr_count:     0
    .vgpr_spill_count: 0
    .wavefront_size: 32
    .workgroup_processor_mode: 1
  - .args:
      - .offset:         0
        .size:           136
        .value_kind:     by_value
    .group_segment_fixed_size: 0
    .kernarg_segment_align: 8
    .kernarg_segment_size: 136
    .language:       OpenCL C
    .language_version:
      - 2
      - 0
    .max_flat_workgroup_size: 256
    .name:           _ZN7rocprim17ROCPRIM_400000_NS6detail17trampoline_kernelINS0_14default_configENS1_25partition_config_selectorILNS1_17partition_subalgoE6EyNS0_10empty_typeEbEEZZNS1_14partition_implILS5_6ELb0ES3_mN6thrust23THRUST_200600_302600_NS6detail15normal_iteratorINSA_10device_ptrIyEEEEPS6_SG_NS0_5tupleIJNSA_16discard_iteratorINSA_11use_defaultEEES6_EEENSH_IJSG_SG_EEES6_PlJNSB_9not_fun_tINSB_14equal_to_valueIyEEEEEEE10hipError_tPvRmT3_T4_T5_T6_T7_T9_mT8_P12ihipStream_tbDpT10_ENKUlT_T0_E_clISt17integral_constantIbLb1EES1B_EEDaS16_S17_EUlS16_E_NS1_11comp_targetILNS1_3genE10ELNS1_11target_archE1200ELNS1_3gpuE4ELNS1_3repE0EEENS1_30default_config_static_selectorELNS0_4arch9wavefront6targetE0EEEvT1_
    .private_segment_fixed_size: 0
    .sgpr_count:     0
    .sgpr_spill_count: 0
    .symbol:         _ZN7rocprim17ROCPRIM_400000_NS6detail17trampoline_kernelINS0_14default_configENS1_25partition_config_selectorILNS1_17partition_subalgoE6EyNS0_10empty_typeEbEEZZNS1_14partition_implILS5_6ELb0ES3_mN6thrust23THRUST_200600_302600_NS6detail15normal_iteratorINSA_10device_ptrIyEEEEPS6_SG_NS0_5tupleIJNSA_16discard_iteratorINSA_11use_defaultEEES6_EEENSH_IJSG_SG_EEES6_PlJNSB_9not_fun_tINSB_14equal_to_valueIyEEEEEEE10hipError_tPvRmT3_T4_T5_T6_T7_T9_mT8_P12ihipStream_tbDpT10_ENKUlT_T0_E_clISt17integral_constantIbLb1EES1B_EEDaS16_S17_EUlS16_E_NS1_11comp_targetILNS1_3genE10ELNS1_11target_archE1200ELNS1_3gpuE4ELNS1_3repE0EEENS1_30default_config_static_selectorELNS0_4arch9wavefront6targetE0EEEvT1_.kd
    .uniform_work_group_size: 1
    .uses_dynamic_stack: false
    .vgpr_count:     0
    .vgpr_spill_count: 0
    .wavefront_size: 32
    .workgroup_processor_mode: 1
  - .args:
      - .offset:         0
        .size:           136
        .value_kind:     by_value
    .group_segment_fixed_size: 0
    .kernarg_segment_align: 8
    .kernarg_segment_size: 136
    .language:       OpenCL C
    .language_version:
      - 2
      - 0
    .max_flat_workgroup_size: 384
    .name:           _ZN7rocprim17ROCPRIM_400000_NS6detail17trampoline_kernelINS0_14default_configENS1_25partition_config_selectorILNS1_17partition_subalgoE6EyNS0_10empty_typeEbEEZZNS1_14partition_implILS5_6ELb0ES3_mN6thrust23THRUST_200600_302600_NS6detail15normal_iteratorINSA_10device_ptrIyEEEEPS6_SG_NS0_5tupleIJNSA_16discard_iteratorINSA_11use_defaultEEES6_EEENSH_IJSG_SG_EEES6_PlJNSB_9not_fun_tINSB_14equal_to_valueIyEEEEEEE10hipError_tPvRmT3_T4_T5_T6_T7_T9_mT8_P12ihipStream_tbDpT10_ENKUlT_T0_E_clISt17integral_constantIbLb1EES1B_EEDaS16_S17_EUlS16_E_NS1_11comp_targetILNS1_3genE9ELNS1_11target_archE1100ELNS1_3gpuE3ELNS1_3repE0EEENS1_30default_config_static_selectorELNS0_4arch9wavefront6targetE0EEEvT1_
    .private_segment_fixed_size: 0
    .sgpr_count:     0
    .sgpr_spill_count: 0
    .symbol:         _ZN7rocprim17ROCPRIM_400000_NS6detail17trampoline_kernelINS0_14default_configENS1_25partition_config_selectorILNS1_17partition_subalgoE6EyNS0_10empty_typeEbEEZZNS1_14partition_implILS5_6ELb0ES3_mN6thrust23THRUST_200600_302600_NS6detail15normal_iteratorINSA_10device_ptrIyEEEEPS6_SG_NS0_5tupleIJNSA_16discard_iteratorINSA_11use_defaultEEES6_EEENSH_IJSG_SG_EEES6_PlJNSB_9not_fun_tINSB_14equal_to_valueIyEEEEEEE10hipError_tPvRmT3_T4_T5_T6_T7_T9_mT8_P12ihipStream_tbDpT10_ENKUlT_T0_E_clISt17integral_constantIbLb1EES1B_EEDaS16_S17_EUlS16_E_NS1_11comp_targetILNS1_3genE9ELNS1_11target_archE1100ELNS1_3gpuE3ELNS1_3repE0EEENS1_30default_config_static_selectorELNS0_4arch9wavefront6targetE0EEEvT1_.kd
    .uniform_work_group_size: 1
    .uses_dynamic_stack: false
    .vgpr_count:     0
    .vgpr_spill_count: 0
    .wavefront_size: 32
    .workgroup_processor_mode: 1
  - .args:
      - .offset:         0
        .size:           136
        .value_kind:     by_value
    .group_segment_fixed_size: 0
    .kernarg_segment_align: 8
    .kernarg_segment_size: 136
    .language:       OpenCL C
    .language_version:
      - 2
      - 0
    .max_flat_workgroup_size: 512
    .name:           _ZN7rocprim17ROCPRIM_400000_NS6detail17trampoline_kernelINS0_14default_configENS1_25partition_config_selectorILNS1_17partition_subalgoE6EyNS0_10empty_typeEbEEZZNS1_14partition_implILS5_6ELb0ES3_mN6thrust23THRUST_200600_302600_NS6detail15normal_iteratorINSA_10device_ptrIyEEEEPS6_SG_NS0_5tupleIJNSA_16discard_iteratorINSA_11use_defaultEEES6_EEENSH_IJSG_SG_EEES6_PlJNSB_9not_fun_tINSB_14equal_to_valueIyEEEEEEE10hipError_tPvRmT3_T4_T5_T6_T7_T9_mT8_P12ihipStream_tbDpT10_ENKUlT_T0_E_clISt17integral_constantIbLb1EES1B_EEDaS16_S17_EUlS16_E_NS1_11comp_targetILNS1_3genE8ELNS1_11target_archE1030ELNS1_3gpuE2ELNS1_3repE0EEENS1_30default_config_static_selectorELNS0_4arch9wavefront6targetE0EEEvT1_
    .private_segment_fixed_size: 0
    .sgpr_count:     0
    .sgpr_spill_count: 0
    .symbol:         _ZN7rocprim17ROCPRIM_400000_NS6detail17trampoline_kernelINS0_14default_configENS1_25partition_config_selectorILNS1_17partition_subalgoE6EyNS0_10empty_typeEbEEZZNS1_14partition_implILS5_6ELb0ES3_mN6thrust23THRUST_200600_302600_NS6detail15normal_iteratorINSA_10device_ptrIyEEEEPS6_SG_NS0_5tupleIJNSA_16discard_iteratorINSA_11use_defaultEEES6_EEENSH_IJSG_SG_EEES6_PlJNSB_9not_fun_tINSB_14equal_to_valueIyEEEEEEE10hipError_tPvRmT3_T4_T5_T6_T7_T9_mT8_P12ihipStream_tbDpT10_ENKUlT_T0_E_clISt17integral_constantIbLb1EES1B_EEDaS16_S17_EUlS16_E_NS1_11comp_targetILNS1_3genE8ELNS1_11target_archE1030ELNS1_3gpuE2ELNS1_3repE0EEENS1_30default_config_static_selectorELNS0_4arch9wavefront6targetE0EEEvT1_.kd
    .uniform_work_group_size: 1
    .uses_dynamic_stack: false
    .vgpr_count:     0
    .vgpr_spill_count: 0
    .wavefront_size: 32
    .workgroup_processor_mode: 1
  - .args:
      - .offset:         0
        .size:           128
        .value_kind:     by_value
    .group_segment_fixed_size: 0
    .kernarg_segment_align: 8
    .kernarg_segment_size: 128
    .language:       OpenCL C
    .language_version:
      - 2
      - 0
    .max_flat_workgroup_size: 128
    .name:           _ZN7rocprim17ROCPRIM_400000_NS6detail17trampoline_kernelINS0_14default_configENS1_25partition_config_selectorILNS1_17partition_subalgoE6EyNS0_10empty_typeEbEEZZNS1_14partition_implILS5_6ELb0ES3_mN6thrust23THRUST_200600_302600_NS6detail15normal_iteratorINSA_10device_ptrIyEEEEPS6_SG_NS0_5tupleIJNSA_16discard_iteratorINSA_11use_defaultEEES6_EEENSH_IJSG_SG_EEES6_PlJNSB_9not_fun_tINSB_14equal_to_valueIyEEEEEEE10hipError_tPvRmT3_T4_T5_T6_T7_T9_mT8_P12ihipStream_tbDpT10_ENKUlT_T0_E_clISt17integral_constantIbLb1EES1A_IbLb0EEEEDaS16_S17_EUlS16_E_NS1_11comp_targetILNS1_3genE0ELNS1_11target_archE4294967295ELNS1_3gpuE0ELNS1_3repE0EEENS1_30default_config_static_selectorELNS0_4arch9wavefront6targetE0EEEvT1_
    .private_segment_fixed_size: 0
    .sgpr_count:     0
    .sgpr_spill_count: 0
    .symbol:         _ZN7rocprim17ROCPRIM_400000_NS6detail17trampoline_kernelINS0_14default_configENS1_25partition_config_selectorILNS1_17partition_subalgoE6EyNS0_10empty_typeEbEEZZNS1_14partition_implILS5_6ELb0ES3_mN6thrust23THRUST_200600_302600_NS6detail15normal_iteratorINSA_10device_ptrIyEEEEPS6_SG_NS0_5tupleIJNSA_16discard_iteratorINSA_11use_defaultEEES6_EEENSH_IJSG_SG_EEES6_PlJNSB_9not_fun_tINSB_14equal_to_valueIyEEEEEEE10hipError_tPvRmT3_T4_T5_T6_T7_T9_mT8_P12ihipStream_tbDpT10_ENKUlT_T0_E_clISt17integral_constantIbLb1EES1A_IbLb0EEEEDaS16_S17_EUlS16_E_NS1_11comp_targetILNS1_3genE0ELNS1_11target_archE4294967295ELNS1_3gpuE0ELNS1_3repE0EEENS1_30default_config_static_selectorELNS0_4arch9wavefront6targetE0EEEvT1_.kd
    .uniform_work_group_size: 1
    .uses_dynamic_stack: false
    .vgpr_count:     0
    .vgpr_spill_count: 0
    .wavefront_size: 32
    .workgroup_processor_mode: 1
  - .args:
      - .offset:         0
        .size:           128
        .value_kind:     by_value
    .group_segment_fixed_size: 0
    .kernarg_segment_align: 8
    .kernarg_segment_size: 128
    .language:       OpenCL C
    .language_version:
      - 2
      - 0
    .max_flat_workgroup_size: 512
    .name:           _ZN7rocprim17ROCPRIM_400000_NS6detail17trampoline_kernelINS0_14default_configENS1_25partition_config_selectorILNS1_17partition_subalgoE6EyNS0_10empty_typeEbEEZZNS1_14partition_implILS5_6ELb0ES3_mN6thrust23THRUST_200600_302600_NS6detail15normal_iteratorINSA_10device_ptrIyEEEEPS6_SG_NS0_5tupleIJNSA_16discard_iteratorINSA_11use_defaultEEES6_EEENSH_IJSG_SG_EEES6_PlJNSB_9not_fun_tINSB_14equal_to_valueIyEEEEEEE10hipError_tPvRmT3_T4_T5_T6_T7_T9_mT8_P12ihipStream_tbDpT10_ENKUlT_T0_E_clISt17integral_constantIbLb1EES1A_IbLb0EEEEDaS16_S17_EUlS16_E_NS1_11comp_targetILNS1_3genE5ELNS1_11target_archE942ELNS1_3gpuE9ELNS1_3repE0EEENS1_30default_config_static_selectorELNS0_4arch9wavefront6targetE0EEEvT1_
    .private_segment_fixed_size: 0
    .sgpr_count:     0
    .sgpr_spill_count: 0
    .symbol:         _ZN7rocprim17ROCPRIM_400000_NS6detail17trampoline_kernelINS0_14default_configENS1_25partition_config_selectorILNS1_17partition_subalgoE6EyNS0_10empty_typeEbEEZZNS1_14partition_implILS5_6ELb0ES3_mN6thrust23THRUST_200600_302600_NS6detail15normal_iteratorINSA_10device_ptrIyEEEEPS6_SG_NS0_5tupleIJNSA_16discard_iteratorINSA_11use_defaultEEES6_EEENSH_IJSG_SG_EEES6_PlJNSB_9not_fun_tINSB_14equal_to_valueIyEEEEEEE10hipError_tPvRmT3_T4_T5_T6_T7_T9_mT8_P12ihipStream_tbDpT10_ENKUlT_T0_E_clISt17integral_constantIbLb1EES1A_IbLb0EEEEDaS16_S17_EUlS16_E_NS1_11comp_targetILNS1_3genE5ELNS1_11target_archE942ELNS1_3gpuE9ELNS1_3repE0EEENS1_30default_config_static_selectorELNS0_4arch9wavefront6targetE0EEEvT1_.kd
    .uniform_work_group_size: 1
    .uses_dynamic_stack: false
    .vgpr_count:     0
    .vgpr_spill_count: 0
    .wavefront_size: 32
    .workgroup_processor_mode: 1
  - .args:
      - .offset:         0
        .size:           128
        .value_kind:     by_value
    .group_segment_fixed_size: 0
    .kernarg_segment_align: 8
    .kernarg_segment_size: 128
    .language:       OpenCL C
    .language_version:
      - 2
      - 0
    .max_flat_workgroup_size: 512
    .name:           _ZN7rocprim17ROCPRIM_400000_NS6detail17trampoline_kernelINS0_14default_configENS1_25partition_config_selectorILNS1_17partition_subalgoE6EyNS0_10empty_typeEbEEZZNS1_14partition_implILS5_6ELb0ES3_mN6thrust23THRUST_200600_302600_NS6detail15normal_iteratorINSA_10device_ptrIyEEEEPS6_SG_NS0_5tupleIJNSA_16discard_iteratorINSA_11use_defaultEEES6_EEENSH_IJSG_SG_EEES6_PlJNSB_9not_fun_tINSB_14equal_to_valueIyEEEEEEE10hipError_tPvRmT3_T4_T5_T6_T7_T9_mT8_P12ihipStream_tbDpT10_ENKUlT_T0_E_clISt17integral_constantIbLb1EES1A_IbLb0EEEEDaS16_S17_EUlS16_E_NS1_11comp_targetILNS1_3genE4ELNS1_11target_archE910ELNS1_3gpuE8ELNS1_3repE0EEENS1_30default_config_static_selectorELNS0_4arch9wavefront6targetE0EEEvT1_
    .private_segment_fixed_size: 0
    .sgpr_count:     0
    .sgpr_spill_count: 0
    .symbol:         _ZN7rocprim17ROCPRIM_400000_NS6detail17trampoline_kernelINS0_14default_configENS1_25partition_config_selectorILNS1_17partition_subalgoE6EyNS0_10empty_typeEbEEZZNS1_14partition_implILS5_6ELb0ES3_mN6thrust23THRUST_200600_302600_NS6detail15normal_iteratorINSA_10device_ptrIyEEEEPS6_SG_NS0_5tupleIJNSA_16discard_iteratorINSA_11use_defaultEEES6_EEENSH_IJSG_SG_EEES6_PlJNSB_9not_fun_tINSB_14equal_to_valueIyEEEEEEE10hipError_tPvRmT3_T4_T5_T6_T7_T9_mT8_P12ihipStream_tbDpT10_ENKUlT_T0_E_clISt17integral_constantIbLb1EES1A_IbLb0EEEEDaS16_S17_EUlS16_E_NS1_11comp_targetILNS1_3genE4ELNS1_11target_archE910ELNS1_3gpuE8ELNS1_3repE0EEENS1_30default_config_static_selectorELNS0_4arch9wavefront6targetE0EEEvT1_.kd
    .uniform_work_group_size: 1
    .uses_dynamic_stack: false
    .vgpr_count:     0
    .vgpr_spill_count: 0
    .wavefront_size: 32
    .workgroup_processor_mode: 1
  - .args:
      - .offset:         0
        .size:           128
        .value_kind:     by_value
    .group_segment_fixed_size: 0
    .kernarg_segment_align: 8
    .kernarg_segment_size: 128
    .language:       OpenCL C
    .language_version:
      - 2
      - 0
    .max_flat_workgroup_size: 128
    .name:           _ZN7rocprim17ROCPRIM_400000_NS6detail17trampoline_kernelINS0_14default_configENS1_25partition_config_selectorILNS1_17partition_subalgoE6EyNS0_10empty_typeEbEEZZNS1_14partition_implILS5_6ELb0ES3_mN6thrust23THRUST_200600_302600_NS6detail15normal_iteratorINSA_10device_ptrIyEEEEPS6_SG_NS0_5tupleIJNSA_16discard_iteratorINSA_11use_defaultEEES6_EEENSH_IJSG_SG_EEES6_PlJNSB_9not_fun_tINSB_14equal_to_valueIyEEEEEEE10hipError_tPvRmT3_T4_T5_T6_T7_T9_mT8_P12ihipStream_tbDpT10_ENKUlT_T0_E_clISt17integral_constantIbLb1EES1A_IbLb0EEEEDaS16_S17_EUlS16_E_NS1_11comp_targetILNS1_3genE3ELNS1_11target_archE908ELNS1_3gpuE7ELNS1_3repE0EEENS1_30default_config_static_selectorELNS0_4arch9wavefront6targetE0EEEvT1_
    .private_segment_fixed_size: 0
    .sgpr_count:     0
    .sgpr_spill_count: 0
    .symbol:         _ZN7rocprim17ROCPRIM_400000_NS6detail17trampoline_kernelINS0_14default_configENS1_25partition_config_selectorILNS1_17partition_subalgoE6EyNS0_10empty_typeEbEEZZNS1_14partition_implILS5_6ELb0ES3_mN6thrust23THRUST_200600_302600_NS6detail15normal_iteratorINSA_10device_ptrIyEEEEPS6_SG_NS0_5tupleIJNSA_16discard_iteratorINSA_11use_defaultEEES6_EEENSH_IJSG_SG_EEES6_PlJNSB_9not_fun_tINSB_14equal_to_valueIyEEEEEEE10hipError_tPvRmT3_T4_T5_T6_T7_T9_mT8_P12ihipStream_tbDpT10_ENKUlT_T0_E_clISt17integral_constantIbLb1EES1A_IbLb0EEEEDaS16_S17_EUlS16_E_NS1_11comp_targetILNS1_3genE3ELNS1_11target_archE908ELNS1_3gpuE7ELNS1_3repE0EEENS1_30default_config_static_selectorELNS0_4arch9wavefront6targetE0EEEvT1_.kd
    .uniform_work_group_size: 1
    .uses_dynamic_stack: false
    .vgpr_count:     0
    .vgpr_spill_count: 0
    .wavefront_size: 32
    .workgroup_processor_mode: 1
  - .args:
      - .offset:         0
        .size:           128
        .value_kind:     by_value
    .group_segment_fixed_size: 0
    .kernarg_segment_align: 8
    .kernarg_segment_size: 128
    .language:       OpenCL C
    .language_version:
      - 2
      - 0
    .max_flat_workgroup_size: 256
    .name:           _ZN7rocprim17ROCPRIM_400000_NS6detail17trampoline_kernelINS0_14default_configENS1_25partition_config_selectorILNS1_17partition_subalgoE6EyNS0_10empty_typeEbEEZZNS1_14partition_implILS5_6ELb0ES3_mN6thrust23THRUST_200600_302600_NS6detail15normal_iteratorINSA_10device_ptrIyEEEEPS6_SG_NS0_5tupleIJNSA_16discard_iteratorINSA_11use_defaultEEES6_EEENSH_IJSG_SG_EEES6_PlJNSB_9not_fun_tINSB_14equal_to_valueIyEEEEEEE10hipError_tPvRmT3_T4_T5_T6_T7_T9_mT8_P12ihipStream_tbDpT10_ENKUlT_T0_E_clISt17integral_constantIbLb1EES1A_IbLb0EEEEDaS16_S17_EUlS16_E_NS1_11comp_targetILNS1_3genE2ELNS1_11target_archE906ELNS1_3gpuE6ELNS1_3repE0EEENS1_30default_config_static_selectorELNS0_4arch9wavefront6targetE0EEEvT1_
    .private_segment_fixed_size: 0
    .sgpr_count:     0
    .sgpr_spill_count: 0
    .symbol:         _ZN7rocprim17ROCPRIM_400000_NS6detail17trampoline_kernelINS0_14default_configENS1_25partition_config_selectorILNS1_17partition_subalgoE6EyNS0_10empty_typeEbEEZZNS1_14partition_implILS5_6ELb0ES3_mN6thrust23THRUST_200600_302600_NS6detail15normal_iteratorINSA_10device_ptrIyEEEEPS6_SG_NS0_5tupleIJNSA_16discard_iteratorINSA_11use_defaultEEES6_EEENSH_IJSG_SG_EEES6_PlJNSB_9not_fun_tINSB_14equal_to_valueIyEEEEEEE10hipError_tPvRmT3_T4_T5_T6_T7_T9_mT8_P12ihipStream_tbDpT10_ENKUlT_T0_E_clISt17integral_constantIbLb1EES1A_IbLb0EEEEDaS16_S17_EUlS16_E_NS1_11comp_targetILNS1_3genE2ELNS1_11target_archE906ELNS1_3gpuE6ELNS1_3repE0EEENS1_30default_config_static_selectorELNS0_4arch9wavefront6targetE0EEEvT1_.kd
    .uniform_work_group_size: 1
    .uses_dynamic_stack: false
    .vgpr_count:     0
    .vgpr_spill_count: 0
    .wavefront_size: 32
    .workgroup_processor_mode: 1
  - .args:
      - .offset:         0
        .size:           128
        .value_kind:     by_value
    .group_segment_fixed_size: 0
    .kernarg_segment_align: 8
    .kernarg_segment_size: 128
    .language:       OpenCL C
    .language_version:
      - 2
      - 0
    .max_flat_workgroup_size: 256
    .name:           _ZN7rocprim17ROCPRIM_400000_NS6detail17trampoline_kernelINS0_14default_configENS1_25partition_config_selectorILNS1_17partition_subalgoE6EyNS0_10empty_typeEbEEZZNS1_14partition_implILS5_6ELb0ES3_mN6thrust23THRUST_200600_302600_NS6detail15normal_iteratorINSA_10device_ptrIyEEEEPS6_SG_NS0_5tupleIJNSA_16discard_iteratorINSA_11use_defaultEEES6_EEENSH_IJSG_SG_EEES6_PlJNSB_9not_fun_tINSB_14equal_to_valueIyEEEEEEE10hipError_tPvRmT3_T4_T5_T6_T7_T9_mT8_P12ihipStream_tbDpT10_ENKUlT_T0_E_clISt17integral_constantIbLb1EES1A_IbLb0EEEEDaS16_S17_EUlS16_E_NS1_11comp_targetILNS1_3genE10ELNS1_11target_archE1200ELNS1_3gpuE4ELNS1_3repE0EEENS1_30default_config_static_selectorELNS0_4arch9wavefront6targetE0EEEvT1_
    .private_segment_fixed_size: 0
    .sgpr_count:     0
    .sgpr_spill_count: 0
    .symbol:         _ZN7rocprim17ROCPRIM_400000_NS6detail17trampoline_kernelINS0_14default_configENS1_25partition_config_selectorILNS1_17partition_subalgoE6EyNS0_10empty_typeEbEEZZNS1_14partition_implILS5_6ELb0ES3_mN6thrust23THRUST_200600_302600_NS6detail15normal_iteratorINSA_10device_ptrIyEEEEPS6_SG_NS0_5tupleIJNSA_16discard_iteratorINSA_11use_defaultEEES6_EEENSH_IJSG_SG_EEES6_PlJNSB_9not_fun_tINSB_14equal_to_valueIyEEEEEEE10hipError_tPvRmT3_T4_T5_T6_T7_T9_mT8_P12ihipStream_tbDpT10_ENKUlT_T0_E_clISt17integral_constantIbLb1EES1A_IbLb0EEEEDaS16_S17_EUlS16_E_NS1_11comp_targetILNS1_3genE10ELNS1_11target_archE1200ELNS1_3gpuE4ELNS1_3repE0EEENS1_30default_config_static_selectorELNS0_4arch9wavefront6targetE0EEEvT1_.kd
    .uniform_work_group_size: 1
    .uses_dynamic_stack: false
    .vgpr_count:     0
    .vgpr_spill_count: 0
    .wavefront_size: 32
    .workgroup_processor_mode: 1
  - .args:
      - .offset:         0
        .size:           128
        .value_kind:     by_value
    .group_segment_fixed_size: 0
    .kernarg_segment_align: 8
    .kernarg_segment_size: 128
    .language:       OpenCL C
    .language_version:
      - 2
      - 0
    .max_flat_workgroup_size: 384
    .name:           _ZN7rocprim17ROCPRIM_400000_NS6detail17trampoline_kernelINS0_14default_configENS1_25partition_config_selectorILNS1_17partition_subalgoE6EyNS0_10empty_typeEbEEZZNS1_14partition_implILS5_6ELb0ES3_mN6thrust23THRUST_200600_302600_NS6detail15normal_iteratorINSA_10device_ptrIyEEEEPS6_SG_NS0_5tupleIJNSA_16discard_iteratorINSA_11use_defaultEEES6_EEENSH_IJSG_SG_EEES6_PlJNSB_9not_fun_tINSB_14equal_to_valueIyEEEEEEE10hipError_tPvRmT3_T4_T5_T6_T7_T9_mT8_P12ihipStream_tbDpT10_ENKUlT_T0_E_clISt17integral_constantIbLb1EES1A_IbLb0EEEEDaS16_S17_EUlS16_E_NS1_11comp_targetILNS1_3genE9ELNS1_11target_archE1100ELNS1_3gpuE3ELNS1_3repE0EEENS1_30default_config_static_selectorELNS0_4arch9wavefront6targetE0EEEvT1_
    .private_segment_fixed_size: 0
    .sgpr_count:     0
    .sgpr_spill_count: 0
    .symbol:         _ZN7rocprim17ROCPRIM_400000_NS6detail17trampoline_kernelINS0_14default_configENS1_25partition_config_selectorILNS1_17partition_subalgoE6EyNS0_10empty_typeEbEEZZNS1_14partition_implILS5_6ELb0ES3_mN6thrust23THRUST_200600_302600_NS6detail15normal_iteratorINSA_10device_ptrIyEEEEPS6_SG_NS0_5tupleIJNSA_16discard_iteratorINSA_11use_defaultEEES6_EEENSH_IJSG_SG_EEES6_PlJNSB_9not_fun_tINSB_14equal_to_valueIyEEEEEEE10hipError_tPvRmT3_T4_T5_T6_T7_T9_mT8_P12ihipStream_tbDpT10_ENKUlT_T0_E_clISt17integral_constantIbLb1EES1A_IbLb0EEEEDaS16_S17_EUlS16_E_NS1_11comp_targetILNS1_3genE9ELNS1_11target_archE1100ELNS1_3gpuE3ELNS1_3repE0EEENS1_30default_config_static_selectorELNS0_4arch9wavefront6targetE0EEEvT1_.kd
    .uniform_work_group_size: 1
    .uses_dynamic_stack: false
    .vgpr_count:     0
    .vgpr_spill_count: 0
    .wavefront_size: 32
    .workgroup_processor_mode: 1
  - .args:
      - .offset:         0
        .size:           128
        .value_kind:     by_value
    .group_segment_fixed_size: 0
    .kernarg_segment_align: 8
    .kernarg_segment_size: 128
    .language:       OpenCL C
    .language_version:
      - 2
      - 0
    .max_flat_workgroup_size: 512
    .name:           _ZN7rocprim17ROCPRIM_400000_NS6detail17trampoline_kernelINS0_14default_configENS1_25partition_config_selectorILNS1_17partition_subalgoE6EyNS0_10empty_typeEbEEZZNS1_14partition_implILS5_6ELb0ES3_mN6thrust23THRUST_200600_302600_NS6detail15normal_iteratorINSA_10device_ptrIyEEEEPS6_SG_NS0_5tupleIJNSA_16discard_iteratorINSA_11use_defaultEEES6_EEENSH_IJSG_SG_EEES6_PlJNSB_9not_fun_tINSB_14equal_to_valueIyEEEEEEE10hipError_tPvRmT3_T4_T5_T6_T7_T9_mT8_P12ihipStream_tbDpT10_ENKUlT_T0_E_clISt17integral_constantIbLb1EES1A_IbLb0EEEEDaS16_S17_EUlS16_E_NS1_11comp_targetILNS1_3genE8ELNS1_11target_archE1030ELNS1_3gpuE2ELNS1_3repE0EEENS1_30default_config_static_selectorELNS0_4arch9wavefront6targetE0EEEvT1_
    .private_segment_fixed_size: 0
    .sgpr_count:     0
    .sgpr_spill_count: 0
    .symbol:         _ZN7rocprim17ROCPRIM_400000_NS6detail17trampoline_kernelINS0_14default_configENS1_25partition_config_selectorILNS1_17partition_subalgoE6EyNS0_10empty_typeEbEEZZNS1_14partition_implILS5_6ELb0ES3_mN6thrust23THRUST_200600_302600_NS6detail15normal_iteratorINSA_10device_ptrIyEEEEPS6_SG_NS0_5tupleIJNSA_16discard_iteratorINSA_11use_defaultEEES6_EEENSH_IJSG_SG_EEES6_PlJNSB_9not_fun_tINSB_14equal_to_valueIyEEEEEEE10hipError_tPvRmT3_T4_T5_T6_T7_T9_mT8_P12ihipStream_tbDpT10_ENKUlT_T0_E_clISt17integral_constantIbLb1EES1A_IbLb0EEEEDaS16_S17_EUlS16_E_NS1_11comp_targetILNS1_3genE8ELNS1_11target_archE1030ELNS1_3gpuE2ELNS1_3repE0EEENS1_30default_config_static_selectorELNS0_4arch9wavefront6targetE0EEEvT1_.kd
    .uniform_work_group_size: 1
    .uses_dynamic_stack: false
    .vgpr_count:     0
    .vgpr_spill_count: 0
    .wavefront_size: 32
    .workgroup_processor_mode: 1
  - .args:
      - .offset:         0
        .size:           136
        .value_kind:     by_value
    .group_segment_fixed_size: 0
    .kernarg_segment_align: 8
    .kernarg_segment_size: 136
    .language:       OpenCL C
    .language_version:
      - 2
      - 0
    .max_flat_workgroup_size: 128
    .name:           _ZN7rocprim17ROCPRIM_400000_NS6detail17trampoline_kernelINS0_14default_configENS1_25partition_config_selectorILNS1_17partition_subalgoE6EyNS0_10empty_typeEbEEZZNS1_14partition_implILS5_6ELb0ES3_mN6thrust23THRUST_200600_302600_NS6detail15normal_iteratorINSA_10device_ptrIyEEEEPS6_SG_NS0_5tupleIJNSA_16discard_iteratorINSA_11use_defaultEEES6_EEENSH_IJSG_SG_EEES6_PlJNSB_9not_fun_tINSB_14equal_to_valueIyEEEEEEE10hipError_tPvRmT3_T4_T5_T6_T7_T9_mT8_P12ihipStream_tbDpT10_ENKUlT_T0_E_clISt17integral_constantIbLb0EES1A_IbLb1EEEEDaS16_S17_EUlS16_E_NS1_11comp_targetILNS1_3genE0ELNS1_11target_archE4294967295ELNS1_3gpuE0ELNS1_3repE0EEENS1_30default_config_static_selectorELNS0_4arch9wavefront6targetE0EEEvT1_
    .private_segment_fixed_size: 0
    .sgpr_count:     0
    .sgpr_spill_count: 0
    .symbol:         _ZN7rocprim17ROCPRIM_400000_NS6detail17trampoline_kernelINS0_14default_configENS1_25partition_config_selectorILNS1_17partition_subalgoE6EyNS0_10empty_typeEbEEZZNS1_14partition_implILS5_6ELb0ES3_mN6thrust23THRUST_200600_302600_NS6detail15normal_iteratorINSA_10device_ptrIyEEEEPS6_SG_NS0_5tupleIJNSA_16discard_iteratorINSA_11use_defaultEEES6_EEENSH_IJSG_SG_EEES6_PlJNSB_9not_fun_tINSB_14equal_to_valueIyEEEEEEE10hipError_tPvRmT3_T4_T5_T6_T7_T9_mT8_P12ihipStream_tbDpT10_ENKUlT_T0_E_clISt17integral_constantIbLb0EES1A_IbLb1EEEEDaS16_S17_EUlS16_E_NS1_11comp_targetILNS1_3genE0ELNS1_11target_archE4294967295ELNS1_3gpuE0ELNS1_3repE0EEENS1_30default_config_static_selectorELNS0_4arch9wavefront6targetE0EEEvT1_.kd
    .uniform_work_group_size: 1
    .uses_dynamic_stack: false
    .vgpr_count:     0
    .vgpr_spill_count: 0
    .wavefront_size: 32
    .workgroup_processor_mode: 1
  - .args:
      - .offset:         0
        .size:           136
        .value_kind:     by_value
    .group_segment_fixed_size: 0
    .kernarg_segment_align: 8
    .kernarg_segment_size: 136
    .language:       OpenCL C
    .language_version:
      - 2
      - 0
    .max_flat_workgroup_size: 512
    .name:           _ZN7rocprim17ROCPRIM_400000_NS6detail17trampoline_kernelINS0_14default_configENS1_25partition_config_selectorILNS1_17partition_subalgoE6EyNS0_10empty_typeEbEEZZNS1_14partition_implILS5_6ELb0ES3_mN6thrust23THRUST_200600_302600_NS6detail15normal_iteratorINSA_10device_ptrIyEEEEPS6_SG_NS0_5tupleIJNSA_16discard_iteratorINSA_11use_defaultEEES6_EEENSH_IJSG_SG_EEES6_PlJNSB_9not_fun_tINSB_14equal_to_valueIyEEEEEEE10hipError_tPvRmT3_T4_T5_T6_T7_T9_mT8_P12ihipStream_tbDpT10_ENKUlT_T0_E_clISt17integral_constantIbLb0EES1A_IbLb1EEEEDaS16_S17_EUlS16_E_NS1_11comp_targetILNS1_3genE5ELNS1_11target_archE942ELNS1_3gpuE9ELNS1_3repE0EEENS1_30default_config_static_selectorELNS0_4arch9wavefront6targetE0EEEvT1_
    .private_segment_fixed_size: 0
    .sgpr_count:     0
    .sgpr_spill_count: 0
    .symbol:         _ZN7rocprim17ROCPRIM_400000_NS6detail17trampoline_kernelINS0_14default_configENS1_25partition_config_selectorILNS1_17partition_subalgoE6EyNS0_10empty_typeEbEEZZNS1_14partition_implILS5_6ELb0ES3_mN6thrust23THRUST_200600_302600_NS6detail15normal_iteratorINSA_10device_ptrIyEEEEPS6_SG_NS0_5tupleIJNSA_16discard_iteratorINSA_11use_defaultEEES6_EEENSH_IJSG_SG_EEES6_PlJNSB_9not_fun_tINSB_14equal_to_valueIyEEEEEEE10hipError_tPvRmT3_T4_T5_T6_T7_T9_mT8_P12ihipStream_tbDpT10_ENKUlT_T0_E_clISt17integral_constantIbLb0EES1A_IbLb1EEEEDaS16_S17_EUlS16_E_NS1_11comp_targetILNS1_3genE5ELNS1_11target_archE942ELNS1_3gpuE9ELNS1_3repE0EEENS1_30default_config_static_selectorELNS0_4arch9wavefront6targetE0EEEvT1_.kd
    .uniform_work_group_size: 1
    .uses_dynamic_stack: false
    .vgpr_count:     0
    .vgpr_spill_count: 0
    .wavefront_size: 32
    .workgroup_processor_mode: 1
  - .args:
      - .offset:         0
        .size:           136
        .value_kind:     by_value
    .group_segment_fixed_size: 0
    .kernarg_segment_align: 8
    .kernarg_segment_size: 136
    .language:       OpenCL C
    .language_version:
      - 2
      - 0
    .max_flat_workgroup_size: 512
    .name:           _ZN7rocprim17ROCPRIM_400000_NS6detail17trampoline_kernelINS0_14default_configENS1_25partition_config_selectorILNS1_17partition_subalgoE6EyNS0_10empty_typeEbEEZZNS1_14partition_implILS5_6ELb0ES3_mN6thrust23THRUST_200600_302600_NS6detail15normal_iteratorINSA_10device_ptrIyEEEEPS6_SG_NS0_5tupleIJNSA_16discard_iteratorINSA_11use_defaultEEES6_EEENSH_IJSG_SG_EEES6_PlJNSB_9not_fun_tINSB_14equal_to_valueIyEEEEEEE10hipError_tPvRmT3_T4_T5_T6_T7_T9_mT8_P12ihipStream_tbDpT10_ENKUlT_T0_E_clISt17integral_constantIbLb0EES1A_IbLb1EEEEDaS16_S17_EUlS16_E_NS1_11comp_targetILNS1_3genE4ELNS1_11target_archE910ELNS1_3gpuE8ELNS1_3repE0EEENS1_30default_config_static_selectorELNS0_4arch9wavefront6targetE0EEEvT1_
    .private_segment_fixed_size: 0
    .sgpr_count:     0
    .sgpr_spill_count: 0
    .symbol:         _ZN7rocprim17ROCPRIM_400000_NS6detail17trampoline_kernelINS0_14default_configENS1_25partition_config_selectorILNS1_17partition_subalgoE6EyNS0_10empty_typeEbEEZZNS1_14partition_implILS5_6ELb0ES3_mN6thrust23THRUST_200600_302600_NS6detail15normal_iteratorINSA_10device_ptrIyEEEEPS6_SG_NS0_5tupleIJNSA_16discard_iteratorINSA_11use_defaultEEES6_EEENSH_IJSG_SG_EEES6_PlJNSB_9not_fun_tINSB_14equal_to_valueIyEEEEEEE10hipError_tPvRmT3_T4_T5_T6_T7_T9_mT8_P12ihipStream_tbDpT10_ENKUlT_T0_E_clISt17integral_constantIbLb0EES1A_IbLb1EEEEDaS16_S17_EUlS16_E_NS1_11comp_targetILNS1_3genE4ELNS1_11target_archE910ELNS1_3gpuE8ELNS1_3repE0EEENS1_30default_config_static_selectorELNS0_4arch9wavefront6targetE0EEEvT1_.kd
    .uniform_work_group_size: 1
    .uses_dynamic_stack: false
    .vgpr_count:     0
    .vgpr_spill_count: 0
    .wavefront_size: 32
    .workgroup_processor_mode: 1
  - .args:
      - .offset:         0
        .size:           136
        .value_kind:     by_value
    .group_segment_fixed_size: 0
    .kernarg_segment_align: 8
    .kernarg_segment_size: 136
    .language:       OpenCL C
    .language_version:
      - 2
      - 0
    .max_flat_workgroup_size: 128
    .name:           _ZN7rocprim17ROCPRIM_400000_NS6detail17trampoline_kernelINS0_14default_configENS1_25partition_config_selectorILNS1_17partition_subalgoE6EyNS0_10empty_typeEbEEZZNS1_14partition_implILS5_6ELb0ES3_mN6thrust23THRUST_200600_302600_NS6detail15normal_iteratorINSA_10device_ptrIyEEEEPS6_SG_NS0_5tupleIJNSA_16discard_iteratorINSA_11use_defaultEEES6_EEENSH_IJSG_SG_EEES6_PlJNSB_9not_fun_tINSB_14equal_to_valueIyEEEEEEE10hipError_tPvRmT3_T4_T5_T6_T7_T9_mT8_P12ihipStream_tbDpT10_ENKUlT_T0_E_clISt17integral_constantIbLb0EES1A_IbLb1EEEEDaS16_S17_EUlS16_E_NS1_11comp_targetILNS1_3genE3ELNS1_11target_archE908ELNS1_3gpuE7ELNS1_3repE0EEENS1_30default_config_static_selectorELNS0_4arch9wavefront6targetE0EEEvT1_
    .private_segment_fixed_size: 0
    .sgpr_count:     0
    .sgpr_spill_count: 0
    .symbol:         _ZN7rocprim17ROCPRIM_400000_NS6detail17trampoline_kernelINS0_14default_configENS1_25partition_config_selectorILNS1_17partition_subalgoE6EyNS0_10empty_typeEbEEZZNS1_14partition_implILS5_6ELb0ES3_mN6thrust23THRUST_200600_302600_NS6detail15normal_iteratorINSA_10device_ptrIyEEEEPS6_SG_NS0_5tupleIJNSA_16discard_iteratorINSA_11use_defaultEEES6_EEENSH_IJSG_SG_EEES6_PlJNSB_9not_fun_tINSB_14equal_to_valueIyEEEEEEE10hipError_tPvRmT3_T4_T5_T6_T7_T9_mT8_P12ihipStream_tbDpT10_ENKUlT_T0_E_clISt17integral_constantIbLb0EES1A_IbLb1EEEEDaS16_S17_EUlS16_E_NS1_11comp_targetILNS1_3genE3ELNS1_11target_archE908ELNS1_3gpuE7ELNS1_3repE0EEENS1_30default_config_static_selectorELNS0_4arch9wavefront6targetE0EEEvT1_.kd
    .uniform_work_group_size: 1
    .uses_dynamic_stack: false
    .vgpr_count:     0
    .vgpr_spill_count: 0
    .wavefront_size: 32
    .workgroup_processor_mode: 1
  - .args:
      - .offset:         0
        .size:           136
        .value_kind:     by_value
    .group_segment_fixed_size: 0
    .kernarg_segment_align: 8
    .kernarg_segment_size: 136
    .language:       OpenCL C
    .language_version:
      - 2
      - 0
    .max_flat_workgroup_size: 256
    .name:           _ZN7rocprim17ROCPRIM_400000_NS6detail17trampoline_kernelINS0_14default_configENS1_25partition_config_selectorILNS1_17partition_subalgoE6EyNS0_10empty_typeEbEEZZNS1_14partition_implILS5_6ELb0ES3_mN6thrust23THRUST_200600_302600_NS6detail15normal_iteratorINSA_10device_ptrIyEEEEPS6_SG_NS0_5tupleIJNSA_16discard_iteratorINSA_11use_defaultEEES6_EEENSH_IJSG_SG_EEES6_PlJNSB_9not_fun_tINSB_14equal_to_valueIyEEEEEEE10hipError_tPvRmT3_T4_T5_T6_T7_T9_mT8_P12ihipStream_tbDpT10_ENKUlT_T0_E_clISt17integral_constantIbLb0EES1A_IbLb1EEEEDaS16_S17_EUlS16_E_NS1_11comp_targetILNS1_3genE2ELNS1_11target_archE906ELNS1_3gpuE6ELNS1_3repE0EEENS1_30default_config_static_selectorELNS0_4arch9wavefront6targetE0EEEvT1_
    .private_segment_fixed_size: 0
    .sgpr_count:     0
    .sgpr_spill_count: 0
    .symbol:         _ZN7rocprim17ROCPRIM_400000_NS6detail17trampoline_kernelINS0_14default_configENS1_25partition_config_selectorILNS1_17partition_subalgoE6EyNS0_10empty_typeEbEEZZNS1_14partition_implILS5_6ELb0ES3_mN6thrust23THRUST_200600_302600_NS6detail15normal_iteratorINSA_10device_ptrIyEEEEPS6_SG_NS0_5tupleIJNSA_16discard_iteratorINSA_11use_defaultEEES6_EEENSH_IJSG_SG_EEES6_PlJNSB_9not_fun_tINSB_14equal_to_valueIyEEEEEEE10hipError_tPvRmT3_T4_T5_T6_T7_T9_mT8_P12ihipStream_tbDpT10_ENKUlT_T0_E_clISt17integral_constantIbLb0EES1A_IbLb1EEEEDaS16_S17_EUlS16_E_NS1_11comp_targetILNS1_3genE2ELNS1_11target_archE906ELNS1_3gpuE6ELNS1_3repE0EEENS1_30default_config_static_selectorELNS0_4arch9wavefront6targetE0EEEvT1_.kd
    .uniform_work_group_size: 1
    .uses_dynamic_stack: false
    .vgpr_count:     0
    .vgpr_spill_count: 0
    .wavefront_size: 32
    .workgroup_processor_mode: 1
  - .args:
      - .offset:         0
        .size:           136
        .value_kind:     by_value
    .group_segment_fixed_size: 8464
    .kernarg_segment_align: 8
    .kernarg_segment_size: 136
    .language:       OpenCL C
    .language_version:
      - 2
      - 0
    .max_flat_workgroup_size: 256
    .name:           _ZN7rocprim17ROCPRIM_400000_NS6detail17trampoline_kernelINS0_14default_configENS1_25partition_config_selectorILNS1_17partition_subalgoE6EyNS0_10empty_typeEbEEZZNS1_14partition_implILS5_6ELb0ES3_mN6thrust23THRUST_200600_302600_NS6detail15normal_iteratorINSA_10device_ptrIyEEEEPS6_SG_NS0_5tupleIJNSA_16discard_iteratorINSA_11use_defaultEEES6_EEENSH_IJSG_SG_EEES6_PlJNSB_9not_fun_tINSB_14equal_to_valueIyEEEEEEE10hipError_tPvRmT3_T4_T5_T6_T7_T9_mT8_P12ihipStream_tbDpT10_ENKUlT_T0_E_clISt17integral_constantIbLb0EES1A_IbLb1EEEEDaS16_S17_EUlS16_E_NS1_11comp_targetILNS1_3genE10ELNS1_11target_archE1200ELNS1_3gpuE4ELNS1_3repE0EEENS1_30default_config_static_selectorELNS0_4arch9wavefront6targetE0EEEvT1_
    .private_segment_fixed_size: 0
    .sgpr_count:     24
    .sgpr_spill_count: 0
    .symbol:         _ZN7rocprim17ROCPRIM_400000_NS6detail17trampoline_kernelINS0_14default_configENS1_25partition_config_selectorILNS1_17partition_subalgoE6EyNS0_10empty_typeEbEEZZNS1_14partition_implILS5_6ELb0ES3_mN6thrust23THRUST_200600_302600_NS6detail15normal_iteratorINSA_10device_ptrIyEEEEPS6_SG_NS0_5tupleIJNSA_16discard_iteratorINSA_11use_defaultEEES6_EEENSH_IJSG_SG_EEES6_PlJNSB_9not_fun_tINSB_14equal_to_valueIyEEEEEEE10hipError_tPvRmT3_T4_T5_T6_T7_T9_mT8_P12ihipStream_tbDpT10_ENKUlT_T0_E_clISt17integral_constantIbLb0EES1A_IbLb1EEEEDaS16_S17_EUlS16_E_NS1_11comp_targetILNS1_3genE10ELNS1_11target_archE1200ELNS1_3gpuE4ELNS1_3repE0EEENS1_30default_config_static_selectorELNS0_4arch9wavefront6targetE0EEEvT1_.kd
    .uniform_work_group_size: 1
    .uses_dynamic_stack: false
    .vgpr_count:     47
    .vgpr_spill_count: 0
    .wavefront_size: 32
    .workgroup_processor_mode: 1
  - .args:
      - .offset:         0
        .size:           136
        .value_kind:     by_value
    .group_segment_fixed_size: 0
    .kernarg_segment_align: 8
    .kernarg_segment_size: 136
    .language:       OpenCL C
    .language_version:
      - 2
      - 0
    .max_flat_workgroup_size: 384
    .name:           _ZN7rocprim17ROCPRIM_400000_NS6detail17trampoline_kernelINS0_14default_configENS1_25partition_config_selectorILNS1_17partition_subalgoE6EyNS0_10empty_typeEbEEZZNS1_14partition_implILS5_6ELb0ES3_mN6thrust23THRUST_200600_302600_NS6detail15normal_iteratorINSA_10device_ptrIyEEEEPS6_SG_NS0_5tupleIJNSA_16discard_iteratorINSA_11use_defaultEEES6_EEENSH_IJSG_SG_EEES6_PlJNSB_9not_fun_tINSB_14equal_to_valueIyEEEEEEE10hipError_tPvRmT3_T4_T5_T6_T7_T9_mT8_P12ihipStream_tbDpT10_ENKUlT_T0_E_clISt17integral_constantIbLb0EES1A_IbLb1EEEEDaS16_S17_EUlS16_E_NS1_11comp_targetILNS1_3genE9ELNS1_11target_archE1100ELNS1_3gpuE3ELNS1_3repE0EEENS1_30default_config_static_selectorELNS0_4arch9wavefront6targetE0EEEvT1_
    .private_segment_fixed_size: 0
    .sgpr_count:     0
    .sgpr_spill_count: 0
    .symbol:         _ZN7rocprim17ROCPRIM_400000_NS6detail17trampoline_kernelINS0_14default_configENS1_25partition_config_selectorILNS1_17partition_subalgoE6EyNS0_10empty_typeEbEEZZNS1_14partition_implILS5_6ELb0ES3_mN6thrust23THRUST_200600_302600_NS6detail15normal_iteratorINSA_10device_ptrIyEEEEPS6_SG_NS0_5tupleIJNSA_16discard_iteratorINSA_11use_defaultEEES6_EEENSH_IJSG_SG_EEES6_PlJNSB_9not_fun_tINSB_14equal_to_valueIyEEEEEEE10hipError_tPvRmT3_T4_T5_T6_T7_T9_mT8_P12ihipStream_tbDpT10_ENKUlT_T0_E_clISt17integral_constantIbLb0EES1A_IbLb1EEEEDaS16_S17_EUlS16_E_NS1_11comp_targetILNS1_3genE9ELNS1_11target_archE1100ELNS1_3gpuE3ELNS1_3repE0EEENS1_30default_config_static_selectorELNS0_4arch9wavefront6targetE0EEEvT1_.kd
    .uniform_work_group_size: 1
    .uses_dynamic_stack: false
    .vgpr_count:     0
    .vgpr_spill_count: 0
    .wavefront_size: 32
    .workgroup_processor_mode: 1
  - .args:
      - .offset:         0
        .size:           136
        .value_kind:     by_value
    .group_segment_fixed_size: 0
    .kernarg_segment_align: 8
    .kernarg_segment_size: 136
    .language:       OpenCL C
    .language_version:
      - 2
      - 0
    .max_flat_workgroup_size: 512
    .name:           _ZN7rocprim17ROCPRIM_400000_NS6detail17trampoline_kernelINS0_14default_configENS1_25partition_config_selectorILNS1_17partition_subalgoE6EyNS0_10empty_typeEbEEZZNS1_14partition_implILS5_6ELb0ES3_mN6thrust23THRUST_200600_302600_NS6detail15normal_iteratorINSA_10device_ptrIyEEEEPS6_SG_NS0_5tupleIJNSA_16discard_iteratorINSA_11use_defaultEEES6_EEENSH_IJSG_SG_EEES6_PlJNSB_9not_fun_tINSB_14equal_to_valueIyEEEEEEE10hipError_tPvRmT3_T4_T5_T6_T7_T9_mT8_P12ihipStream_tbDpT10_ENKUlT_T0_E_clISt17integral_constantIbLb0EES1A_IbLb1EEEEDaS16_S17_EUlS16_E_NS1_11comp_targetILNS1_3genE8ELNS1_11target_archE1030ELNS1_3gpuE2ELNS1_3repE0EEENS1_30default_config_static_selectorELNS0_4arch9wavefront6targetE0EEEvT1_
    .private_segment_fixed_size: 0
    .sgpr_count:     0
    .sgpr_spill_count: 0
    .symbol:         _ZN7rocprim17ROCPRIM_400000_NS6detail17trampoline_kernelINS0_14default_configENS1_25partition_config_selectorILNS1_17partition_subalgoE6EyNS0_10empty_typeEbEEZZNS1_14partition_implILS5_6ELb0ES3_mN6thrust23THRUST_200600_302600_NS6detail15normal_iteratorINSA_10device_ptrIyEEEEPS6_SG_NS0_5tupleIJNSA_16discard_iteratorINSA_11use_defaultEEES6_EEENSH_IJSG_SG_EEES6_PlJNSB_9not_fun_tINSB_14equal_to_valueIyEEEEEEE10hipError_tPvRmT3_T4_T5_T6_T7_T9_mT8_P12ihipStream_tbDpT10_ENKUlT_T0_E_clISt17integral_constantIbLb0EES1A_IbLb1EEEEDaS16_S17_EUlS16_E_NS1_11comp_targetILNS1_3genE8ELNS1_11target_archE1030ELNS1_3gpuE2ELNS1_3repE0EEENS1_30default_config_static_selectorELNS0_4arch9wavefront6targetE0EEEvT1_.kd
    .uniform_work_group_size: 1
    .uses_dynamic_stack: false
    .vgpr_count:     0
    .vgpr_spill_count: 0
    .wavefront_size: 32
    .workgroup_processor_mode: 1
  - .args:
      - .offset:         0
        .size:           128
        .value_kind:     by_value
    .group_segment_fixed_size: 0
    .kernarg_segment_align: 8
    .kernarg_segment_size: 128
    .language:       OpenCL C
    .language_version:
      - 2
      - 0
    .max_flat_workgroup_size: 256
    .name:           _ZN7rocprim17ROCPRIM_400000_NS6detail17trampoline_kernelINS0_14default_configENS1_25partition_config_selectorILNS1_17partition_subalgoE6EjNS0_10empty_typeEbEEZZNS1_14partition_implILS5_6ELb0ES3_mN6thrust23THRUST_200600_302600_NS6detail15normal_iteratorINSA_10device_ptrIjEEEEPS6_SG_NS0_5tupleIJNSA_16discard_iteratorINSA_11use_defaultEEES6_EEENSH_IJSG_SG_EEES6_PlJNSB_9not_fun_tINSB_14equal_to_valueIjEEEEEEE10hipError_tPvRmT3_T4_T5_T6_T7_T9_mT8_P12ihipStream_tbDpT10_ENKUlT_T0_E_clISt17integral_constantIbLb0EES1B_EEDaS16_S17_EUlS16_E_NS1_11comp_targetILNS1_3genE0ELNS1_11target_archE4294967295ELNS1_3gpuE0ELNS1_3repE0EEENS1_30default_config_static_selectorELNS0_4arch9wavefront6targetE0EEEvT1_
    .private_segment_fixed_size: 0
    .sgpr_count:     0
    .sgpr_spill_count: 0
    .symbol:         _ZN7rocprim17ROCPRIM_400000_NS6detail17trampoline_kernelINS0_14default_configENS1_25partition_config_selectorILNS1_17partition_subalgoE6EjNS0_10empty_typeEbEEZZNS1_14partition_implILS5_6ELb0ES3_mN6thrust23THRUST_200600_302600_NS6detail15normal_iteratorINSA_10device_ptrIjEEEEPS6_SG_NS0_5tupleIJNSA_16discard_iteratorINSA_11use_defaultEEES6_EEENSH_IJSG_SG_EEES6_PlJNSB_9not_fun_tINSB_14equal_to_valueIjEEEEEEE10hipError_tPvRmT3_T4_T5_T6_T7_T9_mT8_P12ihipStream_tbDpT10_ENKUlT_T0_E_clISt17integral_constantIbLb0EES1B_EEDaS16_S17_EUlS16_E_NS1_11comp_targetILNS1_3genE0ELNS1_11target_archE4294967295ELNS1_3gpuE0ELNS1_3repE0EEENS1_30default_config_static_selectorELNS0_4arch9wavefront6targetE0EEEvT1_.kd
    .uniform_work_group_size: 1
    .uses_dynamic_stack: false
    .vgpr_count:     0
    .vgpr_spill_count: 0
    .wavefront_size: 32
    .workgroup_processor_mode: 1
  - .args:
      - .offset:         0
        .size:           128
        .value_kind:     by_value
    .group_segment_fixed_size: 0
    .kernarg_segment_align: 8
    .kernarg_segment_size: 128
    .language:       OpenCL C
    .language_version:
      - 2
      - 0
    .max_flat_workgroup_size: 512
    .name:           _ZN7rocprim17ROCPRIM_400000_NS6detail17trampoline_kernelINS0_14default_configENS1_25partition_config_selectorILNS1_17partition_subalgoE6EjNS0_10empty_typeEbEEZZNS1_14partition_implILS5_6ELb0ES3_mN6thrust23THRUST_200600_302600_NS6detail15normal_iteratorINSA_10device_ptrIjEEEEPS6_SG_NS0_5tupleIJNSA_16discard_iteratorINSA_11use_defaultEEES6_EEENSH_IJSG_SG_EEES6_PlJNSB_9not_fun_tINSB_14equal_to_valueIjEEEEEEE10hipError_tPvRmT3_T4_T5_T6_T7_T9_mT8_P12ihipStream_tbDpT10_ENKUlT_T0_E_clISt17integral_constantIbLb0EES1B_EEDaS16_S17_EUlS16_E_NS1_11comp_targetILNS1_3genE5ELNS1_11target_archE942ELNS1_3gpuE9ELNS1_3repE0EEENS1_30default_config_static_selectorELNS0_4arch9wavefront6targetE0EEEvT1_
    .private_segment_fixed_size: 0
    .sgpr_count:     0
    .sgpr_spill_count: 0
    .symbol:         _ZN7rocprim17ROCPRIM_400000_NS6detail17trampoline_kernelINS0_14default_configENS1_25partition_config_selectorILNS1_17partition_subalgoE6EjNS0_10empty_typeEbEEZZNS1_14partition_implILS5_6ELb0ES3_mN6thrust23THRUST_200600_302600_NS6detail15normal_iteratorINSA_10device_ptrIjEEEEPS6_SG_NS0_5tupleIJNSA_16discard_iteratorINSA_11use_defaultEEES6_EEENSH_IJSG_SG_EEES6_PlJNSB_9not_fun_tINSB_14equal_to_valueIjEEEEEEE10hipError_tPvRmT3_T4_T5_T6_T7_T9_mT8_P12ihipStream_tbDpT10_ENKUlT_T0_E_clISt17integral_constantIbLb0EES1B_EEDaS16_S17_EUlS16_E_NS1_11comp_targetILNS1_3genE5ELNS1_11target_archE942ELNS1_3gpuE9ELNS1_3repE0EEENS1_30default_config_static_selectorELNS0_4arch9wavefront6targetE0EEEvT1_.kd
    .uniform_work_group_size: 1
    .uses_dynamic_stack: false
    .vgpr_count:     0
    .vgpr_spill_count: 0
    .wavefront_size: 32
    .workgroup_processor_mode: 1
  - .args:
      - .offset:         0
        .size:           128
        .value_kind:     by_value
    .group_segment_fixed_size: 0
    .kernarg_segment_align: 8
    .kernarg_segment_size: 128
    .language:       OpenCL C
    .language_version:
      - 2
      - 0
    .max_flat_workgroup_size: 512
    .name:           _ZN7rocprim17ROCPRIM_400000_NS6detail17trampoline_kernelINS0_14default_configENS1_25partition_config_selectorILNS1_17partition_subalgoE6EjNS0_10empty_typeEbEEZZNS1_14partition_implILS5_6ELb0ES3_mN6thrust23THRUST_200600_302600_NS6detail15normal_iteratorINSA_10device_ptrIjEEEEPS6_SG_NS0_5tupleIJNSA_16discard_iteratorINSA_11use_defaultEEES6_EEENSH_IJSG_SG_EEES6_PlJNSB_9not_fun_tINSB_14equal_to_valueIjEEEEEEE10hipError_tPvRmT3_T4_T5_T6_T7_T9_mT8_P12ihipStream_tbDpT10_ENKUlT_T0_E_clISt17integral_constantIbLb0EES1B_EEDaS16_S17_EUlS16_E_NS1_11comp_targetILNS1_3genE4ELNS1_11target_archE910ELNS1_3gpuE8ELNS1_3repE0EEENS1_30default_config_static_selectorELNS0_4arch9wavefront6targetE0EEEvT1_
    .private_segment_fixed_size: 0
    .sgpr_count:     0
    .sgpr_spill_count: 0
    .symbol:         _ZN7rocprim17ROCPRIM_400000_NS6detail17trampoline_kernelINS0_14default_configENS1_25partition_config_selectorILNS1_17partition_subalgoE6EjNS0_10empty_typeEbEEZZNS1_14partition_implILS5_6ELb0ES3_mN6thrust23THRUST_200600_302600_NS6detail15normal_iteratorINSA_10device_ptrIjEEEEPS6_SG_NS0_5tupleIJNSA_16discard_iteratorINSA_11use_defaultEEES6_EEENSH_IJSG_SG_EEES6_PlJNSB_9not_fun_tINSB_14equal_to_valueIjEEEEEEE10hipError_tPvRmT3_T4_T5_T6_T7_T9_mT8_P12ihipStream_tbDpT10_ENKUlT_T0_E_clISt17integral_constantIbLb0EES1B_EEDaS16_S17_EUlS16_E_NS1_11comp_targetILNS1_3genE4ELNS1_11target_archE910ELNS1_3gpuE8ELNS1_3repE0EEENS1_30default_config_static_selectorELNS0_4arch9wavefront6targetE0EEEvT1_.kd
    .uniform_work_group_size: 1
    .uses_dynamic_stack: false
    .vgpr_count:     0
    .vgpr_spill_count: 0
    .wavefront_size: 32
    .workgroup_processor_mode: 1
  - .args:
      - .offset:         0
        .size:           128
        .value_kind:     by_value
    .group_segment_fixed_size: 0
    .kernarg_segment_align: 8
    .kernarg_segment_size: 128
    .language:       OpenCL C
    .language_version:
      - 2
      - 0
    .max_flat_workgroup_size: 256
    .name:           _ZN7rocprim17ROCPRIM_400000_NS6detail17trampoline_kernelINS0_14default_configENS1_25partition_config_selectorILNS1_17partition_subalgoE6EjNS0_10empty_typeEbEEZZNS1_14partition_implILS5_6ELb0ES3_mN6thrust23THRUST_200600_302600_NS6detail15normal_iteratorINSA_10device_ptrIjEEEEPS6_SG_NS0_5tupleIJNSA_16discard_iteratorINSA_11use_defaultEEES6_EEENSH_IJSG_SG_EEES6_PlJNSB_9not_fun_tINSB_14equal_to_valueIjEEEEEEE10hipError_tPvRmT3_T4_T5_T6_T7_T9_mT8_P12ihipStream_tbDpT10_ENKUlT_T0_E_clISt17integral_constantIbLb0EES1B_EEDaS16_S17_EUlS16_E_NS1_11comp_targetILNS1_3genE3ELNS1_11target_archE908ELNS1_3gpuE7ELNS1_3repE0EEENS1_30default_config_static_selectorELNS0_4arch9wavefront6targetE0EEEvT1_
    .private_segment_fixed_size: 0
    .sgpr_count:     0
    .sgpr_spill_count: 0
    .symbol:         _ZN7rocprim17ROCPRIM_400000_NS6detail17trampoline_kernelINS0_14default_configENS1_25partition_config_selectorILNS1_17partition_subalgoE6EjNS0_10empty_typeEbEEZZNS1_14partition_implILS5_6ELb0ES3_mN6thrust23THRUST_200600_302600_NS6detail15normal_iteratorINSA_10device_ptrIjEEEEPS6_SG_NS0_5tupleIJNSA_16discard_iteratorINSA_11use_defaultEEES6_EEENSH_IJSG_SG_EEES6_PlJNSB_9not_fun_tINSB_14equal_to_valueIjEEEEEEE10hipError_tPvRmT3_T4_T5_T6_T7_T9_mT8_P12ihipStream_tbDpT10_ENKUlT_T0_E_clISt17integral_constantIbLb0EES1B_EEDaS16_S17_EUlS16_E_NS1_11comp_targetILNS1_3genE3ELNS1_11target_archE908ELNS1_3gpuE7ELNS1_3repE0EEENS1_30default_config_static_selectorELNS0_4arch9wavefront6targetE0EEEvT1_.kd
    .uniform_work_group_size: 1
    .uses_dynamic_stack: false
    .vgpr_count:     0
    .vgpr_spill_count: 0
    .wavefront_size: 32
    .workgroup_processor_mode: 1
  - .args:
      - .offset:         0
        .size:           128
        .value_kind:     by_value
    .group_segment_fixed_size: 0
    .kernarg_segment_align: 8
    .kernarg_segment_size: 128
    .language:       OpenCL C
    .language_version:
      - 2
      - 0
    .max_flat_workgroup_size: 192
    .name:           _ZN7rocprim17ROCPRIM_400000_NS6detail17trampoline_kernelINS0_14default_configENS1_25partition_config_selectorILNS1_17partition_subalgoE6EjNS0_10empty_typeEbEEZZNS1_14partition_implILS5_6ELb0ES3_mN6thrust23THRUST_200600_302600_NS6detail15normal_iteratorINSA_10device_ptrIjEEEEPS6_SG_NS0_5tupleIJNSA_16discard_iteratorINSA_11use_defaultEEES6_EEENSH_IJSG_SG_EEES6_PlJNSB_9not_fun_tINSB_14equal_to_valueIjEEEEEEE10hipError_tPvRmT3_T4_T5_T6_T7_T9_mT8_P12ihipStream_tbDpT10_ENKUlT_T0_E_clISt17integral_constantIbLb0EES1B_EEDaS16_S17_EUlS16_E_NS1_11comp_targetILNS1_3genE2ELNS1_11target_archE906ELNS1_3gpuE6ELNS1_3repE0EEENS1_30default_config_static_selectorELNS0_4arch9wavefront6targetE0EEEvT1_
    .private_segment_fixed_size: 0
    .sgpr_count:     0
    .sgpr_spill_count: 0
    .symbol:         _ZN7rocprim17ROCPRIM_400000_NS6detail17trampoline_kernelINS0_14default_configENS1_25partition_config_selectorILNS1_17partition_subalgoE6EjNS0_10empty_typeEbEEZZNS1_14partition_implILS5_6ELb0ES3_mN6thrust23THRUST_200600_302600_NS6detail15normal_iteratorINSA_10device_ptrIjEEEEPS6_SG_NS0_5tupleIJNSA_16discard_iteratorINSA_11use_defaultEEES6_EEENSH_IJSG_SG_EEES6_PlJNSB_9not_fun_tINSB_14equal_to_valueIjEEEEEEE10hipError_tPvRmT3_T4_T5_T6_T7_T9_mT8_P12ihipStream_tbDpT10_ENKUlT_T0_E_clISt17integral_constantIbLb0EES1B_EEDaS16_S17_EUlS16_E_NS1_11comp_targetILNS1_3genE2ELNS1_11target_archE906ELNS1_3gpuE6ELNS1_3repE0EEENS1_30default_config_static_selectorELNS0_4arch9wavefront6targetE0EEEvT1_.kd
    .uniform_work_group_size: 1
    .uses_dynamic_stack: false
    .vgpr_count:     0
    .vgpr_spill_count: 0
    .wavefront_size: 32
    .workgroup_processor_mode: 1
  - .args:
      - .offset:         0
        .size:           128
        .value_kind:     by_value
    .group_segment_fixed_size: 10768
    .kernarg_segment_align: 8
    .kernarg_segment_size: 128
    .language:       OpenCL C
    .language_version:
      - 2
      - 0
    .max_flat_workgroup_size: 384
    .name:           _ZN7rocprim17ROCPRIM_400000_NS6detail17trampoline_kernelINS0_14default_configENS1_25partition_config_selectorILNS1_17partition_subalgoE6EjNS0_10empty_typeEbEEZZNS1_14partition_implILS5_6ELb0ES3_mN6thrust23THRUST_200600_302600_NS6detail15normal_iteratorINSA_10device_ptrIjEEEEPS6_SG_NS0_5tupleIJNSA_16discard_iteratorINSA_11use_defaultEEES6_EEENSH_IJSG_SG_EEES6_PlJNSB_9not_fun_tINSB_14equal_to_valueIjEEEEEEE10hipError_tPvRmT3_T4_T5_T6_T7_T9_mT8_P12ihipStream_tbDpT10_ENKUlT_T0_E_clISt17integral_constantIbLb0EES1B_EEDaS16_S17_EUlS16_E_NS1_11comp_targetILNS1_3genE10ELNS1_11target_archE1200ELNS1_3gpuE4ELNS1_3repE0EEENS1_30default_config_static_selectorELNS0_4arch9wavefront6targetE0EEEvT1_
    .private_segment_fixed_size: 0
    .sgpr_count:     24
    .sgpr_spill_count: 0
    .symbol:         _ZN7rocprim17ROCPRIM_400000_NS6detail17trampoline_kernelINS0_14default_configENS1_25partition_config_selectorILNS1_17partition_subalgoE6EjNS0_10empty_typeEbEEZZNS1_14partition_implILS5_6ELb0ES3_mN6thrust23THRUST_200600_302600_NS6detail15normal_iteratorINSA_10device_ptrIjEEEEPS6_SG_NS0_5tupleIJNSA_16discard_iteratorINSA_11use_defaultEEES6_EEENSH_IJSG_SG_EEES6_PlJNSB_9not_fun_tINSB_14equal_to_valueIjEEEEEEE10hipError_tPvRmT3_T4_T5_T6_T7_T9_mT8_P12ihipStream_tbDpT10_ENKUlT_T0_E_clISt17integral_constantIbLb0EES1B_EEDaS16_S17_EUlS16_E_NS1_11comp_targetILNS1_3genE10ELNS1_11target_archE1200ELNS1_3gpuE4ELNS1_3repE0EEENS1_30default_config_static_selectorELNS0_4arch9wavefront6targetE0EEEvT1_.kd
    .uniform_work_group_size: 1
    .uses_dynamic_stack: false
    .vgpr_count:     48
    .vgpr_spill_count: 0
    .wavefront_size: 32
    .workgroup_processor_mode: 1
  - .args:
      - .offset:         0
        .size:           128
        .value_kind:     by_value
    .group_segment_fixed_size: 0
    .kernarg_segment_align: 8
    .kernarg_segment_size: 128
    .language:       OpenCL C
    .language_version:
      - 2
      - 0
    .max_flat_workgroup_size: 128
    .name:           _ZN7rocprim17ROCPRIM_400000_NS6detail17trampoline_kernelINS0_14default_configENS1_25partition_config_selectorILNS1_17partition_subalgoE6EjNS0_10empty_typeEbEEZZNS1_14partition_implILS5_6ELb0ES3_mN6thrust23THRUST_200600_302600_NS6detail15normal_iteratorINSA_10device_ptrIjEEEEPS6_SG_NS0_5tupleIJNSA_16discard_iteratorINSA_11use_defaultEEES6_EEENSH_IJSG_SG_EEES6_PlJNSB_9not_fun_tINSB_14equal_to_valueIjEEEEEEE10hipError_tPvRmT3_T4_T5_T6_T7_T9_mT8_P12ihipStream_tbDpT10_ENKUlT_T0_E_clISt17integral_constantIbLb0EES1B_EEDaS16_S17_EUlS16_E_NS1_11comp_targetILNS1_3genE9ELNS1_11target_archE1100ELNS1_3gpuE3ELNS1_3repE0EEENS1_30default_config_static_selectorELNS0_4arch9wavefront6targetE0EEEvT1_
    .private_segment_fixed_size: 0
    .sgpr_count:     0
    .sgpr_spill_count: 0
    .symbol:         _ZN7rocprim17ROCPRIM_400000_NS6detail17trampoline_kernelINS0_14default_configENS1_25partition_config_selectorILNS1_17partition_subalgoE6EjNS0_10empty_typeEbEEZZNS1_14partition_implILS5_6ELb0ES3_mN6thrust23THRUST_200600_302600_NS6detail15normal_iteratorINSA_10device_ptrIjEEEEPS6_SG_NS0_5tupleIJNSA_16discard_iteratorINSA_11use_defaultEEES6_EEENSH_IJSG_SG_EEES6_PlJNSB_9not_fun_tINSB_14equal_to_valueIjEEEEEEE10hipError_tPvRmT3_T4_T5_T6_T7_T9_mT8_P12ihipStream_tbDpT10_ENKUlT_T0_E_clISt17integral_constantIbLb0EES1B_EEDaS16_S17_EUlS16_E_NS1_11comp_targetILNS1_3genE9ELNS1_11target_archE1100ELNS1_3gpuE3ELNS1_3repE0EEENS1_30default_config_static_selectorELNS0_4arch9wavefront6targetE0EEEvT1_.kd
    .uniform_work_group_size: 1
    .uses_dynamic_stack: false
    .vgpr_count:     0
    .vgpr_spill_count: 0
    .wavefront_size: 32
    .workgroup_processor_mode: 1
  - .args:
      - .offset:         0
        .size:           128
        .value_kind:     by_value
    .group_segment_fixed_size: 0
    .kernarg_segment_align: 8
    .kernarg_segment_size: 128
    .language:       OpenCL C
    .language_version:
      - 2
      - 0
    .max_flat_workgroup_size: 512
    .name:           _ZN7rocprim17ROCPRIM_400000_NS6detail17trampoline_kernelINS0_14default_configENS1_25partition_config_selectorILNS1_17partition_subalgoE6EjNS0_10empty_typeEbEEZZNS1_14partition_implILS5_6ELb0ES3_mN6thrust23THRUST_200600_302600_NS6detail15normal_iteratorINSA_10device_ptrIjEEEEPS6_SG_NS0_5tupleIJNSA_16discard_iteratorINSA_11use_defaultEEES6_EEENSH_IJSG_SG_EEES6_PlJNSB_9not_fun_tINSB_14equal_to_valueIjEEEEEEE10hipError_tPvRmT3_T4_T5_T6_T7_T9_mT8_P12ihipStream_tbDpT10_ENKUlT_T0_E_clISt17integral_constantIbLb0EES1B_EEDaS16_S17_EUlS16_E_NS1_11comp_targetILNS1_3genE8ELNS1_11target_archE1030ELNS1_3gpuE2ELNS1_3repE0EEENS1_30default_config_static_selectorELNS0_4arch9wavefront6targetE0EEEvT1_
    .private_segment_fixed_size: 0
    .sgpr_count:     0
    .sgpr_spill_count: 0
    .symbol:         _ZN7rocprim17ROCPRIM_400000_NS6detail17trampoline_kernelINS0_14default_configENS1_25partition_config_selectorILNS1_17partition_subalgoE6EjNS0_10empty_typeEbEEZZNS1_14partition_implILS5_6ELb0ES3_mN6thrust23THRUST_200600_302600_NS6detail15normal_iteratorINSA_10device_ptrIjEEEEPS6_SG_NS0_5tupleIJNSA_16discard_iteratorINSA_11use_defaultEEES6_EEENSH_IJSG_SG_EEES6_PlJNSB_9not_fun_tINSB_14equal_to_valueIjEEEEEEE10hipError_tPvRmT3_T4_T5_T6_T7_T9_mT8_P12ihipStream_tbDpT10_ENKUlT_T0_E_clISt17integral_constantIbLb0EES1B_EEDaS16_S17_EUlS16_E_NS1_11comp_targetILNS1_3genE8ELNS1_11target_archE1030ELNS1_3gpuE2ELNS1_3repE0EEENS1_30default_config_static_selectorELNS0_4arch9wavefront6targetE0EEEvT1_.kd
    .uniform_work_group_size: 1
    .uses_dynamic_stack: false
    .vgpr_count:     0
    .vgpr_spill_count: 0
    .wavefront_size: 32
    .workgroup_processor_mode: 1
  - .args:
      - .offset:         0
        .size:           136
        .value_kind:     by_value
    .group_segment_fixed_size: 0
    .kernarg_segment_align: 8
    .kernarg_segment_size: 136
    .language:       OpenCL C
    .language_version:
      - 2
      - 0
    .max_flat_workgroup_size: 256
    .name:           _ZN7rocprim17ROCPRIM_400000_NS6detail17trampoline_kernelINS0_14default_configENS1_25partition_config_selectorILNS1_17partition_subalgoE6EjNS0_10empty_typeEbEEZZNS1_14partition_implILS5_6ELb0ES3_mN6thrust23THRUST_200600_302600_NS6detail15normal_iteratorINSA_10device_ptrIjEEEEPS6_SG_NS0_5tupleIJNSA_16discard_iteratorINSA_11use_defaultEEES6_EEENSH_IJSG_SG_EEES6_PlJNSB_9not_fun_tINSB_14equal_to_valueIjEEEEEEE10hipError_tPvRmT3_T4_T5_T6_T7_T9_mT8_P12ihipStream_tbDpT10_ENKUlT_T0_E_clISt17integral_constantIbLb1EES1B_EEDaS16_S17_EUlS16_E_NS1_11comp_targetILNS1_3genE0ELNS1_11target_archE4294967295ELNS1_3gpuE0ELNS1_3repE0EEENS1_30default_config_static_selectorELNS0_4arch9wavefront6targetE0EEEvT1_
    .private_segment_fixed_size: 0
    .sgpr_count:     0
    .sgpr_spill_count: 0
    .symbol:         _ZN7rocprim17ROCPRIM_400000_NS6detail17trampoline_kernelINS0_14default_configENS1_25partition_config_selectorILNS1_17partition_subalgoE6EjNS0_10empty_typeEbEEZZNS1_14partition_implILS5_6ELb0ES3_mN6thrust23THRUST_200600_302600_NS6detail15normal_iteratorINSA_10device_ptrIjEEEEPS6_SG_NS0_5tupleIJNSA_16discard_iteratorINSA_11use_defaultEEES6_EEENSH_IJSG_SG_EEES6_PlJNSB_9not_fun_tINSB_14equal_to_valueIjEEEEEEE10hipError_tPvRmT3_T4_T5_T6_T7_T9_mT8_P12ihipStream_tbDpT10_ENKUlT_T0_E_clISt17integral_constantIbLb1EES1B_EEDaS16_S17_EUlS16_E_NS1_11comp_targetILNS1_3genE0ELNS1_11target_archE4294967295ELNS1_3gpuE0ELNS1_3repE0EEENS1_30default_config_static_selectorELNS0_4arch9wavefront6targetE0EEEvT1_.kd
    .uniform_work_group_size: 1
    .uses_dynamic_stack: false
    .vgpr_count:     0
    .vgpr_spill_count: 0
    .wavefront_size: 32
    .workgroup_processor_mode: 1
  - .args:
      - .offset:         0
        .size:           136
        .value_kind:     by_value
    .group_segment_fixed_size: 0
    .kernarg_segment_align: 8
    .kernarg_segment_size: 136
    .language:       OpenCL C
    .language_version:
      - 2
      - 0
    .max_flat_workgroup_size: 512
    .name:           _ZN7rocprim17ROCPRIM_400000_NS6detail17trampoline_kernelINS0_14default_configENS1_25partition_config_selectorILNS1_17partition_subalgoE6EjNS0_10empty_typeEbEEZZNS1_14partition_implILS5_6ELb0ES3_mN6thrust23THRUST_200600_302600_NS6detail15normal_iteratorINSA_10device_ptrIjEEEEPS6_SG_NS0_5tupleIJNSA_16discard_iteratorINSA_11use_defaultEEES6_EEENSH_IJSG_SG_EEES6_PlJNSB_9not_fun_tINSB_14equal_to_valueIjEEEEEEE10hipError_tPvRmT3_T4_T5_T6_T7_T9_mT8_P12ihipStream_tbDpT10_ENKUlT_T0_E_clISt17integral_constantIbLb1EES1B_EEDaS16_S17_EUlS16_E_NS1_11comp_targetILNS1_3genE5ELNS1_11target_archE942ELNS1_3gpuE9ELNS1_3repE0EEENS1_30default_config_static_selectorELNS0_4arch9wavefront6targetE0EEEvT1_
    .private_segment_fixed_size: 0
    .sgpr_count:     0
    .sgpr_spill_count: 0
    .symbol:         _ZN7rocprim17ROCPRIM_400000_NS6detail17trampoline_kernelINS0_14default_configENS1_25partition_config_selectorILNS1_17partition_subalgoE6EjNS0_10empty_typeEbEEZZNS1_14partition_implILS5_6ELb0ES3_mN6thrust23THRUST_200600_302600_NS6detail15normal_iteratorINSA_10device_ptrIjEEEEPS6_SG_NS0_5tupleIJNSA_16discard_iteratorINSA_11use_defaultEEES6_EEENSH_IJSG_SG_EEES6_PlJNSB_9not_fun_tINSB_14equal_to_valueIjEEEEEEE10hipError_tPvRmT3_T4_T5_T6_T7_T9_mT8_P12ihipStream_tbDpT10_ENKUlT_T0_E_clISt17integral_constantIbLb1EES1B_EEDaS16_S17_EUlS16_E_NS1_11comp_targetILNS1_3genE5ELNS1_11target_archE942ELNS1_3gpuE9ELNS1_3repE0EEENS1_30default_config_static_selectorELNS0_4arch9wavefront6targetE0EEEvT1_.kd
    .uniform_work_group_size: 1
    .uses_dynamic_stack: false
    .vgpr_count:     0
    .vgpr_spill_count: 0
    .wavefront_size: 32
    .workgroup_processor_mode: 1
  - .args:
      - .offset:         0
        .size:           136
        .value_kind:     by_value
    .group_segment_fixed_size: 0
    .kernarg_segment_align: 8
    .kernarg_segment_size: 136
    .language:       OpenCL C
    .language_version:
      - 2
      - 0
    .max_flat_workgroup_size: 512
    .name:           _ZN7rocprim17ROCPRIM_400000_NS6detail17trampoline_kernelINS0_14default_configENS1_25partition_config_selectorILNS1_17partition_subalgoE6EjNS0_10empty_typeEbEEZZNS1_14partition_implILS5_6ELb0ES3_mN6thrust23THRUST_200600_302600_NS6detail15normal_iteratorINSA_10device_ptrIjEEEEPS6_SG_NS0_5tupleIJNSA_16discard_iteratorINSA_11use_defaultEEES6_EEENSH_IJSG_SG_EEES6_PlJNSB_9not_fun_tINSB_14equal_to_valueIjEEEEEEE10hipError_tPvRmT3_T4_T5_T6_T7_T9_mT8_P12ihipStream_tbDpT10_ENKUlT_T0_E_clISt17integral_constantIbLb1EES1B_EEDaS16_S17_EUlS16_E_NS1_11comp_targetILNS1_3genE4ELNS1_11target_archE910ELNS1_3gpuE8ELNS1_3repE0EEENS1_30default_config_static_selectorELNS0_4arch9wavefront6targetE0EEEvT1_
    .private_segment_fixed_size: 0
    .sgpr_count:     0
    .sgpr_spill_count: 0
    .symbol:         _ZN7rocprim17ROCPRIM_400000_NS6detail17trampoline_kernelINS0_14default_configENS1_25partition_config_selectorILNS1_17partition_subalgoE6EjNS0_10empty_typeEbEEZZNS1_14partition_implILS5_6ELb0ES3_mN6thrust23THRUST_200600_302600_NS6detail15normal_iteratorINSA_10device_ptrIjEEEEPS6_SG_NS0_5tupleIJNSA_16discard_iteratorINSA_11use_defaultEEES6_EEENSH_IJSG_SG_EEES6_PlJNSB_9not_fun_tINSB_14equal_to_valueIjEEEEEEE10hipError_tPvRmT3_T4_T5_T6_T7_T9_mT8_P12ihipStream_tbDpT10_ENKUlT_T0_E_clISt17integral_constantIbLb1EES1B_EEDaS16_S17_EUlS16_E_NS1_11comp_targetILNS1_3genE4ELNS1_11target_archE910ELNS1_3gpuE8ELNS1_3repE0EEENS1_30default_config_static_selectorELNS0_4arch9wavefront6targetE0EEEvT1_.kd
    .uniform_work_group_size: 1
    .uses_dynamic_stack: false
    .vgpr_count:     0
    .vgpr_spill_count: 0
    .wavefront_size: 32
    .workgroup_processor_mode: 1
  - .args:
      - .offset:         0
        .size:           136
        .value_kind:     by_value
    .group_segment_fixed_size: 0
    .kernarg_segment_align: 8
    .kernarg_segment_size: 136
    .language:       OpenCL C
    .language_version:
      - 2
      - 0
    .max_flat_workgroup_size: 256
    .name:           _ZN7rocprim17ROCPRIM_400000_NS6detail17trampoline_kernelINS0_14default_configENS1_25partition_config_selectorILNS1_17partition_subalgoE6EjNS0_10empty_typeEbEEZZNS1_14partition_implILS5_6ELb0ES3_mN6thrust23THRUST_200600_302600_NS6detail15normal_iteratorINSA_10device_ptrIjEEEEPS6_SG_NS0_5tupleIJNSA_16discard_iteratorINSA_11use_defaultEEES6_EEENSH_IJSG_SG_EEES6_PlJNSB_9not_fun_tINSB_14equal_to_valueIjEEEEEEE10hipError_tPvRmT3_T4_T5_T6_T7_T9_mT8_P12ihipStream_tbDpT10_ENKUlT_T0_E_clISt17integral_constantIbLb1EES1B_EEDaS16_S17_EUlS16_E_NS1_11comp_targetILNS1_3genE3ELNS1_11target_archE908ELNS1_3gpuE7ELNS1_3repE0EEENS1_30default_config_static_selectorELNS0_4arch9wavefront6targetE0EEEvT1_
    .private_segment_fixed_size: 0
    .sgpr_count:     0
    .sgpr_spill_count: 0
    .symbol:         _ZN7rocprim17ROCPRIM_400000_NS6detail17trampoline_kernelINS0_14default_configENS1_25partition_config_selectorILNS1_17partition_subalgoE6EjNS0_10empty_typeEbEEZZNS1_14partition_implILS5_6ELb0ES3_mN6thrust23THRUST_200600_302600_NS6detail15normal_iteratorINSA_10device_ptrIjEEEEPS6_SG_NS0_5tupleIJNSA_16discard_iteratorINSA_11use_defaultEEES6_EEENSH_IJSG_SG_EEES6_PlJNSB_9not_fun_tINSB_14equal_to_valueIjEEEEEEE10hipError_tPvRmT3_T4_T5_T6_T7_T9_mT8_P12ihipStream_tbDpT10_ENKUlT_T0_E_clISt17integral_constantIbLb1EES1B_EEDaS16_S17_EUlS16_E_NS1_11comp_targetILNS1_3genE3ELNS1_11target_archE908ELNS1_3gpuE7ELNS1_3repE0EEENS1_30default_config_static_selectorELNS0_4arch9wavefront6targetE0EEEvT1_.kd
    .uniform_work_group_size: 1
    .uses_dynamic_stack: false
    .vgpr_count:     0
    .vgpr_spill_count: 0
    .wavefront_size: 32
    .workgroup_processor_mode: 1
  - .args:
      - .offset:         0
        .size:           136
        .value_kind:     by_value
    .group_segment_fixed_size: 0
    .kernarg_segment_align: 8
    .kernarg_segment_size: 136
    .language:       OpenCL C
    .language_version:
      - 2
      - 0
    .max_flat_workgroup_size: 192
    .name:           _ZN7rocprim17ROCPRIM_400000_NS6detail17trampoline_kernelINS0_14default_configENS1_25partition_config_selectorILNS1_17partition_subalgoE6EjNS0_10empty_typeEbEEZZNS1_14partition_implILS5_6ELb0ES3_mN6thrust23THRUST_200600_302600_NS6detail15normal_iteratorINSA_10device_ptrIjEEEEPS6_SG_NS0_5tupleIJNSA_16discard_iteratorINSA_11use_defaultEEES6_EEENSH_IJSG_SG_EEES6_PlJNSB_9not_fun_tINSB_14equal_to_valueIjEEEEEEE10hipError_tPvRmT3_T4_T5_T6_T7_T9_mT8_P12ihipStream_tbDpT10_ENKUlT_T0_E_clISt17integral_constantIbLb1EES1B_EEDaS16_S17_EUlS16_E_NS1_11comp_targetILNS1_3genE2ELNS1_11target_archE906ELNS1_3gpuE6ELNS1_3repE0EEENS1_30default_config_static_selectorELNS0_4arch9wavefront6targetE0EEEvT1_
    .private_segment_fixed_size: 0
    .sgpr_count:     0
    .sgpr_spill_count: 0
    .symbol:         _ZN7rocprim17ROCPRIM_400000_NS6detail17trampoline_kernelINS0_14default_configENS1_25partition_config_selectorILNS1_17partition_subalgoE6EjNS0_10empty_typeEbEEZZNS1_14partition_implILS5_6ELb0ES3_mN6thrust23THRUST_200600_302600_NS6detail15normal_iteratorINSA_10device_ptrIjEEEEPS6_SG_NS0_5tupleIJNSA_16discard_iteratorINSA_11use_defaultEEES6_EEENSH_IJSG_SG_EEES6_PlJNSB_9not_fun_tINSB_14equal_to_valueIjEEEEEEE10hipError_tPvRmT3_T4_T5_T6_T7_T9_mT8_P12ihipStream_tbDpT10_ENKUlT_T0_E_clISt17integral_constantIbLb1EES1B_EEDaS16_S17_EUlS16_E_NS1_11comp_targetILNS1_3genE2ELNS1_11target_archE906ELNS1_3gpuE6ELNS1_3repE0EEENS1_30default_config_static_selectorELNS0_4arch9wavefront6targetE0EEEvT1_.kd
    .uniform_work_group_size: 1
    .uses_dynamic_stack: false
    .vgpr_count:     0
    .vgpr_spill_count: 0
    .wavefront_size: 32
    .workgroup_processor_mode: 1
  - .args:
      - .offset:         0
        .size:           136
        .value_kind:     by_value
    .group_segment_fixed_size: 0
    .kernarg_segment_align: 8
    .kernarg_segment_size: 136
    .language:       OpenCL C
    .language_version:
      - 2
      - 0
    .max_flat_workgroup_size: 384
    .name:           _ZN7rocprim17ROCPRIM_400000_NS6detail17trampoline_kernelINS0_14default_configENS1_25partition_config_selectorILNS1_17partition_subalgoE6EjNS0_10empty_typeEbEEZZNS1_14partition_implILS5_6ELb0ES3_mN6thrust23THRUST_200600_302600_NS6detail15normal_iteratorINSA_10device_ptrIjEEEEPS6_SG_NS0_5tupleIJNSA_16discard_iteratorINSA_11use_defaultEEES6_EEENSH_IJSG_SG_EEES6_PlJNSB_9not_fun_tINSB_14equal_to_valueIjEEEEEEE10hipError_tPvRmT3_T4_T5_T6_T7_T9_mT8_P12ihipStream_tbDpT10_ENKUlT_T0_E_clISt17integral_constantIbLb1EES1B_EEDaS16_S17_EUlS16_E_NS1_11comp_targetILNS1_3genE10ELNS1_11target_archE1200ELNS1_3gpuE4ELNS1_3repE0EEENS1_30default_config_static_selectorELNS0_4arch9wavefront6targetE0EEEvT1_
    .private_segment_fixed_size: 0
    .sgpr_count:     0
    .sgpr_spill_count: 0
    .symbol:         _ZN7rocprim17ROCPRIM_400000_NS6detail17trampoline_kernelINS0_14default_configENS1_25partition_config_selectorILNS1_17partition_subalgoE6EjNS0_10empty_typeEbEEZZNS1_14partition_implILS5_6ELb0ES3_mN6thrust23THRUST_200600_302600_NS6detail15normal_iteratorINSA_10device_ptrIjEEEEPS6_SG_NS0_5tupleIJNSA_16discard_iteratorINSA_11use_defaultEEES6_EEENSH_IJSG_SG_EEES6_PlJNSB_9not_fun_tINSB_14equal_to_valueIjEEEEEEE10hipError_tPvRmT3_T4_T5_T6_T7_T9_mT8_P12ihipStream_tbDpT10_ENKUlT_T0_E_clISt17integral_constantIbLb1EES1B_EEDaS16_S17_EUlS16_E_NS1_11comp_targetILNS1_3genE10ELNS1_11target_archE1200ELNS1_3gpuE4ELNS1_3repE0EEENS1_30default_config_static_selectorELNS0_4arch9wavefront6targetE0EEEvT1_.kd
    .uniform_work_group_size: 1
    .uses_dynamic_stack: false
    .vgpr_count:     0
    .vgpr_spill_count: 0
    .wavefront_size: 32
    .workgroup_processor_mode: 1
  - .args:
      - .offset:         0
        .size:           136
        .value_kind:     by_value
    .group_segment_fixed_size: 0
    .kernarg_segment_align: 8
    .kernarg_segment_size: 136
    .language:       OpenCL C
    .language_version:
      - 2
      - 0
    .max_flat_workgroup_size: 128
    .name:           _ZN7rocprim17ROCPRIM_400000_NS6detail17trampoline_kernelINS0_14default_configENS1_25partition_config_selectorILNS1_17partition_subalgoE6EjNS0_10empty_typeEbEEZZNS1_14partition_implILS5_6ELb0ES3_mN6thrust23THRUST_200600_302600_NS6detail15normal_iteratorINSA_10device_ptrIjEEEEPS6_SG_NS0_5tupleIJNSA_16discard_iteratorINSA_11use_defaultEEES6_EEENSH_IJSG_SG_EEES6_PlJNSB_9not_fun_tINSB_14equal_to_valueIjEEEEEEE10hipError_tPvRmT3_T4_T5_T6_T7_T9_mT8_P12ihipStream_tbDpT10_ENKUlT_T0_E_clISt17integral_constantIbLb1EES1B_EEDaS16_S17_EUlS16_E_NS1_11comp_targetILNS1_3genE9ELNS1_11target_archE1100ELNS1_3gpuE3ELNS1_3repE0EEENS1_30default_config_static_selectorELNS0_4arch9wavefront6targetE0EEEvT1_
    .private_segment_fixed_size: 0
    .sgpr_count:     0
    .sgpr_spill_count: 0
    .symbol:         _ZN7rocprim17ROCPRIM_400000_NS6detail17trampoline_kernelINS0_14default_configENS1_25partition_config_selectorILNS1_17partition_subalgoE6EjNS0_10empty_typeEbEEZZNS1_14partition_implILS5_6ELb0ES3_mN6thrust23THRUST_200600_302600_NS6detail15normal_iteratorINSA_10device_ptrIjEEEEPS6_SG_NS0_5tupleIJNSA_16discard_iteratorINSA_11use_defaultEEES6_EEENSH_IJSG_SG_EEES6_PlJNSB_9not_fun_tINSB_14equal_to_valueIjEEEEEEE10hipError_tPvRmT3_T4_T5_T6_T7_T9_mT8_P12ihipStream_tbDpT10_ENKUlT_T0_E_clISt17integral_constantIbLb1EES1B_EEDaS16_S17_EUlS16_E_NS1_11comp_targetILNS1_3genE9ELNS1_11target_archE1100ELNS1_3gpuE3ELNS1_3repE0EEENS1_30default_config_static_selectorELNS0_4arch9wavefront6targetE0EEEvT1_.kd
    .uniform_work_group_size: 1
    .uses_dynamic_stack: false
    .vgpr_count:     0
    .vgpr_spill_count: 0
    .wavefront_size: 32
    .workgroup_processor_mode: 1
  - .args:
      - .offset:         0
        .size:           136
        .value_kind:     by_value
    .group_segment_fixed_size: 0
    .kernarg_segment_align: 8
    .kernarg_segment_size: 136
    .language:       OpenCL C
    .language_version:
      - 2
      - 0
    .max_flat_workgroup_size: 512
    .name:           _ZN7rocprim17ROCPRIM_400000_NS6detail17trampoline_kernelINS0_14default_configENS1_25partition_config_selectorILNS1_17partition_subalgoE6EjNS0_10empty_typeEbEEZZNS1_14partition_implILS5_6ELb0ES3_mN6thrust23THRUST_200600_302600_NS6detail15normal_iteratorINSA_10device_ptrIjEEEEPS6_SG_NS0_5tupleIJNSA_16discard_iteratorINSA_11use_defaultEEES6_EEENSH_IJSG_SG_EEES6_PlJNSB_9not_fun_tINSB_14equal_to_valueIjEEEEEEE10hipError_tPvRmT3_T4_T5_T6_T7_T9_mT8_P12ihipStream_tbDpT10_ENKUlT_T0_E_clISt17integral_constantIbLb1EES1B_EEDaS16_S17_EUlS16_E_NS1_11comp_targetILNS1_3genE8ELNS1_11target_archE1030ELNS1_3gpuE2ELNS1_3repE0EEENS1_30default_config_static_selectorELNS0_4arch9wavefront6targetE0EEEvT1_
    .private_segment_fixed_size: 0
    .sgpr_count:     0
    .sgpr_spill_count: 0
    .symbol:         _ZN7rocprim17ROCPRIM_400000_NS6detail17trampoline_kernelINS0_14default_configENS1_25partition_config_selectorILNS1_17partition_subalgoE6EjNS0_10empty_typeEbEEZZNS1_14partition_implILS5_6ELb0ES3_mN6thrust23THRUST_200600_302600_NS6detail15normal_iteratorINSA_10device_ptrIjEEEEPS6_SG_NS0_5tupleIJNSA_16discard_iteratorINSA_11use_defaultEEES6_EEENSH_IJSG_SG_EEES6_PlJNSB_9not_fun_tINSB_14equal_to_valueIjEEEEEEE10hipError_tPvRmT3_T4_T5_T6_T7_T9_mT8_P12ihipStream_tbDpT10_ENKUlT_T0_E_clISt17integral_constantIbLb1EES1B_EEDaS16_S17_EUlS16_E_NS1_11comp_targetILNS1_3genE8ELNS1_11target_archE1030ELNS1_3gpuE2ELNS1_3repE0EEENS1_30default_config_static_selectorELNS0_4arch9wavefront6targetE0EEEvT1_.kd
    .uniform_work_group_size: 1
    .uses_dynamic_stack: false
    .vgpr_count:     0
    .vgpr_spill_count: 0
    .wavefront_size: 32
    .workgroup_processor_mode: 1
  - .args:
      - .offset:         0
        .size:           128
        .value_kind:     by_value
    .group_segment_fixed_size: 0
    .kernarg_segment_align: 8
    .kernarg_segment_size: 128
    .language:       OpenCL C
    .language_version:
      - 2
      - 0
    .max_flat_workgroup_size: 256
    .name:           _ZN7rocprim17ROCPRIM_400000_NS6detail17trampoline_kernelINS0_14default_configENS1_25partition_config_selectorILNS1_17partition_subalgoE6EjNS0_10empty_typeEbEEZZNS1_14partition_implILS5_6ELb0ES3_mN6thrust23THRUST_200600_302600_NS6detail15normal_iteratorINSA_10device_ptrIjEEEEPS6_SG_NS0_5tupleIJNSA_16discard_iteratorINSA_11use_defaultEEES6_EEENSH_IJSG_SG_EEES6_PlJNSB_9not_fun_tINSB_14equal_to_valueIjEEEEEEE10hipError_tPvRmT3_T4_T5_T6_T7_T9_mT8_P12ihipStream_tbDpT10_ENKUlT_T0_E_clISt17integral_constantIbLb1EES1A_IbLb0EEEEDaS16_S17_EUlS16_E_NS1_11comp_targetILNS1_3genE0ELNS1_11target_archE4294967295ELNS1_3gpuE0ELNS1_3repE0EEENS1_30default_config_static_selectorELNS0_4arch9wavefront6targetE0EEEvT1_
    .private_segment_fixed_size: 0
    .sgpr_count:     0
    .sgpr_spill_count: 0
    .symbol:         _ZN7rocprim17ROCPRIM_400000_NS6detail17trampoline_kernelINS0_14default_configENS1_25partition_config_selectorILNS1_17partition_subalgoE6EjNS0_10empty_typeEbEEZZNS1_14partition_implILS5_6ELb0ES3_mN6thrust23THRUST_200600_302600_NS6detail15normal_iteratorINSA_10device_ptrIjEEEEPS6_SG_NS0_5tupleIJNSA_16discard_iteratorINSA_11use_defaultEEES6_EEENSH_IJSG_SG_EEES6_PlJNSB_9not_fun_tINSB_14equal_to_valueIjEEEEEEE10hipError_tPvRmT3_T4_T5_T6_T7_T9_mT8_P12ihipStream_tbDpT10_ENKUlT_T0_E_clISt17integral_constantIbLb1EES1A_IbLb0EEEEDaS16_S17_EUlS16_E_NS1_11comp_targetILNS1_3genE0ELNS1_11target_archE4294967295ELNS1_3gpuE0ELNS1_3repE0EEENS1_30default_config_static_selectorELNS0_4arch9wavefront6targetE0EEEvT1_.kd
    .uniform_work_group_size: 1
    .uses_dynamic_stack: false
    .vgpr_count:     0
    .vgpr_spill_count: 0
    .wavefront_size: 32
    .workgroup_processor_mode: 1
  - .args:
      - .offset:         0
        .size:           128
        .value_kind:     by_value
    .group_segment_fixed_size: 0
    .kernarg_segment_align: 8
    .kernarg_segment_size: 128
    .language:       OpenCL C
    .language_version:
      - 2
      - 0
    .max_flat_workgroup_size: 512
    .name:           _ZN7rocprim17ROCPRIM_400000_NS6detail17trampoline_kernelINS0_14default_configENS1_25partition_config_selectorILNS1_17partition_subalgoE6EjNS0_10empty_typeEbEEZZNS1_14partition_implILS5_6ELb0ES3_mN6thrust23THRUST_200600_302600_NS6detail15normal_iteratorINSA_10device_ptrIjEEEEPS6_SG_NS0_5tupleIJNSA_16discard_iteratorINSA_11use_defaultEEES6_EEENSH_IJSG_SG_EEES6_PlJNSB_9not_fun_tINSB_14equal_to_valueIjEEEEEEE10hipError_tPvRmT3_T4_T5_T6_T7_T9_mT8_P12ihipStream_tbDpT10_ENKUlT_T0_E_clISt17integral_constantIbLb1EES1A_IbLb0EEEEDaS16_S17_EUlS16_E_NS1_11comp_targetILNS1_3genE5ELNS1_11target_archE942ELNS1_3gpuE9ELNS1_3repE0EEENS1_30default_config_static_selectorELNS0_4arch9wavefront6targetE0EEEvT1_
    .private_segment_fixed_size: 0
    .sgpr_count:     0
    .sgpr_spill_count: 0
    .symbol:         _ZN7rocprim17ROCPRIM_400000_NS6detail17trampoline_kernelINS0_14default_configENS1_25partition_config_selectorILNS1_17partition_subalgoE6EjNS0_10empty_typeEbEEZZNS1_14partition_implILS5_6ELb0ES3_mN6thrust23THRUST_200600_302600_NS6detail15normal_iteratorINSA_10device_ptrIjEEEEPS6_SG_NS0_5tupleIJNSA_16discard_iteratorINSA_11use_defaultEEES6_EEENSH_IJSG_SG_EEES6_PlJNSB_9not_fun_tINSB_14equal_to_valueIjEEEEEEE10hipError_tPvRmT3_T4_T5_T6_T7_T9_mT8_P12ihipStream_tbDpT10_ENKUlT_T0_E_clISt17integral_constantIbLb1EES1A_IbLb0EEEEDaS16_S17_EUlS16_E_NS1_11comp_targetILNS1_3genE5ELNS1_11target_archE942ELNS1_3gpuE9ELNS1_3repE0EEENS1_30default_config_static_selectorELNS0_4arch9wavefront6targetE0EEEvT1_.kd
    .uniform_work_group_size: 1
    .uses_dynamic_stack: false
    .vgpr_count:     0
    .vgpr_spill_count: 0
    .wavefront_size: 32
    .workgroup_processor_mode: 1
  - .args:
      - .offset:         0
        .size:           128
        .value_kind:     by_value
    .group_segment_fixed_size: 0
    .kernarg_segment_align: 8
    .kernarg_segment_size: 128
    .language:       OpenCL C
    .language_version:
      - 2
      - 0
    .max_flat_workgroup_size: 512
    .name:           _ZN7rocprim17ROCPRIM_400000_NS6detail17trampoline_kernelINS0_14default_configENS1_25partition_config_selectorILNS1_17partition_subalgoE6EjNS0_10empty_typeEbEEZZNS1_14partition_implILS5_6ELb0ES3_mN6thrust23THRUST_200600_302600_NS6detail15normal_iteratorINSA_10device_ptrIjEEEEPS6_SG_NS0_5tupleIJNSA_16discard_iteratorINSA_11use_defaultEEES6_EEENSH_IJSG_SG_EEES6_PlJNSB_9not_fun_tINSB_14equal_to_valueIjEEEEEEE10hipError_tPvRmT3_T4_T5_T6_T7_T9_mT8_P12ihipStream_tbDpT10_ENKUlT_T0_E_clISt17integral_constantIbLb1EES1A_IbLb0EEEEDaS16_S17_EUlS16_E_NS1_11comp_targetILNS1_3genE4ELNS1_11target_archE910ELNS1_3gpuE8ELNS1_3repE0EEENS1_30default_config_static_selectorELNS0_4arch9wavefront6targetE0EEEvT1_
    .private_segment_fixed_size: 0
    .sgpr_count:     0
    .sgpr_spill_count: 0
    .symbol:         _ZN7rocprim17ROCPRIM_400000_NS6detail17trampoline_kernelINS0_14default_configENS1_25partition_config_selectorILNS1_17partition_subalgoE6EjNS0_10empty_typeEbEEZZNS1_14partition_implILS5_6ELb0ES3_mN6thrust23THRUST_200600_302600_NS6detail15normal_iteratorINSA_10device_ptrIjEEEEPS6_SG_NS0_5tupleIJNSA_16discard_iteratorINSA_11use_defaultEEES6_EEENSH_IJSG_SG_EEES6_PlJNSB_9not_fun_tINSB_14equal_to_valueIjEEEEEEE10hipError_tPvRmT3_T4_T5_T6_T7_T9_mT8_P12ihipStream_tbDpT10_ENKUlT_T0_E_clISt17integral_constantIbLb1EES1A_IbLb0EEEEDaS16_S17_EUlS16_E_NS1_11comp_targetILNS1_3genE4ELNS1_11target_archE910ELNS1_3gpuE8ELNS1_3repE0EEENS1_30default_config_static_selectorELNS0_4arch9wavefront6targetE0EEEvT1_.kd
    .uniform_work_group_size: 1
    .uses_dynamic_stack: false
    .vgpr_count:     0
    .vgpr_spill_count: 0
    .wavefront_size: 32
    .workgroup_processor_mode: 1
  - .args:
      - .offset:         0
        .size:           128
        .value_kind:     by_value
    .group_segment_fixed_size: 0
    .kernarg_segment_align: 8
    .kernarg_segment_size: 128
    .language:       OpenCL C
    .language_version:
      - 2
      - 0
    .max_flat_workgroup_size: 256
    .name:           _ZN7rocprim17ROCPRIM_400000_NS6detail17trampoline_kernelINS0_14default_configENS1_25partition_config_selectorILNS1_17partition_subalgoE6EjNS0_10empty_typeEbEEZZNS1_14partition_implILS5_6ELb0ES3_mN6thrust23THRUST_200600_302600_NS6detail15normal_iteratorINSA_10device_ptrIjEEEEPS6_SG_NS0_5tupleIJNSA_16discard_iteratorINSA_11use_defaultEEES6_EEENSH_IJSG_SG_EEES6_PlJNSB_9not_fun_tINSB_14equal_to_valueIjEEEEEEE10hipError_tPvRmT3_T4_T5_T6_T7_T9_mT8_P12ihipStream_tbDpT10_ENKUlT_T0_E_clISt17integral_constantIbLb1EES1A_IbLb0EEEEDaS16_S17_EUlS16_E_NS1_11comp_targetILNS1_3genE3ELNS1_11target_archE908ELNS1_3gpuE7ELNS1_3repE0EEENS1_30default_config_static_selectorELNS0_4arch9wavefront6targetE0EEEvT1_
    .private_segment_fixed_size: 0
    .sgpr_count:     0
    .sgpr_spill_count: 0
    .symbol:         _ZN7rocprim17ROCPRIM_400000_NS6detail17trampoline_kernelINS0_14default_configENS1_25partition_config_selectorILNS1_17partition_subalgoE6EjNS0_10empty_typeEbEEZZNS1_14partition_implILS5_6ELb0ES3_mN6thrust23THRUST_200600_302600_NS6detail15normal_iteratorINSA_10device_ptrIjEEEEPS6_SG_NS0_5tupleIJNSA_16discard_iteratorINSA_11use_defaultEEES6_EEENSH_IJSG_SG_EEES6_PlJNSB_9not_fun_tINSB_14equal_to_valueIjEEEEEEE10hipError_tPvRmT3_T4_T5_T6_T7_T9_mT8_P12ihipStream_tbDpT10_ENKUlT_T0_E_clISt17integral_constantIbLb1EES1A_IbLb0EEEEDaS16_S17_EUlS16_E_NS1_11comp_targetILNS1_3genE3ELNS1_11target_archE908ELNS1_3gpuE7ELNS1_3repE0EEENS1_30default_config_static_selectorELNS0_4arch9wavefront6targetE0EEEvT1_.kd
    .uniform_work_group_size: 1
    .uses_dynamic_stack: false
    .vgpr_count:     0
    .vgpr_spill_count: 0
    .wavefront_size: 32
    .workgroup_processor_mode: 1
  - .args:
      - .offset:         0
        .size:           128
        .value_kind:     by_value
    .group_segment_fixed_size: 0
    .kernarg_segment_align: 8
    .kernarg_segment_size: 128
    .language:       OpenCL C
    .language_version:
      - 2
      - 0
    .max_flat_workgroup_size: 192
    .name:           _ZN7rocprim17ROCPRIM_400000_NS6detail17trampoline_kernelINS0_14default_configENS1_25partition_config_selectorILNS1_17partition_subalgoE6EjNS0_10empty_typeEbEEZZNS1_14partition_implILS5_6ELb0ES3_mN6thrust23THRUST_200600_302600_NS6detail15normal_iteratorINSA_10device_ptrIjEEEEPS6_SG_NS0_5tupleIJNSA_16discard_iteratorINSA_11use_defaultEEES6_EEENSH_IJSG_SG_EEES6_PlJNSB_9not_fun_tINSB_14equal_to_valueIjEEEEEEE10hipError_tPvRmT3_T4_T5_T6_T7_T9_mT8_P12ihipStream_tbDpT10_ENKUlT_T0_E_clISt17integral_constantIbLb1EES1A_IbLb0EEEEDaS16_S17_EUlS16_E_NS1_11comp_targetILNS1_3genE2ELNS1_11target_archE906ELNS1_3gpuE6ELNS1_3repE0EEENS1_30default_config_static_selectorELNS0_4arch9wavefront6targetE0EEEvT1_
    .private_segment_fixed_size: 0
    .sgpr_count:     0
    .sgpr_spill_count: 0
    .symbol:         _ZN7rocprim17ROCPRIM_400000_NS6detail17trampoline_kernelINS0_14default_configENS1_25partition_config_selectorILNS1_17partition_subalgoE6EjNS0_10empty_typeEbEEZZNS1_14partition_implILS5_6ELb0ES3_mN6thrust23THRUST_200600_302600_NS6detail15normal_iteratorINSA_10device_ptrIjEEEEPS6_SG_NS0_5tupleIJNSA_16discard_iteratorINSA_11use_defaultEEES6_EEENSH_IJSG_SG_EEES6_PlJNSB_9not_fun_tINSB_14equal_to_valueIjEEEEEEE10hipError_tPvRmT3_T4_T5_T6_T7_T9_mT8_P12ihipStream_tbDpT10_ENKUlT_T0_E_clISt17integral_constantIbLb1EES1A_IbLb0EEEEDaS16_S17_EUlS16_E_NS1_11comp_targetILNS1_3genE2ELNS1_11target_archE906ELNS1_3gpuE6ELNS1_3repE0EEENS1_30default_config_static_selectorELNS0_4arch9wavefront6targetE0EEEvT1_.kd
    .uniform_work_group_size: 1
    .uses_dynamic_stack: false
    .vgpr_count:     0
    .vgpr_spill_count: 0
    .wavefront_size: 32
    .workgroup_processor_mode: 1
  - .args:
      - .offset:         0
        .size:           128
        .value_kind:     by_value
    .group_segment_fixed_size: 0
    .kernarg_segment_align: 8
    .kernarg_segment_size: 128
    .language:       OpenCL C
    .language_version:
      - 2
      - 0
    .max_flat_workgroup_size: 384
    .name:           _ZN7rocprim17ROCPRIM_400000_NS6detail17trampoline_kernelINS0_14default_configENS1_25partition_config_selectorILNS1_17partition_subalgoE6EjNS0_10empty_typeEbEEZZNS1_14partition_implILS5_6ELb0ES3_mN6thrust23THRUST_200600_302600_NS6detail15normal_iteratorINSA_10device_ptrIjEEEEPS6_SG_NS0_5tupleIJNSA_16discard_iteratorINSA_11use_defaultEEES6_EEENSH_IJSG_SG_EEES6_PlJNSB_9not_fun_tINSB_14equal_to_valueIjEEEEEEE10hipError_tPvRmT3_T4_T5_T6_T7_T9_mT8_P12ihipStream_tbDpT10_ENKUlT_T0_E_clISt17integral_constantIbLb1EES1A_IbLb0EEEEDaS16_S17_EUlS16_E_NS1_11comp_targetILNS1_3genE10ELNS1_11target_archE1200ELNS1_3gpuE4ELNS1_3repE0EEENS1_30default_config_static_selectorELNS0_4arch9wavefront6targetE0EEEvT1_
    .private_segment_fixed_size: 0
    .sgpr_count:     0
    .sgpr_spill_count: 0
    .symbol:         _ZN7rocprim17ROCPRIM_400000_NS6detail17trampoline_kernelINS0_14default_configENS1_25partition_config_selectorILNS1_17partition_subalgoE6EjNS0_10empty_typeEbEEZZNS1_14partition_implILS5_6ELb0ES3_mN6thrust23THRUST_200600_302600_NS6detail15normal_iteratorINSA_10device_ptrIjEEEEPS6_SG_NS0_5tupleIJNSA_16discard_iteratorINSA_11use_defaultEEES6_EEENSH_IJSG_SG_EEES6_PlJNSB_9not_fun_tINSB_14equal_to_valueIjEEEEEEE10hipError_tPvRmT3_T4_T5_T6_T7_T9_mT8_P12ihipStream_tbDpT10_ENKUlT_T0_E_clISt17integral_constantIbLb1EES1A_IbLb0EEEEDaS16_S17_EUlS16_E_NS1_11comp_targetILNS1_3genE10ELNS1_11target_archE1200ELNS1_3gpuE4ELNS1_3repE0EEENS1_30default_config_static_selectorELNS0_4arch9wavefront6targetE0EEEvT1_.kd
    .uniform_work_group_size: 1
    .uses_dynamic_stack: false
    .vgpr_count:     0
    .vgpr_spill_count: 0
    .wavefront_size: 32
    .workgroup_processor_mode: 1
  - .args:
      - .offset:         0
        .size:           128
        .value_kind:     by_value
    .group_segment_fixed_size: 0
    .kernarg_segment_align: 8
    .kernarg_segment_size: 128
    .language:       OpenCL C
    .language_version:
      - 2
      - 0
    .max_flat_workgroup_size: 128
    .name:           _ZN7rocprim17ROCPRIM_400000_NS6detail17trampoline_kernelINS0_14default_configENS1_25partition_config_selectorILNS1_17partition_subalgoE6EjNS0_10empty_typeEbEEZZNS1_14partition_implILS5_6ELb0ES3_mN6thrust23THRUST_200600_302600_NS6detail15normal_iteratorINSA_10device_ptrIjEEEEPS6_SG_NS0_5tupleIJNSA_16discard_iteratorINSA_11use_defaultEEES6_EEENSH_IJSG_SG_EEES6_PlJNSB_9not_fun_tINSB_14equal_to_valueIjEEEEEEE10hipError_tPvRmT3_T4_T5_T6_T7_T9_mT8_P12ihipStream_tbDpT10_ENKUlT_T0_E_clISt17integral_constantIbLb1EES1A_IbLb0EEEEDaS16_S17_EUlS16_E_NS1_11comp_targetILNS1_3genE9ELNS1_11target_archE1100ELNS1_3gpuE3ELNS1_3repE0EEENS1_30default_config_static_selectorELNS0_4arch9wavefront6targetE0EEEvT1_
    .private_segment_fixed_size: 0
    .sgpr_count:     0
    .sgpr_spill_count: 0
    .symbol:         _ZN7rocprim17ROCPRIM_400000_NS6detail17trampoline_kernelINS0_14default_configENS1_25partition_config_selectorILNS1_17partition_subalgoE6EjNS0_10empty_typeEbEEZZNS1_14partition_implILS5_6ELb0ES3_mN6thrust23THRUST_200600_302600_NS6detail15normal_iteratorINSA_10device_ptrIjEEEEPS6_SG_NS0_5tupleIJNSA_16discard_iteratorINSA_11use_defaultEEES6_EEENSH_IJSG_SG_EEES6_PlJNSB_9not_fun_tINSB_14equal_to_valueIjEEEEEEE10hipError_tPvRmT3_T4_T5_T6_T7_T9_mT8_P12ihipStream_tbDpT10_ENKUlT_T0_E_clISt17integral_constantIbLb1EES1A_IbLb0EEEEDaS16_S17_EUlS16_E_NS1_11comp_targetILNS1_3genE9ELNS1_11target_archE1100ELNS1_3gpuE3ELNS1_3repE0EEENS1_30default_config_static_selectorELNS0_4arch9wavefront6targetE0EEEvT1_.kd
    .uniform_work_group_size: 1
    .uses_dynamic_stack: false
    .vgpr_count:     0
    .vgpr_spill_count: 0
    .wavefront_size: 32
    .workgroup_processor_mode: 1
  - .args:
      - .offset:         0
        .size:           128
        .value_kind:     by_value
    .group_segment_fixed_size: 0
    .kernarg_segment_align: 8
    .kernarg_segment_size: 128
    .language:       OpenCL C
    .language_version:
      - 2
      - 0
    .max_flat_workgroup_size: 512
    .name:           _ZN7rocprim17ROCPRIM_400000_NS6detail17trampoline_kernelINS0_14default_configENS1_25partition_config_selectorILNS1_17partition_subalgoE6EjNS0_10empty_typeEbEEZZNS1_14partition_implILS5_6ELb0ES3_mN6thrust23THRUST_200600_302600_NS6detail15normal_iteratorINSA_10device_ptrIjEEEEPS6_SG_NS0_5tupleIJNSA_16discard_iteratorINSA_11use_defaultEEES6_EEENSH_IJSG_SG_EEES6_PlJNSB_9not_fun_tINSB_14equal_to_valueIjEEEEEEE10hipError_tPvRmT3_T4_T5_T6_T7_T9_mT8_P12ihipStream_tbDpT10_ENKUlT_T0_E_clISt17integral_constantIbLb1EES1A_IbLb0EEEEDaS16_S17_EUlS16_E_NS1_11comp_targetILNS1_3genE8ELNS1_11target_archE1030ELNS1_3gpuE2ELNS1_3repE0EEENS1_30default_config_static_selectorELNS0_4arch9wavefront6targetE0EEEvT1_
    .private_segment_fixed_size: 0
    .sgpr_count:     0
    .sgpr_spill_count: 0
    .symbol:         _ZN7rocprim17ROCPRIM_400000_NS6detail17trampoline_kernelINS0_14default_configENS1_25partition_config_selectorILNS1_17partition_subalgoE6EjNS0_10empty_typeEbEEZZNS1_14partition_implILS5_6ELb0ES3_mN6thrust23THRUST_200600_302600_NS6detail15normal_iteratorINSA_10device_ptrIjEEEEPS6_SG_NS0_5tupleIJNSA_16discard_iteratorINSA_11use_defaultEEES6_EEENSH_IJSG_SG_EEES6_PlJNSB_9not_fun_tINSB_14equal_to_valueIjEEEEEEE10hipError_tPvRmT3_T4_T5_T6_T7_T9_mT8_P12ihipStream_tbDpT10_ENKUlT_T0_E_clISt17integral_constantIbLb1EES1A_IbLb0EEEEDaS16_S17_EUlS16_E_NS1_11comp_targetILNS1_3genE8ELNS1_11target_archE1030ELNS1_3gpuE2ELNS1_3repE0EEENS1_30default_config_static_selectorELNS0_4arch9wavefront6targetE0EEEvT1_.kd
    .uniform_work_group_size: 1
    .uses_dynamic_stack: false
    .vgpr_count:     0
    .vgpr_spill_count: 0
    .wavefront_size: 32
    .workgroup_processor_mode: 1
  - .args:
      - .offset:         0
        .size:           136
        .value_kind:     by_value
    .group_segment_fixed_size: 0
    .kernarg_segment_align: 8
    .kernarg_segment_size: 136
    .language:       OpenCL C
    .language_version:
      - 2
      - 0
    .max_flat_workgroup_size: 256
    .name:           _ZN7rocprim17ROCPRIM_400000_NS6detail17trampoline_kernelINS0_14default_configENS1_25partition_config_selectorILNS1_17partition_subalgoE6EjNS0_10empty_typeEbEEZZNS1_14partition_implILS5_6ELb0ES3_mN6thrust23THRUST_200600_302600_NS6detail15normal_iteratorINSA_10device_ptrIjEEEEPS6_SG_NS0_5tupleIJNSA_16discard_iteratorINSA_11use_defaultEEES6_EEENSH_IJSG_SG_EEES6_PlJNSB_9not_fun_tINSB_14equal_to_valueIjEEEEEEE10hipError_tPvRmT3_T4_T5_T6_T7_T9_mT8_P12ihipStream_tbDpT10_ENKUlT_T0_E_clISt17integral_constantIbLb0EES1A_IbLb1EEEEDaS16_S17_EUlS16_E_NS1_11comp_targetILNS1_3genE0ELNS1_11target_archE4294967295ELNS1_3gpuE0ELNS1_3repE0EEENS1_30default_config_static_selectorELNS0_4arch9wavefront6targetE0EEEvT1_
    .private_segment_fixed_size: 0
    .sgpr_count:     0
    .sgpr_spill_count: 0
    .symbol:         _ZN7rocprim17ROCPRIM_400000_NS6detail17trampoline_kernelINS0_14default_configENS1_25partition_config_selectorILNS1_17partition_subalgoE6EjNS0_10empty_typeEbEEZZNS1_14partition_implILS5_6ELb0ES3_mN6thrust23THRUST_200600_302600_NS6detail15normal_iteratorINSA_10device_ptrIjEEEEPS6_SG_NS0_5tupleIJNSA_16discard_iteratorINSA_11use_defaultEEES6_EEENSH_IJSG_SG_EEES6_PlJNSB_9not_fun_tINSB_14equal_to_valueIjEEEEEEE10hipError_tPvRmT3_T4_T5_T6_T7_T9_mT8_P12ihipStream_tbDpT10_ENKUlT_T0_E_clISt17integral_constantIbLb0EES1A_IbLb1EEEEDaS16_S17_EUlS16_E_NS1_11comp_targetILNS1_3genE0ELNS1_11target_archE4294967295ELNS1_3gpuE0ELNS1_3repE0EEENS1_30default_config_static_selectorELNS0_4arch9wavefront6targetE0EEEvT1_.kd
    .uniform_work_group_size: 1
    .uses_dynamic_stack: false
    .vgpr_count:     0
    .vgpr_spill_count: 0
    .wavefront_size: 32
    .workgroup_processor_mode: 1
  - .args:
      - .offset:         0
        .size:           136
        .value_kind:     by_value
    .group_segment_fixed_size: 0
    .kernarg_segment_align: 8
    .kernarg_segment_size: 136
    .language:       OpenCL C
    .language_version:
      - 2
      - 0
    .max_flat_workgroup_size: 512
    .name:           _ZN7rocprim17ROCPRIM_400000_NS6detail17trampoline_kernelINS0_14default_configENS1_25partition_config_selectorILNS1_17partition_subalgoE6EjNS0_10empty_typeEbEEZZNS1_14partition_implILS5_6ELb0ES3_mN6thrust23THRUST_200600_302600_NS6detail15normal_iteratorINSA_10device_ptrIjEEEEPS6_SG_NS0_5tupleIJNSA_16discard_iteratorINSA_11use_defaultEEES6_EEENSH_IJSG_SG_EEES6_PlJNSB_9not_fun_tINSB_14equal_to_valueIjEEEEEEE10hipError_tPvRmT3_T4_T5_T6_T7_T9_mT8_P12ihipStream_tbDpT10_ENKUlT_T0_E_clISt17integral_constantIbLb0EES1A_IbLb1EEEEDaS16_S17_EUlS16_E_NS1_11comp_targetILNS1_3genE5ELNS1_11target_archE942ELNS1_3gpuE9ELNS1_3repE0EEENS1_30default_config_static_selectorELNS0_4arch9wavefront6targetE0EEEvT1_
    .private_segment_fixed_size: 0
    .sgpr_count:     0
    .sgpr_spill_count: 0
    .symbol:         _ZN7rocprim17ROCPRIM_400000_NS6detail17trampoline_kernelINS0_14default_configENS1_25partition_config_selectorILNS1_17partition_subalgoE6EjNS0_10empty_typeEbEEZZNS1_14partition_implILS5_6ELb0ES3_mN6thrust23THRUST_200600_302600_NS6detail15normal_iteratorINSA_10device_ptrIjEEEEPS6_SG_NS0_5tupleIJNSA_16discard_iteratorINSA_11use_defaultEEES6_EEENSH_IJSG_SG_EEES6_PlJNSB_9not_fun_tINSB_14equal_to_valueIjEEEEEEE10hipError_tPvRmT3_T4_T5_T6_T7_T9_mT8_P12ihipStream_tbDpT10_ENKUlT_T0_E_clISt17integral_constantIbLb0EES1A_IbLb1EEEEDaS16_S17_EUlS16_E_NS1_11comp_targetILNS1_3genE5ELNS1_11target_archE942ELNS1_3gpuE9ELNS1_3repE0EEENS1_30default_config_static_selectorELNS0_4arch9wavefront6targetE0EEEvT1_.kd
    .uniform_work_group_size: 1
    .uses_dynamic_stack: false
    .vgpr_count:     0
    .vgpr_spill_count: 0
    .wavefront_size: 32
    .workgroup_processor_mode: 1
  - .args:
      - .offset:         0
        .size:           136
        .value_kind:     by_value
    .group_segment_fixed_size: 0
    .kernarg_segment_align: 8
    .kernarg_segment_size: 136
    .language:       OpenCL C
    .language_version:
      - 2
      - 0
    .max_flat_workgroup_size: 512
    .name:           _ZN7rocprim17ROCPRIM_400000_NS6detail17trampoline_kernelINS0_14default_configENS1_25partition_config_selectorILNS1_17partition_subalgoE6EjNS0_10empty_typeEbEEZZNS1_14partition_implILS5_6ELb0ES3_mN6thrust23THRUST_200600_302600_NS6detail15normal_iteratorINSA_10device_ptrIjEEEEPS6_SG_NS0_5tupleIJNSA_16discard_iteratorINSA_11use_defaultEEES6_EEENSH_IJSG_SG_EEES6_PlJNSB_9not_fun_tINSB_14equal_to_valueIjEEEEEEE10hipError_tPvRmT3_T4_T5_T6_T7_T9_mT8_P12ihipStream_tbDpT10_ENKUlT_T0_E_clISt17integral_constantIbLb0EES1A_IbLb1EEEEDaS16_S17_EUlS16_E_NS1_11comp_targetILNS1_3genE4ELNS1_11target_archE910ELNS1_3gpuE8ELNS1_3repE0EEENS1_30default_config_static_selectorELNS0_4arch9wavefront6targetE0EEEvT1_
    .private_segment_fixed_size: 0
    .sgpr_count:     0
    .sgpr_spill_count: 0
    .symbol:         _ZN7rocprim17ROCPRIM_400000_NS6detail17trampoline_kernelINS0_14default_configENS1_25partition_config_selectorILNS1_17partition_subalgoE6EjNS0_10empty_typeEbEEZZNS1_14partition_implILS5_6ELb0ES3_mN6thrust23THRUST_200600_302600_NS6detail15normal_iteratorINSA_10device_ptrIjEEEEPS6_SG_NS0_5tupleIJNSA_16discard_iteratorINSA_11use_defaultEEES6_EEENSH_IJSG_SG_EEES6_PlJNSB_9not_fun_tINSB_14equal_to_valueIjEEEEEEE10hipError_tPvRmT3_T4_T5_T6_T7_T9_mT8_P12ihipStream_tbDpT10_ENKUlT_T0_E_clISt17integral_constantIbLb0EES1A_IbLb1EEEEDaS16_S17_EUlS16_E_NS1_11comp_targetILNS1_3genE4ELNS1_11target_archE910ELNS1_3gpuE8ELNS1_3repE0EEENS1_30default_config_static_selectorELNS0_4arch9wavefront6targetE0EEEvT1_.kd
    .uniform_work_group_size: 1
    .uses_dynamic_stack: false
    .vgpr_count:     0
    .vgpr_spill_count: 0
    .wavefront_size: 32
    .workgroup_processor_mode: 1
  - .args:
      - .offset:         0
        .size:           136
        .value_kind:     by_value
    .group_segment_fixed_size: 0
    .kernarg_segment_align: 8
    .kernarg_segment_size: 136
    .language:       OpenCL C
    .language_version:
      - 2
      - 0
    .max_flat_workgroup_size: 256
    .name:           _ZN7rocprim17ROCPRIM_400000_NS6detail17trampoline_kernelINS0_14default_configENS1_25partition_config_selectorILNS1_17partition_subalgoE6EjNS0_10empty_typeEbEEZZNS1_14partition_implILS5_6ELb0ES3_mN6thrust23THRUST_200600_302600_NS6detail15normal_iteratorINSA_10device_ptrIjEEEEPS6_SG_NS0_5tupleIJNSA_16discard_iteratorINSA_11use_defaultEEES6_EEENSH_IJSG_SG_EEES6_PlJNSB_9not_fun_tINSB_14equal_to_valueIjEEEEEEE10hipError_tPvRmT3_T4_T5_T6_T7_T9_mT8_P12ihipStream_tbDpT10_ENKUlT_T0_E_clISt17integral_constantIbLb0EES1A_IbLb1EEEEDaS16_S17_EUlS16_E_NS1_11comp_targetILNS1_3genE3ELNS1_11target_archE908ELNS1_3gpuE7ELNS1_3repE0EEENS1_30default_config_static_selectorELNS0_4arch9wavefront6targetE0EEEvT1_
    .private_segment_fixed_size: 0
    .sgpr_count:     0
    .sgpr_spill_count: 0
    .symbol:         _ZN7rocprim17ROCPRIM_400000_NS6detail17trampoline_kernelINS0_14default_configENS1_25partition_config_selectorILNS1_17partition_subalgoE6EjNS0_10empty_typeEbEEZZNS1_14partition_implILS5_6ELb0ES3_mN6thrust23THRUST_200600_302600_NS6detail15normal_iteratorINSA_10device_ptrIjEEEEPS6_SG_NS0_5tupleIJNSA_16discard_iteratorINSA_11use_defaultEEES6_EEENSH_IJSG_SG_EEES6_PlJNSB_9not_fun_tINSB_14equal_to_valueIjEEEEEEE10hipError_tPvRmT3_T4_T5_T6_T7_T9_mT8_P12ihipStream_tbDpT10_ENKUlT_T0_E_clISt17integral_constantIbLb0EES1A_IbLb1EEEEDaS16_S17_EUlS16_E_NS1_11comp_targetILNS1_3genE3ELNS1_11target_archE908ELNS1_3gpuE7ELNS1_3repE0EEENS1_30default_config_static_selectorELNS0_4arch9wavefront6targetE0EEEvT1_.kd
    .uniform_work_group_size: 1
    .uses_dynamic_stack: false
    .vgpr_count:     0
    .vgpr_spill_count: 0
    .wavefront_size: 32
    .workgroup_processor_mode: 1
  - .args:
      - .offset:         0
        .size:           136
        .value_kind:     by_value
    .group_segment_fixed_size: 0
    .kernarg_segment_align: 8
    .kernarg_segment_size: 136
    .language:       OpenCL C
    .language_version:
      - 2
      - 0
    .max_flat_workgroup_size: 192
    .name:           _ZN7rocprim17ROCPRIM_400000_NS6detail17trampoline_kernelINS0_14default_configENS1_25partition_config_selectorILNS1_17partition_subalgoE6EjNS0_10empty_typeEbEEZZNS1_14partition_implILS5_6ELb0ES3_mN6thrust23THRUST_200600_302600_NS6detail15normal_iteratorINSA_10device_ptrIjEEEEPS6_SG_NS0_5tupleIJNSA_16discard_iteratorINSA_11use_defaultEEES6_EEENSH_IJSG_SG_EEES6_PlJNSB_9not_fun_tINSB_14equal_to_valueIjEEEEEEE10hipError_tPvRmT3_T4_T5_T6_T7_T9_mT8_P12ihipStream_tbDpT10_ENKUlT_T0_E_clISt17integral_constantIbLb0EES1A_IbLb1EEEEDaS16_S17_EUlS16_E_NS1_11comp_targetILNS1_3genE2ELNS1_11target_archE906ELNS1_3gpuE6ELNS1_3repE0EEENS1_30default_config_static_selectorELNS0_4arch9wavefront6targetE0EEEvT1_
    .private_segment_fixed_size: 0
    .sgpr_count:     0
    .sgpr_spill_count: 0
    .symbol:         _ZN7rocprim17ROCPRIM_400000_NS6detail17trampoline_kernelINS0_14default_configENS1_25partition_config_selectorILNS1_17partition_subalgoE6EjNS0_10empty_typeEbEEZZNS1_14partition_implILS5_6ELb0ES3_mN6thrust23THRUST_200600_302600_NS6detail15normal_iteratorINSA_10device_ptrIjEEEEPS6_SG_NS0_5tupleIJNSA_16discard_iteratorINSA_11use_defaultEEES6_EEENSH_IJSG_SG_EEES6_PlJNSB_9not_fun_tINSB_14equal_to_valueIjEEEEEEE10hipError_tPvRmT3_T4_T5_T6_T7_T9_mT8_P12ihipStream_tbDpT10_ENKUlT_T0_E_clISt17integral_constantIbLb0EES1A_IbLb1EEEEDaS16_S17_EUlS16_E_NS1_11comp_targetILNS1_3genE2ELNS1_11target_archE906ELNS1_3gpuE6ELNS1_3repE0EEENS1_30default_config_static_selectorELNS0_4arch9wavefront6targetE0EEEvT1_.kd
    .uniform_work_group_size: 1
    .uses_dynamic_stack: false
    .vgpr_count:     0
    .vgpr_spill_count: 0
    .wavefront_size: 32
    .workgroup_processor_mode: 1
  - .args:
      - .offset:         0
        .size:           136
        .value_kind:     by_value
    .group_segment_fixed_size: 10768
    .kernarg_segment_align: 8
    .kernarg_segment_size: 136
    .language:       OpenCL C
    .language_version:
      - 2
      - 0
    .max_flat_workgroup_size: 384
    .name:           _ZN7rocprim17ROCPRIM_400000_NS6detail17trampoline_kernelINS0_14default_configENS1_25partition_config_selectorILNS1_17partition_subalgoE6EjNS0_10empty_typeEbEEZZNS1_14partition_implILS5_6ELb0ES3_mN6thrust23THRUST_200600_302600_NS6detail15normal_iteratorINSA_10device_ptrIjEEEEPS6_SG_NS0_5tupleIJNSA_16discard_iteratorINSA_11use_defaultEEES6_EEENSH_IJSG_SG_EEES6_PlJNSB_9not_fun_tINSB_14equal_to_valueIjEEEEEEE10hipError_tPvRmT3_T4_T5_T6_T7_T9_mT8_P12ihipStream_tbDpT10_ENKUlT_T0_E_clISt17integral_constantIbLb0EES1A_IbLb1EEEEDaS16_S17_EUlS16_E_NS1_11comp_targetILNS1_3genE10ELNS1_11target_archE1200ELNS1_3gpuE4ELNS1_3repE0EEENS1_30default_config_static_selectorELNS0_4arch9wavefront6targetE0EEEvT1_
    .private_segment_fixed_size: 0
    .sgpr_count:     22
    .sgpr_spill_count: 0
    .symbol:         _ZN7rocprim17ROCPRIM_400000_NS6detail17trampoline_kernelINS0_14default_configENS1_25partition_config_selectorILNS1_17partition_subalgoE6EjNS0_10empty_typeEbEEZZNS1_14partition_implILS5_6ELb0ES3_mN6thrust23THRUST_200600_302600_NS6detail15normal_iteratorINSA_10device_ptrIjEEEEPS6_SG_NS0_5tupleIJNSA_16discard_iteratorINSA_11use_defaultEEES6_EEENSH_IJSG_SG_EEES6_PlJNSB_9not_fun_tINSB_14equal_to_valueIjEEEEEEE10hipError_tPvRmT3_T4_T5_T6_T7_T9_mT8_P12ihipStream_tbDpT10_ENKUlT_T0_E_clISt17integral_constantIbLb0EES1A_IbLb1EEEEDaS16_S17_EUlS16_E_NS1_11comp_targetILNS1_3genE10ELNS1_11target_archE1200ELNS1_3gpuE4ELNS1_3repE0EEENS1_30default_config_static_selectorELNS0_4arch9wavefront6targetE0EEEvT1_.kd
    .uniform_work_group_size: 1
    .uses_dynamic_stack: false
    .vgpr_count:     50
    .vgpr_spill_count: 0
    .wavefront_size: 32
    .workgroup_processor_mode: 1
  - .args:
      - .offset:         0
        .size:           136
        .value_kind:     by_value
    .group_segment_fixed_size: 0
    .kernarg_segment_align: 8
    .kernarg_segment_size: 136
    .language:       OpenCL C
    .language_version:
      - 2
      - 0
    .max_flat_workgroup_size: 128
    .name:           _ZN7rocprim17ROCPRIM_400000_NS6detail17trampoline_kernelINS0_14default_configENS1_25partition_config_selectorILNS1_17partition_subalgoE6EjNS0_10empty_typeEbEEZZNS1_14partition_implILS5_6ELb0ES3_mN6thrust23THRUST_200600_302600_NS6detail15normal_iteratorINSA_10device_ptrIjEEEEPS6_SG_NS0_5tupleIJNSA_16discard_iteratorINSA_11use_defaultEEES6_EEENSH_IJSG_SG_EEES6_PlJNSB_9not_fun_tINSB_14equal_to_valueIjEEEEEEE10hipError_tPvRmT3_T4_T5_T6_T7_T9_mT8_P12ihipStream_tbDpT10_ENKUlT_T0_E_clISt17integral_constantIbLb0EES1A_IbLb1EEEEDaS16_S17_EUlS16_E_NS1_11comp_targetILNS1_3genE9ELNS1_11target_archE1100ELNS1_3gpuE3ELNS1_3repE0EEENS1_30default_config_static_selectorELNS0_4arch9wavefront6targetE0EEEvT1_
    .private_segment_fixed_size: 0
    .sgpr_count:     0
    .sgpr_spill_count: 0
    .symbol:         _ZN7rocprim17ROCPRIM_400000_NS6detail17trampoline_kernelINS0_14default_configENS1_25partition_config_selectorILNS1_17partition_subalgoE6EjNS0_10empty_typeEbEEZZNS1_14partition_implILS5_6ELb0ES3_mN6thrust23THRUST_200600_302600_NS6detail15normal_iteratorINSA_10device_ptrIjEEEEPS6_SG_NS0_5tupleIJNSA_16discard_iteratorINSA_11use_defaultEEES6_EEENSH_IJSG_SG_EEES6_PlJNSB_9not_fun_tINSB_14equal_to_valueIjEEEEEEE10hipError_tPvRmT3_T4_T5_T6_T7_T9_mT8_P12ihipStream_tbDpT10_ENKUlT_T0_E_clISt17integral_constantIbLb0EES1A_IbLb1EEEEDaS16_S17_EUlS16_E_NS1_11comp_targetILNS1_3genE9ELNS1_11target_archE1100ELNS1_3gpuE3ELNS1_3repE0EEENS1_30default_config_static_selectorELNS0_4arch9wavefront6targetE0EEEvT1_.kd
    .uniform_work_group_size: 1
    .uses_dynamic_stack: false
    .vgpr_count:     0
    .vgpr_spill_count: 0
    .wavefront_size: 32
    .workgroup_processor_mode: 1
  - .args:
      - .offset:         0
        .size:           136
        .value_kind:     by_value
    .group_segment_fixed_size: 0
    .kernarg_segment_align: 8
    .kernarg_segment_size: 136
    .language:       OpenCL C
    .language_version:
      - 2
      - 0
    .max_flat_workgroup_size: 512
    .name:           _ZN7rocprim17ROCPRIM_400000_NS6detail17trampoline_kernelINS0_14default_configENS1_25partition_config_selectorILNS1_17partition_subalgoE6EjNS0_10empty_typeEbEEZZNS1_14partition_implILS5_6ELb0ES3_mN6thrust23THRUST_200600_302600_NS6detail15normal_iteratorINSA_10device_ptrIjEEEEPS6_SG_NS0_5tupleIJNSA_16discard_iteratorINSA_11use_defaultEEES6_EEENSH_IJSG_SG_EEES6_PlJNSB_9not_fun_tINSB_14equal_to_valueIjEEEEEEE10hipError_tPvRmT3_T4_T5_T6_T7_T9_mT8_P12ihipStream_tbDpT10_ENKUlT_T0_E_clISt17integral_constantIbLb0EES1A_IbLb1EEEEDaS16_S17_EUlS16_E_NS1_11comp_targetILNS1_3genE8ELNS1_11target_archE1030ELNS1_3gpuE2ELNS1_3repE0EEENS1_30default_config_static_selectorELNS0_4arch9wavefront6targetE0EEEvT1_
    .private_segment_fixed_size: 0
    .sgpr_count:     0
    .sgpr_spill_count: 0
    .symbol:         _ZN7rocprim17ROCPRIM_400000_NS6detail17trampoline_kernelINS0_14default_configENS1_25partition_config_selectorILNS1_17partition_subalgoE6EjNS0_10empty_typeEbEEZZNS1_14partition_implILS5_6ELb0ES3_mN6thrust23THRUST_200600_302600_NS6detail15normal_iteratorINSA_10device_ptrIjEEEEPS6_SG_NS0_5tupleIJNSA_16discard_iteratorINSA_11use_defaultEEES6_EEENSH_IJSG_SG_EEES6_PlJNSB_9not_fun_tINSB_14equal_to_valueIjEEEEEEE10hipError_tPvRmT3_T4_T5_T6_T7_T9_mT8_P12ihipStream_tbDpT10_ENKUlT_T0_E_clISt17integral_constantIbLb0EES1A_IbLb1EEEEDaS16_S17_EUlS16_E_NS1_11comp_targetILNS1_3genE8ELNS1_11target_archE1030ELNS1_3gpuE2ELNS1_3repE0EEENS1_30default_config_static_selectorELNS0_4arch9wavefront6targetE0EEEvT1_.kd
    .uniform_work_group_size: 1
    .uses_dynamic_stack: false
    .vgpr_count:     0
    .vgpr_spill_count: 0
    .wavefront_size: 32
    .workgroup_processor_mode: 1
  - .args:
      - .offset:         0
        .size:           120
        .value_kind:     by_value
    .group_segment_fixed_size: 0
    .kernarg_segment_align: 8
    .kernarg_segment_size: 120
    .language:       OpenCL C
    .language_version:
      - 2
      - 0
    .max_flat_workgroup_size: 256
    .name:           _ZN7rocprim17ROCPRIM_400000_NS6detail17trampoline_kernelINS0_14default_configENS1_25partition_config_selectorILNS1_17partition_subalgoE6EtNS0_10empty_typeEbEEZZNS1_14partition_implILS5_6ELb0ES3_mN6thrust23THRUST_200600_302600_NS6detail15normal_iteratorINSA_10device_ptrItEEEEPS6_SG_NS0_5tupleIJNSA_16discard_iteratorINSA_11use_defaultEEES6_EEENSH_IJSG_SG_EEES6_PlJNSB_9not_fun_tINSB_14equal_to_valueItEEEEEEE10hipError_tPvRmT3_T4_T5_T6_T7_T9_mT8_P12ihipStream_tbDpT10_ENKUlT_T0_E_clISt17integral_constantIbLb0EES1B_EEDaS16_S17_EUlS16_E_NS1_11comp_targetILNS1_3genE0ELNS1_11target_archE4294967295ELNS1_3gpuE0ELNS1_3repE0EEENS1_30default_config_static_selectorELNS0_4arch9wavefront6targetE0EEEvT1_
    .private_segment_fixed_size: 0
    .sgpr_count:     0
    .sgpr_spill_count: 0
    .symbol:         _ZN7rocprim17ROCPRIM_400000_NS6detail17trampoline_kernelINS0_14default_configENS1_25partition_config_selectorILNS1_17partition_subalgoE6EtNS0_10empty_typeEbEEZZNS1_14partition_implILS5_6ELb0ES3_mN6thrust23THRUST_200600_302600_NS6detail15normal_iteratorINSA_10device_ptrItEEEEPS6_SG_NS0_5tupleIJNSA_16discard_iteratorINSA_11use_defaultEEES6_EEENSH_IJSG_SG_EEES6_PlJNSB_9not_fun_tINSB_14equal_to_valueItEEEEEEE10hipError_tPvRmT3_T4_T5_T6_T7_T9_mT8_P12ihipStream_tbDpT10_ENKUlT_T0_E_clISt17integral_constantIbLb0EES1B_EEDaS16_S17_EUlS16_E_NS1_11comp_targetILNS1_3genE0ELNS1_11target_archE4294967295ELNS1_3gpuE0ELNS1_3repE0EEENS1_30default_config_static_selectorELNS0_4arch9wavefront6targetE0EEEvT1_.kd
    .uniform_work_group_size: 1
    .uses_dynamic_stack: false
    .vgpr_count:     0
    .vgpr_spill_count: 0
    .wavefront_size: 32
    .workgroup_processor_mode: 1
  - .args:
      - .offset:         0
        .size:           120
        .value_kind:     by_value
    .group_segment_fixed_size: 0
    .kernarg_segment_align: 8
    .kernarg_segment_size: 120
    .language:       OpenCL C
    .language_version:
      - 2
      - 0
    .max_flat_workgroup_size: 512
    .name:           _ZN7rocprim17ROCPRIM_400000_NS6detail17trampoline_kernelINS0_14default_configENS1_25partition_config_selectorILNS1_17partition_subalgoE6EtNS0_10empty_typeEbEEZZNS1_14partition_implILS5_6ELb0ES3_mN6thrust23THRUST_200600_302600_NS6detail15normal_iteratorINSA_10device_ptrItEEEEPS6_SG_NS0_5tupleIJNSA_16discard_iteratorINSA_11use_defaultEEES6_EEENSH_IJSG_SG_EEES6_PlJNSB_9not_fun_tINSB_14equal_to_valueItEEEEEEE10hipError_tPvRmT3_T4_T5_T6_T7_T9_mT8_P12ihipStream_tbDpT10_ENKUlT_T0_E_clISt17integral_constantIbLb0EES1B_EEDaS16_S17_EUlS16_E_NS1_11comp_targetILNS1_3genE5ELNS1_11target_archE942ELNS1_3gpuE9ELNS1_3repE0EEENS1_30default_config_static_selectorELNS0_4arch9wavefront6targetE0EEEvT1_
    .private_segment_fixed_size: 0
    .sgpr_count:     0
    .sgpr_spill_count: 0
    .symbol:         _ZN7rocprim17ROCPRIM_400000_NS6detail17trampoline_kernelINS0_14default_configENS1_25partition_config_selectorILNS1_17partition_subalgoE6EtNS0_10empty_typeEbEEZZNS1_14partition_implILS5_6ELb0ES3_mN6thrust23THRUST_200600_302600_NS6detail15normal_iteratorINSA_10device_ptrItEEEEPS6_SG_NS0_5tupleIJNSA_16discard_iteratorINSA_11use_defaultEEES6_EEENSH_IJSG_SG_EEES6_PlJNSB_9not_fun_tINSB_14equal_to_valueItEEEEEEE10hipError_tPvRmT3_T4_T5_T6_T7_T9_mT8_P12ihipStream_tbDpT10_ENKUlT_T0_E_clISt17integral_constantIbLb0EES1B_EEDaS16_S17_EUlS16_E_NS1_11comp_targetILNS1_3genE5ELNS1_11target_archE942ELNS1_3gpuE9ELNS1_3repE0EEENS1_30default_config_static_selectorELNS0_4arch9wavefront6targetE0EEEvT1_.kd
    .uniform_work_group_size: 1
    .uses_dynamic_stack: false
    .vgpr_count:     0
    .vgpr_spill_count: 0
    .wavefront_size: 32
    .workgroup_processor_mode: 1
  - .args:
      - .offset:         0
        .size:           120
        .value_kind:     by_value
    .group_segment_fixed_size: 0
    .kernarg_segment_align: 8
    .kernarg_segment_size: 120
    .language:       OpenCL C
    .language_version:
      - 2
      - 0
    .max_flat_workgroup_size: 256
    .name:           _ZN7rocprim17ROCPRIM_400000_NS6detail17trampoline_kernelINS0_14default_configENS1_25partition_config_selectorILNS1_17partition_subalgoE6EtNS0_10empty_typeEbEEZZNS1_14partition_implILS5_6ELb0ES3_mN6thrust23THRUST_200600_302600_NS6detail15normal_iteratorINSA_10device_ptrItEEEEPS6_SG_NS0_5tupleIJNSA_16discard_iteratorINSA_11use_defaultEEES6_EEENSH_IJSG_SG_EEES6_PlJNSB_9not_fun_tINSB_14equal_to_valueItEEEEEEE10hipError_tPvRmT3_T4_T5_T6_T7_T9_mT8_P12ihipStream_tbDpT10_ENKUlT_T0_E_clISt17integral_constantIbLb0EES1B_EEDaS16_S17_EUlS16_E_NS1_11comp_targetILNS1_3genE4ELNS1_11target_archE910ELNS1_3gpuE8ELNS1_3repE0EEENS1_30default_config_static_selectorELNS0_4arch9wavefront6targetE0EEEvT1_
    .private_segment_fixed_size: 0
    .sgpr_count:     0
    .sgpr_spill_count: 0
    .symbol:         _ZN7rocprim17ROCPRIM_400000_NS6detail17trampoline_kernelINS0_14default_configENS1_25partition_config_selectorILNS1_17partition_subalgoE6EtNS0_10empty_typeEbEEZZNS1_14partition_implILS5_6ELb0ES3_mN6thrust23THRUST_200600_302600_NS6detail15normal_iteratorINSA_10device_ptrItEEEEPS6_SG_NS0_5tupleIJNSA_16discard_iteratorINSA_11use_defaultEEES6_EEENSH_IJSG_SG_EEES6_PlJNSB_9not_fun_tINSB_14equal_to_valueItEEEEEEE10hipError_tPvRmT3_T4_T5_T6_T7_T9_mT8_P12ihipStream_tbDpT10_ENKUlT_T0_E_clISt17integral_constantIbLb0EES1B_EEDaS16_S17_EUlS16_E_NS1_11comp_targetILNS1_3genE4ELNS1_11target_archE910ELNS1_3gpuE8ELNS1_3repE0EEENS1_30default_config_static_selectorELNS0_4arch9wavefront6targetE0EEEvT1_.kd
    .uniform_work_group_size: 1
    .uses_dynamic_stack: false
    .vgpr_count:     0
    .vgpr_spill_count: 0
    .wavefront_size: 32
    .workgroup_processor_mode: 1
  - .args:
      - .offset:         0
        .size:           120
        .value_kind:     by_value
    .group_segment_fixed_size: 0
    .kernarg_segment_align: 8
    .kernarg_segment_size: 120
    .language:       OpenCL C
    .language_version:
      - 2
      - 0
    .max_flat_workgroup_size: 256
    .name:           _ZN7rocprim17ROCPRIM_400000_NS6detail17trampoline_kernelINS0_14default_configENS1_25partition_config_selectorILNS1_17partition_subalgoE6EtNS0_10empty_typeEbEEZZNS1_14partition_implILS5_6ELb0ES3_mN6thrust23THRUST_200600_302600_NS6detail15normal_iteratorINSA_10device_ptrItEEEEPS6_SG_NS0_5tupleIJNSA_16discard_iteratorINSA_11use_defaultEEES6_EEENSH_IJSG_SG_EEES6_PlJNSB_9not_fun_tINSB_14equal_to_valueItEEEEEEE10hipError_tPvRmT3_T4_T5_T6_T7_T9_mT8_P12ihipStream_tbDpT10_ENKUlT_T0_E_clISt17integral_constantIbLb0EES1B_EEDaS16_S17_EUlS16_E_NS1_11comp_targetILNS1_3genE3ELNS1_11target_archE908ELNS1_3gpuE7ELNS1_3repE0EEENS1_30default_config_static_selectorELNS0_4arch9wavefront6targetE0EEEvT1_
    .private_segment_fixed_size: 0
    .sgpr_count:     0
    .sgpr_spill_count: 0
    .symbol:         _ZN7rocprim17ROCPRIM_400000_NS6detail17trampoline_kernelINS0_14default_configENS1_25partition_config_selectorILNS1_17partition_subalgoE6EtNS0_10empty_typeEbEEZZNS1_14partition_implILS5_6ELb0ES3_mN6thrust23THRUST_200600_302600_NS6detail15normal_iteratorINSA_10device_ptrItEEEEPS6_SG_NS0_5tupleIJNSA_16discard_iteratorINSA_11use_defaultEEES6_EEENSH_IJSG_SG_EEES6_PlJNSB_9not_fun_tINSB_14equal_to_valueItEEEEEEE10hipError_tPvRmT3_T4_T5_T6_T7_T9_mT8_P12ihipStream_tbDpT10_ENKUlT_T0_E_clISt17integral_constantIbLb0EES1B_EEDaS16_S17_EUlS16_E_NS1_11comp_targetILNS1_3genE3ELNS1_11target_archE908ELNS1_3gpuE7ELNS1_3repE0EEENS1_30default_config_static_selectorELNS0_4arch9wavefront6targetE0EEEvT1_.kd
    .uniform_work_group_size: 1
    .uses_dynamic_stack: false
    .vgpr_count:     0
    .vgpr_spill_count: 0
    .wavefront_size: 32
    .workgroup_processor_mode: 1
  - .args:
      - .offset:         0
        .size:           120
        .value_kind:     by_value
    .group_segment_fixed_size: 0
    .kernarg_segment_align: 8
    .kernarg_segment_size: 120
    .language:       OpenCL C
    .language_version:
      - 2
      - 0
    .max_flat_workgroup_size: 256
    .name:           _ZN7rocprim17ROCPRIM_400000_NS6detail17trampoline_kernelINS0_14default_configENS1_25partition_config_selectorILNS1_17partition_subalgoE6EtNS0_10empty_typeEbEEZZNS1_14partition_implILS5_6ELb0ES3_mN6thrust23THRUST_200600_302600_NS6detail15normal_iteratorINSA_10device_ptrItEEEEPS6_SG_NS0_5tupleIJNSA_16discard_iteratorINSA_11use_defaultEEES6_EEENSH_IJSG_SG_EEES6_PlJNSB_9not_fun_tINSB_14equal_to_valueItEEEEEEE10hipError_tPvRmT3_T4_T5_T6_T7_T9_mT8_P12ihipStream_tbDpT10_ENKUlT_T0_E_clISt17integral_constantIbLb0EES1B_EEDaS16_S17_EUlS16_E_NS1_11comp_targetILNS1_3genE2ELNS1_11target_archE906ELNS1_3gpuE6ELNS1_3repE0EEENS1_30default_config_static_selectorELNS0_4arch9wavefront6targetE0EEEvT1_
    .private_segment_fixed_size: 0
    .sgpr_count:     0
    .sgpr_spill_count: 0
    .symbol:         _ZN7rocprim17ROCPRIM_400000_NS6detail17trampoline_kernelINS0_14default_configENS1_25partition_config_selectorILNS1_17partition_subalgoE6EtNS0_10empty_typeEbEEZZNS1_14partition_implILS5_6ELb0ES3_mN6thrust23THRUST_200600_302600_NS6detail15normal_iteratorINSA_10device_ptrItEEEEPS6_SG_NS0_5tupleIJNSA_16discard_iteratorINSA_11use_defaultEEES6_EEENSH_IJSG_SG_EEES6_PlJNSB_9not_fun_tINSB_14equal_to_valueItEEEEEEE10hipError_tPvRmT3_T4_T5_T6_T7_T9_mT8_P12ihipStream_tbDpT10_ENKUlT_T0_E_clISt17integral_constantIbLb0EES1B_EEDaS16_S17_EUlS16_E_NS1_11comp_targetILNS1_3genE2ELNS1_11target_archE906ELNS1_3gpuE6ELNS1_3repE0EEENS1_30default_config_static_selectorELNS0_4arch9wavefront6targetE0EEEvT1_.kd
    .uniform_work_group_size: 1
    .uses_dynamic_stack: false
    .vgpr_count:     0
    .vgpr_spill_count: 0
    .wavefront_size: 32
    .workgroup_processor_mode: 1
  - .args:
      - .offset:         0
        .size:           120
        .value_kind:     by_value
    .group_segment_fixed_size: 13840
    .kernarg_segment_align: 8
    .kernarg_segment_size: 120
    .language:       OpenCL C
    .language_version:
      - 2
      - 0
    .max_flat_workgroup_size: 384
    .name:           _ZN7rocprim17ROCPRIM_400000_NS6detail17trampoline_kernelINS0_14default_configENS1_25partition_config_selectorILNS1_17partition_subalgoE6EtNS0_10empty_typeEbEEZZNS1_14partition_implILS5_6ELb0ES3_mN6thrust23THRUST_200600_302600_NS6detail15normal_iteratorINSA_10device_ptrItEEEEPS6_SG_NS0_5tupleIJNSA_16discard_iteratorINSA_11use_defaultEEES6_EEENSH_IJSG_SG_EEES6_PlJNSB_9not_fun_tINSB_14equal_to_valueItEEEEEEE10hipError_tPvRmT3_T4_T5_T6_T7_T9_mT8_P12ihipStream_tbDpT10_ENKUlT_T0_E_clISt17integral_constantIbLb0EES1B_EEDaS16_S17_EUlS16_E_NS1_11comp_targetILNS1_3genE10ELNS1_11target_archE1200ELNS1_3gpuE4ELNS1_3repE0EEENS1_30default_config_static_selectorELNS0_4arch9wavefront6targetE0EEEvT1_
    .private_segment_fixed_size: 0
    .sgpr_count:     29
    .sgpr_spill_count: 0
    .symbol:         _ZN7rocprim17ROCPRIM_400000_NS6detail17trampoline_kernelINS0_14default_configENS1_25partition_config_selectorILNS1_17partition_subalgoE6EtNS0_10empty_typeEbEEZZNS1_14partition_implILS5_6ELb0ES3_mN6thrust23THRUST_200600_302600_NS6detail15normal_iteratorINSA_10device_ptrItEEEEPS6_SG_NS0_5tupleIJNSA_16discard_iteratorINSA_11use_defaultEEES6_EEENSH_IJSG_SG_EEES6_PlJNSB_9not_fun_tINSB_14equal_to_valueItEEEEEEE10hipError_tPvRmT3_T4_T5_T6_T7_T9_mT8_P12ihipStream_tbDpT10_ENKUlT_T0_E_clISt17integral_constantIbLb0EES1B_EEDaS16_S17_EUlS16_E_NS1_11comp_targetILNS1_3genE10ELNS1_11target_archE1200ELNS1_3gpuE4ELNS1_3repE0EEENS1_30default_config_static_selectorELNS0_4arch9wavefront6targetE0EEEvT1_.kd
    .uniform_work_group_size: 1
    .uses_dynamic_stack: false
    .vgpr_count:     63
    .vgpr_spill_count: 0
    .wavefront_size: 32
    .workgroup_processor_mode: 1
  - .args:
      - .offset:         0
        .size:           120
        .value_kind:     by_value
    .group_segment_fixed_size: 0
    .kernarg_segment_align: 8
    .kernarg_segment_size: 120
    .language:       OpenCL C
    .language_version:
      - 2
      - 0
    .max_flat_workgroup_size: 128
    .name:           _ZN7rocprim17ROCPRIM_400000_NS6detail17trampoline_kernelINS0_14default_configENS1_25partition_config_selectorILNS1_17partition_subalgoE6EtNS0_10empty_typeEbEEZZNS1_14partition_implILS5_6ELb0ES3_mN6thrust23THRUST_200600_302600_NS6detail15normal_iteratorINSA_10device_ptrItEEEEPS6_SG_NS0_5tupleIJNSA_16discard_iteratorINSA_11use_defaultEEES6_EEENSH_IJSG_SG_EEES6_PlJNSB_9not_fun_tINSB_14equal_to_valueItEEEEEEE10hipError_tPvRmT3_T4_T5_T6_T7_T9_mT8_P12ihipStream_tbDpT10_ENKUlT_T0_E_clISt17integral_constantIbLb0EES1B_EEDaS16_S17_EUlS16_E_NS1_11comp_targetILNS1_3genE9ELNS1_11target_archE1100ELNS1_3gpuE3ELNS1_3repE0EEENS1_30default_config_static_selectorELNS0_4arch9wavefront6targetE0EEEvT1_
    .private_segment_fixed_size: 0
    .sgpr_count:     0
    .sgpr_spill_count: 0
    .symbol:         _ZN7rocprim17ROCPRIM_400000_NS6detail17trampoline_kernelINS0_14default_configENS1_25partition_config_selectorILNS1_17partition_subalgoE6EtNS0_10empty_typeEbEEZZNS1_14partition_implILS5_6ELb0ES3_mN6thrust23THRUST_200600_302600_NS6detail15normal_iteratorINSA_10device_ptrItEEEEPS6_SG_NS0_5tupleIJNSA_16discard_iteratorINSA_11use_defaultEEES6_EEENSH_IJSG_SG_EEES6_PlJNSB_9not_fun_tINSB_14equal_to_valueItEEEEEEE10hipError_tPvRmT3_T4_T5_T6_T7_T9_mT8_P12ihipStream_tbDpT10_ENKUlT_T0_E_clISt17integral_constantIbLb0EES1B_EEDaS16_S17_EUlS16_E_NS1_11comp_targetILNS1_3genE9ELNS1_11target_archE1100ELNS1_3gpuE3ELNS1_3repE0EEENS1_30default_config_static_selectorELNS0_4arch9wavefront6targetE0EEEvT1_.kd
    .uniform_work_group_size: 1
    .uses_dynamic_stack: false
    .vgpr_count:     0
    .vgpr_spill_count: 0
    .wavefront_size: 32
    .workgroup_processor_mode: 1
  - .args:
      - .offset:         0
        .size:           120
        .value_kind:     by_value
    .group_segment_fixed_size: 0
    .kernarg_segment_align: 8
    .kernarg_segment_size: 120
    .language:       OpenCL C
    .language_version:
      - 2
      - 0
    .max_flat_workgroup_size: 256
    .name:           _ZN7rocprim17ROCPRIM_400000_NS6detail17trampoline_kernelINS0_14default_configENS1_25partition_config_selectorILNS1_17partition_subalgoE6EtNS0_10empty_typeEbEEZZNS1_14partition_implILS5_6ELb0ES3_mN6thrust23THRUST_200600_302600_NS6detail15normal_iteratorINSA_10device_ptrItEEEEPS6_SG_NS0_5tupleIJNSA_16discard_iteratorINSA_11use_defaultEEES6_EEENSH_IJSG_SG_EEES6_PlJNSB_9not_fun_tINSB_14equal_to_valueItEEEEEEE10hipError_tPvRmT3_T4_T5_T6_T7_T9_mT8_P12ihipStream_tbDpT10_ENKUlT_T0_E_clISt17integral_constantIbLb0EES1B_EEDaS16_S17_EUlS16_E_NS1_11comp_targetILNS1_3genE8ELNS1_11target_archE1030ELNS1_3gpuE2ELNS1_3repE0EEENS1_30default_config_static_selectorELNS0_4arch9wavefront6targetE0EEEvT1_
    .private_segment_fixed_size: 0
    .sgpr_count:     0
    .sgpr_spill_count: 0
    .symbol:         _ZN7rocprim17ROCPRIM_400000_NS6detail17trampoline_kernelINS0_14default_configENS1_25partition_config_selectorILNS1_17partition_subalgoE6EtNS0_10empty_typeEbEEZZNS1_14partition_implILS5_6ELb0ES3_mN6thrust23THRUST_200600_302600_NS6detail15normal_iteratorINSA_10device_ptrItEEEEPS6_SG_NS0_5tupleIJNSA_16discard_iteratorINSA_11use_defaultEEES6_EEENSH_IJSG_SG_EEES6_PlJNSB_9not_fun_tINSB_14equal_to_valueItEEEEEEE10hipError_tPvRmT3_T4_T5_T6_T7_T9_mT8_P12ihipStream_tbDpT10_ENKUlT_T0_E_clISt17integral_constantIbLb0EES1B_EEDaS16_S17_EUlS16_E_NS1_11comp_targetILNS1_3genE8ELNS1_11target_archE1030ELNS1_3gpuE2ELNS1_3repE0EEENS1_30default_config_static_selectorELNS0_4arch9wavefront6targetE0EEEvT1_.kd
    .uniform_work_group_size: 1
    .uses_dynamic_stack: false
    .vgpr_count:     0
    .vgpr_spill_count: 0
    .wavefront_size: 32
    .workgroup_processor_mode: 1
  - .args:
      - .offset:         0
        .size:           136
        .value_kind:     by_value
    .group_segment_fixed_size: 0
    .kernarg_segment_align: 8
    .kernarg_segment_size: 136
    .language:       OpenCL C
    .language_version:
      - 2
      - 0
    .max_flat_workgroup_size: 256
    .name:           _ZN7rocprim17ROCPRIM_400000_NS6detail17trampoline_kernelINS0_14default_configENS1_25partition_config_selectorILNS1_17partition_subalgoE6EtNS0_10empty_typeEbEEZZNS1_14partition_implILS5_6ELb0ES3_mN6thrust23THRUST_200600_302600_NS6detail15normal_iteratorINSA_10device_ptrItEEEEPS6_SG_NS0_5tupleIJNSA_16discard_iteratorINSA_11use_defaultEEES6_EEENSH_IJSG_SG_EEES6_PlJNSB_9not_fun_tINSB_14equal_to_valueItEEEEEEE10hipError_tPvRmT3_T4_T5_T6_T7_T9_mT8_P12ihipStream_tbDpT10_ENKUlT_T0_E_clISt17integral_constantIbLb1EES1B_EEDaS16_S17_EUlS16_E_NS1_11comp_targetILNS1_3genE0ELNS1_11target_archE4294967295ELNS1_3gpuE0ELNS1_3repE0EEENS1_30default_config_static_selectorELNS0_4arch9wavefront6targetE0EEEvT1_
    .private_segment_fixed_size: 0
    .sgpr_count:     0
    .sgpr_spill_count: 0
    .symbol:         _ZN7rocprim17ROCPRIM_400000_NS6detail17trampoline_kernelINS0_14default_configENS1_25partition_config_selectorILNS1_17partition_subalgoE6EtNS0_10empty_typeEbEEZZNS1_14partition_implILS5_6ELb0ES3_mN6thrust23THRUST_200600_302600_NS6detail15normal_iteratorINSA_10device_ptrItEEEEPS6_SG_NS0_5tupleIJNSA_16discard_iteratorINSA_11use_defaultEEES6_EEENSH_IJSG_SG_EEES6_PlJNSB_9not_fun_tINSB_14equal_to_valueItEEEEEEE10hipError_tPvRmT3_T4_T5_T6_T7_T9_mT8_P12ihipStream_tbDpT10_ENKUlT_T0_E_clISt17integral_constantIbLb1EES1B_EEDaS16_S17_EUlS16_E_NS1_11comp_targetILNS1_3genE0ELNS1_11target_archE4294967295ELNS1_3gpuE0ELNS1_3repE0EEENS1_30default_config_static_selectorELNS0_4arch9wavefront6targetE0EEEvT1_.kd
    .uniform_work_group_size: 1
    .uses_dynamic_stack: false
    .vgpr_count:     0
    .vgpr_spill_count: 0
    .wavefront_size: 32
    .workgroup_processor_mode: 1
  - .args:
      - .offset:         0
        .size:           136
        .value_kind:     by_value
    .group_segment_fixed_size: 0
    .kernarg_segment_align: 8
    .kernarg_segment_size: 136
    .language:       OpenCL C
    .language_version:
      - 2
      - 0
    .max_flat_workgroup_size: 512
    .name:           _ZN7rocprim17ROCPRIM_400000_NS6detail17trampoline_kernelINS0_14default_configENS1_25partition_config_selectorILNS1_17partition_subalgoE6EtNS0_10empty_typeEbEEZZNS1_14partition_implILS5_6ELb0ES3_mN6thrust23THRUST_200600_302600_NS6detail15normal_iteratorINSA_10device_ptrItEEEEPS6_SG_NS0_5tupleIJNSA_16discard_iteratorINSA_11use_defaultEEES6_EEENSH_IJSG_SG_EEES6_PlJNSB_9not_fun_tINSB_14equal_to_valueItEEEEEEE10hipError_tPvRmT3_T4_T5_T6_T7_T9_mT8_P12ihipStream_tbDpT10_ENKUlT_T0_E_clISt17integral_constantIbLb1EES1B_EEDaS16_S17_EUlS16_E_NS1_11comp_targetILNS1_3genE5ELNS1_11target_archE942ELNS1_3gpuE9ELNS1_3repE0EEENS1_30default_config_static_selectorELNS0_4arch9wavefront6targetE0EEEvT1_
    .private_segment_fixed_size: 0
    .sgpr_count:     0
    .sgpr_spill_count: 0
    .symbol:         _ZN7rocprim17ROCPRIM_400000_NS6detail17trampoline_kernelINS0_14default_configENS1_25partition_config_selectorILNS1_17partition_subalgoE6EtNS0_10empty_typeEbEEZZNS1_14partition_implILS5_6ELb0ES3_mN6thrust23THRUST_200600_302600_NS6detail15normal_iteratorINSA_10device_ptrItEEEEPS6_SG_NS0_5tupleIJNSA_16discard_iteratorINSA_11use_defaultEEES6_EEENSH_IJSG_SG_EEES6_PlJNSB_9not_fun_tINSB_14equal_to_valueItEEEEEEE10hipError_tPvRmT3_T4_T5_T6_T7_T9_mT8_P12ihipStream_tbDpT10_ENKUlT_T0_E_clISt17integral_constantIbLb1EES1B_EEDaS16_S17_EUlS16_E_NS1_11comp_targetILNS1_3genE5ELNS1_11target_archE942ELNS1_3gpuE9ELNS1_3repE0EEENS1_30default_config_static_selectorELNS0_4arch9wavefront6targetE0EEEvT1_.kd
    .uniform_work_group_size: 1
    .uses_dynamic_stack: false
    .vgpr_count:     0
    .vgpr_spill_count: 0
    .wavefront_size: 32
    .workgroup_processor_mode: 1
  - .args:
      - .offset:         0
        .size:           136
        .value_kind:     by_value
    .group_segment_fixed_size: 0
    .kernarg_segment_align: 8
    .kernarg_segment_size: 136
    .language:       OpenCL C
    .language_version:
      - 2
      - 0
    .max_flat_workgroup_size: 256
    .name:           _ZN7rocprim17ROCPRIM_400000_NS6detail17trampoline_kernelINS0_14default_configENS1_25partition_config_selectorILNS1_17partition_subalgoE6EtNS0_10empty_typeEbEEZZNS1_14partition_implILS5_6ELb0ES3_mN6thrust23THRUST_200600_302600_NS6detail15normal_iteratorINSA_10device_ptrItEEEEPS6_SG_NS0_5tupleIJNSA_16discard_iteratorINSA_11use_defaultEEES6_EEENSH_IJSG_SG_EEES6_PlJNSB_9not_fun_tINSB_14equal_to_valueItEEEEEEE10hipError_tPvRmT3_T4_T5_T6_T7_T9_mT8_P12ihipStream_tbDpT10_ENKUlT_T0_E_clISt17integral_constantIbLb1EES1B_EEDaS16_S17_EUlS16_E_NS1_11comp_targetILNS1_3genE4ELNS1_11target_archE910ELNS1_3gpuE8ELNS1_3repE0EEENS1_30default_config_static_selectorELNS0_4arch9wavefront6targetE0EEEvT1_
    .private_segment_fixed_size: 0
    .sgpr_count:     0
    .sgpr_spill_count: 0
    .symbol:         _ZN7rocprim17ROCPRIM_400000_NS6detail17trampoline_kernelINS0_14default_configENS1_25partition_config_selectorILNS1_17partition_subalgoE6EtNS0_10empty_typeEbEEZZNS1_14partition_implILS5_6ELb0ES3_mN6thrust23THRUST_200600_302600_NS6detail15normal_iteratorINSA_10device_ptrItEEEEPS6_SG_NS0_5tupleIJNSA_16discard_iteratorINSA_11use_defaultEEES6_EEENSH_IJSG_SG_EEES6_PlJNSB_9not_fun_tINSB_14equal_to_valueItEEEEEEE10hipError_tPvRmT3_T4_T5_T6_T7_T9_mT8_P12ihipStream_tbDpT10_ENKUlT_T0_E_clISt17integral_constantIbLb1EES1B_EEDaS16_S17_EUlS16_E_NS1_11comp_targetILNS1_3genE4ELNS1_11target_archE910ELNS1_3gpuE8ELNS1_3repE0EEENS1_30default_config_static_selectorELNS0_4arch9wavefront6targetE0EEEvT1_.kd
    .uniform_work_group_size: 1
    .uses_dynamic_stack: false
    .vgpr_count:     0
    .vgpr_spill_count: 0
    .wavefront_size: 32
    .workgroup_processor_mode: 1
  - .args:
      - .offset:         0
        .size:           136
        .value_kind:     by_value
    .group_segment_fixed_size: 0
    .kernarg_segment_align: 8
    .kernarg_segment_size: 136
    .language:       OpenCL C
    .language_version:
      - 2
      - 0
    .max_flat_workgroup_size: 256
    .name:           _ZN7rocprim17ROCPRIM_400000_NS6detail17trampoline_kernelINS0_14default_configENS1_25partition_config_selectorILNS1_17partition_subalgoE6EtNS0_10empty_typeEbEEZZNS1_14partition_implILS5_6ELb0ES3_mN6thrust23THRUST_200600_302600_NS6detail15normal_iteratorINSA_10device_ptrItEEEEPS6_SG_NS0_5tupleIJNSA_16discard_iteratorINSA_11use_defaultEEES6_EEENSH_IJSG_SG_EEES6_PlJNSB_9not_fun_tINSB_14equal_to_valueItEEEEEEE10hipError_tPvRmT3_T4_T5_T6_T7_T9_mT8_P12ihipStream_tbDpT10_ENKUlT_T0_E_clISt17integral_constantIbLb1EES1B_EEDaS16_S17_EUlS16_E_NS1_11comp_targetILNS1_3genE3ELNS1_11target_archE908ELNS1_3gpuE7ELNS1_3repE0EEENS1_30default_config_static_selectorELNS0_4arch9wavefront6targetE0EEEvT1_
    .private_segment_fixed_size: 0
    .sgpr_count:     0
    .sgpr_spill_count: 0
    .symbol:         _ZN7rocprim17ROCPRIM_400000_NS6detail17trampoline_kernelINS0_14default_configENS1_25partition_config_selectorILNS1_17partition_subalgoE6EtNS0_10empty_typeEbEEZZNS1_14partition_implILS5_6ELb0ES3_mN6thrust23THRUST_200600_302600_NS6detail15normal_iteratorINSA_10device_ptrItEEEEPS6_SG_NS0_5tupleIJNSA_16discard_iteratorINSA_11use_defaultEEES6_EEENSH_IJSG_SG_EEES6_PlJNSB_9not_fun_tINSB_14equal_to_valueItEEEEEEE10hipError_tPvRmT3_T4_T5_T6_T7_T9_mT8_P12ihipStream_tbDpT10_ENKUlT_T0_E_clISt17integral_constantIbLb1EES1B_EEDaS16_S17_EUlS16_E_NS1_11comp_targetILNS1_3genE3ELNS1_11target_archE908ELNS1_3gpuE7ELNS1_3repE0EEENS1_30default_config_static_selectorELNS0_4arch9wavefront6targetE0EEEvT1_.kd
    .uniform_work_group_size: 1
    .uses_dynamic_stack: false
    .vgpr_count:     0
    .vgpr_spill_count: 0
    .wavefront_size: 32
    .workgroup_processor_mode: 1
  - .args:
      - .offset:         0
        .size:           136
        .value_kind:     by_value
    .group_segment_fixed_size: 0
    .kernarg_segment_align: 8
    .kernarg_segment_size: 136
    .language:       OpenCL C
    .language_version:
      - 2
      - 0
    .max_flat_workgroup_size: 256
    .name:           _ZN7rocprim17ROCPRIM_400000_NS6detail17trampoline_kernelINS0_14default_configENS1_25partition_config_selectorILNS1_17partition_subalgoE6EtNS0_10empty_typeEbEEZZNS1_14partition_implILS5_6ELb0ES3_mN6thrust23THRUST_200600_302600_NS6detail15normal_iteratorINSA_10device_ptrItEEEEPS6_SG_NS0_5tupleIJNSA_16discard_iteratorINSA_11use_defaultEEES6_EEENSH_IJSG_SG_EEES6_PlJNSB_9not_fun_tINSB_14equal_to_valueItEEEEEEE10hipError_tPvRmT3_T4_T5_T6_T7_T9_mT8_P12ihipStream_tbDpT10_ENKUlT_T0_E_clISt17integral_constantIbLb1EES1B_EEDaS16_S17_EUlS16_E_NS1_11comp_targetILNS1_3genE2ELNS1_11target_archE906ELNS1_3gpuE6ELNS1_3repE0EEENS1_30default_config_static_selectorELNS0_4arch9wavefront6targetE0EEEvT1_
    .private_segment_fixed_size: 0
    .sgpr_count:     0
    .sgpr_spill_count: 0
    .symbol:         _ZN7rocprim17ROCPRIM_400000_NS6detail17trampoline_kernelINS0_14default_configENS1_25partition_config_selectorILNS1_17partition_subalgoE6EtNS0_10empty_typeEbEEZZNS1_14partition_implILS5_6ELb0ES3_mN6thrust23THRUST_200600_302600_NS6detail15normal_iteratorINSA_10device_ptrItEEEEPS6_SG_NS0_5tupleIJNSA_16discard_iteratorINSA_11use_defaultEEES6_EEENSH_IJSG_SG_EEES6_PlJNSB_9not_fun_tINSB_14equal_to_valueItEEEEEEE10hipError_tPvRmT3_T4_T5_T6_T7_T9_mT8_P12ihipStream_tbDpT10_ENKUlT_T0_E_clISt17integral_constantIbLb1EES1B_EEDaS16_S17_EUlS16_E_NS1_11comp_targetILNS1_3genE2ELNS1_11target_archE906ELNS1_3gpuE6ELNS1_3repE0EEENS1_30default_config_static_selectorELNS0_4arch9wavefront6targetE0EEEvT1_.kd
    .uniform_work_group_size: 1
    .uses_dynamic_stack: false
    .vgpr_count:     0
    .vgpr_spill_count: 0
    .wavefront_size: 32
    .workgroup_processor_mode: 1
  - .args:
      - .offset:         0
        .size:           136
        .value_kind:     by_value
    .group_segment_fixed_size: 0
    .kernarg_segment_align: 8
    .kernarg_segment_size: 136
    .language:       OpenCL C
    .language_version:
      - 2
      - 0
    .max_flat_workgroup_size: 384
    .name:           _ZN7rocprim17ROCPRIM_400000_NS6detail17trampoline_kernelINS0_14default_configENS1_25partition_config_selectorILNS1_17partition_subalgoE6EtNS0_10empty_typeEbEEZZNS1_14partition_implILS5_6ELb0ES3_mN6thrust23THRUST_200600_302600_NS6detail15normal_iteratorINSA_10device_ptrItEEEEPS6_SG_NS0_5tupleIJNSA_16discard_iteratorINSA_11use_defaultEEES6_EEENSH_IJSG_SG_EEES6_PlJNSB_9not_fun_tINSB_14equal_to_valueItEEEEEEE10hipError_tPvRmT3_T4_T5_T6_T7_T9_mT8_P12ihipStream_tbDpT10_ENKUlT_T0_E_clISt17integral_constantIbLb1EES1B_EEDaS16_S17_EUlS16_E_NS1_11comp_targetILNS1_3genE10ELNS1_11target_archE1200ELNS1_3gpuE4ELNS1_3repE0EEENS1_30default_config_static_selectorELNS0_4arch9wavefront6targetE0EEEvT1_
    .private_segment_fixed_size: 0
    .sgpr_count:     0
    .sgpr_spill_count: 0
    .symbol:         _ZN7rocprim17ROCPRIM_400000_NS6detail17trampoline_kernelINS0_14default_configENS1_25partition_config_selectorILNS1_17partition_subalgoE6EtNS0_10empty_typeEbEEZZNS1_14partition_implILS5_6ELb0ES3_mN6thrust23THRUST_200600_302600_NS6detail15normal_iteratorINSA_10device_ptrItEEEEPS6_SG_NS0_5tupleIJNSA_16discard_iteratorINSA_11use_defaultEEES6_EEENSH_IJSG_SG_EEES6_PlJNSB_9not_fun_tINSB_14equal_to_valueItEEEEEEE10hipError_tPvRmT3_T4_T5_T6_T7_T9_mT8_P12ihipStream_tbDpT10_ENKUlT_T0_E_clISt17integral_constantIbLb1EES1B_EEDaS16_S17_EUlS16_E_NS1_11comp_targetILNS1_3genE10ELNS1_11target_archE1200ELNS1_3gpuE4ELNS1_3repE0EEENS1_30default_config_static_selectorELNS0_4arch9wavefront6targetE0EEEvT1_.kd
    .uniform_work_group_size: 1
    .uses_dynamic_stack: false
    .vgpr_count:     0
    .vgpr_spill_count: 0
    .wavefront_size: 32
    .workgroup_processor_mode: 1
  - .args:
      - .offset:         0
        .size:           136
        .value_kind:     by_value
    .group_segment_fixed_size: 0
    .kernarg_segment_align: 8
    .kernarg_segment_size: 136
    .language:       OpenCL C
    .language_version:
      - 2
      - 0
    .max_flat_workgroup_size: 128
    .name:           _ZN7rocprim17ROCPRIM_400000_NS6detail17trampoline_kernelINS0_14default_configENS1_25partition_config_selectorILNS1_17partition_subalgoE6EtNS0_10empty_typeEbEEZZNS1_14partition_implILS5_6ELb0ES3_mN6thrust23THRUST_200600_302600_NS6detail15normal_iteratorINSA_10device_ptrItEEEEPS6_SG_NS0_5tupleIJNSA_16discard_iteratorINSA_11use_defaultEEES6_EEENSH_IJSG_SG_EEES6_PlJNSB_9not_fun_tINSB_14equal_to_valueItEEEEEEE10hipError_tPvRmT3_T4_T5_T6_T7_T9_mT8_P12ihipStream_tbDpT10_ENKUlT_T0_E_clISt17integral_constantIbLb1EES1B_EEDaS16_S17_EUlS16_E_NS1_11comp_targetILNS1_3genE9ELNS1_11target_archE1100ELNS1_3gpuE3ELNS1_3repE0EEENS1_30default_config_static_selectorELNS0_4arch9wavefront6targetE0EEEvT1_
    .private_segment_fixed_size: 0
    .sgpr_count:     0
    .sgpr_spill_count: 0
    .symbol:         _ZN7rocprim17ROCPRIM_400000_NS6detail17trampoline_kernelINS0_14default_configENS1_25partition_config_selectorILNS1_17partition_subalgoE6EtNS0_10empty_typeEbEEZZNS1_14partition_implILS5_6ELb0ES3_mN6thrust23THRUST_200600_302600_NS6detail15normal_iteratorINSA_10device_ptrItEEEEPS6_SG_NS0_5tupleIJNSA_16discard_iteratorINSA_11use_defaultEEES6_EEENSH_IJSG_SG_EEES6_PlJNSB_9not_fun_tINSB_14equal_to_valueItEEEEEEE10hipError_tPvRmT3_T4_T5_T6_T7_T9_mT8_P12ihipStream_tbDpT10_ENKUlT_T0_E_clISt17integral_constantIbLb1EES1B_EEDaS16_S17_EUlS16_E_NS1_11comp_targetILNS1_3genE9ELNS1_11target_archE1100ELNS1_3gpuE3ELNS1_3repE0EEENS1_30default_config_static_selectorELNS0_4arch9wavefront6targetE0EEEvT1_.kd
    .uniform_work_group_size: 1
    .uses_dynamic_stack: false
    .vgpr_count:     0
    .vgpr_spill_count: 0
    .wavefront_size: 32
    .workgroup_processor_mode: 1
  - .args:
      - .offset:         0
        .size:           136
        .value_kind:     by_value
    .group_segment_fixed_size: 0
    .kernarg_segment_align: 8
    .kernarg_segment_size: 136
    .language:       OpenCL C
    .language_version:
      - 2
      - 0
    .max_flat_workgroup_size: 256
    .name:           _ZN7rocprim17ROCPRIM_400000_NS6detail17trampoline_kernelINS0_14default_configENS1_25partition_config_selectorILNS1_17partition_subalgoE6EtNS0_10empty_typeEbEEZZNS1_14partition_implILS5_6ELb0ES3_mN6thrust23THRUST_200600_302600_NS6detail15normal_iteratorINSA_10device_ptrItEEEEPS6_SG_NS0_5tupleIJNSA_16discard_iteratorINSA_11use_defaultEEES6_EEENSH_IJSG_SG_EEES6_PlJNSB_9not_fun_tINSB_14equal_to_valueItEEEEEEE10hipError_tPvRmT3_T4_T5_T6_T7_T9_mT8_P12ihipStream_tbDpT10_ENKUlT_T0_E_clISt17integral_constantIbLb1EES1B_EEDaS16_S17_EUlS16_E_NS1_11comp_targetILNS1_3genE8ELNS1_11target_archE1030ELNS1_3gpuE2ELNS1_3repE0EEENS1_30default_config_static_selectorELNS0_4arch9wavefront6targetE0EEEvT1_
    .private_segment_fixed_size: 0
    .sgpr_count:     0
    .sgpr_spill_count: 0
    .symbol:         _ZN7rocprim17ROCPRIM_400000_NS6detail17trampoline_kernelINS0_14default_configENS1_25partition_config_selectorILNS1_17partition_subalgoE6EtNS0_10empty_typeEbEEZZNS1_14partition_implILS5_6ELb0ES3_mN6thrust23THRUST_200600_302600_NS6detail15normal_iteratorINSA_10device_ptrItEEEEPS6_SG_NS0_5tupleIJNSA_16discard_iteratorINSA_11use_defaultEEES6_EEENSH_IJSG_SG_EEES6_PlJNSB_9not_fun_tINSB_14equal_to_valueItEEEEEEE10hipError_tPvRmT3_T4_T5_T6_T7_T9_mT8_P12ihipStream_tbDpT10_ENKUlT_T0_E_clISt17integral_constantIbLb1EES1B_EEDaS16_S17_EUlS16_E_NS1_11comp_targetILNS1_3genE8ELNS1_11target_archE1030ELNS1_3gpuE2ELNS1_3repE0EEENS1_30default_config_static_selectorELNS0_4arch9wavefront6targetE0EEEvT1_.kd
    .uniform_work_group_size: 1
    .uses_dynamic_stack: false
    .vgpr_count:     0
    .vgpr_spill_count: 0
    .wavefront_size: 32
    .workgroup_processor_mode: 1
  - .args:
      - .offset:         0
        .size:           120
        .value_kind:     by_value
    .group_segment_fixed_size: 0
    .kernarg_segment_align: 8
    .kernarg_segment_size: 120
    .language:       OpenCL C
    .language_version:
      - 2
      - 0
    .max_flat_workgroup_size: 256
    .name:           _ZN7rocprim17ROCPRIM_400000_NS6detail17trampoline_kernelINS0_14default_configENS1_25partition_config_selectorILNS1_17partition_subalgoE6EtNS0_10empty_typeEbEEZZNS1_14partition_implILS5_6ELb0ES3_mN6thrust23THRUST_200600_302600_NS6detail15normal_iteratorINSA_10device_ptrItEEEEPS6_SG_NS0_5tupleIJNSA_16discard_iteratorINSA_11use_defaultEEES6_EEENSH_IJSG_SG_EEES6_PlJNSB_9not_fun_tINSB_14equal_to_valueItEEEEEEE10hipError_tPvRmT3_T4_T5_T6_T7_T9_mT8_P12ihipStream_tbDpT10_ENKUlT_T0_E_clISt17integral_constantIbLb1EES1A_IbLb0EEEEDaS16_S17_EUlS16_E_NS1_11comp_targetILNS1_3genE0ELNS1_11target_archE4294967295ELNS1_3gpuE0ELNS1_3repE0EEENS1_30default_config_static_selectorELNS0_4arch9wavefront6targetE0EEEvT1_
    .private_segment_fixed_size: 0
    .sgpr_count:     0
    .sgpr_spill_count: 0
    .symbol:         _ZN7rocprim17ROCPRIM_400000_NS6detail17trampoline_kernelINS0_14default_configENS1_25partition_config_selectorILNS1_17partition_subalgoE6EtNS0_10empty_typeEbEEZZNS1_14partition_implILS5_6ELb0ES3_mN6thrust23THRUST_200600_302600_NS6detail15normal_iteratorINSA_10device_ptrItEEEEPS6_SG_NS0_5tupleIJNSA_16discard_iteratorINSA_11use_defaultEEES6_EEENSH_IJSG_SG_EEES6_PlJNSB_9not_fun_tINSB_14equal_to_valueItEEEEEEE10hipError_tPvRmT3_T4_T5_T6_T7_T9_mT8_P12ihipStream_tbDpT10_ENKUlT_T0_E_clISt17integral_constantIbLb1EES1A_IbLb0EEEEDaS16_S17_EUlS16_E_NS1_11comp_targetILNS1_3genE0ELNS1_11target_archE4294967295ELNS1_3gpuE0ELNS1_3repE0EEENS1_30default_config_static_selectorELNS0_4arch9wavefront6targetE0EEEvT1_.kd
    .uniform_work_group_size: 1
    .uses_dynamic_stack: false
    .vgpr_count:     0
    .vgpr_spill_count: 0
    .wavefront_size: 32
    .workgroup_processor_mode: 1
  - .args:
      - .offset:         0
        .size:           120
        .value_kind:     by_value
    .group_segment_fixed_size: 0
    .kernarg_segment_align: 8
    .kernarg_segment_size: 120
    .language:       OpenCL C
    .language_version:
      - 2
      - 0
    .max_flat_workgroup_size: 512
    .name:           _ZN7rocprim17ROCPRIM_400000_NS6detail17trampoline_kernelINS0_14default_configENS1_25partition_config_selectorILNS1_17partition_subalgoE6EtNS0_10empty_typeEbEEZZNS1_14partition_implILS5_6ELb0ES3_mN6thrust23THRUST_200600_302600_NS6detail15normal_iteratorINSA_10device_ptrItEEEEPS6_SG_NS0_5tupleIJNSA_16discard_iteratorINSA_11use_defaultEEES6_EEENSH_IJSG_SG_EEES6_PlJNSB_9not_fun_tINSB_14equal_to_valueItEEEEEEE10hipError_tPvRmT3_T4_T5_T6_T7_T9_mT8_P12ihipStream_tbDpT10_ENKUlT_T0_E_clISt17integral_constantIbLb1EES1A_IbLb0EEEEDaS16_S17_EUlS16_E_NS1_11comp_targetILNS1_3genE5ELNS1_11target_archE942ELNS1_3gpuE9ELNS1_3repE0EEENS1_30default_config_static_selectorELNS0_4arch9wavefront6targetE0EEEvT1_
    .private_segment_fixed_size: 0
    .sgpr_count:     0
    .sgpr_spill_count: 0
    .symbol:         _ZN7rocprim17ROCPRIM_400000_NS6detail17trampoline_kernelINS0_14default_configENS1_25partition_config_selectorILNS1_17partition_subalgoE6EtNS0_10empty_typeEbEEZZNS1_14partition_implILS5_6ELb0ES3_mN6thrust23THRUST_200600_302600_NS6detail15normal_iteratorINSA_10device_ptrItEEEEPS6_SG_NS0_5tupleIJNSA_16discard_iteratorINSA_11use_defaultEEES6_EEENSH_IJSG_SG_EEES6_PlJNSB_9not_fun_tINSB_14equal_to_valueItEEEEEEE10hipError_tPvRmT3_T4_T5_T6_T7_T9_mT8_P12ihipStream_tbDpT10_ENKUlT_T0_E_clISt17integral_constantIbLb1EES1A_IbLb0EEEEDaS16_S17_EUlS16_E_NS1_11comp_targetILNS1_3genE5ELNS1_11target_archE942ELNS1_3gpuE9ELNS1_3repE0EEENS1_30default_config_static_selectorELNS0_4arch9wavefront6targetE0EEEvT1_.kd
    .uniform_work_group_size: 1
    .uses_dynamic_stack: false
    .vgpr_count:     0
    .vgpr_spill_count: 0
    .wavefront_size: 32
    .workgroup_processor_mode: 1
  - .args:
      - .offset:         0
        .size:           120
        .value_kind:     by_value
    .group_segment_fixed_size: 0
    .kernarg_segment_align: 8
    .kernarg_segment_size: 120
    .language:       OpenCL C
    .language_version:
      - 2
      - 0
    .max_flat_workgroup_size: 256
    .name:           _ZN7rocprim17ROCPRIM_400000_NS6detail17trampoline_kernelINS0_14default_configENS1_25partition_config_selectorILNS1_17partition_subalgoE6EtNS0_10empty_typeEbEEZZNS1_14partition_implILS5_6ELb0ES3_mN6thrust23THRUST_200600_302600_NS6detail15normal_iteratorINSA_10device_ptrItEEEEPS6_SG_NS0_5tupleIJNSA_16discard_iteratorINSA_11use_defaultEEES6_EEENSH_IJSG_SG_EEES6_PlJNSB_9not_fun_tINSB_14equal_to_valueItEEEEEEE10hipError_tPvRmT3_T4_T5_T6_T7_T9_mT8_P12ihipStream_tbDpT10_ENKUlT_T0_E_clISt17integral_constantIbLb1EES1A_IbLb0EEEEDaS16_S17_EUlS16_E_NS1_11comp_targetILNS1_3genE4ELNS1_11target_archE910ELNS1_3gpuE8ELNS1_3repE0EEENS1_30default_config_static_selectorELNS0_4arch9wavefront6targetE0EEEvT1_
    .private_segment_fixed_size: 0
    .sgpr_count:     0
    .sgpr_spill_count: 0
    .symbol:         _ZN7rocprim17ROCPRIM_400000_NS6detail17trampoline_kernelINS0_14default_configENS1_25partition_config_selectorILNS1_17partition_subalgoE6EtNS0_10empty_typeEbEEZZNS1_14partition_implILS5_6ELb0ES3_mN6thrust23THRUST_200600_302600_NS6detail15normal_iteratorINSA_10device_ptrItEEEEPS6_SG_NS0_5tupleIJNSA_16discard_iteratorINSA_11use_defaultEEES6_EEENSH_IJSG_SG_EEES6_PlJNSB_9not_fun_tINSB_14equal_to_valueItEEEEEEE10hipError_tPvRmT3_T4_T5_T6_T7_T9_mT8_P12ihipStream_tbDpT10_ENKUlT_T0_E_clISt17integral_constantIbLb1EES1A_IbLb0EEEEDaS16_S17_EUlS16_E_NS1_11comp_targetILNS1_3genE4ELNS1_11target_archE910ELNS1_3gpuE8ELNS1_3repE0EEENS1_30default_config_static_selectorELNS0_4arch9wavefront6targetE0EEEvT1_.kd
    .uniform_work_group_size: 1
    .uses_dynamic_stack: false
    .vgpr_count:     0
    .vgpr_spill_count: 0
    .wavefront_size: 32
    .workgroup_processor_mode: 1
  - .args:
      - .offset:         0
        .size:           120
        .value_kind:     by_value
    .group_segment_fixed_size: 0
    .kernarg_segment_align: 8
    .kernarg_segment_size: 120
    .language:       OpenCL C
    .language_version:
      - 2
      - 0
    .max_flat_workgroup_size: 256
    .name:           _ZN7rocprim17ROCPRIM_400000_NS6detail17trampoline_kernelINS0_14default_configENS1_25partition_config_selectorILNS1_17partition_subalgoE6EtNS0_10empty_typeEbEEZZNS1_14partition_implILS5_6ELb0ES3_mN6thrust23THRUST_200600_302600_NS6detail15normal_iteratorINSA_10device_ptrItEEEEPS6_SG_NS0_5tupleIJNSA_16discard_iteratorINSA_11use_defaultEEES6_EEENSH_IJSG_SG_EEES6_PlJNSB_9not_fun_tINSB_14equal_to_valueItEEEEEEE10hipError_tPvRmT3_T4_T5_T6_T7_T9_mT8_P12ihipStream_tbDpT10_ENKUlT_T0_E_clISt17integral_constantIbLb1EES1A_IbLb0EEEEDaS16_S17_EUlS16_E_NS1_11comp_targetILNS1_3genE3ELNS1_11target_archE908ELNS1_3gpuE7ELNS1_3repE0EEENS1_30default_config_static_selectorELNS0_4arch9wavefront6targetE0EEEvT1_
    .private_segment_fixed_size: 0
    .sgpr_count:     0
    .sgpr_spill_count: 0
    .symbol:         _ZN7rocprim17ROCPRIM_400000_NS6detail17trampoline_kernelINS0_14default_configENS1_25partition_config_selectorILNS1_17partition_subalgoE6EtNS0_10empty_typeEbEEZZNS1_14partition_implILS5_6ELb0ES3_mN6thrust23THRUST_200600_302600_NS6detail15normal_iteratorINSA_10device_ptrItEEEEPS6_SG_NS0_5tupleIJNSA_16discard_iteratorINSA_11use_defaultEEES6_EEENSH_IJSG_SG_EEES6_PlJNSB_9not_fun_tINSB_14equal_to_valueItEEEEEEE10hipError_tPvRmT3_T4_T5_T6_T7_T9_mT8_P12ihipStream_tbDpT10_ENKUlT_T0_E_clISt17integral_constantIbLb1EES1A_IbLb0EEEEDaS16_S17_EUlS16_E_NS1_11comp_targetILNS1_3genE3ELNS1_11target_archE908ELNS1_3gpuE7ELNS1_3repE0EEENS1_30default_config_static_selectorELNS0_4arch9wavefront6targetE0EEEvT1_.kd
    .uniform_work_group_size: 1
    .uses_dynamic_stack: false
    .vgpr_count:     0
    .vgpr_spill_count: 0
    .wavefront_size: 32
    .workgroup_processor_mode: 1
  - .args:
      - .offset:         0
        .size:           120
        .value_kind:     by_value
    .group_segment_fixed_size: 0
    .kernarg_segment_align: 8
    .kernarg_segment_size: 120
    .language:       OpenCL C
    .language_version:
      - 2
      - 0
    .max_flat_workgroup_size: 256
    .name:           _ZN7rocprim17ROCPRIM_400000_NS6detail17trampoline_kernelINS0_14default_configENS1_25partition_config_selectorILNS1_17partition_subalgoE6EtNS0_10empty_typeEbEEZZNS1_14partition_implILS5_6ELb0ES3_mN6thrust23THRUST_200600_302600_NS6detail15normal_iteratorINSA_10device_ptrItEEEEPS6_SG_NS0_5tupleIJNSA_16discard_iteratorINSA_11use_defaultEEES6_EEENSH_IJSG_SG_EEES6_PlJNSB_9not_fun_tINSB_14equal_to_valueItEEEEEEE10hipError_tPvRmT3_T4_T5_T6_T7_T9_mT8_P12ihipStream_tbDpT10_ENKUlT_T0_E_clISt17integral_constantIbLb1EES1A_IbLb0EEEEDaS16_S17_EUlS16_E_NS1_11comp_targetILNS1_3genE2ELNS1_11target_archE906ELNS1_3gpuE6ELNS1_3repE0EEENS1_30default_config_static_selectorELNS0_4arch9wavefront6targetE0EEEvT1_
    .private_segment_fixed_size: 0
    .sgpr_count:     0
    .sgpr_spill_count: 0
    .symbol:         _ZN7rocprim17ROCPRIM_400000_NS6detail17trampoline_kernelINS0_14default_configENS1_25partition_config_selectorILNS1_17partition_subalgoE6EtNS0_10empty_typeEbEEZZNS1_14partition_implILS5_6ELb0ES3_mN6thrust23THRUST_200600_302600_NS6detail15normal_iteratorINSA_10device_ptrItEEEEPS6_SG_NS0_5tupleIJNSA_16discard_iteratorINSA_11use_defaultEEES6_EEENSH_IJSG_SG_EEES6_PlJNSB_9not_fun_tINSB_14equal_to_valueItEEEEEEE10hipError_tPvRmT3_T4_T5_T6_T7_T9_mT8_P12ihipStream_tbDpT10_ENKUlT_T0_E_clISt17integral_constantIbLb1EES1A_IbLb0EEEEDaS16_S17_EUlS16_E_NS1_11comp_targetILNS1_3genE2ELNS1_11target_archE906ELNS1_3gpuE6ELNS1_3repE0EEENS1_30default_config_static_selectorELNS0_4arch9wavefront6targetE0EEEvT1_.kd
    .uniform_work_group_size: 1
    .uses_dynamic_stack: false
    .vgpr_count:     0
    .vgpr_spill_count: 0
    .wavefront_size: 32
    .workgroup_processor_mode: 1
  - .args:
      - .offset:         0
        .size:           120
        .value_kind:     by_value
    .group_segment_fixed_size: 0
    .kernarg_segment_align: 8
    .kernarg_segment_size: 120
    .language:       OpenCL C
    .language_version:
      - 2
      - 0
    .max_flat_workgroup_size: 384
    .name:           _ZN7rocprim17ROCPRIM_400000_NS6detail17trampoline_kernelINS0_14default_configENS1_25partition_config_selectorILNS1_17partition_subalgoE6EtNS0_10empty_typeEbEEZZNS1_14partition_implILS5_6ELb0ES3_mN6thrust23THRUST_200600_302600_NS6detail15normal_iteratorINSA_10device_ptrItEEEEPS6_SG_NS0_5tupleIJNSA_16discard_iteratorINSA_11use_defaultEEES6_EEENSH_IJSG_SG_EEES6_PlJNSB_9not_fun_tINSB_14equal_to_valueItEEEEEEE10hipError_tPvRmT3_T4_T5_T6_T7_T9_mT8_P12ihipStream_tbDpT10_ENKUlT_T0_E_clISt17integral_constantIbLb1EES1A_IbLb0EEEEDaS16_S17_EUlS16_E_NS1_11comp_targetILNS1_3genE10ELNS1_11target_archE1200ELNS1_3gpuE4ELNS1_3repE0EEENS1_30default_config_static_selectorELNS0_4arch9wavefront6targetE0EEEvT1_
    .private_segment_fixed_size: 0
    .sgpr_count:     0
    .sgpr_spill_count: 0
    .symbol:         _ZN7rocprim17ROCPRIM_400000_NS6detail17trampoline_kernelINS0_14default_configENS1_25partition_config_selectorILNS1_17partition_subalgoE6EtNS0_10empty_typeEbEEZZNS1_14partition_implILS5_6ELb0ES3_mN6thrust23THRUST_200600_302600_NS6detail15normal_iteratorINSA_10device_ptrItEEEEPS6_SG_NS0_5tupleIJNSA_16discard_iteratorINSA_11use_defaultEEES6_EEENSH_IJSG_SG_EEES6_PlJNSB_9not_fun_tINSB_14equal_to_valueItEEEEEEE10hipError_tPvRmT3_T4_T5_T6_T7_T9_mT8_P12ihipStream_tbDpT10_ENKUlT_T0_E_clISt17integral_constantIbLb1EES1A_IbLb0EEEEDaS16_S17_EUlS16_E_NS1_11comp_targetILNS1_3genE10ELNS1_11target_archE1200ELNS1_3gpuE4ELNS1_3repE0EEENS1_30default_config_static_selectorELNS0_4arch9wavefront6targetE0EEEvT1_.kd
    .uniform_work_group_size: 1
    .uses_dynamic_stack: false
    .vgpr_count:     0
    .vgpr_spill_count: 0
    .wavefront_size: 32
    .workgroup_processor_mode: 1
  - .args:
      - .offset:         0
        .size:           120
        .value_kind:     by_value
    .group_segment_fixed_size: 0
    .kernarg_segment_align: 8
    .kernarg_segment_size: 120
    .language:       OpenCL C
    .language_version:
      - 2
      - 0
    .max_flat_workgroup_size: 128
    .name:           _ZN7rocprim17ROCPRIM_400000_NS6detail17trampoline_kernelINS0_14default_configENS1_25partition_config_selectorILNS1_17partition_subalgoE6EtNS0_10empty_typeEbEEZZNS1_14partition_implILS5_6ELb0ES3_mN6thrust23THRUST_200600_302600_NS6detail15normal_iteratorINSA_10device_ptrItEEEEPS6_SG_NS0_5tupleIJNSA_16discard_iteratorINSA_11use_defaultEEES6_EEENSH_IJSG_SG_EEES6_PlJNSB_9not_fun_tINSB_14equal_to_valueItEEEEEEE10hipError_tPvRmT3_T4_T5_T6_T7_T9_mT8_P12ihipStream_tbDpT10_ENKUlT_T0_E_clISt17integral_constantIbLb1EES1A_IbLb0EEEEDaS16_S17_EUlS16_E_NS1_11comp_targetILNS1_3genE9ELNS1_11target_archE1100ELNS1_3gpuE3ELNS1_3repE0EEENS1_30default_config_static_selectorELNS0_4arch9wavefront6targetE0EEEvT1_
    .private_segment_fixed_size: 0
    .sgpr_count:     0
    .sgpr_spill_count: 0
    .symbol:         _ZN7rocprim17ROCPRIM_400000_NS6detail17trampoline_kernelINS0_14default_configENS1_25partition_config_selectorILNS1_17partition_subalgoE6EtNS0_10empty_typeEbEEZZNS1_14partition_implILS5_6ELb0ES3_mN6thrust23THRUST_200600_302600_NS6detail15normal_iteratorINSA_10device_ptrItEEEEPS6_SG_NS0_5tupleIJNSA_16discard_iteratorINSA_11use_defaultEEES6_EEENSH_IJSG_SG_EEES6_PlJNSB_9not_fun_tINSB_14equal_to_valueItEEEEEEE10hipError_tPvRmT3_T4_T5_T6_T7_T9_mT8_P12ihipStream_tbDpT10_ENKUlT_T0_E_clISt17integral_constantIbLb1EES1A_IbLb0EEEEDaS16_S17_EUlS16_E_NS1_11comp_targetILNS1_3genE9ELNS1_11target_archE1100ELNS1_3gpuE3ELNS1_3repE0EEENS1_30default_config_static_selectorELNS0_4arch9wavefront6targetE0EEEvT1_.kd
    .uniform_work_group_size: 1
    .uses_dynamic_stack: false
    .vgpr_count:     0
    .vgpr_spill_count: 0
    .wavefront_size: 32
    .workgroup_processor_mode: 1
  - .args:
      - .offset:         0
        .size:           120
        .value_kind:     by_value
    .group_segment_fixed_size: 0
    .kernarg_segment_align: 8
    .kernarg_segment_size: 120
    .language:       OpenCL C
    .language_version:
      - 2
      - 0
    .max_flat_workgroup_size: 256
    .name:           _ZN7rocprim17ROCPRIM_400000_NS6detail17trampoline_kernelINS0_14default_configENS1_25partition_config_selectorILNS1_17partition_subalgoE6EtNS0_10empty_typeEbEEZZNS1_14partition_implILS5_6ELb0ES3_mN6thrust23THRUST_200600_302600_NS6detail15normal_iteratorINSA_10device_ptrItEEEEPS6_SG_NS0_5tupleIJNSA_16discard_iteratorINSA_11use_defaultEEES6_EEENSH_IJSG_SG_EEES6_PlJNSB_9not_fun_tINSB_14equal_to_valueItEEEEEEE10hipError_tPvRmT3_T4_T5_T6_T7_T9_mT8_P12ihipStream_tbDpT10_ENKUlT_T0_E_clISt17integral_constantIbLb1EES1A_IbLb0EEEEDaS16_S17_EUlS16_E_NS1_11comp_targetILNS1_3genE8ELNS1_11target_archE1030ELNS1_3gpuE2ELNS1_3repE0EEENS1_30default_config_static_selectorELNS0_4arch9wavefront6targetE0EEEvT1_
    .private_segment_fixed_size: 0
    .sgpr_count:     0
    .sgpr_spill_count: 0
    .symbol:         _ZN7rocprim17ROCPRIM_400000_NS6detail17trampoline_kernelINS0_14default_configENS1_25partition_config_selectorILNS1_17partition_subalgoE6EtNS0_10empty_typeEbEEZZNS1_14partition_implILS5_6ELb0ES3_mN6thrust23THRUST_200600_302600_NS6detail15normal_iteratorINSA_10device_ptrItEEEEPS6_SG_NS0_5tupleIJNSA_16discard_iteratorINSA_11use_defaultEEES6_EEENSH_IJSG_SG_EEES6_PlJNSB_9not_fun_tINSB_14equal_to_valueItEEEEEEE10hipError_tPvRmT3_T4_T5_T6_T7_T9_mT8_P12ihipStream_tbDpT10_ENKUlT_T0_E_clISt17integral_constantIbLb1EES1A_IbLb0EEEEDaS16_S17_EUlS16_E_NS1_11comp_targetILNS1_3genE8ELNS1_11target_archE1030ELNS1_3gpuE2ELNS1_3repE0EEENS1_30default_config_static_selectorELNS0_4arch9wavefront6targetE0EEEvT1_.kd
    .uniform_work_group_size: 1
    .uses_dynamic_stack: false
    .vgpr_count:     0
    .vgpr_spill_count: 0
    .wavefront_size: 32
    .workgroup_processor_mode: 1
  - .args:
      - .offset:         0
        .size:           136
        .value_kind:     by_value
    .group_segment_fixed_size: 0
    .kernarg_segment_align: 8
    .kernarg_segment_size: 136
    .language:       OpenCL C
    .language_version:
      - 2
      - 0
    .max_flat_workgroup_size: 256
    .name:           _ZN7rocprim17ROCPRIM_400000_NS6detail17trampoline_kernelINS0_14default_configENS1_25partition_config_selectorILNS1_17partition_subalgoE6EtNS0_10empty_typeEbEEZZNS1_14partition_implILS5_6ELb0ES3_mN6thrust23THRUST_200600_302600_NS6detail15normal_iteratorINSA_10device_ptrItEEEEPS6_SG_NS0_5tupleIJNSA_16discard_iteratorINSA_11use_defaultEEES6_EEENSH_IJSG_SG_EEES6_PlJNSB_9not_fun_tINSB_14equal_to_valueItEEEEEEE10hipError_tPvRmT3_T4_T5_T6_T7_T9_mT8_P12ihipStream_tbDpT10_ENKUlT_T0_E_clISt17integral_constantIbLb0EES1A_IbLb1EEEEDaS16_S17_EUlS16_E_NS1_11comp_targetILNS1_3genE0ELNS1_11target_archE4294967295ELNS1_3gpuE0ELNS1_3repE0EEENS1_30default_config_static_selectorELNS0_4arch9wavefront6targetE0EEEvT1_
    .private_segment_fixed_size: 0
    .sgpr_count:     0
    .sgpr_spill_count: 0
    .symbol:         _ZN7rocprim17ROCPRIM_400000_NS6detail17trampoline_kernelINS0_14default_configENS1_25partition_config_selectorILNS1_17partition_subalgoE6EtNS0_10empty_typeEbEEZZNS1_14partition_implILS5_6ELb0ES3_mN6thrust23THRUST_200600_302600_NS6detail15normal_iteratorINSA_10device_ptrItEEEEPS6_SG_NS0_5tupleIJNSA_16discard_iteratorINSA_11use_defaultEEES6_EEENSH_IJSG_SG_EEES6_PlJNSB_9not_fun_tINSB_14equal_to_valueItEEEEEEE10hipError_tPvRmT3_T4_T5_T6_T7_T9_mT8_P12ihipStream_tbDpT10_ENKUlT_T0_E_clISt17integral_constantIbLb0EES1A_IbLb1EEEEDaS16_S17_EUlS16_E_NS1_11comp_targetILNS1_3genE0ELNS1_11target_archE4294967295ELNS1_3gpuE0ELNS1_3repE0EEENS1_30default_config_static_selectorELNS0_4arch9wavefront6targetE0EEEvT1_.kd
    .uniform_work_group_size: 1
    .uses_dynamic_stack: false
    .vgpr_count:     0
    .vgpr_spill_count: 0
    .wavefront_size: 32
    .workgroup_processor_mode: 1
  - .args:
      - .offset:         0
        .size:           136
        .value_kind:     by_value
    .group_segment_fixed_size: 0
    .kernarg_segment_align: 8
    .kernarg_segment_size: 136
    .language:       OpenCL C
    .language_version:
      - 2
      - 0
    .max_flat_workgroup_size: 512
    .name:           _ZN7rocprim17ROCPRIM_400000_NS6detail17trampoline_kernelINS0_14default_configENS1_25partition_config_selectorILNS1_17partition_subalgoE6EtNS0_10empty_typeEbEEZZNS1_14partition_implILS5_6ELb0ES3_mN6thrust23THRUST_200600_302600_NS6detail15normal_iteratorINSA_10device_ptrItEEEEPS6_SG_NS0_5tupleIJNSA_16discard_iteratorINSA_11use_defaultEEES6_EEENSH_IJSG_SG_EEES6_PlJNSB_9not_fun_tINSB_14equal_to_valueItEEEEEEE10hipError_tPvRmT3_T4_T5_T6_T7_T9_mT8_P12ihipStream_tbDpT10_ENKUlT_T0_E_clISt17integral_constantIbLb0EES1A_IbLb1EEEEDaS16_S17_EUlS16_E_NS1_11comp_targetILNS1_3genE5ELNS1_11target_archE942ELNS1_3gpuE9ELNS1_3repE0EEENS1_30default_config_static_selectorELNS0_4arch9wavefront6targetE0EEEvT1_
    .private_segment_fixed_size: 0
    .sgpr_count:     0
    .sgpr_spill_count: 0
    .symbol:         _ZN7rocprim17ROCPRIM_400000_NS6detail17trampoline_kernelINS0_14default_configENS1_25partition_config_selectorILNS1_17partition_subalgoE6EtNS0_10empty_typeEbEEZZNS1_14partition_implILS5_6ELb0ES3_mN6thrust23THRUST_200600_302600_NS6detail15normal_iteratorINSA_10device_ptrItEEEEPS6_SG_NS0_5tupleIJNSA_16discard_iteratorINSA_11use_defaultEEES6_EEENSH_IJSG_SG_EEES6_PlJNSB_9not_fun_tINSB_14equal_to_valueItEEEEEEE10hipError_tPvRmT3_T4_T5_T6_T7_T9_mT8_P12ihipStream_tbDpT10_ENKUlT_T0_E_clISt17integral_constantIbLb0EES1A_IbLb1EEEEDaS16_S17_EUlS16_E_NS1_11comp_targetILNS1_3genE5ELNS1_11target_archE942ELNS1_3gpuE9ELNS1_3repE0EEENS1_30default_config_static_selectorELNS0_4arch9wavefront6targetE0EEEvT1_.kd
    .uniform_work_group_size: 1
    .uses_dynamic_stack: false
    .vgpr_count:     0
    .vgpr_spill_count: 0
    .wavefront_size: 32
    .workgroup_processor_mode: 1
  - .args:
      - .offset:         0
        .size:           136
        .value_kind:     by_value
    .group_segment_fixed_size: 0
    .kernarg_segment_align: 8
    .kernarg_segment_size: 136
    .language:       OpenCL C
    .language_version:
      - 2
      - 0
    .max_flat_workgroup_size: 256
    .name:           _ZN7rocprim17ROCPRIM_400000_NS6detail17trampoline_kernelINS0_14default_configENS1_25partition_config_selectorILNS1_17partition_subalgoE6EtNS0_10empty_typeEbEEZZNS1_14partition_implILS5_6ELb0ES3_mN6thrust23THRUST_200600_302600_NS6detail15normal_iteratorINSA_10device_ptrItEEEEPS6_SG_NS0_5tupleIJNSA_16discard_iteratorINSA_11use_defaultEEES6_EEENSH_IJSG_SG_EEES6_PlJNSB_9not_fun_tINSB_14equal_to_valueItEEEEEEE10hipError_tPvRmT3_T4_T5_T6_T7_T9_mT8_P12ihipStream_tbDpT10_ENKUlT_T0_E_clISt17integral_constantIbLb0EES1A_IbLb1EEEEDaS16_S17_EUlS16_E_NS1_11comp_targetILNS1_3genE4ELNS1_11target_archE910ELNS1_3gpuE8ELNS1_3repE0EEENS1_30default_config_static_selectorELNS0_4arch9wavefront6targetE0EEEvT1_
    .private_segment_fixed_size: 0
    .sgpr_count:     0
    .sgpr_spill_count: 0
    .symbol:         _ZN7rocprim17ROCPRIM_400000_NS6detail17trampoline_kernelINS0_14default_configENS1_25partition_config_selectorILNS1_17partition_subalgoE6EtNS0_10empty_typeEbEEZZNS1_14partition_implILS5_6ELb0ES3_mN6thrust23THRUST_200600_302600_NS6detail15normal_iteratorINSA_10device_ptrItEEEEPS6_SG_NS0_5tupleIJNSA_16discard_iteratorINSA_11use_defaultEEES6_EEENSH_IJSG_SG_EEES6_PlJNSB_9not_fun_tINSB_14equal_to_valueItEEEEEEE10hipError_tPvRmT3_T4_T5_T6_T7_T9_mT8_P12ihipStream_tbDpT10_ENKUlT_T0_E_clISt17integral_constantIbLb0EES1A_IbLb1EEEEDaS16_S17_EUlS16_E_NS1_11comp_targetILNS1_3genE4ELNS1_11target_archE910ELNS1_3gpuE8ELNS1_3repE0EEENS1_30default_config_static_selectorELNS0_4arch9wavefront6targetE0EEEvT1_.kd
    .uniform_work_group_size: 1
    .uses_dynamic_stack: false
    .vgpr_count:     0
    .vgpr_spill_count: 0
    .wavefront_size: 32
    .workgroup_processor_mode: 1
  - .args:
      - .offset:         0
        .size:           136
        .value_kind:     by_value
    .group_segment_fixed_size: 0
    .kernarg_segment_align: 8
    .kernarg_segment_size: 136
    .language:       OpenCL C
    .language_version:
      - 2
      - 0
    .max_flat_workgroup_size: 256
    .name:           _ZN7rocprim17ROCPRIM_400000_NS6detail17trampoline_kernelINS0_14default_configENS1_25partition_config_selectorILNS1_17partition_subalgoE6EtNS0_10empty_typeEbEEZZNS1_14partition_implILS5_6ELb0ES3_mN6thrust23THRUST_200600_302600_NS6detail15normal_iteratorINSA_10device_ptrItEEEEPS6_SG_NS0_5tupleIJNSA_16discard_iteratorINSA_11use_defaultEEES6_EEENSH_IJSG_SG_EEES6_PlJNSB_9not_fun_tINSB_14equal_to_valueItEEEEEEE10hipError_tPvRmT3_T4_T5_T6_T7_T9_mT8_P12ihipStream_tbDpT10_ENKUlT_T0_E_clISt17integral_constantIbLb0EES1A_IbLb1EEEEDaS16_S17_EUlS16_E_NS1_11comp_targetILNS1_3genE3ELNS1_11target_archE908ELNS1_3gpuE7ELNS1_3repE0EEENS1_30default_config_static_selectorELNS0_4arch9wavefront6targetE0EEEvT1_
    .private_segment_fixed_size: 0
    .sgpr_count:     0
    .sgpr_spill_count: 0
    .symbol:         _ZN7rocprim17ROCPRIM_400000_NS6detail17trampoline_kernelINS0_14default_configENS1_25partition_config_selectorILNS1_17partition_subalgoE6EtNS0_10empty_typeEbEEZZNS1_14partition_implILS5_6ELb0ES3_mN6thrust23THRUST_200600_302600_NS6detail15normal_iteratorINSA_10device_ptrItEEEEPS6_SG_NS0_5tupleIJNSA_16discard_iteratorINSA_11use_defaultEEES6_EEENSH_IJSG_SG_EEES6_PlJNSB_9not_fun_tINSB_14equal_to_valueItEEEEEEE10hipError_tPvRmT3_T4_T5_T6_T7_T9_mT8_P12ihipStream_tbDpT10_ENKUlT_T0_E_clISt17integral_constantIbLb0EES1A_IbLb1EEEEDaS16_S17_EUlS16_E_NS1_11comp_targetILNS1_3genE3ELNS1_11target_archE908ELNS1_3gpuE7ELNS1_3repE0EEENS1_30default_config_static_selectorELNS0_4arch9wavefront6targetE0EEEvT1_.kd
    .uniform_work_group_size: 1
    .uses_dynamic_stack: false
    .vgpr_count:     0
    .vgpr_spill_count: 0
    .wavefront_size: 32
    .workgroup_processor_mode: 1
  - .args:
      - .offset:         0
        .size:           136
        .value_kind:     by_value
    .group_segment_fixed_size: 0
    .kernarg_segment_align: 8
    .kernarg_segment_size: 136
    .language:       OpenCL C
    .language_version:
      - 2
      - 0
    .max_flat_workgroup_size: 256
    .name:           _ZN7rocprim17ROCPRIM_400000_NS6detail17trampoline_kernelINS0_14default_configENS1_25partition_config_selectorILNS1_17partition_subalgoE6EtNS0_10empty_typeEbEEZZNS1_14partition_implILS5_6ELb0ES3_mN6thrust23THRUST_200600_302600_NS6detail15normal_iteratorINSA_10device_ptrItEEEEPS6_SG_NS0_5tupleIJNSA_16discard_iteratorINSA_11use_defaultEEES6_EEENSH_IJSG_SG_EEES6_PlJNSB_9not_fun_tINSB_14equal_to_valueItEEEEEEE10hipError_tPvRmT3_T4_T5_T6_T7_T9_mT8_P12ihipStream_tbDpT10_ENKUlT_T0_E_clISt17integral_constantIbLb0EES1A_IbLb1EEEEDaS16_S17_EUlS16_E_NS1_11comp_targetILNS1_3genE2ELNS1_11target_archE906ELNS1_3gpuE6ELNS1_3repE0EEENS1_30default_config_static_selectorELNS0_4arch9wavefront6targetE0EEEvT1_
    .private_segment_fixed_size: 0
    .sgpr_count:     0
    .sgpr_spill_count: 0
    .symbol:         _ZN7rocprim17ROCPRIM_400000_NS6detail17trampoline_kernelINS0_14default_configENS1_25partition_config_selectorILNS1_17partition_subalgoE6EtNS0_10empty_typeEbEEZZNS1_14partition_implILS5_6ELb0ES3_mN6thrust23THRUST_200600_302600_NS6detail15normal_iteratorINSA_10device_ptrItEEEEPS6_SG_NS0_5tupleIJNSA_16discard_iteratorINSA_11use_defaultEEES6_EEENSH_IJSG_SG_EEES6_PlJNSB_9not_fun_tINSB_14equal_to_valueItEEEEEEE10hipError_tPvRmT3_T4_T5_T6_T7_T9_mT8_P12ihipStream_tbDpT10_ENKUlT_T0_E_clISt17integral_constantIbLb0EES1A_IbLb1EEEEDaS16_S17_EUlS16_E_NS1_11comp_targetILNS1_3genE2ELNS1_11target_archE906ELNS1_3gpuE6ELNS1_3repE0EEENS1_30default_config_static_selectorELNS0_4arch9wavefront6targetE0EEEvT1_.kd
    .uniform_work_group_size: 1
    .uses_dynamic_stack: false
    .vgpr_count:     0
    .vgpr_spill_count: 0
    .wavefront_size: 32
    .workgroup_processor_mode: 1
  - .args:
      - .offset:         0
        .size:           136
        .value_kind:     by_value
    .group_segment_fixed_size: 13840
    .kernarg_segment_align: 8
    .kernarg_segment_size: 136
    .language:       OpenCL C
    .language_version:
      - 2
      - 0
    .max_flat_workgroup_size: 384
    .name:           _ZN7rocprim17ROCPRIM_400000_NS6detail17trampoline_kernelINS0_14default_configENS1_25partition_config_selectorILNS1_17partition_subalgoE6EtNS0_10empty_typeEbEEZZNS1_14partition_implILS5_6ELb0ES3_mN6thrust23THRUST_200600_302600_NS6detail15normal_iteratorINSA_10device_ptrItEEEEPS6_SG_NS0_5tupleIJNSA_16discard_iteratorINSA_11use_defaultEEES6_EEENSH_IJSG_SG_EEES6_PlJNSB_9not_fun_tINSB_14equal_to_valueItEEEEEEE10hipError_tPvRmT3_T4_T5_T6_T7_T9_mT8_P12ihipStream_tbDpT10_ENKUlT_T0_E_clISt17integral_constantIbLb0EES1A_IbLb1EEEEDaS16_S17_EUlS16_E_NS1_11comp_targetILNS1_3genE10ELNS1_11target_archE1200ELNS1_3gpuE4ELNS1_3repE0EEENS1_30default_config_static_selectorELNS0_4arch9wavefront6targetE0EEEvT1_
    .private_segment_fixed_size: 0
    .sgpr_count:     30
    .sgpr_spill_count: 0
    .symbol:         _ZN7rocprim17ROCPRIM_400000_NS6detail17trampoline_kernelINS0_14default_configENS1_25partition_config_selectorILNS1_17partition_subalgoE6EtNS0_10empty_typeEbEEZZNS1_14partition_implILS5_6ELb0ES3_mN6thrust23THRUST_200600_302600_NS6detail15normal_iteratorINSA_10device_ptrItEEEEPS6_SG_NS0_5tupleIJNSA_16discard_iteratorINSA_11use_defaultEEES6_EEENSH_IJSG_SG_EEES6_PlJNSB_9not_fun_tINSB_14equal_to_valueItEEEEEEE10hipError_tPvRmT3_T4_T5_T6_T7_T9_mT8_P12ihipStream_tbDpT10_ENKUlT_T0_E_clISt17integral_constantIbLb0EES1A_IbLb1EEEEDaS16_S17_EUlS16_E_NS1_11comp_targetILNS1_3genE10ELNS1_11target_archE1200ELNS1_3gpuE4ELNS1_3repE0EEENS1_30default_config_static_selectorELNS0_4arch9wavefront6targetE0EEEvT1_.kd
    .uniform_work_group_size: 1
    .uses_dynamic_stack: false
    .vgpr_count:     65
    .vgpr_spill_count: 0
    .wavefront_size: 32
    .workgroup_processor_mode: 1
  - .args:
      - .offset:         0
        .size:           136
        .value_kind:     by_value
    .group_segment_fixed_size: 0
    .kernarg_segment_align: 8
    .kernarg_segment_size: 136
    .language:       OpenCL C
    .language_version:
      - 2
      - 0
    .max_flat_workgroup_size: 128
    .name:           _ZN7rocprim17ROCPRIM_400000_NS6detail17trampoline_kernelINS0_14default_configENS1_25partition_config_selectorILNS1_17partition_subalgoE6EtNS0_10empty_typeEbEEZZNS1_14partition_implILS5_6ELb0ES3_mN6thrust23THRUST_200600_302600_NS6detail15normal_iteratorINSA_10device_ptrItEEEEPS6_SG_NS0_5tupleIJNSA_16discard_iteratorINSA_11use_defaultEEES6_EEENSH_IJSG_SG_EEES6_PlJNSB_9not_fun_tINSB_14equal_to_valueItEEEEEEE10hipError_tPvRmT3_T4_T5_T6_T7_T9_mT8_P12ihipStream_tbDpT10_ENKUlT_T0_E_clISt17integral_constantIbLb0EES1A_IbLb1EEEEDaS16_S17_EUlS16_E_NS1_11comp_targetILNS1_3genE9ELNS1_11target_archE1100ELNS1_3gpuE3ELNS1_3repE0EEENS1_30default_config_static_selectorELNS0_4arch9wavefront6targetE0EEEvT1_
    .private_segment_fixed_size: 0
    .sgpr_count:     0
    .sgpr_spill_count: 0
    .symbol:         _ZN7rocprim17ROCPRIM_400000_NS6detail17trampoline_kernelINS0_14default_configENS1_25partition_config_selectorILNS1_17partition_subalgoE6EtNS0_10empty_typeEbEEZZNS1_14partition_implILS5_6ELb0ES3_mN6thrust23THRUST_200600_302600_NS6detail15normal_iteratorINSA_10device_ptrItEEEEPS6_SG_NS0_5tupleIJNSA_16discard_iteratorINSA_11use_defaultEEES6_EEENSH_IJSG_SG_EEES6_PlJNSB_9not_fun_tINSB_14equal_to_valueItEEEEEEE10hipError_tPvRmT3_T4_T5_T6_T7_T9_mT8_P12ihipStream_tbDpT10_ENKUlT_T0_E_clISt17integral_constantIbLb0EES1A_IbLb1EEEEDaS16_S17_EUlS16_E_NS1_11comp_targetILNS1_3genE9ELNS1_11target_archE1100ELNS1_3gpuE3ELNS1_3repE0EEENS1_30default_config_static_selectorELNS0_4arch9wavefront6targetE0EEEvT1_.kd
    .uniform_work_group_size: 1
    .uses_dynamic_stack: false
    .vgpr_count:     0
    .vgpr_spill_count: 0
    .wavefront_size: 32
    .workgroup_processor_mode: 1
  - .args:
      - .offset:         0
        .size:           136
        .value_kind:     by_value
    .group_segment_fixed_size: 0
    .kernarg_segment_align: 8
    .kernarg_segment_size: 136
    .language:       OpenCL C
    .language_version:
      - 2
      - 0
    .max_flat_workgroup_size: 256
    .name:           _ZN7rocprim17ROCPRIM_400000_NS6detail17trampoline_kernelINS0_14default_configENS1_25partition_config_selectorILNS1_17partition_subalgoE6EtNS0_10empty_typeEbEEZZNS1_14partition_implILS5_6ELb0ES3_mN6thrust23THRUST_200600_302600_NS6detail15normal_iteratorINSA_10device_ptrItEEEEPS6_SG_NS0_5tupleIJNSA_16discard_iteratorINSA_11use_defaultEEES6_EEENSH_IJSG_SG_EEES6_PlJNSB_9not_fun_tINSB_14equal_to_valueItEEEEEEE10hipError_tPvRmT3_T4_T5_T6_T7_T9_mT8_P12ihipStream_tbDpT10_ENKUlT_T0_E_clISt17integral_constantIbLb0EES1A_IbLb1EEEEDaS16_S17_EUlS16_E_NS1_11comp_targetILNS1_3genE8ELNS1_11target_archE1030ELNS1_3gpuE2ELNS1_3repE0EEENS1_30default_config_static_selectorELNS0_4arch9wavefront6targetE0EEEvT1_
    .private_segment_fixed_size: 0
    .sgpr_count:     0
    .sgpr_spill_count: 0
    .symbol:         _ZN7rocprim17ROCPRIM_400000_NS6detail17trampoline_kernelINS0_14default_configENS1_25partition_config_selectorILNS1_17partition_subalgoE6EtNS0_10empty_typeEbEEZZNS1_14partition_implILS5_6ELb0ES3_mN6thrust23THRUST_200600_302600_NS6detail15normal_iteratorINSA_10device_ptrItEEEEPS6_SG_NS0_5tupleIJNSA_16discard_iteratorINSA_11use_defaultEEES6_EEENSH_IJSG_SG_EEES6_PlJNSB_9not_fun_tINSB_14equal_to_valueItEEEEEEE10hipError_tPvRmT3_T4_T5_T6_T7_T9_mT8_P12ihipStream_tbDpT10_ENKUlT_T0_E_clISt17integral_constantIbLb0EES1A_IbLb1EEEEDaS16_S17_EUlS16_E_NS1_11comp_targetILNS1_3genE8ELNS1_11target_archE1030ELNS1_3gpuE2ELNS1_3repE0EEENS1_30default_config_static_selectorELNS0_4arch9wavefront6targetE0EEEvT1_.kd
    .uniform_work_group_size: 1
    .uses_dynamic_stack: false
    .vgpr_count:     0
    .vgpr_spill_count: 0
    .wavefront_size: 32
    .workgroup_processor_mode: 1
  - .args:
      - .offset:         0
        .size:           128
        .value_kind:     by_value
    .group_segment_fixed_size: 0
    .kernarg_segment_align: 8
    .kernarg_segment_size: 128
    .language:       OpenCL C
    .language_version:
      - 2
      - 0
    .max_flat_workgroup_size: 128
    .name:           _ZN7rocprim17ROCPRIM_400000_NS6detail17trampoline_kernelINS0_14default_configENS1_25partition_config_selectorILNS1_17partition_subalgoE6ExNS0_10empty_typeEbEEZZNS1_14partition_implILS5_6ELb0ES3_mN6thrust23THRUST_200600_302600_NS6detail15normal_iteratorINSA_10device_ptrIxEEEEPS6_SG_NS0_5tupleIJNSA_16discard_iteratorINSA_11use_defaultEEES6_EEENSH_IJSG_SG_EEES6_PlJNSB_9not_fun_tINSB_14equal_to_valueIxEEEEEEE10hipError_tPvRmT3_T4_T5_T6_T7_T9_mT8_P12ihipStream_tbDpT10_ENKUlT_T0_E_clISt17integral_constantIbLb0EES1B_EEDaS16_S17_EUlS16_E_NS1_11comp_targetILNS1_3genE0ELNS1_11target_archE4294967295ELNS1_3gpuE0ELNS1_3repE0EEENS1_30default_config_static_selectorELNS0_4arch9wavefront6targetE0EEEvT1_
    .private_segment_fixed_size: 0
    .sgpr_count:     0
    .sgpr_spill_count: 0
    .symbol:         _ZN7rocprim17ROCPRIM_400000_NS6detail17trampoline_kernelINS0_14default_configENS1_25partition_config_selectorILNS1_17partition_subalgoE6ExNS0_10empty_typeEbEEZZNS1_14partition_implILS5_6ELb0ES3_mN6thrust23THRUST_200600_302600_NS6detail15normal_iteratorINSA_10device_ptrIxEEEEPS6_SG_NS0_5tupleIJNSA_16discard_iteratorINSA_11use_defaultEEES6_EEENSH_IJSG_SG_EEES6_PlJNSB_9not_fun_tINSB_14equal_to_valueIxEEEEEEE10hipError_tPvRmT3_T4_T5_T6_T7_T9_mT8_P12ihipStream_tbDpT10_ENKUlT_T0_E_clISt17integral_constantIbLb0EES1B_EEDaS16_S17_EUlS16_E_NS1_11comp_targetILNS1_3genE0ELNS1_11target_archE4294967295ELNS1_3gpuE0ELNS1_3repE0EEENS1_30default_config_static_selectorELNS0_4arch9wavefront6targetE0EEEvT1_.kd
    .uniform_work_group_size: 1
    .uses_dynamic_stack: false
    .vgpr_count:     0
    .vgpr_spill_count: 0
    .wavefront_size: 32
    .workgroup_processor_mode: 1
  - .args:
      - .offset:         0
        .size:           128
        .value_kind:     by_value
    .group_segment_fixed_size: 0
    .kernarg_segment_align: 8
    .kernarg_segment_size: 128
    .language:       OpenCL C
    .language_version:
      - 2
      - 0
    .max_flat_workgroup_size: 512
    .name:           _ZN7rocprim17ROCPRIM_400000_NS6detail17trampoline_kernelINS0_14default_configENS1_25partition_config_selectorILNS1_17partition_subalgoE6ExNS0_10empty_typeEbEEZZNS1_14partition_implILS5_6ELb0ES3_mN6thrust23THRUST_200600_302600_NS6detail15normal_iteratorINSA_10device_ptrIxEEEEPS6_SG_NS0_5tupleIJNSA_16discard_iteratorINSA_11use_defaultEEES6_EEENSH_IJSG_SG_EEES6_PlJNSB_9not_fun_tINSB_14equal_to_valueIxEEEEEEE10hipError_tPvRmT3_T4_T5_T6_T7_T9_mT8_P12ihipStream_tbDpT10_ENKUlT_T0_E_clISt17integral_constantIbLb0EES1B_EEDaS16_S17_EUlS16_E_NS1_11comp_targetILNS1_3genE5ELNS1_11target_archE942ELNS1_3gpuE9ELNS1_3repE0EEENS1_30default_config_static_selectorELNS0_4arch9wavefront6targetE0EEEvT1_
    .private_segment_fixed_size: 0
    .sgpr_count:     0
    .sgpr_spill_count: 0
    .symbol:         _ZN7rocprim17ROCPRIM_400000_NS6detail17trampoline_kernelINS0_14default_configENS1_25partition_config_selectorILNS1_17partition_subalgoE6ExNS0_10empty_typeEbEEZZNS1_14partition_implILS5_6ELb0ES3_mN6thrust23THRUST_200600_302600_NS6detail15normal_iteratorINSA_10device_ptrIxEEEEPS6_SG_NS0_5tupleIJNSA_16discard_iteratorINSA_11use_defaultEEES6_EEENSH_IJSG_SG_EEES6_PlJNSB_9not_fun_tINSB_14equal_to_valueIxEEEEEEE10hipError_tPvRmT3_T4_T5_T6_T7_T9_mT8_P12ihipStream_tbDpT10_ENKUlT_T0_E_clISt17integral_constantIbLb0EES1B_EEDaS16_S17_EUlS16_E_NS1_11comp_targetILNS1_3genE5ELNS1_11target_archE942ELNS1_3gpuE9ELNS1_3repE0EEENS1_30default_config_static_selectorELNS0_4arch9wavefront6targetE0EEEvT1_.kd
    .uniform_work_group_size: 1
    .uses_dynamic_stack: false
    .vgpr_count:     0
    .vgpr_spill_count: 0
    .wavefront_size: 32
    .workgroup_processor_mode: 1
  - .args:
      - .offset:         0
        .size:           128
        .value_kind:     by_value
    .group_segment_fixed_size: 0
    .kernarg_segment_align: 8
    .kernarg_segment_size: 128
    .language:       OpenCL C
    .language_version:
      - 2
      - 0
    .max_flat_workgroup_size: 512
    .name:           _ZN7rocprim17ROCPRIM_400000_NS6detail17trampoline_kernelINS0_14default_configENS1_25partition_config_selectorILNS1_17partition_subalgoE6ExNS0_10empty_typeEbEEZZNS1_14partition_implILS5_6ELb0ES3_mN6thrust23THRUST_200600_302600_NS6detail15normal_iteratorINSA_10device_ptrIxEEEEPS6_SG_NS0_5tupleIJNSA_16discard_iteratorINSA_11use_defaultEEES6_EEENSH_IJSG_SG_EEES6_PlJNSB_9not_fun_tINSB_14equal_to_valueIxEEEEEEE10hipError_tPvRmT3_T4_T5_T6_T7_T9_mT8_P12ihipStream_tbDpT10_ENKUlT_T0_E_clISt17integral_constantIbLb0EES1B_EEDaS16_S17_EUlS16_E_NS1_11comp_targetILNS1_3genE4ELNS1_11target_archE910ELNS1_3gpuE8ELNS1_3repE0EEENS1_30default_config_static_selectorELNS0_4arch9wavefront6targetE0EEEvT1_
    .private_segment_fixed_size: 0
    .sgpr_count:     0
    .sgpr_spill_count: 0
    .symbol:         _ZN7rocprim17ROCPRIM_400000_NS6detail17trampoline_kernelINS0_14default_configENS1_25partition_config_selectorILNS1_17partition_subalgoE6ExNS0_10empty_typeEbEEZZNS1_14partition_implILS5_6ELb0ES3_mN6thrust23THRUST_200600_302600_NS6detail15normal_iteratorINSA_10device_ptrIxEEEEPS6_SG_NS0_5tupleIJNSA_16discard_iteratorINSA_11use_defaultEEES6_EEENSH_IJSG_SG_EEES6_PlJNSB_9not_fun_tINSB_14equal_to_valueIxEEEEEEE10hipError_tPvRmT3_T4_T5_T6_T7_T9_mT8_P12ihipStream_tbDpT10_ENKUlT_T0_E_clISt17integral_constantIbLb0EES1B_EEDaS16_S17_EUlS16_E_NS1_11comp_targetILNS1_3genE4ELNS1_11target_archE910ELNS1_3gpuE8ELNS1_3repE0EEENS1_30default_config_static_selectorELNS0_4arch9wavefront6targetE0EEEvT1_.kd
    .uniform_work_group_size: 1
    .uses_dynamic_stack: false
    .vgpr_count:     0
    .vgpr_spill_count: 0
    .wavefront_size: 32
    .workgroup_processor_mode: 1
  - .args:
      - .offset:         0
        .size:           128
        .value_kind:     by_value
    .group_segment_fixed_size: 0
    .kernarg_segment_align: 8
    .kernarg_segment_size: 128
    .language:       OpenCL C
    .language_version:
      - 2
      - 0
    .max_flat_workgroup_size: 128
    .name:           _ZN7rocprim17ROCPRIM_400000_NS6detail17trampoline_kernelINS0_14default_configENS1_25partition_config_selectorILNS1_17partition_subalgoE6ExNS0_10empty_typeEbEEZZNS1_14partition_implILS5_6ELb0ES3_mN6thrust23THRUST_200600_302600_NS6detail15normal_iteratorINSA_10device_ptrIxEEEEPS6_SG_NS0_5tupleIJNSA_16discard_iteratorINSA_11use_defaultEEES6_EEENSH_IJSG_SG_EEES6_PlJNSB_9not_fun_tINSB_14equal_to_valueIxEEEEEEE10hipError_tPvRmT3_T4_T5_T6_T7_T9_mT8_P12ihipStream_tbDpT10_ENKUlT_T0_E_clISt17integral_constantIbLb0EES1B_EEDaS16_S17_EUlS16_E_NS1_11comp_targetILNS1_3genE3ELNS1_11target_archE908ELNS1_3gpuE7ELNS1_3repE0EEENS1_30default_config_static_selectorELNS0_4arch9wavefront6targetE0EEEvT1_
    .private_segment_fixed_size: 0
    .sgpr_count:     0
    .sgpr_spill_count: 0
    .symbol:         _ZN7rocprim17ROCPRIM_400000_NS6detail17trampoline_kernelINS0_14default_configENS1_25partition_config_selectorILNS1_17partition_subalgoE6ExNS0_10empty_typeEbEEZZNS1_14partition_implILS5_6ELb0ES3_mN6thrust23THRUST_200600_302600_NS6detail15normal_iteratorINSA_10device_ptrIxEEEEPS6_SG_NS0_5tupleIJNSA_16discard_iteratorINSA_11use_defaultEEES6_EEENSH_IJSG_SG_EEES6_PlJNSB_9not_fun_tINSB_14equal_to_valueIxEEEEEEE10hipError_tPvRmT3_T4_T5_T6_T7_T9_mT8_P12ihipStream_tbDpT10_ENKUlT_T0_E_clISt17integral_constantIbLb0EES1B_EEDaS16_S17_EUlS16_E_NS1_11comp_targetILNS1_3genE3ELNS1_11target_archE908ELNS1_3gpuE7ELNS1_3repE0EEENS1_30default_config_static_selectorELNS0_4arch9wavefront6targetE0EEEvT1_.kd
    .uniform_work_group_size: 1
    .uses_dynamic_stack: false
    .vgpr_count:     0
    .vgpr_spill_count: 0
    .wavefront_size: 32
    .workgroup_processor_mode: 1
  - .args:
      - .offset:         0
        .size:           128
        .value_kind:     by_value
    .group_segment_fixed_size: 0
    .kernarg_segment_align: 8
    .kernarg_segment_size: 128
    .language:       OpenCL C
    .language_version:
      - 2
      - 0
    .max_flat_workgroup_size: 256
    .name:           _ZN7rocprim17ROCPRIM_400000_NS6detail17trampoline_kernelINS0_14default_configENS1_25partition_config_selectorILNS1_17partition_subalgoE6ExNS0_10empty_typeEbEEZZNS1_14partition_implILS5_6ELb0ES3_mN6thrust23THRUST_200600_302600_NS6detail15normal_iteratorINSA_10device_ptrIxEEEEPS6_SG_NS0_5tupleIJNSA_16discard_iteratorINSA_11use_defaultEEES6_EEENSH_IJSG_SG_EEES6_PlJNSB_9not_fun_tINSB_14equal_to_valueIxEEEEEEE10hipError_tPvRmT3_T4_T5_T6_T7_T9_mT8_P12ihipStream_tbDpT10_ENKUlT_T0_E_clISt17integral_constantIbLb0EES1B_EEDaS16_S17_EUlS16_E_NS1_11comp_targetILNS1_3genE2ELNS1_11target_archE906ELNS1_3gpuE6ELNS1_3repE0EEENS1_30default_config_static_selectorELNS0_4arch9wavefront6targetE0EEEvT1_
    .private_segment_fixed_size: 0
    .sgpr_count:     0
    .sgpr_spill_count: 0
    .symbol:         _ZN7rocprim17ROCPRIM_400000_NS6detail17trampoline_kernelINS0_14default_configENS1_25partition_config_selectorILNS1_17partition_subalgoE6ExNS0_10empty_typeEbEEZZNS1_14partition_implILS5_6ELb0ES3_mN6thrust23THRUST_200600_302600_NS6detail15normal_iteratorINSA_10device_ptrIxEEEEPS6_SG_NS0_5tupleIJNSA_16discard_iteratorINSA_11use_defaultEEES6_EEENSH_IJSG_SG_EEES6_PlJNSB_9not_fun_tINSB_14equal_to_valueIxEEEEEEE10hipError_tPvRmT3_T4_T5_T6_T7_T9_mT8_P12ihipStream_tbDpT10_ENKUlT_T0_E_clISt17integral_constantIbLb0EES1B_EEDaS16_S17_EUlS16_E_NS1_11comp_targetILNS1_3genE2ELNS1_11target_archE906ELNS1_3gpuE6ELNS1_3repE0EEENS1_30default_config_static_selectorELNS0_4arch9wavefront6targetE0EEEvT1_.kd
    .uniform_work_group_size: 1
    .uses_dynamic_stack: false
    .vgpr_count:     0
    .vgpr_spill_count: 0
    .wavefront_size: 32
    .workgroup_processor_mode: 1
  - .args:
      - .offset:         0
        .size:           128
        .value_kind:     by_value
    .group_segment_fixed_size: 8464
    .kernarg_segment_align: 8
    .kernarg_segment_size: 128
    .language:       OpenCL C
    .language_version:
      - 2
      - 0
    .max_flat_workgroup_size: 256
    .name:           _ZN7rocprim17ROCPRIM_400000_NS6detail17trampoline_kernelINS0_14default_configENS1_25partition_config_selectorILNS1_17partition_subalgoE6ExNS0_10empty_typeEbEEZZNS1_14partition_implILS5_6ELb0ES3_mN6thrust23THRUST_200600_302600_NS6detail15normal_iteratorINSA_10device_ptrIxEEEEPS6_SG_NS0_5tupleIJNSA_16discard_iteratorINSA_11use_defaultEEES6_EEENSH_IJSG_SG_EEES6_PlJNSB_9not_fun_tINSB_14equal_to_valueIxEEEEEEE10hipError_tPvRmT3_T4_T5_T6_T7_T9_mT8_P12ihipStream_tbDpT10_ENKUlT_T0_E_clISt17integral_constantIbLb0EES1B_EEDaS16_S17_EUlS16_E_NS1_11comp_targetILNS1_3genE10ELNS1_11target_archE1200ELNS1_3gpuE4ELNS1_3repE0EEENS1_30default_config_static_selectorELNS0_4arch9wavefront6targetE0EEEvT1_
    .private_segment_fixed_size: 0
    .sgpr_count:     23
    .sgpr_spill_count: 0
    .symbol:         _ZN7rocprim17ROCPRIM_400000_NS6detail17trampoline_kernelINS0_14default_configENS1_25partition_config_selectorILNS1_17partition_subalgoE6ExNS0_10empty_typeEbEEZZNS1_14partition_implILS5_6ELb0ES3_mN6thrust23THRUST_200600_302600_NS6detail15normal_iteratorINSA_10device_ptrIxEEEEPS6_SG_NS0_5tupleIJNSA_16discard_iteratorINSA_11use_defaultEEES6_EEENSH_IJSG_SG_EEES6_PlJNSB_9not_fun_tINSB_14equal_to_valueIxEEEEEEE10hipError_tPvRmT3_T4_T5_T6_T7_T9_mT8_P12ihipStream_tbDpT10_ENKUlT_T0_E_clISt17integral_constantIbLb0EES1B_EEDaS16_S17_EUlS16_E_NS1_11comp_targetILNS1_3genE10ELNS1_11target_archE1200ELNS1_3gpuE4ELNS1_3repE0EEENS1_30default_config_static_selectorELNS0_4arch9wavefront6targetE0EEEvT1_.kd
    .uniform_work_group_size: 1
    .uses_dynamic_stack: false
    .vgpr_count:     45
    .vgpr_spill_count: 0
    .wavefront_size: 32
    .workgroup_processor_mode: 1
  - .args:
      - .offset:         0
        .size:           128
        .value_kind:     by_value
    .group_segment_fixed_size: 0
    .kernarg_segment_align: 8
    .kernarg_segment_size: 128
    .language:       OpenCL C
    .language_version:
      - 2
      - 0
    .max_flat_workgroup_size: 384
    .name:           _ZN7rocprim17ROCPRIM_400000_NS6detail17trampoline_kernelINS0_14default_configENS1_25partition_config_selectorILNS1_17partition_subalgoE6ExNS0_10empty_typeEbEEZZNS1_14partition_implILS5_6ELb0ES3_mN6thrust23THRUST_200600_302600_NS6detail15normal_iteratorINSA_10device_ptrIxEEEEPS6_SG_NS0_5tupleIJNSA_16discard_iteratorINSA_11use_defaultEEES6_EEENSH_IJSG_SG_EEES6_PlJNSB_9not_fun_tINSB_14equal_to_valueIxEEEEEEE10hipError_tPvRmT3_T4_T5_T6_T7_T9_mT8_P12ihipStream_tbDpT10_ENKUlT_T0_E_clISt17integral_constantIbLb0EES1B_EEDaS16_S17_EUlS16_E_NS1_11comp_targetILNS1_3genE9ELNS1_11target_archE1100ELNS1_3gpuE3ELNS1_3repE0EEENS1_30default_config_static_selectorELNS0_4arch9wavefront6targetE0EEEvT1_
    .private_segment_fixed_size: 0
    .sgpr_count:     0
    .sgpr_spill_count: 0
    .symbol:         _ZN7rocprim17ROCPRIM_400000_NS6detail17trampoline_kernelINS0_14default_configENS1_25partition_config_selectorILNS1_17partition_subalgoE6ExNS0_10empty_typeEbEEZZNS1_14partition_implILS5_6ELb0ES3_mN6thrust23THRUST_200600_302600_NS6detail15normal_iteratorINSA_10device_ptrIxEEEEPS6_SG_NS0_5tupleIJNSA_16discard_iteratorINSA_11use_defaultEEES6_EEENSH_IJSG_SG_EEES6_PlJNSB_9not_fun_tINSB_14equal_to_valueIxEEEEEEE10hipError_tPvRmT3_T4_T5_T6_T7_T9_mT8_P12ihipStream_tbDpT10_ENKUlT_T0_E_clISt17integral_constantIbLb0EES1B_EEDaS16_S17_EUlS16_E_NS1_11comp_targetILNS1_3genE9ELNS1_11target_archE1100ELNS1_3gpuE3ELNS1_3repE0EEENS1_30default_config_static_selectorELNS0_4arch9wavefront6targetE0EEEvT1_.kd
    .uniform_work_group_size: 1
    .uses_dynamic_stack: false
    .vgpr_count:     0
    .vgpr_spill_count: 0
    .wavefront_size: 32
    .workgroup_processor_mode: 1
  - .args:
      - .offset:         0
        .size:           128
        .value_kind:     by_value
    .group_segment_fixed_size: 0
    .kernarg_segment_align: 8
    .kernarg_segment_size: 128
    .language:       OpenCL C
    .language_version:
      - 2
      - 0
    .max_flat_workgroup_size: 512
    .name:           _ZN7rocprim17ROCPRIM_400000_NS6detail17trampoline_kernelINS0_14default_configENS1_25partition_config_selectorILNS1_17partition_subalgoE6ExNS0_10empty_typeEbEEZZNS1_14partition_implILS5_6ELb0ES3_mN6thrust23THRUST_200600_302600_NS6detail15normal_iteratorINSA_10device_ptrIxEEEEPS6_SG_NS0_5tupleIJNSA_16discard_iteratorINSA_11use_defaultEEES6_EEENSH_IJSG_SG_EEES6_PlJNSB_9not_fun_tINSB_14equal_to_valueIxEEEEEEE10hipError_tPvRmT3_T4_T5_T6_T7_T9_mT8_P12ihipStream_tbDpT10_ENKUlT_T0_E_clISt17integral_constantIbLb0EES1B_EEDaS16_S17_EUlS16_E_NS1_11comp_targetILNS1_3genE8ELNS1_11target_archE1030ELNS1_3gpuE2ELNS1_3repE0EEENS1_30default_config_static_selectorELNS0_4arch9wavefront6targetE0EEEvT1_
    .private_segment_fixed_size: 0
    .sgpr_count:     0
    .sgpr_spill_count: 0
    .symbol:         _ZN7rocprim17ROCPRIM_400000_NS6detail17trampoline_kernelINS0_14default_configENS1_25partition_config_selectorILNS1_17partition_subalgoE6ExNS0_10empty_typeEbEEZZNS1_14partition_implILS5_6ELb0ES3_mN6thrust23THRUST_200600_302600_NS6detail15normal_iteratorINSA_10device_ptrIxEEEEPS6_SG_NS0_5tupleIJNSA_16discard_iteratorINSA_11use_defaultEEES6_EEENSH_IJSG_SG_EEES6_PlJNSB_9not_fun_tINSB_14equal_to_valueIxEEEEEEE10hipError_tPvRmT3_T4_T5_T6_T7_T9_mT8_P12ihipStream_tbDpT10_ENKUlT_T0_E_clISt17integral_constantIbLb0EES1B_EEDaS16_S17_EUlS16_E_NS1_11comp_targetILNS1_3genE8ELNS1_11target_archE1030ELNS1_3gpuE2ELNS1_3repE0EEENS1_30default_config_static_selectorELNS0_4arch9wavefront6targetE0EEEvT1_.kd
    .uniform_work_group_size: 1
    .uses_dynamic_stack: false
    .vgpr_count:     0
    .vgpr_spill_count: 0
    .wavefront_size: 32
    .workgroup_processor_mode: 1
  - .args:
      - .offset:         0
        .size:           136
        .value_kind:     by_value
    .group_segment_fixed_size: 0
    .kernarg_segment_align: 8
    .kernarg_segment_size: 136
    .language:       OpenCL C
    .language_version:
      - 2
      - 0
    .max_flat_workgroup_size: 128
    .name:           _ZN7rocprim17ROCPRIM_400000_NS6detail17trampoline_kernelINS0_14default_configENS1_25partition_config_selectorILNS1_17partition_subalgoE6ExNS0_10empty_typeEbEEZZNS1_14partition_implILS5_6ELb0ES3_mN6thrust23THRUST_200600_302600_NS6detail15normal_iteratorINSA_10device_ptrIxEEEEPS6_SG_NS0_5tupleIJNSA_16discard_iteratorINSA_11use_defaultEEES6_EEENSH_IJSG_SG_EEES6_PlJNSB_9not_fun_tINSB_14equal_to_valueIxEEEEEEE10hipError_tPvRmT3_T4_T5_T6_T7_T9_mT8_P12ihipStream_tbDpT10_ENKUlT_T0_E_clISt17integral_constantIbLb1EES1B_EEDaS16_S17_EUlS16_E_NS1_11comp_targetILNS1_3genE0ELNS1_11target_archE4294967295ELNS1_3gpuE0ELNS1_3repE0EEENS1_30default_config_static_selectorELNS0_4arch9wavefront6targetE0EEEvT1_
    .private_segment_fixed_size: 0
    .sgpr_count:     0
    .sgpr_spill_count: 0
    .symbol:         _ZN7rocprim17ROCPRIM_400000_NS6detail17trampoline_kernelINS0_14default_configENS1_25partition_config_selectorILNS1_17partition_subalgoE6ExNS0_10empty_typeEbEEZZNS1_14partition_implILS5_6ELb0ES3_mN6thrust23THRUST_200600_302600_NS6detail15normal_iteratorINSA_10device_ptrIxEEEEPS6_SG_NS0_5tupleIJNSA_16discard_iteratorINSA_11use_defaultEEES6_EEENSH_IJSG_SG_EEES6_PlJNSB_9not_fun_tINSB_14equal_to_valueIxEEEEEEE10hipError_tPvRmT3_T4_T5_T6_T7_T9_mT8_P12ihipStream_tbDpT10_ENKUlT_T0_E_clISt17integral_constantIbLb1EES1B_EEDaS16_S17_EUlS16_E_NS1_11comp_targetILNS1_3genE0ELNS1_11target_archE4294967295ELNS1_3gpuE0ELNS1_3repE0EEENS1_30default_config_static_selectorELNS0_4arch9wavefront6targetE0EEEvT1_.kd
    .uniform_work_group_size: 1
    .uses_dynamic_stack: false
    .vgpr_count:     0
    .vgpr_spill_count: 0
    .wavefront_size: 32
    .workgroup_processor_mode: 1
  - .args:
      - .offset:         0
        .size:           136
        .value_kind:     by_value
    .group_segment_fixed_size: 0
    .kernarg_segment_align: 8
    .kernarg_segment_size: 136
    .language:       OpenCL C
    .language_version:
      - 2
      - 0
    .max_flat_workgroup_size: 512
    .name:           _ZN7rocprim17ROCPRIM_400000_NS6detail17trampoline_kernelINS0_14default_configENS1_25partition_config_selectorILNS1_17partition_subalgoE6ExNS0_10empty_typeEbEEZZNS1_14partition_implILS5_6ELb0ES3_mN6thrust23THRUST_200600_302600_NS6detail15normal_iteratorINSA_10device_ptrIxEEEEPS6_SG_NS0_5tupleIJNSA_16discard_iteratorINSA_11use_defaultEEES6_EEENSH_IJSG_SG_EEES6_PlJNSB_9not_fun_tINSB_14equal_to_valueIxEEEEEEE10hipError_tPvRmT3_T4_T5_T6_T7_T9_mT8_P12ihipStream_tbDpT10_ENKUlT_T0_E_clISt17integral_constantIbLb1EES1B_EEDaS16_S17_EUlS16_E_NS1_11comp_targetILNS1_3genE5ELNS1_11target_archE942ELNS1_3gpuE9ELNS1_3repE0EEENS1_30default_config_static_selectorELNS0_4arch9wavefront6targetE0EEEvT1_
    .private_segment_fixed_size: 0
    .sgpr_count:     0
    .sgpr_spill_count: 0
    .symbol:         _ZN7rocprim17ROCPRIM_400000_NS6detail17trampoline_kernelINS0_14default_configENS1_25partition_config_selectorILNS1_17partition_subalgoE6ExNS0_10empty_typeEbEEZZNS1_14partition_implILS5_6ELb0ES3_mN6thrust23THRUST_200600_302600_NS6detail15normal_iteratorINSA_10device_ptrIxEEEEPS6_SG_NS0_5tupleIJNSA_16discard_iteratorINSA_11use_defaultEEES6_EEENSH_IJSG_SG_EEES6_PlJNSB_9not_fun_tINSB_14equal_to_valueIxEEEEEEE10hipError_tPvRmT3_T4_T5_T6_T7_T9_mT8_P12ihipStream_tbDpT10_ENKUlT_T0_E_clISt17integral_constantIbLb1EES1B_EEDaS16_S17_EUlS16_E_NS1_11comp_targetILNS1_3genE5ELNS1_11target_archE942ELNS1_3gpuE9ELNS1_3repE0EEENS1_30default_config_static_selectorELNS0_4arch9wavefront6targetE0EEEvT1_.kd
    .uniform_work_group_size: 1
    .uses_dynamic_stack: false
    .vgpr_count:     0
    .vgpr_spill_count: 0
    .wavefront_size: 32
    .workgroup_processor_mode: 1
  - .args:
      - .offset:         0
        .size:           136
        .value_kind:     by_value
    .group_segment_fixed_size: 0
    .kernarg_segment_align: 8
    .kernarg_segment_size: 136
    .language:       OpenCL C
    .language_version:
      - 2
      - 0
    .max_flat_workgroup_size: 512
    .name:           _ZN7rocprim17ROCPRIM_400000_NS6detail17trampoline_kernelINS0_14default_configENS1_25partition_config_selectorILNS1_17partition_subalgoE6ExNS0_10empty_typeEbEEZZNS1_14partition_implILS5_6ELb0ES3_mN6thrust23THRUST_200600_302600_NS6detail15normal_iteratorINSA_10device_ptrIxEEEEPS6_SG_NS0_5tupleIJNSA_16discard_iteratorINSA_11use_defaultEEES6_EEENSH_IJSG_SG_EEES6_PlJNSB_9not_fun_tINSB_14equal_to_valueIxEEEEEEE10hipError_tPvRmT3_T4_T5_T6_T7_T9_mT8_P12ihipStream_tbDpT10_ENKUlT_T0_E_clISt17integral_constantIbLb1EES1B_EEDaS16_S17_EUlS16_E_NS1_11comp_targetILNS1_3genE4ELNS1_11target_archE910ELNS1_3gpuE8ELNS1_3repE0EEENS1_30default_config_static_selectorELNS0_4arch9wavefront6targetE0EEEvT1_
    .private_segment_fixed_size: 0
    .sgpr_count:     0
    .sgpr_spill_count: 0
    .symbol:         _ZN7rocprim17ROCPRIM_400000_NS6detail17trampoline_kernelINS0_14default_configENS1_25partition_config_selectorILNS1_17partition_subalgoE6ExNS0_10empty_typeEbEEZZNS1_14partition_implILS5_6ELb0ES3_mN6thrust23THRUST_200600_302600_NS6detail15normal_iteratorINSA_10device_ptrIxEEEEPS6_SG_NS0_5tupleIJNSA_16discard_iteratorINSA_11use_defaultEEES6_EEENSH_IJSG_SG_EEES6_PlJNSB_9not_fun_tINSB_14equal_to_valueIxEEEEEEE10hipError_tPvRmT3_T4_T5_T6_T7_T9_mT8_P12ihipStream_tbDpT10_ENKUlT_T0_E_clISt17integral_constantIbLb1EES1B_EEDaS16_S17_EUlS16_E_NS1_11comp_targetILNS1_3genE4ELNS1_11target_archE910ELNS1_3gpuE8ELNS1_3repE0EEENS1_30default_config_static_selectorELNS0_4arch9wavefront6targetE0EEEvT1_.kd
    .uniform_work_group_size: 1
    .uses_dynamic_stack: false
    .vgpr_count:     0
    .vgpr_spill_count: 0
    .wavefront_size: 32
    .workgroup_processor_mode: 1
  - .args:
      - .offset:         0
        .size:           136
        .value_kind:     by_value
    .group_segment_fixed_size: 0
    .kernarg_segment_align: 8
    .kernarg_segment_size: 136
    .language:       OpenCL C
    .language_version:
      - 2
      - 0
    .max_flat_workgroup_size: 128
    .name:           _ZN7rocprim17ROCPRIM_400000_NS6detail17trampoline_kernelINS0_14default_configENS1_25partition_config_selectorILNS1_17partition_subalgoE6ExNS0_10empty_typeEbEEZZNS1_14partition_implILS5_6ELb0ES3_mN6thrust23THRUST_200600_302600_NS6detail15normal_iteratorINSA_10device_ptrIxEEEEPS6_SG_NS0_5tupleIJNSA_16discard_iteratorINSA_11use_defaultEEES6_EEENSH_IJSG_SG_EEES6_PlJNSB_9not_fun_tINSB_14equal_to_valueIxEEEEEEE10hipError_tPvRmT3_T4_T5_T6_T7_T9_mT8_P12ihipStream_tbDpT10_ENKUlT_T0_E_clISt17integral_constantIbLb1EES1B_EEDaS16_S17_EUlS16_E_NS1_11comp_targetILNS1_3genE3ELNS1_11target_archE908ELNS1_3gpuE7ELNS1_3repE0EEENS1_30default_config_static_selectorELNS0_4arch9wavefront6targetE0EEEvT1_
    .private_segment_fixed_size: 0
    .sgpr_count:     0
    .sgpr_spill_count: 0
    .symbol:         _ZN7rocprim17ROCPRIM_400000_NS6detail17trampoline_kernelINS0_14default_configENS1_25partition_config_selectorILNS1_17partition_subalgoE6ExNS0_10empty_typeEbEEZZNS1_14partition_implILS5_6ELb0ES3_mN6thrust23THRUST_200600_302600_NS6detail15normal_iteratorINSA_10device_ptrIxEEEEPS6_SG_NS0_5tupleIJNSA_16discard_iteratorINSA_11use_defaultEEES6_EEENSH_IJSG_SG_EEES6_PlJNSB_9not_fun_tINSB_14equal_to_valueIxEEEEEEE10hipError_tPvRmT3_T4_T5_T6_T7_T9_mT8_P12ihipStream_tbDpT10_ENKUlT_T0_E_clISt17integral_constantIbLb1EES1B_EEDaS16_S17_EUlS16_E_NS1_11comp_targetILNS1_3genE3ELNS1_11target_archE908ELNS1_3gpuE7ELNS1_3repE0EEENS1_30default_config_static_selectorELNS0_4arch9wavefront6targetE0EEEvT1_.kd
    .uniform_work_group_size: 1
    .uses_dynamic_stack: false
    .vgpr_count:     0
    .vgpr_spill_count: 0
    .wavefront_size: 32
    .workgroup_processor_mode: 1
  - .args:
      - .offset:         0
        .size:           136
        .value_kind:     by_value
    .group_segment_fixed_size: 0
    .kernarg_segment_align: 8
    .kernarg_segment_size: 136
    .language:       OpenCL C
    .language_version:
      - 2
      - 0
    .max_flat_workgroup_size: 256
    .name:           _ZN7rocprim17ROCPRIM_400000_NS6detail17trampoline_kernelINS0_14default_configENS1_25partition_config_selectorILNS1_17partition_subalgoE6ExNS0_10empty_typeEbEEZZNS1_14partition_implILS5_6ELb0ES3_mN6thrust23THRUST_200600_302600_NS6detail15normal_iteratorINSA_10device_ptrIxEEEEPS6_SG_NS0_5tupleIJNSA_16discard_iteratorINSA_11use_defaultEEES6_EEENSH_IJSG_SG_EEES6_PlJNSB_9not_fun_tINSB_14equal_to_valueIxEEEEEEE10hipError_tPvRmT3_T4_T5_T6_T7_T9_mT8_P12ihipStream_tbDpT10_ENKUlT_T0_E_clISt17integral_constantIbLb1EES1B_EEDaS16_S17_EUlS16_E_NS1_11comp_targetILNS1_3genE2ELNS1_11target_archE906ELNS1_3gpuE6ELNS1_3repE0EEENS1_30default_config_static_selectorELNS0_4arch9wavefront6targetE0EEEvT1_
    .private_segment_fixed_size: 0
    .sgpr_count:     0
    .sgpr_spill_count: 0
    .symbol:         _ZN7rocprim17ROCPRIM_400000_NS6detail17trampoline_kernelINS0_14default_configENS1_25partition_config_selectorILNS1_17partition_subalgoE6ExNS0_10empty_typeEbEEZZNS1_14partition_implILS5_6ELb0ES3_mN6thrust23THRUST_200600_302600_NS6detail15normal_iteratorINSA_10device_ptrIxEEEEPS6_SG_NS0_5tupleIJNSA_16discard_iteratorINSA_11use_defaultEEES6_EEENSH_IJSG_SG_EEES6_PlJNSB_9not_fun_tINSB_14equal_to_valueIxEEEEEEE10hipError_tPvRmT3_T4_T5_T6_T7_T9_mT8_P12ihipStream_tbDpT10_ENKUlT_T0_E_clISt17integral_constantIbLb1EES1B_EEDaS16_S17_EUlS16_E_NS1_11comp_targetILNS1_3genE2ELNS1_11target_archE906ELNS1_3gpuE6ELNS1_3repE0EEENS1_30default_config_static_selectorELNS0_4arch9wavefront6targetE0EEEvT1_.kd
    .uniform_work_group_size: 1
    .uses_dynamic_stack: false
    .vgpr_count:     0
    .vgpr_spill_count: 0
    .wavefront_size: 32
    .workgroup_processor_mode: 1
  - .args:
      - .offset:         0
        .size:           136
        .value_kind:     by_value
    .group_segment_fixed_size: 0
    .kernarg_segment_align: 8
    .kernarg_segment_size: 136
    .language:       OpenCL C
    .language_version:
      - 2
      - 0
    .max_flat_workgroup_size: 256
    .name:           _ZN7rocprim17ROCPRIM_400000_NS6detail17trampoline_kernelINS0_14default_configENS1_25partition_config_selectorILNS1_17partition_subalgoE6ExNS0_10empty_typeEbEEZZNS1_14partition_implILS5_6ELb0ES3_mN6thrust23THRUST_200600_302600_NS6detail15normal_iteratorINSA_10device_ptrIxEEEEPS6_SG_NS0_5tupleIJNSA_16discard_iteratorINSA_11use_defaultEEES6_EEENSH_IJSG_SG_EEES6_PlJNSB_9not_fun_tINSB_14equal_to_valueIxEEEEEEE10hipError_tPvRmT3_T4_T5_T6_T7_T9_mT8_P12ihipStream_tbDpT10_ENKUlT_T0_E_clISt17integral_constantIbLb1EES1B_EEDaS16_S17_EUlS16_E_NS1_11comp_targetILNS1_3genE10ELNS1_11target_archE1200ELNS1_3gpuE4ELNS1_3repE0EEENS1_30default_config_static_selectorELNS0_4arch9wavefront6targetE0EEEvT1_
    .private_segment_fixed_size: 0
    .sgpr_count:     0
    .sgpr_spill_count: 0
    .symbol:         _ZN7rocprim17ROCPRIM_400000_NS6detail17trampoline_kernelINS0_14default_configENS1_25partition_config_selectorILNS1_17partition_subalgoE6ExNS0_10empty_typeEbEEZZNS1_14partition_implILS5_6ELb0ES3_mN6thrust23THRUST_200600_302600_NS6detail15normal_iteratorINSA_10device_ptrIxEEEEPS6_SG_NS0_5tupleIJNSA_16discard_iteratorINSA_11use_defaultEEES6_EEENSH_IJSG_SG_EEES6_PlJNSB_9not_fun_tINSB_14equal_to_valueIxEEEEEEE10hipError_tPvRmT3_T4_T5_T6_T7_T9_mT8_P12ihipStream_tbDpT10_ENKUlT_T0_E_clISt17integral_constantIbLb1EES1B_EEDaS16_S17_EUlS16_E_NS1_11comp_targetILNS1_3genE10ELNS1_11target_archE1200ELNS1_3gpuE4ELNS1_3repE0EEENS1_30default_config_static_selectorELNS0_4arch9wavefront6targetE0EEEvT1_.kd
    .uniform_work_group_size: 1
    .uses_dynamic_stack: false
    .vgpr_count:     0
    .vgpr_spill_count: 0
    .wavefront_size: 32
    .workgroup_processor_mode: 1
  - .args:
      - .offset:         0
        .size:           136
        .value_kind:     by_value
    .group_segment_fixed_size: 0
    .kernarg_segment_align: 8
    .kernarg_segment_size: 136
    .language:       OpenCL C
    .language_version:
      - 2
      - 0
    .max_flat_workgroup_size: 384
    .name:           _ZN7rocprim17ROCPRIM_400000_NS6detail17trampoline_kernelINS0_14default_configENS1_25partition_config_selectorILNS1_17partition_subalgoE6ExNS0_10empty_typeEbEEZZNS1_14partition_implILS5_6ELb0ES3_mN6thrust23THRUST_200600_302600_NS6detail15normal_iteratorINSA_10device_ptrIxEEEEPS6_SG_NS0_5tupleIJNSA_16discard_iteratorINSA_11use_defaultEEES6_EEENSH_IJSG_SG_EEES6_PlJNSB_9not_fun_tINSB_14equal_to_valueIxEEEEEEE10hipError_tPvRmT3_T4_T5_T6_T7_T9_mT8_P12ihipStream_tbDpT10_ENKUlT_T0_E_clISt17integral_constantIbLb1EES1B_EEDaS16_S17_EUlS16_E_NS1_11comp_targetILNS1_3genE9ELNS1_11target_archE1100ELNS1_3gpuE3ELNS1_3repE0EEENS1_30default_config_static_selectorELNS0_4arch9wavefront6targetE0EEEvT1_
    .private_segment_fixed_size: 0
    .sgpr_count:     0
    .sgpr_spill_count: 0
    .symbol:         _ZN7rocprim17ROCPRIM_400000_NS6detail17trampoline_kernelINS0_14default_configENS1_25partition_config_selectorILNS1_17partition_subalgoE6ExNS0_10empty_typeEbEEZZNS1_14partition_implILS5_6ELb0ES3_mN6thrust23THRUST_200600_302600_NS6detail15normal_iteratorINSA_10device_ptrIxEEEEPS6_SG_NS0_5tupleIJNSA_16discard_iteratorINSA_11use_defaultEEES6_EEENSH_IJSG_SG_EEES6_PlJNSB_9not_fun_tINSB_14equal_to_valueIxEEEEEEE10hipError_tPvRmT3_T4_T5_T6_T7_T9_mT8_P12ihipStream_tbDpT10_ENKUlT_T0_E_clISt17integral_constantIbLb1EES1B_EEDaS16_S17_EUlS16_E_NS1_11comp_targetILNS1_3genE9ELNS1_11target_archE1100ELNS1_3gpuE3ELNS1_3repE0EEENS1_30default_config_static_selectorELNS0_4arch9wavefront6targetE0EEEvT1_.kd
    .uniform_work_group_size: 1
    .uses_dynamic_stack: false
    .vgpr_count:     0
    .vgpr_spill_count: 0
    .wavefront_size: 32
    .workgroup_processor_mode: 1
  - .args:
      - .offset:         0
        .size:           136
        .value_kind:     by_value
    .group_segment_fixed_size: 0
    .kernarg_segment_align: 8
    .kernarg_segment_size: 136
    .language:       OpenCL C
    .language_version:
      - 2
      - 0
    .max_flat_workgroup_size: 512
    .name:           _ZN7rocprim17ROCPRIM_400000_NS6detail17trampoline_kernelINS0_14default_configENS1_25partition_config_selectorILNS1_17partition_subalgoE6ExNS0_10empty_typeEbEEZZNS1_14partition_implILS5_6ELb0ES3_mN6thrust23THRUST_200600_302600_NS6detail15normal_iteratorINSA_10device_ptrIxEEEEPS6_SG_NS0_5tupleIJNSA_16discard_iteratorINSA_11use_defaultEEES6_EEENSH_IJSG_SG_EEES6_PlJNSB_9not_fun_tINSB_14equal_to_valueIxEEEEEEE10hipError_tPvRmT3_T4_T5_T6_T7_T9_mT8_P12ihipStream_tbDpT10_ENKUlT_T0_E_clISt17integral_constantIbLb1EES1B_EEDaS16_S17_EUlS16_E_NS1_11comp_targetILNS1_3genE8ELNS1_11target_archE1030ELNS1_3gpuE2ELNS1_3repE0EEENS1_30default_config_static_selectorELNS0_4arch9wavefront6targetE0EEEvT1_
    .private_segment_fixed_size: 0
    .sgpr_count:     0
    .sgpr_spill_count: 0
    .symbol:         _ZN7rocprim17ROCPRIM_400000_NS6detail17trampoline_kernelINS0_14default_configENS1_25partition_config_selectorILNS1_17partition_subalgoE6ExNS0_10empty_typeEbEEZZNS1_14partition_implILS5_6ELb0ES3_mN6thrust23THRUST_200600_302600_NS6detail15normal_iteratorINSA_10device_ptrIxEEEEPS6_SG_NS0_5tupleIJNSA_16discard_iteratorINSA_11use_defaultEEES6_EEENSH_IJSG_SG_EEES6_PlJNSB_9not_fun_tINSB_14equal_to_valueIxEEEEEEE10hipError_tPvRmT3_T4_T5_T6_T7_T9_mT8_P12ihipStream_tbDpT10_ENKUlT_T0_E_clISt17integral_constantIbLb1EES1B_EEDaS16_S17_EUlS16_E_NS1_11comp_targetILNS1_3genE8ELNS1_11target_archE1030ELNS1_3gpuE2ELNS1_3repE0EEENS1_30default_config_static_selectorELNS0_4arch9wavefront6targetE0EEEvT1_.kd
    .uniform_work_group_size: 1
    .uses_dynamic_stack: false
    .vgpr_count:     0
    .vgpr_spill_count: 0
    .wavefront_size: 32
    .workgroup_processor_mode: 1
  - .args:
      - .offset:         0
        .size:           128
        .value_kind:     by_value
    .group_segment_fixed_size: 0
    .kernarg_segment_align: 8
    .kernarg_segment_size: 128
    .language:       OpenCL C
    .language_version:
      - 2
      - 0
    .max_flat_workgroup_size: 128
    .name:           _ZN7rocprim17ROCPRIM_400000_NS6detail17trampoline_kernelINS0_14default_configENS1_25partition_config_selectorILNS1_17partition_subalgoE6ExNS0_10empty_typeEbEEZZNS1_14partition_implILS5_6ELb0ES3_mN6thrust23THRUST_200600_302600_NS6detail15normal_iteratorINSA_10device_ptrIxEEEEPS6_SG_NS0_5tupleIJNSA_16discard_iteratorINSA_11use_defaultEEES6_EEENSH_IJSG_SG_EEES6_PlJNSB_9not_fun_tINSB_14equal_to_valueIxEEEEEEE10hipError_tPvRmT3_T4_T5_T6_T7_T9_mT8_P12ihipStream_tbDpT10_ENKUlT_T0_E_clISt17integral_constantIbLb1EES1A_IbLb0EEEEDaS16_S17_EUlS16_E_NS1_11comp_targetILNS1_3genE0ELNS1_11target_archE4294967295ELNS1_3gpuE0ELNS1_3repE0EEENS1_30default_config_static_selectorELNS0_4arch9wavefront6targetE0EEEvT1_
    .private_segment_fixed_size: 0
    .sgpr_count:     0
    .sgpr_spill_count: 0
    .symbol:         _ZN7rocprim17ROCPRIM_400000_NS6detail17trampoline_kernelINS0_14default_configENS1_25partition_config_selectorILNS1_17partition_subalgoE6ExNS0_10empty_typeEbEEZZNS1_14partition_implILS5_6ELb0ES3_mN6thrust23THRUST_200600_302600_NS6detail15normal_iteratorINSA_10device_ptrIxEEEEPS6_SG_NS0_5tupleIJNSA_16discard_iteratorINSA_11use_defaultEEES6_EEENSH_IJSG_SG_EEES6_PlJNSB_9not_fun_tINSB_14equal_to_valueIxEEEEEEE10hipError_tPvRmT3_T4_T5_T6_T7_T9_mT8_P12ihipStream_tbDpT10_ENKUlT_T0_E_clISt17integral_constantIbLb1EES1A_IbLb0EEEEDaS16_S17_EUlS16_E_NS1_11comp_targetILNS1_3genE0ELNS1_11target_archE4294967295ELNS1_3gpuE0ELNS1_3repE0EEENS1_30default_config_static_selectorELNS0_4arch9wavefront6targetE0EEEvT1_.kd
    .uniform_work_group_size: 1
    .uses_dynamic_stack: false
    .vgpr_count:     0
    .vgpr_spill_count: 0
    .wavefront_size: 32
    .workgroup_processor_mode: 1
  - .args:
      - .offset:         0
        .size:           128
        .value_kind:     by_value
    .group_segment_fixed_size: 0
    .kernarg_segment_align: 8
    .kernarg_segment_size: 128
    .language:       OpenCL C
    .language_version:
      - 2
      - 0
    .max_flat_workgroup_size: 512
    .name:           _ZN7rocprim17ROCPRIM_400000_NS6detail17trampoline_kernelINS0_14default_configENS1_25partition_config_selectorILNS1_17partition_subalgoE6ExNS0_10empty_typeEbEEZZNS1_14partition_implILS5_6ELb0ES3_mN6thrust23THRUST_200600_302600_NS6detail15normal_iteratorINSA_10device_ptrIxEEEEPS6_SG_NS0_5tupleIJNSA_16discard_iteratorINSA_11use_defaultEEES6_EEENSH_IJSG_SG_EEES6_PlJNSB_9not_fun_tINSB_14equal_to_valueIxEEEEEEE10hipError_tPvRmT3_T4_T5_T6_T7_T9_mT8_P12ihipStream_tbDpT10_ENKUlT_T0_E_clISt17integral_constantIbLb1EES1A_IbLb0EEEEDaS16_S17_EUlS16_E_NS1_11comp_targetILNS1_3genE5ELNS1_11target_archE942ELNS1_3gpuE9ELNS1_3repE0EEENS1_30default_config_static_selectorELNS0_4arch9wavefront6targetE0EEEvT1_
    .private_segment_fixed_size: 0
    .sgpr_count:     0
    .sgpr_spill_count: 0
    .symbol:         _ZN7rocprim17ROCPRIM_400000_NS6detail17trampoline_kernelINS0_14default_configENS1_25partition_config_selectorILNS1_17partition_subalgoE6ExNS0_10empty_typeEbEEZZNS1_14partition_implILS5_6ELb0ES3_mN6thrust23THRUST_200600_302600_NS6detail15normal_iteratorINSA_10device_ptrIxEEEEPS6_SG_NS0_5tupleIJNSA_16discard_iteratorINSA_11use_defaultEEES6_EEENSH_IJSG_SG_EEES6_PlJNSB_9not_fun_tINSB_14equal_to_valueIxEEEEEEE10hipError_tPvRmT3_T4_T5_T6_T7_T9_mT8_P12ihipStream_tbDpT10_ENKUlT_T0_E_clISt17integral_constantIbLb1EES1A_IbLb0EEEEDaS16_S17_EUlS16_E_NS1_11comp_targetILNS1_3genE5ELNS1_11target_archE942ELNS1_3gpuE9ELNS1_3repE0EEENS1_30default_config_static_selectorELNS0_4arch9wavefront6targetE0EEEvT1_.kd
    .uniform_work_group_size: 1
    .uses_dynamic_stack: false
    .vgpr_count:     0
    .vgpr_spill_count: 0
    .wavefront_size: 32
    .workgroup_processor_mode: 1
  - .args:
      - .offset:         0
        .size:           128
        .value_kind:     by_value
    .group_segment_fixed_size: 0
    .kernarg_segment_align: 8
    .kernarg_segment_size: 128
    .language:       OpenCL C
    .language_version:
      - 2
      - 0
    .max_flat_workgroup_size: 512
    .name:           _ZN7rocprim17ROCPRIM_400000_NS6detail17trampoline_kernelINS0_14default_configENS1_25partition_config_selectorILNS1_17partition_subalgoE6ExNS0_10empty_typeEbEEZZNS1_14partition_implILS5_6ELb0ES3_mN6thrust23THRUST_200600_302600_NS6detail15normal_iteratorINSA_10device_ptrIxEEEEPS6_SG_NS0_5tupleIJNSA_16discard_iteratorINSA_11use_defaultEEES6_EEENSH_IJSG_SG_EEES6_PlJNSB_9not_fun_tINSB_14equal_to_valueIxEEEEEEE10hipError_tPvRmT3_T4_T5_T6_T7_T9_mT8_P12ihipStream_tbDpT10_ENKUlT_T0_E_clISt17integral_constantIbLb1EES1A_IbLb0EEEEDaS16_S17_EUlS16_E_NS1_11comp_targetILNS1_3genE4ELNS1_11target_archE910ELNS1_3gpuE8ELNS1_3repE0EEENS1_30default_config_static_selectorELNS0_4arch9wavefront6targetE0EEEvT1_
    .private_segment_fixed_size: 0
    .sgpr_count:     0
    .sgpr_spill_count: 0
    .symbol:         _ZN7rocprim17ROCPRIM_400000_NS6detail17trampoline_kernelINS0_14default_configENS1_25partition_config_selectorILNS1_17partition_subalgoE6ExNS0_10empty_typeEbEEZZNS1_14partition_implILS5_6ELb0ES3_mN6thrust23THRUST_200600_302600_NS6detail15normal_iteratorINSA_10device_ptrIxEEEEPS6_SG_NS0_5tupleIJNSA_16discard_iteratorINSA_11use_defaultEEES6_EEENSH_IJSG_SG_EEES6_PlJNSB_9not_fun_tINSB_14equal_to_valueIxEEEEEEE10hipError_tPvRmT3_T4_T5_T6_T7_T9_mT8_P12ihipStream_tbDpT10_ENKUlT_T0_E_clISt17integral_constantIbLb1EES1A_IbLb0EEEEDaS16_S17_EUlS16_E_NS1_11comp_targetILNS1_3genE4ELNS1_11target_archE910ELNS1_3gpuE8ELNS1_3repE0EEENS1_30default_config_static_selectorELNS0_4arch9wavefront6targetE0EEEvT1_.kd
    .uniform_work_group_size: 1
    .uses_dynamic_stack: false
    .vgpr_count:     0
    .vgpr_spill_count: 0
    .wavefront_size: 32
    .workgroup_processor_mode: 1
  - .args:
      - .offset:         0
        .size:           128
        .value_kind:     by_value
    .group_segment_fixed_size: 0
    .kernarg_segment_align: 8
    .kernarg_segment_size: 128
    .language:       OpenCL C
    .language_version:
      - 2
      - 0
    .max_flat_workgroup_size: 128
    .name:           _ZN7rocprim17ROCPRIM_400000_NS6detail17trampoline_kernelINS0_14default_configENS1_25partition_config_selectorILNS1_17partition_subalgoE6ExNS0_10empty_typeEbEEZZNS1_14partition_implILS5_6ELb0ES3_mN6thrust23THRUST_200600_302600_NS6detail15normal_iteratorINSA_10device_ptrIxEEEEPS6_SG_NS0_5tupleIJNSA_16discard_iteratorINSA_11use_defaultEEES6_EEENSH_IJSG_SG_EEES6_PlJNSB_9not_fun_tINSB_14equal_to_valueIxEEEEEEE10hipError_tPvRmT3_T4_T5_T6_T7_T9_mT8_P12ihipStream_tbDpT10_ENKUlT_T0_E_clISt17integral_constantIbLb1EES1A_IbLb0EEEEDaS16_S17_EUlS16_E_NS1_11comp_targetILNS1_3genE3ELNS1_11target_archE908ELNS1_3gpuE7ELNS1_3repE0EEENS1_30default_config_static_selectorELNS0_4arch9wavefront6targetE0EEEvT1_
    .private_segment_fixed_size: 0
    .sgpr_count:     0
    .sgpr_spill_count: 0
    .symbol:         _ZN7rocprim17ROCPRIM_400000_NS6detail17trampoline_kernelINS0_14default_configENS1_25partition_config_selectorILNS1_17partition_subalgoE6ExNS0_10empty_typeEbEEZZNS1_14partition_implILS5_6ELb0ES3_mN6thrust23THRUST_200600_302600_NS6detail15normal_iteratorINSA_10device_ptrIxEEEEPS6_SG_NS0_5tupleIJNSA_16discard_iteratorINSA_11use_defaultEEES6_EEENSH_IJSG_SG_EEES6_PlJNSB_9not_fun_tINSB_14equal_to_valueIxEEEEEEE10hipError_tPvRmT3_T4_T5_T6_T7_T9_mT8_P12ihipStream_tbDpT10_ENKUlT_T0_E_clISt17integral_constantIbLb1EES1A_IbLb0EEEEDaS16_S17_EUlS16_E_NS1_11comp_targetILNS1_3genE3ELNS1_11target_archE908ELNS1_3gpuE7ELNS1_3repE0EEENS1_30default_config_static_selectorELNS0_4arch9wavefront6targetE0EEEvT1_.kd
    .uniform_work_group_size: 1
    .uses_dynamic_stack: false
    .vgpr_count:     0
    .vgpr_spill_count: 0
    .wavefront_size: 32
    .workgroup_processor_mode: 1
  - .args:
      - .offset:         0
        .size:           128
        .value_kind:     by_value
    .group_segment_fixed_size: 0
    .kernarg_segment_align: 8
    .kernarg_segment_size: 128
    .language:       OpenCL C
    .language_version:
      - 2
      - 0
    .max_flat_workgroup_size: 256
    .name:           _ZN7rocprim17ROCPRIM_400000_NS6detail17trampoline_kernelINS0_14default_configENS1_25partition_config_selectorILNS1_17partition_subalgoE6ExNS0_10empty_typeEbEEZZNS1_14partition_implILS5_6ELb0ES3_mN6thrust23THRUST_200600_302600_NS6detail15normal_iteratorINSA_10device_ptrIxEEEEPS6_SG_NS0_5tupleIJNSA_16discard_iteratorINSA_11use_defaultEEES6_EEENSH_IJSG_SG_EEES6_PlJNSB_9not_fun_tINSB_14equal_to_valueIxEEEEEEE10hipError_tPvRmT3_T4_T5_T6_T7_T9_mT8_P12ihipStream_tbDpT10_ENKUlT_T0_E_clISt17integral_constantIbLb1EES1A_IbLb0EEEEDaS16_S17_EUlS16_E_NS1_11comp_targetILNS1_3genE2ELNS1_11target_archE906ELNS1_3gpuE6ELNS1_3repE0EEENS1_30default_config_static_selectorELNS0_4arch9wavefront6targetE0EEEvT1_
    .private_segment_fixed_size: 0
    .sgpr_count:     0
    .sgpr_spill_count: 0
    .symbol:         _ZN7rocprim17ROCPRIM_400000_NS6detail17trampoline_kernelINS0_14default_configENS1_25partition_config_selectorILNS1_17partition_subalgoE6ExNS0_10empty_typeEbEEZZNS1_14partition_implILS5_6ELb0ES3_mN6thrust23THRUST_200600_302600_NS6detail15normal_iteratorINSA_10device_ptrIxEEEEPS6_SG_NS0_5tupleIJNSA_16discard_iteratorINSA_11use_defaultEEES6_EEENSH_IJSG_SG_EEES6_PlJNSB_9not_fun_tINSB_14equal_to_valueIxEEEEEEE10hipError_tPvRmT3_T4_T5_T6_T7_T9_mT8_P12ihipStream_tbDpT10_ENKUlT_T0_E_clISt17integral_constantIbLb1EES1A_IbLb0EEEEDaS16_S17_EUlS16_E_NS1_11comp_targetILNS1_3genE2ELNS1_11target_archE906ELNS1_3gpuE6ELNS1_3repE0EEENS1_30default_config_static_selectorELNS0_4arch9wavefront6targetE0EEEvT1_.kd
    .uniform_work_group_size: 1
    .uses_dynamic_stack: false
    .vgpr_count:     0
    .vgpr_spill_count: 0
    .wavefront_size: 32
    .workgroup_processor_mode: 1
  - .args:
      - .offset:         0
        .size:           128
        .value_kind:     by_value
    .group_segment_fixed_size: 0
    .kernarg_segment_align: 8
    .kernarg_segment_size: 128
    .language:       OpenCL C
    .language_version:
      - 2
      - 0
    .max_flat_workgroup_size: 256
    .name:           _ZN7rocprim17ROCPRIM_400000_NS6detail17trampoline_kernelINS0_14default_configENS1_25partition_config_selectorILNS1_17partition_subalgoE6ExNS0_10empty_typeEbEEZZNS1_14partition_implILS5_6ELb0ES3_mN6thrust23THRUST_200600_302600_NS6detail15normal_iteratorINSA_10device_ptrIxEEEEPS6_SG_NS0_5tupleIJNSA_16discard_iteratorINSA_11use_defaultEEES6_EEENSH_IJSG_SG_EEES6_PlJNSB_9not_fun_tINSB_14equal_to_valueIxEEEEEEE10hipError_tPvRmT3_T4_T5_T6_T7_T9_mT8_P12ihipStream_tbDpT10_ENKUlT_T0_E_clISt17integral_constantIbLb1EES1A_IbLb0EEEEDaS16_S17_EUlS16_E_NS1_11comp_targetILNS1_3genE10ELNS1_11target_archE1200ELNS1_3gpuE4ELNS1_3repE0EEENS1_30default_config_static_selectorELNS0_4arch9wavefront6targetE0EEEvT1_
    .private_segment_fixed_size: 0
    .sgpr_count:     0
    .sgpr_spill_count: 0
    .symbol:         _ZN7rocprim17ROCPRIM_400000_NS6detail17trampoline_kernelINS0_14default_configENS1_25partition_config_selectorILNS1_17partition_subalgoE6ExNS0_10empty_typeEbEEZZNS1_14partition_implILS5_6ELb0ES3_mN6thrust23THRUST_200600_302600_NS6detail15normal_iteratorINSA_10device_ptrIxEEEEPS6_SG_NS0_5tupleIJNSA_16discard_iteratorINSA_11use_defaultEEES6_EEENSH_IJSG_SG_EEES6_PlJNSB_9not_fun_tINSB_14equal_to_valueIxEEEEEEE10hipError_tPvRmT3_T4_T5_T6_T7_T9_mT8_P12ihipStream_tbDpT10_ENKUlT_T0_E_clISt17integral_constantIbLb1EES1A_IbLb0EEEEDaS16_S17_EUlS16_E_NS1_11comp_targetILNS1_3genE10ELNS1_11target_archE1200ELNS1_3gpuE4ELNS1_3repE0EEENS1_30default_config_static_selectorELNS0_4arch9wavefront6targetE0EEEvT1_.kd
    .uniform_work_group_size: 1
    .uses_dynamic_stack: false
    .vgpr_count:     0
    .vgpr_spill_count: 0
    .wavefront_size: 32
    .workgroup_processor_mode: 1
  - .args:
      - .offset:         0
        .size:           128
        .value_kind:     by_value
    .group_segment_fixed_size: 0
    .kernarg_segment_align: 8
    .kernarg_segment_size: 128
    .language:       OpenCL C
    .language_version:
      - 2
      - 0
    .max_flat_workgroup_size: 384
    .name:           _ZN7rocprim17ROCPRIM_400000_NS6detail17trampoline_kernelINS0_14default_configENS1_25partition_config_selectorILNS1_17partition_subalgoE6ExNS0_10empty_typeEbEEZZNS1_14partition_implILS5_6ELb0ES3_mN6thrust23THRUST_200600_302600_NS6detail15normal_iteratorINSA_10device_ptrIxEEEEPS6_SG_NS0_5tupleIJNSA_16discard_iteratorINSA_11use_defaultEEES6_EEENSH_IJSG_SG_EEES6_PlJNSB_9not_fun_tINSB_14equal_to_valueIxEEEEEEE10hipError_tPvRmT3_T4_T5_T6_T7_T9_mT8_P12ihipStream_tbDpT10_ENKUlT_T0_E_clISt17integral_constantIbLb1EES1A_IbLb0EEEEDaS16_S17_EUlS16_E_NS1_11comp_targetILNS1_3genE9ELNS1_11target_archE1100ELNS1_3gpuE3ELNS1_3repE0EEENS1_30default_config_static_selectorELNS0_4arch9wavefront6targetE0EEEvT1_
    .private_segment_fixed_size: 0
    .sgpr_count:     0
    .sgpr_spill_count: 0
    .symbol:         _ZN7rocprim17ROCPRIM_400000_NS6detail17trampoline_kernelINS0_14default_configENS1_25partition_config_selectorILNS1_17partition_subalgoE6ExNS0_10empty_typeEbEEZZNS1_14partition_implILS5_6ELb0ES3_mN6thrust23THRUST_200600_302600_NS6detail15normal_iteratorINSA_10device_ptrIxEEEEPS6_SG_NS0_5tupleIJNSA_16discard_iteratorINSA_11use_defaultEEES6_EEENSH_IJSG_SG_EEES6_PlJNSB_9not_fun_tINSB_14equal_to_valueIxEEEEEEE10hipError_tPvRmT3_T4_T5_T6_T7_T9_mT8_P12ihipStream_tbDpT10_ENKUlT_T0_E_clISt17integral_constantIbLb1EES1A_IbLb0EEEEDaS16_S17_EUlS16_E_NS1_11comp_targetILNS1_3genE9ELNS1_11target_archE1100ELNS1_3gpuE3ELNS1_3repE0EEENS1_30default_config_static_selectorELNS0_4arch9wavefront6targetE0EEEvT1_.kd
    .uniform_work_group_size: 1
    .uses_dynamic_stack: false
    .vgpr_count:     0
    .vgpr_spill_count: 0
    .wavefront_size: 32
    .workgroup_processor_mode: 1
  - .args:
      - .offset:         0
        .size:           128
        .value_kind:     by_value
    .group_segment_fixed_size: 0
    .kernarg_segment_align: 8
    .kernarg_segment_size: 128
    .language:       OpenCL C
    .language_version:
      - 2
      - 0
    .max_flat_workgroup_size: 512
    .name:           _ZN7rocprim17ROCPRIM_400000_NS6detail17trampoline_kernelINS0_14default_configENS1_25partition_config_selectorILNS1_17partition_subalgoE6ExNS0_10empty_typeEbEEZZNS1_14partition_implILS5_6ELb0ES3_mN6thrust23THRUST_200600_302600_NS6detail15normal_iteratorINSA_10device_ptrIxEEEEPS6_SG_NS0_5tupleIJNSA_16discard_iteratorINSA_11use_defaultEEES6_EEENSH_IJSG_SG_EEES6_PlJNSB_9not_fun_tINSB_14equal_to_valueIxEEEEEEE10hipError_tPvRmT3_T4_T5_T6_T7_T9_mT8_P12ihipStream_tbDpT10_ENKUlT_T0_E_clISt17integral_constantIbLb1EES1A_IbLb0EEEEDaS16_S17_EUlS16_E_NS1_11comp_targetILNS1_3genE8ELNS1_11target_archE1030ELNS1_3gpuE2ELNS1_3repE0EEENS1_30default_config_static_selectorELNS0_4arch9wavefront6targetE0EEEvT1_
    .private_segment_fixed_size: 0
    .sgpr_count:     0
    .sgpr_spill_count: 0
    .symbol:         _ZN7rocprim17ROCPRIM_400000_NS6detail17trampoline_kernelINS0_14default_configENS1_25partition_config_selectorILNS1_17partition_subalgoE6ExNS0_10empty_typeEbEEZZNS1_14partition_implILS5_6ELb0ES3_mN6thrust23THRUST_200600_302600_NS6detail15normal_iteratorINSA_10device_ptrIxEEEEPS6_SG_NS0_5tupleIJNSA_16discard_iteratorINSA_11use_defaultEEES6_EEENSH_IJSG_SG_EEES6_PlJNSB_9not_fun_tINSB_14equal_to_valueIxEEEEEEE10hipError_tPvRmT3_T4_T5_T6_T7_T9_mT8_P12ihipStream_tbDpT10_ENKUlT_T0_E_clISt17integral_constantIbLb1EES1A_IbLb0EEEEDaS16_S17_EUlS16_E_NS1_11comp_targetILNS1_3genE8ELNS1_11target_archE1030ELNS1_3gpuE2ELNS1_3repE0EEENS1_30default_config_static_selectorELNS0_4arch9wavefront6targetE0EEEvT1_.kd
    .uniform_work_group_size: 1
    .uses_dynamic_stack: false
    .vgpr_count:     0
    .vgpr_spill_count: 0
    .wavefront_size: 32
    .workgroup_processor_mode: 1
  - .args:
      - .offset:         0
        .size:           136
        .value_kind:     by_value
    .group_segment_fixed_size: 0
    .kernarg_segment_align: 8
    .kernarg_segment_size: 136
    .language:       OpenCL C
    .language_version:
      - 2
      - 0
    .max_flat_workgroup_size: 128
    .name:           _ZN7rocprim17ROCPRIM_400000_NS6detail17trampoline_kernelINS0_14default_configENS1_25partition_config_selectorILNS1_17partition_subalgoE6ExNS0_10empty_typeEbEEZZNS1_14partition_implILS5_6ELb0ES3_mN6thrust23THRUST_200600_302600_NS6detail15normal_iteratorINSA_10device_ptrIxEEEEPS6_SG_NS0_5tupleIJNSA_16discard_iteratorINSA_11use_defaultEEES6_EEENSH_IJSG_SG_EEES6_PlJNSB_9not_fun_tINSB_14equal_to_valueIxEEEEEEE10hipError_tPvRmT3_T4_T5_T6_T7_T9_mT8_P12ihipStream_tbDpT10_ENKUlT_T0_E_clISt17integral_constantIbLb0EES1A_IbLb1EEEEDaS16_S17_EUlS16_E_NS1_11comp_targetILNS1_3genE0ELNS1_11target_archE4294967295ELNS1_3gpuE0ELNS1_3repE0EEENS1_30default_config_static_selectorELNS0_4arch9wavefront6targetE0EEEvT1_
    .private_segment_fixed_size: 0
    .sgpr_count:     0
    .sgpr_spill_count: 0
    .symbol:         _ZN7rocprim17ROCPRIM_400000_NS6detail17trampoline_kernelINS0_14default_configENS1_25partition_config_selectorILNS1_17partition_subalgoE6ExNS0_10empty_typeEbEEZZNS1_14partition_implILS5_6ELb0ES3_mN6thrust23THRUST_200600_302600_NS6detail15normal_iteratorINSA_10device_ptrIxEEEEPS6_SG_NS0_5tupleIJNSA_16discard_iteratorINSA_11use_defaultEEES6_EEENSH_IJSG_SG_EEES6_PlJNSB_9not_fun_tINSB_14equal_to_valueIxEEEEEEE10hipError_tPvRmT3_T4_T5_T6_T7_T9_mT8_P12ihipStream_tbDpT10_ENKUlT_T0_E_clISt17integral_constantIbLb0EES1A_IbLb1EEEEDaS16_S17_EUlS16_E_NS1_11comp_targetILNS1_3genE0ELNS1_11target_archE4294967295ELNS1_3gpuE0ELNS1_3repE0EEENS1_30default_config_static_selectorELNS0_4arch9wavefront6targetE0EEEvT1_.kd
    .uniform_work_group_size: 1
    .uses_dynamic_stack: false
    .vgpr_count:     0
    .vgpr_spill_count: 0
    .wavefront_size: 32
    .workgroup_processor_mode: 1
  - .args:
      - .offset:         0
        .size:           136
        .value_kind:     by_value
    .group_segment_fixed_size: 0
    .kernarg_segment_align: 8
    .kernarg_segment_size: 136
    .language:       OpenCL C
    .language_version:
      - 2
      - 0
    .max_flat_workgroup_size: 512
    .name:           _ZN7rocprim17ROCPRIM_400000_NS6detail17trampoline_kernelINS0_14default_configENS1_25partition_config_selectorILNS1_17partition_subalgoE6ExNS0_10empty_typeEbEEZZNS1_14partition_implILS5_6ELb0ES3_mN6thrust23THRUST_200600_302600_NS6detail15normal_iteratorINSA_10device_ptrIxEEEEPS6_SG_NS0_5tupleIJNSA_16discard_iteratorINSA_11use_defaultEEES6_EEENSH_IJSG_SG_EEES6_PlJNSB_9not_fun_tINSB_14equal_to_valueIxEEEEEEE10hipError_tPvRmT3_T4_T5_T6_T7_T9_mT8_P12ihipStream_tbDpT10_ENKUlT_T0_E_clISt17integral_constantIbLb0EES1A_IbLb1EEEEDaS16_S17_EUlS16_E_NS1_11comp_targetILNS1_3genE5ELNS1_11target_archE942ELNS1_3gpuE9ELNS1_3repE0EEENS1_30default_config_static_selectorELNS0_4arch9wavefront6targetE0EEEvT1_
    .private_segment_fixed_size: 0
    .sgpr_count:     0
    .sgpr_spill_count: 0
    .symbol:         _ZN7rocprim17ROCPRIM_400000_NS6detail17trampoline_kernelINS0_14default_configENS1_25partition_config_selectorILNS1_17partition_subalgoE6ExNS0_10empty_typeEbEEZZNS1_14partition_implILS5_6ELb0ES3_mN6thrust23THRUST_200600_302600_NS6detail15normal_iteratorINSA_10device_ptrIxEEEEPS6_SG_NS0_5tupleIJNSA_16discard_iteratorINSA_11use_defaultEEES6_EEENSH_IJSG_SG_EEES6_PlJNSB_9not_fun_tINSB_14equal_to_valueIxEEEEEEE10hipError_tPvRmT3_T4_T5_T6_T7_T9_mT8_P12ihipStream_tbDpT10_ENKUlT_T0_E_clISt17integral_constantIbLb0EES1A_IbLb1EEEEDaS16_S17_EUlS16_E_NS1_11comp_targetILNS1_3genE5ELNS1_11target_archE942ELNS1_3gpuE9ELNS1_3repE0EEENS1_30default_config_static_selectorELNS0_4arch9wavefront6targetE0EEEvT1_.kd
    .uniform_work_group_size: 1
    .uses_dynamic_stack: false
    .vgpr_count:     0
    .vgpr_spill_count: 0
    .wavefront_size: 32
    .workgroup_processor_mode: 1
  - .args:
      - .offset:         0
        .size:           136
        .value_kind:     by_value
    .group_segment_fixed_size: 0
    .kernarg_segment_align: 8
    .kernarg_segment_size: 136
    .language:       OpenCL C
    .language_version:
      - 2
      - 0
    .max_flat_workgroup_size: 512
    .name:           _ZN7rocprim17ROCPRIM_400000_NS6detail17trampoline_kernelINS0_14default_configENS1_25partition_config_selectorILNS1_17partition_subalgoE6ExNS0_10empty_typeEbEEZZNS1_14partition_implILS5_6ELb0ES3_mN6thrust23THRUST_200600_302600_NS6detail15normal_iteratorINSA_10device_ptrIxEEEEPS6_SG_NS0_5tupleIJNSA_16discard_iteratorINSA_11use_defaultEEES6_EEENSH_IJSG_SG_EEES6_PlJNSB_9not_fun_tINSB_14equal_to_valueIxEEEEEEE10hipError_tPvRmT3_T4_T5_T6_T7_T9_mT8_P12ihipStream_tbDpT10_ENKUlT_T0_E_clISt17integral_constantIbLb0EES1A_IbLb1EEEEDaS16_S17_EUlS16_E_NS1_11comp_targetILNS1_3genE4ELNS1_11target_archE910ELNS1_3gpuE8ELNS1_3repE0EEENS1_30default_config_static_selectorELNS0_4arch9wavefront6targetE0EEEvT1_
    .private_segment_fixed_size: 0
    .sgpr_count:     0
    .sgpr_spill_count: 0
    .symbol:         _ZN7rocprim17ROCPRIM_400000_NS6detail17trampoline_kernelINS0_14default_configENS1_25partition_config_selectorILNS1_17partition_subalgoE6ExNS0_10empty_typeEbEEZZNS1_14partition_implILS5_6ELb0ES3_mN6thrust23THRUST_200600_302600_NS6detail15normal_iteratorINSA_10device_ptrIxEEEEPS6_SG_NS0_5tupleIJNSA_16discard_iteratorINSA_11use_defaultEEES6_EEENSH_IJSG_SG_EEES6_PlJNSB_9not_fun_tINSB_14equal_to_valueIxEEEEEEE10hipError_tPvRmT3_T4_T5_T6_T7_T9_mT8_P12ihipStream_tbDpT10_ENKUlT_T0_E_clISt17integral_constantIbLb0EES1A_IbLb1EEEEDaS16_S17_EUlS16_E_NS1_11comp_targetILNS1_3genE4ELNS1_11target_archE910ELNS1_3gpuE8ELNS1_3repE0EEENS1_30default_config_static_selectorELNS0_4arch9wavefront6targetE0EEEvT1_.kd
    .uniform_work_group_size: 1
    .uses_dynamic_stack: false
    .vgpr_count:     0
    .vgpr_spill_count: 0
    .wavefront_size: 32
    .workgroup_processor_mode: 1
  - .args:
      - .offset:         0
        .size:           136
        .value_kind:     by_value
    .group_segment_fixed_size: 0
    .kernarg_segment_align: 8
    .kernarg_segment_size: 136
    .language:       OpenCL C
    .language_version:
      - 2
      - 0
    .max_flat_workgroup_size: 128
    .name:           _ZN7rocprim17ROCPRIM_400000_NS6detail17trampoline_kernelINS0_14default_configENS1_25partition_config_selectorILNS1_17partition_subalgoE6ExNS0_10empty_typeEbEEZZNS1_14partition_implILS5_6ELb0ES3_mN6thrust23THRUST_200600_302600_NS6detail15normal_iteratorINSA_10device_ptrIxEEEEPS6_SG_NS0_5tupleIJNSA_16discard_iteratorINSA_11use_defaultEEES6_EEENSH_IJSG_SG_EEES6_PlJNSB_9not_fun_tINSB_14equal_to_valueIxEEEEEEE10hipError_tPvRmT3_T4_T5_T6_T7_T9_mT8_P12ihipStream_tbDpT10_ENKUlT_T0_E_clISt17integral_constantIbLb0EES1A_IbLb1EEEEDaS16_S17_EUlS16_E_NS1_11comp_targetILNS1_3genE3ELNS1_11target_archE908ELNS1_3gpuE7ELNS1_3repE0EEENS1_30default_config_static_selectorELNS0_4arch9wavefront6targetE0EEEvT1_
    .private_segment_fixed_size: 0
    .sgpr_count:     0
    .sgpr_spill_count: 0
    .symbol:         _ZN7rocprim17ROCPRIM_400000_NS6detail17trampoline_kernelINS0_14default_configENS1_25partition_config_selectorILNS1_17partition_subalgoE6ExNS0_10empty_typeEbEEZZNS1_14partition_implILS5_6ELb0ES3_mN6thrust23THRUST_200600_302600_NS6detail15normal_iteratorINSA_10device_ptrIxEEEEPS6_SG_NS0_5tupleIJNSA_16discard_iteratorINSA_11use_defaultEEES6_EEENSH_IJSG_SG_EEES6_PlJNSB_9not_fun_tINSB_14equal_to_valueIxEEEEEEE10hipError_tPvRmT3_T4_T5_T6_T7_T9_mT8_P12ihipStream_tbDpT10_ENKUlT_T0_E_clISt17integral_constantIbLb0EES1A_IbLb1EEEEDaS16_S17_EUlS16_E_NS1_11comp_targetILNS1_3genE3ELNS1_11target_archE908ELNS1_3gpuE7ELNS1_3repE0EEENS1_30default_config_static_selectorELNS0_4arch9wavefront6targetE0EEEvT1_.kd
    .uniform_work_group_size: 1
    .uses_dynamic_stack: false
    .vgpr_count:     0
    .vgpr_spill_count: 0
    .wavefront_size: 32
    .workgroup_processor_mode: 1
  - .args:
      - .offset:         0
        .size:           136
        .value_kind:     by_value
    .group_segment_fixed_size: 0
    .kernarg_segment_align: 8
    .kernarg_segment_size: 136
    .language:       OpenCL C
    .language_version:
      - 2
      - 0
    .max_flat_workgroup_size: 256
    .name:           _ZN7rocprim17ROCPRIM_400000_NS6detail17trampoline_kernelINS0_14default_configENS1_25partition_config_selectorILNS1_17partition_subalgoE6ExNS0_10empty_typeEbEEZZNS1_14partition_implILS5_6ELb0ES3_mN6thrust23THRUST_200600_302600_NS6detail15normal_iteratorINSA_10device_ptrIxEEEEPS6_SG_NS0_5tupleIJNSA_16discard_iteratorINSA_11use_defaultEEES6_EEENSH_IJSG_SG_EEES6_PlJNSB_9not_fun_tINSB_14equal_to_valueIxEEEEEEE10hipError_tPvRmT3_T4_T5_T6_T7_T9_mT8_P12ihipStream_tbDpT10_ENKUlT_T0_E_clISt17integral_constantIbLb0EES1A_IbLb1EEEEDaS16_S17_EUlS16_E_NS1_11comp_targetILNS1_3genE2ELNS1_11target_archE906ELNS1_3gpuE6ELNS1_3repE0EEENS1_30default_config_static_selectorELNS0_4arch9wavefront6targetE0EEEvT1_
    .private_segment_fixed_size: 0
    .sgpr_count:     0
    .sgpr_spill_count: 0
    .symbol:         _ZN7rocprim17ROCPRIM_400000_NS6detail17trampoline_kernelINS0_14default_configENS1_25partition_config_selectorILNS1_17partition_subalgoE6ExNS0_10empty_typeEbEEZZNS1_14partition_implILS5_6ELb0ES3_mN6thrust23THRUST_200600_302600_NS6detail15normal_iteratorINSA_10device_ptrIxEEEEPS6_SG_NS0_5tupleIJNSA_16discard_iteratorINSA_11use_defaultEEES6_EEENSH_IJSG_SG_EEES6_PlJNSB_9not_fun_tINSB_14equal_to_valueIxEEEEEEE10hipError_tPvRmT3_T4_T5_T6_T7_T9_mT8_P12ihipStream_tbDpT10_ENKUlT_T0_E_clISt17integral_constantIbLb0EES1A_IbLb1EEEEDaS16_S17_EUlS16_E_NS1_11comp_targetILNS1_3genE2ELNS1_11target_archE906ELNS1_3gpuE6ELNS1_3repE0EEENS1_30default_config_static_selectorELNS0_4arch9wavefront6targetE0EEEvT1_.kd
    .uniform_work_group_size: 1
    .uses_dynamic_stack: false
    .vgpr_count:     0
    .vgpr_spill_count: 0
    .wavefront_size: 32
    .workgroup_processor_mode: 1
  - .args:
      - .offset:         0
        .size:           136
        .value_kind:     by_value
    .group_segment_fixed_size: 8464
    .kernarg_segment_align: 8
    .kernarg_segment_size: 136
    .language:       OpenCL C
    .language_version:
      - 2
      - 0
    .max_flat_workgroup_size: 256
    .name:           _ZN7rocprim17ROCPRIM_400000_NS6detail17trampoline_kernelINS0_14default_configENS1_25partition_config_selectorILNS1_17partition_subalgoE6ExNS0_10empty_typeEbEEZZNS1_14partition_implILS5_6ELb0ES3_mN6thrust23THRUST_200600_302600_NS6detail15normal_iteratorINSA_10device_ptrIxEEEEPS6_SG_NS0_5tupleIJNSA_16discard_iteratorINSA_11use_defaultEEES6_EEENSH_IJSG_SG_EEES6_PlJNSB_9not_fun_tINSB_14equal_to_valueIxEEEEEEE10hipError_tPvRmT3_T4_T5_T6_T7_T9_mT8_P12ihipStream_tbDpT10_ENKUlT_T0_E_clISt17integral_constantIbLb0EES1A_IbLb1EEEEDaS16_S17_EUlS16_E_NS1_11comp_targetILNS1_3genE10ELNS1_11target_archE1200ELNS1_3gpuE4ELNS1_3repE0EEENS1_30default_config_static_selectorELNS0_4arch9wavefront6targetE0EEEvT1_
    .private_segment_fixed_size: 0
    .sgpr_count:     24
    .sgpr_spill_count: 0
    .symbol:         _ZN7rocprim17ROCPRIM_400000_NS6detail17trampoline_kernelINS0_14default_configENS1_25partition_config_selectorILNS1_17partition_subalgoE6ExNS0_10empty_typeEbEEZZNS1_14partition_implILS5_6ELb0ES3_mN6thrust23THRUST_200600_302600_NS6detail15normal_iteratorINSA_10device_ptrIxEEEEPS6_SG_NS0_5tupleIJNSA_16discard_iteratorINSA_11use_defaultEEES6_EEENSH_IJSG_SG_EEES6_PlJNSB_9not_fun_tINSB_14equal_to_valueIxEEEEEEE10hipError_tPvRmT3_T4_T5_T6_T7_T9_mT8_P12ihipStream_tbDpT10_ENKUlT_T0_E_clISt17integral_constantIbLb0EES1A_IbLb1EEEEDaS16_S17_EUlS16_E_NS1_11comp_targetILNS1_3genE10ELNS1_11target_archE1200ELNS1_3gpuE4ELNS1_3repE0EEENS1_30default_config_static_selectorELNS0_4arch9wavefront6targetE0EEEvT1_.kd
    .uniform_work_group_size: 1
    .uses_dynamic_stack: false
    .vgpr_count:     47
    .vgpr_spill_count: 0
    .wavefront_size: 32
    .workgroup_processor_mode: 1
  - .args:
      - .offset:         0
        .size:           136
        .value_kind:     by_value
    .group_segment_fixed_size: 0
    .kernarg_segment_align: 8
    .kernarg_segment_size: 136
    .language:       OpenCL C
    .language_version:
      - 2
      - 0
    .max_flat_workgroup_size: 384
    .name:           _ZN7rocprim17ROCPRIM_400000_NS6detail17trampoline_kernelINS0_14default_configENS1_25partition_config_selectorILNS1_17partition_subalgoE6ExNS0_10empty_typeEbEEZZNS1_14partition_implILS5_6ELb0ES3_mN6thrust23THRUST_200600_302600_NS6detail15normal_iteratorINSA_10device_ptrIxEEEEPS6_SG_NS0_5tupleIJNSA_16discard_iteratorINSA_11use_defaultEEES6_EEENSH_IJSG_SG_EEES6_PlJNSB_9not_fun_tINSB_14equal_to_valueIxEEEEEEE10hipError_tPvRmT3_T4_T5_T6_T7_T9_mT8_P12ihipStream_tbDpT10_ENKUlT_T0_E_clISt17integral_constantIbLb0EES1A_IbLb1EEEEDaS16_S17_EUlS16_E_NS1_11comp_targetILNS1_3genE9ELNS1_11target_archE1100ELNS1_3gpuE3ELNS1_3repE0EEENS1_30default_config_static_selectorELNS0_4arch9wavefront6targetE0EEEvT1_
    .private_segment_fixed_size: 0
    .sgpr_count:     0
    .sgpr_spill_count: 0
    .symbol:         _ZN7rocprim17ROCPRIM_400000_NS6detail17trampoline_kernelINS0_14default_configENS1_25partition_config_selectorILNS1_17partition_subalgoE6ExNS0_10empty_typeEbEEZZNS1_14partition_implILS5_6ELb0ES3_mN6thrust23THRUST_200600_302600_NS6detail15normal_iteratorINSA_10device_ptrIxEEEEPS6_SG_NS0_5tupleIJNSA_16discard_iteratorINSA_11use_defaultEEES6_EEENSH_IJSG_SG_EEES6_PlJNSB_9not_fun_tINSB_14equal_to_valueIxEEEEEEE10hipError_tPvRmT3_T4_T5_T6_T7_T9_mT8_P12ihipStream_tbDpT10_ENKUlT_T0_E_clISt17integral_constantIbLb0EES1A_IbLb1EEEEDaS16_S17_EUlS16_E_NS1_11comp_targetILNS1_3genE9ELNS1_11target_archE1100ELNS1_3gpuE3ELNS1_3repE0EEENS1_30default_config_static_selectorELNS0_4arch9wavefront6targetE0EEEvT1_.kd
    .uniform_work_group_size: 1
    .uses_dynamic_stack: false
    .vgpr_count:     0
    .vgpr_spill_count: 0
    .wavefront_size: 32
    .workgroup_processor_mode: 1
  - .args:
      - .offset:         0
        .size:           136
        .value_kind:     by_value
    .group_segment_fixed_size: 0
    .kernarg_segment_align: 8
    .kernarg_segment_size: 136
    .language:       OpenCL C
    .language_version:
      - 2
      - 0
    .max_flat_workgroup_size: 512
    .name:           _ZN7rocprim17ROCPRIM_400000_NS6detail17trampoline_kernelINS0_14default_configENS1_25partition_config_selectorILNS1_17partition_subalgoE6ExNS0_10empty_typeEbEEZZNS1_14partition_implILS5_6ELb0ES3_mN6thrust23THRUST_200600_302600_NS6detail15normal_iteratorINSA_10device_ptrIxEEEEPS6_SG_NS0_5tupleIJNSA_16discard_iteratorINSA_11use_defaultEEES6_EEENSH_IJSG_SG_EEES6_PlJNSB_9not_fun_tINSB_14equal_to_valueIxEEEEEEE10hipError_tPvRmT3_T4_T5_T6_T7_T9_mT8_P12ihipStream_tbDpT10_ENKUlT_T0_E_clISt17integral_constantIbLb0EES1A_IbLb1EEEEDaS16_S17_EUlS16_E_NS1_11comp_targetILNS1_3genE8ELNS1_11target_archE1030ELNS1_3gpuE2ELNS1_3repE0EEENS1_30default_config_static_selectorELNS0_4arch9wavefront6targetE0EEEvT1_
    .private_segment_fixed_size: 0
    .sgpr_count:     0
    .sgpr_spill_count: 0
    .symbol:         _ZN7rocprim17ROCPRIM_400000_NS6detail17trampoline_kernelINS0_14default_configENS1_25partition_config_selectorILNS1_17partition_subalgoE6ExNS0_10empty_typeEbEEZZNS1_14partition_implILS5_6ELb0ES3_mN6thrust23THRUST_200600_302600_NS6detail15normal_iteratorINSA_10device_ptrIxEEEEPS6_SG_NS0_5tupleIJNSA_16discard_iteratorINSA_11use_defaultEEES6_EEENSH_IJSG_SG_EEES6_PlJNSB_9not_fun_tINSB_14equal_to_valueIxEEEEEEE10hipError_tPvRmT3_T4_T5_T6_T7_T9_mT8_P12ihipStream_tbDpT10_ENKUlT_T0_E_clISt17integral_constantIbLb0EES1A_IbLb1EEEEDaS16_S17_EUlS16_E_NS1_11comp_targetILNS1_3genE8ELNS1_11target_archE1030ELNS1_3gpuE2ELNS1_3repE0EEENS1_30default_config_static_selectorELNS0_4arch9wavefront6targetE0EEEvT1_.kd
    .uniform_work_group_size: 1
    .uses_dynamic_stack: false
    .vgpr_count:     0
    .vgpr_spill_count: 0
    .wavefront_size: 32
    .workgroup_processor_mode: 1
  - .args:
      - .offset:         0
        .size:           128
        .value_kind:     by_value
    .group_segment_fixed_size: 0
    .kernarg_segment_align: 8
    .kernarg_segment_size: 128
    .language:       OpenCL C
    .language_version:
      - 2
      - 0
    .max_flat_workgroup_size: 256
    .name:           _ZN7rocprim17ROCPRIM_400000_NS6detail17trampoline_kernelINS0_14default_configENS1_25partition_config_selectorILNS1_17partition_subalgoE6EiNS0_10empty_typeEbEEZZNS1_14partition_implILS5_6ELb0ES3_mN6thrust23THRUST_200600_302600_NS6detail15normal_iteratorINSA_10device_ptrIiEEEEPS6_SG_NS0_5tupleIJNSA_16discard_iteratorINSA_11use_defaultEEES6_EEENSH_IJSG_SG_EEES6_PlJNSB_9not_fun_tINSB_14equal_to_valueIiEEEEEEE10hipError_tPvRmT3_T4_T5_T6_T7_T9_mT8_P12ihipStream_tbDpT10_ENKUlT_T0_E_clISt17integral_constantIbLb0EES1B_EEDaS16_S17_EUlS16_E_NS1_11comp_targetILNS1_3genE0ELNS1_11target_archE4294967295ELNS1_3gpuE0ELNS1_3repE0EEENS1_30default_config_static_selectorELNS0_4arch9wavefront6targetE0EEEvT1_
    .private_segment_fixed_size: 0
    .sgpr_count:     0
    .sgpr_spill_count: 0
    .symbol:         _ZN7rocprim17ROCPRIM_400000_NS6detail17trampoline_kernelINS0_14default_configENS1_25partition_config_selectorILNS1_17partition_subalgoE6EiNS0_10empty_typeEbEEZZNS1_14partition_implILS5_6ELb0ES3_mN6thrust23THRUST_200600_302600_NS6detail15normal_iteratorINSA_10device_ptrIiEEEEPS6_SG_NS0_5tupleIJNSA_16discard_iteratorINSA_11use_defaultEEES6_EEENSH_IJSG_SG_EEES6_PlJNSB_9not_fun_tINSB_14equal_to_valueIiEEEEEEE10hipError_tPvRmT3_T4_T5_T6_T7_T9_mT8_P12ihipStream_tbDpT10_ENKUlT_T0_E_clISt17integral_constantIbLb0EES1B_EEDaS16_S17_EUlS16_E_NS1_11comp_targetILNS1_3genE0ELNS1_11target_archE4294967295ELNS1_3gpuE0ELNS1_3repE0EEENS1_30default_config_static_selectorELNS0_4arch9wavefront6targetE0EEEvT1_.kd
    .uniform_work_group_size: 1
    .uses_dynamic_stack: false
    .vgpr_count:     0
    .vgpr_spill_count: 0
    .wavefront_size: 32
    .workgroup_processor_mode: 1
  - .args:
      - .offset:         0
        .size:           128
        .value_kind:     by_value
    .group_segment_fixed_size: 0
    .kernarg_segment_align: 8
    .kernarg_segment_size: 128
    .language:       OpenCL C
    .language_version:
      - 2
      - 0
    .max_flat_workgroup_size: 512
    .name:           _ZN7rocprim17ROCPRIM_400000_NS6detail17trampoline_kernelINS0_14default_configENS1_25partition_config_selectorILNS1_17partition_subalgoE6EiNS0_10empty_typeEbEEZZNS1_14partition_implILS5_6ELb0ES3_mN6thrust23THRUST_200600_302600_NS6detail15normal_iteratorINSA_10device_ptrIiEEEEPS6_SG_NS0_5tupleIJNSA_16discard_iteratorINSA_11use_defaultEEES6_EEENSH_IJSG_SG_EEES6_PlJNSB_9not_fun_tINSB_14equal_to_valueIiEEEEEEE10hipError_tPvRmT3_T4_T5_T6_T7_T9_mT8_P12ihipStream_tbDpT10_ENKUlT_T0_E_clISt17integral_constantIbLb0EES1B_EEDaS16_S17_EUlS16_E_NS1_11comp_targetILNS1_3genE5ELNS1_11target_archE942ELNS1_3gpuE9ELNS1_3repE0EEENS1_30default_config_static_selectorELNS0_4arch9wavefront6targetE0EEEvT1_
    .private_segment_fixed_size: 0
    .sgpr_count:     0
    .sgpr_spill_count: 0
    .symbol:         _ZN7rocprim17ROCPRIM_400000_NS6detail17trampoline_kernelINS0_14default_configENS1_25partition_config_selectorILNS1_17partition_subalgoE6EiNS0_10empty_typeEbEEZZNS1_14partition_implILS5_6ELb0ES3_mN6thrust23THRUST_200600_302600_NS6detail15normal_iteratorINSA_10device_ptrIiEEEEPS6_SG_NS0_5tupleIJNSA_16discard_iteratorINSA_11use_defaultEEES6_EEENSH_IJSG_SG_EEES6_PlJNSB_9not_fun_tINSB_14equal_to_valueIiEEEEEEE10hipError_tPvRmT3_T4_T5_T6_T7_T9_mT8_P12ihipStream_tbDpT10_ENKUlT_T0_E_clISt17integral_constantIbLb0EES1B_EEDaS16_S17_EUlS16_E_NS1_11comp_targetILNS1_3genE5ELNS1_11target_archE942ELNS1_3gpuE9ELNS1_3repE0EEENS1_30default_config_static_selectorELNS0_4arch9wavefront6targetE0EEEvT1_.kd
    .uniform_work_group_size: 1
    .uses_dynamic_stack: false
    .vgpr_count:     0
    .vgpr_spill_count: 0
    .wavefront_size: 32
    .workgroup_processor_mode: 1
  - .args:
      - .offset:         0
        .size:           128
        .value_kind:     by_value
    .group_segment_fixed_size: 0
    .kernarg_segment_align: 8
    .kernarg_segment_size: 128
    .language:       OpenCL C
    .language_version:
      - 2
      - 0
    .max_flat_workgroup_size: 512
    .name:           _ZN7rocprim17ROCPRIM_400000_NS6detail17trampoline_kernelINS0_14default_configENS1_25partition_config_selectorILNS1_17partition_subalgoE6EiNS0_10empty_typeEbEEZZNS1_14partition_implILS5_6ELb0ES3_mN6thrust23THRUST_200600_302600_NS6detail15normal_iteratorINSA_10device_ptrIiEEEEPS6_SG_NS0_5tupleIJNSA_16discard_iteratorINSA_11use_defaultEEES6_EEENSH_IJSG_SG_EEES6_PlJNSB_9not_fun_tINSB_14equal_to_valueIiEEEEEEE10hipError_tPvRmT3_T4_T5_T6_T7_T9_mT8_P12ihipStream_tbDpT10_ENKUlT_T0_E_clISt17integral_constantIbLb0EES1B_EEDaS16_S17_EUlS16_E_NS1_11comp_targetILNS1_3genE4ELNS1_11target_archE910ELNS1_3gpuE8ELNS1_3repE0EEENS1_30default_config_static_selectorELNS0_4arch9wavefront6targetE0EEEvT1_
    .private_segment_fixed_size: 0
    .sgpr_count:     0
    .sgpr_spill_count: 0
    .symbol:         _ZN7rocprim17ROCPRIM_400000_NS6detail17trampoline_kernelINS0_14default_configENS1_25partition_config_selectorILNS1_17partition_subalgoE6EiNS0_10empty_typeEbEEZZNS1_14partition_implILS5_6ELb0ES3_mN6thrust23THRUST_200600_302600_NS6detail15normal_iteratorINSA_10device_ptrIiEEEEPS6_SG_NS0_5tupleIJNSA_16discard_iteratorINSA_11use_defaultEEES6_EEENSH_IJSG_SG_EEES6_PlJNSB_9not_fun_tINSB_14equal_to_valueIiEEEEEEE10hipError_tPvRmT3_T4_T5_T6_T7_T9_mT8_P12ihipStream_tbDpT10_ENKUlT_T0_E_clISt17integral_constantIbLb0EES1B_EEDaS16_S17_EUlS16_E_NS1_11comp_targetILNS1_3genE4ELNS1_11target_archE910ELNS1_3gpuE8ELNS1_3repE0EEENS1_30default_config_static_selectorELNS0_4arch9wavefront6targetE0EEEvT1_.kd
    .uniform_work_group_size: 1
    .uses_dynamic_stack: false
    .vgpr_count:     0
    .vgpr_spill_count: 0
    .wavefront_size: 32
    .workgroup_processor_mode: 1
  - .args:
      - .offset:         0
        .size:           128
        .value_kind:     by_value
    .group_segment_fixed_size: 0
    .kernarg_segment_align: 8
    .kernarg_segment_size: 128
    .language:       OpenCL C
    .language_version:
      - 2
      - 0
    .max_flat_workgroup_size: 256
    .name:           _ZN7rocprim17ROCPRIM_400000_NS6detail17trampoline_kernelINS0_14default_configENS1_25partition_config_selectorILNS1_17partition_subalgoE6EiNS0_10empty_typeEbEEZZNS1_14partition_implILS5_6ELb0ES3_mN6thrust23THRUST_200600_302600_NS6detail15normal_iteratorINSA_10device_ptrIiEEEEPS6_SG_NS0_5tupleIJNSA_16discard_iteratorINSA_11use_defaultEEES6_EEENSH_IJSG_SG_EEES6_PlJNSB_9not_fun_tINSB_14equal_to_valueIiEEEEEEE10hipError_tPvRmT3_T4_T5_T6_T7_T9_mT8_P12ihipStream_tbDpT10_ENKUlT_T0_E_clISt17integral_constantIbLb0EES1B_EEDaS16_S17_EUlS16_E_NS1_11comp_targetILNS1_3genE3ELNS1_11target_archE908ELNS1_3gpuE7ELNS1_3repE0EEENS1_30default_config_static_selectorELNS0_4arch9wavefront6targetE0EEEvT1_
    .private_segment_fixed_size: 0
    .sgpr_count:     0
    .sgpr_spill_count: 0
    .symbol:         _ZN7rocprim17ROCPRIM_400000_NS6detail17trampoline_kernelINS0_14default_configENS1_25partition_config_selectorILNS1_17partition_subalgoE6EiNS0_10empty_typeEbEEZZNS1_14partition_implILS5_6ELb0ES3_mN6thrust23THRUST_200600_302600_NS6detail15normal_iteratorINSA_10device_ptrIiEEEEPS6_SG_NS0_5tupleIJNSA_16discard_iteratorINSA_11use_defaultEEES6_EEENSH_IJSG_SG_EEES6_PlJNSB_9not_fun_tINSB_14equal_to_valueIiEEEEEEE10hipError_tPvRmT3_T4_T5_T6_T7_T9_mT8_P12ihipStream_tbDpT10_ENKUlT_T0_E_clISt17integral_constantIbLb0EES1B_EEDaS16_S17_EUlS16_E_NS1_11comp_targetILNS1_3genE3ELNS1_11target_archE908ELNS1_3gpuE7ELNS1_3repE0EEENS1_30default_config_static_selectorELNS0_4arch9wavefront6targetE0EEEvT1_.kd
    .uniform_work_group_size: 1
    .uses_dynamic_stack: false
    .vgpr_count:     0
    .vgpr_spill_count: 0
    .wavefront_size: 32
    .workgroup_processor_mode: 1
  - .args:
      - .offset:         0
        .size:           128
        .value_kind:     by_value
    .group_segment_fixed_size: 0
    .kernarg_segment_align: 8
    .kernarg_segment_size: 128
    .language:       OpenCL C
    .language_version:
      - 2
      - 0
    .max_flat_workgroup_size: 192
    .name:           _ZN7rocprim17ROCPRIM_400000_NS6detail17trampoline_kernelINS0_14default_configENS1_25partition_config_selectorILNS1_17partition_subalgoE6EiNS0_10empty_typeEbEEZZNS1_14partition_implILS5_6ELb0ES3_mN6thrust23THRUST_200600_302600_NS6detail15normal_iteratorINSA_10device_ptrIiEEEEPS6_SG_NS0_5tupleIJNSA_16discard_iteratorINSA_11use_defaultEEES6_EEENSH_IJSG_SG_EEES6_PlJNSB_9not_fun_tINSB_14equal_to_valueIiEEEEEEE10hipError_tPvRmT3_T4_T5_T6_T7_T9_mT8_P12ihipStream_tbDpT10_ENKUlT_T0_E_clISt17integral_constantIbLb0EES1B_EEDaS16_S17_EUlS16_E_NS1_11comp_targetILNS1_3genE2ELNS1_11target_archE906ELNS1_3gpuE6ELNS1_3repE0EEENS1_30default_config_static_selectorELNS0_4arch9wavefront6targetE0EEEvT1_
    .private_segment_fixed_size: 0
    .sgpr_count:     0
    .sgpr_spill_count: 0
    .symbol:         _ZN7rocprim17ROCPRIM_400000_NS6detail17trampoline_kernelINS0_14default_configENS1_25partition_config_selectorILNS1_17partition_subalgoE6EiNS0_10empty_typeEbEEZZNS1_14partition_implILS5_6ELb0ES3_mN6thrust23THRUST_200600_302600_NS6detail15normal_iteratorINSA_10device_ptrIiEEEEPS6_SG_NS0_5tupleIJNSA_16discard_iteratorINSA_11use_defaultEEES6_EEENSH_IJSG_SG_EEES6_PlJNSB_9not_fun_tINSB_14equal_to_valueIiEEEEEEE10hipError_tPvRmT3_T4_T5_T6_T7_T9_mT8_P12ihipStream_tbDpT10_ENKUlT_T0_E_clISt17integral_constantIbLb0EES1B_EEDaS16_S17_EUlS16_E_NS1_11comp_targetILNS1_3genE2ELNS1_11target_archE906ELNS1_3gpuE6ELNS1_3repE0EEENS1_30default_config_static_selectorELNS0_4arch9wavefront6targetE0EEEvT1_.kd
    .uniform_work_group_size: 1
    .uses_dynamic_stack: false
    .vgpr_count:     0
    .vgpr_spill_count: 0
    .wavefront_size: 32
    .workgroup_processor_mode: 1
  - .args:
      - .offset:         0
        .size:           128
        .value_kind:     by_value
    .group_segment_fixed_size: 10768
    .kernarg_segment_align: 8
    .kernarg_segment_size: 128
    .language:       OpenCL C
    .language_version:
      - 2
      - 0
    .max_flat_workgroup_size: 384
    .name:           _ZN7rocprim17ROCPRIM_400000_NS6detail17trampoline_kernelINS0_14default_configENS1_25partition_config_selectorILNS1_17partition_subalgoE6EiNS0_10empty_typeEbEEZZNS1_14partition_implILS5_6ELb0ES3_mN6thrust23THRUST_200600_302600_NS6detail15normal_iteratorINSA_10device_ptrIiEEEEPS6_SG_NS0_5tupleIJNSA_16discard_iteratorINSA_11use_defaultEEES6_EEENSH_IJSG_SG_EEES6_PlJNSB_9not_fun_tINSB_14equal_to_valueIiEEEEEEE10hipError_tPvRmT3_T4_T5_T6_T7_T9_mT8_P12ihipStream_tbDpT10_ENKUlT_T0_E_clISt17integral_constantIbLb0EES1B_EEDaS16_S17_EUlS16_E_NS1_11comp_targetILNS1_3genE10ELNS1_11target_archE1200ELNS1_3gpuE4ELNS1_3repE0EEENS1_30default_config_static_selectorELNS0_4arch9wavefront6targetE0EEEvT1_
    .private_segment_fixed_size: 0
    .sgpr_count:     24
    .sgpr_spill_count: 0
    .symbol:         _ZN7rocprim17ROCPRIM_400000_NS6detail17trampoline_kernelINS0_14default_configENS1_25partition_config_selectorILNS1_17partition_subalgoE6EiNS0_10empty_typeEbEEZZNS1_14partition_implILS5_6ELb0ES3_mN6thrust23THRUST_200600_302600_NS6detail15normal_iteratorINSA_10device_ptrIiEEEEPS6_SG_NS0_5tupleIJNSA_16discard_iteratorINSA_11use_defaultEEES6_EEENSH_IJSG_SG_EEES6_PlJNSB_9not_fun_tINSB_14equal_to_valueIiEEEEEEE10hipError_tPvRmT3_T4_T5_T6_T7_T9_mT8_P12ihipStream_tbDpT10_ENKUlT_T0_E_clISt17integral_constantIbLb0EES1B_EEDaS16_S17_EUlS16_E_NS1_11comp_targetILNS1_3genE10ELNS1_11target_archE1200ELNS1_3gpuE4ELNS1_3repE0EEENS1_30default_config_static_selectorELNS0_4arch9wavefront6targetE0EEEvT1_.kd
    .uniform_work_group_size: 1
    .uses_dynamic_stack: false
    .vgpr_count:     48
    .vgpr_spill_count: 0
    .wavefront_size: 32
    .workgroup_processor_mode: 1
  - .args:
      - .offset:         0
        .size:           128
        .value_kind:     by_value
    .group_segment_fixed_size: 0
    .kernarg_segment_align: 8
    .kernarg_segment_size: 128
    .language:       OpenCL C
    .language_version:
      - 2
      - 0
    .max_flat_workgroup_size: 128
    .name:           _ZN7rocprim17ROCPRIM_400000_NS6detail17trampoline_kernelINS0_14default_configENS1_25partition_config_selectorILNS1_17partition_subalgoE6EiNS0_10empty_typeEbEEZZNS1_14partition_implILS5_6ELb0ES3_mN6thrust23THRUST_200600_302600_NS6detail15normal_iteratorINSA_10device_ptrIiEEEEPS6_SG_NS0_5tupleIJNSA_16discard_iteratorINSA_11use_defaultEEES6_EEENSH_IJSG_SG_EEES6_PlJNSB_9not_fun_tINSB_14equal_to_valueIiEEEEEEE10hipError_tPvRmT3_T4_T5_T6_T7_T9_mT8_P12ihipStream_tbDpT10_ENKUlT_T0_E_clISt17integral_constantIbLb0EES1B_EEDaS16_S17_EUlS16_E_NS1_11comp_targetILNS1_3genE9ELNS1_11target_archE1100ELNS1_3gpuE3ELNS1_3repE0EEENS1_30default_config_static_selectorELNS0_4arch9wavefront6targetE0EEEvT1_
    .private_segment_fixed_size: 0
    .sgpr_count:     0
    .sgpr_spill_count: 0
    .symbol:         _ZN7rocprim17ROCPRIM_400000_NS6detail17trampoline_kernelINS0_14default_configENS1_25partition_config_selectorILNS1_17partition_subalgoE6EiNS0_10empty_typeEbEEZZNS1_14partition_implILS5_6ELb0ES3_mN6thrust23THRUST_200600_302600_NS6detail15normal_iteratorINSA_10device_ptrIiEEEEPS6_SG_NS0_5tupleIJNSA_16discard_iteratorINSA_11use_defaultEEES6_EEENSH_IJSG_SG_EEES6_PlJNSB_9not_fun_tINSB_14equal_to_valueIiEEEEEEE10hipError_tPvRmT3_T4_T5_T6_T7_T9_mT8_P12ihipStream_tbDpT10_ENKUlT_T0_E_clISt17integral_constantIbLb0EES1B_EEDaS16_S17_EUlS16_E_NS1_11comp_targetILNS1_3genE9ELNS1_11target_archE1100ELNS1_3gpuE3ELNS1_3repE0EEENS1_30default_config_static_selectorELNS0_4arch9wavefront6targetE0EEEvT1_.kd
    .uniform_work_group_size: 1
    .uses_dynamic_stack: false
    .vgpr_count:     0
    .vgpr_spill_count: 0
    .wavefront_size: 32
    .workgroup_processor_mode: 1
  - .args:
      - .offset:         0
        .size:           128
        .value_kind:     by_value
    .group_segment_fixed_size: 0
    .kernarg_segment_align: 8
    .kernarg_segment_size: 128
    .language:       OpenCL C
    .language_version:
      - 2
      - 0
    .max_flat_workgroup_size: 512
    .name:           _ZN7rocprim17ROCPRIM_400000_NS6detail17trampoline_kernelINS0_14default_configENS1_25partition_config_selectorILNS1_17partition_subalgoE6EiNS0_10empty_typeEbEEZZNS1_14partition_implILS5_6ELb0ES3_mN6thrust23THRUST_200600_302600_NS6detail15normal_iteratorINSA_10device_ptrIiEEEEPS6_SG_NS0_5tupleIJNSA_16discard_iteratorINSA_11use_defaultEEES6_EEENSH_IJSG_SG_EEES6_PlJNSB_9not_fun_tINSB_14equal_to_valueIiEEEEEEE10hipError_tPvRmT3_T4_T5_T6_T7_T9_mT8_P12ihipStream_tbDpT10_ENKUlT_T0_E_clISt17integral_constantIbLb0EES1B_EEDaS16_S17_EUlS16_E_NS1_11comp_targetILNS1_3genE8ELNS1_11target_archE1030ELNS1_3gpuE2ELNS1_3repE0EEENS1_30default_config_static_selectorELNS0_4arch9wavefront6targetE0EEEvT1_
    .private_segment_fixed_size: 0
    .sgpr_count:     0
    .sgpr_spill_count: 0
    .symbol:         _ZN7rocprim17ROCPRIM_400000_NS6detail17trampoline_kernelINS0_14default_configENS1_25partition_config_selectorILNS1_17partition_subalgoE6EiNS0_10empty_typeEbEEZZNS1_14partition_implILS5_6ELb0ES3_mN6thrust23THRUST_200600_302600_NS6detail15normal_iteratorINSA_10device_ptrIiEEEEPS6_SG_NS0_5tupleIJNSA_16discard_iteratorINSA_11use_defaultEEES6_EEENSH_IJSG_SG_EEES6_PlJNSB_9not_fun_tINSB_14equal_to_valueIiEEEEEEE10hipError_tPvRmT3_T4_T5_T6_T7_T9_mT8_P12ihipStream_tbDpT10_ENKUlT_T0_E_clISt17integral_constantIbLb0EES1B_EEDaS16_S17_EUlS16_E_NS1_11comp_targetILNS1_3genE8ELNS1_11target_archE1030ELNS1_3gpuE2ELNS1_3repE0EEENS1_30default_config_static_selectorELNS0_4arch9wavefront6targetE0EEEvT1_.kd
    .uniform_work_group_size: 1
    .uses_dynamic_stack: false
    .vgpr_count:     0
    .vgpr_spill_count: 0
    .wavefront_size: 32
    .workgroup_processor_mode: 1
  - .args:
      - .offset:         0
        .size:           136
        .value_kind:     by_value
    .group_segment_fixed_size: 0
    .kernarg_segment_align: 8
    .kernarg_segment_size: 136
    .language:       OpenCL C
    .language_version:
      - 2
      - 0
    .max_flat_workgroup_size: 256
    .name:           _ZN7rocprim17ROCPRIM_400000_NS6detail17trampoline_kernelINS0_14default_configENS1_25partition_config_selectorILNS1_17partition_subalgoE6EiNS0_10empty_typeEbEEZZNS1_14partition_implILS5_6ELb0ES3_mN6thrust23THRUST_200600_302600_NS6detail15normal_iteratorINSA_10device_ptrIiEEEEPS6_SG_NS0_5tupleIJNSA_16discard_iteratorINSA_11use_defaultEEES6_EEENSH_IJSG_SG_EEES6_PlJNSB_9not_fun_tINSB_14equal_to_valueIiEEEEEEE10hipError_tPvRmT3_T4_T5_T6_T7_T9_mT8_P12ihipStream_tbDpT10_ENKUlT_T0_E_clISt17integral_constantIbLb1EES1B_EEDaS16_S17_EUlS16_E_NS1_11comp_targetILNS1_3genE0ELNS1_11target_archE4294967295ELNS1_3gpuE0ELNS1_3repE0EEENS1_30default_config_static_selectorELNS0_4arch9wavefront6targetE0EEEvT1_
    .private_segment_fixed_size: 0
    .sgpr_count:     0
    .sgpr_spill_count: 0
    .symbol:         _ZN7rocprim17ROCPRIM_400000_NS6detail17trampoline_kernelINS0_14default_configENS1_25partition_config_selectorILNS1_17partition_subalgoE6EiNS0_10empty_typeEbEEZZNS1_14partition_implILS5_6ELb0ES3_mN6thrust23THRUST_200600_302600_NS6detail15normal_iteratorINSA_10device_ptrIiEEEEPS6_SG_NS0_5tupleIJNSA_16discard_iteratorINSA_11use_defaultEEES6_EEENSH_IJSG_SG_EEES6_PlJNSB_9not_fun_tINSB_14equal_to_valueIiEEEEEEE10hipError_tPvRmT3_T4_T5_T6_T7_T9_mT8_P12ihipStream_tbDpT10_ENKUlT_T0_E_clISt17integral_constantIbLb1EES1B_EEDaS16_S17_EUlS16_E_NS1_11comp_targetILNS1_3genE0ELNS1_11target_archE4294967295ELNS1_3gpuE0ELNS1_3repE0EEENS1_30default_config_static_selectorELNS0_4arch9wavefront6targetE0EEEvT1_.kd
    .uniform_work_group_size: 1
    .uses_dynamic_stack: false
    .vgpr_count:     0
    .vgpr_spill_count: 0
    .wavefront_size: 32
    .workgroup_processor_mode: 1
  - .args:
      - .offset:         0
        .size:           136
        .value_kind:     by_value
    .group_segment_fixed_size: 0
    .kernarg_segment_align: 8
    .kernarg_segment_size: 136
    .language:       OpenCL C
    .language_version:
      - 2
      - 0
    .max_flat_workgroup_size: 512
    .name:           _ZN7rocprim17ROCPRIM_400000_NS6detail17trampoline_kernelINS0_14default_configENS1_25partition_config_selectorILNS1_17partition_subalgoE6EiNS0_10empty_typeEbEEZZNS1_14partition_implILS5_6ELb0ES3_mN6thrust23THRUST_200600_302600_NS6detail15normal_iteratorINSA_10device_ptrIiEEEEPS6_SG_NS0_5tupleIJNSA_16discard_iteratorINSA_11use_defaultEEES6_EEENSH_IJSG_SG_EEES6_PlJNSB_9not_fun_tINSB_14equal_to_valueIiEEEEEEE10hipError_tPvRmT3_T4_T5_T6_T7_T9_mT8_P12ihipStream_tbDpT10_ENKUlT_T0_E_clISt17integral_constantIbLb1EES1B_EEDaS16_S17_EUlS16_E_NS1_11comp_targetILNS1_3genE5ELNS1_11target_archE942ELNS1_3gpuE9ELNS1_3repE0EEENS1_30default_config_static_selectorELNS0_4arch9wavefront6targetE0EEEvT1_
    .private_segment_fixed_size: 0
    .sgpr_count:     0
    .sgpr_spill_count: 0
    .symbol:         _ZN7rocprim17ROCPRIM_400000_NS6detail17trampoline_kernelINS0_14default_configENS1_25partition_config_selectorILNS1_17partition_subalgoE6EiNS0_10empty_typeEbEEZZNS1_14partition_implILS5_6ELb0ES3_mN6thrust23THRUST_200600_302600_NS6detail15normal_iteratorINSA_10device_ptrIiEEEEPS6_SG_NS0_5tupleIJNSA_16discard_iteratorINSA_11use_defaultEEES6_EEENSH_IJSG_SG_EEES6_PlJNSB_9not_fun_tINSB_14equal_to_valueIiEEEEEEE10hipError_tPvRmT3_T4_T5_T6_T7_T9_mT8_P12ihipStream_tbDpT10_ENKUlT_T0_E_clISt17integral_constantIbLb1EES1B_EEDaS16_S17_EUlS16_E_NS1_11comp_targetILNS1_3genE5ELNS1_11target_archE942ELNS1_3gpuE9ELNS1_3repE0EEENS1_30default_config_static_selectorELNS0_4arch9wavefront6targetE0EEEvT1_.kd
    .uniform_work_group_size: 1
    .uses_dynamic_stack: false
    .vgpr_count:     0
    .vgpr_spill_count: 0
    .wavefront_size: 32
    .workgroup_processor_mode: 1
  - .args:
      - .offset:         0
        .size:           136
        .value_kind:     by_value
    .group_segment_fixed_size: 0
    .kernarg_segment_align: 8
    .kernarg_segment_size: 136
    .language:       OpenCL C
    .language_version:
      - 2
      - 0
    .max_flat_workgroup_size: 512
    .name:           _ZN7rocprim17ROCPRIM_400000_NS6detail17trampoline_kernelINS0_14default_configENS1_25partition_config_selectorILNS1_17partition_subalgoE6EiNS0_10empty_typeEbEEZZNS1_14partition_implILS5_6ELb0ES3_mN6thrust23THRUST_200600_302600_NS6detail15normal_iteratorINSA_10device_ptrIiEEEEPS6_SG_NS0_5tupleIJNSA_16discard_iteratorINSA_11use_defaultEEES6_EEENSH_IJSG_SG_EEES6_PlJNSB_9not_fun_tINSB_14equal_to_valueIiEEEEEEE10hipError_tPvRmT3_T4_T5_T6_T7_T9_mT8_P12ihipStream_tbDpT10_ENKUlT_T0_E_clISt17integral_constantIbLb1EES1B_EEDaS16_S17_EUlS16_E_NS1_11comp_targetILNS1_3genE4ELNS1_11target_archE910ELNS1_3gpuE8ELNS1_3repE0EEENS1_30default_config_static_selectorELNS0_4arch9wavefront6targetE0EEEvT1_
    .private_segment_fixed_size: 0
    .sgpr_count:     0
    .sgpr_spill_count: 0
    .symbol:         _ZN7rocprim17ROCPRIM_400000_NS6detail17trampoline_kernelINS0_14default_configENS1_25partition_config_selectorILNS1_17partition_subalgoE6EiNS0_10empty_typeEbEEZZNS1_14partition_implILS5_6ELb0ES3_mN6thrust23THRUST_200600_302600_NS6detail15normal_iteratorINSA_10device_ptrIiEEEEPS6_SG_NS0_5tupleIJNSA_16discard_iteratorINSA_11use_defaultEEES6_EEENSH_IJSG_SG_EEES6_PlJNSB_9not_fun_tINSB_14equal_to_valueIiEEEEEEE10hipError_tPvRmT3_T4_T5_T6_T7_T9_mT8_P12ihipStream_tbDpT10_ENKUlT_T0_E_clISt17integral_constantIbLb1EES1B_EEDaS16_S17_EUlS16_E_NS1_11comp_targetILNS1_3genE4ELNS1_11target_archE910ELNS1_3gpuE8ELNS1_3repE0EEENS1_30default_config_static_selectorELNS0_4arch9wavefront6targetE0EEEvT1_.kd
    .uniform_work_group_size: 1
    .uses_dynamic_stack: false
    .vgpr_count:     0
    .vgpr_spill_count: 0
    .wavefront_size: 32
    .workgroup_processor_mode: 1
  - .args:
      - .offset:         0
        .size:           136
        .value_kind:     by_value
    .group_segment_fixed_size: 0
    .kernarg_segment_align: 8
    .kernarg_segment_size: 136
    .language:       OpenCL C
    .language_version:
      - 2
      - 0
    .max_flat_workgroup_size: 256
    .name:           _ZN7rocprim17ROCPRIM_400000_NS6detail17trampoline_kernelINS0_14default_configENS1_25partition_config_selectorILNS1_17partition_subalgoE6EiNS0_10empty_typeEbEEZZNS1_14partition_implILS5_6ELb0ES3_mN6thrust23THRUST_200600_302600_NS6detail15normal_iteratorINSA_10device_ptrIiEEEEPS6_SG_NS0_5tupleIJNSA_16discard_iteratorINSA_11use_defaultEEES6_EEENSH_IJSG_SG_EEES6_PlJNSB_9not_fun_tINSB_14equal_to_valueIiEEEEEEE10hipError_tPvRmT3_T4_T5_T6_T7_T9_mT8_P12ihipStream_tbDpT10_ENKUlT_T0_E_clISt17integral_constantIbLb1EES1B_EEDaS16_S17_EUlS16_E_NS1_11comp_targetILNS1_3genE3ELNS1_11target_archE908ELNS1_3gpuE7ELNS1_3repE0EEENS1_30default_config_static_selectorELNS0_4arch9wavefront6targetE0EEEvT1_
    .private_segment_fixed_size: 0
    .sgpr_count:     0
    .sgpr_spill_count: 0
    .symbol:         _ZN7rocprim17ROCPRIM_400000_NS6detail17trampoline_kernelINS0_14default_configENS1_25partition_config_selectorILNS1_17partition_subalgoE6EiNS0_10empty_typeEbEEZZNS1_14partition_implILS5_6ELb0ES3_mN6thrust23THRUST_200600_302600_NS6detail15normal_iteratorINSA_10device_ptrIiEEEEPS6_SG_NS0_5tupleIJNSA_16discard_iteratorINSA_11use_defaultEEES6_EEENSH_IJSG_SG_EEES6_PlJNSB_9not_fun_tINSB_14equal_to_valueIiEEEEEEE10hipError_tPvRmT3_T4_T5_T6_T7_T9_mT8_P12ihipStream_tbDpT10_ENKUlT_T0_E_clISt17integral_constantIbLb1EES1B_EEDaS16_S17_EUlS16_E_NS1_11comp_targetILNS1_3genE3ELNS1_11target_archE908ELNS1_3gpuE7ELNS1_3repE0EEENS1_30default_config_static_selectorELNS0_4arch9wavefront6targetE0EEEvT1_.kd
    .uniform_work_group_size: 1
    .uses_dynamic_stack: false
    .vgpr_count:     0
    .vgpr_spill_count: 0
    .wavefront_size: 32
    .workgroup_processor_mode: 1
  - .args:
      - .offset:         0
        .size:           136
        .value_kind:     by_value
    .group_segment_fixed_size: 0
    .kernarg_segment_align: 8
    .kernarg_segment_size: 136
    .language:       OpenCL C
    .language_version:
      - 2
      - 0
    .max_flat_workgroup_size: 192
    .name:           _ZN7rocprim17ROCPRIM_400000_NS6detail17trampoline_kernelINS0_14default_configENS1_25partition_config_selectorILNS1_17partition_subalgoE6EiNS0_10empty_typeEbEEZZNS1_14partition_implILS5_6ELb0ES3_mN6thrust23THRUST_200600_302600_NS6detail15normal_iteratorINSA_10device_ptrIiEEEEPS6_SG_NS0_5tupleIJNSA_16discard_iteratorINSA_11use_defaultEEES6_EEENSH_IJSG_SG_EEES6_PlJNSB_9not_fun_tINSB_14equal_to_valueIiEEEEEEE10hipError_tPvRmT3_T4_T5_T6_T7_T9_mT8_P12ihipStream_tbDpT10_ENKUlT_T0_E_clISt17integral_constantIbLb1EES1B_EEDaS16_S17_EUlS16_E_NS1_11comp_targetILNS1_3genE2ELNS1_11target_archE906ELNS1_3gpuE6ELNS1_3repE0EEENS1_30default_config_static_selectorELNS0_4arch9wavefront6targetE0EEEvT1_
    .private_segment_fixed_size: 0
    .sgpr_count:     0
    .sgpr_spill_count: 0
    .symbol:         _ZN7rocprim17ROCPRIM_400000_NS6detail17trampoline_kernelINS0_14default_configENS1_25partition_config_selectorILNS1_17partition_subalgoE6EiNS0_10empty_typeEbEEZZNS1_14partition_implILS5_6ELb0ES3_mN6thrust23THRUST_200600_302600_NS6detail15normal_iteratorINSA_10device_ptrIiEEEEPS6_SG_NS0_5tupleIJNSA_16discard_iteratorINSA_11use_defaultEEES6_EEENSH_IJSG_SG_EEES6_PlJNSB_9not_fun_tINSB_14equal_to_valueIiEEEEEEE10hipError_tPvRmT3_T4_T5_T6_T7_T9_mT8_P12ihipStream_tbDpT10_ENKUlT_T0_E_clISt17integral_constantIbLb1EES1B_EEDaS16_S17_EUlS16_E_NS1_11comp_targetILNS1_3genE2ELNS1_11target_archE906ELNS1_3gpuE6ELNS1_3repE0EEENS1_30default_config_static_selectorELNS0_4arch9wavefront6targetE0EEEvT1_.kd
    .uniform_work_group_size: 1
    .uses_dynamic_stack: false
    .vgpr_count:     0
    .vgpr_spill_count: 0
    .wavefront_size: 32
    .workgroup_processor_mode: 1
  - .args:
      - .offset:         0
        .size:           136
        .value_kind:     by_value
    .group_segment_fixed_size: 0
    .kernarg_segment_align: 8
    .kernarg_segment_size: 136
    .language:       OpenCL C
    .language_version:
      - 2
      - 0
    .max_flat_workgroup_size: 384
    .name:           _ZN7rocprim17ROCPRIM_400000_NS6detail17trampoline_kernelINS0_14default_configENS1_25partition_config_selectorILNS1_17partition_subalgoE6EiNS0_10empty_typeEbEEZZNS1_14partition_implILS5_6ELb0ES3_mN6thrust23THRUST_200600_302600_NS6detail15normal_iteratorINSA_10device_ptrIiEEEEPS6_SG_NS0_5tupleIJNSA_16discard_iteratorINSA_11use_defaultEEES6_EEENSH_IJSG_SG_EEES6_PlJNSB_9not_fun_tINSB_14equal_to_valueIiEEEEEEE10hipError_tPvRmT3_T4_T5_T6_T7_T9_mT8_P12ihipStream_tbDpT10_ENKUlT_T0_E_clISt17integral_constantIbLb1EES1B_EEDaS16_S17_EUlS16_E_NS1_11comp_targetILNS1_3genE10ELNS1_11target_archE1200ELNS1_3gpuE4ELNS1_3repE0EEENS1_30default_config_static_selectorELNS0_4arch9wavefront6targetE0EEEvT1_
    .private_segment_fixed_size: 0
    .sgpr_count:     0
    .sgpr_spill_count: 0
    .symbol:         _ZN7rocprim17ROCPRIM_400000_NS6detail17trampoline_kernelINS0_14default_configENS1_25partition_config_selectorILNS1_17partition_subalgoE6EiNS0_10empty_typeEbEEZZNS1_14partition_implILS5_6ELb0ES3_mN6thrust23THRUST_200600_302600_NS6detail15normal_iteratorINSA_10device_ptrIiEEEEPS6_SG_NS0_5tupleIJNSA_16discard_iteratorINSA_11use_defaultEEES6_EEENSH_IJSG_SG_EEES6_PlJNSB_9not_fun_tINSB_14equal_to_valueIiEEEEEEE10hipError_tPvRmT3_T4_T5_T6_T7_T9_mT8_P12ihipStream_tbDpT10_ENKUlT_T0_E_clISt17integral_constantIbLb1EES1B_EEDaS16_S17_EUlS16_E_NS1_11comp_targetILNS1_3genE10ELNS1_11target_archE1200ELNS1_3gpuE4ELNS1_3repE0EEENS1_30default_config_static_selectorELNS0_4arch9wavefront6targetE0EEEvT1_.kd
    .uniform_work_group_size: 1
    .uses_dynamic_stack: false
    .vgpr_count:     0
    .vgpr_spill_count: 0
    .wavefront_size: 32
    .workgroup_processor_mode: 1
  - .args:
      - .offset:         0
        .size:           136
        .value_kind:     by_value
    .group_segment_fixed_size: 0
    .kernarg_segment_align: 8
    .kernarg_segment_size: 136
    .language:       OpenCL C
    .language_version:
      - 2
      - 0
    .max_flat_workgroup_size: 128
    .name:           _ZN7rocprim17ROCPRIM_400000_NS6detail17trampoline_kernelINS0_14default_configENS1_25partition_config_selectorILNS1_17partition_subalgoE6EiNS0_10empty_typeEbEEZZNS1_14partition_implILS5_6ELb0ES3_mN6thrust23THRUST_200600_302600_NS6detail15normal_iteratorINSA_10device_ptrIiEEEEPS6_SG_NS0_5tupleIJNSA_16discard_iteratorINSA_11use_defaultEEES6_EEENSH_IJSG_SG_EEES6_PlJNSB_9not_fun_tINSB_14equal_to_valueIiEEEEEEE10hipError_tPvRmT3_T4_T5_T6_T7_T9_mT8_P12ihipStream_tbDpT10_ENKUlT_T0_E_clISt17integral_constantIbLb1EES1B_EEDaS16_S17_EUlS16_E_NS1_11comp_targetILNS1_3genE9ELNS1_11target_archE1100ELNS1_3gpuE3ELNS1_3repE0EEENS1_30default_config_static_selectorELNS0_4arch9wavefront6targetE0EEEvT1_
    .private_segment_fixed_size: 0
    .sgpr_count:     0
    .sgpr_spill_count: 0
    .symbol:         _ZN7rocprim17ROCPRIM_400000_NS6detail17trampoline_kernelINS0_14default_configENS1_25partition_config_selectorILNS1_17partition_subalgoE6EiNS0_10empty_typeEbEEZZNS1_14partition_implILS5_6ELb0ES3_mN6thrust23THRUST_200600_302600_NS6detail15normal_iteratorINSA_10device_ptrIiEEEEPS6_SG_NS0_5tupleIJNSA_16discard_iteratorINSA_11use_defaultEEES6_EEENSH_IJSG_SG_EEES6_PlJNSB_9not_fun_tINSB_14equal_to_valueIiEEEEEEE10hipError_tPvRmT3_T4_T5_T6_T7_T9_mT8_P12ihipStream_tbDpT10_ENKUlT_T0_E_clISt17integral_constantIbLb1EES1B_EEDaS16_S17_EUlS16_E_NS1_11comp_targetILNS1_3genE9ELNS1_11target_archE1100ELNS1_3gpuE3ELNS1_3repE0EEENS1_30default_config_static_selectorELNS0_4arch9wavefront6targetE0EEEvT1_.kd
    .uniform_work_group_size: 1
    .uses_dynamic_stack: false
    .vgpr_count:     0
    .vgpr_spill_count: 0
    .wavefront_size: 32
    .workgroup_processor_mode: 1
  - .args:
      - .offset:         0
        .size:           136
        .value_kind:     by_value
    .group_segment_fixed_size: 0
    .kernarg_segment_align: 8
    .kernarg_segment_size: 136
    .language:       OpenCL C
    .language_version:
      - 2
      - 0
    .max_flat_workgroup_size: 512
    .name:           _ZN7rocprim17ROCPRIM_400000_NS6detail17trampoline_kernelINS0_14default_configENS1_25partition_config_selectorILNS1_17partition_subalgoE6EiNS0_10empty_typeEbEEZZNS1_14partition_implILS5_6ELb0ES3_mN6thrust23THRUST_200600_302600_NS6detail15normal_iteratorINSA_10device_ptrIiEEEEPS6_SG_NS0_5tupleIJNSA_16discard_iteratorINSA_11use_defaultEEES6_EEENSH_IJSG_SG_EEES6_PlJNSB_9not_fun_tINSB_14equal_to_valueIiEEEEEEE10hipError_tPvRmT3_T4_T5_T6_T7_T9_mT8_P12ihipStream_tbDpT10_ENKUlT_T0_E_clISt17integral_constantIbLb1EES1B_EEDaS16_S17_EUlS16_E_NS1_11comp_targetILNS1_3genE8ELNS1_11target_archE1030ELNS1_3gpuE2ELNS1_3repE0EEENS1_30default_config_static_selectorELNS0_4arch9wavefront6targetE0EEEvT1_
    .private_segment_fixed_size: 0
    .sgpr_count:     0
    .sgpr_spill_count: 0
    .symbol:         _ZN7rocprim17ROCPRIM_400000_NS6detail17trampoline_kernelINS0_14default_configENS1_25partition_config_selectorILNS1_17partition_subalgoE6EiNS0_10empty_typeEbEEZZNS1_14partition_implILS5_6ELb0ES3_mN6thrust23THRUST_200600_302600_NS6detail15normal_iteratorINSA_10device_ptrIiEEEEPS6_SG_NS0_5tupleIJNSA_16discard_iteratorINSA_11use_defaultEEES6_EEENSH_IJSG_SG_EEES6_PlJNSB_9not_fun_tINSB_14equal_to_valueIiEEEEEEE10hipError_tPvRmT3_T4_T5_T6_T7_T9_mT8_P12ihipStream_tbDpT10_ENKUlT_T0_E_clISt17integral_constantIbLb1EES1B_EEDaS16_S17_EUlS16_E_NS1_11comp_targetILNS1_3genE8ELNS1_11target_archE1030ELNS1_3gpuE2ELNS1_3repE0EEENS1_30default_config_static_selectorELNS0_4arch9wavefront6targetE0EEEvT1_.kd
    .uniform_work_group_size: 1
    .uses_dynamic_stack: false
    .vgpr_count:     0
    .vgpr_spill_count: 0
    .wavefront_size: 32
    .workgroup_processor_mode: 1
  - .args:
      - .offset:         0
        .size:           128
        .value_kind:     by_value
    .group_segment_fixed_size: 0
    .kernarg_segment_align: 8
    .kernarg_segment_size: 128
    .language:       OpenCL C
    .language_version:
      - 2
      - 0
    .max_flat_workgroup_size: 256
    .name:           _ZN7rocprim17ROCPRIM_400000_NS6detail17trampoline_kernelINS0_14default_configENS1_25partition_config_selectorILNS1_17partition_subalgoE6EiNS0_10empty_typeEbEEZZNS1_14partition_implILS5_6ELb0ES3_mN6thrust23THRUST_200600_302600_NS6detail15normal_iteratorINSA_10device_ptrIiEEEEPS6_SG_NS0_5tupleIJNSA_16discard_iteratorINSA_11use_defaultEEES6_EEENSH_IJSG_SG_EEES6_PlJNSB_9not_fun_tINSB_14equal_to_valueIiEEEEEEE10hipError_tPvRmT3_T4_T5_T6_T7_T9_mT8_P12ihipStream_tbDpT10_ENKUlT_T0_E_clISt17integral_constantIbLb1EES1A_IbLb0EEEEDaS16_S17_EUlS16_E_NS1_11comp_targetILNS1_3genE0ELNS1_11target_archE4294967295ELNS1_3gpuE0ELNS1_3repE0EEENS1_30default_config_static_selectorELNS0_4arch9wavefront6targetE0EEEvT1_
    .private_segment_fixed_size: 0
    .sgpr_count:     0
    .sgpr_spill_count: 0
    .symbol:         _ZN7rocprim17ROCPRIM_400000_NS6detail17trampoline_kernelINS0_14default_configENS1_25partition_config_selectorILNS1_17partition_subalgoE6EiNS0_10empty_typeEbEEZZNS1_14partition_implILS5_6ELb0ES3_mN6thrust23THRUST_200600_302600_NS6detail15normal_iteratorINSA_10device_ptrIiEEEEPS6_SG_NS0_5tupleIJNSA_16discard_iteratorINSA_11use_defaultEEES6_EEENSH_IJSG_SG_EEES6_PlJNSB_9not_fun_tINSB_14equal_to_valueIiEEEEEEE10hipError_tPvRmT3_T4_T5_T6_T7_T9_mT8_P12ihipStream_tbDpT10_ENKUlT_T0_E_clISt17integral_constantIbLb1EES1A_IbLb0EEEEDaS16_S17_EUlS16_E_NS1_11comp_targetILNS1_3genE0ELNS1_11target_archE4294967295ELNS1_3gpuE0ELNS1_3repE0EEENS1_30default_config_static_selectorELNS0_4arch9wavefront6targetE0EEEvT1_.kd
    .uniform_work_group_size: 1
    .uses_dynamic_stack: false
    .vgpr_count:     0
    .vgpr_spill_count: 0
    .wavefront_size: 32
    .workgroup_processor_mode: 1
  - .args:
      - .offset:         0
        .size:           128
        .value_kind:     by_value
    .group_segment_fixed_size: 0
    .kernarg_segment_align: 8
    .kernarg_segment_size: 128
    .language:       OpenCL C
    .language_version:
      - 2
      - 0
    .max_flat_workgroup_size: 512
    .name:           _ZN7rocprim17ROCPRIM_400000_NS6detail17trampoline_kernelINS0_14default_configENS1_25partition_config_selectorILNS1_17partition_subalgoE6EiNS0_10empty_typeEbEEZZNS1_14partition_implILS5_6ELb0ES3_mN6thrust23THRUST_200600_302600_NS6detail15normal_iteratorINSA_10device_ptrIiEEEEPS6_SG_NS0_5tupleIJNSA_16discard_iteratorINSA_11use_defaultEEES6_EEENSH_IJSG_SG_EEES6_PlJNSB_9not_fun_tINSB_14equal_to_valueIiEEEEEEE10hipError_tPvRmT3_T4_T5_T6_T7_T9_mT8_P12ihipStream_tbDpT10_ENKUlT_T0_E_clISt17integral_constantIbLb1EES1A_IbLb0EEEEDaS16_S17_EUlS16_E_NS1_11comp_targetILNS1_3genE5ELNS1_11target_archE942ELNS1_3gpuE9ELNS1_3repE0EEENS1_30default_config_static_selectorELNS0_4arch9wavefront6targetE0EEEvT1_
    .private_segment_fixed_size: 0
    .sgpr_count:     0
    .sgpr_spill_count: 0
    .symbol:         _ZN7rocprim17ROCPRIM_400000_NS6detail17trampoline_kernelINS0_14default_configENS1_25partition_config_selectorILNS1_17partition_subalgoE6EiNS0_10empty_typeEbEEZZNS1_14partition_implILS5_6ELb0ES3_mN6thrust23THRUST_200600_302600_NS6detail15normal_iteratorINSA_10device_ptrIiEEEEPS6_SG_NS0_5tupleIJNSA_16discard_iteratorINSA_11use_defaultEEES6_EEENSH_IJSG_SG_EEES6_PlJNSB_9not_fun_tINSB_14equal_to_valueIiEEEEEEE10hipError_tPvRmT3_T4_T5_T6_T7_T9_mT8_P12ihipStream_tbDpT10_ENKUlT_T0_E_clISt17integral_constantIbLb1EES1A_IbLb0EEEEDaS16_S17_EUlS16_E_NS1_11comp_targetILNS1_3genE5ELNS1_11target_archE942ELNS1_3gpuE9ELNS1_3repE0EEENS1_30default_config_static_selectorELNS0_4arch9wavefront6targetE0EEEvT1_.kd
    .uniform_work_group_size: 1
    .uses_dynamic_stack: false
    .vgpr_count:     0
    .vgpr_spill_count: 0
    .wavefront_size: 32
    .workgroup_processor_mode: 1
  - .args:
      - .offset:         0
        .size:           128
        .value_kind:     by_value
    .group_segment_fixed_size: 0
    .kernarg_segment_align: 8
    .kernarg_segment_size: 128
    .language:       OpenCL C
    .language_version:
      - 2
      - 0
    .max_flat_workgroup_size: 512
    .name:           _ZN7rocprim17ROCPRIM_400000_NS6detail17trampoline_kernelINS0_14default_configENS1_25partition_config_selectorILNS1_17partition_subalgoE6EiNS0_10empty_typeEbEEZZNS1_14partition_implILS5_6ELb0ES3_mN6thrust23THRUST_200600_302600_NS6detail15normal_iteratorINSA_10device_ptrIiEEEEPS6_SG_NS0_5tupleIJNSA_16discard_iteratorINSA_11use_defaultEEES6_EEENSH_IJSG_SG_EEES6_PlJNSB_9not_fun_tINSB_14equal_to_valueIiEEEEEEE10hipError_tPvRmT3_T4_T5_T6_T7_T9_mT8_P12ihipStream_tbDpT10_ENKUlT_T0_E_clISt17integral_constantIbLb1EES1A_IbLb0EEEEDaS16_S17_EUlS16_E_NS1_11comp_targetILNS1_3genE4ELNS1_11target_archE910ELNS1_3gpuE8ELNS1_3repE0EEENS1_30default_config_static_selectorELNS0_4arch9wavefront6targetE0EEEvT1_
    .private_segment_fixed_size: 0
    .sgpr_count:     0
    .sgpr_spill_count: 0
    .symbol:         _ZN7rocprim17ROCPRIM_400000_NS6detail17trampoline_kernelINS0_14default_configENS1_25partition_config_selectorILNS1_17partition_subalgoE6EiNS0_10empty_typeEbEEZZNS1_14partition_implILS5_6ELb0ES3_mN6thrust23THRUST_200600_302600_NS6detail15normal_iteratorINSA_10device_ptrIiEEEEPS6_SG_NS0_5tupleIJNSA_16discard_iteratorINSA_11use_defaultEEES6_EEENSH_IJSG_SG_EEES6_PlJNSB_9not_fun_tINSB_14equal_to_valueIiEEEEEEE10hipError_tPvRmT3_T4_T5_T6_T7_T9_mT8_P12ihipStream_tbDpT10_ENKUlT_T0_E_clISt17integral_constantIbLb1EES1A_IbLb0EEEEDaS16_S17_EUlS16_E_NS1_11comp_targetILNS1_3genE4ELNS1_11target_archE910ELNS1_3gpuE8ELNS1_3repE0EEENS1_30default_config_static_selectorELNS0_4arch9wavefront6targetE0EEEvT1_.kd
    .uniform_work_group_size: 1
    .uses_dynamic_stack: false
    .vgpr_count:     0
    .vgpr_spill_count: 0
    .wavefront_size: 32
    .workgroup_processor_mode: 1
  - .args:
      - .offset:         0
        .size:           128
        .value_kind:     by_value
    .group_segment_fixed_size: 0
    .kernarg_segment_align: 8
    .kernarg_segment_size: 128
    .language:       OpenCL C
    .language_version:
      - 2
      - 0
    .max_flat_workgroup_size: 256
    .name:           _ZN7rocprim17ROCPRIM_400000_NS6detail17trampoline_kernelINS0_14default_configENS1_25partition_config_selectorILNS1_17partition_subalgoE6EiNS0_10empty_typeEbEEZZNS1_14partition_implILS5_6ELb0ES3_mN6thrust23THRUST_200600_302600_NS6detail15normal_iteratorINSA_10device_ptrIiEEEEPS6_SG_NS0_5tupleIJNSA_16discard_iteratorINSA_11use_defaultEEES6_EEENSH_IJSG_SG_EEES6_PlJNSB_9not_fun_tINSB_14equal_to_valueIiEEEEEEE10hipError_tPvRmT3_T4_T5_T6_T7_T9_mT8_P12ihipStream_tbDpT10_ENKUlT_T0_E_clISt17integral_constantIbLb1EES1A_IbLb0EEEEDaS16_S17_EUlS16_E_NS1_11comp_targetILNS1_3genE3ELNS1_11target_archE908ELNS1_3gpuE7ELNS1_3repE0EEENS1_30default_config_static_selectorELNS0_4arch9wavefront6targetE0EEEvT1_
    .private_segment_fixed_size: 0
    .sgpr_count:     0
    .sgpr_spill_count: 0
    .symbol:         _ZN7rocprim17ROCPRIM_400000_NS6detail17trampoline_kernelINS0_14default_configENS1_25partition_config_selectorILNS1_17partition_subalgoE6EiNS0_10empty_typeEbEEZZNS1_14partition_implILS5_6ELb0ES3_mN6thrust23THRUST_200600_302600_NS6detail15normal_iteratorINSA_10device_ptrIiEEEEPS6_SG_NS0_5tupleIJNSA_16discard_iteratorINSA_11use_defaultEEES6_EEENSH_IJSG_SG_EEES6_PlJNSB_9not_fun_tINSB_14equal_to_valueIiEEEEEEE10hipError_tPvRmT3_T4_T5_T6_T7_T9_mT8_P12ihipStream_tbDpT10_ENKUlT_T0_E_clISt17integral_constantIbLb1EES1A_IbLb0EEEEDaS16_S17_EUlS16_E_NS1_11comp_targetILNS1_3genE3ELNS1_11target_archE908ELNS1_3gpuE7ELNS1_3repE0EEENS1_30default_config_static_selectorELNS0_4arch9wavefront6targetE0EEEvT1_.kd
    .uniform_work_group_size: 1
    .uses_dynamic_stack: false
    .vgpr_count:     0
    .vgpr_spill_count: 0
    .wavefront_size: 32
    .workgroup_processor_mode: 1
  - .args:
      - .offset:         0
        .size:           128
        .value_kind:     by_value
    .group_segment_fixed_size: 0
    .kernarg_segment_align: 8
    .kernarg_segment_size: 128
    .language:       OpenCL C
    .language_version:
      - 2
      - 0
    .max_flat_workgroup_size: 192
    .name:           _ZN7rocprim17ROCPRIM_400000_NS6detail17trampoline_kernelINS0_14default_configENS1_25partition_config_selectorILNS1_17partition_subalgoE6EiNS0_10empty_typeEbEEZZNS1_14partition_implILS5_6ELb0ES3_mN6thrust23THRUST_200600_302600_NS6detail15normal_iteratorINSA_10device_ptrIiEEEEPS6_SG_NS0_5tupleIJNSA_16discard_iteratorINSA_11use_defaultEEES6_EEENSH_IJSG_SG_EEES6_PlJNSB_9not_fun_tINSB_14equal_to_valueIiEEEEEEE10hipError_tPvRmT3_T4_T5_T6_T7_T9_mT8_P12ihipStream_tbDpT10_ENKUlT_T0_E_clISt17integral_constantIbLb1EES1A_IbLb0EEEEDaS16_S17_EUlS16_E_NS1_11comp_targetILNS1_3genE2ELNS1_11target_archE906ELNS1_3gpuE6ELNS1_3repE0EEENS1_30default_config_static_selectorELNS0_4arch9wavefront6targetE0EEEvT1_
    .private_segment_fixed_size: 0
    .sgpr_count:     0
    .sgpr_spill_count: 0
    .symbol:         _ZN7rocprim17ROCPRIM_400000_NS6detail17trampoline_kernelINS0_14default_configENS1_25partition_config_selectorILNS1_17partition_subalgoE6EiNS0_10empty_typeEbEEZZNS1_14partition_implILS5_6ELb0ES3_mN6thrust23THRUST_200600_302600_NS6detail15normal_iteratorINSA_10device_ptrIiEEEEPS6_SG_NS0_5tupleIJNSA_16discard_iteratorINSA_11use_defaultEEES6_EEENSH_IJSG_SG_EEES6_PlJNSB_9not_fun_tINSB_14equal_to_valueIiEEEEEEE10hipError_tPvRmT3_T4_T5_T6_T7_T9_mT8_P12ihipStream_tbDpT10_ENKUlT_T0_E_clISt17integral_constantIbLb1EES1A_IbLb0EEEEDaS16_S17_EUlS16_E_NS1_11comp_targetILNS1_3genE2ELNS1_11target_archE906ELNS1_3gpuE6ELNS1_3repE0EEENS1_30default_config_static_selectorELNS0_4arch9wavefront6targetE0EEEvT1_.kd
    .uniform_work_group_size: 1
    .uses_dynamic_stack: false
    .vgpr_count:     0
    .vgpr_spill_count: 0
    .wavefront_size: 32
    .workgroup_processor_mode: 1
  - .args:
      - .offset:         0
        .size:           128
        .value_kind:     by_value
    .group_segment_fixed_size: 0
    .kernarg_segment_align: 8
    .kernarg_segment_size: 128
    .language:       OpenCL C
    .language_version:
      - 2
      - 0
    .max_flat_workgroup_size: 384
    .name:           _ZN7rocprim17ROCPRIM_400000_NS6detail17trampoline_kernelINS0_14default_configENS1_25partition_config_selectorILNS1_17partition_subalgoE6EiNS0_10empty_typeEbEEZZNS1_14partition_implILS5_6ELb0ES3_mN6thrust23THRUST_200600_302600_NS6detail15normal_iteratorINSA_10device_ptrIiEEEEPS6_SG_NS0_5tupleIJNSA_16discard_iteratorINSA_11use_defaultEEES6_EEENSH_IJSG_SG_EEES6_PlJNSB_9not_fun_tINSB_14equal_to_valueIiEEEEEEE10hipError_tPvRmT3_T4_T5_T6_T7_T9_mT8_P12ihipStream_tbDpT10_ENKUlT_T0_E_clISt17integral_constantIbLb1EES1A_IbLb0EEEEDaS16_S17_EUlS16_E_NS1_11comp_targetILNS1_3genE10ELNS1_11target_archE1200ELNS1_3gpuE4ELNS1_3repE0EEENS1_30default_config_static_selectorELNS0_4arch9wavefront6targetE0EEEvT1_
    .private_segment_fixed_size: 0
    .sgpr_count:     0
    .sgpr_spill_count: 0
    .symbol:         _ZN7rocprim17ROCPRIM_400000_NS6detail17trampoline_kernelINS0_14default_configENS1_25partition_config_selectorILNS1_17partition_subalgoE6EiNS0_10empty_typeEbEEZZNS1_14partition_implILS5_6ELb0ES3_mN6thrust23THRUST_200600_302600_NS6detail15normal_iteratorINSA_10device_ptrIiEEEEPS6_SG_NS0_5tupleIJNSA_16discard_iteratorINSA_11use_defaultEEES6_EEENSH_IJSG_SG_EEES6_PlJNSB_9not_fun_tINSB_14equal_to_valueIiEEEEEEE10hipError_tPvRmT3_T4_T5_T6_T7_T9_mT8_P12ihipStream_tbDpT10_ENKUlT_T0_E_clISt17integral_constantIbLb1EES1A_IbLb0EEEEDaS16_S17_EUlS16_E_NS1_11comp_targetILNS1_3genE10ELNS1_11target_archE1200ELNS1_3gpuE4ELNS1_3repE0EEENS1_30default_config_static_selectorELNS0_4arch9wavefront6targetE0EEEvT1_.kd
    .uniform_work_group_size: 1
    .uses_dynamic_stack: false
    .vgpr_count:     0
    .vgpr_spill_count: 0
    .wavefront_size: 32
    .workgroup_processor_mode: 1
  - .args:
      - .offset:         0
        .size:           128
        .value_kind:     by_value
    .group_segment_fixed_size: 0
    .kernarg_segment_align: 8
    .kernarg_segment_size: 128
    .language:       OpenCL C
    .language_version:
      - 2
      - 0
    .max_flat_workgroup_size: 128
    .name:           _ZN7rocprim17ROCPRIM_400000_NS6detail17trampoline_kernelINS0_14default_configENS1_25partition_config_selectorILNS1_17partition_subalgoE6EiNS0_10empty_typeEbEEZZNS1_14partition_implILS5_6ELb0ES3_mN6thrust23THRUST_200600_302600_NS6detail15normal_iteratorINSA_10device_ptrIiEEEEPS6_SG_NS0_5tupleIJNSA_16discard_iteratorINSA_11use_defaultEEES6_EEENSH_IJSG_SG_EEES6_PlJNSB_9not_fun_tINSB_14equal_to_valueIiEEEEEEE10hipError_tPvRmT3_T4_T5_T6_T7_T9_mT8_P12ihipStream_tbDpT10_ENKUlT_T0_E_clISt17integral_constantIbLb1EES1A_IbLb0EEEEDaS16_S17_EUlS16_E_NS1_11comp_targetILNS1_3genE9ELNS1_11target_archE1100ELNS1_3gpuE3ELNS1_3repE0EEENS1_30default_config_static_selectorELNS0_4arch9wavefront6targetE0EEEvT1_
    .private_segment_fixed_size: 0
    .sgpr_count:     0
    .sgpr_spill_count: 0
    .symbol:         _ZN7rocprim17ROCPRIM_400000_NS6detail17trampoline_kernelINS0_14default_configENS1_25partition_config_selectorILNS1_17partition_subalgoE6EiNS0_10empty_typeEbEEZZNS1_14partition_implILS5_6ELb0ES3_mN6thrust23THRUST_200600_302600_NS6detail15normal_iteratorINSA_10device_ptrIiEEEEPS6_SG_NS0_5tupleIJNSA_16discard_iteratorINSA_11use_defaultEEES6_EEENSH_IJSG_SG_EEES6_PlJNSB_9not_fun_tINSB_14equal_to_valueIiEEEEEEE10hipError_tPvRmT3_T4_T5_T6_T7_T9_mT8_P12ihipStream_tbDpT10_ENKUlT_T0_E_clISt17integral_constantIbLb1EES1A_IbLb0EEEEDaS16_S17_EUlS16_E_NS1_11comp_targetILNS1_3genE9ELNS1_11target_archE1100ELNS1_3gpuE3ELNS1_3repE0EEENS1_30default_config_static_selectorELNS0_4arch9wavefront6targetE0EEEvT1_.kd
    .uniform_work_group_size: 1
    .uses_dynamic_stack: false
    .vgpr_count:     0
    .vgpr_spill_count: 0
    .wavefront_size: 32
    .workgroup_processor_mode: 1
  - .args:
      - .offset:         0
        .size:           128
        .value_kind:     by_value
    .group_segment_fixed_size: 0
    .kernarg_segment_align: 8
    .kernarg_segment_size: 128
    .language:       OpenCL C
    .language_version:
      - 2
      - 0
    .max_flat_workgroup_size: 512
    .name:           _ZN7rocprim17ROCPRIM_400000_NS6detail17trampoline_kernelINS0_14default_configENS1_25partition_config_selectorILNS1_17partition_subalgoE6EiNS0_10empty_typeEbEEZZNS1_14partition_implILS5_6ELb0ES3_mN6thrust23THRUST_200600_302600_NS6detail15normal_iteratorINSA_10device_ptrIiEEEEPS6_SG_NS0_5tupleIJNSA_16discard_iteratorINSA_11use_defaultEEES6_EEENSH_IJSG_SG_EEES6_PlJNSB_9not_fun_tINSB_14equal_to_valueIiEEEEEEE10hipError_tPvRmT3_T4_T5_T6_T7_T9_mT8_P12ihipStream_tbDpT10_ENKUlT_T0_E_clISt17integral_constantIbLb1EES1A_IbLb0EEEEDaS16_S17_EUlS16_E_NS1_11comp_targetILNS1_3genE8ELNS1_11target_archE1030ELNS1_3gpuE2ELNS1_3repE0EEENS1_30default_config_static_selectorELNS0_4arch9wavefront6targetE0EEEvT1_
    .private_segment_fixed_size: 0
    .sgpr_count:     0
    .sgpr_spill_count: 0
    .symbol:         _ZN7rocprim17ROCPRIM_400000_NS6detail17trampoline_kernelINS0_14default_configENS1_25partition_config_selectorILNS1_17partition_subalgoE6EiNS0_10empty_typeEbEEZZNS1_14partition_implILS5_6ELb0ES3_mN6thrust23THRUST_200600_302600_NS6detail15normal_iteratorINSA_10device_ptrIiEEEEPS6_SG_NS0_5tupleIJNSA_16discard_iteratorINSA_11use_defaultEEES6_EEENSH_IJSG_SG_EEES6_PlJNSB_9not_fun_tINSB_14equal_to_valueIiEEEEEEE10hipError_tPvRmT3_T4_T5_T6_T7_T9_mT8_P12ihipStream_tbDpT10_ENKUlT_T0_E_clISt17integral_constantIbLb1EES1A_IbLb0EEEEDaS16_S17_EUlS16_E_NS1_11comp_targetILNS1_3genE8ELNS1_11target_archE1030ELNS1_3gpuE2ELNS1_3repE0EEENS1_30default_config_static_selectorELNS0_4arch9wavefront6targetE0EEEvT1_.kd
    .uniform_work_group_size: 1
    .uses_dynamic_stack: false
    .vgpr_count:     0
    .vgpr_spill_count: 0
    .wavefront_size: 32
    .workgroup_processor_mode: 1
  - .args:
      - .offset:         0
        .size:           136
        .value_kind:     by_value
    .group_segment_fixed_size: 0
    .kernarg_segment_align: 8
    .kernarg_segment_size: 136
    .language:       OpenCL C
    .language_version:
      - 2
      - 0
    .max_flat_workgroup_size: 256
    .name:           _ZN7rocprim17ROCPRIM_400000_NS6detail17trampoline_kernelINS0_14default_configENS1_25partition_config_selectorILNS1_17partition_subalgoE6EiNS0_10empty_typeEbEEZZNS1_14partition_implILS5_6ELb0ES3_mN6thrust23THRUST_200600_302600_NS6detail15normal_iteratorINSA_10device_ptrIiEEEEPS6_SG_NS0_5tupleIJNSA_16discard_iteratorINSA_11use_defaultEEES6_EEENSH_IJSG_SG_EEES6_PlJNSB_9not_fun_tINSB_14equal_to_valueIiEEEEEEE10hipError_tPvRmT3_T4_T5_T6_T7_T9_mT8_P12ihipStream_tbDpT10_ENKUlT_T0_E_clISt17integral_constantIbLb0EES1A_IbLb1EEEEDaS16_S17_EUlS16_E_NS1_11comp_targetILNS1_3genE0ELNS1_11target_archE4294967295ELNS1_3gpuE0ELNS1_3repE0EEENS1_30default_config_static_selectorELNS0_4arch9wavefront6targetE0EEEvT1_
    .private_segment_fixed_size: 0
    .sgpr_count:     0
    .sgpr_spill_count: 0
    .symbol:         _ZN7rocprim17ROCPRIM_400000_NS6detail17trampoline_kernelINS0_14default_configENS1_25partition_config_selectorILNS1_17partition_subalgoE6EiNS0_10empty_typeEbEEZZNS1_14partition_implILS5_6ELb0ES3_mN6thrust23THRUST_200600_302600_NS6detail15normal_iteratorINSA_10device_ptrIiEEEEPS6_SG_NS0_5tupleIJNSA_16discard_iteratorINSA_11use_defaultEEES6_EEENSH_IJSG_SG_EEES6_PlJNSB_9not_fun_tINSB_14equal_to_valueIiEEEEEEE10hipError_tPvRmT3_T4_T5_T6_T7_T9_mT8_P12ihipStream_tbDpT10_ENKUlT_T0_E_clISt17integral_constantIbLb0EES1A_IbLb1EEEEDaS16_S17_EUlS16_E_NS1_11comp_targetILNS1_3genE0ELNS1_11target_archE4294967295ELNS1_3gpuE0ELNS1_3repE0EEENS1_30default_config_static_selectorELNS0_4arch9wavefront6targetE0EEEvT1_.kd
    .uniform_work_group_size: 1
    .uses_dynamic_stack: false
    .vgpr_count:     0
    .vgpr_spill_count: 0
    .wavefront_size: 32
    .workgroup_processor_mode: 1
  - .args:
      - .offset:         0
        .size:           136
        .value_kind:     by_value
    .group_segment_fixed_size: 0
    .kernarg_segment_align: 8
    .kernarg_segment_size: 136
    .language:       OpenCL C
    .language_version:
      - 2
      - 0
    .max_flat_workgroup_size: 512
    .name:           _ZN7rocprim17ROCPRIM_400000_NS6detail17trampoline_kernelINS0_14default_configENS1_25partition_config_selectorILNS1_17partition_subalgoE6EiNS0_10empty_typeEbEEZZNS1_14partition_implILS5_6ELb0ES3_mN6thrust23THRUST_200600_302600_NS6detail15normal_iteratorINSA_10device_ptrIiEEEEPS6_SG_NS0_5tupleIJNSA_16discard_iteratorINSA_11use_defaultEEES6_EEENSH_IJSG_SG_EEES6_PlJNSB_9not_fun_tINSB_14equal_to_valueIiEEEEEEE10hipError_tPvRmT3_T4_T5_T6_T7_T9_mT8_P12ihipStream_tbDpT10_ENKUlT_T0_E_clISt17integral_constantIbLb0EES1A_IbLb1EEEEDaS16_S17_EUlS16_E_NS1_11comp_targetILNS1_3genE5ELNS1_11target_archE942ELNS1_3gpuE9ELNS1_3repE0EEENS1_30default_config_static_selectorELNS0_4arch9wavefront6targetE0EEEvT1_
    .private_segment_fixed_size: 0
    .sgpr_count:     0
    .sgpr_spill_count: 0
    .symbol:         _ZN7rocprim17ROCPRIM_400000_NS6detail17trampoline_kernelINS0_14default_configENS1_25partition_config_selectorILNS1_17partition_subalgoE6EiNS0_10empty_typeEbEEZZNS1_14partition_implILS5_6ELb0ES3_mN6thrust23THRUST_200600_302600_NS6detail15normal_iteratorINSA_10device_ptrIiEEEEPS6_SG_NS0_5tupleIJNSA_16discard_iteratorINSA_11use_defaultEEES6_EEENSH_IJSG_SG_EEES6_PlJNSB_9not_fun_tINSB_14equal_to_valueIiEEEEEEE10hipError_tPvRmT3_T4_T5_T6_T7_T9_mT8_P12ihipStream_tbDpT10_ENKUlT_T0_E_clISt17integral_constantIbLb0EES1A_IbLb1EEEEDaS16_S17_EUlS16_E_NS1_11comp_targetILNS1_3genE5ELNS1_11target_archE942ELNS1_3gpuE9ELNS1_3repE0EEENS1_30default_config_static_selectorELNS0_4arch9wavefront6targetE0EEEvT1_.kd
    .uniform_work_group_size: 1
    .uses_dynamic_stack: false
    .vgpr_count:     0
    .vgpr_spill_count: 0
    .wavefront_size: 32
    .workgroup_processor_mode: 1
  - .args:
      - .offset:         0
        .size:           136
        .value_kind:     by_value
    .group_segment_fixed_size: 0
    .kernarg_segment_align: 8
    .kernarg_segment_size: 136
    .language:       OpenCL C
    .language_version:
      - 2
      - 0
    .max_flat_workgroup_size: 512
    .name:           _ZN7rocprim17ROCPRIM_400000_NS6detail17trampoline_kernelINS0_14default_configENS1_25partition_config_selectorILNS1_17partition_subalgoE6EiNS0_10empty_typeEbEEZZNS1_14partition_implILS5_6ELb0ES3_mN6thrust23THRUST_200600_302600_NS6detail15normal_iteratorINSA_10device_ptrIiEEEEPS6_SG_NS0_5tupleIJNSA_16discard_iteratorINSA_11use_defaultEEES6_EEENSH_IJSG_SG_EEES6_PlJNSB_9not_fun_tINSB_14equal_to_valueIiEEEEEEE10hipError_tPvRmT3_T4_T5_T6_T7_T9_mT8_P12ihipStream_tbDpT10_ENKUlT_T0_E_clISt17integral_constantIbLb0EES1A_IbLb1EEEEDaS16_S17_EUlS16_E_NS1_11comp_targetILNS1_3genE4ELNS1_11target_archE910ELNS1_3gpuE8ELNS1_3repE0EEENS1_30default_config_static_selectorELNS0_4arch9wavefront6targetE0EEEvT1_
    .private_segment_fixed_size: 0
    .sgpr_count:     0
    .sgpr_spill_count: 0
    .symbol:         _ZN7rocprim17ROCPRIM_400000_NS6detail17trampoline_kernelINS0_14default_configENS1_25partition_config_selectorILNS1_17partition_subalgoE6EiNS0_10empty_typeEbEEZZNS1_14partition_implILS5_6ELb0ES3_mN6thrust23THRUST_200600_302600_NS6detail15normal_iteratorINSA_10device_ptrIiEEEEPS6_SG_NS0_5tupleIJNSA_16discard_iteratorINSA_11use_defaultEEES6_EEENSH_IJSG_SG_EEES6_PlJNSB_9not_fun_tINSB_14equal_to_valueIiEEEEEEE10hipError_tPvRmT3_T4_T5_T6_T7_T9_mT8_P12ihipStream_tbDpT10_ENKUlT_T0_E_clISt17integral_constantIbLb0EES1A_IbLb1EEEEDaS16_S17_EUlS16_E_NS1_11comp_targetILNS1_3genE4ELNS1_11target_archE910ELNS1_3gpuE8ELNS1_3repE0EEENS1_30default_config_static_selectorELNS0_4arch9wavefront6targetE0EEEvT1_.kd
    .uniform_work_group_size: 1
    .uses_dynamic_stack: false
    .vgpr_count:     0
    .vgpr_spill_count: 0
    .wavefront_size: 32
    .workgroup_processor_mode: 1
  - .args:
      - .offset:         0
        .size:           136
        .value_kind:     by_value
    .group_segment_fixed_size: 0
    .kernarg_segment_align: 8
    .kernarg_segment_size: 136
    .language:       OpenCL C
    .language_version:
      - 2
      - 0
    .max_flat_workgroup_size: 256
    .name:           _ZN7rocprim17ROCPRIM_400000_NS6detail17trampoline_kernelINS0_14default_configENS1_25partition_config_selectorILNS1_17partition_subalgoE6EiNS0_10empty_typeEbEEZZNS1_14partition_implILS5_6ELb0ES3_mN6thrust23THRUST_200600_302600_NS6detail15normal_iteratorINSA_10device_ptrIiEEEEPS6_SG_NS0_5tupleIJNSA_16discard_iteratorINSA_11use_defaultEEES6_EEENSH_IJSG_SG_EEES6_PlJNSB_9not_fun_tINSB_14equal_to_valueIiEEEEEEE10hipError_tPvRmT3_T4_T5_T6_T7_T9_mT8_P12ihipStream_tbDpT10_ENKUlT_T0_E_clISt17integral_constantIbLb0EES1A_IbLb1EEEEDaS16_S17_EUlS16_E_NS1_11comp_targetILNS1_3genE3ELNS1_11target_archE908ELNS1_3gpuE7ELNS1_3repE0EEENS1_30default_config_static_selectorELNS0_4arch9wavefront6targetE0EEEvT1_
    .private_segment_fixed_size: 0
    .sgpr_count:     0
    .sgpr_spill_count: 0
    .symbol:         _ZN7rocprim17ROCPRIM_400000_NS6detail17trampoline_kernelINS0_14default_configENS1_25partition_config_selectorILNS1_17partition_subalgoE6EiNS0_10empty_typeEbEEZZNS1_14partition_implILS5_6ELb0ES3_mN6thrust23THRUST_200600_302600_NS6detail15normal_iteratorINSA_10device_ptrIiEEEEPS6_SG_NS0_5tupleIJNSA_16discard_iteratorINSA_11use_defaultEEES6_EEENSH_IJSG_SG_EEES6_PlJNSB_9not_fun_tINSB_14equal_to_valueIiEEEEEEE10hipError_tPvRmT3_T4_T5_T6_T7_T9_mT8_P12ihipStream_tbDpT10_ENKUlT_T0_E_clISt17integral_constantIbLb0EES1A_IbLb1EEEEDaS16_S17_EUlS16_E_NS1_11comp_targetILNS1_3genE3ELNS1_11target_archE908ELNS1_3gpuE7ELNS1_3repE0EEENS1_30default_config_static_selectorELNS0_4arch9wavefront6targetE0EEEvT1_.kd
    .uniform_work_group_size: 1
    .uses_dynamic_stack: false
    .vgpr_count:     0
    .vgpr_spill_count: 0
    .wavefront_size: 32
    .workgroup_processor_mode: 1
  - .args:
      - .offset:         0
        .size:           136
        .value_kind:     by_value
    .group_segment_fixed_size: 0
    .kernarg_segment_align: 8
    .kernarg_segment_size: 136
    .language:       OpenCL C
    .language_version:
      - 2
      - 0
    .max_flat_workgroup_size: 192
    .name:           _ZN7rocprim17ROCPRIM_400000_NS6detail17trampoline_kernelINS0_14default_configENS1_25partition_config_selectorILNS1_17partition_subalgoE6EiNS0_10empty_typeEbEEZZNS1_14partition_implILS5_6ELb0ES3_mN6thrust23THRUST_200600_302600_NS6detail15normal_iteratorINSA_10device_ptrIiEEEEPS6_SG_NS0_5tupleIJNSA_16discard_iteratorINSA_11use_defaultEEES6_EEENSH_IJSG_SG_EEES6_PlJNSB_9not_fun_tINSB_14equal_to_valueIiEEEEEEE10hipError_tPvRmT3_T4_T5_T6_T7_T9_mT8_P12ihipStream_tbDpT10_ENKUlT_T0_E_clISt17integral_constantIbLb0EES1A_IbLb1EEEEDaS16_S17_EUlS16_E_NS1_11comp_targetILNS1_3genE2ELNS1_11target_archE906ELNS1_3gpuE6ELNS1_3repE0EEENS1_30default_config_static_selectorELNS0_4arch9wavefront6targetE0EEEvT1_
    .private_segment_fixed_size: 0
    .sgpr_count:     0
    .sgpr_spill_count: 0
    .symbol:         _ZN7rocprim17ROCPRIM_400000_NS6detail17trampoline_kernelINS0_14default_configENS1_25partition_config_selectorILNS1_17partition_subalgoE6EiNS0_10empty_typeEbEEZZNS1_14partition_implILS5_6ELb0ES3_mN6thrust23THRUST_200600_302600_NS6detail15normal_iteratorINSA_10device_ptrIiEEEEPS6_SG_NS0_5tupleIJNSA_16discard_iteratorINSA_11use_defaultEEES6_EEENSH_IJSG_SG_EEES6_PlJNSB_9not_fun_tINSB_14equal_to_valueIiEEEEEEE10hipError_tPvRmT3_T4_T5_T6_T7_T9_mT8_P12ihipStream_tbDpT10_ENKUlT_T0_E_clISt17integral_constantIbLb0EES1A_IbLb1EEEEDaS16_S17_EUlS16_E_NS1_11comp_targetILNS1_3genE2ELNS1_11target_archE906ELNS1_3gpuE6ELNS1_3repE0EEENS1_30default_config_static_selectorELNS0_4arch9wavefront6targetE0EEEvT1_.kd
    .uniform_work_group_size: 1
    .uses_dynamic_stack: false
    .vgpr_count:     0
    .vgpr_spill_count: 0
    .wavefront_size: 32
    .workgroup_processor_mode: 1
  - .args:
      - .offset:         0
        .size:           136
        .value_kind:     by_value
    .group_segment_fixed_size: 10768
    .kernarg_segment_align: 8
    .kernarg_segment_size: 136
    .language:       OpenCL C
    .language_version:
      - 2
      - 0
    .max_flat_workgroup_size: 384
    .name:           _ZN7rocprim17ROCPRIM_400000_NS6detail17trampoline_kernelINS0_14default_configENS1_25partition_config_selectorILNS1_17partition_subalgoE6EiNS0_10empty_typeEbEEZZNS1_14partition_implILS5_6ELb0ES3_mN6thrust23THRUST_200600_302600_NS6detail15normal_iteratorINSA_10device_ptrIiEEEEPS6_SG_NS0_5tupleIJNSA_16discard_iteratorINSA_11use_defaultEEES6_EEENSH_IJSG_SG_EEES6_PlJNSB_9not_fun_tINSB_14equal_to_valueIiEEEEEEE10hipError_tPvRmT3_T4_T5_T6_T7_T9_mT8_P12ihipStream_tbDpT10_ENKUlT_T0_E_clISt17integral_constantIbLb0EES1A_IbLb1EEEEDaS16_S17_EUlS16_E_NS1_11comp_targetILNS1_3genE10ELNS1_11target_archE1200ELNS1_3gpuE4ELNS1_3repE0EEENS1_30default_config_static_selectorELNS0_4arch9wavefront6targetE0EEEvT1_
    .private_segment_fixed_size: 0
    .sgpr_count:     22
    .sgpr_spill_count: 0
    .symbol:         _ZN7rocprim17ROCPRIM_400000_NS6detail17trampoline_kernelINS0_14default_configENS1_25partition_config_selectorILNS1_17partition_subalgoE6EiNS0_10empty_typeEbEEZZNS1_14partition_implILS5_6ELb0ES3_mN6thrust23THRUST_200600_302600_NS6detail15normal_iteratorINSA_10device_ptrIiEEEEPS6_SG_NS0_5tupleIJNSA_16discard_iteratorINSA_11use_defaultEEES6_EEENSH_IJSG_SG_EEES6_PlJNSB_9not_fun_tINSB_14equal_to_valueIiEEEEEEE10hipError_tPvRmT3_T4_T5_T6_T7_T9_mT8_P12ihipStream_tbDpT10_ENKUlT_T0_E_clISt17integral_constantIbLb0EES1A_IbLb1EEEEDaS16_S17_EUlS16_E_NS1_11comp_targetILNS1_3genE10ELNS1_11target_archE1200ELNS1_3gpuE4ELNS1_3repE0EEENS1_30default_config_static_selectorELNS0_4arch9wavefront6targetE0EEEvT1_.kd
    .uniform_work_group_size: 1
    .uses_dynamic_stack: false
    .vgpr_count:     50
    .vgpr_spill_count: 0
    .wavefront_size: 32
    .workgroup_processor_mode: 1
  - .args:
      - .offset:         0
        .size:           136
        .value_kind:     by_value
    .group_segment_fixed_size: 0
    .kernarg_segment_align: 8
    .kernarg_segment_size: 136
    .language:       OpenCL C
    .language_version:
      - 2
      - 0
    .max_flat_workgroup_size: 128
    .name:           _ZN7rocprim17ROCPRIM_400000_NS6detail17trampoline_kernelINS0_14default_configENS1_25partition_config_selectorILNS1_17partition_subalgoE6EiNS0_10empty_typeEbEEZZNS1_14partition_implILS5_6ELb0ES3_mN6thrust23THRUST_200600_302600_NS6detail15normal_iteratorINSA_10device_ptrIiEEEEPS6_SG_NS0_5tupleIJNSA_16discard_iteratorINSA_11use_defaultEEES6_EEENSH_IJSG_SG_EEES6_PlJNSB_9not_fun_tINSB_14equal_to_valueIiEEEEEEE10hipError_tPvRmT3_T4_T5_T6_T7_T9_mT8_P12ihipStream_tbDpT10_ENKUlT_T0_E_clISt17integral_constantIbLb0EES1A_IbLb1EEEEDaS16_S17_EUlS16_E_NS1_11comp_targetILNS1_3genE9ELNS1_11target_archE1100ELNS1_3gpuE3ELNS1_3repE0EEENS1_30default_config_static_selectorELNS0_4arch9wavefront6targetE0EEEvT1_
    .private_segment_fixed_size: 0
    .sgpr_count:     0
    .sgpr_spill_count: 0
    .symbol:         _ZN7rocprim17ROCPRIM_400000_NS6detail17trampoline_kernelINS0_14default_configENS1_25partition_config_selectorILNS1_17partition_subalgoE6EiNS0_10empty_typeEbEEZZNS1_14partition_implILS5_6ELb0ES3_mN6thrust23THRUST_200600_302600_NS6detail15normal_iteratorINSA_10device_ptrIiEEEEPS6_SG_NS0_5tupleIJNSA_16discard_iteratorINSA_11use_defaultEEES6_EEENSH_IJSG_SG_EEES6_PlJNSB_9not_fun_tINSB_14equal_to_valueIiEEEEEEE10hipError_tPvRmT3_T4_T5_T6_T7_T9_mT8_P12ihipStream_tbDpT10_ENKUlT_T0_E_clISt17integral_constantIbLb0EES1A_IbLb1EEEEDaS16_S17_EUlS16_E_NS1_11comp_targetILNS1_3genE9ELNS1_11target_archE1100ELNS1_3gpuE3ELNS1_3repE0EEENS1_30default_config_static_selectorELNS0_4arch9wavefront6targetE0EEEvT1_.kd
    .uniform_work_group_size: 1
    .uses_dynamic_stack: false
    .vgpr_count:     0
    .vgpr_spill_count: 0
    .wavefront_size: 32
    .workgroup_processor_mode: 1
  - .args:
      - .offset:         0
        .size:           136
        .value_kind:     by_value
    .group_segment_fixed_size: 0
    .kernarg_segment_align: 8
    .kernarg_segment_size: 136
    .language:       OpenCL C
    .language_version:
      - 2
      - 0
    .max_flat_workgroup_size: 512
    .name:           _ZN7rocprim17ROCPRIM_400000_NS6detail17trampoline_kernelINS0_14default_configENS1_25partition_config_selectorILNS1_17partition_subalgoE6EiNS0_10empty_typeEbEEZZNS1_14partition_implILS5_6ELb0ES3_mN6thrust23THRUST_200600_302600_NS6detail15normal_iteratorINSA_10device_ptrIiEEEEPS6_SG_NS0_5tupleIJNSA_16discard_iteratorINSA_11use_defaultEEES6_EEENSH_IJSG_SG_EEES6_PlJNSB_9not_fun_tINSB_14equal_to_valueIiEEEEEEE10hipError_tPvRmT3_T4_T5_T6_T7_T9_mT8_P12ihipStream_tbDpT10_ENKUlT_T0_E_clISt17integral_constantIbLb0EES1A_IbLb1EEEEDaS16_S17_EUlS16_E_NS1_11comp_targetILNS1_3genE8ELNS1_11target_archE1030ELNS1_3gpuE2ELNS1_3repE0EEENS1_30default_config_static_selectorELNS0_4arch9wavefront6targetE0EEEvT1_
    .private_segment_fixed_size: 0
    .sgpr_count:     0
    .sgpr_spill_count: 0
    .symbol:         _ZN7rocprim17ROCPRIM_400000_NS6detail17trampoline_kernelINS0_14default_configENS1_25partition_config_selectorILNS1_17partition_subalgoE6EiNS0_10empty_typeEbEEZZNS1_14partition_implILS5_6ELb0ES3_mN6thrust23THRUST_200600_302600_NS6detail15normal_iteratorINSA_10device_ptrIiEEEEPS6_SG_NS0_5tupleIJNSA_16discard_iteratorINSA_11use_defaultEEES6_EEENSH_IJSG_SG_EEES6_PlJNSB_9not_fun_tINSB_14equal_to_valueIiEEEEEEE10hipError_tPvRmT3_T4_T5_T6_T7_T9_mT8_P12ihipStream_tbDpT10_ENKUlT_T0_E_clISt17integral_constantIbLb0EES1A_IbLb1EEEEDaS16_S17_EUlS16_E_NS1_11comp_targetILNS1_3genE8ELNS1_11target_archE1030ELNS1_3gpuE2ELNS1_3repE0EEENS1_30default_config_static_selectorELNS0_4arch9wavefront6targetE0EEEvT1_.kd
    .uniform_work_group_size: 1
    .uses_dynamic_stack: false
    .vgpr_count:     0
    .vgpr_spill_count: 0
    .wavefront_size: 32
    .workgroup_processor_mode: 1
  - .args:
      - .offset:         0
        .size:           120
        .value_kind:     by_value
    .group_segment_fixed_size: 0
    .kernarg_segment_align: 8
    .kernarg_segment_size: 120
    .language:       OpenCL C
    .language_version:
      - 2
      - 0
    .max_flat_workgroup_size: 256
    .name:           _ZN7rocprim17ROCPRIM_400000_NS6detail17trampoline_kernelINS0_14default_configENS1_25partition_config_selectorILNS1_17partition_subalgoE6EsNS0_10empty_typeEbEEZZNS1_14partition_implILS5_6ELb0ES3_mN6thrust23THRUST_200600_302600_NS6detail15normal_iteratorINSA_10device_ptrIsEEEEPS6_SG_NS0_5tupleIJNSA_16discard_iteratorINSA_11use_defaultEEES6_EEENSH_IJSG_SG_EEES6_PlJNSB_9not_fun_tINSB_14equal_to_valueIsEEEEEEE10hipError_tPvRmT3_T4_T5_T6_T7_T9_mT8_P12ihipStream_tbDpT10_ENKUlT_T0_E_clISt17integral_constantIbLb0EES1B_EEDaS16_S17_EUlS16_E_NS1_11comp_targetILNS1_3genE0ELNS1_11target_archE4294967295ELNS1_3gpuE0ELNS1_3repE0EEENS1_30default_config_static_selectorELNS0_4arch9wavefront6targetE0EEEvT1_
    .private_segment_fixed_size: 0
    .sgpr_count:     0
    .sgpr_spill_count: 0
    .symbol:         _ZN7rocprim17ROCPRIM_400000_NS6detail17trampoline_kernelINS0_14default_configENS1_25partition_config_selectorILNS1_17partition_subalgoE6EsNS0_10empty_typeEbEEZZNS1_14partition_implILS5_6ELb0ES3_mN6thrust23THRUST_200600_302600_NS6detail15normal_iteratorINSA_10device_ptrIsEEEEPS6_SG_NS0_5tupleIJNSA_16discard_iteratorINSA_11use_defaultEEES6_EEENSH_IJSG_SG_EEES6_PlJNSB_9not_fun_tINSB_14equal_to_valueIsEEEEEEE10hipError_tPvRmT3_T4_T5_T6_T7_T9_mT8_P12ihipStream_tbDpT10_ENKUlT_T0_E_clISt17integral_constantIbLb0EES1B_EEDaS16_S17_EUlS16_E_NS1_11comp_targetILNS1_3genE0ELNS1_11target_archE4294967295ELNS1_3gpuE0ELNS1_3repE0EEENS1_30default_config_static_selectorELNS0_4arch9wavefront6targetE0EEEvT1_.kd
    .uniform_work_group_size: 1
    .uses_dynamic_stack: false
    .vgpr_count:     0
    .vgpr_spill_count: 0
    .wavefront_size: 32
    .workgroup_processor_mode: 1
  - .args:
      - .offset:         0
        .size:           120
        .value_kind:     by_value
    .group_segment_fixed_size: 0
    .kernarg_segment_align: 8
    .kernarg_segment_size: 120
    .language:       OpenCL C
    .language_version:
      - 2
      - 0
    .max_flat_workgroup_size: 512
    .name:           _ZN7rocprim17ROCPRIM_400000_NS6detail17trampoline_kernelINS0_14default_configENS1_25partition_config_selectorILNS1_17partition_subalgoE6EsNS0_10empty_typeEbEEZZNS1_14partition_implILS5_6ELb0ES3_mN6thrust23THRUST_200600_302600_NS6detail15normal_iteratorINSA_10device_ptrIsEEEEPS6_SG_NS0_5tupleIJNSA_16discard_iteratorINSA_11use_defaultEEES6_EEENSH_IJSG_SG_EEES6_PlJNSB_9not_fun_tINSB_14equal_to_valueIsEEEEEEE10hipError_tPvRmT3_T4_T5_T6_T7_T9_mT8_P12ihipStream_tbDpT10_ENKUlT_T0_E_clISt17integral_constantIbLb0EES1B_EEDaS16_S17_EUlS16_E_NS1_11comp_targetILNS1_3genE5ELNS1_11target_archE942ELNS1_3gpuE9ELNS1_3repE0EEENS1_30default_config_static_selectorELNS0_4arch9wavefront6targetE0EEEvT1_
    .private_segment_fixed_size: 0
    .sgpr_count:     0
    .sgpr_spill_count: 0
    .symbol:         _ZN7rocprim17ROCPRIM_400000_NS6detail17trampoline_kernelINS0_14default_configENS1_25partition_config_selectorILNS1_17partition_subalgoE6EsNS0_10empty_typeEbEEZZNS1_14partition_implILS5_6ELb0ES3_mN6thrust23THRUST_200600_302600_NS6detail15normal_iteratorINSA_10device_ptrIsEEEEPS6_SG_NS0_5tupleIJNSA_16discard_iteratorINSA_11use_defaultEEES6_EEENSH_IJSG_SG_EEES6_PlJNSB_9not_fun_tINSB_14equal_to_valueIsEEEEEEE10hipError_tPvRmT3_T4_T5_T6_T7_T9_mT8_P12ihipStream_tbDpT10_ENKUlT_T0_E_clISt17integral_constantIbLb0EES1B_EEDaS16_S17_EUlS16_E_NS1_11comp_targetILNS1_3genE5ELNS1_11target_archE942ELNS1_3gpuE9ELNS1_3repE0EEENS1_30default_config_static_selectorELNS0_4arch9wavefront6targetE0EEEvT1_.kd
    .uniform_work_group_size: 1
    .uses_dynamic_stack: false
    .vgpr_count:     0
    .vgpr_spill_count: 0
    .wavefront_size: 32
    .workgroup_processor_mode: 1
  - .args:
      - .offset:         0
        .size:           120
        .value_kind:     by_value
    .group_segment_fixed_size: 0
    .kernarg_segment_align: 8
    .kernarg_segment_size: 120
    .language:       OpenCL C
    .language_version:
      - 2
      - 0
    .max_flat_workgroup_size: 256
    .name:           _ZN7rocprim17ROCPRIM_400000_NS6detail17trampoline_kernelINS0_14default_configENS1_25partition_config_selectorILNS1_17partition_subalgoE6EsNS0_10empty_typeEbEEZZNS1_14partition_implILS5_6ELb0ES3_mN6thrust23THRUST_200600_302600_NS6detail15normal_iteratorINSA_10device_ptrIsEEEEPS6_SG_NS0_5tupleIJNSA_16discard_iteratorINSA_11use_defaultEEES6_EEENSH_IJSG_SG_EEES6_PlJNSB_9not_fun_tINSB_14equal_to_valueIsEEEEEEE10hipError_tPvRmT3_T4_T5_T6_T7_T9_mT8_P12ihipStream_tbDpT10_ENKUlT_T0_E_clISt17integral_constantIbLb0EES1B_EEDaS16_S17_EUlS16_E_NS1_11comp_targetILNS1_3genE4ELNS1_11target_archE910ELNS1_3gpuE8ELNS1_3repE0EEENS1_30default_config_static_selectorELNS0_4arch9wavefront6targetE0EEEvT1_
    .private_segment_fixed_size: 0
    .sgpr_count:     0
    .sgpr_spill_count: 0
    .symbol:         _ZN7rocprim17ROCPRIM_400000_NS6detail17trampoline_kernelINS0_14default_configENS1_25partition_config_selectorILNS1_17partition_subalgoE6EsNS0_10empty_typeEbEEZZNS1_14partition_implILS5_6ELb0ES3_mN6thrust23THRUST_200600_302600_NS6detail15normal_iteratorINSA_10device_ptrIsEEEEPS6_SG_NS0_5tupleIJNSA_16discard_iteratorINSA_11use_defaultEEES6_EEENSH_IJSG_SG_EEES6_PlJNSB_9not_fun_tINSB_14equal_to_valueIsEEEEEEE10hipError_tPvRmT3_T4_T5_T6_T7_T9_mT8_P12ihipStream_tbDpT10_ENKUlT_T0_E_clISt17integral_constantIbLb0EES1B_EEDaS16_S17_EUlS16_E_NS1_11comp_targetILNS1_3genE4ELNS1_11target_archE910ELNS1_3gpuE8ELNS1_3repE0EEENS1_30default_config_static_selectorELNS0_4arch9wavefront6targetE0EEEvT1_.kd
    .uniform_work_group_size: 1
    .uses_dynamic_stack: false
    .vgpr_count:     0
    .vgpr_spill_count: 0
    .wavefront_size: 32
    .workgroup_processor_mode: 1
  - .args:
      - .offset:         0
        .size:           120
        .value_kind:     by_value
    .group_segment_fixed_size: 0
    .kernarg_segment_align: 8
    .kernarg_segment_size: 120
    .language:       OpenCL C
    .language_version:
      - 2
      - 0
    .max_flat_workgroup_size: 256
    .name:           _ZN7rocprim17ROCPRIM_400000_NS6detail17trampoline_kernelINS0_14default_configENS1_25partition_config_selectorILNS1_17partition_subalgoE6EsNS0_10empty_typeEbEEZZNS1_14partition_implILS5_6ELb0ES3_mN6thrust23THRUST_200600_302600_NS6detail15normal_iteratorINSA_10device_ptrIsEEEEPS6_SG_NS0_5tupleIJNSA_16discard_iteratorINSA_11use_defaultEEES6_EEENSH_IJSG_SG_EEES6_PlJNSB_9not_fun_tINSB_14equal_to_valueIsEEEEEEE10hipError_tPvRmT3_T4_T5_T6_T7_T9_mT8_P12ihipStream_tbDpT10_ENKUlT_T0_E_clISt17integral_constantIbLb0EES1B_EEDaS16_S17_EUlS16_E_NS1_11comp_targetILNS1_3genE3ELNS1_11target_archE908ELNS1_3gpuE7ELNS1_3repE0EEENS1_30default_config_static_selectorELNS0_4arch9wavefront6targetE0EEEvT1_
    .private_segment_fixed_size: 0
    .sgpr_count:     0
    .sgpr_spill_count: 0
    .symbol:         _ZN7rocprim17ROCPRIM_400000_NS6detail17trampoline_kernelINS0_14default_configENS1_25partition_config_selectorILNS1_17partition_subalgoE6EsNS0_10empty_typeEbEEZZNS1_14partition_implILS5_6ELb0ES3_mN6thrust23THRUST_200600_302600_NS6detail15normal_iteratorINSA_10device_ptrIsEEEEPS6_SG_NS0_5tupleIJNSA_16discard_iteratorINSA_11use_defaultEEES6_EEENSH_IJSG_SG_EEES6_PlJNSB_9not_fun_tINSB_14equal_to_valueIsEEEEEEE10hipError_tPvRmT3_T4_T5_T6_T7_T9_mT8_P12ihipStream_tbDpT10_ENKUlT_T0_E_clISt17integral_constantIbLb0EES1B_EEDaS16_S17_EUlS16_E_NS1_11comp_targetILNS1_3genE3ELNS1_11target_archE908ELNS1_3gpuE7ELNS1_3repE0EEENS1_30default_config_static_selectorELNS0_4arch9wavefront6targetE0EEEvT1_.kd
    .uniform_work_group_size: 1
    .uses_dynamic_stack: false
    .vgpr_count:     0
    .vgpr_spill_count: 0
    .wavefront_size: 32
    .workgroup_processor_mode: 1
  - .args:
      - .offset:         0
        .size:           120
        .value_kind:     by_value
    .group_segment_fixed_size: 0
    .kernarg_segment_align: 8
    .kernarg_segment_size: 120
    .language:       OpenCL C
    .language_version:
      - 2
      - 0
    .max_flat_workgroup_size: 256
    .name:           _ZN7rocprim17ROCPRIM_400000_NS6detail17trampoline_kernelINS0_14default_configENS1_25partition_config_selectorILNS1_17partition_subalgoE6EsNS0_10empty_typeEbEEZZNS1_14partition_implILS5_6ELb0ES3_mN6thrust23THRUST_200600_302600_NS6detail15normal_iteratorINSA_10device_ptrIsEEEEPS6_SG_NS0_5tupleIJNSA_16discard_iteratorINSA_11use_defaultEEES6_EEENSH_IJSG_SG_EEES6_PlJNSB_9not_fun_tINSB_14equal_to_valueIsEEEEEEE10hipError_tPvRmT3_T4_T5_T6_T7_T9_mT8_P12ihipStream_tbDpT10_ENKUlT_T0_E_clISt17integral_constantIbLb0EES1B_EEDaS16_S17_EUlS16_E_NS1_11comp_targetILNS1_3genE2ELNS1_11target_archE906ELNS1_3gpuE6ELNS1_3repE0EEENS1_30default_config_static_selectorELNS0_4arch9wavefront6targetE0EEEvT1_
    .private_segment_fixed_size: 0
    .sgpr_count:     0
    .sgpr_spill_count: 0
    .symbol:         _ZN7rocprim17ROCPRIM_400000_NS6detail17trampoline_kernelINS0_14default_configENS1_25partition_config_selectorILNS1_17partition_subalgoE6EsNS0_10empty_typeEbEEZZNS1_14partition_implILS5_6ELb0ES3_mN6thrust23THRUST_200600_302600_NS6detail15normal_iteratorINSA_10device_ptrIsEEEEPS6_SG_NS0_5tupleIJNSA_16discard_iteratorINSA_11use_defaultEEES6_EEENSH_IJSG_SG_EEES6_PlJNSB_9not_fun_tINSB_14equal_to_valueIsEEEEEEE10hipError_tPvRmT3_T4_T5_T6_T7_T9_mT8_P12ihipStream_tbDpT10_ENKUlT_T0_E_clISt17integral_constantIbLb0EES1B_EEDaS16_S17_EUlS16_E_NS1_11comp_targetILNS1_3genE2ELNS1_11target_archE906ELNS1_3gpuE6ELNS1_3repE0EEENS1_30default_config_static_selectorELNS0_4arch9wavefront6targetE0EEEvT1_.kd
    .uniform_work_group_size: 1
    .uses_dynamic_stack: false
    .vgpr_count:     0
    .vgpr_spill_count: 0
    .wavefront_size: 32
    .workgroup_processor_mode: 1
  - .args:
      - .offset:         0
        .size:           120
        .value_kind:     by_value
    .group_segment_fixed_size: 13840
    .kernarg_segment_align: 8
    .kernarg_segment_size: 120
    .language:       OpenCL C
    .language_version:
      - 2
      - 0
    .max_flat_workgroup_size: 384
    .name:           _ZN7rocprim17ROCPRIM_400000_NS6detail17trampoline_kernelINS0_14default_configENS1_25partition_config_selectorILNS1_17partition_subalgoE6EsNS0_10empty_typeEbEEZZNS1_14partition_implILS5_6ELb0ES3_mN6thrust23THRUST_200600_302600_NS6detail15normal_iteratorINSA_10device_ptrIsEEEEPS6_SG_NS0_5tupleIJNSA_16discard_iteratorINSA_11use_defaultEEES6_EEENSH_IJSG_SG_EEES6_PlJNSB_9not_fun_tINSB_14equal_to_valueIsEEEEEEE10hipError_tPvRmT3_T4_T5_T6_T7_T9_mT8_P12ihipStream_tbDpT10_ENKUlT_T0_E_clISt17integral_constantIbLb0EES1B_EEDaS16_S17_EUlS16_E_NS1_11comp_targetILNS1_3genE10ELNS1_11target_archE1200ELNS1_3gpuE4ELNS1_3repE0EEENS1_30default_config_static_selectorELNS0_4arch9wavefront6targetE0EEEvT1_
    .private_segment_fixed_size: 0
    .sgpr_count:     29
    .sgpr_spill_count: 0
    .symbol:         _ZN7rocprim17ROCPRIM_400000_NS6detail17trampoline_kernelINS0_14default_configENS1_25partition_config_selectorILNS1_17partition_subalgoE6EsNS0_10empty_typeEbEEZZNS1_14partition_implILS5_6ELb0ES3_mN6thrust23THRUST_200600_302600_NS6detail15normal_iteratorINSA_10device_ptrIsEEEEPS6_SG_NS0_5tupleIJNSA_16discard_iteratorINSA_11use_defaultEEES6_EEENSH_IJSG_SG_EEES6_PlJNSB_9not_fun_tINSB_14equal_to_valueIsEEEEEEE10hipError_tPvRmT3_T4_T5_T6_T7_T9_mT8_P12ihipStream_tbDpT10_ENKUlT_T0_E_clISt17integral_constantIbLb0EES1B_EEDaS16_S17_EUlS16_E_NS1_11comp_targetILNS1_3genE10ELNS1_11target_archE1200ELNS1_3gpuE4ELNS1_3repE0EEENS1_30default_config_static_selectorELNS0_4arch9wavefront6targetE0EEEvT1_.kd
    .uniform_work_group_size: 1
    .uses_dynamic_stack: false
    .vgpr_count:     63
    .vgpr_spill_count: 0
    .wavefront_size: 32
    .workgroup_processor_mode: 1
  - .args:
      - .offset:         0
        .size:           120
        .value_kind:     by_value
    .group_segment_fixed_size: 0
    .kernarg_segment_align: 8
    .kernarg_segment_size: 120
    .language:       OpenCL C
    .language_version:
      - 2
      - 0
    .max_flat_workgroup_size: 128
    .name:           _ZN7rocprim17ROCPRIM_400000_NS6detail17trampoline_kernelINS0_14default_configENS1_25partition_config_selectorILNS1_17partition_subalgoE6EsNS0_10empty_typeEbEEZZNS1_14partition_implILS5_6ELb0ES3_mN6thrust23THRUST_200600_302600_NS6detail15normal_iteratorINSA_10device_ptrIsEEEEPS6_SG_NS0_5tupleIJNSA_16discard_iteratorINSA_11use_defaultEEES6_EEENSH_IJSG_SG_EEES6_PlJNSB_9not_fun_tINSB_14equal_to_valueIsEEEEEEE10hipError_tPvRmT3_T4_T5_T6_T7_T9_mT8_P12ihipStream_tbDpT10_ENKUlT_T0_E_clISt17integral_constantIbLb0EES1B_EEDaS16_S17_EUlS16_E_NS1_11comp_targetILNS1_3genE9ELNS1_11target_archE1100ELNS1_3gpuE3ELNS1_3repE0EEENS1_30default_config_static_selectorELNS0_4arch9wavefront6targetE0EEEvT1_
    .private_segment_fixed_size: 0
    .sgpr_count:     0
    .sgpr_spill_count: 0
    .symbol:         _ZN7rocprim17ROCPRIM_400000_NS6detail17trampoline_kernelINS0_14default_configENS1_25partition_config_selectorILNS1_17partition_subalgoE6EsNS0_10empty_typeEbEEZZNS1_14partition_implILS5_6ELb0ES3_mN6thrust23THRUST_200600_302600_NS6detail15normal_iteratorINSA_10device_ptrIsEEEEPS6_SG_NS0_5tupleIJNSA_16discard_iteratorINSA_11use_defaultEEES6_EEENSH_IJSG_SG_EEES6_PlJNSB_9not_fun_tINSB_14equal_to_valueIsEEEEEEE10hipError_tPvRmT3_T4_T5_T6_T7_T9_mT8_P12ihipStream_tbDpT10_ENKUlT_T0_E_clISt17integral_constantIbLb0EES1B_EEDaS16_S17_EUlS16_E_NS1_11comp_targetILNS1_3genE9ELNS1_11target_archE1100ELNS1_3gpuE3ELNS1_3repE0EEENS1_30default_config_static_selectorELNS0_4arch9wavefront6targetE0EEEvT1_.kd
    .uniform_work_group_size: 1
    .uses_dynamic_stack: false
    .vgpr_count:     0
    .vgpr_spill_count: 0
    .wavefront_size: 32
    .workgroup_processor_mode: 1
  - .args:
      - .offset:         0
        .size:           120
        .value_kind:     by_value
    .group_segment_fixed_size: 0
    .kernarg_segment_align: 8
    .kernarg_segment_size: 120
    .language:       OpenCL C
    .language_version:
      - 2
      - 0
    .max_flat_workgroup_size: 256
    .name:           _ZN7rocprim17ROCPRIM_400000_NS6detail17trampoline_kernelINS0_14default_configENS1_25partition_config_selectorILNS1_17partition_subalgoE6EsNS0_10empty_typeEbEEZZNS1_14partition_implILS5_6ELb0ES3_mN6thrust23THRUST_200600_302600_NS6detail15normal_iteratorINSA_10device_ptrIsEEEEPS6_SG_NS0_5tupleIJNSA_16discard_iteratorINSA_11use_defaultEEES6_EEENSH_IJSG_SG_EEES6_PlJNSB_9not_fun_tINSB_14equal_to_valueIsEEEEEEE10hipError_tPvRmT3_T4_T5_T6_T7_T9_mT8_P12ihipStream_tbDpT10_ENKUlT_T0_E_clISt17integral_constantIbLb0EES1B_EEDaS16_S17_EUlS16_E_NS1_11comp_targetILNS1_3genE8ELNS1_11target_archE1030ELNS1_3gpuE2ELNS1_3repE0EEENS1_30default_config_static_selectorELNS0_4arch9wavefront6targetE0EEEvT1_
    .private_segment_fixed_size: 0
    .sgpr_count:     0
    .sgpr_spill_count: 0
    .symbol:         _ZN7rocprim17ROCPRIM_400000_NS6detail17trampoline_kernelINS0_14default_configENS1_25partition_config_selectorILNS1_17partition_subalgoE6EsNS0_10empty_typeEbEEZZNS1_14partition_implILS5_6ELb0ES3_mN6thrust23THRUST_200600_302600_NS6detail15normal_iteratorINSA_10device_ptrIsEEEEPS6_SG_NS0_5tupleIJNSA_16discard_iteratorINSA_11use_defaultEEES6_EEENSH_IJSG_SG_EEES6_PlJNSB_9not_fun_tINSB_14equal_to_valueIsEEEEEEE10hipError_tPvRmT3_T4_T5_T6_T7_T9_mT8_P12ihipStream_tbDpT10_ENKUlT_T0_E_clISt17integral_constantIbLb0EES1B_EEDaS16_S17_EUlS16_E_NS1_11comp_targetILNS1_3genE8ELNS1_11target_archE1030ELNS1_3gpuE2ELNS1_3repE0EEENS1_30default_config_static_selectorELNS0_4arch9wavefront6targetE0EEEvT1_.kd
    .uniform_work_group_size: 1
    .uses_dynamic_stack: false
    .vgpr_count:     0
    .vgpr_spill_count: 0
    .wavefront_size: 32
    .workgroup_processor_mode: 1
  - .args:
      - .offset:         0
        .size:           136
        .value_kind:     by_value
    .group_segment_fixed_size: 0
    .kernarg_segment_align: 8
    .kernarg_segment_size: 136
    .language:       OpenCL C
    .language_version:
      - 2
      - 0
    .max_flat_workgroup_size: 256
    .name:           _ZN7rocprim17ROCPRIM_400000_NS6detail17trampoline_kernelINS0_14default_configENS1_25partition_config_selectorILNS1_17partition_subalgoE6EsNS0_10empty_typeEbEEZZNS1_14partition_implILS5_6ELb0ES3_mN6thrust23THRUST_200600_302600_NS6detail15normal_iteratorINSA_10device_ptrIsEEEEPS6_SG_NS0_5tupleIJNSA_16discard_iteratorINSA_11use_defaultEEES6_EEENSH_IJSG_SG_EEES6_PlJNSB_9not_fun_tINSB_14equal_to_valueIsEEEEEEE10hipError_tPvRmT3_T4_T5_T6_T7_T9_mT8_P12ihipStream_tbDpT10_ENKUlT_T0_E_clISt17integral_constantIbLb1EES1B_EEDaS16_S17_EUlS16_E_NS1_11comp_targetILNS1_3genE0ELNS1_11target_archE4294967295ELNS1_3gpuE0ELNS1_3repE0EEENS1_30default_config_static_selectorELNS0_4arch9wavefront6targetE0EEEvT1_
    .private_segment_fixed_size: 0
    .sgpr_count:     0
    .sgpr_spill_count: 0
    .symbol:         _ZN7rocprim17ROCPRIM_400000_NS6detail17trampoline_kernelINS0_14default_configENS1_25partition_config_selectorILNS1_17partition_subalgoE6EsNS0_10empty_typeEbEEZZNS1_14partition_implILS5_6ELb0ES3_mN6thrust23THRUST_200600_302600_NS6detail15normal_iteratorINSA_10device_ptrIsEEEEPS6_SG_NS0_5tupleIJNSA_16discard_iteratorINSA_11use_defaultEEES6_EEENSH_IJSG_SG_EEES6_PlJNSB_9not_fun_tINSB_14equal_to_valueIsEEEEEEE10hipError_tPvRmT3_T4_T5_T6_T7_T9_mT8_P12ihipStream_tbDpT10_ENKUlT_T0_E_clISt17integral_constantIbLb1EES1B_EEDaS16_S17_EUlS16_E_NS1_11comp_targetILNS1_3genE0ELNS1_11target_archE4294967295ELNS1_3gpuE0ELNS1_3repE0EEENS1_30default_config_static_selectorELNS0_4arch9wavefront6targetE0EEEvT1_.kd
    .uniform_work_group_size: 1
    .uses_dynamic_stack: false
    .vgpr_count:     0
    .vgpr_spill_count: 0
    .wavefront_size: 32
    .workgroup_processor_mode: 1
  - .args:
      - .offset:         0
        .size:           136
        .value_kind:     by_value
    .group_segment_fixed_size: 0
    .kernarg_segment_align: 8
    .kernarg_segment_size: 136
    .language:       OpenCL C
    .language_version:
      - 2
      - 0
    .max_flat_workgroup_size: 512
    .name:           _ZN7rocprim17ROCPRIM_400000_NS6detail17trampoline_kernelINS0_14default_configENS1_25partition_config_selectorILNS1_17partition_subalgoE6EsNS0_10empty_typeEbEEZZNS1_14partition_implILS5_6ELb0ES3_mN6thrust23THRUST_200600_302600_NS6detail15normal_iteratorINSA_10device_ptrIsEEEEPS6_SG_NS0_5tupleIJNSA_16discard_iteratorINSA_11use_defaultEEES6_EEENSH_IJSG_SG_EEES6_PlJNSB_9not_fun_tINSB_14equal_to_valueIsEEEEEEE10hipError_tPvRmT3_T4_T5_T6_T7_T9_mT8_P12ihipStream_tbDpT10_ENKUlT_T0_E_clISt17integral_constantIbLb1EES1B_EEDaS16_S17_EUlS16_E_NS1_11comp_targetILNS1_3genE5ELNS1_11target_archE942ELNS1_3gpuE9ELNS1_3repE0EEENS1_30default_config_static_selectorELNS0_4arch9wavefront6targetE0EEEvT1_
    .private_segment_fixed_size: 0
    .sgpr_count:     0
    .sgpr_spill_count: 0
    .symbol:         _ZN7rocprim17ROCPRIM_400000_NS6detail17trampoline_kernelINS0_14default_configENS1_25partition_config_selectorILNS1_17partition_subalgoE6EsNS0_10empty_typeEbEEZZNS1_14partition_implILS5_6ELb0ES3_mN6thrust23THRUST_200600_302600_NS6detail15normal_iteratorINSA_10device_ptrIsEEEEPS6_SG_NS0_5tupleIJNSA_16discard_iteratorINSA_11use_defaultEEES6_EEENSH_IJSG_SG_EEES6_PlJNSB_9not_fun_tINSB_14equal_to_valueIsEEEEEEE10hipError_tPvRmT3_T4_T5_T6_T7_T9_mT8_P12ihipStream_tbDpT10_ENKUlT_T0_E_clISt17integral_constantIbLb1EES1B_EEDaS16_S17_EUlS16_E_NS1_11comp_targetILNS1_3genE5ELNS1_11target_archE942ELNS1_3gpuE9ELNS1_3repE0EEENS1_30default_config_static_selectorELNS0_4arch9wavefront6targetE0EEEvT1_.kd
    .uniform_work_group_size: 1
    .uses_dynamic_stack: false
    .vgpr_count:     0
    .vgpr_spill_count: 0
    .wavefront_size: 32
    .workgroup_processor_mode: 1
  - .args:
      - .offset:         0
        .size:           136
        .value_kind:     by_value
    .group_segment_fixed_size: 0
    .kernarg_segment_align: 8
    .kernarg_segment_size: 136
    .language:       OpenCL C
    .language_version:
      - 2
      - 0
    .max_flat_workgroup_size: 256
    .name:           _ZN7rocprim17ROCPRIM_400000_NS6detail17trampoline_kernelINS0_14default_configENS1_25partition_config_selectorILNS1_17partition_subalgoE6EsNS0_10empty_typeEbEEZZNS1_14partition_implILS5_6ELb0ES3_mN6thrust23THRUST_200600_302600_NS6detail15normal_iteratorINSA_10device_ptrIsEEEEPS6_SG_NS0_5tupleIJNSA_16discard_iteratorINSA_11use_defaultEEES6_EEENSH_IJSG_SG_EEES6_PlJNSB_9not_fun_tINSB_14equal_to_valueIsEEEEEEE10hipError_tPvRmT3_T4_T5_T6_T7_T9_mT8_P12ihipStream_tbDpT10_ENKUlT_T0_E_clISt17integral_constantIbLb1EES1B_EEDaS16_S17_EUlS16_E_NS1_11comp_targetILNS1_3genE4ELNS1_11target_archE910ELNS1_3gpuE8ELNS1_3repE0EEENS1_30default_config_static_selectorELNS0_4arch9wavefront6targetE0EEEvT1_
    .private_segment_fixed_size: 0
    .sgpr_count:     0
    .sgpr_spill_count: 0
    .symbol:         _ZN7rocprim17ROCPRIM_400000_NS6detail17trampoline_kernelINS0_14default_configENS1_25partition_config_selectorILNS1_17partition_subalgoE6EsNS0_10empty_typeEbEEZZNS1_14partition_implILS5_6ELb0ES3_mN6thrust23THRUST_200600_302600_NS6detail15normal_iteratorINSA_10device_ptrIsEEEEPS6_SG_NS0_5tupleIJNSA_16discard_iteratorINSA_11use_defaultEEES6_EEENSH_IJSG_SG_EEES6_PlJNSB_9not_fun_tINSB_14equal_to_valueIsEEEEEEE10hipError_tPvRmT3_T4_T5_T6_T7_T9_mT8_P12ihipStream_tbDpT10_ENKUlT_T0_E_clISt17integral_constantIbLb1EES1B_EEDaS16_S17_EUlS16_E_NS1_11comp_targetILNS1_3genE4ELNS1_11target_archE910ELNS1_3gpuE8ELNS1_3repE0EEENS1_30default_config_static_selectorELNS0_4arch9wavefront6targetE0EEEvT1_.kd
    .uniform_work_group_size: 1
    .uses_dynamic_stack: false
    .vgpr_count:     0
    .vgpr_spill_count: 0
    .wavefront_size: 32
    .workgroup_processor_mode: 1
  - .args:
      - .offset:         0
        .size:           136
        .value_kind:     by_value
    .group_segment_fixed_size: 0
    .kernarg_segment_align: 8
    .kernarg_segment_size: 136
    .language:       OpenCL C
    .language_version:
      - 2
      - 0
    .max_flat_workgroup_size: 256
    .name:           _ZN7rocprim17ROCPRIM_400000_NS6detail17trampoline_kernelINS0_14default_configENS1_25partition_config_selectorILNS1_17partition_subalgoE6EsNS0_10empty_typeEbEEZZNS1_14partition_implILS5_6ELb0ES3_mN6thrust23THRUST_200600_302600_NS6detail15normal_iteratorINSA_10device_ptrIsEEEEPS6_SG_NS0_5tupleIJNSA_16discard_iteratorINSA_11use_defaultEEES6_EEENSH_IJSG_SG_EEES6_PlJNSB_9not_fun_tINSB_14equal_to_valueIsEEEEEEE10hipError_tPvRmT3_T4_T5_T6_T7_T9_mT8_P12ihipStream_tbDpT10_ENKUlT_T0_E_clISt17integral_constantIbLb1EES1B_EEDaS16_S17_EUlS16_E_NS1_11comp_targetILNS1_3genE3ELNS1_11target_archE908ELNS1_3gpuE7ELNS1_3repE0EEENS1_30default_config_static_selectorELNS0_4arch9wavefront6targetE0EEEvT1_
    .private_segment_fixed_size: 0
    .sgpr_count:     0
    .sgpr_spill_count: 0
    .symbol:         _ZN7rocprim17ROCPRIM_400000_NS6detail17trampoline_kernelINS0_14default_configENS1_25partition_config_selectorILNS1_17partition_subalgoE6EsNS0_10empty_typeEbEEZZNS1_14partition_implILS5_6ELb0ES3_mN6thrust23THRUST_200600_302600_NS6detail15normal_iteratorINSA_10device_ptrIsEEEEPS6_SG_NS0_5tupleIJNSA_16discard_iteratorINSA_11use_defaultEEES6_EEENSH_IJSG_SG_EEES6_PlJNSB_9not_fun_tINSB_14equal_to_valueIsEEEEEEE10hipError_tPvRmT3_T4_T5_T6_T7_T9_mT8_P12ihipStream_tbDpT10_ENKUlT_T0_E_clISt17integral_constantIbLb1EES1B_EEDaS16_S17_EUlS16_E_NS1_11comp_targetILNS1_3genE3ELNS1_11target_archE908ELNS1_3gpuE7ELNS1_3repE0EEENS1_30default_config_static_selectorELNS0_4arch9wavefront6targetE0EEEvT1_.kd
    .uniform_work_group_size: 1
    .uses_dynamic_stack: false
    .vgpr_count:     0
    .vgpr_spill_count: 0
    .wavefront_size: 32
    .workgroup_processor_mode: 1
  - .args:
      - .offset:         0
        .size:           136
        .value_kind:     by_value
    .group_segment_fixed_size: 0
    .kernarg_segment_align: 8
    .kernarg_segment_size: 136
    .language:       OpenCL C
    .language_version:
      - 2
      - 0
    .max_flat_workgroup_size: 256
    .name:           _ZN7rocprim17ROCPRIM_400000_NS6detail17trampoline_kernelINS0_14default_configENS1_25partition_config_selectorILNS1_17partition_subalgoE6EsNS0_10empty_typeEbEEZZNS1_14partition_implILS5_6ELb0ES3_mN6thrust23THRUST_200600_302600_NS6detail15normal_iteratorINSA_10device_ptrIsEEEEPS6_SG_NS0_5tupleIJNSA_16discard_iteratorINSA_11use_defaultEEES6_EEENSH_IJSG_SG_EEES6_PlJNSB_9not_fun_tINSB_14equal_to_valueIsEEEEEEE10hipError_tPvRmT3_T4_T5_T6_T7_T9_mT8_P12ihipStream_tbDpT10_ENKUlT_T0_E_clISt17integral_constantIbLb1EES1B_EEDaS16_S17_EUlS16_E_NS1_11comp_targetILNS1_3genE2ELNS1_11target_archE906ELNS1_3gpuE6ELNS1_3repE0EEENS1_30default_config_static_selectorELNS0_4arch9wavefront6targetE0EEEvT1_
    .private_segment_fixed_size: 0
    .sgpr_count:     0
    .sgpr_spill_count: 0
    .symbol:         _ZN7rocprim17ROCPRIM_400000_NS6detail17trampoline_kernelINS0_14default_configENS1_25partition_config_selectorILNS1_17partition_subalgoE6EsNS0_10empty_typeEbEEZZNS1_14partition_implILS5_6ELb0ES3_mN6thrust23THRUST_200600_302600_NS6detail15normal_iteratorINSA_10device_ptrIsEEEEPS6_SG_NS0_5tupleIJNSA_16discard_iteratorINSA_11use_defaultEEES6_EEENSH_IJSG_SG_EEES6_PlJNSB_9not_fun_tINSB_14equal_to_valueIsEEEEEEE10hipError_tPvRmT3_T4_T5_T6_T7_T9_mT8_P12ihipStream_tbDpT10_ENKUlT_T0_E_clISt17integral_constantIbLb1EES1B_EEDaS16_S17_EUlS16_E_NS1_11comp_targetILNS1_3genE2ELNS1_11target_archE906ELNS1_3gpuE6ELNS1_3repE0EEENS1_30default_config_static_selectorELNS0_4arch9wavefront6targetE0EEEvT1_.kd
    .uniform_work_group_size: 1
    .uses_dynamic_stack: false
    .vgpr_count:     0
    .vgpr_spill_count: 0
    .wavefront_size: 32
    .workgroup_processor_mode: 1
  - .args:
      - .offset:         0
        .size:           136
        .value_kind:     by_value
    .group_segment_fixed_size: 0
    .kernarg_segment_align: 8
    .kernarg_segment_size: 136
    .language:       OpenCL C
    .language_version:
      - 2
      - 0
    .max_flat_workgroup_size: 384
    .name:           _ZN7rocprim17ROCPRIM_400000_NS6detail17trampoline_kernelINS0_14default_configENS1_25partition_config_selectorILNS1_17partition_subalgoE6EsNS0_10empty_typeEbEEZZNS1_14partition_implILS5_6ELb0ES3_mN6thrust23THRUST_200600_302600_NS6detail15normal_iteratorINSA_10device_ptrIsEEEEPS6_SG_NS0_5tupleIJNSA_16discard_iteratorINSA_11use_defaultEEES6_EEENSH_IJSG_SG_EEES6_PlJNSB_9not_fun_tINSB_14equal_to_valueIsEEEEEEE10hipError_tPvRmT3_T4_T5_T6_T7_T9_mT8_P12ihipStream_tbDpT10_ENKUlT_T0_E_clISt17integral_constantIbLb1EES1B_EEDaS16_S17_EUlS16_E_NS1_11comp_targetILNS1_3genE10ELNS1_11target_archE1200ELNS1_3gpuE4ELNS1_3repE0EEENS1_30default_config_static_selectorELNS0_4arch9wavefront6targetE0EEEvT1_
    .private_segment_fixed_size: 0
    .sgpr_count:     0
    .sgpr_spill_count: 0
    .symbol:         _ZN7rocprim17ROCPRIM_400000_NS6detail17trampoline_kernelINS0_14default_configENS1_25partition_config_selectorILNS1_17partition_subalgoE6EsNS0_10empty_typeEbEEZZNS1_14partition_implILS5_6ELb0ES3_mN6thrust23THRUST_200600_302600_NS6detail15normal_iteratorINSA_10device_ptrIsEEEEPS6_SG_NS0_5tupleIJNSA_16discard_iteratorINSA_11use_defaultEEES6_EEENSH_IJSG_SG_EEES6_PlJNSB_9not_fun_tINSB_14equal_to_valueIsEEEEEEE10hipError_tPvRmT3_T4_T5_T6_T7_T9_mT8_P12ihipStream_tbDpT10_ENKUlT_T0_E_clISt17integral_constantIbLb1EES1B_EEDaS16_S17_EUlS16_E_NS1_11comp_targetILNS1_3genE10ELNS1_11target_archE1200ELNS1_3gpuE4ELNS1_3repE0EEENS1_30default_config_static_selectorELNS0_4arch9wavefront6targetE0EEEvT1_.kd
    .uniform_work_group_size: 1
    .uses_dynamic_stack: false
    .vgpr_count:     0
    .vgpr_spill_count: 0
    .wavefront_size: 32
    .workgroup_processor_mode: 1
  - .args:
      - .offset:         0
        .size:           136
        .value_kind:     by_value
    .group_segment_fixed_size: 0
    .kernarg_segment_align: 8
    .kernarg_segment_size: 136
    .language:       OpenCL C
    .language_version:
      - 2
      - 0
    .max_flat_workgroup_size: 128
    .name:           _ZN7rocprim17ROCPRIM_400000_NS6detail17trampoline_kernelINS0_14default_configENS1_25partition_config_selectorILNS1_17partition_subalgoE6EsNS0_10empty_typeEbEEZZNS1_14partition_implILS5_6ELb0ES3_mN6thrust23THRUST_200600_302600_NS6detail15normal_iteratorINSA_10device_ptrIsEEEEPS6_SG_NS0_5tupleIJNSA_16discard_iteratorINSA_11use_defaultEEES6_EEENSH_IJSG_SG_EEES6_PlJNSB_9not_fun_tINSB_14equal_to_valueIsEEEEEEE10hipError_tPvRmT3_T4_T5_T6_T7_T9_mT8_P12ihipStream_tbDpT10_ENKUlT_T0_E_clISt17integral_constantIbLb1EES1B_EEDaS16_S17_EUlS16_E_NS1_11comp_targetILNS1_3genE9ELNS1_11target_archE1100ELNS1_3gpuE3ELNS1_3repE0EEENS1_30default_config_static_selectorELNS0_4arch9wavefront6targetE0EEEvT1_
    .private_segment_fixed_size: 0
    .sgpr_count:     0
    .sgpr_spill_count: 0
    .symbol:         _ZN7rocprim17ROCPRIM_400000_NS6detail17trampoline_kernelINS0_14default_configENS1_25partition_config_selectorILNS1_17partition_subalgoE6EsNS0_10empty_typeEbEEZZNS1_14partition_implILS5_6ELb0ES3_mN6thrust23THRUST_200600_302600_NS6detail15normal_iteratorINSA_10device_ptrIsEEEEPS6_SG_NS0_5tupleIJNSA_16discard_iteratorINSA_11use_defaultEEES6_EEENSH_IJSG_SG_EEES6_PlJNSB_9not_fun_tINSB_14equal_to_valueIsEEEEEEE10hipError_tPvRmT3_T4_T5_T6_T7_T9_mT8_P12ihipStream_tbDpT10_ENKUlT_T0_E_clISt17integral_constantIbLb1EES1B_EEDaS16_S17_EUlS16_E_NS1_11comp_targetILNS1_3genE9ELNS1_11target_archE1100ELNS1_3gpuE3ELNS1_3repE0EEENS1_30default_config_static_selectorELNS0_4arch9wavefront6targetE0EEEvT1_.kd
    .uniform_work_group_size: 1
    .uses_dynamic_stack: false
    .vgpr_count:     0
    .vgpr_spill_count: 0
    .wavefront_size: 32
    .workgroup_processor_mode: 1
  - .args:
      - .offset:         0
        .size:           136
        .value_kind:     by_value
    .group_segment_fixed_size: 0
    .kernarg_segment_align: 8
    .kernarg_segment_size: 136
    .language:       OpenCL C
    .language_version:
      - 2
      - 0
    .max_flat_workgroup_size: 256
    .name:           _ZN7rocprim17ROCPRIM_400000_NS6detail17trampoline_kernelINS0_14default_configENS1_25partition_config_selectorILNS1_17partition_subalgoE6EsNS0_10empty_typeEbEEZZNS1_14partition_implILS5_6ELb0ES3_mN6thrust23THRUST_200600_302600_NS6detail15normal_iteratorINSA_10device_ptrIsEEEEPS6_SG_NS0_5tupleIJNSA_16discard_iteratorINSA_11use_defaultEEES6_EEENSH_IJSG_SG_EEES6_PlJNSB_9not_fun_tINSB_14equal_to_valueIsEEEEEEE10hipError_tPvRmT3_T4_T5_T6_T7_T9_mT8_P12ihipStream_tbDpT10_ENKUlT_T0_E_clISt17integral_constantIbLb1EES1B_EEDaS16_S17_EUlS16_E_NS1_11comp_targetILNS1_3genE8ELNS1_11target_archE1030ELNS1_3gpuE2ELNS1_3repE0EEENS1_30default_config_static_selectorELNS0_4arch9wavefront6targetE0EEEvT1_
    .private_segment_fixed_size: 0
    .sgpr_count:     0
    .sgpr_spill_count: 0
    .symbol:         _ZN7rocprim17ROCPRIM_400000_NS6detail17trampoline_kernelINS0_14default_configENS1_25partition_config_selectorILNS1_17partition_subalgoE6EsNS0_10empty_typeEbEEZZNS1_14partition_implILS5_6ELb0ES3_mN6thrust23THRUST_200600_302600_NS6detail15normal_iteratorINSA_10device_ptrIsEEEEPS6_SG_NS0_5tupleIJNSA_16discard_iteratorINSA_11use_defaultEEES6_EEENSH_IJSG_SG_EEES6_PlJNSB_9not_fun_tINSB_14equal_to_valueIsEEEEEEE10hipError_tPvRmT3_T4_T5_T6_T7_T9_mT8_P12ihipStream_tbDpT10_ENKUlT_T0_E_clISt17integral_constantIbLb1EES1B_EEDaS16_S17_EUlS16_E_NS1_11comp_targetILNS1_3genE8ELNS1_11target_archE1030ELNS1_3gpuE2ELNS1_3repE0EEENS1_30default_config_static_selectorELNS0_4arch9wavefront6targetE0EEEvT1_.kd
    .uniform_work_group_size: 1
    .uses_dynamic_stack: false
    .vgpr_count:     0
    .vgpr_spill_count: 0
    .wavefront_size: 32
    .workgroup_processor_mode: 1
  - .args:
      - .offset:         0
        .size:           120
        .value_kind:     by_value
    .group_segment_fixed_size: 0
    .kernarg_segment_align: 8
    .kernarg_segment_size: 120
    .language:       OpenCL C
    .language_version:
      - 2
      - 0
    .max_flat_workgroup_size: 256
    .name:           _ZN7rocprim17ROCPRIM_400000_NS6detail17trampoline_kernelINS0_14default_configENS1_25partition_config_selectorILNS1_17partition_subalgoE6EsNS0_10empty_typeEbEEZZNS1_14partition_implILS5_6ELb0ES3_mN6thrust23THRUST_200600_302600_NS6detail15normal_iteratorINSA_10device_ptrIsEEEEPS6_SG_NS0_5tupleIJNSA_16discard_iteratorINSA_11use_defaultEEES6_EEENSH_IJSG_SG_EEES6_PlJNSB_9not_fun_tINSB_14equal_to_valueIsEEEEEEE10hipError_tPvRmT3_T4_T5_T6_T7_T9_mT8_P12ihipStream_tbDpT10_ENKUlT_T0_E_clISt17integral_constantIbLb1EES1A_IbLb0EEEEDaS16_S17_EUlS16_E_NS1_11comp_targetILNS1_3genE0ELNS1_11target_archE4294967295ELNS1_3gpuE0ELNS1_3repE0EEENS1_30default_config_static_selectorELNS0_4arch9wavefront6targetE0EEEvT1_
    .private_segment_fixed_size: 0
    .sgpr_count:     0
    .sgpr_spill_count: 0
    .symbol:         _ZN7rocprim17ROCPRIM_400000_NS6detail17trampoline_kernelINS0_14default_configENS1_25partition_config_selectorILNS1_17partition_subalgoE6EsNS0_10empty_typeEbEEZZNS1_14partition_implILS5_6ELb0ES3_mN6thrust23THRUST_200600_302600_NS6detail15normal_iteratorINSA_10device_ptrIsEEEEPS6_SG_NS0_5tupleIJNSA_16discard_iteratorINSA_11use_defaultEEES6_EEENSH_IJSG_SG_EEES6_PlJNSB_9not_fun_tINSB_14equal_to_valueIsEEEEEEE10hipError_tPvRmT3_T4_T5_T6_T7_T9_mT8_P12ihipStream_tbDpT10_ENKUlT_T0_E_clISt17integral_constantIbLb1EES1A_IbLb0EEEEDaS16_S17_EUlS16_E_NS1_11comp_targetILNS1_3genE0ELNS1_11target_archE4294967295ELNS1_3gpuE0ELNS1_3repE0EEENS1_30default_config_static_selectorELNS0_4arch9wavefront6targetE0EEEvT1_.kd
    .uniform_work_group_size: 1
    .uses_dynamic_stack: false
    .vgpr_count:     0
    .vgpr_spill_count: 0
    .wavefront_size: 32
    .workgroup_processor_mode: 1
  - .args:
      - .offset:         0
        .size:           120
        .value_kind:     by_value
    .group_segment_fixed_size: 0
    .kernarg_segment_align: 8
    .kernarg_segment_size: 120
    .language:       OpenCL C
    .language_version:
      - 2
      - 0
    .max_flat_workgroup_size: 512
    .name:           _ZN7rocprim17ROCPRIM_400000_NS6detail17trampoline_kernelINS0_14default_configENS1_25partition_config_selectorILNS1_17partition_subalgoE6EsNS0_10empty_typeEbEEZZNS1_14partition_implILS5_6ELb0ES3_mN6thrust23THRUST_200600_302600_NS6detail15normal_iteratorINSA_10device_ptrIsEEEEPS6_SG_NS0_5tupleIJNSA_16discard_iteratorINSA_11use_defaultEEES6_EEENSH_IJSG_SG_EEES6_PlJNSB_9not_fun_tINSB_14equal_to_valueIsEEEEEEE10hipError_tPvRmT3_T4_T5_T6_T7_T9_mT8_P12ihipStream_tbDpT10_ENKUlT_T0_E_clISt17integral_constantIbLb1EES1A_IbLb0EEEEDaS16_S17_EUlS16_E_NS1_11comp_targetILNS1_3genE5ELNS1_11target_archE942ELNS1_3gpuE9ELNS1_3repE0EEENS1_30default_config_static_selectorELNS0_4arch9wavefront6targetE0EEEvT1_
    .private_segment_fixed_size: 0
    .sgpr_count:     0
    .sgpr_spill_count: 0
    .symbol:         _ZN7rocprim17ROCPRIM_400000_NS6detail17trampoline_kernelINS0_14default_configENS1_25partition_config_selectorILNS1_17partition_subalgoE6EsNS0_10empty_typeEbEEZZNS1_14partition_implILS5_6ELb0ES3_mN6thrust23THRUST_200600_302600_NS6detail15normal_iteratorINSA_10device_ptrIsEEEEPS6_SG_NS0_5tupleIJNSA_16discard_iteratorINSA_11use_defaultEEES6_EEENSH_IJSG_SG_EEES6_PlJNSB_9not_fun_tINSB_14equal_to_valueIsEEEEEEE10hipError_tPvRmT3_T4_T5_T6_T7_T9_mT8_P12ihipStream_tbDpT10_ENKUlT_T0_E_clISt17integral_constantIbLb1EES1A_IbLb0EEEEDaS16_S17_EUlS16_E_NS1_11comp_targetILNS1_3genE5ELNS1_11target_archE942ELNS1_3gpuE9ELNS1_3repE0EEENS1_30default_config_static_selectorELNS0_4arch9wavefront6targetE0EEEvT1_.kd
    .uniform_work_group_size: 1
    .uses_dynamic_stack: false
    .vgpr_count:     0
    .vgpr_spill_count: 0
    .wavefront_size: 32
    .workgroup_processor_mode: 1
  - .args:
      - .offset:         0
        .size:           120
        .value_kind:     by_value
    .group_segment_fixed_size: 0
    .kernarg_segment_align: 8
    .kernarg_segment_size: 120
    .language:       OpenCL C
    .language_version:
      - 2
      - 0
    .max_flat_workgroup_size: 256
    .name:           _ZN7rocprim17ROCPRIM_400000_NS6detail17trampoline_kernelINS0_14default_configENS1_25partition_config_selectorILNS1_17partition_subalgoE6EsNS0_10empty_typeEbEEZZNS1_14partition_implILS5_6ELb0ES3_mN6thrust23THRUST_200600_302600_NS6detail15normal_iteratorINSA_10device_ptrIsEEEEPS6_SG_NS0_5tupleIJNSA_16discard_iteratorINSA_11use_defaultEEES6_EEENSH_IJSG_SG_EEES6_PlJNSB_9not_fun_tINSB_14equal_to_valueIsEEEEEEE10hipError_tPvRmT3_T4_T5_T6_T7_T9_mT8_P12ihipStream_tbDpT10_ENKUlT_T0_E_clISt17integral_constantIbLb1EES1A_IbLb0EEEEDaS16_S17_EUlS16_E_NS1_11comp_targetILNS1_3genE4ELNS1_11target_archE910ELNS1_3gpuE8ELNS1_3repE0EEENS1_30default_config_static_selectorELNS0_4arch9wavefront6targetE0EEEvT1_
    .private_segment_fixed_size: 0
    .sgpr_count:     0
    .sgpr_spill_count: 0
    .symbol:         _ZN7rocprim17ROCPRIM_400000_NS6detail17trampoline_kernelINS0_14default_configENS1_25partition_config_selectorILNS1_17partition_subalgoE6EsNS0_10empty_typeEbEEZZNS1_14partition_implILS5_6ELb0ES3_mN6thrust23THRUST_200600_302600_NS6detail15normal_iteratorINSA_10device_ptrIsEEEEPS6_SG_NS0_5tupleIJNSA_16discard_iteratorINSA_11use_defaultEEES6_EEENSH_IJSG_SG_EEES6_PlJNSB_9not_fun_tINSB_14equal_to_valueIsEEEEEEE10hipError_tPvRmT3_T4_T5_T6_T7_T9_mT8_P12ihipStream_tbDpT10_ENKUlT_T0_E_clISt17integral_constantIbLb1EES1A_IbLb0EEEEDaS16_S17_EUlS16_E_NS1_11comp_targetILNS1_3genE4ELNS1_11target_archE910ELNS1_3gpuE8ELNS1_3repE0EEENS1_30default_config_static_selectorELNS0_4arch9wavefront6targetE0EEEvT1_.kd
    .uniform_work_group_size: 1
    .uses_dynamic_stack: false
    .vgpr_count:     0
    .vgpr_spill_count: 0
    .wavefront_size: 32
    .workgroup_processor_mode: 1
  - .args:
      - .offset:         0
        .size:           120
        .value_kind:     by_value
    .group_segment_fixed_size: 0
    .kernarg_segment_align: 8
    .kernarg_segment_size: 120
    .language:       OpenCL C
    .language_version:
      - 2
      - 0
    .max_flat_workgroup_size: 256
    .name:           _ZN7rocprim17ROCPRIM_400000_NS6detail17trampoline_kernelINS0_14default_configENS1_25partition_config_selectorILNS1_17partition_subalgoE6EsNS0_10empty_typeEbEEZZNS1_14partition_implILS5_6ELb0ES3_mN6thrust23THRUST_200600_302600_NS6detail15normal_iteratorINSA_10device_ptrIsEEEEPS6_SG_NS0_5tupleIJNSA_16discard_iteratorINSA_11use_defaultEEES6_EEENSH_IJSG_SG_EEES6_PlJNSB_9not_fun_tINSB_14equal_to_valueIsEEEEEEE10hipError_tPvRmT3_T4_T5_T6_T7_T9_mT8_P12ihipStream_tbDpT10_ENKUlT_T0_E_clISt17integral_constantIbLb1EES1A_IbLb0EEEEDaS16_S17_EUlS16_E_NS1_11comp_targetILNS1_3genE3ELNS1_11target_archE908ELNS1_3gpuE7ELNS1_3repE0EEENS1_30default_config_static_selectorELNS0_4arch9wavefront6targetE0EEEvT1_
    .private_segment_fixed_size: 0
    .sgpr_count:     0
    .sgpr_spill_count: 0
    .symbol:         _ZN7rocprim17ROCPRIM_400000_NS6detail17trampoline_kernelINS0_14default_configENS1_25partition_config_selectorILNS1_17partition_subalgoE6EsNS0_10empty_typeEbEEZZNS1_14partition_implILS5_6ELb0ES3_mN6thrust23THRUST_200600_302600_NS6detail15normal_iteratorINSA_10device_ptrIsEEEEPS6_SG_NS0_5tupleIJNSA_16discard_iteratorINSA_11use_defaultEEES6_EEENSH_IJSG_SG_EEES6_PlJNSB_9not_fun_tINSB_14equal_to_valueIsEEEEEEE10hipError_tPvRmT3_T4_T5_T6_T7_T9_mT8_P12ihipStream_tbDpT10_ENKUlT_T0_E_clISt17integral_constantIbLb1EES1A_IbLb0EEEEDaS16_S17_EUlS16_E_NS1_11comp_targetILNS1_3genE3ELNS1_11target_archE908ELNS1_3gpuE7ELNS1_3repE0EEENS1_30default_config_static_selectorELNS0_4arch9wavefront6targetE0EEEvT1_.kd
    .uniform_work_group_size: 1
    .uses_dynamic_stack: false
    .vgpr_count:     0
    .vgpr_spill_count: 0
    .wavefront_size: 32
    .workgroup_processor_mode: 1
  - .args:
      - .offset:         0
        .size:           120
        .value_kind:     by_value
    .group_segment_fixed_size: 0
    .kernarg_segment_align: 8
    .kernarg_segment_size: 120
    .language:       OpenCL C
    .language_version:
      - 2
      - 0
    .max_flat_workgroup_size: 256
    .name:           _ZN7rocprim17ROCPRIM_400000_NS6detail17trampoline_kernelINS0_14default_configENS1_25partition_config_selectorILNS1_17partition_subalgoE6EsNS0_10empty_typeEbEEZZNS1_14partition_implILS5_6ELb0ES3_mN6thrust23THRUST_200600_302600_NS6detail15normal_iteratorINSA_10device_ptrIsEEEEPS6_SG_NS0_5tupleIJNSA_16discard_iteratorINSA_11use_defaultEEES6_EEENSH_IJSG_SG_EEES6_PlJNSB_9not_fun_tINSB_14equal_to_valueIsEEEEEEE10hipError_tPvRmT3_T4_T5_T6_T7_T9_mT8_P12ihipStream_tbDpT10_ENKUlT_T0_E_clISt17integral_constantIbLb1EES1A_IbLb0EEEEDaS16_S17_EUlS16_E_NS1_11comp_targetILNS1_3genE2ELNS1_11target_archE906ELNS1_3gpuE6ELNS1_3repE0EEENS1_30default_config_static_selectorELNS0_4arch9wavefront6targetE0EEEvT1_
    .private_segment_fixed_size: 0
    .sgpr_count:     0
    .sgpr_spill_count: 0
    .symbol:         _ZN7rocprim17ROCPRIM_400000_NS6detail17trampoline_kernelINS0_14default_configENS1_25partition_config_selectorILNS1_17partition_subalgoE6EsNS0_10empty_typeEbEEZZNS1_14partition_implILS5_6ELb0ES3_mN6thrust23THRUST_200600_302600_NS6detail15normal_iteratorINSA_10device_ptrIsEEEEPS6_SG_NS0_5tupleIJNSA_16discard_iteratorINSA_11use_defaultEEES6_EEENSH_IJSG_SG_EEES6_PlJNSB_9not_fun_tINSB_14equal_to_valueIsEEEEEEE10hipError_tPvRmT3_T4_T5_T6_T7_T9_mT8_P12ihipStream_tbDpT10_ENKUlT_T0_E_clISt17integral_constantIbLb1EES1A_IbLb0EEEEDaS16_S17_EUlS16_E_NS1_11comp_targetILNS1_3genE2ELNS1_11target_archE906ELNS1_3gpuE6ELNS1_3repE0EEENS1_30default_config_static_selectorELNS0_4arch9wavefront6targetE0EEEvT1_.kd
    .uniform_work_group_size: 1
    .uses_dynamic_stack: false
    .vgpr_count:     0
    .vgpr_spill_count: 0
    .wavefront_size: 32
    .workgroup_processor_mode: 1
  - .args:
      - .offset:         0
        .size:           120
        .value_kind:     by_value
    .group_segment_fixed_size: 0
    .kernarg_segment_align: 8
    .kernarg_segment_size: 120
    .language:       OpenCL C
    .language_version:
      - 2
      - 0
    .max_flat_workgroup_size: 384
    .name:           _ZN7rocprim17ROCPRIM_400000_NS6detail17trampoline_kernelINS0_14default_configENS1_25partition_config_selectorILNS1_17partition_subalgoE6EsNS0_10empty_typeEbEEZZNS1_14partition_implILS5_6ELb0ES3_mN6thrust23THRUST_200600_302600_NS6detail15normal_iteratorINSA_10device_ptrIsEEEEPS6_SG_NS0_5tupleIJNSA_16discard_iteratorINSA_11use_defaultEEES6_EEENSH_IJSG_SG_EEES6_PlJNSB_9not_fun_tINSB_14equal_to_valueIsEEEEEEE10hipError_tPvRmT3_T4_T5_T6_T7_T9_mT8_P12ihipStream_tbDpT10_ENKUlT_T0_E_clISt17integral_constantIbLb1EES1A_IbLb0EEEEDaS16_S17_EUlS16_E_NS1_11comp_targetILNS1_3genE10ELNS1_11target_archE1200ELNS1_3gpuE4ELNS1_3repE0EEENS1_30default_config_static_selectorELNS0_4arch9wavefront6targetE0EEEvT1_
    .private_segment_fixed_size: 0
    .sgpr_count:     0
    .sgpr_spill_count: 0
    .symbol:         _ZN7rocprim17ROCPRIM_400000_NS6detail17trampoline_kernelINS0_14default_configENS1_25partition_config_selectorILNS1_17partition_subalgoE6EsNS0_10empty_typeEbEEZZNS1_14partition_implILS5_6ELb0ES3_mN6thrust23THRUST_200600_302600_NS6detail15normal_iteratorINSA_10device_ptrIsEEEEPS6_SG_NS0_5tupleIJNSA_16discard_iteratorINSA_11use_defaultEEES6_EEENSH_IJSG_SG_EEES6_PlJNSB_9not_fun_tINSB_14equal_to_valueIsEEEEEEE10hipError_tPvRmT3_T4_T5_T6_T7_T9_mT8_P12ihipStream_tbDpT10_ENKUlT_T0_E_clISt17integral_constantIbLb1EES1A_IbLb0EEEEDaS16_S17_EUlS16_E_NS1_11comp_targetILNS1_3genE10ELNS1_11target_archE1200ELNS1_3gpuE4ELNS1_3repE0EEENS1_30default_config_static_selectorELNS0_4arch9wavefront6targetE0EEEvT1_.kd
    .uniform_work_group_size: 1
    .uses_dynamic_stack: false
    .vgpr_count:     0
    .vgpr_spill_count: 0
    .wavefront_size: 32
    .workgroup_processor_mode: 1
  - .args:
      - .offset:         0
        .size:           120
        .value_kind:     by_value
    .group_segment_fixed_size: 0
    .kernarg_segment_align: 8
    .kernarg_segment_size: 120
    .language:       OpenCL C
    .language_version:
      - 2
      - 0
    .max_flat_workgroup_size: 128
    .name:           _ZN7rocprim17ROCPRIM_400000_NS6detail17trampoline_kernelINS0_14default_configENS1_25partition_config_selectorILNS1_17partition_subalgoE6EsNS0_10empty_typeEbEEZZNS1_14partition_implILS5_6ELb0ES3_mN6thrust23THRUST_200600_302600_NS6detail15normal_iteratorINSA_10device_ptrIsEEEEPS6_SG_NS0_5tupleIJNSA_16discard_iteratorINSA_11use_defaultEEES6_EEENSH_IJSG_SG_EEES6_PlJNSB_9not_fun_tINSB_14equal_to_valueIsEEEEEEE10hipError_tPvRmT3_T4_T5_T6_T7_T9_mT8_P12ihipStream_tbDpT10_ENKUlT_T0_E_clISt17integral_constantIbLb1EES1A_IbLb0EEEEDaS16_S17_EUlS16_E_NS1_11comp_targetILNS1_3genE9ELNS1_11target_archE1100ELNS1_3gpuE3ELNS1_3repE0EEENS1_30default_config_static_selectorELNS0_4arch9wavefront6targetE0EEEvT1_
    .private_segment_fixed_size: 0
    .sgpr_count:     0
    .sgpr_spill_count: 0
    .symbol:         _ZN7rocprim17ROCPRIM_400000_NS6detail17trampoline_kernelINS0_14default_configENS1_25partition_config_selectorILNS1_17partition_subalgoE6EsNS0_10empty_typeEbEEZZNS1_14partition_implILS5_6ELb0ES3_mN6thrust23THRUST_200600_302600_NS6detail15normal_iteratorINSA_10device_ptrIsEEEEPS6_SG_NS0_5tupleIJNSA_16discard_iteratorINSA_11use_defaultEEES6_EEENSH_IJSG_SG_EEES6_PlJNSB_9not_fun_tINSB_14equal_to_valueIsEEEEEEE10hipError_tPvRmT3_T4_T5_T6_T7_T9_mT8_P12ihipStream_tbDpT10_ENKUlT_T0_E_clISt17integral_constantIbLb1EES1A_IbLb0EEEEDaS16_S17_EUlS16_E_NS1_11comp_targetILNS1_3genE9ELNS1_11target_archE1100ELNS1_3gpuE3ELNS1_3repE0EEENS1_30default_config_static_selectorELNS0_4arch9wavefront6targetE0EEEvT1_.kd
    .uniform_work_group_size: 1
    .uses_dynamic_stack: false
    .vgpr_count:     0
    .vgpr_spill_count: 0
    .wavefront_size: 32
    .workgroup_processor_mode: 1
  - .args:
      - .offset:         0
        .size:           120
        .value_kind:     by_value
    .group_segment_fixed_size: 0
    .kernarg_segment_align: 8
    .kernarg_segment_size: 120
    .language:       OpenCL C
    .language_version:
      - 2
      - 0
    .max_flat_workgroup_size: 256
    .name:           _ZN7rocprim17ROCPRIM_400000_NS6detail17trampoline_kernelINS0_14default_configENS1_25partition_config_selectorILNS1_17partition_subalgoE6EsNS0_10empty_typeEbEEZZNS1_14partition_implILS5_6ELb0ES3_mN6thrust23THRUST_200600_302600_NS6detail15normal_iteratorINSA_10device_ptrIsEEEEPS6_SG_NS0_5tupleIJNSA_16discard_iteratorINSA_11use_defaultEEES6_EEENSH_IJSG_SG_EEES6_PlJNSB_9not_fun_tINSB_14equal_to_valueIsEEEEEEE10hipError_tPvRmT3_T4_T5_T6_T7_T9_mT8_P12ihipStream_tbDpT10_ENKUlT_T0_E_clISt17integral_constantIbLb1EES1A_IbLb0EEEEDaS16_S17_EUlS16_E_NS1_11comp_targetILNS1_3genE8ELNS1_11target_archE1030ELNS1_3gpuE2ELNS1_3repE0EEENS1_30default_config_static_selectorELNS0_4arch9wavefront6targetE0EEEvT1_
    .private_segment_fixed_size: 0
    .sgpr_count:     0
    .sgpr_spill_count: 0
    .symbol:         _ZN7rocprim17ROCPRIM_400000_NS6detail17trampoline_kernelINS0_14default_configENS1_25partition_config_selectorILNS1_17partition_subalgoE6EsNS0_10empty_typeEbEEZZNS1_14partition_implILS5_6ELb0ES3_mN6thrust23THRUST_200600_302600_NS6detail15normal_iteratorINSA_10device_ptrIsEEEEPS6_SG_NS0_5tupleIJNSA_16discard_iteratorINSA_11use_defaultEEES6_EEENSH_IJSG_SG_EEES6_PlJNSB_9not_fun_tINSB_14equal_to_valueIsEEEEEEE10hipError_tPvRmT3_T4_T5_T6_T7_T9_mT8_P12ihipStream_tbDpT10_ENKUlT_T0_E_clISt17integral_constantIbLb1EES1A_IbLb0EEEEDaS16_S17_EUlS16_E_NS1_11comp_targetILNS1_3genE8ELNS1_11target_archE1030ELNS1_3gpuE2ELNS1_3repE0EEENS1_30default_config_static_selectorELNS0_4arch9wavefront6targetE0EEEvT1_.kd
    .uniform_work_group_size: 1
    .uses_dynamic_stack: false
    .vgpr_count:     0
    .vgpr_spill_count: 0
    .wavefront_size: 32
    .workgroup_processor_mode: 1
  - .args:
      - .offset:         0
        .size:           136
        .value_kind:     by_value
    .group_segment_fixed_size: 0
    .kernarg_segment_align: 8
    .kernarg_segment_size: 136
    .language:       OpenCL C
    .language_version:
      - 2
      - 0
    .max_flat_workgroup_size: 256
    .name:           _ZN7rocprim17ROCPRIM_400000_NS6detail17trampoline_kernelINS0_14default_configENS1_25partition_config_selectorILNS1_17partition_subalgoE6EsNS0_10empty_typeEbEEZZNS1_14partition_implILS5_6ELb0ES3_mN6thrust23THRUST_200600_302600_NS6detail15normal_iteratorINSA_10device_ptrIsEEEEPS6_SG_NS0_5tupleIJNSA_16discard_iteratorINSA_11use_defaultEEES6_EEENSH_IJSG_SG_EEES6_PlJNSB_9not_fun_tINSB_14equal_to_valueIsEEEEEEE10hipError_tPvRmT3_T4_T5_T6_T7_T9_mT8_P12ihipStream_tbDpT10_ENKUlT_T0_E_clISt17integral_constantIbLb0EES1A_IbLb1EEEEDaS16_S17_EUlS16_E_NS1_11comp_targetILNS1_3genE0ELNS1_11target_archE4294967295ELNS1_3gpuE0ELNS1_3repE0EEENS1_30default_config_static_selectorELNS0_4arch9wavefront6targetE0EEEvT1_
    .private_segment_fixed_size: 0
    .sgpr_count:     0
    .sgpr_spill_count: 0
    .symbol:         _ZN7rocprim17ROCPRIM_400000_NS6detail17trampoline_kernelINS0_14default_configENS1_25partition_config_selectorILNS1_17partition_subalgoE6EsNS0_10empty_typeEbEEZZNS1_14partition_implILS5_6ELb0ES3_mN6thrust23THRUST_200600_302600_NS6detail15normal_iteratorINSA_10device_ptrIsEEEEPS6_SG_NS0_5tupleIJNSA_16discard_iteratorINSA_11use_defaultEEES6_EEENSH_IJSG_SG_EEES6_PlJNSB_9not_fun_tINSB_14equal_to_valueIsEEEEEEE10hipError_tPvRmT3_T4_T5_T6_T7_T9_mT8_P12ihipStream_tbDpT10_ENKUlT_T0_E_clISt17integral_constantIbLb0EES1A_IbLb1EEEEDaS16_S17_EUlS16_E_NS1_11comp_targetILNS1_3genE0ELNS1_11target_archE4294967295ELNS1_3gpuE0ELNS1_3repE0EEENS1_30default_config_static_selectorELNS0_4arch9wavefront6targetE0EEEvT1_.kd
    .uniform_work_group_size: 1
    .uses_dynamic_stack: false
    .vgpr_count:     0
    .vgpr_spill_count: 0
    .wavefront_size: 32
    .workgroup_processor_mode: 1
  - .args:
      - .offset:         0
        .size:           136
        .value_kind:     by_value
    .group_segment_fixed_size: 0
    .kernarg_segment_align: 8
    .kernarg_segment_size: 136
    .language:       OpenCL C
    .language_version:
      - 2
      - 0
    .max_flat_workgroup_size: 512
    .name:           _ZN7rocprim17ROCPRIM_400000_NS6detail17trampoline_kernelINS0_14default_configENS1_25partition_config_selectorILNS1_17partition_subalgoE6EsNS0_10empty_typeEbEEZZNS1_14partition_implILS5_6ELb0ES3_mN6thrust23THRUST_200600_302600_NS6detail15normal_iteratorINSA_10device_ptrIsEEEEPS6_SG_NS0_5tupleIJNSA_16discard_iteratorINSA_11use_defaultEEES6_EEENSH_IJSG_SG_EEES6_PlJNSB_9not_fun_tINSB_14equal_to_valueIsEEEEEEE10hipError_tPvRmT3_T4_T5_T6_T7_T9_mT8_P12ihipStream_tbDpT10_ENKUlT_T0_E_clISt17integral_constantIbLb0EES1A_IbLb1EEEEDaS16_S17_EUlS16_E_NS1_11comp_targetILNS1_3genE5ELNS1_11target_archE942ELNS1_3gpuE9ELNS1_3repE0EEENS1_30default_config_static_selectorELNS0_4arch9wavefront6targetE0EEEvT1_
    .private_segment_fixed_size: 0
    .sgpr_count:     0
    .sgpr_spill_count: 0
    .symbol:         _ZN7rocprim17ROCPRIM_400000_NS6detail17trampoline_kernelINS0_14default_configENS1_25partition_config_selectorILNS1_17partition_subalgoE6EsNS0_10empty_typeEbEEZZNS1_14partition_implILS5_6ELb0ES3_mN6thrust23THRUST_200600_302600_NS6detail15normal_iteratorINSA_10device_ptrIsEEEEPS6_SG_NS0_5tupleIJNSA_16discard_iteratorINSA_11use_defaultEEES6_EEENSH_IJSG_SG_EEES6_PlJNSB_9not_fun_tINSB_14equal_to_valueIsEEEEEEE10hipError_tPvRmT3_T4_T5_T6_T7_T9_mT8_P12ihipStream_tbDpT10_ENKUlT_T0_E_clISt17integral_constantIbLb0EES1A_IbLb1EEEEDaS16_S17_EUlS16_E_NS1_11comp_targetILNS1_3genE5ELNS1_11target_archE942ELNS1_3gpuE9ELNS1_3repE0EEENS1_30default_config_static_selectorELNS0_4arch9wavefront6targetE0EEEvT1_.kd
    .uniform_work_group_size: 1
    .uses_dynamic_stack: false
    .vgpr_count:     0
    .vgpr_spill_count: 0
    .wavefront_size: 32
    .workgroup_processor_mode: 1
  - .args:
      - .offset:         0
        .size:           136
        .value_kind:     by_value
    .group_segment_fixed_size: 0
    .kernarg_segment_align: 8
    .kernarg_segment_size: 136
    .language:       OpenCL C
    .language_version:
      - 2
      - 0
    .max_flat_workgroup_size: 256
    .name:           _ZN7rocprim17ROCPRIM_400000_NS6detail17trampoline_kernelINS0_14default_configENS1_25partition_config_selectorILNS1_17partition_subalgoE6EsNS0_10empty_typeEbEEZZNS1_14partition_implILS5_6ELb0ES3_mN6thrust23THRUST_200600_302600_NS6detail15normal_iteratorINSA_10device_ptrIsEEEEPS6_SG_NS0_5tupleIJNSA_16discard_iteratorINSA_11use_defaultEEES6_EEENSH_IJSG_SG_EEES6_PlJNSB_9not_fun_tINSB_14equal_to_valueIsEEEEEEE10hipError_tPvRmT3_T4_T5_T6_T7_T9_mT8_P12ihipStream_tbDpT10_ENKUlT_T0_E_clISt17integral_constantIbLb0EES1A_IbLb1EEEEDaS16_S17_EUlS16_E_NS1_11comp_targetILNS1_3genE4ELNS1_11target_archE910ELNS1_3gpuE8ELNS1_3repE0EEENS1_30default_config_static_selectorELNS0_4arch9wavefront6targetE0EEEvT1_
    .private_segment_fixed_size: 0
    .sgpr_count:     0
    .sgpr_spill_count: 0
    .symbol:         _ZN7rocprim17ROCPRIM_400000_NS6detail17trampoline_kernelINS0_14default_configENS1_25partition_config_selectorILNS1_17partition_subalgoE6EsNS0_10empty_typeEbEEZZNS1_14partition_implILS5_6ELb0ES3_mN6thrust23THRUST_200600_302600_NS6detail15normal_iteratorINSA_10device_ptrIsEEEEPS6_SG_NS0_5tupleIJNSA_16discard_iteratorINSA_11use_defaultEEES6_EEENSH_IJSG_SG_EEES6_PlJNSB_9not_fun_tINSB_14equal_to_valueIsEEEEEEE10hipError_tPvRmT3_T4_T5_T6_T7_T9_mT8_P12ihipStream_tbDpT10_ENKUlT_T0_E_clISt17integral_constantIbLb0EES1A_IbLb1EEEEDaS16_S17_EUlS16_E_NS1_11comp_targetILNS1_3genE4ELNS1_11target_archE910ELNS1_3gpuE8ELNS1_3repE0EEENS1_30default_config_static_selectorELNS0_4arch9wavefront6targetE0EEEvT1_.kd
    .uniform_work_group_size: 1
    .uses_dynamic_stack: false
    .vgpr_count:     0
    .vgpr_spill_count: 0
    .wavefront_size: 32
    .workgroup_processor_mode: 1
  - .args:
      - .offset:         0
        .size:           136
        .value_kind:     by_value
    .group_segment_fixed_size: 0
    .kernarg_segment_align: 8
    .kernarg_segment_size: 136
    .language:       OpenCL C
    .language_version:
      - 2
      - 0
    .max_flat_workgroup_size: 256
    .name:           _ZN7rocprim17ROCPRIM_400000_NS6detail17trampoline_kernelINS0_14default_configENS1_25partition_config_selectorILNS1_17partition_subalgoE6EsNS0_10empty_typeEbEEZZNS1_14partition_implILS5_6ELb0ES3_mN6thrust23THRUST_200600_302600_NS6detail15normal_iteratorINSA_10device_ptrIsEEEEPS6_SG_NS0_5tupleIJNSA_16discard_iteratorINSA_11use_defaultEEES6_EEENSH_IJSG_SG_EEES6_PlJNSB_9not_fun_tINSB_14equal_to_valueIsEEEEEEE10hipError_tPvRmT3_T4_T5_T6_T7_T9_mT8_P12ihipStream_tbDpT10_ENKUlT_T0_E_clISt17integral_constantIbLb0EES1A_IbLb1EEEEDaS16_S17_EUlS16_E_NS1_11comp_targetILNS1_3genE3ELNS1_11target_archE908ELNS1_3gpuE7ELNS1_3repE0EEENS1_30default_config_static_selectorELNS0_4arch9wavefront6targetE0EEEvT1_
    .private_segment_fixed_size: 0
    .sgpr_count:     0
    .sgpr_spill_count: 0
    .symbol:         _ZN7rocprim17ROCPRIM_400000_NS6detail17trampoline_kernelINS0_14default_configENS1_25partition_config_selectorILNS1_17partition_subalgoE6EsNS0_10empty_typeEbEEZZNS1_14partition_implILS5_6ELb0ES3_mN6thrust23THRUST_200600_302600_NS6detail15normal_iteratorINSA_10device_ptrIsEEEEPS6_SG_NS0_5tupleIJNSA_16discard_iteratorINSA_11use_defaultEEES6_EEENSH_IJSG_SG_EEES6_PlJNSB_9not_fun_tINSB_14equal_to_valueIsEEEEEEE10hipError_tPvRmT3_T4_T5_T6_T7_T9_mT8_P12ihipStream_tbDpT10_ENKUlT_T0_E_clISt17integral_constantIbLb0EES1A_IbLb1EEEEDaS16_S17_EUlS16_E_NS1_11comp_targetILNS1_3genE3ELNS1_11target_archE908ELNS1_3gpuE7ELNS1_3repE0EEENS1_30default_config_static_selectorELNS0_4arch9wavefront6targetE0EEEvT1_.kd
    .uniform_work_group_size: 1
    .uses_dynamic_stack: false
    .vgpr_count:     0
    .vgpr_spill_count: 0
    .wavefront_size: 32
    .workgroup_processor_mode: 1
  - .args:
      - .offset:         0
        .size:           136
        .value_kind:     by_value
    .group_segment_fixed_size: 0
    .kernarg_segment_align: 8
    .kernarg_segment_size: 136
    .language:       OpenCL C
    .language_version:
      - 2
      - 0
    .max_flat_workgroup_size: 256
    .name:           _ZN7rocprim17ROCPRIM_400000_NS6detail17trampoline_kernelINS0_14default_configENS1_25partition_config_selectorILNS1_17partition_subalgoE6EsNS0_10empty_typeEbEEZZNS1_14partition_implILS5_6ELb0ES3_mN6thrust23THRUST_200600_302600_NS6detail15normal_iteratorINSA_10device_ptrIsEEEEPS6_SG_NS0_5tupleIJNSA_16discard_iteratorINSA_11use_defaultEEES6_EEENSH_IJSG_SG_EEES6_PlJNSB_9not_fun_tINSB_14equal_to_valueIsEEEEEEE10hipError_tPvRmT3_T4_T5_T6_T7_T9_mT8_P12ihipStream_tbDpT10_ENKUlT_T0_E_clISt17integral_constantIbLb0EES1A_IbLb1EEEEDaS16_S17_EUlS16_E_NS1_11comp_targetILNS1_3genE2ELNS1_11target_archE906ELNS1_3gpuE6ELNS1_3repE0EEENS1_30default_config_static_selectorELNS0_4arch9wavefront6targetE0EEEvT1_
    .private_segment_fixed_size: 0
    .sgpr_count:     0
    .sgpr_spill_count: 0
    .symbol:         _ZN7rocprim17ROCPRIM_400000_NS6detail17trampoline_kernelINS0_14default_configENS1_25partition_config_selectorILNS1_17partition_subalgoE6EsNS0_10empty_typeEbEEZZNS1_14partition_implILS5_6ELb0ES3_mN6thrust23THRUST_200600_302600_NS6detail15normal_iteratorINSA_10device_ptrIsEEEEPS6_SG_NS0_5tupleIJNSA_16discard_iteratorINSA_11use_defaultEEES6_EEENSH_IJSG_SG_EEES6_PlJNSB_9not_fun_tINSB_14equal_to_valueIsEEEEEEE10hipError_tPvRmT3_T4_T5_T6_T7_T9_mT8_P12ihipStream_tbDpT10_ENKUlT_T0_E_clISt17integral_constantIbLb0EES1A_IbLb1EEEEDaS16_S17_EUlS16_E_NS1_11comp_targetILNS1_3genE2ELNS1_11target_archE906ELNS1_3gpuE6ELNS1_3repE0EEENS1_30default_config_static_selectorELNS0_4arch9wavefront6targetE0EEEvT1_.kd
    .uniform_work_group_size: 1
    .uses_dynamic_stack: false
    .vgpr_count:     0
    .vgpr_spill_count: 0
    .wavefront_size: 32
    .workgroup_processor_mode: 1
  - .args:
      - .offset:         0
        .size:           136
        .value_kind:     by_value
    .group_segment_fixed_size: 13840
    .kernarg_segment_align: 8
    .kernarg_segment_size: 136
    .language:       OpenCL C
    .language_version:
      - 2
      - 0
    .max_flat_workgroup_size: 384
    .name:           _ZN7rocprim17ROCPRIM_400000_NS6detail17trampoline_kernelINS0_14default_configENS1_25partition_config_selectorILNS1_17partition_subalgoE6EsNS0_10empty_typeEbEEZZNS1_14partition_implILS5_6ELb0ES3_mN6thrust23THRUST_200600_302600_NS6detail15normal_iteratorINSA_10device_ptrIsEEEEPS6_SG_NS0_5tupleIJNSA_16discard_iteratorINSA_11use_defaultEEES6_EEENSH_IJSG_SG_EEES6_PlJNSB_9not_fun_tINSB_14equal_to_valueIsEEEEEEE10hipError_tPvRmT3_T4_T5_T6_T7_T9_mT8_P12ihipStream_tbDpT10_ENKUlT_T0_E_clISt17integral_constantIbLb0EES1A_IbLb1EEEEDaS16_S17_EUlS16_E_NS1_11comp_targetILNS1_3genE10ELNS1_11target_archE1200ELNS1_3gpuE4ELNS1_3repE0EEENS1_30default_config_static_selectorELNS0_4arch9wavefront6targetE0EEEvT1_
    .private_segment_fixed_size: 0
    .sgpr_count:     30
    .sgpr_spill_count: 0
    .symbol:         _ZN7rocprim17ROCPRIM_400000_NS6detail17trampoline_kernelINS0_14default_configENS1_25partition_config_selectorILNS1_17partition_subalgoE6EsNS0_10empty_typeEbEEZZNS1_14partition_implILS5_6ELb0ES3_mN6thrust23THRUST_200600_302600_NS6detail15normal_iteratorINSA_10device_ptrIsEEEEPS6_SG_NS0_5tupleIJNSA_16discard_iteratorINSA_11use_defaultEEES6_EEENSH_IJSG_SG_EEES6_PlJNSB_9not_fun_tINSB_14equal_to_valueIsEEEEEEE10hipError_tPvRmT3_T4_T5_T6_T7_T9_mT8_P12ihipStream_tbDpT10_ENKUlT_T0_E_clISt17integral_constantIbLb0EES1A_IbLb1EEEEDaS16_S17_EUlS16_E_NS1_11comp_targetILNS1_3genE10ELNS1_11target_archE1200ELNS1_3gpuE4ELNS1_3repE0EEENS1_30default_config_static_selectorELNS0_4arch9wavefront6targetE0EEEvT1_.kd
    .uniform_work_group_size: 1
    .uses_dynamic_stack: false
    .vgpr_count:     65
    .vgpr_spill_count: 0
    .wavefront_size: 32
    .workgroup_processor_mode: 1
  - .args:
      - .offset:         0
        .size:           136
        .value_kind:     by_value
    .group_segment_fixed_size: 0
    .kernarg_segment_align: 8
    .kernarg_segment_size: 136
    .language:       OpenCL C
    .language_version:
      - 2
      - 0
    .max_flat_workgroup_size: 128
    .name:           _ZN7rocprim17ROCPRIM_400000_NS6detail17trampoline_kernelINS0_14default_configENS1_25partition_config_selectorILNS1_17partition_subalgoE6EsNS0_10empty_typeEbEEZZNS1_14partition_implILS5_6ELb0ES3_mN6thrust23THRUST_200600_302600_NS6detail15normal_iteratorINSA_10device_ptrIsEEEEPS6_SG_NS0_5tupleIJNSA_16discard_iteratorINSA_11use_defaultEEES6_EEENSH_IJSG_SG_EEES6_PlJNSB_9not_fun_tINSB_14equal_to_valueIsEEEEEEE10hipError_tPvRmT3_T4_T5_T6_T7_T9_mT8_P12ihipStream_tbDpT10_ENKUlT_T0_E_clISt17integral_constantIbLb0EES1A_IbLb1EEEEDaS16_S17_EUlS16_E_NS1_11comp_targetILNS1_3genE9ELNS1_11target_archE1100ELNS1_3gpuE3ELNS1_3repE0EEENS1_30default_config_static_selectorELNS0_4arch9wavefront6targetE0EEEvT1_
    .private_segment_fixed_size: 0
    .sgpr_count:     0
    .sgpr_spill_count: 0
    .symbol:         _ZN7rocprim17ROCPRIM_400000_NS6detail17trampoline_kernelINS0_14default_configENS1_25partition_config_selectorILNS1_17partition_subalgoE6EsNS0_10empty_typeEbEEZZNS1_14partition_implILS5_6ELb0ES3_mN6thrust23THRUST_200600_302600_NS6detail15normal_iteratorINSA_10device_ptrIsEEEEPS6_SG_NS0_5tupleIJNSA_16discard_iteratorINSA_11use_defaultEEES6_EEENSH_IJSG_SG_EEES6_PlJNSB_9not_fun_tINSB_14equal_to_valueIsEEEEEEE10hipError_tPvRmT3_T4_T5_T6_T7_T9_mT8_P12ihipStream_tbDpT10_ENKUlT_T0_E_clISt17integral_constantIbLb0EES1A_IbLb1EEEEDaS16_S17_EUlS16_E_NS1_11comp_targetILNS1_3genE9ELNS1_11target_archE1100ELNS1_3gpuE3ELNS1_3repE0EEENS1_30default_config_static_selectorELNS0_4arch9wavefront6targetE0EEEvT1_.kd
    .uniform_work_group_size: 1
    .uses_dynamic_stack: false
    .vgpr_count:     0
    .vgpr_spill_count: 0
    .wavefront_size: 32
    .workgroup_processor_mode: 1
  - .args:
      - .offset:         0
        .size:           136
        .value_kind:     by_value
    .group_segment_fixed_size: 0
    .kernarg_segment_align: 8
    .kernarg_segment_size: 136
    .language:       OpenCL C
    .language_version:
      - 2
      - 0
    .max_flat_workgroup_size: 256
    .name:           _ZN7rocprim17ROCPRIM_400000_NS6detail17trampoline_kernelINS0_14default_configENS1_25partition_config_selectorILNS1_17partition_subalgoE6EsNS0_10empty_typeEbEEZZNS1_14partition_implILS5_6ELb0ES3_mN6thrust23THRUST_200600_302600_NS6detail15normal_iteratorINSA_10device_ptrIsEEEEPS6_SG_NS0_5tupleIJNSA_16discard_iteratorINSA_11use_defaultEEES6_EEENSH_IJSG_SG_EEES6_PlJNSB_9not_fun_tINSB_14equal_to_valueIsEEEEEEE10hipError_tPvRmT3_T4_T5_T6_T7_T9_mT8_P12ihipStream_tbDpT10_ENKUlT_T0_E_clISt17integral_constantIbLb0EES1A_IbLb1EEEEDaS16_S17_EUlS16_E_NS1_11comp_targetILNS1_3genE8ELNS1_11target_archE1030ELNS1_3gpuE2ELNS1_3repE0EEENS1_30default_config_static_selectorELNS0_4arch9wavefront6targetE0EEEvT1_
    .private_segment_fixed_size: 0
    .sgpr_count:     0
    .sgpr_spill_count: 0
    .symbol:         _ZN7rocprim17ROCPRIM_400000_NS6detail17trampoline_kernelINS0_14default_configENS1_25partition_config_selectorILNS1_17partition_subalgoE6EsNS0_10empty_typeEbEEZZNS1_14partition_implILS5_6ELb0ES3_mN6thrust23THRUST_200600_302600_NS6detail15normal_iteratorINSA_10device_ptrIsEEEEPS6_SG_NS0_5tupleIJNSA_16discard_iteratorINSA_11use_defaultEEES6_EEENSH_IJSG_SG_EEES6_PlJNSB_9not_fun_tINSB_14equal_to_valueIsEEEEEEE10hipError_tPvRmT3_T4_T5_T6_T7_T9_mT8_P12ihipStream_tbDpT10_ENKUlT_T0_E_clISt17integral_constantIbLb0EES1A_IbLb1EEEEDaS16_S17_EUlS16_E_NS1_11comp_targetILNS1_3genE8ELNS1_11target_archE1030ELNS1_3gpuE2ELNS1_3repE0EEENS1_30default_config_static_selectorELNS0_4arch9wavefront6targetE0EEEvT1_.kd
    .uniform_work_group_size: 1
    .uses_dynamic_stack: false
    .vgpr_count:     0
    .vgpr_spill_count: 0
    .wavefront_size: 32
    .workgroup_processor_mode: 1
  - .args:
      - .offset:         0
        .size:           152
        .value_kind:     by_value
    .group_segment_fixed_size: 0
    .kernarg_segment_align: 8
    .kernarg_segment_size: 152
    .language:       OpenCL C
    .language_version:
      - 2
      - 0
    .max_flat_workgroup_size: 256
    .name:           _ZN7rocprim17ROCPRIM_400000_NS6detail17trampoline_kernelINS0_14default_configENS1_25partition_config_selectorILNS1_17partition_subalgoE6EN6thrust23THRUST_200600_302600_NS5tupleIddNS7_9null_typeES9_S9_S9_S9_S9_S9_S9_EENS0_10empty_typeEbEEZZNS1_14partition_implILS5_6ELb0ES3_mNS7_12zip_iteratorINS8_INS7_6detail15normal_iteratorINS7_10device_ptrIdEEEESJ_S9_S9_S9_S9_S9_S9_S9_S9_EEEEPSB_SM_NS0_5tupleIJNSE_INS8_ISJ_NS7_16discard_iteratorINS7_11use_defaultEEES9_S9_S9_S9_S9_S9_S9_S9_EEEESB_EEENSN_IJSM_SM_EEESB_PlJNSF_9not_fun_tINSF_14equal_to_valueISA_EEEEEEE10hipError_tPvRmT3_T4_T5_T6_T7_T9_mT8_P12ihipStream_tbDpT10_ENKUlT_T0_E_clISt17integral_constantIbLb0EES1J_EEDaS1E_S1F_EUlS1E_E_NS1_11comp_targetILNS1_3genE0ELNS1_11target_archE4294967295ELNS1_3gpuE0ELNS1_3repE0EEENS1_30default_config_static_selectorELNS0_4arch9wavefront6targetE0EEEvT1_
    .private_segment_fixed_size: 0
    .sgpr_count:     0
    .sgpr_spill_count: 0
    .symbol:         _ZN7rocprim17ROCPRIM_400000_NS6detail17trampoline_kernelINS0_14default_configENS1_25partition_config_selectorILNS1_17partition_subalgoE6EN6thrust23THRUST_200600_302600_NS5tupleIddNS7_9null_typeES9_S9_S9_S9_S9_S9_S9_EENS0_10empty_typeEbEEZZNS1_14partition_implILS5_6ELb0ES3_mNS7_12zip_iteratorINS8_INS7_6detail15normal_iteratorINS7_10device_ptrIdEEEESJ_S9_S9_S9_S9_S9_S9_S9_S9_EEEEPSB_SM_NS0_5tupleIJNSE_INS8_ISJ_NS7_16discard_iteratorINS7_11use_defaultEEES9_S9_S9_S9_S9_S9_S9_S9_EEEESB_EEENSN_IJSM_SM_EEESB_PlJNSF_9not_fun_tINSF_14equal_to_valueISA_EEEEEEE10hipError_tPvRmT3_T4_T5_T6_T7_T9_mT8_P12ihipStream_tbDpT10_ENKUlT_T0_E_clISt17integral_constantIbLb0EES1J_EEDaS1E_S1F_EUlS1E_E_NS1_11comp_targetILNS1_3genE0ELNS1_11target_archE4294967295ELNS1_3gpuE0ELNS1_3repE0EEENS1_30default_config_static_selectorELNS0_4arch9wavefront6targetE0EEEvT1_.kd
    .uniform_work_group_size: 1
    .uses_dynamic_stack: false
    .vgpr_count:     0
    .vgpr_spill_count: 0
    .wavefront_size: 32
    .workgroup_processor_mode: 1
  - .args:
      - .offset:         0
        .size:           152
        .value_kind:     by_value
    .group_segment_fixed_size: 0
    .kernarg_segment_align: 8
    .kernarg_segment_size: 152
    .language:       OpenCL C
    .language_version:
      - 2
      - 0
    .max_flat_workgroup_size: 384
    .name:           _ZN7rocprim17ROCPRIM_400000_NS6detail17trampoline_kernelINS0_14default_configENS1_25partition_config_selectorILNS1_17partition_subalgoE6EN6thrust23THRUST_200600_302600_NS5tupleIddNS7_9null_typeES9_S9_S9_S9_S9_S9_S9_EENS0_10empty_typeEbEEZZNS1_14partition_implILS5_6ELb0ES3_mNS7_12zip_iteratorINS8_INS7_6detail15normal_iteratorINS7_10device_ptrIdEEEESJ_S9_S9_S9_S9_S9_S9_S9_S9_EEEEPSB_SM_NS0_5tupleIJNSE_INS8_ISJ_NS7_16discard_iteratorINS7_11use_defaultEEES9_S9_S9_S9_S9_S9_S9_S9_EEEESB_EEENSN_IJSM_SM_EEESB_PlJNSF_9not_fun_tINSF_14equal_to_valueISA_EEEEEEE10hipError_tPvRmT3_T4_T5_T6_T7_T9_mT8_P12ihipStream_tbDpT10_ENKUlT_T0_E_clISt17integral_constantIbLb0EES1J_EEDaS1E_S1F_EUlS1E_E_NS1_11comp_targetILNS1_3genE5ELNS1_11target_archE942ELNS1_3gpuE9ELNS1_3repE0EEENS1_30default_config_static_selectorELNS0_4arch9wavefront6targetE0EEEvT1_
    .private_segment_fixed_size: 0
    .sgpr_count:     0
    .sgpr_spill_count: 0
    .symbol:         _ZN7rocprim17ROCPRIM_400000_NS6detail17trampoline_kernelINS0_14default_configENS1_25partition_config_selectorILNS1_17partition_subalgoE6EN6thrust23THRUST_200600_302600_NS5tupleIddNS7_9null_typeES9_S9_S9_S9_S9_S9_S9_EENS0_10empty_typeEbEEZZNS1_14partition_implILS5_6ELb0ES3_mNS7_12zip_iteratorINS8_INS7_6detail15normal_iteratorINS7_10device_ptrIdEEEESJ_S9_S9_S9_S9_S9_S9_S9_S9_EEEEPSB_SM_NS0_5tupleIJNSE_INS8_ISJ_NS7_16discard_iteratorINS7_11use_defaultEEES9_S9_S9_S9_S9_S9_S9_S9_EEEESB_EEENSN_IJSM_SM_EEESB_PlJNSF_9not_fun_tINSF_14equal_to_valueISA_EEEEEEE10hipError_tPvRmT3_T4_T5_T6_T7_T9_mT8_P12ihipStream_tbDpT10_ENKUlT_T0_E_clISt17integral_constantIbLb0EES1J_EEDaS1E_S1F_EUlS1E_E_NS1_11comp_targetILNS1_3genE5ELNS1_11target_archE942ELNS1_3gpuE9ELNS1_3repE0EEENS1_30default_config_static_selectorELNS0_4arch9wavefront6targetE0EEEvT1_.kd
    .uniform_work_group_size: 1
    .uses_dynamic_stack: false
    .vgpr_count:     0
    .vgpr_spill_count: 0
    .wavefront_size: 32
    .workgroup_processor_mode: 1
  - .args:
      - .offset:         0
        .size:           152
        .value_kind:     by_value
    .group_segment_fixed_size: 0
    .kernarg_segment_align: 8
    .kernarg_segment_size: 152
    .language:       OpenCL C
    .language_version:
      - 2
      - 0
    .max_flat_workgroup_size: 256
    .name:           _ZN7rocprim17ROCPRIM_400000_NS6detail17trampoline_kernelINS0_14default_configENS1_25partition_config_selectorILNS1_17partition_subalgoE6EN6thrust23THRUST_200600_302600_NS5tupleIddNS7_9null_typeES9_S9_S9_S9_S9_S9_S9_EENS0_10empty_typeEbEEZZNS1_14partition_implILS5_6ELb0ES3_mNS7_12zip_iteratorINS8_INS7_6detail15normal_iteratorINS7_10device_ptrIdEEEESJ_S9_S9_S9_S9_S9_S9_S9_S9_EEEEPSB_SM_NS0_5tupleIJNSE_INS8_ISJ_NS7_16discard_iteratorINS7_11use_defaultEEES9_S9_S9_S9_S9_S9_S9_S9_EEEESB_EEENSN_IJSM_SM_EEESB_PlJNSF_9not_fun_tINSF_14equal_to_valueISA_EEEEEEE10hipError_tPvRmT3_T4_T5_T6_T7_T9_mT8_P12ihipStream_tbDpT10_ENKUlT_T0_E_clISt17integral_constantIbLb0EES1J_EEDaS1E_S1F_EUlS1E_E_NS1_11comp_targetILNS1_3genE4ELNS1_11target_archE910ELNS1_3gpuE8ELNS1_3repE0EEENS1_30default_config_static_selectorELNS0_4arch9wavefront6targetE0EEEvT1_
    .private_segment_fixed_size: 0
    .sgpr_count:     0
    .sgpr_spill_count: 0
    .symbol:         _ZN7rocprim17ROCPRIM_400000_NS6detail17trampoline_kernelINS0_14default_configENS1_25partition_config_selectorILNS1_17partition_subalgoE6EN6thrust23THRUST_200600_302600_NS5tupleIddNS7_9null_typeES9_S9_S9_S9_S9_S9_S9_EENS0_10empty_typeEbEEZZNS1_14partition_implILS5_6ELb0ES3_mNS7_12zip_iteratorINS8_INS7_6detail15normal_iteratorINS7_10device_ptrIdEEEESJ_S9_S9_S9_S9_S9_S9_S9_S9_EEEEPSB_SM_NS0_5tupleIJNSE_INS8_ISJ_NS7_16discard_iteratorINS7_11use_defaultEEES9_S9_S9_S9_S9_S9_S9_S9_EEEESB_EEENSN_IJSM_SM_EEESB_PlJNSF_9not_fun_tINSF_14equal_to_valueISA_EEEEEEE10hipError_tPvRmT3_T4_T5_T6_T7_T9_mT8_P12ihipStream_tbDpT10_ENKUlT_T0_E_clISt17integral_constantIbLb0EES1J_EEDaS1E_S1F_EUlS1E_E_NS1_11comp_targetILNS1_3genE4ELNS1_11target_archE910ELNS1_3gpuE8ELNS1_3repE0EEENS1_30default_config_static_selectorELNS0_4arch9wavefront6targetE0EEEvT1_.kd
    .uniform_work_group_size: 1
    .uses_dynamic_stack: false
    .vgpr_count:     0
    .vgpr_spill_count: 0
    .wavefront_size: 32
    .workgroup_processor_mode: 1
  - .args:
      - .offset:         0
        .size:           152
        .value_kind:     by_value
    .group_segment_fixed_size: 0
    .kernarg_segment_align: 8
    .kernarg_segment_size: 152
    .language:       OpenCL C
    .language_version:
      - 2
      - 0
    .max_flat_workgroup_size: 256
    .name:           _ZN7rocprim17ROCPRIM_400000_NS6detail17trampoline_kernelINS0_14default_configENS1_25partition_config_selectorILNS1_17partition_subalgoE6EN6thrust23THRUST_200600_302600_NS5tupleIddNS7_9null_typeES9_S9_S9_S9_S9_S9_S9_EENS0_10empty_typeEbEEZZNS1_14partition_implILS5_6ELb0ES3_mNS7_12zip_iteratorINS8_INS7_6detail15normal_iteratorINS7_10device_ptrIdEEEESJ_S9_S9_S9_S9_S9_S9_S9_S9_EEEEPSB_SM_NS0_5tupleIJNSE_INS8_ISJ_NS7_16discard_iteratorINS7_11use_defaultEEES9_S9_S9_S9_S9_S9_S9_S9_EEEESB_EEENSN_IJSM_SM_EEESB_PlJNSF_9not_fun_tINSF_14equal_to_valueISA_EEEEEEE10hipError_tPvRmT3_T4_T5_T6_T7_T9_mT8_P12ihipStream_tbDpT10_ENKUlT_T0_E_clISt17integral_constantIbLb0EES1J_EEDaS1E_S1F_EUlS1E_E_NS1_11comp_targetILNS1_3genE3ELNS1_11target_archE908ELNS1_3gpuE7ELNS1_3repE0EEENS1_30default_config_static_selectorELNS0_4arch9wavefront6targetE0EEEvT1_
    .private_segment_fixed_size: 0
    .sgpr_count:     0
    .sgpr_spill_count: 0
    .symbol:         _ZN7rocprim17ROCPRIM_400000_NS6detail17trampoline_kernelINS0_14default_configENS1_25partition_config_selectorILNS1_17partition_subalgoE6EN6thrust23THRUST_200600_302600_NS5tupleIddNS7_9null_typeES9_S9_S9_S9_S9_S9_S9_EENS0_10empty_typeEbEEZZNS1_14partition_implILS5_6ELb0ES3_mNS7_12zip_iteratorINS8_INS7_6detail15normal_iteratorINS7_10device_ptrIdEEEESJ_S9_S9_S9_S9_S9_S9_S9_S9_EEEEPSB_SM_NS0_5tupleIJNSE_INS8_ISJ_NS7_16discard_iteratorINS7_11use_defaultEEES9_S9_S9_S9_S9_S9_S9_S9_EEEESB_EEENSN_IJSM_SM_EEESB_PlJNSF_9not_fun_tINSF_14equal_to_valueISA_EEEEEEE10hipError_tPvRmT3_T4_T5_T6_T7_T9_mT8_P12ihipStream_tbDpT10_ENKUlT_T0_E_clISt17integral_constantIbLb0EES1J_EEDaS1E_S1F_EUlS1E_E_NS1_11comp_targetILNS1_3genE3ELNS1_11target_archE908ELNS1_3gpuE7ELNS1_3repE0EEENS1_30default_config_static_selectorELNS0_4arch9wavefront6targetE0EEEvT1_.kd
    .uniform_work_group_size: 1
    .uses_dynamic_stack: false
    .vgpr_count:     0
    .vgpr_spill_count: 0
    .wavefront_size: 32
    .workgroup_processor_mode: 1
  - .args:
      - .offset:         0
        .size:           152
        .value_kind:     by_value
    .group_segment_fixed_size: 0
    .kernarg_segment_align: 8
    .kernarg_segment_size: 152
    .language:       OpenCL C
    .language_version:
      - 2
      - 0
    .max_flat_workgroup_size: 256
    .name:           _ZN7rocprim17ROCPRIM_400000_NS6detail17trampoline_kernelINS0_14default_configENS1_25partition_config_selectorILNS1_17partition_subalgoE6EN6thrust23THRUST_200600_302600_NS5tupleIddNS7_9null_typeES9_S9_S9_S9_S9_S9_S9_EENS0_10empty_typeEbEEZZNS1_14partition_implILS5_6ELb0ES3_mNS7_12zip_iteratorINS8_INS7_6detail15normal_iteratorINS7_10device_ptrIdEEEESJ_S9_S9_S9_S9_S9_S9_S9_S9_EEEEPSB_SM_NS0_5tupleIJNSE_INS8_ISJ_NS7_16discard_iteratorINS7_11use_defaultEEES9_S9_S9_S9_S9_S9_S9_S9_EEEESB_EEENSN_IJSM_SM_EEESB_PlJNSF_9not_fun_tINSF_14equal_to_valueISA_EEEEEEE10hipError_tPvRmT3_T4_T5_T6_T7_T9_mT8_P12ihipStream_tbDpT10_ENKUlT_T0_E_clISt17integral_constantIbLb0EES1J_EEDaS1E_S1F_EUlS1E_E_NS1_11comp_targetILNS1_3genE2ELNS1_11target_archE906ELNS1_3gpuE6ELNS1_3repE0EEENS1_30default_config_static_selectorELNS0_4arch9wavefront6targetE0EEEvT1_
    .private_segment_fixed_size: 0
    .sgpr_count:     0
    .sgpr_spill_count: 0
    .symbol:         _ZN7rocprim17ROCPRIM_400000_NS6detail17trampoline_kernelINS0_14default_configENS1_25partition_config_selectorILNS1_17partition_subalgoE6EN6thrust23THRUST_200600_302600_NS5tupleIddNS7_9null_typeES9_S9_S9_S9_S9_S9_S9_EENS0_10empty_typeEbEEZZNS1_14partition_implILS5_6ELb0ES3_mNS7_12zip_iteratorINS8_INS7_6detail15normal_iteratorINS7_10device_ptrIdEEEESJ_S9_S9_S9_S9_S9_S9_S9_S9_EEEEPSB_SM_NS0_5tupleIJNSE_INS8_ISJ_NS7_16discard_iteratorINS7_11use_defaultEEES9_S9_S9_S9_S9_S9_S9_S9_EEEESB_EEENSN_IJSM_SM_EEESB_PlJNSF_9not_fun_tINSF_14equal_to_valueISA_EEEEEEE10hipError_tPvRmT3_T4_T5_T6_T7_T9_mT8_P12ihipStream_tbDpT10_ENKUlT_T0_E_clISt17integral_constantIbLb0EES1J_EEDaS1E_S1F_EUlS1E_E_NS1_11comp_targetILNS1_3genE2ELNS1_11target_archE906ELNS1_3gpuE6ELNS1_3repE0EEENS1_30default_config_static_selectorELNS0_4arch9wavefront6targetE0EEEvT1_.kd
    .uniform_work_group_size: 1
    .uses_dynamic_stack: false
    .vgpr_count:     0
    .vgpr_spill_count: 0
    .wavefront_size: 32
    .workgroup_processor_mode: 1
  - .args:
      - .offset:         0
        .size:           152
        .value_kind:     by_value
    .group_segment_fixed_size: 12304
    .kernarg_segment_align: 8
    .kernarg_segment_size: 152
    .language:       OpenCL C
    .language_version:
      - 2
      - 0
    .max_flat_workgroup_size: 256
    .name:           _ZN7rocprim17ROCPRIM_400000_NS6detail17trampoline_kernelINS0_14default_configENS1_25partition_config_selectorILNS1_17partition_subalgoE6EN6thrust23THRUST_200600_302600_NS5tupleIddNS7_9null_typeES9_S9_S9_S9_S9_S9_S9_EENS0_10empty_typeEbEEZZNS1_14partition_implILS5_6ELb0ES3_mNS7_12zip_iteratorINS8_INS7_6detail15normal_iteratorINS7_10device_ptrIdEEEESJ_S9_S9_S9_S9_S9_S9_S9_S9_EEEEPSB_SM_NS0_5tupleIJNSE_INS8_ISJ_NS7_16discard_iteratorINS7_11use_defaultEEES9_S9_S9_S9_S9_S9_S9_S9_EEEESB_EEENSN_IJSM_SM_EEESB_PlJNSF_9not_fun_tINSF_14equal_to_valueISA_EEEEEEE10hipError_tPvRmT3_T4_T5_T6_T7_T9_mT8_P12ihipStream_tbDpT10_ENKUlT_T0_E_clISt17integral_constantIbLb0EES1J_EEDaS1E_S1F_EUlS1E_E_NS1_11comp_targetILNS1_3genE10ELNS1_11target_archE1200ELNS1_3gpuE4ELNS1_3repE0EEENS1_30default_config_static_selectorELNS0_4arch9wavefront6targetE0EEEvT1_
    .private_segment_fixed_size: 0
    .sgpr_count:     24
    .sgpr_spill_count: 0
    .symbol:         _ZN7rocprim17ROCPRIM_400000_NS6detail17trampoline_kernelINS0_14default_configENS1_25partition_config_selectorILNS1_17partition_subalgoE6EN6thrust23THRUST_200600_302600_NS5tupleIddNS7_9null_typeES9_S9_S9_S9_S9_S9_S9_EENS0_10empty_typeEbEEZZNS1_14partition_implILS5_6ELb0ES3_mNS7_12zip_iteratorINS8_INS7_6detail15normal_iteratorINS7_10device_ptrIdEEEESJ_S9_S9_S9_S9_S9_S9_S9_S9_EEEEPSB_SM_NS0_5tupleIJNSE_INS8_ISJ_NS7_16discard_iteratorINS7_11use_defaultEEES9_S9_S9_S9_S9_S9_S9_S9_EEEESB_EEENSN_IJSM_SM_EEESB_PlJNSF_9not_fun_tINSF_14equal_to_valueISA_EEEEEEE10hipError_tPvRmT3_T4_T5_T6_T7_T9_mT8_P12ihipStream_tbDpT10_ENKUlT_T0_E_clISt17integral_constantIbLb0EES1J_EEDaS1E_S1F_EUlS1E_E_NS1_11comp_targetILNS1_3genE10ELNS1_11target_archE1200ELNS1_3gpuE4ELNS1_3repE0EEENS1_30default_config_static_selectorELNS0_4arch9wavefront6targetE0EEEvT1_.kd
    .uniform_work_group_size: 1
    .uses_dynamic_stack: false
    .vgpr_count:     49
    .vgpr_spill_count: 0
    .wavefront_size: 32
    .workgroup_processor_mode: 1
  - .args:
      - .offset:         0
        .size:           152
        .value_kind:     by_value
    .group_segment_fixed_size: 0
    .kernarg_segment_align: 8
    .kernarg_segment_size: 152
    .language:       OpenCL C
    .language_version:
      - 2
      - 0
    .max_flat_workgroup_size: 512
    .name:           _ZN7rocprim17ROCPRIM_400000_NS6detail17trampoline_kernelINS0_14default_configENS1_25partition_config_selectorILNS1_17partition_subalgoE6EN6thrust23THRUST_200600_302600_NS5tupleIddNS7_9null_typeES9_S9_S9_S9_S9_S9_S9_EENS0_10empty_typeEbEEZZNS1_14partition_implILS5_6ELb0ES3_mNS7_12zip_iteratorINS8_INS7_6detail15normal_iteratorINS7_10device_ptrIdEEEESJ_S9_S9_S9_S9_S9_S9_S9_S9_EEEEPSB_SM_NS0_5tupleIJNSE_INS8_ISJ_NS7_16discard_iteratorINS7_11use_defaultEEES9_S9_S9_S9_S9_S9_S9_S9_EEEESB_EEENSN_IJSM_SM_EEESB_PlJNSF_9not_fun_tINSF_14equal_to_valueISA_EEEEEEE10hipError_tPvRmT3_T4_T5_T6_T7_T9_mT8_P12ihipStream_tbDpT10_ENKUlT_T0_E_clISt17integral_constantIbLb0EES1J_EEDaS1E_S1F_EUlS1E_E_NS1_11comp_targetILNS1_3genE9ELNS1_11target_archE1100ELNS1_3gpuE3ELNS1_3repE0EEENS1_30default_config_static_selectorELNS0_4arch9wavefront6targetE0EEEvT1_
    .private_segment_fixed_size: 0
    .sgpr_count:     0
    .sgpr_spill_count: 0
    .symbol:         _ZN7rocprim17ROCPRIM_400000_NS6detail17trampoline_kernelINS0_14default_configENS1_25partition_config_selectorILNS1_17partition_subalgoE6EN6thrust23THRUST_200600_302600_NS5tupleIddNS7_9null_typeES9_S9_S9_S9_S9_S9_S9_EENS0_10empty_typeEbEEZZNS1_14partition_implILS5_6ELb0ES3_mNS7_12zip_iteratorINS8_INS7_6detail15normal_iteratorINS7_10device_ptrIdEEEESJ_S9_S9_S9_S9_S9_S9_S9_S9_EEEEPSB_SM_NS0_5tupleIJNSE_INS8_ISJ_NS7_16discard_iteratorINS7_11use_defaultEEES9_S9_S9_S9_S9_S9_S9_S9_EEEESB_EEENSN_IJSM_SM_EEESB_PlJNSF_9not_fun_tINSF_14equal_to_valueISA_EEEEEEE10hipError_tPvRmT3_T4_T5_T6_T7_T9_mT8_P12ihipStream_tbDpT10_ENKUlT_T0_E_clISt17integral_constantIbLb0EES1J_EEDaS1E_S1F_EUlS1E_E_NS1_11comp_targetILNS1_3genE9ELNS1_11target_archE1100ELNS1_3gpuE3ELNS1_3repE0EEENS1_30default_config_static_selectorELNS0_4arch9wavefront6targetE0EEEvT1_.kd
    .uniform_work_group_size: 1
    .uses_dynamic_stack: false
    .vgpr_count:     0
    .vgpr_spill_count: 0
    .wavefront_size: 32
    .workgroup_processor_mode: 1
  - .args:
      - .offset:         0
        .size:           152
        .value_kind:     by_value
    .group_segment_fixed_size: 0
    .kernarg_segment_align: 8
    .kernarg_segment_size: 152
    .language:       OpenCL C
    .language_version:
      - 2
      - 0
    .max_flat_workgroup_size: 256
    .name:           _ZN7rocprim17ROCPRIM_400000_NS6detail17trampoline_kernelINS0_14default_configENS1_25partition_config_selectorILNS1_17partition_subalgoE6EN6thrust23THRUST_200600_302600_NS5tupleIddNS7_9null_typeES9_S9_S9_S9_S9_S9_S9_EENS0_10empty_typeEbEEZZNS1_14partition_implILS5_6ELb0ES3_mNS7_12zip_iteratorINS8_INS7_6detail15normal_iteratorINS7_10device_ptrIdEEEESJ_S9_S9_S9_S9_S9_S9_S9_S9_EEEEPSB_SM_NS0_5tupleIJNSE_INS8_ISJ_NS7_16discard_iteratorINS7_11use_defaultEEES9_S9_S9_S9_S9_S9_S9_S9_EEEESB_EEENSN_IJSM_SM_EEESB_PlJNSF_9not_fun_tINSF_14equal_to_valueISA_EEEEEEE10hipError_tPvRmT3_T4_T5_T6_T7_T9_mT8_P12ihipStream_tbDpT10_ENKUlT_T0_E_clISt17integral_constantIbLb0EES1J_EEDaS1E_S1F_EUlS1E_E_NS1_11comp_targetILNS1_3genE8ELNS1_11target_archE1030ELNS1_3gpuE2ELNS1_3repE0EEENS1_30default_config_static_selectorELNS0_4arch9wavefront6targetE0EEEvT1_
    .private_segment_fixed_size: 0
    .sgpr_count:     0
    .sgpr_spill_count: 0
    .symbol:         _ZN7rocprim17ROCPRIM_400000_NS6detail17trampoline_kernelINS0_14default_configENS1_25partition_config_selectorILNS1_17partition_subalgoE6EN6thrust23THRUST_200600_302600_NS5tupleIddNS7_9null_typeES9_S9_S9_S9_S9_S9_S9_EENS0_10empty_typeEbEEZZNS1_14partition_implILS5_6ELb0ES3_mNS7_12zip_iteratorINS8_INS7_6detail15normal_iteratorINS7_10device_ptrIdEEEESJ_S9_S9_S9_S9_S9_S9_S9_S9_EEEEPSB_SM_NS0_5tupleIJNSE_INS8_ISJ_NS7_16discard_iteratorINS7_11use_defaultEEES9_S9_S9_S9_S9_S9_S9_S9_EEEESB_EEENSN_IJSM_SM_EEESB_PlJNSF_9not_fun_tINSF_14equal_to_valueISA_EEEEEEE10hipError_tPvRmT3_T4_T5_T6_T7_T9_mT8_P12ihipStream_tbDpT10_ENKUlT_T0_E_clISt17integral_constantIbLb0EES1J_EEDaS1E_S1F_EUlS1E_E_NS1_11comp_targetILNS1_3genE8ELNS1_11target_archE1030ELNS1_3gpuE2ELNS1_3repE0EEENS1_30default_config_static_selectorELNS0_4arch9wavefront6targetE0EEEvT1_.kd
    .uniform_work_group_size: 1
    .uses_dynamic_stack: false
    .vgpr_count:     0
    .vgpr_spill_count: 0
    .wavefront_size: 32
    .workgroup_processor_mode: 1
  - .args:
      - .offset:         0
        .size:           160
        .value_kind:     by_value
    .group_segment_fixed_size: 0
    .kernarg_segment_align: 8
    .kernarg_segment_size: 160
    .language:       OpenCL C
    .language_version:
      - 2
      - 0
    .max_flat_workgroup_size: 256
    .name:           _ZN7rocprim17ROCPRIM_400000_NS6detail17trampoline_kernelINS0_14default_configENS1_25partition_config_selectorILNS1_17partition_subalgoE6EN6thrust23THRUST_200600_302600_NS5tupleIddNS7_9null_typeES9_S9_S9_S9_S9_S9_S9_EENS0_10empty_typeEbEEZZNS1_14partition_implILS5_6ELb0ES3_mNS7_12zip_iteratorINS8_INS7_6detail15normal_iteratorINS7_10device_ptrIdEEEESJ_S9_S9_S9_S9_S9_S9_S9_S9_EEEEPSB_SM_NS0_5tupleIJNSE_INS8_ISJ_NS7_16discard_iteratorINS7_11use_defaultEEES9_S9_S9_S9_S9_S9_S9_S9_EEEESB_EEENSN_IJSM_SM_EEESB_PlJNSF_9not_fun_tINSF_14equal_to_valueISA_EEEEEEE10hipError_tPvRmT3_T4_T5_T6_T7_T9_mT8_P12ihipStream_tbDpT10_ENKUlT_T0_E_clISt17integral_constantIbLb1EES1J_EEDaS1E_S1F_EUlS1E_E_NS1_11comp_targetILNS1_3genE0ELNS1_11target_archE4294967295ELNS1_3gpuE0ELNS1_3repE0EEENS1_30default_config_static_selectorELNS0_4arch9wavefront6targetE0EEEvT1_
    .private_segment_fixed_size: 0
    .sgpr_count:     0
    .sgpr_spill_count: 0
    .symbol:         _ZN7rocprim17ROCPRIM_400000_NS6detail17trampoline_kernelINS0_14default_configENS1_25partition_config_selectorILNS1_17partition_subalgoE6EN6thrust23THRUST_200600_302600_NS5tupleIddNS7_9null_typeES9_S9_S9_S9_S9_S9_S9_EENS0_10empty_typeEbEEZZNS1_14partition_implILS5_6ELb0ES3_mNS7_12zip_iteratorINS8_INS7_6detail15normal_iteratorINS7_10device_ptrIdEEEESJ_S9_S9_S9_S9_S9_S9_S9_S9_EEEEPSB_SM_NS0_5tupleIJNSE_INS8_ISJ_NS7_16discard_iteratorINS7_11use_defaultEEES9_S9_S9_S9_S9_S9_S9_S9_EEEESB_EEENSN_IJSM_SM_EEESB_PlJNSF_9not_fun_tINSF_14equal_to_valueISA_EEEEEEE10hipError_tPvRmT3_T4_T5_T6_T7_T9_mT8_P12ihipStream_tbDpT10_ENKUlT_T0_E_clISt17integral_constantIbLb1EES1J_EEDaS1E_S1F_EUlS1E_E_NS1_11comp_targetILNS1_3genE0ELNS1_11target_archE4294967295ELNS1_3gpuE0ELNS1_3repE0EEENS1_30default_config_static_selectorELNS0_4arch9wavefront6targetE0EEEvT1_.kd
    .uniform_work_group_size: 1
    .uses_dynamic_stack: false
    .vgpr_count:     0
    .vgpr_spill_count: 0
    .wavefront_size: 32
    .workgroup_processor_mode: 1
  - .args:
      - .offset:         0
        .size:           160
        .value_kind:     by_value
    .group_segment_fixed_size: 0
    .kernarg_segment_align: 8
    .kernarg_segment_size: 160
    .language:       OpenCL C
    .language_version:
      - 2
      - 0
    .max_flat_workgroup_size: 384
    .name:           _ZN7rocprim17ROCPRIM_400000_NS6detail17trampoline_kernelINS0_14default_configENS1_25partition_config_selectorILNS1_17partition_subalgoE6EN6thrust23THRUST_200600_302600_NS5tupleIddNS7_9null_typeES9_S9_S9_S9_S9_S9_S9_EENS0_10empty_typeEbEEZZNS1_14partition_implILS5_6ELb0ES3_mNS7_12zip_iteratorINS8_INS7_6detail15normal_iteratorINS7_10device_ptrIdEEEESJ_S9_S9_S9_S9_S9_S9_S9_S9_EEEEPSB_SM_NS0_5tupleIJNSE_INS8_ISJ_NS7_16discard_iteratorINS7_11use_defaultEEES9_S9_S9_S9_S9_S9_S9_S9_EEEESB_EEENSN_IJSM_SM_EEESB_PlJNSF_9not_fun_tINSF_14equal_to_valueISA_EEEEEEE10hipError_tPvRmT3_T4_T5_T6_T7_T9_mT8_P12ihipStream_tbDpT10_ENKUlT_T0_E_clISt17integral_constantIbLb1EES1J_EEDaS1E_S1F_EUlS1E_E_NS1_11comp_targetILNS1_3genE5ELNS1_11target_archE942ELNS1_3gpuE9ELNS1_3repE0EEENS1_30default_config_static_selectorELNS0_4arch9wavefront6targetE0EEEvT1_
    .private_segment_fixed_size: 0
    .sgpr_count:     0
    .sgpr_spill_count: 0
    .symbol:         _ZN7rocprim17ROCPRIM_400000_NS6detail17trampoline_kernelINS0_14default_configENS1_25partition_config_selectorILNS1_17partition_subalgoE6EN6thrust23THRUST_200600_302600_NS5tupleIddNS7_9null_typeES9_S9_S9_S9_S9_S9_S9_EENS0_10empty_typeEbEEZZNS1_14partition_implILS5_6ELb0ES3_mNS7_12zip_iteratorINS8_INS7_6detail15normal_iteratorINS7_10device_ptrIdEEEESJ_S9_S9_S9_S9_S9_S9_S9_S9_EEEEPSB_SM_NS0_5tupleIJNSE_INS8_ISJ_NS7_16discard_iteratorINS7_11use_defaultEEES9_S9_S9_S9_S9_S9_S9_S9_EEEESB_EEENSN_IJSM_SM_EEESB_PlJNSF_9not_fun_tINSF_14equal_to_valueISA_EEEEEEE10hipError_tPvRmT3_T4_T5_T6_T7_T9_mT8_P12ihipStream_tbDpT10_ENKUlT_T0_E_clISt17integral_constantIbLb1EES1J_EEDaS1E_S1F_EUlS1E_E_NS1_11comp_targetILNS1_3genE5ELNS1_11target_archE942ELNS1_3gpuE9ELNS1_3repE0EEENS1_30default_config_static_selectorELNS0_4arch9wavefront6targetE0EEEvT1_.kd
    .uniform_work_group_size: 1
    .uses_dynamic_stack: false
    .vgpr_count:     0
    .vgpr_spill_count: 0
    .wavefront_size: 32
    .workgroup_processor_mode: 1
  - .args:
      - .offset:         0
        .size:           160
        .value_kind:     by_value
    .group_segment_fixed_size: 0
    .kernarg_segment_align: 8
    .kernarg_segment_size: 160
    .language:       OpenCL C
    .language_version:
      - 2
      - 0
    .max_flat_workgroup_size: 256
    .name:           _ZN7rocprim17ROCPRIM_400000_NS6detail17trampoline_kernelINS0_14default_configENS1_25partition_config_selectorILNS1_17partition_subalgoE6EN6thrust23THRUST_200600_302600_NS5tupleIddNS7_9null_typeES9_S9_S9_S9_S9_S9_S9_EENS0_10empty_typeEbEEZZNS1_14partition_implILS5_6ELb0ES3_mNS7_12zip_iteratorINS8_INS7_6detail15normal_iteratorINS7_10device_ptrIdEEEESJ_S9_S9_S9_S9_S9_S9_S9_S9_EEEEPSB_SM_NS0_5tupleIJNSE_INS8_ISJ_NS7_16discard_iteratorINS7_11use_defaultEEES9_S9_S9_S9_S9_S9_S9_S9_EEEESB_EEENSN_IJSM_SM_EEESB_PlJNSF_9not_fun_tINSF_14equal_to_valueISA_EEEEEEE10hipError_tPvRmT3_T4_T5_T6_T7_T9_mT8_P12ihipStream_tbDpT10_ENKUlT_T0_E_clISt17integral_constantIbLb1EES1J_EEDaS1E_S1F_EUlS1E_E_NS1_11comp_targetILNS1_3genE4ELNS1_11target_archE910ELNS1_3gpuE8ELNS1_3repE0EEENS1_30default_config_static_selectorELNS0_4arch9wavefront6targetE0EEEvT1_
    .private_segment_fixed_size: 0
    .sgpr_count:     0
    .sgpr_spill_count: 0
    .symbol:         _ZN7rocprim17ROCPRIM_400000_NS6detail17trampoline_kernelINS0_14default_configENS1_25partition_config_selectorILNS1_17partition_subalgoE6EN6thrust23THRUST_200600_302600_NS5tupleIddNS7_9null_typeES9_S9_S9_S9_S9_S9_S9_EENS0_10empty_typeEbEEZZNS1_14partition_implILS5_6ELb0ES3_mNS7_12zip_iteratorINS8_INS7_6detail15normal_iteratorINS7_10device_ptrIdEEEESJ_S9_S9_S9_S9_S9_S9_S9_S9_EEEEPSB_SM_NS0_5tupleIJNSE_INS8_ISJ_NS7_16discard_iteratorINS7_11use_defaultEEES9_S9_S9_S9_S9_S9_S9_S9_EEEESB_EEENSN_IJSM_SM_EEESB_PlJNSF_9not_fun_tINSF_14equal_to_valueISA_EEEEEEE10hipError_tPvRmT3_T4_T5_T6_T7_T9_mT8_P12ihipStream_tbDpT10_ENKUlT_T0_E_clISt17integral_constantIbLb1EES1J_EEDaS1E_S1F_EUlS1E_E_NS1_11comp_targetILNS1_3genE4ELNS1_11target_archE910ELNS1_3gpuE8ELNS1_3repE0EEENS1_30default_config_static_selectorELNS0_4arch9wavefront6targetE0EEEvT1_.kd
    .uniform_work_group_size: 1
    .uses_dynamic_stack: false
    .vgpr_count:     0
    .vgpr_spill_count: 0
    .wavefront_size: 32
    .workgroup_processor_mode: 1
  - .args:
      - .offset:         0
        .size:           160
        .value_kind:     by_value
    .group_segment_fixed_size: 0
    .kernarg_segment_align: 8
    .kernarg_segment_size: 160
    .language:       OpenCL C
    .language_version:
      - 2
      - 0
    .max_flat_workgroup_size: 256
    .name:           _ZN7rocprim17ROCPRIM_400000_NS6detail17trampoline_kernelINS0_14default_configENS1_25partition_config_selectorILNS1_17partition_subalgoE6EN6thrust23THRUST_200600_302600_NS5tupleIddNS7_9null_typeES9_S9_S9_S9_S9_S9_S9_EENS0_10empty_typeEbEEZZNS1_14partition_implILS5_6ELb0ES3_mNS7_12zip_iteratorINS8_INS7_6detail15normal_iteratorINS7_10device_ptrIdEEEESJ_S9_S9_S9_S9_S9_S9_S9_S9_EEEEPSB_SM_NS0_5tupleIJNSE_INS8_ISJ_NS7_16discard_iteratorINS7_11use_defaultEEES9_S9_S9_S9_S9_S9_S9_S9_EEEESB_EEENSN_IJSM_SM_EEESB_PlJNSF_9not_fun_tINSF_14equal_to_valueISA_EEEEEEE10hipError_tPvRmT3_T4_T5_T6_T7_T9_mT8_P12ihipStream_tbDpT10_ENKUlT_T0_E_clISt17integral_constantIbLb1EES1J_EEDaS1E_S1F_EUlS1E_E_NS1_11comp_targetILNS1_3genE3ELNS1_11target_archE908ELNS1_3gpuE7ELNS1_3repE0EEENS1_30default_config_static_selectorELNS0_4arch9wavefront6targetE0EEEvT1_
    .private_segment_fixed_size: 0
    .sgpr_count:     0
    .sgpr_spill_count: 0
    .symbol:         _ZN7rocprim17ROCPRIM_400000_NS6detail17trampoline_kernelINS0_14default_configENS1_25partition_config_selectorILNS1_17partition_subalgoE6EN6thrust23THRUST_200600_302600_NS5tupleIddNS7_9null_typeES9_S9_S9_S9_S9_S9_S9_EENS0_10empty_typeEbEEZZNS1_14partition_implILS5_6ELb0ES3_mNS7_12zip_iteratorINS8_INS7_6detail15normal_iteratorINS7_10device_ptrIdEEEESJ_S9_S9_S9_S9_S9_S9_S9_S9_EEEEPSB_SM_NS0_5tupleIJNSE_INS8_ISJ_NS7_16discard_iteratorINS7_11use_defaultEEES9_S9_S9_S9_S9_S9_S9_S9_EEEESB_EEENSN_IJSM_SM_EEESB_PlJNSF_9not_fun_tINSF_14equal_to_valueISA_EEEEEEE10hipError_tPvRmT3_T4_T5_T6_T7_T9_mT8_P12ihipStream_tbDpT10_ENKUlT_T0_E_clISt17integral_constantIbLb1EES1J_EEDaS1E_S1F_EUlS1E_E_NS1_11comp_targetILNS1_3genE3ELNS1_11target_archE908ELNS1_3gpuE7ELNS1_3repE0EEENS1_30default_config_static_selectorELNS0_4arch9wavefront6targetE0EEEvT1_.kd
    .uniform_work_group_size: 1
    .uses_dynamic_stack: false
    .vgpr_count:     0
    .vgpr_spill_count: 0
    .wavefront_size: 32
    .workgroup_processor_mode: 1
  - .args:
      - .offset:         0
        .size:           160
        .value_kind:     by_value
    .group_segment_fixed_size: 0
    .kernarg_segment_align: 8
    .kernarg_segment_size: 160
    .language:       OpenCL C
    .language_version:
      - 2
      - 0
    .max_flat_workgroup_size: 256
    .name:           _ZN7rocprim17ROCPRIM_400000_NS6detail17trampoline_kernelINS0_14default_configENS1_25partition_config_selectorILNS1_17partition_subalgoE6EN6thrust23THRUST_200600_302600_NS5tupleIddNS7_9null_typeES9_S9_S9_S9_S9_S9_S9_EENS0_10empty_typeEbEEZZNS1_14partition_implILS5_6ELb0ES3_mNS7_12zip_iteratorINS8_INS7_6detail15normal_iteratorINS7_10device_ptrIdEEEESJ_S9_S9_S9_S9_S9_S9_S9_S9_EEEEPSB_SM_NS0_5tupleIJNSE_INS8_ISJ_NS7_16discard_iteratorINS7_11use_defaultEEES9_S9_S9_S9_S9_S9_S9_S9_EEEESB_EEENSN_IJSM_SM_EEESB_PlJNSF_9not_fun_tINSF_14equal_to_valueISA_EEEEEEE10hipError_tPvRmT3_T4_T5_T6_T7_T9_mT8_P12ihipStream_tbDpT10_ENKUlT_T0_E_clISt17integral_constantIbLb1EES1J_EEDaS1E_S1F_EUlS1E_E_NS1_11comp_targetILNS1_3genE2ELNS1_11target_archE906ELNS1_3gpuE6ELNS1_3repE0EEENS1_30default_config_static_selectorELNS0_4arch9wavefront6targetE0EEEvT1_
    .private_segment_fixed_size: 0
    .sgpr_count:     0
    .sgpr_spill_count: 0
    .symbol:         _ZN7rocprim17ROCPRIM_400000_NS6detail17trampoline_kernelINS0_14default_configENS1_25partition_config_selectorILNS1_17partition_subalgoE6EN6thrust23THRUST_200600_302600_NS5tupleIddNS7_9null_typeES9_S9_S9_S9_S9_S9_S9_EENS0_10empty_typeEbEEZZNS1_14partition_implILS5_6ELb0ES3_mNS7_12zip_iteratorINS8_INS7_6detail15normal_iteratorINS7_10device_ptrIdEEEESJ_S9_S9_S9_S9_S9_S9_S9_S9_EEEEPSB_SM_NS0_5tupleIJNSE_INS8_ISJ_NS7_16discard_iteratorINS7_11use_defaultEEES9_S9_S9_S9_S9_S9_S9_S9_EEEESB_EEENSN_IJSM_SM_EEESB_PlJNSF_9not_fun_tINSF_14equal_to_valueISA_EEEEEEE10hipError_tPvRmT3_T4_T5_T6_T7_T9_mT8_P12ihipStream_tbDpT10_ENKUlT_T0_E_clISt17integral_constantIbLb1EES1J_EEDaS1E_S1F_EUlS1E_E_NS1_11comp_targetILNS1_3genE2ELNS1_11target_archE906ELNS1_3gpuE6ELNS1_3repE0EEENS1_30default_config_static_selectorELNS0_4arch9wavefront6targetE0EEEvT1_.kd
    .uniform_work_group_size: 1
    .uses_dynamic_stack: false
    .vgpr_count:     0
    .vgpr_spill_count: 0
    .wavefront_size: 32
    .workgroup_processor_mode: 1
  - .args:
      - .offset:         0
        .size:           160
        .value_kind:     by_value
    .group_segment_fixed_size: 0
    .kernarg_segment_align: 8
    .kernarg_segment_size: 160
    .language:       OpenCL C
    .language_version:
      - 2
      - 0
    .max_flat_workgroup_size: 256
    .name:           _ZN7rocprim17ROCPRIM_400000_NS6detail17trampoline_kernelINS0_14default_configENS1_25partition_config_selectorILNS1_17partition_subalgoE6EN6thrust23THRUST_200600_302600_NS5tupleIddNS7_9null_typeES9_S9_S9_S9_S9_S9_S9_EENS0_10empty_typeEbEEZZNS1_14partition_implILS5_6ELb0ES3_mNS7_12zip_iteratorINS8_INS7_6detail15normal_iteratorINS7_10device_ptrIdEEEESJ_S9_S9_S9_S9_S9_S9_S9_S9_EEEEPSB_SM_NS0_5tupleIJNSE_INS8_ISJ_NS7_16discard_iteratorINS7_11use_defaultEEES9_S9_S9_S9_S9_S9_S9_S9_EEEESB_EEENSN_IJSM_SM_EEESB_PlJNSF_9not_fun_tINSF_14equal_to_valueISA_EEEEEEE10hipError_tPvRmT3_T4_T5_T6_T7_T9_mT8_P12ihipStream_tbDpT10_ENKUlT_T0_E_clISt17integral_constantIbLb1EES1J_EEDaS1E_S1F_EUlS1E_E_NS1_11comp_targetILNS1_3genE10ELNS1_11target_archE1200ELNS1_3gpuE4ELNS1_3repE0EEENS1_30default_config_static_selectorELNS0_4arch9wavefront6targetE0EEEvT1_
    .private_segment_fixed_size: 0
    .sgpr_count:     0
    .sgpr_spill_count: 0
    .symbol:         _ZN7rocprim17ROCPRIM_400000_NS6detail17trampoline_kernelINS0_14default_configENS1_25partition_config_selectorILNS1_17partition_subalgoE6EN6thrust23THRUST_200600_302600_NS5tupleIddNS7_9null_typeES9_S9_S9_S9_S9_S9_S9_EENS0_10empty_typeEbEEZZNS1_14partition_implILS5_6ELb0ES3_mNS7_12zip_iteratorINS8_INS7_6detail15normal_iteratorINS7_10device_ptrIdEEEESJ_S9_S9_S9_S9_S9_S9_S9_S9_EEEEPSB_SM_NS0_5tupleIJNSE_INS8_ISJ_NS7_16discard_iteratorINS7_11use_defaultEEES9_S9_S9_S9_S9_S9_S9_S9_EEEESB_EEENSN_IJSM_SM_EEESB_PlJNSF_9not_fun_tINSF_14equal_to_valueISA_EEEEEEE10hipError_tPvRmT3_T4_T5_T6_T7_T9_mT8_P12ihipStream_tbDpT10_ENKUlT_T0_E_clISt17integral_constantIbLb1EES1J_EEDaS1E_S1F_EUlS1E_E_NS1_11comp_targetILNS1_3genE10ELNS1_11target_archE1200ELNS1_3gpuE4ELNS1_3repE0EEENS1_30default_config_static_selectorELNS0_4arch9wavefront6targetE0EEEvT1_.kd
    .uniform_work_group_size: 1
    .uses_dynamic_stack: false
    .vgpr_count:     0
    .vgpr_spill_count: 0
    .wavefront_size: 32
    .workgroup_processor_mode: 1
  - .args:
      - .offset:         0
        .size:           160
        .value_kind:     by_value
    .group_segment_fixed_size: 0
    .kernarg_segment_align: 8
    .kernarg_segment_size: 160
    .language:       OpenCL C
    .language_version:
      - 2
      - 0
    .max_flat_workgroup_size: 512
    .name:           _ZN7rocprim17ROCPRIM_400000_NS6detail17trampoline_kernelINS0_14default_configENS1_25partition_config_selectorILNS1_17partition_subalgoE6EN6thrust23THRUST_200600_302600_NS5tupleIddNS7_9null_typeES9_S9_S9_S9_S9_S9_S9_EENS0_10empty_typeEbEEZZNS1_14partition_implILS5_6ELb0ES3_mNS7_12zip_iteratorINS8_INS7_6detail15normal_iteratorINS7_10device_ptrIdEEEESJ_S9_S9_S9_S9_S9_S9_S9_S9_EEEEPSB_SM_NS0_5tupleIJNSE_INS8_ISJ_NS7_16discard_iteratorINS7_11use_defaultEEES9_S9_S9_S9_S9_S9_S9_S9_EEEESB_EEENSN_IJSM_SM_EEESB_PlJNSF_9not_fun_tINSF_14equal_to_valueISA_EEEEEEE10hipError_tPvRmT3_T4_T5_T6_T7_T9_mT8_P12ihipStream_tbDpT10_ENKUlT_T0_E_clISt17integral_constantIbLb1EES1J_EEDaS1E_S1F_EUlS1E_E_NS1_11comp_targetILNS1_3genE9ELNS1_11target_archE1100ELNS1_3gpuE3ELNS1_3repE0EEENS1_30default_config_static_selectorELNS0_4arch9wavefront6targetE0EEEvT1_
    .private_segment_fixed_size: 0
    .sgpr_count:     0
    .sgpr_spill_count: 0
    .symbol:         _ZN7rocprim17ROCPRIM_400000_NS6detail17trampoline_kernelINS0_14default_configENS1_25partition_config_selectorILNS1_17partition_subalgoE6EN6thrust23THRUST_200600_302600_NS5tupleIddNS7_9null_typeES9_S9_S9_S9_S9_S9_S9_EENS0_10empty_typeEbEEZZNS1_14partition_implILS5_6ELb0ES3_mNS7_12zip_iteratorINS8_INS7_6detail15normal_iteratorINS7_10device_ptrIdEEEESJ_S9_S9_S9_S9_S9_S9_S9_S9_EEEEPSB_SM_NS0_5tupleIJNSE_INS8_ISJ_NS7_16discard_iteratorINS7_11use_defaultEEES9_S9_S9_S9_S9_S9_S9_S9_EEEESB_EEENSN_IJSM_SM_EEESB_PlJNSF_9not_fun_tINSF_14equal_to_valueISA_EEEEEEE10hipError_tPvRmT3_T4_T5_T6_T7_T9_mT8_P12ihipStream_tbDpT10_ENKUlT_T0_E_clISt17integral_constantIbLb1EES1J_EEDaS1E_S1F_EUlS1E_E_NS1_11comp_targetILNS1_3genE9ELNS1_11target_archE1100ELNS1_3gpuE3ELNS1_3repE0EEENS1_30default_config_static_selectorELNS0_4arch9wavefront6targetE0EEEvT1_.kd
    .uniform_work_group_size: 1
    .uses_dynamic_stack: false
    .vgpr_count:     0
    .vgpr_spill_count: 0
    .wavefront_size: 32
    .workgroup_processor_mode: 1
  - .args:
      - .offset:         0
        .size:           160
        .value_kind:     by_value
    .group_segment_fixed_size: 0
    .kernarg_segment_align: 8
    .kernarg_segment_size: 160
    .language:       OpenCL C
    .language_version:
      - 2
      - 0
    .max_flat_workgroup_size: 256
    .name:           _ZN7rocprim17ROCPRIM_400000_NS6detail17trampoline_kernelINS0_14default_configENS1_25partition_config_selectorILNS1_17partition_subalgoE6EN6thrust23THRUST_200600_302600_NS5tupleIddNS7_9null_typeES9_S9_S9_S9_S9_S9_S9_EENS0_10empty_typeEbEEZZNS1_14partition_implILS5_6ELb0ES3_mNS7_12zip_iteratorINS8_INS7_6detail15normal_iteratorINS7_10device_ptrIdEEEESJ_S9_S9_S9_S9_S9_S9_S9_S9_EEEEPSB_SM_NS0_5tupleIJNSE_INS8_ISJ_NS7_16discard_iteratorINS7_11use_defaultEEES9_S9_S9_S9_S9_S9_S9_S9_EEEESB_EEENSN_IJSM_SM_EEESB_PlJNSF_9not_fun_tINSF_14equal_to_valueISA_EEEEEEE10hipError_tPvRmT3_T4_T5_T6_T7_T9_mT8_P12ihipStream_tbDpT10_ENKUlT_T0_E_clISt17integral_constantIbLb1EES1J_EEDaS1E_S1F_EUlS1E_E_NS1_11comp_targetILNS1_3genE8ELNS1_11target_archE1030ELNS1_3gpuE2ELNS1_3repE0EEENS1_30default_config_static_selectorELNS0_4arch9wavefront6targetE0EEEvT1_
    .private_segment_fixed_size: 0
    .sgpr_count:     0
    .sgpr_spill_count: 0
    .symbol:         _ZN7rocprim17ROCPRIM_400000_NS6detail17trampoline_kernelINS0_14default_configENS1_25partition_config_selectorILNS1_17partition_subalgoE6EN6thrust23THRUST_200600_302600_NS5tupleIddNS7_9null_typeES9_S9_S9_S9_S9_S9_S9_EENS0_10empty_typeEbEEZZNS1_14partition_implILS5_6ELb0ES3_mNS7_12zip_iteratorINS8_INS7_6detail15normal_iteratorINS7_10device_ptrIdEEEESJ_S9_S9_S9_S9_S9_S9_S9_S9_EEEEPSB_SM_NS0_5tupleIJNSE_INS8_ISJ_NS7_16discard_iteratorINS7_11use_defaultEEES9_S9_S9_S9_S9_S9_S9_S9_EEEESB_EEENSN_IJSM_SM_EEESB_PlJNSF_9not_fun_tINSF_14equal_to_valueISA_EEEEEEE10hipError_tPvRmT3_T4_T5_T6_T7_T9_mT8_P12ihipStream_tbDpT10_ENKUlT_T0_E_clISt17integral_constantIbLb1EES1J_EEDaS1E_S1F_EUlS1E_E_NS1_11comp_targetILNS1_3genE8ELNS1_11target_archE1030ELNS1_3gpuE2ELNS1_3repE0EEENS1_30default_config_static_selectorELNS0_4arch9wavefront6targetE0EEEvT1_.kd
    .uniform_work_group_size: 1
    .uses_dynamic_stack: false
    .vgpr_count:     0
    .vgpr_spill_count: 0
    .wavefront_size: 32
    .workgroup_processor_mode: 1
  - .args:
      - .offset:         0
        .size:           152
        .value_kind:     by_value
    .group_segment_fixed_size: 0
    .kernarg_segment_align: 8
    .kernarg_segment_size: 152
    .language:       OpenCL C
    .language_version:
      - 2
      - 0
    .max_flat_workgroup_size: 256
    .name:           _ZN7rocprim17ROCPRIM_400000_NS6detail17trampoline_kernelINS0_14default_configENS1_25partition_config_selectorILNS1_17partition_subalgoE6EN6thrust23THRUST_200600_302600_NS5tupleIddNS7_9null_typeES9_S9_S9_S9_S9_S9_S9_EENS0_10empty_typeEbEEZZNS1_14partition_implILS5_6ELb0ES3_mNS7_12zip_iteratorINS8_INS7_6detail15normal_iteratorINS7_10device_ptrIdEEEESJ_S9_S9_S9_S9_S9_S9_S9_S9_EEEEPSB_SM_NS0_5tupleIJNSE_INS8_ISJ_NS7_16discard_iteratorINS7_11use_defaultEEES9_S9_S9_S9_S9_S9_S9_S9_EEEESB_EEENSN_IJSM_SM_EEESB_PlJNSF_9not_fun_tINSF_14equal_to_valueISA_EEEEEEE10hipError_tPvRmT3_T4_T5_T6_T7_T9_mT8_P12ihipStream_tbDpT10_ENKUlT_T0_E_clISt17integral_constantIbLb1EES1I_IbLb0EEEEDaS1E_S1F_EUlS1E_E_NS1_11comp_targetILNS1_3genE0ELNS1_11target_archE4294967295ELNS1_3gpuE0ELNS1_3repE0EEENS1_30default_config_static_selectorELNS0_4arch9wavefront6targetE0EEEvT1_
    .private_segment_fixed_size: 0
    .sgpr_count:     0
    .sgpr_spill_count: 0
    .symbol:         _ZN7rocprim17ROCPRIM_400000_NS6detail17trampoline_kernelINS0_14default_configENS1_25partition_config_selectorILNS1_17partition_subalgoE6EN6thrust23THRUST_200600_302600_NS5tupleIddNS7_9null_typeES9_S9_S9_S9_S9_S9_S9_EENS0_10empty_typeEbEEZZNS1_14partition_implILS5_6ELb0ES3_mNS7_12zip_iteratorINS8_INS7_6detail15normal_iteratorINS7_10device_ptrIdEEEESJ_S9_S9_S9_S9_S9_S9_S9_S9_EEEEPSB_SM_NS0_5tupleIJNSE_INS8_ISJ_NS7_16discard_iteratorINS7_11use_defaultEEES9_S9_S9_S9_S9_S9_S9_S9_EEEESB_EEENSN_IJSM_SM_EEESB_PlJNSF_9not_fun_tINSF_14equal_to_valueISA_EEEEEEE10hipError_tPvRmT3_T4_T5_T6_T7_T9_mT8_P12ihipStream_tbDpT10_ENKUlT_T0_E_clISt17integral_constantIbLb1EES1I_IbLb0EEEEDaS1E_S1F_EUlS1E_E_NS1_11comp_targetILNS1_3genE0ELNS1_11target_archE4294967295ELNS1_3gpuE0ELNS1_3repE0EEENS1_30default_config_static_selectorELNS0_4arch9wavefront6targetE0EEEvT1_.kd
    .uniform_work_group_size: 1
    .uses_dynamic_stack: false
    .vgpr_count:     0
    .vgpr_spill_count: 0
    .wavefront_size: 32
    .workgroup_processor_mode: 1
  - .args:
      - .offset:         0
        .size:           152
        .value_kind:     by_value
    .group_segment_fixed_size: 0
    .kernarg_segment_align: 8
    .kernarg_segment_size: 152
    .language:       OpenCL C
    .language_version:
      - 2
      - 0
    .max_flat_workgroup_size: 384
    .name:           _ZN7rocprim17ROCPRIM_400000_NS6detail17trampoline_kernelINS0_14default_configENS1_25partition_config_selectorILNS1_17partition_subalgoE6EN6thrust23THRUST_200600_302600_NS5tupleIddNS7_9null_typeES9_S9_S9_S9_S9_S9_S9_EENS0_10empty_typeEbEEZZNS1_14partition_implILS5_6ELb0ES3_mNS7_12zip_iteratorINS8_INS7_6detail15normal_iteratorINS7_10device_ptrIdEEEESJ_S9_S9_S9_S9_S9_S9_S9_S9_EEEEPSB_SM_NS0_5tupleIJNSE_INS8_ISJ_NS7_16discard_iteratorINS7_11use_defaultEEES9_S9_S9_S9_S9_S9_S9_S9_EEEESB_EEENSN_IJSM_SM_EEESB_PlJNSF_9not_fun_tINSF_14equal_to_valueISA_EEEEEEE10hipError_tPvRmT3_T4_T5_T6_T7_T9_mT8_P12ihipStream_tbDpT10_ENKUlT_T0_E_clISt17integral_constantIbLb1EES1I_IbLb0EEEEDaS1E_S1F_EUlS1E_E_NS1_11comp_targetILNS1_3genE5ELNS1_11target_archE942ELNS1_3gpuE9ELNS1_3repE0EEENS1_30default_config_static_selectorELNS0_4arch9wavefront6targetE0EEEvT1_
    .private_segment_fixed_size: 0
    .sgpr_count:     0
    .sgpr_spill_count: 0
    .symbol:         _ZN7rocprim17ROCPRIM_400000_NS6detail17trampoline_kernelINS0_14default_configENS1_25partition_config_selectorILNS1_17partition_subalgoE6EN6thrust23THRUST_200600_302600_NS5tupleIddNS7_9null_typeES9_S9_S9_S9_S9_S9_S9_EENS0_10empty_typeEbEEZZNS1_14partition_implILS5_6ELb0ES3_mNS7_12zip_iteratorINS8_INS7_6detail15normal_iteratorINS7_10device_ptrIdEEEESJ_S9_S9_S9_S9_S9_S9_S9_S9_EEEEPSB_SM_NS0_5tupleIJNSE_INS8_ISJ_NS7_16discard_iteratorINS7_11use_defaultEEES9_S9_S9_S9_S9_S9_S9_S9_EEEESB_EEENSN_IJSM_SM_EEESB_PlJNSF_9not_fun_tINSF_14equal_to_valueISA_EEEEEEE10hipError_tPvRmT3_T4_T5_T6_T7_T9_mT8_P12ihipStream_tbDpT10_ENKUlT_T0_E_clISt17integral_constantIbLb1EES1I_IbLb0EEEEDaS1E_S1F_EUlS1E_E_NS1_11comp_targetILNS1_3genE5ELNS1_11target_archE942ELNS1_3gpuE9ELNS1_3repE0EEENS1_30default_config_static_selectorELNS0_4arch9wavefront6targetE0EEEvT1_.kd
    .uniform_work_group_size: 1
    .uses_dynamic_stack: false
    .vgpr_count:     0
    .vgpr_spill_count: 0
    .wavefront_size: 32
    .workgroup_processor_mode: 1
  - .args:
      - .offset:         0
        .size:           152
        .value_kind:     by_value
    .group_segment_fixed_size: 0
    .kernarg_segment_align: 8
    .kernarg_segment_size: 152
    .language:       OpenCL C
    .language_version:
      - 2
      - 0
    .max_flat_workgroup_size: 256
    .name:           _ZN7rocprim17ROCPRIM_400000_NS6detail17trampoline_kernelINS0_14default_configENS1_25partition_config_selectorILNS1_17partition_subalgoE6EN6thrust23THRUST_200600_302600_NS5tupleIddNS7_9null_typeES9_S9_S9_S9_S9_S9_S9_EENS0_10empty_typeEbEEZZNS1_14partition_implILS5_6ELb0ES3_mNS7_12zip_iteratorINS8_INS7_6detail15normal_iteratorINS7_10device_ptrIdEEEESJ_S9_S9_S9_S9_S9_S9_S9_S9_EEEEPSB_SM_NS0_5tupleIJNSE_INS8_ISJ_NS7_16discard_iteratorINS7_11use_defaultEEES9_S9_S9_S9_S9_S9_S9_S9_EEEESB_EEENSN_IJSM_SM_EEESB_PlJNSF_9not_fun_tINSF_14equal_to_valueISA_EEEEEEE10hipError_tPvRmT3_T4_T5_T6_T7_T9_mT8_P12ihipStream_tbDpT10_ENKUlT_T0_E_clISt17integral_constantIbLb1EES1I_IbLb0EEEEDaS1E_S1F_EUlS1E_E_NS1_11comp_targetILNS1_3genE4ELNS1_11target_archE910ELNS1_3gpuE8ELNS1_3repE0EEENS1_30default_config_static_selectorELNS0_4arch9wavefront6targetE0EEEvT1_
    .private_segment_fixed_size: 0
    .sgpr_count:     0
    .sgpr_spill_count: 0
    .symbol:         _ZN7rocprim17ROCPRIM_400000_NS6detail17trampoline_kernelINS0_14default_configENS1_25partition_config_selectorILNS1_17partition_subalgoE6EN6thrust23THRUST_200600_302600_NS5tupleIddNS7_9null_typeES9_S9_S9_S9_S9_S9_S9_EENS0_10empty_typeEbEEZZNS1_14partition_implILS5_6ELb0ES3_mNS7_12zip_iteratorINS8_INS7_6detail15normal_iteratorINS7_10device_ptrIdEEEESJ_S9_S9_S9_S9_S9_S9_S9_S9_EEEEPSB_SM_NS0_5tupleIJNSE_INS8_ISJ_NS7_16discard_iteratorINS7_11use_defaultEEES9_S9_S9_S9_S9_S9_S9_S9_EEEESB_EEENSN_IJSM_SM_EEESB_PlJNSF_9not_fun_tINSF_14equal_to_valueISA_EEEEEEE10hipError_tPvRmT3_T4_T5_T6_T7_T9_mT8_P12ihipStream_tbDpT10_ENKUlT_T0_E_clISt17integral_constantIbLb1EES1I_IbLb0EEEEDaS1E_S1F_EUlS1E_E_NS1_11comp_targetILNS1_3genE4ELNS1_11target_archE910ELNS1_3gpuE8ELNS1_3repE0EEENS1_30default_config_static_selectorELNS0_4arch9wavefront6targetE0EEEvT1_.kd
    .uniform_work_group_size: 1
    .uses_dynamic_stack: false
    .vgpr_count:     0
    .vgpr_spill_count: 0
    .wavefront_size: 32
    .workgroup_processor_mode: 1
  - .args:
      - .offset:         0
        .size:           152
        .value_kind:     by_value
    .group_segment_fixed_size: 0
    .kernarg_segment_align: 8
    .kernarg_segment_size: 152
    .language:       OpenCL C
    .language_version:
      - 2
      - 0
    .max_flat_workgroup_size: 256
    .name:           _ZN7rocprim17ROCPRIM_400000_NS6detail17trampoline_kernelINS0_14default_configENS1_25partition_config_selectorILNS1_17partition_subalgoE6EN6thrust23THRUST_200600_302600_NS5tupleIddNS7_9null_typeES9_S9_S9_S9_S9_S9_S9_EENS0_10empty_typeEbEEZZNS1_14partition_implILS5_6ELb0ES3_mNS7_12zip_iteratorINS8_INS7_6detail15normal_iteratorINS7_10device_ptrIdEEEESJ_S9_S9_S9_S9_S9_S9_S9_S9_EEEEPSB_SM_NS0_5tupleIJNSE_INS8_ISJ_NS7_16discard_iteratorINS7_11use_defaultEEES9_S9_S9_S9_S9_S9_S9_S9_EEEESB_EEENSN_IJSM_SM_EEESB_PlJNSF_9not_fun_tINSF_14equal_to_valueISA_EEEEEEE10hipError_tPvRmT3_T4_T5_T6_T7_T9_mT8_P12ihipStream_tbDpT10_ENKUlT_T0_E_clISt17integral_constantIbLb1EES1I_IbLb0EEEEDaS1E_S1F_EUlS1E_E_NS1_11comp_targetILNS1_3genE3ELNS1_11target_archE908ELNS1_3gpuE7ELNS1_3repE0EEENS1_30default_config_static_selectorELNS0_4arch9wavefront6targetE0EEEvT1_
    .private_segment_fixed_size: 0
    .sgpr_count:     0
    .sgpr_spill_count: 0
    .symbol:         _ZN7rocprim17ROCPRIM_400000_NS6detail17trampoline_kernelINS0_14default_configENS1_25partition_config_selectorILNS1_17partition_subalgoE6EN6thrust23THRUST_200600_302600_NS5tupleIddNS7_9null_typeES9_S9_S9_S9_S9_S9_S9_EENS0_10empty_typeEbEEZZNS1_14partition_implILS5_6ELb0ES3_mNS7_12zip_iteratorINS8_INS7_6detail15normal_iteratorINS7_10device_ptrIdEEEESJ_S9_S9_S9_S9_S9_S9_S9_S9_EEEEPSB_SM_NS0_5tupleIJNSE_INS8_ISJ_NS7_16discard_iteratorINS7_11use_defaultEEES9_S9_S9_S9_S9_S9_S9_S9_EEEESB_EEENSN_IJSM_SM_EEESB_PlJNSF_9not_fun_tINSF_14equal_to_valueISA_EEEEEEE10hipError_tPvRmT3_T4_T5_T6_T7_T9_mT8_P12ihipStream_tbDpT10_ENKUlT_T0_E_clISt17integral_constantIbLb1EES1I_IbLb0EEEEDaS1E_S1F_EUlS1E_E_NS1_11comp_targetILNS1_3genE3ELNS1_11target_archE908ELNS1_3gpuE7ELNS1_3repE0EEENS1_30default_config_static_selectorELNS0_4arch9wavefront6targetE0EEEvT1_.kd
    .uniform_work_group_size: 1
    .uses_dynamic_stack: false
    .vgpr_count:     0
    .vgpr_spill_count: 0
    .wavefront_size: 32
    .workgroup_processor_mode: 1
  - .args:
      - .offset:         0
        .size:           152
        .value_kind:     by_value
    .group_segment_fixed_size: 0
    .kernarg_segment_align: 8
    .kernarg_segment_size: 152
    .language:       OpenCL C
    .language_version:
      - 2
      - 0
    .max_flat_workgroup_size: 256
    .name:           _ZN7rocprim17ROCPRIM_400000_NS6detail17trampoline_kernelINS0_14default_configENS1_25partition_config_selectorILNS1_17partition_subalgoE6EN6thrust23THRUST_200600_302600_NS5tupleIddNS7_9null_typeES9_S9_S9_S9_S9_S9_S9_EENS0_10empty_typeEbEEZZNS1_14partition_implILS5_6ELb0ES3_mNS7_12zip_iteratorINS8_INS7_6detail15normal_iteratorINS7_10device_ptrIdEEEESJ_S9_S9_S9_S9_S9_S9_S9_S9_EEEEPSB_SM_NS0_5tupleIJNSE_INS8_ISJ_NS7_16discard_iteratorINS7_11use_defaultEEES9_S9_S9_S9_S9_S9_S9_S9_EEEESB_EEENSN_IJSM_SM_EEESB_PlJNSF_9not_fun_tINSF_14equal_to_valueISA_EEEEEEE10hipError_tPvRmT3_T4_T5_T6_T7_T9_mT8_P12ihipStream_tbDpT10_ENKUlT_T0_E_clISt17integral_constantIbLb1EES1I_IbLb0EEEEDaS1E_S1F_EUlS1E_E_NS1_11comp_targetILNS1_3genE2ELNS1_11target_archE906ELNS1_3gpuE6ELNS1_3repE0EEENS1_30default_config_static_selectorELNS0_4arch9wavefront6targetE0EEEvT1_
    .private_segment_fixed_size: 0
    .sgpr_count:     0
    .sgpr_spill_count: 0
    .symbol:         _ZN7rocprim17ROCPRIM_400000_NS6detail17trampoline_kernelINS0_14default_configENS1_25partition_config_selectorILNS1_17partition_subalgoE6EN6thrust23THRUST_200600_302600_NS5tupleIddNS7_9null_typeES9_S9_S9_S9_S9_S9_S9_EENS0_10empty_typeEbEEZZNS1_14partition_implILS5_6ELb0ES3_mNS7_12zip_iteratorINS8_INS7_6detail15normal_iteratorINS7_10device_ptrIdEEEESJ_S9_S9_S9_S9_S9_S9_S9_S9_EEEEPSB_SM_NS0_5tupleIJNSE_INS8_ISJ_NS7_16discard_iteratorINS7_11use_defaultEEES9_S9_S9_S9_S9_S9_S9_S9_EEEESB_EEENSN_IJSM_SM_EEESB_PlJNSF_9not_fun_tINSF_14equal_to_valueISA_EEEEEEE10hipError_tPvRmT3_T4_T5_T6_T7_T9_mT8_P12ihipStream_tbDpT10_ENKUlT_T0_E_clISt17integral_constantIbLb1EES1I_IbLb0EEEEDaS1E_S1F_EUlS1E_E_NS1_11comp_targetILNS1_3genE2ELNS1_11target_archE906ELNS1_3gpuE6ELNS1_3repE0EEENS1_30default_config_static_selectorELNS0_4arch9wavefront6targetE0EEEvT1_.kd
    .uniform_work_group_size: 1
    .uses_dynamic_stack: false
    .vgpr_count:     0
    .vgpr_spill_count: 0
    .wavefront_size: 32
    .workgroup_processor_mode: 1
  - .args:
      - .offset:         0
        .size:           152
        .value_kind:     by_value
    .group_segment_fixed_size: 0
    .kernarg_segment_align: 8
    .kernarg_segment_size: 152
    .language:       OpenCL C
    .language_version:
      - 2
      - 0
    .max_flat_workgroup_size: 256
    .name:           _ZN7rocprim17ROCPRIM_400000_NS6detail17trampoline_kernelINS0_14default_configENS1_25partition_config_selectorILNS1_17partition_subalgoE6EN6thrust23THRUST_200600_302600_NS5tupleIddNS7_9null_typeES9_S9_S9_S9_S9_S9_S9_EENS0_10empty_typeEbEEZZNS1_14partition_implILS5_6ELb0ES3_mNS7_12zip_iteratorINS8_INS7_6detail15normal_iteratorINS7_10device_ptrIdEEEESJ_S9_S9_S9_S9_S9_S9_S9_S9_EEEEPSB_SM_NS0_5tupleIJNSE_INS8_ISJ_NS7_16discard_iteratorINS7_11use_defaultEEES9_S9_S9_S9_S9_S9_S9_S9_EEEESB_EEENSN_IJSM_SM_EEESB_PlJNSF_9not_fun_tINSF_14equal_to_valueISA_EEEEEEE10hipError_tPvRmT3_T4_T5_T6_T7_T9_mT8_P12ihipStream_tbDpT10_ENKUlT_T0_E_clISt17integral_constantIbLb1EES1I_IbLb0EEEEDaS1E_S1F_EUlS1E_E_NS1_11comp_targetILNS1_3genE10ELNS1_11target_archE1200ELNS1_3gpuE4ELNS1_3repE0EEENS1_30default_config_static_selectorELNS0_4arch9wavefront6targetE0EEEvT1_
    .private_segment_fixed_size: 0
    .sgpr_count:     0
    .sgpr_spill_count: 0
    .symbol:         _ZN7rocprim17ROCPRIM_400000_NS6detail17trampoline_kernelINS0_14default_configENS1_25partition_config_selectorILNS1_17partition_subalgoE6EN6thrust23THRUST_200600_302600_NS5tupleIddNS7_9null_typeES9_S9_S9_S9_S9_S9_S9_EENS0_10empty_typeEbEEZZNS1_14partition_implILS5_6ELb0ES3_mNS7_12zip_iteratorINS8_INS7_6detail15normal_iteratorINS7_10device_ptrIdEEEESJ_S9_S9_S9_S9_S9_S9_S9_S9_EEEEPSB_SM_NS0_5tupleIJNSE_INS8_ISJ_NS7_16discard_iteratorINS7_11use_defaultEEES9_S9_S9_S9_S9_S9_S9_S9_EEEESB_EEENSN_IJSM_SM_EEESB_PlJNSF_9not_fun_tINSF_14equal_to_valueISA_EEEEEEE10hipError_tPvRmT3_T4_T5_T6_T7_T9_mT8_P12ihipStream_tbDpT10_ENKUlT_T0_E_clISt17integral_constantIbLb1EES1I_IbLb0EEEEDaS1E_S1F_EUlS1E_E_NS1_11comp_targetILNS1_3genE10ELNS1_11target_archE1200ELNS1_3gpuE4ELNS1_3repE0EEENS1_30default_config_static_selectorELNS0_4arch9wavefront6targetE0EEEvT1_.kd
    .uniform_work_group_size: 1
    .uses_dynamic_stack: false
    .vgpr_count:     0
    .vgpr_spill_count: 0
    .wavefront_size: 32
    .workgroup_processor_mode: 1
  - .args:
      - .offset:         0
        .size:           152
        .value_kind:     by_value
    .group_segment_fixed_size: 0
    .kernarg_segment_align: 8
    .kernarg_segment_size: 152
    .language:       OpenCL C
    .language_version:
      - 2
      - 0
    .max_flat_workgroup_size: 512
    .name:           _ZN7rocprim17ROCPRIM_400000_NS6detail17trampoline_kernelINS0_14default_configENS1_25partition_config_selectorILNS1_17partition_subalgoE6EN6thrust23THRUST_200600_302600_NS5tupleIddNS7_9null_typeES9_S9_S9_S9_S9_S9_S9_EENS0_10empty_typeEbEEZZNS1_14partition_implILS5_6ELb0ES3_mNS7_12zip_iteratorINS8_INS7_6detail15normal_iteratorINS7_10device_ptrIdEEEESJ_S9_S9_S9_S9_S9_S9_S9_S9_EEEEPSB_SM_NS0_5tupleIJNSE_INS8_ISJ_NS7_16discard_iteratorINS7_11use_defaultEEES9_S9_S9_S9_S9_S9_S9_S9_EEEESB_EEENSN_IJSM_SM_EEESB_PlJNSF_9not_fun_tINSF_14equal_to_valueISA_EEEEEEE10hipError_tPvRmT3_T4_T5_T6_T7_T9_mT8_P12ihipStream_tbDpT10_ENKUlT_T0_E_clISt17integral_constantIbLb1EES1I_IbLb0EEEEDaS1E_S1F_EUlS1E_E_NS1_11comp_targetILNS1_3genE9ELNS1_11target_archE1100ELNS1_3gpuE3ELNS1_3repE0EEENS1_30default_config_static_selectorELNS0_4arch9wavefront6targetE0EEEvT1_
    .private_segment_fixed_size: 0
    .sgpr_count:     0
    .sgpr_spill_count: 0
    .symbol:         _ZN7rocprim17ROCPRIM_400000_NS6detail17trampoline_kernelINS0_14default_configENS1_25partition_config_selectorILNS1_17partition_subalgoE6EN6thrust23THRUST_200600_302600_NS5tupleIddNS7_9null_typeES9_S9_S9_S9_S9_S9_S9_EENS0_10empty_typeEbEEZZNS1_14partition_implILS5_6ELb0ES3_mNS7_12zip_iteratorINS8_INS7_6detail15normal_iteratorINS7_10device_ptrIdEEEESJ_S9_S9_S9_S9_S9_S9_S9_S9_EEEEPSB_SM_NS0_5tupleIJNSE_INS8_ISJ_NS7_16discard_iteratorINS7_11use_defaultEEES9_S9_S9_S9_S9_S9_S9_S9_EEEESB_EEENSN_IJSM_SM_EEESB_PlJNSF_9not_fun_tINSF_14equal_to_valueISA_EEEEEEE10hipError_tPvRmT3_T4_T5_T6_T7_T9_mT8_P12ihipStream_tbDpT10_ENKUlT_T0_E_clISt17integral_constantIbLb1EES1I_IbLb0EEEEDaS1E_S1F_EUlS1E_E_NS1_11comp_targetILNS1_3genE9ELNS1_11target_archE1100ELNS1_3gpuE3ELNS1_3repE0EEENS1_30default_config_static_selectorELNS0_4arch9wavefront6targetE0EEEvT1_.kd
    .uniform_work_group_size: 1
    .uses_dynamic_stack: false
    .vgpr_count:     0
    .vgpr_spill_count: 0
    .wavefront_size: 32
    .workgroup_processor_mode: 1
  - .args:
      - .offset:         0
        .size:           152
        .value_kind:     by_value
    .group_segment_fixed_size: 0
    .kernarg_segment_align: 8
    .kernarg_segment_size: 152
    .language:       OpenCL C
    .language_version:
      - 2
      - 0
    .max_flat_workgroup_size: 256
    .name:           _ZN7rocprim17ROCPRIM_400000_NS6detail17trampoline_kernelINS0_14default_configENS1_25partition_config_selectorILNS1_17partition_subalgoE6EN6thrust23THRUST_200600_302600_NS5tupleIddNS7_9null_typeES9_S9_S9_S9_S9_S9_S9_EENS0_10empty_typeEbEEZZNS1_14partition_implILS5_6ELb0ES3_mNS7_12zip_iteratorINS8_INS7_6detail15normal_iteratorINS7_10device_ptrIdEEEESJ_S9_S9_S9_S9_S9_S9_S9_S9_EEEEPSB_SM_NS0_5tupleIJNSE_INS8_ISJ_NS7_16discard_iteratorINS7_11use_defaultEEES9_S9_S9_S9_S9_S9_S9_S9_EEEESB_EEENSN_IJSM_SM_EEESB_PlJNSF_9not_fun_tINSF_14equal_to_valueISA_EEEEEEE10hipError_tPvRmT3_T4_T5_T6_T7_T9_mT8_P12ihipStream_tbDpT10_ENKUlT_T0_E_clISt17integral_constantIbLb1EES1I_IbLb0EEEEDaS1E_S1F_EUlS1E_E_NS1_11comp_targetILNS1_3genE8ELNS1_11target_archE1030ELNS1_3gpuE2ELNS1_3repE0EEENS1_30default_config_static_selectorELNS0_4arch9wavefront6targetE0EEEvT1_
    .private_segment_fixed_size: 0
    .sgpr_count:     0
    .sgpr_spill_count: 0
    .symbol:         _ZN7rocprim17ROCPRIM_400000_NS6detail17trampoline_kernelINS0_14default_configENS1_25partition_config_selectorILNS1_17partition_subalgoE6EN6thrust23THRUST_200600_302600_NS5tupleIddNS7_9null_typeES9_S9_S9_S9_S9_S9_S9_EENS0_10empty_typeEbEEZZNS1_14partition_implILS5_6ELb0ES3_mNS7_12zip_iteratorINS8_INS7_6detail15normal_iteratorINS7_10device_ptrIdEEEESJ_S9_S9_S9_S9_S9_S9_S9_S9_EEEEPSB_SM_NS0_5tupleIJNSE_INS8_ISJ_NS7_16discard_iteratorINS7_11use_defaultEEES9_S9_S9_S9_S9_S9_S9_S9_EEEESB_EEENSN_IJSM_SM_EEESB_PlJNSF_9not_fun_tINSF_14equal_to_valueISA_EEEEEEE10hipError_tPvRmT3_T4_T5_T6_T7_T9_mT8_P12ihipStream_tbDpT10_ENKUlT_T0_E_clISt17integral_constantIbLb1EES1I_IbLb0EEEEDaS1E_S1F_EUlS1E_E_NS1_11comp_targetILNS1_3genE8ELNS1_11target_archE1030ELNS1_3gpuE2ELNS1_3repE0EEENS1_30default_config_static_selectorELNS0_4arch9wavefront6targetE0EEEvT1_.kd
    .uniform_work_group_size: 1
    .uses_dynamic_stack: false
    .vgpr_count:     0
    .vgpr_spill_count: 0
    .wavefront_size: 32
    .workgroup_processor_mode: 1
  - .args:
      - .offset:         0
        .size:           160
        .value_kind:     by_value
    .group_segment_fixed_size: 0
    .kernarg_segment_align: 8
    .kernarg_segment_size: 160
    .language:       OpenCL C
    .language_version:
      - 2
      - 0
    .max_flat_workgroup_size: 256
    .name:           _ZN7rocprim17ROCPRIM_400000_NS6detail17trampoline_kernelINS0_14default_configENS1_25partition_config_selectorILNS1_17partition_subalgoE6EN6thrust23THRUST_200600_302600_NS5tupleIddNS7_9null_typeES9_S9_S9_S9_S9_S9_S9_EENS0_10empty_typeEbEEZZNS1_14partition_implILS5_6ELb0ES3_mNS7_12zip_iteratorINS8_INS7_6detail15normal_iteratorINS7_10device_ptrIdEEEESJ_S9_S9_S9_S9_S9_S9_S9_S9_EEEEPSB_SM_NS0_5tupleIJNSE_INS8_ISJ_NS7_16discard_iteratorINS7_11use_defaultEEES9_S9_S9_S9_S9_S9_S9_S9_EEEESB_EEENSN_IJSM_SM_EEESB_PlJNSF_9not_fun_tINSF_14equal_to_valueISA_EEEEEEE10hipError_tPvRmT3_T4_T5_T6_T7_T9_mT8_P12ihipStream_tbDpT10_ENKUlT_T0_E_clISt17integral_constantIbLb0EES1I_IbLb1EEEEDaS1E_S1F_EUlS1E_E_NS1_11comp_targetILNS1_3genE0ELNS1_11target_archE4294967295ELNS1_3gpuE0ELNS1_3repE0EEENS1_30default_config_static_selectorELNS0_4arch9wavefront6targetE0EEEvT1_
    .private_segment_fixed_size: 0
    .sgpr_count:     0
    .sgpr_spill_count: 0
    .symbol:         _ZN7rocprim17ROCPRIM_400000_NS6detail17trampoline_kernelINS0_14default_configENS1_25partition_config_selectorILNS1_17partition_subalgoE6EN6thrust23THRUST_200600_302600_NS5tupleIddNS7_9null_typeES9_S9_S9_S9_S9_S9_S9_EENS0_10empty_typeEbEEZZNS1_14partition_implILS5_6ELb0ES3_mNS7_12zip_iteratorINS8_INS7_6detail15normal_iteratorINS7_10device_ptrIdEEEESJ_S9_S9_S9_S9_S9_S9_S9_S9_EEEEPSB_SM_NS0_5tupleIJNSE_INS8_ISJ_NS7_16discard_iteratorINS7_11use_defaultEEES9_S9_S9_S9_S9_S9_S9_S9_EEEESB_EEENSN_IJSM_SM_EEESB_PlJNSF_9not_fun_tINSF_14equal_to_valueISA_EEEEEEE10hipError_tPvRmT3_T4_T5_T6_T7_T9_mT8_P12ihipStream_tbDpT10_ENKUlT_T0_E_clISt17integral_constantIbLb0EES1I_IbLb1EEEEDaS1E_S1F_EUlS1E_E_NS1_11comp_targetILNS1_3genE0ELNS1_11target_archE4294967295ELNS1_3gpuE0ELNS1_3repE0EEENS1_30default_config_static_selectorELNS0_4arch9wavefront6targetE0EEEvT1_.kd
    .uniform_work_group_size: 1
    .uses_dynamic_stack: false
    .vgpr_count:     0
    .vgpr_spill_count: 0
    .wavefront_size: 32
    .workgroup_processor_mode: 1
  - .args:
      - .offset:         0
        .size:           160
        .value_kind:     by_value
    .group_segment_fixed_size: 0
    .kernarg_segment_align: 8
    .kernarg_segment_size: 160
    .language:       OpenCL C
    .language_version:
      - 2
      - 0
    .max_flat_workgroup_size: 384
    .name:           _ZN7rocprim17ROCPRIM_400000_NS6detail17trampoline_kernelINS0_14default_configENS1_25partition_config_selectorILNS1_17partition_subalgoE6EN6thrust23THRUST_200600_302600_NS5tupleIddNS7_9null_typeES9_S9_S9_S9_S9_S9_S9_EENS0_10empty_typeEbEEZZNS1_14partition_implILS5_6ELb0ES3_mNS7_12zip_iteratorINS8_INS7_6detail15normal_iteratorINS7_10device_ptrIdEEEESJ_S9_S9_S9_S9_S9_S9_S9_S9_EEEEPSB_SM_NS0_5tupleIJNSE_INS8_ISJ_NS7_16discard_iteratorINS7_11use_defaultEEES9_S9_S9_S9_S9_S9_S9_S9_EEEESB_EEENSN_IJSM_SM_EEESB_PlJNSF_9not_fun_tINSF_14equal_to_valueISA_EEEEEEE10hipError_tPvRmT3_T4_T5_T6_T7_T9_mT8_P12ihipStream_tbDpT10_ENKUlT_T0_E_clISt17integral_constantIbLb0EES1I_IbLb1EEEEDaS1E_S1F_EUlS1E_E_NS1_11comp_targetILNS1_3genE5ELNS1_11target_archE942ELNS1_3gpuE9ELNS1_3repE0EEENS1_30default_config_static_selectorELNS0_4arch9wavefront6targetE0EEEvT1_
    .private_segment_fixed_size: 0
    .sgpr_count:     0
    .sgpr_spill_count: 0
    .symbol:         _ZN7rocprim17ROCPRIM_400000_NS6detail17trampoline_kernelINS0_14default_configENS1_25partition_config_selectorILNS1_17partition_subalgoE6EN6thrust23THRUST_200600_302600_NS5tupleIddNS7_9null_typeES9_S9_S9_S9_S9_S9_S9_EENS0_10empty_typeEbEEZZNS1_14partition_implILS5_6ELb0ES3_mNS7_12zip_iteratorINS8_INS7_6detail15normal_iteratorINS7_10device_ptrIdEEEESJ_S9_S9_S9_S9_S9_S9_S9_S9_EEEEPSB_SM_NS0_5tupleIJNSE_INS8_ISJ_NS7_16discard_iteratorINS7_11use_defaultEEES9_S9_S9_S9_S9_S9_S9_S9_EEEESB_EEENSN_IJSM_SM_EEESB_PlJNSF_9not_fun_tINSF_14equal_to_valueISA_EEEEEEE10hipError_tPvRmT3_T4_T5_T6_T7_T9_mT8_P12ihipStream_tbDpT10_ENKUlT_T0_E_clISt17integral_constantIbLb0EES1I_IbLb1EEEEDaS1E_S1F_EUlS1E_E_NS1_11comp_targetILNS1_3genE5ELNS1_11target_archE942ELNS1_3gpuE9ELNS1_3repE0EEENS1_30default_config_static_selectorELNS0_4arch9wavefront6targetE0EEEvT1_.kd
    .uniform_work_group_size: 1
    .uses_dynamic_stack: false
    .vgpr_count:     0
    .vgpr_spill_count: 0
    .wavefront_size: 32
    .workgroup_processor_mode: 1
  - .args:
      - .offset:         0
        .size:           160
        .value_kind:     by_value
    .group_segment_fixed_size: 0
    .kernarg_segment_align: 8
    .kernarg_segment_size: 160
    .language:       OpenCL C
    .language_version:
      - 2
      - 0
    .max_flat_workgroup_size: 256
    .name:           _ZN7rocprim17ROCPRIM_400000_NS6detail17trampoline_kernelINS0_14default_configENS1_25partition_config_selectorILNS1_17partition_subalgoE6EN6thrust23THRUST_200600_302600_NS5tupleIddNS7_9null_typeES9_S9_S9_S9_S9_S9_S9_EENS0_10empty_typeEbEEZZNS1_14partition_implILS5_6ELb0ES3_mNS7_12zip_iteratorINS8_INS7_6detail15normal_iteratorINS7_10device_ptrIdEEEESJ_S9_S9_S9_S9_S9_S9_S9_S9_EEEEPSB_SM_NS0_5tupleIJNSE_INS8_ISJ_NS7_16discard_iteratorINS7_11use_defaultEEES9_S9_S9_S9_S9_S9_S9_S9_EEEESB_EEENSN_IJSM_SM_EEESB_PlJNSF_9not_fun_tINSF_14equal_to_valueISA_EEEEEEE10hipError_tPvRmT3_T4_T5_T6_T7_T9_mT8_P12ihipStream_tbDpT10_ENKUlT_T0_E_clISt17integral_constantIbLb0EES1I_IbLb1EEEEDaS1E_S1F_EUlS1E_E_NS1_11comp_targetILNS1_3genE4ELNS1_11target_archE910ELNS1_3gpuE8ELNS1_3repE0EEENS1_30default_config_static_selectorELNS0_4arch9wavefront6targetE0EEEvT1_
    .private_segment_fixed_size: 0
    .sgpr_count:     0
    .sgpr_spill_count: 0
    .symbol:         _ZN7rocprim17ROCPRIM_400000_NS6detail17trampoline_kernelINS0_14default_configENS1_25partition_config_selectorILNS1_17partition_subalgoE6EN6thrust23THRUST_200600_302600_NS5tupleIddNS7_9null_typeES9_S9_S9_S9_S9_S9_S9_EENS0_10empty_typeEbEEZZNS1_14partition_implILS5_6ELb0ES3_mNS7_12zip_iteratorINS8_INS7_6detail15normal_iteratorINS7_10device_ptrIdEEEESJ_S9_S9_S9_S9_S9_S9_S9_S9_EEEEPSB_SM_NS0_5tupleIJNSE_INS8_ISJ_NS7_16discard_iteratorINS7_11use_defaultEEES9_S9_S9_S9_S9_S9_S9_S9_EEEESB_EEENSN_IJSM_SM_EEESB_PlJNSF_9not_fun_tINSF_14equal_to_valueISA_EEEEEEE10hipError_tPvRmT3_T4_T5_T6_T7_T9_mT8_P12ihipStream_tbDpT10_ENKUlT_T0_E_clISt17integral_constantIbLb0EES1I_IbLb1EEEEDaS1E_S1F_EUlS1E_E_NS1_11comp_targetILNS1_3genE4ELNS1_11target_archE910ELNS1_3gpuE8ELNS1_3repE0EEENS1_30default_config_static_selectorELNS0_4arch9wavefront6targetE0EEEvT1_.kd
    .uniform_work_group_size: 1
    .uses_dynamic_stack: false
    .vgpr_count:     0
    .vgpr_spill_count: 0
    .wavefront_size: 32
    .workgroup_processor_mode: 1
  - .args:
      - .offset:         0
        .size:           160
        .value_kind:     by_value
    .group_segment_fixed_size: 0
    .kernarg_segment_align: 8
    .kernarg_segment_size: 160
    .language:       OpenCL C
    .language_version:
      - 2
      - 0
    .max_flat_workgroup_size: 256
    .name:           _ZN7rocprim17ROCPRIM_400000_NS6detail17trampoline_kernelINS0_14default_configENS1_25partition_config_selectorILNS1_17partition_subalgoE6EN6thrust23THRUST_200600_302600_NS5tupleIddNS7_9null_typeES9_S9_S9_S9_S9_S9_S9_EENS0_10empty_typeEbEEZZNS1_14partition_implILS5_6ELb0ES3_mNS7_12zip_iteratorINS8_INS7_6detail15normal_iteratorINS7_10device_ptrIdEEEESJ_S9_S9_S9_S9_S9_S9_S9_S9_EEEEPSB_SM_NS0_5tupleIJNSE_INS8_ISJ_NS7_16discard_iteratorINS7_11use_defaultEEES9_S9_S9_S9_S9_S9_S9_S9_EEEESB_EEENSN_IJSM_SM_EEESB_PlJNSF_9not_fun_tINSF_14equal_to_valueISA_EEEEEEE10hipError_tPvRmT3_T4_T5_T6_T7_T9_mT8_P12ihipStream_tbDpT10_ENKUlT_T0_E_clISt17integral_constantIbLb0EES1I_IbLb1EEEEDaS1E_S1F_EUlS1E_E_NS1_11comp_targetILNS1_3genE3ELNS1_11target_archE908ELNS1_3gpuE7ELNS1_3repE0EEENS1_30default_config_static_selectorELNS0_4arch9wavefront6targetE0EEEvT1_
    .private_segment_fixed_size: 0
    .sgpr_count:     0
    .sgpr_spill_count: 0
    .symbol:         _ZN7rocprim17ROCPRIM_400000_NS6detail17trampoline_kernelINS0_14default_configENS1_25partition_config_selectorILNS1_17partition_subalgoE6EN6thrust23THRUST_200600_302600_NS5tupleIddNS7_9null_typeES9_S9_S9_S9_S9_S9_S9_EENS0_10empty_typeEbEEZZNS1_14partition_implILS5_6ELb0ES3_mNS7_12zip_iteratorINS8_INS7_6detail15normal_iteratorINS7_10device_ptrIdEEEESJ_S9_S9_S9_S9_S9_S9_S9_S9_EEEEPSB_SM_NS0_5tupleIJNSE_INS8_ISJ_NS7_16discard_iteratorINS7_11use_defaultEEES9_S9_S9_S9_S9_S9_S9_S9_EEEESB_EEENSN_IJSM_SM_EEESB_PlJNSF_9not_fun_tINSF_14equal_to_valueISA_EEEEEEE10hipError_tPvRmT3_T4_T5_T6_T7_T9_mT8_P12ihipStream_tbDpT10_ENKUlT_T0_E_clISt17integral_constantIbLb0EES1I_IbLb1EEEEDaS1E_S1F_EUlS1E_E_NS1_11comp_targetILNS1_3genE3ELNS1_11target_archE908ELNS1_3gpuE7ELNS1_3repE0EEENS1_30default_config_static_selectorELNS0_4arch9wavefront6targetE0EEEvT1_.kd
    .uniform_work_group_size: 1
    .uses_dynamic_stack: false
    .vgpr_count:     0
    .vgpr_spill_count: 0
    .wavefront_size: 32
    .workgroup_processor_mode: 1
  - .args:
      - .offset:         0
        .size:           160
        .value_kind:     by_value
    .group_segment_fixed_size: 0
    .kernarg_segment_align: 8
    .kernarg_segment_size: 160
    .language:       OpenCL C
    .language_version:
      - 2
      - 0
    .max_flat_workgroup_size: 256
    .name:           _ZN7rocprim17ROCPRIM_400000_NS6detail17trampoline_kernelINS0_14default_configENS1_25partition_config_selectorILNS1_17partition_subalgoE6EN6thrust23THRUST_200600_302600_NS5tupleIddNS7_9null_typeES9_S9_S9_S9_S9_S9_S9_EENS0_10empty_typeEbEEZZNS1_14partition_implILS5_6ELb0ES3_mNS7_12zip_iteratorINS8_INS7_6detail15normal_iteratorINS7_10device_ptrIdEEEESJ_S9_S9_S9_S9_S9_S9_S9_S9_EEEEPSB_SM_NS0_5tupleIJNSE_INS8_ISJ_NS7_16discard_iteratorINS7_11use_defaultEEES9_S9_S9_S9_S9_S9_S9_S9_EEEESB_EEENSN_IJSM_SM_EEESB_PlJNSF_9not_fun_tINSF_14equal_to_valueISA_EEEEEEE10hipError_tPvRmT3_T4_T5_T6_T7_T9_mT8_P12ihipStream_tbDpT10_ENKUlT_T0_E_clISt17integral_constantIbLb0EES1I_IbLb1EEEEDaS1E_S1F_EUlS1E_E_NS1_11comp_targetILNS1_3genE2ELNS1_11target_archE906ELNS1_3gpuE6ELNS1_3repE0EEENS1_30default_config_static_selectorELNS0_4arch9wavefront6targetE0EEEvT1_
    .private_segment_fixed_size: 0
    .sgpr_count:     0
    .sgpr_spill_count: 0
    .symbol:         _ZN7rocprim17ROCPRIM_400000_NS6detail17trampoline_kernelINS0_14default_configENS1_25partition_config_selectorILNS1_17partition_subalgoE6EN6thrust23THRUST_200600_302600_NS5tupleIddNS7_9null_typeES9_S9_S9_S9_S9_S9_S9_EENS0_10empty_typeEbEEZZNS1_14partition_implILS5_6ELb0ES3_mNS7_12zip_iteratorINS8_INS7_6detail15normal_iteratorINS7_10device_ptrIdEEEESJ_S9_S9_S9_S9_S9_S9_S9_S9_EEEEPSB_SM_NS0_5tupleIJNSE_INS8_ISJ_NS7_16discard_iteratorINS7_11use_defaultEEES9_S9_S9_S9_S9_S9_S9_S9_EEEESB_EEENSN_IJSM_SM_EEESB_PlJNSF_9not_fun_tINSF_14equal_to_valueISA_EEEEEEE10hipError_tPvRmT3_T4_T5_T6_T7_T9_mT8_P12ihipStream_tbDpT10_ENKUlT_T0_E_clISt17integral_constantIbLb0EES1I_IbLb1EEEEDaS1E_S1F_EUlS1E_E_NS1_11comp_targetILNS1_3genE2ELNS1_11target_archE906ELNS1_3gpuE6ELNS1_3repE0EEENS1_30default_config_static_selectorELNS0_4arch9wavefront6targetE0EEEvT1_.kd
    .uniform_work_group_size: 1
    .uses_dynamic_stack: false
    .vgpr_count:     0
    .vgpr_spill_count: 0
    .wavefront_size: 32
    .workgroup_processor_mode: 1
  - .args:
      - .offset:         0
        .size:           160
        .value_kind:     by_value
    .group_segment_fixed_size: 12304
    .kernarg_segment_align: 8
    .kernarg_segment_size: 160
    .language:       OpenCL C
    .language_version:
      - 2
      - 0
    .max_flat_workgroup_size: 256
    .name:           _ZN7rocprim17ROCPRIM_400000_NS6detail17trampoline_kernelINS0_14default_configENS1_25partition_config_selectorILNS1_17partition_subalgoE6EN6thrust23THRUST_200600_302600_NS5tupleIddNS7_9null_typeES9_S9_S9_S9_S9_S9_S9_EENS0_10empty_typeEbEEZZNS1_14partition_implILS5_6ELb0ES3_mNS7_12zip_iteratorINS8_INS7_6detail15normal_iteratorINS7_10device_ptrIdEEEESJ_S9_S9_S9_S9_S9_S9_S9_S9_EEEEPSB_SM_NS0_5tupleIJNSE_INS8_ISJ_NS7_16discard_iteratorINS7_11use_defaultEEES9_S9_S9_S9_S9_S9_S9_S9_EEEESB_EEENSN_IJSM_SM_EEESB_PlJNSF_9not_fun_tINSF_14equal_to_valueISA_EEEEEEE10hipError_tPvRmT3_T4_T5_T6_T7_T9_mT8_P12ihipStream_tbDpT10_ENKUlT_T0_E_clISt17integral_constantIbLb0EES1I_IbLb1EEEEDaS1E_S1F_EUlS1E_E_NS1_11comp_targetILNS1_3genE10ELNS1_11target_archE1200ELNS1_3gpuE4ELNS1_3repE0EEENS1_30default_config_static_selectorELNS0_4arch9wavefront6targetE0EEEvT1_
    .private_segment_fixed_size: 0
    .sgpr_count:     30
    .sgpr_spill_count: 0
    .symbol:         _ZN7rocprim17ROCPRIM_400000_NS6detail17trampoline_kernelINS0_14default_configENS1_25partition_config_selectorILNS1_17partition_subalgoE6EN6thrust23THRUST_200600_302600_NS5tupleIddNS7_9null_typeES9_S9_S9_S9_S9_S9_S9_EENS0_10empty_typeEbEEZZNS1_14partition_implILS5_6ELb0ES3_mNS7_12zip_iteratorINS8_INS7_6detail15normal_iteratorINS7_10device_ptrIdEEEESJ_S9_S9_S9_S9_S9_S9_S9_S9_EEEEPSB_SM_NS0_5tupleIJNSE_INS8_ISJ_NS7_16discard_iteratorINS7_11use_defaultEEES9_S9_S9_S9_S9_S9_S9_S9_EEEESB_EEENSN_IJSM_SM_EEESB_PlJNSF_9not_fun_tINSF_14equal_to_valueISA_EEEEEEE10hipError_tPvRmT3_T4_T5_T6_T7_T9_mT8_P12ihipStream_tbDpT10_ENKUlT_T0_E_clISt17integral_constantIbLb0EES1I_IbLb1EEEEDaS1E_S1F_EUlS1E_E_NS1_11comp_targetILNS1_3genE10ELNS1_11target_archE1200ELNS1_3gpuE4ELNS1_3repE0EEENS1_30default_config_static_selectorELNS0_4arch9wavefront6targetE0EEEvT1_.kd
    .uniform_work_group_size: 1
    .uses_dynamic_stack: false
    .vgpr_count:     51
    .vgpr_spill_count: 0
    .wavefront_size: 32
    .workgroup_processor_mode: 1
  - .args:
      - .offset:         0
        .size:           160
        .value_kind:     by_value
    .group_segment_fixed_size: 0
    .kernarg_segment_align: 8
    .kernarg_segment_size: 160
    .language:       OpenCL C
    .language_version:
      - 2
      - 0
    .max_flat_workgroup_size: 512
    .name:           _ZN7rocprim17ROCPRIM_400000_NS6detail17trampoline_kernelINS0_14default_configENS1_25partition_config_selectorILNS1_17partition_subalgoE6EN6thrust23THRUST_200600_302600_NS5tupleIddNS7_9null_typeES9_S9_S9_S9_S9_S9_S9_EENS0_10empty_typeEbEEZZNS1_14partition_implILS5_6ELb0ES3_mNS7_12zip_iteratorINS8_INS7_6detail15normal_iteratorINS7_10device_ptrIdEEEESJ_S9_S9_S9_S9_S9_S9_S9_S9_EEEEPSB_SM_NS0_5tupleIJNSE_INS8_ISJ_NS7_16discard_iteratorINS7_11use_defaultEEES9_S9_S9_S9_S9_S9_S9_S9_EEEESB_EEENSN_IJSM_SM_EEESB_PlJNSF_9not_fun_tINSF_14equal_to_valueISA_EEEEEEE10hipError_tPvRmT3_T4_T5_T6_T7_T9_mT8_P12ihipStream_tbDpT10_ENKUlT_T0_E_clISt17integral_constantIbLb0EES1I_IbLb1EEEEDaS1E_S1F_EUlS1E_E_NS1_11comp_targetILNS1_3genE9ELNS1_11target_archE1100ELNS1_3gpuE3ELNS1_3repE0EEENS1_30default_config_static_selectorELNS0_4arch9wavefront6targetE0EEEvT1_
    .private_segment_fixed_size: 0
    .sgpr_count:     0
    .sgpr_spill_count: 0
    .symbol:         _ZN7rocprim17ROCPRIM_400000_NS6detail17trampoline_kernelINS0_14default_configENS1_25partition_config_selectorILNS1_17partition_subalgoE6EN6thrust23THRUST_200600_302600_NS5tupleIddNS7_9null_typeES9_S9_S9_S9_S9_S9_S9_EENS0_10empty_typeEbEEZZNS1_14partition_implILS5_6ELb0ES3_mNS7_12zip_iteratorINS8_INS7_6detail15normal_iteratorINS7_10device_ptrIdEEEESJ_S9_S9_S9_S9_S9_S9_S9_S9_EEEEPSB_SM_NS0_5tupleIJNSE_INS8_ISJ_NS7_16discard_iteratorINS7_11use_defaultEEES9_S9_S9_S9_S9_S9_S9_S9_EEEESB_EEENSN_IJSM_SM_EEESB_PlJNSF_9not_fun_tINSF_14equal_to_valueISA_EEEEEEE10hipError_tPvRmT3_T4_T5_T6_T7_T9_mT8_P12ihipStream_tbDpT10_ENKUlT_T0_E_clISt17integral_constantIbLb0EES1I_IbLb1EEEEDaS1E_S1F_EUlS1E_E_NS1_11comp_targetILNS1_3genE9ELNS1_11target_archE1100ELNS1_3gpuE3ELNS1_3repE0EEENS1_30default_config_static_selectorELNS0_4arch9wavefront6targetE0EEEvT1_.kd
    .uniform_work_group_size: 1
    .uses_dynamic_stack: false
    .vgpr_count:     0
    .vgpr_spill_count: 0
    .wavefront_size: 32
    .workgroup_processor_mode: 1
  - .args:
      - .offset:         0
        .size:           160
        .value_kind:     by_value
    .group_segment_fixed_size: 0
    .kernarg_segment_align: 8
    .kernarg_segment_size: 160
    .language:       OpenCL C
    .language_version:
      - 2
      - 0
    .max_flat_workgroup_size: 256
    .name:           _ZN7rocprim17ROCPRIM_400000_NS6detail17trampoline_kernelINS0_14default_configENS1_25partition_config_selectorILNS1_17partition_subalgoE6EN6thrust23THRUST_200600_302600_NS5tupleIddNS7_9null_typeES9_S9_S9_S9_S9_S9_S9_EENS0_10empty_typeEbEEZZNS1_14partition_implILS5_6ELb0ES3_mNS7_12zip_iteratorINS8_INS7_6detail15normal_iteratorINS7_10device_ptrIdEEEESJ_S9_S9_S9_S9_S9_S9_S9_S9_EEEEPSB_SM_NS0_5tupleIJNSE_INS8_ISJ_NS7_16discard_iteratorINS7_11use_defaultEEES9_S9_S9_S9_S9_S9_S9_S9_EEEESB_EEENSN_IJSM_SM_EEESB_PlJNSF_9not_fun_tINSF_14equal_to_valueISA_EEEEEEE10hipError_tPvRmT3_T4_T5_T6_T7_T9_mT8_P12ihipStream_tbDpT10_ENKUlT_T0_E_clISt17integral_constantIbLb0EES1I_IbLb1EEEEDaS1E_S1F_EUlS1E_E_NS1_11comp_targetILNS1_3genE8ELNS1_11target_archE1030ELNS1_3gpuE2ELNS1_3repE0EEENS1_30default_config_static_selectorELNS0_4arch9wavefront6targetE0EEEvT1_
    .private_segment_fixed_size: 0
    .sgpr_count:     0
    .sgpr_spill_count: 0
    .symbol:         _ZN7rocprim17ROCPRIM_400000_NS6detail17trampoline_kernelINS0_14default_configENS1_25partition_config_selectorILNS1_17partition_subalgoE6EN6thrust23THRUST_200600_302600_NS5tupleIddNS7_9null_typeES9_S9_S9_S9_S9_S9_S9_EENS0_10empty_typeEbEEZZNS1_14partition_implILS5_6ELb0ES3_mNS7_12zip_iteratorINS8_INS7_6detail15normal_iteratorINS7_10device_ptrIdEEEESJ_S9_S9_S9_S9_S9_S9_S9_S9_EEEEPSB_SM_NS0_5tupleIJNSE_INS8_ISJ_NS7_16discard_iteratorINS7_11use_defaultEEES9_S9_S9_S9_S9_S9_S9_S9_EEEESB_EEENSN_IJSM_SM_EEESB_PlJNSF_9not_fun_tINSF_14equal_to_valueISA_EEEEEEE10hipError_tPvRmT3_T4_T5_T6_T7_T9_mT8_P12ihipStream_tbDpT10_ENKUlT_T0_E_clISt17integral_constantIbLb0EES1I_IbLb1EEEEDaS1E_S1F_EUlS1E_E_NS1_11comp_targetILNS1_3genE8ELNS1_11target_archE1030ELNS1_3gpuE2ELNS1_3repE0EEENS1_30default_config_static_selectorELNS0_4arch9wavefront6targetE0EEEvT1_.kd
    .uniform_work_group_size: 1
    .uses_dynamic_stack: false
    .vgpr_count:     0
    .vgpr_spill_count: 0
    .wavefront_size: 32
    .workgroup_processor_mode: 1
  - .args:
      - .offset:         0
        .size:           144
        .value_kind:     by_value
    .group_segment_fixed_size: 0
    .kernarg_segment_align: 8
    .kernarg_segment_size: 144
    .language:       OpenCL C
    .language_version:
      - 2
      - 0
    .max_flat_workgroup_size: 128
    .name:           _ZN7rocprim17ROCPRIM_400000_NS6detail17trampoline_kernelINS0_14default_configENS1_25partition_config_selectorILNS1_17partition_subalgoE6EN6thrust23THRUST_200600_302600_NS5tupleIffNS7_9null_typeES9_S9_S9_S9_S9_S9_S9_EENS0_10empty_typeEbEEZZNS1_14partition_implILS5_6ELb0ES3_mNS7_12zip_iteratorINS8_INS7_6detail15normal_iteratorINS7_10device_ptrIfEEEESJ_S9_S9_S9_S9_S9_S9_S9_S9_EEEEPSB_SM_NS0_5tupleIJNSE_INS8_ISJ_NS7_16discard_iteratorINS7_11use_defaultEEES9_S9_S9_S9_S9_S9_S9_S9_EEEESB_EEENSN_IJSM_SM_EEESB_PlJNSF_9not_fun_tINSF_14equal_to_valueISA_EEEEEEE10hipError_tPvRmT3_T4_T5_T6_T7_T9_mT8_P12ihipStream_tbDpT10_ENKUlT_T0_E_clISt17integral_constantIbLb0EES1J_EEDaS1E_S1F_EUlS1E_E_NS1_11comp_targetILNS1_3genE0ELNS1_11target_archE4294967295ELNS1_3gpuE0ELNS1_3repE0EEENS1_30default_config_static_selectorELNS0_4arch9wavefront6targetE0EEEvT1_
    .private_segment_fixed_size: 0
    .sgpr_count:     0
    .sgpr_spill_count: 0
    .symbol:         _ZN7rocprim17ROCPRIM_400000_NS6detail17trampoline_kernelINS0_14default_configENS1_25partition_config_selectorILNS1_17partition_subalgoE6EN6thrust23THRUST_200600_302600_NS5tupleIffNS7_9null_typeES9_S9_S9_S9_S9_S9_S9_EENS0_10empty_typeEbEEZZNS1_14partition_implILS5_6ELb0ES3_mNS7_12zip_iteratorINS8_INS7_6detail15normal_iteratorINS7_10device_ptrIfEEEESJ_S9_S9_S9_S9_S9_S9_S9_S9_EEEEPSB_SM_NS0_5tupleIJNSE_INS8_ISJ_NS7_16discard_iteratorINS7_11use_defaultEEES9_S9_S9_S9_S9_S9_S9_S9_EEEESB_EEENSN_IJSM_SM_EEESB_PlJNSF_9not_fun_tINSF_14equal_to_valueISA_EEEEEEE10hipError_tPvRmT3_T4_T5_T6_T7_T9_mT8_P12ihipStream_tbDpT10_ENKUlT_T0_E_clISt17integral_constantIbLb0EES1J_EEDaS1E_S1F_EUlS1E_E_NS1_11comp_targetILNS1_3genE0ELNS1_11target_archE4294967295ELNS1_3gpuE0ELNS1_3repE0EEENS1_30default_config_static_selectorELNS0_4arch9wavefront6targetE0EEEvT1_.kd
    .uniform_work_group_size: 1
    .uses_dynamic_stack: false
    .vgpr_count:     0
    .vgpr_spill_count: 0
    .wavefront_size: 32
    .workgroup_processor_mode: 1
  - .args:
      - .offset:         0
        .size:           144
        .value_kind:     by_value
    .group_segment_fixed_size: 0
    .kernarg_segment_align: 8
    .kernarg_segment_size: 144
    .language:       OpenCL C
    .language_version:
      - 2
      - 0
    .max_flat_workgroup_size: 512
    .name:           _ZN7rocprim17ROCPRIM_400000_NS6detail17trampoline_kernelINS0_14default_configENS1_25partition_config_selectorILNS1_17partition_subalgoE6EN6thrust23THRUST_200600_302600_NS5tupleIffNS7_9null_typeES9_S9_S9_S9_S9_S9_S9_EENS0_10empty_typeEbEEZZNS1_14partition_implILS5_6ELb0ES3_mNS7_12zip_iteratorINS8_INS7_6detail15normal_iteratorINS7_10device_ptrIfEEEESJ_S9_S9_S9_S9_S9_S9_S9_S9_EEEEPSB_SM_NS0_5tupleIJNSE_INS8_ISJ_NS7_16discard_iteratorINS7_11use_defaultEEES9_S9_S9_S9_S9_S9_S9_S9_EEEESB_EEENSN_IJSM_SM_EEESB_PlJNSF_9not_fun_tINSF_14equal_to_valueISA_EEEEEEE10hipError_tPvRmT3_T4_T5_T6_T7_T9_mT8_P12ihipStream_tbDpT10_ENKUlT_T0_E_clISt17integral_constantIbLb0EES1J_EEDaS1E_S1F_EUlS1E_E_NS1_11comp_targetILNS1_3genE5ELNS1_11target_archE942ELNS1_3gpuE9ELNS1_3repE0EEENS1_30default_config_static_selectorELNS0_4arch9wavefront6targetE0EEEvT1_
    .private_segment_fixed_size: 0
    .sgpr_count:     0
    .sgpr_spill_count: 0
    .symbol:         _ZN7rocprim17ROCPRIM_400000_NS6detail17trampoline_kernelINS0_14default_configENS1_25partition_config_selectorILNS1_17partition_subalgoE6EN6thrust23THRUST_200600_302600_NS5tupleIffNS7_9null_typeES9_S9_S9_S9_S9_S9_S9_EENS0_10empty_typeEbEEZZNS1_14partition_implILS5_6ELb0ES3_mNS7_12zip_iteratorINS8_INS7_6detail15normal_iteratorINS7_10device_ptrIfEEEESJ_S9_S9_S9_S9_S9_S9_S9_S9_EEEEPSB_SM_NS0_5tupleIJNSE_INS8_ISJ_NS7_16discard_iteratorINS7_11use_defaultEEES9_S9_S9_S9_S9_S9_S9_S9_EEEESB_EEENSN_IJSM_SM_EEESB_PlJNSF_9not_fun_tINSF_14equal_to_valueISA_EEEEEEE10hipError_tPvRmT3_T4_T5_T6_T7_T9_mT8_P12ihipStream_tbDpT10_ENKUlT_T0_E_clISt17integral_constantIbLb0EES1J_EEDaS1E_S1F_EUlS1E_E_NS1_11comp_targetILNS1_3genE5ELNS1_11target_archE942ELNS1_3gpuE9ELNS1_3repE0EEENS1_30default_config_static_selectorELNS0_4arch9wavefront6targetE0EEEvT1_.kd
    .uniform_work_group_size: 1
    .uses_dynamic_stack: false
    .vgpr_count:     0
    .vgpr_spill_count: 0
    .wavefront_size: 32
    .workgroup_processor_mode: 1
  - .args:
      - .offset:         0
        .size:           144
        .value_kind:     by_value
    .group_segment_fixed_size: 0
    .kernarg_segment_align: 8
    .kernarg_segment_size: 144
    .language:       OpenCL C
    .language_version:
      - 2
      - 0
    .max_flat_workgroup_size: 512
    .name:           _ZN7rocprim17ROCPRIM_400000_NS6detail17trampoline_kernelINS0_14default_configENS1_25partition_config_selectorILNS1_17partition_subalgoE6EN6thrust23THRUST_200600_302600_NS5tupleIffNS7_9null_typeES9_S9_S9_S9_S9_S9_S9_EENS0_10empty_typeEbEEZZNS1_14partition_implILS5_6ELb0ES3_mNS7_12zip_iteratorINS8_INS7_6detail15normal_iteratorINS7_10device_ptrIfEEEESJ_S9_S9_S9_S9_S9_S9_S9_S9_EEEEPSB_SM_NS0_5tupleIJNSE_INS8_ISJ_NS7_16discard_iteratorINS7_11use_defaultEEES9_S9_S9_S9_S9_S9_S9_S9_EEEESB_EEENSN_IJSM_SM_EEESB_PlJNSF_9not_fun_tINSF_14equal_to_valueISA_EEEEEEE10hipError_tPvRmT3_T4_T5_T6_T7_T9_mT8_P12ihipStream_tbDpT10_ENKUlT_T0_E_clISt17integral_constantIbLb0EES1J_EEDaS1E_S1F_EUlS1E_E_NS1_11comp_targetILNS1_3genE4ELNS1_11target_archE910ELNS1_3gpuE8ELNS1_3repE0EEENS1_30default_config_static_selectorELNS0_4arch9wavefront6targetE0EEEvT1_
    .private_segment_fixed_size: 0
    .sgpr_count:     0
    .sgpr_spill_count: 0
    .symbol:         _ZN7rocprim17ROCPRIM_400000_NS6detail17trampoline_kernelINS0_14default_configENS1_25partition_config_selectorILNS1_17partition_subalgoE6EN6thrust23THRUST_200600_302600_NS5tupleIffNS7_9null_typeES9_S9_S9_S9_S9_S9_S9_EENS0_10empty_typeEbEEZZNS1_14partition_implILS5_6ELb0ES3_mNS7_12zip_iteratorINS8_INS7_6detail15normal_iteratorINS7_10device_ptrIfEEEESJ_S9_S9_S9_S9_S9_S9_S9_S9_EEEEPSB_SM_NS0_5tupleIJNSE_INS8_ISJ_NS7_16discard_iteratorINS7_11use_defaultEEES9_S9_S9_S9_S9_S9_S9_S9_EEEESB_EEENSN_IJSM_SM_EEESB_PlJNSF_9not_fun_tINSF_14equal_to_valueISA_EEEEEEE10hipError_tPvRmT3_T4_T5_T6_T7_T9_mT8_P12ihipStream_tbDpT10_ENKUlT_T0_E_clISt17integral_constantIbLb0EES1J_EEDaS1E_S1F_EUlS1E_E_NS1_11comp_targetILNS1_3genE4ELNS1_11target_archE910ELNS1_3gpuE8ELNS1_3repE0EEENS1_30default_config_static_selectorELNS0_4arch9wavefront6targetE0EEEvT1_.kd
    .uniform_work_group_size: 1
    .uses_dynamic_stack: false
    .vgpr_count:     0
    .vgpr_spill_count: 0
    .wavefront_size: 32
    .workgroup_processor_mode: 1
  - .args:
      - .offset:         0
        .size:           144
        .value_kind:     by_value
    .group_segment_fixed_size: 0
    .kernarg_segment_align: 8
    .kernarg_segment_size: 144
    .language:       OpenCL C
    .language_version:
      - 2
      - 0
    .max_flat_workgroup_size: 128
    .name:           _ZN7rocprim17ROCPRIM_400000_NS6detail17trampoline_kernelINS0_14default_configENS1_25partition_config_selectorILNS1_17partition_subalgoE6EN6thrust23THRUST_200600_302600_NS5tupleIffNS7_9null_typeES9_S9_S9_S9_S9_S9_S9_EENS0_10empty_typeEbEEZZNS1_14partition_implILS5_6ELb0ES3_mNS7_12zip_iteratorINS8_INS7_6detail15normal_iteratorINS7_10device_ptrIfEEEESJ_S9_S9_S9_S9_S9_S9_S9_S9_EEEEPSB_SM_NS0_5tupleIJNSE_INS8_ISJ_NS7_16discard_iteratorINS7_11use_defaultEEES9_S9_S9_S9_S9_S9_S9_S9_EEEESB_EEENSN_IJSM_SM_EEESB_PlJNSF_9not_fun_tINSF_14equal_to_valueISA_EEEEEEE10hipError_tPvRmT3_T4_T5_T6_T7_T9_mT8_P12ihipStream_tbDpT10_ENKUlT_T0_E_clISt17integral_constantIbLb0EES1J_EEDaS1E_S1F_EUlS1E_E_NS1_11comp_targetILNS1_3genE3ELNS1_11target_archE908ELNS1_3gpuE7ELNS1_3repE0EEENS1_30default_config_static_selectorELNS0_4arch9wavefront6targetE0EEEvT1_
    .private_segment_fixed_size: 0
    .sgpr_count:     0
    .sgpr_spill_count: 0
    .symbol:         _ZN7rocprim17ROCPRIM_400000_NS6detail17trampoline_kernelINS0_14default_configENS1_25partition_config_selectorILNS1_17partition_subalgoE6EN6thrust23THRUST_200600_302600_NS5tupleIffNS7_9null_typeES9_S9_S9_S9_S9_S9_S9_EENS0_10empty_typeEbEEZZNS1_14partition_implILS5_6ELb0ES3_mNS7_12zip_iteratorINS8_INS7_6detail15normal_iteratorINS7_10device_ptrIfEEEESJ_S9_S9_S9_S9_S9_S9_S9_S9_EEEEPSB_SM_NS0_5tupleIJNSE_INS8_ISJ_NS7_16discard_iteratorINS7_11use_defaultEEES9_S9_S9_S9_S9_S9_S9_S9_EEEESB_EEENSN_IJSM_SM_EEESB_PlJNSF_9not_fun_tINSF_14equal_to_valueISA_EEEEEEE10hipError_tPvRmT3_T4_T5_T6_T7_T9_mT8_P12ihipStream_tbDpT10_ENKUlT_T0_E_clISt17integral_constantIbLb0EES1J_EEDaS1E_S1F_EUlS1E_E_NS1_11comp_targetILNS1_3genE3ELNS1_11target_archE908ELNS1_3gpuE7ELNS1_3repE0EEENS1_30default_config_static_selectorELNS0_4arch9wavefront6targetE0EEEvT1_.kd
    .uniform_work_group_size: 1
    .uses_dynamic_stack: false
    .vgpr_count:     0
    .vgpr_spill_count: 0
    .wavefront_size: 32
    .workgroup_processor_mode: 1
  - .args:
      - .offset:         0
        .size:           144
        .value_kind:     by_value
    .group_segment_fixed_size: 0
    .kernarg_segment_align: 8
    .kernarg_segment_size: 144
    .language:       OpenCL C
    .language_version:
      - 2
      - 0
    .max_flat_workgroup_size: 256
    .name:           _ZN7rocprim17ROCPRIM_400000_NS6detail17trampoline_kernelINS0_14default_configENS1_25partition_config_selectorILNS1_17partition_subalgoE6EN6thrust23THRUST_200600_302600_NS5tupleIffNS7_9null_typeES9_S9_S9_S9_S9_S9_S9_EENS0_10empty_typeEbEEZZNS1_14partition_implILS5_6ELb0ES3_mNS7_12zip_iteratorINS8_INS7_6detail15normal_iteratorINS7_10device_ptrIfEEEESJ_S9_S9_S9_S9_S9_S9_S9_S9_EEEEPSB_SM_NS0_5tupleIJNSE_INS8_ISJ_NS7_16discard_iteratorINS7_11use_defaultEEES9_S9_S9_S9_S9_S9_S9_S9_EEEESB_EEENSN_IJSM_SM_EEESB_PlJNSF_9not_fun_tINSF_14equal_to_valueISA_EEEEEEE10hipError_tPvRmT3_T4_T5_T6_T7_T9_mT8_P12ihipStream_tbDpT10_ENKUlT_T0_E_clISt17integral_constantIbLb0EES1J_EEDaS1E_S1F_EUlS1E_E_NS1_11comp_targetILNS1_3genE2ELNS1_11target_archE906ELNS1_3gpuE6ELNS1_3repE0EEENS1_30default_config_static_selectorELNS0_4arch9wavefront6targetE0EEEvT1_
    .private_segment_fixed_size: 0
    .sgpr_count:     0
    .sgpr_spill_count: 0
    .symbol:         _ZN7rocprim17ROCPRIM_400000_NS6detail17trampoline_kernelINS0_14default_configENS1_25partition_config_selectorILNS1_17partition_subalgoE6EN6thrust23THRUST_200600_302600_NS5tupleIffNS7_9null_typeES9_S9_S9_S9_S9_S9_S9_EENS0_10empty_typeEbEEZZNS1_14partition_implILS5_6ELb0ES3_mNS7_12zip_iteratorINS8_INS7_6detail15normal_iteratorINS7_10device_ptrIfEEEESJ_S9_S9_S9_S9_S9_S9_S9_S9_EEEEPSB_SM_NS0_5tupleIJNSE_INS8_ISJ_NS7_16discard_iteratorINS7_11use_defaultEEES9_S9_S9_S9_S9_S9_S9_S9_EEEESB_EEENSN_IJSM_SM_EEESB_PlJNSF_9not_fun_tINSF_14equal_to_valueISA_EEEEEEE10hipError_tPvRmT3_T4_T5_T6_T7_T9_mT8_P12ihipStream_tbDpT10_ENKUlT_T0_E_clISt17integral_constantIbLb0EES1J_EEDaS1E_S1F_EUlS1E_E_NS1_11comp_targetILNS1_3genE2ELNS1_11target_archE906ELNS1_3gpuE6ELNS1_3repE0EEENS1_30default_config_static_selectorELNS0_4arch9wavefront6targetE0EEEvT1_.kd
    .uniform_work_group_size: 1
    .uses_dynamic_stack: false
    .vgpr_count:     0
    .vgpr_spill_count: 0
    .wavefront_size: 32
    .workgroup_processor_mode: 1
  - .args:
      - .offset:         0
        .size:           144
        .value_kind:     by_value
    .group_segment_fixed_size: 8464
    .kernarg_segment_align: 8
    .kernarg_segment_size: 144
    .language:       OpenCL C
    .language_version:
      - 2
      - 0
    .max_flat_workgroup_size: 256
    .name:           _ZN7rocprim17ROCPRIM_400000_NS6detail17trampoline_kernelINS0_14default_configENS1_25partition_config_selectorILNS1_17partition_subalgoE6EN6thrust23THRUST_200600_302600_NS5tupleIffNS7_9null_typeES9_S9_S9_S9_S9_S9_S9_EENS0_10empty_typeEbEEZZNS1_14partition_implILS5_6ELb0ES3_mNS7_12zip_iteratorINS8_INS7_6detail15normal_iteratorINS7_10device_ptrIfEEEESJ_S9_S9_S9_S9_S9_S9_S9_S9_EEEEPSB_SM_NS0_5tupleIJNSE_INS8_ISJ_NS7_16discard_iteratorINS7_11use_defaultEEES9_S9_S9_S9_S9_S9_S9_S9_EEEESB_EEENSN_IJSM_SM_EEESB_PlJNSF_9not_fun_tINSF_14equal_to_valueISA_EEEEEEE10hipError_tPvRmT3_T4_T5_T6_T7_T9_mT8_P12ihipStream_tbDpT10_ENKUlT_T0_E_clISt17integral_constantIbLb0EES1J_EEDaS1E_S1F_EUlS1E_E_NS1_11comp_targetILNS1_3genE10ELNS1_11target_archE1200ELNS1_3gpuE4ELNS1_3repE0EEENS1_30default_config_static_selectorELNS0_4arch9wavefront6targetE0EEEvT1_
    .private_segment_fixed_size: 0
    .sgpr_count:     26
    .sgpr_spill_count: 0
    .symbol:         _ZN7rocprim17ROCPRIM_400000_NS6detail17trampoline_kernelINS0_14default_configENS1_25partition_config_selectorILNS1_17partition_subalgoE6EN6thrust23THRUST_200600_302600_NS5tupleIffNS7_9null_typeES9_S9_S9_S9_S9_S9_S9_EENS0_10empty_typeEbEEZZNS1_14partition_implILS5_6ELb0ES3_mNS7_12zip_iteratorINS8_INS7_6detail15normal_iteratorINS7_10device_ptrIfEEEESJ_S9_S9_S9_S9_S9_S9_S9_S9_EEEEPSB_SM_NS0_5tupleIJNSE_INS8_ISJ_NS7_16discard_iteratorINS7_11use_defaultEEES9_S9_S9_S9_S9_S9_S9_S9_EEEESB_EEENSN_IJSM_SM_EEESB_PlJNSF_9not_fun_tINSF_14equal_to_valueISA_EEEEEEE10hipError_tPvRmT3_T4_T5_T6_T7_T9_mT8_P12ihipStream_tbDpT10_ENKUlT_T0_E_clISt17integral_constantIbLb0EES1J_EEDaS1E_S1F_EUlS1E_E_NS1_11comp_targetILNS1_3genE10ELNS1_11target_archE1200ELNS1_3gpuE4ELNS1_3repE0EEENS1_30default_config_static_selectorELNS0_4arch9wavefront6targetE0EEEvT1_.kd
    .uniform_work_group_size: 1
    .uses_dynamic_stack: false
    .vgpr_count:     46
    .vgpr_spill_count: 0
    .wavefront_size: 32
    .workgroup_processor_mode: 1
  - .args:
      - .offset:         0
        .size:           144
        .value_kind:     by_value
    .group_segment_fixed_size: 0
    .kernarg_segment_align: 8
    .kernarg_segment_size: 144
    .language:       OpenCL C
    .language_version:
      - 2
      - 0
    .max_flat_workgroup_size: 384
    .name:           _ZN7rocprim17ROCPRIM_400000_NS6detail17trampoline_kernelINS0_14default_configENS1_25partition_config_selectorILNS1_17partition_subalgoE6EN6thrust23THRUST_200600_302600_NS5tupleIffNS7_9null_typeES9_S9_S9_S9_S9_S9_S9_EENS0_10empty_typeEbEEZZNS1_14partition_implILS5_6ELb0ES3_mNS7_12zip_iteratorINS8_INS7_6detail15normal_iteratorINS7_10device_ptrIfEEEESJ_S9_S9_S9_S9_S9_S9_S9_S9_EEEEPSB_SM_NS0_5tupleIJNSE_INS8_ISJ_NS7_16discard_iteratorINS7_11use_defaultEEES9_S9_S9_S9_S9_S9_S9_S9_EEEESB_EEENSN_IJSM_SM_EEESB_PlJNSF_9not_fun_tINSF_14equal_to_valueISA_EEEEEEE10hipError_tPvRmT3_T4_T5_T6_T7_T9_mT8_P12ihipStream_tbDpT10_ENKUlT_T0_E_clISt17integral_constantIbLb0EES1J_EEDaS1E_S1F_EUlS1E_E_NS1_11comp_targetILNS1_3genE9ELNS1_11target_archE1100ELNS1_3gpuE3ELNS1_3repE0EEENS1_30default_config_static_selectorELNS0_4arch9wavefront6targetE0EEEvT1_
    .private_segment_fixed_size: 0
    .sgpr_count:     0
    .sgpr_spill_count: 0
    .symbol:         _ZN7rocprim17ROCPRIM_400000_NS6detail17trampoline_kernelINS0_14default_configENS1_25partition_config_selectorILNS1_17partition_subalgoE6EN6thrust23THRUST_200600_302600_NS5tupleIffNS7_9null_typeES9_S9_S9_S9_S9_S9_S9_EENS0_10empty_typeEbEEZZNS1_14partition_implILS5_6ELb0ES3_mNS7_12zip_iteratorINS8_INS7_6detail15normal_iteratorINS7_10device_ptrIfEEEESJ_S9_S9_S9_S9_S9_S9_S9_S9_EEEEPSB_SM_NS0_5tupleIJNSE_INS8_ISJ_NS7_16discard_iteratorINS7_11use_defaultEEES9_S9_S9_S9_S9_S9_S9_S9_EEEESB_EEENSN_IJSM_SM_EEESB_PlJNSF_9not_fun_tINSF_14equal_to_valueISA_EEEEEEE10hipError_tPvRmT3_T4_T5_T6_T7_T9_mT8_P12ihipStream_tbDpT10_ENKUlT_T0_E_clISt17integral_constantIbLb0EES1J_EEDaS1E_S1F_EUlS1E_E_NS1_11comp_targetILNS1_3genE9ELNS1_11target_archE1100ELNS1_3gpuE3ELNS1_3repE0EEENS1_30default_config_static_selectorELNS0_4arch9wavefront6targetE0EEEvT1_.kd
    .uniform_work_group_size: 1
    .uses_dynamic_stack: false
    .vgpr_count:     0
    .vgpr_spill_count: 0
    .wavefront_size: 32
    .workgroup_processor_mode: 1
  - .args:
      - .offset:         0
        .size:           144
        .value_kind:     by_value
    .group_segment_fixed_size: 0
    .kernarg_segment_align: 8
    .kernarg_segment_size: 144
    .language:       OpenCL C
    .language_version:
      - 2
      - 0
    .max_flat_workgroup_size: 512
    .name:           _ZN7rocprim17ROCPRIM_400000_NS6detail17trampoline_kernelINS0_14default_configENS1_25partition_config_selectorILNS1_17partition_subalgoE6EN6thrust23THRUST_200600_302600_NS5tupleIffNS7_9null_typeES9_S9_S9_S9_S9_S9_S9_EENS0_10empty_typeEbEEZZNS1_14partition_implILS5_6ELb0ES3_mNS7_12zip_iteratorINS8_INS7_6detail15normal_iteratorINS7_10device_ptrIfEEEESJ_S9_S9_S9_S9_S9_S9_S9_S9_EEEEPSB_SM_NS0_5tupleIJNSE_INS8_ISJ_NS7_16discard_iteratorINS7_11use_defaultEEES9_S9_S9_S9_S9_S9_S9_S9_EEEESB_EEENSN_IJSM_SM_EEESB_PlJNSF_9not_fun_tINSF_14equal_to_valueISA_EEEEEEE10hipError_tPvRmT3_T4_T5_T6_T7_T9_mT8_P12ihipStream_tbDpT10_ENKUlT_T0_E_clISt17integral_constantIbLb0EES1J_EEDaS1E_S1F_EUlS1E_E_NS1_11comp_targetILNS1_3genE8ELNS1_11target_archE1030ELNS1_3gpuE2ELNS1_3repE0EEENS1_30default_config_static_selectorELNS0_4arch9wavefront6targetE0EEEvT1_
    .private_segment_fixed_size: 0
    .sgpr_count:     0
    .sgpr_spill_count: 0
    .symbol:         _ZN7rocprim17ROCPRIM_400000_NS6detail17trampoline_kernelINS0_14default_configENS1_25partition_config_selectorILNS1_17partition_subalgoE6EN6thrust23THRUST_200600_302600_NS5tupleIffNS7_9null_typeES9_S9_S9_S9_S9_S9_S9_EENS0_10empty_typeEbEEZZNS1_14partition_implILS5_6ELb0ES3_mNS7_12zip_iteratorINS8_INS7_6detail15normal_iteratorINS7_10device_ptrIfEEEESJ_S9_S9_S9_S9_S9_S9_S9_S9_EEEEPSB_SM_NS0_5tupleIJNSE_INS8_ISJ_NS7_16discard_iteratorINS7_11use_defaultEEES9_S9_S9_S9_S9_S9_S9_S9_EEEESB_EEENSN_IJSM_SM_EEESB_PlJNSF_9not_fun_tINSF_14equal_to_valueISA_EEEEEEE10hipError_tPvRmT3_T4_T5_T6_T7_T9_mT8_P12ihipStream_tbDpT10_ENKUlT_T0_E_clISt17integral_constantIbLb0EES1J_EEDaS1E_S1F_EUlS1E_E_NS1_11comp_targetILNS1_3genE8ELNS1_11target_archE1030ELNS1_3gpuE2ELNS1_3repE0EEENS1_30default_config_static_selectorELNS0_4arch9wavefront6targetE0EEEvT1_.kd
    .uniform_work_group_size: 1
    .uses_dynamic_stack: false
    .vgpr_count:     0
    .vgpr_spill_count: 0
    .wavefront_size: 32
    .workgroup_processor_mode: 1
  - .args:
      - .offset:         0
        .size:           152
        .value_kind:     by_value
    .group_segment_fixed_size: 0
    .kernarg_segment_align: 8
    .kernarg_segment_size: 152
    .language:       OpenCL C
    .language_version:
      - 2
      - 0
    .max_flat_workgroup_size: 128
    .name:           _ZN7rocprim17ROCPRIM_400000_NS6detail17trampoline_kernelINS0_14default_configENS1_25partition_config_selectorILNS1_17partition_subalgoE6EN6thrust23THRUST_200600_302600_NS5tupleIffNS7_9null_typeES9_S9_S9_S9_S9_S9_S9_EENS0_10empty_typeEbEEZZNS1_14partition_implILS5_6ELb0ES3_mNS7_12zip_iteratorINS8_INS7_6detail15normal_iteratorINS7_10device_ptrIfEEEESJ_S9_S9_S9_S9_S9_S9_S9_S9_EEEEPSB_SM_NS0_5tupleIJNSE_INS8_ISJ_NS7_16discard_iteratorINS7_11use_defaultEEES9_S9_S9_S9_S9_S9_S9_S9_EEEESB_EEENSN_IJSM_SM_EEESB_PlJNSF_9not_fun_tINSF_14equal_to_valueISA_EEEEEEE10hipError_tPvRmT3_T4_T5_T6_T7_T9_mT8_P12ihipStream_tbDpT10_ENKUlT_T0_E_clISt17integral_constantIbLb1EES1J_EEDaS1E_S1F_EUlS1E_E_NS1_11comp_targetILNS1_3genE0ELNS1_11target_archE4294967295ELNS1_3gpuE0ELNS1_3repE0EEENS1_30default_config_static_selectorELNS0_4arch9wavefront6targetE0EEEvT1_
    .private_segment_fixed_size: 0
    .sgpr_count:     0
    .sgpr_spill_count: 0
    .symbol:         _ZN7rocprim17ROCPRIM_400000_NS6detail17trampoline_kernelINS0_14default_configENS1_25partition_config_selectorILNS1_17partition_subalgoE6EN6thrust23THRUST_200600_302600_NS5tupleIffNS7_9null_typeES9_S9_S9_S9_S9_S9_S9_EENS0_10empty_typeEbEEZZNS1_14partition_implILS5_6ELb0ES3_mNS7_12zip_iteratorINS8_INS7_6detail15normal_iteratorINS7_10device_ptrIfEEEESJ_S9_S9_S9_S9_S9_S9_S9_S9_EEEEPSB_SM_NS0_5tupleIJNSE_INS8_ISJ_NS7_16discard_iteratorINS7_11use_defaultEEES9_S9_S9_S9_S9_S9_S9_S9_EEEESB_EEENSN_IJSM_SM_EEESB_PlJNSF_9not_fun_tINSF_14equal_to_valueISA_EEEEEEE10hipError_tPvRmT3_T4_T5_T6_T7_T9_mT8_P12ihipStream_tbDpT10_ENKUlT_T0_E_clISt17integral_constantIbLb1EES1J_EEDaS1E_S1F_EUlS1E_E_NS1_11comp_targetILNS1_3genE0ELNS1_11target_archE4294967295ELNS1_3gpuE0ELNS1_3repE0EEENS1_30default_config_static_selectorELNS0_4arch9wavefront6targetE0EEEvT1_.kd
    .uniform_work_group_size: 1
    .uses_dynamic_stack: false
    .vgpr_count:     0
    .vgpr_spill_count: 0
    .wavefront_size: 32
    .workgroup_processor_mode: 1
  - .args:
      - .offset:         0
        .size:           152
        .value_kind:     by_value
    .group_segment_fixed_size: 0
    .kernarg_segment_align: 8
    .kernarg_segment_size: 152
    .language:       OpenCL C
    .language_version:
      - 2
      - 0
    .max_flat_workgroup_size: 512
    .name:           _ZN7rocprim17ROCPRIM_400000_NS6detail17trampoline_kernelINS0_14default_configENS1_25partition_config_selectorILNS1_17partition_subalgoE6EN6thrust23THRUST_200600_302600_NS5tupleIffNS7_9null_typeES9_S9_S9_S9_S9_S9_S9_EENS0_10empty_typeEbEEZZNS1_14partition_implILS5_6ELb0ES3_mNS7_12zip_iteratorINS8_INS7_6detail15normal_iteratorINS7_10device_ptrIfEEEESJ_S9_S9_S9_S9_S9_S9_S9_S9_EEEEPSB_SM_NS0_5tupleIJNSE_INS8_ISJ_NS7_16discard_iteratorINS7_11use_defaultEEES9_S9_S9_S9_S9_S9_S9_S9_EEEESB_EEENSN_IJSM_SM_EEESB_PlJNSF_9not_fun_tINSF_14equal_to_valueISA_EEEEEEE10hipError_tPvRmT3_T4_T5_T6_T7_T9_mT8_P12ihipStream_tbDpT10_ENKUlT_T0_E_clISt17integral_constantIbLb1EES1J_EEDaS1E_S1F_EUlS1E_E_NS1_11comp_targetILNS1_3genE5ELNS1_11target_archE942ELNS1_3gpuE9ELNS1_3repE0EEENS1_30default_config_static_selectorELNS0_4arch9wavefront6targetE0EEEvT1_
    .private_segment_fixed_size: 0
    .sgpr_count:     0
    .sgpr_spill_count: 0
    .symbol:         _ZN7rocprim17ROCPRIM_400000_NS6detail17trampoline_kernelINS0_14default_configENS1_25partition_config_selectorILNS1_17partition_subalgoE6EN6thrust23THRUST_200600_302600_NS5tupleIffNS7_9null_typeES9_S9_S9_S9_S9_S9_S9_EENS0_10empty_typeEbEEZZNS1_14partition_implILS5_6ELb0ES3_mNS7_12zip_iteratorINS8_INS7_6detail15normal_iteratorINS7_10device_ptrIfEEEESJ_S9_S9_S9_S9_S9_S9_S9_S9_EEEEPSB_SM_NS0_5tupleIJNSE_INS8_ISJ_NS7_16discard_iteratorINS7_11use_defaultEEES9_S9_S9_S9_S9_S9_S9_S9_EEEESB_EEENSN_IJSM_SM_EEESB_PlJNSF_9not_fun_tINSF_14equal_to_valueISA_EEEEEEE10hipError_tPvRmT3_T4_T5_T6_T7_T9_mT8_P12ihipStream_tbDpT10_ENKUlT_T0_E_clISt17integral_constantIbLb1EES1J_EEDaS1E_S1F_EUlS1E_E_NS1_11comp_targetILNS1_3genE5ELNS1_11target_archE942ELNS1_3gpuE9ELNS1_3repE0EEENS1_30default_config_static_selectorELNS0_4arch9wavefront6targetE0EEEvT1_.kd
    .uniform_work_group_size: 1
    .uses_dynamic_stack: false
    .vgpr_count:     0
    .vgpr_spill_count: 0
    .wavefront_size: 32
    .workgroup_processor_mode: 1
  - .args:
      - .offset:         0
        .size:           152
        .value_kind:     by_value
    .group_segment_fixed_size: 0
    .kernarg_segment_align: 8
    .kernarg_segment_size: 152
    .language:       OpenCL C
    .language_version:
      - 2
      - 0
    .max_flat_workgroup_size: 512
    .name:           _ZN7rocprim17ROCPRIM_400000_NS6detail17trampoline_kernelINS0_14default_configENS1_25partition_config_selectorILNS1_17partition_subalgoE6EN6thrust23THRUST_200600_302600_NS5tupleIffNS7_9null_typeES9_S9_S9_S9_S9_S9_S9_EENS0_10empty_typeEbEEZZNS1_14partition_implILS5_6ELb0ES3_mNS7_12zip_iteratorINS8_INS7_6detail15normal_iteratorINS7_10device_ptrIfEEEESJ_S9_S9_S9_S9_S9_S9_S9_S9_EEEEPSB_SM_NS0_5tupleIJNSE_INS8_ISJ_NS7_16discard_iteratorINS7_11use_defaultEEES9_S9_S9_S9_S9_S9_S9_S9_EEEESB_EEENSN_IJSM_SM_EEESB_PlJNSF_9not_fun_tINSF_14equal_to_valueISA_EEEEEEE10hipError_tPvRmT3_T4_T5_T6_T7_T9_mT8_P12ihipStream_tbDpT10_ENKUlT_T0_E_clISt17integral_constantIbLb1EES1J_EEDaS1E_S1F_EUlS1E_E_NS1_11comp_targetILNS1_3genE4ELNS1_11target_archE910ELNS1_3gpuE8ELNS1_3repE0EEENS1_30default_config_static_selectorELNS0_4arch9wavefront6targetE0EEEvT1_
    .private_segment_fixed_size: 0
    .sgpr_count:     0
    .sgpr_spill_count: 0
    .symbol:         _ZN7rocprim17ROCPRIM_400000_NS6detail17trampoline_kernelINS0_14default_configENS1_25partition_config_selectorILNS1_17partition_subalgoE6EN6thrust23THRUST_200600_302600_NS5tupleIffNS7_9null_typeES9_S9_S9_S9_S9_S9_S9_EENS0_10empty_typeEbEEZZNS1_14partition_implILS5_6ELb0ES3_mNS7_12zip_iteratorINS8_INS7_6detail15normal_iteratorINS7_10device_ptrIfEEEESJ_S9_S9_S9_S9_S9_S9_S9_S9_EEEEPSB_SM_NS0_5tupleIJNSE_INS8_ISJ_NS7_16discard_iteratorINS7_11use_defaultEEES9_S9_S9_S9_S9_S9_S9_S9_EEEESB_EEENSN_IJSM_SM_EEESB_PlJNSF_9not_fun_tINSF_14equal_to_valueISA_EEEEEEE10hipError_tPvRmT3_T4_T5_T6_T7_T9_mT8_P12ihipStream_tbDpT10_ENKUlT_T0_E_clISt17integral_constantIbLb1EES1J_EEDaS1E_S1F_EUlS1E_E_NS1_11comp_targetILNS1_3genE4ELNS1_11target_archE910ELNS1_3gpuE8ELNS1_3repE0EEENS1_30default_config_static_selectorELNS0_4arch9wavefront6targetE0EEEvT1_.kd
    .uniform_work_group_size: 1
    .uses_dynamic_stack: false
    .vgpr_count:     0
    .vgpr_spill_count: 0
    .wavefront_size: 32
    .workgroup_processor_mode: 1
  - .args:
      - .offset:         0
        .size:           152
        .value_kind:     by_value
    .group_segment_fixed_size: 0
    .kernarg_segment_align: 8
    .kernarg_segment_size: 152
    .language:       OpenCL C
    .language_version:
      - 2
      - 0
    .max_flat_workgroup_size: 128
    .name:           _ZN7rocprim17ROCPRIM_400000_NS6detail17trampoline_kernelINS0_14default_configENS1_25partition_config_selectorILNS1_17partition_subalgoE6EN6thrust23THRUST_200600_302600_NS5tupleIffNS7_9null_typeES9_S9_S9_S9_S9_S9_S9_EENS0_10empty_typeEbEEZZNS1_14partition_implILS5_6ELb0ES3_mNS7_12zip_iteratorINS8_INS7_6detail15normal_iteratorINS7_10device_ptrIfEEEESJ_S9_S9_S9_S9_S9_S9_S9_S9_EEEEPSB_SM_NS0_5tupleIJNSE_INS8_ISJ_NS7_16discard_iteratorINS7_11use_defaultEEES9_S9_S9_S9_S9_S9_S9_S9_EEEESB_EEENSN_IJSM_SM_EEESB_PlJNSF_9not_fun_tINSF_14equal_to_valueISA_EEEEEEE10hipError_tPvRmT3_T4_T5_T6_T7_T9_mT8_P12ihipStream_tbDpT10_ENKUlT_T0_E_clISt17integral_constantIbLb1EES1J_EEDaS1E_S1F_EUlS1E_E_NS1_11comp_targetILNS1_3genE3ELNS1_11target_archE908ELNS1_3gpuE7ELNS1_3repE0EEENS1_30default_config_static_selectorELNS0_4arch9wavefront6targetE0EEEvT1_
    .private_segment_fixed_size: 0
    .sgpr_count:     0
    .sgpr_spill_count: 0
    .symbol:         _ZN7rocprim17ROCPRIM_400000_NS6detail17trampoline_kernelINS0_14default_configENS1_25partition_config_selectorILNS1_17partition_subalgoE6EN6thrust23THRUST_200600_302600_NS5tupleIffNS7_9null_typeES9_S9_S9_S9_S9_S9_S9_EENS0_10empty_typeEbEEZZNS1_14partition_implILS5_6ELb0ES3_mNS7_12zip_iteratorINS8_INS7_6detail15normal_iteratorINS7_10device_ptrIfEEEESJ_S9_S9_S9_S9_S9_S9_S9_S9_EEEEPSB_SM_NS0_5tupleIJNSE_INS8_ISJ_NS7_16discard_iteratorINS7_11use_defaultEEES9_S9_S9_S9_S9_S9_S9_S9_EEEESB_EEENSN_IJSM_SM_EEESB_PlJNSF_9not_fun_tINSF_14equal_to_valueISA_EEEEEEE10hipError_tPvRmT3_T4_T5_T6_T7_T9_mT8_P12ihipStream_tbDpT10_ENKUlT_T0_E_clISt17integral_constantIbLb1EES1J_EEDaS1E_S1F_EUlS1E_E_NS1_11comp_targetILNS1_3genE3ELNS1_11target_archE908ELNS1_3gpuE7ELNS1_3repE0EEENS1_30default_config_static_selectorELNS0_4arch9wavefront6targetE0EEEvT1_.kd
    .uniform_work_group_size: 1
    .uses_dynamic_stack: false
    .vgpr_count:     0
    .vgpr_spill_count: 0
    .wavefront_size: 32
    .workgroup_processor_mode: 1
  - .args:
      - .offset:         0
        .size:           152
        .value_kind:     by_value
    .group_segment_fixed_size: 0
    .kernarg_segment_align: 8
    .kernarg_segment_size: 152
    .language:       OpenCL C
    .language_version:
      - 2
      - 0
    .max_flat_workgroup_size: 256
    .name:           _ZN7rocprim17ROCPRIM_400000_NS6detail17trampoline_kernelINS0_14default_configENS1_25partition_config_selectorILNS1_17partition_subalgoE6EN6thrust23THRUST_200600_302600_NS5tupleIffNS7_9null_typeES9_S9_S9_S9_S9_S9_S9_EENS0_10empty_typeEbEEZZNS1_14partition_implILS5_6ELb0ES3_mNS7_12zip_iteratorINS8_INS7_6detail15normal_iteratorINS7_10device_ptrIfEEEESJ_S9_S9_S9_S9_S9_S9_S9_S9_EEEEPSB_SM_NS0_5tupleIJNSE_INS8_ISJ_NS7_16discard_iteratorINS7_11use_defaultEEES9_S9_S9_S9_S9_S9_S9_S9_EEEESB_EEENSN_IJSM_SM_EEESB_PlJNSF_9not_fun_tINSF_14equal_to_valueISA_EEEEEEE10hipError_tPvRmT3_T4_T5_T6_T7_T9_mT8_P12ihipStream_tbDpT10_ENKUlT_T0_E_clISt17integral_constantIbLb1EES1J_EEDaS1E_S1F_EUlS1E_E_NS1_11comp_targetILNS1_3genE2ELNS1_11target_archE906ELNS1_3gpuE6ELNS1_3repE0EEENS1_30default_config_static_selectorELNS0_4arch9wavefront6targetE0EEEvT1_
    .private_segment_fixed_size: 0
    .sgpr_count:     0
    .sgpr_spill_count: 0
    .symbol:         _ZN7rocprim17ROCPRIM_400000_NS6detail17trampoline_kernelINS0_14default_configENS1_25partition_config_selectorILNS1_17partition_subalgoE6EN6thrust23THRUST_200600_302600_NS5tupleIffNS7_9null_typeES9_S9_S9_S9_S9_S9_S9_EENS0_10empty_typeEbEEZZNS1_14partition_implILS5_6ELb0ES3_mNS7_12zip_iteratorINS8_INS7_6detail15normal_iteratorINS7_10device_ptrIfEEEESJ_S9_S9_S9_S9_S9_S9_S9_S9_EEEEPSB_SM_NS0_5tupleIJNSE_INS8_ISJ_NS7_16discard_iteratorINS7_11use_defaultEEES9_S9_S9_S9_S9_S9_S9_S9_EEEESB_EEENSN_IJSM_SM_EEESB_PlJNSF_9not_fun_tINSF_14equal_to_valueISA_EEEEEEE10hipError_tPvRmT3_T4_T5_T6_T7_T9_mT8_P12ihipStream_tbDpT10_ENKUlT_T0_E_clISt17integral_constantIbLb1EES1J_EEDaS1E_S1F_EUlS1E_E_NS1_11comp_targetILNS1_3genE2ELNS1_11target_archE906ELNS1_3gpuE6ELNS1_3repE0EEENS1_30default_config_static_selectorELNS0_4arch9wavefront6targetE0EEEvT1_.kd
    .uniform_work_group_size: 1
    .uses_dynamic_stack: false
    .vgpr_count:     0
    .vgpr_spill_count: 0
    .wavefront_size: 32
    .workgroup_processor_mode: 1
  - .args:
      - .offset:         0
        .size:           152
        .value_kind:     by_value
    .group_segment_fixed_size: 0
    .kernarg_segment_align: 8
    .kernarg_segment_size: 152
    .language:       OpenCL C
    .language_version:
      - 2
      - 0
    .max_flat_workgroup_size: 256
    .name:           _ZN7rocprim17ROCPRIM_400000_NS6detail17trampoline_kernelINS0_14default_configENS1_25partition_config_selectorILNS1_17partition_subalgoE6EN6thrust23THRUST_200600_302600_NS5tupleIffNS7_9null_typeES9_S9_S9_S9_S9_S9_S9_EENS0_10empty_typeEbEEZZNS1_14partition_implILS5_6ELb0ES3_mNS7_12zip_iteratorINS8_INS7_6detail15normal_iteratorINS7_10device_ptrIfEEEESJ_S9_S9_S9_S9_S9_S9_S9_S9_EEEEPSB_SM_NS0_5tupleIJNSE_INS8_ISJ_NS7_16discard_iteratorINS7_11use_defaultEEES9_S9_S9_S9_S9_S9_S9_S9_EEEESB_EEENSN_IJSM_SM_EEESB_PlJNSF_9not_fun_tINSF_14equal_to_valueISA_EEEEEEE10hipError_tPvRmT3_T4_T5_T6_T7_T9_mT8_P12ihipStream_tbDpT10_ENKUlT_T0_E_clISt17integral_constantIbLb1EES1J_EEDaS1E_S1F_EUlS1E_E_NS1_11comp_targetILNS1_3genE10ELNS1_11target_archE1200ELNS1_3gpuE4ELNS1_3repE0EEENS1_30default_config_static_selectorELNS0_4arch9wavefront6targetE0EEEvT1_
    .private_segment_fixed_size: 0
    .sgpr_count:     0
    .sgpr_spill_count: 0
    .symbol:         _ZN7rocprim17ROCPRIM_400000_NS6detail17trampoline_kernelINS0_14default_configENS1_25partition_config_selectorILNS1_17partition_subalgoE6EN6thrust23THRUST_200600_302600_NS5tupleIffNS7_9null_typeES9_S9_S9_S9_S9_S9_S9_EENS0_10empty_typeEbEEZZNS1_14partition_implILS5_6ELb0ES3_mNS7_12zip_iteratorINS8_INS7_6detail15normal_iteratorINS7_10device_ptrIfEEEESJ_S9_S9_S9_S9_S9_S9_S9_S9_EEEEPSB_SM_NS0_5tupleIJNSE_INS8_ISJ_NS7_16discard_iteratorINS7_11use_defaultEEES9_S9_S9_S9_S9_S9_S9_S9_EEEESB_EEENSN_IJSM_SM_EEESB_PlJNSF_9not_fun_tINSF_14equal_to_valueISA_EEEEEEE10hipError_tPvRmT3_T4_T5_T6_T7_T9_mT8_P12ihipStream_tbDpT10_ENKUlT_T0_E_clISt17integral_constantIbLb1EES1J_EEDaS1E_S1F_EUlS1E_E_NS1_11comp_targetILNS1_3genE10ELNS1_11target_archE1200ELNS1_3gpuE4ELNS1_3repE0EEENS1_30default_config_static_selectorELNS0_4arch9wavefront6targetE0EEEvT1_.kd
    .uniform_work_group_size: 1
    .uses_dynamic_stack: false
    .vgpr_count:     0
    .vgpr_spill_count: 0
    .wavefront_size: 32
    .workgroup_processor_mode: 1
  - .args:
      - .offset:         0
        .size:           152
        .value_kind:     by_value
    .group_segment_fixed_size: 0
    .kernarg_segment_align: 8
    .kernarg_segment_size: 152
    .language:       OpenCL C
    .language_version:
      - 2
      - 0
    .max_flat_workgroup_size: 384
    .name:           _ZN7rocprim17ROCPRIM_400000_NS6detail17trampoline_kernelINS0_14default_configENS1_25partition_config_selectorILNS1_17partition_subalgoE6EN6thrust23THRUST_200600_302600_NS5tupleIffNS7_9null_typeES9_S9_S9_S9_S9_S9_S9_EENS0_10empty_typeEbEEZZNS1_14partition_implILS5_6ELb0ES3_mNS7_12zip_iteratorINS8_INS7_6detail15normal_iteratorINS7_10device_ptrIfEEEESJ_S9_S9_S9_S9_S9_S9_S9_S9_EEEEPSB_SM_NS0_5tupleIJNSE_INS8_ISJ_NS7_16discard_iteratorINS7_11use_defaultEEES9_S9_S9_S9_S9_S9_S9_S9_EEEESB_EEENSN_IJSM_SM_EEESB_PlJNSF_9not_fun_tINSF_14equal_to_valueISA_EEEEEEE10hipError_tPvRmT3_T4_T5_T6_T7_T9_mT8_P12ihipStream_tbDpT10_ENKUlT_T0_E_clISt17integral_constantIbLb1EES1J_EEDaS1E_S1F_EUlS1E_E_NS1_11comp_targetILNS1_3genE9ELNS1_11target_archE1100ELNS1_3gpuE3ELNS1_3repE0EEENS1_30default_config_static_selectorELNS0_4arch9wavefront6targetE0EEEvT1_
    .private_segment_fixed_size: 0
    .sgpr_count:     0
    .sgpr_spill_count: 0
    .symbol:         _ZN7rocprim17ROCPRIM_400000_NS6detail17trampoline_kernelINS0_14default_configENS1_25partition_config_selectorILNS1_17partition_subalgoE6EN6thrust23THRUST_200600_302600_NS5tupleIffNS7_9null_typeES9_S9_S9_S9_S9_S9_S9_EENS0_10empty_typeEbEEZZNS1_14partition_implILS5_6ELb0ES3_mNS7_12zip_iteratorINS8_INS7_6detail15normal_iteratorINS7_10device_ptrIfEEEESJ_S9_S9_S9_S9_S9_S9_S9_S9_EEEEPSB_SM_NS0_5tupleIJNSE_INS8_ISJ_NS7_16discard_iteratorINS7_11use_defaultEEES9_S9_S9_S9_S9_S9_S9_S9_EEEESB_EEENSN_IJSM_SM_EEESB_PlJNSF_9not_fun_tINSF_14equal_to_valueISA_EEEEEEE10hipError_tPvRmT3_T4_T5_T6_T7_T9_mT8_P12ihipStream_tbDpT10_ENKUlT_T0_E_clISt17integral_constantIbLb1EES1J_EEDaS1E_S1F_EUlS1E_E_NS1_11comp_targetILNS1_3genE9ELNS1_11target_archE1100ELNS1_3gpuE3ELNS1_3repE0EEENS1_30default_config_static_selectorELNS0_4arch9wavefront6targetE0EEEvT1_.kd
    .uniform_work_group_size: 1
    .uses_dynamic_stack: false
    .vgpr_count:     0
    .vgpr_spill_count: 0
    .wavefront_size: 32
    .workgroup_processor_mode: 1
  - .args:
      - .offset:         0
        .size:           152
        .value_kind:     by_value
    .group_segment_fixed_size: 0
    .kernarg_segment_align: 8
    .kernarg_segment_size: 152
    .language:       OpenCL C
    .language_version:
      - 2
      - 0
    .max_flat_workgroup_size: 512
    .name:           _ZN7rocprim17ROCPRIM_400000_NS6detail17trampoline_kernelINS0_14default_configENS1_25partition_config_selectorILNS1_17partition_subalgoE6EN6thrust23THRUST_200600_302600_NS5tupleIffNS7_9null_typeES9_S9_S9_S9_S9_S9_S9_EENS0_10empty_typeEbEEZZNS1_14partition_implILS5_6ELb0ES3_mNS7_12zip_iteratorINS8_INS7_6detail15normal_iteratorINS7_10device_ptrIfEEEESJ_S9_S9_S9_S9_S9_S9_S9_S9_EEEEPSB_SM_NS0_5tupleIJNSE_INS8_ISJ_NS7_16discard_iteratorINS7_11use_defaultEEES9_S9_S9_S9_S9_S9_S9_S9_EEEESB_EEENSN_IJSM_SM_EEESB_PlJNSF_9not_fun_tINSF_14equal_to_valueISA_EEEEEEE10hipError_tPvRmT3_T4_T5_T6_T7_T9_mT8_P12ihipStream_tbDpT10_ENKUlT_T0_E_clISt17integral_constantIbLb1EES1J_EEDaS1E_S1F_EUlS1E_E_NS1_11comp_targetILNS1_3genE8ELNS1_11target_archE1030ELNS1_3gpuE2ELNS1_3repE0EEENS1_30default_config_static_selectorELNS0_4arch9wavefront6targetE0EEEvT1_
    .private_segment_fixed_size: 0
    .sgpr_count:     0
    .sgpr_spill_count: 0
    .symbol:         _ZN7rocprim17ROCPRIM_400000_NS6detail17trampoline_kernelINS0_14default_configENS1_25partition_config_selectorILNS1_17partition_subalgoE6EN6thrust23THRUST_200600_302600_NS5tupleIffNS7_9null_typeES9_S9_S9_S9_S9_S9_S9_EENS0_10empty_typeEbEEZZNS1_14partition_implILS5_6ELb0ES3_mNS7_12zip_iteratorINS8_INS7_6detail15normal_iteratorINS7_10device_ptrIfEEEESJ_S9_S9_S9_S9_S9_S9_S9_S9_EEEEPSB_SM_NS0_5tupleIJNSE_INS8_ISJ_NS7_16discard_iteratorINS7_11use_defaultEEES9_S9_S9_S9_S9_S9_S9_S9_EEEESB_EEENSN_IJSM_SM_EEESB_PlJNSF_9not_fun_tINSF_14equal_to_valueISA_EEEEEEE10hipError_tPvRmT3_T4_T5_T6_T7_T9_mT8_P12ihipStream_tbDpT10_ENKUlT_T0_E_clISt17integral_constantIbLb1EES1J_EEDaS1E_S1F_EUlS1E_E_NS1_11comp_targetILNS1_3genE8ELNS1_11target_archE1030ELNS1_3gpuE2ELNS1_3repE0EEENS1_30default_config_static_selectorELNS0_4arch9wavefront6targetE0EEEvT1_.kd
    .uniform_work_group_size: 1
    .uses_dynamic_stack: false
    .vgpr_count:     0
    .vgpr_spill_count: 0
    .wavefront_size: 32
    .workgroup_processor_mode: 1
  - .args:
      - .offset:         0
        .size:           144
        .value_kind:     by_value
    .group_segment_fixed_size: 0
    .kernarg_segment_align: 8
    .kernarg_segment_size: 144
    .language:       OpenCL C
    .language_version:
      - 2
      - 0
    .max_flat_workgroup_size: 128
    .name:           _ZN7rocprim17ROCPRIM_400000_NS6detail17trampoline_kernelINS0_14default_configENS1_25partition_config_selectorILNS1_17partition_subalgoE6EN6thrust23THRUST_200600_302600_NS5tupleIffNS7_9null_typeES9_S9_S9_S9_S9_S9_S9_EENS0_10empty_typeEbEEZZNS1_14partition_implILS5_6ELb0ES3_mNS7_12zip_iteratorINS8_INS7_6detail15normal_iteratorINS7_10device_ptrIfEEEESJ_S9_S9_S9_S9_S9_S9_S9_S9_EEEEPSB_SM_NS0_5tupleIJNSE_INS8_ISJ_NS7_16discard_iteratorINS7_11use_defaultEEES9_S9_S9_S9_S9_S9_S9_S9_EEEESB_EEENSN_IJSM_SM_EEESB_PlJNSF_9not_fun_tINSF_14equal_to_valueISA_EEEEEEE10hipError_tPvRmT3_T4_T5_T6_T7_T9_mT8_P12ihipStream_tbDpT10_ENKUlT_T0_E_clISt17integral_constantIbLb1EES1I_IbLb0EEEEDaS1E_S1F_EUlS1E_E_NS1_11comp_targetILNS1_3genE0ELNS1_11target_archE4294967295ELNS1_3gpuE0ELNS1_3repE0EEENS1_30default_config_static_selectorELNS0_4arch9wavefront6targetE0EEEvT1_
    .private_segment_fixed_size: 0
    .sgpr_count:     0
    .sgpr_spill_count: 0
    .symbol:         _ZN7rocprim17ROCPRIM_400000_NS6detail17trampoline_kernelINS0_14default_configENS1_25partition_config_selectorILNS1_17partition_subalgoE6EN6thrust23THRUST_200600_302600_NS5tupleIffNS7_9null_typeES9_S9_S9_S9_S9_S9_S9_EENS0_10empty_typeEbEEZZNS1_14partition_implILS5_6ELb0ES3_mNS7_12zip_iteratorINS8_INS7_6detail15normal_iteratorINS7_10device_ptrIfEEEESJ_S9_S9_S9_S9_S9_S9_S9_S9_EEEEPSB_SM_NS0_5tupleIJNSE_INS8_ISJ_NS7_16discard_iteratorINS7_11use_defaultEEES9_S9_S9_S9_S9_S9_S9_S9_EEEESB_EEENSN_IJSM_SM_EEESB_PlJNSF_9not_fun_tINSF_14equal_to_valueISA_EEEEEEE10hipError_tPvRmT3_T4_T5_T6_T7_T9_mT8_P12ihipStream_tbDpT10_ENKUlT_T0_E_clISt17integral_constantIbLb1EES1I_IbLb0EEEEDaS1E_S1F_EUlS1E_E_NS1_11comp_targetILNS1_3genE0ELNS1_11target_archE4294967295ELNS1_3gpuE0ELNS1_3repE0EEENS1_30default_config_static_selectorELNS0_4arch9wavefront6targetE0EEEvT1_.kd
    .uniform_work_group_size: 1
    .uses_dynamic_stack: false
    .vgpr_count:     0
    .vgpr_spill_count: 0
    .wavefront_size: 32
    .workgroup_processor_mode: 1
  - .args:
      - .offset:         0
        .size:           144
        .value_kind:     by_value
    .group_segment_fixed_size: 0
    .kernarg_segment_align: 8
    .kernarg_segment_size: 144
    .language:       OpenCL C
    .language_version:
      - 2
      - 0
    .max_flat_workgroup_size: 512
    .name:           _ZN7rocprim17ROCPRIM_400000_NS6detail17trampoline_kernelINS0_14default_configENS1_25partition_config_selectorILNS1_17partition_subalgoE6EN6thrust23THRUST_200600_302600_NS5tupleIffNS7_9null_typeES9_S9_S9_S9_S9_S9_S9_EENS0_10empty_typeEbEEZZNS1_14partition_implILS5_6ELb0ES3_mNS7_12zip_iteratorINS8_INS7_6detail15normal_iteratorINS7_10device_ptrIfEEEESJ_S9_S9_S9_S9_S9_S9_S9_S9_EEEEPSB_SM_NS0_5tupleIJNSE_INS8_ISJ_NS7_16discard_iteratorINS7_11use_defaultEEES9_S9_S9_S9_S9_S9_S9_S9_EEEESB_EEENSN_IJSM_SM_EEESB_PlJNSF_9not_fun_tINSF_14equal_to_valueISA_EEEEEEE10hipError_tPvRmT3_T4_T5_T6_T7_T9_mT8_P12ihipStream_tbDpT10_ENKUlT_T0_E_clISt17integral_constantIbLb1EES1I_IbLb0EEEEDaS1E_S1F_EUlS1E_E_NS1_11comp_targetILNS1_3genE5ELNS1_11target_archE942ELNS1_3gpuE9ELNS1_3repE0EEENS1_30default_config_static_selectorELNS0_4arch9wavefront6targetE0EEEvT1_
    .private_segment_fixed_size: 0
    .sgpr_count:     0
    .sgpr_spill_count: 0
    .symbol:         _ZN7rocprim17ROCPRIM_400000_NS6detail17trampoline_kernelINS0_14default_configENS1_25partition_config_selectorILNS1_17partition_subalgoE6EN6thrust23THRUST_200600_302600_NS5tupleIffNS7_9null_typeES9_S9_S9_S9_S9_S9_S9_EENS0_10empty_typeEbEEZZNS1_14partition_implILS5_6ELb0ES3_mNS7_12zip_iteratorINS8_INS7_6detail15normal_iteratorINS7_10device_ptrIfEEEESJ_S9_S9_S9_S9_S9_S9_S9_S9_EEEEPSB_SM_NS0_5tupleIJNSE_INS8_ISJ_NS7_16discard_iteratorINS7_11use_defaultEEES9_S9_S9_S9_S9_S9_S9_S9_EEEESB_EEENSN_IJSM_SM_EEESB_PlJNSF_9not_fun_tINSF_14equal_to_valueISA_EEEEEEE10hipError_tPvRmT3_T4_T5_T6_T7_T9_mT8_P12ihipStream_tbDpT10_ENKUlT_T0_E_clISt17integral_constantIbLb1EES1I_IbLb0EEEEDaS1E_S1F_EUlS1E_E_NS1_11comp_targetILNS1_3genE5ELNS1_11target_archE942ELNS1_3gpuE9ELNS1_3repE0EEENS1_30default_config_static_selectorELNS0_4arch9wavefront6targetE0EEEvT1_.kd
    .uniform_work_group_size: 1
    .uses_dynamic_stack: false
    .vgpr_count:     0
    .vgpr_spill_count: 0
    .wavefront_size: 32
    .workgroup_processor_mode: 1
  - .args:
      - .offset:         0
        .size:           144
        .value_kind:     by_value
    .group_segment_fixed_size: 0
    .kernarg_segment_align: 8
    .kernarg_segment_size: 144
    .language:       OpenCL C
    .language_version:
      - 2
      - 0
    .max_flat_workgroup_size: 512
    .name:           _ZN7rocprim17ROCPRIM_400000_NS6detail17trampoline_kernelINS0_14default_configENS1_25partition_config_selectorILNS1_17partition_subalgoE6EN6thrust23THRUST_200600_302600_NS5tupleIffNS7_9null_typeES9_S9_S9_S9_S9_S9_S9_EENS0_10empty_typeEbEEZZNS1_14partition_implILS5_6ELb0ES3_mNS7_12zip_iteratorINS8_INS7_6detail15normal_iteratorINS7_10device_ptrIfEEEESJ_S9_S9_S9_S9_S9_S9_S9_S9_EEEEPSB_SM_NS0_5tupleIJNSE_INS8_ISJ_NS7_16discard_iteratorINS7_11use_defaultEEES9_S9_S9_S9_S9_S9_S9_S9_EEEESB_EEENSN_IJSM_SM_EEESB_PlJNSF_9not_fun_tINSF_14equal_to_valueISA_EEEEEEE10hipError_tPvRmT3_T4_T5_T6_T7_T9_mT8_P12ihipStream_tbDpT10_ENKUlT_T0_E_clISt17integral_constantIbLb1EES1I_IbLb0EEEEDaS1E_S1F_EUlS1E_E_NS1_11comp_targetILNS1_3genE4ELNS1_11target_archE910ELNS1_3gpuE8ELNS1_3repE0EEENS1_30default_config_static_selectorELNS0_4arch9wavefront6targetE0EEEvT1_
    .private_segment_fixed_size: 0
    .sgpr_count:     0
    .sgpr_spill_count: 0
    .symbol:         _ZN7rocprim17ROCPRIM_400000_NS6detail17trampoline_kernelINS0_14default_configENS1_25partition_config_selectorILNS1_17partition_subalgoE6EN6thrust23THRUST_200600_302600_NS5tupleIffNS7_9null_typeES9_S9_S9_S9_S9_S9_S9_EENS0_10empty_typeEbEEZZNS1_14partition_implILS5_6ELb0ES3_mNS7_12zip_iteratorINS8_INS7_6detail15normal_iteratorINS7_10device_ptrIfEEEESJ_S9_S9_S9_S9_S9_S9_S9_S9_EEEEPSB_SM_NS0_5tupleIJNSE_INS8_ISJ_NS7_16discard_iteratorINS7_11use_defaultEEES9_S9_S9_S9_S9_S9_S9_S9_EEEESB_EEENSN_IJSM_SM_EEESB_PlJNSF_9not_fun_tINSF_14equal_to_valueISA_EEEEEEE10hipError_tPvRmT3_T4_T5_T6_T7_T9_mT8_P12ihipStream_tbDpT10_ENKUlT_T0_E_clISt17integral_constantIbLb1EES1I_IbLb0EEEEDaS1E_S1F_EUlS1E_E_NS1_11comp_targetILNS1_3genE4ELNS1_11target_archE910ELNS1_3gpuE8ELNS1_3repE0EEENS1_30default_config_static_selectorELNS0_4arch9wavefront6targetE0EEEvT1_.kd
    .uniform_work_group_size: 1
    .uses_dynamic_stack: false
    .vgpr_count:     0
    .vgpr_spill_count: 0
    .wavefront_size: 32
    .workgroup_processor_mode: 1
  - .args:
      - .offset:         0
        .size:           144
        .value_kind:     by_value
    .group_segment_fixed_size: 0
    .kernarg_segment_align: 8
    .kernarg_segment_size: 144
    .language:       OpenCL C
    .language_version:
      - 2
      - 0
    .max_flat_workgroup_size: 128
    .name:           _ZN7rocprim17ROCPRIM_400000_NS6detail17trampoline_kernelINS0_14default_configENS1_25partition_config_selectorILNS1_17partition_subalgoE6EN6thrust23THRUST_200600_302600_NS5tupleIffNS7_9null_typeES9_S9_S9_S9_S9_S9_S9_EENS0_10empty_typeEbEEZZNS1_14partition_implILS5_6ELb0ES3_mNS7_12zip_iteratorINS8_INS7_6detail15normal_iteratorINS7_10device_ptrIfEEEESJ_S9_S9_S9_S9_S9_S9_S9_S9_EEEEPSB_SM_NS0_5tupleIJNSE_INS8_ISJ_NS7_16discard_iteratorINS7_11use_defaultEEES9_S9_S9_S9_S9_S9_S9_S9_EEEESB_EEENSN_IJSM_SM_EEESB_PlJNSF_9not_fun_tINSF_14equal_to_valueISA_EEEEEEE10hipError_tPvRmT3_T4_T5_T6_T7_T9_mT8_P12ihipStream_tbDpT10_ENKUlT_T0_E_clISt17integral_constantIbLb1EES1I_IbLb0EEEEDaS1E_S1F_EUlS1E_E_NS1_11comp_targetILNS1_3genE3ELNS1_11target_archE908ELNS1_3gpuE7ELNS1_3repE0EEENS1_30default_config_static_selectorELNS0_4arch9wavefront6targetE0EEEvT1_
    .private_segment_fixed_size: 0
    .sgpr_count:     0
    .sgpr_spill_count: 0
    .symbol:         _ZN7rocprim17ROCPRIM_400000_NS6detail17trampoline_kernelINS0_14default_configENS1_25partition_config_selectorILNS1_17partition_subalgoE6EN6thrust23THRUST_200600_302600_NS5tupleIffNS7_9null_typeES9_S9_S9_S9_S9_S9_S9_EENS0_10empty_typeEbEEZZNS1_14partition_implILS5_6ELb0ES3_mNS7_12zip_iteratorINS8_INS7_6detail15normal_iteratorINS7_10device_ptrIfEEEESJ_S9_S9_S9_S9_S9_S9_S9_S9_EEEEPSB_SM_NS0_5tupleIJNSE_INS8_ISJ_NS7_16discard_iteratorINS7_11use_defaultEEES9_S9_S9_S9_S9_S9_S9_S9_EEEESB_EEENSN_IJSM_SM_EEESB_PlJNSF_9not_fun_tINSF_14equal_to_valueISA_EEEEEEE10hipError_tPvRmT3_T4_T5_T6_T7_T9_mT8_P12ihipStream_tbDpT10_ENKUlT_T0_E_clISt17integral_constantIbLb1EES1I_IbLb0EEEEDaS1E_S1F_EUlS1E_E_NS1_11comp_targetILNS1_3genE3ELNS1_11target_archE908ELNS1_3gpuE7ELNS1_3repE0EEENS1_30default_config_static_selectorELNS0_4arch9wavefront6targetE0EEEvT1_.kd
    .uniform_work_group_size: 1
    .uses_dynamic_stack: false
    .vgpr_count:     0
    .vgpr_spill_count: 0
    .wavefront_size: 32
    .workgroup_processor_mode: 1
  - .args:
      - .offset:         0
        .size:           144
        .value_kind:     by_value
    .group_segment_fixed_size: 0
    .kernarg_segment_align: 8
    .kernarg_segment_size: 144
    .language:       OpenCL C
    .language_version:
      - 2
      - 0
    .max_flat_workgroup_size: 256
    .name:           _ZN7rocprim17ROCPRIM_400000_NS6detail17trampoline_kernelINS0_14default_configENS1_25partition_config_selectorILNS1_17partition_subalgoE6EN6thrust23THRUST_200600_302600_NS5tupleIffNS7_9null_typeES9_S9_S9_S9_S9_S9_S9_EENS0_10empty_typeEbEEZZNS1_14partition_implILS5_6ELb0ES3_mNS7_12zip_iteratorINS8_INS7_6detail15normal_iteratorINS7_10device_ptrIfEEEESJ_S9_S9_S9_S9_S9_S9_S9_S9_EEEEPSB_SM_NS0_5tupleIJNSE_INS8_ISJ_NS7_16discard_iteratorINS7_11use_defaultEEES9_S9_S9_S9_S9_S9_S9_S9_EEEESB_EEENSN_IJSM_SM_EEESB_PlJNSF_9not_fun_tINSF_14equal_to_valueISA_EEEEEEE10hipError_tPvRmT3_T4_T5_T6_T7_T9_mT8_P12ihipStream_tbDpT10_ENKUlT_T0_E_clISt17integral_constantIbLb1EES1I_IbLb0EEEEDaS1E_S1F_EUlS1E_E_NS1_11comp_targetILNS1_3genE2ELNS1_11target_archE906ELNS1_3gpuE6ELNS1_3repE0EEENS1_30default_config_static_selectorELNS0_4arch9wavefront6targetE0EEEvT1_
    .private_segment_fixed_size: 0
    .sgpr_count:     0
    .sgpr_spill_count: 0
    .symbol:         _ZN7rocprim17ROCPRIM_400000_NS6detail17trampoline_kernelINS0_14default_configENS1_25partition_config_selectorILNS1_17partition_subalgoE6EN6thrust23THRUST_200600_302600_NS5tupleIffNS7_9null_typeES9_S9_S9_S9_S9_S9_S9_EENS0_10empty_typeEbEEZZNS1_14partition_implILS5_6ELb0ES3_mNS7_12zip_iteratorINS8_INS7_6detail15normal_iteratorINS7_10device_ptrIfEEEESJ_S9_S9_S9_S9_S9_S9_S9_S9_EEEEPSB_SM_NS0_5tupleIJNSE_INS8_ISJ_NS7_16discard_iteratorINS7_11use_defaultEEES9_S9_S9_S9_S9_S9_S9_S9_EEEESB_EEENSN_IJSM_SM_EEESB_PlJNSF_9not_fun_tINSF_14equal_to_valueISA_EEEEEEE10hipError_tPvRmT3_T4_T5_T6_T7_T9_mT8_P12ihipStream_tbDpT10_ENKUlT_T0_E_clISt17integral_constantIbLb1EES1I_IbLb0EEEEDaS1E_S1F_EUlS1E_E_NS1_11comp_targetILNS1_3genE2ELNS1_11target_archE906ELNS1_3gpuE6ELNS1_3repE0EEENS1_30default_config_static_selectorELNS0_4arch9wavefront6targetE0EEEvT1_.kd
    .uniform_work_group_size: 1
    .uses_dynamic_stack: false
    .vgpr_count:     0
    .vgpr_spill_count: 0
    .wavefront_size: 32
    .workgroup_processor_mode: 1
  - .args:
      - .offset:         0
        .size:           144
        .value_kind:     by_value
    .group_segment_fixed_size: 0
    .kernarg_segment_align: 8
    .kernarg_segment_size: 144
    .language:       OpenCL C
    .language_version:
      - 2
      - 0
    .max_flat_workgroup_size: 256
    .name:           _ZN7rocprim17ROCPRIM_400000_NS6detail17trampoline_kernelINS0_14default_configENS1_25partition_config_selectorILNS1_17partition_subalgoE6EN6thrust23THRUST_200600_302600_NS5tupleIffNS7_9null_typeES9_S9_S9_S9_S9_S9_S9_EENS0_10empty_typeEbEEZZNS1_14partition_implILS5_6ELb0ES3_mNS7_12zip_iteratorINS8_INS7_6detail15normal_iteratorINS7_10device_ptrIfEEEESJ_S9_S9_S9_S9_S9_S9_S9_S9_EEEEPSB_SM_NS0_5tupleIJNSE_INS8_ISJ_NS7_16discard_iteratorINS7_11use_defaultEEES9_S9_S9_S9_S9_S9_S9_S9_EEEESB_EEENSN_IJSM_SM_EEESB_PlJNSF_9not_fun_tINSF_14equal_to_valueISA_EEEEEEE10hipError_tPvRmT3_T4_T5_T6_T7_T9_mT8_P12ihipStream_tbDpT10_ENKUlT_T0_E_clISt17integral_constantIbLb1EES1I_IbLb0EEEEDaS1E_S1F_EUlS1E_E_NS1_11comp_targetILNS1_3genE10ELNS1_11target_archE1200ELNS1_3gpuE4ELNS1_3repE0EEENS1_30default_config_static_selectorELNS0_4arch9wavefront6targetE0EEEvT1_
    .private_segment_fixed_size: 0
    .sgpr_count:     0
    .sgpr_spill_count: 0
    .symbol:         _ZN7rocprim17ROCPRIM_400000_NS6detail17trampoline_kernelINS0_14default_configENS1_25partition_config_selectorILNS1_17partition_subalgoE6EN6thrust23THRUST_200600_302600_NS5tupleIffNS7_9null_typeES9_S9_S9_S9_S9_S9_S9_EENS0_10empty_typeEbEEZZNS1_14partition_implILS5_6ELb0ES3_mNS7_12zip_iteratorINS8_INS7_6detail15normal_iteratorINS7_10device_ptrIfEEEESJ_S9_S9_S9_S9_S9_S9_S9_S9_EEEEPSB_SM_NS0_5tupleIJNSE_INS8_ISJ_NS7_16discard_iteratorINS7_11use_defaultEEES9_S9_S9_S9_S9_S9_S9_S9_EEEESB_EEENSN_IJSM_SM_EEESB_PlJNSF_9not_fun_tINSF_14equal_to_valueISA_EEEEEEE10hipError_tPvRmT3_T4_T5_T6_T7_T9_mT8_P12ihipStream_tbDpT10_ENKUlT_T0_E_clISt17integral_constantIbLb1EES1I_IbLb0EEEEDaS1E_S1F_EUlS1E_E_NS1_11comp_targetILNS1_3genE10ELNS1_11target_archE1200ELNS1_3gpuE4ELNS1_3repE0EEENS1_30default_config_static_selectorELNS0_4arch9wavefront6targetE0EEEvT1_.kd
    .uniform_work_group_size: 1
    .uses_dynamic_stack: false
    .vgpr_count:     0
    .vgpr_spill_count: 0
    .wavefront_size: 32
    .workgroup_processor_mode: 1
  - .args:
      - .offset:         0
        .size:           144
        .value_kind:     by_value
    .group_segment_fixed_size: 0
    .kernarg_segment_align: 8
    .kernarg_segment_size: 144
    .language:       OpenCL C
    .language_version:
      - 2
      - 0
    .max_flat_workgroup_size: 384
    .name:           _ZN7rocprim17ROCPRIM_400000_NS6detail17trampoline_kernelINS0_14default_configENS1_25partition_config_selectorILNS1_17partition_subalgoE6EN6thrust23THRUST_200600_302600_NS5tupleIffNS7_9null_typeES9_S9_S9_S9_S9_S9_S9_EENS0_10empty_typeEbEEZZNS1_14partition_implILS5_6ELb0ES3_mNS7_12zip_iteratorINS8_INS7_6detail15normal_iteratorINS7_10device_ptrIfEEEESJ_S9_S9_S9_S9_S9_S9_S9_S9_EEEEPSB_SM_NS0_5tupleIJNSE_INS8_ISJ_NS7_16discard_iteratorINS7_11use_defaultEEES9_S9_S9_S9_S9_S9_S9_S9_EEEESB_EEENSN_IJSM_SM_EEESB_PlJNSF_9not_fun_tINSF_14equal_to_valueISA_EEEEEEE10hipError_tPvRmT3_T4_T5_T6_T7_T9_mT8_P12ihipStream_tbDpT10_ENKUlT_T0_E_clISt17integral_constantIbLb1EES1I_IbLb0EEEEDaS1E_S1F_EUlS1E_E_NS1_11comp_targetILNS1_3genE9ELNS1_11target_archE1100ELNS1_3gpuE3ELNS1_3repE0EEENS1_30default_config_static_selectorELNS0_4arch9wavefront6targetE0EEEvT1_
    .private_segment_fixed_size: 0
    .sgpr_count:     0
    .sgpr_spill_count: 0
    .symbol:         _ZN7rocprim17ROCPRIM_400000_NS6detail17trampoline_kernelINS0_14default_configENS1_25partition_config_selectorILNS1_17partition_subalgoE6EN6thrust23THRUST_200600_302600_NS5tupleIffNS7_9null_typeES9_S9_S9_S9_S9_S9_S9_EENS0_10empty_typeEbEEZZNS1_14partition_implILS5_6ELb0ES3_mNS7_12zip_iteratorINS8_INS7_6detail15normal_iteratorINS7_10device_ptrIfEEEESJ_S9_S9_S9_S9_S9_S9_S9_S9_EEEEPSB_SM_NS0_5tupleIJNSE_INS8_ISJ_NS7_16discard_iteratorINS7_11use_defaultEEES9_S9_S9_S9_S9_S9_S9_S9_EEEESB_EEENSN_IJSM_SM_EEESB_PlJNSF_9not_fun_tINSF_14equal_to_valueISA_EEEEEEE10hipError_tPvRmT3_T4_T5_T6_T7_T9_mT8_P12ihipStream_tbDpT10_ENKUlT_T0_E_clISt17integral_constantIbLb1EES1I_IbLb0EEEEDaS1E_S1F_EUlS1E_E_NS1_11comp_targetILNS1_3genE9ELNS1_11target_archE1100ELNS1_3gpuE3ELNS1_3repE0EEENS1_30default_config_static_selectorELNS0_4arch9wavefront6targetE0EEEvT1_.kd
    .uniform_work_group_size: 1
    .uses_dynamic_stack: false
    .vgpr_count:     0
    .vgpr_spill_count: 0
    .wavefront_size: 32
    .workgroup_processor_mode: 1
  - .args:
      - .offset:         0
        .size:           144
        .value_kind:     by_value
    .group_segment_fixed_size: 0
    .kernarg_segment_align: 8
    .kernarg_segment_size: 144
    .language:       OpenCL C
    .language_version:
      - 2
      - 0
    .max_flat_workgroup_size: 512
    .name:           _ZN7rocprim17ROCPRIM_400000_NS6detail17trampoline_kernelINS0_14default_configENS1_25partition_config_selectorILNS1_17partition_subalgoE6EN6thrust23THRUST_200600_302600_NS5tupleIffNS7_9null_typeES9_S9_S9_S9_S9_S9_S9_EENS0_10empty_typeEbEEZZNS1_14partition_implILS5_6ELb0ES3_mNS7_12zip_iteratorINS8_INS7_6detail15normal_iteratorINS7_10device_ptrIfEEEESJ_S9_S9_S9_S9_S9_S9_S9_S9_EEEEPSB_SM_NS0_5tupleIJNSE_INS8_ISJ_NS7_16discard_iteratorINS7_11use_defaultEEES9_S9_S9_S9_S9_S9_S9_S9_EEEESB_EEENSN_IJSM_SM_EEESB_PlJNSF_9not_fun_tINSF_14equal_to_valueISA_EEEEEEE10hipError_tPvRmT3_T4_T5_T6_T7_T9_mT8_P12ihipStream_tbDpT10_ENKUlT_T0_E_clISt17integral_constantIbLb1EES1I_IbLb0EEEEDaS1E_S1F_EUlS1E_E_NS1_11comp_targetILNS1_3genE8ELNS1_11target_archE1030ELNS1_3gpuE2ELNS1_3repE0EEENS1_30default_config_static_selectorELNS0_4arch9wavefront6targetE0EEEvT1_
    .private_segment_fixed_size: 0
    .sgpr_count:     0
    .sgpr_spill_count: 0
    .symbol:         _ZN7rocprim17ROCPRIM_400000_NS6detail17trampoline_kernelINS0_14default_configENS1_25partition_config_selectorILNS1_17partition_subalgoE6EN6thrust23THRUST_200600_302600_NS5tupleIffNS7_9null_typeES9_S9_S9_S9_S9_S9_S9_EENS0_10empty_typeEbEEZZNS1_14partition_implILS5_6ELb0ES3_mNS7_12zip_iteratorINS8_INS7_6detail15normal_iteratorINS7_10device_ptrIfEEEESJ_S9_S9_S9_S9_S9_S9_S9_S9_EEEEPSB_SM_NS0_5tupleIJNSE_INS8_ISJ_NS7_16discard_iteratorINS7_11use_defaultEEES9_S9_S9_S9_S9_S9_S9_S9_EEEESB_EEENSN_IJSM_SM_EEESB_PlJNSF_9not_fun_tINSF_14equal_to_valueISA_EEEEEEE10hipError_tPvRmT3_T4_T5_T6_T7_T9_mT8_P12ihipStream_tbDpT10_ENKUlT_T0_E_clISt17integral_constantIbLb1EES1I_IbLb0EEEEDaS1E_S1F_EUlS1E_E_NS1_11comp_targetILNS1_3genE8ELNS1_11target_archE1030ELNS1_3gpuE2ELNS1_3repE0EEENS1_30default_config_static_selectorELNS0_4arch9wavefront6targetE0EEEvT1_.kd
    .uniform_work_group_size: 1
    .uses_dynamic_stack: false
    .vgpr_count:     0
    .vgpr_spill_count: 0
    .wavefront_size: 32
    .workgroup_processor_mode: 1
  - .args:
      - .offset:         0
        .size:           152
        .value_kind:     by_value
    .group_segment_fixed_size: 0
    .kernarg_segment_align: 8
    .kernarg_segment_size: 152
    .language:       OpenCL C
    .language_version:
      - 2
      - 0
    .max_flat_workgroup_size: 128
    .name:           _ZN7rocprim17ROCPRIM_400000_NS6detail17trampoline_kernelINS0_14default_configENS1_25partition_config_selectorILNS1_17partition_subalgoE6EN6thrust23THRUST_200600_302600_NS5tupleIffNS7_9null_typeES9_S9_S9_S9_S9_S9_S9_EENS0_10empty_typeEbEEZZNS1_14partition_implILS5_6ELb0ES3_mNS7_12zip_iteratorINS8_INS7_6detail15normal_iteratorINS7_10device_ptrIfEEEESJ_S9_S9_S9_S9_S9_S9_S9_S9_EEEEPSB_SM_NS0_5tupleIJNSE_INS8_ISJ_NS7_16discard_iteratorINS7_11use_defaultEEES9_S9_S9_S9_S9_S9_S9_S9_EEEESB_EEENSN_IJSM_SM_EEESB_PlJNSF_9not_fun_tINSF_14equal_to_valueISA_EEEEEEE10hipError_tPvRmT3_T4_T5_T6_T7_T9_mT8_P12ihipStream_tbDpT10_ENKUlT_T0_E_clISt17integral_constantIbLb0EES1I_IbLb1EEEEDaS1E_S1F_EUlS1E_E_NS1_11comp_targetILNS1_3genE0ELNS1_11target_archE4294967295ELNS1_3gpuE0ELNS1_3repE0EEENS1_30default_config_static_selectorELNS0_4arch9wavefront6targetE0EEEvT1_
    .private_segment_fixed_size: 0
    .sgpr_count:     0
    .sgpr_spill_count: 0
    .symbol:         _ZN7rocprim17ROCPRIM_400000_NS6detail17trampoline_kernelINS0_14default_configENS1_25partition_config_selectorILNS1_17partition_subalgoE6EN6thrust23THRUST_200600_302600_NS5tupleIffNS7_9null_typeES9_S9_S9_S9_S9_S9_S9_EENS0_10empty_typeEbEEZZNS1_14partition_implILS5_6ELb0ES3_mNS7_12zip_iteratorINS8_INS7_6detail15normal_iteratorINS7_10device_ptrIfEEEESJ_S9_S9_S9_S9_S9_S9_S9_S9_EEEEPSB_SM_NS0_5tupleIJNSE_INS8_ISJ_NS7_16discard_iteratorINS7_11use_defaultEEES9_S9_S9_S9_S9_S9_S9_S9_EEEESB_EEENSN_IJSM_SM_EEESB_PlJNSF_9not_fun_tINSF_14equal_to_valueISA_EEEEEEE10hipError_tPvRmT3_T4_T5_T6_T7_T9_mT8_P12ihipStream_tbDpT10_ENKUlT_T0_E_clISt17integral_constantIbLb0EES1I_IbLb1EEEEDaS1E_S1F_EUlS1E_E_NS1_11comp_targetILNS1_3genE0ELNS1_11target_archE4294967295ELNS1_3gpuE0ELNS1_3repE0EEENS1_30default_config_static_selectorELNS0_4arch9wavefront6targetE0EEEvT1_.kd
    .uniform_work_group_size: 1
    .uses_dynamic_stack: false
    .vgpr_count:     0
    .vgpr_spill_count: 0
    .wavefront_size: 32
    .workgroup_processor_mode: 1
  - .args:
      - .offset:         0
        .size:           152
        .value_kind:     by_value
    .group_segment_fixed_size: 0
    .kernarg_segment_align: 8
    .kernarg_segment_size: 152
    .language:       OpenCL C
    .language_version:
      - 2
      - 0
    .max_flat_workgroup_size: 512
    .name:           _ZN7rocprim17ROCPRIM_400000_NS6detail17trampoline_kernelINS0_14default_configENS1_25partition_config_selectorILNS1_17partition_subalgoE6EN6thrust23THRUST_200600_302600_NS5tupleIffNS7_9null_typeES9_S9_S9_S9_S9_S9_S9_EENS0_10empty_typeEbEEZZNS1_14partition_implILS5_6ELb0ES3_mNS7_12zip_iteratorINS8_INS7_6detail15normal_iteratorINS7_10device_ptrIfEEEESJ_S9_S9_S9_S9_S9_S9_S9_S9_EEEEPSB_SM_NS0_5tupleIJNSE_INS8_ISJ_NS7_16discard_iteratorINS7_11use_defaultEEES9_S9_S9_S9_S9_S9_S9_S9_EEEESB_EEENSN_IJSM_SM_EEESB_PlJNSF_9not_fun_tINSF_14equal_to_valueISA_EEEEEEE10hipError_tPvRmT3_T4_T5_T6_T7_T9_mT8_P12ihipStream_tbDpT10_ENKUlT_T0_E_clISt17integral_constantIbLb0EES1I_IbLb1EEEEDaS1E_S1F_EUlS1E_E_NS1_11comp_targetILNS1_3genE5ELNS1_11target_archE942ELNS1_3gpuE9ELNS1_3repE0EEENS1_30default_config_static_selectorELNS0_4arch9wavefront6targetE0EEEvT1_
    .private_segment_fixed_size: 0
    .sgpr_count:     0
    .sgpr_spill_count: 0
    .symbol:         _ZN7rocprim17ROCPRIM_400000_NS6detail17trampoline_kernelINS0_14default_configENS1_25partition_config_selectorILNS1_17partition_subalgoE6EN6thrust23THRUST_200600_302600_NS5tupleIffNS7_9null_typeES9_S9_S9_S9_S9_S9_S9_EENS0_10empty_typeEbEEZZNS1_14partition_implILS5_6ELb0ES3_mNS7_12zip_iteratorINS8_INS7_6detail15normal_iteratorINS7_10device_ptrIfEEEESJ_S9_S9_S9_S9_S9_S9_S9_S9_EEEEPSB_SM_NS0_5tupleIJNSE_INS8_ISJ_NS7_16discard_iteratorINS7_11use_defaultEEES9_S9_S9_S9_S9_S9_S9_S9_EEEESB_EEENSN_IJSM_SM_EEESB_PlJNSF_9not_fun_tINSF_14equal_to_valueISA_EEEEEEE10hipError_tPvRmT3_T4_T5_T6_T7_T9_mT8_P12ihipStream_tbDpT10_ENKUlT_T0_E_clISt17integral_constantIbLb0EES1I_IbLb1EEEEDaS1E_S1F_EUlS1E_E_NS1_11comp_targetILNS1_3genE5ELNS1_11target_archE942ELNS1_3gpuE9ELNS1_3repE0EEENS1_30default_config_static_selectorELNS0_4arch9wavefront6targetE0EEEvT1_.kd
    .uniform_work_group_size: 1
    .uses_dynamic_stack: false
    .vgpr_count:     0
    .vgpr_spill_count: 0
    .wavefront_size: 32
    .workgroup_processor_mode: 1
  - .args:
      - .offset:         0
        .size:           152
        .value_kind:     by_value
    .group_segment_fixed_size: 0
    .kernarg_segment_align: 8
    .kernarg_segment_size: 152
    .language:       OpenCL C
    .language_version:
      - 2
      - 0
    .max_flat_workgroup_size: 512
    .name:           _ZN7rocprim17ROCPRIM_400000_NS6detail17trampoline_kernelINS0_14default_configENS1_25partition_config_selectorILNS1_17partition_subalgoE6EN6thrust23THRUST_200600_302600_NS5tupleIffNS7_9null_typeES9_S9_S9_S9_S9_S9_S9_EENS0_10empty_typeEbEEZZNS1_14partition_implILS5_6ELb0ES3_mNS7_12zip_iteratorINS8_INS7_6detail15normal_iteratorINS7_10device_ptrIfEEEESJ_S9_S9_S9_S9_S9_S9_S9_S9_EEEEPSB_SM_NS0_5tupleIJNSE_INS8_ISJ_NS7_16discard_iteratorINS7_11use_defaultEEES9_S9_S9_S9_S9_S9_S9_S9_EEEESB_EEENSN_IJSM_SM_EEESB_PlJNSF_9not_fun_tINSF_14equal_to_valueISA_EEEEEEE10hipError_tPvRmT3_T4_T5_T6_T7_T9_mT8_P12ihipStream_tbDpT10_ENKUlT_T0_E_clISt17integral_constantIbLb0EES1I_IbLb1EEEEDaS1E_S1F_EUlS1E_E_NS1_11comp_targetILNS1_3genE4ELNS1_11target_archE910ELNS1_3gpuE8ELNS1_3repE0EEENS1_30default_config_static_selectorELNS0_4arch9wavefront6targetE0EEEvT1_
    .private_segment_fixed_size: 0
    .sgpr_count:     0
    .sgpr_spill_count: 0
    .symbol:         _ZN7rocprim17ROCPRIM_400000_NS6detail17trampoline_kernelINS0_14default_configENS1_25partition_config_selectorILNS1_17partition_subalgoE6EN6thrust23THRUST_200600_302600_NS5tupleIffNS7_9null_typeES9_S9_S9_S9_S9_S9_S9_EENS0_10empty_typeEbEEZZNS1_14partition_implILS5_6ELb0ES3_mNS7_12zip_iteratorINS8_INS7_6detail15normal_iteratorINS7_10device_ptrIfEEEESJ_S9_S9_S9_S9_S9_S9_S9_S9_EEEEPSB_SM_NS0_5tupleIJNSE_INS8_ISJ_NS7_16discard_iteratorINS7_11use_defaultEEES9_S9_S9_S9_S9_S9_S9_S9_EEEESB_EEENSN_IJSM_SM_EEESB_PlJNSF_9not_fun_tINSF_14equal_to_valueISA_EEEEEEE10hipError_tPvRmT3_T4_T5_T6_T7_T9_mT8_P12ihipStream_tbDpT10_ENKUlT_T0_E_clISt17integral_constantIbLb0EES1I_IbLb1EEEEDaS1E_S1F_EUlS1E_E_NS1_11comp_targetILNS1_3genE4ELNS1_11target_archE910ELNS1_3gpuE8ELNS1_3repE0EEENS1_30default_config_static_selectorELNS0_4arch9wavefront6targetE0EEEvT1_.kd
    .uniform_work_group_size: 1
    .uses_dynamic_stack: false
    .vgpr_count:     0
    .vgpr_spill_count: 0
    .wavefront_size: 32
    .workgroup_processor_mode: 1
  - .args:
      - .offset:         0
        .size:           152
        .value_kind:     by_value
    .group_segment_fixed_size: 0
    .kernarg_segment_align: 8
    .kernarg_segment_size: 152
    .language:       OpenCL C
    .language_version:
      - 2
      - 0
    .max_flat_workgroup_size: 128
    .name:           _ZN7rocprim17ROCPRIM_400000_NS6detail17trampoline_kernelINS0_14default_configENS1_25partition_config_selectorILNS1_17partition_subalgoE6EN6thrust23THRUST_200600_302600_NS5tupleIffNS7_9null_typeES9_S9_S9_S9_S9_S9_S9_EENS0_10empty_typeEbEEZZNS1_14partition_implILS5_6ELb0ES3_mNS7_12zip_iteratorINS8_INS7_6detail15normal_iteratorINS7_10device_ptrIfEEEESJ_S9_S9_S9_S9_S9_S9_S9_S9_EEEEPSB_SM_NS0_5tupleIJNSE_INS8_ISJ_NS7_16discard_iteratorINS7_11use_defaultEEES9_S9_S9_S9_S9_S9_S9_S9_EEEESB_EEENSN_IJSM_SM_EEESB_PlJNSF_9not_fun_tINSF_14equal_to_valueISA_EEEEEEE10hipError_tPvRmT3_T4_T5_T6_T7_T9_mT8_P12ihipStream_tbDpT10_ENKUlT_T0_E_clISt17integral_constantIbLb0EES1I_IbLb1EEEEDaS1E_S1F_EUlS1E_E_NS1_11comp_targetILNS1_3genE3ELNS1_11target_archE908ELNS1_3gpuE7ELNS1_3repE0EEENS1_30default_config_static_selectorELNS0_4arch9wavefront6targetE0EEEvT1_
    .private_segment_fixed_size: 0
    .sgpr_count:     0
    .sgpr_spill_count: 0
    .symbol:         _ZN7rocprim17ROCPRIM_400000_NS6detail17trampoline_kernelINS0_14default_configENS1_25partition_config_selectorILNS1_17partition_subalgoE6EN6thrust23THRUST_200600_302600_NS5tupleIffNS7_9null_typeES9_S9_S9_S9_S9_S9_S9_EENS0_10empty_typeEbEEZZNS1_14partition_implILS5_6ELb0ES3_mNS7_12zip_iteratorINS8_INS7_6detail15normal_iteratorINS7_10device_ptrIfEEEESJ_S9_S9_S9_S9_S9_S9_S9_S9_EEEEPSB_SM_NS0_5tupleIJNSE_INS8_ISJ_NS7_16discard_iteratorINS7_11use_defaultEEES9_S9_S9_S9_S9_S9_S9_S9_EEEESB_EEENSN_IJSM_SM_EEESB_PlJNSF_9not_fun_tINSF_14equal_to_valueISA_EEEEEEE10hipError_tPvRmT3_T4_T5_T6_T7_T9_mT8_P12ihipStream_tbDpT10_ENKUlT_T0_E_clISt17integral_constantIbLb0EES1I_IbLb1EEEEDaS1E_S1F_EUlS1E_E_NS1_11comp_targetILNS1_3genE3ELNS1_11target_archE908ELNS1_3gpuE7ELNS1_3repE0EEENS1_30default_config_static_selectorELNS0_4arch9wavefront6targetE0EEEvT1_.kd
    .uniform_work_group_size: 1
    .uses_dynamic_stack: false
    .vgpr_count:     0
    .vgpr_spill_count: 0
    .wavefront_size: 32
    .workgroup_processor_mode: 1
  - .args:
      - .offset:         0
        .size:           152
        .value_kind:     by_value
    .group_segment_fixed_size: 0
    .kernarg_segment_align: 8
    .kernarg_segment_size: 152
    .language:       OpenCL C
    .language_version:
      - 2
      - 0
    .max_flat_workgroup_size: 256
    .name:           _ZN7rocprim17ROCPRIM_400000_NS6detail17trampoline_kernelINS0_14default_configENS1_25partition_config_selectorILNS1_17partition_subalgoE6EN6thrust23THRUST_200600_302600_NS5tupleIffNS7_9null_typeES9_S9_S9_S9_S9_S9_S9_EENS0_10empty_typeEbEEZZNS1_14partition_implILS5_6ELb0ES3_mNS7_12zip_iteratorINS8_INS7_6detail15normal_iteratorINS7_10device_ptrIfEEEESJ_S9_S9_S9_S9_S9_S9_S9_S9_EEEEPSB_SM_NS0_5tupleIJNSE_INS8_ISJ_NS7_16discard_iteratorINS7_11use_defaultEEES9_S9_S9_S9_S9_S9_S9_S9_EEEESB_EEENSN_IJSM_SM_EEESB_PlJNSF_9not_fun_tINSF_14equal_to_valueISA_EEEEEEE10hipError_tPvRmT3_T4_T5_T6_T7_T9_mT8_P12ihipStream_tbDpT10_ENKUlT_T0_E_clISt17integral_constantIbLb0EES1I_IbLb1EEEEDaS1E_S1F_EUlS1E_E_NS1_11comp_targetILNS1_3genE2ELNS1_11target_archE906ELNS1_3gpuE6ELNS1_3repE0EEENS1_30default_config_static_selectorELNS0_4arch9wavefront6targetE0EEEvT1_
    .private_segment_fixed_size: 0
    .sgpr_count:     0
    .sgpr_spill_count: 0
    .symbol:         _ZN7rocprim17ROCPRIM_400000_NS6detail17trampoline_kernelINS0_14default_configENS1_25partition_config_selectorILNS1_17partition_subalgoE6EN6thrust23THRUST_200600_302600_NS5tupleIffNS7_9null_typeES9_S9_S9_S9_S9_S9_S9_EENS0_10empty_typeEbEEZZNS1_14partition_implILS5_6ELb0ES3_mNS7_12zip_iteratorINS8_INS7_6detail15normal_iteratorINS7_10device_ptrIfEEEESJ_S9_S9_S9_S9_S9_S9_S9_S9_EEEEPSB_SM_NS0_5tupleIJNSE_INS8_ISJ_NS7_16discard_iteratorINS7_11use_defaultEEES9_S9_S9_S9_S9_S9_S9_S9_EEEESB_EEENSN_IJSM_SM_EEESB_PlJNSF_9not_fun_tINSF_14equal_to_valueISA_EEEEEEE10hipError_tPvRmT3_T4_T5_T6_T7_T9_mT8_P12ihipStream_tbDpT10_ENKUlT_T0_E_clISt17integral_constantIbLb0EES1I_IbLb1EEEEDaS1E_S1F_EUlS1E_E_NS1_11comp_targetILNS1_3genE2ELNS1_11target_archE906ELNS1_3gpuE6ELNS1_3repE0EEENS1_30default_config_static_selectorELNS0_4arch9wavefront6targetE0EEEvT1_.kd
    .uniform_work_group_size: 1
    .uses_dynamic_stack: false
    .vgpr_count:     0
    .vgpr_spill_count: 0
    .wavefront_size: 32
    .workgroup_processor_mode: 1
  - .args:
      - .offset:         0
        .size:           152
        .value_kind:     by_value
    .group_segment_fixed_size: 8464
    .kernarg_segment_align: 8
    .kernarg_segment_size: 152
    .language:       OpenCL C
    .language_version:
      - 2
      - 0
    .max_flat_workgroup_size: 256
    .name:           _ZN7rocprim17ROCPRIM_400000_NS6detail17trampoline_kernelINS0_14default_configENS1_25partition_config_selectorILNS1_17partition_subalgoE6EN6thrust23THRUST_200600_302600_NS5tupleIffNS7_9null_typeES9_S9_S9_S9_S9_S9_S9_EENS0_10empty_typeEbEEZZNS1_14partition_implILS5_6ELb0ES3_mNS7_12zip_iteratorINS8_INS7_6detail15normal_iteratorINS7_10device_ptrIfEEEESJ_S9_S9_S9_S9_S9_S9_S9_S9_EEEEPSB_SM_NS0_5tupleIJNSE_INS8_ISJ_NS7_16discard_iteratorINS7_11use_defaultEEES9_S9_S9_S9_S9_S9_S9_S9_EEEESB_EEENSN_IJSM_SM_EEESB_PlJNSF_9not_fun_tINSF_14equal_to_valueISA_EEEEEEE10hipError_tPvRmT3_T4_T5_T6_T7_T9_mT8_P12ihipStream_tbDpT10_ENKUlT_T0_E_clISt17integral_constantIbLb0EES1I_IbLb1EEEEDaS1E_S1F_EUlS1E_E_NS1_11comp_targetILNS1_3genE10ELNS1_11target_archE1200ELNS1_3gpuE4ELNS1_3repE0EEENS1_30default_config_static_selectorELNS0_4arch9wavefront6targetE0EEEvT1_
    .private_segment_fixed_size: 0
    .sgpr_count:     28
    .sgpr_spill_count: 0
    .symbol:         _ZN7rocprim17ROCPRIM_400000_NS6detail17trampoline_kernelINS0_14default_configENS1_25partition_config_selectorILNS1_17partition_subalgoE6EN6thrust23THRUST_200600_302600_NS5tupleIffNS7_9null_typeES9_S9_S9_S9_S9_S9_S9_EENS0_10empty_typeEbEEZZNS1_14partition_implILS5_6ELb0ES3_mNS7_12zip_iteratorINS8_INS7_6detail15normal_iteratorINS7_10device_ptrIfEEEESJ_S9_S9_S9_S9_S9_S9_S9_S9_EEEEPSB_SM_NS0_5tupleIJNSE_INS8_ISJ_NS7_16discard_iteratorINS7_11use_defaultEEES9_S9_S9_S9_S9_S9_S9_S9_EEEESB_EEENSN_IJSM_SM_EEESB_PlJNSF_9not_fun_tINSF_14equal_to_valueISA_EEEEEEE10hipError_tPvRmT3_T4_T5_T6_T7_T9_mT8_P12ihipStream_tbDpT10_ENKUlT_T0_E_clISt17integral_constantIbLb0EES1I_IbLb1EEEEDaS1E_S1F_EUlS1E_E_NS1_11comp_targetILNS1_3genE10ELNS1_11target_archE1200ELNS1_3gpuE4ELNS1_3repE0EEENS1_30default_config_static_selectorELNS0_4arch9wavefront6targetE0EEEvT1_.kd
    .uniform_work_group_size: 1
    .uses_dynamic_stack: false
    .vgpr_count:     48
    .vgpr_spill_count: 0
    .wavefront_size: 32
    .workgroup_processor_mode: 1
  - .args:
      - .offset:         0
        .size:           152
        .value_kind:     by_value
    .group_segment_fixed_size: 0
    .kernarg_segment_align: 8
    .kernarg_segment_size: 152
    .language:       OpenCL C
    .language_version:
      - 2
      - 0
    .max_flat_workgroup_size: 384
    .name:           _ZN7rocprim17ROCPRIM_400000_NS6detail17trampoline_kernelINS0_14default_configENS1_25partition_config_selectorILNS1_17partition_subalgoE6EN6thrust23THRUST_200600_302600_NS5tupleIffNS7_9null_typeES9_S9_S9_S9_S9_S9_S9_EENS0_10empty_typeEbEEZZNS1_14partition_implILS5_6ELb0ES3_mNS7_12zip_iteratorINS8_INS7_6detail15normal_iteratorINS7_10device_ptrIfEEEESJ_S9_S9_S9_S9_S9_S9_S9_S9_EEEEPSB_SM_NS0_5tupleIJNSE_INS8_ISJ_NS7_16discard_iteratorINS7_11use_defaultEEES9_S9_S9_S9_S9_S9_S9_S9_EEEESB_EEENSN_IJSM_SM_EEESB_PlJNSF_9not_fun_tINSF_14equal_to_valueISA_EEEEEEE10hipError_tPvRmT3_T4_T5_T6_T7_T9_mT8_P12ihipStream_tbDpT10_ENKUlT_T0_E_clISt17integral_constantIbLb0EES1I_IbLb1EEEEDaS1E_S1F_EUlS1E_E_NS1_11comp_targetILNS1_3genE9ELNS1_11target_archE1100ELNS1_3gpuE3ELNS1_3repE0EEENS1_30default_config_static_selectorELNS0_4arch9wavefront6targetE0EEEvT1_
    .private_segment_fixed_size: 0
    .sgpr_count:     0
    .sgpr_spill_count: 0
    .symbol:         _ZN7rocprim17ROCPRIM_400000_NS6detail17trampoline_kernelINS0_14default_configENS1_25partition_config_selectorILNS1_17partition_subalgoE6EN6thrust23THRUST_200600_302600_NS5tupleIffNS7_9null_typeES9_S9_S9_S9_S9_S9_S9_EENS0_10empty_typeEbEEZZNS1_14partition_implILS5_6ELb0ES3_mNS7_12zip_iteratorINS8_INS7_6detail15normal_iteratorINS7_10device_ptrIfEEEESJ_S9_S9_S9_S9_S9_S9_S9_S9_EEEEPSB_SM_NS0_5tupleIJNSE_INS8_ISJ_NS7_16discard_iteratorINS7_11use_defaultEEES9_S9_S9_S9_S9_S9_S9_S9_EEEESB_EEENSN_IJSM_SM_EEESB_PlJNSF_9not_fun_tINSF_14equal_to_valueISA_EEEEEEE10hipError_tPvRmT3_T4_T5_T6_T7_T9_mT8_P12ihipStream_tbDpT10_ENKUlT_T0_E_clISt17integral_constantIbLb0EES1I_IbLb1EEEEDaS1E_S1F_EUlS1E_E_NS1_11comp_targetILNS1_3genE9ELNS1_11target_archE1100ELNS1_3gpuE3ELNS1_3repE0EEENS1_30default_config_static_selectorELNS0_4arch9wavefront6targetE0EEEvT1_.kd
    .uniform_work_group_size: 1
    .uses_dynamic_stack: false
    .vgpr_count:     0
    .vgpr_spill_count: 0
    .wavefront_size: 32
    .workgroup_processor_mode: 1
  - .args:
      - .offset:         0
        .size:           152
        .value_kind:     by_value
    .group_segment_fixed_size: 0
    .kernarg_segment_align: 8
    .kernarg_segment_size: 152
    .language:       OpenCL C
    .language_version:
      - 2
      - 0
    .max_flat_workgroup_size: 512
    .name:           _ZN7rocprim17ROCPRIM_400000_NS6detail17trampoline_kernelINS0_14default_configENS1_25partition_config_selectorILNS1_17partition_subalgoE6EN6thrust23THRUST_200600_302600_NS5tupleIffNS7_9null_typeES9_S9_S9_S9_S9_S9_S9_EENS0_10empty_typeEbEEZZNS1_14partition_implILS5_6ELb0ES3_mNS7_12zip_iteratorINS8_INS7_6detail15normal_iteratorINS7_10device_ptrIfEEEESJ_S9_S9_S9_S9_S9_S9_S9_S9_EEEEPSB_SM_NS0_5tupleIJNSE_INS8_ISJ_NS7_16discard_iteratorINS7_11use_defaultEEES9_S9_S9_S9_S9_S9_S9_S9_EEEESB_EEENSN_IJSM_SM_EEESB_PlJNSF_9not_fun_tINSF_14equal_to_valueISA_EEEEEEE10hipError_tPvRmT3_T4_T5_T6_T7_T9_mT8_P12ihipStream_tbDpT10_ENKUlT_T0_E_clISt17integral_constantIbLb0EES1I_IbLb1EEEEDaS1E_S1F_EUlS1E_E_NS1_11comp_targetILNS1_3genE8ELNS1_11target_archE1030ELNS1_3gpuE2ELNS1_3repE0EEENS1_30default_config_static_selectorELNS0_4arch9wavefront6targetE0EEEvT1_
    .private_segment_fixed_size: 0
    .sgpr_count:     0
    .sgpr_spill_count: 0
    .symbol:         _ZN7rocprim17ROCPRIM_400000_NS6detail17trampoline_kernelINS0_14default_configENS1_25partition_config_selectorILNS1_17partition_subalgoE6EN6thrust23THRUST_200600_302600_NS5tupleIffNS7_9null_typeES9_S9_S9_S9_S9_S9_S9_EENS0_10empty_typeEbEEZZNS1_14partition_implILS5_6ELb0ES3_mNS7_12zip_iteratorINS8_INS7_6detail15normal_iteratorINS7_10device_ptrIfEEEESJ_S9_S9_S9_S9_S9_S9_S9_S9_EEEEPSB_SM_NS0_5tupleIJNSE_INS8_ISJ_NS7_16discard_iteratorINS7_11use_defaultEEES9_S9_S9_S9_S9_S9_S9_S9_EEEESB_EEENSN_IJSM_SM_EEESB_PlJNSF_9not_fun_tINSF_14equal_to_valueISA_EEEEEEE10hipError_tPvRmT3_T4_T5_T6_T7_T9_mT8_P12ihipStream_tbDpT10_ENKUlT_T0_E_clISt17integral_constantIbLb0EES1I_IbLb1EEEEDaS1E_S1F_EUlS1E_E_NS1_11comp_targetILNS1_3genE8ELNS1_11target_archE1030ELNS1_3gpuE2ELNS1_3repE0EEENS1_30default_config_static_selectorELNS0_4arch9wavefront6targetE0EEEvT1_.kd
    .uniform_work_group_size: 1
    .uses_dynamic_stack: false
    .vgpr_count:     0
    .vgpr_spill_count: 0
    .wavefront_size: 32
    .workgroup_processor_mode: 1
  - .args:
      - .offset:         0
        .size:           152
        .value_kind:     by_value
    .group_segment_fixed_size: 0
    .kernarg_segment_align: 8
    .kernarg_segment_size: 152
    .language:       OpenCL C
    .language_version:
      - 2
      - 0
    .max_flat_workgroup_size: 256
    .name:           _ZN7rocprim17ROCPRIM_400000_NS6detail17trampoline_kernelINS0_14default_configENS1_25partition_config_selectorILNS1_17partition_subalgoE6EN6thrust23THRUST_200600_302600_NS5tupleIyyNS7_9null_typeES9_S9_S9_S9_S9_S9_S9_EENS0_10empty_typeEbEEZZNS1_14partition_implILS5_6ELb0ES3_mNS7_12zip_iteratorINS8_INS7_6detail15normal_iteratorINS7_10device_ptrIyEEEESJ_S9_S9_S9_S9_S9_S9_S9_S9_EEEEPSB_SM_NS0_5tupleIJNSE_INS8_ISJ_NS7_16discard_iteratorINS7_11use_defaultEEES9_S9_S9_S9_S9_S9_S9_S9_EEEESB_EEENSN_IJSM_SM_EEESB_PlJNSF_9not_fun_tINSF_14equal_to_valueISA_EEEEEEE10hipError_tPvRmT3_T4_T5_T6_T7_T9_mT8_P12ihipStream_tbDpT10_ENKUlT_T0_E_clISt17integral_constantIbLb0EES1J_EEDaS1E_S1F_EUlS1E_E_NS1_11comp_targetILNS1_3genE0ELNS1_11target_archE4294967295ELNS1_3gpuE0ELNS1_3repE0EEENS1_30default_config_static_selectorELNS0_4arch9wavefront6targetE0EEEvT1_
    .private_segment_fixed_size: 0
    .sgpr_count:     0
    .sgpr_spill_count: 0
    .symbol:         _ZN7rocprim17ROCPRIM_400000_NS6detail17trampoline_kernelINS0_14default_configENS1_25partition_config_selectorILNS1_17partition_subalgoE6EN6thrust23THRUST_200600_302600_NS5tupleIyyNS7_9null_typeES9_S9_S9_S9_S9_S9_S9_EENS0_10empty_typeEbEEZZNS1_14partition_implILS5_6ELb0ES3_mNS7_12zip_iteratorINS8_INS7_6detail15normal_iteratorINS7_10device_ptrIyEEEESJ_S9_S9_S9_S9_S9_S9_S9_S9_EEEEPSB_SM_NS0_5tupleIJNSE_INS8_ISJ_NS7_16discard_iteratorINS7_11use_defaultEEES9_S9_S9_S9_S9_S9_S9_S9_EEEESB_EEENSN_IJSM_SM_EEESB_PlJNSF_9not_fun_tINSF_14equal_to_valueISA_EEEEEEE10hipError_tPvRmT3_T4_T5_T6_T7_T9_mT8_P12ihipStream_tbDpT10_ENKUlT_T0_E_clISt17integral_constantIbLb0EES1J_EEDaS1E_S1F_EUlS1E_E_NS1_11comp_targetILNS1_3genE0ELNS1_11target_archE4294967295ELNS1_3gpuE0ELNS1_3repE0EEENS1_30default_config_static_selectorELNS0_4arch9wavefront6targetE0EEEvT1_.kd
    .uniform_work_group_size: 1
    .uses_dynamic_stack: false
    .vgpr_count:     0
    .vgpr_spill_count: 0
    .wavefront_size: 32
    .workgroup_processor_mode: 1
  - .args:
      - .offset:         0
        .size:           152
        .value_kind:     by_value
    .group_segment_fixed_size: 0
    .kernarg_segment_align: 8
    .kernarg_segment_size: 152
    .language:       OpenCL C
    .language_version:
      - 2
      - 0
    .max_flat_workgroup_size: 384
    .name:           _ZN7rocprim17ROCPRIM_400000_NS6detail17trampoline_kernelINS0_14default_configENS1_25partition_config_selectorILNS1_17partition_subalgoE6EN6thrust23THRUST_200600_302600_NS5tupleIyyNS7_9null_typeES9_S9_S9_S9_S9_S9_S9_EENS0_10empty_typeEbEEZZNS1_14partition_implILS5_6ELb0ES3_mNS7_12zip_iteratorINS8_INS7_6detail15normal_iteratorINS7_10device_ptrIyEEEESJ_S9_S9_S9_S9_S9_S9_S9_S9_EEEEPSB_SM_NS0_5tupleIJNSE_INS8_ISJ_NS7_16discard_iteratorINS7_11use_defaultEEES9_S9_S9_S9_S9_S9_S9_S9_EEEESB_EEENSN_IJSM_SM_EEESB_PlJNSF_9not_fun_tINSF_14equal_to_valueISA_EEEEEEE10hipError_tPvRmT3_T4_T5_T6_T7_T9_mT8_P12ihipStream_tbDpT10_ENKUlT_T0_E_clISt17integral_constantIbLb0EES1J_EEDaS1E_S1F_EUlS1E_E_NS1_11comp_targetILNS1_3genE5ELNS1_11target_archE942ELNS1_3gpuE9ELNS1_3repE0EEENS1_30default_config_static_selectorELNS0_4arch9wavefront6targetE0EEEvT1_
    .private_segment_fixed_size: 0
    .sgpr_count:     0
    .sgpr_spill_count: 0
    .symbol:         _ZN7rocprim17ROCPRIM_400000_NS6detail17trampoline_kernelINS0_14default_configENS1_25partition_config_selectorILNS1_17partition_subalgoE6EN6thrust23THRUST_200600_302600_NS5tupleIyyNS7_9null_typeES9_S9_S9_S9_S9_S9_S9_EENS0_10empty_typeEbEEZZNS1_14partition_implILS5_6ELb0ES3_mNS7_12zip_iteratorINS8_INS7_6detail15normal_iteratorINS7_10device_ptrIyEEEESJ_S9_S9_S9_S9_S9_S9_S9_S9_EEEEPSB_SM_NS0_5tupleIJNSE_INS8_ISJ_NS7_16discard_iteratorINS7_11use_defaultEEES9_S9_S9_S9_S9_S9_S9_S9_EEEESB_EEENSN_IJSM_SM_EEESB_PlJNSF_9not_fun_tINSF_14equal_to_valueISA_EEEEEEE10hipError_tPvRmT3_T4_T5_T6_T7_T9_mT8_P12ihipStream_tbDpT10_ENKUlT_T0_E_clISt17integral_constantIbLb0EES1J_EEDaS1E_S1F_EUlS1E_E_NS1_11comp_targetILNS1_3genE5ELNS1_11target_archE942ELNS1_3gpuE9ELNS1_3repE0EEENS1_30default_config_static_selectorELNS0_4arch9wavefront6targetE0EEEvT1_.kd
    .uniform_work_group_size: 1
    .uses_dynamic_stack: false
    .vgpr_count:     0
    .vgpr_spill_count: 0
    .wavefront_size: 32
    .workgroup_processor_mode: 1
  - .args:
      - .offset:         0
        .size:           152
        .value_kind:     by_value
    .group_segment_fixed_size: 0
    .kernarg_segment_align: 8
    .kernarg_segment_size: 152
    .language:       OpenCL C
    .language_version:
      - 2
      - 0
    .max_flat_workgroup_size: 256
    .name:           _ZN7rocprim17ROCPRIM_400000_NS6detail17trampoline_kernelINS0_14default_configENS1_25partition_config_selectorILNS1_17partition_subalgoE6EN6thrust23THRUST_200600_302600_NS5tupleIyyNS7_9null_typeES9_S9_S9_S9_S9_S9_S9_EENS0_10empty_typeEbEEZZNS1_14partition_implILS5_6ELb0ES3_mNS7_12zip_iteratorINS8_INS7_6detail15normal_iteratorINS7_10device_ptrIyEEEESJ_S9_S9_S9_S9_S9_S9_S9_S9_EEEEPSB_SM_NS0_5tupleIJNSE_INS8_ISJ_NS7_16discard_iteratorINS7_11use_defaultEEES9_S9_S9_S9_S9_S9_S9_S9_EEEESB_EEENSN_IJSM_SM_EEESB_PlJNSF_9not_fun_tINSF_14equal_to_valueISA_EEEEEEE10hipError_tPvRmT3_T4_T5_T6_T7_T9_mT8_P12ihipStream_tbDpT10_ENKUlT_T0_E_clISt17integral_constantIbLb0EES1J_EEDaS1E_S1F_EUlS1E_E_NS1_11comp_targetILNS1_3genE4ELNS1_11target_archE910ELNS1_3gpuE8ELNS1_3repE0EEENS1_30default_config_static_selectorELNS0_4arch9wavefront6targetE0EEEvT1_
    .private_segment_fixed_size: 0
    .sgpr_count:     0
    .sgpr_spill_count: 0
    .symbol:         _ZN7rocprim17ROCPRIM_400000_NS6detail17trampoline_kernelINS0_14default_configENS1_25partition_config_selectorILNS1_17partition_subalgoE6EN6thrust23THRUST_200600_302600_NS5tupleIyyNS7_9null_typeES9_S9_S9_S9_S9_S9_S9_EENS0_10empty_typeEbEEZZNS1_14partition_implILS5_6ELb0ES3_mNS7_12zip_iteratorINS8_INS7_6detail15normal_iteratorINS7_10device_ptrIyEEEESJ_S9_S9_S9_S9_S9_S9_S9_S9_EEEEPSB_SM_NS0_5tupleIJNSE_INS8_ISJ_NS7_16discard_iteratorINS7_11use_defaultEEES9_S9_S9_S9_S9_S9_S9_S9_EEEESB_EEENSN_IJSM_SM_EEESB_PlJNSF_9not_fun_tINSF_14equal_to_valueISA_EEEEEEE10hipError_tPvRmT3_T4_T5_T6_T7_T9_mT8_P12ihipStream_tbDpT10_ENKUlT_T0_E_clISt17integral_constantIbLb0EES1J_EEDaS1E_S1F_EUlS1E_E_NS1_11comp_targetILNS1_3genE4ELNS1_11target_archE910ELNS1_3gpuE8ELNS1_3repE0EEENS1_30default_config_static_selectorELNS0_4arch9wavefront6targetE0EEEvT1_.kd
    .uniform_work_group_size: 1
    .uses_dynamic_stack: false
    .vgpr_count:     0
    .vgpr_spill_count: 0
    .wavefront_size: 32
    .workgroup_processor_mode: 1
  - .args:
      - .offset:         0
        .size:           152
        .value_kind:     by_value
    .group_segment_fixed_size: 0
    .kernarg_segment_align: 8
    .kernarg_segment_size: 152
    .language:       OpenCL C
    .language_version:
      - 2
      - 0
    .max_flat_workgroup_size: 256
    .name:           _ZN7rocprim17ROCPRIM_400000_NS6detail17trampoline_kernelINS0_14default_configENS1_25partition_config_selectorILNS1_17partition_subalgoE6EN6thrust23THRUST_200600_302600_NS5tupleIyyNS7_9null_typeES9_S9_S9_S9_S9_S9_S9_EENS0_10empty_typeEbEEZZNS1_14partition_implILS5_6ELb0ES3_mNS7_12zip_iteratorINS8_INS7_6detail15normal_iteratorINS7_10device_ptrIyEEEESJ_S9_S9_S9_S9_S9_S9_S9_S9_EEEEPSB_SM_NS0_5tupleIJNSE_INS8_ISJ_NS7_16discard_iteratorINS7_11use_defaultEEES9_S9_S9_S9_S9_S9_S9_S9_EEEESB_EEENSN_IJSM_SM_EEESB_PlJNSF_9not_fun_tINSF_14equal_to_valueISA_EEEEEEE10hipError_tPvRmT3_T4_T5_T6_T7_T9_mT8_P12ihipStream_tbDpT10_ENKUlT_T0_E_clISt17integral_constantIbLb0EES1J_EEDaS1E_S1F_EUlS1E_E_NS1_11comp_targetILNS1_3genE3ELNS1_11target_archE908ELNS1_3gpuE7ELNS1_3repE0EEENS1_30default_config_static_selectorELNS0_4arch9wavefront6targetE0EEEvT1_
    .private_segment_fixed_size: 0
    .sgpr_count:     0
    .sgpr_spill_count: 0
    .symbol:         _ZN7rocprim17ROCPRIM_400000_NS6detail17trampoline_kernelINS0_14default_configENS1_25partition_config_selectorILNS1_17partition_subalgoE6EN6thrust23THRUST_200600_302600_NS5tupleIyyNS7_9null_typeES9_S9_S9_S9_S9_S9_S9_EENS0_10empty_typeEbEEZZNS1_14partition_implILS5_6ELb0ES3_mNS7_12zip_iteratorINS8_INS7_6detail15normal_iteratorINS7_10device_ptrIyEEEESJ_S9_S9_S9_S9_S9_S9_S9_S9_EEEEPSB_SM_NS0_5tupleIJNSE_INS8_ISJ_NS7_16discard_iteratorINS7_11use_defaultEEES9_S9_S9_S9_S9_S9_S9_S9_EEEESB_EEENSN_IJSM_SM_EEESB_PlJNSF_9not_fun_tINSF_14equal_to_valueISA_EEEEEEE10hipError_tPvRmT3_T4_T5_T6_T7_T9_mT8_P12ihipStream_tbDpT10_ENKUlT_T0_E_clISt17integral_constantIbLb0EES1J_EEDaS1E_S1F_EUlS1E_E_NS1_11comp_targetILNS1_3genE3ELNS1_11target_archE908ELNS1_3gpuE7ELNS1_3repE0EEENS1_30default_config_static_selectorELNS0_4arch9wavefront6targetE0EEEvT1_.kd
    .uniform_work_group_size: 1
    .uses_dynamic_stack: false
    .vgpr_count:     0
    .vgpr_spill_count: 0
    .wavefront_size: 32
    .workgroup_processor_mode: 1
  - .args:
      - .offset:         0
        .size:           152
        .value_kind:     by_value
    .group_segment_fixed_size: 0
    .kernarg_segment_align: 8
    .kernarg_segment_size: 152
    .language:       OpenCL C
    .language_version:
      - 2
      - 0
    .max_flat_workgroup_size: 256
    .name:           _ZN7rocprim17ROCPRIM_400000_NS6detail17trampoline_kernelINS0_14default_configENS1_25partition_config_selectorILNS1_17partition_subalgoE6EN6thrust23THRUST_200600_302600_NS5tupleIyyNS7_9null_typeES9_S9_S9_S9_S9_S9_S9_EENS0_10empty_typeEbEEZZNS1_14partition_implILS5_6ELb0ES3_mNS7_12zip_iteratorINS8_INS7_6detail15normal_iteratorINS7_10device_ptrIyEEEESJ_S9_S9_S9_S9_S9_S9_S9_S9_EEEEPSB_SM_NS0_5tupleIJNSE_INS8_ISJ_NS7_16discard_iteratorINS7_11use_defaultEEES9_S9_S9_S9_S9_S9_S9_S9_EEEESB_EEENSN_IJSM_SM_EEESB_PlJNSF_9not_fun_tINSF_14equal_to_valueISA_EEEEEEE10hipError_tPvRmT3_T4_T5_T6_T7_T9_mT8_P12ihipStream_tbDpT10_ENKUlT_T0_E_clISt17integral_constantIbLb0EES1J_EEDaS1E_S1F_EUlS1E_E_NS1_11comp_targetILNS1_3genE2ELNS1_11target_archE906ELNS1_3gpuE6ELNS1_3repE0EEENS1_30default_config_static_selectorELNS0_4arch9wavefront6targetE0EEEvT1_
    .private_segment_fixed_size: 0
    .sgpr_count:     0
    .sgpr_spill_count: 0
    .symbol:         _ZN7rocprim17ROCPRIM_400000_NS6detail17trampoline_kernelINS0_14default_configENS1_25partition_config_selectorILNS1_17partition_subalgoE6EN6thrust23THRUST_200600_302600_NS5tupleIyyNS7_9null_typeES9_S9_S9_S9_S9_S9_S9_EENS0_10empty_typeEbEEZZNS1_14partition_implILS5_6ELb0ES3_mNS7_12zip_iteratorINS8_INS7_6detail15normal_iteratorINS7_10device_ptrIyEEEESJ_S9_S9_S9_S9_S9_S9_S9_S9_EEEEPSB_SM_NS0_5tupleIJNSE_INS8_ISJ_NS7_16discard_iteratorINS7_11use_defaultEEES9_S9_S9_S9_S9_S9_S9_S9_EEEESB_EEENSN_IJSM_SM_EEESB_PlJNSF_9not_fun_tINSF_14equal_to_valueISA_EEEEEEE10hipError_tPvRmT3_T4_T5_T6_T7_T9_mT8_P12ihipStream_tbDpT10_ENKUlT_T0_E_clISt17integral_constantIbLb0EES1J_EEDaS1E_S1F_EUlS1E_E_NS1_11comp_targetILNS1_3genE2ELNS1_11target_archE906ELNS1_3gpuE6ELNS1_3repE0EEENS1_30default_config_static_selectorELNS0_4arch9wavefront6targetE0EEEvT1_.kd
    .uniform_work_group_size: 1
    .uses_dynamic_stack: false
    .vgpr_count:     0
    .vgpr_spill_count: 0
    .wavefront_size: 32
    .workgroup_processor_mode: 1
  - .args:
      - .offset:         0
        .size:           152
        .value_kind:     by_value
    .group_segment_fixed_size: 12304
    .kernarg_segment_align: 8
    .kernarg_segment_size: 152
    .language:       OpenCL C
    .language_version:
      - 2
      - 0
    .max_flat_workgroup_size: 256
    .name:           _ZN7rocprim17ROCPRIM_400000_NS6detail17trampoline_kernelINS0_14default_configENS1_25partition_config_selectorILNS1_17partition_subalgoE6EN6thrust23THRUST_200600_302600_NS5tupleIyyNS7_9null_typeES9_S9_S9_S9_S9_S9_S9_EENS0_10empty_typeEbEEZZNS1_14partition_implILS5_6ELb0ES3_mNS7_12zip_iteratorINS8_INS7_6detail15normal_iteratorINS7_10device_ptrIyEEEESJ_S9_S9_S9_S9_S9_S9_S9_S9_EEEEPSB_SM_NS0_5tupleIJNSE_INS8_ISJ_NS7_16discard_iteratorINS7_11use_defaultEEES9_S9_S9_S9_S9_S9_S9_S9_EEEESB_EEENSN_IJSM_SM_EEESB_PlJNSF_9not_fun_tINSF_14equal_to_valueISA_EEEEEEE10hipError_tPvRmT3_T4_T5_T6_T7_T9_mT8_P12ihipStream_tbDpT10_ENKUlT_T0_E_clISt17integral_constantIbLb0EES1J_EEDaS1E_S1F_EUlS1E_E_NS1_11comp_targetILNS1_3genE10ELNS1_11target_archE1200ELNS1_3gpuE4ELNS1_3repE0EEENS1_30default_config_static_selectorELNS0_4arch9wavefront6targetE0EEEvT1_
    .private_segment_fixed_size: 0
    .sgpr_count:     23
    .sgpr_spill_count: 0
    .symbol:         _ZN7rocprim17ROCPRIM_400000_NS6detail17trampoline_kernelINS0_14default_configENS1_25partition_config_selectorILNS1_17partition_subalgoE6EN6thrust23THRUST_200600_302600_NS5tupleIyyNS7_9null_typeES9_S9_S9_S9_S9_S9_S9_EENS0_10empty_typeEbEEZZNS1_14partition_implILS5_6ELb0ES3_mNS7_12zip_iteratorINS8_INS7_6detail15normal_iteratorINS7_10device_ptrIyEEEESJ_S9_S9_S9_S9_S9_S9_S9_S9_EEEEPSB_SM_NS0_5tupleIJNSE_INS8_ISJ_NS7_16discard_iteratorINS7_11use_defaultEEES9_S9_S9_S9_S9_S9_S9_S9_EEEESB_EEENSN_IJSM_SM_EEESB_PlJNSF_9not_fun_tINSF_14equal_to_valueISA_EEEEEEE10hipError_tPvRmT3_T4_T5_T6_T7_T9_mT8_P12ihipStream_tbDpT10_ENKUlT_T0_E_clISt17integral_constantIbLb0EES1J_EEDaS1E_S1F_EUlS1E_E_NS1_11comp_targetILNS1_3genE10ELNS1_11target_archE1200ELNS1_3gpuE4ELNS1_3repE0EEENS1_30default_config_static_selectorELNS0_4arch9wavefront6targetE0EEEvT1_.kd
    .uniform_work_group_size: 1
    .uses_dynamic_stack: false
    .vgpr_count:     49
    .vgpr_spill_count: 0
    .wavefront_size: 32
    .workgroup_processor_mode: 1
  - .args:
      - .offset:         0
        .size:           152
        .value_kind:     by_value
    .group_segment_fixed_size: 0
    .kernarg_segment_align: 8
    .kernarg_segment_size: 152
    .language:       OpenCL C
    .language_version:
      - 2
      - 0
    .max_flat_workgroup_size: 512
    .name:           _ZN7rocprim17ROCPRIM_400000_NS6detail17trampoline_kernelINS0_14default_configENS1_25partition_config_selectorILNS1_17partition_subalgoE6EN6thrust23THRUST_200600_302600_NS5tupleIyyNS7_9null_typeES9_S9_S9_S9_S9_S9_S9_EENS0_10empty_typeEbEEZZNS1_14partition_implILS5_6ELb0ES3_mNS7_12zip_iteratorINS8_INS7_6detail15normal_iteratorINS7_10device_ptrIyEEEESJ_S9_S9_S9_S9_S9_S9_S9_S9_EEEEPSB_SM_NS0_5tupleIJNSE_INS8_ISJ_NS7_16discard_iteratorINS7_11use_defaultEEES9_S9_S9_S9_S9_S9_S9_S9_EEEESB_EEENSN_IJSM_SM_EEESB_PlJNSF_9not_fun_tINSF_14equal_to_valueISA_EEEEEEE10hipError_tPvRmT3_T4_T5_T6_T7_T9_mT8_P12ihipStream_tbDpT10_ENKUlT_T0_E_clISt17integral_constantIbLb0EES1J_EEDaS1E_S1F_EUlS1E_E_NS1_11comp_targetILNS1_3genE9ELNS1_11target_archE1100ELNS1_3gpuE3ELNS1_3repE0EEENS1_30default_config_static_selectorELNS0_4arch9wavefront6targetE0EEEvT1_
    .private_segment_fixed_size: 0
    .sgpr_count:     0
    .sgpr_spill_count: 0
    .symbol:         _ZN7rocprim17ROCPRIM_400000_NS6detail17trampoline_kernelINS0_14default_configENS1_25partition_config_selectorILNS1_17partition_subalgoE6EN6thrust23THRUST_200600_302600_NS5tupleIyyNS7_9null_typeES9_S9_S9_S9_S9_S9_S9_EENS0_10empty_typeEbEEZZNS1_14partition_implILS5_6ELb0ES3_mNS7_12zip_iteratorINS8_INS7_6detail15normal_iteratorINS7_10device_ptrIyEEEESJ_S9_S9_S9_S9_S9_S9_S9_S9_EEEEPSB_SM_NS0_5tupleIJNSE_INS8_ISJ_NS7_16discard_iteratorINS7_11use_defaultEEES9_S9_S9_S9_S9_S9_S9_S9_EEEESB_EEENSN_IJSM_SM_EEESB_PlJNSF_9not_fun_tINSF_14equal_to_valueISA_EEEEEEE10hipError_tPvRmT3_T4_T5_T6_T7_T9_mT8_P12ihipStream_tbDpT10_ENKUlT_T0_E_clISt17integral_constantIbLb0EES1J_EEDaS1E_S1F_EUlS1E_E_NS1_11comp_targetILNS1_3genE9ELNS1_11target_archE1100ELNS1_3gpuE3ELNS1_3repE0EEENS1_30default_config_static_selectorELNS0_4arch9wavefront6targetE0EEEvT1_.kd
    .uniform_work_group_size: 1
    .uses_dynamic_stack: false
    .vgpr_count:     0
    .vgpr_spill_count: 0
    .wavefront_size: 32
    .workgroup_processor_mode: 1
  - .args:
      - .offset:         0
        .size:           152
        .value_kind:     by_value
    .group_segment_fixed_size: 0
    .kernarg_segment_align: 8
    .kernarg_segment_size: 152
    .language:       OpenCL C
    .language_version:
      - 2
      - 0
    .max_flat_workgroup_size: 256
    .name:           _ZN7rocprim17ROCPRIM_400000_NS6detail17trampoline_kernelINS0_14default_configENS1_25partition_config_selectorILNS1_17partition_subalgoE6EN6thrust23THRUST_200600_302600_NS5tupleIyyNS7_9null_typeES9_S9_S9_S9_S9_S9_S9_EENS0_10empty_typeEbEEZZNS1_14partition_implILS5_6ELb0ES3_mNS7_12zip_iteratorINS8_INS7_6detail15normal_iteratorINS7_10device_ptrIyEEEESJ_S9_S9_S9_S9_S9_S9_S9_S9_EEEEPSB_SM_NS0_5tupleIJNSE_INS8_ISJ_NS7_16discard_iteratorINS7_11use_defaultEEES9_S9_S9_S9_S9_S9_S9_S9_EEEESB_EEENSN_IJSM_SM_EEESB_PlJNSF_9not_fun_tINSF_14equal_to_valueISA_EEEEEEE10hipError_tPvRmT3_T4_T5_T6_T7_T9_mT8_P12ihipStream_tbDpT10_ENKUlT_T0_E_clISt17integral_constantIbLb0EES1J_EEDaS1E_S1F_EUlS1E_E_NS1_11comp_targetILNS1_3genE8ELNS1_11target_archE1030ELNS1_3gpuE2ELNS1_3repE0EEENS1_30default_config_static_selectorELNS0_4arch9wavefront6targetE0EEEvT1_
    .private_segment_fixed_size: 0
    .sgpr_count:     0
    .sgpr_spill_count: 0
    .symbol:         _ZN7rocprim17ROCPRIM_400000_NS6detail17trampoline_kernelINS0_14default_configENS1_25partition_config_selectorILNS1_17partition_subalgoE6EN6thrust23THRUST_200600_302600_NS5tupleIyyNS7_9null_typeES9_S9_S9_S9_S9_S9_S9_EENS0_10empty_typeEbEEZZNS1_14partition_implILS5_6ELb0ES3_mNS7_12zip_iteratorINS8_INS7_6detail15normal_iteratorINS7_10device_ptrIyEEEESJ_S9_S9_S9_S9_S9_S9_S9_S9_EEEEPSB_SM_NS0_5tupleIJNSE_INS8_ISJ_NS7_16discard_iteratorINS7_11use_defaultEEES9_S9_S9_S9_S9_S9_S9_S9_EEEESB_EEENSN_IJSM_SM_EEESB_PlJNSF_9not_fun_tINSF_14equal_to_valueISA_EEEEEEE10hipError_tPvRmT3_T4_T5_T6_T7_T9_mT8_P12ihipStream_tbDpT10_ENKUlT_T0_E_clISt17integral_constantIbLb0EES1J_EEDaS1E_S1F_EUlS1E_E_NS1_11comp_targetILNS1_3genE8ELNS1_11target_archE1030ELNS1_3gpuE2ELNS1_3repE0EEENS1_30default_config_static_selectorELNS0_4arch9wavefront6targetE0EEEvT1_.kd
    .uniform_work_group_size: 1
    .uses_dynamic_stack: false
    .vgpr_count:     0
    .vgpr_spill_count: 0
    .wavefront_size: 32
    .workgroup_processor_mode: 1
  - .args:
      - .offset:         0
        .size:           160
        .value_kind:     by_value
    .group_segment_fixed_size: 0
    .kernarg_segment_align: 8
    .kernarg_segment_size: 160
    .language:       OpenCL C
    .language_version:
      - 2
      - 0
    .max_flat_workgroup_size: 256
    .name:           _ZN7rocprim17ROCPRIM_400000_NS6detail17trampoline_kernelINS0_14default_configENS1_25partition_config_selectorILNS1_17partition_subalgoE6EN6thrust23THRUST_200600_302600_NS5tupleIyyNS7_9null_typeES9_S9_S9_S9_S9_S9_S9_EENS0_10empty_typeEbEEZZNS1_14partition_implILS5_6ELb0ES3_mNS7_12zip_iteratorINS8_INS7_6detail15normal_iteratorINS7_10device_ptrIyEEEESJ_S9_S9_S9_S9_S9_S9_S9_S9_EEEEPSB_SM_NS0_5tupleIJNSE_INS8_ISJ_NS7_16discard_iteratorINS7_11use_defaultEEES9_S9_S9_S9_S9_S9_S9_S9_EEEESB_EEENSN_IJSM_SM_EEESB_PlJNSF_9not_fun_tINSF_14equal_to_valueISA_EEEEEEE10hipError_tPvRmT3_T4_T5_T6_T7_T9_mT8_P12ihipStream_tbDpT10_ENKUlT_T0_E_clISt17integral_constantIbLb1EES1J_EEDaS1E_S1F_EUlS1E_E_NS1_11comp_targetILNS1_3genE0ELNS1_11target_archE4294967295ELNS1_3gpuE0ELNS1_3repE0EEENS1_30default_config_static_selectorELNS0_4arch9wavefront6targetE0EEEvT1_
    .private_segment_fixed_size: 0
    .sgpr_count:     0
    .sgpr_spill_count: 0
    .symbol:         _ZN7rocprim17ROCPRIM_400000_NS6detail17trampoline_kernelINS0_14default_configENS1_25partition_config_selectorILNS1_17partition_subalgoE6EN6thrust23THRUST_200600_302600_NS5tupleIyyNS7_9null_typeES9_S9_S9_S9_S9_S9_S9_EENS0_10empty_typeEbEEZZNS1_14partition_implILS5_6ELb0ES3_mNS7_12zip_iteratorINS8_INS7_6detail15normal_iteratorINS7_10device_ptrIyEEEESJ_S9_S9_S9_S9_S9_S9_S9_S9_EEEEPSB_SM_NS0_5tupleIJNSE_INS8_ISJ_NS7_16discard_iteratorINS7_11use_defaultEEES9_S9_S9_S9_S9_S9_S9_S9_EEEESB_EEENSN_IJSM_SM_EEESB_PlJNSF_9not_fun_tINSF_14equal_to_valueISA_EEEEEEE10hipError_tPvRmT3_T4_T5_T6_T7_T9_mT8_P12ihipStream_tbDpT10_ENKUlT_T0_E_clISt17integral_constantIbLb1EES1J_EEDaS1E_S1F_EUlS1E_E_NS1_11comp_targetILNS1_3genE0ELNS1_11target_archE4294967295ELNS1_3gpuE0ELNS1_3repE0EEENS1_30default_config_static_selectorELNS0_4arch9wavefront6targetE0EEEvT1_.kd
    .uniform_work_group_size: 1
    .uses_dynamic_stack: false
    .vgpr_count:     0
    .vgpr_spill_count: 0
    .wavefront_size: 32
    .workgroup_processor_mode: 1
  - .args:
      - .offset:         0
        .size:           160
        .value_kind:     by_value
    .group_segment_fixed_size: 0
    .kernarg_segment_align: 8
    .kernarg_segment_size: 160
    .language:       OpenCL C
    .language_version:
      - 2
      - 0
    .max_flat_workgroup_size: 384
    .name:           _ZN7rocprim17ROCPRIM_400000_NS6detail17trampoline_kernelINS0_14default_configENS1_25partition_config_selectorILNS1_17partition_subalgoE6EN6thrust23THRUST_200600_302600_NS5tupleIyyNS7_9null_typeES9_S9_S9_S9_S9_S9_S9_EENS0_10empty_typeEbEEZZNS1_14partition_implILS5_6ELb0ES3_mNS7_12zip_iteratorINS8_INS7_6detail15normal_iteratorINS7_10device_ptrIyEEEESJ_S9_S9_S9_S9_S9_S9_S9_S9_EEEEPSB_SM_NS0_5tupleIJNSE_INS8_ISJ_NS7_16discard_iteratorINS7_11use_defaultEEES9_S9_S9_S9_S9_S9_S9_S9_EEEESB_EEENSN_IJSM_SM_EEESB_PlJNSF_9not_fun_tINSF_14equal_to_valueISA_EEEEEEE10hipError_tPvRmT3_T4_T5_T6_T7_T9_mT8_P12ihipStream_tbDpT10_ENKUlT_T0_E_clISt17integral_constantIbLb1EES1J_EEDaS1E_S1F_EUlS1E_E_NS1_11comp_targetILNS1_3genE5ELNS1_11target_archE942ELNS1_3gpuE9ELNS1_3repE0EEENS1_30default_config_static_selectorELNS0_4arch9wavefront6targetE0EEEvT1_
    .private_segment_fixed_size: 0
    .sgpr_count:     0
    .sgpr_spill_count: 0
    .symbol:         _ZN7rocprim17ROCPRIM_400000_NS6detail17trampoline_kernelINS0_14default_configENS1_25partition_config_selectorILNS1_17partition_subalgoE6EN6thrust23THRUST_200600_302600_NS5tupleIyyNS7_9null_typeES9_S9_S9_S9_S9_S9_S9_EENS0_10empty_typeEbEEZZNS1_14partition_implILS5_6ELb0ES3_mNS7_12zip_iteratorINS8_INS7_6detail15normal_iteratorINS7_10device_ptrIyEEEESJ_S9_S9_S9_S9_S9_S9_S9_S9_EEEEPSB_SM_NS0_5tupleIJNSE_INS8_ISJ_NS7_16discard_iteratorINS7_11use_defaultEEES9_S9_S9_S9_S9_S9_S9_S9_EEEESB_EEENSN_IJSM_SM_EEESB_PlJNSF_9not_fun_tINSF_14equal_to_valueISA_EEEEEEE10hipError_tPvRmT3_T4_T5_T6_T7_T9_mT8_P12ihipStream_tbDpT10_ENKUlT_T0_E_clISt17integral_constantIbLb1EES1J_EEDaS1E_S1F_EUlS1E_E_NS1_11comp_targetILNS1_3genE5ELNS1_11target_archE942ELNS1_3gpuE9ELNS1_3repE0EEENS1_30default_config_static_selectorELNS0_4arch9wavefront6targetE0EEEvT1_.kd
    .uniform_work_group_size: 1
    .uses_dynamic_stack: false
    .vgpr_count:     0
    .vgpr_spill_count: 0
    .wavefront_size: 32
    .workgroup_processor_mode: 1
  - .args:
      - .offset:         0
        .size:           160
        .value_kind:     by_value
    .group_segment_fixed_size: 0
    .kernarg_segment_align: 8
    .kernarg_segment_size: 160
    .language:       OpenCL C
    .language_version:
      - 2
      - 0
    .max_flat_workgroup_size: 256
    .name:           _ZN7rocprim17ROCPRIM_400000_NS6detail17trampoline_kernelINS0_14default_configENS1_25partition_config_selectorILNS1_17partition_subalgoE6EN6thrust23THRUST_200600_302600_NS5tupleIyyNS7_9null_typeES9_S9_S9_S9_S9_S9_S9_EENS0_10empty_typeEbEEZZNS1_14partition_implILS5_6ELb0ES3_mNS7_12zip_iteratorINS8_INS7_6detail15normal_iteratorINS7_10device_ptrIyEEEESJ_S9_S9_S9_S9_S9_S9_S9_S9_EEEEPSB_SM_NS0_5tupleIJNSE_INS8_ISJ_NS7_16discard_iteratorINS7_11use_defaultEEES9_S9_S9_S9_S9_S9_S9_S9_EEEESB_EEENSN_IJSM_SM_EEESB_PlJNSF_9not_fun_tINSF_14equal_to_valueISA_EEEEEEE10hipError_tPvRmT3_T4_T5_T6_T7_T9_mT8_P12ihipStream_tbDpT10_ENKUlT_T0_E_clISt17integral_constantIbLb1EES1J_EEDaS1E_S1F_EUlS1E_E_NS1_11comp_targetILNS1_3genE4ELNS1_11target_archE910ELNS1_3gpuE8ELNS1_3repE0EEENS1_30default_config_static_selectorELNS0_4arch9wavefront6targetE0EEEvT1_
    .private_segment_fixed_size: 0
    .sgpr_count:     0
    .sgpr_spill_count: 0
    .symbol:         _ZN7rocprim17ROCPRIM_400000_NS6detail17trampoline_kernelINS0_14default_configENS1_25partition_config_selectorILNS1_17partition_subalgoE6EN6thrust23THRUST_200600_302600_NS5tupleIyyNS7_9null_typeES9_S9_S9_S9_S9_S9_S9_EENS0_10empty_typeEbEEZZNS1_14partition_implILS5_6ELb0ES3_mNS7_12zip_iteratorINS8_INS7_6detail15normal_iteratorINS7_10device_ptrIyEEEESJ_S9_S9_S9_S9_S9_S9_S9_S9_EEEEPSB_SM_NS0_5tupleIJNSE_INS8_ISJ_NS7_16discard_iteratorINS7_11use_defaultEEES9_S9_S9_S9_S9_S9_S9_S9_EEEESB_EEENSN_IJSM_SM_EEESB_PlJNSF_9not_fun_tINSF_14equal_to_valueISA_EEEEEEE10hipError_tPvRmT3_T4_T5_T6_T7_T9_mT8_P12ihipStream_tbDpT10_ENKUlT_T0_E_clISt17integral_constantIbLb1EES1J_EEDaS1E_S1F_EUlS1E_E_NS1_11comp_targetILNS1_3genE4ELNS1_11target_archE910ELNS1_3gpuE8ELNS1_3repE0EEENS1_30default_config_static_selectorELNS0_4arch9wavefront6targetE0EEEvT1_.kd
    .uniform_work_group_size: 1
    .uses_dynamic_stack: false
    .vgpr_count:     0
    .vgpr_spill_count: 0
    .wavefront_size: 32
    .workgroup_processor_mode: 1
  - .args:
      - .offset:         0
        .size:           160
        .value_kind:     by_value
    .group_segment_fixed_size: 0
    .kernarg_segment_align: 8
    .kernarg_segment_size: 160
    .language:       OpenCL C
    .language_version:
      - 2
      - 0
    .max_flat_workgroup_size: 256
    .name:           _ZN7rocprim17ROCPRIM_400000_NS6detail17trampoline_kernelINS0_14default_configENS1_25partition_config_selectorILNS1_17partition_subalgoE6EN6thrust23THRUST_200600_302600_NS5tupleIyyNS7_9null_typeES9_S9_S9_S9_S9_S9_S9_EENS0_10empty_typeEbEEZZNS1_14partition_implILS5_6ELb0ES3_mNS7_12zip_iteratorINS8_INS7_6detail15normal_iteratorINS7_10device_ptrIyEEEESJ_S9_S9_S9_S9_S9_S9_S9_S9_EEEEPSB_SM_NS0_5tupleIJNSE_INS8_ISJ_NS7_16discard_iteratorINS7_11use_defaultEEES9_S9_S9_S9_S9_S9_S9_S9_EEEESB_EEENSN_IJSM_SM_EEESB_PlJNSF_9not_fun_tINSF_14equal_to_valueISA_EEEEEEE10hipError_tPvRmT3_T4_T5_T6_T7_T9_mT8_P12ihipStream_tbDpT10_ENKUlT_T0_E_clISt17integral_constantIbLb1EES1J_EEDaS1E_S1F_EUlS1E_E_NS1_11comp_targetILNS1_3genE3ELNS1_11target_archE908ELNS1_3gpuE7ELNS1_3repE0EEENS1_30default_config_static_selectorELNS0_4arch9wavefront6targetE0EEEvT1_
    .private_segment_fixed_size: 0
    .sgpr_count:     0
    .sgpr_spill_count: 0
    .symbol:         _ZN7rocprim17ROCPRIM_400000_NS6detail17trampoline_kernelINS0_14default_configENS1_25partition_config_selectorILNS1_17partition_subalgoE6EN6thrust23THRUST_200600_302600_NS5tupleIyyNS7_9null_typeES9_S9_S9_S9_S9_S9_S9_EENS0_10empty_typeEbEEZZNS1_14partition_implILS5_6ELb0ES3_mNS7_12zip_iteratorINS8_INS7_6detail15normal_iteratorINS7_10device_ptrIyEEEESJ_S9_S9_S9_S9_S9_S9_S9_S9_EEEEPSB_SM_NS0_5tupleIJNSE_INS8_ISJ_NS7_16discard_iteratorINS7_11use_defaultEEES9_S9_S9_S9_S9_S9_S9_S9_EEEESB_EEENSN_IJSM_SM_EEESB_PlJNSF_9not_fun_tINSF_14equal_to_valueISA_EEEEEEE10hipError_tPvRmT3_T4_T5_T6_T7_T9_mT8_P12ihipStream_tbDpT10_ENKUlT_T0_E_clISt17integral_constantIbLb1EES1J_EEDaS1E_S1F_EUlS1E_E_NS1_11comp_targetILNS1_3genE3ELNS1_11target_archE908ELNS1_3gpuE7ELNS1_3repE0EEENS1_30default_config_static_selectorELNS0_4arch9wavefront6targetE0EEEvT1_.kd
    .uniform_work_group_size: 1
    .uses_dynamic_stack: false
    .vgpr_count:     0
    .vgpr_spill_count: 0
    .wavefront_size: 32
    .workgroup_processor_mode: 1
  - .args:
      - .offset:         0
        .size:           160
        .value_kind:     by_value
    .group_segment_fixed_size: 0
    .kernarg_segment_align: 8
    .kernarg_segment_size: 160
    .language:       OpenCL C
    .language_version:
      - 2
      - 0
    .max_flat_workgroup_size: 256
    .name:           _ZN7rocprim17ROCPRIM_400000_NS6detail17trampoline_kernelINS0_14default_configENS1_25partition_config_selectorILNS1_17partition_subalgoE6EN6thrust23THRUST_200600_302600_NS5tupleIyyNS7_9null_typeES9_S9_S9_S9_S9_S9_S9_EENS0_10empty_typeEbEEZZNS1_14partition_implILS5_6ELb0ES3_mNS7_12zip_iteratorINS8_INS7_6detail15normal_iteratorINS7_10device_ptrIyEEEESJ_S9_S9_S9_S9_S9_S9_S9_S9_EEEEPSB_SM_NS0_5tupleIJNSE_INS8_ISJ_NS7_16discard_iteratorINS7_11use_defaultEEES9_S9_S9_S9_S9_S9_S9_S9_EEEESB_EEENSN_IJSM_SM_EEESB_PlJNSF_9not_fun_tINSF_14equal_to_valueISA_EEEEEEE10hipError_tPvRmT3_T4_T5_T6_T7_T9_mT8_P12ihipStream_tbDpT10_ENKUlT_T0_E_clISt17integral_constantIbLb1EES1J_EEDaS1E_S1F_EUlS1E_E_NS1_11comp_targetILNS1_3genE2ELNS1_11target_archE906ELNS1_3gpuE6ELNS1_3repE0EEENS1_30default_config_static_selectorELNS0_4arch9wavefront6targetE0EEEvT1_
    .private_segment_fixed_size: 0
    .sgpr_count:     0
    .sgpr_spill_count: 0
    .symbol:         _ZN7rocprim17ROCPRIM_400000_NS6detail17trampoline_kernelINS0_14default_configENS1_25partition_config_selectorILNS1_17partition_subalgoE6EN6thrust23THRUST_200600_302600_NS5tupleIyyNS7_9null_typeES9_S9_S9_S9_S9_S9_S9_EENS0_10empty_typeEbEEZZNS1_14partition_implILS5_6ELb0ES3_mNS7_12zip_iteratorINS8_INS7_6detail15normal_iteratorINS7_10device_ptrIyEEEESJ_S9_S9_S9_S9_S9_S9_S9_S9_EEEEPSB_SM_NS0_5tupleIJNSE_INS8_ISJ_NS7_16discard_iteratorINS7_11use_defaultEEES9_S9_S9_S9_S9_S9_S9_S9_EEEESB_EEENSN_IJSM_SM_EEESB_PlJNSF_9not_fun_tINSF_14equal_to_valueISA_EEEEEEE10hipError_tPvRmT3_T4_T5_T6_T7_T9_mT8_P12ihipStream_tbDpT10_ENKUlT_T0_E_clISt17integral_constantIbLb1EES1J_EEDaS1E_S1F_EUlS1E_E_NS1_11comp_targetILNS1_3genE2ELNS1_11target_archE906ELNS1_3gpuE6ELNS1_3repE0EEENS1_30default_config_static_selectorELNS0_4arch9wavefront6targetE0EEEvT1_.kd
    .uniform_work_group_size: 1
    .uses_dynamic_stack: false
    .vgpr_count:     0
    .vgpr_spill_count: 0
    .wavefront_size: 32
    .workgroup_processor_mode: 1
  - .args:
      - .offset:         0
        .size:           160
        .value_kind:     by_value
    .group_segment_fixed_size: 0
    .kernarg_segment_align: 8
    .kernarg_segment_size: 160
    .language:       OpenCL C
    .language_version:
      - 2
      - 0
    .max_flat_workgroup_size: 256
    .name:           _ZN7rocprim17ROCPRIM_400000_NS6detail17trampoline_kernelINS0_14default_configENS1_25partition_config_selectorILNS1_17partition_subalgoE6EN6thrust23THRUST_200600_302600_NS5tupleIyyNS7_9null_typeES9_S9_S9_S9_S9_S9_S9_EENS0_10empty_typeEbEEZZNS1_14partition_implILS5_6ELb0ES3_mNS7_12zip_iteratorINS8_INS7_6detail15normal_iteratorINS7_10device_ptrIyEEEESJ_S9_S9_S9_S9_S9_S9_S9_S9_EEEEPSB_SM_NS0_5tupleIJNSE_INS8_ISJ_NS7_16discard_iteratorINS7_11use_defaultEEES9_S9_S9_S9_S9_S9_S9_S9_EEEESB_EEENSN_IJSM_SM_EEESB_PlJNSF_9not_fun_tINSF_14equal_to_valueISA_EEEEEEE10hipError_tPvRmT3_T4_T5_T6_T7_T9_mT8_P12ihipStream_tbDpT10_ENKUlT_T0_E_clISt17integral_constantIbLb1EES1J_EEDaS1E_S1F_EUlS1E_E_NS1_11comp_targetILNS1_3genE10ELNS1_11target_archE1200ELNS1_3gpuE4ELNS1_3repE0EEENS1_30default_config_static_selectorELNS0_4arch9wavefront6targetE0EEEvT1_
    .private_segment_fixed_size: 0
    .sgpr_count:     0
    .sgpr_spill_count: 0
    .symbol:         _ZN7rocprim17ROCPRIM_400000_NS6detail17trampoline_kernelINS0_14default_configENS1_25partition_config_selectorILNS1_17partition_subalgoE6EN6thrust23THRUST_200600_302600_NS5tupleIyyNS7_9null_typeES9_S9_S9_S9_S9_S9_S9_EENS0_10empty_typeEbEEZZNS1_14partition_implILS5_6ELb0ES3_mNS7_12zip_iteratorINS8_INS7_6detail15normal_iteratorINS7_10device_ptrIyEEEESJ_S9_S9_S9_S9_S9_S9_S9_S9_EEEEPSB_SM_NS0_5tupleIJNSE_INS8_ISJ_NS7_16discard_iteratorINS7_11use_defaultEEES9_S9_S9_S9_S9_S9_S9_S9_EEEESB_EEENSN_IJSM_SM_EEESB_PlJNSF_9not_fun_tINSF_14equal_to_valueISA_EEEEEEE10hipError_tPvRmT3_T4_T5_T6_T7_T9_mT8_P12ihipStream_tbDpT10_ENKUlT_T0_E_clISt17integral_constantIbLb1EES1J_EEDaS1E_S1F_EUlS1E_E_NS1_11comp_targetILNS1_3genE10ELNS1_11target_archE1200ELNS1_3gpuE4ELNS1_3repE0EEENS1_30default_config_static_selectorELNS0_4arch9wavefront6targetE0EEEvT1_.kd
    .uniform_work_group_size: 1
    .uses_dynamic_stack: false
    .vgpr_count:     0
    .vgpr_spill_count: 0
    .wavefront_size: 32
    .workgroup_processor_mode: 1
  - .args:
      - .offset:         0
        .size:           160
        .value_kind:     by_value
    .group_segment_fixed_size: 0
    .kernarg_segment_align: 8
    .kernarg_segment_size: 160
    .language:       OpenCL C
    .language_version:
      - 2
      - 0
    .max_flat_workgroup_size: 512
    .name:           _ZN7rocprim17ROCPRIM_400000_NS6detail17trampoline_kernelINS0_14default_configENS1_25partition_config_selectorILNS1_17partition_subalgoE6EN6thrust23THRUST_200600_302600_NS5tupleIyyNS7_9null_typeES9_S9_S9_S9_S9_S9_S9_EENS0_10empty_typeEbEEZZNS1_14partition_implILS5_6ELb0ES3_mNS7_12zip_iteratorINS8_INS7_6detail15normal_iteratorINS7_10device_ptrIyEEEESJ_S9_S9_S9_S9_S9_S9_S9_S9_EEEEPSB_SM_NS0_5tupleIJNSE_INS8_ISJ_NS7_16discard_iteratorINS7_11use_defaultEEES9_S9_S9_S9_S9_S9_S9_S9_EEEESB_EEENSN_IJSM_SM_EEESB_PlJNSF_9not_fun_tINSF_14equal_to_valueISA_EEEEEEE10hipError_tPvRmT3_T4_T5_T6_T7_T9_mT8_P12ihipStream_tbDpT10_ENKUlT_T0_E_clISt17integral_constantIbLb1EES1J_EEDaS1E_S1F_EUlS1E_E_NS1_11comp_targetILNS1_3genE9ELNS1_11target_archE1100ELNS1_3gpuE3ELNS1_3repE0EEENS1_30default_config_static_selectorELNS0_4arch9wavefront6targetE0EEEvT1_
    .private_segment_fixed_size: 0
    .sgpr_count:     0
    .sgpr_spill_count: 0
    .symbol:         _ZN7rocprim17ROCPRIM_400000_NS6detail17trampoline_kernelINS0_14default_configENS1_25partition_config_selectorILNS1_17partition_subalgoE6EN6thrust23THRUST_200600_302600_NS5tupleIyyNS7_9null_typeES9_S9_S9_S9_S9_S9_S9_EENS0_10empty_typeEbEEZZNS1_14partition_implILS5_6ELb0ES3_mNS7_12zip_iteratorINS8_INS7_6detail15normal_iteratorINS7_10device_ptrIyEEEESJ_S9_S9_S9_S9_S9_S9_S9_S9_EEEEPSB_SM_NS0_5tupleIJNSE_INS8_ISJ_NS7_16discard_iteratorINS7_11use_defaultEEES9_S9_S9_S9_S9_S9_S9_S9_EEEESB_EEENSN_IJSM_SM_EEESB_PlJNSF_9not_fun_tINSF_14equal_to_valueISA_EEEEEEE10hipError_tPvRmT3_T4_T5_T6_T7_T9_mT8_P12ihipStream_tbDpT10_ENKUlT_T0_E_clISt17integral_constantIbLb1EES1J_EEDaS1E_S1F_EUlS1E_E_NS1_11comp_targetILNS1_3genE9ELNS1_11target_archE1100ELNS1_3gpuE3ELNS1_3repE0EEENS1_30default_config_static_selectorELNS0_4arch9wavefront6targetE0EEEvT1_.kd
    .uniform_work_group_size: 1
    .uses_dynamic_stack: false
    .vgpr_count:     0
    .vgpr_spill_count: 0
    .wavefront_size: 32
    .workgroup_processor_mode: 1
  - .args:
      - .offset:         0
        .size:           160
        .value_kind:     by_value
    .group_segment_fixed_size: 0
    .kernarg_segment_align: 8
    .kernarg_segment_size: 160
    .language:       OpenCL C
    .language_version:
      - 2
      - 0
    .max_flat_workgroup_size: 256
    .name:           _ZN7rocprim17ROCPRIM_400000_NS6detail17trampoline_kernelINS0_14default_configENS1_25partition_config_selectorILNS1_17partition_subalgoE6EN6thrust23THRUST_200600_302600_NS5tupleIyyNS7_9null_typeES9_S9_S9_S9_S9_S9_S9_EENS0_10empty_typeEbEEZZNS1_14partition_implILS5_6ELb0ES3_mNS7_12zip_iteratorINS8_INS7_6detail15normal_iteratorINS7_10device_ptrIyEEEESJ_S9_S9_S9_S9_S9_S9_S9_S9_EEEEPSB_SM_NS0_5tupleIJNSE_INS8_ISJ_NS7_16discard_iteratorINS7_11use_defaultEEES9_S9_S9_S9_S9_S9_S9_S9_EEEESB_EEENSN_IJSM_SM_EEESB_PlJNSF_9not_fun_tINSF_14equal_to_valueISA_EEEEEEE10hipError_tPvRmT3_T4_T5_T6_T7_T9_mT8_P12ihipStream_tbDpT10_ENKUlT_T0_E_clISt17integral_constantIbLb1EES1J_EEDaS1E_S1F_EUlS1E_E_NS1_11comp_targetILNS1_3genE8ELNS1_11target_archE1030ELNS1_3gpuE2ELNS1_3repE0EEENS1_30default_config_static_selectorELNS0_4arch9wavefront6targetE0EEEvT1_
    .private_segment_fixed_size: 0
    .sgpr_count:     0
    .sgpr_spill_count: 0
    .symbol:         _ZN7rocprim17ROCPRIM_400000_NS6detail17trampoline_kernelINS0_14default_configENS1_25partition_config_selectorILNS1_17partition_subalgoE6EN6thrust23THRUST_200600_302600_NS5tupleIyyNS7_9null_typeES9_S9_S9_S9_S9_S9_S9_EENS0_10empty_typeEbEEZZNS1_14partition_implILS5_6ELb0ES3_mNS7_12zip_iteratorINS8_INS7_6detail15normal_iteratorINS7_10device_ptrIyEEEESJ_S9_S9_S9_S9_S9_S9_S9_S9_EEEEPSB_SM_NS0_5tupleIJNSE_INS8_ISJ_NS7_16discard_iteratorINS7_11use_defaultEEES9_S9_S9_S9_S9_S9_S9_S9_EEEESB_EEENSN_IJSM_SM_EEESB_PlJNSF_9not_fun_tINSF_14equal_to_valueISA_EEEEEEE10hipError_tPvRmT3_T4_T5_T6_T7_T9_mT8_P12ihipStream_tbDpT10_ENKUlT_T0_E_clISt17integral_constantIbLb1EES1J_EEDaS1E_S1F_EUlS1E_E_NS1_11comp_targetILNS1_3genE8ELNS1_11target_archE1030ELNS1_3gpuE2ELNS1_3repE0EEENS1_30default_config_static_selectorELNS0_4arch9wavefront6targetE0EEEvT1_.kd
    .uniform_work_group_size: 1
    .uses_dynamic_stack: false
    .vgpr_count:     0
    .vgpr_spill_count: 0
    .wavefront_size: 32
    .workgroup_processor_mode: 1
  - .args:
      - .offset:         0
        .size:           152
        .value_kind:     by_value
    .group_segment_fixed_size: 0
    .kernarg_segment_align: 8
    .kernarg_segment_size: 152
    .language:       OpenCL C
    .language_version:
      - 2
      - 0
    .max_flat_workgroup_size: 256
    .name:           _ZN7rocprim17ROCPRIM_400000_NS6detail17trampoline_kernelINS0_14default_configENS1_25partition_config_selectorILNS1_17partition_subalgoE6EN6thrust23THRUST_200600_302600_NS5tupleIyyNS7_9null_typeES9_S9_S9_S9_S9_S9_S9_EENS0_10empty_typeEbEEZZNS1_14partition_implILS5_6ELb0ES3_mNS7_12zip_iteratorINS8_INS7_6detail15normal_iteratorINS7_10device_ptrIyEEEESJ_S9_S9_S9_S9_S9_S9_S9_S9_EEEEPSB_SM_NS0_5tupleIJNSE_INS8_ISJ_NS7_16discard_iteratorINS7_11use_defaultEEES9_S9_S9_S9_S9_S9_S9_S9_EEEESB_EEENSN_IJSM_SM_EEESB_PlJNSF_9not_fun_tINSF_14equal_to_valueISA_EEEEEEE10hipError_tPvRmT3_T4_T5_T6_T7_T9_mT8_P12ihipStream_tbDpT10_ENKUlT_T0_E_clISt17integral_constantIbLb1EES1I_IbLb0EEEEDaS1E_S1F_EUlS1E_E_NS1_11comp_targetILNS1_3genE0ELNS1_11target_archE4294967295ELNS1_3gpuE0ELNS1_3repE0EEENS1_30default_config_static_selectorELNS0_4arch9wavefront6targetE0EEEvT1_
    .private_segment_fixed_size: 0
    .sgpr_count:     0
    .sgpr_spill_count: 0
    .symbol:         _ZN7rocprim17ROCPRIM_400000_NS6detail17trampoline_kernelINS0_14default_configENS1_25partition_config_selectorILNS1_17partition_subalgoE6EN6thrust23THRUST_200600_302600_NS5tupleIyyNS7_9null_typeES9_S9_S9_S9_S9_S9_S9_EENS0_10empty_typeEbEEZZNS1_14partition_implILS5_6ELb0ES3_mNS7_12zip_iteratorINS8_INS7_6detail15normal_iteratorINS7_10device_ptrIyEEEESJ_S9_S9_S9_S9_S9_S9_S9_S9_EEEEPSB_SM_NS0_5tupleIJNSE_INS8_ISJ_NS7_16discard_iteratorINS7_11use_defaultEEES9_S9_S9_S9_S9_S9_S9_S9_EEEESB_EEENSN_IJSM_SM_EEESB_PlJNSF_9not_fun_tINSF_14equal_to_valueISA_EEEEEEE10hipError_tPvRmT3_T4_T5_T6_T7_T9_mT8_P12ihipStream_tbDpT10_ENKUlT_T0_E_clISt17integral_constantIbLb1EES1I_IbLb0EEEEDaS1E_S1F_EUlS1E_E_NS1_11comp_targetILNS1_3genE0ELNS1_11target_archE4294967295ELNS1_3gpuE0ELNS1_3repE0EEENS1_30default_config_static_selectorELNS0_4arch9wavefront6targetE0EEEvT1_.kd
    .uniform_work_group_size: 1
    .uses_dynamic_stack: false
    .vgpr_count:     0
    .vgpr_spill_count: 0
    .wavefront_size: 32
    .workgroup_processor_mode: 1
  - .args:
      - .offset:         0
        .size:           152
        .value_kind:     by_value
    .group_segment_fixed_size: 0
    .kernarg_segment_align: 8
    .kernarg_segment_size: 152
    .language:       OpenCL C
    .language_version:
      - 2
      - 0
    .max_flat_workgroup_size: 384
    .name:           _ZN7rocprim17ROCPRIM_400000_NS6detail17trampoline_kernelINS0_14default_configENS1_25partition_config_selectorILNS1_17partition_subalgoE6EN6thrust23THRUST_200600_302600_NS5tupleIyyNS7_9null_typeES9_S9_S9_S9_S9_S9_S9_EENS0_10empty_typeEbEEZZNS1_14partition_implILS5_6ELb0ES3_mNS7_12zip_iteratorINS8_INS7_6detail15normal_iteratorINS7_10device_ptrIyEEEESJ_S9_S9_S9_S9_S9_S9_S9_S9_EEEEPSB_SM_NS0_5tupleIJNSE_INS8_ISJ_NS7_16discard_iteratorINS7_11use_defaultEEES9_S9_S9_S9_S9_S9_S9_S9_EEEESB_EEENSN_IJSM_SM_EEESB_PlJNSF_9not_fun_tINSF_14equal_to_valueISA_EEEEEEE10hipError_tPvRmT3_T4_T5_T6_T7_T9_mT8_P12ihipStream_tbDpT10_ENKUlT_T0_E_clISt17integral_constantIbLb1EES1I_IbLb0EEEEDaS1E_S1F_EUlS1E_E_NS1_11comp_targetILNS1_3genE5ELNS1_11target_archE942ELNS1_3gpuE9ELNS1_3repE0EEENS1_30default_config_static_selectorELNS0_4arch9wavefront6targetE0EEEvT1_
    .private_segment_fixed_size: 0
    .sgpr_count:     0
    .sgpr_spill_count: 0
    .symbol:         _ZN7rocprim17ROCPRIM_400000_NS6detail17trampoline_kernelINS0_14default_configENS1_25partition_config_selectorILNS1_17partition_subalgoE6EN6thrust23THRUST_200600_302600_NS5tupleIyyNS7_9null_typeES9_S9_S9_S9_S9_S9_S9_EENS0_10empty_typeEbEEZZNS1_14partition_implILS5_6ELb0ES3_mNS7_12zip_iteratorINS8_INS7_6detail15normal_iteratorINS7_10device_ptrIyEEEESJ_S9_S9_S9_S9_S9_S9_S9_S9_EEEEPSB_SM_NS0_5tupleIJNSE_INS8_ISJ_NS7_16discard_iteratorINS7_11use_defaultEEES9_S9_S9_S9_S9_S9_S9_S9_EEEESB_EEENSN_IJSM_SM_EEESB_PlJNSF_9not_fun_tINSF_14equal_to_valueISA_EEEEEEE10hipError_tPvRmT3_T4_T5_T6_T7_T9_mT8_P12ihipStream_tbDpT10_ENKUlT_T0_E_clISt17integral_constantIbLb1EES1I_IbLb0EEEEDaS1E_S1F_EUlS1E_E_NS1_11comp_targetILNS1_3genE5ELNS1_11target_archE942ELNS1_3gpuE9ELNS1_3repE0EEENS1_30default_config_static_selectorELNS0_4arch9wavefront6targetE0EEEvT1_.kd
    .uniform_work_group_size: 1
    .uses_dynamic_stack: false
    .vgpr_count:     0
    .vgpr_spill_count: 0
    .wavefront_size: 32
    .workgroup_processor_mode: 1
  - .args:
      - .offset:         0
        .size:           152
        .value_kind:     by_value
    .group_segment_fixed_size: 0
    .kernarg_segment_align: 8
    .kernarg_segment_size: 152
    .language:       OpenCL C
    .language_version:
      - 2
      - 0
    .max_flat_workgroup_size: 256
    .name:           _ZN7rocprim17ROCPRIM_400000_NS6detail17trampoline_kernelINS0_14default_configENS1_25partition_config_selectorILNS1_17partition_subalgoE6EN6thrust23THRUST_200600_302600_NS5tupleIyyNS7_9null_typeES9_S9_S9_S9_S9_S9_S9_EENS0_10empty_typeEbEEZZNS1_14partition_implILS5_6ELb0ES3_mNS7_12zip_iteratorINS8_INS7_6detail15normal_iteratorINS7_10device_ptrIyEEEESJ_S9_S9_S9_S9_S9_S9_S9_S9_EEEEPSB_SM_NS0_5tupleIJNSE_INS8_ISJ_NS7_16discard_iteratorINS7_11use_defaultEEES9_S9_S9_S9_S9_S9_S9_S9_EEEESB_EEENSN_IJSM_SM_EEESB_PlJNSF_9not_fun_tINSF_14equal_to_valueISA_EEEEEEE10hipError_tPvRmT3_T4_T5_T6_T7_T9_mT8_P12ihipStream_tbDpT10_ENKUlT_T0_E_clISt17integral_constantIbLb1EES1I_IbLb0EEEEDaS1E_S1F_EUlS1E_E_NS1_11comp_targetILNS1_3genE4ELNS1_11target_archE910ELNS1_3gpuE8ELNS1_3repE0EEENS1_30default_config_static_selectorELNS0_4arch9wavefront6targetE0EEEvT1_
    .private_segment_fixed_size: 0
    .sgpr_count:     0
    .sgpr_spill_count: 0
    .symbol:         _ZN7rocprim17ROCPRIM_400000_NS6detail17trampoline_kernelINS0_14default_configENS1_25partition_config_selectorILNS1_17partition_subalgoE6EN6thrust23THRUST_200600_302600_NS5tupleIyyNS7_9null_typeES9_S9_S9_S9_S9_S9_S9_EENS0_10empty_typeEbEEZZNS1_14partition_implILS5_6ELb0ES3_mNS7_12zip_iteratorINS8_INS7_6detail15normal_iteratorINS7_10device_ptrIyEEEESJ_S9_S9_S9_S9_S9_S9_S9_S9_EEEEPSB_SM_NS0_5tupleIJNSE_INS8_ISJ_NS7_16discard_iteratorINS7_11use_defaultEEES9_S9_S9_S9_S9_S9_S9_S9_EEEESB_EEENSN_IJSM_SM_EEESB_PlJNSF_9not_fun_tINSF_14equal_to_valueISA_EEEEEEE10hipError_tPvRmT3_T4_T5_T6_T7_T9_mT8_P12ihipStream_tbDpT10_ENKUlT_T0_E_clISt17integral_constantIbLb1EES1I_IbLb0EEEEDaS1E_S1F_EUlS1E_E_NS1_11comp_targetILNS1_3genE4ELNS1_11target_archE910ELNS1_3gpuE8ELNS1_3repE0EEENS1_30default_config_static_selectorELNS0_4arch9wavefront6targetE0EEEvT1_.kd
    .uniform_work_group_size: 1
    .uses_dynamic_stack: false
    .vgpr_count:     0
    .vgpr_spill_count: 0
    .wavefront_size: 32
    .workgroup_processor_mode: 1
  - .args:
      - .offset:         0
        .size:           152
        .value_kind:     by_value
    .group_segment_fixed_size: 0
    .kernarg_segment_align: 8
    .kernarg_segment_size: 152
    .language:       OpenCL C
    .language_version:
      - 2
      - 0
    .max_flat_workgroup_size: 256
    .name:           _ZN7rocprim17ROCPRIM_400000_NS6detail17trampoline_kernelINS0_14default_configENS1_25partition_config_selectorILNS1_17partition_subalgoE6EN6thrust23THRUST_200600_302600_NS5tupleIyyNS7_9null_typeES9_S9_S9_S9_S9_S9_S9_EENS0_10empty_typeEbEEZZNS1_14partition_implILS5_6ELb0ES3_mNS7_12zip_iteratorINS8_INS7_6detail15normal_iteratorINS7_10device_ptrIyEEEESJ_S9_S9_S9_S9_S9_S9_S9_S9_EEEEPSB_SM_NS0_5tupleIJNSE_INS8_ISJ_NS7_16discard_iteratorINS7_11use_defaultEEES9_S9_S9_S9_S9_S9_S9_S9_EEEESB_EEENSN_IJSM_SM_EEESB_PlJNSF_9not_fun_tINSF_14equal_to_valueISA_EEEEEEE10hipError_tPvRmT3_T4_T5_T6_T7_T9_mT8_P12ihipStream_tbDpT10_ENKUlT_T0_E_clISt17integral_constantIbLb1EES1I_IbLb0EEEEDaS1E_S1F_EUlS1E_E_NS1_11comp_targetILNS1_3genE3ELNS1_11target_archE908ELNS1_3gpuE7ELNS1_3repE0EEENS1_30default_config_static_selectorELNS0_4arch9wavefront6targetE0EEEvT1_
    .private_segment_fixed_size: 0
    .sgpr_count:     0
    .sgpr_spill_count: 0
    .symbol:         _ZN7rocprim17ROCPRIM_400000_NS6detail17trampoline_kernelINS0_14default_configENS1_25partition_config_selectorILNS1_17partition_subalgoE6EN6thrust23THRUST_200600_302600_NS5tupleIyyNS7_9null_typeES9_S9_S9_S9_S9_S9_S9_EENS0_10empty_typeEbEEZZNS1_14partition_implILS5_6ELb0ES3_mNS7_12zip_iteratorINS8_INS7_6detail15normal_iteratorINS7_10device_ptrIyEEEESJ_S9_S9_S9_S9_S9_S9_S9_S9_EEEEPSB_SM_NS0_5tupleIJNSE_INS8_ISJ_NS7_16discard_iteratorINS7_11use_defaultEEES9_S9_S9_S9_S9_S9_S9_S9_EEEESB_EEENSN_IJSM_SM_EEESB_PlJNSF_9not_fun_tINSF_14equal_to_valueISA_EEEEEEE10hipError_tPvRmT3_T4_T5_T6_T7_T9_mT8_P12ihipStream_tbDpT10_ENKUlT_T0_E_clISt17integral_constantIbLb1EES1I_IbLb0EEEEDaS1E_S1F_EUlS1E_E_NS1_11comp_targetILNS1_3genE3ELNS1_11target_archE908ELNS1_3gpuE7ELNS1_3repE0EEENS1_30default_config_static_selectorELNS0_4arch9wavefront6targetE0EEEvT1_.kd
    .uniform_work_group_size: 1
    .uses_dynamic_stack: false
    .vgpr_count:     0
    .vgpr_spill_count: 0
    .wavefront_size: 32
    .workgroup_processor_mode: 1
  - .args:
      - .offset:         0
        .size:           152
        .value_kind:     by_value
    .group_segment_fixed_size: 0
    .kernarg_segment_align: 8
    .kernarg_segment_size: 152
    .language:       OpenCL C
    .language_version:
      - 2
      - 0
    .max_flat_workgroup_size: 256
    .name:           _ZN7rocprim17ROCPRIM_400000_NS6detail17trampoline_kernelINS0_14default_configENS1_25partition_config_selectorILNS1_17partition_subalgoE6EN6thrust23THRUST_200600_302600_NS5tupleIyyNS7_9null_typeES9_S9_S9_S9_S9_S9_S9_EENS0_10empty_typeEbEEZZNS1_14partition_implILS5_6ELb0ES3_mNS7_12zip_iteratorINS8_INS7_6detail15normal_iteratorINS7_10device_ptrIyEEEESJ_S9_S9_S9_S9_S9_S9_S9_S9_EEEEPSB_SM_NS0_5tupleIJNSE_INS8_ISJ_NS7_16discard_iteratorINS7_11use_defaultEEES9_S9_S9_S9_S9_S9_S9_S9_EEEESB_EEENSN_IJSM_SM_EEESB_PlJNSF_9not_fun_tINSF_14equal_to_valueISA_EEEEEEE10hipError_tPvRmT3_T4_T5_T6_T7_T9_mT8_P12ihipStream_tbDpT10_ENKUlT_T0_E_clISt17integral_constantIbLb1EES1I_IbLb0EEEEDaS1E_S1F_EUlS1E_E_NS1_11comp_targetILNS1_3genE2ELNS1_11target_archE906ELNS1_3gpuE6ELNS1_3repE0EEENS1_30default_config_static_selectorELNS0_4arch9wavefront6targetE0EEEvT1_
    .private_segment_fixed_size: 0
    .sgpr_count:     0
    .sgpr_spill_count: 0
    .symbol:         _ZN7rocprim17ROCPRIM_400000_NS6detail17trampoline_kernelINS0_14default_configENS1_25partition_config_selectorILNS1_17partition_subalgoE6EN6thrust23THRUST_200600_302600_NS5tupleIyyNS7_9null_typeES9_S9_S9_S9_S9_S9_S9_EENS0_10empty_typeEbEEZZNS1_14partition_implILS5_6ELb0ES3_mNS7_12zip_iteratorINS8_INS7_6detail15normal_iteratorINS7_10device_ptrIyEEEESJ_S9_S9_S9_S9_S9_S9_S9_S9_EEEEPSB_SM_NS0_5tupleIJNSE_INS8_ISJ_NS7_16discard_iteratorINS7_11use_defaultEEES9_S9_S9_S9_S9_S9_S9_S9_EEEESB_EEENSN_IJSM_SM_EEESB_PlJNSF_9not_fun_tINSF_14equal_to_valueISA_EEEEEEE10hipError_tPvRmT3_T4_T5_T6_T7_T9_mT8_P12ihipStream_tbDpT10_ENKUlT_T0_E_clISt17integral_constantIbLb1EES1I_IbLb0EEEEDaS1E_S1F_EUlS1E_E_NS1_11comp_targetILNS1_3genE2ELNS1_11target_archE906ELNS1_3gpuE6ELNS1_3repE0EEENS1_30default_config_static_selectorELNS0_4arch9wavefront6targetE0EEEvT1_.kd
    .uniform_work_group_size: 1
    .uses_dynamic_stack: false
    .vgpr_count:     0
    .vgpr_spill_count: 0
    .wavefront_size: 32
    .workgroup_processor_mode: 1
  - .args:
      - .offset:         0
        .size:           152
        .value_kind:     by_value
    .group_segment_fixed_size: 0
    .kernarg_segment_align: 8
    .kernarg_segment_size: 152
    .language:       OpenCL C
    .language_version:
      - 2
      - 0
    .max_flat_workgroup_size: 256
    .name:           _ZN7rocprim17ROCPRIM_400000_NS6detail17trampoline_kernelINS0_14default_configENS1_25partition_config_selectorILNS1_17partition_subalgoE6EN6thrust23THRUST_200600_302600_NS5tupleIyyNS7_9null_typeES9_S9_S9_S9_S9_S9_S9_EENS0_10empty_typeEbEEZZNS1_14partition_implILS5_6ELb0ES3_mNS7_12zip_iteratorINS8_INS7_6detail15normal_iteratorINS7_10device_ptrIyEEEESJ_S9_S9_S9_S9_S9_S9_S9_S9_EEEEPSB_SM_NS0_5tupleIJNSE_INS8_ISJ_NS7_16discard_iteratorINS7_11use_defaultEEES9_S9_S9_S9_S9_S9_S9_S9_EEEESB_EEENSN_IJSM_SM_EEESB_PlJNSF_9not_fun_tINSF_14equal_to_valueISA_EEEEEEE10hipError_tPvRmT3_T4_T5_T6_T7_T9_mT8_P12ihipStream_tbDpT10_ENKUlT_T0_E_clISt17integral_constantIbLb1EES1I_IbLb0EEEEDaS1E_S1F_EUlS1E_E_NS1_11comp_targetILNS1_3genE10ELNS1_11target_archE1200ELNS1_3gpuE4ELNS1_3repE0EEENS1_30default_config_static_selectorELNS0_4arch9wavefront6targetE0EEEvT1_
    .private_segment_fixed_size: 0
    .sgpr_count:     0
    .sgpr_spill_count: 0
    .symbol:         _ZN7rocprim17ROCPRIM_400000_NS6detail17trampoline_kernelINS0_14default_configENS1_25partition_config_selectorILNS1_17partition_subalgoE6EN6thrust23THRUST_200600_302600_NS5tupleIyyNS7_9null_typeES9_S9_S9_S9_S9_S9_S9_EENS0_10empty_typeEbEEZZNS1_14partition_implILS5_6ELb0ES3_mNS7_12zip_iteratorINS8_INS7_6detail15normal_iteratorINS7_10device_ptrIyEEEESJ_S9_S9_S9_S9_S9_S9_S9_S9_EEEEPSB_SM_NS0_5tupleIJNSE_INS8_ISJ_NS7_16discard_iteratorINS7_11use_defaultEEES9_S9_S9_S9_S9_S9_S9_S9_EEEESB_EEENSN_IJSM_SM_EEESB_PlJNSF_9not_fun_tINSF_14equal_to_valueISA_EEEEEEE10hipError_tPvRmT3_T4_T5_T6_T7_T9_mT8_P12ihipStream_tbDpT10_ENKUlT_T0_E_clISt17integral_constantIbLb1EES1I_IbLb0EEEEDaS1E_S1F_EUlS1E_E_NS1_11comp_targetILNS1_3genE10ELNS1_11target_archE1200ELNS1_3gpuE4ELNS1_3repE0EEENS1_30default_config_static_selectorELNS0_4arch9wavefront6targetE0EEEvT1_.kd
    .uniform_work_group_size: 1
    .uses_dynamic_stack: false
    .vgpr_count:     0
    .vgpr_spill_count: 0
    .wavefront_size: 32
    .workgroup_processor_mode: 1
  - .args:
      - .offset:         0
        .size:           152
        .value_kind:     by_value
    .group_segment_fixed_size: 0
    .kernarg_segment_align: 8
    .kernarg_segment_size: 152
    .language:       OpenCL C
    .language_version:
      - 2
      - 0
    .max_flat_workgroup_size: 512
    .name:           _ZN7rocprim17ROCPRIM_400000_NS6detail17trampoline_kernelINS0_14default_configENS1_25partition_config_selectorILNS1_17partition_subalgoE6EN6thrust23THRUST_200600_302600_NS5tupleIyyNS7_9null_typeES9_S9_S9_S9_S9_S9_S9_EENS0_10empty_typeEbEEZZNS1_14partition_implILS5_6ELb0ES3_mNS7_12zip_iteratorINS8_INS7_6detail15normal_iteratorINS7_10device_ptrIyEEEESJ_S9_S9_S9_S9_S9_S9_S9_S9_EEEEPSB_SM_NS0_5tupleIJNSE_INS8_ISJ_NS7_16discard_iteratorINS7_11use_defaultEEES9_S9_S9_S9_S9_S9_S9_S9_EEEESB_EEENSN_IJSM_SM_EEESB_PlJNSF_9not_fun_tINSF_14equal_to_valueISA_EEEEEEE10hipError_tPvRmT3_T4_T5_T6_T7_T9_mT8_P12ihipStream_tbDpT10_ENKUlT_T0_E_clISt17integral_constantIbLb1EES1I_IbLb0EEEEDaS1E_S1F_EUlS1E_E_NS1_11comp_targetILNS1_3genE9ELNS1_11target_archE1100ELNS1_3gpuE3ELNS1_3repE0EEENS1_30default_config_static_selectorELNS0_4arch9wavefront6targetE0EEEvT1_
    .private_segment_fixed_size: 0
    .sgpr_count:     0
    .sgpr_spill_count: 0
    .symbol:         _ZN7rocprim17ROCPRIM_400000_NS6detail17trampoline_kernelINS0_14default_configENS1_25partition_config_selectorILNS1_17partition_subalgoE6EN6thrust23THRUST_200600_302600_NS5tupleIyyNS7_9null_typeES9_S9_S9_S9_S9_S9_S9_EENS0_10empty_typeEbEEZZNS1_14partition_implILS5_6ELb0ES3_mNS7_12zip_iteratorINS8_INS7_6detail15normal_iteratorINS7_10device_ptrIyEEEESJ_S9_S9_S9_S9_S9_S9_S9_S9_EEEEPSB_SM_NS0_5tupleIJNSE_INS8_ISJ_NS7_16discard_iteratorINS7_11use_defaultEEES9_S9_S9_S9_S9_S9_S9_S9_EEEESB_EEENSN_IJSM_SM_EEESB_PlJNSF_9not_fun_tINSF_14equal_to_valueISA_EEEEEEE10hipError_tPvRmT3_T4_T5_T6_T7_T9_mT8_P12ihipStream_tbDpT10_ENKUlT_T0_E_clISt17integral_constantIbLb1EES1I_IbLb0EEEEDaS1E_S1F_EUlS1E_E_NS1_11comp_targetILNS1_3genE9ELNS1_11target_archE1100ELNS1_3gpuE3ELNS1_3repE0EEENS1_30default_config_static_selectorELNS0_4arch9wavefront6targetE0EEEvT1_.kd
    .uniform_work_group_size: 1
    .uses_dynamic_stack: false
    .vgpr_count:     0
    .vgpr_spill_count: 0
    .wavefront_size: 32
    .workgroup_processor_mode: 1
  - .args:
      - .offset:         0
        .size:           152
        .value_kind:     by_value
    .group_segment_fixed_size: 0
    .kernarg_segment_align: 8
    .kernarg_segment_size: 152
    .language:       OpenCL C
    .language_version:
      - 2
      - 0
    .max_flat_workgroup_size: 256
    .name:           _ZN7rocprim17ROCPRIM_400000_NS6detail17trampoline_kernelINS0_14default_configENS1_25partition_config_selectorILNS1_17partition_subalgoE6EN6thrust23THRUST_200600_302600_NS5tupleIyyNS7_9null_typeES9_S9_S9_S9_S9_S9_S9_EENS0_10empty_typeEbEEZZNS1_14partition_implILS5_6ELb0ES3_mNS7_12zip_iteratorINS8_INS7_6detail15normal_iteratorINS7_10device_ptrIyEEEESJ_S9_S9_S9_S9_S9_S9_S9_S9_EEEEPSB_SM_NS0_5tupleIJNSE_INS8_ISJ_NS7_16discard_iteratorINS7_11use_defaultEEES9_S9_S9_S9_S9_S9_S9_S9_EEEESB_EEENSN_IJSM_SM_EEESB_PlJNSF_9not_fun_tINSF_14equal_to_valueISA_EEEEEEE10hipError_tPvRmT3_T4_T5_T6_T7_T9_mT8_P12ihipStream_tbDpT10_ENKUlT_T0_E_clISt17integral_constantIbLb1EES1I_IbLb0EEEEDaS1E_S1F_EUlS1E_E_NS1_11comp_targetILNS1_3genE8ELNS1_11target_archE1030ELNS1_3gpuE2ELNS1_3repE0EEENS1_30default_config_static_selectorELNS0_4arch9wavefront6targetE0EEEvT1_
    .private_segment_fixed_size: 0
    .sgpr_count:     0
    .sgpr_spill_count: 0
    .symbol:         _ZN7rocprim17ROCPRIM_400000_NS6detail17trampoline_kernelINS0_14default_configENS1_25partition_config_selectorILNS1_17partition_subalgoE6EN6thrust23THRUST_200600_302600_NS5tupleIyyNS7_9null_typeES9_S9_S9_S9_S9_S9_S9_EENS0_10empty_typeEbEEZZNS1_14partition_implILS5_6ELb0ES3_mNS7_12zip_iteratorINS8_INS7_6detail15normal_iteratorINS7_10device_ptrIyEEEESJ_S9_S9_S9_S9_S9_S9_S9_S9_EEEEPSB_SM_NS0_5tupleIJNSE_INS8_ISJ_NS7_16discard_iteratorINS7_11use_defaultEEES9_S9_S9_S9_S9_S9_S9_S9_EEEESB_EEENSN_IJSM_SM_EEESB_PlJNSF_9not_fun_tINSF_14equal_to_valueISA_EEEEEEE10hipError_tPvRmT3_T4_T5_T6_T7_T9_mT8_P12ihipStream_tbDpT10_ENKUlT_T0_E_clISt17integral_constantIbLb1EES1I_IbLb0EEEEDaS1E_S1F_EUlS1E_E_NS1_11comp_targetILNS1_3genE8ELNS1_11target_archE1030ELNS1_3gpuE2ELNS1_3repE0EEENS1_30default_config_static_selectorELNS0_4arch9wavefront6targetE0EEEvT1_.kd
    .uniform_work_group_size: 1
    .uses_dynamic_stack: false
    .vgpr_count:     0
    .vgpr_spill_count: 0
    .wavefront_size: 32
    .workgroup_processor_mode: 1
  - .args:
      - .offset:         0
        .size:           160
        .value_kind:     by_value
    .group_segment_fixed_size: 0
    .kernarg_segment_align: 8
    .kernarg_segment_size: 160
    .language:       OpenCL C
    .language_version:
      - 2
      - 0
    .max_flat_workgroup_size: 256
    .name:           _ZN7rocprim17ROCPRIM_400000_NS6detail17trampoline_kernelINS0_14default_configENS1_25partition_config_selectorILNS1_17partition_subalgoE6EN6thrust23THRUST_200600_302600_NS5tupleIyyNS7_9null_typeES9_S9_S9_S9_S9_S9_S9_EENS0_10empty_typeEbEEZZNS1_14partition_implILS5_6ELb0ES3_mNS7_12zip_iteratorINS8_INS7_6detail15normal_iteratorINS7_10device_ptrIyEEEESJ_S9_S9_S9_S9_S9_S9_S9_S9_EEEEPSB_SM_NS0_5tupleIJNSE_INS8_ISJ_NS7_16discard_iteratorINS7_11use_defaultEEES9_S9_S9_S9_S9_S9_S9_S9_EEEESB_EEENSN_IJSM_SM_EEESB_PlJNSF_9not_fun_tINSF_14equal_to_valueISA_EEEEEEE10hipError_tPvRmT3_T4_T5_T6_T7_T9_mT8_P12ihipStream_tbDpT10_ENKUlT_T0_E_clISt17integral_constantIbLb0EES1I_IbLb1EEEEDaS1E_S1F_EUlS1E_E_NS1_11comp_targetILNS1_3genE0ELNS1_11target_archE4294967295ELNS1_3gpuE0ELNS1_3repE0EEENS1_30default_config_static_selectorELNS0_4arch9wavefront6targetE0EEEvT1_
    .private_segment_fixed_size: 0
    .sgpr_count:     0
    .sgpr_spill_count: 0
    .symbol:         _ZN7rocprim17ROCPRIM_400000_NS6detail17trampoline_kernelINS0_14default_configENS1_25partition_config_selectorILNS1_17partition_subalgoE6EN6thrust23THRUST_200600_302600_NS5tupleIyyNS7_9null_typeES9_S9_S9_S9_S9_S9_S9_EENS0_10empty_typeEbEEZZNS1_14partition_implILS5_6ELb0ES3_mNS7_12zip_iteratorINS8_INS7_6detail15normal_iteratorINS7_10device_ptrIyEEEESJ_S9_S9_S9_S9_S9_S9_S9_S9_EEEEPSB_SM_NS0_5tupleIJNSE_INS8_ISJ_NS7_16discard_iteratorINS7_11use_defaultEEES9_S9_S9_S9_S9_S9_S9_S9_EEEESB_EEENSN_IJSM_SM_EEESB_PlJNSF_9not_fun_tINSF_14equal_to_valueISA_EEEEEEE10hipError_tPvRmT3_T4_T5_T6_T7_T9_mT8_P12ihipStream_tbDpT10_ENKUlT_T0_E_clISt17integral_constantIbLb0EES1I_IbLb1EEEEDaS1E_S1F_EUlS1E_E_NS1_11comp_targetILNS1_3genE0ELNS1_11target_archE4294967295ELNS1_3gpuE0ELNS1_3repE0EEENS1_30default_config_static_selectorELNS0_4arch9wavefront6targetE0EEEvT1_.kd
    .uniform_work_group_size: 1
    .uses_dynamic_stack: false
    .vgpr_count:     0
    .vgpr_spill_count: 0
    .wavefront_size: 32
    .workgroup_processor_mode: 1
  - .args:
      - .offset:         0
        .size:           160
        .value_kind:     by_value
    .group_segment_fixed_size: 0
    .kernarg_segment_align: 8
    .kernarg_segment_size: 160
    .language:       OpenCL C
    .language_version:
      - 2
      - 0
    .max_flat_workgroup_size: 384
    .name:           _ZN7rocprim17ROCPRIM_400000_NS6detail17trampoline_kernelINS0_14default_configENS1_25partition_config_selectorILNS1_17partition_subalgoE6EN6thrust23THRUST_200600_302600_NS5tupleIyyNS7_9null_typeES9_S9_S9_S9_S9_S9_S9_EENS0_10empty_typeEbEEZZNS1_14partition_implILS5_6ELb0ES3_mNS7_12zip_iteratorINS8_INS7_6detail15normal_iteratorINS7_10device_ptrIyEEEESJ_S9_S9_S9_S9_S9_S9_S9_S9_EEEEPSB_SM_NS0_5tupleIJNSE_INS8_ISJ_NS7_16discard_iteratorINS7_11use_defaultEEES9_S9_S9_S9_S9_S9_S9_S9_EEEESB_EEENSN_IJSM_SM_EEESB_PlJNSF_9not_fun_tINSF_14equal_to_valueISA_EEEEEEE10hipError_tPvRmT3_T4_T5_T6_T7_T9_mT8_P12ihipStream_tbDpT10_ENKUlT_T0_E_clISt17integral_constantIbLb0EES1I_IbLb1EEEEDaS1E_S1F_EUlS1E_E_NS1_11comp_targetILNS1_3genE5ELNS1_11target_archE942ELNS1_3gpuE9ELNS1_3repE0EEENS1_30default_config_static_selectorELNS0_4arch9wavefront6targetE0EEEvT1_
    .private_segment_fixed_size: 0
    .sgpr_count:     0
    .sgpr_spill_count: 0
    .symbol:         _ZN7rocprim17ROCPRIM_400000_NS6detail17trampoline_kernelINS0_14default_configENS1_25partition_config_selectorILNS1_17partition_subalgoE6EN6thrust23THRUST_200600_302600_NS5tupleIyyNS7_9null_typeES9_S9_S9_S9_S9_S9_S9_EENS0_10empty_typeEbEEZZNS1_14partition_implILS5_6ELb0ES3_mNS7_12zip_iteratorINS8_INS7_6detail15normal_iteratorINS7_10device_ptrIyEEEESJ_S9_S9_S9_S9_S9_S9_S9_S9_EEEEPSB_SM_NS0_5tupleIJNSE_INS8_ISJ_NS7_16discard_iteratorINS7_11use_defaultEEES9_S9_S9_S9_S9_S9_S9_S9_EEEESB_EEENSN_IJSM_SM_EEESB_PlJNSF_9not_fun_tINSF_14equal_to_valueISA_EEEEEEE10hipError_tPvRmT3_T4_T5_T6_T7_T9_mT8_P12ihipStream_tbDpT10_ENKUlT_T0_E_clISt17integral_constantIbLb0EES1I_IbLb1EEEEDaS1E_S1F_EUlS1E_E_NS1_11comp_targetILNS1_3genE5ELNS1_11target_archE942ELNS1_3gpuE9ELNS1_3repE0EEENS1_30default_config_static_selectorELNS0_4arch9wavefront6targetE0EEEvT1_.kd
    .uniform_work_group_size: 1
    .uses_dynamic_stack: false
    .vgpr_count:     0
    .vgpr_spill_count: 0
    .wavefront_size: 32
    .workgroup_processor_mode: 1
  - .args:
      - .offset:         0
        .size:           160
        .value_kind:     by_value
    .group_segment_fixed_size: 0
    .kernarg_segment_align: 8
    .kernarg_segment_size: 160
    .language:       OpenCL C
    .language_version:
      - 2
      - 0
    .max_flat_workgroup_size: 256
    .name:           _ZN7rocprim17ROCPRIM_400000_NS6detail17trampoline_kernelINS0_14default_configENS1_25partition_config_selectorILNS1_17partition_subalgoE6EN6thrust23THRUST_200600_302600_NS5tupleIyyNS7_9null_typeES9_S9_S9_S9_S9_S9_S9_EENS0_10empty_typeEbEEZZNS1_14partition_implILS5_6ELb0ES3_mNS7_12zip_iteratorINS8_INS7_6detail15normal_iteratorINS7_10device_ptrIyEEEESJ_S9_S9_S9_S9_S9_S9_S9_S9_EEEEPSB_SM_NS0_5tupleIJNSE_INS8_ISJ_NS7_16discard_iteratorINS7_11use_defaultEEES9_S9_S9_S9_S9_S9_S9_S9_EEEESB_EEENSN_IJSM_SM_EEESB_PlJNSF_9not_fun_tINSF_14equal_to_valueISA_EEEEEEE10hipError_tPvRmT3_T4_T5_T6_T7_T9_mT8_P12ihipStream_tbDpT10_ENKUlT_T0_E_clISt17integral_constantIbLb0EES1I_IbLb1EEEEDaS1E_S1F_EUlS1E_E_NS1_11comp_targetILNS1_3genE4ELNS1_11target_archE910ELNS1_3gpuE8ELNS1_3repE0EEENS1_30default_config_static_selectorELNS0_4arch9wavefront6targetE0EEEvT1_
    .private_segment_fixed_size: 0
    .sgpr_count:     0
    .sgpr_spill_count: 0
    .symbol:         _ZN7rocprim17ROCPRIM_400000_NS6detail17trampoline_kernelINS0_14default_configENS1_25partition_config_selectorILNS1_17partition_subalgoE6EN6thrust23THRUST_200600_302600_NS5tupleIyyNS7_9null_typeES9_S9_S9_S9_S9_S9_S9_EENS0_10empty_typeEbEEZZNS1_14partition_implILS5_6ELb0ES3_mNS7_12zip_iteratorINS8_INS7_6detail15normal_iteratorINS7_10device_ptrIyEEEESJ_S9_S9_S9_S9_S9_S9_S9_S9_EEEEPSB_SM_NS0_5tupleIJNSE_INS8_ISJ_NS7_16discard_iteratorINS7_11use_defaultEEES9_S9_S9_S9_S9_S9_S9_S9_EEEESB_EEENSN_IJSM_SM_EEESB_PlJNSF_9not_fun_tINSF_14equal_to_valueISA_EEEEEEE10hipError_tPvRmT3_T4_T5_T6_T7_T9_mT8_P12ihipStream_tbDpT10_ENKUlT_T0_E_clISt17integral_constantIbLb0EES1I_IbLb1EEEEDaS1E_S1F_EUlS1E_E_NS1_11comp_targetILNS1_3genE4ELNS1_11target_archE910ELNS1_3gpuE8ELNS1_3repE0EEENS1_30default_config_static_selectorELNS0_4arch9wavefront6targetE0EEEvT1_.kd
    .uniform_work_group_size: 1
    .uses_dynamic_stack: false
    .vgpr_count:     0
    .vgpr_spill_count: 0
    .wavefront_size: 32
    .workgroup_processor_mode: 1
  - .args:
      - .offset:         0
        .size:           160
        .value_kind:     by_value
    .group_segment_fixed_size: 0
    .kernarg_segment_align: 8
    .kernarg_segment_size: 160
    .language:       OpenCL C
    .language_version:
      - 2
      - 0
    .max_flat_workgroup_size: 256
    .name:           _ZN7rocprim17ROCPRIM_400000_NS6detail17trampoline_kernelINS0_14default_configENS1_25partition_config_selectorILNS1_17partition_subalgoE6EN6thrust23THRUST_200600_302600_NS5tupleIyyNS7_9null_typeES9_S9_S9_S9_S9_S9_S9_EENS0_10empty_typeEbEEZZNS1_14partition_implILS5_6ELb0ES3_mNS7_12zip_iteratorINS8_INS7_6detail15normal_iteratorINS7_10device_ptrIyEEEESJ_S9_S9_S9_S9_S9_S9_S9_S9_EEEEPSB_SM_NS0_5tupleIJNSE_INS8_ISJ_NS7_16discard_iteratorINS7_11use_defaultEEES9_S9_S9_S9_S9_S9_S9_S9_EEEESB_EEENSN_IJSM_SM_EEESB_PlJNSF_9not_fun_tINSF_14equal_to_valueISA_EEEEEEE10hipError_tPvRmT3_T4_T5_T6_T7_T9_mT8_P12ihipStream_tbDpT10_ENKUlT_T0_E_clISt17integral_constantIbLb0EES1I_IbLb1EEEEDaS1E_S1F_EUlS1E_E_NS1_11comp_targetILNS1_3genE3ELNS1_11target_archE908ELNS1_3gpuE7ELNS1_3repE0EEENS1_30default_config_static_selectorELNS0_4arch9wavefront6targetE0EEEvT1_
    .private_segment_fixed_size: 0
    .sgpr_count:     0
    .sgpr_spill_count: 0
    .symbol:         _ZN7rocprim17ROCPRIM_400000_NS6detail17trampoline_kernelINS0_14default_configENS1_25partition_config_selectorILNS1_17partition_subalgoE6EN6thrust23THRUST_200600_302600_NS5tupleIyyNS7_9null_typeES9_S9_S9_S9_S9_S9_S9_EENS0_10empty_typeEbEEZZNS1_14partition_implILS5_6ELb0ES3_mNS7_12zip_iteratorINS8_INS7_6detail15normal_iteratorINS7_10device_ptrIyEEEESJ_S9_S9_S9_S9_S9_S9_S9_S9_EEEEPSB_SM_NS0_5tupleIJNSE_INS8_ISJ_NS7_16discard_iteratorINS7_11use_defaultEEES9_S9_S9_S9_S9_S9_S9_S9_EEEESB_EEENSN_IJSM_SM_EEESB_PlJNSF_9not_fun_tINSF_14equal_to_valueISA_EEEEEEE10hipError_tPvRmT3_T4_T5_T6_T7_T9_mT8_P12ihipStream_tbDpT10_ENKUlT_T0_E_clISt17integral_constantIbLb0EES1I_IbLb1EEEEDaS1E_S1F_EUlS1E_E_NS1_11comp_targetILNS1_3genE3ELNS1_11target_archE908ELNS1_3gpuE7ELNS1_3repE0EEENS1_30default_config_static_selectorELNS0_4arch9wavefront6targetE0EEEvT1_.kd
    .uniform_work_group_size: 1
    .uses_dynamic_stack: false
    .vgpr_count:     0
    .vgpr_spill_count: 0
    .wavefront_size: 32
    .workgroup_processor_mode: 1
  - .args:
      - .offset:         0
        .size:           160
        .value_kind:     by_value
    .group_segment_fixed_size: 0
    .kernarg_segment_align: 8
    .kernarg_segment_size: 160
    .language:       OpenCL C
    .language_version:
      - 2
      - 0
    .max_flat_workgroup_size: 256
    .name:           _ZN7rocprim17ROCPRIM_400000_NS6detail17trampoline_kernelINS0_14default_configENS1_25partition_config_selectorILNS1_17partition_subalgoE6EN6thrust23THRUST_200600_302600_NS5tupleIyyNS7_9null_typeES9_S9_S9_S9_S9_S9_S9_EENS0_10empty_typeEbEEZZNS1_14partition_implILS5_6ELb0ES3_mNS7_12zip_iteratorINS8_INS7_6detail15normal_iteratorINS7_10device_ptrIyEEEESJ_S9_S9_S9_S9_S9_S9_S9_S9_EEEEPSB_SM_NS0_5tupleIJNSE_INS8_ISJ_NS7_16discard_iteratorINS7_11use_defaultEEES9_S9_S9_S9_S9_S9_S9_S9_EEEESB_EEENSN_IJSM_SM_EEESB_PlJNSF_9not_fun_tINSF_14equal_to_valueISA_EEEEEEE10hipError_tPvRmT3_T4_T5_T6_T7_T9_mT8_P12ihipStream_tbDpT10_ENKUlT_T0_E_clISt17integral_constantIbLb0EES1I_IbLb1EEEEDaS1E_S1F_EUlS1E_E_NS1_11comp_targetILNS1_3genE2ELNS1_11target_archE906ELNS1_3gpuE6ELNS1_3repE0EEENS1_30default_config_static_selectorELNS0_4arch9wavefront6targetE0EEEvT1_
    .private_segment_fixed_size: 0
    .sgpr_count:     0
    .sgpr_spill_count: 0
    .symbol:         _ZN7rocprim17ROCPRIM_400000_NS6detail17trampoline_kernelINS0_14default_configENS1_25partition_config_selectorILNS1_17partition_subalgoE6EN6thrust23THRUST_200600_302600_NS5tupleIyyNS7_9null_typeES9_S9_S9_S9_S9_S9_S9_EENS0_10empty_typeEbEEZZNS1_14partition_implILS5_6ELb0ES3_mNS7_12zip_iteratorINS8_INS7_6detail15normal_iteratorINS7_10device_ptrIyEEEESJ_S9_S9_S9_S9_S9_S9_S9_S9_EEEEPSB_SM_NS0_5tupleIJNSE_INS8_ISJ_NS7_16discard_iteratorINS7_11use_defaultEEES9_S9_S9_S9_S9_S9_S9_S9_EEEESB_EEENSN_IJSM_SM_EEESB_PlJNSF_9not_fun_tINSF_14equal_to_valueISA_EEEEEEE10hipError_tPvRmT3_T4_T5_T6_T7_T9_mT8_P12ihipStream_tbDpT10_ENKUlT_T0_E_clISt17integral_constantIbLb0EES1I_IbLb1EEEEDaS1E_S1F_EUlS1E_E_NS1_11comp_targetILNS1_3genE2ELNS1_11target_archE906ELNS1_3gpuE6ELNS1_3repE0EEENS1_30default_config_static_selectorELNS0_4arch9wavefront6targetE0EEEvT1_.kd
    .uniform_work_group_size: 1
    .uses_dynamic_stack: false
    .vgpr_count:     0
    .vgpr_spill_count: 0
    .wavefront_size: 32
    .workgroup_processor_mode: 1
  - .args:
      - .offset:         0
        .size:           160
        .value_kind:     by_value
    .group_segment_fixed_size: 12304
    .kernarg_segment_align: 8
    .kernarg_segment_size: 160
    .language:       OpenCL C
    .language_version:
      - 2
      - 0
    .max_flat_workgroup_size: 256
    .name:           _ZN7rocprim17ROCPRIM_400000_NS6detail17trampoline_kernelINS0_14default_configENS1_25partition_config_selectorILNS1_17partition_subalgoE6EN6thrust23THRUST_200600_302600_NS5tupleIyyNS7_9null_typeES9_S9_S9_S9_S9_S9_S9_EENS0_10empty_typeEbEEZZNS1_14partition_implILS5_6ELb0ES3_mNS7_12zip_iteratorINS8_INS7_6detail15normal_iteratorINS7_10device_ptrIyEEEESJ_S9_S9_S9_S9_S9_S9_S9_S9_EEEEPSB_SM_NS0_5tupleIJNSE_INS8_ISJ_NS7_16discard_iteratorINS7_11use_defaultEEES9_S9_S9_S9_S9_S9_S9_S9_EEEESB_EEENSN_IJSM_SM_EEESB_PlJNSF_9not_fun_tINSF_14equal_to_valueISA_EEEEEEE10hipError_tPvRmT3_T4_T5_T6_T7_T9_mT8_P12ihipStream_tbDpT10_ENKUlT_T0_E_clISt17integral_constantIbLb0EES1I_IbLb1EEEEDaS1E_S1F_EUlS1E_E_NS1_11comp_targetILNS1_3genE10ELNS1_11target_archE1200ELNS1_3gpuE4ELNS1_3repE0EEENS1_30default_config_static_selectorELNS0_4arch9wavefront6targetE0EEEvT1_
    .private_segment_fixed_size: 0
    .sgpr_count:     28
    .sgpr_spill_count: 0
    .symbol:         _ZN7rocprim17ROCPRIM_400000_NS6detail17trampoline_kernelINS0_14default_configENS1_25partition_config_selectorILNS1_17partition_subalgoE6EN6thrust23THRUST_200600_302600_NS5tupleIyyNS7_9null_typeES9_S9_S9_S9_S9_S9_S9_EENS0_10empty_typeEbEEZZNS1_14partition_implILS5_6ELb0ES3_mNS7_12zip_iteratorINS8_INS7_6detail15normal_iteratorINS7_10device_ptrIyEEEESJ_S9_S9_S9_S9_S9_S9_S9_S9_EEEEPSB_SM_NS0_5tupleIJNSE_INS8_ISJ_NS7_16discard_iteratorINS7_11use_defaultEEES9_S9_S9_S9_S9_S9_S9_S9_EEEESB_EEENSN_IJSM_SM_EEESB_PlJNSF_9not_fun_tINSF_14equal_to_valueISA_EEEEEEE10hipError_tPvRmT3_T4_T5_T6_T7_T9_mT8_P12ihipStream_tbDpT10_ENKUlT_T0_E_clISt17integral_constantIbLb0EES1I_IbLb1EEEEDaS1E_S1F_EUlS1E_E_NS1_11comp_targetILNS1_3genE10ELNS1_11target_archE1200ELNS1_3gpuE4ELNS1_3repE0EEENS1_30default_config_static_selectorELNS0_4arch9wavefront6targetE0EEEvT1_.kd
    .uniform_work_group_size: 1
    .uses_dynamic_stack: false
    .vgpr_count:     51
    .vgpr_spill_count: 0
    .wavefront_size: 32
    .workgroup_processor_mode: 1
  - .args:
      - .offset:         0
        .size:           160
        .value_kind:     by_value
    .group_segment_fixed_size: 0
    .kernarg_segment_align: 8
    .kernarg_segment_size: 160
    .language:       OpenCL C
    .language_version:
      - 2
      - 0
    .max_flat_workgroup_size: 512
    .name:           _ZN7rocprim17ROCPRIM_400000_NS6detail17trampoline_kernelINS0_14default_configENS1_25partition_config_selectorILNS1_17partition_subalgoE6EN6thrust23THRUST_200600_302600_NS5tupleIyyNS7_9null_typeES9_S9_S9_S9_S9_S9_S9_EENS0_10empty_typeEbEEZZNS1_14partition_implILS5_6ELb0ES3_mNS7_12zip_iteratorINS8_INS7_6detail15normal_iteratorINS7_10device_ptrIyEEEESJ_S9_S9_S9_S9_S9_S9_S9_S9_EEEEPSB_SM_NS0_5tupleIJNSE_INS8_ISJ_NS7_16discard_iteratorINS7_11use_defaultEEES9_S9_S9_S9_S9_S9_S9_S9_EEEESB_EEENSN_IJSM_SM_EEESB_PlJNSF_9not_fun_tINSF_14equal_to_valueISA_EEEEEEE10hipError_tPvRmT3_T4_T5_T6_T7_T9_mT8_P12ihipStream_tbDpT10_ENKUlT_T0_E_clISt17integral_constantIbLb0EES1I_IbLb1EEEEDaS1E_S1F_EUlS1E_E_NS1_11comp_targetILNS1_3genE9ELNS1_11target_archE1100ELNS1_3gpuE3ELNS1_3repE0EEENS1_30default_config_static_selectorELNS0_4arch9wavefront6targetE0EEEvT1_
    .private_segment_fixed_size: 0
    .sgpr_count:     0
    .sgpr_spill_count: 0
    .symbol:         _ZN7rocprim17ROCPRIM_400000_NS6detail17trampoline_kernelINS0_14default_configENS1_25partition_config_selectorILNS1_17partition_subalgoE6EN6thrust23THRUST_200600_302600_NS5tupleIyyNS7_9null_typeES9_S9_S9_S9_S9_S9_S9_EENS0_10empty_typeEbEEZZNS1_14partition_implILS5_6ELb0ES3_mNS7_12zip_iteratorINS8_INS7_6detail15normal_iteratorINS7_10device_ptrIyEEEESJ_S9_S9_S9_S9_S9_S9_S9_S9_EEEEPSB_SM_NS0_5tupleIJNSE_INS8_ISJ_NS7_16discard_iteratorINS7_11use_defaultEEES9_S9_S9_S9_S9_S9_S9_S9_EEEESB_EEENSN_IJSM_SM_EEESB_PlJNSF_9not_fun_tINSF_14equal_to_valueISA_EEEEEEE10hipError_tPvRmT3_T4_T5_T6_T7_T9_mT8_P12ihipStream_tbDpT10_ENKUlT_T0_E_clISt17integral_constantIbLb0EES1I_IbLb1EEEEDaS1E_S1F_EUlS1E_E_NS1_11comp_targetILNS1_3genE9ELNS1_11target_archE1100ELNS1_3gpuE3ELNS1_3repE0EEENS1_30default_config_static_selectorELNS0_4arch9wavefront6targetE0EEEvT1_.kd
    .uniform_work_group_size: 1
    .uses_dynamic_stack: false
    .vgpr_count:     0
    .vgpr_spill_count: 0
    .wavefront_size: 32
    .workgroup_processor_mode: 1
  - .args:
      - .offset:         0
        .size:           160
        .value_kind:     by_value
    .group_segment_fixed_size: 0
    .kernarg_segment_align: 8
    .kernarg_segment_size: 160
    .language:       OpenCL C
    .language_version:
      - 2
      - 0
    .max_flat_workgroup_size: 256
    .name:           _ZN7rocprim17ROCPRIM_400000_NS6detail17trampoline_kernelINS0_14default_configENS1_25partition_config_selectorILNS1_17partition_subalgoE6EN6thrust23THRUST_200600_302600_NS5tupleIyyNS7_9null_typeES9_S9_S9_S9_S9_S9_S9_EENS0_10empty_typeEbEEZZNS1_14partition_implILS5_6ELb0ES3_mNS7_12zip_iteratorINS8_INS7_6detail15normal_iteratorINS7_10device_ptrIyEEEESJ_S9_S9_S9_S9_S9_S9_S9_S9_EEEEPSB_SM_NS0_5tupleIJNSE_INS8_ISJ_NS7_16discard_iteratorINS7_11use_defaultEEES9_S9_S9_S9_S9_S9_S9_S9_EEEESB_EEENSN_IJSM_SM_EEESB_PlJNSF_9not_fun_tINSF_14equal_to_valueISA_EEEEEEE10hipError_tPvRmT3_T4_T5_T6_T7_T9_mT8_P12ihipStream_tbDpT10_ENKUlT_T0_E_clISt17integral_constantIbLb0EES1I_IbLb1EEEEDaS1E_S1F_EUlS1E_E_NS1_11comp_targetILNS1_3genE8ELNS1_11target_archE1030ELNS1_3gpuE2ELNS1_3repE0EEENS1_30default_config_static_selectorELNS0_4arch9wavefront6targetE0EEEvT1_
    .private_segment_fixed_size: 0
    .sgpr_count:     0
    .sgpr_spill_count: 0
    .symbol:         _ZN7rocprim17ROCPRIM_400000_NS6detail17trampoline_kernelINS0_14default_configENS1_25partition_config_selectorILNS1_17partition_subalgoE6EN6thrust23THRUST_200600_302600_NS5tupleIyyNS7_9null_typeES9_S9_S9_S9_S9_S9_S9_EENS0_10empty_typeEbEEZZNS1_14partition_implILS5_6ELb0ES3_mNS7_12zip_iteratorINS8_INS7_6detail15normal_iteratorINS7_10device_ptrIyEEEESJ_S9_S9_S9_S9_S9_S9_S9_S9_EEEEPSB_SM_NS0_5tupleIJNSE_INS8_ISJ_NS7_16discard_iteratorINS7_11use_defaultEEES9_S9_S9_S9_S9_S9_S9_S9_EEEESB_EEENSN_IJSM_SM_EEESB_PlJNSF_9not_fun_tINSF_14equal_to_valueISA_EEEEEEE10hipError_tPvRmT3_T4_T5_T6_T7_T9_mT8_P12ihipStream_tbDpT10_ENKUlT_T0_E_clISt17integral_constantIbLb0EES1I_IbLb1EEEEDaS1E_S1F_EUlS1E_E_NS1_11comp_targetILNS1_3genE8ELNS1_11target_archE1030ELNS1_3gpuE2ELNS1_3repE0EEENS1_30default_config_static_selectorELNS0_4arch9wavefront6targetE0EEEvT1_.kd
    .uniform_work_group_size: 1
    .uses_dynamic_stack: false
    .vgpr_count:     0
    .vgpr_spill_count: 0
    .wavefront_size: 32
    .workgroup_processor_mode: 1
  - .args:
      - .offset:         0
        .size:           144
        .value_kind:     by_value
    .group_segment_fixed_size: 0
    .kernarg_segment_align: 8
    .kernarg_segment_size: 144
    .language:       OpenCL C
    .language_version:
      - 2
      - 0
    .max_flat_workgroup_size: 128
    .name:           _ZN7rocprim17ROCPRIM_400000_NS6detail17trampoline_kernelINS0_14default_configENS1_25partition_config_selectorILNS1_17partition_subalgoE6EN6thrust23THRUST_200600_302600_NS5tupleIjjNS7_9null_typeES9_S9_S9_S9_S9_S9_S9_EENS0_10empty_typeEbEEZZNS1_14partition_implILS5_6ELb0ES3_mNS7_12zip_iteratorINS8_INS7_6detail15normal_iteratorINS7_10device_ptrIjEEEESJ_S9_S9_S9_S9_S9_S9_S9_S9_EEEEPSB_SM_NS0_5tupleIJNSE_INS8_ISJ_NS7_16discard_iteratorINS7_11use_defaultEEES9_S9_S9_S9_S9_S9_S9_S9_EEEESB_EEENSN_IJSM_SM_EEESB_PlJNSF_9not_fun_tINSF_14equal_to_valueISA_EEEEEEE10hipError_tPvRmT3_T4_T5_T6_T7_T9_mT8_P12ihipStream_tbDpT10_ENKUlT_T0_E_clISt17integral_constantIbLb0EES1J_EEDaS1E_S1F_EUlS1E_E_NS1_11comp_targetILNS1_3genE0ELNS1_11target_archE4294967295ELNS1_3gpuE0ELNS1_3repE0EEENS1_30default_config_static_selectorELNS0_4arch9wavefront6targetE0EEEvT1_
    .private_segment_fixed_size: 0
    .sgpr_count:     0
    .sgpr_spill_count: 0
    .symbol:         _ZN7rocprim17ROCPRIM_400000_NS6detail17trampoline_kernelINS0_14default_configENS1_25partition_config_selectorILNS1_17partition_subalgoE6EN6thrust23THRUST_200600_302600_NS5tupleIjjNS7_9null_typeES9_S9_S9_S9_S9_S9_S9_EENS0_10empty_typeEbEEZZNS1_14partition_implILS5_6ELb0ES3_mNS7_12zip_iteratorINS8_INS7_6detail15normal_iteratorINS7_10device_ptrIjEEEESJ_S9_S9_S9_S9_S9_S9_S9_S9_EEEEPSB_SM_NS0_5tupleIJNSE_INS8_ISJ_NS7_16discard_iteratorINS7_11use_defaultEEES9_S9_S9_S9_S9_S9_S9_S9_EEEESB_EEENSN_IJSM_SM_EEESB_PlJNSF_9not_fun_tINSF_14equal_to_valueISA_EEEEEEE10hipError_tPvRmT3_T4_T5_T6_T7_T9_mT8_P12ihipStream_tbDpT10_ENKUlT_T0_E_clISt17integral_constantIbLb0EES1J_EEDaS1E_S1F_EUlS1E_E_NS1_11comp_targetILNS1_3genE0ELNS1_11target_archE4294967295ELNS1_3gpuE0ELNS1_3repE0EEENS1_30default_config_static_selectorELNS0_4arch9wavefront6targetE0EEEvT1_.kd
    .uniform_work_group_size: 1
    .uses_dynamic_stack: false
    .vgpr_count:     0
    .vgpr_spill_count: 0
    .wavefront_size: 32
    .workgroup_processor_mode: 1
  - .args:
      - .offset:         0
        .size:           144
        .value_kind:     by_value
    .group_segment_fixed_size: 0
    .kernarg_segment_align: 8
    .kernarg_segment_size: 144
    .language:       OpenCL C
    .language_version:
      - 2
      - 0
    .max_flat_workgroup_size: 512
    .name:           _ZN7rocprim17ROCPRIM_400000_NS6detail17trampoline_kernelINS0_14default_configENS1_25partition_config_selectorILNS1_17partition_subalgoE6EN6thrust23THRUST_200600_302600_NS5tupleIjjNS7_9null_typeES9_S9_S9_S9_S9_S9_S9_EENS0_10empty_typeEbEEZZNS1_14partition_implILS5_6ELb0ES3_mNS7_12zip_iteratorINS8_INS7_6detail15normal_iteratorINS7_10device_ptrIjEEEESJ_S9_S9_S9_S9_S9_S9_S9_S9_EEEEPSB_SM_NS0_5tupleIJNSE_INS8_ISJ_NS7_16discard_iteratorINS7_11use_defaultEEES9_S9_S9_S9_S9_S9_S9_S9_EEEESB_EEENSN_IJSM_SM_EEESB_PlJNSF_9not_fun_tINSF_14equal_to_valueISA_EEEEEEE10hipError_tPvRmT3_T4_T5_T6_T7_T9_mT8_P12ihipStream_tbDpT10_ENKUlT_T0_E_clISt17integral_constantIbLb0EES1J_EEDaS1E_S1F_EUlS1E_E_NS1_11comp_targetILNS1_3genE5ELNS1_11target_archE942ELNS1_3gpuE9ELNS1_3repE0EEENS1_30default_config_static_selectorELNS0_4arch9wavefront6targetE0EEEvT1_
    .private_segment_fixed_size: 0
    .sgpr_count:     0
    .sgpr_spill_count: 0
    .symbol:         _ZN7rocprim17ROCPRIM_400000_NS6detail17trampoline_kernelINS0_14default_configENS1_25partition_config_selectorILNS1_17partition_subalgoE6EN6thrust23THRUST_200600_302600_NS5tupleIjjNS7_9null_typeES9_S9_S9_S9_S9_S9_S9_EENS0_10empty_typeEbEEZZNS1_14partition_implILS5_6ELb0ES3_mNS7_12zip_iteratorINS8_INS7_6detail15normal_iteratorINS7_10device_ptrIjEEEESJ_S9_S9_S9_S9_S9_S9_S9_S9_EEEEPSB_SM_NS0_5tupleIJNSE_INS8_ISJ_NS7_16discard_iteratorINS7_11use_defaultEEES9_S9_S9_S9_S9_S9_S9_S9_EEEESB_EEENSN_IJSM_SM_EEESB_PlJNSF_9not_fun_tINSF_14equal_to_valueISA_EEEEEEE10hipError_tPvRmT3_T4_T5_T6_T7_T9_mT8_P12ihipStream_tbDpT10_ENKUlT_T0_E_clISt17integral_constantIbLb0EES1J_EEDaS1E_S1F_EUlS1E_E_NS1_11comp_targetILNS1_3genE5ELNS1_11target_archE942ELNS1_3gpuE9ELNS1_3repE0EEENS1_30default_config_static_selectorELNS0_4arch9wavefront6targetE0EEEvT1_.kd
    .uniform_work_group_size: 1
    .uses_dynamic_stack: false
    .vgpr_count:     0
    .vgpr_spill_count: 0
    .wavefront_size: 32
    .workgroup_processor_mode: 1
  - .args:
      - .offset:         0
        .size:           144
        .value_kind:     by_value
    .group_segment_fixed_size: 0
    .kernarg_segment_align: 8
    .kernarg_segment_size: 144
    .language:       OpenCL C
    .language_version:
      - 2
      - 0
    .max_flat_workgroup_size: 512
    .name:           _ZN7rocprim17ROCPRIM_400000_NS6detail17trampoline_kernelINS0_14default_configENS1_25partition_config_selectorILNS1_17partition_subalgoE6EN6thrust23THRUST_200600_302600_NS5tupleIjjNS7_9null_typeES9_S9_S9_S9_S9_S9_S9_EENS0_10empty_typeEbEEZZNS1_14partition_implILS5_6ELb0ES3_mNS7_12zip_iteratorINS8_INS7_6detail15normal_iteratorINS7_10device_ptrIjEEEESJ_S9_S9_S9_S9_S9_S9_S9_S9_EEEEPSB_SM_NS0_5tupleIJNSE_INS8_ISJ_NS7_16discard_iteratorINS7_11use_defaultEEES9_S9_S9_S9_S9_S9_S9_S9_EEEESB_EEENSN_IJSM_SM_EEESB_PlJNSF_9not_fun_tINSF_14equal_to_valueISA_EEEEEEE10hipError_tPvRmT3_T4_T5_T6_T7_T9_mT8_P12ihipStream_tbDpT10_ENKUlT_T0_E_clISt17integral_constantIbLb0EES1J_EEDaS1E_S1F_EUlS1E_E_NS1_11comp_targetILNS1_3genE4ELNS1_11target_archE910ELNS1_3gpuE8ELNS1_3repE0EEENS1_30default_config_static_selectorELNS0_4arch9wavefront6targetE0EEEvT1_
    .private_segment_fixed_size: 0
    .sgpr_count:     0
    .sgpr_spill_count: 0
    .symbol:         _ZN7rocprim17ROCPRIM_400000_NS6detail17trampoline_kernelINS0_14default_configENS1_25partition_config_selectorILNS1_17partition_subalgoE6EN6thrust23THRUST_200600_302600_NS5tupleIjjNS7_9null_typeES9_S9_S9_S9_S9_S9_S9_EENS0_10empty_typeEbEEZZNS1_14partition_implILS5_6ELb0ES3_mNS7_12zip_iteratorINS8_INS7_6detail15normal_iteratorINS7_10device_ptrIjEEEESJ_S9_S9_S9_S9_S9_S9_S9_S9_EEEEPSB_SM_NS0_5tupleIJNSE_INS8_ISJ_NS7_16discard_iteratorINS7_11use_defaultEEES9_S9_S9_S9_S9_S9_S9_S9_EEEESB_EEENSN_IJSM_SM_EEESB_PlJNSF_9not_fun_tINSF_14equal_to_valueISA_EEEEEEE10hipError_tPvRmT3_T4_T5_T6_T7_T9_mT8_P12ihipStream_tbDpT10_ENKUlT_T0_E_clISt17integral_constantIbLb0EES1J_EEDaS1E_S1F_EUlS1E_E_NS1_11comp_targetILNS1_3genE4ELNS1_11target_archE910ELNS1_3gpuE8ELNS1_3repE0EEENS1_30default_config_static_selectorELNS0_4arch9wavefront6targetE0EEEvT1_.kd
    .uniform_work_group_size: 1
    .uses_dynamic_stack: false
    .vgpr_count:     0
    .vgpr_spill_count: 0
    .wavefront_size: 32
    .workgroup_processor_mode: 1
  - .args:
      - .offset:         0
        .size:           144
        .value_kind:     by_value
    .group_segment_fixed_size: 0
    .kernarg_segment_align: 8
    .kernarg_segment_size: 144
    .language:       OpenCL C
    .language_version:
      - 2
      - 0
    .max_flat_workgroup_size: 128
    .name:           _ZN7rocprim17ROCPRIM_400000_NS6detail17trampoline_kernelINS0_14default_configENS1_25partition_config_selectorILNS1_17partition_subalgoE6EN6thrust23THRUST_200600_302600_NS5tupleIjjNS7_9null_typeES9_S9_S9_S9_S9_S9_S9_EENS0_10empty_typeEbEEZZNS1_14partition_implILS5_6ELb0ES3_mNS7_12zip_iteratorINS8_INS7_6detail15normal_iteratorINS7_10device_ptrIjEEEESJ_S9_S9_S9_S9_S9_S9_S9_S9_EEEEPSB_SM_NS0_5tupleIJNSE_INS8_ISJ_NS7_16discard_iteratorINS7_11use_defaultEEES9_S9_S9_S9_S9_S9_S9_S9_EEEESB_EEENSN_IJSM_SM_EEESB_PlJNSF_9not_fun_tINSF_14equal_to_valueISA_EEEEEEE10hipError_tPvRmT3_T4_T5_T6_T7_T9_mT8_P12ihipStream_tbDpT10_ENKUlT_T0_E_clISt17integral_constantIbLb0EES1J_EEDaS1E_S1F_EUlS1E_E_NS1_11comp_targetILNS1_3genE3ELNS1_11target_archE908ELNS1_3gpuE7ELNS1_3repE0EEENS1_30default_config_static_selectorELNS0_4arch9wavefront6targetE0EEEvT1_
    .private_segment_fixed_size: 0
    .sgpr_count:     0
    .sgpr_spill_count: 0
    .symbol:         _ZN7rocprim17ROCPRIM_400000_NS6detail17trampoline_kernelINS0_14default_configENS1_25partition_config_selectorILNS1_17partition_subalgoE6EN6thrust23THRUST_200600_302600_NS5tupleIjjNS7_9null_typeES9_S9_S9_S9_S9_S9_S9_EENS0_10empty_typeEbEEZZNS1_14partition_implILS5_6ELb0ES3_mNS7_12zip_iteratorINS8_INS7_6detail15normal_iteratorINS7_10device_ptrIjEEEESJ_S9_S9_S9_S9_S9_S9_S9_S9_EEEEPSB_SM_NS0_5tupleIJNSE_INS8_ISJ_NS7_16discard_iteratorINS7_11use_defaultEEES9_S9_S9_S9_S9_S9_S9_S9_EEEESB_EEENSN_IJSM_SM_EEESB_PlJNSF_9not_fun_tINSF_14equal_to_valueISA_EEEEEEE10hipError_tPvRmT3_T4_T5_T6_T7_T9_mT8_P12ihipStream_tbDpT10_ENKUlT_T0_E_clISt17integral_constantIbLb0EES1J_EEDaS1E_S1F_EUlS1E_E_NS1_11comp_targetILNS1_3genE3ELNS1_11target_archE908ELNS1_3gpuE7ELNS1_3repE0EEENS1_30default_config_static_selectorELNS0_4arch9wavefront6targetE0EEEvT1_.kd
    .uniform_work_group_size: 1
    .uses_dynamic_stack: false
    .vgpr_count:     0
    .vgpr_spill_count: 0
    .wavefront_size: 32
    .workgroup_processor_mode: 1
  - .args:
      - .offset:         0
        .size:           144
        .value_kind:     by_value
    .group_segment_fixed_size: 0
    .kernarg_segment_align: 8
    .kernarg_segment_size: 144
    .language:       OpenCL C
    .language_version:
      - 2
      - 0
    .max_flat_workgroup_size: 256
    .name:           _ZN7rocprim17ROCPRIM_400000_NS6detail17trampoline_kernelINS0_14default_configENS1_25partition_config_selectorILNS1_17partition_subalgoE6EN6thrust23THRUST_200600_302600_NS5tupleIjjNS7_9null_typeES9_S9_S9_S9_S9_S9_S9_EENS0_10empty_typeEbEEZZNS1_14partition_implILS5_6ELb0ES3_mNS7_12zip_iteratorINS8_INS7_6detail15normal_iteratorINS7_10device_ptrIjEEEESJ_S9_S9_S9_S9_S9_S9_S9_S9_EEEEPSB_SM_NS0_5tupleIJNSE_INS8_ISJ_NS7_16discard_iteratorINS7_11use_defaultEEES9_S9_S9_S9_S9_S9_S9_S9_EEEESB_EEENSN_IJSM_SM_EEESB_PlJNSF_9not_fun_tINSF_14equal_to_valueISA_EEEEEEE10hipError_tPvRmT3_T4_T5_T6_T7_T9_mT8_P12ihipStream_tbDpT10_ENKUlT_T0_E_clISt17integral_constantIbLb0EES1J_EEDaS1E_S1F_EUlS1E_E_NS1_11comp_targetILNS1_3genE2ELNS1_11target_archE906ELNS1_3gpuE6ELNS1_3repE0EEENS1_30default_config_static_selectorELNS0_4arch9wavefront6targetE0EEEvT1_
    .private_segment_fixed_size: 0
    .sgpr_count:     0
    .sgpr_spill_count: 0
    .symbol:         _ZN7rocprim17ROCPRIM_400000_NS6detail17trampoline_kernelINS0_14default_configENS1_25partition_config_selectorILNS1_17partition_subalgoE6EN6thrust23THRUST_200600_302600_NS5tupleIjjNS7_9null_typeES9_S9_S9_S9_S9_S9_S9_EENS0_10empty_typeEbEEZZNS1_14partition_implILS5_6ELb0ES3_mNS7_12zip_iteratorINS8_INS7_6detail15normal_iteratorINS7_10device_ptrIjEEEESJ_S9_S9_S9_S9_S9_S9_S9_S9_EEEEPSB_SM_NS0_5tupleIJNSE_INS8_ISJ_NS7_16discard_iteratorINS7_11use_defaultEEES9_S9_S9_S9_S9_S9_S9_S9_EEEESB_EEENSN_IJSM_SM_EEESB_PlJNSF_9not_fun_tINSF_14equal_to_valueISA_EEEEEEE10hipError_tPvRmT3_T4_T5_T6_T7_T9_mT8_P12ihipStream_tbDpT10_ENKUlT_T0_E_clISt17integral_constantIbLb0EES1J_EEDaS1E_S1F_EUlS1E_E_NS1_11comp_targetILNS1_3genE2ELNS1_11target_archE906ELNS1_3gpuE6ELNS1_3repE0EEENS1_30default_config_static_selectorELNS0_4arch9wavefront6targetE0EEEvT1_.kd
    .uniform_work_group_size: 1
    .uses_dynamic_stack: false
    .vgpr_count:     0
    .vgpr_spill_count: 0
    .wavefront_size: 32
    .workgroup_processor_mode: 1
  - .args:
      - .offset:         0
        .size:           144
        .value_kind:     by_value
    .group_segment_fixed_size: 8464
    .kernarg_segment_align: 8
    .kernarg_segment_size: 144
    .language:       OpenCL C
    .language_version:
      - 2
      - 0
    .max_flat_workgroup_size: 256
    .name:           _ZN7rocprim17ROCPRIM_400000_NS6detail17trampoline_kernelINS0_14default_configENS1_25partition_config_selectorILNS1_17partition_subalgoE6EN6thrust23THRUST_200600_302600_NS5tupleIjjNS7_9null_typeES9_S9_S9_S9_S9_S9_S9_EENS0_10empty_typeEbEEZZNS1_14partition_implILS5_6ELb0ES3_mNS7_12zip_iteratorINS8_INS7_6detail15normal_iteratorINS7_10device_ptrIjEEEESJ_S9_S9_S9_S9_S9_S9_S9_S9_EEEEPSB_SM_NS0_5tupleIJNSE_INS8_ISJ_NS7_16discard_iteratorINS7_11use_defaultEEES9_S9_S9_S9_S9_S9_S9_S9_EEEESB_EEENSN_IJSM_SM_EEESB_PlJNSF_9not_fun_tINSF_14equal_to_valueISA_EEEEEEE10hipError_tPvRmT3_T4_T5_T6_T7_T9_mT8_P12ihipStream_tbDpT10_ENKUlT_T0_E_clISt17integral_constantIbLb0EES1J_EEDaS1E_S1F_EUlS1E_E_NS1_11comp_targetILNS1_3genE10ELNS1_11target_archE1200ELNS1_3gpuE4ELNS1_3repE0EEENS1_30default_config_static_selectorELNS0_4arch9wavefront6targetE0EEEvT1_
    .private_segment_fixed_size: 0
    .sgpr_count:     26
    .sgpr_spill_count: 0
    .symbol:         _ZN7rocprim17ROCPRIM_400000_NS6detail17trampoline_kernelINS0_14default_configENS1_25partition_config_selectorILNS1_17partition_subalgoE6EN6thrust23THRUST_200600_302600_NS5tupleIjjNS7_9null_typeES9_S9_S9_S9_S9_S9_S9_EENS0_10empty_typeEbEEZZNS1_14partition_implILS5_6ELb0ES3_mNS7_12zip_iteratorINS8_INS7_6detail15normal_iteratorINS7_10device_ptrIjEEEESJ_S9_S9_S9_S9_S9_S9_S9_S9_EEEEPSB_SM_NS0_5tupleIJNSE_INS8_ISJ_NS7_16discard_iteratorINS7_11use_defaultEEES9_S9_S9_S9_S9_S9_S9_S9_EEEESB_EEENSN_IJSM_SM_EEESB_PlJNSF_9not_fun_tINSF_14equal_to_valueISA_EEEEEEE10hipError_tPvRmT3_T4_T5_T6_T7_T9_mT8_P12ihipStream_tbDpT10_ENKUlT_T0_E_clISt17integral_constantIbLb0EES1J_EEDaS1E_S1F_EUlS1E_E_NS1_11comp_targetILNS1_3genE10ELNS1_11target_archE1200ELNS1_3gpuE4ELNS1_3repE0EEENS1_30default_config_static_selectorELNS0_4arch9wavefront6targetE0EEEvT1_.kd
    .uniform_work_group_size: 1
    .uses_dynamic_stack: false
    .vgpr_count:     46
    .vgpr_spill_count: 0
    .wavefront_size: 32
    .workgroup_processor_mode: 1
  - .args:
      - .offset:         0
        .size:           144
        .value_kind:     by_value
    .group_segment_fixed_size: 0
    .kernarg_segment_align: 8
    .kernarg_segment_size: 144
    .language:       OpenCL C
    .language_version:
      - 2
      - 0
    .max_flat_workgroup_size: 384
    .name:           _ZN7rocprim17ROCPRIM_400000_NS6detail17trampoline_kernelINS0_14default_configENS1_25partition_config_selectorILNS1_17partition_subalgoE6EN6thrust23THRUST_200600_302600_NS5tupleIjjNS7_9null_typeES9_S9_S9_S9_S9_S9_S9_EENS0_10empty_typeEbEEZZNS1_14partition_implILS5_6ELb0ES3_mNS7_12zip_iteratorINS8_INS7_6detail15normal_iteratorINS7_10device_ptrIjEEEESJ_S9_S9_S9_S9_S9_S9_S9_S9_EEEEPSB_SM_NS0_5tupleIJNSE_INS8_ISJ_NS7_16discard_iteratorINS7_11use_defaultEEES9_S9_S9_S9_S9_S9_S9_S9_EEEESB_EEENSN_IJSM_SM_EEESB_PlJNSF_9not_fun_tINSF_14equal_to_valueISA_EEEEEEE10hipError_tPvRmT3_T4_T5_T6_T7_T9_mT8_P12ihipStream_tbDpT10_ENKUlT_T0_E_clISt17integral_constantIbLb0EES1J_EEDaS1E_S1F_EUlS1E_E_NS1_11comp_targetILNS1_3genE9ELNS1_11target_archE1100ELNS1_3gpuE3ELNS1_3repE0EEENS1_30default_config_static_selectorELNS0_4arch9wavefront6targetE0EEEvT1_
    .private_segment_fixed_size: 0
    .sgpr_count:     0
    .sgpr_spill_count: 0
    .symbol:         _ZN7rocprim17ROCPRIM_400000_NS6detail17trampoline_kernelINS0_14default_configENS1_25partition_config_selectorILNS1_17partition_subalgoE6EN6thrust23THRUST_200600_302600_NS5tupleIjjNS7_9null_typeES9_S9_S9_S9_S9_S9_S9_EENS0_10empty_typeEbEEZZNS1_14partition_implILS5_6ELb0ES3_mNS7_12zip_iteratorINS8_INS7_6detail15normal_iteratorINS7_10device_ptrIjEEEESJ_S9_S9_S9_S9_S9_S9_S9_S9_EEEEPSB_SM_NS0_5tupleIJNSE_INS8_ISJ_NS7_16discard_iteratorINS7_11use_defaultEEES9_S9_S9_S9_S9_S9_S9_S9_EEEESB_EEENSN_IJSM_SM_EEESB_PlJNSF_9not_fun_tINSF_14equal_to_valueISA_EEEEEEE10hipError_tPvRmT3_T4_T5_T6_T7_T9_mT8_P12ihipStream_tbDpT10_ENKUlT_T0_E_clISt17integral_constantIbLb0EES1J_EEDaS1E_S1F_EUlS1E_E_NS1_11comp_targetILNS1_3genE9ELNS1_11target_archE1100ELNS1_3gpuE3ELNS1_3repE0EEENS1_30default_config_static_selectorELNS0_4arch9wavefront6targetE0EEEvT1_.kd
    .uniform_work_group_size: 1
    .uses_dynamic_stack: false
    .vgpr_count:     0
    .vgpr_spill_count: 0
    .wavefront_size: 32
    .workgroup_processor_mode: 1
  - .args:
      - .offset:         0
        .size:           144
        .value_kind:     by_value
    .group_segment_fixed_size: 0
    .kernarg_segment_align: 8
    .kernarg_segment_size: 144
    .language:       OpenCL C
    .language_version:
      - 2
      - 0
    .max_flat_workgroup_size: 512
    .name:           _ZN7rocprim17ROCPRIM_400000_NS6detail17trampoline_kernelINS0_14default_configENS1_25partition_config_selectorILNS1_17partition_subalgoE6EN6thrust23THRUST_200600_302600_NS5tupleIjjNS7_9null_typeES9_S9_S9_S9_S9_S9_S9_EENS0_10empty_typeEbEEZZNS1_14partition_implILS5_6ELb0ES3_mNS7_12zip_iteratorINS8_INS7_6detail15normal_iteratorINS7_10device_ptrIjEEEESJ_S9_S9_S9_S9_S9_S9_S9_S9_EEEEPSB_SM_NS0_5tupleIJNSE_INS8_ISJ_NS7_16discard_iteratorINS7_11use_defaultEEES9_S9_S9_S9_S9_S9_S9_S9_EEEESB_EEENSN_IJSM_SM_EEESB_PlJNSF_9not_fun_tINSF_14equal_to_valueISA_EEEEEEE10hipError_tPvRmT3_T4_T5_T6_T7_T9_mT8_P12ihipStream_tbDpT10_ENKUlT_T0_E_clISt17integral_constantIbLb0EES1J_EEDaS1E_S1F_EUlS1E_E_NS1_11comp_targetILNS1_3genE8ELNS1_11target_archE1030ELNS1_3gpuE2ELNS1_3repE0EEENS1_30default_config_static_selectorELNS0_4arch9wavefront6targetE0EEEvT1_
    .private_segment_fixed_size: 0
    .sgpr_count:     0
    .sgpr_spill_count: 0
    .symbol:         _ZN7rocprim17ROCPRIM_400000_NS6detail17trampoline_kernelINS0_14default_configENS1_25partition_config_selectorILNS1_17partition_subalgoE6EN6thrust23THRUST_200600_302600_NS5tupleIjjNS7_9null_typeES9_S9_S9_S9_S9_S9_S9_EENS0_10empty_typeEbEEZZNS1_14partition_implILS5_6ELb0ES3_mNS7_12zip_iteratorINS8_INS7_6detail15normal_iteratorINS7_10device_ptrIjEEEESJ_S9_S9_S9_S9_S9_S9_S9_S9_EEEEPSB_SM_NS0_5tupleIJNSE_INS8_ISJ_NS7_16discard_iteratorINS7_11use_defaultEEES9_S9_S9_S9_S9_S9_S9_S9_EEEESB_EEENSN_IJSM_SM_EEESB_PlJNSF_9not_fun_tINSF_14equal_to_valueISA_EEEEEEE10hipError_tPvRmT3_T4_T5_T6_T7_T9_mT8_P12ihipStream_tbDpT10_ENKUlT_T0_E_clISt17integral_constantIbLb0EES1J_EEDaS1E_S1F_EUlS1E_E_NS1_11comp_targetILNS1_3genE8ELNS1_11target_archE1030ELNS1_3gpuE2ELNS1_3repE0EEENS1_30default_config_static_selectorELNS0_4arch9wavefront6targetE0EEEvT1_.kd
    .uniform_work_group_size: 1
    .uses_dynamic_stack: false
    .vgpr_count:     0
    .vgpr_spill_count: 0
    .wavefront_size: 32
    .workgroup_processor_mode: 1
  - .args:
      - .offset:         0
        .size:           152
        .value_kind:     by_value
    .group_segment_fixed_size: 0
    .kernarg_segment_align: 8
    .kernarg_segment_size: 152
    .language:       OpenCL C
    .language_version:
      - 2
      - 0
    .max_flat_workgroup_size: 128
    .name:           _ZN7rocprim17ROCPRIM_400000_NS6detail17trampoline_kernelINS0_14default_configENS1_25partition_config_selectorILNS1_17partition_subalgoE6EN6thrust23THRUST_200600_302600_NS5tupleIjjNS7_9null_typeES9_S9_S9_S9_S9_S9_S9_EENS0_10empty_typeEbEEZZNS1_14partition_implILS5_6ELb0ES3_mNS7_12zip_iteratorINS8_INS7_6detail15normal_iteratorINS7_10device_ptrIjEEEESJ_S9_S9_S9_S9_S9_S9_S9_S9_EEEEPSB_SM_NS0_5tupleIJNSE_INS8_ISJ_NS7_16discard_iteratorINS7_11use_defaultEEES9_S9_S9_S9_S9_S9_S9_S9_EEEESB_EEENSN_IJSM_SM_EEESB_PlJNSF_9not_fun_tINSF_14equal_to_valueISA_EEEEEEE10hipError_tPvRmT3_T4_T5_T6_T7_T9_mT8_P12ihipStream_tbDpT10_ENKUlT_T0_E_clISt17integral_constantIbLb1EES1J_EEDaS1E_S1F_EUlS1E_E_NS1_11comp_targetILNS1_3genE0ELNS1_11target_archE4294967295ELNS1_3gpuE0ELNS1_3repE0EEENS1_30default_config_static_selectorELNS0_4arch9wavefront6targetE0EEEvT1_
    .private_segment_fixed_size: 0
    .sgpr_count:     0
    .sgpr_spill_count: 0
    .symbol:         _ZN7rocprim17ROCPRIM_400000_NS6detail17trampoline_kernelINS0_14default_configENS1_25partition_config_selectorILNS1_17partition_subalgoE6EN6thrust23THRUST_200600_302600_NS5tupleIjjNS7_9null_typeES9_S9_S9_S9_S9_S9_S9_EENS0_10empty_typeEbEEZZNS1_14partition_implILS5_6ELb0ES3_mNS7_12zip_iteratorINS8_INS7_6detail15normal_iteratorINS7_10device_ptrIjEEEESJ_S9_S9_S9_S9_S9_S9_S9_S9_EEEEPSB_SM_NS0_5tupleIJNSE_INS8_ISJ_NS7_16discard_iteratorINS7_11use_defaultEEES9_S9_S9_S9_S9_S9_S9_S9_EEEESB_EEENSN_IJSM_SM_EEESB_PlJNSF_9not_fun_tINSF_14equal_to_valueISA_EEEEEEE10hipError_tPvRmT3_T4_T5_T6_T7_T9_mT8_P12ihipStream_tbDpT10_ENKUlT_T0_E_clISt17integral_constantIbLb1EES1J_EEDaS1E_S1F_EUlS1E_E_NS1_11comp_targetILNS1_3genE0ELNS1_11target_archE4294967295ELNS1_3gpuE0ELNS1_3repE0EEENS1_30default_config_static_selectorELNS0_4arch9wavefront6targetE0EEEvT1_.kd
    .uniform_work_group_size: 1
    .uses_dynamic_stack: false
    .vgpr_count:     0
    .vgpr_spill_count: 0
    .wavefront_size: 32
    .workgroup_processor_mode: 1
  - .args:
      - .offset:         0
        .size:           152
        .value_kind:     by_value
    .group_segment_fixed_size: 0
    .kernarg_segment_align: 8
    .kernarg_segment_size: 152
    .language:       OpenCL C
    .language_version:
      - 2
      - 0
    .max_flat_workgroup_size: 512
    .name:           _ZN7rocprim17ROCPRIM_400000_NS6detail17trampoline_kernelINS0_14default_configENS1_25partition_config_selectorILNS1_17partition_subalgoE6EN6thrust23THRUST_200600_302600_NS5tupleIjjNS7_9null_typeES9_S9_S9_S9_S9_S9_S9_EENS0_10empty_typeEbEEZZNS1_14partition_implILS5_6ELb0ES3_mNS7_12zip_iteratorINS8_INS7_6detail15normal_iteratorINS7_10device_ptrIjEEEESJ_S9_S9_S9_S9_S9_S9_S9_S9_EEEEPSB_SM_NS0_5tupleIJNSE_INS8_ISJ_NS7_16discard_iteratorINS7_11use_defaultEEES9_S9_S9_S9_S9_S9_S9_S9_EEEESB_EEENSN_IJSM_SM_EEESB_PlJNSF_9not_fun_tINSF_14equal_to_valueISA_EEEEEEE10hipError_tPvRmT3_T4_T5_T6_T7_T9_mT8_P12ihipStream_tbDpT10_ENKUlT_T0_E_clISt17integral_constantIbLb1EES1J_EEDaS1E_S1F_EUlS1E_E_NS1_11comp_targetILNS1_3genE5ELNS1_11target_archE942ELNS1_3gpuE9ELNS1_3repE0EEENS1_30default_config_static_selectorELNS0_4arch9wavefront6targetE0EEEvT1_
    .private_segment_fixed_size: 0
    .sgpr_count:     0
    .sgpr_spill_count: 0
    .symbol:         _ZN7rocprim17ROCPRIM_400000_NS6detail17trampoline_kernelINS0_14default_configENS1_25partition_config_selectorILNS1_17partition_subalgoE6EN6thrust23THRUST_200600_302600_NS5tupleIjjNS7_9null_typeES9_S9_S9_S9_S9_S9_S9_EENS0_10empty_typeEbEEZZNS1_14partition_implILS5_6ELb0ES3_mNS7_12zip_iteratorINS8_INS7_6detail15normal_iteratorINS7_10device_ptrIjEEEESJ_S9_S9_S9_S9_S9_S9_S9_S9_EEEEPSB_SM_NS0_5tupleIJNSE_INS8_ISJ_NS7_16discard_iteratorINS7_11use_defaultEEES9_S9_S9_S9_S9_S9_S9_S9_EEEESB_EEENSN_IJSM_SM_EEESB_PlJNSF_9not_fun_tINSF_14equal_to_valueISA_EEEEEEE10hipError_tPvRmT3_T4_T5_T6_T7_T9_mT8_P12ihipStream_tbDpT10_ENKUlT_T0_E_clISt17integral_constantIbLb1EES1J_EEDaS1E_S1F_EUlS1E_E_NS1_11comp_targetILNS1_3genE5ELNS1_11target_archE942ELNS1_3gpuE9ELNS1_3repE0EEENS1_30default_config_static_selectorELNS0_4arch9wavefront6targetE0EEEvT1_.kd
    .uniform_work_group_size: 1
    .uses_dynamic_stack: false
    .vgpr_count:     0
    .vgpr_spill_count: 0
    .wavefront_size: 32
    .workgroup_processor_mode: 1
  - .args:
      - .offset:         0
        .size:           152
        .value_kind:     by_value
    .group_segment_fixed_size: 0
    .kernarg_segment_align: 8
    .kernarg_segment_size: 152
    .language:       OpenCL C
    .language_version:
      - 2
      - 0
    .max_flat_workgroup_size: 512
    .name:           _ZN7rocprim17ROCPRIM_400000_NS6detail17trampoline_kernelINS0_14default_configENS1_25partition_config_selectorILNS1_17partition_subalgoE6EN6thrust23THRUST_200600_302600_NS5tupleIjjNS7_9null_typeES9_S9_S9_S9_S9_S9_S9_EENS0_10empty_typeEbEEZZNS1_14partition_implILS5_6ELb0ES3_mNS7_12zip_iteratorINS8_INS7_6detail15normal_iteratorINS7_10device_ptrIjEEEESJ_S9_S9_S9_S9_S9_S9_S9_S9_EEEEPSB_SM_NS0_5tupleIJNSE_INS8_ISJ_NS7_16discard_iteratorINS7_11use_defaultEEES9_S9_S9_S9_S9_S9_S9_S9_EEEESB_EEENSN_IJSM_SM_EEESB_PlJNSF_9not_fun_tINSF_14equal_to_valueISA_EEEEEEE10hipError_tPvRmT3_T4_T5_T6_T7_T9_mT8_P12ihipStream_tbDpT10_ENKUlT_T0_E_clISt17integral_constantIbLb1EES1J_EEDaS1E_S1F_EUlS1E_E_NS1_11comp_targetILNS1_3genE4ELNS1_11target_archE910ELNS1_3gpuE8ELNS1_3repE0EEENS1_30default_config_static_selectorELNS0_4arch9wavefront6targetE0EEEvT1_
    .private_segment_fixed_size: 0
    .sgpr_count:     0
    .sgpr_spill_count: 0
    .symbol:         _ZN7rocprim17ROCPRIM_400000_NS6detail17trampoline_kernelINS0_14default_configENS1_25partition_config_selectorILNS1_17partition_subalgoE6EN6thrust23THRUST_200600_302600_NS5tupleIjjNS7_9null_typeES9_S9_S9_S9_S9_S9_S9_EENS0_10empty_typeEbEEZZNS1_14partition_implILS5_6ELb0ES3_mNS7_12zip_iteratorINS8_INS7_6detail15normal_iteratorINS7_10device_ptrIjEEEESJ_S9_S9_S9_S9_S9_S9_S9_S9_EEEEPSB_SM_NS0_5tupleIJNSE_INS8_ISJ_NS7_16discard_iteratorINS7_11use_defaultEEES9_S9_S9_S9_S9_S9_S9_S9_EEEESB_EEENSN_IJSM_SM_EEESB_PlJNSF_9not_fun_tINSF_14equal_to_valueISA_EEEEEEE10hipError_tPvRmT3_T4_T5_T6_T7_T9_mT8_P12ihipStream_tbDpT10_ENKUlT_T0_E_clISt17integral_constantIbLb1EES1J_EEDaS1E_S1F_EUlS1E_E_NS1_11comp_targetILNS1_3genE4ELNS1_11target_archE910ELNS1_3gpuE8ELNS1_3repE0EEENS1_30default_config_static_selectorELNS0_4arch9wavefront6targetE0EEEvT1_.kd
    .uniform_work_group_size: 1
    .uses_dynamic_stack: false
    .vgpr_count:     0
    .vgpr_spill_count: 0
    .wavefront_size: 32
    .workgroup_processor_mode: 1
  - .args:
      - .offset:         0
        .size:           152
        .value_kind:     by_value
    .group_segment_fixed_size: 0
    .kernarg_segment_align: 8
    .kernarg_segment_size: 152
    .language:       OpenCL C
    .language_version:
      - 2
      - 0
    .max_flat_workgroup_size: 128
    .name:           _ZN7rocprim17ROCPRIM_400000_NS6detail17trampoline_kernelINS0_14default_configENS1_25partition_config_selectorILNS1_17partition_subalgoE6EN6thrust23THRUST_200600_302600_NS5tupleIjjNS7_9null_typeES9_S9_S9_S9_S9_S9_S9_EENS0_10empty_typeEbEEZZNS1_14partition_implILS5_6ELb0ES3_mNS7_12zip_iteratorINS8_INS7_6detail15normal_iteratorINS7_10device_ptrIjEEEESJ_S9_S9_S9_S9_S9_S9_S9_S9_EEEEPSB_SM_NS0_5tupleIJNSE_INS8_ISJ_NS7_16discard_iteratorINS7_11use_defaultEEES9_S9_S9_S9_S9_S9_S9_S9_EEEESB_EEENSN_IJSM_SM_EEESB_PlJNSF_9not_fun_tINSF_14equal_to_valueISA_EEEEEEE10hipError_tPvRmT3_T4_T5_T6_T7_T9_mT8_P12ihipStream_tbDpT10_ENKUlT_T0_E_clISt17integral_constantIbLb1EES1J_EEDaS1E_S1F_EUlS1E_E_NS1_11comp_targetILNS1_3genE3ELNS1_11target_archE908ELNS1_3gpuE7ELNS1_3repE0EEENS1_30default_config_static_selectorELNS0_4arch9wavefront6targetE0EEEvT1_
    .private_segment_fixed_size: 0
    .sgpr_count:     0
    .sgpr_spill_count: 0
    .symbol:         _ZN7rocprim17ROCPRIM_400000_NS6detail17trampoline_kernelINS0_14default_configENS1_25partition_config_selectorILNS1_17partition_subalgoE6EN6thrust23THRUST_200600_302600_NS5tupleIjjNS7_9null_typeES9_S9_S9_S9_S9_S9_S9_EENS0_10empty_typeEbEEZZNS1_14partition_implILS5_6ELb0ES3_mNS7_12zip_iteratorINS8_INS7_6detail15normal_iteratorINS7_10device_ptrIjEEEESJ_S9_S9_S9_S9_S9_S9_S9_S9_EEEEPSB_SM_NS0_5tupleIJNSE_INS8_ISJ_NS7_16discard_iteratorINS7_11use_defaultEEES9_S9_S9_S9_S9_S9_S9_S9_EEEESB_EEENSN_IJSM_SM_EEESB_PlJNSF_9not_fun_tINSF_14equal_to_valueISA_EEEEEEE10hipError_tPvRmT3_T4_T5_T6_T7_T9_mT8_P12ihipStream_tbDpT10_ENKUlT_T0_E_clISt17integral_constantIbLb1EES1J_EEDaS1E_S1F_EUlS1E_E_NS1_11comp_targetILNS1_3genE3ELNS1_11target_archE908ELNS1_3gpuE7ELNS1_3repE0EEENS1_30default_config_static_selectorELNS0_4arch9wavefront6targetE0EEEvT1_.kd
    .uniform_work_group_size: 1
    .uses_dynamic_stack: false
    .vgpr_count:     0
    .vgpr_spill_count: 0
    .wavefront_size: 32
    .workgroup_processor_mode: 1
  - .args:
      - .offset:         0
        .size:           152
        .value_kind:     by_value
    .group_segment_fixed_size: 0
    .kernarg_segment_align: 8
    .kernarg_segment_size: 152
    .language:       OpenCL C
    .language_version:
      - 2
      - 0
    .max_flat_workgroup_size: 256
    .name:           _ZN7rocprim17ROCPRIM_400000_NS6detail17trampoline_kernelINS0_14default_configENS1_25partition_config_selectorILNS1_17partition_subalgoE6EN6thrust23THRUST_200600_302600_NS5tupleIjjNS7_9null_typeES9_S9_S9_S9_S9_S9_S9_EENS0_10empty_typeEbEEZZNS1_14partition_implILS5_6ELb0ES3_mNS7_12zip_iteratorINS8_INS7_6detail15normal_iteratorINS7_10device_ptrIjEEEESJ_S9_S9_S9_S9_S9_S9_S9_S9_EEEEPSB_SM_NS0_5tupleIJNSE_INS8_ISJ_NS7_16discard_iteratorINS7_11use_defaultEEES9_S9_S9_S9_S9_S9_S9_S9_EEEESB_EEENSN_IJSM_SM_EEESB_PlJNSF_9not_fun_tINSF_14equal_to_valueISA_EEEEEEE10hipError_tPvRmT3_T4_T5_T6_T7_T9_mT8_P12ihipStream_tbDpT10_ENKUlT_T0_E_clISt17integral_constantIbLb1EES1J_EEDaS1E_S1F_EUlS1E_E_NS1_11comp_targetILNS1_3genE2ELNS1_11target_archE906ELNS1_3gpuE6ELNS1_3repE0EEENS1_30default_config_static_selectorELNS0_4arch9wavefront6targetE0EEEvT1_
    .private_segment_fixed_size: 0
    .sgpr_count:     0
    .sgpr_spill_count: 0
    .symbol:         _ZN7rocprim17ROCPRIM_400000_NS6detail17trampoline_kernelINS0_14default_configENS1_25partition_config_selectorILNS1_17partition_subalgoE6EN6thrust23THRUST_200600_302600_NS5tupleIjjNS7_9null_typeES9_S9_S9_S9_S9_S9_S9_EENS0_10empty_typeEbEEZZNS1_14partition_implILS5_6ELb0ES3_mNS7_12zip_iteratorINS8_INS7_6detail15normal_iteratorINS7_10device_ptrIjEEEESJ_S9_S9_S9_S9_S9_S9_S9_S9_EEEEPSB_SM_NS0_5tupleIJNSE_INS8_ISJ_NS7_16discard_iteratorINS7_11use_defaultEEES9_S9_S9_S9_S9_S9_S9_S9_EEEESB_EEENSN_IJSM_SM_EEESB_PlJNSF_9not_fun_tINSF_14equal_to_valueISA_EEEEEEE10hipError_tPvRmT3_T4_T5_T6_T7_T9_mT8_P12ihipStream_tbDpT10_ENKUlT_T0_E_clISt17integral_constantIbLb1EES1J_EEDaS1E_S1F_EUlS1E_E_NS1_11comp_targetILNS1_3genE2ELNS1_11target_archE906ELNS1_3gpuE6ELNS1_3repE0EEENS1_30default_config_static_selectorELNS0_4arch9wavefront6targetE0EEEvT1_.kd
    .uniform_work_group_size: 1
    .uses_dynamic_stack: false
    .vgpr_count:     0
    .vgpr_spill_count: 0
    .wavefront_size: 32
    .workgroup_processor_mode: 1
  - .args:
      - .offset:         0
        .size:           152
        .value_kind:     by_value
    .group_segment_fixed_size: 0
    .kernarg_segment_align: 8
    .kernarg_segment_size: 152
    .language:       OpenCL C
    .language_version:
      - 2
      - 0
    .max_flat_workgroup_size: 256
    .name:           _ZN7rocprim17ROCPRIM_400000_NS6detail17trampoline_kernelINS0_14default_configENS1_25partition_config_selectorILNS1_17partition_subalgoE6EN6thrust23THRUST_200600_302600_NS5tupleIjjNS7_9null_typeES9_S9_S9_S9_S9_S9_S9_EENS0_10empty_typeEbEEZZNS1_14partition_implILS5_6ELb0ES3_mNS7_12zip_iteratorINS8_INS7_6detail15normal_iteratorINS7_10device_ptrIjEEEESJ_S9_S9_S9_S9_S9_S9_S9_S9_EEEEPSB_SM_NS0_5tupleIJNSE_INS8_ISJ_NS7_16discard_iteratorINS7_11use_defaultEEES9_S9_S9_S9_S9_S9_S9_S9_EEEESB_EEENSN_IJSM_SM_EEESB_PlJNSF_9not_fun_tINSF_14equal_to_valueISA_EEEEEEE10hipError_tPvRmT3_T4_T5_T6_T7_T9_mT8_P12ihipStream_tbDpT10_ENKUlT_T0_E_clISt17integral_constantIbLb1EES1J_EEDaS1E_S1F_EUlS1E_E_NS1_11comp_targetILNS1_3genE10ELNS1_11target_archE1200ELNS1_3gpuE4ELNS1_3repE0EEENS1_30default_config_static_selectorELNS0_4arch9wavefront6targetE0EEEvT1_
    .private_segment_fixed_size: 0
    .sgpr_count:     0
    .sgpr_spill_count: 0
    .symbol:         _ZN7rocprim17ROCPRIM_400000_NS6detail17trampoline_kernelINS0_14default_configENS1_25partition_config_selectorILNS1_17partition_subalgoE6EN6thrust23THRUST_200600_302600_NS5tupleIjjNS7_9null_typeES9_S9_S9_S9_S9_S9_S9_EENS0_10empty_typeEbEEZZNS1_14partition_implILS5_6ELb0ES3_mNS7_12zip_iteratorINS8_INS7_6detail15normal_iteratorINS7_10device_ptrIjEEEESJ_S9_S9_S9_S9_S9_S9_S9_S9_EEEEPSB_SM_NS0_5tupleIJNSE_INS8_ISJ_NS7_16discard_iteratorINS7_11use_defaultEEES9_S9_S9_S9_S9_S9_S9_S9_EEEESB_EEENSN_IJSM_SM_EEESB_PlJNSF_9not_fun_tINSF_14equal_to_valueISA_EEEEEEE10hipError_tPvRmT3_T4_T5_T6_T7_T9_mT8_P12ihipStream_tbDpT10_ENKUlT_T0_E_clISt17integral_constantIbLb1EES1J_EEDaS1E_S1F_EUlS1E_E_NS1_11comp_targetILNS1_3genE10ELNS1_11target_archE1200ELNS1_3gpuE4ELNS1_3repE0EEENS1_30default_config_static_selectorELNS0_4arch9wavefront6targetE0EEEvT1_.kd
    .uniform_work_group_size: 1
    .uses_dynamic_stack: false
    .vgpr_count:     0
    .vgpr_spill_count: 0
    .wavefront_size: 32
    .workgroup_processor_mode: 1
  - .args:
      - .offset:         0
        .size:           152
        .value_kind:     by_value
    .group_segment_fixed_size: 0
    .kernarg_segment_align: 8
    .kernarg_segment_size: 152
    .language:       OpenCL C
    .language_version:
      - 2
      - 0
    .max_flat_workgroup_size: 384
    .name:           _ZN7rocprim17ROCPRIM_400000_NS6detail17trampoline_kernelINS0_14default_configENS1_25partition_config_selectorILNS1_17partition_subalgoE6EN6thrust23THRUST_200600_302600_NS5tupleIjjNS7_9null_typeES9_S9_S9_S9_S9_S9_S9_EENS0_10empty_typeEbEEZZNS1_14partition_implILS5_6ELb0ES3_mNS7_12zip_iteratorINS8_INS7_6detail15normal_iteratorINS7_10device_ptrIjEEEESJ_S9_S9_S9_S9_S9_S9_S9_S9_EEEEPSB_SM_NS0_5tupleIJNSE_INS8_ISJ_NS7_16discard_iteratorINS7_11use_defaultEEES9_S9_S9_S9_S9_S9_S9_S9_EEEESB_EEENSN_IJSM_SM_EEESB_PlJNSF_9not_fun_tINSF_14equal_to_valueISA_EEEEEEE10hipError_tPvRmT3_T4_T5_T6_T7_T9_mT8_P12ihipStream_tbDpT10_ENKUlT_T0_E_clISt17integral_constantIbLb1EES1J_EEDaS1E_S1F_EUlS1E_E_NS1_11comp_targetILNS1_3genE9ELNS1_11target_archE1100ELNS1_3gpuE3ELNS1_3repE0EEENS1_30default_config_static_selectorELNS0_4arch9wavefront6targetE0EEEvT1_
    .private_segment_fixed_size: 0
    .sgpr_count:     0
    .sgpr_spill_count: 0
    .symbol:         _ZN7rocprim17ROCPRIM_400000_NS6detail17trampoline_kernelINS0_14default_configENS1_25partition_config_selectorILNS1_17partition_subalgoE6EN6thrust23THRUST_200600_302600_NS5tupleIjjNS7_9null_typeES9_S9_S9_S9_S9_S9_S9_EENS0_10empty_typeEbEEZZNS1_14partition_implILS5_6ELb0ES3_mNS7_12zip_iteratorINS8_INS7_6detail15normal_iteratorINS7_10device_ptrIjEEEESJ_S9_S9_S9_S9_S9_S9_S9_S9_EEEEPSB_SM_NS0_5tupleIJNSE_INS8_ISJ_NS7_16discard_iteratorINS7_11use_defaultEEES9_S9_S9_S9_S9_S9_S9_S9_EEEESB_EEENSN_IJSM_SM_EEESB_PlJNSF_9not_fun_tINSF_14equal_to_valueISA_EEEEEEE10hipError_tPvRmT3_T4_T5_T6_T7_T9_mT8_P12ihipStream_tbDpT10_ENKUlT_T0_E_clISt17integral_constantIbLb1EES1J_EEDaS1E_S1F_EUlS1E_E_NS1_11comp_targetILNS1_3genE9ELNS1_11target_archE1100ELNS1_3gpuE3ELNS1_3repE0EEENS1_30default_config_static_selectorELNS0_4arch9wavefront6targetE0EEEvT1_.kd
    .uniform_work_group_size: 1
    .uses_dynamic_stack: false
    .vgpr_count:     0
    .vgpr_spill_count: 0
    .wavefront_size: 32
    .workgroup_processor_mode: 1
  - .args:
      - .offset:         0
        .size:           152
        .value_kind:     by_value
    .group_segment_fixed_size: 0
    .kernarg_segment_align: 8
    .kernarg_segment_size: 152
    .language:       OpenCL C
    .language_version:
      - 2
      - 0
    .max_flat_workgroup_size: 512
    .name:           _ZN7rocprim17ROCPRIM_400000_NS6detail17trampoline_kernelINS0_14default_configENS1_25partition_config_selectorILNS1_17partition_subalgoE6EN6thrust23THRUST_200600_302600_NS5tupleIjjNS7_9null_typeES9_S9_S9_S9_S9_S9_S9_EENS0_10empty_typeEbEEZZNS1_14partition_implILS5_6ELb0ES3_mNS7_12zip_iteratorINS8_INS7_6detail15normal_iteratorINS7_10device_ptrIjEEEESJ_S9_S9_S9_S9_S9_S9_S9_S9_EEEEPSB_SM_NS0_5tupleIJNSE_INS8_ISJ_NS7_16discard_iteratorINS7_11use_defaultEEES9_S9_S9_S9_S9_S9_S9_S9_EEEESB_EEENSN_IJSM_SM_EEESB_PlJNSF_9not_fun_tINSF_14equal_to_valueISA_EEEEEEE10hipError_tPvRmT3_T4_T5_T6_T7_T9_mT8_P12ihipStream_tbDpT10_ENKUlT_T0_E_clISt17integral_constantIbLb1EES1J_EEDaS1E_S1F_EUlS1E_E_NS1_11comp_targetILNS1_3genE8ELNS1_11target_archE1030ELNS1_3gpuE2ELNS1_3repE0EEENS1_30default_config_static_selectorELNS0_4arch9wavefront6targetE0EEEvT1_
    .private_segment_fixed_size: 0
    .sgpr_count:     0
    .sgpr_spill_count: 0
    .symbol:         _ZN7rocprim17ROCPRIM_400000_NS6detail17trampoline_kernelINS0_14default_configENS1_25partition_config_selectorILNS1_17partition_subalgoE6EN6thrust23THRUST_200600_302600_NS5tupleIjjNS7_9null_typeES9_S9_S9_S9_S9_S9_S9_EENS0_10empty_typeEbEEZZNS1_14partition_implILS5_6ELb0ES3_mNS7_12zip_iteratorINS8_INS7_6detail15normal_iteratorINS7_10device_ptrIjEEEESJ_S9_S9_S9_S9_S9_S9_S9_S9_EEEEPSB_SM_NS0_5tupleIJNSE_INS8_ISJ_NS7_16discard_iteratorINS7_11use_defaultEEES9_S9_S9_S9_S9_S9_S9_S9_EEEESB_EEENSN_IJSM_SM_EEESB_PlJNSF_9not_fun_tINSF_14equal_to_valueISA_EEEEEEE10hipError_tPvRmT3_T4_T5_T6_T7_T9_mT8_P12ihipStream_tbDpT10_ENKUlT_T0_E_clISt17integral_constantIbLb1EES1J_EEDaS1E_S1F_EUlS1E_E_NS1_11comp_targetILNS1_3genE8ELNS1_11target_archE1030ELNS1_3gpuE2ELNS1_3repE0EEENS1_30default_config_static_selectorELNS0_4arch9wavefront6targetE0EEEvT1_.kd
    .uniform_work_group_size: 1
    .uses_dynamic_stack: false
    .vgpr_count:     0
    .vgpr_spill_count: 0
    .wavefront_size: 32
    .workgroup_processor_mode: 1
  - .args:
      - .offset:         0
        .size:           144
        .value_kind:     by_value
    .group_segment_fixed_size: 0
    .kernarg_segment_align: 8
    .kernarg_segment_size: 144
    .language:       OpenCL C
    .language_version:
      - 2
      - 0
    .max_flat_workgroup_size: 128
    .name:           _ZN7rocprim17ROCPRIM_400000_NS6detail17trampoline_kernelINS0_14default_configENS1_25partition_config_selectorILNS1_17partition_subalgoE6EN6thrust23THRUST_200600_302600_NS5tupleIjjNS7_9null_typeES9_S9_S9_S9_S9_S9_S9_EENS0_10empty_typeEbEEZZNS1_14partition_implILS5_6ELb0ES3_mNS7_12zip_iteratorINS8_INS7_6detail15normal_iteratorINS7_10device_ptrIjEEEESJ_S9_S9_S9_S9_S9_S9_S9_S9_EEEEPSB_SM_NS0_5tupleIJNSE_INS8_ISJ_NS7_16discard_iteratorINS7_11use_defaultEEES9_S9_S9_S9_S9_S9_S9_S9_EEEESB_EEENSN_IJSM_SM_EEESB_PlJNSF_9not_fun_tINSF_14equal_to_valueISA_EEEEEEE10hipError_tPvRmT3_T4_T5_T6_T7_T9_mT8_P12ihipStream_tbDpT10_ENKUlT_T0_E_clISt17integral_constantIbLb1EES1I_IbLb0EEEEDaS1E_S1F_EUlS1E_E_NS1_11comp_targetILNS1_3genE0ELNS1_11target_archE4294967295ELNS1_3gpuE0ELNS1_3repE0EEENS1_30default_config_static_selectorELNS0_4arch9wavefront6targetE0EEEvT1_
    .private_segment_fixed_size: 0
    .sgpr_count:     0
    .sgpr_spill_count: 0
    .symbol:         _ZN7rocprim17ROCPRIM_400000_NS6detail17trampoline_kernelINS0_14default_configENS1_25partition_config_selectorILNS1_17partition_subalgoE6EN6thrust23THRUST_200600_302600_NS5tupleIjjNS7_9null_typeES9_S9_S9_S9_S9_S9_S9_EENS0_10empty_typeEbEEZZNS1_14partition_implILS5_6ELb0ES3_mNS7_12zip_iteratorINS8_INS7_6detail15normal_iteratorINS7_10device_ptrIjEEEESJ_S9_S9_S9_S9_S9_S9_S9_S9_EEEEPSB_SM_NS0_5tupleIJNSE_INS8_ISJ_NS7_16discard_iteratorINS7_11use_defaultEEES9_S9_S9_S9_S9_S9_S9_S9_EEEESB_EEENSN_IJSM_SM_EEESB_PlJNSF_9not_fun_tINSF_14equal_to_valueISA_EEEEEEE10hipError_tPvRmT3_T4_T5_T6_T7_T9_mT8_P12ihipStream_tbDpT10_ENKUlT_T0_E_clISt17integral_constantIbLb1EES1I_IbLb0EEEEDaS1E_S1F_EUlS1E_E_NS1_11comp_targetILNS1_3genE0ELNS1_11target_archE4294967295ELNS1_3gpuE0ELNS1_3repE0EEENS1_30default_config_static_selectorELNS0_4arch9wavefront6targetE0EEEvT1_.kd
    .uniform_work_group_size: 1
    .uses_dynamic_stack: false
    .vgpr_count:     0
    .vgpr_spill_count: 0
    .wavefront_size: 32
    .workgroup_processor_mode: 1
  - .args:
      - .offset:         0
        .size:           144
        .value_kind:     by_value
    .group_segment_fixed_size: 0
    .kernarg_segment_align: 8
    .kernarg_segment_size: 144
    .language:       OpenCL C
    .language_version:
      - 2
      - 0
    .max_flat_workgroup_size: 512
    .name:           _ZN7rocprim17ROCPRIM_400000_NS6detail17trampoline_kernelINS0_14default_configENS1_25partition_config_selectorILNS1_17partition_subalgoE6EN6thrust23THRUST_200600_302600_NS5tupleIjjNS7_9null_typeES9_S9_S9_S9_S9_S9_S9_EENS0_10empty_typeEbEEZZNS1_14partition_implILS5_6ELb0ES3_mNS7_12zip_iteratorINS8_INS7_6detail15normal_iteratorINS7_10device_ptrIjEEEESJ_S9_S9_S9_S9_S9_S9_S9_S9_EEEEPSB_SM_NS0_5tupleIJNSE_INS8_ISJ_NS7_16discard_iteratorINS7_11use_defaultEEES9_S9_S9_S9_S9_S9_S9_S9_EEEESB_EEENSN_IJSM_SM_EEESB_PlJNSF_9not_fun_tINSF_14equal_to_valueISA_EEEEEEE10hipError_tPvRmT3_T4_T5_T6_T7_T9_mT8_P12ihipStream_tbDpT10_ENKUlT_T0_E_clISt17integral_constantIbLb1EES1I_IbLb0EEEEDaS1E_S1F_EUlS1E_E_NS1_11comp_targetILNS1_3genE5ELNS1_11target_archE942ELNS1_3gpuE9ELNS1_3repE0EEENS1_30default_config_static_selectorELNS0_4arch9wavefront6targetE0EEEvT1_
    .private_segment_fixed_size: 0
    .sgpr_count:     0
    .sgpr_spill_count: 0
    .symbol:         _ZN7rocprim17ROCPRIM_400000_NS6detail17trampoline_kernelINS0_14default_configENS1_25partition_config_selectorILNS1_17partition_subalgoE6EN6thrust23THRUST_200600_302600_NS5tupleIjjNS7_9null_typeES9_S9_S9_S9_S9_S9_S9_EENS0_10empty_typeEbEEZZNS1_14partition_implILS5_6ELb0ES3_mNS7_12zip_iteratorINS8_INS7_6detail15normal_iteratorINS7_10device_ptrIjEEEESJ_S9_S9_S9_S9_S9_S9_S9_S9_EEEEPSB_SM_NS0_5tupleIJNSE_INS8_ISJ_NS7_16discard_iteratorINS7_11use_defaultEEES9_S9_S9_S9_S9_S9_S9_S9_EEEESB_EEENSN_IJSM_SM_EEESB_PlJNSF_9not_fun_tINSF_14equal_to_valueISA_EEEEEEE10hipError_tPvRmT3_T4_T5_T6_T7_T9_mT8_P12ihipStream_tbDpT10_ENKUlT_T0_E_clISt17integral_constantIbLb1EES1I_IbLb0EEEEDaS1E_S1F_EUlS1E_E_NS1_11comp_targetILNS1_3genE5ELNS1_11target_archE942ELNS1_3gpuE9ELNS1_3repE0EEENS1_30default_config_static_selectorELNS0_4arch9wavefront6targetE0EEEvT1_.kd
    .uniform_work_group_size: 1
    .uses_dynamic_stack: false
    .vgpr_count:     0
    .vgpr_spill_count: 0
    .wavefront_size: 32
    .workgroup_processor_mode: 1
  - .args:
      - .offset:         0
        .size:           144
        .value_kind:     by_value
    .group_segment_fixed_size: 0
    .kernarg_segment_align: 8
    .kernarg_segment_size: 144
    .language:       OpenCL C
    .language_version:
      - 2
      - 0
    .max_flat_workgroup_size: 512
    .name:           _ZN7rocprim17ROCPRIM_400000_NS6detail17trampoline_kernelINS0_14default_configENS1_25partition_config_selectorILNS1_17partition_subalgoE6EN6thrust23THRUST_200600_302600_NS5tupleIjjNS7_9null_typeES9_S9_S9_S9_S9_S9_S9_EENS0_10empty_typeEbEEZZNS1_14partition_implILS5_6ELb0ES3_mNS7_12zip_iteratorINS8_INS7_6detail15normal_iteratorINS7_10device_ptrIjEEEESJ_S9_S9_S9_S9_S9_S9_S9_S9_EEEEPSB_SM_NS0_5tupleIJNSE_INS8_ISJ_NS7_16discard_iteratorINS7_11use_defaultEEES9_S9_S9_S9_S9_S9_S9_S9_EEEESB_EEENSN_IJSM_SM_EEESB_PlJNSF_9not_fun_tINSF_14equal_to_valueISA_EEEEEEE10hipError_tPvRmT3_T4_T5_T6_T7_T9_mT8_P12ihipStream_tbDpT10_ENKUlT_T0_E_clISt17integral_constantIbLb1EES1I_IbLb0EEEEDaS1E_S1F_EUlS1E_E_NS1_11comp_targetILNS1_3genE4ELNS1_11target_archE910ELNS1_3gpuE8ELNS1_3repE0EEENS1_30default_config_static_selectorELNS0_4arch9wavefront6targetE0EEEvT1_
    .private_segment_fixed_size: 0
    .sgpr_count:     0
    .sgpr_spill_count: 0
    .symbol:         _ZN7rocprim17ROCPRIM_400000_NS6detail17trampoline_kernelINS0_14default_configENS1_25partition_config_selectorILNS1_17partition_subalgoE6EN6thrust23THRUST_200600_302600_NS5tupleIjjNS7_9null_typeES9_S9_S9_S9_S9_S9_S9_EENS0_10empty_typeEbEEZZNS1_14partition_implILS5_6ELb0ES3_mNS7_12zip_iteratorINS8_INS7_6detail15normal_iteratorINS7_10device_ptrIjEEEESJ_S9_S9_S9_S9_S9_S9_S9_S9_EEEEPSB_SM_NS0_5tupleIJNSE_INS8_ISJ_NS7_16discard_iteratorINS7_11use_defaultEEES9_S9_S9_S9_S9_S9_S9_S9_EEEESB_EEENSN_IJSM_SM_EEESB_PlJNSF_9not_fun_tINSF_14equal_to_valueISA_EEEEEEE10hipError_tPvRmT3_T4_T5_T6_T7_T9_mT8_P12ihipStream_tbDpT10_ENKUlT_T0_E_clISt17integral_constantIbLb1EES1I_IbLb0EEEEDaS1E_S1F_EUlS1E_E_NS1_11comp_targetILNS1_3genE4ELNS1_11target_archE910ELNS1_3gpuE8ELNS1_3repE0EEENS1_30default_config_static_selectorELNS0_4arch9wavefront6targetE0EEEvT1_.kd
    .uniform_work_group_size: 1
    .uses_dynamic_stack: false
    .vgpr_count:     0
    .vgpr_spill_count: 0
    .wavefront_size: 32
    .workgroup_processor_mode: 1
  - .args:
      - .offset:         0
        .size:           144
        .value_kind:     by_value
    .group_segment_fixed_size: 0
    .kernarg_segment_align: 8
    .kernarg_segment_size: 144
    .language:       OpenCL C
    .language_version:
      - 2
      - 0
    .max_flat_workgroup_size: 128
    .name:           _ZN7rocprim17ROCPRIM_400000_NS6detail17trampoline_kernelINS0_14default_configENS1_25partition_config_selectorILNS1_17partition_subalgoE6EN6thrust23THRUST_200600_302600_NS5tupleIjjNS7_9null_typeES9_S9_S9_S9_S9_S9_S9_EENS0_10empty_typeEbEEZZNS1_14partition_implILS5_6ELb0ES3_mNS7_12zip_iteratorINS8_INS7_6detail15normal_iteratorINS7_10device_ptrIjEEEESJ_S9_S9_S9_S9_S9_S9_S9_S9_EEEEPSB_SM_NS0_5tupleIJNSE_INS8_ISJ_NS7_16discard_iteratorINS7_11use_defaultEEES9_S9_S9_S9_S9_S9_S9_S9_EEEESB_EEENSN_IJSM_SM_EEESB_PlJNSF_9not_fun_tINSF_14equal_to_valueISA_EEEEEEE10hipError_tPvRmT3_T4_T5_T6_T7_T9_mT8_P12ihipStream_tbDpT10_ENKUlT_T0_E_clISt17integral_constantIbLb1EES1I_IbLb0EEEEDaS1E_S1F_EUlS1E_E_NS1_11comp_targetILNS1_3genE3ELNS1_11target_archE908ELNS1_3gpuE7ELNS1_3repE0EEENS1_30default_config_static_selectorELNS0_4arch9wavefront6targetE0EEEvT1_
    .private_segment_fixed_size: 0
    .sgpr_count:     0
    .sgpr_spill_count: 0
    .symbol:         _ZN7rocprim17ROCPRIM_400000_NS6detail17trampoline_kernelINS0_14default_configENS1_25partition_config_selectorILNS1_17partition_subalgoE6EN6thrust23THRUST_200600_302600_NS5tupleIjjNS7_9null_typeES9_S9_S9_S9_S9_S9_S9_EENS0_10empty_typeEbEEZZNS1_14partition_implILS5_6ELb0ES3_mNS7_12zip_iteratorINS8_INS7_6detail15normal_iteratorINS7_10device_ptrIjEEEESJ_S9_S9_S9_S9_S9_S9_S9_S9_EEEEPSB_SM_NS0_5tupleIJNSE_INS8_ISJ_NS7_16discard_iteratorINS7_11use_defaultEEES9_S9_S9_S9_S9_S9_S9_S9_EEEESB_EEENSN_IJSM_SM_EEESB_PlJNSF_9not_fun_tINSF_14equal_to_valueISA_EEEEEEE10hipError_tPvRmT3_T4_T5_T6_T7_T9_mT8_P12ihipStream_tbDpT10_ENKUlT_T0_E_clISt17integral_constantIbLb1EES1I_IbLb0EEEEDaS1E_S1F_EUlS1E_E_NS1_11comp_targetILNS1_3genE3ELNS1_11target_archE908ELNS1_3gpuE7ELNS1_3repE0EEENS1_30default_config_static_selectorELNS0_4arch9wavefront6targetE0EEEvT1_.kd
    .uniform_work_group_size: 1
    .uses_dynamic_stack: false
    .vgpr_count:     0
    .vgpr_spill_count: 0
    .wavefront_size: 32
    .workgroup_processor_mode: 1
  - .args:
      - .offset:         0
        .size:           144
        .value_kind:     by_value
    .group_segment_fixed_size: 0
    .kernarg_segment_align: 8
    .kernarg_segment_size: 144
    .language:       OpenCL C
    .language_version:
      - 2
      - 0
    .max_flat_workgroup_size: 256
    .name:           _ZN7rocprim17ROCPRIM_400000_NS6detail17trampoline_kernelINS0_14default_configENS1_25partition_config_selectorILNS1_17partition_subalgoE6EN6thrust23THRUST_200600_302600_NS5tupleIjjNS7_9null_typeES9_S9_S9_S9_S9_S9_S9_EENS0_10empty_typeEbEEZZNS1_14partition_implILS5_6ELb0ES3_mNS7_12zip_iteratorINS8_INS7_6detail15normal_iteratorINS7_10device_ptrIjEEEESJ_S9_S9_S9_S9_S9_S9_S9_S9_EEEEPSB_SM_NS0_5tupleIJNSE_INS8_ISJ_NS7_16discard_iteratorINS7_11use_defaultEEES9_S9_S9_S9_S9_S9_S9_S9_EEEESB_EEENSN_IJSM_SM_EEESB_PlJNSF_9not_fun_tINSF_14equal_to_valueISA_EEEEEEE10hipError_tPvRmT3_T4_T5_T6_T7_T9_mT8_P12ihipStream_tbDpT10_ENKUlT_T0_E_clISt17integral_constantIbLb1EES1I_IbLb0EEEEDaS1E_S1F_EUlS1E_E_NS1_11comp_targetILNS1_3genE2ELNS1_11target_archE906ELNS1_3gpuE6ELNS1_3repE0EEENS1_30default_config_static_selectorELNS0_4arch9wavefront6targetE0EEEvT1_
    .private_segment_fixed_size: 0
    .sgpr_count:     0
    .sgpr_spill_count: 0
    .symbol:         _ZN7rocprim17ROCPRIM_400000_NS6detail17trampoline_kernelINS0_14default_configENS1_25partition_config_selectorILNS1_17partition_subalgoE6EN6thrust23THRUST_200600_302600_NS5tupleIjjNS7_9null_typeES9_S9_S9_S9_S9_S9_S9_EENS0_10empty_typeEbEEZZNS1_14partition_implILS5_6ELb0ES3_mNS7_12zip_iteratorINS8_INS7_6detail15normal_iteratorINS7_10device_ptrIjEEEESJ_S9_S9_S9_S9_S9_S9_S9_S9_EEEEPSB_SM_NS0_5tupleIJNSE_INS8_ISJ_NS7_16discard_iteratorINS7_11use_defaultEEES9_S9_S9_S9_S9_S9_S9_S9_EEEESB_EEENSN_IJSM_SM_EEESB_PlJNSF_9not_fun_tINSF_14equal_to_valueISA_EEEEEEE10hipError_tPvRmT3_T4_T5_T6_T7_T9_mT8_P12ihipStream_tbDpT10_ENKUlT_T0_E_clISt17integral_constantIbLb1EES1I_IbLb0EEEEDaS1E_S1F_EUlS1E_E_NS1_11comp_targetILNS1_3genE2ELNS1_11target_archE906ELNS1_3gpuE6ELNS1_3repE0EEENS1_30default_config_static_selectorELNS0_4arch9wavefront6targetE0EEEvT1_.kd
    .uniform_work_group_size: 1
    .uses_dynamic_stack: false
    .vgpr_count:     0
    .vgpr_spill_count: 0
    .wavefront_size: 32
    .workgroup_processor_mode: 1
  - .args:
      - .offset:         0
        .size:           144
        .value_kind:     by_value
    .group_segment_fixed_size: 0
    .kernarg_segment_align: 8
    .kernarg_segment_size: 144
    .language:       OpenCL C
    .language_version:
      - 2
      - 0
    .max_flat_workgroup_size: 256
    .name:           _ZN7rocprim17ROCPRIM_400000_NS6detail17trampoline_kernelINS0_14default_configENS1_25partition_config_selectorILNS1_17partition_subalgoE6EN6thrust23THRUST_200600_302600_NS5tupleIjjNS7_9null_typeES9_S9_S9_S9_S9_S9_S9_EENS0_10empty_typeEbEEZZNS1_14partition_implILS5_6ELb0ES3_mNS7_12zip_iteratorINS8_INS7_6detail15normal_iteratorINS7_10device_ptrIjEEEESJ_S9_S9_S9_S9_S9_S9_S9_S9_EEEEPSB_SM_NS0_5tupleIJNSE_INS8_ISJ_NS7_16discard_iteratorINS7_11use_defaultEEES9_S9_S9_S9_S9_S9_S9_S9_EEEESB_EEENSN_IJSM_SM_EEESB_PlJNSF_9not_fun_tINSF_14equal_to_valueISA_EEEEEEE10hipError_tPvRmT3_T4_T5_T6_T7_T9_mT8_P12ihipStream_tbDpT10_ENKUlT_T0_E_clISt17integral_constantIbLb1EES1I_IbLb0EEEEDaS1E_S1F_EUlS1E_E_NS1_11comp_targetILNS1_3genE10ELNS1_11target_archE1200ELNS1_3gpuE4ELNS1_3repE0EEENS1_30default_config_static_selectorELNS0_4arch9wavefront6targetE0EEEvT1_
    .private_segment_fixed_size: 0
    .sgpr_count:     0
    .sgpr_spill_count: 0
    .symbol:         _ZN7rocprim17ROCPRIM_400000_NS6detail17trampoline_kernelINS0_14default_configENS1_25partition_config_selectorILNS1_17partition_subalgoE6EN6thrust23THRUST_200600_302600_NS5tupleIjjNS7_9null_typeES9_S9_S9_S9_S9_S9_S9_EENS0_10empty_typeEbEEZZNS1_14partition_implILS5_6ELb0ES3_mNS7_12zip_iteratorINS8_INS7_6detail15normal_iteratorINS7_10device_ptrIjEEEESJ_S9_S9_S9_S9_S9_S9_S9_S9_EEEEPSB_SM_NS0_5tupleIJNSE_INS8_ISJ_NS7_16discard_iteratorINS7_11use_defaultEEES9_S9_S9_S9_S9_S9_S9_S9_EEEESB_EEENSN_IJSM_SM_EEESB_PlJNSF_9not_fun_tINSF_14equal_to_valueISA_EEEEEEE10hipError_tPvRmT3_T4_T5_T6_T7_T9_mT8_P12ihipStream_tbDpT10_ENKUlT_T0_E_clISt17integral_constantIbLb1EES1I_IbLb0EEEEDaS1E_S1F_EUlS1E_E_NS1_11comp_targetILNS1_3genE10ELNS1_11target_archE1200ELNS1_3gpuE4ELNS1_3repE0EEENS1_30default_config_static_selectorELNS0_4arch9wavefront6targetE0EEEvT1_.kd
    .uniform_work_group_size: 1
    .uses_dynamic_stack: false
    .vgpr_count:     0
    .vgpr_spill_count: 0
    .wavefront_size: 32
    .workgroup_processor_mode: 1
  - .args:
      - .offset:         0
        .size:           144
        .value_kind:     by_value
    .group_segment_fixed_size: 0
    .kernarg_segment_align: 8
    .kernarg_segment_size: 144
    .language:       OpenCL C
    .language_version:
      - 2
      - 0
    .max_flat_workgroup_size: 384
    .name:           _ZN7rocprim17ROCPRIM_400000_NS6detail17trampoline_kernelINS0_14default_configENS1_25partition_config_selectorILNS1_17partition_subalgoE6EN6thrust23THRUST_200600_302600_NS5tupleIjjNS7_9null_typeES9_S9_S9_S9_S9_S9_S9_EENS0_10empty_typeEbEEZZNS1_14partition_implILS5_6ELb0ES3_mNS7_12zip_iteratorINS8_INS7_6detail15normal_iteratorINS7_10device_ptrIjEEEESJ_S9_S9_S9_S9_S9_S9_S9_S9_EEEEPSB_SM_NS0_5tupleIJNSE_INS8_ISJ_NS7_16discard_iteratorINS7_11use_defaultEEES9_S9_S9_S9_S9_S9_S9_S9_EEEESB_EEENSN_IJSM_SM_EEESB_PlJNSF_9not_fun_tINSF_14equal_to_valueISA_EEEEEEE10hipError_tPvRmT3_T4_T5_T6_T7_T9_mT8_P12ihipStream_tbDpT10_ENKUlT_T0_E_clISt17integral_constantIbLb1EES1I_IbLb0EEEEDaS1E_S1F_EUlS1E_E_NS1_11comp_targetILNS1_3genE9ELNS1_11target_archE1100ELNS1_3gpuE3ELNS1_3repE0EEENS1_30default_config_static_selectorELNS0_4arch9wavefront6targetE0EEEvT1_
    .private_segment_fixed_size: 0
    .sgpr_count:     0
    .sgpr_spill_count: 0
    .symbol:         _ZN7rocprim17ROCPRIM_400000_NS6detail17trampoline_kernelINS0_14default_configENS1_25partition_config_selectorILNS1_17partition_subalgoE6EN6thrust23THRUST_200600_302600_NS5tupleIjjNS7_9null_typeES9_S9_S9_S9_S9_S9_S9_EENS0_10empty_typeEbEEZZNS1_14partition_implILS5_6ELb0ES3_mNS7_12zip_iteratorINS8_INS7_6detail15normal_iteratorINS7_10device_ptrIjEEEESJ_S9_S9_S9_S9_S9_S9_S9_S9_EEEEPSB_SM_NS0_5tupleIJNSE_INS8_ISJ_NS7_16discard_iteratorINS7_11use_defaultEEES9_S9_S9_S9_S9_S9_S9_S9_EEEESB_EEENSN_IJSM_SM_EEESB_PlJNSF_9not_fun_tINSF_14equal_to_valueISA_EEEEEEE10hipError_tPvRmT3_T4_T5_T6_T7_T9_mT8_P12ihipStream_tbDpT10_ENKUlT_T0_E_clISt17integral_constantIbLb1EES1I_IbLb0EEEEDaS1E_S1F_EUlS1E_E_NS1_11comp_targetILNS1_3genE9ELNS1_11target_archE1100ELNS1_3gpuE3ELNS1_3repE0EEENS1_30default_config_static_selectorELNS0_4arch9wavefront6targetE0EEEvT1_.kd
    .uniform_work_group_size: 1
    .uses_dynamic_stack: false
    .vgpr_count:     0
    .vgpr_spill_count: 0
    .wavefront_size: 32
    .workgroup_processor_mode: 1
  - .args:
      - .offset:         0
        .size:           144
        .value_kind:     by_value
    .group_segment_fixed_size: 0
    .kernarg_segment_align: 8
    .kernarg_segment_size: 144
    .language:       OpenCL C
    .language_version:
      - 2
      - 0
    .max_flat_workgroup_size: 512
    .name:           _ZN7rocprim17ROCPRIM_400000_NS6detail17trampoline_kernelINS0_14default_configENS1_25partition_config_selectorILNS1_17partition_subalgoE6EN6thrust23THRUST_200600_302600_NS5tupleIjjNS7_9null_typeES9_S9_S9_S9_S9_S9_S9_EENS0_10empty_typeEbEEZZNS1_14partition_implILS5_6ELb0ES3_mNS7_12zip_iteratorINS8_INS7_6detail15normal_iteratorINS7_10device_ptrIjEEEESJ_S9_S9_S9_S9_S9_S9_S9_S9_EEEEPSB_SM_NS0_5tupleIJNSE_INS8_ISJ_NS7_16discard_iteratorINS7_11use_defaultEEES9_S9_S9_S9_S9_S9_S9_S9_EEEESB_EEENSN_IJSM_SM_EEESB_PlJNSF_9not_fun_tINSF_14equal_to_valueISA_EEEEEEE10hipError_tPvRmT3_T4_T5_T6_T7_T9_mT8_P12ihipStream_tbDpT10_ENKUlT_T0_E_clISt17integral_constantIbLb1EES1I_IbLb0EEEEDaS1E_S1F_EUlS1E_E_NS1_11comp_targetILNS1_3genE8ELNS1_11target_archE1030ELNS1_3gpuE2ELNS1_3repE0EEENS1_30default_config_static_selectorELNS0_4arch9wavefront6targetE0EEEvT1_
    .private_segment_fixed_size: 0
    .sgpr_count:     0
    .sgpr_spill_count: 0
    .symbol:         _ZN7rocprim17ROCPRIM_400000_NS6detail17trampoline_kernelINS0_14default_configENS1_25partition_config_selectorILNS1_17partition_subalgoE6EN6thrust23THRUST_200600_302600_NS5tupleIjjNS7_9null_typeES9_S9_S9_S9_S9_S9_S9_EENS0_10empty_typeEbEEZZNS1_14partition_implILS5_6ELb0ES3_mNS7_12zip_iteratorINS8_INS7_6detail15normal_iteratorINS7_10device_ptrIjEEEESJ_S9_S9_S9_S9_S9_S9_S9_S9_EEEEPSB_SM_NS0_5tupleIJNSE_INS8_ISJ_NS7_16discard_iteratorINS7_11use_defaultEEES9_S9_S9_S9_S9_S9_S9_S9_EEEESB_EEENSN_IJSM_SM_EEESB_PlJNSF_9not_fun_tINSF_14equal_to_valueISA_EEEEEEE10hipError_tPvRmT3_T4_T5_T6_T7_T9_mT8_P12ihipStream_tbDpT10_ENKUlT_T0_E_clISt17integral_constantIbLb1EES1I_IbLb0EEEEDaS1E_S1F_EUlS1E_E_NS1_11comp_targetILNS1_3genE8ELNS1_11target_archE1030ELNS1_3gpuE2ELNS1_3repE0EEENS1_30default_config_static_selectorELNS0_4arch9wavefront6targetE0EEEvT1_.kd
    .uniform_work_group_size: 1
    .uses_dynamic_stack: false
    .vgpr_count:     0
    .vgpr_spill_count: 0
    .wavefront_size: 32
    .workgroup_processor_mode: 1
  - .args:
      - .offset:         0
        .size:           152
        .value_kind:     by_value
    .group_segment_fixed_size: 0
    .kernarg_segment_align: 8
    .kernarg_segment_size: 152
    .language:       OpenCL C
    .language_version:
      - 2
      - 0
    .max_flat_workgroup_size: 128
    .name:           _ZN7rocprim17ROCPRIM_400000_NS6detail17trampoline_kernelINS0_14default_configENS1_25partition_config_selectorILNS1_17partition_subalgoE6EN6thrust23THRUST_200600_302600_NS5tupleIjjNS7_9null_typeES9_S9_S9_S9_S9_S9_S9_EENS0_10empty_typeEbEEZZNS1_14partition_implILS5_6ELb0ES3_mNS7_12zip_iteratorINS8_INS7_6detail15normal_iteratorINS7_10device_ptrIjEEEESJ_S9_S9_S9_S9_S9_S9_S9_S9_EEEEPSB_SM_NS0_5tupleIJNSE_INS8_ISJ_NS7_16discard_iteratorINS7_11use_defaultEEES9_S9_S9_S9_S9_S9_S9_S9_EEEESB_EEENSN_IJSM_SM_EEESB_PlJNSF_9not_fun_tINSF_14equal_to_valueISA_EEEEEEE10hipError_tPvRmT3_T4_T5_T6_T7_T9_mT8_P12ihipStream_tbDpT10_ENKUlT_T0_E_clISt17integral_constantIbLb0EES1I_IbLb1EEEEDaS1E_S1F_EUlS1E_E_NS1_11comp_targetILNS1_3genE0ELNS1_11target_archE4294967295ELNS1_3gpuE0ELNS1_3repE0EEENS1_30default_config_static_selectorELNS0_4arch9wavefront6targetE0EEEvT1_
    .private_segment_fixed_size: 0
    .sgpr_count:     0
    .sgpr_spill_count: 0
    .symbol:         _ZN7rocprim17ROCPRIM_400000_NS6detail17trampoline_kernelINS0_14default_configENS1_25partition_config_selectorILNS1_17partition_subalgoE6EN6thrust23THRUST_200600_302600_NS5tupleIjjNS7_9null_typeES9_S9_S9_S9_S9_S9_S9_EENS0_10empty_typeEbEEZZNS1_14partition_implILS5_6ELb0ES3_mNS7_12zip_iteratorINS8_INS7_6detail15normal_iteratorINS7_10device_ptrIjEEEESJ_S9_S9_S9_S9_S9_S9_S9_S9_EEEEPSB_SM_NS0_5tupleIJNSE_INS8_ISJ_NS7_16discard_iteratorINS7_11use_defaultEEES9_S9_S9_S9_S9_S9_S9_S9_EEEESB_EEENSN_IJSM_SM_EEESB_PlJNSF_9not_fun_tINSF_14equal_to_valueISA_EEEEEEE10hipError_tPvRmT3_T4_T5_T6_T7_T9_mT8_P12ihipStream_tbDpT10_ENKUlT_T0_E_clISt17integral_constantIbLb0EES1I_IbLb1EEEEDaS1E_S1F_EUlS1E_E_NS1_11comp_targetILNS1_3genE0ELNS1_11target_archE4294967295ELNS1_3gpuE0ELNS1_3repE0EEENS1_30default_config_static_selectorELNS0_4arch9wavefront6targetE0EEEvT1_.kd
    .uniform_work_group_size: 1
    .uses_dynamic_stack: false
    .vgpr_count:     0
    .vgpr_spill_count: 0
    .wavefront_size: 32
    .workgroup_processor_mode: 1
  - .args:
      - .offset:         0
        .size:           152
        .value_kind:     by_value
    .group_segment_fixed_size: 0
    .kernarg_segment_align: 8
    .kernarg_segment_size: 152
    .language:       OpenCL C
    .language_version:
      - 2
      - 0
    .max_flat_workgroup_size: 512
    .name:           _ZN7rocprim17ROCPRIM_400000_NS6detail17trampoline_kernelINS0_14default_configENS1_25partition_config_selectorILNS1_17partition_subalgoE6EN6thrust23THRUST_200600_302600_NS5tupleIjjNS7_9null_typeES9_S9_S9_S9_S9_S9_S9_EENS0_10empty_typeEbEEZZNS1_14partition_implILS5_6ELb0ES3_mNS7_12zip_iteratorINS8_INS7_6detail15normal_iteratorINS7_10device_ptrIjEEEESJ_S9_S9_S9_S9_S9_S9_S9_S9_EEEEPSB_SM_NS0_5tupleIJNSE_INS8_ISJ_NS7_16discard_iteratorINS7_11use_defaultEEES9_S9_S9_S9_S9_S9_S9_S9_EEEESB_EEENSN_IJSM_SM_EEESB_PlJNSF_9not_fun_tINSF_14equal_to_valueISA_EEEEEEE10hipError_tPvRmT3_T4_T5_T6_T7_T9_mT8_P12ihipStream_tbDpT10_ENKUlT_T0_E_clISt17integral_constantIbLb0EES1I_IbLb1EEEEDaS1E_S1F_EUlS1E_E_NS1_11comp_targetILNS1_3genE5ELNS1_11target_archE942ELNS1_3gpuE9ELNS1_3repE0EEENS1_30default_config_static_selectorELNS0_4arch9wavefront6targetE0EEEvT1_
    .private_segment_fixed_size: 0
    .sgpr_count:     0
    .sgpr_spill_count: 0
    .symbol:         _ZN7rocprim17ROCPRIM_400000_NS6detail17trampoline_kernelINS0_14default_configENS1_25partition_config_selectorILNS1_17partition_subalgoE6EN6thrust23THRUST_200600_302600_NS5tupleIjjNS7_9null_typeES9_S9_S9_S9_S9_S9_S9_EENS0_10empty_typeEbEEZZNS1_14partition_implILS5_6ELb0ES3_mNS7_12zip_iteratorINS8_INS7_6detail15normal_iteratorINS7_10device_ptrIjEEEESJ_S9_S9_S9_S9_S9_S9_S9_S9_EEEEPSB_SM_NS0_5tupleIJNSE_INS8_ISJ_NS7_16discard_iteratorINS7_11use_defaultEEES9_S9_S9_S9_S9_S9_S9_S9_EEEESB_EEENSN_IJSM_SM_EEESB_PlJNSF_9not_fun_tINSF_14equal_to_valueISA_EEEEEEE10hipError_tPvRmT3_T4_T5_T6_T7_T9_mT8_P12ihipStream_tbDpT10_ENKUlT_T0_E_clISt17integral_constantIbLb0EES1I_IbLb1EEEEDaS1E_S1F_EUlS1E_E_NS1_11comp_targetILNS1_3genE5ELNS1_11target_archE942ELNS1_3gpuE9ELNS1_3repE0EEENS1_30default_config_static_selectorELNS0_4arch9wavefront6targetE0EEEvT1_.kd
    .uniform_work_group_size: 1
    .uses_dynamic_stack: false
    .vgpr_count:     0
    .vgpr_spill_count: 0
    .wavefront_size: 32
    .workgroup_processor_mode: 1
  - .args:
      - .offset:         0
        .size:           152
        .value_kind:     by_value
    .group_segment_fixed_size: 0
    .kernarg_segment_align: 8
    .kernarg_segment_size: 152
    .language:       OpenCL C
    .language_version:
      - 2
      - 0
    .max_flat_workgroup_size: 512
    .name:           _ZN7rocprim17ROCPRIM_400000_NS6detail17trampoline_kernelINS0_14default_configENS1_25partition_config_selectorILNS1_17partition_subalgoE6EN6thrust23THRUST_200600_302600_NS5tupleIjjNS7_9null_typeES9_S9_S9_S9_S9_S9_S9_EENS0_10empty_typeEbEEZZNS1_14partition_implILS5_6ELb0ES3_mNS7_12zip_iteratorINS8_INS7_6detail15normal_iteratorINS7_10device_ptrIjEEEESJ_S9_S9_S9_S9_S9_S9_S9_S9_EEEEPSB_SM_NS0_5tupleIJNSE_INS8_ISJ_NS7_16discard_iteratorINS7_11use_defaultEEES9_S9_S9_S9_S9_S9_S9_S9_EEEESB_EEENSN_IJSM_SM_EEESB_PlJNSF_9not_fun_tINSF_14equal_to_valueISA_EEEEEEE10hipError_tPvRmT3_T4_T5_T6_T7_T9_mT8_P12ihipStream_tbDpT10_ENKUlT_T0_E_clISt17integral_constantIbLb0EES1I_IbLb1EEEEDaS1E_S1F_EUlS1E_E_NS1_11comp_targetILNS1_3genE4ELNS1_11target_archE910ELNS1_3gpuE8ELNS1_3repE0EEENS1_30default_config_static_selectorELNS0_4arch9wavefront6targetE0EEEvT1_
    .private_segment_fixed_size: 0
    .sgpr_count:     0
    .sgpr_spill_count: 0
    .symbol:         _ZN7rocprim17ROCPRIM_400000_NS6detail17trampoline_kernelINS0_14default_configENS1_25partition_config_selectorILNS1_17partition_subalgoE6EN6thrust23THRUST_200600_302600_NS5tupleIjjNS7_9null_typeES9_S9_S9_S9_S9_S9_S9_EENS0_10empty_typeEbEEZZNS1_14partition_implILS5_6ELb0ES3_mNS7_12zip_iteratorINS8_INS7_6detail15normal_iteratorINS7_10device_ptrIjEEEESJ_S9_S9_S9_S9_S9_S9_S9_S9_EEEEPSB_SM_NS0_5tupleIJNSE_INS8_ISJ_NS7_16discard_iteratorINS7_11use_defaultEEES9_S9_S9_S9_S9_S9_S9_S9_EEEESB_EEENSN_IJSM_SM_EEESB_PlJNSF_9not_fun_tINSF_14equal_to_valueISA_EEEEEEE10hipError_tPvRmT3_T4_T5_T6_T7_T9_mT8_P12ihipStream_tbDpT10_ENKUlT_T0_E_clISt17integral_constantIbLb0EES1I_IbLb1EEEEDaS1E_S1F_EUlS1E_E_NS1_11comp_targetILNS1_3genE4ELNS1_11target_archE910ELNS1_3gpuE8ELNS1_3repE0EEENS1_30default_config_static_selectorELNS0_4arch9wavefront6targetE0EEEvT1_.kd
    .uniform_work_group_size: 1
    .uses_dynamic_stack: false
    .vgpr_count:     0
    .vgpr_spill_count: 0
    .wavefront_size: 32
    .workgroup_processor_mode: 1
  - .args:
      - .offset:         0
        .size:           152
        .value_kind:     by_value
    .group_segment_fixed_size: 0
    .kernarg_segment_align: 8
    .kernarg_segment_size: 152
    .language:       OpenCL C
    .language_version:
      - 2
      - 0
    .max_flat_workgroup_size: 128
    .name:           _ZN7rocprim17ROCPRIM_400000_NS6detail17trampoline_kernelINS0_14default_configENS1_25partition_config_selectorILNS1_17partition_subalgoE6EN6thrust23THRUST_200600_302600_NS5tupleIjjNS7_9null_typeES9_S9_S9_S9_S9_S9_S9_EENS0_10empty_typeEbEEZZNS1_14partition_implILS5_6ELb0ES3_mNS7_12zip_iteratorINS8_INS7_6detail15normal_iteratorINS7_10device_ptrIjEEEESJ_S9_S9_S9_S9_S9_S9_S9_S9_EEEEPSB_SM_NS0_5tupleIJNSE_INS8_ISJ_NS7_16discard_iteratorINS7_11use_defaultEEES9_S9_S9_S9_S9_S9_S9_S9_EEEESB_EEENSN_IJSM_SM_EEESB_PlJNSF_9not_fun_tINSF_14equal_to_valueISA_EEEEEEE10hipError_tPvRmT3_T4_T5_T6_T7_T9_mT8_P12ihipStream_tbDpT10_ENKUlT_T0_E_clISt17integral_constantIbLb0EES1I_IbLb1EEEEDaS1E_S1F_EUlS1E_E_NS1_11comp_targetILNS1_3genE3ELNS1_11target_archE908ELNS1_3gpuE7ELNS1_3repE0EEENS1_30default_config_static_selectorELNS0_4arch9wavefront6targetE0EEEvT1_
    .private_segment_fixed_size: 0
    .sgpr_count:     0
    .sgpr_spill_count: 0
    .symbol:         _ZN7rocprim17ROCPRIM_400000_NS6detail17trampoline_kernelINS0_14default_configENS1_25partition_config_selectorILNS1_17partition_subalgoE6EN6thrust23THRUST_200600_302600_NS5tupleIjjNS7_9null_typeES9_S9_S9_S9_S9_S9_S9_EENS0_10empty_typeEbEEZZNS1_14partition_implILS5_6ELb0ES3_mNS7_12zip_iteratorINS8_INS7_6detail15normal_iteratorINS7_10device_ptrIjEEEESJ_S9_S9_S9_S9_S9_S9_S9_S9_EEEEPSB_SM_NS0_5tupleIJNSE_INS8_ISJ_NS7_16discard_iteratorINS7_11use_defaultEEES9_S9_S9_S9_S9_S9_S9_S9_EEEESB_EEENSN_IJSM_SM_EEESB_PlJNSF_9not_fun_tINSF_14equal_to_valueISA_EEEEEEE10hipError_tPvRmT3_T4_T5_T6_T7_T9_mT8_P12ihipStream_tbDpT10_ENKUlT_T0_E_clISt17integral_constantIbLb0EES1I_IbLb1EEEEDaS1E_S1F_EUlS1E_E_NS1_11comp_targetILNS1_3genE3ELNS1_11target_archE908ELNS1_3gpuE7ELNS1_3repE0EEENS1_30default_config_static_selectorELNS0_4arch9wavefront6targetE0EEEvT1_.kd
    .uniform_work_group_size: 1
    .uses_dynamic_stack: false
    .vgpr_count:     0
    .vgpr_spill_count: 0
    .wavefront_size: 32
    .workgroup_processor_mode: 1
  - .args:
      - .offset:         0
        .size:           152
        .value_kind:     by_value
    .group_segment_fixed_size: 0
    .kernarg_segment_align: 8
    .kernarg_segment_size: 152
    .language:       OpenCL C
    .language_version:
      - 2
      - 0
    .max_flat_workgroup_size: 256
    .name:           _ZN7rocprim17ROCPRIM_400000_NS6detail17trampoline_kernelINS0_14default_configENS1_25partition_config_selectorILNS1_17partition_subalgoE6EN6thrust23THRUST_200600_302600_NS5tupleIjjNS7_9null_typeES9_S9_S9_S9_S9_S9_S9_EENS0_10empty_typeEbEEZZNS1_14partition_implILS5_6ELb0ES3_mNS7_12zip_iteratorINS8_INS7_6detail15normal_iteratorINS7_10device_ptrIjEEEESJ_S9_S9_S9_S9_S9_S9_S9_S9_EEEEPSB_SM_NS0_5tupleIJNSE_INS8_ISJ_NS7_16discard_iteratorINS7_11use_defaultEEES9_S9_S9_S9_S9_S9_S9_S9_EEEESB_EEENSN_IJSM_SM_EEESB_PlJNSF_9not_fun_tINSF_14equal_to_valueISA_EEEEEEE10hipError_tPvRmT3_T4_T5_T6_T7_T9_mT8_P12ihipStream_tbDpT10_ENKUlT_T0_E_clISt17integral_constantIbLb0EES1I_IbLb1EEEEDaS1E_S1F_EUlS1E_E_NS1_11comp_targetILNS1_3genE2ELNS1_11target_archE906ELNS1_3gpuE6ELNS1_3repE0EEENS1_30default_config_static_selectorELNS0_4arch9wavefront6targetE0EEEvT1_
    .private_segment_fixed_size: 0
    .sgpr_count:     0
    .sgpr_spill_count: 0
    .symbol:         _ZN7rocprim17ROCPRIM_400000_NS6detail17trampoline_kernelINS0_14default_configENS1_25partition_config_selectorILNS1_17partition_subalgoE6EN6thrust23THRUST_200600_302600_NS5tupleIjjNS7_9null_typeES9_S9_S9_S9_S9_S9_S9_EENS0_10empty_typeEbEEZZNS1_14partition_implILS5_6ELb0ES3_mNS7_12zip_iteratorINS8_INS7_6detail15normal_iteratorINS7_10device_ptrIjEEEESJ_S9_S9_S9_S9_S9_S9_S9_S9_EEEEPSB_SM_NS0_5tupleIJNSE_INS8_ISJ_NS7_16discard_iteratorINS7_11use_defaultEEES9_S9_S9_S9_S9_S9_S9_S9_EEEESB_EEENSN_IJSM_SM_EEESB_PlJNSF_9not_fun_tINSF_14equal_to_valueISA_EEEEEEE10hipError_tPvRmT3_T4_T5_T6_T7_T9_mT8_P12ihipStream_tbDpT10_ENKUlT_T0_E_clISt17integral_constantIbLb0EES1I_IbLb1EEEEDaS1E_S1F_EUlS1E_E_NS1_11comp_targetILNS1_3genE2ELNS1_11target_archE906ELNS1_3gpuE6ELNS1_3repE0EEENS1_30default_config_static_selectorELNS0_4arch9wavefront6targetE0EEEvT1_.kd
    .uniform_work_group_size: 1
    .uses_dynamic_stack: false
    .vgpr_count:     0
    .vgpr_spill_count: 0
    .wavefront_size: 32
    .workgroup_processor_mode: 1
  - .args:
      - .offset:         0
        .size:           152
        .value_kind:     by_value
    .group_segment_fixed_size: 8464
    .kernarg_segment_align: 8
    .kernarg_segment_size: 152
    .language:       OpenCL C
    .language_version:
      - 2
      - 0
    .max_flat_workgroup_size: 256
    .name:           _ZN7rocprim17ROCPRIM_400000_NS6detail17trampoline_kernelINS0_14default_configENS1_25partition_config_selectorILNS1_17partition_subalgoE6EN6thrust23THRUST_200600_302600_NS5tupleIjjNS7_9null_typeES9_S9_S9_S9_S9_S9_S9_EENS0_10empty_typeEbEEZZNS1_14partition_implILS5_6ELb0ES3_mNS7_12zip_iteratorINS8_INS7_6detail15normal_iteratorINS7_10device_ptrIjEEEESJ_S9_S9_S9_S9_S9_S9_S9_S9_EEEEPSB_SM_NS0_5tupleIJNSE_INS8_ISJ_NS7_16discard_iteratorINS7_11use_defaultEEES9_S9_S9_S9_S9_S9_S9_S9_EEEESB_EEENSN_IJSM_SM_EEESB_PlJNSF_9not_fun_tINSF_14equal_to_valueISA_EEEEEEE10hipError_tPvRmT3_T4_T5_T6_T7_T9_mT8_P12ihipStream_tbDpT10_ENKUlT_T0_E_clISt17integral_constantIbLb0EES1I_IbLb1EEEEDaS1E_S1F_EUlS1E_E_NS1_11comp_targetILNS1_3genE10ELNS1_11target_archE1200ELNS1_3gpuE4ELNS1_3repE0EEENS1_30default_config_static_selectorELNS0_4arch9wavefront6targetE0EEEvT1_
    .private_segment_fixed_size: 0
    .sgpr_count:     28
    .sgpr_spill_count: 0
    .symbol:         _ZN7rocprim17ROCPRIM_400000_NS6detail17trampoline_kernelINS0_14default_configENS1_25partition_config_selectorILNS1_17partition_subalgoE6EN6thrust23THRUST_200600_302600_NS5tupleIjjNS7_9null_typeES9_S9_S9_S9_S9_S9_S9_EENS0_10empty_typeEbEEZZNS1_14partition_implILS5_6ELb0ES3_mNS7_12zip_iteratorINS8_INS7_6detail15normal_iteratorINS7_10device_ptrIjEEEESJ_S9_S9_S9_S9_S9_S9_S9_S9_EEEEPSB_SM_NS0_5tupleIJNSE_INS8_ISJ_NS7_16discard_iteratorINS7_11use_defaultEEES9_S9_S9_S9_S9_S9_S9_S9_EEEESB_EEENSN_IJSM_SM_EEESB_PlJNSF_9not_fun_tINSF_14equal_to_valueISA_EEEEEEE10hipError_tPvRmT3_T4_T5_T6_T7_T9_mT8_P12ihipStream_tbDpT10_ENKUlT_T0_E_clISt17integral_constantIbLb0EES1I_IbLb1EEEEDaS1E_S1F_EUlS1E_E_NS1_11comp_targetILNS1_3genE10ELNS1_11target_archE1200ELNS1_3gpuE4ELNS1_3repE0EEENS1_30default_config_static_selectorELNS0_4arch9wavefront6targetE0EEEvT1_.kd
    .uniform_work_group_size: 1
    .uses_dynamic_stack: false
    .vgpr_count:     48
    .vgpr_spill_count: 0
    .wavefront_size: 32
    .workgroup_processor_mode: 1
  - .args:
      - .offset:         0
        .size:           152
        .value_kind:     by_value
    .group_segment_fixed_size: 0
    .kernarg_segment_align: 8
    .kernarg_segment_size: 152
    .language:       OpenCL C
    .language_version:
      - 2
      - 0
    .max_flat_workgroup_size: 384
    .name:           _ZN7rocprim17ROCPRIM_400000_NS6detail17trampoline_kernelINS0_14default_configENS1_25partition_config_selectorILNS1_17partition_subalgoE6EN6thrust23THRUST_200600_302600_NS5tupleIjjNS7_9null_typeES9_S9_S9_S9_S9_S9_S9_EENS0_10empty_typeEbEEZZNS1_14partition_implILS5_6ELb0ES3_mNS7_12zip_iteratorINS8_INS7_6detail15normal_iteratorINS7_10device_ptrIjEEEESJ_S9_S9_S9_S9_S9_S9_S9_S9_EEEEPSB_SM_NS0_5tupleIJNSE_INS8_ISJ_NS7_16discard_iteratorINS7_11use_defaultEEES9_S9_S9_S9_S9_S9_S9_S9_EEEESB_EEENSN_IJSM_SM_EEESB_PlJNSF_9not_fun_tINSF_14equal_to_valueISA_EEEEEEE10hipError_tPvRmT3_T4_T5_T6_T7_T9_mT8_P12ihipStream_tbDpT10_ENKUlT_T0_E_clISt17integral_constantIbLb0EES1I_IbLb1EEEEDaS1E_S1F_EUlS1E_E_NS1_11comp_targetILNS1_3genE9ELNS1_11target_archE1100ELNS1_3gpuE3ELNS1_3repE0EEENS1_30default_config_static_selectorELNS0_4arch9wavefront6targetE0EEEvT1_
    .private_segment_fixed_size: 0
    .sgpr_count:     0
    .sgpr_spill_count: 0
    .symbol:         _ZN7rocprim17ROCPRIM_400000_NS6detail17trampoline_kernelINS0_14default_configENS1_25partition_config_selectorILNS1_17partition_subalgoE6EN6thrust23THRUST_200600_302600_NS5tupleIjjNS7_9null_typeES9_S9_S9_S9_S9_S9_S9_EENS0_10empty_typeEbEEZZNS1_14partition_implILS5_6ELb0ES3_mNS7_12zip_iteratorINS8_INS7_6detail15normal_iteratorINS7_10device_ptrIjEEEESJ_S9_S9_S9_S9_S9_S9_S9_S9_EEEEPSB_SM_NS0_5tupleIJNSE_INS8_ISJ_NS7_16discard_iteratorINS7_11use_defaultEEES9_S9_S9_S9_S9_S9_S9_S9_EEEESB_EEENSN_IJSM_SM_EEESB_PlJNSF_9not_fun_tINSF_14equal_to_valueISA_EEEEEEE10hipError_tPvRmT3_T4_T5_T6_T7_T9_mT8_P12ihipStream_tbDpT10_ENKUlT_T0_E_clISt17integral_constantIbLb0EES1I_IbLb1EEEEDaS1E_S1F_EUlS1E_E_NS1_11comp_targetILNS1_3genE9ELNS1_11target_archE1100ELNS1_3gpuE3ELNS1_3repE0EEENS1_30default_config_static_selectorELNS0_4arch9wavefront6targetE0EEEvT1_.kd
    .uniform_work_group_size: 1
    .uses_dynamic_stack: false
    .vgpr_count:     0
    .vgpr_spill_count: 0
    .wavefront_size: 32
    .workgroup_processor_mode: 1
  - .args:
      - .offset:         0
        .size:           152
        .value_kind:     by_value
    .group_segment_fixed_size: 0
    .kernarg_segment_align: 8
    .kernarg_segment_size: 152
    .language:       OpenCL C
    .language_version:
      - 2
      - 0
    .max_flat_workgroup_size: 512
    .name:           _ZN7rocprim17ROCPRIM_400000_NS6detail17trampoline_kernelINS0_14default_configENS1_25partition_config_selectorILNS1_17partition_subalgoE6EN6thrust23THRUST_200600_302600_NS5tupleIjjNS7_9null_typeES9_S9_S9_S9_S9_S9_S9_EENS0_10empty_typeEbEEZZNS1_14partition_implILS5_6ELb0ES3_mNS7_12zip_iteratorINS8_INS7_6detail15normal_iteratorINS7_10device_ptrIjEEEESJ_S9_S9_S9_S9_S9_S9_S9_S9_EEEEPSB_SM_NS0_5tupleIJNSE_INS8_ISJ_NS7_16discard_iteratorINS7_11use_defaultEEES9_S9_S9_S9_S9_S9_S9_S9_EEEESB_EEENSN_IJSM_SM_EEESB_PlJNSF_9not_fun_tINSF_14equal_to_valueISA_EEEEEEE10hipError_tPvRmT3_T4_T5_T6_T7_T9_mT8_P12ihipStream_tbDpT10_ENKUlT_T0_E_clISt17integral_constantIbLb0EES1I_IbLb1EEEEDaS1E_S1F_EUlS1E_E_NS1_11comp_targetILNS1_3genE8ELNS1_11target_archE1030ELNS1_3gpuE2ELNS1_3repE0EEENS1_30default_config_static_selectorELNS0_4arch9wavefront6targetE0EEEvT1_
    .private_segment_fixed_size: 0
    .sgpr_count:     0
    .sgpr_spill_count: 0
    .symbol:         _ZN7rocprim17ROCPRIM_400000_NS6detail17trampoline_kernelINS0_14default_configENS1_25partition_config_selectorILNS1_17partition_subalgoE6EN6thrust23THRUST_200600_302600_NS5tupleIjjNS7_9null_typeES9_S9_S9_S9_S9_S9_S9_EENS0_10empty_typeEbEEZZNS1_14partition_implILS5_6ELb0ES3_mNS7_12zip_iteratorINS8_INS7_6detail15normal_iteratorINS7_10device_ptrIjEEEESJ_S9_S9_S9_S9_S9_S9_S9_S9_EEEEPSB_SM_NS0_5tupleIJNSE_INS8_ISJ_NS7_16discard_iteratorINS7_11use_defaultEEES9_S9_S9_S9_S9_S9_S9_S9_EEEESB_EEENSN_IJSM_SM_EEESB_PlJNSF_9not_fun_tINSF_14equal_to_valueISA_EEEEEEE10hipError_tPvRmT3_T4_T5_T6_T7_T9_mT8_P12ihipStream_tbDpT10_ENKUlT_T0_E_clISt17integral_constantIbLb0EES1I_IbLb1EEEEDaS1E_S1F_EUlS1E_E_NS1_11comp_targetILNS1_3genE8ELNS1_11target_archE1030ELNS1_3gpuE2ELNS1_3repE0EEENS1_30default_config_static_selectorELNS0_4arch9wavefront6targetE0EEEvT1_.kd
    .uniform_work_group_size: 1
    .uses_dynamic_stack: false
    .vgpr_count:     0
    .vgpr_spill_count: 0
    .wavefront_size: 32
    .workgroup_processor_mode: 1
  - .args:
      - .offset:         0
        .size:           144
        .value_kind:     by_value
    .group_segment_fixed_size: 0
    .kernarg_segment_align: 8
    .kernarg_segment_size: 144
    .language:       OpenCL C
    .language_version:
      - 2
      - 0
    .max_flat_workgroup_size: 256
    .name:           _ZN7rocprim17ROCPRIM_400000_NS6detail17trampoline_kernelINS0_14default_configENS1_25partition_config_selectorILNS1_17partition_subalgoE6EN6thrust23THRUST_200600_302600_NS5tupleIttNS7_9null_typeES9_S9_S9_S9_S9_S9_S9_EENS0_10empty_typeEbEEZZNS1_14partition_implILS5_6ELb0ES3_mNS7_12zip_iteratorINS8_INS7_6detail15normal_iteratorINS7_10device_ptrItEEEESJ_S9_S9_S9_S9_S9_S9_S9_S9_EEEEPSB_SM_NS0_5tupleIJNSE_INS8_ISJ_NS7_16discard_iteratorINS7_11use_defaultEEES9_S9_S9_S9_S9_S9_S9_S9_EEEESB_EEENSN_IJSM_SM_EEESB_PlJNSF_9not_fun_tINSF_14equal_to_valueISA_EEEEEEE10hipError_tPvRmT3_T4_T5_T6_T7_T9_mT8_P12ihipStream_tbDpT10_ENKUlT_T0_E_clISt17integral_constantIbLb0EES1J_EEDaS1E_S1F_EUlS1E_E_NS1_11comp_targetILNS1_3genE0ELNS1_11target_archE4294967295ELNS1_3gpuE0ELNS1_3repE0EEENS1_30default_config_static_selectorELNS0_4arch9wavefront6targetE0EEEvT1_
    .private_segment_fixed_size: 0
    .sgpr_count:     0
    .sgpr_spill_count: 0
    .symbol:         _ZN7rocprim17ROCPRIM_400000_NS6detail17trampoline_kernelINS0_14default_configENS1_25partition_config_selectorILNS1_17partition_subalgoE6EN6thrust23THRUST_200600_302600_NS5tupleIttNS7_9null_typeES9_S9_S9_S9_S9_S9_S9_EENS0_10empty_typeEbEEZZNS1_14partition_implILS5_6ELb0ES3_mNS7_12zip_iteratorINS8_INS7_6detail15normal_iteratorINS7_10device_ptrItEEEESJ_S9_S9_S9_S9_S9_S9_S9_S9_EEEEPSB_SM_NS0_5tupleIJNSE_INS8_ISJ_NS7_16discard_iteratorINS7_11use_defaultEEES9_S9_S9_S9_S9_S9_S9_S9_EEEESB_EEENSN_IJSM_SM_EEESB_PlJNSF_9not_fun_tINSF_14equal_to_valueISA_EEEEEEE10hipError_tPvRmT3_T4_T5_T6_T7_T9_mT8_P12ihipStream_tbDpT10_ENKUlT_T0_E_clISt17integral_constantIbLb0EES1J_EEDaS1E_S1F_EUlS1E_E_NS1_11comp_targetILNS1_3genE0ELNS1_11target_archE4294967295ELNS1_3gpuE0ELNS1_3repE0EEENS1_30default_config_static_selectorELNS0_4arch9wavefront6targetE0EEEvT1_.kd
    .uniform_work_group_size: 1
    .uses_dynamic_stack: false
    .vgpr_count:     0
    .vgpr_spill_count: 0
    .wavefront_size: 32
    .workgroup_processor_mode: 1
  - .args:
      - .offset:         0
        .size:           144
        .value_kind:     by_value
    .group_segment_fixed_size: 0
    .kernarg_segment_align: 8
    .kernarg_segment_size: 144
    .language:       OpenCL C
    .language_version:
      - 2
      - 0
    .max_flat_workgroup_size: 512
    .name:           _ZN7rocprim17ROCPRIM_400000_NS6detail17trampoline_kernelINS0_14default_configENS1_25partition_config_selectorILNS1_17partition_subalgoE6EN6thrust23THRUST_200600_302600_NS5tupleIttNS7_9null_typeES9_S9_S9_S9_S9_S9_S9_EENS0_10empty_typeEbEEZZNS1_14partition_implILS5_6ELb0ES3_mNS7_12zip_iteratorINS8_INS7_6detail15normal_iteratorINS7_10device_ptrItEEEESJ_S9_S9_S9_S9_S9_S9_S9_S9_EEEEPSB_SM_NS0_5tupleIJNSE_INS8_ISJ_NS7_16discard_iteratorINS7_11use_defaultEEES9_S9_S9_S9_S9_S9_S9_S9_EEEESB_EEENSN_IJSM_SM_EEESB_PlJNSF_9not_fun_tINSF_14equal_to_valueISA_EEEEEEE10hipError_tPvRmT3_T4_T5_T6_T7_T9_mT8_P12ihipStream_tbDpT10_ENKUlT_T0_E_clISt17integral_constantIbLb0EES1J_EEDaS1E_S1F_EUlS1E_E_NS1_11comp_targetILNS1_3genE5ELNS1_11target_archE942ELNS1_3gpuE9ELNS1_3repE0EEENS1_30default_config_static_selectorELNS0_4arch9wavefront6targetE0EEEvT1_
    .private_segment_fixed_size: 0
    .sgpr_count:     0
    .sgpr_spill_count: 0
    .symbol:         _ZN7rocprim17ROCPRIM_400000_NS6detail17trampoline_kernelINS0_14default_configENS1_25partition_config_selectorILNS1_17partition_subalgoE6EN6thrust23THRUST_200600_302600_NS5tupleIttNS7_9null_typeES9_S9_S9_S9_S9_S9_S9_EENS0_10empty_typeEbEEZZNS1_14partition_implILS5_6ELb0ES3_mNS7_12zip_iteratorINS8_INS7_6detail15normal_iteratorINS7_10device_ptrItEEEESJ_S9_S9_S9_S9_S9_S9_S9_S9_EEEEPSB_SM_NS0_5tupleIJNSE_INS8_ISJ_NS7_16discard_iteratorINS7_11use_defaultEEES9_S9_S9_S9_S9_S9_S9_S9_EEEESB_EEENSN_IJSM_SM_EEESB_PlJNSF_9not_fun_tINSF_14equal_to_valueISA_EEEEEEE10hipError_tPvRmT3_T4_T5_T6_T7_T9_mT8_P12ihipStream_tbDpT10_ENKUlT_T0_E_clISt17integral_constantIbLb0EES1J_EEDaS1E_S1F_EUlS1E_E_NS1_11comp_targetILNS1_3genE5ELNS1_11target_archE942ELNS1_3gpuE9ELNS1_3repE0EEENS1_30default_config_static_selectorELNS0_4arch9wavefront6targetE0EEEvT1_.kd
    .uniform_work_group_size: 1
    .uses_dynamic_stack: false
    .vgpr_count:     0
    .vgpr_spill_count: 0
    .wavefront_size: 32
    .workgroup_processor_mode: 1
  - .args:
      - .offset:         0
        .size:           144
        .value_kind:     by_value
    .group_segment_fixed_size: 0
    .kernarg_segment_align: 8
    .kernarg_segment_size: 144
    .language:       OpenCL C
    .language_version:
      - 2
      - 0
    .max_flat_workgroup_size: 512
    .name:           _ZN7rocprim17ROCPRIM_400000_NS6detail17trampoline_kernelINS0_14default_configENS1_25partition_config_selectorILNS1_17partition_subalgoE6EN6thrust23THRUST_200600_302600_NS5tupleIttNS7_9null_typeES9_S9_S9_S9_S9_S9_S9_EENS0_10empty_typeEbEEZZNS1_14partition_implILS5_6ELb0ES3_mNS7_12zip_iteratorINS8_INS7_6detail15normal_iteratorINS7_10device_ptrItEEEESJ_S9_S9_S9_S9_S9_S9_S9_S9_EEEEPSB_SM_NS0_5tupleIJNSE_INS8_ISJ_NS7_16discard_iteratorINS7_11use_defaultEEES9_S9_S9_S9_S9_S9_S9_S9_EEEESB_EEENSN_IJSM_SM_EEESB_PlJNSF_9not_fun_tINSF_14equal_to_valueISA_EEEEEEE10hipError_tPvRmT3_T4_T5_T6_T7_T9_mT8_P12ihipStream_tbDpT10_ENKUlT_T0_E_clISt17integral_constantIbLb0EES1J_EEDaS1E_S1F_EUlS1E_E_NS1_11comp_targetILNS1_3genE4ELNS1_11target_archE910ELNS1_3gpuE8ELNS1_3repE0EEENS1_30default_config_static_selectorELNS0_4arch9wavefront6targetE0EEEvT1_
    .private_segment_fixed_size: 0
    .sgpr_count:     0
    .sgpr_spill_count: 0
    .symbol:         _ZN7rocprim17ROCPRIM_400000_NS6detail17trampoline_kernelINS0_14default_configENS1_25partition_config_selectorILNS1_17partition_subalgoE6EN6thrust23THRUST_200600_302600_NS5tupleIttNS7_9null_typeES9_S9_S9_S9_S9_S9_S9_EENS0_10empty_typeEbEEZZNS1_14partition_implILS5_6ELb0ES3_mNS7_12zip_iteratorINS8_INS7_6detail15normal_iteratorINS7_10device_ptrItEEEESJ_S9_S9_S9_S9_S9_S9_S9_S9_EEEEPSB_SM_NS0_5tupleIJNSE_INS8_ISJ_NS7_16discard_iteratorINS7_11use_defaultEEES9_S9_S9_S9_S9_S9_S9_S9_EEEESB_EEENSN_IJSM_SM_EEESB_PlJNSF_9not_fun_tINSF_14equal_to_valueISA_EEEEEEE10hipError_tPvRmT3_T4_T5_T6_T7_T9_mT8_P12ihipStream_tbDpT10_ENKUlT_T0_E_clISt17integral_constantIbLb0EES1J_EEDaS1E_S1F_EUlS1E_E_NS1_11comp_targetILNS1_3genE4ELNS1_11target_archE910ELNS1_3gpuE8ELNS1_3repE0EEENS1_30default_config_static_selectorELNS0_4arch9wavefront6targetE0EEEvT1_.kd
    .uniform_work_group_size: 1
    .uses_dynamic_stack: false
    .vgpr_count:     0
    .vgpr_spill_count: 0
    .wavefront_size: 32
    .workgroup_processor_mode: 1
  - .args:
      - .offset:         0
        .size:           144
        .value_kind:     by_value
    .group_segment_fixed_size: 0
    .kernarg_segment_align: 8
    .kernarg_segment_size: 144
    .language:       OpenCL C
    .language_version:
      - 2
      - 0
    .max_flat_workgroup_size: 256
    .name:           _ZN7rocprim17ROCPRIM_400000_NS6detail17trampoline_kernelINS0_14default_configENS1_25partition_config_selectorILNS1_17partition_subalgoE6EN6thrust23THRUST_200600_302600_NS5tupleIttNS7_9null_typeES9_S9_S9_S9_S9_S9_S9_EENS0_10empty_typeEbEEZZNS1_14partition_implILS5_6ELb0ES3_mNS7_12zip_iteratorINS8_INS7_6detail15normal_iteratorINS7_10device_ptrItEEEESJ_S9_S9_S9_S9_S9_S9_S9_S9_EEEEPSB_SM_NS0_5tupleIJNSE_INS8_ISJ_NS7_16discard_iteratorINS7_11use_defaultEEES9_S9_S9_S9_S9_S9_S9_S9_EEEESB_EEENSN_IJSM_SM_EEESB_PlJNSF_9not_fun_tINSF_14equal_to_valueISA_EEEEEEE10hipError_tPvRmT3_T4_T5_T6_T7_T9_mT8_P12ihipStream_tbDpT10_ENKUlT_T0_E_clISt17integral_constantIbLb0EES1J_EEDaS1E_S1F_EUlS1E_E_NS1_11comp_targetILNS1_3genE3ELNS1_11target_archE908ELNS1_3gpuE7ELNS1_3repE0EEENS1_30default_config_static_selectorELNS0_4arch9wavefront6targetE0EEEvT1_
    .private_segment_fixed_size: 0
    .sgpr_count:     0
    .sgpr_spill_count: 0
    .symbol:         _ZN7rocprim17ROCPRIM_400000_NS6detail17trampoline_kernelINS0_14default_configENS1_25partition_config_selectorILNS1_17partition_subalgoE6EN6thrust23THRUST_200600_302600_NS5tupleIttNS7_9null_typeES9_S9_S9_S9_S9_S9_S9_EENS0_10empty_typeEbEEZZNS1_14partition_implILS5_6ELb0ES3_mNS7_12zip_iteratorINS8_INS7_6detail15normal_iteratorINS7_10device_ptrItEEEESJ_S9_S9_S9_S9_S9_S9_S9_S9_EEEEPSB_SM_NS0_5tupleIJNSE_INS8_ISJ_NS7_16discard_iteratorINS7_11use_defaultEEES9_S9_S9_S9_S9_S9_S9_S9_EEEESB_EEENSN_IJSM_SM_EEESB_PlJNSF_9not_fun_tINSF_14equal_to_valueISA_EEEEEEE10hipError_tPvRmT3_T4_T5_T6_T7_T9_mT8_P12ihipStream_tbDpT10_ENKUlT_T0_E_clISt17integral_constantIbLb0EES1J_EEDaS1E_S1F_EUlS1E_E_NS1_11comp_targetILNS1_3genE3ELNS1_11target_archE908ELNS1_3gpuE7ELNS1_3repE0EEENS1_30default_config_static_selectorELNS0_4arch9wavefront6targetE0EEEvT1_.kd
    .uniform_work_group_size: 1
    .uses_dynamic_stack: false
    .vgpr_count:     0
    .vgpr_spill_count: 0
    .wavefront_size: 32
    .workgroup_processor_mode: 1
  - .args:
      - .offset:         0
        .size:           144
        .value_kind:     by_value
    .group_segment_fixed_size: 0
    .kernarg_segment_align: 8
    .kernarg_segment_size: 144
    .language:       OpenCL C
    .language_version:
      - 2
      - 0
    .max_flat_workgroup_size: 192
    .name:           _ZN7rocprim17ROCPRIM_400000_NS6detail17trampoline_kernelINS0_14default_configENS1_25partition_config_selectorILNS1_17partition_subalgoE6EN6thrust23THRUST_200600_302600_NS5tupleIttNS7_9null_typeES9_S9_S9_S9_S9_S9_S9_EENS0_10empty_typeEbEEZZNS1_14partition_implILS5_6ELb0ES3_mNS7_12zip_iteratorINS8_INS7_6detail15normal_iteratorINS7_10device_ptrItEEEESJ_S9_S9_S9_S9_S9_S9_S9_S9_EEEEPSB_SM_NS0_5tupleIJNSE_INS8_ISJ_NS7_16discard_iteratorINS7_11use_defaultEEES9_S9_S9_S9_S9_S9_S9_S9_EEEESB_EEENSN_IJSM_SM_EEESB_PlJNSF_9not_fun_tINSF_14equal_to_valueISA_EEEEEEE10hipError_tPvRmT3_T4_T5_T6_T7_T9_mT8_P12ihipStream_tbDpT10_ENKUlT_T0_E_clISt17integral_constantIbLb0EES1J_EEDaS1E_S1F_EUlS1E_E_NS1_11comp_targetILNS1_3genE2ELNS1_11target_archE906ELNS1_3gpuE6ELNS1_3repE0EEENS1_30default_config_static_selectorELNS0_4arch9wavefront6targetE0EEEvT1_
    .private_segment_fixed_size: 0
    .sgpr_count:     0
    .sgpr_spill_count: 0
    .symbol:         _ZN7rocprim17ROCPRIM_400000_NS6detail17trampoline_kernelINS0_14default_configENS1_25partition_config_selectorILNS1_17partition_subalgoE6EN6thrust23THRUST_200600_302600_NS5tupleIttNS7_9null_typeES9_S9_S9_S9_S9_S9_S9_EENS0_10empty_typeEbEEZZNS1_14partition_implILS5_6ELb0ES3_mNS7_12zip_iteratorINS8_INS7_6detail15normal_iteratorINS7_10device_ptrItEEEESJ_S9_S9_S9_S9_S9_S9_S9_S9_EEEEPSB_SM_NS0_5tupleIJNSE_INS8_ISJ_NS7_16discard_iteratorINS7_11use_defaultEEES9_S9_S9_S9_S9_S9_S9_S9_EEEESB_EEENSN_IJSM_SM_EEESB_PlJNSF_9not_fun_tINSF_14equal_to_valueISA_EEEEEEE10hipError_tPvRmT3_T4_T5_T6_T7_T9_mT8_P12ihipStream_tbDpT10_ENKUlT_T0_E_clISt17integral_constantIbLb0EES1J_EEDaS1E_S1F_EUlS1E_E_NS1_11comp_targetILNS1_3genE2ELNS1_11target_archE906ELNS1_3gpuE6ELNS1_3repE0EEENS1_30default_config_static_selectorELNS0_4arch9wavefront6targetE0EEEvT1_.kd
    .uniform_work_group_size: 1
    .uses_dynamic_stack: false
    .vgpr_count:     0
    .vgpr_spill_count: 0
    .wavefront_size: 32
    .workgroup_processor_mode: 1
  - .args:
      - .offset:         0
        .size:           144
        .value_kind:     by_value
    .group_segment_fixed_size: 10768
    .kernarg_segment_align: 8
    .kernarg_segment_size: 144
    .language:       OpenCL C
    .language_version:
      - 2
      - 0
    .max_flat_workgroup_size: 384
    .name:           _ZN7rocprim17ROCPRIM_400000_NS6detail17trampoline_kernelINS0_14default_configENS1_25partition_config_selectorILNS1_17partition_subalgoE6EN6thrust23THRUST_200600_302600_NS5tupleIttNS7_9null_typeES9_S9_S9_S9_S9_S9_S9_EENS0_10empty_typeEbEEZZNS1_14partition_implILS5_6ELb0ES3_mNS7_12zip_iteratorINS8_INS7_6detail15normal_iteratorINS7_10device_ptrItEEEESJ_S9_S9_S9_S9_S9_S9_S9_S9_EEEEPSB_SM_NS0_5tupleIJNSE_INS8_ISJ_NS7_16discard_iteratorINS7_11use_defaultEEES9_S9_S9_S9_S9_S9_S9_S9_EEEESB_EEENSN_IJSM_SM_EEESB_PlJNSF_9not_fun_tINSF_14equal_to_valueISA_EEEEEEE10hipError_tPvRmT3_T4_T5_T6_T7_T9_mT8_P12ihipStream_tbDpT10_ENKUlT_T0_E_clISt17integral_constantIbLb0EES1J_EEDaS1E_S1F_EUlS1E_E_NS1_11comp_targetILNS1_3genE10ELNS1_11target_archE1200ELNS1_3gpuE4ELNS1_3repE0EEENS1_30default_config_static_selectorELNS0_4arch9wavefront6targetE0EEEvT1_
    .private_segment_fixed_size: 0
    .sgpr_count:     24
    .sgpr_spill_count: 0
    .symbol:         _ZN7rocprim17ROCPRIM_400000_NS6detail17trampoline_kernelINS0_14default_configENS1_25partition_config_selectorILNS1_17partition_subalgoE6EN6thrust23THRUST_200600_302600_NS5tupleIttNS7_9null_typeES9_S9_S9_S9_S9_S9_S9_EENS0_10empty_typeEbEEZZNS1_14partition_implILS5_6ELb0ES3_mNS7_12zip_iteratorINS8_INS7_6detail15normal_iteratorINS7_10device_ptrItEEEESJ_S9_S9_S9_S9_S9_S9_S9_S9_EEEEPSB_SM_NS0_5tupleIJNSE_INS8_ISJ_NS7_16discard_iteratorINS7_11use_defaultEEES9_S9_S9_S9_S9_S9_S9_S9_EEEESB_EEENSN_IJSM_SM_EEESB_PlJNSF_9not_fun_tINSF_14equal_to_valueISA_EEEEEEE10hipError_tPvRmT3_T4_T5_T6_T7_T9_mT8_P12ihipStream_tbDpT10_ENKUlT_T0_E_clISt17integral_constantIbLb0EES1J_EEDaS1E_S1F_EUlS1E_E_NS1_11comp_targetILNS1_3genE10ELNS1_11target_archE1200ELNS1_3gpuE4ELNS1_3repE0EEENS1_30default_config_static_selectorELNS0_4arch9wavefront6targetE0EEEvT1_.kd
    .uniform_work_group_size: 1
    .uses_dynamic_stack: false
    .vgpr_count:     49
    .vgpr_spill_count: 0
    .wavefront_size: 32
    .workgroup_processor_mode: 1
  - .args:
      - .offset:         0
        .size:           144
        .value_kind:     by_value
    .group_segment_fixed_size: 0
    .kernarg_segment_align: 8
    .kernarg_segment_size: 144
    .language:       OpenCL C
    .language_version:
      - 2
      - 0
    .max_flat_workgroup_size: 128
    .name:           _ZN7rocprim17ROCPRIM_400000_NS6detail17trampoline_kernelINS0_14default_configENS1_25partition_config_selectorILNS1_17partition_subalgoE6EN6thrust23THRUST_200600_302600_NS5tupleIttNS7_9null_typeES9_S9_S9_S9_S9_S9_S9_EENS0_10empty_typeEbEEZZNS1_14partition_implILS5_6ELb0ES3_mNS7_12zip_iteratorINS8_INS7_6detail15normal_iteratorINS7_10device_ptrItEEEESJ_S9_S9_S9_S9_S9_S9_S9_S9_EEEEPSB_SM_NS0_5tupleIJNSE_INS8_ISJ_NS7_16discard_iteratorINS7_11use_defaultEEES9_S9_S9_S9_S9_S9_S9_S9_EEEESB_EEENSN_IJSM_SM_EEESB_PlJNSF_9not_fun_tINSF_14equal_to_valueISA_EEEEEEE10hipError_tPvRmT3_T4_T5_T6_T7_T9_mT8_P12ihipStream_tbDpT10_ENKUlT_T0_E_clISt17integral_constantIbLb0EES1J_EEDaS1E_S1F_EUlS1E_E_NS1_11comp_targetILNS1_3genE9ELNS1_11target_archE1100ELNS1_3gpuE3ELNS1_3repE0EEENS1_30default_config_static_selectorELNS0_4arch9wavefront6targetE0EEEvT1_
    .private_segment_fixed_size: 0
    .sgpr_count:     0
    .sgpr_spill_count: 0
    .symbol:         _ZN7rocprim17ROCPRIM_400000_NS6detail17trampoline_kernelINS0_14default_configENS1_25partition_config_selectorILNS1_17partition_subalgoE6EN6thrust23THRUST_200600_302600_NS5tupleIttNS7_9null_typeES9_S9_S9_S9_S9_S9_S9_EENS0_10empty_typeEbEEZZNS1_14partition_implILS5_6ELb0ES3_mNS7_12zip_iteratorINS8_INS7_6detail15normal_iteratorINS7_10device_ptrItEEEESJ_S9_S9_S9_S9_S9_S9_S9_S9_EEEEPSB_SM_NS0_5tupleIJNSE_INS8_ISJ_NS7_16discard_iteratorINS7_11use_defaultEEES9_S9_S9_S9_S9_S9_S9_S9_EEEESB_EEENSN_IJSM_SM_EEESB_PlJNSF_9not_fun_tINSF_14equal_to_valueISA_EEEEEEE10hipError_tPvRmT3_T4_T5_T6_T7_T9_mT8_P12ihipStream_tbDpT10_ENKUlT_T0_E_clISt17integral_constantIbLb0EES1J_EEDaS1E_S1F_EUlS1E_E_NS1_11comp_targetILNS1_3genE9ELNS1_11target_archE1100ELNS1_3gpuE3ELNS1_3repE0EEENS1_30default_config_static_selectorELNS0_4arch9wavefront6targetE0EEEvT1_.kd
    .uniform_work_group_size: 1
    .uses_dynamic_stack: false
    .vgpr_count:     0
    .vgpr_spill_count: 0
    .wavefront_size: 32
    .workgroup_processor_mode: 1
  - .args:
      - .offset:         0
        .size:           144
        .value_kind:     by_value
    .group_segment_fixed_size: 0
    .kernarg_segment_align: 8
    .kernarg_segment_size: 144
    .language:       OpenCL C
    .language_version:
      - 2
      - 0
    .max_flat_workgroup_size: 512
    .name:           _ZN7rocprim17ROCPRIM_400000_NS6detail17trampoline_kernelINS0_14default_configENS1_25partition_config_selectorILNS1_17partition_subalgoE6EN6thrust23THRUST_200600_302600_NS5tupleIttNS7_9null_typeES9_S9_S9_S9_S9_S9_S9_EENS0_10empty_typeEbEEZZNS1_14partition_implILS5_6ELb0ES3_mNS7_12zip_iteratorINS8_INS7_6detail15normal_iteratorINS7_10device_ptrItEEEESJ_S9_S9_S9_S9_S9_S9_S9_S9_EEEEPSB_SM_NS0_5tupleIJNSE_INS8_ISJ_NS7_16discard_iteratorINS7_11use_defaultEEES9_S9_S9_S9_S9_S9_S9_S9_EEEESB_EEENSN_IJSM_SM_EEESB_PlJNSF_9not_fun_tINSF_14equal_to_valueISA_EEEEEEE10hipError_tPvRmT3_T4_T5_T6_T7_T9_mT8_P12ihipStream_tbDpT10_ENKUlT_T0_E_clISt17integral_constantIbLb0EES1J_EEDaS1E_S1F_EUlS1E_E_NS1_11comp_targetILNS1_3genE8ELNS1_11target_archE1030ELNS1_3gpuE2ELNS1_3repE0EEENS1_30default_config_static_selectorELNS0_4arch9wavefront6targetE0EEEvT1_
    .private_segment_fixed_size: 0
    .sgpr_count:     0
    .sgpr_spill_count: 0
    .symbol:         _ZN7rocprim17ROCPRIM_400000_NS6detail17trampoline_kernelINS0_14default_configENS1_25partition_config_selectorILNS1_17partition_subalgoE6EN6thrust23THRUST_200600_302600_NS5tupleIttNS7_9null_typeES9_S9_S9_S9_S9_S9_S9_EENS0_10empty_typeEbEEZZNS1_14partition_implILS5_6ELb0ES3_mNS7_12zip_iteratorINS8_INS7_6detail15normal_iteratorINS7_10device_ptrItEEEESJ_S9_S9_S9_S9_S9_S9_S9_S9_EEEEPSB_SM_NS0_5tupleIJNSE_INS8_ISJ_NS7_16discard_iteratorINS7_11use_defaultEEES9_S9_S9_S9_S9_S9_S9_S9_EEEESB_EEENSN_IJSM_SM_EEESB_PlJNSF_9not_fun_tINSF_14equal_to_valueISA_EEEEEEE10hipError_tPvRmT3_T4_T5_T6_T7_T9_mT8_P12ihipStream_tbDpT10_ENKUlT_T0_E_clISt17integral_constantIbLb0EES1J_EEDaS1E_S1F_EUlS1E_E_NS1_11comp_targetILNS1_3genE8ELNS1_11target_archE1030ELNS1_3gpuE2ELNS1_3repE0EEENS1_30default_config_static_selectorELNS0_4arch9wavefront6targetE0EEEvT1_.kd
    .uniform_work_group_size: 1
    .uses_dynamic_stack: false
    .vgpr_count:     0
    .vgpr_spill_count: 0
    .wavefront_size: 32
    .workgroup_processor_mode: 1
  - .args:
      - .offset:         0
        .size:           152
        .value_kind:     by_value
    .group_segment_fixed_size: 0
    .kernarg_segment_align: 8
    .kernarg_segment_size: 152
    .language:       OpenCL C
    .language_version:
      - 2
      - 0
    .max_flat_workgroup_size: 256
    .name:           _ZN7rocprim17ROCPRIM_400000_NS6detail17trampoline_kernelINS0_14default_configENS1_25partition_config_selectorILNS1_17partition_subalgoE6EN6thrust23THRUST_200600_302600_NS5tupleIttNS7_9null_typeES9_S9_S9_S9_S9_S9_S9_EENS0_10empty_typeEbEEZZNS1_14partition_implILS5_6ELb0ES3_mNS7_12zip_iteratorINS8_INS7_6detail15normal_iteratorINS7_10device_ptrItEEEESJ_S9_S9_S9_S9_S9_S9_S9_S9_EEEEPSB_SM_NS0_5tupleIJNSE_INS8_ISJ_NS7_16discard_iteratorINS7_11use_defaultEEES9_S9_S9_S9_S9_S9_S9_S9_EEEESB_EEENSN_IJSM_SM_EEESB_PlJNSF_9not_fun_tINSF_14equal_to_valueISA_EEEEEEE10hipError_tPvRmT3_T4_T5_T6_T7_T9_mT8_P12ihipStream_tbDpT10_ENKUlT_T0_E_clISt17integral_constantIbLb1EES1J_EEDaS1E_S1F_EUlS1E_E_NS1_11comp_targetILNS1_3genE0ELNS1_11target_archE4294967295ELNS1_3gpuE0ELNS1_3repE0EEENS1_30default_config_static_selectorELNS0_4arch9wavefront6targetE0EEEvT1_
    .private_segment_fixed_size: 0
    .sgpr_count:     0
    .sgpr_spill_count: 0
    .symbol:         _ZN7rocprim17ROCPRIM_400000_NS6detail17trampoline_kernelINS0_14default_configENS1_25partition_config_selectorILNS1_17partition_subalgoE6EN6thrust23THRUST_200600_302600_NS5tupleIttNS7_9null_typeES9_S9_S9_S9_S9_S9_S9_EENS0_10empty_typeEbEEZZNS1_14partition_implILS5_6ELb0ES3_mNS7_12zip_iteratorINS8_INS7_6detail15normal_iteratorINS7_10device_ptrItEEEESJ_S9_S9_S9_S9_S9_S9_S9_S9_EEEEPSB_SM_NS0_5tupleIJNSE_INS8_ISJ_NS7_16discard_iteratorINS7_11use_defaultEEES9_S9_S9_S9_S9_S9_S9_S9_EEEESB_EEENSN_IJSM_SM_EEESB_PlJNSF_9not_fun_tINSF_14equal_to_valueISA_EEEEEEE10hipError_tPvRmT3_T4_T5_T6_T7_T9_mT8_P12ihipStream_tbDpT10_ENKUlT_T0_E_clISt17integral_constantIbLb1EES1J_EEDaS1E_S1F_EUlS1E_E_NS1_11comp_targetILNS1_3genE0ELNS1_11target_archE4294967295ELNS1_3gpuE0ELNS1_3repE0EEENS1_30default_config_static_selectorELNS0_4arch9wavefront6targetE0EEEvT1_.kd
    .uniform_work_group_size: 1
    .uses_dynamic_stack: false
    .vgpr_count:     0
    .vgpr_spill_count: 0
    .wavefront_size: 32
    .workgroup_processor_mode: 1
  - .args:
      - .offset:         0
        .size:           152
        .value_kind:     by_value
    .group_segment_fixed_size: 0
    .kernarg_segment_align: 8
    .kernarg_segment_size: 152
    .language:       OpenCL C
    .language_version:
      - 2
      - 0
    .max_flat_workgroup_size: 512
    .name:           _ZN7rocprim17ROCPRIM_400000_NS6detail17trampoline_kernelINS0_14default_configENS1_25partition_config_selectorILNS1_17partition_subalgoE6EN6thrust23THRUST_200600_302600_NS5tupleIttNS7_9null_typeES9_S9_S9_S9_S9_S9_S9_EENS0_10empty_typeEbEEZZNS1_14partition_implILS5_6ELb0ES3_mNS7_12zip_iteratorINS8_INS7_6detail15normal_iteratorINS7_10device_ptrItEEEESJ_S9_S9_S9_S9_S9_S9_S9_S9_EEEEPSB_SM_NS0_5tupleIJNSE_INS8_ISJ_NS7_16discard_iteratorINS7_11use_defaultEEES9_S9_S9_S9_S9_S9_S9_S9_EEEESB_EEENSN_IJSM_SM_EEESB_PlJNSF_9not_fun_tINSF_14equal_to_valueISA_EEEEEEE10hipError_tPvRmT3_T4_T5_T6_T7_T9_mT8_P12ihipStream_tbDpT10_ENKUlT_T0_E_clISt17integral_constantIbLb1EES1J_EEDaS1E_S1F_EUlS1E_E_NS1_11comp_targetILNS1_3genE5ELNS1_11target_archE942ELNS1_3gpuE9ELNS1_3repE0EEENS1_30default_config_static_selectorELNS0_4arch9wavefront6targetE0EEEvT1_
    .private_segment_fixed_size: 0
    .sgpr_count:     0
    .sgpr_spill_count: 0
    .symbol:         _ZN7rocprim17ROCPRIM_400000_NS6detail17trampoline_kernelINS0_14default_configENS1_25partition_config_selectorILNS1_17partition_subalgoE6EN6thrust23THRUST_200600_302600_NS5tupleIttNS7_9null_typeES9_S9_S9_S9_S9_S9_S9_EENS0_10empty_typeEbEEZZNS1_14partition_implILS5_6ELb0ES3_mNS7_12zip_iteratorINS8_INS7_6detail15normal_iteratorINS7_10device_ptrItEEEESJ_S9_S9_S9_S9_S9_S9_S9_S9_EEEEPSB_SM_NS0_5tupleIJNSE_INS8_ISJ_NS7_16discard_iteratorINS7_11use_defaultEEES9_S9_S9_S9_S9_S9_S9_S9_EEEESB_EEENSN_IJSM_SM_EEESB_PlJNSF_9not_fun_tINSF_14equal_to_valueISA_EEEEEEE10hipError_tPvRmT3_T4_T5_T6_T7_T9_mT8_P12ihipStream_tbDpT10_ENKUlT_T0_E_clISt17integral_constantIbLb1EES1J_EEDaS1E_S1F_EUlS1E_E_NS1_11comp_targetILNS1_3genE5ELNS1_11target_archE942ELNS1_3gpuE9ELNS1_3repE0EEENS1_30default_config_static_selectorELNS0_4arch9wavefront6targetE0EEEvT1_.kd
    .uniform_work_group_size: 1
    .uses_dynamic_stack: false
    .vgpr_count:     0
    .vgpr_spill_count: 0
    .wavefront_size: 32
    .workgroup_processor_mode: 1
  - .args:
      - .offset:         0
        .size:           152
        .value_kind:     by_value
    .group_segment_fixed_size: 0
    .kernarg_segment_align: 8
    .kernarg_segment_size: 152
    .language:       OpenCL C
    .language_version:
      - 2
      - 0
    .max_flat_workgroup_size: 512
    .name:           _ZN7rocprim17ROCPRIM_400000_NS6detail17trampoline_kernelINS0_14default_configENS1_25partition_config_selectorILNS1_17partition_subalgoE6EN6thrust23THRUST_200600_302600_NS5tupleIttNS7_9null_typeES9_S9_S9_S9_S9_S9_S9_EENS0_10empty_typeEbEEZZNS1_14partition_implILS5_6ELb0ES3_mNS7_12zip_iteratorINS8_INS7_6detail15normal_iteratorINS7_10device_ptrItEEEESJ_S9_S9_S9_S9_S9_S9_S9_S9_EEEEPSB_SM_NS0_5tupleIJNSE_INS8_ISJ_NS7_16discard_iteratorINS7_11use_defaultEEES9_S9_S9_S9_S9_S9_S9_S9_EEEESB_EEENSN_IJSM_SM_EEESB_PlJNSF_9not_fun_tINSF_14equal_to_valueISA_EEEEEEE10hipError_tPvRmT3_T4_T5_T6_T7_T9_mT8_P12ihipStream_tbDpT10_ENKUlT_T0_E_clISt17integral_constantIbLb1EES1J_EEDaS1E_S1F_EUlS1E_E_NS1_11comp_targetILNS1_3genE4ELNS1_11target_archE910ELNS1_3gpuE8ELNS1_3repE0EEENS1_30default_config_static_selectorELNS0_4arch9wavefront6targetE0EEEvT1_
    .private_segment_fixed_size: 0
    .sgpr_count:     0
    .sgpr_spill_count: 0
    .symbol:         _ZN7rocprim17ROCPRIM_400000_NS6detail17trampoline_kernelINS0_14default_configENS1_25partition_config_selectorILNS1_17partition_subalgoE6EN6thrust23THRUST_200600_302600_NS5tupleIttNS7_9null_typeES9_S9_S9_S9_S9_S9_S9_EENS0_10empty_typeEbEEZZNS1_14partition_implILS5_6ELb0ES3_mNS7_12zip_iteratorINS8_INS7_6detail15normal_iteratorINS7_10device_ptrItEEEESJ_S9_S9_S9_S9_S9_S9_S9_S9_EEEEPSB_SM_NS0_5tupleIJNSE_INS8_ISJ_NS7_16discard_iteratorINS7_11use_defaultEEES9_S9_S9_S9_S9_S9_S9_S9_EEEESB_EEENSN_IJSM_SM_EEESB_PlJNSF_9not_fun_tINSF_14equal_to_valueISA_EEEEEEE10hipError_tPvRmT3_T4_T5_T6_T7_T9_mT8_P12ihipStream_tbDpT10_ENKUlT_T0_E_clISt17integral_constantIbLb1EES1J_EEDaS1E_S1F_EUlS1E_E_NS1_11comp_targetILNS1_3genE4ELNS1_11target_archE910ELNS1_3gpuE8ELNS1_3repE0EEENS1_30default_config_static_selectorELNS0_4arch9wavefront6targetE0EEEvT1_.kd
    .uniform_work_group_size: 1
    .uses_dynamic_stack: false
    .vgpr_count:     0
    .vgpr_spill_count: 0
    .wavefront_size: 32
    .workgroup_processor_mode: 1
  - .args:
      - .offset:         0
        .size:           152
        .value_kind:     by_value
    .group_segment_fixed_size: 0
    .kernarg_segment_align: 8
    .kernarg_segment_size: 152
    .language:       OpenCL C
    .language_version:
      - 2
      - 0
    .max_flat_workgroup_size: 256
    .name:           _ZN7rocprim17ROCPRIM_400000_NS6detail17trampoline_kernelINS0_14default_configENS1_25partition_config_selectorILNS1_17partition_subalgoE6EN6thrust23THRUST_200600_302600_NS5tupleIttNS7_9null_typeES9_S9_S9_S9_S9_S9_S9_EENS0_10empty_typeEbEEZZNS1_14partition_implILS5_6ELb0ES3_mNS7_12zip_iteratorINS8_INS7_6detail15normal_iteratorINS7_10device_ptrItEEEESJ_S9_S9_S9_S9_S9_S9_S9_S9_EEEEPSB_SM_NS0_5tupleIJNSE_INS8_ISJ_NS7_16discard_iteratorINS7_11use_defaultEEES9_S9_S9_S9_S9_S9_S9_S9_EEEESB_EEENSN_IJSM_SM_EEESB_PlJNSF_9not_fun_tINSF_14equal_to_valueISA_EEEEEEE10hipError_tPvRmT3_T4_T5_T6_T7_T9_mT8_P12ihipStream_tbDpT10_ENKUlT_T0_E_clISt17integral_constantIbLb1EES1J_EEDaS1E_S1F_EUlS1E_E_NS1_11comp_targetILNS1_3genE3ELNS1_11target_archE908ELNS1_3gpuE7ELNS1_3repE0EEENS1_30default_config_static_selectorELNS0_4arch9wavefront6targetE0EEEvT1_
    .private_segment_fixed_size: 0
    .sgpr_count:     0
    .sgpr_spill_count: 0
    .symbol:         _ZN7rocprim17ROCPRIM_400000_NS6detail17trampoline_kernelINS0_14default_configENS1_25partition_config_selectorILNS1_17partition_subalgoE6EN6thrust23THRUST_200600_302600_NS5tupleIttNS7_9null_typeES9_S9_S9_S9_S9_S9_S9_EENS0_10empty_typeEbEEZZNS1_14partition_implILS5_6ELb0ES3_mNS7_12zip_iteratorINS8_INS7_6detail15normal_iteratorINS7_10device_ptrItEEEESJ_S9_S9_S9_S9_S9_S9_S9_S9_EEEEPSB_SM_NS0_5tupleIJNSE_INS8_ISJ_NS7_16discard_iteratorINS7_11use_defaultEEES9_S9_S9_S9_S9_S9_S9_S9_EEEESB_EEENSN_IJSM_SM_EEESB_PlJNSF_9not_fun_tINSF_14equal_to_valueISA_EEEEEEE10hipError_tPvRmT3_T4_T5_T6_T7_T9_mT8_P12ihipStream_tbDpT10_ENKUlT_T0_E_clISt17integral_constantIbLb1EES1J_EEDaS1E_S1F_EUlS1E_E_NS1_11comp_targetILNS1_3genE3ELNS1_11target_archE908ELNS1_3gpuE7ELNS1_3repE0EEENS1_30default_config_static_selectorELNS0_4arch9wavefront6targetE0EEEvT1_.kd
    .uniform_work_group_size: 1
    .uses_dynamic_stack: false
    .vgpr_count:     0
    .vgpr_spill_count: 0
    .wavefront_size: 32
    .workgroup_processor_mode: 1
  - .args:
      - .offset:         0
        .size:           152
        .value_kind:     by_value
    .group_segment_fixed_size: 0
    .kernarg_segment_align: 8
    .kernarg_segment_size: 152
    .language:       OpenCL C
    .language_version:
      - 2
      - 0
    .max_flat_workgroup_size: 192
    .name:           _ZN7rocprim17ROCPRIM_400000_NS6detail17trampoline_kernelINS0_14default_configENS1_25partition_config_selectorILNS1_17partition_subalgoE6EN6thrust23THRUST_200600_302600_NS5tupleIttNS7_9null_typeES9_S9_S9_S9_S9_S9_S9_EENS0_10empty_typeEbEEZZNS1_14partition_implILS5_6ELb0ES3_mNS7_12zip_iteratorINS8_INS7_6detail15normal_iteratorINS7_10device_ptrItEEEESJ_S9_S9_S9_S9_S9_S9_S9_S9_EEEEPSB_SM_NS0_5tupleIJNSE_INS8_ISJ_NS7_16discard_iteratorINS7_11use_defaultEEES9_S9_S9_S9_S9_S9_S9_S9_EEEESB_EEENSN_IJSM_SM_EEESB_PlJNSF_9not_fun_tINSF_14equal_to_valueISA_EEEEEEE10hipError_tPvRmT3_T4_T5_T6_T7_T9_mT8_P12ihipStream_tbDpT10_ENKUlT_T0_E_clISt17integral_constantIbLb1EES1J_EEDaS1E_S1F_EUlS1E_E_NS1_11comp_targetILNS1_3genE2ELNS1_11target_archE906ELNS1_3gpuE6ELNS1_3repE0EEENS1_30default_config_static_selectorELNS0_4arch9wavefront6targetE0EEEvT1_
    .private_segment_fixed_size: 0
    .sgpr_count:     0
    .sgpr_spill_count: 0
    .symbol:         _ZN7rocprim17ROCPRIM_400000_NS6detail17trampoline_kernelINS0_14default_configENS1_25partition_config_selectorILNS1_17partition_subalgoE6EN6thrust23THRUST_200600_302600_NS5tupleIttNS7_9null_typeES9_S9_S9_S9_S9_S9_S9_EENS0_10empty_typeEbEEZZNS1_14partition_implILS5_6ELb0ES3_mNS7_12zip_iteratorINS8_INS7_6detail15normal_iteratorINS7_10device_ptrItEEEESJ_S9_S9_S9_S9_S9_S9_S9_S9_EEEEPSB_SM_NS0_5tupleIJNSE_INS8_ISJ_NS7_16discard_iteratorINS7_11use_defaultEEES9_S9_S9_S9_S9_S9_S9_S9_EEEESB_EEENSN_IJSM_SM_EEESB_PlJNSF_9not_fun_tINSF_14equal_to_valueISA_EEEEEEE10hipError_tPvRmT3_T4_T5_T6_T7_T9_mT8_P12ihipStream_tbDpT10_ENKUlT_T0_E_clISt17integral_constantIbLb1EES1J_EEDaS1E_S1F_EUlS1E_E_NS1_11comp_targetILNS1_3genE2ELNS1_11target_archE906ELNS1_3gpuE6ELNS1_3repE0EEENS1_30default_config_static_selectorELNS0_4arch9wavefront6targetE0EEEvT1_.kd
    .uniform_work_group_size: 1
    .uses_dynamic_stack: false
    .vgpr_count:     0
    .vgpr_spill_count: 0
    .wavefront_size: 32
    .workgroup_processor_mode: 1
  - .args:
      - .offset:         0
        .size:           152
        .value_kind:     by_value
    .group_segment_fixed_size: 0
    .kernarg_segment_align: 8
    .kernarg_segment_size: 152
    .language:       OpenCL C
    .language_version:
      - 2
      - 0
    .max_flat_workgroup_size: 384
    .name:           _ZN7rocprim17ROCPRIM_400000_NS6detail17trampoline_kernelINS0_14default_configENS1_25partition_config_selectorILNS1_17partition_subalgoE6EN6thrust23THRUST_200600_302600_NS5tupleIttNS7_9null_typeES9_S9_S9_S9_S9_S9_S9_EENS0_10empty_typeEbEEZZNS1_14partition_implILS5_6ELb0ES3_mNS7_12zip_iteratorINS8_INS7_6detail15normal_iteratorINS7_10device_ptrItEEEESJ_S9_S9_S9_S9_S9_S9_S9_S9_EEEEPSB_SM_NS0_5tupleIJNSE_INS8_ISJ_NS7_16discard_iteratorINS7_11use_defaultEEES9_S9_S9_S9_S9_S9_S9_S9_EEEESB_EEENSN_IJSM_SM_EEESB_PlJNSF_9not_fun_tINSF_14equal_to_valueISA_EEEEEEE10hipError_tPvRmT3_T4_T5_T6_T7_T9_mT8_P12ihipStream_tbDpT10_ENKUlT_T0_E_clISt17integral_constantIbLb1EES1J_EEDaS1E_S1F_EUlS1E_E_NS1_11comp_targetILNS1_3genE10ELNS1_11target_archE1200ELNS1_3gpuE4ELNS1_3repE0EEENS1_30default_config_static_selectorELNS0_4arch9wavefront6targetE0EEEvT1_
    .private_segment_fixed_size: 0
    .sgpr_count:     0
    .sgpr_spill_count: 0
    .symbol:         _ZN7rocprim17ROCPRIM_400000_NS6detail17trampoline_kernelINS0_14default_configENS1_25partition_config_selectorILNS1_17partition_subalgoE6EN6thrust23THRUST_200600_302600_NS5tupleIttNS7_9null_typeES9_S9_S9_S9_S9_S9_S9_EENS0_10empty_typeEbEEZZNS1_14partition_implILS5_6ELb0ES3_mNS7_12zip_iteratorINS8_INS7_6detail15normal_iteratorINS7_10device_ptrItEEEESJ_S9_S9_S9_S9_S9_S9_S9_S9_EEEEPSB_SM_NS0_5tupleIJNSE_INS8_ISJ_NS7_16discard_iteratorINS7_11use_defaultEEES9_S9_S9_S9_S9_S9_S9_S9_EEEESB_EEENSN_IJSM_SM_EEESB_PlJNSF_9not_fun_tINSF_14equal_to_valueISA_EEEEEEE10hipError_tPvRmT3_T4_T5_T6_T7_T9_mT8_P12ihipStream_tbDpT10_ENKUlT_T0_E_clISt17integral_constantIbLb1EES1J_EEDaS1E_S1F_EUlS1E_E_NS1_11comp_targetILNS1_3genE10ELNS1_11target_archE1200ELNS1_3gpuE4ELNS1_3repE0EEENS1_30default_config_static_selectorELNS0_4arch9wavefront6targetE0EEEvT1_.kd
    .uniform_work_group_size: 1
    .uses_dynamic_stack: false
    .vgpr_count:     0
    .vgpr_spill_count: 0
    .wavefront_size: 32
    .workgroup_processor_mode: 1
  - .args:
      - .offset:         0
        .size:           152
        .value_kind:     by_value
    .group_segment_fixed_size: 0
    .kernarg_segment_align: 8
    .kernarg_segment_size: 152
    .language:       OpenCL C
    .language_version:
      - 2
      - 0
    .max_flat_workgroup_size: 128
    .name:           _ZN7rocprim17ROCPRIM_400000_NS6detail17trampoline_kernelINS0_14default_configENS1_25partition_config_selectorILNS1_17partition_subalgoE6EN6thrust23THRUST_200600_302600_NS5tupleIttNS7_9null_typeES9_S9_S9_S9_S9_S9_S9_EENS0_10empty_typeEbEEZZNS1_14partition_implILS5_6ELb0ES3_mNS7_12zip_iteratorINS8_INS7_6detail15normal_iteratorINS7_10device_ptrItEEEESJ_S9_S9_S9_S9_S9_S9_S9_S9_EEEEPSB_SM_NS0_5tupleIJNSE_INS8_ISJ_NS7_16discard_iteratorINS7_11use_defaultEEES9_S9_S9_S9_S9_S9_S9_S9_EEEESB_EEENSN_IJSM_SM_EEESB_PlJNSF_9not_fun_tINSF_14equal_to_valueISA_EEEEEEE10hipError_tPvRmT3_T4_T5_T6_T7_T9_mT8_P12ihipStream_tbDpT10_ENKUlT_T0_E_clISt17integral_constantIbLb1EES1J_EEDaS1E_S1F_EUlS1E_E_NS1_11comp_targetILNS1_3genE9ELNS1_11target_archE1100ELNS1_3gpuE3ELNS1_3repE0EEENS1_30default_config_static_selectorELNS0_4arch9wavefront6targetE0EEEvT1_
    .private_segment_fixed_size: 0
    .sgpr_count:     0
    .sgpr_spill_count: 0
    .symbol:         _ZN7rocprim17ROCPRIM_400000_NS6detail17trampoline_kernelINS0_14default_configENS1_25partition_config_selectorILNS1_17partition_subalgoE6EN6thrust23THRUST_200600_302600_NS5tupleIttNS7_9null_typeES9_S9_S9_S9_S9_S9_S9_EENS0_10empty_typeEbEEZZNS1_14partition_implILS5_6ELb0ES3_mNS7_12zip_iteratorINS8_INS7_6detail15normal_iteratorINS7_10device_ptrItEEEESJ_S9_S9_S9_S9_S9_S9_S9_S9_EEEEPSB_SM_NS0_5tupleIJNSE_INS8_ISJ_NS7_16discard_iteratorINS7_11use_defaultEEES9_S9_S9_S9_S9_S9_S9_S9_EEEESB_EEENSN_IJSM_SM_EEESB_PlJNSF_9not_fun_tINSF_14equal_to_valueISA_EEEEEEE10hipError_tPvRmT3_T4_T5_T6_T7_T9_mT8_P12ihipStream_tbDpT10_ENKUlT_T0_E_clISt17integral_constantIbLb1EES1J_EEDaS1E_S1F_EUlS1E_E_NS1_11comp_targetILNS1_3genE9ELNS1_11target_archE1100ELNS1_3gpuE3ELNS1_3repE0EEENS1_30default_config_static_selectorELNS0_4arch9wavefront6targetE0EEEvT1_.kd
    .uniform_work_group_size: 1
    .uses_dynamic_stack: false
    .vgpr_count:     0
    .vgpr_spill_count: 0
    .wavefront_size: 32
    .workgroup_processor_mode: 1
  - .args:
      - .offset:         0
        .size:           152
        .value_kind:     by_value
    .group_segment_fixed_size: 0
    .kernarg_segment_align: 8
    .kernarg_segment_size: 152
    .language:       OpenCL C
    .language_version:
      - 2
      - 0
    .max_flat_workgroup_size: 512
    .name:           _ZN7rocprim17ROCPRIM_400000_NS6detail17trampoline_kernelINS0_14default_configENS1_25partition_config_selectorILNS1_17partition_subalgoE6EN6thrust23THRUST_200600_302600_NS5tupleIttNS7_9null_typeES9_S9_S9_S9_S9_S9_S9_EENS0_10empty_typeEbEEZZNS1_14partition_implILS5_6ELb0ES3_mNS7_12zip_iteratorINS8_INS7_6detail15normal_iteratorINS7_10device_ptrItEEEESJ_S9_S9_S9_S9_S9_S9_S9_S9_EEEEPSB_SM_NS0_5tupleIJNSE_INS8_ISJ_NS7_16discard_iteratorINS7_11use_defaultEEES9_S9_S9_S9_S9_S9_S9_S9_EEEESB_EEENSN_IJSM_SM_EEESB_PlJNSF_9not_fun_tINSF_14equal_to_valueISA_EEEEEEE10hipError_tPvRmT3_T4_T5_T6_T7_T9_mT8_P12ihipStream_tbDpT10_ENKUlT_T0_E_clISt17integral_constantIbLb1EES1J_EEDaS1E_S1F_EUlS1E_E_NS1_11comp_targetILNS1_3genE8ELNS1_11target_archE1030ELNS1_3gpuE2ELNS1_3repE0EEENS1_30default_config_static_selectorELNS0_4arch9wavefront6targetE0EEEvT1_
    .private_segment_fixed_size: 0
    .sgpr_count:     0
    .sgpr_spill_count: 0
    .symbol:         _ZN7rocprim17ROCPRIM_400000_NS6detail17trampoline_kernelINS0_14default_configENS1_25partition_config_selectorILNS1_17partition_subalgoE6EN6thrust23THRUST_200600_302600_NS5tupleIttNS7_9null_typeES9_S9_S9_S9_S9_S9_S9_EENS0_10empty_typeEbEEZZNS1_14partition_implILS5_6ELb0ES3_mNS7_12zip_iteratorINS8_INS7_6detail15normal_iteratorINS7_10device_ptrItEEEESJ_S9_S9_S9_S9_S9_S9_S9_S9_EEEEPSB_SM_NS0_5tupleIJNSE_INS8_ISJ_NS7_16discard_iteratorINS7_11use_defaultEEES9_S9_S9_S9_S9_S9_S9_S9_EEEESB_EEENSN_IJSM_SM_EEESB_PlJNSF_9not_fun_tINSF_14equal_to_valueISA_EEEEEEE10hipError_tPvRmT3_T4_T5_T6_T7_T9_mT8_P12ihipStream_tbDpT10_ENKUlT_T0_E_clISt17integral_constantIbLb1EES1J_EEDaS1E_S1F_EUlS1E_E_NS1_11comp_targetILNS1_3genE8ELNS1_11target_archE1030ELNS1_3gpuE2ELNS1_3repE0EEENS1_30default_config_static_selectorELNS0_4arch9wavefront6targetE0EEEvT1_.kd
    .uniform_work_group_size: 1
    .uses_dynamic_stack: false
    .vgpr_count:     0
    .vgpr_spill_count: 0
    .wavefront_size: 32
    .workgroup_processor_mode: 1
  - .args:
      - .offset:         0
        .size:           144
        .value_kind:     by_value
    .group_segment_fixed_size: 0
    .kernarg_segment_align: 8
    .kernarg_segment_size: 144
    .language:       OpenCL C
    .language_version:
      - 2
      - 0
    .max_flat_workgroup_size: 256
    .name:           _ZN7rocprim17ROCPRIM_400000_NS6detail17trampoline_kernelINS0_14default_configENS1_25partition_config_selectorILNS1_17partition_subalgoE6EN6thrust23THRUST_200600_302600_NS5tupleIttNS7_9null_typeES9_S9_S9_S9_S9_S9_S9_EENS0_10empty_typeEbEEZZNS1_14partition_implILS5_6ELb0ES3_mNS7_12zip_iteratorINS8_INS7_6detail15normal_iteratorINS7_10device_ptrItEEEESJ_S9_S9_S9_S9_S9_S9_S9_S9_EEEEPSB_SM_NS0_5tupleIJNSE_INS8_ISJ_NS7_16discard_iteratorINS7_11use_defaultEEES9_S9_S9_S9_S9_S9_S9_S9_EEEESB_EEENSN_IJSM_SM_EEESB_PlJNSF_9not_fun_tINSF_14equal_to_valueISA_EEEEEEE10hipError_tPvRmT3_T4_T5_T6_T7_T9_mT8_P12ihipStream_tbDpT10_ENKUlT_T0_E_clISt17integral_constantIbLb1EES1I_IbLb0EEEEDaS1E_S1F_EUlS1E_E_NS1_11comp_targetILNS1_3genE0ELNS1_11target_archE4294967295ELNS1_3gpuE0ELNS1_3repE0EEENS1_30default_config_static_selectorELNS0_4arch9wavefront6targetE0EEEvT1_
    .private_segment_fixed_size: 0
    .sgpr_count:     0
    .sgpr_spill_count: 0
    .symbol:         _ZN7rocprim17ROCPRIM_400000_NS6detail17trampoline_kernelINS0_14default_configENS1_25partition_config_selectorILNS1_17partition_subalgoE6EN6thrust23THRUST_200600_302600_NS5tupleIttNS7_9null_typeES9_S9_S9_S9_S9_S9_S9_EENS0_10empty_typeEbEEZZNS1_14partition_implILS5_6ELb0ES3_mNS7_12zip_iteratorINS8_INS7_6detail15normal_iteratorINS7_10device_ptrItEEEESJ_S9_S9_S9_S9_S9_S9_S9_S9_EEEEPSB_SM_NS0_5tupleIJNSE_INS8_ISJ_NS7_16discard_iteratorINS7_11use_defaultEEES9_S9_S9_S9_S9_S9_S9_S9_EEEESB_EEENSN_IJSM_SM_EEESB_PlJNSF_9not_fun_tINSF_14equal_to_valueISA_EEEEEEE10hipError_tPvRmT3_T4_T5_T6_T7_T9_mT8_P12ihipStream_tbDpT10_ENKUlT_T0_E_clISt17integral_constantIbLb1EES1I_IbLb0EEEEDaS1E_S1F_EUlS1E_E_NS1_11comp_targetILNS1_3genE0ELNS1_11target_archE4294967295ELNS1_3gpuE0ELNS1_3repE0EEENS1_30default_config_static_selectorELNS0_4arch9wavefront6targetE0EEEvT1_.kd
    .uniform_work_group_size: 1
    .uses_dynamic_stack: false
    .vgpr_count:     0
    .vgpr_spill_count: 0
    .wavefront_size: 32
    .workgroup_processor_mode: 1
  - .args:
      - .offset:         0
        .size:           144
        .value_kind:     by_value
    .group_segment_fixed_size: 0
    .kernarg_segment_align: 8
    .kernarg_segment_size: 144
    .language:       OpenCL C
    .language_version:
      - 2
      - 0
    .max_flat_workgroup_size: 512
    .name:           _ZN7rocprim17ROCPRIM_400000_NS6detail17trampoline_kernelINS0_14default_configENS1_25partition_config_selectorILNS1_17partition_subalgoE6EN6thrust23THRUST_200600_302600_NS5tupleIttNS7_9null_typeES9_S9_S9_S9_S9_S9_S9_EENS0_10empty_typeEbEEZZNS1_14partition_implILS5_6ELb0ES3_mNS7_12zip_iteratorINS8_INS7_6detail15normal_iteratorINS7_10device_ptrItEEEESJ_S9_S9_S9_S9_S9_S9_S9_S9_EEEEPSB_SM_NS0_5tupleIJNSE_INS8_ISJ_NS7_16discard_iteratorINS7_11use_defaultEEES9_S9_S9_S9_S9_S9_S9_S9_EEEESB_EEENSN_IJSM_SM_EEESB_PlJNSF_9not_fun_tINSF_14equal_to_valueISA_EEEEEEE10hipError_tPvRmT3_T4_T5_T6_T7_T9_mT8_P12ihipStream_tbDpT10_ENKUlT_T0_E_clISt17integral_constantIbLb1EES1I_IbLb0EEEEDaS1E_S1F_EUlS1E_E_NS1_11comp_targetILNS1_3genE5ELNS1_11target_archE942ELNS1_3gpuE9ELNS1_3repE0EEENS1_30default_config_static_selectorELNS0_4arch9wavefront6targetE0EEEvT1_
    .private_segment_fixed_size: 0
    .sgpr_count:     0
    .sgpr_spill_count: 0
    .symbol:         _ZN7rocprim17ROCPRIM_400000_NS6detail17trampoline_kernelINS0_14default_configENS1_25partition_config_selectorILNS1_17partition_subalgoE6EN6thrust23THRUST_200600_302600_NS5tupleIttNS7_9null_typeES9_S9_S9_S9_S9_S9_S9_EENS0_10empty_typeEbEEZZNS1_14partition_implILS5_6ELb0ES3_mNS7_12zip_iteratorINS8_INS7_6detail15normal_iteratorINS7_10device_ptrItEEEESJ_S9_S9_S9_S9_S9_S9_S9_S9_EEEEPSB_SM_NS0_5tupleIJNSE_INS8_ISJ_NS7_16discard_iteratorINS7_11use_defaultEEES9_S9_S9_S9_S9_S9_S9_S9_EEEESB_EEENSN_IJSM_SM_EEESB_PlJNSF_9not_fun_tINSF_14equal_to_valueISA_EEEEEEE10hipError_tPvRmT3_T4_T5_T6_T7_T9_mT8_P12ihipStream_tbDpT10_ENKUlT_T0_E_clISt17integral_constantIbLb1EES1I_IbLb0EEEEDaS1E_S1F_EUlS1E_E_NS1_11comp_targetILNS1_3genE5ELNS1_11target_archE942ELNS1_3gpuE9ELNS1_3repE0EEENS1_30default_config_static_selectorELNS0_4arch9wavefront6targetE0EEEvT1_.kd
    .uniform_work_group_size: 1
    .uses_dynamic_stack: false
    .vgpr_count:     0
    .vgpr_spill_count: 0
    .wavefront_size: 32
    .workgroup_processor_mode: 1
  - .args:
      - .offset:         0
        .size:           144
        .value_kind:     by_value
    .group_segment_fixed_size: 0
    .kernarg_segment_align: 8
    .kernarg_segment_size: 144
    .language:       OpenCL C
    .language_version:
      - 2
      - 0
    .max_flat_workgroup_size: 512
    .name:           _ZN7rocprim17ROCPRIM_400000_NS6detail17trampoline_kernelINS0_14default_configENS1_25partition_config_selectorILNS1_17partition_subalgoE6EN6thrust23THRUST_200600_302600_NS5tupleIttNS7_9null_typeES9_S9_S9_S9_S9_S9_S9_EENS0_10empty_typeEbEEZZNS1_14partition_implILS5_6ELb0ES3_mNS7_12zip_iteratorINS8_INS7_6detail15normal_iteratorINS7_10device_ptrItEEEESJ_S9_S9_S9_S9_S9_S9_S9_S9_EEEEPSB_SM_NS0_5tupleIJNSE_INS8_ISJ_NS7_16discard_iteratorINS7_11use_defaultEEES9_S9_S9_S9_S9_S9_S9_S9_EEEESB_EEENSN_IJSM_SM_EEESB_PlJNSF_9not_fun_tINSF_14equal_to_valueISA_EEEEEEE10hipError_tPvRmT3_T4_T5_T6_T7_T9_mT8_P12ihipStream_tbDpT10_ENKUlT_T0_E_clISt17integral_constantIbLb1EES1I_IbLb0EEEEDaS1E_S1F_EUlS1E_E_NS1_11comp_targetILNS1_3genE4ELNS1_11target_archE910ELNS1_3gpuE8ELNS1_3repE0EEENS1_30default_config_static_selectorELNS0_4arch9wavefront6targetE0EEEvT1_
    .private_segment_fixed_size: 0
    .sgpr_count:     0
    .sgpr_spill_count: 0
    .symbol:         _ZN7rocprim17ROCPRIM_400000_NS6detail17trampoline_kernelINS0_14default_configENS1_25partition_config_selectorILNS1_17partition_subalgoE6EN6thrust23THRUST_200600_302600_NS5tupleIttNS7_9null_typeES9_S9_S9_S9_S9_S9_S9_EENS0_10empty_typeEbEEZZNS1_14partition_implILS5_6ELb0ES3_mNS7_12zip_iteratorINS8_INS7_6detail15normal_iteratorINS7_10device_ptrItEEEESJ_S9_S9_S9_S9_S9_S9_S9_S9_EEEEPSB_SM_NS0_5tupleIJNSE_INS8_ISJ_NS7_16discard_iteratorINS7_11use_defaultEEES9_S9_S9_S9_S9_S9_S9_S9_EEEESB_EEENSN_IJSM_SM_EEESB_PlJNSF_9not_fun_tINSF_14equal_to_valueISA_EEEEEEE10hipError_tPvRmT3_T4_T5_T6_T7_T9_mT8_P12ihipStream_tbDpT10_ENKUlT_T0_E_clISt17integral_constantIbLb1EES1I_IbLb0EEEEDaS1E_S1F_EUlS1E_E_NS1_11comp_targetILNS1_3genE4ELNS1_11target_archE910ELNS1_3gpuE8ELNS1_3repE0EEENS1_30default_config_static_selectorELNS0_4arch9wavefront6targetE0EEEvT1_.kd
    .uniform_work_group_size: 1
    .uses_dynamic_stack: false
    .vgpr_count:     0
    .vgpr_spill_count: 0
    .wavefront_size: 32
    .workgroup_processor_mode: 1
  - .args:
      - .offset:         0
        .size:           144
        .value_kind:     by_value
    .group_segment_fixed_size: 0
    .kernarg_segment_align: 8
    .kernarg_segment_size: 144
    .language:       OpenCL C
    .language_version:
      - 2
      - 0
    .max_flat_workgroup_size: 256
    .name:           _ZN7rocprim17ROCPRIM_400000_NS6detail17trampoline_kernelINS0_14default_configENS1_25partition_config_selectorILNS1_17partition_subalgoE6EN6thrust23THRUST_200600_302600_NS5tupleIttNS7_9null_typeES9_S9_S9_S9_S9_S9_S9_EENS0_10empty_typeEbEEZZNS1_14partition_implILS5_6ELb0ES3_mNS7_12zip_iteratorINS8_INS7_6detail15normal_iteratorINS7_10device_ptrItEEEESJ_S9_S9_S9_S9_S9_S9_S9_S9_EEEEPSB_SM_NS0_5tupleIJNSE_INS8_ISJ_NS7_16discard_iteratorINS7_11use_defaultEEES9_S9_S9_S9_S9_S9_S9_S9_EEEESB_EEENSN_IJSM_SM_EEESB_PlJNSF_9not_fun_tINSF_14equal_to_valueISA_EEEEEEE10hipError_tPvRmT3_T4_T5_T6_T7_T9_mT8_P12ihipStream_tbDpT10_ENKUlT_T0_E_clISt17integral_constantIbLb1EES1I_IbLb0EEEEDaS1E_S1F_EUlS1E_E_NS1_11comp_targetILNS1_3genE3ELNS1_11target_archE908ELNS1_3gpuE7ELNS1_3repE0EEENS1_30default_config_static_selectorELNS0_4arch9wavefront6targetE0EEEvT1_
    .private_segment_fixed_size: 0
    .sgpr_count:     0
    .sgpr_spill_count: 0
    .symbol:         _ZN7rocprim17ROCPRIM_400000_NS6detail17trampoline_kernelINS0_14default_configENS1_25partition_config_selectorILNS1_17partition_subalgoE6EN6thrust23THRUST_200600_302600_NS5tupleIttNS7_9null_typeES9_S9_S9_S9_S9_S9_S9_EENS0_10empty_typeEbEEZZNS1_14partition_implILS5_6ELb0ES3_mNS7_12zip_iteratorINS8_INS7_6detail15normal_iteratorINS7_10device_ptrItEEEESJ_S9_S9_S9_S9_S9_S9_S9_S9_EEEEPSB_SM_NS0_5tupleIJNSE_INS8_ISJ_NS7_16discard_iteratorINS7_11use_defaultEEES9_S9_S9_S9_S9_S9_S9_S9_EEEESB_EEENSN_IJSM_SM_EEESB_PlJNSF_9not_fun_tINSF_14equal_to_valueISA_EEEEEEE10hipError_tPvRmT3_T4_T5_T6_T7_T9_mT8_P12ihipStream_tbDpT10_ENKUlT_T0_E_clISt17integral_constantIbLb1EES1I_IbLb0EEEEDaS1E_S1F_EUlS1E_E_NS1_11comp_targetILNS1_3genE3ELNS1_11target_archE908ELNS1_3gpuE7ELNS1_3repE0EEENS1_30default_config_static_selectorELNS0_4arch9wavefront6targetE0EEEvT1_.kd
    .uniform_work_group_size: 1
    .uses_dynamic_stack: false
    .vgpr_count:     0
    .vgpr_spill_count: 0
    .wavefront_size: 32
    .workgroup_processor_mode: 1
  - .args:
      - .offset:         0
        .size:           144
        .value_kind:     by_value
    .group_segment_fixed_size: 0
    .kernarg_segment_align: 8
    .kernarg_segment_size: 144
    .language:       OpenCL C
    .language_version:
      - 2
      - 0
    .max_flat_workgroup_size: 192
    .name:           _ZN7rocprim17ROCPRIM_400000_NS6detail17trampoline_kernelINS0_14default_configENS1_25partition_config_selectorILNS1_17partition_subalgoE6EN6thrust23THRUST_200600_302600_NS5tupleIttNS7_9null_typeES9_S9_S9_S9_S9_S9_S9_EENS0_10empty_typeEbEEZZNS1_14partition_implILS5_6ELb0ES3_mNS7_12zip_iteratorINS8_INS7_6detail15normal_iteratorINS7_10device_ptrItEEEESJ_S9_S9_S9_S9_S9_S9_S9_S9_EEEEPSB_SM_NS0_5tupleIJNSE_INS8_ISJ_NS7_16discard_iteratorINS7_11use_defaultEEES9_S9_S9_S9_S9_S9_S9_S9_EEEESB_EEENSN_IJSM_SM_EEESB_PlJNSF_9not_fun_tINSF_14equal_to_valueISA_EEEEEEE10hipError_tPvRmT3_T4_T5_T6_T7_T9_mT8_P12ihipStream_tbDpT10_ENKUlT_T0_E_clISt17integral_constantIbLb1EES1I_IbLb0EEEEDaS1E_S1F_EUlS1E_E_NS1_11comp_targetILNS1_3genE2ELNS1_11target_archE906ELNS1_3gpuE6ELNS1_3repE0EEENS1_30default_config_static_selectorELNS0_4arch9wavefront6targetE0EEEvT1_
    .private_segment_fixed_size: 0
    .sgpr_count:     0
    .sgpr_spill_count: 0
    .symbol:         _ZN7rocprim17ROCPRIM_400000_NS6detail17trampoline_kernelINS0_14default_configENS1_25partition_config_selectorILNS1_17partition_subalgoE6EN6thrust23THRUST_200600_302600_NS5tupleIttNS7_9null_typeES9_S9_S9_S9_S9_S9_S9_EENS0_10empty_typeEbEEZZNS1_14partition_implILS5_6ELb0ES3_mNS7_12zip_iteratorINS8_INS7_6detail15normal_iteratorINS7_10device_ptrItEEEESJ_S9_S9_S9_S9_S9_S9_S9_S9_EEEEPSB_SM_NS0_5tupleIJNSE_INS8_ISJ_NS7_16discard_iteratorINS7_11use_defaultEEES9_S9_S9_S9_S9_S9_S9_S9_EEEESB_EEENSN_IJSM_SM_EEESB_PlJNSF_9not_fun_tINSF_14equal_to_valueISA_EEEEEEE10hipError_tPvRmT3_T4_T5_T6_T7_T9_mT8_P12ihipStream_tbDpT10_ENKUlT_T0_E_clISt17integral_constantIbLb1EES1I_IbLb0EEEEDaS1E_S1F_EUlS1E_E_NS1_11comp_targetILNS1_3genE2ELNS1_11target_archE906ELNS1_3gpuE6ELNS1_3repE0EEENS1_30default_config_static_selectorELNS0_4arch9wavefront6targetE0EEEvT1_.kd
    .uniform_work_group_size: 1
    .uses_dynamic_stack: false
    .vgpr_count:     0
    .vgpr_spill_count: 0
    .wavefront_size: 32
    .workgroup_processor_mode: 1
  - .args:
      - .offset:         0
        .size:           144
        .value_kind:     by_value
    .group_segment_fixed_size: 0
    .kernarg_segment_align: 8
    .kernarg_segment_size: 144
    .language:       OpenCL C
    .language_version:
      - 2
      - 0
    .max_flat_workgroup_size: 384
    .name:           _ZN7rocprim17ROCPRIM_400000_NS6detail17trampoline_kernelINS0_14default_configENS1_25partition_config_selectorILNS1_17partition_subalgoE6EN6thrust23THRUST_200600_302600_NS5tupleIttNS7_9null_typeES9_S9_S9_S9_S9_S9_S9_EENS0_10empty_typeEbEEZZNS1_14partition_implILS5_6ELb0ES3_mNS7_12zip_iteratorINS8_INS7_6detail15normal_iteratorINS7_10device_ptrItEEEESJ_S9_S9_S9_S9_S9_S9_S9_S9_EEEEPSB_SM_NS0_5tupleIJNSE_INS8_ISJ_NS7_16discard_iteratorINS7_11use_defaultEEES9_S9_S9_S9_S9_S9_S9_S9_EEEESB_EEENSN_IJSM_SM_EEESB_PlJNSF_9not_fun_tINSF_14equal_to_valueISA_EEEEEEE10hipError_tPvRmT3_T4_T5_T6_T7_T9_mT8_P12ihipStream_tbDpT10_ENKUlT_T0_E_clISt17integral_constantIbLb1EES1I_IbLb0EEEEDaS1E_S1F_EUlS1E_E_NS1_11comp_targetILNS1_3genE10ELNS1_11target_archE1200ELNS1_3gpuE4ELNS1_3repE0EEENS1_30default_config_static_selectorELNS0_4arch9wavefront6targetE0EEEvT1_
    .private_segment_fixed_size: 0
    .sgpr_count:     0
    .sgpr_spill_count: 0
    .symbol:         _ZN7rocprim17ROCPRIM_400000_NS6detail17trampoline_kernelINS0_14default_configENS1_25partition_config_selectorILNS1_17partition_subalgoE6EN6thrust23THRUST_200600_302600_NS5tupleIttNS7_9null_typeES9_S9_S9_S9_S9_S9_S9_EENS0_10empty_typeEbEEZZNS1_14partition_implILS5_6ELb0ES3_mNS7_12zip_iteratorINS8_INS7_6detail15normal_iteratorINS7_10device_ptrItEEEESJ_S9_S9_S9_S9_S9_S9_S9_S9_EEEEPSB_SM_NS0_5tupleIJNSE_INS8_ISJ_NS7_16discard_iteratorINS7_11use_defaultEEES9_S9_S9_S9_S9_S9_S9_S9_EEEESB_EEENSN_IJSM_SM_EEESB_PlJNSF_9not_fun_tINSF_14equal_to_valueISA_EEEEEEE10hipError_tPvRmT3_T4_T5_T6_T7_T9_mT8_P12ihipStream_tbDpT10_ENKUlT_T0_E_clISt17integral_constantIbLb1EES1I_IbLb0EEEEDaS1E_S1F_EUlS1E_E_NS1_11comp_targetILNS1_3genE10ELNS1_11target_archE1200ELNS1_3gpuE4ELNS1_3repE0EEENS1_30default_config_static_selectorELNS0_4arch9wavefront6targetE0EEEvT1_.kd
    .uniform_work_group_size: 1
    .uses_dynamic_stack: false
    .vgpr_count:     0
    .vgpr_spill_count: 0
    .wavefront_size: 32
    .workgroup_processor_mode: 1
  - .args:
      - .offset:         0
        .size:           144
        .value_kind:     by_value
    .group_segment_fixed_size: 0
    .kernarg_segment_align: 8
    .kernarg_segment_size: 144
    .language:       OpenCL C
    .language_version:
      - 2
      - 0
    .max_flat_workgroup_size: 128
    .name:           _ZN7rocprim17ROCPRIM_400000_NS6detail17trampoline_kernelINS0_14default_configENS1_25partition_config_selectorILNS1_17partition_subalgoE6EN6thrust23THRUST_200600_302600_NS5tupleIttNS7_9null_typeES9_S9_S9_S9_S9_S9_S9_EENS0_10empty_typeEbEEZZNS1_14partition_implILS5_6ELb0ES3_mNS7_12zip_iteratorINS8_INS7_6detail15normal_iteratorINS7_10device_ptrItEEEESJ_S9_S9_S9_S9_S9_S9_S9_S9_EEEEPSB_SM_NS0_5tupleIJNSE_INS8_ISJ_NS7_16discard_iteratorINS7_11use_defaultEEES9_S9_S9_S9_S9_S9_S9_S9_EEEESB_EEENSN_IJSM_SM_EEESB_PlJNSF_9not_fun_tINSF_14equal_to_valueISA_EEEEEEE10hipError_tPvRmT3_T4_T5_T6_T7_T9_mT8_P12ihipStream_tbDpT10_ENKUlT_T0_E_clISt17integral_constantIbLb1EES1I_IbLb0EEEEDaS1E_S1F_EUlS1E_E_NS1_11comp_targetILNS1_3genE9ELNS1_11target_archE1100ELNS1_3gpuE3ELNS1_3repE0EEENS1_30default_config_static_selectorELNS0_4arch9wavefront6targetE0EEEvT1_
    .private_segment_fixed_size: 0
    .sgpr_count:     0
    .sgpr_spill_count: 0
    .symbol:         _ZN7rocprim17ROCPRIM_400000_NS6detail17trampoline_kernelINS0_14default_configENS1_25partition_config_selectorILNS1_17partition_subalgoE6EN6thrust23THRUST_200600_302600_NS5tupleIttNS7_9null_typeES9_S9_S9_S9_S9_S9_S9_EENS0_10empty_typeEbEEZZNS1_14partition_implILS5_6ELb0ES3_mNS7_12zip_iteratorINS8_INS7_6detail15normal_iteratorINS7_10device_ptrItEEEESJ_S9_S9_S9_S9_S9_S9_S9_S9_EEEEPSB_SM_NS0_5tupleIJNSE_INS8_ISJ_NS7_16discard_iteratorINS7_11use_defaultEEES9_S9_S9_S9_S9_S9_S9_S9_EEEESB_EEENSN_IJSM_SM_EEESB_PlJNSF_9not_fun_tINSF_14equal_to_valueISA_EEEEEEE10hipError_tPvRmT3_T4_T5_T6_T7_T9_mT8_P12ihipStream_tbDpT10_ENKUlT_T0_E_clISt17integral_constantIbLb1EES1I_IbLb0EEEEDaS1E_S1F_EUlS1E_E_NS1_11comp_targetILNS1_3genE9ELNS1_11target_archE1100ELNS1_3gpuE3ELNS1_3repE0EEENS1_30default_config_static_selectorELNS0_4arch9wavefront6targetE0EEEvT1_.kd
    .uniform_work_group_size: 1
    .uses_dynamic_stack: false
    .vgpr_count:     0
    .vgpr_spill_count: 0
    .wavefront_size: 32
    .workgroup_processor_mode: 1
  - .args:
      - .offset:         0
        .size:           144
        .value_kind:     by_value
    .group_segment_fixed_size: 0
    .kernarg_segment_align: 8
    .kernarg_segment_size: 144
    .language:       OpenCL C
    .language_version:
      - 2
      - 0
    .max_flat_workgroup_size: 512
    .name:           _ZN7rocprim17ROCPRIM_400000_NS6detail17trampoline_kernelINS0_14default_configENS1_25partition_config_selectorILNS1_17partition_subalgoE6EN6thrust23THRUST_200600_302600_NS5tupleIttNS7_9null_typeES9_S9_S9_S9_S9_S9_S9_EENS0_10empty_typeEbEEZZNS1_14partition_implILS5_6ELb0ES3_mNS7_12zip_iteratorINS8_INS7_6detail15normal_iteratorINS7_10device_ptrItEEEESJ_S9_S9_S9_S9_S9_S9_S9_S9_EEEEPSB_SM_NS0_5tupleIJNSE_INS8_ISJ_NS7_16discard_iteratorINS7_11use_defaultEEES9_S9_S9_S9_S9_S9_S9_S9_EEEESB_EEENSN_IJSM_SM_EEESB_PlJNSF_9not_fun_tINSF_14equal_to_valueISA_EEEEEEE10hipError_tPvRmT3_T4_T5_T6_T7_T9_mT8_P12ihipStream_tbDpT10_ENKUlT_T0_E_clISt17integral_constantIbLb1EES1I_IbLb0EEEEDaS1E_S1F_EUlS1E_E_NS1_11comp_targetILNS1_3genE8ELNS1_11target_archE1030ELNS1_3gpuE2ELNS1_3repE0EEENS1_30default_config_static_selectorELNS0_4arch9wavefront6targetE0EEEvT1_
    .private_segment_fixed_size: 0
    .sgpr_count:     0
    .sgpr_spill_count: 0
    .symbol:         _ZN7rocprim17ROCPRIM_400000_NS6detail17trampoline_kernelINS0_14default_configENS1_25partition_config_selectorILNS1_17partition_subalgoE6EN6thrust23THRUST_200600_302600_NS5tupleIttNS7_9null_typeES9_S9_S9_S9_S9_S9_S9_EENS0_10empty_typeEbEEZZNS1_14partition_implILS5_6ELb0ES3_mNS7_12zip_iteratorINS8_INS7_6detail15normal_iteratorINS7_10device_ptrItEEEESJ_S9_S9_S9_S9_S9_S9_S9_S9_EEEEPSB_SM_NS0_5tupleIJNSE_INS8_ISJ_NS7_16discard_iteratorINS7_11use_defaultEEES9_S9_S9_S9_S9_S9_S9_S9_EEEESB_EEENSN_IJSM_SM_EEESB_PlJNSF_9not_fun_tINSF_14equal_to_valueISA_EEEEEEE10hipError_tPvRmT3_T4_T5_T6_T7_T9_mT8_P12ihipStream_tbDpT10_ENKUlT_T0_E_clISt17integral_constantIbLb1EES1I_IbLb0EEEEDaS1E_S1F_EUlS1E_E_NS1_11comp_targetILNS1_3genE8ELNS1_11target_archE1030ELNS1_3gpuE2ELNS1_3repE0EEENS1_30default_config_static_selectorELNS0_4arch9wavefront6targetE0EEEvT1_.kd
    .uniform_work_group_size: 1
    .uses_dynamic_stack: false
    .vgpr_count:     0
    .vgpr_spill_count: 0
    .wavefront_size: 32
    .workgroup_processor_mode: 1
  - .args:
      - .offset:         0
        .size:           152
        .value_kind:     by_value
    .group_segment_fixed_size: 0
    .kernarg_segment_align: 8
    .kernarg_segment_size: 152
    .language:       OpenCL C
    .language_version:
      - 2
      - 0
    .max_flat_workgroup_size: 256
    .name:           _ZN7rocprim17ROCPRIM_400000_NS6detail17trampoline_kernelINS0_14default_configENS1_25partition_config_selectorILNS1_17partition_subalgoE6EN6thrust23THRUST_200600_302600_NS5tupleIttNS7_9null_typeES9_S9_S9_S9_S9_S9_S9_EENS0_10empty_typeEbEEZZNS1_14partition_implILS5_6ELb0ES3_mNS7_12zip_iteratorINS8_INS7_6detail15normal_iteratorINS7_10device_ptrItEEEESJ_S9_S9_S9_S9_S9_S9_S9_S9_EEEEPSB_SM_NS0_5tupleIJNSE_INS8_ISJ_NS7_16discard_iteratorINS7_11use_defaultEEES9_S9_S9_S9_S9_S9_S9_S9_EEEESB_EEENSN_IJSM_SM_EEESB_PlJNSF_9not_fun_tINSF_14equal_to_valueISA_EEEEEEE10hipError_tPvRmT3_T4_T5_T6_T7_T9_mT8_P12ihipStream_tbDpT10_ENKUlT_T0_E_clISt17integral_constantIbLb0EES1I_IbLb1EEEEDaS1E_S1F_EUlS1E_E_NS1_11comp_targetILNS1_3genE0ELNS1_11target_archE4294967295ELNS1_3gpuE0ELNS1_3repE0EEENS1_30default_config_static_selectorELNS0_4arch9wavefront6targetE0EEEvT1_
    .private_segment_fixed_size: 0
    .sgpr_count:     0
    .sgpr_spill_count: 0
    .symbol:         _ZN7rocprim17ROCPRIM_400000_NS6detail17trampoline_kernelINS0_14default_configENS1_25partition_config_selectorILNS1_17partition_subalgoE6EN6thrust23THRUST_200600_302600_NS5tupleIttNS7_9null_typeES9_S9_S9_S9_S9_S9_S9_EENS0_10empty_typeEbEEZZNS1_14partition_implILS5_6ELb0ES3_mNS7_12zip_iteratorINS8_INS7_6detail15normal_iteratorINS7_10device_ptrItEEEESJ_S9_S9_S9_S9_S9_S9_S9_S9_EEEEPSB_SM_NS0_5tupleIJNSE_INS8_ISJ_NS7_16discard_iteratorINS7_11use_defaultEEES9_S9_S9_S9_S9_S9_S9_S9_EEEESB_EEENSN_IJSM_SM_EEESB_PlJNSF_9not_fun_tINSF_14equal_to_valueISA_EEEEEEE10hipError_tPvRmT3_T4_T5_T6_T7_T9_mT8_P12ihipStream_tbDpT10_ENKUlT_T0_E_clISt17integral_constantIbLb0EES1I_IbLb1EEEEDaS1E_S1F_EUlS1E_E_NS1_11comp_targetILNS1_3genE0ELNS1_11target_archE4294967295ELNS1_3gpuE0ELNS1_3repE0EEENS1_30default_config_static_selectorELNS0_4arch9wavefront6targetE0EEEvT1_.kd
    .uniform_work_group_size: 1
    .uses_dynamic_stack: false
    .vgpr_count:     0
    .vgpr_spill_count: 0
    .wavefront_size: 32
    .workgroup_processor_mode: 1
  - .args:
      - .offset:         0
        .size:           152
        .value_kind:     by_value
    .group_segment_fixed_size: 0
    .kernarg_segment_align: 8
    .kernarg_segment_size: 152
    .language:       OpenCL C
    .language_version:
      - 2
      - 0
    .max_flat_workgroup_size: 512
    .name:           _ZN7rocprim17ROCPRIM_400000_NS6detail17trampoline_kernelINS0_14default_configENS1_25partition_config_selectorILNS1_17partition_subalgoE6EN6thrust23THRUST_200600_302600_NS5tupleIttNS7_9null_typeES9_S9_S9_S9_S9_S9_S9_EENS0_10empty_typeEbEEZZNS1_14partition_implILS5_6ELb0ES3_mNS7_12zip_iteratorINS8_INS7_6detail15normal_iteratorINS7_10device_ptrItEEEESJ_S9_S9_S9_S9_S9_S9_S9_S9_EEEEPSB_SM_NS0_5tupleIJNSE_INS8_ISJ_NS7_16discard_iteratorINS7_11use_defaultEEES9_S9_S9_S9_S9_S9_S9_S9_EEEESB_EEENSN_IJSM_SM_EEESB_PlJNSF_9not_fun_tINSF_14equal_to_valueISA_EEEEEEE10hipError_tPvRmT3_T4_T5_T6_T7_T9_mT8_P12ihipStream_tbDpT10_ENKUlT_T0_E_clISt17integral_constantIbLb0EES1I_IbLb1EEEEDaS1E_S1F_EUlS1E_E_NS1_11comp_targetILNS1_3genE5ELNS1_11target_archE942ELNS1_3gpuE9ELNS1_3repE0EEENS1_30default_config_static_selectorELNS0_4arch9wavefront6targetE0EEEvT1_
    .private_segment_fixed_size: 0
    .sgpr_count:     0
    .sgpr_spill_count: 0
    .symbol:         _ZN7rocprim17ROCPRIM_400000_NS6detail17trampoline_kernelINS0_14default_configENS1_25partition_config_selectorILNS1_17partition_subalgoE6EN6thrust23THRUST_200600_302600_NS5tupleIttNS7_9null_typeES9_S9_S9_S9_S9_S9_S9_EENS0_10empty_typeEbEEZZNS1_14partition_implILS5_6ELb0ES3_mNS7_12zip_iteratorINS8_INS7_6detail15normal_iteratorINS7_10device_ptrItEEEESJ_S9_S9_S9_S9_S9_S9_S9_S9_EEEEPSB_SM_NS0_5tupleIJNSE_INS8_ISJ_NS7_16discard_iteratorINS7_11use_defaultEEES9_S9_S9_S9_S9_S9_S9_S9_EEEESB_EEENSN_IJSM_SM_EEESB_PlJNSF_9not_fun_tINSF_14equal_to_valueISA_EEEEEEE10hipError_tPvRmT3_T4_T5_T6_T7_T9_mT8_P12ihipStream_tbDpT10_ENKUlT_T0_E_clISt17integral_constantIbLb0EES1I_IbLb1EEEEDaS1E_S1F_EUlS1E_E_NS1_11comp_targetILNS1_3genE5ELNS1_11target_archE942ELNS1_3gpuE9ELNS1_3repE0EEENS1_30default_config_static_selectorELNS0_4arch9wavefront6targetE0EEEvT1_.kd
    .uniform_work_group_size: 1
    .uses_dynamic_stack: false
    .vgpr_count:     0
    .vgpr_spill_count: 0
    .wavefront_size: 32
    .workgroup_processor_mode: 1
  - .args:
      - .offset:         0
        .size:           152
        .value_kind:     by_value
    .group_segment_fixed_size: 0
    .kernarg_segment_align: 8
    .kernarg_segment_size: 152
    .language:       OpenCL C
    .language_version:
      - 2
      - 0
    .max_flat_workgroup_size: 512
    .name:           _ZN7rocprim17ROCPRIM_400000_NS6detail17trampoline_kernelINS0_14default_configENS1_25partition_config_selectorILNS1_17partition_subalgoE6EN6thrust23THRUST_200600_302600_NS5tupleIttNS7_9null_typeES9_S9_S9_S9_S9_S9_S9_EENS0_10empty_typeEbEEZZNS1_14partition_implILS5_6ELb0ES3_mNS7_12zip_iteratorINS8_INS7_6detail15normal_iteratorINS7_10device_ptrItEEEESJ_S9_S9_S9_S9_S9_S9_S9_S9_EEEEPSB_SM_NS0_5tupleIJNSE_INS8_ISJ_NS7_16discard_iteratorINS7_11use_defaultEEES9_S9_S9_S9_S9_S9_S9_S9_EEEESB_EEENSN_IJSM_SM_EEESB_PlJNSF_9not_fun_tINSF_14equal_to_valueISA_EEEEEEE10hipError_tPvRmT3_T4_T5_T6_T7_T9_mT8_P12ihipStream_tbDpT10_ENKUlT_T0_E_clISt17integral_constantIbLb0EES1I_IbLb1EEEEDaS1E_S1F_EUlS1E_E_NS1_11comp_targetILNS1_3genE4ELNS1_11target_archE910ELNS1_3gpuE8ELNS1_3repE0EEENS1_30default_config_static_selectorELNS0_4arch9wavefront6targetE0EEEvT1_
    .private_segment_fixed_size: 0
    .sgpr_count:     0
    .sgpr_spill_count: 0
    .symbol:         _ZN7rocprim17ROCPRIM_400000_NS6detail17trampoline_kernelINS0_14default_configENS1_25partition_config_selectorILNS1_17partition_subalgoE6EN6thrust23THRUST_200600_302600_NS5tupleIttNS7_9null_typeES9_S9_S9_S9_S9_S9_S9_EENS0_10empty_typeEbEEZZNS1_14partition_implILS5_6ELb0ES3_mNS7_12zip_iteratorINS8_INS7_6detail15normal_iteratorINS7_10device_ptrItEEEESJ_S9_S9_S9_S9_S9_S9_S9_S9_EEEEPSB_SM_NS0_5tupleIJNSE_INS8_ISJ_NS7_16discard_iteratorINS7_11use_defaultEEES9_S9_S9_S9_S9_S9_S9_S9_EEEESB_EEENSN_IJSM_SM_EEESB_PlJNSF_9not_fun_tINSF_14equal_to_valueISA_EEEEEEE10hipError_tPvRmT3_T4_T5_T6_T7_T9_mT8_P12ihipStream_tbDpT10_ENKUlT_T0_E_clISt17integral_constantIbLb0EES1I_IbLb1EEEEDaS1E_S1F_EUlS1E_E_NS1_11comp_targetILNS1_3genE4ELNS1_11target_archE910ELNS1_3gpuE8ELNS1_3repE0EEENS1_30default_config_static_selectorELNS0_4arch9wavefront6targetE0EEEvT1_.kd
    .uniform_work_group_size: 1
    .uses_dynamic_stack: false
    .vgpr_count:     0
    .vgpr_spill_count: 0
    .wavefront_size: 32
    .workgroup_processor_mode: 1
  - .args:
      - .offset:         0
        .size:           152
        .value_kind:     by_value
    .group_segment_fixed_size: 0
    .kernarg_segment_align: 8
    .kernarg_segment_size: 152
    .language:       OpenCL C
    .language_version:
      - 2
      - 0
    .max_flat_workgroup_size: 256
    .name:           _ZN7rocprim17ROCPRIM_400000_NS6detail17trampoline_kernelINS0_14default_configENS1_25partition_config_selectorILNS1_17partition_subalgoE6EN6thrust23THRUST_200600_302600_NS5tupleIttNS7_9null_typeES9_S9_S9_S9_S9_S9_S9_EENS0_10empty_typeEbEEZZNS1_14partition_implILS5_6ELb0ES3_mNS7_12zip_iteratorINS8_INS7_6detail15normal_iteratorINS7_10device_ptrItEEEESJ_S9_S9_S9_S9_S9_S9_S9_S9_EEEEPSB_SM_NS0_5tupleIJNSE_INS8_ISJ_NS7_16discard_iteratorINS7_11use_defaultEEES9_S9_S9_S9_S9_S9_S9_S9_EEEESB_EEENSN_IJSM_SM_EEESB_PlJNSF_9not_fun_tINSF_14equal_to_valueISA_EEEEEEE10hipError_tPvRmT3_T4_T5_T6_T7_T9_mT8_P12ihipStream_tbDpT10_ENKUlT_T0_E_clISt17integral_constantIbLb0EES1I_IbLb1EEEEDaS1E_S1F_EUlS1E_E_NS1_11comp_targetILNS1_3genE3ELNS1_11target_archE908ELNS1_3gpuE7ELNS1_3repE0EEENS1_30default_config_static_selectorELNS0_4arch9wavefront6targetE0EEEvT1_
    .private_segment_fixed_size: 0
    .sgpr_count:     0
    .sgpr_spill_count: 0
    .symbol:         _ZN7rocprim17ROCPRIM_400000_NS6detail17trampoline_kernelINS0_14default_configENS1_25partition_config_selectorILNS1_17partition_subalgoE6EN6thrust23THRUST_200600_302600_NS5tupleIttNS7_9null_typeES9_S9_S9_S9_S9_S9_S9_EENS0_10empty_typeEbEEZZNS1_14partition_implILS5_6ELb0ES3_mNS7_12zip_iteratorINS8_INS7_6detail15normal_iteratorINS7_10device_ptrItEEEESJ_S9_S9_S9_S9_S9_S9_S9_S9_EEEEPSB_SM_NS0_5tupleIJNSE_INS8_ISJ_NS7_16discard_iteratorINS7_11use_defaultEEES9_S9_S9_S9_S9_S9_S9_S9_EEEESB_EEENSN_IJSM_SM_EEESB_PlJNSF_9not_fun_tINSF_14equal_to_valueISA_EEEEEEE10hipError_tPvRmT3_T4_T5_T6_T7_T9_mT8_P12ihipStream_tbDpT10_ENKUlT_T0_E_clISt17integral_constantIbLb0EES1I_IbLb1EEEEDaS1E_S1F_EUlS1E_E_NS1_11comp_targetILNS1_3genE3ELNS1_11target_archE908ELNS1_3gpuE7ELNS1_3repE0EEENS1_30default_config_static_selectorELNS0_4arch9wavefront6targetE0EEEvT1_.kd
    .uniform_work_group_size: 1
    .uses_dynamic_stack: false
    .vgpr_count:     0
    .vgpr_spill_count: 0
    .wavefront_size: 32
    .workgroup_processor_mode: 1
  - .args:
      - .offset:         0
        .size:           152
        .value_kind:     by_value
    .group_segment_fixed_size: 0
    .kernarg_segment_align: 8
    .kernarg_segment_size: 152
    .language:       OpenCL C
    .language_version:
      - 2
      - 0
    .max_flat_workgroup_size: 192
    .name:           _ZN7rocprim17ROCPRIM_400000_NS6detail17trampoline_kernelINS0_14default_configENS1_25partition_config_selectorILNS1_17partition_subalgoE6EN6thrust23THRUST_200600_302600_NS5tupleIttNS7_9null_typeES9_S9_S9_S9_S9_S9_S9_EENS0_10empty_typeEbEEZZNS1_14partition_implILS5_6ELb0ES3_mNS7_12zip_iteratorINS8_INS7_6detail15normal_iteratorINS7_10device_ptrItEEEESJ_S9_S9_S9_S9_S9_S9_S9_S9_EEEEPSB_SM_NS0_5tupleIJNSE_INS8_ISJ_NS7_16discard_iteratorINS7_11use_defaultEEES9_S9_S9_S9_S9_S9_S9_S9_EEEESB_EEENSN_IJSM_SM_EEESB_PlJNSF_9not_fun_tINSF_14equal_to_valueISA_EEEEEEE10hipError_tPvRmT3_T4_T5_T6_T7_T9_mT8_P12ihipStream_tbDpT10_ENKUlT_T0_E_clISt17integral_constantIbLb0EES1I_IbLb1EEEEDaS1E_S1F_EUlS1E_E_NS1_11comp_targetILNS1_3genE2ELNS1_11target_archE906ELNS1_3gpuE6ELNS1_3repE0EEENS1_30default_config_static_selectorELNS0_4arch9wavefront6targetE0EEEvT1_
    .private_segment_fixed_size: 0
    .sgpr_count:     0
    .sgpr_spill_count: 0
    .symbol:         _ZN7rocprim17ROCPRIM_400000_NS6detail17trampoline_kernelINS0_14default_configENS1_25partition_config_selectorILNS1_17partition_subalgoE6EN6thrust23THRUST_200600_302600_NS5tupleIttNS7_9null_typeES9_S9_S9_S9_S9_S9_S9_EENS0_10empty_typeEbEEZZNS1_14partition_implILS5_6ELb0ES3_mNS7_12zip_iteratorINS8_INS7_6detail15normal_iteratorINS7_10device_ptrItEEEESJ_S9_S9_S9_S9_S9_S9_S9_S9_EEEEPSB_SM_NS0_5tupleIJNSE_INS8_ISJ_NS7_16discard_iteratorINS7_11use_defaultEEES9_S9_S9_S9_S9_S9_S9_S9_EEEESB_EEENSN_IJSM_SM_EEESB_PlJNSF_9not_fun_tINSF_14equal_to_valueISA_EEEEEEE10hipError_tPvRmT3_T4_T5_T6_T7_T9_mT8_P12ihipStream_tbDpT10_ENKUlT_T0_E_clISt17integral_constantIbLb0EES1I_IbLb1EEEEDaS1E_S1F_EUlS1E_E_NS1_11comp_targetILNS1_3genE2ELNS1_11target_archE906ELNS1_3gpuE6ELNS1_3repE0EEENS1_30default_config_static_selectorELNS0_4arch9wavefront6targetE0EEEvT1_.kd
    .uniform_work_group_size: 1
    .uses_dynamic_stack: false
    .vgpr_count:     0
    .vgpr_spill_count: 0
    .wavefront_size: 32
    .workgroup_processor_mode: 1
  - .args:
      - .offset:         0
        .size:           152
        .value_kind:     by_value
    .group_segment_fixed_size: 10768
    .kernarg_segment_align: 8
    .kernarg_segment_size: 152
    .language:       OpenCL C
    .language_version:
      - 2
      - 0
    .max_flat_workgroup_size: 384
    .name:           _ZN7rocprim17ROCPRIM_400000_NS6detail17trampoline_kernelINS0_14default_configENS1_25partition_config_selectorILNS1_17partition_subalgoE6EN6thrust23THRUST_200600_302600_NS5tupleIttNS7_9null_typeES9_S9_S9_S9_S9_S9_S9_EENS0_10empty_typeEbEEZZNS1_14partition_implILS5_6ELb0ES3_mNS7_12zip_iteratorINS8_INS7_6detail15normal_iteratorINS7_10device_ptrItEEEESJ_S9_S9_S9_S9_S9_S9_S9_S9_EEEEPSB_SM_NS0_5tupleIJNSE_INS8_ISJ_NS7_16discard_iteratorINS7_11use_defaultEEES9_S9_S9_S9_S9_S9_S9_S9_EEEESB_EEENSN_IJSM_SM_EEESB_PlJNSF_9not_fun_tINSF_14equal_to_valueISA_EEEEEEE10hipError_tPvRmT3_T4_T5_T6_T7_T9_mT8_P12ihipStream_tbDpT10_ENKUlT_T0_E_clISt17integral_constantIbLb0EES1I_IbLb1EEEEDaS1E_S1F_EUlS1E_E_NS1_11comp_targetILNS1_3genE10ELNS1_11target_archE1200ELNS1_3gpuE4ELNS1_3repE0EEENS1_30default_config_static_selectorELNS0_4arch9wavefront6targetE0EEEvT1_
    .private_segment_fixed_size: 0
    .sgpr_count:     28
    .sgpr_spill_count: 0
    .symbol:         _ZN7rocprim17ROCPRIM_400000_NS6detail17trampoline_kernelINS0_14default_configENS1_25partition_config_selectorILNS1_17partition_subalgoE6EN6thrust23THRUST_200600_302600_NS5tupleIttNS7_9null_typeES9_S9_S9_S9_S9_S9_S9_EENS0_10empty_typeEbEEZZNS1_14partition_implILS5_6ELb0ES3_mNS7_12zip_iteratorINS8_INS7_6detail15normal_iteratorINS7_10device_ptrItEEEESJ_S9_S9_S9_S9_S9_S9_S9_S9_EEEEPSB_SM_NS0_5tupleIJNSE_INS8_ISJ_NS7_16discard_iteratorINS7_11use_defaultEEES9_S9_S9_S9_S9_S9_S9_S9_EEEESB_EEENSN_IJSM_SM_EEESB_PlJNSF_9not_fun_tINSF_14equal_to_valueISA_EEEEEEE10hipError_tPvRmT3_T4_T5_T6_T7_T9_mT8_P12ihipStream_tbDpT10_ENKUlT_T0_E_clISt17integral_constantIbLb0EES1I_IbLb1EEEEDaS1E_S1F_EUlS1E_E_NS1_11comp_targetILNS1_3genE10ELNS1_11target_archE1200ELNS1_3gpuE4ELNS1_3repE0EEENS1_30default_config_static_selectorELNS0_4arch9wavefront6targetE0EEEvT1_.kd
    .uniform_work_group_size: 1
    .uses_dynamic_stack: false
    .vgpr_count:     51
    .vgpr_spill_count: 0
    .wavefront_size: 32
    .workgroup_processor_mode: 1
  - .args:
      - .offset:         0
        .size:           152
        .value_kind:     by_value
    .group_segment_fixed_size: 0
    .kernarg_segment_align: 8
    .kernarg_segment_size: 152
    .language:       OpenCL C
    .language_version:
      - 2
      - 0
    .max_flat_workgroup_size: 128
    .name:           _ZN7rocprim17ROCPRIM_400000_NS6detail17trampoline_kernelINS0_14default_configENS1_25partition_config_selectorILNS1_17partition_subalgoE6EN6thrust23THRUST_200600_302600_NS5tupleIttNS7_9null_typeES9_S9_S9_S9_S9_S9_S9_EENS0_10empty_typeEbEEZZNS1_14partition_implILS5_6ELb0ES3_mNS7_12zip_iteratorINS8_INS7_6detail15normal_iteratorINS7_10device_ptrItEEEESJ_S9_S9_S9_S9_S9_S9_S9_S9_EEEEPSB_SM_NS0_5tupleIJNSE_INS8_ISJ_NS7_16discard_iteratorINS7_11use_defaultEEES9_S9_S9_S9_S9_S9_S9_S9_EEEESB_EEENSN_IJSM_SM_EEESB_PlJNSF_9not_fun_tINSF_14equal_to_valueISA_EEEEEEE10hipError_tPvRmT3_T4_T5_T6_T7_T9_mT8_P12ihipStream_tbDpT10_ENKUlT_T0_E_clISt17integral_constantIbLb0EES1I_IbLb1EEEEDaS1E_S1F_EUlS1E_E_NS1_11comp_targetILNS1_3genE9ELNS1_11target_archE1100ELNS1_3gpuE3ELNS1_3repE0EEENS1_30default_config_static_selectorELNS0_4arch9wavefront6targetE0EEEvT1_
    .private_segment_fixed_size: 0
    .sgpr_count:     0
    .sgpr_spill_count: 0
    .symbol:         _ZN7rocprim17ROCPRIM_400000_NS6detail17trampoline_kernelINS0_14default_configENS1_25partition_config_selectorILNS1_17partition_subalgoE6EN6thrust23THRUST_200600_302600_NS5tupleIttNS7_9null_typeES9_S9_S9_S9_S9_S9_S9_EENS0_10empty_typeEbEEZZNS1_14partition_implILS5_6ELb0ES3_mNS7_12zip_iteratorINS8_INS7_6detail15normal_iteratorINS7_10device_ptrItEEEESJ_S9_S9_S9_S9_S9_S9_S9_S9_EEEEPSB_SM_NS0_5tupleIJNSE_INS8_ISJ_NS7_16discard_iteratorINS7_11use_defaultEEES9_S9_S9_S9_S9_S9_S9_S9_EEEESB_EEENSN_IJSM_SM_EEESB_PlJNSF_9not_fun_tINSF_14equal_to_valueISA_EEEEEEE10hipError_tPvRmT3_T4_T5_T6_T7_T9_mT8_P12ihipStream_tbDpT10_ENKUlT_T0_E_clISt17integral_constantIbLb0EES1I_IbLb1EEEEDaS1E_S1F_EUlS1E_E_NS1_11comp_targetILNS1_3genE9ELNS1_11target_archE1100ELNS1_3gpuE3ELNS1_3repE0EEENS1_30default_config_static_selectorELNS0_4arch9wavefront6targetE0EEEvT1_.kd
    .uniform_work_group_size: 1
    .uses_dynamic_stack: false
    .vgpr_count:     0
    .vgpr_spill_count: 0
    .wavefront_size: 32
    .workgroup_processor_mode: 1
  - .args:
      - .offset:         0
        .size:           152
        .value_kind:     by_value
    .group_segment_fixed_size: 0
    .kernarg_segment_align: 8
    .kernarg_segment_size: 152
    .language:       OpenCL C
    .language_version:
      - 2
      - 0
    .max_flat_workgroup_size: 512
    .name:           _ZN7rocprim17ROCPRIM_400000_NS6detail17trampoline_kernelINS0_14default_configENS1_25partition_config_selectorILNS1_17partition_subalgoE6EN6thrust23THRUST_200600_302600_NS5tupleIttNS7_9null_typeES9_S9_S9_S9_S9_S9_S9_EENS0_10empty_typeEbEEZZNS1_14partition_implILS5_6ELb0ES3_mNS7_12zip_iteratorINS8_INS7_6detail15normal_iteratorINS7_10device_ptrItEEEESJ_S9_S9_S9_S9_S9_S9_S9_S9_EEEEPSB_SM_NS0_5tupleIJNSE_INS8_ISJ_NS7_16discard_iteratorINS7_11use_defaultEEES9_S9_S9_S9_S9_S9_S9_S9_EEEESB_EEENSN_IJSM_SM_EEESB_PlJNSF_9not_fun_tINSF_14equal_to_valueISA_EEEEEEE10hipError_tPvRmT3_T4_T5_T6_T7_T9_mT8_P12ihipStream_tbDpT10_ENKUlT_T0_E_clISt17integral_constantIbLb0EES1I_IbLb1EEEEDaS1E_S1F_EUlS1E_E_NS1_11comp_targetILNS1_3genE8ELNS1_11target_archE1030ELNS1_3gpuE2ELNS1_3repE0EEENS1_30default_config_static_selectorELNS0_4arch9wavefront6targetE0EEEvT1_
    .private_segment_fixed_size: 0
    .sgpr_count:     0
    .sgpr_spill_count: 0
    .symbol:         _ZN7rocprim17ROCPRIM_400000_NS6detail17trampoline_kernelINS0_14default_configENS1_25partition_config_selectorILNS1_17partition_subalgoE6EN6thrust23THRUST_200600_302600_NS5tupleIttNS7_9null_typeES9_S9_S9_S9_S9_S9_S9_EENS0_10empty_typeEbEEZZNS1_14partition_implILS5_6ELb0ES3_mNS7_12zip_iteratorINS8_INS7_6detail15normal_iteratorINS7_10device_ptrItEEEESJ_S9_S9_S9_S9_S9_S9_S9_S9_EEEEPSB_SM_NS0_5tupleIJNSE_INS8_ISJ_NS7_16discard_iteratorINS7_11use_defaultEEES9_S9_S9_S9_S9_S9_S9_S9_EEEESB_EEENSN_IJSM_SM_EEESB_PlJNSF_9not_fun_tINSF_14equal_to_valueISA_EEEEEEE10hipError_tPvRmT3_T4_T5_T6_T7_T9_mT8_P12ihipStream_tbDpT10_ENKUlT_T0_E_clISt17integral_constantIbLb0EES1I_IbLb1EEEEDaS1E_S1F_EUlS1E_E_NS1_11comp_targetILNS1_3genE8ELNS1_11target_archE1030ELNS1_3gpuE2ELNS1_3repE0EEENS1_30default_config_static_selectorELNS0_4arch9wavefront6targetE0EEEvT1_.kd
    .uniform_work_group_size: 1
    .uses_dynamic_stack: false
    .vgpr_count:     0
    .vgpr_spill_count: 0
    .wavefront_size: 32
    .workgroup_processor_mode: 1
  - .args:
      - .offset:         0
        .size:           152
        .value_kind:     by_value
    .group_segment_fixed_size: 0
    .kernarg_segment_align: 8
    .kernarg_segment_size: 152
    .language:       OpenCL C
    .language_version:
      - 2
      - 0
    .max_flat_workgroup_size: 256
    .name:           _ZN7rocprim17ROCPRIM_400000_NS6detail17trampoline_kernelINS0_14default_configENS1_25partition_config_selectorILNS1_17partition_subalgoE6EN6thrust23THRUST_200600_302600_NS5tupleIxxNS7_9null_typeES9_S9_S9_S9_S9_S9_S9_EENS0_10empty_typeEbEEZZNS1_14partition_implILS5_6ELb0ES3_mNS7_12zip_iteratorINS8_INS7_6detail15normal_iteratorINS7_10device_ptrIxEEEESJ_S9_S9_S9_S9_S9_S9_S9_S9_EEEEPSB_SM_NS0_5tupleIJNSE_INS8_ISJ_NS7_16discard_iteratorINS7_11use_defaultEEES9_S9_S9_S9_S9_S9_S9_S9_EEEESB_EEENSN_IJSM_SM_EEESB_PlJNSF_9not_fun_tINSF_14equal_to_valueISA_EEEEEEE10hipError_tPvRmT3_T4_T5_T6_T7_T9_mT8_P12ihipStream_tbDpT10_ENKUlT_T0_E_clISt17integral_constantIbLb0EES1J_EEDaS1E_S1F_EUlS1E_E_NS1_11comp_targetILNS1_3genE0ELNS1_11target_archE4294967295ELNS1_3gpuE0ELNS1_3repE0EEENS1_30default_config_static_selectorELNS0_4arch9wavefront6targetE0EEEvT1_
    .private_segment_fixed_size: 0
    .sgpr_count:     0
    .sgpr_spill_count: 0
    .symbol:         _ZN7rocprim17ROCPRIM_400000_NS6detail17trampoline_kernelINS0_14default_configENS1_25partition_config_selectorILNS1_17partition_subalgoE6EN6thrust23THRUST_200600_302600_NS5tupleIxxNS7_9null_typeES9_S9_S9_S9_S9_S9_S9_EENS0_10empty_typeEbEEZZNS1_14partition_implILS5_6ELb0ES3_mNS7_12zip_iteratorINS8_INS7_6detail15normal_iteratorINS7_10device_ptrIxEEEESJ_S9_S9_S9_S9_S9_S9_S9_S9_EEEEPSB_SM_NS0_5tupleIJNSE_INS8_ISJ_NS7_16discard_iteratorINS7_11use_defaultEEES9_S9_S9_S9_S9_S9_S9_S9_EEEESB_EEENSN_IJSM_SM_EEESB_PlJNSF_9not_fun_tINSF_14equal_to_valueISA_EEEEEEE10hipError_tPvRmT3_T4_T5_T6_T7_T9_mT8_P12ihipStream_tbDpT10_ENKUlT_T0_E_clISt17integral_constantIbLb0EES1J_EEDaS1E_S1F_EUlS1E_E_NS1_11comp_targetILNS1_3genE0ELNS1_11target_archE4294967295ELNS1_3gpuE0ELNS1_3repE0EEENS1_30default_config_static_selectorELNS0_4arch9wavefront6targetE0EEEvT1_.kd
    .uniform_work_group_size: 1
    .uses_dynamic_stack: false
    .vgpr_count:     0
    .vgpr_spill_count: 0
    .wavefront_size: 32
    .workgroup_processor_mode: 1
  - .args:
      - .offset:         0
        .size:           152
        .value_kind:     by_value
    .group_segment_fixed_size: 0
    .kernarg_segment_align: 8
    .kernarg_segment_size: 152
    .language:       OpenCL C
    .language_version:
      - 2
      - 0
    .max_flat_workgroup_size: 384
    .name:           _ZN7rocprim17ROCPRIM_400000_NS6detail17trampoline_kernelINS0_14default_configENS1_25partition_config_selectorILNS1_17partition_subalgoE6EN6thrust23THRUST_200600_302600_NS5tupleIxxNS7_9null_typeES9_S9_S9_S9_S9_S9_S9_EENS0_10empty_typeEbEEZZNS1_14partition_implILS5_6ELb0ES3_mNS7_12zip_iteratorINS8_INS7_6detail15normal_iteratorINS7_10device_ptrIxEEEESJ_S9_S9_S9_S9_S9_S9_S9_S9_EEEEPSB_SM_NS0_5tupleIJNSE_INS8_ISJ_NS7_16discard_iteratorINS7_11use_defaultEEES9_S9_S9_S9_S9_S9_S9_S9_EEEESB_EEENSN_IJSM_SM_EEESB_PlJNSF_9not_fun_tINSF_14equal_to_valueISA_EEEEEEE10hipError_tPvRmT3_T4_T5_T6_T7_T9_mT8_P12ihipStream_tbDpT10_ENKUlT_T0_E_clISt17integral_constantIbLb0EES1J_EEDaS1E_S1F_EUlS1E_E_NS1_11comp_targetILNS1_3genE5ELNS1_11target_archE942ELNS1_3gpuE9ELNS1_3repE0EEENS1_30default_config_static_selectorELNS0_4arch9wavefront6targetE0EEEvT1_
    .private_segment_fixed_size: 0
    .sgpr_count:     0
    .sgpr_spill_count: 0
    .symbol:         _ZN7rocprim17ROCPRIM_400000_NS6detail17trampoline_kernelINS0_14default_configENS1_25partition_config_selectorILNS1_17partition_subalgoE6EN6thrust23THRUST_200600_302600_NS5tupleIxxNS7_9null_typeES9_S9_S9_S9_S9_S9_S9_EENS0_10empty_typeEbEEZZNS1_14partition_implILS5_6ELb0ES3_mNS7_12zip_iteratorINS8_INS7_6detail15normal_iteratorINS7_10device_ptrIxEEEESJ_S9_S9_S9_S9_S9_S9_S9_S9_EEEEPSB_SM_NS0_5tupleIJNSE_INS8_ISJ_NS7_16discard_iteratorINS7_11use_defaultEEES9_S9_S9_S9_S9_S9_S9_S9_EEEESB_EEENSN_IJSM_SM_EEESB_PlJNSF_9not_fun_tINSF_14equal_to_valueISA_EEEEEEE10hipError_tPvRmT3_T4_T5_T6_T7_T9_mT8_P12ihipStream_tbDpT10_ENKUlT_T0_E_clISt17integral_constantIbLb0EES1J_EEDaS1E_S1F_EUlS1E_E_NS1_11comp_targetILNS1_3genE5ELNS1_11target_archE942ELNS1_3gpuE9ELNS1_3repE0EEENS1_30default_config_static_selectorELNS0_4arch9wavefront6targetE0EEEvT1_.kd
    .uniform_work_group_size: 1
    .uses_dynamic_stack: false
    .vgpr_count:     0
    .vgpr_spill_count: 0
    .wavefront_size: 32
    .workgroup_processor_mode: 1
  - .args:
      - .offset:         0
        .size:           152
        .value_kind:     by_value
    .group_segment_fixed_size: 0
    .kernarg_segment_align: 8
    .kernarg_segment_size: 152
    .language:       OpenCL C
    .language_version:
      - 2
      - 0
    .max_flat_workgroup_size: 256
    .name:           _ZN7rocprim17ROCPRIM_400000_NS6detail17trampoline_kernelINS0_14default_configENS1_25partition_config_selectorILNS1_17partition_subalgoE6EN6thrust23THRUST_200600_302600_NS5tupleIxxNS7_9null_typeES9_S9_S9_S9_S9_S9_S9_EENS0_10empty_typeEbEEZZNS1_14partition_implILS5_6ELb0ES3_mNS7_12zip_iteratorINS8_INS7_6detail15normal_iteratorINS7_10device_ptrIxEEEESJ_S9_S9_S9_S9_S9_S9_S9_S9_EEEEPSB_SM_NS0_5tupleIJNSE_INS8_ISJ_NS7_16discard_iteratorINS7_11use_defaultEEES9_S9_S9_S9_S9_S9_S9_S9_EEEESB_EEENSN_IJSM_SM_EEESB_PlJNSF_9not_fun_tINSF_14equal_to_valueISA_EEEEEEE10hipError_tPvRmT3_T4_T5_T6_T7_T9_mT8_P12ihipStream_tbDpT10_ENKUlT_T0_E_clISt17integral_constantIbLb0EES1J_EEDaS1E_S1F_EUlS1E_E_NS1_11comp_targetILNS1_3genE4ELNS1_11target_archE910ELNS1_3gpuE8ELNS1_3repE0EEENS1_30default_config_static_selectorELNS0_4arch9wavefront6targetE0EEEvT1_
    .private_segment_fixed_size: 0
    .sgpr_count:     0
    .sgpr_spill_count: 0
    .symbol:         _ZN7rocprim17ROCPRIM_400000_NS6detail17trampoline_kernelINS0_14default_configENS1_25partition_config_selectorILNS1_17partition_subalgoE6EN6thrust23THRUST_200600_302600_NS5tupleIxxNS7_9null_typeES9_S9_S9_S9_S9_S9_S9_EENS0_10empty_typeEbEEZZNS1_14partition_implILS5_6ELb0ES3_mNS7_12zip_iteratorINS8_INS7_6detail15normal_iteratorINS7_10device_ptrIxEEEESJ_S9_S9_S9_S9_S9_S9_S9_S9_EEEEPSB_SM_NS0_5tupleIJNSE_INS8_ISJ_NS7_16discard_iteratorINS7_11use_defaultEEES9_S9_S9_S9_S9_S9_S9_S9_EEEESB_EEENSN_IJSM_SM_EEESB_PlJNSF_9not_fun_tINSF_14equal_to_valueISA_EEEEEEE10hipError_tPvRmT3_T4_T5_T6_T7_T9_mT8_P12ihipStream_tbDpT10_ENKUlT_T0_E_clISt17integral_constantIbLb0EES1J_EEDaS1E_S1F_EUlS1E_E_NS1_11comp_targetILNS1_3genE4ELNS1_11target_archE910ELNS1_3gpuE8ELNS1_3repE0EEENS1_30default_config_static_selectorELNS0_4arch9wavefront6targetE0EEEvT1_.kd
    .uniform_work_group_size: 1
    .uses_dynamic_stack: false
    .vgpr_count:     0
    .vgpr_spill_count: 0
    .wavefront_size: 32
    .workgroup_processor_mode: 1
  - .args:
      - .offset:         0
        .size:           152
        .value_kind:     by_value
    .group_segment_fixed_size: 0
    .kernarg_segment_align: 8
    .kernarg_segment_size: 152
    .language:       OpenCL C
    .language_version:
      - 2
      - 0
    .max_flat_workgroup_size: 256
    .name:           _ZN7rocprim17ROCPRIM_400000_NS6detail17trampoline_kernelINS0_14default_configENS1_25partition_config_selectorILNS1_17partition_subalgoE6EN6thrust23THRUST_200600_302600_NS5tupleIxxNS7_9null_typeES9_S9_S9_S9_S9_S9_S9_EENS0_10empty_typeEbEEZZNS1_14partition_implILS5_6ELb0ES3_mNS7_12zip_iteratorINS8_INS7_6detail15normal_iteratorINS7_10device_ptrIxEEEESJ_S9_S9_S9_S9_S9_S9_S9_S9_EEEEPSB_SM_NS0_5tupleIJNSE_INS8_ISJ_NS7_16discard_iteratorINS7_11use_defaultEEES9_S9_S9_S9_S9_S9_S9_S9_EEEESB_EEENSN_IJSM_SM_EEESB_PlJNSF_9not_fun_tINSF_14equal_to_valueISA_EEEEEEE10hipError_tPvRmT3_T4_T5_T6_T7_T9_mT8_P12ihipStream_tbDpT10_ENKUlT_T0_E_clISt17integral_constantIbLb0EES1J_EEDaS1E_S1F_EUlS1E_E_NS1_11comp_targetILNS1_3genE3ELNS1_11target_archE908ELNS1_3gpuE7ELNS1_3repE0EEENS1_30default_config_static_selectorELNS0_4arch9wavefront6targetE0EEEvT1_
    .private_segment_fixed_size: 0
    .sgpr_count:     0
    .sgpr_spill_count: 0
    .symbol:         _ZN7rocprim17ROCPRIM_400000_NS6detail17trampoline_kernelINS0_14default_configENS1_25partition_config_selectorILNS1_17partition_subalgoE6EN6thrust23THRUST_200600_302600_NS5tupleIxxNS7_9null_typeES9_S9_S9_S9_S9_S9_S9_EENS0_10empty_typeEbEEZZNS1_14partition_implILS5_6ELb0ES3_mNS7_12zip_iteratorINS8_INS7_6detail15normal_iteratorINS7_10device_ptrIxEEEESJ_S9_S9_S9_S9_S9_S9_S9_S9_EEEEPSB_SM_NS0_5tupleIJNSE_INS8_ISJ_NS7_16discard_iteratorINS7_11use_defaultEEES9_S9_S9_S9_S9_S9_S9_S9_EEEESB_EEENSN_IJSM_SM_EEESB_PlJNSF_9not_fun_tINSF_14equal_to_valueISA_EEEEEEE10hipError_tPvRmT3_T4_T5_T6_T7_T9_mT8_P12ihipStream_tbDpT10_ENKUlT_T0_E_clISt17integral_constantIbLb0EES1J_EEDaS1E_S1F_EUlS1E_E_NS1_11comp_targetILNS1_3genE3ELNS1_11target_archE908ELNS1_3gpuE7ELNS1_3repE0EEENS1_30default_config_static_selectorELNS0_4arch9wavefront6targetE0EEEvT1_.kd
    .uniform_work_group_size: 1
    .uses_dynamic_stack: false
    .vgpr_count:     0
    .vgpr_spill_count: 0
    .wavefront_size: 32
    .workgroup_processor_mode: 1
  - .args:
      - .offset:         0
        .size:           152
        .value_kind:     by_value
    .group_segment_fixed_size: 0
    .kernarg_segment_align: 8
    .kernarg_segment_size: 152
    .language:       OpenCL C
    .language_version:
      - 2
      - 0
    .max_flat_workgroup_size: 256
    .name:           _ZN7rocprim17ROCPRIM_400000_NS6detail17trampoline_kernelINS0_14default_configENS1_25partition_config_selectorILNS1_17partition_subalgoE6EN6thrust23THRUST_200600_302600_NS5tupleIxxNS7_9null_typeES9_S9_S9_S9_S9_S9_S9_EENS0_10empty_typeEbEEZZNS1_14partition_implILS5_6ELb0ES3_mNS7_12zip_iteratorINS8_INS7_6detail15normal_iteratorINS7_10device_ptrIxEEEESJ_S9_S9_S9_S9_S9_S9_S9_S9_EEEEPSB_SM_NS0_5tupleIJNSE_INS8_ISJ_NS7_16discard_iteratorINS7_11use_defaultEEES9_S9_S9_S9_S9_S9_S9_S9_EEEESB_EEENSN_IJSM_SM_EEESB_PlJNSF_9not_fun_tINSF_14equal_to_valueISA_EEEEEEE10hipError_tPvRmT3_T4_T5_T6_T7_T9_mT8_P12ihipStream_tbDpT10_ENKUlT_T0_E_clISt17integral_constantIbLb0EES1J_EEDaS1E_S1F_EUlS1E_E_NS1_11comp_targetILNS1_3genE2ELNS1_11target_archE906ELNS1_3gpuE6ELNS1_3repE0EEENS1_30default_config_static_selectorELNS0_4arch9wavefront6targetE0EEEvT1_
    .private_segment_fixed_size: 0
    .sgpr_count:     0
    .sgpr_spill_count: 0
    .symbol:         _ZN7rocprim17ROCPRIM_400000_NS6detail17trampoline_kernelINS0_14default_configENS1_25partition_config_selectorILNS1_17partition_subalgoE6EN6thrust23THRUST_200600_302600_NS5tupleIxxNS7_9null_typeES9_S9_S9_S9_S9_S9_S9_EENS0_10empty_typeEbEEZZNS1_14partition_implILS5_6ELb0ES3_mNS7_12zip_iteratorINS8_INS7_6detail15normal_iteratorINS7_10device_ptrIxEEEESJ_S9_S9_S9_S9_S9_S9_S9_S9_EEEEPSB_SM_NS0_5tupleIJNSE_INS8_ISJ_NS7_16discard_iteratorINS7_11use_defaultEEES9_S9_S9_S9_S9_S9_S9_S9_EEEESB_EEENSN_IJSM_SM_EEESB_PlJNSF_9not_fun_tINSF_14equal_to_valueISA_EEEEEEE10hipError_tPvRmT3_T4_T5_T6_T7_T9_mT8_P12ihipStream_tbDpT10_ENKUlT_T0_E_clISt17integral_constantIbLb0EES1J_EEDaS1E_S1F_EUlS1E_E_NS1_11comp_targetILNS1_3genE2ELNS1_11target_archE906ELNS1_3gpuE6ELNS1_3repE0EEENS1_30default_config_static_selectorELNS0_4arch9wavefront6targetE0EEEvT1_.kd
    .uniform_work_group_size: 1
    .uses_dynamic_stack: false
    .vgpr_count:     0
    .vgpr_spill_count: 0
    .wavefront_size: 32
    .workgroup_processor_mode: 1
  - .args:
      - .offset:         0
        .size:           152
        .value_kind:     by_value
    .group_segment_fixed_size: 12304
    .kernarg_segment_align: 8
    .kernarg_segment_size: 152
    .language:       OpenCL C
    .language_version:
      - 2
      - 0
    .max_flat_workgroup_size: 256
    .name:           _ZN7rocprim17ROCPRIM_400000_NS6detail17trampoline_kernelINS0_14default_configENS1_25partition_config_selectorILNS1_17partition_subalgoE6EN6thrust23THRUST_200600_302600_NS5tupleIxxNS7_9null_typeES9_S9_S9_S9_S9_S9_S9_EENS0_10empty_typeEbEEZZNS1_14partition_implILS5_6ELb0ES3_mNS7_12zip_iteratorINS8_INS7_6detail15normal_iteratorINS7_10device_ptrIxEEEESJ_S9_S9_S9_S9_S9_S9_S9_S9_EEEEPSB_SM_NS0_5tupleIJNSE_INS8_ISJ_NS7_16discard_iteratorINS7_11use_defaultEEES9_S9_S9_S9_S9_S9_S9_S9_EEEESB_EEENSN_IJSM_SM_EEESB_PlJNSF_9not_fun_tINSF_14equal_to_valueISA_EEEEEEE10hipError_tPvRmT3_T4_T5_T6_T7_T9_mT8_P12ihipStream_tbDpT10_ENKUlT_T0_E_clISt17integral_constantIbLb0EES1J_EEDaS1E_S1F_EUlS1E_E_NS1_11comp_targetILNS1_3genE10ELNS1_11target_archE1200ELNS1_3gpuE4ELNS1_3repE0EEENS1_30default_config_static_selectorELNS0_4arch9wavefront6targetE0EEEvT1_
    .private_segment_fixed_size: 0
    .sgpr_count:     23
    .sgpr_spill_count: 0
    .symbol:         _ZN7rocprim17ROCPRIM_400000_NS6detail17trampoline_kernelINS0_14default_configENS1_25partition_config_selectorILNS1_17partition_subalgoE6EN6thrust23THRUST_200600_302600_NS5tupleIxxNS7_9null_typeES9_S9_S9_S9_S9_S9_S9_EENS0_10empty_typeEbEEZZNS1_14partition_implILS5_6ELb0ES3_mNS7_12zip_iteratorINS8_INS7_6detail15normal_iteratorINS7_10device_ptrIxEEEESJ_S9_S9_S9_S9_S9_S9_S9_S9_EEEEPSB_SM_NS0_5tupleIJNSE_INS8_ISJ_NS7_16discard_iteratorINS7_11use_defaultEEES9_S9_S9_S9_S9_S9_S9_S9_EEEESB_EEENSN_IJSM_SM_EEESB_PlJNSF_9not_fun_tINSF_14equal_to_valueISA_EEEEEEE10hipError_tPvRmT3_T4_T5_T6_T7_T9_mT8_P12ihipStream_tbDpT10_ENKUlT_T0_E_clISt17integral_constantIbLb0EES1J_EEDaS1E_S1F_EUlS1E_E_NS1_11comp_targetILNS1_3genE10ELNS1_11target_archE1200ELNS1_3gpuE4ELNS1_3repE0EEENS1_30default_config_static_selectorELNS0_4arch9wavefront6targetE0EEEvT1_.kd
    .uniform_work_group_size: 1
    .uses_dynamic_stack: false
    .vgpr_count:     49
    .vgpr_spill_count: 0
    .wavefront_size: 32
    .workgroup_processor_mode: 1
  - .args:
      - .offset:         0
        .size:           152
        .value_kind:     by_value
    .group_segment_fixed_size: 0
    .kernarg_segment_align: 8
    .kernarg_segment_size: 152
    .language:       OpenCL C
    .language_version:
      - 2
      - 0
    .max_flat_workgroup_size: 512
    .name:           _ZN7rocprim17ROCPRIM_400000_NS6detail17trampoline_kernelINS0_14default_configENS1_25partition_config_selectorILNS1_17partition_subalgoE6EN6thrust23THRUST_200600_302600_NS5tupleIxxNS7_9null_typeES9_S9_S9_S9_S9_S9_S9_EENS0_10empty_typeEbEEZZNS1_14partition_implILS5_6ELb0ES3_mNS7_12zip_iteratorINS8_INS7_6detail15normal_iteratorINS7_10device_ptrIxEEEESJ_S9_S9_S9_S9_S9_S9_S9_S9_EEEEPSB_SM_NS0_5tupleIJNSE_INS8_ISJ_NS7_16discard_iteratorINS7_11use_defaultEEES9_S9_S9_S9_S9_S9_S9_S9_EEEESB_EEENSN_IJSM_SM_EEESB_PlJNSF_9not_fun_tINSF_14equal_to_valueISA_EEEEEEE10hipError_tPvRmT3_T4_T5_T6_T7_T9_mT8_P12ihipStream_tbDpT10_ENKUlT_T0_E_clISt17integral_constantIbLb0EES1J_EEDaS1E_S1F_EUlS1E_E_NS1_11comp_targetILNS1_3genE9ELNS1_11target_archE1100ELNS1_3gpuE3ELNS1_3repE0EEENS1_30default_config_static_selectorELNS0_4arch9wavefront6targetE0EEEvT1_
    .private_segment_fixed_size: 0
    .sgpr_count:     0
    .sgpr_spill_count: 0
    .symbol:         _ZN7rocprim17ROCPRIM_400000_NS6detail17trampoline_kernelINS0_14default_configENS1_25partition_config_selectorILNS1_17partition_subalgoE6EN6thrust23THRUST_200600_302600_NS5tupleIxxNS7_9null_typeES9_S9_S9_S9_S9_S9_S9_EENS0_10empty_typeEbEEZZNS1_14partition_implILS5_6ELb0ES3_mNS7_12zip_iteratorINS8_INS7_6detail15normal_iteratorINS7_10device_ptrIxEEEESJ_S9_S9_S9_S9_S9_S9_S9_S9_EEEEPSB_SM_NS0_5tupleIJNSE_INS8_ISJ_NS7_16discard_iteratorINS7_11use_defaultEEES9_S9_S9_S9_S9_S9_S9_S9_EEEESB_EEENSN_IJSM_SM_EEESB_PlJNSF_9not_fun_tINSF_14equal_to_valueISA_EEEEEEE10hipError_tPvRmT3_T4_T5_T6_T7_T9_mT8_P12ihipStream_tbDpT10_ENKUlT_T0_E_clISt17integral_constantIbLb0EES1J_EEDaS1E_S1F_EUlS1E_E_NS1_11comp_targetILNS1_3genE9ELNS1_11target_archE1100ELNS1_3gpuE3ELNS1_3repE0EEENS1_30default_config_static_selectorELNS0_4arch9wavefront6targetE0EEEvT1_.kd
    .uniform_work_group_size: 1
    .uses_dynamic_stack: false
    .vgpr_count:     0
    .vgpr_spill_count: 0
    .wavefront_size: 32
    .workgroup_processor_mode: 1
  - .args:
      - .offset:         0
        .size:           152
        .value_kind:     by_value
    .group_segment_fixed_size: 0
    .kernarg_segment_align: 8
    .kernarg_segment_size: 152
    .language:       OpenCL C
    .language_version:
      - 2
      - 0
    .max_flat_workgroup_size: 256
    .name:           _ZN7rocprim17ROCPRIM_400000_NS6detail17trampoline_kernelINS0_14default_configENS1_25partition_config_selectorILNS1_17partition_subalgoE6EN6thrust23THRUST_200600_302600_NS5tupleIxxNS7_9null_typeES9_S9_S9_S9_S9_S9_S9_EENS0_10empty_typeEbEEZZNS1_14partition_implILS5_6ELb0ES3_mNS7_12zip_iteratorINS8_INS7_6detail15normal_iteratorINS7_10device_ptrIxEEEESJ_S9_S9_S9_S9_S9_S9_S9_S9_EEEEPSB_SM_NS0_5tupleIJNSE_INS8_ISJ_NS7_16discard_iteratorINS7_11use_defaultEEES9_S9_S9_S9_S9_S9_S9_S9_EEEESB_EEENSN_IJSM_SM_EEESB_PlJNSF_9not_fun_tINSF_14equal_to_valueISA_EEEEEEE10hipError_tPvRmT3_T4_T5_T6_T7_T9_mT8_P12ihipStream_tbDpT10_ENKUlT_T0_E_clISt17integral_constantIbLb0EES1J_EEDaS1E_S1F_EUlS1E_E_NS1_11comp_targetILNS1_3genE8ELNS1_11target_archE1030ELNS1_3gpuE2ELNS1_3repE0EEENS1_30default_config_static_selectorELNS0_4arch9wavefront6targetE0EEEvT1_
    .private_segment_fixed_size: 0
    .sgpr_count:     0
    .sgpr_spill_count: 0
    .symbol:         _ZN7rocprim17ROCPRIM_400000_NS6detail17trampoline_kernelINS0_14default_configENS1_25partition_config_selectorILNS1_17partition_subalgoE6EN6thrust23THRUST_200600_302600_NS5tupleIxxNS7_9null_typeES9_S9_S9_S9_S9_S9_S9_EENS0_10empty_typeEbEEZZNS1_14partition_implILS5_6ELb0ES3_mNS7_12zip_iteratorINS8_INS7_6detail15normal_iteratorINS7_10device_ptrIxEEEESJ_S9_S9_S9_S9_S9_S9_S9_S9_EEEEPSB_SM_NS0_5tupleIJNSE_INS8_ISJ_NS7_16discard_iteratorINS7_11use_defaultEEES9_S9_S9_S9_S9_S9_S9_S9_EEEESB_EEENSN_IJSM_SM_EEESB_PlJNSF_9not_fun_tINSF_14equal_to_valueISA_EEEEEEE10hipError_tPvRmT3_T4_T5_T6_T7_T9_mT8_P12ihipStream_tbDpT10_ENKUlT_T0_E_clISt17integral_constantIbLb0EES1J_EEDaS1E_S1F_EUlS1E_E_NS1_11comp_targetILNS1_3genE8ELNS1_11target_archE1030ELNS1_3gpuE2ELNS1_3repE0EEENS1_30default_config_static_selectorELNS0_4arch9wavefront6targetE0EEEvT1_.kd
    .uniform_work_group_size: 1
    .uses_dynamic_stack: false
    .vgpr_count:     0
    .vgpr_spill_count: 0
    .wavefront_size: 32
    .workgroup_processor_mode: 1
  - .args:
      - .offset:         0
        .size:           160
        .value_kind:     by_value
    .group_segment_fixed_size: 0
    .kernarg_segment_align: 8
    .kernarg_segment_size: 160
    .language:       OpenCL C
    .language_version:
      - 2
      - 0
    .max_flat_workgroup_size: 256
    .name:           _ZN7rocprim17ROCPRIM_400000_NS6detail17trampoline_kernelINS0_14default_configENS1_25partition_config_selectorILNS1_17partition_subalgoE6EN6thrust23THRUST_200600_302600_NS5tupleIxxNS7_9null_typeES9_S9_S9_S9_S9_S9_S9_EENS0_10empty_typeEbEEZZNS1_14partition_implILS5_6ELb0ES3_mNS7_12zip_iteratorINS8_INS7_6detail15normal_iteratorINS7_10device_ptrIxEEEESJ_S9_S9_S9_S9_S9_S9_S9_S9_EEEEPSB_SM_NS0_5tupleIJNSE_INS8_ISJ_NS7_16discard_iteratorINS7_11use_defaultEEES9_S9_S9_S9_S9_S9_S9_S9_EEEESB_EEENSN_IJSM_SM_EEESB_PlJNSF_9not_fun_tINSF_14equal_to_valueISA_EEEEEEE10hipError_tPvRmT3_T4_T5_T6_T7_T9_mT8_P12ihipStream_tbDpT10_ENKUlT_T0_E_clISt17integral_constantIbLb1EES1J_EEDaS1E_S1F_EUlS1E_E_NS1_11comp_targetILNS1_3genE0ELNS1_11target_archE4294967295ELNS1_3gpuE0ELNS1_3repE0EEENS1_30default_config_static_selectorELNS0_4arch9wavefront6targetE0EEEvT1_
    .private_segment_fixed_size: 0
    .sgpr_count:     0
    .sgpr_spill_count: 0
    .symbol:         _ZN7rocprim17ROCPRIM_400000_NS6detail17trampoline_kernelINS0_14default_configENS1_25partition_config_selectorILNS1_17partition_subalgoE6EN6thrust23THRUST_200600_302600_NS5tupleIxxNS7_9null_typeES9_S9_S9_S9_S9_S9_S9_EENS0_10empty_typeEbEEZZNS1_14partition_implILS5_6ELb0ES3_mNS7_12zip_iteratorINS8_INS7_6detail15normal_iteratorINS7_10device_ptrIxEEEESJ_S9_S9_S9_S9_S9_S9_S9_S9_EEEEPSB_SM_NS0_5tupleIJNSE_INS8_ISJ_NS7_16discard_iteratorINS7_11use_defaultEEES9_S9_S9_S9_S9_S9_S9_S9_EEEESB_EEENSN_IJSM_SM_EEESB_PlJNSF_9not_fun_tINSF_14equal_to_valueISA_EEEEEEE10hipError_tPvRmT3_T4_T5_T6_T7_T9_mT8_P12ihipStream_tbDpT10_ENKUlT_T0_E_clISt17integral_constantIbLb1EES1J_EEDaS1E_S1F_EUlS1E_E_NS1_11comp_targetILNS1_3genE0ELNS1_11target_archE4294967295ELNS1_3gpuE0ELNS1_3repE0EEENS1_30default_config_static_selectorELNS0_4arch9wavefront6targetE0EEEvT1_.kd
    .uniform_work_group_size: 1
    .uses_dynamic_stack: false
    .vgpr_count:     0
    .vgpr_spill_count: 0
    .wavefront_size: 32
    .workgroup_processor_mode: 1
  - .args:
      - .offset:         0
        .size:           160
        .value_kind:     by_value
    .group_segment_fixed_size: 0
    .kernarg_segment_align: 8
    .kernarg_segment_size: 160
    .language:       OpenCL C
    .language_version:
      - 2
      - 0
    .max_flat_workgroup_size: 384
    .name:           _ZN7rocprim17ROCPRIM_400000_NS6detail17trampoline_kernelINS0_14default_configENS1_25partition_config_selectorILNS1_17partition_subalgoE6EN6thrust23THRUST_200600_302600_NS5tupleIxxNS7_9null_typeES9_S9_S9_S9_S9_S9_S9_EENS0_10empty_typeEbEEZZNS1_14partition_implILS5_6ELb0ES3_mNS7_12zip_iteratorINS8_INS7_6detail15normal_iteratorINS7_10device_ptrIxEEEESJ_S9_S9_S9_S9_S9_S9_S9_S9_EEEEPSB_SM_NS0_5tupleIJNSE_INS8_ISJ_NS7_16discard_iteratorINS7_11use_defaultEEES9_S9_S9_S9_S9_S9_S9_S9_EEEESB_EEENSN_IJSM_SM_EEESB_PlJNSF_9not_fun_tINSF_14equal_to_valueISA_EEEEEEE10hipError_tPvRmT3_T4_T5_T6_T7_T9_mT8_P12ihipStream_tbDpT10_ENKUlT_T0_E_clISt17integral_constantIbLb1EES1J_EEDaS1E_S1F_EUlS1E_E_NS1_11comp_targetILNS1_3genE5ELNS1_11target_archE942ELNS1_3gpuE9ELNS1_3repE0EEENS1_30default_config_static_selectorELNS0_4arch9wavefront6targetE0EEEvT1_
    .private_segment_fixed_size: 0
    .sgpr_count:     0
    .sgpr_spill_count: 0
    .symbol:         _ZN7rocprim17ROCPRIM_400000_NS6detail17trampoline_kernelINS0_14default_configENS1_25partition_config_selectorILNS1_17partition_subalgoE6EN6thrust23THRUST_200600_302600_NS5tupleIxxNS7_9null_typeES9_S9_S9_S9_S9_S9_S9_EENS0_10empty_typeEbEEZZNS1_14partition_implILS5_6ELb0ES3_mNS7_12zip_iteratorINS8_INS7_6detail15normal_iteratorINS7_10device_ptrIxEEEESJ_S9_S9_S9_S9_S9_S9_S9_S9_EEEEPSB_SM_NS0_5tupleIJNSE_INS8_ISJ_NS7_16discard_iteratorINS7_11use_defaultEEES9_S9_S9_S9_S9_S9_S9_S9_EEEESB_EEENSN_IJSM_SM_EEESB_PlJNSF_9not_fun_tINSF_14equal_to_valueISA_EEEEEEE10hipError_tPvRmT3_T4_T5_T6_T7_T9_mT8_P12ihipStream_tbDpT10_ENKUlT_T0_E_clISt17integral_constantIbLb1EES1J_EEDaS1E_S1F_EUlS1E_E_NS1_11comp_targetILNS1_3genE5ELNS1_11target_archE942ELNS1_3gpuE9ELNS1_3repE0EEENS1_30default_config_static_selectorELNS0_4arch9wavefront6targetE0EEEvT1_.kd
    .uniform_work_group_size: 1
    .uses_dynamic_stack: false
    .vgpr_count:     0
    .vgpr_spill_count: 0
    .wavefront_size: 32
    .workgroup_processor_mode: 1
  - .args:
      - .offset:         0
        .size:           160
        .value_kind:     by_value
    .group_segment_fixed_size: 0
    .kernarg_segment_align: 8
    .kernarg_segment_size: 160
    .language:       OpenCL C
    .language_version:
      - 2
      - 0
    .max_flat_workgroup_size: 256
    .name:           _ZN7rocprim17ROCPRIM_400000_NS6detail17trampoline_kernelINS0_14default_configENS1_25partition_config_selectorILNS1_17partition_subalgoE6EN6thrust23THRUST_200600_302600_NS5tupleIxxNS7_9null_typeES9_S9_S9_S9_S9_S9_S9_EENS0_10empty_typeEbEEZZNS1_14partition_implILS5_6ELb0ES3_mNS7_12zip_iteratorINS8_INS7_6detail15normal_iteratorINS7_10device_ptrIxEEEESJ_S9_S9_S9_S9_S9_S9_S9_S9_EEEEPSB_SM_NS0_5tupleIJNSE_INS8_ISJ_NS7_16discard_iteratorINS7_11use_defaultEEES9_S9_S9_S9_S9_S9_S9_S9_EEEESB_EEENSN_IJSM_SM_EEESB_PlJNSF_9not_fun_tINSF_14equal_to_valueISA_EEEEEEE10hipError_tPvRmT3_T4_T5_T6_T7_T9_mT8_P12ihipStream_tbDpT10_ENKUlT_T0_E_clISt17integral_constantIbLb1EES1J_EEDaS1E_S1F_EUlS1E_E_NS1_11comp_targetILNS1_3genE4ELNS1_11target_archE910ELNS1_3gpuE8ELNS1_3repE0EEENS1_30default_config_static_selectorELNS0_4arch9wavefront6targetE0EEEvT1_
    .private_segment_fixed_size: 0
    .sgpr_count:     0
    .sgpr_spill_count: 0
    .symbol:         _ZN7rocprim17ROCPRIM_400000_NS6detail17trampoline_kernelINS0_14default_configENS1_25partition_config_selectorILNS1_17partition_subalgoE6EN6thrust23THRUST_200600_302600_NS5tupleIxxNS7_9null_typeES9_S9_S9_S9_S9_S9_S9_EENS0_10empty_typeEbEEZZNS1_14partition_implILS5_6ELb0ES3_mNS7_12zip_iteratorINS8_INS7_6detail15normal_iteratorINS7_10device_ptrIxEEEESJ_S9_S9_S9_S9_S9_S9_S9_S9_EEEEPSB_SM_NS0_5tupleIJNSE_INS8_ISJ_NS7_16discard_iteratorINS7_11use_defaultEEES9_S9_S9_S9_S9_S9_S9_S9_EEEESB_EEENSN_IJSM_SM_EEESB_PlJNSF_9not_fun_tINSF_14equal_to_valueISA_EEEEEEE10hipError_tPvRmT3_T4_T5_T6_T7_T9_mT8_P12ihipStream_tbDpT10_ENKUlT_T0_E_clISt17integral_constantIbLb1EES1J_EEDaS1E_S1F_EUlS1E_E_NS1_11comp_targetILNS1_3genE4ELNS1_11target_archE910ELNS1_3gpuE8ELNS1_3repE0EEENS1_30default_config_static_selectorELNS0_4arch9wavefront6targetE0EEEvT1_.kd
    .uniform_work_group_size: 1
    .uses_dynamic_stack: false
    .vgpr_count:     0
    .vgpr_spill_count: 0
    .wavefront_size: 32
    .workgroup_processor_mode: 1
  - .args:
      - .offset:         0
        .size:           160
        .value_kind:     by_value
    .group_segment_fixed_size: 0
    .kernarg_segment_align: 8
    .kernarg_segment_size: 160
    .language:       OpenCL C
    .language_version:
      - 2
      - 0
    .max_flat_workgroup_size: 256
    .name:           _ZN7rocprim17ROCPRIM_400000_NS6detail17trampoline_kernelINS0_14default_configENS1_25partition_config_selectorILNS1_17partition_subalgoE6EN6thrust23THRUST_200600_302600_NS5tupleIxxNS7_9null_typeES9_S9_S9_S9_S9_S9_S9_EENS0_10empty_typeEbEEZZNS1_14partition_implILS5_6ELb0ES3_mNS7_12zip_iteratorINS8_INS7_6detail15normal_iteratorINS7_10device_ptrIxEEEESJ_S9_S9_S9_S9_S9_S9_S9_S9_EEEEPSB_SM_NS0_5tupleIJNSE_INS8_ISJ_NS7_16discard_iteratorINS7_11use_defaultEEES9_S9_S9_S9_S9_S9_S9_S9_EEEESB_EEENSN_IJSM_SM_EEESB_PlJNSF_9not_fun_tINSF_14equal_to_valueISA_EEEEEEE10hipError_tPvRmT3_T4_T5_T6_T7_T9_mT8_P12ihipStream_tbDpT10_ENKUlT_T0_E_clISt17integral_constantIbLb1EES1J_EEDaS1E_S1F_EUlS1E_E_NS1_11comp_targetILNS1_3genE3ELNS1_11target_archE908ELNS1_3gpuE7ELNS1_3repE0EEENS1_30default_config_static_selectorELNS0_4arch9wavefront6targetE0EEEvT1_
    .private_segment_fixed_size: 0
    .sgpr_count:     0
    .sgpr_spill_count: 0
    .symbol:         _ZN7rocprim17ROCPRIM_400000_NS6detail17trampoline_kernelINS0_14default_configENS1_25partition_config_selectorILNS1_17partition_subalgoE6EN6thrust23THRUST_200600_302600_NS5tupleIxxNS7_9null_typeES9_S9_S9_S9_S9_S9_S9_EENS0_10empty_typeEbEEZZNS1_14partition_implILS5_6ELb0ES3_mNS7_12zip_iteratorINS8_INS7_6detail15normal_iteratorINS7_10device_ptrIxEEEESJ_S9_S9_S9_S9_S9_S9_S9_S9_EEEEPSB_SM_NS0_5tupleIJNSE_INS8_ISJ_NS7_16discard_iteratorINS7_11use_defaultEEES9_S9_S9_S9_S9_S9_S9_S9_EEEESB_EEENSN_IJSM_SM_EEESB_PlJNSF_9not_fun_tINSF_14equal_to_valueISA_EEEEEEE10hipError_tPvRmT3_T4_T5_T6_T7_T9_mT8_P12ihipStream_tbDpT10_ENKUlT_T0_E_clISt17integral_constantIbLb1EES1J_EEDaS1E_S1F_EUlS1E_E_NS1_11comp_targetILNS1_3genE3ELNS1_11target_archE908ELNS1_3gpuE7ELNS1_3repE0EEENS1_30default_config_static_selectorELNS0_4arch9wavefront6targetE0EEEvT1_.kd
    .uniform_work_group_size: 1
    .uses_dynamic_stack: false
    .vgpr_count:     0
    .vgpr_spill_count: 0
    .wavefront_size: 32
    .workgroup_processor_mode: 1
  - .args:
      - .offset:         0
        .size:           160
        .value_kind:     by_value
    .group_segment_fixed_size: 0
    .kernarg_segment_align: 8
    .kernarg_segment_size: 160
    .language:       OpenCL C
    .language_version:
      - 2
      - 0
    .max_flat_workgroup_size: 256
    .name:           _ZN7rocprim17ROCPRIM_400000_NS6detail17trampoline_kernelINS0_14default_configENS1_25partition_config_selectorILNS1_17partition_subalgoE6EN6thrust23THRUST_200600_302600_NS5tupleIxxNS7_9null_typeES9_S9_S9_S9_S9_S9_S9_EENS0_10empty_typeEbEEZZNS1_14partition_implILS5_6ELb0ES3_mNS7_12zip_iteratorINS8_INS7_6detail15normal_iteratorINS7_10device_ptrIxEEEESJ_S9_S9_S9_S9_S9_S9_S9_S9_EEEEPSB_SM_NS0_5tupleIJNSE_INS8_ISJ_NS7_16discard_iteratorINS7_11use_defaultEEES9_S9_S9_S9_S9_S9_S9_S9_EEEESB_EEENSN_IJSM_SM_EEESB_PlJNSF_9not_fun_tINSF_14equal_to_valueISA_EEEEEEE10hipError_tPvRmT3_T4_T5_T6_T7_T9_mT8_P12ihipStream_tbDpT10_ENKUlT_T0_E_clISt17integral_constantIbLb1EES1J_EEDaS1E_S1F_EUlS1E_E_NS1_11comp_targetILNS1_3genE2ELNS1_11target_archE906ELNS1_3gpuE6ELNS1_3repE0EEENS1_30default_config_static_selectorELNS0_4arch9wavefront6targetE0EEEvT1_
    .private_segment_fixed_size: 0
    .sgpr_count:     0
    .sgpr_spill_count: 0
    .symbol:         _ZN7rocprim17ROCPRIM_400000_NS6detail17trampoline_kernelINS0_14default_configENS1_25partition_config_selectorILNS1_17partition_subalgoE6EN6thrust23THRUST_200600_302600_NS5tupleIxxNS7_9null_typeES9_S9_S9_S9_S9_S9_S9_EENS0_10empty_typeEbEEZZNS1_14partition_implILS5_6ELb0ES3_mNS7_12zip_iteratorINS8_INS7_6detail15normal_iteratorINS7_10device_ptrIxEEEESJ_S9_S9_S9_S9_S9_S9_S9_S9_EEEEPSB_SM_NS0_5tupleIJNSE_INS8_ISJ_NS7_16discard_iteratorINS7_11use_defaultEEES9_S9_S9_S9_S9_S9_S9_S9_EEEESB_EEENSN_IJSM_SM_EEESB_PlJNSF_9not_fun_tINSF_14equal_to_valueISA_EEEEEEE10hipError_tPvRmT3_T4_T5_T6_T7_T9_mT8_P12ihipStream_tbDpT10_ENKUlT_T0_E_clISt17integral_constantIbLb1EES1J_EEDaS1E_S1F_EUlS1E_E_NS1_11comp_targetILNS1_3genE2ELNS1_11target_archE906ELNS1_3gpuE6ELNS1_3repE0EEENS1_30default_config_static_selectorELNS0_4arch9wavefront6targetE0EEEvT1_.kd
    .uniform_work_group_size: 1
    .uses_dynamic_stack: false
    .vgpr_count:     0
    .vgpr_spill_count: 0
    .wavefront_size: 32
    .workgroup_processor_mode: 1
  - .args:
      - .offset:         0
        .size:           160
        .value_kind:     by_value
    .group_segment_fixed_size: 0
    .kernarg_segment_align: 8
    .kernarg_segment_size: 160
    .language:       OpenCL C
    .language_version:
      - 2
      - 0
    .max_flat_workgroup_size: 256
    .name:           _ZN7rocprim17ROCPRIM_400000_NS6detail17trampoline_kernelINS0_14default_configENS1_25partition_config_selectorILNS1_17partition_subalgoE6EN6thrust23THRUST_200600_302600_NS5tupleIxxNS7_9null_typeES9_S9_S9_S9_S9_S9_S9_EENS0_10empty_typeEbEEZZNS1_14partition_implILS5_6ELb0ES3_mNS7_12zip_iteratorINS8_INS7_6detail15normal_iteratorINS7_10device_ptrIxEEEESJ_S9_S9_S9_S9_S9_S9_S9_S9_EEEEPSB_SM_NS0_5tupleIJNSE_INS8_ISJ_NS7_16discard_iteratorINS7_11use_defaultEEES9_S9_S9_S9_S9_S9_S9_S9_EEEESB_EEENSN_IJSM_SM_EEESB_PlJNSF_9not_fun_tINSF_14equal_to_valueISA_EEEEEEE10hipError_tPvRmT3_T4_T5_T6_T7_T9_mT8_P12ihipStream_tbDpT10_ENKUlT_T0_E_clISt17integral_constantIbLb1EES1J_EEDaS1E_S1F_EUlS1E_E_NS1_11comp_targetILNS1_3genE10ELNS1_11target_archE1200ELNS1_3gpuE4ELNS1_3repE0EEENS1_30default_config_static_selectorELNS0_4arch9wavefront6targetE0EEEvT1_
    .private_segment_fixed_size: 0
    .sgpr_count:     0
    .sgpr_spill_count: 0
    .symbol:         _ZN7rocprim17ROCPRIM_400000_NS6detail17trampoline_kernelINS0_14default_configENS1_25partition_config_selectorILNS1_17partition_subalgoE6EN6thrust23THRUST_200600_302600_NS5tupleIxxNS7_9null_typeES9_S9_S9_S9_S9_S9_S9_EENS0_10empty_typeEbEEZZNS1_14partition_implILS5_6ELb0ES3_mNS7_12zip_iteratorINS8_INS7_6detail15normal_iteratorINS7_10device_ptrIxEEEESJ_S9_S9_S9_S9_S9_S9_S9_S9_EEEEPSB_SM_NS0_5tupleIJNSE_INS8_ISJ_NS7_16discard_iteratorINS7_11use_defaultEEES9_S9_S9_S9_S9_S9_S9_S9_EEEESB_EEENSN_IJSM_SM_EEESB_PlJNSF_9not_fun_tINSF_14equal_to_valueISA_EEEEEEE10hipError_tPvRmT3_T4_T5_T6_T7_T9_mT8_P12ihipStream_tbDpT10_ENKUlT_T0_E_clISt17integral_constantIbLb1EES1J_EEDaS1E_S1F_EUlS1E_E_NS1_11comp_targetILNS1_3genE10ELNS1_11target_archE1200ELNS1_3gpuE4ELNS1_3repE0EEENS1_30default_config_static_selectorELNS0_4arch9wavefront6targetE0EEEvT1_.kd
    .uniform_work_group_size: 1
    .uses_dynamic_stack: false
    .vgpr_count:     0
    .vgpr_spill_count: 0
    .wavefront_size: 32
    .workgroup_processor_mode: 1
  - .args:
      - .offset:         0
        .size:           160
        .value_kind:     by_value
    .group_segment_fixed_size: 0
    .kernarg_segment_align: 8
    .kernarg_segment_size: 160
    .language:       OpenCL C
    .language_version:
      - 2
      - 0
    .max_flat_workgroup_size: 512
    .name:           _ZN7rocprim17ROCPRIM_400000_NS6detail17trampoline_kernelINS0_14default_configENS1_25partition_config_selectorILNS1_17partition_subalgoE6EN6thrust23THRUST_200600_302600_NS5tupleIxxNS7_9null_typeES9_S9_S9_S9_S9_S9_S9_EENS0_10empty_typeEbEEZZNS1_14partition_implILS5_6ELb0ES3_mNS7_12zip_iteratorINS8_INS7_6detail15normal_iteratorINS7_10device_ptrIxEEEESJ_S9_S9_S9_S9_S9_S9_S9_S9_EEEEPSB_SM_NS0_5tupleIJNSE_INS8_ISJ_NS7_16discard_iteratorINS7_11use_defaultEEES9_S9_S9_S9_S9_S9_S9_S9_EEEESB_EEENSN_IJSM_SM_EEESB_PlJNSF_9not_fun_tINSF_14equal_to_valueISA_EEEEEEE10hipError_tPvRmT3_T4_T5_T6_T7_T9_mT8_P12ihipStream_tbDpT10_ENKUlT_T0_E_clISt17integral_constantIbLb1EES1J_EEDaS1E_S1F_EUlS1E_E_NS1_11comp_targetILNS1_3genE9ELNS1_11target_archE1100ELNS1_3gpuE3ELNS1_3repE0EEENS1_30default_config_static_selectorELNS0_4arch9wavefront6targetE0EEEvT1_
    .private_segment_fixed_size: 0
    .sgpr_count:     0
    .sgpr_spill_count: 0
    .symbol:         _ZN7rocprim17ROCPRIM_400000_NS6detail17trampoline_kernelINS0_14default_configENS1_25partition_config_selectorILNS1_17partition_subalgoE6EN6thrust23THRUST_200600_302600_NS5tupleIxxNS7_9null_typeES9_S9_S9_S9_S9_S9_S9_EENS0_10empty_typeEbEEZZNS1_14partition_implILS5_6ELb0ES3_mNS7_12zip_iteratorINS8_INS7_6detail15normal_iteratorINS7_10device_ptrIxEEEESJ_S9_S9_S9_S9_S9_S9_S9_S9_EEEEPSB_SM_NS0_5tupleIJNSE_INS8_ISJ_NS7_16discard_iteratorINS7_11use_defaultEEES9_S9_S9_S9_S9_S9_S9_S9_EEEESB_EEENSN_IJSM_SM_EEESB_PlJNSF_9not_fun_tINSF_14equal_to_valueISA_EEEEEEE10hipError_tPvRmT3_T4_T5_T6_T7_T9_mT8_P12ihipStream_tbDpT10_ENKUlT_T0_E_clISt17integral_constantIbLb1EES1J_EEDaS1E_S1F_EUlS1E_E_NS1_11comp_targetILNS1_3genE9ELNS1_11target_archE1100ELNS1_3gpuE3ELNS1_3repE0EEENS1_30default_config_static_selectorELNS0_4arch9wavefront6targetE0EEEvT1_.kd
    .uniform_work_group_size: 1
    .uses_dynamic_stack: false
    .vgpr_count:     0
    .vgpr_spill_count: 0
    .wavefront_size: 32
    .workgroup_processor_mode: 1
  - .args:
      - .offset:         0
        .size:           160
        .value_kind:     by_value
    .group_segment_fixed_size: 0
    .kernarg_segment_align: 8
    .kernarg_segment_size: 160
    .language:       OpenCL C
    .language_version:
      - 2
      - 0
    .max_flat_workgroup_size: 256
    .name:           _ZN7rocprim17ROCPRIM_400000_NS6detail17trampoline_kernelINS0_14default_configENS1_25partition_config_selectorILNS1_17partition_subalgoE6EN6thrust23THRUST_200600_302600_NS5tupleIxxNS7_9null_typeES9_S9_S9_S9_S9_S9_S9_EENS0_10empty_typeEbEEZZNS1_14partition_implILS5_6ELb0ES3_mNS7_12zip_iteratorINS8_INS7_6detail15normal_iteratorINS7_10device_ptrIxEEEESJ_S9_S9_S9_S9_S9_S9_S9_S9_EEEEPSB_SM_NS0_5tupleIJNSE_INS8_ISJ_NS7_16discard_iteratorINS7_11use_defaultEEES9_S9_S9_S9_S9_S9_S9_S9_EEEESB_EEENSN_IJSM_SM_EEESB_PlJNSF_9not_fun_tINSF_14equal_to_valueISA_EEEEEEE10hipError_tPvRmT3_T4_T5_T6_T7_T9_mT8_P12ihipStream_tbDpT10_ENKUlT_T0_E_clISt17integral_constantIbLb1EES1J_EEDaS1E_S1F_EUlS1E_E_NS1_11comp_targetILNS1_3genE8ELNS1_11target_archE1030ELNS1_3gpuE2ELNS1_3repE0EEENS1_30default_config_static_selectorELNS0_4arch9wavefront6targetE0EEEvT1_
    .private_segment_fixed_size: 0
    .sgpr_count:     0
    .sgpr_spill_count: 0
    .symbol:         _ZN7rocprim17ROCPRIM_400000_NS6detail17trampoline_kernelINS0_14default_configENS1_25partition_config_selectorILNS1_17partition_subalgoE6EN6thrust23THRUST_200600_302600_NS5tupleIxxNS7_9null_typeES9_S9_S9_S9_S9_S9_S9_EENS0_10empty_typeEbEEZZNS1_14partition_implILS5_6ELb0ES3_mNS7_12zip_iteratorINS8_INS7_6detail15normal_iteratorINS7_10device_ptrIxEEEESJ_S9_S9_S9_S9_S9_S9_S9_S9_EEEEPSB_SM_NS0_5tupleIJNSE_INS8_ISJ_NS7_16discard_iteratorINS7_11use_defaultEEES9_S9_S9_S9_S9_S9_S9_S9_EEEESB_EEENSN_IJSM_SM_EEESB_PlJNSF_9not_fun_tINSF_14equal_to_valueISA_EEEEEEE10hipError_tPvRmT3_T4_T5_T6_T7_T9_mT8_P12ihipStream_tbDpT10_ENKUlT_T0_E_clISt17integral_constantIbLb1EES1J_EEDaS1E_S1F_EUlS1E_E_NS1_11comp_targetILNS1_3genE8ELNS1_11target_archE1030ELNS1_3gpuE2ELNS1_3repE0EEENS1_30default_config_static_selectorELNS0_4arch9wavefront6targetE0EEEvT1_.kd
    .uniform_work_group_size: 1
    .uses_dynamic_stack: false
    .vgpr_count:     0
    .vgpr_spill_count: 0
    .wavefront_size: 32
    .workgroup_processor_mode: 1
  - .args:
      - .offset:         0
        .size:           152
        .value_kind:     by_value
    .group_segment_fixed_size: 0
    .kernarg_segment_align: 8
    .kernarg_segment_size: 152
    .language:       OpenCL C
    .language_version:
      - 2
      - 0
    .max_flat_workgroup_size: 256
    .name:           _ZN7rocprim17ROCPRIM_400000_NS6detail17trampoline_kernelINS0_14default_configENS1_25partition_config_selectorILNS1_17partition_subalgoE6EN6thrust23THRUST_200600_302600_NS5tupleIxxNS7_9null_typeES9_S9_S9_S9_S9_S9_S9_EENS0_10empty_typeEbEEZZNS1_14partition_implILS5_6ELb0ES3_mNS7_12zip_iteratorINS8_INS7_6detail15normal_iteratorINS7_10device_ptrIxEEEESJ_S9_S9_S9_S9_S9_S9_S9_S9_EEEEPSB_SM_NS0_5tupleIJNSE_INS8_ISJ_NS7_16discard_iteratorINS7_11use_defaultEEES9_S9_S9_S9_S9_S9_S9_S9_EEEESB_EEENSN_IJSM_SM_EEESB_PlJNSF_9not_fun_tINSF_14equal_to_valueISA_EEEEEEE10hipError_tPvRmT3_T4_T5_T6_T7_T9_mT8_P12ihipStream_tbDpT10_ENKUlT_T0_E_clISt17integral_constantIbLb1EES1I_IbLb0EEEEDaS1E_S1F_EUlS1E_E_NS1_11comp_targetILNS1_3genE0ELNS1_11target_archE4294967295ELNS1_3gpuE0ELNS1_3repE0EEENS1_30default_config_static_selectorELNS0_4arch9wavefront6targetE0EEEvT1_
    .private_segment_fixed_size: 0
    .sgpr_count:     0
    .sgpr_spill_count: 0
    .symbol:         _ZN7rocprim17ROCPRIM_400000_NS6detail17trampoline_kernelINS0_14default_configENS1_25partition_config_selectorILNS1_17partition_subalgoE6EN6thrust23THRUST_200600_302600_NS5tupleIxxNS7_9null_typeES9_S9_S9_S9_S9_S9_S9_EENS0_10empty_typeEbEEZZNS1_14partition_implILS5_6ELb0ES3_mNS7_12zip_iteratorINS8_INS7_6detail15normal_iteratorINS7_10device_ptrIxEEEESJ_S9_S9_S9_S9_S9_S9_S9_S9_EEEEPSB_SM_NS0_5tupleIJNSE_INS8_ISJ_NS7_16discard_iteratorINS7_11use_defaultEEES9_S9_S9_S9_S9_S9_S9_S9_EEEESB_EEENSN_IJSM_SM_EEESB_PlJNSF_9not_fun_tINSF_14equal_to_valueISA_EEEEEEE10hipError_tPvRmT3_T4_T5_T6_T7_T9_mT8_P12ihipStream_tbDpT10_ENKUlT_T0_E_clISt17integral_constantIbLb1EES1I_IbLb0EEEEDaS1E_S1F_EUlS1E_E_NS1_11comp_targetILNS1_3genE0ELNS1_11target_archE4294967295ELNS1_3gpuE0ELNS1_3repE0EEENS1_30default_config_static_selectorELNS0_4arch9wavefront6targetE0EEEvT1_.kd
    .uniform_work_group_size: 1
    .uses_dynamic_stack: false
    .vgpr_count:     0
    .vgpr_spill_count: 0
    .wavefront_size: 32
    .workgroup_processor_mode: 1
  - .args:
      - .offset:         0
        .size:           152
        .value_kind:     by_value
    .group_segment_fixed_size: 0
    .kernarg_segment_align: 8
    .kernarg_segment_size: 152
    .language:       OpenCL C
    .language_version:
      - 2
      - 0
    .max_flat_workgroup_size: 384
    .name:           _ZN7rocprim17ROCPRIM_400000_NS6detail17trampoline_kernelINS0_14default_configENS1_25partition_config_selectorILNS1_17partition_subalgoE6EN6thrust23THRUST_200600_302600_NS5tupleIxxNS7_9null_typeES9_S9_S9_S9_S9_S9_S9_EENS0_10empty_typeEbEEZZNS1_14partition_implILS5_6ELb0ES3_mNS7_12zip_iteratorINS8_INS7_6detail15normal_iteratorINS7_10device_ptrIxEEEESJ_S9_S9_S9_S9_S9_S9_S9_S9_EEEEPSB_SM_NS0_5tupleIJNSE_INS8_ISJ_NS7_16discard_iteratorINS7_11use_defaultEEES9_S9_S9_S9_S9_S9_S9_S9_EEEESB_EEENSN_IJSM_SM_EEESB_PlJNSF_9not_fun_tINSF_14equal_to_valueISA_EEEEEEE10hipError_tPvRmT3_T4_T5_T6_T7_T9_mT8_P12ihipStream_tbDpT10_ENKUlT_T0_E_clISt17integral_constantIbLb1EES1I_IbLb0EEEEDaS1E_S1F_EUlS1E_E_NS1_11comp_targetILNS1_3genE5ELNS1_11target_archE942ELNS1_3gpuE9ELNS1_3repE0EEENS1_30default_config_static_selectorELNS0_4arch9wavefront6targetE0EEEvT1_
    .private_segment_fixed_size: 0
    .sgpr_count:     0
    .sgpr_spill_count: 0
    .symbol:         _ZN7rocprim17ROCPRIM_400000_NS6detail17trampoline_kernelINS0_14default_configENS1_25partition_config_selectorILNS1_17partition_subalgoE6EN6thrust23THRUST_200600_302600_NS5tupleIxxNS7_9null_typeES9_S9_S9_S9_S9_S9_S9_EENS0_10empty_typeEbEEZZNS1_14partition_implILS5_6ELb0ES3_mNS7_12zip_iteratorINS8_INS7_6detail15normal_iteratorINS7_10device_ptrIxEEEESJ_S9_S9_S9_S9_S9_S9_S9_S9_EEEEPSB_SM_NS0_5tupleIJNSE_INS8_ISJ_NS7_16discard_iteratorINS7_11use_defaultEEES9_S9_S9_S9_S9_S9_S9_S9_EEEESB_EEENSN_IJSM_SM_EEESB_PlJNSF_9not_fun_tINSF_14equal_to_valueISA_EEEEEEE10hipError_tPvRmT3_T4_T5_T6_T7_T9_mT8_P12ihipStream_tbDpT10_ENKUlT_T0_E_clISt17integral_constantIbLb1EES1I_IbLb0EEEEDaS1E_S1F_EUlS1E_E_NS1_11comp_targetILNS1_3genE5ELNS1_11target_archE942ELNS1_3gpuE9ELNS1_3repE0EEENS1_30default_config_static_selectorELNS0_4arch9wavefront6targetE0EEEvT1_.kd
    .uniform_work_group_size: 1
    .uses_dynamic_stack: false
    .vgpr_count:     0
    .vgpr_spill_count: 0
    .wavefront_size: 32
    .workgroup_processor_mode: 1
  - .args:
      - .offset:         0
        .size:           152
        .value_kind:     by_value
    .group_segment_fixed_size: 0
    .kernarg_segment_align: 8
    .kernarg_segment_size: 152
    .language:       OpenCL C
    .language_version:
      - 2
      - 0
    .max_flat_workgroup_size: 256
    .name:           _ZN7rocprim17ROCPRIM_400000_NS6detail17trampoline_kernelINS0_14default_configENS1_25partition_config_selectorILNS1_17partition_subalgoE6EN6thrust23THRUST_200600_302600_NS5tupleIxxNS7_9null_typeES9_S9_S9_S9_S9_S9_S9_EENS0_10empty_typeEbEEZZNS1_14partition_implILS5_6ELb0ES3_mNS7_12zip_iteratorINS8_INS7_6detail15normal_iteratorINS7_10device_ptrIxEEEESJ_S9_S9_S9_S9_S9_S9_S9_S9_EEEEPSB_SM_NS0_5tupleIJNSE_INS8_ISJ_NS7_16discard_iteratorINS7_11use_defaultEEES9_S9_S9_S9_S9_S9_S9_S9_EEEESB_EEENSN_IJSM_SM_EEESB_PlJNSF_9not_fun_tINSF_14equal_to_valueISA_EEEEEEE10hipError_tPvRmT3_T4_T5_T6_T7_T9_mT8_P12ihipStream_tbDpT10_ENKUlT_T0_E_clISt17integral_constantIbLb1EES1I_IbLb0EEEEDaS1E_S1F_EUlS1E_E_NS1_11comp_targetILNS1_3genE4ELNS1_11target_archE910ELNS1_3gpuE8ELNS1_3repE0EEENS1_30default_config_static_selectorELNS0_4arch9wavefront6targetE0EEEvT1_
    .private_segment_fixed_size: 0
    .sgpr_count:     0
    .sgpr_spill_count: 0
    .symbol:         _ZN7rocprim17ROCPRIM_400000_NS6detail17trampoline_kernelINS0_14default_configENS1_25partition_config_selectorILNS1_17partition_subalgoE6EN6thrust23THRUST_200600_302600_NS5tupleIxxNS7_9null_typeES9_S9_S9_S9_S9_S9_S9_EENS0_10empty_typeEbEEZZNS1_14partition_implILS5_6ELb0ES3_mNS7_12zip_iteratorINS8_INS7_6detail15normal_iteratorINS7_10device_ptrIxEEEESJ_S9_S9_S9_S9_S9_S9_S9_S9_EEEEPSB_SM_NS0_5tupleIJNSE_INS8_ISJ_NS7_16discard_iteratorINS7_11use_defaultEEES9_S9_S9_S9_S9_S9_S9_S9_EEEESB_EEENSN_IJSM_SM_EEESB_PlJNSF_9not_fun_tINSF_14equal_to_valueISA_EEEEEEE10hipError_tPvRmT3_T4_T5_T6_T7_T9_mT8_P12ihipStream_tbDpT10_ENKUlT_T0_E_clISt17integral_constantIbLb1EES1I_IbLb0EEEEDaS1E_S1F_EUlS1E_E_NS1_11comp_targetILNS1_3genE4ELNS1_11target_archE910ELNS1_3gpuE8ELNS1_3repE0EEENS1_30default_config_static_selectorELNS0_4arch9wavefront6targetE0EEEvT1_.kd
    .uniform_work_group_size: 1
    .uses_dynamic_stack: false
    .vgpr_count:     0
    .vgpr_spill_count: 0
    .wavefront_size: 32
    .workgroup_processor_mode: 1
  - .args:
      - .offset:         0
        .size:           152
        .value_kind:     by_value
    .group_segment_fixed_size: 0
    .kernarg_segment_align: 8
    .kernarg_segment_size: 152
    .language:       OpenCL C
    .language_version:
      - 2
      - 0
    .max_flat_workgroup_size: 256
    .name:           _ZN7rocprim17ROCPRIM_400000_NS6detail17trampoline_kernelINS0_14default_configENS1_25partition_config_selectorILNS1_17partition_subalgoE6EN6thrust23THRUST_200600_302600_NS5tupleIxxNS7_9null_typeES9_S9_S9_S9_S9_S9_S9_EENS0_10empty_typeEbEEZZNS1_14partition_implILS5_6ELb0ES3_mNS7_12zip_iteratorINS8_INS7_6detail15normal_iteratorINS7_10device_ptrIxEEEESJ_S9_S9_S9_S9_S9_S9_S9_S9_EEEEPSB_SM_NS0_5tupleIJNSE_INS8_ISJ_NS7_16discard_iteratorINS7_11use_defaultEEES9_S9_S9_S9_S9_S9_S9_S9_EEEESB_EEENSN_IJSM_SM_EEESB_PlJNSF_9not_fun_tINSF_14equal_to_valueISA_EEEEEEE10hipError_tPvRmT3_T4_T5_T6_T7_T9_mT8_P12ihipStream_tbDpT10_ENKUlT_T0_E_clISt17integral_constantIbLb1EES1I_IbLb0EEEEDaS1E_S1F_EUlS1E_E_NS1_11comp_targetILNS1_3genE3ELNS1_11target_archE908ELNS1_3gpuE7ELNS1_3repE0EEENS1_30default_config_static_selectorELNS0_4arch9wavefront6targetE0EEEvT1_
    .private_segment_fixed_size: 0
    .sgpr_count:     0
    .sgpr_spill_count: 0
    .symbol:         _ZN7rocprim17ROCPRIM_400000_NS6detail17trampoline_kernelINS0_14default_configENS1_25partition_config_selectorILNS1_17partition_subalgoE6EN6thrust23THRUST_200600_302600_NS5tupleIxxNS7_9null_typeES9_S9_S9_S9_S9_S9_S9_EENS0_10empty_typeEbEEZZNS1_14partition_implILS5_6ELb0ES3_mNS7_12zip_iteratorINS8_INS7_6detail15normal_iteratorINS7_10device_ptrIxEEEESJ_S9_S9_S9_S9_S9_S9_S9_S9_EEEEPSB_SM_NS0_5tupleIJNSE_INS8_ISJ_NS7_16discard_iteratorINS7_11use_defaultEEES9_S9_S9_S9_S9_S9_S9_S9_EEEESB_EEENSN_IJSM_SM_EEESB_PlJNSF_9not_fun_tINSF_14equal_to_valueISA_EEEEEEE10hipError_tPvRmT3_T4_T5_T6_T7_T9_mT8_P12ihipStream_tbDpT10_ENKUlT_T0_E_clISt17integral_constantIbLb1EES1I_IbLb0EEEEDaS1E_S1F_EUlS1E_E_NS1_11comp_targetILNS1_3genE3ELNS1_11target_archE908ELNS1_3gpuE7ELNS1_3repE0EEENS1_30default_config_static_selectorELNS0_4arch9wavefront6targetE0EEEvT1_.kd
    .uniform_work_group_size: 1
    .uses_dynamic_stack: false
    .vgpr_count:     0
    .vgpr_spill_count: 0
    .wavefront_size: 32
    .workgroup_processor_mode: 1
  - .args:
      - .offset:         0
        .size:           152
        .value_kind:     by_value
    .group_segment_fixed_size: 0
    .kernarg_segment_align: 8
    .kernarg_segment_size: 152
    .language:       OpenCL C
    .language_version:
      - 2
      - 0
    .max_flat_workgroup_size: 256
    .name:           _ZN7rocprim17ROCPRIM_400000_NS6detail17trampoline_kernelINS0_14default_configENS1_25partition_config_selectorILNS1_17partition_subalgoE6EN6thrust23THRUST_200600_302600_NS5tupleIxxNS7_9null_typeES9_S9_S9_S9_S9_S9_S9_EENS0_10empty_typeEbEEZZNS1_14partition_implILS5_6ELb0ES3_mNS7_12zip_iteratorINS8_INS7_6detail15normal_iteratorINS7_10device_ptrIxEEEESJ_S9_S9_S9_S9_S9_S9_S9_S9_EEEEPSB_SM_NS0_5tupleIJNSE_INS8_ISJ_NS7_16discard_iteratorINS7_11use_defaultEEES9_S9_S9_S9_S9_S9_S9_S9_EEEESB_EEENSN_IJSM_SM_EEESB_PlJNSF_9not_fun_tINSF_14equal_to_valueISA_EEEEEEE10hipError_tPvRmT3_T4_T5_T6_T7_T9_mT8_P12ihipStream_tbDpT10_ENKUlT_T0_E_clISt17integral_constantIbLb1EES1I_IbLb0EEEEDaS1E_S1F_EUlS1E_E_NS1_11comp_targetILNS1_3genE2ELNS1_11target_archE906ELNS1_3gpuE6ELNS1_3repE0EEENS1_30default_config_static_selectorELNS0_4arch9wavefront6targetE0EEEvT1_
    .private_segment_fixed_size: 0
    .sgpr_count:     0
    .sgpr_spill_count: 0
    .symbol:         _ZN7rocprim17ROCPRIM_400000_NS6detail17trampoline_kernelINS0_14default_configENS1_25partition_config_selectorILNS1_17partition_subalgoE6EN6thrust23THRUST_200600_302600_NS5tupleIxxNS7_9null_typeES9_S9_S9_S9_S9_S9_S9_EENS0_10empty_typeEbEEZZNS1_14partition_implILS5_6ELb0ES3_mNS7_12zip_iteratorINS8_INS7_6detail15normal_iteratorINS7_10device_ptrIxEEEESJ_S9_S9_S9_S9_S9_S9_S9_S9_EEEEPSB_SM_NS0_5tupleIJNSE_INS8_ISJ_NS7_16discard_iteratorINS7_11use_defaultEEES9_S9_S9_S9_S9_S9_S9_S9_EEEESB_EEENSN_IJSM_SM_EEESB_PlJNSF_9not_fun_tINSF_14equal_to_valueISA_EEEEEEE10hipError_tPvRmT3_T4_T5_T6_T7_T9_mT8_P12ihipStream_tbDpT10_ENKUlT_T0_E_clISt17integral_constantIbLb1EES1I_IbLb0EEEEDaS1E_S1F_EUlS1E_E_NS1_11comp_targetILNS1_3genE2ELNS1_11target_archE906ELNS1_3gpuE6ELNS1_3repE0EEENS1_30default_config_static_selectorELNS0_4arch9wavefront6targetE0EEEvT1_.kd
    .uniform_work_group_size: 1
    .uses_dynamic_stack: false
    .vgpr_count:     0
    .vgpr_spill_count: 0
    .wavefront_size: 32
    .workgroup_processor_mode: 1
  - .args:
      - .offset:         0
        .size:           152
        .value_kind:     by_value
    .group_segment_fixed_size: 0
    .kernarg_segment_align: 8
    .kernarg_segment_size: 152
    .language:       OpenCL C
    .language_version:
      - 2
      - 0
    .max_flat_workgroup_size: 256
    .name:           _ZN7rocprim17ROCPRIM_400000_NS6detail17trampoline_kernelINS0_14default_configENS1_25partition_config_selectorILNS1_17partition_subalgoE6EN6thrust23THRUST_200600_302600_NS5tupleIxxNS7_9null_typeES9_S9_S9_S9_S9_S9_S9_EENS0_10empty_typeEbEEZZNS1_14partition_implILS5_6ELb0ES3_mNS7_12zip_iteratorINS8_INS7_6detail15normal_iteratorINS7_10device_ptrIxEEEESJ_S9_S9_S9_S9_S9_S9_S9_S9_EEEEPSB_SM_NS0_5tupleIJNSE_INS8_ISJ_NS7_16discard_iteratorINS7_11use_defaultEEES9_S9_S9_S9_S9_S9_S9_S9_EEEESB_EEENSN_IJSM_SM_EEESB_PlJNSF_9not_fun_tINSF_14equal_to_valueISA_EEEEEEE10hipError_tPvRmT3_T4_T5_T6_T7_T9_mT8_P12ihipStream_tbDpT10_ENKUlT_T0_E_clISt17integral_constantIbLb1EES1I_IbLb0EEEEDaS1E_S1F_EUlS1E_E_NS1_11comp_targetILNS1_3genE10ELNS1_11target_archE1200ELNS1_3gpuE4ELNS1_3repE0EEENS1_30default_config_static_selectorELNS0_4arch9wavefront6targetE0EEEvT1_
    .private_segment_fixed_size: 0
    .sgpr_count:     0
    .sgpr_spill_count: 0
    .symbol:         _ZN7rocprim17ROCPRIM_400000_NS6detail17trampoline_kernelINS0_14default_configENS1_25partition_config_selectorILNS1_17partition_subalgoE6EN6thrust23THRUST_200600_302600_NS5tupleIxxNS7_9null_typeES9_S9_S9_S9_S9_S9_S9_EENS0_10empty_typeEbEEZZNS1_14partition_implILS5_6ELb0ES3_mNS7_12zip_iteratorINS8_INS7_6detail15normal_iteratorINS7_10device_ptrIxEEEESJ_S9_S9_S9_S9_S9_S9_S9_S9_EEEEPSB_SM_NS0_5tupleIJNSE_INS8_ISJ_NS7_16discard_iteratorINS7_11use_defaultEEES9_S9_S9_S9_S9_S9_S9_S9_EEEESB_EEENSN_IJSM_SM_EEESB_PlJNSF_9not_fun_tINSF_14equal_to_valueISA_EEEEEEE10hipError_tPvRmT3_T4_T5_T6_T7_T9_mT8_P12ihipStream_tbDpT10_ENKUlT_T0_E_clISt17integral_constantIbLb1EES1I_IbLb0EEEEDaS1E_S1F_EUlS1E_E_NS1_11comp_targetILNS1_3genE10ELNS1_11target_archE1200ELNS1_3gpuE4ELNS1_3repE0EEENS1_30default_config_static_selectorELNS0_4arch9wavefront6targetE0EEEvT1_.kd
    .uniform_work_group_size: 1
    .uses_dynamic_stack: false
    .vgpr_count:     0
    .vgpr_spill_count: 0
    .wavefront_size: 32
    .workgroup_processor_mode: 1
  - .args:
      - .offset:         0
        .size:           152
        .value_kind:     by_value
    .group_segment_fixed_size: 0
    .kernarg_segment_align: 8
    .kernarg_segment_size: 152
    .language:       OpenCL C
    .language_version:
      - 2
      - 0
    .max_flat_workgroup_size: 512
    .name:           _ZN7rocprim17ROCPRIM_400000_NS6detail17trampoline_kernelINS0_14default_configENS1_25partition_config_selectorILNS1_17partition_subalgoE6EN6thrust23THRUST_200600_302600_NS5tupleIxxNS7_9null_typeES9_S9_S9_S9_S9_S9_S9_EENS0_10empty_typeEbEEZZNS1_14partition_implILS5_6ELb0ES3_mNS7_12zip_iteratorINS8_INS7_6detail15normal_iteratorINS7_10device_ptrIxEEEESJ_S9_S9_S9_S9_S9_S9_S9_S9_EEEEPSB_SM_NS0_5tupleIJNSE_INS8_ISJ_NS7_16discard_iteratorINS7_11use_defaultEEES9_S9_S9_S9_S9_S9_S9_S9_EEEESB_EEENSN_IJSM_SM_EEESB_PlJNSF_9not_fun_tINSF_14equal_to_valueISA_EEEEEEE10hipError_tPvRmT3_T4_T5_T6_T7_T9_mT8_P12ihipStream_tbDpT10_ENKUlT_T0_E_clISt17integral_constantIbLb1EES1I_IbLb0EEEEDaS1E_S1F_EUlS1E_E_NS1_11comp_targetILNS1_3genE9ELNS1_11target_archE1100ELNS1_3gpuE3ELNS1_3repE0EEENS1_30default_config_static_selectorELNS0_4arch9wavefront6targetE0EEEvT1_
    .private_segment_fixed_size: 0
    .sgpr_count:     0
    .sgpr_spill_count: 0
    .symbol:         _ZN7rocprim17ROCPRIM_400000_NS6detail17trampoline_kernelINS0_14default_configENS1_25partition_config_selectorILNS1_17partition_subalgoE6EN6thrust23THRUST_200600_302600_NS5tupleIxxNS7_9null_typeES9_S9_S9_S9_S9_S9_S9_EENS0_10empty_typeEbEEZZNS1_14partition_implILS5_6ELb0ES3_mNS7_12zip_iteratorINS8_INS7_6detail15normal_iteratorINS7_10device_ptrIxEEEESJ_S9_S9_S9_S9_S9_S9_S9_S9_EEEEPSB_SM_NS0_5tupleIJNSE_INS8_ISJ_NS7_16discard_iteratorINS7_11use_defaultEEES9_S9_S9_S9_S9_S9_S9_S9_EEEESB_EEENSN_IJSM_SM_EEESB_PlJNSF_9not_fun_tINSF_14equal_to_valueISA_EEEEEEE10hipError_tPvRmT3_T4_T5_T6_T7_T9_mT8_P12ihipStream_tbDpT10_ENKUlT_T0_E_clISt17integral_constantIbLb1EES1I_IbLb0EEEEDaS1E_S1F_EUlS1E_E_NS1_11comp_targetILNS1_3genE9ELNS1_11target_archE1100ELNS1_3gpuE3ELNS1_3repE0EEENS1_30default_config_static_selectorELNS0_4arch9wavefront6targetE0EEEvT1_.kd
    .uniform_work_group_size: 1
    .uses_dynamic_stack: false
    .vgpr_count:     0
    .vgpr_spill_count: 0
    .wavefront_size: 32
    .workgroup_processor_mode: 1
  - .args:
      - .offset:         0
        .size:           152
        .value_kind:     by_value
    .group_segment_fixed_size: 0
    .kernarg_segment_align: 8
    .kernarg_segment_size: 152
    .language:       OpenCL C
    .language_version:
      - 2
      - 0
    .max_flat_workgroup_size: 256
    .name:           _ZN7rocprim17ROCPRIM_400000_NS6detail17trampoline_kernelINS0_14default_configENS1_25partition_config_selectorILNS1_17partition_subalgoE6EN6thrust23THRUST_200600_302600_NS5tupleIxxNS7_9null_typeES9_S9_S9_S9_S9_S9_S9_EENS0_10empty_typeEbEEZZNS1_14partition_implILS5_6ELb0ES3_mNS7_12zip_iteratorINS8_INS7_6detail15normal_iteratorINS7_10device_ptrIxEEEESJ_S9_S9_S9_S9_S9_S9_S9_S9_EEEEPSB_SM_NS0_5tupleIJNSE_INS8_ISJ_NS7_16discard_iteratorINS7_11use_defaultEEES9_S9_S9_S9_S9_S9_S9_S9_EEEESB_EEENSN_IJSM_SM_EEESB_PlJNSF_9not_fun_tINSF_14equal_to_valueISA_EEEEEEE10hipError_tPvRmT3_T4_T5_T6_T7_T9_mT8_P12ihipStream_tbDpT10_ENKUlT_T0_E_clISt17integral_constantIbLb1EES1I_IbLb0EEEEDaS1E_S1F_EUlS1E_E_NS1_11comp_targetILNS1_3genE8ELNS1_11target_archE1030ELNS1_3gpuE2ELNS1_3repE0EEENS1_30default_config_static_selectorELNS0_4arch9wavefront6targetE0EEEvT1_
    .private_segment_fixed_size: 0
    .sgpr_count:     0
    .sgpr_spill_count: 0
    .symbol:         _ZN7rocprim17ROCPRIM_400000_NS6detail17trampoline_kernelINS0_14default_configENS1_25partition_config_selectorILNS1_17partition_subalgoE6EN6thrust23THRUST_200600_302600_NS5tupleIxxNS7_9null_typeES9_S9_S9_S9_S9_S9_S9_EENS0_10empty_typeEbEEZZNS1_14partition_implILS5_6ELb0ES3_mNS7_12zip_iteratorINS8_INS7_6detail15normal_iteratorINS7_10device_ptrIxEEEESJ_S9_S9_S9_S9_S9_S9_S9_S9_EEEEPSB_SM_NS0_5tupleIJNSE_INS8_ISJ_NS7_16discard_iteratorINS7_11use_defaultEEES9_S9_S9_S9_S9_S9_S9_S9_EEEESB_EEENSN_IJSM_SM_EEESB_PlJNSF_9not_fun_tINSF_14equal_to_valueISA_EEEEEEE10hipError_tPvRmT3_T4_T5_T6_T7_T9_mT8_P12ihipStream_tbDpT10_ENKUlT_T0_E_clISt17integral_constantIbLb1EES1I_IbLb0EEEEDaS1E_S1F_EUlS1E_E_NS1_11comp_targetILNS1_3genE8ELNS1_11target_archE1030ELNS1_3gpuE2ELNS1_3repE0EEENS1_30default_config_static_selectorELNS0_4arch9wavefront6targetE0EEEvT1_.kd
    .uniform_work_group_size: 1
    .uses_dynamic_stack: false
    .vgpr_count:     0
    .vgpr_spill_count: 0
    .wavefront_size: 32
    .workgroup_processor_mode: 1
  - .args:
      - .offset:         0
        .size:           160
        .value_kind:     by_value
    .group_segment_fixed_size: 0
    .kernarg_segment_align: 8
    .kernarg_segment_size: 160
    .language:       OpenCL C
    .language_version:
      - 2
      - 0
    .max_flat_workgroup_size: 256
    .name:           _ZN7rocprim17ROCPRIM_400000_NS6detail17trampoline_kernelINS0_14default_configENS1_25partition_config_selectorILNS1_17partition_subalgoE6EN6thrust23THRUST_200600_302600_NS5tupleIxxNS7_9null_typeES9_S9_S9_S9_S9_S9_S9_EENS0_10empty_typeEbEEZZNS1_14partition_implILS5_6ELb0ES3_mNS7_12zip_iteratorINS8_INS7_6detail15normal_iteratorINS7_10device_ptrIxEEEESJ_S9_S9_S9_S9_S9_S9_S9_S9_EEEEPSB_SM_NS0_5tupleIJNSE_INS8_ISJ_NS7_16discard_iteratorINS7_11use_defaultEEES9_S9_S9_S9_S9_S9_S9_S9_EEEESB_EEENSN_IJSM_SM_EEESB_PlJNSF_9not_fun_tINSF_14equal_to_valueISA_EEEEEEE10hipError_tPvRmT3_T4_T5_T6_T7_T9_mT8_P12ihipStream_tbDpT10_ENKUlT_T0_E_clISt17integral_constantIbLb0EES1I_IbLb1EEEEDaS1E_S1F_EUlS1E_E_NS1_11comp_targetILNS1_3genE0ELNS1_11target_archE4294967295ELNS1_3gpuE0ELNS1_3repE0EEENS1_30default_config_static_selectorELNS0_4arch9wavefront6targetE0EEEvT1_
    .private_segment_fixed_size: 0
    .sgpr_count:     0
    .sgpr_spill_count: 0
    .symbol:         _ZN7rocprim17ROCPRIM_400000_NS6detail17trampoline_kernelINS0_14default_configENS1_25partition_config_selectorILNS1_17partition_subalgoE6EN6thrust23THRUST_200600_302600_NS5tupleIxxNS7_9null_typeES9_S9_S9_S9_S9_S9_S9_EENS0_10empty_typeEbEEZZNS1_14partition_implILS5_6ELb0ES3_mNS7_12zip_iteratorINS8_INS7_6detail15normal_iteratorINS7_10device_ptrIxEEEESJ_S9_S9_S9_S9_S9_S9_S9_S9_EEEEPSB_SM_NS0_5tupleIJNSE_INS8_ISJ_NS7_16discard_iteratorINS7_11use_defaultEEES9_S9_S9_S9_S9_S9_S9_S9_EEEESB_EEENSN_IJSM_SM_EEESB_PlJNSF_9not_fun_tINSF_14equal_to_valueISA_EEEEEEE10hipError_tPvRmT3_T4_T5_T6_T7_T9_mT8_P12ihipStream_tbDpT10_ENKUlT_T0_E_clISt17integral_constantIbLb0EES1I_IbLb1EEEEDaS1E_S1F_EUlS1E_E_NS1_11comp_targetILNS1_3genE0ELNS1_11target_archE4294967295ELNS1_3gpuE0ELNS1_3repE0EEENS1_30default_config_static_selectorELNS0_4arch9wavefront6targetE0EEEvT1_.kd
    .uniform_work_group_size: 1
    .uses_dynamic_stack: false
    .vgpr_count:     0
    .vgpr_spill_count: 0
    .wavefront_size: 32
    .workgroup_processor_mode: 1
  - .args:
      - .offset:         0
        .size:           160
        .value_kind:     by_value
    .group_segment_fixed_size: 0
    .kernarg_segment_align: 8
    .kernarg_segment_size: 160
    .language:       OpenCL C
    .language_version:
      - 2
      - 0
    .max_flat_workgroup_size: 384
    .name:           _ZN7rocprim17ROCPRIM_400000_NS6detail17trampoline_kernelINS0_14default_configENS1_25partition_config_selectorILNS1_17partition_subalgoE6EN6thrust23THRUST_200600_302600_NS5tupleIxxNS7_9null_typeES9_S9_S9_S9_S9_S9_S9_EENS0_10empty_typeEbEEZZNS1_14partition_implILS5_6ELb0ES3_mNS7_12zip_iteratorINS8_INS7_6detail15normal_iteratorINS7_10device_ptrIxEEEESJ_S9_S9_S9_S9_S9_S9_S9_S9_EEEEPSB_SM_NS0_5tupleIJNSE_INS8_ISJ_NS7_16discard_iteratorINS7_11use_defaultEEES9_S9_S9_S9_S9_S9_S9_S9_EEEESB_EEENSN_IJSM_SM_EEESB_PlJNSF_9not_fun_tINSF_14equal_to_valueISA_EEEEEEE10hipError_tPvRmT3_T4_T5_T6_T7_T9_mT8_P12ihipStream_tbDpT10_ENKUlT_T0_E_clISt17integral_constantIbLb0EES1I_IbLb1EEEEDaS1E_S1F_EUlS1E_E_NS1_11comp_targetILNS1_3genE5ELNS1_11target_archE942ELNS1_3gpuE9ELNS1_3repE0EEENS1_30default_config_static_selectorELNS0_4arch9wavefront6targetE0EEEvT1_
    .private_segment_fixed_size: 0
    .sgpr_count:     0
    .sgpr_spill_count: 0
    .symbol:         _ZN7rocprim17ROCPRIM_400000_NS6detail17trampoline_kernelINS0_14default_configENS1_25partition_config_selectorILNS1_17partition_subalgoE6EN6thrust23THRUST_200600_302600_NS5tupleIxxNS7_9null_typeES9_S9_S9_S9_S9_S9_S9_EENS0_10empty_typeEbEEZZNS1_14partition_implILS5_6ELb0ES3_mNS7_12zip_iteratorINS8_INS7_6detail15normal_iteratorINS7_10device_ptrIxEEEESJ_S9_S9_S9_S9_S9_S9_S9_S9_EEEEPSB_SM_NS0_5tupleIJNSE_INS8_ISJ_NS7_16discard_iteratorINS7_11use_defaultEEES9_S9_S9_S9_S9_S9_S9_S9_EEEESB_EEENSN_IJSM_SM_EEESB_PlJNSF_9not_fun_tINSF_14equal_to_valueISA_EEEEEEE10hipError_tPvRmT3_T4_T5_T6_T7_T9_mT8_P12ihipStream_tbDpT10_ENKUlT_T0_E_clISt17integral_constantIbLb0EES1I_IbLb1EEEEDaS1E_S1F_EUlS1E_E_NS1_11comp_targetILNS1_3genE5ELNS1_11target_archE942ELNS1_3gpuE9ELNS1_3repE0EEENS1_30default_config_static_selectorELNS0_4arch9wavefront6targetE0EEEvT1_.kd
    .uniform_work_group_size: 1
    .uses_dynamic_stack: false
    .vgpr_count:     0
    .vgpr_spill_count: 0
    .wavefront_size: 32
    .workgroup_processor_mode: 1
  - .args:
      - .offset:         0
        .size:           160
        .value_kind:     by_value
    .group_segment_fixed_size: 0
    .kernarg_segment_align: 8
    .kernarg_segment_size: 160
    .language:       OpenCL C
    .language_version:
      - 2
      - 0
    .max_flat_workgroup_size: 256
    .name:           _ZN7rocprim17ROCPRIM_400000_NS6detail17trampoline_kernelINS0_14default_configENS1_25partition_config_selectorILNS1_17partition_subalgoE6EN6thrust23THRUST_200600_302600_NS5tupleIxxNS7_9null_typeES9_S9_S9_S9_S9_S9_S9_EENS0_10empty_typeEbEEZZNS1_14partition_implILS5_6ELb0ES3_mNS7_12zip_iteratorINS8_INS7_6detail15normal_iteratorINS7_10device_ptrIxEEEESJ_S9_S9_S9_S9_S9_S9_S9_S9_EEEEPSB_SM_NS0_5tupleIJNSE_INS8_ISJ_NS7_16discard_iteratorINS7_11use_defaultEEES9_S9_S9_S9_S9_S9_S9_S9_EEEESB_EEENSN_IJSM_SM_EEESB_PlJNSF_9not_fun_tINSF_14equal_to_valueISA_EEEEEEE10hipError_tPvRmT3_T4_T5_T6_T7_T9_mT8_P12ihipStream_tbDpT10_ENKUlT_T0_E_clISt17integral_constantIbLb0EES1I_IbLb1EEEEDaS1E_S1F_EUlS1E_E_NS1_11comp_targetILNS1_3genE4ELNS1_11target_archE910ELNS1_3gpuE8ELNS1_3repE0EEENS1_30default_config_static_selectorELNS0_4arch9wavefront6targetE0EEEvT1_
    .private_segment_fixed_size: 0
    .sgpr_count:     0
    .sgpr_spill_count: 0
    .symbol:         _ZN7rocprim17ROCPRIM_400000_NS6detail17trampoline_kernelINS0_14default_configENS1_25partition_config_selectorILNS1_17partition_subalgoE6EN6thrust23THRUST_200600_302600_NS5tupleIxxNS7_9null_typeES9_S9_S9_S9_S9_S9_S9_EENS0_10empty_typeEbEEZZNS1_14partition_implILS5_6ELb0ES3_mNS7_12zip_iteratorINS8_INS7_6detail15normal_iteratorINS7_10device_ptrIxEEEESJ_S9_S9_S9_S9_S9_S9_S9_S9_EEEEPSB_SM_NS0_5tupleIJNSE_INS8_ISJ_NS7_16discard_iteratorINS7_11use_defaultEEES9_S9_S9_S9_S9_S9_S9_S9_EEEESB_EEENSN_IJSM_SM_EEESB_PlJNSF_9not_fun_tINSF_14equal_to_valueISA_EEEEEEE10hipError_tPvRmT3_T4_T5_T6_T7_T9_mT8_P12ihipStream_tbDpT10_ENKUlT_T0_E_clISt17integral_constantIbLb0EES1I_IbLb1EEEEDaS1E_S1F_EUlS1E_E_NS1_11comp_targetILNS1_3genE4ELNS1_11target_archE910ELNS1_3gpuE8ELNS1_3repE0EEENS1_30default_config_static_selectorELNS0_4arch9wavefront6targetE0EEEvT1_.kd
    .uniform_work_group_size: 1
    .uses_dynamic_stack: false
    .vgpr_count:     0
    .vgpr_spill_count: 0
    .wavefront_size: 32
    .workgroup_processor_mode: 1
  - .args:
      - .offset:         0
        .size:           160
        .value_kind:     by_value
    .group_segment_fixed_size: 0
    .kernarg_segment_align: 8
    .kernarg_segment_size: 160
    .language:       OpenCL C
    .language_version:
      - 2
      - 0
    .max_flat_workgroup_size: 256
    .name:           _ZN7rocprim17ROCPRIM_400000_NS6detail17trampoline_kernelINS0_14default_configENS1_25partition_config_selectorILNS1_17partition_subalgoE6EN6thrust23THRUST_200600_302600_NS5tupleIxxNS7_9null_typeES9_S9_S9_S9_S9_S9_S9_EENS0_10empty_typeEbEEZZNS1_14partition_implILS5_6ELb0ES3_mNS7_12zip_iteratorINS8_INS7_6detail15normal_iteratorINS7_10device_ptrIxEEEESJ_S9_S9_S9_S9_S9_S9_S9_S9_EEEEPSB_SM_NS0_5tupleIJNSE_INS8_ISJ_NS7_16discard_iteratorINS7_11use_defaultEEES9_S9_S9_S9_S9_S9_S9_S9_EEEESB_EEENSN_IJSM_SM_EEESB_PlJNSF_9not_fun_tINSF_14equal_to_valueISA_EEEEEEE10hipError_tPvRmT3_T4_T5_T6_T7_T9_mT8_P12ihipStream_tbDpT10_ENKUlT_T0_E_clISt17integral_constantIbLb0EES1I_IbLb1EEEEDaS1E_S1F_EUlS1E_E_NS1_11comp_targetILNS1_3genE3ELNS1_11target_archE908ELNS1_3gpuE7ELNS1_3repE0EEENS1_30default_config_static_selectorELNS0_4arch9wavefront6targetE0EEEvT1_
    .private_segment_fixed_size: 0
    .sgpr_count:     0
    .sgpr_spill_count: 0
    .symbol:         _ZN7rocprim17ROCPRIM_400000_NS6detail17trampoline_kernelINS0_14default_configENS1_25partition_config_selectorILNS1_17partition_subalgoE6EN6thrust23THRUST_200600_302600_NS5tupleIxxNS7_9null_typeES9_S9_S9_S9_S9_S9_S9_EENS0_10empty_typeEbEEZZNS1_14partition_implILS5_6ELb0ES3_mNS7_12zip_iteratorINS8_INS7_6detail15normal_iteratorINS7_10device_ptrIxEEEESJ_S9_S9_S9_S9_S9_S9_S9_S9_EEEEPSB_SM_NS0_5tupleIJNSE_INS8_ISJ_NS7_16discard_iteratorINS7_11use_defaultEEES9_S9_S9_S9_S9_S9_S9_S9_EEEESB_EEENSN_IJSM_SM_EEESB_PlJNSF_9not_fun_tINSF_14equal_to_valueISA_EEEEEEE10hipError_tPvRmT3_T4_T5_T6_T7_T9_mT8_P12ihipStream_tbDpT10_ENKUlT_T0_E_clISt17integral_constantIbLb0EES1I_IbLb1EEEEDaS1E_S1F_EUlS1E_E_NS1_11comp_targetILNS1_3genE3ELNS1_11target_archE908ELNS1_3gpuE7ELNS1_3repE0EEENS1_30default_config_static_selectorELNS0_4arch9wavefront6targetE0EEEvT1_.kd
    .uniform_work_group_size: 1
    .uses_dynamic_stack: false
    .vgpr_count:     0
    .vgpr_spill_count: 0
    .wavefront_size: 32
    .workgroup_processor_mode: 1
  - .args:
      - .offset:         0
        .size:           160
        .value_kind:     by_value
    .group_segment_fixed_size: 0
    .kernarg_segment_align: 8
    .kernarg_segment_size: 160
    .language:       OpenCL C
    .language_version:
      - 2
      - 0
    .max_flat_workgroup_size: 256
    .name:           _ZN7rocprim17ROCPRIM_400000_NS6detail17trampoline_kernelINS0_14default_configENS1_25partition_config_selectorILNS1_17partition_subalgoE6EN6thrust23THRUST_200600_302600_NS5tupleIxxNS7_9null_typeES9_S9_S9_S9_S9_S9_S9_EENS0_10empty_typeEbEEZZNS1_14partition_implILS5_6ELb0ES3_mNS7_12zip_iteratorINS8_INS7_6detail15normal_iteratorINS7_10device_ptrIxEEEESJ_S9_S9_S9_S9_S9_S9_S9_S9_EEEEPSB_SM_NS0_5tupleIJNSE_INS8_ISJ_NS7_16discard_iteratorINS7_11use_defaultEEES9_S9_S9_S9_S9_S9_S9_S9_EEEESB_EEENSN_IJSM_SM_EEESB_PlJNSF_9not_fun_tINSF_14equal_to_valueISA_EEEEEEE10hipError_tPvRmT3_T4_T5_T6_T7_T9_mT8_P12ihipStream_tbDpT10_ENKUlT_T0_E_clISt17integral_constantIbLb0EES1I_IbLb1EEEEDaS1E_S1F_EUlS1E_E_NS1_11comp_targetILNS1_3genE2ELNS1_11target_archE906ELNS1_3gpuE6ELNS1_3repE0EEENS1_30default_config_static_selectorELNS0_4arch9wavefront6targetE0EEEvT1_
    .private_segment_fixed_size: 0
    .sgpr_count:     0
    .sgpr_spill_count: 0
    .symbol:         _ZN7rocprim17ROCPRIM_400000_NS6detail17trampoline_kernelINS0_14default_configENS1_25partition_config_selectorILNS1_17partition_subalgoE6EN6thrust23THRUST_200600_302600_NS5tupleIxxNS7_9null_typeES9_S9_S9_S9_S9_S9_S9_EENS0_10empty_typeEbEEZZNS1_14partition_implILS5_6ELb0ES3_mNS7_12zip_iteratorINS8_INS7_6detail15normal_iteratorINS7_10device_ptrIxEEEESJ_S9_S9_S9_S9_S9_S9_S9_S9_EEEEPSB_SM_NS0_5tupleIJNSE_INS8_ISJ_NS7_16discard_iteratorINS7_11use_defaultEEES9_S9_S9_S9_S9_S9_S9_S9_EEEESB_EEENSN_IJSM_SM_EEESB_PlJNSF_9not_fun_tINSF_14equal_to_valueISA_EEEEEEE10hipError_tPvRmT3_T4_T5_T6_T7_T9_mT8_P12ihipStream_tbDpT10_ENKUlT_T0_E_clISt17integral_constantIbLb0EES1I_IbLb1EEEEDaS1E_S1F_EUlS1E_E_NS1_11comp_targetILNS1_3genE2ELNS1_11target_archE906ELNS1_3gpuE6ELNS1_3repE0EEENS1_30default_config_static_selectorELNS0_4arch9wavefront6targetE0EEEvT1_.kd
    .uniform_work_group_size: 1
    .uses_dynamic_stack: false
    .vgpr_count:     0
    .vgpr_spill_count: 0
    .wavefront_size: 32
    .workgroup_processor_mode: 1
  - .args:
      - .offset:         0
        .size:           160
        .value_kind:     by_value
    .group_segment_fixed_size: 12304
    .kernarg_segment_align: 8
    .kernarg_segment_size: 160
    .language:       OpenCL C
    .language_version:
      - 2
      - 0
    .max_flat_workgroup_size: 256
    .name:           _ZN7rocprim17ROCPRIM_400000_NS6detail17trampoline_kernelINS0_14default_configENS1_25partition_config_selectorILNS1_17partition_subalgoE6EN6thrust23THRUST_200600_302600_NS5tupleIxxNS7_9null_typeES9_S9_S9_S9_S9_S9_S9_EENS0_10empty_typeEbEEZZNS1_14partition_implILS5_6ELb0ES3_mNS7_12zip_iteratorINS8_INS7_6detail15normal_iteratorINS7_10device_ptrIxEEEESJ_S9_S9_S9_S9_S9_S9_S9_S9_EEEEPSB_SM_NS0_5tupleIJNSE_INS8_ISJ_NS7_16discard_iteratorINS7_11use_defaultEEES9_S9_S9_S9_S9_S9_S9_S9_EEEESB_EEENSN_IJSM_SM_EEESB_PlJNSF_9not_fun_tINSF_14equal_to_valueISA_EEEEEEE10hipError_tPvRmT3_T4_T5_T6_T7_T9_mT8_P12ihipStream_tbDpT10_ENKUlT_T0_E_clISt17integral_constantIbLb0EES1I_IbLb1EEEEDaS1E_S1F_EUlS1E_E_NS1_11comp_targetILNS1_3genE10ELNS1_11target_archE1200ELNS1_3gpuE4ELNS1_3repE0EEENS1_30default_config_static_selectorELNS0_4arch9wavefront6targetE0EEEvT1_
    .private_segment_fixed_size: 0
    .sgpr_count:     28
    .sgpr_spill_count: 0
    .symbol:         _ZN7rocprim17ROCPRIM_400000_NS6detail17trampoline_kernelINS0_14default_configENS1_25partition_config_selectorILNS1_17partition_subalgoE6EN6thrust23THRUST_200600_302600_NS5tupleIxxNS7_9null_typeES9_S9_S9_S9_S9_S9_S9_EENS0_10empty_typeEbEEZZNS1_14partition_implILS5_6ELb0ES3_mNS7_12zip_iteratorINS8_INS7_6detail15normal_iteratorINS7_10device_ptrIxEEEESJ_S9_S9_S9_S9_S9_S9_S9_S9_EEEEPSB_SM_NS0_5tupleIJNSE_INS8_ISJ_NS7_16discard_iteratorINS7_11use_defaultEEES9_S9_S9_S9_S9_S9_S9_S9_EEEESB_EEENSN_IJSM_SM_EEESB_PlJNSF_9not_fun_tINSF_14equal_to_valueISA_EEEEEEE10hipError_tPvRmT3_T4_T5_T6_T7_T9_mT8_P12ihipStream_tbDpT10_ENKUlT_T0_E_clISt17integral_constantIbLb0EES1I_IbLb1EEEEDaS1E_S1F_EUlS1E_E_NS1_11comp_targetILNS1_3genE10ELNS1_11target_archE1200ELNS1_3gpuE4ELNS1_3repE0EEENS1_30default_config_static_selectorELNS0_4arch9wavefront6targetE0EEEvT1_.kd
    .uniform_work_group_size: 1
    .uses_dynamic_stack: false
    .vgpr_count:     51
    .vgpr_spill_count: 0
    .wavefront_size: 32
    .workgroup_processor_mode: 1
  - .args:
      - .offset:         0
        .size:           160
        .value_kind:     by_value
    .group_segment_fixed_size: 0
    .kernarg_segment_align: 8
    .kernarg_segment_size: 160
    .language:       OpenCL C
    .language_version:
      - 2
      - 0
    .max_flat_workgroup_size: 512
    .name:           _ZN7rocprim17ROCPRIM_400000_NS6detail17trampoline_kernelINS0_14default_configENS1_25partition_config_selectorILNS1_17partition_subalgoE6EN6thrust23THRUST_200600_302600_NS5tupleIxxNS7_9null_typeES9_S9_S9_S9_S9_S9_S9_EENS0_10empty_typeEbEEZZNS1_14partition_implILS5_6ELb0ES3_mNS7_12zip_iteratorINS8_INS7_6detail15normal_iteratorINS7_10device_ptrIxEEEESJ_S9_S9_S9_S9_S9_S9_S9_S9_EEEEPSB_SM_NS0_5tupleIJNSE_INS8_ISJ_NS7_16discard_iteratorINS7_11use_defaultEEES9_S9_S9_S9_S9_S9_S9_S9_EEEESB_EEENSN_IJSM_SM_EEESB_PlJNSF_9not_fun_tINSF_14equal_to_valueISA_EEEEEEE10hipError_tPvRmT3_T4_T5_T6_T7_T9_mT8_P12ihipStream_tbDpT10_ENKUlT_T0_E_clISt17integral_constantIbLb0EES1I_IbLb1EEEEDaS1E_S1F_EUlS1E_E_NS1_11comp_targetILNS1_3genE9ELNS1_11target_archE1100ELNS1_3gpuE3ELNS1_3repE0EEENS1_30default_config_static_selectorELNS0_4arch9wavefront6targetE0EEEvT1_
    .private_segment_fixed_size: 0
    .sgpr_count:     0
    .sgpr_spill_count: 0
    .symbol:         _ZN7rocprim17ROCPRIM_400000_NS6detail17trampoline_kernelINS0_14default_configENS1_25partition_config_selectorILNS1_17partition_subalgoE6EN6thrust23THRUST_200600_302600_NS5tupleIxxNS7_9null_typeES9_S9_S9_S9_S9_S9_S9_EENS0_10empty_typeEbEEZZNS1_14partition_implILS5_6ELb0ES3_mNS7_12zip_iteratorINS8_INS7_6detail15normal_iteratorINS7_10device_ptrIxEEEESJ_S9_S9_S9_S9_S9_S9_S9_S9_EEEEPSB_SM_NS0_5tupleIJNSE_INS8_ISJ_NS7_16discard_iteratorINS7_11use_defaultEEES9_S9_S9_S9_S9_S9_S9_S9_EEEESB_EEENSN_IJSM_SM_EEESB_PlJNSF_9not_fun_tINSF_14equal_to_valueISA_EEEEEEE10hipError_tPvRmT3_T4_T5_T6_T7_T9_mT8_P12ihipStream_tbDpT10_ENKUlT_T0_E_clISt17integral_constantIbLb0EES1I_IbLb1EEEEDaS1E_S1F_EUlS1E_E_NS1_11comp_targetILNS1_3genE9ELNS1_11target_archE1100ELNS1_3gpuE3ELNS1_3repE0EEENS1_30default_config_static_selectorELNS0_4arch9wavefront6targetE0EEEvT1_.kd
    .uniform_work_group_size: 1
    .uses_dynamic_stack: false
    .vgpr_count:     0
    .vgpr_spill_count: 0
    .wavefront_size: 32
    .workgroup_processor_mode: 1
  - .args:
      - .offset:         0
        .size:           160
        .value_kind:     by_value
    .group_segment_fixed_size: 0
    .kernarg_segment_align: 8
    .kernarg_segment_size: 160
    .language:       OpenCL C
    .language_version:
      - 2
      - 0
    .max_flat_workgroup_size: 256
    .name:           _ZN7rocprim17ROCPRIM_400000_NS6detail17trampoline_kernelINS0_14default_configENS1_25partition_config_selectorILNS1_17partition_subalgoE6EN6thrust23THRUST_200600_302600_NS5tupleIxxNS7_9null_typeES9_S9_S9_S9_S9_S9_S9_EENS0_10empty_typeEbEEZZNS1_14partition_implILS5_6ELb0ES3_mNS7_12zip_iteratorINS8_INS7_6detail15normal_iteratorINS7_10device_ptrIxEEEESJ_S9_S9_S9_S9_S9_S9_S9_S9_EEEEPSB_SM_NS0_5tupleIJNSE_INS8_ISJ_NS7_16discard_iteratorINS7_11use_defaultEEES9_S9_S9_S9_S9_S9_S9_S9_EEEESB_EEENSN_IJSM_SM_EEESB_PlJNSF_9not_fun_tINSF_14equal_to_valueISA_EEEEEEE10hipError_tPvRmT3_T4_T5_T6_T7_T9_mT8_P12ihipStream_tbDpT10_ENKUlT_T0_E_clISt17integral_constantIbLb0EES1I_IbLb1EEEEDaS1E_S1F_EUlS1E_E_NS1_11comp_targetILNS1_3genE8ELNS1_11target_archE1030ELNS1_3gpuE2ELNS1_3repE0EEENS1_30default_config_static_selectorELNS0_4arch9wavefront6targetE0EEEvT1_
    .private_segment_fixed_size: 0
    .sgpr_count:     0
    .sgpr_spill_count: 0
    .symbol:         _ZN7rocprim17ROCPRIM_400000_NS6detail17trampoline_kernelINS0_14default_configENS1_25partition_config_selectorILNS1_17partition_subalgoE6EN6thrust23THRUST_200600_302600_NS5tupleIxxNS7_9null_typeES9_S9_S9_S9_S9_S9_S9_EENS0_10empty_typeEbEEZZNS1_14partition_implILS5_6ELb0ES3_mNS7_12zip_iteratorINS8_INS7_6detail15normal_iteratorINS7_10device_ptrIxEEEESJ_S9_S9_S9_S9_S9_S9_S9_S9_EEEEPSB_SM_NS0_5tupleIJNSE_INS8_ISJ_NS7_16discard_iteratorINS7_11use_defaultEEES9_S9_S9_S9_S9_S9_S9_S9_EEEESB_EEENSN_IJSM_SM_EEESB_PlJNSF_9not_fun_tINSF_14equal_to_valueISA_EEEEEEE10hipError_tPvRmT3_T4_T5_T6_T7_T9_mT8_P12ihipStream_tbDpT10_ENKUlT_T0_E_clISt17integral_constantIbLb0EES1I_IbLb1EEEEDaS1E_S1F_EUlS1E_E_NS1_11comp_targetILNS1_3genE8ELNS1_11target_archE1030ELNS1_3gpuE2ELNS1_3repE0EEENS1_30default_config_static_selectorELNS0_4arch9wavefront6targetE0EEEvT1_.kd
    .uniform_work_group_size: 1
    .uses_dynamic_stack: false
    .vgpr_count:     0
    .vgpr_spill_count: 0
    .wavefront_size: 32
    .workgroup_processor_mode: 1
  - .args:
      - .offset:         0
        .size:           144
        .value_kind:     by_value
    .group_segment_fixed_size: 0
    .kernarg_segment_align: 8
    .kernarg_segment_size: 144
    .language:       OpenCL C
    .language_version:
      - 2
      - 0
    .max_flat_workgroup_size: 128
    .name:           _ZN7rocprim17ROCPRIM_400000_NS6detail17trampoline_kernelINS0_14default_configENS1_25partition_config_selectorILNS1_17partition_subalgoE6EN6thrust23THRUST_200600_302600_NS5tupleIiiNS7_9null_typeES9_S9_S9_S9_S9_S9_S9_EENS0_10empty_typeEbEEZZNS1_14partition_implILS5_6ELb0ES3_mNS7_12zip_iteratorINS8_INS7_6detail15normal_iteratorINS7_10device_ptrIiEEEESJ_S9_S9_S9_S9_S9_S9_S9_S9_EEEEPSB_SM_NS0_5tupleIJNSE_INS8_ISJ_NS7_16discard_iteratorINS7_11use_defaultEEES9_S9_S9_S9_S9_S9_S9_S9_EEEESB_EEENSN_IJSM_SM_EEESB_PlJNSF_9not_fun_tINSF_14equal_to_valueISA_EEEEEEE10hipError_tPvRmT3_T4_T5_T6_T7_T9_mT8_P12ihipStream_tbDpT10_ENKUlT_T0_E_clISt17integral_constantIbLb0EES1J_EEDaS1E_S1F_EUlS1E_E_NS1_11comp_targetILNS1_3genE0ELNS1_11target_archE4294967295ELNS1_3gpuE0ELNS1_3repE0EEENS1_30default_config_static_selectorELNS0_4arch9wavefront6targetE0EEEvT1_
    .private_segment_fixed_size: 0
    .sgpr_count:     0
    .sgpr_spill_count: 0
    .symbol:         _ZN7rocprim17ROCPRIM_400000_NS6detail17trampoline_kernelINS0_14default_configENS1_25partition_config_selectorILNS1_17partition_subalgoE6EN6thrust23THRUST_200600_302600_NS5tupleIiiNS7_9null_typeES9_S9_S9_S9_S9_S9_S9_EENS0_10empty_typeEbEEZZNS1_14partition_implILS5_6ELb0ES3_mNS7_12zip_iteratorINS8_INS7_6detail15normal_iteratorINS7_10device_ptrIiEEEESJ_S9_S9_S9_S9_S9_S9_S9_S9_EEEEPSB_SM_NS0_5tupleIJNSE_INS8_ISJ_NS7_16discard_iteratorINS7_11use_defaultEEES9_S9_S9_S9_S9_S9_S9_S9_EEEESB_EEENSN_IJSM_SM_EEESB_PlJNSF_9not_fun_tINSF_14equal_to_valueISA_EEEEEEE10hipError_tPvRmT3_T4_T5_T6_T7_T9_mT8_P12ihipStream_tbDpT10_ENKUlT_T0_E_clISt17integral_constantIbLb0EES1J_EEDaS1E_S1F_EUlS1E_E_NS1_11comp_targetILNS1_3genE0ELNS1_11target_archE4294967295ELNS1_3gpuE0ELNS1_3repE0EEENS1_30default_config_static_selectorELNS0_4arch9wavefront6targetE0EEEvT1_.kd
    .uniform_work_group_size: 1
    .uses_dynamic_stack: false
    .vgpr_count:     0
    .vgpr_spill_count: 0
    .wavefront_size: 32
    .workgroup_processor_mode: 1
  - .args:
      - .offset:         0
        .size:           144
        .value_kind:     by_value
    .group_segment_fixed_size: 0
    .kernarg_segment_align: 8
    .kernarg_segment_size: 144
    .language:       OpenCL C
    .language_version:
      - 2
      - 0
    .max_flat_workgroup_size: 512
    .name:           _ZN7rocprim17ROCPRIM_400000_NS6detail17trampoline_kernelINS0_14default_configENS1_25partition_config_selectorILNS1_17partition_subalgoE6EN6thrust23THRUST_200600_302600_NS5tupleIiiNS7_9null_typeES9_S9_S9_S9_S9_S9_S9_EENS0_10empty_typeEbEEZZNS1_14partition_implILS5_6ELb0ES3_mNS7_12zip_iteratorINS8_INS7_6detail15normal_iteratorINS7_10device_ptrIiEEEESJ_S9_S9_S9_S9_S9_S9_S9_S9_EEEEPSB_SM_NS0_5tupleIJNSE_INS8_ISJ_NS7_16discard_iteratorINS7_11use_defaultEEES9_S9_S9_S9_S9_S9_S9_S9_EEEESB_EEENSN_IJSM_SM_EEESB_PlJNSF_9not_fun_tINSF_14equal_to_valueISA_EEEEEEE10hipError_tPvRmT3_T4_T5_T6_T7_T9_mT8_P12ihipStream_tbDpT10_ENKUlT_T0_E_clISt17integral_constantIbLb0EES1J_EEDaS1E_S1F_EUlS1E_E_NS1_11comp_targetILNS1_3genE5ELNS1_11target_archE942ELNS1_3gpuE9ELNS1_3repE0EEENS1_30default_config_static_selectorELNS0_4arch9wavefront6targetE0EEEvT1_
    .private_segment_fixed_size: 0
    .sgpr_count:     0
    .sgpr_spill_count: 0
    .symbol:         _ZN7rocprim17ROCPRIM_400000_NS6detail17trampoline_kernelINS0_14default_configENS1_25partition_config_selectorILNS1_17partition_subalgoE6EN6thrust23THRUST_200600_302600_NS5tupleIiiNS7_9null_typeES9_S9_S9_S9_S9_S9_S9_EENS0_10empty_typeEbEEZZNS1_14partition_implILS5_6ELb0ES3_mNS7_12zip_iteratorINS8_INS7_6detail15normal_iteratorINS7_10device_ptrIiEEEESJ_S9_S9_S9_S9_S9_S9_S9_S9_EEEEPSB_SM_NS0_5tupleIJNSE_INS8_ISJ_NS7_16discard_iteratorINS7_11use_defaultEEES9_S9_S9_S9_S9_S9_S9_S9_EEEESB_EEENSN_IJSM_SM_EEESB_PlJNSF_9not_fun_tINSF_14equal_to_valueISA_EEEEEEE10hipError_tPvRmT3_T4_T5_T6_T7_T9_mT8_P12ihipStream_tbDpT10_ENKUlT_T0_E_clISt17integral_constantIbLb0EES1J_EEDaS1E_S1F_EUlS1E_E_NS1_11comp_targetILNS1_3genE5ELNS1_11target_archE942ELNS1_3gpuE9ELNS1_3repE0EEENS1_30default_config_static_selectorELNS0_4arch9wavefront6targetE0EEEvT1_.kd
    .uniform_work_group_size: 1
    .uses_dynamic_stack: false
    .vgpr_count:     0
    .vgpr_spill_count: 0
    .wavefront_size: 32
    .workgroup_processor_mode: 1
  - .args:
      - .offset:         0
        .size:           144
        .value_kind:     by_value
    .group_segment_fixed_size: 0
    .kernarg_segment_align: 8
    .kernarg_segment_size: 144
    .language:       OpenCL C
    .language_version:
      - 2
      - 0
    .max_flat_workgroup_size: 512
    .name:           _ZN7rocprim17ROCPRIM_400000_NS6detail17trampoline_kernelINS0_14default_configENS1_25partition_config_selectorILNS1_17partition_subalgoE6EN6thrust23THRUST_200600_302600_NS5tupleIiiNS7_9null_typeES9_S9_S9_S9_S9_S9_S9_EENS0_10empty_typeEbEEZZNS1_14partition_implILS5_6ELb0ES3_mNS7_12zip_iteratorINS8_INS7_6detail15normal_iteratorINS7_10device_ptrIiEEEESJ_S9_S9_S9_S9_S9_S9_S9_S9_EEEEPSB_SM_NS0_5tupleIJNSE_INS8_ISJ_NS7_16discard_iteratorINS7_11use_defaultEEES9_S9_S9_S9_S9_S9_S9_S9_EEEESB_EEENSN_IJSM_SM_EEESB_PlJNSF_9not_fun_tINSF_14equal_to_valueISA_EEEEEEE10hipError_tPvRmT3_T4_T5_T6_T7_T9_mT8_P12ihipStream_tbDpT10_ENKUlT_T0_E_clISt17integral_constantIbLb0EES1J_EEDaS1E_S1F_EUlS1E_E_NS1_11comp_targetILNS1_3genE4ELNS1_11target_archE910ELNS1_3gpuE8ELNS1_3repE0EEENS1_30default_config_static_selectorELNS0_4arch9wavefront6targetE0EEEvT1_
    .private_segment_fixed_size: 0
    .sgpr_count:     0
    .sgpr_spill_count: 0
    .symbol:         _ZN7rocprim17ROCPRIM_400000_NS6detail17trampoline_kernelINS0_14default_configENS1_25partition_config_selectorILNS1_17partition_subalgoE6EN6thrust23THRUST_200600_302600_NS5tupleIiiNS7_9null_typeES9_S9_S9_S9_S9_S9_S9_EENS0_10empty_typeEbEEZZNS1_14partition_implILS5_6ELb0ES3_mNS7_12zip_iteratorINS8_INS7_6detail15normal_iteratorINS7_10device_ptrIiEEEESJ_S9_S9_S9_S9_S9_S9_S9_S9_EEEEPSB_SM_NS0_5tupleIJNSE_INS8_ISJ_NS7_16discard_iteratorINS7_11use_defaultEEES9_S9_S9_S9_S9_S9_S9_S9_EEEESB_EEENSN_IJSM_SM_EEESB_PlJNSF_9not_fun_tINSF_14equal_to_valueISA_EEEEEEE10hipError_tPvRmT3_T4_T5_T6_T7_T9_mT8_P12ihipStream_tbDpT10_ENKUlT_T0_E_clISt17integral_constantIbLb0EES1J_EEDaS1E_S1F_EUlS1E_E_NS1_11comp_targetILNS1_3genE4ELNS1_11target_archE910ELNS1_3gpuE8ELNS1_3repE0EEENS1_30default_config_static_selectorELNS0_4arch9wavefront6targetE0EEEvT1_.kd
    .uniform_work_group_size: 1
    .uses_dynamic_stack: false
    .vgpr_count:     0
    .vgpr_spill_count: 0
    .wavefront_size: 32
    .workgroup_processor_mode: 1
  - .args:
      - .offset:         0
        .size:           144
        .value_kind:     by_value
    .group_segment_fixed_size: 0
    .kernarg_segment_align: 8
    .kernarg_segment_size: 144
    .language:       OpenCL C
    .language_version:
      - 2
      - 0
    .max_flat_workgroup_size: 128
    .name:           _ZN7rocprim17ROCPRIM_400000_NS6detail17trampoline_kernelINS0_14default_configENS1_25partition_config_selectorILNS1_17partition_subalgoE6EN6thrust23THRUST_200600_302600_NS5tupleIiiNS7_9null_typeES9_S9_S9_S9_S9_S9_S9_EENS0_10empty_typeEbEEZZNS1_14partition_implILS5_6ELb0ES3_mNS7_12zip_iteratorINS8_INS7_6detail15normal_iteratorINS7_10device_ptrIiEEEESJ_S9_S9_S9_S9_S9_S9_S9_S9_EEEEPSB_SM_NS0_5tupleIJNSE_INS8_ISJ_NS7_16discard_iteratorINS7_11use_defaultEEES9_S9_S9_S9_S9_S9_S9_S9_EEEESB_EEENSN_IJSM_SM_EEESB_PlJNSF_9not_fun_tINSF_14equal_to_valueISA_EEEEEEE10hipError_tPvRmT3_T4_T5_T6_T7_T9_mT8_P12ihipStream_tbDpT10_ENKUlT_T0_E_clISt17integral_constantIbLb0EES1J_EEDaS1E_S1F_EUlS1E_E_NS1_11comp_targetILNS1_3genE3ELNS1_11target_archE908ELNS1_3gpuE7ELNS1_3repE0EEENS1_30default_config_static_selectorELNS0_4arch9wavefront6targetE0EEEvT1_
    .private_segment_fixed_size: 0
    .sgpr_count:     0
    .sgpr_spill_count: 0
    .symbol:         _ZN7rocprim17ROCPRIM_400000_NS6detail17trampoline_kernelINS0_14default_configENS1_25partition_config_selectorILNS1_17partition_subalgoE6EN6thrust23THRUST_200600_302600_NS5tupleIiiNS7_9null_typeES9_S9_S9_S9_S9_S9_S9_EENS0_10empty_typeEbEEZZNS1_14partition_implILS5_6ELb0ES3_mNS7_12zip_iteratorINS8_INS7_6detail15normal_iteratorINS7_10device_ptrIiEEEESJ_S9_S9_S9_S9_S9_S9_S9_S9_EEEEPSB_SM_NS0_5tupleIJNSE_INS8_ISJ_NS7_16discard_iteratorINS7_11use_defaultEEES9_S9_S9_S9_S9_S9_S9_S9_EEEESB_EEENSN_IJSM_SM_EEESB_PlJNSF_9not_fun_tINSF_14equal_to_valueISA_EEEEEEE10hipError_tPvRmT3_T4_T5_T6_T7_T9_mT8_P12ihipStream_tbDpT10_ENKUlT_T0_E_clISt17integral_constantIbLb0EES1J_EEDaS1E_S1F_EUlS1E_E_NS1_11comp_targetILNS1_3genE3ELNS1_11target_archE908ELNS1_3gpuE7ELNS1_3repE0EEENS1_30default_config_static_selectorELNS0_4arch9wavefront6targetE0EEEvT1_.kd
    .uniform_work_group_size: 1
    .uses_dynamic_stack: false
    .vgpr_count:     0
    .vgpr_spill_count: 0
    .wavefront_size: 32
    .workgroup_processor_mode: 1
  - .args:
      - .offset:         0
        .size:           144
        .value_kind:     by_value
    .group_segment_fixed_size: 0
    .kernarg_segment_align: 8
    .kernarg_segment_size: 144
    .language:       OpenCL C
    .language_version:
      - 2
      - 0
    .max_flat_workgroup_size: 256
    .name:           _ZN7rocprim17ROCPRIM_400000_NS6detail17trampoline_kernelINS0_14default_configENS1_25partition_config_selectorILNS1_17partition_subalgoE6EN6thrust23THRUST_200600_302600_NS5tupleIiiNS7_9null_typeES9_S9_S9_S9_S9_S9_S9_EENS0_10empty_typeEbEEZZNS1_14partition_implILS5_6ELb0ES3_mNS7_12zip_iteratorINS8_INS7_6detail15normal_iteratorINS7_10device_ptrIiEEEESJ_S9_S9_S9_S9_S9_S9_S9_S9_EEEEPSB_SM_NS0_5tupleIJNSE_INS8_ISJ_NS7_16discard_iteratorINS7_11use_defaultEEES9_S9_S9_S9_S9_S9_S9_S9_EEEESB_EEENSN_IJSM_SM_EEESB_PlJNSF_9not_fun_tINSF_14equal_to_valueISA_EEEEEEE10hipError_tPvRmT3_T4_T5_T6_T7_T9_mT8_P12ihipStream_tbDpT10_ENKUlT_T0_E_clISt17integral_constantIbLb0EES1J_EEDaS1E_S1F_EUlS1E_E_NS1_11comp_targetILNS1_3genE2ELNS1_11target_archE906ELNS1_3gpuE6ELNS1_3repE0EEENS1_30default_config_static_selectorELNS0_4arch9wavefront6targetE0EEEvT1_
    .private_segment_fixed_size: 0
    .sgpr_count:     0
    .sgpr_spill_count: 0
    .symbol:         _ZN7rocprim17ROCPRIM_400000_NS6detail17trampoline_kernelINS0_14default_configENS1_25partition_config_selectorILNS1_17partition_subalgoE6EN6thrust23THRUST_200600_302600_NS5tupleIiiNS7_9null_typeES9_S9_S9_S9_S9_S9_S9_EENS0_10empty_typeEbEEZZNS1_14partition_implILS5_6ELb0ES3_mNS7_12zip_iteratorINS8_INS7_6detail15normal_iteratorINS7_10device_ptrIiEEEESJ_S9_S9_S9_S9_S9_S9_S9_S9_EEEEPSB_SM_NS0_5tupleIJNSE_INS8_ISJ_NS7_16discard_iteratorINS7_11use_defaultEEES9_S9_S9_S9_S9_S9_S9_S9_EEEESB_EEENSN_IJSM_SM_EEESB_PlJNSF_9not_fun_tINSF_14equal_to_valueISA_EEEEEEE10hipError_tPvRmT3_T4_T5_T6_T7_T9_mT8_P12ihipStream_tbDpT10_ENKUlT_T0_E_clISt17integral_constantIbLb0EES1J_EEDaS1E_S1F_EUlS1E_E_NS1_11comp_targetILNS1_3genE2ELNS1_11target_archE906ELNS1_3gpuE6ELNS1_3repE0EEENS1_30default_config_static_selectorELNS0_4arch9wavefront6targetE0EEEvT1_.kd
    .uniform_work_group_size: 1
    .uses_dynamic_stack: false
    .vgpr_count:     0
    .vgpr_spill_count: 0
    .wavefront_size: 32
    .workgroup_processor_mode: 1
  - .args:
      - .offset:         0
        .size:           144
        .value_kind:     by_value
    .group_segment_fixed_size: 8464
    .kernarg_segment_align: 8
    .kernarg_segment_size: 144
    .language:       OpenCL C
    .language_version:
      - 2
      - 0
    .max_flat_workgroup_size: 256
    .name:           _ZN7rocprim17ROCPRIM_400000_NS6detail17trampoline_kernelINS0_14default_configENS1_25partition_config_selectorILNS1_17partition_subalgoE6EN6thrust23THRUST_200600_302600_NS5tupleIiiNS7_9null_typeES9_S9_S9_S9_S9_S9_S9_EENS0_10empty_typeEbEEZZNS1_14partition_implILS5_6ELb0ES3_mNS7_12zip_iteratorINS8_INS7_6detail15normal_iteratorINS7_10device_ptrIiEEEESJ_S9_S9_S9_S9_S9_S9_S9_S9_EEEEPSB_SM_NS0_5tupleIJNSE_INS8_ISJ_NS7_16discard_iteratorINS7_11use_defaultEEES9_S9_S9_S9_S9_S9_S9_S9_EEEESB_EEENSN_IJSM_SM_EEESB_PlJNSF_9not_fun_tINSF_14equal_to_valueISA_EEEEEEE10hipError_tPvRmT3_T4_T5_T6_T7_T9_mT8_P12ihipStream_tbDpT10_ENKUlT_T0_E_clISt17integral_constantIbLb0EES1J_EEDaS1E_S1F_EUlS1E_E_NS1_11comp_targetILNS1_3genE10ELNS1_11target_archE1200ELNS1_3gpuE4ELNS1_3repE0EEENS1_30default_config_static_selectorELNS0_4arch9wavefront6targetE0EEEvT1_
    .private_segment_fixed_size: 0
    .sgpr_count:     26
    .sgpr_spill_count: 0
    .symbol:         _ZN7rocprim17ROCPRIM_400000_NS6detail17trampoline_kernelINS0_14default_configENS1_25partition_config_selectorILNS1_17partition_subalgoE6EN6thrust23THRUST_200600_302600_NS5tupleIiiNS7_9null_typeES9_S9_S9_S9_S9_S9_S9_EENS0_10empty_typeEbEEZZNS1_14partition_implILS5_6ELb0ES3_mNS7_12zip_iteratorINS8_INS7_6detail15normal_iteratorINS7_10device_ptrIiEEEESJ_S9_S9_S9_S9_S9_S9_S9_S9_EEEEPSB_SM_NS0_5tupleIJNSE_INS8_ISJ_NS7_16discard_iteratorINS7_11use_defaultEEES9_S9_S9_S9_S9_S9_S9_S9_EEEESB_EEENSN_IJSM_SM_EEESB_PlJNSF_9not_fun_tINSF_14equal_to_valueISA_EEEEEEE10hipError_tPvRmT3_T4_T5_T6_T7_T9_mT8_P12ihipStream_tbDpT10_ENKUlT_T0_E_clISt17integral_constantIbLb0EES1J_EEDaS1E_S1F_EUlS1E_E_NS1_11comp_targetILNS1_3genE10ELNS1_11target_archE1200ELNS1_3gpuE4ELNS1_3repE0EEENS1_30default_config_static_selectorELNS0_4arch9wavefront6targetE0EEEvT1_.kd
    .uniform_work_group_size: 1
    .uses_dynamic_stack: false
    .vgpr_count:     46
    .vgpr_spill_count: 0
    .wavefront_size: 32
    .workgroup_processor_mode: 1
  - .args:
      - .offset:         0
        .size:           144
        .value_kind:     by_value
    .group_segment_fixed_size: 0
    .kernarg_segment_align: 8
    .kernarg_segment_size: 144
    .language:       OpenCL C
    .language_version:
      - 2
      - 0
    .max_flat_workgroup_size: 384
    .name:           _ZN7rocprim17ROCPRIM_400000_NS6detail17trampoline_kernelINS0_14default_configENS1_25partition_config_selectorILNS1_17partition_subalgoE6EN6thrust23THRUST_200600_302600_NS5tupleIiiNS7_9null_typeES9_S9_S9_S9_S9_S9_S9_EENS0_10empty_typeEbEEZZNS1_14partition_implILS5_6ELb0ES3_mNS7_12zip_iteratorINS8_INS7_6detail15normal_iteratorINS7_10device_ptrIiEEEESJ_S9_S9_S9_S9_S9_S9_S9_S9_EEEEPSB_SM_NS0_5tupleIJNSE_INS8_ISJ_NS7_16discard_iteratorINS7_11use_defaultEEES9_S9_S9_S9_S9_S9_S9_S9_EEEESB_EEENSN_IJSM_SM_EEESB_PlJNSF_9not_fun_tINSF_14equal_to_valueISA_EEEEEEE10hipError_tPvRmT3_T4_T5_T6_T7_T9_mT8_P12ihipStream_tbDpT10_ENKUlT_T0_E_clISt17integral_constantIbLb0EES1J_EEDaS1E_S1F_EUlS1E_E_NS1_11comp_targetILNS1_3genE9ELNS1_11target_archE1100ELNS1_3gpuE3ELNS1_3repE0EEENS1_30default_config_static_selectorELNS0_4arch9wavefront6targetE0EEEvT1_
    .private_segment_fixed_size: 0
    .sgpr_count:     0
    .sgpr_spill_count: 0
    .symbol:         _ZN7rocprim17ROCPRIM_400000_NS6detail17trampoline_kernelINS0_14default_configENS1_25partition_config_selectorILNS1_17partition_subalgoE6EN6thrust23THRUST_200600_302600_NS5tupleIiiNS7_9null_typeES9_S9_S9_S9_S9_S9_S9_EENS0_10empty_typeEbEEZZNS1_14partition_implILS5_6ELb0ES3_mNS7_12zip_iteratorINS8_INS7_6detail15normal_iteratorINS7_10device_ptrIiEEEESJ_S9_S9_S9_S9_S9_S9_S9_S9_EEEEPSB_SM_NS0_5tupleIJNSE_INS8_ISJ_NS7_16discard_iteratorINS7_11use_defaultEEES9_S9_S9_S9_S9_S9_S9_S9_EEEESB_EEENSN_IJSM_SM_EEESB_PlJNSF_9not_fun_tINSF_14equal_to_valueISA_EEEEEEE10hipError_tPvRmT3_T4_T5_T6_T7_T9_mT8_P12ihipStream_tbDpT10_ENKUlT_T0_E_clISt17integral_constantIbLb0EES1J_EEDaS1E_S1F_EUlS1E_E_NS1_11comp_targetILNS1_3genE9ELNS1_11target_archE1100ELNS1_3gpuE3ELNS1_3repE0EEENS1_30default_config_static_selectorELNS0_4arch9wavefront6targetE0EEEvT1_.kd
    .uniform_work_group_size: 1
    .uses_dynamic_stack: false
    .vgpr_count:     0
    .vgpr_spill_count: 0
    .wavefront_size: 32
    .workgroup_processor_mode: 1
  - .args:
      - .offset:         0
        .size:           144
        .value_kind:     by_value
    .group_segment_fixed_size: 0
    .kernarg_segment_align: 8
    .kernarg_segment_size: 144
    .language:       OpenCL C
    .language_version:
      - 2
      - 0
    .max_flat_workgroup_size: 512
    .name:           _ZN7rocprim17ROCPRIM_400000_NS6detail17trampoline_kernelINS0_14default_configENS1_25partition_config_selectorILNS1_17partition_subalgoE6EN6thrust23THRUST_200600_302600_NS5tupleIiiNS7_9null_typeES9_S9_S9_S9_S9_S9_S9_EENS0_10empty_typeEbEEZZNS1_14partition_implILS5_6ELb0ES3_mNS7_12zip_iteratorINS8_INS7_6detail15normal_iteratorINS7_10device_ptrIiEEEESJ_S9_S9_S9_S9_S9_S9_S9_S9_EEEEPSB_SM_NS0_5tupleIJNSE_INS8_ISJ_NS7_16discard_iteratorINS7_11use_defaultEEES9_S9_S9_S9_S9_S9_S9_S9_EEEESB_EEENSN_IJSM_SM_EEESB_PlJNSF_9not_fun_tINSF_14equal_to_valueISA_EEEEEEE10hipError_tPvRmT3_T4_T5_T6_T7_T9_mT8_P12ihipStream_tbDpT10_ENKUlT_T0_E_clISt17integral_constantIbLb0EES1J_EEDaS1E_S1F_EUlS1E_E_NS1_11comp_targetILNS1_3genE8ELNS1_11target_archE1030ELNS1_3gpuE2ELNS1_3repE0EEENS1_30default_config_static_selectorELNS0_4arch9wavefront6targetE0EEEvT1_
    .private_segment_fixed_size: 0
    .sgpr_count:     0
    .sgpr_spill_count: 0
    .symbol:         _ZN7rocprim17ROCPRIM_400000_NS6detail17trampoline_kernelINS0_14default_configENS1_25partition_config_selectorILNS1_17partition_subalgoE6EN6thrust23THRUST_200600_302600_NS5tupleIiiNS7_9null_typeES9_S9_S9_S9_S9_S9_S9_EENS0_10empty_typeEbEEZZNS1_14partition_implILS5_6ELb0ES3_mNS7_12zip_iteratorINS8_INS7_6detail15normal_iteratorINS7_10device_ptrIiEEEESJ_S9_S9_S9_S9_S9_S9_S9_S9_EEEEPSB_SM_NS0_5tupleIJNSE_INS8_ISJ_NS7_16discard_iteratorINS7_11use_defaultEEES9_S9_S9_S9_S9_S9_S9_S9_EEEESB_EEENSN_IJSM_SM_EEESB_PlJNSF_9not_fun_tINSF_14equal_to_valueISA_EEEEEEE10hipError_tPvRmT3_T4_T5_T6_T7_T9_mT8_P12ihipStream_tbDpT10_ENKUlT_T0_E_clISt17integral_constantIbLb0EES1J_EEDaS1E_S1F_EUlS1E_E_NS1_11comp_targetILNS1_3genE8ELNS1_11target_archE1030ELNS1_3gpuE2ELNS1_3repE0EEENS1_30default_config_static_selectorELNS0_4arch9wavefront6targetE0EEEvT1_.kd
    .uniform_work_group_size: 1
    .uses_dynamic_stack: false
    .vgpr_count:     0
    .vgpr_spill_count: 0
    .wavefront_size: 32
    .workgroup_processor_mode: 1
  - .args:
      - .offset:         0
        .size:           152
        .value_kind:     by_value
    .group_segment_fixed_size: 0
    .kernarg_segment_align: 8
    .kernarg_segment_size: 152
    .language:       OpenCL C
    .language_version:
      - 2
      - 0
    .max_flat_workgroup_size: 128
    .name:           _ZN7rocprim17ROCPRIM_400000_NS6detail17trampoline_kernelINS0_14default_configENS1_25partition_config_selectorILNS1_17partition_subalgoE6EN6thrust23THRUST_200600_302600_NS5tupleIiiNS7_9null_typeES9_S9_S9_S9_S9_S9_S9_EENS0_10empty_typeEbEEZZNS1_14partition_implILS5_6ELb0ES3_mNS7_12zip_iteratorINS8_INS7_6detail15normal_iteratorINS7_10device_ptrIiEEEESJ_S9_S9_S9_S9_S9_S9_S9_S9_EEEEPSB_SM_NS0_5tupleIJNSE_INS8_ISJ_NS7_16discard_iteratorINS7_11use_defaultEEES9_S9_S9_S9_S9_S9_S9_S9_EEEESB_EEENSN_IJSM_SM_EEESB_PlJNSF_9not_fun_tINSF_14equal_to_valueISA_EEEEEEE10hipError_tPvRmT3_T4_T5_T6_T7_T9_mT8_P12ihipStream_tbDpT10_ENKUlT_T0_E_clISt17integral_constantIbLb1EES1J_EEDaS1E_S1F_EUlS1E_E_NS1_11comp_targetILNS1_3genE0ELNS1_11target_archE4294967295ELNS1_3gpuE0ELNS1_3repE0EEENS1_30default_config_static_selectorELNS0_4arch9wavefront6targetE0EEEvT1_
    .private_segment_fixed_size: 0
    .sgpr_count:     0
    .sgpr_spill_count: 0
    .symbol:         _ZN7rocprim17ROCPRIM_400000_NS6detail17trampoline_kernelINS0_14default_configENS1_25partition_config_selectorILNS1_17partition_subalgoE6EN6thrust23THRUST_200600_302600_NS5tupleIiiNS7_9null_typeES9_S9_S9_S9_S9_S9_S9_EENS0_10empty_typeEbEEZZNS1_14partition_implILS5_6ELb0ES3_mNS7_12zip_iteratorINS8_INS7_6detail15normal_iteratorINS7_10device_ptrIiEEEESJ_S9_S9_S9_S9_S9_S9_S9_S9_EEEEPSB_SM_NS0_5tupleIJNSE_INS8_ISJ_NS7_16discard_iteratorINS7_11use_defaultEEES9_S9_S9_S9_S9_S9_S9_S9_EEEESB_EEENSN_IJSM_SM_EEESB_PlJNSF_9not_fun_tINSF_14equal_to_valueISA_EEEEEEE10hipError_tPvRmT3_T4_T5_T6_T7_T9_mT8_P12ihipStream_tbDpT10_ENKUlT_T0_E_clISt17integral_constantIbLb1EES1J_EEDaS1E_S1F_EUlS1E_E_NS1_11comp_targetILNS1_3genE0ELNS1_11target_archE4294967295ELNS1_3gpuE0ELNS1_3repE0EEENS1_30default_config_static_selectorELNS0_4arch9wavefront6targetE0EEEvT1_.kd
    .uniform_work_group_size: 1
    .uses_dynamic_stack: false
    .vgpr_count:     0
    .vgpr_spill_count: 0
    .wavefront_size: 32
    .workgroup_processor_mode: 1
  - .args:
      - .offset:         0
        .size:           152
        .value_kind:     by_value
    .group_segment_fixed_size: 0
    .kernarg_segment_align: 8
    .kernarg_segment_size: 152
    .language:       OpenCL C
    .language_version:
      - 2
      - 0
    .max_flat_workgroup_size: 512
    .name:           _ZN7rocprim17ROCPRIM_400000_NS6detail17trampoline_kernelINS0_14default_configENS1_25partition_config_selectorILNS1_17partition_subalgoE6EN6thrust23THRUST_200600_302600_NS5tupleIiiNS7_9null_typeES9_S9_S9_S9_S9_S9_S9_EENS0_10empty_typeEbEEZZNS1_14partition_implILS5_6ELb0ES3_mNS7_12zip_iteratorINS8_INS7_6detail15normal_iteratorINS7_10device_ptrIiEEEESJ_S9_S9_S9_S9_S9_S9_S9_S9_EEEEPSB_SM_NS0_5tupleIJNSE_INS8_ISJ_NS7_16discard_iteratorINS7_11use_defaultEEES9_S9_S9_S9_S9_S9_S9_S9_EEEESB_EEENSN_IJSM_SM_EEESB_PlJNSF_9not_fun_tINSF_14equal_to_valueISA_EEEEEEE10hipError_tPvRmT3_T4_T5_T6_T7_T9_mT8_P12ihipStream_tbDpT10_ENKUlT_T0_E_clISt17integral_constantIbLb1EES1J_EEDaS1E_S1F_EUlS1E_E_NS1_11comp_targetILNS1_3genE5ELNS1_11target_archE942ELNS1_3gpuE9ELNS1_3repE0EEENS1_30default_config_static_selectorELNS0_4arch9wavefront6targetE0EEEvT1_
    .private_segment_fixed_size: 0
    .sgpr_count:     0
    .sgpr_spill_count: 0
    .symbol:         _ZN7rocprim17ROCPRIM_400000_NS6detail17trampoline_kernelINS0_14default_configENS1_25partition_config_selectorILNS1_17partition_subalgoE6EN6thrust23THRUST_200600_302600_NS5tupleIiiNS7_9null_typeES9_S9_S9_S9_S9_S9_S9_EENS0_10empty_typeEbEEZZNS1_14partition_implILS5_6ELb0ES3_mNS7_12zip_iteratorINS8_INS7_6detail15normal_iteratorINS7_10device_ptrIiEEEESJ_S9_S9_S9_S9_S9_S9_S9_S9_EEEEPSB_SM_NS0_5tupleIJNSE_INS8_ISJ_NS7_16discard_iteratorINS7_11use_defaultEEES9_S9_S9_S9_S9_S9_S9_S9_EEEESB_EEENSN_IJSM_SM_EEESB_PlJNSF_9not_fun_tINSF_14equal_to_valueISA_EEEEEEE10hipError_tPvRmT3_T4_T5_T6_T7_T9_mT8_P12ihipStream_tbDpT10_ENKUlT_T0_E_clISt17integral_constantIbLb1EES1J_EEDaS1E_S1F_EUlS1E_E_NS1_11comp_targetILNS1_3genE5ELNS1_11target_archE942ELNS1_3gpuE9ELNS1_3repE0EEENS1_30default_config_static_selectorELNS0_4arch9wavefront6targetE0EEEvT1_.kd
    .uniform_work_group_size: 1
    .uses_dynamic_stack: false
    .vgpr_count:     0
    .vgpr_spill_count: 0
    .wavefront_size: 32
    .workgroup_processor_mode: 1
  - .args:
      - .offset:         0
        .size:           152
        .value_kind:     by_value
    .group_segment_fixed_size: 0
    .kernarg_segment_align: 8
    .kernarg_segment_size: 152
    .language:       OpenCL C
    .language_version:
      - 2
      - 0
    .max_flat_workgroup_size: 512
    .name:           _ZN7rocprim17ROCPRIM_400000_NS6detail17trampoline_kernelINS0_14default_configENS1_25partition_config_selectorILNS1_17partition_subalgoE6EN6thrust23THRUST_200600_302600_NS5tupleIiiNS7_9null_typeES9_S9_S9_S9_S9_S9_S9_EENS0_10empty_typeEbEEZZNS1_14partition_implILS5_6ELb0ES3_mNS7_12zip_iteratorINS8_INS7_6detail15normal_iteratorINS7_10device_ptrIiEEEESJ_S9_S9_S9_S9_S9_S9_S9_S9_EEEEPSB_SM_NS0_5tupleIJNSE_INS8_ISJ_NS7_16discard_iteratorINS7_11use_defaultEEES9_S9_S9_S9_S9_S9_S9_S9_EEEESB_EEENSN_IJSM_SM_EEESB_PlJNSF_9not_fun_tINSF_14equal_to_valueISA_EEEEEEE10hipError_tPvRmT3_T4_T5_T6_T7_T9_mT8_P12ihipStream_tbDpT10_ENKUlT_T0_E_clISt17integral_constantIbLb1EES1J_EEDaS1E_S1F_EUlS1E_E_NS1_11comp_targetILNS1_3genE4ELNS1_11target_archE910ELNS1_3gpuE8ELNS1_3repE0EEENS1_30default_config_static_selectorELNS0_4arch9wavefront6targetE0EEEvT1_
    .private_segment_fixed_size: 0
    .sgpr_count:     0
    .sgpr_spill_count: 0
    .symbol:         _ZN7rocprim17ROCPRIM_400000_NS6detail17trampoline_kernelINS0_14default_configENS1_25partition_config_selectorILNS1_17partition_subalgoE6EN6thrust23THRUST_200600_302600_NS5tupleIiiNS7_9null_typeES9_S9_S9_S9_S9_S9_S9_EENS0_10empty_typeEbEEZZNS1_14partition_implILS5_6ELb0ES3_mNS7_12zip_iteratorINS8_INS7_6detail15normal_iteratorINS7_10device_ptrIiEEEESJ_S9_S9_S9_S9_S9_S9_S9_S9_EEEEPSB_SM_NS0_5tupleIJNSE_INS8_ISJ_NS7_16discard_iteratorINS7_11use_defaultEEES9_S9_S9_S9_S9_S9_S9_S9_EEEESB_EEENSN_IJSM_SM_EEESB_PlJNSF_9not_fun_tINSF_14equal_to_valueISA_EEEEEEE10hipError_tPvRmT3_T4_T5_T6_T7_T9_mT8_P12ihipStream_tbDpT10_ENKUlT_T0_E_clISt17integral_constantIbLb1EES1J_EEDaS1E_S1F_EUlS1E_E_NS1_11comp_targetILNS1_3genE4ELNS1_11target_archE910ELNS1_3gpuE8ELNS1_3repE0EEENS1_30default_config_static_selectorELNS0_4arch9wavefront6targetE0EEEvT1_.kd
    .uniform_work_group_size: 1
    .uses_dynamic_stack: false
    .vgpr_count:     0
    .vgpr_spill_count: 0
    .wavefront_size: 32
    .workgroup_processor_mode: 1
  - .args:
      - .offset:         0
        .size:           152
        .value_kind:     by_value
    .group_segment_fixed_size: 0
    .kernarg_segment_align: 8
    .kernarg_segment_size: 152
    .language:       OpenCL C
    .language_version:
      - 2
      - 0
    .max_flat_workgroup_size: 128
    .name:           _ZN7rocprim17ROCPRIM_400000_NS6detail17trampoline_kernelINS0_14default_configENS1_25partition_config_selectorILNS1_17partition_subalgoE6EN6thrust23THRUST_200600_302600_NS5tupleIiiNS7_9null_typeES9_S9_S9_S9_S9_S9_S9_EENS0_10empty_typeEbEEZZNS1_14partition_implILS5_6ELb0ES3_mNS7_12zip_iteratorINS8_INS7_6detail15normal_iteratorINS7_10device_ptrIiEEEESJ_S9_S9_S9_S9_S9_S9_S9_S9_EEEEPSB_SM_NS0_5tupleIJNSE_INS8_ISJ_NS7_16discard_iteratorINS7_11use_defaultEEES9_S9_S9_S9_S9_S9_S9_S9_EEEESB_EEENSN_IJSM_SM_EEESB_PlJNSF_9not_fun_tINSF_14equal_to_valueISA_EEEEEEE10hipError_tPvRmT3_T4_T5_T6_T7_T9_mT8_P12ihipStream_tbDpT10_ENKUlT_T0_E_clISt17integral_constantIbLb1EES1J_EEDaS1E_S1F_EUlS1E_E_NS1_11comp_targetILNS1_3genE3ELNS1_11target_archE908ELNS1_3gpuE7ELNS1_3repE0EEENS1_30default_config_static_selectorELNS0_4arch9wavefront6targetE0EEEvT1_
    .private_segment_fixed_size: 0
    .sgpr_count:     0
    .sgpr_spill_count: 0
    .symbol:         _ZN7rocprim17ROCPRIM_400000_NS6detail17trampoline_kernelINS0_14default_configENS1_25partition_config_selectorILNS1_17partition_subalgoE6EN6thrust23THRUST_200600_302600_NS5tupleIiiNS7_9null_typeES9_S9_S9_S9_S9_S9_S9_EENS0_10empty_typeEbEEZZNS1_14partition_implILS5_6ELb0ES3_mNS7_12zip_iteratorINS8_INS7_6detail15normal_iteratorINS7_10device_ptrIiEEEESJ_S9_S9_S9_S9_S9_S9_S9_S9_EEEEPSB_SM_NS0_5tupleIJNSE_INS8_ISJ_NS7_16discard_iteratorINS7_11use_defaultEEES9_S9_S9_S9_S9_S9_S9_S9_EEEESB_EEENSN_IJSM_SM_EEESB_PlJNSF_9not_fun_tINSF_14equal_to_valueISA_EEEEEEE10hipError_tPvRmT3_T4_T5_T6_T7_T9_mT8_P12ihipStream_tbDpT10_ENKUlT_T0_E_clISt17integral_constantIbLb1EES1J_EEDaS1E_S1F_EUlS1E_E_NS1_11comp_targetILNS1_3genE3ELNS1_11target_archE908ELNS1_3gpuE7ELNS1_3repE0EEENS1_30default_config_static_selectorELNS0_4arch9wavefront6targetE0EEEvT1_.kd
    .uniform_work_group_size: 1
    .uses_dynamic_stack: false
    .vgpr_count:     0
    .vgpr_spill_count: 0
    .wavefront_size: 32
    .workgroup_processor_mode: 1
  - .args:
      - .offset:         0
        .size:           152
        .value_kind:     by_value
    .group_segment_fixed_size: 0
    .kernarg_segment_align: 8
    .kernarg_segment_size: 152
    .language:       OpenCL C
    .language_version:
      - 2
      - 0
    .max_flat_workgroup_size: 256
    .name:           _ZN7rocprim17ROCPRIM_400000_NS6detail17trampoline_kernelINS0_14default_configENS1_25partition_config_selectorILNS1_17partition_subalgoE6EN6thrust23THRUST_200600_302600_NS5tupleIiiNS7_9null_typeES9_S9_S9_S9_S9_S9_S9_EENS0_10empty_typeEbEEZZNS1_14partition_implILS5_6ELb0ES3_mNS7_12zip_iteratorINS8_INS7_6detail15normal_iteratorINS7_10device_ptrIiEEEESJ_S9_S9_S9_S9_S9_S9_S9_S9_EEEEPSB_SM_NS0_5tupleIJNSE_INS8_ISJ_NS7_16discard_iteratorINS7_11use_defaultEEES9_S9_S9_S9_S9_S9_S9_S9_EEEESB_EEENSN_IJSM_SM_EEESB_PlJNSF_9not_fun_tINSF_14equal_to_valueISA_EEEEEEE10hipError_tPvRmT3_T4_T5_T6_T7_T9_mT8_P12ihipStream_tbDpT10_ENKUlT_T0_E_clISt17integral_constantIbLb1EES1J_EEDaS1E_S1F_EUlS1E_E_NS1_11comp_targetILNS1_3genE2ELNS1_11target_archE906ELNS1_3gpuE6ELNS1_3repE0EEENS1_30default_config_static_selectorELNS0_4arch9wavefront6targetE0EEEvT1_
    .private_segment_fixed_size: 0
    .sgpr_count:     0
    .sgpr_spill_count: 0
    .symbol:         _ZN7rocprim17ROCPRIM_400000_NS6detail17trampoline_kernelINS0_14default_configENS1_25partition_config_selectorILNS1_17partition_subalgoE6EN6thrust23THRUST_200600_302600_NS5tupleIiiNS7_9null_typeES9_S9_S9_S9_S9_S9_S9_EENS0_10empty_typeEbEEZZNS1_14partition_implILS5_6ELb0ES3_mNS7_12zip_iteratorINS8_INS7_6detail15normal_iteratorINS7_10device_ptrIiEEEESJ_S9_S9_S9_S9_S9_S9_S9_S9_EEEEPSB_SM_NS0_5tupleIJNSE_INS8_ISJ_NS7_16discard_iteratorINS7_11use_defaultEEES9_S9_S9_S9_S9_S9_S9_S9_EEEESB_EEENSN_IJSM_SM_EEESB_PlJNSF_9not_fun_tINSF_14equal_to_valueISA_EEEEEEE10hipError_tPvRmT3_T4_T5_T6_T7_T9_mT8_P12ihipStream_tbDpT10_ENKUlT_T0_E_clISt17integral_constantIbLb1EES1J_EEDaS1E_S1F_EUlS1E_E_NS1_11comp_targetILNS1_3genE2ELNS1_11target_archE906ELNS1_3gpuE6ELNS1_3repE0EEENS1_30default_config_static_selectorELNS0_4arch9wavefront6targetE0EEEvT1_.kd
    .uniform_work_group_size: 1
    .uses_dynamic_stack: false
    .vgpr_count:     0
    .vgpr_spill_count: 0
    .wavefront_size: 32
    .workgroup_processor_mode: 1
  - .args:
      - .offset:         0
        .size:           152
        .value_kind:     by_value
    .group_segment_fixed_size: 0
    .kernarg_segment_align: 8
    .kernarg_segment_size: 152
    .language:       OpenCL C
    .language_version:
      - 2
      - 0
    .max_flat_workgroup_size: 256
    .name:           _ZN7rocprim17ROCPRIM_400000_NS6detail17trampoline_kernelINS0_14default_configENS1_25partition_config_selectorILNS1_17partition_subalgoE6EN6thrust23THRUST_200600_302600_NS5tupleIiiNS7_9null_typeES9_S9_S9_S9_S9_S9_S9_EENS0_10empty_typeEbEEZZNS1_14partition_implILS5_6ELb0ES3_mNS7_12zip_iteratorINS8_INS7_6detail15normal_iteratorINS7_10device_ptrIiEEEESJ_S9_S9_S9_S9_S9_S9_S9_S9_EEEEPSB_SM_NS0_5tupleIJNSE_INS8_ISJ_NS7_16discard_iteratorINS7_11use_defaultEEES9_S9_S9_S9_S9_S9_S9_S9_EEEESB_EEENSN_IJSM_SM_EEESB_PlJNSF_9not_fun_tINSF_14equal_to_valueISA_EEEEEEE10hipError_tPvRmT3_T4_T5_T6_T7_T9_mT8_P12ihipStream_tbDpT10_ENKUlT_T0_E_clISt17integral_constantIbLb1EES1J_EEDaS1E_S1F_EUlS1E_E_NS1_11comp_targetILNS1_3genE10ELNS1_11target_archE1200ELNS1_3gpuE4ELNS1_3repE0EEENS1_30default_config_static_selectorELNS0_4arch9wavefront6targetE0EEEvT1_
    .private_segment_fixed_size: 0
    .sgpr_count:     0
    .sgpr_spill_count: 0
    .symbol:         _ZN7rocprim17ROCPRIM_400000_NS6detail17trampoline_kernelINS0_14default_configENS1_25partition_config_selectorILNS1_17partition_subalgoE6EN6thrust23THRUST_200600_302600_NS5tupleIiiNS7_9null_typeES9_S9_S9_S9_S9_S9_S9_EENS0_10empty_typeEbEEZZNS1_14partition_implILS5_6ELb0ES3_mNS7_12zip_iteratorINS8_INS7_6detail15normal_iteratorINS7_10device_ptrIiEEEESJ_S9_S9_S9_S9_S9_S9_S9_S9_EEEEPSB_SM_NS0_5tupleIJNSE_INS8_ISJ_NS7_16discard_iteratorINS7_11use_defaultEEES9_S9_S9_S9_S9_S9_S9_S9_EEEESB_EEENSN_IJSM_SM_EEESB_PlJNSF_9not_fun_tINSF_14equal_to_valueISA_EEEEEEE10hipError_tPvRmT3_T4_T5_T6_T7_T9_mT8_P12ihipStream_tbDpT10_ENKUlT_T0_E_clISt17integral_constantIbLb1EES1J_EEDaS1E_S1F_EUlS1E_E_NS1_11comp_targetILNS1_3genE10ELNS1_11target_archE1200ELNS1_3gpuE4ELNS1_3repE0EEENS1_30default_config_static_selectorELNS0_4arch9wavefront6targetE0EEEvT1_.kd
    .uniform_work_group_size: 1
    .uses_dynamic_stack: false
    .vgpr_count:     0
    .vgpr_spill_count: 0
    .wavefront_size: 32
    .workgroup_processor_mode: 1
  - .args:
      - .offset:         0
        .size:           152
        .value_kind:     by_value
    .group_segment_fixed_size: 0
    .kernarg_segment_align: 8
    .kernarg_segment_size: 152
    .language:       OpenCL C
    .language_version:
      - 2
      - 0
    .max_flat_workgroup_size: 384
    .name:           _ZN7rocprim17ROCPRIM_400000_NS6detail17trampoline_kernelINS0_14default_configENS1_25partition_config_selectorILNS1_17partition_subalgoE6EN6thrust23THRUST_200600_302600_NS5tupleIiiNS7_9null_typeES9_S9_S9_S9_S9_S9_S9_EENS0_10empty_typeEbEEZZNS1_14partition_implILS5_6ELb0ES3_mNS7_12zip_iteratorINS8_INS7_6detail15normal_iteratorINS7_10device_ptrIiEEEESJ_S9_S9_S9_S9_S9_S9_S9_S9_EEEEPSB_SM_NS0_5tupleIJNSE_INS8_ISJ_NS7_16discard_iteratorINS7_11use_defaultEEES9_S9_S9_S9_S9_S9_S9_S9_EEEESB_EEENSN_IJSM_SM_EEESB_PlJNSF_9not_fun_tINSF_14equal_to_valueISA_EEEEEEE10hipError_tPvRmT3_T4_T5_T6_T7_T9_mT8_P12ihipStream_tbDpT10_ENKUlT_T0_E_clISt17integral_constantIbLb1EES1J_EEDaS1E_S1F_EUlS1E_E_NS1_11comp_targetILNS1_3genE9ELNS1_11target_archE1100ELNS1_3gpuE3ELNS1_3repE0EEENS1_30default_config_static_selectorELNS0_4arch9wavefront6targetE0EEEvT1_
    .private_segment_fixed_size: 0
    .sgpr_count:     0
    .sgpr_spill_count: 0
    .symbol:         _ZN7rocprim17ROCPRIM_400000_NS6detail17trampoline_kernelINS0_14default_configENS1_25partition_config_selectorILNS1_17partition_subalgoE6EN6thrust23THRUST_200600_302600_NS5tupleIiiNS7_9null_typeES9_S9_S9_S9_S9_S9_S9_EENS0_10empty_typeEbEEZZNS1_14partition_implILS5_6ELb0ES3_mNS7_12zip_iteratorINS8_INS7_6detail15normal_iteratorINS7_10device_ptrIiEEEESJ_S9_S9_S9_S9_S9_S9_S9_S9_EEEEPSB_SM_NS0_5tupleIJNSE_INS8_ISJ_NS7_16discard_iteratorINS7_11use_defaultEEES9_S9_S9_S9_S9_S9_S9_S9_EEEESB_EEENSN_IJSM_SM_EEESB_PlJNSF_9not_fun_tINSF_14equal_to_valueISA_EEEEEEE10hipError_tPvRmT3_T4_T5_T6_T7_T9_mT8_P12ihipStream_tbDpT10_ENKUlT_T0_E_clISt17integral_constantIbLb1EES1J_EEDaS1E_S1F_EUlS1E_E_NS1_11comp_targetILNS1_3genE9ELNS1_11target_archE1100ELNS1_3gpuE3ELNS1_3repE0EEENS1_30default_config_static_selectorELNS0_4arch9wavefront6targetE0EEEvT1_.kd
    .uniform_work_group_size: 1
    .uses_dynamic_stack: false
    .vgpr_count:     0
    .vgpr_spill_count: 0
    .wavefront_size: 32
    .workgroup_processor_mode: 1
  - .args:
      - .offset:         0
        .size:           152
        .value_kind:     by_value
    .group_segment_fixed_size: 0
    .kernarg_segment_align: 8
    .kernarg_segment_size: 152
    .language:       OpenCL C
    .language_version:
      - 2
      - 0
    .max_flat_workgroup_size: 512
    .name:           _ZN7rocprim17ROCPRIM_400000_NS6detail17trampoline_kernelINS0_14default_configENS1_25partition_config_selectorILNS1_17partition_subalgoE6EN6thrust23THRUST_200600_302600_NS5tupleIiiNS7_9null_typeES9_S9_S9_S9_S9_S9_S9_EENS0_10empty_typeEbEEZZNS1_14partition_implILS5_6ELb0ES3_mNS7_12zip_iteratorINS8_INS7_6detail15normal_iteratorINS7_10device_ptrIiEEEESJ_S9_S9_S9_S9_S9_S9_S9_S9_EEEEPSB_SM_NS0_5tupleIJNSE_INS8_ISJ_NS7_16discard_iteratorINS7_11use_defaultEEES9_S9_S9_S9_S9_S9_S9_S9_EEEESB_EEENSN_IJSM_SM_EEESB_PlJNSF_9not_fun_tINSF_14equal_to_valueISA_EEEEEEE10hipError_tPvRmT3_T4_T5_T6_T7_T9_mT8_P12ihipStream_tbDpT10_ENKUlT_T0_E_clISt17integral_constantIbLb1EES1J_EEDaS1E_S1F_EUlS1E_E_NS1_11comp_targetILNS1_3genE8ELNS1_11target_archE1030ELNS1_3gpuE2ELNS1_3repE0EEENS1_30default_config_static_selectorELNS0_4arch9wavefront6targetE0EEEvT1_
    .private_segment_fixed_size: 0
    .sgpr_count:     0
    .sgpr_spill_count: 0
    .symbol:         _ZN7rocprim17ROCPRIM_400000_NS6detail17trampoline_kernelINS0_14default_configENS1_25partition_config_selectorILNS1_17partition_subalgoE6EN6thrust23THRUST_200600_302600_NS5tupleIiiNS7_9null_typeES9_S9_S9_S9_S9_S9_S9_EENS0_10empty_typeEbEEZZNS1_14partition_implILS5_6ELb0ES3_mNS7_12zip_iteratorINS8_INS7_6detail15normal_iteratorINS7_10device_ptrIiEEEESJ_S9_S9_S9_S9_S9_S9_S9_S9_EEEEPSB_SM_NS0_5tupleIJNSE_INS8_ISJ_NS7_16discard_iteratorINS7_11use_defaultEEES9_S9_S9_S9_S9_S9_S9_S9_EEEESB_EEENSN_IJSM_SM_EEESB_PlJNSF_9not_fun_tINSF_14equal_to_valueISA_EEEEEEE10hipError_tPvRmT3_T4_T5_T6_T7_T9_mT8_P12ihipStream_tbDpT10_ENKUlT_T0_E_clISt17integral_constantIbLb1EES1J_EEDaS1E_S1F_EUlS1E_E_NS1_11comp_targetILNS1_3genE8ELNS1_11target_archE1030ELNS1_3gpuE2ELNS1_3repE0EEENS1_30default_config_static_selectorELNS0_4arch9wavefront6targetE0EEEvT1_.kd
    .uniform_work_group_size: 1
    .uses_dynamic_stack: false
    .vgpr_count:     0
    .vgpr_spill_count: 0
    .wavefront_size: 32
    .workgroup_processor_mode: 1
  - .args:
      - .offset:         0
        .size:           144
        .value_kind:     by_value
    .group_segment_fixed_size: 0
    .kernarg_segment_align: 8
    .kernarg_segment_size: 144
    .language:       OpenCL C
    .language_version:
      - 2
      - 0
    .max_flat_workgroup_size: 128
    .name:           _ZN7rocprim17ROCPRIM_400000_NS6detail17trampoline_kernelINS0_14default_configENS1_25partition_config_selectorILNS1_17partition_subalgoE6EN6thrust23THRUST_200600_302600_NS5tupleIiiNS7_9null_typeES9_S9_S9_S9_S9_S9_S9_EENS0_10empty_typeEbEEZZNS1_14partition_implILS5_6ELb0ES3_mNS7_12zip_iteratorINS8_INS7_6detail15normal_iteratorINS7_10device_ptrIiEEEESJ_S9_S9_S9_S9_S9_S9_S9_S9_EEEEPSB_SM_NS0_5tupleIJNSE_INS8_ISJ_NS7_16discard_iteratorINS7_11use_defaultEEES9_S9_S9_S9_S9_S9_S9_S9_EEEESB_EEENSN_IJSM_SM_EEESB_PlJNSF_9not_fun_tINSF_14equal_to_valueISA_EEEEEEE10hipError_tPvRmT3_T4_T5_T6_T7_T9_mT8_P12ihipStream_tbDpT10_ENKUlT_T0_E_clISt17integral_constantIbLb1EES1I_IbLb0EEEEDaS1E_S1F_EUlS1E_E_NS1_11comp_targetILNS1_3genE0ELNS1_11target_archE4294967295ELNS1_3gpuE0ELNS1_3repE0EEENS1_30default_config_static_selectorELNS0_4arch9wavefront6targetE0EEEvT1_
    .private_segment_fixed_size: 0
    .sgpr_count:     0
    .sgpr_spill_count: 0
    .symbol:         _ZN7rocprim17ROCPRIM_400000_NS6detail17trampoline_kernelINS0_14default_configENS1_25partition_config_selectorILNS1_17partition_subalgoE6EN6thrust23THRUST_200600_302600_NS5tupleIiiNS7_9null_typeES9_S9_S9_S9_S9_S9_S9_EENS0_10empty_typeEbEEZZNS1_14partition_implILS5_6ELb0ES3_mNS7_12zip_iteratorINS8_INS7_6detail15normal_iteratorINS7_10device_ptrIiEEEESJ_S9_S9_S9_S9_S9_S9_S9_S9_EEEEPSB_SM_NS0_5tupleIJNSE_INS8_ISJ_NS7_16discard_iteratorINS7_11use_defaultEEES9_S9_S9_S9_S9_S9_S9_S9_EEEESB_EEENSN_IJSM_SM_EEESB_PlJNSF_9not_fun_tINSF_14equal_to_valueISA_EEEEEEE10hipError_tPvRmT3_T4_T5_T6_T7_T9_mT8_P12ihipStream_tbDpT10_ENKUlT_T0_E_clISt17integral_constantIbLb1EES1I_IbLb0EEEEDaS1E_S1F_EUlS1E_E_NS1_11comp_targetILNS1_3genE0ELNS1_11target_archE4294967295ELNS1_3gpuE0ELNS1_3repE0EEENS1_30default_config_static_selectorELNS0_4arch9wavefront6targetE0EEEvT1_.kd
    .uniform_work_group_size: 1
    .uses_dynamic_stack: false
    .vgpr_count:     0
    .vgpr_spill_count: 0
    .wavefront_size: 32
    .workgroup_processor_mode: 1
  - .args:
      - .offset:         0
        .size:           144
        .value_kind:     by_value
    .group_segment_fixed_size: 0
    .kernarg_segment_align: 8
    .kernarg_segment_size: 144
    .language:       OpenCL C
    .language_version:
      - 2
      - 0
    .max_flat_workgroup_size: 512
    .name:           _ZN7rocprim17ROCPRIM_400000_NS6detail17trampoline_kernelINS0_14default_configENS1_25partition_config_selectorILNS1_17partition_subalgoE6EN6thrust23THRUST_200600_302600_NS5tupleIiiNS7_9null_typeES9_S9_S9_S9_S9_S9_S9_EENS0_10empty_typeEbEEZZNS1_14partition_implILS5_6ELb0ES3_mNS7_12zip_iteratorINS8_INS7_6detail15normal_iteratorINS7_10device_ptrIiEEEESJ_S9_S9_S9_S9_S9_S9_S9_S9_EEEEPSB_SM_NS0_5tupleIJNSE_INS8_ISJ_NS7_16discard_iteratorINS7_11use_defaultEEES9_S9_S9_S9_S9_S9_S9_S9_EEEESB_EEENSN_IJSM_SM_EEESB_PlJNSF_9not_fun_tINSF_14equal_to_valueISA_EEEEEEE10hipError_tPvRmT3_T4_T5_T6_T7_T9_mT8_P12ihipStream_tbDpT10_ENKUlT_T0_E_clISt17integral_constantIbLb1EES1I_IbLb0EEEEDaS1E_S1F_EUlS1E_E_NS1_11comp_targetILNS1_3genE5ELNS1_11target_archE942ELNS1_3gpuE9ELNS1_3repE0EEENS1_30default_config_static_selectorELNS0_4arch9wavefront6targetE0EEEvT1_
    .private_segment_fixed_size: 0
    .sgpr_count:     0
    .sgpr_spill_count: 0
    .symbol:         _ZN7rocprim17ROCPRIM_400000_NS6detail17trampoline_kernelINS0_14default_configENS1_25partition_config_selectorILNS1_17partition_subalgoE6EN6thrust23THRUST_200600_302600_NS5tupleIiiNS7_9null_typeES9_S9_S9_S9_S9_S9_S9_EENS0_10empty_typeEbEEZZNS1_14partition_implILS5_6ELb0ES3_mNS7_12zip_iteratorINS8_INS7_6detail15normal_iteratorINS7_10device_ptrIiEEEESJ_S9_S9_S9_S9_S9_S9_S9_S9_EEEEPSB_SM_NS0_5tupleIJNSE_INS8_ISJ_NS7_16discard_iteratorINS7_11use_defaultEEES9_S9_S9_S9_S9_S9_S9_S9_EEEESB_EEENSN_IJSM_SM_EEESB_PlJNSF_9not_fun_tINSF_14equal_to_valueISA_EEEEEEE10hipError_tPvRmT3_T4_T5_T6_T7_T9_mT8_P12ihipStream_tbDpT10_ENKUlT_T0_E_clISt17integral_constantIbLb1EES1I_IbLb0EEEEDaS1E_S1F_EUlS1E_E_NS1_11comp_targetILNS1_3genE5ELNS1_11target_archE942ELNS1_3gpuE9ELNS1_3repE0EEENS1_30default_config_static_selectorELNS0_4arch9wavefront6targetE0EEEvT1_.kd
    .uniform_work_group_size: 1
    .uses_dynamic_stack: false
    .vgpr_count:     0
    .vgpr_spill_count: 0
    .wavefront_size: 32
    .workgroup_processor_mode: 1
  - .args:
      - .offset:         0
        .size:           144
        .value_kind:     by_value
    .group_segment_fixed_size: 0
    .kernarg_segment_align: 8
    .kernarg_segment_size: 144
    .language:       OpenCL C
    .language_version:
      - 2
      - 0
    .max_flat_workgroup_size: 512
    .name:           _ZN7rocprim17ROCPRIM_400000_NS6detail17trampoline_kernelINS0_14default_configENS1_25partition_config_selectorILNS1_17partition_subalgoE6EN6thrust23THRUST_200600_302600_NS5tupleIiiNS7_9null_typeES9_S9_S9_S9_S9_S9_S9_EENS0_10empty_typeEbEEZZNS1_14partition_implILS5_6ELb0ES3_mNS7_12zip_iteratorINS8_INS7_6detail15normal_iteratorINS7_10device_ptrIiEEEESJ_S9_S9_S9_S9_S9_S9_S9_S9_EEEEPSB_SM_NS0_5tupleIJNSE_INS8_ISJ_NS7_16discard_iteratorINS7_11use_defaultEEES9_S9_S9_S9_S9_S9_S9_S9_EEEESB_EEENSN_IJSM_SM_EEESB_PlJNSF_9not_fun_tINSF_14equal_to_valueISA_EEEEEEE10hipError_tPvRmT3_T4_T5_T6_T7_T9_mT8_P12ihipStream_tbDpT10_ENKUlT_T0_E_clISt17integral_constantIbLb1EES1I_IbLb0EEEEDaS1E_S1F_EUlS1E_E_NS1_11comp_targetILNS1_3genE4ELNS1_11target_archE910ELNS1_3gpuE8ELNS1_3repE0EEENS1_30default_config_static_selectorELNS0_4arch9wavefront6targetE0EEEvT1_
    .private_segment_fixed_size: 0
    .sgpr_count:     0
    .sgpr_spill_count: 0
    .symbol:         _ZN7rocprim17ROCPRIM_400000_NS6detail17trampoline_kernelINS0_14default_configENS1_25partition_config_selectorILNS1_17partition_subalgoE6EN6thrust23THRUST_200600_302600_NS5tupleIiiNS7_9null_typeES9_S9_S9_S9_S9_S9_S9_EENS0_10empty_typeEbEEZZNS1_14partition_implILS5_6ELb0ES3_mNS7_12zip_iteratorINS8_INS7_6detail15normal_iteratorINS7_10device_ptrIiEEEESJ_S9_S9_S9_S9_S9_S9_S9_S9_EEEEPSB_SM_NS0_5tupleIJNSE_INS8_ISJ_NS7_16discard_iteratorINS7_11use_defaultEEES9_S9_S9_S9_S9_S9_S9_S9_EEEESB_EEENSN_IJSM_SM_EEESB_PlJNSF_9not_fun_tINSF_14equal_to_valueISA_EEEEEEE10hipError_tPvRmT3_T4_T5_T6_T7_T9_mT8_P12ihipStream_tbDpT10_ENKUlT_T0_E_clISt17integral_constantIbLb1EES1I_IbLb0EEEEDaS1E_S1F_EUlS1E_E_NS1_11comp_targetILNS1_3genE4ELNS1_11target_archE910ELNS1_3gpuE8ELNS1_3repE0EEENS1_30default_config_static_selectorELNS0_4arch9wavefront6targetE0EEEvT1_.kd
    .uniform_work_group_size: 1
    .uses_dynamic_stack: false
    .vgpr_count:     0
    .vgpr_spill_count: 0
    .wavefront_size: 32
    .workgroup_processor_mode: 1
  - .args:
      - .offset:         0
        .size:           144
        .value_kind:     by_value
    .group_segment_fixed_size: 0
    .kernarg_segment_align: 8
    .kernarg_segment_size: 144
    .language:       OpenCL C
    .language_version:
      - 2
      - 0
    .max_flat_workgroup_size: 128
    .name:           _ZN7rocprim17ROCPRIM_400000_NS6detail17trampoline_kernelINS0_14default_configENS1_25partition_config_selectorILNS1_17partition_subalgoE6EN6thrust23THRUST_200600_302600_NS5tupleIiiNS7_9null_typeES9_S9_S9_S9_S9_S9_S9_EENS0_10empty_typeEbEEZZNS1_14partition_implILS5_6ELb0ES3_mNS7_12zip_iteratorINS8_INS7_6detail15normal_iteratorINS7_10device_ptrIiEEEESJ_S9_S9_S9_S9_S9_S9_S9_S9_EEEEPSB_SM_NS0_5tupleIJNSE_INS8_ISJ_NS7_16discard_iteratorINS7_11use_defaultEEES9_S9_S9_S9_S9_S9_S9_S9_EEEESB_EEENSN_IJSM_SM_EEESB_PlJNSF_9not_fun_tINSF_14equal_to_valueISA_EEEEEEE10hipError_tPvRmT3_T4_T5_T6_T7_T9_mT8_P12ihipStream_tbDpT10_ENKUlT_T0_E_clISt17integral_constantIbLb1EES1I_IbLb0EEEEDaS1E_S1F_EUlS1E_E_NS1_11comp_targetILNS1_3genE3ELNS1_11target_archE908ELNS1_3gpuE7ELNS1_3repE0EEENS1_30default_config_static_selectorELNS0_4arch9wavefront6targetE0EEEvT1_
    .private_segment_fixed_size: 0
    .sgpr_count:     0
    .sgpr_spill_count: 0
    .symbol:         _ZN7rocprim17ROCPRIM_400000_NS6detail17trampoline_kernelINS0_14default_configENS1_25partition_config_selectorILNS1_17partition_subalgoE6EN6thrust23THRUST_200600_302600_NS5tupleIiiNS7_9null_typeES9_S9_S9_S9_S9_S9_S9_EENS0_10empty_typeEbEEZZNS1_14partition_implILS5_6ELb0ES3_mNS7_12zip_iteratorINS8_INS7_6detail15normal_iteratorINS7_10device_ptrIiEEEESJ_S9_S9_S9_S9_S9_S9_S9_S9_EEEEPSB_SM_NS0_5tupleIJNSE_INS8_ISJ_NS7_16discard_iteratorINS7_11use_defaultEEES9_S9_S9_S9_S9_S9_S9_S9_EEEESB_EEENSN_IJSM_SM_EEESB_PlJNSF_9not_fun_tINSF_14equal_to_valueISA_EEEEEEE10hipError_tPvRmT3_T4_T5_T6_T7_T9_mT8_P12ihipStream_tbDpT10_ENKUlT_T0_E_clISt17integral_constantIbLb1EES1I_IbLb0EEEEDaS1E_S1F_EUlS1E_E_NS1_11comp_targetILNS1_3genE3ELNS1_11target_archE908ELNS1_3gpuE7ELNS1_3repE0EEENS1_30default_config_static_selectorELNS0_4arch9wavefront6targetE0EEEvT1_.kd
    .uniform_work_group_size: 1
    .uses_dynamic_stack: false
    .vgpr_count:     0
    .vgpr_spill_count: 0
    .wavefront_size: 32
    .workgroup_processor_mode: 1
  - .args:
      - .offset:         0
        .size:           144
        .value_kind:     by_value
    .group_segment_fixed_size: 0
    .kernarg_segment_align: 8
    .kernarg_segment_size: 144
    .language:       OpenCL C
    .language_version:
      - 2
      - 0
    .max_flat_workgroup_size: 256
    .name:           _ZN7rocprim17ROCPRIM_400000_NS6detail17trampoline_kernelINS0_14default_configENS1_25partition_config_selectorILNS1_17partition_subalgoE6EN6thrust23THRUST_200600_302600_NS5tupleIiiNS7_9null_typeES9_S9_S9_S9_S9_S9_S9_EENS0_10empty_typeEbEEZZNS1_14partition_implILS5_6ELb0ES3_mNS7_12zip_iteratorINS8_INS7_6detail15normal_iteratorINS7_10device_ptrIiEEEESJ_S9_S9_S9_S9_S9_S9_S9_S9_EEEEPSB_SM_NS0_5tupleIJNSE_INS8_ISJ_NS7_16discard_iteratorINS7_11use_defaultEEES9_S9_S9_S9_S9_S9_S9_S9_EEEESB_EEENSN_IJSM_SM_EEESB_PlJNSF_9not_fun_tINSF_14equal_to_valueISA_EEEEEEE10hipError_tPvRmT3_T4_T5_T6_T7_T9_mT8_P12ihipStream_tbDpT10_ENKUlT_T0_E_clISt17integral_constantIbLb1EES1I_IbLb0EEEEDaS1E_S1F_EUlS1E_E_NS1_11comp_targetILNS1_3genE2ELNS1_11target_archE906ELNS1_3gpuE6ELNS1_3repE0EEENS1_30default_config_static_selectorELNS0_4arch9wavefront6targetE0EEEvT1_
    .private_segment_fixed_size: 0
    .sgpr_count:     0
    .sgpr_spill_count: 0
    .symbol:         _ZN7rocprim17ROCPRIM_400000_NS6detail17trampoline_kernelINS0_14default_configENS1_25partition_config_selectorILNS1_17partition_subalgoE6EN6thrust23THRUST_200600_302600_NS5tupleIiiNS7_9null_typeES9_S9_S9_S9_S9_S9_S9_EENS0_10empty_typeEbEEZZNS1_14partition_implILS5_6ELb0ES3_mNS7_12zip_iteratorINS8_INS7_6detail15normal_iteratorINS7_10device_ptrIiEEEESJ_S9_S9_S9_S9_S9_S9_S9_S9_EEEEPSB_SM_NS0_5tupleIJNSE_INS8_ISJ_NS7_16discard_iteratorINS7_11use_defaultEEES9_S9_S9_S9_S9_S9_S9_S9_EEEESB_EEENSN_IJSM_SM_EEESB_PlJNSF_9not_fun_tINSF_14equal_to_valueISA_EEEEEEE10hipError_tPvRmT3_T4_T5_T6_T7_T9_mT8_P12ihipStream_tbDpT10_ENKUlT_T0_E_clISt17integral_constantIbLb1EES1I_IbLb0EEEEDaS1E_S1F_EUlS1E_E_NS1_11comp_targetILNS1_3genE2ELNS1_11target_archE906ELNS1_3gpuE6ELNS1_3repE0EEENS1_30default_config_static_selectorELNS0_4arch9wavefront6targetE0EEEvT1_.kd
    .uniform_work_group_size: 1
    .uses_dynamic_stack: false
    .vgpr_count:     0
    .vgpr_spill_count: 0
    .wavefront_size: 32
    .workgroup_processor_mode: 1
  - .args:
      - .offset:         0
        .size:           144
        .value_kind:     by_value
    .group_segment_fixed_size: 0
    .kernarg_segment_align: 8
    .kernarg_segment_size: 144
    .language:       OpenCL C
    .language_version:
      - 2
      - 0
    .max_flat_workgroup_size: 256
    .name:           _ZN7rocprim17ROCPRIM_400000_NS6detail17trampoline_kernelINS0_14default_configENS1_25partition_config_selectorILNS1_17partition_subalgoE6EN6thrust23THRUST_200600_302600_NS5tupleIiiNS7_9null_typeES9_S9_S9_S9_S9_S9_S9_EENS0_10empty_typeEbEEZZNS1_14partition_implILS5_6ELb0ES3_mNS7_12zip_iteratorINS8_INS7_6detail15normal_iteratorINS7_10device_ptrIiEEEESJ_S9_S9_S9_S9_S9_S9_S9_S9_EEEEPSB_SM_NS0_5tupleIJNSE_INS8_ISJ_NS7_16discard_iteratorINS7_11use_defaultEEES9_S9_S9_S9_S9_S9_S9_S9_EEEESB_EEENSN_IJSM_SM_EEESB_PlJNSF_9not_fun_tINSF_14equal_to_valueISA_EEEEEEE10hipError_tPvRmT3_T4_T5_T6_T7_T9_mT8_P12ihipStream_tbDpT10_ENKUlT_T0_E_clISt17integral_constantIbLb1EES1I_IbLb0EEEEDaS1E_S1F_EUlS1E_E_NS1_11comp_targetILNS1_3genE10ELNS1_11target_archE1200ELNS1_3gpuE4ELNS1_3repE0EEENS1_30default_config_static_selectorELNS0_4arch9wavefront6targetE0EEEvT1_
    .private_segment_fixed_size: 0
    .sgpr_count:     0
    .sgpr_spill_count: 0
    .symbol:         _ZN7rocprim17ROCPRIM_400000_NS6detail17trampoline_kernelINS0_14default_configENS1_25partition_config_selectorILNS1_17partition_subalgoE6EN6thrust23THRUST_200600_302600_NS5tupleIiiNS7_9null_typeES9_S9_S9_S9_S9_S9_S9_EENS0_10empty_typeEbEEZZNS1_14partition_implILS5_6ELb0ES3_mNS7_12zip_iteratorINS8_INS7_6detail15normal_iteratorINS7_10device_ptrIiEEEESJ_S9_S9_S9_S9_S9_S9_S9_S9_EEEEPSB_SM_NS0_5tupleIJNSE_INS8_ISJ_NS7_16discard_iteratorINS7_11use_defaultEEES9_S9_S9_S9_S9_S9_S9_S9_EEEESB_EEENSN_IJSM_SM_EEESB_PlJNSF_9not_fun_tINSF_14equal_to_valueISA_EEEEEEE10hipError_tPvRmT3_T4_T5_T6_T7_T9_mT8_P12ihipStream_tbDpT10_ENKUlT_T0_E_clISt17integral_constantIbLb1EES1I_IbLb0EEEEDaS1E_S1F_EUlS1E_E_NS1_11comp_targetILNS1_3genE10ELNS1_11target_archE1200ELNS1_3gpuE4ELNS1_3repE0EEENS1_30default_config_static_selectorELNS0_4arch9wavefront6targetE0EEEvT1_.kd
    .uniform_work_group_size: 1
    .uses_dynamic_stack: false
    .vgpr_count:     0
    .vgpr_spill_count: 0
    .wavefront_size: 32
    .workgroup_processor_mode: 1
  - .args:
      - .offset:         0
        .size:           144
        .value_kind:     by_value
    .group_segment_fixed_size: 0
    .kernarg_segment_align: 8
    .kernarg_segment_size: 144
    .language:       OpenCL C
    .language_version:
      - 2
      - 0
    .max_flat_workgroup_size: 384
    .name:           _ZN7rocprim17ROCPRIM_400000_NS6detail17trampoline_kernelINS0_14default_configENS1_25partition_config_selectorILNS1_17partition_subalgoE6EN6thrust23THRUST_200600_302600_NS5tupleIiiNS7_9null_typeES9_S9_S9_S9_S9_S9_S9_EENS0_10empty_typeEbEEZZNS1_14partition_implILS5_6ELb0ES3_mNS7_12zip_iteratorINS8_INS7_6detail15normal_iteratorINS7_10device_ptrIiEEEESJ_S9_S9_S9_S9_S9_S9_S9_S9_EEEEPSB_SM_NS0_5tupleIJNSE_INS8_ISJ_NS7_16discard_iteratorINS7_11use_defaultEEES9_S9_S9_S9_S9_S9_S9_S9_EEEESB_EEENSN_IJSM_SM_EEESB_PlJNSF_9not_fun_tINSF_14equal_to_valueISA_EEEEEEE10hipError_tPvRmT3_T4_T5_T6_T7_T9_mT8_P12ihipStream_tbDpT10_ENKUlT_T0_E_clISt17integral_constantIbLb1EES1I_IbLb0EEEEDaS1E_S1F_EUlS1E_E_NS1_11comp_targetILNS1_3genE9ELNS1_11target_archE1100ELNS1_3gpuE3ELNS1_3repE0EEENS1_30default_config_static_selectorELNS0_4arch9wavefront6targetE0EEEvT1_
    .private_segment_fixed_size: 0
    .sgpr_count:     0
    .sgpr_spill_count: 0
    .symbol:         _ZN7rocprim17ROCPRIM_400000_NS6detail17trampoline_kernelINS0_14default_configENS1_25partition_config_selectorILNS1_17partition_subalgoE6EN6thrust23THRUST_200600_302600_NS5tupleIiiNS7_9null_typeES9_S9_S9_S9_S9_S9_S9_EENS0_10empty_typeEbEEZZNS1_14partition_implILS5_6ELb0ES3_mNS7_12zip_iteratorINS8_INS7_6detail15normal_iteratorINS7_10device_ptrIiEEEESJ_S9_S9_S9_S9_S9_S9_S9_S9_EEEEPSB_SM_NS0_5tupleIJNSE_INS8_ISJ_NS7_16discard_iteratorINS7_11use_defaultEEES9_S9_S9_S9_S9_S9_S9_S9_EEEESB_EEENSN_IJSM_SM_EEESB_PlJNSF_9not_fun_tINSF_14equal_to_valueISA_EEEEEEE10hipError_tPvRmT3_T4_T5_T6_T7_T9_mT8_P12ihipStream_tbDpT10_ENKUlT_T0_E_clISt17integral_constantIbLb1EES1I_IbLb0EEEEDaS1E_S1F_EUlS1E_E_NS1_11comp_targetILNS1_3genE9ELNS1_11target_archE1100ELNS1_3gpuE3ELNS1_3repE0EEENS1_30default_config_static_selectorELNS0_4arch9wavefront6targetE0EEEvT1_.kd
    .uniform_work_group_size: 1
    .uses_dynamic_stack: false
    .vgpr_count:     0
    .vgpr_spill_count: 0
    .wavefront_size: 32
    .workgroup_processor_mode: 1
  - .args:
      - .offset:         0
        .size:           144
        .value_kind:     by_value
    .group_segment_fixed_size: 0
    .kernarg_segment_align: 8
    .kernarg_segment_size: 144
    .language:       OpenCL C
    .language_version:
      - 2
      - 0
    .max_flat_workgroup_size: 512
    .name:           _ZN7rocprim17ROCPRIM_400000_NS6detail17trampoline_kernelINS0_14default_configENS1_25partition_config_selectorILNS1_17partition_subalgoE6EN6thrust23THRUST_200600_302600_NS5tupleIiiNS7_9null_typeES9_S9_S9_S9_S9_S9_S9_EENS0_10empty_typeEbEEZZNS1_14partition_implILS5_6ELb0ES3_mNS7_12zip_iteratorINS8_INS7_6detail15normal_iteratorINS7_10device_ptrIiEEEESJ_S9_S9_S9_S9_S9_S9_S9_S9_EEEEPSB_SM_NS0_5tupleIJNSE_INS8_ISJ_NS7_16discard_iteratorINS7_11use_defaultEEES9_S9_S9_S9_S9_S9_S9_S9_EEEESB_EEENSN_IJSM_SM_EEESB_PlJNSF_9not_fun_tINSF_14equal_to_valueISA_EEEEEEE10hipError_tPvRmT3_T4_T5_T6_T7_T9_mT8_P12ihipStream_tbDpT10_ENKUlT_T0_E_clISt17integral_constantIbLb1EES1I_IbLb0EEEEDaS1E_S1F_EUlS1E_E_NS1_11comp_targetILNS1_3genE8ELNS1_11target_archE1030ELNS1_3gpuE2ELNS1_3repE0EEENS1_30default_config_static_selectorELNS0_4arch9wavefront6targetE0EEEvT1_
    .private_segment_fixed_size: 0
    .sgpr_count:     0
    .sgpr_spill_count: 0
    .symbol:         _ZN7rocprim17ROCPRIM_400000_NS6detail17trampoline_kernelINS0_14default_configENS1_25partition_config_selectorILNS1_17partition_subalgoE6EN6thrust23THRUST_200600_302600_NS5tupleIiiNS7_9null_typeES9_S9_S9_S9_S9_S9_S9_EENS0_10empty_typeEbEEZZNS1_14partition_implILS5_6ELb0ES3_mNS7_12zip_iteratorINS8_INS7_6detail15normal_iteratorINS7_10device_ptrIiEEEESJ_S9_S9_S9_S9_S9_S9_S9_S9_EEEEPSB_SM_NS0_5tupleIJNSE_INS8_ISJ_NS7_16discard_iteratorINS7_11use_defaultEEES9_S9_S9_S9_S9_S9_S9_S9_EEEESB_EEENSN_IJSM_SM_EEESB_PlJNSF_9not_fun_tINSF_14equal_to_valueISA_EEEEEEE10hipError_tPvRmT3_T4_T5_T6_T7_T9_mT8_P12ihipStream_tbDpT10_ENKUlT_T0_E_clISt17integral_constantIbLb1EES1I_IbLb0EEEEDaS1E_S1F_EUlS1E_E_NS1_11comp_targetILNS1_3genE8ELNS1_11target_archE1030ELNS1_3gpuE2ELNS1_3repE0EEENS1_30default_config_static_selectorELNS0_4arch9wavefront6targetE0EEEvT1_.kd
    .uniform_work_group_size: 1
    .uses_dynamic_stack: false
    .vgpr_count:     0
    .vgpr_spill_count: 0
    .wavefront_size: 32
    .workgroup_processor_mode: 1
  - .args:
      - .offset:         0
        .size:           152
        .value_kind:     by_value
    .group_segment_fixed_size: 0
    .kernarg_segment_align: 8
    .kernarg_segment_size: 152
    .language:       OpenCL C
    .language_version:
      - 2
      - 0
    .max_flat_workgroup_size: 128
    .name:           _ZN7rocprim17ROCPRIM_400000_NS6detail17trampoline_kernelINS0_14default_configENS1_25partition_config_selectorILNS1_17partition_subalgoE6EN6thrust23THRUST_200600_302600_NS5tupleIiiNS7_9null_typeES9_S9_S9_S9_S9_S9_S9_EENS0_10empty_typeEbEEZZNS1_14partition_implILS5_6ELb0ES3_mNS7_12zip_iteratorINS8_INS7_6detail15normal_iteratorINS7_10device_ptrIiEEEESJ_S9_S9_S9_S9_S9_S9_S9_S9_EEEEPSB_SM_NS0_5tupleIJNSE_INS8_ISJ_NS7_16discard_iteratorINS7_11use_defaultEEES9_S9_S9_S9_S9_S9_S9_S9_EEEESB_EEENSN_IJSM_SM_EEESB_PlJNSF_9not_fun_tINSF_14equal_to_valueISA_EEEEEEE10hipError_tPvRmT3_T4_T5_T6_T7_T9_mT8_P12ihipStream_tbDpT10_ENKUlT_T0_E_clISt17integral_constantIbLb0EES1I_IbLb1EEEEDaS1E_S1F_EUlS1E_E_NS1_11comp_targetILNS1_3genE0ELNS1_11target_archE4294967295ELNS1_3gpuE0ELNS1_3repE0EEENS1_30default_config_static_selectorELNS0_4arch9wavefront6targetE0EEEvT1_
    .private_segment_fixed_size: 0
    .sgpr_count:     0
    .sgpr_spill_count: 0
    .symbol:         _ZN7rocprim17ROCPRIM_400000_NS6detail17trampoline_kernelINS0_14default_configENS1_25partition_config_selectorILNS1_17partition_subalgoE6EN6thrust23THRUST_200600_302600_NS5tupleIiiNS7_9null_typeES9_S9_S9_S9_S9_S9_S9_EENS0_10empty_typeEbEEZZNS1_14partition_implILS5_6ELb0ES3_mNS7_12zip_iteratorINS8_INS7_6detail15normal_iteratorINS7_10device_ptrIiEEEESJ_S9_S9_S9_S9_S9_S9_S9_S9_EEEEPSB_SM_NS0_5tupleIJNSE_INS8_ISJ_NS7_16discard_iteratorINS7_11use_defaultEEES9_S9_S9_S9_S9_S9_S9_S9_EEEESB_EEENSN_IJSM_SM_EEESB_PlJNSF_9not_fun_tINSF_14equal_to_valueISA_EEEEEEE10hipError_tPvRmT3_T4_T5_T6_T7_T9_mT8_P12ihipStream_tbDpT10_ENKUlT_T0_E_clISt17integral_constantIbLb0EES1I_IbLb1EEEEDaS1E_S1F_EUlS1E_E_NS1_11comp_targetILNS1_3genE0ELNS1_11target_archE4294967295ELNS1_3gpuE0ELNS1_3repE0EEENS1_30default_config_static_selectorELNS0_4arch9wavefront6targetE0EEEvT1_.kd
    .uniform_work_group_size: 1
    .uses_dynamic_stack: false
    .vgpr_count:     0
    .vgpr_spill_count: 0
    .wavefront_size: 32
    .workgroup_processor_mode: 1
  - .args:
      - .offset:         0
        .size:           152
        .value_kind:     by_value
    .group_segment_fixed_size: 0
    .kernarg_segment_align: 8
    .kernarg_segment_size: 152
    .language:       OpenCL C
    .language_version:
      - 2
      - 0
    .max_flat_workgroup_size: 512
    .name:           _ZN7rocprim17ROCPRIM_400000_NS6detail17trampoline_kernelINS0_14default_configENS1_25partition_config_selectorILNS1_17partition_subalgoE6EN6thrust23THRUST_200600_302600_NS5tupleIiiNS7_9null_typeES9_S9_S9_S9_S9_S9_S9_EENS0_10empty_typeEbEEZZNS1_14partition_implILS5_6ELb0ES3_mNS7_12zip_iteratorINS8_INS7_6detail15normal_iteratorINS7_10device_ptrIiEEEESJ_S9_S9_S9_S9_S9_S9_S9_S9_EEEEPSB_SM_NS0_5tupleIJNSE_INS8_ISJ_NS7_16discard_iteratorINS7_11use_defaultEEES9_S9_S9_S9_S9_S9_S9_S9_EEEESB_EEENSN_IJSM_SM_EEESB_PlJNSF_9not_fun_tINSF_14equal_to_valueISA_EEEEEEE10hipError_tPvRmT3_T4_T5_T6_T7_T9_mT8_P12ihipStream_tbDpT10_ENKUlT_T0_E_clISt17integral_constantIbLb0EES1I_IbLb1EEEEDaS1E_S1F_EUlS1E_E_NS1_11comp_targetILNS1_3genE5ELNS1_11target_archE942ELNS1_3gpuE9ELNS1_3repE0EEENS1_30default_config_static_selectorELNS0_4arch9wavefront6targetE0EEEvT1_
    .private_segment_fixed_size: 0
    .sgpr_count:     0
    .sgpr_spill_count: 0
    .symbol:         _ZN7rocprim17ROCPRIM_400000_NS6detail17trampoline_kernelINS0_14default_configENS1_25partition_config_selectorILNS1_17partition_subalgoE6EN6thrust23THRUST_200600_302600_NS5tupleIiiNS7_9null_typeES9_S9_S9_S9_S9_S9_S9_EENS0_10empty_typeEbEEZZNS1_14partition_implILS5_6ELb0ES3_mNS7_12zip_iteratorINS8_INS7_6detail15normal_iteratorINS7_10device_ptrIiEEEESJ_S9_S9_S9_S9_S9_S9_S9_S9_EEEEPSB_SM_NS0_5tupleIJNSE_INS8_ISJ_NS7_16discard_iteratorINS7_11use_defaultEEES9_S9_S9_S9_S9_S9_S9_S9_EEEESB_EEENSN_IJSM_SM_EEESB_PlJNSF_9not_fun_tINSF_14equal_to_valueISA_EEEEEEE10hipError_tPvRmT3_T4_T5_T6_T7_T9_mT8_P12ihipStream_tbDpT10_ENKUlT_T0_E_clISt17integral_constantIbLb0EES1I_IbLb1EEEEDaS1E_S1F_EUlS1E_E_NS1_11comp_targetILNS1_3genE5ELNS1_11target_archE942ELNS1_3gpuE9ELNS1_3repE0EEENS1_30default_config_static_selectorELNS0_4arch9wavefront6targetE0EEEvT1_.kd
    .uniform_work_group_size: 1
    .uses_dynamic_stack: false
    .vgpr_count:     0
    .vgpr_spill_count: 0
    .wavefront_size: 32
    .workgroup_processor_mode: 1
  - .args:
      - .offset:         0
        .size:           152
        .value_kind:     by_value
    .group_segment_fixed_size: 0
    .kernarg_segment_align: 8
    .kernarg_segment_size: 152
    .language:       OpenCL C
    .language_version:
      - 2
      - 0
    .max_flat_workgroup_size: 512
    .name:           _ZN7rocprim17ROCPRIM_400000_NS6detail17trampoline_kernelINS0_14default_configENS1_25partition_config_selectorILNS1_17partition_subalgoE6EN6thrust23THRUST_200600_302600_NS5tupleIiiNS7_9null_typeES9_S9_S9_S9_S9_S9_S9_EENS0_10empty_typeEbEEZZNS1_14partition_implILS5_6ELb0ES3_mNS7_12zip_iteratorINS8_INS7_6detail15normal_iteratorINS7_10device_ptrIiEEEESJ_S9_S9_S9_S9_S9_S9_S9_S9_EEEEPSB_SM_NS0_5tupleIJNSE_INS8_ISJ_NS7_16discard_iteratorINS7_11use_defaultEEES9_S9_S9_S9_S9_S9_S9_S9_EEEESB_EEENSN_IJSM_SM_EEESB_PlJNSF_9not_fun_tINSF_14equal_to_valueISA_EEEEEEE10hipError_tPvRmT3_T4_T5_T6_T7_T9_mT8_P12ihipStream_tbDpT10_ENKUlT_T0_E_clISt17integral_constantIbLb0EES1I_IbLb1EEEEDaS1E_S1F_EUlS1E_E_NS1_11comp_targetILNS1_3genE4ELNS1_11target_archE910ELNS1_3gpuE8ELNS1_3repE0EEENS1_30default_config_static_selectorELNS0_4arch9wavefront6targetE0EEEvT1_
    .private_segment_fixed_size: 0
    .sgpr_count:     0
    .sgpr_spill_count: 0
    .symbol:         _ZN7rocprim17ROCPRIM_400000_NS6detail17trampoline_kernelINS0_14default_configENS1_25partition_config_selectorILNS1_17partition_subalgoE6EN6thrust23THRUST_200600_302600_NS5tupleIiiNS7_9null_typeES9_S9_S9_S9_S9_S9_S9_EENS0_10empty_typeEbEEZZNS1_14partition_implILS5_6ELb0ES3_mNS7_12zip_iteratorINS8_INS7_6detail15normal_iteratorINS7_10device_ptrIiEEEESJ_S9_S9_S9_S9_S9_S9_S9_S9_EEEEPSB_SM_NS0_5tupleIJNSE_INS8_ISJ_NS7_16discard_iteratorINS7_11use_defaultEEES9_S9_S9_S9_S9_S9_S9_S9_EEEESB_EEENSN_IJSM_SM_EEESB_PlJNSF_9not_fun_tINSF_14equal_to_valueISA_EEEEEEE10hipError_tPvRmT3_T4_T5_T6_T7_T9_mT8_P12ihipStream_tbDpT10_ENKUlT_T0_E_clISt17integral_constantIbLb0EES1I_IbLb1EEEEDaS1E_S1F_EUlS1E_E_NS1_11comp_targetILNS1_3genE4ELNS1_11target_archE910ELNS1_3gpuE8ELNS1_3repE0EEENS1_30default_config_static_selectorELNS0_4arch9wavefront6targetE0EEEvT1_.kd
    .uniform_work_group_size: 1
    .uses_dynamic_stack: false
    .vgpr_count:     0
    .vgpr_spill_count: 0
    .wavefront_size: 32
    .workgroup_processor_mode: 1
  - .args:
      - .offset:         0
        .size:           152
        .value_kind:     by_value
    .group_segment_fixed_size: 0
    .kernarg_segment_align: 8
    .kernarg_segment_size: 152
    .language:       OpenCL C
    .language_version:
      - 2
      - 0
    .max_flat_workgroup_size: 128
    .name:           _ZN7rocprim17ROCPRIM_400000_NS6detail17trampoline_kernelINS0_14default_configENS1_25partition_config_selectorILNS1_17partition_subalgoE6EN6thrust23THRUST_200600_302600_NS5tupleIiiNS7_9null_typeES9_S9_S9_S9_S9_S9_S9_EENS0_10empty_typeEbEEZZNS1_14partition_implILS5_6ELb0ES3_mNS7_12zip_iteratorINS8_INS7_6detail15normal_iteratorINS7_10device_ptrIiEEEESJ_S9_S9_S9_S9_S9_S9_S9_S9_EEEEPSB_SM_NS0_5tupleIJNSE_INS8_ISJ_NS7_16discard_iteratorINS7_11use_defaultEEES9_S9_S9_S9_S9_S9_S9_S9_EEEESB_EEENSN_IJSM_SM_EEESB_PlJNSF_9not_fun_tINSF_14equal_to_valueISA_EEEEEEE10hipError_tPvRmT3_T4_T5_T6_T7_T9_mT8_P12ihipStream_tbDpT10_ENKUlT_T0_E_clISt17integral_constantIbLb0EES1I_IbLb1EEEEDaS1E_S1F_EUlS1E_E_NS1_11comp_targetILNS1_3genE3ELNS1_11target_archE908ELNS1_3gpuE7ELNS1_3repE0EEENS1_30default_config_static_selectorELNS0_4arch9wavefront6targetE0EEEvT1_
    .private_segment_fixed_size: 0
    .sgpr_count:     0
    .sgpr_spill_count: 0
    .symbol:         _ZN7rocprim17ROCPRIM_400000_NS6detail17trampoline_kernelINS0_14default_configENS1_25partition_config_selectorILNS1_17partition_subalgoE6EN6thrust23THRUST_200600_302600_NS5tupleIiiNS7_9null_typeES9_S9_S9_S9_S9_S9_S9_EENS0_10empty_typeEbEEZZNS1_14partition_implILS5_6ELb0ES3_mNS7_12zip_iteratorINS8_INS7_6detail15normal_iteratorINS7_10device_ptrIiEEEESJ_S9_S9_S9_S9_S9_S9_S9_S9_EEEEPSB_SM_NS0_5tupleIJNSE_INS8_ISJ_NS7_16discard_iteratorINS7_11use_defaultEEES9_S9_S9_S9_S9_S9_S9_S9_EEEESB_EEENSN_IJSM_SM_EEESB_PlJNSF_9not_fun_tINSF_14equal_to_valueISA_EEEEEEE10hipError_tPvRmT3_T4_T5_T6_T7_T9_mT8_P12ihipStream_tbDpT10_ENKUlT_T0_E_clISt17integral_constantIbLb0EES1I_IbLb1EEEEDaS1E_S1F_EUlS1E_E_NS1_11comp_targetILNS1_3genE3ELNS1_11target_archE908ELNS1_3gpuE7ELNS1_3repE0EEENS1_30default_config_static_selectorELNS0_4arch9wavefront6targetE0EEEvT1_.kd
    .uniform_work_group_size: 1
    .uses_dynamic_stack: false
    .vgpr_count:     0
    .vgpr_spill_count: 0
    .wavefront_size: 32
    .workgroup_processor_mode: 1
  - .args:
      - .offset:         0
        .size:           152
        .value_kind:     by_value
    .group_segment_fixed_size: 0
    .kernarg_segment_align: 8
    .kernarg_segment_size: 152
    .language:       OpenCL C
    .language_version:
      - 2
      - 0
    .max_flat_workgroup_size: 256
    .name:           _ZN7rocprim17ROCPRIM_400000_NS6detail17trampoline_kernelINS0_14default_configENS1_25partition_config_selectorILNS1_17partition_subalgoE6EN6thrust23THRUST_200600_302600_NS5tupleIiiNS7_9null_typeES9_S9_S9_S9_S9_S9_S9_EENS0_10empty_typeEbEEZZNS1_14partition_implILS5_6ELb0ES3_mNS7_12zip_iteratorINS8_INS7_6detail15normal_iteratorINS7_10device_ptrIiEEEESJ_S9_S9_S9_S9_S9_S9_S9_S9_EEEEPSB_SM_NS0_5tupleIJNSE_INS8_ISJ_NS7_16discard_iteratorINS7_11use_defaultEEES9_S9_S9_S9_S9_S9_S9_S9_EEEESB_EEENSN_IJSM_SM_EEESB_PlJNSF_9not_fun_tINSF_14equal_to_valueISA_EEEEEEE10hipError_tPvRmT3_T4_T5_T6_T7_T9_mT8_P12ihipStream_tbDpT10_ENKUlT_T0_E_clISt17integral_constantIbLb0EES1I_IbLb1EEEEDaS1E_S1F_EUlS1E_E_NS1_11comp_targetILNS1_3genE2ELNS1_11target_archE906ELNS1_3gpuE6ELNS1_3repE0EEENS1_30default_config_static_selectorELNS0_4arch9wavefront6targetE0EEEvT1_
    .private_segment_fixed_size: 0
    .sgpr_count:     0
    .sgpr_spill_count: 0
    .symbol:         _ZN7rocprim17ROCPRIM_400000_NS6detail17trampoline_kernelINS0_14default_configENS1_25partition_config_selectorILNS1_17partition_subalgoE6EN6thrust23THRUST_200600_302600_NS5tupleIiiNS7_9null_typeES9_S9_S9_S9_S9_S9_S9_EENS0_10empty_typeEbEEZZNS1_14partition_implILS5_6ELb0ES3_mNS7_12zip_iteratorINS8_INS7_6detail15normal_iteratorINS7_10device_ptrIiEEEESJ_S9_S9_S9_S9_S9_S9_S9_S9_EEEEPSB_SM_NS0_5tupleIJNSE_INS8_ISJ_NS7_16discard_iteratorINS7_11use_defaultEEES9_S9_S9_S9_S9_S9_S9_S9_EEEESB_EEENSN_IJSM_SM_EEESB_PlJNSF_9not_fun_tINSF_14equal_to_valueISA_EEEEEEE10hipError_tPvRmT3_T4_T5_T6_T7_T9_mT8_P12ihipStream_tbDpT10_ENKUlT_T0_E_clISt17integral_constantIbLb0EES1I_IbLb1EEEEDaS1E_S1F_EUlS1E_E_NS1_11comp_targetILNS1_3genE2ELNS1_11target_archE906ELNS1_3gpuE6ELNS1_3repE0EEENS1_30default_config_static_selectorELNS0_4arch9wavefront6targetE0EEEvT1_.kd
    .uniform_work_group_size: 1
    .uses_dynamic_stack: false
    .vgpr_count:     0
    .vgpr_spill_count: 0
    .wavefront_size: 32
    .workgroup_processor_mode: 1
  - .args:
      - .offset:         0
        .size:           152
        .value_kind:     by_value
    .group_segment_fixed_size: 8464
    .kernarg_segment_align: 8
    .kernarg_segment_size: 152
    .language:       OpenCL C
    .language_version:
      - 2
      - 0
    .max_flat_workgroup_size: 256
    .name:           _ZN7rocprim17ROCPRIM_400000_NS6detail17trampoline_kernelINS0_14default_configENS1_25partition_config_selectorILNS1_17partition_subalgoE6EN6thrust23THRUST_200600_302600_NS5tupleIiiNS7_9null_typeES9_S9_S9_S9_S9_S9_S9_EENS0_10empty_typeEbEEZZNS1_14partition_implILS5_6ELb0ES3_mNS7_12zip_iteratorINS8_INS7_6detail15normal_iteratorINS7_10device_ptrIiEEEESJ_S9_S9_S9_S9_S9_S9_S9_S9_EEEEPSB_SM_NS0_5tupleIJNSE_INS8_ISJ_NS7_16discard_iteratorINS7_11use_defaultEEES9_S9_S9_S9_S9_S9_S9_S9_EEEESB_EEENSN_IJSM_SM_EEESB_PlJNSF_9not_fun_tINSF_14equal_to_valueISA_EEEEEEE10hipError_tPvRmT3_T4_T5_T6_T7_T9_mT8_P12ihipStream_tbDpT10_ENKUlT_T0_E_clISt17integral_constantIbLb0EES1I_IbLb1EEEEDaS1E_S1F_EUlS1E_E_NS1_11comp_targetILNS1_3genE10ELNS1_11target_archE1200ELNS1_3gpuE4ELNS1_3repE0EEENS1_30default_config_static_selectorELNS0_4arch9wavefront6targetE0EEEvT1_
    .private_segment_fixed_size: 0
    .sgpr_count:     28
    .sgpr_spill_count: 0
    .symbol:         _ZN7rocprim17ROCPRIM_400000_NS6detail17trampoline_kernelINS0_14default_configENS1_25partition_config_selectorILNS1_17partition_subalgoE6EN6thrust23THRUST_200600_302600_NS5tupleIiiNS7_9null_typeES9_S9_S9_S9_S9_S9_S9_EENS0_10empty_typeEbEEZZNS1_14partition_implILS5_6ELb0ES3_mNS7_12zip_iteratorINS8_INS7_6detail15normal_iteratorINS7_10device_ptrIiEEEESJ_S9_S9_S9_S9_S9_S9_S9_S9_EEEEPSB_SM_NS0_5tupleIJNSE_INS8_ISJ_NS7_16discard_iteratorINS7_11use_defaultEEES9_S9_S9_S9_S9_S9_S9_S9_EEEESB_EEENSN_IJSM_SM_EEESB_PlJNSF_9not_fun_tINSF_14equal_to_valueISA_EEEEEEE10hipError_tPvRmT3_T4_T5_T6_T7_T9_mT8_P12ihipStream_tbDpT10_ENKUlT_T0_E_clISt17integral_constantIbLb0EES1I_IbLb1EEEEDaS1E_S1F_EUlS1E_E_NS1_11comp_targetILNS1_3genE10ELNS1_11target_archE1200ELNS1_3gpuE4ELNS1_3repE0EEENS1_30default_config_static_selectorELNS0_4arch9wavefront6targetE0EEEvT1_.kd
    .uniform_work_group_size: 1
    .uses_dynamic_stack: false
    .vgpr_count:     48
    .vgpr_spill_count: 0
    .wavefront_size: 32
    .workgroup_processor_mode: 1
  - .args:
      - .offset:         0
        .size:           152
        .value_kind:     by_value
    .group_segment_fixed_size: 0
    .kernarg_segment_align: 8
    .kernarg_segment_size: 152
    .language:       OpenCL C
    .language_version:
      - 2
      - 0
    .max_flat_workgroup_size: 384
    .name:           _ZN7rocprim17ROCPRIM_400000_NS6detail17trampoline_kernelINS0_14default_configENS1_25partition_config_selectorILNS1_17partition_subalgoE6EN6thrust23THRUST_200600_302600_NS5tupleIiiNS7_9null_typeES9_S9_S9_S9_S9_S9_S9_EENS0_10empty_typeEbEEZZNS1_14partition_implILS5_6ELb0ES3_mNS7_12zip_iteratorINS8_INS7_6detail15normal_iteratorINS7_10device_ptrIiEEEESJ_S9_S9_S9_S9_S9_S9_S9_S9_EEEEPSB_SM_NS0_5tupleIJNSE_INS8_ISJ_NS7_16discard_iteratorINS7_11use_defaultEEES9_S9_S9_S9_S9_S9_S9_S9_EEEESB_EEENSN_IJSM_SM_EEESB_PlJNSF_9not_fun_tINSF_14equal_to_valueISA_EEEEEEE10hipError_tPvRmT3_T4_T5_T6_T7_T9_mT8_P12ihipStream_tbDpT10_ENKUlT_T0_E_clISt17integral_constantIbLb0EES1I_IbLb1EEEEDaS1E_S1F_EUlS1E_E_NS1_11comp_targetILNS1_3genE9ELNS1_11target_archE1100ELNS1_3gpuE3ELNS1_3repE0EEENS1_30default_config_static_selectorELNS0_4arch9wavefront6targetE0EEEvT1_
    .private_segment_fixed_size: 0
    .sgpr_count:     0
    .sgpr_spill_count: 0
    .symbol:         _ZN7rocprim17ROCPRIM_400000_NS6detail17trampoline_kernelINS0_14default_configENS1_25partition_config_selectorILNS1_17partition_subalgoE6EN6thrust23THRUST_200600_302600_NS5tupleIiiNS7_9null_typeES9_S9_S9_S9_S9_S9_S9_EENS0_10empty_typeEbEEZZNS1_14partition_implILS5_6ELb0ES3_mNS7_12zip_iteratorINS8_INS7_6detail15normal_iteratorINS7_10device_ptrIiEEEESJ_S9_S9_S9_S9_S9_S9_S9_S9_EEEEPSB_SM_NS0_5tupleIJNSE_INS8_ISJ_NS7_16discard_iteratorINS7_11use_defaultEEES9_S9_S9_S9_S9_S9_S9_S9_EEEESB_EEENSN_IJSM_SM_EEESB_PlJNSF_9not_fun_tINSF_14equal_to_valueISA_EEEEEEE10hipError_tPvRmT3_T4_T5_T6_T7_T9_mT8_P12ihipStream_tbDpT10_ENKUlT_T0_E_clISt17integral_constantIbLb0EES1I_IbLb1EEEEDaS1E_S1F_EUlS1E_E_NS1_11comp_targetILNS1_3genE9ELNS1_11target_archE1100ELNS1_3gpuE3ELNS1_3repE0EEENS1_30default_config_static_selectorELNS0_4arch9wavefront6targetE0EEEvT1_.kd
    .uniform_work_group_size: 1
    .uses_dynamic_stack: false
    .vgpr_count:     0
    .vgpr_spill_count: 0
    .wavefront_size: 32
    .workgroup_processor_mode: 1
  - .args:
      - .offset:         0
        .size:           152
        .value_kind:     by_value
    .group_segment_fixed_size: 0
    .kernarg_segment_align: 8
    .kernarg_segment_size: 152
    .language:       OpenCL C
    .language_version:
      - 2
      - 0
    .max_flat_workgroup_size: 512
    .name:           _ZN7rocprim17ROCPRIM_400000_NS6detail17trampoline_kernelINS0_14default_configENS1_25partition_config_selectorILNS1_17partition_subalgoE6EN6thrust23THRUST_200600_302600_NS5tupleIiiNS7_9null_typeES9_S9_S9_S9_S9_S9_S9_EENS0_10empty_typeEbEEZZNS1_14partition_implILS5_6ELb0ES3_mNS7_12zip_iteratorINS8_INS7_6detail15normal_iteratorINS7_10device_ptrIiEEEESJ_S9_S9_S9_S9_S9_S9_S9_S9_EEEEPSB_SM_NS0_5tupleIJNSE_INS8_ISJ_NS7_16discard_iteratorINS7_11use_defaultEEES9_S9_S9_S9_S9_S9_S9_S9_EEEESB_EEENSN_IJSM_SM_EEESB_PlJNSF_9not_fun_tINSF_14equal_to_valueISA_EEEEEEE10hipError_tPvRmT3_T4_T5_T6_T7_T9_mT8_P12ihipStream_tbDpT10_ENKUlT_T0_E_clISt17integral_constantIbLb0EES1I_IbLb1EEEEDaS1E_S1F_EUlS1E_E_NS1_11comp_targetILNS1_3genE8ELNS1_11target_archE1030ELNS1_3gpuE2ELNS1_3repE0EEENS1_30default_config_static_selectorELNS0_4arch9wavefront6targetE0EEEvT1_
    .private_segment_fixed_size: 0
    .sgpr_count:     0
    .sgpr_spill_count: 0
    .symbol:         _ZN7rocprim17ROCPRIM_400000_NS6detail17trampoline_kernelINS0_14default_configENS1_25partition_config_selectorILNS1_17partition_subalgoE6EN6thrust23THRUST_200600_302600_NS5tupleIiiNS7_9null_typeES9_S9_S9_S9_S9_S9_S9_EENS0_10empty_typeEbEEZZNS1_14partition_implILS5_6ELb0ES3_mNS7_12zip_iteratorINS8_INS7_6detail15normal_iteratorINS7_10device_ptrIiEEEESJ_S9_S9_S9_S9_S9_S9_S9_S9_EEEEPSB_SM_NS0_5tupleIJNSE_INS8_ISJ_NS7_16discard_iteratorINS7_11use_defaultEEES9_S9_S9_S9_S9_S9_S9_S9_EEEESB_EEENSN_IJSM_SM_EEESB_PlJNSF_9not_fun_tINSF_14equal_to_valueISA_EEEEEEE10hipError_tPvRmT3_T4_T5_T6_T7_T9_mT8_P12ihipStream_tbDpT10_ENKUlT_T0_E_clISt17integral_constantIbLb0EES1I_IbLb1EEEEDaS1E_S1F_EUlS1E_E_NS1_11comp_targetILNS1_3genE8ELNS1_11target_archE1030ELNS1_3gpuE2ELNS1_3repE0EEENS1_30default_config_static_selectorELNS0_4arch9wavefront6targetE0EEEvT1_.kd
    .uniform_work_group_size: 1
    .uses_dynamic_stack: false
    .vgpr_count:     0
    .vgpr_spill_count: 0
    .wavefront_size: 32
    .workgroup_processor_mode: 1
  - .args:
      - .offset:         0
        .size:           144
        .value_kind:     by_value
    .group_segment_fixed_size: 0
    .kernarg_segment_align: 8
    .kernarg_segment_size: 144
    .language:       OpenCL C
    .language_version:
      - 2
      - 0
    .max_flat_workgroup_size: 256
    .name:           _ZN7rocprim17ROCPRIM_400000_NS6detail17trampoline_kernelINS0_14default_configENS1_25partition_config_selectorILNS1_17partition_subalgoE6EN6thrust23THRUST_200600_302600_NS5tupleIssNS7_9null_typeES9_S9_S9_S9_S9_S9_S9_EENS0_10empty_typeEbEEZZNS1_14partition_implILS5_6ELb0ES3_mNS7_12zip_iteratorINS8_INS7_6detail15normal_iteratorINS7_10device_ptrIsEEEESJ_S9_S9_S9_S9_S9_S9_S9_S9_EEEEPSB_SM_NS0_5tupleIJNSE_INS8_ISJ_NS7_16discard_iteratorINS7_11use_defaultEEES9_S9_S9_S9_S9_S9_S9_S9_EEEESB_EEENSN_IJSM_SM_EEESB_PlJNSF_9not_fun_tINSF_14equal_to_valueISA_EEEEEEE10hipError_tPvRmT3_T4_T5_T6_T7_T9_mT8_P12ihipStream_tbDpT10_ENKUlT_T0_E_clISt17integral_constantIbLb0EES1J_EEDaS1E_S1F_EUlS1E_E_NS1_11comp_targetILNS1_3genE0ELNS1_11target_archE4294967295ELNS1_3gpuE0ELNS1_3repE0EEENS1_30default_config_static_selectorELNS0_4arch9wavefront6targetE0EEEvT1_
    .private_segment_fixed_size: 0
    .sgpr_count:     0
    .sgpr_spill_count: 0
    .symbol:         _ZN7rocprim17ROCPRIM_400000_NS6detail17trampoline_kernelINS0_14default_configENS1_25partition_config_selectorILNS1_17partition_subalgoE6EN6thrust23THRUST_200600_302600_NS5tupleIssNS7_9null_typeES9_S9_S9_S9_S9_S9_S9_EENS0_10empty_typeEbEEZZNS1_14partition_implILS5_6ELb0ES3_mNS7_12zip_iteratorINS8_INS7_6detail15normal_iteratorINS7_10device_ptrIsEEEESJ_S9_S9_S9_S9_S9_S9_S9_S9_EEEEPSB_SM_NS0_5tupleIJNSE_INS8_ISJ_NS7_16discard_iteratorINS7_11use_defaultEEES9_S9_S9_S9_S9_S9_S9_S9_EEEESB_EEENSN_IJSM_SM_EEESB_PlJNSF_9not_fun_tINSF_14equal_to_valueISA_EEEEEEE10hipError_tPvRmT3_T4_T5_T6_T7_T9_mT8_P12ihipStream_tbDpT10_ENKUlT_T0_E_clISt17integral_constantIbLb0EES1J_EEDaS1E_S1F_EUlS1E_E_NS1_11comp_targetILNS1_3genE0ELNS1_11target_archE4294967295ELNS1_3gpuE0ELNS1_3repE0EEENS1_30default_config_static_selectorELNS0_4arch9wavefront6targetE0EEEvT1_.kd
    .uniform_work_group_size: 1
    .uses_dynamic_stack: false
    .vgpr_count:     0
    .vgpr_spill_count: 0
    .wavefront_size: 32
    .workgroup_processor_mode: 1
  - .args:
      - .offset:         0
        .size:           144
        .value_kind:     by_value
    .group_segment_fixed_size: 0
    .kernarg_segment_align: 8
    .kernarg_segment_size: 144
    .language:       OpenCL C
    .language_version:
      - 2
      - 0
    .max_flat_workgroup_size: 512
    .name:           _ZN7rocprim17ROCPRIM_400000_NS6detail17trampoline_kernelINS0_14default_configENS1_25partition_config_selectorILNS1_17partition_subalgoE6EN6thrust23THRUST_200600_302600_NS5tupleIssNS7_9null_typeES9_S9_S9_S9_S9_S9_S9_EENS0_10empty_typeEbEEZZNS1_14partition_implILS5_6ELb0ES3_mNS7_12zip_iteratorINS8_INS7_6detail15normal_iteratorINS7_10device_ptrIsEEEESJ_S9_S9_S9_S9_S9_S9_S9_S9_EEEEPSB_SM_NS0_5tupleIJNSE_INS8_ISJ_NS7_16discard_iteratorINS7_11use_defaultEEES9_S9_S9_S9_S9_S9_S9_S9_EEEESB_EEENSN_IJSM_SM_EEESB_PlJNSF_9not_fun_tINSF_14equal_to_valueISA_EEEEEEE10hipError_tPvRmT3_T4_T5_T6_T7_T9_mT8_P12ihipStream_tbDpT10_ENKUlT_T0_E_clISt17integral_constantIbLb0EES1J_EEDaS1E_S1F_EUlS1E_E_NS1_11comp_targetILNS1_3genE5ELNS1_11target_archE942ELNS1_3gpuE9ELNS1_3repE0EEENS1_30default_config_static_selectorELNS0_4arch9wavefront6targetE0EEEvT1_
    .private_segment_fixed_size: 0
    .sgpr_count:     0
    .sgpr_spill_count: 0
    .symbol:         _ZN7rocprim17ROCPRIM_400000_NS6detail17trampoline_kernelINS0_14default_configENS1_25partition_config_selectorILNS1_17partition_subalgoE6EN6thrust23THRUST_200600_302600_NS5tupleIssNS7_9null_typeES9_S9_S9_S9_S9_S9_S9_EENS0_10empty_typeEbEEZZNS1_14partition_implILS5_6ELb0ES3_mNS7_12zip_iteratorINS8_INS7_6detail15normal_iteratorINS7_10device_ptrIsEEEESJ_S9_S9_S9_S9_S9_S9_S9_S9_EEEEPSB_SM_NS0_5tupleIJNSE_INS8_ISJ_NS7_16discard_iteratorINS7_11use_defaultEEES9_S9_S9_S9_S9_S9_S9_S9_EEEESB_EEENSN_IJSM_SM_EEESB_PlJNSF_9not_fun_tINSF_14equal_to_valueISA_EEEEEEE10hipError_tPvRmT3_T4_T5_T6_T7_T9_mT8_P12ihipStream_tbDpT10_ENKUlT_T0_E_clISt17integral_constantIbLb0EES1J_EEDaS1E_S1F_EUlS1E_E_NS1_11comp_targetILNS1_3genE5ELNS1_11target_archE942ELNS1_3gpuE9ELNS1_3repE0EEENS1_30default_config_static_selectorELNS0_4arch9wavefront6targetE0EEEvT1_.kd
    .uniform_work_group_size: 1
    .uses_dynamic_stack: false
    .vgpr_count:     0
    .vgpr_spill_count: 0
    .wavefront_size: 32
    .workgroup_processor_mode: 1
  - .args:
      - .offset:         0
        .size:           144
        .value_kind:     by_value
    .group_segment_fixed_size: 0
    .kernarg_segment_align: 8
    .kernarg_segment_size: 144
    .language:       OpenCL C
    .language_version:
      - 2
      - 0
    .max_flat_workgroup_size: 512
    .name:           _ZN7rocprim17ROCPRIM_400000_NS6detail17trampoline_kernelINS0_14default_configENS1_25partition_config_selectorILNS1_17partition_subalgoE6EN6thrust23THRUST_200600_302600_NS5tupleIssNS7_9null_typeES9_S9_S9_S9_S9_S9_S9_EENS0_10empty_typeEbEEZZNS1_14partition_implILS5_6ELb0ES3_mNS7_12zip_iteratorINS8_INS7_6detail15normal_iteratorINS7_10device_ptrIsEEEESJ_S9_S9_S9_S9_S9_S9_S9_S9_EEEEPSB_SM_NS0_5tupleIJNSE_INS8_ISJ_NS7_16discard_iteratorINS7_11use_defaultEEES9_S9_S9_S9_S9_S9_S9_S9_EEEESB_EEENSN_IJSM_SM_EEESB_PlJNSF_9not_fun_tINSF_14equal_to_valueISA_EEEEEEE10hipError_tPvRmT3_T4_T5_T6_T7_T9_mT8_P12ihipStream_tbDpT10_ENKUlT_T0_E_clISt17integral_constantIbLb0EES1J_EEDaS1E_S1F_EUlS1E_E_NS1_11comp_targetILNS1_3genE4ELNS1_11target_archE910ELNS1_3gpuE8ELNS1_3repE0EEENS1_30default_config_static_selectorELNS0_4arch9wavefront6targetE0EEEvT1_
    .private_segment_fixed_size: 0
    .sgpr_count:     0
    .sgpr_spill_count: 0
    .symbol:         _ZN7rocprim17ROCPRIM_400000_NS6detail17trampoline_kernelINS0_14default_configENS1_25partition_config_selectorILNS1_17partition_subalgoE6EN6thrust23THRUST_200600_302600_NS5tupleIssNS7_9null_typeES9_S9_S9_S9_S9_S9_S9_EENS0_10empty_typeEbEEZZNS1_14partition_implILS5_6ELb0ES3_mNS7_12zip_iteratorINS8_INS7_6detail15normal_iteratorINS7_10device_ptrIsEEEESJ_S9_S9_S9_S9_S9_S9_S9_S9_EEEEPSB_SM_NS0_5tupleIJNSE_INS8_ISJ_NS7_16discard_iteratorINS7_11use_defaultEEES9_S9_S9_S9_S9_S9_S9_S9_EEEESB_EEENSN_IJSM_SM_EEESB_PlJNSF_9not_fun_tINSF_14equal_to_valueISA_EEEEEEE10hipError_tPvRmT3_T4_T5_T6_T7_T9_mT8_P12ihipStream_tbDpT10_ENKUlT_T0_E_clISt17integral_constantIbLb0EES1J_EEDaS1E_S1F_EUlS1E_E_NS1_11comp_targetILNS1_3genE4ELNS1_11target_archE910ELNS1_3gpuE8ELNS1_3repE0EEENS1_30default_config_static_selectorELNS0_4arch9wavefront6targetE0EEEvT1_.kd
    .uniform_work_group_size: 1
    .uses_dynamic_stack: false
    .vgpr_count:     0
    .vgpr_spill_count: 0
    .wavefront_size: 32
    .workgroup_processor_mode: 1
  - .args:
      - .offset:         0
        .size:           144
        .value_kind:     by_value
    .group_segment_fixed_size: 0
    .kernarg_segment_align: 8
    .kernarg_segment_size: 144
    .language:       OpenCL C
    .language_version:
      - 2
      - 0
    .max_flat_workgroup_size: 256
    .name:           _ZN7rocprim17ROCPRIM_400000_NS6detail17trampoline_kernelINS0_14default_configENS1_25partition_config_selectorILNS1_17partition_subalgoE6EN6thrust23THRUST_200600_302600_NS5tupleIssNS7_9null_typeES9_S9_S9_S9_S9_S9_S9_EENS0_10empty_typeEbEEZZNS1_14partition_implILS5_6ELb0ES3_mNS7_12zip_iteratorINS8_INS7_6detail15normal_iteratorINS7_10device_ptrIsEEEESJ_S9_S9_S9_S9_S9_S9_S9_S9_EEEEPSB_SM_NS0_5tupleIJNSE_INS8_ISJ_NS7_16discard_iteratorINS7_11use_defaultEEES9_S9_S9_S9_S9_S9_S9_S9_EEEESB_EEENSN_IJSM_SM_EEESB_PlJNSF_9not_fun_tINSF_14equal_to_valueISA_EEEEEEE10hipError_tPvRmT3_T4_T5_T6_T7_T9_mT8_P12ihipStream_tbDpT10_ENKUlT_T0_E_clISt17integral_constantIbLb0EES1J_EEDaS1E_S1F_EUlS1E_E_NS1_11comp_targetILNS1_3genE3ELNS1_11target_archE908ELNS1_3gpuE7ELNS1_3repE0EEENS1_30default_config_static_selectorELNS0_4arch9wavefront6targetE0EEEvT1_
    .private_segment_fixed_size: 0
    .sgpr_count:     0
    .sgpr_spill_count: 0
    .symbol:         _ZN7rocprim17ROCPRIM_400000_NS6detail17trampoline_kernelINS0_14default_configENS1_25partition_config_selectorILNS1_17partition_subalgoE6EN6thrust23THRUST_200600_302600_NS5tupleIssNS7_9null_typeES9_S9_S9_S9_S9_S9_S9_EENS0_10empty_typeEbEEZZNS1_14partition_implILS5_6ELb0ES3_mNS7_12zip_iteratorINS8_INS7_6detail15normal_iteratorINS7_10device_ptrIsEEEESJ_S9_S9_S9_S9_S9_S9_S9_S9_EEEEPSB_SM_NS0_5tupleIJNSE_INS8_ISJ_NS7_16discard_iteratorINS7_11use_defaultEEES9_S9_S9_S9_S9_S9_S9_S9_EEEESB_EEENSN_IJSM_SM_EEESB_PlJNSF_9not_fun_tINSF_14equal_to_valueISA_EEEEEEE10hipError_tPvRmT3_T4_T5_T6_T7_T9_mT8_P12ihipStream_tbDpT10_ENKUlT_T0_E_clISt17integral_constantIbLb0EES1J_EEDaS1E_S1F_EUlS1E_E_NS1_11comp_targetILNS1_3genE3ELNS1_11target_archE908ELNS1_3gpuE7ELNS1_3repE0EEENS1_30default_config_static_selectorELNS0_4arch9wavefront6targetE0EEEvT1_.kd
    .uniform_work_group_size: 1
    .uses_dynamic_stack: false
    .vgpr_count:     0
    .vgpr_spill_count: 0
    .wavefront_size: 32
    .workgroup_processor_mode: 1
  - .args:
      - .offset:         0
        .size:           144
        .value_kind:     by_value
    .group_segment_fixed_size: 0
    .kernarg_segment_align: 8
    .kernarg_segment_size: 144
    .language:       OpenCL C
    .language_version:
      - 2
      - 0
    .max_flat_workgroup_size: 192
    .name:           _ZN7rocprim17ROCPRIM_400000_NS6detail17trampoline_kernelINS0_14default_configENS1_25partition_config_selectorILNS1_17partition_subalgoE6EN6thrust23THRUST_200600_302600_NS5tupleIssNS7_9null_typeES9_S9_S9_S9_S9_S9_S9_EENS0_10empty_typeEbEEZZNS1_14partition_implILS5_6ELb0ES3_mNS7_12zip_iteratorINS8_INS7_6detail15normal_iteratorINS7_10device_ptrIsEEEESJ_S9_S9_S9_S9_S9_S9_S9_S9_EEEEPSB_SM_NS0_5tupleIJNSE_INS8_ISJ_NS7_16discard_iteratorINS7_11use_defaultEEES9_S9_S9_S9_S9_S9_S9_S9_EEEESB_EEENSN_IJSM_SM_EEESB_PlJNSF_9not_fun_tINSF_14equal_to_valueISA_EEEEEEE10hipError_tPvRmT3_T4_T5_T6_T7_T9_mT8_P12ihipStream_tbDpT10_ENKUlT_T0_E_clISt17integral_constantIbLb0EES1J_EEDaS1E_S1F_EUlS1E_E_NS1_11comp_targetILNS1_3genE2ELNS1_11target_archE906ELNS1_3gpuE6ELNS1_3repE0EEENS1_30default_config_static_selectorELNS0_4arch9wavefront6targetE0EEEvT1_
    .private_segment_fixed_size: 0
    .sgpr_count:     0
    .sgpr_spill_count: 0
    .symbol:         _ZN7rocprim17ROCPRIM_400000_NS6detail17trampoline_kernelINS0_14default_configENS1_25partition_config_selectorILNS1_17partition_subalgoE6EN6thrust23THRUST_200600_302600_NS5tupleIssNS7_9null_typeES9_S9_S9_S9_S9_S9_S9_EENS0_10empty_typeEbEEZZNS1_14partition_implILS5_6ELb0ES3_mNS7_12zip_iteratorINS8_INS7_6detail15normal_iteratorINS7_10device_ptrIsEEEESJ_S9_S9_S9_S9_S9_S9_S9_S9_EEEEPSB_SM_NS0_5tupleIJNSE_INS8_ISJ_NS7_16discard_iteratorINS7_11use_defaultEEES9_S9_S9_S9_S9_S9_S9_S9_EEEESB_EEENSN_IJSM_SM_EEESB_PlJNSF_9not_fun_tINSF_14equal_to_valueISA_EEEEEEE10hipError_tPvRmT3_T4_T5_T6_T7_T9_mT8_P12ihipStream_tbDpT10_ENKUlT_T0_E_clISt17integral_constantIbLb0EES1J_EEDaS1E_S1F_EUlS1E_E_NS1_11comp_targetILNS1_3genE2ELNS1_11target_archE906ELNS1_3gpuE6ELNS1_3repE0EEENS1_30default_config_static_selectorELNS0_4arch9wavefront6targetE0EEEvT1_.kd
    .uniform_work_group_size: 1
    .uses_dynamic_stack: false
    .vgpr_count:     0
    .vgpr_spill_count: 0
    .wavefront_size: 32
    .workgroup_processor_mode: 1
  - .args:
      - .offset:         0
        .size:           144
        .value_kind:     by_value
    .group_segment_fixed_size: 10768
    .kernarg_segment_align: 8
    .kernarg_segment_size: 144
    .language:       OpenCL C
    .language_version:
      - 2
      - 0
    .max_flat_workgroup_size: 384
    .name:           _ZN7rocprim17ROCPRIM_400000_NS6detail17trampoline_kernelINS0_14default_configENS1_25partition_config_selectorILNS1_17partition_subalgoE6EN6thrust23THRUST_200600_302600_NS5tupleIssNS7_9null_typeES9_S9_S9_S9_S9_S9_S9_EENS0_10empty_typeEbEEZZNS1_14partition_implILS5_6ELb0ES3_mNS7_12zip_iteratorINS8_INS7_6detail15normal_iteratorINS7_10device_ptrIsEEEESJ_S9_S9_S9_S9_S9_S9_S9_S9_EEEEPSB_SM_NS0_5tupleIJNSE_INS8_ISJ_NS7_16discard_iteratorINS7_11use_defaultEEES9_S9_S9_S9_S9_S9_S9_S9_EEEESB_EEENSN_IJSM_SM_EEESB_PlJNSF_9not_fun_tINSF_14equal_to_valueISA_EEEEEEE10hipError_tPvRmT3_T4_T5_T6_T7_T9_mT8_P12ihipStream_tbDpT10_ENKUlT_T0_E_clISt17integral_constantIbLb0EES1J_EEDaS1E_S1F_EUlS1E_E_NS1_11comp_targetILNS1_3genE10ELNS1_11target_archE1200ELNS1_3gpuE4ELNS1_3repE0EEENS1_30default_config_static_selectorELNS0_4arch9wavefront6targetE0EEEvT1_
    .private_segment_fixed_size: 0
    .sgpr_count:     24
    .sgpr_spill_count: 0
    .symbol:         _ZN7rocprim17ROCPRIM_400000_NS6detail17trampoline_kernelINS0_14default_configENS1_25partition_config_selectorILNS1_17partition_subalgoE6EN6thrust23THRUST_200600_302600_NS5tupleIssNS7_9null_typeES9_S9_S9_S9_S9_S9_S9_EENS0_10empty_typeEbEEZZNS1_14partition_implILS5_6ELb0ES3_mNS7_12zip_iteratorINS8_INS7_6detail15normal_iteratorINS7_10device_ptrIsEEEESJ_S9_S9_S9_S9_S9_S9_S9_S9_EEEEPSB_SM_NS0_5tupleIJNSE_INS8_ISJ_NS7_16discard_iteratorINS7_11use_defaultEEES9_S9_S9_S9_S9_S9_S9_S9_EEEESB_EEENSN_IJSM_SM_EEESB_PlJNSF_9not_fun_tINSF_14equal_to_valueISA_EEEEEEE10hipError_tPvRmT3_T4_T5_T6_T7_T9_mT8_P12ihipStream_tbDpT10_ENKUlT_T0_E_clISt17integral_constantIbLb0EES1J_EEDaS1E_S1F_EUlS1E_E_NS1_11comp_targetILNS1_3genE10ELNS1_11target_archE1200ELNS1_3gpuE4ELNS1_3repE0EEENS1_30default_config_static_selectorELNS0_4arch9wavefront6targetE0EEEvT1_.kd
    .uniform_work_group_size: 1
    .uses_dynamic_stack: false
    .vgpr_count:     49
    .vgpr_spill_count: 0
    .wavefront_size: 32
    .workgroup_processor_mode: 1
  - .args:
      - .offset:         0
        .size:           144
        .value_kind:     by_value
    .group_segment_fixed_size: 0
    .kernarg_segment_align: 8
    .kernarg_segment_size: 144
    .language:       OpenCL C
    .language_version:
      - 2
      - 0
    .max_flat_workgroup_size: 128
    .name:           _ZN7rocprim17ROCPRIM_400000_NS6detail17trampoline_kernelINS0_14default_configENS1_25partition_config_selectorILNS1_17partition_subalgoE6EN6thrust23THRUST_200600_302600_NS5tupleIssNS7_9null_typeES9_S9_S9_S9_S9_S9_S9_EENS0_10empty_typeEbEEZZNS1_14partition_implILS5_6ELb0ES3_mNS7_12zip_iteratorINS8_INS7_6detail15normal_iteratorINS7_10device_ptrIsEEEESJ_S9_S9_S9_S9_S9_S9_S9_S9_EEEEPSB_SM_NS0_5tupleIJNSE_INS8_ISJ_NS7_16discard_iteratorINS7_11use_defaultEEES9_S9_S9_S9_S9_S9_S9_S9_EEEESB_EEENSN_IJSM_SM_EEESB_PlJNSF_9not_fun_tINSF_14equal_to_valueISA_EEEEEEE10hipError_tPvRmT3_T4_T5_T6_T7_T9_mT8_P12ihipStream_tbDpT10_ENKUlT_T0_E_clISt17integral_constantIbLb0EES1J_EEDaS1E_S1F_EUlS1E_E_NS1_11comp_targetILNS1_3genE9ELNS1_11target_archE1100ELNS1_3gpuE3ELNS1_3repE0EEENS1_30default_config_static_selectorELNS0_4arch9wavefront6targetE0EEEvT1_
    .private_segment_fixed_size: 0
    .sgpr_count:     0
    .sgpr_spill_count: 0
    .symbol:         _ZN7rocprim17ROCPRIM_400000_NS6detail17trampoline_kernelINS0_14default_configENS1_25partition_config_selectorILNS1_17partition_subalgoE6EN6thrust23THRUST_200600_302600_NS5tupleIssNS7_9null_typeES9_S9_S9_S9_S9_S9_S9_EENS0_10empty_typeEbEEZZNS1_14partition_implILS5_6ELb0ES3_mNS7_12zip_iteratorINS8_INS7_6detail15normal_iteratorINS7_10device_ptrIsEEEESJ_S9_S9_S9_S9_S9_S9_S9_S9_EEEEPSB_SM_NS0_5tupleIJNSE_INS8_ISJ_NS7_16discard_iteratorINS7_11use_defaultEEES9_S9_S9_S9_S9_S9_S9_S9_EEEESB_EEENSN_IJSM_SM_EEESB_PlJNSF_9not_fun_tINSF_14equal_to_valueISA_EEEEEEE10hipError_tPvRmT3_T4_T5_T6_T7_T9_mT8_P12ihipStream_tbDpT10_ENKUlT_T0_E_clISt17integral_constantIbLb0EES1J_EEDaS1E_S1F_EUlS1E_E_NS1_11comp_targetILNS1_3genE9ELNS1_11target_archE1100ELNS1_3gpuE3ELNS1_3repE0EEENS1_30default_config_static_selectorELNS0_4arch9wavefront6targetE0EEEvT1_.kd
    .uniform_work_group_size: 1
    .uses_dynamic_stack: false
    .vgpr_count:     0
    .vgpr_spill_count: 0
    .wavefront_size: 32
    .workgroup_processor_mode: 1
  - .args:
      - .offset:         0
        .size:           144
        .value_kind:     by_value
    .group_segment_fixed_size: 0
    .kernarg_segment_align: 8
    .kernarg_segment_size: 144
    .language:       OpenCL C
    .language_version:
      - 2
      - 0
    .max_flat_workgroup_size: 512
    .name:           _ZN7rocprim17ROCPRIM_400000_NS6detail17trampoline_kernelINS0_14default_configENS1_25partition_config_selectorILNS1_17partition_subalgoE6EN6thrust23THRUST_200600_302600_NS5tupleIssNS7_9null_typeES9_S9_S9_S9_S9_S9_S9_EENS0_10empty_typeEbEEZZNS1_14partition_implILS5_6ELb0ES3_mNS7_12zip_iteratorINS8_INS7_6detail15normal_iteratorINS7_10device_ptrIsEEEESJ_S9_S9_S9_S9_S9_S9_S9_S9_EEEEPSB_SM_NS0_5tupleIJNSE_INS8_ISJ_NS7_16discard_iteratorINS7_11use_defaultEEES9_S9_S9_S9_S9_S9_S9_S9_EEEESB_EEENSN_IJSM_SM_EEESB_PlJNSF_9not_fun_tINSF_14equal_to_valueISA_EEEEEEE10hipError_tPvRmT3_T4_T5_T6_T7_T9_mT8_P12ihipStream_tbDpT10_ENKUlT_T0_E_clISt17integral_constantIbLb0EES1J_EEDaS1E_S1F_EUlS1E_E_NS1_11comp_targetILNS1_3genE8ELNS1_11target_archE1030ELNS1_3gpuE2ELNS1_3repE0EEENS1_30default_config_static_selectorELNS0_4arch9wavefront6targetE0EEEvT1_
    .private_segment_fixed_size: 0
    .sgpr_count:     0
    .sgpr_spill_count: 0
    .symbol:         _ZN7rocprim17ROCPRIM_400000_NS6detail17trampoline_kernelINS0_14default_configENS1_25partition_config_selectorILNS1_17partition_subalgoE6EN6thrust23THRUST_200600_302600_NS5tupleIssNS7_9null_typeES9_S9_S9_S9_S9_S9_S9_EENS0_10empty_typeEbEEZZNS1_14partition_implILS5_6ELb0ES3_mNS7_12zip_iteratorINS8_INS7_6detail15normal_iteratorINS7_10device_ptrIsEEEESJ_S9_S9_S9_S9_S9_S9_S9_S9_EEEEPSB_SM_NS0_5tupleIJNSE_INS8_ISJ_NS7_16discard_iteratorINS7_11use_defaultEEES9_S9_S9_S9_S9_S9_S9_S9_EEEESB_EEENSN_IJSM_SM_EEESB_PlJNSF_9not_fun_tINSF_14equal_to_valueISA_EEEEEEE10hipError_tPvRmT3_T4_T5_T6_T7_T9_mT8_P12ihipStream_tbDpT10_ENKUlT_T0_E_clISt17integral_constantIbLb0EES1J_EEDaS1E_S1F_EUlS1E_E_NS1_11comp_targetILNS1_3genE8ELNS1_11target_archE1030ELNS1_3gpuE2ELNS1_3repE0EEENS1_30default_config_static_selectorELNS0_4arch9wavefront6targetE0EEEvT1_.kd
    .uniform_work_group_size: 1
    .uses_dynamic_stack: false
    .vgpr_count:     0
    .vgpr_spill_count: 0
    .wavefront_size: 32
    .workgroup_processor_mode: 1
  - .args:
      - .offset:         0
        .size:           152
        .value_kind:     by_value
    .group_segment_fixed_size: 0
    .kernarg_segment_align: 8
    .kernarg_segment_size: 152
    .language:       OpenCL C
    .language_version:
      - 2
      - 0
    .max_flat_workgroup_size: 256
    .name:           _ZN7rocprim17ROCPRIM_400000_NS6detail17trampoline_kernelINS0_14default_configENS1_25partition_config_selectorILNS1_17partition_subalgoE6EN6thrust23THRUST_200600_302600_NS5tupleIssNS7_9null_typeES9_S9_S9_S9_S9_S9_S9_EENS0_10empty_typeEbEEZZNS1_14partition_implILS5_6ELb0ES3_mNS7_12zip_iteratorINS8_INS7_6detail15normal_iteratorINS7_10device_ptrIsEEEESJ_S9_S9_S9_S9_S9_S9_S9_S9_EEEEPSB_SM_NS0_5tupleIJNSE_INS8_ISJ_NS7_16discard_iteratorINS7_11use_defaultEEES9_S9_S9_S9_S9_S9_S9_S9_EEEESB_EEENSN_IJSM_SM_EEESB_PlJNSF_9not_fun_tINSF_14equal_to_valueISA_EEEEEEE10hipError_tPvRmT3_T4_T5_T6_T7_T9_mT8_P12ihipStream_tbDpT10_ENKUlT_T0_E_clISt17integral_constantIbLb1EES1J_EEDaS1E_S1F_EUlS1E_E_NS1_11comp_targetILNS1_3genE0ELNS1_11target_archE4294967295ELNS1_3gpuE0ELNS1_3repE0EEENS1_30default_config_static_selectorELNS0_4arch9wavefront6targetE0EEEvT1_
    .private_segment_fixed_size: 0
    .sgpr_count:     0
    .sgpr_spill_count: 0
    .symbol:         _ZN7rocprim17ROCPRIM_400000_NS6detail17trampoline_kernelINS0_14default_configENS1_25partition_config_selectorILNS1_17partition_subalgoE6EN6thrust23THRUST_200600_302600_NS5tupleIssNS7_9null_typeES9_S9_S9_S9_S9_S9_S9_EENS0_10empty_typeEbEEZZNS1_14partition_implILS5_6ELb0ES3_mNS7_12zip_iteratorINS8_INS7_6detail15normal_iteratorINS7_10device_ptrIsEEEESJ_S9_S9_S9_S9_S9_S9_S9_S9_EEEEPSB_SM_NS0_5tupleIJNSE_INS8_ISJ_NS7_16discard_iteratorINS7_11use_defaultEEES9_S9_S9_S9_S9_S9_S9_S9_EEEESB_EEENSN_IJSM_SM_EEESB_PlJNSF_9not_fun_tINSF_14equal_to_valueISA_EEEEEEE10hipError_tPvRmT3_T4_T5_T6_T7_T9_mT8_P12ihipStream_tbDpT10_ENKUlT_T0_E_clISt17integral_constantIbLb1EES1J_EEDaS1E_S1F_EUlS1E_E_NS1_11comp_targetILNS1_3genE0ELNS1_11target_archE4294967295ELNS1_3gpuE0ELNS1_3repE0EEENS1_30default_config_static_selectorELNS0_4arch9wavefront6targetE0EEEvT1_.kd
    .uniform_work_group_size: 1
    .uses_dynamic_stack: false
    .vgpr_count:     0
    .vgpr_spill_count: 0
    .wavefront_size: 32
    .workgroup_processor_mode: 1
  - .args:
      - .offset:         0
        .size:           152
        .value_kind:     by_value
    .group_segment_fixed_size: 0
    .kernarg_segment_align: 8
    .kernarg_segment_size: 152
    .language:       OpenCL C
    .language_version:
      - 2
      - 0
    .max_flat_workgroup_size: 512
    .name:           _ZN7rocprim17ROCPRIM_400000_NS6detail17trampoline_kernelINS0_14default_configENS1_25partition_config_selectorILNS1_17partition_subalgoE6EN6thrust23THRUST_200600_302600_NS5tupleIssNS7_9null_typeES9_S9_S9_S9_S9_S9_S9_EENS0_10empty_typeEbEEZZNS1_14partition_implILS5_6ELb0ES3_mNS7_12zip_iteratorINS8_INS7_6detail15normal_iteratorINS7_10device_ptrIsEEEESJ_S9_S9_S9_S9_S9_S9_S9_S9_EEEEPSB_SM_NS0_5tupleIJNSE_INS8_ISJ_NS7_16discard_iteratorINS7_11use_defaultEEES9_S9_S9_S9_S9_S9_S9_S9_EEEESB_EEENSN_IJSM_SM_EEESB_PlJNSF_9not_fun_tINSF_14equal_to_valueISA_EEEEEEE10hipError_tPvRmT3_T4_T5_T6_T7_T9_mT8_P12ihipStream_tbDpT10_ENKUlT_T0_E_clISt17integral_constantIbLb1EES1J_EEDaS1E_S1F_EUlS1E_E_NS1_11comp_targetILNS1_3genE5ELNS1_11target_archE942ELNS1_3gpuE9ELNS1_3repE0EEENS1_30default_config_static_selectorELNS0_4arch9wavefront6targetE0EEEvT1_
    .private_segment_fixed_size: 0
    .sgpr_count:     0
    .sgpr_spill_count: 0
    .symbol:         _ZN7rocprim17ROCPRIM_400000_NS6detail17trampoline_kernelINS0_14default_configENS1_25partition_config_selectorILNS1_17partition_subalgoE6EN6thrust23THRUST_200600_302600_NS5tupleIssNS7_9null_typeES9_S9_S9_S9_S9_S9_S9_EENS0_10empty_typeEbEEZZNS1_14partition_implILS5_6ELb0ES3_mNS7_12zip_iteratorINS8_INS7_6detail15normal_iteratorINS7_10device_ptrIsEEEESJ_S9_S9_S9_S9_S9_S9_S9_S9_EEEEPSB_SM_NS0_5tupleIJNSE_INS8_ISJ_NS7_16discard_iteratorINS7_11use_defaultEEES9_S9_S9_S9_S9_S9_S9_S9_EEEESB_EEENSN_IJSM_SM_EEESB_PlJNSF_9not_fun_tINSF_14equal_to_valueISA_EEEEEEE10hipError_tPvRmT3_T4_T5_T6_T7_T9_mT8_P12ihipStream_tbDpT10_ENKUlT_T0_E_clISt17integral_constantIbLb1EES1J_EEDaS1E_S1F_EUlS1E_E_NS1_11comp_targetILNS1_3genE5ELNS1_11target_archE942ELNS1_3gpuE9ELNS1_3repE0EEENS1_30default_config_static_selectorELNS0_4arch9wavefront6targetE0EEEvT1_.kd
    .uniform_work_group_size: 1
    .uses_dynamic_stack: false
    .vgpr_count:     0
    .vgpr_spill_count: 0
    .wavefront_size: 32
    .workgroup_processor_mode: 1
  - .args:
      - .offset:         0
        .size:           152
        .value_kind:     by_value
    .group_segment_fixed_size: 0
    .kernarg_segment_align: 8
    .kernarg_segment_size: 152
    .language:       OpenCL C
    .language_version:
      - 2
      - 0
    .max_flat_workgroup_size: 512
    .name:           _ZN7rocprim17ROCPRIM_400000_NS6detail17trampoline_kernelINS0_14default_configENS1_25partition_config_selectorILNS1_17partition_subalgoE6EN6thrust23THRUST_200600_302600_NS5tupleIssNS7_9null_typeES9_S9_S9_S9_S9_S9_S9_EENS0_10empty_typeEbEEZZNS1_14partition_implILS5_6ELb0ES3_mNS7_12zip_iteratorINS8_INS7_6detail15normal_iteratorINS7_10device_ptrIsEEEESJ_S9_S9_S9_S9_S9_S9_S9_S9_EEEEPSB_SM_NS0_5tupleIJNSE_INS8_ISJ_NS7_16discard_iteratorINS7_11use_defaultEEES9_S9_S9_S9_S9_S9_S9_S9_EEEESB_EEENSN_IJSM_SM_EEESB_PlJNSF_9not_fun_tINSF_14equal_to_valueISA_EEEEEEE10hipError_tPvRmT3_T4_T5_T6_T7_T9_mT8_P12ihipStream_tbDpT10_ENKUlT_T0_E_clISt17integral_constantIbLb1EES1J_EEDaS1E_S1F_EUlS1E_E_NS1_11comp_targetILNS1_3genE4ELNS1_11target_archE910ELNS1_3gpuE8ELNS1_3repE0EEENS1_30default_config_static_selectorELNS0_4arch9wavefront6targetE0EEEvT1_
    .private_segment_fixed_size: 0
    .sgpr_count:     0
    .sgpr_spill_count: 0
    .symbol:         _ZN7rocprim17ROCPRIM_400000_NS6detail17trampoline_kernelINS0_14default_configENS1_25partition_config_selectorILNS1_17partition_subalgoE6EN6thrust23THRUST_200600_302600_NS5tupleIssNS7_9null_typeES9_S9_S9_S9_S9_S9_S9_EENS0_10empty_typeEbEEZZNS1_14partition_implILS5_6ELb0ES3_mNS7_12zip_iteratorINS8_INS7_6detail15normal_iteratorINS7_10device_ptrIsEEEESJ_S9_S9_S9_S9_S9_S9_S9_S9_EEEEPSB_SM_NS0_5tupleIJNSE_INS8_ISJ_NS7_16discard_iteratorINS7_11use_defaultEEES9_S9_S9_S9_S9_S9_S9_S9_EEEESB_EEENSN_IJSM_SM_EEESB_PlJNSF_9not_fun_tINSF_14equal_to_valueISA_EEEEEEE10hipError_tPvRmT3_T4_T5_T6_T7_T9_mT8_P12ihipStream_tbDpT10_ENKUlT_T0_E_clISt17integral_constantIbLb1EES1J_EEDaS1E_S1F_EUlS1E_E_NS1_11comp_targetILNS1_3genE4ELNS1_11target_archE910ELNS1_3gpuE8ELNS1_3repE0EEENS1_30default_config_static_selectorELNS0_4arch9wavefront6targetE0EEEvT1_.kd
    .uniform_work_group_size: 1
    .uses_dynamic_stack: false
    .vgpr_count:     0
    .vgpr_spill_count: 0
    .wavefront_size: 32
    .workgroup_processor_mode: 1
  - .args:
      - .offset:         0
        .size:           152
        .value_kind:     by_value
    .group_segment_fixed_size: 0
    .kernarg_segment_align: 8
    .kernarg_segment_size: 152
    .language:       OpenCL C
    .language_version:
      - 2
      - 0
    .max_flat_workgroup_size: 256
    .name:           _ZN7rocprim17ROCPRIM_400000_NS6detail17trampoline_kernelINS0_14default_configENS1_25partition_config_selectorILNS1_17partition_subalgoE6EN6thrust23THRUST_200600_302600_NS5tupleIssNS7_9null_typeES9_S9_S9_S9_S9_S9_S9_EENS0_10empty_typeEbEEZZNS1_14partition_implILS5_6ELb0ES3_mNS7_12zip_iteratorINS8_INS7_6detail15normal_iteratorINS7_10device_ptrIsEEEESJ_S9_S9_S9_S9_S9_S9_S9_S9_EEEEPSB_SM_NS0_5tupleIJNSE_INS8_ISJ_NS7_16discard_iteratorINS7_11use_defaultEEES9_S9_S9_S9_S9_S9_S9_S9_EEEESB_EEENSN_IJSM_SM_EEESB_PlJNSF_9not_fun_tINSF_14equal_to_valueISA_EEEEEEE10hipError_tPvRmT3_T4_T5_T6_T7_T9_mT8_P12ihipStream_tbDpT10_ENKUlT_T0_E_clISt17integral_constantIbLb1EES1J_EEDaS1E_S1F_EUlS1E_E_NS1_11comp_targetILNS1_3genE3ELNS1_11target_archE908ELNS1_3gpuE7ELNS1_3repE0EEENS1_30default_config_static_selectorELNS0_4arch9wavefront6targetE0EEEvT1_
    .private_segment_fixed_size: 0
    .sgpr_count:     0
    .sgpr_spill_count: 0
    .symbol:         _ZN7rocprim17ROCPRIM_400000_NS6detail17trampoline_kernelINS0_14default_configENS1_25partition_config_selectorILNS1_17partition_subalgoE6EN6thrust23THRUST_200600_302600_NS5tupleIssNS7_9null_typeES9_S9_S9_S9_S9_S9_S9_EENS0_10empty_typeEbEEZZNS1_14partition_implILS5_6ELb0ES3_mNS7_12zip_iteratorINS8_INS7_6detail15normal_iteratorINS7_10device_ptrIsEEEESJ_S9_S9_S9_S9_S9_S9_S9_S9_EEEEPSB_SM_NS0_5tupleIJNSE_INS8_ISJ_NS7_16discard_iteratorINS7_11use_defaultEEES9_S9_S9_S9_S9_S9_S9_S9_EEEESB_EEENSN_IJSM_SM_EEESB_PlJNSF_9not_fun_tINSF_14equal_to_valueISA_EEEEEEE10hipError_tPvRmT3_T4_T5_T6_T7_T9_mT8_P12ihipStream_tbDpT10_ENKUlT_T0_E_clISt17integral_constantIbLb1EES1J_EEDaS1E_S1F_EUlS1E_E_NS1_11comp_targetILNS1_3genE3ELNS1_11target_archE908ELNS1_3gpuE7ELNS1_3repE0EEENS1_30default_config_static_selectorELNS0_4arch9wavefront6targetE0EEEvT1_.kd
    .uniform_work_group_size: 1
    .uses_dynamic_stack: false
    .vgpr_count:     0
    .vgpr_spill_count: 0
    .wavefront_size: 32
    .workgroup_processor_mode: 1
  - .args:
      - .offset:         0
        .size:           152
        .value_kind:     by_value
    .group_segment_fixed_size: 0
    .kernarg_segment_align: 8
    .kernarg_segment_size: 152
    .language:       OpenCL C
    .language_version:
      - 2
      - 0
    .max_flat_workgroup_size: 192
    .name:           _ZN7rocprim17ROCPRIM_400000_NS6detail17trampoline_kernelINS0_14default_configENS1_25partition_config_selectorILNS1_17partition_subalgoE6EN6thrust23THRUST_200600_302600_NS5tupleIssNS7_9null_typeES9_S9_S9_S9_S9_S9_S9_EENS0_10empty_typeEbEEZZNS1_14partition_implILS5_6ELb0ES3_mNS7_12zip_iteratorINS8_INS7_6detail15normal_iteratorINS7_10device_ptrIsEEEESJ_S9_S9_S9_S9_S9_S9_S9_S9_EEEEPSB_SM_NS0_5tupleIJNSE_INS8_ISJ_NS7_16discard_iteratorINS7_11use_defaultEEES9_S9_S9_S9_S9_S9_S9_S9_EEEESB_EEENSN_IJSM_SM_EEESB_PlJNSF_9not_fun_tINSF_14equal_to_valueISA_EEEEEEE10hipError_tPvRmT3_T4_T5_T6_T7_T9_mT8_P12ihipStream_tbDpT10_ENKUlT_T0_E_clISt17integral_constantIbLb1EES1J_EEDaS1E_S1F_EUlS1E_E_NS1_11comp_targetILNS1_3genE2ELNS1_11target_archE906ELNS1_3gpuE6ELNS1_3repE0EEENS1_30default_config_static_selectorELNS0_4arch9wavefront6targetE0EEEvT1_
    .private_segment_fixed_size: 0
    .sgpr_count:     0
    .sgpr_spill_count: 0
    .symbol:         _ZN7rocprim17ROCPRIM_400000_NS6detail17trampoline_kernelINS0_14default_configENS1_25partition_config_selectorILNS1_17partition_subalgoE6EN6thrust23THRUST_200600_302600_NS5tupleIssNS7_9null_typeES9_S9_S9_S9_S9_S9_S9_EENS0_10empty_typeEbEEZZNS1_14partition_implILS5_6ELb0ES3_mNS7_12zip_iteratorINS8_INS7_6detail15normal_iteratorINS7_10device_ptrIsEEEESJ_S9_S9_S9_S9_S9_S9_S9_S9_EEEEPSB_SM_NS0_5tupleIJNSE_INS8_ISJ_NS7_16discard_iteratorINS7_11use_defaultEEES9_S9_S9_S9_S9_S9_S9_S9_EEEESB_EEENSN_IJSM_SM_EEESB_PlJNSF_9not_fun_tINSF_14equal_to_valueISA_EEEEEEE10hipError_tPvRmT3_T4_T5_T6_T7_T9_mT8_P12ihipStream_tbDpT10_ENKUlT_T0_E_clISt17integral_constantIbLb1EES1J_EEDaS1E_S1F_EUlS1E_E_NS1_11comp_targetILNS1_3genE2ELNS1_11target_archE906ELNS1_3gpuE6ELNS1_3repE0EEENS1_30default_config_static_selectorELNS0_4arch9wavefront6targetE0EEEvT1_.kd
    .uniform_work_group_size: 1
    .uses_dynamic_stack: false
    .vgpr_count:     0
    .vgpr_spill_count: 0
    .wavefront_size: 32
    .workgroup_processor_mode: 1
  - .args:
      - .offset:         0
        .size:           152
        .value_kind:     by_value
    .group_segment_fixed_size: 0
    .kernarg_segment_align: 8
    .kernarg_segment_size: 152
    .language:       OpenCL C
    .language_version:
      - 2
      - 0
    .max_flat_workgroup_size: 384
    .name:           _ZN7rocprim17ROCPRIM_400000_NS6detail17trampoline_kernelINS0_14default_configENS1_25partition_config_selectorILNS1_17partition_subalgoE6EN6thrust23THRUST_200600_302600_NS5tupleIssNS7_9null_typeES9_S9_S9_S9_S9_S9_S9_EENS0_10empty_typeEbEEZZNS1_14partition_implILS5_6ELb0ES3_mNS7_12zip_iteratorINS8_INS7_6detail15normal_iteratorINS7_10device_ptrIsEEEESJ_S9_S9_S9_S9_S9_S9_S9_S9_EEEEPSB_SM_NS0_5tupleIJNSE_INS8_ISJ_NS7_16discard_iteratorINS7_11use_defaultEEES9_S9_S9_S9_S9_S9_S9_S9_EEEESB_EEENSN_IJSM_SM_EEESB_PlJNSF_9not_fun_tINSF_14equal_to_valueISA_EEEEEEE10hipError_tPvRmT3_T4_T5_T6_T7_T9_mT8_P12ihipStream_tbDpT10_ENKUlT_T0_E_clISt17integral_constantIbLb1EES1J_EEDaS1E_S1F_EUlS1E_E_NS1_11comp_targetILNS1_3genE10ELNS1_11target_archE1200ELNS1_3gpuE4ELNS1_3repE0EEENS1_30default_config_static_selectorELNS0_4arch9wavefront6targetE0EEEvT1_
    .private_segment_fixed_size: 0
    .sgpr_count:     0
    .sgpr_spill_count: 0
    .symbol:         _ZN7rocprim17ROCPRIM_400000_NS6detail17trampoline_kernelINS0_14default_configENS1_25partition_config_selectorILNS1_17partition_subalgoE6EN6thrust23THRUST_200600_302600_NS5tupleIssNS7_9null_typeES9_S9_S9_S9_S9_S9_S9_EENS0_10empty_typeEbEEZZNS1_14partition_implILS5_6ELb0ES3_mNS7_12zip_iteratorINS8_INS7_6detail15normal_iteratorINS7_10device_ptrIsEEEESJ_S9_S9_S9_S9_S9_S9_S9_S9_EEEEPSB_SM_NS0_5tupleIJNSE_INS8_ISJ_NS7_16discard_iteratorINS7_11use_defaultEEES9_S9_S9_S9_S9_S9_S9_S9_EEEESB_EEENSN_IJSM_SM_EEESB_PlJNSF_9not_fun_tINSF_14equal_to_valueISA_EEEEEEE10hipError_tPvRmT3_T4_T5_T6_T7_T9_mT8_P12ihipStream_tbDpT10_ENKUlT_T0_E_clISt17integral_constantIbLb1EES1J_EEDaS1E_S1F_EUlS1E_E_NS1_11comp_targetILNS1_3genE10ELNS1_11target_archE1200ELNS1_3gpuE4ELNS1_3repE0EEENS1_30default_config_static_selectorELNS0_4arch9wavefront6targetE0EEEvT1_.kd
    .uniform_work_group_size: 1
    .uses_dynamic_stack: false
    .vgpr_count:     0
    .vgpr_spill_count: 0
    .wavefront_size: 32
    .workgroup_processor_mode: 1
  - .args:
      - .offset:         0
        .size:           152
        .value_kind:     by_value
    .group_segment_fixed_size: 0
    .kernarg_segment_align: 8
    .kernarg_segment_size: 152
    .language:       OpenCL C
    .language_version:
      - 2
      - 0
    .max_flat_workgroup_size: 128
    .name:           _ZN7rocprim17ROCPRIM_400000_NS6detail17trampoline_kernelINS0_14default_configENS1_25partition_config_selectorILNS1_17partition_subalgoE6EN6thrust23THRUST_200600_302600_NS5tupleIssNS7_9null_typeES9_S9_S9_S9_S9_S9_S9_EENS0_10empty_typeEbEEZZNS1_14partition_implILS5_6ELb0ES3_mNS7_12zip_iteratorINS8_INS7_6detail15normal_iteratorINS7_10device_ptrIsEEEESJ_S9_S9_S9_S9_S9_S9_S9_S9_EEEEPSB_SM_NS0_5tupleIJNSE_INS8_ISJ_NS7_16discard_iteratorINS7_11use_defaultEEES9_S9_S9_S9_S9_S9_S9_S9_EEEESB_EEENSN_IJSM_SM_EEESB_PlJNSF_9not_fun_tINSF_14equal_to_valueISA_EEEEEEE10hipError_tPvRmT3_T4_T5_T6_T7_T9_mT8_P12ihipStream_tbDpT10_ENKUlT_T0_E_clISt17integral_constantIbLb1EES1J_EEDaS1E_S1F_EUlS1E_E_NS1_11comp_targetILNS1_3genE9ELNS1_11target_archE1100ELNS1_3gpuE3ELNS1_3repE0EEENS1_30default_config_static_selectorELNS0_4arch9wavefront6targetE0EEEvT1_
    .private_segment_fixed_size: 0
    .sgpr_count:     0
    .sgpr_spill_count: 0
    .symbol:         _ZN7rocprim17ROCPRIM_400000_NS6detail17trampoline_kernelINS0_14default_configENS1_25partition_config_selectorILNS1_17partition_subalgoE6EN6thrust23THRUST_200600_302600_NS5tupleIssNS7_9null_typeES9_S9_S9_S9_S9_S9_S9_EENS0_10empty_typeEbEEZZNS1_14partition_implILS5_6ELb0ES3_mNS7_12zip_iteratorINS8_INS7_6detail15normal_iteratorINS7_10device_ptrIsEEEESJ_S9_S9_S9_S9_S9_S9_S9_S9_EEEEPSB_SM_NS0_5tupleIJNSE_INS8_ISJ_NS7_16discard_iteratorINS7_11use_defaultEEES9_S9_S9_S9_S9_S9_S9_S9_EEEESB_EEENSN_IJSM_SM_EEESB_PlJNSF_9not_fun_tINSF_14equal_to_valueISA_EEEEEEE10hipError_tPvRmT3_T4_T5_T6_T7_T9_mT8_P12ihipStream_tbDpT10_ENKUlT_T0_E_clISt17integral_constantIbLb1EES1J_EEDaS1E_S1F_EUlS1E_E_NS1_11comp_targetILNS1_3genE9ELNS1_11target_archE1100ELNS1_3gpuE3ELNS1_3repE0EEENS1_30default_config_static_selectorELNS0_4arch9wavefront6targetE0EEEvT1_.kd
    .uniform_work_group_size: 1
    .uses_dynamic_stack: false
    .vgpr_count:     0
    .vgpr_spill_count: 0
    .wavefront_size: 32
    .workgroup_processor_mode: 1
  - .args:
      - .offset:         0
        .size:           152
        .value_kind:     by_value
    .group_segment_fixed_size: 0
    .kernarg_segment_align: 8
    .kernarg_segment_size: 152
    .language:       OpenCL C
    .language_version:
      - 2
      - 0
    .max_flat_workgroup_size: 512
    .name:           _ZN7rocprim17ROCPRIM_400000_NS6detail17trampoline_kernelINS0_14default_configENS1_25partition_config_selectorILNS1_17partition_subalgoE6EN6thrust23THRUST_200600_302600_NS5tupleIssNS7_9null_typeES9_S9_S9_S9_S9_S9_S9_EENS0_10empty_typeEbEEZZNS1_14partition_implILS5_6ELb0ES3_mNS7_12zip_iteratorINS8_INS7_6detail15normal_iteratorINS7_10device_ptrIsEEEESJ_S9_S9_S9_S9_S9_S9_S9_S9_EEEEPSB_SM_NS0_5tupleIJNSE_INS8_ISJ_NS7_16discard_iteratorINS7_11use_defaultEEES9_S9_S9_S9_S9_S9_S9_S9_EEEESB_EEENSN_IJSM_SM_EEESB_PlJNSF_9not_fun_tINSF_14equal_to_valueISA_EEEEEEE10hipError_tPvRmT3_T4_T5_T6_T7_T9_mT8_P12ihipStream_tbDpT10_ENKUlT_T0_E_clISt17integral_constantIbLb1EES1J_EEDaS1E_S1F_EUlS1E_E_NS1_11comp_targetILNS1_3genE8ELNS1_11target_archE1030ELNS1_3gpuE2ELNS1_3repE0EEENS1_30default_config_static_selectorELNS0_4arch9wavefront6targetE0EEEvT1_
    .private_segment_fixed_size: 0
    .sgpr_count:     0
    .sgpr_spill_count: 0
    .symbol:         _ZN7rocprim17ROCPRIM_400000_NS6detail17trampoline_kernelINS0_14default_configENS1_25partition_config_selectorILNS1_17partition_subalgoE6EN6thrust23THRUST_200600_302600_NS5tupleIssNS7_9null_typeES9_S9_S9_S9_S9_S9_S9_EENS0_10empty_typeEbEEZZNS1_14partition_implILS5_6ELb0ES3_mNS7_12zip_iteratorINS8_INS7_6detail15normal_iteratorINS7_10device_ptrIsEEEESJ_S9_S9_S9_S9_S9_S9_S9_S9_EEEEPSB_SM_NS0_5tupleIJNSE_INS8_ISJ_NS7_16discard_iteratorINS7_11use_defaultEEES9_S9_S9_S9_S9_S9_S9_S9_EEEESB_EEENSN_IJSM_SM_EEESB_PlJNSF_9not_fun_tINSF_14equal_to_valueISA_EEEEEEE10hipError_tPvRmT3_T4_T5_T6_T7_T9_mT8_P12ihipStream_tbDpT10_ENKUlT_T0_E_clISt17integral_constantIbLb1EES1J_EEDaS1E_S1F_EUlS1E_E_NS1_11comp_targetILNS1_3genE8ELNS1_11target_archE1030ELNS1_3gpuE2ELNS1_3repE0EEENS1_30default_config_static_selectorELNS0_4arch9wavefront6targetE0EEEvT1_.kd
    .uniform_work_group_size: 1
    .uses_dynamic_stack: false
    .vgpr_count:     0
    .vgpr_spill_count: 0
    .wavefront_size: 32
    .workgroup_processor_mode: 1
  - .args:
      - .offset:         0
        .size:           144
        .value_kind:     by_value
    .group_segment_fixed_size: 0
    .kernarg_segment_align: 8
    .kernarg_segment_size: 144
    .language:       OpenCL C
    .language_version:
      - 2
      - 0
    .max_flat_workgroup_size: 256
    .name:           _ZN7rocprim17ROCPRIM_400000_NS6detail17trampoline_kernelINS0_14default_configENS1_25partition_config_selectorILNS1_17partition_subalgoE6EN6thrust23THRUST_200600_302600_NS5tupleIssNS7_9null_typeES9_S9_S9_S9_S9_S9_S9_EENS0_10empty_typeEbEEZZNS1_14partition_implILS5_6ELb0ES3_mNS7_12zip_iteratorINS8_INS7_6detail15normal_iteratorINS7_10device_ptrIsEEEESJ_S9_S9_S9_S9_S9_S9_S9_S9_EEEEPSB_SM_NS0_5tupleIJNSE_INS8_ISJ_NS7_16discard_iteratorINS7_11use_defaultEEES9_S9_S9_S9_S9_S9_S9_S9_EEEESB_EEENSN_IJSM_SM_EEESB_PlJNSF_9not_fun_tINSF_14equal_to_valueISA_EEEEEEE10hipError_tPvRmT3_T4_T5_T6_T7_T9_mT8_P12ihipStream_tbDpT10_ENKUlT_T0_E_clISt17integral_constantIbLb1EES1I_IbLb0EEEEDaS1E_S1F_EUlS1E_E_NS1_11comp_targetILNS1_3genE0ELNS1_11target_archE4294967295ELNS1_3gpuE0ELNS1_3repE0EEENS1_30default_config_static_selectorELNS0_4arch9wavefront6targetE0EEEvT1_
    .private_segment_fixed_size: 0
    .sgpr_count:     0
    .sgpr_spill_count: 0
    .symbol:         _ZN7rocprim17ROCPRIM_400000_NS6detail17trampoline_kernelINS0_14default_configENS1_25partition_config_selectorILNS1_17partition_subalgoE6EN6thrust23THRUST_200600_302600_NS5tupleIssNS7_9null_typeES9_S9_S9_S9_S9_S9_S9_EENS0_10empty_typeEbEEZZNS1_14partition_implILS5_6ELb0ES3_mNS7_12zip_iteratorINS8_INS7_6detail15normal_iteratorINS7_10device_ptrIsEEEESJ_S9_S9_S9_S9_S9_S9_S9_S9_EEEEPSB_SM_NS0_5tupleIJNSE_INS8_ISJ_NS7_16discard_iteratorINS7_11use_defaultEEES9_S9_S9_S9_S9_S9_S9_S9_EEEESB_EEENSN_IJSM_SM_EEESB_PlJNSF_9not_fun_tINSF_14equal_to_valueISA_EEEEEEE10hipError_tPvRmT3_T4_T5_T6_T7_T9_mT8_P12ihipStream_tbDpT10_ENKUlT_T0_E_clISt17integral_constantIbLb1EES1I_IbLb0EEEEDaS1E_S1F_EUlS1E_E_NS1_11comp_targetILNS1_3genE0ELNS1_11target_archE4294967295ELNS1_3gpuE0ELNS1_3repE0EEENS1_30default_config_static_selectorELNS0_4arch9wavefront6targetE0EEEvT1_.kd
    .uniform_work_group_size: 1
    .uses_dynamic_stack: false
    .vgpr_count:     0
    .vgpr_spill_count: 0
    .wavefront_size: 32
    .workgroup_processor_mode: 1
  - .args:
      - .offset:         0
        .size:           144
        .value_kind:     by_value
    .group_segment_fixed_size: 0
    .kernarg_segment_align: 8
    .kernarg_segment_size: 144
    .language:       OpenCL C
    .language_version:
      - 2
      - 0
    .max_flat_workgroup_size: 512
    .name:           _ZN7rocprim17ROCPRIM_400000_NS6detail17trampoline_kernelINS0_14default_configENS1_25partition_config_selectorILNS1_17partition_subalgoE6EN6thrust23THRUST_200600_302600_NS5tupleIssNS7_9null_typeES9_S9_S9_S9_S9_S9_S9_EENS0_10empty_typeEbEEZZNS1_14partition_implILS5_6ELb0ES3_mNS7_12zip_iteratorINS8_INS7_6detail15normal_iteratorINS7_10device_ptrIsEEEESJ_S9_S9_S9_S9_S9_S9_S9_S9_EEEEPSB_SM_NS0_5tupleIJNSE_INS8_ISJ_NS7_16discard_iteratorINS7_11use_defaultEEES9_S9_S9_S9_S9_S9_S9_S9_EEEESB_EEENSN_IJSM_SM_EEESB_PlJNSF_9not_fun_tINSF_14equal_to_valueISA_EEEEEEE10hipError_tPvRmT3_T4_T5_T6_T7_T9_mT8_P12ihipStream_tbDpT10_ENKUlT_T0_E_clISt17integral_constantIbLb1EES1I_IbLb0EEEEDaS1E_S1F_EUlS1E_E_NS1_11comp_targetILNS1_3genE5ELNS1_11target_archE942ELNS1_3gpuE9ELNS1_3repE0EEENS1_30default_config_static_selectorELNS0_4arch9wavefront6targetE0EEEvT1_
    .private_segment_fixed_size: 0
    .sgpr_count:     0
    .sgpr_spill_count: 0
    .symbol:         _ZN7rocprim17ROCPRIM_400000_NS6detail17trampoline_kernelINS0_14default_configENS1_25partition_config_selectorILNS1_17partition_subalgoE6EN6thrust23THRUST_200600_302600_NS5tupleIssNS7_9null_typeES9_S9_S9_S9_S9_S9_S9_EENS0_10empty_typeEbEEZZNS1_14partition_implILS5_6ELb0ES3_mNS7_12zip_iteratorINS8_INS7_6detail15normal_iteratorINS7_10device_ptrIsEEEESJ_S9_S9_S9_S9_S9_S9_S9_S9_EEEEPSB_SM_NS0_5tupleIJNSE_INS8_ISJ_NS7_16discard_iteratorINS7_11use_defaultEEES9_S9_S9_S9_S9_S9_S9_S9_EEEESB_EEENSN_IJSM_SM_EEESB_PlJNSF_9not_fun_tINSF_14equal_to_valueISA_EEEEEEE10hipError_tPvRmT3_T4_T5_T6_T7_T9_mT8_P12ihipStream_tbDpT10_ENKUlT_T0_E_clISt17integral_constantIbLb1EES1I_IbLb0EEEEDaS1E_S1F_EUlS1E_E_NS1_11comp_targetILNS1_3genE5ELNS1_11target_archE942ELNS1_3gpuE9ELNS1_3repE0EEENS1_30default_config_static_selectorELNS0_4arch9wavefront6targetE0EEEvT1_.kd
    .uniform_work_group_size: 1
    .uses_dynamic_stack: false
    .vgpr_count:     0
    .vgpr_spill_count: 0
    .wavefront_size: 32
    .workgroup_processor_mode: 1
  - .args:
      - .offset:         0
        .size:           144
        .value_kind:     by_value
    .group_segment_fixed_size: 0
    .kernarg_segment_align: 8
    .kernarg_segment_size: 144
    .language:       OpenCL C
    .language_version:
      - 2
      - 0
    .max_flat_workgroup_size: 512
    .name:           _ZN7rocprim17ROCPRIM_400000_NS6detail17trampoline_kernelINS0_14default_configENS1_25partition_config_selectorILNS1_17partition_subalgoE6EN6thrust23THRUST_200600_302600_NS5tupleIssNS7_9null_typeES9_S9_S9_S9_S9_S9_S9_EENS0_10empty_typeEbEEZZNS1_14partition_implILS5_6ELb0ES3_mNS7_12zip_iteratorINS8_INS7_6detail15normal_iteratorINS7_10device_ptrIsEEEESJ_S9_S9_S9_S9_S9_S9_S9_S9_EEEEPSB_SM_NS0_5tupleIJNSE_INS8_ISJ_NS7_16discard_iteratorINS7_11use_defaultEEES9_S9_S9_S9_S9_S9_S9_S9_EEEESB_EEENSN_IJSM_SM_EEESB_PlJNSF_9not_fun_tINSF_14equal_to_valueISA_EEEEEEE10hipError_tPvRmT3_T4_T5_T6_T7_T9_mT8_P12ihipStream_tbDpT10_ENKUlT_T0_E_clISt17integral_constantIbLb1EES1I_IbLb0EEEEDaS1E_S1F_EUlS1E_E_NS1_11comp_targetILNS1_3genE4ELNS1_11target_archE910ELNS1_3gpuE8ELNS1_3repE0EEENS1_30default_config_static_selectorELNS0_4arch9wavefront6targetE0EEEvT1_
    .private_segment_fixed_size: 0
    .sgpr_count:     0
    .sgpr_spill_count: 0
    .symbol:         _ZN7rocprim17ROCPRIM_400000_NS6detail17trampoline_kernelINS0_14default_configENS1_25partition_config_selectorILNS1_17partition_subalgoE6EN6thrust23THRUST_200600_302600_NS5tupleIssNS7_9null_typeES9_S9_S9_S9_S9_S9_S9_EENS0_10empty_typeEbEEZZNS1_14partition_implILS5_6ELb0ES3_mNS7_12zip_iteratorINS8_INS7_6detail15normal_iteratorINS7_10device_ptrIsEEEESJ_S9_S9_S9_S9_S9_S9_S9_S9_EEEEPSB_SM_NS0_5tupleIJNSE_INS8_ISJ_NS7_16discard_iteratorINS7_11use_defaultEEES9_S9_S9_S9_S9_S9_S9_S9_EEEESB_EEENSN_IJSM_SM_EEESB_PlJNSF_9not_fun_tINSF_14equal_to_valueISA_EEEEEEE10hipError_tPvRmT3_T4_T5_T6_T7_T9_mT8_P12ihipStream_tbDpT10_ENKUlT_T0_E_clISt17integral_constantIbLb1EES1I_IbLb0EEEEDaS1E_S1F_EUlS1E_E_NS1_11comp_targetILNS1_3genE4ELNS1_11target_archE910ELNS1_3gpuE8ELNS1_3repE0EEENS1_30default_config_static_selectorELNS0_4arch9wavefront6targetE0EEEvT1_.kd
    .uniform_work_group_size: 1
    .uses_dynamic_stack: false
    .vgpr_count:     0
    .vgpr_spill_count: 0
    .wavefront_size: 32
    .workgroup_processor_mode: 1
  - .args:
      - .offset:         0
        .size:           144
        .value_kind:     by_value
    .group_segment_fixed_size: 0
    .kernarg_segment_align: 8
    .kernarg_segment_size: 144
    .language:       OpenCL C
    .language_version:
      - 2
      - 0
    .max_flat_workgroup_size: 256
    .name:           _ZN7rocprim17ROCPRIM_400000_NS6detail17trampoline_kernelINS0_14default_configENS1_25partition_config_selectorILNS1_17partition_subalgoE6EN6thrust23THRUST_200600_302600_NS5tupleIssNS7_9null_typeES9_S9_S9_S9_S9_S9_S9_EENS0_10empty_typeEbEEZZNS1_14partition_implILS5_6ELb0ES3_mNS7_12zip_iteratorINS8_INS7_6detail15normal_iteratorINS7_10device_ptrIsEEEESJ_S9_S9_S9_S9_S9_S9_S9_S9_EEEEPSB_SM_NS0_5tupleIJNSE_INS8_ISJ_NS7_16discard_iteratorINS7_11use_defaultEEES9_S9_S9_S9_S9_S9_S9_S9_EEEESB_EEENSN_IJSM_SM_EEESB_PlJNSF_9not_fun_tINSF_14equal_to_valueISA_EEEEEEE10hipError_tPvRmT3_T4_T5_T6_T7_T9_mT8_P12ihipStream_tbDpT10_ENKUlT_T0_E_clISt17integral_constantIbLb1EES1I_IbLb0EEEEDaS1E_S1F_EUlS1E_E_NS1_11comp_targetILNS1_3genE3ELNS1_11target_archE908ELNS1_3gpuE7ELNS1_3repE0EEENS1_30default_config_static_selectorELNS0_4arch9wavefront6targetE0EEEvT1_
    .private_segment_fixed_size: 0
    .sgpr_count:     0
    .sgpr_spill_count: 0
    .symbol:         _ZN7rocprim17ROCPRIM_400000_NS6detail17trampoline_kernelINS0_14default_configENS1_25partition_config_selectorILNS1_17partition_subalgoE6EN6thrust23THRUST_200600_302600_NS5tupleIssNS7_9null_typeES9_S9_S9_S9_S9_S9_S9_EENS0_10empty_typeEbEEZZNS1_14partition_implILS5_6ELb0ES3_mNS7_12zip_iteratorINS8_INS7_6detail15normal_iteratorINS7_10device_ptrIsEEEESJ_S9_S9_S9_S9_S9_S9_S9_S9_EEEEPSB_SM_NS0_5tupleIJNSE_INS8_ISJ_NS7_16discard_iteratorINS7_11use_defaultEEES9_S9_S9_S9_S9_S9_S9_S9_EEEESB_EEENSN_IJSM_SM_EEESB_PlJNSF_9not_fun_tINSF_14equal_to_valueISA_EEEEEEE10hipError_tPvRmT3_T4_T5_T6_T7_T9_mT8_P12ihipStream_tbDpT10_ENKUlT_T0_E_clISt17integral_constantIbLb1EES1I_IbLb0EEEEDaS1E_S1F_EUlS1E_E_NS1_11comp_targetILNS1_3genE3ELNS1_11target_archE908ELNS1_3gpuE7ELNS1_3repE0EEENS1_30default_config_static_selectorELNS0_4arch9wavefront6targetE0EEEvT1_.kd
    .uniform_work_group_size: 1
    .uses_dynamic_stack: false
    .vgpr_count:     0
    .vgpr_spill_count: 0
    .wavefront_size: 32
    .workgroup_processor_mode: 1
  - .args:
      - .offset:         0
        .size:           144
        .value_kind:     by_value
    .group_segment_fixed_size: 0
    .kernarg_segment_align: 8
    .kernarg_segment_size: 144
    .language:       OpenCL C
    .language_version:
      - 2
      - 0
    .max_flat_workgroup_size: 192
    .name:           _ZN7rocprim17ROCPRIM_400000_NS6detail17trampoline_kernelINS0_14default_configENS1_25partition_config_selectorILNS1_17partition_subalgoE6EN6thrust23THRUST_200600_302600_NS5tupleIssNS7_9null_typeES9_S9_S9_S9_S9_S9_S9_EENS0_10empty_typeEbEEZZNS1_14partition_implILS5_6ELb0ES3_mNS7_12zip_iteratorINS8_INS7_6detail15normal_iteratorINS7_10device_ptrIsEEEESJ_S9_S9_S9_S9_S9_S9_S9_S9_EEEEPSB_SM_NS0_5tupleIJNSE_INS8_ISJ_NS7_16discard_iteratorINS7_11use_defaultEEES9_S9_S9_S9_S9_S9_S9_S9_EEEESB_EEENSN_IJSM_SM_EEESB_PlJNSF_9not_fun_tINSF_14equal_to_valueISA_EEEEEEE10hipError_tPvRmT3_T4_T5_T6_T7_T9_mT8_P12ihipStream_tbDpT10_ENKUlT_T0_E_clISt17integral_constantIbLb1EES1I_IbLb0EEEEDaS1E_S1F_EUlS1E_E_NS1_11comp_targetILNS1_3genE2ELNS1_11target_archE906ELNS1_3gpuE6ELNS1_3repE0EEENS1_30default_config_static_selectorELNS0_4arch9wavefront6targetE0EEEvT1_
    .private_segment_fixed_size: 0
    .sgpr_count:     0
    .sgpr_spill_count: 0
    .symbol:         _ZN7rocprim17ROCPRIM_400000_NS6detail17trampoline_kernelINS0_14default_configENS1_25partition_config_selectorILNS1_17partition_subalgoE6EN6thrust23THRUST_200600_302600_NS5tupleIssNS7_9null_typeES9_S9_S9_S9_S9_S9_S9_EENS0_10empty_typeEbEEZZNS1_14partition_implILS5_6ELb0ES3_mNS7_12zip_iteratorINS8_INS7_6detail15normal_iteratorINS7_10device_ptrIsEEEESJ_S9_S9_S9_S9_S9_S9_S9_S9_EEEEPSB_SM_NS0_5tupleIJNSE_INS8_ISJ_NS7_16discard_iteratorINS7_11use_defaultEEES9_S9_S9_S9_S9_S9_S9_S9_EEEESB_EEENSN_IJSM_SM_EEESB_PlJNSF_9not_fun_tINSF_14equal_to_valueISA_EEEEEEE10hipError_tPvRmT3_T4_T5_T6_T7_T9_mT8_P12ihipStream_tbDpT10_ENKUlT_T0_E_clISt17integral_constantIbLb1EES1I_IbLb0EEEEDaS1E_S1F_EUlS1E_E_NS1_11comp_targetILNS1_3genE2ELNS1_11target_archE906ELNS1_3gpuE6ELNS1_3repE0EEENS1_30default_config_static_selectorELNS0_4arch9wavefront6targetE0EEEvT1_.kd
    .uniform_work_group_size: 1
    .uses_dynamic_stack: false
    .vgpr_count:     0
    .vgpr_spill_count: 0
    .wavefront_size: 32
    .workgroup_processor_mode: 1
  - .args:
      - .offset:         0
        .size:           144
        .value_kind:     by_value
    .group_segment_fixed_size: 0
    .kernarg_segment_align: 8
    .kernarg_segment_size: 144
    .language:       OpenCL C
    .language_version:
      - 2
      - 0
    .max_flat_workgroup_size: 384
    .name:           _ZN7rocprim17ROCPRIM_400000_NS6detail17trampoline_kernelINS0_14default_configENS1_25partition_config_selectorILNS1_17partition_subalgoE6EN6thrust23THRUST_200600_302600_NS5tupleIssNS7_9null_typeES9_S9_S9_S9_S9_S9_S9_EENS0_10empty_typeEbEEZZNS1_14partition_implILS5_6ELb0ES3_mNS7_12zip_iteratorINS8_INS7_6detail15normal_iteratorINS7_10device_ptrIsEEEESJ_S9_S9_S9_S9_S9_S9_S9_S9_EEEEPSB_SM_NS0_5tupleIJNSE_INS8_ISJ_NS7_16discard_iteratorINS7_11use_defaultEEES9_S9_S9_S9_S9_S9_S9_S9_EEEESB_EEENSN_IJSM_SM_EEESB_PlJNSF_9not_fun_tINSF_14equal_to_valueISA_EEEEEEE10hipError_tPvRmT3_T4_T5_T6_T7_T9_mT8_P12ihipStream_tbDpT10_ENKUlT_T0_E_clISt17integral_constantIbLb1EES1I_IbLb0EEEEDaS1E_S1F_EUlS1E_E_NS1_11comp_targetILNS1_3genE10ELNS1_11target_archE1200ELNS1_3gpuE4ELNS1_3repE0EEENS1_30default_config_static_selectorELNS0_4arch9wavefront6targetE0EEEvT1_
    .private_segment_fixed_size: 0
    .sgpr_count:     0
    .sgpr_spill_count: 0
    .symbol:         _ZN7rocprim17ROCPRIM_400000_NS6detail17trampoline_kernelINS0_14default_configENS1_25partition_config_selectorILNS1_17partition_subalgoE6EN6thrust23THRUST_200600_302600_NS5tupleIssNS7_9null_typeES9_S9_S9_S9_S9_S9_S9_EENS0_10empty_typeEbEEZZNS1_14partition_implILS5_6ELb0ES3_mNS7_12zip_iteratorINS8_INS7_6detail15normal_iteratorINS7_10device_ptrIsEEEESJ_S9_S9_S9_S9_S9_S9_S9_S9_EEEEPSB_SM_NS0_5tupleIJNSE_INS8_ISJ_NS7_16discard_iteratorINS7_11use_defaultEEES9_S9_S9_S9_S9_S9_S9_S9_EEEESB_EEENSN_IJSM_SM_EEESB_PlJNSF_9not_fun_tINSF_14equal_to_valueISA_EEEEEEE10hipError_tPvRmT3_T4_T5_T6_T7_T9_mT8_P12ihipStream_tbDpT10_ENKUlT_T0_E_clISt17integral_constantIbLb1EES1I_IbLb0EEEEDaS1E_S1F_EUlS1E_E_NS1_11comp_targetILNS1_3genE10ELNS1_11target_archE1200ELNS1_3gpuE4ELNS1_3repE0EEENS1_30default_config_static_selectorELNS0_4arch9wavefront6targetE0EEEvT1_.kd
    .uniform_work_group_size: 1
    .uses_dynamic_stack: false
    .vgpr_count:     0
    .vgpr_spill_count: 0
    .wavefront_size: 32
    .workgroup_processor_mode: 1
  - .args:
      - .offset:         0
        .size:           144
        .value_kind:     by_value
    .group_segment_fixed_size: 0
    .kernarg_segment_align: 8
    .kernarg_segment_size: 144
    .language:       OpenCL C
    .language_version:
      - 2
      - 0
    .max_flat_workgroup_size: 128
    .name:           _ZN7rocprim17ROCPRIM_400000_NS6detail17trampoline_kernelINS0_14default_configENS1_25partition_config_selectorILNS1_17partition_subalgoE6EN6thrust23THRUST_200600_302600_NS5tupleIssNS7_9null_typeES9_S9_S9_S9_S9_S9_S9_EENS0_10empty_typeEbEEZZNS1_14partition_implILS5_6ELb0ES3_mNS7_12zip_iteratorINS8_INS7_6detail15normal_iteratorINS7_10device_ptrIsEEEESJ_S9_S9_S9_S9_S9_S9_S9_S9_EEEEPSB_SM_NS0_5tupleIJNSE_INS8_ISJ_NS7_16discard_iteratorINS7_11use_defaultEEES9_S9_S9_S9_S9_S9_S9_S9_EEEESB_EEENSN_IJSM_SM_EEESB_PlJNSF_9not_fun_tINSF_14equal_to_valueISA_EEEEEEE10hipError_tPvRmT3_T4_T5_T6_T7_T9_mT8_P12ihipStream_tbDpT10_ENKUlT_T0_E_clISt17integral_constantIbLb1EES1I_IbLb0EEEEDaS1E_S1F_EUlS1E_E_NS1_11comp_targetILNS1_3genE9ELNS1_11target_archE1100ELNS1_3gpuE3ELNS1_3repE0EEENS1_30default_config_static_selectorELNS0_4arch9wavefront6targetE0EEEvT1_
    .private_segment_fixed_size: 0
    .sgpr_count:     0
    .sgpr_spill_count: 0
    .symbol:         _ZN7rocprim17ROCPRIM_400000_NS6detail17trampoline_kernelINS0_14default_configENS1_25partition_config_selectorILNS1_17partition_subalgoE6EN6thrust23THRUST_200600_302600_NS5tupleIssNS7_9null_typeES9_S9_S9_S9_S9_S9_S9_EENS0_10empty_typeEbEEZZNS1_14partition_implILS5_6ELb0ES3_mNS7_12zip_iteratorINS8_INS7_6detail15normal_iteratorINS7_10device_ptrIsEEEESJ_S9_S9_S9_S9_S9_S9_S9_S9_EEEEPSB_SM_NS0_5tupleIJNSE_INS8_ISJ_NS7_16discard_iteratorINS7_11use_defaultEEES9_S9_S9_S9_S9_S9_S9_S9_EEEESB_EEENSN_IJSM_SM_EEESB_PlJNSF_9not_fun_tINSF_14equal_to_valueISA_EEEEEEE10hipError_tPvRmT3_T4_T5_T6_T7_T9_mT8_P12ihipStream_tbDpT10_ENKUlT_T0_E_clISt17integral_constantIbLb1EES1I_IbLb0EEEEDaS1E_S1F_EUlS1E_E_NS1_11comp_targetILNS1_3genE9ELNS1_11target_archE1100ELNS1_3gpuE3ELNS1_3repE0EEENS1_30default_config_static_selectorELNS0_4arch9wavefront6targetE0EEEvT1_.kd
    .uniform_work_group_size: 1
    .uses_dynamic_stack: false
    .vgpr_count:     0
    .vgpr_spill_count: 0
    .wavefront_size: 32
    .workgroup_processor_mode: 1
  - .args:
      - .offset:         0
        .size:           144
        .value_kind:     by_value
    .group_segment_fixed_size: 0
    .kernarg_segment_align: 8
    .kernarg_segment_size: 144
    .language:       OpenCL C
    .language_version:
      - 2
      - 0
    .max_flat_workgroup_size: 512
    .name:           _ZN7rocprim17ROCPRIM_400000_NS6detail17trampoline_kernelINS0_14default_configENS1_25partition_config_selectorILNS1_17partition_subalgoE6EN6thrust23THRUST_200600_302600_NS5tupleIssNS7_9null_typeES9_S9_S9_S9_S9_S9_S9_EENS0_10empty_typeEbEEZZNS1_14partition_implILS5_6ELb0ES3_mNS7_12zip_iteratorINS8_INS7_6detail15normal_iteratorINS7_10device_ptrIsEEEESJ_S9_S9_S9_S9_S9_S9_S9_S9_EEEEPSB_SM_NS0_5tupleIJNSE_INS8_ISJ_NS7_16discard_iteratorINS7_11use_defaultEEES9_S9_S9_S9_S9_S9_S9_S9_EEEESB_EEENSN_IJSM_SM_EEESB_PlJNSF_9not_fun_tINSF_14equal_to_valueISA_EEEEEEE10hipError_tPvRmT3_T4_T5_T6_T7_T9_mT8_P12ihipStream_tbDpT10_ENKUlT_T0_E_clISt17integral_constantIbLb1EES1I_IbLb0EEEEDaS1E_S1F_EUlS1E_E_NS1_11comp_targetILNS1_3genE8ELNS1_11target_archE1030ELNS1_3gpuE2ELNS1_3repE0EEENS1_30default_config_static_selectorELNS0_4arch9wavefront6targetE0EEEvT1_
    .private_segment_fixed_size: 0
    .sgpr_count:     0
    .sgpr_spill_count: 0
    .symbol:         _ZN7rocprim17ROCPRIM_400000_NS6detail17trampoline_kernelINS0_14default_configENS1_25partition_config_selectorILNS1_17partition_subalgoE6EN6thrust23THRUST_200600_302600_NS5tupleIssNS7_9null_typeES9_S9_S9_S9_S9_S9_S9_EENS0_10empty_typeEbEEZZNS1_14partition_implILS5_6ELb0ES3_mNS7_12zip_iteratorINS8_INS7_6detail15normal_iteratorINS7_10device_ptrIsEEEESJ_S9_S9_S9_S9_S9_S9_S9_S9_EEEEPSB_SM_NS0_5tupleIJNSE_INS8_ISJ_NS7_16discard_iteratorINS7_11use_defaultEEES9_S9_S9_S9_S9_S9_S9_S9_EEEESB_EEENSN_IJSM_SM_EEESB_PlJNSF_9not_fun_tINSF_14equal_to_valueISA_EEEEEEE10hipError_tPvRmT3_T4_T5_T6_T7_T9_mT8_P12ihipStream_tbDpT10_ENKUlT_T0_E_clISt17integral_constantIbLb1EES1I_IbLb0EEEEDaS1E_S1F_EUlS1E_E_NS1_11comp_targetILNS1_3genE8ELNS1_11target_archE1030ELNS1_3gpuE2ELNS1_3repE0EEENS1_30default_config_static_selectorELNS0_4arch9wavefront6targetE0EEEvT1_.kd
    .uniform_work_group_size: 1
    .uses_dynamic_stack: false
    .vgpr_count:     0
    .vgpr_spill_count: 0
    .wavefront_size: 32
    .workgroup_processor_mode: 1
  - .args:
      - .offset:         0
        .size:           152
        .value_kind:     by_value
    .group_segment_fixed_size: 0
    .kernarg_segment_align: 8
    .kernarg_segment_size: 152
    .language:       OpenCL C
    .language_version:
      - 2
      - 0
    .max_flat_workgroup_size: 256
    .name:           _ZN7rocprim17ROCPRIM_400000_NS6detail17trampoline_kernelINS0_14default_configENS1_25partition_config_selectorILNS1_17partition_subalgoE6EN6thrust23THRUST_200600_302600_NS5tupleIssNS7_9null_typeES9_S9_S9_S9_S9_S9_S9_EENS0_10empty_typeEbEEZZNS1_14partition_implILS5_6ELb0ES3_mNS7_12zip_iteratorINS8_INS7_6detail15normal_iteratorINS7_10device_ptrIsEEEESJ_S9_S9_S9_S9_S9_S9_S9_S9_EEEEPSB_SM_NS0_5tupleIJNSE_INS8_ISJ_NS7_16discard_iteratorINS7_11use_defaultEEES9_S9_S9_S9_S9_S9_S9_S9_EEEESB_EEENSN_IJSM_SM_EEESB_PlJNSF_9not_fun_tINSF_14equal_to_valueISA_EEEEEEE10hipError_tPvRmT3_T4_T5_T6_T7_T9_mT8_P12ihipStream_tbDpT10_ENKUlT_T0_E_clISt17integral_constantIbLb0EES1I_IbLb1EEEEDaS1E_S1F_EUlS1E_E_NS1_11comp_targetILNS1_3genE0ELNS1_11target_archE4294967295ELNS1_3gpuE0ELNS1_3repE0EEENS1_30default_config_static_selectorELNS0_4arch9wavefront6targetE0EEEvT1_
    .private_segment_fixed_size: 0
    .sgpr_count:     0
    .sgpr_spill_count: 0
    .symbol:         _ZN7rocprim17ROCPRIM_400000_NS6detail17trampoline_kernelINS0_14default_configENS1_25partition_config_selectorILNS1_17partition_subalgoE6EN6thrust23THRUST_200600_302600_NS5tupleIssNS7_9null_typeES9_S9_S9_S9_S9_S9_S9_EENS0_10empty_typeEbEEZZNS1_14partition_implILS5_6ELb0ES3_mNS7_12zip_iteratorINS8_INS7_6detail15normal_iteratorINS7_10device_ptrIsEEEESJ_S9_S9_S9_S9_S9_S9_S9_S9_EEEEPSB_SM_NS0_5tupleIJNSE_INS8_ISJ_NS7_16discard_iteratorINS7_11use_defaultEEES9_S9_S9_S9_S9_S9_S9_S9_EEEESB_EEENSN_IJSM_SM_EEESB_PlJNSF_9not_fun_tINSF_14equal_to_valueISA_EEEEEEE10hipError_tPvRmT3_T4_T5_T6_T7_T9_mT8_P12ihipStream_tbDpT10_ENKUlT_T0_E_clISt17integral_constantIbLb0EES1I_IbLb1EEEEDaS1E_S1F_EUlS1E_E_NS1_11comp_targetILNS1_3genE0ELNS1_11target_archE4294967295ELNS1_3gpuE0ELNS1_3repE0EEENS1_30default_config_static_selectorELNS0_4arch9wavefront6targetE0EEEvT1_.kd
    .uniform_work_group_size: 1
    .uses_dynamic_stack: false
    .vgpr_count:     0
    .vgpr_spill_count: 0
    .wavefront_size: 32
    .workgroup_processor_mode: 1
  - .args:
      - .offset:         0
        .size:           152
        .value_kind:     by_value
    .group_segment_fixed_size: 0
    .kernarg_segment_align: 8
    .kernarg_segment_size: 152
    .language:       OpenCL C
    .language_version:
      - 2
      - 0
    .max_flat_workgroup_size: 512
    .name:           _ZN7rocprim17ROCPRIM_400000_NS6detail17trampoline_kernelINS0_14default_configENS1_25partition_config_selectorILNS1_17partition_subalgoE6EN6thrust23THRUST_200600_302600_NS5tupleIssNS7_9null_typeES9_S9_S9_S9_S9_S9_S9_EENS0_10empty_typeEbEEZZNS1_14partition_implILS5_6ELb0ES3_mNS7_12zip_iteratorINS8_INS7_6detail15normal_iteratorINS7_10device_ptrIsEEEESJ_S9_S9_S9_S9_S9_S9_S9_S9_EEEEPSB_SM_NS0_5tupleIJNSE_INS8_ISJ_NS7_16discard_iteratorINS7_11use_defaultEEES9_S9_S9_S9_S9_S9_S9_S9_EEEESB_EEENSN_IJSM_SM_EEESB_PlJNSF_9not_fun_tINSF_14equal_to_valueISA_EEEEEEE10hipError_tPvRmT3_T4_T5_T6_T7_T9_mT8_P12ihipStream_tbDpT10_ENKUlT_T0_E_clISt17integral_constantIbLb0EES1I_IbLb1EEEEDaS1E_S1F_EUlS1E_E_NS1_11comp_targetILNS1_3genE5ELNS1_11target_archE942ELNS1_3gpuE9ELNS1_3repE0EEENS1_30default_config_static_selectorELNS0_4arch9wavefront6targetE0EEEvT1_
    .private_segment_fixed_size: 0
    .sgpr_count:     0
    .sgpr_spill_count: 0
    .symbol:         _ZN7rocprim17ROCPRIM_400000_NS6detail17trampoline_kernelINS0_14default_configENS1_25partition_config_selectorILNS1_17partition_subalgoE6EN6thrust23THRUST_200600_302600_NS5tupleIssNS7_9null_typeES9_S9_S9_S9_S9_S9_S9_EENS0_10empty_typeEbEEZZNS1_14partition_implILS5_6ELb0ES3_mNS7_12zip_iteratorINS8_INS7_6detail15normal_iteratorINS7_10device_ptrIsEEEESJ_S9_S9_S9_S9_S9_S9_S9_S9_EEEEPSB_SM_NS0_5tupleIJNSE_INS8_ISJ_NS7_16discard_iteratorINS7_11use_defaultEEES9_S9_S9_S9_S9_S9_S9_S9_EEEESB_EEENSN_IJSM_SM_EEESB_PlJNSF_9not_fun_tINSF_14equal_to_valueISA_EEEEEEE10hipError_tPvRmT3_T4_T5_T6_T7_T9_mT8_P12ihipStream_tbDpT10_ENKUlT_T0_E_clISt17integral_constantIbLb0EES1I_IbLb1EEEEDaS1E_S1F_EUlS1E_E_NS1_11comp_targetILNS1_3genE5ELNS1_11target_archE942ELNS1_3gpuE9ELNS1_3repE0EEENS1_30default_config_static_selectorELNS0_4arch9wavefront6targetE0EEEvT1_.kd
    .uniform_work_group_size: 1
    .uses_dynamic_stack: false
    .vgpr_count:     0
    .vgpr_spill_count: 0
    .wavefront_size: 32
    .workgroup_processor_mode: 1
  - .args:
      - .offset:         0
        .size:           152
        .value_kind:     by_value
    .group_segment_fixed_size: 0
    .kernarg_segment_align: 8
    .kernarg_segment_size: 152
    .language:       OpenCL C
    .language_version:
      - 2
      - 0
    .max_flat_workgroup_size: 512
    .name:           _ZN7rocprim17ROCPRIM_400000_NS6detail17trampoline_kernelINS0_14default_configENS1_25partition_config_selectorILNS1_17partition_subalgoE6EN6thrust23THRUST_200600_302600_NS5tupleIssNS7_9null_typeES9_S9_S9_S9_S9_S9_S9_EENS0_10empty_typeEbEEZZNS1_14partition_implILS5_6ELb0ES3_mNS7_12zip_iteratorINS8_INS7_6detail15normal_iteratorINS7_10device_ptrIsEEEESJ_S9_S9_S9_S9_S9_S9_S9_S9_EEEEPSB_SM_NS0_5tupleIJNSE_INS8_ISJ_NS7_16discard_iteratorINS7_11use_defaultEEES9_S9_S9_S9_S9_S9_S9_S9_EEEESB_EEENSN_IJSM_SM_EEESB_PlJNSF_9not_fun_tINSF_14equal_to_valueISA_EEEEEEE10hipError_tPvRmT3_T4_T5_T6_T7_T9_mT8_P12ihipStream_tbDpT10_ENKUlT_T0_E_clISt17integral_constantIbLb0EES1I_IbLb1EEEEDaS1E_S1F_EUlS1E_E_NS1_11comp_targetILNS1_3genE4ELNS1_11target_archE910ELNS1_3gpuE8ELNS1_3repE0EEENS1_30default_config_static_selectorELNS0_4arch9wavefront6targetE0EEEvT1_
    .private_segment_fixed_size: 0
    .sgpr_count:     0
    .sgpr_spill_count: 0
    .symbol:         _ZN7rocprim17ROCPRIM_400000_NS6detail17trampoline_kernelINS0_14default_configENS1_25partition_config_selectorILNS1_17partition_subalgoE6EN6thrust23THRUST_200600_302600_NS5tupleIssNS7_9null_typeES9_S9_S9_S9_S9_S9_S9_EENS0_10empty_typeEbEEZZNS1_14partition_implILS5_6ELb0ES3_mNS7_12zip_iteratorINS8_INS7_6detail15normal_iteratorINS7_10device_ptrIsEEEESJ_S9_S9_S9_S9_S9_S9_S9_S9_EEEEPSB_SM_NS0_5tupleIJNSE_INS8_ISJ_NS7_16discard_iteratorINS7_11use_defaultEEES9_S9_S9_S9_S9_S9_S9_S9_EEEESB_EEENSN_IJSM_SM_EEESB_PlJNSF_9not_fun_tINSF_14equal_to_valueISA_EEEEEEE10hipError_tPvRmT3_T4_T5_T6_T7_T9_mT8_P12ihipStream_tbDpT10_ENKUlT_T0_E_clISt17integral_constantIbLb0EES1I_IbLb1EEEEDaS1E_S1F_EUlS1E_E_NS1_11comp_targetILNS1_3genE4ELNS1_11target_archE910ELNS1_3gpuE8ELNS1_3repE0EEENS1_30default_config_static_selectorELNS0_4arch9wavefront6targetE0EEEvT1_.kd
    .uniform_work_group_size: 1
    .uses_dynamic_stack: false
    .vgpr_count:     0
    .vgpr_spill_count: 0
    .wavefront_size: 32
    .workgroup_processor_mode: 1
  - .args:
      - .offset:         0
        .size:           152
        .value_kind:     by_value
    .group_segment_fixed_size: 0
    .kernarg_segment_align: 8
    .kernarg_segment_size: 152
    .language:       OpenCL C
    .language_version:
      - 2
      - 0
    .max_flat_workgroup_size: 256
    .name:           _ZN7rocprim17ROCPRIM_400000_NS6detail17trampoline_kernelINS0_14default_configENS1_25partition_config_selectorILNS1_17partition_subalgoE6EN6thrust23THRUST_200600_302600_NS5tupleIssNS7_9null_typeES9_S9_S9_S9_S9_S9_S9_EENS0_10empty_typeEbEEZZNS1_14partition_implILS5_6ELb0ES3_mNS7_12zip_iteratorINS8_INS7_6detail15normal_iteratorINS7_10device_ptrIsEEEESJ_S9_S9_S9_S9_S9_S9_S9_S9_EEEEPSB_SM_NS0_5tupleIJNSE_INS8_ISJ_NS7_16discard_iteratorINS7_11use_defaultEEES9_S9_S9_S9_S9_S9_S9_S9_EEEESB_EEENSN_IJSM_SM_EEESB_PlJNSF_9not_fun_tINSF_14equal_to_valueISA_EEEEEEE10hipError_tPvRmT3_T4_T5_T6_T7_T9_mT8_P12ihipStream_tbDpT10_ENKUlT_T0_E_clISt17integral_constantIbLb0EES1I_IbLb1EEEEDaS1E_S1F_EUlS1E_E_NS1_11comp_targetILNS1_3genE3ELNS1_11target_archE908ELNS1_3gpuE7ELNS1_3repE0EEENS1_30default_config_static_selectorELNS0_4arch9wavefront6targetE0EEEvT1_
    .private_segment_fixed_size: 0
    .sgpr_count:     0
    .sgpr_spill_count: 0
    .symbol:         _ZN7rocprim17ROCPRIM_400000_NS6detail17trampoline_kernelINS0_14default_configENS1_25partition_config_selectorILNS1_17partition_subalgoE6EN6thrust23THRUST_200600_302600_NS5tupleIssNS7_9null_typeES9_S9_S9_S9_S9_S9_S9_EENS0_10empty_typeEbEEZZNS1_14partition_implILS5_6ELb0ES3_mNS7_12zip_iteratorINS8_INS7_6detail15normal_iteratorINS7_10device_ptrIsEEEESJ_S9_S9_S9_S9_S9_S9_S9_S9_EEEEPSB_SM_NS0_5tupleIJNSE_INS8_ISJ_NS7_16discard_iteratorINS7_11use_defaultEEES9_S9_S9_S9_S9_S9_S9_S9_EEEESB_EEENSN_IJSM_SM_EEESB_PlJNSF_9not_fun_tINSF_14equal_to_valueISA_EEEEEEE10hipError_tPvRmT3_T4_T5_T6_T7_T9_mT8_P12ihipStream_tbDpT10_ENKUlT_T0_E_clISt17integral_constantIbLb0EES1I_IbLb1EEEEDaS1E_S1F_EUlS1E_E_NS1_11comp_targetILNS1_3genE3ELNS1_11target_archE908ELNS1_3gpuE7ELNS1_3repE0EEENS1_30default_config_static_selectorELNS0_4arch9wavefront6targetE0EEEvT1_.kd
    .uniform_work_group_size: 1
    .uses_dynamic_stack: false
    .vgpr_count:     0
    .vgpr_spill_count: 0
    .wavefront_size: 32
    .workgroup_processor_mode: 1
  - .args:
      - .offset:         0
        .size:           152
        .value_kind:     by_value
    .group_segment_fixed_size: 0
    .kernarg_segment_align: 8
    .kernarg_segment_size: 152
    .language:       OpenCL C
    .language_version:
      - 2
      - 0
    .max_flat_workgroup_size: 192
    .name:           _ZN7rocprim17ROCPRIM_400000_NS6detail17trampoline_kernelINS0_14default_configENS1_25partition_config_selectorILNS1_17partition_subalgoE6EN6thrust23THRUST_200600_302600_NS5tupleIssNS7_9null_typeES9_S9_S9_S9_S9_S9_S9_EENS0_10empty_typeEbEEZZNS1_14partition_implILS5_6ELb0ES3_mNS7_12zip_iteratorINS8_INS7_6detail15normal_iteratorINS7_10device_ptrIsEEEESJ_S9_S9_S9_S9_S9_S9_S9_S9_EEEEPSB_SM_NS0_5tupleIJNSE_INS8_ISJ_NS7_16discard_iteratorINS7_11use_defaultEEES9_S9_S9_S9_S9_S9_S9_S9_EEEESB_EEENSN_IJSM_SM_EEESB_PlJNSF_9not_fun_tINSF_14equal_to_valueISA_EEEEEEE10hipError_tPvRmT3_T4_T5_T6_T7_T9_mT8_P12ihipStream_tbDpT10_ENKUlT_T0_E_clISt17integral_constantIbLb0EES1I_IbLb1EEEEDaS1E_S1F_EUlS1E_E_NS1_11comp_targetILNS1_3genE2ELNS1_11target_archE906ELNS1_3gpuE6ELNS1_3repE0EEENS1_30default_config_static_selectorELNS0_4arch9wavefront6targetE0EEEvT1_
    .private_segment_fixed_size: 0
    .sgpr_count:     0
    .sgpr_spill_count: 0
    .symbol:         _ZN7rocprim17ROCPRIM_400000_NS6detail17trampoline_kernelINS0_14default_configENS1_25partition_config_selectorILNS1_17partition_subalgoE6EN6thrust23THRUST_200600_302600_NS5tupleIssNS7_9null_typeES9_S9_S9_S9_S9_S9_S9_EENS0_10empty_typeEbEEZZNS1_14partition_implILS5_6ELb0ES3_mNS7_12zip_iteratorINS8_INS7_6detail15normal_iteratorINS7_10device_ptrIsEEEESJ_S9_S9_S9_S9_S9_S9_S9_S9_EEEEPSB_SM_NS0_5tupleIJNSE_INS8_ISJ_NS7_16discard_iteratorINS7_11use_defaultEEES9_S9_S9_S9_S9_S9_S9_S9_EEEESB_EEENSN_IJSM_SM_EEESB_PlJNSF_9not_fun_tINSF_14equal_to_valueISA_EEEEEEE10hipError_tPvRmT3_T4_T5_T6_T7_T9_mT8_P12ihipStream_tbDpT10_ENKUlT_T0_E_clISt17integral_constantIbLb0EES1I_IbLb1EEEEDaS1E_S1F_EUlS1E_E_NS1_11comp_targetILNS1_3genE2ELNS1_11target_archE906ELNS1_3gpuE6ELNS1_3repE0EEENS1_30default_config_static_selectorELNS0_4arch9wavefront6targetE0EEEvT1_.kd
    .uniform_work_group_size: 1
    .uses_dynamic_stack: false
    .vgpr_count:     0
    .vgpr_spill_count: 0
    .wavefront_size: 32
    .workgroup_processor_mode: 1
  - .args:
      - .offset:         0
        .size:           152
        .value_kind:     by_value
    .group_segment_fixed_size: 10768
    .kernarg_segment_align: 8
    .kernarg_segment_size: 152
    .language:       OpenCL C
    .language_version:
      - 2
      - 0
    .max_flat_workgroup_size: 384
    .name:           _ZN7rocprim17ROCPRIM_400000_NS6detail17trampoline_kernelINS0_14default_configENS1_25partition_config_selectorILNS1_17partition_subalgoE6EN6thrust23THRUST_200600_302600_NS5tupleIssNS7_9null_typeES9_S9_S9_S9_S9_S9_S9_EENS0_10empty_typeEbEEZZNS1_14partition_implILS5_6ELb0ES3_mNS7_12zip_iteratorINS8_INS7_6detail15normal_iteratorINS7_10device_ptrIsEEEESJ_S9_S9_S9_S9_S9_S9_S9_S9_EEEEPSB_SM_NS0_5tupleIJNSE_INS8_ISJ_NS7_16discard_iteratorINS7_11use_defaultEEES9_S9_S9_S9_S9_S9_S9_S9_EEEESB_EEENSN_IJSM_SM_EEESB_PlJNSF_9not_fun_tINSF_14equal_to_valueISA_EEEEEEE10hipError_tPvRmT3_T4_T5_T6_T7_T9_mT8_P12ihipStream_tbDpT10_ENKUlT_T0_E_clISt17integral_constantIbLb0EES1I_IbLb1EEEEDaS1E_S1F_EUlS1E_E_NS1_11comp_targetILNS1_3genE10ELNS1_11target_archE1200ELNS1_3gpuE4ELNS1_3repE0EEENS1_30default_config_static_selectorELNS0_4arch9wavefront6targetE0EEEvT1_
    .private_segment_fixed_size: 0
    .sgpr_count:     28
    .sgpr_spill_count: 0
    .symbol:         _ZN7rocprim17ROCPRIM_400000_NS6detail17trampoline_kernelINS0_14default_configENS1_25partition_config_selectorILNS1_17partition_subalgoE6EN6thrust23THRUST_200600_302600_NS5tupleIssNS7_9null_typeES9_S9_S9_S9_S9_S9_S9_EENS0_10empty_typeEbEEZZNS1_14partition_implILS5_6ELb0ES3_mNS7_12zip_iteratorINS8_INS7_6detail15normal_iteratorINS7_10device_ptrIsEEEESJ_S9_S9_S9_S9_S9_S9_S9_S9_EEEEPSB_SM_NS0_5tupleIJNSE_INS8_ISJ_NS7_16discard_iteratorINS7_11use_defaultEEES9_S9_S9_S9_S9_S9_S9_S9_EEEESB_EEENSN_IJSM_SM_EEESB_PlJNSF_9not_fun_tINSF_14equal_to_valueISA_EEEEEEE10hipError_tPvRmT3_T4_T5_T6_T7_T9_mT8_P12ihipStream_tbDpT10_ENKUlT_T0_E_clISt17integral_constantIbLb0EES1I_IbLb1EEEEDaS1E_S1F_EUlS1E_E_NS1_11comp_targetILNS1_3genE10ELNS1_11target_archE1200ELNS1_3gpuE4ELNS1_3repE0EEENS1_30default_config_static_selectorELNS0_4arch9wavefront6targetE0EEEvT1_.kd
    .uniform_work_group_size: 1
    .uses_dynamic_stack: false
    .vgpr_count:     51
    .vgpr_spill_count: 0
    .wavefront_size: 32
    .workgroup_processor_mode: 1
  - .args:
      - .offset:         0
        .size:           152
        .value_kind:     by_value
    .group_segment_fixed_size: 0
    .kernarg_segment_align: 8
    .kernarg_segment_size: 152
    .language:       OpenCL C
    .language_version:
      - 2
      - 0
    .max_flat_workgroup_size: 128
    .name:           _ZN7rocprim17ROCPRIM_400000_NS6detail17trampoline_kernelINS0_14default_configENS1_25partition_config_selectorILNS1_17partition_subalgoE6EN6thrust23THRUST_200600_302600_NS5tupleIssNS7_9null_typeES9_S9_S9_S9_S9_S9_S9_EENS0_10empty_typeEbEEZZNS1_14partition_implILS5_6ELb0ES3_mNS7_12zip_iteratorINS8_INS7_6detail15normal_iteratorINS7_10device_ptrIsEEEESJ_S9_S9_S9_S9_S9_S9_S9_S9_EEEEPSB_SM_NS0_5tupleIJNSE_INS8_ISJ_NS7_16discard_iteratorINS7_11use_defaultEEES9_S9_S9_S9_S9_S9_S9_S9_EEEESB_EEENSN_IJSM_SM_EEESB_PlJNSF_9not_fun_tINSF_14equal_to_valueISA_EEEEEEE10hipError_tPvRmT3_T4_T5_T6_T7_T9_mT8_P12ihipStream_tbDpT10_ENKUlT_T0_E_clISt17integral_constantIbLb0EES1I_IbLb1EEEEDaS1E_S1F_EUlS1E_E_NS1_11comp_targetILNS1_3genE9ELNS1_11target_archE1100ELNS1_3gpuE3ELNS1_3repE0EEENS1_30default_config_static_selectorELNS0_4arch9wavefront6targetE0EEEvT1_
    .private_segment_fixed_size: 0
    .sgpr_count:     0
    .sgpr_spill_count: 0
    .symbol:         _ZN7rocprim17ROCPRIM_400000_NS6detail17trampoline_kernelINS0_14default_configENS1_25partition_config_selectorILNS1_17partition_subalgoE6EN6thrust23THRUST_200600_302600_NS5tupleIssNS7_9null_typeES9_S9_S9_S9_S9_S9_S9_EENS0_10empty_typeEbEEZZNS1_14partition_implILS5_6ELb0ES3_mNS7_12zip_iteratorINS8_INS7_6detail15normal_iteratorINS7_10device_ptrIsEEEESJ_S9_S9_S9_S9_S9_S9_S9_S9_EEEEPSB_SM_NS0_5tupleIJNSE_INS8_ISJ_NS7_16discard_iteratorINS7_11use_defaultEEES9_S9_S9_S9_S9_S9_S9_S9_EEEESB_EEENSN_IJSM_SM_EEESB_PlJNSF_9not_fun_tINSF_14equal_to_valueISA_EEEEEEE10hipError_tPvRmT3_T4_T5_T6_T7_T9_mT8_P12ihipStream_tbDpT10_ENKUlT_T0_E_clISt17integral_constantIbLb0EES1I_IbLb1EEEEDaS1E_S1F_EUlS1E_E_NS1_11comp_targetILNS1_3genE9ELNS1_11target_archE1100ELNS1_3gpuE3ELNS1_3repE0EEENS1_30default_config_static_selectorELNS0_4arch9wavefront6targetE0EEEvT1_.kd
    .uniform_work_group_size: 1
    .uses_dynamic_stack: false
    .vgpr_count:     0
    .vgpr_spill_count: 0
    .wavefront_size: 32
    .workgroup_processor_mode: 1
  - .args:
      - .offset:         0
        .size:           152
        .value_kind:     by_value
    .group_segment_fixed_size: 0
    .kernarg_segment_align: 8
    .kernarg_segment_size: 152
    .language:       OpenCL C
    .language_version:
      - 2
      - 0
    .max_flat_workgroup_size: 512
    .name:           _ZN7rocprim17ROCPRIM_400000_NS6detail17trampoline_kernelINS0_14default_configENS1_25partition_config_selectorILNS1_17partition_subalgoE6EN6thrust23THRUST_200600_302600_NS5tupleIssNS7_9null_typeES9_S9_S9_S9_S9_S9_S9_EENS0_10empty_typeEbEEZZNS1_14partition_implILS5_6ELb0ES3_mNS7_12zip_iteratorINS8_INS7_6detail15normal_iteratorINS7_10device_ptrIsEEEESJ_S9_S9_S9_S9_S9_S9_S9_S9_EEEEPSB_SM_NS0_5tupleIJNSE_INS8_ISJ_NS7_16discard_iteratorINS7_11use_defaultEEES9_S9_S9_S9_S9_S9_S9_S9_EEEESB_EEENSN_IJSM_SM_EEESB_PlJNSF_9not_fun_tINSF_14equal_to_valueISA_EEEEEEE10hipError_tPvRmT3_T4_T5_T6_T7_T9_mT8_P12ihipStream_tbDpT10_ENKUlT_T0_E_clISt17integral_constantIbLb0EES1I_IbLb1EEEEDaS1E_S1F_EUlS1E_E_NS1_11comp_targetILNS1_3genE8ELNS1_11target_archE1030ELNS1_3gpuE2ELNS1_3repE0EEENS1_30default_config_static_selectorELNS0_4arch9wavefront6targetE0EEEvT1_
    .private_segment_fixed_size: 0
    .sgpr_count:     0
    .sgpr_spill_count: 0
    .symbol:         _ZN7rocprim17ROCPRIM_400000_NS6detail17trampoline_kernelINS0_14default_configENS1_25partition_config_selectorILNS1_17partition_subalgoE6EN6thrust23THRUST_200600_302600_NS5tupleIssNS7_9null_typeES9_S9_S9_S9_S9_S9_S9_EENS0_10empty_typeEbEEZZNS1_14partition_implILS5_6ELb0ES3_mNS7_12zip_iteratorINS8_INS7_6detail15normal_iteratorINS7_10device_ptrIsEEEESJ_S9_S9_S9_S9_S9_S9_S9_S9_EEEEPSB_SM_NS0_5tupleIJNSE_INS8_ISJ_NS7_16discard_iteratorINS7_11use_defaultEEES9_S9_S9_S9_S9_S9_S9_S9_EEEESB_EEENSN_IJSM_SM_EEESB_PlJNSF_9not_fun_tINSF_14equal_to_valueISA_EEEEEEE10hipError_tPvRmT3_T4_T5_T6_T7_T9_mT8_P12ihipStream_tbDpT10_ENKUlT_T0_E_clISt17integral_constantIbLb0EES1I_IbLb1EEEEDaS1E_S1F_EUlS1E_E_NS1_11comp_targetILNS1_3genE8ELNS1_11target_archE1030ELNS1_3gpuE2ELNS1_3repE0EEENS1_30default_config_static_selectorELNS0_4arch9wavefront6targetE0EEEvT1_.kd
    .uniform_work_group_size: 1
    .uses_dynamic_stack: false
    .vgpr_count:     0
    .vgpr_spill_count: 0
    .wavefront_size: 32
    .workgroup_processor_mode: 1
  - .args:
      - .offset:         0
        .size:           120
        .value_kind:     by_value
    .group_segment_fixed_size: 0
    .kernarg_segment_align: 8
    .kernarg_segment_size: 120
    .language:       OpenCL C
    .language_version:
      - 2
      - 0
    .max_flat_workgroup_size: 128
    .name:           _ZN7rocprim17ROCPRIM_400000_NS6detail17trampoline_kernelINS0_14default_configENS1_25partition_config_selectorILNS1_17partition_subalgoE6EdNS0_10empty_typeEbEEZZNS1_14partition_implILS5_6ELb0ES3_mN6thrust23THRUST_200600_302600_NS6detail15normal_iteratorINSA_10device_ptrIdEEEEPS6_SG_NS0_5tupleIJNSA_16discard_iteratorINSA_11use_defaultEEES6_EEENSH_IJSG_SG_EEES6_PlJNSB_9not_fun_tI7is_trueIdEEEEEE10hipError_tPvRmT3_T4_T5_T6_T7_T9_mT8_P12ihipStream_tbDpT10_ENKUlT_T0_E_clISt17integral_constantIbLb0EES1B_EEDaS16_S17_EUlS16_E_NS1_11comp_targetILNS1_3genE0ELNS1_11target_archE4294967295ELNS1_3gpuE0ELNS1_3repE0EEENS1_30default_config_static_selectorELNS0_4arch9wavefront6targetE0EEEvT1_
    .private_segment_fixed_size: 0
    .sgpr_count:     0
    .sgpr_spill_count: 0
    .symbol:         _ZN7rocprim17ROCPRIM_400000_NS6detail17trampoline_kernelINS0_14default_configENS1_25partition_config_selectorILNS1_17partition_subalgoE6EdNS0_10empty_typeEbEEZZNS1_14partition_implILS5_6ELb0ES3_mN6thrust23THRUST_200600_302600_NS6detail15normal_iteratorINSA_10device_ptrIdEEEEPS6_SG_NS0_5tupleIJNSA_16discard_iteratorINSA_11use_defaultEEES6_EEENSH_IJSG_SG_EEES6_PlJNSB_9not_fun_tI7is_trueIdEEEEEE10hipError_tPvRmT3_T4_T5_T6_T7_T9_mT8_P12ihipStream_tbDpT10_ENKUlT_T0_E_clISt17integral_constantIbLb0EES1B_EEDaS16_S17_EUlS16_E_NS1_11comp_targetILNS1_3genE0ELNS1_11target_archE4294967295ELNS1_3gpuE0ELNS1_3repE0EEENS1_30default_config_static_selectorELNS0_4arch9wavefront6targetE0EEEvT1_.kd
    .uniform_work_group_size: 1
    .uses_dynamic_stack: false
    .vgpr_count:     0
    .vgpr_spill_count: 0
    .wavefront_size: 32
    .workgroup_processor_mode: 1
  - .args:
      - .offset:         0
        .size:           120
        .value_kind:     by_value
    .group_segment_fixed_size: 0
    .kernarg_segment_align: 8
    .kernarg_segment_size: 120
    .language:       OpenCL C
    .language_version:
      - 2
      - 0
    .max_flat_workgroup_size: 512
    .name:           _ZN7rocprim17ROCPRIM_400000_NS6detail17trampoline_kernelINS0_14default_configENS1_25partition_config_selectorILNS1_17partition_subalgoE6EdNS0_10empty_typeEbEEZZNS1_14partition_implILS5_6ELb0ES3_mN6thrust23THRUST_200600_302600_NS6detail15normal_iteratorINSA_10device_ptrIdEEEEPS6_SG_NS0_5tupleIJNSA_16discard_iteratorINSA_11use_defaultEEES6_EEENSH_IJSG_SG_EEES6_PlJNSB_9not_fun_tI7is_trueIdEEEEEE10hipError_tPvRmT3_T4_T5_T6_T7_T9_mT8_P12ihipStream_tbDpT10_ENKUlT_T0_E_clISt17integral_constantIbLb0EES1B_EEDaS16_S17_EUlS16_E_NS1_11comp_targetILNS1_3genE5ELNS1_11target_archE942ELNS1_3gpuE9ELNS1_3repE0EEENS1_30default_config_static_selectorELNS0_4arch9wavefront6targetE0EEEvT1_
    .private_segment_fixed_size: 0
    .sgpr_count:     0
    .sgpr_spill_count: 0
    .symbol:         _ZN7rocprim17ROCPRIM_400000_NS6detail17trampoline_kernelINS0_14default_configENS1_25partition_config_selectorILNS1_17partition_subalgoE6EdNS0_10empty_typeEbEEZZNS1_14partition_implILS5_6ELb0ES3_mN6thrust23THRUST_200600_302600_NS6detail15normal_iteratorINSA_10device_ptrIdEEEEPS6_SG_NS0_5tupleIJNSA_16discard_iteratorINSA_11use_defaultEEES6_EEENSH_IJSG_SG_EEES6_PlJNSB_9not_fun_tI7is_trueIdEEEEEE10hipError_tPvRmT3_T4_T5_T6_T7_T9_mT8_P12ihipStream_tbDpT10_ENKUlT_T0_E_clISt17integral_constantIbLb0EES1B_EEDaS16_S17_EUlS16_E_NS1_11comp_targetILNS1_3genE5ELNS1_11target_archE942ELNS1_3gpuE9ELNS1_3repE0EEENS1_30default_config_static_selectorELNS0_4arch9wavefront6targetE0EEEvT1_.kd
    .uniform_work_group_size: 1
    .uses_dynamic_stack: false
    .vgpr_count:     0
    .vgpr_spill_count: 0
    .wavefront_size: 32
    .workgroup_processor_mode: 1
  - .args:
      - .offset:         0
        .size:           120
        .value_kind:     by_value
    .group_segment_fixed_size: 0
    .kernarg_segment_align: 8
    .kernarg_segment_size: 120
    .language:       OpenCL C
    .language_version:
      - 2
      - 0
    .max_flat_workgroup_size: 128
    .name:           _ZN7rocprim17ROCPRIM_400000_NS6detail17trampoline_kernelINS0_14default_configENS1_25partition_config_selectorILNS1_17partition_subalgoE6EdNS0_10empty_typeEbEEZZNS1_14partition_implILS5_6ELb0ES3_mN6thrust23THRUST_200600_302600_NS6detail15normal_iteratorINSA_10device_ptrIdEEEEPS6_SG_NS0_5tupleIJNSA_16discard_iteratorINSA_11use_defaultEEES6_EEENSH_IJSG_SG_EEES6_PlJNSB_9not_fun_tI7is_trueIdEEEEEE10hipError_tPvRmT3_T4_T5_T6_T7_T9_mT8_P12ihipStream_tbDpT10_ENKUlT_T0_E_clISt17integral_constantIbLb0EES1B_EEDaS16_S17_EUlS16_E_NS1_11comp_targetILNS1_3genE4ELNS1_11target_archE910ELNS1_3gpuE8ELNS1_3repE0EEENS1_30default_config_static_selectorELNS0_4arch9wavefront6targetE0EEEvT1_
    .private_segment_fixed_size: 0
    .sgpr_count:     0
    .sgpr_spill_count: 0
    .symbol:         _ZN7rocprim17ROCPRIM_400000_NS6detail17trampoline_kernelINS0_14default_configENS1_25partition_config_selectorILNS1_17partition_subalgoE6EdNS0_10empty_typeEbEEZZNS1_14partition_implILS5_6ELb0ES3_mN6thrust23THRUST_200600_302600_NS6detail15normal_iteratorINSA_10device_ptrIdEEEEPS6_SG_NS0_5tupleIJNSA_16discard_iteratorINSA_11use_defaultEEES6_EEENSH_IJSG_SG_EEES6_PlJNSB_9not_fun_tI7is_trueIdEEEEEE10hipError_tPvRmT3_T4_T5_T6_T7_T9_mT8_P12ihipStream_tbDpT10_ENKUlT_T0_E_clISt17integral_constantIbLb0EES1B_EEDaS16_S17_EUlS16_E_NS1_11comp_targetILNS1_3genE4ELNS1_11target_archE910ELNS1_3gpuE8ELNS1_3repE0EEENS1_30default_config_static_selectorELNS0_4arch9wavefront6targetE0EEEvT1_.kd
    .uniform_work_group_size: 1
    .uses_dynamic_stack: false
    .vgpr_count:     0
    .vgpr_spill_count: 0
    .wavefront_size: 32
    .workgroup_processor_mode: 1
  - .args:
      - .offset:         0
        .size:           120
        .value_kind:     by_value
    .group_segment_fixed_size: 0
    .kernarg_segment_align: 8
    .kernarg_segment_size: 120
    .language:       OpenCL C
    .language_version:
      - 2
      - 0
    .max_flat_workgroup_size: 128
    .name:           _ZN7rocprim17ROCPRIM_400000_NS6detail17trampoline_kernelINS0_14default_configENS1_25partition_config_selectorILNS1_17partition_subalgoE6EdNS0_10empty_typeEbEEZZNS1_14partition_implILS5_6ELb0ES3_mN6thrust23THRUST_200600_302600_NS6detail15normal_iteratorINSA_10device_ptrIdEEEEPS6_SG_NS0_5tupleIJNSA_16discard_iteratorINSA_11use_defaultEEES6_EEENSH_IJSG_SG_EEES6_PlJNSB_9not_fun_tI7is_trueIdEEEEEE10hipError_tPvRmT3_T4_T5_T6_T7_T9_mT8_P12ihipStream_tbDpT10_ENKUlT_T0_E_clISt17integral_constantIbLb0EES1B_EEDaS16_S17_EUlS16_E_NS1_11comp_targetILNS1_3genE3ELNS1_11target_archE908ELNS1_3gpuE7ELNS1_3repE0EEENS1_30default_config_static_selectorELNS0_4arch9wavefront6targetE0EEEvT1_
    .private_segment_fixed_size: 0
    .sgpr_count:     0
    .sgpr_spill_count: 0
    .symbol:         _ZN7rocprim17ROCPRIM_400000_NS6detail17trampoline_kernelINS0_14default_configENS1_25partition_config_selectorILNS1_17partition_subalgoE6EdNS0_10empty_typeEbEEZZNS1_14partition_implILS5_6ELb0ES3_mN6thrust23THRUST_200600_302600_NS6detail15normal_iteratorINSA_10device_ptrIdEEEEPS6_SG_NS0_5tupleIJNSA_16discard_iteratorINSA_11use_defaultEEES6_EEENSH_IJSG_SG_EEES6_PlJNSB_9not_fun_tI7is_trueIdEEEEEE10hipError_tPvRmT3_T4_T5_T6_T7_T9_mT8_P12ihipStream_tbDpT10_ENKUlT_T0_E_clISt17integral_constantIbLb0EES1B_EEDaS16_S17_EUlS16_E_NS1_11comp_targetILNS1_3genE3ELNS1_11target_archE908ELNS1_3gpuE7ELNS1_3repE0EEENS1_30default_config_static_selectorELNS0_4arch9wavefront6targetE0EEEvT1_.kd
    .uniform_work_group_size: 1
    .uses_dynamic_stack: false
    .vgpr_count:     0
    .vgpr_spill_count: 0
    .wavefront_size: 32
    .workgroup_processor_mode: 1
  - .args:
      - .offset:         0
        .size:           120
        .value_kind:     by_value
    .group_segment_fixed_size: 0
    .kernarg_segment_align: 8
    .kernarg_segment_size: 120
    .language:       OpenCL C
    .language_version:
      - 2
      - 0
    .max_flat_workgroup_size: 256
    .name:           _ZN7rocprim17ROCPRIM_400000_NS6detail17trampoline_kernelINS0_14default_configENS1_25partition_config_selectorILNS1_17partition_subalgoE6EdNS0_10empty_typeEbEEZZNS1_14partition_implILS5_6ELb0ES3_mN6thrust23THRUST_200600_302600_NS6detail15normal_iteratorINSA_10device_ptrIdEEEEPS6_SG_NS0_5tupleIJNSA_16discard_iteratorINSA_11use_defaultEEES6_EEENSH_IJSG_SG_EEES6_PlJNSB_9not_fun_tI7is_trueIdEEEEEE10hipError_tPvRmT3_T4_T5_T6_T7_T9_mT8_P12ihipStream_tbDpT10_ENKUlT_T0_E_clISt17integral_constantIbLb0EES1B_EEDaS16_S17_EUlS16_E_NS1_11comp_targetILNS1_3genE2ELNS1_11target_archE906ELNS1_3gpuE6ELNS1_3repE0EEENS1_30default_config_static_selectorELNS0_4arch9wavefront6targetE0EEEvT1_
    .private_segment_fixed_size: 0
    .sgpr_count:     0
    .sgpr_spill_count: 0
    .symbol:         _ZN7rocprim17ROCPRIM_400000_NS6detail17trampoline_kernelINS0_14default_configENS1_25partition_config_selectorILNS1_17partition_subalgoE6EdNS0_10empty_typeEbEEZZNS1_14partition_implILS5_6ELb0ES3_mN6thrust23THRUST_200600_302600_NS6detail15normal_iteratorINSA_10device_ptrIdEEEEPS6_SG_NS0_5tupleIJNSA_16discard_iteratorINSA_11use_defaultEEES6_EEENSH_IJSG_SG_EEES6_PlJNSB_9not_fun_tI7is_trueIdEEEEEE10hipError_tPvRmT3_T4_T5_T6_T7_T9_mT8_P12ihipStream_tbDpT10_ENKUlT_T0_E_clISt17integral_constantIbLb0EES1B_EEDaS16_S17_EUlS16_E_NS1_11comp_targetILNS1_3genE2ELNS1_11target_archE906ELNS1_3gpuE6ELNS1_3repE0EEENS1_30default_config_static_selectorELNS0_4arch9wavefront6targetE0EEEvT1_.kd
    .uniform_work_group_size: 1
    .uses_dynamic_stack: false
    .vgpr_count:     0
    .vgpr_spill_count: 0
    .wavefront_size: 32
    .workgroup_processor_mode: 1
  - .args:
      - .offset:         0
        .size:           120
        .value_kind:     by_value
    .group_segment_fixed_size: 8464
    .kernarg_segment_align: 8
    .kernarg_segment_size: 120
    .language:       OpenCL C
    .language_version:
      - 2
      - 0
    .max_flat_workgroup_size: 256
    .name:           _ZN7rocprim17ROCPRIM_400000_NS6detail17trampoline_kernelINS0_14default_configENS1_25partition_config_selectorILNS1_17partition_subalgoE6EdNS0_10empty_typeEbEEZZNS1_14partition_implILS5_6ELb0ES3_mN6thrust23THRUST_200600_302600_NS6detail15normal_iteratorINSA_10device_ptrIdEEEEPS6_SG_NS0_5tupleIJNSA_16discard_iteratorINSA_11use_defaultEEES6_EEENSH_IJSG_SG_EEES6_PlJNSB_9not_fun_tI7is_trueIdEEEEEE10hipError_tPvRmT3_T4_T5_T6_T7_T9_mT8_P12ihipStream_tbDpT10_ENKUlT_T0_E_clISt17integral_constantIbLb0EES1B_EEDaS16_S17_EUlS16_E_NS1_11comp_targetILNS1_3genE10ELNS1_11target_archE1200ELNS1_3gpuE4ELNS1_3repE0EEENS1_30default_config_static_selectorELNS0_4arch9wavefront6targetE0EEEvT1_
    .private_segment_fixed_size: 0
    .sgpr_count:     23
    .sgpr_spill_count: 0
    .symbol:         _ZN7rocprim17ROCPRIM_400000_NS6detail17trampoline_kernelINS0_14default_configENS1_25partition_config_selectorILNS1_17partition_subalgoE6EdNS0_10empty_typeEbEEZZNS1_14partition_implILS5_6ELb0ES3_mN6thrust23THRUST_200600_302600_NS6detail15normal_iteratorINSA_10device_ptrIdEEEEPS6_SG_NS0_5tupleIJNSA_16discard_iteratorINSA_11use_defaultEEES6_EEENSH_IJSG_SG_EEES6_PlJNSB_9not_fun_tI7is_trueIdEEEEEE10hipError_tPvRmT3_T4_T5_T6_T7_T9_mT8_P12ihipStream_tbDpT10_ENKUlT_T0_E_clISt17integral_constantIbLb0EES1B_EEDaS16_S17_EUlS16_E_NS1_11comp_targetILNS1_3genE10ELNS1_11target_archE1200ELNS1_3gpuE4ELNS1_3repE0EEENS1_30default_config_static_selectorELNS0_4arch9wavefront6targetE0EEEvT1_.kd
    .uniform_work_group_size: 1
    .uses_dynamic_stack: false
    .vgpr_count:     45
    .vgpr_spill_count: 0
    .wavefront_size: 32
    .workgroup_processor_mode: 1
  - .args:
      - .offset:         0
        .size:           120
        .value_kind:     by_value
    .group_segment_fixed_size: 0
    .kernarg_segment_align: 8
    .kernarg_segment_size: 120
    .language:       OpenCL C
    .language_version:
      - 2
      - 0
    .max_flat_workgroup_size: 384
    .name:           _ZN7rocprim17ROCPRIM_400000_NS6detail17trampoline_kernelINS0_14default_configENS1_25partition_config_selectorILNS1_17partition_subalgoE6EdNS0_10empty_typeEbEEZZNS1_14partition_implILS5_6ELb0ES3_mN6thrust23THRUST_200600_302600_NS6detail15normal_iteratorINSA_10device_ptrIdEEEEPS6_SG_NS0_5tupleIJNSA_16discard_iteratorINSA_11use_defaultEEES6_EEENSH_IJSG_SG_EEES6_PlJNSB_9not_fun_tI7is_trueIdEEEEEE10hipError_tPvRmT3_T4_T5_T6_T7_T9_mT8_P12ihipStream_tbDpT10_ENKUlT_T0_E_clISt17integral_constantIbLb0EES1B_EEDaS16_S17_EUlS16_E_NS1_11comp_targetILNS1_3genE9ELNS1_11target_archE1100ELNS1_3gpuE3ELNS1_3repE0EEENS1_30default_config_static_selectorELNS0_4arch9wavefront6targetE0EEEvT1_
    .private_segment_fixed_size: 0
    .sgpr_count:     0
    .sgpr_spill_count: 0
    .symbol:         _ZN7rocprim17ROCPRIM_400000_NS6detail17trampoline_kernelINS0_14default_configENS1_25partition_config_selectorILNS1_17partition_subalgoE6EdNS0_10empty_typeEbEEZZNS1_14partition_implILS5_6ELb0ES3_mN6thrust23THRUST_200600_302600_NS6detail15normal_iteratorINSA_10device_ptrIdEEEEPS6_SG_NS0_5tupleIJNSA_16discard_iteratorINSA_11use_defaultEEES6_EEENSH_IJSG_SG_EEES6_PlJNSB_9not_fun_tI7is_trueIdEEEEEE10hipError_tPvRmT3_T4_T5_T6_T7_T9_mT8_P12ihipStream_tbDpT10_ENKUlT_T0_E_clISt17integral_constantIbLb0EES1B_EEDaS16_S17_EUlS16_E_NS1_11comp_targetILNS1_3genE9ELNS1_11target_archE1100ELNS1_3gpuE3ELNS1_3repE0EEENS1_30default_config_static_selectorELNS0_4arch9wavefront6targetE0EEEvT1_.kd
    .uniform_work_group_size: 1
    .uses_dynamic_stack: false
    .vgpr_count:     0
    .vgpr_spill_count: 0
    .wavefront_size: 32
    .workgroup_processor_mode: 1
  - .args:
      - .offset:         0
        .size:           120
        .value_kind:     by_value
    .group_segment_fixed_size: 0
    .kernarg_segment_align: 8
    .kernarg_segment_size: 120
    .language:       OpenCL C
    .language_version:
      - 2
      - 0
    .max_flat_workgroup_size: 512
    .name:           _ZN7rocprim17ROCPRIM_400000_NS6detail17trampoline_kernelINS0_14default_configENS1_25partition_config_selectorILNS1_17partition_subalgoE6EdNS0_10empty_typeEbEEZZNS1_14partition_implILS5_6ELb0ES3_mN6thrust23THRUST_200600_302600_NS6detail15normal_iteratorINSA_10device_ptrIdEEEEPS6_SG_NS0_5tupleIJNSA_16discard_iteratorINSA_11use_defaultEEES6_EEENSH_IJSG_SG_EEES6_PlJNSB_9not_fun_tI7is_trueIdEEEEEE10hipError_tPvRmT3_T4_T5_T6_T7_T9_mT8_P12ihipStream_tbDpT10_ENKUlT_T0_E_clISt17integral_constantIbLb0EES1B_EEDaS16_S17_EUlS16_E_NS1_11comp_targetILNS1_3genE8ELNS1_11target_archE1030ELNS1_3gpuE2ELNS1_3repE0EEENS1_30default_config_static_selectorELNS0_4arch9wavefront6targetE0EEEvT1_
    .private_segment_fixed_size: 0
    .sgpr_count:     0
    .sgpr_spill_count: 0
    .symbol:         _ZN7rocprim17ROCPRIM_400000_NS6detail17trampoline_kernelINS0_14default_configENS1_25partition_config_selectorILNS1_17partition_subalgoE6EdNS0_10empty_typeEbEEZZNS1_14partition_implILS5_6ELb0ES3_mN6thrust23THRUST_200600_302600_NS6detail15normal_iteratorINSA_10device_ptrIdEEEEPS6_SG_NS0_5tupleIJNSA_16discard_iteratorINSA_11use_defaultEEES6_EEENSH_IJSG_SG_EEES6_PlJNSB_9not_fun_tI7is_trueIdEEEEEE10hipError_tPvRmT3_T4_T5_T6_T7_T9_mT8_P12ihipStream_tbDpT10_ENKUlT_T0_E_clISt17integral_constantIbLb0EES1B_EEDaS16_S17_EUlS16_E_NS1_11comp_targetILNS1_3genE8ELNS1_11target_archE1030ELNS1_3gpuE2ELNS1_3repE0EEENS1_30default_config_static_selectorELNS0_4arch9wavefront6targetE0EEEvT1_.kd
    .uniform_work_group_size: 1
    .uses_dynamic_stack: false
    .vgpr_count:     0
    .vgpr_spill_count: 0
    .wavefront_size: 32
    .workgroup_processor_mode: 1
  - .args:
      - .offset:         0
        .size:           136
        .value_kind:     by_value
    .group_segment_fixed_size: 0
    .kernarg_segment_align: 8
    .kernarg_segment_size: 136
    .language:       OpenCL C
    .language_version:
      - 2
      - 0
    .max_flat_workgroup_size: 128
    .name:           _ZN7rocprim17ROCPRIM_400000_NS6detail17trampoline_kernelINS0_14default_configENS1_25partition_config_selectorILNS1_17partition_subalgoE6EdNS0_10empty_typeEbEEZZNS1_14partition_implILS5_6ELb0ES3_mN6thrust23THRUST_200600_302600_NS6detail15normal_iteratorINSA_10device_ptrIdEEEEPS6_SG_NS0_5tupleIJNSA_16discard_iteratorINSA_11use_defaultEEES6_EEENSH_IJSG_SG_EEES6_PlJNSB_9not_fun_tI7is_trueIdEEEEEE10hipError_tPvRmT3_T4_T5_T6_T7_T9_mT8_P12ihipStream_tbDpT10_ENKUlT_T0_E_clISt17integral_constantIbLb1EES1B_EEDaS16_S17_EUlS16_E_NS1_11comp_targetILNS1_3genE0ELNS1_11target_archE4294967295ELNS1_3gpuE0ELNS1_3repE0EEENS1_30default_config_static_selectorELNS0_4arch9wavefront6targetE0EEEvT1_
    .private_segment_fixed_size: 0
    .sgpr_count:     0
    .sgpr_spill_count: 0
    .symbol:         _ZN7rocprim17ROCPRIM_400000_NS6detail17trampoline_kernelINS0_14default_configENS1_25partition_config_selectorILNS1_17partition_subalgoE6EdNS0_10empty_typeEbEEZZNS1_14partition_implILS5_6ELb0ES3_mN6thrust23THRUST_200600_302600_NS6detail15normal_iteratorINSA_10device_ptrIdEEEEPS6_SG_NS0_5tupleIJNSA_16discard_iteratorINSA_11use_defaultEEES6_EEENSH_IJSG_SG_EEES6_PlJNSB_9not_fun_tI7is_trueIdEEEEEE10hipError_tPvRmT3_T4_T5_T6_T7_T9_mT8_P12ihipStream_tbDpT10_ENKUlT_T0_E_clISt17integral_constantIbLb1EES1B_EEDaS16_S17_EUlS16_E_NS1_11comp_targetILNS1_3genE0ELNS1_11target_archE4294967295ELNS1_3gpuE0ELNS1_3repE0EEENS1_30default_config_static_selectorELNS0_4arch9wavefront6targetE0EEEvT1_.kd
    .uniform_work_group_size: 1
    .uses_dynamic_stack: false
    .vgpr_count:     0
    .vgpr_spill_count: 0
    .wavefront_size: 32
    .workgroup_processor_mode: 1
  - .args:
      - .offset:         0
        .size:           136
        .value_kind:     by_value
    .group_segment_fixed_size: 0
    .kernarg_segment_align: 8
    .kernarg_segment_size: 136
    .language:       OpenCL C
    .language_version:
      - 2
      - 0
    .max_flat_workgroup_size: 512
    .name:           _ZN7rocprim17ROCPRIM_400000_NS6detail17trampoline_kernelINS0_14default_configENS1_25partition_config_selectorILNS1_17partition_subalgoE6EdNS0_10empty_typeEbEEZZNS1_14partition_implILS5_6ELb0ES3_mN6thrust23THRUST_200600_302600_NS6detail15normal_iteratorINSA_10device_ptrIdEEEEPS6_SG_NS0_5tupleIJNSA_16discard_iteratorINSA_11use_defaultEEES6_EEENSH_IJSG_SG_EEES6_PlJNSB_9not_fun_tI7is_trueIdEEEEEE10hipError_tPvRmT3_T4_T5_T6_T7_T9_mT8_P12ihipStream_tbDpT10_ENKUlT_T0_E_clISt17integral_constantIbLb1EES1B_EEDaS16_S17_EUlS16_E_NS1_11comp_targetILNS1_3genE5ELNS1_11target_archE942ELNS1_3gpuE9ELNS1_3repE0EEENS1_30default_config_static_selectorELNS0_4arch9wavefront6targetE0EEEvT1_
    .private_segment_fixed_size: 0
    .sgpr_count:     0
    .sgpr_spill_count: 0
    .symbol:         _ZN7rocprim17ROCPRIM_400000_NS6detail17trampoline_kernelINS0_14default_configENS1_25partition_config_selectorILNS1_17partition_subalgoE6EdNS0_10empty_typeEbEEZZNS1_14partition_implILS5_6ELb0ES3_mN6thrust23THRUST_200600_302600_NS6detail15normal_iteratorINSA_10device_ptrIdEEEEPS6_SG_NS0_5tupleIJNSA_16discard_iteratorINSA_11use_defaultEEES6_EEENSH_IJSG_SG_EEES6_PlJNSB_9not_fun_tI7is_trueIdEEEEEE10hipError_tPvRmT3_T4_T5_T6_T7_T9_mT8_P12ihipStream_tbDpT10_ENKUlT_T0_E_clISt17integral_constantIbLb1EES1B_EEDaS16_S17_EUlS16_E_NS1_11comp_targetILNS1_3genE5ELNS1_11target_archE942ELNS1_3gpuE9ELNS1_3repE0EEENS1_30default_config_static_selectorELNS0_4arch9wavefront6targetE0EEEvT1_.kd
    .uniform_work_group_size: 1
    .uses_dynamic_stack: false
    .vgpr_count:     0
    .vgpr_spill_count: 0
    .wavefront_size: 32
    .workgroup_processor_mode: 1
  - .args:
      - .offset:         0
        .size:           136
        .value_kind:     by_value
    .group_segment_fixed_size: 0
    .kernarg_segment_align: 8
    .kernarg_segment_size: 136
    .language:       OpenCL C
    .language_version:
      - 2
      - 0
    .max_flat_workgroup_size: 128
    .name:           _ZN7rocprim17ROCPRIM_400000_NS6detail17trampoline_kernelINS0_14default_configENS1_25partition_config_selectorILNS1_17partition_subalgoE6EdNS0_10empty_typeEbEEZZNS1_14partition_implILS5_6ELb0ES3_mN6thrust23THRUST_200600_302600_NS6detail15normal_iteratorINSA_10device_ptrIdEEEEPS6_SG_NS0_5tupleIJNSA_16discard_iteratorINSA_11use_defaultEEES6_EEENSH_IJSG_SG_EEES6_PlJNSB_9not_fun_tI7is_trueIdEEEEEE10hipError_tPvRmT3_T4_T5_T6_T7_T9_mT8_P12ihipStream_tbDpT10_ENKUlT_T0_E_clISt17integral_constantIbLb1EES1B_EEDaS16_S17_EUlS16_E_NS1_11comp_targetILNS1_3genE4ELNS1_11target_archE910ELNS1_3gpuE8ELNS1_3repE0EEENS1_30default_config_static_selectorELNS0_4arch9wavefront6targetE0EEEvT1_
    .private_segment_fixed_size: 0
    .sgpr_count:     0
    .sgpr_spill_count: 0
    .symbol:         _ZN7rocprim17ROCPRIM_400000_NS6detail17trampoline_kernelINS0_14default_configENS1_25partition_config_selectorILNS1_17partition_subalgoE6EdNS0_10empty_typeEbEEZZNS1_14partition_implILS5_6ELb0ES3_mN6thrust23THRUST_200600_302600_NS6detail15normal_iteratorINSA_10device_ptrIdEEEEPS6_SG_NS0_5tupleIJNSA_16discard_iteratorINSA_11use_defaultEEES6_EEENSH_IJSG_SG_EEES6_PlJNSB_9not_fun_tI7is_trueIdEEEEEE10hipError_tPvRmT3_T4_T5_T6_T7_T9_mT8_P12ihipStream_tbDpT10_ENKUlT_T0_E_clISt17integral_constantIbLb1EES1B_EEDaS16_S17_EUlS16_E_NS1_11comp_targetILNS1_3genE4ELNS1_11target_archE910ELNS1_3gpuE8ELNS1_3repE0EEENS1_30default_config_static_selectorELNS0_4arch9wavefront6targetE0EEEvT1_.kd
    .uniform_work_group_size: 1
    .uses_dynamic_stack: false
    .vgpr_count:     0
    .vgpr_spill_count: 0
    .wavefront_size: 32
    .workgroup_processor_mode: 1
  - .args:
      - .offset:         0
        .size:           136
        .value_kind:     by_value
    .group_segment_fixed_size: 0
    .kernarg_segment_align: 8
    .kernarg_segment_size: 136
    .language:       OpenCL C
    .language_version:
      - 2
      - 0
    .max_flat_workgroup_size: 128
    .name:           _ZN7rocprim17ROCPRIM_400000_NS6detail17trampoline_kernelINS0_14default_configENS1_25partition_config_selectorILNS1_17partition_subalgoE6EdNS0_10empty_typeEbEEZZNS1_14partition_implILS5_6ELb0ES3_mN6thrust23THRUST_200600_302600_NS6detail15normal_iteratorINSA_10device_ptrIdEEEEPS6_SG_NS0_5tupleIJNSA_16discard_iteratorINSA_11use_defaultEEES6_EEENSH_IJSG_SG_EEES6_PlJNSB_9not_fun_tI7is_trueIdEEEEEE10hipError_tPvRmT3_T4_T5_T6_T7_T9_mT8_P12ihipStream_tbDpT10_ENKUlT_T0_E_clISt17integral_constantIbLb1EES1B_EEDaS16_S17_EUlS16_E_NS1_11comp_targetILNS1_3genE3ELNS1_11target_archE908ELNS1_3gpuE7ELNS1_3repE0EEENS1_30default_config_static_selectorELNS0_4arch9wavefront6targetE0EEEvT1_
    .private_segment_fixed_size: 0
    .sgpr_count:     0
    .sgpr_spill_count: 0
    .symbol:         _ZN7rocprim17ROCPRIM_400000_NS6detail17trampoline_kernelINS0_14default_configENS1_25partition_config_selectorILNS1_17partition_subalgoE6EdNS0_10empty_typeEbEEZZNS1_14partition_implILS5_6ELb0ES3_mN6thrust23THRUST_200600_302600_NS6detail15normal_iteratorINSA_10device_ptrIdEEEEPS6_SG_NS0_5tupleIJNSA_16discard_iteratorINSA_11use_defaultEEES6_EEENSH_IJSG_SG_EEES6_PlJNSB_9not_fun_tI7is_trueIdEEEEEE10hipError_tPvRmT3_T4_T5_T6_T7_T9_mT8_P12ihipStream_tbDpT10_ENKUlT_T0_E_clISt17integral_constantIbLb1EES1B_EEDaS16_S17_EUlS16_E_NS1_11comp_targetILNS1_3genE3ELNS1_11target_archE908ELNS1_3gpuE7ELNS1_3repE0EEENS1_30default_config_static_selectorELNS0_4arch9wavefront6targetE0EEEvT1_.kd
    .uniform_work_group_size: 1
    .uses_dynamic_stack: false
    .vgpr_count:     0
    .vgpr_spill_count: 0
    .wavefront_size: 32
    .workgroup_processor_mode: 1
  - .args:
      - .offset:         0
        .size:           136
        .value_kind:     by_value
    .group_segment_fixed_size: 0
    .kernarg_segment_align: 8
    .kernarg_segment_size: 136
    .language:       OpenCL C
    .language_version:
      - 2
      - 0
    .max_flat_workgroup_size: 256
    .name:           _ZN7rocprim17ROCPRIM_400000_NS6detail17trampoline_kernelINS0_14default_configENS1_25partition_config_selectorILNS1_17partition_subalgoE6EdNS0_10empty_typeEbEEZZNS1_14partition_implILS5_6ELb0ES3_mN6thrust23THRUST_200600_302600_NS6detail15normal_iteratorINSA_10device_ptrIdEEEEPS6_SG_NS0_5tupleIJNSA_16discard_iteratorINSA_11use_defaultEEES6_EEENSH_IJSG_SG_EEES6_PlJNSB_9not_fun_tI7is_trueIdEEEEEE10hipError_tPvRmT3_T4_T5_T6_T7_T9_mT8_P12ihipStream_tbDpT10_ENKUlT_T0_E_clISt17integral_constantIbLb1EES1B_EEDaS16_S17_EUlS16_E_NS1_11comp_targetILNS1_3genE2ELNS1_11target_archE906ELNS1_3gpuE6ELNS1_3repE0EEENS1_30default_config_static_selectorELNS0_4arch9wavefront6targetE0EEEvT1_
    .private_segment_fixed_size: 0
    .sgpr_count:     0
    .sgpr_spill_count: 0
    .symbol:         _ZN7rocprim17ROCPRIM_400000_NS6detail17trampoline_kernelINS0_14default_configENS1_25partition_config_selectorILNS1_17partition_subalgoE6EdNS0_10empty_typeEbEEZZNS1_14partition_implILS5_6ELb0ES3_mN6thrust23THRUST_200600_302600_NS6detail15normal_iteratorINSA_10device_ptrIdEEEEPS6_SG_NS0_5tupleIJNSA_16discard_iteratorINSA_11use_defaultEEES6_EEENSH_IJSG_SG_EEES6_PlJNSB_9not_fun_tI7is_trueIdEEEEEE10hipError_tPvRmT3_T4_T5_T6_T7_T9_mT8_P12ihipStream_tbDpT10_ENKUlT_T0_E_clISt17integral_constantIbLb1EES1B_EEDaS16_S17_EUlS16_E_NS1_11comp_targetILNS1_3genE2ELNS1_11target_archE906ELNS1_3gpuE6ELNS1_3repE0EEENS1_30default_config_static_selectorELNS0_4arch9wavefront6targetE0EEEvT1_.kd
    .uniform_work_group_size: 1
    .uses_dynamic_stack: false
    .vgpr_count:     0
    .vgpr_spill_count: 0
    .wavefront_size: 32
    .workgroup_processor_mode: 1
  - .args:
      - .offset:         0
        .size:           136
        .value_kind:     by_value
    .group_segment_fixed_size: 0
    .kernarg_segment_align: 8
    .kernarg_segment_size: 136
    .language:       OpenCL C
    .language_version:
      - 2
      - 0
    .max_flat_workgroup_size: 256
    .name:           _ZN7rocprim17ROCPRIM_400000_NS6detail17trampoline_kernelINS0_14default_configENS1_25partition_config_selectorILNS1_17partition_subalgoE6EdNS0_10empty_typeEbEEZZNS1_14partition_implILS5_6ELb0ES3_mN6thrust23THRUST_200600_302600_NS6detail15normal_iteratorINSA_10device_ptrIdEEEEPS6_SG_NS0_5tupleIJNSA_16discard_iteratorINSA_11use_defaultEEES6_EEENSH_IJSG_SG_EEES6_PlJNSB_9not_fun_tI7is_trueIdEEEEEE10hipError_tPvRmT3_T4_T5_T6_T7_T9_mT8_P12ihipStream_tbDpT10_ENKUlT_T0_E_clISt17integral_constantIbLb1EES1B_EEDaS16_S17_EUlS16_E_NS1_11comp_targetILNS1_3genE10ELNS1_11target_archE1200ELNS1_3gpuE4ELNS1_3repE0EEENS1_30default_config_static_selectorELNS0_4arch9wavefront6targetE0EEEvT1_
    .private_segment_fixed_size: 0
    .sgpr_count:     0
    .sgpr_spill_count: 0
    .symbol:         _ZN7rocprim17ROCPRIM_400000_NS6detail17trampoline_kernelINS0_14default_configENS1_25partition_config_selectorILNS1_17partition_subalgoE6EdNS0_10empty_typeEbEEZZNS1_14partition_implILS5_6ELb0ES3_mN6thrust23THRUST_200600_302600_NS6detail15normal_iteratorINSA_10device_ptrIdEEEEPS6_SG_NS0_5tupleIJNSA_16discard_iteratorINSA_11use_defaultEEES6_EEENSH_IJSG_SG_EEES6_PlJNSB_9not_fun_tI7is_trueIdEEEEEE10hipError_tPvRmT3_T4_T5_T6_T7_T9_mT8_P12ihipStream_tbDpT10_ENKUlT_T0_E_clISt17integral_constantIbLb1EES1B_EEDaS16_S17_EUlS16_E_NS1_11comp_targetILNS1_3genE10ELNS1_11target_archE1200ELNS1_3gpuE4ELNS1_3repE0EEENS1_30default_config_static_selectorELNS0_4arch9wavefront6targetE0EEEvT1_.kd
    .uniform_work_group_size: 1
    .uses_dynamic_stack: false
    .vgpr_count:     0
    .vgpr_spill_count: 0
    .wavefront_size: 32
    .workgroup_processor_mode: 1
  - .args:
      - .offset:         0
        .size:           136
        .value_kind:     by_value
    .group_segment_fixed_size: 0
    .kernarg_segment_align: 8
    .kernarg_segment_size: 136
    .language:       OpenCL C
    .language_version:
      - 2
      - 0
    .max_flat_workgroup_size: 384
    .name:           _ZN7rocprim17ROCPRIM_400000_NS6detail17trampoline_kernelINS0_14default_configENS1_25partition_config_selectorILNS1_17partition_subalgoE6EdNS0_10empty_typeEbEEZZNS1_14partition_implILS5_6ELb0ES3_mN6thrust23THRUST_200600_302600_NS6detail15normal_iteratorINSA_10device_ptrIdEEEEPS6_SG_NS0_5tupleIJNSA_16discard_iteratorINSA_11use_defaultEEES6_EEENSH_IJSG_SG_EEES6_PlJNSB_9not_fun_tI7is_trueIdEEEEEE10hipError_tPvRmT3_T4_T5_T6_T7_T9_mT8_P12ihipStream_tbDpT10_ENKUlT_T0_E_clISt17integral_constantIbLb1EES1B_EEDaS16_S17_EUlS16_E_NS1_11comp_targetILNS1_3genE9ELNS1_11target_archE1100ELNS1_3gpuE3ELNS1_3repE0EEENS1_30default_config_static_selectorELNS0_4arch9wavefront6targetE0EEEvT1_
    .private_segment_fixed_size: 0
    .sgpr_count:     0
    .sgpr_spill_count: 0
    .symbol:         _ZN7rocprim17ROCPRIM_400000_NS6detail17trampoline_kernelINS0_14default_configENS1_25partition_config_selectorILNS1_17partition_subalgoE6EdNS0_10empty_typeEbEEZZNS1_14partition_implILS5_6ELb0ES3_mN6thrust23THRUST_200600_302600_NS6detail15normal_iteratorINSA_10device_ptrIdEEEEPS6_SG_NS0_5tupleIJNSA_16discard_iteratorINSA_11use_defaultEEES6_EEENSH_IJSG_SG_EEES6_PlJNSB_9not_fun_tI7is_trueIdEEEEEE10hipError_tPvRmT3_T4_T5_T6_T7_T9_mT8_P12ihipStream_tbDpT10_ENKUlT_T0_E_clISt17integral_constantIbLb1EES1B_EEDaS16_S17_EUlS16_E_NS1_11comp_targetILNS1_3genE9ELNS1_11target_archE1100ELNS1_3gpuE3ELNS1_3repE0EEENS1_30default_config_static_selectorELNS0_4arch9wavefront6targetE0EEEvT1_.kd
    .uniform_work_group_size: 1
    .uses_dynamic_stack: false
    .vgpr_count:     0
    .vgpr_spill_count: 0
    .wavefront_size: 32
    .workgroup_processor_mode: 1
  - .args:
      - .offset:         0
        .size:           136
        .value_kind:     by_value
    .group_segment_fixed_size: 0
    .kernarg_segment_align: 8
    .kernarg_segment_size: 136
    .language:       OpenCL C
    .language_version:
      - 2
      - 0
    .max_flat_workgroup_size: 512
    .name:           _ZN7rocprim17ROCPRIM_400000_NS6detail17trampoline_kernelINS0_14default_configENS1_25partition_config_selectorILNS1_17partition_subalgoE6EdNS0_10empty_typeEbEEZZNS1_14partition_implILS5_6ELb0ES3_mN6thrust23THRUST_200600_302600_NS6detail15normal_iteratorINSA_10device_ptrIdEEEEPS6_SG_NS0_5tupleIJNSA_16discard_iteratorINSA_11use_defaultEEES6_EEENSH_IJSG_SG_EEES6_PlJNSB_9not_fun_tI7is_trueIdEEEEEE10hipError_tPvRmT3_T4_T5_T6_T7_T9_mT8_P12ihipStream_tbDpT10_ENKUlT_T0_E_clISt17integral_constantIbLb1EES1B_EEDaS16_S17_EUlS16_E_NS1_11comp_targetILNS1_3genE8ELNS1_11target_archE1030ELNS1_3gpuE2ELNS1_3repE0EEENS1_30default_config_static_selectorELNS0_4arch9wavefront6targetE0EEEvT1_
    .private_segment_fixed_size: 0
    .sgpr_count:     0
    .sgpr_spill_count: 0
    .symbol:         _ZN7rocprim17ROCPRIM_400000_NS6detail17trampoline_kernelINS0_14default_configENS1_25partition_config_selectorILNS1_17partition_subalgoE6EdNS0_10empty_typeEbEEZZNS1_14partition_implILS5_6ELb0ES3_mN6thrust23THRUST_200600_302600_NS6detail15normal_iteratorINSA_10device_ptrIdEEEEPS6_SG_NS0_5tupleIJNSA_16discard_iteratorINSA_11use_defaultEEES6_EEENSH_IJSG_SG_EEES6_PlJNSB_9not_fun_tI7is_trueIdEEEEEE10hipError_tPvRmT3_T4_T5_T6_T7_T9_mT8_P12ihipStream_tbDpT10_ENKUlT_T0_E_clISt17integral_constantIbLb1EES1B_EEDaS16_S17_EUlS16_E_NS1_11comp_targetILNS1_3genE8ELNS1_11target_archE1030ELNS1_3gpuE2ELNS1_3repE0EEENS1_30default_config_static_selectorELNS0_4arch9wavefront6targetE0EEEvT1_.kd
    .uniform_work_group_size: 1
    .uses_dynamic_stack: false
    .vgpr_count:     0
    .vgpr_spill_count: 0
    .wavefront_size: 32
    .workgroup_processor_mode: 1
  - .args:
      - .offset:         0
        .size:           120
        .value_kind:     by_value
    .group_segment_fixed_size: 0
    .kernarg_segment_align: 8
    .kernarg_segment_size: 120
    .language:       OpenCL C
    .language_version:
      - 2
      - 0
    .max_flat_workgroup_size: 128
    .name:           _ZN7rocprim17ROCPRIM_400000_NS6detail17trampoline_kernelINS0_14default_configENS1_25partition_config_selectorILNS1_17partition_subalgoE6EdNS0_10empty_typeEbEEZZNS1_14partition_implILS5_6ELb0ES3_mN6thrust23THRUST_200600_302600_NS6detail15normal_iteratorINSA_10device_ptrIdEEEEPS6_SG_NS0_5tupleIJNSA_16discard_iteratorINSA_11use_defaultEEES6_EEENSH_IJSG_SG_EEES6_PlJNSB_9not_fun_tI7is_trueIdEEEEEE10hipError_tPvRmT3_T4_T5_T6_T7_T9_mT8_P12ihipStream_tbDpT10_ENKUlT_T0_E_clISt17integral_constantIbLb1EES1A_IbLb0EEEEDaS16_S17_EUlS16_E_NS1_11comp_targetILNS1_3genE0ELNS1_11target_archE4294967295ELNS1_3gpuE0ELNS1_3repE0EEENS1_30default_config_static_selectorELNS0_4arch9wavefront6targetE0EEEvT1_
    .private_segment_fixed_size: 0
    .sgpr_count:     0
    .sgpr_spill_count: 0
    .symbol:         _ZN7rocprim17ROCPRIM_400000_NS6detail17trampoline_kernelINS0_14default_configENS1_25partition_config_selectorILNS1_17partition_subalgoE6EdNS0_10empty_typeEbEEZZNS1_14partition_implILS5_6ELb0ES3_mN6thrust23THRUST_200600_302600_NS6detail15normal_iteratorINSA_10device_ptrIdEEEEPS6_SG_NS0_5tupleIJNSA_16discard_iteratorINSA_11use_defaultEEES6_EEENSH_IJSG_SG_EEES6_PlJNSB_9not_fun_tI7is_trueIdEEEEEE10hipError_tPvRmT3_T4_T5_T6_T7_T9_mT8_P12ihipStream_tbDpT10_ENKUlT_T0_E_clISt17integral_constantIbLb1EES1A_IbLb0EEEEDaS16_S17_EUlS16_E_NS1_11comp_targetILNS1_3genE0ELNS1_11target_archE4294967295ELNS1_3gpuE0ELNS1_3repE0EEENS1_30default_config_static_selectorELNS0_4arch9wavefront6targetE0EEEvT1_.kd
    .uniform_work_group_size: 1
    .uses_dynamic_stack: false
    .vgpr_count:     0
    .vgpr_spill_count: 0
    .wavefront_size: 32
    .workgroup_processor_mode: 1
  - .args:
      - .offset:         0
        .size:           120
        .value_kind:     by_value
    .group_segment_fixed_size: 0
    .kernarg_segment_align: 8
    .kernarg_segment_size: 120
    .language:       OpenCL C
    .language_version:
      - 2
      - 0
    .max_flat_workgroup_size: 512
    .name:           _ZN7rocprim17ROCPRIM_400000_NS6detail17trampoline_kernelINS0_14default_configENS1_25partition_config_selectorILNS1_17partition_subalgoE6EdNS0_10empty_typeEbEEZZNS1_14partition_implILS5_6ELb0ES3_mN6thrust23THRUST_200600_302600_NS6detail15normal_iteratorINSA_10device_ptrIdEEEEPS6_SG_NS0_5tupleIJNSA_16discard_iteratorINSA_11use_defaultEEES6_EEENSH_IJSG_SG_EEES6_PlJNSB_9not_fun_tI7is_trueIdEEEEEE10hipError_tPvRmT3_T4_T5_T6_T7_T9_mT8_P12ihipStream_tbDpT10_ENKUlT_T0_E_clISt17integral_constantIbLb1EES1A_IbLb0EEEEDaS16_S17_EUlS16_E_NS1_11comp_targetILNS1_3genE5ELNS1_11target_archE942ELNS1_3gpuE9ELNS1_3repE0EEENS1_30default_config_static_selectorELNS0_4arch9wavefront6targetE0EEEvT1_
    .private_segment_fixed_size: 0
    .sgpr_count:     0
    .sgpr_spill_count: 0
    .symbol:         _ZN7rocprim17ROCPRIM_400000_NS6detail17trampoline_kernelINS0_14default_configENS1_25partition_config_selectorILNS1_17partition_subalgoE6EdNS0_10empty_typeEbEEZZNS1_14partition_implILS5_6ELb0ES3_mN6thrust23THRUST_200600_302600_NS6detail15normal_iteratorINSA_10device_ptrIdEEEEPS6_SG_NS0_5tupleIJNSA_16discard_iteratorINSA_11use_defaultEEES6_EEENSH_IJSG_SG_EEES6_PlJNSB_9not_fun_tI7is_trueIdEEEEEE10hipError_tPvRmT3_T4_T5_T6_T7_T9_mT8_P12ihipStream_tbDpT10_ENKUlT_T0_E_clISt17integral_constantIbLb1EES1A_IbLb0EEEEDaS16_S17_EUlS16_E_NS1_11comp_targetILNS1_3genE5ELNS1_11target_archE942ELNS1_3gpuE9ELNS1_3repE0EEENS1_30default_config_static_selectorELNS0_4arch9wavefront6targetE0EEEvT1_.kd
    .uniform_work_group_size: 1
    .uses_dynamic_stack: false
    .vgpr_count:     0
    .vgpr_spill_count: 0
    .wavefront_size: 32
    .workgroup_processor_mode: 1
  - .args:
      - .offset:         0
        .size:           120
        .value_kind:     by_value
    .group_segment_fixed_size: 0
    .kernarg_segment_align: 8
    .kernarg_segment_size: 120
    .language:       OpenCL C
    .language_version:
      - 2
      - 0
    .max_flat_workgroup_size: 128
    .name:           _ZN7rocprim17ROCPRIM_400000_NS6detail17trampoline_kernelINS0_14default_configENS1_25partition_config_selectorILNS1_17partition_subalgoE6EdNS0_10empty_typeEbEEZZNS1_14partition_implILS5_6ELb0ES3_mN6thrust23THRUST_200600_302600_NS6detail15normal_iteratorINSA_10device_ptrIdEEEEPS6_SG_NS0_5tupleIJNSA_16discard_iteratorINSA_11use_defaultEEES6_EEENSH_IJSG_SG_EEES6_PlJNSB_9not_fun_tI7is_trueIdEEEEEE10hipError_tPvRmT3_T4_T5_T6_T7_T9_mT8_P12ihipStream_tbDpT10_ENKUlT_T0_E_clISt17integral_constantIbLb1EES1A_IbLb0EEEEDaS16_S17_EUlS16_E_NS1_11comp_targetILNS1_3genE4ELNS1_11target_archE910ELNS1_3gpuE8ELNS1_3repE0EEENS1_30default_config_static_selectorELNS0_4arch9wavefront6targetE0EEEvT1_
    .private_segment_fixed_size: 0
    .sgpr_count:     0
    .sgpr_spill_count: 0
    .symbol:         _ZN7rocprim17ROCPRIM_400000_NS6detail17trampoline_kernelINS0_14default_configENS1_25partition_config_selectorILNS1_17partition_subalgoE6EdNS0_10empty_typeEbEEZZNS1_14partition_implILS5_6ELb0ES3_mN6thrust23THRUST_200600_302600_NS6detail15normal_iteratorINSA_10device_ptrIdEEEEPS6_SG_NS0_5tupleIJNSA_16discard_iteratorINSA_11use_defaultEEES6_EEENSH_IJSG_SG_EEES6_PlJNSB_9not_fun_tI7is_trueIdEEEEEE10hipError_tPvRmT3_T4_T5_T6_T7_T9_mT8_P12ihipStream_tbDpT10_ENKUlT_T0_E_clISt17integral_constantIbLb1EES1A_IbLb0EEEEDaS16_S17_EUlS16_E_NS1_11comp_targetILNS1_3genE4ELNS1_11target_archE910ELNS1_3gpuE8ELNS1_3repE0EEENS1_30default_config_static_selectorELNS0_4arch9wavefront6targetE0EEEvT1_.kd
    .uniform_work_group_size: 1
    .uses_dynamic_stack: false
    .vgpr_count:     0
    .vgpr_spill_count: 0
    .wavefront_size: 32
    .workgroup_processor_mode: 1
  - .args:
      - .offset:         0
        .size:           120
        .value_kind:     by_value
    .group_segment_fixed_size: 0
    .kernarg_segment_align: 8
    .kernarg_segment_size: 120
    .language:       OpenCL C
    .language_version:
      - 2
      - 0
    .max_flat_workgroup_size: 128
    .name:           _ZN7rocprim17ROCPRIM_400000_NS6detail17trampoline_kernelINS0_14default_configENS1_25partition_config_selectorILNS1_17partition_subalgoE6EdNS0_10empty_typeEbEEZZNS1_14partition_implILS5_6ELb0ES3_mN6thrust23THRUST_200600_302600_NS6detail15normal_iteratorINSA_10device_ptrIdEEEEPS6_SG_NS0_5tupleIJNSA_16discard_iteratorINSA_11use_defaultEEES6_EEENSH_IJSG_SG_EEES6_PlJNSB_9not_fun_tI7is_trueIdEEEEEE10hipError_tPvRmT3_T4_T5_T6_T7_T9_mT8_P12ihipStream_tbDpT10_ENKUlT_T0_E_clISt17integral_constantIbLb1EES1A_IbLb0EEEEDaS16_S17_EUlS16_E_NS1_11comp_targetILNS1_3genE3ELNS1_11target_archE908ELNS1_3gpuE7ELNS1_3repE0EEENS1_30default_config_static_selectorELNS0_4arch9wavefront6targetE0EEEvT1_
    .private_segment_fixed_size: 0
    .sgpr_count:     0
    .sgpr_spill_count: 0
    .symbol:         _ZN7rocprim17ROCPRIM_400000_NS6detail17trampoline_kernelINS0_14default_configENS1_25partition_config_selectorILNS1_17partition_subalgoE6EdNS0_10empty_typeEbEEZZNS1_14partition_implILS5_6ELb0ES3_mN6thrust23THRUST_200600_302600_NS6detail15normal_iteratorINSA_10device_ptrIdEEEEPS6_SG_NS0_5tupleIJNSA_16discard_iteratorINSA_11use_defaultEEES6_EEENSH_IJSG_SG_EEES6_PlJNSB_9not_fun_tI7is_trueIdEEEEEE10hipError_tPvRmT3_T4_T5_T6_T7_T9_mT8_P12ihipStream_tbDpT10_ENKUlT_T0_E_clISt17integral_constantIbLb1EES1A_IbLb0EEEEDaS16_S17_EUlS16_E_NS1_11comp_targetILNS1_3genE3ELNS1_11target_archE908ELNS1_3gpuE7ELNS1_3repE0EEENS1_30default_config_static_selectorELNS0_4arch9wavefront6targetE0EEEvT1_.kd
    .uniform_work_group_size: 1
    .uses_dynamic_stack: false
    .vgpr_count:     0
    .vgpr_spill_count: 0
    .wavefront_size: 32
    .workgroup_processor_mode: 1
  - .args:
      - .offset:         0
        .size:           120
        .value_kind:     by_value
    .group_segment_fixed_size: 0
    .kernarg_segment_align: 8
    .kernarg_segment_size: 120
    .language:       OpenCL C
    .language_version:
      - 2
      - 0
    .max_flat_workgroup_size: 256
    .name:           _ZN7rocprim17ROCPRIM_400000_NS6detail17trampoline_kernelINS0_14default_configENS1_25partition_config_selectorILNS1_17partition_subalgoE6EdNS0_10empty_typeEbEEZZNS1_14partition_implILS5_6ELb0ES3_mN6thrust23THRUST_200600_302600_NS6detail15normal_iteratorINSA_10device_ptrIdEEEEPS6_SG_NS0_5tupleIJNSA_16discard_iteratorINSA_11use_defaultEEES6_EEENSH_IJSG_SG_EEES6_PlJNSB_9not_fun_tI7is_trueIdEEEEEE10hipError_tPvRmT3_T4_T5_T6_T7_T9_mT8_P12ihipStream_tbDpT10_ENKUlT_T0_E_clISt17integral_constantIbLb1EES1A_IbLb0EEEEDaS16_S17_EUlS16_E_NS1_11comp_targetILNS1_3genE2ELNS1_11target_archE906ELNS1_3gpuE6ELNS1_3repE0EEENS1_30default_config_static_selectorELNS0_4arch9wavefront6targetE0EEEvT1_
    .private_segment_fixed_size: 0
    .sgpr_count:     0
    .sgpr_spill_count: 0
    .symbol:         _ZN7rocprim17ROCPRIM_400000_NS6detail17trampoline_kernelINS0_14default_configENS1_25partition_config_selectorILNS1_17partition_subalgoE6EdNS0_10empty_typeEbEEZZNS1_14partition_implILS5_6ELb0ES3_mN6thrust23THRUST_200600_302600_NS6detail15normal_iteratorINSA_10device_ptrIdEEEEPS6_SG_NS0_5tupleIJNSA_16discard_iteratorINSA_11use_defaultEEES6_EEENSH_IJSG_SG_EEES6_PlJNSB_9not_fun_tI7is_trueIdEEEEEE10hipError_tPvRmT3_T4_T5_T6_T7_T9_mT8_P12ihipStream_tbDpT10_ENKUlT_T0_E_clISt17integral_constantIbLb1EES1A_IbLb0EEEEDaS16_S17_EUlS16_E_NS1_11comp_targetILNS1_3genE2ELNS1_11target_archE906ELNS1_3gpuE6ELNS1_3repE0EEENS1_30default_config_static_selectorELNS0_4arch9wavefront6targetE0EEEvT1_.kd
    .uniform_work_group_size: 1
    .uses_dynamic_stack: false
    .vgpr_count:     0
    .vgpr_spill_count: 0
    .wavefront_size: 32
    .workgroup_processor_mode: 1
  - .args:
      - .offset:         0
        .size:           120
        .value_kind:     by_value
    .group_segment_fixed_size: 0
    .kernarg_segment_align: 8
    .kernarg_segment_size: 120
    .language:       OpenCL C
    .language_version:
      - 2
      - 0
    .max_flat_workgroup_size: 256
    .name:           _ZN7rocprim17ROCPRIM_400000_NS6detail17trampoline_kernelINS0_14default_configENS1_25partition_config_selectorILNS1_17partition_subalgoE6EdNS0_10empty_typeEbEEZZNS1_14partition_implILS5_6ELb0ES3_mN6thrust23THRUST_200600_302600_NS6detail15normal_iteratorINSA_10device_ptrIdEEEEPS6_SG_NS0_5tupleIJNSA_16discard_iteratorINSA_11use_defaultEEES6_EEENSH_IJSG_SG_EEES6_PlJNSB_9not_fun_tI7is_trueIdEEEEEE10hipError_tPvRmT3_T4_T5_T6_T7_T9_mT8_P12ihipStream_tbDpT10_ENKUlT_T0_E_clISt17integral_constantIbLb1EES1A_IbLb0EEEEDaS16_S17_EUlS16_E_NS1_11comp_targetILNS1_3genE10ELNS1_11target_archE1200ELNS1_3gpuE4ELNS1_3repE0EEENS1_30default_config_static_selectorELNS0_4arch9wavefront6targetE0EEEvT1_
    .private_segment_fixed_size: 0
    .sgpr_count:     0
    .sgpr_spill_count: 0
    .symbol:         _ZN7rocprim17ROCPRIM_400000_NS6detail17trampoline_kernelINS0_14default_configENS1_25partition_config_selectorILNS1_17partition_subalgoE6EdNS0_10empty_typeEbEEZZNS1_14partition_implILS5_6ELb0ES3_mN6thrust23THRUST_200600_302600_NS6detail15normal_iteratorINSA_10device_ptrIdEEEEPS6_SG_NS0_5tupleIJNSA_16discard_iteratorINSA_11use_defaultEEES6_EEENSH_IJSG_SG_EEES6_PlJNSB_9not_fun_tI7is_trueIdEEEEEE10hipError_tPvRmT3_T4_T5_T6_T7_T9_mT8_P12ihipStream_tbDpT10_ENKUlT_T0_E_clISt17integral_constantIbLb1EES1A_IbLb0EEEEDaS16_S17_EUlS16_E_NS1_11comp_targetILNS1_3genE10ELNS1_11target_archE1200ELNS1_3gpuE4ELNS1_3repE0EEENS1_30default_config_static_selectorELNS0_4arch9wavefront6targetE0EEEvT1_.kd
    .uniform_work_group_size: 1
    .uses_dynamic_stack: false
    .vgpr_count:     0
    .vgpr_spill_count: 0
    .wavefront_size: 32
    .workgroup_processor_mode: 1
  - .args:
      - .offset:         0
        .size:           120
        .value_kind:     by_value
    .group_segment_fixed_size: 0
    .kernarg_segment_align: 8
    .kernarg_segment_size: 120
    .language:       OpenCL C
    .language_version:
      - 2
      - 0
    .max_flat_workgroup_size: 384
    .name:           _ZN7rocprim17ROCPRIM_400000_NS6detail17trampoline_kernelINS0_14default_configENS1_25partition_config_selectorILNS1_17partition_subalgoE6EdNS0_10empty_typeEbEEZZNS1_14partition_implILS5_6ELb0ES3_mN6thrust23THRUST_200600_302600_NS6detail15normal_iteratorINSA_10device_ptrIdEEEEPS6_SG_NS0_5tupleIJNSA_16discard_iteratorINSA_11use_defaultEEES6_EEENSH_IJSG_SG_EEES6_PlJNSB_9not_fun_tI7is_trueIdEEEEEE10hipError_tPvRmT3_T4_T5_T6_T7_T9_mT8_P12ihipStream_tbDpT10_ENKUlT_T0_E_clISt17integral_constantIbLb1EES1A_IbLb0EEEEDaS16_S17_EUlS16_E_NS1_11comp_targetILNS1_3genE9ELNS1_11target_archE1100ELNS1_3gpuE3ELNS1_3repE0EEENS1_30default_config_static_selectorELNS0_4arch9wavefront6targetE0EEEvT1_
    .private_segment_fixed_size: 0
    .sgpr_count:     0
    .sgpr_spill_count: 0
    .symbol:         _ZN7rocprim17ROCPRIM_400000_NS6detail17trampoline_kernelINS0_14default_configENS1_25partition_config_selectorILNS1_17partition_subalgoE6EdNS0_10empty_typeEbEEZZNS1_14partition_implILS5_6ELb0ES3_mN6thrust23THRUST_200600_302600_NS6detail15normal_iteratorINSA_10device_ptrIdEEEEPS6_SG_NS0_5tupleIJNSA_16discard_iteratorINSA_11use_defaultEEES6_EEENSH_IJSG_SG_EEES6_PlJNSB_9not_fun_tI7is_trueIdEEEEEE10hipError_tPvRmT3_T4_T5_T6_T7_T9_mT8_P12ihipStream_tbDpT10_ENKUlT_T0_E_clISt17integral_constantIbLb1EES1A_IbLb0EEEEDaS16_S17_EUlS16_E_NS1_11comp_targetILNS1_3genE9ELNS1_11target_archE1100ELNS1_3gpuE3ELNS1_3repE0EEENS1_30default_config_static_selectorELNS0_4arch9wavefront6targetE0EEEvT1_.kd
    .uniform_work_group_size: 1
    .uses_dynamic_stack: false
    .vgpr_count:     0
    .vgpr_spill_count: 0
    .wavefront_size: 32
    .workgroup_processor_mode: 1
  - .args:
      - .offset:         0
        .size:           120
        .value_kind:     by_value
    .group_segment_fixed_size: 0
    .kernarg_segment_align: 8
    .kernarg_segment_size: 120
    .language:       OpenCL C
    .language_version:
      - 2
      - 0
    .max_flat_workgroup_size: 512
    .name:           _ZN7rocprim17ROCPRIM_400000_NS6detail17trampoline_kernelINS0_14default_configENS1_25partition_config_selectorILNS1_17partition_subalgoE6EdNS0_10empty_typeEbEEZZNS1_14partition_implILS5_6ELb0ES3_mN6thrust23THRUST_200600_302600_NS6detail15normal_iteratorINSA_10device_ptrIdEEEEPS6_SG_NS0_5tupleIJNSA_16discard_iteratorINSA_11use_defaultEEES6_EEENSH_IJSG_SG_EEES6_PlJNSB_9not_fun_tI7is_trueIdEEEEEE10hipError_tPvRmT3_T4_T5_T6_T7_T9_mT8_P12ihipStream_tbDpT10_ENKUlT_T0_E_clISt17integral_constantIbLb1EES1A_IbLb0EEEEDaS16_S17_EUlS16_E_NS1_11comp_targetILNS1_3genE8ELNS1_11target_archE1030ELNS1_3gpuE2ELNS1_3repE0EEENS1_30default_config_static_selectorELNS0_4arch9wavefront6targetE0EEEvT1_
    .private_segment_fixed_size: 0
    .sgpr_count:     0
    .sgpr_spill_count: 0
    .symbol:         _ZN7rocprim17ROCPRIM_400000_NS6detail17trampoline_kernelINS0_14default_configENS1_25partition_config_selectorILNS1_17partition_subalgoE6EdNS0_10empty_typeEbEEZZNS1_14partition_implILS5_6ELb0ES3_mN6thrust23THRUST_200600_302600_NS6detail15normal_iteratorINSA_10device_ptrIdEEEEPS6_SG_NS0_5tupleIJNSA_16discard_iteratorINSA_11use_defaultEEES6_EEENSH_IJSG_SG_EEES6_PlJNSB_9not_fun_tI7is_trueIdEEEEEE10hipError_tPvRmT3_T4_T5_T6_T7_T9_mT8_P12ihipStream_tbDpT10_ENKUlT_T0_E_clISt17integral_constantIbLb1EES1A_IbLb0EEEEDaS16_S17_EUlS16_E_NS1_11comp_targetILNS1_3genE8ELNS1_11target_archE1030ELNS1_3gpuE2ELNS1_3repE0EEENS1_30default_config_static_selectorELNS0_4arch9wavefront6targetE0EEEvT1_.kd
    .uniform_work_group_size: 1
    .uses_dynamic_stack: false
    .vgpr_count:     0
    .vgpr_spill_count: 0
    .wavefront_size: 32
    .workgroup_processor_mode: 1
  - .args:
      - .offset:         0
        .size:           136
        .value_kind:     by_value
    .group_segment_fixed_size: 0
    .kernarg_segment_align: 8
    .kernarg_segment_size: 136
    .language:       OpenCL C
    .language_version:
      - 2
      - 0
    .max_flat_workgroup_size: 128
    .name:           _ZN7rocprim17ROCPRIM_400000_NS6detail17trampoline_kernelINS0_14default_configENS1_25partition_config_selectorILNS1_17partition_subalgoE6EdNS0_10empty_typeEbEEZZNS1_14partition_implILS5_6ELb0ES3_mN6thrust23THRUST_200600_302600_NS6detail15normal_iteratorINSA_10device_ptrIdEEEEPS6_SG_NS0_5tupleIJNSA_16discard_iteratorINSA_11use_defaultEEES6_EEENSH_IJSG_SG_EEES6_PlJNSB_9not_fun_tI7is_trueIdEEEEEE10hipError_tPvRmT3_T4_T5_T6_T7_T9_mT8_P12ihipStream_tbDpT10_ENKUlT_T0_E_clISt17integral_constantIbLb0EES1A_IbLb1EEEEDaS16_S17_EUlS16_E_NS1_11comp_targetILNS1_3genE0ELNS1_11target_archE4294967295ELNS1_3gpuE0ELNS1_3repE0EEENS1_30default_config_static_selectorELNS0_4arch9wavefront6targetE0EEEvT1_
    .private_segment_fixed_size: 0
    .sgpr_count:     0
    .sgpr_spill_count: 0
    .symbol:         _ZN7rocprim17ROCPRIM_400000_NS6detail17trampoline_kernelINS0_14default_configENS1_25partition_config_selectorILNS1_17partition_subalgoE6EdNS0_10empty_typeEbEEZZNS1_14partition_implILS5_6ELb0ES3_mN6thrust23THRUST_200600_302600_NS6detail15normal_iteratorINSA_10device_ptrIdEEEEPS6_SG_NS0_5tupleIJNSA_16discard_iteratorINSA_11use_defaultEEES6_EEENSH_IJSG_SG_EEES6_PlJNSB_9not_fun_tI7is_trueIdEEEEEE10hipError_tPvRmT3_T4_T5_T6_T7_T9_mT8_P12ihipStream_tbDpT10_ENKUlT_T0_E_clISt17integral_constantIbLb0EES1A_IbLb1EEEEDaS16_S17_EUlS16_E_NS1_11comp_targetILNS1_3genE0ELNS1_11target_archE4294967295ELNS1_3gpuE0ELNS1_3repE0EEENS1_30default_config_static_selectorELNS0_4arch9wavefront6targetE0EEEvT1_.kd
    .uniform_work_group_size: 1
    .uses_dynamic_stack: false
    .vgpr_count:     0
    .vgpr_spill_count: 0
    .wavefront_size: 32
    .workgroup_processor_mode: 1
  - .args:
      - .offset:         0
        .size:           136
        .value_kind:     by_value
    .group_segment_fixed_size: 0
    .kernarg_segment_align: 8
    .kernarg_segment_size: 136
    .language:       OpenCL C
    .language_version:
      - 2
      - 0
    .max_flat_workgroup_size: 512
    .name:           _ZN7rocprim17ROCPRIM_400000_NS6detail17trampoline_kernelINS0_14default_configENS1_25partition_config_selectorILNS1_17partition_subalgoE6EdNS0_10empty_typeEbEEZZNS1_14partition_implILS5_6ELb0ES3_mN6thrust23THRUST_200600_302600_NS6detail15normal_iteratorINSA_10device_ptrIdEEEEPS6_SG_NS0_5tupleIJNSA_16discard_iteratorINSA_11use_defaultEEES6_EEENSH_IJSG_SG_EEES6_PlJNSB_9not_fun_tI7is_trueIdEEEEEE10hipError_tPvRmT3_T4_T5_T6_T7_T9_mT8_P12ihipStream_tbDpT10_ENKUlT_T0_E_clISt17integral_constantIbLb0EES1A_IbLb1EEEEDaS16_S17_EUlS16_E_NS1_11comp_targetILNS1_3genE5ELNS1_11target_archE942ELNS1_3gpuE9ELNS1_3repE0EEENS1_30default_config_static_selectorELNS0_4arch9wavefront6targetE0EEEvT1_
    .private_segment_fixed_size: 0
    .sgpr_count:     0
    .sgpr_spill_count: 0
    .symbol:         _ZN7rocprim17ROCPRIM_400000_NS6detail17trampoline_kernelINS0_14default_configENS1_25partition_config_selectorILNS1_17partition_subalgoE6EdNS0_10empty_typeEbEEZZNS1_14partition_implILS5_6ELb0ES3_mN6thrust23THRUST_200600_302600_NS6detail15normal_iteratorINSA_10device_ptrIdEEEEPS6_SG_NS0_5tupleIJNSA_16discard_iteratorINSA_11use_defaultEEES6_EEENSH_IJSG_SG_EEES6_PlJNSB_9not_fun_tI7is_trueIdEEEEEE10hipError_tPvRmT3_T4_T5_T6_T7_T9_mT8_P12ihipStream_tbDpT10_ENKUlT_T0_E_clISt17integral_constantIbLb0EES1A_IbLb1EEEEDaS16_S17_EUlS16_E_NS1_11comp_targetILNS1_3genE5ELNS1_11target_archE942ELNS1_3gpuE9ELNS1_3repE0EEENS1_30default_config_static_selectorELNS0_4arch9wavefront6targetE0EEEvT1_.kd
    .uniform_work_group_size: 1
    .uses_dynamic_stack: false
    .vgpr_count:     0
    .vgpr_spill_count: 0
    .wavefront_size: 32
    .workgroup_processor_mode: 1
  - .args:
      - .offset:         0
        .size:           136
        .value_kind:     by_value
    .group_segment_fixed_size: 0
    .kernarg_segment_align: 8
    .kernarg_segment_size: 136
    .language:       OpenCL C
    .language_version:
      - 2
      - 0
    .max_flat_workgroup_size: 128
    .name:           _ZN7rocprim17ROCPRIM_400000_NS6detail17trampoline_kernelINS0_14default_configENS1_25partition_config_selectorILNS1_17partition_subalgoE6EdNS0_10empty_typeEbEEZZNS1_14partition_implILS5_6ELb0ES3_mN6thrust23THRUST_200600_302600_NS6detail15normal_iteratorINSA_10device_ptrIdEEEEPS6_SG_NS0_5tupleIJNSA_16discard_iteratorINSA_11use_defaultEEES6_EEENSH_IJSG_SG_EEES6_PlJNSB_9not_fun_tI7is_trueIdEEEEEE10hipError_tPvRmT3_T4_T5_T6_T7_T9_mT8_P12ihipStream_tbDpT10_ENKUlT_T0_E_clISt17integral_constantIbLb0EES1A_IbLb1EEEEDaS16_S17_EUlS16_E_NS1_11comp_targetILNS1_3genE4ELNS1_11target_archE910ELNS1_3gpuE8ELNS1_3repE0EEENS1_30default_config_static_selectorELNS0_4arch9wavefront6targetE0EEEvT1_
    .private_segment_fixed_size: 0
    .sgpr_count:     0
    .sgpr_spill_count: 0
    .symbol:         _ZN7rocprim17ROCPRIM_400000_NS6detail17trampoline_kernelINS0_14default_configENS1_25partition_config_selectorILNS1_17partition_subalgoE6EdNS0_10empty_typeEbEEZZNS1_14partition_implILS5_6ELb0ES3_mN6thrust23THRUST_200600_302600_NS6detail15normal_iteratorINSA_10device_ptrIdEEEEPS6_SG_NS0_5tupleIJNSA_16discard_iteratorINSA_11use_defaultEEES6_EEENSH_IJSG_SG_EEES6_PlJNSB_9not_fun_tI7is_trueIdEEEEEE10hipError_tPvRmT3_T4_T5_T6_T7_T9_mT8_P12ihipStream_tbDpT10_ENKUlT_T0_E_clISt17integral_constantIbLb0EES1A_IbLb1EEEEDaS16_S17_EUlS16_E_NS1_11comp_targetILNS1_3genE4ELNS1_11target_archE910ELNS1_3gpuE8ELNS1_3repE0EEENS1_30default_config_static_selectorELNS0_4arch9wavefront6targetE0EEEvT1_.kd
    .uniform_work_group_size: 1
    .uses_dynamic_stack: false
    .vgpr_count:     0
    .vgpr_spill_count: 0
    .wavefront_size: 32
    .workgroup_processor_mode: 1
  - .args:
      - .offset:         0
        .size:           136
        .value_kind:     by_value
    .group_segment_fixed_size: 0
    .kernarg_segment_align: 8
    .kernarg_segment_size: 136
    .language:       OpenCL C
    .language_version:
      - 2
      - 0
    .max_flat_workgroup_size: 128
    .name:           _ZN7rocprim17ROCPRIM_400000_NS6detail17trampoline_kernelINS0_14default_configENS1_25partition_config_selectorILNS1_17partition_subalgoE6EdNS0_10empty_typeEbEEZZNS1_14partition_implILS5_6ELb0ES3_mN6thrust23THRUST_200600_302600_NS6detail15normal_iteratorINSA_10device_ptrIdEEEEPS6_SG_NS0_5tupleIJNSA_16discard_iteratorINSA_11use_defaultEEES6_EEENSH_IJSG_SG_EEES6_PlJNSB_9not_fun_tI7is_trueIdEEEEEE10hipError_tPvRmT3_T4_T5_T6_T7_T9_mT8_P12ihipStream_tbDpT10_ENKUlT_T0_E_clISt17integral_constantIbLb0EES1A_IbLb1EEEEDaS16_S17_EUlS16_E_NS1_11comp_targetILNS1_3genE3ELNS1_11target_archE908ELNS1_3gpuE7ELNS1_3repE0EEENS1_30default_config_static_selectorELNS0_4arch9wavefront6targetE0EEEvT1_
    .private_segment_fixed_size: 0
    .sgpr_count:     0
    .sgpr_spill_count: 0
    .symbol:         _ZN7rocprim17ROCPRIM_400000_NS6detail17trampoline_kernelINS0_14default_configENS1_25partition_config_selectorILNS1_17partition_subalgoE6EdNS0_10empty_typeEbEEZZNS1_14partition_implILS5_6ELb0ES3_mN6thrust23THRUST_200600_302600_NS6detail15normal_iteratorINSA_10device_ptrIdEEEEPS6_SG_NS0_5tupleIJNSA_16discard_iteratorINSA_11use_defaultEEES6_EEENSH_IJSG_SG_EEES6_PlJNSB_9not_fun_tI7is_trueIdEEEEEE10hipError_tPvRmT3_T4_T5_T6_T7_T9_mT8_P12ihipStream_tbDpT10_ENKUlT_T0_E_clISt17integral_constantIbLb0EES1A_IbLb1EEEEDaS16_S17_EUlS16_E_NS1_11comp_targetILNS1_3genE3ELNS1_11target_archE908ELNS1_3gpuE7ELNS1_3repE0EEENS1_30default_config_static_selectorELNS0_4arch9wavefront6targetE0EEEvT1_.kd
    .uniform_work_group_size: 1
    .uses_dynamic_stack: false
    .vgpr_count:     0
    .vgpr_spill_count: 0
    .wavefront_size: 32
    .workgroup_processor_mode: 1
  - .args:
      - .offset:         0
        .size:           136
        .value_kind:     by_value
    .group_segment_fixed_size: 0
    .kernarg_segment_align: 8
    .kernarg_segment_size: 136
    .language:       OpenCL C
    .language_version:
      - 2
      - 0
    .max_flat_workgroup_size: 256
    .name:           _ZN7rocprim17ROCPRIM_400000_NS6detail17trampoline_kernelINS0_14default_configENS1_25partition_config_selectorILNS1_17partition_subalgoE6EdNS0_10empty_typeEbEEZZNS1_14partition_implILS5_6ELb0ES3_mN6thrust23THRUST_200600_302600_NS6detail15normal_iteratorINSA_10device_ptrIdEEEEPS6_SG_NS0_5tupleIJNSA_16discard_iteratorINSA_11use_defaultEEES6_EEENSH_IJSG_SG_EEES6_PlJNSB_9not_fun_tI7is_trueIdEEEEEE10hipError_tPvRmT3_T4_T5_T6_T7_T9_mT8_P12ihipStream_tbDpT10_ENKUlT_T0_E_clISt17integral_constantIbLb0EES1A_IbLb1EEEEDaS16_S17_EUlS16_E_NS1_11comp_targetILNS1_3genE2ELNS1_11target_archE906ELNS1_3gpuE6ELNS1_3repE0EEENS1_30default_config_static_selectorELNS0_4arch9wavefront6targetE0EEEvT1_
    .private_segment_fixed_size: 0
    .sgpr_count:     0
    .sgpr_spill_count: 0
    .symbol:         _ZN7rocprim17ROCPRIM_400000_NS6detail17trampoline_kernelINS0_14default_configENS1_25partition_config_selectorILNS1_17partition_subalgoE6EdNS0_10empty_typeEbEEZZNS1_14partition_implILS5_6ELb0ES3_mN6thrust23THRUST_200600_302600_NS6detail15normal_iteratorINSA_10device_ptrIdEEEEPS6_SG_NS0_5tupleIJNSA_16discard_iteratorINSA_11use_defaultEEES6_EEENSH_IJSG_SG_EEES6_PlJNSB_9not_fun_tI7is_trueIdEEEEEE10hipError_tPvRmT3_T4_T5_T6_T7_T9_mT8_P12ihipStream_tbDpT10_ENKUlT_T0_E_clISt17integral_constantIbLb0EES1A_IbLb1EEEEDaS16_S17_EUlS16_E_NS1_11comp_targetILNS1_3genE2ELNS1_11target_archE906ELNS1_3gpuE6ELNS1_3repE0EEENS1_30default_config_static_selectorELNS0_4arch9wavefront6targetE0EEEvT1_.kd
    .uniform_work_group_size: 1
    .uses_dynamic_stack: false
    .vgpr_count:     0
    .vgpr_spill_count: 0
    .wavefront_size: 32
    .workgroup_processor_mode: 1
  - .args:
      - .offset:         0
        .size:           136
        .value_kind:     by_value
    .group_segment_fixed_size: 8464
    .kernarg_segment_align: 8
    .kernarg_segment_size: 136
    .language:       OpenCL C
    .language_version:
      - 2
      - 0
    .max_flat_workgroup_size: 256
    .name:           _ZN7rocprim17ROCPRIM_400000_NS6detail17trampoline_kernelINS0_14default_configENS1_25partition_config_selectorILNS1_17partition_subalgoE6EdNS0_10empty_typeEbEEZZNS1_14partition_implILS5_6ELb0ES3_mN6thrust23THRUST_200600_302600_NS6detail15normal_iteratorINSA_10device_ptrIdEEEEPS6_SG_NS0_5tupleIJNSA_16discard_iteratorINSA_11use_defaultEEES6_EEENSH_IJSG_SG_EEES6_PlJNSB_9not_fun_tI7is_trueIdEEEEEE10hipError_tPvRmT3_T4_T5_T6_T7_T9_mT8_P12ihipStream_tbDpT10_ENKUlT_T0_E_clISt17integral_constantIbLb0EES1A_IbLb1EEEEDaS16_S17_EUlS16_E_NS1_11comp_targetILNS1_3genE10ELNS1_11target_archE1200ELNS1_3gpuE4ELNS1_3repE0EEENS1_30default_config_static_selectorELNS0_4arch9wavefront6targetE0EEEvT1_
    .private_segment_fixed_size: 0
    .sgpr_count:     22
    .sgpr_spill_count: 0
    .symbol:         _ZN7rocprim17ROCPRIM_400000_NS6detail17trampoline_kernelINS0_14default_configENS1_25partition_config_selectorILNS1_17partition_subalgoE6EdNS0_10empty_typeEbEEZZNS1_14partition_implILS5_6ELb0ES3_mN6thrust23THRUST_200600_302600_NS6detail15normal_iteratorINSA_10device_ptrIdEEEEPS6_SG_NS0_5tupleIJNSA_16discard_iteratorINSA_11use_defaultEEES6_EEENSH_IJSG_SG_EEES6_PlJNSB_9not_fun_tI7is_trueIdEEEEEE10hipError_tPvRmT3_T4_T5_T6_T7_T9_mT8_P12ihipStream_tbDpT10_ENKUlT_T0_E_clISt17integral_constantIbLb0EES1A_IbLb1EEEEDaS16_S17_EUlS16_E_NS1_11comp_targetILNS1_3genE10ELNS1_11target_archE1200ELNS1_3gpuE4ELNS1_3repE0EEENS1_30default_config_static_selectorELNS0_4arch9wavefront6targetE0EEEvT1_.kd
    .uniform_work_group_size: 1
    .uses_dynamic_stack: false
    .vgpr_count:     47
    .vgpr_spill_count: 0
    .wavefront_size: 32
    .workgroup_processor_mode: 1
  - .args:
      - .offset:         0
        .size:           136
        .value_kind:     by_value
    .group_segment_fixed_size: 0
    .kernarg_segment_align: 8
    .kernarg_segment_size: 136
    .language:       OpenCL C
    .language_version:
      - 2
      - 0
    .max_flat_workgroup_size: 384
    .name:           _ZN7rocprim17ROCPRIM_400000_NS6detail17trampoline_kernelINS0_14default_configENS1_25partition_config_selectorILNS1_17partition_subalgoE6EdNS0_10empty_typeEbEEZZNS1_14partition_implILS5_6ELb0ES3_mN6thrust23THRUST_200600_302600_NS6detail15normal_iteratorINSA_10device_ptrIdEEEEPS6_SG_NS0_5tupleIJNSA_16discard_iteratorINSA_11use_defaultEEES6_EEENSH_IJSG_SG_EEES6_PlJNSB_9not_fun_tI7is_trueIdEEEEEE10hipError_tPvRmT3_T4_T5_T6_T7_T9_mT8_P12ihipStream_tbDpT10_ENKUlT_T0_E_clISt17integral_constantIbLb0EES1A_IbLb1EEEEDaS16_S17_EUlS16_E_NS1_11comp_targetILNS1_3genE9ELNS1_11target_archE1100ELNS1_3gpuE3ELNS1_3repE0EEENS1_30default_config_static_selectorELNS0_4arch9wavefront6targetE0EEEvT1_
    .private_segment_fixed_size: 0
    .sgpr_count:     0
    .sgpr_spill_count: 0
    .symbol:         _ZN7rocprim17ROCPRIM_400000_NS6detail17trampoline_kernelINS0_14default_configENS1_25partition_config_selectorILNS1_17partition_subalgoE6EdNS0_10empty_typeEbEEZZNS1_14partition_implILS5_6ELb0ES3_mN6thrust23THRUST_200600_302600_NS6detail15normal_iteratorINSA_10device_ptrIdEEEEPS6_SG_NS0_5tupleIJNSA_16discard_iteratorINSA_11use_defaultEEES6_EEENSH_IJSG_SG_EEES6_PlJNSB_9not_fun_tI7is_trueIdEEEEEE10hipError_tPvRmT3_T4_T5_T6_T7_T9_mT8_P12ihipStream_tbDpT10_ENKUlT_T0_E_clISt17integral_constantIbLb0EES1A_IbLb1EEEEDaS16_S17_EUlS16_E_NS1_11comp_targetILNS1_3genE9ELNS1_11target_archE1100ELNS1_3gpuE3ELNS1_3repE0EEENS1_30default_config_static_selectorELNS0_4arch9wavefront6targetE0EEEvT1_.kd
    .uniform_work_group_size: 1
    .uses_dynamic_stack: false
    .vgpr_count:     0
    .vgpr_spill_count: 0
    .wavefront_size: 32
    .workgroup_processor_mode: 1
  - .args:
      - .offset:         0
        .size:           136
        .value_kind:     by_value
    .group_segment_fixed_size: 0
    .kernarg_segment_align: 8
    .kernarg_segment_size: 136
    .language:       OpenCL C
    .language_version:
      - 2
      - 0
    .max_flat_workgroup_size: 512
    .name:           _ZN7rocprim17ROCPRIM_400000_NS6detail17trampoline_kernelINS0_14default_configENS1_25partition_config_selectorILNS1_17partition_subalgoE6EdNS0_10empty_typeEbEEZZNS1_14partition_implILS5_6ELb0ES3_mN6thrust23THRUST_200600_302600_NS6detail15normal_iteratorINSA_10device_ptrIdEEEEPS6_SG_NS0_5tupleIJNSA_16discard_iteratorINSA_11use_defaultEEES6_EEENSH_IJSG_SG_EEES6_PlJNSB_9not_fun_tI7is_trueIdEEEEEE10hipError_tPvRmT3_T4_T5_T6_T7_T9_mT8_P12ihipStream_tbDpT10_ENKUlT_T0_E_clISt17integral_constantIbLb0EES1A_IbLb1EEEEDaS16_S17_EUlS16_E_NS1_11comp_targetILNS1_3genE8ELNS1_11target_archE1030ELNS1_3gpuE2ELNS1_3repE0EEENS1_30default_config_static_selectorELNS0_4arch9wavefront6targetE0EEEvT1_
    .private_segment_fixed_size: 0
    .sgpr_count:     0
    .sgpr_spill_count: 0
    .symbol:         _ZN7rocprim17ROCPRIM_400000_NS6detail17trampoline_kernelINS0_14default_configENS1_25partition_config_selectorILNS1_17partition_subalgoE6EdNS0_10empty_typeEbEEZZNS1_14partition_implILS5_6ELb0ES3_mN6thrust23THRUST_200600_302600_NS6detail15normal_iteratorINSA_10device_ptrIdEEEEPS6_SG_NS0_5tupleIJNSA_16discard_iteratorINSA_11use_defaultEEES6_EEENSH_IJSG_SG_EEES6_PlJNSB_9not_fun_tI7is_trueIdEEEEEE10hipError_tPvRmT3_T4_T5_T6_T7_T9_mT8_P12ihipStream_tbDpT10_ENKUlT_T0_E_clISt17integral_constantIbLb0EES1A_IbLb1EEEEDaS16_S17_EUlS16_E_NS1_11comp_targetILNS1_3genE8ELNS1_11target_archE1030ELNS1_3gpuE2ELNS1_3repE0EEENS1_30default_config_static_selectorELNS0_4arch9wavefront6targetE0EEEvT1_.kd
    .uniform_work_group_size: 1
    .uses_dynamic_stack: false
    .vgpr_count:     0
    .vgpr_spill_count: 0
    .wavefront_size: 32
    .workgroup_processor_mode: 1
  - .args:
      - .offset:         0
        .size:           120
        .value_kind:     by_value
    .group_segment_fixed_size: 0
    .kernarg_segment_align: 8
    .kernarg_segment_size: 120
    .language:       OpenCL C
    .language_version:
      - 2
      - 0
    .max_flat_workgroup_size: 256
    .name:           _ZN7rocprim17ROCPRIM_400000_NS6detail17trampoline_kernelINS0_14default_configENS1_25partition_config_selectorILNS1_17partition_subalgoE6EfNS0_10empty_typeEbEEZZNS1_14partition_implILS5_6ELb0ES3_mN6thrust23THRUST_200600_302600_NS6detail15normal_iteratorINSA_10device_ptrIfEEEEPS6_SG_NS0_5tupleIJNSA_16discard_iteratorINSA_11use_defaultEEES6_EEENSH_IJSG_SG_EEES6_PlJNSB_9not_fun_tI7is_trueIfEEEEEE10hipError_tPvRmT3_T4_T5_T6_T7_T9_mT8_P12ihipStream_tbDpT10_ENKUlT_T0_E_clISt17integral_constantIbLb0EES1B_EEDaS16_S17_EUlS16_E_NS1_11comp_targetILNS1_3genE0ELNS1_11target_archE4294967295ELNS1_3gpuE0ELNS1_3repE0EEENS1_30default_config_static_selectorELNS0_4arch9wavefront6targetE0EEEvT1_
    .private_segment_fixed_size: 0
    .sgpr_count:     0
    .sgpr_spill_count: 0
    .symbol:         _ZN7rocprim17ROCPRIM_400000_NS6detail17trampoline_kernelINS0_14default_configENS1_25partition_config_selectorILNS1_17partition_subalgoE6EfNS0_10empty_typeEbEEZZNS1_14partition_implILS5_6ELb0ES3_mN6thrust23THRUST_200600_302600_NS6detail15normal_iteratorINSA_10device_ptrIfEEEEPS6_SG_NS0_5tupleIJNSA_16discard_iteratorINSA_11use_defaultEEES6_EEENSH_IJSG_SG_EEES6_PlJNSB_9not_fun_tI7is_trueIfEEEEEE10hipError_tPvRmT3_T4_T5_T6_T7_T9_mT8_P12ihipStream_tbDpT10_ENKUlT_T0_E_clISt17integral_constantIbLb0EES1B_EEDaS16_S17_EUlS16_E_NS1_11comp_targetILNS1_3genE0ELNS1_11target_archE4294967295ELNS1_3gpuE0ELNS1_3repE0EEENS1_30default_config_static_selectorELNS0_4arch9wavefront6targetE0EEEvT1_.kd
    .uniform_work_group_size: 1
    .uses_dynamic_stack: false
    .vgpr_count:     0
    .vgpr_spill_count: 0
    .wavefront_size: 32
    .workgroup_processor_mode: 1
  - .args:
      - .offset:         0
        .size:           120
        .value_kind:     by_value
    .group_segment_fixed_size: 0
    .kernarg_segment_align: 8
    .kernarg_segment_size: 120
    .language:       OpenCL C
    .language_version:
      - 2
      - 0
    .max_flat_workgroup_size: 512
    .name:           _ZN7rocprim17ROCPRIM_400000_NS6detail17trampoline_kernelINS0_14default_configENS1_25partition_config_selectorILNS1_17partition_subalgoE6EfNS0_10empty_typeEbEEZZNS1_14partition_implILS5_6ELb0ES3_mN6thrust23THRUST_200600_302600_NS6detail15normal_iteratorINSA_10device_ptrIfEEEEPS6_SG_NS0_5tupleIJNSA_16discard_iteratorINSA_11use_defaultEEES6_EEENSH_IJSG_SG_EEES6_PlJNSB_9not_fun_tI7is_trueIfEEEEEE10hipError_tPvRmT3_T4_T5_T6_T7_T9_mT8_P12ihipStream_tbDpT10_ENKUlT_T0_E_clISt17integral_constantIbLb0EES1B_EEDaS16_S17_EUlS16_E_NS1_11comp_targetILNS1_3genE5ELNS1_11target_archE942ELNS1_3gpuE9ELNS1_3repE0EEENS1_30default_config_static_selectorELNS0_4arch9wavefront6targetE0EEEvT1_
    .private_segment_fixed_size: 0
    .sgpr_count:     0
    .sgpr_spill_count: 0
    .symbol:         _ZN7rocprim17ROCPRIM_400000_NS6detail17trampoline_kernelINS0_14default_configENS1_25partition_config_selectorILNS1_17partition_subalgoE6EfNS0_10empty_typeEbEEZZNS1_14partition_implILS5_6ELb0ES3_mN6thrust23THRUST_200600_302600_NS6detail15normal_iteratorINSA_10device_ptrIfEEEEPS6_SG_NS0_5tupleIJNSA_16discard_iteratorINSA_11use_defaultEEES6_EEENSH_IJSG_SG_EEES6_PlJNSB_9not_fun_tI7is_trueIfEEEEEE10hipError_tPvRmT3_T4_T5_T6_T7_T9_mT8_P12ihipStream_tbDpT10_ENKUlT_T0_E_clISt17integral_constantIbLb0EES1B_EEDaS16_S17_EUlS16_E_NS1_11comp_targetILNS1_3genE5ELNS1_11target_archE942ELNS1_3gpuE9ELNS1_3repE0EEENS1_30default_config_static_selectorELNS0_4arch9wavefront6targetE0EEEvT1_.kd
    .uniform_work_group_size: 1
    .uses_dynamic_stack: false
    .vgpr_count:     0
    .vgpr_spill_count: 0
    .wavefront_size: 32
    .workgroup_processor_mode: 1
  - .args:
      - .offset:         0
        .size:           120
        .value_kind:     by_value
    .group_segment_fixed_size: 0
    .kernarg_segment_align: 8
    .kernarg_segment_size: 120
    .language:       OpenCL C
    .language_version:
      - 2
      - 0
    .max_flat_workgroup_size: 512
    .name:           _ZN7rocprim17ROCPRIM_400000_NS6detail17trampoline_kernelINS0_14default_configENS1_25partition_config_selectorILNS1_17partition_subalgoE6EfNS0_10empty_typeEbEEZZNS1_14partition_implILS5_6ELb0ES3_mN6thrust23THRUST_200600_302600_NS6detail15normal_iteratorINSA_10device_ptrIfEEEEPS6_SG_NS0_5tupleIJNSA_16discard_iteratorINSA_11use_defaultEEES6_EEENSH_IJSG_SG_EEES6_PlJNSB_9not_fun_tI7is_trueIfEEEEEE10hipError_tPvRmT3_T4_T5_T6_T7_T9_mT8_P12ihipStream_tbDpT10_ENKUlT_T0_E_clISt17integral_constantIbLb0EES1B_EEDaS16_S17_EUlS16_E_NS1_11comp_targetILNS1_3genE4ELNS1_11target_archE910ELNS1_3gpuE8ELNS1_3repE0EEENS1_30default_config_static_selectorELNS0_4arch9wavefront6targetE0EEEvT1_
    .private_segment_fixed_size: 0
    .sgpr_count:     0
    .sgpr_spill_count: 0
    .symbol:         _ZN7rocprim17ROCPRIM_400000_NS6detail17trampoline_kernelINS0_14default_configENS1_25partition_config_selectorILNS1_17partition_subalgoE6EfNS0_10empty_typeEbEEZZNS1_14partition_implILS5_6ELb0ES3_mN6thrust23THRUST_200600_302600_NS6detail15normal_iteratorINSA_10device_ptrIfEEEEPS6_SG_NS0_5tupleIJNSA_16discard_iteratorINSA_11use_defaultEEES6_EEENSH_IJSG_SG_EEES6_PlJNSB_9not_fun_tI7is_trueIfEEEEEE10hipError_tPvRmT3_T4_T5_T6_T7_T9_mT8_P12ihipStream_tbDpT10_ENKUlT_T0_E_clISt17integral_constantIbLb0EES1B_EEDaS16_S17_EUlS16_E_NS1_11comp_targetILNS1_3genE4ELNS1_11target_archE910ELNS1_3gpuE8ELNS1_3repE0EEENS1_30default_config_static_selectorELNS0_4arch9wavefront6targetE0EEEvT1_.kd
    .uniform_work_group_size: 1
    .uses_dynamic_stack: false
    .vgpr_count:     0
    .vgpr_spill_count: 0
    .wavefront_size: 32
    .workgroup_processor_mode: 1
  - .args:
      - .offset:         0
        .size:           120
        .value_kind:     by_value
    .group_segment_fixed_size: 0
    .kernarg_segment_align: 8
    .kernarg_segment_size: 120
    .language:       OpenCL C
    .language_version:
      - 2
      - 0
    .max_flat_workgroup_size: 256
    .name:           _ZN7rocprim17ROCPRIM_400000_NS6detail17trampoline_kernelINS0_14default_configENS1_25partition_config_selectorILNS1_17partition_subalgoE6EfNS0_10empty_typeEbEEZZNS1_14partition_implILS5_6ELb0ES3_mN6thrust23THRUST_200600_302600_NS6detail15normal_iteratorINSA_10device_ptrIfEEEEPS6_SG_NS0_5tupleIJNSA_16discard_iteratorINSA_11use_defaultEEES6_EEENSH_IJSG_SG_EEES6_PlJNSB_9not_fun_tI7is_trueIfEEEEEE10hipError_tPvRmT3_T4_T5_T6_T7_T9_mT8_P12ihipStream_tbDpT10_ENKUlT_T0_E_clISt17integral_constantIbLb0EES1B_EEDaS16_S17_EUlS16_E_NS1_11comp_targetILNS1_3genE3ELNS1_11target_archE908ELNS1_3gpuE7ELNS1_3repE0EEENS1_30default_config_static_selectorELNS0_4arch9wavefront6targetE0EEEvT1_
    .private_segment_fixed_size: 0
    .sgpr_count:     0
    .sgpr_spill_count: 0
    .symbol:         _ZN7rocprim17ROCPRIM_400000_NS6detail17trampoline_kernelINS0_14default_configENS1_25partition_config_selectorILNS1_17partition_subalgoE6EfNS0_10empty_typeEbEEZZNS1_14partition_implILS5_6ELb0ES3_mN6thrust23THRUST_200600_302600_NS6detail15normal_iteratorINSA_10device_ptrIfEEEEPS6_SG_NS0_5tupleIJNSA_16discard_iteratorINSA_11use_defaultEEES6_EEENSH_IJSG_SG_EEES6_PlJNSB_9not_fun_tI7is_trueIfEEEEEE10hipError_tPvRmT3_T4_T5_T6_T7_T9_mT8_P12ihipStream_tbDpT10_ENKUlT_T0_E_clISt17integral_constantIbLb0EES1B_EEDaS16_S17_EUlS16_E_NS1_11comp_targetILNS1_3genE3ELNS1_11target_archE908ELNS1_3gpuE7ELNS1_3repE0EEENS1_30default_config_static_selectorELNS0_4arch9wavefront6targetE0EEEvT1_.kd
    .uniform_work_group_size: 1
    .uses_dynamic_stack: false
    .vgpr_count:     0
    .vgpr_spill_count: 0
    .wavefront_size: 32
    .workgroup_processor_mode: 1
  - .args:
      - .offset:         0
        .size:           120
        .value_kind:     by_value
    .group_segment_fixed_size: 0
    .kernarg_segment_align: 8
    .kernarg_segment_size: 120
    .language:       OpenCL C
    .language_version:
      - 2
      - 0
    .max_flat_workgroup_size: 256
    .name:           _ZN7rocprim17ROCPRIM_400000_NS6detail17trampoline_kernelINS0_14default_configENS1_25partition_config_selectorILNS1_17partition_subalgoE6EfNS0_10empty_typeEbEEZZNS1_14partition_implILS5_6ELb0ES3_mN6thrust23THRUST_200600_302600_NS6detail15normal_iteratorINSA_10device_ptrIfEEEEPS6_SG_NS0_5tupleIJNSA_16discard_iteratorINSA_11use_defaultEEES6_EEENSH_IJSG_SG_EEES6_PlJNSB_9not_fun_tI7is_trueIfEEEEEE10hipError_tPvRmT3_T4_T5_T6_T7_T9_mT8_P12ihipStream_tbDpT10_ENKUlT_T0_E_clISt17integral_constantIbLb0EES1B_EEDaS16_S17_EUlS16_E_NS1_11comp_targetILNS1_3genE2ELNS1_11target_archE906ELNS1_3gpuE6ELNS1_3repE0EEENS1_30default_config_static_selectorELNS0_4arch9wavefront6targetE0EEEvT1_
    .private_segment_fixed_size: 0
    .sgpr_count:     0
    .sgpr_spill_count: 0
    .symbol:         _ZN7rocprim17ROCPRIM_400000_NS6detail17trampoline_kernelINS0_14default_configENS1_25partition_config_selectorILNS1_17partition_subalgoE6EfNS0_10empty_typeEbEEZZNS1_14partition_implILS5_6ELb0ES3_mN6thrust23THRUST_200600_302600_NS6detail15normal_iteratorINSA_10device_ptrIfEEEEPS6_SG_NS0_5tupleIJNSA_16discard_iteratorINSA_11use_defaultEEES6_EEENSH_IJSG_SG_EEES6_PlJNSB_9not_fun_tI7is_trueIfEEEEEE10hipError_tPvRmT3_T4_T5_T6_T7_T9_mT8_P12ihipStream_tbDpT10_ENKUlT_T0_E_clISt17integral_constantIbLb0EES1B_EEDaS16_S17_EUlS16_E_NS1_11comp_targetILNS1_3genE2ELNS1_11target_archE906ELNS1_3gpuE6ELNS1_3repE0EEENS1_30default_config_static_selectorELNS0_4arch9wavefront6targetE0EEEvT1_.kd
    .uniform_work_group_size: 1
    .uses_dynamic_stack: false
    .vgpr_count:     0
    .vgpr_spill_count: 0
    .wavefront_size: 32
    .workgroup_processor_mode: 1
  - .args:
      - .offset:         0
        .size:           120
        .value_kind:     by_value
    .group_segment_fixed_size: 10768
    .kernarg_segment_align: 8
    .kernarg_segment_size: 120
    .language:       OpenCL C
    .language_version:
      - 2
      - 0
    .max_flat_workgroup_size: 384
    .name:           _ZN7rocprim17ROCPRIM_400000_NS6detail17trampoline_kernelINS0_14default_configENS1_25partition_config_selectorILNS1_17partition_subalgoE6EfNS0_10empty_typeEbEEZZNS1_14partition_implILS5_6ELb0ES3_mN6thrust23THRUST_200600_302600_NS6detail15normal_iteratorINSA_10device_ptrIfEEEEPS6_SG_NS0_5tupleIJNSA_16discard_iteratorINSA_11use_defaultEEES6_EEENSH_IJSG_SG_EEES6_PlJNSB_9not_fun_tI7is_trueIfEEEEEE10hipError_tPvRmT3_T4_T5_T6_T7_T9_mT8_P12ihipStream_tbDpT10_ENKUlT_T0_E_clISt17integral_constantIbLb0EES1B_EEDaS16_S17_EUlS16_E_NS1_11comp_targetILNS1_3genE10ELNS1_11target_archE1200ELNS1_3gpuE4ELNS1_3repE0EEENS1_30default_config_static_selectorELNS0_4arch9wavefront6targetE0EEEvT1_
    .private_segment_fixed_size: 0
    .sgpr_count:     23
    .sgpr_spill_count: 0
    .symbol:         _ZN7rocprim17ROCPRIM_400000_NS6detail17trampoline_kernelINS0_14default_configENS1_25partition_config_selectorILNS1_17partition_subalgoE6EfNS0_10empty_typeEbEEZZNS1_14partition_implILS5_6ELb0ES3_mN6thrust23THRUST_200600_302600_NS6detail15normal_iteratorINSA_10device_ptrIfEEEEPS6_SG_NS0_5tupleIJNSA_16discard_iteratorINSA_11use_defaultEEES6_EEENSH_IJSG_SG_EEES6_PlJNSB_9not_fun_tI7is_trueIfEEEEEE10hipError_tPvRmT3_T4_T5_T6_T7_T9_mT8_P12ihipStream_tbDpT10_ENKUlT_T0_E_clISt17integral_constantIbLb0EES1B_EEDaS16_S17_EUlS16_E_NS1_11comp_targetILNS1_3genE10ELNS1_11target_archE1200ELNS1_3gpuE4ELNS1_3repE0EEENS1_30default_config_static_selectorELNS0_4arch9wavefront6targetE0EEEvT1_.kd
    .uniform_work_group_size: 1
    .uses_dynamic_stack: false
    .vgpr_count:     48
    .vgpr_spill_count: 0
    .wavefront_size: 32
    .workgroup_processor_mode: 1
  - .args:
      - .offset:         0
        .size:           120
        .value_kind:     by_value
    .group_segment_fixed_size: 0
    .kernarg_segment_align: 8
    .kernarg_segment_size: 120
    .language:       OpenCL C
    .language_version:
      - 2
      - 0
    .max_flat_workgroup_size: 128
    .name:           _ZN7rocprim17ROCPRIM_400000_NS6detail17trampoline_kernelINS0_14default_configENS1_25partition_config_selectorILNS1_17partition_subalgoE6EfNS0_10empty_typeEbEEZZNS1_14partition_implILS5_6ELb0ES3_mN6thrust23THRUST_200600_302600_NS6detail15normal_iteratorINSA_10device_ptrIfEEEEPS6_SG_NS0_5tupleIJNSA_16discard_iteratorINSA_11use_defaultEEES6_EEENSH_IJSG_SG_EEES6_PlJNSB_9not_fun_tI7is_trueIfEEEEEE10hipError_tPvRmT3_T4_T5_T6_T7_T9_mT8_P12ihipStream_tbDpT10_ENKUlT_T0_E_clISt17integral_constantIbLb0EES1B_EEDaS16_S17_EUlS16_E_NS1_11comp_targetILNS1_3genE9ELNS1_11target_archE1100ELNS1_3gpuE3ELNS1_3repE0EEENS1_30default_config_static_selectorELNS0_4arch9wavefront6targetE0EEEvT1_
    .private_segment_fixed_size: 0
    .sgpr_count:     0
    .sgpr_spill_count: 0
    .symbol:         _ZN7rocprim17ROCPRIM_400000_NS6detail17trampoline_kernelINS0_14default_configENS1_25partition_config_selectorILNS1_17partition_subalgoE6EfNS0_10empty_typeEbEEZZNS1_14partition_implILS5_6ELb0ES3_mN6thrust23THRUST_200600_302600_NS6detail15normal_iteratorINSA_10device_ptrIfEEEEPS6_SG_NS0_5tupleIJNSA_16discard_iteratorINSA_11use_defaultEEES6_EEENSH_IJSG_SG_EEES6_PlJNSB_9not_fun_tI7is_trueIfEEEEEE10hipError_tPvRmT3_T4_T5_T6_T7_T9_mT8_P12ihipStream_tbDpT10_ENKUlT_T0_E_clISt17integral_constantIbLb0EES1B_EEDaS16_S17_EUlS16_E_NS1_11comp_targetILNS1_3genE9ELNS1_11target_archE1100ELNS1_3gpuE3ELNS1_3repE0EEENS1_30default_config_static_selectorELNS0_4arch9wavefront6targetE0EEEvT1_.kd
    .uniform_work_group_size: 1
    .uses_dynamic_stack: false
    .vgpr_count:     0
    .vgpr_spill_count: 0
    .wavefront_size: 32
    .workgroup_processor_mode: 1
  - .args:
      - .offset:         0
        .size:           120
        .value_kind:     by_value
    .group_segment_fixed_size: 0
    .kernarg_segment_align: 8
    .kernarg_segment_size: 120
    .language:       OpenCL C
    .language_version:
      - 2
      - 0
    .max_flat_workgroup_size: 512
    .name:           _ZN7rocprim17ROCPRIM_400000_NS6detail17trampoline_kernelINS0_14default_configENS1_25partition_config_selectorILNS1_17partition_subalgoE6EfNS0_10empty_typeEbEEZZNS1_14partition_implILS5_6ELb0ES3_mN6thrust23THRUST_200600_302600_NS6detail15normal_iteratorINSA_10device_ptrIfEEEEPS6_SG_NS0_5tupleIJNSA_16discard_iteratorINSA_11use_defaultEEES6_EEENSH_IJSG_SG_EEES6_PlJNSB_9not_fun_tI7is_trueIfEEEEEE10hipError_tPvRmT3_T4_T5_T6_T7_T9_mT8_P12ihipStream_tbDpT10_ENKUlT_T0_E_clISt17integral_constantIbLb0EES1B_EEDaS16_S17_EUlS16_E_NS1_11comp_targetILNS1_3genE8ELNS1_11target_archE1030ELNS1_3gpuE2ELNS1_3repE0EEENS1_30default_config_static_selectorELNS0_4arch9wavefront6targetE0EEEvT1_
    .private_segment_fixed_size: 0
    .sgpr_count:     0
    .sgpr_spill_count: 0
    .symbol:         _ZN7rocprim17ROCPRIM_400000_NS6detail17trampoline_kernelINS0_14default_configENS1_25partition_config_selectorILNS1_17partition_subalgoE6EfNS0_10empty_typeEbEEZZNS1_14partition_implILS5_6ELb0ES3_mN6thrust23THRUST_200600_302600_NS6detail15normal_iteratorINSA_10device_ptrIfEEEEPS6_SG_NS0_5tupleIJNSA_16discard_iteratorINSA_11use_defaultEEES6_EEENSH_IJSG_SG_EEES6_PlJNSB_9not_fun_tI7is_trueIfEEEEEE10hipError_tPvRmT3_T4_T5_T6_T7_T9_mT8_P12ihipStream_tbDpT10_ENKUlT_T0_E_clISt17integral_constantIbLb0EES1B_EEDaS16_S17_EUlS16_E_NS1_11comp_targetILNS1_3genE8ELNS1_11target_archE1030ELNS1_3gpuE2ELNS1_3repE0EEENS1_30default_config_static_selectorELNS0_4arch9wavefront6targetE0EEEvT1_.kd
    .uniform_work_group_size: 1
    .uses_dynamic_stack: false
    .vgpr_count:     0
    .vgpr_spill_count: 0
    .wavefront_size: 32
    .workgroup_processor_mode: 1
  - .args:
      - .offset:         0
        .size:           136
        .value_kind:     by_value
    .group_segment_fixed_size: 0
    .kernarg_segment_align: 8
    .kernarg_segment_size: 136
    .language:       OpenCL C
    .language_version:
      - 2
      - 0
    .max_flat_workgroup_size: 256
    .name:           _ZN7rocprim17ROCPRIM_400000_NS6detail17trampoline_kernelINS0_14default_configENS1_25partition_config_selectorILNS1_17partition_subalgoE6EfNS0_10empty_typeEbEEZZNS1_14partition_implILS5_6ELb0ES3_mN6thrust23THRUST_200600_302600_NS6detail15normal_iteratorINSA_10device_ptrIfEEEEPS6_SG_NS0_5tupleIJNSA_16discard_iteratorINSA_11use_defaultEEES6_EEENSH_IJSG_SG_EEES6_PlJNSB_9not_fun_tI7is_trueIfEEEEEE10hipError_tPvRmT3_T4_T5_T6_T7_T9_mT8_P12ihipStream_tbDpT10_ENKUlT_T0_E_clISt17integral_constantIbLb1EES1B_EEDaS16_S17_EUlS16_E_NS1_11comp_targetILNS1_3genE0ELNS1_11target_archE4294967295ELNS1_3gpuE0ELNS1_3repE0EEENS1_30default_config_static_selectorELNS0_4arch9wavefront6targetE0EEEvT1_
    .private_segment_fixed_size: 0
    .sgpr_count:     0
    .sgpr_spill_count: 0
    .symbol:         _ZN7rocprim17ROCPRIM_400000_NS6detail17trampoline_kernelINS0_14default_configENS1_25partition_config_selectorILNS1_17partition_subalgoE6EfNS0_10empty_typeEbEEZZNS1_14partition_implILS5_6ELb0ES3_mN6thrust23THRUST_200600_302600_NS6detail15normal_iteratorINSA_10device_ptrIfEEEEPS6_SG_NS0_5tupleIJNSA_16discard_iteratorINSA_11use_defaultEEES6_EEENSH_IJSG_SG_EEES6_PlJNSB_9not_fun_tI7is_trueIfEEEEEE10hipError_tPvRmT3_T4_T5_T6_T7_T9_mT8_P12ihipStream_tbDpT10_ENKUlT_T0_E_clISt17integral_constantIbLb1EES1B_EEDaS16_S17_EUlS16_E_NS1_11comp_targetILNS1_3genE0ELNS1_11target_archE4294967295ELNS1_3gpuE0ELNS1_3repE0EEENS1_30default_config_static_selectorELNS0_4arch9wavefront6targetE0EEEvT1_.kd
    .uniform_work_group_size: 1
    .uses_dynamic_stack: false
    .vgpr_count:     0
    .vgpr_spill_count: 0
    .wavefront_size: 32
    .workgroup_processor_mode: 1
  - .args:
      - .offset:         0
        .size:           136
        .value_kind:     by_value
    .group_segment_fixed_size: 0
    .kernarg_segment_align: 8
    .kernarg_segment_size: 136
    .language:       OpenCL C
    .language_version:
      - 2
      - 0
    .max_flat_workgroup_size: 512
    .name:           _ZN7rocprim17ROCPRIM_400000_NS6detail17trampoline_kernelINS0_14default_configENS1_25partition_config_selectorILNS1_17partition_subalgoE6EfNS0_10empty_typeEbEEZZNS1_14partition_implILS5_6ELb0ES3_mN6thrust23THRUST_200600_302600_NS6detail15normal_iteratorINSA_10device_ptrIfEEEEPS6_SG_NS0_5tupleIJNSA_16discard_iteratorINSA_11use_defaultEEES6_EEENSH_IJSG_SG_EEES6_PlJNSB_9not_fun_tI7is_trueIfEEEEEE10hipError_tPvRmT3_T4_T5_T6_T7_T9_mT8_P12ihipStream_tbDpT10_ENKUlT_T0_E_clISt17integral_constantIbLb1EES1B_EEDaS16_S17_EUlS16_E_NS1_11comp_targetILNS1_3genE5ELNS1_11target_archE942ELNS1_3gpuE9ELNS1_3repE0EEENS1_30default_config_static_selectorELNS0_4arch9wavefront6targetE0EEEvT1_
    .private_segment_fixed_size: 0
    .sgpr_count:     0
    .sgpr_spill_count: 0
    .symbol:         _ZN7rocprim17ROCPRIM_400000_NS6detail17trampoline_kernelINS0_14default_configENS1_25partition_config_selectorILNS1_17partition_subalgoE6EfNS0_10empty_typeEbEEZZNS1_14partition_implILS5_6ELb0ES3_mN6thrust23THRUST_200600_302600_NS6detail15normal_iteratorINSA_10device_ptrIfEEEEPS6_SG_NS0_5tupleIJNSA_16discard_iteratorINSA_11use_defaultEEES6_EEENSH_IJSG_SG_EEES6_PlJNSB_9not_fun_tI7is_trueIfEEEEEE10hipError_tPvRmT3_T4_T5_T6_T7_T9_mT8_P12ihipStream_tbDpT10_ENKUlT_T0_E_clISt17integral_constantIbLb1EES1B_EEDaS16_S17_EUlS16_E_NS1_11comp_targetILNS1_3genE5ELNS1_11target_archE942ELNS1_3gpuE9ELNS1_3repE0EEENS1_30default_config_static_selectorELNS0_4arch9wavefront6targetE0EEEvT1_.kd
    .uniform_work_group_size: 1
    .uses_dynamic_stack: false
    .vgpr_count:     0
    .vgpr_spill_count: 0
    .wavefront_size: 32
    .workgroup_processor_mode: 1
  - .args:
      - .offset:         0
        .size:           136
        .value_kind:     by_value
    .group_segment_fixed_size: 0
    .kernarg_segment_align: 8
    .kernarg_segment_size: 136
    .language:       OpenCL C
    .language_version:
      - 2
      - 0
    .max_flat_workgroup_size: 512
    .name:           _ZN7rocprim17ROCPRIM_400000_NS6detail17trampoline_kernelINS0_14default_configENS1_25partition_config_selectorILNS1_17partition_subalgoE6EfNS0_10empty_typeEbEEZZNS1_14partition_implILS5_6ELb0ES3_mN6thrust23THRUST_200600_302600_NS6detail15normal_iteratorINSA_10device_ptrIfEEEEPS6_SG_NS0_5tupleIJNSA_16discard_iteratorINSA_11use_defaultEEES6_EEENSH_IJSG_SG_EEES6_PlJNSB_9not_fun_tI7is_trueIfEEEEEE10hipError_tPvRmT3_T4_T5_T6_T7_T9_mT8_P12ihipStream_tbDpT10_ENKUlT_T0_E_clISt17integral_constantIbLb1EES1B_EEDaS16_S17_EUlS16_E_NS1_11comp_targetILNS1_3genE4ELNS1_11target_archE910ELNS1_3gpuE8ELNS1_3repE0EEENS1_30default_config_static_selectorELNS0_4arch9wavefront6targetE0EEEvT1_
    .private_segment_fixed_size: 0
    .sgpr_count:     0
    .sgpr_spill_count: 0
    .symbol:         _ZN7rocprim17ROCPRIM_400000_NS6detail17trampoline_kernelINS0_14default_configENS1_25partition_config_selectorILNS1_17partition_subalgoE6EfNS0_10empty_typeEbEEZZNS1_14partition_implILS5_6ELb0ES3_mN6thrust23THRUST_200600_302600_NS6detail15normal_iteratorINSA_10device_ptrIfEEEEPS6_SG_NS0_5tupleIJNSA_16discard_iteratorINSA_11use_defaultEEES6_EEENSH_IJSG_SG_EEES6_PlJNSB_9not_fun_tI7is_trueIfEEEEEE10hipError_tPvRmT3_T4_T5_T6_T7_T9_mT8_P12ihipStream_tbDpT10_ENKUlT_T0_E_clISt17integral_constantIbLb1EES1B_EEDaS16_S17_EUlS16_E_NS1_11comp_targetILNS1_3genE4ELNS1_11target_archE910ELNS1_3gpuE8ELNS1_3repE0EEENS1_30default_config_static_selectorELNS0_4arch9wavefront6targetE0EEEvT1_.kd
    .uniform_work_group_size: 1
    .uses_dynamic_stack: false
    .vgpr_count:     0
    .vgpr_spill_count: 0
    .wavefront_size: 32
    .workgroup_processor_mode: 1
  - .args:
      - .offset:         0
        .size:           136
        .value_kind:     by_value
    .group_segment_fixed_size: 0
    .kernarg_segment_align: 8
    .kernarg_segment_size: 136
    .language:       OpenCL C
    .language_version:
      - 2
      - 0
    .max_flat_workgroup_size: 256
    .name:           _ZN7rocprim17ROCPRIM_400000_NS6detail17trampoline_kernelINS0_14default_configENS1_25partition_config_selectorILNS1_17partition_subalgoE6EfNS0_10empty_typeEbEEZZNS1_14partition_implILS5_6ELb0ES3_mN6thrust23THRUST_200600_302600_NS6detail15normal_iteratorINSA_10device_ptrIfEEEEPS6_SG_NS0_5tupleIJNSA_16discard_iteratorINSA_11use_defaultEEES6_EEENSH_IJSG_SG_EEES6_PlJNSB_9not_fun_tI7is_trueIfEEEEEE10hipError_tPvRmT3_T4_T5_T6_T7_T9_mT8_P12ihipStream_tbDpT10_ENKUlT_T0_E_clISt17integral_constantIbLb1EES1B_EEDaS16_S17_EUlS16_E_NS1_11comp_targetILNS1_3genE3ELNS1_11target_archE908ELNS1_3gpuE7ELNS1_3repE0EEENS1_30default_config_static_selectorELNS0_4arch9wavefront6targetE0EEEvT1_
    .private_segment_fixed_size: 0
    .sgpr_count:     0
    .sgpr_spill_count: 0
    .symbol:         _ZN7rocprim17ROCPRIM_400000_NS6detail17trampoline_kernelINS0_14default_configENS1_25partition_config_selectorILNS1_17partition_subalgoE6EfNS0_10empty_typeEbEEZZNS1_14partition_implILS5_6ELb0ES3_mN6thrust23THRUST_200600_302600_NS6detail15normal_iteratorINSA_10device_ptrIfEEEEPS6_SG_NS0_5tupleIJNSA_16discard_iteratorINSA_11use_defaultEEES6_EEENSH_IJSG_SG_EEES6_PlJNSB_9not_fun_tI7is_trueIfEEEEEE10hipError_tPvRmT3_T4_T5_T6_T7_T9_mT8_P12ihipStream_tbDpT10_ENKUlT_T0_E_clISt17integral_constantIbLb1EES1B_EEDaS16_S17_EUlS16_E_NS1_11comp_targetILNS1_3genE3ELNS1_11target_archE908ELNS1_3gpuE7ELNS1_3repE0EEENS1_30default_config_static_selectorELNS0_4arch9wavefront6targetE0EEEvT1_.kd
    .uniform_work_group_size: 1
    .uses_dynamic_stack: false
    .vgpr_count:     0
    .vgpr_spill_count: 0
    .wavefront_size: 32
    .workgroup_processor_mode: 1
  - .args:
      - .offset:         0
        .size:           136
        .value_kind:     by_value
    .group_segment_fixed_size: 0
    .kernarg_segment_align: 8
    .kernarg_segment_size: 136
    .language:       OpenCL C
    .language_version:
      - 2
      - 0
    .max_flat_workgroup_size: 256
    .name:           _ZN7rocprim17ROCPRIM_400000_NS6detail17trampoline_kernelINS0_14default_configENS1_25partition_config_selectorILNS1_17partition_subalgoE6EfNS0_10empty_typeEbEEZZNS1_14partition_implILS5_6ELb0ES3_mN6thrust23THRUST_200600_302600_NS6detail15normal_iteratorINSA_10device_ptrIfEEEEPS6_SG_NS0_5tupleIJNSA_16discard_iteratorINSA_11use_defaultEEES6_EEENSH_IJSG_SG_EEES6_PlJNSB_9not_fun_tI7is_trueIfEEEEEE10hipError_tPvRmT3_T4_T5_T6_T7_T9_mT8_P12ihipStream_tbDpT10_ENKUlT_T0_E_clISt17integral_constantIbLb1EES1B_EEDaS16_S17_EUlS16_E_NS1_11comp_targetILNS1_3genE2ELNS1_11target_archE906ELNS1_3gpuE6ELNS1_3repE0EEENS1_30default_config_static_selectorELNS0_4arch9wavefront6targetE0EEEvT1_
    .private_segment_fixed_size: 0
    .sgpr_count:     0
    .sgpr_spill_count: 0
    .symbol:         _ZN7rocprim17ROCPRIM_400000_NS6detail17trampoline_kernelINS0_14default_configENS1_25partition_config_selectorILNS1_17partition_subalgoE6EfNS0_10empty_typeEbEEZZNS1_14partition_implILS5_6ELb0ES3_mN6thrust23THRUST_200600_302600_NS6detail15normal_iteratorINSA_10device_ptrIfEEEEPS6_SG_NS0_5tupleIJNSA_16discard_iteratorINSA_11use_defaultEEES6_EEENSH_IJSG_SG_EEES6_PlJNSB_9not_fun_tI7is_trueIfEEEEEE10hipError_tPvRmT3_T4_T5_T6_T7_T9_mT8_P12ihipStream_tbDpT10_ENKUlT_T0_E_clISt17integral_constantIbLb1EES1B_EEDaS16_S17_EUlS16_E_NS1_11comp_targetILNS1_3genE2ELNS1_11target_archE906ELNS1_3gpuE6ELNS1_3repE0EEENS1_30default_config_static_selectorELNS0_4arch9wavefront6targetE0EEEvT1_.kd
    .uniform_work_group_size: 1
    .uses_dynamic_stack: false
    .vgpr_count:     0
    .vgpr_spill_count: 0
    .wavefront_size: 32
    .workgroup_processor_mode: 1
  - .args:
      - .offset:         0
        .size:           136
        .value_kind:     by_value
    .group_segment_fixed_size: 0
    .kernarg_segment_align: 8
    .kernarg_segment_size: 136
    .language:       OpenCL C
    .language_version:
      - 2
      - 0
    .max_flat_workgroup_size: 384
    .name:           _ZN7rocprim17ROCPRIM_400000_NS6detail17trampoline_kernelINS0_14default_configENS1_25partition_config_selectorILNS1_17partition_subalgoE6EfNS0_10empty_typeEbEEZZNS1_14partition_implILS5_6ELb0ES3_mN6thrust23THRUST_200600_302600_NS6detail15normal_iteratorINSA_10device_ptrIfEEEEPS6_SG_NS0_5tupleIJNSA_16discard_iteratorINSA_11use_defaultEEES6_EEENSH_IJSG_SG_EEES6_PlJNSB_9not_fun_tI7is_trueIfEEEEEE10hipError_tPvRmT3_T4_T5_T6_T7_T9_mT8_P12ihipStream_tbDpT10_ENKUlT_T0_E_clISt17integral_constantIbLb1EES1B_EEDaS16_S17_EUlS16_E_NS1_11comp_targetILNS1_3genE10ELNS1_11target_archE1200ELNS1_3gpuE4ELNS1_3repE0EEENS1_30default_config_static_selectorELNS0_4arch9wavefront6targetE0EEEvT1_
    .private_segment_fixed_size: 0
    .sgpr_count:     0
    .sgpr_spill_count: 0
    .symbol:         _ZN7rocprim17ROCPRIM_400000_NS6detail17trampoline_kernelINS0_14default_configENS1_25partition_config_selectorILNS1_17partition_subalgoE6EfNS0_10empty_typeEbEEZZNS1_14partition_implILS5_6ELb0ES3_mN6thrust23THRUST_200600_302600_NS6detail15normal_iteratorINSA_10device_ptrIfEEEEPS6_SG_NS0_5tupleIJNSA_16discard_iteratorINSA_11use_defaultEEES6_EEENSH_IJSG_SG_EEES6_PlJNSB_9not_fun_tI7is_trueIfEEEEEE10hipError_tPvRmT3_T4_T5_T6_T7_T9_mT8_P12ihipStream_tbDpT10_ENKUlT_T0_E_clISt17integral_constantIbLb1EES1B_EEDaS16_S17_EUlS16_E_NS1_11comp_targetILNS1_3genE10ELNS1_11target_archE1200ELNS1_3gpuE4ELNS1_3repE0EEENS1_30default_config_static_selectorELNS0_4arch9wavefront6targetE0EEEvT1_.kd
    .uniform_work_group_size: 1
    .uses_dynamic_stack: false
    .vgpr_count:     0
    .vgpr_spill_count: 0
    .wavefront_size: 32
    .workgroup_processor_mode: 1
  - .args:
      - .offset:         0
        .size:           136
        .value_kind:     by_value
    .group_segment_fixed_size: 0
    .kernarg_segment_align: 8
    .kernarg_segment_size: 136
    .language:       OpenCL C
    .language_version:
      - 2
      - 0
    .max_flat_workgroup_size: 128
    .name:           _ZN7rocprim17ROCPRIM_400000_NS6detail17trampoline_kernelINS0_14default_configENS1_25partition_config_selectorILNS1_17partition_subalgoE6EfNS0_10empty_typeEbEEZZNS1_14partition_implILS5_6ELb0ES3_mN6thrust23THRUST_200600_302600_NS6detail15normal_iteratorINSA_10device_ptrIfEEEEPS6_SG_NS0_5tupleIJNSA_16discard_iteratorINSA_11use_defaultEEES6_EEENSH_IJSG_SG_EEES6_PlJNSB_9not_fun_tI7is_trueIfEEEEEE10hipError_tPvRmT3_T4_T5_T6_T7_T9_mT8_P12ihipStream_tbDpT10_ENKUlT_T0_E_clISt17integral_constantIbLb1EES1B_EEDaS16_S17_EUlS16_E_NS1_11comp_targetILNS1_3genE9ELNS1_11target_archE1100ELNS1_3gpuE3ELNS1_3repE0EEENS1_30default_config_static_selectorELNS0_4arch9wavefront6targetE0EEEvT1_
    .private_segment_fixed_size: 0
    .sgpr_count:     0
    .sgpr_spill_count: 0
    .symbol:         _ZN7rocprim17ROCPRIM_400000_NS6detail17trampoline_kernelINS0_14default_configENS1_25partition_config_selectorILNS1_17partition_subalgoE6EfNS0_10empty_typeEbEEZZNS1_14partition_implILS5_6ELb0ES3_mN6thrust23THRUST_200600_302600_NS6detail15normal_iteratorINSA_10device_ptrIfEEEEPS6_SG_NS0_5tupleIJNSA_16discard_iteratorINSA_11use_defaultEEES6_EEENSH_IJSG_SG_EEES6_PlJNSB_9not_fun_tI7is_trueIfEEEEEE10hipError_tPvRmT3_T4_T5_T6_T7_T9_mT8_P12ihipStream_tbDpT10_ENKUlT_T0_E_clISt17integral_constantIbLb1EES1B_EEDaS16_S17_EUlS16_E_NS1_11comp_targetILNS1_3genE9ELNS1_11target_archE1100ELNS1_3gpuE3ELNS1_3repE0EEENS1_30default_config_static_selectorELNS0_4arch9wavefront6targetE0EEEvT1_.kd
    .uniform_work_group_size: 1
    .uses_dynamic_stack: false
    .vgpr_count:     0
    .vgpr_spill_count: 0
    .wavefront_size: 32
    .workgroup_processor_mode: 1
  - .args:
      - .offset:         0
        .size:           136
        .value_kind:     by_value
    .group_segment_fixed_size: 0
    .kernarg_segment_align: 8
    .kernarg_segment_size: 136
    .language:       OpenCL C
    .language_version:
      - 2
      - 0
    .max_flat_workgroup_size: 512
    .name:           _ZN7rocprim17ROCPRIM_400000_NS6detail17trampoline_kernelINS0_14default_configENS1_25partition_config_selectorILNS1_17partition_subalgoE6EfNS0_10empty_typeEbEEZZNS1_14partition_implILS5_6ELb0ES3_mN6thrust23THRUST_200600_302600_NS6detail15normal_iteratorINSA_10device_ptrIfEEEEPS6_SG_NS0_5tupleIJNSA_16discard_iteratorINSA_11use_defaultEEES6_EEENSH_IJSG_SG_EEES6_PlJNSB_9not_fun_tI7is_trueIfEEEEEE10hipError_tPvRmT3_T4_T5_T6_T7_T9_mT8_P12ihipStream_tbDpT10_ENKUlT_T0_E_clISt17integral_constantIbLb1EES1B_EEDaS16_S17_EUlS16_E_NS1_11comp_targetILNS1_3genE8ELNS1_11target_archE1030ELNS1_3gpuE2ELNS1_3repE0EEENS1_30default_config_static_selectorELNS0_4arch9wavefront6targetE0EEEvT1_
    .private_segment_fixed_size: 0
    .sgpr_count:     0
    .sgpr_spill_count: 0
    .symbol:         _ZN7rocprim17ROCPRIM_400000_NS6detail17trampoline_kernelINS0_14default_configENS1_25partition_config_selectorILNS1_17partition_subalgoE6EfNS0_10empty_typeEbEEZZNS1_14partition_implILS5_6ELb0ES3_mN6thrust23THRUST_200600_302600_NS6detail15normal_iteratorINSA_10device_ptrIfEEEEPS6_SG_NS0_5tupleIJNSA_16discard_iteratorINSA_11use_defaultEEES6_EEENSH_IJSG_SG_EEES6_PlJNSB_9not_fun_tI7is_trueIfEEEEEE10hipError_tPvRmT3_T4_T5_T6_T7_T9_mT8_P12ihipStream_tbDpT10_ENKUlT_T0_E_clISt17integral_constantIbLb1EES1B_EEDaS16_S17_EUlS16_E_NS1_11comp_targetILNS1_3genE8ELNS1_11target_archE1030ELNS1_3gpuE2ELNS1_3repE0EEENS1_30default_config_static_selectorELNS0_4arch9wavefront6targetE0EEEvT1_.kd
    .uniform_work_group_size: 1
    .uses_dynamic_stack: false
    .vgpr_count:     0
    .vgpr_spill_count: 0
    .wavefront_size: 32
    .workgroup_processor_mode: 1
  - .args:
      - .offset:         0
        .size:           120
        .value_kind:     by_value
    .group_segment_fixed_size: 0
    .kernarg_segment_align: 8
    .kernarg_segment_size: 120
    .language:       OpenCL C
    .language_version:
      - 2
      - 0
    .max_flat_workgroup_size: 256
    .name:           _ZN7rocprim17ROCPRIM_400000_NS6detail17trampoline_kernelINS0_14default_configENS1_25partition_config_selectorILNS1_17partition_subalgoE6EfNS0_10empty_typeEbEEZZNS1_14partition_implILS5_6ELb0ES3_mN6thrust23THRUST_200600_302600_NS6detail15normal_iteratorINSA_10device_ptrIfEEEEPS6_SG_NS0_5tupleIJNSA_16discard_iteratorINSA_11use_defaultEEES6_EEENSH_IJSG_SG_EEES6_PlJNSB_9not_fun_tI7is_trueIfEEEEEE10hipError_tPvRmT3_T4_T5_T6_T7_T9_mT8_P12ihipStream_tbDpT10_ENKUlT_T0_E_clISt17integral_constantIbLb1EES1A_IbLb0EEEEDaS16_S17_EUlS16_E_NS1_11comp_targetILNS1_3genE0ELNS1_11target_archE4294967295ELNS1_3gpuE0ELNS1_3repE0EEENS1_30default_config_static_selectorELNS0_4arch9wavefront6targetE0EEEvT1_
    .private_segment_fixed_size: 0
    .sgpr_count:     0
    .sgpr_spill_count: 0
    .symbol:         _ZN7rocprim17ROCPRIM_400000_NS6detail17trampoline_kernelINS0_14default_configENS1_25partition_config_selectorILNS1_17partition_subalgoE6EfNS0_10empty_typeEbEEZZNS1_14partition_implILS5_6ELb0ES3_mN6thrust23THRUST_200600_302600_NS6detail15normal_iteratorINSA_10device_ptrIfEEEEPS6_SG_NS0_5tupleIJNSA_16discard_iteratorINSA_11use_defaultEEES6_EEENSH_IJSG_SG_EEES6_PlJNSB_9not_fun_tI7is_trueIfEEEEEE10hipError_tPvRmT3_T4_T5_T6_T7_T9_mT8_P12ihipStream_tbDpT10_ENKUlT_T0_E_clISt17integral_constantIbLb1EES1A_IbLb0EEEEDaS16_S17_EUlS16_E_NS1_11comp_targetILNS1_3genE0ELNS1_11target_archE4294967295ELNS1_3gpuE0ELNS1_3repE0EEENS1_30default_config_static_selectorELNS0_4arch9wavefront6targetE0EEEvT1_.kd
    .uniform_work_group_size: 1
    .uses_dynamic_stack: false
    .vgpr_count:     0
    .vgpr_spill_count: 0
    .wavefront_size: 32
    .workgroup_processor_mode: 1
  - .args:
      - .offset:         0
        .size:           120
        .value_kind:     by_value
    .group_segment_fixed_size: 0
    .kernarg_segment_align: 8
    .kernarg_segment_size: 120
    .language:       OpenCL C
    .language_version:
      - 2
      - 0
    .max_flat_workgroup_size: 512
    .name:           _ZN7rocprim17ROCPRIM_400000_NS6detail17trampoline_kernelINS0_14default_configENS1_25partition_config_selectorILNS1_17partition_subalgoE6EfNS0_10empty_typeEbEEZZNS1_14partition_implILS5_6ELb0ES3_mN6thrust23THRUST_200600_302600_NS6detail15normal_iteratorINSA_10device_ptrIfEEEEPS6_SG_NS0_5tupleIJNSA_16discard_iteratorINSA_11use_defaultEEES6_EEENSH_IJSG_SG_EEES6_PlJNSB_9not_fun_tI7is_trueIfEEEEEE10hipError_tPvRmT3_T4_T5_T6_T7_T9_mT8_P12ihipStream_tbDpT10_ENKUlT_T0_E_clISt17integral_constantIbLb1EES1A_IbLb0EEEEDaS16_S17_EUlS16_E_NS1_11comp_targetILNS1_3genE5ELNS1_11target_archE942ELNS1_3gpuE9ELNS1_3repE0EEENS1_30default_config_static_selectorELNS0_4arch9wavefront6targetE0EEEvT1_
    .private_segment_fixed_size: 0
    .sgpr_count:     0
    .sgpr_spill_count: 0
    .symbol:         _ZN7rocprim17ROCPRIM_400000_NS6detail17trampoline_kernelINS0_14default_configENS1_25partition_config_selectorILNS1_17partition_subalgoE6EfNS0_10empty_typeEbEEZZNS1_14partition_implILS5_6ELb0ES3_mN6thrust23THRUST_200600_302600_NS6detail15normal_iteratorINSA_10device_ptrIfEEEEPS6_SG_NS0_5tupleIJNSA_16discard_iteratorINSA_11use_defaultEEES6_EEENSH_IJSG_SG_EEES6_PlJNSB_9not_fun_tI7is_trueIfEEEEEE10hipError_tPvRmT3_T4_T5_T6_T7_T9_mT8_P12ihipStream_tbDpT10_ENKUlT_T0_E_clISt17integral_constantIbLb1EES1A_IbLb0EEEEDaS16_S17_EUlS16_E_NS1_11comp_targetILNS1_3genE5ELNS1_11target_archE942ELNS1_3gpuE9ELNS1_3repE0EEENS1_30default_config_static_selectorELNS0_4arch9wavefront6targetE0EEEvT1_.kd
    .uniform_work_group_size: 1
    .uses_dynamic_stack: false
    .vgpr_count:     0
    .vgpr_spill_count: 0
    .wavefront_size: 32
    .workgroup_processor_mode: 1
  - .args:
      - .offset:         0
        .size:           120
        .value_kind:     by_value
    .group_segment_fixed_size: 0
    .kernarg_segment_align: 8
    .kernarg_segment_size: 120
    .language:       OpenCL C
    .language_version:
      - 2
      - 0
    .max_flat_workgroup_size: 512
    .name:           _ZN7rocprim17ROCPRIM_400000_NS6detail17trampoline_kernelINS0_14default_configENS1_25partition_config_selectorILNS1_17partition_subalgoE6EfNS0_10empty_typeEbEEZZNS1_14partition_implILS5_6ELb0ES3_mN6thrust23THRUST_200600_302600_NS6detail15normal_iteratorINSA_10device_ptrIfEEEEPS6_SG_NS0_5tupleIJNSA_16discard_iteratorINSA_11use_defaultEEES6_EEENSH_IJSG_SG_EEES6_PlJNSB_9not_fun_tI7is_trueIfEEEEEE10hipError_tPvRmT3_T4_T5_T6_T7_T9_mT8_P12ihipStream_tbDpT10_ENKUlT_T0_E_clISt17integral_constantIbLb1EES1A_IbLb0EEEEDaS16_S17_EUlS16_E_NS1_11comp_targetILNS1_3genE4ELNS1_11target_archE910ELNS1_3gpuE8ELNS1_3repE0EEENS1_30default_config_static_selectorELNS0_4arch9wavefront6targetE0EEEvT1_
    .private_segment_fixed_size: 0
    .sgpr_count:     0
    .sgpr_spill_count: 0
    .symbol:         _ZN7rocprim17ROCPRIM_400000_NS6detail17trampoline_kernelINS0_14default_configENS1_25partition_config_selectorILNS1_17partition_subalgoE6EfNS0_10empty_typeEbEEZZNS1_14partition_implILS5_6ELb0ES3_mN6thrust23THRUST_200600_302600_NS6detail15normal_iteratorINSA_10device_ptrIfEEEEPS6_SG_NS0_5tupleIJNSA_16discard_iteratorINSA_11use_defaultEEES6_EEENSH_IJSG_SG_EEES6_PlJNSB_9not_fun_tI7is_trueIfEEEEEE10hipError_tPvRmT3_T4_T5_T6_T7_T9_mT8_P12ihipStream_tbDpT10_ENKUlT_T0_E_clISt17integral_constantIbLb1EES1A_IbLb0EEEEDaS16_S17_EUlS16_E_NS1_11comp_targetILNS1_3genE4ELNS1_11target_archE910ELNS1_3gpuE8ELNS1_3repE0EEENS1_30default_config_static_selectorELNS0_4arch9wavefront6targetE0EEEvT1_.kd
    .uniform_work_group_size: 1
    .uses_dynamic_stack: false
    .vgpr_count:     0
    .vgpr_spill_count: 0
    .wavefront_size: 32
    .workgroup_processor_mode: 1
  - .args:
      - .offset:         0
        .size:           120
        .value_kind:     by_value
    .group_segment_fixed_size: 0
    .kernarg_segment_align: 8
    .kernarg_segment_size: 120
    .language:       OpenCL C
    .language_version:
      - 2
      - 0
    .max_flat_workgroup_size: 256
    .name:           _ZN7rocprim17ROCPRIM_400000_NS6detail17trampoline_kernelINS0_14default_configENS1_25partition_config_selectorILNS1_17partition_subalgoE6EfNS0_10empty_typeEbEEZZNS1_14partition_implILS5_6ELb0ES3_mN6thrust23THRUST_200600_302600_NS6detail15normal_iteratorINSA_10device_ptrIfEEEEPS6_SG_NS0_5tupleIJNSA_16discard_iteratorINSA_11use_defaultEEES6_EEENSH_IJSG_SG_EEES6_PlJNSB_9not_fun_tI7is_trueIfEEEEEE10hipError_tPvRmT3_T4_T5_T6_T7_T9_mT8_P12ihipStream_tbDpT10_ENKUlT_T0_E_clISt17integral_constantIbLb1EES1A_IbLb0EEEEDaS16_S17_EUlS16_E_NS1_11comp_targetILNS1_3genE3ELNS1_11target_archE908ELNS1_3gpuE7ELNS1_3repE0EEENS1_30default_config_static_selectorELNS0_4arch9wavefront6targetE0EEEvT1_
    .private_segment_fixed_size: 0
    .sgpr_count:     0
    .sgpr_spill_count: 0
    .symbol:         _ZN7rocprim17ROCPRIM_400000_NS6detail17trampoline_kernelINS0_14default_configENS1_25partition_config_selectorILNS1_17partition_subalgoE6EfNS0_10empty_typeEbEEZZNS1_14partition_implILS5_6ELb0ES3_mN6thrust23THRUST_200600_302600_NS6detail15normal_iteratorINSA_10device_ptrIfEEEEPS6_SG_NS0_5tupleIJNSA_16discard_iteratorINSA_11use_defaultEEES6_EEENSH_IJSG_SG_EEES6_PlJNSB_9not_fun_tI7is_trueIfEEEEEE10hipError_tPvRmT3_T4_T5_T6_T7_T9_mT8_P12ihipStream_tbDpT10_ENKUlT_T0_E_clISt17integral_constantIbLb1EES1A_IbLb0EEEEDaS16_S17_EUlS16_E_NS1_11comp_targetILNS1_3genE3ELNS1_11target_archE908ELNS1_3gpuE7ELNS1_3repE0EEENS1_30default_config_static_selectorELNS0_4arch9wavefront6targetE0EEEvT1_.kd
    .uniform_work_group_size: 1
    .uses_dynamic_stack: false
    .vgpr_count:     0
    .vgpr_spill_count: 0
    .wavefront_size: 32
    .workgroup_processor_mode: 1
  - .args:
      - .offset:         0
        .size:           120
        .value_kind:     by_value
    .group_segment_fixed_size: 0
    .kernarg_segment_align: 8
    .kernarg_segment_size: 120
    .language:       OpenCL C
    .language_version:
      - 2
      - 0
    .max_flat_workgroup_size: 256
    .name:           _ZN7rocprim17ROCPRIM_400000_NS6detail17trampoline_kernelINS0_14default_configENS1_25partition_config_selectorILNS1_17partition_subalgoE6EfNS0_10empty_typeEbEEZZNS1_14partition_implILS5_6ELb0ES3_mN6thrust23THRUST_200600_302600_NS6detail15normal_iteratorINSA_10device_ptrIfEEEEPS6_SG_NS0_5tupleIJNSA_16discard_iteratorINSA_11use_defaultEEES6_EEENSH_IJSG_SG_EEES6_PlJNSB_9not_fun_tI7is_trueIfEEEEEE10hipError_tPvRmT3_T4_T5_T6_T7_T9_mT8_P12ihipStream_tbDpT10_ENKUlT_T0_E_clISt17integral_constantIbLb1EES1A_IbLb0EEEEDaS16_S17_EUlS16_E_NS1_11comp_targetILNS1_3genE2ELNS1_11target_archE906ELNS1_3gpuE6ELNS1_3repE0EEENS1_30default_config_static_selectorELNS0_4arch9wavefront6targetE0EEEvT1_
    .private_segment_fixed_size: 0
    .sgpr_count:     0
    .sgpr_spill_count: 0
    .symbol:         _ZN7rocprim17ROCPRIM_400000_NS6detail17trampoline_kernelINS0_14default_configENS1_25partition_config_selectorILNS1_17partition_subalgoE6EfNS0_10empty_typeEbEEZZNS1_14partition_implILS5_6ELb0ES3_mN6thrust23THRUST_200600_302600_NS6detail15normal_iteratorINSA_10device_ptrIfEEEEPS6_SG_NS0_5tupleIJNSA_16discard_iteratorINSA_11use_defaultEEES6_EEENSH_IJSG_SG_EEES6_PlJNSB_9not_fun_tI7is_trueIfEEEEEE10hipError_tPvRmT3_T4_T5_T6_T7_T9_mT8_P12ihipStream_tbDpT10_ENKUlT_T0_E_clISt17integral_constantIbLb1EES1A_IbLb0EEEEDaS16_S17_EUlS16_E_NS1_11comp_targetILNS1_3genE2ELNS1_11target_archE906ELNS1_3gpuE6ELNS1_3repE0EEENS1_30default_config_static_selectorELNS0_4arch9wavefront6targetE0EEEvT1_.kd
    .uniform_work_group_size: 1
    .uses_dynamic_stack: false
    .vgpr_count:     0
    .vgpr_spill_count: 0
    .wavefront_size: 32
    .workgroup_processor_mode: 1
  - .args:
      - .offset:         0
        .size:           120
        .value_kind:     by_value
    .group_segment_fixed_size: 0
    .kernarg_segment_align: 8
    .kernarg_segment_size: 120
    .language:       OpenCL C
    .language_version:
      - 2
      - 0
    .max_flat_workgroup_size: 384
    .name:           _ZN7rocprim17ROCPRIM_400000_NS6detail17trampoline_kernelINS0_14default_configENS1_25partition_config_selectorILNS1_17partition_subalgoE6EfNS0_10empty_typeEbEEZZNS1_14partition_implILS5_6ELb0ES3_mN6thrust23THRUST_200600_302600_NS6detail15normal_iteratorINSA_10device_ptrIfEEEEPS6_SG_NS0_5tupleIJNSA_16discard_iteratorINSA_11use_defaultEEES6_EEENSH_IJSG_SG_EEES6_PlJNSB_9not_fun_tI7is_trueIfEEEEEE10hipError_tPvRmT3_T4_T5_T6_T7_T9_mT8_P12ihipStream_tbDpT10_ENKUlT_T0_E_clISt17integral_constantIbLb1EES1A_IbLb0EEEEDaS16_S17_EUlS16_E_NS1_11comp_targetILNS1_3genE10ELNS1_11target_archE1200ELNS1_3gpuE4ELNS1_3repE0EEENS1_30default_config_static_selectorELNS0_4arch9wavefront6targetE0EEEvT1_
    .private_segment_fixed_size: 0
    .sgpr_count:     0
    .sgpr_spill_count: 0
    .symbol:         _ZN7rocprim17ROCPRIM_400000_NS6detail17trampoline_kernelINS0_14default_configENS1_25partition_config_selectorILNS1_17partition_subalgoE6EfNS0_10empty_typeEbEEZZNS1_14partition_implILS5_6ELb0ES3_mN6thrust23THRUST_200600_302600_NS6detail15normal_iteratorINSA_10device_ptrIfEEEEPS6_SG_NS0_5tupleIJNSA_16discard_iteratorINSA_11use_defaultEEES6_EEENSH_IJSG_SG_EEES6_PlJNSB_9not_fun_tI7is_trueIfEEEEEE10hipError_tPvRmT3_T4_T5_T6_T7_T9_mT8_P12ihipStream_tbDpT10_ENKUlT_T0_E_clISt17integral_constantIbLb1EES1A_IbLb0EEEEDaS16_S17_EUlS16_E_NS1_11comp_targetILNS1_3genE10ELNS1_11target_archE1200ELNS1_3gpuE4ELNS1_3repE0EEENS1_30default_config_static_selectorELNS0_4arch9wavefront6targetE0EEEvT1_.kd
    .uniform_work_group_size: 1
    .uses_dynamic_stack: false
    .vgpr_count:     0
    .vgpr_spill_count: 0
    .wavefront_size: 32
    .workgroup_processor_mode: 1
  - .args:
      - .offset:         0
        .size:           120
        .value_kind:     by_value
    .group_segment_fixed_size: 0
    .kernarg_segment_align: 8
    .kernarg_segment_size: 120
    .language:       OpenCL C
    .language_version:
      - 2
      - 0
    .max_flat_workgroup_size: 128
    .name:           _ZN7rocprim17ROCPRIM_400000_NS6detail17trampoline_kernelINS0_14default_configENS1_25partition_config_selectorILNS1_17partition_subalgoE6EfNS0_10empty_typeEbEEZZNS1_14partition_implILS5_6ELb0ES3_mN6thrust23THRUST_200600_302600_NS6detail15normal_iteratorINSA_10device_ptrIfEEEEPS6_SG_NS0_5tupleIJNSA_16discard_iteratorINSA_11use_defaultEEES6_EEENSH_IJSG_SG_EEES6_PlJNSB_9not_fun_tI7is_trueIfEEEEEE10hipError_tPvRmT3_T4_T5_T6_T7_T9_mT8_P12ihipStream_tbDpT10_ENKUlT_T0_E_clISt17integral_constantIbLb1EES1A_IbLb0EEEEDaS16_S17_EUlS16_E_NS1_11comp_targetILNS1_3genE9ELNS1_11target_archE1100ELNS1_3gpuE3ELNS1_3repE0EEENS1_30default_config_static_selectorELNS0_4arch9wavefront6targetE0EEEvT1_
    .private_segment_fixed_size: 0
    .sgpr_count:     0
    .sgpr_spill_count: 0
    .symbol:         _ZN7rocprim17ROCPRIM_400000_NS6detail17trampoline_kernelINS0_14default_configENS1_25partition_config_selectorILNS1_17partition_subalgoE6EfNS0_10empty_typeEbEEZZNS1_14partition_implILS5_6ELb0ES3_mN6thrust23THRUST_200600_302600_NS6detail15normal_iteratorINSA_10device_ptrIfEEEEPS6_SG_NS0_5tupleIJNSA_16discard_iteratorINSA_11use_defaultEEES6_EEENSH_IJSG_SG_EEES6_PlJNSB_9not_fun_tI7is_trueIfEEEEEE10hipError_tPvRmT3_T4_T5_T6_T7_T9_mT8_P12ihipStream_tbDpT10_ENKUlT_T0_E_clISt17integral_constantIbLb1EES1A_IbLb0EEEEDaS16_S17_EUlS16_E_NS1_11comp_targetILNS1_3genE9ELNS1_11target_archE1100ELNS1_3gpuE3ELNS1_3repE0EEENS1_30default_config_static_selectorELNS0_4arch9wavefront6targetE0EEEvT1_.kd
    .uniform_work_group_size: 1
    .uses_dynamic_stack: false
    .vgpr_count:     0
    .vgpr_spill_count: 0
    .wavefront_size: 32
    .workgroup_processor_mode: 1
  - .args:
      - .offset:         0
        .size:           120
        .value_kind:     by_value
    .group_segment_fixed_size: 0
    .kernarg_segment_align: 8
    .kernarg_segment_size: 120
    .language:       OpenCL C
    .language_version:
      - 2
      - 0
    .max_flat_workgroup_size: 512
    .name:           _ZN7rocprim17ROCPRIM_400000_NS6detail17trampoline_kernelINS0_14default_configENS1_25partition_config_selectorILNS1_17partition_subalgoE6EfNS0_10empty_typeEbEEZZNS1_14partition_implILS5_6ELb0ES3_mN6thrust23THRUST_200600_302600_NS6detail15normal_iteratorINSA_10device_ptrIfEEEEPS6_SG_NS0_5tupleIJNSA_16discard_iteratorINSA_11use_defaultEEES6_EEENSH_IJSG_SG_EEES6_PlJNSB_9not_fun_tI7is_trueIfEEEEEE10hipError_tPvRmT3_T4_T5_T6_T7_T9_mT8_P12ihipStream_tbDpT10_ENKUlT_T0_E_clISt17integral_constantIbLb1EES1A_IbLb0EEEEDaS16_S17_EUlS16_E_NS1_11comp_targetILNS1_3genE8ELNS1_11target_archE1030ELNS1_3gpuE2ELNS1_3repE0EEENS1_30default_config_static_selectorELNS0_4arch9wavefront6targetE0EEEvT1_
    .private_segment_fixed_size: 0
    .sgpr_count:     0
    .sgpr_spill_count: 0
    .symbol:         _ZN7rocprim17ROCPRIM_400000_NS6detail17trampoline_kernelINS0_14default_configENS1_25partition_config_selectorILNS1_17partition_subalgoE6EfNS0_10empty_typeEbEEZZNS1_14partition_implILS5_6ELb0ES3_mN6thrust23THRUST_200600_302600_NS6detail15normal_iteratorINSA_10device_ptrIfEEEEPS6_SG_NS0_5tupleIJNSA_16discard_iteratorINSA_11use_defaultEEES6_EEENSH_IJSG_SG_EEES6_PlJNSB_9not_fun_tI7is_trueIfEEEEEE10hipError_tPvRmT3_T4_T5_T6_T7_T9_mT8_P12ihipStream_tbDpT10_ENKUlT_T0_E_clISt17integral_constantIbLb1EES1A_IbLb0EEEEDaS16_S17_EUlS16_E_NS1_11comp_targetILNS1_3genE8ELNS1_11target_archE1030ELNS1_3gpuE2ELNS1_3repE0EEENS1_30default_config_static_selectorELNS0_4arch9wavefront6targetE0EEEvT1_.kd
    .uniform_work_group_size: 1
    .uses_dynamic_stack: false
    .vgpr_count:     0
    .vgpr_spill_count: 0
    .wavefront_size: 32
    .workgroup_processor_mode: 1
  - .args:
      - .offset:         0
        .size:           136
        .value_kind:     by_value
    .group_segment_fixed_size: 0
    .kernarg_segment_align: 8
    .kernarg_segment_size: 136
    .language:       OpenCL C
    .language_version:
      - 2
      - 0
    .max_flat_workgroup_size: 256
    .name:           _ZN7rocprim17ROCPRIM_400000_NS6detail17trampoline_kernelINS0_14default_configENS1_25partition_config_selectorILNS1_17partition_subalgoE6EfNS0_10empty_typeEbEEZZNS1_14partition_implILS5_6ELb0ES3_mN6thrust23THRUST_200600_302600_NS6detail15normal_iteratorINSA_10device_ptrIfEEEEPS6_SG_NS0_5tupleIJNSA_16discard_iteratorINSA_11use_defaultEEES6_EEENSH_IJSG_SG_EEES6_PlJNSB_9not_fun_tI7is_trueIfEEEEEE10hipError_tPvRmT3_T4_T5_T6_T7_T9_mT8_P12ihipStream_tbDpT10_ENKUlT_T0_E_clISt17integral_constantIbLb0EES1A_IbLb1EEEEDaS16_S17_EUlS16_E_NS1_11comp_targetILNS1_3genE0ELNS1_11target_archE4294967295ELNS1_3gpuE0ELNS1_3repE0EEENS1_30default_config_static_selectorELNS0_4arch9wavefront6targetE0EEEvT1_
    .private_segment_fixed_size: 0
    .sgpr_count:     0
    .sgpr_spill_count: 0
    .symbol:         _ZN7rocprim17ROCPRIM_400000_NS6detail17trampoline_kernelINS0_14default_configENS1_25partition_config_selectorILNS1_17partition_subalgoE6EfNS0_10empty_typeEbEEZZNS1_14partition_implILS5_6ELb0ES3_mN6thrust23THRUST_200600_302600_NS6detail15normal_iteratorINSA_10device_ptrIfEEEEPS6_SG_NS0_5tupleIJNSA_16discard_iteratorINSA_11use_defaultEEES6_EEENSH_IJSG_SG_EEES6_PlJNSB_9not_fun_tI7is_trueIfEEEEEE10hipError_tPvRmT3_T4_T5_T6_T7_T9_mT8_P12ihipStream_tbDpT10_ENKUlT_T0_E_clISt17integral_constantIbLb0EES1A_IbLb1EEEEDaS16_S17_EUlS16_E_NS1_11comp_targetILNS1_3genE0ELNS1_11target_archE4294967295ELNS1_3gpuE0ELNS1_3repE0EEENS1_30default_config_static_selectorELNS0_4arch9wavefront6targetE0EEEvT1_.kd
    .uniform_work_group_size: 1
    .uses_dynamic_stack: false
    .vgpr_count:     0
    .vgpr_spill_count: 0
    .wavefront_size: 32
    .workgroup_processor_mode: 1
  - .args:
      - .offset:         0
        .size:           136
        .value_kind:     by_value
    .group_segment_fixed_size: 0
    .kernarg_segment_align: 8
    .kernarg_segment_size: 136
    .language:       OpenCL C
    .language_version:
      - 2
      - 0
    .max_flat_workgroup_size: 512
    .name:           _ZN7rocprim17ROCPRIM_400000_NS6detail17trampoline_kernelINS0_14default_configENS1_25partition_config_selectorILNS1_17partition_subalgoE6EfNS0_10empty_typeEbEEZZNS1_14partition_implILS5_6ELb0ES3_mN6thrust23THRUST_200600_302600_NS6detail15normal_iteratorINSA_10device_ptrIfEEEEPS6_SG_NS0_5tupleIJNSA_16discard_iteratorINSA_11use_defaultEEES6_EEENSH_IJSG_SG_EEES6_PlJNSB_9not_fun_tI7is_trueIfEEEEEE10hipError_tPvRmT3_T4_T5_T6_T7_T9_mT8_P12ihipStream_tbDpT10_ENKUlT_T0_E_clISt17integral_constantIbLb0EES1A_IbLb1EEEEDaS16_S17_EUlS16_E_NS1_11comp_targetILNS1_3genE5ELNS1_11target_archE942ELNS1_3gpuE9ELNS1_3repE0EEENS1_30default_config_static_selectorELNS0_4arch9wavefront6targetE0EEEvT1_
    .private_segment_fixed_size: 0
    .sgpr_count:     0
    .sgpr_spill_count: 0
    .symbol:         _ZN7rocprim17ROCPRIM_400000_NS6detail17trampoline_kernelINS0_14default_configENS1_25partition_config_selectorILNS1_17partition_subalgoE6EfNS0_10empty_typeEbEEZZNS1_14partition_implILS5_6ELb0ES3_mN6thrust23THRUST_200600_302600_NS6detail15normal_iteratorINSA_10device_ptrIfEEEEPS6_SG_NS0_5tupleIJNSA_16discard_iteratorINSA_11use_defaultEEES6_EEENSH_IJSG_SG_EEES6_PlJNSB_9not_fun_tI7is_trueIfEEEEEE10hipError_tPvRmT3_T4_T5_T6_T7_T9_mT8_P12ihipStream_tbDpT10_ENKUlT_T0_E_clISt17integral_constantIbLb0EES1A_IbLb1EEEEDaS16_S17_EUlS16_E_NS1_11comp_targetILNS1_3genE5ELNS1_11target_archE942ELNS1_3gpuE9ELNS1_3repE0EEENS1_30default_config_static_selectorELNS0_4arch9wavefront6targetE0EEEvT1_.kd
    .uniform_work_group_size: 1
    .uses_dynamic_stack: false
    .vgpr_count:     0
    .vgpr_spill_count: 0
    .wavefront_size: 32
    .workgroup_processor_mode: 1
  - .args:
      - .offset:         0
        .size:           136
        .value_kind:     by_value
    .group_segment_fixed_size: 0
    .kernarg_segment_align: 8
    .kernarg_segment_size: 136
    .language:       OpenCL C
    .language_version:
      - 2
      - 0
    .max_flat_workgroup_size: 512
    .name:           _ZN7rocprim17ROCPRIM_400000_NS6detail17trampoline_kernelINS0_14default_configENS1_25partition_config_selectorILNS1_17partition_subalgoE6EfNS0_10empty_typeEbEEZZNS1_14partition_implILS5_6ELb0ES3_mN6thrust23THRUST_200600_302600_NS6detail15normal_iteratorINSA_10device_ptrIfEEEEPS6_SG_NS0_5tupleIJNSA_16discard_iteratorINSA_11use_defaultEEES6_EEENSH_IJSG_SG_EEES6_PlJNSB_9not_fun_tI7is_trueIfEEEEEE10hipError_tPvRmT3_T4_T5_T6_T7_T9_mT8_P12ihipStream_tbDpT10_ENKUlT_T0_E_clISt17integral_constantIbLb0EES1A_IbLb1EEEEDaS16_S17_EUlS16_E_NS1_11comp_targetILNS1_3genE4ELNS1_11target_archE910ELNS1_3gpuE8ELNS1_3repE0EEENS1_30default_config_static_selectorELNS0_4arch9wavefront6targetE0EEEvT1_
    .private_segment_fixed_size: 0
    .sgpr_count:     0
    .sgpr_spill_count: 0
    .symbol:         _ZN7rocprim17ROCPRIM_400000_NS6detail17trampoline_kernelINS0_14default_configENS1_25partition_config_selectorILNS1_17partition_subalgoE6EfNS0_10empty_typeEbEEZZNS1_14partition_implILS5_6ELb0ES3_mN6thrust23THRUST_200600_302600_NS6detail15normal_iteratorINSA_10device_ptrIfEEEEPS6_SG_NS0_5tupleIJNSA_16discard_iteratorINSA_11use_defaultEEES6_EEENSH_IJSG_SG_EEES6_PlJNSB_9not_fun_tI7is_trueIfEEEEEE10hipError_tPvRmT3_T4_T5_T6_T7_T9_mT8_P12ihipStream_tbDpT10_ENKUlT_T0_E_clISt17integral_constantIbLb0EES1A_IbLb1EEEEDaS16_S17_EUlS16_E_NS1_11comp_targetILNS1_3genE4ELNS1_11target_archE910ELNS1_3gpuE8ELNS1_3repE0EEENS1_30default_config_static_selectorELNS0_4arch9wavefront6targetE0EEEvT1_.kd
    .uniform_work_group_size: 1
    .uses_dynamic_stack: false
    .vgpr_count:     0
    .vgpr_spill_count: 0
    .wavefront_size: 32
    .workgroup_processor_mode: 1
  - .args:
      - .offset:         0
        .size:           136
        .value_kind:     by_value
    .group_segment_fixed_size: 0
    .kernarg_segment_align: 8
    .kernarg_segment_size: 136
    .language:       OpenCL C
    .language_version:
      - 2
      - 0
    .max_flat_workgroup_size: 256
    .name:           _ZN7rocprim17ROCPRIM_400000_NS6detail17trampoline_kernelINS0_14default_configENS1_25partition_config_selectorILNS1_17partition_subalgoE6EfNS0_10empty_typeEbEEZZNS1_14partition_implILS5_6ELb0ES3_mN6thrust23THRUST_200600_302600_NS6detail15normal_iteratorINSA_10device_ptrIfEEEEPS6_SG_NS0_5tupleIJNSA_16discard_iteratorINSA_11use_defaultEEES6_EEENSH_IJSG_SG_EEES6_PlJNSB_9not_fun_tI7is_trueIfEEEEEE10hipError_tPvRmT3_T4_T5_T6_T7_T9_mT8_P12ihipStream_tbDpT10_ENKUlT_T0_E_clISt17integral_constantIbLb0EES1A_IbLb1EEEEDaS16_S17_EUlS16_E_NS1_11comp_targetILNS1_3genE3ELNS1_11target_archE908ELNS1_3gpuE7ELNS1_3repE0EEENS1_30default_config_static_selectorELNS0_4arch9wavefront6targetE0EEEvT1_
    .private_segment_fixed_size: 0
    .sgpr_count:     0
    .sgpr_spill_count: 0
    .symbol:         _ZN7rocprim17ROCPRIM_400000_NS6detail17trampoline_kernelINS0_14default_configENS1_25partition_config_selectorILNS1_17partition_subalgoE6EfNS0_10empty_typeEbEEZZNS1_14partition_implILS5_6ELb0ES3_mN6thrust23THRUST_200600_302600_NS6detail15normal_iteratorINSA_10device_ptrIfEEEEPS6_SG_NS0_5tupleIJNSA_16discard_iteratorINSA_11use_defaultEEES6_EEENSH_IJSG_SG_EEES6_PlJNSB_9not_fun_tI7is_trueIfEEEEEE10hipError_tPvRmT3_T4_T5_T6_T7_T9_mT8_P12ihipStream_tbDpT10_ENKUlT_T0_E_clISt17integral_constantIbLb0EES1A_IbLb1EEEEDaS16_S17_EUlS16_E_NS1_11comp_targetILNS1_3genE3ELNS1_11target_archE908ELNS1_3gpuE7ELNS1_3repE0EEENS1_30default_config_static_selectorELNS0_4arch9wavefront6targetE0EEEvT1_.kd
    .uniform_work_group_size: 1
    .uses_dynamic_stack: false
    .vgpr_count:     0
    .vgpr_spill_count: 0
    .wavefront_size: 32
    .workgroup_processor_mode: 1
  - .args:
      - .offset:         0
        .size:           136
        .value_kind:     by_value
    .group_segment_fixed_size: 0
    .kernarg_segment_align: 8
    .kernarg_segment_size: 136
    .language:       OpenCL C
    .language_version:
      - 2
      - 0
    .max_flat_workgroup_size: 256
    .name:           _ZN7rocprim17ROCPRIM_400000_NS6detail17trampoline_kernelINS0_14default_configENS1_25partition_config_selectorILNS1_17partition_subalgoE6EfNS0_10empty_typeEbEEZZNS1_14partition_implILS5_6ELb0ES3_mN6thrust23THRUST_200600_302600_NS6detail15normal_iteratorINSA_10device_ptrIfEEEEPS6_SG_NS0_5tupleIJNSA_16discard_iteratorINSA_11use_defaultEEES6_EEENSH_IJSG_SG_EEES6_PlJNSB_9not_fun_tI7is_trueIfEEEEEE10hipError_tPvRmT3_T4_T5_T6_T7_T9_mT8_P12ihipStream_tbDpT10_ENKUlT_T0_E_clISt17integral_constantIbLb0EES1A_IbLb1EEEEDaS16_S17_EUlS16_E_NS1_11comp_targetILNS1_3genE2ELNS1_11target_archE906ELNS1_3gpuE6ELNS1_3repE0EEENS1_30default_config_static_selectorELNS0_4arch9wavefront6targetE0EEEvT1_
    .private_segment_fixed_size: 0
    .sgpr_count:     0
    .sgpr_spill_count: 0
    .symbol:         _ZN7rocprim17ROCPRIM_400000_NS6detail17trampoline_kernelINS0_14default_configENS1_25partition_config_selectorILNS1_17partition_subalgoE6EfNS0_10empty_typeEbEEZZNS1_14partition_implILS5_6ELb0ES3_mN6thrust23THRUST_200600_302600_NS6detail15normal_iteratorINSA_10device_ptrIfEEEEPS6_SG_NS0_5tupleIJNSA_16discard_iteratorINSA_11use_defaultEEES6_EEENSH_IJSG_SG_EEES6_PlJNSB_9not_fun_tI7is_trueIfEEEEEE10hipError_tPvRmT3_T4_T5_T6_T7_T9_mT8_P12ihipStream_tbDpT10_ENKUlT_T0_E_clISt17integral_constantIbLb0EES1A_IbLb1EEEEDaS16_S17_EUlS16_E_NS1_11comp_targetILNS1_3genE2ELNS1_11target_archE906ELNS1_3gpuE6ELNS1_3repE0EEENS1_30default_config_static_selectorELNS0_4arch9wavefront6targetE0EEEvT1_.kd
    .uniform_work_group_size: 1
    .uses_dynamic_stack: false
    .vgpr_count:     0
    .vgpr_spill_count: 0
    .wavefront_size: 32
    .workgroup_processor_mode: 1
  - .args:
      - .offset:         0
        .size:           136
        .value_kind:     by_value
    .group_segment_fixed_size: 10768
    .kernarg_segment_align: 8
    .kernarg_segment_size: 136
    .language:       OpenCL C
    .language_version:
      - 2
      - 0
    .max_flat_workgroup_size: 384
    .name:           _ZN7rocprim17ROCPRIM_400000_NS6detail17trampoline_kernelINS0_14default_configENS1_25partition_config_selectorILNS1_17partition_subalgoE6EfNS0_10empty_typeEbEEZZNS1_14partition_implILS5_6ELb0ES3_mN6thrust23THRUST_200600_302600_NS6detail15normal_iteratorINSA_10device_ptrIfEEEEPS6_SG_NS0_5tupleIJNSA_16discard_iteratorINSA_11use_defaultEEES6_EEENSH_IJSG_SG_EEES6_PlJNSB_9not_fun_tI7is_trueIfEEEEEE10hipError_tPvRmT3_T4_T5_T6_T7_T9_mT8_P12ihipStream_tbDpT10_ENKUlT_T0_E_clISt17integral_constantIbLb0EES1A_IbLb1EEEEDaS16_S17_EUlS16_E_NS1_11comp_targetILNS1_3genE10ELNS1_11target_archE1200ELNS1_3gpuE4ELNS1_3repE0EEENS1_30default_config_static_selectorELNS0_4arch9wavefront6targetE0EEEvT1_
    .private_segment_fixed_size: 0
    .sgpr_count:     20
    .sgpr_spill_count: 0
    .symbol:         _ZN7rocprim17ROCPRIM_400000_NS6detail17trampoline_kernelINS0_14default_configENS1_25partition_config_selectorILNS1_17partition_subalgoE6EfNS0_10empty_typeEbEEZZNS1_14partition_implILS5_6ELb0ES3_mN6thrust23THRUST_200600_302600_NS6detail15normal_iteratorINSA_10device_ptrIfEEEEPS6_SG_NS0_5tupleIJNSA_16discard_iteratorINSA_11use_defaultEEES6_EEENSH_IJSG_SG_EEES6_PlJNSB_9not_fun_tI7is_trueIfEEEEEE10hipError_tPvRmT3_T4_T5_T6_T7_T9_mT8_P12ihipStream_tbDpT10_ENKUlT_T0_E_clISt17integral_constantIbLb0EES1A_IbLb1EEEEDaS16_S17_EUlS16_E_NS1_11comp_targetILNS1_3genE10ELNS1_11target_archE1200ELNS1_3gpuE4ELNS1_3repE0EEENS1_30default_config_static_selectorELNS0_4arch9wavefront6targetE0EEEvT1_.kd
    .uniform_work_group_size: 1
    .uses_dynamic_stack: false
    .vgpr_count:     50
    .vgpr_spill_count: 0
    .wavefront_size: 32
    .workgroup_processor_mode: 1
  - .args:
      - .offset:         0
        .size:           136
        .value_kind:     by_value
    .group_segment_fixed_size: 0
    .kernarg_segment_align: 8
    .kernarg_segment_size: 136
    .language:       OpenCL C
    .language_version:
      - 2
      - 0
    .max_flat_workgroup_size: 128
    .name:           _ZN7rocprim17ROCPRIM_400000_NS6detail17trampoline_kernelINS0_14default_configENS1_25partition_config_selectorILNS1_17partition_subalgoE6EfNS0_10empty_typeEbEEZZNS1_14partition_implILS5_6ELb0ES3_mN6thrust23THRUST_200600_302600_NS6detail15normal_iteratorINSA_10device_ptrIfEEEEPS6_SG_NS0_5tupleIJNSA_16discard_iteratorINSA_11use_defaultEEES6_EEENSH_IJSG_SG_EEES6_PlJNSB_9not_fun_tI7is_trueIfEEEEEE10hipError_tPvRmT3_T4_T5_T6_T7_T9_mT8_P12ihipStream_tbDpT10_ENKUlT_T0_E_clISt17integral_constantIbLb0EES1A_IbLb1EEEEDaS16_S17_EUlS16_E_NS1_11comp_targetILNS1_3genE9ELNS1_11target_archE1100ELNS1_3gpuE3ELNS1_3repE0EEENS1_30default_config_static_selectorELNS0_4arch9wavefront6targetE0EEEvT1_
    .private_segment_fixed_size: 0
    .sgpr_count:     0
    .sgpr_spill_count: 0
    .symbol:         _ZN7rocprim17ROCPRIM_400000_NS6detail17trampoline_kernelINS0_14default_configENS1_25partition_config_selectorILNS1_17partition_subalgoE6EfNS0_10empty_typeEbEEZZNS1_14partition_implILS5_6ELb0ES3_mN6thrust23THRUST_200600_302600_NS6detail15normal_iteratorINSA_10device_ptrIfEEEEPS6_SG_NS0_5tupleIJNSA_16discard_iteratorINSA_11use_defaultEEES6_EEENSH_IJSG_SG_EEES6_PlJNSB_9not_fun_tI7is_trueIfEEEEEE10hipError_tPvRmT3_T4_T5_T6_T7_T9_mT8_P12ihipStream_tbDpT10_ENKUlT_T0_E_clISt17integral_constantIbLb0EES1A_IbLb1EEEEDaS16_S17_EUlS16_E_NS1_11comp_targetILNS1_3genE9ELNS1_11target_archE1100ELNS1_3gpuE3ELNS1_3repE0EEENS1_30default_config_static_selectorELNS0_4arch9wavefront6targetE0EEEvT1_.kd
    .uniform_work_group_size: 1
    .uses_dynamic_stack: false
    .vgpr_count:     0
    .vgpr_spill_count: 0
    .wavefront_size: 32
    .workgroup_processor_mode: 1
  - .args:
      - .offset:         0
        .size:           136
        .value_kind:     by_value
    .group_segment_fixed_size: 0
    .kernarg_segment_align: 8
    .kernarg_segment_size: 136
    .language:       OpenCL C
    .language_version:
      - 2
      - 0
    .max_flat_workgroup_size: 512
    .name:           _ZN7rocprim17ROCPRIM_400000_NS6detail17trampoline_kernelINS0_14default_configENS1_25partition_config_selectorILNS1_17partition_subalgoE6EfNS0_10empty_typeEbEEZZNS1_14partition_implILS5_6ELb0ES3_mN6thrust23THRUST_200600_302600_NS6detail15normal_iteratorINSA_10device_ptrIfEEEEPS6_SG_NS0_5tupleIJNSA_16discard_iteratorINSA_11use_defaultEEES6_EEENSH_IJSG_SG_EEES6_PlJNSB_9not_fun_tI7is_trueIfEEEEEE10hipError_tPvRmT3_T4_T5_T6_T7_T9_mT8_P12ihipStream_tbDpT10_ENKUlT_T0_E_clISt17integral_constantIbLb0EES1A_IbLb1EEEEDaS16_S17_EUlS16_E_NS1_11comp_targetILNS1_3genE8ELNS1_11target_archE1030ELNS1_3gpuE2ELNS1_3repE0EEENS1_30default_config_static_selectorELNS0_4arch9wavefront6targetE0EEEvT1_
    .private_segment_fixed_size: 0
    .sgpr_count:     0
    .sgpr_spill_count: 0
    .symbol:         _ZN7rocprim17ROCPRIM_400000_NS6detail17trampoline_kernelINS0_14default_configENS1_25partition_config_selectorILNS1_17partition_subalgoE6EfNS0_10empty_typeEbEEZZNS1_14partition_implILS5_6ELb0ES3_mN6thrust23THRUST_200600_302600_NS6detail15normal_iteratorINSA_10device_ptrIfEEEEPS6_SG_NS0_5tupleIJNSA_16discard_iteratorINSA_11use_defaultEEES6_EEENSH_IJSG_SG_EEES6_PlJNSB_9not_fun_tI7is_trueIfEEEEEE10hipError_tPvRmT3_T4_T5_T6_T7_T9_mT8_P12ihipStream_tbDpT10_ENKUlT_T0_E_clISt17integral_constantIbLb0EES1A_IbLb1EEEEDaS16_S17_EUlS16_E_NS1_11comp_targetILNS1_3genE8ELNS1_11target_archE1030ELNS1_3gpuE2ELNS1_3repE0EEENS1_30default_config_static_selectorELNS0_4arch9wavefront6targetE0EEEvT1_.kd
    .uniform_work_group_size: 1
    .uses_dynamic_stack: false
    .vgpr_count:     0
    .vgpr_spill_count: 0
    .wavefront_size: 32
    .workgroup_processor_mode: 1
  - .args:
      - .offset:         0
        .size:           120
        .value_kind:     by_value
    .group_segment_fixed_size: 0
    .kernarg_segment_align: 8
    .kernarg_segment_size: 120
    .language:       OpenCL C
    .language_version:
      - 2
      - 0
    .max_flat_workgroup_size: 128
    .name:           _ZN7rocprim17ROCPRIM_400000_NS6detail17trampoline_kernelINS0_14default_configENS1_25partition_config_selectorILNS1_17partition_subalgoE6EyNS0_10empty_typeEbEEZZNS1_14partition_implILS5_6ELb0ES3_mN6thrust23THRUST_200600_302600_NS6detail15normal_iteratorINSA_10device_ptrIyEEEEPS6_SG_NS0_5tupleIJNSA_16discard_iteratorINSA_11use_defaultEEES6_EEENSH_IJSG_SG_EEES6_PlJNSB_9not_fun_tI7is_trueIyEEEEEE10hipError_tPvRmT3_T4_T5_T6_T7_T9_mT8_P12ihipStream_tbDpT10_ENKUlT_T0_E_clISt17integral_constantIbLb0EES1B_EEDaS16_S17_EUlS16_E_NS1_11comp_targetILNS1_3genE0ELNS1_11target_archE4294967295ELNS1_3gpuE0ELNS1_3repE0EEENS1_30default_config_static_selectorELNS0_4arch9wavefront6targetE0EEEvT1_
    .private_segment_fixed_size: 0
    .sgpr_count:     0
    .sgpr_spill_count: 0
    .symbol:         _ZN7rocprim17ROCPRIM_400000_NS6detail17trampoline_kernelINS0_14default_configENS1_25partition_config_selectorILNS1_17partition_subalgoE6EyNS0_10empty_typeEbEEZZNS1_14partition_implILS5_6ELb0ES3_mN6thrust23THRUST_200600_302600_NS6detail15normal_iteratorINSA_10device_ptrIyEEEEPS6_SG_NS0_5tupleIJNSA_16discard_iteratorINSA_11use_defaultEEES6_EEENSH_IJSG_SG_EEES6_PlJNSB_9not_fun_tI7is_trueIyEEEEEE10hipError_tPvRmT3_T4_T5_T6_T7_T9_mT8_P12ihipStream_tbDpT10_ENKUlT_T0_E_clISt17integral_constantIbLb0EES1B_EEDaS16_S17_EUlS16_E_NS1_11comp_targetILNS1_3genE0ELNS1_11target_archE4294967295ELNS1_3gpuE0ELNS1_3repE0EEENS1_30default_config_static_selectorELNS0_4arch9wavefront6targetE0EEEvT1_.kd
    .uniform_work_group_size: 1
    .uses_dynamic_stack: false
    .vgpr_count:     0
    .vgpr_spill_count: 0
    .wavefront_size: 32
    .workgroup_processor_mode: 1
  - .args:
      - .offset:         0
        .size:           120
        .value_kind:     by_value
    .group_segment_fixed_size: 0
    .kernarg_segment_align: 8
    .kernarg_segment_size: 120
    .language:       OpenCL C
    .language_version:
      - 2
      - 0
    .max_flat_workgroup_size: 512
    .name:           _ZN7rocprim17ROCPRIM_400000_NS6detail17trampoline_kernelINS0_14default_configENS1_25partition_config_selectorILNS1_17partition_subalgoE6EyNS0_10empty_typeEbEEZZNS1_14partition_implILS5_6ELb0ES3_mN6thrust23THRUST_200600_302600_NS6detail15normal_iteratorINSA_10device_ptrIyEEEEPS6_SG_NS0_5tupleIJNSA_16discard_iteratorINSA_11use_defaultEEES6_EEENSH_IJSG_SG_EEES6_PlJNSB_9not_fun_tI7is_trueIyEEEEEE10hipError_tPvRmT3_T4_T5_T6_T7_T9_mT8_P12ihipStream_tbDpT10_ENKUlT_T0_E_clISt17integral_constantIbLb0EES1B_EEDaS16_S17_EUlS16_E_NS1_11comp_targetILNS1_3genE5ELNS1_11target_archE942ELNS1_3gpuE9ELNS1_3repE0EEENS1_30default_config_static_selectorELNS0_4arch9wavefront6targetE0EEEvT1_
    .private_segment_fixed_size: 0
    .sgpr_count:     0
    .sgpr_spill_count: 0
    .symbol:         _ZN7rocprim17ROCPRIM_400000_NS6detail17trampoline_kernelINS0_14default_configENS1_25partition_config_selectorILNS1_17partition_subalgoE6EyNS0_10empty_typeEbEEZZNS1_14partition_implILS5_6ELb0ES3_mN6thrust23THRUST_200600_302600_NS6detail15normal_iteratorINSA_10device_ptrIyEEEEPS6_SG_NS0_5tupleIJNSA_16discard_iteratorINSA_11use_defaultEEES6_EEENSH_IJSG_SG_EEES6_PlJNSB_9not_fun_tI7is_trueIyEEEEEE10hipError_tPvRmT3_T4_T5_T6_T7_T9_mT8_P12ihipStream_tbDpT10_ENKUlT_T0_E_clISt17integral_constantIbLb0EES1B_EEDaS16_S17_EUlS16_E_NS1_11comp_targetILNS1_3genE5ELNS1_11target_archE942ELNS1_3gpuE9ELNS1_3repE0EEENS1_30default_config_static_selectorELNS0_4arch9wavefront6targetE0EEEvT1_.kd
    .uniform_work_group_size: 1
    .uses_dynamic_stack: false
    .vgpr_count:     0
    .vgpr_spill_count: 0
    .wavefront_size: 32
    .workgroup_processor_mode: 1
  - .args:
      - .offset:         0
        .size:           120
        .value_kind:     by_value
    .group_segment_fixed_size: 0
    .kernarg_segment_align: 8
    .kernarg_segment_size: 120
    .language:       OpenCL C
    .language_version:
      - 2
      - 0
    .max_flat_workgroup_size: 512
    .name:           _ZN7rocprim17ROCPRIM_400000_NS6detail17trampoline_kernelINS0_14default_configENS1_25partition_config_selectorILNS1_17partition_subalgoE6EyNS0_10empty_typeEbEEZZNS1_14partition_implILS5_6ELb0ES3_mN6thrust23THRUST_200600_302600_NS6detail15normal_iteratorINSA_10device_ptrIyEEEEPS6_SG_NS0_5tupleIJNSA_16discard_iteratorINSA_11use_defaultEEES6_EEENSH_IJSG_SG_EEES6_PlJNSB_9not_fun_tI7is_trueIyEEEEEE10hipError_tPvRmT3_T4_T5_T6_T7_T9_mT8_P12ihipStream_tbDpT10_ENKUlT_T0_E_clISt17integral_constantIbLb0EES1B_EEDaS16_S17_EUlS16_E_NS1_11comp_targetILNS1_3genE4ELNS1_11target_archE910ELNS1_3gpuE8ELNS1_3repE0EEENS1_30default_config_static_selectorELNS0_4arch9wavefront6targetE0EEEvT1_
    .private_segment_fixed_size: 0
    .sgpr_count:     0
    .sgpr_spill_count: 0
    .symbol:         _ZN7rocprim17ROCPRIM_400000_NS6detail17trampoline_kernelINS0_14default_configENS1_25partition_config_selectorILNS1_17partition_subalgoE6EyNS0_10empty_typeEbEEZZNS1_14partition_implILS5_6ELb0ES3_mN6thrust23THRUST_200600_302600_NS6detail15normal_iteratorINSA_10device_ptrIyEEEEPS6_SG_NS0_5tupleIJNSA_16discard_iteratorINSA_11use_defaultEEES6_EEENSH_IJSG_SG_EEES6_PlJNSB_9not_fun_tI7is_trueIyEEEEEE10hipError_tPvRmT3_T4_T5_T6_T7_T9_mT8_P12ihipStream_tbDpT10_ENKUlT_T0_E_clISt17integral_constantIbLb0EES1B_EEDaS16_S17_EUlS16_E_NS1_11comp_targetILNS1_3genE4ELNS1_11target_archE910ELNS1_3gpuE8ELNS1_3repE0EEENS1_30default_config_static_selectorELNS0_4arch9wavefront6targetE0EEEvT1_.kd
    .uniform_work_group_size: 1
    .uses_dynamic_stack: false
    .vgpr_count:     0
    .vgpr_spill_count: 0
    .wavefront_size: 32
    .workgroup_processor_mode: 1
  - .args:
      - .offset:         0
        .size:           120
        .value_kind:     by_value
    .group_segment_fixed_size: 0
    .kernarg_segment_align: 8
    .kernarg_segment_size: 120
    .language:       OpenCL C
    .language_version:
      - 2
      - 0
    .max_flat_workgroup_size: 128
    .name:           _ZN7rocprim17ROCPRIM_400000_NS6detail17trampoline_kernelINS0_14default_configENS1_25partition_config_selectorILNS1_17partition_subalgoE6EyNS0_10empty_typeEbEEZZNS1_14partition_implILS5_6ELb0ES3_mN6thrust23THRUST_200600_302600_NS6detail15normal_iteratorINSA_10device_ptrIyEEEEPS6_SG_NS0_5tupleIJNSA_16discard_iteratorINSA_11use_defaultEEES6_EEENSH_IJSG_SG_EEES6_PlJNSB_9not_fun_tI7is_trueIyEEEEEE10hipError_tPvRmT3_T4_T5_T6_T7_T9_mT8_P12ihipStream_tbDpT10_ENKUlT_T0_E_clISt17integral_constantIbLb0EES1B_EEDaS16_S17_EUlS16_E_NS1_11comp_targetILNS1_3genE3ELNS1_11target_archE908ELNS1_3gpuE7ELNS1_3repE0EEENS1_30default_config_static_selectorELNS0_4arch9wavefront6targetE0EEEvT1_
    .private_segment_fixed_size: 0
    .sgpr_count:     0
    .sgpr_spill_count: 0
    .symbol:         _ZN7rocprim17ROCPRIM_400000_NS6detail17trampoline_kernelINS0_14default_configENS1_25partition_config_selectorILNS1_17partition_subalgoE6EyNS0_10empty_typeEbEEZZNS1_14partition_implILS5_6ELb0ES3_mN6thrust23THRUST_200600_302600_NS6detail15normal_iteratorINSA_10device_ptrIyEEEEPS6_SG_NS0_5tupleIJNSA_16discard_iteratorINSA_11use_defaultEEES6_EEENSH_IJSG_SG_EEES6_PlJNSB_9not_fun_tI7is_trueIyEEEEEE10hipError_tPvRmT3_T4_T5_T6_T7_T9_mT8_P12ihipStream_tbDpT10_ENKUlT_T0_E_clISt17integral_constantIbLb0EES1B_EEDaS16_S17_EUlS16_E_NS1_11comp_targetILNS1_3genE3ELNS1_11target_archE908ELNS1_3gpuE7ELNS1_3repE0EEENS1_30default_config_static_selectorELNS0_4arch9wavefront6targetE0EEEvT1_.kd
    .uniform_work_group_size: 1
    .uses_dynamic_stack: false
    .vgpr_count:     0
    .vgpr_spill_count: 0
    .wavefront_size: 32
    .workgroup_processor_mode: 1
  - .args:
      - .offset:         0
        .size:           120
        .value_kind:     by_value
    .group_segment_fixed_size: 0
    .kernarg_segment_align: 8
    .kernarg_segment_size: 120
    .language:       OpenCL C
    .language_version:
      - 2
      - 0
    .max_flat_workgroup_size: 256
    .name:           _ZN7rocprim17ROCPRIM_400000_NS6detail17trampoline_kernelINS0_14default_configENS1_25partition_config_selectorILNS1_17partition_subalgoE6EyNS0_10empty_typeEbEEZZNS1_14partition_implILS5_6ELb0ES3_mN6thrust23THRUST_200600_302600_NS6detail15normal_iteratorINSA_10device_ptrIyEEEEPS6_SG_NS0_5tupleIJNSA_16discard_iteratorINSA_11use_defaultEEES6_EEENSH_IJSG_SG_EEES6_PlJNSB_9not_fun_tI7is_trueIyEEEEEE10hipError_tPvRmT3_T4_T5_T6_T7_T9_mT8_P12ihipStream_tbDpT10_ENKUlT_T0_E_clISt17integral_constantIbLb0EES1B_EEDaS16_S17_EUlS16_E_NS1_11comp_targetILNS1_3genE2ELNS1_11target_archE906ELNS1_3gpuE6ELNS1_3repE0EEENS1_30default_config_static_selectorELNS0_4arch9wavefront6targetE0EEEvT1_
    .private_segment_fixed_size: 0
    .sgpr_count:     0
    .sgpr_spill_count: 0
    .symbol:         _ZN7rocprim17ROCPRIM_400000_NS6detail17trampoline_kernelINS0_14default_configENS1_25partition_config_selectorILNS1_17partition_subalgoE6EyNS0_10empty_typeEbEEZZNS1_14partition_implILS5_6ELb0ES3_mN6thrust23THRUST_200600_302600_NS6detail15normal_iteratorINSA_10device_ptrIyEEEEPS6_SG_NS0_5tupleIJNSA_16discard_iteratorINSA_11use_defaultEEES6_EEENSH_IJSG_SG_EEES6_PlJNSB_9not_fun_tI7is_trueIyEEEEEE10hipError_tPvRmT3_T4_T5_T6_T7_T9_mT8_P12ihipStream_tbDpT10_ENKUlT_T0_E_clISt17integral_constantIbLb0EES1B_EEDaS16_S17_EUlS16_E_NS1_11comp_targetILNS1_3genE2ELNS1_11target_archE906ELNS1_3gpuE6ELNS1_3repE0EEENS1_30default_config_static_selectorELNS0_4arch9wavefront6targetE0EEEvT1_.kd
    .uniform_work_group_size: 1
    .uses_dynamic_stack: false
    .vgpr_count:     0
    .vgpr_spill_count: 0
    .wavefront_size: 32
    .workgroup_processor_mode: 1
  - .args:
      - .offset:         0
        .size:           120
        .value_kind:     by_value
    .group_segment_fixed_size: 8464
    .kernarg_segment_align: 8
    .kernarg_segment_size: 120
    .language:       OpenCL C
    .language_version:
      - 2
      - 0
    .max_flat_workgroup_size: 256
    .name:           _ZN7rocprim17ROCPRIM_400000_NS6detail17trampoline_kernelINS0_14default_configENS1_25partition_config_selectorILNS1_17partition_subalgoE6EyNS0_10empty_typeEbEEZZNS1_14partition_implILS5_6ELb0ES3_mN6thrust23THRUST_200600_302600_NS6detail15normal_iteratorINSA_10device_ptrIyEEEEPS6_SG_NS0_5tupleIJNSA_16discard_iteratorINSA_11use_defaultEEES6_EEENSH_IJSG_SG_EEES6_PlJNSB_9not_fun_tI7is_trueIyEEEEEE10hipError_tPvRmT3_T4_T5_T6_T7_T9_mT8_P12ihipStream_tbDpT10_ENKUlT_T0_E_clISt17integral_constantIbLb0EES1B_EEDaS16_S17_EUlS16_E_NS1_11comp_targetILNS1_3genE10ELNS1_11target_archE1200ELNS1_3gpuE4ELNS1_3repE0EEENS1_30default_config_static_selectorELNS0_4arch9wavefront6targetE0EEEvT1_
    .private_segment_fixed_size: 0
    .sgpr_count:     23
    .sgpr_spill_count: 0
    .symbol:         _ZN7rocprim17ROCPRIM_400000_NS6detail17trampoline_kernelINS0_14default_configENS1_25partition_config_selectorILNS1_17partition_subalgoE6EyNS0_10empty_typeEbEEZZNS1_14partition_implILS5_6ELb0ES3_mN6thrust23THRUST_200600_302600_NS6detail15normal_iteratorINSA_10device_ptrIyEEEEPS6_SG_NS0_5tupleIJNSA_16discard_iteratorINSA_11use_defaultEEES6_EEENSH_IJSG_SG_EEES6_PlJNSB_9not_fun_tI7is_trueIyEEEEEE10hipError_tPvRmT3_T4_T5_T6_T7_T9_mT8_P12ihipStream_tbDpT10_ENKUlT_T0_E_clISt17integral_constantIbLb0EES1B_EEDaS16_S17_EUlS16_E_NS1_11comp_targetILNS1_3genE10ELNS1_11target_archE1200ELNS1_3gpuE4ELNS1_3repE0EEENS1_30default_config_static_selectorELNS0_4arch9wavefront6targetE0EEEvT1_.kd
    .uniform_work_group_size: 1
    .uses_dynamic_stack: false
    .vgpr_count:     45
    .vgpr_spill_count: 0
    .wavefront_size: 32
    .workgroup_processor_mode: 1
  - .args:
      - .offset:         0
        .size:           120
        .value_kind:     by_value
    .group_segment_fixed_size: 0
    .kernarg_segment_align: 8
    .kernarg_segment_size: 120
    .language:       OpenCL C
    .language_version:
      - 2
      - 0
    .max_flat_workgroup_size: 384
    .name:           _ZN7rocprim17ROCPRIM_400000_NS6detail17trampoline_kernelINS0_14default_configENS1_25partition_config_selectorILNS1_17partition_subalgoE6EyNS0_10empty_typeEbEEZZNS1_14partition_implILS5_6ELb0ES3_mN6thrust23THRUST_200600_302600_NS6detail15normal_iteratorINSA_10device_ptrIyEEEEPS6_SG_NS0_5tupleIJNSA_16discard_iteratorINSA_11use_defaultEEES6_EEENSH_IJSG_SG_EEES6_PlJNSB_9not_fun_tI7is_trueIyEEEEEE10hipError_tPvRmT3_T4_T5_T6_T7_T9_mT8_P12ihipStream_tbDpT10_ENKUlT_T0_E_clISt17integral_constantIbLb0EES1B_EEDaS16_S17_EUlS16_E_NS1_11comp_targetILNS1_3genE9ELNS1_11target_archE1100ELNS1_3gpuE3ELNS1_3repE0EEENS1_30default_config_static_selectorELNS0_4arch9wavefront6targetE0EEEvT1_
    .private_segment_fixed_size: 0
    .sgpr_count:     0
    .sgpr_spill_count: 0
    .symbol:         _ZN7rocprim17ROCPRIM_400000_NS6detail17trampoline_kernelINS0_14default_configENS1_25partition_config_selectorILNS1_17partition_subalgoE6EyNS0_10empty_typeEbEEZZNS1_14partition_implILS5_6ELb0ES3_mN6thrust23THRUST_200600_302600_NS6detail15normal_iteratorINSA_10device_ptrIyEEEEPS6_SG_NS0_5tupleIJNSA_16discard_iteratorINSA_11use_defaultEEES6_EEENSH_IJSG_SG_EEES6_PlJNSB_9not_fun_tI7is_trueIyEEEEEE10hipError_tPvRmT3_T4_T5_T6_T7_T9_mT8_P12ihipStream_tbDpT10_ENKUlT_T0_E_clISt17integral_constantIbLb0EES1B_EEDaS16_S17_EUlS16_E_NS1_11comp_targetILNS1_3genE9ELNS1_11target_archE1100ELNS1_3gpuE3ELNS1_3repE0EEENS1_30default_config_static_selectorELNS0_4arch9wavefront6targetE0EEEvT1_.kd
    .uniform_work_group_size: 1
    .uses_dynamic_stack: false
    .vgpr_count:     0
    .vgpr_spill_count: 0
    .wavefront_size: 32
    .workgroup_processor_mode: 1
  - .args:
      - .offset:         0
        .size:           120
        .value_kind:     by_value
    .group_segment_fixed_size: 0
    .kernarg_segment_align: 8
    .kernarg_segment_size: 120
    .language:       OpenCL C
    .language_version:
      - 2
      - 0
    .max_flat_workgroup_size: 512
    .name:           _ZN7rocprim17ROCPRIM_400000_NS6detail17trampoline_kernelINS0_14default_configENS1_25partition_config_selectorILNS1_17partition_subalgoE6EyNS0_10empty_typeEbEEZZNS1_14partition_implILS5_6ELb0ES3_mN6thrust23THRUST_200600_302600_NS6detail15normal_iteratorINSA_10device_ptrIyEEEEPS6_SG_NS0_5tupleIJNSA_16discard_iteratorINSA_11use_defaultEEES6_EEENSH_IJSG_SG_EEES6_PlJNSB_9not_fun_tI7is_trueIyEEEEEE10hipError_tPvRmT3_T4_T5_T6_T7_T9_mT8_P12ihipStream_tbDpT10_ENKUlT_T0_E_clISt17integral_constantIbLb0EES1B_EEDaS16_S17_EUlS16_E_NS1_11comp_targetILNS1_3genE8ELNS1_11target_archE1030ELNS1_3gpuE2ELNS1_3repE0EEENS1_30default_config_static_selectorELNS0_4arch9wavefront6targetE0EEEvT1_
    .private_segment_fixed_size: 0
    .sgpr_count:     0
    .sgpr_spill_count: 0
    .symbol:         _ZN7rocprim17ROCPRIM_400000_NS6detail17trampoline_kernelINS0_14default_configENS1_25partition_config_selectorILNS1_17partition_subalgoE6EyNS0_10empty_typeEbEEZZNS1_14partition_implILS5_6ELb0ES3_mN6thrust23THRUST_200600_302600_NS6detail15normal_iteratorINSA_10device_ptrIyEEEEPS6_SG_NS0_5tupleIJNSA_16discard_iteratorINSA_11use_defaultEEES6_EEENSH_IJSG_SG_EEES6_PlJNSB_9not_fun_tI7is_trueIyEEEEEE10hipError_tPvRmT3_T4_T5_T6_T7_T9_mT8_P12ihipStream_tbDpT10_ENKUlT_T0_E_clISt17integral_constantIbLb0EES1B_EEDaS16_S17_EUlS16_E_NS1_11comp_targetILNS1_3genE8ELNS1_11target_archE1030ELNS1_3gpuE2ELNS1_3repE0EEENS1_30default_config_static_selectorELNS0_4arch9wavefront6targetE0EEEvT1_.kd
    .uniform_work_group_size: 1
    .uses_dynamic_stack: false
    .vgpr_count:     0
    .vgpr_spill_count: 0
    .wavefront_size: 32
    .workgroup_processor_mode: 1
  - .args:
      - .offset:         0
        .size:           136
        .value_kind:     by_value
    .group_segment_fixed_size: 0
    .kernarg_segment_align: 8
    .kernarg_segment_size: 136
    .language:       OpenCL C
    .language_version:
      - 2
      - 0
    .max_flat_workgroup_size: 128
    .name:           _ZN7rocprim17ROCPRIM_400000_NS6detail17trampoline_kernelINS0_14default_configENS1_25partition_config_selectorILNS1_17partition_subalgoE6EyNS0_10empty_typeEbEEZZNS1_14partition_implILS5_6ELb0ES3_mN6thrust23THRUST_200600_302600_NS6detail15normal_iteratorINSA_10device_ptrIyEEEEPS6_SG_NS0_5tupleIJNSA_16discard_iteratorINSA_11use_defaultEEES6_EEENSH_IJSG_SG_EEES6_PlJNSB_9not_fun_tI7is_trueIyEEEEEE10hipError_tPvRmT3_T4_T5_T6_T7_T9_mT8_P12ihipStream_tbDpT10_ENKUlT_T0_E_clISt17integral_constantIbLb1EES1B_EEDaS16_S17_EUlS16_E_NS1_11comp_targetILNS1_3genE0ELNS1_11target_archE4294967295ELNS1_3gpuE0ELNS1_3repE0EEENS1_30default_config_static_selectorELNS0_4arch9wavefront6targetE0EEEvT1_
    .private_segment_fixed_size: 0
    .sgpr_count:     0
    .sgpr_spill_count: 0
    .symbol:         _ZN7rocprim17ROCPRIM_400000_NS6detail17trampoline_kernelINS0_14default_configENS1_25partition_config_selectorILNS1_17partition_subalgoE6EyNS0_10empty_typeEbEEZZNS1_14partition_implILS5_6ELb0ES3_mN6thrust23THRUST_200600_302600_NS6detail15normal_iteratorINSA_10device_ptrIyEEEEPS6_SG_NS0_5tupleIJNSA_16discard_iteratorINSA_11use_defaultEEES6_EEENSH_IJSG_SG_EEES6_PlJNSB_9not_fun_tI7is_trueIyEEEEEE10hipError_tPvRmT3_T4_T5_T6_T7_T9_mT8_P12ihipStream_tbDpT10_ENKUlT_T0_E_clISt17integral_constantIbLb1EES1B_EEDaS16_S17_EUlS16_E_NS1_11comp_targetILNS1_3genE0ELNS1_11target_archE4294967295ELNS1_3gpuE0ELNS1_3repE0EEENS1_30default_config_static_selectorELNS0_4arch9wavefront6targetE0EEEvT1_.kd
    .uniform_work_group_size: 1
    .uses_dynamic_stack: false
    .vgpr_count:     0
    .vgpr_spill_count: 0
    .wavefront_size: 32
    .workgroup_processor_mode: 1
  - .args:
      - .offset:         0
        .size:           136
        .value_kind:     by_value
    .group_segment_fixed_size: 0
    .kernarg_segment_align: 8
    .kernarg_segment_size: 136
    .language:       OpenCL C
    .language_version:
      - 2
      - 0
    .max_flat_workgroup_size: 512
    .name:           _ZN7rocprim17ROCPRIM_400000_NS6detail17trampoline_kernelINS0_14default_configENS1_25partition_config_selectorILNS1_17partition_subalgoE6EyNS0_10empty_typeEbEEZZNS1_14partition_implILS5_6ELb0ES3_mN6thrust23THRUST_200600_302600_NS6detail15normal_iteratorINSA_10device_ptrIyEEEEPS6_SG_NS0_5tupleIJNSA_16discard_iteratorINSA_11use_defaultEEES6_EEENSH_IJSG_SG_EEES6_PlJNSB_9not_fun_tI7is_trueIyEEEEEE10hipError_tPvRmT3_T4_T5_T6_T7_T9_mT8_P12ihipStream_tbDpT10_ENKUlT_T0_E_clISt17integral_constantIbLb1EES1B_EEDaS16_S17_EUlS16_E_NS1_11comp_targetILNS1_3genE5ELNS1_11target_archE942ELNS1_3gpuE9ELNS1_3repE0EEENS1_30default_config_static_selectorELNS0_4arch9wavefront6targetE0EEEvT1_
    .private_segment_fixed_size: 0
    .sgpr_count:     0
    .sgpr_spill_count: 0
    .symbol:         _ZN7rocprim17ROCPRIM_400000_NS6detail17trampoline_kernelINS0_14default_configENS1_25partition_config_selectorILNS1_17partition_subalgoE6EyNS0_10empty_typeEbEEZZNS1_14partition_implILS5_6ELb0ES3_mN6thrust23THRUST_200600_302600_NS6detail15normal_iteratorINSA_10device_ptrIyEEEEPS6_SG_NS0_5tupleIJNSA_16discard_iteratorINSA_11use_defaultEEES6_EEENSH_IJSG_SG_EEES6_PlJNSB_9not_fun_tI7is_trueIyEEEEEE10hipError_tPvRmT3_T4_T5_T6_T7_T9_mT8_P12ihipStream_tbDpT10_ENKUlT_T0_E_clISt17integral_constantIbLb1EES1B_EEDaS16_S17_EUlS16_E_NS1_11comp_targetILNS1_3genE5ELNS1_11target_archE942ELNS1_3gpuE9ELNS1_3repE0EEENS1_30default_config_static_selectorELNS0_4arch9wavefront6targetE0EEEvT1_.kd
    .uniform_work_group_size: 1
    .uses_dynamic_stack: false
    .vgpr_count:     0
    .vgpr_spill_count: 0
    .wavefront_size: 32
    .workgroup_processor_mode: 1
  - .args:
      - .offset:         0
        .size:           136
        .value_kind:     by_value
    .group_segment_fixed_size: 0
    .kernarg_segment_align: 8
    .kernarg_segment_size: 136
    .language:       OpenCL C
    .language_version:
      - 2
      - 0
    .max_flat_workgroup_size: 512
    .name:           _ZN7rocprim17ROCPRIM_400000_NS6detail17trampoline_kernelINS0_14default_configENS1_25partition_config_selectorILNS1_17partition_subalgoE6EyNS0_10empty_typeEbEEZZNS1_14partition_implILS5_6ELb0ES3_mN6thrust23THRUST_200600_302600_NS6detail15normal_iteratorINSA_10device_ptrIyEEEEPS6_SG_NS0_5tupleIJNSA_16discard_iteratorINSA_11use_defaultEEES6_EEENSH_IJSG_SG_EEES6_PlJNSB_9not_fun_tI7is_trueIyEEEEEE10hipError_tPvRmT3_T4_T5_T6_T7_T9_mT8_P12ihipStream_tbDpT10_ENKUlT_T0_E_clISt17integral_constantIbLb1EES1B_EEDaS16_S17_EUlS16_E_NS1_11comp_targetILNS1_3genE4ELNS1_11target_archE910ELNS1_3gpuE8ELNS1_3repE0EEENS1_30default_config_static_selectorELNS0_4arch9wavefront6targetE0EEEvT1_
    .private_segment_fixed_size: 0
    .sgpr_count:     0
    .sgpr_spill_count: 0
    .symbol:         _ZN7rocprim17ROCPRIM_400000_NS6detail17trampoline_kernelINS0_14default_configENS1_25partition_config_selectorILNS1_17partition_subalgoE6EyNS0_10empty_typeEbEEZZNS1_14partition_implILS5_6ELb0ES3_mN6thrust23THRUST_200600_302600_NS6detail15normal_iteratorINSA_10device_ptrIyEEEEPS6_SG_NS0_5tupleIJNSA_16discard_iteratorINSA_11use_defaultEEES6_EEENSH_IJSG_SG_EEES6_PlJNSB_9not_fun_tI7is_trueIyEEEEEE10hipError_tPvRmT3_T4_T5_T6_T7_T9_mT8_P12ihipStream_tbDpT10_ENKUlT_T0_E_clISt17integral_constantIbLb1EES1B_EEDaS16_S17_EUlS16_E_NS1_11comp_targetILNS1_3genE4ELNS1_11target_archE910ELNS1_3gpuE8ELNS1_3repE0EEENS1_30default_config_static_selectorELNS0_4arch9wavefront6targetE0EEEvT1_.kd
    .uniform_work_group_size: 1
    .uses_dynamic_stack: false
    .vgpr_count:     0
    .vgpr_spill_count: 0
    .wavefront_size: 32
    .workgroup_processor_mode: 1
  - .args:
      - .offset:         0
        .size:           136
        .value_kind:     by_value
    .group_segment_fixed_size: 0
    .kernarg_segment_align: 8
    .kernarg_segment_size: 136
    .language:       OpenCL C
    .language_version:
      - 2
      - 0
    .max_flat_workgroup_size: 128
    .name:           _ZN7rocprim17ROCPRIM_400000_NS6detail17trampoline_kernelINS0_14default_configENS1_25partition_config_selectorILNS1_17partition_subalgoE6EyNS0_10empty_typeEbEEZZNS1_14partition_implILS5_6ELb0ES3_mN6thrust23THRUST_200600_302600_NS6detail15normal_iteratorINSA_10device_ptrIyEEEEPS6_SG_NS0_5tupleIJNSA_16discard_iteratorINSA_11use_defaultEEES6_EEENSH_IJSG_SG_EEES6_PlJNSB_9not_fun_tI7is_trueIyEEEEEE10hipError_tPvRmT3_T4_T5_T6_T7_T9_mT8_P12ihipStream_tbDpT10_ENKUlT_T0_E_clISt17integral_constantIbLb1EES1B_EEDaS16_S17_EUlS16_E_NS1_11comp_targetILNS1_3genE3ELNS1_11target_archE908ELNS1_3gpuE7ELNS1_3repE0EEENS1_30default_config_static_selectorELNS0_4arch9wavefront6targetE0EEEvT1_
    .private_segment_fixed_size: 0
    .sgpr_count:     0
    .sgpr_spill_count: 0
    .symbol:         _ZN7rocprim17ROCPRIM_400000_NS6detail17trampoline_kernelINS0_14default_configENS1_25partition_config_selectorILNS1_17partition_subalgoE6EyNS0_10empty_typeEbEEZZNS1_14partition_implILS5_6ELb0ES3_mN6thrust23THRUST_200600_302600_NS6detail15normal_iteratorINSA_10device_ptrIyEEEEPS6_SG_NS0_5tupleIJNSA_16discard_iteratorINSA_11use_defaultEEES6_EEENSH_IJSG_SG_EEES6_PlJNSB_9not_fun_tI7is_trueIyEEEEEE10hipError_tPvRmT3_T4_T5_T6_T7_T9_mT8_P12ihipStream_tbDpT10_ENKUlT_T0_E_clISt17integral_constantIbLb1EES1B_EEDaS16_S17_EUlS16_E_NS1_11comp_targetILNS1_3genE3ELNS1_11target_archE908ELNS1_3gpuE7ELNS1_3repE0EEENS1_30default_config_static_selectorELNS0_4arch9wavefront6targetE0EEEvT1_.kd
    .uniform_work_group_size: 1
    .uses_dynamic_stack: false
    .vgpr_count:     0
    .vgpr_spill_count: 0
    .wavefront_size: 32
    .workgroup_processor_mode: 1
  - .args:
      - .offset:         0
        .size:           136
        .value_kind:     by_value
    .group_segment_fixed_size: 0
    .kernarg_segment_align: 8
    .kernarg_segment_size: 136
    .language:       OpenCL C
    .language_version:
      - 2
      - 0
    .max_flat_workgroup_size: 256
    .name:           _ZN7rocprim17ROCPRIM_400000_NS6detail17trampoline_kernelINS0_14default_configENS1_25partition_config_selectorILNS1_17partition_subalgoE6EyNS0_10empty_typeEbEEZZNS1_14partition_implILS5_6ELb0ES3_mN6thrust23THRUST_200600_302600_NS6detail15normal_iteratorINSA_10device_ptrIyEEEEPS6_SG_NS0_5tupleIJNSA_16discard_iteratorINSA_11use_defaultEEES6_EEENSH_IJSG_SG_EEES6_PlJNSB_9not_fun_tI7is_trueIyEEEEEE10hipError_tPvRmT3_T4_T5_T6_T7_T9_mT8_P12ihipStream_tbDpT10_ENKUlT_T0_E_clISt17integral_constantIbLb1EES1B_EEDaS16_S17_EUlS16_E_NS1_11comp_targetILNS1_3genE2ELNS1_11target_archE906ELNS1_3gpuE6ELNS1_3repE0EEENS1_30default_config_static_selectorELNS0_4arch9wavefront6targetE0EEEvT1_
    .private_segment_fixed_size: 0
    .sgpr_count:     0
    .sgpr_spill_count: 0
    .symbol:         _ZN7rocprim17ROCPRIM_400000_NS6detail17trampoline_kernelINS0_14default_configENS1_25partition_config_selectorILNS1_17partition_subalgoE6EyNS0_10empty_typeEbEEZZNS1_14partition_implILS5_6ELb0ES3_mN6thrust23THRUST_200600_302600_NS6detail15normal_iteratorINSA_10device_ptrIyEEEEPS6_SG_NS0_5tupleIJNSA_16discard_iteratorINSA_11use_defaultEEES6_EEENSH_IJSG_SG_EEES6_PlJNSB_9not_fun_tI7is_trueIyEEEEEE10hipError_tPvRmT3_T4_T5_T6_T7_T9_mT8_P12ihipStream_tbDpT10_ENKUlT_T0_E_clISt17integral_constantIbLb1EES1B_EEDaS16_S17_EUlS16_E_NS1_11comp_targetILNS1_3genE2ELNS1_11target_archE906ELNS1_3gpuE6ELNS1_3repE0EEENS1_30default_config_static_selectorELNS0_4arch9wavefront6targetE0EEEvT1_.kd
    .uniform_work_group_size: 1
    .uses_dynamic_stack: false
    .vgpr_count:     0
    .vgpr_spill_count: 0
    .wavefront_size: 32
    .workgroup_processor_mode: 1
  - .args:
      - .offset:         0
        .size:           136
        .value_kind:     by_value
    .group_segment_fixed_size: 0
    .kernarg_segment_align: 8
    .kernarg_segment_size: 136
    .language:       OpenCL C
    .language_version:
      - 2
      - 0
    .max_flat_workgroup_size: 256
    .name:           _ZN7rocprim17ROCPRIM_400000_NS6detail17trampoline_kernelINS0_14default_configENS1_25partition_config_selectorILNS1_17partition_subalgoE6EyNS0_10empty_typeEbEEZZNS1_14partition_implILS5_6ELb0ES3_mN6thrust23THRUST_200600_302600_NS6detail15normal_iteratorINSA_10device_ptrIyEEEEPS6_SG_NS0_5tupleIJNSA_16discard_iteratorINSA_11use_defaultEEES6_EEENSH_IJSG_SG_EEES6_PlJNSB_9not_fun_tI7is_trueIyEEEEEE10hipError_tPvRmT3_T4_T5_T6_T7_T9_mT8_P12ihipStream_tbDpT10_ENKUlT_T0_E_clISt17integral_constantIbLb1EES1B_EEDaS16_S17_EUlS16_E_NS1_11comp_targetILNS1_3genE10ELNS1_11target_archE1200ELNS1_3gpuE4ELNS1_3repE0EEENS1_30default_config_static_selectorELNS0_4arch9wavefront6targetE0EEEvT1_
    .private_segment_fixed_size: 0
    .sgpr_count:     0
    .sgpr_spill_count: 0
    .symbol:         _ZN7rocprim17ROCPRIM_400000_NS6detail17trampoline_kernelINS0_14default_configENS1_25partition_config_selectorILNS1_17partition_subalgoE6EyNS0_10empty_typeEbEEZZNS1_14partition_implILS5_6ELb0ES3_mN6thrust23THRUST_200600_302600_NS6detail15normal_iteratorINSA_10device_ptrIyEEEEPS6_SG_NS0_5tupleIJNSA_16discard_iteratorINSA_11use_defaultEEES6_EEENSH_IJSG_SG_EEES6_PlJNSB_9not_fun_tI7is_trueIyEEEEEE10hipError_tPvRmT3_T4_T5_T6_T7_T9_mT8_P12ihipStream_tbDpT10_ENKUlT_T0_E_clISt17integral_constantIbLb1EES1B_EEDaS16_S17_EUlS16_E_NS1_11comp_targetILNS1_3genE10ELNS1_11target_archE1200ELNS1_3gpuE4ELNS1_3repE0EEENS1_30default_config_static_selectorELNS0_4arch9wavefront6targetE0EEEvT1_.kd
    .uniform_work_group_size: 1
    .uses_dynamic_stack: false
    .vgpr_count:     0
    .vgpr_spill_count: 0
    .wavefront_size: 32
    .workgroup_processor_mode: 1
  - .args:
      - .offset:         0
        .size:           136
        .value_kind:     by_value
    .group_segment_fixed_size: 0
    .kernarg_segment_align: 8
    .kernarg_segment_size: 136
    .language:       OpenCL C
    .language_version:
      - 2
      - 0
    .max_flat_workgroup_size: 384
    .name:           _ZN7rocprim17ROCPRIM_400000_NS6detail17trampoline_kernelINS0_14default_configENS1_25partition_config_selectorILNS1_17partition_subalgoE6EyNS0_10empty_typeEbEEZZNS1_14partition_implILS5_6ELb0ES3_mN6thrust23THRUST_200600_302600_NS6detail15normal_iteratorINSA_10device_ptrIyEEEEPS6_SG_NS0_5tupleIJNSA_16discard_iteratorINSA_11use_defaultEEES6_EEENSH_IJSG_SG_EEES6_PlJNSB_9not_fun_tI7is_trueIyEEEEEE10hipError_tPvRmT3_T4_T5_T6_T7_T9_mT8_P12ihipStream_tbDpT10_ENKUlT_T0_E_clISt17integral_constantIbLb1EES1B_EEDaS16_S17_EUlS16_E_NS1_11comp_targetILNS1_3genE9ELNS1_11target_archE1100ELNS1_3gpuE3ELNS1_3repE0EEENS1_30default_config_static_selectorELNS0_4arch9wavefront6targetE0EEEvT1_
    .private_segment_fixed_size: 0
    .sgpr_count:     0
    .sgpr_spill_count: 0
    .symbol:         _ZN7rocprim17ROCPRIM_400000_NS6detail17trampoline_kernelINS0_14default_configENS1_25partition_config_selectorILNS1_17partition_subalgoE6EyNS0_10empty_typeEbEEZZNS1_14partition_implILS5_6ELb0ES3_mN6thrust23THRUST_200600_302600_NS6detail15normal_iteratorINSA_10device_ptrIyEEEEPS6_SG_NS0_5tupleIJNSA_16discard_iteratorINSA_11use_defaultEEES6_EEENSH_IJSG_SG_EEES6_PlJNSB_9not_fun_tI7is_trueIyEEEEEE10hipError_tPvRmT3_T4_T5_T6_T7_T9_mT8_P12ihipStream_tbDpT10_ENKUlT_T0_E_clISt17integral_constantIbLb1EES1B_EEDaS16_S17_EUlS16_E_NS1_11comp_targetILNS1_3genE9ELNS1_11target_archE1100ELNS1_3gpuE3ELNS1_3repE0EEENS1_30default_config_static_selectorELNS0_4arch9wavefront6targetE0EEEvT1_.kd
    .uniform_work_group_size: 1
    .uses_dynamic_stack: false
    .vgpr_count:     0
    .vgpr_spill_count: 0
    .wavefront_size: 32
    .workgroup_processor_mode: 1
  - .args:
      - .offset:         0
        .size:           136
        .value_kind:     by_value
    .group_segment_fixed_size: 0
    .kernarg_segment_align: 8
    .kernarg_segment_size: 136
    .language:       OpenCL C
    .language_version:
      - 2
      - 0
    .max_flat_workgroup_size: 512
    .name:           _ZN7rocprim17ROCPRIM_400000_NS6detail17trampoline_kernelINS0_14default_configENS1_25partition_config_selectorILNS1_17partition_subalgoE6EyNS0_10empty_typeEbEEZZNS1_14partition_implILS5_6ELb0ES3_mN6thrust23THRUST_200600_302600_NS6detail15normal_iteratorINSA_10device_ptrIyEEEEPS6_SG_NS0_5tupleIJNSA_16discard_iteratorINSA_11use_defaultEEES6_EEENSH_IJSG_SG_EEES6_PlJNSB_9not_fun_tI7is_trueIyEEEEEE10hipError_tPvRmT3_T4_T5_T6_T7_T9_mT8_P12ihipStream_tbDpT10_ENKUlT_T0_E_clISt17integral_constantIbLb1EES1B_EEDaS16_S17_EUlS16_E_NS1_11comp_targetILNS1_3genE8ELNS1_11target_archE1030ELNS1_3gpuE2ELNS1_3repE0EEENS1_30default_config_static_selectorELNS0_4arch9wavefront6targetE0EEEvT1_
    .private_segment_fixed_size: 0
    .sgpr_count:     0
    .sgpr_spill_count: 0
    .symbol:         _ZN7rocprim17ROCPRIM_400000_NS6detail17trampoline_kernelINS0_14default_configENS1_25partition_config_selectorILNS1_17partition_subalgoE6EyNS0_10empty_typeEbEEZZNS1_14partition_implILS5_6ELb0ES3_mN6thrust23THRUST_200600_302600_NS6detail15normal_iteratorINSA_10device_ptrIyEEEEPS6_SG_NS0_5tupleIJNSA_16discard_iteratorINSA_11use_defaultEEES6_EEENSH_IJSG_SG_EEES6_PlJNSB_9not_fun_tI7is_trueIyEEEEEE10hipError_tPvRmT3_T4_T5_T6_T7_T9_mT8_P12ihipStream_tbDpT10_ENKUlT_T0_E_clISt17integral_constantIbLb1EES1B_EEDaS16_S17_EUlS16_E_NS1_11comp_targetILNS1_3genE8ELNS1_11target_archE1030ELNS1_3gpuE2ELNS1_3repE0EEENS1_30default_config_static_selectorELNS0_4arch9wavefront6targetE0EEEvT1_.kd
    .uniform_work_group_size: 1
    .uses_dynamic_stack: false
    .vgpr_count:     0
    .vgpr_spill_count: 0
    .wavefront_size: 32
    .workgroup_processor_mode: 1
  - .args:
      - .offset:         0
        .size:           120
        .value_kind:     by_value
    .group_segment_fixed_size: 0
    .kernarg_segment_align: 8
    .kernarg_segment_size: 120
    .language:       OpenCL C
    .language_version:
      - 2
      - 0
    .max_flat_workgroup_size: 128
    .name:           _ZN7rocprim17ROCPRIM_400000_NS6detail17trampoline_kernelINS0_14default_configENS1_25partition_config_selectorILNS1_17partition_subalgoE6EyNS0_10empty_typeEbEEZZNS1_14partition_implILS5_6ELb0ES3_mN6thrust23THRUST_200600_302600_NS6detail15normal_iteratorINSA_10device_ptrIyEEEEPS6_SG_NS0_5tupleIJNSA_16discard_iteratorINSA_11use_defaultEEES6_EEENSH_IJSG_SG_EEES6_PlJNSB_9not_fun_tI7is_trueIyEEEEEE10hipError_tPvRmT3_T4_T5_T6_T7_T9_mT8_P12ihipStream_tbDpT10_ENKUlT_T0_E_clISt17integral_constantIbLb1EES1A_IbLb0EEEEDaS16_S17_EUlS16_E_NS1_11comp_targetILNS1_3genE0ELNS1_11target_archE4294967295ELNS1_3gpuE0ELNS1_3repE0EEENS1_30default_config_static_selectorELNS0_4arch9wavefront6targetE0EEEvT1_
    .private_segment_fixed_size: 0
    .sgpr_count:     0
    .sgpr_spill_count: 0
    .symbol:         _ZN7rocprim17ROCPRIM_400000_NS6detail17trampoline_kernelINS0_14default_configENS1_25partition_config_selectorILNS1_17partition_subalgoE6EyNS0_10empty_typeEbEEZZNS1_14partition_implILS5_6ELb0ES3_mN6thrust23THRUST_200600_302600_NS6detail15normal_iteratorINSA_10device_ptrIyEEEEPS6_SG_NS0_5tupleIJNSA_16discard_iteratorINSA_11use_defaultEEES6_EEENSH_IJSG_SG_EEES6_PlJNSB_9not_fun_tI7is_trueIyEEEEEE10hipError_tPvRmT3_T4_T5_T6_T7_T9_mT8_P12ihipStream_tbDpT10_ENKUlT_T0_E_clISt17integral_constantIbLb1EES1A_IbLb0EEEEDaS16_S17_EUlS16_E_NS1_11comp_targetILNS1_3genE0ELNS1_11target_archE4294967295ELNS1_3gpuE0ELNS1_3repE0EEENS1_30default_config_static_selectorELNS0_4arch9wavefront6targetE0EEEvT1_.kd
    .uniform_work_group_size: 1
    .uses_dynamic_stack: false
    .vgpr_count:     0
    .vgpr_spill_count: 0
    .wavefront_size: 32
    .workgroup_processor_mode: 1
  - .args:
      - .offset:         0
        .size:           120
        .value_kind:     by_value
    .group_segment_fixed_size: 0
    .kernarg_segment_align: 8
    .kernarg_segment_size: 120
    .language:       OpenCL C
    .language_version:
      - 2
      - 0
    .max_flat_workgroup_size: 512
    .name:           _ZN7rocprim17ROCPRIM_400000_NS6detail17trampoline_kernelINS0_14default_configENS1_25partition_config_selectorILNS1_17partition_subalgoE6EyNS0_10empty_typeEbEEZZNS1_14partition_implILS5_6ELb0ES3_mN6thrust23THRUST_200600_302600_NS6detail15normal_iteratorINSA_10device_ptrIyEEEEPS6_SG_NS0_5tupleIJNSA_16discard_iteratorINSA_11use_defaultEEES6_EEENSH_IJSG_SG_EEES6_PlJNSB_9not_fun_tI7is_trueIyEEEEEE10hipError_tPvRmT3_T4_T5_T6_T7_T9_mT8_P12ihipStream_tbDpT10_ENKUlT_T0_E_clISt17integral_constantIbLb1EES1A_IbLb0EEEEDaS16_S17_EUlS16_E_NS1_11comp_targetILNS1_3genE5ELNS1_11target_archE942ELNS1_3gpuE9ELNS1_3repE0EEENS1_30default_config_static_selectorELNS0_4arch9wavefront6targetE0EEEvT1_
    .private_segment_fixed_size: 0
    .sgpr_count:     0
    .sgpr_spill_count: 0
    .symbol:         _ZN7rocprim17ROCPRIM_400000_NS6detail17trampoline_kernelINS0_14default_configENS1_25partition_config_selectorILNS1_17partition_subalgoE6EyNS0_10empty_typeEbEEZZNS1_14partition_implILS5_6ELb0ES3_mN6thrust23THRUST_200600_302600_NS6detail15normal_iteratorINSA_10device_ptrIyEEEEPS6_SG_NS0_5tupleIJNSA_16discard_iteratorINSA_11use_defaultEEES6_EEENSH_IJSG_SG_EEES6_PlJNSB_9not_fun_tI7is_trueIyEEEEEE10hipError_tPvRmT3_T4_T5_T6_T7_T9_mT8_P12ihipStream_tbDpT10_ENKUlT_T0_E_clISt17integral_constantIbLb1EES1A_IbLb0EEEEDaS16_S17_EUlS16_E_NS1_11comp_targetILNS1_3genE5ELNS1_11target_archE942ELNS1_3gpuE9ELNS1_3repE0EEENS1_30default_config_static_selectorELNS0_4arch9wavefront6targetE0EEEvT1_.kd
    .uniform_work_group_size: 1
    .uses_dynamic_stack: false
    .vgpr_count:     0
    .vgpr_spill_count: 0
    .wavefront_size: 32
    .workgroup_processor_mode: 1
  - .args:
      - .offset:         0
        .size:           120
        .value_kind:     by_value
    .group_segment_fixed_size: 0
    .kernarg_segment_align: 8
    .kernarg_segment_size: 120
    .language:       OpenCL C
    .language_version:
      - 2
      - 0
    .max_flat_workgroup_size: 512
    .name:           _ZN7rocprim17ROCPRIM_400000_NS6detail17trampoline_kernelINS0_14default_configENS1_25partition_config_selectorILNS1_17partition_subalgoE6EyNS0_10empty_typeEbEEZZNS1_14partition_implILS5_6ELb0ES3_mN6thrust23THRUST_200600_302600_NS6detail15normal_iteratorINSA_10device_ptrIyEEEEPS6_SG_NS0_5tupleIJNSA_16discard_iteratorINSA_11use_defaultEEES6_EEENSH_IJSG_SG_EEES6_PlJNSB_9not_fun_tI7is_trueIyEEEEEE10hipError_tPvRmT3_T4_T5_T6_T7_T9_mT8_P12ihipStream_tbDpT10_ENKUlT_T0_E_clISt17integral_constantIbLb1EES1A_IbLb0EEEEDaS16_S17_EUlS16_E_NS1_11comp_targetILNS1_3genE4ELNS1_11target_archE910ELNS1_3gpuE8ELNS1_3repE0EEENS1_30default_config_static_selectorELNS0_4arch9wavefront6targetE0EEEvT1_
    .private_segment_fixed_size: 0
    .sgpr_count:     0
    .sgpr_spill_count: 0
    .symbol:         _ZN7rocprim17ROCPRIM_400000_NS6detail17trampoline_kernelINS0_14default_configENS1_25partition_config_selectorILNS1_17partition_subalgoE6EyNS0_10empty_typeEbEEZZNS1_14partition_implILS5_6ELb0ES3_mN6thrust23THRUST_200600_302600_NS6detail15normal_iteratorINSA_10device_ptrIyEEEEPS6_SG_NS0_5tupleIJNSA_16discard_iteratorINSA_11use_defaultEEES6_EEENSH_IJSG_SG_EEES6_PlJNSB_9not_fun_tI7is_trueIyEEEEEE10hipError_tPvRmT3_T4_T5_T6_T7_T9_mT8_P12ihipStream_tbDpT10_ENKUlT_T0_E_clISt17integral_constantIbLb1EES1A_IbLb0EEEEDaS16_S17_EUlS16_E_NS1_11comp_targetILNS1_3genE4ELNS1_11target_archE910ELNS1_3gpuE8ELNS1_3repE0EEENS1_30default_config_static_selectorELNS0_4arch9wavefront6targetE0EEEvT1_.kd
    .uniform_work_group_size: 1
    .uses_dynamic_stack: false
    .vgpr_count:     0
    .vgpr_spill_count: 0
    .wavefront_size: 32
    .workgroup_processor_mode: 1
  - .args:
      - .offset:         0
        .size:           120
        .value_kind:     by_value
    .group_segment_fixed_size: 0
    .kernarg_segment_align: 8
    .kernarg_segment_size: 120
    .language:       OpenCL C
    .language_version:
      - 2
      - 0
    .max_flat_workgroup_size: 128
    .name:           _ZN7rocprim17ROCPRIM_400000_NS6detail17trampoline_kernelINS0_14default_configENS1_25partition_config_selectorILNS1_17partition_subalgoE6EyNS0_10empty_typeEbEEZZNS1_14partition_implILS5_6ELb0ES3_mN6thrust23THRUST_200600_302600_NS6detail15normal_iteratorINSA_10device_ptrIyEEEEPS6_SG_NS0_5tupleIJNSA_16discard_iteratorINSA_11use_defaultEEES6_EEENSH_IJSG_SG_EEES6_PlJNSB_9not_fun_tI7is_trueIyEEEEEE10hipError_tPvRmT3_T4_T5_T6_T7_T9_mT8_P12ihipStream_tbDpT10_ENKUlT_T0_E_clISt17integral_constantIbLb1EES1A_IbLb0EEEEDaS16_S17_EUlS16_E_NS1_11comp_targetILNS1_3genE3ELNS1_11target_archE908ELNS1_3gpuE7ELNS1_3repE0EEENS1_30default_config_static_selectorELNS0_4arch9wavefront6targetE0EEEvT1_
    .private_segment_fixed_size: 0
    .sgpr_count:     0
    .sgpr_spill_count: 0
    .symbol:         _ZN7rocprim17ROCPRIM_400000_NS6detail17trampoline_kernelINS0_14default_configENS1_25partition_config_selectorILNS1_17partition_subalgoE6EyNS0_10empty_typeEbEEZZNS1_14partition_implILS5_6ELb0ES3_mN6thrust23THRUST_200600_302600_NS6detail15normal_iteratorINSA_10device_ptrIyEEEEPS6_SG_NS0_5tupleIJNSA_16discard_iteratorINSA_11use_defaultEEES6_EEENSH_IJSG_SG_EEES6_PlJNSB_9not_fun_tI7is_trueIyEEEEEE10hipError_tPvRmT3_T4_T5_T6_T7_T9_mT8_P12ihipStream_tbDpT10_ENKUlT_T0_E_clISt17integral_constantIbLb1EES1A_IbLb0EEEEDaS16_S17_EUlS16_E_NS1_11comp_targetILNS1_3genE3ELNS1_11target_archE908ELNS1_3gpuE7ELNS1_3repE0EEENS1_30default_config_static_selectorELNS0_4arch9wavefront6targetE0EEEvT1_.kd
    .uniform_work_group_size: 1
    .uses_dynamic_stack: false
    .vgpr_count:     0
    .vgpr_spill_count: 0
    .wavefront_size: 32
    .workgroup_processor_mode: 1
  - .args:
      - .offset:         0
        .size:           120
        .value_kind:     by_value
    .group_segment_fixed_size: 0
    .kernarg_segment_align: 8
    .kernarg_segment_size: 120
    .language:       OpenCL C
    .language_version:
      - 2
      - 0
    .max_flat_workgroup_size: 256
    .name:           _ZN7rocprim17ROCPRIM_400000_NS6detail17trampoline_kernelINS0_14default_configENS1_25partition_config_selectorILNS1_17partition_subalgoE6EyNS0_10empty_typeEbEEZZNS1_14partition_implILS5_6ELb0ES3_mN6thrust23THRUST_200600_302600_NS6detail15normal_iteratorINSA_10device_ptrIyEEEEPS6_SG_NS0_5tupleIJNSA_16discard_iteratorINSA_11use_defaultEEES6_EEENSH_IJSG_SG_EEES6_PlJNSB_9not_fun_tI7is_trueIyEEEEEE10hipError_tPvRmT3_T4_T5_T6_T7_T9_mT8_P12ihipStream_tbDpT10_ENKUlT_T0_E_clISt17integral_constantIbLb1EES1A_IbLb0EEEEDaS16_S17_EUlS16_E_NS1_11comp_targetILNS1_3genE2ELNS1_11target_archE906ELNS1_3gpuE6ELNS1_3repE0EEENS1_30default_config_static_selectorELNS0_4arch9wavefront6targetE0EEEvT1_
    .private_segment_fixed_size: 0
    .sgpr_count:     0
    .sgpr_spill_count: 0
    .symbol:         _ZN7rocprim17ROCPRIM_400000_NS6detail17trampoline_kernelINS0_14default_configENS1_25partition_config_selectorILNS1_17partition_subalgoE6EyNS0_10empty_typeEbEEZZNS1_14partition_implILS5_6ELb0ES3_mN6thrust23THRUST_200600_302600_NS6detail15normal_iteratorINSA_10device_ptrIyEEEEPS6_SG_NS0_5tupleIJNSA_16discard_iteratorINSA_11use_defaultEEES6_EEENSH_IJSG_SG_EEES6_PlJNSB_9not_fun_tI7is_trueIyEEEEEE10hipError_tPvRmT3_T4_T5_T6_T7_T9_mT8_P12ihipStream_tbDpT10_ENKUlT_T0_E_clISt17integral_constantIbLb1EES1A_IbLb0EEEEDaS16_S17_EUlS16_E_NS1_11comp_targetILNS1_3genE2ELNS1_11target_archE906ELNS1_3gpuE6ELNS1_3repE0EEENS1_30default_config_static_selectorELNS0_4arch9wavefront6targetE0EEEvT1_.kd
    .uniform_work_group_size: 1
    .uses_dynamic_stack: false
    .vgpr_count:     0
    .vgpr_spill_count: 0
    .wavefront_size: 32
    .workgroup_processor_mode: 1
  - .args:
      - .offset:         0
        .size:           120
        .value_kind:     by_value
    .group_segment_fixed_size: 0
    .kernarg_segment_align: 8
    .kernarg_segment_size: 120
    .language:       OpenCL C
    .language_version:
      - 2
      - 0
    .max_flat_workgroup_size: 256
    .name:           _ZN7rocprim17ROCPRIM_400000_NS6detail17trampoline_kernelINS0_14default_configENS1_25partition_config_selectorILNS1_17partition_subalgoE6EyNS0_10empty_typeEbEEZZNS1_14partition_implILS5_6ELb0ES3_mN6thrust23THRUST_200600_302600_NS6detail15normal_iteratorINSA_10device_ptrIyEEEEPS6_SG_NS0_5tupleIJNSA_16discard_iteratorINSA_11use_defaultEEES6_EEENSH_IJSG_SG_EEES6_PlJNSB_9not_fun_tI7is_trueIyEEEEEE10hipError_tPvRmT3_T4_T5_T6_T7_T9_mT8_P12ihipStream_tbDpT10_ENKUlT_T0_E_clISt17integral_constantIbLb1EES1A_IbLb0EEEEDaS16_S17_EUlS16_E_NS1_11comp_targetILNS1_3genE10ELNS1_11target_archE1200ELNS1_3gpuE4ELNS1_3repE0EEENS1_30default_config_static_selectorELNS0_4arch9wavefront6targetE0EEEvT1_
    .private_segment_fixed_size: 0
    .sgpr_count:     0
    .sgpr_spill_count: 0
    .symbol:         _ZN7rocprim17ROCPRIM_400000_NS6detail17trampoline_kernelINS0_14default_configENS1_25partition_config_selectorILNS1_17partition_subalgoE6EyNS0_10empty_typeEbEEZZNS1_14partition_implILS5_6ELb0ES3_mN6thrust23THRUST_200600_302600_NS6detail15normal_iteratorINSA_10device_ptrIyEEEEPS6_SG_NS0_5tupleIJNSA_16discard_iteratorINSA_11use_defaultEEES6_EEENSH_IJSG_SG_EEES6_PlJNSB_9not_fun_tI7is_trueIyEEEEEE10hipError_tPvRmT3_T4_T5_T6_T7_T9_mT8_P12ihipStream_tbDpT10_ENKUlT_T0_E_clISt17integral_constantIbLb1EES1A_IbLb0EEEEDaS16_S17_EUlS16_E_NS1_11comp_targetILNS1_3genE10ELNS1_11target_archE1200ELNS1_3gpuE4ELNS1_3repE0EEENS1_30default_config_static_selectorELNS0_4arch9wavefront6targetE0EEEvT1_.kd
    .uniform_work_group_size: 1
    .uses_dynamic_stack: false
    .vgpr_count:     0
    .vgpr_spill_count: 0
    .wavefront_size: 32
    .workgroup_processor_mode: 1
  - .args:
      - .offset:         0
        .size:           120
        .value_kind:     by_value
    .group_segment_fixed_size: 0
    .kernarg_segment_align: 8
    .kernarg_segment_size: 120
    .language:       OpenCL C
    .language_version:
      - 2
      - 0
    .max_flat_workgroup_size: 384
    .name:           _ZN7rocprim17ROCPRIM_400000_NS6detail17trampoline_kernelINS0_14default_configENS1_25partition_config_selectorILNS1_17partition_subalgoE6EyNS0_10empty_typeEbEEZZNS1_14partition_implILS5_6ELb0ES3_mN6thrust23THRUST_200600_302600_NS6detail15normal_iteratorINSA_10device_ptrIyEEEEPS6_SG_NS0_5tupleIJNSA_16discard_iteratorINSA_11use_defaultEEES6_EEENSH_IJSG_SG_EEES6_PlJNSB_9not_fun_tI7is_trueIyEEEEEE10hipError_tPvRmT3_T4_T5_T6_T7_T9_mT8_P12ihipStream_tbDpT10_ENKUlT_T0_E_clISt17integral_constantIbLb1EES1A_IbLb0EEEEDaS16_S17_EUlS16_E_NS1_11comp_targetILNS1_3genE9ELNS1_11target_archE1100ELNS1_3gpuE3ELNS1_3repE0EEENS1_30default_config_static_selectorELNS0_4arch9wavefront6targetE0EEEvT1_
    .private_segment_fixed_size: 0
    .sgpr_count:     0
    .sgpr_spill_count: 0
    .symbol:         _ZN7rocprim17ROCPRIM_400000_NS6detail17trampoline_kernelINS0_14default_configENS1_25partition_config_selectorILNS1_17partition_subalgoE6EyNS0_10empty_typeEbEEZZNS1_14partition_implILS5_6ELb0ES3_mN6thrust23THRUST_200600_302600_NS6detail15normal_iteratorINSA_10device_ptrIyEEEEPS6_SG_NS0_5tupleIJNSA_16discard_iteratorINSA_11use_defaultEEES6_EEENSH_IJSG_SG_EEES6_PlJNSB_9not_fun_tI7is_trueIyEEEEEE10hipError_tPvRmT3_T4_T5_T6_T7_T9_mT8_P12ihipStream_tbDpT10_ENKUlT_T0_E_clISt17integral_constantIbLb1EES1A_IbLb0EEEEDaS16_S17_EUlS16_E_NS1_11comp_targetILNS1_3genE9ELNS1_11target_archE1100ELNS1_3gpuE3ELNS1_3repE0EEENS1_30default_config_static_selectorELNS0_4arch9wavefront6targetE0EEEvT1_.kd
    .uniform_work_group_size: 1
    .uses_dynamic_stack: false
    .vgpr_count:     0
    .vgpr_spill_count: 0
    .wavefront_size: 32
    .workgroup_processor_mode: 1
  - .args:
      - .offset:         0
        .size:           120
        .value_kind:     by_value
    .group_segment_fixed_size: 0
    .kernarg_segment_align: 8
    .kernarg_segment_size: 120
    .language:       OpenCL C
    .language_version:
      - 2
      - 0
    .max_flat_workgroup_size: 512
    .name:           _ZN7rocprim17ROCPRIM_400000_NS6detail17trampoline_kernelINS0_14default_configENS1_25partition_config_selectorILNS1_17partition_subalgoE6EyNS0_10empty_typeEbEEZZNS1_14partition_implILS5_6ELb0ES3_mN6thrust23THRUST_200600_302600_NS6detail15normal_iteratorINSA_10device_ptrIyEEEEPS6_SG_NS0_5tupleIJNSA_16discard_iteratorINSA_11use_defaultEEES6_EEENSH_IJSG_SG_EEES6_PlJNSB_9not_fun_tI7is_trueIyEEEEEE10hipError_tPvRmT3_T4_T5_T6_T7_T9_mT8_P12ihipStream_tbDpT10_ENKUlT_T0_E_clISt17integral_constantIbLb1EES1A_IbLb0EEEEDaS16_S17_EUlS16_E_NS1_11comp_targetILNS1_3genE8ELNS1_11target_archE1030ELNS1_3gpuE2ELNS1_3repE0EEENS1_30default_config_static_selectorELNS0_4arch9wavefront6targetE0EEEvT1_
    .private_segment_fixed_size: 0
    .sgpr_count:     0
    .sgpr_spill_count: 0
    .symbol:         _ZN7rocprim17ROCPRIM_400000_NS6detail17trampoline_kernelINS0_14default_configENS1_25partition_config_selectorILNS1_17partition_subalgoE6EyNS0_10empty_typeEbEEZZNS1_14partition_implILS5_6ELb0ES3_mN6thrust23THRUST_200600_302600_NS6detail15normal_iteratorINSA_10device_ptrIyEEEEPS6_SG_NS0_5tupleIJNSA_16discard_iteratorINSA_11use_defaultEEES6_EEENSH_IJSG_SG_EEES6_PlJNSB_9not_fun_tI7is_trueIyEEEEEE10hipError_tPvRmT3_T4_T5_T6_T7_T9_mT8_P12ihipStream_tbDpT10_ENKUlT_T0_E_clISt17integral_constantIbLb1EES1A_IbLb0EEEEDaS16_S17_EUlS16_E_NS1_11comp_targetILNS1_3genE8ELNS1_11target_archE1030ELNS1_3gpuE2ELNS1_3repE0EEENS1_30default_config_static_selectorELNS0_4arch9wavefront6targetE0EEEvT1_.kd
    .uniform_work_group_size: 1
    .uses_dynamic_stack: false
    .vgpr_count:     0
    .vgpr_spill_count: 0
    .wavefront_size: 32
    .workgroup_processor_mode: 1
  - .args:
      - .offset:         0
        .size:           136
        .value_kind:     by_value
    .group_segment_fixed_size: 0
    .kernarg_segment_align: 8
    .kernarg_segment_size: 136
    .language:       OpenCL C
    .language_version:
      - 2
      - 0
    .max_flat_workgroup_size: 128
    .name:           _ZN7rocprim17ROCPRIM_400000_NS6detail17trampoline_kernelINS0_14default_configENS1_25partition_config_selectorILNS1_17partition_subalgoE6EyNS0_10empty_typeEbEEZZNS1_14partition_implILS5_6ELb0ES3_mN6thrust23THRUST_200600_302600_NS6detail15normal_iteratorINSA_10device_ptrIyEEEEPS6_SG_NS0_5tupleIJNSA_16discard_iteratorINSA_11use_defaultEEES6_EEENSH_IJSG_SG_EEES6_PlJNSB_9not_fun_tI7is_trueIyEEEEEE10hipError_tPvRmT3_T4_T5_T6_T7_T9_mT8_P12ihipStream_tbDpT10_ENKUlT_T0_E_clISt17integral_constantIbLb0EES1A_IbLb1EEEEDaS16_S17_EUlS16_E_NS1_11comp_targetILNS1_3genE0ELNS1_11target_archE4294967295ELNS1_3gpuE0ELNS1_3repE0EEENS1_30default_config_static_selectorELNS0_4arch9wavefront6targetE0EEEvT1_
    .private_segment_fixed_size: 0
    .sgpr_count:     0
    .sgpr_spill_count: 0
    .symbol:         _ZN7rocprim17ROCPRIM_400000_NS6detail17trampoline_kernelINS0_14default_configENS1_25partition_config_selectorILNS1_17partition_subalgoE6EyNS0_10empty_typeEbEEZZNS1_14partition_implILS5_6ELb0ES3_mN6thrust23THRUST_200600_302600_NS6detail15normal_iteratorINSA_10device_ptrIyEEEEPS6_SG_NS0_5tupleIJNSA_16discard_iteratorINSA_11use_defaultEEES6_EEENSH_IJSG_SG_EEES6_PlJNSB_9not_fun_tI7is_trueIyEEEEEE10hipError_tPvRmT3_T4_T5_T6_T7_T9_mT8_P12ihipStream_tbDpT10_ENKUlT_T0_E_clISt17integral_constantIbLb0EES1A_IbLb1EEEEDaS16_S17_EUlS16_E_NS1_11comp_targetILNS1_3genE0ELNS1_11target_archE4294967295ELNS1_3gpuE0ELNS1_3repE0EEENS1_30default_config_static_selectorELNS0_4arch9wavefront6targetE0EEEvT1_.kd
    .uniform_work_group_size: 1
    .uses_dynamic_stack: false
    .vgpr_count:     0
    .vgpr_spill_count: 0
    .wavefront_size: 32
    .workgroup_processor_mode: 1
  - .args:
      - .offset:         0
        .size:           136
        .value_kind:     by_value
    .group_segment_fixed_size: 0
    .kernarg_segment_align: 8
    .kernarg_segment_size: 136
    .language:       OpenCL C
    .language_version:
      - 2
      - 0
    .max_flat_workgroup_size: 512
    .name:           _ZN7rocprim17ROCPRIM_400000_NS6detail17trampoline_kernelINS0_14default_configENS1_25partition_config_selectorILNS1_17partition_subalgoE6EyNS0_10empty_typeEbEEZZNS1_14partition_implILS5_6ELb0ES3_mN6thrust23THRUST_200600_302600_NS6detail15normal_iteratorINSA_10device_ptrIyEEEEPS6_SG_NS0_5tupleIJNSA_16discard_iteratorINSA_11use_defaultEEES6_EEENSH_IJSG_SG_EEES6_PlJNSB_9not_fun_tI7is_trueIyEEEEEE10hipError_tPvRmT3_T4_T5_T6_T7_T9_mT8_P12ihipStream_tbDpT10_ENKUlT_T0_E_clISt17integral_constantIbLb0EES1A_IbLb1EEEEDaS16_S17_EUlS16_E_NS1_11comp_targetILNS1_3genE5ELNS1_11target_archE942ELNS1_3gpuE9ELNS1_3repE0EEENS1_30default_config_static_selectorELNS0_4arch9wavefront6targetE0EEEvT1_
    .private_segment_fixed_size: 0
    .sgpr_count:     0
    .sgpr_spill_count: 0
    .symbol:         _ZN7rocprim17ROCPRIM_400000_NS6detail17trampoline_kernelINS0_14default_configENS1_25partition_config_selectorILNS1_17partition_subalgoE6EyNS0_10empty_typeEbEEZZNS1_14partition_implILS5_6ELb0ES3_mN6thrust23THRUST_200600_302600_NS6detail15normal_iteratorINSA_10device_ptrIyEEEEPS6_SG_NS0_5tupleIJNSA_16discard_iteratorINSA_11use_defaultEEES6_EEENSH_IJSG_SG_EEES6_PlJNSB_9not_fun_tI7is_trueIyEEEEEE10hipError_tPvRmT3_T4_T5_T6_T7_T9_mT8_P12ihipStream_tbDpT10_ENKUlT_T0_E_clISt17integral_constantIbLb0EES1A_IbLb1EEEEDaS16_S17_EUlS16_E_NS1_11comp_targetILNS1_3genE5ELNS1_11target_archE942ELNS1_3gpuE9ELNS1_3repE0EEENS1_30default_config_static_selectorELNS0_4arch9wavefront6targetE0EEEvT1_.kd
    .uniform_work_group_size: 1
    .uses_dynamic_stack: false
    .vgpr_count:     0
    .vgpr_spill_count: 0
    .wavefront_size: 32
    .workgroup_processor_mode: 1
  - .args:
      - .offset:         0
        .size:           136
        .value_kind:     by_value
    .group_segment_fixed_size: 0
    .kernarg_segment_align: 8
    .kernarg_segment_size: 136
    .language:       OpenCL C
    .language_version:
      - 2
      - 0
    .max_flat_workgroup_size: 512
    .name:           _ZN7rocprim17ROCPRIM_400000_NS6detail17trampoline_kernelINS0_14default_configENS1_25partition_config_selectorILNS1_17partition_subalgoE6EyNS0_10empty_typeEbEEZZNS1_14partition_implILS5_6ELb0ES3_mN6thrust23THRUST_200600_302600_NS6detail15normal_iteratorINSA_10device_ptrIyEEEEPS6_SG_NS0_5tupleIJNSA_16discard_iteratorINSA_11use_defaultEEES6_EEENSH_IJSG_SG_EEES6_PlJNSB_9not_fun_tI7is_trueIyEEEEEE10hipError_tPvRmT3_T4_T5_T6_T7_T9_mT8_P12ihipStream_tbDpT10_ENKUlT_T0_E_clISt17integral_constantIbLb0EES1A_IbLb1EEEEDaS16_S17_EUlS16_E_NS1_11comp_targetILNS1_3genE4ELNS1_11target_archE910ELNS1_3gpuE8ELNS1_3repE0EEENS1_30default_config_static_selectorELNS0_4arch9wavefront6targetE0EEEvT1_
    .private_segment_fixed_size: 0
    .sgpr_count:     0
    .sgpr_spill_count: 0
    .symbol:         _ZN7rocprim17ROCPRIM_400000_NS6detail17trampoline_kernelINS0_14default_configENS1_25partition_config_selectorILNS1_17partition_subalgoE6EyNS0_10empty_typeEbEEZZNS1_14partition_implILS5_6ELb0ES3_mN6thrust23THRUST_200600_302600_NS6detail15normal_iteratorINSA_10device_ptrIyEEEEPS6_SG_NS0_5tupleIJNSA_16discard_iteratorINSA_11use_defaultEEES6_EEENSH_IJSG_SG_EEES6_PlJNSB_9not_fun_tI7is_trueIyEEEEEE10hipError_tPvRmT3_T4_T5_T6_T7_T9_mT8_P12ihipStream_tbDpT10_ENKUlT_T0_E_clISt17integral_constantIbLb0EES1A_IbLb1EEEEDaS16_S17_EUlS16_E_NS1_11comp_targetILNS1_3genE4ELNS1_11target_archE910ELNS1_3gpuE8ELNS1_3repE0EEENS1_30default_config_static_selectorELNS0_4arch9wavefront6targetE0EEEvT1_.kd
    .uniform_work_group_size: 1
    .uses_dynamic_stack: false
    .vgpr_count:     0
    .vgpr_spill_count: 0
    .wavefront_size: 32
    .workgroup_processor_mode: 1
  - .args:
      - .offset:         0
        .size:           136
        .value_kind:     by_value
    .group_segment_fixed_size: 0
    .kernarg_segment_align: 8
    .kernarg_segment_size: 136
    .language:       OpenCL C
    .language_version:
      - 2
      - 0
    .max_flat_workgroup_size: 128
    .name:           _ZN7rocprim17ROCPRIM_400000_NS6detail17trampoline_kernelINS0_14default_configENS1_25partition_config_selectorILNS1_17partition_subalgoE6EyNS0_10empty_typeEbEEZZNS1_14partition_implILS5_6ELb0ES3_mN6thrust23THRUST_200600_302600_NS6detail15normal_iteratorINSA_10device_ptrIyEEEEPS6_SG_NS0_5tupleIJNSA_16discard_iteratorINSA_11use_defaultEEES6_EEENSH_IJSG_SG_EEES6_PlJNSB_9not_fun_tI7is_trueIyEEEEEE10hipError_tPvRmT3_T4_T5_T6_T7_T9_mT8_P12ihipStream_tbDpT10_ENKUlT_T0_E_clISt17integral_constantIbLb0EES1A_IbLb1EEEEDaS16_S17_EUlS16_E_NS1_11comp_targetILNS1_3genE3ELNS1_11target_archE908ELNS1_3gpuE7ELNS1_3repE0EEENS1_30default_config_static_selectorELNS0_4arch9wavefront6targetE0EEEvT1_
    .private_segment_fixed_size: 0
    .sgpr_count:     0
    .sgpr_spill_count: 0
    .symbol:         _ZN7rocprim17ROCPRIM_400000_NS6detail17trampoline_kernelINS0_14default_configENS1_25partition_config_selectorILNS1_17partition_subalgoE6EyNS0_10empty_typeEbEEZZNS1_14partition_implILS5_6ELb0ES3_mN6thrust23THRUST_200600_302600_NS6detail15normal_iteratorINSA_10device_ptrIyEEEEPS6_SG_NS0_5tupleIJNSA_16discard_iteratorINSA_11use_defaultEEES6_EEENSH_IJSG_SG_EEES6_PlJNSB_9not_fun_tI7is_trueIyEEEEEE10hipError_tPvRmT3_T4_T5_T6_T7_T9_mT8_P12ihipStream_tbDpT10_ENKUlT_T0_E_clISt17integral_constantIbLb0EES1A_IbLb1EEEEDaS16_S17_EUlS16_E_NS1_11comp_targetILNS1_3genE3ELNS1_11target_archE908ELNS1_3gpuE7ELNS1_3repE0EEENS1_30default_config_static_selectorELNS0_4arch9wavefront6targetE0EEEvT1_.kd
    .uniform_work_group_size: 1
    .uses_dynamic_stack: false
    .vgpr_count:     0
    .vgpr_spill_count: 0
    .wavefront_size: 32
    .workgroup_processor_mode: 1
  - .args:
      - .offset:         0
        .size:           136
        .value_kind:     by_value
    .group_segment_fixed_size: 0
    .kernarg_segment_align: 8
    .kernarg_segment_size: 136
    .language:       OpenCL C
    .language_version:
      - 2
      - 0
    .max_flat_workgroup_size: 256
    .name:           _ZN7rocprim17ROCPRIM_400000_NS6detail17trampoline_kernelINS0_14default_configENS1_25partition_config_selectorILNS1_17partition_subalgoE6EyNS0_10empty_typeEbEEZZNS1_14partition_implILS5_6ELb0ES3_mN6thrust23THRUST_200600_302600_NS6detail15normal_iteratorINSA_10device_ptrIyEEEEPS6_SG_NS0_5tupleIJNSA_16discard_iteratorINSA_11use_defaultEEES6_EEENSH_IJSG_SG_EEES6_PlJNSB_9not_fun_tI7is_trueIyEEEEEE10hipError_tPvRmT3_T4_T5_T6_T7_T9_mT8_P12ihipStream_tbDpT10_ENKUlT_T0_E_clISt17integral_constantIbLb0EES1A_IbLb1EEEEDaS16_S17_EUlS16_E_NS1_11comp_targetILNS1_3genE2ELNS1_11target_archE906ELNS1_3gpuE6ELNS1_3repE0EEENS1_30default_config_static_selectorELNS0_4arch9wavefront6targetE0EEEvT1_
    .private_segment_fixed_size: 0
    .sgpr_count:     0
    .sgpr_spill_count: 0
    .symbol:         _ZN7rocprim17ROCPRIM_400000_NS6detail17trampoline_kernelINS0_14default_configENS1_25partition_config_selectorILNS1_17partition_subalgoE6EyNS0_10empty_typeEbEEZZNS1_14partition_implILS5_6ELb0ES3_mN6thrust23THRUST_200600_302600_NS6detail15normal_iteratorINSA_10device_ptrIyEEEEPS6_SG_NS0_5tupleIJNSA_16discard_iteratorINSA_11use_defaultEEES6_EEENSH_IJSG_SG_EEES6_PlJNSB_9not_fun_tI7is_trueIyEEEEEE10hipError_tPvRmT3_T4_T5_T6_T7_T9_mT8_P12ihipStream_tbDpT10_ENKUlT_T0_E_clISt17integral_constantIbLb0EES1A_IbLb1EEEEDaS16_S17_EUlS16_E_NS1_11comp_targetILNS1_3genE2ELNS1_11target_archE906ELNS1_3gpuE6ELNS1_3repE0EEENS1_30default_config_static_selectorELNS0_4arch9wavefront6targetE0EEEvT1_.kd
    .uniform_work_group_size: 1
    .uses_dynamic_stack: false
    .vgpr_count:     0
    .vgpr_spill_count: 0
    .wavefront_size: 32
    .workgroup_processor_mode: 1
  - .args:
      - .offset:         0
        .size:           136
        .value_kind:     by_value
    .group_segment_fixed_size: 8464
    .kernarg_segment_align: 8
    .kernarg_segment_size: 136
    .language:       OpenCL C
    .language_version:
      - 2
      - 0
    .max_flat_workgroup_size: 256
    .name:           _ZN7rocprim17ROCPRIM_400000_NS6detail17trampoline_kernelINS0_14default_configENS1_25partition_config_selectorILNS1_17partition_subalgoE6EyNS0_10empty_typeEbEEZZNS1_14partition_implILS5_6ELb0ES3_mN6thrust23THRUST_200600_302600_NS6detail15normal_iteratorINSA_10device_ptrIyEEEEPS6_SG_NS0_5tupleIJNSA_16discard_iteratorINSA_11use_defaultEEES6_EEENSH_IJSG_SG_EEES6_PlJNSB_9not_fun_tI7is_trueIyEEEEEE10hipError_tPvRmT3_T4_T5_T6_T7_T9_mT8_P12ihipStream_tbDpT10_ENKUlT_T0_E_clISt17integral_constantIbLb0EES1A_IbLb1EEEEDaS16_S17_EUlS16_E_NS1_11comp_targetILNS1_3genE10ELNS1_11target_archE1200ELNS1_3gpuE4ELNS1_3repE0EEENS1_30default_config_static_selectorELNS0_4arch9wavefront6targetE0EEEvT1_
    .private_segment_fixed_size: 0
    .sgpr_count:     22
    .sgpr_spill_count: 0
    .symbol:         _ZN7rocprim17ROCPRIM_400000_NS6detail17trampoline_kernelINS0_14default_configENS1_25partition_config_selectorILNS1_17partition_subalgoE6EyNS0_10empty_typeEbEEZZNS1_14partition_implILS5_6ELb0ES3_mN6thrust23THRUST_200600_302600_NS6detail15normal_iteratorINSA_10device_ptrIyEEEEPS6_SG_NS0_5tupleIJNSA_16discard_iteratorINSA_11use_defaultEEES6_EEENSH_IJSG_SG_EEES6_PlJNSB_9not_fun_tI7is_trueIyEEEEEE10hipError_tPvRmT3_T4_T5_T6_T7_T9_mT8_P12ihipStream_tbDpT10_ENKUlT_T0_E_clISt17integral_constantIbLb0EES1A_IbLb1EEEEDaS16_S17_EUlS16_E_NS1_11comp_targetILNS1_3genE10ELNS1_11target_archE1200ELNS1_3gpuE4ELNS1_3repE0EEENS1_30default_config_static_selectorELNS0_4arch9wavefront6targetE0EEEvT1_.kd
    .uniform_work_group_size: 1
    .uses_dynamic_stack: false
    .vgpr_count:     47
    .vgpr_spill_count: 0
    .wavefront_size: 32
    .workgroup_processor_mode: 1
  - .args:
      - .offset:         0
        .size:           136
        .value_kind:     by_value
    .group_segment_fixed_size: 0
    .kernarg_segment_align: 8
    .kernarg_segment_size: 136
    .language:       OpenCL C
    .language_version:
      - 2
      - 0
    .max_flat_workgroup_size: 384
    .name:           _ZN7rocprim17ROCPRIM_400000_NS6detail17trampoline_kernelINS0_14default_configENS1_25partition_config_selectorILNS1_17partition_subalgoE6EyNS0_10empty_typeEbEEZZNS1_14partition_implILS5_6ELb0ES3_mN6thrust23THRUST_200600_302600_NS6detail15normal_iteratorINSA_10device_ptrIyEEEEPS6_SG_NS0_5tupleIJNSA_16discard_iteratorINSA_11use_defaultEEES6_EEENSH_IJSG_SG_EEES6_PlJNSB_9not_fun_tI7is_trueIyEEEEEE10hipError_tPvRmT3_T4_T5_T6_T7_T9_mT8_P12ihipStream_tbDpT10_ENKUlT_T0_E_clISt17integral_constantIbLb0EES1A_IbLb1EEEEDaS16_S17_EUlS16_E_NS1_11comp_targetILNS1_3genE9ELNS1_11target_archE1100ELNS1_3gpuE3ELNS1_3repE0EEENS1_30default_config_static_selectorELNS0_4arch9wavefront6targetE0EEEvT1_
    .private_segment_fixed_size: 0
    .sgpr_count:     0
    .sgpr_spill_count: 0
    .symbol:         _ZN7rocprim17ROCPRIM_400000_NS6detail17trampoline_kernelINS0_14default_configENS1_25partition_config_selectorILNS1_17partition_subalgoE6EyNS0_10empty_typeEbEEZZNS1_14partition_implILS5_6ELb0ES3_mN6thrust23THRUST_200600_302600_NS6detail15normal_iteratorINSA_10device_ptrIyEEEEPS6_SG_NS0_5tupleIJNSA_16discard_iteratorINSA_11use_defaultEEES6_EEENSH_IJSG_SG_EEES6_PlJNSB_9not_fun_tI7is_trueIyEEEEEE10hipError_tPvRmT3_T4_T5_T6_T7_T9_mT8_P12ihipStream_tbDpT10_ENKUlT_T0_E_clISt17integral_constantIbLb0EES1A_IbLb1EEEEDaS16_S17_EUlS16_E_NS1_11comp_targetILNS1_3genE9ELNS1_11target_archE1100ELNS1_3gpuE3ELNS1_3repE0EEENS1_30default_config_static_selectorELNS0_4arch9wavefront6targetE0EEEvT1_.kd
    .uniform_work_group_size: 1
    .uses_dynamic_stack: false
    .vgpr_count:     0
    .vgpr_spill_count: 0
    .wavefront_size: 32
    .workgroup_processor_mode: 1
  - .args:
      - .offset:         0
        .size:           136
        .value_kind:     by_value
    .group_segment_fixed_size: 0
    .kernarg_segment_align: 8
    .kernarg_segment_size: 136
    .language:       OpenCL C
    .language_version:
      - 2
      - 0
    .max_flat_workgroup_size: 512
    .name:           _ZN7rocprim17ROCPRIM_400000_NS6detail17trampoline_kernelINS0_14default_configENS1_25partition_config_selectorILNS1_17partition_subalgoE6EyNS0_10empty_typeEbEEZZNS1_14partition_implILS5_6ELb0ES3_mN6thrust23THRUST_200600_302600_NS6detail15normal_iteratorINSA_10device_ptrIyEEEEPS6_SG_NS0_5tupleIJNSA_16discard_iteratorINSA_11use_defaultEEES6_EEENSH_IJSG_SG_EEES6_PlJNSB_9not_fun_tI7is_trueIyEEEEEE10hipError_tPvRmT3_T4_T5_T6_T7_T9_mT8_P12ihipStream_tbDpT10_ENKUlT_T0_E_clISt17integral_constantIbLb0EES1A_IbLb1EEEEDaS16_S17_EUlS16_E_NS1_11comp_targetILNS1_3genE8ELNS1_11target_archE1030ELNS1_3gpuE2ELNS1_3repE0EEENS1_30default_config_static_selectorELNS0_4arch9wavefront6targetE0EEEvT1_
    .private_segment_fixed_size: 0
    .sgpr_count:     0
    .sgpr_spill_count: 0
    .symbol:         _ZN7rocprim17ROCPRIM_400000_NS6detail17trampoline_kernelINS0_14default_configENS1_25partition_config_selectorILNS1_17partition_subalgoE6EyNS0_10empty_typeEbEEZZNS1_14partition_implILS5_6ELb0ES3_mN6thrust23THRUST_200600_302600_NS6detail15normal_iteratorINSA_10device_ptrIyEEEEPS6_SG_NS0_5tupleIJNSA_16discard_iteratorINSA_11use_defaultEEES6_EEENSH_IJSG_SG_EEES6_PlJNSB_9not_fun_tI7is_trueIyEEEEEE10hipError_tPvRmT3_T4_T5_T6_T7_T9_mT8_P12ihipStream_tbDpT10_ENKUlT_T0_E_clISt17integral_constantIbLb0EES1A_IbLb1EEEEDaS16_S17_EUlS16_E_NS1_11comp_targetILNS1_3genE8ELNS1_11target_archE1030ELNS1_3gpuE2ELNS1_3repE0EEENS1_30default_config_static_selectorELNS0_4arch9wavefront6targetE0EEEvT1_.kd
    .uniform_work_group_size: 1
    .uses_dynamic_stack: false
    .vgpr_count:     0
    .vgpr_spill_count: 0
    .wavefront_size: 32
    .workgroup_processor_mode: 1
  - .args:
      - .offset:         0
        .size:           120
        .value_kind:     by_value
    .group_segment_fixed_size: 0
    .kernarg_segment_align: 8
    .kernarg_segment_size: 120
    .language:       OpenCL C
    .language_version:
      - 2
      - 0
    .max_flat_workgroup_size: 256
    .name:           _ZN7rocprim17ROCPRIM_400000_NS6detail17trampoline_kernelINS0_14default_configENS1_25partition_config_selectorILNS1_17partition_subalgoE6EjNS0_10empty_typeEbEEZZNS1_14partition_implILS5_6ELb0ES3_mN6thrust23THRUST_200600_302600_NS6detail15normal_iteratorINSA_10device_ptrIjEEEEPS6_SG_NS0_5tupleIJNSA_16discard_iteratorINSA_11use_defaultEEES6_EEENSH_IJSG_SG_EEES6_PlJNSB_9not_fun_tI7is_trueIjEEEEEE10hipError_tPvRmT3_T4_T5_T6_T7_T9_mT8_P12ihipStream_tbDpT10_ENKUlT_T0_E_clISt17integral_constantIbLb0EES1B_EEDaS16_S17_EUlS16_E_NS1_11comp_targetILNS1_3genE0ELNS1_11target_archE4294967295ELNS1_3gpuE0ELNS1_3repE0EEENS1_30default_config_static_selectorELNS0_4arch9wavefront6targetE0EEEvT1_
    .private_segment_fixed_size: 0
    .sgpr_count:     0
    .sgpr_spill_count: 0
    .symbol:         _ZN7rocprim17ROCPRIM_400000_NS6detail17trampoline_kernelINS0_14default_configENS1_25partition_config_selectorILNS1_17partition_subalgoE6EjNS0_10empty_typeEbEEZZNS1_14partition_implILS5_6ELb0ES3_mN6thrust23THRUST_200600_302600_NS6detail15normal_iteratorINSA_10device_ptrIjEEEEPS6_SG_NS0_5tupleIJNSA_16discard_iteratorINSA_11use_defaultEEES6_EEENSH_IJSG_SG_EEES6_PlJNSB_9not_fun_tI7is_trueIjEEEEEE10hipError_tPvRmT3_T4_T5_T6_T7_T9_mT8_P12ihipStream_tbDpT10_ENKUlT_T0_E_clISt17integral_constantIbLb0EES1B_EEDaS16_S17_EUlS16_E_NS1_11comp_targetILNS1_3genE0ELNS1_11target_archE4294967295ELNS1_3gpuE0ELNS1_3repE0EEENS1_30default_config_static_selectorELNS0_4arch9wavefront6targetE0EEEvT1_.kd
    .uniform_work_group_size: 1
    .uses_dynamic_stack: false
    .vgpr_count:     0
    .vgpr_spill_count: 0
    .wavefront_size: 32
    .workgroup_processor_mode: 1
  - .args:
      - .offset:         0
        .size:           120
        .value_kind:     by_value
    .group_segment_fixed_size: 0
    .kernarg_segment_align: 8
    .kernarg_segment_size: 120
    .language:       OpenCL C
    .language_version:
      - 2
      - 0
    .max_flat_workgroup_size: 512
    .name:           _ZN7rocprim17ROCPRIM_400000_NS6detail17trampoline_kernelINS0_14default_configENS1_25partition_config_selectorILNS1_17partition_subalgoE6EjNS0_10empty_typeEbEEZZNS1_14partition_implILS5_6ELb0ES3_mN6thrust23THRUST_200600_302600_NS6detail15normal_iteratorINSA_10device_ptrIjEEEEPS6_SG_NS0_5tupleIJNSA_16discard_iteratorINSA_11use_defaultEEES6_EEENSH_IJSG_SG_EEES6_PlJNSB_9not_fun_tI7is_trueIjEEEEEE10hipError_tPvRmT3_T4_T5_T6_T7_T9_mT8_P12ihipStream_tbDpT10_ENKUlT_T0_E_clISt17integral_constantIbLb0EES1B_EEDaS16_S17_EUlS16_E_NS1_11comp_targetILNS1_3genE5ELNS1_11target_archE942ELNS1_3gpuE9ELNS1_3repE0EEENS1_30default_config_static_selectorELNS0_4arch9wavefront6targetE0EEEvT1_
    .private_segment_fixed_size: 0
    .sgpr_count:     0
    .sgpr_spill_count: 0
    .symbol:         _ZN7rocprim17ROCPRIM_400000_NS6detail17trampoline_kernelINS0_14default_configENS1_25partition_config_selectorILNS1_17partition_subalgoE6EjNS0_10empty_typeEbEEZZNS1_14partition_implILS5_6ELb0ES3_mN6thrust23THRUST_200600_302600_NS6detail15normal_iteratorINSA_10device_ptrIjEEEEPS6_SG_NS0_5tupleIJNSA_16discard_iteratorINSA_11use_defaultEEES6_EEENSH_IJSG_SG_EEES6_PlJNSB_9not_fun_tI7is_trueIjEEEEEE10hipError_tPvRmT3_T4_T5_T6_T7_T9_mT8_P12ihipStream_tbDpT10_ENKUlT_T0_E_clISt17integral_constantIbLb0EES1B_EEDaS16_S17_EUlS16_E_NS1_11comp_targetILNS1_3genE5ELNS1_11target_archE942ELNS1_3gpuE9ELNS1_3repE0EEENS1_30default_config_static_selectorELNS0_4arch9wavefront6targetE0EEEvT1_.kd
    .uniform_work_group_size: 1
    .uses_dynamic_stack: false
    .vgpr_count:     0
    .vgpr_spill_count: 0
    .wavefront_size: 32
    .workgroup_processor_mode: 1
  - .args:
      - .offset:         0
        .size:           120
        .value_kind:     by_value
    .group_segment_fixed_size: 0
    .kernarg_segment_align: 8
    .kernarg_segment_size: 120
    .language:       OpenCL C
    .language_version:
      - 2
      - 0
    .max_flat_workgroup_size: 512
    .name:           _ZN7rocprim17ROCPRIM_400000_NS6detail17trampoline_kernelINS0_14default_configENS1_25partition_config_selectorILNS1_17partition_subalgoE6EjNS0_10empty_typeEbEEZZNS1_14partition_implILS5_6ELb0ES3_mN6thrust23THRUST_200600_302600_NS6detail15normal_iteratorINSA_10device_ptrIjEEEEPS6_SG_NS0_5tupleIJNSA_16discard_iteratorINSA_11use_defaultEEES6_EEENSH_IJSG_SG_EEES6_PlJNSB_9not_fun_tI7is_trueIjEEEEEE10hipError_tPvRmT3_T4_T5_T6_T7_T9_mT8_P12ihipStream_tbDpT10_ENKUlT_T0_E_clISt17integral_constantIbLb0EES1B_EEDaS16_S17_EUlS16_E_NS1_11comp_targetILNS1_3genE4ELNS1_11target_archE910ELNS1_3gpuE8ELNS1_3repE0EEENS1_30default_config_static_selectorELNS0_4arch9wavefront6targetE0EEEvT1_
    .private_segment_fixed_size: 0
    .sgpr_count:     0
    .sgpr_spill_count: 0
    .symbol:         _ZN7rocprim17ROCPRIM_400000_NS6detail17trampoline_kernelINS0_14default_configENS1_25partition_config_selectorILNS1_17partition_subalgoE6EjNS0_10empty_typeEbEEZZNS1_14partition_implILS5_6ELb0ES3_mN6thrust23THRUST_200600_302600_NS6detail15normal_iteratorINSA_10device_ptrIjEEEEPS6_SG_NS0_5tupleIJNSA_16discard_iteratorINSA_11use_defaultEEES6_EEENSH_IJSG_SG_EEES6_PlJNSB_9not_fun_tI7is_trueIjEEEEEE10hipError_tPvRmT3_T4_T5_T6_T7_T9_mT8_P12ihipStream_tbDpT10_ENKUlT_T0_E_clISt17integral_constantIbLb0EES1B_EEDaS16_S17_EUlS16_E_NS1_11comp_targetILNS1_3genE4ELNS1_11target_archE910ELNS1_3gpuE8ELNS1_3repE0EEENS1_30default_config_static_selectorELNS0_4arch9wavefront6targetE0EEEvT1_.kd
    .uniform_work_group_size: 1
    .uses_dynamic_stack: false
    .vgpr_count:     0
    .vgpr_spill_count: 0
    .wavefront_size: 32
    .workgroup_processor_mode: 1
  - .args:
      - .offset:         0
        .size:           120
        .value_kind:     by_value
    .group_segment_fixed_size: 0
    .kernarg_segment_align: 8
    .kernarg_segment_size: 120
    .language:       OpenCL C
    .language_version:
      - 2
      - 0
    .max_flat_workgroup_size: 256
    .name:           _ZN7rocprim17ROCPRIM_400000_NS6detail17trampoline_kernelINS0_14default_configENS1_25partition_config_selectorILNS1_17partition_subalgoE6EjNS0_10empty_typeEbEEZZNS1_14partition_implILS5_6ELb0ES3_mN6thrust23THRUST_200600_302600_NS6detail15normal_iteratorINSA_10device_ptrIjEEEEPS6_SG_NS0_5tupleIJNSA_16discard_iteratorINSA_11use_defaultEEES6_EEENSH_IJSG_SG_EEES6_PlJNSB_9not_fun_tI7is_trueIjEEEEEE10hipError_tPvRmT3_T4_T5_T6_T7_T9_mT8_P12ihipStream_tbDpT10_ENKUlT_T0_E_clISt17integral_constantIbLb0EES1B_EEDaS16_S17_EUlS16_E_NS1_11comp_targetILNS1_3genE3ELNS1_11target_archE908ELNS1_3gpuE7ELNS1_3repE0EEENS1_30default_config_static_selectorELNS0_4arch9wavefront6targetE0EEEvT1_
    .private_segment_fixed_size: 0
    .sgpr_count:     0
    .sgpr_spill_count: 0
    .symbol:         _ZN7rocprim17ROCPRIM_400000_NS6detail17trampoline_kernelINS0_14default_configENS1_25partition_config_selectorILNS1_17partition_subalgoE6EjNS0_10empty_typeEbEEZZNS1_14partition_implILS5_6ELb0ES3_mN6thrust23THRUST_200600_302600_NS6detail15normal_iteratorINSA_10device_ptrIjEEEEPS6_SG_NS0_5tupleIJNSA_16discard_iteratorINSA_11use_defaultEEES6_EEENSH_IJSG_SG_EEES6_PlJNSB_9not_fun_tI7is_trueIjEEEEEE10hipError_tPvRmT3_T4_T5_T6_T7_T9_mT8_P12ihipStream_tbDpT10_ENKUlT_T0_E_clISt17integral_constantIbLb0EES1B_EEDaS16_S17_EUlS16_E_NS1_11comp_targetILNS1_3genE3ELNS1_11target_archE908ELNS1_3gpuE7ELNS1_3repE0EEENS1_30default_config_static_selectorELNS0_4arch9wavefront6targetE0EEEvT1_.kd
    .uniform_work_group_size: 1
    .uses_dynamic_stack: false
    .vgpr_count:     0
    .vgpr_spill_count: 0
    .wavefront_size: 32
    .workgroup_processor_mode: 1
  - .args:
      - .offset:         0
        .size:           120
        .value_kind:     by_value
    .group_segment_fixed_size: 0
    .kernarg_segment_align: 8
    .kernarg_segment_size: 120
    .language:       OpenCL C
    .language_version:
      - 2
      - 0
    .max_flat_workgroup_size: 192
    .name:           _ZN7rocprim17ROCPRIM_400000_NS6detail17trampoline_kernelINS0_14default_configENS1_25partition_config_selectorILNS1_17partition_subalgoE6EjNS0_10empty_typeEbEEZZNS1_14partition_implILS5_6ELb0ES3_mN6thrust23THRUST_200600_302600_NS6detail15normal_iteratorINSA_10device_ptrIjEEEEPS6_SG_NS0_5tupleIJNSA_16discard_iteratorINSA_11use_defaultEEES6_EEENSH_IJSG_SG_EEES6_PlJNSB_9not_fun_tI7is_trueIjEEEEEE10hipError_tPvRmT3_T4_T5_T6_T7_T9_mT8_P12ihipStream_tbDpT10_ENKUlT_T0_E_clISt17integral_constantIbLb0EES1B_EEDaS16_S17_EUlS16_E_NS1_11comp_targetILNS1_3genE2ELNS1_11target_archE906ELNS1_3gpuE6ELNS1_3repE0EEENS1_30default_config_static_selectorELNS0_4arch9wavefront6targetE0EEEvT1_
    .private_segment_fixed_size: 0
    .sgpr_count:     0
    .sgpr_spill_count: 0
    .symbol:         _ZN7rocprim17ROCPRIM_400000_NS6detail17trampoline_kernelINS0_14default_configENS1_25partition_config_selectorILNS1_17partition_subalgoE6EjNS0_10empty_typeEbEEZZNS1_14partition_implILS5_6ELb0ES3_mN6thrust23THRUST_200600_302600_NS6detail15normal_iteratorINSA_10device_ptrIjEEEEPS6_SG_NS0_5tupleIJNSA_16discard_iteratorINSA_11use_defaultEEES6_EEENSH_IJSG_SG_EEES6_PlJNSB_9not_fun_tI7is_trueIjEEEEEE10hipError_tPvRmT3_T4_T5_T6_T7_T9_mT8_P12ihipStream_tbDpT10_ENKUlT_T0_E_clISt17integral_constantIbLb0EES1B_EEDaS16_S17_EUlS16_E_NS1_11comp_targetILNS1_3genE2ELNS1_11target_archE906ELNS1_3gpuE6ELNS1_3repE0EEENS1_30default_config_static_selectorELNS0_4arch9wavefront6targetE0EEEvT1_.kd
    .uniform_work_group_size: 1
    .uses_dynamic_stack: false
    .vgpr_count:     0
    .vgpr_spill_count: 0
    .wavefront_size: 32
    .workgroup_processor_mode: 1
  - .args:
      - .offset:         0
        .size:           120
        .value_kind:     by_value
    .group_segment_fixed_size: 10768
    .kernarg_segment_align: 8
    .kernarg_segment_size: 120
    .language:       OpenCL C
    .language_version:
      - 2
      - 0
    .max_flat_workgroup_size: 384
    .name:           _ZN7rocprim17ROCPRIM_400000_NS6detail17trampoline_kernelINS0_14default_configENS1_25partition_config_selectorILNS1_17partition_subalgoE6EjNS0_10empty_typeEbEEZZNS1_14partition_implILS5_6ELb0ES3_mN6thrust23THRUST_200600_302600_NS6detail15normal_iteratorINSA_10device_ptrIjEEEEPS6_SG_NS0_5tupleIJNSA_16discard_iteratorINSA_11use_defaultEEES6_EEENSH_IJSG_SG_EEES6_PlJNSB_9not_fun_tI7is_trueIjEEEEEE10hipError_tPvRmT3_T4_T5_T6_T7_T9_mT8_P12ihipStream_tbDpT10_ENKUlT_T0_E_clISt17integral_constantIbLb0EES1B_EEDaS16_S17_EUlS16_E_NS1_11comp_targetILNS1_3genE10ELNS1_11target_archE1200ELNS1_3gpuE4ELNS1_3repE0EEENS1_30default_config_static_selectorELNS0_4arch9wavefront6targetE0EEEvT1_
    .private_segment_fixed_size: 0
    .sgpr_count:     23
    .sgpr_spill_count: 0
    .symbol:         _ZN7rocprim17ROCPRIM_400000_NS6detail17trampoline_kernelINS0_14default_configENS1_25partition_config_selectorILNS1_17partition_subalgoE6EjNS0_10empty_typeEbEEZZNS1_14partition_implILS5_6ELb0ES3_mN6thrust23THRUST_200600_302600_NS6detail15normal_iteratorINSA_10device_ptrIjEEEEPS6_SG_NS0_5tupleIJNSA_16discard_iteratorINSA_11use_defaultEEES6_EEENSH_IJSG_SG_EEES6_PlJNSB_9not_fun_tI7is_trueIjEEEEEE10hipError_tPvRmT3_T4_T5_T6_T7_T9_mT8_P12ihipStream_tbDpT10_ENKUlT_T0_E_clISt17integral_constantIbLb0EES1B_EEDaS16_S17_EUlS16_E_NS1_11comp_targetILNS1_3genE10ELNS1_11target_archE1200ELNS1_3gpuE4ELNS1_3repE0EEENS1_30default_config_static_selectorELNS0_4arch9wavefront6targetE0EEEvT1_.kd
    .uniform_work_group_size: 1
    .uses_dynamic_stack: false
    .vgpr_count:     48
    .vgpr_spill_count: 0
    .wavefront_size: 32
    .workgroup_processor_mode: 1
  - .args:
      - .offset:         0
        .size:           120
        .value_kind:     by_value
    .group_segment_fixed_size: 0
    .kernarg_segment_align: 8
    .kernarg_segment_size: 120
    .language:       OpenCL C
    .language_version:
      - 2
      - 0
    .max_flat_workgroup_size: 128
    .name:           _ZN7rocprim17ROCPRIM_400000_NS6detail17trampoline_kernelINS0_14default_configENS1_25partition_config_selectorILNS1_17partition_subalgoE6EjNS0_10empty_typeEbEEZZNS1_14partition_implILS5_6ELb0ES3_mN6thrust23THRUST_200600_302600_NS6detail15normal_iteratorINSA_10device_ptrIjEEEEPS6_SG_NS0_5tupleIJNSA_16discard_iteratorINSA_11use_defaultEEES6_EEENSH_IJSG_SG_EEES6_PlJNSB_9not_fun_tI7is_trueIjEEEEEE10hipError_tPvRmT3_T4_T5_T6_T7_T9_mT8_P12ihipStream_tbDpT10_ENKUlT_T0_E_clISt17integral_constantIbLb0EES1B_EEDaS16_S17_EUlS16_E_NS1_11comp_targetILNS1_3genE9ELNS1_11target_archE1100ELNS1_3gpuE3ELNS1_3repE0EEENS1_30default_config_static_selectorELNS0_4arch9wavefront6targetE0EEEvT1_
    .private_segment_fixed_size: 0
    .sgpr_count:     0
    .sgpr_spill_count: 0
    .symbol:         _ZN7rocprim17ROCPRIM_400000_NS6detail17trampoline_kernelINS0_14default_configENS1_25partition_config_selectorILNS1_17partition_subalgoE6EjNS0_10empty_typeEbEEZZNS1_14partition_implILS5_6ELb0ES3_mN6thrust23THRUST_200600_302600_NS6detail15normal_iteratorINSA_10device_ptrIjEEEEPS6_SG_NS0_5tupleIJNSA_16discard_iteratorINSA_11use_defaultEEES6_EEENSH_IJSG_SG_EEES6_PlJNSB_9not_fun_tI7is_trueIjEEEEEE10hipError_tPvRmT3_T4_T5_T6_T7_T9_mT8_P12ihipStream_tbDpT10_ENKUlT_T0_E_clISt17integral_constantIbLb0EES1B_EEDaS16_S17_EUlS16_E_NS1_11comp_targetILNS1_3genE9ELNS1_11target_archE1100ELNS1_3gpuE3ELNS1_3repE0EEENS1_30default_config_static_selectorELNS0_4arch9wavefront6targetE0EEEvT1_.kd
    .uniform_work_group_size: 1
    .uses_dynamic_stack: false
    .vgpr_count:     0
    .vgpr_spill_count: 0
    .wavefront_size: 32
    .workgroup_processor_mode: 1
  - .args:
      - .offset:         0
        .size:           120
        .value_kind:     by_value
    .group_segment_fixed_size: 0
    .kernarg_segment_align: 8
    .kernarg_segment_size: 120
    .language:       OpenCL C
    .language_version:
      - 2
      - 0
    .max_flat_workgroup_size: 512
    .name:           _ZN7rocprim17ROCPRIM_400000_NS6detail17trampoline_kernelINS0_14default_configENS1_25partition_config_selectorILNS1_17partition_subalgoE6EjNS0_10empty_typeEbEEZZNS1_14partition_implILS5_6ELb0ES3_mN6thrust23THRUST_200600_302600_NS6detail15normal_iteratorINSA_10device_ptrIjEEEEPS6_SG_NS0_5tupleIJNSA_16discard_iteratorINSA_11use_defaultEEES6_EEENSH_IJSG_SG_EEES6_PlJNSB_9not_fun_tI7is_trueIjEEEEEE10hipError_tPvRmT3_T4_T5_T6_T7_T9_mT8_P12ihipStream_tbDpT10_ENKUlT_T0_E_clISt17integral_constantIbLb0EES1B_EEDaS16_S17_EUlS16_E_NS1_11comp_targetILNS1_3genE8ELNS1_11target_archE1030ELNS1_3gpuE2ELNS1_3repE0EEENS1_30default_config_static_selectorELNS0_4arch9wavefront6targetE0EEEvT1_
    .private_segment_fixed_size: 0
    .sgpr_count:     0
    .sgpr_spill_count: 0
    .symbol:         _ZN7rocprim17ROCPRIM_400000_NS6detail17trampoline_kernelINS0_14default_configENS1_25partition_config_selectorILNS1_17partition_subalgoE6EjNS0_10empty_typeEbEEZZNS1_14partition_implILS5_6ELb0ES3_mN6thrust23THRUST_200600_302600_NS6detail15normal_iteratorINSA_10device_ptrIjEEEEPS6_SG_NS0_5tupleIJNSA_16discard_iteratorINSA_11use_defaultEEES6_EEENSH_IJSG_SG_EEES6_PlJNSB_9not_fun_tI7is_trueIjEEEEEE10hipError_tPvRmT3_T4_T5_T6_T7_T9_mT8_P12ihipStream_tbDpT10_ENKUlT_T0_E_clISt17integral_constantIbLb0EES1B_EEDaS16_S17_EUlS16_E_NS1_11comp_targetILNS1_3genE8ELNS1_11target_archE1030ELNS1_3gpuE2ELNS1_3repE0EEENS1_30default_config_static_selectorELNS0_4arch9wavefront6targetE0EEEvT1_.kd
    .uniform_work_group_size: 1
    .uses_dynamic_stack: false
    .vgpr_count:     0
    .vgpr_spill_count: 0
    .wavefront_size: 32
    .workgroup_processor_mode: 1
  - .args:
      - .offset:         0
        .size:           136
        .value_kind:     by_value
    .group_segment_fixed_size: 0
    .kernarg_segment_align: 8
    .kernarg_segment_size: 136
    .language:       OpenCL C
    .language_version:
      - 2
      - 0
    .max_flat_workgroup_size: 256
    .name:           _ZN7rocprim17ROCPRIM_400000_NS6detail17trampoline_kernelINS0_14default_configENS1_25partition_config_selectorILNS1_17partition_subalgoE6EjNS0_10empty_typeEbEEZZNS1_14partition_implILS5_6ELb0ES3_mN6thrust23THRUST_200600_302600_NS6detail15normal_iteratorINSA_10device_ptrIjEEEEPS6_SG_NS0_5tupleIJNSA_16discard_iteratorINSA_11use_defaultEEES6_EEENSH_IJSG_SG_EEES6_PlJNSB_9not_fun_tI7is_trueIjEEEEEE10hipError_tPvRmT3_T4_T5_T6_T7_T9_mT8_P12ihipStream_tbDpT10_ENKUlT_T0_E_clISt17integral_constantIbLb1EES1B_EEDaS16_S17_EUlS16_E_NS1_11comp_targetILNS1_3genE0ELNS1_11target_archE4294967295ELNS1_3gpuE0ELNS1_3repE0EEENS1_30default_config_static_selectorELNS0_4arch9wavefront6targetE0EEEvT1_
    .private_segment_fixed_size: 0
    .sgpr_count:     0
    .sgpr_spill_count: 0
    .symbol:         _ZN7rocprim17ROCPRIM_400000_NS6detail17trampoline_kernelINS0_14default_configENS1_25partition_config_selectorILNS1_17partition_subalgoE6EjNS0_10empty_typeEbEEZZNS1_14partition_implILS5_6ELb0ES3_mN6thrust23THRUST_200600_302600_NS6detail15normal_iteratorINSA_10device_ptrIjEEEEPS6_SG_NS0_5tupleIJNSA_16discard_iteratorINSA_11use_defaultEEES6_EEENSH_IJSG_SG_EEES6_PlJNSB_9not_fun_tI7is_trueIjEEEEEE10hipError_tPvRmT3_T4_T5_T6_T7_T9_mT8_P12ihipStream_tbDpT10_ENKUlT_T0_E_clISt17integral_constantIbLb1EES1B_EEDaS16_S17_EUlS16_E_NS1_11comp_targetILNS1_3genE0ELNS1_11target_archE4294967295ELNS1_3gpuE0ELNS1_3repE0EEENS1_30default_config_static_selectorELNS0_4arch9wavefront6targetE0EEEvT1_.kd
    .uniform_work_group_size: 1
    .uses_dynamic_stack: false
    .vgpr_count:     0
    .vgpr_spill_count: 0
    .wavefront_size: 32
    .workgroup_processor_mode: 1
  - .args:
      - .offset:         0
        .size:           136
        .value_kind:     by_value
    .group_segment_fixed_size: 0
    .kernarg_segment_align: 8
    .kernarg_segment_size: 136
    .language:       OpenCL C
    .language_version:
      - 2
      - 0
    .max_flat_workgroup_size: 512
    .name:           _ZN7rocprim17ROCPRIM_400000_NS6detail17trampoline_kernelINS0_14default_configENS1_25partition_config_selectorILNS1_17partition_subalgoE6EjNS0_10empty_typeEbEEZZNS1_14partition_implILS5_6ELb0ES3_mN6thrust23THRUST_200600_302600_NS6detail15normal_iteratorINSA_10device_ptrIjEEEEPS6_SG_NS0_5tupleIJNSA_16discard_iteratorINSA_11use_defaultEEES6_EEENSH_IJSG_SG_EEES6_PlJNSB_9not_fun_tI7is_trueIjEEEEEE10hipError_tPvRmT3_T4_T5_T6_T7_T9_mT8_P12ihipStream_tbDpT10_ENKUlT_T0_E_clISt17integral_constantIbLb1EES1B_EEDaS16_S17_EUlS16_E_NS1_11comp_targetILNS1_3genE5ELNS1_11target_archE942ELNS1_3gpuE9ELNS1_3repE0EEENS1_30default_config_static_selectorELNS0_4arch9wavefront6targetE0EEEvT1_
    .private_segment_fixed_size: 0
    .sgpr_count:     0
    .sgpr_spill_count: 0
    .symbol:         _ZN7rocprim17ROCPRIM_400000_NS6detail17trampoline_kernelINS0_14default_configENS1_25partition_config_selectorILNS1_17partition_subalgoE6EjNS0_10empty_typeEbEEZZNS1_14partition_implILS5_6ELb0ES3_mN6thrust23THRUST_200600_302600_NS6detail15normal_iteratorINSA_10device_ptrIjEEEEPS6_SG_NS0_5tupleIJNSA_16discard_iteratorINSA_11use_defaultEEES6_EEENSH_IJSG_SG_EEES6_PlJNSB_9not_fun_tI7is_trueIjEEEEEE10hipError_tPvRmT3_T4_T5_T6_T7_T9_mT8_P12ihipStream_tbDpT10_ENKUlT_T0_E_clISt17integral_constantIbLb1EES1B_EEDaS16_S17_EUlS16_E_NS1_11comp_targetILNS1_3genE5ELNS1_11target_archE942ELNS1_3gpuE9ELNS1_3repE0EEENS1_30default_config_static_selectorELNS0_4arch9wavefront6targetE0EEEvT1_.kd
    .uniform_work_group_size: 1
    .uses_dynamic_stack: false
    .vgpr_count:     0
    .vgpr_spill_count: 0
    .wavefront_size: 32
    .workgroup_processor_mode: 1
  - .args:
      - .offset:         0
        .size:           136
        .value_kind:     by_value
    .group_segment_fixed_size: 0
    .kernarg_segment_align: 8
    .kernarg_segment_size: 136
    .language:       OpenCL C
    .language_version:
      - 2
      - 0
    .max_flat_workgroup_size: 512
    .name:           _ZN7rocprim17ROCPRIM_400000_NS6detail17trampoline_kernelINS0_14default_configENS1_25partition_config_selectorILNS1_17partition_subalgoE6EjNS0_10empty_typeEbEEZZNS1_14partition_implILS5_6ELb0ES3_mN6thrust23THRUST_200600_302600_NS6detail15normal_iteratorINSA_10device_ptrIjEEEEPS6_SG_NS0_5tupleIJNSA_16discard_iteratorINSA_11use_defaultEEES6_EEENSH_IJSG_SG_EEES6_PlJNSB_9not_fun_tI7is_trueIjEEEEEE10hipError_tPvRmT3_T4_T5_T6_T7_T9_mT8_P12ihipStream_tbDpT10_ENKUlT_T0_E_clISt17integral_constantIbLb1EES1B_EEDaS16_S17_EUlS16_E_NS1_11comp_targetILNS1_3genE4ELNS1_11target_archE910ELNS1_3gpuE8ELNS1_3repE0EEENS1_30default_config_static_selectorELNS0_4arch9wavefront6targetE0EEEvT1_
    .private_segment_fixed_size: 0
    .sgpr_count:     0
    .sgpr_spill_count: 0
    .symbol:         _ZN7rocprim17ROCPRIM_400000_NS6detail17trampoline_kernelINS0_14default_configENS1_25partition_config_selectorILNS1_17partition_subalgoE6EjNS0_10empty_typeEbEEZZNS1_14partition_implILS5_6ELb0ES3_mN6thrust23THRUST_200600_302600_NS6detail15normal_iteratorINSA_10device_ptrIjEEEEPS6_SG_NS0_5tupleIJNSA_16discard_iteratorINSA_11use_defaultEEES6_EEENSH_IJSG_SG_EEES6_PlJNSB_9not_fun_tI7is_trueIjEEEEEE10hipError_tPvRmT3_T4_T5_T6_T7_T9_mT8_P12ihipStream_tbDpT10_ENKUlT_T0_E_clISt17integral_constantIbLb1EES1B_EEDaS16_S17_EUlS16_E_NS1_11comp_targetILNS1_3genE4ELNS1_11target_archE910ELNS1_3gpuE8ELNS1_3repE0EEENS1_30default_config_static_selectorELNS0_4arch9wavefront6targetE0EEEvT1_.kd
    .uniform_work_group_size: 1
    .uses_dynamic_stack: false
    .vgpr_count:     0
    .vgpr_spill_count: 0
    .wavefront_size: 32
    .workgroup_processor_mode: 1
  - .args:
      - .offset:         0
        .size:           136
        .value_kind:     by_value
    .group_segment_fixed_size: 0
    .kernarg_segment_align: 8
    .kernarg_segment_size: 136
    .language:       OpenCL C
    .language_version:
      - 2
      - 0
    .max_flat_workgroup_size: 256
    .name:           _ZN7rocprim17ROCPRIM_400000_NS6detail17trampoline_kernelINS0_14default_configENS1_25partition_config_selectorILNS1_17partition_subalgoE6EjNS0_10empty_typeEbEEZZNS1_14partition_implILS5_6ELb0ES3_mN6thrust23THRUST_200600_302600_NS6detail15normal_iteratorINSA_10device_ptrIjEEEEPS6_SG_NS0_5tupleIJNSA_16discard_iteratorINSA_11use_defaultEEES6_EEENSH_IJSG_SG_EEES6_PlJNSB_9not_fun_tI7is_trueIjEEEEEE10hipError_tPvRmT3_T4_T5_T6_T7_T9_mT8_P12ihipStream_tbDpT10_ENKUlT_T0_E_clISt17integral_constantIbLb1EES1B_EEDaS16_S17_EUlS16_E_NS1_11comp_targetILNS1_3genE3ELNS1_11target_archE908ELNS1_3gpuE7ELNS1_3repE0EEENS1_30default_config_static_selectorELNS0_4arch9wavefront6targetE0EEEvT1_
    .private_segment_fixed_size: 0
    .sgpr_count:     0
    .sgpr_spill_count: 0
    .symbol:         _ZN7rocprim17ROCPRIM_400000_NS6detail17trampoline_kernelINS0_14default_configENS1_25partition_config_selectorILNS1_17partition_subalgoE6EjNS0_10empty_typeEbEEZZNS1_14partition_implILS5_6ELb0ES3_mN6thrust23THRUST_200600_302600_NS6detail15normal_iteratorINSA_10device_ptrIjEEEEPS6_SG_NS0_5tupleIJNSA_16discard_iteratorINSA_11use_defaultEEES6_EEENSH_IJSG_SG_EEES6_PlJNSB_9not_fun_tI7is_trueIjEEEEEE10hipError_tPvRmT3_T4_T5_T6_T7_T9_mT8_P12ihipStream_tbDpT10_ENKUlT_T0_E_clISt17integral_constantIbLb1EES1B_EEDaS16_S17_EUlS16_E_NS1_11comp_targetILNS1_3genE3ELNS1_11target_archE908ELNS1_3gpuE7ELNS1_3repE0EEENS1_30default_config_static_selectorELNS0_4arch9wavefront6targetE0EEEvT1_.kd
    .uniform_work_group_size: 1
    .uses_dynamic_stack: false
    .vgpr_count:     0
    .vgpr_spill_count: 0
    .wavefront_size: 32
    .workgroup_processor_mode: 1
  - .args:
      - .offset:         0
        .size:           136
        .value_kind:     by_value
    .group_segment_fixed_size: 0
    .kernarg_segment_align: 8
    .kernarg_segment_size: 136
    .language:       OpenCL C
    .language_version:
      - 2
      - 0
    .max_flat_workgroup_size: 192
    .name:           _ZN7rocprim17ROCPRIM_400000_NS6detail17trampoline_kernelINS0_14default_configENS1_25partition_config_selectorILNS1_17partition_subalgoE6EjNS0_10empty_typeEbEEZZNS1_14partition_implILS5_6ELb0ES3_mN6thrust23THRUST_200600_302600_NS6detail15normal_iteratorINSA_10device_ptrIjEEEEPS6_SG_NS0_5tupleIJNSA_16discard_iteratorINSA_11use_defaultEEES6_EEENSH_IJSG_SG_EEES6_PlJNSB_9not_fun_tI7is_trueIjEEEEEE10hipError_tPvRmT3_T4_T5_T6_T7_T9_mT8_P12ihipStream_tbDpT10_ENKUlT_T0_E_clISt17integral_constantIbLb1EES1B_EEDaS16_S17_EUlS16_E_NS1_11comp_targetILNS1_3genE2ELNS1_11target_archE906ELNS1_3gpuE6ELNS1_3repE0EEENS1_30default_config_static_selectorELNS0_4arch9wavefront6targetE0EEEvT1_
    .private_segment_fixed_size: 0
    .sgpr_count:     0
    .sgpr_spill_count: 0
    .symbol:         _ZN7rocprim17ROCPRIM_400000_NS6detail17trampoline_kernelINS0_14default_configENS1_25partition_config_selectorILNS1_17partition_subalgoE6EjNS0_10empty_typeEbEEZZNS1_14partition_implILS5_6ELb0ES3_mN6thrust23THRUST_200600_302600_NS6detail15normal_iteratorINSA_10device_ptrIjEEEEPS6_SG_NS0_5tupleIJNSA_16discard_iteratorINSA_11use_defaultEEES6_EEENSH_IJSG_SG_EEES6_PlJNSB_9not_fun_tI7is_trueIjEEEEEE10hipError_tPvRmT3_T4_T5_T6_T7_T9_mT8_P12ihipStream_tbDpT10_ENKUlT_T0_E_clISt17integral_constantIbLb1EES1B_EEDaS16_S17_EUlS16_E_NS1_11comp_targetILNS1_3genE2ELNS1_11target_archE906ELNS1_3gpuE6ELNS1_3repE0EEENS1_30default_config_static_selectorELNS0_4arch9wavefront6targetE0EEEvT1_.kd
    .uniform_work_group_size: 1
    .uses_dynamic_stack: false
    .vgpr_count:     0
    .vgpr_spill_count: 0
    .wavefront_size: 32
    .workgroup_processor_mode: 1
  - .args:
      - .offset:         0
        .size:           136
        .value_kind:     by_value
    .group_segment_fixed_size: 0
    .kernarg_segment_align: 8
    .kernarg_segment_size: 136
    .language:       OpenCL C
    .language_version:
      - 2
      - 0
    .max_flat_workgroup_size: 384
    .name:           _ZN7rocprim17ROCPRIM_400000_NS6detail17trampoline_kernelINS0_14default_configENS1_25partition_config_selectorILNS1_17partition_subalgoE6EjNS0_10empty_typeEbEEZZNS1_14partition_implILS5_6ELb0ES3_mN6thrust23THRUST_200600_302600_NS6detail15normal_iteratorINSA_10device_ptrIjEEEEPS6_SG_NS0_5tupleIJNSA_16discard_iteratorINSA_11use_defaultEEES6_EEENSH_IJSG_SG_EEES6_PlJNSB_9not_fun_tI7is_trueIjEEEEEE10hipError_tPvRmT3_T4_T5_T6_T7_T9_mT8_P12ihipStream_tbDpT10_ENKUlT_T0_E_clISt17integral_constantIbLb1EES1B_EEDaS16_S17_EUlS16_E_NS1_11comp_targetILNS1_3genE10ELNS1_11target_archE1200ELNS1_3gpuE4ELNS1_3repE0EEENS1_30default_config_static_selectorELNS0_4arch9wavefront6targetE0EEEvT1_
    .private_segment_fixed_size: 0
    .sgpr_count:     0
    .sgpr_spill_count: 0
    .symbol:         _ZN7rocprim17ROCPRIM_400000_NS6detail17trampoline_kernelINS0_14default_configENS1_25partition_config_selectorILNS1_17partition_subalgoE6EjNS0_10empty_typeEbEEZZNS1_14partition_implILS5_6ELb0ES3_mN6thrust23THRUST_200600_302600_NS6detail15normal_iteratorINSA_10device_ptrIjEEEEPS6_SG_NS0_5tupleIJNSA_16discard_iteratorINSA_11use_defaultEEES6_EEENSH_IJSG_SG_EEES6_PlJNSB_9not_fun_tI7is_trueIjEEEEEE10hipError_tPvRmT3_T4_T5_T6_T7_T9_mT8_P12ihipStream_tbDpT10_ENKUlT_T0_E_clISt17integral_constantIbLb1EES1B_EEDaS16_S17_EUlS16_E_NS1_11comp_targetILNS1_3genE10ELNS1_11target_archE1200ELNS1_3gpuE4ELNS1_3repE0EEENS1_30default_config_static_selectorELNS0_4arch9wavefront6targetE0EEEvT1_.kd
    .uniform_work_group_size: 1
    .uses_dynamic_stack: false
    .vgpr_count:     0
    .vgpr_spill_count: 0
    .wavefront_size: 32
    .workgroup_processor_mode: 1
  - .args:
      - .offset:         0
        .size:           136
        .value_kind:     by_value
    .group_segment_fixed_size: 0
    .kernarg_segment_align: 8
    .kernarg_segment_size: 136
    .language:       OpenCL C
    .language_version:
      - 2
      - 0
    .max_flat_workgroup_size: 128
    .name:           _ZN7rocprim17ROCPRIM_400000_NS6detail17trampoline_kernelINS0_14default_configENS1_25partition_config_selectorILNS1_17partition_subalgoE6EjNS0_10empty_typeEbEEZZNS1_14partition_implILS5_6ELb0ES3_mN6thrust23THRUST_200600_302600_NS6detail15normal_iteratorINSA_10device_ptrIjEEEEPS6_SG_NS0_5tupleIJNSA_16discard_iteratorINSA_11use_defaultEEES6_EEENSH_IJSG_SG_EEES6_PlJNSB_9not_fun_tI7is_trueIjEEEEEE10hipError_tPvRmT3_T4_T5_T6_T7_T9_mT8_P12ihipStream_tbDpT10_ENKUlT_T0_E_clISt17integral_constantIbLb1EES1B_EEDaS16_S17_EUlS16_E_NS1_11comp_targetILNS1_3genE9ELNS1_11target_archE1100ELNS1_3gpuE3ELNS1_3repE0EEENS1_30default_config_static_selectorELNS0_4arch9wavefront6targetE0EEEvT1_
    .private_segment_fixed_size: 0
    .sgpr_count:     0
    .sgpr_spill_count: 0
    .symbol:         _ZN7rocprim17ROCPRIM_400000_NS6detail17trampoline_kernelINS0_14default_configENS1_25partition_config_selectorILNS1_17partition_subalgoE6EjNS0_10empty_typeEbEEZZNS1_14partition_implILS5_6ELb0ES3_mN6thrust23THRUST_200600_302600_NS6detail15normal_iteratorINSA_10device_ptrIjEEEEPS6_SG_NS0_5tupleIJNSA_16discard_iteratorINSA_11use_defaultEEES6_EEENSH_IJSG_SG_EEES6_PlJNSB_9not_fun_tI7is_trueIjEEEEEE10hipError_tPvRmT3_T4_T5_T6_T7_T9_mT8_P12ihipStream_tbDpT10_ENKUlT_T0_E_clISt17integral_constantIbLb1EES1B_EEDaS16_S17_EUlS16_E_NS1_11comp_targetILNS1_3genE9ELNS1_11target_archE1100ELNS1_3gpuE3ELNS1_3repE0EEENS1_30default_config_static_selectorELNS0_4arch9wavefront6targetE0EEEvT1_.kd
    .uniform_work_group_size: 1
    .uses_dynamic_stack: false
    .vgpr_count:     0
    .vgpr_spill_count: 0
    .wavefront_size: 32
    .workgroup_processor_mode: 1
  - .args:
      - .offset:         0
        .size:           136
        .value_kind:     by_value
    .group_segment_fixed_size: 0
    .kernarg_segment_align: 8
    .kernarg_segment_size: 136
    .language:       OpenCL C
    .language_version:
      - 2
      - 0
    .max_flat_workgroup_size: 512
    .name:           _ZN7rocprim17ROCPRIM_400000_NS6detail17trampoline_kernelINS0_14default_configENS1_25partition_config_selectorILNS1_17partition_subalgoE6EjNS0_10empty_typeEbEEZZNS1_14partition_implILS5_6ELb0ES3_mN6thrust23THRUST_200600_302600_NS6detail15normal_iteratorINSA_10device_ptrIjEEEEPS6_SG_NS0_5tupleIJNSA_16discard_iteratorINSA_11use_defaultEEES6_EEENSH_IJSG_SG_EEES6_PlJNSB_9not_fun_tI7is_trueIjEEEEEE10hipError_tPvRmT3_T4_T5_T6_T7_T9_mT8_P12ihipStream_tbDpT10_ENKUlT_T0_E_clISt17integral_constantIbLb1EES1B_EEDaS16_S17_EUlS16_E_NS1_11comp_targetILNS1_3genE8ELNS1_11target_archE1030ELNS1_3gpuE2ELNS1_3repE0EEENS1_30default_config_static_selectorELNS0_4arch9wavefront6targetE0EEEvT1_
    .private_segment_fixed_size: 0
    .sgpr_count:     0
    .sgpr_spill_count: 0
    .symbol:         _ZN7rocprim17ROCPRIM_400000_NS6detail17trampoline_kernelINS0_14default_configENS1_25partition_config_selectorILNS1_17partition_subalgoE6EjNS0_10empty_typeEbEEZZNS1_14partition_implILS5_6ELb0ES3_mN6thrust23THRUST_200600_302600_NS6detail15normal_iteratorINSA_10device_ptrIjEEEEPS6_SG_NS0_5tupleIJNSA_16discard_iteratorINSA_11use_defaultEEES6_EEENSH_IJSG_SG_EEES6_PlJNSB_9not_fun_tI7is_trueIjEEEEEE10hipError_tPvRmT3_T4_T5_T6_T7_T9_mT8_P12ihipStream_tbDpT10_ENKUlT_T0_E_clISt17integral_constantIbLb1EES1B_EEDaS16_S17_EUlS16_E_NS1_11comp_targetILNS1_3genE8ELNS1_11target_archE1030ELNS1_3gpuE2ELNS1_3repE0EEENS1_30default_config_static_selectorELNS0_4arch9wavefront6targetE0EEEvT1_.kd
    .uniform_work_group_size: 1
    .uses_dynamic_stack: false
    .vgpr_count:     0
    .vgpr_spill_count: 0
    .wavefront_size: 32
    .workgroup_processor_mode: 1
  - .args:
      - .offset:         0
        .size:           120
        .value_kind:     by_value
    .group_segment_fixed_size: 0
    .kernarg_segment_align: 8
    .kernarg_segment_size: 120
    .language:       OpenCL C
    .language_version:
      - 2
      - 0
    .max_flat_workgroup_size: 256
    .name:           _ZN7rocprim17ROCPRIM_400000_NS6detail17trampoline_kernelINS0_14default_configENS1_25partition_config_selectorILNS1_17partition_subalgoE6EjNS0_10empty_typeEbEEZZNS1_14partition_implILS5_6ELb0ES3_mN6thrust23THRUST_200600_302600_NS6detail15normal_iteratorINSA_10device_ptrIjEEEEPS6_SG_NS0_5tupleIJNSA_16discard_iteratorINSA_11use_defaultEEES6_EEENSH_IJSG_SG_EEES6_PlJNSB_9not_fun_tI7is_trueIjEEEEEE10hipError_tPvRmT3_T4_T5_T6_T7_T9_mT8_P12ihipStream_tbDpT10_ENKUlT_T0_E_clISt17integral_constantIbLb1EES1A_IbLb0EEEEDaS16_S17_EUlS16_E_NS1_11comp_targetILNS1_3genE0ELNS1_11target_archE4294967295ELNS1_3gpuE0ELNS1_3repE0EEENS1_30default_config_static_selectorELNS0_4arch9wavefront6targetE0EEEvT1_
    .private_segment_fixed_size: 0
    .sgpr_count:     0
    .sgpr_spill_count: 0
    .symbol:         _ZN7rocprim17ROCPRIM_400000_NS6detail17trampoline_kernelINS0_14default_configENS1_25partition_config_selectorILNS1_17partition_subalgoE6EjNS0_10empty_typeEbEEZZNS1_14partition_implILS5_6ELb0ES3_mN6thrust23THRUST_200600_302600_NS6detail15normal_iteratorINSA_10device_ptrIjEEEEPS6_SG_NS0_5tupleIJNSA_16discard_iteratorINSA_11use_defaultEEES6_EEENSH_IJSG_SG_EEES6_PlJNSB_9not_fun_tI7is_trueIjEEEEEE10hipError_tPvRmT3_T4_T5_T6_T7_T9_mT8_P12ihipStream_tbDpT10_ENKUlT_T0_E_clISt17integral_constantIbLb1EES1A_IbLb0EEEEDaS16_S17_EUlS16_E_NS1_11comp_targetILNS1_3genE0ELNS1_11target_archE4294967295ELNS1_3gpuE0ELNS1_3repE0EEENS1_30default_config_static_selectorELNS0_4arch9wavefront6targetE0EEEvT1_.kd
    .uniform_work_group_size: 1
    .uses_dynamic_stack: false
    .vgpr_count:     0
    .vgpr_spill_count: 0
    .wavefront_size: 32
    .workgroup_processor_mode: 1
  - .args:
      - .offset:         0
        .size:           120
        .value_kind:     by_value
    .group_segment_fixed_size: 0
    .kernarg_segment_align: 8
    .kernarg_segment_size: 120
    .language:       OpenCL C
    .language_version:
      - 2
      - 0
    .max_flat_workgroup_size: 512
    .name:           _ZN7rocprim17ROCPRIM_400000_NS6detail17trampoline_kernelINS0_14default_configENS1_25partition_config_selectorILNS1_17partition_subalgoE6EjNS0_10empty_typeEbEEZZNS1_14partition_implILS5_6ELb0ES3_mN6thrust23THRUST_200600_302600_NS6detail15normal_iteratorINSA_10device_ptrIjEEEEPS6_SG_NS0_5tupleIJNSA_16discard_iteratorINSA_11use_defaultEEES6_EEENSH_IJSG_SG_EEES6_PlJNSB_9not_fun_tI7is_trueIjEEEEEE10hipError_tPvRmT3_T4_T5_T6_T7_T9_mT8_P12ihipStream_tbDpT10_ENKUlT_T0_E_clISt17integral_constantIbLb1EES1A_IbLb0EEEEDaS16_S17_EUlS16_E_NS1_11comp_targetILNS1_3genE5ELNS1_11target_archE942ELNS1_3gpuE9ELNS1_3repE0EEENS1_30default_config_static_selectorELNS0_4arch9wavefront6targetE0EEEvT1_
    .private_segment_fixed_size: 0
    .sgpr_count:     0
    .sgpr_spill_count: 0
    .symbol:         _ZN7rocprim17ROCPRIM_400000_NS6detail17trampoline_kernelINS0_14default_configENS1_25partition_config_selectorILNS1_17partition_subalgoE6EjNS0_10empty_typeEbEEZZNS1_14partition_implILS5_6ELb0ES3_mN6thrust23THRUST_200600_302600_NS6detail15normal_iteratorINSA_10device_ptrIjEEEEPS6_SG_NS0_5tupleIJNSA_16discard_iteratorINSA_11use_defaultEEES6_EEENSH_IJSG_SG_EEES6_PlJNSB_9not_fun_tI7is_trueIjEEEEEE10hipError_tPvRmT3_T4_T5_T6_T7_T9_mT8_P12ihipStream_tbDpT10_ENKUlT_T0_E_clISt17integral_constantIbLb1EES1A_IbLb0EEEEDaS16_S17_EUlS16_E_NS1_11comp_targetILNS1_3genE5ELNS1_11target_archE942ELNS1_3gpuE9ELNS1_3repE0EEENS1_30default_config_static_selectorELNS0_4arch9wavefront6targetE0EEEvT1_.kd
    .uniform_work_group_size: 1
    .uses_dynamic_stack: false
    .vgpr_count:     0
    .vgpr_spill_count: 0
    .wavefront_size: 32
    .workgroup_processor_mode: 1
  - .args:
      - .offset:         0
        .size:           120
        .value_kind:     by_value
    .group_segment_fixed_size: 0
    .kernarg_segment_align: 8
    .kernarg_segment_size: 120
    .language:       OpenCL C
    .language_version:
      - 2
      - 0
    .max_flat_workgroup_size: 512
    .name:           _ZN7rocprim17ROCPRIM_400000_NS6detail17trampoline_kernelINS0_14default_configENS1_25partition_config_selectorILNS1_17partition_subalgoE6EjNS0_10empty_typeEbEEZZNS1_14partition_implILS5_6ELb0ES3_mN6thrust23THRUST_200600_302600_NS6detail15normal_iteratorINSA_10device_ptrIjEEEEPS6_SG_NS0_5tupleIJNSA_16discard_iteratorINSA_11use_defaultEEES6_EEENSH_IJSG_SG_EEES6_PlJNSB_9not_fun_tI7is_trueIjEEEEEE10hipError_tPvRmT3_T4_T5_T6_T7_T9_mT8_P12ihipStream_tbDpT10_ENKUlT_T0_E_clISt17integral_constantIbLb1EES1A_IbLb0EEEEDaS16_S17_EUlS16_E_NS1_11comp_targetILNS1_3genE4ELNS1_11target_archE910ELNS1_3gpuE8ELNS1_3repE0EEENS1_30default_config_static_selectorELNS0_4arch9wavefront6targetE0EEEvT1_
    .private_segment_fixed_size: 0
    .sgpr_count:     0
    .sgpr_spill_count: 0
    .symbol:         _ZN7rocprim17ROCPRIM_400000_NS6detail17trampoline_kernelINS0_14default_configENS1_25partition_config_selectorILNS1_17partition_subalgoE6EjNS0_10empty_typeEbEEZZNS1_14partition_implILS5_6ELb0ES3_mN6thrust23THRUST_200600_302600_NS6detail15normal_iteratorINSA_10device_ptrIjEEEEPS6_SG_NS0_5tupleIJNSA_16discard_iteratorINSA_11use_defaultEEES6_EEENSH_IJSG_SG_EEES6_PlJNSB_9not_fun_tI7is_trueIjEEEEEE10hipError_tPvRmT3_T4_T5_T6_T7_T9_mT8_P12ihipStream_tbDpT10_ENKUlT_T0_E_clISt17integral_constantIbLb1EES1A_IbLb0EEEEDaS16_S17_EUlS16_E_NS1_11comp_targetILNS1_3genE4ELNS1_11target_archE910ELNS1_3gpuE8ELNS1_3repE0EEENS1_30default_config_static_selectorELNS0_4arch9wavefront6targetE0EEEvT1_.kd
    .uniform_work_group_size: 1
    .uses_dynamic_stack: false
    .vgpr_count:     0
    .vgpr_spill_count: 0
    .wavefront_size: 32
    .workgroup_processor_mode: 1
  - .args:
      - .offset:         0
        .size:           120
        .value_kind:     by_value
    .group_segment_fixed_size: 0
    .kernarg_segment_align: 8
    .kernarg_segment_size: 120
    .language:       OpenCL C
    .language_version:
      - 2
      - 0
    .max_flat_workgroup_size: 256
    .name:           _ZN7rocprim17ROCPRIM_400000_NS6detail17trampoline_kernelINS0_14default_configENS1_25partition_config_selectorILNS1_17partition_subalgoE6EjNS0_10empty_typeEbEEZZNS1_14partition_implILS5_6ELb0ES3_mN6thrust23THRUST_200600_302600_NS6detail15normal_iteratorINSA_10device_ptrIjEEEEPS6_SG_NS0_5tupleIJNSA_16discard_iteratorINSA_11use_defaultEEES6_EEENSH_IJSG_SG_EEES6_PlJNSB_9not_fun_tI7is_trueIjEEEEEE10hipError_tPvRmT3_T4_T5_T6_T7_T9_mT8_P12ihipStream_tbDpT10_ENKUlT_T0_E_clISt17integral_constantIbLb1EES1A_IbLb0EEEEDaS16_S17_EUlS16_E_NS1_11comp_targetILNS1_3genE3ELNS1_11target_archE908ELNS1_3gpuE7ELNS1_3repE0EEENS1_30default_config_static_selectorELNS0_4arch9wavefront6targetE0EEEvT1_
    .private_segment_fixed_size: 0
    .sgpr_count:     0
    .sgpr_spill_count: 0
    .symbol:         _ZN7rocprim17ROCPRIM_400000_NS6detail17trampoline_kernelINS0_14default_configENS1_25partition_config_selectorILNS1_17partition_subalgoE6EjNS0_10empty_typeEbEEZZNS1_14partition_implILS5_6ELb0ES3_mN6thrust23THRUST_200600_302600_NS6detail15normal_iteratorINSA_10device_ptrIjEEEEPS6_SG_NS0_5tupleIJNSA_16discard_iteratorINSA_11use_defaultEEES6_EEENSH_IJSG_SG_EEES6_PlJNSB_9not_fun_tI7is_trueIjEEEEEE10hipError_tPvRmT3_T4_T5_T6_T7_T9_mT8_P12ihipStream_tbDpT10_ENKUlT_T0_E_clISt17integral_constantIbLb1EES1A_IbLb0EEEEDaS16_S17_EUlS16_E_NS1_11comp_targetILNS1_3genE3ELNS1_11target_archE908ELNS1_3gpuE7ELNS1_3repE0EEENS1_30default_config_static_selectorELNS0_4arch9wavefront6targetE0EEEvT1_.kd
    .uniform_work_group_size: 1
    .uses_dynamic_stack: false
    .vgpr_count:     0
    .vgpr_spill_count: 0
    .wavefront_size: 32
    .workgroup_processor_mode: 1
  - .args:
      - .offset:         0
        .size:           120
        .value_kind:     by_value
    .group_segment_fixed_size: 0
    .kernarg_segment_align: 8
    .kernarg_segment_size: 120
    .language:       OpenCL C
    .language_version:
      - 2
      - 0
    .max_flat_workgroup_size: 192
    .name:           _ZN7rocprim17ROCPRIM_400000_NS6detail17trampoline_kernelINS0_14default_configENS1_25partition_config_selectorILNS1_17partition_subalgoE6EjNS0_10empty_typeEbEEZZNS1_14partition_implILS5_6ELb0ES3_mN6thrust23THRUST_200600_302600_NS6detail15normal_iteratorINSA_10device_ptrIjEEEEPS6_SG_NS0_5tupleIJNSA_16discard_iteratorINSA_11use_defaultEEES6_EEENSH_IJSG_SG_EEES6_PlJNSB_9not_fun_tI7is_trueIjEEEEEE10hipError_tPvRmT3_T4_T5_T6_T7_T9_mT8_P12ihipStream_tbDpT10_ENKUlT_T0_E_clISt17integral_constantIbLb1EES1A_IbLb0EEEEDaS16_S17_EUlS16_E_NS1_11comp_targetILNS1_3genE2ELNS1_11target_archE906ELNS1_3gpuE6ELNS1_3repE0EEENS1_30default_config_static_selectorELNS0_4arch9wavefront6targetE0EEEvT1_
    .private_segment_fixed_size: 0
    .sgpr_count:     0
    .sgpr_spill_count: 0
    .symbol:         _ZN7rocprim17ROCPRIM_400000_NS6detail17trampoline_kernelINS0_14default_configENS1_25partition_config_selectorILNS1_17partition_subalgoE6EjNS0_10empty_typeEbEEZZNS1_14partition_implILS5_6ELb0ES3_mN6thrust23THRUST_200600_302600_NS6detail15normal_iteratorINSA_10device_ptrIjEEEEPS6_SG_NS0_5tupleIJNSA_16discard_iteratorINSA_11use_defaultEEES6_EEENSH_IJSG_SG_EEES6_PlJNSB_9not_fun_tI7is_trueIjEEEEEE10hipError_tPvRmT3_T4_T5_T6_T7_T9_mT8_P12ihipStream_tbDpT10_ENKUlT_T0_E_clISt17integral_constantIbLb1EES1A_IbLb0EEEEDaS16_S17_EUlS16_E_NS1_11comp_targetILNS1_3genE2ELNS1_11target_archE906ELNS1_3gpuE6ELNS1_3repE0EEENS1_30default_config_static_selectorELNS0_4arch9wavefront6targetE0EEEvT1_.kd
    .uniform_work_group_size: 1
    .uses_dynamic_stack: false
    .vgpr_count:     0
    .vgpr_spill_count: 0
    .wavefront_size: 32
    .workgroup_processor_mode: 1
  - .args:
      - .offset:         0
        .size:           120
        .value_kind:     by_value
    .group_segment_fixed_size: 0
    .kernarg_segment_align: 8
    .kernarg_segment_size: 120
    .language:       OpenCL C
    .language_version:
      - 2
      - 0
    .max_flat_workgroup_size: 384
    .name:           _ZN7rocprim17ROCPRIM_400000_NS6detail17trampoline_kernelINS0_14default_configENS1_25partition_config_selectorILNS1_17partition_subalgoE6EjNS0_10empty_typeEbEEZZNS1_14partition_implILS5_6ELb0ES3_mN6thrust23THRUST_200600_302600_NS6detail15normal_iteratorINSA_10device_ptrIjEEEEPS6_SG_NS0_5tupleIJNSA_16discard_iteratorINSA_11use_defaultEEES6_EEENSH_IJSG_SG_EEES6_PlJNSB_9not_fun_tI7is_trueIjEEEEEE10hipError_tPvRmT3_T4_T5_T6_T7_T9_mT8_P12ihipStream_tbDpT10_ENKUlT_T0_E_clISt17integral_constantIbLb1EES1A_IbLb0EEEEDaS16_S17_EUlS16_E_NS1_11comp_targetILNS1_3genE10ELNS1_11target_archE1200ELNS1_3gpuE4ELNS1_3repE0EEENS1_30default_config_static_selectorELNS0_4arch9wavefront6targetE0EEEvT1_
    .private_segment_fixed_size: 0
    .sgpr_count:     0
    .sgpr_spill_count: 0
    .symbol:         _ZN7rocprim17ROCPRIM_400000_NS6detail17trampoline_kernelINS0_14default_configENS1_25partition_config_selectorILNS1_17partition_subalgoE6EjNS0_10empty_typeEbEEZZNS1_14partition_implILS5_6ELb0ES3_mN6thrust23THRUST_200600_302600_NS6detail15normal_iteratorINSA_10device_ptrIjEEEEPS6_SG_NS0_5tupleIJNSA_16discard_iteratorINSA_11use_defaultEEES6_EEENSH_IJSG_SG_EEES6_PlJNSB_9not_fun_tI7is_trueIjEEEEEE10hipError_tPvRmT3_T4_T5_T6_T7_T9_mT8_P12ihipStream_tbDpT10_ENKUlT_T0_E_clISt17integral_constantIbLb1EES1A_IbLb0EEEEDaS16_S17_EUlS16_E_NS1_11comp_targetILNS1_3genE10ELNS1_11target_archE1200ELNS1_3gpuE4ELNS1_3repE0EEENS1_30default_config_static_selectorELNS0_4arch9wavefront6targetE0EEEvT1_.kd
    .uniform_work_group_size: 1
    .uses_dynamic_stack: false
    .vgpr_count:     0
    .vgpr_spill_count: 0
    .wavefront_size: 32
    .workgroup_processor_mode: 1
  - .args:
      - .offset:         0
        .size:           120
        .value_kind:     by_value
    .group_segment_fixed_size: 0
    .kernarg_segment_align: 8
    .kernarg_segment_size: 120
    .language:       OpenCL C
    .language_version:
      - 2
      - 0
    .max_flat_workgroup_size: 128
    .name:           _ZN7rocprim17ROCPRIM_400000_NS6detail17trampoline_kernelINS0_14default_configENS1_25partition_config_selectorILNS1_17partition_subalgoE6EjNS0_10empty_typeEbEEZZNS1_14partition_implILS5_6ELb0ES3_mN6thrust23THRUST_200600_302600_NS6detail15normal_iteratorINSA_10device_ptrIjEEEEPS6_SG_NS0_5tupleIJNSA_16discard_iteratorINSA_11use_defaultEEES6_EEENSH_IJSG_SG_EEES6_PlJNSB_9not_fun_tI7is_trueIjEEEEEE10hipError_tPvRmT3_T4_T5_T6_T7_T9_mT8_P12ihipStream_tbDpT10_ENKUlT_T0_E_clISt17integral_constantIbLb1EES1A_IbLb0EEEEDaS16_S17_EUlS16_E_NS1_11comp_targetILNS1_3genE9ELNS1_11target_archE1100ELNS1_3gpuE3ELNS1_3repE0EEENS1_30default_config_static_selectorELNS0_4arch9wavefront6targetE0EEEvT1_
    .private_segment_fixed_size: 0
    .sgpr_count:     0
    .sgpr_spill_count: 0
    .symbol:         _ZN7rocprim17ROCPRIM_400000_NS6detail17trampoline_kernelINS0_14default_configENS1_25partition_config_selectorILNS1_17partition_subalgoE6EjNS0_10empty_typeEbEEZZNS1_14partition_implILS5_6ELb0ES3_mN6thrust23THRUST_200600_302600_NS6detail15normal_iteratorINSA_10device_ptrIjEEEEPS6_SG_NS0_5tupleIJNSA_16discard_iteratorINSA_11use_defaultEEES6_EEENSH_IJSG_SG_EEES6_PlJNSB_9not_fun_tI7is_trueIjEEEEEE10hipError_tPvRmT3_T4_T5_T6_T7_T9_mT8_P12ihipStream_tbDpT10_ENKUlT_T0_E_clISt17integral_constantIbLb1EES1A_IbLb0EEEEDaS16_S17_EUlS16_E_NS1_11comp_targetILNS1_3genE9ELNS1_11target_archE1100ELNS1_3gpuE3ELNS1_3repE0EEENS1_30default_config_static_selectorELNS0_4arch9wavefront6targetE0EEEvT1_.kd
    .uniform_work_group_size: 1
    .uses_dynamic_stack: false
    .vgpr_count:     0
    .vgpr_spill_count: 0
    .wavefront_size: 32
    .workgroup_processor_mode: 1
  - .args:
      - .offset:         0
        .size:           120
        .value_kind:     by_value
    .group_segment_fixed_size: 0
    .kernarg_segment_align: 8
    .kernarg_segment_size: 120
    .language:       OpenCL C
    .language_version:
      - 2
      - 0
    .max_flat_workgroup_size: 512
    .name:           _ZN7rocprim17ROCPRIM_400000_NS6detail17trampoline_kernelINS0_14default_configENS1_25partition_config_selectorILNS1_17partition_subalgoE6EjNS0_10empty_typeEbEEZZNS1_14partition_implILS5_6ELb0ES3_mN6thrust23THRUST_200600_302600_NS6detail15normal_iteratorINSA_10device_ptrIjEEEEPS6_SG_NS0_5tupleIJNSA_16discard_iteratorINSA_11use_defaultEEES6_EEENSH_IJSG_SG_EEES6_PlJNSB_9not_fun_tI7is_trueIjEEEEEE10hipError_tPvRmT3_T4_T5_T6_T7_T9_mT8_P12ihipStream_tbDpT10_ENKUlT_T0_E_clISt17integral_constantIbLb1EES1A_IbLb0EEEEDaS16_S17_EUlS16_E_NS1_11comp_targetILNS1_3genE8ELNS1_11target_archE1030ELNS1_3gpuE2ELNS1_3repE0EEENS1_30default_config_static_selectorELNS0_4arch9wavefront6targetE0EEEvT1_
    .private_segment_fixed_size: 0
    .sgpr_count:     0
    .sgpr_spill_count: 0
    .symbol:         _ZN7rocprim17ROCPRIM_400000_NS6detail17trampoline_kernelINS0_14default_configENS1_25partition_config_selectorILNS1_17partition_subalgoE6EjNS0_10empty_typeEbEEZZNS1_14partition_implILS5_6ELb0ES3_mN6thrust23THRUST_200600_302600_NS6detail15normal_iteratorINSA_10device_ptrIjEEEEPS6_SG_NS0_5tupleIJNSA_16discard_iteratorINSA_11use_defaultEEES6_EEENSH_IJSG_SG_EEES6_PlJNSB_9not_fun_tI7is_trueIjEEEEEE10hipError_tPvRmT3_T4_T5_T6_T7_T9_mT8_P12ihipStream_tbDpT10_ENKUlT_T0_E_clISt17integral_constantIbLb1EES1A_IbLb0EEEEDaS16_S17_EUlS16_E_NS1_11comp_targetILNS1_3genE8ELNS1_11target_archE1030ELNS1_3gpuE2ELNS1_3repE0EEENS1_30default_config_static_selectorELNS0_4arch9wavefront6targetE0EEEvT1_.kd
    .uniform_work_group_size: 1
    .uses_dynamic_stack: false
    .vgpr_count:     0
    .vgpr_spill_count: 0
    .wavefront_size: 32
    .workgroup_processor_mode: 1
  - .args:
      - .offset:         0
        .size:           136
        .value_kind:     by_value
    .group_segment_fixed_size: 0
    .kernarg_segment_align: 8
    .kernarg_segment_size: 136
    .language:       OpenCL C
    .language_version:
      - 2
      - 0
    .max_flat_workgroup_size: 256
    .name:           _ZN7rocprim17ROCPRIM_400000_NS6detail17trampoline_kernelINS0_14default_configENS1_25partition_config_selectorILNS1_17partition_subalgoE6EjNS0_10empty_typeEbEEZZNS1_14partition_implILS5_6ELb0ES3_mN6thrust23THRUST_200600_302600_NS6detail15normal_iteratorINSA_10device_ptrIjEEEEPS6_SG_NS0_5tupleIJNSA_16discard_iteratorINSA_11use_defaultEEES6_EEENSH_IJSG_SG_EEES6_PlJNSB_9not_fun_tI7is_trueIjEEEEEE10hipError_tPvRmT3_T4_T5_T6_T7_T9_mT8_P12ihipStream_tbDpT10_ENKUlT_T0_E_clISt17integral_constantIbLb0EES1A_IbLb1EEEEDaS16_S17_EUlS16_E_NS1_11comp_targetILNS1_3genE0ELNS1_11target_archE4294967295ELNS1_3gpuE0ELNS1_3repE0EEENS1_30default_config_static_selectorELNS0_4arch9wavefront6targetE0EEEvT1_
    .private_segment_fixed_size: 0
    .sgpr_count:     0
    .sgpr_spill_count: 0
    .symbol:         _ZN7rocprim17ROCPRIM_400000_NS6detail17trampoline_kernelINS0_14default_configENS1_25partition_config_selectorILNS1_17partition_subalgoE6EjNS0_10empty_typeEbEEZZNS1_14partition_implILS5_6ELb0ES3_mN6thrust23THRUST_200600_302600_NS6detail15normal_iteratorINSA_10device_ptrIjEEEEPS6_SG_NS0_5tupleIJNSA_16discard_iteratorINSA_11use_defaultEEES6_EEENSH_IJSG_SG_EEES6_PlJNSB_9not_fun_tI7is_trueIjEEEEEE10hipError_tPvRmT3_T4_T5_T6_T7_T9_mT8_P12ihipStream_tbDpT10_ENKUlT_T0_E_clISt17integral_constantIbLb0EES1A_IbLb1EEEEDaS16_S17_EUlS16_E_NS1_11comp_targetILNS1_3genE0ELNS1_11target_archE4294967295ELNS1_3gpuE0ELNS1_3repE0EEENS1_30default_config_static_selectorELNS0_4arch9wavefront6targetE0EEEvT1_.kd
    .uniform_work_group_size: 1
    .uses_dynamic_stack: false
    .vgpr_count:     0
    .vgpr_spill_count: 0
    .wavefront_size: 32
    .workgroup_processor_mode: 1
  - .args:
      - .offset:         0
        .size:           136
        .value_kind:     by_value
    .group_segment_fixed_size: 0
    .kernarg_segment_align: 8
    .kernarg_segment_size: 136
    .language:       OpenCL C
    .language_version:
      - 2
      - 0
    .max_flat_workgroup_size: 512
    .name:           _ZN7rocprim17ROCPRIM_400000_NS6detail17trampoline_kernelINS0_14default_configENS1_25partition_config_selectorILNS1_17partition_subalgoE6EjNS0_10empty_typeEbEEZZNS1_14partition_implILS5_6ELb0ES3_mN6thrust23THRUST_200600_302600_NS6detail15normal_iteratorINSA_10device_ptrIjEEEEPS6_SG_NS0_5tupleIJNSA_16discard_iteratorINSA_11use_defaultEEES6_EEENSH_IJSG_SG_EEES6_PlJNSB_9not_fun_tI7is_trueIjEEEEEE10hipError_tPvRmT3_T4_T5_T6_T7_T9_mT8_P12ihipStream_tbDpT10_ENKUlT_T0_E_clISt17integral_constantIbLb0EES1A_IbLb1EEEEDaS16_S17_EUlS16_E_NS1_11comp_targetILNS1_3genE5ELNS1_11target_archE942ELNS1_3gpuE9ELNS1_3repE0EEENS1_30default_config_static_selectorELNS0_4arch9wavefront6targetE0EEEvT1_
    .private_segment_fixed_size: 0
    .sgpr_count:     0
    .sgpr_spill_count: 0
    .symbol:         _ZN7rocprim17ROCPRIM_400000_NS6detail17trampoline_kernelINS0_14default_configENS1_25partition_config_selectorILNS1_17partition_subalgoE6EjNS0_10empty_typeEbEEZZNS1_14partition_implILS5_6ELb0ES3_mN6thrust23THRUST_200600_302600_NS6detail15normal_iteratorINSA_10device_ptrIjEEEEPS6_SG_NS0_5tupleIJNSA_16discard_iteratorINSA_11use_defaultEEES6_EEENSH_IJSG_SG_EEES6_PlJNSB_9not_fun_tI7is_trueIjEEEEEE10hipError_tPvRmT3_T4_T5_T6_T7_T9_mT8_P12ihipStream_tbDpT10_ENKUlT_T0_E_clISt17integral_constantIbLb0EES1A_IbLb1EEEEDaS16_S17_EUlS16_E_NS1_11comp_targetILNS1_3genE5ELNS1_11target_archE942ELNS1_3gpuE9ELNS1_3repE0EEENS1_30default_config_static_selectorELNS0_4arch9wavefront6targetE0EEEvT1_.kd
    .uniform_work_group_size: 1
    .uses_dynamic_stack: false
    .vgpr_count:     0
    .vgpr_spill_count: 0
    .wavefront_size: 32
    .workgroup_processor_mode: 1
  - .args:
      - .offset:         0
        .size:           136
        .value_kind:     by_value
    .group_segment_fixed_size: 0
    .kernarg_segment_align: 8
    .kernarg_segment_size: 136
    .language:       OpenCL C
    .language_version:
      - 2
      - 0
    .max_flat_workgroup_size: 512
    .name:           _ZN7rocprim17ROCPRIM_400000_NS6detail17trampoline_kernelINS0_14default_configENS1_25partition_config_selectorILNS1_17partition_subalgoE6EjNS0_10empty_typeEbEEZZNS1_14partition_implILS5_6ELb0ES3_mN6thrust23THRUST_200600_302600_NS6detail15normal_iteratorINSA_10device_ptrIjEEEEPS6_SG_NS0_5tupleIJNSA_16discard_iteratorINSA_11use_defaultEEES6_EEENSH_IJSG_SG_EEES6_PlJNSB_9not_fun_tI7is_trueIjEEEEEE10hipError_tPvRmT3_T4_T5_T6_T7_T9_mT8_P12ihipStream_tbDpT10_ENKUlT_T0_E_clISt17integral_constantIbLb0EES1A_IbLb1EEEEDaS16_S17_EUlS16_E_NS1_11comp_targetILNS1_3genE4ELNS1_11target_archE910ELNS1_3gpuE8ELNS1_3repE0EEENS1_30default_config_static_selectorELNS0_4arch9wavefront6targetE0EEEvT1_
    .private_segment_fixed_size: 0
    .sgpr_count:     0
    .sgpr_spill_count: 0
    .symbol:         _ZN7rocprim17ROCPRIM_400000_NS6detail17trampoline_kernelINS0_14default_configENS1_25partition_config_selectorILNS1_17partition_subalgoE6EjNS0_10empty_typeEbEEZZNS1_14partition_implILS5_6ELb0ES3_mN6thrust23THRUST_200600_302600_NS6detail15normal_iteratorINSA_10device_ptrIjEEEEPS6_SG_NS0_5tupleIJNSA_16discard_iteratorINSA_11use_defaultEEES6_EEENSH_IJSG_SG_EEES6_PlJNSB_9not_fun_tI7is_trueIjEEEEEE10hipError_tPvRmT3_T4_T5_T6_T7_T9_mT8_P12ihipStream_tbDpT10_ENKUlT_T0_E_clISt17integral_constantIbLb0EES1A_IbLb1EEEEDaS16_S17_EUlS16_E_NS1_11comp_targetILNS1_3genE4ELNS1_11target_archE910ELNS1_3gpuE8ELNS1_3repE0EEENS1_30default_config_static_selectorELNS0_4arch9wavefront6targetE0EEEvT1_.kd
    .uniform_work_group_size: 1
    .uses_dynamic_stack: false
    .vgpr_count:     0
    .vgpr_spill_count: 0
    .wavefront_size: 32
    .workgroup_processor_mode: 1
  - .args:
      - .offset:         0
        .size:           136
        .value_kind:     by_value
    .group_segment_fixed_size: 0
    .kernarg_segment_align: 8
    .kernarg_segment_size: 136
    .language:       OpenCL C
    .language_version:
      - 2
      - 0
    .max_flat_workgroup_size: 256
    .name:           _ZN7rocprim17ROCPRIM_400000_NS6detail17trampoline_kernelINS0_14default_configENS1_25partition_config_selectorILNS1_17partition_subalgoE6EjNS0_10empty_typeEbEEZZNS1_14partition_implILS5_6ELb0ES3_mN6thrust23THRUST_200600_302600_NS6detail15normal_iteratorINSA_10device_ptrIjEEEEPS6_SG_NS0_5tupleIJNSA_16discard_iteratorINSA_11use_defaultEEES6_EEENSH_IJSG_SG_EEES6_PlJNSB_9not_fun_tI7is_trueIjEEEEEE10hipError_tPvRmT3_T4_T5_T6_T7_T9_mT8_P12ihipStream_tbDpT10_ENKUlT_T0_E_clISt17integral_constantIbLb0EES1A_IbLb1EEEEDaS16_S17_EUlS16_E_NS1_11comp_targetILNS1_3genE3ELNS1_11target_archE908ELNS1_3gpuE7ELNS1_3repE0EEENS1_30default_config_static_selectorELNS0_4arch9wavefront6targetE0EEEvT1_
    .private_segment_fixed_size: 0
    .sgpr_count:     0
    .sgpr_spill_count: 0
    .symbol:         _ZN7rocprim17ROCPRIM_400000_NS6detail17trampoline_kernelINS0_14default_configENS1_25partition_config_selectorILNS1_17partition_subalgoE6EjNS0_10empty_typeEbEEZZNS1_14partition_implILS5_6ELb0ES3_mN6thrust23THRUST_200600_302600_NS6detail15normal_iteratorINSA_10device_ptrIjEEEEPS6_SG_NS0_5tupleIJNSA_16discard_iteratorINSA_11use_defaultEEES6_EEENSH_IJSG_SG_EEES6_PlJNSB_9not_fun_tI7is_trueIjEEEEEE10hipError_tPvRmT3_T4_T5_T6_T7_T9_mT8_P12ihipStream_tbDpT10_ENKUlT_T0_E_clISt17integral_constantIbLb0EES1A_IbLb1EEEEDaS16_S17_EUlS16_E_NS1_11comp_targetILNS1_3genE3ELNS1_11target_archE908ELNS1_3gpuE7ELNS1_3repE0EEENS1_30default_config_static_selectorELNS0_4arch9wavefront6targetE0EEEvT1_.kd
    .uniform_work_group_size: 1
    .uses_dynamic_stack: false
    .vgpr_count:     0
    .vgpr_spill_count: 0
    .wavefront_size: 32
    .workgroup_processor_mode: 1
  - .args:
      - .offset:         0
        .size:           136
        .value_kind:     by_value
    .group_segment_fixed_size: 0
    .kernarg_segment_align: 8
    .kernarg_segment_size: 136
    .language:       OpenCL C
    .language_version:
      - 2
      - 0
    .max_flat_workgroup_size: 192
    .name:           _ZN7rocprim17ROCPRIM_400000_NS6detail17trampoline_kernelINS0_14default_configENS1_25partition_config_selectorILNS1_17partition_subalgoE6EjNS0_10empty_typeEbEEZZNS1_14partition_implILS5_6ELb0ES3_mN6thrust23THRUST_200600_302600_NS6detail15normal_iteratorINSA_10device_ptrIjEEEEPS6_SG_NS0_5tupleIJNSA_16discard_iteratorINSA_11use_defaultEEES6_EEENSH_IJSG_SG_EEES6_PlJNSB_9not_fun_tI7is_trueIjEEEEEE10hipError_tPvRmT3_T4_T5_T6_T7_T9_mT8_P12ihipStream_tbDpT10_ENKUlT_T0_E_clISt17integral_constantIbLb0EES1A_IbLb1EEEEDaS16_S17_EUlS16_E_NS1_11comp_targetILNS1_3genE2ELNS1_11target_archE906ELNS1_3gpuE6ELNS1_3repE0EEENS1_30default_config_static_selectorELNS0_4arch9wavefront6targetE0EEEvT1_
    .private_segment_fixed_size: 0
    .sgpr_count:     0
    .sgpr_spill_count: 0
    .symbol:         _ZN7rocprim17ROCPRIM_400000_NS6detail17trampoline_kernelINS0_14default_configENS1_25partition_config_selectorILNS1_17partition_subalgoE6EjNS0_10empty_typeEbEEZZNS1_14partition_implILS5_6ELb0ES3_mN6thrust23THRUST_200600_302600_NS6detail15normal_iteratorINSA_10device_ptrIjEEEEPS6_SG_NS0_5tupleIJNSA_16discard_iteratorINSA_11use_defaultEEES6_EEENSH_IJSG_SG_EEES6_PlJNSB_9not_fun_tI7is_trueIjEEEEEE10hipError_tPvRmT3_T4_T5_T6_T7_T9_mT8_P12ihipStream_tbDpT10_ENKUlT_T0_E_clISt17integral_constantIbLb0EES1A_IbLb1EEEEDaS16_S17_EUlS16_E_NS1_11comp_targetILNS1_3genE2ELNS1_11target_archE906ELNS1_3gpuE6ELNS1_3repE0EEENS1_30default_config_static_selectorELNS0_4arch9wavefront6targetE0EEEvT1_.kd
    .uniform_work_group_size: 1
    .uses_dynamic_stack: false
    .vgpr_count:     0
    .vgpr_spill_count: 0
    .wavefront_size: 32
    .workgroup_processor_mode: 1
  - .args:
      - .offset:         0
        .size:           136
        .value_kind:     by_value
    .group_segment_fixed_size: 10768
    .kernarg_segment_align: 8
    .kernarg_segment_size: 136
    .language:       OpenCL C
    .language_version:
      - 2
      - 0
    .max_flat_workgroup_size: 384
    .name:           _ZN7rocprim17ROCPRIM_400000_NS6detail17trampoline_kernelINS0_14default_configENS1_25partition_config_selectorILNS1_17partition_subalgoE6EjNS0_10empty_typeEbEEZZNS1_14partition_implILS5_6ELb0ES3_mN6thrust23THRUST_200600_302600_NS6detail15normal_iteratorINSA_10device_ptrIjEEEEPS6_SG_NS0_5tupleIJNSA_16discard_iteratorINSA_11use_defaultEEES6_EEENSH_IJSG_SG_EEES6_PlJNSB_9not_fun_tI7is_trueIjEEEEEE10hipError_tPvRmT3_T4_T5_T6_T7_T9_mT8_P12ihipStream_tbDpT10_ENKUlT_T0_E_clISt17integral_constantIbLb0EES1A_IbLb1EEEEDaS16_S17_EUlS16_E_NS1_11comp_targetILNS1_3genE10ELNS1_11target_archE1200ELNS1_3gpuE4ELNS1_3repE0EEENS1_30default_config_static_selectorELNS0_4arch9wavefront6targetE0EEEvT1_
    .private_segment_fixed_size: 0
    .sgpr_count:     20
    .sgpr_spill_count: 0
    .symbol:         _ZN7rocprim17ROCPRIM_400000_NS6detail17trampoline_kernelINS0_14default_configENS1_25partition_config_selectorILNS1_17partition_subalgoE6EjNS0_10empty_typeEbEEZZNS1_14partition_implILS5_6ELb0ES3_mN6thrust23THRUST_200600_302600_NS6detail15normal_iteratorINSA_10device_ptrIjEEEEPS6_SG_NS0_5tupleIJNSA_16discard_iteratorINSA_11use_defaultEEES6_EEENSH_IJSG_SG_EEES6_PlJNSB_9not_fun_tI7is_trueIjEEEEEE10hipError_tPvRmT3_T4_T5_T6_T7_T9_mT8_P12ihipStream_tbDpT10_ENKUlT_T0_E_clISt17integral_constantIbLb0EES1A_IbLb1EEEEDaS16_S17_EUlS16_E_NS1_11comp_targetILNS1_3genE10ELNS1_11target_archE1200ELNS1_3gpuE4ELNS1_3repE0EEENS1_30default_config_static_selectorELNS0_4arch9wavefront6targetE0EEEvT1_.kd
    .uniform_work_group_size: 1
    .uses_dynamic_stack: false
    .vgpr_count:     50
    .vgpr_spill_count: 0
    .wavefront_size: 32
    .workgroup_processor_mode: 1
  - .args:
      - .offset:         0
        .size:           136
        .value_kind:     by_value
    .group_segment_fixed_size: 0
    .kernarg_segment_align: 8
    .kernarg_segment_size: 136
    .language:       OpenCL C
    .language_version:
      - 2
      - 0
    .max_flat_workgroup_size: 128
    .name:           _ZN7rocprim17ROCPRIM_400000_NS6detail17trampoline_kernelINS0_14default_configENS1_25partition_config_selectorILNS1_17partition_subalgoE6EjNS0_10empty_typeEbEEZZNS1_14partition_implILS5_6ELb0ES3_mN6thrust23THRUST_200600_302600_NS6detail15normal_iteratorINSA_10device_ptrIjEEEEPS6_SG_NS0_5tupleIJNSA_16discard_iteratorINSA_11use_defaultEEES6_EEENSH_IJSG_SG_EEES6_PlJNSB_9not_fun_tI7is_trueIjEEEEEE10hipError_tPvRmT3_T4_T5_T6_T7_T9_mT8_P12ihipStream_tbDpT10_ENKUlT_T0_E_clISt17integral_constantIbLb0EES1A_IbLb1EEEEDaS16_S17_EUlS16_E_NS1_11comp_targetILNS1_3genE9ELNS1_11target_archE1100ELNS1_3gpuE3ELNS1_3repE0EEENS1_30default_config_static_selectorELNS0_4arch9wavefront6targetE0EEEvT1_
    .private_segment_fixed_size: 0
    .sgpr_count:     0
    .sgpr_spill_count: 0
    .symbol:         _ZN7rocprim17ROCPRIM_400000_NS6detail17trampoline_kernelINS0_14default_configENS1_25partition_config_selectorILNS1_17partition_subalgoE6EjNS0_10empty_typeEbEEZZNS1_14partition_implILS5_6ELb0ES3_mN6thrust23THRUST_200600_302600_NS6detail15normal_iteratorINSA_10device_ptrIjEEEEPS6_SG_NS0_5tupleIJNSA_16discard_iteratorINSA_11use_defaultEEES6_EEENSH_IJSG_SG_EEES6_PlJNSB_9not_fun_tI7is_trueIjEEEEEE10hipError_tPvRmT3_T4_T5_T6_T7_T9_mT8_P12ihipStream_tbDpT10_ENKUlT_T0_E_clISt17integral_constantIbLb0EES1A_IbLb1EEEEDaS16_S17_EUlS16_E_NS1_11comp_targetILNS1_3genE9ELNS1_11target_archE1100ELNS1_3gpuE3ELNS1_3repE0EEENS1_30default_config_static_selectorELNS0_4arch9wavefront6targetE0EEEvT1_.kd
    .uniform_work_group_size: 1
    .uses_dynamic_stack: false
    .vgpr_count:     0
    .vgpr_spill_count: 0
    .wavefront_size: 32
    .workgroup_processor_mode: 1
  - .args:
      - .offset:         0
        .size:           136
        .value_kind:     by_value
    .group_segment_fixed_size: 0
    .kernarg_segment_align: 8
    .kernarg_segment_size: 136
    .language:       OpenCL C
    .language_version:
      - 2
      - 0
    .max_flat_workgroup_size: 512
    .name:           _ZN7rocprim17ROCPRIM_400000_NS6detail17trampoline_kernelINS0_14default_configENS1_25partition_config_selectorILNS1_17partition_subalgoE6EjNS0_10empty_typeEbEEZZNS1_14partition_implILS5_6ELb0ES3_mN6thrust23THRUST_200600_302600_NS6detail15normal_iteratorINSA_10device_ptrIjEEEEPS6_SG_NS0_5tupleIJNSA_16discard_iteratorINSA_11use_defaultEEES6_EEENSH_IJSG_SG_EEES6_PlJNSB_9not_fun_tI7is_trueIjEEEEEE10hipError_tPvRmT3_T4_T5_T6_T7_T9_mT8_P12ihipStream_tbDpT10_ENKUlT_T0_E_clISt17integral_constantIbLb0EES1A_IbLb1EEEEDaS16_S17_EUlS16_E_NS1_11comp_targetILNS1_3genE8ELNS1_11target_archE1030ELNS1_3gpuE2ELNS1_3repE0EEENS1_30default_config_static_selectorELNS0_4arch9wavefront6targetE0EEEvT1_
    .private_segment_fixed_size: 0
    .sgpr_count:     0
    .sgpr_spill_count: 0
    .symbol:         _ZN7rocprim17ROCPRIM_400000_NS6detail17trampoline_kernelINS0_14default_configENS1_25partition_config_selectorILNS1_17partition_subalgoE6EjNS0_10empty_typeEbEEZZNS1_14partition_implILS5_6ELb0ES3_mN6thrust23THRUST_200600_302600_NS6detail15normal_iteratorINSA_10device_ptrIjEEEEPS6_SG_NS0_5tupleIJNSA_16discard_iteratorINSA_11use_defaultEEES6_EEENSH_IJSG_SG_EEES6_PlJNSB_9not_fun_tI7is_trueIjEEEEEE10hipError_tPvRmT3_T4_T5_T6_T7_T9_mT8_P12ihipStream_tbDpT10_ENKUlT_T0_E_clISt17integral_constantIbLb0EES1A_IbLb1EEEEDaS16_S17_EUlS16_E_NS1_11comp_targetILNS1_3genE8ELNS1_11target_archE1030ELNS1_3gpuE2ELNS1_3repE0EEENS1_30default_config_static_selectorELNS0_4arch9wavefront6targetE0EEEvT1_.kd
    .uniform_work_group_size: 1
    .uses_dynamic_stack: false
    .vgpr_count:     0
    .vgpr_spill_count: 0
    .wavefront_size: 32
    .workgroup_processor_mode: 1
  - .args:
      - .offset:         0
        .size:           120
        .value_kind:     by_value
    .group_segment_fixed_size: 0
    .kernarg_segment_align: 8
    .kernarg_segment_size: 120
    .language:       OpenCL C
    .language_version:
      - 2
      - 0
    .max_flat_workgroup_size: 256
    .name:           _ZN7rocprim17ROCPRIM_400000_NS6detail17trampoline_kernelINS0_14default_configENS1_25partition_config_selectorILNS1_17partition_subalgoE6EtNS0_10empty_typeEbEEZZNS1_14partition_implILS5_6ELb0ES3_mN6thrust23THRUST_200600_302600_NS6detail15normal_iteratorINSA_10device_ptrItEEEEPS6_SG_NS0_5tupleIJNSA_16discard_iteratorINSA_11use_defaultEEES6_EEENSH_IJSG_SG_EEES6_PlJNSB_9not_fun_tI7is_trueItEEEEEE10hipError_tPvRmT3_T4_T5_T6_T7_T9_mT8_P12ihipStream_tbDpT10_ENKUlT_T0_E_clISt17integral_constantIbLb0EES1B_EEDaS16_S17_EUlS16_E_NS1_11comp_targetILNS1_3genE0ELNS1_11target_archE4294967295ELNS1_3gpuE0ELNS1_3repE0EEENS1_30default_config_static_selectorELNS0_4arch9wavefront6targetE0EEEvT1_
    .private_segment_fixed_size: 0
    .sgpr_count:     0
    .sgpr_spill_count: 0
    .symbol:         _ZN7rocprim17ROCPRIM_400000_NS6detail17trampoline_kernelINS0_14default_configENS1_25partition_config_selectorILNS1_17partition_subalgoE6EtNS0_10empty_typeEbEEZZNS1_14partition_implILS5_6ELb0ES3_mN6thrust23THRUST_200600_302600_NS6detail15normal_iteratorINSA_10device_ptrItEEEEPS6_SG_NS0_5tupleIJNSA_16discard_iteratorINSA_11use_defaultEEES6_EEENSH_IJSG_SG_EEES6_PlJNSB_9not_fun_tI7is_trueItEEEEEE10hipError_tPvRmT3_T4_T5_T6_T7_T9_mT8_P12ihipStream_tbDpT10_ENKUlT_T0_E_clISt17integral_constantIbLb0EES1B_EEDaS16_S17_EUlS16_E_NS1_11comp_targetILNS1_3genE0ELNS1_11target_archE4294967295ELNS1_3gpuE0ELNS1_3repE0EEENS1_30default_config_static_selectorELNS0_4arch9wavefront6targetE0EEEvT1_.kd
    .uniform_work_group_size: 1
    .uses_dynamic_stack: false
    .vgpr_count:     0
    .vgpr_spill_count: 0
    .wavefront_size: 32
    .workgroup_processor_mode: 1
  - .args:
      - .offset:         0
        .size:           120
        .value_kind:     by_value
    .group_segment_fixed_size: 0
    .kernarg_segment_align: 8
    .kernarg_segment_size: 120
    .language:       OpenCL C
    .language_version:
      - 2
      - 0
    .max_flat_workgroup_size: 512
    .name:           _ZN7rocprim17ROCPRIM_400000_NS6detail17trampoline_kernelINS0_14default_configENS1_25partition_config_selectorILNS1_17partition_subalgoE6EtNS0_10empty_typeEbEEZZNS1_14partition_implILS5_6ELb0ES3_mN6thrust23THRUST_200600_302600_NS6detail15normal_iteratorINSA_10device_ptrItEEEEPS6_SG_NS0_5tupleIJNSA_16discard_iteratorINSA_11use_defaultEEES6_EEENSH_IJSG_SG_EEES6_PlJNSB_9not_fun_tI7is_trueItEEEEEE10hipError_tPvRmT3_T4_T5_T6_T7_T9_mT8_P12ihipStream_tbDpT10_ENKUlT_T0_E_clISt17integral_constantIbLb0EES1B_EEDaS16_S17_EUlS16_E_NS1_11comp_targetILNS1_3genE5ELNS1_11target_archE942ELNS1_3gpuE9ELNS1_3repE0EEENS1_30default_config_static_selectorELNS0_4arch9wavefront6targetE0EEEvT1_
    .private_segment_fixed_size: 0
    .sgpr_count:     0
    .sgpr_spill_count: 0
    .symbol:         _ZN7rocprim17ROCPRIM_400000_NS6detail17trampoline_kernelINS0_14default_configENS1_25partition_config_selectorILNS1_17partition_subalgoE6EtNS0_10empty_typeEbEEZZNS1_14partition_implILS5_6ELb0ES3_mN6thrust23THRUST_200600_302600_NS6detail15normal_iteratorINSA_10device_ptrItEEEEPS6_SG_NS0_5tupleIJNSA_16discard_iteratorINSA_11use_defaultEEES6_EEENSH_IJSG_SG_EEES6_PlJNSB_9not_fun_tI7is_trueItEEEEEE10hipError_tPvRmT3_T4_T5_T6_T7_T9_mT8_P12ihipStream_tbDpT10_ENKUlT_T0_E_clISt17integral_constantIbLb0EES1B_EEDaS16_S17_EUlS16_E_NS1_11comp_targetILNS1_3genE5ELNS1_11target_archE942ELNS1_3gpuE9ELNS1_3repE0EEENS1_30default_config_static_selectorELNS0_4arch9wavefront6targetE0EEEvT1_.kd
    .uniform_work_group_size: 1
    .uses_dynamic_stack: false
    .vgpr_count:     0
    .vgpr_spill_count: 0
    .wavefront_size: 32
    .workgroup_processor_mode: 1
  - .args:
      - .offset:         0
        .size:           120
        .value_kind:     by_value
    .group_segment_fixed_size: 0
    .kernarg_segment_align: 8
    .kernarg_segment_size: 120
    .language:       OpenCL C
    .language_version:
      - 2
      - 0
    .max_flat_workgroup_size: 256
    .name:           _ZN7rocprim17ROCPRIM_400000_NS6detail17trampoline_kernelINS0_14default_configENS1_25partition_config_selectorILNS1_17partition_subalgoE6EtNS0_10empty_typeEbEEZZNS1_14partition_implILS5_6ELb0ES3_mN6thrust23THRUST_200600_302600_NS6detail15normal_iteratorINSA_10device_ptrItEEEEPS6_SG_NS0_5tupleIJNSA_16discard_iteratorINSA_11use_defaultEEES6_EEENSH_IJSG_SG_EEES6_PlJNSB_9not_fun_tI7is_trueItEEEEEE10hipError_tPvRmT3_T4_T5_T6_T7_T9_mT8_P12ihipStream_tbDpT10_ENKUlT_T0_E_clISt17integral_constantIbLb0EES1B_EEDaS16_S17_EUlS16_E_NS1_11comp_targetILNS1_3genE4ELNS1_11target_archE910ELNS1_3gpuE8ELNS1_3repE0EEENS1_30default_config_static_selectorELNS0_4arch9wavefront6targetE0EEEvT1_
    .private_segment_fixed_size: 0
    .sgpr_count:     0
    .sgpr_spill_count: 0
    .symbol:         _ZN7rocprim17ROCPRIM_400000_NS6detail17trampoline_kernelINS0_14default_configENS1_25partition_config_selectorILNS1_17partition_subalgoE6EtNS0_10empty_typeEbEEZZNS1_14partition_implILS5_6ELb0ES3_mN6thrust23THRUST_200600_302600_NS6detail15normal_iteratorINSA_10device_ptrItEEEEPS6_SG_NS0_5tupleIJNSA_16discard_iteratorINSA_11use_defaultEEES6_EEENSH_IJSG_SG_EEES6_PlJNSB_9not_fun_tI7is_trueItEEEEEE10hipError_tPvRmT3_T4_T5_T6_T7_T9_mT8_P12ihipStream_tbDpT10_ENKUlT_T0_E_clISt17integral_constantIbLb0EES1B_EEDaS16_S17_EUlS16_E_NS1_11comp_targetILNS1_3genE4ELNS1_11target_archE910ELNS1_3gpuE8ELNS1_3repE0EEENS1_30default_config_static_selectorELNS0_4arch9wavefront6targetE0EEEvT1_.kd
    .uniform_work_group_size: 1
    .uses_dynamic_stack: false
    .vgpr_count:     0
    .vgpr_spill_count: 0
    .wavefront_size: 32
    .workgroup_processor_mode: 1
  - .args:
      - .offset:         0
        .size:           120
        .value_kind:     by_value
    .group_segment_fixed_size: 0
    .kernarg_segment_align: 8
    .kernarg_segment_size: 120
    .language:       OpenCL C
    .language_version:
      - 2
      - 0
    .max_flat_workgroup_size: 256
    .name:           _ZN7rocprim17ROCPRIM_400000_NS6detail17trampoline_kernelINS0_14default_configENS1_25partition_config_selectorILNS1_17partition_subalgoE6EtNS0_10empty_typeEbEEZZNS1_14partition_implILS5_6ELb0ES3_mN6thrust23THRUST_200600_302600_NS6detail15normal_iteratorINSA_10device_ptrItEEEEPS6_SG_NS0_5tupleIJNSA_16discard_iteratorINSA_11use_defaultEEES6_EEENSH_IJSG_SG_EEES6_PlJNSB_9not_fun_tI7is_trueItEEEEEE10hipError_tPvRmT3_T4_T5_T6_T7_T9_mT8_P12ihipStream_tbDpT10_ENKUlT_T0_E_clISt17integral_constantIbLb0EES1B_EEDaS16_S17_EUlS16_E_NS1_11comp_targetILNS1_3genE3ELNS1_11target_archE908ELNS1_3gpuE7ELNS1_3repE0EEENS1_30default_config_static_selectorELNS0_4arch9wavefront6targetE0EEEvT1_
    .private_segment_fixed_size: 0
    .sgpr_count:     0
    .sgpr_spill_count: 0
    .symbol:         _ZN7rocprim17ROCPRIM_400000_NS6detail17trampoline_kernelINS0_14default_configENS1_25partition_config_selectorILNS1_17partition_subalgoE6EtNS0_10empty_typeEbEEZZNS1_14partition_implILS5_6ELb0ES3_mN6thrust23THRUST_200600_302600_NS6detail15normal_iteratorINSA_10device_ptrItEEEEPS6_SG_NS0_5tupleIJNSA_16discard_iteratorINSA_11use_defaultEEES6_EEENSH_IJSG_SG_EEES6_PlJNSB_9not_fun_tI7is_trueItEEEEEE10hipError_tPvRmT3_T4_T5_T6_T7_T9_mT8_P12ihipStream_tbDpT10_ENKUlT_T0_E_clISt17integral_constantIbLb0EES1B_EEDaS16_S17_EUlS16_E_NS1_11comp_targetILNS1_3genE3ELNS1_11target_archE908ELNS1_3gpuE7ELNS1_3repE0EEENS1_30default_config_static_selectorELNS0_4arch9wavefront6targetE0EEEvT1_.kd
    .uniform_work_group_size: 1
    .uses_dynamic_stack: false
    .vgpr_count:     0
    .vgpr_spill_count: 0
    .wavefront_size: 32
    .workgroup_processor_mode: 1
  - .args:
      - .offset:         0
        .size:           120
        .value_kind:     by_value
    .group_segment_fixed_size: 0
    .kernarg_segment_align: 8
    .kernarg_segment_size: 120
    .language:       OpenCL C
    .language_version:
      - 2
      - 0
    .max_flat_workgroup_size: 256
    .name:           _ZN7rocprim17ROCPRIM_400000_NS6detail17trampoline_kernelINS0_14default_configENS1_25partition_config_selectorILNS1_17partition_subalgoE6EtNS0_10empty_typeEbEEZZNS1_14partition_implILS5_6ELb0ES3_mN6thrust23THRUST_200600_302600_NS6detail15normal_iteratorINSA_10device_ptrItEEEEPS6_SG_NS0_5tupleIJNSA_16discard_iteratorINSA_11use_defaultEEES6_EEENSH_IJSG_SG_EEES6_PlJNSB_9not_fun_tI7is_trueItEEEEEE10hipError_tPvRmT3_T4_T5_T6_T7_T9_mT8_P12ihipStream_tbDpT10_ENKUlT_T0_E_clISt17integral_constantIbLb0EES1B_EEDaS16_S17_EUlS16_E_NS1_11comp_targetILNS1_3genE2ELNS1_11target_archE906ELNS1_3gpuE6ELNS1_3repE0EEENS1_30default_config_static_selectorELNS0_4arch9wavefront6targetE0EEEvT1_
    .private_segment_fixed_size: 0
    .sgpr_count:     0
    .sgpr_spill_count: 0
    .symbol:         _ZN7rocprim17ROCPRIM_400000_NS6detail17trampoline_kernelINS0_14default_configENS1_25partition_config_selectorILNS1_17partition_subalgoE6EtNS0_10empty_typeEbEEZZNS1_14partition_implILS5_6ELb0ES3_mN6thrust23THRUST_200600_302600_NS6detail15normal_iteratorINSA_10device_ptrItEEEEPS6_SG_NS0_5tupleIJNSA_16discard_iteratorINSA_11use_defaultEEES6_EEENSH_IJSG_SG_EEES6_PlJNSB_9not_fun_tI7is_trueItEEEEEE10hipError_tPvRmT3_T4_T5_T6_T7_T9_mT8_P12ihipStream_tbDpT10_ENKUlT_T0_E_clISt17integral_constantIbLb0EES1B_EEDaS16_S17_EUlS16_E_NS1_11comp_targetILNS1_3genE2ELNS1_11target_archE906ELNS1_3gpuE6ELNS1_3repE0EEENS1_30default_config_static_selectorELNS0_4arch9wavefront6targetE0EEEvT1_.kd
    .uniform_work_group_size: 1
    .uses_dynamic_stack: false
    .vgpr_count:     0
    .vgpr_spill_count: 0
    .wavefront_size: 32
    .workgroup_processor_mode: 1
  - .args:
      - .offset:         0
        .size:           120
        .value_kind:     by_value
    .group_segment_fixed_size: 13840
    .kernarg_segment_align: 8
    .kernarg_segment_size: 120
    .language:       OpenCL C
    .language_version:
      - 2
      - 0
    .max_flat_workgroup_size: 384
    .name:           _ZN7rocprim17ROCPRIM_400000_NS6detail17trampoline_kernelINS0_14default_configENS1_25partition_config_selectorILNS1_17partition_subalgoE6EtNS0_10empty_typeEbEEZZNS1_14partition_implILS5_6ELb0ES3_mN6thrust23THRUST_200600_302600_NS6detail15normal_iteratorINSA_10device_ptrItEEEEPS6_SG_NS0_5tupleIJNSA_16discard_iteratorINSA_11use_defaultEEES6_EEENSH_IJSG_SG_EEES6_PlJNSB_9not_fun_tI7is_trueItEEEEEE10hipError_tPvRmT3_T4_T5_T6_T7_T9_mT8_P12ihipStream_tbDpT10_ENKUlT_T0_E_clISt17integral_constantIbLb0EES1B_EEDaS16_S17_EUlS16_E_NS1_11comp_targetILNS1_3genE10ELNS1_11target_archE1200ELNS1_3gpuE4ELNS1_3repE0EEENS1_30default_config_static_selectorELNS0_4arch9wavefront6targetE0EEEvT1_
    .private_segment_fixed_size: 0
    .sgpr_count:     28
    .sgpr_spill_count: 0
    .symbol:         _ZN7rocprim17ROCPRIM_400000_NS6detail17trampoline_kernelINS0_14default_configENS1_25partition_config_selectorILNS1_17partition_subalgoE6EtNS0_10empty_typeEbEEZZNS1_14partition_implILS5_6ELb0ES3_mN6thrust23THRUST_200600_302600_NS6detail15normal_iteratorINSA_10device_ptrItEEEEPS6_SG_NS0_5tupleIJNSA_16discard_iteratorINSA_11use_defaultEEES6_EEENSH_IJSG_SG_EEES6_PlJNSB_9not_fun_tI7is_trueItEEEEEE10hipError_tPvRmT3_T4_T5_T6_T7_T9_mT8_P12ihipStream_tbDpT10_ENKUlT_T0_E_clISt17integral_constantIbLb0EES1B_EEDaS16_S17_EUlS16_E_NS1_11comp_targetILNS1_3genE10ELNS1_11target_archE1200ELNS1_3gpuE4ELNS1_3repE0EEENS1_30default_config_static_selectorELNS0_4arch9wavefront6targetE0EEEvT1_.kd
    .uniform_work_group_size: 1
    .uses_dynamic_stack: false
    .vgpr_count:     63
    .vgpr_spill_count: 0
    .wavefront_size: 32
    .workgroup_processor_mode: 1
  - .args:
      - .offset:         0
        .size:           120
        .value_kind:     by_value
    .group_segment_fixed_size: 0
    .kernarg_segment_align: 8
    .kernarg_segment_size: 120
    .language:       OpenCL C
    .language_version:
      - 2
      - 0
    .max_flat_workgroup_size: 128
    .name:           _ZN7rocprim17ROCPRIM_400000_NS6detail17trampoline_kernelINS0_14default_configENS1_25partition_config_selectorILNS1_17partition_subalgoE6EtNS0_10empty_typeEbEEZZNS1_14partition_implILS5_6ELb0ES3_mN6thrust23THRUST_200600_302600_NS6detail15normal_iteratorINSA_10device_ptrItEEEEPS6_SG_NS0_5tupleIJNSA_16discard_iteratorINSA_11use_defaultEEES6_EEENSH_IJSG_SG_EEES6_PlJNSB_9not_fun_tI7is_trueItEEEEEE10hipError_tPvRmT3_T4_T5_T6_T7_T9_mT8_P12ihipStream_tbDpT10_ENKUlT_T0_E_clISt17integral_constantIbLb0EES1B_EEDaS16_S17_EUlS16_E_NS1_11comp_targetILNS1_3genE9ELNS1_11target_archE1100ELNS1_3gpuE3ELNS1_3repE0EEENS1_30default_config_static_selectorELNS0_4arch9wavefront6targetE0EEEvT1_
    .private_segment_fixed_size: 0
    .sgpr_count:     0
    .sgpr_spill_count: 0
    .symbol:         _ZN7rocprim17ROCPRIM_400000_NS6detail17trampoline_kernelINS0_14default_configENS1_25partition_config_selectorILNS1_17partition_subalgoE6EtNS0_10empty_typeEbEEZZNS1_14partition_implILS5_6ELb0ES3_mN6thrust23THRUST_200600_302600_NS6detail15normal_iteratorINSA_10device_ptrItEEEEPS6_SG_NS0_5tupleIJNSA_16discard_iteratorINSA_11use_defaultEEES6_EEENSH_IJSG_SG_EEES6_PlJNSB_9not_fun_tI7is_trueItEEEEEE10hipError_tPvRmT3_T4_T5_T6_T7_T9_mT8_P12ihipStream_tbDpT10_ENKUlT_T0_E_clISt17integral_constantIbLb0EES1B_EEDaS16_S17_EUlS16_E_NS1_11comp_targetILNS1_3genE9ELNS1_11target_archE1100ELNS1_3gpuE3ELNS1_3repE0EEENS1_30default_config_static_selectorELNS0_4arch9wavefront6targetE0EEEvT1_.kd
    .uniform_work_group_size: 1
    .uses_dynamic_stack: false
    .vgpr_count:     0
    .vgpr_spill_count: 0
    .wavefront_size: 32
    .workgroup_processor_mode: 1
  - .args:
      - .offset:         0
        .size:           120
        .value_kind:     by_value
    .group_segment_fixed_size: 0
    .kernarg_segment_align: 8
    .kernarg_segment_size: 120
    .language:       OpenCL C
    .language_version:
      - 2
      - 0
    .max_flat_workgroup_size: 256
    .name:           _ZN7rocprim17ROCPRIM_400000_NS6detail17trampoline_kernelINS0_14default_configENS1_25partition_config_selectorILNS1_17partition_subalgoE6EtNS0_10empty_typeEbEEZZNS1_14partition_implILS5_6ELb0ES3_mN6thrust23THRUST_200600_302600_NS6detail15normal_iteratorINSA_10device_ptrItEEEEPS6_SG_NS0_5tupleIJNSA_16discard_iteratorINSA_11use_defaultEEES6_EEENSH_IJSG_SG_EEES6_PlJNSB_9not_fun_tI7is_trueItEEEEEE10hipError_tPvRmT3_T4_T5_T6_T7_T9_mT8_P12ihipStream_tbDpT10_ENKUlT_T0_E_clISt17integral_constantIbLb0EES1B_EEDaS16_S17_EUlS16_E_NS1_11comp_targetILNS1_3genE8ELNS1_11target_archE1030ELNS1_3gpuE2ELNS1_3repE0EEENS1_30default_config_static_selectorELNS0_4arch9wavefront6targetE0EEEvT1_
    .private_segment_fixed_size: 0
    .sgpr_count:     0
    .sgpr_spill_count: 0
    .symbol:         _ZN7rocprim17ROCPRIM_400000_NS6detail17trampoline_kernelINS0_14default_configENS1_25partition_config_selectorILNS1_17partition_subalgoE6EtNS0_10empty_typeEbEEZZNS1_14partition_implILS5_6ELb0ES3_mN6thrust23THRUST_200600_302600_NS6detail15normal_iteratorINSA_10device_ptrItEEEEPS6_SG_NS0_5tupleIJNSA_16discard_iteratorINSA_11use_defaultEEES6_EEENSH_IJSG_SG_EEES6_PlJNSB_9not_fun_tI7is_trueItEEEEEE10hipError_tPvRmT3_T4_T5_T6_T7_T9_mT8_P12ihipStream_tbDpT10_ENKUlT_T0_E_clISt17integral_constantIbLb0EES1B_EEDaS16_S17_EUlS16_E_NS1_11comp_targetILNS1_3genE8ELNS1_11target_archE1030ELNS1_3gpuE2ELNS1_3repE0EEENS1_30default_config_static_selectorELNS0_4arch9wavefront6targetE0EEEvT1_.kd
    .uniform_work_group_size: 1
    .uses_dynamic_stack: false
    .vgpr_count:     0
    .vgpr_spill_count: 0
    .wavefront_size: 32
    .workgroup_processor_mode: 1
  - .args:
      - .offset:         0
        .size:           136
        .value_kind:     by_value
    .group_segment_fixed_size: 0
    .kernarg_segment_align: 8
    .kernarg_segment_size: 136
    .language:       OpenCL C
    .language_version:
      - 2
      - 0
    .max_flat_workgroup_size: 256
    .name:           _ZN7rocprim17ROCPRIM_400000_NS6detail17trampoline_kernelINS0_14default_configENS1_25partition_config_selectorILNS1_17partition_subalgoE6EtNS0_10empty_typeEbEEZZNS1_14partition_implILS5_6ELb0ES3_mN6thrust23THRUST_200600_302600_NS6detail15normal_iteratorINSA_10device_ptrItEEEEPS6_SG_NS0_5tupleIJNSA_16discard_iteratorINSA_11use_defaultEEES6_EEENSH_IJSG_SG_EEES6_PlJNSB_9not_fun_tI7is_trueItEEEEEE10hipError_tPvRmT3_T4_T5_T6_T7_T9_mT8_P12ihipStream_tbDpT10_ENKUlT_T0_E_clISt17integral_constantIbLb1EES1B_EEDaS16_S17_EUlS16_E_NS1_11comp_targetILNS1_3genE0ELNS1_11target_archE4294967295ELNS1_3gpuE0ELNS1_3repE0EEENS1_30default_config_static_selectorELNS0_4arch9wavefront6targetE0EEEvT1_
    .private_segment_fixed_size: 0
    .sgpr_count:     0
    .sgpr_spill_count: 0
    .symbol:         _ZN7rocprim17ROCPRIM_400000_NS6detail17trampoline_kernelINS0_14default_configENS1_25partition_config_selectorILNS1_17partition_subalgoE6EtNS0_10empty_typeEbEEZZNS1_14partition_implILS5_6ELb0ES3_mN6thrust23THRUST_200600_302600_NS6detail15normal_iteratorINSA_10device_ptrItEEEEPS6_SG_NS0_5tupleIJNSA_16discard_iteratorINSA_11use_defaultEEES6_EEENSH_IJSG_SG_EEES6_PlJNSB_9not_fun_tI7is_trueItEEEEEE10hipError_tPvRmT3_T4_T5_T6_T7_T9_mT8_P12ihipStream_tbDpT10_ENKUlT_T0_E_clISt17integral_constantIbLb1EES1B_EEDaS16_S17_EUlS16_E_NS1_11comp_targetILNS1_3genE0ELNS1_11target_archE4294967295ELNS1_3gpuE0ELNS1_3repE0EEENS1_30default_config_static_selectorELNS0_4arch9wavefront6targetE0EEEvT1_.kd
    .uniform_work_group_size: 1
    .uses_dynamic_stack: false
    .vgpr_count:     0
    .vgpr_spill_count: 0
    .wavefront_size: 32
    .workgroup_processor_mode: 1
  - .args:
      - .offset:         0
        .size:           136
        .value_kind:     by_value
    .group_segment_fixed_size: 0
    .kernarg_segment_align: 8
    .kernarg_segment_size: 136
    .language:       OpenCL C
    .language_version:
      - 2
      - 0
    .max_flat_workgroup_size: 512
    .name:           _ZN7rocprim17ROCPRIM_400000_NS6detail17trampoline_kernelINS0_14default_configENS1_25partition_config_selectorILNS1_17partition_subalgoE6EtNS0_10empty_typeEbEEZZNS1_14partition_implILS5_6ELb0ES3_mN6thrust23THRUST_200600_302600_NS6detail15normal_iteratorINSA_10device_ptrItEEEEPS6_SG_NS0_5tupleIJNSA_16discard_iteratorINSA_11use_defaultEEES6_EEENSH_IJSG_SG_EEES6_PlJNSB_9not_fun_tI7is_trueItEEEEEE10hipError_tPvRmT3_T4_T5_T6_T7_T9_mT8_P12ihipStream_tbDpT10_ENKUlT_T0_E_clISt17integral_constantIbLb1EES1B_EEDaS16_S17_EUlS16_E_NS1_11comp_targetILNS1_3genE5ELNS1_11target_archE942ELNS1_3gpuE9ELNS1_3repE0EEENS1_30default_config_static_selectorELNS0_4arch9wavefront6targetE0EEEvT1_
    .private_segment_fixed_size: 0
    .sgpr_count:     0
    .sgpr_spill_count: 0
    .symbol:         _ZN7rocprim17ROCPRIM_400000_NS6detail17trampoline_kernelINS0_14default_configENS1_25partition_config_selectorILNS1_17partition_subalgoE6EtNS0_10empty_typeEbEEZZNS1_14partition_implILS5_6ELb0ES3_mN6thrust23THRUST_200600_302600_NS6detail15normal_iteratorINSA_10device_ptrItEEEEPS6_SG_NS0_5tupleIJNSA_16discard_iteratorINSA_11use_defaultEEES6_EEENSH_IJSG_SG_EEES6_PlJNSB_9not_fun_tI7is_trueItEEEEEE10hipError_tPvRmT3_T4_T5_T6_T7_T9_mT8_P12ihipStream_tbDpT10_ENKUlT_T0_E_clISt17integral_constantIbLb1EES1B_EEDaS16_S17_EUlS16_E_NS1_11comp_targetILNS1_3genE5ELNS1_11target_archE942ELNS1_3gpuE9ELNS1_3repE0EEENS1_30default_config_static_selectorELNS0_4arch9wavefront6targetE0EEEvT1_.kd
    .uniform_work_group_size: 1
    .uses_dynamic_stack: false
    .vgpr_count:     0
    .vgpr_spill_count: 0
    .wavefront_size: 32
    .workgroup_processor_mode: 1
  - .args:
      - .offset:         0
        .size:           136
        .value_kind:     by_value
    .group_segment_fixed_size: 0
    .kernarg_segment_align: 8
    .kernarg_segment_size: 136
    .language:       OpenCL C
    .language_version:
      - 2
      - 0
    .max_flat_workgroup_size: 256
    .name:           _ZN7rocprim17ROCPRIM_400000_NS6detail17trampoline_kernelINS0_14default_configENS1_25partition_config_selectorILNS1_17partition_subalgoE6EtNS0_10empty_typeEbEEZZNS1_14partition_implILS5_6ELb0ES3_mN6thrust23THRUST_200600_302600_NS6detail15normal_iteratorINSA_10device_ptrItEEEEPS6_SG_NS0_5tupleIJNSA_16discard_iteratorINSA_11use_defaultEEES6_EEENSH_IJSG_SG_EEES6_PlJNSB_9not_fun_tI7is_trueItEEEEEE10hipError_tPvRmT3_T4_T5_T6_T7_T9_mT8_P12ihipStream_tbDpT10_ENKUlT_T0_E_clISt17integral_constantIbLb1EES1B_EEDaS16_S17_EUlS16_E_NS1_11comp_targetILNS1_3genE4ELNS1_11target_archE910ELNS1_3gpuE8ELNS1_3repE0EEENS1_30default_config_static_selectorELNS0_4arch9wavefront6targetE0EEEvT1_
    .private_segment_fixed_size: 0
    .sgpr_count:     0
    .sgpr_spill_count: 0
    .symbol:         _ZN7rocprim17ROCPRIM_400000_NS6detail17trampoline_kernelINS0_14default_configENS1_25partition_config_selectorILNS1_17partition_subalgoE6EtNS0_10empty_typeEbEEZZNS1_14partition_implILS5_6ELb0ES3_mN6thrust23THRUST_200600_302600_NS6detail15normal_iteratorINSA_10device_ptrItEEEEPS6_SG_NS0_5tupleIJNSA_16discard_iteratorINSA_11use_defaultEEES6_EEENSH_IJSG_SG_EEES6_PlJNSB_9not_fun_tI7is_trueItEEEEEE10hipError_tPvRmT3_T4_T5_T6_T7_T9_mT8_P12ihipStream_tbDpT10_ENKUlT_T0_E_clISt17integral_constantIbLb1EES1B_EEDaS16_S17_EUlS16_E_NS1_11comp_targetILNS1_3genE4ELNS1_11target_archE910ELNS1_3gpuE8ELNS1_3repE0EEENS1_30default_config_static_selectorELNS0_4arch9wavefront6targetE0EEEvT1_.kd
    .uniform_work_group_size: 1
    .uses_dynamic_stack: false
    .vgpr_count:     0
    .vgpr_spill_count: 0
    .wavefront_size: 32
    .workgroup_processor_mode: 1
  - .args:
      - .offset:         0
        .size:           136
        .value_kind:     by_value
    .group_segment_fixed_size: 0
    .kernarg_segment_align: 8
    .kernarg_segment_size: 136
    .language:       OpenCL C
    .language_version:
      - 2
      - 0
    .max_flat_workgroup_size: 256
    .name:           _ZN7rocprim17ROCPRIM_400000_NS6detail17trampoline_kernelINS0_14default_configENS1_25partition_config_selectorILNS1_17partition_subalgoE6EtNS0_10empty_typeEbEEZZNS1_14partition_implILS5_6ELb0ES3_mN6thrust23THRUST_200600_302600_NS6detail15normal_iteratorINSA_10device_ptrItEEEEPS6_SG_NS0_5tupleIJNSA_16discard_iteratorINSA_11use_defaultEEES6_EEENSH_IJSG_SG_EEES6_PlJNSB_9not_fun_tI7is_trueItEEEEEE10hipError_tPvRmT3_T4_T5_T6_T7_T9_mT8_P12ihipStream_tbDpT10_ENKUlT_T0_E_clISt17integral_constantIbLb1EES1B_EEDaS16_S17_EUlS16_E_NS1_11comp_targetILNS1_3genE3ELNS1_11target_archE908ELNS1_3gpuE7ELNS1_3repE0EEENS1_30default_config_static_selectorELNS0_4arch9wavefront6targetE0EEEvT1_
    .private_segment_fixed_size: 0
    .sgpr_count:     0
    .sgpr_spill_count: 0
    .symbol:         _ZN7rocprim17ROCPRIM_400000_NS6detail17trampoline_kernelINS0_14default_configENS1_25partition_config_selectorILNS1_17partition_subalgoE6EtNS0_10empty_typeEbEEZZNS1_14partition_implILS5_6ELb0ES3_mN6thrust23THRUST_200600_302600_NS6detail15normal_iteratorINSA_10device_ptrItEEEEPS6_SG_NS0_5tupleIJNSA_16discard_iteratorINSA_11use_defaultEEES6_EEENSH_IJSG_SG_EEES6_PlJNSB_9not_fun_tI7is_trueItEEEEEE10hipError_tPvRmT3_T4_T5_T6_T7_T9_mT8_P12ihipStream_tbDpT10_ENKUlT_T0_E_clISt17integral_constantIbLb1EES1B_EEDaS16_S17_EUlS16_E_NS1_11comp_targetILNS1_3genE3ELNS1_11target_archE908ELNS1_3gpuE7ELNS1_3repE0EEENS1_30default_config_static_selectorELNS0_4arch9wavefront6targetE0EEEvT1_.kd
    .uniform_work_group_size: 1
    .uses_dynamic_stack: false
    .vgpr_count:     0
    .vgpr_spill_count: 0
    .wavefront_size: 32
    .workgroup_processor_mode: 1
  - .args:
      - .offset:         0
        .size:           136
        .value_kind:     by_value
    .group_segment_fixed_size: 0
    .kernarg_segment_align: 8
    .kernarg_segment_size: 136
    .language:       OpenCL C
    .language_version:
      - 2
      - 0
    .max_flat_workgroup_size: 256
    .name:           _ZN7rocprim17ROCPRIM_400000_NS6detail17trampoline_kernelINS0_14default_configENS1_25partition_config_selectorILNS1_17partition_subalgoE6EtNS0_10empty_typeEbEEZZNS1_14partition_implILS5_6ELb0ES3_mN6thrust23THRUST_200600_302600_NS6detail15normal_iteratorINSA_10device_ptrItEEEEPS6_SG_NS0_5tupleIJNSA_16discard_iteratorINSA_11use_defaultEEES6_EEENSH_IJSG_SG_EEES6_PlJNSB_9not_fun_tI7is_trueItEEEEEE10hipError_tPvRmT3_T4_T5_T6_T7_T9_mT8_P12ihipStream_tbDpT10_ENKUlT_T0_E_clISt17integral_constantIbLb1EES1B_EEDaS16_S17_EUlS16_E_NS1_11comp_targetILNS1_3genE2ELNS1_11target_archE906ELNS1_3gpuE6ELNS1_3repE0EEENS1_30default_config_static_selectorELNS0_4arch9wavefront6targetE0EEEvT1_
    .private_segment_fixed_size: 0
    .sgpr_count:     0
    .sgpr_spill_count: 0
    .symbol:         _ZN7rocprim17ROCPRIM_400000_NS6detail17trampoline_kernelINS0_14default_configENS1_25partition_config_selectorILNS1_17partition_subalgoE6EtNS0_10empty_typeEbEEZZNS1_14partition_implILS5_6ELb0ES3_mN6thrust23THRUST_200600_302600_NS6detail15normal_iteratorINSA_10device_ptrItEEEEPS6_SG_NS0_5tupleIJNSA_16discard_iteratorINSA_11use_defaultEEES6_EEENSH_IJSG_SG_EEES6_PlJNSB_9not_fun_tI7is_trueItEEEEEE10hipError_tPvRmT3_T4_T5_T6_T7_T9_mT8_P12ihipStream_tbDpT10_ENKUlT_T0_E_clISt17integral_constantIbLb1EES1B_EEDaS16_S17_EUlS16_E_NS1_11comp_targetILNS1_3genE2ELNS1_11target_archE906ELNS1_3gpuE6ELNS1_3repE0EEENS1_30default_config_static_selectorELNS0_4arch9wavefront6targetE0EEEvT1_.kd
    .uniform_work_group_size: 1
    .uses_dynamic_stack: false
    .vgpr_count:     0
    .vgpr_spill_count: 0
    .wavefront_size: 32
    .workgroup_processor_mode: 1
  - .args:
      - .offset:         0
        .size:           136
        .value_kind:     by_value
    .group_segment_fixed_size: 0
    .kernarg_segment_align: 8
    .kernarg_segment_size: 136
    .language:       OpenCL C
    .language_version:
      - 2
      - 0
    .max_flat_workgroup_size: 384
    .name:           _ZN7rocprim17ROCPRIM_400000_NS6detail17trampoline_kernelINS0_14default_configENS1_25partition_config_selectorILNS1_17partition_subalgoE6EtNS0_10empty_typeEbEEZZNS1_14partition_implILS5_6ELb0ES3_mN6thrust23THRUST_200600_302600_NS6detail15normal_iteratorINSA_10device_ptrItEEEEPS6_SG_NS0_5tupleIJNSA_16discard_iteratorINSA_11use_defaultEEES6_EEENSH_IJSG_SG_EEES6_PlJNSB_9not_fun_tI7is_trueItEEEEEE10hipError_tPvRmT3_T4_T5_T6_T7_T9_mT8_P12ihipStream_tbDpT10_ENKUlT_T0_E_clISt17integral_constantIbLb1EES1B_EEDaS16_S17_EUlS16_E_NS1_11comp_targetILNS1_3genE10ELNS1_11target_archE1200ELNS1_3gpuE4ELNS1_3repE0EEENS1_30default_config_static_selectorELNS0_4arch9wavefront6targetE0EEEvT1_
    .private_segment_fixed_size: 0
    .sgpr_count:     0
    .sgpr_spill_count: 0
    .symbol:         _ZN7rocprim17ROCPRIM_400000_NS6detail17trampoline_kernelINS0_14default_configENS1_25partition_config_selectorILNS1_17partition_subalgoE6EtNS0_10empty_typeEbEEZZNS1_14partition_implILS5_6ELb0ES3_mN6thrust23THRUST_200600_302600_NS6detail15normal_iteratorINSA_10device_ptrItEEEEPS6_SG_NS0_5tupleIJNSA_16discard_iteratorINSA_11use_defaultEEES6_EEENSH_IJSG_SG_EEES6_PlJNSB_9not_fun_tI7is_trueItEEEEEE10hipError_tPvRmT3_T4_T5_T6_T7_T9_mT8_P12ihipStream_tbDpT10_ENKUlT_T0_E_clISt17integral_constantIbLb1EES1B_EEDaS16_S17_EUlS16_E_NS1_11comp_targetILNS1_3genE10ELNS1_11target_archE1200ELNS1_3gpuE4ELNS1_3repE0EEENS1_30default_config_static_selectorELNS0_4arch9wavefront6targetE0EEEvT1_.kd
    .uniform_work_group_size: 1
    .uses_dynamic_stack: false
    .vgpr_count:     0
    .vgpr_spill_count: 0
    .wavefront_size: 32
    .workgroup_processor_mode: 1
  - .args:
      - .offset:         0
        .size:           136
        .value_kind:     by_value
    .group_segment_fixed_size: 0
    .kernarg_segment_align: 8
    .kernarg_segment_size: 136
    .language:       OpenCL C
    .language_version:
      - 2
      - 0
    .max_flat_workgroup_size: 128
    .name:           _ZN7rocprim17ROCPRIM_400000_NS6detail17trampoline_kernelINS0_14default_configENS1_25partition_config_selectorILNS1_17partition_subalgoE6EtNS0_10empty_typeEbEEZZNS1_14partition_implILS5_6ELb0ES3_mN6thrust23THRUST_200600_302600_NS6detail15normal_iteratorINSA_10device_ptrItEEEEPS6_SG_NS0_5tupleIJNSA_16discard_iteratorINSA_11use_defaultEEES6_EEENSH_IJSG_SG_EEES6_PlJNSB_9not_fun_tI7is_trueItEEEEEE10hipError_tPvRmT3_T4_T5_T6_T7_T9_mT8_P12ihipStream_tbDpT10_ENKUlT_T0_E_clISt17integral_constantIbLb1EES1B_EEDaS16_S17_EUlS16_E_NS1_11comp_targetILNS1_3genE9ELNS1_11target_archE1100ELNS1_3gpuE3ELNS1_3repE0EEENS1_30default_config_static_selectorELNS0_4arch9wavefront6targetE0EEEvT1_
    .private_segment_fixed_size: 0
    .sgpr_count:     0
    .sgpr_spill_count: 0
    .symbol:         _ZN7rocprim17ROCPRIM_400000_NS6detail17trampoline_kernelINS0_14default_configENS1_25partition_config_selectorILNS1_17partition_subalgoE6EtNS0_10empty_typeEbEEZZNS1_14partition_implILS5_6ELb0ES3_mN6thrust23THRUST_200600_302600_NS6detail15normal_iteratorINSA_10device_ptrItEEEEPS6_SG_NS0_5tupleIJNSA_16discard_iteratorINSA_11use_defaultEEES6_EEENSH_IJSG_SG_EEES6_PlJNSB_9not_fun_tI7is_trueItEEEEEE10hipError_tPvRmT3_T4_T5_T6_T7_T9_mT8_P12ihipStream_tbDpT10_ENKUlT_T0_E_clISt17integral_constantIbLb1EES1B_EEDaS16_S17_EUlS16_E_NS1_11comp_targetILNS1_3genE9ELNS1_11target_archE1100ELNS1_3gpuE3ELNS1_3repE0EEENS1_30default_config_static_selectorELNS0_4arch9wavefront6targetE0EEEvT1_.kd
    .uniform_work_group_size: 1
    .uses_dynamic_stack: false
    .vgpr_count:     0
    .vgpr_spill_count: 0
    .wavefront_size: 32
    .workgroup_processor_mode: 1
  - .args:
      - .offset:         0
        .size:           136
        .value_kind:     by_value
    .group_segment_fixed_size: 0
    .kernarg_segment_align: 8
    .kernarg_segment_size: 136
    .language:       OpenCL C
    .language_version:
      - 2
      - 0
    .max_flat_workgroup_size: 256
    .name:           _ZN7rocprim17ROCPRIM_400000_NS6detail17trampoline_kernelINS0_14default_configENS1_25partition_config_selectorILNS1_17partition_subalgoE6EtNS0_10empty_typeEbEEZZNS1_14partition_implILS5_6ELb0ES3_mN6thrust23THRUST_200600_302600_NS6detail15normal_iteratorINSA_10device_ptrItEEEEPS6_SG_NS0_5tupleIJNSA_16discard_iteratorINSA_11use_defaultEEES6_EEENSH_IJSG_SG_EEES6_PlJNSB_9not_fun_tI7is_trueItEEEEEE10hipError_tPvRmT3_T4_T5_T6_T7_T9_mT8_P12ihipStream_tbDpT10_ENKUlT_T0_E_clISt17integral_constantIbLb1EES1B_EEDaS16_S17_EUlS16_E_NS1_11comp_targetILNS1_3genE8ELNS1_11target_archE1030ELNS1_3gpuE2ELNS1_3repE0EEENS1_30default_config_static_selectorELNS0_4arch9wavefront6targetE0EEEvT1_
    .private_segment_fixed_size: 0
    .sgpr_count:     0
    .sgpr_spill_count: 0
    .symbol:         _ZN7rocprim17ROCPRIM_400000_NS6detail17trampoline_kernelINS0_14default_configENS1_25partition_config_selectorILNS1_17partition_subalgoE6EtNS0_10empty_typeEbEEZZNS1_14partition_implILS5_6ELb0ES3_mN6thrust23THRUST_200600_302600_NS6detail15normal_iteratorINSA_10device_ptrItEEEEPS6_SG_NS0_5tupleIJNSA_16discard_iteratorINSA_11use_defaultEEES6_EEENSH_IJSG_SG_EEES6_PlJNSB_9not_fun_tI7is_trueItEEEEEE10hipError_tPvRmT3_T4_T5_T6_T7_T9_mT8_P12ihipStream_tbDpT10_ENKUlT_T0_E_clISt17integral_constantIbLb1EES1B_EEDaS16_S17_EUlS16_E_NS1_11comp_targetILNS1_3genE8ELNS1_11target_archE1030ELNS1_3gpuE2ELNS1_3repE0EEENS1_30default_config_static_selectorELNS0_4arch9wavefront6targetE0EEEvT1_.kd
    .uniform_work_group_size: 1
    .uses_dynamic_stack: false
    .vgpr_count:     0
    .vgpr_spill_count: 0
    .wavefront_size: 32
    .workgroup_processor_mode: 1
  - .args:
      - .offset:         0
        .size:           120
        .value_kind:     by_value
    .group_segment_fixed_size: 0
    .kernarg_segment_align: 8
    .kernarg_segment_size: 120
    .language:       OpenCL C
    .language_version:
      - 2
      - 0
    .max_flat_workgroup_size: 256
    .name:           _ZN7rocprim17ROCPRIM_400000_NS6detail17trampoline_kernelINS0_14default_configENS1_25partition_config_selectorILNS1_17partition_subalgoE6EtNS0_10empty_typeEbEEZZNS1_14partition_implILS5_6ELb0ES3_mN6thrust23THRUST_200600_302600_NS6detail15normal_iteratorINSA_10device_ptrItEEEEPS6_SG_NS0_5tupleIJNSA_16discard_iteratorINSA_11use_defaultEEES6_EEENSH_IJSG_SG_EEES6_PlJNSB_9not_fun_tI7is_trueItEEEEEE10hipError_tPvRmT3_T4_T5_T6_T7_T9_mT8_P12ihipStream_tbDpT10_ENKUlT_T0_E_clISt17integral_constantIbLb1EES1A_IbLb0EEEEDaS16_S17_EUlS16_E_NS1_11comp_targetILNS1_3genE0ELNS1_11target_archE4294967295ELNS1_3gpuE0ELNS1_3repE0EEENS1_30default_config_static_selectorELNS0_4arch9wavefront6targetE0EEEvT1_
    .private_segment_fixed_size: 0
    .sgpr_count:     0
    .sgpr_spill_count: 0
    .symbol:         _ZN7rocprim17ROCPRIM_400000_NS6detail17trampoline_kernelINS0_14default_configENS1_25partition_config_selectorILNS1_17partition_subalgoE6EtNS0_10empty_typeEbEEZZNS1_14partition_implILS5_6ELb0ES3_mN6thrust23THRUST_200600_302600_NS6detail15normal_iteratorINSA_10device_ptrItEEEEPS6_SG_NS0_5tupleIJNSA_16discard_iteratorINSA_11use_defaultEEES6_EEENSH_IJSG_SG_EEES6_PlJNSB_9not_fun_tI7is_trueItEEEEEE10hipError_tPvRmT3_T4_T5_T6_T7_T9_mT8_P12ihipStream_tbDpT10_ENKUlT_T0_E_clISt17integral_constantIbLb1EES1A_IbLb0EEEEDaS16_S17_EUlS16_E_NS1_11comp_targetILNS1_3genE0ELNS1_11target_archE4294967295ELNS1_3gpuE0ELNS1_3repE0EEENS1_30default_config_static_selectorELNS0_4arch9wavefront6targetE0EEEvT1_.kd
    .uniform_work_group_size: 1
    .uses_dynamic_stack: false
    .vgpr_count:     0
    .vgpr_spill_count: 0
    .wavefront_size: 32
    .workgroup_processor_mode: 1
  - .args:
      - .offset:         0
        .size:           120
        .value_kind:     by_value
    .group_segment_fixed_size: 0
    .kernarg_segment_align: 8
    .kernarg_segment_size: 120
    .language:       OpenCL C
    .language_version:
      - 2
      - 0
    .max_flat_workgroup_size: 512
    .name:           _ZN7rocprim17ROCPRIM_400000_NS6detail17trampoline_kernelINS0_14default_configENS1_25partition_config_selectorILNS1_17partition_subalgoE6EtNS0_10empty_typeEbEEZZNS1_14partition_implILS5_6ELb0ES3_mN6thrust23THRUST_200600_302600_NS6detail15normal_iteratorINSA_10device_ptrItEEEEPS6_SG_NS0_5tupleIJNSA_16discard_iteratorINSA_11use_defaultEEES6_EEENSH_IJSG_SG_EEES6_PlJNSB_9not_fun_tI7is_trueItEEEEEE10hipError_tPvRmT3_T4_T5_T6_T7_T9_mT8_P12ihipStream_tbDpT10_ENKUlT_T0_E_clISt17integral_constantIbLb1EES1A_IbLb0EEEEDaS16_S17_EUlS16_E_NS1_11comp_targetILNS1_3genE5ELNS1_11target_archE942ELNS1_3gpuE9ELNS1_3repE0EEENS1_30default_config_static_selectorELNS0_4arch9wavefront6targetE0EEEvT1_
    .private_segment_fixed_size: 0
    .sgpr_count:     0
    .sgpr_spill_count: 0
    .symbol:         _ZN7rocprim17ROCPRIM_400000_NS6detail17trampoline_kernelINS0_14default_configENS1_25partition_config_selectorILNS1_17partition_subalgoE6EtNS0_10empty_typeEbEEZZNS1_14partition_implILS5_6ELb0ES3_mN6thrust23THRUST_200600_302600_NS6detail15normal_iteratorINSA_10device_ptrItEEEEPS6_SG_NS0_5tupleIJNSA_16discard_iteratorINSA_11use_defaultEEES6_EEENSH_IJSG_SG_EEES6_PlJNSB_9not_fun_tI7is_trueItEEEEEE10hipError_tPvRmT3_T4_T5_T6_T7_T9_mT8_P12ihipStream_tbDpT10_ENKUlT_T0_E_clISt17integral_constantIbLb1EES1A_IbLb0EEEEDaS16_S17_EUlS16_E_NS1_11comp_targetILNS1_3genE5ELNS1_11target_archE942ELNS1_3gpuE9ELNS1_3repE0EEENS1_30default_config_static_selectorELNS0_4arch9wavefront6targetE0EEEvT1_.kd
    .uniform_work_group_size: 1
    .uses_dynamic_stack: false
    .vgpr_count:     0
    .vgpr_spill_count: 0
    .wavefront_size: 32
    .workgroup_processor_mode: 1
  - .args:
      - .offset:         0
        .size:           120
        .value_kind:     by_value
    .group_segment_fixed_size: 0
    .kernarg_segment_align: 8
    .kernarg_segment_size: 120
    .language:       OpenCL C
    .language_version:
      - 2
      - 0
    .max_flat_workgroup_size: 256
    .name:           _ZN7rocprim17ROCPRIM_400000_NS6detail17trampoline_kernelINS0_14default_configENS1_25partition_config_selectorILNS1_17partition_subalgoE6EtNS0_10empty_typeEbEEZZNS1_14partition_implILS5_6ELb0ES3_mN6thrust23THRUST_200600_302600_NS6detail15normal_iteratorINSA_10device_ptrItEEEEPS6_SG_NS0_5tupleIJNSA_16discard_iteratorINSA_11use_defaultEEES6_EEENSH_IJSG_SG_EEES6_PlJNSB_9not_fun_tI7is_trueItEEEEEE10hipError_tPvRmT3_T4_T5_T6_T7_T9_mT8_P12ihipStream_tbDpT10_ENKUlT_T0_E_clISt17integral_constantIbLb1EES1A_IbLb0EEEEDaS16_S17_EUlS16_E_NS1_11comp_targetILNS1_3genE4ELNS1_11target_archE910ELNS1_3gpuE8ELNS1_3repE0EEENS1_30default_config_static_selectorELNS0_4arch9wavefront6targetE0EEEvT1_
    .private_segment_fixed_size: 0
    .sgpr_count:     0
    .sgpr_spill_count: 0
    .symbol:         _ZN7rocprim17ROCPRIM_400000_NS6detail17trampoline_kernelINS0_14default_configENS1_25partition_config_selectorILNS1_17partition_subalgoE6EtNS0_10empty_typeEbEEZZNS1_14partition_implILS5_6ELb0ES3_mN6thrust23THRUST_200600_302600_NS6detail15normal_iteratorINSA_10device_ptrItEEEEPS6_SG_NS0_5tupleIJNSA_16discard_iteratorINSA_11use_defaultEEES6_EEENSH_IJSG_SG_EEES6_PlJNSB_9not_fun_tI7is_trueItEEEEEE10hipError_tPvRmT3_T4_T5_T6_T7_T9_mT8_P12ihipStream_tbDpT10_ENKUlT_T0_E_clISt17integral_constantIbLb1EES1A_IbLb0EEEEDaS16_S17_EUlS16_E_NS1_11comp_targetILNS1_3genE4ELNS1_11target_archE910ELNS1_3gpuE8ELNS1_3repE0EEENS1_30default_config_static_selectorELNS0_4arch9wavefront6targetE0EEEvT1_.kd
    .uniform_work_group_size: 1
    .uses_dynamic_stack: false
    .vgpr_count:     0
    .vgpr_spill_count: 0
    .wavefront_size: 32
    .workgroup_processor_mode: 1
  - .args:
      - .offset:         0
        .size:           120
        .value_kind:     by_value
    .group_segment_fixed_size: 0
    .kernarg_segment_align: 8
    .kernarg_segment_size: 120
    .language:       OpenCL C
    .language_version:
      - 2
      - 0
    .max_flat_workgroup_size: 256
    .name:           _ZN7rocprim17ROCPRIM_400000_NS6detail17trampoline_kernelINS0_14default_configENS1_25partition_config_selectorILNS1_17partition_subalgoE6EtNS0_10empty_typeEbEEZZNS1_14partition_implILS5_6ELb0ES3_mN6thrust23THRUST_200600_302600_NS6detail15normal_iteratorINSA_10device_ptrItEEEEPS6_SG_NS0_5tupleIJNSA_16discard_iteratorINSA_11use_defaultEEES6_EEENSH_IJSG_SG_EEES6_PlJNSB_9not_fun_tI7is_trueItEEEEEE10hipError_tPvRmT3_T4_T5_T6_T7_T9_mT8_P12ihipStream_tbDpT10_ENKUlT_T0_E_clISt17integral_constantIbLb1EES1A_IbLb0EEEEDaS16_S17_EUlS16_E_NS1_11comp_targetILNS1_3genE3ELNS1_11target_archE908ELNS1_3gpuE7ELNS1_3repE0EEENS1_30default_config_static_selectorELNS0_4arch9wavefront6targetE0EEEvT1_
    .private_segment_fixed_size: 0
    .sgpr_count:     0
    .sgpr_spill_count: 0
    .symbol:         _ZN7rocprim17ROCPRIM_400000_NS6detail17trampoline_kernelINS0_14default_configENS1_25partition_config_selectorILNS1_17partition_subalgoE6EtNS0_10empty_typeEbEEZZNS1_14partition_implILS5_6ELb0ES3_mN6thrust23THRUST_200600_302600_NS6detail15normal_iteratorINSA_10device_ptrItEEEEPS6_SG_NS0_5tupleIJNSA_16discard_iteratorINSA_11use_defaultEEES6_EEENSH_IJSG_SG_EEES6_PlJNSB_9not_fun_tI7is_trueItEEEEEE10hipError_tPvRmT3_T4_T5_T6_T7_T9_mT8_P12ihipStream_tbDpT10_ENKUlT_T0_E_clISt17integral_constantIbLb1EES1A_IbLb0EEEEDaS16_S17_EUlS16_E_NS1_11comp_targetILNS1_3genE3ELNS1_11target_archE908ELNS1_3gpuE7ELNS1_3repE0EEENS1_30default_config_static_selectorELNS0_4arch9wavefront6targetE0EEEvT1_.kd
    .uniform_work_group_size: 1
    .uses_dynamic_stack: false
    .vgpr_count:     0
    .vgpr_spill_count: 0
    .wavefront_size: 32
    .workgroup_processor_mode: 1
  - .args:
      - .offset:         0
        .size:           120
        .value_kind:     by_value
    .group_segment_fixed_size: 0
    .kernarg_segment_align: 8
    .kernarg_segment_size: 120
    .language:       OpenCL C
    .language_version:
      - 2
      - 0
    .max_flat_workgroup_size: 256
    .name:           _ZN7rocprim17ROCPRIM_400000_NS6detail17trampoline_kernelINS0_14default_configENS1_25partition_config_selectorILNS1_17partition_subalgoE6EtNS0_10empty_typeEbEEZZNS1_14partition_implILS5_6ELb0ES3_mN6thrust23THRUST_200600_302600_NS6detail15normal_iteratorINSA_10device_ptrItEEEEPS6_SG_NS0_5tupleIJNSA_16discard_iteratorINSA_11use_defaultEEES6_EEENSH_IJSG_SG_EEES6_PlJNSB_9not_fun_tI7is_trueItEEEEEE10hipError_tPvRmT3_T4_T5_T6_T7_T9_mT8_P12ihipStream_tbDpT10_ENKUlT_T0_E_clISt17integral_constantIbLb1EES1A_IbLb0EEEEDaS16_S17_EUlS16_E_NS1_11comp_targetILNS1_3genE2ELNS1_11target_archE906ELNS1_3gpuE6ELNS1_3repE0EEENS1_30default_config_static_selectorELNS0_4arch9wavefront6targetE0EEEvT1_
    .private_segment_fixed_size: 0
    .sgpr_count:     0
    .sgpr_spill_count: 0
    .symbol:         _ZN7rocprim17ROCPRIM_400000_NS6detail17trampoline_kernelINS0_14default_configENS1_25partition_config_selectorILNS1_17partition_subalgoE6EtNS0_10empty_typeEbEEZZNS1_14partition_implILS5_6ELb0ES3_mN6thrust23THRUST_200600_302600_NS6detail15normal_iteratorINSA_10device_ptrItEEEEPS6_SG_NS0_5tupleIJNSA_16discard_iteratorINSA_11use_defaultEEES6_EEENSH_IJSG_SG_EEES6_PlJNSB_9not_fun_tI7is_trueItEEEEEE10hipError_tPvRmT3_T4_T5_T6_T7_T9_mT8_P12ihipStream_tbDpT10_ENKUlT_T0_E_clISt17integral_constantIbLb1EES1A_IbLb0EEEEDaS16_S17_EUlS16_E_NS1_11comp_targetILNS1_3genE2ELNS1_11target_archE906ELNS1_3gpuE6ELNS1_3repE0EEENS1_30default_config_static_selectorELNS0_4arch9wavefront6targetE0EEEvT1_.kd
    .uniform_work_group_size: 1
    .uses_dynamic_stack: false
    .vgpr_count:     0
    .vgpr_spill_count: 0
    .wavefront_size: 32
    .workgroup_processor_mode: 1
  - .args:
      - .offset:         0
        .size:           120
        .value_kind:     by_value
    .group_segment_fixed_size: 0
    .kernarg_segment_align: 8
    .kernarg_segment_size: 120
    .language:       OpenCL C
    .language_version:
      - 2
      - 0
    .max_flat_workgroup_size: 384
    .name:           _ZN7rocprim17ROCPRIM_400000_NS6detail17trampoline_kernelINS0_14default_configENS1_25partition_config_selectorILNS1_17partition_subalgoE6EtNS0_10empty_typeEbEEZZNS1_14partition_implILS5_6ELb0ES3_mN6thrust23THRUST_200600_302600_NS6detail15normal_iteratorINSA_10device_ptrItEEEEPS6_SG_NS0_5tupleIJNSA_16discard_iteratorINSA_11use_defaultEEES6_EEENSH_IJSG_SG_EEES6_PlJNSB_9not_fun_tI7is_trueItEEEEEE10hipError_tPvRmT3_T4_T5_T6_T7_T9_mT8_P12ihipStream_tbDpT10_ENKUlT_T0_E_clISt17integral_constantIbLb1EES1A_IbLb0EEEEDaS16_S17_EUlS16_E_NS1_11comp_targetILNS1_3genE10ELNS1_11target_archE1200ELNS1_3gpuE4ELNS1_3repE0EEENS1_30default_config_static_selectorELNS0_4arch9wavefront6targetE0EEEvT1_
    .private_segment_fixed_size: 0
    .sgpr_count:     0
    .sgpr_spill_count: 0
    .symbol:         _ZN7rocprim17ROCPRIM_400000_NS6detail17trampoline_kernelINS0_14default_configENS1_25partition_config_selectorILNS1_17partition_subalgoE6EtNS0_10empty_typeEbEEZZNS1_14partition_implILS5_6ELb0ES3_mN6thrust23THRUST_200600_302600_NS6detail15normal_iteratorINSA_10device_ptrItEEEEPS6_SG_NS0_5tupleIJNSA_16discard_iteratorINSA_11use_defaultEEES6_EEENSH_IJSG_SG_EEES6_PlJNSB_9not_fun_tI7is_trueItEEEEEE10hipError_tPvRmT3_T4_T5_T6_T7_T9_mT8_P12ihipStream_tbDpT10_ENKUlT_T0_E_clISt17integral_constantIbLb1EES1A_IbLb0EEEEDaS16_S17_EUlS16_E_NS1_11comp_targetILNS1_3genE10ELNS1_11target_archE1200ELNS1_3gpuE4ELNS1_3repE0EEENS1_30default_config_static_selectorELNS0_4arch9wavefront6targetE0EEEvT1_.kd
    .uniform_work_group_size: 1
    .uses_dynamic_stack: false
    .vgpr_count:     0
    .vgpr_spill_count: 0
    .wavefront_size: 32
    .workgroup_processor_mode: 1
  - .args:
      - .offset:         0
        .size:           120
        .value_kind:     by_value
    .group_segment_fixed_size: 0
    .kernarg_segment_align: 8
    .kernarg_segment_size: 120
    .language:       OpenCL C
    .language_version:
      - 2
      - 0
    .max_flat_workgroup_size: 128
    .name:           _ZN7rocprim17ROCPRIM_400000_NS6detail17trampoline_kernelINS0_14default_configENS1_25partition_config_selectorILNS1_17partition_subalgoE6EtNS0_10empty_typeEbEEZZNS1_14partition_implILS5_6ELb0ES3_mN6thrust23THRUST_200600_302600_NS6detail15normal_iteratorINSA_10device_ptrItEEEEPS6_SG_NS0_5tupleIJNSA_16discard_iteratorINSA_11use_defaultEEES6_EEENSH_IJSG_SG_EEES6_PlJNSB_9not_fun_tI7is_trueItEEEEEE10hipError_tPvRmT3_T4_T5_T6_T7_T9_mT8_P12ihipStream_tbDpT10_ENKUlT_T0_E_clISt17integral_constantIbLb1EES1A_IbLb0EEEEDaS16_S17_EUlS16_E_NS1_11comp_targetILNS1_3genE9ELNS1_11target_archE1100ELNS1_3gpuE3ELNS1_3repE0EEENS1_30default_config_static_selectorELNS0_4arch9wavefront6targetE0EEEvT1_
    .private_segment_fixed_size: 0
    .sgpr_count:     0
    .sgpr_spill_count: 0
    .symbol:         _ZN7rocprim17ROCPRIM_400000_NS6detail17trampoline_kernelINS0_14default_configENS1_25partition_config_selectorILNS1_17partition_subalgoE6EtNS0_10empty_typeEbEEZZNS1_14partition_implILS5_6ELb0ES3_mN6thrust23THRUST_200600_302600_NS6detail15normal_iteratorINSA_10device_ptrItEEEEPS6_SG_NS0_5tupleIJNSA_16discard_iteratorINSA_11use_defaultEEES6_EEENSH_IJSG_SG_EEES6_PlJNSB_9not_fun_tI7is_trueItEEEEEE10hipError_tPvRmT3_T4_T5_T6_T7_T9_mT8_P12ihipStream_tbDpT10_ENKUlT_T0_E_clISt17integral_constantIbLb1EES1A_IbLb0EEEEDaS16_S17_EUlS16_E_NS1_11comp_targetILNS1_3genE9ELNS1_11target_archE1100ELNS1_3gpuE3ELNS1_3repE0EEENS1_30default_config_static_selectorELNS0_4arch9wavefront6targetE0EEEvT1_.kd
    .uniform_work_group_size: 1
    .uses_dynamic_stack: false
    .vgpr_count:     0
    .vgpr_spill_count: 0
    .wavefront_size: 32
    .workgroup_processor_mode: 1
  - .args:
      - .offset:         0
        .size:           120
        .value_kind:     by_value
    .group_segment_fixed_size: 0
    .kernarg_segment_align: 8
    .kernarg_segment_size: 120
    .language:       OpenCL C
    .language_version:
      - 2
      - 0
    .max_flat_workgroup_size: 256
    .name:           _ZN7rocprim17ROCPRIM_400000_NS6detail17trampoline_kernelINS0_14default_configENS1_25partition_config_selectorILNS1_17partition_subalgoE6EtNS0_10empty_typeEbEEZZNS1_14partition_implILS5_6ELb0ES3_mN6thrust23THRUST_200600_302600_NS6detail15normal_iteratorINSA_10device_ptrItEEEEPS6_SG_NS0_5tupleIJNSA_16discard_iteratorINSA_11use_defaultEEES6_EEENSH_IJSG_SG_EEES6_PlJNSB_9not_fun_tI7is_trueItEEEEEE10hipError_tPvRmT3_T4_T5_T6_T7_T9_mT8_P12ihipStream_tbDpT10_ENKUlT_T0_E_clISt17integral_constantIbLb1EES1A_IbLb0EEEEDaS16_S17_EUlS16_E_NS1_11comp_targetILNS1_3genE8ELNS1_11target_archE1030ELNS1_3gpuE2ELNS1_3repE0EEENS1_30default_config_static_selectorELNS0_4arch9wavefront6targetE0EEEvT1_
    .private_segment_fixed_size: 0
    .sgpr_count:     0
    .sgpr_spill_count: 0
    .symbol:         _ZN7rocprim17ROCPRIM_400000_NS6detail17trampoline_kernelINS0_14default_configENS1_25partition_config_selectorILNS1_17partition_subalgoE6EtNS0_10empty_typeEbEEZZNS1_14partition_implILS5_6ELb0ES3_mN6thrust23THRUST_200600_302600_NS6detail15normal_iteratorINSA_10device_ptrItEEEEPS6_SG_NS0_5tupleIJNSA_16discard_iteratorINSA_11use_defaultEEES6_EEENSH_IJSG_SG_EEES6_PlJNSB_9not_fun_tI7is_trueItEEEEEE10hipError_tPvRmT3_T4_T5_T6_T7_T9_mT8_P12ihipStream_tbDpT10_ENKUlT_T0_E_clISt17integral_constantIbLb1EES1A_IbLb0EEEEDaS16_S17_EUlS16_E_NS1_11comp_targetILNS1_3genE8ELNS1_11target_archE1030ELNS1_3gpuE2ELNS1_3repE0EEENS1_30default_config_static_selectorELNS0_4arch9wavefront6targetE0EEEvT1_.kd
    .uniform_work_group_size: 1
    .uses_dynamic_stack: false
    .vgpr_count:     0
    .vgpr_spill_count: 0
    .wavefront_size: 32
    .workgroup_processor_mode: 1
  - .args:
      - .offset:         0
        .size:           136
        .value_kind:     by_value
    .group_segment_fixed_size: 0
    .kernarg_segment_align: 8
    .kernarg_segment_size: 136
    .language:       OpenCL C
    .language_version:
      - 2
      - 0
    .max_flat_workgroup_size: 256
    .name:           _ZN7rocprim17ROCPRIM_400000_NS6detail17trampoline_kernelINS0_14default_configENS1_25partition_config_selectorILNS1_17partition_subalgoE6EtNS0_10empty_typeEbEEZZNS1_14partition_implILS5_6ELb0ES3_mN6thrust23THRUST_200600_302600_NS6detail15normal_iteratorINSA_10device_ptrItEEEEPS6_SG_NS0_5tupleIJNSA_16discard_iteratorINSA_11use_defaultEEES6_EEENSH_IJSG_SG_EEES6_PlJNSB_9not_fun_tI7is_trueItEEEEEE10hipError_tPvRmT3_T4_T5_T6_T7_T9_mT8_P12ihipStream_tbDpT10_ENKUlT_T0_E_clISt17integral_constantIbLb0EES1A_IbLb1EEEEDaS16_S17_EUlS16_E_NS1_11comp_targetILNS1_3genE0ELNS1_11target_archE4294967295ELNS1_3gpuE0ELNS1_3repE0EEENS1_30default_config_static_selectorELNS0_4arch9wavefront6targetE0EEEvT1_
    .private_segment_fixed_size: 0
    .sgpr_count:     0
    .sgpr_spill_count: 0
    .symbol:         _ZN7rocprim17ROCPRIM_400000_NS6detail17trampoline_kernelINS0_14default_configENS1_25partition_config_selectorILNS1_17partition_subalgoE6EtNS0_10empty_typeEbEEZZNS1_14partition_implILS5_6ELb0ES3_mN6thrust23THRUST_200600_302600_NS6detail15normal_iteratorINSA_10device_ptrItEEEEPS6_SG_NS0_5tupleIJNSA_16discard_iteratorINSA_11use_defaultEEES6_EEENSH_IJSG_SG_EEES6_PlJNSB_9not_fun_tI7is_trueItEEEEEE10hipError_tPvRmT3_T4_T5_T6_T7_T9_mT8_P12ihipStream_tbDpT10_ENKUlT_T0_E_clISt17integral_constantIbLb0EES1A_IbLb1EEEEDaS16_S17_EUlS16_E_NS1_11comp_targetILNS1_3genE0ELNS1_11target_archE4294967295ELNS1_3gpuE0ELNS1_3repE0EEENS1_30default_config_static_selectorELNS0_4arch9wavefront6targetE0EEEvT1_.kd
    .uniform_work_group_size: 1
    .uses_dynamic_stack: false
    .vgpr_count:     0
    .vgpr_spill_count: 0
    .wavefront_size: 32
    .workgroup_processor_mode: 1
  - .args:
      - .offset:         0
        .size:           136
        .value_kind:     by_value
    .group_segment_fixed_size: 0
    .kernarg_segment_align: 8
    .kernarg_segment_size: 136
    .language:       OpenCL C
    .language_version:
      - 2
      - 0
    .max_flat_workgroup_size: 512
    .name:           _ZN7rocprim17ROCPRIM_400000_NS6detail17trampoline_kernelINS0_14default_configENS1_25partition_config_selectorILNS1_17partition_subalgoE6EtNS0_10empty_typeEbEEZZNS1_14partition_implILS5_6ELb0ES3_mN6thrust23THRUST_200600_302600_NS6detail15normal_iteratorINSA_10device_ptrItEEEEPS6_SG_NS0_5tupleIJNSA_16discard_iteratorINSA_11use_defaultEEES6_EEENSH_IJSG_SG_EEES6_PlJNSB_9not_fun_tI7is_trueItEEEEEE10hipError_tPvRmT3_T4_T5_T6_T7_T9_mT8_P12ihipStream_tbDpT10_ENKUlT_T0_E_clISt17integral_constantIbLb0EES1A_IbLb1EEEEDaS16_S17_EUlS16_E_NS1_11comp_targetILNS1_3genE5ELNS1_11target_archE942ELNS1_3gpuE9ELNS1_3repE0EEENS1_30default_config_static_selectorELNS0_4arch9wavefront6targetE0EEEvT1_
    .private_segment_fixed_size: 0
    .sgpr_count:     0
    .sgpr_spill_count: 0
    .symbol:         _ZN7rocprim17ROCPRIM_400000_NS6detail17trampoline_kernelINS0_14default_configENS1_25partition_config_selectorILNS1_17partition_subalgoE6EtNS0_10empty_typeEbEEZZNS1_14partition_implILS5_6ELb0ES3_mN6thrust23THRUST_200600_302600_NS6detail15normal_iteratorINSA_10device_ptrItEEEEPS6_SG_NS0_5tupleIJNSA_16discard_iteratorINSA_11use_defaultEEES6_EEENSH_IJSG_SG_EEES6_PlJNSB_9not_fun_tI7is_trueItEEEEEE10hipError_tPvRmT3_T4_T5_T6_T7_T9_mT8_P12ihipStream_tbDpT10_ENKUlT_T0_E_clISt17integral_constantIbLb0EES1A_IbLb1EEEEDaS16_S17_EUlS16_E_NS1_11comp_targetILNS1_3genE5ELNS1_11target_archE942ELNS1_3gpuE9ELNS1_3repE0EEENS1_30default_config_static_selectorELNS0_4arch9wavefront6targetE0EEEvT1_.kd
    .uniform_work_group_size: 1
    .uses_dynamic_stack: false
    .vgpr_count:     0
    .vgpr_spill_count: 0
    .wavefront_size: 32
    .workgroup_processor_mode: 1
  - .args:
      - .offset:         0
        .size:           136
        .value_kind:     by_value
    .group_segment_fixed_size: 0
    .kernarg_segment_align: 8
    .kernarg_segment_size: 136
    .language:       OpenCL C
    .language_version:
      - 2
      - 0
    .max_flat_workgroup_size: 256
    .name:           _ZN7rocprim17ROCPRIM_400000_NS6detail17trampoline_kernelINS0_14default_configENS1_25partition_config_selectorILNS1_17partition_subalgoE6EtNS0_10empty_typeEbEEZZNS1_14partition_implILS5_6ELb0ES3_mN6thrust23THRUST_200600_302600_NS6detail15normal_iteratorINSA_10device_ptrItEEEEPS6_SG_NS0_5tupleIJNSA_16discard_iteratorINSA_11use_defaultEEES6_EEENSH_IJSG_SG_EEES6_PlJNSB_9not_fun_tI7is_trueItEEEEEE10hipError_tPvRmT3_T4_T5_T6_T7_T9_mT8_P12ihipStream_tbDpT10_ENKUlT_T0_E_clISt17integral_constantIbLb0EES1A_IbLb1EEEEDaS16_S17_EUlS16_E_NS1_11comp_targetILNS1_3genE4ELNS1_11target_archE910ELNS1_3gpuE8ELNS1_3repE0EEENS1_30default_config_static_selectorELNS0_4arch9wavefront6targetE0EEEvT1_
    .private_segment_fixed_size: 0
    .sgpr_count:     0
    .sgpr_spill_count: 0
    .symbol:         _ZN7rocprim17ROCPRIM_400000_NS6detail17trampoline_kernelINS0_14default_configENS1_25partition_config_selectorILNS1_17partition_subalgoE6EtNS0_10empty_typeEbEEZZNS1_14partition_implILS5_6ELb0ES3_mN6thrust23THRUST_200600_302600_NS6detail15normal_iteratorINSA_10device_ptrItEEEEPS6_SG_NS0_5tupleIJNSA_16discard_iteratorINSA_11use_defaultEEES6_EEENSH_IJSG_SG_EEES6_PlJNSB_9not_fun_tI7is_trueItEEEEEE10hipError_tPvRmT3_T4_T5_T6_T7_T9_mT8_P12ihipStream_tbDpT10_ENKUlT_T0_E_clISt17integral_constantIbLb0EES1A_IbLb1EEEEDaS16_S17_EUlS16_E_NS1_11comp_targetILNS1_3genE4ELNS1_11target_archE910ELNS1_3gpuE8ELNS1_3repE0EEENS1_30default_config_static_selectorELNS0_4arch9wavefront6targetE0EEEvT1_.kd
    .uniform_work_group_size: 1
    .uses_dynamic_stack: false
    .vgpr_count:     0
    .vgpr_spill_count: 0
    .wavefront_size: 32
    .workgroup_processor_mode: 1
  - .args:
      - .offset:         0
        .size:           136
        .value_kind:     by_value
    .group_segment_fixed_size: 0
    .kernarg_segment_align: 8
    .kernarg_segment_size: 136
    .language:       OpenCL C
    .language_version:
      - 2
      - 0
    .max_flat_workgroup_size: 256
    .name:           _ZN7rocprim17ROCPRIM_400000_NS6detail17trampoline_kernelINS0_14default_configENS1_25partition_config_selectorILNS1_17partition_subalgoE6EtNS0_10empty_typeEbEEZZNS1_14partition_implILS5_6ELb0ES3_mN6thrust23THRUST_200600_302600_NS6detail15normal_iteratorINSA_10device_ptrItEEEEPS6_SG_NS0_5tupleIJNSA_16discard_iteratorINSA_11use_defaultEEES6_EEENSH_IJSG_SG_EEES6_PlJNSB_9not_fun_tI7is_trueItEEEEEE10hipError_tPvRmT3_T4_T5_T6_T7_T9_mT8_P12ihipStream_tbDpT10_ENKUlT_T0_E_clISt17integral_constantIbLb0EES1A_IbLb1EEEEDaS16_S17_EUlS16_E_NS1_11comp_targetILNS1_3genE3ELNS1_11target_archE908ELNS1_3gpuE7ELNS1_3repE0EEENS1_30default_config_static_selectorELNS0_4arch9wavefront6targetE0EEEvT1_
    .private_segment_fixed_size: 0
    .sgpr_count:     0
    .sgpr_spill_count: 0
    .symbol:         _ZN7rocprim17ROCPRIM_400000_NS6detail17trampoline_kernelINS0_14default_configENS1_25partition_config_selectorILNS1_17partition_subalgoE6EtNS0_10empty_typeEbEEZZNS1_14partition_implILS5_6ELb0ES3_mN6thrust23THRUST_200600_302600_NS6detail15normal_iteratorINSA_10device_ptrItEEEEPS6_SG_NS0_5tupleIJNSA_16discard_iteratorINSA_11use_defaultEEES6_EEENSH_IJSG_SG_EEES6_PlJNSB_9not_fun_tI7is_trueItEEEEEE10hipError_tPvRmT3_T4_T5_T6_T7_T9_mT8_P12ihipStream_tbDpT10_ENKUlT_T0_E_clISt17integral_constantIbLb0EES1A_IbLb1EEEEDaS16_S17_EUlS16_E_NS1_11comp_targetILNS1_3genE3ELNS1_11target_archE908ELNS1_3gpuE7ELNS1_3repE0EEENS1_30default_config_static_selectorELNS0_4arch9wavefront6targetE0EEEvT1_.kd
    .uniform_work_group_size: 1
    .uses_dynamic_stack: false
    .vgpr_count:     0
    .vgpr_spill_count: 0
    .wavefront_size: 32
    .workgroup_processor_mode: 1
  - .args:
      - .offset:         0
        .size:           136
        .value_kind:     by_value
    .group_segment_fixed_size: 0
    .kernarg_segment_align: 8
    .kernarg_segment_size: 136
    .language:       OpenCL C
    .language_version:
      - 2
      - 0
    .max_flat_workgroup_size: 256
    .name:           _ZN7rocprim17ROCPRIM_400000_NS6detail17trampoline_kernelINS0_14default_configENS1_25partition_config_selectorILNS1_17partition_subalgoE6EtNS0_10empty_typeEbEEZZNS1_14partition_implILS5_6ELb0ES3_mN6thrust23THRUST_200600_302600_NS6detail15normal_iteratorINSA_10device_ptrItEEEEPS6_SG_NS0_5tupleIJNSA_16discard_iteratorINSA_11use_defaultEEES6_EEENSH_IJSG_SG_EEES6_PlJNSB_9not_fun_tI7is_trueItEEEEEE10hipError_tPvRmT3_T4_T5_T6_T7_T9_mT8_P12ihipStream_tbDpT10_ENKUlT_T0_E_clISt17integral_constantIbLb0EES1A_IbLb1EEEEDaS16_S17_EUlS16_E_NS1_11comp_targetILNS1_3genE2ELNS1_11target_archE906ELNS1_3gpuE6ELNS1_3repE0EEENS1_30default_config_static_selectorELNS0_4arch9wavefront6targetE0EEEvT1_
    .private_segment_fixed_size: 0
    .sgpr_count:     0
    .sgpr_spill_count: 0
    .symbol:         _ZN7rocprim17ROCPRIM_400000_NS6detail17trampoline_kernelINS0_14default_configENS1_25partition_config_selectorILNS1_17partition_subalgoE6EtNS0_10empty_typeEbEEZZNS1_14partition_implILS5_6ELb0ES3_mN6thrust23THRUST_200600_302600_NS6detail15normal_iteratorINSA_10device_ptrItEEEEPS6_SG_NS0_5tupleIJNSA_16discard_iteratorINSA_11use_defaultEEES6_EEENSH_IJSG_SG_EEES6_PlJNSB_9not_fun_tI7is_trueItEEEEEE10hipError_tPvRmT3_T4_T5_T6_T7_T9_mT8_P12ihipStream_tbDpT10_ENKUlT_T0_E_clISt17integral_constantIbLb0EES1A_IbLb1EEEEDaS16_S17_EUlS16_E_NS1_11comp_targetILNS1_3genE2ELNS1_11target_archE906ELNS1_3gpuE6ELNS1_3repE0EEENS1_30default_config_static_selectorELNS0_4arch9wavefront6targetE0EEEvT1_.kd
    .uniform_work_group_size: 1
    .uses_dynamic_stack: false
    .vgpr_count:     0
    .vgpr_spill_count: 0
    .wavefront_size: 32
    .workgroup_processor_mode: 1
  - .args:
      - .offset:         0
        .size:           136
        .value_kind:     by_value
    .group_segment_fixed_size: 13840
    .kernarg_segment_align: 8
    .kernarg_segment_size: 136
    .language:       OpenCL C
    .language_version:
      - 2
      - 0
    .max_flat_workgroup_size: 384
    .name:           _ZN7rocprim17ROCPRIM_400000_NS6detail17trampoline_kernelINS0_14default_configENS1_25partition_config_selectorILNS1_17partition_subalgoE6EtNS0_10empty_typeEbEEZZNS1_14partition_implILS5_6ELb0ES3_mN6thrust23THRUST_200600_302600_NS6detail15normal_iteratorINSA_10device_ptrItEEEEPS6_SG_NS0_5tupleIJNSA_16discard_iteratorINSA_11use_defaultEEES6_EEENSH_IJSG_SG_EEES6_PlJNSB_9not_fun_tI7is_trueItEEEEEE10hipError_tPvRmT3_T4_T5_T6_T7_T9_mT8_P12ihipStream_tbDpT10_ENKUlT_T0_E_clISt17integral_constantIbLb0EES1A_IbLb1EEEEDaS16_S17_EUlS16_E_NS1_11comp_targetILNS1_3genE10ELNS1_11target_archE1200ELNS1_3gpuE4ELNS1_3repE0EEENS1_30default_config_static_selectorELNS0_4arch9wavefront6targetE0EEEvT1_
    .private_segment_fixed_size: 0
    .sgpr_count:     28
    .sgpr_spill_count: 0
    .symbol:         _ZN7rocprim17ROCPRIM_400000_NS6detail17trampoline_kernelINS0_14default_configENS1_25partition_config_selectorILNS1_17partition_subalgoE6EtNS0_10empty_typeEbEEZZNS1_14partition_implILS5_6ELb0ES3_mN6thrust23THRUST_200600_302600_NS6detail15normal_iteratorINSA_10device_ptrItEEEEPS6_SG_NS0_5tupleIJNSA_16discard_iteratorINSA_11use_defaultEEES6_EEENSH_IJSG_SG_EEES6_PlJNSB_9not_fun_tI7is_trueItEEEEEE10hipError_tPvRmT3_T4_T5_T6_T7_T9_mT8_P12ihipStream_tbDpT10_ENKUlT_T0_E_clISt17integral_constantIbLb0EES1A_IbLb1EEEEDaS16_S17_EUlS16_E_NS1_11comp_targetILNS1_3genE10ELNS1_11target_archE1200ELNS1_3gpuE4ELNS1_3repE0EEENS1_30default_config_static_selectorELNS0_4arch9wavefront6targetE0EEEvT1_.kd
    .uniform_work_group_size: 1
    .uses_dynamic_stack: false
    .vgpr_count:     65
    .vgpr_spill_count: 0
    .wavefront_size: 32
    .workgroup_processor_mode: 1
  - .args:
      - .offset:         0
        .size:           136
        .value_kind:     by_value
    .group_segment_fixed_size: 0
    .kernarg_segment_align: 8
    .kernarg_segment_size: 136
    .language:       OpenCL C
    .language_version:
      - 2
      - 0
    .max_flat_workgroup_size: 128
    .name:           _ZN7rocprim17ROCPRIM_400000_NS6detail17trampoline_kernelINS0_14default_configENS1_25partition_config_selectorILNS1_17partition_subalgoE6EtNS0_10empty_typeEbEEZZNS1_14partition_implILS5_6ELb0ES3_mN6thrust23THRUST_200600_302600_NS6detail15normal_iteratorINSA_10device_ptrItEEEEPS6_SG_NS0_5tupleIJNSA_16discard_iteratorINSA_11use_defaultEEES6_EEENSH_IJSG_SG_EEES6_PlJNSB_9not_fun_tI7is_trueItEEEEEE10hipError_tPvRmT3_T4_T5_T6_T7_T9_mT8_P12ihipStream_tbDpT10_ENKUlT_T0_E_clISt17integral_constantIbLb0EES1A_IbLb1EEEEDaS16_S17_EUlS16_E_NS1_11comp_targetILNS1_3genE9ELNS1_11target_archE1100ELNS1_3gpuE3ELNS1_3repE0EEENS1_30default_config_static_selectorELNS0_4arch9wavefront6targetE0EEEvT1_
    .private_segment_fixed_size: 0
    .sgpr_count:     0
    .sgpr_spill_count: 0
    .symbol:         _ZN7rocprim17ROCPRIM_400000_NS6detail17trampoline_kernelINS0_14default_configENS1_25partition_config_selectorILNS1_17partition_subalgoE6EtNS0_10empty_typeEbEEZZNS1_14partition_implILS5_6ELb0ES3_mN6thrust23THRUST_200600_302600_NS6detail15normal_iteratorINSA_10device_ptrItEEEEPS6_SG_NS0_5tupleIJNSA_16discard_iteratorINSA_11use_defaultEEES6_EEENSH_IJSG_SG_EEES6_PlJNSB_9not_fun_tI7is_trueItEEEEEE10hipError_tPvRmT3_T4_T5_T6_T7_T9_mT8_P12ihipStream_tbDpT10_ENKUlT_T0_E_clISt17integral_constantIbLb0EES1A_IbLb1EEEEDaS16_S17_EUlS16_E_NS1_11comp_targetILNS1_3genE9ELNS1_11target_archE1100ELNS1_3gpuE3ELNS1_3repE0EEENS1_30default_config_static_selectorELNS0_4arch9wavefront6targetE0EEEvT1_.kd
    .uniform_work_group_size: 1
    .uses_dynamic_stack: false
    .vgpr_count:     0
    .vgpr_spill_count: 0
    .wavefront_size: 32
    .workgroup_processor_mode: 1
  - .args:
      - .offset:         0
        .size:           136
        .value_kind:     by_value
    .group_segment_fixed_size: 0
    .kernarg_segment_align: 8
    .kernarg_segment_size: 136
    .language:       OpenCL C
    .language_version:
      - 2
      - 0
    .max_flat_workgroup_size: 256
    .name:           _ZN7rocprim17ROCPRIM_400000_NS6detail17trampoline_kernelINS0_14default_configENS1_25partition_config_selectorILNS1_17partition_subalgoE6EtNS0_10empty_typeEbEEZZNS1_14partition_implILS5_6ELb0ES3_mN6thrust23THRUST_200600_302600_NS6detail15normal_iteratorINSA_10device_ptrItEEEEPS6_SG_NS0_5tupleIJNSA_16discard_iteratorINSA_11use_defaultEEES6_EEENSH_IJSG_SG_EEES6_PlJNSB_9not_fun_tI7is_trueItEEEEEE10hipError_tPvRmT3_T4_T5_T6_T7_T9_mT8_P12ihipStream_tbDpT10_ENKUlT_T0_E_clISt17integral_constantIbLb0EES1A_IbLb1EEEEDaS16_S17_EUlS16_E_NS1_11comp_targetILNS1_3genE8ELNS1_11target_archE1030ELNS1_3gpuE2ELNS1_3repE0EEENS1_30default_config_static_selectorELNS0_4arch9wavefront6targetE0EEEvT1_
    .private_segment_fixed_size: 0
    .sgpr_count:     0
    .sgpr_spill_count: 0
    .symbol:         _ZN7rocprim17ROCPRIM_400000_NS6detail17trampoline_kernelINS0_14default_configENS1_25partition_config_selectorILNS1_17partition_subalgoE6EtNS0_10empty_typeEbEEZZNS1_14partition_implILS5_6ELb0ES3_mN6thrust23THRUST_200600_302600_NS6detail15normal_iteratorINSA_10device_ptrItEEEEPS6_SG_NS0_5tupleIJNSA_16discard_iteratorINSA_11use_defaultEEES6_EEENSH_IJSG_SG_EEES6_PlJNSB_9not_fun_tI7is_trueItEEEEEE10hipError_tPvRmT3_T4_T5_T6_T7_T9_mT8_P12ihipStream_tbDpT10_ENKUlT_T0_E_clISt17integral_constantIbLb0EES1A_IbLb1EEEEDaS16_S17_EUlS16_E_NS1_11comp_targetILNS1_3genE8ELNS1_11target_archE1030ELNS1_3gpuE2ELNS1_3repE0EEENS1_30default_config_static_selectorELNS0_4arch9wavefront6targetE0EEEvT1_.kd
    .uniform_work_group_size: 1
    .uses_dynamic_stack: false
    .vgpr_count:     0
    .vgpr_spill_count: 0
    .wavefront_size: 32
    .workgroup_processor_mode: 1
  - .args:
      - .offset:         0
        .size:           120
        .value_kind:     by_value
    .group_segment_fixed_size: 0
    .kernarg_segment_align: 8
    .kernarg_segment_size: 120
    .language:       OpenCL C
    .language_version:
      - 2
      - 0
    .max_flat_workgroup_size: 128
    .name:           _ZN7rocprim17ROCPRIM_400000_NS6detail17trampoline_kernelINS0_14default_configENS1_25partition_config_selectorILNS1_17partition_subalgoE6ExNS0_10empty_typeEbEEZZNS1_14partition_implILS5_6ELb0ES3_mN6thrust23THRUST_200600_302600_NS6detail15normal_iteratorINSA_10device_ptrIxEEEEPS6_SG_NS0_5tupleIJNSA_16discard_iteratorINSA_11use_defaultEEES6_EEENSH_IJSG_SG_EEES6_PlJNSB_9not_fun_tI7is_trueIxEEEEEE10hipError_tPvRmT3_T4_T5_T6_T7_T9_mT8_P12ihipStream_tbDpT10_ENKUlT_T0_E_clISt17integral_constantIbLb0EES1B_EEDaS16_S17_EUlS16_E_NS1_11comp_targetILNS1_3genE0ELNS1_11target_archE4294967295ELNS1_3gpuE0ELNS1_3repE0EEENS1_30default_config_static_selectorELNS0_4arch9wavefront6targetE0EEEvT1_
    .private_segment_fixed_size: 0
    .sgpr_count:     0
    .sgpr_spill_count: 0
    .symbol:         _ZN7rocprim17ROCPRIM_400000_NS6detail17trampoline_kernelINS0_14default_configENS1_25partition_config_selectorILNS1_17partition_subalgoE6ExNS0_10empty_typeEbEEZZNS1_14partition_implILS5_6ELb0ES3_mN6thrust23THRUST_200600_302600_NS6detail15normal_iteratorINSA_10device_ptrIxEEEEPS6_SG_NS0_5tupleIJNSA_16discard_iteratorINSA_11use_defaultEEES6_EEENSH_IJSG_SG_EEES6_PlJNSB_9not_fun_tI7is_trueIxEEEEEE10hipError_tPvRmT3_T4_T5_T6_T7_T9_mT8_P12ihipStream_tbDpT10_ENKUlT_T0_E_clISt17integral_constantIbLb0EES1B_EEDaS16_S17_EUlS16_E_NS1_11comp_targetILNS1_3genE0ELNS1_11target_archE4294967295ELNS1_3gpuE0ELNS1_3repE0EEENS1_30default_config_static_selectorELNS0_4arch9wavefront6targetE0EEEvT1_.kd
    .uniform_work_group_size: 1
    .uses_dynamic_stack: false
    .vgpr_count:     0
    .vgpr_spill_count: 0
    .wavefront_size: 32
    .workgroup_processor_mode: 1
  - .args:
      - .offset:         0
        .size:           120
        .value_kind:     by_value
    .group_segment_fixed_size: 0
    .kernarg_segment_align: 8
    .kernarg_segment_size: 120
    .language:       OpenCL C
    .language_version:
      - 2
      - 0
    .max_flat_workgroup_size: 512
    .name:           _ZN7rocprim17ROCPRIM_400000_NS6detail17trampoline_kernelINS0_14default_configENS1_25partition_config_selectorILNS1_17partition_subalgoE6ExNS0_10empty_typeEbEEZZNS1_14partition_implILS5_6ELb0ES3_mN6thrust23THRUST_200600_302600_NS6detail15normal_iteratorINSA_10device_ptrIxEEEEPS6_SG_NS0_5tupleIJNSA_16discard_iteratorINSA_11use_defaultEEES6_EEENSH_IJSG_SG_EEES6_PlJNSB_9not_fun_tI7is_trueIxEEEEEE10hipError_tPvRmT3_T4_T5_T6_T7_T9_mT8_P12ihipStream_tbDpT10_ENKUlT_T0_E_clISt17integral_constantIbLb0EES1B_EEDaS16_S17_EUlS16_E_NS1_11comp_targetILNS1_3genE5ELNS1_11target_archE942ELNS1_3gpuE9ELNS1_3repE0EEENS1_30default_config_static_selectorELNS0_4arch9wavefront6targetE0EEEvT1_
    .private_segment_fixed_size: 0
    .sgpr_count:     0
    .sgpr_spill_count: 0
    .symbol:         _ZN7rocprim17ROCPRIM_400000_NS6detail17trampoline_kernelINS0_14default_configENS1_25partition_config_selectorILNS1_17partition_subalgoE6ExNS0_10empty_typeEbEEZZNS1_14partition_implILS5_6ELb0ES3_mN6thrust23THRUST_200600_302600_NS6detail15normal_iteratorINSA_10device_ptrIxEEEEPS6_SG_NS0_5tupleIJNSA_16discard_iteratorINSA_11use_defaultEEES6_EEENSH_IJSG_SG_EEES6_PlJNSB_9not_fun_tI7is_trueIxEEEEEE10hipError_tPvRmT3_T4_T5_T6_T7_T9_mT8_P12ihipStream_tbDpT10_ENKUlT_T0_E_clISt17integral_constantIbLb0EES1B_EEDaS16_S17_EUlS16_E_NS1_11comp_targetILNS1_3genE5ELNS1_11target_archE942ELNS1_3gpuE9ELNS1_3repE0EEENS1_30default_config_static_selectorELNS0_4arch9wavefront6targetE0EEEvT1_.kd
    .uniform_work_group_size: 1
    .uses_dynamic_stack: false
    .vgpr_count:     0
    .vgpr_spill_count: 0
    .wavefront_size: 32
    .workgroup_processor_mode: 1
  - .args:
      - .offset:         0
        .size:           120
        .value_kind:     by_value
    .group_segment_fixed_size: 0
    .kernarg_segment_align: 8
    .kernarg_segment_size: 120
    .language:       OpenCL C
    .language_version:
      - 2
      - 0
    .max_flat_workgroup_size: 512
    .name:           _ZN7rocprim17ROCPRIM_400000_NS6detail17trampoline_kernelINS0_14default_configENS1_25partition_config_selectorILNS1_17partition_subalgoE6ExNS0_10empty_typeEbEEZZNS1_14partition_implILS5_6ELb0ES3_mN6thrust23THRUST_200600_302600_NS6detail15normal_iteratorINSA_10device_ptrIxEEEEPS6_SG_NS0_5tupleIJNSA_16discard_iteratorINSA_11use_defaultEEES6_EEENSH_IJSG_SG_EEES6_PlJNSB_9not_fun_tI7is_trueIxEEEEEE10hipError_tPvRmT3_T4_T5_T6_T7_T9_mT8_P12ihipStream_tbDpT10_ENKUlT_T0_E_clISt17integral_constantIbLb0EES1B_EEDaS16_S17_EUlS16_E_NS1_11comp_targetILNS1_3genE4ELNS1_11target_archE910ELNS1_3gpuE8ELNS1_3repE0EEENS1_30default_config_static_selectorELNS0_4arch9wavefront6targetE0EEEvT1_
    .private_segment_fixed_size: 0
    .sgpr_count:     0
    .sgpr_spill_count: 0
    .symbol:         _ZN7rocprim17ROCPRIM_400000_NS6detail17trampoline_kernelINS0_14default_configENS1_25partition_config_selectorILNS1_17partition_subalgoE6ExNS0_10empty_typeEbEEZZNS1_14partition_implILS5_6ELb0ES3_mN6thrust23THRUST_200600_302600_NS6detail15normal_iteratorINSA_10device_ptrIxEEEEPS6_SG_NS0_5tupleIJNSA_16discard_iteratorINSA_11use_defaultEEES6_EEENSH_IJSG_SG_EEES6_PlJNSB_9not_fun_tI7is_trueIxEEEEEE10hipError_tPvRmT3_T4_T5_T6_T7_T9_mT8_P12ihipStream_tbDpT10_ENKUlT_T0_E_clISt17integral_constantIbLb0EES1B_EEDaS16_S17_EUlS16_E_NS1_11comp_targetILNS1_3genE4ELNS1_11target_archE910ELNS1_3gpuE8ELNS1_3repE0EEENS1_30default_config_static_selectorELNS0_4arch9wavefront6targetE0EEEvT1_.kd
    .uniform_work_group_size: 1
    .uses_dynamic_stack: false
    .vgpr_count:     0
    .vgpr_spill_count: 0
    .wavefront_size: 32
    .workgroup_processor_mode: 1
  - .args:
      - .offset:         0
        .size:           120
        .value_kind:     by_value
    .group_segment_fixed_size: 0
    .kernarg_segment_align: 8
    .kernarg_segment_size: 120
    .language:       OpenCL C
    .language_version:
      - 2
      - 0
    .max_flat_workgroup_size: 128
    .name:           _ZN7rocprim17ROCPRIM_400000_NS6detail17trampoline_kernelINS0_14default_configENS1_25partition_config_selectorILNS1_17partition_subalgoE6ExNS0_10empty_typeEbEEZZNS1_14partition_implILS5_6ELb0ES3_mN6thrust23THRUST_200600_302600_NS6detail15normal_iteratorINSA_10device_ptrIxEEEEPS6_SG_NS0_5tupleIJNSA_16discard_iteratorINSA_11use_defaultEEES6_EEENSH_IJSG_SG_EEES6_PlJNSB_9not_fun_tI7is_trueIxEEEEEE10hipError_tPvRmT3_T4_T5_T6_T7_T9_mT8_P12ihipStream_tbDpT10_ENKUlT_T0_E_clISt17integral_constantIbLb0EES1B_EEDaS16_S17_EUlS16_E_NS1_11comp_targetILNS1_3genE3ELNS1_11target_archE908ELNS1_3gpuE7ELNS1_3repE0EEENS1_30default_config_static_selectorELNS0_4arch9wavefront6targetE0EEEvT1_
    .private_segment_fixed_size: 0
    .sgpr_count:     0
    .sgpr_spill_count: 0
    .symbol:         _ZN7rocprim17ROCPRIM_400000_NS6detail17trampoline_kernelINS0_14default_configENS1_25partition_config_selectorILNS1_17partition_subalgoE6ExNS0_10empty_typeEbEEZZNS1_14partition_implILS5_6ELb0ES3_mN6thrust23THRUST_200600_302600_NS6detail15normal_iteratorINSA_10device_ptrIxEEEEPS6_SG_NS0_5tupleIJNSA_16discard_iteratorINSA_11use_defaultEEES6_EEENSH_IJSG_SG_EEES6_PlJNSB_9not_fun_tI7is_trueIxEEEEEE10hipError_tPvRmT3_T4_T5_T6_T7_T9_mT8_P12ihipStream_tbDpT10_ENKUlT_T0_E_clISt17integral_constantIbLb0EES1B_EEDaS16_S17_EUlS16_E_NS1_11comp_targetILNS1_3genE3ELNS1_11target_archE908ELNS1_3gpuE7ELNS1_3repE0EEENS1_30default_config_static_selectorELNS0_4arch9wavefront6targetE0EEEvT1_.kd
    .uniform_work_group_size: 1
    .uses_dynamic_stack: false
    .vgpr_count:     0
    .vgpr_spill_count: 0
    .wavefront_size: 32
    .workgroup_processor_mode: 1
  - .args:
      - .offset:         0
        .size:           120
        .value_kind:     by_value
    .group_segment_fixed_size: 0
    .kernarg_segment_align: 8
    .kernarg_segment_size: 120
    .language:       OpenCL C
    .language_version:
      - 2
      - 0
    .max_flat_workgroup_size: 256
    .name:           _ZN7rocprim17ROCPRIM_400000_NS6detail17trampoline_kernelINS0_14default_configENS1_25partition_config_selectorILNS1_17partition_subalgoE6ExNS0_10empty_typeEbEEZZNS1_14partition_implILS5_6ELb0ES3_mN6thrust23THRUST_200600_302600_NS6detail15normal_iteratorINSA_10device_ptrIxEEEEPS6_SG_NS0_5tupleIJNSA_16discard_iteratorINSA_11use_defaultEEES6_EEENSH_IJSG_SG_EEES6_PlJNSB_9not_fun_tI7is_trueIxEEEEEE10hipError_tPvRmT3_T4_T5_T6_T7_T9_mT8_P12ihipStream_tbDpT10_ENKUlT_T0_E_clISt17integral_constantIbLb0EES1B_EEDaS16_S17_EUlS16_E_NS1_11comp_targetILNS1_3genE2ELNS1_11target_archE906ELNS1_3gpuE6ELNS1_3repE0EEENS1_30default_config_static_selectorELNS0_4arch9wavefront6targetE0EEEvT1_
    .private_segment_fixed_size: 0
    .sgpr_count:     0
    .sgpr_spill_count: 0
    .symbol:         _ZN7rocprim17ROCPRIM_400000_NS6detail17trampoline_kernelINS0_14default_configENS1_25partition_config_selectorILNS1_17partition_subalgoE6ExNS0_10empty_typeEbEEZZNS1_14partition_implILS5_6ELb0ES3_mN6thrust23THRUST_200600_302600_NS6detail15normal_iteratorINSA_10device_ptrIxEEEEPS6_SG_NS0_5tupleIJNSA_16discard_iteratorINSA_11use_defaultEEES6_EEENSH_IJSG_SG_EEES6_PlJNSB_9not_fun_tI7is_trueIxEEEEEE10hipError_tPvRmT3_T4_T5_T6_T7_T9_mT8_P12ihipStream_tbDpT10_ENKUlT_T0_E_clISt17integral_constantIbLb0EES1B_EEDaS16_S17_EUlS16_E_NS1_11comp_targetILNS1_3genE2ELNS1_11target_archE906ELNS1_3gpuE6ELNS1_3repE0EEENS1_30default_config_static_selectorELNS0_4arch9wavefront6targetE0EEEvT1_.kd
    .uniform_work_group_size: 1
    .uses_dynamic_stack: false
    .vgpr_count:     0
    .vgpr_spill_count: 0
    .wavefront_size: 32
    .workgroup_processor_mode: 1
  - .args:
      - .offset:         0
        .size:           120
        .value_kind:     by_value
    .group_segment_fixed_size: 8464
    .kernarg_segment_align: 8
    .kernarg_segment_size: 120
    .language:       OpenCL C
    .language_version:
      - 2
      - 0
    .max_flat_workgroup_size: 256
    .name:           _ZN7rocprim17ROCPRIM_400000_NS6detail17trampoline_kernelINS0_14default_configENS1_25partition_config_selectorILNS1_17partition_subalgoE6ExNS0_10empty_typeEbEEZZNS1_14partition_implILS5_6ELb0ES3_mN6thrust23THRUST_200600_302600_NS6detail15normal_iteratorINSA_10device_ptrIxEEEEPS6_SG_NS0_5tupleIJNSA_16discard_iteratorINSA_11use_defaultEEES6_EEENSH_IJSG_SG_EEES6_PlJNSB_9not_fun_tI7is_trueIxEEEEEE10hipError_tPvRmT3_T4_T5_T6_T7_T9_mT8_P12ihipStream_tbDpT10_ENKUlT_T0_E_clISt17integral_constantIbLb0EES1B_EEDaS16_S17_EUlS16_E_NS1_11comp_targetILNS1_3genE10ELNS1_11target_archE1200ELNS1_3gpuE4ELNS1_3repE0EEENS1_30default_config_static_selectorELNS0_4arch9wavefront6targetE0EEEvT1_
    .private_segment_fixed_size: 0
    .sgpr_count:     23
    .sgpr_spill_count: 0
    .symbol:         _ZN7rocprim17ROCPRIM_400000_NS6detail17trampoline_kernelINS0_14default_configENS1_25partition_config_selectorILNS1_17partition_subalgoE6ExNS0_10empty_typeEbEEZZNS1_14partition_implILS5_6ELb0ES3_mN6thrust23THRUST_200600_302600_NS6detail15normal_iteratorINSA_10device_ptrIxEEEEPS6_SG_NS0_5tupleIJNSA_16discard_iteratorINSA_11use_defaultEEES6_EEENSH_IJSG_SG_EEES6_PlJNSB_9not_fun_tI7is_trueIxEEEEEE10hipError_tPvRmT3_T4_T5_T6_T7_T9_mT8_P12ihipStream_tbDpT10_ENKUlT_T0_E_clISt17integral_constantIbLb0EES1B_EEDaS16_S17_EUlS16_E_NS1_11comp_targetILNS1_3genE10ELNS1_11target_archE1200ELNS1_3gpuE4ELNS1_3repE0EEENS1_30default_config_static_selectorELNS0_4arch9wavefront6targetE0EEEvT1_.kd
    .uniform_work_group_size: 1
    .uses_dynamic_stack: false
    .vgpr_count:     45
    .vgpr_spill_count: 0
    .wavefront_size: 32
    .workgroup_processor_mode: 1
  - .args:
      - .offset:         0
        .size:           120
        .value_kind:     by_value
    .group_segment_fixed_size: 0
    .kernarg_segment_align: 8
    .kernarg_segment_size: 120
    .language:       OpenCL C
    .language_version:
      - 2
      - 0
    .max_flat_workgroup_size: 384
    .name:           _ZN7rocprim17ROCPRIM_400000_NS6detail17trampoline_kernelINS0_14default_configENS1_25partition_config_selectorILNS1_17partition_subalgoE6ExNS0_10empty_typeEbEEZZNS1_14partition_implILS5_6ELb0ES3_mN6thrust23THRUST_200600_302600_NS6detail15normal_iteratorINSA_10device_ptrIxEEEEPS6_SG_NS0_5tupleIJNSA_16discard_iteratorINSA_11use_defaultEEES6_EEENSH_IJSG_SG_EEES6_PlJNSB_9not_fun_tI7is_trueIxEEEEEE10hipError_tPvRmT3_T4_T5_T6_T7_T9_mT8_P12ihipStream_tbDpT10_ENKUlT_T0_E_clISt17integral_constantIbLb0EES1B_EEDaS16_S17_EUlS16_E_NS1_11comp_targetILNS1_3genE9ELNS1_11target_archE1100ELNS1_3gpuE3ELNS1_3repE0EEENS1_30default_config_static_selectorELNS0_4arch9wavefront6targetE0EEEvT1_
    .private_segment_fixed_size: 0
    .sgpr_count:     0
    .sgpr_spill_count: 0
    .symbol:         _ZN7rocprim17ROCPRIM_400000_NS6detail17trampoline_kernelINS0_14default_configENS1_25partition_config_selectorILNS1_17partition_subalgoE6ExNS0_10empty_typeEbEEZZNS1_14partition_implILS5_6ELb0ES3_mN6thrust23THRUST_200600_302600_NS6detail15normal_iteratorINSA_10device_ptrIxEEEEPS6_SG_NS0_5tupleIJNSA_16discard_iteratorINSA_11use_defaultEEES6_EEENSH_IJSG_SG_EEES6_PlJNSB_9not_fun_tI7is_trueIxEEEEEE10hipError_tPvRmT3_T4_T5_T6_T7_T9_mT8_P12ihipStream_tbDpT10_ENKUlT_T0_E_clISt17integral_constantIbLb0EES1B_EEDaS16_S17_EUlS16_E_NS1_11comp_targetILNS1_3genE9ELNS1_11target_archE1100ELNS1_3gpuE3ELNS1_3repE0EEENS1_30default_config_static_selectorELNS0_4arch9wavefront6targetE0EEEvT1_.kd
    .uniform_work_group_size: 1
    .uses_dynamic_stack: false
    .vgpr_count:     0
    .vgpr_spill_count: 0
    .wavefront_size: 32
    .workgroup_processor_mode: 1
  - .args:
      - .offset:         0
        .size:           120
        .value_kind:     by_value
    .group_segment_fixed_size: 0
    .kernarg_segment_align: 8
    .kernarg_segment_size: 120
    .language:       OpenCL C
    .language_version:
      - 2
      - 0
    .max_flat_workgroup_size: 512
    .name:           _ZN7rocprim17ROCPRIM_400000_NS6detail17trampoline_kernelINS0_14default_configENS1_25partition_config_selectorILNS1_17partition_subalgoE6ExNS0_10empty_typeEbEEZZNS1_14partition_implILS5_6ELb0ES3_mN6thrust23THRUST_200600_302600_NS6detail15normal_iteratorINSA_10device_ptrIxEEEEPS6_SG_NS0_5tupleIJNSA_16discard_iteratorINSA_11use_defaultEEES6_EEENSH_IJSG_SG_EEES6_PlJNSB_9not_fun_tI7is_trueIxEEEEEE10hipError_tPvRmT3_T4_T5_T6_T7_T9_mT8_P12ihipStream_tbDpT10_ENKUlT_T0_E_clISt17integral_constantIbLb0EES1B_EEDaS16_S17_EUlS16_E_NS1_11comp_targetILNS1_3genE8ELNS1_11target_archE1030ELNS1_3gpuE2ELNS1_3repE0EEENS1_30default_config_static_selectorELNS0_4arch9wavefront6targetE0EEEvT1_
    .private_segment_fixed_size: 0
    .sgpr_count:     0
    .sgpr_spill_count: 0
    .symbol:         _ZN7rocprim17ROCPRIM_400000_NS6detail17trampoline_kernelINS0_14default_configENS1_25partition_config_selectorILNS1_17partition_subalgoE6ExNS0_10empty_typeEbEEZZNS1_14partition_implILS5_6ELb0ES3_mN6thrust23THRUST_200600_302600_NS6detail15normal_iteratorINSA_10device_ptrIxEEEEPS6_SG_NS0_5tupleIJNSA_16discard_iteratorINSA_11use_defaultEEES6_EEENSH_IJSG_SG_EEES6_PlJNSB_9not_fun_tI7is_trueIxEEEEEE10hipError_tPvRmT3_T4_T5_T6_T7_T9_mT8_P12ihipStream_tbDpT10_ENKUlT_T0_E_clISt17integral_constantIbLb0EES1B_EEDaS16_S17_EUlS16_E_NS1_11comp_targetILNS1_3genE8ELNS1_11target_archE1030ELNS1_3gpuE2ELNS1_3repE0EEENS1_30default_config_static_selectorELNS0_4arch9wavefront6targetE0EEEvT1_.kd
    .uniform_work_group_size: 1
    .uses_dynamic_stack: false
    .vgpr_count:     0
    .vgpr_spill_count: 0
    .wavefront_size: 32
    .workgroup_processor_mode: 1
  - .args:
      - .offset:         0
        .size:           136
        .value_kind:     by_value
    .group_segment_fixed_size: 0
    .kernarg_segment_align: 8
    .kernarg_segment_size: 136
    .language:       OpenCL C
    .language_version:
      - 2
      - 0
    .max_flat_workgroup_size: 128
    .name:           _ZN7rocprim17ROCPRIM_400000_NS6detail17trampoline_kernelINS0_14default_configENS1_25partition_config_selectorILNS1_17partition_subalgoE6ExNS0_10empty_typeEbEEZZNS1_14partition_implILS5_6ELb0ES3_mN6thrust23THRUST_200600_302600_NS6detail15normal_iteratorINSA_10device_ptrIxEEEEPS6_SG_NS0_5tupleIJNSA_16discard_iteratorINSA_11use_defaultEEES6_EEENSH_IJSG_SG_EEES6_PlJNSB_9not_fun_tI7is_trueIxEEEEEE10hipError_tPvRmT3_T4_T5_T6_T7_T9_mT8_P12ihipStream_tbDpT10_ENKUlT_T0_E_clISt17integral_constantIbLb1EES1B_EEDaS16_S17_EUlS16_E_NS1_11comp_targetILNS1_3genE0ELNS1_11target_archE4294967295ELNS1_3gpuE0ELNS1_3repE0EEENS1_30default_config_static_selectorELNS0_4arch9wavefront6targetE0EEEvT1_
    .private_segment_fixed_size: 0
    .sgpr_count:     0
    .sgpr_spill_count: 0
    .symbol:         _ZN7rocprim17ROCPRIM_400000_NS6detail17trampoline_kernelINS0_14default_configENS1_25partition_config_selectorILNS1_17partition_subalgoE6ExNS0_10empty_typeEbEEZZNS1_14partition_implILS5_6ELb0ES3_mN6thrust23THRUST_200600_302600_NS6detail15normal_iteratorINSA_10device_ptrIxEEEEPS6_SG_NS0_5tupleIJNSA_16discard_iteratorINSA_11use_defaultEEES6_EEENSH_IJSG_SG_EEES6_PlJNSB_9not_fun_tI7is_trueIxEEEEEE10hipError_tPvRmT3_T4_T5_T6_T7_T9_mT8_P12ihipStream_tbDpT10_ENKUlT_T0_E_clISt17integral_constantIbLb1EES1B_EEDaS16_S17_EUlS16_E_NS1_11comp_targetILNS1_3genE0ELNS1_11target_archE4294967295ELNS1_3gpuE0ELNS1_3repE0EEENS1_30default_config_static_selectorELNS0_4arch9wavefront6targetE0EEEvT1_.kd
    .uniform_work_group_size: 1
    .uses_dynamic_stack: false
    .vgpr_count:     0
    .vgpr_spill_count: 0
    .wavefront_size: 32
    .workgroup_processor_mode: 1
  - .args:
      - .offset:         0
        .size:           136
        .value_kind:     by_value
    .group_segment_fixed_size: 0
    .kernarg_segment_align: 8
    .kernarg_segment_size: 136
    .language:       OpenCL C
    .language_version:
      - 2
      - 0
    .max_flat_workgroup_size: 512
    .name:           _ZN7rocprim17ROCPRIM_400000_NS6detail17trampoline_kernelINS0_14default_configENS1_25partition_config_selectorILNS1_17partition_subalgoE6ExNS0_10empty_typeEbEEZZNS1_14partition_implILS5_6ELb0ES3_mN6thrust23THRUST_200600_302600_NS6detail15normal_iteratorINSA_10device_ptrIxEEEEPS6_SG_NS0_5tupleIJNSA_16discard_iteratorINSA_11use_defaultEEES6_EEENSH_IJSG_SG_EEES6_PlJNSB_9not_fun_tI7is_trueIxEEEEEE10hipError_tPvRmT3_T4_T5_T6_T7_T9_mT8_P12ihipStream_tbDpT10_ENKUlT_T0_E_clISt17integral_constantIbLb1EES1B_EEDaS16_S17_EUlS16_E_NS1_11comp_targetILNS1_3genE5ELNS1_11target_archE942ELNS1_3gpuE9ELNS1_3repE0EEENS1_30default_config_static_selectorELNS0_4arch9wavefront6targetE0EEEvT1_
    .private_segment_fixed_size: 0
    .sgpr_count:     0
    .sgpr_spill_count: 0
    .symbol:         _ZN7rocprim17ROCPRIM_400000_NS6detail17trampoline_kernelINS0_14default_configENS1_25partition_config_selectorILNS1_17partition_subalgoE6ExNS0_10empty_typeEbEEZZNS1_14partition_implILS5_6ELb0ES3_mN6thrust23THRUST_200600_302600_NS6detail15normal_iteratorINSA_10device_ptrIxEEEEPS6_SG_NS0_5tupleIJNSA_16discard_iteratorINSA_11use_defaultEEES6_EEENSH_IJSG_SG_EEES6_PlJNSB_9not_fun_tI7is_trueIxEEEEEE10hipError_tPvRmT3_T4_T5_T6_T7_T9_mT8_P12ihipStream_tbDpT10_ENKUlT_T0_E_clISt17integral_constantIbLb1EES1B_EEDaS16_S17_EUlS16_E_NS1_11comp_targetILNS1_3genE5ELNS1_11target_archE942ELNS1_3gpuE9ELNS1_3repE0EEENS1_30default_config_static_selectorELNS0_4arch9wavefront6targetE0EEEvT1_.kd
    .uniform_work_group_size: 1
    .uses_dynamic_stack: false
    .vgpr_count:     0
    .vgpr_spill_count: 0
    .wavefront_size: 32
    .workgroup_processor_mode: 1
  - .args:
      - .offset:         0
        .size:           136
        .value_kind:     by_value
    .group_segment_fixed_size: 0
    .kernarg_segment_align: 8
    .kernarg_segment_size: 136
    .language:       OpenCL C
    .language_version:
      - 2
      - 0
    .max_flat_workgroup_size: 512
    .name:           _ZN7rocprim17ROCPRIM_400000_NS6detail17trampoline_kernelINS0_14default_configENS1_25partition_config_selectorILNS1_17partition_subalgoE6ExNS0_10empty_typeEbEEZZNS1_14partition_implILS5_6ELb0ES3_mN6thrust23THRUST_200600_302600_NS6detail15normal_iteratorINSA_10device_ptrIxEEEEPS6_SG_NS0_5tupleIJNSA_16discard_iteratorINSA_11use_defaultEEES6_EEENSH_IJSG_SG_EEES6_PlJNSB_9not_fun_tI7is_trueIxEEEEEE10hipError_tPvRmT3_T4_T5_T6_T7_T9_mT8_P12ihipStream_tbDpT10_ENKUlT_T0_E_clISt17integral_constantIbLb1EES1B_EEDaS16_S17_EUlS16_E_NS1_11comp_targetILNS1_3genE4ELNS1_11target_archE910ELNS1_3gpuE8ELNS1_3repE0EEENS1_30default_config_static_selectorELNS0_4arch9wavefront6targetE0EEEvT1_
    .private_segment_fixed_size: 0
    .sgpr_count:     0
    .sgpr_spill_count: 0
    .symbol:         _ZN7rocprim17ROCPRIM_400000_NS6detail17trampoline_kernelINS0_14default_configENS1_25partition_config_selectorILNS1_17partition_subalgoE6ExNS0_10empty_typeEbEEZZNS1_14partition_implILS5_6ELb0ES3_mN6thrust23THRUST_200600_302600_NS6detail15normal_iteratorINSA_10device_ptrIxEEEEPS6_SG_NS0_5tupleIJNSA_16discard_iteratorINSA_11use_defaultEEES6_EEENSH_IJSG_SG_EEES6_PlJNSB_9not_fun_tI7is_trueIxEEEEEE10hipError_tPvRmT3_T4_T5_T6_T7_T9_mT8_P12ihipStream_tbDpT10_ENKUlT_T0_E_clISt17integral_constantIbLb1EES1B_EEDaS16_S17_EUlS16_E_NS1_11comp_targetILNS1_3genE4ELNS1_11target_archE910ELNS1_3gpuE8ELNS1_3repE0EEENS1_30default_config_static_selectorELNS0_4arch9wavefront6targetE0EEEvT1_.kd
    .uniform_work_group_size: 1
    .uses_dynamic_stack: false
    .vgpr_count:     0
    .vgpr_spill_count: 0
    .wavefront_size: 32
    .workgroup_processor_mode: 1
  - .args:
      - .offset:         0
        .size:           136
        .value_kind:     by_value
    .group_segment_fixed_size: 0
    .kernarg_segment_align: 8
    .kernarg_segment_size: 136
    .language:       OpenCL C
    .language_version:
      - 2
      - 0
    .max_flat_workgroup_size: 128
    .name:           _ZN7rocprim17ROCPRIM_400000_NS6detail17trampoline_kernelINS0_14default_configENS1_25partition_config_selectorILNS1_17partition_subalgoE6ExNS0_10empty_typeEbEEZZNS1_14partition_implILS5_6ELb0ES3_mN6thrust23THRUST_200600_302600_NS6detail15normal_iteratorINSA_10device_ptrIxEEEEPS6_SG_NS0_5tupleIJNSA_16discard_iteratorINSA_11use_defaultEEES6_EEENSH_IJSG_SG_EEES6_PlJNSB_9not_fun_tI7is_trueIxEEEEEE10hipError_tPvRmT3_T4_T5_T6_T7_T9_mT8_P12ihipStream_tbDpT10_ENKUlT_T0_E_clISt17integral_constantIbLb1EES1B_EEDaS16_S17_EUlS16_E_NS1_11comp_targetILNS1_3genE3ELNS1_11target_archE908ELNS1_3gpuE7ELNS1_3repE0EEENS1_30default_config_static_selectorELNS0_4arch9wavefront6targetE0EEEvT1_
    .private_segment_fixed_size: 0
    .sgpr_count:     0
    .sgpr_spill_count: 0
    .symbol:         _ZN7rocprim17ROCPRIM_400000_NS6detail17trampoline_kernelINS0_14default_configENS1_25partition_config_selectorILNS1_17partition_subalgoE6ExNS0_10empty_typeEbEEZZNS1_14partition_implILS5_6ELb0ES3_mN6thrust23THRUST_200600_302600_NS6detail15normal_iteratorINSA_10device_ptrIxEEEEPS6_SG_NS0_5tupleIJNSA_16discard_iteratorINSA_11use_defaultEEES6_EEENSH_IJSG_SG_EEES6_PlJNSB_9not_fun_tI7is_trueIxEEEEEE10hipError_tPvRmT3_T4_T5_T6_T7_T9_mT8_P12ihipStream_tbDpT10_ENKUlT_T0_E_clISt17integral_constantIbLb1EES1B_EEDaS16_S17_EUlS16_E_NS1_11comp_targetILNS1_3genE3ELNS1_11target_archE908ELNS1_3gpuE7ELNS1_3repE0EEENS1_30default_config_static_selectorELNS0_4arch9wavefront6targetE0EEEvT1_.kd
    .uniform_work_group_size: 1
    .uses_dynamic_stack: false
    .vgpr_count:     0
    .vgpr_spill_count: 0
    .wavefront_size: 32
    .workgroup_processor_mode: 1
  - .args:
      - .offset:         0
        .size:           136
        .value_kind:     by_value
    .group_segment_fixed_size: 0
    .kernarg_segment_align: 8
    .kernarg_segment_size: 136
    .language:       OpenCL C
    .language_version:
      - 2
      - 0
    .max_flat_workgroup_size: 256
    .name:           _ZN7rocprim17ROCPRIM_400000_NS6detail17trampoline_kernelINS0_14default_configENS1_25partition_config_selectorILNS1_17partition_subalgoE6ExNS0_10empty_typeEbEEZZNS1_14partition_implILS5_6ELb0ES3_mN6thrust23THRUST_200600_302600_NS6detail15normal_iteratorINSA_10device_ptrIxEEEEPS6_SG_NS0_5tupleIJNSA_16discard_iteratorINSA_11use_defaultEEES6_EEENSH_IJSG_SG_EEES6_PlJNSB_9not_fun_tI7is_trueIxEEEEEE10hipError_tPvRmT3_T4_T5_T6_T7_T9_mT8_P12ihipStream_tbDpT10_ENKUlT_T0_E_clISt17integral_constantIbLb1EES1B_EEDaS16_S17_EUlS16_E_NS1_11comp_targetILNS1_3genE2ELNS1_11target_archE906ELNS1_3gpuE6ELNS1_3repE0EEENS1_30default_config_static_selectorELNS0_4arch9wavefront6targetE0EEEvT1_
    .private_segment_fixed_size: 0
    .sgpr_count:     0
    .sgpr_spill_count: 0
    .symbol:         _ZN7rocprim17ROCPRIM_400000_NS6detail17trampoline_kernelINS0_14default_configENS1_25partition_config_selectorILNS1_17partition_subalgoE6ExNS0_10empty_typeEbEEZZNS1_14partition_implILS5_6ELb0ES3_mN6thrust23THRUST_200600_302600_NS6detail15normal_iteratorINSA_10device_ptrIxEEEEPS6_SG_NS0_5tupleIJNSA_16discard_iteratorINSA_11use_defaultEEES6_EEENSH_IJSG_SG_EEES6_PlJNSB_9not_fun_tI7is_trueIxEEEEEE10hipError_tPvRmT3_T4_T5_T6_T7_T9_mT8_P12ihipStream_tbDpT10_ENKUlT_T0_E_clISt17integral_constantIbLb1EES1B_EEDaS16_S17_EUlS16_E_NS1_11comp_targetILNS1_3genE2ELNS1_11target_archE906ELNS1_3gpuE6ELNS1_3repE0EEENS1_30default_config_static_selectorELNS0_4arch9wavefront6targetE0EEEvT1_.kd
    .uniform_work_group_size: 1
    .uses_dynamic_stack: false
    .vgpr_count:     0
    .vgpr_spill_count: 0
    .wavefront_size: 32
    .workgroup_processor_mode: 1
  - .args:
      - .offset:         0
        .size:           136
        .value_kind:     by_value
    .group_segment_fixed_size: 0
    .kernarg_segment_align: 8
    .kernarg_segment_size: 136
    .language:       OpenCL C
    .language_version:
      - 2
      - 0
    .max_flat_workgroup_size: 256
    .name:           _ZN7rocprim17ROCPRIM_400000_NS6detail17trampoline_kernelINS0_14default_configENS1_25partition_config_selectorILNS1_17partition_subalgoE6ExNS0_10empty_typeEbEEZZNS1_14partition_implILS5_6ELb0ES3_mN6thrust23THRUST_200600_302600_NS6detail15normal_iteratorINSA_10device_ptrIxEEEEPS6_SG_NS0_5tupleIJNSA_16discard_iteratorINSA_11use_defaultEEES6_EEENSH_IJSG_SG_EEES6_PlJNSB_9not_fun_tI7is_trueIxEEEEEE10hipError_tPvRmT3_T4_T5_T6_T7_T9_mT8_P12ihipStream_tbDpT10_ENKUlT_T0_E_clISt17integral_constantIbLb1EES1B_EEDaS16_S17_EUlS16_E_NS1_11comp_targetILNS1_3genE10ELNS1_11target_archE1200ELNS1_3gpuE4ELNS1_3repE0EEENS1_30default_config_static_selectorELNS0_4arch9wavefront6targetE0EEEvT1_
    .private_segment_fixed_size: 0
    .sgpr_count:     0
    .sgpr_spill_count: 0
    .symbol:         _ZN7rocprim17ROCPRIM_400000_NS6detail17trampoline_kernelINS0_14default_configENS1_25partition_config_selectorILNS1_17partition_subalgoE6ExNS0_10empty_typeEbEEZZNS1_14partition_implILS5_6ELb0ES3_mN6thrust23THRUST_200600_302600_NS6detail15normal_iteratorINSA_10device_ptrIxEEEEPS6_SG_NS0_5tupleIJNSA_16discard_iteratorINSA_11use_defaultEEES6_EEENSH_IJSG_SG_EEES6_PlJNSB_9not_fun_tI7is_trueIxEEEEEE10hipError_tPvRmT3_T4_T5_T6_T7_T9_mT8_P12ihipStream_tbDpT10_ENKUlT_T0_E_clISt17integral_constantIbLb1EES1B_EEDaS16_S17_EUlS16_E_NS1_11comp_targetILNS1_3genE10ELNS1_11target_archE1200ELNS1_3gpuE4ELNS1_3repE0EEENS1_30default_config_static_selectorELNS0_4arch9wavefront6targetE0EEEvT1_.kd
    .uniform_work_group_size: 1
    .uses_dynamic_stack: false
    .vgpr_count:     0
    .vgpr_spill_count: 0
    .wavefront_size: 32
    .workgroup_processor_mode: 1
  - .args:
      - .offset:         0
        .size:           136
        .value_kind:     by_value
    .group_segment_fixed_size: 0
    .kernarg_segment_align: 8
    .kernarg_segment_size: 136
    .language:       OpenCL C
    .language_version:
      - 2
      - 0
    .max_flat_workgroup_size: 384
    .name:           _ZN7rocprim17ROCPRIM_400000_NS6detail17trampoline_kernelINS0_14default_configENS1_25partition_config_selectorILNS1_17partition_subalgoE6ExNS0_10empty_typeEbEEZZNS1_14partition_implILS5_6ELb0ES3_mN6thrust23THRUST_200600_302600_NS6detail15normal_iteratorINSA_10device_ptrIxEEEEPS6_SG_NS0_5tupleIJNSA_16discard_iteratorINSA_11use_defaultEEES6_EEENSH_IJSG_SG_EEES6_PlJNSB_9not_fun_tI7is_trueIxEEEEEE10hipError_tPvRmT3_T4_T5_T6_T7_T9_mT8_P12ihipStream_tbDpT10_ENKUlT_T0_E_clISt17integral_constantIbLb1EES1B_EEDaS16_S17_EUlS16_E_NS1_11comp_targetILNS1_3genE9ELNS1_11target_archE1100ELNS1_3gpuE3ELNS1_3repE0EEENS1_30default_config_static_selectorELNS0_4arch9wavefront6targetE0EEEvT1_
    .private_segment_fixed_size: 0
    .sgpr_count:     0
    .sgpr_spill_count: 0
    .symbol:         _ZN7rocprim17ROCPRIM_400000_NS6detail17trampoline_kernelINS0_14default_configENS1_25partition_config_selectorILNS1_17partition_subalgoE6ExNS0_10empty_typeEbEEZZNS1_14partition_implILS5_6ELb0ES3_mN6thrust23THRUST_200600_302600_NS6detail15normal_iteratorINSA_10device_ptrIxEEEEPS6_SG_NS0_5tupleIJNSA_16discard_iteratorINSA_11use_defaultEEES6_EEENSH_IJSG_SG_EEES6_PlJNSB_9not_fun_tI7is_trueIxEEEEEE10hipError_tPvRmT3_T4_T5_T6_T7_T9_mT8_P12ihipStream_tbDpT10_ENKUlT_T0_E_clISt17integral_constantIbLb1EES1B_EEDaS16_S17_EUlS16_E_NS1_11comp_targetILNS1_3genE9ELNS1_11target_archE1100ELNS1_3gpuE3ELNS1_3repE0EEENS1_30default_config_static_selectorELNS0_4arch9wavefront6targetE0EEEvT1_.kd
    .uniform_work_group_size: 1
    .uses_dynamic_stack: false
    .vgpr_count:     0
    .vgpr_spill_count: 0
    .wavefront_size: 32
    .workgroup_processor_mode: 1
  - .args:
      - .offset:         0
        .size:           136
        .value_kind:     by_value
    .group_segment_fixed_size: 0
    .kernarg_segment_align: 8
    .kernarg_segment_size: 136
    .language:       OpenCL C
    .language_version:
      - 2
      - 0
    .max_flat_workgroup_size: 512
    .name:           _ZN7rocprim17ROCPRIM_400000_NS6detail17trampoline_kernelINS0_14default_configENS1_25partition_config_selectorILNS1_17partition_subalgoE6ExNS0_10empty_typeEbEEZZNS1_14partition_implILS5_6ELb0ES3_mN6thrust23THRUST_200600_302600_NS6detail15normal_iteratorINSA_10device_ptrIxEEEEPS6_SG_NS0_5tupleIJNSA_16discard_iteratorINSA_11use_defaultEEES6_EEENSH_IJSG_SG_EEES6_PlJNSB_9not_fun_tI7is_trueIxEEEEEE10hipError_tPvRmT3_T4_T5_T6_T7_T9_mT8_P12ihipStream_tbDpT10_ENKUlT_T0_E_clISt17integral_constantIbLb1EES1B_EEDaS16_S17_EUlS16_E_NS1_11comp_targetILNS1_3genE8ELNS1_11target_archE1030ELNS1_3gpuE2ELNS1_3repE0EEENS1_30default_config_static_selectorELNS0_4arch9wavefront6targetE0EEEvT1_
    .private_segment_fixed_size: 0
    .sgpr_count:     0
    .sgpr_spill_count: 0
    .symbol:         _ZN7rocprim17ROCPRIM_400000_NS6detail17trampoline_kernelINS0_14default_configENS1_25partition_config_selectorILNS1_17partition_subalgoE6ExNS0_10empty_typeEbEEZZNS1_14partition_implILS5_6ELb0ES3_mN6thrust23THRUST_200600_302600_NS6detail15normal_iteratorINSA_10device_ptrIxEEEEPS6_SG_NS0_5tupleIJNSA_16discard_iteratorINSA_11use_defaultEEES6_EEENSH_IJSG_SG_EEES6_PlJNSB_9not_fun_tI7is_trueIxEEEEEE10hipError_tPvRmT3_T4_T5_T6_T7_T9_mT8_P12ihipStream_tbDpT10_ENKUlT_T0_E_clISt17integral_constantIbLb1EES1B_EEDaS16_S17_EUlS16_E_NS1_11comp_targetILNS1_3genE8ELNS1_11target_archE1030ELNS1_3gpuE2ELNS1_3repE0EEENS1_30default_config_static_selectorELNS0_4arch9wavefront6targetE0EEEvT1_.kd
    .uniform_work_group_size: 1
    .uses_dynamic_stack: false
    .vgpr_count:     0
    .vgpr_spill_count: 0
    .wavefront_size: 32
    .workgroup_processor_mode: 1
  - .args:
      - .offset:         0
        .size:           120
        .value_kind:     by_value
    .group_segment_fixed_size: 0
    .kernarg_segment_align: 8
    .kernarg_segment_size: 120
    .language:       OpenCL C
    .language_version:
      - 2
      - 0
    .max_flat_workgroup_size: 128
    .name:           _ZN7rocprim17ROCPRIM_400000_NS6detail17trampoline_kernelINS0_14default_configENS1_25partition_config_selectorILNS1_17partition_subalgoE6ExNS0_10empty_typeEbEEZZNS1_14partition_implILS5_6ELb0ES3_mN6thrust23THRUST_200600_302600_NS6detail15normal_iteratorINSA_10device_ptrIxEEEEPS6_SG_NS0_5tupleIJNSA_16discard_iteratorINSA_11use_defaultEEES6_EEENSH_IJSG_SG_EEES6_PlJNSB_9not_fun_tI7is_trueIxEEEEEE10hipError_tPvRmT3_T4_T5_T6_T7_T9_mT8_P12ihipStream_tbDpT10_ENKUlT_T0_E_clISt17integral_constantIbLb1EES1A_IbLb0EEEEDaS16_S17_EUlS16_E_NS1_11comp_targetILNS1_3genE0ELNS1_11target_archE4294967295ELNS1_3gpuE0ELNS1_3repE0EEENS1_30default_config_static_selectorELNS0_4arch9wavefront6targetE0EEEvT1_
    .private_segment_fixed_size: 0
    .sgpr_count:     0
    .sgpr_spill_count: 0
    .symbol:         _ZN7rocprim17ROCPRIM_400000_NS6detail17trampoline_kernelINS0_14default_configENS1_25partition_config_selectorILNS1_17partition_subalgoE6ExNS0_10empty_typeEbEEZZNS1_14partition_implILS5_6ELb0ES3_mN6thrust23THRUST_200600_302600_NS6detail15normal_iteratorINSA_10device_ptrIxEEEEPS6_SG_NS0_5tupleIJNSA_16discard_iteratorINSA_11use_defaultEEES6_EEENSH_IJSG_SG_EEES6_PlJNSB_9not_fun_tI7is_trueIxEEEEEE10hipError_tPvRmT3_T4_T5_T6_T7_T9_mT8_P12ihipStream_tbDpT10_ENKUlT_T0_E_clISt17integral_constantIbLb1EES1A_IbLb0EEEEDaS16_S17_EUlS16_E_NS1_11comp_targetILNS1_3genE0ELNS1_11target_archE4294967295ELNS1_3gpuE0ELNS1_3repE0EEENS1_30default_config_static_selectorELNS0_4arch9wavefront6targetE0EEEvT1_.kd
    .uniform_work_group_size: 1
    .uses_dynamic_stack: false
    .vgpr_count:     0
    .vgpr_spill_count: 0
    .wavefront_size: 32
    .workgroup_processor_mode: 1
  - .args:
      - .offset:         0
        .size:           120
        .value_kind:     by_value
    .group_segment_fixed_size: 0
    .kernarg_segment_align: 8
    .kernarg_segment_size: 120
    .language:       OpenCL C
    .language_version:
      - 2
      - 0
    .max_flat_workgroup_size: 512
    .name:           _ZN7rocprim17ROCPRIM_400000_NS6detail17trampoline_kernelINS0_14default_configENS1_25partition_config_selectorILNS1_17partition_subalgoE6ExNS0_10empty_typeEbEEZZNS1_14partition_implILS5_6ELb0ES3_mN6thrust23THRUST_200600_302600_NS6detail15normal_iteratorINSA_10device_ptrIxEEEEPS6_SG_NS0_5tupleIJNSA_16discard_iteratorINSA_11use_defaultEEES6_EEENSH_IJSG_SG_EEES6_PlJNSB_9not_fun_tI7is_trueIxEEEEEE10hipError_tPvRmT3_T4_T5_T6_T7_T9_mT8_P12ihipStream_tbDpT10_ENKUlT_T0_E_clISt17integral_constantIbLb1EES1A_IbLb0EEEEDaS16_S17_EUlS16_E_NS1_11comp_targetILNS1_3genE5ELNS1_11target_archE942ELNS1_3gpuE9ELNS1_3repE0EEENS1_30default_config_static_selectorELNS0_4arch9wavefront6targetE0EEEvT1_
    .private_segment_fixed_size: 0
    .sgpr_count:     0
    .sgpr_spill_count: 0
    .symbol:         _ZN7rocprim17ROCPRIM_400000_NS6detail17trampoline_kernelINS0_14default_configENS1_25partition_config_selectorILNS1_17partition_subalgoE6ExNS0_10empty_typeEbEEZZNS1_14partition_implILS5_6ELb0ES3_mN6thrust23THRUST_200600_302600_NS6detail15normal_iteratorINSA_10device_ptrIxEEEEPS6_SG_NS0_5tupleIJNSA_16discard_iteratorINSA_11use_defaultEEES6_EEENSH_IJSG_SG_EEES6_PlJNSB_9not_fun_tI7is_trueIxEEEEEE10hipError_tPvRmT3_T4_T5_T6_T7_T9_mT8_P12ihipStream_tbDpT10_ENKUlT_T0_E_clISt17integral_constantIbLb1EES1A_IbLb0EEEEDaS16_S17_EUlS16_E_NS1_11comp_targetILNS1_3genE5ELNS1_11target_archE942ELNS1_3gpuE9ELNS1_3repE0EEENS1_30default_config_static_selectorELNS0_4arch9wavefront6targetE0EEEvT1_.kd
    .uniform_work_group_size: 1
    .uses_dynamic_stack: false
    .vgpr_count:     0
    .vgpr_spill_count: 0
    .wavefront_size: 32
    .workgroup_processor_mode: 1
  - .args:
      - .offset:         0
        .size:           120
        .value_kind:     by_value
    .group_segment_fixed_size: 0
    .kernarg_segment_align: 8
    .kernarg_segment_size: 120
    .language:       OpenCL C
    .language_version:
      - 2
      - 0
    .max_flat_workgroup_size: 512
    .name:           _ZN7rocprim17ROCPRIM_400000_NS6detail17trampoline_kernelINS0_14default_configENS1_25partition_config_selectorILNS1_17partition_subalgoE6ExNS0_10empty_typeEbEEZZNS1_14partition_implILS5_6ELb0ES3_mN6thrust23THRUST_200600_302600_NS6detail15normal_iteratorINSA_10device_ptrIxEEEEPS6_SG_NS0_5tupleIJNSA_16discard_iteratorINSA_11use_defaultEEES6_EEENSH_IJSG_SG_EEES6_PlJNSB_9not_fun_tI7is_trueIxEEEEEE10hipError_tPvRmT3_T4_T5_T6_T7_T9_mT8_P12ihipStream_tbDpT10_ENKUlT_T0_E_clISt17integral_constantIbLb1EES1A_IbLb0EEEEDaS16_S17_EUlS16_E_NS1_11comp_targetILNS1_3genE4ELNS1_11target_archE910ELNS1_3gpuE8ELNS1_3repE0EEENS1_30default_config_static_selectorELNS0_4arch9wavefront6targetE0EEEvT1_
    .private_segment_fixed_size: 0
    .sgpr_count:     0
    .sgpr_spill_count: 0
    .symbol:         _ZN7rocprim17ROCPRIM_400000_NS6detail17trampoline_kernelINS0_14default_configENS1_25partition_config_selectorILNS1_17partition_subalgoE6ExNS0_10empty_typeEbEEZZNS1_14partition_implILS5_6ELb0ES3_mN6thrust23THRUST_200600_302600_NS6detail15normal_iteratorINSA_10device_ptrIxEEEEPS6_SG_NS0_5tupleIJNSA_16discard_iteratorINSA_11use_defaultEEES6_EEENSH_IJSG_SG_EEES6_PlJNSB_9not_fun_tI7is_trueIxEEEEEE10hipError_tPvRmT3_T4_T5_T6_T7_T9_mT8_P12ihipStream_tbDpT10_ENKUlT_T0_E_clISt17integral_constantIbLb1EES1A_IbLb0EEEEDaS16_S17_EUlS16_E_NS1_11comp_targetILNS1_3genE4ELNS1_11target_archE910ELNS1_3gpuE8ELNS1_3repE0EEENS1_30default_config_static_selectorELNS0_4arch9wavefront6targetE0EEEvT1_.kd
    .uniform_work_group_size: 1
    .uses_dynamic_stack: false
    .vgpr_count:     0
    .vgpr_spill_count: 0
    .wavefront_size: 32
    .workgroup_processor_mode: 1
  - .args:
      - .offset:         0
        .size:           120
        .value_kind:     by_value
    .group_segment_fixed_size: 0
    .kernarg_segment_align: 8
    .kernarg_segment_size: 120
    .language:       OpenCL C
    .language_version:
      - 2
      - 0
    .max_flat_workgroup_size: 128
    .name:           _ZN7rocprim17ROCPRIM_400000_NS6detail17trampoline_kernelINS0_14default_configENS1_25partition_config_selectorILNS1_17partition_subalgoE6ExNS0_10empty_typeEbEEZZNS1_14partition_implILS5_6ELb0ES3_mN6thrust23THRUST_200600_302600_NS6detail15normal_iteratorINSA_10device_ptrIxEEEEPS6_SG_NS0_5tupleIJNSA_16discard_iteratorINSA_11use_defaultEEES6_EEENSH_IJSG_SG_EEES6_PlJNSB_9not_fun_tI7is_trueIxEEEEEE10hipError_tPvRmT3_T4_T5_T6_T7_T9_mT8_P12ihipStream_tbDpT10_ENKUlT_T0_E_clISt17integral_constantIbLb1EES1A_IbLb0EEEEDaS16_S17_EUlS16_E_NS1_11comp_targetILNS1_3genE3ELNS1_11target_archE908ELNS1_3gpuE7ELNS1_3repE0EEENS1_30default_config_static_selectorELNS0_4arch9wavefront6targetE0EEEvT1_
    .private_segment_fixed_size: 0
    .sgpr_count:     0
    .sgpr_spill_count: 0
    .symbol:         _ZN7rocprim17ROCPRIM_400000_NS6detail17trampoline_kernelINS0_14default_configENS1_25partition_config_selectorILNS1_17partition_subalgoE6ExNS0_10empty_typeEbEEZZNS1_14partition_implILS5_6ELb0ES3_mN6thrust23THRUST_200600_302600_NS6detail15normal_iteratorINSA_10device_ptrIxEEEEPS6_SG_NS0_5tupleIJNSA_16discard_iteratorINSA_11use_defaultEEES6_EEENSH_IJSG_SG_EEES6_PlJNSB_9not_fun_tI7is_trueIxEEEEEE10hipError_tPvRmT3_T4_T5_T6_T7_T9_mT8_P12ihipStream_tbDpT10_ENKUlT_T0_E_clISt17integral_constantIbLb1EES1A_IbLb0EEEEDaS16_S17_EUlS16_E_NS1_11comp_targetILNS1_3genE3ELNS1_11target_archE908ELNS1_3gpuE7ELNS1_3repE0EEENS1_30default_config_static_selectorELNS0_4arch9wavefront6targetE0EEEvT1_.kd
    .uniform_work_group_size: 1
    .uses_dynamic_stack: false
    .vgpr_count:     0
    .vgpr_spill_count: 0
    .wavefront_size: 32
    .workgroup_processor_mode: 1
  - .args:
      - .offset:         0
        .size:           120
        .value_kind:     by_value
    .group_segment_fixed_size: 0
    .kernarg_segment_align: 8
    .kernarg_segment_size: 120
    .language:       OpenCL C
    .language_version:
      - 2
      - 0
    .max_flat_workgroup_size: 256
    .name:           _ZN7rocprim17ROCPRIM_400000_NS6detail17trampoline_kernelINS0_14default_configENS1_25partition_config_selectorILNS1_17partition_subalgoE6ExNS0_10empty_typeEbEEZZNS1_14partition_implILS5_6ELb0ES3_mN6thrust23THRUST_200600_302600_NS6detail15normal_iteratorINSA_10device_ptrIxEEEEPS6_SG_NS0_5tupleIJNSA_16discard_iteratorINSA_11use_defaultEEES6_EEENSH_IJSG_SG_EEES6_PlJNSB_9not_fun_tI7is_trueIxEEEEEE10hipError_tPvRmT3_T4_T5_T6_T7_T9_mT8_P12ihipStream_tbDpT10_ENKUlT_T0_E_clISt17integral_constantIbLb1EES1A_IbLb0EEEEDaS16_S17_EUlS16_E_NS1_11comp_targetILNS1_3genE2ELNS1_11target_archE906ELNS1_3gpuE6ELNS1_3repE0EEENS1_30default_config_static_selectorELNS0_4arch9wavefront6targetE0EEEvT1_
    .private_segment_fixed_size: 0
    .sgpr_count:     0
    .sgpr_spill_count: 0
    .symbol:         _ZN7rocprim17ROCPRIM_400000_NS6detail17trampoline_kernelINS0_14default_configENS1_25partition_config_selectorILNS1_17partition_subalgoE6ExNS0_10empty_typeEbEEZZNS1_14partition_implILS5_6ELb0ES3_mN6thrust23THRUST_200600_302600_NS6detail15normal_iteratorINSA_10device_ptrIxEEEEPS6_SG_NS0_5tupleIJNSA_16discard_iteratorINSA_11use_defaultEEES6_EEENSH_IJSG_SG_EEES6_PlJNSB_9not_fun_tI7is_trueIxEEEEEE10hipError_tPvRmT3_T4_T5_T6_T7_T9_mT8_P12ihipStream_tbDpT10_ENKUlT_T0_E_clISt17integral_constantIbLb1EES1A_IbLb0EEEEDaS16_S17_EUlS16_E_NS1_11comp_targetILNS1_3genE2ELNS1_11target_archE906ELNS1_3gpuE6ELNS1_3repE0EEENS1_30default_config_static_selectorELNS0_4arch9wavefront6targetE0EEEvT1_.kd
    .uniform_work_group_size: 1
    .uses_dynamic_stack: false
    .vgpr_count:     0
    .vgpr_spill_count: 0
    .wavefront_size: 32
    .workgroup_processor_mode: 1
  - .args:
      - .offset:         0
        .size:           120
        .value_kind:     by_value
    .group_segment_fixed_size: 0
    .kernarg_segment_align: 8
    .kernarg_segment_size: 120
    .language:       OpenCL C
    .language_version:
      - 2
      - 0
    .max_flat_workgroup_size: 256
    .name:           _ZN7rocprim17ROCPRIM_400000_NS6detail17trampoline_kernelINS0_14default_configENS1_25partition_config_selectorILNS1_17partition_subalgoE6ExNS0_10empty_typeEbEEZZNS1_14partition_implILS5_6ELb0ES3_mN6thrust23THRUST_200600_302600_NS6detail15normal_iteratorINSA_10device_ptrIxEEEEPS6_SG_NS0_5tupleIJNSA_16discard_iteratorINSA_11use_defaultEEES6_EEENSH_IJSG_SG_EEES6_PlJNSB_9not_fun_tI7is_trueIxEEEEEE10hipError_tPvRmT3_T4_T5_T6_T7_T9_mT8_P12ihipStream_tbDpT10_ENKUlT_T0_E_clISt17integral_constantIbLb1EES1A_IbLb0EEEEDaS16_S17_EUlS16_E_NS1_11comp_targetILNS1_3genE10ELNS1_11target_archE1200ELNS1_3gpuE4ELNS1_3repE0EEENS1_30default_config_static_selectorELNS0_4arch9wavefront6targetE0EEEvT1_
    .private_segment_fixed_size: 0
    .sgpr_count:     0
    .sgpr_spill_count: 0
    .symbol:         _ZN7rocprim17ROCPRIM_400000_NS6detail17trampoline_kernelINS0_14default_configENS1_25partition_config_selectorILNS1_17partition_subalgoE6ExNS0_10empty_typeEbEEZZNS1_14partition_implILS5_6ELb0ES3_mN6thrust23THRUST_200600_302600_NS6detail15normal_iteratorINSA_10device_ptrIxEEEEPS6_SG_NS0_5tupleIJNSA_16discard_iteratorINSA_11use_defaultEEES6_EEENSH_IJSG_SG_EEES6_PlJNSB_9not_fun_tI7is_trueIxEEEEEE10hipError_tPvRmT3_T4_T5_T6_T7_T9_mT8_P12ihipStream_tbDpT10_ENKUlT_T0_E_clISt17integral_constantIbLb1EES1A_IbLb0EEEEDaS16_S17_EUlS16_E_NS1_11comp_targetILNS1_3genE10ELNS1_11target_archE1200ELNS1_3gpuE4ELNS1_3repE0EEENS1_30default_config_static_selectorELNS0_4arch9wavefront6targetE0EEEvT1_.kd
    .uniform_work_group_size: 1
    .uses_dynamic_stack: false
    .vgpr_count:     0
    .vgpr_spill_count: 0
    .wavefront_size: 32
    .workgroup_processor_mode: 1
  - .args:
      - .offset:         0
        .size:           120
        .value_kind:     by_value
    .group_segment_fixed_size: 0
    .kernarg_segment_align: 8
    .kernarg_segment_size: 120
    .language:       OpenCL C
    .language_version:
      - 2
      - 0
    .max_flat_workgroup_size: 384
    .name:           _ZN7rocprim17ROCPRIM_400000_NS6detail17trampoline_kernelINS0_14default_configENS1_25partition_config_selectorILNS1_17partition_subalgoE6ExNS0_10empty_typeEbEEZZNS1_14partition_implILS5_6ELb0ES3_mN6thrust23THRUST_200600_302600_NS6detail15normal_iteratorINSA_10device_ptrIxEEEEPS6_SG_NS0_5tupleIJNSA_16discard_iteratorINSA_11use_defaultEEES6_EEENSH_IJSG_SG_EEES6_PlJNSB_9not_fun_tI7is_trueIxEEEEEE10hipError_tPvRmT3_T4_T5_T6_T7_T9_mT8_P12ihipStream_tbDpT10_ENKUlT_T0_E_clISt17integral_constantIbLb1EES1A_IbLb0EEEEDaS16_S17_EUlS16_E_NS1_11comp_targetILNS1_3genE9ELNS1_11target_archE1100ELNS1_3gpuE3ELNS1_3repE0EEENS1_30default_config_static_selectorELNS0_4arch9wavefront6targetE0EEEvT1_
    .private_segment_fixed_size: 0
    .sgpr_count:     0
    .sgpr_spill_count: 0
    .symbol:         _ZN7rocprim17ROCPRIM_400000_NS6detail17trampoline_kernelINS0_14default_configENS1_25partition_config_selectorILNS1_17partition_subalgoE6ExNS0_10empty_typeEbEEZZNS1_14partition_implILS5_6ELb0ES3_mN6thrust23THRUST_200600_302600_NS6detail15normal_iteratorINSA_10device_ptrIxEEEEPS6_SG_NS0_5tupleIJNSA_16discard_iteratorINSA_11use_defaultEEES6_EEENSH_IJSG_SG_EEES6_PlJNSB_9not_fun_tI7is_trueIxEEEEEE10hipError_tPvRmT3_T4_T5_T6_T7_T9_mT8_P12ihipStream_tbDpT10_ENKUlT_T0_E_clISt17integral_constantIbLb1EES1A_IbLb0EEEEDaS16_S17_EUlS16_E_NS1_11comp_targetILNS1_3genE9ELNS1_11target_archE1100ELNS1_3gpuE3ELNS1_3repE0EEENS1_30default_config_static_selectorELNS0_4arch9wavefront6targetE0EEEvT1_.kd
    .uniform_work_group_size: 1
    .uses_dynamic_stack: false
    .vgpr_count:     0
    .vgpr_spill_count: 0
    .wavefront_size: 32
    .workgroup_processor_mode: 1
  - .args:
      - .offset:         0
        .size:           120
        .value_kind:     by_value
    .group_segment_fixed_size: 0
    .kernarg_segment_align: 8
    .kernarg_segment_size: 120
    .language:       OpenCL C
    .language_version:
      - 2
      - 0
    .max_flat_workgroup_size: 512
    .name:           _ZN7rocprim17ROCPRIM_400000_NS6detail17trampoline_kernelINS0_14default_configENS1_25partition_config_selectorILNS1_17partition_subalgoE6ExNS0_10empty_typeEbEEZZNS1_14partition_implILS5_6ELb0ES3_mN6thrust23THRUST_200600_302600_NS6detail15normal_iteratorINSA_10device_ptrIxEEEEPS6_SG_NS0_5tupleIJNSA_16discard_iteratorINSA_11use_defaultEEES6_EEENSH_IJSG_SG_EEES6_PlJNSB_9not_fun_tI7is_trueIxEEEEEE10hipError_tPvRmT3_T4_T5_T6_T7_T9_mT8_P12ihipStream_tbDpT10_ENKUlT_T0_E_clISt17integral_constantIbLb1EES1A_IbLb0EEEEDaS16_S17_EUlS16_E_NS1_11comp_targetILNS1_3genE8ELNS1_11target_archE1030ELNS1_3gpuE2ELNS1_3repE0EEENS1_30default_config_static_selectorELNS0_4arch9wavefront6targetE0EEEvT1_
    .private_segment_fixed_size: 0
    .sgpr_count:     0
    .sgpr_spill_count: 0
    .symbol:         _ZN7rocprim17ROCPRIM_400000_NS6detail17trampoline_kernelINS0_14default_configENS1_25partition_config_selectorILNS1_17partition_subalgoE6ExNS0_10empty_typeEbEEZZNS1_14partition_implILS5_6ELb0ES3_mN6thrust23THRUST_200600_302600_NS6detail15normal_iteratorINSA_10device_ptrIxEEEEPS6_SG_NS0_5tupleIJNSA_16discard_iteratorINSA_11use_defaultEEES6_EEENSH_IJSG_SG_EEES6_PlJNSB_9not_fun_tI7is_trueIxEEEEEE10hipError_tPvRmT3_T4_T5_T6_T7_T9_mT8_P12ihipStream_tbDpT10_ENKUlT_T0_E_clISt17integral_constantIbLb1EES1A_IbLb0EEEEDaS16_S17_EUlS16_E_NS1_11comp_targetILNS1_3genE8ELNS1_11target_archE1030ELNS1_3gpuE2ELNS1_3repE0EEENS1_30default_config_static_selectorELNS0_4arch9wavefront6targetE0EEEvT1_.kd
    .uniform_work_group_size: 1
    .uses_dynamic_stack: false
    .vgpr_count:     0
    .vgpr_spill_count: 0
    .wavefront_size: 32
    .workgroup_processor_mode: 1
  - .args:
      - .offset:         0
        .size:           136
        .value_kind:     by_value
    .group_segment_fixed_size: 0
    .kernarg_segment_align: 8
    .kernarg_segment_size: 136
    .language:       OpenCL C
    .language_version:
      - 2
      - 0
    .max_flat_workgroup_size: 128
    .name:           _ZN7rocprim17ROCPRIM_400000_NS6detail17trampoline_kernelINS0_14default_configENS1_25partition_config_selectorILNS1_17partition_subalgoE6ExNS0_10empty_typeEbEEZZNS1_14partition_implILS5_6ELb0ES3_mN6thrust23THRUST_200600_302600_NS6detail15normal_iteratorINSA_10device_ptrIxEEEEPS6_SG_NS0_5tupleIJNSA_16discard_iteratorINSA_11use_defaultEEES6_EEENSH_IJSG_SG_EEES6_PlJNSB_9not_fun_tI7is_trueIxEEEEEE10hipError_tPvRmT3_T4_T5_T6_T7_T9_mT8_P12ihipStream_tbDpT10_ENKUlT_T0_E_clISt17integral_constantIbLb0EES1A_IbLb1EEEEDaS16_S17_EUlS16_E_NS1_11comp_targetILNS1_3genE0ELNS1_11target_archE4294967295ELNS1_3gpuE0ELNS1_3repE0EEENS1_30default_config_static_selectorELNS0_4arch9wavefront6targetE0EEEvT1_
    .private_segment_fixed_size: 0
    .sgpr_count:     0
    .sgpr_spill_count: 0
    .symbol:         _ZN7rocprim17ROCPRIM_400000_NS6detail17trampoline_kernelINS0_14default_configENS1_25partition_config_selectorILNS1_17partition_subalgoE6ExNS0_10empty_typeEbEEZZNS1_14partition_implILS5_6ELb0ES3_mN6thrust23THRUST_200600_302600_NS6detail15normal_iteratorINSA_10device_ptrIxEEEEPS6_SG_NS0_5tupleIJNSA_16discard_iteratorINSA_11use_defaultEEES6_EEENSH_IJSG_SG_EEES6_PlJNSB_9not_fun_tI7is_trueIxEEEEEE10hipError_tPvRmT3_T4_T5_T6_T7_T9_mT8_P12ihipStream_tbDpT10_ENKUlT_T0_E_clISt17integral_constantIbLb0EES1A_IbLb1EEEEDaS16_S17_EUlS16_E_NS1_11comp_targetILNS1_3genE0ELNS1_11target_archE4294967295ELNS1_3gpuE0ELNS1_3repE0EEENS1_30default_config_static_selectorELNS0_4arch9wavefront6targetE0EEEvT1_.kd
    .uniform_work_group_size: 1
    .uses_dynamic_stack: false
    .vgpr_count:     0
    .vgpr_spill_count: 0
    .wavefront_size: 32
    .workgroup_processor_mode: 1
  - .args:
      - .offset:         0
        .size:           136
        .value_kind:     by_value
    .group_segment_fixed_size: 0
    .kernarg_segment_align: 8
    .kernarg_segment_size: 136
    .language:       OpenCL C
    .language_version:
      - 2
      - 0
    .max_flat_workgroup_size: 512
    .name:           _ZN7rocprim17ROCPRIM_400000_NS6detail17trampoline_kernelINS0_14default_configENS1_25partition_config_selectorILNS1_17partition_subalgoE6ExNS0_10empty_typeEbEEZZNS1_14partition_implILS5_6ELb0ES3_mN6thrust23THRUST_200600_302600_NS6detail15normal_iteratorINSA_10device_ptrIxEEEEPS6_SG_NS0_5tupleIJNSA_16discard_iteratorINSA_11use_defaultEEES6_EEENSH_IJSG_SG_EEES6_PlJNSB_9not_fun_tI7is_trueIxEEEEEE10hipError_tPvRmT3_T4_T5_T6_T7_T9_mT8_P12ihipStream_tbDpT10_ENKUlT_T0_E_clISt17integral_constantIbLb0EES1A_IbLb1EEEEDaS16_S17_EUlS16_E_NS1_11comp_targetILNS1_3genE5ELNS1_11target_archE942ELNS1_3gpuE9ELNS1_3repE0EEENS1_30default_config_static_selectorELNS0_4arch9wavefront6targetE0EEEvT1_
    .private_segment_fixed_size: 0
    .sgpr_count:     0
    .sgpr_spill_count: 0
    .symbol:         _ZN7rocprim17ROCPRIM_400000_NS6detail17trampoline_kernelINS0_14default_configENS1_25partition_config_selectorILNS1_17partition_subalgoE6ExNS0_10empty_typeEbEEZZNS1_14partition_implILS5_6ELb0ES3_mN6thrust23THRUST_200600_302600_NS6detail15normal_iteratorINSA_10device_ptrIxEEEEPS6_SG_NS0_5tupleIJNSA_16discard_iteratorINSA_11use_defaultEEES6_EEENSH_IJSG_SG_EEES6_PlJNSB_9not_fun_tI7is_trueIxEEEEEE10hipError_tPvRmT3_T4_T5_T6_T7_T9_mT8_P12ihipStream_tbDpT10_ENKUlT_T0_E_clISt17integral_constantIbLb0EES1A_IbLb1EEEEDaS16_S17_EUlS16_E_NS1_11comp_targetILNS1_3genE5ELNS1_11target_archE942ELNS1_3gpuE9ELNS1_3repE0EEENS1_30default_config_static_selectorELNS0_4arch9wavefront6targetE0EEEvT1_.kd
    .uniform_work_group_size: 1
    .uses_dynamic_stack: false
    .vgpr_count:     0
    .vgpr_spill_count: 0
    .wavefront_size: 32
    .workgroup_processor_mode: 1
  - .args:
      - .offset:         0
        .size:           136
        .value_kind:     by_value
    .group_segment_fixed_size: 0
    .kernarg_segment_align: 8
    .kernarg_segment_size: 136
    .language:       OpenCL C
    .language_version:
      - 2
      - 0
    .max_flat_workgroup_size: 512
    .name:           _ZN7rocprim17ROCPRIM_400000_NS6detail17trampoline_kernelINS0_14default_configENS1_25partition_config_selectorILNS1_17partition_subalgoE6ExNS0_10empty_typeEbEEZZNS1_14partition_implILS5_6ELb0ES3_mN6thrust23THRUST_200600_302600_NS6detail15normal_iteratorINSA_10device_ptrIxEEEEPS6_SG_NS0_5tupleIJNSA_16discard_iteratorINSA_11use_defaultEEES6_EEENSH_IJSG_SG_EEES6_PlJNSB_9not_fun_tI7is_trueIxEEEEEE10hipError_tPvRmT3_T4_T5_T6_T7_T9_mT8_P12ihipStream_tbDpT10_ENKUlT_T0_E_clISt17integral_constantIbLb0EES1A_IbLb1EEEEDaS16_S17_EUlS16_E_NS1_11comp_targetILNS1_3genE4ELNS1_11target_archE910ELNS1_3gpuE8ELNS1_3repE0EEENS1_30default_config_static_selectorELNS0_4arch9wavefront6targetE0EEEvT1_
    .private_segment_fixed_size: 0
    .sgpr_count:     0
    .sgpr_spill_count: 0
    .symbol:         _ZN7rocprim17ROCPRIM_400000_NS6detail17trampoline_kernelINS0_14default_configENS1_25partition_config_selectorILNS1_17partition_subalgoE6ExNS0_10empty_typeEbEEZZNS1_14partition_implILS5_6ELb0ES3_mN6thrust23THRUST_200600_302600_NS6detail15normal_iteratorINSA_10device_ptrIxEEEEPS6_SG_NS0_5tupleIJNSA_16discard_iteratorINSA_11use_defaultEEES6_EEENSH_IJSG_SG_EEES6_PlJNSB_9not_fun_tI7is_trueIxEEEEEE10hipError_tPvRmT3_T4_T5_T6_T7_T9_mT8_P12ihipStream_tbDpT10_ENKUlT_T0_E_clISt17integral_constantIbLb0EES1A_IbLb1EEEEDaS16_S17_EUlS16_E_NS1_11comp_targetILNS1_3genE4ELNS1_11target_archE910ELNS1_3gpuE8ELNS1_3repE0EEENS1_30default_config_static_selectorELNS0_4arch9wavefront6targetE0EEEvT1_.kd
    .uniform_work_group_size: 1
    .uses_dynamic_stack: false
    .vgpr_count:     0
    .vgpr_spill_count: 0
    .wavefront_size: 32
    .workgroup_processor_mode: 1
  - .args:
      - .offset:         0
        .size:           136
        .value_kind:     by_value
    .group_segment_fixed_size: 0
    .kernarg_segment_align: 8
    .kernarg_segment_size: 136
    .language:       OpenCL C
    .language_version:
      - 2
      - 0
    .max_flat_workgroup_size: 128
    .name:           _ZN7rocprim17ROCPRIM_400000_NS6detail17trampoline_kernelINS0_14default_configENS1_25partition_config_selectorILNS1_17partition_subalgoE6ExNS0_10empty_typeEbEEZZNS1_14partition_implILS5_6ELb0ES3_mN6thrust23THRUST_200600_302600_NS6detail15normal_iteratorINSA_10device_ptrIxEEEEPS6_SG_NS0_5tupleIJNSA_16discard_iteratorINSA_11use_defaultEEES6_EEENSH_IJSG_SG_EEES6_PlJNSB_9not_fun_tI7is_trueIxEEEEEE10hipError_tPvRmT3_T4_T5_T6_T7_T9_mT8_P12ihipStream_tbDpT10_ENKUlT_T0_E_clISt17integral_constantIbLb0EES1A_IbLb1EEEEDaS16_S17_EUlS16_E_NS1_11comp_targetILNS1_3genE3ELNS1_11target_archE908ELNS1_3gpuE7ELNS1_3repE0EEENS1_30default_config_static_selectorELNS0_4arch9wavefront6targetE0EEEvT1_
    .private_segment_fixed_size: 0
    .sgpr_count:     0
    .sgpr_spill_count: 0
    .symbol:         _ZN7rocprim17ROCPRIM_400000_NS6detail17trampoline_kernelINS0_14default_configENS1_25partition_config_selectorILNS1_17partition_subalgoE6ExNS0_10empty_typeEbEEZZNS1_14partition_implILS5_6ELb0ES3_mN6thrust23THRUST_200600_302600_NS6detail15normal_iteratorINSA_10device_ptrIxEEEEPS6_SG_NS0_5tupleIJNSA_16discard_iteratorINSA_11use_defaultEEES6_EEENSH_IJSG_SG_EEES6_PlJNSB_9not_fun_tI7is_trueIxEEEEEE10hipError_tPvRmT3_T4_T5_T6_T7_T9_mT8_P12ihipStream_tbDpT10_ENKUlT_T0_E_clISt17integral_constantIbLb0EES1A_IbLb1EEEEDaS16_S17_EUlS16_E_NS1_11comp_targetILNS1_3genE3ELNS1_11target_archE908ELNS1_3gpuE7ELNS1_3repE0EEENS1_30default_config_static_selectorELNS0_4arch9wavefront6targetE0EEEvT1_.kd
    .uniform_work_group_size: 1
    .uses_dynamic_stack: false
    .vgpr_count:     0
    .vgpr_spill_count: 0
    .wavefront_size: 32
    .workgroup_processor_mode: 1
  - .args:
      - .offset:         0
        .size:           136
        .value_kind:     by_value
    .group_segment_fixed_size: 0
    .kernarg_segment_align: 8
    .kernarg_segment_size: 136
    .language:       OpenCL C
    .language_version:
      - 2
      - 0
    .max_flat_workgroup_size: 256
    .name:           _ZN7rocprim17ROCPRIM_400000_NS6detail17trampoline_kernelINS0_14default_configENS1_25partition_config_selectorILNS1_17partition_subalgoE6ExNS0_10empty_typeEbEEZZNS1_14partition_implILS5_6ELb0ES3_mN6thrust23THRUST_200600_302600_NS6detail15normal_iteratorINSA_10device_ptrIxEEEEPS6_SG_NS0_5tupleIJNSA_16discard_iteratorINSA_11use_defaultEEES6_EEENSH_IJSG_SG_EEES6_PlJNSB_9not_fun_tI7is_trueIxEEEEEE10hipError_tPvRmT3_T4_T5_T6_T7_T9_mT8_P12ihipStream_tbDpT10_ENKUlT_T0_E_clISt17integral_constantIbLb0EES1A_IbLb1EEEEDaS16_S17_EUlS16_E_NS1_11comp_targetILNS1_3genE2ELNS1_11target_archE906ELNS1_3gpuE6ELNS1_3repE0EEENS1_30default_config_static_selectorELNS0_4arch9wavefront6targetE0EEEvT1_
    .private_segment_fixed_size: 0
    .sgpr_count:     0
    .sgpr_spill_count: 0
    .symbol:         _ZN7rocprim17ROCPRIM_400000_NS6detail17trampoline_kernelINS0_14default_configENS1_25partition_config_selectorILNS1_17partition_subalgoE6ExNS0_10empty_typeEbEEZZNS1_14partition_implILS5_6ELb0ES3_mN6thrust23THRUST_200600_302600_NS6detail15normal_iteratorINSA_10device_ptrIxEEEEPS6_SG_NS0_5tupleIJNSA_16discard_iteratorINSA_11use_defaultEEES6_EEENSH_IJSG_SG_EEES6_PlJNSB_9not_fun_tI7is_trueIxEEEEEE10hipError_tPvRmT3_T4_T5_T6_T7_T9_mT8_P12ihipStream_tbDpT10_ENKUlT_T0_E_clISt17integral_constantIbLb0EES1A_IbLb1EEEEDaS16_S17_EUlS16_E_NS1_11comp_targetILNS1_3genE2ELNS1_11target_archE906ELNS1_3gpuE6ELNS1_3repE0EEENS1_30default_config_static_selectorELNS0_4arch9wavefront6targetE0EEEvT1_.kd
    .uniform_work_group_size: 1
    .uses_dynamic_stack: false
    .vgpr_count:     0
    .vgpr_spill_count: 0
    .wavefront_size: 32
    .workgroup_processor_mode: 1
  - .args:
      - .offset:         0
        .size:           136
        .value_kind:     by_value
    .group_segment_fixed_size: 8464
    .kernarg_segment_align: 8
    .kernarg_segment_size: 136
    .language:       OpenCL C
    .language_version:
      - 2
      - 0
    .max_flat_workgroup_size: 256
    .name:           _ZN7rocprim17ROCPRIM_400000_NS6detail17trampoline_kernelINS0_14default_configENS1_25partition_config_selectorILNS1_17partition_subalgoE6ExNS0_10empty_typeEbEEZZNS1_14partition_implILS5_6ELb0ES3_mN6thrust23THRUST_200600_302600_NS6detail15normal_iteratorINSA_10device_ptrIxEEEEPS6_SG_NS0_5tupleIJNSA_16discard_iteratorINSA_11use_defaultEEES6_EEENSH_IJSG_SG_EEES6_PlJNSB_9not_fun_tI7is_trueIxEEEEEE10hipError_tPvRmT3_T4_T5_T6_T7_T9_mT8_P12ihipStream_tbDpT10_ENKUlT_T0_E_clISt17integral_constantIbLb0EES1A_IbLb1EEEEDaS16_S17_EUlS16_E_NS1_11comp_targetILNS1_3genE10ELNS1_11target_archE1200ELNS1_3gpuE4ELNS1_3repE0EEENS1_30default_config_static_selectorELNS0_4arch9wavefront6targetE0EEEvT1_
    .private_segment_fixed_size: 0
    .sgpr_count:     22
    .sgpr_spill_count: 0
    .symbol:         _ZN7rocprim17ROCPRIM_400000_NS6detail17trampoline_kernelINS0_14default_configENS1_25partition_config_selectorILNS1_17partition_subalgoE6ExNS0_10empty_typeEbEEZZNS1_14partition_implILS5_6ELb0ES3_mN6thrust23THRUST_200600_302600_NS6detail15normal_iteratorINSA_10device_ptrIxEEEEPS6_SG_NS0_5tupleIJNSA_16discard_iteratorINSA_11use_defaultEEES6_EEENSH_IJSG_SG_EEES6_PlJNSB_9not_fun_tI7is_trueIxEEEEEE10hipError_tPvRmT3_T4_T5_T6_T7_T9_mT8_P12ihipStream_tbDpT10_ENKUlT_T0_E_clISt17integral_constantIbLb0EES1A_IbLb1EEEEDaS16_S17_EUlS16_E_NS1_11comp_targetILNS1_3genE10ELNS1_11target_archE1200ELNS1_3gpuE4ELNS1_3repE0EEENS1_30default_config_static_selectorELNS0_4arch9wavefront6targetE0EEEvT1_.kd
    .uniform_work_group_size: 1
    .uses_dynamic_stack: false
    .vgpr_count:     47
    .vgpr_spill_count: 0
    .wavefront_size: 32
    .workgroup_processor_mode: 1
  - .args:
      - .offset:         0
        .size:           136
        .value_kind:     by_value
    .group_segment_fixed_size: 0
    .kernarg_segment_align: 8
    .kernarg_segment_size: 136
    .language:       OpenCL C
    .language_version:
      - 2
      - 0
    .max_flat_workgroup_size: 384
    .name:           _ZN7rocprim17ROCPRIM_400000_NS6detail17trampoline_kernelINS0_14default_configENS1_25partition_config_selectorILNS1_17partition_subalgoE6ExNS0_10empty_typeEbEEZZNS1_14partition_implILS5_6ELb0ES3_mN6thrust23THRUST_200600_302600_NS6detail15normal_iteratorINSA_10device_ptrIxEEEEPS6_SG_NS0_5tupleIJNSA_16discard_iteratorINSA_11use_defaultEEES6_EEENSH_IJSG_SG_EEES6_PlJNSB_9not_fun_tI7is_trueIxEEEEEE10hipError_tPvRmT3_T4_T5_T6_T7_T9_mT8_P12ihipStream_tbDpT10_ENKUlT_T0_E_clISt17integral_constantIbLb0EES1A_IbLb1EEEEDaS16_S17_EUlS16_E_NS1_11comp_targetILNS1_3genE9ELNS1_11target_archE1100ELNS1_3gpuE3ELNS1_3repE0EEENS1_30default_config_static_selectorELNS0_4arch9wavefront6targetE0EEEvT1_
    .private_segment_fixed_size: 0
    .sgpr_count:     0
    .sgpr_spill_count: 0
    .symbol:         _ZN7rocprim17ROCPRIM_400000_NS6detail17trampoline_kernelINS0_14default_configENS1_25partition_config_selectorILNS1_17partition_subalgoE6ExNS0_10empty_typeEbEEZZNS1_14partition_implILS5_6ELb0ES3_mN6thrust23THRUST_200600_302600_NS6detail15normal_iteratorINSA_10device_ptrIxEEEEPS6_SG_NS0_5tupleIJNSA_16discard_iteratorINSA_11use_defaultEEES6_EEENSH_IJSG_SG_EEES6_PlJNSB_9not_fun_tI7is_trueIxEEEEEE10hipError_tPvRmT3_T4_T5_T6_T7_T9_mT8_P12ihipStream_tbDpT10_ENKUlT_T0_E_clISt17integral_constantIbLb0EES1A_IbLb1EEEEDaS16_S17_EUlS16_E_NS1_11comp_targetILNS1_3genE9ELNS1_11target_archE1100ELNS1_3gpuE3ELNS1_3repE0EEENS1_30default_config_static_selectorELNS0_4arch9wavefront6targetE0EEEvT1_.kd
    .uniform_work_group_size: 1
    .uses_dynamic_stack: false
    .vgpr_count:     0
    .vgpr_spill_count: 0
    .wavefront_size: 32
    .workgroup_processor_mode: 1
  - .args:
      - .offset:         0
        .size:           136
        .value_kind:     by_value
    .group_segment_fixed_size: 0
    .kernarg_segment_align: 8
    .kernarg_segment_size: 136
    .language:       OpenCL C
    .language_version:
      - 2
      - 0
    .max_flat_workgroup_size: 512
    .name:           _ZN7rocprim17ROCPRIM_400000_NS6detail17trampoline_kernelINS0_14default_configENS1_25partition_config_selectorILNS1_17partition_subalgoE6ExNS0_10empty_typeEbEEZZNS1_14partition_implILS5_6ELb0ES3_mN6thrust23THRUST_200600_302600_NS6detail15normal_iteratorINSA_10device_ptrIxEEEEPS6_SG_NS0_5tupleIJNSA_16discard_iteratorINSA_11use_defaultEEES6_EEENSH_IJSG_SG_EEES6_PlJNSB_9not_fun_tI7is_trueIxEEEEEE10hipError_tPvRmT3_T4_T5_T6_T7_T9_mT8_P12ihipStream_tbDpT10_ENKUlT_T0_E_clISt17integral_constantIbLb0EES1A_IbLb1EEEEDaS16_S17_EUlS16_E_NS1_11comp_targetILNS1_3genE8ELNS1_11target_archE1030ELNS1_3gpuE2ELNS1_3repE0EEENS1_30default_config_static_selectorELNS0_4arch9wavefront6targetE0EEEvT1_
    .private_segment_fixed_size: 0
    .sgpr_count:     0
    .sgpr_spill_count: 0
    .symbol:         _ZN7rocprim17ROCPRIM_400000_NS6detail17trampoline_kernelINS0_14default_configENS1_25partition_config_selectorILNS1_17partition_subalgoE6ExNS0_10empty_typeEbEEZZNS1_14partition_implILS5_6ELb0ES3_mN6thrust23THRUST_200600_302600_NS6detail15normal_iteratorINSA_10device_ptrIxEEEEPS6_SG_NS0_5tupleIJNSA_16discard_iteratorINSA_11use_defaultEEES6_EEENSH_IJSG_SG_EEES6_PlJNSB_9not_fun_tI7is_trueIxEEEEEE10hipError_tPvRmT3_T4_T5_T6_T7_T9_mT8_P12ihipStream_tbDpT10_ENKUlT_T0_E_clISt17integral_constantIbLb0EES1A_IbLb1EEEEDaS16_S17_EUlS16_E_NS1_11comp_targetILNS1_3genE8ELNS1_11target_archE1030ELNS1_3gpuE2ELNS1_3repE0EEENS1_30default_config_static_selectorELNS0_4arch9wavefront6targetE0EEEvT1_.kd
    .uniform_work_group_size: 1
    .uses_dynamic_stack: false
    .vgpr_count:     0
    .vgpr_spill_count: 0
    .wavefront_size: 32
    .workgroup_processor_mode: 1
  - .args:
      - .offset:         0
        .size:           120
        .value_kind:     by_value
    .group_segment_fixed_size: 0
    .kernarg_segment_align: 8
    .kernarg_segment_size: 120
    .language:       OpenCL C
    .language_version:
      - 2
      - 0
    .max_flat_workgroup_size: 256
    .name:           _ZN7rocprim17ROCPRIM_400000_NS6detail17trampoline_kernelINS0_14default_configENS1_25partition_config_selectorILNS1_17partition_subalgoE6EiNS0_10empty_typeEbEEZZNS1_14partition_implILS5_6ELb0ES3_mN6thrust23THRUST_200600_302600_NS6detail15normal_iteratorINSA_10device_ptrIiEEEEPS6_SG_NS0_5tupleIJNSA_16discard_iteratorINSA_11use_defaultEEES6_EEENSH_IJSG_SG_EEES6_PlJNSB_9not_fun_tI7is_trueIiEEEEEE10hipError_tPvRmT3_T4_T5_T6_T7_T9_mT8_P12ihipStream_tbDpT10_ENKUlT_T0_E_clISt17integral_constantIbLb0EES1B_EEDaS16_S17_EUlS16_E_NS1_11comp_targetILNS1_3genE0ELNS1_11target_archE4294967295ELNS1_3gpuE0ELNS1_3repE0EEENS1_30default_config_static_selectorELNS0_4arch9wavefront6targetE0EEEvT1_
    .private_segment_fixed_size: 0
    .sgpr_count:     0
    .sgpr_spill_count: 0
    .symbol:         _ZN7rocprim17ROCPRIM_400000_NS6detail17trampoline_kernelINS0_14default_configENS1_25partition_config_selectorILNS1_17partition_subalgoE6EiNS0_10empty_typeEbEEZZNS1_14partition_implILS5_6ELb0ES3_mN6thrust23THRUST_200600_302600_NS6detail15normal_iteratorINSA_10device_ptrIiEEEEPS6_SG_NS0_5tupleIJNSA_16discard_iteratorINSA_11use_defaultEEES6_EEENSH_IJSG_SG_EEES6_PlJNSB_9not_fun_tI7is_trueIiEEEEEE10hipError_tPvRmT3_T4_T5_T6_T7_T9_mT8_P12ihipStream_tbDpT10_ENKUlT_T0_E_clISt17integral_constantIbLb0EES1B_EEDaS16_S17_EUlS16_E_NS1_11comp_targetILNS1_3genE0ELNS1_11target_archE4294967295ELNS1_3gpuE0ELNS1_3repE0EEENS1_30default_config_static_selectorELNS0_4arch9wavefront6targetE0EEEvT1_.kd
    .uniform_work_group_size: 1
    .uses_dynamic_stack: false
    .vgpr_count:     0
    .vgpr_spill_count: 0
    .wavefront_size: 32
    .workgroup_processor_mode: 1
  - .args:
      - .offset:         0
        .size:           120
        .value_kind:     by_value
    .group_segment_fixed_size: 0
    .kernarg_segment_align: 8
    .kernarg_segment_size: 120
    .language:       OpenCL C
    .language_version:
      - 2
      - 0
    .max_flat_workgroup_size: 512
    .name:           _ZN7rocprim17ROCPRIM_400000_NS6detail17trampoline_kernelINS0_14default_configENS1_25partition_config_selectorILNS1_17partition_subalgoE6EiNS0_10empty_typeEbEEZZNS1_14partition_implILS5_6ELb0ES3_mN6thrust23THRUST_200600_302600_NS6detail15normal_iteratorINSA_10device_ptrIiEEEEPS6_SG_NS0_5tupleIJNSA_16discard_iteratorINSA_11use_defaultEEES6_EEENSH_IJSG_SG_EEES6_PlJNSB_9not_fun_tI7is_trueIiEEEEEE10hipError_tPvRmT3_T4_T5_T6_T7_T9_mT8_P12ihipStream_tbDpT10_ENKUlT_T0_E_clISt17integral_constantIbLb0EES1B_EEDaS16_S17_EUlS16_E_NS1_11comp_targetILNS1_3genE5ELNS1_11target_archE942ELNS1_3gpuE9ELNS1_3repE0EEENS1_30default_config_static_selectorELNS0_4arch9wavefront6targetE0EEEvT1_
    .private_segment_fixed_size: 0
    .sgpr_count:     0
    .sgpr_spill_count: 0
    .symbol:         _ZN7rocprim17ROCPRIM_400000_NS6detail17trampoline_kernelINS0_14default_configENS1_25partition_config_selectorILNS1_17partition_subalgoE6EiNS0_10empty_typeEbEEZZNS1_14partition_implILS5_6ELb0ES3_mN6thrust23THRUST_200600_302600_NS6detail15normal_iteratorINSA_10device_ptrIiEEEEPS6_SG_NS0_5tupleIJNSA_16discard_iteratorINSA_11use_defaultEEES6_EEENSH_IJSG_SG_EEES6_PlJNSB_9not_fun_tI7is_trueIiEEEEEE10hipError_tPvRmT3_T4_T5_T6_T7_T9_mT8_P12ihipStream_tbDpT10_ENKUlT_T0_E_clISt17integral_constantIbLb0EES1B_EEDaS16_S17_EUlS16_E_NS1_11comp_targetILNS1_3genE5ELNS1_11target_archE942ELNS1_3gpuE9ELNS1_3repE0EEENS1_30default_config_static_selectorELNS0_4arch9wavefront6targetE0EEEvT1_.kd
    .uniform_work_group_size: 1
    .uses_dynamic_stack: false
    .vgpr_count:     0
    .vgpr_spill_count: 0
    .wavefront_size: 32
    .workgroup_processor_mode: 1
  - .args:
      - .offset:         0
        .size:           120
        .value_kind:     by_value
    .group_segment_fixed_size: 0
    .kernarg_segment_align: 8
    .kernarg_segment_size: 120
    .language:       OpenCL C
    .language_version:
      - 2
      - 0
    .max_flat_workgroup_size: 512
    .name:           _ZN7rocprim17ROCPRIM_400000_NS6detail17trampoline_kernelINS0_14default_configENS1_25partition_config_selectorILNS1_17partition_subalgoE6EiNS0_10empty_typeEbEEZZNS1_14partition_implILS5_6ELb0ES3_mN6thrust23THRUST_200600_302600_NS6detail15normal_iteratorINSA_10device_ptrIiEEEEPS6_SG_NS0_5tupleIJNSA_16discard_iteratorINSA_11use_defaultEEES6_EEENSH_IJSG_SG_EEES6_PlJNSB_9not_fun_tI7is_trueIiEEEEEE10hipError_tPvRmT3_T4_T5_T6_T7_T9_mT8_P12ihipStream_tbDpT10_ENKUlT_T0_E_clISt17integral_constantIbLb0EES1B_EEDaS16_S17_EUlS16_E_NS1_11comp_targetILNS1_3genE4ELNS1_11target_archE910ELNS1_3gpuE8ELNS1_3repE0EEENS1_30default_config_static_selectorELNS0_4arch9wavefront6targetE0EEEvT1_
    .private_segment_fixed_size: 0
    .sgpr_count:     0
    .sgpr_spill_count: 0
    .symbol:         _ZN7rocprim17ROCPRIM_400000_NS6detail17trampoline_kernelINS0_14default_configENS1_25partition_config_selectorILNS1_17partition_subalgoE6EiNS0_10empty_typeEbEEZZNS1_14partition_implILS5_6ELb0ES3_mN6thrust23THRUST_200600_302600_NS6detail15normal_iteratorINSA_10device_ptrIiEEEEPS6_SG_NS0_5tupleIJNSA_16discard_iteratorINSA_11use_defaultEEES6_EEENSH_IJSG_SG_EEES6_PlJNSB_9not_fun_tI7is_trueIiEEEEEE10hipError_tPvRmT3_T4_T5_T6_T7_T9_mT8_P12ihipStream_tbDpT10_ENKUlT_T0_E_clISt17integral_constantIbLb0EES1B_EEDaS16_S17_EUlS16_E_NS1_11comp_targetILNS1_3genE4ELNS1_11target_archE910ELNS1_3gpuE8ELNS1_3repE0EEENS1_30default_config_static_selectorELNS0_4arch9wavefront6targetE0EEEvT1_.kd
    .uniform_work_group_size: 1
    .uses_dynamic_stack: false
    .vgpr_count:     0
    .vgpr_spill_count: 0
    .wavefront_size: 32
    .workgroup_processor_mode: 1
  - .args:
      - .offset:         0
        .size:           120
        .value_kind:     by_value
    .group_segment_fixed_size: 0
    .kernarg_segment_align: 8
    .kernarg_segment_size: 120
    .language:       OpenCL C
    .language_version:
      - 2
      - 0
    .max_flat_workgroup_size: 256
    .name:           _ZN7rocprim17ROCPRIM_400000_NS6detail17trampoline_kernelINS0_14default_configENS1_25partition_config_selectorILNS1_17partition_subalgoE6EiNS0_10empty_typeEbEEZZNS1_14partition_implILS5_6ELb0ES3_mN6thrust23THRUST_200600_302600_NS6detail15normal_iteratorINSA_10device_ptrIiEEEEPS6_SG_NS0_5tupleIJNSA_16discard_iteratorINSA_11use_defaultEEES6_EEENSH_IJSG_SG_EEES6_PlJNSB_9not_fun_tI7is_trueIiEEEEEE10hipError_tPvRmT3_T4_T5_T6_T7_T9_mT8_P12ihipStream_tbDpT10_ENKUlT_T0_E_clISt17integral_constantIbLb0EES1B_EEDaS16_S17_EUlS16_E_NS1_11comp_targetILNS1_3genE3ELNS1_11target_archE908ELNS1_3gpuE7ELNS1_3repE0EEENS1_30default_config_static_selectorELNS0_4arch9wavefront6targetE0EEEvT1_
    .private_segment_fixed_size: 0
    .sgpr_count:     0
    .sgpr_spill_count: 0
    .symbol:         _ZN7rocprim17ROCPRIM_400000_NS6detail17trampoline_kernelINS0_14default_configENS1_25partition_config_selectorILNS1_17partition_subalgoE6EiNS0_10empty_typeEbEEZZNS1_14partition_implILS5_6ELb0ES3_mN6thrust23THRUST_200600_302600_NS6detail15normal_iteratorINSA_10device_ptrIiEEEEPS6_SG_NS0_5tupleIJNSA_16discard_iteratorINSA_11use_defaultEEES6_EEENSH_IJSG_SG_EEES6_PlJNSB_9not_fun_tI7is_trueIiEEEEEE10hipError_tPvRmT3_T4_T5_T6_T7_T9_mT8_P12ihipStream_tbDpT10_ENKUlT_T0_E_clISt17integral_constantIbLb0EES1B_EEDaS16_S17_EUlS16_E_NS1_11comp_targetILNS1_3genE3ELNS1_11target_archE908ELNS1_3gpuE7ELNS1_3repE0EEENS1_30default_config_static_selectorELNS0_4arch9wavefront6targetE0EEEvT1_.kd
    .uniform_work_group_size: 1
    .uses_dynamic_stack: false
    .vgpr_count:     0
    .vgpr_spill_count: 0
    .wavefront_size: 32
    .workgroup_processor_mode: 1
  - .args:
      - .offset:         0
        .size:           120
        .value_kind:     by_value
    .group_segment_fixed_size: 0
    .kernarg_segment_align: 8
    .kernarg_segment_size: 120
    .language:       OpenCL C
    .language_version:
      - 2
      - 0
    .max_flat_workgroup_size: 192
    .name:           _ZN7rocprim17ROCPRIM_400000_NS6detail17trampoline_kernelINS0_14default_configENS1_25partition_config_selectorILNS1_17partition_subalgoE6EiNS0_10empty_typeEbEEZZNS1_14partition_implILS5_6ELb0ES3_mN6thrust23THRUST_200600_302600_NS6detail15normal_iteratorINSA_10device_ptrIiEEEEPS6_SG_NS0_5tupleIJNSA_16discard_iteratorINSA_11use_defaultEEES6_EEENSH_IJSG_SG_EEES6_PlJNSB_9not_fun_tI7is_trueIiEEEEEE10hipError_tPvRmT3_T4_T5_T6_T7_T9_mT8_P12ihipStream_tbDpT10_ENKUlT_T0_E_clISt17integral_constantIbLb0EES1B_EEDaS16_S17_EUlS16_E_NS1_11comp_targetILNS1_3genE2ELNS1_11target_archE906ELNS1_3gpuE6ELNS1_3repE0EEENS1_30default_config_static_selectorELNS0_4arch9wavefront6targetE0EEEvT1_
    .private_segment_fixed_size: 0
    .sgpr_count:     0
    .sgpr_spill_count: 0
    .symbol:         _ZN7rocprim17ROCPRIM_400000_NS6detail17trampoline_kernelINS0_14default_configENS1_25partition_config_selectorILNS1_17partition_subalgoE6EiNS0_10empty_typeEbEEZZNS1_14partition_implILS5_6ELb0ES3_mN6thrust23THRUST_200600_302600_NS6detail15normal_iteratorINSA_10device_ptrIiEEEEPS6_SG_NS0_5tupleIJNSA_16discard_iteratorINSA_11use_defaultEEES6_EEENSH_IJSG_SG_EEES6_PlJNSB_9not_fun_tI7is_trueIiEEEEEE10hipError_tPvRmT3_T4_T5_T6_T7_T9_mT8_P12ihipStream_tbDpT10_ENKUlT_T0_E_clISt17integral_constantIbLb0EES1B_EEDaS16_S17_EUlS16_E_NS1_11comp_targetILNS1_3genE2ELNS1_11target_archE906ELNS1_3gpuE6ELNS1_3repE0EEENS1_30default_config_static_selectorELNS0_4arch9wavefront6targetE0EEEvT1_.kd
    .uniform_work_group_size: 1
    .uses_dynamic_stack: false
    .vgpr_count:     0
    .vgpr_spill_count: 0
    .wavefront_size: 32
    .workgroup_processor_mode: 1
  - .args:
      - .offset:         0
        .size:           120
        .value_kind:     by_value
    .group_segment_fixed_size: 10768
    .kernarg_segment_align: 8
    .kernarg_segment_size: 120
    .language:       OpenCL C
    .language_version:
      - 2
      - 0
    .max_flat_workgroup_size: 384
    .name:           _ZN7rocprim17ROCPRIM_400000_NS6detail17trampoline_kernelINS0_14default_configENS1_25partition_config_selectorILNS1_17partition_subalgoE6EiNS0_10empty_typeEbEEZZNS1_14partition_implILS5_6ELb0ES3_mN6thrust23THRUST_200600_302600_NS6detail15normal_iteratorINSA_10device_ptrIiEEEEPS6_SG_NS0_5tupleIJNSA_16discard_iteratorINSA_11use_defaultEEES6_EEENSH_IJSG_SG_EEES6_PlJNSB_9not_fun_tI7is_trueIiEEEEEE10hipError_tPvRmT3_T4_T5_T6_T7_T9_mT8_P12ihipStream_tbDpT10_ENKUlT_T0_E_clISt17integral_constantIbLb0EES1B_EEDaS16_S17_EUlS16_E_NS1_11comp_targetILNS1_3genE10ELNS1_11target_archE1200ELNS1_3gpuE4ELNS1_3repE0EEENS1_30default_config_static_selectorELNS0_4arch9wavefront6targetE0EEEvT1_
    .private_segment_fixed_size: 0
    .sgpr_count:     23
    .sgpr_spill_count: 0
    .symbol:         _ZN7rocprim17ROCPRIM_400000_NS6detail17trampoline_kernelINS0_14default_configENS1_25partition_config_selectorILNS1_17partition_subalgoE6EiNS0_10empty_typeEbEEZZNS1_14partition_implILS5_6ELb0ES3_mN6thrust23THRUST_200600_302600_NS6detail15normal_iteratorINSA_10device_ptrIiEEEEPS6_SG_NS0_5tupleIJNSA_16discard_iteratorINSA_11use_defaultEEES6_EEENSH_IJSG_SG_EEES6_PlJNSB_9not_fun_tI7is_trueIiEEEEEE10hipError_tPvRmT3_T4_T5_T6_T7_T9_mT8_P12ihipStream_tbDpT10_ENKUlT_T0_E_clISt17integral_constantIbLb0EES1B_EEDaS16_S17_EUlS16_E_NS1_11comp_targetILNS1_3genE10ELNS1_11target_archE1200ELNS1_3gpuE4ELNS1_3repE0EEENS1_30default_config_static_selectorELNS0_4arch9wavefront6targetE0EEEvT1_.kd
    .uniform_work_group_size: 1
    .uses_dynamic_stack: false
    .vgpr_count:     48
    .vgpr_spill_count: 0
    .wavefront_size: 32
    .workgroup_processor_mode: 1
  - .args:
      - .offset:         0
        .size:           120
        .value_kind:     by_value
    .group_segment_fixed_size: 0
    .kernarg_segment_align: 8
    .kernarg_segment_size: 120
    .language:       OpenCL C
    .language_version:
      - 2
      - 0
    .max_flat_workgroup_size: 128
    .name:           _ZN7rocprim17ROCPRIM_400000_NS6detail17trampoline_kernelINS0_14default_configENS1_25partition_config_selectorILNS1_17partition_subalgoE6EiNS0_10empty_typeEbEEZZNS1_14partition_implILS5_6ELb0ES3_mN6thrust23THRUST_200600_302600_NS6detail15normal_iteratorINSA_10device_ptrIiEEEEPS6_SG_NS0_5tupleIJNSA_16discard_iteratorINSA_11use_defaultEEES6_EEENSH_IJSG_SG_EEES6_PlJNSB_9not_fun_tI7is_trueIiEEEEEE10hipError_tPvRmT3_T4_T5_T6_T7_T9_mT8_P12ihipStream_tbDpT10_ENKUlT_T0_E_clISt17integral_constantIbLb0EES1B_EEDaS16_S17_EUlS16_E_NS1_11comp_targetILNS1_3genE9ELNS1_11target_archE1100ELNS1_3gpuE3ELNS1_3repE0EEENS1_30default_config_static_selectorELNS0_4arch9wavefront6targetE0EEEvT1_
    .private_segment_fixed_size: 0
    .sgpr_count:     0
    .sgpr_spill_count: 0
    .symbol:         _ZN7rocprim17ROCPRIM_400000_NS6detail17trampoline_kernelINS0_14default_configENS1_25partition_config_selectorILNS1_17partition_subalgoE6EiNS0_10empty_typeEbEEZZNS1_14partition_implILS5_6ELb0ES3_mN6thrust23THRUST_200600_302600_NS6detail15normal_iteratorINSA_10device_ptrIiEEEEPS6_SG_NS0_5tupleIJNSA_16discard_iteratorINSA_11use_defaultEEES6_EEENSH_IJSG_SG_EEES6_PlJNSB_9not_fun_tI7is_trueIiEEEEEE10hipError_tPvRmT3_T4_T5_T6_T7_T9_mT8_P12ihipStream_tbDpT10_ENKUlT_T0_E_clISt17integral_constantIbLb0EES1B_EEDaS16_S17_EUlS16_E_NS1_11comp_targetILNS1_3genE9ELNS1_11target_archE1100ELNS1_3gpuE3ELNS1_3repE0EEENS1_30default_config_static_selectorELNS0_4arch9wavefront6targetE0EEEvT1_.kd
    .uniform_work_group_size: 1
    .uses_dynamic_stack: false
    .vgpr_count:     0
    .vgpr_spill_count: 0
    .wavefront_size: 32
    .workgroup_processor_mode: 1
  - .args:
      - .offset:         0
        .size:           120
        .value_kind:     by_value
    .group_segment_fixed_size: 0
    .kernarg_segment_align: 8
    .kernarg_segment_size: 120
    .language:       OpenCL C
    .language_version:
      - 2
      - 0
    .max_flat_workgroup_size: 512
    .name:           _ZN7rocprim17ROCPRIM_400000_NS6detail17trampoline_kernelINS0_14default_configENS1_25partition_config_selectorILNS1_17partition_subalgoE6EiNS0_10empty_typeEbEEZZNS1_14partition_implILS5_6ELb0ES3_mN6thrust23THRUST_200600_302600_NS6detail15normal_iteratorINSA_10device_ptrIiEEEEPS6_SG_NS0_5tupleIJNSA_16discard_iteratorINSA_11use_defaultEEES6_EEENSH_IJSG_SG_EEES6_PlJNSB_9not_fun_tI7is_trueIiEEEEEE10hipError_tPvRmT3_T4_T5_T6_T7_T9_mT8_P12ihipStream_tbDpT10_ENKUlT_T0_E_clISt17integral_constantIbLb0EES1B_EEDaS16_S17_EUlS16_E_NS1_11comp_targetILNS1_3genE8ELNS1_11target_archE1030ELNS1_3gpuE2ELNS1_3repE0EEENS1_30default_config_static_selectorELNS0_4arch9wavefront6targetE0EEEvT1_
    .private_segment_fixed_size: 0
    .sgpr_count:     0
    .sgpr_spill_count: 0
    .symbol:         _ZN7rocprim17ROCPRIM_400000_NS6detail17trampoline_kernelINS0_14default_configENS1_25partition_config_selectorILNS1_17partition_subalgoE6EiNS0_10empty_typeEbEEZZNS1_14partition_implILS5_6ELb0ES3_mN6thrust23THRUST_200600_302600_NS6detail15normal_iteratorINSA_10device_ptrIiEEEEPS6_SG_NS0_5tupleIJNSA_16discard_iteratorINSA_11use_defaultEEES6_EEENSH_IJSG_SG_EEES6_PlJNSB_9not_fun_tI7is_trueIiEEEEEE10hipError_tPvRmT3_T4_T5_T6_T7_T9_mT8_P12ihipStream_tbDpT10_ENKUlT_T0_E_clISt17integral_constantIbLb0EES1B_EEDaS16_S17_EUlS16_E_NS1_11comp_targetILNS1_3genE8ELNS1_11target_archE1030ELNS1_3gpuE2ELNS1_3repE0EEENS1_30default_config_static_selectorELNS0_4arch9wavefront6targetE0EEEvT1_.kd
    .uniform_work_group_size: 1
    .uses_dynamic_stack: false
    .vgpr_count:     0
    .vgpr_spill_count: 0
    .wavefront_size: 32
    .workgroup_processor_mode: 1
  - .args:
      - .offset:         0
        .size:           136
        .value_kind:     by_value
    .group_segment_fixed_size: 0
    .kernarg_segment_align: 8
    .kernarg_segment_size: 136
    .language:       OpenCL C
    .language_version:
      - 2
      - 0
    .max_flat_workgroup_size: 256
    .name:           _ZN7rocprim17ROCPRIM_400000_NS6detail17trampoline_kernelINS0_14default_configENS1_25partition_config_selectorILNS1_17partition_subalgoE6EiNS0_10empty_typeEbEEZZNS1_14partition_implILS5_6ELb0ES3_mN6thrust23THRUST_200600_302600_NS6detail15normal_iteratorINSA_10device_ptrIiEEEEPS6_SG_NS0_5tupleIJNSA_16discard_iteratorINSA_11use_defaultEEES6_EEENSH_IJSG_SG_EEES6_PlJNSB_9not_fun_tI7is_trueIiEEEEEE10hipError_tPvRmT3_T4_T5_T6_T7_T9_mT8_P12ihipStream_tbDpT10_ENKUlT_T0_E_clISt17integral_constantIbLb1EES1B_EEDaS16_S17_EUlS16_E_NS1_11comp_targetILNS1_3genE0ELNS1_11target_archE4294967295ELNS1_3gpuE0ELNS1_3repE0EEENS1_30default_config_static_selectorELNS0_4arch9wavefront6targetE0EEEvT1_
    .private_segment_fixed_size: 0
    .sgpr_count:     0
    .sgpr_spill_count: 0
    .symbol:         _ZN7rocprim17ROCPRIM_400000_NS6detail17trampoline_kernelINS0_14default_configENS1_25partition_config_selectorILNS1_17partition_subalgoE6EiNS0_10empty_typeEbEEZZNS1_14partition_implILS5_6ELb0ES3_mN6thrust23THRUST_200600_302600_NS6detail15normal_iteratorINSA_10device_ptrIiEEEEPS6_SG_NS0_5tupleIJNSA_16discard_iteratorINSA_11use_defaultEEES6_EEENSH_IJSG_SG_EEES6_PlJNSB_9not_fun_tI7is_trueIiEEEEEE10hipError_tPvRmT3_T4_T5_T6_T7_T9_mT8_P12ihipStream_tbDpT10_ENKUlT_T0_E_clISt17integral_constantIbLb1EES1B_EEDaS16_S17_EUlS16_E_NS1_11comp_targetILNS1_3genE0ELNS1_11target_archE4294967295ELNS1_3gpuE0ELNS1_3repE0EEENS1_30default_config_static_selectorELNS0_4arch9wavefront6targetE0EEEvT1_.kd
    .uniform_work_group_size: 1
    .uses_dynamic_stack: false
    .vgpr_count:     0
    .vgpr_spill_count: 0
    .wavefront_size: 32
    .workgroup_processor_mode: 1
  - .args:
      - .offset:         0
        .size:           136
        .value_kind:     by_value
    .group_segment_fixed_size: 0
    .kernarg_segment_align: 8
    .kernarg_segment_size: 136
    .language:       OpenCL C
    .language_version:
      - 2
      - 0
    .max_flat_workgroup_size: 512
    .name:           _ZN7rocprim17ROCPRIM_400000_NS6detail17trampoline_kernelINS0_14default_configENS1_25partition_config_selectorILNS1_17partition_subalgoE6EiNS0_10empty_typeEbEEZZNS1_14partition_implILS5_6ELb0ES3_mN6thrust23THRUST_200600_302600_NS6detail15normal_iteratorINSA_10device_ptrIiEEEEPS6_SG_NS0_5tupleIJNSA_16discard_iteratorINSA_11use_defaultEEES6_EEENSH_IJSG_SG_EEES6_PlJNSB_9not_fun_tI7is_trueIiEEEEEE10hipError_tPvRmT3_T4_T5_T6_T7_T9_mT8_P12ihipStream_tbDpT10_ENKUlT_T0_E_clISt17integral_constantIbLb1EES1B_EEDaS16_S17_EUlS16_E_NS1_11comp_targetILNS1_3genE5ELNS1_11target_archE942ELNS1_3gpuE9ELNS1_3repE0EEENS1_30default_config_static_selectorELNS0_4arch9wavefront6targetE0EEEvT1_
    .private_segment_fixed_size: 0
    .sgpr_count:     0
    .sgpr_spill_count: 0
    .symbol:         _ZN7rocprim17ROCPRIM_400000_NS6detail17trampoline_kernelINS0_14default_configENS1_25partition_config_selectorILNS1_17partition_subalgoE6EiNS0_10empty_typeEbEEZZNS1_14partition_implILS5_6ELb0ES3_mN6thrust23THRUST_200600_302600_NS6detail15normal_iteratorINSA_10device_ptrIiEEEEPS6_SG_NS0_5tupleIJNSA_16discard_iteratorINSA_11use_defaultEEES6_EEENSH_IJSG_SG_EEES6_PlJNSB_9not_fun_tI7is_trueIiEEEEEE10hipError_tPvRmT3_T4_T5_T6_T7_T9_mT8_P12ihipStream_tbDpT10_ENKUlT_T0_E_clISt17integral_constantIbLb1EES1B_EEDaS16_S17_EUlS16_E_NS1_11comp_targetILNS1_3genE5ELNS1_11target_archE942ELNS1_3gpuE9ELNS1_3repE0EEENS1_30default_config_static_selectorELNS0_4arch9wavefront6targetE0EEEvT1_.kd
    .uniform_work_group_size: 1
    .uses_dynamic_stack: false
    .vgpr_count:     0
    .vgpr_spill_count: 0
    .wavefront_size: 32
    .workgroup_processor_mode: 1
  - .args:
      - .offset:         0
        .size:           136
        .value_kind:     by_value
    .group_segment_fixed_size: 0
    .kernarg_segment_align: 8
    .kernarg_segment_size: 136
    .language:       OpenCL C
    .language_version:
      - 2
      - 0
    .max_flat_workgroup_size: 512
    .name:           _ZN7rocprim17ROCPRIM_400000_NS6detail17trampoline_kernelINS0_14default_configENS1_25partition_config_selectorILNS1_17partition_subalgoE6EiNS0_10empty_typeEbEEZZNS1_14partition_implILS5_6ELb0ES3_mN6thrust23THRUST_200600_302600_NS6detail15normal_iteratorINSA_10device_ptrIiEEEEPS6_SG_NS0_5tupleIJNSA_16discard_iteratorINSA_11use_defaultEEES6_EEENSH_IJSG_SG_EEES6_PlJNSB_9not_fun_tI7is_trueIiEEEEEE10hipError_tPvRmT3_T4_T5_T6_T7_T9_mT8_P12ihipStream_tbDpT10_ENKUlT_T0_E_clISt17integral_constantIbLb1EES1B_EEDaS16_S17_EUlS16_E_NS1_11comp_targetILNS1_3genE4ELNS1_11target_archE910ELNS1_3gpuE8ELNS1_3repE0EEENS1_30default_config_static_selectorELNS0_4arch9wavefront6targetE0EEEvT1_
    .private_segment_fixed_size: 0
    .sgpr_count:     0
    .sgpr_spill_count: 0
    .symbol:         _ZN7rocprim17ROCPRIM_400000_NS6detail17trampoline_kernelINS0_14default_configENS1_25partition_config_selectorILNS1_17partition_subalgoE6EiNS0_10empty_typeEbEEZZNS1_14partition_implILS5_6ELb0ES3_mN6thrust23THRUST_200600_302600_NS6detail15normal_iteratorINSA_10device_ptrIiEEEEPS6_SG_NS0_5tupleIJNSA_16discard_iteratorINSA_11use_defaultEEES6_EEENSH_IJSG_SG_EEES6_PlJNSB_9not_fun_tI7is_trueIiEEEEEE10hipError_tPvRmT3_T4_T5_T6_T7_T9_mT8_P12ihipStream_tbDpT10_ENKUlT_T0_E_clISt17integral_constantIbLb1EES1B_EEDaS16_S17_EUlS16_E_NS1_11comp_targetILNS1_3genE4ELNS1_11target_archE910ELNS1_3gpuE8ELNS1_3repE0EEENS1_30default_config_static_selectorELNS0_4arch9wavefront6targetE0EEEvT1_.kd
    .uniform_work_group_size: 1
    .uses_dynamic_stack: false
    .vgpr_count:     0
    .vgpr_spill_count: 0
    .wavefront_size: 32
    .workgroup_processor_mode: 1
  - .args:
      - .offset:         0
        .size:           136
        .value_kind:     by_value
    .group_segment_fixed_size: 0
    .kernarg_segment_align: 8
    .kernarg_segment_size: 136
    .language:       OpenCL C
    .language_version:
      - 2
      - 0
    .max_flat_workgroup_size: 256
    .name:           _ZN7rocprim17ROCPRIM_400000_NS6detail17trampoline_kernelINS0_14default_configENS1_25partition_config_selectorILNS1_17partition_subalgoE6EiNS0_10empty_typeEbEEZZNS1_14partition_implILS5_6ELb0ES3_mN6thrust23THRUST_200600_302600_NS6detail15normal_iteratorINSA_10device_ptrIiEEEEPS6_SG_NS0_5tupleIJNSA_16discard_iteratorINSA_11use_defaultEEES6_EEENSH_IJSG_SG_EEES6_PlJNSB_9not_fun_tI7is_trueIiEEEEEE10hipError_tPvRmT3_T4_T5_T6_T7_T9_mT8_P12ihipStream_tbDpT10_ENKUlT_T0_E_clISt17integral_constantIbLb1EES1B_EEDaS16_S17_EUlS16_E_NS1_11comp_targetILNS1_3genE3ELNS1_11target_archE908ELNS1_3gpuE7ELNS1_3repE0EEENS1_30default_config_static_selectorELNS0_4arch9wavefront6targetE0EEEvT1_
    .private_segment_fixed_size: 0
    .sgpr_count:     0
    .sgpr_spill_count: 0
    .symbol:         _ZN7rocprim17ROCPRIM_400000_NS6detail17trampoline_kernelINS0_14default_configENS1_25partition_config_selectorILNS1_17partition_subalgoE6EiNS0_10empty_typeEbEEZZNS1_14partition_implILS5_6ELb0ES3_mN6thrust23THRUST_200600_302600_NS6detail15normal_iteratorINSA_10device_ptrIiEEEEPS6_SG_NS0_5tupleIJNSA_16discard_iteratorINSA_11use_defaultEEES6_EEENSH_IJSG_SG_EEES6_PlJNSB_9not_fun_tI7is_trueIiEEEEEE10hipError_tPvRmT3_T4_T5_T6_T7_T9_mT8_P12ihipStream_tbDpT10_ENKUlT_T0_E_clISt17integral_constantIbLb1EES1B_EEDaS16_S17_EUlS16_E_NS1_11comp_targetILNS1_3genE3ELNS1_11target_archE908ELNS1_3gpuE7ELNS1_3repE0EEENS1_30default_config_static_selectorELNS0_4arch9wavefront6targetE0EEEvT1_.kd
    .uniform_work_group_size: 1
    .uses_dynamic_stack: false
    .vgpr_count:     0
    .vgpr_spill_count: 0
    .wavefront_size: 32
    .workgroup_processor_mode: 1
  - .args:
      - .offset:         0
        .size:           136
        .value_kind:     by_value
    .group_segment_fixed_size: 0
    .kernarg_segment_align: 8
    .kernarg_segment_size: 136
    .language:       OpenCL C
    .language_version:
      - 2
      - 0
    .max_flat_workgroup_size: 192
    .name:           _ZN7rocprim17ROCPRIM_400000_NS6detail17trampoline_kernelINS0_14default_configENS1_25partition_config_selectorILNS1_17partition_subalgoE6EiNS0_10empty_typeEbEEZZNS1_14partition_implILS5_6ELb0ES3_mN6thrust23THRUST_200600_302600_NS6detail15normal_iteratorINSA_10device_ptrIiEEEEPS6_SG_NS0_5tupleIJNSA_16discard_iteratorINSA_11use_defaultEEES6_EEENSH_IJSG_SG_EEES6_PlJNSB_9not_fun_tI7is_trueIiEEEEEE10hipError_tPvRmT3_T4_T5_T6_T7_T9_mT8_P12ihipStream_tbDpT10_ENKUlT_T0_E_clISt17integral_constantIbLb1EES1B_EEDaS16_S17_EUlS16_E_NS1_11comp_targetILNS1_3genE2ELNS1_11target_archE906ELNS1_3gpuE6ELNS1_3repE0EEENS1_30default_config_static_selectorELNS0_4arch9wavefront6targetE0EEEvT1_
    .private_segment_fixed_size: 0
    .sgpr_count:     0
    .sgpr_spill_count: 0
    .symbol:         _ZN7rocprim17ROCPRIM_400000_NS6detail17trampoline_kernelINS0_14default_configENS1_25partition_config_selectorILNS1_17partition_subalgoE6EiNS0_10empty_typeEbEEZZNS1_14partition_implILS5_6ELb0ES3_mN6thrust23THRUST_200600_302600_NS6detail15normal_iteratorINSA_10device_ptrIiEEEEPS6_SG_NS0_5tupleIJNSA_16discard_iteratorINSA_11use_defaultEEES6_EEENSH_IJSG_SG_EEES6_PlJNSB_9not_fun_tI7is_trueIiEEEEEE10hipError_tPvRmT3_T4_T5_T6_T7_T9_mT8_P12ihipStream_tbDpT10_ENKUlT_T0_E_clISt17integral_constantIbLb1EES1B_EEDaS16_S17_EUlS16_E_NS1_11comp_targetILNS1_3genE2ELNS1_11target_archE906ELNS1_3gpuE6ELNS1_3repE0EEENS1_30default_config_static_selectorELNS0_4arch9wavefront6targetE0EEEvT1_.kd
    .uniform_work_group_size: 1
    .uses_dynamic_stack: false
    .vgpr_count:     0
    .vgpr_spill_count: 0
    .wavefront_size: 32
    .workgroup_processor_mode: 1
  - .args:
      - .offset:         0
        .size:           136
        .value_kind:     by_value
    .group_segment_fixed_size: 0
    .kernarg_segment_align: 8
    .kernarg_segment_size: 136
    .language:       OpenCL C
    .language_version:
      - 2
      - 0
    .max_flat_workgroup_size: 384
    .name:           _ZN7rocprim17ROCPRIM_400000_NS6detail17trampoline_kernelINS0_14default_configENS1_25partition_config_selectorILNS1_17partition_subalgoE6EiNS0_10empty_typeEbEEZZNS1_14partition_implILS5_6ELb0ES3_mN6thrust23THRUST_200600_302600_NS6detail15normal_iteratorINSA_10device_ptrIiEEEEPS6_SG_NS0_5tupleIJNSA_16discard_iteratorINSA_11use_defaultEEES6_EEENSH_IJSG_SG_EEES6_PlJNSB_9not_fun_tI7is_trueIiEEEEEE10hipError_tPvRmT3_T4_T5_T6_T7_T9_mT8_P12ihipStream_tbDpT10_ENKUlT_T0_E_clISt17integral_constantIbLb1EES1B_EEDaS16_S17_EUlS16_E_NS1_11comp_targetILNS1_3genE10ELNS1_11target_archE1200ELNS1_3gpuE4ELNS1_3repE0EEENS1_30default_config_static_selectorELNS0_4arch9wavefront6targetE0EEEvT1_
    .private_segment_fixed_size: 0
    .sgpr_count:     0
    .sgpr_spill_count: 0
    .symbol:         _ZN7rocprim17ROCPRIM_400000_NS6detail17trampoline_kernelINS0_14default_configENS1_25partition_config_selectorILNS1_17partition_subalgoE6EiNS0_10empty_typeEbEEZZNS1_14partition_implILS5_6ELb0ES3_mN6thrust23THRUST_200600_302600_NS6detail15normal_iteratorINSA_10device_ptrIiEEEEPS6_SG_NS0_5tupleIJNSA_16discard_iteratorINSA_11use_defaultEEES6_EEENSH_IJSG_SG_EEES6_PlJNSB_9not_fun_tI7is_trueIiEEEEEE10hipError_tPvRmT3_T4_T5_T6_T7_T9_mT8_P12ihipStream_tbDpT10_ENKUlT_T0_E_clISt17integral_constantIbLb1EES1B_EEDaS16_S17_EUlS16_E_NS1_11comp_targetILNS1_3genE10ELNS1_11target_archE1200ELNS1_3gpuE4ELNS1_3repE0EEENS1_30default_config_static_selectorELNS0_4arch9wavefront6targetE0EEEvT1_.kd
    .uniform_work_group_size: 1
    .uses_dynamic_stack: false
    .vgpr_count:     0
    .vgpr_spill_count: 0
    .wavefront_size: 32
    .workgroup_processor_mode: 1
  - .args:
      - .offset:         0
        .size:           136
        .value_kind:     by_value
    .group_segment_fixed_size: 0
    .kernarg_segment_align: 8
    .kernarg_segment_size: 136
    .language:       OpenCL C
    .language_version:
      - 2
      - 0
    .max_flat_workgroup_size: 128
    .name:           _ZN7rocprim17ROCPRIM_400000_NS6detail17trampoline_kernelINS0_14default_configENS1_25partition_config_selectorILNS1_17partition_subalgoE6EiNS0_10empty_typeEbEEZZNS1_14partition_implILS5_6ELb0ES3_mN6thrust23THRUST_200600_302600_NS6detail15normal_iteratorINSA_10device_ptrIiEEEEPS6_SG_NS0_5tupleIJNSA_16discard_iteratorINSA_11use_defaultEEES6_EEENSH_IJSG_SG_EEES6_PlJNSB_9not_fun_tI7is_trueIiEEEEEE10hipError_tPvRmT3_T4_T5_T6_T7_T9_mT8_P12ihipStream_tbDpT10_ENKUlT_T0_E_clISt17integral_constantIbLb1EES1B_EEDaS16_S17_EUlS16_E_NS1_11comp_targetILNS1_3genE9ELNS1_11target_archE1100ELNS1_3gpuE3ELNS1_3repE0EEENS1_30default_config_static_selectorELNS0_4arch9wavefront6targetE0EEEvT1_
    .private_segment_fixed_size: 0
    .sgpr_count:     0
    .sgpr_spill_count: 0
    .symbol:         _ZN7rocprim17ROCPRIM_400000_NS6detail17trampoline_kernelINS0_14default_configENS1_25partition_config_selectorILNS1_17partition_subalgoE6EiNS0_10empty_typeEbEEZZNS1_14partition_implILS5_6ELb0ES3_mN6thrust23THRUST_200600_302600_NS6detail15normal_iteratorINSA_10device_ptrIiEEEEPS6_SG_NS0_5tupleIJNSA_16discard_iteratorINSA_11use_defaultEEES6_EEENSH_IJSG_SG_EEES6_PlJNSB_9not_fun_tI7is_trueIiEEEEEE10hipError_tPvRmT3_T4_T5_T6_T7_T9_mT8_P12ihipStream_tbDpT10_ENKUlT_T0_E_clISt17integral_constantIbLb1EES1B_EEDaS16_S17_EUlS16_E_NS1_11comp_targetILNS1_3genE9ELNS1_11target_archE1100ELNS1_3gpuE3ELNS1_3repE0EEENS1_30default_config_static_selectorELNS0_4arch9wavefront6targetE0EEEvT1_.kd
    .uniform_work_group_size: 1
    .uses_dynamic_stack: false
    .vgpr_count:     0
    .vgpr_spill_count: 0
    .wavefront_size: 32
    .workgroup_processor_mode: 1
  - .args:
      - .offset:         0
        .size:           136
        .value_kind:     by_value
    .group_segment_fixed_size: 0
    .kernarg_segment_align: 8
    .kernarg_segment_size: 136
    .language:       OpenCL C
    .language_version:
      - 2
      - 0
    .max_flat_workgroup_size: 512
    .name:           _ZN7rocprim17ROCPRIM_400000_NS6detail17trampoline_kernelINS0_14default_configENS1_25partition_config_selectorILNS1_17partition_subalgoE6EiNS0_10empty_typeEbEEZZNS1_14partition_implILS5_6ELb0ES3_mN6thrust23THRUST_200600_302600_NS6detail15normal_iteratorINSA_10device_ptrIiEEEEPS6_SG_NS0_5tupleIJNSA_16discard_iteratorINSA_11use_defaultEEES6_EEENSH_IJSG_SG_EEES6_PlJNSB_9not_fun_tI7is_trueIiEEEEEE10hipError_tPvRmT3_T4_T5_T6_T7_T9_mT8_P12ihipStream_tbDpT10_ENKUlT_T0_E_clISt17integral_constantIbLb1EES1B_EEDaS16_S17_EUlS16_E_NS1_11comp_targetILNS1_3genE8ELNS1_11target_archE1030ELNS1_3gpuE2ELNS1_3repE0EEENS1_30default_config_static_selectorELNS0_4arch9wavefront6targetE0EEEvT1_
    .private_segment_fixed_size: 0
    .sgpr_count:     0
    .sgpr_spill_count: 0
    .symbol:         _ZN7rocprim17ROCPRIM_400000_NS6detail17trampoline_kernelINS0_14default_configENS1_25partition_config_selectorILNS1_17partition_subalgoE6EiNS0_10empty_typeEbEEZZNS1_14partition_implILS5_6ELb0ES3_mN6thrust23THRUST_200600_302600_NS6detail15normal_iteratorINSA_10device_ptrIiEEEEPS6_SG_NS0_5tupleIJNSA_16discard_iteratorINSA_11use_defaultEEES6_EEENSH_IJSG_SG_EEES6_PlJNSB_9not_fun_tI7is_trueIiEEEEEE10hipError_tPvRmT3_T4_T5_T6_T7_T9_mT8_P12ihipStream_tbDpT10_ENKUlT_T0_E_clISt17integral_constantIbLb1EES1B_EEDaS16_S17_EUlS16_E_NS1_11comp_targetILNS1_3genE8ELNS1_11target_archE1030ELNS1_3gpuE2ELNS1_3repE0EEENS1_30default_config_static_selectorELNS0_4arch9wavefront6targetE0EEEvT1_.kd
    .uniform_work_group_size: 1
    .uses_dynamic_stack: false
    .vgpr_count:     0
    .vgpr_spill_count: 0
    .wavefront_size: 32
    .workgroup_processor_mode: 1
  - .args:
      - .offset:         0
        .size:           120
        .value_kind:     by_value
    .group_segment_fixed_size: 0
    .kernarg_segment_align: 8
    .kernarg_segment_size: 120
    .language:       OpenCL C
    .language_version:
      - 2
      - 0
    .max_flat_workgroup_size: 256
    .name:           _ZN7rocprim17ROCPRIM_400000_NS6detail17trampoline_kernelINS0_14default_configENS1_25partition_config_selectorILNS1_17partition_subalgoE6EiNS0_10empty_typeEbEEZZNS1_14partition_implILS5_6ELb0ES3_mN6thrust23THRUST_200600_302600_NS6detail15normal_iteratorINSA_10device_ptrIiEEEEPS6_SG_NS0_5tupleIJNSA_16discard_iteratorINSA_11use_defaultEEES6_EEENSH_IJSG_SG_EEES6_PlJNSB_9not_fun_tI7is_trueIiEEEEEE10hipError_tPvRmT3_T4_T5_T6_T7_T9_mT8_P12ihipStream_tbDpT10_ENKUlT_T0_E_clISt17integral_constantIbLb1EES1A_IbLb0EEEEDaS16_S17_EUlS16_E_NS1_11comp_targetILNS1_3genE0ELNS1_11target_archE4294967295ELNS1_3gpuE0ELNS1_3repE0EEENS1_30default_config_static_selectorELNS0_4arch9wavefront6targetE0EEEvT1_
    .private_segment_fixed_size: 0
    .sgpr_count:     0
    .sgpr_spill_count: 0
    .symbol:         _ZN7rocprim17ROCPRIM_400000_NS6detail17trampoline_kernelINS0_14default_configENS1_25partition_config_selectorILNS1_17partition_subalgoE6EiNS0_10empty_typeEbEEZZNS1_14partition_implILS5_6ELb0ES3_mN6thrust23THRUST_200600_302600_NS6detail15normal_iteratorINSA_10device_ptrIiEEEEPS6_SG_NS0_5tupleIJNSA_16discard_iteratorINSA_11use_defaultEEES6_EEENSH_IJSG_SG_EEES6_PlJNSB_9not_fun_tI7is_trueIiEEEEEE10hipError_tPvRmT3_T4_T5_T6_T7_T9_mT8_P12ihipStream_tbDpT10_ENKUlT_T0_E_clISt17integral_constantIbLb1EES1A_IbLb0EEEEDaS16_S17_EUlS16_E_NS1_11comp_targetILNS1_3genE0ELNS1_11target_archE4294967295ELNS1_3gpuE0ELNS1_3repE0EEENS1_30default_config_static_selectorELNS0_4arch9wavefront6targetE0EEEvT1_.kd
    .uniform_work_group_size: 1
    .uses_dynamic_stack: false
    .vgpr_count:     0
    .vgpr_spill_count: 0
    .wavefront_size: 32
    .workgroup_processor_mode: 1
  - .args:
      - .offset:         0
        .size:           120
        .value_kind:     by_value
    .group_segment_fixed_size: 0
    .kernarg_segment_align: 8
    .kernarg_segment_size: 120
    .language:       OpenCL C
    .language_version:
      - 2
      - 0
    .max_flat_workgroup_size: 512
    .name:           _ZN7rocprim17ROCPRIM_400000_NS6detail17trampoline_kernelINS0_14default_configENS1_25partition_config_selectorILNS1_17partition_subalgoE6EiNS0_10empty_typeEbEEZZNS1_14partition_implILS5_6ELb0ES3_mN6thrust23THRUST_200600_302600_NS6detail15normal_iteratorINSA_10device_ptrIiEEEEPS6_SG_NS0_5tupleIJNSA_16discard_iteratorINSA_11use_defaultEEES6_EEENSH_IJSG_SG_EEES6_PlJNSB_9not_fun_tI7is_trueIiEEEEEE10hipError_tPvRmT3_T4_T5_T6_T7_T9_mT8_P12ihipStream_tbDpT10_ENKUlT_T0_E_clISt17integral_constantIbLb1EES1A_IbLb0EEEEDaS16_S17_EUlS16_E_NS1_11comp_targetILNS1_3genE5ELNS1_11target_archE942ELNS1_3gpuE9ELNS1_3repE0EEENS1_30default_config_static_selectorELNS0_4arch9wavefront6targetE0EEEvT1_
    .private_segment_fixed_size: 0
    .sgpr_count:     0
    .sgpr_spill_count: 0
    .symbol:         _ZN7rocprim17ROCPRIM_400000_NS6detail17trampoline_kernelINS0_14default_configENS1_25partition_config_selectorILNS1_17partition_subalgoE6EiNS0_10empty_typeEbEEZZNS1_14partition_implILS5_6ELb0ES3_mN6thrust23THRUST_200600_302600_NS6detail15normal_iteratorINSA_10device_ptrIiEEEEPS6_SG_NS0_5tupleIJNSA_16discard_iteratorINSA_11use_defaultEEES6_EEENSH_IJSG_SG_EEES6_PlJNSB_9not_fun_tI7is_trueIiEEEEEE10hipError_tPvRmT3_T4_T5_T6_T7_T9_mT8_P12ihipStream_tbDpT10_ENKUlT_T0_E_clISt17integral_constantIbLb1EES1A_IbLb0EEEEDaS16_S17_EUlS16_E_NS1_11comp_targetILNS1_3genE5ELNS1_11target_archE942ELNS1_3gpuE9ELNS1_3repE0EEENS1_30default_config_static_selectorELNS0_4arch9wavefront6targetE0EEEvT1_.kd
    .uniform_work_group_size: 1
    .uses_dynamic_stack: false
    .vgpr_count:     0
    .vgpr_spill_count: 0
    .wavefront_size: 32
    .workgroup_processor_mode: 1
  - .args:
      - .offset:         0
        .size:           120
        .value_kind:     by_value
    .group_segment_fixed_size: 0
    .kernarg_segment_align: 8
    .kernarg_segment_size: 120
    .language:       OpenCL C
    .language_version:
      - 2
      - 0
    .max_flat_workgroup_size: 512
    .name:           _ZN7rocprim17ROCPRIM_400000_NS6detail17trampoline_kernelINS0_14default_configENS1_25partition_config_selectorILNS1_17partition_subalgoE6EiNS0_10empty_typeEbEEZZNS1_14partition_implILS5_6ELb0ES3_mN6thrust23THRUST_200600_302600_NS6detail15normal_iteratorINSA_10device_ptrIiEEEEPS6_SG_NS0_5tupleIJNSA_16discard_iteratorINSA_11use_defaultEEES6_EEENSH_IJSG_SG_EEES6_PlJNSB_9not_fun_tI7is_trueIiEEEEEE10hipError_tPvRmT3_T4_T5_T6_T7_T9_mT8_P12ihipStream_tbDpT10_ENKUlT_T0_E_clISt17integral_constantIbLb1EES1A_IbLb0EEEEDaS16_S17_EUlS16_E_NS1_11comp_targetILNS1_3genE4ELNS1_11target_archE910ELNS1_3gpuE8ELNS1_3repE0EEENS1_30default_config_static_selectorELNS0_4arch9wavefront6targetE0EEEvT1_
    .private_segment_fixed_size: 0
    .sgpr_count:     0
    .sgpr_spill_count: 0
    .symbol:         _ZN7rocprim17ROCPRIM_400000_NS6detail17trampoline_kernelINS0_14default_configENS1_25partition_config_selectorILNS1_17partition_subalgoE6EiNS0_10empty_typeEbEEZZNS1_14partition_implILS5_6ELb0ES3_mN6thrust23THRUST_200600_302600_NS6detail15normal_iteratorINSA_10device_ptrIiEEEEPS6_SG_NS0_5tupleIJNSA_16discard_iteratorINSA_11use_defaultEEES6_EEENSH_IJSG_SG_EEES6_PlJNSB_9not_fun_tI7is_trueIiEEEEEE10hipError_tPvRmT3_T4_T5_T6_T7_T9_mT8_P12ihipStream_tbDpT10_ENKUlT_T0_E_clISt17integral_constantIbLb1EES1A_IbLb0EEEEDaS16_S17_EUlS16_E_NS1_11comp_targetILNS1_3genE4ELNS1_11target_archE910ELNS1_3gpuE8ELNS1_3repE0EEENS1_30default_config_static_selectorELNS0_4arch9wavefront6targetE0EEEvT1_.kd
    .uniform_work_group_size: 1
    .uses_dynamic_stack: false
    .vgpr_count:     0
    .vgpr_spill_count: 0
    .wavefront_size: 32
    .workgroup_processor_mode: 1
  - .args:
      - .offset:         0
        .size:           120
        .value_kind:     by_value
    .group_segment_fixed_size: 0
    .kernarg_segment_align: 8
    .kernarg_segment_size: 120
    .language:       OpenCL C
    .language_version:
      - 2
      - 0
    .max_flat_workgroup_size: 256
    .name:           _ZN7rocprim17ROCPRIM_400000_NS6detail17trampoline_kernelINS0_14default_configENS1_25partition_config_selectorILNS1_17partition_subalgoE6EiNS0_10empty_typeEbEEZZNS1_14partition_implILS5_6ELb0ES3_mN6thrust23THRUST_200600_302600_NS6detail15normal_iteratorINSA_10device_ptrIiEEEEPS6_SG_NS0_5tupleIJNSA_16discard_iteratorINSA_11use_defaultEEES6_EEENSH_IJSG_SG_EEES6_PlJNSB_9not_fun_tI7is_trueIiEEEEEE10hipError_tPvRmT3_T4_T5_T6_T7_T9_mT8_P12ihipStream_tbDpT10_ENKUlT_T0_E_clISt17integral_constantIbLb1EES1A_IbLb0EEEEDaS16_S17_EUlS16_E_NS1_11comp_targetILNS1_3genE3ELNS1_11target_archE908ELNS1_3gpuE7ELNS1_3repE0EEENS1_30default_config_static_selectorELNS0_4arch9wavefront6targetE0EEEvT1_
    .private_segment_fixed_size: 0
    .sgpr_count:     0
    .sgpr_spill_count: 0
    .symbol:         _ZN7rocprim17ROCPRIM_400000_NS6detail17trampoline_kernelINS0_14default_configENS1_25partition_config_selectorILNS1_17partition_subalgoE6EiNS0_10empty_typeEbEEZZNS1_14partition_implILS5_6ELb0ES3_mN6thrust23THRUST_200600_302600_NS6detail15normal_iteratorINSA_10device_ptrIiEEEEPS6_SG_NS0_5tupleIJNSA_16discard_iteratorINSA_11use_defaultEEES6_EEENSH_IJSG_SG_EEES6_PlJNSB_9not_fun_tI7is_trueIiEEEEEE10hipError_tPvRmT3_T4_T5_T6_T7_T9_mT8_P12ihipStream_tbDpT10_ENKUlT_T0_E_clISt17integral_constantIbLb1EES1A_IbLb0EEEEDaS16_S17_EUlS16_E_NS1_11comp_targetILNS1_3genE3ELNS1_11target_archE908ELNS1_3gpuE7ELNS1_3repE0EEENS1_30default_config_static_selectorELNS0_4arch9wavefront6targetE0EEEvT1_.kd
    .uniform_work_group_size: 1
    .uses_dynamic_stack: false
    .vgpr_count:     0
    .vgpr_spill_count: 0
    .wavefront_size: 32
    .workgroup_processor_mode: 1
  - .args:
      - .offset:         0
        .size:           120
        .value_kind:     by_value
    .group_segment_fixed_size: 0
    .kernarg_segment_align: 8
    .kernarg_segment_size: 120
    .language:       OpenCL C
    .language_version:
      - 2
      - 0
    .max_flat_workgroup_size: 192
    .name:           _ZN7rocprim17ROCPRIM_400000_NS6detail17trampoline_kernelINS0_14default_configENS1_25partition_config_selectorILNS1_17partition_subalgoE6EiNS0_10empty_typeEbEEZZNS1_14partition_implILS5_6ELb0ES3_mN6thrust23THRUST_200600_302600_NS6detail15normal_iteratorINSA_10device_ptrIiEEEEPS6_SG_NS0_5tupleIJNSA_16discard_iteratorINSA_11use_defaultEEES6_EEENSH_IJSG_SG_EEES6_PlJNSB_9not_fun_tI7is_trueIiEEEEEE10hipError_tPvRmT3_T4_T5_T6_T7_T9_mT8_P12ihipStream_tbDpT10_ENKUlT_T0_E_clISt17integral_constantIbLb1EES1A_IbLb0EEEEDaS16_S17_EUlS16_E_NS1_11comp_targetILNS1_3genE2ELNS1_11target_archE906ELNS1_3gpuE6ELNS1_3repE0EEENS1_30default_config_static_selectorELNS0_4arch9wavefront6targetE0EEEvT1_
    .private_segment_fixed_size: 0
    .sgpr_count:     0
    .sgpr_spill_count: 0
    .symbol:         _ZN7rocprim17ROCPRIM_400000_NS6detail17trampoline_kernelINS0_14default_configENS1_25partition_config_selectorILNS1_17partition_subalgoE6EiNS0_10empty_typeEbEEZZNS1_14partition_implILS5_6ELb0ES3_mN6thrust23THRUST_200600_302600_NS6detail15normal_iteratorINSA_10device_ptrIiEEEEPS6_SG_NS0_5tupleIJNSA_16discard_iteratorINSA_11use_defaultEEES6_EEENSH_IJSG_SG_EEES6_PlJNSB_9not_fun_tI7is_trueIiEEEEEE10hipError_tPvRmT3_T4_T5_T6_T7_T9_mT8_P12ihipStream_tbDpT10_ENKUlT_T0_E_clISt17integral_constantIbLb1EES1A_IbLb0EEEEDaS16_S17_EUlS16_E_NS1_11comp_targetILNS1_3genE2ELNS1_11target_archE906ELNS1_3gpuE6ELNS1_3repE0EEENS1_30default_config_static_selectorELNS0_4arch9wavefront6targetE0EEEvT1_.kd
    .uniform_work_group_size: 1
    .uses_dynamic_stack: false
    .vgpr_count:     0
    .vgpr_spill_count: 0
    .wavefront_size: 32
    .workgroup_processor_mode: 1
  - .args:
      - .offset:         0
        .size:           120
        .value_kind:     by_value
    .group_segment_fixed_size: 0
    .kernarg_segment_align: 8
    .kernarg_segment_size: 120
    .language:       OpenCL C
    .language_version:
      - 2
      - 0
    .max_flat_workgroup_size: 384
    .name:           _ZN7rocprim17ROCPRIM_400000_NS6detail17trampoline_kernelINS0_14default_configENS1_25partition_config_selectorILNS1_17partition_subalgoE6EiNS0_10empty_typeEbEEZZNS1_14partition_implILS5_6ELb0ES3_mN6thrust23THRUST_200600_302600_NS6detail15normal_iteratorINSA_10device_ptrIiEEEEPS6_SG_NS0_5tupleIJNSA_16discard_iteratorINSA_11use_defaultEEES6_EEENSH_IJSG_SG_EEES6_PlJNSB_9not_fun_tI7is_trueIiEEEEEE10hipError_tPvRmT3_T4_T5_T6_T7_T9_mT8_P12ihipStream_tbDpT10_ENKUlT_T0_E_clISt17integral_constantIbLb1EES1A_IbLb0EEEEDaS16_S17_EUlS16_E_NS1_11comp_targetILNS1_3genE10ELNS1_11target_archE1200ELNS1_3gpuE4ELNS1_3repE0EEENS1_30default_config_static_selectorELNS0_4arch9wavefront6targetE0EEEvT1_
    .private_segment_fixed_size: 0
    .sgpr_count:     0
    .sgpr_spill_count: 0
    .symbol:         _ZN7rocprim17ROCPRIM_400000_NS6detail17trampoline_kernelINS0_14default_configENS1_25partition_config_selectorILNS1_17partition_subalgoE6EiNS0_10empty_typeEbEEZZNS1_14partition_implILS5_6ELb0ES3_mN6thrust23THRUST_200600_302600_NS6detail15normal_iteratorINSA_10device_ptrIiEEEEPS6_SG_NS0_5tupleIJNSA_16discard_iteratorINSA_11use_defaultEEES6_EEENSH_IJSG_SG_EEES6_PlJNSB_9not_fun_tI7is_trueIiEEEEEE10hipError_tPvRmT3_T4_T5_T6_T7_T9_mT8_P12ihipStream_tbDpT10_ENKUlT_T0_E_clISt17integral_constantIbLb1EES1A_IbLb0EEEEDaS16_S17_EUlS16_E_NS1_11comp_targetILNS1_3genE10ELNS1_11target_archE1200ELNS1_3gpuE4ELNS1_3repE0EEENS1_30default_config_static_selectorELNS0_4arch9wavefront6targetE0EEEvT1_.kd
    .uniform_work_group_size: 1
    .uses_dynamic_stack: false
    .vgpr_count:     0
    .vgpr_spill_count: 0
    .wavefront_size: 32
    .workgroup_processor_mode: 1
  - .args:
      - .offset:         0
        .size:           120
        .value_kind:     by_value
    .group_segment_fixed_size: 0
    .kernarg_segment_align: 8
    .kernarg_segment_size: 120
    .language:       OpenCL C
    .language_version:
      - 2
      - 0
    .max_flat_workgroup_size: 128
    .name:           _ZN7rocprim17ROCPRIM_400000_NS6detail17trampoline_kernelINS0_14default_configENS1_25partition_config_selectorILNS1_17partition_subalgoE6EiNS0_10empty_typeEbEEZZNS1_14partition_implILS5_6ELb0ES3_mN6thrust23THRUST_200600_302600_NS6detail15normal_iteratorINSA_10device_ptrIiEEEEPS6_SG_NS0_5tupleIJNSA_16discard_iteratorINSA_11use_defaultEEES6_EEENSH_IJSG_SG_EEES6_PlJNSB_9not_fun_tI7is_trueIiEEEEEE10hipError_tPvRmT3_T4_T5_T6_T7_T9_mT8_P12ihipStream_tbDpT10_ENKUlT_T0_E_clISt17integral_constantIbLb1EES1A_IbLb0EEEEDaS16_S17_EUlS16_E_NS1_11comp_targetILNS1_3genE9ELNS1_11target_archE1100ELNS1_3gpuE3ELNS1_3repE0EEENS1_30default_config_static_selectorELNS0_4arch9wavefront6targetE0EEEvT1_
    .private_segment_fixed_size: 0
    .sgpr_count:     0
    .sgpr_spill_count: 0
    .symbol:         _ZN7rocprim17ROCPRIM_400000_NS6detail17trampoline_kernelINS0_14default_configENS1_25partition_config_selectorILNS1_17partition_subalgoE6EiNS0_10empty_typeEbEEZZNS1_14partition_implILS5_6ELb0ES3_mN6thrust23THRUST_200600_302600_NS6detail15normal_iteratorINSA_10device_ptrIiEEEEPS6_SG_NS0_5tupleIJNSA_16discard_iteratorINSA_11use_defaultEEES6_EEENSH_IJSG_SG_EEES6_PlJNSB_9not_fun_tI7is_trueIiEEEEEE10hipError_tPvRmT3_T4_T5_T6_T7_T9_mT8_P12ihipStream_tbDpT10_ENKUlT_T0_E_clISt17integral_constantIbLb1EES1A_IbLb0EEEEDaS16_S17_EUlS16_E_NS1_11comp_targetILNS1_3genE9ELNS1_11target_archE1100ELNS1_3gpuE3ELNS1_3repE0EEENS1_30default_config_static_selectorELNS0_4arch9wavefront6targetE0EEEvT1_.kd
    .uniform_work_group_size: 1
    .uses_dynamic_stack: false
    .vgpr_count:     0
    .vgpr_spill_count: 0
    .wavefront_size: 32
    .workgroup_processor_mode: 1
  - .args:
      - .offset:         0
        .size:           120
        .value_kind:     by_value
    .group_segment_fixed_size: 0
    .kernarg_segment_align: 8
    .kernarg_segment_size: 120
    .language:       OpenCL C
    .language_version:
      - 2
      - 0
    .max_flat_workgroup_size: 512
    .name:           _ZN7rocprim17ROCPRIM_400000_NS6detail17trampoline_kernelINS0_14default_configENS1_25partition_config_selectorILNS1_17partition_subalgoE6EiNS0_10empty_typeEbEEZZNS1_14partition_implILS5_6ELb0ES3_mN6thrust23THRUST_200600_302600_NS6detail15normal_iteratorINSA_10device_ptrIiEEEEPS6_SG_NS0_5tupleIJNSA_16discard_iteratorINSA_11use_defaultEEES6_EEENSH_IJSG_SG_EEES6_PlJNSB_9not_fun_tI7is_trueIiEEEEEE10hipError_tPvRmT3_T4_T5_T6_T7_T9_mT8_P12ihipStream_tbDpT10_ENKUlT_T0_E_clISt17integral_constantIbLb1EES1A_IbLb0EEEEDaS16_S17_EUlS16_E_NS1_11comp_targetILNS1_3genE8ELNS1_11target_archE1030ELNS1_3gpuE2ELNS1_3repE0EEENS1_30default_config_static_selectorELNS0_4arch9wavefront6targetE0EEEvT1_
    .private_segment_fixed_size: 0
    .sgpr_count:     0
    .sgpr_spill_count: 0
    .symbol:         _ZN7rocprim17ROCPRIM_400000_NS6detail17trampoline_kernelINS0_14default_configENS1_25partition_config_selectorILNS1_17partition_subalgoE6EiNS0_10empty_typeEbEEZZNS1_14partition_implILS5_6ELb0ES3_mN6thrust23THRUST_200600_302600_NS6detail15normal_iteratorINSA_10device_ptrIiEEEEPS6_SG_NS0_5tupleIJNSA_16discard_iteratorINSA_11use_defaultEEES6_EEENSH_IJSG_SG_EEES6_PlJNSB_9not_fun_tI7is_trueIiEEEEEE10hipError_tPvRmT3_T4_T5_T6_T7_T9_mT8_P12ihipStream_tbDpT10_ENKUlT_T0_E_clISt17integral_constantIbLb1EES1A_IbLb0EEEEDaS16_S17_EUlS16_E_NS1_11comp_targetILNS1_3genE8ELNS1_11target_archE1030ELNS1_3gpuE2ELNS1_3repE0EEENS1_30default_config_static_selectorELNS0_4arch9wavefront6targetE0EEEvT1_.kd
    .uniform_work_group_size: 1
    .uses_dynamic_stack: false
    .vgpr_count:     0
    .vgpr_spill_count: 0
    .wavefront_size: 32
    .workgroup_processor_mode: 1
  - .args:
      - .offset:         0
        .size:           136
        .value_kind:     by_value
    .group_segment_fixed_size: 0
    .kernarg_segment_align: 8
    .kernarg_segment_size: 136
    .language:       OpenCL C
    .language_version:
      - 2
      - 0
    .max_flat_workgroup_size: 256
    .name:           _ZN7rocprim17ROCPRIM_400000_NS6detail17trampoline_kernelINS0_14default_configENS1_25partition_config_selectorILNS1_17partition_subalgoE6EiNS0_10empty_typeEbEEZZNS1_14partition_implILS5_6ELb0ES3_mN6thrust23THRUST_200600_302600_NS6detail15normal_iteratorINSA_10device_ptrIiEEEEPS6_SG_NS0_5tupleIJNSA_16discard_iteratorINSA_11use_defaultEEES6_EEENSH_IJSG_SG_EEES6_PlJNSB_9not_fun_tI7is_trueIiEEEEEE10hipError_tPvRmT3_T4_T5_T6_T7_T9_mT8_P12ihipStream_tbDpT10_ENKUlT_T0_E_clISt17integral_constantIbLb0EES1A_IbLb1EEEEDaS16_S17_EUlS16_E_NS1_11comp_targetILNS1_3genE0ELNS1_11target_archE4294967295ELNS1_3gpuE0ELNS1_3repE0EEENS1_30default_config_static_selectorELNS0_4arch9wavefront6targetE0EEEvT1_
    .private_segment_fixed_size: 0
    .sgpr_count:     0
    .sgpr_spill_count: 0
    .symbol:         _ZN7rocprim17ROCPRIM_400000_NS6detail17trampoline_kernelINS0_14default_configENS1_25partition_config_selectorILNS1_17partition_subalgoE6EiNS0_10empty_typeEbEEZZNS1_14partition_implILS5_6ELb0ES3_mN6thrust23THRUST_200600_302600_NS6detail15normal_iteratorINSA_10device_ptrIiEEEEPS6_SG_NS0_5tupleIJNSA_16discard_iteratorINSA_11use_defaultEEES6_EEENSH_IJSG_SG_EEES6_PlJNSB_9not_fun_tI7is_trueIiEEEEEE10hipError_tPvRmT3_T4_T5_T6_T7_T9_mT8_P12ihipStream_tbDpT10_ENKUlT_T0_E_clISt17integral_constantIbLb0EES1A_IbLb1EEEEDaS16_S17_EUlS16_E_NS1_11comp_targetILNS1_3genE0ELNS1_11target_archE4294967295ELNS1_3gpuE0ELNS1_3repE0EEENS1_30default_config_static_selectorELNS0_4arch9wavefront6targetE0EEEvT1_.kd
    .uniform_work_group_size: 1
    .uses_dynamic_stack: false
    .vgpr_count:     0
    .vgpr_spill_count: 0
    .wavefront_size: 32
    .workgroup_processor_mode: 1
  - .args:
      - .offset:         0
        .size:           136
        .value_kind:     by_value
    .group_segment_fixed_size: 0
    .kernarg_segment_align: 8
    .kernarg_segment_size: 136
    .language:       OpenCL C
    .language_version:
      - 2
      - 0
    .max_flat_workgroup_size: 512
    .name:           _ZN7rocprim17ROCPRIM_400000_NS6detail17trampoline_kernelINS0_14default_configENS1_25partition_config_selectorILNS1_17partition_subalgoE6EiNS0_10empty_typeEbEEZZNS1_14partition_implILS5_6ELb0ES3_mN6thrust23THRUST_200600_302600_NS6detail15normal_iteratorINSA_10device_ptrIiEEEEPS6_SG_NS0_5tupleIJNSA_16discard_iteratorINSA_11use_defaultEEES6_EEENSH_IJSG_SG_EEES6_PlJNSB_9not_fun_tI7is_trueIiEEEEEE10hipError_tPvRmT3_T4_T5_T6_T7_T9_mT8_P12ihipStream_tbDpT10_ENKUlT_T0_E_clISt17integral_constantIbLb0EES1A_IbLb1EEEEDaS16_S17_EUlS16_E_NS1_11comp_targetILNS1_3genE5ELNS1_11target_archE942ELNS1_3gpuE9ELNS1_3repE0EEENS1_30default_config_static_selectorELNS0_4arch9wavefront6targetE0EEEvT1_
    .private_segment_fixed_size: 0
    .sgpr_count:     0
    .sgpr_spill_count: 0
    .symbol:         _ZN7rocprim17ROCPRIM_400000_NS6detail17trampoline_kernelINS0_14default_configENS1_25partition_config_selectorILNS1_17partition_subalgoE6EiNS0_10empty_typeEbEEZZNS1_14partition_implILS5_6ELb0ES3_mN6thrust23THRUST_200600_302600_NS6detail15normal_iteratorINSA_10device_ptrIiEEEEPS6_SG_NS0_5tupleIJNSA_16discard_iteratorINSA_11use_defaultEEES6_EEENSH_IJSG_SG_EEES6_PlJNSB_9not_fun_tI7is_trueIiEEEEEE10hipError_tPvRmT3_T4_T5_T6_T7_T9_mT8_P12ihipStream_tbDpT10_ENKUlT_T0_E_clISt17integral_constantIbLb0EES1A_IbLb1EEEEDaS16_S17_EUlS16_E_NS1_11comp_targetILNS1_3genE5ELNS1_11target_archE942ELNS1_3gpuE9ELNS1_3repE0EEENS1_30default_config_static_selectorELNS0_4arch9wavefront6targetE0EEEvT1_.kd
    .uniform_work_group_size: 1
    .uses_dynamic_stack: false
    .vgpr_count:     0
    .vgpr_spill_count: 0
    .wavefront_size: 32
    .workgroup_processor_mode: 1
  - .args:
      - .offset:         0
        .size:           136
        .value_kind:     by_value
    .group_segment_fixed_size: 0
    .kernarg_segment_align: 8
    .kernarg_segment_size: 136
    .language:       OpenCL C
    .language_version:
      - 2
      - 0
    .max_flat_workgroup_size: 512
    .name:           _ZN7rocprim17ROCPRIM_400000_NS6detail17trampoline_kernelINS0_14default_configENS1_25partition_config_selectorILNS1_17partition_subalgoE6EiNS0_10empty_typeEbEEZZNS1_14partition_implILS5_6ELb0ES3_mN6thrust23THRUST_200600_302600_NS6detail15normal_iteratorINSA_10device_ptrIiEEEEPS6_SG_NS0_5tupleIJNSA_16discard_iteratorINSA_11use_defaultEEES6_EEENSH_IJSG_SG_EEES6_PlJNSB_9not_fun_tI7is_trueIiEEEEEE10hipError_tPvRmT3_T4_T5_T6_T7_T9_mT8_P12ihipStream_tbDpT10_ENKUlT_T0_E_clISt17integral_constantIbLb0EES1A_IbLb1EEEEDaS16_S17_EUlS16_E_NS1_11comp_targetILNS1_3genE4ELNS1_11target_archE910ELNS1_3gpuE8ELNS1_3repE0EEENS1_30default_config_static_selectorELNS0_4arch9wavefront6targetE0EEEvT1_
    .private_segment_fixed_size: 0
    .sgpr_count:     0
    .sgpr_spill_count: 0
    .symbol:         _ZN7rocprim17ROCPRIM_400000_NS6detail17trampoline_kernelINS0_14default_configENS1_25partition_config_selectorILNS1_17partition_subalgoE6EiNS0_10empty_typeEbEEZZNS1_14partition_implILS5_6ELb0ES3_mN6thrust23THRUST_200600_302600_NS6detail15normal_iteratorINSA_10device_ptrIiEEEEPS6_SG_NS0_5tupleIJNSA_16discard_iteratorINSA_11use_defaultEEES6_EEENSH_IJSG_SG_EEES6_PlJNSB_9not_fun_tI7is_trueIiEEEEEE10hipError_tPvRmT3_T4_T5_T6_T7_T9_mT8_P12ihipStream_tbDpT10_ENKUlT_T0_E_clISt17integral_constantIbLb0EES1A_IbLb1EEEEDaS16_S17_EUlS16_E_NS1_11comp_targetILNS1_3genE4ELNS1_11target_archE910ELNS1_3gpuE8ELNS1_3repE0EEENS1_30default_config_static_selectorELNS0_4arch9wavefront6targetE0EEEvT1_.kd
    .uniform_work_group_size: 1
    .uses_dynamic_stack: false
    .vgpr_count:     0
    .vgpr_spill_count: 0
    .wavefront_size: 32
    .workgroup_processor_mode: 1
  - .args:
      - .offset:         0
        .size:           136
        .value_kind:     by_value
    .group_segment_fixed_size: 0
    .kernarg_segment_align: 8
    .kernarg_segment_size: 136
    .language:       OpenCL C
    .language_version:
      - 2
      - 0
    .max_flat_workgroup_size: 256
    .name:           _ZN7rocprim17ROCPRIM_400000_NS6detail17trampoline_kernelINS0_14default_configENS1_25partition_config_selectorILNS1_17partition_subalgoE6EiNS0_10empty_typeEbEEZZNS1_14partition_implILS5_6ELb0ES3_mN6thrust23THRUST_200600_302600_NS6detail15normal_iteratorINSA_10device_ptrIiEEEEPS6_SG_NS0_5tupleIJNSA_16discard_iteratorINSA_11use_defaultEEES6_EEENSH_IJSG_SG_EEES6_PlJNSB_9not_fun_tI7is_trueIiEEEEEE10hipError_tPvRmT3_T4_T5_T6_T7_T9_mT8_P12ihipStream_tbDpT10_ENKUlT_T0_E_clISt17integral_constantIbLb0EES1A_IbLb1EEEEDaS16_S17_EUlS16_E_NS1_11comp_targetILNS1_3genE3ELNS1_11target_archE908ELNS1_3gpuE7ELNS1_3repE0EEENS1_30default_config_static_selectorELNS0_4arch9wavefront6targetE0EEEvT1_
    .private_segment_fixed_size: 0
    .sgpr_count:     0
    .sgpr_spill_count: 0
    .symbol:         _ZN7rocprim17ROCPRIM_400000_NS6detail17trampoline_kernelINS0_14default_configENS1_25partition_config_selectorILNS1_17partition_subalgoE6EiNS0_10empty_typeEbEEZZNS1_14partition_implILS5_6ELb0ES3_mN6thrust23THRUST_200600_302600_NS6detail15normal_iteratorINSA_10device_ptrIiEEEEPS6_SG_NS0_5tupleIJNSA_16discard_iteratorINSA_11use_defaultEEES6_EEENSH_IJSG_SG_EEES6_PlJNSB_9not_fun_tI7is_trueIiEEEEEE10hipError_tPvRmT3_T4_T5_T6_T7_T9_mT8_P12ihipStream_tbDpT10_ENKUlT_T0_E_clISt17integral_constantIbLb0EES1A_IbLb1EEEEDaS16_S17_EUlS16_E_NS1_11comp_targetILNS1_3genE3ELNS1_11target_archE908ELNS1_3gpuE7ELNS1_3repE0EEENS1_30default_config_static_selectorELNS0_4arch9wavefront6targetE0EEEvT1_.kd
    .uniform_work_group_size: 1
    .uses_dynamic_stack: false
    .vgpr_count:     0
    .vgpr_spill_count: 0
    .wavefront_size: 32
    .workgroup_processor_mode: 1
  - .args:
      - .offset:         0
        .size:           136
        .value_kind:     by_value
    .group_segment_fixed_size: 0
    .kernarg_segment_align: 8
    .kernarg_segment_size: 136
    .language:       OpenCL C
    .language_version:
      - 2
      - 0
    .max_flat_workgroup_size: 192
    .name:           _ZN7rocprim17ROCPRIM_400000_NS6detail17trampoline_kernelINS0_14default_configENS1_25partition_config_selectorILNS1_17partition_subalgoE6EiNS0_10empty_typeEbEEZZNS1_14partition_implILS5_6ELb0ES3_mN6thrust23THRUST_200600_302600_NS6detail15normal_iteratorINSA_10device_ptrIiEEEEPS6_SG_NS0_5tupleIJNSA_16discard_iteratorINSA_11use_defaultEEES6_EEENSH_IJSG_SG_EEES6_PlJNSB_9not_fun_tI7is_trueIiEEEEEE10hipError_tPvRmT3_T4_T5_T6_T7_T9_mT8_P12ihipStream_tbDpT10_ENKUlT_T0_E_clISt17integral_constantIbLb0EES1A_IbLb1EEEEDaS16_S17_EUlS16_E_NS1_11comp_targetILNS1_3genE2ELNS1_11target_archE906ELNS1_3gpuE6ELNS1_3repE0EEENS1_30default_config_static_selectorELNS0_4arch9wavefront6targetE0EEEvT1_
    .private_segment_fixed_size: 0
    .sgpr_count:     0
    .sgpr_spill_count: 0
    .symbol:         _ZN7rocprim17ROCPRIM_400000_NS6detail17trampoline_kernelINS0_14default_configENS1_25partition_config_selectorILNS1_17partition_subalgoE6EiNS0_10empty_typeEbEEZZNS1_14partition_implILS5_6ELb0ES3_mN6thrust23THRUST_200600_302600_NS6detail15normal_iteratorINSA_10device_ptrIiEEEEPS6_SG_NS0_5tupleIJNSA_16discard_iteratorINSA_11use_defaultEEES6_EEENSH_IJSG_SG_EEES6_PlJNSB_9not_fun_tI7is_trueIiEEEEEE10hipError_tPvRmT3_T4_T5_T6_T7_T9_mT8_P12ihipStream_tbDpT10_ENKUlT_T0_E_clISt17integral_constantIbLb0EES1A_IbLb1EEEEDaS16_S17_EUlS16_E_NS1_11comp_targetILNS1_3genE2ELNS1_11target_archE906ELNS1_3gpuE6ELNS1_3repE0EEENS1_30default_config_static_selectorELNS0_4arch9wavefront6targetE0EEEvT1_.kd
    .uniform_work_group_size: 1
    .uses_dynamic_stack: false
    .vgpr_count:     0
    .vgpr_spill_count: 0
    .wavefront_size: 32
    .workgroup_processor_mode: 1
  - .args:
      - .offset:         0
        .size:           136
        .value_kind:     by_value
    .group_segment_fixed_size: 10768
    .kernarg_segment_align: 8
    .kernarg_segment_size: 136
    .language:       OpenCL C
    .language_version:
      - 2
      - 0
    .max_flat_workgroup_size: 384
    .name:           _ZN7rocprim17ROCPRIM_400000_NS6detail17trampoline_kernelINS0_14default_configENS1_25partition_config_selectorILNS1_17partition_subalgoE6EiNS0_10empty_typeEbEEZZNS1_14partition_implILS5_6ELb0ES3_mN6thrust23THRUST_200600_302600_NS6detail15normal_iteratorINSA_10device_ptrIiEEEEPS6_SG_NS0_5tupleIJNSA_16discard_iteratorINSA_11use_defaultEEES6_EEENSH_IJSG_SG_EEES6_PlJNSB_9not_fun_tI7is_trueIiEEEEEE10hipError_tPvRmT3_T4_T5_T6_T7_T9_mT8_P12ihipStream_tbDpT10_ENKUlT_T0_E_clISt17integral_constantIbLb0EES1A_IbLb1EEEEDaS16_S17_EUlS16_E_NS1_11comp_targetILNS1_3genE10ELNS1_11target_archE1200ELNS1_3gpuE4ELNS1_3repE0EEENS1_30default_config_static_selectorELNS0_4arch9wavefront6targetE0EEEvT1_
    .private_segment_fixed_size: 0
    .sgpr_count:     20
    .sgpr_spill_count: 0
    .symbol:         _ZN7rocprim17ROCPRIM_400000_NS6detail17trampoline_kernelINS0_14default_configENS1_25partition_config_selectorILNS1_17partition_subalgoE6EiNS0_10empty_typeEbEEZZNS1_14partition_implILS5_6ELb0ES3_mN6thrust23THRUST_200600_302600_NS6detail15normal_iteratorINSA_10device_ptrIiEEEEPS6_SG_NS0_5tupleIJNSA_16discard_iteratorINSA_11use_defaultEEES6_EEENSH_IJSG_SG_EEES6_PlJNSB_9not_fun_tI7is_trueIiEEEEEE10hipError_tPvRmT3_T4_T5_T6_T7_T9_mT8_P12ihipStream_tbDpT10_ENKUlT_T0_E_clISt17integral_constantIbLb0EES1A_IbLb1EEEEDaS16_S17_EUlS16_E_NS1_11comp_targetILNS1_3genE10ELNS1_11target_archE1200ELNS1_3gpuE4ELNS1_3repE0EEENS1_30default_config_static_selectorELNS0_4arch9wavefront6targetE0EEEvT1_.kd
    .uniform_work_group_size: 1
    .uses_dynamic_stack: false
    .vgpr_count:     50
    .vgpr_spill_count: 0
    .wavefront_size: 32
    .workgroup_processor_mode: 1
  - .args:
      - .offset:         0
        .size:           136
        .value_kind:     by_value
    .group_segment_fixed_size: 0
    .kernarg_segment_align: 8
    .kernarg_segment_size: 136
    .language:       OpenCL C
    .language_version:
      - 2
      - 0
    .max_flat_workgroup_size: 128
    .name:           _ZN7rocprim17ROCPRIM_400000_NS6detail17trampoline_kernelINS0_14default_configENS1_25partition_config_selectorILNS1_17partition_subalgoE6EiNS0_10empty_typeEbEEZZNS1_14partition_implILS5_6ELb0ES3_mN6thrust23THRUST_200600_302600_NS6detail15normal_iteratorINSA_10device_ptrIiEEEEPS6_SG_NS0_5tupleIJNSA_16discard_iteratorINSA_11use_defaultEEES6_EEENSH_IJSG_SG_EEES6_PlJNSB_9not_fun_tI7is_trueIiEEEEEE10hipError_tPvRmT3_T4_T5_T6_T7_T9_mT8_P12ihipStream_tbDpT10_ENKUlT_T0_E_clISt17integral_constantIbLb0EES1A_IbLb1EEEEDaS16_S17_EUlS16_E_NS1_11comp_targetILNS1_3genE9ELNS1_11target_archE1100ELNS1_3gpuE3ELNS1_3repE0EEENS1_30default_config_static_selectorELNS0_4arch9wavefront6targetE0EEEvT1_
    .private_segment_fixed_size: 0
    .sgpr_count:     0
    .sgpr_spill_count: 0
    .symbol:         _ZN7rocprim17ROCPRIM_400000_NS6detail17trampoline_kernelINS0_14default_configENS1_25partition_config_selectorILNS1_17partition_subalgoE6EiNS0_10empty_typeEbEEZZNS1_14partition_implILS5_6ELb0ES3_mN6thrust23THRUST_200600_302600_NS6detail15normal_iteratorINSA_10device_ptrIiEEEEPS6_SG_NS0_5tupleIJNSA_16discard_iteratorINSA_11use_defaultEEES6_EEENSH_IJSG_SG_EEES6_PlJNSB_9not_fun_tI7is_trueIiEEEEEE10hipError_tPvRmT3_T4_T5_T6_T7_T9_mT8_P12ihipStream_tbDpT10_ENKUlT_T0_E_clISt17integral_constantIbLb0EES1A_IbLb1EEEEDaS16_S17_EUlS16_E_NS1_11comp_targetILNS1_3genE9ELNS1_11target_archE1100ELNS1_3gpuE3ELNS1_3repE0EEENS1_30default_config_static_selectorELNS0_4arch9wavefront6targetE0EEEvT1_.kd
    .uniform_work_group_size: 1
    .uses_dynamic_stack: false
    .vgpr_count:     0
    .vgpr_spill_count: 0
    .wavefront_size: 32
    .workgroup_processor_mode: 1
  - .args:
      - .offset:         0
        .size:           136
        .value_kind:     by_value
    .group_segment_fixed_size: 0
    .kernarg_segment_align: 8
    .kernarg_segment_size: 136
    .language:       OpenCL C
    .language_version:
      - 2
      - 0
    .max_flat_workgroup_size: 512
    .name:           _ZN7rocprim17ROCPRIM_400000_NS6detail17trampoline_kernelINS0_14default_configENS1_25partition_config_selectorILNS1_17partition_subalgoE6EiNS0_10empty_typeEbEEZZNS1_14partition_implILS5_6ELb0ES3_mN6thrust23THRUST_200600_302600_NS6detail15normal_iteratorINSA_10device_ptrIiEEEEPS6_SG_NS0_5tupleIJNSA_16discard_iteratorINSA_11use_defaultEEES6_EEENSH_IJSG_SG_EEES6_PlJNSB_9not_fun_tI7is_trueIiEEEEEE10hipError_tPvRmT3_T4_T5_T6_T7_T9_mT8_P12ihipStream_tbDpT10_ENKUlT_T0_E_clISt17integral_constantIbLb0EES1A_IbLb1EEEEDaS16_S17_EUlS16_E_NS1_11comp_targetILNS1_3genE8ELNS1_11target_archE1030ELNS1_3gpuE2ELNS1_3repE0EEENS1_30default_config_static_selectorELNS0_4arch9wavefront6targetE0EEEvT1_
    .private_segment_fixed_size: 0
    .sgpr_count:     0
    .sgpr_spill_count: 0
    .symbol:         _ZN7rocprim17ROCPRIM_400000_NS6detail17trampoline_kernelINS0_14default_configENS1_25partition_config_selectorILNS1_17partition_subalgoE6EiNS0_10empty_typeEbEEZZNS1_14partition_implILS5_6ELb0ES3_mN6thrust23THRUST_200600_302600_NS6detail15normal_iteratorINSA_10device_ptrIiEEEEPS6_SG_NS0_5tupleIJNSA_16discard_iteratorINSA_11use_defaultEEES6_EEENSH_IJSG_SG_EEES6_PlJNSB_9not_fun_tI7is_trueIiEEEEEE10hipError_tPvRmT3_T4_T5_T6_T7_T9_mT8_P12ihipStream_tbDpT10_ENKUlT_T0_E_clISt17integral_constantIbLb0EES1A_IbLb1EEEEDaS16_S17_EUlS16_E_NS1_11comp_targetILNS1_3genE8ELNS1_11target_archE1030ELNS1_3gpuE2ELNS1_3repE0EEENS1_30default_config_static_selectorELNS0_4arch9wavefront6targetE0EEEvT1_.kd
    .uniform_work_group_size: 1
    .uses_dynamic_stack: false
    .vgpr_count:     0
    .vgpr_spill_count: 0
    .wavefront_size: 32
    .workgroup_processor_mode: 1
  - .args:
      - .offset:         0
        .size:           120
        .value_kind:     by_value
    .group_segment_fixed_size: 0
    .kernarg_segment_align: 8
    .kernarg_segment_size: 120
    .language:       OpenCL C
    .language_version:
      - 2
      - 0
    .max_flat_workgroup_size: 256
    .name:           _ZN7rocprim17ROCPRIM_400000_NS6detail17trampoline_kernelINS0_14default_configENS1_25partition_config_selectorILNS1_17partition_subalgoE6EsNS0_10empty_typeEbEEZZNS1_14partition_implILS5_6ELb0ES3_mN6thrust23THRUST_200600_302600_NS6detail15normal_iteratorINSA_10device_ptrIsEEEEPS6_SG_NS0_5tupleIJNSA_16discard_iteratorINSA_11use_defaultEEES6_EEENSH_IJSG_SG_EEES6_PlJNSB_9not_fun_tI7is_trueIsEEEEEE10hipError_tPvRmT3_T4_T5_T6_T7_T9_mT8_P12ihipStream_tbDpT10_ENKUlT_T0_E_clISt17integral_constantIbLb0EES1B_EEDaS16_S17_EUlS16_E_NS1_11comp_targetILNS1_3genE0ELNS1_11target_archE4294967295ELNS1_3gpuE0ELNS1_3repE0EEENS1_30default_config_static_selectorELNS0_4arch9wavefront6targetE0EEEvT1_
    .private_segment_fixed_size: 0
    .sgpr_count:     0
    .sgpr_spill_count: 0
    .symbol:         _ZN7rocprim17ROCPRIM_400000_NS6detail17trampoline_kernelINS0_14default_configENS1_25partition_config_selectorILNS1_17partition_subalgoE6EsNS0_10empty_typeEbEEZZNS1_14partition_implILS5_6ELb0ES3_mN6thrust23THRUST_200600_302600_NS6detail15normal_iteratorINSA_10device_ptrIsEEEEPS6_SG_NS0_5tupleIJNSA_16discard_iteratorINSA_11use_defaultEEES6_EEENSH_IJSG_SG_EEES6_PlJNSB_9not_fun_tI7is_trueIsEEEEEE10hipError_tPvRmT3_T4_T5_T6_T7_T9_mT8_P12ihipStream_tbDpT10_ENKUlT_T0_E_clISt17integral_constantIbLb0EES1B_EEDaS16_S17_EUlS16_E_NS1_11comp_targetILNS1_3genE0ELNS1_11target_archE4294967295ELNS1_3gpuE0ELNS1_3repE0EEENS1_30default_config_static_selectorELNS0_4arch9wavefront6targetE0EEEvT1_.kd
    .uniform_work_group_size: 1
    .uses_dynamic_stack: false
    .vgpr_count:     0
    .vgpr_spill_count: 0
    .wavefront_size: 32
    .workgroup_processor_mode: 1
  - .args:
      - .offset:         0
        .size:           120
        .value_kind:     by_value
    .group_segment_fixed_size: 0
    .kernarg_segment_align: 8
    .kernarg_segment_size: 120
    .language:       OpenCL C
    .language_version:
      - 2
      - 0
    .max_flat_workgroup_size: 512
    .name:           _ZN7rocprim17ROCPRIM_400000_NS6detail17trampoline_kernelINS0_14default_configENS1_25partition_config_selectorILNS1_17partition_subalgoE6EsNS0_10empty_typeEbEEZZNS1_14partition_implILS5_6ELb0ES3_mN6thrust23THRUST_200600_302600_NS6detail15normal_iteratorINSA_10device_ptrIsEEEEPS6_SG_NS0_5tupleIJNSA_16discard_iteratorINSA_11use_defaultEEES6_EEENSH_IJSG_SG_EEES6_PlJNSB_9not_fun_tI7is_trueIsEEEEEE10hipError_tPvRmT3_T4_T5_T6_T7_T9_mT8_P12ihipStream_tbDpT10_ENKUlT_T0_E_clISt17integral_constantIbLb0EES1B_EEDaS16_S17_EUlS16_E_NS1_11comp_targetILNS1_3genE5ELNS1_11target_archE942ELNS1_3gpuE9ELNS1_3repE0EEENS1_30default_config_static_selectorELNS0_4arch9wavefront6targetE0EEEvT1_
    .private_segment_fixed_size: 0
    .sgpr_count:     0
    .sgpr_spill_count: 0
    .symbol:         _ZN7rocprim17ROCPRIM_400000_NS6detail17trampoline_kernelINS0_14default_configENS1_25partition_config_selectorILNS1_17partition_subalgoE6EsNS0_10empty_typeEbEEZZNS1_14partition_implILS5_6ELb0ES3_mN6thrust23THRUST_200600_302600_NS6detail15normal_iteratorINSA_10device_ptrIsEEEEPS6_SG_NS0_5tupleIJNSA_16discard_iteratorINSA_11use_defaultEEES6_EEENSH_IJSG_SG_EEES6_PlJNSB_9not_fun_tI7is_trueIsEEEEEE10hipError_tPvRmT3_T4_T5_T6_T7_T9_mT8_P12ihipStream_tbDpT10_ENKUlT_T0_E_clISt17integral_constantIbLb0EES1B_EEDaS16_S17_EUlS16_E_NS1_11comp_targetILNS1_3genE5ELNS1_11target_archE942ELNS1_3gpuE9ELNS1_3repE0EEENS1_30default_config_static_selectorELNS0_4arch9wavefront6targetE0EEEvT1_.kd
    .uniform_work_group_size: 1
    .uses_dynamic_stack: false
    .vgpr_count:     0
    .vgpr_spill_count: 0
    .wavefront_size: 32
    .workgroup_processor_mode: 1
  - .args:
      - .offset:         0
        .size:           120
        .value_kind:     by_value
    .group_segment_fixed_size: 0
    .kernarg_segment_align: 8
    .kernarg_segment_size: 120
    .language:       OpenCL C
    .language_version:
      - 2
      - 0
    .max_flat_workgroup_size: 256
    .name:           _ZN7rocprim17ROCPRIM_400000_NS6detail17trampoline_kernelINS0_14default_configENS1_25partition_config_selectorILNS1_17partition_subalgoE6EsNS0_10empty_typeEbEEZZNS1_14partition_implILS5_6ELb0ES3_mN6thrust23THRUST_200600_302600_NS6detail15normal_iteratorINSA_10device_ptrIsEEEEPS6_SG_NS0_5tupleIJNSA_16discard_iteratorINSA_11use_defaultEEES6_EEENSH_IJSG_SG_EEES6_PlJNSB_9not_fun_tI7is_trueIsEEEEEE10hipError_tPvRmT3_T4_T5_T6_T7_T9_mT8_P12ihipStream_tbDpT10_ENKUlT_T0_E_clISt17integral_constantIbLb0EES1B_EEDaS16_S17_EUlS16_E_NS1_11comp_targetILNS1_3genE4ELNS1_11target_archE910ELNS1_3gpuE8ELNS1_3repE0EEENS1_30default_config_static_selectorELNS0_4arch9wavefront6targetE0EEEvT1_
    .private_segment_fixed_size: 0
    .sgpr_count:     0
    .sgpr_spill_count: 0
    .symbol:         _ZN7rocprim17ROCPRIM_400000_NS6detail17trampoline_kernelINS0_14default_configENS1_25partition_config_selectorILNS1_17partition_subalgoE6EsNS0_10empty_typeEbEEZZNS1_14partition_implILS5_6ELb0ES3_mN6thrust23THRUST_200600_302600_NS6detail15normal_iteratorINSA_10device_ptrIsEEEEPS6_SG_NS0_5tupleIJNSA_16discard_iteratorINSA_11use_defaultEEES6_EEENSH_IJSG_SG_EEES6_PlJNSB_9not_fun_tI7is_trueIsEEEEEE10hipError_tPvRmT3_T4_T5_T6_T7_T9_mT8_P12ihipStream_tbDpT10_ENKUlT_T0_E_clISt17integral_constantIbLb0EES1B_EEDaS16_S17_EUlS16_E_NS1_11comp_targetILNS1_3genE4ELNS1_11target_archE910ELNS1_3gpuE8ELNS1_3repE0EEENS1_30default_config_static_selectorELNS0_4arch9wavefront6targetE0EEEvT1_.kd
    .uniform_work_group_size: 1
    .uses_dynamic_stack: false
    .vgpr_count:     0
    .vgpr_spill_count: 0
    .wavefront_size: 32
    .workgroup_processor_mode: 1
  - .args:
      - .offset:         0
        .size:           120
        .value_kind:     by_value
    .group_segment_fixed_size: 0
    .kernarg_segment_align: 8
    .kernarg_segment_size: 120
    .language:       OpenCL C
    .language_version:
      - 2
      - 0
    .max_flat_workgroup_size: 256
    .name:           _ZN7rocprim17ROCPRIM_400000_NS6detail17trampoline_kernelINS0_14default_configENS1_25partition_config_selectorILNS1_17partition_subalgoE6EsNS0_10empty_typeEbEEZZNS1_14partition_implILS5_6ELb0ES3_mN6thrust23THRUST_200600_302600_NS6detail15normal_iteratorINSA_10device_ptrIsEEEEPS6_SG_NS0_5tupleIJNSA_16discard_iteratorINSA_11use_defaultEEES6_EEENSH_IJSG_SG_EEES6_PlJNSB_9not_fun_tI7is_trueIsEEEEEE10hipError_tPvRmT3_T4_T5_T6_T7_T9_mT8_P12ihipStream_tbDpT10_ENKUlT_T0_E_clISt17integral_constantIbLb0EES1B_EEDaS16_S17_EUlS16_E_NS1_11comp_targetILNS1_3genE3ELNS1_11target_archE908ELNS1_3gpuE7ELNS1_3repE0EEENS1_30default_config_static_selectorELNS0_4arch9wavefront6targetE0EEEvT1_
    .private_segment_fixed_size: 0
    .sgpr_count:     0
    .sgpr_spill_count: 0
    .symbol:         _ZN7rocprim17ROCPRIM_400000_NS6detail17trampoline_kernelINS0_14default_configENS1_25partition_config_selectorILNS1_17partition_subalgoE6EsNS0_10empty_typeEbEEZZNS1_14partition_implILS5_6ELb0ES3_mN6thrust23THRUST_200600_302600_NS6detail15normal_iteratorINSA_10device_ptrIsEEEEPS6_SG_NS0_5tupleIJNSA_16discard_iteratorINSA_11use_defaultEEES6_EEENSH_IJSG_SG_EEES6_PlJNSB_9not_fun_tI7is_trueIsEEEEEE10hipError_tPvRmT3_T4_T5_T6_T7_T9_mT8_P12ihipStream_tbDpT10_ENKUlT_T0_E_clISt17integral_constantIbLb0EES1B_EEDaS16_S17_EUlS16_E_NS1_11comp_targetILNS1_3genE3ELNS1_11target_archE908ELNS1_3gpuE7ELNS1_3repE0EEENS1_30default_config_static_selectorELNS0_4arch9wavefront6targetE0EEEvT1_.kd
    .uniform_work_group_size: 1
    .uses_dynamic_stack: false
    .vgpr_count:     0
    .vgpr_spill_count: 0
    .wavefront_size: 32
    .workgroup_processor_mode: 1
  - .args:
      - .offset:         0
        .size:           120
        .value_kind:     by_value
    .group_segment_fixed_size: 0
    .kernarg_segment_align: 8
    .kernarg_segment_size: 120
    .language:       OpenCL C
    .language_version:
      - 2
      - 0
    .max_flat_workgroup_size: 256
    .name:           _ZN7rocprim17ROCPRIM_400000_NS6detail17trampoline_kernelINS0_14default_configENS1_25partition_config_selectorILNS1_17partition_subalgoE6EsNS0_10empty_typeEbEEZZNS1_14partition_implILS5_6ELb0ES3_mN6thrust23THRUST_200600_302600_NS6detail15normal_iteratorINSA_10device_ptrIsEEEEPS6_SG_NS0_5tupleIJNSA_16discard_iteratorINSA_11use_defaultEEES6_EEENSH_IJSG_SG_EEES6_PlJNSB_9not_fun_tI7is_trueIsEEEEEE10hipError_tPvRmT3_T4_T5_T6_T7_T9_mT8_P12ihipStream_tbDpT10_ENKUlT_T0_E_clISt17integral_constantIbLb0EES1B_EEDaS16_S17_EUlS16_E_NS1_11comp_targetILNS1_3genE2ELNS1_11target_archE906ELNS1_3gpuE6ELNS1_3repE0EEENS1_30default_config_static_selectorELNS0_4arch9wavefront6targetE0EEEvT1_
    .private_segment_fixed_size: 0
    .sgpr_count:     0
    .sgpr_spill_count: 0
    .symbol:         _ZN7rocprim17ROCPRIM_400000_NS6detail17trampoline_kernelINS0_14default_configENS1_25partition_config_selectorILNS1_17partition_subalgoE6EsNS0_10empty_typeEbEEZZNS1_14partition_implILS5_6ELb0ES3_mN6thrust23THRUST_200600_302600_NS6detail15normal_iteratorINSA_10device_ptrIsEEEEPS6_SG_NS0_5tupleIJNSA_16discard_iteratorINSA_11use_defaultEEES6_EEENSH_IJSG_SG_EEES6_PlJNSB_9not_fun_tI7is_trueIsEEEEEE10hipError_tPvRmT3_T4_T5_T6_T7_T9_mT8_P12ihipStream_tbDpT10_ENKUlT_T0_E_clISt17integral_constantIbLb0EES1B_EEDaS16_S17_EUlS16_E_NS1_11comp_targetILNS1_3genE2ELNS1_11target_archE906ELNS1_3gpuE6ELNS1_3repE0EEENS1_30default_config_static_selectorELNS0_4arch9wavefront6targetE0EEEvT1_.kd
    .uniform_work_group_size: 1
    .uses_dynamic_stack: false
    .vgpr_count:     0
    .vgpr_spill_count: 0
    .wavefront_size: 32
    .workgroup_processor_mode: 1
  - .args:
      - .offset:         0
        .size:           120
        .value_kind:     by_value
    .group_segment_fixed_size: 13840
    .kernarg_segment_align: 8
    .kernarg_segment_size: 120
    .language:       OpenCL C
    .language_version:
      - 2
      - 0
    .max_flat_workgroup_size: 384
    .name:           _ZN7rocprim17ROCPRIM_400000_NS6detail17trampoline_kernelINS0_14default_configENS1_25partition_config_selectorILNS1_17partition_subalgoE6EsNS0_10empty_typeEbEEZZNS1_14partition_implILS5_6ELb0ES3_mN6thrust23THRUST_200600_302600_NS6detail15normal_iteratorINSA_10device_ptrIsEEEEPS6_SG_NS0_5tupleIJNSA_16discard_iteratorINSA_11use_defaultEEES6_EEENSH_IJSG_SG_EEES6_PlJNSB_9not_fun_tI7is_trueIsEEEEEE10hipError_tPvRmT3_T4_T5_T6_T7_T9_mT8_P12ihipStream_tbDpT10_ENKUlT_T0_E_clISt17integral_constantIbLb0EES1B_EEDaS16_S17_EUlS16_E_NS1_11comp_targetILNS1_3genE10ELNS1_11target_archE1200ELNS1_3gpuE4ELNS1_3repE0EEENS1_30default_config_static_selectorELNS0_4arch9wavefront6targetE0EEEvT1_
    .private_segment_fixed_size: 0
    .sgpr_count:     28
    .sgpr_spill_count: 0
    .symbol:         _ZN7rocprim17ROCPRIM_400000_NS6detail17trampoline_kernelINS0_14default_configENS1_25partition_config_selectorILNS1_17partition_subalgoE6EsNS0_10empty_typeEbEEZZNS1_14partition_implILS5_6ELb0ES3_mN6thrust23THRUST_200600_302600_NS6detail15normal_iteratorINSA_10device_ptrIsEEEEPS6_SG_NS0_5tupleIJNSA_16discard_iteratorINSA_11use_defaultEEES6_EEENSH_IJSG_SG_EEES6_PlJNSB_9not_fun_tI7is_trueIsEEEEEE10hipError_tPvRmT3_T4_T5_T6_T7_T9_mT8_P12ihipStream_tbDpT10_ENKUlT_T0_E_clISt17integral_constantIbLb0EES1B_EEDaS16_S17_EUlS16_E_NS1_11comp_targetILNS1_3genE10ELNS1_11target_archE1200ELNS1_3gpuE4ELNS1_3repE0EEENS1_30default_config_static_selectorELNS0_4arch9wavefront6targetE0EEEvT1_.kd
    .uniform_work_group_size: 1
    .uses_dynamic_stack: false
    .vgpr_count:     63
    .vgpr_spill_count: 0
    .wavefront_size: 32
    .workgroup_processor_mode: 1
  - .args:
      - .offset:         0
        .size:           120
        .value_kind:     by_value
    .group_segment_fixed_size: 0
    .kernarg_segment_align: 8
    .kernarg_segment_size: 120
    .language:       OpenCL C
    .language_version:
      - 2
      - 0
    .max_flat_workgroup_size: 128
    .name:           _ZN7rocprim17ROCPRIM_400000_NS6detail17trampoline_kernelINS0_14default_configENS1_25partition_config_selectorILNS1_17partition_subalgoE6EsNS0_10empty_typeEbEEZZNS1_14partition_implILS5_6ELb0ES3_mN6thrust23THRUST_200600_302600_NS6detail15normal_iteratorINSA_10device_ptrIsEEEEPS6_SG_NS0_5tupleIJNSA_16discard_iteratorINSA_11use_defaultEEES6_EEENSH_IJSG_SG_EEES6_PlJNSB_9not_fun_tI7is_trueIsEEEEEE10hipError_tPvRmT3_T4_T5_T6_T7_T9_mT8_P12ihipStream_tbDpT10_ENKUlT_T0_E_clISt17integral_constantIbLb0EES1B_EEDaS16_S17_EUlS16_E_NS1_11comp_targetILNS1_3genE9ELNS1_11target_archE1100ELNS1_3gpuE3ELNS1_3repE0EEENS1_30default_config_static_selectorELNS0_4arch9wavefront6targetE0EEEvT1_
    .private_segment_fixed_size: 0
    .sgpr_count:     0
    .sgpr_spill_count: 0
    .symbol:         _ZN7rocprim17ROCPRIM_400000_NS6detail17trampoline_kernelINS0_14default_configENS1_25partition_config_selectorILNS1_17partition_subalgoE6EsNS0_10empty_typeEbEEZZNS1_14partition_implILS5_6ELb0ES3_mN6thrust23THRUST_200600_302600_NS6detail15normal_iteratorINSA_10device_ptrIsEEEEPS6_SG_NS0_5tupleIJNSA_16discard_iteratorINSA_11use_defaultEEES6_EEENSH_IJSG_SG_EEES6_PlJNSB_9not_fun_tI7is_trueIsEEEEEE10hipError_tPvRmT3_T4_T5_T6_T7_T9_mT8_P12ihipStream_tbDpT10_ENKUlT_T0_E_clISt17integral_constantIbLb0EES1B_EEDaS16_S17_EUlS16_E_NS1_11comp_targetILNS1_3genE9ELNS1_11target_archE1100ELNS1_3gpuE3ELNS1_3repE0EEENS1_30default_config_static_selectorELNS0_4arch9wavefront6targetE0EEEvT1_.kd
    .uniform_work_group_size: 1
    .uses_dynamic_stack: false
    .vgpr_count:     0
    .vgpr_spill_count: 0
    .wavefront_size: 32
    .workgroup_processor_mode: 1
  - .args:
      - .offset:         0
        .size:           120
        .value_kind:     by_value
    .group_segment_fixed_size: 0
    .kernarg_segment_align: 8
    .kernarg_segment_size: 120
    .language:       OpenCL C
    .language_version:
      - 2
      - 0
    .max_flat_workgroup_size: 256
    .name:           _ZN7rocprim17ROCPRIM_400000_NS6detail17trampoline_kernelINS0_14default_configENS1_25partition_config_selectorILNS1_17partition_subalgoE6EsNS0_10empty_typeEbEEZZNS1_14partition_implILS5_6ELb0ES3_mN6thrust23THRUST_200600_302600_NS6detail15normal_iteratorINSA_10device_ptrIsEEEEPS6_SG_NS0_5tupleIJNSA_16discard_iteratorINSA_11use_defaultEEES6_EEENSH_IJSG_SG_EEES6_PlJNSB_9not_fun_tI7is_trueIsEEEEEE10hipError_tPvRmT3_T4_T5_T6_T7_T9_mT8_P12ihipStream_tbDpT10_ENKUlT_T0_E_clISt17integral_constantIbLb0EES1B_EEDaS16_S17_EUlS16_E_NS1_11comp_targetILNS1_3genE8ELNS1_11target_archE1030ELNS1_3gpuE2ELNS1_3repE0EEENS1_30default_config_static_selectorELNS0_4arch9wavefront6targetE0EEEvT1_
    .private_segment_fixed_size: 0
    .sgpr_count:     0
    .sgpr_spill_count: 0
    .symbol:         _ZN7rocprim17ROCPRIM_400000_NS6detail17trampoline_kernelINS0_14default_configENS1_25partition_config_selectorILNS1_17partition_subalgoE6EsNS0_10empty_typeEbEEZZNS1_14partition_implILS5_6ELb0ES3_mN6thrust23THRUST_200600_302600_NS6detail15normal_iteratorINSA_10device_ptrIsEEEEPS6_SG_NS0_5tupleIJNSA_16discard_iteratorINSA_11use_defaultEEES6_EEENSH_IJSG_SG_EEES6_PlJNSB_9not_fun_tI7is_trueIsEEEEEE10hipError_tPvRmT3_T4_T5_T6_T7_T9_mT8_P12ihipStream_tbDpT10_ENKUlT_T0_E_clISt17integral_constantIbLb0EES1B_EEDaS16_S17_EUlS16_E_NS1_11comp_targetILNS1_3genE8ELNS1_11target_archE1030ELNS1_3gpuE2ELNS1_3repE0EEENS1_30default_config_static_selectorELNS0_4arch9wavefront6targetE0EEEvT1_.kd
    .uniform_work_group_size: 1
    .uses_dynamic_stack: false
    .vgpr_count:     0
    .vgpr_spill_count: 0
    .wavefront_size: 32
    .workgroup_processor_mode: 1
  - .args:
      - .offset:         0
        .size:           136
        .value_kind:     by_value
    .group_segment_fixed_size: 0
    .kernarg_segment_align: 8
    .kernarg_segment_size: 136
    .language:       OpenCL C
    .language_version:
      - 2
      - 0
    .max_flat_workgroup_size: 256
    .name:           _ZN7rocprim17ROCPRIM_400000_NS6detail17trampoline_kernelINS0_14default_configENS1_25partition_config_selectorILNS1_17partition_subalgoE6EsNS0_10empty_typeEbEEZZNS1_14partition_implILS5_6ELb0ES3_mN6thrust23THRUST_200600_302600_NS6detail15normal_iteratorINSA_10device_ptrIsEEEEPS6_SG_NS0_5tupleIJNSA_16discard_iteratorINSA_11use_defaultEEES6_EEENSH_IJSG_SG_EEES6_PlJNSB_9not_fun_tI7is_trueIsEEEEEE10hipError_tPvRmT3_T4_T5_T6_T7_T9_mT8_P12ihipStream_tbDpT10_ENKUlT_T0_E_clISt17integral_constantIbLb1EES1B_EEDaS16_S17_EUlS16_E_NS1_11comp_targetILNS1_3genE0ELNS1_11target_archE4294967295ELNS1_3gpuE0ELNS1_3repE0EEENS1_30default_config_static_selectorELNS0_4arch9wavefront6targetE0EEEvT1_
    .private_segment_fixed_size: 0
    .sgpr_count:     0
    .sgpr_spill_count: 0
    .symbol:         _ZN7rocprim17ROCPRIM_400000_NS6detail17trampoline_kernelINS0_14default_configENS1_25partition_config_selectorILNS1_17partition_subalgoE6EsNS0_10empty_typeEbEEZZNS1_14partition_implILS5_6ELb0ES3_mN6thrust23THRUST_200600_302600_NS6detail15normal_iteratorINSA_10device_ptrIsEEEEPS6_SG_NS0_5tupleIJNSA_16discard_iteratorINSA_11use_defaultEEES6_EEENSH_IJSG_SG_EEES6_PlJNSB_9not_fun_tI7is_trueIsEEEEEE10hipError_tPvRmT3_T4_T5_T6_T7_T9_mT8_P12ihipStream_tbDpT10_ENKUlT_T0_E_clISt17integral_constantIbLb1EES1B_EEDaS16_S17_EUlS16_E_NS1_11comp_targetILNS1_3genE0ELNS1_11target_archE4294967295ELNS1_3gpuE0ELNS1_3repE0EEENS1_30default_config_static_selectorELNS0_4arch9wavefront6targetE0EEEvT1_.kd
    .uniform_work_group_size: 1
    .uses_dynamic_stack: false
    .vgpr_count:     0
    .vgpr_spill_count: 0
    .wavefront_size: 32
    .workgroup_processor_mode: 1
  - .args:
      - .offset:         0
        .size:           136
        .value_kind:     by_value
    .group_segment_fixed_size: 0
    .kernarg_segment_align: 8
    .kernarg_segment_size: 136
    .language:       OpenCL C
    .language_version:
      - 2
      - 0
    .max_flat_workgroup_size: 512
    .name:           _ZN7rocprim17ROCPRIM_400000_NS6detail17trampoline_kernelINS0_14default_configENS1_25partition_config_selectorILNS1_17partition_subalgoE6EsNS0_10empty_typeEbEEZZNS1_14partition_implILS5_6ELb0ES3_mN6thrust23THRUST_200600_302600_NS6detail15normal_iteratorINSA_10device_ptrIsEEEEPS6_SG_NS0_5tupleIJNSA_16discard_iteratorINSA_11use_defaultEEES6_EEENSH_IJSG_SG_EEES6_PlJNSB_9not_fun_tI7is_trueIsEEEEEE10hipError_tPvRmT3_T4_T5_T6_T7_T9_mT8_P12ihipStream_tbDpT10_ENKUlT_T0_E_clISt17integral_constantIbLb1EES1B_EEDaS16_S17_EUlS16_E_NS1_11comp_targetILNS1_3genE5ELNS1_11target_archE942ELNS1_3gpuE9ELNS1_3repE0EEENS1_30default_config_static_selectorELNS0_4arch9wavefront6targetE0EEEvT1_
    .private_segment_fixed_size: 0
    .sgpr_count:     0
    .sgpr_spill_count: 0
    .symbol:         _ZN7rocprim17ROCPRIM_400000_NS6detail17trampoline_kernelINS0_14default_configENS1_25partition_config_selectorILNS1_17partition_subalgoE6EsNS0_10empty_typeEbEEZZNS1_14partition_implILS5_6ELb0ES3_mN6thrust23THRUST_200600_302600_NS6detail15normal_iteratorINSA_10device_ptrIsEEEEPS6_SG_NS0_5tupleIJNSA_16discard_iteratorINSA_11use_defaultEEES6_EEENSH_IJSG_SG_EEES6_PlJNSB_9not_fun_tI7is_trueIsEEEEEE10hipError_tPvRmT3_T4_T5_T6_T7_T9_mT8_P12ihipStream_tbDpT10_ENKUlT_T0_E_clISt17integral_constantIbLb1EES1B_EEDaS16_S17_EUlS16_E_NS1_11comp_targetILNS1_3genE5ELNS1_11target_archE942ELNS1_3gpuE9ELNS1_3repE0EEENS1_30default_config_static_selectorELNS0_4arch9wavefront6targetE0EEEvT1_.kd
    .uniform_work_group_size: 1
    .uses_dynamic_stack: false
    .vgpr_count:     0
    .vgpr_spill_count: 0
    .wavefront_size: 32
    .workgroup_processor_mode: 1
  - .args:
      - .offset:         0
        .size:           136
        .value_kind:     by_value
    .group_segment_fixed_size: 0
    .kernarg_segment_align: 8
    .kernarg_segment_size: 136
    .language:       OpenCL C
    .language_version:
      - 2
      - 0
    .max_flat_workgroup_size: 256
    .name:           _ZN7rocprim17ROCPRIM_400000_NS6detail17trampoline_kernelINS0_14default_configENS1_25partition_config_selectorILNS1_17partition_subalgoE6EsNS0_10empty_typeEbEEZZNS1_14partition_implILS5_6ELb0ES3_mN6thrust23THRUST_200600_302600_NS6detail15normal_iteratorINSA_10device_ptrIsEEEEPS6_SG_NS0_5tupleIJNSA_16discard_iteratorINSA_11use_defaultEEES6_EEENSH_IJSG_SG_EEES6_PlJNSB_9not_fun_tI7is_trueIsEEEEEE10hipError_tPvRmT3_T4_T5_T6_T7_T9_mT8_P12ihipStream_tbDpT10_ENKUlT_T0_E_clISt17integral_constantIbLb1EES1B_EEDaS16_S17_EUlS16_E_NS1_11comp_targetILNS1_3genE4ELNS1_11target_archE910ELNS1_3gpuE8ELNS1_3repE0EEENS1_30default_config_static_selectorELNS0_4arch9wavefront6targetE0EEEvT1_
    .private_segment_fixed_size: 0
    .sgpr_count:     0
    .sgpr_spill_count: 0
    .symbol:         _ZN7rocprim17ROCPRIM_400000_NS6detail17trampoline_kernelINS0_14default_configENS1_25partition_config_selectorILNS1_17partition_subalgoE6EsNS0_10empty_typeEbEEZZNS1_14partition_implILS5_6ELb0ES3_mN6thrust23THRUST_200600_302600_NS6detail15normal_iteratorINSA_10device_ptrIsEEEEPS6_SG_NS0_5tupleIJNSA_16discard_iteratorINSA_11use_defaultEEES6_EEENSH_IJSG_SG_EEES6_PlJNSB_9not_fun_tI7is_trueIsEEEEEE10hipError_tPvRmT3_T4_T5_T6_T7_T9_mT8_P12ihipStream_tbDpT10_ENKUlT_T0_E_clISt17integral_constantIbLb1EES1B_EEDaS16_S17_EUlS16_E_NS1_11comp_targetILNS1_3genE4ELNS1_11target_archE910ELNS1_3gpuE8ELNS1_3repE0EEENS1_30default_config_static_selectorELNS0_4arch9wavefront6targetE0EEEvT1_.kd
    .uniform_work_group_size: 1
    .uses_dynamic_stack: false
    .vgpr_count:     0
    .vgpr_spill_count: 0
    .wavefront_size: 32
    .workgroup_processor_mode: 1
  - .args:
      - .offset:         0
        .size:           136
        .value_kind:     by_value
    .group_segment_fixed_size: 0
    .kernarg_segment_align: 8
    .kernarg_segment_size: 136
    .language:       OpenCL C
    .language_version:
      - 2
      - 0
    .max_flat_workgroup_size: 256
    .name:           _ZN7rocprim17ROCPRIM_400000_NS6detail17trampoline_kernelINS0_14default_configENS1_25partition_config_selectorILNS1_17partition_subalgoE6EsNS0_10empty_typeEbEEZZNS1_14partition_implILS5_6ELb0ES3_mN6thrust23THRUST_200600_302600_NS6detail15normal_iteratorINSA_10device_ptrIsEEEEPS6_SG_NS0_5tupleIJNSA_16discard_iteratorINSA_11use_defaultEEES6_EEENSH_IJSG_SG_EEES6_PlJNSB_9not_fun_tI7is_trueIsEEEEEE10hipError_tPvRmT3_T4_T5_T6_T7_T9_mT8_P12ihipStream_tbDpT10_ENKUlT_T0_E_clISt17integral_constantIbLb1EES1B_EEDaS16_S17_EUlS16_E_NS1_11comp_targetILNS1_3genE3ELNS1_11target_archE908ELNS1_3gpuE7ELNS1_3repE0EEENS1_30default_config_static_selectorELNS0_4arch9wavefront6targetE0EEEvT1_
    .private_segment_fixed_size: 0
    .sgpr_count:     0
    .sgpr_spill_count: 0
    .symbol:         _ZN7rocprim17ROCPRIM_400000_NS6detail17trampoline_kernelINS0_14default_configENS1_25partition_config_selectorILNS1_17partition_subalgoE6EsNS0_10empty_typeEbEEZZNS1_14partition_implILS5_6ELb0ES3_mN6thrust23THRUST_200600_302600_NS6detail15normal_iteratorINSA_10device_ptrIsEEEEPS6_SG_NS0_5tupleIJNSA_16discard_iteratorINSA_11use_defaultEEES6_EEENSH_IJSG_SG_EEES6_PlJNSB_9not_fun_tI7is_trueIsEEEEEE10hipError_tPvRmT3_T4_T5_T6_T7_T9_mT8_P12ihipStream_tbDpT10_ENKUlT_T0_E_clISt17integral_constantIbLb1EES1B_EEDaS16_S17_EUlS16_E_NS1_11comp_targetILNS1_3genE3ELNS1_11target_archE908ELNS1_3gpuE7ELNS1_3repE0EEENS1_30default_config_static_selectorELNS0_4arch9wavefront6targetE0EEEvT1_.kd
    .uniform_work_group_size: 1
    .uses_dynamic_stack: false
    .vgpr_count:     0
    .vgpr_spill_count: 0
    .wavefront_size: 32
    .workgroup_processor_mode: 1
  - .args:
      - .offset:         0
        .size:           136
        .value_kind:     by_value
    .group_segment_fixed_size: 0
    .kernarg_segment_align: 8
    .kernarg_segment_size: 136
    .language:       OpenCL C
    .language_version:
      - 2
      - 0
    .max_flat_workgroup_size: 256
    .name:           _ZN7rocprim17ROCPRIM_400000_NS6detail17trampoline_kernelINS0_14default_configENS1_25partition_config_selectorILNS1_17partition_subalgoE6EsNS0_10empty_typeEbEEZZNS1_14partition_implILS5_6ELb0ES3_mN6thrust23THRUST_200600_302600_NS6detail15normal_iteratorINSA_10device_ptrIsEEEEPS6_SG_NS0_5tupleIJNSA_16discard_iteratorINSA_11use_defaultEEES6_EEENSH_IJSG_SG_EEES6_PlJNSB_9not_fun_tI7is_trueIsEEEEEE10hipError_tPvRmT3_T4_T5_T6_T7_T9_mT8_P12ihipStream_tbDpT10_ENKUlT_T0_E_clISt17integral_constantIbLb1EES1B_EEDaS16_S17_EUlS16_E_NS1_11comp_targetILNS1_3genE2ELNS1_11target_archE906ELNS1_3gpuE6ELNS1_3repE0EEENS1_30default_config_static_selectorELNS0_4arch9wavefront6targetE0EEEvT1_
    .private_segment_fixed_size: 0
    .sgpr_count:     0
    .sgpr_spill_count: 0
    .symbol:         _ZN7rocprim17ROCPRIM_400000_NS6detail17trampoline_kernelINS0_14default_configENS1_25partition_config_selectorILNS1_17partition_subalgoE6EsNS0_10empty_typeEbEEZZNS1_14partition_implILS5_6ELb0ES3_mN6thrust23THRUST_200600_302600_NS6detail15normal_iteratorINSA_10device_ptrIsEEEEPS6_SG_NS0_5tupleIJNSA_16discard_iteratorINSA_11use_defaultEEES6_EEENSH_IJSG_SG_EEES6_PlJNSB_9not_fun_tI7is_trueIsEEEEEE10hipError_tPvRmT3_T4_T5_T6_T7_T9_mT8_P12ihipStream_tbDpT10_ENKUlT_T0_E_clISt17integral_constantIbLb1EES1B_EEDaS16_S17_EUlS16_E_NS1_11comp_targetILNS1_3genE2ELNS1_11target_archE906ELNS1_3gpuE6ELNS1_3repE0EEENS1_30default_config_static_selectorELNS0_4arch9wavefront6targetE0EEEvT1_.kd
    .uniform_work_group_size: 1
    .uses_dynamic_stack: false
    .vgpr_count:     0
    .vgpr_spill_count: 0
    .wavefront_size: 32
    .workgroup_processor_mode: 1
  - .args:
      - .offset:         0
        .size:           136
        .value_kind:     by_value
    .group_segment_fixed_size: 0
    .kernarg_segment_align: 8
    .kernarg_segment_size: 136
    .language:       OpenCL C
    .language_version:
      - 2
      - 0
    .max_flat_workgroup_size: 384
    .name:           _ZN7rocprim17ROCPRIM_400000_NS6detail17trampoline_kernelINS0_14default_configENS1_25partition_config_selectorILNS1_17partition_subalgoE6EsNS0_10empty_typeEbEEZZNS1_14partition_implILS5_6ELb0ES3_mN6thrust23THRUST_200600_302600_NS6detail15normal_iteratorINSA_10device_ptrIsEEEEPS6_SG_NS0_5tupleIJNSA_16discard_iteratorINSA_11use_defaultEEES6_EEENSH_IJSG_SG_EEES6_PlJNSB_9not_fun_tI7is_trueIsEEEEEE10hipError_tPvRmT3_T4_T5_T6_T7_T9_mT8_P12ihipStream_tbDpT10_ENKUlT_T0_E_clISt17integral_constantIbLb1EES1B_EEDaS16_S17_EUlS16_E_NS1_11comp_targetILNS1_3genE10ELNS1_11target_archE1200ELNS1_3gpuE4ELNS1_3repE0EEENS1_30default_config_static_selectorELNS0_4arch9wavefront6targetE0EEEvT1_
    .private_segment_fixed_size: 0
    .sgpr_count:     0
    .sgpr_spill_count: 0
    .symbol:         _ZN7rocprim17ROCPRIM_400000_NS6detail17trampoline_kernelINS0_14default_configENS1_25partition_config_selectorILNS1_17partition_subalgoE6EsNS0_10empty_typeEbEEZZNS1_14partition_implILS5_6ELb0ES3_mN6thrust23THRUST_200600_302600_NS6detail15normal_iteratorINSA_10device_ptrIsEEEEPS6_SG_NS0_5tupleIJNSA_16discard_iteratorINSA_11use_defaultEEES6_EEENSH_IJSG_SG_EEES6_PlJNSB_9not_fun_tI7is_trueIsEEEEEE10hipError_tPvRmT3_T4_T5_T6_T7_T9_mT8_P12ihipStream_tbDpT10_ENKUlT_T0_E_clISt17integral_constantIbLb1EES1B_EEDaS16_S17_EUlS16_E_NS1_11comp_targetILNS1_3genE10ELNS1_11target_archE1200ELNS1_3gpuE4ELNS1_3repE0EEENS1_30default_config_static_selectorELNS0_4arch9wavefront6targetE0EEEvT1_.kd
    .uniform_work_group_size: 1
    .uses_dynamic_stack: false
    .vgpr_count:     0
    .vgpr_spill_count: 0
    .wavefront_size: 32
    .workgroup_processor_mode: 1
  - .args:
      - .offset:         0
        .size:           136
        .value_kind:     by_value
    .group_segment_fixed_size: 0
    .kernarg_segment_align: 8
    .kernarg_segment_size: 136
    .language:       OpenCL C
    .language_version:
      - 2
      - 0
    .max_flat_workgroup_size: 128
    .name:           _ZN7rocprim17ROCPRIM_400000_NS6detail17trampoline_kernelINS0_14default_configENS1_25partition_config_selectorILNS1_17partition_subalgoE6EsNS0_10empty_typeEbEEZZNS1_14partition_implILS5_6ELb0ES3_mN6thrust23THRUST_200600_302600_NS6detail15normal_iteratorINSA_10device_ptrIsEEEEPS6_SG_NS0_5tupleIJNSA_16discard_iteratorINSA_11use_defaultEEES6_EEENSH_IJSG_SG_EEES6_PlJNSB_9not_fun_tI7is_trueIsEEEEEE10hipError_tPvRmT3_T4_T5_T6_T7_T9_mT8_P12ihipStream_tbDpT10_ENKUlT_T0_E_clISt17integral_constantIbLb1EES1B_EEDaS16_S17_EUlS16_E_NS1_11comp_targetILNS1_3genE9ELNS1_11target_archE1100ELNS1_3gpuE3ELNS1_3repE0EEENS1_30default_config_static_selectorELNS0_4arch9wavefront6targetE0EEEvT1_
    .private_segment_fixed_size: 0
    .sgpr_count:     0
    .sgpr_spill_count: 0
    .symbol:         _ZN7rocprim17ROCPRIM_400000_NS6detail17trampoline_kernelINS0_14default_configENS1_25partition_config_selectorILNS1_17partition_subalgoE6EsNS0_10empty_typeEbEEZZNS1_14partition_implILS5_6ELb0ES3_mN6thrust23THRUST_200600_302600_NS6detail15normal_iteratorINSA_10device_ptrIsEEEEPS6_SG_NS0_5tupleIJNSA_16discard_iteratorINSA_11use_defaultEEES6_EEENSH_IJSG_SG_EEES6_PlJNSB_9not_fun_tI7is_trueIsEEEEEE10hipError_tPvRmT3_T4_T5_T6_T7_T9_mT8_P12ihipStream_tbDpT10_ENKUlT_T0_E_clISt17integral_constantIbLb1EES1B_EEDaS16_S17_EUlS16_E_NS1_11comp_targetILNS1_3genE9ELNS1_11target_archE1100ELNS1_3gpuE3ELNS1_3repE0EEENS1_30default_config_static_selectorELNS0_4arch9wavefront6targetE0EEEvT1_.kd
    .uniform_work_group_size: 1
    .uses_dynamic_stack: false
    .vgpr_count:     0
    .vgpr_spill_count: 0
    .wavefront_size: 32
    .workgroup_processor_mode: 1
  - .args:
      - .offset:         0
        .size:           136
        .value_kind:     by_value
    .group_segment_fixed_size: 0
    .kernarg_segment_align: 8
    .kernarg_segment_size: 136
    .language:       OpenCL C
    .language_version:
      - 2
      - 0
    .max_flat_workgroup_size: 256
    .name:           _ZN7rocprim17ROCPRIM_400000_NS6detail17trampoline_kernelINS0_14default_configENS1_25partition_config_selectorILNS1_17partition_subalgoE6EsNS0_10empty_typeEbEEZZNS1_14partition_implILS5_6ELb0ES3_mN6thrust23THRUST_200600_302600_NS6detail15normal_iteratorINSA_10device_ptrIsEEEEPS6_SG_NS0_5tupleIJNSA_16discard_iteratorINSA_11use_defaultEEES6_EEENSH_IJSG_SG_EEES6_PlJNSB_9not_fun_tI7is_trueIsEEEEEE10hipError_tPvRmT3_T4_T5_T6_T7_T9_mT8_P12ihipStream_tbDpT10_ENKUlT_T0_E_clISt17integral_constantIbLb1EES1B_EEDaS16_S17_EUlS16_E_NS1_11comp_targetILNS1_3genE8ELNS1_11target_archE1030ELNS1_3gpuE2ELNS1_3repE0EEENS1_30default_config_static_selectorELNS0_4arch9wavefront6targetE0EEEvT1_
    .private_segment_fixed_size: 0
    .sgpr_count:     0
    .sgpr_spill_count: 0
    .symbol:         _ZN7rocprim17ROCPRIM_400000_NS6detail17trampoline_kernelINS0_14default_configENS1_25partition_config_selectorILNS1_17partition_subalgoE6EsNS0_10empty_typeEbEEZZNS1_14partition_implILS5_6ELb0ES3_mN6thrust23THRUST_200600_302600_NS6detail15normal_iteratorINSA_10device_ptrIsEEEEPS6_SG_NS0_5tupleIJNSA_16discard_iteratorINSA_11use_defaultEEES6_EEENSH_IJSG_SG_EEES6_PlJNSB_9not_fun_tI7is_trueIsEEEEEE10hipError_tPvRmT3_T4_T5_T6_T7_T9_mT8_P12ihipStream_tbDpT10_ENKUlT_T0_E_clISt17integral_constantIbLb1EES1B_EEDaS16_S17_EUlS16_E_NS1_11comp_targetILNS1_3genE8ELNS1_11target_archE1030ELNS1_3gpuE2ELNS1_3repE0EEENS1_30default_config_static_selectorELNS0_4arch9wavefront6targetE0EEEvT1_.kd
    .uniform_work_group_size: 1
    .uses_dynamic_stack: false
    .vgpr_count:     0
    .vgpr_spill_count: 0
    .wavefront_size: 32
    .workgroup_processor_mode: 1
  - .args:
      - .offset:         0
        .size:           120
        .value_kind:     by_value
    .group_segment_fixed_size: 0
    .kernarg_segment_align: 8
    .kernarg_segment_size: 120
    .language:       OpenCL C
    .language_version:
      - 2
      - 0
    .max_flat_workgroup_size: 256
    .name:           _ZN7rocprim17ROCPRIM_400000_NS6detail17trampoline_kernelINS0_14default_configENS1_25partition_config_selectorILNS1_17partition_subalgoE6EsNS0_10empty_typeEbEEZZNS1_14partition_implILS5_6ELb0ES3_mN6thrust23THRUST_200600_302600_NS6detail15normal_iteratorINSA_10device_ptrIsEEEEPS6_SG_NS0_5tupleIJNSA_16discard_iteratorINSA_11use_defaultEEES6_EEENSH_IJSG_SG_EEES6_PlJNSB_9not_fun_tI7is_trueIsEEEEEE10hipError_tPvRmT3_T4_T5_T6_T7_T9_mT8_P12ihipStream_tbDpT10_ENKUlT_T0_E_clISt17integral_constantIbLb1EES1A_IbLb0EEEEDaS16_S17_EUlS16_E_NS1_11comp_targetILNS1_3genE0ELNS1_11target_archE4294967295ELNS1_3gpuE0ELNS1_3repE0EEENS1_30default_config_static_selectorELNS0_4arch9wavefront6targetE0EEEvT1_
    .private_segment_fixed_size: 0
    .sgpr_count:     0
    .sgpr_spill_count: 0
    .symbol:         _ZN7rocprim17ROCPRIM_400000_NS6detail17trampoline_kernelINS0_14default_configENS1_25partition_config_selectorILNS1_17partition_subalgoE6EsNS0_10empty_typeEbEEZZNS1_14partition_implILS5_6ELb0ES3_mN6thrust23THRUST_200600_302600_NS6detail15normal_iteratorINSA_10device_ptrIsEEEEPS6_SG_NS0_5tupleIJNSA_16discard_iteratorINSA_11use_defaultEEES6_EEENSH_IJSG_SG_EEES6_PlJNSB_9not_fun_tI7is_trueIsEEEEEE10hipError_tPvRmT3_T4_T5_T6_T7_T9_mT8_P12ihipStream_tbDpT10_ENKUlT_T0_E_clISt17integral_constantIbLb1EES1A_IbLb0EEEEDaS16_S17_EUlS16_E_NS1_11comp_targetILNS1_3genE0ELNS1_11target_archE4294967295ELNS1_3gpuE0ELNS1_3repE0EEENS1_30default_config_static_selectorELNS0_4arch9wavefront6targetE0EEEvT1_.kd
    .uniform_work_group_size: 1
    .uses_dynamic_stack: false
    .vgpr_count:     0
    .vgpr_spill_count: 0
    .wavefront_size: 32
    .workgroup_processor_mode: 1
  - .args:
      - .offset:         0
        .size:           120
        .value_kind:     by_value
    .group_segment_fixed_size: 0
    .kernarg_segment_align: 8
    .kernarg_segment_size: 120
    .language:       OpenCL C
    .language_version:
      - 2
      - 0
    .max_flat_workgroup_size: 512
    .name:           _ZN7rocprim17ROCPRIM_400000_NS6detail17trampoline_kernelINS0_14default_configENS1_25partition_config_selectorILNS1_17partition_subalgoE6EsNS0_10empty_typeEbEEZZNS1_14partition_implILS5_6ELb0ES3_mN6thrust23THRUST_200600_302600_NS6detail15normal_iteratorINSA_10device_ptrIsEEEEPS6_SG_NS0_5tupleIJNSA_16discard_iteratorINSA_11use_defaultEEES6_EEENSH_IJSG_SG_EEES6_PlJNSB_9not_fun_tI7is_trueIsEEEEEE10hipError_tPvRmT3_T4_T5_T6_T7_T9_mT8_P12ihipStream_tbDpT10_ENKUlT_T0_E_clISt17integral_constantIbLb1EES1A_IbLb0EEEEDaS16_S17_EUlS16_E_NS1_11comp_targetILNS1_3genE5ELNS1_11target_archE942ELNS1_3gpuE9ELNS1_3repE0EEENS1_30default_config_static_selectorELNS0_4arch9wavefront6targetE0EEEvT1_
    .private_segment_fixed_size: 0
    .sgpr_count:     0
    .sgpr_spill_count: 0
    .symbol:         _ZN7rocprim17ROCPRIM_400000_NS6detail17trampoline_kernelINS0_14default_configENS1_25partition_config_selectorILNS1_17partition_subalgoE6EsNS0_10empty_typeEbEEZZNS1_14partition_implILS5_6ELb0ES3_mN6thrust23THRUST_200600_302600_NS6detail15normal_iteratorINSA_10device_ptrIsEEEEPS6_SG_NS0_5tupleIJNSA_16discard_iteratorINSA_11use_defaultEEES6_EEENSH_IJSG_SG_EEES6_PlJNSB_9not_fun_tI7is_trueIsEEEEEE10hipError_tPvRmT3_T4_T5_T6_T7_T9_mT8_P12ihipStream_tbDpT10_ENKUlT_T0_E_clISt17integral_constantIbLb1EES1A_IbLb0EEEEDaS16_S17_EUlS16_E_NS1_11comp_targetILNS1_3genE5ELNS1_11target_archE942ELNS1_3gpuE9ELNS1_3repE0EEENS1_30default_config_static_selectorELNS0_4arch9wavefront6targetE0EEEvT1_.kd
    .uniform_work_group_size: 1
    .uses_dynamic_stack: false
    .vgpr_count:     0
    .vgpr_spill_count: 0
    .wavefront_size: 32
    .workgroup_processor_mode: 1
  - .args:
      - .offset:         0
        .size:           120
        .value_kind:     by_value
    .group_segment_fixed_size: 0
    .kernarg_segment_align: 8
    .kernarg_segment_size: 120
    .language:       OpenCL C
    .language_version:
      - 2
      - 0
    .max_flat_workgroup_size: 256
    .name:           _ZN7rocprim17ROCPRIM_400000_NS6detail17trampoline_kernelINS0_14default_configENS1_25partition_config_selectorILNS1_17partition_subalgoE6EsNS0_10empty_typeEbEEZZNS1_14partition_implILS5_6ELb0ES3_mN6thrust23THRUST_200600_302600_NS6detail15normal_iteratorINSA_10device_ptrIsEEEEPS6_SG_NS0_5tupleIJNSA_16discard_iteratorINSA_11use_defaultEEES6_EEENSH_IJSG_SG_EEES6_PlJNSB_9not_fun_tI7is_trueIsEEEEEE10hipError_tPvRmT3_T4_T5_T6_T7_T9_mT8_P12ihipStream_tbDpT10_ENKUlT_T0_E_clISt17integral_constantIbLb1EES1A_IbLb0EEEEDaS16_S17_EUlS16_E_NS1_11comp_targetILNS1_3genE4ELNS1_11target_archE910ELNS1_3gpuE8ELNS1_3repE0EEENS1_30default_config_static_selectorELNS0_4arch9wavefront6targetE0EEEvT1_
    .private_segment_fixed_size: 0
    .sgpr_count:     0
    .sgpr_spill_count: 0
    .symbol:         _ZN7rocprim17ROCPRIM_400000_NS6detail17trampoline_kernelINS0_14default_configENS1_25partition_config_selectorILNS1_17partition_subalgoE6EsNS0_10empty_typeEbEEZZNS1_14partition_implILS5_6ELb0ES3_mN6thrust23THRUST_200600_302600_NS6detail15normal_iteratorINSA_10device_ptrIsEEEEPS6_SG_NS0_5tupleIJNSA_16discard_iteratorINSA_11use_defaultEEES6_EEENSH_IJSG_SG_EEES6_PlJNSB_9not_fun_tI7is_trueIsEEEEEE10hipError_tPvRmT3_T4_T5_T6_T7_T9_mT8_P12ihipStream_tbDpT10_ENKUlT_T0_E_clISt17integral_constantIbLb1EES1A_IbLb0EEEEDaS16_S17_EUlS16_E_NS1_11comp_targetILNS1_3genE4ELNS1_11target_archE910ELNS1_3gpuE8ELNS1_3repE0EEENS1_30default_config_static_selectorELNS0_4arch9wavefront6targetE0EEEvT1_.kd
    .uniform_work_group_size: 1
    .uses_dynamic_stack: false
    .vgpr_count:     0
    .vgpr_spill_count: 0
    .wavefront_size: 32
    .workgroup_processor_mode: 1
  - .args:
      - .offset:         0
        .size:           120
        .value_kind:     by_value
    .group_segment_fixed_size: 0
    .kernarg_segment_align: 8
    .kernarg_segment_size: 120
    .language:       OpenCL C
    .language_version:
      - 2
      - 0
    .max_flat_workgroup_size: 256
    .name:           _ZN7rocprim17ROCPRIM_400000_NS6detail17trampoline_kernelINS0_14default_configENS1_25partition_config_selectorILNS1_17partition_subalgoE6EsNS0_10empty_typeEbEEZZNS1_14partition_implILS5_6ELb0ES3_mN6thrust23THRUST_200600_302600_NS6detail15normal_iteratorINSA_10device_ptrIsEEEEPS6_SG_NS0_5tupleIJNSA_16discard_iteratorINSA_11use_defaultEEES6_EEENSH_IJSG_SG_EEES6_PlJNSB_9not_fun_tI7is_trueIsEEEEEE10hipError_tPvRmT3_T4_T5_T6_T7_T9_mT8_P12ihipStream_tbDpT10_ENKUlT_T0_E_clISt17integral_constantIbLb1EES1A_IbLb0EEEEDaS16_S17_EUlS16_E_NS1_11comp_targetILNS1_3genE3ELNS1_11target_archE908ELNS1_3gpuE7ELNS1_3repE0EEENS1_30default_config_static_selectorELNS0_4arch9wavefront6targetE0EEEvT1_
    .private_segment_fixed_size: 0
    .sgpr_count:     0
    .sgpr_spill_count: 0
    .symbol:         _ZN7rocprim17ROCPRIM_400000_NS6detail17trampoline_kernelINS0_14default_configENS1_25partition_config_selectorILNS1_17partition_subalgoE6EsNS0_10empty_typeEbEEZZNS1_14partition_implILS5_6ELb0ES3_mN6thrust23THRUST_200600_302600_NS6detail15normal_iteratorINSA_10device_ptrIsEEEEPS6_SG_NS0_5tupleIJNSA_16discard_iteratorINSA_11use_defaultEEES6_EEENSH_IJSG_SG_EEES6_PlJNSB_9not_fun_tI7is_trueIsEEEEEE10hipError_tPvRmT3_T4_T5_T6_T7_T9_mT8_P12ihipStream_tbDpT10_ENKUlT_T0_E_clISt17integral_constantIbLb1EES1A_IbLb0EEEEDaS16_S17_EUlS16_E_NS1_11comp_targetILNS1_3genE3ELNS1_11target_archE908ELNS1_3gpuE7ELNS1_3repE0EEENS1_30default_config_static_selectorELNS0_4arch9wavefront6targetE0EEEvT1_.kd
    .uniform_work_group_size: 1
    .uses_dynamic_stack: false
    .vgpr_count:     0
    .vgpr_spill_count: 0
    .wavefront_size: 32
    .workgroup_processor_mode: 1
  - .args:
      - .offset:         0
        .size:           120
        .value_kind:     by_value
    .group_segment_fixed_size: 0
    .kernarg_segment_align: 8
    .kernarg_segment_size: 120
    .language:       OpenCL C
    .language_version:
      - 2
      - 0
    .max_flat_workgroup_size: 256
    .name:           _ZN7rocprim17ROCPRIM_400000_NS6detail17trampoline_kernelINS0_14default_configENS1_25partition_config_selectorILNS1_17partition_subalgoE6EsNS0_10empty_typeEbEEZZNS1_14partition_implILS5_6ELb0ES3_mN6thrust23THRUST_200600_302600_NS6detail15normal_iteratorINSA_10device_ptrIsEEEEPS6_SG_NS0_5tupleIJNSA_16discard_iteratorINSA_11use_defaultEEES6_EEENSH_IJSG_SG_EEES6_PlJNSB_9not_fun_tI7is_trueIsEEEEEE10hipError_tPvRmT3_T4_T5_T6_T7_T9_mT8_P12ihipStream_tbDpT10_ENKUlT_T0_E_clISt17integral_constantIbLb1EES1A_IbLb0EEEEDaS16_S17_EUlS16_E_NS1_11comp_targetILNS1_3genE2ELNS1_11target_archE906ELNS1_3gpuE6ELNS1_3repE0EEENS1_30default_config_static_selectorELNS0_4arch9wavefront6targetE0EEEvT1_
    .private_segment_fixed_size: 0
    .sgpr_count:     0
    .sgpr_spill_count: 0
    .symbol:         _ZN7rocprim17ROCPRIM_400000_NS6detail17trampoline_kernelINS0_14default_configENS1_25partition_config_selectorILNS1_17partition_subalgoE6EsNS0_10empty_typeEbEEZZNS1_14partition_implILS5_6ELb0ES3_mN6thrust23THRUST_200600_302600_NS6detail15normal_iteratorINSA_10device_ptrIsEEEEPS6_SG_NS0_5tupleIJNSA_16discard_iteratorINSA_11use_defaultEEES6_EEENSH_IJSG_SG_EEES6_PlJNSB_9not_fun_tI7is_trueIsEEEEEE10hipError_tPvRmT3_T4_T5_T6_T7_T9_mT8_P12ihipStream_tbDpT10_ENKUlT_T0_E_clISt17integral_constantIbLb1EES1A_IbLb0EEEEDaS16_S17_EUlS16_E_NS1_11comp_targetILNS1_3genE2ELNS1_11target_archE906ELNS1_3gpuE6ELNS1_3repE0EEENS1_30default_config_static_selectorELNS0_4arch9wavefront6targetE0EEEvT1_.kd
    .uniform_work_group_size: 1
    .uses_dynamic_stack: false
    .vgpr_count:     0
    .vgpr_spill_count: 0
    .wavefront_size: 32
    .workgroup_processor_mode: 1
  - .args:
      - .offset:         0
        .size:           120
        .value_kind:     by_value
    .group_segment_fixed_size: 0
    .kernarg_segment_align: 8
    .kernarg_segment_size: 120
    .language:       OpenCL C
    .language_version:
      - 2
      - 0
    .max_flat_workgroup_size: 384
    .name:           _ZN7rocprim17ROCPRIM_400000_NS6detail17trampoline_kernelINS0_14default_configENS1_25partition_config_selectorILNS1_17partition_subalgoE6EsNS0_10empty_typeEbEEZZNS1_14partition_implILS5_6ELb0ES3_mN6thrust23THRUST_200600_302600_NS6detail15normal_iteratorINSA_10device_ptrIsEEEEPS6_SG_NS0_5tupleIJNSA_16discard_iteratorINSA_11use_defaultEEES6_EEENSH_IJSG_SG_EEES6_PlJNSB_9not_fun_tI7is_trueIsEEEEEE10hipError_tPvRmT3_T4_T5_T6_T7_T9_mT8_P12ihipStream_tbDpT10_ENKUlT_T0_E_clISt17integral_constantIbLb1EES1A_IbLb0EEEEDaS16_S17_EUlS16_E_NS1_11comp_targetILNS1_3genE10ELNS1_11target_archE1200ELNS1_3gpuE4ELNS1_3repE0EEENS1_30default_config_static_selectorELNS0_4arch9wavefront6targetE0EEEvT1_
    .private_segment_fixed_size: 0
    .sgpr_count:     0
    .sgpr_spill_count: 0
    .symbol:         _ZN7rocprim17ROCPRIM_400000_NS6detail17trampoline_kernelINS0_14default_configENS1_25partition_config_selectorILNS1_17partition_subalgoE6EsNS0_10empty_typeEbEEZZNS1_14partition_implILS5_6ELb0ES3_mN6thrust23THRUST_200600_302600_NS6detail15normal_iteratorINSA_10device_ptrIsEEEEPS6_SG_NS0_5tupleIJNSA_16discard_iteratorINSA_11use_defaultEEES6_EEENSH_IJSG_SG_EEES6_PlJNSB_9not_fun_tI7is_trueIsEEEEEE10hipError_tPvRmT3_T4_T5_T6_T7_T9_mT8_P12ihipStream_tbDpT10_ENKUlT_T0_E_clISt17integral_constantIbLb1EES1A_IbLb0EEEEDaS16_S17_EUlS16_E_NS1_11comp_targetILNS1_3genE10ELNS1_11target_archE1200ELNS1_3gpuE4ELNS1_3repE0EEENS1_30default_config_static_selectorELNS0_4arch9wavefront6targetE0EEEvT1_.kd
    .uniform_work_group_size: 1
    .uses_dynamic_stack: false
    .vgpr_count:     0
    .vgpr_spill_count: 0
    .wavefront_size: 32
    .workgroup_processor_mode: 1
  - .args:
      - .offset:         0
        .size:           120
        .value_kind:     by_value
    .group_segment_fixed_size: 0
    .kernarg_segment_align: 8
    .kernarg_segment_size: 120
    .language:       OpenCL C
    .language_version:
      - 2
      - 0
    .max_flat_workgroup_size: 128
    .name:           _ZN7rocprim17ROCPRIM_400000_NS6detail17trampoline_kernelINS0_14default_configENS1_25partition_config_selectorILNS1_17partition_subalgoE6EsNS0_10empty_typeEbEEZZNS1_14partition_implILS5_6ELb0ES3_mN6thrust23THRUST_200600_302600_NS6detail15normal_iteratorINSA_10device_ptrIsEEEEPS6_SG_NS0_5tupleIJNSA_16discard_iteratorINSA_11use_defaultEEES6_EEENSH_IJSG_SG_EEES6_PlJNSB_9not_fun_tI7is_trueIsEEEEEE10hipError_tPvRmT3_T4_T5_T6_T7_T9_mT8_P12ihipStream_tbDpT10_ENKUlT_T0_E_clISt17integral_constantIbLb1EES1A_IbLb0EEEEDaS16_S17_EUlS16_E_NS1_11comp_targetILNS1_3genE9ELNS1_11target_archE1100ELNS1_3gpuE3ELNS1_3repE0EEENS1_30default_config_static_selectorELNS0_4arch9wavefront6targetE0EEEvT1_
    .private_segment_fixed_size: 0
    .sgpr_count:     0
    .sgpr_spill_count: 0
    .symbol:         _ZN7rocprim17ROCPRIM_400000_NS6detail17trampoline_kernelINS0_14default_configENS1_25partition_config_selectorILNS1_17partition_subalgoE6EsNS0_10empty_typeEbEEZZNS1_14partition_implILS5_6ELb0ES3_mN6thrust23THRUST_200600_302600_NS6detail15normal_iteratorINSA_10device_ptrIsEEEEPS6_SG_NS0_5tupleIJNSA_16discard_iteratorINSA_11use_defaultEEES6_EEENSH_IJSG_SG_EEES6_PlJNSB_9not_fun_tI7is_trueIsEEEEEE10hipError_tPvRmT3_T4_T5_T6_T7_T9_mT8_P12ihipStream_tbDpT10_ENKUlT_T0_E_clISt17integral_constantIbLb1EES1A_IbLb0EEEEDaS16_S17_EUlS16_E_NS1_11comp_targetILNS1_3genE9ELNS1_11target_archE1100ELNS1_3gpuE3ELNS1_3repE0EEENS1_30default_config_static_selectorELNS0_4arch9wavefront6targetE0EEEvT1_.kd
    .uniform_work_group_size: 1
    .uses_dynamic_stack: false
    .vgpr_count:     0
    .vgpr_spill_count: 0
    .wavefront_size: 32
    .workgroup_processor_mode: 1
  - .args:
      - .offset:         0
        .size:           120
        .value_kind:     by_value
    .group_segment_fixed_size: 0
    .kernarg_segment_align: 8
    .kernarg_segment_size: 120
    .language:       OpenCL C
    .language_version:
      - 2
      - 0
    .max_flat_workgroup_size: 256
    .name:           _ZN7rocprim17ROCPRIM_400000_NS6detail17trampoline_kernelINS0_14default_configENS1_25partition_config_selectorILNS1_17partition_subalgoE6EsNS0_10empty_typeEbEEZZNS1_14partition_implILS5_6ELb0ES3_mN6thrust23THRUST_200600_302600_NS6detail15normal_iteratorINSA_10device_ptrIsEEEEPS6_SG_NS0_5tupleIJNSA_16discard_iteratorINSA_11use_defaultEEES6_EEENSH_IJSG_SG_EEES6_PlJNSB_9not_fun_tI7is_trueIsEEEEEE10hipError_tPvRmT3_T4_T5_T6_T7_T9_mT8_P12ihipStream_tbDpT10_ENKUlT_T0_E_clISt17integral_constantIbLb1EES1A_IbLb0EEEEDaS16_S17_EUlS16_E_NS1_11comp_targetILNS1_3genE8ELNS1_11target_archE1030ELNS1_3gpuE2ELNS1_3repE0EEENS1_30default_config_static_selectorELNS0_4arch9wavefront6targetE0EEEvT1_
    .private_segment_fixed_size: 0
    .sgpr_count:     0
    .sgpr_spill_count: 0
    .symbol:         _ZN7rocprim17ROCPRIM_400000_NS6detail17trampoline_kernelINS0_14default_configENS1_25partition_config_selectorILNS1_17partition_subalgoE6EsNS0_10empty_typeEbEEZZNS1_14partition_implILS5_6ELb0ES3_mN6thrust23THRUST_200600_302600_NS6detail15normal_iteratorINSA_10device_ptrIsEEEEPS6_SG_NS0_5tupleIJNSA_16discard_iteratorINSA_11use_defaultEEES6_EEENSH_IJSG_SG_EEES6_PlJNSB_9not_fun_tI7is_trueIsEEEEEE10hipError_tPvRmT3_T4_T5_T6_T7_T9_mT8_P12ihipStream_tbDpT10_ENKUlT_T0_E_clISt17integral_constantIbLb1EES1A_IbLb0EEEEDaS16_S17_EUlS16_E_NS1_11comp_targetILNS1_3genE8ELNS1_11target_archE1030ELNS1_3gpuE2ELNS1_3repE0EEENS1_30default_config_static_selectorELNS0_4arch9wavefront6targetE0EEEvT1_.kd
    .uniform_work_group_size: 1
    .uses_dynamic_stack: false
    .vgpr_count:     0
    .vgpr_spill_count: 0
    .wavefront_size: 32
    .workgroup_processor_mode: 1
  - .args:
      - .offset:         0
        .size:           136
        .value_kind:     by_value
    .group_segment_fixed_size: 0
    .kernarg_segment_align: 8
    .kernarg_segment_size: 136
    .language:       OpenCL C
    .language_version:
      - 2
      - 0
    .max_flat_workgroup_size: 256
    .name:           _ZN7rocprim17ROCPRIM_400000_NS6detail17trampoline_kernelINS0_14default_configENS1_25partition_config_selectorILNS1_17partition_subalgoE6EsNS0_10empty_typeEbEEZZNS1_14partition_implILS5_6ELb0ES3_mN6thrust23THRUST_200600_302600_NS6detail15normal_iteratorINSA_10device_ptrIsEEEEPS6_SG_NS0_5tupleIJNSA_16discard_iteratorINSA_11use_defaultEEES6_EEENSH_IJSG_SG_EEES6_PlJNSB_9not_fun_tI7is_trueIsEEEEEE10hipError_tPvRmT3_T4_T5_T6_T7_T9_mT8_P12ihipStream_tbDpT10_ENKUlT_T0_E_clISt17integral_constantIbLb0EES1A_IbLb1EEEEDaS16_S17_EUlS16_E_NS1_11comp_targetILNS1_3genE0ELNS1_11target_archE4294967295ELNS1_3gpuE0ELNS1_3repE0EEENS1_30default_config_static_selectorELNS0_4arch9wavefront6targetE0EEEvT1_
    .private_segment_fixed_size: 0
    .sgpr_count:     0
    .sgpr_spill_count: 0
    .symbol:         _ZN7rocprim17ROCPRIM_400000_NS6detail17trampoline_kernelINS0_14default_configENS1_25partition_config_selectorILNS1_17partition_subalgoE6EsNS0_10empty_typeEbEEZZNS1_14partition_implILS5_6ELb0ES3_mN6thrust23THRUST_200600_302600_NS6detail15normal_iteratorINSA_10device_ptrIsEEEEPS6_SG_NS0_5tupleIJNSA_16discard_iteratorINSA_11use_defaultEEES6_EEENSH_IJSG_SG_EEES6_PlJNSB_9not_fun_tI7is_trueIsEEEEEE10hipError_tPvRmT3_T4_T5_T6_T7_T9_mT8_P12ihipStream_tbDpT10_ENKUlT_T0_E_clISt17integral_constantIbLb0EES1A_IbLb1EEEEDaS16_S17_EUlS16_E_NS1_11comp_targetILNS1_3genE0ELNS1_11target_archE4294967295ELNS1_3gpuE0ELNS1_3repE0EEENS1_30default_config_static_selectorELNS0_4arch9wavefront6targetE0EEEvT1_.kd
    .uniform_work_group_size: 1
    .uses_dynamic_stack: false
    .vgpr_count:     0
    .vgpr_spill_count: 0
    .wavefront_size: 32
    .workgroup_processor_mode: 1
  - .args:
      - .offset:         0
        .size:           136
        .value_kind:     by_value
    .group_segment_fixed_size: 0
    .kernarg_segment_align: 8
    .kernarg_segment_size: 136
    .language:       OpenCL C
    .language_version:
      - 2
      - 0
    .max_flat_workgroup_size: 512
    .name:           _ZN7rocprim17ROCPRIM_400000_NS6detail17trampoline_kernelINS0_14default_configENS1_25partition_config_selectorILNS1_17partition_subalgoE6EsNS0_10empty_typeEbEEZZNS1_14partition_implILS5_6ELb0ES3_mN6thrust23THRUST_200600_302600_NS6detail15normal_iteratorINSA_10device_ptrIsEEEEPS6_SG_NS0_5tupleIJNSA_16discard_iteratorINSA_11use_defaultEEES6_EEENSH_IJSG_SG_EEES6_PlJNSB_9not_fun_tI7is_trueIsEEEEEE10hipError_tPvRmT3_T4_T5_T6_T7_T9_mT8_P12ihipStream_tbDpT10_ENKUlT_T0_E_clISt17integral_constantIbLb0EES1A_IbLb1EEEEDaS16_S17_EUlS16_E_NS1_11comp_targetILNS1_3genE5ELNS1_11target_archE942ELNS1_3gpuE9ELNS1_3repE0EEENS1_30default_config_static_selectorELNS0_4arch9wavefront6targetE0EEEvT1_
    .private_segment_fixed_size: 0
    .sgpr_count:     0
    .sgpr_spill_count: 0
    .symbol:         _ZN7rocprim17ROCPRIM_400000_NS6detail17trampoline_kernelINS0_14default_configENS1_25partition_config_selectorILNS1_17partition_subalgoE6EsNS0_10empty_typeEbEEZZNS1_14partition_implILS5_6ELb0ES3_mN6thrust23THRUST_200600_302600_NS6detail15normal_iteratorINSA_10device_ptrIsEEEEPS6_SG_NS0_5tupleIJNSA_16discard_iteratorINSA_11use_defaultEEES6_EEENSH_IJSG_SG_EEES6_PlJNSB_9not_fun_tI7is_trueIsEEEEEE10hipError_tPvRmT3_T4_T5_T6_T7_T9_mT8_P12ihipStream_tbDpT10_ENKUlT_T0_E_clISt17integral_constantIbLb0EES1A_IbLb1EEEEDaS16_S17_EUlS16_E_NS1_11comp_targetILNS1_3genE5ELNS1_11target_archE942ELNS1_3gpuE9ELNS1_3repE0EEENS1_30default_config_static_selectorELNS0_4arch9wavefront6targetE0EEEvT1_.kd
    .uniform_work_group_size: 1
    .uses_dynamic_stack: false
    .vgpr_count:     0
    .vgpr_spill_count: 0
    .wavefront_size: 32
    .workgroup_processor_mode: 1
  - .args:
      - .offset:         0
        .size:           136
        .value_kind:     by_value
    .group_segment_fixed_size: 0
    .kernarg_segment_align: 8
    .kernarg_segment_size: 136
    .language:       OpenCL C
    .language_version:
      - 2
      - 0
    .max_flat_workgroup_size: 256
    .name:           _ZN7rocprim17ROCPRIM_400000_NS6detail17trampoline_kernelINS0_14default_configENS1_25partition_config_selectorILNS1_17partition_subalgoE6EsNS0_10empty_typeEbEEZZNS1_14partition_implILS5_6ELb0ES3_mN6thrust23THRUST_200600_302600_NS6detail15normal_iteratorINSA_10device_ptrIsEEEEPS6_SG_NS0_5tupleIJNSA_16discard_iteratorINSA_11use_defaultEEES6_EEENSH_IJSG_SG_EEES6_PlJNSB_9not_fun_tI7is_trueIsEEEEEE10hipError_tPvRmT3_T4_T5_T6_T7_T9_mT8_P12ihipStream_tbDpT10_ENKUlT_T0_E_clISt17integral_constantIbLb0EES1A_IbLb1EEEEDaS16_S17_EUlS16_E_NS1_11comp_targetILNS1_3genE4ELNS1_11target_archE910ELNS1_3gpuE8ELNS1_3repE0EEENS1_30default_config_static_selectorELNS0_4arch9wavefront6targetE0EEEvT1_
    .private_segment_fixed_size: 0
    .sgpr_count:     0
    .sgpr_spill_count: 0
    .symbol:         _ZN7rocprim17ROCPRIM_400000_NS6detail17trampoline_kernelINS0_14default_configENS1_25partition_config_selectorILNS1_17partition_subalgoE6EsNS0_10empty_typeEbEEZZNS1_14partition_implILS5_6ELb0ES3_mN6thrust23THRUST_200600_302600_NS6detail15normal_iteratorINSA_10device_ptrIsEEEEPS6_SG_NS0_5tupleIJNSA_16discard_iteratorINSA_11use_defaultEEES6_EEENSH_IJSG_SG_EEES6_PlJNSB_9not_fun_tI7is_trueIsEEEEEE10hipError_tPvRmT3_T4_T5_T6_T7_T9_mT8_P12ihipStream_tbDpT10_ENKUlT_T0_E_clISt17integral_constantIbLb0EES1A_IbLb1EEEEDaS16_S17_EUlS16_E_NS1_11comp_targetILNS1_3genE4ELNS1_11target_archE910ELNS1_3gpuE8ELNS1_3repE0EEENS1_30default_config_static_selectorELNS0_4arch9wavefront6targetE0EEEvT1_.kd
    .uniform_work_group_size: 1
    .uses_dynamic_stack: false
    .vgpr_count:     0
    .vgpr_spill_count: 0
    .wavefront_size: 32
    .workgroup_processor_mode: 1
  - .args:
      - .offset:         0
        .size:           136
        .value_kind:     by_value
    .group_segment_fixed_size: 0
    .kernarg_segment_align: 8
    .kernarg_segment_size: 136
    .language:       OpenCL C
    .language_version:
      - 2
      - 0
    .max_flat_workgroup_size: 256
    .name:           _ZN7rocprim17ROCPRIM_400000_NS6detail17trampoline_kernelINS0_14default_configENS1_25partition_config_selectorILNS1_17partition_subalgoE6EsNS0_10empty_typeEbEEZZNS1_14partition_implILS5_6ELb0ES3_mN6thrust23THRUST_200600_302600_NS6detail15normal_iteratorINSA_10device_ptrIsEEEEPS6_SG_NS0_5tupleIJNSA_16discard_iteratorINSA_11use_defaultEEES6_EEENSH_IJSG_SG_EEES6_PlJNSB_9not_fun_tI7is_trueIsEEEEEE10hipError_tPvRmT3_T4_T5_T6_T7_T9_mT8_P12ihipStream_tbDpT10_ENKUlT_T0_E_clISt17integral_constantIbLb0EES1A_IbLb1EEEEDaS16_S17_EUlS16_E_NS1_11comp_targetILNS1_3genE3ELNS1_11target_archE908ELNS1_3gpuE7ELNS1_3repE0EEENS1_30default_config_static_selectorELNS0_4arch9wavefront6targetE0EEEvT1_
    .private_segment_fixed_size: 0
    .sgpr_count:     0
    .sgpr_spill_count: 0
    .symbol:         _ZN7rocprim17ROCPRIM_400000_NS6detail17trampoline_kernelINS0_14default_configENS1_25partition_config_selectorILNS1_17partition_subalgoE6EsNS0_10empty_typeEbEEZZNS1_14partition_implILS5_6ELb0ES3_mN6thrust23THRUST_200600_302600_NS6detail15normal_iteratorINSA_10device_ptrIsEEEEPS6_SG_NS0_5tupleIJNSA_16discard_iteratorINSA_11use_defaultEEES6_EEENSH_IJSG_SG_EEES6_PlJNSB_9not_fun_tI7is_trueIsEEEEEE10hipError_tPvRmT3_T4_T5_T6_T7_T9_mT8_P12ihipStream_tbDpT10_ENKUlT_T0_E_clISt17integral_constantIbLb0EES1A_IbLb1EEEEDaS16_S17_EUlS16_E_NS1_11comp_targetILNS1_3genE3ELNS1_11target_archE908ELNS1_3gpuE7ELNS1_3repE0EEENS1_30default_config_static_selectorELNS0_4arch9wavefront6targetE0EEEvT1_.kd
    .uniform_work_group_size: 1
    .uses_dynamic_stack: false
    .vgpr_count:     0
    .vgpr_spill_count: 0
    .wavefront_size: 32
    .workgroup_processor_mode: 1
  - .args:
      - .offset:         0
        .size:           136
        .value_kind:     by_value
    .group_segment_fixed_size: 0
    .kernarg_segment_align: 8
    .kernarg_segment_size: 136
    .language:       OpenCL C
    .language_version:
      - 2
      - 0
    .max_flat_workgroup_size: 256
    .name:           _ZN7rocprim17ROCPRIM_400000_NS6detail17trampoline_kernelINS0_14default_configENS1_25partition_config_selectorILNS1_17partition_subalgoE6EsNS0_10empty_typeEbEEZZNS1_14partition_implILS5_6ELb0ES3_mN6thrust23THRUST_200600_302600_NS6detail15normal_iteratorINSA_10device_ptrIsEEEEPS6_SG_NS0_5tupleIJNSA_16discard_iteratorINSA_11use_defaultEEES6_EEENSH_IJSG_SG_EEES6_PlJNSB_9not_fun_tI7is_trueIsEEEEEE10hipError_tPvRmT3_T4_T5_T6_T7_T9_mT8_P12ihipStream_tbDpT10_ENKUlT_T0_E_clISt17integral_constantIbLb0EES1A_IbLb1EEEEDaS16_S17_EUlS16_E_NS1_11comp_targetILNS1_3genE2ELNS1_11target_archE906ELNS1_3gpuE6ELNS1_3repE0EEENS1_30default_config_static_selectorELNS0_4arch9wavefront6targetE0EEEvT1_
    .private_segment_fixed_size: 0
    .sgpr_count:     0
    .sgpr_spill_count: 0
    .symbol:         _ZN7rocprim17ROCPRIM_400000_NS6detail17trampoline_kernelINS0_14default_configENS1_25partition_config_selectorILNS1_17partition_subalgoE6EsNS0_10empty_typeEbEEZZNS1_14partition_implILS5_6ELb0ES3_mN6thrust23THRUST_200600_302600_NS6detail15normal_iteratorINSA_10device_ptrIsEEEEPS6_SG_NS0_5tupleIJNSA_16discard_iteratorINSA_11use_defaultEEES6_EEENSH_IJSG_SG_EEES6_PlJNSB_9not_fun_tI7is_trueIsEEEEEE10hipError_tPvRmT3_T4_T5_T6_T7_T9_mT8_P12ihipStream_tbDpT10_ENKUlT_T0_E_clISt17integral_constantIbLb0EES1A_IbLb1EEEEDaS16_S17_EUlS16_E_NS1_11comp_targetILNS1_3genE2ELNS1_11target_archE906ELNS1_3gpuE6ELNS1_3repE0EEENS1_30default_config_static_selectorELNS0_4arch9wavefront6targetE0EEEvT1_.kd
    .uniform_work_group_size: 1
    .uses_dynamic_stack: false
    .vgpr_count:     0
    .vgpr_spill_count: 0
    .wavefront_size: 32
    .workgroup_processor_mode: 1
  - .args:
      - .offset:         0
        .size:           136
        .value_kind:     by_value
    .group_segment_fixed_size: 13840
    .kernarg_segment_align: 8
    .kernarg_segment_size: 136
    .language:       OpenCL C
    .language_version:
      - 2
      - 0
    .max_flat_workgroup_size: 384
    .name:           _ZN7rocprim17ROCPRIM_400000_NS6detail17trampoline_kernelINS0_14default_configENS1_25partition_config_selectorILNS1_17partition_subalgoE6EsNS0_10empty_typeEbEEZZNS1_14partition_implILS5_6ELb0ES3_mN6thrust23THRUST_200600_302600_NS6detail15normal_iteratorINSA_10device_ptrIsEEEEPS6_SG_NS0_5tupleIJNSA_16discard_iteratorINSA_11use_defaultEEES6_EEENSH_IJSG_SG_EEES6_PlJNSB_9not_fun_tI7is_trueIsEEEEEE10hipError_tPvRmT3_T4_T5_T6_T7_T9_mT8_P12ihipStream_tbDpT10_ENKUlT_T0_E_clISt17integral_constantIbLb0EES1A_IbLb1EEEEDaS16_S17_EUlS16_E_NS1_11comp_targetILNS1_3genE10ELNS1_11target_archE1200ELNS1_3gpuE4ELNS1_3repE0EEENS1_30default_config_static_selectorELNS0_4arch9wavefront6targetE0EEEvT1_
    .private_segment_fixed_size: 0
    .sgpr_count:     28
    .sgpr_spill_count: 0
    .symbol:         _ZN7rocprim17ROCPRIM_400000_NS6detail17trampoline_kernelINS0_14default_configENS1_25partition_config_selectorILNS1_17partition_subalgoE6EsNS0_10empty_typeEbEEZZNS1_14partition_implILS5_6ELb0ES3_mN6thrust23THRUST_200600_302600_NS6detail15normal_iteratorINSA_10device_ptrIsEEEEPS6_SG_NS0_5tupleIJNSA_16discard_iteratorINSA_11use_defaultEEES6_EEENSH_IJSG_SG_EEES6_PlJNSB_9not_fun_tI7is_trueIsEEEEEE10hipError_tPvRmT3_T4_T5_T6_T7_T9_mT8_P12ihipStream_tbDpT10_ENKUlT_T0_E_clISt17integral_constantIbLb0EES1A_IbLb1EEEEDaS16_S17_EUlS16_E_NS1_11comp_targetILNS1_3genE10ELNS1_11target_archE1200ELNS1_3gpuE4ELNS1_3repE0EEENS1_30default_config_static_selectorELNS0_4arch9wavefront6targetE0EEEvT1_.kd
    .uniform_work_group_size: 1
    .uses_dynamic_stack: false
    .vgpr_count:     65
    .vgpr_spill_count: 0
    .wavefront_size: 32
    .workgroup_processor_mode: 1
  - .args:
      - .offset:         0
        .size:           136
        .value_kind:     by_value
    .group_segment_fixed_size: 0
    .kernarg_segment_align: 8
    .kernarg_segment_size: 136
    .language:       OpenCL C
    .language_version:
      - 2
      - 0
    .max_flat_workgroup_size: 128
    .name:           _ZN7rocprim17ROCPRIM_400000_NS6detail17trampoline_kernelINS0_14default_configENS1_25partition_config_selectorILNS1_17partition_subalgoE6EsNS0_10empty_typeEbEEZZNS1_14partition_implILS5_6ELb0ES3_mN6thrust23THRUST_200600_302600_NS6detail15normal_iteratorINSA_10device_ptrIsEEEEPS6_SG_NS0_5tupleIJNSA_16discard_iteratorINSA_11use_defaultEEES6_EEENSH_IJSG_SG_EEES6_PlJNSB_9not_fun_tI7is_trueIsEEEEEE10hipError_tPvRmT3_T4_T5_T6_T7_T9_mT8_P12ihipStream_tbDpT10_ENKUlT_T0_E_clISt17integral_constantIbLb0EES1A_IbLb1EEEEDaS16_S17_EUlS16_E_NS1_11comp_targetILNS1_3genE9ELNS1_11target_archE1100ELNS1_3gpuE3ELNS1_3repE0EEENS1_30default_config_static_selectorELNS0_4arch9wavefront6targetE0EEEvT1_
    .private_segment_fixed_size: 0
    .sgpr_count:     0
    .sgpr_spill_count: 0
    .symbol:         _ZN7rocprim17ROCPRIM_400000_NS6detail17trampoline_kernelINS0_14default_configENS1_25partition_config_selectorILNS1_17partition_subalgoE6EsNS0_10empty_typeEbEEZZNS1_14partition_implILS5_6ELb0ES3_mN6thrust23THRUST_200600_302600_NS6detail15normal_iteratorINSA_10device_ptrIsEEEEPS6_SG_NS0_5tupleIJNSA_16discard_iteratorINSA_11use_defaultEEES6_EEENSH_IJSG_SG_EEES6_PlJNSB_9not_fun_tI7is_trueIsEEEEEE10hipError_tPvRmT3_T4_T5_T6_T7_T9_mT8_P12ihipStream_tbDpT10_ENKUlT_T0_E_clISt17integral_constantIbLb0EES1A_IbLb1EEEEDaS16_S17_EUlS16_E_NS1_11comp_targetILNS1_3genE9ELNS1_11target_archE1100ELNS1_3gpuE3ELNS1_3repE0EEENS1_30default_config_static_selectorELNS0_4arch9wavefront6targetE0EEEvT1_.kd
    .uniform_work_group_size: 1
    .uses_dynamic_stack: false
    .vgpr_count:     0
    .vgpr_spill_count: 0
    .wavefront_size: 32
    .workgroup_processor_mode: 1
  - .args:
      - .offset:         0
        .size:           136
        .value_kind:     by_value
    .group_segment_fixed_size: 0
    .kernarg_segment_align: 8
    .kernarg_segment_size: 136
    .language:       OpenCL C
    .language_version:
      - 2
      - 0
    .max_flat_workgroup_size: 256
    .name:           _ZN7rocprim17ROCPRIM_400000_NS6detail17trampoline_kernelINS0_14default_configENS1_25partition_config_selectorILNS1_17partition_subalgoE6EsNS0_10empty_typeEbEEZZNS1_14partition_implILS5_6ELb0ES3_mN6thrust23THRUST_200600_302600_NS6detail15normal_iteratorINSA_10device_ptrIsEEEEPS6_SG_NS0_5tupleIJNSA_16discard_iteratorINSA_11use_defaultEEES6_EEENSH_IJSG_SG_EEES6_PlJNSB_9not_fun_tI7is_trueIsEEEEEE10hipError_tPvRmT3_T4_T5_T6_T7_T9_mT8_P12ihipStream_tbDpT10_ENKUlT_T0_E_clISt17integral_constantIbLb0EES1A_IbLb1EEEEDaS16_S17_EUlS16_E_NS1_11comp_targetILNS1_3genE8ELNS1_11target_archE1030ELNS1_3gpuE2ELNS1_3repE0EEENS1_30default_config_static_selectorELNS0_4arch9wavefront6targetE0EEEvT1_
    .private_segment_fixed_size: 0
    .sgpr_count:     0
    .sgpr_spill_count: 0
    .symbol:         _ZN7rocprim17ROCPRIM_400000_NS6detail17trampoline_kernelINS0_14default_configENS1_25partition_config_selectorILNS1_17partition_subalgoE6EsNS0_10empty_typeEbEEZZNS1_14partition_implILS5_6ELb0ES3_mN6thrust23THRUST_200600_302600_NS6detail15normal_iteratorINSA_10device_ptrIsEEEEPS6_SG_NS0_5tupleIJNSA_16discard_iteratorINSA_11use_defaultEEES6_EEENSH_IJSG_SG_EEES6_PlJNSB_9not_fun_tI7is_trueIsEEEEEE10hipError_tPvRmT3_T4_T5_T6_T7_T9_mT8_P12ihipStream_tbDpT10_ENKUlT_T0_E_clISt17integral_constantIbLb0EES1A_IbLb1EEEEDaS16_S17_EUlS16_E_NS1_11comp_targetILNS1_3genE8ELNS1_11target_archE1030ELNS1_3gpuE2ELNS1_3repE0EEENS1_30default_config_static_selectorELNS0_4arch9wavefront6targetE0EEEvT1_.kd
    .uniform_work_group_size: 1
    .uses_dynamic_stack: false
    .vgpr_count:     0
    .vgpr_spill_count: 0
    .wavefront_size: 32
    .workgroup_processor_mode: 1
  - .args:
      - .offset:         0
        .size:           120
        .value_kind:     by_value
    .group_segment_fixed_size: 0
    .kernarg_segment_align: 8
    .kernarg_segment_size: 120
    .language:       OpenCL C
    .language_version:
      - 2
      - 0
    .max_flat_workgroup_size: 128
    .name:           _ZN7rocprim17ROCPRIM_400000_NS6detail17trampoline_kernelINS0_14default_configENS1_25partition_config_selectorILNS1_17partition_subalgoE5EdNS0_10empty_typeEbEEZZNS1_14partition_implILS5_5ELb0ES3_mN6thrust23THRUST_200600_302600_NS6detail15normal_iteratorINSA_10device_ptrIdEEEEPS6_NSA_18transform_iteratorINSB_9not_fun_tI7is_trueIdEEENSC_INSD_IbEEEENSA_11use_defaultESO_EENS0_5tupleIJSF_S6_EEENSQ_IJSG_SG_EEES6_PlJS6_EEE10hipError_tPvRmT3_T4_T5_T6_T7_T9_mT8_P12ihipStream_tbDpT10_ENKUlT_T0_E_clISt17integral_constantIbLb0EES1D_EEDaS18_S19_EUlS18_E_NS1_11comp_targetILNS1_3genE0ELNS1_11target_archE4294967295ELNS1_3gpuE0ELNS1_3repE0EEENS1_30default_config_static_selectorELNS0_4arch9wavefront6targetE0EEEvT1_
    .private_segment_fixed_size: 0
    .sgpr_count:     0
    .sgpr_spill_count: 0
    .symbol:         _ZN7rocprim17ROCPRIM_400000_NS6detail17trampoline_kernelINS0_14default_configENS1_25partition_config_selectorILNS1_17partition_subalgoE5EdNS0_10empty_typeEbEEZZNS1_14partition_implILS5_5ELb0ES3_mN6thrust23THRUST_200600_302600_NS6detail15normal_iteratorINSA_10device_ptrIdEEEEPS6_NSA_18transform_iteratorINSB_9not_fun_tI7is_trueIdEEENSC_INSD_IbEEEENSA_11use_defaultESO_EENS0_5tupleIJSF_S6_EEENSQ_IJSG_SG_EEES6_PlJS6_EEE10hipError_tPvRmT3_T4_T5_T6_T7_T9_mT8_P12ihipStream_tbDpT10_ENKUlT_T0_E_clISt17integral_constantIbLb0EES1D_EEDaS18_S19_EUlS18_E_NS1_11comp_targetILNS1_3genE0ELNS1_11target_archE4294967295ELNS1_3gpuE0ELNS1_3repE0EEENS1_30default_config_static_selectorELNS0_4arch9wavefront6targetE0EEEvT1_.kd
    .uniform_work_group_size: 1
    .uses_dynamic_stack: false
    .vgpr_count:     0
    .vgpr_spill_count: 0
    .wavefront_size: 32
    .workgroup_processor_mode: 1
  - .args:
      - .offset:         0
        .size:           120
        .value_kind:     by_value
    .group_segment_fixed_size: 0
    .kernarg_segment_align: 8
    .kernarg_segment_size: 120
    .language:       OpenCL C
    .language_version:
      - 2
      - 0
    .max_flat_workgroup_size: 512
    .name:           _ZN7rocprim17ROCPRIM_400000_NS6detail17trampoline_kernelINS0_14default_configENS1_25partition_config_selectorILNS1_17partition_subalgoE5EdNS0_10empty_typeEbEEZZNS1_14partition_implILS5_5ELb0ES3_mN6thrust23THRUST_200600_302600_NS6detail15normal_iteratorINSA_10device_ptrIdEEEEPS6_NSA_18transform_iteratorINSB_9not_fun_tI7is_trueIdEEENSC_INSD_IbEEEENSA_11use_defaultESO_EENS0_5tupleIJSF_S6_EEENSQ_IJSG_SG_EEES6_PlJS6_EEE10hipError_tPvRmT3_T4_T5_T6_T7_T9_mT8_P12ihipStream_tbDpT10_ENKUlT_T0_E_clISt17integral_constantIbLb0EES1D_EEDaS18_S19_EUlS18_E_NS1_11comp_targetILNS1_3genE5ELNS1_11target_archE942ELNS1_3gpuE9ELNS1_3repE0EEENS1_30default_config_static_selectorELNS0_4arch9wavefront6targetE0EEEvT1_
    .private_segment_fixed_size: 0
    .sgpr_count:     0
    .sgpr_spill_count: 0
    .symbol:         _ZN7rocprim17ROCPRIM_400000_NS6detail17trampoline_kernelINS0_14default_configENS1_25partition_config_selectorILNS1_17partition_subalgoE5EdNS0_10empty_typeEbEEZZNS1_14partition_implILS5_5ELb0ES3_mN6thrust23THRUST_200600_302600_NS6detail15normal_iteratorINSA_10device_ptrIdEEEEPS6_NSA_18transform_iteratorINSB_9not_fun_tI7is_trueIdEEENSC_INSD_IbEEEENSA_11use_defaultESO_EENS0_5tupleIJSF_S6_EEENSQ_IJSG_SG_EEES6_PlJS6_EEE10hipError_tPvRmT3_T4_T5_T6_T7_T9_mT8_P12ihipStream_tbDpT10_ENKUlT_T0_E_clISt17integral_constantIbLb0EES1D_EEDaS18_S19_EUlS18_E_NS1_11comp_targetILNS1_3genE5ELNS1_11target_archE942ELNS1_3gpuE9ELNS1_3repE0EEENS1_30default_config_static_selectorELNS0_4arch9wavefront6targetE0EEEvT1_.kd
    .uniform_work_group_size: 1
    .uses_dynamic_stack: false
    .vgpr_count:     0
    .vgpr_spill_count: 0
    .wavefront_size: 32
    .workgroup_processor_mode: 1
  - .args:
      - .offset:         0
        .size:           120
        .value_kind:     by_value
    .group_segment_fixed_size: 0
    .kernarg_segment_align: 8
    .kernarg_segment_size: 120
    .language:       OpenCL C
    .language_version:
      - 2
      - 0
    .max_flat_workgroup_size: 192
    .name:           _ZN7rocprim17ROCPRIM_400000_NS6detail17trampoline_kernelINS0_14default_configENS1_25partition_config_selectorILNS1_17partition_subalgoE5EdNS0_10empty_typeEbEEZZNS1_14partition_implILS5_5ELb0ES3_mN6thrust23THRUST_200600_302600_NS6detail15normal_iteratorINSA_10device_ptrIdEEEEPS6_NSA_18transform_iteratorINSB_9not_fun_tI7is_trueIdEEENSC_INSD_IbEEEENSA_11use_defaultESO_EENS0_5tupleIJSF_S6_EEENSQ_IJSG_SG_EEES6_PlJS6_EEE10hipError_tPvRmT3_T4_T5_T6_T7_T9_mT8_P12ihipStream_tbDpT10_ENKUlT_T0_E_clISt17integral_constantIbLb0EES1D_EEDaS18_S19_EUlS18_E_NS1_11comp_targetILNS1_3genE4ELNS1_11target_archE910ELNS1_3gpuE8ELNS1_3repE0EEENS1_30default_config_static_selectorELNS0_4arch9wavefront6targetE0EEEvT1_
    .private_segment_fixed_size: 0
    .sgpr_count:     0
    .sgpr_spill_count: 0
    .symbol:         _ZN7rocprim17ROCPRIM_400000_NS6detail17trampoline_kernelINS0_14default_configENS1_25partition_config_selectorILNS1_17partition_subalgoE5EdNS0_10empty_typeEbEEZZNS1_14partition_implILS5_5ELb0ES3_mN6thrust23THRUST_200600_302600_NS6detail15normal_iteratorINSA_10device_ptrIdEEEEPS6_NSA_18transform_iteratorINSB_9not_fun_tI7is_trueIdEEENSC_INSD_IbEEEENSA_11use_defaultESO_EENS0_5tupleIJSF_S6_EEENSQ_IJSG_SG_EEES6_PlJS6_EEE10hipError_tPvRmT3_T4_T5_T6_T7_T9_mT8_P12ihipStream_tbDpT10_ENKUlT_T0_E_clISt17integral_constantIbLb0EES1D_EEDaS18_S19_EUlS18_E_NS1_11comp_targetILNS1_3genE4ELNS1_11target_archE910ELNS1_3gpuE8ELNS1_3repE0EEENS1_30default_config_static_selectorELNS0_4arch9wavefront6targetE0EEEvT1_.kd
    .uniform_work_group_size: 1
    .uses_dynamic_stack: false
    .vgpr_count:     0
    .vgpr_spill_count: 0
    .wavefront_size: 32
    .workgroup_processor_mode: 1
  - .args:
      - .offset:         0
        .size:           120
        .value_kind:     by_value
    .group_segment_fixed_size: 0
    .kernarg_segment_align: 8
    .kernarg_segment_size: 120
    .language:       OpenCL C
    .language_version:
      - 2
      - 0
    .max_flat_workgroup_size: 128
    .name:           _ZN7rocprim17ROCPRIM_400000_NS6detail17trampoline_kernelINS0_14default_configENS1_25partition_config_selectorILNS1_17partition_subalgoE5EdNS0_10empty_typeEbEEZZNS1_14partition_implILS5_5ELb0ES3_mN6thrust23THRUST_200600_302600_NS6detail15normal_iteratorINSA_10device_ptrIdEEEEPS6_NSA_18transform_iteratorINSB_9not_fun_tI7is_trueIdEEENSC_INSD_IbEEEENSA_11use_defaultESO_EENS0_5tupleIJSF_S6_EEENSQ_IJSG_SG_EEES6_PlJS6_EEE10hipError_tPvRmT3_T4_T5_T6_T7_T9_mT8_P12ihipStream_tbDpT10_ENKUlT_T0_E_clISt17integral_constantIbLb0EES1D_EEDaS18_S19_EUlS18_E_NS1_11comp_targetILNS1_3genE3ELNS1_11target_archE908ELNS1_3gpuE7ELNS1_3repE0EEENS1_30default_config_static_selectorELNS0_4arch9wavefront6targetE0EEEvT1_
    .private_segment_fixed_size: 0
    .sgpr_count:     0
    .sgpr_spill_count: 0
    .symbol:         _ZN7rocprim17ROCPRIM_400000_NS6detail17trampoline_kernelINS0_14default_configENS1_25partition_config_selectorILNS1_17partition_subalgoE5EdNS0_10empty_typeEbEEZZNS1_14partition_implILS5_5ELb0ES3_mN6thrust23THRUST_200600_302600_NS6detail15normal_iteratorINSA_10device_ptrIdEEEEPS6_NSA_18transform_iteratorINSB_9not_fun_tI7is_trueIdEEENSC_INSD_IbEEEENSA_11use_defaultESO_EENS0_5tupleIJSF_S6_EEENSQ_IJSG_SG_EEES6_PlJS6_EEE10hipError_tPvRmT3_T4_T5_T6_T7_T9_mT8_P12ihipStream_tbDpT10_ENKUlT_T0_E_clISt17integral_constantIbLb0EES1D_EEDaS18_S19_EUlS18_E_NS1_11comp_targetILNS1_3genE3ELNS1_11target_archE908ELNS1_3gpuE7ELNS1_3repE0EEENS1_30default_config_static_selectorELNS0_4arch9wavefront6targetE0EEEvT1_.kd
    .uniform_work_group_size: 1
    .uses_dynamic_stack: false
    .vgpr_count:     0
    .vgpr_spill_count: 0
    .wavefront_size: 32
    .workgroup_processor_mode: 1
  - .args:
      - .offset:         0
        .size:           120
        .value_kind:     by_value
    .group_segment_fixed_size: 0
    .kernarg_segment_align: 8
    .kernarg_segment_size: 120
    .language:       OpenCL C
    .language_version:
      - 2
      - 0
    .max_flat_workgroup_size: 256
    .name:           _ZN7rocprim17ROCPRIM_400000_NS6detail17trampoline_kernelINS0_14default_configENS1_25partition_config_selectorILNS1_17partition_subalgoE5EdNS0_10empty_typeEbEEZZNS1_14partition_implILS5_5ELb0ES3_mN6thrust23THRUST_200600_302600_NS6detail15normal_iteratorINSA_10device_ptrIdEEEEPS6_NSA_18transform_iteratorINSB_9not_fun_tI7is_trueIdEEENSC_INSD_IbEEEENSA_11use_defaultESO_EENS0_5tupleIJSF_S6_EEENSQ_IJSG_SG_EEES6_PlJS6_EEE10hipError_tPvRmT3_T4_T5_T6_T7_T9_mT8_P12ihipStream_tbDpT10_ENKUlT_T0_E_clISt17integral_constantIbLb0EES1D_EEDaS18_S19_EUlS18_E_NS1_11comp_targetILNS1_3genE2ELNS1_11target_archE906ELNS1_3gpuE6ELNS1_3repE0EEENS1_30default_config_static_selectorELNS0_4arch9wavefront6targetE0EEEvT1_
    .private_segment_fixed_size: 0
    .sgpr_count:     0
    .sgpr_spill_count: 0
    .symbol:         _ZN7rocprim17ROCPRIM_400000_NS6detail17trampoline_kernelINS0_14default_configENS1_25partition_config_selectorILNS1_17partition_subalgoE5EdNS0_10empty_typeEbEEZZNS1_14partition_implILS5_5ELb0ES3_mN6thrust23THRUST_200600_302600_NS6detail15normal_iteratorINSA_10device_ptrIdEEEEPS6_NSA_18transform_iteratorINSB_9not_fun_tI7is_trueIdEEENSC_INSD_IbEEEENSA_11use_defaultESO_EENS0_5tupleIJSF_S6_EEENSQ_IJSG_SG_EEES6_PlJS6_EEE10hipError_tPvRmT3_T4_T5_T6_T7_T9_mT8_P12ihipStream_tbDpT10_ENKUlT_T0_E_clISt17integral_constantIbLb0EES1D_EEDaS18_S19_EUlS18_E_NS1_11comp_targetILNS1_3genE2ELNS1_11target_archE906ELNS1_3gpuE6ELNS1_3repE0EEENS1_30default_config_static_selectorELNS0_4arch9wavefront6targetE0EEEvT1_.kd
    .uniform_work_group_size: 1
    .uses_dynamic_stack: false
    .vgpr_count:     0
    .vgpr_spill_count: 0
    .wavefront_size: 32
    .workgroup_processor_mode: 1
  - .args:
      - .offset:         0
        .size:           120
        .value_kind:     by_value
    .group_segment_fixed_size: 10256
    .kernarg_segment_align: 8
    .kernarg_segment_size: 120
    .language:       OpenCL C
    .language_version:
      - 2
      - 0
    .max_flat_workgroup_size: 256
    .name:           _ZN7rocprim17ROCPRIM_400000_NS6detail17trampoline_kernelINS0_14default_configENS1_25partition_config_selectorILNS1_17partition_subalgoE5EdNS0_10empty_typeEbEEZZNS1_14partition_implILS5_5ELb0ES3_mN6thrust23THRUST_200600_302600_NS6detail15normal_iteratorINSA_10device_ptrIdEEEEPS6_NSA_18transform_iteratorINSB_9not_fun_tI7is_trueIdEEENSC_INSD_IbEEEENSA_11use_defaultESO_EENS0_5tupleIJSF_S6_EEENSQ_IJSG_SG_EEES6_PlJS6_EEE10hipError_tPvRmT3_T4_T5_T6_T7_T9_mT8_P12ihipStream_tbDpT10_ENKUlT_T0_E_clISt17integral_constantIbLb0EES1D_EEDaS18_S19_EUlS18_E_NS1_11comp_targetILNS1_3genE10ELNS1_11target_archE1200ELNS1_3gpuE4ELNS1_3repE0EEENS1_30default_config_static_selectorELNS0_4arch9wavefront6targetE0EEEvT1_
    .private_segment_fixed_size: 0
    .sgpr_count:     21
    .sgpr_spill_count: 0
    .symbol:         _ZN7rocprim17ROCPRIM_400000_NS6detail17trampoline_kernelINS0_14default_configENS1_25partition_config_selectorILNS1_17partition_subalgoE5EdNS0_10empty_typeEbEEZZNS1_14partition_implILS5_5ELb0ES3_mN6thrust23THRUST_200600_302600_NS6detail15normal_iteratorINSA_10device_ptrIdEEEEPS6_NSA_18transform_iteratorINSB_9not_fun_tI7is_trueIdEEENSC_INSD_IbEEEENSA_11use_defaultESO_EENS0_5tupleIJSF_S6_EEENSQ_IJSG_SG_EEES6_PlJS6_EEE10hipError_tPvRmT3_T4_T5_T6_T7_T9_mT8_P12ihipStream_tbDpT10_ENKUlT_T0_E_clISt17integral_constantIbLb0EES1D_EEDaS18_S19_EUlS18_E_NS1_11comp_targetILNS1_3genE10ELNS1_11target_archE1200ELNS1_3gpuE4ELNS1_3repE0EEENS1_30default_config_static_selectorELNS0_4arch9wavefront6targetE0EEEvT1_.kd
    .uniform_work_group_size: 1
    .uses_dynamic_stack: false
    .vgpr_count:     48
    .vgpr_spill_count: 0
    .wavefront_size: 32
    .workgroup_processor_mode: 1
  - .args:
      - .offset:         0
        .size:           120
        .value_kind:     by_value
    .group_segment_fixed_size: 0
    .kernarg_segment_align: 8
    .kernarg_segment_size: 120
    .language:       OpenCL C
    .language_version:
      - 2
      - 0
    .max_flat_workgroup_size: 128
    .name:           _ZN7rocprim17ROCPRIM_400000_NS6detail17trampoline_kernelINS0_14default_configENS1_25partition_config_selectorILNS1_17partition_subalgoE5EdNS0_10empty_typeEbEEZZNS1_14partition_implILS5_5ELb0ES3_mN6thrust23THRUST_200600_302600_NS6detail15normal_iteratorINSA_10device_ptrIdEEEEPS6_NSA_18transform_iteratorINSB_9not_fun_tI7is_trueIdEEENSC_INSD_IbEEEENSA_11use_defaultESO_EENS0_5tupleIJSF_S6_EEENSQ_IJSG_SG_EEES6_PlJS6_EEE10hipError_tPvRmT3_T4_T5_T6_T7_T9_mT8_P12ihipStream_tbDpT10_ENKUlT_T0_E_clISt17integral_constantIbLb0EES1D_EEDaS18_S19_EUlS18_E_NS1_11comp_targetILNS1_3genE9ELNS1_11target_archE1100ELNS1_3gpuE3ELNS1_3repE0EEENS1_30default_config_static_selectorELNS0_4arch9wavefront6targetE0EEEvT1_
    .private_segment_fixed_size: 0
    .sgpr_count:     0
    .sgpr_spill_count: 0
    .symbol:         _ZN7rocprim17ROCPRIM_400000_NS6detail17trampoline_kernelINS0_14default_configENS1_25partition_config_selectorILNS1_17partition_subalgoE5EdNS0_10empty_typeEbEEZZNS1_14partition_implILS5_5ELb0ES3_mN6thrust23THRUST_200600_302600_NS6detail15normal_iteratorINSA_10device_ptrIdEEEEPS6_NSA_18transform_iteratorINSB_9not_fun_tI7is_trueIdEEENSC_INSD_IbEEEENSA_11use_defaultESO_EENS0_5tupleIJSF_S6_EEENSQ_IJSG_SG_EEES6_PlJS6_EEE10hipError_tPvRmT3_T4_T5_T6_T7_T9_mT8_P12ihipStream_tbDpT10_ENKUlT_T0_E_clISt17integral_constantIbLb0EES1D_EEDaS18_S19_EUlS18_E_NS1_11comp_targetILNS1_3genE9ELNS1_11target_archE1100ELNS1_3gpuE3ELNS1_3repE0EEENS1_30default_config_static_selectorELNS0_4arch9wavefront6targetE0EEEvT1_.kd
    .uniform_work_group_size: 1
    .uses_dynamic_stack: false
    .vgpr_count:     0
    .vgpr_spill_count: 0
    .wavefront_size: 32
    .workgroup_processor_mode: 1
  - .args:
      - .offset:         0
        .size:           120
        .value_kind:     by_value
    .group_segment_fixed_size: 0
    .kernarg_segment_align: 8
    .kernarg_segment_size: 120
    .language:       OpenCL C
    .language_version:
      - 2
      - 0
    .max_flat_workgroup_size: 512
    .name:           _ZN7rocprim17ROCPRIM_400000_NS6detail17trampoline_kernelINS0_14default_configENS1_25partition_config_selectorILNS1_17partition_subalgoE5EdNS0_10empty_typeEbEEZZNS1_14partition_implILS5_5ELb0ES3_mN6thrust23THRUST_200600_302600_NS6detail15normal_iteratorINSA_10device_ptrIdEEEEPS6_NSA_18transform_iteratorINSB_9not_fun_tI7is_trueIdEEENSC_INSD_IbEEEENSA_11use_defaultESO_EENS0_5tupleIJSF_S6_EEENSQ_IJSG_SG_EEES6_PlJS6_EEE10hipError_tPvRmT3_T4_T5_T6_T7_T9_mT8_P12ihipStream_tbDpT10_ENKUlT_T0_E_clISt17integral_constantIbLb0EES1D_EEDaS18_S19_EUlS18_E_NS1_11comp_targetILNS1_3genE8ELNS1_11target_archE1030ELNS1_3gpuE2ELNS1_3repE0EEENS1_30default_config_static_selectorELNS0_4arch9wavefront6targetE0EEEvT1_
    .private_segment_fixed_size: 0
    .sgpr_count:     0
    .sgpr_spill_count: 0
    .symbol:         _ZN7rocprim17ROCPRIM_400000_NS6detail17trampoline_kernelINS0_14default_configENS1_25partition_config_selectorILNS1_17partition_subalgoE5EdNS0_10empty_typeEbEEZZNS1_14partition_implILS5_5ELb0ES3_mN6thrust23THRUST_200600_302600_NS6detail15normal_iteratorINSA_10device_ptrIdEEEEPS6_NSA_18transform_iteratorINSB_9not_fun_tI7is_trueIdEEENSC_INSD_IbEEEENSA_11use_defaultESO_EENS0_5tupleIJSF_S6_EEENSQ_IJSG_SG_EEES6_PlJS6_EEE10hipError_tPvRmT3_T4_T5_T6_T7_T9_mT8_P12ihipStream_tbDpT10_ENKUlT_T0_E_clISt17integral_constantIbLb0EES1D_EEDaS18_S19_EUlS18_E_NS1_11comp_targetILNS1_3genE8ELNS1_11target_archE1030ELNS1_3gpuE2ELNS1_3repE0EEENS1_30default_config_static_selectorELNS0_4arch9wavefront6targetE0EEEvT1_.kd
    .uniform_work_group_size: 1
    .uses_dynamic_stack: false
    .vgpr_count:     0
    .vgpr_spill_count: 0
    .wavefront_size: 32
    .workgroup_processor_mode: 1
  - .args:
      - .offset:         0
        .size:           136
        .value_kind:     by_value
    .group_segment_fixed_size: 0
    .kernarg_segment_align: 8
    .kernarg_segment_size: 136
    .language:       OpenCL C
    .language_version:
      - 2
      - 0
    .max_flat_workgroup_size: 128
    .name:           _ZN7rocprim17ROCPRIM_400000_NS6detail17trampoline_kernelINS0_14default_configENS1_25partition_config_selectorILNS1_17partition_subalgoE5EdNS0_10empty_typeEbEEZZNS1_14partition_implILS5_5ELb0ES3_mN6thrust23THRUST_200600_302600_NS6detail15normal_iteratorINSA_10device_ptrIdEEEEPS6_NSA_18transform_iteratorINSB_9not_fun_tI7is_trueIdEEENSC_INSD_IbEEEENSA_11use_defaultESO_EENS0_5tupleIJSF_S6_EEENSQ_IJSG_SG_EEES6_PlJS6_EEE10hipError_tPvRmT3_T4_T5_T6_T7_T9_mT8_P12ihipStream_tbDpT10_ENKUlT_T0_E_clISt17integral_constantIbLb1EES1D_EEDaS18_S19_EUlS18_E_NS1_11comp_targetILNS1_3genE0ELNS1_11target_archE4294967295ELNS1_3gpuE0ELNS1_3repE0EEENS1_30default_config_static_selectorELNS0_4arch9wavefront6targetE0EEEvT1_
    .private_segment_fixed_size: 0
    .sgpr_count:     0
    .sgpr_spill_count: 0
    .symbol:         _ZN7rocprim17ROCPRIM_400000_NS6detail17trampoline_kernelINS0_14default_configENS1_25partition_config_selectorILNS1_17partition_subalgoE5EdNS0_10empty_typeEbEEZZNS1_14partition_implILS5_5ELb0ES3_mN6thrust23THRUST_200600_302600_NS6detail15normal_iteratorINSA_10device_ptrIdEEEEPS6_NSA_18transform_iteratorINSB_9not_fun_tI7is_trueIdEEENSC_INSD_IbEEEENSA_11use_defaultESO_EENS0_5tupleIJSF_S6_EEENSQ_IJSG_SG_EEES6_PlJS6_EEE10hipError_tPvRmT3_T4_T5_T6_T7_T9_mT8_P12ihipStream_tbDpT10_ENKUlT_T0_E_clISt17integral_constantIbLb1EES1D_EEDaS18_S19_EUlS18_E_NS1_11comp_targetILNS1_3genE0ELNS1_11target_archE4294967295ELNS1_3gpuE0ELNS1_3repE0EEENS1_30default_config_static_selectorELNS0_4arch9wavefront6targetE0EEEvT1_.kd
    .uniform_work_group_size: 1
    .uses_dynamic_stack: false
    .vgpr_count:     0
    .vgpr_spill_count: 0
    .wavefront_size: 32
    .workgroup_processor_mode: 1
  - .args:
      - .offset:         0
        .size:           136
        .value_kind:     by_value
    .group_segment_fixed_size: 0
    .kernarg_segment_align: 8
    .kernarg_segment_size: 136
    .language:       OpenCL C
    .language_version:
      - 2
      - 0
    .max_flat_workgroup_size: 512
    .name:           _ZN7rocprim17ROCPRIM_400000_NS6detail17trampoline_kernelINS0_14default_configENS1_25partition_config_selectorILNS1_17partition_subalgoE5EdNS0_10empty_typeEbEEZZNS1_14partition_implILS5_5ELb0ES3_mN6thrust23THRUST_200600_302600_NS6detail15normal_iteratorINSA_10device_ptrIdEEEEPS6_NSA_18transform_iteratorINSB_9not_fun_tI7is_trueIdEEENSC_INSD_IbEEEENSA_11use_defaultESO_EENS0_5tupleIJSF_S6_EEENSQ_IJSG_SG_EEES6_PlJS6_EEE10hipError_tPvRmT3_T4_T5_T6_T7_T9_mT8_P12ihipStream_tbDpT10_ENKUlT_T0_E_clISt17integral_constantIbLb1EES1D_EEDaS18_S19_EUlS18_E_NS1_11comp_targetILNS1_3genE5ELNS1_11target_archE942ELNS1_3gpuE9ELNS1_3repE0EEENS1_30default_config_static_selectorELNS0_4arch9wavefront6targetE0EEEvT1_
    .private_segment_fixed_size: 0
    .sgpr_count:     0
    .sgpr_spill_count: 0
    .symbol:         _ZN7rocprim17ROCPRIM_400000_NS6detail17trampoline_kernelINS0_14default_configENS1_25partition_config_selectorILNS1_17partition_subalgoE5EdNS0_10empty_typeEbEEZZNS1_14partition_implILS5_5ELb0ES3_mN6thrust23THRUST_200600_302600_NS6detail15normal_iteratorINSA_10device_ptrIdEEEEPS6_NSA_18transform_iteratorINSB_9not_fun_tI7is_trueIdEEENSC_INSD_IbEEEENSA_11use_defaultESO_EENS0_5tupleIJSF_S6_EEENSQ_IJSG_SG_EEES6_PlJS6_EEE10hipError_tPvRmT3_T4_T5_T6_T7_T9_mT8_P12ihipStream_tbDpT10_ENKUlT_T0_E_clISt17integral_constantIbLb1EES1D_EEDaS18_S19_EUlS18_E_NS1_11comp_targetILNS1_3genE5ELNS1_11target_archE942ELNS1_3gpuE9ELNS1_3repE0EEENS1_30default_config_static_selectorELNS0_4arch9wavefront6targetE0EEEvT1_.kd
    .uniform_work_group_size: 1
    .uses_dynamic_stack: false
    .vgpr_count:     0
    .vgpr_spill_count: 0
    .wavefront_size: 32
    .workgroup_processor_mode: 1
  - .args:
      - .offset:         0
        .size:           136
        .value_kind:     by_value
    .group_segment_fixed_size: 0
    .kernarg_segment_align: 8
    .kernarg_segment_size: 136
    .language:       OpenCL C
    .language_version:
      - 2
      - 0
    .max_flat_workgroup_size: 192
    .name:           _ZN7rocprim17ROCPRIM_400000_NS6detail17trampoline_kernelINS0_14default_configENS1_25partition_config_selectorILNS1_17partition_subalgoE5EdNS0_10empty_typeEbEEZZNS1_14partition_implILS5_5ELb0ES3_mN6thrust23THRUST_200600_302600_NS6detail15normal_iteratorINSA_10device_ptrIdEEEEPS6_NSA_18transform_iteratorINSB_9not_fun_tI7is_trueIdEEENSC_INSD_IbEEEENSA_11use_defaultESO_EENS0_5tupleIJSF_S6_EEENSQ_IJSG_SG_EEES6_PlJS6_EEE10hipError_tPvRmT3_T4_T5_T6_T7_T9_mT8_P12ihipStream_tbDpT10_ENKUlT_T0_E_clISt17integral_constantIbLb1EES1D_EEDaS18_S19_EUlS18_E_NS1_11comp_targetILNS1_3genE4ELNS1_11target_archE910ELNS1_3gpuE8ELNS1_3repE0EEENS1_30default_config_static_selectorELNS0_4arch9wavefront6targetE0EEEvT1_
    .private_segment_fixed_size: 0
    .sgpr_count:     0
    .sgpr_spill_count: 0
    .symbol:         _ZN7rocprim17ROCPRIM_400000_NS6detail17trampoline_kernelINS0_14default_configENS1_25partition_config_selectorILNS1_17partition_subalgoE5EdNS0_10empty_typeEbEEZZNS1_14partition_implILS5_5ELb0ES3_mN6thrust23THRUST_200600_302600_NS6detail15normal_iteratorINSA_10device_ptrIdEEEEPS6_NSA_18transform_iteratorINSB_9not_fun_tI7is_trueIdEEENSC_INSD_IbEEEENSA_11use_defaultESO_EENS0_5tupleIJSF_S6_EEENSQ_IJSG_SG_EEES6_PlJS6_EEE10hipError_tPvRmT3_T4_T5_T6_T7_T9_mT8_P12ihipStream_tbDpT10_ENKUlT_T0_E_clISt17integral_constantIbLb1EES1D_EEDaS18_S19_EUlS18_E_NS1_11comp_targetILNS1_3genE4ELNS1_11target_archE910ELNS1_3gpuE8ELNS1_3repE0EEENS1_30default_config_static_selectorELNS0_4arch9wavefront6targetE0EEEvT1_.kd
    .uniform_work_group_size: 1
    .uses_dynamic_stack: false
    .vgpr_count:     0
    .vgpr_spill_count: 0
    .wavefront_size: 32
    .workgroup_processor_mode: 1
  - .args:
      - .offset:         0
        .size:           136
        .value_kind:     by_value
    .group_segment_fixed_size: 0
    .kernarg_segment_align: 8
    .kernarg_segment_size: 136
    .language:       OpenCL C
    .language_version:
      - 2
      - 0
    .max_flat_workgroup_size: 128
    .name:           _ZN7rocprim17ROCPRIM_400000_NS6detail17trampoline_kernelINS0_14default_configENS1_25partition_config_selectorILNS1_17partition_subalgoE5EdNS0_10empty_typeEbEEZZNS1_14partition_implILS5_5ELb0ES3_mN6thrust23THRUST_200600_302600_NS6detail15normal_iteratorINSA_10device_ptrIdEEEEPS6_NSA_18transform_iteratorINSB_9not_fun_tI7is_trueIdEEENSC_INSD_IbEEEENSA_11use_defaultESO_EENS0_5tupleIJSF_S6_EEENSQ_IJSG_SG_EEES6_PlJS6_EEE10hipError_tPvRmT3_T4_T5_T6_T7_T9_mT8_P12ihipStream_tbDpT10_ENKUlT_T0_E_clISt17integral_constantIbLb1EES1D_EEDaS18_S19_EUlS18_E_NS1_11comp_targetILNS1_3genE3ELNS1_11target_archE908ELNS1_3gpuE7ELNS1_3repE0EEENS1_30default_config_static_selectorELNS0_4arch9wavefront6targetE0EEEvT1_
    .private_segment_fixed_size: 0
    .sgpr_count:     0
    .sgpr_spill_count: 0
    .symbol:         _ZN7rocprim17ROCPRIM_400000_NS6detail17trampoline_kernelINS0_14default_configENS1_25partition_config_selectorILNS1_17partition_subalgoE5EdNS0_10empty_typeEbEEZZNS1_14partition_implILS5_5ELb0ES3_mN6thrust23THRUST_200600_302600_NS6detail15normal_iteratorINSA_10device_ptrIdEEEEPS6_NSA_18transform_iteratorINSB_9not_fun_tI7is_trueIdEEENSC_INSD_IbEEEENSA_11use_defaultESO_EENS0_5tupleIJSF_S6_EEENSQ_IJSG_SG_EEES6_PlJS6_EEE10hipError_tPvRmT3_T4_T5_T6_T7_T9_mT8_P12ihipStream_tbDpT10_ENKUlT_T0_E_clISt17integral_constantIbLb1EES1D_EEDaS18_S19_EUlS18_E_NS1_11comp_targetILNS1_3genE3ELNS1_11target_archE908ELNS1_3gpuE7ELNS1_3repE0EEENS1_30default_config_static_selectorELNS0_4arch9wavefront6targetE0EEEvT1_.kd
    .uniform_work_group_size: 1
    .uses_dynamic_stack: false
    .vgpr_count:     0
    .vgpr_spill_count: 0
    .wavefront_size: 32
    .workgroup_processor_mode: 1
  - .args:
      - .offset:         0
        .size:           136
        .value_kind:     by_value
    .group_segment_fixed_size: 0
    .kernarg_segment_align: 8
    .kernarg_segment_size: 136
    .language:       OpenCL C
    .language_version:
      - 2
      - 0
    .max_flat_workgroup_size: 256
    .name:           _ZN7rocprim17ROCPRIM_400000_NS6detail17trampoline_kernelINS0_14default_configENS1_25partition_config_selectorILNS1_17partition_subalgoE5EdNS0_10empty_typeEbEEZZNS1_14partition_implILS5_5ELb0ES3_mN6thrust23THRUST_200600_302600_NS6detail15normal_iteratorINSA_10device_ptrIdEEEEPS6_NSA_18transform_iteratorINSB_9not_fun_tI7is_trueIdEEENSC_INSD_IbEEEENSA_11use_defaultESO_EENS0_5tupleIJSF_S6_EEENSQ_IJSG_SG_EEES6_PlJS6_EEE10hipError_tPvRmT3_T4_T5_T6_T7_T9_mT8_P12ihipStream_tbDpT10_ENKUlT_T0_E_clISt17integral_constantIbLb1EES1D_EEDaS18_S19_EUlS18_E_NS1_11comp_targetILNS1_3genE2ELNS1_11target_archE906ELNS1_3gpuE6ELNS1_3repE0EEENS1_30default_config_static_selectorELNS0_4arch9wavefront6targetE0EEEvT1_
    .private_segment_fixed_size: 0
    .sgpr_count:     0
    .sgpr_spill_count: 0
    .symbol:         _ZN7rocprim17ROCPRIM_400000_NS6detail17trampoline_kernelINS0_14default_configENS1_25partition_config_selectorILNS1_17partition_subalgoE5EdNS0_10empty_typeEbEEZZNS1_14partition_implILS5_5ELb0ES3_mN6thrust23THRUST_200600_302600_NS6detail15normal_iteratorINSA_10device_ptrIdEEEEPS6_NSA_18transform_iteratorINSB_9not_fun_tI7is_trueIdEEENSC_INSD_IbEEEENSA_11use_defaultESO_EENS0_5tupleIJSF_S6_EEENSQ_IJSG_SG_EEES6_PlJS6_EEE10hipError_tPvRmT3_T4_T5_T6_T7_T9_mT8_P12ihipStream_tbDpT10_ENKUlT_T0_E_clISt17integral_constantIbLb1EES1D_EEDaS18_S19_EUlS18_E_NS1_11comp_targetILNS1_3genE2ELNS1_11target_archE906ELNS1_3gpuE6ELNS1_3repE0EEENS1_30default_config_static_selectorELNS0_4arch9wavefront6targetE0EEEvT1_.kd
    .uniform_work_group_size: 1
    .uses_dynamic_stack: false
    .vgpr_count:     0
    .vgpr_spill_count: 0
    .wavefront_size: 32
    .workgroup_processor_mode: 1
  - .args:
      - .offset:         0
        .size:           136
        .value_kind:     by_value
    .group_segment_fixed_size: 0
    .kernarg_segment_align: 8
    .kernarg_segment_size: 136
    .language:       OpenCL C
    .language_version:
      - 2
      - 0
    .max_flat_workgroup_size: 256
    .name:           _ZN7rocprim17ROCPRIM_400000_NS6detail17trampoline_kernelINS0_14default_configENS1_25partition_config_selectorILNS1_17partition_subalgoE5EdNS0_10empty_typeEbEEZZNS1_14partition_implILS5_5ELb0ES3_mN6thrust23THRUST_200600_302600_NS6detail15normal_iteratorINSA_10device_ptrIdEEEEPS6_NSA_18transform_iteratorINSB_9not_fun_tI7is_trueIdEEENSC_INSD_IbEEEENSA_11use_defaultESO_EENS0_5tupleIJSF_S6_EEENSQ_IJSG_SG_EEES6_PlJS6_EEE10hipError_tPvRmT3_T4_T5_T6_T7_T9_mT8_P12ihipStream_tbDpT10_ENKUlT_T0_E_clISt17integral_constantIbLb1EES1D_EEDaS18_S19_EUlS18_E_NS1_11comp_targetILNS1_3genE10ELNS1_11target_archE1200ELNS1_3gpuE4ELNS1_3repE0EEENS1_30default_config_static_selectorELNS0_4arch9wavefront6targetE0EEEvT1_
    .private_segment_fixed_size: 0
    .sgpr_count:     0
    .sgpr_spill_count: 0
    .symbol:         _ZN7rocprim17ROCPRIM_400000_NS6detail17trampoline_kernelINS0_14default_configENS1_25partition_config_selectorILNS1_17partition_subalgoE5EdNS0_10empty_typeEbEEZZNS1_14partition_implILS5_5ELb0ES3_mN6thrust23THRUST_200600_302600_NS6detail15normal_iteratorINSA_10device_ptrIdEEEEPS6_NSA_18transform_iteratorINSB_9not_fun_tI7is_trueIdEEENSC_INSD_IbEEEENSA_11use_defaultESO_EENS0_5tupleIJSF_S6_EEENSQ_IJSG_SG_EEES6_PlJS6_EEE10hipError_tPvRmT3_T4_T5_T6_T7_T9_mT8_P12ihipStream_tbDpT10_ENKUlT_T0_E_clISt17integral_constantIbLb1EES1D_EEDaS18_S19_EUlS18_E_NS1_11comp_targetILNS1_3genE10ELNS1_11target_archE1200ELNS1_3gpuE4ELNS1_3repE0EEENS1_30default_config_static_selectorELNS0_4arch9wavefront6targetE0EEEvT1_.kd
    .uniform_work_group_size: 1
    .uses_dynamic_stack: false
    .vgpr_count:     0
    .vgpr_spill_count: 0
    .wavefront_size: 32
    .workgroup_processor_mode: 1
  - .args:
      - .offset:         0
        .size:           136
        .value_kind:     by_value
    .group_segment_fixed_size: 0
    .kernarg_segment_align: 8
    .kernarg_segment_size: 136
    .language:       OpenCL C
    .language_version:
      - 2
      - 0
    .max_flat_workgroup_size: 128
    .name:           _ZN7rocprim17ROCPRIM_400000_NS6detail17trampoline_kernelINS0_14default_configENS1_25partition_config_selectorILNS1_17partition_subalgoE5EdNS0_10empty_typeEbEEZZNS1_14partition_implILS5_5ELb0ES3_mN6thrust23THRUST_200600_302600_NS6detail15normal_iteratorINSA_10device_ptrIdEEEEPS6_NSA_18transform_iteratorINSB_9not_fun_tI7is_trueIdEEENSC_INSD_IbEEEENSA_11use_defaultESO_EENS0_5tupleIJSF_S6_EEENSQ_IJSG_SG_EEES6_PlJS6_EEE10hipError_tPvRmT3_T4_T5_T6_T7_T9_mT8_P12ihipStream_tbDpT10_ENKUlT_T0_E_clISt17integral_constantIbLb1EES1D_EEDaS18_S19_EUlS18_E_NS1_11comp_targetILNS1_3genE9ELNS1_11target_archE1100ELNS1_3gpuE3ELNS1_3repE0EEENS1_30default_config_static_selectorELNS0_4arch9wavefront6targetE0EEEvT1_
    .private_segment_fixed_size: 0
    .sgpr_count:     0
    .sgpr_spill_count: 0
    .symbol:         _ZN7rocprim17ROCPRIM_400000_NS6detail17trampoline_kernelINS0_14default_configENS1_25partition_config_selectorILNS1_17partition_subalgoE5EdNS0_10empty_typeEbEEZZNS1_14partition_implILS5_5ELb0ES3_mN6thrust23THRUST_200600_302600_NS6detail15normal_iteratorINSA_10device_ptrIdEEEEPS6_NSA_18transform_iteratorINSB_9not_fun_tI7is_trueIdEEENSC_INSD_IbEEEENSA_11use_defaultESO_EENS0_5tupleIJSF_S6_EEENSQ_IJSG_SG_EEES6_PlJS6_EEE10hipError_tPvRmT3_T4_T5_T6_T7_T9_mT8_P12ihipStream_tbDpT10_ENKUlT_T0_E_clISt17integral_constantIbLb1EES1D_EEDaS18_S19_EUlS18_E_NS1_11comp_targetILNS1_3genE9ELNS1_11target_archE1100ELNS1_3gpuE3ELNS1_3repE0EEENS1_30default_config_static_selectorELNS0_4arch9wavefront6targetE0EEEvT1_.kd
    .uniform_work_group_size: 1
    .uses_dynamic_stack: false
    .vgpr_count:     0
    .vgpr_spill_count: 0
    .wavefront_size: 32
    .workgroup_processor_mode: 1
  - .args:
      - .offset:         0
        .size:           136
        .value_kind:     by_value
    .group_segment_fixed_size: 0
    .kernarg_segment_align: 8
    .kernarg_segment_size: 136
    .language:       OpenCL C
    .language_version:
      - 2
      - 0
    .max_flat_workgroup_size: 512
    .name:           _ZN7rocprim17ROCPRIM_400000_NS6detail17trampoline_kernelINS0_14default_configENS1_25partition_config_selectorILNS1_17partition_subalgoE5EdNS0_10empty_typeEbEEZZNS1_14partition_implILS5_5ELb0ES3_mN6thrust23THRUST_200600_302600_NS6detail15normal_iteratorINSA_10device_ptrIdEEEEPS6_NSA_18transform_iteratorINSB_9not_fun_tI7is_trueIdEEENSC_INSD_IbEEEENSA_11use_defaultESO_EENS0_5tupleIJSF_S6_EEENSQ_IJSG_SG_EEES6_PlJS6_EEE10hipError_tPvRmT3_T4_T5_T6_T7_T9_mT8_P12ihipStream_tbDpT10_ENKUlT_T0_E_clISt17integral_constantIbLb1EES1D_EEDaS18_S19_EUlS18_E_NS1_11comp_targetILNS1_3genE8ELNS1_11target_archE1030ELNS1_3gpuE2ELNS1_3repE0EEENS1_30default_config_static_selectorELNS0_4arch9wavefront6targetE0EEEvT1_
    .private_segment_fixed_size: 0
    .sgpr_count:     0
    .sgpr_spill_count: 0
    .symbol:         _ZN7rocprim17ROCPRIM_400000_NS6detail17trampoline_kernelINS0_14default_configENS1_25partition_config_selectorILNS1_17partition_subalgoE5EdNS0_10empty_typeEbEEZZNS1_14partition_implILS5_5ELb0ES3_mN6thrust23THRUST_200600_302600_NS6detail15normal_iteratorINSA_10device_ptrIdEEEEPS6_NSA_18transform_iteratorINSB_9not_fun_tI7is_trueIdEEENSC_INSD_IbEEEENSA_11use_defaultESO_EENS0_5tupleIJSF_S6_EEENSQ_IJSG_SG_EEES6_PlJS6_EEE10hipError_tPvRmT3_T4_T5_T6_T7_T9_mT8_P12ihipStream_tbDpT10_ENKUlT_T0_E_clISt17integral_constantIbLb1EES1D_EEDaS18_S19_EUlS18_E_NS1_11comp_targetILNS1_3genE8ELNS1_11target_archE1030ELNS1_3gpuE2ELNS1_3repE0EEENS1_30default_config_static_selectorELNS0_4arch9wavefront6targetE0EEEvT1_.kd
    .uniform_work_group_size: 1
    .uses_dynamic_stack: false
    .vgpr_count:     0
    .vgpr_spill_count: 0
    .wavefront_size: 32
    .workgroup_processor_mode: 1
  - .args:
      - .offset:         0
        .size:           120
        .value_kind:     by_value
    .group_segment_fixed_size: 0
    .kernarg_segment_align: 8
    .kernarg_segment_size: 120
    .language:       OpenCL C
    .language_version:
      - 2
      - 0
    .max_flat_workgroup_size: 128
    .name:           _ZN7rocprim17ROCPRIM_400000_NS6detail17trampoline_kernelINS0_14default_configENS1_25partition_config_selectorILNS1_17partition_subalgoE5EdNS0_10empty_typeEbEEZZNS1_14partition_implILS5_5ELb0ES3_mN6thrust23THRUST_200600_302600_NS6detail15normal_iteratorINSA_10device_ptrIdEEEEPS6_NSA_18transform_iteratorINSB_9not_fun_tI7is_trueIdEEENSC_INSD_IbEEEENSA_11use_defaultESO_EENS0_5tupleIJSF_S6_EEENSQ_IJSG_SG_EEES6_PlJS6_EEE10hipError_tPvRmT3_T4_T5_T6_T7_T9_mT8_P12ihipStream_tbDpT10_ENKUlT_T0_E_clISt17integral_constantIbLb1EES1C_IbLb0EEEEDaS18_S19_EUlS18_E_NS1_11comp_targetILNS1_3genE0ELNS1_11target_archE4294967295ELNS1_3gpuE0ELNS1_3repE0EEENS1_30default_config_static_selectorELNS0_4arch9wavefront6targetE0EEEvT1_
    .private_segment_fixed_size: 0
    .sgpr_count:     0
    .sgpr_spill_count: 0
    .symbol:         _ZN7rocprim17ROCPRIM_400000_NS6detail17trampoline_kernelINS0_14default_configENS1_25partition_config_selectorILNS1_17partition_subalgoE5EdNS0_10empty_typeEbEEZZNS1_14partition_implILS5_5ELb0ES3_mN6thrust23THRUST_200600_302600_NS6detail15normal_iteratorINSA_10device_ptrIdEEEEPS6_NSA_18transform_iteratorINSB_9not_fun_tI7is_trueIdEEENSC_INSD_IbEEEENSA_11use_defaultESO_EENS0_5tupleIJSF_S6_EEENSQ_IJSG_SG_EEES6_PlJS6_EEE10hipError_tPvRmT3_T4_T5_T6_T7_T9_mT8_P12ihipStream_tbDpT10_ENKUlT_T0_E_clISt17integral_constantIbLb1EES1C_IbLb0EEEEDaS18_S19_EUlS18_E_NS1_11comp_targetILNS1_3genE0ELNS1_11target_archE4294967295ELNS1_3gpuE0ELNS1_3repE0EEENS1_30default_config_static_selectorELNS0_4arch9wavefront6targetE0EEEvT1_.kd
    .uniform_work_group_size: 1
    .uses_dynamic_stack: false
    .vgpr_count:     0
    .vgpr_spill_count: 0
    .wavefront_size: 32
    .workgroup_processor_mode: 1
  - .args:
      - .offset:         0
        .size:           120
        .value_kind:     by_value
    .group_segment_fixed_size: 0
    .kernarg_segment_align: 8
    .kernarg_segment_size: 120
    .language:       OpenCL C
    .language_version:
      - 2
      - 0
    .max_flat_workgroup_size: 512
    .name:           _ZN7rocprim17ROCPRIM_400000_NS6detail17trampoline_kernelINS0_14default_configENS1_25partition_config_selectorILNS1_17partition_subalgoE5EdNS0_10empty_typeEbEEZZNS1_14partition_implILS5_5ELb0ES3_mN6thrust23THRUST_200600_302600_NS6detail15normal_iteratorINSA_10device_ptrIdEEEEPS6_NSA_18transform_iteratorINSB_9not_fun_tI7is_trueIdEEENSC_INSD_IbEEEENSA_11use_defaultESO_EENS0_5tupleIJSF_S6_EEENSQ_IJSG_SG_EEES6_PlJS6_EEE10hipError_tPvRmT3_T4_T5_T6_T7_T9_mT8_P12ihipStream_tbDpT10_ENKUlT_T0_E_clISt17integral_constantIbLb1EES1C_IbLb0EEEEDaS18_S19_EUlS18_E_NS1_11comp_targetILNS1_3genE5ELNS1_11target_archE942ELNS1_3gpuE9ELNS1_3repE0EEENS1_30default_config_static_selectorELNS0_4arch9wavefront6targetE0EEEvT1_
    .private_segment_fixed_size: 0
    .sgpr_count:     0
    .sgpr_spill_count: 0
    .symbol:         _ZN7rocprim17ROCPRIM_400000_NS6detail17trampoline_kernelINS0_14default_configENS1_25partition_config_selectorILNS1_17partition_subalgoE5EdNS0_10empty_typeEbEEZZNS1_14partition_implILS5_5ELb0ES3_mN6thrust23THRUST_200600_302600_NS6detail15normal_iteratorINSA_10device_ptrIdEEEEPS6_NSA_18transform_iteratorINSB_9not_fun_tI7is_trueIdEEENSC_INSD_IbEEEENSA_11use_defaultESO_EENS0_5tupleIJSF_S6_EEENSQ_IJSG_SG_EEES6_PlJS6_EEE10hipError_tPvRmT3_T4_T5_T6_T7_T9_mT8_P12ihipStream_tbDpT10_ENKUlT_T0_E_clISt17integral_constantIbLb1EES1C_IbLb0EEEEDaS18_S19_EUlS18_E_NS1_11comp_targetILNS1_3genE5ELNS1_11target_archE942ELNS1_3gpuE9ELNS1_3repE0EEENS1_30default_config_static_selectorELNS0_4arch9wavefront6targetE0EEEvT1_.kd
    .uniform_work_group_size: 1
    .uses_dynamic_stack: false
    .vgpr_count:     0
    .vgpr_spill_count: 0
    .wavefront_size: 32
    .workgroup_processor_mode: 1
  - .args:
      - .offset:         0
        .size:           120
        .value_kind:     by_value
    .group_segment_fixed_size: 0
    .kernarg_segment_align: 8
    .kernarg_segment_size: 120
    .language:       OpenCL C
    .language_version:
      - 2
      - 0
    .max_flat_workgroup_size: 192
    .name:           _ZN7rocprim17ROCPRIM_400000_NS6detail17trampoline_kernelINS0_14default_configENS1_25partition_config_selectorILNS1_17partition_subalgoE5EdNS0_10empty_typeEbEEZZNS1_14partition_implILS5_5ELb0ES3_mN6thrust23THRUST_200600_302600_NS6detail15normal_iteratorINSA_10device_ptrIdEEEEPS6_NSA_18transform_iteratorINSB_9not_fun_tI7is_trueIdEEENSC_INSD_IbEEEENSA_11use_defaultESO_EENS0_5tupleIJSF_S6_EEENSQ_IJSG_SG_EEES6_PlJS6_EEE10hipError_tPvRmT3_T4_T5_T6_T7_T9_mT8_P12ihipStream_tbDpT10_ENKUlT_T0_E_clISt17integral_constantIbLb1EES1C_IbLb0EEEEDaS18_S19_EUlS18_E_NS1_11comp_targetILNS1_3genE4ELNS1_11target_archE910ELNS1_3gpuE8ELNS1_3repE0EEENS1_30default_config_static_selectorELNS0_4arch9wavefront6targetE0EEEvT1_
    .private_segment_fixed_size: 0
    .sgpr_count:     0
    .sgpr_spill_count: 0
    .symbol:         _ZN7rocprim17ROCPRIM_400000_NS6detail17trampoline_kernelINS0_14default_configENS1_25partition_config_selectorILNS1_17partition_subalgoE5EdNS0_10empty_typeEbEEZZNS1_14partition_implILS5_5ELb0ES3_mN6thrust23THRUST_200600_302600_NS6detail15normal_iteratorINSA_10device_ptrIdEEEEPS6_NSA_18transform_iteratorINSB_9not_fun_tI7is_trueIdEEENSC_INSD_IbEEEENSA_11use_defaultESO_EENS0_5tupleIJSF_S6_EEENSQ_IJSG_SG_EEES6_PlJS6_EEE10hipError_tPvRmT3_T4_T5_T6_T7_T9_mT8_P12ihipStream_tbDpT10_ENKUlT_T0_E_clISt17integral_constantIbLb1EES1C_IbLb0EEEEDaS18_S19_EUlS18_E_NS1_11comp_targetILNS1_3genE4ELNS1_11target_archE910ELNS1_3gpuE8ELNS1_3repE0EEENS1_30default_config_static_selectorELNS0_4arch9wavefront6targetE0EEEvT1_.kd
    .uniform_work_group_size: 1
    .uses_dynamic_stack: false
    .vgpr_count:     0
    .vgpr_spill_count: 0
    .wavefront_size: 32
    .workgroup_processor_mode: 1
  - .args:
      - .offset:         0
        .size:           120
        .value_kind:     by_value
    .group_segment_fixed_size: 0
    .kernarg_segment_align: 8
    .kernarg_segment_size: 120
    .language:       OpenCL C
    .language_version:
      - 2
      - 0
    .max_flat_workgroup_size: 128
    .name:           _ZN7rocprim17ROCPRIM_400000_NS6detail17trampoline_kernelINS0_14default_configENS1_25partition_config_selectorILNS1_17partition_subalgoE5EdNS0_10empty_typeEbEEZZNS1_14partition_implILS5_5ELb0ES3_mN6thrust23THRUST_200600_302600_NS6detail15normal_iteratorINSA_10device_ptrIdEEEEPS6_NSA_18transform_iteratorINSB_9not_fun_tI7is_trueIdEEENSC_INSD_IbEEEENSA_11use_defaultESO_EENS0_5tupleIJSF_S6_EEENSQ_IJSG_SG_EEES6_PlJS6_EEE10hipError_tPvRmT3_T4_T5_T6_T7_T9_mT8_P12ihipStream_tbDpT10_ENKUlT_T0_E_clISt17integral_constantIbLb1EES1C_IbLb0EEEEDaS18_S19_EUlS18_E_NS1_11comp_targetILNS1_3genE3ELNS1_11target_archE908ELNS1_3gpuE7ELNS1_3repE0EEENS1_30default_config_static_selectorELNS0_4arch9wavefront6targetE0EEEvT1_
    .private_segment_fixed_size: 0
    .sgpr_count:     0
    .sgpr_spill_count: 0
    .symbol:         _ZN7rocprim17ROCPRIM_400000_NS6detail17trampoline_kernelINS0_14default_configENS1_25partition_config_selectorILNS1_17partition_subalgoE5EdNS0_10empty_typeEbEEZZNS1_14partition_implILS5_5ELb0ES3_mN6thrust23THRUST_200600_302600_NS6detail15normal_iteratorINSA_10device_ptrIdEEEEPS6_NSA_18transform_iteratorINSB_9not_fun_tI7is_trueIdEEENSC_INSD_IbEEEENSA_11use_defaultESO_EENS0_5tupleIJSF_S6_EEENSQ_IJSG_SG_EEES6_PlJS6_EEE10hipError_tPvRmT3_T4_T5_T6_T7_T9_mT8_P12ihipStream_tbDpT10_ENKUlT_T0_E_clISt17integral_constantIbLb1EES1C_IbLb0EEEEDaS18_S19_EUlS18_E_NS1_11comp_targetILNS1_3genE3ELNS1_11target_archE908ELNS1_3gpuE7ELNS1_3repE0EEENS1_30default_config_static_selectorELNS0_4arch9wavefront6targetE0EEEvT1_.kd
    .uniform_work_group_size: 1
    .uses_dynamic_stack: false
    .vgpr_count:     0
    .vgpr_spill_count: 0
    .wavefront_size: 32
    .workgroup_processor_mode: 1
  - .args:
      - .offset:         0
        .size:           120
        .value_kind:     by_value
    .group_segment_fixed_size: 0
    .kernarg_segment_align: 8
    .kernarg_segment_size: 120
    .language:       OpenCL C
    .language_version:
      - 2
      - 0
    .max_flat_workgroup_size: 256
    .name:           _ZN7rocprim17ROCPRIM_400000_NS6detail17trampoline_kernelINS0_14default_configENS1_25partition_config_selectorILNS1_17partition_subalgoE5EdNS0_10empty_typeEbEEZZNS1_14partition_implILS5_5ELb0ES3_mN6thrust23THRUST_200600_302600_NS6detail15normal_iteratorINSA_10device_ptrIdEEEEPS6_NSA_18transform_iteratorINSB_9not_fun_tI7is_trueIdEEENSC_INSD_IbEEEENSA_11use_defaultESO_EENS0_5tupleIJSF_S6_EEENSQ_IJSG_SG_EEES6_PlJS6_EEE10hipError_tPvRmT3_T4_T5_T6_T7_T9_mT8_P12ihipStream_tbDpT10_ENKUlT_T0_E_clISt17integral_constantIbLb1EES1C_IbLb0EEEEDaS18_S19_EUlS18_E_NS1_11comp_targetILNS1_3genE2ELNS1_11target_archE906ELNS1_3gpuE6ELNS1_3repE0EEENS1_30default_config_static_selectorELNS0_4arch9wavefront6targetE0EEEvT1_
    .private_segment_fixed_size: 0
    .sgpr_count:     0
    .sgpr_spill_count: 0
    .symbol:         _ZN7rocprim17ROCPRIM_400000_NS6detail17trampoline_kernelINS0_14default_configENS1_25partition_config_selectorILNS1_17partition_subalgoE5EdNS0_10empty_typeEbEEZZNS1_14partition_implILS5_5ELb0ES3_mN6thrust23THRUST_200600_302600_NS6detail15normal_iteratorINSA_10device_ptrIdEEEEPS6_NSA_18transform_iteratorINSB_9not_fun_tI7is_trueIdEEENSC_INSD_IbEEEENSA_11use_defaultESO_EENS0_5tupleIJSF_S6_EEENSQ_IJSG_SG_EEES6_PlJS6_EEE10hipError_tPvRmT3_T4_T5_T6_T7_T9_mT8_P12ihipStream_tbDpT10_ENKUlT_T0_E_clISt17integral_constantIbLb1EES1C_IbLb0EEEEDaS18_S19_EUlS18_E_NS1_11comp_targetILNS1_3genE2ELNS1_11target_archE906ELNS1_3gpuE6ELNS1_3repE0EEENS1_30default_config_static_selectorELNS0_4arch9wavefront6targetE0EEEvT1_.kd
    .uniform_work_group_size: 1
    .uses_dynamic_stack: false
    .vgpr_count:     0
    .vgpr_spill_count: 0
    .wavefront_size: 32
    .workgroup_processor_mode: 1
  - .args:
      - .offset:         0
        .size:           120
        .value_kind:     by_value
    .group_segment_fixed_size: 0
    .kernarg_segment_align: 8
    .kernarg_segment_size: 120
    .language:       OpenCL C
    .language_version:
      - 2
      - 0
    .max_flat_workgroup_size: 256
    .name:           _ZN7rocprim17ROCPRIM_400000_NS6detail17trampoline_kernelINS0_14default_configENS1_25partition_config_selectorILNS1_17partition_subalgoE5EdNS0_10empty_typeEbEEZZNS1_14partition_implILS5_5ELb0ES3_mN6thrust23THRUST_200600_302600_NS6detail15normal_iteratorINSA_10device_ptrIdEEEEPS6_NSA_18transform_iteratorINSB_9not_fun_tI7is_trueIdEEENSC_INSD_IbEEEENSA_11use_defaultESO_EENS0_5tupleIJSF_S6_EEENSQ_IJSG_SG_EEES6_PlJS6_EEE10hipError_tPvRmT3_T4_T5_T6_T7_T9_mT8_P12ihipStream_tbDpT10_ENKUlT_T0_E_clISt17integral_constantIbLb1EES1C_IbLb0EEEEDaS18_S19_EUlS18_E_NS1_11comp_targetILNS1_3genE10ELNS1_11target_archE1200ELNS1_3gpuE4ELNS1_3repE0EEENS1_30default_config_static_selectorELNS0_4arch9wavefront6targetE0EEEvT1_
    .private_segment_fixed_size: 0
    .sgpr_count:     0
    .sgpr_spill_count: 0
    .symbol:         _ZN7rocprim17ROCPRIM_400000_NS6detail17trampoline_kernelINS0_14default_configENS1_25partition_config_selectorILNS1_17partition_subalgoE5EdNS0_10empty_typeEbEEZZNS1_14partition_implILS5_5ELb0ES3_mN6thrust23THRUST_200600_302600_NS6detail15normal_iteratorINSA_10device_ptrIdEEEEPS6_NSA_18transform_iteratorINSB_9not_fun_tI7is_trueIdEEENSC_INSD_IbEEEENSA_11use_defaultESO_EENS0_5tupleIJSF_S6_EEENSQ_IJSG_SG_EEES6_PlJS6_EEE10hipError_tPvRmT3_T4_T5_T6_T7_T9_mT8_P12ihipStream_tbDpT10_ENKUlT_T0_E_clISt17integral_constantIbLb1EES1C_IbLb0EEEEDaS18_S19_EUlS18_E_NS1_11comp_targetILNS1_3genE10ELNS1_11target_archE1200ELNS1_3gpuE4ELNS1_3repE0EEENS1_30default_config_static_selectorELNS0_4arch9wavefront6targetE0EEEvT1_.kd
    .uniform_work_group_size: 1
    .uses_dynamic_stack: false
    .vgpr_count:     0
    .vgpr_spill_count: 0
    .wavefront_size: 32
    .workgroup_processor_mode: 1
  - .args:
      - .offset:         0
        .size:           120
        .value_kind:     by_value
    .group_segment_fixed_size: 0
    .kernarg_segment_align: 8
    .kernarg_segment_size: 120
    .language:       OpenCL C
    .language_version:
      - 2
      - 0
    .max_flat_workgroup_size: 128
    .name:           _ZN7rocprim17ROCPRIM_400000_NS6detail17trampoline_kernelINS0_14default_configENS1_25partition_config_selectorILNS1_17partition_subalgoE5EdNS0_10empty_typeEbEEZZNS1_14partition_implILS5_5ELb0ES3_mN6thrust23THRUST_200600_302600_NS6detail15normal_iteratorINSA_10device_ptrIdEEEEPS6_NSA_18transform_iteratorINSB_9not_fun_tI7is_trueIdEEENSC_INSD_IbEEEENSA_11use_defaultESO_EENS0_5tupleIJSF_S6_EEENSQ_IJSG_SG_EEES6_PlJS6_EEE10hipError_tPvRmT3_T4_T5_T6_T7_T9_mT8_P12ihipStream_tbDpT10_ENKUlT_T0_E_clISt17integral_constantIbLb1EES1C_IbLb0EEEEDaS18_S19_EUlS18_E_NS1_11comp_targetILNS1_3genE9ELNS1_11target_archE1100ELNS1_3gpuE3ELNS1_3repE0EEENS1_30default_config_static_selectorELNS0_4arch9wavefront6targetE0EEEvT1_
    .private_segment_fixed_size: 0
    .sgpr_count:     0
    .sgpr_spill_count: 0
    .symbol:         _ZN7rocprim17ROCPRIM_400000_NS6detail17trampoline_kernelINS0_14default_configENS1_25partition_config_selectorILNS1_17partition_subalgoE5EdNS0_10empty_typeEbEEZZNS1_14partition_implILS5_5ELb0ES3_mN6thrust23THRUST_200600_302600_NS6detail15normal_iteratorINSA_10device_ptrIdEEEEPS6_NSA_18transform_iteratorINSB_9not_fun_tI7is_trueIdEEENSC_INSD_IbEEEENSA_11use_defaultESO_EENS0_5tupleIJSF_S6_EEENSQ_IJSG_SG_EEES6_PlJS6_EEE10hipError_tPvRmT3_T4_T5_T6_T7_T9_mT8_P12ihipStream_tbDpT10_ENKUlT_T0_E_clISt17integral_constantIbLb1EES1C_IbLb0EEEEDaS18_S19_EUlS18_E_NS1_11comp_targetILNS1_3genE9ELNS1_11target_archE1100ELNS1_3gpuE3ELNS1_3repE0EEENS1_30default_config_static_selectorELNS0_4arch9wavefront6targetE0EEEvT1_.kd
    .uniform_work_group_size: 1
    .uses_dynamic_stack: false
    .vgpr_count:     0
    .vgpr_spill_count: 0
    .wavefront_size: 32
    .workgroup_processor_mode: 1
  - .args:
      - .offset:         0
        .size:           120
        .value_kind:     by_value
    .group_segment_fixed_size: 0
    .kernarg_segment_align: 8
    .kernarg_segment_size: 120
    .language:       OpenCL C
    .language_version:
      - 2
      - 0
    .max_flat_workgroup_size: 512
    .name:           _ZN7rocprim17ROCPRIM_400000_NS6detail17trampoline_kernelINS0_14default_configENS1_25partition_config_selectorILNS1_17partition_subalgoE5EdNS0_10empty_typeEbEEZZNS1_14partition_implILS5_5ELb0ES3_mN6thrust23THRUST_200600_302600_NS6detail15normal_iteratorINSA_10device_ptrIdEEEEPS6_NSA_18transform_iteratorINSB_9not_fun_tI7is_trueIdEEENSC_INSD_IbEEEENSA_11use_defaultESO_EENS0_5tupleIJSF_S6_EEENSQ_IJSG_SG_EEES6_PlJS6_EEE10hipError_tPvRmT3_T4_T5_T6_T7_T9_mT8_P12ihipStream_tbDpT10_ENKUlT_T0_E_clISt17integral_constantIbLb1EES1C_IbLb0EEEEDaS18_S19_EUlS18_E_NS1_11comp_targetILNS1_3genE8ELNS1_11target_archE1030ELNS1_3gpuE2ELNS1_3repE0EEENS1_30default_config_static_selectorELNS0_4arch9wavefront6targetE0EEEvT1_
    .private_segment_fixed_size: 0
    .sgpr_count:     0
    .sgpr_spill_count: 0
    .symbol:         _ZN7rocprim17ROCPRIM_400000_NS6detail17trampoline_kernelINS0_14default_configENS1_25partition_config_selectorILNS1_17partition_subalgoE5EdNS0_10empty_typeEbEEZZNS1_14partition_implILS5_5ELb0ES3_mN6thrust23THRUST_200600_302600_NS6detail15normal_iteratorINSA_10device_ptrIdEEEEPS6_NSA_18transform_iteratorINSB_9not_fun_tI7is_trueIdEEENSC_INSD_IbEEEENSA_11use_defaultESO_EENS0_5tupleIJSF_S6_EEENSQ_IJSG_SG_EEES6_PlJS6_EEE10hipError_tPvRmT3_T4_T5_T6_T7_T9_mT8_P12ihipStream_tbDpT10_ENKUlT_T0_E_clISt17integral_constantIbLb1EES1C_IbLb0EEEEDaS18_S19_EUlS18_E_NS1_11comp_targetILNS1_3genE8ELNS1_11target_archE1030ELNS1_3gpuE2ELNS1_3repE0EEENS1_30default_config_static_selectorELNS0_4arch9wavefront6targetE0EEEvT1_.kd
    .uniform_work_group_size: 1
    .uses_dynamic_stack: false
    .vgpr_count:     0
    .vgpr_spill_count: 0
    .wavefront_size: 32
    .workgroup_processor_mode: 1
  - .args:
      - .offset:         0
        .size:           136
        .value_kind:     by_value
    .group_segment_fixed_size: 0
    .kernarg_segment_align: 8
    .kernarg_segment_size: 136
    .language:       OpenCL C
    .language_version:
      - 2
      - 0
    .max_flat_workgroup_size: 128
    .name:           _ZN7rocprim17ROCPRIM_400000_NS6detail17trampoline_kernelINS0_14default_configENS1_25partition_config_selectorILNS1_17partition_subalgoE5EdNS0_10empty_typeEbEEZZNS1_14partition_implILS5_5ELb0ES3_mN6thrust23THRUST_200600_302600_NS6detail15normal_iteratorINSA_10device_ptrIdEEEEPS6_NSA_18transform_iteratorINSB_9not_fun_tI7is_trueIdEEENSC_INSD_IbEEEENSA_11use_defaultESO_EENS0_5tupleIJSF_S6_EEENSQ_IJSG_SG_EEES6_PlJS6_EEE10hipError_tPvRmT3_T4_T5_T6_T7_T9_mT8_P12ihipStream_tbDpT10_ENKUlT_T0_E_clISt17integral_constantIbLb0EES1C_IbLb1EEEEDaS18_S19_EUlS18_E_NS1_11comp_targetILNS1_3genE0ELNS1_11target_archE4294967295ELNS1_3gpuE0ELNS1_3repE0EEENS1_30default_config_static_selectorELNS0_4arch9wavefront6targetE0EEEvT1_
    .private_segment_fixed_size: 0
    .sgpr_count:     0
    .sgpr_spill_count: 0
    .symbol:         _ZN7rocprim17ROCPRIM_400000_NS6detail17trampoline_kernelINS0_14default_configENS1_25partition_config_selectorILNS1_17partition_subalgoE5EdNS0_10empty_typeEbEEZZNS1_14partition_implILS5_5ELb0ES3_mN6thrust23THRUST_200600_302600_NS6detail15normal_iteratorINSA_10device_ptrIdEEEEPS6_NSA_18transform_iteratorINSB_9not_fun_tI7is_trueIdEEENSC_INSD_IbEEEENSA_11use_defaultESO_EENS0_5tupleIJSF_S6_EEENSQ_IJSG_SG_EEES6_PlJS6_EEE10hipError_tPvRmT3_T4_T5_T6_T7_T9_mT8_P12ihipStream_tbDpT10_ENKUlT_T0_E_clISt17integral_constantIbLb0EES1C_IbLb1EEEEDaS18_S19_EUlS18_E_NS1_11comp_targetILNS1_3genE0ELNS1_11target_archE4294967295ELNS1_3gpuE0ELNS1_3repE0EEENS1_30default_config_static_selectorELNS0_4arch9wavefront6targetE0EEEvT1_.kd
    .uniform_work_group_size: 1
    .uses_dynamic_stack: false
    .vgpr_count:     0
    .vgpr_spill_count: 0
    .wavefront_size: 32
    .workgroup_processor_mode: 1
  - .args:
      - .offset:         0
        .size:           136
        .value_kind:     by_value
    .group_segment_fixed_size: 0
    .kernarg_segment_align: 8
    .kernarg_segment_size: 136
    .language:       OpenCL C
    .language_version:
      - 2
      - 0
    .max_flat_workgroup_size: 512
    .name:           _ZN7rocprim17ROCPRIM_400000_NS6detail17trampoline_kernelINS0_14default_configENS1_25partition_config_selectorILNS1_17partition_subalgoE5EdNS0_10empty_typeEbEEZZNS1_14partition_implILS5_5ELb0ES3_mN6thrust23THRUST_200600_302600_NS6detail15normal_iteratorINSA_10device_ptrIdEEEEPS6_NSA_18transform_iteratorINSB_9not_fun_tI7is_trueIdEEENSC_INSD_IbEEEENSA_11use_defaultESO_EENS0_5tupleIJSF_S6_EEENSQ_IJSG_SG_EEES6_PlJS6_EEE10hipError_tPvRmT3_T4_T5_T6_T7_T9_mT8_P12ihipStream_tbDpT10_ENKUlT_T0_E_clISt17integral_constantIbLb0EES1C_IbLb1EEEEDaS18_S19_EUlS18_E_NS1_11comp_targetILNS1_3genE5ELNS1_11target_archE942ELNS1_3gpuE9ELNS1_3repE0EEENS1_30default_config_static_selectorELNS0_4arch9wavefront6targetE0EEEvT1_
    .private_segment_fixed_size: 0
    .sgpr_count:     0
    .sgpr_spill_count: 0
    .symbol:         _ZN7rocprim17ROCPRIM_400000_NS6detail17trampoline_kernelINS0_14default_configENS1_25partition_config_selectorILNS1_17partition_subalgoE5EdNS0_10empty_typeEbEEZZNS1_14partition_implILS5_5ELb0ES3_mN6thrust23THRUST_200600_302600_NS6detail15normal_iteratorINSA_10device_ptrIdEEEEPS6_NSA_18transform_iteratorINSB_9not_fun_tI7is_trueIdEEENSC_INSD_IbEEEENSA_11use_defaultESO_EENS0_5tupleIJSF_S6_EEENSQ_IJSG_SG_EEES6_PlJS6_EEE10hipError_tPvRmT3_T4_T5_T6_T7_T9_mT8_P12ihipStream_tbDpT10_ENKUlT_T0_E_clISt17integral_constantIbLb0EES1C_IbLb1EEEEDaS18_S19_EUlS18_E_NS1_11comp_targetILNS1_3genE5ELNS1_11target_archE942ELNS1_3gpuE9ELNS1_3repE0EEENS1_30default_config_static_selectorELNS0_4arch9wavefront6targetE0EEEvT1_.kd
    .uniform_work_group_size: 1
    .uses_dynamic_stack: false
    .vgpr_count:     0
    .vgpr_spill_count: 0
    .wavefront_size: 32
    .workgroup_processor_mode: 1
  - .args:
      - .offset:         0
        .size:           136
        .value_kind:     by_value
    .group_segment_fixed_size: 0
    .kernarg_segment_align: 8
    .kernarg_segment_size: 136
    .language:       OpenCL C
    .language_version:
      - 2
      - 0
    .max_flat_workgroup_size: 192
    .name:           _ZN7rocprim17ROCPRIM_400000_NS6detail17trampoline_kernelINS0_14default_configENS1_25partition_config_selectorILNS1_17partition_subalgoE5EdNS0_10empty_typeEbEEZZNS1_14partition_implILS5_5ELb0ES3_mN6thrust23THRUST_200600_302600_NS6detail15normal_iteratorINSA_10device_ptrIdEEEEPS6_NSA_18transform_iteratorINSB_9not_fun_tI7is_trueIdEEENSC_INSD_IbEEEENSA_11use_defaultESO_EENS0_5tupleIJSF_S6_EEENSQ_IJSG_SG_EEES6_PlJS6_EEE10hipError_tPvRmT3_T4_T5_T6_T7_T9_mT8_P12ihipStream_tbDpT10_ENKUlT_T0_E_clISt17integral_constantIbLb0EES1C_IbLb1EEEEDaS18_S19_EUlS18_E_NS1_11comp_targetILNS1_3genE4ELNS1_11target_archE910ELNS1_3gpuE8ELNS1_3repE0EEENS1_30default_config_static_selectorELNS0_4arch9wavefront6targetE0EEEvT1_
    .private_segment_fixed_size: 0
    .sgpr_count:     0
    .sgpr_spill_count: 0
    .symbol:         _ZN7rocprim17ROCPRIM_400000_NS6detail17trampoline_kernelINS0_14default_configENS1_25partition_config_selectorILNS1_17partition_subalgoE5EdNS0_10empty_typeEbEEZZNS1_14partition_implILS5_5ELb0ES3_mN6thrust23THRUST_200600_302600_NS6detail15normal_iteratorINSA_10device_ptrIdEEEEPS6_NSA_18transform_iteratorINSB_9not_fun_tI7is_trueIdEEENSC_INSD_IbEEEENSA_11use_defaultESO_EENS0_5tupleIJSF_S6_EEENSQ_IJSG_SG_EEES6_PlJS6_EEE10hipError_tPvRmT3_T4_T5_T6_T7_T9_mT8_P12ihipStream_tbDpT10_ENKUlT_T0_E_clISt17integral_constantIbLb0EES1C_IbLb1EEEEDaS18_S19_EUlS18_E_NS1_11comp_targetILNS1_3genE4ELNS1_11target_archE910ELNS1_3gpuE8ELNS1_3repE0EEENS1_30default_config_static_selectorELNS0_4arch9wavefront6targetE0EEEvT1_.kd
    .uniform_work_group_size: 1
    .uses_dynamic_stack: false
    .vgpr_count:     0
    .vgpr_spill_count: 0
    .wavefront_size: 32
    .workgroup_processor_mode: 1
  - .args:
      - .offset:         0
        .size:           136
        .value_kind:     by_value
    .group_segment_fixed_size: 0
    .kernarg_segment_align: 8
    .kernarg_segment_size: 136
    .language:       OpenCL C
    .language_version:
      - 2
      - 0
    .max_flat_workgroup_size: 128
    .name:           _ZN7rocprim17ROCPRIM_400000_NS6detail17trampoline_kernelINS0_14default_configENS1_25partition_config_selectorILNS1_17partition_subalgoE5EdNS0_10empty_typeEbEEZZNS1_14partition_implILS5_5ELb0ES3_mN6thrust23THRUST_200600_302600_NS6detail15normal_iteratorINSA_10device_ptrIdEEEEPS6_NSA_18transform_iteratorINSB_9not_fun_tI7is_trueIdEEENSC_INSD_IbEEEENSA_11use_defaultESO_EENS0_5tupleIJSF_S6_EEENSQ_IJSG_SG_EEES6_PlJS6_EEE10hipError_tPvRmT3_T4_T5_T6_T7_T9_mT8_P12ihipStream_tbDpT10_ENKUlT_T0_E_clISt17integral_constantIbLb0EES1C_IbLb1EEEEDaS18_S19_EUlS18_E_NS1_11comp_targetILNS1_3genE3ELNS1_11target_archE908ELNS1_3gpuE7ELNS1_3repE0EEENS1_30default_config_static_selectorELNS0_4arch9wavefront6targetE0EEEvT1_
    .private_segment_fixed_size: 0
    .sgpr_count:     0
    .sgpr_spill_count: 0
    .symbol:         _ZN7rocprim17ROCPRIM_400000_NS6detail17trampoline_kernelINS0_14default_configENS1_25partition_config_selectorILNS1_17partition_subalgoE5EdNS0_10empty_typeEbEEZZNS1_14partition_implILS5_5ELb0ES3_mN6thrust23THRUST_200600_302600_NS6detail15normal_iteratorINSA_10device_ptrIdEEEEPS6_NSA_18transform_iteratorINSB_9not_fun_tI7is_trueIdEEENSC_INSD_IbEEEENSA_11use_defaultESO_EENS0_5tupleIJSF_S6_EEENSQ_IJSG_SG_EEES6_PlJS6_EEE10hipError_tPvRmT3_T4_T5_T6_T7_T9_mT8_P12ihipStream_tbDpT10_ENKUlT_T0_E_clISt17integral_constantIbLb0EES1C_IbLb1EEEEDaS18_S19_EUlS18_E_NS1_11comp_targetILNS1_3genE3ELNS1_11target_archE908ELNS1_3gpuE7ELNS1_3repE0EEENS1_30default_config_static_selectorELNS0_4arch9wavefront6targetE0EEEvT1_.kd
    .uniform_work_group_size: 1
    .uses_dynamic_stack: false
    .vgpr_count:     0
    .vgpr_spill_count: 0
    .wavefront_size: 32
    .workgroup_processor_mode: 1
  - .args:
      - .offset:         0
        .size:           136
        .value_kind:     by_value
    .group_segment_fixed_size: 0
    .kernarg_segment_align: 8
    .kernarg_segment_size: 136
    .language:       OpenCL C
    .language_version:
      - 2
      - 0
    .max_flat_workgroup_size: 256
    .name:           _ZN7rocprim17ROCPRIM_400000_NS6detail17trampoline_kernelINS0_14default_configENS1_25partition_config_selectorILNS1_17partition_subalgoE5EdNS0_10empty_typeEbEEZZNS1_14partition_implILS5_5ELb0ES3_mN6thrust23THRUST_200600_302600_NS6detail15normal_iteratorINSA_10device_ptrIdEEEEPS6_NSA_18transform_iteratorINSB_9not_fun_tI7is_trueIdEEENSC_INSD_IbEEEENSA_11use_defaultESO_EENS0_5tupleIJSF_S6_EEENSQ_IJSG_SG_EEES6_PlJS6_EEE10hipError_tPvRmT3_T4_T5_T6_T7_T9_mT8_P12ihipStream_tbDpT10_ENKUlT_T0_E_clISt17integral_constantIbLb0EES1C_IbLb1EEEEDaS18_S19_EUlS18_E_NS1_11comp_targetILNS1_3genE2ELNS1_11target_archE906ELNS1_3gpuE6ELNS1_3repE0EEENS1_30default_config_static_selectorELNS0_4arch9wavefront6targetE0EEEvT1_
    .private_segment_fixed_size: 0
    .sgpr_count:     0
    .sgpr_spill_count: 0
    .symbol:         _ZN7rocprim17ROCPRIM_400000_NS6detail17trampoline_kernelINS0_14default_configENS1_25partition_config_selectorILNS1_17partition_subalgoE5EdNS0_10empty_typeEbEEZZNS1_14partition_implILS5_5ELb0ES3_mN6thrust23THRUST_200600_302600_NS6detail15normal_iteratorINSA_10device_ptrIdEEEEPS6_NSA_18transform_iteratorINSB_9not_fun_tI7is_trueIdEEENSC_INSD_IbEEEENSA_11use_defaultESO_EENS0_5tupleIJSF_S6_EEENSQ_IJSG_SG_EEES6_PlJS6_EEE10hipError_tPvRmT3_T4_T5_T6_T7_T9_mT8_P12ihipStream_tbDpT10_ENKUlT_T0_E_clISt17integral_constantIbLb0EES1C_IbLb1EEEEDaS18_S19_EUlS18_E_NS1_11comp_targetILNS1_3genE2ELNS1_11target_archE906ELNS1_3gpuE6ELNS1_3repE0EEENS1_30default_config_static_selectorELNS0_4arch9wavefront6targetE0EEEvT1_.kd
    .uniform_work_group_size: 1
    .uses_dynamic_stack: false
    .vgpr_count:     0
    .vgpr_spill_count: 0
    .wavefront_size: 32
    .workgroup_processor_mode: 1
  - .args:
      - .offset:         0
        .size:           136
        .value_kind:     by_value
    .group_segment_fixed_size: 10256
    .kernarg_segment_align: 8
    .kernarg_segment_size: 136
    .language:       OpenCL C
    .language_version:
      - 2
      - 0
    .max_flat_workgroup_size: 256
    .name:           _ZN7rocprim17ROCPRIM_400000_NS6detail17trampoline_kernelINS0_14default_configENS1_25partition_config_selectorILNS1_17partition_subalgoE5EdNS0_10empty_typeEbEEZZNS1_14partition_implILS5_5ELb0ES3_mN6thrust23THRUST_200600_302600_NS6detail15normal_iteratorINSA_10device_ptrIdEEEEPS6_NSA_18transform_iteratorINSB_9not_fun_tI7is_trueIdEEENSC_INSD_IbEEEENSA_11use_defaultESO_EENS0_5tupleIJSF_S6_EEENSQ_IJSG_SG_EEES6_PlJS6_EEE10hipError_tPvRmT3_T4_T5_T6_T7_T9_mT8_P12ihipStream_tbDpT10_ENKUlT_T0_E_clISt17integral_constantIbLb0EES1C_IbLb1EEEEDaS18_S19_EUlS18_E_NS1_11comp_targetILNS1_3genE10ELNS1_11target_archE1200ELNS1_3gpuE4ELNS1_3repE0EEENS1_30default_config_static_selectorELNS0_4arch9wavefront6targetE0EEEvT1_
    .private_segment_fixed_size: 0
    .sgpr_count:     26
    .sgpr_spill_count: 0
    .symbol:         _ZN7rocprim17ROCPRIM_400000_NS6detail17trampoline_kernelINS0_14default_configENS1_25partition_config_selectorILNS1_17partition_subalgoE5EdNS0_10empty_typeEbEEZZNS1_14partition_implILS5_5ELb0ES3_mN6thrust23THRUST_200600_302600_NS6detail15normal_iteratorINSA_10device_ptrIdEEEEPS6_NSA_18transform_iteratorINSB_9not_fun_tI7is_trueIdEEENSC_INSD_IbEEEENSA_11use_defaultESO_EENS0_5tupleIJSF_S6_EEENSQ_IJSG_SG_EEES6_PlJS6_EEE10hipError_tPvRmT3_T4_T5_T6_T7_T9_mT8_P12ihipStream_tbDpT10_ENKUlT_T0_E_clISt17integral_constantIbLb0EES1C_IbLb1EEEEDaS18_S19_EUlS18_E_NS1_11comp_targetILNS1_3genE10ELNS1_11target_archE1200ELNS1_3gpuE4ELNS1_3repE0EEENS1_30default_config_static_selectorELNS0_4arch9wavefront6targetE0EEEvT1_.kd
    .uniform_work_group_size: 1
    .uses_dynamic_stack: false
    .vgpr_count:     50
    .vgpr_spill_count: 0
    .wavefront_size: 32
    .workgroup_processor_mode: 1
  - .args:
      - .offset:         0
        .size:           136
        .value_kind:     by_value
    .group_segment_fixed_size: 0
    .kernarg_segment_align: 8
    .kernarg_segment_size: 136
    .language:       OpenCL C
    .language_version:
      - 2
      - 0
    .max_flat_workgroup_size: 128
    .name:           _ZN7rocprim17ROCPRIM_400000_NS6detail17trampoline_kernelINS0_14default_configENS1_25partition_config_selectorILNS1_17partition_subalgoE5EdNS0_10empty_typeEbEEZZNS1_14partition_implILS5_5ELb0ES3_mN6thrust23THRUST_200600_302600_NS6detail15normal_iteratorINSA_10device_ptrIdEEEEPS6_NSA_18transform_iteratorINSB_9not_fun_tI7is_trueIdEEENSC_INSD_IbEEEENSA_11use_defaultESO_EENS0_5tupleIJSF_S6_EEENSQ_IJSG_SG_EEES6_PlJS6_EEE10hipError_tPvRmT3_T4_T5_T6_T7_T9_mT8_P12ihipStream_tbDpT10_ENKUlT_T0_E_clISt17integral_constantIbLb0EES1C_IbLb1EEEEDaS18_S19_EUlS18_E_NS1_11comp_targetILNS1_3genE9ELNS1_11target_archE1100ELNS1_3gpuE3ELNS1_3repE0EEENS1_30default_config_static_selectorELNS0_4arch9wavefront6targetE0EEEvT1_
    .private_segment_fixed_size: 0
    .sgpr_count:     0
    .sgpr_spill_count: 0
    .symbol:         _ZN7rocprim17ROCPRIM_400000_NS6detail17trampoline_kernelINS0_14default_configENS1_25partition_config_selectorILNS1_17partition_subalgoE5EdNS0_10empty_typeEbEEZZNS1_14partition_implILS5_5ELb0ES3_mN6thrust23THRUST_200600_302600_NS6detail15normal_iteratorINSA_10device_ptrIdEEEEPS6_NSA_18transform_iteratorINSB_9not_fun_tI7is_trueIdEEENSC_INSD_IbEEEENSA_11use_defaultESO_EENS0_5tupleIJSF_S6_EEENSQ_IJSG_SG_EEES6_PlJS6_EEE10hipError_tPvRmT3_T4_T5_T6_T7_T9_mT8_P12ihipStream_tbDpT10_ENKUlT_T0_E_clISt17integral_constantIbLb0EES1C_IbLb1EEEEDaS18_S19_EUlS18_E_NS1_11comp_targetILNS1_3genE9ELNS1_11target_archE1100ELNS1_3gpuE3ELNS1_3repE0EEENS1_30default_config_static_selectorELNS0_4arch9wavefront6targetE0EEEvT1_.kd
    .uniform_work_group_size: 1
    .uses_dynamic_stack: false
    .vgpr_count:     0
    .vgpr_spill_count: 0
    .wavefront_size: 32
    .workgroup_processor_mode: 1
  - .args:
      - .offset:         0
        .size:           136
        .value_kind:     by_value
    .group_segment_fixed_size: 0
    .kernarg_segment_align: 8
    .kernarg_segment_size: 136
    .language:       OpenCL C
    .language_version:
      - 2
      - 0
    .max_flat_workgroup_size: 512
    .name:           _ZN7rocprim17ROCPRIM_400000_NS6detail17trampoline_kernelINS0_14default_configENS1_25partition_config_selectorILNS1_17partition_subalgoE5EdNS0_10empty_typeEbEEZZNS1_14partition_implILS5_5ELb0ES3_mN6thrust23THRUST_200600_302600_NS6detail15normal_iteratorINSA_10device_ptrIdEEEEPS6_NSA_18transform_iteratorINSB_9not_fun_tI7is_trueIdEEENSC_INSD_IbEEEENSA_11use_defaultESO_EENS0_5tupleIJSF_S6_EEENSQ_IJSG_SG_EEES6_PlJS6_EEE10hipError_tPvRmT3_T4_T5_T6_T7_T9_mT8_P12ihipStream_tbDpT10_ENKUlT_T0_E_clISt17integral_constantIbLb0EES1C_IbLb1EEEEDaS18_S19_EUlS18_E_NS1_11comp_targetILNS1_3genE8ELNS1_11target_archE1030ELNS1_3gpuE2ELNS1_3repE0EEENS1_30default_config_static_selectorELNS0_4arch9wavefront6targetE0EEEvT1_
    .private_segment_fixed_size: 0
    .sgpr_count:     0
    .sgpr_spill_count: 0
    .symbol:         _ZN7rocprim17ROCPRIM_400000_NS6detail17trampoline_kernelINS0_14default_configENS1_25partition_config_selectorILNS1_17partition_subalgoE5EdNS0_10empty_typeEbEEZZNS1_14partition_implILS5_5ELb0ES3_mN6thrust23THRUST_200600_302600_NS6detail15normal_iteratorINSA_10device_ptrIdEEEEPS6_NSA_18transform_iteratorINSB_9not_fun_tI7is_trueIdEEENSC_INSD_IbEEEENSA_11use_defaultESO_EENS0_5tupleIJSF_S6_EEENSQ_IJSG_SG_EEES6_PlJS6_EEE10hipError_tPvRmT3_T4_T5_T6_T7_T9_mT8_P12ihipStream_tbDpT10_ENKUlT_T0_E_clISt17integral_constantIbLb0EES1C_IbLb1EEEEDaS18_S19_EUlS18_E_NS1_11comp_targetILNS1_3genE8ELNS1_11target_archE1030ELNS1_3gpuE2ELNS1_3repE0EEENS1_30default_config_static_selectorELNS0_4arch9wavefront6targetE0EEEvT1_.kd
    .uniform_work_group_size: 1
    .uses_dynamic_stack: false
    .vgpr_count:     0
    .vgpr_spill_count: 0
    .wavefront_size: 32
    .workgroup_processor_mode: 1
  - .args:
      - .offset:         0
        .size:           120
        .value_kind:     by_value
    .group_segment_fixed_size: 0
    .kernarg_segment_align: 8
    .kernarg_segment_size: 120
    .language:       OpenCL C
    .language_version:
      - 2
      - 0
    .max_flat_workgroup_size: 512
    .name:           _ZN7rocprim17ROCPRIM_400000_NS6detail17trampoline_kernelINS0_14default_configENS1_25partition_config_selectorILNS1_17partition_subalgoE5EfNS0_10empty_typeEbEEZZNS1_14partition_implILS5_5ELb0ES3_mN6thrust23THRUST_200600_302600_NS6detail15normal_iteratorINSA_10device_ptrIfEEEEPS6_NSA_18transform_iteratorINSB_9not_fun_tI7is_trueIfEEENSC_INSD_IbEEEENSA_11use_defaultESO_EENS0_5tupleIJSF_S6_EEENSQ_IJSG_SG_EEES6_PlJS6_EEE10hipError_tPvRmT3_T4_T5_T6_T7_T9_mT8_P12ihipStream_tbDpT10_ENKUlT_T0_E_clISt17integral_constantIbLb0EES1D_EEDaS18_S19_EUlS18_E_NS1_11comp_targetILNS1_3genE0ELNS1_11target_archE4294967295ELNS1_3gpuE0ELNS1_3repE0EEENS1_30default_config_static_selectorELNS0_4arch9wavefront6targetE0EEEvT1_
    .private_segment_fixed_size: 0
    .sgpr_count:     0
    .sgpr_spill_count: 0
    .symbol:         _ZN7rocprim17ROCPRIM_400000_NS6detail17trampoline_kernelINS0_14default_configENS1_25partition_config_selectorILNS1_17partition_subalgoE5EfNS0_10empty_typeEbEEZZNS1_14partition_implILS5_5ELb0ES3_mN6thrust23THRUST_200600_302600_NS6detail15normal_iteratorINSA_10device_ptrIfEEEEPS6_NSA_18transform_iteratorINSB_9not_fun_tI7is_trueIfEEENSC_INSD_IbEEEENSA_11use_defaultESO_EENS0_5tupleIJSF_S6_EEENSQ_IJSG_SG_EEES6_PlJS6_EEE10hipError_tPvRmT3_T4_T5_T6_T7_T9_mT8_P12ihipStream_tbDpT10_ENKUlT_T0_E_clISt17integral_constantIbLb0EES1D_EEDaS18_S19_EUlS18_E_NS1_11comp_targetILNS1_3genE0ELNS1_11target_archE4294967295ELNS1_3gpuE0ELNS1_3repE0EEENS1_30default_config_static_selectorELNS0_4arch9wavefront6targetE0EEEvT1_.kd
    .uniform_work_group_size: 1
    .uses_dynamic_stack: false
    .vgpr_count:     0
    .vgpr_spill_count: 0
    .wavefront_size: 32
    .workgroup_processor_mode: 1
  - .args:
      - .offset:         0
        .size:           120
        .value_kind:     by_value
    .group_segment_fixed_size: 0
    .kernarg_segment_align: 8
    .kernarg_segment_size: 120
    .language:       OpenCL C
    .language_version:
      - 2
      - 0
    .max_flat_workgroup_size: 512
    .name:           _ZN7rocprim17ROCPRIM_400000_NS6detail17trampoline_kernelINS0_14default_configENS1_25partition_config_selectorILNS1_17partition_subalgoE5EfNS0_10empty_typeEbEEZZNS1_14partition_implILS5_5ELb0ES3_mN6thrust23THRUST_200600_302600_NS6detail15normal_iteratorINSA_10device_ptrIfEEEEPS6_NSA_18transform_iteratorINSB_9not_fun_tI7is_trueIfEEENSC_INSD_IbEEEENSA_11use_defaultESO_EENS0_5tupleIJSF_S6_EEENSQ_IJSG_SG_EEES6_PlJS6_EEE10hipError_tPvRmT3_T4_T5_T6_T7_T9_mT8_P12ihipStream_tbDpT10_ENKUlT_T0_E_clISt17integral_constantIbLb0EES1D_EEDaS18_S19_EUlS18_E_NS1_11comp_targetILNS1_3genE5ELNS1_11target_archE942ELNS1_3gpuE9ELNS1_3repE0EEENS1_30default_config_static_selectorELNS0_4arch9wavefront6targetE0EEEvT1_
    .private_segment_fixed_size: 0
    .sgpr_count:     0
    .sgpr_spill_count: 0
    .symbol:         _ZN7rocprim17ROCPRIM_400000_NS6detail17trampoline_kernelINS0_14default_configENS1_25partition_config_selectorILNS1_17partition_subalgoE5EfNS0_10empty_typeEbEEZZNS1_14partition_implILS5_5ELb0ES3_mN6thrust23THRUST_200600_302600_NS6detail15normal_iteratorINSA_10device_ptrIfEEEEPS6_NSA_18transform_iteratorINSB_9not_fun_tI7is_trueIfEEENSC_INSD_IbEEEENSA_11use_defaultESO_EENS0_5tupleIJSF_S6_EEENSQ_IJSG_SG_EEES6_PlJS6_EEE10hipError_tPvRmT3_T4_T5_T6_T7_T9_mT8_P12ihipStream_tbDpT10_ENKUlT_T0_E_clISt17integral_constantIbLb0EES1D_EEDaS18_S19_EUlS18_E_NS1_11comp_targetILNS1_3genE5ELNS1_11target_archE942ELNS1_3gpuE9ELNS1_3repE0EEENS1_30default_config_static_selectorELNS0_4arch9wavefront6targetE0EEEvT1_.kd
    .uniform_work_group_size: 1
    .uses_dynamic_stack: false
    .vgpr_count:     0
    .vgpr_spill_count: 0
    .wavefront_size: 32
    .workgroup_processor_mode: 1
  - .args:
      - .offset:         0
        .size:           120
        .value_kind:     by_value
    .group_segment_fixed_size: 0
    .kernarg_segment_align: 8
    .kernarg_segment_size: 120
    .language:       OpenCL C
    .language_version:
      - 2
      - 0
    .max_flat_workgroup_size: 256
    .name:           _ZN7rocprim17ROCPRIM_400000_NS6detail17trampoline_kernelINS0_14default_configENS1_25partition_config_selectorILNS1_17partition_subalgoE5EfNS0_10empty_typeEbEEZZNS1_14partition_implILS5_5ELb0ES3_mN6thrust23THRUST_200600_302600_NS6detail15normal_iteratorINSA_10device_ptrIfEEEEPS6_NSA_18transform_iteratorINSB_9not_fun_tI7is_trueIfEEENSC_INSD_IbEEEENSA_11use_defaultESO_EENS0_5tupleIJSF_S6_EEENSQ_IJSG_SG_EEES6_PlJS6_EEE10hipError_tPvRmT3_T4_T5_T6_T7_T9_mT8_P12ihipStream_tbDpT10_ENKUlT_T0_E_clISt17integral_constantIbLb0EES1D_EEDaS18_S19_EUlS18_E_NS1_11comp_targetILNS1_3genE4ELNS1_11target_archE910ELNS1_3gpuE8ELNS1_3repE0EEENS1_30default_config_static_selectorELNS0_4arch9wavefront6targetE0EEEvT1_
    .private_segment_fixed_size: 0
    .sgpr_count:     0
    .sgpr_spill_count: 0
    .symbol:         _ZN7rocprim17ROCPRIM_400000_NS6detail17trampoline_kernelINS0_14default_configENS1_25partition_config_selectorILNS1_17partition_subalgoE5EfNS0_10empty_typeEbEEZZNS1_14partition_implILS5_5ELb0ES3_mN6thrust23THRUST_200600_302600_NS6detail15normal_iteratorINSA_10device_ptrIfEEEEPS6_NSA_18transform_iteratorINSB_9not_fun_tI7is_trueIfEEENSC_INSD_IbEEEENSA_11use_defaultESO_EENS0_5tupleIJSF_S6_EEENSQ_IJSG_SG_EEES6_PlJS6_EEE10hipError_tPvRmT3_T4_T5_T6_T7_T9_mT8_P12ihipStream_tbDpT10_ENKUlT_T0_E_clISt17integral_constantIbLb0EES1D_EEDaS18_S19_EUlS18_E_NS1_11comp_targetILNS1_3genE4ELNS1_11target_archE910ELNS1_3gpuE8ELNS1_3repE0EEENS1_30default_config_static_selectorELNS0_4arch9wavefront6targetE0EEEvT1_.kd
    .uniform_work_group_size: 1
    .uses_dynamic_stack: false
    .vgpr_count:     0
    .vgpr_spill_count: 0
    .wavefront_size: 32
    .workgroup_processor_mode: 1
  - .args:
      - .offset:         0
        .size:           120
        .value_kind:     by_value
    .group_segment_fixed_size: 0
    .kernarg_segment_align: 8
    .kernarg_segment_size: 120
    .language:       OpenCL C
    .language_version:
      - 2
      - 0
    .max_flat_workgroup_size: 512
    .name:           _ZN7rocprim17ROCPRIM_400000_NS6detail17trampoline_kernelINS0_14default_configENS1_25partition_config_selectorILNS1_17partition_subalgoE5EfNS0_10empty_typeEbEEZZNS1_14partition_implILS5_5ELb0ES3_mN6thrust23THRUST_200600_302600_NS6detail15normal_iteratorINSA_10device_ptrIfEEEEPS6_NSA_18transform_iteratorINSB_9not_fun_tI7is_trueIfEEENSC_INSD_IbEEEENSA_11use_defaultESO_EENS0_5tupleIJSF_S6_EEENSQ_IJSG_SG_EEES6_PlJS6_EEE10hipError_tPvRmT3_T4_T5_T6_T7_T9_mT8_P12ihipStream_tbDpT10_ENKUlT_T0_E_clISt17integral_constantIbLb0EES1D_EEDaS18_S19_EUlS18_E_NS1_11comp_targetILNS1_3genE3ELNS1_11target_archE908ELNS1_3gpuE7ELNS1_3repE0EEENS1_30default_config_static_selectorELNS0_4arch9wavefront6targetE0EEEvT1_
    .private_segment_fixed_size: 0
    .sgpr_count:     0
    .sgpr_spill_count: 0
    .symbol:         _ZN7rocprim17ROCPRIM_400000_NS6detail17trampoline_kernelINS0_14default_configENS1_25partition_config_selectorILNS1_17partition_subalgoE5EfNS0_10empty_typeEbEEZZNS1_14partition_implILS5_5ELb0ES3_mN6thrust23THRUST_200600_302600_NS6detail15normal_iteratorINSA_10device_ptrIfEEEEPS6_NSA_18transform_iteratorINSB_9not_fun_tI7is_trueIfEEENSC_INSD_IbEEEENSA_11use_defaultESO_EENS0_5tupleIJSF_S6_EEENSQ_IJSG_SG_EEES6_PlJS6_EEE10hipError_tPvRmT3_T4_T5_T6_T7_T9_mT8_P12ihipStream_tbDpT10_ENKUlT_T0_E_clISt17integral_constantIbLb0EES1D_EEDaS18_S19_EUlS18_E_NS1_11comp_targetILNS1_3genE3ELNS1_11target_archE908ELNS1_3gpuE7ELNS1_3repE0EEENS1_30default_config_static_selectorELNS0_4arch9wavefront6targetE0EEEvT1_.kd
    .uniform_work_group_size: 1
    .uses_dynamic_stack: false
    .vgpr_count:     0
    .vgpr_spill_count: 0
    .wavefront_size: 32
    .workgroup_processor_mode: 1
  - .args:
      - .offset:         0
        .size:           120
        .value_kind:     by_value
    .group_segment_fixed_size: 0
    .kernarg_segment_align: 8
    .kernarg_segment_size: 120
    .language:       OpenCL C
    .language_version:
      - 2
      - 0
    .max_flat_workgroup_size: 256
    .name:           _ZN7rocprim17ROCPRIM_400000_NS6detail17trampoline_kernelINS0_14default_configENS1_25partition_config_selectorILNS1_17partition_subalgoE5EfNS0_10empty_typeEbEEZZNS1_14partition_implILS5_5ELb0ES3_mN6thrust23THRUST_200600_302600_NS6detail15normal_iteratorINSA_10device_ptrIfEEEEPS6_NSA_18transform_iteratorINSB_9not_fun_tI7is_trueIfEEENSC_INSD_IbEEEENSA_11use_defaultESO_EENS0_5tupleIJSF_S6_EEENSQ_IJSG_SG_EEES6_PlJS6_EEE10hipError_tPvRmT3_T4_T5_T6_T7_T9_mT8_P12ihipStream_tbDpT10_ENKUlT_T0_E_clISt17integral_constantIbLb0EES1D_EEDaS18_S19_EUlS18_E_NS1_11comp_targetILNS1_3genE2ELNS1_11target_archE906ELNS1_3gpuE6ELNS1_3repE0EEENS1_30default_config_static_selectorELNS0_4arch9wavefront6targetE0EEEvT1_
    .private_segment_fixed_size: 0
    .sgpr_count:     0
    .sgpr_spill_count: 0
    .symbol:         _ZN7rocprim17ROCPRIM_400000_NS6detail17trampoline_kernelINS0_14default_configENS1_25partition_config_selectorILNS1_17partition_subalgoE5EfNS0_10empty_typeEbEEZZNS1_14partition_implILS5_5ELb0ES3_mN6thrust23THRUST_200600_302600_NS6detail15normal_iteratorINSA_10device_ptrIfEEEEPS6_NSA_18transform_iteratorINSB_9not_fun_tI7is_trueIfEEENSC_INSD_IbEEEENSA_11use_defaultESO_EENS0_5tupleIJSF_S6_EEENSQ_IJSG_SG_EEES6_PlJS6_EEE10hipError_tPvRmT3_T4_T5_T6_T7_T9_mT8_P12ihipStream_tbDpT10_ENKUlT_T0_E_clISt17integral_constantIbLb0EES1D_EEDaS18_S19_EUlS18_E_NS1_11comp_targetILNS1_3genE2ELNS1_11target_archE906ELNS1_3gpuE6ELNS1_3repE0EEENS1_30default_config_static_selectorELNS0_4arch9wavefront6targetE0EEEvT1_.kd
    .uniform_work_group_size: 1
    .uses_dynamic_stack: false
    .vgpr_count:     0
    .vgpr_spill_count: 0
    .wavefront_size: 32
    .workgroup_processor_mode: 1
  - .args:
      - .offset:         0
        .size:           120
        .value_kind:     by_value
    .group_segment_fixed_size: 10768
    .kernarg_segment_align: 8
    .kernarg_segment_size: 120
    .language:       OpenCL C
    .language_version:
      - 2
      - 0
    .max_flat_workgroup_size: 384
    .name:           _ZN7rocprim17ROCPRIM_400000_NS6detail17trampoline_kernelINS0_14default_configENS1_25partition_config_selectorILNS1_17partition_subalgoE5EfNS0_10empty_typeEbEEZZNS1_14partition_implILS5_5ELb0ES3_mN6thrust23THRUST_200600_302600_NS6detail15normal_iteratorINSA_10device_ptrIfEEEEPS6_NSA_18transform_iteratorINSB_9not_fun_tI7is_trueIfEEENSC_INSD_IbEEEENSA_11use_defaultESO_EENS0_5tupleIJSF_S6_EEENSQ_IJSG_SG_EEES6_PlJS6_EEE10hipError_tPvRmT3_T4_T5_T6_T7_T9_mT8_P12ihipStream_tbDpT10_ENKUlT_T0_E_clISt17integral_constantIbLb0EES1D_EEDaS18_S19_EUlS18_E_NS1_11comp_targetILNS1_3genE10ELNS1_11target_archE1200ELNS1_3gpuE4ELNS1_3repE0EEENS1_30default_config_static_selectorELNS0_4arch9wavefront6targetE0EEEvT1_
    .private_segment_fixed_size: 0
    .sgpr_count:     23
    .sgpr_spill_count: 0
    .symbol:         _ZN7rocprim17ROCPRIM_400000_NS6detail17trampoline_kernelINS0_14default_configENS1_25partition_config_selectorILNS1_17partition_subalgoE5EfNS0_10empty_typeEbEEZZNS1_14partition_implILS5_5ELb0ES3_mN6thrust23THRUST_200600_302600_NS6detail15normal_iteratorINSA_10device_ptrIfEEEEPS6_NSA_18transform_iteratorINSB_9not_fun_tI7is_trueIfEEENSC_INSD_IbEEEENSA_11use_defaultESO_EENS0_5tupleIJSF_S6_EEENSQ_IJSG_SG_EEES6_PlJS6_EEE10hipError_tPvRmT3_T4_T5_T6_T7_T9_mT8_P12ihipStream_tbDpT10_ENKUlT_T0_E_clISt17integral_constantIbLb0EES1D_EEDaS18_S19_EUlS18_E_NS1_11comp_targetILNS1_3genE10ELNS1_11target_archE1200ELNS1_3gpuE4ELNS1_3repE0EEENS1_30default_config_static_selectorELNS0_4arch9wavefront6targetE0EEEvT1_.kd
    .uniform_work_group_size: 1
    .uses_dynamic_stack: false
    .vgpr_count:     47
    .vgpr_spill_count: 0
    .wavefront_size: 32
    .workgroup_processor_mode: 1
  - .args:
      - .offset:         0
        .size:           120
        .value_kind:     by_value
    .group_segment_fixed_size: 0
    .kernarg_segment_align: 8
    .kernarg_segment_size: 120
    .language:       OpenCL C
    .language_version:
      - 2
      - 0
    .max_flat_workgroup_size: 128
    .name:           _ZN7rocprim17ROCPRIM_400000_NS6detail17trampoline_kernelINS0_14default_configENS1_25partition_config_selectorILNS1_17partition_subalgoE5EfNS0_10empty_typeEbEEZZNS1_14partition_implILS5_5ELb0ES3_mN6thrust23THRUST_200600_302600_NS6detail15normal_iteratorINSA_10device_ptrIfEEEEPS6_NSA_18transform_iteratorINSB_9not_fun_tI7is_trueIfEEENSC_INSD_IbEEEENSA_11use_defaultESO_EENS0_5tupleIJSF_S6_EEENSQ_IJSG_SG_EEES6_PlJS6_EEE10hipError_tPvRmT3_T4_T5_T6_T7_T9_mT8_P12ihipStream_tbDpT10_ENKUlT_T0_E_clISt17integral_constantIbLb0EES1D_EEDaS18_S19_EUlS18_E_NS1_11comp_targetILNS1_3genE9ELNS1_11target_archE1100ELNS1_3gpuE3ELNS1_3repE0EEENS1_30default_config_static_selectorELNS0_4arch9wavefront6targetE0EEEvT1_
    .private_segment_fixed_size: 0
    .sgpr_count:     0
    .sgpr_spill_count: 0
    .symbol:         _ZN7rocprim17ROCPRIM_400000_NS6detail17trampoline_kernelINS0_14default_configENS1_25partition_config_selectorILNS1_17partition_subalgoE5EfNS0_10empty_typeEbEEZZNS1_14partition_implILS5_5ELb0ES3_mN6thrust23THRUST_200600_302600_NS6detail15normal_iteratorINSA_10device_ptrIfEEEEPS6_NSA_18transform_iteratorINSB_9not_fun_tI7is_trueIfEEENSC_INSD_IbEEEENSA_11use_defaultESO_EENS0_5tupleIJSF_S6_EEENSQ_IJSG_SG_EEES6_PlJS6_EEE10hipError_tPvRmT3_T4_T5_T6_T7_T9_mT8_P12ihipStream_tbDpT10_ENKUlT_T0_E_clISt17integral_constantIbLb0EES1D_EEDaS18_S19_EUlS18_E_NS1_11comp_targetILNS1_3genE9ELNS1_11target_archE1100ELNS1_3gpuE3ELNS1_3repE0EEENS1_30default_config_static_selectorELNS0_4arch9wavefront6targetE0EEEvT1_.kd
    .uniform_work_group_size: 1
    .uses_dynamic_stack: false
    .vgpr_count:     0
    .vgpr_spill_count: 0
    .wavefront_size: 32
    .workgroup_processor_mode: 1
  - .args:
      - .offset:         0
        .size:           120
        .value_kind:     by_value
    .group_segment_fixed_size: 0
    .kernarg_segment_align: 8
    .kernarg_segment_size: 120
    .language:       OpenCL C
    .language_version:
      - 2
      - 0
    .max_flat_workgroup_size: 512
    .name:           _ZN7rocprim17ROCPRIM_400000_NS6detail17trampoline_kernelINS0_14default_configENS1_25partition_config_selectorILNS1_17partition_subalgoE5EfNS0_10empty_typeEbEEZZNS1_14partition_implILS5_5ELb0ES3_mN6thrust23THRUST_200600_302600_NS6detail15normal_iteratorINSA_10device_ptrIfEEEEPS6_NSA_18transform_iteratorINSB_9not_fun_tI7is_trueIfEEENSC_INSD_IbEEEENSA_11use_defaultESO_EENS0_5tupleIJSF_S6_EEENSQ_IJSG_SG_EEES6_PlJS6_EEE10hipError_tPvRmT3_T4_T5_T6_T7_T9_mT8_P12ihipStream_tbDpT10_ENKUlT_T0_E_clISt17integral_constantIbLb0EES1D_EEDaS18_S19_EUlS18_E_NS1_11comp_targetILNS1_3genE8ELNS1_11target_archE1030ELNS1_3gpuE2ELNS1_3repE0EEENS1_30default_config_static_selectorELNS0_4arch9wavefront6targetE0EEEvT1_
    .private_segment_fixed_size: 0
    .sgpr_count:     0
    .sgpr_spill_count: 0
    .symbol:         _ZN7rocprim17ROCPRIM_400000_NS6detail17trampoline_kernelINS0_14default_configENS1_25partition_config_selectorILNS1_17partition_subalgoE5EfNS0_10empty_typeEbEEZZNS1_14partition_implILS5_5ELb0ES3_mN6thrust23THRUST_200600_302600_NS6detail15normal_iteratorINSA_10device_ptrIfEEEEPS6_NSA_18transform_iteratorINSB_9not_fun_tI7is_trueIfEEENSC_INSD_IbEEEENSA_11use_defaultESO_EENS0_5tupleIJSF_S6_EEENSQ_IJSG_SG_EEES6_PlJS6_EEE10hipError_tPvRmT3_T4_T5_T6_T7_T9_mT8_P12ihipStream_tbDpT10_ENKUlT_T0_E_clISt17integral_constantIbLb0EES1D_EEDaS18_S19_EUlS18_E_NS1_11comp_targetILNS1_3genE8ELNS1_11target_archE1030ELNS1_3gpuE2ELNS1_3repE0EEENS1_30default_config_static_selectorELNS0_4arch9wavefront6targetE0EEEvT1_.kd
    .uniform_work_group_size: 1
    .uses_dynamic_stack: false
    .vgpr_count:     0
    .vgpr_spill_count: 0
    .wavefront_size: 32
    .workgroup_processor_mode: 1
  - .args:
      - .offset:         0
        .size:           136
        .value_kind:     by_value
    .group_segment_fixed_size: 0
    .kernarg_segment_align: 8
    .kernarg_segment_size: 136
    .language:       OpenCL C
    .language_version:
      - 2
      - 0
    .max_flat_workgroup_size: 512
    .name:           _ZN7rocprim17ROCPRIM_400000_NS6detail17trampoline_kernelINS0_14default_configENS1_25partition_config_selectorILNS1_17partition_subalgoE5EfNS0_10empty_typeEbEEZZNS1_14partition_implILS5_5ELb0ES3_mN6thrust23THRUST_200600_302600_NS6detail15normal_iteratorINSA_10device_ptrIfEEEEPS6_NSA_18transform_iteratorINSB_9not_fun_tI7is_trueIfEEENSC_INSD_IbEEEENSA_11use_defaultESO_EENS0_5tupleIJSF_S6_EEENSQ_IJSG_SG_EEES6_PlJS6_EEE10hipError_tPvRmT3_T4_T5_T6_T7_T9_mT8_P12ihipStream_tbDpT10_ENKUlT_T0_E_clISt17integral_constantIbLb1EES1D_EEDaS18_S19_EUlS18_E_NS1_11comp_targetILNS1_3genE0ELNS1_11target_archE4294967295ELNS1_3gpuE0ELNS1_3repE0EEENS1_30default_config_static_selectorELNS0_4arch9wavefront6targetE0EEEvT1_
    .private_segment_fixed_size: 0
    .sgpr_count:     0
    .sgpr_spill_count: 0
    .symbol:         _ZN7rocprim17ROCPRIM_400000_NS6detail17trampoline_kernelINS0_14default_configENS1_25partition_config_selectorILNS1_17partition_subalgoE5EfNS0_10empty_typeEbEEZZNS1_14partition_implILS5_5ELb0ES3_mN6thrust23THRUST_200600_302600_NS6detail15normal_iteratorINSA_10device_ptrIfEEEEPS6_NSA_18transform_iteratorINSB_9not_fun_tI7is_trueIfEEENSC_INSD_IbEEEENSA_11use_defaultESO_EENS0_5tupleIJSF_S6_EEENSQ_IJSG_SG_EEES6_PlJS6_EEE10hipError_tPvRmT3_T4_T5_T6_T7_T9_mT8_P12ihipStream_tbDpT10_ENKUlT_T0_E_clISt17integral_constantIbLb1EES1D_EEDaS18_S19_EUlS18_E_NS1_11comp_targetILNS1_3genE0ELNS1_11target_archE4294967295ELNS1_3gpuE0ELNS1_3repE0EEENS1_30default_config_static_selectorELNS0_4arch9wavefront6targetE0EEEvT1_.kd
    .uniform_work_group_size: 1
    .uses_dynamic_stack: false
    .vgpr_count:     0
    .vgpr_spill_count: 0
    .wavefront_size: 32
    .workgroup_processor_mode: 1
  - .args:
      - .offset:         0
        .size:           136
        .value_kind:     by_value
    .group_segment_fixed_size: 0
    .kernarg_segment_align: 8
    .kernarg_segment_size: 136
    .language:       OpenCL C
    .language_version:
      - 2
      - 0
    .max_flat_workgroup_size: 512
    .name:           _ZN7rocprim17ROCPRIM_400000_NS6detail17trampoline_kernelINS0_14default_configENS1_25partition_config_selectorILNS1_17partition_subalgoE5EfNS0_10empty_typeEbEEZZNS1_14partition_implILS5_5ELb0ES3_mN6thrust23THRUST_200600_302600_NS6detail15normal_iteratorINSA_10device_ptrIfEEEEPS6_NSA_18transform_iteratorINSB_9not_fun_tI7is_trueIfEEENSC_INSD_IbEEEENSA_11use_defaultESO_EENS0_5tupleIJSF_S6_EEENSQ_IJSG_SG_EEES6_PlJS6_EEE10hipError_tPvRmT3_T4_T5_T6_T7_T9_mT8_P12ihipStream_tbDpT10_ENKUlT_T0_E_clISt17integral_constantIbLb1EES1D_EEDaS18_S19_EUlS18_E_NS1_11comp_targetILNS1_3genE5ELNS1_11target_archE942ELNS1_3gpuE9ELNS1_3repE0EEENS1_30default_config_static_selectorELNS0_4arch9wavefront6targetE0EEEvT1_
    .private_segment_fixed_size: 0
    .sgpr_count:     0
    .sgpr_spill_count: 0
    .symbol:         _ZN7rocprim17ROCPRIM_400000_NS6detail17trampoline_kernelINS0_14default_configENS1_25partition_config_selectorILNS1_17partition_subalgoE5EfNS0_10empty_typeEbEEZZNS1_14partition_implILS5_5ELb0ES3_mN6thrust23THRUST_200600_302600_NS6detail15normal_iteratorINSA_10device_ptrIfEEEEPS6_NSA_18transform_iteratorINSB_9not_fun_tI7is_trueIfEEENSC_INSD_IbEEEENSA_11use_defaultESO_EENS0_5tupleIJSF_S6_EEENSQ_IJSG_SG_EEES6_PlJS6_EEE10hipError_tPvRmT3_T4_T5_T6_T7_T9_mT8_P12ihipStream_tbDpT10_ENKUlT_T0_E_clISt17integral_constantIbLb1EES1D_EEDaS18_S19_EUlS18_E_NS1_11comp_targetILNS1_3genE5ELNS1_11target_archE942ELNS1_3gpuE9ELNS1_3repE0EEENS1_30default_config_static_selectorELNS0_4arch9wavefront6targetE0EEEvT1_.kd
    .uniform_work_group_size: 1
    .uses_dynamic_stack: false
    .vgpr_count:     0
    .vgpr_spill_count: 0
    .wavefront_size: 32
    .workgroup_processor_mode: 1
  - .args:
      - .offset:         0
        .size:           136
        .value_kind:     by_value
    .group_segment_fixed_size: 0
    .kernarg_segment_align: 8
    .kernarg_segment_size: 136
    .language:       OpenCL C
    .language_version:
      - 2
      - 0
    .max_flat_workgroup_size: 256
    .name:           _ZN7rocprim17ROCPRIM_400000_NS6detail17trampoline_kernelINS0_14default_configENS1_25partition_config_selectorILNS1_17partition_subalgoE5EfNS0_10empty_typeEbEEZZNS1_14partition_implILS5_5ELb0ES3_mN6thrust23THRUST_200600_302600_NS6detail15normal_iteratorINSA_10device_ptrIfEEEEPS6_NSA_18transform_iteratorINSB_9not_fun_tI7is_trueIfEEENSC_INSD_IbEEEENSA_11use_defaultESO_EENS0_5tupleIJSF_S6_EEENSQ_IJSG_SG_EEES6_PlJS6_EEE10hipError_tPvRmT3_T4_T5_T6_T7_T9_mT8_P12ihipStream_tbDpT10_ENKUlT_T0_E_clISt17integral_constantIbLb1EES1D_EEDaS18_S19_EUlS18_E_NS1_11comp_targetILNS1_3genE4ELNS1_11target_archE910ELNS1_3gpuE8ELNS1_3repE0EEENS1_30default_config_static_selectorELNS0_4arch9wavefront6targetE0EEEvT1_
    .private_segment_fixed_size: 0
    .sgpr_count:     0
    .sgpr_spill_count: 0
    .symbol:         _ZN7rocprim17ROCPRIM_400000_NS6detail17trampoline_kernelINS0_14default_configENS1_25partition_config_selectorILNS1_17partition_subalgoE5EfNS0_10empty_typeEbEEZZNS1_14partition_implILS5_5ELb0ES3_mN6thrust23THRUST_200600_302600_NS6detail15normal_iteratorINSA_10device_ptrIfEEEEPS6_NSA_18transform_iteratorINSB_9not_fun_tI7is_trueIfEEENSC_INSD_IbEEEENSA_11use_defaultESO_EENS0_5tupleIJSF_S6_EEENSQ_IJSG_SG_EEES6_PlJS6_EEE10hipError_tPvRmT3_T4_T5_T6_T7_T9_mT8_P12ihipStream_tbDpT10_ENKUlT_T0_E_clISt17integral_constantIbLb1EES1D_EEDaS18_S19_EUlS18_E_NS1_11comp_targetILNS1_3genE4ELNS1_11target_archE910ELNS1_3gpuE8ELNS1_3repE0EEENS1_30default_config_static_selectorELNS0_4arch9wavefront6targetE0EEEvT1_.kd
    .uniform_work_group_size: 1
    .uses_dynamic_stack: false
    .vgpr_count:     0
    .vgpr_spill_count: 0
    .wavefront_size: 32
    .workgroup_processor_mode: 1
  - .args:
      - .offset:         0
        .size:           136
        .value_kind:     by_value
    .group_segment_fixed_size: 0
    .kernarg_segment_align: 8
    .kernarg_segment_size: 136
    .language:       OpenCL C
    .language_version:
      - 2
      - 0
    .max_flat_workgroup_size: 512
    .name:           _ZN7rocprim17ROCPRIM_400000_NS6detail17trampoline_kernelINS0_14default_configENS1_25partition_config_selectorILNS1_17partition_subalgoE5EfNS0_10empty_typeEbEEZZNS1_14partition_implILS5_5ELb0ES3_mN6thrust23THRUST_200600_302600_NS6detail15normal_iteratorINSA_10device_ptrIfEEEEPS6_NSA_18transform_iteratorINSB_9not_fun_tI7is_trueIfEEENSC_INSD_IbEEEENSA_11use_defaultESO_EENS0_5tupleIJSF_S6_EEENSQ_IJSG_SG_EEES6_PlJS6_EEE10hipError_tPvRmT3_T4_T5_T6_T7_T9_mT8_P12ihipStream_tbDpT10_ENKUlT_T0_E_clISt17integral_constantIbLb1EES1D_EEDaS18_S19_EUlS18_E_NS1_11comp_targetILNS1_3genE3ELNS1_11target_archE908ELNS1_3gpuE7ELNS1_3repE0EEENS1_30default_config_static_selectorELNS0_4arch9wavefront6targetE0EEEvT1_
    .private_segment_fixed_size: 0
    .sgpr_count:     0
    .sgpr_spill_count: 0
    .symbol:         _ZN7rocprim17ROCPRIM_400000_NS6detail17trampoline_kernelINS0_14default_configENS1_25partition_config_selectorILNS1_17partition_subalgoE5EfNS0_10empty_typeEbEEZZNS1_14partition_implILS5_5ELb0ES3_mN6thrust23THRUST_200600_302600_NS6detail15normal_iteratorINSA_10device_ptrIfEEEEPS6_NSA_18transform_iteratorINSB_9not_fun_tI7is_trueIfEEENSC_INSD_IbEEEENSA_11use_defaultESO_EENS0_5tupleIJSF_S6_EEENSQ_IJSG_SG_EEES6_PlJS6_EEE10hipError_tPvRmT3_T4_T5_T6_T7_T9_mT8_P12ihipStream_tbDpT10_ENKUlT_T0_E_clISt17integral_constantIbLb1EES1D_EEDaS18_S19_EUlS18_E_NS1_11comp_targetILNS1_3genE3ELNS1_11target_archE908ELNS1_3gpuE7ELNS1_3repE0EEENS1_30default_config_static_selectorELNS0_4arch9wavefront6targetE0EEEvT1_.kd
    .uniform_work_group_size: 1
    .uses_dynamic_stack: false
    .vgpr_count:     0
    .vgpr_spill_count: 0
    .wavefront_size: 32
    .workgroup_processor_mode: 1
  - .args:
      - .offset:         0
        .size:           136
        .value_kind:     by_value
    .group_segment_fixed_size: 0
    .kernarg_segment_align: 8
    .kernarg_segment_size: 136
    .language:       OpenCL C
    .language_version:
      - 2
      - 0
    .max_flat_workgroup_size: 256
    .name:           _ZN7rocprim17ROCPRIM_400000_NS6detail17trampoline_kernelINS0_14default_configENS1_25partition_config_selectorILNS1_17partition_subalgoE5EfNS0_10empty_typeEbEEZZNS1_14partition_implILS5_5ELb0ES3_mN6thrust23THRUST_200600_302600_NS6detail15normal_iteratorINSA_10device_ptrIfEEEEPS6_NSA_18transform_iteratorINSB_9not_fun_tI7is_trueIfEEENSC_INSD_IbEEEENSA_11use_defaultESO_EENS0_5tupleIJSF_S6_EEENSQ_IJSG_SG_EEES6_PlJS6_EEE10hipError_tPvRmT3_T4_T5_T6_T7_T9_mT8_P12ihipStream_tbDpT10_ENKUlT_T0_E_clISt17integral_constantIbLb1EES1D_EEDaS18_S19_EUlS18_E_NS1_11comp_targetILNS1_3genE2ELNS1_11target_archE906ELNS1_3gpuE6ELNS1_3repE0EEENS1_30default_config_static_selectorELNS0_4arch9wavefront6targetE0EEEvT1_
    .private_segment_fixed_size: 0
    .sgpr_count:     0
    .sgpr_spill_count: 0
    .symbol:         _ZN7rocprim17ROCPRIM_400000_NS6detail17trampoline_kernelINS0_14default_configENS1_25partition_config_selectorILNS1_17partition_subalgoE5EfNS0_10empty_typeEbEEZZNS1_14partition_implILS5_5ELb0ES3_mN6thrust23THRUST_200600_302600_NS6detail15normal_iteratorINSA_10device_ptrIfEEEEPS6_NSA_18transform_iteratorINSB_9not_fun_tI7is_trueIfEEENSC_INSD_IbEEEENSA_11use_defaultESO_EENS0_5tupleIJSF_S6_EEENSQ_IJSG_SG_EEES6_PlJS6_EEE10hipError_tPvRmT3_T4_T5_T6_T7_T9_mT8_P12ihipStream_tbDpT10_ENKUlT_T0_E_clISt17integral_constantIbLb1EES1D_EEDaS18_S19_EUlS18_E_NS1_11comp_targetILNS1_3genE2ELNS1_11target_archE906ELNS1_3gpuE6ELNS1_3repE0EEENS1_30default_config_static_selectorELNS0_4arch9wavefront6targetE0EEEvT1_.kd
    .uniform_work_group_size: 1
    .uses_dynamic_stack: false
    .vgpr_count:     0
    .vgpr_spill_count: 0
    .wavefront_size: 32
    .workgroup_processor_mode: 1
  - .args:
      - .offset:         0
        .size:           136
        .value_kind:     by_value
    .group_segment_fixed_size: 0
    .kernarg_segment_align: 8
    .kernarg_segment_size: 136
    .language:       OpenCL C
    .language_version:
      - 2
      - 0
    .max_flat_workgroup_size: 384
    .name:           _ZN7rocprim17ROCPRIM_400000_NS6detail17trampoline_kernelINS0_14default_configENS1_25partition_config_selectorILNS1_17partition_subalgoE5EfNS0_10empty_typeEbEEZZNS1_14partition_implILS5_5ELb0ES3_mN6thrust23THRUST_200600_302600_NS6detail15normal_iteratorINSA_10device_ptrIfEEEEPS6_NSA_18transform_iteratorINSB_9not_fun_tI7is_trueIfEEENSC_INSD_IbEEEENSA_11use_defaultESO_EENS0_5tupleIJSF_S6_EEENSQ_IJSG_SG_EEES6_PlJS6_EEE10hipError_tPvRmT3_T4_T5_T6_T7_T9_mT8_P12ihipStream_tbDpT10_ENKUlT_T0_E_clISt17integral_constantIbLb1EES1D_EEDaS18_S19_EUlS18_E_NS1_11comp_targetILNS1_3genE10ELNS1_11target_archE1200ELNS1_3gpuE4ELNS1_3repE0EEENS1_30default_config_static_selectorELNS0_4arch9wavefront6targetE0EEEvT1_
    .private_segment_fixed_size: 0
    .sgpr_count:     0
    .sgpr_spill_count: 0
    .symbol:         _ZN7rocprim17ROCPRIM_400000_NS6detail17trampoline_kernelINS0_14default_configENS1_25partition_config_selectorILNS1_17partition_subalgoE5EfNS0_10empty_typeEbEEZZNS1_14partition_implILS5_5ELb0ES3_mN6thrust23THRUST_200600_302600_NS6detail15normal_iteratorINSA_10device_ptrIfEEEEPS6_NSA_18transform_iteratorINSB_9not_fun_tI7is_trueIfEEENSC_INSD_IbEEEENSA_11use_defaultESO_EENS0_5tupleIJSF_S6_EEENSQ_IJSG_SG_EEES6_PlJS6_EEE10hipError_tPvRmT3_T4_T5_T6_T7_T9_mT8_P12ihipStream_tbDpT10_ENKUlT_T0_E_clISt17integral_constantIbLb1EES1D_EEDaS18_S19_EUlS18_E_NS1_11comp_targetILNS1_3genE10ELNS1_11target_archE1200ELNS1_3gpuE4ELNS1_3repE0EEENS1_30default_config_static_selectorELNS0_4arch9wavefront6targetE0EEEvT1_.kd
    .uniform_work_group_size: 1
    .uses_dynamic_stack: false
    .vgpr_count:     0
    .vgpr_spill_count: 0
    .wavefront_size: 32
    .workgroup_processor_mode: 1
  - .args:
      - .offset:         0
        .size:           136
        .value_kind:     by_value
    .group_segment_fixed_size: 0
    .kernarg_segment_align: 8
    .kernarg_segment_size: 136
    .language:       OpenCL C
    .language_version:
      - 2
      - 0
    .max_flat_workgroup_size: 128
    .name:           _ZN7rocprim17ROCPRIM_400000_NS6detail17trampoline_kernelINS0_14default_configENS1_25partition_config_selectorILNS1_17partition_subalgoE5EfNS0_10empty_typeEbEEZZNS1_14partition_implILS5_5ELb0ES3_mN6thrust23THRUST_200600_302600_NS6detail15normal_iteratorINSA_10device_ptrIfEEEEPS6_NSA_18transform_iteratorINSB_9not_fun_tI7is_trueIfEEENSC_INSD_IbEEEENSA_11use_defaultESO_EENS0_5tupleIJSF_S6_EEENSQ_IJSG_SG_EEES6_PlJS6_EEE10hipError_tPvRmT3_T4_T5_T6_T7_T9_mT8_P12ihipStream_tbDpT10_ENKUlT_T0_E_clISt17integral_constantIbLb1EES1D_EEDaS18_S19_EUlS18_E_NS1_11comp_targetILNS1_3genE9ELNS1_11target_archE1100ELNS1_3gpuE3ELNS1_3repE0EEENS1_30default_config_static_selectorELNS0_4arch9wavefront6targetE0EEEvT1_
    .private_segment_fixed_size: 0
    .sgpr_count:     0
    .sgpr_spill_count: 0
    .symbol:         _ZN7rocprim17ROCPRIM_400000_NS6detail17trampoline_kernelINS0_14default_configENS1_25partition_config_selectorILNS1_17partition_subalgoE5EfNS0_10empty_typeEbEEZZNS1_14partition_implILS5_5ELb0ES3_mN6thrust23THRUST_200600_302600_NS6detail15normal_iteratorINSA_10device_ptrIfEEEEPS6_NSA_18transform_iteratorINSB_9not_fun_tI7is_trueIfEEENSC_INSD_IbEEEENSA_11use_defaultESO_EENS0_5tupleIJSF_S6_EEENSQ_IJSG_SG_EEES6_PlJS6_EEE10hipError_tPvRmT3_T4_T5_T6_T7_T9_mT8_P12ihipStream_tbDpT10_ENKUlT_T0_E_clISt17integral_constantIbLb1EES1D_EEDaS18_S19_EUlS18_E_NS1_11comp_targetILNS1_3genE9ELNS1_11target_archE1100ELNS1_3gpuE3ELNS1_3repE0EEENS1_30default_config_static_selectorELNS0_4arch9wavefront6targetE0EEEvT1_.kd
    .uniform_work_group_size: 1
    .uses_dynamic_stack: false
    .vgpr_count:     0
    .vgpr_spill_count: 0
    .wavefront_size: 32
    .workgroup_processor_mode: 1
  - .args:
      - .offset:         0
        .size:           136
        .value_kind:     by_value
    .group_segment_fixed_size: 0
    .kernarg_segment_align: 8
    .kernarg_segment_size: 136
    .language:       OpenCL C
    .language_version:
      - 2
      - 0
    .max_flat_workgroup_size: 512
    .name:           _ZN7rocprim17ROCPRIM_400000_NS6detail17trampoline_kernelINS0_14default_configENS1_25partition_config_selectorILNS1_17partition_subalgoE5EfNS0_10empty_typeEbEEZZNS1_14partition_implILS5_5ELb0ES3_mN6thrust23THRUST_200600_302600_NS6detail15normal_iteratorINSA_10device_ptrIfEEEEPS6_NSA_18transform_iteratorINSB_9not_fun_tI7is_trueIfEEENSC_INSD_IbEEEENSA_11use_defaultESO_EENS0_5tupleIJSF_S6_EEENSQ_IJSG_SG_EEES6_PlJS6_EEE10hipError_tPvRmT3_T4_T5_T6_T7_T9_mT8_P12ihipStream_tbDpT10_ENKUlT_T0_E_clISt17integral_constantIbLb1EES1D_EEDaS18_S19_EUlS18_E_NS1_11comp_targetILNS1_3genE8ELNS1_11target_archE1030ELNS1_3gpuE2ELNS1_3repE0EEENS1_30default_config_static_selectorELNS0_4arch9wavefront6targetE0EEEvT1_
    .private_segment_fixed_size: 0
    .sgpr_count:     0
    .sgpr_spill_count: 0
    .symbol:         _ZN7rocprim17ROCPRIM_400000_NS6detail17trampoline_kernelINS0_14default_configENS1_25partition_config_selectorILNS1_17partition_subalgoE5EfNS0_10empty_typeEbEEZZNS1_14partition_implILS5_5ELb0ES3_mN6thrust23THRUST_200600_302600_NS6detail15normal_iteratorINSA_10device_ptrIfEEEEPS6_NSA_18transform_iteratorINSB_9not_fun_tI7is_trueIfEEENSC_INSD_IbEEEENSA_11use_defaultESO_EENS0_5tupleIJSF_S6_EEENSQ_IJSG_SG_EEES6_PlJS6_EEE10hipError_tPvRmT3_T4_T5_T6_T7_T9_mT8_P12ihipStream_tbDpT10_ENKUlT_T0_E_clISt17integral_constantIbLb1EES1D_EEDaS18_S19_EUlS18_E_NS1_11comp_targetILNS1_3genE8ELNS1_11target_archE1030ELNS1_3gpuE2ELNS1_3repE0EEENS1_30default_config_static_selectorELNS0_4arch9wavefront6targetE0EEEvT1_.kd
    .uniform_work_group_size: 1
    .uses_dynamic_stack: false
    .vgpr_count:     0
    .vgpr_spill_count: 0
    .wavefront_size: 32
    .workgroup_processor_mode: 1
  - .args:
      - .offset:         0
        .size:           120
        .value_kind:     by_value
    .group_segment_fixed_size: 0
    .kernarg_segment_align: 8
    .kernarg_segment_size: 120
    .language:       OpenCL C
    .language_version:
      - 2
      - 0
    .max_flat_workgroup_size: 512
    .name:           _ZN7rocprim17ROCPRIM_400000_NS6detail17trampoline_kernelINS0_14default_configENS1_25partition_config_selectorILNS1_17partition_subalgoE5EfNS0_10empty_typeEbEEZZNS1_14partition_implILS5_5ELb0ES3_mN6thrust23THRUST_200600_302600_NS6detail15normal_iteratorINSA_10device_ptrIfEEEEPS6_NSA_18transform_iteratorINSB_9not_fun_tI7is_trueIfEEENSC_INSD_IbEEEENSA_11use_defaultESO_EENS0_5tupleIJSF_S6_EEENSQ_IJSG_SG_EEES6_PlJS6_EEE10hipError_tPvRmT3_T4_T5_T6_T7_T9_mT8_P12ihipStream_tbDpT10_ENKUlT_T0_E_clISt17integral_constantIbLb1EES1C_IbLb0EEEEDaS18_S19_EUlS18_E_NS1_11comp_targetILNS1_3genE0ELNS1_11target_archE4294967295ELNS1_3gpuE0ELNS1_3repE0EEENS1_30default_config_static_selectorELNS0_4arch9wavefront6targetE0EEEvT1_
    .private_segment_fixed_size: 0
    .sgpr_count:     0
    .sgpr_spill_count: 0
    .symbol:         _ZN7rocprim17ROCPRIM_400000_NS6detail17trampoline_kernelINS0_14default_configENS1_25partition_config_selectorILNS1_17partition_subalgoE5EfNS0_10empty_typeEbEEZZNS1_14partition_implILS5_5ELb0ES3_mN6thrust23THRUST_200600_302600_NS6detail15normal_iteratorINSA_10device_ptrIfEEEEPS6_NSA_18transform_iteratorINSB_9not_fun_tI7is_trueIfEEENSC_INSD_IbEEEENSA_11use_defaultESO_EENS0_5tupleIJSF_S6_EEENSQ_IJSG_SG_EEES6_PlJS6_EEE10hipError_tPvRmT3_T4_T5_T6_T7_T9_mT8_P12ihipStream_tbDpT10_ENKUlT_T0_E_clISt17integral_constantIbLb1EES1C_IbLb0EEEEDaS18_S19_EUlS18_E_NS1_11comp_targetILNS1_3genE0ELNS1_11target_archE4294967295ELNS1_3gpuE0ELNS1_3repE0EEENS1_30default_config_static_selectorELNS0_4arch9wavefront6targetE0EEEvT1_.kd
    .uniform_work_group_size: 1
    .uses_dynamic_stack: false
    .vgpr_count:     0
    .vgpr_spill_count: 0
    .wavefront_size: 32
    .workgroup_processor_mode: 1
  - .args:
      - .offset:         0
        .size:           120
        .value_kind:     by_value
    .group_segment_fixed_size: 0
    .kernarg_segment_align: 8
    .kernarg_segment_size: 120
    .language:       OpenCL C
    .language_version:
      - 2
      - 0
    .max_flat_workgroup_size: 512
    .name:           _ZN7rocprim17ROCPRIM_400000_NS6detail17trampoline_kernelINS0_14default_configENS1_25partition_config_selectorILNS1_17partition_subalgoE5EfNS0_10empty_typeEbEEZZNS1_14partition_implILS5_5ELb0ES3_mN6thrust23THRUST_200600_302600_NS6detail15normal_iteratorINSA_10device_ptrIfEEEEPS6_NSA_18transform_iteratorINSB_9not_fun_tI7is_trueIfEEENSC_INSD_IbEEEENSA_11use_defaultESO_EENS0_5tupleIJSF_S6_EEENSQ_IJSG_SG_EEES6_PlJS6_EEE10hipError_tPvRmT3_T4_T5_T6_T7_T9_mT8_P12ihipStream_tbDpT10_ENKUlT_T0_E_clISt17integral_constantIbLb1EES1C_IbLb0EEEEDaS18_S19_EUlS18_E_NS1_11comp_targetILNS1_3genE5ELNS1_11target_archE942ELNS1_3gpuE9ELNS1_3repE0EEENS1_30default_config_static_selectorELNS0_4arch9wavefront6targetE0EEEvT1_
    .private_segment_fixed_size: 0
    .sgpr_count:     0
    .sgpr_spill_count: 0
    .symbol:         _ZN7rocprim17ROCPRIM_400000_NS6detail17trampoline_kernelINS0_14default_configENS1_25partition_config_selectorILNS1_17partition_subalgoE5EfNS0_10empty_typeEbEEZZNS1_14partition_implILS5_5ELb0ES3_mN6thrust23THRUST_200600_302600_NS6detail15normal_iteratorINSA_10device_ptrIfEEEEPS6_NSA_18transform_iteratorINSB_9not_fun_tI7is_trueIfEEENSC_INSD_IbEEEENSA_11use_defaultESO_EENS0_5tupleIJSF_S6_EEENSQ_IJSG_SG_EEES6_PlJS6_EEE10hipError_tPvRmT3_T4_T5_T6_T7_T9_mT8_P12ihipStream_tbDpT10_ENKUlT_T0_E_clISt17integral_constantIbLb1EES1C_IbLb0EEEEDaS18_S19_EUlS18_E_NS1_11comp_targetILNS1_3genE5ELNS1_11target_archE942ELNS1_3gpuE9ELNS1_3repE0EEENS1_30default_config_static_selectorELNS0_4arch9wavefront6targetE0EEEvT1_.kd
    .uniform_work_group_size: 1
    .uses_dynamic_stack: false
    .vgpr_count:     0
    .vgpr_spill_count: 0
    .wavefront_size: 32
    .workgroup_processor_mode: 1
  - .args:
      - .offset:         0
        .size:           120
        .value_kind:     by_value
    .group_segment_fixed_size: 0
    .kernarg_segment_align: 8
    .kernarg_segment_size: 120
    .language:       OpenCL C
    .language_version:
      - 2
      - 0
    .max_flat_workgroup_size: 256
    .name:           _ZN7rocprim17ROCPRIM_400000_NS6detail17trampoline_kernelINS0_14default_configENS1_25partition_config_selectorILNS1_17partition_subalgoE5EfNS0_10empty_typeEbEEZZNS1_14partition_implILS5_5ELb0ES3_mN6thrust23THRUST_200600_302600_NS6detail15normal_iteratorINSA_10device_ptrIfEEEEPS6_NSA_18transform_iteratorINSB_9not_fun_tI7is_trueIfEEENSC_INSD_IbEEEENSA_11use_defaultESO_EENS0_5tupleIJSF_S6_EEENSQ_IJSG_SG_EEES6_PlJS6_EEE10hipError_tPvRmT3_T4_T5_T6_T7_T9_mT8_P12ihipStream_tbDpT10_ENKUlT_T0_E_clISt17integral_constantIbLb1EES1C_IbLb0EEEEDaS18_S19_EUlS18_E_NS1_11comp_targetILNS1_3genE4ELNS1_11target_archE910ELNS1_3gpuE8ELNS1_3repE0EEENS1_30default_config_static_selectorELNS0_4arch9wavefront6targetE0EEEvT1_
    .private_segment_fixed_size: 0
    .sgpr_count:     0
    .sgpr_spill_count: 0
    .symbol:         _ZN7rocprim17ROCPRIM_400000_NS6detail17trampoline_kernelINS0_14default_configENS1_25partition_config_selectorILNS1_17partition_subalgoE5EfNS0_10empty_typeEbEEZZNS1_14partition_implILS5_5ELb0ES3_mN6thrust23THRUST_200600_302600_NS6detail15normal_iteratorINSA_10device_ptrIfEEEEPS6_NSA_18transform_iteratorINSB_9not_fun_tI7is_trueIfEEENSC_INSD_IbEEEENSA_11use_defaultESO_EENS0_5tupleIJSF_S6_EEENSQ_IJSG_SG_EEES6_PlJS6_EEE10hipError_tPvRmT3_T4_T5_T6_T7_T9_mT8_P12ihipStream_tbDpT10_ENKUlT_T0_E_clISt17integral_constantIbLb1EES1C_IbLb0EEEEDaS18_S19_EUlS18_E_NS1_11comp_targetILNS1_3genE4ELNS1_11target_archE910ELNS1_3gpuE8ELNS1_3repE0EEENS1_30default_config_static_selectorELNS0_4arch9wavefront6targetE0EEEvT1_.kd
    .uniform_work_group_size: 1
    .uses_dynamic_stack: false
    .vgpr_count:     0
    .vgpr_spill_count: 0
    .wavefront_size: 32
    .workgroup_processor_mode: 1
  - .args:
      - .offset:         0
        .size:           120
        .value_kind:     by_value
    .group_segment_fixed_size: 0
    .kernarg_segment_align: 8
    .kernarg_segment_size: 120
    .language:       OpenCL C
    .language_version:
      - 2
      - 0
    .max_flat_workgroup_size: 512
    .name:           _ZN7rocprim17ROCPRIM_400000_NS6detail17trampoline_kernelINS0_14default_configENS1_25partition_config_selectorILNS1_17partition_subalgoE5EfNS0_10empty_typeEbEEZZNS1_14partition_implILS5_5ELb0ES3_mN6thrust23THRUST_200600_302600_NS6detail15normal_iteratorINSA_10device_ptrIfEEEEPS6_NSA_18transform_iteratorINSB_9not_fun_tI7is_trueIfEEENSC_INSD_IbEEEENSA_11use_defaultESO_EENS0_5tupleIJSF_S6_EEENSQ_IJSG_SG_EEES6_PlJS6_EEE10hipError_tPvRmT3_T4_T5_T6_T7_T9_mT8_P12ihipStream_tbDpT10_ENKUlT_T0_E_clISt17integral_constantIbLb1EES1C_IbLb0EEEEDaS18_S19_EUlS18_E_NS1_11comp_targetILNS1_3genE3ELNS1_11target_archE908ELNS1_3gpuE7ELNS1_3repE0EEENS1_30default_config_static_selectorELNS0_4arch9wavefront6targetE0EEEvT1_
    .private_segment_fixed_size: 0
    .sgpr_count:     0
    .sgpr_spill_count: 0
    .symbol:         _ZN7rocprim17ROCPRIM_400000_NS6detail17trampoline_kernelINS0_14default_configENS1_25partition_config_selectorILNS1_17partition_subalgoE5EfNS0_10empty_typeEbEEZZNS1_14partition_implILS5_5ELb0ES3_mN6thrust23THRUST_200600_302600_NS6detail15normal_iteratorINSA_10device_ptrIfEEEEPS6_NSA_18transform_iteratorINSB_9not_fun_tI7is_trueIfEEENSC_INSD_IbEEEENSA_11use_defaultESO_EENS0_5tupleIJSF_S6_EEENSQ_IJSG_SG_EEES6_PlJS6_EEE10hipError_tPvRmT3_T4_T5_T6_T7_T9_mT8_P12ihipStream_tbDpT10_ENKUlT_T0_E_clISt17integral_constantIbLb1EES1C_IbLb0EEEEDaS18_S19_EUlS18_E_NS1_11comp_targetILNS1_3genE3ELNS1_11target_archE908ELNS1_3gpuE7ELNS1_3repE0EEENS1_30default_config_static_selectorELNS0_4arch9wavefront6targetE0EEEvT1_.kd
    .uniform_work_group_size: 1
    .uses_dynamic_stack: false
    .vgpr_count:     0
    .vgpr_spill_count: 0
    .wavefront_size: 32
    .workgroup_processor_mode: 1
  - .args:
      - .offset:         0
        .size:           120
        .value_kind:     by_value
    .group_segment_fixed_size: 0
    .kernarg_segment_align: 8
    .kernarg_segment_size: 120
    .language:       OpenCL C
    .language_version:
      - 2
      - 0
    .max_flat_workgroup_size: 256
    .name:           _ZN7rocprim17ROCPRIM_400000_NS6detail17trampoline_kernelINS0_14default_configENS1_25partition_config_selectorILNS1_17partition_subalgoE5EfNS0_10empty_typeEbEEZZNS1_14partition_implILS5_5ELb0ES3_mN6thrust23THRUST_200600_302600_NS6detail15normal_iteratorINSA_10device_ptrIfEEEEPS6_NSA_18transform_iteratorINSB_9not_fun_tI7is_trueIfEEENSC_INSD_IbEEEENSA_11use_defaultESO_EENS0_5tupleIJSF_S6_EEENSQ_IJSG_SG_EEES6_PlJS6_EEE10hipError_tPvRmT3_T4_T5_T6_T7_T9_mT8_P12ihipStream_tbDpT10_ENKUlT_T0_E_clISt17integral_constantIbLb1EES1C_IbLb0EEEEDaS18_S19_EUlS18_E_NS1_11comp_targetILNS1_3genE2ELNS1_11target_archE906ELNS1_3gpuE6ELNS1_3repE0EEENS1_30default_config_static_selectorELNS0_4arch9wavefront6targetE0EEEvT1_
    .private_segment_fixed_size: 0
    .sgpr_count:     0
    .sgpr_spill_count: 0
    .symbol:         _ZN7rocprim17ROCPRIM_400000_NS6detail17trampoline_kernelINS0_14default_configENS1_25partition_config_selectorILNS1_17partition_subalgoE5EfNS0_10empty_typeEbEEZZNS1_14partition_implILS5_5ELb0ES3_mN6thrust23THRUST_200600_302600_NS6detail15normal_iteratorINSA_10device_ptrIfEEEEPS6_NSA_18transform_iteratorINSB_9not_fun_tI7is_trueIfEEENSC_INSD_IbEEEENSA_11use_defaultESO_EENS0_5tupleIJSF_S6_EEENSQ_IJSG_SG_EEES6_PlJS6_EEE10hipError_tPvRmT3_T4_T5_T6_T7_T9_mT8_P12ihipStream_tbDpT10_ENKUlT_T0_E_clISt17integral_constantIbLb1EES1C_IbLb0EEEEDaS18_S19_EUlS18_E_NS1_11comp_targetILNS1_3genE2ELNS1_11target_archE906ELNS1_3gpuE6ELNS1_3repE0EEENS1_30default_config_static_selectorELNS0_4arch9wavefront6targetE0EEEvT1_.kd
    .uniform_work_group_size: 1
    .uses_dynamic_stack: false
    .vgpr_count:     0
    .vgpr_spill_count: 0
    .wavefront_size: 32
    .workgroup_processor_mode: 1
  - .args:
      - .offset:         0
        .size:           120
        .value_kind:     by_value
    .group_segment_fixed_size: 0
    .kernarg_segment_align: 8
    .kernarg_segment_size: 120
    .language:       OpenCL C
    .language_version:
      - 2
      - 0
    .max_flat_workgroup_size: 384
    .name:           _ZN7rocprim17ROCPRIM_400000_NS6detail17trampoline_kernelINS0_14default_configENS1_25partition_config_selectorILNS1_17partition_subalgoE5EfNS0_10empty_typeEbEEZZNS1_14partition_implILS5_5ELb0ES3_mN6thrust23THRUST_200600_302600_NS6detail15normal_iteratorINSA_10device_ptrIfEEEEPS6_NSA_18transform_iteratorINSB_9not_fun_tI7is_trueIfEEENSC_INSD_IbEEEENSA_11use_defaultESO_EENS0_5tupleIJSF_S6_EEENSQ_IJSG_SG_EEES6_PlJS6_EEE10hipError_tPvRmT3_T4_T5_T6_T7_T9_mT8_P12ihipStream_tbDpT10_ENKUlT_T0_E_clISt17integral_constantIbLb1EES1C_IbLb0EEEEDaS18_S19_EUlS18_E_NS1_11comp_targetILNS1_3genE10ELNS1_11target_archE1200ELNS1_3gpuE4ELNS1_3repE0EEENS1_30default_config_static_selectorELNS0_4arch9wavefront6targetE0EEEvT1_
    .private_segment_fixed_size: 0
    .sgpr_count:     0
    .sgpr_spill_count: 0
    .symbol:         _ZN7rocprim17ROCPRIM_400000_NS6detail17trampoline_kernelINS0_14default_configENS1_25partition_config_selectorILNS1_17partition_subalgoE5EfNS0_10empty_typeEbEEZZNS1_14partition_implILS5_5ELb0ES3_mN6thrust23THRUST_200600_302600_NS6detail15normal_iteratorINSA_10device_ptrIfEEEEPS6_NSA_18transform_iteratorINSB_9not_fun_tI7is_trueIfEEENSC_INSD_IbEEEENSA_11use_defaultESO_EENS0_5tupleIJSF_S6_EEENSQ_IJSG_SG_EEES6_PlJS6_EEE10hipError_tPvRmT3_T4_T5_T6_T7_T9_mT8_P12ihipStream_tbDpT10_ENKUlT_T0_E_clISt17integral_constantIbLb1EES1C_IbLb0EEEEDaS18_S19_EUlS18_E_NS1_11comp_targetILNS1_3genE10ELNS1_11target_archE1200ELNS1_3gpuE4ELNS1_3repE0EEENS1_30default_config_static_selectorELNS0_4arch9wavefront6targetE0EEEvT1_.kd
    .uniform_work_group_size: 1
    .uses_dynamic_stack: false
    .vgpr_count:     0
    .vgpr_spill_count: 0
    .wavefront_size: 32
    .workgroup_processor_mode: 1
  - .args:
      - .offset:         0
        .size:           120
        .value_kind:     by_value
    .group_segment_fixed_size: 0
    .kernarg_segment_align: 8
    .kernarg_segment_size: 120
    .language:       OpenCL C
    .language_version:
      - 2
      - 0
    .max_flat_workgroup_size: 128
    .name:           _ZN7rocprim17ROCPRIM_400000_NS6detail17trampoline_kernelINS0_14default_configENS1_25partition_config_selectorILNS1_17partition_subalgoE5EfNS0_10empty_typeEbEEZZNS1_14partition_implILS5_5ELb0ES3_mN6thrust23THRUST_200600_302600_NS6detail15normal_iteratorINSA_10device_ptrIfEEEEPS6_NSA_18transform_iteratorINSB_9not_fun_tI7is_trueIfEEENSC_INSD_IbEEEENSA_11use_defaultESO_EENS0_5tupleIJSF_S6_EEENSQ_IJSG_SG_EEES6_PlJS6_EEE10hipError_tPvRmT3_T4_T5_T6_T7_T9_mT8_P12ihipStream_tbDpT10_ENKUlT_T0_E_clISt17integral_constantIbLb1EES1C_IbLb0EEEEDaS18_S19_EUlS18_E_NS1_11comp_targetILNS1_3genE9ELNS1_11target_archE1100ELNS1_3gpuE3ELNS1_3repE0EEENS1_30default_config_static_selectorELNS0_4arch9wavefront6targetE0EEEvT1_
    .private_segment_fixed_size: 0
    .sgpr_count:     0
    .sgpr_spill_count: 0
    .symbol:         _ZN7rocprim17ROCPRIM_400000_NS6detail17trampoline_kernelINS0_14default_configENS1_25partition_config_selectorILNS1_17partition_subalgoE5EfNS0_10empty_typeEbEEZZNS1_14partition_implILS5_5ELb0ES3_mN6thrust23THRUST_200600_302600_NS6detail15normal_iteratorINSA_10device_ptrIfEEEEPS6_NSA_18transform_iteratorINSB_9not_fun_tI7is_trueIfEEENSC_INSD_IbEEEENSA_11use_defaultESO_EENS0_5tupleIJSF_S6_EEENSQ_IJSG_SG_EEES6_PlJS6_EEE10hipError_tPvRmT3_T4_T5_T6_T7_T9_mT8_P12ihipStream_tbDpT10_ENKUlT_T0_E_clISt17integral_constantIbLb1EES1C_IbLb0EEEEDaS18_S19_EUlS18_E_NS1_11comp_targetILNS1_3genE9ELNS1_11target_archE1100ELNS1_3gpuE3ELNS1_3repE0EEENS1_30default_config_static_selectorELNS0_4arch9wavefront6targetE0EEEvT1_.kd
    .uniform_work_group_size: 1
    .uses_dynamic_stack: false
    .vgpr_count:     0
    .vgpr_spill_count: 0
    .wavefront_size: 32
    .workgroup_processor_mode: 1
  - .args:
      - .offset:         0
        .size:           120
        .value_kind:     by_value
    .group_segment_fixed_size: 0
    .kernarg_segment_align: 8
    .kernarg_segment_size: 120
    .language:       OpenCL C
    .language_version:
      - 2
      - 0
    .max_flat_workgroup_size: 512
    .name:           _ZN7rocprim17ROCPRIM_400000_NS6detail17trampoline_kernelINS0_14default_configENS1_25partition_config_selectorILNS1_17partition_subalgoE5EfNS0_10empty_typeEbEEZZNS1_14partition_implILS5_5ELb0ES3_mN6thrust23THRUST_200600_302600_NS6detail15normal_iteratorINSA_10device_ptrIfEEEEPS6_NSA_18transform_iteratorINSB_9not_fun_tI7is_trueIfEEENSC_INSD_IbEEEENSA_11use_defaultESO_EENS0_5tupleIJSF_S6_EEENSQ_IJSG_SG_EEES6_PlJS6_EEE10hipError_tPvRmT3_T4_T5_T6_T7_T9_mT8_P12ihipStream_tbDpT10_ENKUlT_T0_E_clISt17integral_constantIbLb1EES1C_IbLb0EEEEDaS18_S19_EUlS18_E_NS1_11comp_targetILNS1_3genE8ELNS1_11target_archE1030ELNS1_3gpuE2ELNS1_3repE0EEENS1_30default_config_static_selectorELNS0_4arch9wavefront6targetE0EEEvT1_
    .private_segment_fixed_size: 0
    .sgpr_count:     0
    .sgpr_spill_count: 0
    .symbol:         _ZN7rocprim17ROCPRIM_400000_NS6detail17trampoline_kernelINS0_14default_configENS1_25partition_config_selectorILNS1_17partition_subalgoE5EfNS0_10empty_typeEbEEZZNS1_14partition_implILS5_5ELb0ES3_mN6thrust23THRUST_200600_302600_NS6detail15normal_iteratorINSA_10device_ptrIfEEEEPS6_NSA_18transform_iteratorINSB_9not_fun_tI7is_trueIfEEENSC_INSD_IbEEEENSA_11use_defaultESO_EENS0_5tupleIJSF_S6_EEENSQ_IJSG_SG_EEES6_PlJS6_EEE10hipError_tPvRmT3_T4_T5_T6_T7_T9_mT8_P12ihipStream_tbDpT10_ENKUlT_T0_E_clISt17integral_constantIbLb1EES1C_IbLb0EEEEDaS18_S19_EUlS18_E_NS1_11comp_targetILNS1_3genE8ELNS1_11target_archE1030ELNS1_3gpuE2ELNS1_3repE0EEENS1_30default_config_static_selectorELNS0_4arch9wavefront6targetE0EEEvT1_.kd
    .uniform_work_group_size: 1
    .uses_dynamic_stack: false
    .vgpr_count:     0
    .vgpr_spill_count: 0
    .wavefront_size: 32
    .workgroup_processor_mode: 1
  - .args:
      - .offset:         0
        .size:           136
        .value_kind:     by_value
    .group_segment_fixed_size: 0
    .kernarg_segment_align: 8
    .kernarg_segment_size: 136
    .language:       OpenCL C
    .language_version:
      - 2
      - 0
    .max_flat_workgroup_size: 512
    .name:           _ZN7rocprim17ROCPRIM_400000_NS6detail17trampoline_kernelINS0_14default_configENS1_25partition_config_selectorILNS1_17partition_subalgoE5EfNS0_10empty_typeEbEEZZNS1_14partition_implILS5_5ELb0ES3_mN6thrust23THRUST_200600_302600_NS6detail15normal_iteratorINSA_10device_ptrIfEEEEPS6_NSA_18transform_iteratorINSB_9not_fun_tI7is_trueIfEEENSC_INSD_IbEEEENSA_11use_defaultESO_EENS0_5tupleIJSF_S6_EEENSQ_IJSG_SG_EEES6_PlJS6_EEE10hipError_tPvRmT3_T4_T5_T6_T7_T9_mT8_P12ihipStream_tbDpT10_ENKUlT_T0_E_clISt17integral_constantIbLb0EES1C_IbLb1EEEEDaS18_S19_EUlS18_E_NS1_11comp_targetILNS1_3genE0ELNS1_11target_archE4294967295ELNS1_3gpuE0ELNS1_3repE0EEENS1_30default_config_static_selectorELNS0_4arch9wavefront6targetE0EEEvT1_
    .private_segment_fixed_size: 0
    .sgpr_count:     0
    .sgpr_spill_count: 0
    .symbol:         _ZN7rocprim17ROCPRIM_400000_NS6detail17trampoline_kernelINS0_14default_configENS1_25partition_config_selectorILNS1_17partition_subalgoE5EfNS0_10empty_typeEbEEZZNS1_14partition_implILS5_5ELb0ES3_mN6thrust23THRUST_200600_302600_NS6detail15normal_iteratorINSA_10device_ptrIfEEEEPS6_NSA_18transform_iteratorINSB_9not_fun_tI7is_trueIfEEENSC_INSD_IbEEEENSA_11use_defaultESO_EENS0_5tupleIJSF_S6_EEENSQ_IJSG_SG_EEES6_PlJS6_EEE10hipError_tPvRmT3_T4_T5_T6_T7_T9_mT8_P12ihipStream_tbDpT10_ENKUlT_T0_E_clISt17integral_constantIbLb0EES1C_IbLb1EEEEDaS18_S19_EUlS18_E_NS1_11comp_targetILNS1_3genE0ELNS1_11target_archE4294967295ELNS1_3gpuE0ELNS1_3repE0EEENS1_30default_config_static_selectorELNS0_4arch9wavefront6targetE0EEEvT1_.kd
    .uniform_work_group_size: 1
    .uses_dynamic_stack: false
    .vgpr_count:     0
    .vgpr_spill_count: 0
    .wavefront_size: 32
    .workgroup_processor_mode: 1
  - .args:
      - .offset:         0
        .size:           136
        .value_kind:     by_value
    .group_segment_fixed_size: 0
    .kernarg_segment_align: 8
    .kernarg_segment_size: 136
    .language:       OpenCL C
    .language_version:
      - 2
      - 0
    .max_flat_workgroup_size: 512
    .name:           _ZN7rocprim17ROCPRIM_400000_NS6detail17trampoline_kernelINS0_14default_configENS1_25partition_config_selectorILNS1_17partition_subalgoE5EfNS0_10empty_typeEbEEZZNS1_14partition_implILS5_5ELb0ES3_mN6thrust23THRUST_200600_302600_NS6detail15normal_iteratorINSA_10device_ptrIfEEEEPS6_NSA_18transform_iteratorINSB_9not_fun_tI7is_trueIfEEENSC_INSD_IbEEEENSA_11use_defaultESO_EENS0_5tupleIJSF_S6_EEENSQ_IJSG_SG_EEES6_PlJS6_EEE10hipError_tPvRmT3_T4_T5_T6_T7_T9_mT8_P12ihipStream_tbDpT10_ENKUlT_T0_E_clISt17integral_constantIbLb0EES1C_IbLb1EEEEDaS18_S19_EUlS18_E_NS1_11comp_targetILNS1_3genE5ELNS1_11target_archE942ELNS1_3gpuE9ELNS1_3repE0EEENS1_30default_config_static_selectorELNS0_4arch9wavefront6targetE0EEEvT1_
    .private_segment_fixed_size: 0
    .sgpr_count:     0
    .sgpr_spill_count: 0
    .symbol:         _ZN7rocprim17ROCPRIM_400000_NS6detail17trampoline_kernelINS0_14default_configENS1_25partition_config_selectorILNS1_17partition_subalgoE5EfNS0_10empty_typeEbEEZZNS1_14partition_implILS5_5ELb0ES3_mN6thrust23THRUST_200600_302600_NS6detail15normal_iteratorINSA_10device_ptrIfEEEEPS6_NSA_18transform_iteratorINSB_9not_fun_tI7is_trueIfEEENSC_INSD_IbEEEENSA_11use_defaultESO_EENS0_5tupleIJSF_S6_EEENSQ_IJSG_SG_EEES6_PlJS6_EEE10hipError_tPvRmT3_T4_T5_T6_T7_T9_mT8_P12ihipStream_tbDpT10_ENKUlT_T0_E_clISt17integral_constantIbLb0EES1C_IbLb1EEEEDaS18_S19_EUlS18_E_NS1_11comp_targetILNS1_3genE5ELNS1_11target_archE942ELNS1_3gpuE9ELNS1_3repE0EEENS1_30default_config_static_selectorELNS0_4arch9wavefront6targetE0EEEvT1_.kd
    .uniform_work_group_size: 1
    .uses_dynamic_stack: false
    .vgpr_count:     0
    .vgpr_spill_count: 0
    .wavefront_size: 32
    .workgroup_processor_mode: 1
  - .args:
      - .offset:         0
        .size:           136
        .value_kind:     by_value
    .group_segment_fixed_size: 0
    .kernarg_segment_align: 8
    .kernarg_segment_size: 136
    .language:       OpenCL C
    .language_version:
      - 2
      - 0
    .max_flat_workgroup_size: 256
    .name:           _ZN7rocprim17ROCPRIM_400000_NS6detail17trampoline_kernelINS0_14default_configENS1_25partition_config_selectorILNS1_17partition_subalgoE5EfNS0_10empty_typeEbEEZZNS1_14partition_implILS5_5ELb0ES3_mN6thrust23THRUST_200600_302600_NS6detail15normal_iteratorINSA_10device_ptrIfEEEEPS6_NSA_18transform_iteratorINSB_9not_fun_tI7is_trueIfEEENSC_INSD_IbEEEENSA_11use_defaultESO_EENS0_5tupleIJSF_S6_EEENSQ_IJSG_SG_EEES6_PlJS6_EEE10hipError_tPvRmT3_T4_T5_T6_T7_T9_mT8_P12ihipStream_tbDpT10_ENKUlT_T0_E_clISt17integral_constantIbLb0EES1C_IbLb1EEEEDaS18_S19_EUlS18_E_NS1_11comp_targetILNS1_3genE4ELNS1_11target_archE910ELNS1_3gpuE8ELNS1_3repE0EEENS1_30default_config_static_selectorELNS0_4arch9wavefront6targetE0EEEvT1_
    .private_segment_fixed_size: 0
    .sgpr_count:     0
    .sgpr_spill_count: 0
    .symbol:         _ZN7rocprim17ROCPRIM_400000_NS6detail17trampoline_kernelINS0_14default_configENS1_25partition_config_selectorILNS1_17partition_subalgoE5EfNS0_10empty_typeEbEEZZNS1_14partition_implILS5_5ELb0ES3_mN6thrust23THRUST_200600_302600_NS6detail15normal_iteratorINSA_10device_ptrIfEEEEPS6_NSA_18transform_iteratorINSB_9not_fun_tI7is_trueIfEEENSC_INSD_IbEEEENSA_11use_defaultESO_EENS0_5tupleIJSF_S6_EEENSQ_IJSG_SG_EEES6_PlJS6_EEE10hipError_tPvRmT3_T4_T5_T6_T7_T9_mT8_P12ihipStream_tbDpT10_ENKUlT_T0_E_clISt17integral_constantIbLb0EES1C_IbLb1EEEEDaS18_S19_EUlS18_E_NS1_11comp_targetILNS1_3genE4ELNS1_11target_archE910ELNS1_3gpuE8ELNS1_3repE0EEENS1_30default_config_static_selectorELNS0_4arch9wavefront6targetE0EEEvT1_.kd
    .uniform_work_group_size: 1
    .uses_dynamic_stack: false
    .vgpr_count:     0
    .vgpr_spill_count: 0
    .wavefront_size: 32
    .workgroup_processor_mode: 1
  - .args:
      - .offset:         0
        .size:           136
        .value_kind:     by_value
    .group_segment_fixed_size: 0
    .kernarg_segment_align: 8
    .kernarg_segment_size: 136
    .language:       OpenCL C
    .language_version:
      - 2
      - 0
    .max_flat_workgroup_size: 512
    .name:           _ZN7rocprim17ROCPRIM_400000_NS6detail17trampoline_kernelINS0_14default_configENS1_25partition_config_selectorILNS1_17partition_subalgoE5EfNS0_10empty_typeEbEEZZNS1_14partition_implILS5_5ELb0ES3_mN6thrust23THRUST_200600_302600_NS6detail15normal_iteratorINSA_10device_ptrIfEEEEPS6_NSA_18transform_iteratorINSB_9not_fun_tI7is_trueIfEEENSC_INSD_IbEEEENSA_11use_defaultESO_EENS0_5tupleIJSF_S6_EEENSQ_IJSG_SG_EEES6_PlJS6_EEE10hipError_tPvRmT3_T4_T5_T6_T7_T9_mT8_P12ihipStream_tbDpT10_ENKUlT_T0_E_clISt17integral_constantIbLb0EES1C_IbLb1EEEEDaS18_S19_EUlS18_E_NS1_11comp_targetILNS1_3genE3ELNS1_11target_archE908ELNS1_3gpuE7ELNS1_3repE0EEENS1_30default_config_static_selectorELNS0_4arch9wavefront6targetE0EEEvT1_
    .private_segment_fixed_size: 0
    .sgpr_count:     0
    .sgpr_spill_count: 0
    .symbol:         _ZN7rocprim17ROCPRIM_400000_NS6detail17trampoline_kernelINS0_14default_configENS1_25partition_config_selectorILNS1_17partition_subalgoE5EfNS0_10empty_typeEbEEZZNS1_14partition_implILS5_5ELb0ES3_mN6thrust23THRUST_200600_302600_NS6detail15normal_iteratorINSA_10device_ptrIfEEEEPS6_NSA_18transform_iteratorINSB_9not_fun_tI7is_trueIfEEENSC_INSD_IbEEEENSA_11use_defaultESO_EENS0_5tupleIJSF_S6_EEENSQ_IJSG_SG_EEES6_PlJS6_EEE10hipError_tPvRmT3_T4_T5_T6_T7_T9_mT8_P12ihipStream_tbDpT10_ENKUlT_T0_E_clISt17integral_constantIbLb0EES1C_IbLb1EEEEDaS18_S19_EUlS18_E_NS1_11comp_targetILNS1_3genE3ELNS1_11target_archE908ELNS1_3gpuE7ELNS1_3repE0EEENS1_30default_config_static_selectorELNS0_4arch9wavefront6targetE0EEEvT1_.kd
    .uniform_work_group_size: 1
    .uses_dynamic_stack: false
    .vgpr_count:     0
    .vgpr_spill_count: 0
    .wavefront_size: 32
    .workgroup_processor_mode: 1
  - .args:
      - .offset:         0
        .size:           136
        .value_kind:     by_value
    .group_segment_fixed_size: 0
    .kernarg_segment_align: 8
    .kernarg_segment_size: 136
    .language:       OpenCL C
    .language_version:
      - 2
      - 0
    .max_flat_workgroup_size: 256
    .name:           _ZN7rocprim17ROCPRIM_400000_NS6detail17trampoline_kernelINS0_14default_configENS1_25partition_config_selectorILNS1_17partition_subalgoE5EfNS0_10empty_typeEbEEZZNS1_14partition_implILS5_5ELb0ES3_mN6thrust23THRUST_200600_302600_NS6detail15normal_iteratorINSA_10device_ptrIfEEEEPS6_NSA_18transform_iteratorINSB_9not_fun_tI7is_trueIfEEENSC_INSD_IbEEEENSA_11use_defaultESO_EENS0_5tupleIJSF_S6_EEENSQ_IJSG_SG_EEES6_PlJS6_EEE10hipError_tPvRmT3_T4_T5_T6_T7_T9_mT8_P12ihipStream_tbDpT10_ENKUlT_T0_E_clISt17integral_constantIbLb0EES1C_IbLb1EEEEDaS18_S19_EUlS18_E_NS1_11comp_targetILNS1_3genE2ELNS1_11target_archE906ELNS1_3gpuE6ELNS1_3repE0EEENS1_30default_config_static_selectorELNS0_4arch9wavefront6targetE0EEEvT1_
    .private_segment_fixed_size: 0
    .sgpr_count:     0
    .sgpr_spill_count: 0
    .symbol:         _ZN7rocprim17ROCPRIM_400000_NS6detail17trampoline_kernelINS0_14default_configENS1_25partition_config_selectorILNS1_17partition_subalgoE5EfNS0_10empty_typeEbEEZZNS1_14partition_implILS5_5ELb0ES3_mN6thrust23THRUST_200600_302600_NS6detail15normal_iteratorINSA_10device_ptrIfEEEEPS6_NSA_18transform_iteratorINSB_9not_fun_tI7is_trueIfEEENSC_INSD_IbEEEENSA_11use_defaultESO_EENS0_5tupleIJSF_S6_EEENSQ_IJSG_SG_EEES6_PlJS6_EEE10hipError_tPvRmT3_T4_T5_T6_T7_T9_mT8_P12ihipStream_tbDpT10_ENKUlT_T0_E_clISt17integral_constantIbLb0EES1C_IbLb1EEEEDaS18_S19_EUlS18_E_NS1_11comp_targetILNS1_3genE2ELNS1_11target_archE906ELNS1_3gpuE6ELNS1_3repE0EEENS1_30default_config_static_selectorELNS0_4arch9wavefront6targetE0EEEvT1_.kd
    .uniform_work_group_size: 1
    .uses_dynamic_stack: false
    .vgpr_count:     0
    .vgpr_spill_count: 0
    .wavefront_size: 32
    .workgroup_processor_mode: 1
  - .args:
      - .offset:         0
        .size:           136
        .value_kind:     by_value
    .group_segment_fixed_size: 10768
    .kernarg_segment_align: 8
    .kernarg_segment_size: 136
    .language:       OpenCL C
    .language_version:
      - 2
      - 0
    .max_flat_workgroup_size: 384
    .name:           _ZN7rocprim17ROCPRIM_400000_NS6detail17trampoline_kernelINS0_14default_configENS1_25partition_config_selectorILNS1_17partition_subalgoE5EfNS0_10empty_typeEbEEZZNS1_14partition_implILS5_5ELb0ES3_mN6thrust23THRUST_200600_302600_NS6detail15normal_iteratorINSA_10device_ptrIfEEEEPS6_NSA_18transform_iteratorINSB_9not_fun_tI7is_trueIfEEENSC_INSD_IbEEEENSA_11use_defaultESO_EENS0_5tupleIJSF_S6_EEENSQ_IJSG_SG_EEES6_PlJS6_EEE10hipError_tPvRmT3_T4_T5_T6_T7_T9_mT8_P12ihipStream_tbDpT10_ENKUlT_T0_E_clISt17integral_constantIbLb0EES1C_IbLb1EEEEDaS18_S19_EUlS18_E_NS1_11comp_targetILNS1_3genE10ELNS1_11target_archE1200ELNS1_3gpuE4ELNS1_3repE0EEENS1_30default_config_static_selectorELNS0_4arch9wavefront6targetE0EEEvT1_
    .private_segment_fixed_size: 0
    .sgpr_count:     26
    .sgpr_spill_count: 0
    .symbol:         _ZN7rocprim17ROCPRIM_400000_NS6detail17trampoline_kernelINS0_14default_configENS1_25partition_config_selectorILNS1_17partition_subalgoE5EfNS0_10empty_typeEbEEZZNS1_14partition_implILS5_5ELb0ES3_mN6thrust23THRUST_200600_302600_NS6detail15normal_iteratorINSA_10device_ptrIfEEEEPS6_NSA_18transform_iteratorINSB_9not_fun_tI7is_trueIfEEENSC_INSD_IbEEEENSA_11use_defaultESO_EENS0_5tupleIJSF_S6_EEENSQ_IJSG_SG_EEES6_PlJS6_EEE10hipError_tPvRmT3_T4_T5_T6_T7_T9_mT8_P12ihipStream_tbDpT10_ENKUlT_T0_E_clISt17integral_constantIbLb0EES1C_IbLb1EEEEDaS18_S19_EUlS18_E_NS1_11comp_targetILNS1_3genE10ELNS1_11target_archE1200ELNS1_3gpuE4ELNS1_3repE0EEENS1_30default_config_static_selectorELNS0_4arch9wavefront6targetE0EEEvT1_.kd
    .uniform_work_group_size: 1
    .uses_dynamic_stack: false
    .vgpr_count:     49
    .vgpr_spill_count: 0
    .wavefront_size: 32
    .workgroup_processor_mode: 1
  - .args:
      - .offset:         0
        .size:           136
        .value_kind:     by_value
    .group_segment_fixed_size: 0
    .kernarg_segment_align: 8
    .kernarg_segment_size: 136
    .language:       OpenCL C
    .language_version:
      - 2
      - 0
    .max_flat_workgroup_size: 128
    .name:           _ZN7rocprim17ROCPRIM_400000_NS6detail17trampoline_kernelINS0_14default_configENS1_25partition_config_selectorILNS1_17partition_subalgoE5EfNS0_10empty_typeEbEEZZNS1_14partition_implILS5_5ELb0ES3_mN6thrust23THRUST_200600_302600_NS6detail15normal_iteratorINSA_10device_ptrIfEEEEPS6_NSA_18transform_iteratorINSB_9not_fun_tI7is_trueIfEEENSC_INSD_IbEEEENSA_11use_defaultESO_EENS0_5tupleIJSF_S6_EEENSQ_IJSG_SG_EEES6_PlJS6_EEE10hipError_tPvRmT3_T4_T5_T6_T7_T9_mT8_P12ihipStream_tbDpT10_ENKUlT_T0_E_clISt17integral_constantIbLb0EES1C_IbLb1EEEEDaS18_S19_EUlS18_E_NS1_11comp_targetILNS1_3genE9ELNS1_11target_archE1100ELNS1_3gpuE3ELNS1_3repE0EEENS1_30default_config_static_selectorELNS0_4arch9wavefront6targetE0EEEvT1_
    .private_segment_fixed_size: 0
    .sgpr_count:     0
    .sgpr_spill_count: 0
    .symbol:         _ZN7rocprim17ROCPRIM_400000_NS6detail17trampoline_kernelINS0_14default_configENS1_25partition_config_selectorILNS1_17partition_subalgoE5EfNS0_10empty_typeEbEEZZNS1_14partition_implILS5_5ELb0ES3_mN6thrust23THRUST_200600_302600_NS6detail15normal_iteratorINSA_10device_ptrIfEEEEPS6_NSA_18transform_iteratorINSB_9not_fun_tI7is_trueIfEEENSC_INSD_IbEEEENSA_11use_defaultESO_EENS0_5tupleIJSF_S6_EEENSQ_IJSG_SG_EEES6_PlJS6_EEE10hipError_tPvRmT3_T4_T5_T6_T7_T9_mT8_P12ihipStream_tbDpT10_ENKUlT_T0_E_clISt17integral_constantIbLb0EES1C_IbLb1EEEEDaS18_S19_EUlS18_E_NS1_11comp_targetILNS1_3genE9ELNS1_11target_archE1100ELNS1_3gpuE3ELNS1_3repE0EEENS1_30default_config_static_selectorELNS0_4arch9wavefront6targetE0EEEvT1_.kd
    .uniform_work_group_size: 1
    .uses_dynamic_stack: false
    .vgpr_count:     0
    .vgpr_spill_count: 0
    .wavefront_size: 32
    .workgroup_processor_mode: 1
  - .args:
      - .offset:         0
        .size:           136
        .value_kind:     by_value
    .group_segment_fixed_size: 0
    .kernarg_segment_align: 8
    .kernarg_segment_size: 136
    .language:       OpenCL C
    .language_version:
      - 2
      - 0
    .max_flat_workgroup_size: 512
    .name:           _ZN7rocprim17ROCPRIM_400000_NS6detail17trampoline_kernelINS0_14default_configENS1_25partition_config_selectorILNS1_17partition_subalgoE5EfNS0_10empty_typeEbEEZZNS1_14partition_implILS5_5ELb0ES3_mN6thrust23THRUST_200600_302600_NS6detail15normal_iteratorINSA_10device_ptrIfEEEEPS6_NSA_18transform_iteratorINSB_9not_fun_tI7is_trueIfEEENSC_INSD_IbEEEENSA_11use_defaultESO_EENS0_5tupleIJSF_S6_EEENSQ_IJSG_SG_EEES6_PlJS6_EEE10hipError_tPvRmT3_T4_T5_T6_T7_T9_mT8_P12ihipStream_tbDpT10_ENKUlT_T0_E_clISt17integral_constantIbLb0EES1C_IbLb1EEEEDaS18_S19_EUlS18_E_NS1_11comp_targetILNS1_3genE8ELNS1_11target_archE1030ELNS1_3gpuE2ELNS1_3repE0EEENS1_30default_config_static_selectorELNS0_4arch9wavefront6targetE0EEEvT1_
    .private_segment_fixed_size: 0
    .sgpr_count:     0
    .sgpr_spill_count: 0
    .symbol:         _ZN7rocprim17ROCPRIM_400000_NS6detail17trampoline_kernelINS0_14default_configENS1_25partition_config_selectorILNS1_17partition_subalgoE5EfNS0_10empty_typeEbEEZZNS1_14partition_implILS5_5ELb0ES3_mN6thrust23THRUST_200600_302600_NS6detail15normal_iteratorINSA_10device_ptrIfEEEEPS6_NSA_18transform_iteratorINSB_9not_fun_tI7is_trueIfEEENSC_INSD_IbEEEENSA_11use_defaultESO_EENS0_5tupleIJSF_S6_EEENSQ_IJSG_SG_EEES6_PlJS6_EEE10hipError_tPvRmT3_T4_T5_T6_T7_T9_mT8_P12ihipStream_tbDpT10_ENKUlT_T0_E_clISt17integral_constantIbLb0EES1C_IbLb1EEEEDaS18_S19_EUlS18_E_NS1_11comp_targetILNS1_3genE8ELNS1_11target_archE1030ELNS1_3gpuE2ELNS1_3repE0EEENS1_30default_config_static_selectorELNS0_4arch9wavefront6targetE0EEEvT1_.kd
    .uniform_work_group_size: 1
    .uses_dynamic_stack: false
    .vgpr_count:     0
    .vgpr_spill_count: 0
    .wavefront_size: 32
    .workgroup_processor_mode: 1
  - .args:
      - .offset:         0
        .size:           120
        .value_kind:     by_value
    .group_segment_fixed_size: 0
    .kernarg_segment_align: 8
    .kernarg_segment_size: 120
    .language:       OpenCL C
    .language_version:
      - 2
      - 0
    .max_flat_workgroup_size: 128
    .name:           _ZN7rocprim17ROCPRIM_400000_NS6detail17trampoline_kernelINS0_14default_configENS1_25partition_config_selectorILNS1_17partition_subalgoE5EyNS0_10empty_typeEbEEZZNS1_14partition_implILS5_5ELb0ES3_mN6thrust23THRUST_200600_302600_NS6detail15normal_iteratorINSA_10device_ptrIyEEEEPS6_NSA_18transform_iteratorINSB_9not_fun_tI7is_trueIyEEENSC_INSD_IbEEEENSA_11use_defaultESO_EENS0_5tupleIJSF_S6_EEENSQ_IJSG_SG_EEES6_PlJS6_EEE10hipError_tPvRmT3_T4_T5_T6_T7_T9_mT8_P12ihipStream_tbDpT10_ENKUlT_T0_E_clISt17integral_constantIbLb0EES1D_EEDaS18_S19_EUlS18_E_NS1_11comp_targetILNS1_3genE0ELNS1_11target_archE4294967295ELNS1_3gpuE0ELNS1_3repE0EEENS1_30default_config_static_selectorELNS0_4arch9wavefront6targetE0EEEvT1_
    .private_segment_fixed_size: 0
    .sgpr_count:     0
    .sgpr_spill_count: 0
    .symbol:         _ZN7rocprim17ROCPRIM_400000_NS6detail17trampoline_kernelINS0_14default_configENS1_25partition_config_selectorILNS1_17partition_subalgoE5EyNS0_10empty_typeEbEEZZNS1_14partition_implILS5_5ELb0ES3_mN6thrust23THRUST_200600_302600_NS6detail15normal_iteratorINSA_10device_ptrIyEEEEPS6_NSA_18transform_iteratorINSB_9not_fun_tI7is_trueIyEEENSC_INSD_IbEEEENSA_11use_defaultESO_EENS0_5tupleIJSF_S6_EEENSQ_IJSG_SG_EEES6_PlJS6_EEE10hipError_tPvRmT3_T4_T5_T6_T7_T9_mT8_P12ihipStream_tbDpT10_ENKUlT_T0_E_clISt17integral_constantIbLb0EES1D_EEDaS18_S19_EUlS18_E_NS1_11comp_targetILNS1_3genE0ELNS1_11target_archE4294967295ELNS1_3gpuE0ELNS1_3repE0EEENS1_30default_config_static_selectorELNS0_4arch9wavefront6targetE0EEEvT1_.kd
    .uniform_work_group_size: 1
    .uses_dynamic_stack: false
    .vgpr_count:     0
    .vgpr_spill_count: 0
    .wavefront_size: 32
    .workgroup_processor_mode: 1
  - .args:
      - .offset:         0
        .size:           120
        .value_kind:     by_value
    .group_segment_fixed_size: 0
    .kernarg_segment_align: 8
    .kernarg_segment_size: 120
    .language:       OpenCL C
    .language_version:
      - 2
      - 0
    .max_flat_workgroup_size: 512
    .name:           _ZN7rocprim17ROCPRIM_400000_NS6detail17trampoline_kernelINS0_14default_configENS1_25partition_config_selectorILNS1_17partition_subalgoE5EyNS0_10empty_typeEbEEZZNS1_14partition_implILS5_5ELb0ES3_mN6thrust23THRUST_200600_302600_NS6detail15normal_iteratorINSA_10device_ptrIyEEEEPS6_NSA_18transform_iteratorINSB_9not_fun_tI7is_trueIyEEENSC_INSD_IbEEEENSA_11use_defaultESO_EENS0_5tupleIJSF_S6_EEENSQ_IJSG_SG_EEES6_PlJS6_EEE10hipError_tPvRmT3_T4_T5_T6_T7_T9_mT8_P12ihipStream_tbDpT10_ENKUlT_T0_E_clISt17integral_constantIbLb0EES1D_EEDaS18_S19_EUlS18_E_NS1_11comp_targetILNS1_3genE5ELNS1_11target_archE942ELNS1_3gpuE9ELNS1_3repE0EEENS1_30default_config_static_selectorELNS0_4arch9wavefront6targetE0EEEvT1_
    .private_segment_fixed_size: 0
    .sgpr_count:     0
    .sgpr_spill_count: 0
    .symbol:         _ZN7rocprim17ROCPRIM_400000_NS6detail17trampoline_kernelINS0_14default_configENS1_25partition_config_selectorILNS1_17partition_subalgoE5EyNS0_10empty_typeEbEEZZNS1_14partition_implILS5_5ELb0ES3_mN6thrust23THRUST_200600_302600_NS6detail15normal_iteratorINSA_10device_ptrIyEEEEPS6_NSA_18transform_iteratorINSB_9not_fun_tI7is_trueIyEEENSC_INSD_IbEEEENSA_11use_defaultESO_EENS0_5tupleIJSF_S6_EEENSQ_IJSG_SG_EEES6_PlJS6_EEE10hipError_tPvRmT3_T4_T5_T6_T7_T9_mT8_P12ihipStream_tbDpT10_ENKUlT_T0_E_clISt17integral_constantIbLb0EES1D_EEDaS18_S19_EUlS18_E_NS1_11comp_targetILNS1_3genE5ELNS1_11target_archE942ELNS1_3gpuE9ELNS1_3repE0EEENS1_30default_config_static_selectorELNS0_4arch9wavefront6targetE0EEEvT1_.kd
    .uniform_work_group_size: 1
    .uses_dynamic_stack: false
    .vgpr_count:     0
    .vgpr_spill_count: 0
    .wavefront_size: 32
    .workgroup_processor_mode: 1
  - .args:
      - .offset:         0
        .size:           120
        .value_kind:     by_value
    .group_segment_fixed_size: 0
    .kernarg_segment_align: 8
    .kernarg_segment_size: 120
    .language:       OpenCL C
    .language_version:
      - 2
      - 0
    .max_flat_workgroup_size: 192
    .name:           _ZN7rocprim17ROCPRIM_400000_NS6detail17trampoline_kernelINS0_14default_configENS1_25partition_config_selectorILNS1_17partition_subalgoE5EyNS0_10empty_typeEbEEZZNS1_14partition_implILS5_5ELb0ES3_mN6thrust23THRUST_200600_302600_NS6detail15normal_iteratorINSA_10device_ptrIyEEEEPS6_NSA_18transform_iteratorINSB_9not_fun_tI7is_trueIyEEENSC_INSD_IbEEEENSA_11use_defaultESO_EENS0_5tupleIJSF_S6_EEENSQ_IJSG_SG_EEES6_PlJS6_EEE10hipError_tPvRmT3_T4_T5_T6_T7_T9_mT8_P12ihipStream_tbDpT10_ENKUlT_T0_E_clISt17integral_constantIbLb0EES1D_EEDaS18_S19_EUlS18_E_NS1_11comp_targetILNS1_3genE4ELNS1_11target_archE910ELNS1_3gpuE8ELNS1_3repE0EEENS1_30default_config_static_selectorELNS0_4arch9wavefront6targetE0EEEvT1_
    .private_segment_fixed_size: 0
    .sgpr_count:     0
    .sgpr_spill_count: 0
    .symbol:         _ZN7rocprim17ROCPRIM_400000_NS6detail17trampoline_kernelINS0_14default_configENS1_25partition_config_selectorILNS1_17partition_subalgoE5EyNS0_10empty_typeEbEEZZNS1_14partition_implILS5_5ELb0ES3_mN6thrust23THRUST_200600_302600_NS6detail15normal_iteratorINSA_10device_ptrIyEEEEPS6_NSA_18transform_iteratorINSB_9not_fun_tI7is_trueIyEEENSC_INSD_IbEEEENSA_11use_defaultESO_EENS0_5tupleIJSF_S6_EEENSQ_IJSG_SG_EEES6_PlJS6_EEE10hipError_tPvRmT3_T4_T5_T6_T7_T9_mT8_P12ihipStream_tbDpT10_ENKUlT_T0_E_clISt17integral_constantIbLb0EES1D_EEDaS18_S19_EUlS18_E_NS1_11comp_targetILNS1_3genE4ELNS1_11target_archE910ELNS1_3gpuE8ELNS1_3repE0EEENS1_30default_config_static_selectorELNS0_4arch9wavefront6targetE0EEEvT1_.kd
    .uniform_work_group_size: 1
    .uses_dynamic_stack: false
    .vgpr_count:     0
    .vgpr_spill_count: 0
    .wavefront_size: 32
    .workgroup_processor_mode: 1
  - .args:
      - .offset:         0
        .size:           120
        .value_kind:     by_value
    .group_segment_fixed_size: 0
    .kernarg_segment_align: 8
    .kernarg_segment_size: 120
    .language:       OpenCL C
    .language_version:
      - 2
      - 0
    .max_flat_workgroup_size: 128
    .name:           _ZN7rocprim17ROCPRIM_400000_NS6detail17trampoline_kernelINS0_14default_configENS1_25partition_config_selectorILNS1_17partition_subalgoE5EyNS0_10empty_typeEbEEZZNS1_14partition_implILS5_5ELb0ES3_mN6thrust23THRUST_200600_302600_NS6detail15normal_iteratorINSA_10device_ptrIyEEEEPS6_NSA_18transform_iteratorINSB_9not_fun_tI7is_trueIyEEENSC_INSD_IbEEEENSA_11use_defaultESO_EENS0_5tupleIJSF_S6_EEENSQ_IJSG_SG_EEES6_PlJS6_EEE10hipError_tPvRmT3_T4_T5_T6_T7_T9_mT8_P12ihipStream_tbDpT10_ENKUlT_T0_E_clISt17integral_constantIbLb0EES1D_EEDaS18_S19_EUlS18_E_NS1_11comp_targetILNS1_3genE3ELNS1_11target_archE908ELNS1_3gpuE7ELNS1_3repE0EEENS1_30default_config_static_selectorELNS0_4arch9wavefront6targetE0EEEvT1_
    .private_segment_fixed_size: 0
    .sgpr_count:     0
    .sgpr_spill_count: 0
    .symbol:         _ZN7rocprim17ROCPRIM_400000_NS6detail17trampoline_kernelINS0_14default_configENS1_25partition_config_selectorILNS1_17partition_subalgoE5EyNS0_10empty_typeEbEEZZNS1_14partition_implILS5_5ELb0ES3_mN6thrust23THRUST_200600_302600_NS6detail15normal_iteratorINSA_10device_ptrIyEEEEPS6_NSA_18transform_iteratorINSB_9not_fun_tI7is_trueIyEEENSC_INSD_IbEEEENSA_11use_defaultESO_EENS0_5tupleIJSF_S6_EEENSQ_IJSG_SG_EEES6_PlJS6_EEE10hipError_tPvRmT3_T4_T5_T6_T7_T9_mT8_P12ihipStream_tbDpT10_ENKUlT_T0_E_clISt17integral_constantIbLb0EES1D_EEDaS18_S19_EUlS18_E_NS1_11comp_targetILNS1_3genE3ELNS1_11target_archE908ELNS1_3gpuE7ELNS1_3repE0EEENS1_30default_config_static_selectorELNS0_4arch9wavefront6targetE0EEEvT1_.kd
    .uniform_work_group_size: 1
    .uses_dynamic_stack: false
    .vgpr_count:     0
    .vgpr_spill_count: 0
    .wavefront_size: 32
    .workgroup_processor_mode: 1
  - .args:
      - .offset:         0
        .size:           120
        .value_kind:     by_value
    .group_segment_fixed_size: 0
    .kernarg_segment_align: 8
    .kernarg_segment_size: 120
    .language:       OpenCL C
    .language_version:
      - 2
      - 0
    .max_flat_workgroup_size: 256
    .name:           _ZN7rocprim17ROCPRIM_400000_NS6detail17trampoline_kernelINS0_14default_configENS1_25partition_config_selectorILNS1_17partition_subalgoE5EyNS0_10empty_typeEbEEZZNS1_14partition_implILS5_5ELb0ES3_mN6thrust23THRUST_200600_302600_NS6detail15normal_iteratorINSA_10device_ptrIyEEEEPS6_NSA_18transform_iteratorINSB_9not_fun_tI7is_trueIyEEENSC_INSD_IbEEEENSA_11use_defaultESO_EENS0_5tupleIJSF_S6_EEENSQ_IJSG_SG_EEES6_PlJS6_EEE10hipError_tPvRmT3_T4_T5_T6_T7_T9_mT8_P12ihipStream_tbDpT10_ENKUlT_T0_E_clISt17integral_constantIbLb0EES1D_EEDaS18_S19_EUlS18_E_NS1_11comp_targetILNS1_3genE2ELNS1_11target_archE906ELNS1_3gpuE6ELNS1_3repE0EEENS1_30default_config_static_selectorELNS0_4arch9wavefront6targetE0EEEvT1_
    .private_segment_fixed_size: 0
    .sgpr_count:     0
    .sgpr_spill_count: 0
    .symbol:         _ZN7rocprim17ROCPRIM_400000_NS6detail17trampoline_kernelINS0_14default_configENS1_25partition_config_selectorILNS1_17partition_subalgoE5EyNS0_10empty_typeEbEEZZNS1_14partition_implILS5_5ELb0ES3_mN6thrust23THRUST_200600_302600_NS6detail15normal_iteratorINSA_10device_ptrIyEEEEPS6_NSA_18transform_iteratorINSB_9not_fun_tI7is_trueIyEEENSC_INSD_IbEEEENSA_11use_defaultESO_EENS0_5tupleIJSF_S6_EEENSQ_IJSG_SG_EEES6_PlJS6_EEE10hipError_tPvRmT3_T4_T5_T6_T7_T9_mT8_P12ihipStream_tbDpT10_ENKUlT_T0_E_clISt17integral_constantIbLb0EES1D_EEDaS18_S19_EUlS18_E_NS1_11comp_targetILNS1_3genE2ELNS1_11target_archE906ELNS1_3gpuE6ELNS1_3repE0EEENS1_30default_config_static_selectorELNS0_4arch9wavefront6targetE0EEEvT1_.kd
    .uniform_work_group_size: 1
    .uses_dynamic_stack: false
    .vgpr_count:     0
    .vgpr_spill_count: 0
    .wavefront_size: 32
    .workgroup_processor_mode: 1
  - .args:
      - .offset:         0
        .size:           120
        .value_kind:     by_value
    .group_segment_fixed_size: 8464
    .kernarg_segment_align: 8
    .kernarg_segment_size: 120
    .language:       OpenCL C
    .language_version:
      - 2
      - 0
    .max_flat_workgroup_size: 256
    .name:           _ZN7rocprim17ROCPRIM_400000_NS6detail17trampoline_kernelINS0_14default_configENS1_25partition_config_selectorILNS1_17partition_subalgoE5EyNS0_10empty_typeEbEEZZNS1_14partition_implILS5_5ELb0ES3_mN6thrust23THRUST_200600_302600_NS6detail15normal_iteratorINSA_10device_ptrIyEEEEPS6_NSA_18transform_iteratorINSB_9not_fun_tI7is_trueIyEEENSC_INSD_IbEEEENSA_11use_defaultESO_EENS0_5tupleIJSF_S6_EEENSQ_IJSG_SG_EEES6_PlJS6_EEE10hipError_tPvRmT3_T4_T5_T6_T7_T9_mT8_P12ihipStream_tbDpT10_ENKUlT_T0_E_clISt17integral_constantIbLb0EES1D_EEDaS18_S19_EUlS18_E_NS1_11comp_targetILNS1_3genE10ELNS1_11target_archE1200ELNS1_3gpuE4ELNS1_3repE0EEENS1_30default_config_static_selectorELNS0_4arch9wavefront6targetE0EEEvT1_
    .private_segment_fixed_size: 0
    .sgpr_count:     25
    .sgpr_spill_count: 0
    .symbol:         _ZN7rocprim17ROCPRIM_400000_NS6detail17trampoline_kernelINS0_14default_configENS1_25partition_config_selectorILNS1_17partition_subalgoE5EyNS0_10empty_typeEbEEZZNS1_14partition_implILS5_5ELb0ES3_mN6thrust23THRUST_200600_302600_NS6detail15normal_iteratorINSA_10device_ptrIyEEEEPS6_NSA_18transform_iteratorINSB_9not_fun_tI7is_trueIyEEENSC_INSD_IbEEEENSA_11use_defaultESO_EENS0_5tupleIJSF_S6_EEENSQ_IJSG_SG_EEES6_PlJS6_EEE10hipError_tPvRmT3_T4_T5_T6_T7_T9_mT8_P12ihipStream_tbDpT10_ENKUlT_T0_E_clISt17integral_constantIbLb0EES1D_EEDaS18_S19_EUlS18_E_NS1_11comp_targetILNS1_3genE10ELNS1_11target_archE1200ELNS1_3gpuE4ELNS1_3repE0EEENS1_30default_config_static_selectorELNS0_4arch9wavefront6targetE0EEEvT1_.kd
    .uniform_work_group_size: 1
    .uses_dynamic_stack: false
    .vgpr_count:     46
    .vgpr_spill_count: 0
    .wavefront_size: 32
    .workgroup_processor_mode: 1
  - .args:
      - .offset:         0
        .size:           120
        .value_kind:     by_value
    .group_segment_fixed_size: 0
    .kernarg_segment_align: 8
    .kernarg_segment_size: 120
    .language:       OpenCL C
    .language_version:
      - 2
      - 0
    .max_flat_workgroup_size: 128
    .name:           _ZN7rocprim17ROCPRIM_400000_NS6detail17trampoline_kernelINS0_14default_configENS1_25partition_config_selectorILNS1_17partition_subalgoE5EyNS0_10empty_typeEbEEZZNS1_14partition_implILS5_5ELb0ES3_mN6thrust23THRUST_200600_302600_NS6detail15normal_iteratorINSA_10device_ptrIyEEEEPS6_NSA_18transform_iteratorINSB_9not_fun_tI7is_trueIyEEENSC_INSD_IbEEEENSA_11use_defaultESO_EENS0_5tupleIJSF_S6_EEENSQ_IJSG_SG_EEES6_PlJS6_EEE10hipError_tPvRmT3_T4_T5_T6_T7_T9_mT8_P12ihipStream_tbDpT10_ENKUlT_T0_E_clISt17integral_constantIbLb0EES1D_EEDaS18_S19_EUlS18_E_NS1_11comp_targetILNS1_3genE9ELNS1_11target_archE1100ELNS1_3gpuE3ELNS1_3repE0EEENS1_30default_config_static_selectorELNS0_4arch9wavefront6targetE0EEEvT1_
    .private_segment_fixed_size: 0
    .sgpr_count:     0
    .sgpr_spill_count: 0
    .symbol:         _ZN7rocprim17ROCPRIM_400000_NS6detail17trampoline_kernelINS0_14default_configENS1_25partition_config_selectorILNS1_17partition_subalgoE5EyNS0_10empty_typeEbEEZZNS1_14partition_implILS5_5ELb0ES3_mN6thrust23THRUST_200600_302600_NS6detail15normal_iteratorINSA_10device_ptrIyEEEEPS6_NSA_18transform_iteratorINSB_9not_fun_tI7is_trueIyEEENSC_INSD_IbEEEENSA_11use_defaultESO_EENS0_5tupleIJSF_S6_EEENSQ_IJSG_SG_EEES6_PlJS6_EEE10hipError_tPvRmT3_T4_T5_T6_T7_T9_mT8_P12ihipStream_tbDpT10_ENKUlT_T0_E_clISt17integral_constantIbLb0EES1D_EEDaS18_S19_EUlS18_E_NS1_11comp_targetILNS1_3genE9ELNS1_11target_archE1100ELNS1_3gpuE3ELNS1_3repE0EEENS1_30default_config_static_selectorELNS0_4arch9wavefront6targetE0EEEvT1_.kd
    .uniform_work_group_size: 1
    .uses_dynamic_stack: false
    .vgpr_count:     0
    .vgpr_spill_count: 0
    .wavefront_size: 32
    .workgroup_processor_mode: 1
  - .args:
      - .offset:         0
        .size:           120
        .value_kind:     by_value
    .group_segment_fixed_size: 0
    .kernarg_segment_align: 8
    .kernarg_segment_size: 120
    .language:       OpenCL C
    .language_version:
      - 2
      - 0
    .max_flat_workgroup_size: 512
    .name:           _ZN7rocprim17ROCPRIM_400000_NS6detail17trampoline_kernelINS0_14default_configENS1_25partition_config_selectorILNS1_17partition_subalgoE5EyNS0_10empty_typeEbEEZZNS1_14partition_implILS5_5ELb0ES3_mN6thrust23THRUST_200600_302600_NS6detail15normal_iteratorINSA_10device_ptrIyEEEEPS6_NSA_18transform_iteratorINSB_9not_fun_tI7is_trueIyEEENSC_INSD_IbEEEENSA_11use_defaultESO_EENS0_5tupleIJSF_S6_EEENSQ_IJSG_SG_EEES6_PlJS6_EEE10hipError_tPvRmT3_T4_T5_T6_T7_T9_mT8_P12ihipStream_tbDpT10_ENKUlT_T0_E_clISt17integral_constantIbLb0EES1D_EEDaS18_S19_EUlS18_E_NS1_11comp_targetILNS1_3genE8ELNS1_11target_archE1030ELNS1_3gpuE2ELNS1_3repE0EEENS1_30default_config_static_selectorELNS0_4arch9wavefront6targetE0EEEvT1_
    .private_segment_fixed_size: 0
    .sgpr_count:     0
    .sgpr_spill_count: 0
    .symbol:         _ZN7rocprim17ROCPRIM_400000_NS6detail17trampoline_kernelINS0_14default_configENS1_25partition_config_selectorILNS1_17partition_subalgoE5EyNS0_10empty_typeEbEEZZNS1_14partition_implILS5_5ELb0ES3_mN6thrust23THRUST_200600_302600_NS6detail15normal_iteratorINSA_10device_ptrIyEEEEPS6_NSA_18transform_iteratorINSB_9not_fun_tI7is_trueIyEEENSC_INSD_IbEEEENSA_11use_defaultESO_EENS0_5tupleIJSF_S6_EEENSQ_IJSG_SG_EEES6_PlJS6_EEE10hipError_tPvRmT3_T4_T5_T6_T7_T9_mT8_P12ihipStream_tbDpT10_ENKUlT_T0_E_clISt17integral_constantIbLb0EES1D_EEDaS18_S19_EUlS18_E_NS1_11comp_targetILNS1_3genE8ELNS1_11target_archE1030ELNS1_3gpuE2ELNS1_3repE0EEENS1_30default_config_static_selectorELNS0_4arch9wavefront6targetE0EEEvT1_.kd
    .uniform_work_group_size: 1
    .uses_dynamic_stack: false
    .vgpr_count:     0
    .vgpr_spill_count: 0
    .wavefront_size: 32
    .workgroup_processor_mode: 1
  - .args:
      - .offset:         0
        .size:           136
        .value_kind:     by_value
    .group_segment_fixed_size: 0
    .kernarg_segment_align: 8
    .kernarg_segment_size: 136
    .language:       OpenCL C
    .language_version:
      - 2
      - 0
    .max_flat_workgroup_size: 128
    .name:           _ZN7rocprim17ROCPRIM_400000_NS6detail17trampoline_kernelINS0_14default_configENS1_25partition_config_selectorILNS1_17partition_subalgoE5EyNS0_10empty_typeEbEEZZNS1_14partition_implILS5_5ELb0ES3_mN6thrust23THRUST_200600_302600_NS6detail15normal_iteratorINSA_10device_ptrIyEEEEPS6_NSA_18transform_iteratorINSB_9not_fun_tI7is_trueIyEEENSC_INSD_IbEEEENSA_11use_defaultESO_EENS0_5tupleIJSF_S6_EEENSQ_IJSG_SG_EEES6_PlJS6_EEE10hipError_tPvRmT3_T4_T5_T6_T7_T9_mT8_P12ihipStream_tbDpT10_ENKUlT_T0_E_clISt17integral_constantIbLb1EES1D_EEDaS18_S19_EUlS18_E_NS1_11comp_targetILNS1_3genE0ELNS1_11target_archE4294967295ELNS1_3gpuE0ELNS1_3repE0EEENS1_30default_config_static_selectorELNS0_4arch9wavefront6targetE0EEEvT1_
    .private_segment_fixed_size: 0
    .sgpr_count:     0
    .sgpr_spill_count: 0
    .symbol:         _ZN7rocprim17ROCPRIM_400000_NS6detail17trampoline_kernelINS0_14default_configENS1_25partition_config_selectorILNS1_17partition_subalgoE5EyNS0_10empty_typeEbEEZZNS1_14partition_implILS5_5ELb0ES3_mN6thrust23THRUST_200600_302600_NS6detail15normal_iteratorINSA_10device_ptrIyEEEEPS6_NSA_18transform_iteratorINSB_9not_fun_tI7is_trueIyEEENSC_INSD_IbEEEENSA_11use_defaultESO_EENS0_5tupleIJSF_S6_EEENSQ_IJSG_SG_EEES6_PlJS6_EEE10hipError_tPvRmT3_T4_T5_T6_T7_T9_mT8_P12ihipStream_tbDpT10_ENKUlT_T0_E_clISt17integral_constantIbLb1EES1D_EEDaS18_S19_EUlS18_E_NS1_11comp_targetILNS1_3genE0ELNS1_11target_archE4294967295ELNS1_3gpuE0ELNS1_3repE0EEENS1_30default_config_static_selectorELNS0_4arch9wavefront6targetE0EEEvT1_.kd
    .uniform_work_group_size: 1
    .uses_dynamic_stack: false
    .vgpr_count:     0
    .vgpr_spill_count: 0
    .wavefront_size: 32
    .workgroup_processor_mode: 1
  - .args:
      - .offset:         0
        .size:           136
        .value_kind:     by_value
    .group_segment_fixed_size: 0
    .kernarg_segment_align: 8
    .kernarg_segment_size: 136
    .language:       OpenCL C
    .language_version:
      - 2
      - 0
    .max_flat_workgroup_size: 512
    .name:           _ZN7rocprim17ROCPRIM_400000_NS6detail17trampoline_kernelINS0_14default_configENS1_25partition_config_selectorILNS1_17partition_subalgoE5EyNS0_10empty_typeEbEEZZNS1_14partition_implILS5_5ELb0ES3_mN6thrust23THRUST_200600_302600_NS6detail15normal_iteratorINSA_10device_ptrIyEEEEPS6_NSA_18transform_iteratorINSB_9not_fun_tI7is_trueIyEEENSC_INSD_IbEEEENSA_11use_defaultESO_EENS0_5tupleIJSF_S6_EEENSQ_IJSG_SG_EEES6_PlJS6_EEE10hipError_tPvRmT3_T4_T5_T6_T7_T9_mT8_P12ihipStream_tbDpT10_ENKUlT_T0_E_clISt17integral_constantIbLb1EES1D_EEDaS18_S19_EUlS18_E_NS1_11comp_targetILNS1_3genE5ELNS1_11target_archE942ELNS1_3gpuE9ELNS1_3repE0EEENS1_30default_config_static_selectorELNS0_4arch9wavefront6targetE0EEEvT1_
    .private_segment_fixed_size: 0
    .sgpr_count:     0
    .sgpr_spill_count: 0
    .symbol:         _ZN7rocprim17ROCPRIM_400000_NS6detail17trampoline_kernelINS0_14default_configENS1_25partition_config_selectorILNS1_17partition_subalgoE5EyNS0_10empty_typeEbEEZZNS1_14partition_implILS5_5ELb0ES3_mN6thrust23THRUST_200600_302600_NS6detail15normal_iteratorINSA_10device_ptrIyEEEEPS6_NSA_18transform_iteratorINSB_9not_fun_tI7is_trueIyEEENSC_INSD_IbEEEENSA_11use_defaultESO_EENS0_5tupleIJSF_S6_EEENSQ_IJSG_SG_EEES6_PlJS6_EEE10hipError_tPvRmT3_T4_T5_T6_T7_T9_mT8_P12ihipStream_tbDpT10_ENKUlT_T0_E_clISt17integral_constantIbLb1EES1D_EEDaS18_S19_EUlS18_E_NS1_11comp_targetILNS1_3genE5ELNS1_11target_archE942ELNS1_3gpuE9ELNS1_3repE0EEENS1_30default_config_static_selectorELNS0_4arch9wavefront6targetE0EEEvT1_.kd
    .uniform_work_group_size: 1
    .uses_dynamic_stack: false
    .vgpr_count:     0
    .vgpr_spill_count: 0
    .wavefront_size: 32
    .workgroup_processor_mode: 1
  - .args:
      - .offset:         0
        .size:           136
        .value_kind:     by_value
    .group_segment_fixed_size: 0
    .kernarg_segment_align: 8
    .kernarg_segment_size: 136
    .language:       OpenCL C
    .language_version:
      - 2
      - 0
    .max_flat_workgroup_size: 192
    .name:           _ZN7rocprim17ROCPRIM_400000_NS6detail17trampoline_kernelINS0_14default_configENS1_25partition_config_selectorILNS1_17partition_subalgoE5EyNS0_10empty_typeEbEEZZNS1_14partition_implILS5_5ELb0ES3_mN6thrust23THRUST_200600_302600_NS6detail15normal_iteratorINSA_10device_ptrIyEEEEPS6_NSA_18transform_iteratorINSB_9not_fun_tI7is_trueIyEEENSC_INSD_IbEEEENSA_11use_defaultESO_EENS0_5tupleIJSF_S6_EEENSQ_IJSG_SG_EEES6_PlJS6_EEE10hipError_tPvRmT3_T4_T5_T6_T7_T9_mT8_P12ihipStream_tbDpT10_ENKUlT_T0_E_clISt17integral_constantIbLb1EES1D_EEDaS18_S19_EUlS18_E_NS1_11comp_targetILNS1_3genE4ELNS1_11target_archE910ELNS1_3gpuE8ELNS1_3repE0EEENS1_30default_config_static_selectorELNS0_4arch9wavefront6targetE0EEEvT1_
    .private_segment_fixed_size: 0
    .sgpr_count:     0
    .sgpr_spill_count: 0
    .symbol:         _ZN7rocprim17ROCPRIM_400000_NS6detail17trampoline_kernelINS0_14default_configENS1_25partition_config_selectorILNS1_17partition_subalgoE5EyNS0_10empty_typeEbEEZZNS1_14partition_implILS5_5ELb0ES3_mN6thrust23THRUST_200600_302600_NS6detail15normal_iteratorINSA_10device_ptrIyEEEEPS6_NSA_18transform_iteratorINSB_9not_fun_tI7is_trueIyEEENSC_INSD_IbEEEENSA_11use_defaultESO_EENS0_5tupleIJSF_S6_EEENSQ_IJSG_SG_EEES6_PlJS6_EEE10hipError_tPvRmT3_T4_T5_T6_T7_T9_mT8_P12ihipStream_tbDpT10_ENKUlT_T0_E_clISt17integral_constantIbLb1EES1D_EEDaS18_S19_EUlS18_E_NS1_11comp_targetILNS1_3genE4ELNS1_11target_archE910ELNS1_3gpuE8ELNS1_3repE0EEENS1_30default_config_static_selectorELNS0_4arch9wavefront6targetE0EEEvT1_.kd
    .uniform_work_group_size: 1
    .uses_dynamic_stack: false
    .vgpr_count:     0
    .vgpr_spill_count: 0
    .wavefront_size: 32
    .workgroup_processor_mode: 1
  - .args:
      - .offset:         0
        .size:           136
        .value_kind:     by_value
    .group_segment_fixed_size: 0
    .kernarg_segment_align: 8
    .kernarg_segment_size: 136
    .language:       OpenCL C
    .language_version:
      - 2
      - 0
    .max_flat_workgroup_size: 128
    .name:           _ZN7rocprim17ROCPRIM_400000_NS6detail17trampoline_kernelINS0_14default_configENS1_25partition_config_selectorILNS1_17partition_subalgoE5EyNS0_10empty_typeEbEEZZNS1_14partition_implILS5_5ELb0ES3_mN6thrust23THRUST_200600_302600_NS6detail15normal_iteratorINSA_10device_ptrIyEEEEPS6_NSA_18transform_iteratorINSB_9not_fun_tI7is_trueIyEEENSC_INSD_IbEEEENSA_11use_defaultESO_EENS0_5tupleIJSF_S6_EEENSQ_IJSG_SG_EEES6_PlJS6_EEE10hipError_tPvRmT3_T4_T5_T6_T7_T9_mT8_P12ihipStream_tbDpT10_ENKUlT_T0_E_clISt17integral_constantIbLb1EES1D_EEDaS18_S19_EUlS18_E_NS1_11comp_targetILNS1_3genE3ELNS1_11target_archE908ELNS1_3gpuE7ELNS1_3repE0EEENS1_30default_config_static_selectorELNS0_4arch9wavefront6targetE0EEEvT1_
    .private_segment_fixed_size: 0
    .sgpr_count:     0
    .sgpr_spill_count: 0
    .symbol:         _ZN7rocprim17ROCPRIM_400000_NS6detail17trampoline_kernelINS0_14default_configENS1_25partition_config_selectorILNS1_17partition_subalgoE5EyNS0_10empty_typeEbEEZZNS1_14partition_implILS5_5ELb0ES3_mN6thrust23THRUST_200600_302600_NS6detail15normal_iteratorINSA_10device_ptrIyEEEEPS6_NSA_18transform_iteratorINSB_9not_fun_tI7is_trueIyEEENSC_INSD_IbEEEENSA_11use_defaultESO_EENS0_5tupleIJSF_S6_EEENSQ_IJSG_SG_EEES6_PlJS6_EEE10hipError_tPvRmT3_T4_T5_T6_T7_T9_mT8_P12ihipStream_tbDpT10_ENKUlT_T0_E_clISt17integral_constantIbLb1EES1D_EEDaS18_S19_EUlS18_E_NS1_11comp_targetILNS1_3genE3ELNS1_11target_archE908ELNS1_3gpuE7ELNS1_3repE0EEENS1_30default_config_static_selectorELNS0_4arch9wavefront6targetE0EEEvT1_.kd
    .uniform_work_group_size: 1
    .uses_dynamic_stack: false
    .vgpr_count:     0
    .vgpr_spill_count: 0
    .wavefront_size: 32
    .workgroup_processor_mode: 1
  - .args:
      - .offset:         0
        .size:           136
        .value_kind:     by_value
    .group_segment_fixed_size: 0
    .kernarg_segment_align: 8
    .kernarg_segment_size: 136
    .language:       OpenCL C
    .language_version:
      - 2
      - 0
    .max_flat_workgroup_size: 256
    .name:           _ZN7rocprim17ROCPRIM_400000_NS6detail17trampoline_kernelINS0_14default_configENS1_25partition_config_selectorILNS1_17partition_subalgoE5EyNS0_10empty_typeEbEEZZNS1_14partition_implILS5_5ELb0ES3_mN6thrust23THRUST_200600_302600_NS6detail15normal_iteratorINSA_10device_ptrIyEEEEPS6_NSA_18transform_iteratorINSB_9not_fun_tI7is_trueIyEEENSC_INSD_IbEEEENSA_11use_defaultESO_EENS0_5tupleIJSF_S6_EEENSQ_IJSG_SG_EEES6_PlJS6_EEE10hipError_tPvRmT3_T4_T5_T6_T7_T9_mT8_P12ihipStream_tbDpT10_ENKUlT_T0_E_clISt17integral_constantIbLb1EES1D_EEDaS18_S19_EUlS18_E_NS1_11comp_targetILNS1_3genE2ELNS1_11target_archE906ELNS1_3gpuE6ELNS1_3repE0EEENS1_30default_config_static_selectorELNS0_4arch9wavefront6targetE0EEEvT1_
    .private_segment_fixed_size: 0
    .sgpr_count:     0
    .sgpr_spill_count: 0
    .symbol:         _ZN7rocprim17ROCPRIM_400000_NS6detail17trampoline_kernelINS0_14default_configENS1_25partition_config_selectorILNS1_17partition_subalgoE5EyNS0_10empty_typeEbEEZZNS1_14partition_implILS5_5ELb0ES3_mN6thrust23THRUST_200600_302600_NS6detail15normal_iteratorINSA_10device_ptrIyEEEEPS6_NSA_18transform_iteratorINSB_9not_fun_tI7is_trueIyEEENSC_INSD_IbEEEENSA_11use_defaultESO_EENS0_5tupleIJSF_S6_EEENSQ_IJSG_SG_EEES6_PlJS6_EEE10hipError_tPvRmT3_T4_T5_T6_T7_T9_mT8_P12ihipStream_tbDpT10_ENKUlT_T0_E_clISt17integral_constantIbLb1EES1D_EEDaS18_S19_EUlS18_E_NS1_11comp_targetILNS1_3genE2ELNS1_11target_archE906ELNS1_3gpuE6ELNS1_3repE0EEENS1_30default_config_static_selectorELNS0_4arch9wavefront6targetE0EEEvT1_.kd
    .uniform_work_group_size: 1
    .uses_dynamic_stack: false
    .vgpr_count:     0
    .vgpr_spill_count: 0
    .wavefront_size: 32
    .workgroup_processor_mode: 1
  - .args:
      - .offset:         0
        .size:           136
        .value_kind:     by_value
    .group_segment_fixed_size: 0
    .kernarg_segment_align: 8
    .kernarg_segment_size: 136
    .language:       OpenCL C
    .language_version:
      - 2
      - 0
    .max_flat_workgroup_size: 256
    .name:           _ZN7rocprim17ROCPRIM_400000_NS6detail17trampoline_kernelINS0_14default_configENS1_25partition_config_selectorILNS1_17partition_subalgoE5EyNS0_10empty_typeEbEEZZNS1_14partition_implILS5_5ELb0ES3_mN6thrust23THRUST_200600_302600_NS6detail15normal_iteratorINSA_10device_ptrIyEEEEPS6_NSA_18transform_iteratorINSB_9not_fun_tI7is_trueIyEEENSC_INSD_IbEEEENSA_11use_defaultESO_EENS0_5tupleIJSF_S6_EEENSQ_IJSG_SG_EEES6_PlJS6_EEE10hipError_tPvRmT3_T4_T5_T6_T7_T9_mT8_P12ihipStream_tbDpT10_ENKUlT_T0_E_clISt17integral_constantIbLb1EES1D_EEDaS18_S19_EUlS18_E_NS1_11comp_targetILNS1_3genE10ELNS1_11target_archE1200ELNS1_3gpuE4ELNS1_3repE0EEENS1_30default_config_static_selectorELNS0_4arch9wavefront6targetE0EEEvT1_
    .private_segment_fixed_size: 0
    .sgpr_count:     0
    .sgpr_spill_count: 0
    .symbol:         _ZN7rocprim17ROCPRIM_400000_NS6detail17trampoline_kernelINS0_14default_configENS1_25partition_config_selectorILNS1_17partition_subalgoE5EyNS0_10empty_typeEbEEZZNS1_14partition_implILS5_5ELb0ES3_mN6thrust23THRUST_200600_302600_NS6detail15normal_iteratorINSA_10device_ptrIyEEEEPS6_NSA_18transform_iteratorINSB_9not_fun_tI7is_trueIyEEENSC_INSD_IbEEEENSA_11use_defaultESO_EENS0_5tupleIJSF_S6_EEENSQ_IJSG_SG_EEES6_PlJS6_EEE10hipError_tPvRmT3_T4_T5_T6_T7_T9_mT8_P12ihipStream_tbDpT10_ENKUlT_T0_E_clISt17integral_constantIbLb1EES1D_EEDaS18_S19_EUlS18_E_NS1_11comp_targetILNS1_3genE10ELNS1_11target_archE1200ELNS1_3gpuE4ELNS1_3repE0EEENS1_30default_config_static_selectorELNS0_4arch9wavefront6targetE0EEEvT1_.kd
    .uniform_work_group_size: 1
    .uses_dynamic_stack: false
    .vgpr_count:     0
    .vgpr_spill_count: 0
    .wavefront_size: 32
    .workgroup_processor_mode: 1
  - .args:
      - .offset:         0
        .size:           136
        .value_kind:     by_value
    .group_segment_fixed_size: 0
    .kernarg_segment_align: 8
    .kernarg_segment_size: 136
    .language:       OpenCL C
    .language_version:
      - 2
      - 0
    .max_flat_workgroup_size: 128
    .name:           _ZN7rocprim17ROCPRIM_400000_NS6detail17trampoline_kernelINS0_14default_configENS1_25partition_config_selectorILNS1_17partition_subalgoE5EyNS0_10empty_typeEbEEZZNS1_14partition_implILS5_5ELb0ES3_mN6thrust23THRUST_200600_302600_NS6detail15normal_iteratorINSA_10device_ptrIyEEEEPS6_NSA_18transform_iteratorINSB_9not_fun_tI7is_trueIyEEENSC_INSD_IbEEEENSA_11use_defaultESO_EENS0_5tupleIJSF_S6_EEENSQ_IJSG_SG_EEES6_PlJS6_EEE10hipError_tPvRmT3_T4_T5_T6_T7_T9_mT8_P12ihipStream_tbDpT10_ENKUlT_T0_E_clISt17integral_constantIbLb1EES1D_EEDaS18_S19_EUlS18_E_NS1_11comp_targetILNS1_3genE9ELNS1_11target_archE1100ELNS1_3gpuE3ELNS1_3repE0EEENS1_30default_config_static_selectorELNS0_4arch9wavefront6targetE0EEEvT1_
    .private_segment_fixed_size: 0
    .sgpr_count:     0
    .sgpr_spill_count: 0
    .symbol:         _ZN7rocprim17ROCPRIM_400000_NS6detail17trampoline_kernelINS0_14default_configENS1_25partition_config_selectorILNS1_17partition_subalgoE5EyNS0_10empty_typeEbEEZZNS1_14partition_implILS5_5ELb0ES3_mN6thrust23THRUST_200600_302600_NS6detail15normal_iteratorINSA_10device_ptrIyEEEEPS6_NSA_18transform_iteratorINSB_9not_fun_tI7is_trueIyEEENSC_INSD_IbEEEENSA_11use_defaultESO_EENS0_5tupleIJSF_S6_EEENSQ_IJSG_SG_EEES6_PlJS6_EEE10hipError_tPvRmT3_T4_T5_T6_T7_T9_mT8_P12ihipStream_tbDpT10_ENKUlT_T0_E_clISt17integral_constantIbLb1EES1D_EEDaS18_S19_EUlS18_E_NS1_11comp_targetILNS1_3genE9ELNS1_11target_archE1100ELNS1_3gpuE3ELNS1_3repE0EEENS1_30default_config_static_selectorELNS0_4arch9wavefront6targetE0EEEvT1_.kd
    .uniform_work_group_size: 1
    .uses_dynamic_stack: false
    .vgpr_count:     0
    .vgpr_spill_count: 0
    .wavefront_size: 32
    .workgroup_processor_mode: 1
  - .args:
      - .offset:         0
        .size:           136
        .value_kind:     by_value
    .group_segment_fixed_size: 0
    .kernarg_segment_align: 8
    .kernarg_segment_size: 136
    .language:       OpenCL C
    .language_version:
      - 2
      - 0
    .max_flat_workgroup_size: 512
    .name:           _ZN7rocprim17ROCPRIM_400000_NS6detail17trampoline_kernelINS0_14default_configENS1_25partition_config_selectorILNS1_17partition_subalgoE5EyNS0_10empty_typeEbEEZZNS1_14partition_implILS5_5ELb0ES3_mN6thrust23THRUST_200600_302600_NS6detail15normal_iteratorINSA_10device_ptrIyEEEEPS6_NSA_18transform_iteratorINSB_9not_fun_tI7is_trueIyEEENSC_INSD_IbEEEENSA_11use_defaultESO_EENS0_5tupleIJSF_S6_EEENSQ_IJSG_SG_EEES6_PlJS6_EEE10hipError_tPvRmT3_T4_T5_T6_T7_T9_mT8_P12ihipStream_tbDpT10_ENKUlT_T0_E_clISt17integral_constantIbLb1EES1D_EEDaS18_S19_EUlS18_E_NS1_11comp_targetILNS1_3genE8ELNS1_11target_archE1030ELNS1_3gpuE2ELNS1_3repE0EEENS1_30default_config_static_selectorELNS0_4arch9wavefront6targetE0EEEvT1_
    .private_segment_fixed_size: 0
    .sgpr_count:     0
    .sgpr_spill_count: 0
    .symbol:         _ZN7rocprim17ROCPRIM_400000_NS6detail17trampoline_kernelINS0_14default_configENS1_25partition_config_selectorILNS1_17partition_subalgoE5EyNS0_10empty_typeEbEEZZNS1_14partition_implILS5_5ELb0ES3_mN6thrust23THRUST_200600_302600_NS6detail15normal_iteratorINSA_10device_ptrIyEEEEPS6_NSA_18transform_iteratorINSB_9not_fun_tI7is_trueIyEEENSC_INSD_IbEEEENSA_11use_defaultESO_EENS0_5tupleIJSF_S6_EEENSQ_IJSG_SG_EEES6_PlJS6_EEE10hipError_tPvRmT3_T4_T5_T6_T7_T9_mT8_P12ihipStream_tbDpT10_ENKUlT_T0_E_clISt17integral_constantIbLb1EES1D_EEDaS18_S19_EUlS18_E_NS1_11comp_targetILNS1_3genE8ELNS1_11target_archE1030ELNS1_3gpuE2ELNS1_3repE0EEENS1_30default_config_static_selectorELNS0_4arch9wavefront6targetE0EEEvT1_.kd
    .uniform_work_group_size: 1
    .uses_dynamic_stack: false
    .vgpr_count:     0
    .vgpr_spill_count: 0
    .wavefront_size: 32
    .workgroup_processor_mode: 1
  - .args:
      - .offset:         0
        .size:           120
        .value_kind:     by_value
    .group_segment_fixed_size: 0
    .kernarg_segment_align: 8
    .kernarg_segment_size: 120
    .language:       OpenCL C
    .language_version:
      - 2
      - 0
    .max_flat_workgroup_size: 128
    .name:           _ZN7rocprim17ROCPRIM_400000_NS6detail17trampoline_kernelINS0_14default_configENS1_25partition_config_selectorILNS1_17partition_subalgoE5EyNS0_10empty_typeEbEEZZNS1_14partition_implILS5_5ELb0ES3_mN6thrust23THRUST_200600_302600_NS6detail15normal_iteratorINSA_10device_ptrIyEEEEPS6_NSA_18transform_iteratorINSB_9not_fun_tI7is_trueIyEEENSC_INSD_IbEEEENSA_11use_defaultESO_EENS0_5tupleIJSF_S6_EEENSQ_IJSG_SG_EEES6_PlJS6_EEE10hipError_tPvRmT3_T4_T5_T6_T7_T9_mT8_P12ihipStream_tbDpT10_ENKUlT_T0_E_clISt17integral_constantIbLb1EES1C_IbLb0EEEEDaS18_S19_EUlS18_E_NS1_11comp_targetILNS1_3genE0ELNS1_11target_archE4294967295ELNS1_3gpuE0ELNS1_3repE0EEENS1_30default_config_static_selectorELNS0_4arch9wavefront6targetE0EEEvT1_
    .private_segment_fixed_size: 0
    .sgpr_count:     0
    .sgpr_spill_count: 0
    .symbol:         _ZN7rocprim17ROCPRIM_400000_NS6detail17trampoline_kernelINS0_14default_configENS1_25partition_config_selectorILNS1_17partition_subalgoE5EyNS0_10empty_typeEbEEZZNS1_14partition_implILS5_5ELb0ES3_mN6thrust23THRUST_200600_302600_NS6detail15normal_iteratorINSA_10device_ptrIyEEEEPS6_NSA_18transform_iteratorINSB_9not_fun_tI7is_trueIyEEENSC_INSD_IbEEEENSA_11use_defaultESO_EENS0_5tupleIJSF_S6_EEENSQ_IJSG_SG_EEES6_PlJS6_EEE10hipError_tPvRmT3_T4_T5_T6_T7_T9_mT8_P12ihipStream_tbDpT10_ENKUlT_T0_E_clISt17integral_constantIbLb1EES1C_IbLb0EEEEDaS18_S19_EUlS18_E_NS1_11comp_targetILNS1_3genE0ELNS1_11target_archE4294967295ELNS1_3gpuE0ELNS1_3repE0EEENS1_30default_config_static_selectorELNS0_4arch9wavefront6targetE0EEEvT1_.kd
    .uniform_work_group_size: 1
    .uses_dynamic_stack: false
    .vgpr_count:     0
    .vgpr_spill_count: 0
    .wavefront_size: 32
    .workgroup_processor_mode: 1
  - .args:
      - .offset:         0
        .size:           120
        .value_kind:     by_value
    .group_segment_fixed_size: 0
    .kernarg_segment_align: 8
    .kernarg_segment_size: 120
    .language:       OpenCL C
    .language_version:
      - 2
      - 0
    .max_flat_workgroup_size: 512
    .name:           _ZN7rocprim17ROCPRIM_400000_NS6detail17trampoline_kernelINS0_14default_configENS1_25partition_config_selectorILNS1_17partition_subalgoE5EyNS0_10empty_typeEbEEZZNS1_14partition_implILS5_5ELb0ES3_mN6thrust23THRUST_200600_302600_NS6detail15normal_iteratorINSA_10device_ptrIyEEEEPS6_NSA_18transform_iteratorINSB_9not_fun_tI7is_trueIyEEENSC_INSD_IbEEEENSA_11use_defaultESO_EENS0_5tupleIJSF_S6_EEENSQ_IJSG_SG_EEES6_PlJS6_EEE10hipError_tPvRmT3_T4_T5_T6_T7_T9_mT8_P12ihipStream_tbDpT10_ENKUlT_T0_E_clISt17integral_constantIbLb1EES1C_IbLb0EEEEDaS18_S19_EUlS18_E_NS1_11comp_targetILNS1_3genE5ELNS1_11target_archE942ELNS1_3gpuE9ELNS1_3repE0EEENS1_30default_config_static_selectorELNS0_4arch9wavefront6targetE0EEEvT1_
    .private_segment_fixed_size: 0
    .sgpr_count:     0
    .sgpr_spill_count: 0
    .symbol:         _ZN7rocprim17ROCPRIM_400000_NS6detail17trampoline_kernelINS0_14default_configENS1_25partition_config_selectorILNS1_17partition_subalgoE5EyNS0_10empty_typeEbEEZZNS1_14partition_implILS5_5ELb0ES3_mN6thrust23THRUST_200600_302600_NS6detail15normal_iteratorINSA_10device_ptrIyEEEEPS6_NSA_18transform_iteratorINSB_9not_fun_tI7is_trueIyEEENSC_INSD_IbEEEENSA_11use_defaultESO_EENS0_5tupleIJSF_S6_EEENSQ_IJSG_SG_EEES6_PlJS6_EEE10hipError_tPvRmT3_T4_T5_T6_T7_T9_mT8_P12ihipStream_tbDpT10_ENKUlT_T0_E_clISt17integral_constantIbLb1EES1C_IbLb0EEEEDaS18_S19_EUlS18_E_NS1_11comp_targetILNS1_3genE5ELNS1_11target_archE942ELNS1_3gpuE9ELNS1_3repE0EEENS1_30default_config_static_selectorELNS0_4arch9wavefront6targetE0EEEvT1_.kd
    .uniform_work_group_size: 1
    .uses_dynamic_stack: false
    .vgpr_count:     0
    .vgpr_spill_count: 0
    .wavefront_size: 32
    .workgroup_processor_mode: 1
  - .args:
      - .offset:         0
        .size:           120
        .value_kind:     by_value
    .group_segment_fixed_size: 0
    .kernarg_segment_align: 8
    .kernarg_segment_size: 120
    .language:       OpenCL C
    .language_version:
      - 2
      - 0
    .max_flat_workgroup_size: 192
    .name:           _ZN7rocprim17ROCPRIM_400000_NS6detail17trampoline_kernelINS0_14default_configENS1_25partition_config_selectorILNS1_17partition_subalgoE5EyNS0_10empty_typeEbEEZZNS1_14partition_implILS5_5ELb0ES3_mN6thrust23THRUST_200600_302600_NS6detail15normal_iteratorINSA_10device_ptrIyEEEEPS6_NSA_18transform_iteratorINSB_9not_fun_tI7is_trueIyEEENSC_INSD_IbEEEENSA_11use_defaultESO_EENS0_5tupleIJSF_S6_EEENSQ_IJSG_SG_EEES6_PlJS6_EEE10hipError_tPvRmT3_T4_T5_T6_T7_T9_mT8_P12ihipStream_tbDpT10_ENKUlT_T0_E_clISt17integral_constantIbLb1EES1C_IbLb0EEEEDaS18_S19_EUlS18_E_NS1_11comp_targetILNS1_3genE4ELNS1_11target_archE910ELNS1_3gpuE8ELNS1_3repE0EEENS1_30default_config_static_selectorELNS0_4arch9wavefront6targetE0EEEvT1_
    .private_segment_fixed_size: 0
    .sgpr_count:     0
    .sgpr_spill_count: 0
    .symbol:         _ZN7rocprim17ROCPRIM_400000_NS6detail17trampoline_kernelINS0_14default_configENS1_25partition_config_selectorILNS1_17partition_subalgoE5EyNS0_10empty_typeEbEEZZNS1_14partition_implILS5_5ELb0ES3_mN6thrust23THRUST_200600_302600_NS6detail15normal_iteratorINSA_10device_ptrIyEEEEPS6_NSA_18transform_iteratorINSB_9not_fun_tI7is_trueIyEEENSC_INSD_IbEEEENSA_11use_defaultESO_EENS0_5tupleIJSF_S6_EEENSQ_IJSG_SG_EEES6_PlJS6_EEE10hipError_tPvRmT3_T4_T5_T6_T7_T9_mT8_P12ihipStream_tbDpT10_ENKUlT_T0_E_clISt17integral_constantIbLb1EES1C_IbLb0EEEEDaS18_S19_EUlS18_E_NS1_11comp_targetILNS1_3genE4ELNS1_11target_archE910ELNS1_3gpuE8ELNS1_3repE0EEENS1_30default_config_static_selectorELNS0_4arch9wavefront6targetE0EEEvT1_.kd
    .uniform_work_group_size: 1
    .uses_dynamic_stack: false
    .vgpr_count:     0
    .vgpr_spill_count: 0
    .wavefront_size: 32
    .workgroup_processor_mode: 1
  - .args:
      - .offset:         0
        .size:           120
        .value_kind:     by_value
    .group_segment_fixed_size: 0
    .kernarg_segment_align: 8
    .kernarg_segment_size: 120
    .language:       OpenCL C
    .language_version:
      - 2
      - 0
    .max_flat_workgroup_size: 128
    .name:           _ZN7rocprim17ROCPRIM_400000_NS6detail17trampoline_kernelINS0_14default_configENS1_25partition_config_selectorILNS1_17partition_subalgoE5EyNS0_10empty_typeEbEEZZNS1_14partition_implILS5_5ELb0ES3_mN6thrust23THRUST_200600_302600_NS6detail15normal_iteratorINSA_10device_ptrIyEEEEPS6_NSA_18transform_iteratorINSB_9not_fun_tI7is_trueIyEEENSC_INSD_IbEEEENSA_11use_defaultESO_EENS0_5tupleIJSF_S6_EEENSQ_IJSG_SG_EEES6_PlJS6_EEE10hipError_tPvRmT3_T4_T5_T6_T7_T9_mT8_P12ihipStream_tbDpT10_ENKUlT_T0_E_clISt17integral_constantIbLb1EES1C_IbLb0EEEEDaS18_S19_EUlS18_E_NS1_11comp_targetILNS1_3genE3ELNS1_11target_archE908ELNS1_3gpuE7ELNS1_3repE0EEENS1_30default_config_static_selectorELNS0_4arch9wavefront6targetE0EEEvT1_
    .private_segment_fixed_size: 0
    .sgpr_count:     0
    .sgpr_spill_count: 0
    .symbol:         _ZN7rocprim17ROCPRIM_400000_NS6detail17trampoline_kernelINS0_14default_configENS1_25partition_config_selectorILNS1_17partition_subalgoE5EyNS0_10empty_typeEbEEZZNS1_14partition_implILS5_5ELb0ES3_mN6thrust23THRUST_200600_302600_NS6detail15normal_iteratorINSA_10device_ptrIyEEEEPS6_NSA_18transform_iteratorINSB_9not_fun_tI7is_trueIyEEENSC_INSD_IbEEEENSA_11use_defaultESO_EENS0_5tupleIJSF_S6_EEENSQ_IJSG_SG_EEES6_PlJS6_EEE10hipError_tPvRmT3_T4_T5_T6_T7_T9_mT8_P12ihipStream_tbDpT10_ENKUlT_T0_E_clISt17integral_constantIbLb1EES1C_IbLb0EEEEDaS18_S19_EUlS18_E_NS1_11comp_targetILNS1_3genE3ELNS1_11target_archE908ELNS1_3gpuE7ELNS1_3repE0EEENS1_30default_config_static_selectorELNS0_4arch9wavefront6targetE0EEEvT1_.kd
    .uniform_work_group_size: 1
    .uses_dynamic_stack: false
    .vgpr_count:     0
    .vgpr_spill_count: 0
    .wavefront_size: 32
    .workgroup_processor_mode: 1
  - .args:
      - .offset:         0
        .size:           120
        .value_kind:     by_value
    .group_segment_fixed_size: 0
    .kernarg_segment_align: 8
    .kernarg_segment_size: 120
    .language:       OpenCL C
    .language_version:
      - 2
      - 0
    .max_flat_workgroup_size: 256
    .name:           _ZN7rocprim17ROCPRIM_400000_NS6detail17trampoline_kernelINS0_14default_configENS1_25partition_config_selectorILNS1_17partition_subalgoE5EyNS0_10empty_typeEbEEZZNS1_14partition_implILS5_5ELb0ES3_mN6thrust23THRUST_200600_302600_NS6detail15normal_iteratorINSA_10device_ptrIyEEEEPS6_NSA_18transform_iteratorINSB_9not_fun_tI7is_trueIyEEENSC_INSD_IbEEEENSA_11use_defaultESO_EENS0_5tupleIJSF_S6_EEENSQ_IJSG_SG_EEES6_PlJS6_EEE10hipError_tPvRmT3_T4_T5_T6_T7_T9_mT8_P12ihipStream_tbDpT10_ENKUlT_T0_E_clISt17integral_constantIbLb1EES1C_IbLb0EEEEDaS18_S19_EUlS18_E_NS1_11comp_targetILNS1_3genE2ELNS1_11target_archE906ELNS1_3gpuE6ELNS1_3repE0EEENS1_30default_config_static_selectorELNS0_4arch9wavefront6targetE0EEEvT1_
    .private_segment_fixed_size: 0
    .sgpr_count:     0
    .sgpr_spill_count: 0
    .symbol:         _ZN7rocprim17ROCPRIM_400000_NS6detail17trampoline_kernelINS0_14default_configENS1_25partition_config_selectorILNS1_17partition_subalgoE5EyNS0_10empty_typeEbEEZZNS1_14partition_implILS5_5ELb0ES3_mN6thrust23THRUST_200600_302600_NS6detail15normal_iteratorINSA_10device_ptrIyEEEEPS6_NSA_18transform_iteratorINSB_9not_fun_tI7is_trueIyEEENSC_INSD_IbEEEENSA_11use_defaultESO_EENS0_5tupleIJSF_S6_EEENSQ_IJSG_SG_EEES6_PlJS6_EEE10hipError_tPvRmT3_T4_T5_T6_T7_T9_mT8_P12ihipStream_tbDpT10_ENKUlT_T0_E_clISt17integral_constantIbLb1EES1C_IbLb0EEEEDaS18_S19_EUlS18_E_NS1_11comp_targetILNS1_3genE2ELNS1_11target_archE906ELNS1_3gpuE6ELNS1_3repE0EEENS1_30default_config_static_selectorELNS0_4arch9wavefront6targetE0EEEvT1_.kd
    .uniform_work_group_size: 1
    .uses_dynamic_stack: false
    .vgpr_count:     0
    .vgpr_spill_count: 0
    .wavefront_size: 32
    .workgroup_processor_mode: 1
  - .args:
      - .offset:         0
        .size:           120
        .value_kind:     by_value
    .group_segment_fixed_size: 0
    .kernarg_segment_align: 8
    .kernarg_segment_size: 120
    .language:       OpenCL C
    .language_version:
      - 2
      - 0
    .max_flat_workgroup_size: 256
    .name:           _ZN7rocprim17ROCPRIM_400000_NS6detail17trampoline_kernelINS0_14default_configENS1_25partition_config_selectorILNS1_17partition_subalgoE5EyNS0_10empty_typeEbEEZZNS1_14partition_implILS5_5ELb0ES3_mN6thrust23THRUST_200600_302600_NS6detail15normal_iteratorINSA_10device_ptrIyEEEEPS6_NSA_18transform_iteratorINSB_9not_fun_tI7is_trueIyEEENSC_INSD_IbEEEENSA_11use_defaultESO_EENS0_5tupleIJSF_S6_EEENSQ_IJSG_SG_EEES6_PlJS6_EEE10hipError_tPvRmT3_T4_T5_T6_T7_T9_mT8_P12ihipStream_tbDpT10_ENKUlT_T0_E_clISt17integral_constantIbLb1EES1C_IbLb0EEEEDaS18_S19_EUlS18_E_NS1_11comp_targetILNS1_3genE10ELNS1_11target_archE1200ELNS1_3gpuE4ELNS1_3repE0EEENS1_30default_config_static_selectorELNS0_4arch9wavefront6targetE0EEEvT1_
    .private_segment_fixed_size: 0
    .sgpr_count:     0
    .sgpr_spill_count: 0
    .symbol:         _ZN7rocprim17ROCPRIM_400000_NS6detail17trampoline_kernelINS0_14default_configENS1_25partition_config_selectorILNS1_17partition_subalgoE5EyNS0_10empty_typeEbEEZZNS1_14partition_implILS5_5ELb0ES3_mN6thrust23THRUST_200600_302600_NS6detail15normal_iteratorINSA_10device_ptrIyEEEEPS6_NSA_18transform_iteratorINSB_9not_fun_tI7is_trueIyEEENSC_INSD_IbEEEENSA_11use_defaultESO_EENS0_5tupleIJSF_S6_EEENSQ_IJSG_SG_EEES6_PlJS6_EEE10hipError_tPvRmT3_T4_T5_T6_T7_T9_mT8_P12ihipStream_tbDpT10_ENKUlT_T0_E_clISt17integral_constantIbLb1EES1C_IbLb0EEEEDaS18_S19_EUlS18_E_NS1_11comp_targetILNS1_3genE10ELNS1_11target_archE1200ELNS1_3gpuE4ELNS1_3repE0EEENS1_30default_config_static_selectorELNS0_4arch9wavefront6targetE0EEEvT1_.kd
    .uniform_work_group_size: 1
    .uses_dynamic_stack: false
    .vgpr_count:     0
    .vgpr_spill_count: 0
    .wavefront_size: 32
    .workgroup_processor_mode: 1
  - .args:
      - .offset:         0
        .size:           120
        .value_kind:     by_value
    .group_segment_fixed_size: 0
    .kernarg_segment_align: 8
    .kernarg_segment_size: 120
    .language:       OpenCL C
    .language_version:
      - 2
      - 0
    .max_flat_workgroup_size: 128
    .name:           _ZN7rocprim17ROCPRIM_400000_NS6detail17trampoline_kernelINS0_14default_configENS1_25partition_config_selectorILNS1_17partition_subalgoE5EyNS0_10empty_typeEbEEZZNS1_14partition_implILS5_5ELb0ES3_mN6thrust23THRUST_200600_302600_NS6detail15normal_iteratorINSA_10device_ptrIyEEEEPS6_NSA_18transform_iteratorINSB_9not_fun_tI7is_trueIyEEENSC_INSD_IbEEEENSA_11use_defaultESO_EENS0_5tupleIJSF_S6_EEENSQ_IJSG_SG_EEES6_PlJS6_EEE10hipError_tPvRmT3_T4_T5_T6_T7_T9_mT8_P12ihipStream_tbDpT10_ENKUlT_T0_E_clISt17integral_constantIbLb1EES1C_IbLb0EEEEDaS18_S19_EUlS18_E_NS1_11comp_targetILNS1_3genE9ELNS1_11target_archE1100ELNS1_3gpuE3ELNS1_3repE0EEENS1_30default_config_static_selectorELNS0_4arch9wavefront6targetE0EEEvT1_
    .private_segment_fixed_size: 0
    .sgpr_count:     0
    .sgpr_spill_count: 0
    .symbol:         _ZN7rocprim17ROCPRIM_400000_NS6detail17trampoline_kernelINS0_14default_configENS1_25partition_config_selectorILNS1_17partition_subalgoE5EyNS0_10empty_typeEbEEZZNS1_14partition_implILS5_5ELb0ES3_mN6thrust23THRUST_200600_302600_NS6detail15normal_iteratorINSA_10device_ptrIyEEEEPS6_NSA_18transform_iteratorINSB_9not_fun_tI7is_trueIyEEENSC_INSD_IbEEEENSA_11use_defaultESO_EENS0_5tupleIJSF_S6_EEENSQ_IJSG_SG_EEES6_PlJS6_EEE10hipError_tPvRmT3_T4_T5_T6_T7_T9_mT8_P12ihipStream_tbDpT10_ENKUlT_T0_E_clISt17integral_constantIbLb1EES1C_IbLb0EEEEDaS18_S19_EUlS18_E_NS1_11comp_targetILNS1_3genE9ELNS1_11target_archE1100ELNS1_3gpuE3ELNS1_3repE0EEENS1_30default_config_static_selectorELNS0_4arch9wavefront6targetE0EEEvT1_.kd
    .uniform_work_group_size: 1
    .uses_dynamic_stack: false
    .vgpr_count:     0
    .vgpr_spill_count: 0
    .wavefront_size: 32
    .workgroup_processor_mode: 1
  - .args:
      - .offset:         0
        .size:           120
        .value_kind:     by_value
    .group_segment_fixed_size: 0
    .kernarg_segment_align: 8
    .kernarg_segment_size: 120
    .language:       OpenCL C
    .language_version:
      - 2
      - 0
    .max_flat_workgroup_size: 512
    .name:           _ZN7rocprim17ROCPRIM_400000_NS6detail17trampoline_kernelINS0_14default_configENS1_25partition_config_selectorILNS1_17partition_subalgoE5EyNS0_10empty_typeEbEEZZNS1_14partition_implILS5_5ELb0ES3_mN6thrust23THRUST_200600_302600_NS6detail15normal_iteratorINSA_10device_ptrIyEEEEPS6_NSA_18transform_iteratorINSB_9not_fun_tI7is_trueIyEEENSC_INSD_IbEEEENSA_11use_defaultESO_EENS0_5tupleIJSF_S6_EEENSQ_IJSG_SG_EEES6_PlJS6_EEE10hipError_tPvRmT3_T4_T5_T6_T7_T9_mT8_P12ihipStream_tbDpT10_ENKUlT_T0_E_clISt17integral_constantIbLb1EES1C_IbLb0EEEEDaS18_S19_EUlS18_E_NS1_11comp_targetILNS1_3genE8ELNS1_11target_archE1030ELNS1_3gpuE2ELNS1_3repE0EEENS1_30default_config_static_selectorELNS0_4arch9wavefront6targetE0EEEvT1_
    .private_segment_fixed_size: 0
    .sgpr_count:     0
    .sgpr_spill_count: 0
    .symbol:         _ZN7rocprim17ROCPRIM_400000_NS6detail17trampoline_kernelINS0_14default_configENS1_25partition_config_selectorILNS1_17partition_subalgoE5EyNS0_10empty_typeEbEEZZNS1_14partition_implILS5_5ELb0ES3_mN6thrust23THRUST_200600_302600_NS6detail15normal_iteratorINSA_10device_ptrIyEEEEPS6_NSA_18transform_iteratorINSB_9not_fun_tI7is_trueIyEEENSC_INSD_IbEEEENSA_11use_defaultESO_EENS0_5tupleIJSF_S6_EEENSQ_IJSG_SG_EEES6_PlJS6_EEE10hipError_tPvRmT3_T4_T5_T6_T7_T9_mT8_P12ihipStream_tbDpT10_ENKUlT_T0_E_clISt17integral_constantIbLb1EES1C_IbLb0EEEEDaS18_S19_EUlS18_E_NS1_11comp_targetILNS1_3genE8ELNS1_11target_archE1030ELNS1_3gpuE2ELNS1_3repE0EEENS1_30default_config_static_selectorELNS0_4arch9wavefront6targetE0EEEvT1_.kd
    .uniform_work_group_size: 1
    .uses_dynamic_stack: false
    .vgpr_count:     0
    .vgpr_spill_count: 0
    .wavefront_size: 32
    .workgroup_processor_mode: 1
  - .args:
      - .offset:         0
        .size:           136
        .value_kind:     by_value
    .group_segment_fixed_size: 0
    .kernarg_segment_align: 8
    .kernarg_segment_size: 136
    .language:       OpenCL C
    .language_version:
      - 2
      - 0
    .max_flat_workgroup_size: 128
    .name:           _ZN7rocprim17ROCPRIM_400000_NS6detail17trampoline_kernelINS0_14default_configENS1_25partition_config_selectorILNS1_17partition_subalgoE5EyNS0_10empty_typeEbEEZZNS1_14partition_implILS5_5ELb0ES3_mN6thrust23THRUST_200600_302600_NS6detail15normal_iteratorINSA_10device_ptrIyEEEEPS6_NSA_18transform_iteratorINSB_9not_fun_tI7is_trueIyEEENSC_INSD_IbEEEENSA_11use_defaultESO_EENS0_5tupleIJSF_S6_EEENSQ_IJSG_SG_EEES6_PlJS6_EEE10hipError_tPvRmT3_T4_T5_T6_T7_T9_mT8_P12ihipStream_tbDpT10_ENKUlT_T0_E_clISt17integral_constantIbLb0EES1C_IbLb1EEEEDaS18_S19_EUlS18_E_NS1_11comp_targetILNS1_3genE0ELNS1_11target_archE4294967295ELNS1_3gpuE0ELNS1_3repE0EEENS1_30default_config_static_selectorELNS0_4arch9wavefront6targetE0EEEvT1_
    .private_segment_fixed_size: 0
    .sgpr_count:     0
    .sgpr_spill_count: 0
    .symbol:         _ZN7rocprim17ROCPRIM_400000_NS6detail17trampoline_kernelINS0_14default_configENS1_25partition_config_selectorILNS1_17partition_subalgoE5EyNS0_10empty_typeEbEEZZNS1_14partition_implILS5_5ELb0ES3_mN6thrust23THRUST_200600_302600_NS6detail15normal_iteratorINSA_10device_ptrIyEEEEPS6_NSA_18transform_iteratorINSB_9not_fun_tI7is_trueIyEEENSC_INSD_IbEEEENSA_11use_defaultESO_EENS0_5tupleIJSF_S6_EEENSQ_IJSG_SG_EEES6_PlJS6_EEE10hipError_tPvRmT3_T4_T5_T6_T7_T9_mT8_P12ihipStream_tbDpT10_ENKUlT_T0_E_clISt17integral_constantIbLb0EES1C_IbLb1EEEEDaS18_S19_EUlS18_E_NS1_11comp_targetILNS1_3genE0ELNS1_11target_archE4294967295ELNS1_3gpuE0ELNS1_3repE0EEENS1_30default_config_static_selectorELNS0_4arch9wavefront6targetE0EEEvT1_.kd
    .uniform_work_group_size: 1
    .uses_dynamic_stack: false
    .vgpr_count:     0
    .vgpr_spill_count: 0
    .wavefront_size: 32
    .workgroup_processor_mode: 1
  - .args:
      - .offset:         0
        .size:           136
        .value_kind:     by_value
    .group_segment_fixed_size: 0
    .kernarg_segment_align: 8
    .kernarg_segment_size: 136
    .language:       OpenCL C
    .language_version:
      - 2
      - 0
    .max_flat_workgroup_size: 512
    .name:           _ZN7rocprim17ROCPRIM_400000_NS6detail17trampoline_kernelINS0_14default_configENS1_25partition_config_selectorILNS1_17partition_subalgoE5EyNS0_10empty_typeEbEEZZNS1_14partition_implILS5_5ELb0ES3_mN6thrust23THRUST_200600_302600_NS6detail15normal_iteratorINSA_10device_ptrIyEEEEPS6_NSA_18transform_iteratorINSB_9not_fun_tI7is_trueIyEEENSC_INSD_IbEEEENSA_11use_defaultESO_EENS0_5tupleIJSF_S6_EEENSQ_IJSG_SG_EEES6_PlJS6_EEE10hipError_tPvRmT3_T4_T5_T6_T7_T9_mT8_P12ihipStream_tbDpT10_ENKUlT_T0_E_clISt17integral_constantIbLb0EES1C_IbLb1EEEEDaS18_S19_EUlS18_E_NS1_11comp_targetILNS1_3genE5ELNS1_11target_archE942ELNS1_3gpuE9ELNS1_3repE0EEENS1_30default_config_static_selectorELNS0_4arch9wavefront6targetE0EEEvT1_
    .private_segment_fixed_size: 0
    .sgpr_count:     0
    .sgpr_spill_count: 0
    .symbol:         _ZN7rocprim17ROCPRIM_400000_NS6detail17trampoline_kernelINS0_14default_configENS1_25partition_config_selectorILNS1_17partition_subalgoE5EyNS0_10empty_typeEbEEZZNS1_14partition_implILS5_5ELb0ES3_mN6thrust23THRUST_200600_302600_NS6detail15normal_iteratorINSA_10device_ptrIyEEEEPS6_NSA_18transform_iteratorINSB_9not_fun_tI7is_trueIyEEENSC_INSD_IbEEEENSA_11use_defaultESO_EENS0_5tupleIJSF_S6_EEENSQ_IJSG_SG_EEES6_PlJS6_EEE10hipError_tPvRmT3_T4_T5_T6_T7_T9_mT8_P12ihipStream_tbDpT10_ENKUlT_T0_E_clISt17integral_constantIbLb0EES1C_IbLb1EEEEDaS18_S19_EUlS18_E_NS1_11comp_targetILNS1_3genE5ELNS1_11target_archE942ELNS1_3gpuE9ELNS1_3repE0EEENS1_30default_config_static_selectorELNS0_4arch9wavefront6targetE0EEEvT1_.kd
    .uniform_work_group_size: 1
    .uses_dynamic_stack: false
    .vgpr_count:     0
    .vgpr_spill_count: 0
    .wavefront_size: 32
    .workgroup_processor_mode: 1
  - .args:
      - .offset:         0
        .size:           136
        .value_kind:     by_value
    .group_segment_fixed_size: 0
    .kernarg_segment_align: 8
    .kernarg_segment_size: 136
    .language:       OpenCL C
    .language_version:
      - 2
      - 0
    .max_flat_workgroup_size: 192
    .name:           _ZN7rocprim17ROCPRIM_400000_NS6detail17trampoline_kernelINS0_14default_configENS1_25partition_config_selectorILNS1_17partition_subalgoE5EyNS0_10empty_typeEbEEZZNS1_14partition_implILS5_5ELb0ES3_mN6thrust23THRUST_200600_302600_NS6detail15normal_iteratorINSA_10device_ptrIyEEEEPS6_NSA_18transform_iteratorINSB_9not_fun_tI7is_trueIyEEENSC_INSD_IbEEEENSA_11use_defaultESO_EENS0_5tupleIJSF_S6_EEENSQ_IJSG_SG_EEES6_PlJS6_EEE10hipError_tPvRmT3_T4_T5_T6_T7_T9_mT8_P12ihipStream_tbDpT10_ENKUlT_T0_E_clISt17integral_constantIbLb0EES1C_IbLb1EEEEDaS18_S19_EUlS18_E_NS1_11comp_targetILNS1_3genE4ELNS1_11target_archE910ELNS1_3gpuE8ELNS1_3repE0EEENS1_30default_config_static_selectorELNS0_4arch9wavefront6targetE0EEEvT1_
    .private_segment_fixed_size: 0
    .sgpr_count:     0
    .sgpr_spill_count: 0
    .symbol:         _ZN7rocprim17ROCPRIM_400000_NS6detail17trampoline_kernelINS0_14default_configENS1_25partition_config_selectorILNS1_17partition_subalgoE5EyNS0_10empty_typeEbEEZZNS1_14partition_implILS5_5ELb0ES3_mN6thrust23THRUST_200600_302600_NS6detail15normal_iteratorINSA_10device_ptrIyEEEEPS6_NSA_18transform_iteratorINSB_9not_fun_tI7is_trueIyEEENSC_INSD_IbEEEENSA_11use_defaultESO_EENS0_5tupleIJSF_S6_EEENSQ_IJSG_SG_EEES6_PlJS6_EEE10hipError_tPvRmT3_T4_T5_T6_T7_T9_mT8_P12ihipStream_tbDpT10_ENKUlT_T0_E_clISt17integral_constantIbLb0EES1C_IbLb1EEEEDaS18_S19_EUlS18_E_NS1_11comp_targetILNS1_3genE4ELNS1_11target_archE910ELNS1_3gpuE8ELNS1_3repE0EEENS1_30default_config_static_selectorELNS0_4arch9wavefront6targetE0EEEvT1_.kd
    .uniform_work_group_size: 1
    .uses_dynamic_stack: false
    .vgpr_count:     0
    .vgpr_spill_count: 0
    .wavefront_size: 32
    .workgroup_processor_mode: 1
  - .args:
      - .offset:         0
        .size:           136
        .value_kind:     by_value
    .group_segment_fixed_size: 0
    .kernarg_segment_align: 8
    .kernarg_segment_size: 136
    .language:       OpenCL C
    .language_version:
      - 2
      - 0
    .max_flat_workgroup_size: 128
    .name:           _ZN7rocprim17ROCPRIM_400000_NS6detail17trampoline_kernelINS0_14default_configENS1_25partition_config_selectorILNS1_17partition_subalgoE5EyNS0_10empty_typeEbEEZZNS1_14partition_implILS5_5ELb0ES3_mN6thrust23THRUST_200600_302600_NS6detail15normal_iteratorINSA_10device_ptrIyEEEEPS6_NSA_18transform_iteratorINSB_9not_fun_tI7is_trueIyEEENSC_INSD_IbEEEENSA_11use_defaultESO_EENS0_5tupleIJSF_S6_EEENSQ_IJSG_SG_EEES6_PlJS6_EEE10hipError_tPvRmT3_T4_T5_T6_T7_T9_mT8_P12ihipStream_tbDpT10_ENKUlT_T0_E_clISt17integral_constantIbLb0EES1C_IbLb1EEEEDaS18_S19_EUlS18_E_NS1_11comp_targetILNS1_3genE3ELNS1_11target_archE908ELNS1_3gpuE7ELNS1_3repE0EEENS1_30default_config_static_selectorELNS0_4arch9wavefront6targetE0EEEvT1_
    .private_segment_fixed_size: 0
    .sgpr_count:     0
    .sgpr_spill_count: 0
    .symbol:         _ZN7rocprim17ROCPRIM_400000_NS6detail17trampoline_kernelINS0_14default_configENS1_25partition_config_selectorILNS1_17partition_subalgoE5EyNS0_10empty_typeEbEEZZNS1_14partition_implILS5_5ELb0ES3_mN6thrust23THRUST_200600_302600_NS6detail15normal_iteratorINSA_10device_ptrIyEEEEPS6_NSA_18transform_iteratorINSB_9not_fun_tI7is_trueIyEEENSC_INSD_IbEEEENSA_11use_defaultESO_EENS0_5tupleIJSF_S6_EEENSQ_IJSG_SG_EEES6_PlJS6_EEE10hipError_tPvRmT3_T4_T5_T6_T7_T9_mT8_P12ihipStream_tbDpT10_ENKUlT_T0_E_clISt17integral_constantIbLb0EES1C_IbLb1EEEEDaS18_S19_EUlS18_E_NS1_11comp_targetILNS1_3genE3ELNS1_11target_archE908ELNS1_3gpuE7ELNS1_3repE0EEENS1_30default_config_static_selectorELNS0_4arch9wavefront6targetE0EEEvT1_.kd
    .uniform_work_group_size: 1
    .uses_dynamic_stack: false
    .vgpr_count:     0
    .vgpr_spill_count: 0
    .wavefront_size: 32
    .workgroup_processor_mode: 1
  - .args:
      - .offset:         0
        .size:           136
        .value_kind:     by_value
    .group_segment_fixed_size: 0
    .kernarg_segment_align: 8
    .kernarg_segment_size: 136
    .language:       OpenCL C
    .language_version:
      - 2
      - 0
    .max_flat_workgroup_size: 256
    .name:           _ZN7rocprim17ROCPRIM_400000_NS6detail17trampoline_kernelINS0_14default_configENS1_25partition_config_selectorILNS1_17partition_subalgoE5EyNS0_10empty_typeEbEEZZNS1_14partition_implILS5_5ELb0ES3_mN6thrust23THRUST_200600_302600_NS6detail15normal_iteratorINSA_10device_ptrIyEEEEPS6_NSA_18transform_iteratorINSB_9not_fun_tI7is_trueIyEEENSC_INSD_IbEEEENSA_11use_defaultESO_EENS0_5tupleIJSF_S6_EEENSQ_IJSG_SG_EEES6_PlJS6_EEE10hipError_tPvRmT3_T4_T5_T6_T7_T9_mT8_P12ihipStream_tbDpT10_ENKUlT_T0_E_clISt17integral_constantIbLb0EES1C_IbLb1EEEEDaS18_S19_EUlS18_E_NS1_11comp_targetILNS1_3genE2ELNS1_11target_archE906ELNS1_3gpuE6ELNS1_3repE0EEENS1_30default_config_static_selectorELNS0_4arch9wavefront6targetE0EEEvT1_
    .private_segment_fixed_size: 0
    .sgpr_count:     0
    .sgpr_spill_count: 0
    .symbol:         _ZN7rocprim17ROCPRIM_400000_NS6detail17trampoline_kernelINS0_14default_configENS1_25partition_config_selectorILNS1_17partition_subalgoE5EyNS0_10empty_typeEbEEZZNS1_14partition_implILS5_5ELb0ES3_mN6thrust23THRUST_200600_302600_NS6detail15normal_iteratorINSA_10device_ptrIyEEEEPS6_NSA_18transform_iteratorINSB_9not_fun_tI7is_trueIyEEENSC_INSD_IbEEEENSA_11use_defaultESO_EENS0_5tupleIJSF_S6_EEENSQ_IJSG_SG_EEES6_PlJS6_EEE10hipError_tPvRmT3_T4_T5_T6_T7_T9_mT8_P12ihipStream_tbDpT10_ENKUlT_T0_E_clISt17integral_constantIbLb0EES1C_IbLb1EEEEDaS18_S19_EUlS18_E_NS1_11comp_targetILNS1_3genE2ELNS1_11target_archE906ELNS1_3gpuE6ELNS1_3repE0EEENS1_30default_config_static_selectorELNS0_4arch9wavefront6targetE0EEEvT1_.kd
    .uniform_work_group_size: 1
    .uses_dynamic_stack: false
    .vgpr_count:     0
    .vgpr_spill_count: 0
    .wavefront_size: 32
    .workgroup_processor_mode: 1
  - .args:
      - .offset:         0
        .size:           136
        .value_kind:     by_value
    .group_segment_fixed_size: 8464
    .kernarg_segment_align: 8
    .kernarg_segment_size: 136
    .language:       OpenCL C
    .language_version:
      - 2
      - 0
    .max_flat_workgroup_size: 256
    .name:           _ZN7rocprim17ROCPRIM_400000_NS6detail17trampoline_kernelINS0_14default_configENS1_25partition_config_selectorILNS1_17partition_subalgoE5EyNS0_10empty_typeEbEEZZNS1_14partition_implILS5_5ELb0ES3_mN6thrust23THRUST_200600_302600_NS6detail15normal_iteratorINSA_10device_ptrIyEEEEPS6_NSA_18transform_iteratorINSB_9not_fun_tI7is_trueIyEEENSC_INSD_IbEEEENSA_11use_defaultESO_EENS0_5tupleIJSF_S6_EEENSQ_IJSG_SG_EEES6_PlJS6_EEE10hipError_tPvRmT3_T4_T5_T6_T7_T9_mT8_P12ihipStream_tbDpT10_ENKUlT_T0_E_clISt17integral_constantIbLb0EES1C_IbLb1EEEEDaS18_S19_EUlS18_E_NS1_11comp_targetILNS1_3genE10ELNS1_11target_archE1200ELNS1_3gpuE4ELNS1_3repE0EEENS1_30default_config_static_selectorELNS0_4arch9wavefront6targetE0EEEvT1_
    .private_segment_fixed_size: 0
    .sgpr_count:     27
    .sgpr_spill_count: 0
    .symbol:         _ZN7rocprim17ROCPRIM_400000_NS6detail17trampoline_kernelINS0_14default_configENS1_25partition_config_selectorILNS1_17partition_subalgoE5EyNS0_10empty_typeEbEEZZNS1_14partition_implILS5_5ELb0ES3_mN6thrust23THRUST_200600_302600_NS6detail15normal_iteratorINSA_10device_ptrIyEEEEPS6_NSA_18transform_iteratorINSB_9not_fun_tI7is_trueIyEEENSC_INSD_IbEEEENSA_11use_defaultESO_EENS0_5tupleIJSF_S6_EEENSQ_IJSG_SG_EEES6_PlJS6_EEE10hipError_tPvRmT3_T4_T5_T6_T7_T9_mT8_P12ihipStream_tbDpT10_ENKUlT_T0_E_clISt17integral_constantIbLb0EES1C_IbLb1EEEEDaS18_S19_EUlS18_E_NS1_11comp_targetILNS1_3genE10ELNS1_11target_archE1200ELNS1_3gpuE4ELNS1_3repE0EEENS1_30default_config_static_selectorELNS0_4arch9wavefront6targetE0EEEvT1_.kd
    .uniform_work_group_size: 1
    .uses_dynamic_stack: false
    .vgpr_count:     48
    .vgpr_spill_count: 0
    .wavefront_size: 32
    .workgroup_processor_mode: 1
  - .args:
      - .offset:         0
        .size:           136
        .value_kind:     by_value
    .group_segment_fixed_size: 0
    .kernarg_segment_align: 8
    .kernarg_segment_size: 136
    .language:       OpenCL C
    .language_version:
      - 2
      - 0
    .max_flat_workgroup_size: 128
    .name:           _ZN7rocprim17ROCPRIM_400000_NS6detail17trampoline_kernelINS0_14default_configENS1_25partition_config_selectorILNS1_17partition_subalgoE5EyNS0_10empty_typeEbEEZZNS1_14partition_implILS5_5ELb0ES3_mN6thrust23THRUST_200600_302600_NS6detail15normal_iteratorINSA_10device_ptrIyEEEEPS6_NSA_18transform_iteratorINSB_9not_fun_tI7is_trueIyEEENSC_INSD_IbEEEENSA_11use_defaultESO_EENS0_5tupleIJSF_S6_EEENSQ_IJSG_SG_EEES6_PlJS6_EEE10hipError_tPvRmT3_T4_T5_T6_T7_T9_mT8_P12ihipStream_tbDpT10_ENKUlT_T0_E_clISt17integral_constantIbLb0EES1C_IbLb1EEEEDaS18_S19_EUlS18_E_NS1_11comp_targetILNS1_3genE9ELNS1_11target_archE1100ELNS1_3gpuE3ELNS1_3repE0EEENS1_30default_config_static_selectorELNS0_4arch9wavefront6targetE0EEEvT1_
    .private_segment_fixed_size: 0
    .sgpr_count:     0
    .sgpr_spill_count: 0
    .symbol:         _ZN7rocprim17ROCPRIM_400000_NS6detail17trampoline_kernelINS0_14default_configENS1_25partition_config_selectorILNS1_17partition_subalgoE5EyNS0_10empty_typeEbEEZZNS1_14partition_implILS5_5ELb0ES3_mN6thrust23THRUST_200600_302600_NS6detail15normal_iteratorINSA_10device_ptrIyEEEEPS6_NSA_18transform_iteratorINSB_9not_fun_tI7is_trueIyEEENSC_INSD_IbEEEENSA_11use_defaultESO_EENS0_5tupleIJSF_S6_EEENSQ_IJSG_SG_EEES6_PlJS6_EEE10hipError_tPvRmT3_T4_T5_T6_T7_T9_mT8_P12ihipStream_tbDpT10_ENKUlT_T0_E_clISt17integral_constantIbLb0EES1C_IbLb1EEEEDaS18_S19_EUlS18_E_NS1_11comp_targetILNS1_3genE9ELNS1_11target_archE1100ELNS1_3gpuE3ELNS1_3repE0EEENS1_30default_config_static_selectorELNS0_4arch9wavefront6targetE0EEEvT1_.kd
    .uniform_work_group_size: 1
    .uses_dynamic_stack: false
    .vgpr_count:     0
    .vgpr_spill_count: 0
    .wavefront_size: 32
    .workgroup_processor_mode: 1
  - .args:
      - .offset:         0
        .size:           136
        .value_kind:     by_value
    .group_segment_fixed_size: 0
    .kernarg_segment_align: 8
    .kernarg_segment_size: 136
    .language:       OpenCL C
    .language_version:
      - 2
      - 0
    .max_flat_workgroup_size: 512
    .name:           _ZN7rocprim17ROCPRIM_400000_NS6detail17trampoline_kernelINS0_14default_configENS1_25partition_config_selectorILNS1_17partition_subalgoE5EyNS0_10empty_typeEbEEZZNS1_14partition_implILS5_5ELb0ES3_mN6thrust23THRUST_200600_302600_NS6detail15normal_iteratorINSA_10device_ptrIyEEEEPS6_NSA_18transform_iteratorINSB_9not_fun_tI7is_trueIyEEENSC_INSD_IbEEEENSA_11use_defaultESO_EENS0_5tupleIJSF_S6_EEENSQ_IJSG_SG_EEES6_PlJS6_EEE10hipError_tPvRmT3_T4_T5_T6_T7_T9_mT8_P12ihipStream_tbDpT10_ENKUlT_T0_E_clISt17integral_constantIbLb0EES1C_IbLb1EEEEDaS18_S19_EUlS18_E_NS1_11comp_targetILNS1_3genE8ELNS1_11target_archE1030ELNS1_3gpuE2ELNS1_3repE0EEENS1_30default_config_static_selectorELNS0_4arch9wavefront6targetE0EEEvT1_
    .private_segment_fixed_size: 0
    .sgpr_count:     0
    .sgpr_spill_count: 0
    .symbol:         _ZN7rocprim17ROCPRIM_400000_NS6detail17trampoline_kernelINS0_14default_configENS1_25partition_config_selectorILNS1_17partition_subalgoE5EyNS0_10empty_typeEbEEZZNS1_14partition_implILS5_5ELb0ES3_mN6thrust23THRUST_200600_302600_NS6detail15normal_iteratorINSA_10device_ptrIyEEEEPS6_NSA_18transform_iteratorINSB_9not_fun_tI7is_trueIyEEENSC_INSD_IbEEEENSA_11use_defaultESO_EENS0_5tupleIJSF_S6_EEENSQ_IJSG_SG_EEES6_PlJS6_EEE10hipError_tPvRmT3_T4_T5_T6_T7_T9_mT8_P12ihipStream_tbDpT10_ENKUlT_T0_E_clISt17integral_constantIbLb0EES1C_IbLb1EEEEDaS18_S19_EUlS18_E_NS1_11comp_targetILNS1_3genE8ELNS1_11target_archE1030ELNS1_3gpuE2ELNS1_3repE0EEENS1_30default_config_static_selectorELNS0_4arch9wavefront6targetE0EEEvT1_.kd
    .uniform_work_group_size: 1
    .uses_dynamic_stack: false
    .vgpr_count:     0
    .vgpr_spill_count: 0
    .wavefront_size: 32
    .workgroup_processor_mode: 1
  - .args:
      - .offset:         0
        .size:           120
        .value_kind:     by_value
    .group_segment_fixed_size: 0
    .kernarg_segment_align: 8
    .kernarg_segment_size: 120
    .language:       OpenCL C
    .language_version:
      - 2
      - 0
    .max_flat_workgroup_size: 512
    .name:           _ZN7rocprim17ROCPRIM_400000_NS6detail17trampoline_kernelINS0_14default_configENS1_25partition_config_selectorILNS1_17partition_subalgoE5EjNS0_10empty_typeEbEEZZNS1_14partition_implILS5_5ELb0ES3_mN6thrust23THRUST_200600_302600_NS6detail15normal_iteratorINSA_10device_ptrIjEEEEPS6_NSA_18transform_iteratorINSB_9not_fun_tI7is_trueIjEEENSC_INSD_IbEEEENSA_11use_defaultESO_EENS0_5tupleIJSF_S6_EEENSQ_IJSG_SG_EEES6_PlJS6_EEE10hipError_tPvRmT3_T4_T5_T6_T7_T9_mT8_P12ihipStream_tbDpT10_ENKUlT_T0_E_clISt17integral_constantIbLb0EES1D_EEDaS18_S19_EUlS18_E_NS1_11comp_targetILNS1_3genE0ELNS1_11target_archE4294967295ELNS1_3gpuE0ELNS1_3repE0EEENS1_30default_config_static_selectorELNS0_4arch9wavefront6targetE0EEEvT1_
    .private_segment_fixed_size: 0
    .sgpr_count:     0
    .sgpr_spill_count: 0
    .symbol:         _ZN7rocprim17ROCPRIM_400000_NS6detail17trampoline_kernelINS0_14default_configENS1_25partition_config_selectorILNS1_17partition_subalgoE5EjNS0_10empty_typeEbEEZZNS1_14partition_implILS5_5ELb0ES3_mN6thrust23THRUST_200600_302600_NS6detail15normal_iteratorINSA_10device_ptrIjEEEEPS6_NSA_18transform_iteratorINSB_9not_fun_tI7is_trueIjEEENSC_INSD_IbEEEENSA_11use_defaultESO_EENS0_5tupleIJSF_S6_EEENSQ_IJSG_SG_EEES6_PlJS6_EEE10hipError_tPvRmT3_T4_T5_T6_T7_T9_mT8_P12ihipStream_tbDpT10_ENKUlT_T0_E_clISt17integral_constantIbLb0EES1D_EEDaS18_S19_EUlS18_E_NS1_11comp_targetILNS1_3genE0ELNS1_11target_archE4294967295ELNS1_3gpuE0ELNS1_3repE0EEENS1_30default_config_static_selectorELNS0_4arch9wavefront6targetE0EEEvT1_.kd
    .uniform_work_group_size: 1
    .uses_dynamic_stack: false
    .vgpr_count:     0
    .vgpr_spill_count: 0
    .wavefront_size: 32
    .workgroup_processor_mode: 1
  - .args:
      - .offset:         0
        .size:           120
        .value_kind:     by_value
    .group_segment_fixed_size: 0
    .kernarg_segment_align: 8
    .kernarg_segment_size: 120
    .language:       OpenCL C
    .language_version:
      - 2
      - 0
    .max_flat_workgroup_size: 512
    .name:           _ZN7rocprim17ROCPRIM_400000_NS6detail17trampoline_kernelINS0_14default_configENS1_25partition_config_selectorILNS1_17partition_subalgoE5EjNS0_10empty_typeEbEEZZNS1_14partition_implILS5_5ELb0ES3_mN6thrust23THRUST_200600_302600_NS6detail15normal_iteratorINSA_10device_ptrIjEEEEPS6_NSA_18transform_iteratorINSB_9not_fun_tI7is_trueIjEEENSC_INSD_IbEEEENSA_11use_defaultESO_EENS0_5tupleIJSF_S6_EEENSQ_IJSG_SG_EEES6_PlJS6_EEE10hipError_tPvRmT3_T4_T5_T6_T7_T9_mT8_P12ihipStream_tbDpT10_ENKUlT_T0_E_clISt17integral_constantIbLb0EES1D_EEDaS18_S19_EUlS18_E_NS1_11comp_targetILNS1_3genE5ELNS1_11target_archE942ELNS1_3gpuE9ELNS1_3repE0EEENS1_30default_config_static_selectorELNS0_4arch9wavefront6targetE0EEEvT1_
    .private_segment_fixed_size: 0
    .sgpr_count:     0
    .sgpr_spill_count: 0
    .symbol:         _ZN7rocprim17ROCPRIM_400000_NS6detail17trampoline_kernelINS0_14default_configENS1_25partition_config_selectorILNS1_17partition_subalgoE5EjNS0_10empty_typeEbEEZZNS1_14partition_implILS5_5ELb0ES3_mN6thrust23THRUST_200600_302600_NS6detail15normal_iteratorINSA_10device_ptrIjEEEEPS6_NSA_18transform_iteratorINSB_9not_fun_tI7is_trueIjEEENSC_INSD_IbEEEENSA_11use_defaultESO_EENS0_5tupleIJSF_S6_EEENSQ_IJSG_SG_EEES6_PlJS6_EEE10hipError_tPvRmT3_T4_T5_T6_T7_T9_mT8_P12ihipStream_tbDpT10_ENKUlT_T0_E_clISt17integral_constantIbLb0EES1D_EEDaS18_S19_EUlS18_E_NS1_11comp_targetILNS1_3genE5ELNS1_11target_archE942ELNS1_3gpuE9ELNS1_3repE0EEENS1_30default_config_static_selectorELNS0_4arch9wavefront6targetE0EEEvT1_.kd
    .uniform_work_group_size: 1
    .uses_dynamic_stack: false
    .vgpr_count:     0
    .vgpr_spill_count: 0
    .wavefront_size: 32
    .workgroup_processor_mode: 1
  - .args:
      - .offset:         0
        .size:           120
        .value_kind:     by_value
    .group_segment_fixed_size: 0
    .kernarg_segment_align: 8
    .kernarg_segment_size: 120
    .language:       OpenCL C
    .language_version:
      - 2
      - 0
    .max_flat_workgroup_size: 256
    .name:           _ZN7rocprim17ROCPRIM_400000_NS6detail17trampoline_kernelINS0_14default_configENS1_25partition_config_selectorILNS1_17partition_subalgoE5EjNS0_10empty_typeEbEEZZNS1_14partition_implILS5_5ELb0ES3_mN6thrust23THRUST_200600_302600_NS6detail15normal_iteratorINSA_10device_ptrIjEEEEPS6_NSA_18transform_iteratorINSB_9not_fun_tI7is_trueIjEEENSC_INSD_IbEEEENSA_11use_defaultESO_EENS0_5tupleIJSF_S6_EEENSQ_IJSG_SG_EEES6_PlJS6_EEE10hipError_tPvRmT3_T4_T5_T6_T7_T9_mT8_P12ihipStream_tbDpT10_ENKUlT_T0_E_clISt17integral_constantIbLb0EES1D_EEDaS18_S19_EUlS18_E_NS1_11comp_targetILNS1_3genE4ELNS1_11target_archE910ELNS1_3gpuE8ELNS1_3repE0EEENS1_30default_config_static_selectorELNS0_4arch9wavefront6targetE0EEEvT1_
    .private_segment_fixed_size: 0
    .sgpr_count:     0
    .sgpr_spill_count: 0
    .symbol:         _ZN7rocprim17ROCPRIM_400000_NS6detail17trampoline_kernelINS0_14default_configENS1_25partition_config_selectorILNS1_17partition_subalgoE5EjNS0_10empty_typeEbEEZZNS1_14partition_implILS5_5ELb0ES3_mN6thrust23THRUST_200600_302600_NS6detail15normal_iteratorINSA_10device_ptrIjEEEEPS6_NSA_18transform_iteratorINSB_9not_fun_tI7is_trueIjEEENSC_INSD_IbEEEENSA_11use_defaultESO_EENS0_5tupleIJSF_S6_EEENSQ_IJSG_SG_EEES6_PlJS6_EEE10hipError_tPvRmT3_T4_T5_T6_T7_T9_mT8_P12ihipStream_tbDpT10_ENKUlT_T0_E_clISt17integral_constantIbLb0EES1D_EEDaS18_S19_EUlS18_E_NS1_11comp_targetILNS1_3genE4ELNS1_11target_archE910ELNS1_3gpuE8ELNS1_3repE0EEENS1_30default_config_static_selectorELNS0_4arch9wavefront6targetE0EEEvT1_.kd
    .uniform_work_group_size: 1
    .uses_dynamic_stack: false
    .vgpr_count:     0
    .vgpr_spill_count: 0
    .wavefront_size: 32
    .workgroup_processor_mode: 1
  - .args:
      - .offset:         0
        .size:           120
        .value_kind:     by_value
    .group_segment_fixed_size: 0
    .kernarg_segment_align: 8
    .kernarg_segment_size: 120
    .language:       OpenCL C
    .language_version:
      - 2
      - 0
    .max_flat_workgroup_size: 512
    .name:           _ZN7rocprim17ROCPRIM_400000_NS6detail17trampoline_kernelINS0_14default_configENS1_25partition_config_selectorILNS1_17partition_subalgoE5EjNS0_10empty_typeEbEEZZNS1_14partition_implILS5_5ELb0ES3_mN6thrust23THRUST_200600_302600_NS6detail15normal_iteratorINSA_10device_ptrIjEEEEPS6_NSA_18transform_iteratorINSB_9not_fun_tI7is_trueIjEEENSC_INSD_IbEEEENSA_11use_defaultESO_EENS0_5tupleIJSF_S6_EEENSQ_IJSG_SG_EEES6_PlJS6_EEE10hipError_tPvRmT3_T4_T5_T6_T7_T9_mT8_P12ihipStream_tbDpT10_ENKUlT_T0_E_clISt17integral_constantIbLb0EES1D_EEDaS18_S19_EUlS18_E_NS1_11comp_targetILNS1_3genE3ELNS1_11target_archE908ELNS1_3gpuE7ELNS1_3repE0EEENS1_30default_config_static_selectorELNS0_4arch9wavefront6targetE0EEEvT1_
    .private_segment_fixed_size: 0
    .sgpr_count:     0
    .sgpr_spill_count: 0
    .symbol:         _ZN7rocprim17ROCPRIM_400000_NS6detail17trampoline_kernelINS0_14default_configENS1_25partition_config_selectorILNS1_17partition_subalgoE5EjNS0_10empty_typeEbEEZZNS1_14partition_implILS5_5ELb0ES3_mN6thrust23THRUST_200600_302600_NS6detail15normal_iteratorINSA_10device_ptrIjEEEEPS6_NSA_18transform_iteratorINSB_9not_fun_tI7is_trueIjEEENSC_INSD_IbEEEENSA_11use_defaultESO_EENS0_5tupleIJSF_S6_EEENSQ_IJSG_SG_EEES6_PlJS6_EEE10hipError_tPvRmT3_T4_T5_T6_T7_T9_mT8_P12ihipStream_tbDpT10_ENKUlT_T0_E_clISt17integral_constantIbLb0EES1D_EEDaS18_S19_EUlS18_E_NS1_11comp_targetILNS1_3genE3ELNS1_11target_archE908ELNS1_3gpuE7ELNS1_3repE0EEENS1_30default_config_static_selectorELNS0_4arch9wavefront6targetE0EEEvT1_.kd
    .uniform_work_group_size: 1
    .uses_dynamic_stack: false
    .vgpr_count:     0
    .vgpr_spill_count: 0
    .wavefront_size: 32
    .workgroup_processor_mode: 1
  - .args:
      - .offset:         0
        .size:           120
        .value_kind:     by_value
    .group_segment_fixed_size: 0
    .kernarg_segment_align: 8
    .kernarg_segment_size: 120
    .language:       OpenCL C
    .language_version:
      - 2
      - 0
    .max_flat_workgroup_size: 256
    .name:           _ZN7rocprim17ROCPRIM_400000_NS6detail17trampoline_kernelINS0_14default_configENS1_25partition_config_selectorILNS1_17partition_subalgoE5EjNS0_10empty_typeEbEEZZNS1_14partition_implILS5_5ELb0ES3_mN6thrust23THRUST_200600_302600_NS6detail15normal_iteratorINSA_10device_ptrIjEEEEPS6_NSA_18transform_iteratorINSB_9not_fun_tI7is_trueIjEEENSC_INSD_IbEEEENSA_11use_defaultESO_EENS0_5tupleIJSF_S6_EEENSQ_IJSG_SG_EEES6_PlJS6_EEE10hipError_tPvRmT3_T4_T5_T6_T7_T9_mT8_P12ihipStream_tbDpT10_ENKUlT_T0_E_clISt17integral_constantIbLb0EES1D_EEDaS18_S19_EUlS18_E_NS1_11comp_targetILNS1_3genE2ELNS1_11target_archE906ELNS1_3gpuE6ELNS1_3repE0EEENS1_30default_config_static_selectorELNS0_4arch9wavefront6targetE0EEEvT1_
    .private_segment_fixed_size: 0
    .sgpr_count:     0
    .sgpr_spill_count: 0
    .symbol:         _ZN7rocprim17ROCPRIM_400000_NS6detail17trampoline_kernelINS0_14default_configENS1_25partition_config_selectorILNS1_17partition_subalgoE5EjNS0_10empty_typeEbEEZZNS1_14partition_implILS5_5ELb0ES3_mN6thrust23THRUST_200600_302600_NS6detail15normal_iteratorINSA_10device_ptrIjEEEEPS6_NSA_18transform_iteratorINSB_9not_fun_tI7is_trueIjEEENSC_INSD_IbEEEENSA_11use_defaultESO_EENS0_5tupleIJSF_S6_EEENSQ_IJSG_SG_EEES6_PlJS6_EEE10hipError_tPvRmT3_T4_T5_T6_T7_T9_mT8_P12ihipStream_tbDpT10_ENKUlT_T0_E_clISt17integral_constantIbLb0EES1D_EEDaS18_S19_EUlS18_E_NS1_11comp_targetILNS1_3genE2ELNS1_11target_archE906ELNS1_3gpuE6ELNS1_3repE0EEENS1_30default_config_static_selectorELNS0_4arch9wavefront6targetE0EEEvT1_.kd
    .uniform_work_group_size: 1
    .uses_dynamic_stack: false
    .vgpr_count:     0
    .vgpr_spill_count: 0
    .wavefront_size: 32
    .workgroup_processor_mode: 1
  - .args:
      - .offset:         0
        .size:           120
        .value_kind:     by_value
    .group_segment_fixed_size: 6352
    .kernarg_segment_align: 8
    .kernarg_segment_size: 120
    .language:       OpenCL C
    .language_version:
      - 2
      - 0
    .max_flat_workgroup_size: 192
    .name:           _ZN7rocprim17ROCPRIM_400000_NS6detail17trampoline_kernelINS0_14default_configENS1_25partition_config_selectorILNS1_17partition_subalgoE5EjNS0_10empty_typeEbEEZZNS1_14partition_implILS5_5ELb0ES3_mN6thrust23THRUST_200600_302600_NS6detail15normal_iteratorINSA_10device_ptrIjEEEEPS6_NSA_18transform_iteratorINSB_9not_fun_tI7is_trueIjEEENSC_INSD_IbEEEENSA_11use_defaultESO_EENS0_5tupleIJSF_S6_EEENSQ_IJSG_SG_EEES6_PlJS6_EEE10hipError_tPvRmT3_T4_T5_T6_T7_T9_mT8_P12ihipStream_tbDpT10_ENKUlT_T0_E_clISt17integral_constantIbLb0EES1D_EEDaS18_S19_EUlS18_E_NS1_11comp_targetILNS1_3genE10ELNS1_11target_archE1200ELNS1_3gpuE4ELNS1_3repE0EEENS1_30default_config_static_selectorELNS0_4arch9wavefront6targetE0EEEvT1_
    .private_segment_fixed_size: 0
    .sgpr_count:     24
    .sgpr_spill_count: 0
    .symbol:         _ZN7rocprim17ROCPRIM_400000_NS6detail17trampoline_kernelINS0_14default_configENS1_25partition_config_selectorILNS1_17partition_subalgoE5EjNS0_10empty_typeEbEEZZNS1_14partition_implILS5_5ELb0ES3_mN6thrust23THRUST_200600_302600_NS6detail15normal_iteratorINSA_10device_ptrIjEEEEPS6_NSA_18transform_iteratorINSB_9not_fun_tI7is_trueIjEEENSC_INSD_IbEEEENSA_11use_defaultESO_EENS0_5tupleIJSF_S6_EEENSQ_IJSG_SG_EEES6_PlJS6_EEE10hipError_tPvRmT3_T4_T5_T6_T7_T9_mT8_P12ihipStream_tbDpT10_ENKUlT_T0_E_clISt17integral_constantIbLb0EES1D_EEDaS18_S19_EUlS18_E_NS1_11comp_targetILNS1_3genE10ELNS1_11target_archE1200ELNS1_3gpuE4ELNS1_3repE0EEENS1_30default_config_static_selectorELNS0_4arch9wavefront6targetE0EEEvT1_.kd
    .uniform_work_group_size: 1
    .uses_dynamic_stack: false
    .vgpr_count:     52
    .vgpr_spill_count: 0
    .wavefront_size: 32
    .workgroup_processor_mode: 1
  - .args:
      - .offset:         0
        .size:           120
        .value_kind:     by_value
    .group_segment_fixed_size: 0
    .kernarg_segment_align: 8
    .kernarg_segment_size: 120
    .language:       OpenCL C
    .language_version:
      - 2
      - 0
    .max_flat_workgroup_size: 128
    .name:           _ZN7rocprim17ROCPRIM_400000_NS6detail17trampoline_kernelINS0_14default_configENS1_25partition_config_selectorILNS1_17partition_subalgoE5EjNS0_10empty_typeEbEEZZNS1_14partition_implILS5_5ELb0ES3_mN6thrust23THRUST_200600_302600_NS6detail15normal_iteratorINSA_10device_ptrIjEEEEPS6_NSA_18transform_iteratorINSB_9not_fun_tI7is_trueIjEEENSC_INSD_IbEEEENSA_11use_defaultESO_EENS0_5tupleIJSF_S6_EEENSQ_IJSG_SG_EEES6_PlJS6_EEE10hipError_tPvRmT3_T4_T5_T6_T7_T9_mT8_P12ihipStream_tbDpT10_ENKUlT_T0_E_clISt17integral_constantIbLb0EES1D_EEDaS18_S19_EUlS18_E_NS1_11comp_targetILNS1_3genE9ELNS1_11target_archE1100ELNS1_3gpuE3ELNS1_3repE0EEENS1_30default_config_static_selectorELNS0_4arch9wavefront6targetE0EEEvT1_
    .private_segment_fixed_size: 0
    .sgpr_count:     0
    .sgpr_spill_count: 0
    .symbol:         _ZN7rocprim17ROCPRIM_400000_NS6detail17trampoline_kernelINS0_14default_configENS1_25partition_config_selectorILNS1_17partition_subalgoE5EjNS0_10empty_typeEbEEZZNS1_14partition_implILS5_5ELb0ES3_mN6thrust23THRUST_200600_302600_NS6detail15normal_iteratorINSA_10device_ptrIjEEEEPS6_NSA_18transform_iteratorINSB_9not_fun_tI7is_trueIjEEENSC_INSD_IbEEEENSA_11use_defaultESO_EENS0_5tupleIJSF_S6_EEENSQ_IJSG_SG_EEES6_PlJS6_EEE10hipError_tPvRmT3_T4_T5_T6_T7_T9_mT8_P12ihipStream_tbDpT10_ENKUlT_T0_E_clISt17integral_constantIbLb0EES1D_EEDaS18_S19_EUlS18_E_NS1_11comp_targetILNS1_3genE9ELNS1_11target_archE1100ELNS1_3gpuE3ELNS1_3repE0EEENS1_30default_config_static_selectorELNS0_4arch9wavefront6targetE0EEEvT1_.kd
    .uniform_work_group_size: 1
    .uses_dynamic_stack: false
    .vgpr_count:     0
    .vgpr_spill_count: 0
    .wavefront_size: 32
    .workgroup_processor_mode: 1
  - .args:
      - .offset:         0
        .size:           120
        .value_kind:     by_value
    .group_segment_fixed_size: 0
    .kernarg_segment_align: 8
    .kernarg_segment_size: 120
    .language:       OpenCL C
    .language_version:
      - 2
      - 0
    .max_flat_workgroup_size: 512
    .name:           _ZN7rocprim17ROCPRIM_400000_NS6detail17trampoline_kernelINS0_14default_configENS1_25partition_config_selectorILNS1_17partition_subalgoE5EjNS0_10empty_typeEbEEZZNS1_14partition_implILS5_5ELb0ES3_mN6thrust23THRUST_200600_302600_NS6detail15normal_iteratorINSA_10device_ptrIjEEEEPS6_NSA_18transform_iteratorINSB_9not_fun_tI7is_trueIjEEENSC_INSD_IbEEEENSA_11use_defaultESO_EENS0_5tupleIJSF_S6_EEENSQ_IJSG_SG_EEES6_PlJS6_EEE10hipError_tPvRmT3_T4_T5_T6_T7_T9_mT8_P12ihipStream_tbDpT10_ENKUlT_T0_E_clISt17integral_constantIbLb0EES1D_EEDaS18_S19_EUlS18_E_NS1_11comp_targetILNS1_3genE8ELNS1_11target_archE1030ELNS1_3gpuE2ELNS1_3repE0EEENS1_30default_config_static_selectorELNS0_4arch9wavefront6targetE0EEEvT1_
    .private_segment_fixed_size: 0
    .sgpr_count:     0
    .sgpr_spill_count: 0
    .symbol:         _ZN7rocprim17ROCPRIM_400000_NS6detail17trampoline_kernelINS0_14default_configENS1_25partition_config_selectorILNS1_17partition_subalgoE5EjNS0_10empty_typeEbEEZZNS1_14partition_implILS5_5ELb0ES3_mN6thrust23THRUST_200600_302600_NS6detail15normal_iteratorINSA_10device_ptrIjEEEEPS6_NSA_18transform_iteratorINSB_9not_fun_tI7is_trueIjEEENSC_INSD_IbEEEENSA_11use_defaultESO_EENS0_5tupleIJSF_S6_EEENSQ_IJSG_SG_EEES6_PlJS6_EEE10hipError_tPvRmT3_T4_T5_T6_T7_T9_mT8_P12ihipStream_tbDpT10_ENKUlT_T0_E_clISt17integral_constantIbLb0EES1D_EEDaS18_S19_EUlS18_E_NS1_11comp_targetILNS1_3genE8ELNS1_11target_archE1030ELNS1_3gpuE2ELNS1_3repE0EEENS1_30default_config_static_selectorELNS0_4arch9wavefront6targetE0EEEvT1_.kd
    .uniform_work_group_size: 1
    .uses_dynamic_stack: false
    .vgpr_count:     0
    .vgpr_spill_count: 0
    .wavefront_size: 32
    .workgroup_processor_mode: 1
  - .args:
      - .offset:         0
        .size:           136
        .value_kind:     by_value
    .group_segment_fixed_size: 0
    .kernarg_segment_align: 8
    .kernarg_segment_size: 136
    .language:       OpenCL C
    .language_version:
      - 2
      - 0
    .max_flat_workgroup_size: 512
    .name:           _ZN7rocprim17ROCPRIM_400000_NS6detail17trampoline_kernelINS0_14default_configENS1_25partition_config_selectorILNS1_17partition_subalgoE5EjNS0_10empty_typeEbEEZZNS1_14partition_implILS5_5ELb0ES3_mN6thrust23THRUST_200600_302600_NS6detail15normal_iteratorINSA_10device_ptrIjEEEEPS6_NSA_18transform_iteratorINSB_9not_fun_tI7is_trueIjEEENSC_INSD_IbEEEENSA_11use_defaultESO_EENS0_5tupleIJSF_S6_EEENSQ_IJSG_SG_EEES6_PlJS6_EEE10hipError_tPvRmT3_T4_T5_T6_T7_T9_mT8_P12ihipStream_tbDpT10_ENKUlT_T0_E_clISt17integral_constantIbLb1EES1D_EEDaS18_S19_EUlS18_E_NS1_11comp_targetILNS1_3genE0ELNS1_11target_archE4294967295ELNS1_3gpuE0ELNS1_3repE0EEENS1_30default_config_static_selectorELNS0_4arch9wavefront6targetE0EEEvT1_
    .private_segment_fixed_size: 0
    .sgpr_count:     0
    .sgpr_spill_count: 0
    .symbol:         _ZN7rocprim17ROCPRIM_400000_NS6detail17trampoline_kernelINS0_14default_configENS1_25partition_config_selectorILNS1_17partition_subalgoE5EjNS0_10empty_typeEbEEZZNS1_14partition_implILS5_5ELb0ES3_mN6thrust23THRUST_200600_302600_NS6detail15normal_iteratorINSA_10device_ptrIjEEEEPS6_NSA_18transform_iteratorINSB_9not_fun_tI7is_trueIjEEENSC_INSD_IbEEEENSA_11use_defaultESO_EENS0_5tupleIJSF_S6_EEENSQ_IJSG_SG_EEES6_PlJS6_EEE10hipError_tPvRmT3_T4_T5_T6_T7_T9_mT8_P12ihipStream_tbDpT10_ENKUlT_T0_E_clISt17integral_constantIbLb1EES1D_EEDaS18_S19_EUlS18_E_NS1_11comp_targetILNS1_3genE0ELNS1_11target_archE4294967295ELNS1_3gpuE0ELNS1_3repE0EEENS1_30default_config_static_selectorELNS0_4arch9wavefront6targetE0EEEvT1_.kd
    .uniform_work_group_size: 1
    .uses_dynamic_stack: false
    .vgpr_count:     0
    .vgpr_spill_count: 0
    .wavefront_size: 32
    .workgroup_processor_mode: 1
  - .args:
      - .offset:         0
        .size:           136
        .value_kind:     by_value
    .group_segment_fixed_size: 0
    .kernarg_segment_align: 8
    .kernarg_segment_size: 136
    .language:       OpenCL C
    .language_version:
      - 2
      - 0
    .max_flat_workgroup_size: 512
    .name:           _ZN7rocprim17ROCPRIM_400000_NS6detail17trampoline_kernelINS0_14default_configENS1_25partition_config_selectorILNS1_17partition_subalgoE5EjNS0_10empty_typeEbEEZZNS1_14partition_implILS5_5ELb0ES3_mN6thrust23THRUST_200600_302600_NS6detail15normal_iteratorINSA_10device_ptrIjEEEEPS6_NSA_18transform_iteratorINSB_9not_fun_tI7is_trueIjEEENSC_INSD_IbEEEENSA_11use_defaultESO_EENS0_5tupleIJSF_S6_EEENSQ_IJSG_SG_EEES6_PlJS6_EEE10hipError_tPvRmT3_T4_T5_T6_T7_T9_mT8_P12ihipStream_tbDpT10_ENKUlT_T0_E_clISt17integral_constantIbLb1EES1D_EEDaS18_S19_EUlS18_E_NS1_11comp_targetILNS1_3genE5ELNS1_11target_archE942ELNS1_3gpuE9ELNS1_3repE0EEENS1_30default_config_static_selectorELNS0_4arch9wavefront6targetE0EEEvT1_
    .private_segment_fixed_size: 0
    .sgpr_count:     0
    .sgpr_spill_count: 0
    .symbol:         _ZN7rocprim17ROCPRIM_400000_NS6detail17trampoline_kernelINS0_14default_configENS1_25partition_config_selectorILNS1_17partition_subalgoE5EjNS0_10empty_typeEbEEZZNS1_14partition_implILS5_5ELb0ES3_mN6thrust23THRUST_200600_302600_NS6detail15normal_iteratorINSA_10device_ptrIjEEEEPS6_NSA_18transform_iteratorINSB_9not_fun_tI7is_trueIjEEENSC_INSD_IbEEEENSA_11use_defaultESO_EENS0_5tupleIJSF_S6_EEENSQ_IJSG_SG_EEES6_PlJS6_EEE10hipError_tPvRmT3_T4_T5_T6_T7_T9_mT8_P12ihipStream_tbDpT10_ENKUlT_T0_E_clISt17integral_constantIbLb1EES1D_EEDaS18_S19_EUlS18_E_NS1_11comp_targetILNS1_3genE5ELNS1_11target_archE942ELNS1_3gpuE9ELNS1_3repE0EEENS1_30default_config_static_selectorELNS0_4arch9wavefront6targetE0EEEvT1_.kd
    .uniform_work_group_size: 1
    .uses_dynamic_stack: false
    .vgpr_count:     0
    .vgpr_spill_count: 0
    .wavefront_size: 32
    .workgroup_processor_mode: 1
  - .args:
      - .offset:         0
        .size:           136
        .value_kind:     by_value
    .group_segment_fixed_size: 0
    .kernarg_segment_align: 8
    .kernarg_segment_size: 136
    .language:       OpenCL C
    .language_version:
      - 2
      - 0
    .max_flat_workgroup_size: 256
    .name:           _ZN7rocprim17ROCPRIM_400000_NS6detail17trampoline_kernelINS0_14default_configENS1_25partition_config_selectorILNS1_17partition_subalgoE5EjNS0_10empty_typeEbEEZZNS1_14partition_implILS5_5ELb0ES3_mN6thrust23THRUST_200600_302600_NS6detail15normal_iteratorINSA_10device_ptrIjEEEEPS6_NSA_18transform_iteratorINSB_9not_fun_tI7is_trueIjEEENSC_INSD_IbEEEENSA_11use_defaultESO_EENS0_5tupleIJSF_S6_EEENSQ_IJSG_SG_EEES6_PlJS6_EEE10hipError_tPvRmT3_T4_T5_T6_T7_T9_mT8_P12ihipStream_tbDpT10_ENKUlT_T0_E_clISt17integral_constantIbLb1EES1D_EEDaS18_S19_EUlS18_E_NS1_11comp_targetILNS1_3genE4ELNS1_11target_archE910ELNS1_3gpuE8ELNS1_3repE0EEENS1_30default_config_static_selectorELNS0_4arch9wavefront6targetE0EEEvT1_
    .private_segment_fixed_size: 0
    .sgpr_count:     0
    .sgpr_spill_count: 0
    .symbol:         _ZN7rocprim17ROCPRIM_400000_NS6detail17trampoline_kernelINS0_14default_configENS1_25partition_config_selectorILNS1_17partition_subalgoE5EjNS0_10empty_typeEbEEZZNS1_14partition_implILS5_5ELb0ES3_mN6thrust23THRUST_200600_302600_NS6detail15normal_iteratorINSA_10device_ptrIjEEEEPS6_NSA_18transform_iteratorINSB_9not_fun_tI7is_trueIjEEENSC_INSD_IbEEEENSA_11use_defaultESO_EENS0_5tupleIJSF_S6_EEENSQ_IJSG_SG_EEES6_PlJS6_EEE10hipError_tPvRmT3_T4_T5_T6_T7_T9_mT8_P12ihipStream_tbDpT10_ENKUlT_T0_E_clISt17integral_constantIbLb1EES1D_EEDaS18_S19_EUlS18_E_NS1_11comp_targetILNS1_3genE4ELNS1_11target_archE910ELNS1_3gpuE8ELNS1_3repE0EEENS1_30default_config_static_selectorELNS0_4arch9wavefront6targetE0EEEvT1_.kd
    .uniform_work_group_size: 1
    .uses_dynamic_stack: false
    .vgpr_count:     0
    .vgpr_spill_count: 0
    .wavefront_size: 32
    .workgroup_processor_mode: 1
  - .args:
      - .offset:         0
        .size:           136
        .value_kind:     by_value
    .group_segment_fixed_size: 0
    .kernarg_segment_align: 8
    .kernarg_segment_size: 136
    .language:       OpenCL C
    .language_version:
      - 2
      - 0
    .max_flat_workgroup_size: 512
    .name:           _ZN7rocprim17ROCPRIM_400000_NS6detail17trampoline_kernelINS0_14default_configENS1_25partition_config_selectorILNS1_17partition_subalgoE5EjNS0_10empty_typeEbEEZZNS1_14partition_implILS5_5ELb0ES3_mN6thrust23THRUST_200600_302600_NS6detail15normal_iteratorINSA_10device_ptrIjEEEEPS6_NSA_18transform_iteratorINSB_9not_fun_tI7is_trueIjEEENSC_INSD_IbEEEENSA_11use_defaultESO_EENS0_5tupleIJSF_S6_EEENSQ_IJSG_SG_EEES6_PlJS6_EEE10hipError_tPvRmT3_T4_T5_T6_T7_T9_mT8_P12ihipStream_tbDpT10_ENKUlT_T0_E_clISt17integral_constantIbLb1EES1D_EEDaS18_S19_EUlS18_E_NS1_11comp_targetILNS1_3genE3ELNS1_11target_archE908ELNS1_3gpuE7ELNS1_3repE0EEENS1_30default_config_static_selectorELNS0_4arch9wavefront6targetE0EEEvT1_
    .private_segment_fixed_size: 0
    .sgpr_count:     0
    .sgpr_spill_count: 0
    .symbol:         _ZN7rocprim17ROCPRIM_400000_NS6detail17trampoline_kernelINS0_14default_configENS1_25partition_config_selectorILNS1_17partition_subalgoE5EjNS0_10empty_typeEbEEZZNS1_14partition_implILS5_5ELb0ES3_mN6thrust23THRUST_200600_302600_NS6detail15normal_iteratorINSA_10device_ptrIjEEEEPS6_NSA_18transform_iteratorINSB_9not_fun_tI7is_trueIjEEENSC_INSD_IbEEEENSA_11use_defaultESO_EENS0_5tupleIJSF_S6_EEENSQ_IJSG_SG_EEES6_PlJS6_EEE10hipError_tPvRmT3_T4_T5_T6_T7_T9_mT8_P12ihipStream_tbDpT10_ENKUlT_T0_E_clISt17integral_constantIbLb1EES1D_EEDaS18_S19_EUlS18_E_NS1_11comp_targetILNS1_3genE3ELNS1_11target_archE908ELNS1_3gpuE7ELNS1_3repE0EEENS1_30default_config_static_selectorELNS0_4arch9wavefront6targetE0EEEvT1_.kd
    .uniform_work_group_size: 1
    .uses_dynamic_stack: false
    .vgpr_count:     0
    .vgpr_spill_count: 0
    .wavefront_size: 32
    .workgroup_processor_mode: 1
  - .args:
      - .offset:         0
        .size:           136
        .value_kind:     by_value
    .group_segment_fixed_size: 0
    .kernarg_segment_align: 8
    .kernarg_segment_size: 136
    .language:       OpenCL C
    .language_version:
      - 2
      - 0
    .max_flat_workgroup_size: 256
    .name:           _ZN7rocprim17ROCPRIM_400000_NS6detail17trampoline_kernelINS0_14default_configENS1_25partition_config_selectorILNS1_17partition_subalgoE5EjNS0_10empty_typeEbEEZZNS1_14partition_implILS5_5ELb0ES3_mN6thrust23THRUST_200600_302600_NS6detail15normal_iteratorINSA_10device_ptrIjEEEEPS6_NSA_18transform_iteratorINSB_9not_fun_tI7is_trueIjEEENSC_INSD_IbEEEENSA_11use_defaultESO_EENS0_5tupleIJSF_S6_EEENSQ_IJSG_SG_EEES6_PlJS6_EEE10hipError_tPvRmT3_T4_T5_T6_T7_T9_mT8_P12ihipStream_tbDpT10_ENKUlT_T0_E_clISt17integral_constantIbLb1EES1D_EEDaS18_S19_EUlS18_E_NS1_11comp_targetILNS1_3genE2ELNS1_11target_archE906ELNS1_3gpuE6ELNS1_3repE0EEENS1_30default_config_static_selectorELNS0_4arch9wavefront6targetE0EEEvT1_
    .private_segment_fixed_size: 0
    .sgpr_count:     0
    .sgpr_spill_count: 0
    .symbol:         _ZN7rocprim17ROCPRIM_400000_NS6detail17trampoline_kernelINS0_14default_configENS1_25partition_config_selectorILNS1_17partition_subalgoE5EjNS0_10empty_typeEbEEZZNS1_14partition_implILS5_5ELb0ES3_mN6thrust23THRUST_200600_302600_NS6detail15normal_iteratorINSA_10device_ptrIjEEEEPS6_NSA_18transform_iteratorINSB_9not_fun_tI7is_trueIjEEENSC_INSD_IbEEEENSA_11use_defaultESO_EENS0_5tupleIJSF_S6_EEENSQ_IJSG_SG_EEES6_PlJS6_EEE10hipError_tPvRmT3_T4_T5_T6_T7_T9_mT8_P12ihipStream_tbDpT10_ENKUlT_T0_E_clISt17integral_constantIbLb1EES1D_EEDaS18_S19_EUlS18_E_NS1_11comp_targetILNS1_3genE2ELNS1_11target_archE906ELNS1_3gpuE6ELNS1_3repE0EEENS1_30default_config_static_selectorELNS0_4arch9wavefront6targetE0EEEvT1_.kd
    .uniform_work_group_size: 1
    .uses_dynamic_stack: false
    .vgpr_count:     0
    .vgpr_spill_count: 0
    .wavefront_size: 32
    .workgroup_processor_mode: 1
  - .args:
      - .offset:         0
        .size:           136
        .value_kind:     by_value
    .group_segment_fixed_size: 0
    .kernarg_segment_align: 8
    .kernarg_segment_size: 136
    .language:       OpenCL C
    .language_version:
      - 2
      - 0
    .max_flat_workgroup_size: 192
    .name:           _ZN7rocprim17ROCPRIM_400000_NS6detail17trampoline_kernelINS0_14default_configENS1_25partition_config_selectorILNS1_17partition_subalgoE5EjNS0_10empty_typeEbEEZZNS1_14partition_implILS5_5ELb0ES3_mN6thrust23THRUST_200600_302600_NS6detail15normal_iteratorINSA_10device_ptrIjEEEEPS6_NSA_18transform_iteratorINSB_9not_fun_tI7is_trueIjEEENSC_INSD_IbEEEENSA_11use_defaultESO_EENS0_5tupleIJSF_S6_EEENSQ_IJSG_SG_EEES6_PlJS6_EEE10hipError_tPvRmT3_T4_T5_T6_T7_T9_mT8_P12ihipStream_tbDpT10_ENKUlT_T0_E_clISt17integral_constantIbLb1EES1D_EEDaS18_S19_EUlS18_E_NS1_11comp_targetILNS1_3genE10ELNS1_11target_archE1200ELNS1_3gpuE4ELNS1_3repE0EEENS1_30default_config_static_selectorELNS0_4arch9wavefront6targetE0EEEvT1_
    .private_segment_fixed_size: 0
    .sgpr_count:     0
    .sgpr_spill_count: 0
    .symbol:         _ZN7rocprim17ROCPRIM_400000_NS6detail17trampoline_kernelINS0_14default_configENS1_25partition_config_selectorILNS1_17partition_subalgoE5EjNS0_10empty_typeEbEEZZNS1_14partition_implILS5_5ELb0ES3_mN6thrust23THRUST_200600_302600_NS6detail15normal_iteratorINSA_10device_ptrIjEEEEPS6_NSA_18transform_iteratorINSB_9not_fun_tI7is_trueIjEEENSC_INSD_IbEEEENSA_11use_defaultESO_EENS0_5tupleIJSF_S6_EEENSQ_IJSG_SG_EEES6_PlJS6_EEE10hipError_tPvRmT3_T4_T5_T6_T7_T9_mT8_P12ihipStream_tbDpT10_ENKUlT_T0_E_clISt17integral_constantIbLb1EES1D_EEDaS18_S19_EUlS18_E_NS1_11comp_targetILNS1_3genE10ELNS1_11target_archE1200ELNS1_3gpuE4ELNS1_3repE0EEENS1_30default_config_static_selectorELNS0_4arch9wavefront6targetE0EEEvT1_.kd
    .uniform_work_group_size: 1
    .uses_dynamic_stack: false
    .vgpr_count:     0
    .vgpr_spill_count: 0
    .wavefront_size: 32
    .workgroup_processor_mode: 1
  - .args:
      - .offset:         0
        .size:           136
        .value_kind:     by_value
    .group_segment_fixed_size: 0
    .kernarg_segment_align: 8
    .kernarg_segment_size: 136
    .language:       OpenCL C
    .language_version:
      - 2
      - 0
    .max_flat_workgroup_size: 128
    .name:           _ZN7rocprim17ROCPRIM_400000_NS6detail17trampoline_kernelINS0_14default_configENS1_25partition_config_selectorILNS1_17partition_subalgoE5EjNS0_10empty_typeEbEEZZNS1_14partition_implILS5_5ELb0ES3_mN6thrust23THRUST_200600_302600_NS6detail15normal_iteratorINSA_10device_ptrIjEEEEPS6_NSA_18transform_iteratorINSB_9not_fun_tI7is_trueIjEEENSC_INSD_IbEEEENSA_11use_defaultESO_EENS0_5tupleIJSF_S6_EEENSQ_IJSG_SG_EEES6_PlJS6_EEE10hipError_tPvRmT3_T4_T5_T6_T7_T9_mT8_P12ihipStream_tbDpT10_ENKUlT_T0_E_clISt17integral_constantIbLb1EES1D_EEDaS18_S19_EUlS18_E_NS1_11comp_targetILNS1_3genE9ELNS1_11target_archE1100ELNS1_3gpuE3ELNS1_3repE0EEENS1_30default_config_static_selectorELNS0_4arch9wavefront6targetE0EEEvT1_
    .private_segment_fixed_size: 0
    .sgpr_count:     0
    .sgpr_spill_count: 0
    .symbol:         _ZN7rocprim17ROCPRIM_400000_NS6detail17trampoline_kernelINS0_14default_configENS1_25partition_config_selectorILNS1_17partition_subalgoE5EjNS0_10empty_typeEbEEZZNS1_14partition_implILS5_5ELb0ES3_mN6thrust23THRUST_200600_302600_NS6detail15normal_iteratorINSA_10device_ptrIjEEEEPS6_NSA_18transform_iteratorINSB_9not_fun_tI7is_trueIjEEENSC_INSD_IbEEEENSA_11use_defaultESO_EENS0_5tupleIJSF_S6_EEENSQ_IJSG_SG_EEES6_PlJS6_EEE10hipError_tPvRmT3_T4_T5_T6_T7_T9_mT8_P12ihipStream_tbDpT10_ENKUlT_T0_E_clISt17integral_constantIbLb1EES1D_EEDaS18_S19_EUlS18_E_NS1_11comp_targetILNS1_3genE9ELNS1_11target_archE1100ELNS1_3gpuE3ELNS1_3repE0EEENS1_30default_config_static_selectorELNS0_4arch9wavefront6targetE0EEEvT1_.kd
    .uniform_work_group_size: 1
    .uses_dynamic_stack: false
    .vgpr_count:     0
    .vgpr_spill_count: 0
    .wavefront_size: 32
    .workgroup_processor_mode: 1
  - .args:
      - .offset:         0
        .size:           136
        .value_kind:     by_value
    .group_segment_fixed_size: 0
    .kernarg_segment_align: 8
    .kernarg_segment_size: 136
    .language:       OpenCL C
    .language_version:
      - 2
      - 0
    .max_flat_workgroup_size: 512
    .name:           _ZN7rocprim17ROCPRIM_400000_NS6detail17trampoline_kernelINS0_14default_configENS1_25partition_config_selectorILNS1_17partition_subalgoE5EjNS0_10empty_typeEbEEZZNS1_14partition_implILS5_5ELb0ES3_mN6thrust23THRUST_200600_302600_NS6detail15normal_iteratorINSA_10device_ptrIjEEEEPS6_NSA_18transform_iteratorINSB_9not_fun_tI7is_trueIjEEENSC_INSD_IbEEEENSA_11use_defaultESO_EENS0_5tupleIJSF_S6_EEENSQ_IJSG_SG_EEES6_PlJS6_EEE10hipError_tPvRmT3_T4_T5_T6_T7_T9_mT8_P12ihipStream_tbDpT10_ENKUlT_T0_E_clISt17integral_constantIbLb1EES1D_EEDaS18_S19_EUlS18_E_NS1_11comp_targetILNS1_3genE8ELNS1_11target_archE1030ELNS1_3gpuE2ELNS1_3repE0EEENS1_30default_config_static_selectorELNS0_4arch9wavefront6targetE0EEEvT1_
    .private_segment_fixed_size: 0
    .sgpr_count:     0
    .sgpr_spill_count: 0
    .symbol:         _ZN7rocprim17ROCPRIM_400000_NS6detail17trampoline_kernelINS0_14default_configENS1_25partition_config_selectorILNS1_17partition_subalgoE5EjNS0_10empty_typeEbEEZZNS1_14partition_implILS5_5ELb0ES3_mN6thrust23THRUST_200600_302600_NS6detail15normal_iteratorINSA_10device_ptrIjEEEEPS6_NSA_18transform_iteratorINSB_9not_fun_tI7is_trueIjEEENSC_INSD_IbEEEENSA_11use_defaultESO_EENS0_5tupleIJSF_S6_EEENSQ_IJSG_SG_EEES6_PlJS6_EEE10hipError_tPvRmT3_T4_T5_T6_T7_T9_mT8_P12ihipStream_tbDpT10_ENKUlT_T0_E_clISt17integral_constantIbLb1EES1D_EEDaS18_S19_EUlS18_E_NS1_11comp_targetILNS1_3genE8ELNS1_11target_archE1030ELNS1_3gpuE2ELNS1_3repE0EEENS1_30default_config_static_selectorELNS0_4arch9wavefront6targetE0EEEvT1_.kd
    .uniform_work_group_size: 1
    .uses_dynamic_stack: false
    .vgpr_count:     0
    .vgpr_spill_count: 0
    .wavefront_size: 32
    .workgroup_processor_mode: 1
  - .args:
      - .offset:         0
        .size:           120
        .value_kind:     by_value
    .group_segment_fixed_size: 0
    .kernarg_segment_align: 8
    .kernarg_segment_size: 120
    .language:       OpenCL C
    .language_version:
      - 2
      - 0
    .max_flat_workgroup_size: 512
    .name:           _ZN7rocprim17ROCPRIM_400000_NS6detail17trampoline_kernelINS0_14default_configENS1_25partition_config_selectorILNS1_17partition_subalgoE5EjNS0_10empty_typeEbEEZZNS1_14partition_implILS5_5ELb0ES3_mN6thrust23THRUST_200600_302600_NS6detail15normal_iteratorINSA_10device_ptrIjEEEEPS6_NSA_18transform_iteratorINSB_9not_fun_tI7is_trueIjEEENSC_INSD_IbEEEENSA_11use_defaultESO_EENS0_5tupleIJSF_S6_EEENSQ_IJSG_SG_EEES6_PlJS6_EEE10hipError_tPvRmT3_T4_T5_T6_T7_T9_mT8_P12ihipStream_tbDpT10_ENKUlT_T0_E_clISt17integral_constantIbLb1EES1C_IbLb0EEEEDaS18_S19_EUlS18_E_NS1_11comp_targetILNS1_3genE0ELNS1_11target_archE4294967295ELNS1_3gpuE0ELNS1_3repE0EEENS1_30default_config_static_selectorELNS0_4arch9wavefront6targetE0EEEvT1_
    .private_segment_fixed_size: 0
    .sgpr_count:     0
    .sgpr_spill_count: 0
    .symbol:         _ZN7rocprim17ROCPRIM_400000_NS6detail17trampoline_kernelINS0_14default_configENS1_25partition_config_selectorILNS1_17partition_subalgoE5EjNS0_10empty_typeEbEEZZNS1_14partition_implILS5_5ELb0ES3_mN6thrust23THRUST_200600_302600_NS6detail15normal_iteratorINSA_10device_ptrIjEEEEPS6_NSA_18transform_iteratorINSB_9not_fun_tI7is_trueIjEEENSC_INSD_IbEEEENSA_11use_defaultESO_EENS0_5tupleIJSF_S6_EEENSQ_IJSG_SG_EEES6_PlJS6_EEE10hipError_tPvRmT3_T4_T5_T6_T7_T9_mT8_P12ihipStream_tbDpT10_ENKUlT_T0_E_clISt17integral_constantIbLb1EES1C_IbLb0EEEEDaS18_S19_EUlS18_E_NS1_11comp_targetILNS1_3genE0ELNS1_11target_archE4294967295ELNS1_3gpuE0ELNS1_3repE0EEENS1_30default_config_static_selectorELNS0_4arch9wavefront6targetE0EEEvT1_.kd
    .uniform_work_group_size: 1
    .uses_dynamic_stack: false
    .vgpr_count:     0
    .vgpr_spill_count: 0
    .wavefront_size: 32
    .workgroup_processor_mode: 1
  - .args:
      - .offset:         0
        .size:           120
        .value_kind:     by_value
    .group_segment_fixed_size: 0
    .kernarg_segment_align: 8
    .kernarg_segment_size: 120
    .language:       OpenCL C
    .language_version:
      - 2
      - 0
    .max_flat_workgroup_size: 512
    .name:           _ZN7rocprim17ROCPRIM_400000_NS6detail17trampoline_kernelINS0_14default_configENS1_25partition_config_selectorILNS1_17partition_subalgoE5EjNS0_10empty_typeEbEEZZNS1_14partition_implILS5_5ELb0ES3_mN6thrust23THRUST_200600_302600_NS6detail15normal_iteratorINSA_10device_ptrIjEEEEPS6_NSA_18transform_iteratorINSB_9not_fun_tI7is_trueIjEEENSC_INSD_IbEEEENSA_11use_defaultESO_EENS0_5tupleIJSF_S6_EEENSQ_IJSG_SG_EEES6_PlJS6_EEE10hipError_tPvRmT3_T4_T5_T6_T7_T9_mT8_P12ihipStream_tbDpT10_ENKUlT_T0_E_clISt17integral_constantIbLb1EES1C_IbLb0EEEEDaS18_S19_EUlS18_E_NS1_11comp_targetILNS1_3genE5ELNS1_11target_archE942ELNS1_3gpuE9ELNS1_3repE0EEENS1_30default_config_static_selectorELNS0_4arch9wavefront6targetE0EEEvT1_
    .private_segment_fixed_size: 0
    .sgpr_count:     0
    .sgpr_spill_count: 0
    .symbol:         _ZN7rocprim17ROCPRIM_400000_NS6detail17trampoline_kernelINS0_14default_configENS1_25partition_config_selectorILNS1_17partition_subalgoE5EjNS0_10empty_typeEbEEZZNS1_14partition_implILS5_5ELb0ES3_mN6thrust23THRUST_200600_302600_NS6detail15normal_iteratorINSA_10device_ptrIjEEEEPS6_NSA_18transform_iteratorINSB_9not_fun_tI7is_trueIjEEENSC_INSD_IbEEEENSA_11use_defaultESO_EENS0_5tupleIJSF_S6_EEENSQ_IJSG_SG_EEES6_PlJS6_EEE10hipError_tPvRmT3_T4_T5_T6_T7_T9_mT8_P12ihipStream_tbDpT10_ENKUlT_T0_E_clISt17integral_constantIbLb1EES1C_IbLb0EEEEDaS18_S19_EUlS18_E_NS1_11comp_targetILNS1_3genE5ELNS1_11target_archE942ELNS1_3gpuE9ELNS1_3repE0EEENS1_30default_config_static_selectorELNS0_4arch9wavefront6targetE0EEEvT1_.kd
    .uniform_work_group_size: 1
    .uses_dynamic_stack: false
    .vgpr_count:     0
    .vgpr_spill_count: 0
    .wavefront_size: 32
    .workgroup_processor_mode: 1
  - .args:
      - .offset:         0
        .size:           120
        .value_kind:     by_value
    .group_segment_fixed_size: 0
    .kernarg_segment_align: 8
    .kernarg_segment_size: 120
    .language:       OpenCL C
    .language_version:
      - 2
      - 0
    .max_flat_workgroup_size: 256
    .name:           _ZN7rocprim17ROCPRIM_400000_NS6detail17trampoline_kernelINS0_14default_configENS1_25partition_config_selectorILNS1_17partition_subalgoE5EjNS0_10empty_typeEbEEZZNS1_14partition_implILS5_5ELb0ES3_mN6thrust23THRUST_200600_302600_NS6detail15normal_iteratorINSA_10device_ptrIjEEEEPS6_NSA_18transform_iteratorINSB_9not_fun_tI7is_trueIjEEENSC_INSD_IbEEEENSA_11use_defaultESO_EENS0_5tupleIJSF_S6_EEENSQ_IJSG_SG_EEES6_PlJS6_EEE10hipError_tPvRmT3_T4_T5_T6_T7_T9_mT8_P12ihipStream_tbDpT10_ENKUlT_T0_E_clISt17integral_constantIbLb1EES1C_IbLb0EEEEDaS18_S19_EUlS18_E_NS1_11comp_targetILNS1_3genE4ELNS1_11target_archE910ELNS1_3gpuE8ELNS1_3repE0EEENS1_30default_config_static_selectorELNS0_4arch9wavefront6targetE0EEEvT1_
    .private_segment_fixed_size: 0
    .sgpr_count:     0
    .sgpr_spill_count: 0
    .symbol:         _ZN7rocprim17ROCPRIM_400000_NS6detail17trampoline_kernelINS0_14default_configENS1_25partition_config_selectorILNS1_17partition_subalgoE5EjNS0_10empty_typeEbEEZZNS1_14partition_implILS5_5ELb0ES3_mN6thrust23THRUST_200600_302600_NS6detail15normal_iteratorINSA_10device_ptrIjEEEEPS6_NSA_18transform_iteratorINSB_9not_fun_tI7is_trueIjEEENSC_INSD_IbEEEENSA_11use_defaultESO_EENS0_5tupleIJSF_S6_EEENSQ_IJSG_SG_EEES6_PlJS6_EEE10hipError_tPvRmT3_T4_T5_T6_T7_T9_mT8_P12ihipStream_tbDpT10_ENKUlT_T0_E_clISt17integral_constantIbLb1EES1C_IbLb0EEEEDaS18_S19_EUlS18_E_NS1_11comp_targetILNS1_3genE4ELNS1_11target_archE910ELNS1_3gpuE8ELNS1_3repE0EEENS1_30default_config_static_selectorELNS0_4arch9wavefront6targetE0EEEvT1_.kd
    .uniform_work_group_size: 1
    .uses_dynamic_stack: false
    .vgpr_count:     0
    .vgpr_spill_count: 0
    .wavefront_size: 32
    .workgroup_processor_mode: 1
  - .args:
      - .offset:         0
        .size:           120
        .value_kind:     by_value
    .group_segment_fixed_size: 0
    .kernarg_segment_align: 8
    .kernarg_segment_size: 120
    .language:       OpenCL C
    .language_version:
      - 2
      - 0
    .max_flat_workgroup_size: 512
    .name:           _ZN7rocprim17ROCPRIM_400000_NS6detail17trampoline_kernelINS0_14default_configENS1_25partition_config_selectorILNS1_17partition_subalgoE5EjNS0_10empty_typeEbEEZZNS1_14partition_implILS5_5ELb0ES3_mN6thrust23THRUST_200600_302600_NS6detail15normal_iteratorINSA_10device_ptrIjEEEEPS6_NSA_18transform_iteratorINSB_9not_fun_tI7is_trueIjEEENSC_INSD_IbEEEENSA_11use_defaultESO_EENS0_5tupleIJSF_S6_EEENSQ_IJSG_SG_EEES6_PlJS6_EEE10hipError_tPvRmT3_T4_T5_T6_T7_T9_mT8_P12ihipStream_tbDpT10_ENKUlT_T0_E_clISt17integral_constantIbLb1EES1C_IbLb0EEEEDaS18_S19_EUlS18_E_NS1_11comp_targetILNS1_3genE3ELNS1_11target_archE908ELNS1_3gpuE7ELNS1_3repE0EEENS1_30default_config_static_selectorELNS0_4arch9wavefront6targetE0EEEvT1_
    .private_segment_fixed_size: 0
    .sgpr_count:     0
    .sgpr_spill_count: 0
    .symbol:         _ZN7rocprim17ROCPRIM_400000_NS6detail17trampoline_kernelINS0_14default_configENS1_25partition_config_selectorILNS1_17partition_subalgoE5EjNS0_10empty_typeEbEEZZNS1_14partition_implILS5_5ELb0ES3_mN6thrust23THRUST_200600_302600_NS6detail15normal_iteratorINSA_10device_ptrIjEEEEPS6_NSA_18transform_iteratorINSB_9not_fun_tI7is_trueIjEEENSC_INSD_IbEEEENSA_11use_defaultESO_EENS0_5tupleIJSF_S6_EEENSQ_IJSG_SG_EEES6_PlJS6_EEE10hipError_tPvRmT3_T4_T5_T6_T7_T9_mT8_P12ihipStream_tbDpT10_ENKUlT_T0_E_clISt17integral_constantIbLb1EES1C_IbLb0EEEEDaS18_S19_EUlS18_E_NS1_11comp_targetILNS1_3genE3ELNS1_11target_archE908ELNS1_3gpuE7ELNS1_3repE0EEENS1_30default_config_static_selectorELNS0_4arch9wavefront6targetE0EEEvT1_.kd
    .uniform_work_group_size: 1
    .uses_dynamic_stack: false
    .vgpr_count:     0
    .vgpr_spill_count: 0
    .wavefront_size: 32
    .workgroup_processor_mode: 1
  - .args:
      - .offset:         0
        .size:           120
        .value_kind:     by_value
    .group_segment_fixed_size: 0
    .kernarg_segment_align: 8
    .kernarg_segment_size: 120
    .language:       OpenCL C
    .language_version:
      - 2
      - 0
    .max_flat_workgroup_size: 256
    .name:           _ZN7rocprim17ROCPRIM_400000_NS6detail17trampoline_kernelINS0_14default_configENS1_25partition_config_selectorILNS1_17partition_subalgoE5EjNS0_10empty_typeEbEEZZNS1_14partition_implILS5_5ELb0ES3_mN6thrust23THRUST_200600_302600_NS6detail15normal_iteratorINSA_10device_ptrIjEEEEPS6_NSA_18transform_iteratorINSB_9not_fun_tI7is_trueIjEEENSC_INSD_IbEEEENSA_11use_defaultESO_EENS0_5tupleIJSF_S6_EEENSQ_IJSG_SG_EEES6_PlJS6_EEE10hipError_tPvRmT3_T4_T5_T6_T7_T9_mT8_P12ihipStream_tbDpT10_ENKUlT_T0_E_clISt17integral_constantIbLb1EES1C_IbLb0EEEEDaS18_S19_EUlS18_E_NS1_11comp_targetILNS1_3genE2ELNS1_11target_archE906ELNS1_3gpuE6ELNS1_3repE0EEENS1_30default_config_static_selectorELNS0_4arch9wavefront6targetE0EEEvT1_
    .private_segment_fixed_size: 0
    .sgpr_count:     0
    .sgpr_spill_count: 0
    .symbol:         _ZN7rocprim17ROCPRIM_400000_NS6detail17trampoline_kernelINS0_14default_configENS1_25partition_config_selectorILNS1_17partition_subalgoE5EjNS0_10empty_typeEbEEZZNS1_14partition_implILS5_5ELb0ES3_mN6thrust23THRUST_200600_302600_NS6detail15normal_iteratorINSA_10device_ptrIjEEEEPS6_NSA_18transform_iteratorINSB_9not_fun_tI7is_trueIjEEENSC_INSD_IbEEEENSA_11use_defaultESO_EENS0_5tupleIJSF_S6_EEENSQ_IJSG_SG_EEES6_PlJS6_EEE10hipError_tPvRmT3_T4_T5_T6_T7_T9_mT8_P12ihipStream_tbDpT10_ENKUlT_T0_E_clISt17integral_constantIbLb1EES1C_IbLb0EEEEDaS18_S19_EUlS18_E_NS1_11comp_targetILNS1_3genE2ELNS1_11target_archE906ELNS1_3gpuE6ELNS1_3repE0EEENS1_30default_config_static_selectorELNS0_4arch9wavefront6targetE0EEEvT1_.kd
    .uniform_work_group_size: 1
    .uses_dynamic_stack: false
    .vgpr_count:     0
    .vgpr_spill_count: 0
    .wavefront_size: 32
    .workgroup_processor_mode: 1
  - .args:
      - .offset:         0
        .size:           120
        .value_kind:     by_value
    .group_segment_fixed_size: 0
    .kernarg_segment_align: 8
    .kernarg_segment_size: 120
    .language:       OpenCL C
    .language_version:
      - 2
      - 0
    .max_flat_workgroup_size: 192
    .name:           _ZN7rocprim17ROCPRIM_400000_NS6detail17trampoline_kernelINS0_14default_configENS1_25partition_config_selectorILNS1_17partition_subalgoE5EjNS0_10empty_typeEbEEZZNS1_14partition_implILS5_5ELb0ES3_mN6thrust23THRUST_200600_302600_NS6detail15normal_iteratorINSA_10device_ptrIjEEEEPS6_NSA_18transform_iteratorINSB_9not_fun_tI7is_trueIjEEENSC_INSD_IbEEEENSA_11use_defaultESO_EENS0_5tupleIJSF_S6_EEENSQ_IJSG_SG_EEES6_PlJS6_EEE10hipError_tPvRmT3_T4_T5_T6_T7_T9_mT8_P12ihipStream_tbDpT10_ENKUlT_T0_E_clISt17integral_constantIbLb1EES1C_IbLb0EEEEDaS18_S19_EUlS18_E_NS1_11comp_targetILNS1_3genE10ELNS1_11target_archE1200ELNS1_3gpuE4ELNS1_3repE0EEENS1_30default_config_static_selectorELNS0_4arch9wavefront6targetE0EEEvT1_
    .private_segment_fixed_size: 0
    .sgpr_count:     0
    .sgpr_spill_count: 0
    .symbol:         _ZN7rocprim17ROCPRIM_400000_NS6detail17trampoline_kernelINS0_14default_configENS1_25partition_config_selectorILNS1_17partition_subalgoE5EjNS0_10empty_typeEbEEZZNS1_14partition_implILS5_5ELb0ES3_mN6thrust23THRUST_200600_302600_NS6detail15normal_iteratorINSA_10device_ptrIjEEEEPS6_NSA_18transform_iteratorINSB_9not_fun_tI7is_trueIjEEENSC_INSD_IbEEEENSA_11use_defaultESO_EENS0_5tupleIJSF_S6_EEENSQ_IJSG_SG_EEES6_PlJS6_EEE10hipError_tPvRmT3_T4_T5_T6_T7_T9_mT8_P12ihipStream_tbDpT10_ENKUlT_T0_E_clISt17integral_constantIbLb1EES1C_IbLb0EEEEDaS18_S19_EUlS18_E_NS1_11comp_targetILNS1_3genE10ELNS1_11target_archE1200ELNS1_3gpuE4ELNS1_3repE0EEENS1_30default_config_static_selectorELNS0_4arch9wavefront6targetE0EEEvT1_.kd
    .uniform_work_group_size: 1
    .uses_dynamic_stack: false
    .vgpr_count:     0
    .vgpr_spill_count: 0
    .wavefront_size: 32
    .workgroup_processor_mode: 1
  - .args:
      - .offset:         0
        .size:           120
        .value_kind:     by_value
    .group_segment_fixed_size: 0
    .kernarg_segment_align: 8
    .kernarg_segment_size: 120
    .language:       OpenCL C
    .language_version:
      - 2
      - 0
    .max_flat_workgroup_size: 128
    .name:           _ZN7rocprim17ROCPRIM_400000_NS6detail17trampoline_kernelINS0_14default_configENS1_25partition_config_selectorILNS1_17partition_subalgoE5EjNS0_10empty_typeEbEEZZNS1_14partition_implILS5_5ELb0ES3_mN6thrust23THRUST_200600_302600_NS6detail15normal_iteratorINSA_10device_ptrIjEEEEPS6_NSA_18transform_iteratorINSB_9not_fun_tI7is_trueIjEEENSC_INSD_IbEEEENSA_11use_defaultESO_EENS0_5tupleIJSF_S6_EEENSQ_IJSG_SG_EEES6_PlJS6_EEE10hipError_tPvRmT3_T4_T5_T6_T7_T9_mT8_P12ihipStream_tbDpT10_ENKUlT_T0_E_clISt17integral_constantIbLb1EES1C_IbLb0EEEEDaS18_S19_EUlS18_E_NS1_11comp_targetILNS1_3genE9ELNS1_11target_archE1100ELNS1_3gpuE3ELNS1_3repE0EEENS1_30default_config_static_selectorELNS0_4arch9wavefront6targetE0EEEvT1_
    .private_segment_fixed_size: 0
    .sgpr_count:     0
    .sgpr_spill_count: 0
    .symbol:         _ZN7rocprim17ROCPRIM_400000_NS6detail17trampoline_kernelINS0_14default_configENS1_25partition_config_selectorILNS1_17partition_subalgoE5EjNS0_10empty_typeEbEEZZNS1_14partition_implILS5_5ELb0ES3_mN6thrust23THRUST_200600_302600_NS6detail15normal_iteratorINSA_10device_ptrIjEEEEPS6_NSA_18transform_iteratorINSB_9not_fun_tI7is_trueIjEEENSC_INSD_IbEEEENSA_11use_defaultESO_EENS0_5tupleIJSF_S6_EEENSQ_IJSG_SG_EEES6_PlJS6_EEE10hipError_tPvRmT3_T4_T5_T6_T7_T9_mT8_P12ihipStream_tbDpT10_ENKUlT_T0_E_clISt17integral_constantIbLb1EES1C_IbLb0EEEEDaS18_S19_EUlS18_E_NS1_11comp_targetILNS1_3genE9ELNS1_11target_archE1100ELNS1_3gpuE3ELNS1_3repE0EEENS1_30default_config_static_selectorELNS0_4arch9wavefront6targetE0EEEvT1_.kd
    .uniform_work_group_size: 1
    .uses_dynamic_stack: false
    .vgpr_count:     0
    .vgpr_spill_count: 0
    .wavefront_size: 32
    .workgroup_processor_mode: 1
  - .args:
      - .offset:         0
        .size:           120
        .value_kind:     by_value
    .group_segment_fixed_size: 0
    .kernarg_segment_align: 8
    .kernarg_segment_size: 120
    .language:       OpenCL C
    .language_version:
      - 2
      - 0
    .max_flat_workgroup_size: 512
    .name:           _ZN7rocprim17ROCPRIM_400000_NS6detail17trampoline_kernelINS0_14default_configENS1_25partition_config_selectorILNS1_17partition_subalgoE5EjNS0_10empty_typeEbEEZZNS1_14partition_implILS5_5ELb0ES3_mN6thrust23THRUST_200600_302600_NS6detail15normal_iteratorINSA_10device_ptrIjEEEEPS6_NSA_18transform_iteratorINSB_9not_fun_tI7is_trueIjEEENSC_INSD_IbEEEENSA_11use_defaultESO_EENS0_5tupleIJSF_S6_EEENSQ_IJSG_SG_EEES6_PlJS6_EEE10hipError_tPvRmT3_T4_T5_T6_T7_T9_mT8_P12ihipStream_tbDpT10_ENKUlT_T0_E_clISt17integral_constantIbLb1EES1C_IbLb0EEEEDaS18_S19_EUlS18_E_NS1_11comp_targetILNS1_3genE8ELNS1_11target_archE1030ELNS1_3gpuE2ELNS1_3repE0EEENS1_30default_config_static_selectorELNS0_4arch9wavefront6targetE0EEEvT1_
    .private_segment_fixed_size: 0
    .sgpr_count:     0
    .sgpr_spill_count: 0
    .symbol:         _ZN7rocprim17ROCPRIM_400000_NS6detail17trampoline_kernelINS0_14default_configENS1_25partition_config_selectorILNS1_17partition_subalgoE5EjNS0_10empty_typeEbEEZZNS1_14partition_implILS5_5ELb0ES3_mN6thrust23THRUST_200600_302600_NS6detail15normal_iteratorINSA_10device_ptrIjEEEEPS6_NSA_18transform_iteratorINSB_9not_fun_tI7is_trueIjEEENSC_INSD_IbEEEENSA_11use_defaultESO_EENS0_5tupleIJSF_S6_EEENSQ_IJSG_SG_EEES6_PlJS6_EEE10hipError_tPvRmT3_T4_T5_T6_T7_T9_mT8_P12ihipStream_tbDpT10_ENKUlT_T0_E_clISt17integral_constantIbLb1EES1C_IbLb0EEEEDaS18_S19_EUlS18_E_NS1_11comp_targetILNS1_3genE8ELNS1_11target_archE1030ELNS1_3gpuE2ELNS1_3repE0EEENS1_30default_config_static_selectorELNS0_4arch9wavefront6targetE0EEEvT1_.kd
    .uniform_work_group_size: 1
    .uses_dynamic_stack: false
    .vgpr_count:     0
    .vgpr_spill_count: 0
    .wavefront_size: 32
    .workgroup_processor_mode: 1
  - .args:
      - .offset:         0
        .size:           136
        .value_kind:     by_value
    .group_segment_fixed_size: 0
    .kernarg_segment_align: 8
    .kernarg_segment_size: 136
    .language:       OpenCL C
    .language_version:
      - 2
      - 0
    .max_flat_workgroup_size: 512
    .name:           _ZN7rocprim17ROCPRIM_400000_NS6detail17trampoline_kernelINS0_14default_configENS1_25partition_config_selectorILNS1_17partition_subalgoE5EjNS0_10empty_typeEbEEZZNS1_14partition_implILS5_5ELb0ES3_mN6thrust23THRUST_200600_302600_NS6detail15normal_iteratorINSA_10device_ptrIjEEEEPS6_NSA_18transform_iteratorINSB_9not_fun_tI7is_trueIjEEENSC_INSD_IbEEEENSA_11use_defaultESO_EENS0_5tupleIJSF_S6_EEENSQ_IJSG_SG_EEES6_PlJS6_EEE10hipError_tPvRmT3_T4_T5_T6_T7_T9_mT8_P12ihipStream_tbDpT10_ENKUlT_T0_E_clISt17integral_constantIbLb0EES1C_IbLb1EEEEDaS18_S19_EUlS18_E_NS1_11comp_targetILNS1_3genE0ELNS1_11target_archE4294967295ELNS1_3gpuE0ELNS1_3repE0EEENS1_30default_config_static_selectorELNS0_4arch9wavefront6targetE0EEEvT1_
    .private_segment_fixed_size: 0
    .sgpr_count:     0
    .sgpr_spill_count: 0
    .symbol:         _ZN7rocprim17ROCPRIM_400000_NS6detail17trampoline_kernelINS0_14default_configENS1_25partition_config_selectorILNS1_17partition_subalgoE5EjNS0_10empty_typeEbEEZZNS1_14partition_implILS5_5ELb0ES3_mN6thrust23THRUST_200600_302600_NS6detail15normal_iteratorINSA_10device_ptrIjEEEEPS6_NSA_18transform_iteratorINSB_9not_fun_tI7is_trueIjEEENSC_INSD_IbEEEENSA_11use_defaultESO_EENS0_5tupleIJSF_S6_EEENSQ_IJSG_SG_EEES6_PlJS6_EEE10hipError_tPvRmT3_T4_T5_T6_T7_T9_mT8_P12ihipStream_tbDpT10_ENKUlT_T0_E_clISt17integral_constantIbLb0EES1C_IbLb1EEEEDaS18_S19_EUlS18_E_NS1_11comp_targetILNS1_3genE0ELNS1_11target_archE4294967295ELNS1_3gpuE0ELNS1_3repE0EEENS1_30default_config_static_selectorELNS0_4arch9wavefront6targetE0EEEvT1_.kd
    .uniform_work_group_size: 1
    .uses_dynamic_stack: false
    .vgpr_count:     0
    .vgpr_spill_count: 0
    .wavefront_size: 32
    .workgroup_processor_mode: 1
  - .args:
      - .offset:         0
        .size:           136
        .value_kind:     by_value
    .group_segment_fixed_size: 0
    .kernarg_segment_align: 8
    .kernarg_segment_size: 136
    .language:       OpenCL C
    .language_version:
      - 2
      - 0
    .max_flat_workgroup_size: 512
    .name:           _ZN7rocprim17ROCPRIM_400000_NS6detail17trampoline_kernelINS0_14default_configENS1_25partition_config_selectorILNS1_17partition_subalgoE5EjNS0_10empty_typeEbEEZZNS1_14partition_implILS5_5ELb0ES3_mN6thrust23THRUST_200600_302600_NS6detail15normal_iteratorINSA_10device_ptrIjEEEEPS6_NSA_18transform_iteratorINSB_9not_fun_tI7is_trueIjEEENSC_INSD_IbEEEENSA_11use_defaultESO_EENS0_5tupleIJSF_S6_EEENSQ_IJSG_SG_EEES6_PlJS6_EEE10hipError_tPvRmT3_T4_T5_T6_T7_T9_mT8_P12ihipStream_tbDpT10_ENKUlT_T0_E_clISt17integral_constantIbLb0EES1C_IbLb1EEEEDaS18_S19_EUlS18_E_NS1_11comp_targetILNS1_3genE5ELNS1_11target_archE942ELNS1_3gpuE9ELNS1_3repE0EEENS1_30default_config_static_selectorELNS0_4arch9wavefront6targetE0EEEvT1_
    .private_segment_fixed_size: 0
    .sgpr_count:     0
    .sgpr_spill_count: 0
    .symbol:         _ZN7rocprim17ROCPRIM_400000_NS6detail17trampoline_kernelINS0_14default_configENS1_25partition_config_selectorILNS1_17partition_subalgoE5EjNS0_10empty_typeEbEEZZNS1_14partition_implILS5_5ELb0ES3_mN6thrust23THRUST_200600_302600_NS6detail15normal_iteratorINSA_10device_ptrIjEEEEPS6_NSA_18transform_iteratorINSB_9not_fun_tI7is_trueIjEEENSC_INSD_IbEEEENSA_11use_defaultESO_EENS0_5tupleIJSF_S6_EEENSQ_IJSG_SG_EEES6_PlJS6_EEE10hipError_tPvRmT3_T4_T5_T6_T7_T9_mT8_P12ihipStream_tbDpT10_ENKUlT_T0_E_clISt17integral_constantIbLb0EES1C_IbLb1EEEEDaS18_S19_EUlS18_E_NS1_11comp_targetILNS1_3genE5ELNS1_11target_archE942ELNS1_3gpuE9ELNS1_3repE0EEENS1_30default_config_static_selectorELNS0_4arch9wavefront6targetE0EEEvT1_.kd
    .uniform_work_group_size: 1
    .uses_dynamic_stack: false
    .vgpr_count:     0
    .vgpr_spill_count: 0
    .wavefront_size: 32
    .workgroup_processor_mode: 1
  - .args:
      - .offset:         0
        .size:           136
        .value_kind:     by_value
    .group_segment_fixed_size: 0
    .kernarg_segment_align: 8
    .kernarg_segment_size: 136
    .language:       OpenCL C
    .language_version:
      - 2
      - 0
    .max_flat_workgroup_size: 256
    .name:           _ZN7rocprim17ROCPRIM_400000_NS6detail17trampoline_kernelINS0_14default_configENS1_25partition_config_selectorILNS1_17partition_subalgoE5EjNS0_10empty_typeEbEEZZNS1_14partition_implILS5_5ELb0ES3_mN6thrust23THRUST_200600_302600_NS6detail15normal_iteratorINSA_10device_ptrIjEEEEPS6_NSA_18transform_iteratorINSB_9not_fun_tI7is_trueIjEEENSC_INSD_IbEEEENSA_11use_defaultESO_EENS0_5tupleIJSF_S6_EEENSQ_IJSG_SG_EEES6_PlJS6_EEE10hipError_tPvRmT3_T4_T5_T6_T7_T9_mT8_P12ihipStream_tbDpT10_ENKUlT_T0_E_clISt17integral_constantIbLb0EES1C_IbLb1EEEEDaS18_S19_EUlS18_E_NS1_11comp_targetILNS1_3genE4ELNS1_11target_archE910ELNS1_3gpuE8ELNS1_3repE0EEENS1_30default_config_static_selectorELNS0_4arch9wavefront6targetE0EEEvT1_
    .private_segment_fixed_size: 0
    .sgpr_count:     0
    .sgpr_spill_count: 0
    .symbol:         _ZN7rocprim17ROCPRIM_400000_NS6detail17trampoline_kernelINS0_14default_configENS1_25partition_config_selectorILNS1_17partition_subalgoE5EjNS0_10empty_typeEbEEZZNS1_14partition_implILS5_5ELb0ES3_mN6thrust23THRUST_200600_302600_NS6detail15normal_iteratorINSA_10device_ptrIjEEEEPS6_NSA_18transform_iteratorINSB_9not_fun_tI7is_trueIjEEENSC_INSD_IbEEEENSA_11use_defaultESO_EENS0_5tupleIJSF_S6_EEENSQ_IJSG_SG_EEES6_PlJS6_EEE10hipError_tPvRmT3_T4_T5_T6_T7_T9_mT8_P12ihipStream_tbDpT10_ENKUlT_T0_E_clISt17integral_constantIbLb0EES1C_IbLb1EEEEDaS18_S19_EUlS18_E_NS1_11comp_targetILNS1_3genE4ELNS1_11target_archE910ELNS1_3gpuE8ELNS1_3repE0EEENS1_30default_config_static_selectorELNS0_4arch9wavefront6targetE0EEEvT1_.kd
    .uniform_work_group_size: 1
    .uses_dynamic_stack: false
    .vgpr_count:     0
    .vgpr_spill_count: 0
    .wavefront_size: 32
    .workgroup_processor_mode: 1
  - .args:
      - .offset:         0
        .size:           136
        .value_kind:     by_value
    .group_segment_fixed_size: 0
    .kernarg_segment_align: 8
    .kernarg_segment_size: 136
    .language:       OpenCL C
    .language_version:
      - 2
      - 0
    .max_flat_workgroup_size: 512
    .name:           _ZN7rocprim17ROCPRIM_400000_NS6detail17trampoline_kernelINS0_14default_configENS1_25partition_config_selectorILNS1_17partition_subalgoE5EjNS0_10empty_typeEbEEZZNS1_14partition_implILS5_5ELb0ES3_mN6thrust23THRUST_200600_302600_NS6detail15normal_iteratorINSA_10device_ptrIjEEEEPS6_NSA_18transform_iteratorINSB_9not_fun_tI7is_trueIjEEENSC_INSD_IbEEEENSA_11use_defaultESO_EENS0_5tupleIJSF_S6_EEENSQ_IJSG_SG_EEES6_PlJS6_EEE10hipError_tPvRmT3_T4_T5_T6_T7_T9_mT8_P12ihipStream_tbDpT10_ENKUlT_T0_E_clISt17integral_constantIbLb0EES1C_IbLb1EEEEDaS18_S19_EUlS18_E_NS1_11comp_targetILNS1_3genE3ELNS1_11target_archE908ELNS1_3gpuE7ELNS1_3repE0EEENS1_30default_config_static_selectorELNS0_4arch9wavefront6targetE0EEEvT1_
    .private_segment_fixed_size: 0
    .sgpr_count:     0
    .sgpr_spill_count: 0
    .symbol:         _ZN7rocprim17ROCPRIM_400000_NS6detail17trampoline_kernelINS0_14default_configENS1_25partition_config_selectorILNS1_17partition_subalgoE5EjNS0_10empty_typeEbEEZZNS1_14partition_implILS5_5ELb0ES3_mN6thrust23THRUST_200600_302600_NS6detail15normal_iteratorINSA_10device_ptrIjEEEEPS6_NSA_18transform_iteratorINSB_9not_fun_tI7is_trueIjEEENSC_INSD_IbEEEENSA_11use_defaultESO_EENS0_5tupleIJSF_S6_EEENSQ_IJSG_SG_EEES6_PlJS6_EEE10hipError_tPvRmT3_T4_T5_T6_T7_T9_mT8_P12ihipStream_tbDpT10_ENKUlT_T0_E_clISt17integral_constantIbLb0EES1C_IbLb1EEEEDaS18_S19_EUlS18_E_NS1_11comp_targetILNS1_3genE3ELNS1_11target_archE908ELNS1_3gpuE7ELNS1_3repE0EEENS1_30default_config_static_selectorELNS0_4arch9wavefront6targetE0EEEvT1_.kd
    .uniform_work_group_size: 1
    .uses_dynamic_stack: false
    .vgpr_count:     0
    .vgpr_spill_count: 0
    .wavefront_size: 32
    .workgroup_processor_mode: 1
  - .args:
      - .offset:         0
        .size:           136
        .value_kind:     by_value
    .group_segment_fixed_size: 0
    .kernarg_segment_align: 8
    .kernarg_segment_size: 136
    .language:       OpenCL C
    .language_version:
      - 2
      - 0
    .max_flat_workgroup_size: 256
    .name:           _ZN7rocprim17ROCPRIM_400000_NS6detail17trampoline_kernelINS0_14default_configENS1_25partition_config_selectorILNS1_17partition_subalgoE5EjNS0_10empty_typeEbEEZZNS1_14partition_implILS5_5ELb0ES3_mN6thrust23THRUST_200600_302600_NS6detail15normal_iteratorINSA_10device_ptrIjEEEEPS6_NSA_18transform_iteratorINSB_9not_fun_tI7is_trueIjEEENSC_INSD_IbEEEENSA_11use_defaultESO_EENS0_5tupleIJSF_S6_EEENSQ_IJSG_SG_EEES6_PlJS6_EEE10hipError_tPvRmT3_T4_T5_T6_T7_T9_mT8_P12ihipStream_tbDpT10_ENKUlT_T0_E_clISt17integral_constantIbLb0EES1C_IbLb1EEEEDaS18_S19_EUlS18_E_NS1_11comp_targetILNS1_3genE2ELNS1_11target_archE906ELNS1_3gpuE6ELNS1_3repE0EEENS1_30default_config_static_selectorELNS0_4arch9wavefront6targetE0EEEvT1_
    .private_segment_fixed_size: 0
    .sgpr_count:     0
    .sgpr_spill_count: 0
    .symbol:         _ZN7rocprim17ROCPRIM_400000_NS6detail17trampoline_kernelINS0_14default_configENS1_25partition_config_selectorILNS1_17partition_subalgoE5EjNS0_10empty_typeEbEEZZNS1_14partition_implILS5_5ELb0ES3_mN6thrust23THRUST_200600_302600_NS6detail15normal_iteratorINSA_10device_ptrIjEEEEPS6_NSA_18transform_iteratorINSB_9not_fun_tI7is_trueIjEEENSC_INSD_IbEEEENSA_11use_defaultESO_EENS0_5tupleIJSF_S6_EEENSQ_IJSG_SG_EEES6_PlJS6_EEE10hipError_tPvRmT3_T4_T5_T6_T7_T9_mT8_P12ihipStream_tbDpT10_ENKUlT_T0_E_clISt17integral_constantIbLb0EES1C_IbLb1EEEEDaS18_S19_EUlS18_E_NS1_11comp_targetILNS1_3genE2ELNS1_11target_archE906ELNS1_3gpuE6ELNS1_3repE0EEENS1_30default_config_static_selectorELNS0_4arch9wavefront6targetE0EEEvT1_.kd
    .uniform_work_group_size: 1
    .uses_dynamic_stack: false
    .vgpr_count:     0
    .vgpr_spill_count: 0
    .wavefront_size: 32
    .workgroup_processor_mode: 1
  - .args:
      - .offset:         0
        .size:           136
        .value_kind:     by_value
    .group_segment_fixed_size: 6352
    .kernarg_segment_align: 8
    .kernarg_segment_size: 136
    .language:       OpenCL C
    .language_version:
      - 2
      - 0
    .max_flat_workgroup_size: 192
    .name:           _ZN7rocprim17ROCPRIM_400000_NS6detail17trampoline_kernelINS0_14default_configENS1_25partition_config_selectorILNS1_17partition_subalgoE5EjNS0_10empty_typeEbEEZZNS1_14partition_implILS5_5ELb0ES3_mN6thrust23THRUST_200600_302600_NS6detail15normal_iteratorINSA_10device_ptrIjEEEEPS6_NSA_18transform_iteratorINSB_9not_fun_tI7is_trueIjEEENSC_INSD_IbEEEENSA_11use_defaultESO_EENS0_5tupleIJSF_S6_EEENSQ_IJSG_SG_EEES6_PlJS6_EEE10hipError_tPvRmT3_T4_T5_T6_T7_T9_mT8_P12ihipStream_tbDpT10_ENKUlT_T0_E_clISt17integral_constantIbLb0EES1C_IbLb1EEEEDaS18_S19_EUlS18_E_NS1_11comp_targetILNS1_3genE10ELNS1_11target_archE1200ELNS1_3gpuE4ELNS1_3repE0EEENS1_30default_config_static_selectorELNS0_4arch9wavefront6targetE0EEEvT1_
    .private_segment_fixed_size: 0
    .sgpr_count:     26
    .sgpr_spill_count: 0
    .symbol:         _ZN7rocprim17ROCPRIM_400000_NS6detail17trampoline_kernelINS0_14default_configENS1_25partition_config_selectorILNS1_17partition_subalgoE5EjNS0_10empty_typeEbEEZZNS1_14partition_implILS5_5ELb0ES3_mN6thrust23THRUST_200600_302600_NS6detail15normal_iteratorINSA_10device_ptrIjEEEEPS6_NSA_18transform_iteratorINSB_9not_fun_tI7is_trueIjEEENSC_INSD_IbEEEENSA_11use_defaultESO_EENS0_5tupleIJSF_S6_EEENSQ_IJSG_SG_EEES6_PlJS6_EEE10hipError_tPvRmT3_T4_T5_T6_T7_T9_mT8_P12ihipStream_tbDpT10_ENKUlT_T0_E_clISt17integral_constantIbLb0EES1C_IbLb1EEEEDaS18_S19_EUlS18_E_NS1_11comp_targetILNS1_3genE10ELNS1_11target_archE1200ELNS1_3gpuE4ELNS1_3repE0EEENS1_30default_config_static_selectorELNS0_4arch9wavefront6targetE0EEEvT1_.kd
    .uniform_work_group_size: 1
    .uses_dynamic_stack: false
    .vgpr_count:     54
    .vgpr_spill_count: 0
    .wavefront_size: 32
    .workgroup_processor_mode: 1
  - .args:
      - .offset:         0
        .size:           136
        .value_kind:     by_value
    .group_segment_fixed_size: 0
    .kernarg_segment_align: 8
    .kernarg_segment_size: 136
    .language:       OpenCL C
    .language_version:
      - 2
      - 0
    .max_flat_workgroup_size: 128
    .name:           _ZN7rocprim17ROCPRIM_400000_NS6detail17trampoline_kernelINS0_14default_configENS1_25partition_config_selectorILNS1_17partition_subalgoE5EjNS0_10empty_typeEbEEZZNS1_14partition_implILS5_5ELb0ES3_mN6thrust23THRUST_200600_302600_NS6detail15normal_iteratorINSA_10device_ptrIjEEEEPS6_NSA_18transform_iteratorINSB_9not_fun_tI7is_trueIjEEENSC_INSD_IbEEEENSA_11use_defaultESO_EENS0_5tupleIJSF_S6_EEENSQ_IJSG_SG_EEES6_PlJS6_EEE10hipError_tPvRmT3_T4_T5_T6_T7_T9_mT8_P12ihipStream_tbDpT10_ENKUlT_T0_E_clISt17integral_constantIbLb0EES1C_IbLb1EEEEDaS18_S19_EUlS18_E_NS1_11comp_targetILNS1_3genE9ELNS1_11target_archE1100ELNS1_3gpuE3ELNS1_3repE0EEENS1_30default_config_static_selectorELNS0_4arch9wavefront6targetE0EEEvT1_
    .private_segment_fixed_size: 0
    .sgpr_count:     0
    .sgpr_spill_count: 0
    .symbol:         _ZN7rocprim17ROCPRIM_400000_NS6detail17trampoline_kernelINS0_14default_configENS1_25partition_config_selectorILNS1_17partition_subalgoE5EjNS0_10empty_typeEbEEZZNS1_14partition_implILS5_5ELb0ES3_mN6thrust23THRUST_200600_302600_NS6detail15normal_iteratorINSA_10device_ptrIjEEEEPS6_NSA_18transform_iteratorINSB_9not_fun_tI7is_trueIjEEENSC_INSD_IbEEEENSA_11use_defaultESO_EENS0_5tupleIJSF_S6_EEENSQ_IJSG_SG_EEES6_PlJS6_EEE10hipError_tPvRmT3_T4_T5_T6_T7_T9_mT8_P12ihipStream_tbDpT10_ENKUlT_T0_E_clISt17integral_constantIbLb0EES1C_IbLb1EEEEDaS18_S19_EUlS18_E_NS1_11comp_targetILNS1_3genE9ELNS1_11target_archE1100ELNS1_3gpuE3ELNS1_3repE0EEENS1_30default_config_static_selectorELNS0_4arch9wavefront6targetE0EEEvT1_.kd
    .uniform_work_group_size: 1
    .uses_dynamic_stack: false
    .vgpr_count:     0
    .vgpr_spill_count: 0
    .wavefront_size: 32
    .workgroup_processor_mode: 1
  - .args:
      - .offset:         0
        .size:           136
        .value_kind:     by_value
    .group_segment_fixed_size: 0
    .kernarg_segment_align: 8
    .kernarg_segment_size: 136
    .language:       OpenCL C
    .language_version:
      - 2
      - 0
    .max_flat_workgroup_size: 512
    .name:           _ZN7rocprim17ROCPRIM_400000_NS6detail17trampoline_kernelINS0_14default_configENS1_25partition_config_selectorILNS1_17partition_subalgoE5EjNS0_10empty_typeEbEEZZNS1_14partition_implILS5_5ELb0ES3_mN6thrust23THRUST_200600_302600_NS6detail15normal_iteratorINSA_10device_ptrIjEEEEPS6_NSA_18transform_iteratorINSB_9not_fun_tI7is_trueIjEEENSC_INSD_IbEEEENSA_11use_defaultESO_EENS0_5tupleIJSF_S6_EEENSQ_IJSG_SG_EEES6_PlJS6_EEE10hipError_tPvRmT3_T4_T5_T6_T7_T9_mT8_P12ihipStream_tbDpT10_ENKUlT_T0_E_clISt17integral_constantIbLb0EES1C_IbLb1EEEEDaS18_S19_EUlS18_E_NS1_11comp_targetILNS1_3genE8ELNS1_11target_archE1030ELNS1_3gpuE2ELNS1_3repE0EEENS1_30default_config_static_selectorELNS0_4arch9wavefront6targetE0EEEvT1_
    .private_segment_fixed_size: 0
    .sgpr_count:     0
    .sgpr_spill_count: 0
    .symbol:         _ZN7rocprim17ROCPRIM_400000_NS6detail17trampoline_kernelINS0_14default_configENS1_25partition_config_selectorILNS1_17partition_subalgoE5EjNS0_10empty_typeEbEEZZNS1_14partition_implILS5_5ELb0ES3_mN6thrust23THRUST_200600_302600_NS6detail15normal_iteratorINSA_10device_ptrIjEEEEPS6_NSA_18transform_iteratorINSB_9not_fun_tI7is_trueIjEEENSC_INSD_IbEEEENSA_11use_defaultESO_EENS0_5tupleIJSF_S6_EEENSQ_IJSG_SG_EEES6_PlJS6_EEE10hipError_tPvRmT3_T4_T5_T6_T7_T9_mT8_P12ihipStream_tbDpT10_ENKUlT_T0_E_clISt17integral_constantIbLb0EES1C_IbLb1EEEEDaS18_S19_EUlS18_E_NS1_11comp_targetILNS1_3genE8ELNS1_11target_archE1030ELNS1_3gpuE2ELNS1_3repE0EEENS1_30default_config_static_selectorELNS0_4arch9wavefront6targetE0EEEvT1_.kd
    .uniform_work_group_size: 1
    .uses_dynamic_stack: false
    .vgpr_count:     0
    .vgpr_spill_count: 0
    .wavefront_size: 32
    .workgroup_processor_mode: 1
  - .args:
      - .offset:         0
        .size:           120
        .value_kind:     by_value
    .group_segment_fixed_size: 0
    .kernarg_segment_align: 8
    .kernarg_segment_size: 120
    .language:       OpenCL C
    .language_version:
      - 2
      - 0
    .max_flat_workgroup_size: 256
    .name:           _ZN7rocprim17ROCPRIM_400000_NS6detail17trampoline_kernelINS0_14default_configENS1_25partition_config_selectorILNS1_17partition_subalgoE5EtNS0_10empty_typeEbEEZZNS1_14partition_implILS5_5ELb0ES3_mN6thrust23THRUST_200600_302600_NS6detail15normal_iteratorINSA_10device_ptrItEEEEPS6_NSA_18transform_iteratorINSB_9not_fun_tI7is_trueItEEENSC_INSD_IbEEEENSA_11use_defaultESO_EENS0_5tupleIJSF_S6_EEENSQ_IJSG_SG_EEES6_PlJS6_EEE10hipError_tPvRmT3_T4_T5_T6_T7_T9_mT8_P12ihipStream_tbDpT10_ENKUlT_T0_E_clISt17integral_constantIbLb0EES1D_EEDaS18_S19_EUlS18_E_NS1_11comp_targetILNS1_3genE0ELNS1_11target_archE4294967295ELNS1_3gpuE0ELNS1_3repE0EEENS1_30default_config_static_selectorELNS0_4arch9wavefront6targetE0EEEvT1_
    .private_segment_fixed_size: 0
    .sgpr_count:     0
    .sgpr_spill_count: 0
    .symbol:         _ZN7rocprim17ROCPRIM_400000_NS6detail17trampoline_kernelINS0_14default_configENS1_25partition_config_selectorILNS1_17partition_subalgoE5EtNS0_10empty_typeEbEEZZNS1_14partition_implILS5_5ELb0ES3_mN6thrust23THRUST_200600_302600_NS6detail15normal_iteratorINSA_10device_ptrItEEEEPS6_NSA_18transform_iteratorINSB_9not_fun_tI7is_trueItEEENSC_INSD_IbEEEENSA_11use_defaultESO_EENS0_5tupleIJSF_S6_EEENSQ_IJSG_SG_EEES6_PlJS6_EEE10hipError_tPvRmT3_T4_T5_T6_T7_T9_mT8_P12ihipStream_tbDpT10_ENKUlT_T0_E_clISt17integral_constantIbLb0EES1D_EEDaS18_S19_EUlS18_E_NS1_11comp_targetILNS1_3genE0ELNS1_11target_archE4294967295ELNS1_3gpuE0ELNS1_3repE0EEENS1_30default_config_static_selectorELNS0_4arch9wavefront6targetE0EEEvT1_.kd
    .uniform_work_group_size: 1
    .uses_dynamic_stack: false
    .vgpr_count:     0
    .vgpr_spill_count: 0
    .wavefront_size: 32
    .workgroup_processor_mode: 1
  - .args:
      - .offset:         0
        .size:           120
        .value_kind:     by_value
    .group_segment_fixed_size: 0
    .kernarg_segment_align: 8
    .kernarg_segment_size: 120
    .language:       OpenCL C
    .language_version:
      - 2
      - 0
    .max_flat_workgroup_size: 512
    .name:           _ZN7rocprim17ROCPRIM_400000_NS6detail17trampoline_kernelINS0_14default_configENS1_25partition_config_selectorILNS1_17partition_subalgoE5EtNS0_10empty_typeEbEEZZNS1_14partition_implILS5_5ELb0ES3_mN6thrust23THRUST_200600_302600_NS6detail15normal_iteratorINSA_10device_ptrItEEEEPS6_NSA_18transform_iteratorINSB_9not_fun_tI7is_trueItEEENSC_INSD_IbEEEENSA_11use_defaultESO_EENS0_5tupleIJSF_S6_EEENSQ_IJSG_SG_EEES6_PlJS6_EEE10hipError_tPvRmT3_T4_T5_T6_T7_T9_mT8_P12ihipStream_tbDpT10_ENKUlT_T0_E_clISt17integral_constantIbLb0EES1D_EEDaS18_S19_EUlS18_E_NS1_11comp_targetILNS1_3genE5ELNS1_11target_archE942ELNS1_3gpuE9ELNS1_3repE0EEENS1_30default_config_static_selectorELNS0_4arch9wavefront6targetE0EEEvT1_
    .private_segment_fixed_size: 0
    .sgpr_count:     0
    .sgpr_spill_count: 0
    .symbol:         _ZN7rocprim17ROCPRIM_400000_NS6detail17trampoline_kernelINS0_14default_configENS1_25partition_config_selectorILNS1_17partition_subalgoE5EtNS0_10empty_typeEbEEZZNS1_14partition_implILS5_5ELb0ES3_mN6thrust23THRUST_200600_302600_NS6detail15normal_iteratorINSA_10device_ptrItEEEEPS6_NSA_18transform_iteratorINSB_9not_fun_tI7is_trueItEEENSC_INSD_IbEEEENSA_11use_defaultESO_EENS0_5tupleIJSF_S6_EEENSQ_IJSG_SG_EEES6_PlJS6_EEE10hipError_tPvRmT3_T4_T5_T6_T7_T9_mT8_P12ihipStream_tbDpT10_ENKUlT_T0_E_clISt17integral_constantIbLb0EES1D_EEDaS18_S19_EUlS18_E_NS1_11comp_targetILNS1_3genE5ELNS1_11target_archE942ELNS1_3gpuE9ELNS1_3repE0EEENS1_30default_config_static_selectorELNS0_4arch9wavefront6targetE0EEEvT1_.kd
    .uniform_work_group_size: 1
    .uses_dynamic_stack: false
    .vgpr_count:     0
    .vgpr_spill_count: 0
    .wavefront_size: 32
    .workgroup_processor_mode: 1
  - .args:
      - .offset:         0
        .size:           120
        .value_kind:     by_value
    .group_segment_fixed_size: 0
    .kernarg_segment_align: 8
    .kernarg_segment_size: 120
    .language:       OpenCL C
    .language_version:
      - 2
      - 0
    .max_flat_workgroup_size: 256
    .name:           _ZN7rocprim17ROCPRIM_400000_NS6detail17trampoline_kernelINS0_14default_configENS1_25partition_config_selectorILNS1_17partition_subalgoE5EtNS0_10empty_typeEbEEZZNS1_14partition_implILS5_5ELb0ES3_mN6thrust23THRUST_200600_302600_NS6detail15normal_iteratorINSA_10device_ptrItEEEEPS6_NSA_18transform_iteratorINSB_9not_fun_tI7is_trueItEEENSC_INSD_IbEEEENSA_11use_defaultESO_EENS0_5tupleIJSF_S6_EEENSQ_IJSG_SG_EEES6_PlJS6_EEE10hipError_tPvRmT3_T4_T5_T6_T7_T9_mT8_P12ihipStream_tbDpT10_ENKUlT_T0_E_clISt17integral_constantIbLb0EES1D_EEDaS18_S19_EUlS18_E_NS1_11comp_targetILNS1_3genE4ELNS1_11target_archE910ELNS1_3gpuE8ELNS1_3repE0EEENS1_30default_config_static_selectorELNS0_4arch9wavefront6targetE0EEEvT1_
    .private_segment_fixed_size: 0
    .sgpr_count:     0
    .sgpr_spill_count: 0
    .symbol:         _ZN7rocprim17ROCPRIM_400000_NS6detail17trampoline_kernelINS0_14default_configENS1_25partition_config_selectorILNS1_17partition_subalgoE5EtNS0_10empty_typeEbEEZZNS1_14partition_implILS5_5ELb0ES3_mN6thrust23THRUST_200600_302600_NS6detail15normal_iteratorINSA_10device_ptrItEEEEPS6_NSA_18transform_iteratorINSB_9not_fun_tI7is_trueItEEENSC_INSD_IbEEEENSA_11use_defaultESO_EENS0_5tupleIJSF_S6_EEENSQ_IJSG_SG_EEES6_PlJS6_EEE10hipError_tPvRmT3_T4_T5_T6_T7_T9_mT8_P12ihipStream_tbDpT10_ENKUlT_T0_E_clISt17integral_constantIbLb0EES1D_EEDaS18_S19_EUlS18_E_NS1_11comp_targetILNS1_3genE4ELNS1_11target_archE910ELNS1_3gpuE8ELNS1_3repE0EEENS1_30default_config_static_selectorELNS0_4arch9wavefront6targetE0EEEvT1_.kd
    .uniform_work_group_size: 1
    .uses_dynamic_stack: false
    .vgpr_count:     0
    .vgpr_spill_count: 0
    .wavefront_size: 32
    .workgroup_processor_mode: 1
  - .args:
      - .offset:         0
        .size:           120
        .value_kind:     by_value
    .group_segment_fixed_size: 0
    .kernarg_segment_align: 8
    .kernarg_segment_size: 120
    .language:       OpenCL C
    .language_version:
      - 2
      - 0
    .max_flat_workgroup_size: 256
    .name:           _ZN7rocprim17ROCPRIM_400000_NS6detail17trampoline_kernelINS0_14default_configENS1_25partition_config_selectorILNS1_17partition_subalgoE5EtNS0_10empty_typeEbEEZZNS1_14partition_implILS5_5ELb0ES3_mN6thrust23THRUST_200600_302600_NS6detail15normal_iteratorINSA_10device_ptrItEEEEPS6_NSA_18transform_iteratorINSB_9not_fun_tI7is_trueItEEENSC_INSD_IbEEEENSA_11use_defaultESO_EENS0_5tupleIJSF_S6_EEENSQ_IJSG_SG_EEES6_PlJS6_EEE10hipError_tPvRmT3_T4_T5_T6_T7_T9_mT8_P12ihipStream_tbDpT10_ENKUlT_T0_E_clISt17integral_constantIbLb0EES1D_EEDaS18_S19_EUlS18_E_NS1_11comp_targetILNS1_3genE3ELNS1_11target_archE908ELNS1_3gpuE7ELNS1_3repE0EEENS1_30default_config_static_selectorELNS0_4arch9wavefront6targetE0EEEvT1_
    .private_segment_fixed_size: 0
    .sgpr_count:     0
    .sgpr_spill_count: 0
    .symbol:         _ZN7rocprim17ROCPRIM_400000_NS6detail17trampoline_kernelINS0_14default_configENS1_25partition_config_selectorILNS1_17partition_subalgoE5EtNS0_10empty_typeEbEEZZNS1_14partition_implILS5_5ELb0ES3_mN6thrust23THRUST_200600_302600_NS6detail15normal_iteratorINSA_10device_ptrItEEEEPS6_NSA_18transform_iteratorINSB_9not_fun_tI7is_trueItEEENSC_INSD_IbEEEENSA_11use_defaultESO_EENS0_5tupleIJSF_S6_EEENSQ_IJSG_SG_EEES6_PlJS6_EEE10hipError_tPvRmT3_T4_T5_T6_T7_T9_mT8_P12ihipStream_tbDpT10_ENKUlT_T0_E_clISt17integral_constantIbLb0EES1D_EEDaS18_S19_EUlS18_E_NS1_11comp_targetILNS1_3genE3ELNS1_11target_archE908ELNS1_3gpuE7ELNS1_3repE0EEENS1_30default_config_static_selectorELNS0_4arch9wavefront6targetE0EEEvT1_.kd
    .uniform_work_group_size: 1
    .uses_dynamic_stack: false
    .vgpr_count:     0
    .vgpr_spill_count: 0
    .wavefront_size: 32
    .workgroup_processor_mode: 1
  - .args:
      - .offset:         0
        .size:           120
        .value_kind:     by_value
    .group_segment_fixed_size: 0
    .kernarg_segment_align: 8
    .kernarg_segment_size: 120
    .language:       OpenCL C
    .language_version:
      - 2
      - 0
    .max_flat_workgroup_size: 256
    .name:           _ZN7rocprim17ROCPRIM_400000_NS6detail17trampoline_kernelINS0_14default_configENS1_25partition_config_selectorILNS1_17partition_subalgoE5EtNS0_10empty_typeEbEEZZNS1_14partition_implILS5_5ELb0ES3_mN6thrust23THRUST_200600_302600_NS6detail15normal_iteratorINSA_10device_ptrItEEEEPS6_NSA_18transform_iteratorINSB_9not_fun_tI7is_trueItEEENSC_INSD_IbEEEENSA_11use_defaultESO_EENS0_5tupleIJSF_S6_EEENSQ_IJSG_SG_EEES6_PlJS6_EEE10hipError_tPvRmT3_T4_T5_T6_T7_T9_mT8_P12ihipStream_tbDpT10_ENKUlT_T0_E_clISt17integral_constantIbLb0EES1D_EEDaS18_S19_EUlS18_E_NS1_11comp_targetILNS1_3genE2ELNS1_11target_archE906ELNS1_3gpuE6ELNS1_3repE0EEENS1_30default_config_static_selectorELNS0_4arch9wavefront6targetE0EEEvT1_
    .private_segment_fixed_size: 0
    .sgpr_count:     0
    .sgpr_spill_count: 0
    .symbol:         _ZN7rocprim17ROCPRIM_400000_NS6detail17trampoline_kernelINS0_14default_configENS1_25partition_config_selectorILNS1_17partition_subalgoE5EtNS0_10empty_typeEbEEZZNS1_14partition_implILS5_5ELb0ES3_mN6thrust23THRUST_200600_302600_NS6detail15normal_iteratorINSA_10device_ptrItEEEEPS6_NSA_18transform_iteratorINSB_9not_fun_tI7is_trueItEEENSC_INSD_IbEEEENSA_11use_defaultESO_EENS0_5tupleIJSF_S6_EEENSQ_IJSG_SG_EEES6_PlJS6_EEE10hipError_tPvRmT3_T4_T5_T6_T7_T9_mT8_P12ihipStream_tbDpT10_ENKUlT_T0_E_clISt17integral_constantIbLb0EES1D_EEDaS18_S19_EUlS18_E_NS1_11comp_targetILNS1_3genE2ELNS1_11target_archE906ELNS1_3gpuE6ELNS1_3repE0EEENS1_30default_config_static_selectorELNS0_4arch9wavefront6targetE0EEEvT1_.kd
    .uniform_work_group_size: 1
    .uses_dynamic_stack: false
    .vgpr_count:     0
    .vgpr_spill_count: 0
    .wavefront_size: 32
    .workgroup_processor_mode: 1
  - .args:
      - .offset:         0
        .size:           120
        .value_kind:     by_value
    .group_segment_fixed_size: 6160
    .kernarg_segment_align: 8
    .kernarg_segment_size: 120
    .language:       OpenCL C
    .language_version:
      - 2
      - 0
    .max_flat_workgroup_size: 256
    .name:           _ZN7rocprim17ROCPRIM_400000_NS6detail17trampoline_kernelINS0_14default_configENS1_25partition_config_selectorILNS1_17partition_subalgoE5EtNS0_10empty_typeEbEEZZNS1_14partition_implILS5_5ELb0ES3_mN6thrust23THRUST_200600_302600_NS6detail15normal_iteratorINSA_10device_ptrItEEEEPS6_NSA_18transform_iteratorINSB_9not_fun_tI7is_trueItEEENSC_INSD_IbEEEENSA_11use_defaultESO_EENS0_5tupleIJSF_S6_EEENSQ_IJSG_SG_EEES6_PlJS6_EEE10hipError_tPvRmT3_T4_T5_T6_T7_T9_mT8_P12ihipStream_tbDpT10_ENKUlT_T0_E_clISt17integral_constantIbLb0EES1D_EEDaS18_S19_EUlS18_E_NS1_11comp_targetILNS1_3genE10ELNS1_11target_archE1200ELNS1_3gpuE4ELNS1_3repE0EEENS1_30default_config_static_selectorELNS0_4arch9wavefront6targetE0EEEvT1_
    .private_segment_fixed_size: 0
    .sgpr_count:     23
    .sgpr_spill_count: 0
    .symbol:         _ZN7rocprim17ROCPRIM_400000_NS6detail17trampoline_kernelINS0_14default_configENS1_25partition_config_selectorILNS1_17partition_subalgoE5EtNS0_10empty_typeEbEEZZNS1_14partition_implILS5_5ELb0ES3_mN6thrust23THRUST_200600_302600_NS6detail15normal_iteratorINSA_10device_ptrItEEEEPS6_NSA_18transform_iteratorINSB_9not_fun_tI7is_trueItEEENSC_INSD_IbEEEENSA_11use_defaultESO_EENS0_5tupleIJSF_S6_EEENSQ_IJSG_SG_EEES6_PlJS6_EEE10hipError_tPvRmT3_T4_T5_T6_T7_T9_mT8_P12ihipStream_tbDpT10_ENKUlT_T0_E_clISt17integral_constantIbLb0EES1D_EEDaS18_S19_EUlS18_E_NS1_11comp_targetILNS1_3genE10ELNS1_11target_archE1200ELNS1_3gpuE4ELNS1_3repE0EEENS1_30default_config_static_selectorELNS0_4arch9wavefront6targetE0EEEvT1_.kd
    .uniform_work_group_size: 1
    .uses_dynamic_stack: false
    .vgpr_count:     63
    .vgpr_spill_count: 0
    .wavefront_size: 32
    .workgroup_processor_mode: 1
  - .args:
      - .offset:         0
        .size:           120
        .value_kind:     by_value
    .group_segment_fixed_size: 0
    .kernarg_segment_align: 8
    .kernarg_segment_size: 120
    .language:       OpenCL C
    .language_version:
      - 2
      - 0
    .max_flat_workgroup_size: 128
    .name:           _ZN7rocprim17ROCPRIM_400000_NS6detail17trampoline_kernelINS0_14default_configENS1_25partition_config_selectorILNS1_17partition_subalgoE5EtNS0_10empty_typeEbEEZZNS1_14partition_implILS5_5ELb0ES3_mN6thrust23THRUST_200600_302600_NS6detail15normal_iteratorINSA_10device_ptrItEEEEPS6_NSA_18transform_iteratorINSB_9not_fun_tI7is_trueItEEENSC_INSD_IbEEEENSA_11use_defaultESO_EENS0_5tupleIJSF_S6_EEENSQ_IJSG_SG_EEES6_PlJS6_EEE10hipError_tPvRmT3_T4_T5_T6_T7_T9_mT8_P12ihipStream_tbDpT10_ENKUlT_T0_E_clISt17integral_constantIbLb0EES1D_EEDaS18_S19_EUlS18_E_NS1_11comp_targetILNS1_3genE9ELNS1_11target_archE1100ELNS1_3gpuE3ELNS1_3repE0EEENS1_30default_config_static_selectorELNS0_4arch9wavefront6targetE0EEEvT1_
    .private_segment_fixed_size: 0
    .sgpr_count:     0
    .sgpr_spill_count: 0
    .symbol:         _ZN7rocprim17ROCPRIM_400000_NS6detail17trampoline_kernelINS0_14default_configENS1_25partition_config_selectorILNS1_17partition_subalgoE5EtNS0_10empty_typeEbEEZZNS1_14partition_implILS5_5ELb0ES3_mN6thrust23THRUST_200600_302600_NS6detail15normal_iteratorINSA_10device_ptrItEEEEPS6_NSA_18transform_iteratorINSB_9not_fun_tI7is_trueItEEENSC_INSD_IbEEEENSA_11use_defaultESO_EENS0_5tupleIJSF_S6_EEENSQ_IJSG_SG_EEES6_PlJS6_EEE10hipError_tPvRmT3_T4_T5_T6_T7_T9_mT8_P12ihipStream_tbDpT10_ENKUlT_T0_E_clISt17integral_constantIbLb0EES1D_EEDaS18_S19_EUlS18_E_NS1_11comp_targetILNS1_3genE9ELNS1_11target_archE1100ELNS1_3gpuE3ELNS1_3repE0EEENS1_30default_config_static_selectorELNS0_4arch9wavefront6targetE0EEEvT1_.kd
    .uniform_work_group_size: 1
    .uses_dynamic_stack: false
    .vgpr_count:     0
    .vgpr_spill_count: 0
    .wavefront_size: 32
    .workgroup_processor_mode: 1
  - .args:
      - .offset:         0
        .size:           120
        .value_kind:     by_value
    .group_segment_fixed_size: 0
    .kernarg_segment_align: 8
    .kernarg_segment_size: 120
    .language:       OpenCL C
    .language_version:
      - 2
      - 0
    .max_flat_workgroup_size: 256
    .name:           _ZN7rocprim17ROCPRIM_400000_NS6detail17trampoline_kernelINS0_14default_configENS1_25partition_config_selectorILNS1_17partition_subalgoE5EtNS0_10empty_typeEbEEZZNS1_14partition_implILS5_5ELb0ES3_mN6thrust23THRUST_200600_302600_NS6detail15normal_iteratorINSA_10device_ptrItEEEEPS6_NSA_18transform_iteratorINSB_9not_fun_tI7is_trueItEEENSC_INSD_IbEEEENSA_11use_defaultESO_EENS0_5tupleIJSF_S6_EEENSQ_IJSG_SG_EEES6_PlJS6_EEE10hipError_tPvRmT3_T4_T5_T6_T7_T9_mT8_P12ihipStream_tbDpT10_ENKUlT_T0_E_clISt17integral_constantIbLb0EES1D_EEDaS18_S19_EUlS18_E_NS1_11comp_targetILNS1_3genE8ELNS1_11target_archE1030ELNS1_3gpuE2ELNS1_3repE0EEENS1_30default_config_static_selectorELNS0_4arch9wavefront6targetE0EEEvT1_
    .private_segment_fixed_size: 0
    .sgpr_count:     0
    .sgpr_spill_count: 0
    .symbol:         _ZN7rocprim17ROCPRIM_400000_NS6detail17trampoline_kernelINS0_14default_configENS1_25partition_config_selectorILNS1_17partition_subalgoE5EtNS0_10empty_typeEbEEZZNS1_14partition_implILS5_5ELb0ES3_mN6thrust23THRUST_200600_302600_NS6detail15normal_iteratorINSA_10device_ptrItEEEEPS6_NSA_18transform_iteratorINSB_9not_fun_tI7is_trueItEEENSC_INSD_IbEEEENSA_11use_defaultESO_EENS0_5tupleIJSF_S6_EEENSQ_IJSG_SG_EEES6_PlJS6_EEE10hipError_tPvRmT3_T4_T5_T6_T7_T9_mT8_P12ihipStream_tbDpT10_ENKUlT_T0_E_clISt17integral_constantIbLb0EES1D_EEDaS18_S19_EUlS18_E_NS1_11comp_targetILNS1_3genE8ELNS1_11target_archE1030ELNS1_3gpuE2ELNS1_3repE0EEENS1_30default_config_static_selectorELNS0_4arch9wavefront6targetE0EEEvT1_.kd
    .uniform_work_group_size: 1
    .uses_dynamic_stack: false
    .vgpr_count:     0
    .vgpr_spill_count: 0
    .wavefront_size: 32
    .workgroup_processor_mode: 1
  - .args:
      - .offset:         0
        .size:           136
        .value_kind:     by_value
    .group_segment_fixed_size: 0
    .kernarg_segment_align: 8
    .kernarg_segment_size: 136
    .language:       OpenCL C
    .language_version:
      - 2
      - 0
    .max_flat_workgroup_size: 256
    .name:           _ZN7rocprim17ROCPRIM_400000_NS6detail17trampoline_kernelINS0_14default_configENS1_25partition_config_selectorILNS1_17partition_subalgoE5EtNS0_10empty_typeEbEEZZNS1_14partition_implILS5_5ELb0ES3_mN6thrust23THRUST_200600_302600_NS6detail15normal_iteratorINSA_10device_ptrItEEEEPS6_NSA_18transform_iteratorINSB_9not_fun_tI7is_trueItEEENSC_INSD_IbEEEENSA_11use_defaultESO_EENS0_5tupleIJSF_S6_EEENSQ_IJSG_SG_EEES6_PlJS6_EEE10hipError_tPvRmT3_T4_T5_T6_T7_T9_mT8_P12ihipStream_tbDpT10_ENKUlT_T0_E_clISt17integral_constantIbLb1EES1D_EEDaS18_S19_EUlS18_E_NS1_11comp_targetILNS1_3genE0ELNS1_11target_archE4294967295ELNS1_3gpuE0ELNS1_3repE0EEENS1_30default_config_static_selectorELNS0_4arch9wavefront6targetE0EEEvT1_
    .private_segment_fixed_size: 0
    .sgpr_count:     0
    .sgpr_spill_count: 0
    .symbol:         _ZN7rocprim17ROCPRIM_400000_NS6detail17trampoline_kernelINS0_14default_configENS1_25partition_config_selectorILNS1_17partition_subalgoE5EtNS0_10empty_typeEbEEZZNS1_14partition_implILS5_5ELb0ES3_mN6thrust23THRUST_200600_302600_NS6detail15normal_iteratorINSA_10device_ptrItEEEEPS6_NSA_18transform_iteratorINSB_9not_fun_tI7is_trueItEEENSC_INSD_IbEEEENSA_11use_defaultESO_EENS0_5tupleIJSF_S6_EEENSQ_IJSG_SG_EEES6_PlJS6_EEE10hipError_tPvRmT3_T4_T5_T6_T7_T9_mT8_P12ihipStream_tbDpT10_ENKUlT_T0_E_clISt17integral_constantIbLb1EES1D_EEDaS18_S19_EUlS18_E_NS1_11comp_targetILNS1_3genE0ELNS1_11target_archE4294967295ELNS1_3gpuE0ELNS1_3repE0EEENS1_30default_config_static_selectorELNS0_4arch9wavefront6targetE0EEEvT1_.kd
    .uniform_work_group_size: 1
    .uses_dynamic_stack: false
    .vgpr_count:     0
    .vgpr_spill_count: 0
    .wavefront_size: 32
    .workgroup_processor_mode: 1
  - .args:
      - .offset:         0
        .size:           136
        .value_kind:     by_value
    .group_segment_fixed_size: 0
    .kernarg_segment_align: 8
    .kernarg_segment_size: 136
    .language:       OpenCL C
    .language_version:
      - 2
      - 0
    .max_flat_workgroup_size: 512
    .name:           _ZN7rocprim17ROCPRIM_400000_NS6detail17trampoline_kernelINS0_14default_configENS1_25partition_config_selectorILNS1_17partition_subalgoE5EtNS0_10empty_typeEbEEZZNS1_14partition_implILS5_5ELb0ES3_mN6thrust23THRUST_200600_302600_NS6detail15normal_iteratorINSA_10device_ptrItEEEEPS6_NSA_18transform_iteratorINSB_9not_fun_tI7is_trueItEEENSC_INSD_IbEEEENSA_11use_defaultESO_EENS0_5tupleIJSF_S6_EEENSQ_IJSG_SG_EEES6_PlJS6_EEE10hipError_tPvRmT3_T4_T5_T6_T7_T9_mT8_P12ihipStream_tbDpT10_ENKUlT_T0_E_clISt17integral_constantIbLb1EES1D_EEDaS18_S19_EUlS18_E_NS1_11comp_targetILNS1_3genE5ELNS1_11target_archE942ELNS1_3gpuE9ELNS1_3repE0EEENS1_30default_config_static_selectorELNS0_4arch9wavefront6targetE0EEEvT1_
    .private_segment_fixed_size: 0
    .sgpr_count:     0
    .sgpr_spill_count: 0
    .symbol:         _ZN7rocprim17ROCPRIM_400000_NS6detail17trampoline_kernelINS0_14default_configENS1_25partition_config_selectorILNS1_17partition_subalgoE5EtNS0_10empty_typeEbEEZZNS1_14partition_implILS5_5ELb0ES3_mN6thrust23THRUST_200600_302600_NS6detail15normal_iteratorINSA_10device_ptrItEEEEPS6_NSA_18transform_iteratorINSB_9not_fun_tI7is_trueItEEENSC_INSD_IbEEEENSA_11use_defaultESO_EENS0_5tupleIJSF_S6_EEENSQ_IJSG_SG_EEES6_PlJS6_EEE10hipError_tPvRmT3_T4_T5_T6_T7_T9_mT8_P12ihipStream_tbDpT10_ENKUlT_T0_E_clISt17integral_constantIbLb1EES1D_EEDaS18_S19_EUlS18_E_NS1_11comp_targetILNS1_3genE5ELNS1_11target_archE942ELNS1_3gpuE9ELNS1_3repE0EEENS1_30default_config_static_selectorELNS0_4arch9wavefront6targetE0EEEvT1_.kd
    .uniform_work_group_size: 1
    .uses_dynamic_stack: false
    .vgpr_count:     0
    .vgpr_spill_count: 0
    .wavefront_size: 32
    .workgroup_processor_mode: 1
  - .args:
      - .offset:         0
        .size:           136
        .value_kind:     by_value
    .group_segment_fixed_size: 0
    .kernarg_segment_align: 8
    .kernarg_segment_size: 136
    .language:       OpenCL C
    .language_version:
      - 2
      - 0
    .max_flat_workgroup_size: 256
    .name:           _ZN7rocprim17ROCPRIM_400000_NS6detail17trampoline_kernelINS0_14default_configENS1_25partition_config_selectorILNS1_17partition_subalgoE5EtNS0_10empty_typeEbEEZZNS1_14partition_implILS5_5ELb0ES3_mN6thrust23THRUST_200600_302600_NS6detail15normal_iteratorINSA_10device_ptrItEEEEPS6_NSA_18transform_iteratorINSB_9not_fun_tI7is_trueItEEENSC_INSD_IbEEEENSA_11use_defaultESO_EENS0_5tupleIJSF_S6_EEENSQ_IJSG_SG_EEES6_PlJS6_EEE10hipError_tPvRmT3_T4_T5_T6_T7_T9_mT8_P12ihipStream_tbDpT10_ENKUlT_T0_E_clISt17integral_constantIbLb1EES1D_EEDaS18_S19_EUlS18_E_NS1_11comp_targetILNS1_3genE4ELNS1_11target_archE910ELNS1_3gpuE8ELNS1_3repE0EEENS1_30default_config_static_selectorELNS0_4arch9wavefront6targetE0EEEvT1_
    .private_segment_fixed_size: 0
    .sgpr_count:     0
    .sgpr_spill_count: 0
    .symbol:         _ZN7rocprim17ROCPRIM_400000_NS6detail17trampoline_kernelINS0_14default_configENS1_25partition_config_selectorILNS1_17partition_subalgoE5EtNS0_10empty_typeEbEEZZNS1_14partition_implILS5_5ELb0ES3_mN6thrust23THRUST_200600_302600_NS6detail15normal_iteratorINSA_10device_ptrItEEEEPS6_NSA_18transform_iteratorINSB_9not_fun_tI7is_trueItEEENSC_INSD_IbEEEENSA_11use_defaultESO_EENS0_5tupleIJSF_S6_EEENSQ_IJSG_SG_EEES6_PlJS6_EEE10hipError_tPvRmT3_T4_T5_T6_T7_T9_mT8_P12ihipStream_tbDpT10_ENKUlT_T0_E_clISt17integral_constantIbLb1EES1D_EEDaS18_S19_EUlS18_E_NS1_11comp_targetILNS1_3genE4ELNS1_11target_archE910ELNS1_3gpuE8ELNS1_3repE0EEENS1_30default_config_static_selectorELNS0_4arch9wavefront6targetE0EEEvT1_.kd
    .uniform_work_group_size: 1
    .uses_dynamic_stack: false
    .vgpr_count:     0
    .vgpr_spill_count: 0
    .wavefront_size: 32
    .workgroup_processor_mode: 1
  - .args:
      - .offset:         0
        .size:           136
        .value_kind:     by_value
    .group_segment_fixed_size: 0
    .kernarg_segment_align: 8
    .kernarg_segment_size: 136
    .language:       OpenCL C
    .language_version:
      - 2
      - 0
    .max_flat_workgroup_size: 256
    .name:           _ZN7rocprim17ROCPRIM_400000_NS6detail17trampoline_kernelINS0_14default_configENS1_25partition_config_selectorILNS1_17partition_subalgoE5EtNS0_10empty_typeEbEEZZNS1_14partition_implILS5_5ELb0ES3_mN6thrust23THRUST_200600_302600_NS6detail15normal_iteratorINSA_10device_ptrItEEEEPS6_NSA_18transform_iteratorINSB_9not_fun_tI7is_trueItEEENSC_INSD_IbEEEENSA_11use_defaultESO_EENS0_5tupleIJSF_S6_EEENSQ_IJSG_SG_EEES6_PlJS6_EEE10hipError_tPvRmT3_T4_T5_T6_T7_T9_mT8_P12ihipStream_tbDpT10_ENKUlT_T0_E_clISt17integral_constantIbLb1EES1D_EEDaS18_S19_EUlS18_E_NS1_11comp_targetILNS1_3genE3ELNS1_11target_archE908ELNS1_3gpuE7ELNS1_3repE0EEENS1_30default_config_static_selectorELNS0_4arch9wavefront6targetE0EEEvT1_
    .private_segment_fixed_size: 0
    .sgpr_count:     0
    .sgpr_spill_count: 0
    .symbol:         _ZN7rocprim17ROCPRIM_400000_NS6detail17trampoline_kernelINS0_14default_configENS1_25partition_config_selectorILNS1_17partition_subalgoE5EtNS0_10empty_typeEbEEZZNS1_14partition_implILS5_5ELb0ES3_mN6thrust23THRUST_200600_302600_NS6detail15normal_iteratorINSA_10device_ptrItEEEEPS6_NSA_18transform_iteratorINSB_9not_fun_tI7is_trueItEEENSC_INSD_IbEEEENSA_11use_defaultESO_EENS0_5tupleIJSF_S6_EEENSQ_IJSG_SG_EEES6_PlJS6_EEE10hipError_tPvRmT3_T4_T5_T6_T7_T9_mT8_P12ihipStream_tbDpT10_ENKUlT_T0_E_clISt17integral_constantIbLb1EES1D_EEDaS18_S19_EUlS18_E_NS1_11comp_targetILNS1_3genE3ELNS1_11target_archE908ELNS1_3gpuE7ELNS1_3repE0EEENS1_30default_config_static_selectorELNS0_4arch9wavefront6targetE0EEEvT1_.kd
    .uniform_work_group_size: 1
    .uses_dynamic_stack: false
    .vgpr_count:     0
    .vgpr_spill_count: 0
    .wavefront_size: 32
    .workgroup_processor_mode: 1
  - .args:
      - .offset:         0
        .size:           136
        .value_kind:     by_value
    .group_segment_fixed_size: 0
    .kernarg_segment_align: 8
    .kernarg_segment_size: 136
    .language:       OpenCL C
    .language_version:
      - 2
      - 0
    .max_flat_workgroup_size: 256
    .name:           _ZN7rocprim17ROCPRIM_400000_NS6detail17trampoline_kernelINS0_14default_configENS1_25partition_config_selectorILNS1_17partition_subalgoE5EtNS0_10empty_typeEbEEZZNS1_14partition_implILS5_5ELb0ES3_mN6thrust23THRUST_200600_302600_NS6detail15normal_iteratorINSA_10device_ptrItEEEEPS6_NSA_18transform_iteratorINSB_9not_fun_tI7is_trueItEEENSC_INSD_IbEEEENSA_11use_defaultESO_EENS0_5tupleIJSF_S6_EEENSQ_IJSG_SG_EEES6_PlJS6_EEE10hipError_tPvRmT3_T4_T5_T6_T7_T9_mT8_P12ihipStream_tbDpT10_ENKUlT_T0_E_clISt17integral_constantIbLb1EES1D_EEDaS18_S19_EUlS18_E_NS1_11comp_targetILNS1_3genE2ELNS1_11target_archE906ELNS1_3gpuE6ELNS1_3repE0EEENS1_30default_config_static_selectorELNS0_4arch9wavefront6targetE0EEEvT1_
    .private_segment_fixed_size: 0
    .sgpr_count:     0
    .sgpr_spill_count: 0
    .symbol:         _ZN7rocprim17ROCPRIM_400000_NS6detail17trampoline_kernelINS0_14default_configENS1_25partition_config_selectorILNS1_17partition_subalgoE5EtNS0_10empty_typeEbEEZZNS1_14partition_implILS5_5ELb0ES3_mN6thrust23THRUST_200600_302600_NS6detail15normal_iteratorINSA_10device_ptrItEEEEPS6_NSA_18transform_iteratorINSB_9not_fun_tI7is_trueItEEENSC_INSD_IbEEEENSA_11use_defaultESO_EENS0_5tupleIJSF_S6_EEENSQ_IJSG_SG_EEES6_PlJS6_EEE10hipError_tPvRmT3_T4_T5_T6_T7_T9_mT8_P12ihipStream_tbDpT10_ENKUlT_T0_E_clISt17integral_constantIbLb1EES1D_EEDaS18_S19_EUlS18_E_NS1_11comp_targetILNS1_3genE2ELNS1_11target_archE906ELNS1_3gpuE6ELNS1_3repE0EEENS1_30default_config_static_selectorELNS0_4arch9wavefront6targetE0EEEvT1_.kd
    .uniform_work_group_size: 1
    .uses_dynamic_stack: false
    .vgpr_count:     0
    .vgpr_spill_count: 0
    .wavefront_size: 32
    .workgroup_processor_mode: 1
  - .args:
      - .offset:         0
        .size:           136
        .value_kind:     by_value
    .group_segment_fixed_size: 0
    .kernarg_segment_align: 8
    .kernarg_segment_size: 136
    .language:       OpenCL C
    .language_version:
      - 2
      - 0
    .max_flat_workgroup_size: 256
    .name:           _ZN7rocprim17ROCPRIM_400000_NS6detail17trampoline_kernelINS0_14default_configENS1_25partition_config_selectorILNS1_17partition_subalgoE5EtNS0_10empty_typeEbEEZZNS1_14partition_implILS5_5ELb0ES3_mN6thrust23THRUST_200600_302600_NS6detail15normal_iteratorINSA_10device_ptrItEEEEPS6_NSA_18transform_iteratorINSB_9not_fun_tI7is_trueItEEENSC_INSD_IbEEEENSA_11use_defaultESO_EENS0_5tupleIJSF_S6_EEENSQ_IJSG_SG_EEES6_PlJS6_EEE10hipError_tPvRmT3_T4_T5_T6_T7_T9_mT8_P12ihipStream_tbDpT10_ENKUlT_T0_E_clISt17integral_constantIbLb1EES1D_EEDaS18_S19_EUlS18_E_NS1_11comp_targetILNS1_3genE10ELNS1_11target_archE1200ELNS1_3gpuE4ELNS1_3repE0EEENS1_30default_config_static_selectorELNS0_4arch9wavefront6targetE0EEEvT1_
    .private_segment_fixed_size: 0
    .sgpr_count:     0
    .sgpr_spill_count: 0
    .symbol:         _ZN7rocprim17ROCPRIM_400000_NS6detail17trampoline_kernelINS0_14default_configENS1_25partition_config_selectorILNS1_17partition_subalgoE5EtNS0_10empty_typeEbEEZZNS1_14partition_implILS5_5ELb0ES3_mN6thrust23THRUST_200600_302600_NS6detail15normal_iteratorINSA_10device_ptrItEEEEPS6_NSA_18transform_iteratorINSB_9not_fun_tI7is_trueItEEENSC_INSD_IbEEEENSA_11use_defaultESO_EENS0_5tupleIJSF_S6_EEENSQ_IJSG_SG_EEES6_PlJS6_EEE10hipError_tPvRmT3_T4_T5_T6_T7_T9_mT8_P12ihipStream_tbDpT10_ENKUlT_T0_E_clISt17integral_constantIbLb1EES1D_EEDaS18_S19_EUlS18_E_NS1_11comp_targetILNS1_3genE10ELNS1_11target_archE1200ELNS1_3gpuE4ELNS1_3repE0EEENS1_30default_config_static_selectorELNS0_4arch9wavefront6targetE0EEEvT1_.kd
    .uniform_work_group_size: 1
    .uses_dynamic_stack: false
    .vgpr_count:     0
    .vgpr_spill_count: 0
    .wavefront_size: 32
    .workgroup_processor_mode: 1
  - .args:
      - .offset:         0
        .size:           136
        .value_kind:     by_value
    .group_segment_fixed_size: 0
    .kernarg_segment_align: 8
    .kernarg_segment_size: 136
    .language:       OpenCL C
    .language_version:
      - 2
      - 0
    .max_flat_workgroup_size: 128
    .name:           _ZN7rocprim17ROCPRIM_400000_NS6detail17trampoline_kernelINS0_14default_configENS1_25partition_config_selectorILNS1_17partition_subalgoE5EtNS0_10empty_typeEbEEZZNS1_14partition_implILS5_5ELb0ES3_mN6thrust23THRUST_200600_302600_NS6detail15normal_iteratorINSA_10device_ptrItEEEEPS6_NSA_18transform_iteratorINSB_9not_fun_tI7is_trueItEEENSC_INSD_IbEEEENSA_11use_defaultESO_EENS0_5tupleIJSF_S6_EEENSQ_IJSG_SG_EEES6_PlJS6_EEE10hipError_tPvRmT3_T4_T5_T6_T7_T9_mT8_P12ihipStream_tbDpT10_ENKUlT_T0_E_clISt17integral_constantIbLb1EES1D_EEDaS18_S19_EUlS18_E_NS1_11comp_targetILNS1_3genE9ELNS1_11target_archE1100ELNS1_3gpuE3ELNS1_3repE0EEENS1_30default_config_static_selectorELNS0_4arch9wavefront6targetE0EEEvT1_
    .private_segment_fixed_size: 0
    .sgpr_count:     0
    .sgpr_spill_count: 0
    .symbol:         _ZN7rocprim17ROCPRIM_400000_NS6detail17trampoline_kernelINS0_14default_configENS1_25partition_config_selectorILNS1_17partition_subalgoE5EtNS0_10empty_typeEbEEZZNS1_14partition_implILS5_5ELb0ES3_mN6thrust23THRUST_200600_302600_NS6detail15normal_iteratorINSA_10device_ptrItEEEEPS6_NSA_18transform_iteratorINSB_9not_fun_tI7is_trueItEEENSC_INSD_IbEEEENSA_11use_defaultESO_EENS0_5tupleIJSF_S6_EEENSQ_IJSG_SG_EEES6_PlJS6_EEE10hipError_tPvRmT3_T4_T5_T6_T7_T9_mT8_P12ihipStream_tbDpT10_ENKUlT_T0_E_clISt17integral_constantIbLb1EES1D_EEDaS18_S19_EUlS18_E_NS1_11comp_targetILNS1_3genE9ELNS1_11target_archE1100ELNS1_3gpuE3ELNS1_3repE0EEENS1_30default_config_static_selectorELNS0_4arch9wavefront6targetE0EEEvT1_.kd
    .uniform_work_group_size: 1
    .uses_dynamic_stack: false
    .vgpr_count:     0
    .vgpr_spill_count: 0
    .wavefront_size: 32
    .workgroup_processor_mode: 1
  - .args:
      - .offset:         0
        .size:           136
        .value_kind:     by_value
    .group_segment_fixed_size: 0
    .kernarg_segment_align: 8
    .kernarg_segment_size: 136
    .language:       OpenCL C
    .language_version:
      - 2
      - 0
    .max_flat_workgroup_size: 256
    .name:           _ZN7rocprim17ROCPRIM_400000_NS6detail17trampoline_kernelINS0_14default_configENS1_25partition_config_selectorILNS1_17partition_subalgoE5EtNS0_10empty_typeEbEEZZNS1_14partition_implILS5_5ELb0ES3_mN6thrust23THRUST_200600_302600_NS6detail15normal_iteratorINSA_10device_ptrItEEEEPS6_NSA_18transform_iteratorINSB_9not_fun_tI7is_trueItEEENSC_INSD_IbEEEENSA_11use_defaultESO_EENS0_5tupleIJSF_S6_EEENSQ_IJSG_SG_EEES6_PlJS6_EEE10hipError_tPvRmT3_T4_T5_T6_T7_T9_mT8_P12ihipStream_tbDpT10_ENKUlT_T0_E_clISt17integral_constantIbLb1EES1D_EEDaS18_S19_EUlS18_E_NS1_11comp_targetILNS1_3genE8ELNS1_11target_archE1030ELNS1_3gpuE2ELNS1_3repE0EEENS1_30default_config_static_selectorELNS0_4arch9wavefront6targetE0EEEvT1_
    .private_segment_fixed_size: 0
    .sgpr_count:     0
    .sgpr_spill_count: 0
    .symbol:         _ZN7rocprim17ROCPRIM_400000_NS6detail17trampoline_kernelINS0_14default_configENS1_25partition_config_selectorILNS1_17partition_subalgoE5EtNS0_10empty_typeEbEEZZNS1_14partition_implILS5_5ELb0ES3_mN6thrust23THRUST_200600_302600_NS6detail15normal_iteratorINSA_10device_ptrItEEEEPS6_NSA_18transform_iteratorINSB_9not_fun_tI7is_trueItEEENSC_INSD_IbEEEENSA_11use_defaultESO_EENS0_5tupleIJSF_S6_EEENSQ_IJSG_SG_EEES6_PlJS6_EEE10hipError_tPvRmT3_T4_T5_T6_T7_T9_mT8_P12ihipStream_tbDpT10_ENKUlT_T0_E_clISt17integral_constantIbLb1EES1D_EEDaS18_S19_EUlS18_E_NS1_11comp_targetILNS1_3genE8ELNS1_11target_archE1030ELNS1_3gpuE2ELNS1_3repE0EEENS1_30default_config_static_selectorELNS0_4arch9wavefront6targetE0EEEvT1_.kd
    .uniform_work_group_size: 1
    .uses_dynamic_stack: false
    .vgpr_count:     0
    .vgpr_spill_count: 0
    .wavefront_size: 32
    .workgroup_processor_mode: 1
  - .args:
      - .offset:         0
        .size:           120
        .value_kind:     by_value
    .group_segment_fixed_size: 0
    .kernarg_segment_align: 8
    .kernarg_segment_size: 120
    .language:       OpenCL C
    .language_version:
      - 2
      - 0
    .max_flat_workgroup_size: 256
    .name:           _ZN7rocprim17ROCPRIM_400000_NS6detail17trampoline_kernelINS0_14default_configENS1_25partition_config_selectorILNS1_17partition_subalgoE5EtNS0_10empty_typeEbEEZZNS1_14partition_implILS5_5ELb0ES3_mN6thrust23THRUST_200600_302600_NS6detail15normal_iteratorINSA_10device_ptrItEEEEPS6_NSA_18transform_iteratorINSB_9not_fun_tI7is_trueItEEENSC_INSD_IbEEEENSA_11use_defaultESO_EENS0_5tupleIJSF_S6_EEENSQ_IJSG_SG_EEES6_PlJS6_EEE10hipError_tPvRmT3_T4_T5_T6_T7_T9_mT8_P12ihipStream_tbDpT10_ENKUlT_T0_E_clISt17integral_constantIbLb1EES1C_IbLb0EEEEDaS18_S19_EUlS18_E_NS1_11comp_targetILNS1_3genE0ELNS1_11target_archE4294967295ELNS1_3gpuE0ELNS1_3repE0EEENS1_30default_config_static_selectorELNS0_4arch9wavefront6targetE0EEEvT1_
    .private_segment_fixed_size: 0
    .sgpr_count:     0
    .sgpr_spill_count: 0
    .symbol:         _ZN7rocprim17ROCPRIM_400000_NS6detail17trampoline_kernelINS0_14default_configENS1_25partition_config_selectorILNS1_17partition_subalgoE5EtNS0_10empty_typeEbEEZZNS1_14partition_implILS5_5ELb0ES3_mN6thrust23THRUST_200600_302600_NS6detail15normal_iteratorINSA_10device_ptrItEEEEPS6_NSA_18transform_iteratorINSB_9not_fun_tI7is_trueItEEENSC_INSD_IbEEEENSA_11use_defaultESO_EENS0_5tupleIJSF_S6_EEENSQ_IJSG_SG_EEES6_PlJS6_EEE10hipError_tPvRmT3_T4_T5_T6_T7_T9_mT8_P12ihipStream_tbDpT10_ENKUlT_T0_E_clISt17integral_constantIbLb1EES1C_IbLb0EEEEDaS18_S19_EUlS18_E_NS1_11comp_targetILNS1_3genE0ELNS1_11target_archE4294967295ELNS1_3gpuE0ELNS1_3repE0EEENS1_30default_config_static_selectorELNS0_4arch9wavefront6targetE0EEEvT1_.kd
    .uniform_work_group_size: 1
    .uses_dynamic_stack: false
    .vgpr_count:     0
    .vgpr_spill_count: 0
    .wavefront_size: 32
    .workgroup_processor_mode: 1
  - .args:
      - .offset:         0
        .size:           120
        .value_kind:     by_value
    .group_segment_fixed_size: 0
    .kernarg_segment_align: 8
    .kernarg_segment_size: 120
    .language:       OpenCL C
    .language_version:
      - 2
      - 0
    .max_flat_workgroup_size: 512
    .name:           _ZN7rocprim17ROCPRIM_400000_NS6detail17trampoline_kernelINS0_14default_configENS1_25partition_config_selectorILNS1_17partition_subalgoE5EtNS0_10empty_typeEbEEZZNS1_14partition_implILS5_5ELb0ES3_mN6thrust23THRUST_200600_302600_NS6detail15normal_iteratorINSA_10device_ptrItEEEEPS6_NSA_18transform_iteratorINSB_9not_fun_tI7is_trueItEEENSC_INSD_IbEEEENSA_11use_defaultESO_EENS0_5tupleIJSF_S6_EEENSQ_IJSG_SG_EEES6_PlJS6_EEE10hipError_tPvRmT3_T4_T5_T6_T7_T9_mT8_P12ihipStream_tbDpT10_ENKUlT_T0_E_clISt17integral_constantIbLb1EES1C_IbLb0EEEEDaS18_S19_EUlS18_E_NS1_11comp_targetILNS1_3genE5ELNS1_11target_archE942ELNS1_3gpuE9ELNS1_3repE0EEENS1_30default_config_static_selectorELNS0_4arch9wavefront6targetE0EEEvT1_
    .private_segment_fixed_size: 0
    .sgpr_count:     0
    .sgpr_spill_count: 0
    .symbol:         _ZN7rocprim17ROCPRIM_400000_NS6detail17trampoline_kernelINS0_14default_configENS1_25partition_config_selectorILNS1_17partition_subalgoE5EtNS0_10empty_typeEbEEZZNS1_14partition_implILS5_5ELb0ES3_mN6thrust23THRUST_200600_302600_NS6detail15normal_iteratorINSA_10device_ptrItEEEEPS6_NSA_18transform_iteratorINSB_9not_fun_tI7is_trueItEEENSC_INSD_IbEEEENSA_11use_defaultESO_EENS0_5tupleIJSF_S6_EEENSQ_IJSG_SG_EEES6_PlJS6_EEE10hipError_tPvRmT3_T4_T5_T6_T7_T9_mT8_P12ihipStream_tbDpT10_ENKUlT_T0_E_clISt17integral_constantIbLb1EES1C_IbLb0EEEEDaS18_S19_EUlS18_E_NS1_11comp_targetILNS1_3genE5ELNS1_11target_archE942ELNS1_3gpuE9ELNS1_3repE0EEENS1_30default_config_static_selectorELNS0_4arch9wavefront6targetE0EEEvT1_.kd
    .uniform_work_group_size: 1
    .uses_dynamic_stack: false
    .vgpr_count:     0
    .vgpr_spill_count: 0
    .wavefront_size: 32
    .workgroup_processor_mode: 1
  - .args:
      - .offset:         0
        .size:           120
        .value_kind:     by_value
    .group_segment_fixed_size: 0
    .kernarg_segment_align: 8
    .kernarg_segment_size: 120
    .language:       OpenCL C
    .language_version:
      - 2
      - 0
    .max_flat_workgroup_size: 256
    .name:           _ZN7rocprim17ROCPRIM_400000_NS6detail17trampoline_kernelINS0_14default_configENS1_25partition_config_selectorILNS1_17partition_subalgoE5EtNS0_10empty_typeEbEEZZNS1_14partition_implILS5_5ELb0ES3_mN6thrust23THRUST_200600_302600_NS6detail15normal_iteratorINSA_10device_ptrItEEEEPS6_NSA_18transform_iteratorINSB_9not_fun_tI7is_trueItEEENSC_INSD_IbEEEENSA_11use_defaultESO_EENS0_5tupleIJSF_S6_EEENSQ_IJSG_SG_EEES6_PlJS6_EEE10hipError_tPvRmT3_T4_T5_T6_T7_T9_mT8_P12ihipStream_tbDpT10_ENKUlT_T0_E_clISt17integral_constantIbLb1EES1C_IbLb0EEEEDaS18_S19_EUlS18_E_NS1_11comp_targetILNS1_3genE4ELNS1_11target_archE910ELNS1_3gpuE8ELNS1_3repE0EEENS1_30default_config_static_selectorELNS0_4arch9wavefront6targetE0EEEvT1_
    .private_segment_fixed_size: 0
    .sgpr_count:     0
    .sgpr_spill_count: 0
    .symbol:         _ZN7rocprim17ROCPRIM_400000_NS6detail17trampoline_kernelINS0_14default_configENS1_25partition_config_selectorILNS1_17partition_subalgoE5EtNS0_10empty_typeEbEEZZNS1_14partition_implILS5_5ELb0ES3_mN6thrust23THRUST_200600_302600_NS6detail15normal_iteratorINSA_10device_ptrItEEEEPS6_NSA_18transform_iteratorINSB_9not_fun_tI7is_trueItEEENSC_INSD_IbEEEENSA_11use_defaultESO_EENS0_5tupleIJSF_S6_EEENSQ_IJSG_SG_EEES6_PlJS6_EEE10hipError_tPvRmT3_T4_T5_T6_T7_T9_mT8_P12ihipStream_tbDpT10_ENKUlT_T0_E_clISt17integral_constantIbLb1EES1C_IbLb0EEEEDaS18_S19_EUlS18_E_NS1_11comp_targetILNS1_3genE4ELNS1_11target_archE910ELNS1_3gpuE8ELNS1_3repE0EEENS1_30default_config_static_selectorELNS0_4arch9wavefront6targetE0EEEvT1_.kd
    .uniform_work_group_size: 1
    .uses_dynamic_stack: false
    .vgpr_count:     0
    .vgpr_spill_count: 0
    .wavefront_size: 32
    .workgroup_processor_mode: 1
  - .args:
      - .offset:         0
        .size:           120
        .value_kind:     by_value
    .group_segment_fixed_size: 0
    .kernarg_segment_align: 8
    .kernarg_segment_size: 120
    .language:       OpenCL C
    .language_version:
      - 2
      - 0
    .max_flat_workgroup_size: 256
    .name:           _ZN7rocprim17ROCPRIM_400000_NS6detail17trampoline_kernelINS0_14default_configENS1_25partition_config_selectorILNS1_17partition_subalgoE5EtNS0_10empty_typeEbEEZZNS1_14partition_implILS5_5ELb0ES3_mN6thrust23THRUST_200600_302600_NS6detail15normal_iteratorINSA_10device_ptrItEEEEPS6_NSA_18transform_iteratorINSB_9not_fun_tI7is_trueItEEENSC_INSD_IbEEEENSA_11use_defaultESO_EENS0_5tupleIJSF_S6_EEENSQ_IJSG_SG_EEES6_PlJS6_EEE10hipError_tPvRmT3_T4_T5_T6_T7_T9_mT8_P12ihipStream_tbDpT10_ENKUlT_T0_E_clISt17integral_constantIbLb1EES1C_IbLb0EEEEDaS18_S19_EUlS18_E_NS1_11comp_targetILNS1_3genE3ELNS1_11target_archE908ELNS1_3gpuE7ELNS1_3repE0EEENS1_30default_config_static_selectorELNS0_4arch9wavefront6targetE0EEEvT1_
    .private_segment_fixed_size: 0
    .sgpr_count:     0
    .sgpr_spill_count: 0
    .symbol:         _ZN7rocprim17ROCPRIM_400000_NS6detail17trampoline_kernelINS0_14default_configENS1_25partition_config_selectorILNS1_17partition_subalgoE5EtNS0_10empty_typeEbEEZZNS1_14partition_implILS5_5ELb0ES3_mN6thrust23THRUST_200600_302600_NS6detail15normal_iteratorINSA_10device_ptrItEEEEPS6_NSA_18transform_iteratorINSB_9not_fun_tI7is_trueItEEENSC_INSD_IbEEEENSA_11use_defaultESO_EENS0_5tupleIJSF_S6_EEENSQ_IJSG_SG_EEES6_PlJS6_EEE10hipError_tPvRmT3_T4_T5_T6_T7_T9_mT8_P12ihipStream_tbDpT10_ENKUlT_T0_E_clISt17integral_constantIbLb1EES1C_IbLb0EEEEDaS18_S19_EUlS18_E_NS1_11comp_targetILNS1_3genE3ELNS1_11target_archE908ELNS1_3gpuE7ELNS1_3repE0EEENS1_30default_config_static_selectorELNS0_4arch9wavefront6targetE0EEEvT1_.kd
    .uniform_work_group_size: 1
    .uses_dynamic_stack: false
    .vgpr_count:     0
    .vgpr_spill_count: 0
    .wavefront_size: 32
    .workgroup_processor_mode: 1
  - .args:
      - .offset:         0
        .size:           120
        .value_kind:     by_value
    .group_segment_fixed_size: 0
    .kernarg_segment_align: 8
    .kernarg_segment_size: 120
    .language:       OpenCL C
    .language_version:
      - 2
      - 0
    .max_flat_workgroup_size: 256
    .name:           _ZN7rocprim17ROCPRIM_400000_NS6detail17trampoline_kernelINS0_14default_configENS1_25partition_config_selectorILNS1_17partition_subalgoE5EtNS0_10empty_typeEbEEZZNS1_14partition_implILS5_5ELb0ES3_mN6thrust23THRUST_200600_302600_NS6detail15normal_iteratorINSA_10device_ptrItEEEEPS6_NSA_18transform_iteratorINSB_9not_fun_tI7is_trueItEEENSC_INSD_IbEEEENSA_11use_defaultESO_EENS0_5tupleIJSF_S6_EEENSQ_IJSG_SG_EEES6_PlJS6_EEE10hipError_tPvRmT3_T4_T5_T6_T7_T9_mT8_P12ihipStream_tbDpT10_ENKUlT_T0_E_clISt17integral_constantIbLb1EES1C_IbLb0EEEEDaS18_S19_EUlS18_E_NS1_11comp_targetILNS1_3genE2ELNS1_11target_archE906ELNS1_3gpuE6ELNS1_3repE0EEENS1_30default_config_static_selectorELNS0_4arch9wavefront6targetE0EEEvT1_
    .private_segment_fixed_size: 0
    .sgpr_count:     0
    .sgpr_spill_count: 0
    .symbol:         _ZN7rocprim17ROCPRIM_400000_NS6detail17trampoline_kernelINS0_14default_configENS1_25partition_config_selectorILNS1_17partition_subalgoE5EtNS0_10empty_typeEbEEZZNS1_14partition_implILS5_5ELb0ES3_mN6thrust23THRUST_200600_302600_NS6detail15normal_iteratorINSA_10device_ptrItEEEEPS6_NSA_18transform_iteratorINSB_9not_fun_tI7is_trueItEEENSC_INSD_IbEEEENSA_11use_defaultESO_EENS0_5tupleIJSF_S6_EEENSQ_IJSG_SG_EEES6_PlJS6_EEE10hipError_tPvRmT3_T4_T5_T6_T7_T9_mT8_P12ihipStream_tbDpT10_ENKUlT_T0_E_clISt17integral_constantIbLb1EES1C_IbLb0EEEEDaS18_S19_EUlS18_E_NS1_11comp_targetILNS1_3genE2ELNS1_11target_archE906ELNS1_3gpuE6ELNS1_3repE0EEENS1_30default_config_static_selectorELNS0_4arch9wavefront6targetE0EEEvT1_.kd
    .uniform_work_group_size: 1
    .uses_dynamic_stack: false
    .vgpr_count:     0
    .vgpr_spill_count: 0
    .wavefront_size: 32
    .workgroup_processor_mode: 1
  - .args:
      - .offset:         0
        .size:           120
        .value_kind:     by_value
    .group_segment_fixed_size: 0
    .kernarg_segment_align: 8
    .kernarg_segment_size: 120
    .language:       OpenCL C
    .language_version:
      - 2
      - 0
    .max_flat_workgroup_size: 256
    .name:           _ZN7rocprim17ROCPRIM_400000_NS6detail17trampoline_kernelINS0_14default_configENS1_25partition_config_selectorILNS1_17partition_subalgoE5EtNS0_10empty_typeEbEEZZNS1_14partition_implILS5_5ELb0ES3_mN6thrust23THRUST_200600_302600_NS6detail15normal_iteratorINSA_10device_ptrItEEEEPS6_NSA_18transform_iteratorINSB_9not_fun_tI7is_trueItEEENSC_INSD_IbEEEENSA_11use_defaultESO_EENS0_5tupleIJSF_S6_EEENSQ_IJSG_SG_EEES6_PlJS6_EEE10hipError_tPvRmT3_T4_T5_T6_T7_T9_mT8_P12ihipStream_tbDpT10_ENKUlT_T0_E_clISt17integral_constantIbLb1EES1C_IbLb0EEEEDaS18_S19_EUlS18_E_NS1_11comp_targetILNS1_3genE10ELNS1_11target_archE1200ELNS1_3gpuE4ELNS1_3repE0EEENS1_30default_config_static_selectorELNS0_4arch9wavefront6targetE0EEEvT1_
    .private_segment_fixed_size: 0
    .sgpr_count:     0
    .sgpr_spill_count: 0
    .symbol:         _ZN7rocprim17ROCPRIM_400000_NS6detail17trampoline_kernelINS0_14default_configENS1_25partition_config_selectorILNS1_17partition_subalgoE5EtNS0_10empty_typeEbEEZZNS1_14partition_implILS5_5ELb0ES3_mN6thrust23THRUST_200600_302600_NS6detail15normal_iteratorINSA_10device_ptrItEEEEPS6_NSA_18transform_iteratorINSB_9not_fun_tI7is_trueItEEENSC_INSD_IbEEEENSA_11use_defaultESO_EENS0_5tupleIJSF_S6_EEENSQ_IJSG_SG_EEES6_PlJS6_EEE10hipError_tPvRmT3_T4_T5_T6_T7_T9_mT8_P12ihipStream_tbDpT10_ENKUlT_T0_E_clISt17integral_constantIbLb1EES1C_IbLb0EEEEDaS18_S19_EUlS18_E_NS1_11comp_targetILNS1_3genE10ELNS1_11target_archE1200ELNS1_3gpuE4ELNS1_3repE0EEENS1_30default_config_static_selectorELNS0_4arch9wavefront6targetE0EEEvT1_.kd
    .uniform_work_group_size: 1
    .uses_dynamic_stack: false
    .vgpr_count:     0
    .vgpr_spill_count: 0
    .wavefront_size: 32
    .workgroup_processor_mode: 1
  - .args:
      - .offset:         0
        .size:           120
        .value_kind:     by_value
    .group_segment_fixed_size: 0
    .kernarg_segment_align: 8
    .kernarg_segment_size: 120
    .language:       OpenCL C
    .language_version:
      - 2
      - 0
    .max_flat_workgroup_size: 128
    .name:           _ZN7rocprim17ROCPRIM_400000_NS6detail17trampoline_kernelINS0_14default_configENS1_25partition_config_selectorILNS1_17partition_subalgoE5EtNS0_10empty_typeEbEEZZNS1_14partition_implILS5_5ELb0ES3_mN6thrust23THRUST_200600_302600_NS6detail15normal_iteratorINSA_10device_ptrItEEEEPS6_NSA_18transform_iteratorINSB_9not_fun_tI7is_trueItEEENSC_INSD_IbEEEENSA_11use_defaultESO_EENS0_5tupleIJSF_S6_EEENSQ_IJSG_SG_EEES6_PlJS6_EEE10hipError_tPvRmT3_T4_T5_T6_T7_T9_mT8_P12ihipStream_tbDpT10_ENKUlT_T0_E_clISt17integral_constantIbLb1EES1C_IbLb0EEEEDaS18_S19_EUlS18_E_NS1_11comp_targetILNS1_3genE9ELNS1_11target_archE1100ELNS1_3gpuE3ELNS1_3repE0EEENS1_30default_config_static_selectorELNS0_4arch9wavefront6targetE0EEEvT1_
    .private_segment_fixed_size: 0
    .sgpr_count:     0
    .sgpr_spill_count: 0
    .symbol:         _ZN7rocprim17ROCPRIM_400000_NS6detail17trampoline_kernelINS0_14default_configENS1_25partition_config_selectorILNS1_17partition_subalgoE5EtNS0_10empty_typeEbEEZZNS1_14partition_implILS5_5ELb0ES3_mN6thrust23THRUST_200600_302600_NS6detail15normal_iteratorINSA_10device_ptrItEEEEPS6_NSA_18transform_iteratorINSB_9not_fun_tI7is_trueItEEENSC_INSD_IbEEEENSA_11use_defaultESO_EENS0_5tupleIJSF_S6_EEENSQ_IJSG_SG_EEES6_PlJS6_EEE10hipError_tPvRmT3_T4_T5_T6_T7_T9_mT8_P12ihipStream_tbDpT10_ENKUlT_T0_E_clISt17integral_constantIbLb1EES1C_IbLb0EEEEDaS18_S19_EUlS18_E_NS1_11comp_targetILNS1_3genE9ELNS1_11target_archE1100ELNS1_3gpuE3ELNS1_3repE0EEENS1_30default_config_static_selectorELNS0_4arch9wavefront6targetE0EEEvT1_.kd
    .uniform_work_group_size: 1
    .uses_dynamic_stack: false
    .vgpr_count:     0
    .vgpr_spill_count: 0
    .wavefront_size: 32
    .workgroup_processor_mode: 1
  - .args:
      - .offset:         0
        .size:           120
        .value_kind:     by_value
    .group_segment_fixed_size: 0
    .kernarg_segment_align: 8
    .kernarg_segment_size: 120
    .language:       OpenCL C
    .language_version:
      - 2
      - 0
    .max_flat_workgroup_size: 256
    .name:           _ZN7rocprim17ROCPRIM_400000_NS6detail17trampoline_kernelINS0_14default_configENS1_25partition_config_selectorILNS1_17partition_subalgoE5EtNS0_10empty_typeEbEEZZNS1_14partition_implILS5_5ELb0ES3_mN6thrust23THRUST_200600_302600_NS6detail15normal_iteratorINSA_10device_ptrItEEEEPS6_NSA_18transform_iteratorINSB_9not_fun_tI7is_trueItEEENSC_INSD_IbEEEENSA_11use_defaultESO_EENS0_5tupleIJSF_S6_EEENSQ_IJSG_SG_EEES6_PlJS6_EEE10hipError_tPvRmT3_T4_T5_T6_T7_T9_mT8_P12ihipStream_tbDpT10_ENKUlT_T0_E_clISt17integral_constantIbLb1EES1C_IbLb0EEEEDaS18_S19_EUlS18_E_NS1_11comp_targetILNS1_3genE8ELNS1_11target_archE1030ELNS1_3gpuE2ELNS1_3repE0EEENS1_30default_config_static_selectorELNS0_4arch9wavefront6targetE0EEEvT1_
    .private_segment_fixed_size: 0
    .sgpr_count:     0
    .sgpr_spill_count: 0
    .symbol:         _ZN7rocprim17ROCPRIM_400000_NS6detail17trampoline_kernelINS0_14default_configENS1_25partition_config_selectorILNS1_17partition_subalgoE5EtNS0_10empty_typeEbEEZZNS1_14partition_implILS5_5ELb0ES3_mN6thrust23THRUST_200600_302600_NS6detail15normal_iteratorINSA_10device_ptrItEEEEPS6_NSA_18transform_iteratorINSB_9not_fun_tI7is_trueItEEENSC_INSD_IbEEEENSA_11use_defaultESO_EENS0_5tupleIJSF_S6_EEENSQ_IJSG_SG_EEES6_PlJS6_EEE10hipError_tPvRmT3_T4_T5_T6_T7_T9_mT8_P12ihipStream_tbDpT10_ENKUlT_T0_E_clISt17integral_constantIbLb1EES1C_IbLb0EEEEDaS18_S19_EUlS18_E_NS1_11comp_targetILNS1_3genE8ELNS1_11target_archE1030ELNS1_3gpuE2ELNS1_3repE0EEENS1_30default_config_static_selectorELNS0_4arch9wavefront6targetE0EEEvT1_.kd
    .uniform_work_group_size: 1
    .uses_dynamic_stack: false
    .vgpr_count:     0
    .vgpr_spill_count: 0
    .wavefront_size: 32
    .workgroup_processor_mode: 1
  - .args:
      - .offset:         0
        .size:           136
        .value_kind:     by_value
    .group_segment_fixed_size: 0
    .kernarg_segment_align: 8
    .kernarg_segment_size: 136
    .language:       OpenCL C
    .language_version:
      - 2
      - 0
    .max_flat_workgroup_size: 256
    .name:           _ZN7rocprim17ROCPRIM_400000_NS6detail17trampoline_kernelINS0_14default_configENS1_25partition_config_selectorILNS1_17partition_subalgoE5EtNS0_10empty_typeEbEEZZNS1_14partition_implILS5_5ELb0ES3_mN6thrust23THRUST_200600_302600_NS6detail15normal_iteratorINSA_10device_ptrItEEEEPS6_NSA_18transform_iteratorINSB_9not_fun_tI7is_trueItEEENSC_INSD_IbEEEENSA_11use_defaultESO_EENS0_5tupleIJSF_S6_EEENSQ_IJSG_SG_EEES6_PlJS6_EEE10hipError_tPvRmT3_T4_T5_T6_T7_T9_mT8_P12ihipStream_tbDpT10_ENKUlT_T0_E_clISt17integral_constantIbLb0EES1C_IbLb1EEEEDaS18_S19_EUlS18_E_NS1_11comp_targetILNS1_3genE0ELNS1_11target_archE4294967295ELNS1_3gpuE0ELNS1_3repE0EEENS1_30default_config_static_selectorELNS0_4arch9wavefront6targetE0EEEvT1_
    .private_segment_fixed_size: 0
    .sgpr_count:     0
    .sgpr_spill_count: 0
    .symbol:         _ZN7rocprim17ROCPRIM_400000_NS6detail17trampoline_kernelINS0_14default_configENS1_25partition_config_selectorILNS1_17partition_subalgoE5EtNS0_10empty_typeEbEEZZNS1_14partition_implILS5_5ELb0ES3_mN6thrust23THRUST_200600_302600_NS6detail15normal_iteratorINSA_10device_ptrItEEEEPS6_NSA_18transform_iteratorINSB_9not_fun_tI7is_trueItEEENSC_INSD_IbEEEENSA_11use_defaultESO_EENS0_5tupleIJSF_S6_EEENSQ_IJSG_SG_EEES6_PlJS6_EEE10hipError_tPvRmT3_T4_T5_T6_T7_T9_mT8_P12ihipStream_tbDpT10_ENKUlT_T0_E_clISt17integral_constantIbLb0EES1C_IbLb1EEEEDaS18_S19_EUlS18_E_NS1_11comp_targetILNS1_3genE0ELNS1_11target_archE4294967295ELNS1_3gpuE0ELNS1_3repE0EEENS1_30default_config_static_selectorELNS0_4arch9wavefront6targetE0EEEvT1_.kd
    .uniform_work_group_size: 1
    .uses_dynamic_stack: false
    .vgpr_count:     0
    .vgpr_spill_count: 0
    .wavefront_size: 32
    .workgroup_processor_mode: 1
  - .args:
      - .offset:         0
        .size:           136
        .value_kind:     by_value
    .group_segment_fixed_size: 0
    .kernarg_segment_align: 8
    .kernarg_segment_size: 136
    .language:       OpenCL C
    .language_version:
      - 2
      - 0
    .max_flat_workgroup_size: 512
    .name:           _ZN7rocprim17ROCPRIM_400000_NS6detail17trampoline_kernelINS0_14default_configENS1_25partition_config_selectorILNS1_17partition_subalgoE5EtNS0_10empty_typeEbEEZZNS1_14partition_implILS5_5ELb0ES3_mN6thrust23THRUST_200600_302600_NS6detail15normal_iteratorINSA_10device_ptrItEEEEPS6_NSA_18transform_iteratorINSB_9not_fun_tI7is_trueItEEENSC_INSD_IbEEEENSA_11use_defaultESO_EENS0_5tupleIJSF_S6_EEENSQ_IJSG_SG_EEES6_PlJS6_EEE10hipError_tPvRmT3_T4_T5_T6_T7_T9_mT8_P12ihipStream_tbDpT10_ENKUlT_T0_E_clISt17integral_constantIbLb0EES1C_IbLb1EEEEDaS18_S19_EUlS18_E_NS1_11comp_targetILNS1_3genE5ELNS1_11target_archE942ELNS1_3gpuE9ELNS1_3repE0EEENS1_30default_config_static_selectorELNS0_4arch9wavefront6targetE0EEEvT1_
    .private_segment_fixed_size: 0
    .sgpr_count:     0
    .sgpr_spill_count: 0
    .symbol:         _ZN7rocprim17ROCPRIM_400000_NS6detail17trampoline_kernelINS0_14default_configENS1_25partition_config_selectorILNS1_17partition_subalgoE5EtNS0_10empty_typeEbEEZZNS1_14partition_implILS5_5ELb0ES3_mN6thrust23THRUST_200600_302600_NS6detail15normal_iteratorINSA_10device_ptrItEEEEPS6_NSA_18transform_iteratorINSB_9not_fun_tI7is_trueItEEENSC_INSD_IbEEEENSA_11use_defaultESO_EENS0_5tupleIJSF_S6_EEENSQ_IJSG_SG_EEES6_PlJS6_EEE10hipError_tPvRmT3_T4_T5_T6_T7_T9_mT8_P12ihipStream_tbDpT10_ENKUlT_T0_E_clISt17integral_constantIbLb0EES1C_IbLb1EEEEDaS18_S19_EUlS18_E_NS1_11comp_targetILNS1_3genE5ELNS1_11target_archE942ELNS1_3gpuE9ELNS1_3repE0EEENS1_30default_config_static_selectorELNS0_4arch9wavefront6targetE0EEEvT1_.kd
    .uniform_work_group_size: 1
    .uses_dynamic_stack: false
    .vgpr_count:     0
    .vgpr_spill_count: 0
    .wavefront_size: 32
    .workgroup_processor_mode: 1
  - .args:
      - .offset:         0
        .size:           136
        .value_kind:     by_value
    .group_segment_fixed_size: 0
    .kernarg_segment_align: 8
    .kernarg_segment_size: 136
    .language:       OpenCL C
    .language_version:
      - 2
      - 0
    .max_flat_workgroup_size: 256
    .name:           _ZN7rocprim17ROCPRIM_400000_NS6detail17trampoline_kernelINS0_14default_configENS1_25partition_config_selectorILNS1_17partition_subalgoE5EtNS0_10empty_typeEbEEZZNS1_14partition_implILS5_5ELb0ES3_mN6thrust23THRUST_200600_302600_NS6detail15normal_iteratorINSA_10device_ptrItEEEEPS6_NSA_18transform_iteratorINSB_9not_fun_tI7is_trueItEEENSC_INSD_IbEEEENSA_11use_defaultESO_EENS0_5tupleIJSF_S6_EEENSQ_IJSG_SG_EEES6_PlJS6_EEE10hipError_tPvRmT3_T4_T5_T6_T7_T9_mT8_P12ihipStream_tbDpT10_ENKUlT_T0_E_clISt17integral_constantIbLb0EES1C_IbLb1EEEEDaS18_S19_EUlS18_E_NS1_11comp_targetILNS1_3genE4ELNS1_11target_archE910ELNS1_3gpuE8ELNS1_3repE0EEENS1_30default_config_static_selectorELNS0_4arch9wavefront6targetE0EEEvT1_
    .private_segment_fixed_size: 0
    .sgpr_count:     0
    .sgpr_spill_count: 0
    .symbol:         _ZN7rocprim17ROCPRIM_400000_NS6detail17trampoline_kernelINS0_14default_configENS1_25partition_config_selectorILNS1_17partition_subalgoE5EtNS0_10empty_typeEbEEZZNS1_14partition_implILS5_5ELb0ES3_mN6thrust23THRUST_200600_302600_NS6detail15normal_iteratorINSA_10device_ptrItEEEEPS6_NSA_18transform_iteratorINSB_9not_fun_tI7is_trueItEEENSC_INSD_IbEEEENSA_11use_defaultESO_EENS0_5tupleIJSF_S6_EEENSQ_IJSG_SG_EEES6_PlJS6_EEE10hipError_tPvRmT3_T4_T5_T6_T7_T9_mT8_P12ihipStream_tbDpT10_ENKUlT_T0_E_clISt17integral_constantIbLb0EES1C_IbLb1EEEEDaS18_S19_EUlS18_E_NS1_11comp_targetILNS1_3genE4ELNS1_11target_archE910ELNS1_3gpuE8ELNS1_3repE0EEENS1_30default_config_static_selectorELNS0_4arch9wavefront6targetE0EEEvT1_.kd
    .uniform_work_group_size: 1
    .uses_dynamic_stack: false
    .vgpr_count:     0
    .vgpr_spill_count: 0
    .wavefront_size: 32
    .workgroup_processor_mode: 1
  - .args:
      - .offset:         0
        .size:           136
        .value_kind:     by_value
    .group_segment_fixed_size: 0
    .kernarg_segment_align: 8
    .kernarg_segment_size: 136
    .language:       OpenCL C
    .language_version:
      - 2
      - 0
    .max_flat_workgroup_size: 256
    .name:           _ZN7rocprim17ROCPRIM_400000_NS6detail17trampoline_kernelINS0_14default_configENS1_25partition_config_selectorILNS1_17partition_subalgoE5EtNS0_10empty_typeEbEEZZNS1_14partition_implILS5_5ELb0ES3_mN6thrust23THRUST_200600_302600_NS6detail15normal_iteratorINSA_10device_ptrItEEEEPS6_NSA_18transform_iteratorINSB_9not_fun_tI7is_trueItEEENSC_INSD_IbEEEENSA_11use_defaultESO_EENS0_5tupleIJSF_S6_EEENSQ_IJSG_SG_EEES6_PlJS6_EEE10hipError_tPvRmT3_T4_T5_T6_T7_T9_mT8_P12ihipStream_tbDpT10_ENKUlT_T0_E_clISt17integral_constantIbLb0EES1C_IbLb1EEEEDaS18_S19_EUlS18_E_NS1_11comp_targetILNS1_3genE3ELNS1_11target_archE908ELNS1_3gpuE7ELNS1_3repE0EEENS1_30default_config_static_selectorELNS0_4arch9wavefront6targetE0EEEvT1_
    .private_segment_fixed_size: 0
    .sgpr_count:     0
    .sgpr_spill_count: 0
    .symbol:         _ZN7rocprim17ROCPRIM_400000_NS6detail17trampoline_kernelINS0_14default_configENS1_25partition_config_selectorILNS1_17partition_subalgoE5EtNS0_10empty_typeEbEEZZNS1_14partition_implILS5_5ELb0ES3_mN6thrust23THRUST_200600_302600_NS6detail15normal_iteratorINSA_10device_ptrItEEEEPS6_NSA_18transform_iteratorINSB_9not_fun_tI7is_trueItEEENSC_INSD_IbEEEENSA_11use_defaultESO_EENS0_5tupleIJSF_S6_EEENSQ_IJSG_SG_EEES6_PlJS6_EEE10hipError_tPvRmT3_T4_T5_T6_T7_T9_mT8_P12ihipStream_tbDpT10_ENKUlT_T0_E_clISt17integral_constantIbLb0EES1C_IbLb1EEEEDaS18_S19_EUlS18_E_NS1_11comp_targetILNS1_3genE3ELNS1_11target_archE908ELNS1_3gpuE7ELNS1_3repE0EEENS1_30default_config_static_selectorELNS0_4arch9wavefront6targetE0EEEvT1_.kd
    .uniform_work_group_size: 1
    .uses_dynamic_stack: false
    .vgpr_count:     0
    .vgpr_spill_count: 0
    .wavefront_size: 32
    .workgroup_processor_mode: 1
  - .args:
      - .offset:         0
        .size:           136
        .value_kind:     by_value
    .group_segment_fixed_size: 0
    .kernarg_segment_align: 8
    .kernarg_segment_size: 136
    .language:       OpenCL C
    .language_version:
      - 2
      - 0
    .max_flat_workgroup_size: 256
    .name:           _ZN7rocprim17ROCPRIM_400000_NS6detail17trampoline_kernelINS0_14default_configENS1_25partition_config_selectorILNS1_17partition_subalgoE5EtNS0_10empty_typeEbEEZZNS1_14partition_implILS5_5ELb0ES3_mN6thrust23THRUST_200600_302600_NS6detail15normal_iteratorINSA_10device_ptrItEEEEPS6_NSA_18transform_iteratorINSB_9not_fun_tI7is_trueItEEENSC_INSD_IbEEEENSA_11use_defaultESO_EENS0_5tupleIJSF_S6_EEENSQ_IJSG_SG_EEES6_PlJS6_EEE10hipError_tPvRmT3_T4_T5_T6_T7_T9_mT8_P12ihipStream_tbDpT10_ENKUlT_T0_E_clISt17integral_constantIbLb0EES1C_IbLb1EEEEDaS18_S19_EUlS18_E_NS1_11comp_targetILNS1_3genE2ELNS1_11target_archE906ELNS1_3gpuE6ELNS1_3repE0EEENS1_30default_config_static_selectorELNS0_4arch9wavefront6targetE0EEEvT1_
    .private_segment_fixed_size: 0
    .sgpr_count:     0
    .sgpr_spill_count: 0
    .symbol:         _ZN7rocprim17ROCPRIM_400000_NS6detail17trampoline_kernelINS0_14default_configENS1_25partition_config_selectorILNS1_17partition_subalgoE5EtNS0_10empty_typeEbEEZZNS1_14partition_implILS5_5ELb0ES3_mN6thrust23THRUST_200600_302600_NS6detail15normal_iteratorINSA_10device_ptrItEEEEPS6_NSA_18transform_iteratorINSB_9not_fun_tI7is_trueItEEENSC_INSD_IbEEEENSA_11use_defaultESO_EENS0_5tupleIJSF_S6_EEENSQ_IJSG_SG_EEES6_PlJS6_EEE10hipError_tPvRmT3_T4_T5_T6_T7_T9_mT8_P12ihipStream_tbDpT10_ENKUlT_T0_E_clISt17integral_constantIbLb0EES1C_IbLb1EEEEDaS18_S19_EUlS18_E_NS1_11comp_targetILNS1_3genE2ELNS1_11target_archE906ELNS1_3gpuE6ELNS1_3repE0EEENS1_30default_config_static_selectorELNS0_4arch9wavefront6targetE0EEEvT1_.kd
    .uniform_work_group_size: 1
    .uses_dynamic_stack: false
    .vgpr_count:     0
    .vgpr_spill_count: 0
    .wavefront_size: 32
    .workgroup_processor_mode: 1
  - .args:
      - .offset:         0
        .size:           136
        .value_kind:     by_value
    .group_segment_fixed_size: 6160
    .kernarg_segment_align: 8
    .kernarg_segment_size: 136
    .language:       OpenCL C
    .language_version:
      - 2
      - 0
    .max_flat_workgroup_size: 256
    .name:           _ZN7rocprim17ROCPRIM_400000_NS6detail17trampoline_kernelINS0_14default_configENS1_25partition_config_selectorILNS1_17partition_subalgoE5EtNS0_10empty_typeEbEEZZNS1_14partition_implILS5_5ELb0ES3_mN6thrust23THRUST_200600_302600_NS6detail15normal_iteratorINSA_10device_ptrItEEEEPS6_NSA_18transform_iteratorINSB_9not_fun_tI7is_trueItEEENSC_INSD_IbEEEENSA_11use_defaultESO_EENS0_5tupleIJSF_S6_EEENSQ_IJSG_SG_EEES6_PlJS6_EEE10hipError_tPvRmT3_T4_T5_T6_T7_T9_mT8_P12ihipStream_tbDpT10_ENKUlT_T0_E_clISt17integral_constantIbLb0EES1C_IbLb1EEEEDaS18_S19_EUlS18_E_NS1_11comp_targetILNS1_3genE10ELNS1_11target_archE1200ELNS1_3gpuE4ELNS1_3repE0EEENS1_30default_config_static_selectorELNS0_4arch9wavefront6targetE0EEEvT1_
    .private_segment_fixed_size: 0
    .sgpr_count:     26
    .sgpr_spill_count: 0
    .symbol:         _ZN7rocprim17ROCPRIM_400000_NS6detail17trampoline_kernelINS0_14default_configENS1_25partition_config_selectorILNS1_17partition_subalgoE5EtNS0_10empty_typeEbEEZZNS1_14partition_implILS5_5ELb0ES3_mN6thrust23THRUST_200600_302600_NS6detail15normal_iteratorINSA_10device_ptrItEEEEPS6_NSA_18transform_iteratorINSB_9not_fun_tI7is_trueItEEENSC_INSD_IbEEEENSA_11use_defaultESO_EENS0_5tupleIJSF_S6_EEENSQ_IJSG_SG_EEES6_PlJS6_EEE10hipError_tPvRmT3_T4_T5_T6_T7_T9_mT8_P12ihipStream_tbDpT10_ENKUlT_T0_E_clISt17integral_constantIbLb0EES1C_IbLb1EEEEDaS18_S19_EUlS18_E_NS1_11comp_targetILNS1_3genE10ELNS1_11target_archE1200ELNS1_3gpuE4ELNS1_3repE0EEENS1_30default_config_static_selectorELNS0_4arch9wavefront6targetE0EEEvT1_.kd
    .uniform_work_group_size: 1
    .uses_dynamic_stack: false
    .vgpr_count:     65
    .vgpr_spill_count: 0
    .wavefront_size: 32
    .workgroup_processor_mode: 1
  - .args:
      - .offset:         0
        .size:           136
        .value_kind:     by_value
    .group_segment_fixed_size: 0
    .kernarg_segment_align: 8
    .kernarg_segment_size: 136
    .language:       OpenCL C
    .language_version:
      - 2
      - 0
    .max_flat_workgroup_size: 128
    .name:           _ZN7rocprim17ROCPRIM_400000_NS6detail17trampoline_kernelINS0_14default_configENS1_25partition_config_selectorILNS1_17partition_subalgoE5EtNS0_10empty_typeEbEEZZNS1_14partition_implILS5_5ELb0ES3_mN6thrust23THRUST_200600_302600_NS6detail15normal_iteratorINSA_10device_ptrItEEEEPS6_NSA_18transform_iteratorINSB_9not_fun_tI7is_trueItEEENSC_INSD_IbEEEENSA_11use_defaultESO_EENS0_5tupleIJSF_S6_EEENSQ_IJSG_SG_EEES6_PlJS6_EEE10hipError_tPvRmT3_T4_T5_T6_T7_T9_mT8_P12ihipStream_tbDpT10_ENKUlT_T0_E_clISt17integral_constantIbLb0EES1C_IbLb1EEEEDaS18_S19_EUlS18_E_NS1_11comp_targetILNS1_3genE9ELNS1_11target_archE1100ELNS1_3gpuE3ELNS1_3repE0EEENS1_30default_config_static_selectorELNS0_4arch9wavefront6targetE0EEEvT1_
    .private_segment_fixed_size: 0
    .sgpr_count:     0
    .sgpr_spill_count: 0
    .symbol:         _ZN7rocprim17ROCPRIM_400000_NS6detail17trampoline_kernelINS0_14default_configENS1_25partition_config_selectorILNS1_17partition_subalgoE5EtNS0_10empty_typeEbEEZZNS1_14partition_implILS5_5ELb0ES3_mN6thrust23THRUST_200600_302600_NS6detail15normal_iteratorINSA_10device_ptrItEEEEPS6_NSA_18transform_iteratorINSB_9not_fun_tI7is_trueItEEENSC_INSD_IbEEEENSA_11use_defaultESO_EENS0_5tupleIJSF_S6_EEENSQ_IJSG_SG_EEES6_PlJS6_EEE10hipError_tPvRmT3_T4_T5_T6_T7_T9_mT8_P12ihipStream_tbDpT10_ENKUlT_T0_E_clISt17integral_constantIbLb0EES1C_IbLb1EEEEDaS18_S19_EUlS18_E_NS1_11comp_targetILNS1_3genE9ELNS1_11target_archE1100ELNS1_3gpuE3ELNS1_3repE0EEENS1_30default_config_static_selectorELNS0_4arch9wavefront6targetE0EEEvT1_.kd
    .uniform_work_group_size: 1
    .uses_dynamic_stack: false
    .vgpr_count:     0
    .vgpr_spill_count: 0
    .wavefront_size: 32
    .workgroup_processor_mode: 1
  - .args:
      - .offset:         0
        .size:           136
        .value_kind:     by_value
    .group_segment_fixed_size: 0
    .kernarg_segment_align: 8
    .kernarg_segment_size: 136
    .language:       OpenCL C
    .language_version:
      - 2
      - 0
    .max_flat_workgroup_size: 256
    .name:           _ZN7rocprim17ROCPRIM_400000_NS6detail17trampoline_kernelINS0_14default_configENS1_25partition_config_selectorILNS1_17partition_subalgoE5EtNS0_10empty_typeEbEEZZNS1_14partition_implILS5_5ELb0ES3_mN6thrust23THRUST_200600_302600_NS6detail15normal_iteratorINSA_10device_ptrItEEEEPS6_NSA_18transform_iteratorINSB_9not_fun_tI7is_trueItEEENSC_INSD_IbEEEENSA_11use_defaultESO_EENS0_5tupleIJSF_S6_EEENSQ_IJSG_SG_EEES6_PlJS6_EEE10hipError_tPvRmT3_T4_T5_T6_T7_T9_mT8_P12ihipStream_tbDpT10_ENKUlT_T0_E_clISt17integral_constantIbLb0EES1C_IbLb1EEEEDaS18_S19_EUlS18_E_NS1_11comp_targetILNS1_3genE8ELNS1_11target_archE1030ELNS1_3gpuE2ELNS1_3repE0EEENS1_30default_config_static_selectorELNS0_4arch9wavefront6targetE0EEEvT1_
    .private_segment_fixed_size: 0
    .sgpr_count:     0
    .sgpr_spill_count: 0
    .symbol:         _ZN7rocprim17ROCPRIM_400000_NS6detail17trampoline_kernelINS0_14default_configENS1_25partition_config_selectorILNS1_17partition_subalgoE5EtNS0_10empty_typeEbEEZZNS1_14partition_implILS5_5ELb0ES3_mN6thrust23THRUST_200600_302600_NS6detail15normal_iteratorINSA_10device_ptrItEEEEPS6_NSA_18transform_iteratorINSB_9not_fun_tI7is_trueItEEENSC_INSD_IbEEEENSA_11use_defaultESO_EENS0_5tupleIJSF_S6_EEENSQ_IJSG_SG_EEES6_PlJS6_EEE10hipError_tPvRmT3_T4_T5_T6_T7_T9_mT8_P12ihipStream_tbDpT10_ENKUlT_T0_E_clISt17integral_constantIbLb0EES1C_IbLb1EEEEDaS18_S19_EUlS18_E_NS1_11comp_targetILNS1_3genE8ELNS1_11target_archE1030ELNS1_3gpuE2ELNS1_3repE0EEENS1_30default_config_static_selectorELNS0_4arch9wavefront6targetE0EEEvT1_.kd
    .uniform_work_group_size: 1
    .uses_dynamic_stack: false
    .vgpr_count:     0
    .vgpr_spill_count: 0
    .wavefront_size: 32
    .workgroup_processor_mode: 1
  - .args:
      - .offset:         0
        .size:           120
        .value_kind:     by_value
    .group_segment_fixed_size: 0
    .kernarg_segment_align: 8
    .kernarg_segment_size: 120
    .language:       OpenCL C
    .language_version:
      - 2
      - 0
    .max_flat_workgroup_size: 128
    .name:           _ZN7rocprim17ROCPRIM_400000_NS6detail17trampoline_kernelINS0_14default_configENS1_25partition_config_selectorILNS1_17partition_subalgoE5ExNS0_10empty_typeEbEEZZNS1_14partition_implILS5_5ELb0ES3_mN6thrust23THRUST_200600_302600_NS6detail15normal_iteratorINSA_10device_ptrIxEEEEPS6_NSA_18transform_iteratorINSB_9not_fun_tI7is_trueIxEEENSC_INSD_IbEEEENSA_11use_defaultESO_EENS0_5tupleIJSF_S6_EEENSQ_IJSG_SG_EEES6_PlJS6_EEE10hipError_tPvRmT3_T4_T5_T6_T7_T9_mT8_P12ihipStream_tbDpT10_ENKUlT_T0_E_clISt17integral_constantIbLb0EES1D_EEDaS18_S19_EUlS18_E_NS1_11comp_targetILNS1_3genE0ELNS1_11target_archE4294967295ELNS1_3gpuE0ELNS1_3repE0EEENS1_30default_config_static_selectorELNS0_4arch9wavefront6targetE0EEEvT1_
    .private_segment_fixed_size: 0
    .sgpr_count:     0
    .sgpr_spill_count: 0
    .symbol:         _ZN7rocprim17ROCPRIM_400000_NS6detail17trampoline_kernelINS0_14default_configENS1_25partition_config_selectorILNS1_17partition_subalgoE5ExNS0_10empty_typeEbEEZZNS1_14partition_implILS5_5ELb0ES3_mN6thrust23THRUST_200600_302600_NS6detail15normal_iteratorINSA_10device_ptrIxEEEEPS6_NSA_18transform_iteratorINSB_9not_fun_tI7is_trueIxEEENSC_INSD_IbEEEENSA_11use_defaultESO_EENS0_5tupleIJSF_S6_EEENSQ_IJSG_SG_EEES6_PlJS6_EEE10hipError_tPvRmT3_T4_T5_T6_T7_T9_mT8_P12ihipStream_tbDpT10_ENKUlT_T0_E_clISt17integral_constantIbLb0EES1D_EEDaS18_S19_EUlS18_E_NS1_11comp_targetILNS1_3genE0ELNS1_11target_archE4294967295ELNS1_3gpuE0ELNS1_3repE0EEENS1_30default_config_static_selectorELNS0_4arch9wavefront6targetE0EEEvT1_.kd
    .uniform_work_group_size: 1
    .uses_dynamic_stack: false
    .vgpr_count:     0
    .vgpr_spill_count: 0
    .wavefront_size: 32
    .workgroup_processor_mode: 1
  - .args:
      - .offset:         0
        .size:           120
        .value_kind:     by_value
    .group_segment_fixed_size: 0
    .kernarg_segment_align: 8
    .kernarg_segment_size: 120
    .language:       OpenCL C
    .language_version:
      - 2
      - 0
    .max_flat_workgroup_size: 512
    .name:           _ZN7rocprim17ROCPRIM_400000_NS6detail17trampoline_kernelINS0_14default_configENS1_25partition_config_selectorILNS1_17partition_subalgoE5ExNS0_10empty_typeEbEEZZNS1_14partition_implILS5_5ELb0ES3_mN6thrust23THRUST_200600_302600_NS6detail15normal_iteratorINSA_10device_ptrIxEEEEPS6_NSA_18transform_iteratorINSB_9not_fun_tI7is_trueIxEEENSC_INSD_IbEEEENSA_11use_defaultESO_EENS0_5tupleIJSF_S6_EEENSQ_IJSG_SG_EEES6_PlJS6_EEE10hipError_tPvRmT3_T4_T5_T6_T7_T9_mT8_P12ihipStream_tbDpT10_ENKUlT_T0_E_clISt17integral_constantIbLb0EES1D_EEDaS18_S19_EUlS18_E_NS1_11comp_targetILNS1_3genE5ELNS1_11target_archE942ELNS1_3gpuE9ELNS1_3repE0EEENS1_30default_config_static_selectorELNS0_4arch9wavefront6targetE0EEEvT1_
    .private_segment_fixed_size: 0
    .sgpr_count:     0
    .sgpr_spill_count: 0
    .symbol:         _ZN7rocprim17ROCPRIM_400000_NS6detail17trampoline_kernelINS0_14default_configENS1_25partition_config_selectorILNS1_17partition_subalgoE5ExNS0_10empty_typeEbEEZZNS1_14partition_implILS5_5ELb0ES3_mN6thrust23THRUST_200600_302600_NS6detail15normal_iteratorINSA_10device_ptrIxEEEEPS6_NSA_18transform_iteratorINSB_9not_fun_tI7is_trueIxEEENSC_INSD_IbEEEENSA_11use_defaultESO_EENS0_5tupleIJSF_S6_EEENSQ_IJSG_SG_EEES6_PlJS6_EEE10hipError_tPvRmT3_T4_T5_T6_T7_T9_mT8_P12ihipStream_tbDpT10_ENKUlT_T0_E_clISt17integral_constantIbLb0EES1D_EEDaS18_S19_EUlS18_E_NS1_11comp_targetILNS1_3genE5ELNS1_11target_archE942ELNS1_3gpuE9ELNS1_3repE0EEENS1_30default_config_static_selectorELNS0_4arch9wavefront6targetE0EEEvT1_.kd
    .uniform_work_group_size: 1
    .uses_dynamic_stack: false
    .vgpr_count:     0
    .vgpr_spill_count: 0
    .wavefront_size: 32
    .workgroup_processor_mode: 1
  - .args:
      - .offset:         0
        .size:           120
        .value_kind:     by_value
    .group_segment_fixed_size: 0
    .kernarg_segment_align: 8
    .kernarg_segment_size: 120
    .language:       OpenCL C
    .language_version:
      - 2
      - 0
    .max_flat_workgroup_size: 192
    .name:           _ZN7rocprim17ROCPRIM_400000_NS6detail17trampoline_kernelINS0_14default_configENS1_25partition_config_selectorILNS1_17partition_subalgoE5ExNS0_10empty_typeEbEEZZNS1_14partition_implILS5_5ELb0ES3_mN6thrust23THRUST_200600_302600_NS6detail15normal_iteratorINSA_10device_ptrIxEEEEPS6_NSA_18transform_iteratorINSB_9not_fun_tI7is_trueIxEEENSC_INSD_IbEEEENSA_11use_defaultESO_EENS0_5tupleIJSF_S6_EEENSQ_IJSG_SG_EEES6_PlJS6_EEE10hipError_tPvRmT3_T4_T5_T6_T7_T9_mT8_P12ihipStream_tbDpT10_ENKUlT_T0_E_clISt17integral_constantIbLb0EES1D_EEDaS18_S19_EUlS18_E_NS1_11comp_targetILNS1_3genE4ELNS1_11target_archE910ELNS1_3gpuE8ELNS1_3repE0EEENS1_30default_config_static_selectorELNS0_4arch9wavefront6targetE0EEEvT1_
    .private_segment_fixed_size: 0
    .sgpr_count:     0
    .sgpr_spill_count: 0
    .symbol:         _ZN7rocprim17ROCPRIM_400000_NS6detail17trampoline_kernelINS0_14default_configENS1_25partition_config_selectorILNS1_17partition_subalgoE5ExNS0_10empty_typeEbEEZZNS1_14partition_implILS5_5ELb0ES3_mN6thrust23THRUST_200600_302600_NS6detail15normal_iteratorINSA_10device_ptrIxEEEEPS6_NSA_18transform_iteratorINSB_9not_fun_tI7is_trueIxEEENSC_INSD_IbEEEENSA_11use_defaultESO_EENS0_5tupleIJSF_S6_EEENSQ_IJSG_SG_EEES6_PlJS6_EEE10hipError_tPvRmT3_T4_T5_T6_T7_T9_mT8_P12ihipStream_tbDpT10_ENKUlT_T0_E_clISt17integral_constantIbLb0EES1D_EEDaS18_S19_EUlS18_E_NS1_11comp_targetILNS1_3genE4ELNS1_11target_archE910ELNS1_3gpuE8ELNS1_3repE0EEENS1_30default_config_static_selectorELNS0_4arch9wavefront6targetE0EEEvT1_.kd
    .uniform_work_group_size: 1
    .uses_dynamic_stack: false
    .vgpr_count:     0
    .vgpr_spill_count: 0
    .wavefront_size: 32
    .workgroup_processor_mode: 1
  - .args:
      - .offset:         0
        .size:           120
        .value_kind:     by_value
    .group_segment_fixed_size: 0
    .kernarg_segment_align: 8
    .kernarg_segment_size: 120
    .language:       OpenCL C
    .language_version:
      - 2
      - 0
    .max_flat_workgroup_size: 128
    .name:           _ZN7rocprim17ROCPRIM_400000_NS6detail17trampoline_kernelINS0_14default_configENS1_25partition_config_selectorILNS1_17partition_subalgoE5ExNS0_10empty_typeEbEEZZNS1_14partition_implILS5_5ELb0ES3_mN6thrust23THRUST_200600_302600_NS6detail15normal_iteratorINSA_10device_ptrIxEEEEPS6_NSA_18transform_iteratorINSB_9not_fun_tI7is_trueIxEEENSC_INSD_IbEEEENSA_11use_defaultESO_EENS0_5tupleIJSF_S6_EEENSQ_IJSG_SG_EEES6_PlJS6_EEE10hipError_tPvRmT3_T4_T5_T6_T7_T9_mT8_P12ihipStream_tbDpT10_ENKUlT_T0_E_clISt17integral_constantIbLb0EES1D_EEDaS18_S19_EUlS18_E_NS1_11comp_targetILNS1_3genE3ELNS1_11target_archE908ELNS1_3gpuE7ELNS1_3repE0EEENS1_30default_config_static_selectorELNS0_4arch9wavefront6targetE0EEEvT1_
    .private_segment_fixed_size: 0
    .sgpr_count:     0
    .sgpr_spill_count: 0
    .symbol:         _ZN7rocprim17ROCPRIM_400000_NS6detail17trampoline_kernelINS0_14default_configENS1_25partition_config_selectorILNS1_17partition_subalgoE5ExNS0_10empty_typeEbEEZZNS1_14partition_implILS5_5ELb0ES3_mN6thrust23THRUST_200600_302600_NS6detail15normal_iteratorINSA_10device_ptrIxEEEEPS6_NSA_18transform_iteratorINSB_9not_fun_tI7is_trueIxEEENSC_INSD_IbEEEENSA_11use_defaultESO_EENS0_5tupleIJSF_S6_EEENSQ_IJSG_SG_EEES6_PlJS6_EEE10hipError_tPvRmT3_T4_T5_T6_T7_T9_mT8_P12ihipStream_tbDpT10_ENKUlT_T0_E_clISt17integral_constantIbLb0EES1D_EEDaS18_S19_EUlS18_E_NS1_11comp_targetILNS1_3genE3ELNS1_11target_archE908ELNS1_3gpuE7ELNS1_3repE0EEENS1_30default_config_static_selectorELNS0_4arch9wavefront6targetE0EEEvT1_.kd
    .uniform_work_group_size: 1
    .uses_dynamic_stack: false
    .vgpr_count:     0
    .vgpr_spill_count: 0
    .wavefront_size: 32
    .workgroup_processor_mode: 1
  - .args:
      - .offset:         0
        .size:           120
        .value_kind:     by_value
    .group_segment_fixed_size: 0
    .kernarg_segment_align: 8
    .kernarg_segment_size: 120
    .language:       OpenCL C
    .language_version:
      - 2
      - 0
    .max_flat_workgroup_size: 256
    .name:           _ZN7rocprim17ROCPRIM_400000_NS6detail17trampoline_kernelINS0_14default_configENS1_25partition_config_selectorILNS1_17partition_subalgoE5ExNS0_10empty_typeEbEEZZNS1_14partition_implILS5_5ELb0ES3_mN6thrust23THRUST_200600_302600_NS6detail15normal_iteratorINSA_10device_ptrIxEEEEPS6_NSA_18transform_iteratorINSB_9not_fun_tI7is_trueIxEEENSC_INSD_IbEEEENSA_11use_defaultESO_EENS0_5tupleIJSF_S6_EEENSQ_IJSG_SG_EEES6_PlJS6_EEE10hipError_tPvRmT3_T4_T5_T6_T7_T9_mT8_P12ihipStream_tbDpT10_ENKUlT_T0_E_clISt17integral_constantIbLb0EES1D_EEDaS18_S19_EUlS18_E_NS1_11comp_targetILNS1_3genE2ELNS1_11target_archE906ELNS1_3gpuE6ELNS1_3repE0EEENS1_30default_config_static_selectorELNS0_4arch9wavefront6targetE0EEEvT1_
    .private_segment_fixed_size: 0
    .sgpr_count:     0
    .sgpr_spill_count: 0
    .symbol:         _ZN7rocprim17ROCPRIM_400000_NS6detail17trampoline_kernelINS0_14default_configENS1_25partition_config_selectorILNS1_17partition_subalgoE5ExNS0_10empty_typeEbEEZZNS1_14partition_implILS5_5ELb0ES3_mN6thrust23THRUST_200600_302600_NS6detail15normal_iteratorINSA_10device_ptrIxEEEEPS6_NSA_18transform_iteratorINSB_9not_fun_tI7is_trueIxEEENSC_INSD_IbEEEENSA_11use_defaultESO_EENS0_5tupleIJSF_S6_EEENSQ_IJSG_SG_EEES6_PlJS6_EEE10hipError_tPvRmT3_T4_T5_T6_T7_T9_mT8_P12ihipStream_tbDpT10_ENKUlT_T0_E_clISt17integral_constantIbLb0EES1D_EEDaS18_S19_EUlS18_E_NS1_11comp_targetILNS1_3genE2ELNS1_11target_archE906ELNS1_3gpuE6ELNS1_3repE0EEENS1_30default_config_static_selectorELNS0_4arch9wavefront6targetE0EEEvT1_.kd
    .uniform_work_group_size: 1
    .uses_dynamic_stack: false
    .vgpr_count:     0
    .vgpr_spill_count: 0
    .wavefront_size: 32
    .workgroup_processor_mode: 1
  - .args:
      - .offset:         0
        .size:           120
        .value_kind:     by_value
    .group_segment_fixed_size: 8464
    .kernarg_segment_align: 8
    .kernarg_segment_size: 120
    .language:       OpenCL C
    .language_version:
      - 2
      - 0
    .max_flat_workgroup_size: 256
    .name:           _ZN7rocprim17ROCPRIM_400000_NS6detail17trampoline_kernelINS0_14default_configENS1_25partition_config_selectorILNS1_17partition_subalgoE5ExNS0_10empty_typeEbEEZZNS1_14partition_implILS5_5ELb0ES3_mN6thrust23THRUST_200600_302600_NS6detail15normal_iteratorINSA_10device_ptrIxEEEEPS6_NSA_18transform_iteratorINSB_9not_fun_tI7is_trueIxEEENSC_INSD_IbEEEENSA_11use_defaultESO_EENS0_5tupleIJSF_S6_EEENSQ_IJSG_SG_EEES6_PlJS6_EEE10hipError_tPvRmT3_T4_T5_T6_T7_T9_mT8_P12ihipStream_tbDpT10_ENKUlT_T0_E_clISt17integral_constantIbLb0EES1D_EEDaS18_S19_EUlS18_E_NS1_11comp_targetILNS1_3genE10ELNS1_11target_archE1200ELNS1_3gpuE4ELNS1_3repE0EEENS1_30default_config_static_selectorELNS0_4arch9wavefront6targetE0EEEvT1_
    .private_segment_fixed_size: 0
    .sgpr_count:     25
    .sgpr_spill_count: 0
    .symbol:         _ZN7rocprim17ROCPRIM_400000_NS6detail17trampoline_kernelINS0_14default_configENS1_25partition_config_selectorILNS1_17partition_subalgoE5ExNS0_10empty_typeEbEEZZNS1_14partition_implILS5_5ELb0ES3_mN6thrust23THRUST_200600_302600_NS6detail15normal_iteratorINSA_10device_ptrIxEEEEPS6_NSA_18transform_iteratorINSB_9not_fun_tI7is_trueIxEEENSC_INSD_IbEEEENSA_11use_defaultESO_EENS0_5tupleIJSF_S6_EEENSQ_IJSG_SG_EEES6_PlJS6_EEE10hipError_tPvRmT3_T4_T5_T6_T7_T9_mT8_P12ihipStream_tbDpT10_ENKUlT_T0_E_clISt17integral_constantIbLb0EES1D_EEDaS18_S19_EUlS18_E_NS1_11comp_targetILNS1_3genE10ELNS1_11target_archE1200ELNS1_3gpuE4ELNS1_3repE0EEENS1_30default_config_static_selectorELNS0_4arch9wavefront6targetE0EEEvT1_.kd
    .uniform_work_group_size: 1
    .uses_dynamic_stack: false
    .vgpr_count:     46
    .vgpr_spill_count: 0
    .wavefront_size: 32
    .workgroup_processor_mode: 1
  - .args:
      - .offset:         0
        .size:           120
        .value_kind:     by_value
    .group_segment_fixed_size: 0
    .kernarg_segment_align: 8
    .kernarg_segment_size: 120
    .language:       OpenCL C
    .language_version:
      - 2
      - 0
    .max_flat_workgroup_size: 128
    .name:           _ZN7rocprim17ROCPRIM_400000_NS6detail17trampoline_kernelINS0_14default_configENS1_25partition_config_selectorILNS1_17partition_subalgoE5ExNS0_10empty_typeEbEEZZNS1_14partition_implILS5_5ELb0ES3_mN6thrust23THRUST_200600_302600_NS6detail15normal_iteratorINSA_10device_ptrIxEEEEPS6_NSA_18transform_iteratorINSB_9not_fun_tI7is_trueIxEEENSC_INSD_IbEEEENSA_11use_defaultESO_EENS0_5tupleIJSF_S6_EEENSQ_IJSG_SG_EEES6_PlJS6_EEE10hipError_tPvRmT3_T4_T5_T6_T7_T9_mT8_P12ihipStream_tbDpT10_ENKUlT_T0_E_clISt17integral_constantIbLb0EES1D_EEDaS18_S19_EUlS18_E_NS1_11comp_targetILNS1_3genE9ELNS1_11target_archE1100ELNS1_3gpuE3ELNS1_3repE0EEENS1_30default_config_static_selectorELNS0_4arch9wavefront6targetE0EEEvT1_
    .private_segment_fixed_size: 0
    .sgpr_count:     0
    .sgpr_spill_count: 0
    .symbol:         _ZN7rocprim17ROCPRIM_400000_NS6detail17trampoline_kernelINS0_14default_configENS1_25partition_config_selectorILNS1_17partition_subalgoE5ExNS0_10empty_typeEbEEZZNS1_14partition_implILS5_5ELb0ES3_mN6thrust23THRUST_200600_302600_NS6detail15normal_iteratorINSA_10device_ptrIxEEEEPS6_NSA_18transform_iteratorINSB_9not_fun_tI7is_trueIxEEENSC_INSD_IbEEEENSA_11use_defaultESO_EENS0_5tupleIJSF_S6_EEENSQ_IJSG_SG_EEES6_PlJS6_EEE10hipError_tPvRmT3_T4_T5_T6_T7_T9_mT8_P12ihipStream_tbDpT10_ENKUlT_T0_E_clISt17integral_constantIbLb0EES1D_EEDaS18_S19_EUlS18_E_NS1_11comp_targetILNS1_3genE9ELNS1_11target_archE1100ELNS1_3gpuE3ELNS1_3repE0EEENS1_30default_config_static_selectorELNS0_4arch9wavefront6targetE0EEEvT1_.kd
    .uniform_work_group_size: 1
    .uses_dynamic_stack: false
    .vgpr_count:     0
    .vgpr_spill_count: 0
    .wavefront_size: 32
    .workgroup_processor_mode: 1
  - .args:
      - .offset:         0
        .size:           120
        .value_kind:     by_value
    .group_segment_fixed_size: 0
    .kernarg_segment_align: 8
    .kernarg_segment_size: 120
    .language:       OpenCL C
    .language_version:
      - 2
      - 0
    .max_flat_workgroup_size: 512
    .name:           _ZN7rocprim17ROCPRIM_400000_NS6detail17trampoline_kernelINS0_14default_configENS1_25partition_config_selectorILNS1_17partition_subalgoE5ExNS0_10empty_typeEbEEZZNS1_14partition_implILS5_5ELb0ES3_mN6thrust23THRUST_200600_302600_NS6detail15normal_iteratorINSA_10device_ptrIxEEEEPS6_NSA_18transform_iteratorINSB_9not_fun_tI7is_trueIxEEENSC_INSD_IbEEEENSA_11use_defaultESO_EENS0_5tupleIJSF_S6_EEENSQ_IJSG_SG_EEES6_PlJS6_EEE10hipError_tPvRmT3_T4_T5_T6_T7_T9_mT8_P12ihipStream_tbDpT10_ENKUlT_T0_E_clISt17integral_constantIbLb0EES1D_EEDaS18_S19_EUlS18_E_NS1_11comp_targetILNS1_3genE8ELNS1_11target_archE1030ELNS1_3gpuE2ELNS1_3repE0EEENS1_30default_config_static_selectorELNS0_4arch9wavefront6targetE0EEEvT1_
    .private_segment_fixed_size: 0
    .sgpr_count:     0
    .sgpr_spill_count: 0
    .symbol:         _ZN7rocprim17ROCPRIM_400000_NS6detail17trampoline_kernelINS0_14default_configENS1_25partition_config_selectorILNS1_17partition_subalgoE5ExNS0_10empty_typeEbEEZZNS1_14partition_implILS5_5ELb0ES3_mN6thrust23THRUST_200600_302600_NS6detail15normal_iteratorINSA_10device_ptrIxEEEEPS6_NSA_18transform_iteratorINSB_9not_fun_tI7is_trueIxEEENSC_INSD_IbEEEENSA_11use_defaultESO_EENS0_5tupleIJSF_S6_EEENSQ_IJSG_SG_EEES6_PlJS6_EEE10hipError_tPvRmT3_T4_T5_T6_T7_T9_mT8_P12ihipStream_tbDpT10_ENKUlT_T0_E_clISt17integral_constantIbLb0EES1D_EEDaS18_S19_EUlS18_E_NS1_11comp_targetILNS1_3genE8ELNS1_11target_archE1030ELNS1_3gpuE2ELNS1_3repE0EEENS1_30default_config_static_selectorELNS0_4arch9wavefront6targetE0EEEvT1_.kd
    .uniform_work_group_size: 1
    .uses_dynamic_stack: false
    .vgpr_count:     0
    .vgpr_spill_count: 0
    .wavefront_size: 32
    .workgroup_processor_mode: 1
  - .args:
      - .offset:         0
        .size:           136
        .value_kind:     by_value
    .group_segment_fixed_size: 0
    .kernarg_segment_align: 8
    .kernarg_segment_size: 136
    .language:       OpenCL C
    .language_version:
      - 2
      - 0
    .max_flat_workgroup_size: 128
    .name:           _ZN7rocprim17ROCPRIM_400000_NS6detail17trampoline_kernelINS0_14default_configENS1_25partition_config_selectorILNS1_17partition_subalgoE5ExNS0_10empty_typeEbEEZZNS1_14partition_implILS5_5ELb0ES3_mN6thrust23THRUST_200600_302600_NS6detail15normal_iteratorINSA_10device_ptrIxEEEEPS6_NSA_18transform_iteratorINSB_9not_fun_tI7is_trueIxEEENSC_INSD_IbEEEENSA_11use_defaultESO_EENS0_5tupleIJSF_S6_EEENSQ_IJSG_SG_EEES6_PlJS6_EEE10hipError_tPvRmT3_T4_T5_T6_T7_T9_mT8_P12ihipStream_tbDpT10_ENKUlT_T0_E_clISt17integral_constantIbLb1EES1D_EEDaS18_S19_EUlS18_E_NS1_11comp_targetILNS1_3genE0ELNS1_11target_archE4294967295ELNS1_3gpuE0ELNS1_3repE0EEENS1_30default_config_static_selectorELNS0_4arch9wavefront6targetE0EEEvT1_
    .private_segment_fixed_size: 0
    .sgpr_count:     0
    .sgpr_spill_count: 0
    .symbol:         _ZN7rocprim17ROCPRIM_400000_NS6detail17trampoline_kernelINS0_14default_configENS1_25partition_config_selectorILNS1_17partition_subalgoE5ExNS0_10empty_typeEbEEZZNS1_14partition_implILS5_5ELb0ES3_mN6thrust23THRUST_200600_302600_NS6detail15normal_iteratorINSA_10device_ptrIxEEEEPS6_NSA_18transform_iteratorINSB_9not_fun_tI7is_trueIxEEENSC_INSD_IbEEEENSA_11use_defaultESO_EENS0_5tupleIJSF_S6_EEENSQ_IJSG_SG_EEES6_PlJS6_EEE10hipError_tPvRmT3_T4_T5_T6_T7_T9_mT8_P12ihipStream_tbDpT10_ENKUlT_T0_E_clISt17integral_constantIbLb1EES1D_EEDaS18_S19_EUlS18_E_NS1_11comp_targetILNS1_3genE0ELNS1_11target_archE4294967295ELNS1_3gpuE0ELNS1_3repE0EEENS1_30default_config_static_selectorELNS0_4arch9wavefront6targetE0EEEvT1_.kd
    .uniform_work_group_size: 1
    .uses_dynamic_stack: false
    .vgpr_count:     0
    .vgpr_spill_count: 0
    .wavefront_size: 32
    .workgroup_processor_mode: 1
  - .args:
      - .offset:         0
        .size:           136
        .value_kind:     by_value
    .group_segment_fixed_size: 0
    .kernarg_segment_align: 8
    .kernarg_segment_size: 136
    .language:       OpenCL C
    .language_version:
      - 2
      - 0
    .max_flat_workgroup_size: 512
    .name:           _ZN7rocprim17ROCPRIM_400000_NS6detail17trampoline_kernelINS0_14default_configENS1_25partition_config_selectorILNS1_17partition_subalgoE5ExNS0_10empty_typeEbEEZZNS1_14partition_implILS5_5ELb0ES3_mN6thrust23THRUST_200600_302600_NS6detail15normal_iteratorINSA_10device_ptrIxEEEEPS6_NSA_18transform_iteratorINSB_9not_fun_tI7is_trueIxEEENSC_INSD_IbEEEENSA_11use_defaultESO_EENS0_5tupleIJSF_S6_EEENSQ_IJSG_SG_EEES6_PlJS6_EEE10hipError_tPvRmT3_T4_T5_T6_T7_T9_mT8_P12ihipStream_tbDpT10_ENKUlT_T0_E_clISt17integral_constantIbLb1EES1D_EEDaS18_S19_EUlS18_E_NS1_11comp_targetILNS1_3genE5ELNS1_11target_archE942ELNS1_3gpuE9ELNS1_3repE0EEENS1_30default_config_static_selectorELNS0_4arch9wavefront6targetE0EEEvT1_
    .private_segment_fixed_size: 0
    .sgpr_count:     0
    .sgpr_spill_count: 0
    .symbol:         _ZN7rocprim17ROCPRIM_400000_NS6detail17trampoline_kernelINS0_14default_configENS1_25partition_config_selectorILNS1_17partition_subalgoE5ExNS0_10empty_typeEbEEZZNS1_14partition_implILS5_5ELb0ES3_mN6thrust23THRUST_200600_302600_NS6detail15normal_iteratorINSA_10device_ptrIxEEEEPS6_NSA_18transform_iteratorINSB_9not_fun_tI7is_trueIxEEENSC_INSD_IbEEEENSA_11use_defaultESO_EENS0_5tupleIJSF_S6_EEENSQ_IJSG_SG_EEES6_PlJS6_EEE10hipError_tPvRmT3_T4_T5_T6_T7_T9_mT8_P12ihipStream_tbDpT10_ENKUlT_T0_E_clISt17integral_constantIbLb1EES1D_EEDaS18_S19_EUlS18_E_NS1_11comp_targetILNS1_3genE5ELNS1_11target_archE942ELNS1_3gpuE9ELNS1_3repE0EEENS1_30default_config_static_selectorELNS0_4arch9wavefront6targetE0EEEvT1_.kd
    .uniform_work_group_size: 1
    .uses_dynamic_stack: false
    .vgpr_count:     0
    .vgpr_spill_count: 0
    .wavefront_size: 32
    .workgroup_processor_mode: 1
  - .args:
      - .offset:         0
        .size:           136
        .value_kind:     by_value
    .group_segment_fixed_size: 0
    .kernarg_segment_align: 8
    .kernarg_segment_size: 136
    .language:       OpenCL C
    .language_version:
      - 2
      - 0
    .max_flat_workgroup_size: 192
    .name:           _ZN7rocprim17ROCPRIM_400000_NS6detail17trampoline_kernelINS0_14default_configENS1_25partition_config_selectorILNS1_17partition_subalgoE5ExNS0_10empty_typeEbEEZZNS1_14partition_implILS5_5ELb0ES3_mN6thrust23THRUST_200600_302600_NS6detail15normal_iteratorINSA_10device_ptrIxEEEEPS6_NSA_18transform_iteratorINSB_9not_fun_tI7is_trueIxEEENSC_INSD_IbEEEENSA_11use_defaultESO_EENS0_5tupleIJSF_S6_EEENSQ_IJSG_SG_EEES6_PlJS6_EEE10hipError_tPvRmT3_T4_T5_T6_T7_T9_mT8_P12ihipStream_tbDpT10_ENKUlT_T0_E_clISt17integral_constantIbLb1EES1D_EEDaS18_S19_EUlS18_E_NS1_11comp_targetILNS1_3genE4ELNS1_11target_archE910ELNS1_3gpuE8ELNS1_3repE0EEENS1_30default_config_static_selectorELNS0_4arch9wavefront6targetE0EEEvT1_
    .private_segment_fixed_size: 0
    .sgpr_count:     0
    .sgpr_spill_count: 0
    .symbol:         _ZN7rocprim17ROCPRIM_400000_NS6detail17trampoline_kernelINS0_14default_configENS1_25partition_config_selectorILNS1_17partition_subalgoE5ExNS0_10empty_typeEbEEZZNS1_14partition_implILS5_5ELb0ES3_mN6thrust23THRUST_200600_302600_NS6detail15normal_iteratorINSA_10device_ptrIxEEEEPS6_NSA_18transform_iteratorINSB_9not_fun_tI7is_trueIxEEENSC_INSD_IbEEEENSA_11use_defaultESO_EENS0_5tupleIJSF_S6_EEENSQ_IJSG_SG_EEES6_PlJS6_EEE10hipError_tPvRmT3_T4_T5_T6_T7_T9_mT8_P12ihipStream_tbDpT10_ENKUlT_T0_E_clISt17integral_constantIbLb1EES1D_EEDaS18_S19_EUlS18_E_NS1_11comp_targetILNS1_3genE4ELNS1_11target_archE910ELNS1_3gpuE8ELNS1_3repE0EEENS1_30default_config_static_selectorELNS0_4arch9wavefront6targetE0EEEvT1_.kd
    .uniform_work_group_size: 1
    .uses_dynamic_stack: false
    .vgpr_count:     0
    .vgpr_spill_count: 0
    .wavefront_size: 32
    .workgroup_processor_mode: 1
  - .args:
      - .offset:         0
        .size:           136
        .value_kind:     by_value
    .group_segment_fixed_size: 0
    .kernarg_segment_align: 8
    .kernarg_segment_size: 136
    .language:       OpenCL C
    .language_version:
      - 2
      - 0
    .max_flat_workgroup_size: 128
    .name:           _ZN7rocprim17ROCPRIM_400000_NS6detail17trampoline_kernelINS0_14default_configENS1_25partition_config_selectorILNS1_17partition_subalgoE5ExNS0_10empty_typeEbEEZZNS1_14partition_implILS5_5ELb0ES3_mN6thrust23THRUST_200600_302600_NS6detail15normal_iteratorINSA_10device_ptrIxEEEEPS6_NSA_18transform_iteratorINSB_9not_fun_tI7is_trueIxEEENSC_INSD_IbEEEENSA_11use_defaultESO_EENS0_5tupleIJSF_S6_EEENSQ_IJSG_SG_EEES6_PlJS6_EEE10hipError_tPvRmT3_T4_T5_T6_T7_T9_mT8_P12ihipStream_tbDpT10_ENKUlT_T0_E_clISt17integral_constantIbLb1EES1D_EEDaS18_S19_EUlS18_E_NS1_11comp_targetILNS1_3genE3ELNS1_11target_archE908ELNS1_3gpuE7ELNS1_3repE0EEENS1_30default_config_static_selectorELNS0_4arch9wavefront6targetE0EEEvT1_
    .private_segment_fixed_size: 0
    .sgpr_count:     0
    .sgpr_spill_count: 0
    .symbol:         _ZN7rocprim17ROCPRIM_400000_NS6detail17trampoline_kernelINS0_14default_configENS1_25partition_config_selectorILNS1_17partition_subalgoE5ExNS0_10empty_typeEbEEZZNS1_14partition_implILS5_5ELb0ES3_mN6thrust23THRUST_200600_302600_NS6detail15normal_iteratorINSA_10device_ptrIxEEEEPS6_NSA_18transform_iteratorINSB_9not_fun_tI7is_trueIxEEENSC_INSD_IbEEEENSA_11use_defaultESO_EENS0_5tupleIJSF_S6_EEENSQ_IJSG_SG_EEES6_PlJS6_EEE10hipError_tPvRmT3_T4_T5_T6_T7_T9_mT8_P12ihipStream_tbDpT10_ENKUlT_T0_E_clISt17integral_constantIbLb1EES1D_EEDaS18_S19_EUlS18_E_NS1_11comp_targetILNS1_3genE3ELNS1_11target_archE908ELNS1_3gpuE7ELNS1_3repE0EEENS1_30default_config_static_selectorELNS0_4arch9wavefront6targetE0EEEvT1_.kd
    .uniform_work_group_size: 1
    .uses_dynamic_stack: false
    .vgpr_count:     0
    .vgpr_spill_count: 0
    .wavefront_size: 32
    .workgroup_processor_mode: 1
  - .args:
      - .offset:         0
        .size:           136
        .value_kind:     by_value
    .group_segment_fixed_size: 0
    .kernarg_segment_align: 8
    .kernarg_segment_size: 136
    .language:       OpenCL C
    .language_version:
      - 2
      - 0
    .max_flat_workgroup_size: 256
    .name:           _ZN7rocprim17ROCPRIM_400000_NS6detail17trampoline_kernelINS0_14default_configENS1_25partition_config_selectorILNS1_17partition_subalgoE5ExNS0_10empty_typeEbEEZZNS1_14partition_implILS5_5ELb0ES3_mN6thrust23THRUST_200600_302600_NS6detail15normal_iteratorINSA_10device_ptrIxEEEEPS6_NSA_18transform_iteratorINSB_9not_fun_tI7is_trueIxEEENSC_INSD_IbEEEENSA_11use_defaultESO_EENS0_5tupleIJSF_S6_EEENSQ_IJSG_SG_EEES6_PlJS6_EEE10hipError_tPvRmT3_T4_T5_T6_T7_T9_mT8_P12ihipStream_tbDpT10_ENKUlT_T0_E_clISt17integral_constantIbLb1EES1D_EEDaS18_S19_EUlS18_E_NS1_11comp_targetILNS1_3genE2ELNS1_11target_archE906ELNS1_3gpuE6ELNS1_3repE0EEENS1_30default_config_static_selectorELNS0_4arch9wavefront6targetE0EEEvT1_
    .private_segment_fixed_size: 0
    .sgpr_count:     0
    .sgpr_spill_count: 0
    .symbol:         _ZN7rocprim17ROCPRIM_400000_NS6detail17trampoline_kernelINS0_14default_configENS1_25partition_config_selectorILNS1_17partition_subalgoE5ExNS0_10empty_typeEbEEZZNS1_14partition_implILS5_5ELb0ES3_mN6thrust23THRUST_200600_302600_NS6detail15normal_iteratorINSA_10device_ptrIxEEEEPS6_NSA_18transform_iteratorINSB_9not_fun_tI7is_trueIxEEENSC_INSD_IbEEEENSA_11use_defaultESO_EENS0_5tupleIJSF_S6_EEENSQ_IJSG_SG_EEES6_PlJS6_EEE10hipError_tPvRmT3_T4_T5_T6_T7_T9_mT8_P12ihipStream_tbDpT10_ENKUlT_T0_E_clISt17integral_constantIbLb1EES1D_EEDaS18_S19_EUlS18_E_NS1_11comp_targetILNS1_3genE2ELNS1_11target_archE906ELNS1_3gpuE6ELNS1_3repE0EEENS1_30default_config_static_selectorELNS0_4arch9wavefront6targetE0EEEvT1_.kd
    .uniform_work_group_size: 1
    .uses_dynamic_stack: false
    .vgpr_count:     0
    .vgpr_spill_count: 0
    .wavefront_size: 32
    .workgroup_processor_mode: 1
  - .args:
      - .offset:         0
        .size:           136
        .value_kind:     by_value
    .group_segment_fixed_size: 0
    .kernarg_segment_align: 8
    .kernarg_segment_size: 136
    .language:       OpenCL C
    .language_version:
      - 2
      - 0
    .max_flat_workgroup_size: 256
    .name:           _ZN7rocprim17ROCPRIM_400000_NS6detail17trampoline_kernelINS0_14default_configENS1_25partition_config_selectorILNS1_17partition_subalgoE5ExNS0_10empty_typeEbEEZZNS1_14partition_implILS5_5ELb0ES3_mN6thrust23THRUST_200600_302600_NS6detail15normal_iteratorINSA_10device_ptrIxEEEEPS6_NSA_18transform_iteratorINSB_9not_fun_tI7is_trueIxEEENSC_INSD_IbEEEENSA_11use_defaultESO_EENS0_5tupleIJSF_S6_EEENSQ_IJSG_SG_EEES6_PlJS6_EEE10hipError_tPvRmT3_T4_T5_T6_T7_T9_mT8_P12ihipStream_tbDpT10_ENKUlT_T0_E_clISt17integral_constantIbLb1EES1D_EEDaS18_S19_EUlS18_E_NS1_11comp_targetILNS1_3genE10ELNS1_11target_archE1200ELNS1_3gpuE4ELNS1_3repE0EEENS1_30default_config_static_selectorELNS0_4arch9wavefront6targetE0EEEvT1_
    .private_segment_fixed_size: 0
    .sgpr_count:     0
    .sgpr_spill_count: 0
    .symbol:         _ZN7rocprim17ROCPRIM_400000_NS6detail17trampoline_kernelINS0_14default_configENS1_25partition_config_selectorILNS1_17partition_subalgoE5ExNS0_10empty_typeEbEEZZNS1_14partition_implILS5_5ELb0ES3_mN6thrust23THRUST_200600_302600_NS6detail15normal_iteratorINSA_10device_ptrIxEEEEPS6_NSA_18transform_iteratorINSB_9not_fun_tI7is_trueIxEEENSC_INSD_IbEEEENSA_11use_defaultESO_EENS0_5tupleIJSF_S6_EEENSQ_IJSG_SG_EEES6_PlJS6_EEE10hipError_tPvRmT3_T4_T5_T6_T7_T9_mT8_P12ihipStream_tbDpT10_ENKUlT_T0_E_clISt17integral_constantIbLb1EES1D_EEDaS18_S19_EUlS18_E_NS1_11comp_targetILNS1_3genE10ELNS1_11target_archE1200ELNS1_3gpuE4ELNS1_3repE0EEENS1_30default_config_static_selectorELNS0_4arch9wavefront6targetE0EEEvT1_.kd
    .uniform_work_group_size: 1
    .uses_dynamic_stack: false
    .vgpr_count:     0
    .vgpr_spill_count: 0
    .wavefront_size: 32
    .workgroup_processor_mode: 1
  - .args:
      - .offset:         0
        .size:           136
        .value_kind:     by_value
    .group_segment_fixed_size: 0
    .kernarg_segment_align: 8
    .kernarg_segment_size: 136
    .language:       OpenCL C
    .language_version:
      - 2
      - 0
    .max_flat_workgroup_size: 128
    .name:           _ZN7rocprim17ROCPRIM_400000_NS6detail17trampoline_kernelINS0_14default_configENS1_25partition_config_selectorILNS1_17partition_subalgoE5ExNS0_10empty_typeEbEEZZNS1_14partition_implILS5_5ELb0ES3_mN6thrust23THRUST_200600_302600_NS6detail15normal_iteratorINSA_10device_ptrIxEEEEPS6_NSA_18transform_iteratorINSB_9not_fun_tI7is_trueIxEEENSC_INSD_IbEEEENSA_11use_defaultESO_EENS0_5tupleIJSF_S6_EEENSQ_IJSG_SG_EEES6_PlJS6_EEE10hipError_tPvRmT3_T4_T5_T6_T7_T9_mT8_P12ihipStream_tbDpT10_ENKUlT_T0_E_clISt17integral_constantIbLb1EES1D_EEDaS18_S19_EUlS18_E_NS1_11comp_targetILNS1_3genE9ELNS1_11target_archE1100ELNS1_3gpuE3ELNS1_3repE0EEENS1_30default_config_static_selectorELNS0_4arch9wavefront6targetE0EEEvT1_
    .private_segment_fixed_size: 0
    .sgpr_count:     0
    .sgpr_spill_count: 0
    .symbol:         _ZN7rocprim17ROCPRIM_400000_NS6detail17trampoline_kernelINS0_14default_configENS1_25partition_config_selectorILNS1_17partition_subalgoE5ExNS0_10empty_typeEbEEZZNS1_14partition_implILS5_5ELb0ES3_mN6thrust23THRUST_200600_302600_NS6detail15normal_iteratorINSA_10device_ptrIxEEEEPS6_NSA_18transform_iteratorINSB_9not_fun_tI7is_trueIxEEENSC_INSD_IbEEEENSA_11use_defaultESO_EENS0_5tupleIJSF_S6_EEENSQ_IJSG_SG_EEES6_PlJS6_EEE10hipError_tPvRmT3_T4_T5_T6_T7_T9_mT8_P12ihipStream_tbDpT10_ENKUlT_T0_E_clISt17integral_constantIbLb1EES1D_EEDaS18_S19_EUlS18_E_NS1_11comp_targetILNS1_3genE9ELNS1_11target_archE1100ELNS1_3gpuE3ELNS1_3repE0EEENS1_30default_config_static_selectorELNS0_4arch9wavefront6targetE0EEEvT1_.kd
    .uniform_work_group_size: 1
    .uses_dynamic_stack: false
    .vgpr_count:     0
    .vgpr_spill_count: 0
    .wavefront_size: 32
    .workgroup_processor_mode: 1
  - .args:
      - .offset:         0
        .size:           136
        .value_kind:     by_value
    .group_segment_fixed_size: 0
    .kernarg_segment_align: 8
    .kernarg_segment_size: 136
    .language:       OpenCL C
    .language_version:
      - 2
      - 0
    .max_flat_workgroup_size: 512
    .name:           _ZN7rocprim17ROCPRIM_400000_NS6detail17trampoline_kernelINS0_14default_configENS1_25partition_config_selectorILNS1_17partition_subalgoE5ExNS0_10empty_typeEbEEZZNS1_14partition_implILS5_5ELb0ES3_mN6thrust23THRUST_200600_302600_NS6detail15normal_iteratorINSA_10device_ptrIxEEEEPS6_NSA_18transform_iteratorINSB_9not_fun_tI7is_trueIxEEENSC_INSD_IbEEEENSA_11use_defaultESO_EENS0_5tupleIJSF_S6_EEENSQ_IJSG_SG_EEES6_PlJS6_EEE10hipError_tPvRmT3_T4_T5_T6_T7_T9_mT8_P12ihipStream_tbDpT10_ENKUlT_T0_E_clISt17integral_constantIbLb1EES1D_EEDaS18_S19_EUlS18_E_NS1_11comp_targetILNS1_3genE8ELNS1_11target_archE1030ELNS1_3gpuE2ELNS1_3repE0EEENS1_30default_config_static_selectorELNS0_4arch9wavefront6targetE0EEEvT1_
    .private_segment_fixed_size: 0
    .sgpr_count:     0
    .sgpr_spill_count: 0
    .symbol:         _ZN7rocprim17ROCPRIM_400000_NS6detail17trampoline_kernelINS0_14default_configENS1_25partition_config_selectorILNS1_17partition_subalgoE5ExNS0_10empty_typeEbEEZZNS1_14partition_implILS5_5ELb0ES3_mN6thrust23THRUST_200600_302600_NS6detail15normal_iteratorINSA_10device_ptrIxEEEEPS6_NSA_18transform_iteratorINSB_9not_fun_tI7is_trueIxEEENSC_INSD_IbEEEENSA_11use_defaultESO_EENS0_5tupleIJSF_S6_EEENSQ_IJSG_SG_EEES6_PlJS6_EEE10hipError_tPvRmT3_T4_T5_T6_T7_T9_mT8_P12ihipStream_tbDpT10_ENKUlT_T0_E_clISt17integral_constantIbLb1EES1D_EEDaS18_S19_EUlS18_E_NS1_11comp_targetILNS1_3genE8ELNS1_11target_archE1030ELNS1_3gpuE2ELNS1_3repE0EEENS1_30default_config_static_selectorELNS0_4arch9wavefront6targetE0EEEvT1_.kd
    .uniform_work_group_size: 1
    .uses_dynamic_stack: false
    .vgpr_count:     0
    .vgpr_spill_count: 0
    .wavefront_size: 32
    .workgroup_processor_mode: 1
  - .args:
      - .offset:         0
        .size:           120
        .value_kind:     by_value
    .group_segment_fixed_size: 0
    .kernarg_segment_align: 8
    .kernarg_segment_size: 120
    .language:       OpenCL C
    .language_version:
      - 2
      - 0
    .max_flat_workgroup_size: 128
    .name:           _ZN7rocprim17ROCPRIM_400000_NS6detail17trampoline_kernelINS0_14default_configENS1_25partition_config_selectorILNS1_17partition_subalgoE5ExNS0_10empty_typeEbEEZZNS1_14partition_implILS5_5ELb0ES3_mN6thrust23THRUST_200600_302600_NS6detail15normal_iteratorINSA_10device_ptrIxEEEEPS6_NSA_18transform_iteratorINSB_9not_fun_tI7is_trueIxEEENSC_INSD_IbEEEENSA_11use_defaultESO_EENS0_5tupleIJSF_S6_EEENSQ_IJSG_SG_EEES6_PlJS6_EEE10hipError_tPvRmT3_T4_T5_T6_T7_T9_mT8_P12ihipStream_tbDpT10_ENKUlT_T0_E_clISt17integral_constantIbLb1EES1C_IbLb0EEEEDaS18_S19_EUlS18_E_NS1_11comp_targetILNS1_3genE0ELNS1_11target_archE4294967295ELNS1_3gpuE0ELNS1_3repE0EEENS1_30default_config_static_selectorELNS0_4arch9wavefront6targetE0EEEvT1_
    .private_segment_fixed_size: 0
    .sgpr_count:     0
    .sgpr_spill_count: 0
    .symbol:         _ZN7rocprim17ROCPRIM_400000_NS6detail17trampoline_kernelINS0_14default_configENS1_25partition_config_selectorILNS1_17partition_subalgoE5ExNS0_10empty_typeEbEEZZNS1_14partition_implILS5_5ELb0ES3_mN6thrust23THRUST_200600_302600_NS6detail15normal_iteratorINSA_10device_ptrIxEEEEPS6_NSA_18transform_iteratorINSB_9not_fun_tI7is_trueIxEEENSC_INSD_IbEEEENSA_11use_defaultESO_EENS0_5tupleIJSF_S6_EEENSQ_IJSG_SG_EEES6_PlJS6_EEE10hipError_tPvRmT3_T4_T5_T6_T7_T9_mT8_P12ihipStream_tbDpT10_ENKUlT_T0_E_clISt17integral_constantIbLb1EES1C_IbLb0EEEEDaS18_S19_EUlS18_E_NS1_11comp_targetILNS1_3genE0ELNS1_11target_archE4294967295ELNS1_3gpuE0ELNS1_3repE0EEENS1_30default_config_static_selectorELNS0_4arch9wavefront6targetE0EEEvT1_.kd
    .uniform_work_group_size: 1
    .uses_dynamic_stack: false
    .vgpr_count:     0
    .vgpr_spill_count: 0
    .wavefront_size: 32
    .workgroup_processor_mode: 1
  - .args:
      - .offset:         0
        .size:           120
        .value_kind:     by_value
    .group_segment_fixed_size: 0
    .kernarg_segment_align: 8
    .kernarg_segment_size: 120
    .language:       OpenCL C
    .language_version:
      - 2
      - 0
    .max_flat_workgroup_size: 512
    .name:           _ZN7rocprim17ROCPRIM_400000_NS6detail17trampoline_kernelINS0_14default_configENS1_25partition_config_selectorILNS1_17partition_subalgoE5ExNS0_10empty_typeEbEEZZNS1_14partition_implILS5_5ELb0ES3_mN6thrust23THRUST_200600_302600_NS6detail15normal_iteratorINSA_10device_ptrIxEEEEPS6_NSA_18transform_iteratorINSB_9not_fun_tI7is_trueIxEEENSC_INSD_IbEEEENSA_11use_defaultESO_EENS0_5tupleIJSF_S6_EEENSQ_IJSG_SG_EEES6_PlJS6_EEE10hipError_tPvRmT3_T4_T5_T6_T7_T9_mT8_P12ihipStream_tbDpT10_ENKUlT_T0_E_clISt17integral_constantIbLb1EES1C_IbLb0EEEEDaS18_S19_EUlS18_E_NS1_11comp_targetILNS1_3genE5ELNS1_11target_archE942ELNS1_3gpuE9ELNS1_3repE0EEENS1_30default_config_static_selectorELNS0_4arch9wavefront6targetE0EEEvT1_
    .private_segment_fixed_size: 0
    .sgpr_count:     0
    .sgpr_spill_count: 0
    .symbol:         _ZN7rocprim17ROCPRIM_400000_NS6detail17trampoline_kernelINS0_14default_configENS1_25partition_config_selectorILNS1_17partition_subalgoE5ExNS0_10empty_typeEbEEZZNS1_14partition_implILS5_5ELb0ES3_mN6thrust23THRUST_200600_302600_NS6detail15normal_iteratorINSA_10device_ptrIxEEEEPS6_NSA_18transform_iteratorINSB_9not_fun_tI7is_trueIxEEENSC_INSD_IbEEEENSA_11use_defaultESO_EENS0_5tupleIJSF_S6_EEENSQ_IJSG_SG_EEES6_PlJS6_EEE10hipError_tPvRmT3_T4_T5_T6_T7_T9_mT8_P12ihipStream_tbDpT10_ENKUlT_T0_E_clISt17integral_constantIbLb1EES1C_IbLb0EEEEDaS18_S19_EUlS18_E_NS1_11comp_targetILNS1_3genE5ELNS1_11target_archE942ELNS1_3gpuE9ELNS1_3repE0EEENS1_30default_config_static_selectorELNS0_4arch9wavefront6targetE0EEEvT1_.kd
    .uniform_work_group_size: 1
    .uses_dynamic_stack: false
    .vgpr_count:     0
    .vgpr_spill_count: 0
    .wavefront_size: 32
    .workgroup_processor_mode: 1
  - .args:
      - .offset:         0
        .size:           120
        .value_kind:     by_value
    .group_segment_fixed_size: 0
    .kernarg_segment_align: 8
    .kernarg_segment_size: 120
    .language:       OpenCL C
    .language_version:
      - 2
      - 0
    .max_flat_workgroup_size: 192
    .name:           _ZN7rocprim17ROCPRIM_400000_NS6detail17trampoline_kernelINS0_14default_configENS1_25partition_config_selectorILNS1_17partition_subalgoE5ExNS0_10empty_typeEbEEZZNS1_14partition_implILS5_5ELb0ES3_mN6thrust23THRUST_200600_302600_NS6detail15normal_iteratorINSA_10device_ptrIxEEEEPS6_NSA_18transform_iteratorINSB_9not_fun_tI7is_trueIxEEENSC_INSD_IbEEEENSA_11use_defaultESO_EENS0_5tupleIJSF_S6_EEENSQ_IJSG_SG_EEES6_PlJS6_EEE10hipError_tPvRmT3_T4_T5_T6_T7_T9_mT8_P12ihipStream_tbDpT10_ENKUlT_T0_E_clISt17integral_constantIbLb1EES1C_IbLb0EEEEDaS18_S19_EUlS18_E_NS1_11comp_targetILNS1_3genE4ELNS1_11target_archE910ELNS1_3gpuE8ELNS1_3repE0EEENS1_30default_config_static_selectorELNS0_4arch9wavefront6targetE0EEEvT1_
    .private_segment_fixed_size: 0
    .sgpr_count:     0
    .sgpr_spill_count: 0
    .symbol:         _ZN7rocprim17ROCPRIM_400000_NS6detail17trampoline_kernelINS0_14default_configENS1_25partition_config_selectorILNS1_17partition_subalgoE5ExNS0_10empty_typeEbEEZZNS1_14partition_implILS5_5ELb0ES3_mN6thrust23THRUST_200600_302600_NS6detail15normal_iteratorINSA_10device_ptrIxEEEEPS6_NSA_18transform_iteratorINSB_9not_fun_tI7is_trueIxEEENSC_INSD_IbEEEENSA_11use_defaultESO_EENS0_5tupleIJSF_S6_EEENSQ_IJSG_SG_EEES6_PlJS6_EEE10hipError_tPvRmT3_T4_T5_T6_T7_T9_mT8_P12ihipStream_tbDpT10_ENKUlT_T0_E_clISt17integral_constantIbLb1EES1C_IbLb0EEEEDaS18_S19_EUlS18_E_NS1_11comp_targetILNS1_3genE4ELNS1_11target_archE910ELNS1_3gpuE8ELNS1_3repE0EEENS1_30default_config_static_selectorELNS0_4arch9wavefront6targetE0EEEvT1_.kd
    .uniform_work_group_size: 1
    .uses_dynamic_stack: false
    .vgpr_count:     0
    .vgpr_spill_count: 0
    .wavefront_size: 32
    .workgroup_processor_mode: 1
  - .args:
      - .offset:         0
        .size:           120
        .value_kind:     by_value
    .group_segment_fixed_size: 0
    .kernarg_segment_align: 8
    .kernarg_segment_size: 120
    .language:       OpenCL C
    .language_version:
      - 2
      - 0
    .max_flat_workgroup_size: 128
    .name:           _ZN7rocprim17ROCPRIM_400000_NS6detail17trampoline_kernelINS0_14default_configENS1_25partition_config_selectorILNS1_17partition_subalgoE5ExNS0_10empty_typeEbEEZZNS1_14partition_implILS5_5ELb0ES3_mN6thrust23THRUST_200600_302600_NS6detail15normal_iteratorINSA_10device_ptrIxEEEEPS6_NSA_18transform_iteratorINSB_9not_fun_tI7is_trueIxEEENSC_INSD_IbEEEENSA_11use_defaultESO_EENS0_5tupleIJSF_S6_EEENSQ_IJSG_SG_EEES6_PlJS6_EEE10hipError_tPvRmT3_T4_T5_T6_T7_T9_mT8_P12ihipStream_tbDpT10_ENKUlT_T0_E_clISt17integral_constantIbLb1EES1C_IbLb0EEEEDaS18_S19_EUlS18_E_NS1_11comp_targetILNS1_3genE3ELNS1_11target_archE908ELNS1_3gpuE7ELNS1_3repE0EEENS1_30default_config_static_selectorELNS0_4arch9wavefront6targetE0EEEvT1_
    .private_segment_fixed_size: 0
    .sgpr_count:     0
    .sgpr_spill_count: 0
    .symbol:         _ZN7rocprim17ROCPRIM_400000_NS6detail17trampoline_kernelINS0_14default_configENS1_25partition_config_selectorILNS1_17partition_subalgoE5ExNS0_10empty_typeEbEEZZNS1_14partition_implILS5_5ELb0ES3_mN6thrust23THRUST_200600_302600_NS6detail15normal_iteratorINSA_10device_ptrIxEEEEPS6_NSA_18transform_iteratorINSB_9not_fun_tI7is_trueIxEEENSC_INSD_IbEEEENSA_11use_defaultESO_EENS0_5tupleIJSF_S6_EEENSQ_IJSG_SG_EEES6_PlJS6_EEE10hipError_tPvRmT3_T4_T5_T6_T7_T9_mT8_P12ihipStream_tbDpT10_ENKUlT_T0_E_clISt17integral_constantIbLb1EES1C_IbLb0EEEEDaS18_S19_EUlS18_E_NS1_11comp_targetILNS1_3genE3ELNS1_11target_archE908ELNS1_3gpuE7ELNS1_3repE0EEENS1_30default_config_static_selectorELNS0_4arch9wavefront6targetE0EEEvT1_.kd
    .uniform_work_group_size: 1
    .uses_dynamic_stack: false
    .vgpr_count:     0
    .vgpr_spill_count: 0
    .wavefront_size: 32
    .workgroup_processor_mode: 1
  - .args:
      - .offset:         0
        .size:           120
        .value_kind:     by_value
    .group_segment_fixed_size: 0
    .kernarg_segment_align: 8
    .kernarg_segment_size: 120
    .language:       OpenCL C
    .language_version:
      - 2
      - 0
    .max_flat_workgroup_size: 256
    .name:           _ZN7rocprim17ROCPRIM_400000_NS6detail17trampoline_kernelINS0_14default_configENS1_25partition_config_selectorILNS1_17partition_subalgoE5ExNS0_10empty_typeEbEEZZNS1_14partition_implILS5_5ELb0ES3_mN6thrust23THRUST_200600_302600_NS6detail15normal_iteratorINSA_10device_ptrIxEEEEPS6_NSA_18transform_iteratorINSB_9not_fun_tI7is_trueIxEEENSC_INSD_IbEEEENSA_11use_defaultESO_EENS0_5tupleIJSF_S6_EEENSQ_IJSG_SG_EEES6_PlJS6_EEE10hipError_tPvRmT3_T4_T5_T6_T7_T9_mT8_P12ihipStream_tbDpT10_ENKUlT_T0_E_clISt17integral_constantIbLb1EES1C_IbLb0EEEEDaS18_S19_EUlS18_E_NS1_11comp_targetILNS1_3genE2ELNS1_11target_archE906ELNS1_3gpuE6ELNS1_3repE0EEENS1_30default_config_static_selectorELNS0_4arch9wavefront6targetE0EEEvT1_
    .private_segment_fixed_size: 0
    .sgpr_count:     0
    .sgpr_spill_count: 0
    .symbol:         _ZN7rocprim17ROCPRIM_400000_NS6detail17trampoline_kernelINS0_14default_configENS1_25partition_config_selectorILNS1_17partition_subalgoE5ExNS0_10empty_typeEbEEZZNS1_14partition_implILS5_5ELb0ES3_mN6thrust23THRUST_200600_302600_NS6detail15normal_iteratorINSA_10device_ptrIxEEEEPS6_NSA_18transform_iteratorINSB_9not_fun_tI7is_trueIxEEENSC_INSD_IbEEEENSA_11use_defaultESO_EENS0_5tupleIJSF_S6_EEENSQ_IJSG_SG_EEES6_PlJS6_EEE10hipError_tPvRmT3_T4_T5_T6_T7_T9_mT8_P12ihipStream_tbDpT10_ENKUlT_T0_E_clISt17integral_constantIbLb1EES1C_IbLb0EEEEDaS18_S19_EUlS18_E_NS1_11comp_targetILNS1_3genE2ELNS1_11target_archE906ELNS1_3gpuE6ELNS1_3repE0EEENS1_30default_config_static_selectorELNS0_4arch9wavefront6targetE0EEEvT1_.kd
    .uniform_work_group_size: 1
    .uses_dynamic_stack: false
    .vgpr_count:     0
    .vgpr_spill_count: 0
    .wavefront_size: 32
    .workgroup_processor_mode: 1
  - .args:
      - .offset:         0
        .size:           120
        .value_kind:     by_value
    .group_segment_fixed_size: 0
    .kernarg_segment_align: 8
    .kernarg_segment_size: 120
    .language:       OpenCL C
    .language_version:
      - 2
      - 0
    .max_flat_workgroup_size: 256
    .name:           _ZN7rocprim17ROCPRIM_400000_NS6detail17trampoline_kernelINS0_14default_configENS1_25partition_config_selectorILNS1_17partition_subalgoE5ExNS0_10empty_typeEbEEZZNS1_14partition_implILS5_5ELb0ES3_mN6thrust23THRUST_200600_302600_NS6detail15normal_iteratorINSA_10device_ptrIxEEEEPS6_NSA_18transform_iteratorINSB_9not_fun_tI7is_trueIxEEENSC_INSD_IbEEEENSA_11use_defaultESO_EENS0_5tupleIJSF_S6_EEENSQ_IJSG_SG_EEES6_PlJS6_EEE10hipError_tPvRmT3_T4_T5_T6_T7_T9_mT8_P12ihipStream_tbDpT10_ENKUlT_T0_E_clISt17integral_constantIbLb1EES1C_IbLb0EEEEDaS18_S19_EUlS18_E_NS1_11comp_targetILNS1_3genE10ELNS1_11target_archE1200ELNS1_3gpuE4ELNS1_3repE0EEENS1_30default_config_static_selectorELNS0_4arch9wavefront6targetE0EEEvT1_
    .private_segment_fixed_size: 0
    .sgpr_count:     0
    .sgpr_spill_count: 0
    .symbol:         _ZN7rocprim17ROCPRIM_400000_NS6detail17trampoline_kernelINS0_14default_configENS1_25partition_config_selectorILNS1_17partition_subalgoE5ExNS0_10empty_typeEbEEZZNS1_14partition_implILS5_5ELb0ES3_mN6thrust23THRUST_200600_302600_NS6detail15normal_iteratorINSA_10device_ptrIxEEEEPS6_NSA_18transform_iteratorINSB_9not_fun_tI7is_trueIxEEENSC_INSD_IbEEEENSA_11use_defaultESO_EENS0_5tupleIJSF_S6_EEENSQ_IJSG_SG_EEES6_PlJS6_EEE10hipError_tPvRmT3_T4_T5_T6_T7_T9_mT8_P12ihipStream_tbDpT10_ENKUlT_T0_E_clISt17integral_constantIbLb1EES1C_IbLb0EEEEDaS18_S19_EUlS18_E_NS1_11comp_targetILNS1_3genE10ELNS1_11target_archE1200ELNS1_3gpuE4ELNS1_3repE0EEENS1_30default_config_static_selectorELNS0_4arch9wavefront6targetE0EEEvT1_.kd
    .uniform_work_group_size: 1
    .uses_dynamic_stack: false
    .vgpr_count:     0
    .vgpr_spill_count: 0
    .wavefront_size: 32
    .workgroup_processor_mode: 1
  - .args:
      - .offset:         0
        .size:           120
        .value_kind:     by_value
    .group_segment_fixed_size: 0
    .kernarg_segment_align: 8
    .kernarg_segment_size: 120
    .language:       OpenCL C
    .language_version:
      - 2
      - 0
    .max_flat_workgroup_size: 128
    .name:           _ZN7rocprim17ROCPRIM_400000_NS6detail17trampoline_kernelINS0_14default_configENS1_25partition_config_selectorILNS1_17partition_subalgoE5ExNS0_10empty_typeEbEEZZNS1_14partition_implILS5_5ELb0ES3_mN6thrust23THRUST_200600_302600_NS6detail15normal_iteratorINSA_10device_ptrIxEEEEPS6_NSA_18transform_iteratorINSB_9not_fun_tI7is_trueIxEEENSC_INSD_IbEEEENSA_11use_defaultESO_EENS0_5tupleIJSF_S6_EEENSQ_IJSG_SG_EEES6_PlJS6_EEE10hipError_tPvRmT3_T4_T5_T6_T7_T9_mT8_P12ihipStream_tbDpT10_ENKUlT_T0_E_clISt17integral_constantIbLb1EES1C_IbLb0EEEEDaS18_S19_EUlS18_E_NS1_11comp_targetILNS1_3genE9ELNS1_11target_archE1100ELNS1_3gpuE3ELNS1_3repE0EEENS1_30default_config_static_selectorELNS0_4arch9wavefront6targetE0EEEvT1_
    .private_segment_fixed_size: 0
    .sgpr_count:     0
    .sgpr_spill_count: 0
    .symbol:         _ZN7rocprim17ROCPRIM_400000_NS6detail17trampoline_kernelINS0_14default_configENS1_25partition_config_selectorILNS1_17partition_subalgoE5ExNS0_10empty_typeEbEEZZNS1_14partition_implILS5_5ELb0ES3_mN6thrust23THRUST_200600_302600_NS6detail15normal_iteratorINSA_10device_ptrIxEEEEPS6_NSA_18transform_iteratorINSB_9not_fun_tI7is_trueIxEEENSC_INSD_IbEEEENSA_11use_defaultESO_EENS0_5tupleIJSF_S6_EEENSQ_IJSG_SG_EEES6_PlJS6_EEE10hipError_tPvRmT3_T4_T5_T6_T7_T9_mT8_P12ihipStream_tbDpT10_ENKUlT_T0_E_clISt17integral_constantIbLb1EES1C_IbLb0EEEEDaS18_S19_EUlS18_E_NS1_11comp_targetILNS1_3genE9ELNS1_11target_archE1100ELNS1_3gpuE3ELNS1_3repE0EEENS1_30default_config_static_selectorELNS0_4arch9wavefront6targetE0EEEvT1_.kd
    .uniform_work_group_size: 1
    .uses_dynamic_stack: false
    .vgpr_count:     0
    .vgpr_spill_count: 0
    .wavefront_size: 32
    .workgroup_processor_mode: 1
  - .args:
      - .offset:         0
        .size:           120
        .value_kind:     by_value
    .group_segment_fixed_size: 0
    .kernarg_segment_align: 8
    .kernarg_segment_size: 120
    .language:       OpenCL C
    .language_version:
      - 2
      - 0
    .max_flat_workgroup_size: 512
    .name:           _ZN7rocprim17ROCPRIM_400000_NS6detail17trampoline_kernelINS0_14default_configENS1_25partition_config_selectorILNS1_17partition_subalgoE5ExNS0_10empty_typeEbEEZZNS1_14partition_implILS5_5ELb0ES3_mN6thrust23THRUST_200600_302600_NS6detail15normal_iteratorINSA_10device_ptrIxEEEEPS6_NSA_18transform_iteratorINSB_9not_fun_tI7is_trueIxEEENSC_INSD_IbEEEENSA_11use_defaultESO_EENS0_5tupleIJSF_S6_EEENSQ_IJSG_SG_EEES6_PlJS6_EEE10hipError_tPvRmT3_T4_T5_T6_T7_T9_mT8_P12ihipStream_tbDpT10_ENKUlT_T0_E_clISt17integral_constantIbLb1EES1C_IbLb0EEEEDaS18_S19_EUlS18_E_NS1_11comp_targetILNS1_3genE8ELNS1_11target_archE1030ELNS1_3gpuE2ELNS1_3repE0EEENS1_30default_config_static_selectorELNS0_4arch9wavefront6targetE0EEEvT1_
    .private_segment_fixed_size: 0
    .sgpr_count:     0
    .sgpr_spill_count: 0
    .symbol:         _ZN7rocprim17ROCPRIM_400000_NS6detail17trampoline_kernelINS0_14default_configENS1_25partition_config_selectorILNS1_17partition_subalgoE5ExNS0_10empty_typeEbEEZZNS1_14partition_implILS5_5ELb0ES3_mN6thrust23THRUST_200600_302600_NS6detail15normal_iteratorINSA_10device_ptrIxEEEEPS6_NSA_18transform_iteratorINSB_9not_fun_tI7is_trueIxEEENSC_INSD_IbEEEENSA_11use_defaultESO_EENS0_5tupleIJSF_S6_EEENSQ_IJSG_SG_EEES6_PlJS6_EEE10hipError_tPvRmT3_T4_T5_T6_T7_T9_mT8_P12ihipStream_tbDpT10_ENKUlT_T0_E_clISt17integral_constantIbLb1EES1C_IbLb0EEEEDaS18_S19_EUlS18_E_NS1_11comp_targetILNS1_3genE8ELNS1_11target_archE1030ELNS1_3gpuE2ELNS1_3repE0EEENS1_30default_config_static_selectorELNS0_4arch9wavefront6targetE0EEEvT1_.kd
    .uniform_work_group_size: 1
    .uses_dynamic_stack: false
    .vgpr_count:     0
    .vgpr_spill_count: 0
    .wavefront_size: 32
    .workgroup_processor_mode: 1
  - .args:
      - .offset:         0
        .size:           136
        .value_kind:     by_value
    .group_segment_fixed_size: 0
    .kernarg_segment_align: 8
    .kernarg_segment_size: 136
    .language:       OpenCL C
    .language_version:
      - 2
      - 0
    .max_flat_workgroup_size: 128
    .name:           _ZN7rocprim17ROCPRIM_400000_NS6detail17trampoline_kernelINS0_14default_configENS1_25partition_config_selectorILNS1_17partition_subalgoE5ExNS0_10empty_typeEbEEZZNS1_14partition_implILS5_5ELb0ES3_mN6thrust23THRUST_200600_302600_NS6detail15normal_iteratorINSA_10device_ptrIxEEEEPS6_NSA_18transform_iteratorINSB_9not_fun_tI7is_trueIxEEENSC_INSD_IbEEEENSA_11use_defaultESO_EENS0_5tupleIJSF_S6_EEENSQ_IJSG_SG_EEES6_PlJS6_EEE10hipError_tPvRmT3_T4_T5_T6_T7_T9_mT8_P12ihipStream_tbDpT10_ENKUlT_T0_E_clISt17integral_constantIbLb0EES1C_IbLb1EEEEDaS18_S19_EUlS18_E_NS1_11comp_targetILNS1_3genE0ELNS1_11target_archE4294967295ELNS1_3gpuE0ELNS1_3repE0EEENS1_30default_config_static_selectorELNS0_4arch9wavefront6targetE0EEEvT1_
    .private_segment_fixed_size: 0
    .sgpr_count:     0
    .sgpr_spill_count: 0
    .symbol:         _ZN7rocprim17ROCPRIM_400000_NS6detail17trampoline_kernelINS0_14default_configENS1_25partition_config_selectorILNS1_17partition_subalgoE5ExNS0_10empty_typeEbEEZZNS1_14partition_implILS5_5ELb0ES3_mN6thrust23THRUST_200600_302600_NS6detail15normal_iteratorINSA_10device_ptrIxEEEEPS6_NSA_18transform_iteratorINSB_9not_fun_tI7is_trueIxEEENSC_INSD_IbEEEENSA_11use_defaultESO_EENS0_5tupleIJSF_S6_EEENSQ_IJSG_SG_EEES6_PlJS6_EEE10hipError_tPvRmT3_T4_T5_T6_T7_T9_mT8_P12ihipStream_tbDpT10_ENKUlT_T0_E_clISt17integral_constantIbLb0EES1C_IbLb1EEEEDaS18_S19_EUlS18_E_NS1_11comp_targetILNS1_3genE0ELNS1_11target_archE4294967295ELNS1_3gpuE0ELNS1_3repE0EEENS1_30default_config_static_selectorELNS0_4arch9wavefront6targetE0EEEvT1_.kd
    .uniform_work_group_size: 1
    .uses_dynamic_stack: false
    .vgpr_count:     0
    .vgpr_spill_count: 0
    .wavefront_size: 32
    .workgroup_processor_mode: 1
  - .args:
      - .offset:         0
        .size:           136
        .value_kind:     by_value
    .group_segment_fixed_size: 0
    .kernarg_segment_align: 8
    .kernarg_segment_size: 136
    .language:       OpenCL C
    .language_version:
      - 2
      - 0
    .max_flat_workgroup_size: 512
    .name:           _ZN7rocprim17ROCPRIM_400000_NS6detail17trampoline_kernelINS0_14default_configENS1_25partition_config_selectorILNS1_17partition_subalgoE5ExNS0_10empty_typeEbEEZZNS1_14partition_implILS5_5ELb0ES3_mN6thrust23THRUST_200600_302600_NS6detail15normal_iteratorINSA_10device_ptrIxEEEEPS6_NSA_18transform_iteratorINSB_9not_fun_tI7is_trueIxEEENSC_INSD_IbEEEENSA_11use_defaultESO_EENS0_5tupleIJSF_S6_EEENSQ_IJSG_SG_EEES6_PlJS6_EEE10hipError_tPvRmT3_T4_T5_T6_T7_T9_mT8_P12ihipStream_tbDpT10_ENKUlT_T0_E_clISt17integral_constantIbLb0EES1C_IbLb1EEEEDaS18_S19_EUlS18_E_NS1_11comp_targetILNS1_3genE5ELNS1_11target_archE942ELNS1_3gpuE9ELNS1_3repE0EEENS1_30default_config_static_selectorELNS0_4arch9wavefront6targetE0EEEvT1_
    .private_segment_fixed_size: 0
    .sgpr_count:     0
    .sgpr_spill_count: 0
    .symbol:         _ZN7rocprim17ROCPRIM_400000_NS6detail17trampoline_kernelINS0_14default_configENS1_25partition_config_selectorILNS1_17partition_subalgoE5ExNS0_10empty_typeEbEEZZNS1_14partition_implILS5_5ELb0ES3_mN6thrust23THRUST_200600_302600_NS6detail15normal_iteratorINSA_10device_ptrIxEEEEPS6_NSA_18transform_iteratorINSB_9not_fun_tI7is_trueIxEEENSC_INSD_IbEEEENSA_11use_defaultESO_EENS0_5tupleIJSF_S6_EEENSQ_IJSG_SG_EEES6_PlJS6_EEE10hipError_tPvRmT3_T4_T5_T6_T7_T9_mT8_P12ihipStream_tbDpT10_ENKUlT_T0_E_clISt17integral_constantIbLb0EES1C_IbLb1EEEEDaS18_S19_EUlS18_E_NS1_11comp_targetILNS1_3genE5ELNS1_11target_archE942ELNS1_3gpuE9ELNS1_3repE0EEENS1_30default_config_static_selectorELNS0_4arch9wavefront6targetE0EEEvT1_.kd
    .uniform_work_group_size: 1
    .uses_dynamic_stack: false
    .vgpr_count:     0
    .vgpr_spill_count: 0
    .wavefront_size: 32
    .workgroup_processor_mode: 1
  - .args:
      - .offset:         0
        .size:           136
        .value_kind:     by_value
    .group_segment_fixed_size: 0
    .kernarg_segment_align: 8
    .kernarg_segment_size: 136
    .language:       OpenCL C
    .language_version:
      - 2
      - 0
    .max_flat_workgroup_size: 192
    .name:           _ZN7rocprim17ROCPRIM_400000_NS6detail17trampoline_kernelINS0_14default_configENS1_25partition_config_selectorILNS1_17partition_subalgoE5ExNS0_10empty_typeEbEEZZNS1_14partition_implILS5_5ELb0ES3_mN6thrust23THRUST_200600_302600_NS6detail15normal_iteratorINSA_10device_ptrIxEEEEPS6_NSA_18transform_iteratorINSB_9not_fun_tI7is_trueIxEEENSC_INSD_IbEEEENSA_11use_defaultESO_EENS0_5tupleIJSF_S6_EEENSQ_IJSG_SG_EEES6_PlJS6_EEE10hipError_tPvRmT3_T4_T5_T6_T7_T9_mT8_P12ihipStream_tbDpT10_ENKUlT_T0_E_clISt17integral_constantIbLb0EES1C_IbLb1EEEEDaS18_S19_EUlS18_E_NS1_11comp_targetILNS1_3genE4ELNS1_11target_archE910ELNS1_3gpuE8ELNS1_3repE0EEENS1_30default_config_static_selectorELNS0_4arch9wavefront6targetE0EEEvT1_
    .private_segment_fixed_size: 0
    .sgpr_count:     0
    .sgpr_spill_count: 0
    .symbol:         _ZN7rocprim17ROCPRIM_400000_NS6detail17trampoline_kernelINS0_14default_configENS1_25partition_config_selectorILNS1_17partition_subalgoE5ExNS0_10empty_typeEbEEZZNS1_14partition_implILS5_5ELb0ES3_mN6thrust23THRUST_200600_302600_NS6detail15normal_iteratorINSA_10device_ptrIxEEEEPS6_NSA_18transform_iteratorINSB_9not_fun_tI7is_trueIxEEENSC_INSD_IbEEEENSA_11use_defaultESO_EENS0_5tupleIJSF_S6_EEENSQ_IJSG_SG_EEES6_PlJS6_EEE10hipError_tPvRmT3_T4_T5_T6_T7_T9_mT8_P12ihipStream_tbDpT10_ENKUlT_T0_E_clISt17integral_constantIbLb0EES1C_IbLb1EEEEDaS18_S19_EUlS18_E_NS1_11comp_targetILNS1_3genE4ELNS1_11target_archE910ELNS1_3gpuE8ELNS1_3repE0EEENS1_30default_config_static_selectorELNS0_4arch9wavefront6targetE0EEEvT1_.kd
    .uniform_work_group_size: 1
    .uses_dynamic_stack: false
    .vgpr_count:     0
    .vgpr_spill_count: 0
    .wavefront_size: 32
    .workgroup_processor_mode: 1
  - .args:
      - .offset:         0
        .size:           136
        .value_kind:     by_value
    .group_segment_fixed_size: 0
    .kernarg_segment_align: 8
    .kernarg_segment_size: 136
    .language:       OpenCL C
    .language_version:
      - 2
      - 0
    .max_flat_workgroup_size: 128
    .name:           _ZN7rocprim17ROCPRIM_400000_NS6detail17trampoline_kernelINS0_14default_configENS1_25partition_config_selectorILNS1_17partition_subalgoE5ExNS0_10empty_typeEbEEZZNS1_14partition_implILS5_5ELb0ES3_mN6thrust23THRUST_200600_302600_NS6detail15normal_iteratorINSA_10device_ptrIxEEEEPS6_NSA_18transform_iteratorINSB_9not_fun_tI7is_trueIxEEENSC_INSD_IbEEEENSA_11use_defaultESO_EENS0_5tupleIJSF_S6_EEENSQ_IJSG_SG_EEES6_PlJS6_EEE10hipError_tPvRmT3_T4_T5_T6_T7_T9_mT8_P12ihipStream_tbDpT10_ENKUlT_T0_E_clISt17integral_constantIbLb0EES1C_IbLb1EEEEDaS18_S19_EUlS18_E_NS1_11comp_targetILNS1_3genE3ELNS1_11target_archE908ELNS1_3gpuE7ELNS1_3repE0EEENS1_30default_config_static_selectorELNS0_4arch9wavefront6targetE0EEEvT1_
    .private_segment_fixed_size: 0
    .sgpr_count:     0
    .sgpr_spill_count: 0
    .symbol:         _ZN7rocprim17ROCPRIM_400000_NS6detail17trampoline_kernelINS0_14default_configENS1_25partition_config_selectorILNS1_17partition_subalgoE5ExNS0_10empty_typeEbEEZZNS1_14partition_implILS5_5ELb0ES3_mN6thrust23THRUST_200600_302600_NS6detail15normal_iteratorINSA_10device_ptrIxEEEEPS6_NSA_18transform_iteratorINSB_9not_fun_tI7is_trueIxEEENSC_INSD_IbEEEENSA_11use_defaultESO_EENS0_5tupleIJSF_S6_EEENSQ_IJSG_SG_EEES6_PlJS6_EEE10hipError_tPvRmT3_T4_T5_T6_T7_T9_mT8_P12ihipStream_tbDpT10_ENKUlT_T0_E_clISt17integral_constantIbLb0EES1C_IbLb1EEEEDaS18_S19_EUlS18_E_NS1_11comp_targetILNS1_3genE3ELNS1_11target_archE908ELNS1_3gpuE7ELNS1_3repE0EEENS1_30default_config_static_selectorELNS0_4arch9wavefront6targetE0EEEvT1_.kd
    .uniform_work_group_size: 1
    .uses_dynamic_stack: false
    .vgpr_count:     0
    .vgpr_spill_count: 0
    .wavefront_size: 32
    .workgroup_processor_mode: 1
  - .args:
      - .offset:         0
        .size:           136
        .value_kind:     by_value
    .group_segment_fixed_size: 0
    .kernarg_segment_align: 8
    .kernarg_segment_size: 136
    .language:       OpenCL C
    .language_version:
      - 2
      - 0
    .max_flat_workgroup_size: 256
    .name:           _ZN7rocprim17ROCPRIM_400000_NS6detail17trampoline_kernelINS0_14default_configENS1_25partition_config_selectorILNS1_17partition_subalgoE5ExNS0_10empty_typeEbEEZZNS1_14partition_implILS5_5ELb0ES3_mN6thrust23THRUST_200600_302600_NS6detail15normal_iteratorINSA_10device_ptrIxEEEEPS6_NSA_18transform_iteratorINSB_9not_fun_tI7is_trueIxEEENSC_INSD_IbEEEENSA_11use_defaultESO_EENS0_5tupleIJSF_S6_EEENSQ_IJSG_SG_EEES6_PlJS6_EEE10hipError_tPvRmT3_T4_T5_T6_T7_T9_mT8_P12ihipStream_tbDpT10_ENKUlT_T0_E_clISt17integral_constantIbLb0EES1C_IbLb1EEEEDaS18_S19_EUlS18_E_NS1_11comp_targetILNS1_3genE2ELNS1_11target_archE906ELNS1_3gpuE6ELNS1_3repE0EEENS1_30default_config_static_selectorELNS0_4arch9wavefront6targetE0EEEvT1_
    .private_segment_fixed_size: 0
    .sgpr_count:     0
    .sgpr_spill_count: 0
    .symbol:         _ZN7rocprim17ROCPRIM_400000_NS6detail17trampoline_kernelINS0_14default_configENS1_25partition_config_selectorILNS1_17partition_subalgoE5ExNS0_10empty_typeEbEEZZNS1_14partition_implILS5_5ELb0ES3_mN6thrust23THRUST_200600_302600_NS6detail15normal_iteratorINSA_10device_ptrIxEEEEPS6_NSA_18transform_iteratorINSB_9not_fun_tI7is_trueIxEEENSC_INSD_IbEEEENSA_11use_defaultESO_EENS0_5tupleIJSF_S6_EEENSQ_IJSG_SG_EEES6_PlJS6_EEE10hipError_tPvRmT3_T4_T5_T6_T7_T9_mT8_P12ihipStream_tbDpT10_ENKUlT_T0_E_clISt17integral_constantIbLb0EES1C_IbLb1EEEEDaS18_S19_EUlS18_E_NS1_11comp_targetILNS1_3genE2ELNS1_11target_archE906ELNS1_3gpuE6ELNS1_3repE0EEENS1_30default_config_static_selectorELNS0_4arch9wavefront6targetE0EEEvT1_.kd
    .uniform_work_group_size: 1
    .uses_dynamic_stack: false
    .vgpr_count:     0
    .vgpr_spill_count: 0
    .wavefront_size: 32
    .workgroup_processor_mode: 1
  - .args:
      - .offset:         0
        .size:           136
        .value_kind:     by_value
    .group_segment_fixed_size: 8464
    .kernarg_segment_align: 8
    .kernarg_segment_size: 136
    .language:       OpenCL C
    .language_version:
      - 2
      - 0
    .max_flat_workgroup_size: 256
    .name:           _ZN7rocprim17ROCPRIM_400000_NS6detail17trampoline_kernelINS0_14default_configENS1_25partition_config_selectorILNS1_17partition_subalgoE5ExNS0_10empty_typeEbEEZZNS1_14partition_implILS5_5ELb0ES3_mN6thrust23THRUST_200600_302600_NS6detail15normal_iteratorINSA_10device_ptrIxEEEEPS6_NSA_18transform_iteratorINSB_9not_fun_tI7is_trueIxEEENSC_INSD_IbEEEENSA_11use_defaultESO_EENS0_5tupleIJSF_S6_EEENSQ_IJSG_SG_EEES6_PlJS6_EEE10hipError_tPvRmT3_T4_T5_T6_T7_T9_mT8_P12ihipStream_tbDpT10_ENKUlT_T0_E_clISt17integral_constantIbLb0EES1C_IbLb1EEEEDaS18_S19_EUlS18_E_NS1_11comp_targetILNS1_3genE10ELNS1_11target_archE1200ELNS1_3gpuE4ELNS1_3repE0EEENS1_30default_config_static_selectorELNS0_4arch9wavefront6targetE0EEEvT1_
    .private_segment_fixed_size: 0
    .sgpr_count:     27
    .sgpr_spill_count: 0
    .symbol:         _ZN7rocprim17ROCPRIM_400000_NS6detail17trampoline_kernelINS0_14default_configENS1_25partition_config_selectorILNS1_17partition_subalgoE5ExNS0_10empty_typeEbEEZZNS1_14partition_implILS5_5ELb0ES3_mN6thrust23THRUST_200600_302600_NS6detail15normal_iteratorINSA_10device_ptrIxEEEEPS6_NSA_18transform_iteratorINSB_9not_fun_tI7is_trueIxEEENSC_INSD_IbEEEENSA_11use_defaultESO_EENS0_5tupleIJSF_S6_EEENSQ_IJSG_SG_EEES6_PlJS6_EEE10hipError_tPvRmT3_T4_T5_T6_T7_T9_mT8_P12ihipStream_tbDpT10_ENKUlT_T0_E_clISt17integral_constantIbLb0EES1C_IbLb1EEEEDaS18_S19_EUlS18_E_NS1_11comp_targetILNS1_3genE10ELNS1_11target_archE1200ELNS1_3gpuE4ELNS1_3repE0EEENS1_30default_config_static_selectorELNS0_4arch9wavefront6targetE0EEEvT1_.kd
    .uniform_work_group_size: 1
    .uses_dynamic_stack: false
    .vgpr_count:     48
    .vgpr_spill_count: 0
    .wavefront_size: 32
    .workgroup_processor_mode: 1
  - .args:
      - .offset:         0
        .size:           136
        .value_kind:     by_value
    .group_segment_fixed_size: 0
    .kernarg_segment_align: 8
    .kernarg_segment_size: 136
    .language:       OpenCL C
    .language_version:
      - 2
      - 0
    .max_flat_workgroup_size: 128
    .name:           _ZN7rocprim17ROCPRIM_400000_NS6detail17trampoline_kernelINS0_14default_configENS1_25partition_config_selectorILNS1_17partition_subalgoE5ExNS0_10empty_typeEbEEZZNS1_14partition_implILS5_5ELb0ES3_mN6thrust23THRUST_200600_302600_NS6detail15normal_iteratorINSA_10device_ptrIxEEEEPS6_NSA_18transform_iteratorINSB_9not_fun_tI7is_trueIxEEENSC_INSD_IbEEEENSA_11use_defaultESO_EENS0_5tupleIJSF_S6_EEENSQ_IJSG_SG_EEES6_PlJS6_EEE10hipError_tPvRmT3_T4_T5_T6_T7_T9_mT8_P12ihipStream_tbDpT10_ENKUlT_T0_E_clISt17integral_constantIbLb0EES1C_IbLb1EEEEDaS18_S19_EUlS18_E_NS1_11comp_targetILNS1_3genE9ELNS1_11target_archE1100ELNS1_3gpuE3ELNS1_3repE0EEENS1_30default_config_static_selectorELNS0_4arch9wavefront6targetE0EEEvT1_
    .private_segment_fixed_size: 0
    .sgpr_count:     0
    .sgpr_spill_count: 0
    .symbol:         _ZN7rocprim17ROCPRIM_400000_NS6detail17trampoline_kernelINS0_14default_configENS1_25partition_config_selectorILNS1_17partition_subalgoE5ExNS0_10empty_typeEbEEZZNS1_14partition_implILS5_5ELb0ES3_mN6thrust23THRUST_200600_302600_NS6detail15normal_iteratorINSA_10device_ptrIxEEEEPS6_NSA_18transform_iteratorINSB_9not_fun_tI7is_trueIxEEENSC_INSD_IbEEEENSA_11use_defaultESO_EENS0_5tupleIJSF_S6_EEENSQ_IJSG_SG_EEES6_PlJS6_EEE10hipError_tPvRmT3_T4_T5_T6_T7_T9_mT8_P12ihipStream_tbDpT10_ENKUlT_T0_E_clISt17integral_constantIbLb0EES1C_IbLb1EEEEDaS18_S19_EUlS18_E_NS1_11comp_targetILNS1_3genE9ELNS1_11target_archE1100ELNS1_3gpuE3ELNS1_3repE0EEENS1_30default_config_static_selectorELNS0_4arch9wavefront6targetE0EEEvT1_.kd
    .uniform_work_group_size: 1
    .uses_dynamic_stack: false
    .vgpr_count:     0
    .vgpr_spill_count: 0
    .wavefront_size: 32
    .workgroup_processor_mode: 1
  - .args:
      - .offset:         0
        .size:           136
        .value_kind:     by_value
    .group_segment_fixed_size: 0
    .kernarg_segment_align: 8
    .kernarg_segment_size: 136
    .language:       OpenCL C
    .language_version:
      - 2
      - 0
    .max_flat_workgroup_size: 512
    .name:           _ZN7rocprim17ROCPRIM_400000_NS6detail17trampoline_kernelINS0_14default_configENS1_25partition_config_selectorILNS1_17partition_subalgoE5ExNS0_10empty_typeEbEEZZNS1_14partition_implILS5_5ELb0ES3_mN6thrust23THRUST_200600_302600_NS6detail15normal_iteratorINSA_10device_ptrIxEEEEPS6_NSA_18transform_iteratorINSB_9not_fun_tI7is_trueIxEEENSC_INSD_IbEEEENSA_11use_defaultESO_EENS0_5tupleIJSF_S6_EEENSQ_IJSG_SG_EEES6_PlJS6_EEE10hipError_tPvRmT3_T4_T5_T6_T7_T9_mT8_P12ihipStream_tbDpT10_ENKUlT_T0_E_clISt17integral_constantIbLb0EES1C_IbLb1EEEEDaS18_S19_EUlS18_E_NS1_11comp_targetILNS1_3genE8ELNS1_11target_archE1030ELNS1_3gpuE2ELNS1_3repE0EEENS1_30default_config_static_selectorELNS0_4arch9wavefront6targetE0EEEvT1_
    .private_segment_fixed_size: 0
    .sgpr_count:     0
    .sgpr_spill_count: 0
    .symbol:         _ZN7rocprim17ROCPRIM_400000_NS6detail17trampoline_kernelINS0_14default_configENS1_25partition_config_selectorILNS1_17partition_subalgoE5ExNS0_10empty_typeEbEEZZNS1_14partition_implILS5_5ELb0ES3_mN6thrust23THRUST_200600_302600_NS6detail15normal_iteratorINSA_10device_ptrIxEEEEPS6_NSA_18transform_iteratorINSB_9not_fun_tI7is_trueIxEEENSC_INSD_IbEEEENSA_11use_defaultESO_EENS0_5tupleIJSF_S6_EEENSQ_IJSG_SG_EEES6_PlJS6_EEE10hipError_tPvRmT3_T4_T5_T6_T7_T9_mT8_P12ihipStream_tbDpT10_ENKUlT_T0_E_clISt17integral_constantIbLb0EES1C_IbLb1EEEEDaS18_S19_EUlS18_E_NS1_11comp_targetILNS1_3genE8ELNS1_11target_archE1030ELNS1_3gpuE2ELNS1_3repE0EEENS1_30default_config_static_selectorELNS0_4arch9wavefront6targetE0EEEvT1_.kd
    .uniform_work_group_size: 1
    .uses_dynamic_stack: false
    .vgpr_count:     0
    .vgpr_spill_count: 0
    .wavefront_size: 32
    .workgroup_processor_mode: 1
  - .args:
      - .offset:         0
        .size:           120
        .value_kind:     by_value
    .group_segment_fixed_size: 0
    .kernarg_segment_align: 8
    .kernarg_segment_size: 120
    .language:       OpenCL C
    .language_version:
      - 2
      - 0
    .max_flat_workgroup_size: 512
    .name:           _ZN7rocprim17ROCPRIM_400000_NS6detail17trampoline_kernelINS0_14default_configENS1_25partition_config_selectorILNS1_17partition_subalgoE5EiNS0_10empty_typeEbEEZZNS1_14partition_implILS5_5ELb0ES3_mN6thrust23THRUST_200600_302600_NS6detail15normal_iteratorINSA_10device_ptrIiEEEEPS6_NSA_18transform_iteratorINSB_9not_fun_tI7is_trueIiEEENSC_INSD_IbEEEENSA_11use_defaultESO_EENS0_5tupleIJSF_S6_EEENSQ_IJSG_SG_EEES6_PlJS6_EEE10hipError_tPvRmT3_T4_T5_T6_T7_T9_mT8_P12ihipStream_tbDpT10_ENKUlT_T0_E_clISt17integral_constantIbLb0EES1D_EEDaS18_S19_EUlS18_E_NS1_11comp_targetILNS1_3genE0ELNS1_11target_archE4294967295ELNS1_3gpuE0ELNS1_3repE0EEENS1_30default_config_static_selectorELNS0_4arch9wavefront6targetE0EEEvT1_
    .private_segment_fixed_size: 0
    .sgpr_count:     0
    .sgpr_spill_count: 0
    .symbol:         _ZN7rocprim17ROCPRIM_400000_NS6detail17trampoline_kernelINS0_14default_configENS1_25partition_config_selectorILNS1_17partition_subalgoE5EiNS0_10empty_typeEbEEZZNS1_14partition_implILS5_5ELb0ES3_mN6thrust23THRUST_200600_302600_NS6detail15normal_iteratorINSA_10device_ptrIiEEEEPS6_NSA_18transform_iteratorINSB_9not_fun_tI7is_trueIiEEENSC_INSD_IbEEEENSA_11use_defaultESO_EENS0_5tupleIJSF_S6_EEENSQ_IJSG_SG_EEES6_PlJS6_EEE10hipError_tPvRmT3_T4_T5_T6_T7_T9_mT8_P12ihipStream_tbDpT10_ENKUlT_T0_E_clISt17integral_constantIbLb0EES1D_EEDaS18_S19_EUlS18_E_NS1_11comp_targetILNS1_3genE0ELNS1_11target_archE4294967295ELNS1_3gpuE0ELNS1_3repE0EEENS1_30default_config_static_selectorELNS0_4arch9wavefront6targetE0EEEvT1_.kd
    .uniform_work_group_size: 1
    .uses_dynamic_stack: false
    .vgpr_count:     0
    .vgpr_spill_count: 0
    .wavefront_size: 32
    .workgroup_processor_mode: 1
  - .args:
      - .offset:         0
        .size:           120
        .value_kind:     by_value
    .group_segment_fixed_size: 0
    .kernarg_segment_align: 8
    .kernarg_segment_size: 120
    .language:       OpenCL C
    .language_version:
      - 2
      - 0
    .max_flat_workgroup_size: 512
    .name:           _ZN7rocprim17ROCPRIM_400000_NS6detail17trampoline_kernelINS0_14default_configENS1_25partition_config_selectorILNS1_17partition_subalgoE5EiNS0_10empty_typeEbEEZZNS1_14partition_implILS5_5ELb0ES3_mN6thrust23THRUST_200600_302600_NS6detail15normal_iteratorINSA_10device_ptrIiEEEEPS6_NSA_18transform_iteratorINSB_9not_fun_tI7is_trueIiEEENSC_INSD_IbEEEENSA_11use_defaultESO_EENS0_5tupleIJSF_S6_EEENSQ_IJSG_SG_EEES6_PlJS6_EEE10hipError_tPvRmT3_T4_T5_T6_T7_T9_mT8_P12ihipStream_tbDpT10_ENKUlT_T0_E_clISt17integral_constantIbLb0EES1D_EEDaS18_S19_EUlS18_E_NS1_11comp_targetILNS1_3genE5ELNS1_11target_archE942ELNS1_3gpuE9ELNS1_3repE0EEENS1_30default_config_static_selectorELNS0_4arch9wavefront6targetE0EEEvT1_
    .private_segment_fixed_size: 0
    .sgpr_count:     0
    .sgpr_spill_count: 0
    .symbol:         _ZN7rocprim17ROCPRIM_400000_NS6detail17trampoline_kernelINS0_14default_configENS1_25partition_config_selectorILNS1_17partition_subalgoE5EiNS0_10empty_typeEbEEZZNS1_14partition_implILS5_5ELb0ES3_mN6thrust23THRUST_200600_302600_NS6detail15normal_iteratorINSA_10device_ptrIiEEEEPS6_NSA_18transform_iteratorINSB_9not_fun_tI7is_trueIiEEENSC_INSD_IbEEEENSA_11use_defaultESO_EENS0_5tupleIJSF_S6_EEENSQ_IJSG_SG_EEES6_PlJS6_EEE10hipError_tPvRmT3_T4_T5_T6_T7_T9_mT8_P12ihipStream_tbDpT10_ENKUlT_T0_E_clISt17integral_constantIbLb0EES1D_EEDaS18_S19_EUlS18_E_NS1_11comp_targetILNS1_3genE5ELNS1_11target_archE942ELNS1_3gpuE9ELNS1_3repE0EEENS1_30default_config_static_selectorELNS0_4arch9wavefront6targetE0EEEvT1_.kd
    .uniform_work_group_size: 1
    .uses_dynamic_stack: false
    .vgpr_count:     0
    .vgpr_spill_count: 0
    .wavefront_size: 32
    .workgroup_processor_mode: 1
  - .args:
      - .offset:         0
        .size:           120
        .value_kind:     by_value
    .group_segment_fixed_size: 0
    .kernarg_segment_align: 8
    .kernarg_segment_size: 120
    .language:       OpenCL C
    .language_version:
      - 2
      - 0
    .max_flat_workgroup_size: 256
    .name:           _ZN7rocprim17ROCPRIM_400000_NS6detail17trampoline_kernelINS0_14default_configENS1_25partition_config_selectorILNS1_17partition_subalgoE5EiNS0_10empty_typeEbEEZZNS1_14partition_implILS5_5ELb0ES3_mN6thrust23THRUST_200600_302600_NS6detail15normal_iteratorINSA_10device_ptrIiEEEEPS6_NSA_18transform_iteratorINSB_9not_fun_tI7is_trueIiEEENSC_INSD_IbEEEENSA_11use_defaultESO_EENS0_5tupleIJSF_S6_EEENSQ_IJSG_SG_EEES6_PlJS6_EEE10hipError_tPvRmT3_T4_T5_T6_T7_T9_mT8_P12ihipStream_tbDpT10_ENKUlT_T0_E_clISt17integral_constantIbLb0EES1D_EEDaS18_S19_EUlS18_E_NS1_11comp_targetILNS1_3genE4ELNS1_11target_archE910ELNS1_3gpuE8ELNS1_3repE0EEENS1_30default_config_static_selectorELNS0_4arch9wavefront6targetE0EEEvT1_
    .private_segment_fixed_size: 0
    .sgpr_count:     0
    .sgpr_spill_count: 0
    .symbol:         _ZN7rocprim17ROCPRIM_400000_NS6detail17trampoline_kernelINS0_14default_configENS1_25partition_config_selectorILNS1_17partition_subalgoE5EiNS0_10empty_typeEbEEZZNS1_14partition_implILS5_5ELb0ES3_mN6thrust23THRUST_200600_302600_NS6detail15normal_iteratorINSA_10device_ptrIiEEEEPS6_NSA_18transform_iteratorINSB_9not_fun_tI7is_trueIiEEENSC_INSD_IbEEEENSA_11use_defaultESO_EENS0_5tupleIJSF_S6_EEENSQ_IJSG_SG_EEES6_PlJS6_EEE10hipError_tPvRmT3_T4_T5_T6_T7_T9_mT8_P12ihipStream_tbDpT10_ENKUlT_T0_E_clISt17integral_constantIbLb0EES1D_EEDaS18_S19_EUlS18_E_NS1_11comp_targetILNS1_3genE4ELNS1_11target_archE910ELNS1_3gpuE8ELNS1_3repE0EEENS1_30default_config_static_selectorELNS0_4arch9wavefront6targetE0EEEvT1_.kd
    .uniform_work_group_size: 1
    .uses_dynamic_stack: false
    .vgpr_count:     0
    .vgpr_spill_count: 0
    .wavefront_size: 32
    .workgroup_processor_mode: 1
  - .args:
      - .offset:         0
        .size:           120
        .value_kind:     by_value
    .group_segment_fixed_size: 0
    .kernarg_segment_align: 8
    .kernarg_segment_size: 120
    .language:       OpenCL C
    .language_version:
      - 2
      - 0
    .max_flat_workgroup_size: 512
    .name:           _ZN7rocprim17ROCPRIM_400000_NS6detail17trampoline_kernelINS0_14default_configENS1_25partition_config_selectorILNS1_17partition_subalgoE5EiNS0_10empty_typeEbEEZZNS1_14partition_implILS5_5ELb0ES3_mN6thrust23THRUST_200600_302600_NS6detail15normal_iteratorINSA_10device_ptrIiEEEEPS6_NSA_18transform_iteratorINSB_9not_fun_tI7is_trueIiEEENSC_INSD_IbEEEENSA_11use_defaultESO_EENS0_5tupleIJSF_S6_EEENSQ_IJSG_SG_EEES6_PlJS6_EEE10hipError_tPvRmT3_T4_T5_T6_T7_T9_mT8_P12ihipStream_tbDpT10_ENKUlT_T0_E_clISt17integral_constantIbLb0EES1D_EEDaS18_S19_EUlS18_E_NS1_11comp_targetILNS1_3genE3ELNS1_11target_archE908ELNS1_3gpuE7ELNS1_3repE0EEENS1_30default_config_static_selectorELNS0_4arch9wavefront6targetE0EEEvT1_
    .private_segment_fixed_size: 0
    .sgpr_count:     0
    .sgpr_spill_count: 0
    .symbol:         _ZN7rocprim17ROCPRIM_400000_NS6detail17trampoline_kernelINS0_14default_configENS1_25partition_config_selectorILNS1_17partition_subalgoE5EiNS0_10empty_typeEbEEZZNS1_14partition_implILS5_5ELb0ES3_mN6thrust23THRUST_200600_302600_NS6detail15normal_iteratorINSA_10device_ptrIiEEEEPS6_NSA_18transform_iteratorINSB_9not_fun_tI7is_trueIiEEENSC_INSD_IbEEEENSA_11use_defaultESO_EENS0_5tupleIJSF_S6_EEENSQ_IJSG_SG_EEES6_PlJS6_EEE10hipError_tPvRmT3_T4_T5_T6_T7_T9_mT8_P12ihipStream_tbDpT10_ENKUlT_T0_E_clISt17integral_constantIbLb0EES1D_EEDaS18_S19_EUlS18_E_NS1_11comp_targetILNS1_3genE3ELNS1_11target_archE908ELNS1_3gpuE7ELNS1_3repE0EEENS1_30default_config_static_selectorELNS0_4arch9wavefront6targetE0EEEvT1_.kd
    .uniform_work_group_size: 1
    .uses_dynamic_stack: false
    .vgpr_count:     0
    .vgpr_spill_count: 0
    .wavefront_size: 32
    .workgroup_processor_mode: 1
  - .args:
      - .offset:         0
        .size:           120
        .value_kind:     by_value
    .group_segment_fixed_size: 0
    .kernarg_segment_align: 8
    .kernarg_segment_size: 120
    .language:       OpenCL C
    .language_version:
      - 2
      - 0
    .max_flat_workgroup_size: 256
    .name:           _ZN7rocprim17ROCPRIM_400000_NS6detail17trampoline_kernelINS0_14default_configENS1_25partition_config_selectorILNS1_17partition_subalgoE5EiNS0_10empty_typeEbEEZZNS1_14partition_implILS5_5ELb0ES3_mN6thrust23THRUST_200600_302600_NS6detail15normal_iteratorINSA_10device_ptrIiEEEEPS6_NSA_18transform_iteratorINSB_9not_fun_tI7is_trueIiEEENSC_INSD_IbEEEENSA_11use_defaultESO_EENS0_5tupleIJSF_S6_EEENSQ_IJSG_SG_EEES6_PlJS6_EEE10hipError_tPvRmT3_T4_T5_T6_T7_T9_mT8_P12ihipStream_tbDpT10_ENKUlT_T0_E_clISt17integral_constantIbLb0EES1D_EEDaS18_S19_EUlS18_E_NS1_11comp_targetILNS1_3genE2ELNS1_11target_archE906ELNS1_3gpuE6ELNS1_3repE0EEENS1_30default_config_static_selectorELNS0_4arch9wavefront6targetE0EEEvT1_
    .private_segment_fixed_size: 0
    .sgpr_count:     0
    .sgpr_spill_count: 0
    .symbol:         _ZN7rocprim17ROCPRIM_400000_NS6detail17trampoline_kernelINS0_14default_configENS1_25partition_config_selectorILNS1_17partition_subalgoE5EiNS0_10empty_typeEbEEZZNS1_14partition_implILS5_5ELb0ES3_mN6thrust23THRUST_200600_302600_NS6detail15normal_iteratorINSA_10device_ptrIiEEEEPS6_NSA_18transform_iteratorINSB_9not_fun_tI7is_trueIiEEENSC_INSD_IbEEEENSA_11use_defaultESO_EENS0_5tupleIJSF_S6_EEENSQ_IJSG_SG_EEES6_PlJS6_EEE10hipError_tPvRmT3_T4_T5_T6_T7_T9_mT8_P12ihipStream_tbDpT10_ENKUlT_T0_E_clISt17integral_constantIbLb0EES1D_EEDaS18_S19_EUlS18_E_NS1_11comp_targetILNS1_3genE2ELNS1_11target_archE906ELNS1_3gpuE6ELNS1_3repE0EEENS1_30default_config_static_selectorELNS0_4arch9wavefront6targetE0EEEvT1_.kd
    .uniform_work_group_size: 1
    .uses_dynamic_stack: false
    .vgpr_count:     0
    .vgpr_spill_count: 0
    .wavefront_size: 32
    .workgroup_processor_mode: 1
  - .args:
      - .offset:         0
        .size:           120
        .value_kind:     by_value
    .group_segment_fixed_size: 6352
    .kernarg_segment_align: 8
    .kernarg_segment_size: 120
    .language:       OpenCL C
    .language_version:
      - 2
      - 0
    .max_flat_workgroup_size: 192
    .name:           _ZN7rocprim17ROCPRIM_400000_NS6detail17trampoline_kernelINS0_14default_configENS1_25partition_config_selectorILNS1_17partition_subalgoE5EiNS0_10empty_typeEbEEZZNS1_14partition_implILS5_5ELb0ES3_mN6thrust23THRUST_200600_302600_NS6detail15normal_iteratorINSA_10device_ptrIiEEEEPS6_NSA_18transform_iteratorINSB_9not_fun_tI7is_trueIiEEENSC_INSD_IbEEEENSA_11use_defaultESO_EENS0_5tupleIJSF_S6_EEENSQ_IJSG_SG_EEES6_PlJS6_EEE10hipError_tPvRmT3_T4_T5_T6_T7_T9_mT8_P12ihipStream_tbDpT10_ENKUlT_T0_E_clISt17integral_constantIbLb0EES1D_EEDaS18_S19_EUlS18_E_NS1_11comp_targetILNS1_3genE10ELNS1_11target_archE1200ELNS1_3gpuE4ELNS1_3repE0EEENS1_30default_config_static_selectorELNS0_4arch9wavefront6targetE0EEEvT1_
    .private_segment_fixed_size: 0
    .sgpr_count:     24
    .sgpr_spill_count: 0
    .symbol:         _ZN7rocprim17ROCPRIM_400000_NS6detail17trampoline_kernelINS0_14default_configENS1_25partition_config_selectorILNS1_17partition_subalgoE5EiNS0_10empty_typeEbEEZZNS1_14partition_implILS5_5ELb0ES3_mN6thrust23THRUST_200600_302600_NS6detail15normal_iteratorINSA_10device_ptrIiEEEEPS6_NSA_18transform_iteratorINSB_9not_fun_tI7is_trueIiEEENSC_INSD_IbEEEENSA_11use_defaultESO_EENS0_5tupleIJSF_S6_EEENSQ_IJSG_SG_EEES6_PlJS6_EEE10hipError_tPvRmT3_T4_T5_T6_T7_T9_mT8_P12ihipStream_tbDpT10_ENKUlT_T0_E_clISt17integral_constantIbLb0EES1D_EEDaS18_S19_EUlS18_E_NS1_11comp_targetILNS1_3genE10ELNS1_11target_archE1200ELNS1_3gpuE4ELNS1_3repE0EEENS1_30default_config_static_selectorELNS0_4arch9wavefront6targetE0EEEvT1_.kd
    .uniform_work_group_size: 1
    .uses_dynamic_stack: false
    .vgpr_count:     52
    .vgpr_spill_count: 0
    .wavefront_size: 32
    .workgroup_processor_mode: 1
  - .args:
      - .offset:         0
        .size:           120
        .value_kind:     by_value
    .group_segment_fixed_size: 0
    .kernarg_segment_align: 8
    .kernarg_segment_size: 120
    .language:       OpenCL C
    .language_version:
      - 2
      - 0
    .max_flat_workgroup_size: 128
    .name:           _ZN7rocprim17ROCPRIM_400000_NS6detail17trampoline_kernelINS0_14default_configENS1_25partition_config_selectorILNS1_17partition_subalgoE5EiNS0_10empty_typeEbEEZZNS1_14partition_implILS5_5ELb0ES3_mN6thrust23THRUST_200600_302600_NS6detail15normal_iteratorINSA_10device_ptrIiEEEEPS6_NSA_18transform_iteratorINSB_9not_fun_tI7is_trueIiEEENSC_INSD_IbEEEENSA_11use_defaultESO_EENS0_5tupleIJSF_S6_EEENSQ_IJSG_SG_EEES6_PlJS6_EEE10hipError_tPvRmT3_T4_T5_T6_T7_T9_mT8_P12ihipStream_tbDpT10_ENKUlT_T0_E_clISt17integral_constantIbLb0EES1D_EEDaS18_S19_EUlS18_E_NS1_11comp_targetILNS1_3genE9ELNS1_11target_archE1100ELNS1_3gpuE3ELNS1_3repE0EEENS1_30default_config_static_selectorELNS0_4arch9wavefront6targetE0EEEvT1_
    .private_segment_fixed_size: 0
    .sgpr_count:     0
    .sgpr_spill_count: 0
    .symbol:         _ZN7rocprim17ROCPRIM_400000_NS6detail17trampoline_kernelINS0_14default_configENS1_25partition_config_selectorILNS1_17partition_subalgoE5EiNS0_10empty_typeEbEEZZNS1_14partition_implILS5_5ELb0ES3_mN6thrust23THRUST_200600_302600_NS6detail15normal_iteratorINSA_10device_ptrIiEEEEPS6_NSA_18transform_iteratorINSB_9not_fun_tI7is_trueIiEEENSC_INSD_IbEEEENSA_11use_defaultESO_EENS0_5tupleIJSF_S6_EEENSQ_IJSG_SG_EEES6_PlJS6_EEE10hipError_tPvRmT3_T4_T5_T6_T7_T9_mT8_P12ihipStream_tbDpT10_ENKUlT_T0_E_clISt17integral_constantIbLb0EES1D_EEDaS18_S19_EUlS18_E_NS1_11comp_targetILNS1_3genE9ELNS1_11target_archE1100ELNS1_3gpuE3ELNS1_3repE0EEENS1_30default_config_static_selectorELNS0_4arch9wavefront6targetE0EEEvT1_.kd
    .uniform_work_group_size: 1
    .uses_dynamic_stack: false
    .vgpr_count:     0
    .vgpr_spill_count: 0
    .wavefront_size: 32
    .workgroup_processor_mode: 1
  - .args:
      - .offset:         0
        .size:           120
        .value_kind:     by_value
    .group_segment_fixed_size: 0
    .kernarg_segment_align: 8
    .kernarg_segment_size: 120
    .language:       OpenCL C
    .language_version:
      - 2
      - 0
    .max_flat_workgroup_size: 512
    .name:           _ZN7rocprim17ROCPRIM_400000_NS6detail17trampoline_kernelINS0_14default_configENS1_25partition_config_selectorILNS1_17partition_subalgoE5EiNS0_10empty_typeEbEEZZNS1_14partition_implILS5_5ELb0ES3_mN6thrust23THRUST_200600_302600_NS6detail15normal_iteratorINSA_10device_ptrIiEEEEPS6_NSA_18transform_iteratorINSB_9not_fun_tI7is_trueIiEEENSC_INSD_IbEEEENSA_11use_defaultESO_EENS0_5tupleIJSF_S6_EEENSQ_IJSG_SG_EEES6_PlJS6_EEE10hipError_tPvRmT3_T4_T5_T6_T7_T9_mT8_P12ihipStream_tbDpT10_ENKUlT_T0_E_clISt17integral_constantIbLb0EES1D_EEDaS18_S19_EUlS18_E_NS1_11comp_targetILNS1_3genE8ELNS1_11target_archE1030ELNS1_3gpuE2ELNS1_3repE0EEENS1_30default_config_static_selectorELNS0_4arch9wavefront6targetE0EEEvT1_
    .private_segment_fixed_size: 0
    .sgpr_count:     0
    .sgpr_spill_count: 0
    .symbol:         _ZN7rocprim17ROCPRIM_400000_NS6detail17trampoline_kernelINS0_14default_configENS1_25partition_config_selectorILNS1_17partition_subalgoE5EiNS0_10empty_typeEbEEZZNS1_14partition_implILS5_5ELb0ES3_mN6thrust23THRUST_200600_302600_NS6detail15normal_iteratorINSA_10device_ptrIiEEEEPS6_NSA_18transform_iteratorINSB_9not_fun_tI7is_trueIiEEENSC_INSD_IbEEEENSA_11use_defaultESO_EENS0_5tupleIJSF_S6_EEENSQ_IJSG_SG_EEES6_PlJS6_EEE10hipError_tPvRmT3_T4_T5_T6_T7_T9_mT8_P12ihipStream_tbDpT10_ENKUlT_T0_E_clISt17integral_constantIbLb0EES1D_EEDaS18_S19_EUlS18_E_NS1_11comp_targetILNS1_3genE8ELNS1_11target_archE1030ELNS1_3gpuE2ELNS1_3repE0EEENS1_30default_config_static_selectorELNS0_4arch9wavefront6targetE0EEEvT1_.kd
    .uniform_work_group_size: 1
    .uses_dynamic_stack: false
    .vgpr_count:     0
    .vgpr_spill_count: 0
    .wavefront_size: 32
    .workgroup_processor_mode: 1
  - .args:
      - .offset:         0
        .size:           136
        .value_kind:     by_value
    .group_segment_fixed_size: 0
    .kernarg_segment_align: 8
    .kernarg_segment_size: 136
    .language:       OpenCL C
    .language_version:
      - 2
      - 0
    .max_flat_workgroup_size: 512
    .name:           _ZN7rocprim17ROCPRIM_400000_NS6detail17trampoline_kernelINS0_14default_configENS1_25partition_config_selectorILNS1_17partition_subalgoE5EiNS0_10empty_typeEbEEZZNS1_14partition_implILS5_5ELb0ES3_mN6thrust23THRUST_200600_302600_NS6detail15normal_iteratorINSA_10device_ptrIiEEEEPS6_NSA_18transform_iteratorINSB_9not_fun_tI7is_trueIiEEENSC_INSD_IbEEEENSA_11use_defaultESO_EENS0_5tupleIJSF_S6_EEENSQ_IJSG_SG_EEES6_PlJS6_EEE10hipError_tPvRmT3_T4_T5_T6_T7_T9_mT8_P12ihipStream_tbDpT10_ENKUlT_T0_E_clISt17integral_constantIbLb1EES1D_EEDaS18_S19_EUlS18_E_NS1_11comp_targetILNS1_3genE0ELNS1_11target_archE4294967295ELNS1_3gpuE0ELNS1_3repE0EEENS1_30default_config_static_selectorELNS0_4arch9wavefront6targetE0EEEvT1_
    .private_segment_fixed_size: 0
    .sgpr_count:     0
    .sgpr_spill_count: 0
    .symbol:         _ZN7rocprim17ROCPRIM_400000_NS6detail17trampoline_kernelINS0_14default_configENS1_25partition_config_selectorILNS1_17partition_subalgoE5EiNS0_10empty_typeEbEEZZNS1_14partition_implILS5_5ELb0ES3_mN6thrust23THRUST_200600_302600_NS6detail15normal_iteratorINSA_10device_ptrIiEEEEPS6_NSA_18transform_iteratorINSB_9not_fun_tI7is_trueIiEEENSC_INSD_IbEEEENSA_11use_defaultESO_EENS0_5tupleIJSF_S6_EEENSQ_IJSG_SG_EEES6_PlJS6_EEE10hipError_tPvRmT3_T4_T5_T6_T7_T9_mT8_P12ihipStream_tbDpT10_ENKUlT_T0_E_clISt17integral_constantIbLb1EES1D_EEDaS18_S19_EUlS18_E_NS1_11comp_targetILNS1_3genE0ELNS1_11target_archE4294967295ELNS1_3gpuE0ELNS1_3repE0EEENS1_30default_config_static_selectorELNS0_4arch9wavefront6targetE0EEEvT1_.kd
    .uniform_work_group_size: 1
    .uses_dynamic_stack: false
    .vgpr_count:     0
    .vgpr_spill_count: 0
    .wavefront_size: 32
    .workgroup_processor_mode: 1
  - .args:
      - .offset:         0
        .size:           136
        .value_kind:     by_value
    .group_segment_fixed_size: 0
    .kernarg_segment_align: 8
    .kernarg_segment_size: 136
    .language:       OpenCL C
    .language_version:
      - 2
      - 0
    .max_flat_workgroup_size: 512
    .name:           _ZN7rocprim17ROCPRIM_400000_NS6detail17trampoline_kernelINS0_14default_configENS1_25partition_config_selectorILNS1_17partition_subalgoE5EiNS0_10empty_typeEbEEZZNS1_14partition_implILS5_5ELb0ES3_mN6thrust23THRUST_200600_302600_NS6detail15normal_iteratorINSA_10device_ptrIiEEEEPS6_NSA_18transform_iteratorINSB_9not_fun_tI7is_trueIiEEENSC_INSD_IbEEEENSA_11use_defaultESO_EENS0_5tupleIJSF_S6_EEENSQ_IJSG_SG_EEES6_PlJS6_EEE10hipError_tPvRmT3_T4_T5_T6_T7_T9_mT8_P12ihipStream_tbDpT10_ENKUlT_T0_E_clISt17integral_constantIbLb1EES1D_EEDaS18_S19_EUlS18_E_NS1_11comp_targetILNS1_3genE5ELNS1_11target_archE942ELNS1_3gpuE9ELNS1_3repE0EEENS1_30default_config_static_selectorELNS0_4arch9wavefront6targetE0EEEvT1_
    .private_segment_fixed_size: 0
    .sgpr_count:     0
    .sgpr_spill_count: 0
    .symbol:         _ZN7rocprim17ROCPRIM_400000_NS6detail17trampoline_kernelINS0_14default_configENS1_25partition_config_selectorILNS1_17partition_subalgoE5EiNS0_10empty_typeEbEEZZNS1_14partition_implILS5_5ELb0ES3_mN6thrust23THRUST_200600_302600_NS6detail15normal_iteratorINSA_10device_ptrIiEEEEPS6_NSA_18transform_iteratorINSB_9not_fun_tI7is_trueIiEEENSC_INSD_IbEEEENSA_11use_defaultESO_EENS0_5tupleIJSF_S6_EEENSQ_IJSG_SG_EEES6_PlJS6_EEE10hipError_tPvRmT3_T4_T5_T6_T7_T9_mT8_P12ihipStream_tbDpT10_ENKUlT_T0_E_clISt17integral_constantIbLb1EES1D_EEDaS18_S19_EUlS18_E_NS1_11comp_targetILNS1_3genE5ELNS1_11target_archE942ELNS1_3gpuE9ELNS1_3repE0EEENS1_30default_config_static_selectorELNS0_4arch9wavefront6targetE0EEEvT1_.kd
    .uniform_work_group_size: 1
    .uses_dynamic_stack: false
    .vgpr_count:     0
    .vgpr_spill_count: 0
    .wavefront_size: 32
    .workgroup_processor_mode: 1
  - .args:
      - .offset:         0
        .size:           136
        .value_kind:     by_value
    .group_segment_fixed_size: 0
    .kernarg_segment_align: 8
    .kernarg_segment_size: 136
    .language:       OpenCL C
    .language_version:
      - 2
      - 0
    .max_flat_workgroup_size: 256
    .name:           _ZN7rocprim17ROCPRIM_400000_NS6detail17trampoline_kernelINS0_14default_configENS1_25partition_config_selectorILNS1_17partition_subalgoE5EiNS0_10empty_typeEbEEZZNS1_14partition_implILS5_5ELb0ES3_mN6thrust23THRUST_200600_302600_NS6detail15normal_iteratorINSA_10device_ptrIiEEEEPS6_NSA_18transform_iteratorINSB_9not_fun_tI7is_trueIiEEENSC_INSD_IbEEEENSA_11use_defaultESO_EENS0_5tupleIJSF_S6_EEENSQ_IJSG_SG_EEES6_PlJS6_EEE10hipError_tPvRmT3_T4_T5_T6_T7_T9_mT8_P12ihipStream_tbDpT10_ENKUlT_T0_E_clISt17integral_constantIbLb1EES1D_EEDaS18_S19_EUlS18_E_NS1_11comp_targetILNS1_3genE4ELNS1_11target_archE910ELNS1_3gpuE8ELNS1_3repE0EEENS1_30default_config_static_selectorELNS0_4arch9wavefront6targetE0EEEvT1_
    .private_segment_fixed_size: 0
    .sgpr_count:     0
    .sgpr_spill_count: 0
    .symbol:         _ZN7rocprim17ROCPRIM_400000_NS6detail17trampoline_kernelINS0_14default_configENS1_25partition_config_selectorILNS1_17partition_subalgoE5EiNS0_10empty_typeEbEEZZNS1_14partition_implILS5_5ELb0ES3_mN6thrust23THRUST_200600_302600_NS6detail15normal_iteratorINSA_10device_ptrIiEEEEPS6_NSA_18transform_iteratorINSB_9not_fun_tI7is_trueIiEEENSC_INSD_IbEEEENSA_11use_defaultESO_EENS0_5tupleIJSF_S6_EEENSQ_IJSG_SG_EEES6_PlJS6_EEE10hipError_tPvRmT3_T4_T5_T6_T7_T9_mT8_P12ihipStream_tbDpT10_ENKUlT_T0_E_clISt17integral_constantIbLb1EES1D_EEDaS18_S19_EUlS18_E_NS1_11comp_targetILNS1_3genE4ELNS1_11target_archE910ELNS1_3gpuE8ELNS1_3repE0EEENS1_30default_config_static_selectorELNS0_4arch9wavefront6targetE0EEEvT1_.kd
    .uniform_work_group_size: 1
    .uses_dynamic_stack: false
    .vgpr_count:     0
    .vgpr_spill_count: 0
    .wavefront_size: 32
    .workgroup_processor_mode: 1
  - .args:
      - .offset:         0
        .size:           136
        .value_kind:     by_value
    .group_segment_fixed_size: 0
    .kernarg_segment_align: 8
    .kernarg_segment_size: 136
    .language:       OpenCL C
    .language_version:
      - 2
      - 0
    .max_flat_workgroup_size: 512
    .name:           _ZN7rocprim17ROCPRIM_400000_NS6detail17trampoline_kernelINS0_14default_configENS1_25partition_config_selectorILNS1_17partition_subalgoE5EiNS0_10empty_typeEbEEZZNS1_14partition_implILS5_5ELb0ES3_mN6thrust23THRUST_200600_302600_NS6detail15normal_iteratorINSA_10device_ptrIiEEEEPS6_NSA_18transform_iteratorINSB_9not_fun_tI7is_trueIiEEENSC_INSD_IbEEEENSA_11use_defaultESO_EENS0_5tupleIJSF_S6_EEENSQ_IJSG_SG_EEES6_PlJS6_EEE10hipError_tPvRmT3_T4_T5_T6_T7_T9_mT8_P12ihipStream_tbDpT10_ENKUlT_T0_E_clISt17integral_constantIbLb1EES1D_EEDaS18_S19_EUlS18_E_NS1_11comp_targetILNS1_3genE3ELNS1_11target_archE908ELNS1_3gpuE7ELNS1_3repE0EEENS1_30default_config_static_selectorELNS0_4arch9wavefront6targetE0EEEvT1_
    .private_segment_fixed_size: 0
    .sgpr_count:     0
    .sgpr_spill_count: 0
    .symbol:         _ZN7rocprim17ROCPRIM_400000_NS6detail17trampoline_kernelINS0_14default_configENS1_25partition_config_selectorILNS1_17partition_subalgoE5EiNS0_10empty_typeEbEEZZNS1_14partition_implILS5_5ELb0ES3_mN6thrust23THRUST_200600_302600_NS6detail15normal_iteratorINSA_10device_ptrIiEEEEPS6_NSA_18transform_iteratorINSB_9not_fun_tI7is_trueIiEEENSC_INSD_IbEEEENSA_11use_defaultESO_EENS0_5tupleIJSF_S6_EEENSQ_IJSG_SG_EEES6_PlJS6_EEE10hipError_tPvRmT3_T4_T5_T6_T7_T9_mT8_P12ihipStream_tbDpT10_ENKUlT_T0_E_clISt17integral_constantIbLb1EES1D_EEDaS18_S19_EUlS18_E_NS1_11comp_targetILNS1_3genE3ELNS1_11target_archE908ELNS1_3gpuE7ELNS1_3repE0EEENS1_30default_config_static_selectorELNS0_4arch9wavefront6targetE0EEEvT1_.kd
    .uniform_work_group_size: 1
    .uses_dynamic_stack: false
    .vgpr_count:     0
    .vgpr_spill_count: 0
    .wavefront_size: 32
    .workgroup_processor_mode: 1
  - .args:
      - .offset:         0
        .size:           136
        .value_kind:     by_value
    .group_segment_fixed_size: 0
    .kernarg_segment_align: 8
    .kernarg_segment_size: 136
    .language:       OpenCL C
    .language_version:
      - 2
      - 0
    .max_flat_workgroup_size: 256
    .name:           _ZN7rocprim17ROCPRIM_400000_NS6detail17trampoline_kernelINS0_14default_configENS1_25partition_config_selectorILNS1_17partition_subalgoE5EiNS0_10empty_typeEbEEZZNS1_14partition_implILS5_5ELb0ES3_mN6thrust23THRUST_200600_302600_NS6detail15normal_iteratorINSA_10device_ptrIiEEEEPS6_NSA_18transform_iteratorINSB_9not_fun_tI7is_trueIiEEENSC_INSD_IbEEEENSA_11use_defaultESO_EENS0_5tupleIJSF_S6_EEENSQ_IJSG_SG_EEES6_PlJS6_EEE10hipError_tPvRmT3_T4_T5_T6_T7_T9_mT8_P12ihipStream_tbDpT10_ENKUlT_T0_E_clISt17integral_constantIbLb1EES1D_EEDaS18_S19_EUlS18_E_NS1_11comp_targetILNS1_3genE2ELNS1_11target_archE906ELNS1_3gpuE6ELNS1_3repE0EEENS1_30default_config_static_selectorELNS0_4arch9wavefront6targetE0EEEvT1_
    .private_segment_fixed_size: 0
    .sgpr_count:     0
    .sgpr_spill_count: 0
    .symbol:         _ZN7rocprim17ROCPRIM_400000_NS6detail17trampoline_kernelINS0_14default_configENS1_25partition_config_selectorILNS1_17partition_subalgoE5EiNS0_10empty_typeEbEEZZNS1_14partition_implILS5_5ELb0ES3_mN6thrust23THRUST_200600_302600_NS6detail15normal_iteratorINSA_10device_ptrIiEEEEPS6_NSA_18transform_iteratorINSB_9not_fun_tI7is_trueIiEEENSC_INSD_IbEEEENSA_11use_defaultESO_EENS0_5tupleIJSF_S6_EEENSQ_IJSG_SG_EEES6_PlJS6_EEE10hipError_tPvRmT3_T4_T5_T6_T7_T9_mT8_P12ihipStream_tbDpT10_ENKUlT_T0_E_clISt17integral_constantIbLb1EES1D_EEDaS18_S19_EUlS18_E_NS1_11comp_targetILNS1_3genE2ELNS1_11target_archE906ELNS1_3gpuE6ELNS1_3repE0EEENS1_30default_config_static_selectorELNS0_4arch9wavefront6targetE0EEEvT1_.kd
    .uniform_work_group_size: 1
    .uses_dynamic_stack: false
    .vgpr_count:     0
    .vgpr_spill_count: 0
    .wavefront_size: 32
    .workgroup_processor_mode: 1
  - .args:
      - .offset:         0
        .size:           136
        .value_kind:     by_value
    .group_segment_fixed_size: 0
    .kernarg_segment_align: 8
    .kernarg_segment_size: 136
    .language:       OpenCL C
    .language_version:
      - 2
      - 0
    .max_flat_workgroup_size: 192
    .name:           _ZN7rocprim17ROCPRIM_400000_NS6detail17trampoline_kernelINS0_14default_configENS1_25partition_config_selectorILNS1_17partition_subalgoE5EiNS0_10empty_typeEbEEZZNS1_14partition_implILS5_5ELb0ES3_mN6thrust23THRUST_200600_302600_NS6detail15normal_iteratorINSA_10device_ptrIiEEEEPS6_NSA_18transform_iteratorINSB_9not_fun_tI7is_trueIiEEENSC_INSD_IbEEEENSA_11use_defaultESO_EENS0_5tupleIJSF_S6_EEENSQ_IJSG_SG_EEES6_PlJS6_EEE10hipError_tPvRmT3_T4_T5_T6_T7_T9_mT8_P12ihipStream_tbDpT10_ENKUlT_T0_E_clISt17integral_constantIbLb1EES1D_EEDaS18_S19_EUlS18_E_NS1_11comp_targetILNS1_3genE10ELNS1_11target_archE1200ELNS1_3gpuE4ELNS1_3repE0EEENS1_30default_config_static_selectorELNS0_4arch9wavefront6targetE0EEEvT1_
    .private_segment_fixed_size: 0
    .sgpr_count:     0
    .sgpr_spill_count: 0
    .symbol:         _ZN7rocprim17ROCPRIM_400000_NS6detail17trampoline_kernelINS0_14default_configENS1_25partition_config_selectorILNS1_17partition_subalgoE5EiNS0_10empty_typeEbEEZZNS1_14partition_implILS5_5ELb0ES3_mN6thrust23THRUST_200600_302600_NS6detail15normal_iteratorINSA_10device_ptrIiEEEEPS6_NSA_18transform_iteratorINSB_9not_fun_tI7is_trueIiEEENSC_INSD_IbEEEENSA_11use_defaultESO_EENS0_5tupleIJSF_S6_EEENSQ_IJSG_SG_EEES6_PlJS6_EEE10hipError_tPvRmT3_T4_T5_T6_T7_T9_mT8_P12ihipStream_tbDpT10_ENKUlT_T0_E_clISt17integral_constantIbLb1EES1D_EEDaS18_S19_EUlS18_E_NS1_11comp_targetILNS1_3genE10ELNS1_11target_archE1200ELNS1_3gpuE4ELNS1_3repE0EEENS1_30default_config_static_selectorELNS0_4arch9wavefront6targetE0EEEvT1_.kd
    .uniform_work_group_size: 1
    .uses_dynamic_stack: false
    .vgpr_count:     0
    .vgpr_spill_count: 0
    .wavefront_size: 32
    .workgroup_processor_mode: 1
  - .args:
      - .offset:         0
        .size:           136
        .value_kind:     by_value
    .group_segment_fixed_size: 0
    .kernarg_segment_align: 8
    .kernarg_segment_size: 136
    .language:       OpenCL C
    .language_version:
      - 2
      - 0
    .max_flat_workgroup_size: 128
    .name:           _ZN7rocprim17ROCPRIM_400000_NS6detail17trampoline_kernelINS0_14default_configENS1_25partition_config_selectorILNS1_17partition_subalgoE5EiNS0_10empty_typeEbEEZZNS1_14partition_implILS5_5ELb0ES3_mN6thrust23THRUST_200600_302600_NS6detail15normal_iteratorINSA_10device_ptrIiEEEEPS6_NSA_18transform_iteratorINSB_9not_fun_tI7is_trueIiEEENSC_INSD_IbEEEENSA_11use_defaultESO_EENS0_5tupleIJSF_S6_EEENSQ_IJSG_SG_EEES6_PlJS6_EEE10hipError_tPvRmT3_T4_T5_T6_T7_T9_mT8_P12ihipStream_tbDpT10_ENKUlT_T0_E_clISt17integral_constantIbLb1EES1D_EEDaS18_S19_EUlS18_E_NS1_11comp_targetILNS1_3genE9ELNS1_11target_archE1100ELNS1_3gpuE3ELNS1_3repE0EEENS1_30default_config_static_selectorELNS0_4arch9wavefront6targetE0EEEvT1_
    .private_segment_fixed_size: 0
    .sgpr_count:     0
    .sgpr_spill_count: 0
    .symbol:         _ZN7rocprim17ROCPRIM_400000_NS6detail17trampoline_kernelINS0_14default_configENS1_25partition_config_selectorILNS1_17partition_subalgoE5EiNS0_10empty_typeEbEEZZNS1_14partition_implILS5_5ELb0ES3_mN6thrust23THRUST_200600_302600_NS6detail15normal_iteratorINSA_10device_ptrIiEEEEPS6_NSA_18transform_iteratorINSB_9not_fun_tI7is_trueIiEEENSC_INSD_IbEEEENSA_11use_defaultESO_EENS0_5tupleIJSF_S6_EEENSQ_IJSG_SG_EEES6_PlJS6_EEE10hipError_tPvRmT3_T4_T5_T6_T7_T9_mT8_P12ihipStream_tbDpT10_ENKUlT_T0_E_clISt17integral_constantIbLb1EES1D_EEDaS18_S19_EUlS18_E_NS1_11comp_targetILNS1_3genE9ELNS1_11target_archE1100ELNS1_3gpuE3ELNS1_3repE0EEENS1_30default_config_static_selectorELNS0_4arch9wavefront6targetE0EEEvT1_.kd
    .uniform_work_group_size: 1
    .uses_dynamic_stack: false
    .vgpr_count:     0
    .vgpr_spill_count: 0
    .wavefront_size: 32
    .workgroup_processor_mode: 1
  - .args:
      - .offset:         0
        .size:           136
        .value_kind:     by_value
    .group_segment_fixed_size: 0
    .kernarg_segment_align: 8
    .kernarg_segment_size: 136
    .language:       OpenCL C
    .language_version:
      - 2
      - 0
    .max_flat_workgroup_size: 512
    .name:           _ZN7rocprim17ROCPRIM_400000_NS6detail17trampoline_kernelINS0_14default_configENS1_25partition_config_selectorILNS1_17partition_subalgoE5EiNS0_10empty_typeEbEEZZNS1_14partition_implILS5_5ELb0ES3_mN6thrust23THRUST_200600_302600_NS6detail15normal_iteratorINSA_10device_ptrIiEEEEPS6_NSA_18transform_iteratorINSB_9not_fun_tI7is_trueIiEEENSC_INSD_IbEEEENSA_11use_defaultESO_EENS0_5tupleIJSF_S6_EEENSQ_IJSG_SG_EEES6_PlJS6_EEE10hipError_tPvRmT3_T4_T5_T6_T7_T9_mT8_P12ihipStream_tbDpT10_ENKUlT_T0_E_clISt17integral_constantIbLb1EES1D_EEDaS18_S19_EUlS18_E_NS1_11comp_targetILNS1_3genE8ELNS1_11target_archE1030ELNS1_3gpuE2ELNS1_3repE0EEENS1_30default_config_static_selectorELNS0_4arch9wavefront6targetE0EEEvT1_
    .private_segment_fixed_size: 0
    .sgpr_count:     0
    .sgpr_spill_count: 0
    .symbol:         _ZN7rocprim17ROCPRIM_400000_NS6detail17trampoline_kernelINS0_14default_configENS1_25partition_config_selectorILNS1_17partition_subalgoE5EiNS0_10empty_typeEbEEZZNS1_14partition_implILS5_5ELb0ES3_mN6thrust23THRUST_200600_302600_NS6detail15normal_iteratorINSA_10device_ptrIiEEEEPS6_NSA_18transform_iteratorINSB_9not_fun_tI7is_trueIiEEENSC_INSD_IbEEEENSA_11use_defaultESO_EENS0_5tupleIJSF_S6_EEENSQ_IJSG_SG_EEES6_PlJS6_EEE10hipError_tPvRmT3_T4_T5_T6_T7_T9_mT8_P12ihipStream_tbDpT10_ENKUlT_T0_E_clISt17integral_constantIbLb1EES1D_EEDaS18_S19_EUlS18_E_NS1_11comp_targetILNS1_3genE8ELNS1_11target_archE1030ELNS1_3gpuE2ELNS1_3repE0EEENS1_30default_config_static_selectorELNS0_4arch9wavefront6targetE0EEEvT1_.kd
    .uniform_work_group_size: 1
    .uses_dynamic_stack: false
    .vgpr_count:     0
    .vgpr_spill_count: 0
    .wavefront_size: 32
    .workgroup_processor_mode: 1
  - .args:
      - .offset:         0
        .size:           120
        .value_kind:     by_value
    .group_segment_fixed_size: 0
    .kernarg_segment_align: 8
    .kernarg_segment_size: 120
    .language:       OpenCL C
    .language_version:
      - 2
      - 0
    .max_flat_workgroup_size: 512
    .name:           _ZN7rocprim17ROCPRIM_400000_NS6detail17trampoline_kernelINS0_14default_configENS1_25partition_config_selectorILNS1_17partition_subalgoE5EiNS0_10empty_typeEbEEZZNS1_14partition_implILS5_5ELb0ES3_mN6thrust23THRUST_200600_302600_NS6detail15normal_iteratorINSA_10device_ptrIiEEEEPS6_NSA_18transform_iteratorINSB_9not_fun_tI7is_trueIiEEENSC_INSD_IbEEEENSA_11use_defaultESO_EENS0_5tupleIJSF_S6_EEENSQ_IJSG_SG_EEES6_PlJS6_EEE10hipError_tPvRmT3_T4_T5_T6_T7_T9_mT8_P12ihipStream_tbDpT10_ENKUlT_T0_E_clISt17integral_constantIbLb1EES1C_IbLb0EEEEDaS18_S19_EUlS18_E_NS1_11comp_targetILNS1_3genE0ELNS1_11target_archE4294967295ELNS1_3gpuE0ELNS1_3repE0EEENS1_30default_config_static_selectorELNS0_4arch9wavefront6targetE0EEEvT1_
    .private_segment_fixed_size: 0
    .sgpr_count:     0
    .sgpr_spill_count: 0
    .symbol:         _ZN7rocprim17ROCPRIM_400000_NS6detail17trampoline_kernelINS0_14default_configENS1_25partition_config_selectorILNS1_17partition_subalgoE5EiNS0_10empty_typeEbEEZZNS1_14partition_implILS5_5ELb0ES3_mN6thrust23THRUST_200600_302600_NS6detail15normal_iteratorINSA_10device_ptrIiEEEEPS6_NSA_18transform_iteratorINSB_9not_fun_tI7is_trueIiEEENSC_INSD_IbEEEENSA_11use_defaultESO_EENS0_5tupleIJSF_S6_EEENSQ_IJSG_SG_EEES6_PlJS6_EEE10hipError_tPvRmT3_T4_T5_T6_T7_T9_mT8_P12ihipStream_tbDpT10_ENKUlT_T0_E_clISt17integral_constantIbLb1EES1C_IbLb0EEEEDaS18_S19_EUlS18_E_NS1_11comp_targetILNS1_3genE0ELNS1_11target_archE4294967295ELNS1_3gpuE0ELNS1_3repE0EEENS1_30default_config_static_selectorELNS0_4arch9wavefront6targetE0EEEvT1_.kd
    .uniform_work_group_size: 1
    .uses_dynamic_stack: false
    .vgpr_count:     0
    .vgpr_spill_count: 0
    .wavefront_size: 32
    .workgroup_processor_mode: 1
  - .args:
      - .offset:         0
        .size:           120
        .value_kind:     by_value
    .group_segment_fixed_size: 0
    .kernarg_segment_align: 8
    .kernarg_segment_size: 120
    .language:       OpenCL C
    .language_version:
      - 2
      - 0
    .max_flat_workgroup_size: 512
    .name:           _ZN7rocprim17ROCPRIM_400000_NS6detail17trampoline_kernelINS0_14default_configENS1_25partition_config_selectorILNS1_17partition_subalgoE5EiNS0_10empty_typeEbEEZZNS1_14partition_implILS5_5ELb0ES3_mN6thrust23THRUST_200600_302600_NS6detail15normal_iteratorINSA_10device_ptrIiEEEEPS6_NSA_18transform_iteratorINSB_9not_fun_tI7is_trueIiEEENSC_INSD_IbEEEENSA_11use_defaultESO_EENS0_5tupleIJSF_S6_EEENSQ_IJSG_SG_EEES6_PlJS6_EEE10hipError_tPvRmT3_T4_T5_T6_T7_T9_mT8_P12ihipStream_tbDpT10_ENKUlT_T0_E_clISt17integral_constantIbLb1EES1C_IbLb0EEEEDaS18_S19_EUlS18_E_NS1_11comp_targetILNS1_3genE5ELNS1_11target_archE942ELNS1_3gpuE9ELNS1_3repE0EEENS1_30default_config_static_selectorELNS0_4arch9wavefront6targetE0EEEvT1_
    .private_segment_fixed_size: 0
    .sgpr_count:     0
    .sgpr_spill_count: 0
    .symbol:         _ZN7rocprim17ROCPRIM_400000_NS6detail17trampoline_kernelINS0_14default_configENS1_25partition_config_selectorILNS1_17partition_subalgoE5EiNS0_10empty_typeEbEEZZNS1_14partition_implILS5_5ELb0ES3_mN6thrust23THRUST_200600_302600_NS6detail15normal_iteratorINSA_10device_ptrIiEEEEPS6_NSA_18transform_iteratorINSB_9not_fun_tI7is_trueIiEEENSC_INSD_IbEEEENSA_11use_defaultESO_EENS0_5tupleIJSF_S6_EEENSQ_IJSG_SG_EEES6_PlJS6_EEE10hipError_tPvRmT3_T4_T5_T6_T7_T9_mT8_P12ihipStream_tbDpT10_ENKUlT_T0_E_clISt17integral_constantIbLb1EES1C_IbLb0EEEEDaS18_S19_EUlS18_E_NS1_11comp_targetILNS1_3genE5ELNS1_11target_archE942ELNS1_3gpuE9ELNS1_3repE0EEENS1_30default_config_static_selectorELNS0_4arch9wavefront6targetE0EEEvT1_.kd
    .uniform_work_group_size: 1
    .uses_dynamic_stack: false
    .vgpr_count:     0
    .vgpr_spill_count: 0
    .wavefront_size: 32
    .workgroup_processor_mode: 1
  - .args:
      - .offset:         0
        .size:           120
        .value_kind:     by_value
    .group_segment_fixed_size: 0
    .kernarg_segment_align: 8
    .kernarg_segment_size: 120
    .language:       OpenCL C
    .language_version:
      - 2
      - 0
    .max_flat_workgroup_size: 256
    .name:           _ZN7rocprim17ROCPRIM_400000_NS6detail17trampoline_kernelINS0_14default_configENS1_25partition_config_selectorILNS1_17partition_subalgoE5EiNS0_10empty_typeEbEEZZNS1_14partition_implILS5_5ELb0ES3_mN6thrust23THRUST_200600_302600_NS6detail15normal_iteratorINSA_10device_ptrIiEEEEPS6_NSA_18transform_iteratorINSB_9not_fun_tI7is_trueIiEEENSC_INSD_IbEEEENSA_11use_defaultESO_EENS0_5tupleIJSF_S6_EEENSQ_IJSG_SG_EEES6_PlJS6_EEE10hipError_tPvRmT3_T4_T5_T6_T7_T9_mT8_P12ihipStream_tbDpT10_ENKUlT_T0_E_clISt17integral_constantIbLb1EES1C_IbLb0EEEEDaS18_S19_EUlS18_E_NS1_11comp_targetILNS1_3genE4ELNS1_11target_archE910ELNS1_3gpuE8ELNS1_3repE0EEENS1_30default_config_static_selectorELNS0_4arch9wavefront6targetE0EEEvT1_
    .private_segment_fixed_size: 0
    .sgpr_count:     0
    .sgpr_spill_count: 0
    .symbol:         _ZN7rocprim17ROCPRIM_400000_NS6detail17trampoline_kernelINS0_14default_configENS1_25partition_config_selectorILNS1_17partition_subalgoE5EiNS0_10empty_typeEbEEZZNS1_14partition_implILS5_5ELb0ES3_mN6thrust23THRUST_200600_302600_NS6detail15normal_iteratorINSA_10device_ptrIiEEEEPS6_NSA_18transform_iteratorINSB_9not_fun_tI7is_trueIiEEENSC_INSD_IbEEEENSA_11use_defaultESO_EENS0_5tupleIJSF_S6_EEENSQ_IJSG_SG_EEES6_PlJS6_EEE10hipError_tPvRmT3_T4_T5_T6_T7_T9_mT8_P12ihipStream_tbDpT10_ENKUlT_T0_E_clISt17integral_constantIbLb1EES1C_IbLb0EEEEDaS18_S19_EUlS18_E_NS1_11comp_targetILNS1_3genE4ELNS1_11target_archE910ELNS1_3gpuE8ELNS1_3repE0EEENS1_30default_config_static_selectorELNS0_4arch9wavefront6targetE0EEEvT1_.kd
    .uniform_work_group_size: 1
    .uses_dynamic_stack: false
    .vgpr_count:     0
    .vgpr_spill_count: 0
    .wavefront_size: 32
    .workgroup_processor_mode: 1
  - .args:
      - .offset:         0
        .size:           120
        .value_kind:     by_value
    .group_segment_fixed_size: 0
    .kernarg_segment_align: 8
    .kernarg_segment_size: 120
    .language:       OpenCL C
    .language_version:
      - 2
      - 0
    .max_flat_workgroup_size: 512
    .name:           _ZN7rocprim17ROCPRIM_400000_NS6detail17trampoline_kernelINS0_14default_configENS1_25partition_config_selectorILNS1_17partition_subalgoE5EiNS0_10empty_typeEbEEZZNS1_14partition_implILS5_5ELb0ES3_mN6thrust23THRUST_200600_302600_NS6detail15normal_iteratorINSA_10device_ptrIiEEEEPS6_NSA_18transform_iteratorINSB_9not_fun_tI7is_trueIiEEENSC_INSD_IbEEEENSA_11use_defaultESO_EENS0_5tupleIJSF_S6_EEENSQ_IJSG_SG_EEES6_PlJS6_EEE10hipError_tPvRmT3_T4_T5_T6_T7_T9_mT8_P12ihipStream_tbDpT10_ENKUlT_T0_E_clISt17integral_constantIbLb1EES1C_IbLb0EEEEDaS18_S19_EUlS18_E_NS1_11comp_targetILNS1_3genE3ELNS1_11target_archE908ELNS1_3gpuE7ELNS1_3repE0EEENS1_30default_config_static_selectorELNS0_4arch9wavefront6targetE0EEEvT1_
    .private_segment_fixed_size: 0
    .sgpr_count:     0
    .sgpr_spill_count: 0
    .symbol:         _ZN7rocprim17ROCPRIM_400000_NS6detail17trampoline_kernelINS0_14default_configENS1_25partition_config_selectorILNS1_17partition_subalgoE5EiNS0_10empty_typeEbEEZZNS1_14partition_implILS5_5ELb0ES3_mN6thrust23THRUST_200600_302600_NS6detail15normal_iteratorINSA_10device_ptrIiEEEEPS6_NSA_18transform_iteratorINSB_9not_fun_tI7is_trueIiEEENSC_INSD_IbEEEENSA_11use_defaultESO_EENS0_5tupleIJSF_S6_EEENSQ_IJSG_SG_EEES6_PlJS6_EEE10hipError_tPvRmT3_T4_T5_T6_T7_T9_mT8_P12ihipStream_tbDpT10_ENKUlT_T0_E_clISt17integral_constantIbLb1EES1C_IbLb0EEEEDaS18_S19_EUlS18_E_NS1_11comp_targetILNS1_3genE3ELNS1_11target_archE908ELNS1_3gpuE7ELNS1_3repE0EEENS1_30default_config_static_selectorELNS0_4arch9wavefront6targetE0EEEvT1_.kd
    .uniform_work_group_size: 1
    .uses_dynamic_stack: false
    .vgpr_count:     0
    .vgpr_spill_count: 0
    .wavefront_size: 32
    .workgroup_processor_mode: 1
  - .args:
      - .offset:         0
        .size:           120
        .value_kind:     by_value
    .group_segment_fixed_size: 0
    .kernarg_segment_align: 8
    .kernarg_segment_size: 120
    .language:       OpenCL C
    .language_version:
      - 2
      - 0
    .max_flat_workgroup_size: 256
    .name:           _ZN7rocprim17ROCPRIM_400000_NS6detail17trampoline_kernelINS0_14default_configENS1_25partition_config_selectorILNS1_17partition_subalgoE5EiNS0_10empty_typeEbEEZZNS1_14partition_implILS5_5ELb0ES3_mN6thrust23THRUST_200600_302600_NS6detail15normal_iteratorINSA_10device_ptrIiEEEEPS6_NSA_18transform_iteratorINSB_9not_fun_tI7is_trueIiEEENSC_INSD_IbEEEENSA_11use_defaultESO_EENS0_5tupleIJSF_S6_EEENSQ_IJSG_SG_EEES6_PlJS6_EEE10hipError_tPvRmT3_T4_T5_T6_T7_T9_mT8_P12ihipStream_tbDpT10_ENKUlT_T0_E_clISt17integral_constantIbLb1EES1C_IbLb0EEEEDaS18_S19_EUlS18_E_NS1_11comp_targetILNS1_3genE2ELNS1_11target_archE906ELNS1_3gpuE6ELNS1_3repE0EEENS1_30default_config_static_selectorELNS0_4arch9wavefront6targetE0EEEvT1_
    .private_segment_fixed_size: 0
    .sgpr_count:     0
    .sgpr_spill_count: 0
    .symbol:         _ZN7rocprim17ROCPRIM_400000_NS6detail17trampoline_kernelINS0_14default_configENS1_25partition_config_selectorILNS1_17partition_subalgoE5EiNS0_10empty_typeEbEEZZNS1_14partition_implILS5_5ELb0ES3_mN6thrust23THRUST_200600_302600_NS6detail15normal_iteratorINSA_10device_ptrIiEEEEPS6_NSA_18transform_iteratorINSB_9not_fun_tI7is_trueIiEEENSC_INSD_IbEEEENSA_11use_defaultESO_EENS0_5tupleIJSF_S6_EEENSQ_IJSG_SG_EEES6_PlJS6_EEE10hipError_tPvRmT3_T4_T5_T6_T7_T9_mT8_P12ihipStream_tbDpT10_ENKUlT_T0_E_clISt17integral_constantIbLb1EES1C_IbLb0EEEEDaS18_S19_EUlS18_E_NS1_11comp_targetILNS1_3genE2ELNS1_11target_archE906ELNS1_3gpuE6ELNS1_3repE0EEENS1_30default_config_static_selectorELNS0_4arch9wavefront6targetE0EEEvT1_.kd
    .uniform_work_group_size: 1
    .uses_dynamic_stack: false
    .vgpr_count:     0
    .vgpr_spill_count: 0
    .wavefront_size: 32
    .workgroup_processor_mode: 1
  - .args:
      - .offset:         0
        .size:           120
        .value_kind:     by_value
    .group_segment_fixed_size: 0
    .kernarg_segment_align: 8
    .kernarg_segment_size: 120
    .language:       OpenCL C
    .language_version:
      - 2
      - 0
    .max_flat_workgroup_size: 192
    .name:           _ZN7rocprim17ROCPRIM_400000_NS6detail17trampoline_kernelINS0_14default_configENS1_25partition_config_selectorILNS1_17partition_subalgoE5EiNS0_10empty_typeEbEEZZNS1_14partition_implILS5_5ELb0ES3_mN6thrust23THRUST_200600_302600_NS6detail15normal_iteratorINSA_10device_ptrIiEEEEPS6_NSA_18transform_iteratorINSB_9not_fun_tI7is_trueIiEEENSC_INSD_IbEEEENSA_11use_defaultESO_EENS0_5tupleIJSF_S6_EEENSQ_IJSG_SG_EEES6_PlJS6_EEE10hipError_tPvRmT3_T4_T5_T6_T7_T9_mT8_P12ihipStream_tbDpT10_ENKUlT_T0_E_clISt17integral_constantIbLb1EES1C_IbLb0EEEEDaS18_S19_EUlS18_E_NS1_11comp_targetILNS1_3genE10ELNS1_11target_archE1200ELNS1_3gpuE4ELNS1_3repE0EEENS1_30default_config_static_selectorELNS0_4arch9wavefront6targetE0EEEvT1_
    .private_segment_fixed_size: 0
    .sgpr_count:     0
    .sgpr_spill_count: 0
    .symbol:         _ZN7rocprim17ROCPRIM_400000_NS6detail17trampoline_kernelINS0_14default_configENS1_25partition_config_selectorILNS1_17partition_subalgoE5EiNS0_10empty_typeEbEEZZNS1_14partition_implILS5_5ELb0ES3_mN6thrust23THRUST_200600_302600_NS6detail15normal_iteratorINSA_10device_ptrIiEEEEPS6_NSA_18transform_iteratorINSB_9not_fun_tI7is_trueIiEEENSC_INSD_IbEEEENSA_11use_defaultESO_EENS0_5tupleIJSF_S6_EEENSQ_IJSG_SG_EEES6_PlJS6_EEE10hipError_tPvRmT3_T4_T5_T6_T7_T9_mT8_P12ihipStream_tbDpT10_ENKUlT_T0_E_clISt17integral_constantIbLb1EES1C_IbLb0EEEEDaS18_S19_EUlS18_E_NS1_11comp_targetILNS1_3genE10ELNS1_11target_archE1200ELNS1_3gpuE4ELNS1_3repE0EEENS1_30default_config_static_selectorELNS0_4arch9wavefront6targetE0EEEvT1_.kd
    .uniform_work_group_size: 1
    .uses_dynamic_stack: false
    .vgpr_count:     0
    .vgpr_spill_count: 0
    .wavefront_size: 32
    .workgroup_processor_mode: 1
  - .args:
      - .offset:         0
        .size:           120
        .value_kind:     by_value
    .group_segment_fixed_size: 0
    .kernarg_segment_align: 8
    .kernarg_segment_size: 120
    .language:       OpenCL C
    .language_version:
      - 2
      - 0
    .max_flat_workgroup_size: 128
    .name:           _ZN7rocprim17ROCPRIM_400000_NS6detail17trampoline_kernelINS0_14default_configENS1_25partition_config_selectorILNS1_17partition_subalgoE5EiNS0_10empty_typeEbEEZZNS1_14partition_implILS5_5ELb0ES3_mN6thrust23THRUST_200600_302600_NS6detail15normal_iteratorINSA_10device_ptrIiEEEEPS6_NSA_18transform_iteratorINSB_9not_fun_tI7is_trueIiEEENSC_INSD_IbEEEENSA_11use_defaultESO_EENS0_5tupleIJSF_S6_EEENSQ_IJSG_SG_EEES6_PlJS6_EEE10hipError_tPvRmT3_T4_T5_T6_T7_T9_mT8_P12ihipStream_tbDpT10_ENKUlT_T0_E_clISt17integral_constantIbLb1EES1C_IbLb0EEEEDaS18_S19_EUlS18_E_NS1_11comp_targetILNS1_3genE9ELNS1_11target_archE1100ELNS1_3gpuE3ELNS1_3repE0EEENS1_30default_config_static_selectorELNS0_4arch9wavefront6targetE0EEEvT1_
    .private_segment_fixed_size: 0
    .sgpr_count:     0
    .sgpr_spill_count: 0
    .symbol:         _ZN7rocprim17ROCPRIM_400000_NS6detail17trampoline_kernelINS0_14default_configENS1_25partition_config_selectorILNS1_17partition_subalgoE5EiNS0_10empty_typeEbEEZZNS1_14partition_implILS5_5ELb0ES3_mN6thrust23THRUST_200600_302600_NS6detail15normal_iteratorINSA_10device_ptrIiEEEEPS6_NSA_18transform_iteratorINSB_9not_fun_tI7is_trueIiEEENSC_INSD_IbEEEENSA_11use_defaultESO_EENS0_5tupleIJSF_S6_EEENSQ_IJSG_SG_EEES6_PlJS6_EEE10hipError_tPvRmT3_T4_T5_T6_T7_T9_mT8_P12ihipStream_tbDpT10_ENKUlT_T0_E_clISt17integral_constantIbLb1EES1C_IbLb0EEEEDaS18_S19_EUlS18_E_NS1_11comp_targetILNS1_3genE9ELNS1_11target_archE1100ELNS1_3gpuE3ELNS1_3repE0EEENS1_30default_config_static_selectorELNS0_4arch9wavefront6targetE0EEEvT1_.kd
    .uniform_work_group_size: 1
    .uses_dynamic_stack: false
    .vgpr_count:     0
    .vgpr_spill_count: 0
    .wavefront_size: 32
    .workgroup_processor_mode: 1
  - .args:
      - .offset:         0
        .size:           120
        .value_kind:     by_value
    .group_segment_fixed_size: 0
    .kernarg_segment_align: 8
    .kernarg_segment_size: 120
    .language:       OpenCL C
    .language_version:
      - 2
      - 0
    .max_flat_workgroup_size: 512
    .name:           _ZN7rocprim17ROCPRIM_400000_NS6detail17trampoline_kernelINS0_14default_configENS1_25partition_config_selectorILNS1_17partition_subalgoE5EiNS0_10empty_typeEbEEZZNS1_14partition_implILS5_5ELb0ES3_mN6thrust23THRUST_200600_302600_NS6detail15normal_iteratorINSA_10device_ptrIiEEEEPS6_NSA_18transform_iteratorINSB_9not_fun_tI7is_trueIiEEENSC_INSD_IbEEEENSA_11use_defaultESO_EENS0_5tupleIJSF_S6_EEENSQ_IJSG_SG_EEES6_PlJS6_EEE10hipError_tPvRmT3_T4_T5_T6_T7_T9_mT8_P12ihipStream_tbDpT10_ENKUlT_T0_E_clISt17integral_constantIbLb1EES1C_IbLb0EEEEDaS18_S19_EUlS18_E_NS1_11comp_targetILNS1_3genE8ELNS1_11target_archE1030ELNS1_3gpuE2ELNS1_3repE0EEENS1_30default_config_static_selectorELNS0_4arch9wavefront6targetE0EEEvT1_
    .private_segment_fixed_size: 0
    .sgpr_count:     0
    .sgpr_spill_count: 0
    .symbol:         _ZN7rocprim17ROCPRIM_400000_NS6detail17trampoline_kernelINS0_14default_configENS1_25partition_config_selectorILNS1_17partition_subalgoE5EiNS0_10empty_typeEbEEZZNS1_14partition_implILS5_5ELb0ES3_mN6thrust23THRUST_200600_302600_NS6detail15normal_iteratorINSA_10device_ptrIiEEEEPS6_NSA_18transform_iteratorINSB_9not_fun_tI7is_trueIiEEENSC_INSD_IbEEEENSA_11use_defaultESO_EENS0_5tupleIJSF_S6_EEENSQ_IJSG_SG_EEES6_PlJS6_EEE10hipError_tPvRmT3_T4_T5_T6_T7_T9_mT8_P12ihipStream_tbDpT10_ENKUlT_T0_E_clISt17integral_constantIbLb1EES1C_IbLb0EEEEDaS18_S19_EUlS18_E_NS1_11comp_targetILNS1_3genE8ELNS1_11target_archE1030ELNS1_3gpuE2ELNS1_3repE0EEENS1_30default_config_static_selectorELNS0_4arch9wavefront6targetE0EEEvT1_.kd
    .uniform_work_group_size: 1
    .uses_dynamic_stack: false
    .vgpr_count:     0
    .vgpr_spill_count: 0
    .wavefront_size: 32
    .workgroup_processor_mode: 1
  - .args:
      - .offset:         0
        .size:           136
        .value_kind:     by_value
    .group_segment_fixed_size: 0
    .kernarg_segment_align: 8
    .kernarg_segment_size: 136
    .language:       OpenCL C
    .language_version:
      - 2
      - 0
    .max_flat_workgroup_size: 512
    .name:           _ZN7rocprim17ROCPRIM_400000_NS6detail17trampoline_kernelINS0_14default_configENS1_25partition_config_selectorILNS1_17partition_subalgoE5EiNS0_10empty_typeEbEEZZNS1_14partition_implILS5_5ELb0ES3_mN6thrust23THRUST_200600_302600_NS6detail15normal_iteratorINSA_10device_ptrIiEEEEPS6_NSA_18transform_iteratorINSB_9not_fun_tI7is_trueIiEEENSC_INSD_IbEEEENSA_11use_defaultESO_EENS0_5tupleIJSF_S6_EEENSQ_IJSG_SG_EEES6_PlJS6_EEE10hipError_tPvRmT3_T4_T5_T6_T7_T9_mT8_P12ihipStream_tbDpT10_ENKUlT_T0_E_clISt17integral_constantIbLb0EES1C_IbLb1EEEEDaS18_S19_EUlS18_E_NS1_11comp_targetILNS1_3genE0ELNS1_11target_archE4294967295ELNS1_3gpuE0ELNS1_3repE0EEENS1_30default_config_static_selectorELNS0_4arch9wavefront6targetE0EEEvT1_
    .private_segment_fixed_size: 0
    .sgpr_count:     0
    .sgpr_spill_count: 0
    .symbol:         _ZN7rocprim17ROCPRIM_400000_NS6detail17trampoline_kernelINS0_14default_configENS1_25partition_config_selectorILNS1_17partition_subalgoE5EiNS0_10empty_typeEbEEZZNS1_14partition_implILS5_5ELb0ES3_mN6thrust23THRUST_200600_302600_NS6detail15normal_iteratorINSA_10device_ptrIiEEEEPS6_NSA_18transform_iteratorINSB_9not_fun_tI7is_trueIiEEENSC_INSD_IbEEEENSA_11use_defaultESO_EENS0_5tupleIJSF_S6_EEENSQ_IJSG_SG_EEES6_PlJS6_EEE10hipError_tPvRmT3_T4_T5_T6_T7_T9_mT8_P12ihipStream_tbDpT10_ENKUlT_T0_E_clISt17integral_constantIbLb0EES1C_IbLb1EEEEDaS18_S19_EUlS18_E_NS1_11comp_targetILNS1_3genE0ELNS1_11target_archE4294967295ELNS1_3gpuE0ELNS1_3repE0EEENS1_30default_config_static_selectorELNS0_4arch9wavefront6targetE0EEEvT1_.kd
    .uniform_work_group_size: 1
    .uses_dynamic_stack: false
    .vgpr_count:     0
    .vgpr_spill_count: 0
    .wavefront_size: 32
    .workgroup_processor_mode: 1
  - .args:
      - .offset:         0
        .size:           136
        .value_kind:     by_value
    .group_segment_fixed_size: 0
    .kernarg_segment_align: 8
    .kernarg_segment_size: 136
    .language:       OpenCL C
    .language_version:
      - 2
      - 0
    .max_flat_workgroup_size: 512
    .name:           _ZN7rocprim17ROCPRIM_400000_NS6detail17trampoline_kernelINS0_14default_configENS1_25partition_config_selectorILNS1_17partition_subalgoE5EiNS0_10empty_typeEbEEZZNS1_14partition_implILS5_5ELb0ES3_mN6thrust23THRUST_200600_302600_NS6detail15normal_iteratorINSA_10device_ptrIiEEEEPS6_NSA_18transform_iteratorINSB_9not_fun_tI7is_trueIiEEENSC_INSD_IbEEEENSA_11use_defaultESO_EENS0_5tupleIJSF_S6_EEENSQ_IJSG_SG_EEES6_PlJS6_EEE10hipError_tPvRmT3_T4_T5_T6_T7_T9_mT8_P12ihipStream_tbDpT10_ENKUlT_T0_E_clISt17integral_constantIbLb0EES1C_IbLb1EEEEDaS18_S19_EUlS18_E_NS1_11comp_targetILNS1_3genE5ELNS1_11target_archE942ELNS1_3gpuE9ELNS1_3repE0EEENS1_30default_config_static_selectorELNS0_4arch9wavefront6targetE0EEEvT1_
    .private_segment_fixed_size: 0
    .sgpr_count:     0
    .sgpr_spill_count: 0
    .symbol:         _ZN7rocprim17ROCPRIM_400000_NS6detail17trampoline_kernelINS0_14default_configENS1_25partition_config_selectorILNS1_17partition_subalgoE5EiNS0_10empty_typeEbEEZZNS1_14partition_implILS5_5ELb0ES3_mN6thrust23THRUST_200600_302600_NS6detail15normal_iteratorINSA_10device_ptrIiEEEEPS6_NSA_18transform_iteratorINSB_9not_fun_tI7is_trueIiEEENSC_INSD_IbEEEENSA_11use_defaultESO_EENS0_5tupleIJSF_S6_EEENSQ_IJSG_SG_EEES6_PlJS6_EEE10hipError_tPvRmT3_T4_T5_T6_T7_T9_mT8_P12ihipStream_tbDpT10_ENKUlT_T0_E_clISt17integral_constantIbLb0EES1C_IbLb1EEEEDaS18_S19_EUlS18_E_NS1_11comp_targetILNS1_3genE5ELNS1_11target_archE942ELNS1_3gpuE9ELNS1_3repE0EEENS1_30default_config_static_selectorELNS0_4arch9wavefront6targetE0EEEvT1_.kd
    .uniform_work_group_size: 1
    .uses_dynamic_stack: false
    .vgpr_count:     0
    .vgpr_spill_count: 0
    .wavefront_size: 32
    .workgroup_processor_mode: 1
  - .args:
      - .offset:         0
        .size:           136
        .value_kind:     by_value
    .group_segment_fixed_size: 0
    .kernarg_segment_align: 8
    .kernarg_segment_size: 136
    .language:       OpenCL C
    .language_version:
      - 2
      - 0
    .max_flat_workgroup_size: 256
    .name:           _ZN7rocprim17ROCPRIM_400000_NS6detail17trampoline_kernelINS0_14default_configENS1_25partition_config_selectorILNS1_17partition_subalgoE5EiNS0_10empty_typeEbEEZZNS1_14partition_implILS5_5ELb0ES3_mN6thrust23THRUST_200600_302600_NS6detail15normal_iteratorINSA_10device_ptrIiEEEEPS6_NSA_18transform_iteratorINSB_9not_fun_tI7is_trueIiEEENSC_INSD_IbEEEENSA_11use_defaultESO_EENS0_5tupleIJSF_S6_EEENSQ_IJSG_SG_EEES6_PlJS6_EEE10hipError_tPvRmT3_T4_T5_T6_T7_T9_mT8_P12ihipStream_tbDpT10_ENKUlT_T0_E_clISt17integral_constantIbLb0EES1C_IbLb1EEEEDaS18_S19_EUlS18_E_NS1_11comp_targetILNS1_3genE4ELNS1_11target_archE910ELNS1_3gpuE8ELNS1_3repE0EEENS1_30default_config_static_selectorELNS0_4arch9wavefront6targetE0EEEvT1_
    .private_segment_fixed_size: 0
    .sgpr_count:     0
    .sgpr_spill_count: 0
    .symbol:         _ZN7rocprim17ROCPRIM_400000_NS6detail17trampoline_kernelINS0_14default_configENS1_25partition_config_selectorILNS1_17partition_subalgoE5EiNS0_10empty_typeEbEEZZNS1_14partition_implILS5_5ELb0ES3_mN6thrust23THRUST_200600_302600_NS6detail15normal_iteratorINSA_10device_ptrIiEEEEPS6_NSA_18transform_iteratorINSB_9not_fun_tI7is_trueIiEEENSC_INSD_IbEEEENSA_11use_defaultESO_EENS0_5tupleIJSF_S6_EEENSQ_IJSG_SG_EEES6_PlJS6_EEE10hipError_tPvRmT3_T4_T5_T6_T7_T9_mT8_P12ihipStream_tbDpT10_ENKUlT_T0_E_clISt17integral_constantIbLb0EES1C_IbLb1EEEEDaS18_S19_EUlS18_E_NS1_11comp_targetILNS1_3genE4ELNS1_11target_archE910ELNS1_3gpuE8ELNS1_3repE0EEENS1_30default_config_static_selectorELNS0_4arch9wavefront6targetE0EEEvT1_.kd
    .uniform_work_group_size: 1
    .uses_dynamic_stack: false
    .vgpr_count:     0
    .vgpr_spill_count: 0
    .wavefront_size: 32
    .workgroup_processor_mode: 1
  - .args:
      - .offset:         0
        .size:           136
        .value_kind:     by_value
    .group_segment_fixed_size: 0
    .kernarg_segment_align: 8
    .kernarg_segment_size: 136
    .language:       OpenCL C
    .language_version:
      - 2
      - 0
    .max_flat_workgroup_size: 512
    .name:           _ZN7rocprim17ROCPRIM_400000_NS6detail17trampoline_kernelINS0_14default_configENS1_25partition_config_selectorILNS1_17partition_subalgoE5EiNS0_10empty_typeEbEEZZNS1_14partition_implILS5_5ELb0ES3_mN6thrust23THRUST_200600_302600_NS6detail15normal_iteratorINSA_10device_ptrIiEEEEPS6_NSA_18transform_iteratorINSB_9not_fun_tI7is_trueIiEEENSC_INSD_IbEEEENSA_11use_defaultESO_EENS0_5tupleIJSF_S6_EEENSQ_IJSG_SG_EEES6_PlJS6_EEE10hipError_tPvRmT3_T4_T5_T6_T7_T9_mT8_P12ihipStream_tbDpT10_ENKUlT_T0_E_clISt17integral_constantIbLb0EES1C_IbLb1EEEEDaS18_S19_EUlS18_E_NS1_11comp_targetILNS1_3genE3ELNS1_11target_archE908ELNS1_3gpuE7ELNS1_3repE0EEENS1_30default_config_static_selectorELNS0_4arch9wavefront6targetE0EEEvT1_
    .private_segment_fixed_size: 0
    .sgpr_count:     0
    .sgpr_spill_count: 0
    .symbol:         _ZN7rocprim17ROCPRIM_400000_NS6detail17trampoline_kernelINS0_14default_configENS1_25partition_config_selectorILNS1_17partition_subalgoE5EiNS0_10empty_typeEbEEZZNS1_14partition_implILS5_5ELb0ES3_mN6thrust23THRUST_200600_302600_NS6detail15normal_iteratorINSA_10device_ptrIiEEEEPS6_NSA_18transform_iteratorINSB_9not_fun_tI7is_trueIiEEENSC_INSD_IbEEEENSA_11use_defaultESO_EENS0_5tupleIJSF_S6_EEENSQ_IJSG_SG_EEES6_PlJS6_EEE10hipError_tPvRmT3_T4_T5_T6_T7_T9_mT8_P12ihipStream_tbDpT10_ENKUlT_T0_E_clISt17integral_constantIbLb0EES1C_IbLb1EEEEDaS18_S19_EUlS18_E_NS1_11comp_targetILNS1_3genE3ELNS1_11target_archE908ELNS1_3gpuE7ELNS1_3repE0EEENS1_30default_config_static_selectorELNS0_4arch9wavefront6targetE0EEEvT1_.kd
    .uniform_work_group_size: 1
    .uses_dynamic_stack: false
    .vgpr_count:     0
    .vgpr_spill_count: 0
    .wavefront_size: 32
    .workgroup_processor_mode: 1
  - .args:
      - .offset:         0
        .size:           136
        .value_kind:     by_value
    .group_segment_fixed_size: 0
    .kernarg_segment_align: 8
    .kernarg_segment_size: 136
    .language:       OpenCL C
    .language_version:
      - 2
      - 0
    .max_flat_workgroup_size: 256
    .name:           _ZN7rocprim17ROCPRIM_400000_NS6detail17trampoline_kernelINS0_14default_configENS1_25partition_config_selectorILNS1_17partition_subalgoE5EiNS0_10empty_typeEbEEZZNS1_14partition_implILS5_5ELb0ES3_mN6thrust23THRUST_200600_302600_NS6detail15normal_iteratorINSA_10device_ptrIiEEEEPS6_NSA_18transform_iteratorINSB_9not_fun_tI7is_trueIiEEENSC_INSD_IbEEEENSA_11use_defaultESO_EENS0_5tupleIJSF_S6_EEENSQ_IJSG_SG_EEES6_PlJS6_EEE10hipError_tPvRmT3_T4_T5_T6_T7_T9_mT8_P12ihipStream_tbDpT10_ENKUlT_T0_E_clISt17integral_constantIbLb0EES1C_IbLb1EEEEDaS18_S19_EUlS18_E_NS1_11comp_targetILNS1_3genE2ELNS1_11target_archE906ELNS1_3gpuE6ELNS1_3repE0EEENS1_30default_config_static_selectorELNS0_4arch9wavefront6targetE0EEEvT1_
    .private_segment_fixed_size: 0
    .sgpr_count:     0
    .sgpr_spill_count: 0
    .symbol:         _ZN7rocprim17ROCPRIM_400000_NS6detail17trampoline_kernelINS0_14default_configENS1_25partition_config_selectorILNS1_17partition_subalgoE5EiNS0_10empty_typeEbEEZZNS1_14partition_implILS5_5ELb0ES3_mN6thrust23THRUST_200600_302600_NS6detail15normal_iteratorINSA_10device_ptrIiEEEEPS6_NSA_18transform_iteratorINSB_9not_fun_tI7is_trueIiEEENSC_INSD_IbEEEENSA_11use_defaultESO_EENS0_5tupleIJSF_S6_EEENSQ_IJSG_SG_EEES6_PlJS6_EEE10hipError_tPvRmT3_T4_T5_T6_T7_T9_mT8_P12ihipStream_tbDpT10_ENKUlT_T0_E_clISt17integral_constantIbLb0EES1C_IbLb1EEEEDaS18_S19_EUlS18_E_NS1_11comp_targetILNS1_3genE2ELNS1_11target_archE906ELNS1_3gpuE6ELNS1_3repE0EEENS1_30default_config_static_selectorELNS0_4arch9wavefront6targetE0EEEvT1_.kd
    .uniform_work_group_size: 1
    .uses_dynamic_stack: false
    .vgpr_count:     0
    .vgpr_spill_count: 0
    .wavefront_size: 32
    .workgroup_processor_mode: 1
  - .args:
      - .offset:         0
        .size:           136
        .value_kind:     by_value
    .group_segment_fixed_size: 6352
    .kernarg_segment_align: 8
    .kernarg_segment_size: 136
    .language:       OpenCL C
    .language_version:
      - 2
      - 0
    .max_flat_workgroup_size: 192
    .name:           _ZN7rocprim17ROCPRIM_400000_NS6detail17trampoline_kernelINS0_14default_configENS1_25partition_config_selectorILNS1_17partition_subalgoE5EiNS0_10empty_typeEbEEZZNS1_14partition_implILS5_5ELb0ES3_mN6thrust23THRUST_200600_302600_NS6detail15normal_iteratorINSA_10device_ptrIiEEEEPS6_NSA_18transform_iteratorINSB_9not_fun_tI7is_trueIiEEENSC_INSD_IbEEEENSA_11use_defaultESO_EENS0_5tupleIJSF_S6_EEENSQ_IJSG_SG_EEES6_PlJS6_EEE10hipError_tPvRmT3_T4_T5_T6_T7_T9_mT8_P12ihipStream_tbDpT10_ENKUlT_T0_E_clISt17integral_constantIbLb0EES1C_IbLb1EEEEDaS18_S19_EUlS18_E_NS1_11comp_targetILNS1_3genE10ELNS1_11target_archE1200ELNS1_3gpuE4ELNS1_3repE0EEENS1_30default_config_static_selectorELNS0_4arch9wavefront6targetE0EEEvT1_
    .private_segment_fixed_size: 0
    .sgpr_count:     26
    .sgpr_spill_count: 0
    .symbol:         _ZN7rocprim17ROCPRIM_400000_NS6detail17trampoline_kernelINS0_14default_configENS1_25partition_config_selectorILNS1_17partition_subalgoE5EiNS0_10empty_typeEbEEZZNS1_14partition_implILS5_5ELb0ES3_mN6thrust23THRUST_200600_302600_NS6detail15normal_iteratorINSA_10device_ptrIiEEEEPS6_NSA_18transform_iteratorINSB_9not_fun_tI7is_trueIiEEENSC_INSD_IbEEEENSA_11use_defaultESO_EENS0_5tupleIJSF_S6_EEENSQ_IJSG_SG_EEES6_PlJS6_EEE10hipError_tPvRmT3_T4_T5_T6_T7_T9_mT8_P12ihipStream_tbDpT10_ENKUlT_T0_E_clISt17integral_constantIbLb0EES1C_IbLb1EEEEDaS18_S19_EUlS18_E_NS1_11comp_targetILNS1_3genE10ELNS1_11target_archE1200ELNS1_3gpuE4ELNS1_3repE0EEENS1_30default_config_static_selectorELNS0_4arch9wavefront6targetE0EEEvT1_.kd
    .uniform_work_group_size: 1
    .uses_dynamic_stack: false
    .vgpr_count:     54
    .vgpr_spill_count: 0
    .wavefront_size: 32
    .workgroup_processor_mode: 1
  - .args:
      - .offset:         0
        .size:           136
        .value_kind:     by_value
    .group_segment_fixed_size: 0
    .kernarg_segment_align: 8
    .kernarg_segment_size: 136
    .language:       OpenCL C
    .language_version:
      - 2
      - 0
    .max_flat_workgroup_size: 128
    .name:           _ZN7rocprim17ROCPRIM_400000_NS6detail17trampoline_kernelINS0_14default_configENS1_25partition_config_selectorILNS1_17partition_subalgoE5EiNS0_10empty_typeEbEEZZNS1_14partition_implILS5_5ELb0ES3_mN6thrust23THRUST_200600_302600_NS6detail15normal_iteratorINSA_10device_ptrIiEEEEPS6_NSA_18transform_iteratorINSB_9not_fun_tI7is_trueIiEEENSC_INSD_IbEEEENSA_11use_defaultESO_EENS0_5tupleIJSF_S6_EEENSQ_IJSG_SG_EEES6_PlJS6_EEE10hipError_tPvRmT3_T4_T5_T6_T7_T9_mT8_P12ihipStream_tbDpT10_ENKUlT_T0_E_clISt17integral_constantIbLb0EES1C_IbLb1EEEEDaS18_S19_EUlS18_E_NS1_11comp_targetILNS1_3genE9ELNS1_11target_archE1100ELNS1_3gpuE3ELNS1_3repE0EEENS1_30default_config_static_selectorELNS0_4arch9wavefront6targetE0EEEvT1_
    .private_segment_fixed_size: 0
    .sgpr_count:     0
    .sgpr_spill_count: 0
    .symbol:         _ZN7rocprim17ROCPRIM_400000_NS6detail17trampoline_kernelINS0_14default_configENS1_25partition_config_selectorILNS1_17partition_subalgoE5EiNS0_10empty_typeEbEEZZNS1_14partition_implILS5_5ELb0ES3_mN6thrust23THRUST_200600_302600_NS6detail15normal_iteratorINSA_10device_ptrIiEEEEPS6_NSA_18transform_iteratorINSB_9not_fun_tI7is_trueIiEEENSC_INSD_IbEEEENSA_11use_defaultESO_EENS0_5tupleIJSF_S6_EEENSQ_IJSG_SG_EEES6_PlJS6_EEE10hipError_tPvRmT3_T4_T5_T6_T7_T9_mT8_P12ihipStream_tbDpT10_ENKUlT_T0_E_clISt17integral_constantIbLb0EES1C_IbLb1EEEEDaS18_S19_EUlS18_E_NS1_11comp_targetILNS1_3genE9ELNS1_11target_archE1100ELNS1_3gpuE3ELNS1_3repE0EEENS1_30default_config_static_selectorELNS0_4arch9wavefront6targetE0EEEvT1_.kd
    .uniform_work_group_size: 1
    .uses_dynamic_stack: false
    .vgpr_count:     0
    .vgpr_spill_count: 0
    .wavefront_size: 32
    .workgroup_processor_mode: 1
  - .args:
      - .offset:         0
        .size:           136
        .value_kind:     by_value
    .group_segment_fixed_size: 0
    .kernarg_segment_align: 8
    .kernarg_segment_size: 136
    .language:       OpenCL C
    .language_version:
      - 2
      - 0
    .max_flat_workgroup_size: 512
    .name:           _ZN7rocprim17ROCPRIM_400000_NS6detail17trampoline_kernelINS0_14default_configENS1_25partition_config_selectorILNS1_17partition_subalgoE5EiNS0_10empty_typeEbEEZZNS1_14partition_implILS5_5ELb0ES3_mN6thrust23THRUST_200600_302600_NS6detail15normal_iteratorINSA_10device_ptrIiEEEEPS6_NSA_18transform_iteratorINSB_9not_fun_tI7is_trueIiEEENSC_INSD_IbEEEENSA_11use_defaultESO_EENS0_5tupleIJSF_S6_EEENSQ_IJSG_SG_EEES6_PlJS6_EEE10hipError_tPvRmT3_T4_T5_T6_T7_T9_mT8_P12ihipStream_tbDpT10_ENKUlT_T0_E_clISt17integral_constantIbLb0EES1C_IbLb1EEEEDaS18_S19_EUlS18_E_NS1_11comp_targetILNS1_3genE8ELNS1_11target_archE1030ELNS1_3gpuE2ELNS1_3repE0EEENS1_30default_config_static_selectorELNS0_4arch9wavefront6targetE0EEEvT1_
    .private_segment_fixed_size: 0
    .sgpr_count:     0
    .sgpr_spill_count: 0
    .symbol:         _ZN7rocprim17ROCPRIM_400000_NS6detail17trampoline_kernelINS0_14default_configENS1_25partition_config_selectorILNS1_17partition_subalgoE5EiNS0_10empty_typeEbEEZZNS1_14partition_implILS5_5ELb0ES3_mN6thrust23THRUST_200600_302600_NS6detail15normal_iteratorINSA_10device_ptrIiEEEEPS6_NSA_18transform_iteratorINSB_9not_fun_tI7is_trueIiEEENSC_INSD_IbEEEENSA_11use_defaultESO_EENS0_5tupleIJSF_S6_EEENSQ_IJSG_SG_EEES6_PlJS6_EEE10hipError_tPvRmT3_T4_T5_T6_T7_T9_mT8_P12ihipStream_tbDpT10_ENKUlT_T0_E_clISt17integral_constantIbLb0EES1C_IbLb1EEEEDaS18_S19_EUlS18_E_NS1_11comp_targetILNS1_3genE8ELNS1_11target_archE1030ELNS1_3gpuE2ELNS1_3repE0EEENS1_30default_config_static_selectorELNS0_4arch9wavefront6targetE0EEEvT1_.kd
    .uniform_work_group_size: 1
    .uses_dynamic_stack: false
    .vgpr_count:     0
    .vgpr_spill_count: 0
    .wavefront_size: 32
    .workgroup_processor_mode: 1
  - .args:
      - .offset:         0
        .size:           120
        .value_kind:     by_value
    .group_segment_fixed_size: 0
    .kernarg_segment_align: 8
    .kernarg_segment_size: 120
    .language:       OpenCL C
    .language_version:
      - 2
      - 0
    .max_flat_workgroup_size: 256
    .name:           _ZN7rocprim17ROCPRIM_400000_NS6detail17trampoline_kernelINS0_14default_configENS1_25partition_config_selectorILNS1_17partition_subalgoE5EsNS0_10empty_typeEbEEZZNS1_14partition_implILS5_5ELb0ES3_mN6thrust23THRUST_200600_302600_NS6detail15normal_iteratorINSA_10device_ptrIsEEEEPS6_NSA_18transform_iteratorINSB_9not_fun_tI7is_trueIsEEENSC_INSD_IbEEEENSA_11use_defaultESO_EENS0_5tupleIJSF_S6_EEENSQ_IJSG_SG_EEES6_PlJS6_EEE10hipError_tPvRmT3_T4_T5_T6_T7_T9_mT8_P12ihipStream_tbDpT10_ENKUlT_T0_E_clISt17integral_constantIbLb0EES1D_EEDaS18_S19_EUlS18_E_NS1_11comp_targetILNS1_3genE0ELNS1_11target_archE4294967295ELNS1_3gpuE0ELNS1_3repE0EEENS1_30default_config_static_selectorELNS0_4arch9wavefront6targetE0EEEvT1_
    .private_segment_fixed_size: 0
    .sgpr_count:     0
    .sgpr_spill_count: 0
    .symbol:         _ZN7rocprim17ROCPRIM_400000_NS6detail17trampoline_kernelINS0_14default_configENS1_25partition_config_selectorILNS1_17partition_subalgoE5EsNS0_10empty_typeEbEEZZNS1_14partition_implILS5_5ELb0ES3_mN6thrust23THRUST_200600_302600_NS6detail15normal_iteratorINSA_10device_ptrIsEEEEPS6_NSA_18transform_iteratorINSB_9not_fun_tI7is_trueIsEEENSC_INSD_IbEEEENSA_11use_defaultESO_EENS0_5tupleIJSF_S6_EEENSQ_IJSG_SG_EEES6_PlJS6_EEE10hipError_tPvRmT3_T4_T5_T6_T7_T9_mT8_P12ihipStream_tbDpT10_ENKUlT_T0_E_clISt17integral_constantIbLb0EES1D_EEDaS18_S19_EUlS18_E_NS1_11comp_targetILNS1_3genE0ELNS1_11target_archE4294967295ELNS1_3gpuE0ELNS1_3repE0EEENS1_30default_config_static_selectorELNS0_4arch9wavefront6targetE0EEEvT1_.kd
    .uniform_work_group_size: 1
    .uses_dynamic_stack: false
    .vgpr_count:     0
    .vgpr_spill_count: 0
    .wavefront_size: 32
    .workgroup_processor_mode: 1
  - .args:
      - .offset:         0
        .size:           120
        .value_kind:     by_value
    .group_segment_fixed_size: 0
    .kernarg_segment_align: 8
    .kernarg_segment_size: 120
    .language:       OpenCL C
    .language_version:
      - 2
      - 0
    .max_flat_workgroup_size: 512
    .name:           _ZN7rocprim17ROCPRIM_400000_NS6detail17trampoline_kernelINS0_14default_configENS1_25partition_config_selectorILNS1_17partition_subalgoE5EsNS0_10empty_typeEbEEZZNS1_14partition_implILS5_5ELb0ES3_mN6thrust23THRUST_200600_302600_NS6detail15normal_iteratorINSA_10device_ptrIsEEEEPS6_NSA_18transform_iteratorINSB_9not_fun_tI7is_trueIsEEENSC_INSD_IbEEEENSA_11use_defaultESO_EENS0_5tupleIJSF_S6_EEENSQ_IJSG_SG_EEES6_PlJS6_EEE10hipError_tPvRmT3_T4_T5_T6_T7_T9_mT8_P12ihipStream_tbDpT10_ENKUlT_T0_E_clISt17integral_constantIbLb0EES1D_EEDaS18_S19_EUlS18_E_NS1_11comp_targetILNS1_3genE5ELNS1_11target_archE942ELNS1_3gpuE9ELNS1_3repE0EEENS1_30default_config_static_selectorELNS0_4arch9wavefront6targetE0EEEvT1_
    .private_segment_fixed_size: 0
    .sgpr_count:     0
    .sgpr_spill_count: 0
    .symbol:         _ZN7rocprim17ROCPRIM_400000_NS6detail17trampoline_kernelINS0_14default_configENS1_25partition_config_selectorILNS1_17partition_subalgoE5EsNS0_10empty_typeEbEEZZNS1_14partition_implILS5_5ELb0ES3_mN6thrust23THRUST_200600_302600_NS6detail15normal_iteratorINSA_10device_ptrIsEEEEPS6_NSA_18transform_iteratorINSB_9not_fun_tI7is_trueIsEEENSC_INSD_IbEEEENSA_11use_defaultESO_EENS0_5tupleIJSF_S6_EEENSQ_IJSG_SG_EEES6_PlJS6_EEE10hipError_tPvRmT3_T4_T5_T6_T7_T9_mT8_P12ihipStream_tbDpT10_ENKUlT_T0_E_clISt17integral_constantIbLb0EES1D_EEDaS18_S19_EUlS18_E_NS1_11comp_targetILNS1_3genE5ELNS1_11target_archE942ELNS1_3gpuE9ELNS1_3repE0EEENS1_30default_config_static_selectorELNS0_4arch9wavefront6targetE0EEEvT1_.kd
    .uniform_work_group_size: 1
    .uses_dynamic_stack: false
    .vgpr_count:     0
    .vgpr_spill_count: 0
    .wavefront_size: 32
    .workgroup_processor_mode: 1
  - .args:
      - .offset:         0
        .size:           120
        .value_kind:     by_value
    .group_segment_fixed_size: 0
    .kernarg_segment_align: 8
    .kernarg_segment_size: 120
    .language:       OpenCL C
    .language_version:
      - 2
      - 0
    .max_flat_workgroup_size: 256
    .name:           _ZN7rocprim17ROCPRIM_400000_NS6detail17trampoline_kernelINS0_14default_configENS1_25partition_config_selectorILNS1_17partition_subalgoE5EsNS0_10empty_typeEbEEZZNS1_14partition_implILS5_5ELb0ES3_mN6thrust23THRUST_200600_302600_NS6detail15normal_iteratorINSA_10device_ptrIsEEEEPS6_NSA_18transform_iteratorINSB_9not_fun_tI7is_trueIsEEENSC_INSD_IbEEEENSA_11use_defaultESO_EENS0_5tupleIJSF_S6_EEENSQ_IJSG_SG_EEES6_PlJS6_EEE10hipError_tPvRmT3_T4_T5_T6_T7_T9_mT8_P12ihipStream_tbDpT10_ENKUlT_T0_E_clISt17integral_constantIbLb0EES1D_EEDaS18_S19_EUlS18_E_NS1_11comp_targetILNS1_3genE4ELNS1_11target_archE910ELNS1_3gpuE8ELNS1_3repE0EEENS1_30default_config_static_selectorELNS0_4arch9wavefront6targetE0EEEvT1_
    .private_segment_fixed_size: 0
    .sgpr_count:     0
    .sgpr_spill_count: 0
    .symbol:         _ZN7rocprim17ROCPRIM_400000_NS6detail17trampoline_kernelINS0_14default_configENS1_25partition_config_selectorILNS1_17partition_subalgoE5EsNS0_10empty_typeEbEEZZNS1_14partition_implILS5_5ELb0ES3_mN6thrust23THRUST_200600_302600_NS6detail15normal_iteratorINSA_10device_ptrIsEEEEPS6_NSA_18transform_iteratorINSB_9not_fun_tI7is_trueIsEEENSC_INSD_IbEEEENSA_11use_defaultESO_EENS0_5tupleIJSF_S6_EEENSQ_IJSG_SG_EEES6_PlJS6_EEE10hipError_tPvRmT3_T4_T5_T6_T7_T9_mT8_P12ihipStream_tbDpT10_ENKUlT_T0_E_clISt17integral_constantIbLb0EES1D_EEDaS18_S19_EUlS18_E_NS1_11comp_targetILNS1_3genE4ELNS1_11target_archE910ELNS1_3gpuE8ELNS1_3repE0EEENS1_30default_config_static_selectorELNS0_4arch9wavefront6targetE0EEEvT1_.kd
    .uniform_work_group_size: 1
    .uses_dynamic_stack: false
    .vgpr_count:     0
    .vgpr_spill_count: 0
    .wavefront_size: 32
    .workgroup_processor_mode: 1
  - .args:
      - .offset:         0
        .size:           120
        .value_kind:     by_value
    .group_segment_fixed_size: 0
    .kernarg_segment_align: 8
    .kernarg_segment_size: 120
    .language:       OpenCL C
    .language_version:
      - 2
      - 0
    .max_flat_workgroup_size: 256
    .name:           _ZN7rocprim17ROCPRIM_400000_NS6detail17trampoline_kernelINS0_14default_configENS1_25partition_config_selectorILNS1_17partition_subalgoE5EsNS0_10empty_typeEbEEZZNS1_14partition_implILS5_5ELb0ES3_mN6thrust23THRUST_200600_302600_NS6detail15normal_iteratorINSA_10device_ptrIsEEEEPS6_NSA_18transform_iteratorINSB_9not_fun_tI7is_trueIsEEENSC_INSD_IbEEEENSA_11use_defaultESO_EENS0_5tupleIJSF_S6_EEENSQ_IJSG_SG_EEES6_PlJS6_EEE10hipError_tPvRmT3_T4_T5_T6_T7_T9_mT8_P12ihipStream_tbDpT10_ENKUlT_T0_E_clISt17integral_constantIbLb0EES1D_EEDaS18_S19_EUlS18_E_NS1_11comp_targetILNS1_3genE3ELNS1_11target_archE908ELNS1_3gpuE7ELNS1_3repE0EEENS1_30default_config_static_selectorELNS0_4arch9wavefront6targetE0EEEvT1_
    .private_segment_fixed_size: 0
    .sgpr_count:     0
    .sgpr_spill_count: 0
    .symbol:         _ZN7rocprim17ROCPRIM_400000_NS6detail17trampoline_kernelINS0_14default_configENS1_25partition_config_selectorILNS1_17partition_subalgoE5EsNS0_10empty_typeEbEEZZNS1_14partition_implILS5_5ELb0ES3_mN6thrust23THRUST_200600_302600_NS6detail15normal_iteratorINSA_10device_ptrIsEEEEPS6_NSA_18transform_iteratorINSB_9not_fun_tI7is_trueIsEEENSC_INSD_IbEEEENSA_11use_defaultESO_EENS0_5tupleIJSF_S6_EEENSQ_IJSG_SG_EEES6_PlJS6_EEE10hipError_tPvRmT3_T4_T5_T6_T7_T9_mT8_P12ihipStream_tbDpT10_ENKUlT_T0_E_clISt17integral_constantIbLb0EES1D_EEDaS18_S19_EUlS18_E_NS1_11comp_targetILNS1_3genE3ELNS1_11target_archE908ELNS1_3gpuE7ELNS1_3repE0EEENS1_30default_config_static_selectorELNS0_4arch9wavefront6targetE0EEEvT1_.kd
    .uniform_work_group_size: 1
    .uses_dynamic_stack: false
    .vgpr_count:     0
    .vgpr_spill_count: 0
    .wavefront_size: 32
    .workgroup_processor_mode: 1
  - .args:
      - .offset:         0
        .size:           120
        .value_kind:     by_value
    .group_segment_fixed_size: 0
    .kernarg_segment_align: 8
    .kernarg_segment_size: 120
    .language:       OpenCL C
    .language_version:
      - 2
      - 0
    .max_flat_workgroup_size: 256
    .name:           _ZN7rocprim17ROCPRIM_400000_NS6detail17trampoline_kernelINS0_14default_configENS1_25partition_config_selectorILNS1_17partition_subalgoE5EsNS0_10empty_typeEbEEZZNS1_14partition_implILS5_5ELb0ES3_mN6thrust23THRUST_200600_302600_NS6detail15normal_iteratorINSA_10device_ptrIsEEEEPS6_NSA_18transform_iteratorINSB_9not_fun_tI7is_trueIsEEENSC_INSD_IbEEEENSA_11use_defaultESO_EENS0_5tupleIJSF_S6_EEENSQ_IJSG_SG_EEES6_PlJS6_EEE10hipError_tPvRmT3_T4_T5_T6_T7_T9_mT8_P12ihipStream_tbDpT10_ENKUlT_T0_E_clISt17integral_constantIbLb0EES1D_EEDaS18_S19_EUlS18_E_NS1_11comp_targetILNS1_3genE2ELNS1_11target_archE906ELNS1_3gpuE6ELNS1_3repE0EEENS1_30default_config_static_selectorELNS0_4arch9wavefront6targetE0EEEvT1_
    .private_segment_fixed_size: 0
    .sgpr_count:     0
    .sgpr_spill_count: 0
    .symbol:         _ZN7rocprim17ROCPRIM_400000_NS6detail17trampoline_kernelINS0_14default_configENS1_25partition_config_selectorILNS1_17partition_subalgoE5EsNS0_10empty_typeEbEEZZNS1_14partition_implILS5_5ELb0ES3_mN6thrust23THRUST_200600_302600_NS6detail15normal_iteratorINSA_10device_ptrIsEEEEPS6_NSA_18transform_iteratorINSB_9not_fun_tI7is_trueIsEEENSC_INSD_IbEEEENSA_11use_defaultESO_EENS0_5tupleIJSF_S6_EEENSQ_IJSG_SG_EEES6_PlJS6_EEE10hipError_tPvRmT3_T4_T5_T6_T7_T9_mT8_P12ihipStream_tbDpT10_ENKUlT_T0_E_clISt17integral_constantIbLb0EES1D_EEDaS18_S19_EUlS18_E_NS1_11comp_targetILNS1_3genE2ELNS1_11target_archE906ELNS1_3gpuE6ELNS1_3repE0EEENS1_30default_config_static_selectorELNS0_4arch9wavefront6targetE0EEEvT1_.kd
    .uniform_work_group_size: 1
    .uses_dynamic_stack: false
    .vgpr_count:     0
    .vgpr_spill_count: 0
    .wavefront_size: 32
    .workgroup_processor_mode: 1
  - .args:
      - .offset:         0
        .size:           120
        .value_kind:     by_value
    .group_segment_fixed_size: 6160
    .kernarg_segment_align: 8
    .kernarg_segment_size: 120
    .language:       OpenCL C
    .language_version:
      - 2
      - 0
    .max_flat_workgroup_size: 256
    .name:           _ZN7rocprim17ROCPRIM_400000_NS6detail17trampoline_kernelINS0_14default_configENS1_25partition_config_selectorILNS1_17partition_subalgoE5EsNS0_10empty_typeEbEEZZNS1_14partition_implILS5_5ELb0ES3_mN6thrust23THRUST_200600_302600_NS6detail15normal_iteratorINSA_10device_ptrIsEEEEPS6_NSA_18transform_iteratorINSB_9not_fun_tI7is_trueIsEEENSC_INSD_IbEEEENSA_11use_defaultESO_EENS0_5tupleIJSF_S6_EEENSQ_IJSG_SG_EEES6_PlJS6_EEE10hipError_tPvRmT3_T4_T5_T6_T7_T9_mT8_P12ihipStream_tbDpT10_ENKUlT_T0_E_clISt17integral_constantIbLb0EES1D_EEDaS18_S19_EUlS18_E_NS1_11comp_targetILNS1_3genE10ELNS1_11target_archE1200ELNS1_3gpuE4ELNS1_3repE0EEENS1_30default_config_static_selectorELNS0_4arch9wavefront6targetE0EEEvT1_
    .private_segment_fixed_size: 0
    .sgpr_count:     23
    .sgpr_spill_count: 0
    .symbol:         _ZN7rocprim17ROCPRIM_400000_NS6detail17trampoline_kernelINS0_14default_configENS1_25partition_config_selectorILNS1_17partition_subalgoE5EsNS0_10empty_typeEbEEZZNS1_14partition_implILS5_5ELb0ES3_mN6thrust23THRUST_200600_302600_NS6detail15normal_iteratorINSA_10device_ptrIsEEEEPS6_NSA_18transform_iteratorINSB_9not_fun_tI7is_trueIsEEENSC_INSD_IbEEEENSA_11use_defaultESO_EENS0_5tupleIJSF_S6_EEENSQ_IJSG_SG_EEES6_PlJS6_EEE10hipError_tPvRmT3_T4_T5_T6_T7_T9_mT8_P12ihipStream_tbDpT10_ENKUlT_T0_E_clISt17integral_constantIbLb0EES1D_EEDaS18_S19_EUlS18_E_NS1_11comp_targetILNS1_3genE10ELNS1_11target_archE1200ELNS1_3gpuE4ELNS1_3repE0EEENS1_30default_config_static_selectorELNS0_4arch9wavefront6targetE0EEEvT1_.kd
    .uniform_work_group_size: 1
    .uses_dynamic_stack: false
    .vgpr_count:     63
    .vgpr_spill_count: 0
    .wavefront_size: 32
    .workgroup_processor_mode: 1
  - .args:
      - .offset:         0
        .size:           120
        .value_kind:     by_value
    .group_segment_fixed_size: 0
    .kernarg_segment_align: 8
    .kernarg_segment_size: 120
    .language:       OpenCL C
    .language_version:
      - 2
      - 0
    .max_flat_workgroup_size: 128
    .name:           _ZN7rocprim17ROCPRIM_400000_NS6detail17trampoline_kernelINS0_14default_configENS1_25partition_config_selectorILNS1_17partition_subalgoE5EsNS0_10empty_typeEbEEZZNS1_14partition_implILS5_5ELb0ES3_mN6thrust23THRUST_200600_302600_NS6detail15normal_iteratorINSA_10device_ptrIsEEEEPS6_NSA_18transform_iteratorINSB_9not_fun_tI7is_trueIsEEENSC_INSD_IbEEEENSA_11use_defaultESO_EENS0_5tupleIJSF_S6_EEENSQ_IJSG_SG_EEES6_PlJS6_EEE10hipError_tPvRmT3_T4_T5_T6_T7_T9_mT8_P12ihipStream_tbDpT10_ENKUlT_T0_E_clISt17integral_constantIbLb0EES1D_EEDaS18_S19_EUlS18_E_NS1_11comp_targetILNS1_3genE9ELNS1_11target_archE1100ELNS1_3gpuE3ELNS1_3repE0EEENS1_30default_config_static_selectorELNS0_4arch9wavefront6targetE0EEEvT1_
    .private_segment_fixed_size: 0
    .sgpr_count:     0
    .sgpr_spill_count: 0
    .symbol:         _ZN7rocprim17ROCPRIM_400000_NS6detail17trampoline_kernelINS0_14default_configENS1_25partition_config_selectorILNS1_17partition_subalgoE5EsNS0_10empty_typeEbEEZZNS1_14partition_implILS5_5ELb0ES3_mN6thrust23THRUST_200600_302600_NS6detail15normal_iteratorINSA_10device_ptrIsEEEEPS6_NSA_18transform_iteratorINSB_9not_fun_tI7is_trueIsEEENSC_INSD_IbEEEENSA_11use_defaultESO_EENS0_5tupleIJSF_S6_EEENSQ_IJSG_SG_EEES6_PlJS6_EEE10hipError_tPvRmT3_T4_T5_T6_T7_T9_mT8_P12ihipStream_tbDpT10_ENKUlT_T0_E_clISt17integral_constantIbLb0EES1D_EEDaS18_S19_EUlS18_E_NS1_11comp_targetILNS1_3genE9ELNS1_11target_archE1100ELNS1_3gpuE3ELNS1_3repE0EEENS1_30default_config_static_selectorELNS0_4arch9wavefront6targetE0EEEvT1_.kd
    .uniform_work_group_size: 1
    .uses_dynamic_stack: false
    .vgpr_count:     0
    .vgpr_spill_count: 0
    .wavefront_size: 32
    .workgroup_processor_mode: 1
  - .args:
      - .offset:         0
        .size:           120
        .value_kind:     by_value
    .group_segment_fixed_size: 0
    .kernarg_segment_align: 8
    .kernarg_segment_size: 120
    .language:       OpenCL C
    .language_version:
      - 2
      - 0
    .max_flat_workgroup_size: 256
    .name:           _ZN7rocprim17ROCPRIM_400000_NS6detail17trampoline_kernelINS0_14default_configENS1_25partition_config_selectorILNS1_17partition_subalgoE5EsNS0_10empty_typeEbEEZZNS1_14partition_implILS5_5ELb0ES3_mN6thrust23THRUST_200600_302600_NS6detail15normal_iteratorINSA_10device_ptrIsEEEEPS6_NSA_18transform_iteratorINSB_9not_fun_tI7is_trueIsEEENSC_INSD_IbEEEENSA_11use_defaultESO_EENS0_5tupleIJSF_S6_EEENSQ_IJSG_SG_EEES6_PlJS6_EEE10hipError_tPvRmT3_T4_T5_T6_T7_T9_mT8_P12ihipStream_tbDpT10_ENKUlT_T0_E_clISt17integral_constantIbLb0EES1D_EEDaS18_S19_EUlS18_E_NS1_11comp_targetILNS1_3genE8ELNS1_11target_archE1030ELNS1_3gpuE2ELNS1_3repE0EEENS1_30default_config_static_selectorELNS0_4arch9wavefront6targetE0EEEvT1_
    .private_segment_fixed_size: 0
    .sgpr_count:     0
    .sgpr_spill_count: 0
    .symbol:         _ZN7rocprim17ROCPRIM_400000_NS6detail17trampoline_kernelINS0_14default_configENS1_25partition_config_selectorILNS1_17partition_subalgoE5EsNS0_10empty_typeEbEEZZNS1_14partition_implILS5_5ELb0ES3_mN6thrust23THRUST_200600_302600_NS6detail15normal_iteratorINSA_10device_ptrIsEEEEPS6_NSA_18transform_iteratorINSB_9not_fun_tI7is_trueIsEEENSC_INSD_IbEEEENSA_11use_defaultESO_EENS0_5tupleIJSF_S6_EEENSQ_IJSG_SG_EEES6_PlJS6_EEE10hipError_tPvRmT3_T4_T5_T6_T7_T9_mT8_P12ihipStream_tbDpT10_ENKUlT_T0_E_clISt17integral_constantIbLb0EES1D_EEDaS18_S19_EUlS18_E_NS1_11comp_targetILNS1_3genE8ELNS1_11target_archE1030ELNS1_3gpuE2ELNS1_3repE0EEENS1_30default_config_static_selectorELNS0_4arch9wavefront6targetE0EEEvT1_.kd
    .uniform_work_group_size: 1
    .uses_dynamic_stack: false
    .vgpr_count:     0
    .vgpr_spill_count: 0
    .wavefront_size: 32
    .workgroup_processor_mode: 1
  - .args:
      - .offset:         0
        .size:           136
        .value_kind:     by_value
    .group_segment_fixed_size: 0
    .kernarg_segment_align: 8
    .kernarg_segment_size: 136
    .language:       OpenCL C
    .language_version:
      - 2
      - 0
    .max_flat_workgroup_size: 256
    .name:           _ZN7rocprim17ROCPRIM_400000_NS6detail17trampoline_kernelINS0_14default_configENS1_25partition_config_selectorILNS1_17partition_subalgoE5EsNS0_10empty_typeEbEEZZNS1_14partition_implILS5_5ELb0ES3_mN6thrust23THRUST_200600_302600_NS6detail15normal_iteratorINSA_10device_ptrIsEEEEPS6_NSA_18transform_iteratorINSB_9not_fun_tI7is_trueIsEEENSC_INSD_IbEEEENSA_11use_defaultESO_EENS0_5tupleIJSF_S6_EEENSQ_IJSG_SG_EEES6_PlJS6_EEE10hipError_tPvRmT3_T4_T5_T6_T7_T9_mT8_P12ihipStream_tbDpT10_ENKUlT_T0_E_clISt17integral_constantIbLb1EES1D_EEDaS18_S19_EUlS18_E_NS1_11comp_targetILNS1_3genE0ELNS1_11target_archE4294967295ELNS1_3gpuE0ELNS1_3repE0EEENS1_30default_config_static_selectorELNS0_4arch9wavefront6targetE0EEEvT1_
    .private_segment_fixed_size: 0
    .sgpr_count:     0
    .sgpr_spill_count: 0
    .symbol:         _ZN7rocprim17ROCPRIM_400000_NS6detail17trampoline_kernelINS0_14default_configENS1_25partition_config_selectorILNS1_17partition_subalgoE5EsNS0_10empty_typeEbEEZZNS1_14partition_implILS5_5ELb0ES3_mN6thrust23THRUST_200600_302600_NS6detail15normal_iteratorINSA_10device_ptrIsEEEEPS6_NSA_18transform_iteratorINSB_9not_fun_tI7is_trueIsEEENSC_INSD_IbEEEENSA_11use_defaultESO_EENS0_5tupleIJSF_S6_EEENSQ_IJSG_SG_EEES6_PlJS6_EEE10hipError_tPvRmT3_T4_T5_T6_T7_T9_mT8_P12ihipStream_tbDpT10_ENKUlT_T0_E_clISt17integral_constantIbLb1EES1D_EEDaS18_S19_EUlS18_E_NS1_11comp_targetILNS1_3genE0ELNS1_11target_archE4294967295ELNS1_3gpuE0ELNS1_3repE0EEENS1_30default_config_static_selectorELNS0_4arch9wavefront6targetE0EEEvT1_.kd
    .uniform_work_group_size: 1
    .uses_dynamic_stack: false
    .vgpr_count:     0
    .vgpr_spill_count: 0
    .wavefront_size: 32
    .workgroup_processor_mode: 1
  - .args:
      - .offset:         0
        .size:           136
        .value_kind:     by_value
    .group_segment_fixed_size: 0
    .kernarg_segment_align: 8
    .kernarg_segment_size: 136
    .language:       OpenCL C
    .language_version:
      - 2
      - 0
    .max_flat_workgroup_size: 512
    .name:           _ZN7rocprim17ROCPRIM_400000_NS6detail17trampoline_kernelINS0_14default_configENS1_25partition_config_selectorILNS1_17partition_subalgoE5EsNS0_10empty_typeEbEEZZNS1_14partition_implILS5_5ELb0ES3_mN6thrust23THRUST_200600_302600_NS6detail15normal_iteratorINSA_10device_ptrIsEEEEPS6_NSA_18transform_iteratorINSB_9not_fun_tI7is_trueIsEEENSC_INSD_IbEEEENSA_11use_defaultESO_EENS0_5tupleIJSF_S6_EEENSQ_IJSG_SG_EEES6_PlJS6_EEE10hipError_tPvRmT3_T4_T5_T6_T7_T9_mT8_P12ihipStream_tbDpT10_ENKUlT_T0_E_clISt17integral_constantIbLb1EES1D_EEDaS18_S19_EUlS18_E_NS1_11comp_targetILNS1_3genE5ELNS1_11target_archE942ELNS1_3gpuE9ELNS1_3repE0EEENS1_30default_config_static_selectorELNS0_4arch9wavefront6targetE0EEEvT1_
    .private_segment_fixed_size: 0
    .sgpr_count:     0
    .sgpr_spill_count: 0
    .symbol:         _ZN7rocprim17ROCPRIM_400000_NS6detail17trampoline_kernelINS0_14default_configENS1_25partition_config_selectorILNS1_17partition_subalgoE5EsNS0_10empty_typeEbEEZZNS1_14partition_implILS5_5ELb0ES3_mN6thrust23THRUST_200600_302600_NS6detail15normal_iteratorINSA_10device_ptrIsEEEEPS6_NSA_18transform_iteratorINSB_9not_fun_tI7is_trueIsEEENSC_INSD_IbEEEENSA_11use_defaultESO_EENS0_5tupleIJSF_S6_EEENSQ_IJSG_SG_EEES6_PlJS6_EEE10hipError_tPvRmT3_T4_T5_T6_T7_T9_mT8_P12ihipStream_tbDpT10_ENKUlT_T0_E_clISt17integral_constantIbLb1EES1D_EEDaS18_S19_EUlS18_E_NS1_11comp_targetILNS1_3genE5ELNS1_11target_archE942ELNS1_3gpuE9ELNS1_3repE0EEENS1_30default_config_static_selectorELNS0_4arch9wavefront6targetE0EEEvT1_.kd
    .uniform_work_group_size: 1
    .uses_dynamic_stack: false
    .vgpr_count:     0
    .vgpr_spill_count: 0
    .wavefront_size: 32
    .workgroup_processor_mode: 1
  - .args:
      - .offset:         0
        .size:           136
        .value_kind:     by_value
    .group_segment_fixed_size: 0
    .kernarg_segment_align: 8
    .kernarg_segment_size: 136
    .language:       OpenCL C
    .language_version:
      - 2
      - 0
    .max_flat_workgroup_size: 256
    .name:           _ZN7rocprim17ROCPRIM_400000_NS6detail17trampoline_kernelINS0_14default_configENS1_25partition_config_selectorILNS1_17partition_subalgoE5EsNS0_10empty_typeEbEEZZNS1_14partition_implILS5_5ELb0ES3_mN6thrust23THRUST_200600_302600_NS6detail15normal_iteratorINSA_10device_ptrIsEEEEPS6_NSA_18transform_iteratorINSB_9not_fun_tI7is_trueIsEEENSC_INSD_IbEEEENSA_11use_defaultESO_EENS0_5tupleIJSF_S6_EEENSQ_IJSG_SG_EEES6_PlJS6_EEE10hipError_tPvRmT3_T4_T5_T6_T7_T9_mT8_P12ihipStream_tbDpT10_ENKUlT_T0_E_clISt17integral_constantIbLb1EES1D_EEDaS18_S19_EUlS18_E_NS1_11comp_targetILNS1_3genE4ELNS1_11target_archE910ELNS1_3gpuE8ELNS1_3repE0EEENS1_30default_config_static_selectorELNS0_4arch9wavefront6targetE0EEEvT1_
    .private_segment_fixed_size: 0
    .sgpr_count:     0
    .sgpr_spill_count: 0
    .symbol:         _ZN7rocprim17ROCPRIM_400000_NS6detail17trampoline_kernelINS0_14default_configENS1_25partition_config_selectorILNS1_17partition_subalgoE5EsNS0_10empty_typeEbEEZZNS1_14partition_implILS5_5ELb0ES3_mN6thrust23THRUST_200600_302600_NS6detail15normal_iteratorINSA_10device_ptrIsEEEEPS6_NSA_18transform_iteratorINSB_9not_fun_tI7is_trueIsEEENSC_INSD_IbEEEENSA_11use_defaultESO_EENS0_5tupleIJSF_S6_EEENSQ_IJSG_SG_EEES6_PlJS6_EEE10hipError_tPvRmT3_T4_T5_T6_T7_T9_mT8_P12ihipStream_tbDpT10_ENKUlT_T0_E_clISt17integral_constantIbLb1EES1D_EEDaS18_S19_EUlS18_E_NS1_11comp_targetILNS1_3genE4ELNS1_11target_archE910ELNS1_3gpuE8ELNS1_3repE0EEENS1_30default_config_static_selectorELNS0_4arch9wavefront6targetE0EEEvT1_.kd
    .uniform_work_group_size: 1
    .uses_dynamic_stack: false
    .vgpr_count:     0
    .vgpr_spill_count: 0
    .wavefront_size: 32
    .workgroup_processor_mode: 1
  - .args:
      - .offset:         0
        .size:           136
        .value_kind:     by_value
    .group_segment_fixed_size: 0
    .kernarg_segment_align: 8
    .kernarg_segment_size: 136
    .language:       OpenCL C
    .language_version:
      - 2
      - 0
    .max_flat_workgroup_size: 256
    .name:           _ZN7rocprim17ROCPRIM_400000_NS6detail17trampoline_kernelINS0_14default_configENS1_25partition_config_selectorILNS1_17partition_subalgoE5EsNS0_10empty_typeEbEEZZNS1_14partition_implILS5_5ELb0ES3_mN6thrust23THRUST_200600_302600_NS6detail15normal_iteratorINSA_10device_ptrIsEEEEPS6_NSA_18transform_iteratorINSB_9not_fun_tI7is_trueIsEEENSC_INSD_IbEEEENSA_11use_defaultESO_EENS0_5tupleIJSF_S6_EEENSQ_IJSG_SG_EEES6_PlJS6_EEE10hipError_tPvRmT3_T4_T5_T6_T7_T9_mT8_P12ihipStream_tbDpT10_ENKUlT_T0_E_clISt17integral_constantIbLb1EES1D_EEDaS18_S19_EUlS18_E_NS1_11comp_targetILNS1_3genE3ELNS1_11target_archE908ELNS1_3gpuE7ELNS1_3repE0EEENS1_30default_config_static_selectorELNS0_4arch9wavefront6targetE0EEEvT1_
    .private_segment_fixed_size: 0
    .sgpr_count:     0
    .sgpr_spill_count: 0
    .symbol:         _ZN7rocprim17ROCPRIM_400000_NS6detail17trampoline_kernelINS0_14default_configENS1_25partition_config_selectorILNS1_17partition_subalgoE5EsNS0_10empty_typeEbEEZZNS1_14partition_implILS5_5ELb0ES3_mN6thrust23THRUST_200600_302600_NS6detail15normal_iteratorINSA_10device_ptrIsEEEEPS6_NSA_18transform_iteratorINSB_9not_fun_tI7is_trueIsEEENSC_INSD_IbEEEENSA_11use_defaultESO_EENS0_5tupleIJSF_S6_EEENSQ_IJSG_SG_EEES6_PlJS6_EEE10hipError_tPvRmT3_T4_T5_T6_T7_T9_mT8_P12ihipStream_tbDpT10_ENKUlT_T0_E_clISt17integral_constantIbLb1EES1D_EEDaS18_S19_EUlS18_E_NS1_11comp_targetILNS1_3genE3ELNS1_11target_archE908ELNS1_3gpuE7ELNS1_3repE0EEENS1_30default_config_static_selectorELNS0_4arch9wavefront6targetE0EEEvT1_.kd
    .uniform_work_group_size: 1
    .uses_dynamic_stack: false
    .vgpr_count:     0
    .vgpr_spill_count: 0
    .wavefront_size: 32
    .workgroup_processor_mode: 1
  - .args:
      - .offset:         0
        .size:           136
        .value_kind:     by_value
    .group_segment_fixed_size: 0
    .kernarg_segment_align: 8
    .kernarg_segment_size: 136
    .language:       OpenCL C
    .language_version:
      - 2
      - 0
    .max_flat_workgroup_size: 256
    .name:           _ZN7rocprim17ROCPRIM_400000_NS6detail17trampoline_kernelINS0_14default_configENS1_25partition_config_selectorILNS1_17partition_subalgoE5EsNS0_10empty_typeEbEEZZNS1_14partition_implILS5_5ELb0ES3_mN6thrust23THRUST_200600_302600_NS6detail15normal_iteratorINSA_10device_ptrIsEEEEPS6_NSA_18transform_iteratorINSB_9not_fun_tI7is_trueIsEEENSC_INSD_IbEEEENSA_11use_defaultESO_EENS0_5tupleIJSF_S6_EEENSQ_IJSG_SG_EEES6_PlJS6_EEE10hipError_tPvRmT3_T4_T5_T6_T7_T9_mT8_P12ihipStream_tbDpT10_ENKUlT_T0_E_clISt17integral_constantIbLb1EES1D_EEDaS18_S19_EUlS18_E_NS1_11comp_targetILNS1_3genE2ELNS1_11target_archE906ELNS1_3gpuE6ELNS1_3repE0EEENS1_30default_config_static_selectorELNS0_4arch9wavefront6targetE0EEEvT1_
    .private_segment_fixed_size: 0
    .sgpr_count:     0
    .sgpr_spill_count: 0
    .symbol:         _ZN7rocprim17ROCPRIM_400000_NS6detail17trampoline_kernelINS0_14default_configENS1_25partition_config_selectorILNS1_17partition_subalgoE5EsNS0_10empty_typeEbEEZZNS1_14partition_implILS5_5ELb0ES3_mN6thrust23THRUST_200600_302600_NS6detail15normal_iteratorINSA_10device_ptrIsEEEEPS6_NSA_18transform_iteratorINSB_9not_fun_tI7is_trueIsEEENSC_INSD_IbEEEENSA_11use_defaultESO_EENS0_5tupleIJSF_S6_EEENSQ_IJSG_SG_EEES6_PlJS6_EEE10hipError_tPvRmT3_T4_T5_T6_T7_T9_mT8_P12ihipStream_tbDpT10_ENKUlT_T0_E_clISt17integral_constantIbLb1EES1D_EEDaS18_S19_EUlS18_E_NS1_11comp_targetILNS1_3genE2ELNS1_11target_archE906ELNS1_3gpuE6ELNS1_3repE0EEENS1_30default_config_static_selectorELNS0_4arch9wavefront6targetE0EEEvT1_.kd
    .uniform_work_group_size: 1
    .uses_dynamic_stack: false
    .vgpr_count:     0
    .vgpr_spill_count: 0
    .wavefront_size: 32
    .workgroup_processor_mode: 1
  - .args:
      - .offset:         0
        .size:           136
        .value_kind:     by_value
    .group_segment_fixed_size: 0
    .kernarg_segment_align: 8
    .kernarg_segment_size: 136
    .language:       OpenCL C
    .language_version:
      - 2
      - 0
    .max_flat_workgroup_size: 256
    .name:           _ZN7rocprim17ROCPRIM_400000_NS6detail17trampoline_kernelINS0_14default_configENS1_25partition_config_selectorILNS1_17partition_subalgoE5EsNS0_10empty_typeEbEEZZNS1_14partition_implILS5_5ELb0ES3_mN6thrust23THRUST_200600_302600_NS6detail15normal_iteratorINSA_10device_ptrIsEEEEPS6_NSA_18transform_iteratorINSB_9not_fun_tI7is_trueIsEEENSC_INSD_IbEEEENSA_11use_defaultESO_EENS0_5tupleIJSF_S6_EEENSQ_IJSG_SG_EEES6_PlJS6_EEE10hipError_tPvRmT3_T4_T5_T6_T7_T9_mT8_P12ihipStream_tbDpT10_ENKUlT_T0_E_clISt17integral_constantIbLb1EES1D_EEDaS18_S19_EUlS18_E_NS1_11comp_targetILNS1_3genE10ELNS1_11target_archE1200ELNS1_3gpuE4ELNS1_3repE0EEENS1_30default_config_static_selectorELNS0_4arch9wavefront6targetE0EEEvT1_
    .private_segment_fixed_size: 0
    .sgpr_count:     0
    .sgpr_spill_count: 0
    .symbol:         _ZN7rocprim17ROCPRIM_400000_NS6detail17trampoline_kernelINS0_14default_configENS1_25partition_config_selectorILNS1_17partition_subalgoE5EsNS0_10empty_typeEbEEZZNS1_14partition_implILS5_5ELb0ES3_mN6thrust23THRUST_200600_302600_NS6detail15normal_iteratorINSA_10device_ptrIsEEEEPS6_NSA_18transform_iteratorINSB_9not_fun_tI7is_trueIsEEENSC_INSD_IbEEEENSA_11use_defaultESO_EENS0_5tupleIJSF_S6_EEENSQ_IJSG_SG_EEES6_PlJS6_EEE10hipError_tPvRmT3_T4_T5_T6_T7_T9_mT8_P12ihipStream_tbDpT10_ENKUlT_T0_E_clISt17integral_constantIbLb1EES1D_EEDaS18_S19_EUlS18_E_NS1_11comp_targetILNS1_3genE10ELNS1_11target_archE1200ELNS1_3gpuE4ELNS1_3repE0EEENS1_30default_config_static_selectorELNS0_4arch9wavefront6targetE0EEEvT1_.kd
    .uniform_work_group_size: 1
    .uses_dynamic_stack: false
    .vgpr_count:     0
    .vgpr_spill_count: 0
    .wavefront_size: 32
    .workgroup_processor_mode: 1
  - .args:
      - .offset:         0
        .size:           136
        .value_kind:     by_value
    .group_segment_fixed_size: 0
    .kernarg_segment_align: 8
    .kernarg_segment_size: 136
    .language:       OpenCL C
    .language_version:
      - 2
      - 0
    .max_flat_workgroup_size: 128
    .name:           _ZN7rocprim17ROCPRIM_400000_NS6detail17trampoline_kernelINS0_14default_configENS1_25partition_config_selectorILNS1_17partition_subalgoE5EsNS0_10empty_typeEbEEZZNS1_14partition_implILS5_5ELb0ES3_mN6thrust23THRUST_200600_302600_NS6detail15normal_iteratorINSA_10device_ptrIsEEEEPS6_NSA_18transform_iteratorINSB_9not_fun_tI7is_trueIsEEENSC_INSD_IbEEEENSA_11use_defaultESO_EENS0_5tupleIJSF_S6_EEENSQ_IJSG_SG_EEES6_PlJS6_EEE10hipError_tPvRmT3_T4_T5_T6_T7_T9_mT8_P12ihipStream_tbDpT10_ENKUlT_T0_E_clISt17integral_constantIbLb1EES1D_EEDaS18_S19_EUlS18_E_NS1_11comp_targetILNS1_3genE9ELNS1_11target_archE1100ELNS1_3gpuE3ELNS1_3repE0EEENS1_30default_config_static_selectorELNS0_4arch9wavefront6targetE0EEEvT1_
    .private_segment_fixed_size: 0
    .sgpr_count:     0
    .sgpr_spill_count: 0
    .symbol:         _ZN7rocprim17ROCPRIM_400000_NS6detail17trampoline_kernelINS0_14default_configENS1_25partition_config_selectorILNS1_17partition_subalgoE5EsNS0_10empty_typeEbEEZZNS1_14partition_implILS5_5ELb0ES3_mN6thrust23THRUST_200600_302600_NS6detail15normal_iteratorINSA_10device_ptrIsEEEEPS6_NSA_18transform_iteratorINSB_9not_fun_tI7is_trueIsEEENSC_INSD_IbEEEENSA_11use_defaultESO_EENS0_5tupleIJSF_S6_EEENSQ_IJSG_SG_EEES6_PlJS6_EEE10hipError_tPvRmT3_T4_T5_T6_T7_T9_mT8_P12ihipStream_tbDpT10_ENKUlT_T0_E_clISt17integral_constantIbLb1EES1D_EEDaS18_S19_EUlS18_E_NS1_11comp_targetILNS1_3genE9ELNS1_11target_archE1100ELNS1_3gpuE3ELNS1_3repE0EEENS1_30default_config_static_selectorELNS0_4arch9wavefront6targetE0EEEvT1_.kd
    .uniform_work_group_size: 1
    .uses_dynamic_stack: false
    .vgpr_count:     0
    .vgpr_spill_count: 0
    .wavefront_size: 32
    .workgroup_processor_mode: 1
  - .args:
      - .offset:         0
        .size:           136
        .value_kind:     by_value
    .group_segment_fixed_size: 0
    .kernarg_segment_align: 8
    .kernarg_segment_size: 136
    .language:       OpenCL C
    .language_version:
      - 2
      - 0
    .max_flat_workgroup_size: 256
    .name:           _ZN7rocprim17ROCPRIM_400000_NS6detail17trampoline_kernelINS0_14default_configENS1_25partition_config_selectorILNS1_17partition_subalgoE5EsNS0_10empty_typeEbEEZZNS1_14partition_implILS5_5ELb0ES3_mN6thrust23THRUST_200600_302600_NS6detail15normal_iteratorINSA_10device_ptrIsEEEEPS6_NSA_18transform_iteratorINSB_9not_fun_tI7is_trueIsEEENSC_INSD_IbEEEENSA_11use_defaultESO_EENS0_5tupleIJSF_S6_EEENSQ_IJSG_SG_EEES6_PlJS6_EEE10hipError_tPvRmT3_T4_T5_T6_T7_T9_mT8_P12ihipStream_tbDpT10_ENKUlT_T0_E_clISt17integral_constantIbLb1EES1D_EEDaS18_S19_EUlS18_E_NS1_11comp_targetILNS1_3genE8ELNS1_11target_archE1030ELNS1_3gpuE2ELNS1_3repE0EEENS1_30default_config_static_selectorELNS0_4arch9wavefront6targetE0EEEvT1_
    .private_segment_fixed_size: 0
    .sgpr_count:     0
    .sgpr_spill_count: 0
    .symbol:         _ZN7rocprim17ROCPRIM_400000_NS6detail17trampoline_kernelINS0_14default_configENS1_25partition_config_selectorILNS1_17partition_subalgoE5EsNS0_10empty_typeEbEEZZNS1_14partition_implILS5_5ELb0ES3_mN6thrust23THRUST_200600_302600_NS6detail15normal_iteratorINSA_10device_ptrIsEEEEPS6_NSA_18transform_iteratorINSB_9not_fun_tI7is_trueIsEEENSC_INSD_IbEEEENSA_11use_defaultESO_EENS0_5tupleIJSF_S6_EEENSQ_IJSG_SG_EEES6_PlJS6_EEE10hipError_tPvRmT3_T4_T5_T6_T7_T9_mT8_P12ihipStream_tbDpT10_ENKUlT_T0_E_clISt17integral_constantIbLb1EES1D_EEDaS18_S19_EUlS18_E_NS1_11comp_targetILNS1_3genE8ELNS1_11target_archE1030ELNS1_3gpuE2ELNS1_3repE0EEENS1_30default_config_static_selectorELNS0_4arch9wavefront6targetE0EEEvT1_.kd
    .uniform_work_group_size: 1
    .uses_dynamic_stack: false
    .vgpr_count:     0
    .vgpr_spill_count: 0
    .wavefront_size: 32
    .workgroup_processor_mode: 1
  - .args:
      - .offset:         0
        .size:           120
        .value_kind:     by_value
    .group_segment_fixed_size: 0
    .kernarg_segment_align: 8
    .kernarg_segment_size: 120
    .language:       OpenCL C
    .language_version:
      - 2
      - 0
    .max_flat_workgroup_size: 256
    .name:           _ZN7rocprim17ROCPRIM_400000_NS6detail17trampoline_kernelINS0_14default_configENS1_25partition_config_selectorILNS1_17partition_subalgoE5EsNS0_10empty_typeEbEEZZNS1_14partition_implILS5_5ELb0ES3_mN6thrust23THRUST_200600_302600_NS6detail15normal_iteratorINSA_10device_ptrIsEEEEPS6_NSA_18transform_iteratorINSB_9not_fun_tI7is_trueIsEEENSC_INSD_IbEEEENSA_11use_defaultESO_EENS0_5tupleIJSF_S6_EEENSQ_IJSG_SG_EEES6_PlJS6_EEE10hipError_tPvRmT3_T4_T5_T6_T7_T9_mT8_P12ihipStream_tbDpT10_ENKUlT_T0_E_clISt17integral_constantIbLb1EES1C_IbLb0EEEEDaS18_S19_EUlS18_E_NS1_11comp_targetILNS1_3genE0ELNS1_11target_archE4294967295ELNS1_3gpuE0ELNS1_3repE0EEENS1_30default_config_static_selectorELNS0_4arch9wavefront6targetE0EEEvT1_
    .private_segment_fixed_size: 0
    .sgpr_count:     0
    .sgpr_spill_count: 0
    .symbol:         _ZN7rocprim17ROCPRIM_400000_NS6detail17trampoline_kernelINS0_14default_configENS1_25partition_config_selectorILNS1_17partition_subalgoE5EsNS0_10empty_typeEbEEZZNS1_14partition_implILS5_5ELb0ES3_mN6thrust23THRUST_200600_302600_NS6detail15normal_iteratorINSA_10device_ptrIsEEEEPS6_NSA_18transform_iteratorINSB_9not_fun_tI7is_trueIsEEENSC_INSD_IbEEEENSA_11use_defaultESO_EENS0_5tupleIJSF_S6_EEENSQ_IJSG_SG_EEES6_PlJS6_EEE10hipError_tPvRmT3_T4_T5_T6_T7_T9_mT8_P12ihipStream_tbDpT10_ENKUlT_T0_E_clISt17integral_constantIbLb1EES1C_IbLb0EEEEDaS18_S19_EUlS18_E_NS1_11comp_targetILNS1_3genE0ELNS1_11target_archE4294967295ELNS1_3gpuE0ELNS1_3repE0EEENS1_30default_config_static_selectorELNS0_4arch9wavefront6targetE0EEEvT1_.kd
    .uniform_work_group_size: 1
    .uses_dynamic_stack: false
    .vgpr_count:     0
    .vgpr_spill_count: 0
    .wavefront_size: 32
    .workgroup_processor_mode: 1
  - .args:
      - .offset:         0
        .size:           120
        .value_kind:     by_value
    .group_segment_fixed_size: 0
    .kernarg_segment_align: 8
    .kernarg_segment_size: 120
    .language:       OpenCL C
    .language_version:
      - 2
      - 0
    .max_flat_workgroup_size: 512
    .name:           _ZN7rocprim17ROCPRIM_400000_NS6detail17trampoline_kernelINS0_14default_configENS1_25partition_config_selectorILNS1_17partition_subalgoE5EsNS0_10empty_typeEbEEZZNS1_14partition_implILS5_5ELb0ES3_mN6thrust23THRUST_200600_302600_NS6detail15normal_iteratorINSA_10device_ptrIsEEEEPS6_NSA_18transform_iteratorINSB_9not_fun_tI7is_trueIsEEENSC_INSD_IbEEEENSA_11use_defaultESO_EENS0_5tupleIJSF_S6_EEENSQ_IJSG_SG_EEES6_PlJS6_EEE10hipError_tPvRmT3_T4_T5_T6_T7_T9_mT8_P12ihipStream_tbDpT10_ENKUlT_T0_E_clISt17integral_constantIbLb1EES1C_IbLb0EEEEDaS18_S19_EUlS18_E_NS1_11comp_targetILNS1_3genE5ELNS1_11target_archE942ELNS1_3gpuE9ELNS1_3repE0EEENS1_30default_config_static_selectorELNS0_4arch9wavefront6targetE0EEEvT1_
    .private_segment_fixed_size: 0
    .sgpr_count:     0
    .sgpr_spill_count: 0
    .symbol:         _ZN7rocprim17ROCPRIM_400000_NS6detail17trampoline_kernelINS0_14default_configENS1_25partition_config_selectorILNS1_17partition_subalgoE5EsNS0_10empty_typeEbEEZZNS1_14partition_implILS5_5ELb0ES3_mN6thrust23THRUST_200600_302600_NS6detail15normal_iteratorINSA_10device_ptrIsEEEEPS6_NSA_18transform_iteratorINSB_9not_fun_tI7is_trueIsEEENSC_INSD_IbEEEENSA_11use_defaultESO_EENS0_5tupleIJSF_S6_EEENSQ_IJSG_SG_EEES6_PlJS6_EEE10hipError_tPvRmT3_T4_T5_T6_T7_T9_mT8_P12ihipStream_tbDpT10_ENKUlT_T0_E_clISt17integral_constantIbLb1EES1C_IbLb0EEEEDaS18_S19_EUlS18_E_NS1_11comp_targetILNS1_3genE5ELNS1_11target_archE942ELNS1_3gpuE9ELNS1_3repE0EEENS1_30default_config_static_selectorELNS0_4arch9wavefront6targetE0EEEvT1_.kd
    .uniform_work_group_size: 1
    .uses_dynamic_stack: false
    .vgpr_count:     0
    .vgpr_spill_count: 0
    .wavefront_size: 32
    .workgroup_processor_mode: 1
  - .args:
      - .offset:         0
        .size:           120
        .value_kind:     by_value
    .group_segment_fixed_size: 0
    .kernarg_segment_align: 8
    .kernarg_segment_size: 120
    .language:       OpenCL C
    .language_version:
      - 2
      - 0
    .max_flat_workgroup_size: 256
    .name:           _ZN7rocprim17ROCPRIM_400000_NS6detail17trampoline_kernelINS0_14default_configENS1_25partition_config_selectorILNS1_17partition_subalgoE5EsNS0_10empty_typeEbEEZZNS1_14partition_implILS5_5ELb0ES3_mN6thrust23THRUST_200600_302600_NS6detail15normal_iteratorINSA_10device_ptrIsEEEEPS6_NSA_18transform_iteratorINSB_9not_fun_tI7is_trueIsEEENSC_INSD_IbEEEENSA_11use_defaultESO_EENS0_5tupleIJSF_S6_EEENSQ_IJSG_SG_EEES6_PlJS6_EEE10hipError_tPvRmT3_T4_T5_T6_T7_T9_mT8_P12ihipStream_tbDpT10_ENKUlT_T0_E_clISt17integral_constantIbLb1EES1C_IbLb0EEEEDaS18_S19_EUlS18_E_NS1_11comp_targetILNS1_3genE4ELNS1_11target_archE910ELNS1_3gpuE8ELNS1_3repE0EEENS1_30default_config_static_selectorELNS0_4arch9wavefront6targetE0EEEvT1_
    .private_segment_fixed_size: 0
    .sgpr_count:     0
    .sgpr_spill_count: 0
    .symbol:         _ZN7rocprim17ROCPRIM_400000_NS6detail17trampoline_kernelINS0_14default_configENS1_25partition_config_selectorILNS1_17partition_subalgoE5EsNS0_10empty_typeEbEEZZNS1_14partition_implILS5_5ELb0ES3_mN6thrust23THRUST_200600_302600_NS6detail15normal_iteratorINSA_10device_ptrIsEEEEPS6_NSA_18transform_iteratorINSB_9not_fun_tI7is_trueIsEEENSC_INSD_IbEEEENSA_11use_defaultESO_EENS0_5tupleIJSF_S6_EEENSQ_IJSG_SG_EEES6_PlJS6_EEE10hipError_tPvRmT3_T4_T5_T6_T7_T9_mT8_P12ihipStream_tbDpT10_ENKUlT_T0_E_clISt17integral_constantIbLb1EES1C_IbLb0EEEEDaS18_S19_EUlS18_E_NS1_11comp_targetILNS1_3genE4ELNS1_11target_archE910ELNS1_3gpuE8ELNS1_3repE0EEENS1_30default_config_static_selectorELNS0_4arch9wavefront6targetE0EEEvT1_.kd
    .uniform_work_group_size: 1
    .uses_dynamic_stack: false
    .vgpr_count:     0
    .vgpr_spill_count: 0
    .wavefront_size: 32
    .workgroup_processor_mode: 1
  - .args:
      - .offset:         0
        .size:           120
        .value_kind:     by_value
    .group_segment_fixed_size: 0
    .kernarg_segment_align: 8
    .kernarg_segment_size: 120
    .language:       OpenCL C
    .language_version:
      - 2
      - 0
    .max_flat_workgroup_size: 256
    .name:           _ZN7rocprim17ROCPRIM_400000_NS6detail17trampoline_kernelINS0_14default_configENS1_25partition_config_selectorILNS1_17partition_subalgoE5EsNS0_10empty_typeEbEEZZNS1_14partition_implILS5_5ELb0ES3_mN6thrust23THRUST_200600_302600_NS6detail15normal_iteratorINSA_10device_ptrIsEEEEPS6_NSA_18transform_iteratorINSB_9not_fun_tI7is_trueIsEEENSC_INSD_IbEEEENSA_11use_defaultESO_EENS0_5tupleIJSF_S6_EEENSQ_IJSG_SG_EEES6_PlJS6_EEE10hipError_tPvRmT3_T4_T5_T6_T7_T9_mT8_P12ihipStream_tbDpT10_ENKUlT_T0_E_clISt17integral_constantIbLb1EES1C_IbLb0EEEEDaS18_S19_EUlS18_E_NS1_11comp_targetILNS1_3genE3ELNS1_11target_archE908ELNS1_3gpuE7ELNS1_3repE0EEENS1_30default_config_static_selectorELNS0_4arch9wavefront6targetE0EEEvT1_
    .private_segment_fixed_size: 0
    .sgpr_count:     0
    .sgpr_spill_count: 0
    .symbol:         _ZN7rocprim17ROCPRIM_400000_NS6detail17trampoline_kernelINS0_14default_configENS1_25partition_config_selectorILNS1_17partition_subalgoE5EsNS0_10empty_typeEbEEZZNS1_14partition_implILS5_5ELb0ES3_mN6thrust23THRUST_200600_302600_NS6detail15normal_iteratorINSA_10device_ptrIsEEEEPS6_NSA_18transform_iteratorINSB_9not_fun_tI7is_trueIsEEENSC_INSD_IbEEEENSA_11use_defaultESO_EENS0_5tupleIJSF_S6_EEENSQ_IJSG_SG_EEES6_PlJS6_EEE10hipError_tPvRmT3_T4_T5_T6_T7_T9_mT8_P12ihipStream_tbDpT10_ENKUlT_T0_E_clISt17integral_constantIbLb1EES1C_IbLb0EEEEDaS18_S19_EUlS18_E_NS1_11comp_targetILNS1_3genE3ELNS1_11target_archE908ELNS1_3gpuE7ELNS1_3repE0EEENS1_30default_config_static_selectorELNS0_4arch9wavefront6targetE0EEEvT1_.kd
    .uniform_work_group_size: 1
    .uses_dynamic_stack: false
    .vgpr_count:     0
    .vgpr_spill_count: 0
    .wavefront_size: 32
    .workgroup_processor_mode: 1
  - .args:
      - .offset:         0
        .size:           120
        .value_kind:     by_value
    .group_segment_fixed_size: 0
    .kernarg_segment_align: 8
    .kernarg_segment_size: 120
    .language:       OpenCL C
    .language_version:
      - 2
      - 0
    .max_flat_workgroup_size: 256
    .name:           _ZN7rocprim17ROCPRIM_400000_NS6detail17trampoline_kernelINS0_14default_configENS1_25partition_config_selectorILNS1_17partition_subalgoE5EsNS0_10empty_typeEbEEZZNS1_14partition_implILS5_5ELb0ES3_mN6thrust23THRUST_200600_302600_NS6detail15normal_iteratorINSA_10device_ptrIsEEEEPS6_NSA_18transform_iteratorINSB_9not_fun_tI7is_trueIsEEENSC_INSD_IbEEEENSA_11use_defaultESO_EENS0_5tupleIJSF_S6_EEENSQ_IJSG_SG_EEES6_PlJS6_EEE10hipError_tPvRmT3_T4_T5_T6_T7_T9_mT8_P12ihipStream_tbDpT10_ENKUlT_T0_E_clISt17integral_constantIbLb1EES1C_IbLb0EEEEDaS18_S19_EUlS18_E_NS1_11comp_targetILNS1_3genE2ELNS1_11target_archE906ELNS1_3gpuE6ELNS1_3repE0EEENS1_30default_config_static_selectorELNS0_4arch9wavefront6targetE0EEEvT1_
    .private_segment_fixed_size: 0
    .sgpr_count:     0
    .sgpr_spill_count: 0
    .symbol:         _ZN7rocprim17ROCPRIM_400000_NS6detail17trampoline_kernelINS0_14default_configENS1_25partition_config_selectorILNS1_17partition_subalgoE5EsNS0_10empty_typeEbEEZZNS1_14partition_implILS5_5ELb0ES3_mN6thrust23THRUST_200600_302600_NS6detail15normal_iteratorINSA_10device_ptrIsEEEEPS6_NSA_18transform_iteratorINSB_9not_fun_tI7is_trueIsEEENSC_INSD_IbEEEENSA_11use_defaultESO_EENS0_5tupleIJSF_S6_EEENSQ_IJSG_SG_EEES6_PlJS6_EEE10hipError_tPvRmT3_T4_T5_T6_T7_T9_mT8_P12ihipStream_tbDpT10_ENKUlT_T0_E_clISt17integral_constantIbLb1EES1C_IbLb0EEEEDaS18_S19_EUlS18_E_NS1_11comp_targetILNS1_3genE2ELNS1_11target_archE906ELNS1_3gpuE6ELNS1_3repE0EEENS1_30default_config_static_selectorELNS0_4arch9wavefront6targetE0EEEvT1_.kd
    .uniform_work_group_size: 1
    .uses_dynamic_stack: false
    .vgpr_count:     0
    .vgpr_spill_count: 0
    .wavefront_size: 32
    .workgroup_processor_mode: 1
  - .args:
      - .offset:         0
        .size:           120
        .value_kind:     by_value
    .group_segment_fixed_size: 0
    .kernarg_segment_align: 8
    .kernarg_segment_size: 120
    .language:       OpenCL C
    .language_version:
      - 2
      - 0
    .max_flat_workgroup_size: 256
    .name:           _ZN7rocprim17ROCPRIM_400000_NS6detail17trampoline_kernelINS0_14default_configENS1_25partition_config_selectorILNS1_17partition_subalgoE5EsNS0_10empty_typeEbEEZZNS1_14partition_implILS5_5ELb0ES3_mN6thrust23THRUST_200600_302600_NS6detail15normal_iteratorINSA_10device_ptrIsEEEEPS6_NSA_18transform_iteratorINSB_9not_fun_tI7is_trueIsEEENSC_INSD_IbEEEENSA_11use_defaultESO_EENS0_5tupleIJSF_S6_EEENSQ_IJSG_SG_EEES6_PlJS6_EEE10hipError_tPvRmT3_T4_T5_T6_T7_T9_mT8_P12ihipStream_tbDpT10_ENKUlT_T0_E_clISt17integral_constantIbLb1EES1C_IbLb0EEEEDaS18_S19_EUlS18_E_NS1_11comp_targetILNS1_3genE10ELNS1_11target_archE1200ELNS1_3gpuE4ELNS1_3repE0EEENS1_30default_config_static_selectorELNS0_4arch9wavefront6targetE0EEEvT1_
    .private_segment_fixed_size: 0
    .sgpr_count:     0
    .sgpr_spill_count: 0
    .symbol:         _ZN7rocprim17ROCPRIM_400000_NS6detail17trampoline_kernelINS0_14default_configENS1_25partition_config_selectorILNS1_17partition_subalgoE5EsNS0_10empty_typeEbEEZZNS1_14partition_implILS5_5ELb0ES3_mN6thrust23THRUST_200600_302600_NS6detail15normal_iteratorINSA_10device_ptrIsEEEEPS6_NSA_18transform_iteratorINSB_9not_fun_tI7is_trueIsEEENSC_INSD_IbEEEENSA_11use_defaultESO_EENS0_5tupleIJSF_S6_EEENSQ_IJSG_SG_EEES6_PlJS6_EEE10hipError_tPvRmT3_T4_T5_T6_T7_T9_mT8_P12ihipStream_tbDpT10_ENKUlT_T0_E_clISt17integral_constantIbLb1EES1C_IbLb0EEEEDaS18_S19_EUlS18_E_NS1_11comp_targetILNS1_3genE10ELNS1_11target_archE1200ELNS1_3gpuE4ELNS1_3repE0EEENS1_30default_config_static_selectorELNS0_4arch9wavefront6targetE0EEEvT1_.kd
    .uniform_work_group_size: 1
    .uses_dynamic_stack: false
    .vgpr_count:     0
    .vgpr_spill_count: 0
    .wavefront_size: 32
    .workgroup_processor_mode: 1
  - .args:
      - .offset:         0
        .size:           120
        .value_kind:     by_value
    .group_segment_fixed_size: 0
    .kernarg_segment_align: 8
    .kernarg_segment_size: 120
    .language:       OpenCL C
    .language_version:
      - 2
      - 0
    .max_flat_workgroup_size: 128
    .name:           _ZN7rocprim17ROCPRIM_400000_NS6detail17trampoline_kernelINS0_14default_configENS1_25partition_config_selectorILNS1_17partition_subalgoE5EsNS0_10empty_typeEbEEZZNS1_14partition_implILS5_5ELb0ES3_mN6thrust23THRUST_200600_302600_NS6detail15normal_iteratorINSA_10device_ptrIsEEEEPS6_NSA_18transform_iteratorINSB_9not_fun_tI7is_trueIsEEENSC_INSD_IbEEEENSA_11use_defaultESO_EENS0_5tupleIJSF_S6_EEENSQ_IJSG_SG_EEES6_PlJS6_EEE10hipError_tPvRmT3_T4_T5_T6_T7_T9_mT8_P12ihipStream_tbDpT10_ENKUlT_T0_E_clISt17integral_constantIbLb1EES1C_IbLb0EEEEDaS18_S19_EUlS18_E_NS1_11comp_targetILNS1_3genE9ELNS1_11target_archE1100ELNS1_3gpuE3ELNS1_3repE0EEENS1_30default_config_static_selectorELNS0_4arch9wavefront6targetE0EEEvT1_
    .private_segment_fixed_size: 0
    .sgpr_count:     0
    .sgpr_spill_count: 0
    .symbol:         _ZN7rocprim17ROCPRIM_400000_NS6detail17trampoline_kernelINS0_14default_configENS1_25partition_config_selectorILNS1_17partition_subalgoE5EsNS0_10empty_typeEbEEZZNS1_14partition_implILS5_5ELb0ES3_mN6thrust23THRUST_200600_302600_NS6detail15normal_iteratorINSA_10device_ptrIsEEEEPS6_NSA_18transform_iteratorINSB_9not_fun_tI7is_trueIsEEENSC_INSD_IbEEEENSA_11use_defaultESO_EENS0_5tupleIJSF_S6_EEENSQ_IJSG_SG_EEES6_PlJS6_EEE10hipError_tPvRmT3_T4_T5_T6_T7_T9_mT8_P12ihipStream_tbDpT10_ENKUlT_T0_E_clISt17integral_constantIbLb1EES1C_IbLb0EEEEDaS18_S19_EUlS18_E_NS1_11comp_targetILNS1_3genE9ELNS1_11target_archE1100ELNS1_3gpuE3ELNS1_3repE0EEENS1_30default_config_static_selectorELNS0_4arch9wavefront6targetE0EEEvT1_.kd
    .uniform_work_group_size: 1
    .uses_dynamic_stack: false
    .vgpr_count:     0
    .vgpr_spill_count: 0
    .wavefront_size: 32
    .workgroup_processor_mode: 1
  - .args:
      - .offset:         0
        .size:           120
        .value_kind:     by_value
    .group_segment_fixed_size: 0
    .kernarg_segment_align: 8
    .kernarg_segment_size: 120
    .language:       OpenCL C
    .language_version:
      - 2
      - 0
    .max_flat_workgroup_size: 256
    .name:           _ZN7rocprim17ROCPRIM_400000_NS6detail17trampoline_kernelINS0_14default_configENS1_25partition_config_selectorILNS1_17partition_subalgoE5EsNS0_10empty_typeEbEEZZNS1_14partition_implILS5_5ELb0ES3_mN6thrust23THRUST_200600_302600_NS6detail15normal_iteratorINSA_10device_ptrIsEEEEPS6_NSA_18transform_iteratorINSB_9not_fun_tI7is_trueIsEEENSC_INSD_IbEEEENSA_11use_defaultESO_EENS0_5tupleIJSF_S6_EEENSQ_IJSG_SG_EEES6_PlJS6_EEE10hipError_tPvRmT3_T4_T5_T6_T7_T9_mT8_P12ihipStream_tbDpT10_ENKUlT_T0_E_clISt17integral_constantIbLb1EES1C_IbLb0EEEEDaS18_S19_EUlS18_E_NS1_11comp_targetILNS1_3genE8ELNS1_11target_archE1030ELNS1_3gpuE2ELNS1_3repE0EEENS1_30default_config_static_selectorELNS0_4arch9wavefront6targetE0EEEvT1_
    .private_segment_fixed_size: 0
    .sgpr_count:     0
    .sgpr_spill_count: 0
    .symbol:         _ZN7rocprim17ROCPRIM_400000_NS6detail17trampoline_kernelINS0_14default_configENS1_25partition_config_selectorILNS1_17partition_subalgoE5EsNS0_10empty_typeEbEEZZNS1_14partition_implILS5_5ELb0ES3_mN6thrust23THRUST_200600_302600_NS6detail15normal_iteratorINSA_10device_ptrIsEEEEPS6_NSA_18transform_iteratorINSB_9not_fun_tI7is_trueIsEEENSC_INSD_IbEEEENSA_11use_defaultESO_EENS0_5tupleIJSF_S6_EEENSQ_IJSG_SG_EEES6_PlJS6_EEE10hipError_tPvRmT3_T4_T5_T6_T7_T9_mT8_P12ihipStream_tbDpT10_ENKUlT_T0_E_clISt17integral_constantIbLb1EES1C_IbLb0EEEEDaS18_S19_EUlS18_E_NS1_11comp_targetILNS1_3genE8ELNS1_11target_archE1030ELNS1_3gpuE2ELNS1_3repE0EEENS1_30default_config_static_selectorELNS0_4arch9wavefront6targetE0EEEvT1_.kd
    .uniform_work_group_size: 1
    .uses_dynamic_stack: false
    .vgpr_count:     0
    .vgpr_spill_count: 0
    .wavefront_size: 32
    .workgroup_processor_mode: 1
  - .args:
      - .offset:         0
        .size:           136
        .value_kind:     by_value
    .group_segment_fixed_size: 0
    .kernarg_segment_align: 8
    .kernarg_segment_size: 136
    .language:       OpenCL C
    .language_version:
      - 2
      - 0
    .max_flat_workgroup_size: 256
    .name:           _ZN7rocprim17ROCPRIM_400000_NS6detail17trampoline_kernelINS0_14default_configENS1_25partition_config_selectorILNS1_17partition_subalgoE5EsNS0_10empty_typeEbEEZZNS1_14partition_implILS5_5ELb0ES3_mN6thrust23THRUST_200600_302600_NS6detail15normal_iteratorINSA_10device_ptrIsEEEEPS6_NSA_18transform_iteratorINSB_9not_fun_tI7is_trueIsEEENSC_INSD_IbEEEENSA_11use_defaultESO_EENS0_5tupleIJSF_S6_EEENSQ_IJSG_SG_EEES6_PlJS6_EEE10hipError_tPvRmT3_T4_T5_T6_T7_T9_mT8_P12ihipStream_tbDpT10_ENKUlT_T0_E_clISt17integral_constantIbLb0EES1C_IbLb1EEEEDaS18_S19_EUlS18_E_NS1_11comp_targetILNS1_3genE0ELNS1_11target_archE4294967295ELNS1_3gpuE0ELNS1_3repE0EEENS1_30default_config_static_selectorELNS0_4arch9wavefront6targetE0EEEvT1_
    .private_segment_fixed_size: 0
    .sgpr_count:     0
    .sgpr_spill_count: 0
    .symbol:         _ZN7rocprim17ROCPRIM_400000_NS6detail17trampoline_kernelINS0_14default_configENS1_25partition_config_selectorILNS1_17partition_subalgoE5EsNS0_10empty_typeEbEEZZNS1_14partition_implILS5_5ELb0ES3_mN6thrust23THRUST_200600_302600_NS6detail15normal_iteratorINSA_10device_ptrIsEEEEPS6_NSA_18transform_iteratorINSB_9not_fun_tI7is_trueIsEEENSC_INSD_IbEEEENSA_11use_defaultESO_EENS0_5tupleIJSF_S6_EEENSQ_IJSG_SG_EEES6_PlJS6_EEE10hipError_tPvRmT3_T4_T5_T6_T7_T9_mT8_P12ihipStream_tbDpT10_ENKUlT_T0_E_clISt17integral_constantIbLb0EES1C_IbLb1EEEEDaS18_S19_EUlS18_E_NS1_11comp_targetILNS1_3genE0ELNS1_11target_archE4294967295ELNS1_3gpuE0ELNS1_3repE0EEENS1_30default_config_static_selectorELNS0_4arch9wavefront6targetE0EEEvT1_.kd
    .uniform_work_group_size: 1
    .uses_dynamic_stack: false
    .vgpr_count:     0
    .vgpr_spill_count: 0
    .wavefront_size: 32
    .workgroup_processor_mode: 1
  - .args:
      - .offset:         0
        .size:           136
        .value_kind:     by_value
    .group_segment_fixed_size: 0
    .kernarg_segment_align: 8
    .kernarg_segment_size: 136
    .language:       OpenCL C
    .language_version:
      - 2
      - 0
    .max_flat_workgroup_size: 512
    .name:           _ZN7rocprim17ROCPRIM_400000_NS6detail17trampoline_kernelINS0_14default_configENS1_25partition_config_selectorILNS1_17partition_subalgoE5EsNS0_10empty_typeEbEEZZNS1_14partition_implILS5_5ELb0ES3_mN6thrust23THRUST_200600_302600_NS6detail15normal_iteratorINSA_10device_ptrIsEEEEPS6_NSA_18transform_iteratorINSB_9not_fun_tI7is_trueIsEEENSC_INSD_IbEEEENSA_11use_defaultESO_EENS0_5tupleIJSF_S6_EEENSQ_IJSG_SG_EEES6_PlJS6_EEE10hipError_tPvRmT3_T4_T5_T6_T7_T9_mT8_P12ihipStream_tbDpT10_ENKUlT_T0_E_clISt17integral_constantIbLb0EES1C_IbLb1EEEEDaS18_S19_EUlS18_E_NS1_11comp_targetILNS1_3genE5ELNS1_11target_archE942ELNS1_3gpuE9ELNS1_3repE0EEENS1_30default_config_static_selectorELNS0_4arch9wavefront6targetE0EEEvT1_
    .private_segment_fixed_size: 0
    .sgpr_count:     0
    .sgpr_spill_count: 0
    .symbol:         _ZN7rocprim17ROCPRIM_400000_NS6detail17trampoline_kernelINS0_14default_configENS1_25partition_config_selectorILNS1_17partition_subalgoE5EsNS0_10empty_typeEbEEZZNS1_14partition_implILS5_5ELb0ES3_mN6thrust23THRUST_200600_302600_NS6detail15normal_iteratorINSA_10device_ptrIsEEEEPS6_NSA_18transform_iteratorINSB_9not_fun_tI7is_trueIsEEENSC_INSD_IbEEEENSA_11use_defaultESO_EENS0_5tupleIJSF_S6_EEENSQ_IJSG_SG_EEES6_PlJS6_EEE10hipError_tPvRmT3_T4_T5_T6_T7_T9_mT8_P12ihipStream_tbDpT10_ENKUlT_T0_E_clISt17integral_constantIbLb0EES1C_IbLb1EEEEDaS18_S19_EUlS18_E_NS1_11comp_targetILNS1_3genE5ELNS1_11target_archE942ELNS1_3gpuE9ELNS1_3repE0EEENS1_30default_config_static_selectorELNS0_4arch9wavefront6targetE0EEEvT1_.kd
    .uniform_work_group_size: 1
    .uses_dynamic_stack: false
    .vgpr_count:     0
    .vgpr_spill_count: 0
    .wavefront_size: 32
    .workgroup_processor_mode: 1
  - .args:
      - .offset:         0
        .size:           136
        .value_kind:     by_value
    .group_segment_fixed_size: 0
    .kernarg_segment_align: 8
    .kernarg_segment_size: 136
    .language:       OpenCL C
    .language_version:
      - 2
      - 0
    .max_flat_workgroup_size: 256
    .name:           _ZN7rocprim17ROCPRIM_400000_NS6detail17trampoline_kernelINS0_14default_configENS1_25partition_config_selectorILNS1_17partition_subalgoE5EsNS0_10empty_typeEbEEZZNS1_14partition_implILS5_5ELb0ES3_mN6thrust23THRUST_200600_302600_NS6detail15normal_iteratorINSA_10device_ptrIsEEEEPS6_NSA_18transform_iteratorINSB_9not_fun_tI7is_trueIsEEENSC_INSD_IbEEEENSA_11use_defaultESO_EENS0_5tupleIJSF_S6_EEENSQ_IJSG_SG_EEES6_PlJS6_EEE10hipError_tPvRmT3_T4_T5_T6_T7_T9_mT8_P12ihipStream_tbDpT10_ENKUlT_T0_E_clISt17integral_constantIbLb0EES1C_IbLb1EEEEDaS18_S19_EUlS18_E_NS1_11comp_targetILNS1_3genE4ELNS1_11target_archE910ELNS1_3gpuE8ELNS1_3repE0EEENS1_30default_config_static_selectorELNS0_4arch9wavefront6targetE0EEEvT1_
    .private_segment_fixed_size: 0
    .sgpr_count:     0
    .sgpr_spill_count: 0
    .symbol:         _ZN7rocprim17ROCPRIM_400000_NS6detail17trampoline_kernelINS0_14default_configENS1_25partition_config_selectorILNS1_17partition_subalgoE5EsNS0_10empty_typeEbEEZZNS1_14partition_implILS5_5ELb0ES3_mN6thrust23THRUST_200600_302600_NS6detail15normal_iteratorINSA_10device_ptrIsEEEEPS6_NSA_18transform_iteratorINSB_9not_fun_tI7is_trueIsEEENSC_INSD_IbEEEENSA_11use_defaultESO_EENS0_5tupleIJSF_S6_EEENSQ_IJSG_SG_EEES6_PlJS6_EEE10hipError_tPvRmT3_T4_T5_T6_T7_T9_mT8_P12ihipStream_tbDpT10_ENKUlT_T0_E_clISt17integral_constantIbLb0EES1C_IbLb1EEEEDaS18_S19_EUlS18_E_NS1_11comp_targetILNS1_3genE4ELNS1_11target_archE910ELNS1_3gpuE8ELNS1_3repE0EEENS1_30default_config_static_selectorELNS0_4arch9wavefront6targetE0EEEvT1_.kd
    .uniform_work_group_size: 1
    .uses_dynamic_stack: false
    .vgpr_count:     0
    .vgpr_spill_count: 0
    .wavefront_size: 32
    .workgroup_processor_mode: 1
  - .args:
      - .offset:         0
        .size:           136
        .value_kind:     by_value
    .group_segment_fixed_size: 0
    .kernarg_segment_align: 8
    .kernarg_segment_size: 136
    .language:       OpenCL C
    .language_version:
      - 2
      - 0
    .max_flat_workgroup_size: 256
    .name:           _ZN7rocprim17ROCPRIM_400000_NS6detail17trampoline_kernelINS0_14default_configENS1_25partition_config_selectorILNS1_17partition_subalgoE5EsNS0_10empty_typeEbEEZZNS1_14partition_implILS5_5ELb0ES3_mN6thrust23THRUST_200600_302600_NS6detail15normal_iteratorINSA_10device_ptrIsEEEEPS6_NSA_18transform_iteratorINSB_9not_fun_tI7is_trueIsEEENSC_INSD_IbEEEENSA_11use_defaultESO_EENS0_5tupleIJSF_S6_EEENSQ_IJSG_SG_EEES6_PlJS6_EEE10hipError_tPvRmT3_T4_T5_T6_T7_T9_mT8_P12ihipStream_tbDpT10_ENKUlT_T0_E_clISt17integral_constantIbLb0EES1C_IbLb1EEEEDaS18_S19_EUlS18_E_NS1_11comp_targetILNS1_3genE3ELNS1_11target_archE908ELNS1_3gpuE7ELNS1_3repE0EEENS1_30default_config_static_selectorELNS0_4arch9wavefront6targetE0EEEvT1_
    .private_segment_fixed_size: 0
    .sgpr_count:     0
    .sgpr_spill_count: 0
    .symbol:         _ZN7rocprim17ROCPRIM_400000_NS6detail17trampoline_kernelINS0_14default_configENS1_25partition_config_selectorILNS1_17partition_subalgoE5EsNS0_10empty_typeEbEEZZNS1_14partition_implILS5_5ELb0ES3_mN6thrust23THRUST_200600_302600_NS6detail15normal_iteratorINSA_10device_ptrIsEEEEPS6_NSA_18transform_iteratorINSB_9not_fun_tI7is_trueIsEEENSC_INSD_IbEEEENSA_11use_defaultESO_EENS0_5tupleIJSF_S6_EEENSQ_IJSG_SG_EEES6_PlJS6_EEE10hipError_tPvRmT3_T4_T5_T6_T7_T9_mT8_P12ihipStream_tbDpT10_ENKUlT_T0_E_clISt17integral_constantIbLb0EES1C_IbLb1EEEEDaS18_S19_EUlS18_E_NS1_11comp_targetILNS1_3genE3ELNS1_11target_archE908ELNS1_3gpuE7ELNS1_3repE0EEENS1_30default_config_static_selectorELNS0_4arch9wavefront6targetE0EEEvT1_.kd
    .uniform_work_group_size: 1
    .uses_dynamic_stack: false
    .vgpr_count:     0
    .vgpr_spill_count: 0
    .wavefront_size: 32
    .workgroup_processor_mode: 1
  - .args:
      - .offset:         0
        .size:           136
        .value_kind:     by_value
    .group_segment_fixed_size: 0
    .kernarg_segment_align: 8
    .kernarg_segment_size: 136
    .language:       OpenCL C
    .language_version:
      - 2
      - 0
    .max_flat_workgroup_size: 256
    .name:           _ZN7rocprim17ROCPRIM_400000_NS6detail17trampoline_kernelINS0_14default_configENS1_25partition_config_selectorILNS1_17partition_subalgoE5EsNS0_10empty_typeEbEEZZNS1_14partition_implILS5_5ELb0ES3_mN6thrust23THRUST_200600_302600_NS6detail15normal_iteratorINSA_10device_ptrIsEEEEPS6_NSA_18transform_iteratorINSB_9not_fun_tI7is_trueIsEEENSC_INSD_IbEEEENSA_11use_defaultESO_EENS0_5tupleIJSF_S6_EEENSQ_IJSG_SG_EEES6_PlJS6_EEE10hipError_tPvRmT3_T4_T5_T6_T7_T9_mT8_P12ihipStream_tbDpT10_ENKUlT_T0_E_clISt17integral_constantIbLb0EES1C_IbLb1EEEEDaS18_S19_EUlS18_E_NS1_11comp_targetILNS1_3genE2ELNS1_11target_archE906ELNS1_3gpuE6ELNS1_3repE0EEENS1_30default_config_static_selectorELNS0_4arch9wavefront6targetE0EEEvT1_
    .private_segment_fixed_size: 0
    .sgpr_count:     0
    .sgpr_spill_count: 0
    .symbol:         _ZN7rocprim17ROCPRIM_400000_NS6detail17trampoline_kernelINS0_14default_configENS1_25partition_config_selectorILNS1_17partition_subalgoE5EsNS0_10empty_typeEbEEZZNS1_14partition_implILS5_5ELb0ES3_mN6thrust23THRUST_200600_302600_NS6detail15normal_iteratorINSA_10device_ptrIsEEEEPS6_NSA_18transform_iteratorINSB_9not_fun_tI7is_trueIsEEENSC_INSD_IbEEEENSA_11use_defaultESO_EENS0_5tupleIJSF_S6_EEENSQ_IJSG_SG_EEES6_PlJS6_EEE10hipError_tPvRmT3_T4_T5_T6_T7_T9_mT8_P12ihipStream_tbDpT10_ENKUlT_T0_E_clISt17integral_constantIbLb0EES1C_IbLb1EEEEDaS18_S19_EUlS18_E_NS1_11comp_targetILNS1_3genE2ELNS1_11target_archE906ELNS1_3gpuE6ELNS1_3repE0EEENS1_30default_config_static_selectorELNS0_4arch9wavefront6targetE0EEEvT1_.kd
    .uniform_work_group_size: 1
    .uses_dynamic_stack: false
    .vgpr_count:     0
    .vgpr_spill_count: 0
    .wavefront_size: 32
    .workgroup_processor_mode: 1
  - .args:
      - .offset:         0
        .size:           136
        .value_kind:     by_value
    .group_segment_fixed_size: 6160
    .kernarg_segment_align: 8
    .kernarg_segment_size: 136
    .language:       OpenCL C
    .language_version:
      - 2
      - 0
    .max_flat_workgroup_size: 256
    .name:           _ZN7rocprim17ROCPRIM_400000_NS6detail17trampoline_kernelINS0_14default_configENS1_25partition_config_selectorILNS1_17partition_subalgoE5EsNS0_10empty_typeEbEEZZNS1_14partition_implILS5_5ELb0ES3_mN6thrust23THRUST_200600_302600_NS6detail15normal_iteratorINSA_10device_ptrIsEEEEPS6_NSA_18transform_iteratorINSB_9not_fun_tI7is_trueIsEEENSC_INSD_IbEEEENSA_11use_defaultESO_EENS0_5tupleIJSF_S6_EEENSQ_IJSG_SG_EEES6_PlJS6_EEE10hipError_tPvRmT3_T4_T5_T6_T7_T9_mT8_P12ihipStream_tbDpT10_ENKUlT_T0_E_clISt17integral_constantIbLb0EES1C_IbLb1EEEEDaS18_S19_EUlS18_E_NS1_11comp_targetILNS1_3genE10ELNS1_11target_archE1200ELNS1_3gpuE4ELNS1_3repE0EEENS1_30default_config_static_selectorELNS0_4arch9wavefront6targetE0EEEvT1_
    .private_segment_fixed_size: 0
    .sgpr_count:     26
    .sgpr_spill_count: 0
    .symbol:         _ZN7rocprim17ROCPRIM_400000_NS6detail17trampoline_kernelINS0_14default_configENS1_25partition_config_selectorILNS1_17partition_subalgoE5EsNS0_10empty_typeEbEEZZNS1_14partition_implILS5_5ELb0ES3_mN6thrust23THRUST_200600_302600_NS6detail15normal_iteratorINSA_10device_ptrIsEEEEPS6_NSA_18transform_iteratorINSB_9not_fun_tI7is_trueIsEEENSC_INSD_IbEEEENSA_11use_defaultESO_EENS0_5tupleIJSF_S6_EEENSQ_IJSG_SG_EEES6_PlJS6_EEE10hipError_tPvRmT3_T4_T5_T6_T7_T9_mT8_P12ihipStream_tbDpT10_ENKUlT_T0_E_clISt17integral_constantIbLb0EES1C_IbLb1EEEEDaS18_S19_EUlS18_E_NS1_11comp_targetILNS1_3genE10ELNS1_11target_archE1200ELNS1_3gpuE4ELNS1_3repE0EEENS1_30default_config_static_selectorELNS0_4arch9wavefront6targetE0EEEvT1_.kd
    .uniform_work_group_size: 1
    .uses_dynamic_stack: false
    .vgpr_count:     65
    .vgpr_spill_count: 0
    .wavefront_size: 32
    .workgroup_processor_mode: 1
  - .args:
      - .offset:         0
        .size:           136
        .value_kind:     by_value
    .group_segment_fixed_size: 0
    .kernarg_segment_align: 8
    .kernarg_segment_size: 136
    .language:       OpenCL C
    .language_version:
      - 2
      - 0
    .max_flat_workgroup_size: 128
    .name:           _ZN7rocprim17ROCPRIM_400000_NS6detail17trampoline_kernelINS0_14default_configENS1_25partition_config_selectorILNS1_17partition_subalgoE5EsNS0_10empty_typeEbEEZZNS1_14partition_implILS5_5ELb0ES3_mN6thrust23THRUST_200600_302600_NS6detail15normal_iteratorINSA_10device_ptrIsEEEEPS6_NSA_18transform_iteratorINSB_9not_fun_tI7is_trueIsEEENSC_INSD_IbEEEENSA_11use_defaultESO_EENS0_5tupleIJSF_S6_EEENSQ_IJSG_SG_EEES6_PlJS6_EEE10hipError_tPvRmT3_T4_T5_T6_T7_T9_mT8_P12ihipStream_tbDpT10_ENKUlT_T0_E_clISt17integral_constantIbLb0EES1C_IbLb1EEEEDaS18_S19_EUlS18_E_NS1_11comp_targetILNS1_3genE9ELNS1_11target_archE1100ELNS1_3gpuE3ELNS1_3repE0EEENS1_30default_config_static_selectorELNS0_4arch9wavefront6targetE0EEEvT1_
    .private_segment_fixed_size: 0
    .sgpr_count:     0
    .sgpr_spill_count: 0
    .symbol:         _ZN7rocprim17ROCPRIM_400000_NS6detail17trampoline_kernelINS0_14default_configENS1_25partition_config_selectorILNS1_17partition_subalgoE5EsNS0_10empty_typeEbEEZZNS1_14partition_implILS5_5ELb0ES3_mN6thrust23THRUST_200600_302600_NS6detail15normal_iteratorINSA_10device_ptrIsEEEEPS6_NSA_18transform_iteratorINSB_9not_fun_tI7is_trueIsEEENSC_INSD_IbEEEENSA_11use_defaultESO_EENS0_5tupleIJSF_S6_EEENSQ_IJSG_SG_EEES6_PlJS6_EEE10hipError_tPvRmT3_T4_T5_T6_T7_T9_mT8_P12ihipStream_tbDpT10_ENKUlT_T0_E_clISt17integral_constantIbLb0EES1C_IbLb1EEEEDaS18_S19_EUlS18_E_NS1_11comp_targetILNS1_3genE9ELNS1_11target_archE1100ELNS1_3gpuE3ELNS1_3repE0EEENS1_30default_config_static_selectorELNS0_4arch9wavefront6targetE0EEEvT1_.kd
    .uniform_work_group_size: 1
    .uses_dynamic_stack: false
    .vgpr_count:     0
    .vgpr_spill_count: 0
    .wavefront_size: 32
    .workgroup_processor_mode: 1
  - .args:
      - .offset:         0
        .size:           136
        .value_kind:     by_value
    .group_segment_fixed_size: 0
    .kernarg_segment_align: 8
    .kernarg_segment_size: 136
    .language:       OpenCL C
    .language_version:
      - 2
      - 0
    .max_flat_workgroup_size: 256
    .name:           _ZN7rocprim17ROCPRIM_400000_NS6detail17trampoline_kernelINS0_14default_configENS1_25partition_config_selectorILNS1_17partition_subalgoE5EsNS0_10empty_typeEbEEZZNS1_14partition_implILS5_5ELb0ES3_mN6thrust23THRUST_200600_302600_NS6detail15normal_iteratorINSA_10device_ptrIsEEEEPS6_NSA_18transform_iteratorINSB_9not_fun_tI7is_trueIsEEENSC_INSD_IbEEEENSA_11use_defaultESO_EENS0_5tupleIJSF_S6_EEENSQ_IJSG_SG_EEES6_PlJS6_EEE10hipError_tPvRmT3_T4_T5_T6_T7_T9_mT8_P12ihipStream_tbDpT10_ENKUlT_T0_E_clISt17integral_constantIbLb0EES1C_IbLb1EEEEDaS18_S19_EUlS18_E_NS1_11comp_targetILNS1_3genE8ELNS1_11target_archE1030ELNS1_3gpuE2ELNS1_3repE0EEENS1_30default_config_static_selectorELNS0_4arch9wavefront6targetE0EEEvT1_
    .private_segment_fixed_size: 0
    .sgpr_count:     0
    .sgpr_spill_count: 0
    .symbol:         _ZN7rocprim17ROCPRIM_400000_NS6detail17trampoline_kernelINS0_14default_configENS1_25partition_config_selectorILNS1_17partition_subalgoE5EsNS0_10empty_typeEbEEZZNS1_14partition_implILS5_5ELb0ES3_mN6thrust23THRUST_200600_302600_NS6detail15normal_iteratorINSA_10device_ptrIsEEEEPS6_NSA_18transform_iteratorINSB_9not_fun_tI7is_trueIsEEENSC_INSD_IbEEEENSA_11use_defaultESO_EENS0_5tupleIJSF_S6_EEENSQ_IJSG_SG_EEES6_PlJS6_EEE10hipError_tPvRmT3_T4_T5_T6_T7_T9_mT8_P12ihipStream_tbDpT10_ENKUlT_T0_E_clISt17integral_constantIbLb0EES1C_IbLb1EEEEDaS18_S19_EUlS18_E_NS1_11comp_targetILNS1_3genE8ELNS1_11target_archE1030ELNS1_3gpuE2ELNS1_3repE0EEENS1_30default_config_static_selectorELNS0_4arch9wavefront6targetE0EEEvT1_.kd
    .uniform_work_group_size: 1
    .uses_dynamic_stack: false
    .vgpr_count:     0
    .vgpr_spill_count: 0
    .wavefront_size: 32
    .workgroup_processor_mode: 1
  - .args:
      - .offset:         0
        .size:           128
        .value_kind:     by_value
    .group_segment_fixed_size: 0
    .kernarg_segment_align: 8
    .kernarg_segment_size: 128
    .language:       OpenCL C
    .language_version:
      - 2
      - 0
    .max_flat_workgroup_size: 128
    .name:           _ZN7rocprim17ROCPRIM_400000_NS6detail17trampoline_kernelINS0_14default_configENS1_25partition_config_selectorILNS1_17partition_subalgoE5EdNS0_10empty_typeEbEEZZNS1_14partition_implILS5_5ELb0ES3_mN6thrust23THRUST_200600_302600_NS6detail15normal_iteratorINSA_10device_ptrIdEEEEPS6_NSA_18transform_iteratorINSB_9not_fun_tI7is_trueIdEEENSC_INSD_IbEEEENSA_11use_defaultESO_EENS0_5tupleIJNSA_16discard_iteratorISO_EES6_EEENSQ_IJSG_SG_EEES6_PlJS6_EEE10hipError_tPvRmT3_T4_T5_T6_T7_T9_mT8_P12ihipStream_tbDpT10_ENKUlT_T0_E_clISt17integral_constantIbLb0EES1F_EEDaS1A_S1B_EUlS1A_E_NS1_11comp_targetILNS1_3genE0ELNS1_11target_archE4294967295ELNS1_3gpuE0ELNS1_3repE0EEENS1_30default_config_static_selectorELNS0_4arch9wavefront6targetE0EEEvT1_
    .private_segment_fixed_size: 0
    .sgpr_count:     0
    .sgpr_spill_count: 0
    .symbol:         _ZN7rocprim17ROCPRIM_400000_NS6detail17trampoline_kernelINS0_14default_configENS1_25partition_config_selectorILNS1_17partition_subalgoE5EdNS0_10empty_typeEbEEZZNS1_14partition_implILS5_5ELb0ES3_mN6thrust23THRUST_200600_302600_NS6detail15normal_iteratorINSA_10device_ptrIdEEEEPS6_NSA_18transform_iteratorINSB_9not_fun_tI7is_trueIdEEENSC_INSD_IbEEEENSA_11use_defaultESO_EENS0_5tupleIJNSA_16discard_iteratorISO_EES6_EEENSQ_IJSG_SG_EEES6_PlJS6_EEE10hipError_tPvRmT3_T4_T5_T6_T7_T9_mT8_P12ihipStream_tbDpT10_ENKUlT_T0_E_clISt17integral_constantIbLb0EES1F_EEDaS1A_S1B_EUlS1A_E_NS1_11comp_targetILNS1_3genE0ELNS1_11target_archE4294967295ELNS1_3gpuE0ELNS1_3repE0EEENS1_30default_config_static_selectorELNS0_4arch9wavefront6targetE0EEEvT1_.kd
    .uniform_work_group_size: 1
    .uses_dynamic_stack: false
    .vgpr_count:     0
    .vgpr_spill_count: 0
    .wavefront_size: 32
    .workgroup_processor_mode: 1
  - .args:
      - .offset:         0
        .size:           128
        .value_kind:     by_value
    .group_segment_fixed_size: 0
    .kernarg_segment_align: 8
    .kernarg_segment_size: 128
    .language:       OpenCL C
    .language_version:
      - 2
      - 0
    .max_flat_workgroup_size: 512
    .name:           _ZN7rocprim17ROCPRIM_400000_NS6detail17trampoline_kernelINS0_14default_configENS1_25partition_config_selectorILNS1_17partition_subalgoE5EdNS0_10empty_typeEbEEZZNS1_14partition_implILS5_5ELb0ES3_mN6thrust23THRUST_200600_302600_NS6detail15normal_iteratorINSA_10device_ptrIdEEEEPS6_NSA_18transform_iteratorINSB_9not_fun_tI7is_trueIdEEENSC_INSD_IbEEEENSA_11use_defaultESO_EENS0_5tupleIJNSA_16discard_iteratorISO_EES6_EEENSQ_IJSG_SG_EEES6_PlJS6_EEE10hipError_tPvRmT3_T4_T5_T6_T7_T9_mT8_P12ihipStream_tbDpT10_ENKUlT_T0_E_clISt17integral_constantIbLb0EES1F_EEDaS1A_S1B_EUlS1A_E_NS1_11comp_targetILNS1_3genE5ELNS1_11target_archE942ELNS1_3gpuE9ELNS1_3repE0EEENS1_30default_config_static_selectorELNS0_4arch9wavefront6targetE0EEEvT1_
    .private_segment_fixed_size: 0
    .sgpr_count:     0
    .sgpr_spill_count: 0
    .symbol:         _ZN7rocprim17ROCPRIM_400000_NS6detail17trampoline_kernelINS0_14default_configENS1_25partition_config_selectorILNS1_17partition_subalgoE5EdNS0_10empty_typeEbEEZZNS1_14partition_implILS5_5ELb0ES3_mN6thrust23THRUST_200600_302600_NS6detail15normal_iteratorINSA_10device_ptrIdEEEEPS6_NSA_18transform_iteratorINSB_9not_fun_tI7is_trueIdEEENSC_INSD_IbEEEENSA_11use_defaultESO_EENS0_5tupleIJNSA_16discard_iteratorISO_EES6_EEENSQ_IJSG_SG_EEES6_PlJS6_EEE10hipError_tPvRmT3_T4_T5_T6_T7_T9_mT8_P12ihipStream_tbDpT10_ENKUlT_T0_E_clISt17integral_constantIbLb0EES1F_EEDaS1A_S1B_EUlS1A_E_NS1_11comp_targetILNS1_3genE5ELNS1_11target_archE942ELNS1_3gpuE9ELNS1_3repE0EEENS1_30default_config_static_selectorELNS0_4arch9wavefront6targetE0EEEvT1_.kd
    .uniform_work_group_size: 1
    .uses_dynamic_stack: false
    .vgpr_count:     0
    .vgpr_spill_count: 0
    .wavefront_size: 32
    .workgroup_processor_mode: 1
  - .args:
      - .offset:         0
        .size:           128
        .value_kind:     by_value
    .group_segment_fixed_size: 0
    .kernarg_segment_align: 8
    .kernarg_segment_size: 128
    .language:       OpenCL C
    .language_version:
      - 2
      - 0
    .max_flat_workgroup_size: 192
    .name:           _ZN7rocprim17ROCPRIM_400000_NS6detail17trampoline_kernelINS0_14default_configENS1_25partition_config_selectorILNS1_17partition_subalgoE5EdNS0_10empty_typeEbEEZZNS1_14partition_implILS5_5ELb0ES3_mN6thrust23THRUST_200600_302600_NS6detail15normal_iteratorINSA_10device_ptrIdEEEEPS6_NSA_18transform_iteratorINSB_9not_fun_tI7is_trueIdEEENSC_INSD_IbEEEENSA_11use_defaultESO_EENS0_5tupleIJNSA_16discard_iteratorISO_EES6_EEENSQ_IJSG_SG_EEES6_PlJS6_EEE10hipError_tPvRmT3_T4_T5_T6_T7_T9_mT8_P12ihipStream_tbDpT10_ENKUlT_T0_E_clISt17integral_constantIbLb0EES1F_EEDaS1A_S1B_EUlS1A_E_NS1_11comp_targetILNS1_3genE4ELNS1_11target_archE910ELNS1_3gpuE8ELNS1_3repE0EEENS1_30default_config_static_selectorELNS0_4arch9wavefront6targetE0EEEvT1_
    .private_segment_fixed_size: 0
    .sgpr_count:     0
    .sgpr_spill_count: 0
    .symbol:         _ZN7rocprim17ROCPRIM_400000_NS6detail17trampoline_kernelINS0_14default_configENS1_25partition_config_selectorILNS1_17partition_subalgoE5EdNS0_10empty_typeEbEEZZNS1_14partition_implILS5_5ELb0ES3_mN6thrust23THRUST_200600_302600_NS6detail15normal_iteratorINSA_10device_ptrIdEEEEPS6_NSA_18transform_iteratorINSB_9not_fun_tI7is_trueIdEEENSC_INSD_IbEEEENSA_11use_defaultESO_EENS0_5tupleIJNSA_16discard_iteratorISO_EES6_EEENSQ_IJSG_SG_EEES6_PlJS6_EEE10hipError_tPvRmT3_T4_T5_T6_T7_T9_mT8_P12ihipStream_tbDpT10_ENKUlT_T0_E_clISt17integral_constantIbLb0EES1F_EEDaS1A_S1B_EUlS1A_E_NS1_11comp_targetILNS1_3genE4ELNS1_11target_archE910ELNS1_3gpuE8ELNS1_3repE0EEENS1_30default_config_static_selectorELNS0_4arch9wavefront6targetE0EEEvT1_.kd
    .uniform_work_group_size: 1
    .uses_dynamic_stack: false
    .vgpr_count:     0
    .vgpr_spill_count: 0
    .wavefront_size: 32
    .workgroup_processor_mode: 1
  - .args:
      - .offset:         0
        .size:           128
        .value_kind:     by_value
    .group_segment_fixed_size: 0
    .kernarg_segment_align: 8
    .kernarg_segment_size: 128
    .language:       OpenCL C
    .language_version:
      - 2
      - 0
    .max_flat_workgroup_size: 128
    .name:           _ZN7rocprim17ROCPRIM_400000_NS6detail17trampoline_kernelINS0_14default_configENS1_25partition_config_selectorILNS1_17partition_subalgoE5EdNS0_10empty_typeEbEEZZNS1_14partition_implILS5_5ELb0ES3_mN6thrust23THRUST_200600_302600_NS6detail15normal_iteratorINSA_10device_ptrIdEEEEPS6_NSA_18transform_iteratorINSB_9not_fun_tI7is_trueIdEEENSC_INSD_IbEEEENSA_11use_defaultESO_EENS0_5tupleIJNSA_16discard_iteratorISO_EES6_EEENSQ_IJSG_SG_EEES6_PlJS6_EEE10hipError_tPvRmT3_T4_T5_T6_T7_T9_mT8_P12ihipStream_tbDpT10_ENKUlT_T0_E_clISt17integral_constantIbLb0EES1F_EEDaS1A_S1B_EUlS1A_E_NS1_11comp_targetILNS1_3genE3ELNS1_11target_archE908ELNS1_3gpuE7ELNS1_3repE0EEENS1_30default_config_static_selectorELNS0_4arch9wavefront6targetE0EEEvT1_
    .private_segment_fixed_size: 0
    .sgpr_count:     0
    .sgpr_spill_count: 0
    .symbol:         _ZN7rocprim17ROCPRIM_400000_NS6detail17trampoline_kernelINS0_14default_configENS1_25partition_config_selectorILNS1_17partition_subalgoE5EdNS0_10empty_typeEbEEZZNS1_14partition_implILS5_5ELb0ES3_mN6thrust23THRUST_200600_302600_NS6detail15normal_iteratorINSA_10device_ptrIdEEEEPS6_NSA_18transform_iteratorINSB_9not_fun_tI7is_trueIdEEENSC_INSD_IbEEEENSA_11use_defaultESO_EENS0_5tupleIJNSA_16discard_iteratorISO_EES6_EEENSQ_IJSG_SG_EEES6_PlJS6_EEE10hipError_tPvRmT3_T4_T5_T6_T7_T9_mT8_P12ihipStream_tbDpT10_ENKUlT_T0_E_clISt17integral_constantIbLb0EES1F_EEDaS1A_S1B_EUlS1A_E_NS1_11comp_targetILNS1_3genE3ELNS1_11target_archE908ELNS1_3gpuE7ELNS1_3repE0EEENS1_30default_config_static_selectorELNS0_4arch9wavefront6targetE0EEEvT1_.kd
    .uniform_work_group_size: 1
    .uses_dynamic_stack: false
    .vgpr_count:     0
    .vgpr_spill_count: 0
    .wavefront_size: 32
    .workgroup_processor_mode: 1
  - .args:
      - .offset:         0
        .size:           128
        .value_kind:     by_value
    .group_segment_fixed_size: 0
    .kernarg_segment_align: 8
    .kernarg_segment_size: 128
    .language:       OpenCL C
    .language_version:
      - 2
      - 0
    .max_flat_workgroup_size: 256
    .name:           _ZN7rocprim17ROCPRIM_400000_NS6detail17trampoline_kernelINS0_14default_configENS1_25partition_config_selectorILNS1_17partition_subalgoE5EdNS0_10empty_typeEbEEZZNS1_14partition_implILS5_5ELb0ES3_mN6thrust23THRUST_200600_302600_NS6detail15normal_iteratorINSA_10device_ptrIdEEEEPS6_NSA_18transform_iteratorINSB_9not_fun_tI7is_trueIdEEENSC_INSD_IbEEEENSA_11use_defaultESO_EENS0_5tupleIJNSA_16discard_iteratorISO_EES6_EEENSQ_IJSG_SG_EEES6_PlJS6_EEE10hipError_tPvRmT3_T4_T5_T6_T7_T9_mT8_P12ihipStream_tbDpT10_ENKUlT_T0_E_clISt17integral_constantIbLb0EES1F_EEDaS1A_S1B_EUlS1A_E_NS1_11comp_targetILNS1_3genE2ELNS1_11target_archE906ELNS1_3gpuE6ELNS1_3repE0EEENS1_30default_config_static_selectorELNS0_4arch9wavefront6targetE0EEEvT1_
    .private_segment_fixed_size: 0
    .sgpr_count:     0
    .sgpr_spill_count: 0
    .symbol:         _ZN7rocprim17ROCPRIM_400000_NS6detail17trampoline_kernelINS0_14default_configENS1_25partition_config_selectorILNS1_17partition_subalgoE5EdNS0_10empty_typeEbEEZZNS1_14partition_implILS5_5ELb0ES3_mN6thrust23THRUST_200600_302600_NS6detail15normal_iteratorINSA_10device_ptrIdEEEEPS6_NSA_18transform_iteratorINSB_9not_fun_tI7is_trueIdEEENSC_INSD_IbEEEENSA_11use_defaultESO_EENS0_5tupleIJNSA_16discard_iteratorISO_EES6_EEENSQ_IJSG_SG_EEES6_PlJS6_EEE10hipError_tPvRmT3_T4_T5_T6_T7_T9_mT8_P12ihipStream_tbDpT10_ENKUlT_T0_E_clISt17integral_constantIbLb0EES1F_EEDaS1A_S1B_EUlS1A_E_NS1_11comp_targetILNS1_3genE2ELNS1_11target_archE906ELNS1_3gpuE6ELNS1_3repE0EEENS1_30default_config_static_selectorELNS0_4arch9wavefront6targetE0EEEvT1_.kd
    .uniform_work_group_size: 1
    .uses_dynamic_stack: false
    .vgpr_count:     0
    .vgpr_spill_count: 0
    .wavefront_size: 32
    .workgroup_processor_mode: 1
  - .args:
      - .offset:         0
        .size:           128
        .value_kind:     by_value
    .group_segment_fixed_size: 10256
    .kernarg_segment_align: 8
    .kernarg_segment_size: 128
    .language:       OpenCL C
    .language_version:
      - 2
      - 0
    .max_flat_workgroup_size: 256
    .name:           _ZN7rocprim17ROCPRIM_400000_NS6detail17trampoline_kernelINS0_14default_configENS1_25partition_config_selectorILNS1_17partition_subalgoE5EdNS0_10empty_typeEbEEZZNS1_14partition_implILS5_5ELb0ES3_mN6thrust23THRUST_200600_302600_NS6detail15normal_iteratorINSA_10device_ptrIdEEEEPS6_NSA_18transform_iteratorINSB_9not_fun_tI7is_trueIdEEENSC_INSD_IbEEEENSA_11use_defaultESO_EENS0_5tupleIJNSA_16discard_iteratorISO_EES6_EEENSQ_IJSG_SG_EEES6_PlJS6_EEE10hipError_tPvRmT3_T4_T5_T6_T7_T9_mT8_P12ihipStream_tbDpT10_ENKUlT_T0_E_clISt17integral_constantIbLb0EES1F_EEDaS1A_S1B_EUlS1A_E_NS1_11comp_targetILNS1_3genE10ELNS1_11target_archE1200ELNS1_3gpuE4ELNS1_3repE0EEENS1_30default_config_static_selectorELNS0_4arch9wavefront6targetE0EEEvT1_
    .private_segment_fixed_size: 0
    .sgpr_count:     22
    .sgpr_spill_count: 0
    .symbol:         _ZN7rocprim17ROCPRIM_400000_NS6detail17trampoline_kernelINS0_14default_configENS1_25partition_config_selectorILNS1_17partition_subalgoE5EdNS0_10empty_typeEbEEZZNS1_14partition_implILS5_5ELb0ES3_mN6thrust23THRUST_200600_302600_NS6detail15normal_iteratorINSA_10device_ptrIdEEEEPS6_NSA_18transform_iteratorINSB_9not_fun_tI7is_trueIdEEENSC_INSD_IbEEEENSA_11use_defaultESO_EENS0_5tupleIJNSA_16discard_iteratorISO_EES6_EEENSQ_IJSG_SG_EEES6_PlJS6_EEE10hipError_tPvRmT3_T4_T5_T6_T7_T9_mT8_P12ihipStream_tbDpT10_ENKUlT_T0_E_clISt17integral_constantIbLb0EES1F_EEDaS1A_S1B_EUlS1A_E_NS1_11comp_targetILNS1_3genE10ELNS1_11target_archE1200ELNS1_3gpuE4ELNS1_3repE0EEENS1_30default_config_static_selectorELNS0_4arch9wavefront6targetE0EEEvT1_.kd
    .uniform_work_group_size: 1
    .uses_dynamic_stack: false
    .vgpr_count:     47
    .vgpr_spill_count: 0
    .wavefront_size: 32
    .workgroup_processor_mode: 1
  - .args:
      - .offset:         0
        .size:           128
        .value_kind:     by_value
    .group_segment_fixed_size: 0
    .kernarg_segment_align: 8
    .kernarg_segment_size: 128
    .language:       OpenCL C
    .language_version:
      - 2
      - 0
    .max_flat_workgroup_size: 128
    .name:           _ZN7rocprim17ROCPRIM_400000_NS6detail17trampoline_kernelINS0_14default_configENS1_25partition_config_selectorILNS1_17partition_subalgoE5EdNS0_10empty_typeEbEEZZNS1_14partition_implILS5_5ELb0ES3_mN6thrust23THRUST_200600_302600_NS6detail15normal_iteratorINSA_10device_ptrIdEEEEPS6_NSA_18transform_iteratorINSB_9not_fun_tI7is_trueIdEEENSC_INSD_IbEEEENSA_11use_defaultESO_EENS0_5tupleIJNSA_16discard_iteratorISO_EES6_EEENSQ_IJSG_SG_EEES6_PlJS6_EEE10hipError_tPvRmT3_T4_T5_T6_T7_T9_mT8_P12ihipStream_tbDpT10_ENKUlT_T0_E_clISt17integral_constantIbLb0EES1F_EEDaS1A_S1B_EUlS1A_E_NS1_11comp_targetILNS1_3genE9ELNS1_11target_archE1100ELNS1_3gpuE3ELNS1_3repE0EEENS1_30default_config_static_selectorELNS0_4arch9wavefront6targetE0EEEvT1_
    .private_segment_fixed_size: 0
    .sgpr_count:     0
    .sgpr_spill_count: 0
    .symbol:         _ZN7rocprim17ROCPRIM_400000_NS6detail17trampoline_kernelINS0_14default_configENS1_25partition_config_selectorILNS1_17partition_subalgoE5EdNS0_10empty_typeEbEEZZNS1_14partition_implILS5_5ELb0ES3_mN6thrust23THRUST_200600_302600_NS6detail15normal_iteratorINSA_10device_ptrIdEEEEPS6_NSA_18transform_iteratorINSB_9not_fun_tI7is_trueIdEEENSC_INSD_IbEEEENSA_11use_defaultESO_EENS0_5tupleIJNSA_16discard_iteratorISO_EES6_EEENSQ_IJSG_SG_EEES6_PlJS6_EEE10hipError_tPvRmT3_T4_T5_T6_T7_T9_mT8_P12ihipStream_tbDpT10_ENKUlT_T0_E_clISt17integral_constantIbLb0EES1F_EEDaS1A_S1B_EUlS1A_E_NS1_11comp_targetILNS1_3genE9ELNS1_11target_archE1100ELNS1_3gpuE3ELNS1_3repE0EEENS1_30default_config_static_selectorELNS0_4arch9wavefront6targetE0EEEvT1_.kd
    .uniform_work_group_size: 1
    .uses_dynamic_stack: false
    .vgpr_count:     0
    .vgpr_spill_count: 0
    .wavefront_size: 32
    .workgroup_processor_mode: 1
  - .args:
      - .offset:         0
        .size:           128
        .value_kind:     by_value
    .group_segment_fixed_size: 0
    .kernarg_segment_align: 8
    .kernarg_segment_size: 128
    .language:       OpenCL C
    .language_version:
      - 2
      - 0
    .max_flat_workgroup_size: 512
    .name:           _ZN7rocprim17ROCPRIM_400000_NS6detail17trampoline_kernelINS0_14default_configENS1_25partition_config_selectorILNS1_17partition_subalgoE5EdNS0_10empty_typeEbEEZZNS1_14partition_implILS5_5ELb0ES3_mN6thrust23THRUST_200600_302600_NS6detail15normal_iteratorINSA_10device_ptrIdEEEEPS6_NSA_18transform_iteratorINSB_9not_fun_tI7is_trueIdEEENSC_INSD_IbEEEENSA_11use_defaultESO_EENS0_5tupleIJNSA_16discard_iteratorISO_EES6_EEENSQ_IJSG_SG_EEES6_PlJS6_EEE10hipError_tPvRmT3_T4_T5_T6_T7_T9_mT8_P12ihipStream_tbDpT10_ENKUlT_T0_E_clISt17integral_constantIbLb0EES1F_EEDaS1A_S1B_EUlS1A_E_NS1_11comp_targetILNS1_3genE8ELNS1_11target_archE1030ELNS1_3gpuE2ELNS1_3repE0EEENS1_30default_config_static_selectorELNS0_4arch9wavefront6targetE0EEEvT1_
    .private_segment_fixed_size: 0
    .sgpr_count:     0
    .sgpr_spill_count: 0
    .symbol:         _ZN7rocprim17ROCPRIM_400000_NS6detail17trampoline_kernelINS0_14default_configENS1_25partition_config_selectorILNS1_17partition_subalgoE5EdNS0_10empty_typeEbEEZZNS1_14partition_implILS5_5ELb0ES3_mN6thrust23THRUST_200600_302600_NS6detail15normal_iteratorINSA_10device_ptrIdEEEEPS6_NSA_18transform_iteratorINSB_9not_fun_tI7is_trueIdEEENSC_INSD_IbEEEENSA_11use_defaultESO_EENS0_5tupleIJNSA_16discard_iteratorISO_EES6_EEENSQ_IJSG_SG_EEES6_PlJS6_EEE10hipError_tPvRmT3_T4_T5_T6_T7_T9_mT8_P12ihipStream_tbDpT10_ENKUlT_T0_E_clISt17integral_constantIbLb0EES1F_EEDaS1A_S1B_EUlS1A_E_NS1_11comp_targetILNS1_3genE8ELNS1_11target_archE1030ELNS1_3gpuE2ELNS1_3repE0EEENS1_30default_config_static_selectorELNS0_4arch9wavefront6targetE0EEEvT1_.kd
    .uniform_work_group_size: 1
    .uses_dynamic_stack: false
    .vgpr_count:     0
    .vgpr_spill_count: 0
    .wavefront_size: 32
    .workgroup_processor_mode: 1
  - .args:
      - .offset:         0
        .size:           144
        .value_kind:     by_value
    .group_segment_fixed_size: 0
    .kernarg_segment_align: 8
    .kernarg_segment_size: 144
    .language:       OpenCL C
    .language_version:
      - 2
      - 0
    .max_flat_workgroup_size: 128
    .name:           _ZN7rocprim17ROCPRIM_400000_NS6detail17trampoline_kernelINS0_14default_configENS1_25partition_config_selectorILNS1_17partition_subalgoE5EdNS0_10empty_typeEbEEZZNS1_14partition_implILS5_5ELb0ES3_mN6thrust23THRUST_200600_302600_NS6detail15normal_iteratorINSA_10device_ptrIdEEEEPS6_NSA_18transform_iteratorINSB_9not_fun_tI7is_trueIdEEENSC_INSD_IbEEEENSA_11use_defaultESO_EENS0_5tupleIJNSA_16discard_iteratorISO_EES6_EEENSQ_IJSG_SG_EEES6_PlJS6_EEE10hipError_tPvRmT3_T4_T5_T6_T7_T9_mT8_P12ihipStream_tbDpT10_ENKUlT_T0_E_clISt17integral_constantIbLb1EES1F_EEDaS1A_S1B_EUlS1A_E_NS1_11comp_targetILNS1_3genE0ELNS1_11target_archE4294967295ELNS1_3gpuE0ELNS1_3repE0EEENS1_30default_config_static_selectorELNS0_4arch9wavefront6targetE0EEEvT1_
    .private_segment_fixed_size: 0
    .sgpr_count:     0
    .sgpr_spill_count: 0
    .symbol:         _ZN7rocprim17ROCPRIM_400000_NS6detail17trampoline_kernelINS0_14default_configENS1_25partition_config_selectorILNS1_17partition_subalgoE5EdNS0_10empty_typeEbEEZZNS1_14partition_implILS5_5ELb0ES3_mN6thrust23THRUST_200600_302600_NS6detail15normal_iteratorINSA_10device_ptrIdEEEEPS6_NSA_18transform_iteratorINSB_9not_fun_tI7is_trueIdEEENSC_INSD_IbEEEENSA_11use_defaultESO_EENS0_5tupleIJNSA_16discard_iteratorISO_EES6_EEENSQ_IJSG_SG_EEES6_PlJS6_EEE10hipError_tPvRmT3_T4_T5_T6_T7_T9_mT8_P12ihipStream_tbDpT10_ENKUlT_T0_E_clISt17integral_constantIbLb1EES1F_EEDaS1A_S1B_EUlS1A_E_NS1_11comp_targetILNS1_3genE0ELNS1_11target_archE4294967295ELNS1_3gpuE0ELNS1_3repE0EEENS1_30default_config_static_selectorELNS0_4arch9wavefront6targetE0EEEvT1_.kd
    .uniform_work_group_size: 1
    .uses_dynamic_stack: false
    .vgpr_count:     0
    .vgpr_spill_count: 0
    .wavefront_size: 32
    .workgroup_processor_mode: 1
  - .args:
      - .offset:         0
        .size:           144
        .value_kind:     by_value
    .group_segment_fixed_size: 0
    .kernarg_segment_align: 8
    .kernarg_segment_size: 144
    .language:       OpenCL C
    .language_version:
      - 2
      - 0
    .max_flat_workgroup_size: 512
    .name:           _ZN7rocprim17ROCPRIM_400000_NS6detail17trampoline_kernelINS0_14default_configENS1_25partition_config_selectorILNS1_17partition_subalgoE5EdNS0_10empty_typeEbEEZZNS1_14partition_implILS5_5ELb0ES3_mN6thrust23THRUST_200600_302600_NS6detail15normal_iteratorINSA_10device_ptrIdEEEEPS6_NSA_18transform_iteratorINSB_9not_fun_tI7is_trueIdEEENSC_INSD_IbEEEENSA_11use_defaultESO_EENS0_5tupleIJNSA_16discard_iteratorISO_EES6_EEENSQ_IJSG_SG_EEES6_PlJS6_EEE10hipError_tPvRmT3_T4_T5_T6_T7_T9_mT8_P12ihipStream_tbDpT10_ENKUlT_T0_E_clISt17integral_constantIbLb1EES1F_EEDaS1A_S1B_EUlS1A_E_NS1_11comp_targetILNS1_3genE5ELNS1_11target_archE942ELNS1_3gpuE9ELNS1_3repE0EEENS1_30default_config_static_selectorELNS0_4arch9wavefront6targetE0EEEvT1_
    .private_segment_fixed_size: 0
    .sgpr_count:     0
    .sgpr_spill_count: 0
    .symbol:         _ZN7rocprim17ROCPRIM_400000_NS6detail17trampoline_kernelINS0_14default_configENS1_25partition_config_selectorILNS1_17partition_subalgoE5EdNS0_10empty_typeEbEEZZNS1_14partition_implILS5_5ELb0ES3_mN6thrust23THRUST_200600_302600_NS6detail15normal_iteratorINSA_10device_ptrIdEEEEPS6_NSA_18transform_iteratorINSB_9not_fun_tI7is_trueIdEEENSC_INSD_IbEEEENSA_11use_defaultESO_EENS0_5tupleIJNSA_16discard_iteratorISO_EES6_EEENSQ_IJSG_SG_EEES6_PlJS6_EEE10hipError_tPvRmT3_T4_T5_T6_T7_T9_mT8_P12ihipStream_tbDpT10_ENKUlT_T0_E_clISt17integral_constantIbLb1EES1F_EEDaS1A_S1B_EUlS1A_E_NS1_11comp_targetILNS1_3genE5ELNS1_11target_archE942ELNS1_3gpuE9ELNS1_3repE0EEENS1_30default_config_static_selectorELNS0_4arch9wavefront6targetE0EEEvT1_.kd
    .uniform_work_group_size: 1
    .uses_dynamic_stack: false
    .vgpr_count:     0
    .vgpr_spill_count: 0
    .wavefront_size: 32
    .workgroup_processor_mode: 1
  - .args:
      - .offset:         0
        .size:           144
        .value_kind:     by_value
    .group_segment_fixed_size: 0
    .kernarg_segment_align: 8
    .kernarg_segment_size: 144
    .language:       OpenCL C
    .language_version:
      - 2
      - 0
    .max_flat_workgroup_size: 192
    .name:           _ZN7rocprim17ROCPRIM_400000_NS6detail17trampoline_kernelINS0_14default_configENS1_25partition_config_selectorILNS1_17partition_subalgoE5EdNS0_10empty_typeEbEEZZNS1_14partition_implILS5_5ELb0ES3_mN6thrust23THRUST_200600_302600_NS6detail15normal_iteratorINSA_10device_ptrIdEEEEPS6_NSA_18transform_iteratorINSB_9not_fun_tI7is_trueIdEEENSC_INSD_IbEEEENSA_11use_defaultESO_EENS0_5tupleIJNSA_16discard_iteratorISO_EES6_EEENSQ_IJSG_SG_EEES6_PlJS6_EEE10hipError_tPvRmT3_T4_T5_T6_T7_T9_mT8_P12ihipStream_tbDpT10_ENKUlT_T0_E_clISt17integral_constantIbLb1EES1F_EEDaS1A_S1B_EUlS1A_E_NS1_11comp_targetILNS1_3genE4ELNS1_11target_archE910ELNS1_3gpuE8ELNS1_3repE0EEENS1_30default_config_static_selectorELNS0_4arch9wavefront6targetE0EEEvT1_
    .private_segment_fixed_size: 0
    .sgpr_count:     0
    .sgpr_spill_count: 0
    .symbol:         _ZN7rocprim17ROCPRIM_400000_NS6detail17trampoline_kernelINS0_14default_configENS1_25partition_config_selectorILNS1_17partition_subalgoE5EdNS0_10empty_typeEbEEZZNS1_14partition_implILS5_5ELb0ES3_mN6thrust23THRUST_200600_302600_NS6detail15normal_iteratorINSA_10device_ptrIdEEEEPS6_NSA_18transform_iteratorINSB_9not_fun_tI7is_trueIdEEENSC_INSD_IbEEEENSA_11use_defaultESO_EENS0_5tupleIJNSA_16discard_iteratorISO_EES6_EEENSQ_IJSG_SG_EEES6_PlJS6_EEE10hipError_tPvRmT3_T4_T5_T6_T7_T9_mT8_P12ihipStream_tbDpT10_ENKUlT_T0_E_clISt17integral_constantIbLb1EES1F_EEDaS1A_S1B_EUlS1A_E_NS1_11comp_targetILNS1_3genE4ELNS1_11target_archE910ELNS1_3gpuE8ELNS1_3repE0EEENS1_30default_config_static_selectorELNS0_4arch9wavefront6targetE0EEEvT1_.kd
    .uniform_work_group_size: 1
    .uses_dynamic_stack: false
    .vgpr_count:     0
    .vgpr_spill_count: 0
    .wavefront_size: 32
    .workgroup_processor_mode: 1
  - .args:
      - .offset:         0
        .size:           144
        .value_kind:     by_value
    .group_segment_fixed_size: 0
    .kernarg_segment_align: 8
    .kernarg_segment_size: 144
    .language:       OpenCL C
    .language_version:
      - 2
      - 0
    .max_flat_workgroup_size: 128
    .name:           _ZN7rocprim17ROCPRIM_400000_NS6detail17trampoline_kernelINS0_14default_configENS1_25partition_config_selectorILNS1_17partition_subalgoE5EdNS0_10empty_typeEbEEZZNS1_14partition_implILS5_5ELb0ES3_mN6thrust23THRUST_200600_302600_NS6detail15normal_iteratorINSA_10device_ptrIdEEEEPS6_NSA_18transform_iteratorINSB_9not_fun_tI7is_trueIdEEENSC_INSD_IbEEEENSA_11use_defaultESO_EENS0_5tupleIJNSA_16discard_iteratorISO_EES6_EEENSQ_IJSG_SG_EEES6_PlJS6_EEE10hipError_tPvRmT3_T4_T5_T6_T7_T9_mT8_P12ihipStream_tbDpT10_ENKUlT_T0_E_clISt17integral_constantIbLb1EES1F_EEDaS1A_S1B_EUlS1A_E_NS1_11comp_targetILNS1_3genE3ELNS1_11target_archE908ELNS1_3gpuE7ELNS1_3repE0EEENS1_30default_config_static_selectorELNS0_4arch9wavefront6targetE0EEEvT1_
    .private_segment_fixed_size: 0
    .sgpr_count:     0
    .sgpr_spill_count: 0
    .symbol:         _ZN7rocprim17ROCPRIM_400000_NS6detail17trampoline_kernelINS0_14default_configENS1_25partition_config_selectorILNS1_17partition_subalgoE5EdNS0_10empty_typeEbEEZZNS1_14partition_implILS5_5ELb0ES3_mN6thrust23THRUST_200600_302600_NS6detail15normal_iteratorINSA_10device_ptrIdEEEEPS6_NSA_18transform_iteratorINSB_9not_fun_tI7is_trueIdEEENSC_INSD_IbEEEENSA_11use_defaultESO_EENS0_5tupleIJNSA_16discard_iteratorISO_EES6_EEENSQ_IJSG_SG_EEES6_PlJS6_EEE10hipError_tPvRmT3_T4_T5_T6_T7_T9_mT8_P12ihipStream_tbDpT10_ENKUlT_T0_E_clISt17integral_constantIbLb1EES1F_EEDaS1A_S1B_EUlS1A_E_NS1_11comp_targetILNS1_3genE3ELNS1_11target_archE908ELNS1_3gpuE7ELNS1_3repE0EEENS1_30default_config_static_selectorELNS0_4arch9wavefront6targetE0EEEvT1_.kd
    .uniform_work_group_size: 1
    .uses_dynamic_stack: false
    .vgpr_count:     0
    .vgpr_spill_count: 0
    .wavefront_size: 32
    .workgroup_processor_mode: 1
  - .args:
      - .offset:         0
        .size:           144
        .value_kind:     by_value
    .group_segment_fixed_size: 0
    .kernarg_segment_align: 8
    .kernarg_segment_size: 144
    .language:       OpenCL C
    .language_version:
      - 2
      - 0
    .max_flat_workgroup_size: 256
    .name:           _ZN7rocprim17ROCPRIM_400000_NS6detail17trampoline_kernelINS0_14default_configENS1_25partition_config_selectorILNS1_17partition_subalgoE5EdNS0_10empty_typeEbEEZZNS1_14partition_implILS5_5ELb0ES3_mN6thrust23THRUST_200600_302600_NS6detail15normal_iteratorINSA_10device_ptrIdEEEEPS6_NSA_18transform_iteratorINSB_9not_fun_tI7is_trueIdEEENSC_INSD_IbEEEENSA_11use_defaultESO_EENS0_5tupleIJNSA_16discard_iteratorISO_EES6_EEENSQ_IJSG_SG_EEES6_PlJS6_EEE10hipError_tPvRmT3_T4_T5_T6_T7_T9_mT8_P12ihipStream_tbDpT10_ENKUlT_T0_E_clISt17integral_constantIbLb1EES1F_EEDaS1A_S1B_EUlS1A_E_NS1_11comp_targetILNS1_3genE2ELNS1_11target_archE906ELNS1_3gpuE6ELNS1_3repE0EEENS1_30default_config_static_selectorELNS0_4arch9wavefront6targetE0EEEvT1_
    .private_segment_fixed_size: 0
    .sgpr_count:     0
    .sgpr_spill_count: 0
    .symbol:         _ZN7rocprim17ROCPRIM_400000_NS6detail17trampoline_kernelINS0_14default_configENS1_25partition_config_selectorILNS1_17partition_subalgoE5EdNS0_10empty_typeEbEEZZNS1_14partition_implILS5_5ELb0ES3_mN6thrust23THRUST_200600_302600_NS6detail15normal_iteratorINSA_10device_ptrIdEEEEPS6_NSA_18transform_iteratorINSB_9not_fun_tI7is_trueIdEEENSC_INSD_IbEEEENSA_11use_defaultESO_EENS0_5tupleIJNSA_16discard_iteratorISO_EES6_EEENSQ_IJSG_SG_EEES6_PlJS6_EEE10hipError_tPvRmT3_T4_T5_T6_T7_T9_mT8_P12ihipStream_tbDpT10_ENKUlT_T0_E_clISt17integral_constantIbLb1EES1F_EEDaS1A_S1B_EUlS1A_E_NS1_11comp_targetILNS1_3genE2ELNS1_11target_archE906ELNS1_3gpuE6ELNS1_3repE0EEENS1_30default_config_static_selectorELNS0_4arch9wavefront6targetE0EEEvT1_.kd
    .uniform_work_group_size: 1
    .uses_dynamic_stack: false
    .vgpr_count:     0
    .vgpr_spill_count: 0
    .wavefront_size: 32
    .workgroup_processor_mode: 1
  - .args:
      - .offset:         0
        .size:           144
        .value_kind:     by_value
    .group_segment_fixed_size: 0
    .kernarg_segment_align: 8
    .kernarg_segment_size: 144
    .language:       OpenCL C
    .language_version:
      - 2
      - 0
    .max_flat_workgroup_size: 256
    .name:           _ZN7rocprim17ROCPRIM_400000_NS6detail17trampoline_kernelINS0_14default_configENS1_25partition_config_selectorILNS1_17partition_subalgoE5EdNS0_10empty_typeEbEEZZNS1_14partition_implILS5_5ELb0ES3_mN6thrust23THRUST_200600_302600_NS6detail15normal_iteratorINSA_10device_ptrIdEEEEPS6_NSA_18transform_iteratorINSB_9not_fun_tI7is_trueIdEEENSC_INSD_IbEEEENSA_11use_defaultESO_EENS0_5tupleIJNSA_16discard_iteratorISO_EES6_EEENSQ_IJSG_SG_EEES6_PlJS6_EEE10hipError_tPvRmT3_T4_T5_T6_T7_T9_mT8_P12ihipStream_tbDpT10_ENKUlT_T0_E_clISt17integral_constantIbLb1EES1F_EEDaS1A_S1B_EUlS1A_E_NS1_11comp_targetILNS1_3genE10ELNS1_11target_archE1200ELNS1_3gpuE4ELNS1_3repE0EEENS1_30default_config_static_selectorELNS0_4arch9wavefront6targetE0EEEvT1_
    .private_segment_fixed_size: 0
    .sgpr_count:     0
    .sgpr_spill_count: 0
    .symbol:         _ZN7rocprim17ROCPRIM_400000_NS6detail17trampoline_kernelINS0_14default_configENS1_25partition_config_selectorILNS1_17partition_subalgoE5EdNS0_10empty_typeEbEEZZNS1_14partition_implILS5_5ELb0ES3_mN6thrust23THRUST_200600_302600_NS6detail15normal_iteratorINSA_10device_ptrIdEEEEPS6_NSA_18transform_iteratorINSB_9not_fun_tI7is_trueIdEEENSC_INSD_IbEEEENSA_11use_defaultESO_EENS0_5tupleIJNSA_16discard_iteratorISO_EES6_EEENSQ_IJSG_SG_EEES6_PlJS6_EEE10hipError_tPvRmT3_T4_T5_T6_T7_T9_mT8_P12ihipStream_tbDpT10_ENKUlT_T0_E_clISt17integral_constantIbLb1EES1F_EEDaS1A_S1B_EUlS1A_E_NS1_11comp_targetILNS1_3genE10ELNS1_11target_archE1200ELNS1_3gpuE4ELNS1_3repE0EEENS1_30default_config_static_selectorELNS0_4arch9wavefront6targetE0EEEvT1_.kd
    .uniform_work_group_size: 1
    .uses_dynamic_stack: false
    .vgpr_count:     0
    .vgpr_spill_count: 0
    .wavefront_size: 32
    .workgroup_processor_mode: 1
  - .args:
      - .offset:         0
        .size:           144
        .value_kind:     by_value
    .group_segment_fixed_size: 0
    .kernarg_segment_align: 8
    .kernarg_segment_size: 144
    .language:       OpenCL C
    .language_version:
      - 2
      - 0
    .max_flat_workgroup_size: 128
    .name:           _ZN7rocprim17ROCPRIM_400000_NS6detail17trampoline_kernelINS0_14default_configENS1_25partition_config_selectorILNS1_17partition_subalgoE5EdNS0_10empty_typeEbEEZZNS1_14partition_implILS5_5ELb0ES3_mN6thrust23THRUST_200600_302600_NS6detail15normal_iteratorINSA_10device_ptrIdEEEEPS6_NSA_18transform_iteratorINSB_9not_fun_tI7is_trueIdEEENSC_INSD_IbEEEENSA_11use_defaultESO_EENS0_5tupleIJNSA_16discard_iteratorISO_EES6_EEENSQ_IJSG_SG_EEES6_PlJS6_EEE10hipError_tPvRmT3_T4_T5_T6_T7_T9_mT8_P12ihipStream_tbDpT10_ENKUlT_T0_E_clISt17integral_constantIbLb1EES1F_EEDaS1A_S1B_EUlS1A_E_NS1_11comp_targetILNS1_3genE9ELNS1_11target_archE1100ELNS1_3gpuE3ELNS1_3repE0EEENS1_30default_config_static_selectorELNS0_4arch9wavefront6targetE0EEEvT1_
    .private_segment_fixed_size: 0
    .sgpr_count:     0
    .sgpr_spill_count: 0
    .symbol:         _ZN7rocprim17ROCPRIM_400000_NS6detail17trampoline_kernelINS0_14default_configENS1_25partition_config_selectorILNS1_17partition_subalgoE5EdNS0_10empty_typeEbEEZZNS1_14partition_implILS5_5ELb0ES3_mN6thrust23THRUST_200600_302600_NS6detail15normal_iteratorINSA_10device_ptrIdEEEEPS6_NSA_18transform_iteratorINSB_9not_fun_tI7is_trueIdEEENSC_INSD_IbEEEENSA_11use_defaultESO_EENS0_5tupleIJNSA_16discard_iteratorISO_EES6_EEENSQ_IJSG_SG_EEES6_PlJS6_EEE10hipError_tPvRmT3_T4_T5_T6_T7_T9_mT8_P12ihipStream_tbDpT10_ENKUlT_T0_E_clISt17integral_constantIbLb1EES1F_EEDaS1A_S1B_EUlS1A_E_NS1_11comp_targetILNS1_3genE9ELNS1_11target_archE1100ELNS1_3gpuE3ELNS1_3repE0EEENS1_30default_config_static_selectorELNS0_4arch9wavefront6targetE0EEEvT1_.kd
    .uniform_work_group_size: 1
    .uses_dynamic_stack: false
    .vgpr_count:     0
    .vgpr_spill_count: 0
    .wavefront_size: 32
    .workgroup_processor_mode: 1
  - .args:
      - .offset:         0
        .size:           144
        .value_kind:     by_value
    .group_segment_fixed_size: 0
    .kernarg_segment_align: 8
    .kernarg_segment_size: 144
    .language:       OpenCL C
    .language_version:
      - 2
      - 0
    .max_flat_workgroup_size: 512
    .name:           _ZN7rocprim17ROCPRIM_400000_NS6detail17trampoline_kernelINS0_14default_configENS1_25partition_config_selectorILNS1_17partition_subalgoE5EdNS0_10empty_typeEbEEZZNS1_14partition_implILS5_5ELb0ES3_mN6thrust23THRUST_200600_302600_NS6detail15normal_iteratorINSA_10device_ptrIdEEEEPS6_NSA_18transform_iteratorINSB_9not_fun_tI7is_trueIdEEENSC_INSD_IbEEEENSA_11use_defaultESO_EENS0_5tupleIJNSA_16discard_iteratorISO_EES6_EEENSQ_IJSG_SG_EEES6_PlJS6_EEE10hipError_tPvRmT3_T4_T5_T6_T7_T9_mT8_P12ihipStream_tbDpT10_ENKUlT_T0_E_clISt17integral_constantIbLb1EES1F_EEDaS1A_S1B_EUlS1A_E_NS1_11comp_targetILNS1_3genE8ELNS1_11target_archE1030ELNS1_3gpuE2ELNS1_3repE0EEENS1_30default_config_static_selectorELNS0_4arch9wavefront6targetE0EEEvT1_
    .private_segment_fixed_size: 0
    .sgpr_count:     0
    .sgpr_spill_count: 0
    .symbol:         _ZN7rocprim17ROCPRIM_400000_NS6detail17trampoline_kernelINS0_14default_configENS1_25partition_config_selectorILNS1_17partition_subalgoE5EdNS0_10empty_typeEbEEZZNS1_14partition_implILS5_5ELb0ES3_mN6thrust23THRUST_200600_302600_NS6detail15normal_iteratorINSA_10device_ptrIdEEEEPS6_NSA_18transform_iteratorINSB_9not_fun_tI7is_trueIdEEENSC_INSD_IbEEEENSA_11use_defaultESO_EENS0_5tupleIJNSA_16discard_iteratorISO_EES6_EEENSQ_IJSG_SG_EEES6_PlJS6_EEE10hipError_tPvRmT3_T4_T5_T6_T7_T9_mT8_P12ihipStream_tbDpT10_ENKUlT_T0_E_clISt17integral_constantIbLb1EES1F_EEDaS1A_S1B_EUlS1A_E_NS1_11comp_targetILNS1_3genE8ELNS1_11target_archE1030ELNS1_3gpuE2ELNS1_3repE0EEENS1_30default_config_static_selectorELNS0_4arch9wavefront6targetE0EEEvT1_.kd
    .uniform_work_group_size: 1
    .uses_dynamic_stack: false
    .vgpr_count:     0
    .vgpr_spill_count: 0
    .wavefront_size: 32
    .workgroup_processor_mode: 1
  - .args:
      - .offset:         0
        .size:           128
        .value_kind:     by_value
    .group_segment_fixed_size: 0
    .kernarg_segment_align: 8
    .kernarg_segment_size: 128
    .language:       OpenCL C
    .language_version:
      - 2
      - 0
    .max_flat_workgroup_size: 128
    .name:           _ZN7rocprim17ROCPRIM_400000_NS6detail17trampoline_kernelINS0_14default_configENS1_25partition_config_selectorILNS1_17partition_subalgoE5EdNS0_10empty_typeEbEEZZNS1_14partition_implILS5_5ELb0ES3_mN6thrust23THRUST_200600_302600_NS6detail15normal_iteratorINSA_10device_ptrIdEEEEPS6_NSA_18transform_iteratorINSB_9not_fun_tI7is_trueIdEEENSC_INSD_IbEEEENSA_11use_defaultESO_EENS0_5tupleIJNSA_16discard_iteratorISO_EES6_EEENSQ_IJSG_SG_EEES6_PlJS6_EEE10hipError_tPvRmT3_T4_T5_T6_T7_T9_mT8_P12ihipStream_tbDpT10_ENKUlT_T0_E_clISt17integral_constantIbLb1EES1E_IbLb0EEEEDaS1A_S1B_EUlS1A_E_NS1_11comp_targetILNS1_3genE0ELNS1_11target_archE4294967295ELNS1_3gpuE0ELNS1_3repE0EEENS1_30default_config_static_selectorELNS0_4arch9wavefront6targetE0EEEvT1_
    .private_segment_fixed_size: 0
    .sgpr_count:     0
    .sgpr_spill_count: 0
    .symbol:         _ZN7rocprim17ROCPRIM_400000_NS6detail17trampoline_kernelINS0_14default_configENS1_25partition_config_selectorILNS1_17partition_subalgoE5EdNS0_10empty_typeEbEEZZNS1_14partition_implILS5_5ELb0ES3_mN6thrust23THRUST_200600_302600_NS6detail15normal_iteratorINSA_10device_ptrIdEEEEPS6_NSA_18transform_iteratorINSB_9not_fun_tI7is_trueIdEEENSC_INSD_IbEEEENSA_11use_defaultESO_EENS0_5tupleIJNSA_16discard_iteratorISO_EES6_EEENSQ_IJSG_SG_EEES6_PlJS6_EEE10hipError_tPvRmT3_T4_T5_T6_T7_T9_mT8_P12ihipStream_tbDpT10_ENKUlT_T0_E_clISt17integral_constantIbLb1EES1E_IbLb0EEEEDaS1A_S1B_EUlS1A_E_NS1_11comp_targetILNS1_3genE0ELNS1_11target_archE4294967295ELNS1_3gpuE0ELNS1_3repE0EEENS1_30default_config_static_selectorELNS0_4arch9wavefront6targetE0EEEvT1_.kd
    .uniform_work_group_size: 1
    .uses_dynamic_stack: false
    .vgpr_count:     0
    .vgpr_spill_count: 0
    .wavefront_size: 32
    .workgroup_processor_mode: 1
  - .args:
      - .offset:         0
        .size:           128
        .value_kind:     by_value
    .group_segment_fixed_size: 0
    .kernarg_segment_align: 8
    .kernarg_segment_size: 128
    .language:       OpenCL C
    .language_version:
      - 2
      - 0
    .max_flat_workgroup_size: 512
    .name:           _ZN7rocprim17ROCPRIM_400000_NS6detail17trampoline_kernelINS0_14default_configENS1_25partition_config_selectorILNS1_17partition_subalgoE5EdNS0_10empty_typeEbEEZZNS1_14partition_implILS5_5ELb0ES3_mN6thrust23THRUST_200600_302600_NS6detail15normal_iteratorINSA_10device_ptrIdEEEEPS6_NSA_18transform_iteratorINSB_9not_fun_tI7is_trueIdEEENSC_INSD_IbEEEENSA_11use_defaultESO_EENS0_5tupleIJNSA_16discard_iteratorISO_EES6_EEENSQ_IJSG_SG_EEES6_PlJS6_EEE10hipError_tPvRmT3_T4_T5_T6_T7_T9_mT8_P12ihipStream_tbDpT10_ENKUlT_T0_E_clISt17integral_constantIbLb1EES1E_IbLb0EEEEDaS1A_S1B_EUlS1A_E_NS1_11comp_targetILNS1_3genE5ELNS1_11target_archE942ELNS1_3gpuE9ELNS1_3repE0EEENS1_30default_config_static_selectorELNS0_4arch9wavefront6targetE0EEEvT1_
    .private_segment_fixed_size: 0
    .sgpr_count:     0
    .sgpr_spill_count: 0
    .symbol:         _ZN7rocprim17ROCPRIM_400000_NS6detail17trampoline_kernelINS0_14default_configENS1_25partition_config_selectorILNS1_17partition_subalgoE5EdNS0_10empty_typeEbEEZZNS1_14partition_implILS5_5ELb0ES3_mN6thrust23THRUST_200600_302600_NS6detail15normal_iteratorINSA_10device_ptrIdEEEEPS6_NSA_18transform_iteratorINSB_9not_fun_tI7is_trueIdEEENSC_INSD_IbEEEENSA_11use_defaultESO_EENS0_5tupleIJNSA_16discard_iteratorISO_EES6_EEENSQ_IJSG_SG_EEES6_PlJS6_EEE10hipError_tPvRmT3_T4_T5_T6_T7_T9_mT8_P12ihipStream_tbDpT10_ENKUlT_T0_E_clISt17integral_constantIbLb1EES1E_IbLb0EEEEDaS1A_S1B_EUlS1A_E_NS1_11comp_targetILNS1_3genE5ELNS1_11target_archE942ELNS1_3gpuE9ELNS1_3repE0EEENS1_30default_config_static_selectorELNS0_4arch9wavefront6targetE0EEEvT1_.kd
    .uniform_work_group_size: 1
    .uses_dynamic_stack: false
    .vgpr_count:     0
    .vgpr_spill_count: 0
    .wavefront_size: 32
    .workgroup_processor_mode: 1
  - .args:
      - .offset:         0
        .size:           128
        .value_kind:     by_value
    .group_segment_fixed_size: 0
    .kernarg_segment_align: 8
    .kernarg_segment_size: 128
    .language:       OpenCL C
    .language_version:
      - 2
      - 0
    .max_flat_workgroup_size: 192
    .name:           _ZN7rocprim17ROCPRIM_400000_NS6detail17trampoline_kernelINS0_14default_configENS1_25partition_config_selectorILNS1_17partition_subalgoE5EdNS0_10empty_typeEbEEZZNS1_14partition_implILS5_5ELb0ES3_mN6thrust23THRUST_200600_302600_NS6detail15normal_iteratorINSA_10device_ptrIdEEEEPS6_NSA_18transform_iteratorINSB_9not_fun_tI7is_trueIdEEENSC_INSD_IbEEEENSA_11use_defaultESO_EENS0_5tupleIJNSA_16discard_iteratorISO_EES6_EEENSQ_IJSG_SG_EEES6_PlJS6_EEE10hipError_tPvRmT3_T4_T5_T6_T7_T9_mT8_P12ihipStream_tbDpT10_ENKUlT_T0_E_clISt17integral_constantIbLb1EES1E_IbLb0EEEEDaS1A_S1B_EUlS1A_E_NS1_11comp_targetILNS1_3genE4ELNS1_11target_archE910ELNS1_3gpuE8ELNS1_3repE0EEENS1_30default_config_static_selectorELNS0_4arch9wavefront6targetE0EEEvT1_
    .private_segment_fixed_size: 0
    .sgpr_count:     0
    .sgpr_spill_count: 0
    .symbol:         _ZN7rocprim17ROCPRIM_400000_NS6detail17trampoline_kernelINS0_14default_configENS1_25partition_config_selectorILNS1_17partition_subalgoE5EdNS0_10empty_typeEbEEZZNS1_14partition_implILS5_5ELb0ES3_mN6thrust23THRUST_200600_302600_NS6detail15normal_iteratorINSA_10device_ptrIdEEEEPS6_NSA_18transform_iteratorINSB_9not_fun_tI7is_trueIdEEENSC_INSD_IbEEEENSA_11use_defaultESO_EENS0_5tupleIJNSA_16discard_iteratorISO_EES6_EEENSQ_IJSG_SG_EEES6_PlJS6_EEE10hipError_tPvRmT3_T4_T5_T6_T7_T9_mT8_P12ihipStream_tbDpT10_ENKUlT_T0_E_clISt17integral_constantIbLb1EES1E_IbLb0EEEEDaS1A_S1B_EUlS1A_E_NS1_11comp_targetILNS1_3genE4ELNS1_11target_archE910ELNS1_3gpuE8ELNS1_3repE0EEENS1_30default_config_static_selectorELNS0_4arch9wavefront6targetE0EEEvT1_.kd
    .uniform_work_group_size: 1
    .uses_dynamic_stack: false
    .vgpr_count:     0
    .vgpr_spill_count: 0
    .wavefront_size: 32
    .workgroup_processor_mode: 1
  - .args:
      - .offset:         0
        .size:           128
        .value_kind:     by_value
    .group_segment_fixed_size: 0
    .kernarg_segment_align: 8
    .kernarg_segment_size: 128
    .language:       OpenCL C
    .language_version:
      - 2
      - 0
    .max_flat_workgroup_size: 128
    .name:           _ZN7rocprim17ROCPRIM_400000_NS6detail17trampoline_kernelINS0_14default_configENS1_25partition_config_selectorILNS1_17partition_subalgoE5EdNS0_10empty_typeEbEEZZNS1_14partition_implILS5_5ELb0ES3_mN6thrust23THRUST_200600_302600_NS6detail15normal_iteratorINSA_10device_ptrIdEEEEPS6_NSA_18transform_iteratorINSB_9not_fun_tI7is_trueIdEEENSC_INSD_IbEEEENSA_11use_defaultESO_EENS0_5tupleIJNSA_16discard_iteratorISO_EES6_EEENSQ_IJSG_SG_EEES6_PlJS6_EEE10hipError_tPvRmT3_T4_T5_T6_T7_T9_mT8_P12ihipStream_tbDpT10_ENKUlT_T0_E_clISt17integral_constantIbLb1EES1E_IbLb0EEEEDaS1A_S1B_EUlS1A_E_NS1_11comp_targetILNS1_3genE3ELNS1_11target_archE908ELNS1_3gpuE7ELNS1_3repE0EEENS1_30default_config_static_selectorELNS0_4arch9wavefront6targetE0EEEvT1_
    .private_segment_fixed_size: 0
    .sgpr_count:     0
    .sgpr_spill_count: 0
    .symbol:         _ZN7rocprim17ROCPRIM_400000_NS6detail17trampoline_kernelINS0_14default_configENS1_25partition_config_selectorILNS1_17partition_subalgoE5EdNS0_10empty_typeEbEEZZNS1_14partition_implILS5_5ELb0ES3_mN6thrust23THRUST_200600_302600_NS6detail15normal_iteratorINSA_10device_ptrIdEEEEPS6_NSA_18transform_iteratorINSB_9not_fun_tI7is_trueIdEEENSC_INSD_IbEEEENSA_11use_defaultESO_EENS0_5tupleIJNSA_16discard_iteratorISO_EES6_EEENSQ_IJSG_SG_EEES6_PlJS6_EEE10hipError_tPvRmT3_T4_T5_T6_T7_T9_mT8_P12ihipStream_tbDpT10_ENKUlT_T0_E_clISt17integral_constantIbLb1EES1E_IbLb0EEEEDaS1A_S1B_EUlS1A_E_NS1_11comp_targetILNS1_3genE3ELNS1_11target_archE908ELNS1_3gpuE7ELNS1_3repE0EEENS1_30default_config_static_selectorELNS0_4arch9wavefront6targetE0EEEvT1_.kd
    .uniform_work_group_size: 1
    .uses_dynamic_stack: false
    .vgpr_count:     0
    .vgpr_spill_count: 0
    .wavefront_size: 32
    .workgroup_processor_mode: 1
  - .args:
      - .offset:         0
        .size:           128
        .value_kind:     by_value
    .group_segment_fixed_size: 0
    .kernarg_segment_align: 8
    .kernarg_segment_size: 128
    .language:       OpenCL C
    .language_version:
      - 2
      - 0
    .max_flat_workgroup_size: 256
    .name:           _ZN7rocprim17ROCPRIM_400000_NS6detail17trampoline_kernelINS0_14default_configENS1_25partition_config_selectorILNS1_17partition_subalgoE5EdNS0_10empty_typeEbEEZZNS1_14partition_implILS5_5ELb0ES3_mN6thrust23THRUST_200600_302600_NS6detail15normal_iteratorINSA_10device_ptrIdEEEEPS6_NSA_18transform_iteratorINSB_9not_fun_tI7is_trueIdEEENSC_INSD_IbEEEENSA_11use_defaultESO_EENS0_5tupleIJNSA_16discard_iteratorISO_EES6_EEENSQ_IJSG_SG_EEES6_PlJS6_EEE10hipError_tPvRmT3_T4_T5_T6_T7_T9_mT8_P12ihipStream_tbDpT10_ENKUlT_T0_E_clISt17integral_constantIbLb1EES1E_IbLb0EEEEDaS1A_S1B_EUlS1A_E_NS1_11comp_targetILNS1_3genE2ELNS1_11target_archE906ELNS1_3gpuE6ELNS1_3repE0EEENS1_30default_config_static_selectorELNS0_4arch9wavefront6targetE0EEEvT1_
    .private_segment_fixed_size: 0
    .sgpr_count:     0
    .sgpr_spill_count: 0
    .symbol:         _ZN7rocprim17ROCPRIM_400000_NS6detail17trampoline_kernelINS0_14default_configENS1_25partition_config_selectorILNS1_17partition_subalgoE5EdNS0_10empty_typeEbEEZZNS1_14partition_implILS5_5ELb0ES3_mN6thrust23THRUST_200600_302600_NS6detail15normal_iteratorINSA_10device_ptrIdEEEEPS6_NSA_18transform_iteratorINSB_9not_fun_tI7is_trueIdEEENSC_INSD_IbEEEENSA_11use_defaultESO_EENS0_5tupleIJNSA_16discard_iteratorISO_EES6_EEENSQ_IJSG_SG_EEES6_PlJS6_EEE10hipError_tPvRmT3_T4_T5_T6_T7_T9_mT8_P12ihipStream_tbDpT10_ENKUlT_T0_E_clISt17integral_constantIbLb1EES1E_IbLb0EEEEDaS1A_S1B_EUlS1A_E_NS1_11comp_targetILNS1_3genE2ELNS1_11target_archE906ELNS1_3gpuE6ELNS1_3repE0EEENS1_30default_config_static_selectorELNS0_4arch9wavefront6targetE0EEEvT1_.kd
    .uniform_work_group_size: 1
    .uses_dynamic_stack: false
    .vgpr_count:     0
    .vgpr_spill_count: 0
    .wavefront_size: 32
    .workgroup_processor_mode: 1
  - .args:
      - .offset:         0
        .size:           128
        .value_kind:     by_value
    .group_segment_fixed_size: 0
    .kernarg_segment_align: 8
    .kernarg_segment_size: 128
    .language:       OpenCL C
    .language_version:
      - 2
      - 0
    .max_flat_workgroup_size: 256
    .name:           _ZN7rocprim17ROCPRIM_400000_NS6detail17trampoline_kernelINS0_14default_configENS1_25partition_config_selectorILNS1_17partition_subalgoE5EdNS0_10empty_typeEbEEZZNS1_14partition_implILS5_5ELb0ES3_mN6thrust23THRUST_200600_302600_NS6detail15normal_iteratorINSA_10device_ptrIdEEEEPS6_NSA_18transform_iteratorINSB_9not_fun_tI7is_trueIdEEENSC_INSD_IbEEEENSA_11use_defaultESO_EENS0_5tupleIJNSA_16discard_iteratorISO_EES6_EEENSQ_IJSG_SG_EEES6_PlJS6_EEE10hipError_tPvRmT3_T4_T5_T6_T7_T9_mT8_P12ihipStream_tbDpT10_ENKUlT_T0_E_clISt17integral_constantIbLb1EES1E_IbLb0EEEEDaS1A_S1B_EUlS1A_E_NS1_11comp_targetILNS1_3genE10ELNS1_11target_archE1200ELNS1_3gpuE4ELNS1_3repE0EEENS1_30default_config_static_selectorELNS0_4arch9wavefront6targetE0EEEvT1_
    .private_segment_fixed_size: 0
    .sgpr_count:     0
    .sgpr_spill_count: 0
    .symbol:         _ZN7rocprim17ROCPRIM_400000_NS6detail17trampoline_kernelINS0_14default_configENS1_25partition_config_selectorILNS1_17partition_subalgoE5EdNS0_10empty_typeEbEEZZNS1_14partition_implILS5_5ELb0ES3_mN6thrust23THRUST_200600_302600_NS6detail15normal_iteratorINSA_10device_ptrIdEEEEPS6_NSA_18transform_iteratorINSB_9not_fun_tI7is_trueIdEEENSC_INSD_IbEEEENSA_11use_defaultESO_EENS0_5tupleIJNSA_16discard_iteratorISO_EES6_EEENSQ_IJSG_SG_EEES6_PlJS6_EEE10hipError_tPvRmT3_T4_T5_T6_T7_T9_mT8_P12ihipStream_tbDpT10_ENKUlT_T0_E_clISt17integral_constantIbLb1EES1E_IbLb0EEEEDaS1A_S1B_EUlS1A_E_NS1_11comp_targetILNS1_3genE10ELNS1_11target_archE1200ELNS1_3gpuE4ELNS1_3repE0EEENS1_30default_config_static_selectorELNS0_4arch9wavefront6targetE0EEEvT1_.kd
    .uniform_work_group_size: 1
    .uses_dynamic_stack: false
    .vgpr_count:     0
    .vgpr_spill_count: 0
    .wavefront_size: 32
    .workgroup_processor_mode: 1
  - .args:
      - .offset:         0
        .size:           128
        .value_kind:     by_value
    .group_segment_fixed_size: 0
    .kernarg_segment_align: 8
    .kernarg_segment_size: 128
    .language:       OpenCL C
    .language_version:
      - 2
      - 0
    .max_flat_workgroup_size: 128
    .name:           _ZN7rocprim17ROCPRIM_400000_NS6detail17trampoline_kernelINS0_14default_configENS1_25partition_config_selectorILNS1_17partition_subalgoE5EdNS0_10empty_typeEbEEZZNS1_14partition_implILS5_5ELb0ES3_mN6thrust23THRUST_200600_302600_NS6detail15normal_iteratorINSA_10device_ptrIdEEEEPS6_NSA_18transform_iteratorINSB_9not_fun_tI7is_trueIdEEENSC_INSD_IbEEEENSA_11use_defaultESO_EENS0_5tupleIJNSA_16discard_iteratorISO_EES6_EEENSQ_IJSG_SG_EEES6_PlJS6_EEE10hipError_tPvRmT3_T4_T5_T6_T7_T9_mT8_P12ihipStream_tbDpT10_ENKUlT_T0_E_clISt17integral_constantIbLb1EES1E_IbLb0EEEEDaS1A_S1B_EUlS1A_E_NS1_11comp_targetILNS1_3genE9ELNS1_11target_archE1100ELNS1_3gpuE3ELNS1_3repE0EEENS1_30default_config_static_selectorELNS0_4arch9wavefront6targetE0EEEvT1_
    .private_segment_fixed_size: 0
    .sgpr_count:     0
    .sgpr_spill_count: 0
    .symbol:         _ZN7rocprim17ROCPRIM_400000_NS6detail17trampoline_kernelINS0_14default_configENS1_25partition_config_selectorILNS1_17partition_subalgoE5EdNS0_10empty_typeEbEEZZNS1_14partition_implILS5_5ELb0ES3_mN6thrust23THRUST_200600_302600_NS6detail15normal_iteratorINSA_10device_ptrIdEEEEPS6_NSA_18transform_iteratorINSB_9not_fun_tI7is_trueIdEEENSC_INSD_IbEEEENSA_11use_defaultESO_EENS0_5tupleIJNSA_16discard_iteratorISO_EES6_EEENSQ_IJSG_SG_EEES6_PlJS6_EEE10hipError_tPvRmT3_T4_T5_T6_T7_T9_mT8_P12ihipStream_tbDpT10_ENKUlT_T0_E_clISt17integral_constantIbLb1EES1E_IbLb0EEEEDaS1A_S1B_EUlS1A_E_NS1_11comp_targetILNS1_3genE9ELNS1_11target_archE1100ELNS1_3gpuE3ELNS1_3repE0EEENS1_30default_config_static_selectorELNS0_4arch9wavefront6targetE0EEEvT1_.kd
    .uniform_work_group_size: 1
    .uses_dynamic_stack: false
    .vgpr_count:     0
    .vgpr_spill_count: 0
    .wavefront_size: 32
    .workgroup_processor_mode: 1
  - .args:
      - .offset:         0
        .size:           128
        .value_kind:     by_value
    .group_segment_fixed_size: 0
    .kernarg_segment_align: 8
    .kernarg_segment_size: 128
    .language:       OpenCL C
    .language_version:
      - 2
      - 0
    .max_flat_workgroup_size: 512
    .name:           _ZN7rocprim17ROCPRIM_400000_NS6detail17trampoline_kernelINS0_14default_configENS1_25partition_config_selectorILNS1_17partition_subalgoE5EdNS0_10empty_typeEbEEZZNS1_14partition_implILS5_5ELb0ES3_mN6thrust23THRUST_200600_302600_NS6detail15normal_iteratorINSA_10device_ptrIdEEEEPS6_NSA_18transform_iteratorINSB_9not_fun_tI7is_trueIdEEENSC_INSD_IbEEEENSA_11use_defaultESO_EENS0_5tupleIJNSA_16discard_iteratorISO_EES6_EEENSQ_IJSG_SG_EEES6_PlJS6_EEE10hipError_tPvRmT3_T4_T5_T6_T7_T9_mT8_P12ihipStream_tbDpT10_ENKUlT_T0_E_clISt17integral_constantIbLb1EES1E_IbLb0EEEEDaS1A_S1B_EUlS1A_E_NS1_11comp_targetILNS1_3genE8ELNS1_11target_archE1030ELNS1_3gpuE2ELNS1_3repE0EEENS1_30default_config_static_selectorELNS0_4arch9wavefront6targetE0EEEvT1_
    .private_segment_fixed_size: 0
    .sgpr_count:     0
    .sgpr_spill_count: 0
    .symbol:         _ZN7rocprim17ROCPRIM_400000_NS6detail17trampoline_kernelINS0_14default_configENS1_25partition_config_selectorILNS1_17partition_subalgoE5EdNS0_10empty_typeEbEEZZNS1_14partition_implILS5_5ELb0ES3_mN6thrust23THRUST_200600_302600_NS6detail15normal_iteratorINSA_10device_ptrIdEEEEPS6_NSA_18transform_iteratorINSB_9not_fun_tI7is_trueIdEEENSC_INSD_IbEEEENSA_11use_defaultESO_EENS0_5tupleIJNSA_16discard_iteratorISO_EES6_EEENSQ_IJSG_SG_EEES6_PlJS6_EEE10hipError_tPvRmT3_T4_T5_T6_T7_T9_mT8_P12ihipStream_tbDpT10_ENKUlT_T0_E_clISt17integral_constantIbLb1EES1E_IbLb0EEEEDaS1A_S1B_EUlS1A_E_NS1_11comp_targetILNS1_3genE8ELNS1_11target_archE1030ELNS1_3gpuE2ELNS1_3repE0EEENS1_30default_config_static_selectorELNS0_4arch9wavefront6targetE0EEEvT1_.kd
    .uniform_work_group_size: 1
    .uses_dynamic_stack: false
    .vgpr_count:     0
    .vgpr_spill_count: 0
    .wavefront_size: 32
    .workgroup_processor_mode: 1
  - .args:
      - .offset:         0
        .size:           144
        .value_kind:     by_value
    .group_segment_fixed_size: 0
    .kernarg_segment_align: 8
    .kernarg_segment_size: 144
    .language:       OpenCL C
    .language_version:
      - 2
      - 0
    .max_flat_workgroup_size: 128
    .name:           _ZN7rocprim17ROCPRIM_400000_NS6detail17trampoline_kernelINS0_14default_configENS1_25partition_config_selectorILNS1_17partition_subalgoE5EdNS0_10empty_typeEbEEZZNS1_14partition_implILS5_5ELb0ES3_mN6thrust23THRUST_200600_302600_NS6detail15normal_iteratorINSA_10device_ptrIdEEEEPS6_NSA_18transform_iteratorINSB_9not_fun_tI7is_trueIdEEENSC_INSD_IbEEEENSA_11use_defaultESO_EENS0_5tupleIJNSA_16discard_iteratorISO_EES6_EEENSQ_IJSG_SG_EEES6_PlJS6_EEE10hipError_tPvRmT3_T4_T5_T6_T7_T9_mT8_P12ihipStream_tbDpT10_ENKUlT_T0_E_clISt17integral_constantIbLb0EES1E_IbLb1EEEEDaS1A_S1B_EUlS1A_E_NS1_11comp_targetILNS1_3genE0ELNS1_11target_archE4294967295ELNS1_3gpuE0ELNS1_3repE0EEENS1_30default_config_static_selectorELNS0_4arch9wavefront6targetE0EEEvT1_
    .private_segment_fixed_size: 0
    .sgpr_count:     0
    .sgpr_spill_count: 0
    .symbol:         _ZN7rocprim17ROCPRIM_400000_NS6detail17trampoline_kernelINS0_14default_configENS1_25partition_config_selectorILNS1_17partition_subalgoE5EdNS0_10empty_typeEbEEZZNS1_14partition_implILS5_5ELb0ES3_mN6thrust23THRUST_200600_302600_NS6detail15normal_iteratorINSA_10device_ptrIdEEEEPS6_NSA_18transform_iteratorINSB_9not_fun_tI7is_trueIdEEENSC_INSD_IbEEEENSA_11use_defaultESO_EENS0_5tupleIJNSA_16discard_iteratorISO_EES6_EEENSQ_IJSG_SG_EEES6_PlJS6_EEE10hipError_tPvRmT3_T4_T5_T6_T7_T9_mT8_P12ihipStream_tbDpT10_ENKUlT_T0_E_clISt17integral_constantIbLb0EES1E_IbLb1EEEEDaS1A_S1B_EUlS1A_E_NS1_11comp_targetILNS1_3genE0ELNS1_11target_archE4294967295ELNS1_3gpuE0ELNS1_3repE0EEENS1_30default_config_static_selectorELNS0_4arch9wavefront6targetE0EEEvT1_.kd
    .uniform_work_group_size: 1
    .uses_dynamic_stack: false
    .vgpr_count:     0
    .vgpr_spill_count: 0
    .wavefront_size: 32
    .workgroup_processor_mode: 1
  - .args:
      - .offset:         0
        .size:           144
        .value_kind:     by_value
    .group_segment_fixed_size: 0
    .kernarg_segment_align: 8
    .kernarg_segment_size: 144
    .language:       OpenCL C
    .language_version:
      - 2
      - 0
    .max_flat_workgroup_size: 512
    .name:           _ZN7rocprim17ROCPRIM_400000_NS6detail17trampoline_kernelINS0_14default_configENS1_25partition_config_selectorILNS1_17partition_subalgoE5EdNS0_10empty_typeEbEEZZNS1_14partition_implILS5_5ELb0ES3_mN6thrust23THRUST_200600_302600_NS6detail15normal_iteratorINSA_10device_ptrIdEEEEPS6_NSA_18transform_iteratorINSB_9not_fun_tI7is_trueIdEEENSC_INSD_IbEEEENSA_11use_defaultESO_EENS0_5tupleIJNSA_16discard_iteratorISO_EES6_EEENSQ_IJSG_SG_EEES6_PlJS6_EEE10hipError_tPvRmT3_T4_T5_T6_T7_T9_mT8_P12ihipStream_tbDpT10_ENKUlT_T0_E_clISt17integral_constantIbLb0EES1E_IbLb1EEEEDaS1A_S1B_EUlS1A_E_NS1_11comp_targetILNS1_3genE5ELNS1_11target_archE942ELNS1_3gpuE9ELNS1_3repE0EEENS1_30default_config_static_selectorELNS0_4arch9wavefront6targetE0EEEvT1_
    .private_segment_fixed_size: 0
    .sgpr_count:     0
    .sgpr_spill_count: 0
    .symbol:         _ZN7rocprim17ROCPRIM_400000_NS6detail17trampoline_kernelINS0_14default_configENS1_25partition_config_selectorILNS1_17partition_subalgoE5EdNS0_10empty_typeEbEEZZNS1_14partition_implILS5_5ELb0ES3_mN6thrust23THRUST_200600_302600_NS6detail15normal_iteratorINSA_10device_ptrIdEEEEPS6_NSA_18transform_iteratorINSB_9not_fun_tI7is_trueIdEEENSC_INSD_IbEEEENSA_11use_defaultESO_EENS0_5tupleIJNSA_16discard_iteratorISO_EES6_EEENSQ_IJSG_SG_EEES6_PlJS6_EEE10hipError_tPvRmT3_T4_T5_T6_T7_T9_mT8_P12ihipStream_tbDpT10_ENKUlT_T0_E_clISt17integral_constantIbLb0EES1E_IbLb1EEEEDaS1A_S1B_EUlS1A_E_NS1_11comp_targetILNS1_3genE5ELNS1_11target_archE942ELNS1_3gpuE9ELNS1_3repE0EEENS1_30default_config_static_selectorELNS0_4arch9wavefront6targetE0EEEvT1_.kd
    .uniform_work_group_size: 1
    .uses_dynamic_stack: false
    .vgpr_count:     0
    .vgpr_spill_count: 0
    .wavefront_size: 32
    .workgroup_processor_mode: 1
  - .args:
      - .offset:         0
        .size:           144
        .value_kind:     by_value
    .group_segment_fixed_size: 0
    .kernarg_segment_align: 8
    .kernarg_segment_size: 144
    .language:       OpenCL C
    .language_version:
      - 2
      - 0
    .max_flat_workgroup_size: 192
    .name:           _ZN7rocprim17ROCPRIM_400000_NS6detail17trampoline_kernelINS0_14default_configENS1_25partition_config_selectorILNS1_17partition_subalgoE5EdNS0_10empty_typeEbEEZZNS1_14partition_implILS5_5ELb0ES3_mN6thrust23THRUST_200600_302600_NS6detail15normal_iteratorINSA_10device_ptrIdEEEEPS6_NSA_18transform_iteratorINSB_9not_fun_tI7is_trueIdEEENSC_INSD_IbEEEENSA_11use_defaultESO_EENS0_5tupleIJNSA_16discard_iteratorISO_EES6_EEENSQ_IJSG_SG_EEES6_PlJS6_EEE10hipError_tPvRmT3_T4_T5_T6_T7_T9_mT8_P12ihipStream_tbDpT10_ENKUlT_T0_E_clISt17integral_constantIbLb0EES1E_IbLb1EEEEDaS1A_S1B_EUlS1A_E_NS1_11comp_targetILNS1_3genE4ELNS1_11target_archE910ELNS1_3gpuE8ELNS1_3repE0EEENS1_30default_config_static_selectorELNS0_4arch9wavefront6targetE0EEEvT1_
    .private_segment_fixed_size: 0
    .sgpr_count:     0
    .sgpr_spill_count: 0
    .symbol:         _ZN7rocprim17ROCPRIM_400000_NS6detail17trampoline_kernelINS0_14default_configENS1_25partition_config_selectorILNS1_17partition_subalgoE5EdNS0_10empty_typeEbEEZZNS1_14partition_implILS5_5ELb0ES3_mN6thrust23THRUST_200600_302600_NS6detail15normal_iteratorINSA_10device_ptrIdEEEEPS6_NSA_18transform_iteratorINSB_9not_fun_tI7is_trueIdEEENSC_INSD_IbEEEENSA_11use_defaultESO_EENS0_5tupleIJNSA_16discard_iteratorISO_EES6_EEENSQ_IJSG_SG_EEES6_PlJS6_EEE10hipError_tPvRmT3_T4_T5_T6_T7_T9_mT8_P12ihipStream_tbDpT10_ENKUlT_T0_E_clISt17integral_constantIbLb0EES1E_IbLb1EEEEDaS1A_S1B_EUlS1A_E_NS1_11comp_targetILNS1_3genE4ELNS1_11target_archE910ELNS1_3gpuE8ELNS1_3repE0EEENS1_30default_config_static_selectorELNS0_4arch9wavefront6targetE0EEEvT1_.kd
    .uniform_work_group_size: 1
    .uses_dynamic_stack: false
    .vgpr_count:     0
    .vgpr_spill_count: 0
    .wavefront_size: 32
    .workgroup_processor_mode: 1
  - .args:
      - .offset:         0
        .size:           144
        .value_kind:     by_value
    .group_segment_fixed_size: 0
    .kernarg_segment_align: 8
    .kernarg_segment_size: 144
    .language:       OpenCL C
    .language_version:
      - 2
      - 0
    .max_flat_workgroup_size: 128
    .name:           _ZN7rocprim17ROCPRIM_400000_NS6detail17trampoline_kernelINS0_14default_configENS1_25partition_config_selectorILNS1_17partition_subalgoE5EdNS0_10empty_typeEbEEZZNS1_14partition_implILS5_5ELb0ES3_mN6thrust23THRUST_200600_302600_NS6detail15normal_iteratorINSA_10device_ptrIdEEEEPS6_NSA_18transform_iteratorINSB_9not_fun_tI7is_trueIdEEENSC_INSD_IbEEEENSA_11use_defaultESO_EENS0_5tupleIJNSA_16discard_iteratorISO_EES6_EEENSQ_IJSG_SG_EEES6_PlJS6_EEE10hipError_tPvRmT3_T4_T5_T6_T7_T9_mT8_P12ihipStream_tbDpT10_ENKUlT_T0_E_clISt17integral_constantIbLb0EES1E_IbLb1EEEEDaS1A_S1B_EUlS1A_E_NS1_11comp_targetILNS1_3genE3ELNS1_11target_archE908ELNS1_3gpuE7ELNS1_3repE0EEENS1_30default_config_static_selectorELNS0_4arch9wavefront6targetE0EEEvT1_
    .private_segment_fixed_size: 0
    .sgpr_count:     0
    .sgpr_spill_count: 0
    .symbol:         _ZN7rocprim17ROCPRIM_400000_NS6detail17trampoline_kernelINS0_14default_configENS1_25partition_config_selectorILNS1_17partition_subalgoE5EdNS0_10empty_typeEbEEZZNS1_14partition_implILS5_5ELb0ES3_mN6thrust23THRUST_200600_302600_NS6detail15normal_iteratorINSA_10device_ptrIdEEEEPS6_NSA_18transform_iteratorINSB_9not_fun_tI7is_trueIdEEENSC_INSD_IbEEEENSA_11use_defaultESO_EENS0_5tupleIJNSA_16discard_iteratorISO_EES6_EEENSQ_IJSG_SG_EEES6_PlJS6_EEE10hipError_tPvRmT3_T4_T5_T6_T7_T9_mT8_P12ihipStream_tbDpT10_ENKUlT_T0_E_clISt17integral_constantIbLb0EES1E_IbLb1EEEEDaS1A_S1B_EUlS1A_E_NS1_11comp_targetILNS1_3genE3ELNS1_11target_archE908ELNS1_3gpuE7ELNS1_3repE0EEENS1_30default_config_static_selectorELNS0_4arch9wavefront6targetE0EEEvT1_.kd
    .uniform_work_group_size: 1
    .uses_dynamic_stack: false
    .vgpr_count:     0
    .vgpr_spill_count: 0
    .wavefront_size: 32
    .workgroup_processor_mode: 1
  - .args:
      - .offset:         0
        .size:           144
        .value_kind:     by_value
    .group_segment_fixed_size: 0
    .kernarg_segment_align: 8
    .kernarg_segment_size: 144
    .language:       OpenCL C
    .language_version:
      - 2
      - 0
    .max_flat_workgroup_size: 256
    .name:           _ZN7rocprim17ROCPRIM_400000_NS6detail17trampoline_kernelINS0_14default_configENS1_25partition_config_selectorILNS1_17partition_subalgoE5EdNS0_10empty_typeEbEEZZNS1_14partition_implILS5_5ELb0ES3_mN6thrust23THRUST_200600_302600_NS6detail15normal_iteratorINSA_10device_ptrIdEEEEPS6_NSA_18transform_iteratorINSB_9not_fun_tI7is_trueIdEEENSC_INSD_IbEEEENSA_11use_defaultESO_EENS0_5tupleIJNSA_16discard_iteratorISO_EES6_EEENSQ_IJSG_SG_EEES6_PlJS6_EEE10hipError_tPvRmT3_T4_T5_T6_T7_T9_mT8_P12ihipStream_tbDpT10_ENKUlT_T0_E_clISt17integral_constantIbLb0EES1E_IbLb1EEEEDaS1A_S1B_EUlS1A_E_NS1_11comp_targetILNS1_3genE2ELNS1_11target_archE906ELNS1_3gpuE6ELNS1_3repE0EEENS1_30default_config_static_selectorELNS0_4arch9wavefront6targetE0EEEvT1_
    .private_segment_fixed_size: 0
    .sgpr_count:     0
    .sgpr_spill_count: 0
    .symbol:         _ZN7rocprim17ROCPRIM_400000_NS6detail17trampoline_kernelINS0_14default_configENS1_25partition_config_selectorILNS1_17partition_subalgoE5EdNS0_10empty_typeEbEEZZNS1_14partition_implILS5_5ELb0ES3_mN6thrust23THRUST_200600_302600_NS6detail15normal_iteratorINSA_10device_ptrIdEEEEPS6_NSA_18transform_iteratorINSB_9not_fun_tI7is_trueIdEEENSC_INSD_IbEEEENSA_11use_defaultESO_EENS0_5tupleIJNSA_16discard_iteratorISO_EES6_EEENSQ_IJSG_SG_EEES6_PlJS6_EEE10hipError_tPvRmT3_T4_T5_T6_T7_T9_mT8_P12ihipStream_tbDpT10_ENKUlT_T0_E_clISt17integral_constantIbLb0EES1E_IbLb1EEEEDaS1A_S1B_EUlS1A_E_NS1_11comp_targetILNS1_3genE2ELNS1_11target_archE906ELNS1_3gpuE6ELNS1_3repE0EEENS1_30default_config_static_selectorELNS0_4arch9wavefront6targetE0EEEvT1_.kd
    .uniform_work_group_size: 1
    .uses_dynamic_stack: false
    .vgpr_count:     0
    .vgpr_spill_count: 0
    .wavefront_size: 32
    .workgroup_processor_mode: 1
  - .args:
      - .offset:         0
        .size:           144
        .value_kind:     by_value
    .group_segment_fixed_size: 10256
    .kernarg_segment_align: 8
    .kernarg_segment_size: 144
    .language:       OpenCL C
    .language_version:
      - 2
      - 0
    .max_flat_workgroup_size: 256
    .name:           _ZN7rocprim17ROCPRIM_400000_NS6detail17trampoline_kernelINS0_14default_configENS1_25partition_config_selectorILNS1_17partition_subalgoE5EdNS0_10empty_typeEbEEZZNS1_14partition_implILS5_5ELb0ES3_mN6thrust23THRUST_200600_302600_NS6detail15normal_iteratorINSA_10device_ptrIdEEEEPS6_NSA_18transform_iteratorINSB_9not_fun_tI7is_trueIdEEENSC_INSD_IbEEEENSA_11use_defaultESO_EENS0_5tupleIJNSA_16discard_iteratorISO_EES6_EEENSQ_IJSG_SG_EEES6_PlJS6_EEE10hipError_tPvRmT3_T4_T5_T6_T7_T9_mT8_P12ihipStream_tbDpT10_ENKUlT_T0_E_clISt17integral_constantIbLb0EES1E_IbLb1EEEEDaS1A_S1B_EUlS1A_E_NS1_11comp_targetILNS1_3genE10ELNS1_11target_archE1200ELNS1_3gpuE4ELNS1_3repE0EEENS1_30default_config_static_selectorELNS0_4arch9wavefront6targetE0EEEvT1_
    .private_segment_fixed_size: 0
    .sgpr_count:     24
    .sgpr_spill_count: 0
    .symbol:         _ZN7rocprim17ROCPRIM_400000_NS6detail17trampoline_kernelINS0_14default_configENS1_25partition_config_selectorILNS1_17partition_subalgoE5EdNS0_10empty_typeEbEEZZNS1_14partition_implILS5_5ELb0ES3_mN6thrust23THRUST_200600_302600_NS6detail15normal_iteratorINSA_10device_ptrIdEEEEPS6_NSA_18transform_iteratorINSB_9not_fun_tI7is_trueIdEEENSC_INSD_IbEEEENSA_11use_defaultESO_EENS0_5tupleIJNSA_16discard_iteratorISO_EES6_EEENSQ_IJSG_SG_EEES6_PlJS6_EEE10hipError_tPvRmT3_T4_T5_T6_T7_T9_mT8_P12ihipStream_tbDpT10_ENKUlT_T0_E_clISt17integral_constantIbLb0EES1E_IbLb1EEEEDaS1A_S1B_EUlS1A_E_NS1_11comp_targetILNS1_3genE10ELNS1_11target_archE1200ELNS1_3gpuE4ELNS1_3repE0EEENS1_30default_config_static_selectorELNS0_4arch9wavefront6targetE0EEEvT1_.kd
    .uniform_work_group_size: 1
    .uses_dynamic_stack: false
    .vgpr_count:     49
    .vgpr_spill_count: 0
    .wavefront_size: 32
    .workgroup_processor_mode: 1
  - .args:
      - .offset:         0
        .size:           144
        .value_kind:     by_value
    .group_segment_fixed_size: 0
    .kernarg_segment_align: 8
    .kernarg_segment_size: 144
    .language:       OpenCL C
    .language_version:
      - 2
      - 0
    .max_flat_workgroup_size: 128
    .name:           _ZN7rocprim17ROCPRIM_400000_NS6detail17trampoline_kernelINS0_14default_configENS1_25partition_config_selectorILNS1_17partition_subalgoE5EdNS0_10empty_typeEbEEZZNS1_14partition_implILS5_5ELb0ES3_mN6thrust23THRUST_200600_302600_NS6detail15normal_iteratorINSA_10device_ptrIdEEEEPS6_NSA_18transform_iteratorINSB_9not_fun_tI7is_trueIdEEENSC_INSD_IbEEEENSA_11use_defaultESO_EENS0_5tupleIJNSA_16discard_iteratorISO_EES6_EEENSQ_IJSG_SG_EEES6_PlJS6_EEE10hipError_tPvRmT3_T4_T5_T6_T7_T9_mT8_P12ihipStream_tbDpT10_ENKUlT_T0_E_clISt17integral_constantIbLb0EES1E_IbLb1EEEEDaS1A_S1B_EUlS1A_E_NS1_11comp_targetILNS1_3genE9ELNS1_11target_archE1100ELNS1_3gpuE3ELNS1_3repE0EEENS1_30default_config_static_selectorELNS0_4arch9wavefront6targetE0EEEvT1_
    .private_segment_fixed_size: 0
    .sgpr_count:     0
    .sgpr_spill_count: 0
    .symbol:         _ZN7rocprim17ROCPRIM_400000_NS6detail17trampoline_kernelINS0_14default_configENS1_25partition_config_selectorILNS1_17partition_subalgoE5EdNS0_10empty_typeEbEEZZNS1_14partition_implILS5_5ELb0ES3_mN6thrust23THRUST_200600_302600_NS6detail15normal_iteratorINSA_10device_ptrIdEEEEPS6_NSA_18transform_iteratorINSB_9not_fun_tI7is_trueIdEEENSC_INSD_IbEEEENSA_11use_defaultESO_EENS0_5tupleIJNSA_16discard_iteratorISO_EES6_EEENSQ_IJSG_SG_EEES6_PlJS6_EEE10hipError_tPvRmT3_T4_T5_T6_T7_T9_mT8_P12ihipStream_tbDpT10_ENKUlT_T0_E_clISt17integral_constantIbLb0EES1E_IbLb1EEEEDaS1A_S1B_EUlS1A_E_NS1_11comp_targetILNS1_3genE9ELNS1_11target_archE1100ELNS1_3gpuE3ELNS1_3repE0EEENS1_30default_config_static_selectorELNS0_4arch9wavefront6targetE0EEEvT1_.kd
    .uniform_work_group_size: 1
    .uses_dynamic_stack: false
    .vgpr_count:     0
    .vgpr_spill_count: 0
    .wavefront_size: 32
    .workgroup_processor_mode: 1
  - .args:
      - .offset:         0
        .size:           144
        .value_kind:     by_value
    .group_segment_fixed_size: 0
    .kernarg_segment_align: 8
    .kernarg_segment_size: 144
    .language:       OpenCL C
    .language_version:
      - 2
      - 0
    .max_flat_workgroup_size: 512
    .name:           _ZN7rocprim17ROCPRIM_400000_NS6detail17trampoline_kernelINS0_14default_configENS1_25partition_config_selectorILNS1_17partition_subalgoE5EdNS0_10empty_typeEbEEZZNS1_14partition_implILS5_5ELb0ES3_mN6thrust23THRUST_200600_302600_NS6detail15normal_iteratorINSA_10device_ptrIdEEEEPS6_NSA_18transform_iteratorINSB_9not_fun_tI7is_trueIdEEENSC_INSD_IbEEEENSA_11use_defaultESO_EENS0_5tupleIJNSA_16discard_iteratorISO_EES6_EEENSQ_IJSG_SG_EEES6_PlJS6_EEE10hipError_tPvRmT3_T4_T5_T6_T7_T9_mT8_P12ihipStream_tbDpT10_ENKUlT_T0_E_clISt17integral_constantIbLb0EES1E_IbLb1EEEEDaS1A_S1B_EUlS1A_E_NS1_11comp_targetILNS1_3genE8ELNS1_11target_archE1030ELNS1_3gpuE2ELNS1_3repE0EEENS1_30default_config_static_selectorELNS0_4arch9wavefront6targetE0EEEvT1_
    .private_segment_fixed_size: 0
    .sgpr_count:     0
    .sgpr_spill_count: 0
    .symbol:         _ZN7rocprim17ROCPRIM_400000_NS6detail17trampoline_kernelINS0_14default_configENS1_25partition_config_selectorILNS1_17partition_subalgoE5EdNS0_10empty_typeEbEEZZNS1_14partition_implILS5_5ELb0ES3_mN6thrust23THRUST_200600_302600_NS6detail15normal_iteratorINSA_10device_ptrIdEEEEPS6_NSA_18transform_iteratorINSB_9not_fun_tI7is_trueIdEEENSC_INSD_IbEEEENSA_11use_defaultESO_EENS0_5tupleIJNSA_16discard_iteratorISO_EES6_EEENSQ_IJSG_SG_EEES6_PlJS6_EEE10hipError_tPvRmT3_T4_T5_T6_T7_T9_mT8_P12ihipStream_tbDpT10_ENKUlT_T0_E_clISt17integral_constantIbLb0EES1E_IbLb1EEEEDaS1A_S1B_EUlS1A_E_NS1_11comp_targetILNS1_3genE8ELNS1_11target_archE1030ELNS1_3gpuE2ELNS1_3repE0EEENS1_30default_config_static_selectorELNS0_4arch9wavefront6targetE0EEEvT1_.kd
    .uniform_work_group_size: 1
    .uses_dynamic_stack: false
    .vgpr_count:     0
    .vgpr_spill_count: 0
    .wavefront_size: 32
    .workgroup_processor_mode: 1
  - .args:
      - .offset:         0
        .size:           128
        .value_kind:     by_value
    .group_segment_fixed_size: 0
    .kernarg_segment_align: 8
    .kernarg_segment_size: 128
    .language:       OpenCL C
    .language_version:
      - 2
      - 0
    .max_flat_workgroup_size: 512
    .name:           _ZN7rocprim17ROCPRIM_400000_NS6detail17trampoline_kernelINS0_14default_configENS1_25partition_config_selectorILNS1_17partition_subalgoE5EfNS0_10empty_typeEbEEZZNS1_14partition_implILS5_5ELb0ES3_mN6thrust23THRUST_200600_302600_NS6detail15normal_iteratorINSA_10device_ptrIfEEEEPS6_NSA_18transform_iteratorINSB_9not_fun_tI7is_trueIfEEENSC_INSD_IbEEEENSA_11use_defaultESO_EENS0_5tupleIJNSA_16discard_iteratorISO_EES6_EEENSQ_IJSG_SG_EEES6_PlJS6_EEE10hipError_tPvRmT3_T4_T5_T6_T7_T9_mT8_P12ihipStream_tbDpT10_ENKUlT_T0_E_clISt17integral_constantIbLb0EES1F_EEDaS1A_S1B_EUlS1A_E_NS1_11comp_targetILNS1_3genE0ELNS1_11target_archE4294967295ELNS1_3gpuE0ELNS1_3repE0EEENS1_30default_config_static_selectorELNS0_4arch9wavefront6targetE0EEEvT1_
    .private_segment_fixed_size: 0
    .sgpr_count:     0
    .sgpr_spill_count: 0
    .symbol:         _ZN7rocprim17ROCPRIM_400000_NS6detail17trampoline_kernelINS0_14default_configENS1_25partition_config_selectorILNS1_17partition_subalgoE5EfNS0_10empty_typeEbEEZZNS1_14partition_implILS5_5ELb0ES3_mN6thrust23THRUST_200600_302600_NS6detail15normal_iteratorINSA_10device_ptrIfEEEEPS6_NSA_18transform_iteratorINSB_9not_fun_tI7is_trueIfEEENSC_INSD_IbEEEENSA_11use_defaultESO_EENS0_5tupleIJNSA_16discard_iteratorISO_EES6_EEENSQ_IJSG_SG_EEES6_PlJS6_EEE10hipError_tPvRmT3_T4_T5_T6_T7_T9_mT8_P12ihipStream_tbDpT10_ENKUlT_T0_E_clISt17integral_constantIbLb0EES1F_EEDaS1A_S1B_EUlS1A_E_NS1_11comp_targetILNS1_3genE0ELNS1_11target_archE4294967295ELNS1_3gpuE0ELNS1_3repE0EEENS1_30default_config_static_selectorELNS0_4arch9wavefront6targetE0EEEvT1_.kd
    .uniform_work_group_size: 1
    .uses_dynamic_stack: false
    .vgpr_count:     0
    .vgpr_spill_count: 0
    .wavefront_size: 32
    .workgroup_processor_mode: 1
  - .args:
      - .offset:         0
        .size:           128
        .value_kind:     by_value
    .group_segment_fixed_size: 0
    .kernarg_segment_align: 8
    .kernarg_segment_size: 128
    .language:       OpenCL C
    .language_version:
      - 2
      - 0
    .max_flat_workgroup_size: 512
    .name:           _ZN7rocprim17ROCPRIM_400000_NS6detail17trampoline_kernelINS0_14default_configENS1_25partition_config_selectorILNS1_17partition_subalgoE5EfNS0_10empty_typeEbEEZZNS1_14partition_implILS5_5ELb0ES3_mN6thrust23THRUST_200600_302600_NS6detail15normal_iteratorINSA_10device_ptrIfEEEEPS6_NSA_18transform_iteratorINSB_9not_fun_tI7is_trueIfEEENSC_INSD_IbEEEENSA_11use_defaultESO_EENS0_5tupleIJNSA_16discard_iteratorISO_EES6_EEENSQ_IJSG_SG_EEES6_PlJS6_EEE10hipError_tPvRmT3_T4_T5_T6_T7_T9_mT8_P12ihipStream_tbDpT10_ENKUlT_T0_E_clISt17integral_constantIbLb0EES1F_EEDaS1A_S1B_EUlS1A_E_NS1_11comp_targetILNS1_3genE5ELNS1_11target_archE942ELNS1_3gpuE9ELNS1_3repE0EEENS1_30default_config_static_selectorELNS0_4arch9wavefront6targetE0EEEvT1_
    .private_segment_fixed_size: 0
    .sgpr_count:     0
    .sgpr_spill_count: 0
    .symbol:         _ZN7rocprim17ROCPRIM_400000_NS6detail17trampoline_kernelINS0_14default_configENS1_25partition_config_selectorILNS1_17partition_subalgoE5EfNS0_10empty_typeEbEEZZNS1_14partition_implILS5_5ELb0ES3_mN6thrust23THRUST_200600_302600_NS6detail15normal_iteratorINSA_10device_ptrIfEEEEPS6_NSA_18transform_iteratorINSB_9not_fun_tI7is_trueIfEEENSC_INSD_IbEEEENSA_11use_defaultESO_EENS0_5tupleIJNSA_16discard_iteratorISO_EES6_EEENSQ_IJSG_SG_EEES6_PlJS6_EEE10hipError_tPvRmT3_T4_T5_T6_T7_T9_mT8_P12ihipStream_tbDpT10_ENKUlT_T0_E_clISt17integral_constantIbLb0EES1F_EEDaS1A_S1B_EUlS1A_E_NS1_11comp_targetILNS1_3genE5ELNS1_11target_archE942ELNS1_3gpuE9ELNS1_3repE0EEENS1_30default_config_static_selectorELNS0_4arch9wavefront6targetE0EEEvT1_.kd
    .uniform_work_group_size: 1
    .uses_dynamic_stack: false
    .vgpr_count:     0
    .vgpr_spill_count: 0
    .wavefront_size: 32
    .workgroup_processor_mode: 1
  - .args:
      - .offset:         0
        .size:           128
        .value_kind:     by_value
    .group_segment_fixed_size: 0
    .kernarg_segment_align: 8
    .kernarg_segment_size: 128
    .language:       OpenCL C
    .language_version:
      - 2
      - 0
    .max_flat_workgroup_size: 256
    .name:           _ZN7rocprim17ROCPRIM_400000_NS6detail17trampoline_kernelINS0_14default_configENS1_25partition_config_selectorILNS1_17partition_subalgoE5EfNS0_10empty_typeEbEEZZNS1_14partition_implILS5_5ELb0ES3_mN6thrust23THRUST_200600_302600_NS6detail15normal_iteratorINSA_10device_ptrIfEEEEPS6_NSA_18transform_iteratorINSB_9not_fun_tI7is_trueIfEEENSC_INSD_IbEEEENSA_11use_defaultESO_EENS0_5tupleIJNSA_16discard_iteratorISO_EES6_EEENSQ_IJSG_SG_EEES6_PlJS6_EEE10hipError_tPvRmT3_T4_T5_T6_T7_T9_mT8_P12ihipStream_tbDpT10_ENKUlT_T0_E_clISt17integral_constantIbLb0EES1F_EEDaS1A_S1B_EUlS1A_E_NS1_11comp_targetILNS1_3genE4ELNS1_11target_archE910ELNS1_3gpuE8ELNS1_3repE0EEENS1_30default_config_static_selectorELNS0_4arch9wavefront6targetE0EEEvT1_
    .private_segment_fixed_size: 0
    .sgpr_count:     0
    .sgpr_spill_count: 0
    .symbol:         _ZN7rocprim17ROCPRIM_400000_NS6detail17trampoline_kernelINS0_14default_configENS1_25partition_config_selectorILNS1_17partition_subalgoE5EfNS0_10empty_typeEbEEZZNS1_14partition_implILS5_5ELb0ES3_mN6thrust23THRUST_200600_302600_NS6detail15normal_iteratorINSA_10device_ptrIfEEEEPS6_NSA_18transform_iteratorINSB_9not_fun_tI7is_trueIfEEENSC_INSD_IbEEEENSA_11use_defaultESO_EENS0_5tupleIJNSA_16discard_iteratorISO_EES6_EEENSQ_IJSG_SG_EEES6_PlJS6_EEE10hipError_tPvRmT3_T4_T5_T6_T7_T9_mT8_P12ihipStream_tbDpT10_ENKUlT_T0_E_clISt17integral_constantIbLb0EES1F_EEDaS1A_S1B_EUlS1A_E_NS1_11comp_targetILNS1_3genE4ELNS1_11target_archE910ELNS1_3gpuE8ELNS1_3repE0EEENS1_30default_config_static_selectorELNS0_4arch9wavefront6targetE0EEEvT1_.kd
    .uniform_work_group_size: 1
    .uses_dynamic_stack: false
    .vgpr_count:     0
    .vgpr_spill_count: 0
    .wavefront_size: 32
    .workgroup_processor_mode: 1
  - .args:
      - .offset:         0
        .size:           128
        .value_kind:     by_value
    .group_segment_fixed_size: 0
    .kernarg_segment_align: 8
    .kernarg_segment_size: 128
    .language:       OpenCL C
    .language_version:
      - 2
      - 0
    .max_flat_workgroup_size: 512
    .name:           _ZN7rocprim17ROCPRIM_400000_NS6detail17trampoline_kernelINS0_14default_configENS1_25partition_config_selectorILNS1_17partition_subalgoE5EfNS0_10empty_typeEbEEZZNS1_14partition_implILS5_5ELb0ES3_mN6thrust23THRUST_200600_302600_NS6detail15normal_iteratorINSA_10device_ptrIfEEEEPS6_NSA_18transform_iteratorINSB_9not_fun_tI7is_trueIfEEENSC_INSD_IbEEEENSA_11use_defaultESO_EENS0_5tupleIJNSA_16discard_iteratorISO_EES6_EEENSQ_IJSG_SG_EEES6_PlJS6_EEE10hipError_tPvRmT3_T4_T5_T6_T7_T9_mT8_P12ihipStream_tbDpT10_ENKUlT_T0_E_clISt17integral_constantIbLb0EES1F_EEDaS1A_S1B_EUlS1A_E_NS1_11comp_targetILNS1_3genE3ELNS1_11target_archE908ELNS1_3gpuE7ELNS1_3repE0EEENS1_30default_config_static_selectorELNS0_4arch9wavefront6targetE0EEEvT1_
    .private_segment_fixed_size: 0
    .sgpr_count:     0
    .sgpr_spill_count: 0
    .symbol:         _ZN7rocprim17ROCPRIM_400000_NS6detail17trampoline_kernelINS0_14default_configENS1_25partition_config_selectorILNS1_17partition_subalgoE5EfNS0_10empty_typeEbEEZZNS1_14partition_implILS5_5ELb0ES3_mN6thrust23THRUST_200600_302600_NS6detail15normal_iteratorINSA_10device_ptrIfEEEEPS6_NSA_18transform_iteratorINSB_9not_fun_tI7is_trueIfEEENSC_INSD_IbEEEENSA_11use_defaultESO_EENS0_5tupleIJNSA_16discard_iteratorISO_EES6_EEENSQ_IJSG_SG_EEES6_PlJS6_EEE10hipError_tPvRmT3_T4_T5_T6_T7_T9_mT8_P12ihipStream_tbDpT10_ENKUlT_T0_E_clISt17integral_constantIbLb0EES1F_EEDaS1A_S1B_EUlS1A_E_NS1_11comp_targetILNS1_3genE3ELNS1_11target_archE908ELNS1_3gpuE7ELNS1_3repE0EEENS1_30default_config_static_selectorELNS0_4arch9wavefront6targetE0EEEvT1_.kd
    .uniform_work_group_size: 1
    .uses_dynamic_stack: false
    .vgpr_count:     0
    .vgpr_spill_count: 0
    .wavefront_size: 32
    .workgroup_processor_mode: 1
  - .args:
      - .offset:         0
        .size:           128
        .value_kind:     by_value
    .group_segment_fixed_size: 0
    .kernarg_segment_align: 8
    .kernarg_segment_size: 128
    .language:       OpenCL C
    .language_version:
      - 2
      - 0
    .max_flat_workgroup_size: 256
    .name:           _ZN7rocprim17ROCPRIM_400000_NS6detail17trampoline_kernelINS0_14default_configENS1_25partition_config_selectorILNS1_17partition_subalgoE5EfNS0_10empty_typeEbEEZZNS1_14partition_implILS5_5ELb0ES3_mN6thrust23THRUST_200600_302600_NS6detail15normal_iteratorINSA_10device_ptrIfEEEEPS6_NSA_18transform_iteratorINSB_9not_fun_tI7is_trueIfEEENSC_INSD_IbEEEENSA_11use_defaultESO_EENS0_5tupleIJNSA_16discard_iteratorISO_EES6_EEENSQ_IJSG_SG_EEES6_PlJS6_EEE10hipError_tPvRmT3_T4_T5_T6_T7_T9_mT8_P12ihipStream_tbDpT10_ENKUlT_T0_E_clISt17integral_constantIbLb0EES1F_EEDaS1A_S1B_EUlS1A_E_NS1_11comp_targetILNS1_3genE2ELNS1_11target_archE906ELNS1_3gpuE6ELNS1_3repE0EEENS1_30default_config_static_selectorELNS0_4arch9wavefront6targetE0EEEvT1_
    .private_segment_fixed_size: 0
    .sgpr_count:     0
    .sgpr_spill_count: 0
    .symbol:         _ZN7rocprim17ROCPRIM_400000_NS6detail17trampoline_kernelINS0_14default_configENS1_25partition_config_selectorILNS1_17partition_subalgoE5EfNS0_10empty_typeEbEEZZNS1_14partition_implILS5_5ELb0ES3_mN6thrust23THRUST_200600_302600_NS6detail15normal_iteratorINSA_10device_ptrIfEEEEPS6_NSA_18transform_iteratorINSB_9not_fun_tI7is_trueIfEEENSC_INSD_IbEEEENSA_11use_defaultESO_EENS0_5tupleIJNSA_16discard_iteratorISO_EES6_EEENSQ_IJSG_SG_EEES6_PlJS6_EEE10hipError_tPvRmT3_T4_T5_T6_T7_T9_mT8_P12ihipStream_tbDpT10_ENKUlT_T0_E_clISt17integral_constantIbLb0EES1F_EEDaS1A_S1B_EUlS1A_E_NS1_11comp_targetILNS1_3genE2ELNS1_11target_archE906ELNS1_3gpuE6ELNS1_3repE0EEENS1_30default_config_static_selectorELNS0_4arch9wavefront6targetE0EEEvT1_.kd
    .uniform_work_group_size: 1
    .uses_dynamic_stack: false
    .vgpr_count:     0
    .vgpr_spill_count: 0
    .wavefront_size: 32
    .workgroup_processor_mode: 1
  - .args:
      - .offset:         0
        .size:           128
        .value_kind:     by_value
    .group_segment_fixed_size: 10768
    .kernarg_segment_align: 8
    .kernarg_segment_size: 128
    .language:       OpenCL C
    .language_version:
      - 2
      - 0
    .max_flat_workgroup_size: 384
    .name:           _ZN7rocprim17ROCPRIM_400000_NS6detail17trampoline_kernelINS0_14default_configENS1_25partition_config_selectorILNS1_17partition_subalgoE5EfNS0_10empty_typeEbEEZZNS1_14partition_implILS5_5ELb0ES3_mN6thrust23THRUST_200600_302600_NS6detail15normal_iteratorINSA_10device_ptrIfEEEEPS6_NSA_18transform_iteratorINSB_9not_fun_tI7is_trueIfEEENSC_INSD_IbEEEENSA_11use_defaultESO_EENS0_5tupleIJNSA_16discard_iteratorISO_EES6_EEENSQ_IJSG_SG_EEES6_PlJS6_EEE10hipError_tPvRmT3_T4_T5_T6_T7_T9_mT8_P12ihipStream_tbDpT10_ENKUlT_T0_E_clISt17integral_constantIbLb0EES1F_EEDaS1A_S1B_EUlS1A_E_NS1_11comp_targetILNS1_3genE10ELNS1_11target_archE1200ELNS1_3gpuE4ELNS1_3repE0EEENS1_30default_config_static_selectorELNS0_4arch9wavefront6targetE0EEEvT1_
    .private_segment_fixed_size: 0
    .sgpr_count:     25
    .sgpr_spill_count: 0
    .symbol:         _ZN7rocprim17ROCPRIM_400000_NS6detail17trampoline_kernelINS0_14default_configENS1_25partition_config_selectorILNS1_17partition_subalgoE5EfNS0_10empty_typeEbEEZZNS1_14partition_implILS5_5ELb0ES3_mN6thrust23THRUST_200600_302600_NS6detail15normal_iteratorINSA_10device_ptrIfEEEEPS6_NSA_18transform_iteratorINSB_9not_fun_tI7is_trueIfEEENSC_INSD_IbEEEENSA_11use_defaultESO_EENS0_5tupleIJNSA_16discard_iteratorISO_EES6_EEENSQ_IJSG_SG_EEES6_PlJS6_EEE10hipError_tPvRmT3_T4_T5_T6_T7_T9_mT8_P12ihipStream_tbDpT10_ENKUlT_T0_E_clISt17integral_constantIbLb0EES1F_EEDaS1A_S1B_EUlS1A_E_NS1_11comp_targetILNS1_3genE10ELNS1_11target_archE1200ELNS1_3gpuE4ELNS1_3repE0EEENS1_30default_config_static_selectorELNS0_4arch9wavefront6targetE0EEEvT1_.kd
    .uniform_work_group_size: 1
    .uses_dynamic_stack: false
    .vgpr_count:     46
    .vgpr_spill_count: 0
    .wavefront_size: 32
    .workgroup_processor_mode: 1
  - .args:
      - .offset:         0
        .size:           128
        .value_kind:     by_value
    .group_segment_fixed_size: 0
    .kernarg_segment_align: 8
    .kernarg_segment_size: 128
    .language:       OpenCL C
    .language_version:
      - 2
      - 0
    .max_flat_workgroup_size: 128
    .name:           _ZN7rocprim17ROCPRIM_400000_NS6detail17trampoline_kernelINS0_14default_configENS1_25partition_config_selectorILNS1_17partition_subalgoE5EfNS0_10empty_typeEbEEZZNS1_14partition_implILS5_5ELb0ES3_mN6thrust23THRUST_200600_302600_NS6detail15normal_iteratorINSA_10device_ptrIfEEEEPS6_NSA_18transform_iteratorINSB_9not_fun_tI7is_trueIfEEENSC_INSD_IbEEEENSA_11use_defaultESO_EENS0_5tupleIJNSA_16discard_iteratorISO_EES6_EEENSQ_IJSG_SG_EEES6_PlJS6_EEE10hipError_tPvRmT3_T4_T5_T6_T7_T9_mT8_P12ihipStream_tbDpT10_ENKUlT_T0_E_clISt17integral_constantIbLb0EES1F_EEDaS1A_S1B_EUlS1A_E_NS1_11comp_targetILNS1_3genE9ELNS1_11target_archE1100ELNS1_3gpuE3ELNS1_3repE0EEENS1_30default_config_static_selectorELNS0_4arch9wavefront6targetE0EEEvT1_
    .private_segment_fixed_size: 0
    .sgpr_count:     0
    .sgpr_spill_count: 0
    .symbol:         _ZN7rocprim17ROCPRIM_400000_NS6detail17trampoline_kernelINS0_14default_configENS1_25partition_config_selectorILNS1_17partition_subalgoE5EfNS0_10empty_typeEbEEZZNS1_14partition_implILS5_5ELb0ES3_mN6thrust23THRUST_200600_302600_NS6detail15normal_iteratorINSA_10device_ptrIfEEEEPS6_NSA_18transform_iteratorINSB_9not_fun_tI7is_trueIfEEENSC_INSD_IbEEEENSA_11use_defaultESO_EENS0_5tupleIJNSA_16discard_iteratorISO_EES6_EEENSQ_IJSG_SG_EEES6_PlJS6_EEE10hipError_tPvRmT3_T4_T5_T6_T7_T9_mT8_P12ihipStream_tbDpT10_ENKUlT_T0_E_clISt17integral_constantIbLb0EES1F_EEDaS1A_S1B_EUlS1A_E_NS1_11comp_targetILNS1_3genE9ELNS1_11target_archE1100ELNS1_3gpuE3ELNS1_3repE0EEENS1_30default_config_static_selectorELNS0_4arch9wavefront6targetE0EEEvT1_.kd
    .uniform_work_group_size: 1
    .uses_dynamic_stack: false
    .vgpr_count:     0
    .vgpr_spill_count: 0
    .wavefront_size: 32
    .workgroup_processor_mode: 1
  - .args:
      - .offset:         0
        .size:           128
        .value_kind:     by_value
    .group_segment_fixed_size: 0
    .kernarg_segment_align: 8
    .kernarg_segment_size: 128
    .language:       OpenCL C
    .language_version:
      - 2
      - 0
    .max_flat_workgroup_size: 512
    .name:           _ZN7rocprim17ROCPRIM_400000_NS6detail17trampoline_kernelINS0_14default_configENS1_25partition_config_selectorILNS1_17partition_subalgoE5EfNS0_10empty_typeEbEEZZNS1_14partition_implILS5_5ELb0ES3_mN6thrust23THRUST_200600_302600_NS6detail15normal_iteratorINSA_10device_ptrIfEEEEPS6_NSA_18transform_iteratorINSB_9not_fun_tI7is_trueIfEEENSC_INSD_IbEEEENSA_11use_defaultESO_EENS0_5tupleIJNSA_16discard_iteratorISO_EES6_EEENSQ_IJSG_SG_EEES6_PlJS6_EEE10hipError_tPvRmT3_T4_T5_T6_T7_T9_mT8_P12ihipStream_tbDpT10_ENKUlT_T0_E_clISt17integral_constantIbLb0EES1F_EEDaS1A_S1B_EUlS1A_E_NS1_11comp_targetILNS1_3genE8ELNS1_11target_archE1030ELNS1_3gpuE2ELNS1_3repE0EEENS1_30default_config_static_selectorELNS0_4arch9wavefront6targetE0EEEvT1_
    .private_segment_fixed_size: 0
    .sgpr_count:     0
    .sgpr_spill_count: 0
    .symbol:         _ZN7rocprim17ROCPRIM_400000_NS6detail17trampoline_kernelINS0_14default_configENS1_25partition_config_selectorILNS1_17partition_subalgoE5EfNS0_10empty_typeEbEEZZNS1_14partition_implILS5_5ELb0ES3_mN6thrust23THRUST_200600_302600_NS6detail15normal_iteratorINSA_10device_ptrIfEEEEPS6_NSA_18transform_iteratorINSB_9not_fun_tI7is_trueIfEEENSC_INSD_IbEEEENSA_11use_defaultESO_EENS0_5tupleIJNSA_16discard_iteratorISO_EES6_EEENSQ_IJSG_SG_EEES6_PlJS6_EEE10hipError_tPvRmT3_T4_T5_T6_T7_T9_mT8_P12ihipStream_tbDpT10_ENKUlT_T0_E_clISt17integral_constantIbLb0EES1F_EEDaS1A_S1B_EUlS1A_E_NS1_11comp_targetILNS1_3genE8ELNS1_11target_archE1030ELNS1_3gpuE2ELNS1_3repE0EEENS1_30default_config_static_selectorELNS0_4arch9wavefront6targetE0EEEvT1_.kd
    .uniform_work_group_size: 1
    .uses_dynamic_stack: false
    .vgpr_count:     0
    .vgpr_spill_count: 0
    .wavefront_size: 32
    .workgroup_processor_mode: 1
  - .args:
      - .offset:         0
        .size:           144
        .value_kind:     by_value
    .group_segment_fixed_size: 0
    .kernarg_segment_align: 8
    .kernarg_segment_size: 144
    .language:       OpenCL C
    .language_version:
      - 2
      - 0
    .max_flat_workgroup_size: 512
    .name:           _ZN7rocprim17ROCPRIM_400000_NS6detail17trampoline_kernelINS0_14default_configENS1_25partition_config_selectorILNS1_17partition_subalgoE5EfNS0_10empty_typeEbEEZZNS1_14partition_implILS5_5ELb0ES3_mN6thrust23THRUST_200600_302600_NS6detail15normal_iteratorINSA_10device_ptrIfEEEEPS6_NSA_18transform_iteratorINSB_9not_fun_tI7is_trueIfEEENSC_INSD_IbEEEENSA_11use_defaultESO_EENS0_5tupleIJNSA_16discard_iteratorISO_EES6_EEENSQ_IJSG_SG_EEES6_PlJS6_EEE10hipError_tPvRmT3_T4_T5_T6_T7_T9_mT8_P12ihipStream_tbDpT10_ENKUlT_T0_E_clISt17integral_constantIbLb1EES1F_EEDaS1A_S1B_EUlS1A_E_NS1_11comp_targetILNS1_3genE0ELNS1_11target_archE4294967295ELNS1_3gpuE0ELNS1_3repE0EEENS1_30default_config_static_selectorELNS0_4arch9wavefront6targetE0EEEvT1_
    .private_segment_fixed_size: 0
    .sgpr_count:     0
    .sgpr_spill_count: 0
    .symbol:         _ZN7rocprim17ROCPRIM_400000_NS6detail17trampoline_kernelINS0_14default_configENS1_25partition_config_selectorILNS1_17partition_subalgoE5EfNS0_10empty_typeEbEEZZNS1_14partition_implILS5_5ELb0ES3_mN6thrust23THRUST_200600_302600_NS6detail15normal_iteratorINSA_10device_ptrIfEEEEPS6_NSA_18transform_iteratorINSB_9not_fun_tI7is_trueIfEEENSC_INSD_IbEEEENSA_11use_defaultESO_EENS0_5tupleIJNSA_16discard_iteratorISO_EES6_EEENSQ_IJSG_SG_EEES6_PlJS6_EEE10hipError_tPvRmT3_T4_T5_T6_T7_T9_mT8_P12ihipStream_tbDpT10_ENKUlT_T0_E_clISt17integral_constantIbLb1EES1F_EEDaS1A_S1B_EUlS1A_E_NS1_11comp_targetILNS1_3genE0ELNS1_11target_archE4294967295ELNS1_3gpuE0ELNS1_3repE0EEENS1_30default_config_static_selectorELNS0_4arch9wavefront6targetE0EEEvT1_.kd
    .uniform_work_group_size: 1
    .uses_dynamic_stack: false
    .vgpr_count:     0
    .vgpr_spill_count: 0
    .wavefront_size: 32
    .workgroup_processor_mode: 1
  - .args:
      - .offset:         0
        .size:           144
        .value_kind:     by_value
    .group_segment_fixed_size: 0
    .kernarg_segment_align: 8
    .kernarg_segment_size: 144
    .language:       OpenCL C
    .language_version:
      - 2
      - 0
    .max_flat_workgroup_size: 512
    .name:           _ZN7rocprim17ROCPRIM_400000_NS6detail17trampoline_kernelINS0_14default_configENS1_25partition_config_selectorILNS1_17partition_subalgoE5EfNS0_10empty_typeEbEEZZNS1_14partition_implILS5_5ELb0ES3_mN6thrust23THRUST_200600_302600_NS6detail15normal_iteratorINSA_10device_ptrIfEEEEPS6_NSA_18transform_iteratorINSB_9not_fun_tI7is_trueIfEEENSC_INSD_IbEEEENSA_11use_defaultESO_EENS0_5tupleIJNSA_16discard_iteratorISO_EES6_EEENSQ_IJSG_SG_EEES6_PlJS6_EEE10hipError_tPvRmT3_T4_T5_T6_T7_T9_mT8_P12ihipStream_tbDpT10_ENKUlT_T0_E_clISt17integral_constantIbLb1EES1F_EEDaS1A_S1B_EUlS1A_E_NS1_11comp_targetILNS1_3genE5ELNS1_11target_archE942ELNS1_3gpuE9ELNS1_3repE0EEENS1_30default_config_static_selectorELNS0_4arch9wavefront6targetE0EEEvT1_
    .private_segment_fixed_size: 0
    .sgpr_count:     0
    .sgpr_spill_count: 0
    .symbol:         _ZN7rocprim17ROCPRIM_400000_NS6detail17trampoline_kernelINS0_14default_configENS1_25partition_config_selectorILNS1_17partition_subalgoE5EfNS0_10empty_typeEbEEZZNS1_14partition_implILS5_5ELb0ES3_mN6thrust23THRUST_200600_302600_NS6detail15normal_iteratorINSA_10device_ptrIfEEEEPS6_NSA_18transform_iteratorINSB_9not_fun_tI7is_trueIfEEENSC_INSD_IbEEEENSA_11use_defaultESO_EENS0_5tupleIJNSA_16discard_iteratorISO_EES6_EEENSQ_IJSG_SG_EEES6_PlJS6_EEE10hipError_tPvRmT3_T4_T5_T6_T7_T9_mT8_P12ihipStream_tbDpT10_ENKUlT_T0_E_clISt17integral_constantIbLb1EES1F_EEDaS1A_S1B_EUlS1A_E_NS1_11comp_targetILNS1_3genE5ELNS1_11target_archE942ELNS1_3gpuE9ELNS1_3repE0EEENS1_30default_config_static_selectorELNS0_4arch9wavefront6targetE0EEEvT1_.kd
    .uniform_work_group_size: 1
    .uses_dynamic_stack: false
    .vgpr_count:     0
    .vgpr_spill_count: 0
    .wavefront_size: 32
    .workgroup_processor_mode: 1
  - .args:
      - .offset:         0
        .size:           144
        .value_kind:     by_value
    .group_segment_fixed_size: 0
    .kernarg_segment_align: 8
    .kernarg_segment_size: 144
    .language:       OpenCL C
    .language_version:
      - 2
      - 0
    .max_flat_workgroup_size: 256
    .name:           _ZN7rocprim17ROCPRIM_400000_NS6detail17trampoline_kernelINS0_14default_configENS1_25partition_config_selectorILNS1_17partition_subalgoE5EfNS0_10empty_typeEbEEZZNS1_14partition_implILS5_5ELb0ES3_mN6thrust23THRUST_200600_302600_NS6detail15normal_iteratorINSA_10device_ptrIfEEEEPS6_NSA_18transform_iteratorINSB_9not_fun_tI7is_trueIfEEENSC_INSD_IbEEEENSA_11use_defaultESO_EENS0_5tupleIJNSA_16discard_iteratorISO_EES6_EEENSQ_IJSG_SG_EEES6_PlJS6_EEE10hipError_tPvRmT3_T4_T5_T6_T7_T9_mT8_P12ihipStream_tbDpT10_ENKUlT_T0_E_clISt17integral_constantIbLb1EES1F_EEDaS1A_S1B_EUlS1A_E_NS1_11comp_targetILNS1_3genE4ELNS1_11target_archE910ELNS1_3gpuE8ELNS1_3repE0EEENS1_30default_config_static_selectorELNS0_4arch9wavefront6targetE0EEEvT1_
    .private_segment_fixed_size: 0
    .sgpr_count:     0
    .sgpr_spill_count: 0
    .symbol:         _ZN7rocprim17ROCPRIM_400000_NS6detail17trampoline_kernelINS0_14default_configENS1_25partition_config_selectorILNS1_17partition_subalgoE5EfNS0_10empty_typeEbEEZZNS1_14partition_implILS5_5ELb0ES3_mN6thrust23THRUST_200600_302600_NS6detail15normal_iteratorINSA_10device_ptrIfEEEEPS6_NSA_18transform_iteratorINSB_9not_fun_tI7is_trueIfEEENSC_INSD_IbEEEENSA_11use_defaultESO_EENS0_5tupleIJNSA_16discard_iteratorISO_EES6_EEENSQ_IJSG_SG_EEES6_PlJS6_EEE10hipError_tPvRmT3_T4_T5_T6_T7_T9_mT8_P12ihipStream_tbDpT10_ENKUlT_T0_E_clISt17integral_constantIbLb1EES1F_EEDaS1A_S1B_EUlS1A_E_NS1_11comp_targetILNS1_3genE4ELNS1_11target_archE910ELNS1_3gpuE8ELNS1_3repE0EEENS1_30default_config_static_selectorELNS0_4arch9wavefront6targetE0EEEvT1_.kd
    .uniform_work_group_size: 1
    .uses_dynamic_stack: false
    .vgpr_count:     0
    .vgpr_spill_count: 0
    .wavefront_size: 32
    .workgroup_processor_mode: 1
  - .args:
      - .offset:         0
        .size:           144
        .value_kind:     by_value
    .group_segment_fixed_size: 0
    .kernarg_segment_align: 8
    .kernarg_segment_size: 144
    .language:       OpenCL C
    .language_version:
      - 2
      - 0
    .max_flat_workgroup_size: 512
    .name:           _ZN7rocprim17ROCPRIM_400000_NS6detail17trampoline_kernelINS0_14default_configENS1_25partition_config_selectorILNS1_17partition_subalgoE5EfNS0_10empty_typeEbEEZZNS1_14partition_implILS5_5ELb0ES3_mN6thrust23THRUST_200600_302600_NS6detail15normal_iteratorINSA_10device_ptrIfEEEEPS6_NSA_18transform_iteratorINSB_9not_fun_tI7is_trueIfEEENSC_INSD_IbEEEENSA_11use_defaultESO_EENS0_5tupleIJNSA_16discard_iteratorISO_EES6_EEENSQ_IJSG_SG_EEES6_PlJS6_EEE10hipError_tPvRmT3_T4_T5_T6_T7_T9_mT8_P12ihipStream_tbDpT10_ENKUlT_T0_E_clISt17integral_constantIbLb1EES1F_EEDaS1A_S1B_EUlS1A_E_NS1_11comp_targetILNS1_3genE3ELNS1_11target_archE908ELNS1_3gpuE7ELNS1_3repE0EEENS1_30default_config_static_selectorELNS0_4arch9wavefront6targetE0EEEvT1_
    .private_segment_fixed_size: 0
    .sgpr_count:     0
    .sgpr_spill_count: 0
    .symbol:         _ZN7rocprim17ROCPRIM_400000_NS6detail17trampoline_kernelINS0_14default_configENS1_25partition_config_selectorILNS1_17partition_subalgoE5EfNS0_10empty_typeEbEEZZNS1_14partition_implILS5_5ELb0ES3_mN6thrust23THRUST_200600_302600_NS6detail15normal_iteratorINSA_10device_ptrIfEEEEPS6_NSA_18transform_iteratorINSB_9not_fun_tI7is_trueIfEEENSC_INSD_IbEEEENSA_11use_defaultESO_EENS0_5tupleIJNSA_16discard_iteratorISO_EES6_EEENSQ_IJSG_SG_EEES6_PlJS6_EEE10hipError_tPvRmT3_T4_T5_T6_T7_T9_mT8_P12ihipStream_tbDpT10_ENKUlT_T0_E_clISt17integral_constantIbLb1EES1F_EEDaS1A_S1B_EUlS1A_E_NS1_11comp_targetILNS1_3genE3ELNS1_11target_archE908ELNS1_3gpuE7ELNS1_3repE0EEENS1_30default_config_static_selectorELNS0_4arch9wavefront6targetE0EEEvT1_.kd
    .uniform_work_group_size: 1
    .uses_dynamic_stack: false
    .vgpr_count:     0
    .vgpr_spill_count: 0
    .wavefront_size: 32
    .workgroup_processor_mode: 1
  - .args:
      - .offset:         0
        .size:           144
        .value_kind:     by_value
    .group_segment_fixed_size: 0
    .kernarg_segment_align: 8
    .kernarg_segment_size: 144
    .language:       OpenCL C
    .language_version:
      - 2
      - 0
    .max_flat_workgroup_size: 256
    .name:           _ZN7rocprim17ROCPRIM_400000_NS6detail17trampoline_kernelINS0_14default_configENS1_25partition_config_selectorILNS1_17partition_subalgoE5EfNS0_10empty_typeEbEEZZNS1_14partition_implILS5_5ELb0ES3_mN6thrust23THRUST_200600_302600_NS6detail15normal_iteratorINSA_10device_ptrIfEEEEPS6_NSA_18transform_iteratorINSB_9not_fun_tI7is_trueIfEEENSC_INSD_IbEEEENSA_11use_defaultESO_EENS0_5tupleIJNSA_16discard_iteratorISO_EES6_EEENSQ_IJSG_SG_EEES6_PlJS6_EEE10hipError_tPvRmT3_T4_T5_T6_T7_T9_mT8_P12ihipStream_tbDpT10_ENKUlT_T0_E_clISt17integral_constantIbLb1EES1F_EEDaS1A_S1B_EUlS1A_E_NS1_11comp_targetILNS1_3genE2ELNS1_11target_archE906ELNS1_3gpuE6ELNS1_3repE0EEENS1_30default_config_static_selectorELNS0_4arch9wavefront6targetE0EEEvT1_
    .private_segment_fixed_size: 0
    .sgpr_count:     0
    .sgpr_spill_count: 0
    .symbol:         _ZN7rocprim17ROCPRIM_400000_NS6detail17trampoline_kernelINS0_14default_configENS1_25partition_config_selectorILNS1_17partition_subalgoE5EfNS0_10empty_typeEbEEZZNS1_14partition_implILS5_5ELb0ES3_mN6thrust23THRUST_200600_302600_NS6detail15normal_iteratorINSA_10device_ptrIfEEEEPS6_NSA_18transform_iteratorINSB_9not_fun_tI7is_trueIfEEENSC_INSD_IbEEEENSA_11use_defaultESO_EENS0_5tupleIJNSA_16discard_iteratorISO_EES6_EEENSQ_IJSG_SG_EEES6_PlJS6_EEE10hipError_tPvRmT3_T4_T5_T6_T7_T9_mT8_P12ihipStream_tbDpT10_ENKUlT_T0_E_clISt17integral_constantIbLb1EES1F_EEDaS1A_S1B_EUlS1A_E_NS1_11comp_targetILNS1_3genE2ELNS1_11target_archE906ELNS1_3gpuE6ELNS1_3repE0EEENS1_30default_config_static_selectorELNS0_4arch9wavefront6targetE0EEEvT1_.kd
    .uniform_work_group_size: 1
    .uses_dynamic_stack: false
    .vgpr_count:     0
    .vgpr_spill_count: 0
    .wavefront_size: 32
    .workgroup_processor_mode: 1
  - .args:
      - .offset:         0
        .size:           144
        .value_kind:     by_value
    .group_segment_fixed_size: 0
    .kernarg_segment_align: 8
    .kernarg_segment_size: 144
    .language:       OpenCL C
    .language_version:
      - 2
      - 0
    .max_flat_workgroup_size: 384
    .name:           _ZN7rocprim17ROCPRIM_400000_NS6detail17trampoline_kernelINS0_14default_configENS1_25partition_config_selectorILNS1_17partition_subalgoE5EfNS0_10empty_typeEbEEZZNS1_14partition_implILS5_5ELb0ES3_mN6thrust23THRUST_200600_302600_NS6detail15normal_iteratorINSA_10device_ptrIfEEEEPS6_NSA_18transform_iteratorINSB_9not_fun_tI7is_trueIfEEENSC_INSD_IbEEEENSA_11use_defaultESO_EENS0_5tupleIJNSA_16discard_iteratorISO_EES6_EEENSQ_IJSG_SG_EEES6_PlJS6_EEE10hipError_tPvRmT3_T4_T5_T6_T7_T9_mT8_P12ihipStream_tbDpT10_ENKUlT_T0_E_clISt17integral_constantIbLb1EES1F_EEDaS1A_S1B_EUlS1A_E_NS1_11comp_targetILNS1_3genE10ELNS1_11target_archE1200ELNS1_3gpuE4ELNS1_3repE0EEENS1_30default_config_static_selectorELNS0_4arch9wavefront6targetE0EEEvT1_
    .private_segment_fixed_size: 0
    .sgpr_count:     0
    .sgpr_spill_count: 0
    .symbol:         _ZN7rocprim17ROCPRIM_400000_NS6detail17trampoline_kernelINS0_14default_configENS1_25partition_config_selectorILNS1_17partition_subalgoE5EfNS0_10empty_typeEbEEZZNS1_14partition_implILS5_5ELb0ES3_mN6thrust23THRUST_200600_302600_NS6detail15normal_iteratorINSA_10device_ptrIfEEEEPS6_NSA_18transform_iteratorINSB_9not_fun_tI7is_trueIfEEENSC_INSD_IbEEEENSA_11use_defaultESO_EENS0_5tupleIJNSA_16discard_iteratorISO_EES6_EEENSQ_IJSG_SG_EEES6_PlJS6_EEE10hipError_tPvRmT3_T4_T5_T6_T7_T9_mT8_P12ihipStream_tbDpT10_ENKUlT_T0_E_clISt17integral_constantIbLb1EES1F_EEDaS1A_S1B_EUlS1A_E_NS1_11comp_targetILNS1_3genE10ELNS1_11target_archE1200ELNS1_3gpuE4ELNS1_3repE0EEENS1_30default_config_static_selectorELNS0_4arch9wavefront6targetE0EEEvT1_.kd
    .uniform_work_group_size: 1
    .uses_dynamic_stack: false
    .vgpr_count:     0
    .vgpr_spill_count: 0
    .wavefront_size: 32
    .workgroup_processor_mode: 1
  - .args:
      - .offset:         0
        .size:           144
        .value_kind:     by_value
    .group_segment_fixed_size: 0
    .kernarg_segment_align: 8
    .kernarg_segment_size: 144
    .language:       OpenCL C
    .language_version:
      - 2
      - 0
    .max_flat_workgroup_size: 128
    .name:           _ZN7rocprim17ROCPRIM_400000_NS6detail17trampoline_kernelINS0_14default_configENS1_25partition_config_selectorILNS1_17partition_subalgoE5EfNS0_10empty_typeEbEEZZNS1_14partition_implILS5_5ELb0ES3_mN6thrust23THRUST_200600_302600_NS6detail15normal_iteratorINSA_10device_ptrIfEEEEPS6_NSA_18transform_iteratorINSB_9not_fun_tI7is_trueIfEEENSC_INSD_IbEEEENSA_11use_defaultESO_EENS0_5tupleIJNSA_16discard_iteratorISO_EES6_EEENSQ_IJSG_SG_EEES6_PlJS6_EEE10hipError_tPvRmT3_T4_T5_T6_T7_T9_mT8_P12ihipStream_tbDpT10_ENKUlT_T0_E_clISt17integral_constantIbLb1EES1F_EEDaS1A_S1B_EUlS1A_E_NS1_11comp_targetILNS1_3genE9ELNS1_11target_archE1100ELNS1_3gpuE3ELNS1_3repE0EEENS1_30default_config_static_selectorELNS0_4arch9wavefront6targetE0EEEvT1_
    .private_segment_fixed_size: 0
    .sgpr_count:     0
    .sgpr_spill_count: 0
    .symbol:         _ZN7rocprim17ROCPRIM_400000_NS6detail17trampoline_kernelINS0_14default_configENS1_25partition_config_selectorILNS1_17partition_subalgoE5EfNS0_10empty_typeEbEEZZNS1_14partition_implILS5_5ELb0ES3_mN6thrust23THRUST_200600_302600_NS6detail15normal_iteratorINSA_10device_ptrIfEEEEPS6_NSA_18transform_iteratorINSB_9not_fun_tI7is_trueIfEEENSC_INSD_IbEEEENSA_11use_defaultESO_EENS0_5tupleIJNSA_16discard_iteratorISO_EES6_EEENSQ_IJSG_SG_EEES6_PlJS6_EEE10hipError_tPvRmT3_T4_T5_T6_T7_T9_mT8_P12ihipStream_tbDpT10_ENKUlT_T0_E_clISt17integral_constantIbLb1EES1F_EEDaS1A_S1B_EUlS1A_E_NS1_11comp_targetILNS1_3genE9ELNS1_11target_archE1100ELNS1_3gpuE3ELNS1_3repE0EEENS1_30default_config_static_selectorELNS0_4arch9wavefront6targetE0EEEvT1_.kd
    .uniform_work_group_size: 1
    .uses_dynamic_stack: false
    .vgpr_count:     0
    .vgpr_spill_count: 0
    .wavefront_size: 32
    .workgroup_processor_mode: 1
  - .args:
      - .offset:         0
        .size:           144
        .value_kind:     by_value
    .group_segment_fixed_size: 0
    .kernarg_segment_align: 8
    .kernarg_segment_size: 144
    .language:       OpenCL C
    .language_version:
      - 2
      - 0
    .max_flat_workgroup_size: 512
    .name:           _ZN7rocprim17ROCPRIM_400000_NS6detail17trampoline_kernelINS0_14default_configENS1_25partition_config_selectorILNS1_17partition_subalgoE5EfNS0_10empty_typeEbEEZZNS1_14partition_implILS5_5ELb0ES3_mN6thrust23THRUST_200600_302600_NS6detail15normal_iteratorINSA_10device_ptrIfEEEEPS6_NSA_18transform_iteratorINSB_9not_fun_tI7is_trueIfEEENSC_INSD_IbEEEENSA_11use_defaultESO_EENS0_5tupleIJNSA_16discard_iteratorISO_EES6_EEENSQ_IJSG_SG_EEES6_PlJS6_EEE10hipError_tPvRmT3_T4_T5_T6_T7_T9_mT8_P12ihipStream_tbDpT10_ENKUlT_T0_E_clISt17integral_constantIbLb1EES1F_EEDaS1A_S1B_EUlS1A_E_NS1_11comp_targetILNS1_3genE8ELNS1_11target_archE1030ELNS1_3gpuE2ELNS1_3repE0EEENS1_30default_config_static_selectorELNS0_4arch9wavefront6targetE0EEEvT1_
    .private_segment_fixed_size: 0
    .sgpr_count:     0
    .sgpr_spill_count: 0
    .symbol:         _ZN7rocprim17ROCPRIM_400000_NS6detail17trampoline_kernelINS0_14default_configENS1_25partition_config_selectorILNS1_17partition_subalgoE5EfNS0_10empty_typeEbEEZZNS1_14partition_implILS5_5ELb0ES3_mN6thrust23THRUST_200600_302600_NS6detail15normal_iteratorINSA_10device_ptrIfEEEEPS6_NSA_18transform_iteratorINSB_9not_fun_tI7is_trueIfEEENSC_INSD_IbEEEENSA_11use_defaultESO_EENS0_5tupleIJNSA_16discard_iteratorISO_EES6_EEENSQ_IJSG_SG_EEES6_PlJS6_EEE10hipError_tPvRmT3_T4_T5_T6_T7_T9_mT8_P12ihipStream_tbDpT10_ENKUlT_T0_E_clISt17integral_constantIbLb1EES1F_EEDaS1A_S1B_EUlS1A_E_NS1_11comp_targetILNS1_3genE8ELNS1_11target_archE1030ELNS1_3gpuE2ELNS1_3repE0EEENS1_30default_config_static_selectorELNS0_4arch9wavefront6targetE0EEEvT1_.kd
    .uniform_work_group_size: 1
    .uses_dynamic_stack: false
    .vgpr_count:     0
    .vgpr_spill_count: 0
    .wavefront_size: 32
    .workgroup_processor_mode: 1
  - .args:
      - .offset:         0
        .size:           128
        .value_kind:     by_value
    .group_segment_fixed_size: 0
    .kernarg_segment_align: 8
    .kernarg_segment_size: 128
    .language:       OpenCL C
    .language_version:
      - 2
      - 0
    .max_flat_workgroup_size: 512
    .name:           _ZN7rocprim17ROCPRIM_400000_NS6detail17trampoline_kernelINS0_14default_configENS1_25partition_config_selectorILNS1_17partition_subalgoE5EfNS0_10empty_typeEbEEZZNS1_14partition_implILS5_5ELb0ES3_mN6thrust23THRUST_200600_302600_NS6detail15normal_iteratorINSA_10device_ptrIfEEEEPS6_NSA_18transform_iteratorINSB_9not_fun_tI7is_trueIfEEENSC_INSD_IbEEEENSA_11use_defaultESO_EENS0_5tupleIJNSA_16discard_iteratorISO_EES6_EEENSQ_IJSG_SG_EEES6_PlJS6_EEE10hipError_tPvRmT3_T4_T5_T6_T7_T9_mT8_P12ihipStream_tbDpT10_ENKUlT_T0_E_clISt17integral_constantIbLb1EES1E_IbLb0EEEEDaS1A_S1B_EUlS1A_E_NS1_11comp_targetILNS1_3genE0ELNS1_11target_archE4294967295ELNS1_3gpuE0ELNS1_3repE0EEENS1_30default_config_static_selectorELNS0_4arch9wavefront6targetE0EEEvT1_
    .private_segment_fixed_size: 0
    .sgpr_count:     0
    .sgpr_spill_count: 0
    .symbol:         _ZN7rocprim17ROCPRIM_400000_NS6detail17trampoline_kernelINS0_14default_configENS1_25partition_config_selectorILNS1_17partition_subalgoE5EfNS0_10empty_typeEbEEZZNS1_14partition_implILS5_5ELb0ES3_mN6thrust23THRUST_200600_302600_NS6detail15normal_iteratorINSA_10device_ptrIfEEEEPS6_NSA_18transform_iteratorINSB_9not_fun_tI7is_trueIfEEENSC_INSD_IbEEEENSA_11use_defaultESO_EENS0_5tupleIJNSA_16discard_iteratorISO_EES6_EEENSQ_IJSG_SG_EEES6_PlJS6_EEE10hipError_tPvRmT3_T4_T5_T6_T7_T9_mT8_P12ihipStream_tbDpT10_ENKUlT_T0_E_clISt17integral_constantIbLb1EES1E_IbLb0EEEEDaS1A_S1B_EUlS1A_E_NS1_11comp_targetILNS1_3genE0ELNS1_11target_archE4294967295ELNS1_3gpuE0ELNS1_3repE0EEENS1_30default_config_static_selectorELNS0_4arch9wavefront6targetE0EEEvT1_.kd
    .uniform_work_group_size: 1
    .uses_dynamic_stack: false
    .vgpr_count:     0
    .vgpr_spill_count: 0
    .wavefront_size: 32
    .workgroup_processor_mode: 1
  - .args:
      - .offset:         0
        .size:           128
        .value_kind:     by_value
    .group_segment_fixed_size: 0
    .kernarg_segment_align: 8
    .kernarg_segment_size: 128
    .language:       OpenCL C
    .language_version:
      - 2
      - 0
    .max_flat_workgroup_size: 512
    .name:           _ZN7rocprim17ROCPRIM_400000_NS6detail17trampoline_kernelINS0_14default_configENS1_25partition_config_selectorILNS1_17partition_subalgoE5EfNS0_10empty_typeEbEEZZNS1_14partition_implILS5_5ELb0ES3_mN6thrust23THRUST_200600_302600_NS6detail15normal_iteratorINSA_10device_ptrIfEEEEPS6_NSA_18transform_iteratorINSB_9not_fun_tI7is_trueIfEEENSC_INSD_IbEEEENSA_11use_defaultESO_EENS0_5tupleIJNSA_16discard_iteratorISO_EES6_EEENSQ_IJSG_SG_EEES6_PlJS6_EEE10hipError_tPvRmT3_T4_T5_T6_T7_T9_mT8_P12ihipStream_tbDpT10_ENKUlT_T0_E_clISt17integral_constantIbLb1EES1E_IbLb0EEEEDaS1A_S1B_EUlS1A_E_NS1_11comp_targetILNS1_3genE5ELNS1_11target_archE942ELNS1_3gpuE9ELNS1_3repE0EEENS1_30default_config_static_selectorELNS0_4arch9wavefront6targetE0EEEvT1_
    .private_segment_fixed_size: 0
    .sgpr_count:     0
    .sgpr_spill_count: 0
    .symbol:         _ZN7rocprim17ROCPRIM_400000_NS6detail17trampoline_kernelINS0_14default_configENS1_25partition_config_selectorILNS1_17partition_subalgoE5EfNS0_10empty_typeEbEEZZNS1_14partition_implILS5_5ELb0ES3_mN6thrust23THRUST_200600_302600_NS6detail15normal_iteratorINSA_10device_ptrIfEEEEPS6_NSA_18transform_iteratorINSB_9not_fun_tI7is_trueIfEEENSC_INSD_IbEEEENSA_11use_defaultESO_EENS0_5tupleIJNSA_16discard_iteratorISO_EES6_EEENSQ_IJSG_SG_EEES6_PlJS6_EEE10hipError_tPvRmT3_T4_T5_T6_T7_T9_mT8_P12ihipStream_tbDpT10_ENKUlT_T0_E_clISt17integral_constantIbLb1EES1E_IbLb0EEEEDaS1A_S1B_EUlS1A_E_NS1_11comp_targetILNS1_3genE5ELNS1_11target_archE942ELNS1_3gpuE9ELNS1_3repE0EEENS1_30default_config_static_selectorELNS0_4arch9wavefront6targetE0EEEvT1_.kd
    .uniform_work_group_size: 1
    .uses_dynamic_stack: false
    .vgpr_count:     0
    .vgpr_spill_count: 0
    .wavefront_size: 32
    .workgroup_processor_mode: 1
  - .args:
      - .offset:         0
        .size:           128
        .value_kind:     by_value
    .group_segment_fixed_size: 0
    .kernarg_segment_align: 8
    .kernarg_segment_size: 128
    .language:       OpenCL C
    .language_version:
      - 2
      - 0
    .max_flat_workgroup_size: 256
    .name:           _ZN7rocprim17ROCPRIM_400000_NS6detail17trampoline_kernelINS0_14default_configENS1_25partition_config_selectorILNS1_17partition_subalgoE5EfNS0_10empty_typeEbEEZZNS1_14partition_implILS5_5ELb0ES3_mN6thrust23THRUST_200600_302600_NS6detail15normal_iteratorINSA_10device_ptrIfEEEEPS6_NSA_18transform_iteratorINSB_9not_fun_tI7is_trueIfEEENSC_INSD_IbEEEENSA_11use_defaultESO_EENS0_5tupleIJNSA_16discard_iteratorISO_EES6_EEENSQ_IJSG_SG_EEES6_PlJS6_EEE10hipError_tPvRmT3_T4_T5_T6_T7_T9_mT8_P12ihipStream_tbDpT10_ENKUlT_T0_E_clISt17integral_constantIbLb1EES1E_IbLb0EEEEDaS1A_S1B_EUlS1A_E_NS1_11comp_targetILNS1_3genE4ELNS1_11target_archE910ELNS1_3gpuE8ELNS1_3repE0EEENS1_30default_config_static_selectorELNS0_4arch9wavefront6targetE0EEEvT1_
    .private_segment_fixed_size: 0
    .sgpr_count:     0
    .sgpr_spill_count: 0
    .symbol:         _ZN7rocprim17ROCPRIM_400000_NS6detail17trampoline_kernelINS0_14default_configENS1_25partition_config_selectorILNS1_17partition_subalgoE5EfNS0_10empty_typeEbEEZZNS1_14partition_implILS5_5ELb0ES3_mN6thrust23THRUST_200600_302600_NS6detail15normal_iteratorINSA_10device_ptrIfEEEEPS6_NSA_18transform_iteratorINSB_9not_fun_tI7is_trueIfEEENSC_INSD_IbEEEENSA_11use_defaultESO_EENS0_5tupleIJNSA_16discard_iteratorISO_EES6_EEENSQ_IJSG_SG_EEES6_PlJS6_EEE10hipError_tPvRmT3_T4_T5_T6_T7_T9_mT8_P12ihipStream_tbDpT10_ENKUlT_T0_E_clISt17integral_constantIbLb1EES1E_IbLb0EEEEDaS1A_S1B_EUlS1A_E_NS1_11comp_targetILNS1_3genE4ELNS1_11target_archE910ELNS1_3gpuE8ELNS1_3repE0EEENS1_30default_config_static_selectorELNS0_4arch9wavefront6targetE0EEEvT1_.kd
    .uniform_work_group_size: 1
    .uses_dynamic_stack: false
    .vgpr_count:     0
    .vgpr_spill_count: 0
    .wavefront_size: 32
    .workgroup_processor_mode: 1
  - .args:
      - .offset:         0
        .size:           128
        .value_kind:     by_value
    .group_segment_fixed_size: 0
    .kernarg_segment_align: 8
    .kernarg_segment_size: 128
    .language:       OpenCL C
    .language_version:
      - 2
      - 0
    .max_flat_workgroup_size: 512
    .name:           _ZN7rocprim17ROCPRIM_400000_NS6detail17trampoline_kernelINS0_14default_configENS1_25partition_config_selectorILNS1_17partition_subalgoE5EfNS0_10empty_typeEbEEZZNS1_14partition_implILS5_5ELb0ES3_mN6thrust23THRUST_200600_302600_NS6detail15normal_iteratorINSA_10device_ptrIfEEEEPS6_NSA_18transform_iteratorINSB_9not_fun_tI7is_trueIfEEENSC_INSD_IbEEEENSA_11use_defaultESO_EENS0_5tupleIJNSA_16discard_iteratorISO_EES6_EEENSQ_IJSG_SG_EEES6_PlJS6_EEE10hipError_tPvRmT3_T4_T5_T6_T7_T9_mT8_P12ihipStream_tbDpT10_ENKUlT_T0_E_clISt17integral_constantIbLb1EES1E_IbLb0EEEEDaS1A_S1B_EUlS1A_E_NS1_11comp_targetILNS1_3genE3ELNS1_11target_archE908ELNS1_3gpuE7ELNS1_3repE0EEENS1_30default_config_static_selectorELNS0_4arch9wavefront6targetE0EEEvT1_
    .private_segment_fixed_size: 0
    .sgpr_count:     0
    .sgpr_spill_count: 0
    .symbol:         _ZN7rocprim17ROCPRIM_400000_NS6detail17trampoline_kernelINS0_14default_configENS1_25partition_config_selectorILNS1_17partition_subalgoE5EfNS0_10empty_typeEbEEZZNS1_14partition_implILS5_5ELb0ES3_mN6thrust23THRUST_200600_302600_NS6detail15normal_iteratorINSA_10device_ptrIfEEEEPS6_NSA_18transform_iteratorINSB_9not_fun_tI7is_trueIfEEENSC_INSD_IbEEEENSA_11use_defaultESO_EENS0_5tupleIJNSA_16discard_iteratorISO_EES6_EEENSQ_IJSG_SG_EEES6_PlJS6_EEE10hipError_tPvRmT3_T4_T5_T6_T7_T9_mT8_P12ihipStream_tbDpT10_ENKUlT_T0_E_clISt17integral_constantIbLb1EES1E_IbLb0EEEEDaS1A_S1B_EUlS1A_E_NS1_11comp_targetILNS1_3genE3ELNS1_11target_archE908ELNS1_3gpuE7ELNS1_3repE0EEENS1_30default_config_static_selectorELNS0_4arch9wavefront6targetE0EEEvT1_.kd
    .uniform_work_group_size: 1
    .uses_dynamic_stack: false
    .vgpr_count:     0
    .vgpr_spill_count: 0
    .wavefront_size: 32
    .workgroup_processor_mode: 1
  - .args:
      - .offset:         0
        .size:           128
        .value_kind:     by_value
    .group_segment_fixed_size: 0
    .kernarg_segment_align: 8
    .kernarg_segment_size: 128
    .language:       OpenCL C
    .language_version:
      - 2
      - 0
    .max_flat_workgroup_size: 256
    .name:           _ZN7rocprim17ROCPRIM_400000_NS6detail17trampoline_kernelINS0_14default_configENS1_25partition_config_selectorILNS1_17partition_subalgoE5EfNS0_10empty_typeEbEEZZNS1_14partition_implILS5_5ELb0ES3_mN6thrust23THRUST_200600_302600_NS6detail15normal_iteratorINSA_10device_ptrIfEEEEPS6_NSA_18transform_iteratorINSB_9not_fun_tI7is_trueIfEEENSC_INSD_IbEEEENSA_11use_defaultESO_EENS0_5tupleIJNSA_16discard_iteratorISO_EES6_EEENSQ_IJSG_SG_EEES6_PlJS6_EEE10hipError_tPvRmT3_T4_T5_T6_T7_T9_mT8_P12ihipStream_tbDpT10_ENKUlT_T0_E_clISt17integral_constantIbLb1EES1E_IbLb0EEEEDaS1A_S1B_EUlS1A_E_NS1_11comp_targetILNS1_3genE2ELNS1_11target_archE906ELNS1_3gpuE6ELNS1_3repE0EEENS1_30default_config_static_selectorELNS0_4arch9wavefront6targetE0EEEvT1_
    .private_segment_fixed_size: 0
    .sgpr_count:     0
    .sgpr_spill_count: 0
    .symbol:         _ZN7rocprim17ROCPRIM_400000_NS6detail17trampoline_kernelINS0_14default_configENS1_25partition_config_selectorILNS1_17partition_subalgoE5EfNS0_10empty_typeEbEEZZNS1_14partition_implILS5_5ELb0ES3_mN6thrust23THRUST_200600_302600_NS6detail15normal_iteratorINSA_10device_ptrIfEEEEPS6_NSA_18transform_iteratorINSB_9not_fun_tI7is_trueIfEEENSC_INSD_IbEEEENSA_11use_defaultESO_EENS0_5tupleIJNSA_16discard_iteratorISO_EES6_EEENSQ_IJSG_SG_EEES6_PlJS6_EEE10hipError_tPvRmT3_T4_T5_T6_T7_T9_mT8_P12ihipStream_tbDpT10_ENKUlT_T0_E_clISt17integral_constantIbLb1EES1E_IbLb0EEEEDaS1A_S1B_EUlS1A_E_NS1_11comp_targetILNS1_3genE2ELNS1_11target_archE906ELNS1_3gpuE6ELNS1_3repE0EEENS1_30default_config_static_selectorELNS0_4arch9wavefront6targetE0EEEvT1_.kd
    .uniform_work_group_size: 1
    .uses_dynamic_stack: false
    .vgpr_count:     0
    .vgpr_spill_count: 0
    .wavefront_size: 32
    .workgroup_processor_mode: 1
  - .args:
      - .offset:         0
        .size:           128
        .value_kind:     by_value
    .group_segment_fixed_size: 0
    .kernarg_segment_align: 8
    .kernarg_segment_size: 128
    .language:       OpenCL C
    .language_version:
      - 2
      - 0
    .max_flat_workgroup_size: 384
    .name:           _ZN7rocprim17ROCPRIM_400000_NS6detail17trampoline_kernelINS0_14default_configENS1_25partition_config_selectorILNS1_17partition_subalgoE5EfNS0_10empty_typeEbEEZZNS1_14partition_implILS5_5ELb0ES3_mN6thrust23THRUST_200600_302600_NS6detail15normal_iteratorINSA_10device_ptrIfEEEEPS6_NSA_18transform_iteratorINSB_9not_fun_tI7is_trueIfEEENSC_INSD_IbEEEENSA_11use_defaultESO_EENS0_5tupleIJNSA_16discard_iteratorISO_EES6_EEENSQ_IJSG_SG_EEES6_PlJS6_EEE10hipError_tPvRmT3_T4_T5_T6_T7_T9_mT8_P12ihipStream_tbDpT10_ENKUlT_T0_E_clISt17integral_constantIbLb1EES1E_IbLb0EEEEDaS1A_S1B_EUlS1A_E_NS1_11comp_targetILNS1_3genE10ELNS1_11target_archE1200ELNS1_3gpuE4ELNS1_3repE0EEENS1_30default_config_static_selectorELNS0_4arch9wavefront6targetE0EEEvT1_
    .private_segment_fixed_size: 0
    .sgpr_count:     0
    .sgpr_spill_count: 0
    .symbol:         _ZN7rocprim17ROCPRIM_400000_NS6detail17trampoline_kernelINS0_14default_configENS1_25partition_config_selectorILNS1_17partition_subalgoE5EfNS0_10empty_typeEbEEZZNS1_14partition_implILS5_5ELb0ES3_mN6thrust23THRUST_200600_302600_NS6detail15normal_iteratorINSA_10device_ptrIfEEEEPS6_NSA_18transform_iteratorINSB_9not_fun_tI7is_trueIfEEENSC_INSD_IbEEEENSA_11use_defaultESO_EENS0_5tupleIJNSA_16discard_iteratorISO_EES6_EEENSQ_IJSG_SG_EEES6_PlJS6_EEE10hipError_tPvRmT3_T4_T5_T6_T7_T9_mT8_P12ihipStream_tbDpT10_ENKUlT_T0_E_clISt17integral_constantIbLb1EES1E_IbLb0EEEEDaS1A_S1B_EUlS1A_E_NS1_11comp_targetILNS1_3genE10ELNS1_11target_archE1200ELNS1_3gpuE4ELNS1_3repE0EEENS1_30default_config_static_selectorELNS0_4arch9wavefront6targetE0EEEvT1_.kd
    .uniform_work_group_size: 1
    .uses_dynamic_stack: false
    .vgpr_count:     0
    .vgpr_spill_count: 0
    .wavefront_size: 32
    .workgroup_processor_mode: 1
  - .args:
      - .offset:         0
        .size:           128
        .value_kind:     by_value
    .group_segment_fixed_size: 0
    .kernarg_segment_align: 8
    .kernarg_segment_size: 128
    .language:       OpenCL C
    .language_version:
      - 2
      - 0
    .max_flat_workgroup_size: 128
    .name:           _ZN7rocprim17ROCPRIM_400000_NS6detail17trampoline_kernelINS0_14default_configENS1_25partition_config_selectorILNS1_17partition_subalgoE5EfNS0_10empty_typeEbEEZZNS1_14partition_implILS5_5ELb0ES3_mN6thrust23THRUST_200600_302600_NS6detail15normal_iteratorINSA_10device_ptrIfEEEEPS6_NSA_18transform_iteratorINSB_9not_fun_tI7is_trueIfEEENSC_INSD_IbEEEENSA_11use_defaultESO_EENS0_5tupleIJNSA_16discard_iteratorISO_EES6_EEENSQ_IJSG_SG_EEES6_PlJS6_EEE10hipError_tPvRmT3_T4_T5_T6_T7_T9_mT8_P12ihipStream_tbDpT10_ENKUlT_T0_E_clISt17integral_constantIbLb1EES1E_IbLb0EEEEDaS1A_S1B_EUlS1A_E_NS1_11comp_targetILNS1_3genE9ELNS1_11target_archE1100ELNS1_3gpuE3ELNS1_3repE0EEENS1_30default_config_static_selectorELNS0_4arch9wavefront6targetE0EEEvT1_
    .private_segment_fixed_size: 0
    .sgpr_count:     0
    .sgpr_spill_count: 0
    .symbol:         _ZN7rocprim17ROCPRIM_400000_NS6detail17trampoline_kernelINS0_14default_configENS1_25partition_config_selectorILNS1_17partition_subalgoE5EfNS0_10empty_typeEbEEZZNS1_14partition_implILS5_5ELb0ES3_mN6thrust23THRUST_200600_302600_NS6detail15normal_iteratorINSA_10device_ptrIfEEEEPS6_NSA_18transform_iteratorINSB_9not_fun_tI7is_trueIfEEENSC_INSD_IbEEEENSA_11use_defaultESO_EENS0_5tupleIJNSA_16discard_iteratorISO_EES6_EEENSQ_IJSG_SG_EEES6_PlJS6_EEE10hipError_tPvRmT3_T4_T5_T6_T7_T9_mT8_P12ihipStream_tbDpT10_ENKUlT_T0_E_clISt17integral_constantIbLb1EES1E_IbLb0EEEEDaS1A_S1B_EUlS1A_E_NS1_11comp_targetILNS1_3genE9ELNS1_11target_archE1100ELNS1_3gpuE3ELNS1_3repE0EEENS1_30default_config_static_selectorELNS0_4arch9wavefront6targetE0EEEvT1_.kd
    .uniform_work_group_size: 1
    .uses_dynamic_stack: false
    .vgpr_count:     0
    .vgpr_spill_count: 0
    .wavefront_size: 32
    .workgroup_processor_mode: 1
  - .args:
      - .offset:         0
        .size:           128
        .value_kind:     by_value
    .group_segment_fixed_size: 0
    .kernarg_segment_align: 8
    .kernarg_segment_size: 128
    .language:       OpenCL C
    .language_version:
      - 2
      - 0
    .max_flat_workgroup_size: 512
    .name:           _ZN7rocprim17ROCPRIM_400000_NS6detail17trampoline_kernelINS0_14default_configENS1_25partition_config_selectorILNS1_17partition_subalgoE5EfNS0_10empty_typeEbEEZZNS1_14partition_implILS5_5ELb0ES3_mN6thrust23THRUST_200600_302600_NS6detail15normal_iteratorINSA_10device_ptrIfEEEEPS6_NSA_18transform_iteratorINSB_9not_fun_tI7is_trueIfEEENSC_INSD_IbEEEENSA_11use_defaultESO_EENS0_5tupleIJNSA_16discard_iteratorISO_EES6_EEENSQ_IJSG_SG_EEES6_PlJS6_EEE10hipError_tPvRmT3_T4_T5_T6_T7_T9_mT8_P12ihipStream_tbDpT10_ENKUlT_T0_E_clISt17integral_constantIbLb1EES1E_IbLb0EEEEDaS1A_S1B_EUlS1A_E_NS1_11comp_targetILNS1_3genE8ELNS1_11target_archE1030ELNS1_3gpuE2ELNS1_3repE0EEENS1_30default_config_static_selectorELNS0_4arch9wavefront6targetE0EEEvT1_
    .private_segment_fixed_size: 0
    .sgpr_count:     0
    .sgpr_spill_count: 0
    .symbol:         _ZN7rocprim17ROCPRIM_400000_NS6detail17trampoline_kernelINS0_14default_configENS1_25partition_config_selectorILNS1_17partition_subalgoE5EfNS0_10empty_typeEbEEZZNS1_14partition_implILS5_5ELb0ES3_mN6thrust23THRUST_200600_302600_NS6detail15normal_iteratorINSA_10device_ptrIfEEEEPS6_NSA_18transform_iteratorINSB_9not_fun_tI7is_trueIfEEENSC_INSD_IbEEEENSA_11use_defaultESO_EENS0_5tupleIJNSA_16discard_iteratorISO_EES6_EEENSQ_IJSG_SG_EEES6_PlJS6_EEE10hipError_tPvRmT3_T4_T5_T6_T7_T9_mT8_P12ihipStream_tbDpT10_ENKUlT_T0_E_clISt17integral_constantIbLb1EES1E_IbLb0EEEEDaS1A_S1B_EUlS1A_E_NS1_11comp_targetILNS1_3genE8ELNS1_11target_archE1030ELNS1_3gpuE2ELNS1_3repE0EEENS1_30default_config_static_selectorELNS0_4arch9wavefront6targetE0EEEvT1_.kd
    .uniform_work_group_size: 1
    .uses_dynamic_stack: false
    .vgpr_count:     0
    .vgpr_spill_count: 0
    .wavefront_size: 32
    .workgroup_processor_mode: 1
  - .args:
      - .offset:         0
        .size:           144
        .value_kind:     by_value
    .group_segment_fixed_size: 0
    .kernarg_segment_align: 8
    .kernarg_segment_size: 144
    .language:       OpenCL C
    .language_version:
      - 2
      - 0
    .max_flat_workgroup_size: 512
    .name:           _ZN7rocprim17ROCPRIM_400000_NS6detail17trampoline_kernelINS0_14default_configENS1_25partition_config_selectorILNS1_17partition_subalgoE5EfNS0_10empty_typeEbEEZZNS1_14partition_implILS5_5ELb0ES3_mN6thrust23THRUST_200600_302600_NS6detail15normal_iteratorINSA_10device_ptrIfEEEEPS6_NSA_18transform_iteratorINSB_9not_fun_tI7is_trueIfEEENSC_INSD_IbEEEENSA_11use_defaultESO_EENS0_5tupleIJNSA_16discard_iteratorISO_EES6_EEENSQ_IJSG_SG_EEES6_PlJS6_EEE10hipError_tPvRmT3_T4_T5_T6_T7_T9_mT8_P12ihipStream_tbDpT10_ENKUlT_T0_E_clISt17integral_constantIbLb0EES1E_IbLb1EEEEDaS1A_S1B_EUlS1A_E_NS1_11comp_targetILNS1_3genE0ELNS1_11target_archE4294967295ELNS1_3gpuE0ELNS1_3repE0EEENS1_30default_config_static_selectorELNS0_4arch9wavefront6targetE0EEEvT1_
    .private_segment_fixed_size: 0
    .sgpr_count:     0
    .sgpr_spill_count: 0
    .symbol:         _ZN7rocprim17ROCPRIM_400000_NS6detail17trampoline_kernelINS0_14default_configENS1_25partition_config_selectorILNS1_17partition_subalgoE5EfNS0_10empty_typeEbEEZZNS1_14partition_implILS5_5ELb0ES3_mN6thrust23THRUST_200600_302600_NS6detail15normal_iteratorINSA_10device_ptrIfEEEEPS6_NSA_18transform_iteratorINSB_9not_fun_tI7is_trueIfEEENSC_INSD_IbEEEENSA_11use_defaultESO_EENS0_5tupleIJNSA_16discard_iteratorISO_EES6_EEENSQ_IJSG_SG_EEES6_PlJS6_EEE10hipError_tPvRmT3_T4_T5_T6_T7_T9_mT8_P12ihipStream_tbDpT10_ENKUlT_T0_E_clISt17integral_constantIbLb0EES1E_IbLb1EEEEDaS1A_S1B_EUlS1A_E_NS1_11comp_targetILNS1_3genE0ELNS1_11target_archE4294967295ELNS1_3gpuE0ELNS1_3repE0EEENS1_30default_config_static_selectorELNS0_4arch9wavefront6targetE0EEEvT1_.kd
    .uniform_work_group_size: 1
    .uses_dynamic_stack: false
    .vgpr_count:     0
    .vgpr_spill_count: 0
    .wavefront_size: 32
    .workgroup_processor_mode: 1
  - .args:
      - .offset:         0
        .size:           144
        .value_kind:     by_value
    .group_segment_fixed_size: 0
    .kernarg_segment_align: 8
    .kernarg_segment_size: 144
    .language:       OpenCL C
    .language_version:
      - 2
      - 0
    .max_flat_workgroup_size: 512
    .name:           _ZN7rocprim17ROCPRIM_400000_NS6detail17trampoline_kernelINS0_14default_configENS1_25partition_config_selectorILNS1_17partition_subalgoE5EfNS0_10empty_typeEbEEZZNS1_14partition_implILS5_5ELb0ES3_mN6thrust23THRUST_200600_302600_NS6detail15normal_iteratorINSA_10device_ptrIfEEEEPS6_NSA_18transform_iteratorINSB_9not_fun_tI7is_trueIfEEENSC_INSD_IbEEEENSA_11use_defaultESO_EENS0_5tupleIJNSA_16discard_iteratorISO_EES6_EEENSQ_IJSG_SG_EEES6_PlJS6_EEE10hipError_tPvRmT3_T4_T5_T6_T7_T9_mT8_P12ihipStream_tbDpT10_ENKUlT_T0_E_clISt17integral_constantIbLb0EES1E_IbLb1EEEEDaS1A_S1B_EUlS1A_E_NS1_11comp_targetILNS1_3genE5ELNS1_11target_archE942ELNS1_3gpuE9ELNS1_3repE0EEENS1_30default_config_static_selectorELNS0_4arch9wavefront6targetE0EEEvT1_
    .private_segment_fixed_size: 0
    .sgpr_count:     0
    .sgpr_spill_count: 0
    .symbol:         _ZN7rocprim17ROCPRIM_400000_NS6detail17trampoline_kernelINS0_14default_configENS1_25partition_config_selectorILNS1_17partition_subalgoE5EfNS0_10empty_typeEbEEZZNS1_14partition_implILS5_5ELb0ES3_mN6thrust23THRUST_200600_302600_NS6detail15normal_iteratorINSA_10device_ptrIfEEEEPS6_NSA_18transform_iteratorINSB_9not_fun_tI7is_trueIfEEENSC_INSD_IbEEEENSA_11use_defaultESO_EENS0_5tupleIJNSA_16discard_iteratorISO_EES6_EEENSQ_IJSG_SG_EEES6_PlJS6_EEE10hipError_tPvRmT3_T4_T5_T6_T7_T9_mT8_P12ihipStream_tbDpT10_ENKUlT_T0_E_clISt17integral_constantIbLb0EES1E_IbLb1EEEEDaS1A_S1B_EUlS1A_E_NS1_11comp_targetILNS1_3genE5ELNS1_11target_archE942ELNS1_3gpuE9ELNS1_3repE0EEENS1_30default_config_static_selectorELNS0_4arch9wavefront6targetE0EEEvT1_.kd
    .uniform_work_group_size: 1
    .uses_dynamic_stack: false
    .vgpr_count:     0
    .vgpr_spill_count: 0
    .wavefront_size: 32
    .workgroup_processor_mode: 1
  - .args:
      - .offset:         0
        .size:           144
        .value_kind:     by_value
    .group_segment_fixed_size: 0
    .kernarg_segment_align: 8
    .kernarg_segment_size: 144
    .language:       OpenCL C
    .language_version:
      - 2
      - 0
    .max_flat_workgroup_size: 256
    .name:           _ZN7rocprim17ROCPRIM_400000_NS6detail17trampoline_kernelINS0_14default_configENS1_25partition_config_selectorILNS1_17partition_subalgoE5EfNS0_10empty_typeEbEEZZNS1_14partition_implILS5_5ELb0ES3_mN6thrust23THRUST_200600_302600_NS6detail15normal_iteratorINSA_10device_ptrIfEEEEPS6_NSA_18transform_iteratorINSB_9not_fun_tI7is_trueIfEEENSC_INSD_IbEEEENSA_11use_defaultESO_EENS0_5tupleIJNSA_16discard_iteratorISO_EES6_EEENSQ_IJSG_SG_EEES6_PlJS6_EEE10hipError_tPvRmT3_T4_T5_T6_T7_T9_mT8_P12ihipStream_tbDpT10_ENKUlT_T0_E_clISt17integral_constantIbLb0EES1E_IbLb1EEEEDaS1A_S1B_EUlS1A_E_NS1_11comp_targetILNS1_3genE4ELNS1_11target_archE910ELNS1_3gpuE8ELNS1_3repE0EEENS1_30default_config_static_selectorELNS0_4arch9wavefront6targetE0EEEvT1_
    .private_segment_fixed_size: 0
    .sgpr_count:     0
    .sgpr_spill_count: 0
    .symbol:         _ZN7rocprim17ROCPRIM_400000_NS6detail17trampoline_kernelINS0_14default_configENS1_25partition_config_selectorILNS1_17partition_subalgoE5EfNS0_10empty_typeEbEEZZNS1_14partition_implILS5_5ELb0ES3_mN6thrust23THRUST_200600_302600_NS6detail15normal_iteratorINSA_10device_ptrIfEEEEPS6_NSA_18transform_iteratorINSB_9not_fun_tI7is_trueIfEEENSC_INSD_IbEEEENSA_11use_defaultESO_EENS0_5tupleIJNSA_16discard_iteratorISO_EES6_EEENSQ_IJSG_SG_EEES6_PlJS6_EEE10hipError_tPvRmT3_T4_T5_T6_T7_T9_mT8_P12ihipStream_tbDpT10_ENKUlT_T0_E_clISt17integral_constantIbLb0EES1E_IbLb1EEEEDaS1A_S1B_EUlS1A_E_NS1_11comp_targetILNS1_3genE4ELNS1_11target_archE910ELNS1_3gpuE8ELNS1_3repE0EEENS1_30default_config_static_selectorELNS0_4arch9wavefront6targetE0EEEvT1_.kd
    .uniform_work_group_size: 1
    .uses_dynamic_stack: false
    .vgpr_count:     0
    .vgpr_spill_count: 0
    .wavefront_size: 32
    .workgroup_processor_mode: 1
  - .args:
      - .offset:         0
        .size:           144
        .value_kind:     by_value
    .group_segment_fixed_size: 0
    .kernarg_segment_align: 8
    .kernarg_segment_size: 144
    .language:       OpenCL C
    .language_version:
      - 2
      - 0
    .max_flat_workgroup_size: 512
    .name:           _ZN7rocprim17ROCPRIM_400000_NS6detail17trampoline_kernelINS0_14default_configENS1_25partition_config_selectorILNS1_17partition_subalgoE5EfNS0_10empty_typeEbEEZZNS1_14partition_implILS5_5ELb0ES3_mN6thrust23THRUST_200600_302600_NS6detail15normal_iteratorINSA_10device_ptrIfEEEEPS6_NSA_18transform_iteratorINSB_9not_fun_tI7is_trueIfEEENSC_INSD_IbEEEENSA_11use_defaultESO_EENS0_5tupleIJNSA_16discard_iteratorISO_EES6_EEENSQ_IJSG_SG_EEES6_PlJS6_EEE10hipError_tPvRmT3_T4_T5_T6_T7_T9_mT8_P12ihipStream_tbDpT10_ENKUlT_T0_E_clISt17integral_constantIbLb0EES1E_IbLb1EEEEDaS1A_S1B_EUlS1A_E_NS1_11comp_targetILNS1_3genE3ELNS1_11target_archE908ELNS1_3gpuE7ELNS1_3repE0EEENS1_30default_config_static_selectorELNS0_4arch9wavefront6targetE0EEEvT1_
    .private_segment_fixed_size: 0
    .sgpr_count:     0
    .sgpr_spill_count: 0
    .symbol:         _ZN7rocprim17ROCPRIM_400000_NS6detail17trampoline_kernelINS0_14default_configENS1_25partition_config_selectorILNS1_17partition_subalgoE5EfNS0_10empty_typeEbEEZZNS1_14partition_implILS5_5ELb0ES3_mN6thrust23THRUST_200600_302600_NS6detail15normal_iteratorINSA_10device_ptrIfEEEEPS6_NSA_18transform_iteratorINSB_9not_fun_tI7is_trueIfEEENSC_INSD_IbEEEENSA_11use_defaultESO_EENS0_5tupleIJNSA_16discard_iteratorISO_EES6_EEENSQ_IJSG_SG_EEES6_PlJS6_EEE10hipError_tPvRmT3_T4_T5_T6_T7_T9_mT8_P12ihipStream_tbDpT10_ENKUlT_T0_E_clISt17integral_constantIbLb0EES1E_IbLb1EEEEDaS1A_S1B_EUlS1A_E_NS1_11comp_targetILNS1_3genE3ELNS1_11target_archE908ELNS1_3gpuE7ELNS1_3repE0EEENS1_30default_config_static_selectorELNS0_4arch9wavefront6targetE0EEEvT1_.kd
    .uniform_work_group_size: 1
    .uses_dynamic_stack: false
    .vgpr_count:     0
    .vgpr_spill_count: 0
    .wavefront_size: 32
    .workgroup_processor_mode: 1
  - .args:
      - .offset:         0
        .size:           144
        .value_kind:     by_value
    .group_segment_fixed_size: 0
    .kernarg_segment_align: 8
    .kernarg_segment_size: 144
    .language:       OpenCL C
    .language_version:
      - 2
      - 0
    .max_flat_workgroup_size: 256
    .name:           _ZN7rocprim17ROCPRIM_400000_NS6detail17trampoline_kernelINS0_14default_configENS1_25partition_config_selectorILNS1_17partition_subalgoE5EfNS0_10empty_typeEbEEZZNS1_14partition_implILS5_5ELb0ES3_mN6thrust23THRUST_200600_302600_NS6detail15normal_iteratorINSA_10device_ptrIfEEEEPS6_NSA_18transform_iteratorINSB_9not_fun_tI7is_trueIfEEENSC_INSD_IbEEEENSA_11use_defaultESO_EENS0_5tupleIJNSA_16discard_iteratorISO_EES6_EEENSQ_IJSG_SG_EEES6_PlJS6_EEE10hipError_tPvRmT3_T4_T5_T6_T7_T9_mT8_P12ihipStream_tbDpT10_ENKUlT_T0_E_clISt17integral_constantIbLb0EES1E_IbLb1EEEEDaS1A_S1B_EUlS1A_E_NS1_11comp_targetILNS1_3genE2ELNS1_11target_archE906ELNS1_3gpuE6ELNS1_3repE0EEENS1_30default_config_static_selectorELNS0_4arch9wavefront6targetE0EEEvT1_
    .private_segment_fixed_size: 0
    .sgpr_count:     0
    .sgpr_spill_count: 0
    .symbol:         _ZN7rocprim17ROCPRIM_400000_NS6detail17trampoline_kernelINS0_14default_configENS1_25partition_config_selectorILNS1_17partition_subalgoE5EfNS0_10empty_typeEbEEZZNS1_14partition_implILS5_5ELb0ES3_mN6thrust23THRUST_200600_302600_NS6detail15normal_iteratorINSA_10device_ptrIfEEEEPS6_NSA_18transform_iteratorINSB_9not_fun_tI7is_trueIfEEENSC_INSD_IbEEEENSA_11use_defaultESO_EENS0_5tupleIJNSA_16discard_iteratorISO_EES6_EEENSQ_IJSG_SG_EEES6_PlJS6_EEE10hipError_tPvRmT3_T4_T5_T6_T7_T9_mT8_P12ihipStream_tbDpT10_ENKUlT_T0_E_clISt17integral_constantIbLb0EES1E_IbLb1EEEEDaS1A_S1B_EUlS1A_E_NS1_11comp_targetILNS1_3genE2ELNS1_11target_archE906ELNS1_3gpuE6ELNS1_3repE0EEENS1_30default_config_static_selectorELNS0_4arch9wavefront6targetE0EEEvT1_.kd
    .uniform_work_group_size: 1
    .uses_dynamic_stack: false
    .vgpr_count:     0
    .vgpr_spill_count: 0
    .wavefront_size: 32
    .workgroup_processor_mode: 1
  - .args:
      - .offset:         0
        .size:           144
        .value_kind:     by_value
    .group_segment_fixed_size: 10768
    .kernarg_segment_align: 8
    .kernarg_segment_size: 144
    .language:       OpenCL C
    .language_version:
      - 2
      - 0
    .max_flat_workgroup_size: 384
    .name:           _ZN7rocprim17ROCPRIM_400000_NS6detail17trampoline_kernelINS0_14default_configENS1_25partition_config_selectorILNS1_17partition_subalgoE5EfNS0_10empty_typeEbEEZZNS1_14partition_implILS5_5ELb0ES3_mN6thrust23THRUST_200600_302600_NS6detail15normal_iteratorINSA_10device_ptrIfEEEEPS6_NSA_18transform_iteratorINSB_9not_fun_tI7is_trueIfEEENSC_INSD_IbEEEENSA_11use_defaultESO_EENS0_5tupleIJNSA_16discard_iteratorISO_EES6_EEENSQ_IJSG_SG_EEES6_PlJS6_EEE10hipError_tPvRmT3_T4_T5_T6_T7_T9_mT8_P12ihipStream_tbDpT10_ENKUlT_T0_E_clISt17integral_constantIbLb0EES1E_IbLb1EEEEDaS1A_S1B_EUlS1A_E_NS1_11comp_targetILNS1_3genE10ELNS1_11target_archE1200ELNS1_3gpuE4ELNS1_3repE0EEENS1_30default_config_static_selectorELNS0_4arch9wavefront6targetE0EEEvT1_
    .private_segment_fixed_size: 0
    .sgpr_count:     24
    .sgpr_spill_count: 0
    .symbol:         _ZN7rocprim17ROCPRIM_400000_NS6detail17trampoline_kernelINS0_14default_configENS1_25partition_config_selectorILNS1_17partition_subalgoE5EfNS0_10empty_typeEbEEZZNS1_14partition_implILS5_5ELb0ES3_mN6thrust23THRUST_200600_302600_NS6detail15normal_iteratorINSA_10device_ptrIfEEEEPS6_NSA_18transform_iteratorINSB_9not_fun_tI7is_trueIfEEENSC_INSD_IbEEEENSA_11use_defaultESO_EENS0_5tupleIJNSA_16discard_iteratorISO_EES6_EEENSQ_IJSG_SG_EEES6_PlJS6_EEE10hipError_tPvRmT3_T4_T5_T6_T7_T9_mT8_P12ihipStream_tbDpT10_ENKUlT_T0_E_clISt17integral_constantIbLb0EES1E_IbLb1EEEEDaS1A_S1B_EUlS1A_E_NS1_11comp_targetILNS1_3genE10ELNS1_11target_archE1200ELNS1_3gpuE4ELNS1_3repE0EEENS1_30default_config_static_selectorELNS0_4arch9wavefront6targetE0EEEvT1_.kd
    .uniform_work_group_size: 1
    .uses_dynamic_stack: false
    .vgpr_count:     48
    .vgpr_spill_count: 0
    .wavefront_size: 32
    .workgroup_processor_mode: 1
  - .args:
      - .offset:         0
        .size:           144
        .value_kind:     by_value
    .group_segment_fixed_size: 0
    .kernarg_segment_align: 8
    .kernarg_segment_size: 144
    .language:       OpenCL C
    .language_version:
      - 2
      - 0
    .max_flat_workgroup_size: 128
    .name:           _ZN7rocprim17ROCPRIM_400000_NS6detail17trampoline_kernelINS0_14default_configENS1_25partition_config_selectorILNS1_17partition_subalgoE5EfNS0_10empty_typeEbEEZZNS1_14partition_implILS5_5ELb0ES3_mN6thrust23THRUST_200600_302600_NS6detail15normal_iteratorINSA_10device_ptrIfEEEEPS6_NSA_18transform_iteratorINSB_9not_fun_tI7is_trueIfEEENSC_INSD_IbEEEENSA_11use_defaultESO_EENS0_5tupleIJNSA_16discard_iteratorISO_EES6_EEENSQ_IJSG_SG_EEES6_PlJS6_EEE10hipError_tPvRmT3_T4_T5_T6_T7_T9_mT8_P12ihipStream_tbDpT10_ENKUlT_T0_E_clISt17integral_constantIbLb0EES1E_IbLb1EEEEDaS1A_S1B_EUlS1A_E_NS1_11comp_targetILNS1_3genE9ELNS1_11target_archE1100ELNS1_3gpuE3ELNS1_3repE0EEENS1_30default_config_static_selectorELNS0_4arch9wavefront6targetE0EEEvT1_
    .private_segment_fixed_size: 0
    .sgpr_count:     0
    .sgpr_spill_count: 0
    .symbol:         _ZN7rocprim17ROCPRIM_400000_NS6detail17trampoline_kernelINS0_14default_configENS1_25partition_config_selectorILNS1_17partition_subalgoE5EfNS0_10empty_typeEbEEZZNS1_14partition_implILS5_5ELb0ES3_mN6thrust23THRUST_200600_302600_NS6detail15normal_iteratorINSA_10device_ptrIfEEEEPS6_NSA_18transform_iteratorINSB_9not_fun_tI7is_trueIfEEENSC_INSD_IbEEEENSA_11use_defaultESO_EENS0_5tupleIJNSA_16discard_iteratorISO_EES6_EEENSQ_IJSG_SG_EEES6_PlJS6_EEE10hipError_tPvRmT3_T4_T5_T6_T7_T9_mT8_P12ihipStream_tbDpT10_ENKUlT_T0_E_clISt17integral_constantIbLb0EES1E_IbLb1EEEEDaS1A_S1B_EUlS1A_E_NS1_11comp_targetILNS1_3genE9ELNS1_11target_archE1100ELNS1_3gpuE3ELNS1_3repE0EEENS1_30default_config_static_selectorELNS0_4arch9wavefront6targetE0EEEvT1_.kd
    .uniform_work_group_size: 1
    .uses_dynamic_stack: false
    .vgpr_count:     0
    .vgpr_spill_count: 0
    .wavefront_size: 32
    .workgroup_processor_mode: 1
  - .args:
      - .offset:         0
        .size:           144
        .value_kind:     by_value
    .group_segment_fixed_size: 0
    .kernarg_segment_align: 8
    .kernarg_segment_size: 144
    .language:       OpenCL C
    .language_version:
      - 2
      - 0
    .max_flat_workgroup_size: 512
    .name:           _ZN7rocprim17ROCPRIM_400000_NS6detail17trampoline_kernelINS0_14default_configENS1_25partition_config_selectorILNS1_17partition_subalgoE5EfNS0_10empty_typeEbEEZZNS1_14partition_implILS5_5ELb0ES3_mN6thrust23THRUST_200600_302600_NS6detail15normal_iteratorINSA_10device_ptrIfEEEEPS6_NSA_18transform_iteratorINSB_9not_fun_tI7is_trueIfEEENSC_INSD_IbEEEENSA_11use_defaultESO_EENS0_5tupleIJNSA_16discard_iteratorISO_EES6_EEENSQ_IJSG_SG_EEES6_PlJS6_EEE10hipError_tPvRmT3_T4_T5_T6_T7_T9_mT8_P12ihipStream_tbDpT10_ENKUlT_T0_E_clISt17integral_constantIbLb0EES1E_IbLb1EEEEDaS1A_S1B_EUlS1A_E_NS1_11comp_targetILNS1_3genE8ELNS1_11target_archE1030ELNS1_3gpuE2ELNS1_3repE0EEENS1_30default_config_static_selectorELNS0_4arch9wavefront6targetE0EEEvT1_
    .private_segment_fixed_size: 0
    .sgpr_count:     0
    .sgpr_spill_count: 0
    .symbol:         _ZN7rocprim17ROCPRIM_400000_NS6detail17trampoline_kernelINS0_14default_configENS1_25partition_config_selectorILNS1_17partition_subalgoE5EfNS0_10empty_typeEbEEZZNS1_14partition_implILS5_5ELb0ES3_mN6thrust23THRUST_200600_302600_NS6detail15normal_iteratorINSA_10device_ptrIfEEEEPS6_NSA_18transform_iteratorINSB_9not_fun_tI7is_trueIfEEENSC_INSD_IbEEEENSA_11use_defaultESO_EENS0_5tupleIJNSA_16discard_iteratorISO_EES6_EEENSQ_IJSG_SG_EEES6_PlJS6_EEE10hipError_tPvRmT3_T4_T5_T6_T7_T9_mT8_P12ihipStream_tbDpT10_ENKUlT_T0_E_clISt17integral_constantIbLb0EES1E_IbLb1EEEEDaS1A_S1B_EUlS1A_E_NS1_11comp_targetILNS1_3genE8ELNS1_11target_archE1030ELNS1_3gpuE2ELNS1_3repE0EEENS1_30default_config_static_selectorELNS0_4arch9wavefront6targetE0EEEvT1_.kd
    .uniform_work_group_size: 1
    .uses_dynamic_stack: false
    .vgpr_count:     0
    .vgpr_spill_count: 0
    .wavefront_size: 32
    .workgroup_processor_mode: 1
  - .args:
      - .offset:         0
        .size:           128
        .value_kind:     by_value
    .group_segment_fixed_size: 0
    .kernarg_segment_align: 8
    .kernarg_segment_size: 128
    .language:       OpenCL C
    .language_version:
      - 2
      - 0
    .max_flat_workgroup_size: 128
    .name:           _ZN7rocprim17ROCPRIM_400000_NS6detail17trampoline_kernelINS0_14default_configENS1_25partition_config_selectorILNS1_17partition_subalgoE5EyNS0_10empty_typeEbEEZZNS1_14partition_implILS5_5ELb0ES3_mN6thrust23THRUST_200600_302600_NS6detail15normal_iteratorINSA_10device_ptrIyEEEEPS6_NSA_18transform_iteratorINSB_9not_fun_tI7is_trueIyEEENSC_INSD_IbEEEENSA_11use_defaultESO_EENS0_5tupleIJNSA_16discard_iteratorISO_EES6_EEENSQ_IJSG_SG_EEES6_PlJS6_EEE10hipError_tPvRmT3_T4_T5_T6_T7_T9_mT8_P12ihipStream_tbDpT10_ENKUlT_T0_E_clISt17integral_constantIbLb0EES1F_EEDaS1A_S1B_EUlS1A_E_NS1_11comp_targetILNS1_3genE0ELNS1_11target_archE4294967295ELNS1_3gpuE0ELNS1_3repE0EEENS1_30default_config_static_selectorELNS0_4arch9wavefront6targetE0EEEvT1_
    .private_segment_fixed_size: 0
    .sgpr_count:     0
    .sgpr_spill_count: 0
    .symbol:         _ZN7rocprim17ROCPRIM_400000_NS6detail17trampoline_kernelINS0_14default_configENS1_25partition_config_selectorILNS1_17partition_subalgoE5EyNS0_10empty_typeEbEEZZNS1_14partition_implILS5_5ELb0ES3_mN6thrust23THRUST_200600_302600_NS6detail15normal_iteratorINSA_10device_ptrIyEEEEPS6_NSA_18transform_iteratorINSB_9not_fun_tI7is_trueIyEEENSC_INSD_IbEEEENSA_11use_defaultESO_EENS0_5tupleIJNSA_16discard_iteratorISO_EES6_EEENSQ_IJSG_SG_EEES6_PlJS6_EEE10hipError_tPvRmT3_T4_T5_T6_T7_T9_mT8_P12ihipStream_tbDpT10_ENKUlT_T0_E_clISt17integral_constantIbLb0EES1F_EEDaS1A_S1B_EUlS1A_E_NS1_11comp_targetILNS1_3genE0ELNS1_11target_archE4294967295ELNS1_3gpuE0ELNS1_3repE0EEENS1_30default_config_static_selectorELNS0_4arch9wavefront6targetE0EEEvT1_.kd
    .uniform_work_group_size: 1
    .uses_dynamic_stack: false
    .vgpr_count:     0
    .vgpr_spill_count: 0
    .wavefront_size: 32
    .workgroup_processor_mode: 1
  - .args:
      - .offset:         0
        .size:           128
        .value_kind:     by_value
    .group_segment_fixed_size: 0
    .kernarg_segment_align: 8
    .kernarg_segment_size: 128
    .language:       OpenCL C
    .language_version:
      - 2
      - 0
    .max_flat_workgroup_size: 512
    .name:           _ZN7rocprim17ROCPRIM_400000_NS6detail17trampoline_kernelINS0_14default_configENS1_25partition_config_selectorILNS1_17partition_subalgoE5EyNS0_10empty_typeEbEEZZNS1_14partition_implILS5_5ELb0ES3_mN6thrust23THRUST_200600_302600_NS6detail15normal_iteratorINSA_10device_ptrIyEEEEPS6_NSA_18transform_iteratorINSB_9not_fun_tI7is_trueIyEEENSC_INSD_IbEEEENSA_11use_defaultESO_EENS0_5tupleIJNSA_16discard_iteratorISO_EES6_EEENSQ_IJSG_SG_EEES6_PlJS6_EEE10hipError_tPvRmT3_T4_T5_T6_T7_T9_mT8_P12ihipStream_tbDpT10_ENKUlT_T0_E_clISt17integral_constantIbLb0EES1F_EEDaS1A_S1B_EUlS1A_E_NS1_11comp_targetILNS1_3genE5ELNS1_11target_archE942ELNS1_3gpuE9ELNS1_3repE0EEENS1_30default_config_static_selectorELNS0_4arch9wavefront6targetE0EEEvT1_
    .private_segment_fixed_size: 0
    .sgpr_count:     0
    .sgpr_spill_count: 0
    .symbol:         _ZN7rocprim17ROCPRIM_400000_NS6detail17trampoline_kernelINS0_14default_configENS1_25partition_config_selectorILNS1_17partition_subalgoE5EyNS0_10empty_typeEbEEZZNS1_14partition_implILS5_5ELb0ES3_mN6thrust23THRUST_200600_302600_NS6detail15normal_iteratorINSA_10device_ptrIyEEEEPS6_NSA_18transform_iteratorINSB_9not_fun_tI7is_trueIyEEENSC_INSD_IbEEEENSA_11use_defaultESO_EENS0_5tupleIJNSA_16discard_iteratorISO_EES6_EEENSQ_IJSG_SG_EEES6_PlJS6_EEE10hipError_tPvRmT3_T4_T5_T6_T7_T9_mT8_P12ihipStream_tbDpT10_ENKUlT_T0_E_clISt17integral_constantIbLb0EES1F_EEDaS1A_S1B_EUlS1A_E_NS1_11comp_targetILNS1_3genE5ELNS1_11target_archE942ELNS1_3gpuE9ELNS1_3repE0EEENS1_30default_config_static_selectorELNS0_4arch9wavefront6targetE0EEEvT1_.kd
    .uniform_work_group_size: 1
    .uses_dynamic_stack: false
    .vgpr_count:     0
    .vgpr_spill_count: 0
    .wavefront_size: 32
    .workgroup_processor_mode: 1
  - .args:
      - .offset:         0
        .size:           128
        .value_kind:     by_value
    .group_segment_fixed_size: 0
    .kernarg_segment_align: 8
    .kernarg_segment_size: 128
    .language:       OpenCL C
    .language_version:
      - 2
      - 0
    .max_flat_workgroup_size: 192
    .name:           _ZN7rocprim17ROCPRIM_400000_NS6detail17trampoline_kernelINS0_14default_configENS1_25partition_config_selectorILNS1_17partition_subalgoE5EyNS0_10empty_typeEbEEZZNS1_14partition_implILS5_5ELb0ES3_mN6thrust23THRUST_200600_302600_NS6detail15normal_iteratorINSA_10device_ptrIyEEEEPS6_NSA_18transform_iteratorINSB_9not_fun_tI7is_trueIyEEENSC_INSD_IbEEEENSA_11use_defaultESO_EENS0_5tupleIJNSA_16discard_iteratorISO_EES6_EEENSQ_IJSG_SG_EEES6_PlJS6_EEE10hipError_tPvRmT3_T4_T5_T6_T7_T9_mT8_P12ihipStream_tbDpT10_ENKUlT_T0_E_clISt17integral_constantIbLb0EES1F_EEDaS1A_S1B_EUlS1A_E_NS1_11comp_targetILNS1_3genE4ELNS1_11target_archE910ELNS1_3gpuE8ELNS1_3repE0EEENS1_30default_config_static_selectorELNS0_4arch9wavefront6targetE0EEEvT1_
    .private_segment_fixed_size: 0
    .sgpr_count:     0
    .sgpr_spill_count: 0
    .symbol:         _ZN7rocprim17ROCPRIM_400000_NS6detail17trampoline_kernelINS0_14default_configENS1_25partition_config_selectorILNS1_17partition_subalgoE5EyNS0_10empty_typeEbEEZZNS1_14partition_implILS5_5ELb0ES3_mN6thrust23THRUST_200600_302600_NS6detail15normal_iteratorINSA_10device_ptrIyEEEEPS6_NSA_18transform_iteratorINSB_9not_fun_tI7is_trueIyEEENSC_INSD_IbEEEENSA_11use_defaultESO_EENS0_5tupleIJNSA_16discard_iteratorISO_EES6_EEENSQ_IJSG_SG_EEES6_PlJS6_EEE10hipError_tPvRmT3_T4_T5_T6_T7_T9_mT8_P12ihipStream_tbDpT10_ENKUlT_T0_E_clISt17integral_constantIbLb0EES1F_EEDaS1A_S1B_EUlS1A_E_NS1_11comp_targetILNS1_3genE4ELNS1_11target_archE910ELNS1_3gpuE8ELNS1_3repE0EEENS1_30default_config_static_selectorELNS0_4arch9wavefront6targetE0EEEvT1_.kd
    .uniform_work_group_size: 1
    .uses_dynamic_stack: false
    .vgpr_count:     0
    .vgpr_spill_count: 0
    .wavefront_size: 32
    .workgroup_processor_mode: 1
  - .args:
      - .offset:         0
        .size:           128
        .value_kind:     by_value
    .group_segment_fixed_size: 0
    .kernarg_segment_align: 8
    .kernarg_segment_size: 128
    .language:       OpenCL C
    .language_version:
      - 2
      - 0
    .max_flat_workgroup_size: 128
    .name:           _ZN7rocprim17ROCPRIM_400000_NS6detail17trampoline_kernelINS0_14default_configENS1_25partition_config_selectorILNS1_17partition_subalgoE5EyNS0_10empty_typeEbEEZZNS1_14partition_implILS5_5ELb0ES3_mN6thrust23THRUST_200600_302600_NS6detail15normal_iteratorINSA_10device_ptrIyEEEEPS6_NSA_18transform_iteratorINSB_9not_fun_tI7is_trueIyEEENSC_INSD_IbEEEENSA_11use_defaultESO_EENS0_5tupleIJNSA_16discard_iteratorISO_EES6_EEENSQ_IJSG_SG_EEES6_PlJS6_EEE10hipError_tPvRmT3_T4_T5_T6_T7_T9_mT8_P12ihipStream_tbDpT10_ENKUlT_T0_E_clISt17integral_constantIbLb0EES1F_EEDaS1A_S1B_EUlS1A_E_NS1_11comp_targetILNS1_3genE3ELNS1_11target_archE908ELNS1_3gpuE7ELNS1_3repE0EEENS1_30default_config_static_selectorELNS0_4arch9wavefront6targetE0EEEvT1_
    .private_segment_fixed_size: 0
    .sgpr_count:     0
    .sgpr_spill_count: 0
    .symbol:         _ZN7rocprim17ROCPRIM_400000_NS6detail17trampoline_kernelINS0_14default_configENS1_25partition_config_selectorILNS1_17partition_subalgoE5EyNS0_10empty_typeEbEEZZNS1_14partition_implILS5_5ELb0ES3_mN6thrust23THRUST_200600_302600_NS6detail15normal_iteratorINSA_10device_ptrIyEEEEPS6_NSA_18transform_iteratorINSB_9not_fun_tI7is_trueIyEEENSC_INSD_IbEEEENSA_11use_defaultESO_EENS0_5tupleIJNSA_16discard_iteratorISO_EES6_EEENSQ_IJSG_SG_EEES6_PlJS6_EEE10hipError_tPvRmT3_T4_T5_T6_T7_T9_mT8_P12ihipStream_tbDpT10_ENKUlT_T0_E_clISt17integral_constantIbLb0EES1F_EEDaS1A_S1B_EUlS1A_E_NS1_11comp_targetILNS1_3genE3ELNS1_11target_archE908ELNS1_3gpuE7ELNS1_3repE0EEENS1_30default_config_static_selectorELNS0_4arch9wavefront6targetE0EEEvT1_.kd
    .uniform_work_group_size: 1
    .uses_dynamic_stack: false
    .vgpr_count:     0
    .vgpr_spill_count: 0
    .wavefront_size: 32
    .workgroup_processor_mode: 1
  - .args:
      - .offset:         0
        .size:           128
        .value_kind:     by_value
    .group_segment_fixed_size: 0
    .kernarg_segment_align: 8
    .kernarg_segment_size: 128
    .language:       OpenCL C
    .language_version:
      - 2
      - 0
    .max_flat_workgroup_size: 256
    .name:           _ZN7rocprim17ROCPRIM_400000_NS6detail17trampoline_kernelINS0_14default_configENS1_25partition_config_selectorILNS1_17partition_subalgoE5EyNS0_10empty_typeEbEEZZNS1_14partition_implILS5_5ELb0ES3_mN6thrust23THRUST_200600_302600_NS6detail15normal_iteratorINSA_10device_ptrIyEEEEPS6_NSA_18transform_iteratorINSB_9not_fun_tI7is_trueIyEEENSC_INSD_IbEEEENSA_11use_defaultESO_EENS0_5tupleIJNSA_16discard_iteratorISO_EES6_EEENSQ_IJSG_SG_EEES6_PlJS6_EEE10hipError_tPvRmT3_T4_T5_T6_T7_T9_mT8_P12ihipStream_tbDpT10_ENKUlT_T0_E_clISt17integral_constantIbLb0EES1F_EEDaS1A_S1B_EUlS1A_E_NS1_11comp_targetILNS1_3genE2ELNS1_11target_archE906ELNS1_3gpuE6ELNS1_3repE0EEENS1_30default_config_static_selectorELNS0_4arch9wavefront6targetE0EEEvT1_
    .private_segment_fixed_size: 0
    .sgpr_count:     0
    .sgpr_spill_count: 0
    .symbol:         _ZN7rocprim17ROCPRIM_400000_NS6detail17trampoline_kernelINS0_14default_configENS1_25partition_config_selectorILNS1_17partition_subalgoE5EyNS0_10empty_typeEbEEZZNS1_14partition_implILS5_5ELb0ES3_mN6thrust23THRUST_200600_302600_NS6detail15normal_iteratorINSA_10device_ptrIyEEEEPS6_NSA_18transform_iteratorINSB_9not_fun_tI7is_trueIyEEENSC_INSD_IbEEEENSA_11use_defaultESO_EENS0_5tupleIJNSA_16discard_iteratorISO_EES6_EEENSQ_IJSG_SG_EEES6_PlJS6_EEE10hipError_tPvRmT3_T4_T5_T6_T7_T9_mT8_P12ihipStream_tbDpT10_ENKUlT_T0_E_clISt17integral_constantIbLb0EES1F_EEDaS1A_S1B_EUlS1A_E_NS1_11comp_targetILNS1_3genE2ELNS1_11target_archE906ELNS1_3gpuE6ELNS1_3repE0EEENS1_30default_config_static_selectorELNS0_4arch9wavefront6targetE0EEEvT1_.kd
    .uniform_work_group_size: 1
    .uses_dynamic_stack: false
    .vgpr_count:     0
    .vgpr_spill_count: 0
    .wavefront_size: 32
    .workgroup_processor_mode: 1
  - .args:
      - .offset:         0
        .size:           128
        .value_kind:     by_value
    .group_segment_fixed_size: 8464
    .kernarg_segment_align: 8
    .kernarg_segment_size: 128
    .language:       OpenCL C
    .language_version:
      - 2
      - 0
    .max_flat_workgroup_size: 256
    .name:           _ZN7rocprim17ROCPRIM_400000_NS6detail17trampoline_kernelINS0_14default_configENS1_25partition_config_selectorILNS1_17partition_subalgoE5EyNS0_10empty_typeEbEEZZNS1_14partition_implILS5_5ELb0ES3_mN6thrust23THRUST_200600_302600_NS6detail15normal_iteratorINSA_10device_ptrIyEEEEPS6_NSA_18transform_iteratorINSB_9not_fun_tI7is_trueIyEEENSC_INSD_IbEEEENSA_11use_defaultESO_EENS0_5tupleIJNSA_16discard_iteratorISO_EES6_EEENSQ_IJSG_SG_EEES6_PlJS6_EEE10hipError_tPvRmT3_T4_T5_T6_T7_T9_mT8_P12ihipStream_tbDpT10_ENKUlT_T0_E_clISt17integral_constantIbLb0EES1F_EEDaS1A_S1B_EUlS1A_E_NS1_11comp_targetILNS1_3genE10ELNS1_11target_archE1200ELNS1_3gpuE4ELNS1_3repE0EEENS1_30default_config_static_selectorELNS0_4arch9wavefront6targetE0EEEvT1_
    .private_segment_fixed_size: 0
    .sgpr_count:     26
    .sgpr_spill_count: 0
    .symbol:         _ZN7rocprim17ROCPRIM_400000_NS6detail17trampoline_kernelINS0_14default_configENS1_25partition_config_selectorILNS1_17partition_subalgoE5EyNS0_10empty_typeEbEEZZNS1_14partition_implILS5_5ELb0ES3_mN6thrust23THRUST_200600_302600_NS6detail15normal_iteratorINSA_10device_ptrIyEEEEPS6_NSA_18transform_iteratorINSB_9not_fun_tI7is_trueIyEEENSC_INSD_IbEEEENSA_11use_defaultESO_EENS0_5tupleIJNSA_16discard_iteratorISO_EES6_EEENSQ_IJSG_SG_EEES6_PlJS6_EEE10hipError_tPvRmT3_T4_T5_T6_T7_T9_mT8_P12ihipStream_tbDpT10_ENKUlT_T0_E_clISt17integral_constantIbLb0EES1F_EEDaS1A_S1B_EUlS1A_E_NS1_11comp_targetILNS1_3genE10ELNS1_11target_archE1200ELNS1_3gpuE4ELNS1_3repE0EEENS1_30default_config_static_selectorELNS0_4arch9wavefront6targetE0EEEvT1_.kd
    .uniform_work_group_size: 1
    .uses_dynamic_stack: false
    .vgpr_count:     45
    .vgpr_spill_count: 0
    .wavefront_size: 32
    .workgroup_processor_mode: 1
  - .args:
      - .offset:         0
        .size:           128
        .value_kind:     by_value
    .group_segment_fixed_size: 0
    .kernarg_segment_align: 8
    .kernarg_segment_size: 128
    .language:       OpenCL C
    .language_version:
      - 2
      - 0
    .max_flat_workgroup_size: 128
    .name:           _ZN7rocprim17ROCPRIM_400000_NS6detail17trampoline_kernelINS0_14default_configENS1_25partition_config_selectorILNS1_17partition_subalgoE5EyNS0_10empty_typeEbEEZZNS1_14partition_implILS5_5ELb0ES3_mN6thrust23THRUST_200600_302600_NS6detail15normal_iteratorINSA_10device_ptrIyEEEEPS6_NSA_18transform_iteratorINSB_9not_fun_tI7is_trueIyEEENSC_INSD_IbEEEENSA_11use_defaultESO_EENS0_5tupleIJNSA_16discard_iteratorISO_EES6_EEENSQ_IJSG_SG_EEES6_PlJS6_EEE10hipError_tPvRmT3_T4_T5_T6_T7_T9_mT8_P12ihipStream_tbDpT10_ENKUlT_T0_E_clISt17integral_constantIbLb0EES1F_EEDaS1A_S1B_EUlS1A_E_NS1_11comp_targetILNS1_3genE9ELNS1_11target_archE1100ELNS1_3gpuE3ELNS1_3repE0EEENS1_30default_config_static_selectorELNS0_4arch9wavefront6targetE0EEEvT1_
    .private_segment_fixed_size: 0
    .sgpr_count:     0
    .sgpr_spill_count: 0
    .symbol:         _ZN7rocprim17ROCPRIM_400000_NS6detail17trampoline_kernelINS0_14default_configENS1_25partition_config_selectorILNS1_17partition_subalgoE5EyNS0_10empty_typeEbEEZZNS1_14partition_implILS5_5ELb0ES3_mN6thrust23THRUST_200600_302600_NS6detail15normal_iteratorINSA_10device_ptrIyEEEEPS6_NSA_18transform_iteratorINSB_9not_fun_tI7is_trueIyEEENSC_INSD_IbEEEENSA_11use_defaultESO_EENS0_5tupleIJNSA_16discard_iteratorISO_EES6_EEENSQ_IJSG_SG_EEES6_PlJS6_EEE10hipError_tPvRmT3_T4_T5_T6_T7_T9_mT8_P12ihipStream_tbDpT10_ENKUlT_T0_E_clISt17integral_constantIbLb0EES1F_EEDaS1A_S1B_EUlS1A_E_NS1_11comp_targetILNS1_3genE9ELNS1_11target_archE1100ELNS1_3gpuE3ELNS1_3repE0EEENS1_30default_config_static_selectorELNS0_4arch9wavefront6targetE0EEEvT1_.kd
    .uniform_work_group_size: 1
    .uses_dynamic_stack: false
    .vgpr_count:     0
    .vgpr_spill_count: 0
    .wavefront_size: 32
    .workgroup_processor_mode: 1
  - .args:
      - .offset:         0
        .size:           128
        .value_kind:     by_value
    .group_segment_fixed_size: 0
    .kernarg_segment_align: 8
    .kernarg_segment_size: 128
    .language:       OpenCL C
    .language_version:
      - 2
      - 0
    .max_flat_workgroup_size: 512
    .name:           _ZN7rocprim17ROCPRIM_400000_NS6detail17trampoline_kernelINS0_14default_configENS1_25partition_config_selectorILNS1_17partition_subalgoE5EyNS0_10empty_typeEbEEZZNS1_14partition_implILS5_5ELb0ES3_mN6thrust23THRUST_200600_302600_NS6detail15normal_iteratorINSA_10device_ptrIyEEEEPS6_NSA_18transform_iteratorINSB_9not_fun_tI7is_trueIyEEENSC_INSD_IbEEEENSA_11use_defaultESO_EENS0_5tupleIJNSA_16discard_iteratorISO_EES6_EEENSQ_IJSG_SG_EEES6_PlJS6_EEE10hipError_tPvRmT3_T4_T5_T6_T7_T9_mT8_P12ihipStream_tbDpT10_ENKUlT_T0_E_clISt17integral_constantIbLb0EES1F_EEDaS1A_S1B_EUlS1A_E_NS1_11comp_targetILNS1_3genE8ELNS1_11target_archE1030ELNS1_3gpuE2ELNS1_3repE0EEENS1_30default_config_static_selectorELNS0_4arch9wavefront6targetE0EEEvT1_
    .private_segment_fixed_size: 0
    .sgpr_count:     0
    .sgpr_spill_count: 0
    .symbol:         _ZN7rocprim17ROCPRIM_400000_NS6detail17trampoline_kernelINS0_14default_configENS1_25partition_config_selectorILNS1_17partition_subalgoE5EyNS0_10empty_typeEbEEZZNS1_14partition_implILS5_5ELb0ES3_mN6thrust23THRUST_200600_302600_NS6detail15normal_iteratorINSA_10device_ptrIyEEEEPS6_NSA_18transform_iteratorINSB_9not_fun_tI7is_trueIyEEENSC_INSD_IbEEEENSA_11use_defaultESO_EENS0_5tupleIJNSA_16discard_iteratorISO_EES6_EEENSQ_IJSG_SG_EEES6_PlJS6_EEE10hipError_tPvRmT3_T4_T5_T6_T7_T9_mT8_P12ihipStream_tbDpT10_ENKUlT_T0_E_clISt17integral_constantIbLb0EES1F_EEDaS1A_S1B_EUlS1A_E_NS1_11comp_targetILNS1_3genE8ELNS1_11target_archE1030ELNS1_3gpuE2ELNS1_3repE0EEENS1_30default_config_static_selectorELNS0_4arch9wavefront6targetE0EEEvT1_.kd
    .uniform_work_group_size: 1
    .uses_dynamic_stack: false
    .vgpr_count:     0
    .vgpr_spill_count: 0
    .wavefront_size: 32
    .workgroup_processor_mode: 1
  - .args:
      - .offset:         0
        .size:           144
        .value_kind:     by_value
    .group_segment_fixed_size: 0
    .kernarg_segment_align: 8
    .kernarg_segment_size: 144
    .language:       OpenCL C
    .language_version:
      - 2
      - 0
    .max_flat_workgroup_size: 128
    .name:           _ZN7rocprim17ROCPRIM_400000_NS6detail17trampoline_kernelINS0_14default_configENS1_25partition_config_selectorILNS1_17partition_subalgoE5EyNS0_10empty_typeEbEEZZNS1_14partition_implILS5_5ELb0ES3_mN6thrust23THRUST_200600_302600_NS6detail15normal_iteratorINSA_10device_ptrIyEEEEPS6_NSA_18transform_iteratorINSB_9not_fun_tI7is_trueIyEEENSC_INSD_IbEEEENSA_11use_defaultESO_EENS0_5tupleIJNSA_16discard_iteratorISO_EES6_EEENSQ_IJSG_SG_EEES6_PlJS6_EEE10hipError_tPvRmT3_T4_T5_T6_T7_T9_mT8_P12ihipStream_tbDpT10_ENKUlT_T0_E_clISt17integral_constantIbLb1EES1F_EEDaS1A_S1B_EUlS1A_E_NS1_11comp_targetILNS1_3genE0ELNS1_11target_archE4294967295ELNS1_3gpuE0ELNS1_3repE0EEENS1_30default_config_static_selectorELNS0_4arch9wavefront6targetE0EEEvT1_
    .private_segment_fixed_size: 0
    .sgpr_count:     0
    .sgpr_spill_count: 0
    .symbol:         _ZN7rocprim17ROCPRIM_400000_NS6detail17trampoline_kernelINS0_14default_configENS1_25partition_config_selectorILNS1_17partition_subalgoE5EyNS0_10empty_typeEbEEZZNS1_14partition_implILS5_5ELb0ES3_mN6thrust23THRUST_200600_302600_NS6detail15normal_iteratorINSA_10device_ptrIyEEEEPS6_NSA_18transform_iteratorINSB_9not_fun_tI7is_trueIyEEENSC_INSD_IbEEEENSA_11use_defaultESO_EENS0_5tupleIJNSA_16discard_iteratorISO_EES6_EEENSQ_IJSG_SG_EEES6_PlJS6_EEE10hipError_tPvRmT3_T4_T5_T6_T7_T9_mT8_P12ihipStream_tbDpT10_ENKUlT_T0_E_clISt17integral_constantIbLb1EES1F_EEDaS1A_S1B_EUlS1A_E_NS1_11comp_targetILNS1_3genE0ELNS1_11target_archE4294967295ELNS1_3gpuE0ELNS1_3repE0EEENS1_30default_config_static_selectorELNS0_4arch9wavefront6targetE0EEEvT1_.kd
    .uniform_work_group_size: 1
    .uses_dynamic_stack: false
    .vgpr_count:     0
    .vgpr_spill_count: 0
    .wavefront_size: 32
    .workgroup_processor_mode: 1
  - .args:
      - .offset:         0
        .size:           144
        .value_kind:     by_value
    .group_segment_fixed_size: 0
    .kernarg_segment_align: 8
    .kernarg_segment_size: 144
    .language:       OpenCL C
    .language_version:
      - 2
      - 0
    .max_flat_workgroup_size: 512
    .name:           _ZN7rocprim17ROCPRIM_400000_NS6detail17trampoline_kernelINS0_14default_configENS1_25partition_config_selectorILNS1_17partition_subalgoE5EyNS0_10empty_typeEbEEZZNS1_14partition_implILS5_5ELb0ES3_mN6thrust23THRUST_200600_302600_NS6detail15normal_iteratorINSA_10device_ptrIyEEEEPS6_NSA_18transform_iteratorINSB_9not_fun_tI7is_trueIyEEENSC_INSD_IbEEEENSA_11use_defaultESO_EENS0_5tupleIJNSA_16discard_iteratorISO_EES6_EEENSQ_IJSG_SG_EEES6_PlJS6_EEE10hipError_tPvRmT3_T4_T5_T6_T7_T9_mT8_P12ihipStream_tbDpT10_ENKUlT_T0_E_clISt17integral_constantIbLb1EES1F_EEDaS1A_S1B_EUlS1A_E_NS1_11comp_targetILNS1_3genE5ELNS1_11target_archE942ELNS1_3gpuE9ELNS1_3repE0EEENS1_30default_config_static_selectorELNS0_4arch9wavefront6targetE0EEEvT1_
    .private_segment_fixed_size: 0
    .sgpr_count:     0
    .sgpr_spill_count: 0
    .symbol:         _ZN7rocprim17ROCPRIM_400000_NS6detail17trampoline_kernelINS0_14default_configENS1_25partition_config_selectorILNS1_17partition_subalgoE5EyNS0_10empty_typeEbEEZZNS1_14partition_implILS5_5ELb0ES3_mN6thrust23THRUST_200600_302600_NS6detail15normal_iteratorINSA_10device_ptrIyEEEEPS6_NSA_18transform_iteratorINSB_9not_fun_tI7is_trueIyEEENSC_INSD_IbEEEENSA_11use_defaultESO_EENS0_5tupleIJNSA_16discard_iteratorISO_EES6_EEENSQ_IJSG_SG_EEES6_PlJS6_EEE10hipError_tPvRmT3_T4_T5_T6_T7_T9_mT8_P12ihipStream_tbDpT10_ENKUlT_T0_E_clISt17integral_constantIbLb1EES1F_EEDaS1A_S1B_EUlS1A_E_NS1_11comp_targetILNS1_3genE5ELNS1_11target_archE942ELNS1_3gpuE9ELNS1_3repE0EEENS1_30default_config_static_selectorELNS0_4arch9wavefront6targetE0EEEvT1_.kd
    .uniform_work_group_size: 1
    .uses_dynamic_stack: false
    .vgpr_count:     0
    .vgpr_spill_count: 0
    .wavefront_size: 32
    .workgroup_processor_mode: 1
  - .args:
      - .offset:         0
        .size:           144
        .value_kind:     by_value
    .group_segment_fixed_size: 0
    .kernarg_segment_align: 8
    .kernarg_segment_size: 144
    .language:       OpenCL C
    .language_version:
      - 2
      - 0
    .max_flat_workgroup_size: 192
    .name:           _ZN7rocprim17ROCPRIM_400000_NS6detail17trampoline_kernelINS0_14default_configENS1_25partition_config_selectorILNS1_17partition_subalgoE5EyNS0_10empty_typeEbEEZZNS1_14partition_implILS5_5ELb0ES3_mN6thrust23THRUST_200600_302600_NS6detail15normal_iteratorINSA_10device_ptrIyEEEEPS6_NSA_18transform_iteratorINSB_9not_fun_tI7is_trueIyEEENSC_INSD_IbEEEENSA_11use_defaultESO_EENS0_5tupleIJNSA_16discard_iteratorISO_EES6_EEENSQ_IJSG_SG_EEES6_PlJS6_EEE10hipError_tPvRmT3_T4_T5_T6_T7_T9_mT8_P12ihipStream_tbDpT10_ENKUlT_T0_E_clISt17integral_constantIbLb1EES1F_EEDaS1A_S1B_EUlS1A_E_NS1_11comp_targetILNS1_3genE4ELNS1_11target_archE910ELNS1_3gpuE8ELNS1_3repE0EEENS1_30default_config_static_selectorELNS0_4arch9wavefront6targetE0EEEvT1_
    .private_segment_fixed_size: 0
    .sgpr_count:     0
    .sgpr_spill_count: 0
    .symbol:         _ZN7rocprim17ROCPRIM_400000_NS6detail17trampoline_kernelINS0_14default_configENS1_25partition_config_selectorILNS1_17partition_subalgoE5EyNS0_10empty_typeEbEEZZNS1_14partition_implILS5_5ELb0ES3_mN6thrust23THRUST_200600_302600_NS6detail15normal_iteratorINSA_10device_ptrIyEEEEPS6_NSA_18transform_iteratorINSB_9not_fun_tI7is_trueIyEEENSC_INSD_IbEEEENSA_11use_defaultESO_EENS0_5tupleIJNSA_16discard_iteratorISO_EES6_EEENSQ_IJSG_SG_EEES6_PlJS6_EEE10hipError_tPvRmT3_T4_T5_T6_T7_T9_mT8_P12ihipStream_tbDpT10_ENKUlT_T0_E_clISt17integral_constantIbLb1EES1F_EEDaS1A_S1B_EUlS1A_E_NS1_11comp_targetILNS1_3genE4ELNS1_11target_archE910ELNS1_3gpuE8ELNS1_3repE0EEENS1_30default_config_static_selectorELNS0_4arch9wavefront6targetE0EEEvT1_.kd
    .uniform_work_group_size: 1
    .uses_dynamic_stack: false
    .vgpr_count:     0
    .vgpr_spill_count: 0
    .wavefront_size: 32
    .workgroup_processor_mode: 1
  - .args:
      - .offset:         0
        .size:           144
        .value_kind:     by_value
    .group_segment_fixed_size: 0
    .kernarg_segment_align: 8
    .kernarg_segment_size: 144
    .language:       OpenCL C
    .language_version:
      - 2
      - 0
    .max_flat_workgroup_size: 128
    .name:           _ZN7rocprim17ROCPRIM_400000_NS6detail17trampoline_kernelINS0_14default_configENS1_25partition_config_selectorILNS1_17partition_subalgoE5EyNS0_10empty_typeEbEEZZNS1_14partition_implILS5_5ELb0ES3_mN6thrust23THRUST_200600_302600_NS6detail15normal_iteratorINSA_10device_ptrIyEEEEPS6_NSA_18transform_iteratorINSB_9not_fun_tI7is_trueIyEEENSC_INSD_IbEEEENSA_11use_defaultESO_EENS0_5tupleIJNSA_16discard_iteratorISO_EES6_EEENSQ_IJSG_SG_EEES6_PlJS6_EEE10hipError_tPvRmT3_T4_T5_T6_T7_T9_mT8_P12ihipStream_tbDpT10_ENKUlT_T0_E_clISt17integral_constantIbLb1EES1F_EEDaS1A_S1B_EUlS1A_E_NS1_11comp_targetILNS1_3genE3ELNS1_11target_archE908ELNS1_3gpuE7ELNS1_3repE0EEENS1_30default_config_static_selectorELNS0_4arch9wavefront6targetE0EEEvT1_
    .private_segment_fixed_size: 0
    .sgpr_count:     0
    .sgpr_spill_count: 0
    .symbol:         _ZN7rocprim17ROCPRIM_400000_NS6detail17trampoline_kernelINS0_14default_configENS1_25partition_config_selectorILNS1_17partition_subalgoE5EyNS0_10empty_typeEbEEZZNS1_14partition_implILS5_5ELb0ES3_mN6thrust23THRUST_200600_302600_NS6detail15normal_iteratorINSA_10device_ptrIyEEEEPS6_NSA_18transform_iteratorINSB_9not_fun_tI7is_trueIyEEENSC_INSD_IbEEEENSA_11use_defaultESO_EENS0_5tupleIJNSA_16discard_iteratorISO_EES6_EEENSQ_IJSG_SG_EEES6_PlJS6_EEE10hipError_tPvRmT3_T4_T5_T6_T7_T9_mT8_P12ihipStream_tbDpT10_ENKUlT_T0_E_clISt17integral_constantIbLb1EES1F_EEDaS1A_S1B_EUlS1A_E_NS1_11comp_targetILNS1_3genE3ELNS1_11target_archE908ELNS1_3gpuE7ELNS1_3repE0EEENS1_30default_config_static_selectorELNS0_4arch9wavefront6targetE0EEEvT1_.kd
    .uniform_work_group_size: 1
    .uses_dynamic_stack: false
    .vgpr_count:     0
    .vgpr_spill_count: 0
    .wavefront_size: 32
    .workgroup_processor_mode: 1
  - .args:
      - .offset:         0
        .size:           144
        .value_kind:     by_value
    .group_segment_fixed_size: 0
    .kernarg_segment_align: 8
    .kernarg_segment_size: 144
    .language:       OpenCL C
    .language_version:
      - 2
      - 0
    .max_flat_workgroup_size: 256
    .name:           _ZN7rocprim17ROCPRIM_400000_NS6detail17trampoline_kernelINS0_14default_configENS1_25partition_config_selectorILNS1_17partition_subalgoE5EyNS0_10empty_typeEbEEZZNS1_14partition_implILS5_5ELb0ES3_mN6thrust23THRUST_200600_302600_NS6detail15normal_iteratorINSA_10device_ptrIyEEEEPS6_NSA_18transform_iteratorINSB_9not_fun_tI7is_trueIyEEENSC_INSD_IbEEEENSA_11use_defaultESO_EENS0_5tupleIJNSA_16discard_iteratorISO_EES6_EEENSQ_IJSG_SG_EEES6_PlJS6_EEE10hipError_tPvRmT3_T4_T5_T6_T7_T9_mT8_P12ihipStream_tbDpT10_ENKUlT_T0_E_clISt17integral_constantIbLb1EES1F_EEDaS1A_S1B_EUlS1A_E_NS1_11comp_targetILNS1_3genE2ELNS1_11target_archE906ELNS1_3gpuE6ELNS1_3repE0EEENS1_30default_config_static_selectorELNS0_4arch9wavefront6targetE0EEEvT1_
    .private_segment_fixed_size: 0
    .sgpr_count:     0
    .sgpr_spill_count: 0
    .symbol:         _ZN7rocprim17ROCPRIM_400000_NS6detail17trampoline_kernelINS0_14default_configENS1_25partition_config_selectorILNS1_17partition_subalgoE5EyNS0_10empty_typeEbEEZZNS1_14partition_implILS5_5ELb0ES3_mN6thrust23THRUST_200600_302600_NS6detail15normal_iteratorINSA_10device_ptrIyEEEEPS6_NSA_18transform_iteratorINSB_9not_fun_tI7is_trueIyEEENSC_INSD_IbEEEENSA_11use_defaultESO_EENS0_5tupleIJNSA_16discard_iteratorISO_EES6_EEENSQ_IJSG_SG_EEES6_PlJS6_EEE10hipError_tPvRmT3_T4_T5_T6_T7_T9_mT8_P12ihipStream_tbDpT10_ENKUlT_T0_E_clISt17integral_constantIbLb1EES1F_EEDaS1A_S1B_EUlS1A_E_NS1_11comp_targetILNS1_3genE2ELNS1_11target_archE906ELNS1_3gpuE6ELNS1_3repE0EEENS1_30default_config_static_selectorELNS0_4arch9wavefront6targetE0EEEvT1_.kd
    .uniform_work_group_size: 1
    .uses_dynamic_stack: false
    .vgpr_count:     0
    .vgpr_spill_count: 0
    .wavefront_size: 32
    .workgroup_processor_mode: 1
  - .args:
      - .offset:         0
        .size:           144
        .value_kind:     by_value
    .group_segment_fixed_size: 0
    .kernarg_segment_align: 8
    .kernarg_segment_size: 144
    .language:       OpenCL C
    .language_version:
      - 2
      - 0
    .max_flat_workgroup_size: 256
    .name:           _ZN7rocprim17ROCPRIM_400000_NS6detail17trampoline_kernelINS0_14default_configENS1_25partition_config_selectorILNS1_17partition_subalgoE5EyNS0_10empty_typeEbEEZZNS1_14partition_implILS5_5ELb0ES3_mN6thrust23THRUST_200600_302600_NS6detail15normal_iteratorINSA_10device_ptrIyEEEEPS6_NSA_18transform_iteratorINSB_9not_fun_tI7is_trueIyEEENSC_INSD_IbEEEENSA_11use_defaultESO_EENS0_5tupleIJNSA_16discard_iteratorISO_EES6_EEENSQ_IJSG_SG_EEES6_PlJS6_EEE10hipError_tPvRmT3_T4_T5_T6_T7_T9_mT8_P12ihipStream_tbDpT10_ENKUlT_T0_E_clISt17integral_constantIbLb1EES1F_EEDaS1A_S1B_EUlS1A_E_NS1_11comp_targetILNS1_3genE10ELNS1_11target_archE1200ELNS1_3gpuE4ELNS1_3repE0EEENS1_30default_config_static_selectorELNS0_4arch9wavefront6targetE0EEEvT1_
    .private_segment_fixed_size: 0
    .sgpr_count:     0
    .sgpr_spill_count: 0
    .symbol:         _ZN7rocprim17ROCPRIM_400000_NS6detail17trampoline_kernelINS0_14default_configENS1_25partition_config_selectorILNS1_17partition_subalgoE5EyNS0_10empty_typeEbEEZZNS1_14partition_implILS5_5ELb0ES3_mN6thrust23THRUST_200600_302600_NS6detail15normal_iteratorINSA_10device_ptrIyEEEEPS6_NSA_18transform_iteratorINSB_9not_fun_tI7is_trueIyEEENSC_INSD_IbEEEENSA_11use_defaultESO_EENS0_5tupleIJNSA_16discard_iteratorISO_EES6_EEENSQ_IJSG_SG_EEES6_PlJS6_EEE10hipError_tPvRmT3_T4_T5_T6_T7_T9_mT8_P12ihipStream_tbDpT10_ENKUlT_T0_E_clISt17integral_constantIbLb1EES1F_EEDaS1A_S1B_EUlS1A_E_NS1_11comp_targetILNS1_3genE10ELNS1_11target_archE1200ELNS1_3gpuE4ELNS1_3repE0EEENS1_30default_config_static_selectorELNS0_4arch9wavefront6targetE0EEEvT1_.kd
    .uniform_work_group_size: 1
    .uses_dynamic_stack: false
    .vgpr_count:     0
    .vgpr_spill_count: 0
    .wavefront_size: 32
    .workgroup_processor_mode: 1
  - .args:
      - .offset:         0
        .size:           144
        .value_kind:     by_value
    .group_segment_fixed_size: 0
    .kernarg_segment_align: 8
    .kernarg_segment_size: 144
    .language:       OpenCL C
    .language_version:
      - 2
      - 0
    .max_flat_workgroup_size: 128
    .name:           _ZN7rocprim17ROCPRIM_400000_NS6detail17trampoline_kernelINS0_14default_configENS1_25partition_config_selectorILNS1_17partition_subalgoE5EyNS0_10empty_typeEbEEZZNS1_14partition_implILS5_5ELb0ES3_mN6thrust23THRUST_200600_302600_NS6detail15normal_iteratorINSA_10device_ptrIyEEEEPS6_NSA_18transform_iteratorINSB_9not_fun_tI7is_trueIyEEENSC_INSD_IbEEEENSA_11use_defaultESO_EENS0_5tupleIJNSA_16discard_iteratorISO_EES6_EEENSQ_IJSG_SG_EEES6_PlJS6_EEE10hipError_tPvRmT3_T4_T5_T6_T7_T9_mT8_P12ihipStream_tbDpT10_ENKUlT_T0_E_clISt17integral_constantIbLb1EES1F_EEDaS1A_S1B_EUlS1A_E_NS1_11comp_targetILNS1_3genE9ELNS1_11target_archE1100ELNS1_3gpuE3ELNS1_3repE0EEENS1_30default_config_static_selectorELNS0_4arch9wavefront6targetE0EEEvT1_
    .private_segment_fixed_size: 0
    .sgpr_count:     0
    .sgpr_spill_count: 0
    .symbol:         _ZN7rocprim17ROCPRIM_400000_NS6detail17trampoline_kernelINS0_14default_configENS1_25partition_config_selectorILNS1_17partition_subalgoE5EyNS0_10empty_typeEbEEZZNS1_14partition_implILS5_5ELb0ES3_mN6thrust23THRUST_200600_302600_NS6detail15normal_iteratorINSA_10device_ptrIyEEEEPS6_NSA_18transform_iteratorINSB_9not_fun_tI7is_trueIyEEENSC_INSD_IbEEEENSA_11use_defaultESO_EENS0_5tupleIJNSA_16discard_iteratorISO_EES6_EEENSQ_IJSG_SG_EEES6_PlJS6_EEE10hipError_tPvRmT3_T4_T5_T6_T7_T9_mT8_P12ihipStream_tbDpT10_ENKUlT_T0_E_clISt17integral_constantIbLb1EES1F_EEDaS1A_S1B_EUlS1A_E_NS1_11comp_targetILNS1_3genE9ELNS1_11target_archE1100ELNS1_3gpuE3ELNS1_3repE0EEENS1_30default_config_static_selectorELNS0_4arch9wavefront6targetE0EEEvT1_.kd
    .uniform_work_group_size: 1
    .uses_dynamic_stack: false
    .vgpr_count:     0
    .vgpr_spill_count: 0
    .wavefront_size: 32
    .workgroup_processor_mode: 1
  - .args:
      - .offset:         0
        .size:           144
        .value_kind:     by_value
    .group_segment_fixed_size: 0
    .kernarg_segment_align: 8
    .kernarg_segment_size: 144
    .language:       OpenCL C
    .language_version:
      - 2
      - 0
    .max_flat_workgroup_size: 512
    .name:           _ZN7rocprim17ROCPRIM_400000_NS6detail17trampoline_kernelINS0_14default_configENS1_25partition_config_selectorILNS1_17partition_subalgoE5EyNS0_10empty_typeEbEEZZNS1_14partition_implILS5_5ELb0ES3_mN6thrust23THRUST_200600_302600_NS6detail15normal_iteratorINSA_10device_ptrIyEEEEPS6_NSA_18transform_iteratorINSB_9not_fun_tI7is_trueIyEEENSC_INSD_IbEEEENSA_11use_defaultESO_EENS0_5tupleIJNSA_16discard_iteratorISO_EES6_EEENSQ_IJSG_SG_EEES6_PlJS6_EEE10hipError_tPvRmT3_T4_T5_T6_T7_T9_mT8_P12ihipStream_tbDpT10_ENKUlT_T0_E_clISt17integral_constantIbLb1EES1F_EEDaS1A_S1B_EUlS1A_E_NS1_11comp_targetILNS1_3genE8ELNS1_11target_archE1030ELNS1_3gpuE2ELNS1_3repE0EEENS1_30default_config_static_selectorELNS0_4arch9wavefront6targetE0EEEvT1_
    .private_segment_fixed_size: 0
    .sgpr_count:     0
    .sgpr_spill_count: 0
    .symbol:         _ZN7rocprim17ROCPRIM_400000_NS6detail17trampoline_kernelINS0_14default_configENS1_25partition_config_selectorILNS1_17partition_subalgoE5EyNS0_10empty_typeEbEEZZNS1_14partition_implILS5_5ELb0ES3_mN6thrust23THRUST_200600_302600_NS6detail15normal_iteratorINSA_10device_ptrIyEEEEPS6_NSA_18transform_iteratorINSB_9not_fun_tI7is_trueIyEEENSC_INSD_IbEEEENSA_11use_defaultESO_EENS0_5tupleIJNSA_16discard_iteratorISO_EES6_EEENSQ_IJSG_SG_EEES6_PlJS6_EEE10hipError_tPvRmT3_T4_T5_T6_T7_T9_mT8_P12ihipStream_tbDpT10_ENKUlT_T0_E_clISt17integral_constantIbLb1EES1F_EEDaS1A_S1B_EUlS1A_E_NS1_11comp_targetILNS1_3genE8ELNS1_11target_archE1030ELNS1_3gpuE2ELNS1_3repE0EEENS1_30default_config_static_selectorELNS0_4arch9wavefront6targetE0EEEvT1_.kd
    .uniform_work_group_size: 1
    .uses_dynamic_stack: false
    .vgpr_count:     0
    .vgpr_spill_count: 0
    .wavefront_size: 32
    .workgroup_processor_mode: 1
  - .args:
      - .offset:         0
        .size:           128
        .value_kind:     by_value
    .group_segment_fixed_size: 0
    .kernarg_segment_align: 8
    .kernarg_segment_size: 128
    .language:       OpenCL C
    .language_version:
      - 2
      - 0
    .max_flat_workgroup_size: 128
    .name:           _ZN7rocprim17ROCPRIM_400000_NS6detail17trampoline_kernelINS0_14default_configENS1_25partition_config_selectorILNS1_17partition_subalgoE5EyNS0_10empty_typeEbEEZZNS1_14partition_implILS5_5ELb0ES3_mN6thrust23THRUST_200600_302600_NS6detail15normal_iteratorINSA_10device_ptrIyEEEEPS6_NSA_18transform_iteratorINSB_9not_fun_tI7is_trueIyEEENSC_INSD_IbEEEENSA_11use_defaultESO_EENS0_5tupleIJNSA_16discard_iteratorISO_EES6_EEENSQ_IJSG_SG_EEES6_PlJS6_EEE10hipError_tPvRmT3_T4_T5_T6_T7_T9_mT8_P12ihipStream_tbDpT10_ENKUlT_T0_E_clISt17integral_constantIbLb1EES1E_IbLb0EEEEDaS1A_S1B_EUlS1A_E_NS1_11comp_targetILNS1_3genE0ELNS1_11target_archE4294967295ELNS1_3gpuE0ELNS1_3repE0EEENS1_30default_config_static_selectorELNS0_4arch9wavefront6targetE0EEEvT1_
    .private_segment_fixed_size: 0
    .sgpr_count:     0
    .sgpr_spill_count: 0
    .symbol:         _ZN7rocprim17ROCPRIM_400000_NS6detail17trampoline_kernelINS0_14default_configENS1_25partition_config_selectorILNS1_17partition_subalgoE5EyNS0_10empty_typeEbEEZZNS1_14partition_implILS5_5ELb0ES3_mN6thrust23THRUST_200600_302600_NS6detail15normal_iteratorINSA_10device_ptrIyEEEEPS6_NSA_18transform_iteratorINSB_9not_fun_tI7is_trueIyEEENSC_INSD_IbEEEENSA_11use_defaultESO_EENS0_5tupleIJNSA_16discard_iteratorISO_EES6_EEENSQ_IJSG_SG_EEES6_PlJS6_EEE10hipError_tPvRmT3_T4_T5_T6_T7_T9_mT8_P12ihipStream_tbDpT10_ENKUlT_T0_E_clISt17integral_constantIbLb1EES1E_IbLb0EEEEDaS1A_S1B_EUlS1A_E_NS1_11comp_targetILNS1_3genE0ELNS1_11target_archE4294967295ELNS1_3gpuE0ELNS1_3repE0EEENS1_30default_config_static_selectorELNS0_4arch9wavefront6targetE0EEEvT1_.kd
    .uniform_work_group_size: 1
    .uses_dynamic_stack: false
    .vgpr_count:     0
    .vgpr_spill_count: 0
    .wavefront_size: 32
    .workgroup_processor_mode: 1
  - .args:
      - .offset:         0
        .size:           128
        .value_kind:     by_value
    .group_segment_fixed_size: 0
    .kernarg_segment_align: 8
    .kernarg_segment_size: 128
    .language:       OpenCL C
    .language_version:
      - 2
      - 0
    .max_flat_workgroup_size: 512
    .name:           _ZN7rocprim17ROCPRIM_400000_NS6detail17trampoline_kernelINS0_14default_configENS1_25partition_config_selectorILNS1_17partition_subalgoE5EyNS0_10empty_typeEbEEZZNS1_14partition_implILS5_5ELb0ES3_mN6thrust23THRUST_200600_302600_NS6detail15normal_iteratorINSA_10device_ptrIyEEEEPS6_NSA_18transform_iteratorINSB_9not_fun_tI7is_trueIyEEENSC_INSD_IbEEEENSA_11use_defaultESO_EENS0_5tupleIJNSA_16discard_iteratorISO_EES6_EEENSQ_IJSG_SG_EEES6_PlJS6_EEE10hipError_tPvRmT3_T4_T5_T6_T7_T9_mT8_P12ihipStream_tbDpT10_ENKUlT_T0_E_clISt17integral_constantIbLb1EES1E_IbLb0EEEEDaS1A_S1B_EUlS1A_E_NS1_11comp_targetILNS1_3genE5ELNS1_11target_archE942ELNS1_3gpuE9ELNS1_3repE0EEENS1_30default_config_static_selectorELNS0_4arch9wavefront6targetE0EEEvT1_
    .private_segment_fixed_size: 0
    .sgpr_count:     0
    .sgpr_spill_count: 0
    .symbol:         _ZN7rocprim17ROCPRIM_400000_NS6detail17trampoline_kernelINS0_14default_configENS1_25partition_config_selectorILNS1_17partition_subalgoE5EyNS0_10empty_typeEbEEZZNS1_14partition_implILS5_5ELb0ES3_mN6thrust23THRUST_200600_302600_NS6detail15normal_iteratorINSA_10device_ptrIyEEEEPS6_NSA_18transform_iteratorINSB_9not_fun_tI7is_trueIyEEENSC_INSD_IbEEEENSA_11use_defaultESO_EENS0_5tupleIJNSA_16discard_iteratorISO_EES6_EEENSQ_IJSG_SG_EEES6_PlJS6_EEE10hipError_tPvRmT3_T4_T5_T6_T7_T9_mT8_P12ihipStream_tbDpT10_ENKUlT_T0_E_clISt17integral_constantIbLb1EES1E_IbLb0EEEEDaS1A_S1B_EUlS1A_E_NS1_11comp_targetILNS1_3genE5ELNS1_11target_archE942ELNS1_3gpuE9ELNS1_3repE0EEENS1_30default_config_static_selectorELNS0_4arch9wavefront6targetE0EEEvT1_.kd
    .uniform_work_group_size: 1
    .uses_dynamic_stack: false
    .vgpr_count:     0
    .vgpr_spill_count: 0
    .wavefront_size: 32
    .workgroup_processor_mode: 1
  - .args:
      - .offset:         0
        .size:           128
        .value_kind:     by_value
    .group_segment_fixed_size: 0
    .kernarg_segment_align: 8
    .kernarg_segment_size: 128
    .language:       OpenCL C
    .language_version:
      - 2
      - 0
    .max_flat_workgroup_size: 192
    .name:           _ZN7rocprim17ROCPRIM_400000_NS6detail17trampoline_kernelINS0_14default_configENS1_25partition_config_selectorILNS1_17partition_subalgoE5EyNS0_10empty_typeEbEEZZNS1_14partition_implILS5_5ELb0ES3_mN6thrust23THRUST_200600_302600_NS6detail15normal_iteratorINSA_10device_ptrIyEEEEPS6_NSA_18transform_iteratorINSB_9not_fun_tI7is_trueIyEEENSC_INSD_IbEEEENSA_11use_defaultESO_EENS0_5tupleIJNSA_16discard_iteratorISO_EES6_EEENSQ_IJSG_SG_EEES6_PlJS6_EEE10hipError_tPvRmT3_T4_T5_T6_T7_T9_mT8_P12ihipStream_tbDpT10_ENKUlT_T0_E_clISt17integral_constantIbLb1EES1E_IbLb0EEEEDaS1A_S1B_EUlS1A_E_NS1_11comp_targetILNS1_3genE4ELNS1_11target_archE910ELNS1_3gpuE8ELNS1_3repE0EEENS1_30default_config_static_selectorELNS0_4arch9wavefront6targetE0EEEvT1_
    .private_segment_fixed_size: 0
    .sgpr_count:     0
    .sgpr_spill_count: 0
    .symbol:         _ZN7rocprim17ROCPRIM_400000_NS6detail17trampoline_kernelINS0_14default_configENS1_25partition_config_selectorILNS1_17partition_subalgoE5EyNS0_10empty_typeEbEEZZNS1_14partition_implILS5_5ELb0ES3_mN6thrust23THRUST_200600_302600_NS6detail15normal_iteratorINSA_10device_ptrIyEEEEPS6_NSA_18transform_iteratorINSB_9not_fun_tI7is_trueIyEEENSC_INSD_IbEEEENSA_11use_defaultESO_EENS0_5tupleIJNSA_16discard_iteratorISO_EES6_EEENSQ_IJSG_SG_EEES6_PlJS6_EEE10hipError_tPvRmT3_T4_T5_T6_T7_T9_mT8_P12ihipStream_tbDpT10_ENKUlT_T0_E_clISt17integral_constantIbLb1EES1E_IbLb0EEEEDaS1A_S1B_EUlS1A_E_NS1_11comp_targetILNS1_3genE4ELNS1_11target_archE910ELNS1_3gpuE8ELNS1_3repE0EEENS1_30default_config_static_selectorELNS0_4arch9wavefront6targetE0EEEvT1_.kd
    .uniform_work_group_size: 1
    .uses_dynamic_stack: false
    .vgpr_count:     0
    .vgpr_spill_count: 0
    .wavefront_size: 32
    .workgroup_processor_mode: 1
  - .args:
      - .offset:         0
        .size:           128
        .value_kind:     by_value
    .group_segment_fixed_size: 0
    .kernarg_segment_align: 8
    .kernarg_segment_size: 128
    .language:       OpenCL C
    .language_version:
      - 2
      - 0
    .max_flat_workgroup_size: 128
    .name:           _ZN7rocprim17ROCPRIM_400000_NS6detail17trampoline_kernelINS0_14default_configENS1_25partition_config_selectorILNS1_17partition_subalgoE5EyNS0_10empty_typeEbEEZZNS1_14partition_implILS5_5ELb0ES3_mN6thrust23THRUST_200600_302600_NS6detail15normal_iteratorINSA_10device_ptrIyEEEEPS6_NSA_18transform_iteratorINSB_9not_fun_tI7is_trueIyEEENSC_INSD_IbEEEENSA_11use_defaultESO_EENS0_5tupleIJNSA_16discard_iteratorISO_EES6_EEENSQ_IJSG_SG_EEES6_PlJS6_EEE10hipError_tPvRmT3_T4_T5_T6_T7_T9_mT8_P12ihipStream_tbDpT10_ENKUlT_T0_E_clISt17integral_constantIbLb1EES1E_IbLb0EEEEDaS1A_S1B_EUlS1A_E_NS1_11comp_targetILNS1_3genE3ELNS1_11target_archE908ELNS1_3gpuE7ELNS1_3repE0EEENS1_30default_config_static_selectorELNS0_4arch9wavefront6targetE0EEEvT1_
    .private_segment_fixed_size: 0
    .sgpr_count:     0
    .sgpr_spill_count: 0
    .symbol:         _ZN7rocprim17ROCPRIM_400000_NS6detail17trampoline_kernelINS0_14default_configENS1_25partition_config_selectorILNS1_17partition_subalgoE5EyNS0_10empty_typeEbEEZZNS1_14partition_implILS5_5ELb0ES3_mN6thrust23THRUST_200600_302600_NS6detail15normal_iteratorINSA_10device_ptrIyEEEEPS6_NSA_18transform_iteratorINSB_9not_fun_tI7is_trueIyEEENSC_INSD_IbEEEENSA_11use_defaultESO_EENS0_5tupleIJNSA_16discard_iteratorISO_EES6_EEENSQ_IJSG_SG_EEES6_PlJS6_EEE10hipError_tPvRmT3_T4_T5_T6_T7_T9_mT8_P12ihipStream_tbDpT10_ENKUlT_T0_E_clISt17integral_constantIbLb1EES1E_IbLb0EEEEDaS1A_S1B_EUlS1A_E_NS1_11comp_targetILNS1_3genE3ELNS1_11target_archE908ELNS1_3gpuE7ELNS1_3repE0EEENS1_30default_config_static_selectorELNS0_4arch9wavefront6targetE0EEEvT1_.kd
    .uniform_work_group_size: 1
    .uses_dynamic_stack: false
    .vgpr_count:     0
    .vgpr_spill_count: 0
    .wavefront_size: 32
    .workgroup_processor_mode: 1
  - .args:
      - .offset:         0
        .size:           128
        .value_kind:     by_value
    .group_segment_fixed_size: 0
    .kernarg_segment_align: 8
    .kernarg_segment_size: 128
    .language:       OpenCL C
    .language_version:
      - 2
      - 0
    .max_flat_workgroup_size: 256
    .name:           _ZN7rocprim17ROCPRIM_400000_NS6detail17trampoline_kernelINS0_14default_configENS1_25partition_config_selectorILNS1_17partition_subalgoE5EyNS0_10empty_typeEbEEZZNS1_14partition_implILS5_5ELb0ES3_mN6thrust23THRUST_200600_302600_NS6detail15normal_iteratorINSA_10device_ptrIyEEEEPS6_NSA_18transform_iteratorINSB_9not_fun_tI7is_trueIyEEENSC_INSD_IbEEEENSA_11use_defaultESO_EENS0_5tupleIJNSA_16discard_iteratorISO_EES6_EEENSQ_IJSG_SG_EEES6_PlJS6_EEE10hipError_tPvRmT3_T4_T5_T6_T7_T9_mT8_P12ihipStream_tbDpT10_ENKUlT_T0_E_clISt17integral_constantIbLb1EES1E_IbLb0EEEEDaS1A_S1B_EUlS1A_E_NS1_11comp_targetILNS1_3genE2ELNS1_11target_archE906ELNS1_3gpuE6ELNS1_3repE0EEENS1_30default_config_static_selectorELNS0_4arch9wavefront6targetE0EEEvT1_
    .private_segment_fixed_size: 0
    .sgpr_count:     0
    .sgpr_spill_count: 0
    .symbol:         _ZN7rocprim17ROCPRIM_400000_NS6detail17trampoline_kernelINS0_14default_configENS1_25partition_config_selectorILNS1_17partition_subalgoE5EyNS0_10empty_typeEbEEZZNS1_14partition_implILS5_5ELb0ES3_mN6thrust23THRUST_200600_302600_NS6detail15normal_iteratorINSA_10device_ptrIyEEEEPS6_NSA_18transform_iteratorINSB_9not_fun_tI7is_trueIyEEENSC_INSD_IbEEEENSA_11use_defaultESO_EENS0_5tupleIJNSA_16discard_iteratorISO_EES6_EEENSQ_IJSG_SG_EEES6_PlJS6_EEE10hipError_tPvRmT3_T4_T5_T6_T7_T9_mT8_P12ihipStream_tbDpT10_ENKUlT_T0_E_clISt17integral_constantIbLb1EES1E_IbLb0EEEEDaS1A_S1B_EUlS1A_E_NS1_11comp_targetILNS1_3genE2ELNS1_11target_archE906ELNS1_3gpuE6ELNS1_3repE0EEENS1_30default_config_static_selectorELNS0_4arch9wavefront6targetE0EEEvT1_.kd
    .uniform_work_group_size: 1
    .uses_dynamic_stack: false
    .vgpr_count:     0
    .vgpr_spill_count: 0
    .wavefront_size: 32
    .workgroup_processor_mode: 1
  - .args:
      - .offset:         0
        .size:           128
        .value_kind:     by_value
    .group_segment_fixed_size: 0
    .kernarg_segment_align: 8
    .kernarg_segment_size: 128
    .language:       OpenCL C
    .language_version:
      - 2
      - 0
    .max_flat_workgroup_size: 256
    .name:           _ZN7rocprim17ROCPRIM_400000_NS6detail17trampoline_kernelINS0_14default_configENS1_25partition_config_selectorILNS1_17partition_subalgoE5EyNS0_10empty_typeEbEEZZNS1_14partition_implILS5_5ELb0ES3_mN6thrust23THRUST_200600_302600_NS6detail15normal_iteratorINSA_10device_ptrIyEEEEPS6_NSA_18transform_iteratorINSB_9not_fun_tI7is_trueIyEEENSC_INSD_IbEEEENSA_11use_defaultESO_EENS0_5tupleIJNSA_16discard_iteratorISO_EES6_EEENSQ_IJSG_SG_EEES6_PlJS6_EEE10hipError_tPvRmT3_T4_T5_T6_T7_T9_mT8_P12ihipStream_tbDpT10_ENKUlT_T0_E_clISt17integral_constantIbLb1EES1E_IbLb0EEEEDaS1A_S1B_EUlS1A_E_NS1_11comp_targetILNS1_3genE10ELNS1_11target_archE1200ELNS1_3gpuE4ELNS1_3repE0EEENS1_30default_config_static_selectorELNS0_4arch9wavefront6targetE0EEEvT1_
    .private_segment_fixed_size: 0
    .sgpr_count:     0
    .sgpr_spill_count: 0
    .symbol:         _ZN7rocprim17ROCPRIM_400000_NS6detail17trampoline_kernelINS0_14default_configENS1_25partition_config_selectorILNS1_17partition_subalgoE5EyNS0_10empty_typeEbEEZZNS1_14partition_implILS5_5ELb0ES3_mN6thrust23THRUST_200600_302600_NS6detail15normal_iteratorINSA_10device_ptrIyEEEEPS6_NSA_18transform_iteratorINSB_9not_fun_tI7is_trueIyEEENSC_INSD_IbEEEENSA_11use_defaultESO_EENS0_5tupleIJNSA_16discard_iteratorISO_EES6_EEENSQ_IJSG_SG_EEES6_PlJS6_EEE10hipError_tPvRmT3_T4_T5_T6_T7_T9_mT8_P12ihipStream_tbDpT10_ENKUlT_T0_E_clISt17integral_constantIbLb1EES1E_IbLb0EEEEDaS1A_S1B_EUlS1A_E_NS1_11comp_targetILNS1_3genE10ELNS1_11target_archE1200ELNS1_3gpuE4ELNS1_3repE0EEENS1_30default_config_static_selectorELNS0_4arch9wavefront6targetE0EEEvT1_.kd
    .uniform_work_group_size: 1
    .uses_dynamic_stack: false
    .vgpr_count:     0
    .vgpr_spill_count: 0
    .wavefront_size: 32
    .workgroup_processor_mode: 1
  - .args:
      - .offset:         0
        .size:           128
        .value_kind:     by_value
    .group_segment_fixed_size: 0
    .kernarg_segment_align: 8
    .kernarg_segment_size: 128
    .language:       OpenCL C
    .language_version:
      - 2
      - 0
    .max_flat_workgroup_size: 128
    .name:           _ZN7rocprim17ROCPRIM_400000_NS6detail17trampoline_kernelINS0_14default_configENS1_25partition_config_selectorILNS1_17partition_subalgoE5EyNS0_10empty_typeEbEEZZNS1_14partition_implILS5_5ELb0ES3_mN6thrust23THRUST_200600_302600_NS6detail15normal_iteratorINSA_10device_ptrIyEEEEPS6_NSA_18transform_iteratorINSB_9not_fun_tI7is_trueIyEEENSC_INSD_IbEEEENSA_11use_defaultESO_EENS0_5tupleIJNSA_16discard_iteratorISO_EES6_EEENSQ_IJSG_SG_EEES6_PlJS6_EEE10hipError_tPvRmT3_T4_T5_T6_T7_T9_mT8_P12ihipStream_tbDpT10_ENKUlT_T0_E_clISt17integral_constantIbLb1EES1E_IbLb0EEEEDaS1A_S1B_EUlS1A_E_NS1_11comp_targetILNS1_3genE9ELNS1_11target_archE1100ELNS1_3gpuE3ELNS1_3repE0EEENS1_30default_config_static_selectorELNS0_4arch9wavefront6targetE0EEEvT1_
    .private_segment_fixed_size: 0
    .sgpr_count:     0
    .sgpr_spill_count: 0
    .symbol:         _ZN7rocprim17ROCPRIM_400000_NS6detail17trampoline_kernelINS0_14default_configENS1_25partition_config_selectorILNS1_17partition_subalgoE5EyNS0_10empty_typeEbEEZZNS1_14partition_implILS5_5ELb0ES3_mN6thrust23THRUST_200600_302600_NS6detail15normal_iteratorINSA_10device_ptrIyEEEEPS6_NSA_18transform_iteratorINSB_9not_fun_tI7is_trueIyEEENSC_INSD_IbEEEENSA_11use_defaultESO_EENS0_5tupleIJNSA_16discard_iteratorISO_EES6_EEENSQ_IJSG_SG_EEES6_PlJS6_EEE10hipError_tPvRmT3_T4_T5_T6_T7_T9_mT8_P12ihipStream_tbDpT10_ENKUlT_T0_E_clISt17integral_constantIbLb1EES1E_IbLb0EEEEDaS1A_S1B_EUlS1A_E_NS1_11comp_targetILNS1_3genE9ELNS1_11target_archE1100ELNS1_3gpuE3ELNS1_3repE0EEENS1_30default_config_static_selectorELNS0_4arch9wavefront6targetE0EEEvT1_.kd
    .uniform_work_group_size: 1
    .uses_dynamic_stack: false
    .vgpr_count:     0
    .vgpr_spill_count: 0
    .wavefront_size: 32
    .workgroup_processor_mode: 1
  - .args:
      - .offset:         0
        .size:           128
        .value_kind:     by_value
    .group_segment_fixed_size: 0
    .kernarg_segment_align: 8
    .kernarg_segment_size: 128
    .language:       OpenCL C
    .language_version:
      - 2
      - 0
    .max_flat_workgroup_size: 512
    .name:           _ZN7rocprim17ROCPRIM_400000_NS6detail17trampoline_kernelINS0_14default_configENS1_25partition_config_selectorILNS1_17partition_subalgoE5EyNS0_10empty_typeEbEEZZNS1_14partition_implILS5_5ELb0ES3_mN6thrust23THRUST_200600_302600_NS6detail15normal_iteratorINSA_10device_ptrIyEEEEPS6_NSA_18transform_iteratorINSB_9not_fun_tI7is_trueIyEEENSC_INSD_IbEEEENSA_11use_defaultESO_EENS0_5tupleIJNSA_16discard_iteratorISO_EES6_EEENSQ_IJSG_SG_EEES6_PlJS6_EEE10hipError_tPvRmT3_T4_T5_T6_T7_T9_mT8_P12ihipStream_tbDpT10_ENKUlT_T0_E_clISt17integral_constantIbLb1EES1E_IbLb0EEEEDaS1A_S1B_EUlS1A_E_NS1_11comp_targetILNS1_3genE8ELNS1_11target_archE1030ELNS1_3gpuE2ELNS1_3repE0EEENS1_30default_config_static_selectorELNS0_4arch9wavefront6targetE0EEEvT1_
    .private_segment_fixed_size: 0
    .sgpr_count:     0
    .sgpr_spill_count: 0
    .symbol:         _ZN7rocprim17ROCPRIM_400000_NS6detail17trampoline_kernelINS0_14default_configENS1_25partition_config_selectorILNS1_17partition_subalgoE5EyNS0_10empty_typeEbEEZZNS1_14partition_implILS5_5ELb0ES3_mN6thrust23THRUST_200600_302600_NS6detail15normal_iteratorINSA_10device_ptrIyEEEEPS6_NSA_18transform_iteratorINSB_9not_fun_tI7is_trueIyEEENSC_INSD_IbEEEENSA_11use_defaultESO_EENS0_5tupleIJNSA_16discard_iteratorISO_EES6_EEENSQ_IJSG_SG_EEES6_PlJS6_EEE10hipError_tPvRmT3_T4_T5_T6_T7_T9_mT8_P12ihipStream_tbDpT10_ENKUlT_T0_E_clISt17integral_constantIbLb1EES1E_IbLb0EEEEDaS1A_S1B_EUlS1A_E_NS1_11comp_targetILNS1_3genE8ELNS1_11target_archE1030ELNS1_3gpuE2ELNS1_3repE0EEENS1_30default_config_static_selectorELNS0_4arch9wavefront6targetE0EEEvT1_.kd
    .uniform_work_group_size: 1
    .uses_dynamic_stack: false
    .vgpr_count:     0
    .vgpr_spill_count: 0
    .wavefront_size: 32
    .workgroup_processor_mode: 1
  - .args:
      - .offset:         0
        .size:           144
        .value_kind:     by_value
    .group_segment_fixed_size: 0
    .kernarg_segment_align: 8
    .kernarg_segment_size: 144
    .language:       OpenCL C
    .language_version:
      - 2
      - 0
    .max_flat_workgroup_size: 128
    .name:           _ZN7rocprim17ROCPRIM_400000_NS6detail17trampoline_kernelINS0_14default_configENS1_25partition_config_selectorILNS1_17partition_subalgoE5EyNS0_10empty_typeEbEEZZNS1_14partition_implILS5_5ELb0ES3_mN6thrust23THRUST_200600_302600_NS6detail15normal_iteratorINSA_10device_ptrIyEEEEPS6_NSA_18transform_iteratorINSB_9not_fun_tI7is_trueIyEEENSC_INSD_IbEEEENSA_11use_defaultESO_EENS0_5tupleIJNSA_16discard_iteratorISO_EES6_EEENSQ_IJSG_SG_EEES6_PlJS6_EEE10hipError_tPvRmT3_T4_T5_T6_T7_T9_mT8_P12ihipStream_tbDpT10_ENKUlT_T0_E_clISt17integral_constantIbLb0EES1E_IbLb1EEEEDaS1A_S1B_EUlS1A_E_NS1_11comp_targetILNS1_3genE0ELNS1_11target_archE4294967295ELNS1_3gpuE0ELNS1_3repE0EEENS1_30default_config_static_selectorELNS0_4arch9wavefront6targetE0EEEvT1_
    .private_segment_fixed_size: 0
    .sgpr_count:     0
    .sgpr_spill_count: 0
    .symbol:         _ZN7rocprim17ROCPRIM_400000_NS6detail17trampoline_kernelINS0_14default_configENS1_25partition_config_selectorILNS1_17partition_subalgoE5EyNS0_10empty_typeEbEEZZNS1_14partition_implILS5_5ELb0ES3_mN6thrust23THRUST_200600_302600_NS6detail15normal_iteratorINSA_10device_ptrIyEEEEPS6_NSA_18transform_iteratorINSB_9not_fun_tI7is_trueIyEEENSC_INSD_IbEEEENSA_11use_defaultESO_EENS0_5tupleIJNSA_16discard_iteratorISO_EES6_EEENSQ_IJSG_SG_EEES6_PlJS6_EEE10hipError_tPvRmT3_T4_T5_T6_T7_T9_mT8_P12ihipStream_tbDpT10_ENKUlT_T0_E_clISt17integral_constantIbLb0EES1E_IbLb1EEEEDaS1A_S1B_EUlS1A_E_NS1_11comp_targetILNS1_3genE0ELNS1_11target_archE4294967295ELNS1_3gpuE0ELNS1_3repE0EEENS1_30default_config_static_selectorELNS0_4arch9wavefront6targetE0EEEvT1_.kd
    .uniform_work_group_size: 1
    .uses_dynamic_stack: false
    .vgpr_count:     0
    .vgpr_spill_count: 0
    .wavefront_size: 32
    .workgroup_processor_mode: 1
  - .args:
      - .offset:         0
        .size:           144
        .value_kind:     by_value
    .group_segment_fixed_size: 0
    .kernarg_segment_align: 8
    .kernarg_segment_size: 144
    .language:       OpenCL C
    .language_version:
      - 2
      - 0
    .max_flat_workgroup_size: 512
    .name:           _ZN7rocprim17ROCPRIM_400000_NS6detail17trampoline_kernelINS0_14default_configENS1_25partition_config_selectorILNS1_17partition_subalgoE5EyNS0_10empty_typeEbEEZZNS1_14partition_implILS5_5ELb0ES3_mN6thrust23THRUST_200600_302600_NS6detail15normal_iteratorINSA_10device_ptrIyEEEEPS6_NSA_18transform_iteratorINSB_9not_fun_tI7is_trueIyEEENSC_INSD_IbEEEENSA_11use_defaultESO_EENS0_5tupleIJNSA_16discard_iteratorISO_EES6_EEENSQ_IJSG_SG_EEES6_PlJS6_EEE10hipError_tPvRmT3_T4_T5_T6_T7_T9_mT8_P12ihipStream_tbDpT10_ENKUlT_T0_E_clISt17integral_constantIbLb0EES1E_IbLb1EEEEDaS1A_S1B_EUlS1A_E_NS1_11comp_targetILNS1_3genE5ELNS1_11target_archE942ELNS1_3gpuE9ELNS1_3repE0EEENS1_30default_config_static_selectorELNS0_4arch9wavefront6targetE0EEEvT1_
    .private_segment_fixed_size: 0
    .sgpr_count:     0
    .sgpr_spill_count: 0
    .symbol:         _ZN7rocprim17ROCPRIM_400000_NS6detail17trampoline_kernelINS0_14default_configENS1_25partition_config_selectorILNS1_17partition_subalgoE5EyNS0_10empty_typeEbEEZZNS1_14partition_implILS5_5ELb0ES3_mN6thrust23THRUST_200600_302600_NS6detail15normal_iteratorINSA_10device_ptrIyEEEEPS6_NSA_18transform_iteratorINSB_9not_fun_tI7is_trueIyEEENSC_INSD_IbEEEENSA_11use_defaultESO_EENS0_5tupleIJNSA_16discard_iteratorISO_EES6_EEENSQ_IJSG_SG_EEES6_PlJS6_EEE10hipError_tPvRmT3_T4_T5_T6_T7_T9_mT8_P12ihipStream_tbDpT10_ENKUlT_T0_E_clISt17integral_constantIbLb0EES1E_IbLb1EEEEDaS1A_S1B_EUlS1A_E_NS1_11comp_targetILNS1_3genE5ELNS1_11target_archE942ELNS1_3gpuE9ELNS1_3repE0EEENS1_30default_config_static_selectorELNS0_4arch9wavefront6targetE0EEEvT1_.kd
    .uniform_work_group_size: 1
    .uses_dynamic_stack: false
    .vgpr_count:     0
    .vgpr_spill_count: 0
    .wavefront_size: 32
    .workgroup_processor_mode: 1
  - .args:
      - .offset:         0
        .size:           144
        .value_kind:     by_value
    .group_segment_fixed_size: 0
    .kernarg_segment_align: 8
    .kernarg_segment_size: 144
    .language:       OpenCL C
    .language_version:
      - 2
      - 0
    .max_flat_workgroup_size: 192
    .name:           _ZN7rocprim17ROCPRIM_400000_NS6detail17trampoline_kernelINS0_14default_configENS1_25partition_config_selectorILNS1_17partition_subalgoE5EyNS0_10empty_typeEbEEZZNS1_14partition_implILS5_5ELb0ES3_mN6thrust23THRUST_200600_302600_NS6detail15normal_iteratorINSA_10device_ptrIyEEEEPS6_NSA_18transform_iteratorINSB_9not_fun_tI7is_trueIyEEENSC_INSD_IbEEEENSA_11use_defaultESO_EENS0_5tupleIJNSA_16discard_iteratorISO_EES6_EEENSQ_IJSG_SG_EEES6_PlJS6_EEE10hipError_tPvRmT3_T4_T5_T6_T7_T9_mT8_P12ihipStream_tbDpT10_ENKUlT_T0_E_clISt17integral_constantIbLb0EES1E_IbLb1EEEEDaS1A_S1B_EUlS1A_E_NS1_11comp_targetILNS1_3genE4ELNS1_11target_archE910ELNS1_3gpuE8ELNS1_3repE0EEENS1_30default_config_static_selectorELNS0_4arch9wavefront6targetE0EEEvT1_
    .private_segment_fixed_size: 0
    .sgpr_count:     0
    .sgpr_spill_count: 0
    .symbol:         _ZN7rocprim17ROCPRIM_400000_NS6detail17trampoline_kernelINS0_14default_configENS1_25partition_config_selectorILNS1_17partition_subalgoE5EyNS0_10empty_typeEbEEZZNS1_14partition_implILS5_5ELb0ES3_mN6thrust23THRUST_200600_302600_NS6detail15normal_iteratorINSA_10device_ptrIyEEEEPS6_NSA_18transform_iteratorINSB_9not_fun_tI7is_trueIyEEENSC_INSD_IbEEEENSA_11use_defaultESO_EENS0_5tupleIJNSA_16discard_iteratorISO_EES6_EEENSQ_IJSG_SG_EEES6_PlJS6_EEE10hipError_tPvRmT3_T4_T5_T6_T7_T9_mT8_P12ihipStream_tbDpT10_ENKUlT_T0_E_clISt17integral_constantIbLb0EES1E_IbLb1EEEEDaS1A_S1B_EUlS1A_E_NS1_11comp_targetILNS1_3genE4ELNS1_11target_archE910ELNS1_3gpuE8ELNS1_3repE0EEENS1_30default_config_static_selectorELNS0_4arch9wavefront6targetE0EEEvT1_.kd
    .uniform_work_group_size: 1
    .uses_dynamic_stack: false
    .vgpr_count:     0
    .vgpr_spill_count: 0
    .wavefront_size: 32
    .workgroup_processor_mode: 1
  - .args:
      - .offset:         0
        .size:           144
        .value_kind:     by_value
    .group_segment_fixed_size: 0
    .kernarg_segment_align: 8
    .kernarg_segment_size: 144
    .language:       OpenCL C
    .language_version:
      - 2
      - 0
    .max_flat_workgroup_size: 128
    .name:           _ZN7rocprim17ROCPRIM_400000_NS6detail17trampoline_kernelINS0_14default_configENS1_25partition_config_selectorILNS1_17partition_subalgoE5EyNS0_10empty_typeEbEEZZNS1_14partition_implILS5_5ELb0ES3_mN6thrust23THRUST_200600_302600_NS6detail15normal_iteratorINSA_10device_ptrIyEEEEPS6_NSA_18transform_iteratorINSB_9not_fun_tI7is_trueIyEEENSC_INSD_IbEEEENSA_11use_defaultESO_EENS0_5tupleIJNSA_16discard_iteratorISO_EES6_EEENSQ_IJSG_SG_EEES6_PlJS6_EEE10hipError_tPvRmT3_T4_T5_T6_T7_T9_mT8_P12ihipStream_tbDpT10_ENKUlT_T0_E_clISt17integral_constantIbLb0EES1E_IbLb1EEEEDaS1A_S1B_EUlS1A_E_NS1_11comp_targetILNS1_3genE3ELNS1_11target_archE908ELNS1_3gpuE7ELNS1_3repE0EEENS1_30default_config_static_selectorELNS0_4arch9wavefront6targetE0EEEvT1_
    .private_segment_fixed_size: 0
    .sgpr_count:     0
    .sgpr_spill_count: 0
    .symbol:         _ZN7rocprim17ROCPRIM_400000_NS6detail17trampoline_kernelINS0_14default_configENS1_25partition_config_selectorILNS1_17partition_subalgoE5EyNS0_10empty_typeEbEEZZNS1_14partition_implILS5_5ELb0ES3_mN6thrust23THRUST_200600_302600_NS6detail15normal_iteratorINSA_10device_ptrIyEEEEPS6_NSA_18transform_iteratorINSB_9not_fun_tI7is_trueIyEEENSC_INSD_IbEEEENSA_11use_defaultESO_EENS0_5tupleIJNSA_16discard_iteratorISO_EES6_EEENSQ_IJSG_SG_EEES6_PlJS6_EEE10hipError_tPvRmT3_T4_T5_T6_T7_T9_mT8_P12ihipStream_tbDpT10_ENKUlT_T0_E_clISt17integral_constantIbLb0EES1E_IbLb1EEEEDaS1A_S1B_EUlS1A_E_NS1_11comp_targetILNS1_3genE3ELNS1_11target_archE908ELNS1_3gpuE7ELNS1_3repE0EEENS1_30default_config_static_selectorELNS0_4arch9wavefront6targetE0EEEvT1_.kd
    .uniform_work_group_size: 1
    .uses_dynamic_stack: false
    .vgpr_count:     0
    .vgpr_spill_count: 0
    .wavefront_size: 32
    .workgroup_processor_mode: 1
  - .args:
      - .offset:         0
        .size:           144
        .value_kind:     by_value
    .group_segment_fixed_size: 0
    .kernarg_segment_align: 8
    .kernarg_segment_size: 144
    .language:       OpenCL C
    .language_version:
      - 2
      - 0
    .max_flat_workgroup_size: 256
    .name:           _ZN7rocprim17ROCPRIM_400000_NS6detail17trampoline_kernelINS0_14default_configENS1_25partition_config_selectorILNS1_17partition_subalgoE5EyNS0_10empty_typeEbEEZZNS1_14partition_implILS5_5ELb0ES3_mN6thrust23THRUST_200600_302600_NS6detail15normal_iteratorINSA_10device_ptrIyEEEEPS6_NSA_18transform_iteratorINSB_9not_fun_tI7is_trueIyEEENSC_INSD_IbEEEENSA_11use_defaultESO_EENS0_5tupleIJNSA_16discard_iteratorISO_EES6_EEENSQ_IJSG_SG_EEES6_PlJS6_EEE10hipError_tPvRmT3_T4_T5_T6_T7_T9_mT8_P12ihipStream_tbDpT10_ENKUlT_T0_E_clISt17integral_constantIbLb0EES1E_IbLb1EEEEDaS1A_S1B_EUlS1A_E_NS1_11comp_targetILNS1_3genE2ELNS1_11target_archE906ELNS1_3gpuE6ELNS1_3repE0EEENS1_30default_config_static_selectorELNS0_4arch9wavefront6targetE0EEEvT1_
    .private_segment_fixed_size: 0
    .sgpr_count:     0
    .sgpr_spill_count: 0
    .symbol:         _ZN7rocprim17ROCPRIM_400000_NS6detail17trampoline_kernelINS0_14default_configENS1_25partition_config_selectorILNS1_17partition_subalgoE5EyNS0_10empty_typeEbEEZZNS1_14partition_implILS5_5ELb0ES3_mN6thrust23THRUST_200600_302600_NS6detail15normal_iteratorINSA_10device_ptrIyEEEEPS6_NSA_18transform_iteratorINSB_9not_fun_tI7is_trueIyEEENSC_INSD_IbEEEENSA_11use_defaultESO_EENS0_5tupleIJNSA_16discard_iteratorISO_EES6_EEENSQ_IJSG_SG_EEES6_PlJS6_EEE10hipError_tPvRmT3_T4_T5_T6_T7_T9_mT8_P12ihipStream_tbDpT10_ENKUlT_T0_E_clISt17integral_constantIbLb0EES1E_IbLb1EEEEDaS1A_S1B_EUlS1A_E_NS1_11comp_targetILNS1_3genE2ELNS1_11target_archE906ELNS1_3gpuE6ELNS1_3repE0EEENS1_30default_config_static_selectorELNS0_4arch9wavefront6targetE0EEEvT1_.kd
    .uniform_work_group_size: 1
    .uses_dynamic_stack: false
    .vgpr_count:     0
    .vgpr_spill_count: 0
    .wavefront_size: 32
    .workgroup_processor_mode: 1
  - .args:
      - .offset:         0
        .size:           144
        .value_kind:     by_value
    .group_segment_fixed_size: 8464
    .kernarg_segment_align: 8
    .kernarg_segment_size: 144
    .language:       OpenCL C
    .language_version:
      - 2
      - 0
    .max_flat_workgroup_size: 256
    .name:           _ZN7rocprim17ROCPRIM_400000_NS6detail17trampoline_kernelINS0_14default_configENS1_25partition_config_selectorILNS1_17partition_subalgoE5EyNS0_10empty_typeEbEEZZNS1_14partition_implILS5_5ELb0ES3_mN6thrust23THRUST_200600_302600_NS6detail15normal_iteratorINSA_10device_ptrIyEEEEPS6_NSA_18transform_iteratorINSB_9not_fun_tI7is_trueIyEEENSC_INSD_IbEEEENSA_11use_defaultESO_EENS0_5tupleIJNSA_16discard_iteratorISO_EES6_EEENSQ_IJSG_SG_EEES6_PlJS6_EEE10hipError_tPvRmT3_T4_T5_T6_T7_T9_mT8_P12ihipStream_tbDpT10_ENKUlT_T0_E_clISt17integral_constantIbLb0EES1E_IbLb1EEEEDaS1A_S1B_EUlS1A_E_NS1_11comp_targetILNS1_3genE10ELNS1_11target_archE1200ELNS1_3gpuE4ELNS1_3repE0EEENS1_30default_config_static_selectorELNS0_4arch9wavefront6targetE0EEEvT1_
    .private_segment_fixed_size: 0
    .sgpr_count:     24
    .sgpr_spill_count: 0
    .symbol:         _ZN7rocprim17ROCPRIM_400000_NS6detail17trampoline_kernelINS0_14default_configENS1_25partition_config_selectorILNS1_17partition_subalgoE5EyNS0_10empty_typeEbEEZZNS1_14partition_implILS5_5ELb0ES3_mN6thrust23THRUST_200600_302600_NS6detail15normal_iteratorINSA_10device_ptrIyEEEEPS6_NSA_18transform_iteratorINSB_9not_fun_tI7is_trueIyEEENSC_INSD_IbEEEENSA_11use_defaultESO_EENS0_5tupleIJNSA_16discard_iteratorISO_EES6_EEENSQ_IJSG_SG_EEES6_PlJS6_EEE10hipError_tPvRmT3_T4_T5_T6_T7_T9_mT8_P12ihipStream_tbDpT10_ENKUlT_T0_E_clISt17integral_constantIbLb0EES1E_IbLb1EEEEDaS1A_S1B_EUlS1A_E_NS1_11comp_targetILNS1_3genE10ELNS1_11target_archE1200ELNS1_3gpuE4ELNS1_3repE0EEENS1_30default_config_static_selectorELNS0_4arch9wavefront6targetE0EEEvT1_.kd
    .uniform_work_group_size: 1
    .uses_dynamic_stack: false
    .vgpr_count:     47
    .vgpr_spill_count: 0
    .wavefront_size: 32
    .workgroup_processor_mode: 1
  - .args:
      - .offset:         0
        .size:           144
        .value_kind:     by_value
    .group_segment_fixed_size: 0
    .kernarg_segment_align: 8
    .kernarg_segment_size: 144
    .language:       OpenCL C
    .language_version:
      - 2
      - 0
    .max_flat_workgroup_size: 128
    .name:           _ZN7rocprim17ROCPRIM_400000_NS6detail17trampoline_kernelINS0_14default_configENS1_25partition_config_selectorILNS1_17partition_subalgoE5EyNS0_10empty_typeEbEEZZNS1_14partition_implILS5_5ELb0ES3_mN6thrust23THRUST_200600_302600_NS6detail15normal_iteratorINSA_10device_ptrIyEEEEPS6_NSA_18transform_iteratorINSB_9not_fun_tI7is_trueIyEEENSC_INSD_IbEEEENSA_11use_defaultESO_EENS0_5tupleIJNSA_16discard_iteratorISO_EES6_EEENSQ_IJSG_SG_EEES6_PlJS6_EEE10hipError_tPvRmT3_T4_T5_T6_T7_T9_mT8_P12ihipStream_tbDpT10_ENKUlT_T0_E_clISt17integral_constantIbLb0EES1E_IbLb1EEEEDaS1A_S1B_EUlS1A_E_NS1_11comp_targetILNS1_3genE9ELNS1_11target_archE1100ELNS1_3gpuE3ELNS1_3repE0EEENS1_30default_config_static_selectorELNS0_4arch9wavefront6targetE0EEEvT1_
    .private_segment_fixed_size: 0
    .sgpr_count:     0
    .sgpr_spill_count: 0
    .symbol:         _ZN7rocprim17ROCPRIM_400000_NS6detail17trampoline_kernelINS0_14default_configENS1_25partition_config_selectorILNS1_17partition_subalgoE5EyNS0_10empty_typeEbEEZZNS1_14partition_implILS5_5ELb0ES3_mN6thrust23THRUST_200600_302600_NS6detail15normal_iteratorINSA_10device_ptrIyEEEEPS6_NSA_18transform_iteratorINSB_9not_fun_tI7is_trueIyEEENSC_INSD_IbEEEENSA_11use_defaultESO_EENS0_5tupleIJNSA_16discard_iteratorISO_EES6_EEENSQ_IJSG_SG_EEES6_PlJS6_EEE10hipError_tPvRmT3_T4_T5_T6_T7_T9_mT8_P12ihipStream_tbDpT10_ENKUlT_T0_E_clISt17integral_constantIbLb0EES1E_IbLb1EEEEDaS1A_S1B_EUlS1A_E_NS1_11comp_targetILNS1_3genE9ELNS1_11target_archE1100ELNS1_3gpuE3ELNS1_3repE0EEENS1_30default_config_static_selectorELNS0_4arch9wavefront6targetE0EEEvT1_.kd
    .uniform_work_group_size: 1
    .uses_dynamic_stack: false
    .vgpr_count:     0
    .vgpr_spill_count: 0
    .wavefront_size: 32
    .workgroup_processor_mode: 1
  - .args:
      - .offset:         0
        .size:           144
        .value_kind:     by_value
    .group_segment_fixed_size: 0
    .kernarg_segment_align: 8
    .kernarg_segment_size: 144
    .language:       OpenCL C
    .language_version:
      - 2
      - 0
    .max_flat_workgroup_size: 512
    .name:           _ZN7rocprim17ROCPRIM_400000_NS6detail17trampoline_kernelINS0_14default_configENS1_25partition_config_selectorILNS1_17partition_subalgoE5EyNS0_10empty_typeEbEEZZNS1_14partition_implILS5_5ELb0ES3_mN6thrust23THRUST_200600_302600_NS6detail15normal_iteratorINSA_10device_ptrIyEEEEPS6_NSA_18transform_iteratorINSB_9not_fun_tI7is_trueIyEEENSC_INSD_IbEEEENSA_11use_defaultESO_EENS0_5tupleIJNSA_16discard_iteratorISO_EES6_EEENSQ_IJSG_SG_EEES6_PlJS6_EEE10hipError_tPvRmT3_T4_T5_T6_T7_T9_mT8_P12ihipStream_tbDpT10_ENKUlT_T0_E_clISt17integral_constantIbLb0EES1E_IbLb1EEEEDaS1A_S1B_EUlS1A_E_NS1_11comp_targetILNS1_3genE8ELNS1_11target_archE1030ELNS1_3gpuE2ELNS1_3repE0EEENS1_30default_config_static_selectorELNS0_4arch9wavefront6targetE0EEEvT1_
    .private_segment_fixed_size: 0
    .sgpr_count:     0
    .sgpr_spill_count: 0
    .symbol:         _ZN7rocprim17ROCPRIM_400000_NS6detail17trampoline_kernelINS0_14default_configENS1_25partition_config_selectorILNS1_17partition_subalgoE5EyNS0_10empty_typeEbEEZZNS1_14partition_implILS5_5ELb0ES3_mN6thrust23THRUST_200600_302600_NS6detail15normal_iteratorINSA_10device_ptrIyEEEEPS6_NSA_18transform_iteratorINSB_9not_fun_tI7is_trueIyEEENSC_INSD_IbEEEENSA_11use_defaultESO_EENS0_5tupleIJNSA_16discard_iteratorISO_EES6_EEENSQ_IJSG_SG_EEES6_PlJS6_EEE10hipError_tPvRmT3_T4_T5_T6_T7_T9_mT8_P12ihipStream_tbDpT10_ENKUlT_T0_E_clISt17integral_constantIbLb0EES1E_IbLb1EEEEDaS1A_S1B_EUlS1A_E_NS1_11comp_targetILNS1_3genE8ELNS1_11target_archE1030ELNS1_3gpuE2ELNS1_3repE0EEENS1_30default_config_static_selectorELNS0_4arch9wavefront6targetE0EEEvT1_.kd
    .uniform_work_group_size: 1
    .uses_dynamic_stack: false
    .vgpr_count:     0
    .vgpr_spill_count: 0
    .wavefront_size: 32
    .workgroup_processor_mode: 1
  - .args:
      - .offset:         0
        .size:           128
        .value_kind:     by_value
    .group_segment_fixed_size: 0
    .kernarg_segment_align: 8
    .kernarg_segment_size: 128
    .language:       OpenCL C
    .language_version:
      - 2
      - 0
    .max_flat_workgroup_size: 512
    .name:           _ZN7rocprim17ROCPRIM_400000_NS6detail17trampoline_kernelINS0_14default_configENS1_25partition_config_selectorILNS1_17partition_subalgoE5EjNS0_10empty_typeEbEEZZNS1_14partition_implILS5_5ELb0ES3_mN6thrust23THRUST_200600_302600_NS6detail15normal_iteratorINSA_10device_ptrIjEEEEPS6_NSA_18transform_iteratorINSB_9not_fun_tI7is_trueIjEEENSC_INSD_IbEEEENSA_11use_defaultESO_EENS0_5tupleIJNSA_16discard_iteratorISO_EES6_EEENSQ_IJSG_SG_EEES6_PlJS6_EEE10hipError_tPvRmT3_T4_T5_T6_T7_T9_mT8_P12ihipStream_tbDpT10_ENKUlT_T0_E_clISt17integral_constantIbLb0EES1F_EEDaS1A_S1B_EUlS1A_E_NS1_11comp_targetILNS1_3genE0ELNS1_11target_archE4294967295ELNS1_3gpuE0ELNS1_3repE0EEENS1_30default_config_static_selectorELNS0_4arch9wavefront6targetE0EEEvT1_
    .private_segment_fixed_size: 0
    .sgpr_count:     0
    .sgpr_spill_count: 0
    .symbol:         _ZN7rocprim17ROCPRIM_400000_NS6detail17trampoline_kernelINS0_14default_configENS1_25partition_config_selectorILNS1_17partition_subalgoE5EjNS0_10empty_typeEbEEZZNS1_14partition_implILS5_5ELb0ES3_mN6thrust23THRUST_200600_302600_NS6detail15normal_iteratorINSA_10device_ptrIjEEEEPS6_NSA_18transform_iteratorINSB_9not_fun_tI7is_trueIjEEENSC_INSD_IbEEEENSA_11use_defaultESO_EENS0_5tupleIJNSA_16discard_iteratorISO_EES6_EEENSQ_IJSG_SG_EEES6_PlJS6_EEE10hipError_tPvRmT3_T4_T5_T6_T7_T9_mT8_P12ihipStream_tbDpT10_ENKUlT_T0_E_clISt17integral_constantIbLb0EES1F_EEDaS1A_S1B_EUlS1A_E_NS1_11comp_targetILNS1_3genE0ELNS1_11target_archE4294967295ELNS1_3gpuE0ELNS1_3repE0EEENS1_30default_config_static_selectorELNS0_4arch9wavefront6targetE0EEEvT1_.kd
    .uniform_work_group_size: 1
    .uses_dynamic_stack: false
    .vgpr_count:     0
    .vgpr_spill_count: 0
    .wavefront_size: 32
    .workgroup_processor_mode: 1
  - .args:
      - .offset:         0
        .size:           128
        .value_kind:     by_value
    .group_segment_fixed_size: 0
    .kernarg_segment_align: 8
    .kernarg_segment_size: 128
    .language:       OpenCL C
    .language_version:
      - 2
      - 0
    .max_flat_workgroup_size: 512
    .name:           _ZN7rocprim17ROCPRIM_400000_NS6detail17trampoline_kernelINS0_14default_configENS1_25partition_config_selectorILNS1_17partition_subalgoE5EjNS0_10empty_typeEbEEZZNS1_14partition_implILS5_5ELb0ES3_mN6thrust23THRUST_200600_302600_NS6detail15normal_iteratorINSA_10device_ptrIjEEEEPS6_NSA_18transform_iteratorINSB_9not_fun_tI7is_trueIjEEENSC_INSD_IbEEEENSA_11use_defaultESO_EENS0_5tupleIJNSA_16discard_iteratorISO_EES6_EEENSQ_IJSG_SG_EEES6_PlJS6_EEE10hipError_tPvRmT3_T4_T5_T6_T7_T9_mT8_P12ihipStream_tbDpT10_ENKUlT_T0_E_clISt17integral_constantIbLb0EES1F_EEDaS1A_S1B_EUlS1A_E_NS1_11comp_targetILNS1_3genE5ELNS1_11target_archE942ELNS1_3gpuE9ELNS1_3repE0EEENS1_30default_config_static_selectorELNS0_4arch9wavefront6targetE0EEEvT1_
    .private_segment_fixed_size: 0
    .sgpr_count:     0
    .sgpr_spill_count: 0
    .symbol:         _ZN7rocprim17ROCPRIM_400000_NS6detail17trampoline_kernelINS0_14default_configENS1_25partition_config_selectorILNS1_17partition_subalgoE5EjNS0_10empty_typeEbEEZZNS1_14partition_implILS5_5ELb0ES3_mN6thrust23THRUST_200600_302600_NS6detail15normal_iteratorINSA_10device_ptrIjEEEEPS6_NSA_18transform_iteratorINSB_9not_fun_tI7is_trueIjEEENSC_INSD_IbEEEENSA_11use_defaultESO_EENS0_5tupleIJNSA_16discard_iteratorISO_EES6_EEENSQ_IJSG_SG_EEES6_PlJS6_EEE10hipError_tPvRmT3_T4_T5_T6_T7_T9_mT8_P12ihipStream_tbDpT10_ENKUlT_T0_E_clISt17integral_constantIbLb0EES1F_EEDaS1A_S1B_EUlS1A_E_NS1_11comp_targetILNS1_3genE5ELNS1_11target_archE942ELNS1_3gpuE9ELNS1_3repE0EEENS1_30default_config_static_selectorELNS0_4arch9wavefront6targetE0EEEvT1_.kd
    .uniform_work_group_size: 1
    .uses_dynamic_stack: false
    .vgpr_count:     0
    .vgpr_spill_count: 0
    .wavefront_size: 32
    .workgroup_processor_mode: 1
  - .args:
      - .offset:         0
        .size:           128
        .value_kind:     by_value
    .group_segment_fixed_size: 0
    .kernarg_segment_align: 8
    .kernarg_segment_size: 128
    .language:       OpenCL C
    .language_version:
      - 2
      - 0
    .max_flat_workgroup_size: 256
    .name:           _ZN7rocprim17ROCPRIM_400000_NS6detail17trampoline_kernelINS0_14default_configENS1_25partition_config_selectorILNS1_17partition_subalgoE5EjNS0_10empty_typeEbEEZZNS1_14partition_implILS5_5ELb0ES3_mN6thrust23THRUST_200600_302600_NS6detail15normal_iteratorINSA_10device_ptrIjEEEEPS6_NSA_18transform_iteratorINSB_9not_fun_tI7is_trueIjEEENSC_INSD_IbEEEENSA_11use_defaultESO_EENS0_5tupleIJNSA_16discard_iteratorISO_EES6_EEENSQ_IJSG_SG_EEES6_PlJS6_EEE10hipError_tPvRmT3_T4_T5_T6_T7_T9_mT8_P12ihipStream_tbDpT10_ENKUlT_T0_E_clISt17integral_constantIbLb0EES1F_EEDaS1A_S1B_EUlS1A_E_NS1_11comp_targetILNS1_3genE4ELNS1_11target_archE910ELNS1_3gpuE8ELNS1_3repE0EEENS1_30default_config_static_selectorELNS0_4arch9wavefront6targetE0EEEvT1_
    .private_segment_fixed_size: 0
    .sgpr_count:     0
    .sgpr_spill_count: 0
    .symbol:         _ZN7rocprim17ROCPRIM_400000_NS6detail17trampoline_kernelINS0_14default_configENS1_25partition_config_selectorILNS1_17partition_subalgoE5EjNS0_10empty_typeEbEEZZNS1_14partition_implILS5_5ELb0ES3_mN6thrust23THRUST_200600_302600_NS6detail15normal_iteratorINSA_10device_ptrIjEEEEPS6_NSA_18transform_iteratorINSB_9not_fun_tI7is_trueIjEEENSC_INSD_IbEEEENSA_11use_defaultESO_EENS0_5tupleIJNSA_16discard_iteratorISO_EES6_EEENSQ_IJSG_SG_EEES6_PlJS6_EEE10hipError_tPvRmT3_T4_T5_T6_T7_T9_mT8_P12ihipStream_tbDpT10_ENKUlT_T0_E_clISt17integral_constantIbLb0EES1F_EEDaS1A_S1B_EUlS1A_E_NS1_11comp_targetILNS1_3genE4ELNS1_11target_archE910ELNS1_3gpuE8ELNS1_3repE0EEENS1_30default_config_static_selectorELNS0_4arch9wavefront6targetE0EEEvT1_.kd
    .uniform_work_group_size: 1
    .uses_dynamic_stack: false
    .vgpr_count:     0
    .vgpr_spill_count: 0
    .wavefront_size: 32
    .workgroup_processor_mode: 1
  - .args:
      - .offset:         0
        .size:           128
        .value_kind:     by_value
    .group_segment_fixed_size: 0
    .kernarg_segment_align: 8
    .kernarg_segment_size: 128
    .language:       OpenCL C
    .language_version:
      - 2
      - 0
    .max_flat_workgroup_size: 512
    .name:           _ZN7rocprim17ROCPRIM_400000_NS6detail17trampoline_kernelINS0_14default_configENS1_25partition_config_selectorILNS1_17partition_subalgoE5EjNS0_10empty_typeEbEEZZNS1_14partition_implILS5_5ELb0ES3_mN6thrust23THRUST_200600_302600_NS6detail15normal_iteratorINSA_10device_ptrIjEEEEPS6_NSA_18transform_iteratorINSB_9not_fun_tI7is_trueIjEEENSC_INSD_IbEEEENSA_11use_defaultESO_EENS0_5tupleIJNSA_16discard_iteratorISO_EES6_EEENSQ_IJSG_SG_EEES6_PlJS6_EEE10hipError_tPvRmT3_T4_T5_T6_T7_T9_mT8_P12ihipStream_tbDpT10_ENKUlT_T0_E_clISt17integral_constantIbLb0EES1F_EEDaS1A_S1B_EUlS1A_E_NS1_11comp_targetILNS1_3genE3ELNS1_11target_archE908ELNS1_3gpuE7ELNS1_3repE0EEENS1_30default_config_static_selectorELNS0_4arch9wavefront6targetE0EEEvT1_
    .private_segment_fixed_size: 0
    .sgpr_count:     0
    .sgpr_spill_count: 0
    .symbol:         _ZN7rocprim17ROCPRIM_400000_NS6detail17trampoline_kernelINS0_14default_configENS1_25partition_config_selectorILNS1_17partition_subalgoE5EjNS0_10empty_typeEbEEZZNS1_14partition_implILS5_5ELb0ES3_mN6thrust23THRUST_200600_302600_NS6detail15normal_iteratorINSA_10device_ptrIjEEEEPS6_NSA_18transform_iteratorINSB_9not_fun_tI7is_trueIjEEENSC_INSD_IbEEEENSA_11use_defaultESO_EENS0_5tupleIJNSA_16discard_iteratorISO_EES6_EEENSQ_IJSG_SG_EEES6_PlJS6_EEE10hipError_tPvRmT3_T4_T5_T6_T7_T9_mT8_P12ihipStream_tbDpT10_ENKUlT_T0_E_clISt17integral_constantIbLb0EES1F_EEDaS1A_S1B_EUlS1A_E_NS1_11comp_targetILNS1_3genE3ELNS1_11target_archE908ELNS1_3gpuE7ELNS1_3repE0EEENS1_30default_config_static_selectorELNS0_4arch9wavefront6targetE0EEEvT1_.kd
    .uniform_work_group_size: 1
    .uses_dynamic_stack: false
    .vgpr_count:     0
    .vgpr_spill_count: 0
    .wavefront_size: 32
    .workgroup_processor_mode: 1
  - .args:
      - .offset:         0
        .size:           128
        .value_kind:     by_value
    .group_segment_fixed_size: 0
    .kernarg_segment_align: 8
    .kernarg_segment_size: 128
    .language:       OpenCL C
    .language_version:
      - 2
      - 0
    .max_flat_workgroup_size: 256
    .name:           _ZN7rocprim17ROCPRIM_400000_NS6detail17trampoline_kernelINS0_14default_configENS1_25partition_config_selectorILNS1_17partition_subalgoE5EjNS0_10empty_typeEbEEZZNS1_14partition_implILS5_5ELb0ES3_mN6thrust23THRUST_200600_302600_NS6detail15normal_iteratorINSA_10device_ptrIjEEEEPS6_NSA_18transform_iteratorINSB_9not_fun_tI7is_trueIjEEENSC_INSD_IbEEEENSA_11use_defaultESO_EENS0_5tupleIJNSA_16discard_iteratorISO_EES6_EEENSQ_IJSG_SG_EEES6_PlJS6_EEE10hipError_tPvRmT3_T4_T5_T6_T7_T9_mT8_P12ihipStream_tbDpT10_ENKUlT_T0_E_clISt17integral_constantIbLb0EES1F_EEDaS1A_S1B_EUlS1A_E_NS1_11comp_targetILNS1_3genE2ELNS1_11target_archE906ELNS1_3gpuE6ELNS1_3repE0EEENS1_30default_config_static_selectorELNS0_4arch9wavefront6targetE0EEEvT1_
    .private_segment_fixed_size: 0
    .sgpr_count:     0
    .sgpr_spill_count: 0
    .symbol:         _ZN7rocprim17ROCPRIM_400000_NS6detail17trampoline_kernelINS0_14default_configENS1_25partition_config_selectorILNS1_17partition_subalgoE5EjNS0_10empty_typeEbEEZZNS1_14partition_implILS5_5ELb0ES3_mN6thrust23THRUST_200600_302600_NS6detail15normal_iteratorINSA_10device_ptrIjEEEEPS6_NSA_18transform_iteratorINSB_9not_fun_tI7is_trueIjEEENSC_INSD_IbEEEENSA_11use_defaultESO_EENS0_5tupleIJNSA_16discard_iteratorISO_EES6_EEENSQ_IJSG_SG_EEES6_PlJS6_EEE10hipError_tPvRmT3_T4_T5_T6_T7_T9_mT8_P12ihipStream_tbDpT10_ENKUlT_T0_E_clISt17integral_constantIbLb0EES1F_EEDaS1A_S1B_EUlS1A_E_NS1_11comp_targetILNS1_3genE2ELNS1_11target_archE906ELNS1_3gpuE6ELNS1_3repE0EEENS1_30default_config_static_selectorELNS0_4arch9wavefront6targetE0EEEvT1_.kd
    .uniform_work_group_size: 1
    .uses_dynamic_stack: false
    .vgpr_count:     0
    .vgpr_spill_count: 0
    .wavefront_size: 32
    .workgroup_processor_mode: 1
  - .args:
      - .offset:         0
        .size:           128
        .value_kind:     by_value
    .group_segment_fixed_size: 6352
    .kernarg_segment_align: 8
    .kernarg_segment_size: 128
    .language:       OpenCL C
    .language_version:
      - 2
      - 0
    .max_flat_workgroup_size: 192
    .name:           _ZN7rocprim17ROCPRIM_400000_NS6detail17trampoline_kernelINS0_14default_configENS1_25partition_config_selectorILNS1_17partition_subalgoE5EjNS0_10empty_typeEbEEZZNS1_14partition_implILS5_5ELb0ES3_mN6thrust23THRUST_200600_302600_NS6detail15normal_iteratorINSA_10device_ptrIjEEEEPS6_NSA_18transform_iteratorINSB_9not_fun_tI7is_trueIjEEENSC_INSD_IbEEEENSA_11use_defaultESO_EENS0_5tupleIJNSA_16discard_iteratorISO_EES6_EEENSQ_IJSG_SG_EEES6_PlJS6_EEE10hipError_tPvRmT3_T4_T5_T6_T7_T9_mT8_P12ihipStream_tbDpT10_ENKUlT_T0_E_clISt17integral_constantIbLb0EES1F_EEDaS1A_S1B_EUlS1A_E_NS1_11comp_targetILNS1_3genE10ELNS1_11target_archE1200ELNS1_3gpuE4ELNS1_3repE0EEENS1_30default_config_static_selectorELNS0_4arch9wavefront6targetE0EEEvT1_
    .private_segment_fixed_size: 0
    .sgpr_count:     25
    .sgpr_spill_count: 0
    .symbol:         _ZN7rocprim17ROCPRIM_400000_NS6detail17trampoline_kernelINS0_14default_configENS1_25partition_config_selectorILNS1_17partition_subalgoE5EjNS0_10empty_typeEbEEZZNS1_14partition_implILS5_5ELb0ES3_mN6thrust23THRUST_200600_302600_NS6detail15normal_iteratorINSA_10device_ptrIjEEEEPS6_NSA_18transform_iteratorINSB_9not_fun_tI7is_trueIjEEENSC_INSD_IbEEEENSA_11use_defaultESO_EENS0_5tupleIJNSA_16discard_iteratorISO_EES6_EEENSQ_IJSG_SG_EEES6_PlJS6_EEE10hipError_tPvRmT3_T4_T5_T6_T7_T9_mT8_P12ihipStream_tbDpT10_ENKUlT_T0_E_clISt17integral_constantIbLb0EES1F_EEDaS1A_S1B_EUlS1A_E_NS1_11comp_targetILNS1_3genE10ELNS1_11target_archE1200ELNS1_3gpuE4ELNS1_3repE0EEENS1_30default_config_static_selectorELNS0_4arch9wavefront6targetE0EEEvT1_.kd
    .uniform_work_group_size: 1
    .uses_dynamic_stack: false
    .vgpr_count:     51
    .vgpr_spill_count: 0
    .wavefront_size: 32
    .workgroup_processor_mode: 1
  - .args:
      - .offset:         0
        .size:           128
        .value_kind:     by_value
    .group_segment_fixed_size: 0
    .kernarg_segment_align: 8
    .kernarg_segment_size: 128
    .language:       OpenCL C
    .language_version:
      - 2
      - 0
    .max_flat_workgroup_size: 128
    .name:           _ZN7rocprim17ROCPRIM_400000_NS6detail17trampoline_kernelINS0_14default_configENS1_25partition_config_selectorILNS1_17partition_subalgoE5EjNS0_10empty_typeEbEEZZNS1_14partition_implILS5_5ELb0ES3_mN6thrust23THRUST_200600_302600_NS6detail15normal_iteratorINSA_10device_ptrIjEEEEPS6_NSA_18transform_iteratorINSB_9not_fun_tI7is_trueIjEEENSC_INSD_IbEEEENSA_11use_defaultESO_EENS0_5tupleIJNSA_16discard_iteratorISO_EES6_EEENSQ_IJSG_SG_EEES6_PlJS6_EEE10hipError_tPvRmT3_T4_T5_T6_T7_T9_mT8_P12ihipStream_tbDpT10_ENKUlT_T0_E_clISt17integral_constantIbLb0EES1F_EEDaS1A_S1B_EUlS1A_E_NS1_11comp_targetILNS1_3genE9ELNS1_11target_archE1100ELNS1_3gpuE3ELNS1_3repE0EEENS1_30default_config_static_selectorELNS0_4arch9wavefront6targetE0EEEvT1_
    .private_segment_fixed_size: 0
    .sgpr_count:     0
    .sgpr_spill_count: 0
    .symbol:         _ZN7rocprim17ROCPRIM_400000_NS6detail17trampoline_kernelINS0_14default_configENS1_25partition_config_selectorILNS1_17partition_subalgoE5EjNS0_10empty_typeEbEEZZNS1_14partition_implILS5_5ELb0ES3_mN6thrust23THRUST_200600_302600_NS6detail15normal_iteratorINSA_10device_ptrIjEEEEPS6_NSA_18transform_iteratorINSB_9not_fun_tI7is_trueIjEEENSC_INSD_IbEEEENSA_11use_defaultESO_EENS0_5tupleIJNSA_16discard_iteratorISO_EES6_EEENSQ_IJSG_SG_EEES6_PlJS6_EEE10hipError_tPvRmT3_T4_T5_T6_T7_T9_mT8_P12ihipStream_tbDpT10_ENKUlT_T0_E_clISt17integral_constantIbLb0EES1F_EEDaS1A_S1B_EUlS1A_E_NS1_11comp_targetILNS1_3genE9ELNS1_11target_archE1100ELNS1_3gpuE3ELNS1_3repE0EEENS1_30default_config_static_selectorELNS0_4arch9wavefront6targetE0EEEvT1_.kd
    .uniform_work_group_size: 1
    .uses_dynamic_stack: false
    .vgpr_count:     0
    .vgpr_spill_count: 0
    .wavefront_size: 32
    .workgroup_processor_mode: 1
  - .args:
      - .offset:         0
        .size:           128
        .value_kind:     by_value
    .group_segment_fixed_size: 0
    .kernarg_segment_align: 8
    .kernarg_segment_size: 128
    .language:       OpenCL C
    .language_version:
      - 2
      - 0
    .max_flat_workgroup_size: 512
    .name:           _ZN7rocprim17ROCPRIM_400000_NS6detail17trampoline_kernelINS0_14default_configENS1_25partition_config_selectorILNS1_17partition_subalgoE5EjNS0_10empty_typeEbEEZZNS1_14partition_implILS5_5ELb0ES3_mN6thrust23THRUST_200600_302600_NS6detail15normal_iteratorINSA_10device_ptrIjEEEEPS6_NSA_18transform_iteratorINSB_9not_fun_tI7is_trueIjEEENSC_INSD_IbEEEENSA_11use_defaultESO_EENS0_5tupleIJNSA_16discard_iteratorISO_EES6_EEENSQ_IJSG_SG_EEES6_PlJS6_EEE10hipError_tPvRmT3_T4_T5_T6_T7_T9_mT8_P12ihipStream_tbDpT10_ENKUlT_T0_E_clISt17integral_constantIbLb0EES1F_EEDaS1A_S1B_EUlS1A_E_NS1_11comp_targetILNS1_3genE8ELNS1_11target_archE1030ELNS1_3gpuE2ELNS1_3repE0EEENS1_30default_config_static_selectorELNS0_4arch9wavefront6targetE0EEEvT1_
    .private_segment_fixed_size: 0
    .sgpr_count:     0
    .sgpr_spill_count: 0
    .symbol:         _ZN7rocprim17ROCPRIM_400000_NS6detail17trampoline_kernelINS0_14default_configENS1_25partition_config_selectorILNS1_17partition_subalgoE5EjNS0_10empty_typeEbEEZZNS1_14partition_implILS5_5ELb0ES3_mN6thrust23THRUST_200600_302600_NS6detail15normal_iteratorINSA_10device_ptrIjEEEEPS6_NSA_18transform_iteratorINSB_9not_fun_tI7is_trueIjEEENSC_INSD_IbEEEENSA_11use_defaultESO_EENS0_5tupleIJNSA_16discard_iteratorISO_EES6_EEENSQ_IJSG_SG_EEES6_PlJS6_EEE10hipError_tPvRmT3_T4_T5_T6_T7_T9_mT8_P12ihipStream_tbDpT10_ENKUlT_T0_E_clISt17integral_constantIbLb0EES1F_EEDaS1A_S1B_EUlS1A_E_NS1_11comp_targetILNS1_3genE8ELNS1_11target_archE1030ELNS1_3gpuE2ELNS1_3repE0EEENS1_30default_config_static_selectorELNS0_4arch9wavefront6targetE0EEEvT1_.kd
    .uniform_work_group_size: 1
    .uses_dynamic_stack: false
    .vgpr_count:     0
    .vgpr_spill_count: 0
    .wavefront_size: 32
    .workgroup_processor_mode: 1
  - .args:
      - .offset:         0
        .size:           144
        .value_kind:     by_value
    .group_segment_fixed_size: 0
    .kernarg_segment_align: 8
    .kernarg_segment_size: 144
    .language:       OpenCL C
    .language_version:
      - 2
      - 0
    .max_flat_workgroup_size: 512
    .name:           _ZN7rocprim17ROCPRIM_400000_NS6detail17trampoline_kernelINS0_14default_configENS1_25partition_config_selectorILNS1_17partition_subalgoE5EjNS0_10empty_typeEbEEZZNS1_14partition_implILS5_5ELb0ES3_mN6thrust23THRUST_200600_302600_NS6detail15normal_iteratorINSA_10device_ptrIjEEEEPS6_NSA_18transform_iteratorINSB_9not_fun_tI7is_trueIjEEENSC_INSD_IbEEEENSA_11use_defaultESO_EENS0_5tupleIJNSA_16discard_iteratorISO_EES6_EEENSQ_IJSG_SG_EEES6_PlJS6_EEE10hipError_tPvRmT3_T4_T5_T6_T7_T9_mT8_P12ihipStream_tbDpT10_ENKUlT_T0_E_clISt17integral_constantIbLb1EES1F_EEDaS1A_S1B_EUlS1A_E_NS1_11comp_targetILNS1_3genE0ELNS1_11target_archE4294967295ELNS1_3gpuE0ELNS1_3repE0EEENS1_30default_config_static_selectorELNS0_4arch9wavefront6targetE0EEEvT1_
    .private_segment_fixed_size: 0
    .sgpr_count:     0
    .sgpr_spill_count: 0
    .symbol:         _ZN7rocprim17ROCPRIM_400000_NS6detail17trampoline_kernelINS0_14default_configENS1_25partition_config_selectorILNS1_17partition_subalgoE5EjNS0_10empty_typeEbEEZZNS1_14partition_implILS5_5ELb0ES3_mN6thrust23THRUST_200600_302600_NS6detail15normal_iteratorINSA_10device_ptrIjEEEEPS6_NSA_18transform_iteratorINSB_9not_fun_tI7is_trueIjEEENSC_INSD_IbEEEENSA_11use_defaultESO_EENS0_5tupleIJNSA_16discard_iteratorISO_EES6_EEENSQ_IJSG_SG_EEES6_PlJS6_EEE10hipError_tPvRmT3_T4_T5_T6_T7_T9_mT8_P12ihipStream_tbDpT10_ENKUlT_T0_E_clISt17integral_constantIbLb1EES1F_EEDaS1A_S1B_EUlS1A_E_NS1_11comp_targetILNS1_3genE0ELNS1_11target_archE4294967295ELNS1_3gpuE0ELNS1_3repE0EEENS1_30default_config_static_selectorELNS0_4arch9wavefront6targetE0EEEvT1_.kd
    .uniform_work_group_size: 1
    .uses_dynamic_stack: false
    .vgpr_count:     0
    .vgpr_spill_count: 0
    .wavefront_size: 32
    .workgroup_processor_mode: 1
  - .args:
      - .offset:         0
        .size:           144
        .value_kind:     by_value
    .group_segment_fixed_size: 0
    .kernarg_segment_align: 8
    .kernarg_segment_size: 144
    .language:       OpenCL C
    .language_version:
      - 2
      - 0
    .max_flat_workgroup_size: 512
    .name:           _ZN7rocprim17ROCPRIM_400000_NS6detail17trampoline_kernelINS0_14default_configENS1_25partition_config_selectorILNS1_17partition_subalgoE5EjNS0_10empty_typeEbEEZZNS1_14partition_implILS5_5ELb0ES3_mN6thrust23THRUST_200600_302600_NS6detail15normal_iteratorINSA_10device_ptrIjEEEEPS6_NSA_18transform_iteratorINSB_9not_fun_tI7is_trueIjEEENSC_INSD_IbEEEENSA_11use_defaultESO_EENS0_5tupleIJNSA_16discard_iteratorISO_EES6_EEENSQ_IJSG_SG_EEES6_PlJS6_EEE10hipError_tPvRmT3_T4_T5_T6_T7_T9_mT8_P12ihipStream_tbDpT10_ENKUlT_T0_E_clISt17integral_constantIbLb1EES1F_EEDaS1A_S1B_EUlS1A_E_NS1_11comp_targetILNS1_3genE5ELNS1_11target_archE942ELNS1_3gpuE9ELNS1_3repE0EEENS1_30default_config_static_selectorELNS0_4arch9wavefront6targetE0EEEvT1_
    .private_segment_fixed_size: 0
    .sgpr_count:     0
    .sgpr_spill_count: 0
    .symbol:         _ZN7rocprim17ROCPRIM_400000_NS6detail17trampoline_kernelINS0_14default_configENS1_25partition_config_selectorILNS1_17partition_subalgoE5EjNS0_10empty_typeEbEEZZNS1_14partition_implILS5_5ELb0ES3_mN6thrust23THRUST_200600_302600_NS6detail15normal_iteratorINSA_10device_ptrIjEEEEPS6_NSA_18transform_iteratorINSB_9not_fun_tI7is_trueIjEEENSC_INSD_IbEEEENSA_11use_defaultESO_EENS0_5tupleIJNSA_16discard_iteratorISO_EES6_EEENSQ_IJSG_SG_EEES6_PlJS6_EEE10hipError_tPvRmT3_T4_T5_T6_T7_T9_mT8_P12ihipStream_tbDpT10_ENKUlT_T0_E_clISt17integral_constantIbLb1EES1F_EEDaS1A_S1B_EUlS1A_E_NS1_11comp_targetILNS1_3genE5ELNS1_11target_archE942ELNS1_3gpuE9ELNS1_3repE0EEENS1_30default_config_static_selectorELNS0_4arch9wavefront6targetE0EEEvT1_.kd
    .uniform_work_group_size: 1
    .uses_dynamic_stack: false
    .vgpr_count:     0
    .vgpr_spill_count: 0
    .wavefront_size: 32
    .workgroup_processor_mode: 1
  - .args:
      - .offset:         0
        .size:           144
        .value_kind:     by_value
    .group_segment_fixed_size: 0
    .kernarg_segment_align: 8
    .kernarg_segment_size: 144
    .language:       OpenCL C
    .language_version:
      - 2
      - 0
    .max_flat_workgroup_size: 256
    .name:           _ZN7rocprim17ROCPRIM_400000_NS6detail17trampoline_kernelINS0_14default_configENS1_25partition_config_selectorILNS1_17partition_subalgoE5EjNS0_10empty_typeEbEEZZNS1_14partition_implILS5_5ELb0ES3_mN6thrust23THRUST_200600_302600_NS6detail15normal_iteratorINSA_10device_ptrIjEEEEPS6_NSA_18transform_iteratorINSB_9not_fun_tI7is_trueIjEEENSC_INSD_IbEEEENSA_11use_defaultESO_EENS0_5tupleIJNSA_16discard_iteratorISO_EES6_EEENSQ_IJSG_SG_EEES6_PlJS6_EEE10hipError_tPvRmT3_T4_T5_T6_T7_T9_mT8_P12ihipStream_tbDpT10_ENKUlT_T0_E_clISt17integral_constantIbLb1EES1F_EEDaS1A_S1B_EUlS1A_E_NS1_11comp_targetILNS1_3genE4ELNS1_11target_archE910ELNS1_3gpuE8ELNS1_3repE0EEENS1_30default_config_static_selectorELNS0_4arch9wavefront6targetE0EEEvT1_
    .private_segment_fixed_size: 0
    .sgpr_count:     0
    .sgpr_spill_count: 0
    .symbol:         _ZN7rocprim17ROCPRIM_400000_NS6detail17trampoline_kernelINS0_14default_configENS1_25partition_config_selectorILNS1_17partition_subalgoE5EjNS0_10empty_typeEbEEZZNS1_14partition_implILS5_5ELb0ES3_mN6thrust23THRUST_200600_302600_NS6detail15normal_iteratorINSA_10device_ptrIjEEEEPS6_NSA_18transform_iteratorINSB_9not_fun_tI7is_trueIjEEENSC_INSD_IbEEEENSA_11use_defaultESO_EENS0_5tupleIJNSA_16discard_iteratorISO_EES6_EEENSQ_IJSG_SG_EEES6_PlJS6_EEE10hipError_tPvRmT3_T4_T5_T6_T7_T9_mT8_P12ihipStream_tbDpT10_ENKUlT_T0_E_clISt17integral_constantIbLb1EES1F_EEDaS1A_S1B_EUlS1A_E_NS1_11comp_targetILNS1_3genE4ELNS1_11target_archE910ELNS1_3gpuE8ELNS1_3repE0EEENS1_30default_config_static_selectorELNS0_4arch9wavefront6targetE0EEEvT1_.kd
    .uniform_work_group_size: 1
    .uses_dynamic_stack: false
    .vgpr_count:     0
    .vgpr_spill_count: 0
    .wavefront_size: 32
    .workgroup_processor_mode: 1
  - .args:
      - .offset:         0
        .size:           144
        .value_kind:     by_value
    .group_segment_fixed_size: 0
    .kernarg_segment_align: 8
    .kernarg_segment_size: 144
    .language:       OpenCL C
    .language_version:
      - 2
      - 0
    .max_flat_workgroup_size: 512
    .name:           _ZN7rocprim17ROCPRIM_400000_NS6detail17trampoline_kernelINS0_14default_configENS1_25partition_config_selectorILNS1_17partition_subalgoE5EjNS0_10empty_typeEbEEZZNS1_14partition_implILS5_5ELb0ES3_mN6thrust23THRUST_200600_302600_NS6detail15normal_iteratorINSA_10device_ptrIjEEEEPS6_NSA_18transform_iteratorINSB_9not_fun_tI7is_trueIjEEENSC_INSD_IbEEEENSA_11use_defaultESO_EENS0_5tupleIJNSA_16discard_iteratorISO_EES6_EEENSQ_IJSG_SG_EEES6_PlJS6_EEE10hipError_tPvRmT3_T4_T5_T6_T7_T9_mT8_P12ihipStream_tbDpT10_ENKUlT_T0_E_clISt17integral_constantIbLb1EES1F_EEDaS1A_S1B_EUlS1A_E_NS1_11comp_targetILNS1_3genE3ELNS1_11target_archE908ELNS1_3gpuE7ELNS1_3repE0EEENS1_30default_config_static_selectorELNS0_4arch9wavefront6targetE0EEEvT1_
    .private_segment_fixed_size: 0
    .sgpr_count:     0
    .sgpr_spill_count: 0
    .symbol:         _ZN7rocprim17ROCPRIM_400000_NS6detail17trampoline_kernelINS0_14default_configENS1_25partition_config_selectorILNS1_17partition_subalgoE5EjNS0_10empty_typeEbEEZZNS1_14partition_implILS5_5ELb0ES3_mN6thrust23THRUST_200600_302600_NS6detail15normal_iteratorINSA_10device_ptrIjEEEEPS6_NSA_18transform_iteratorINSB_9not_fun_tI7is_trueIjEEENSC_INSD_IbEEEENSA_11use_defaultESO_EENS0_5tupleIJNSA_16discard_iteratorISO_EES6_EEENSQ_IJSG_SG_EEES6_PlJS6_EEE10hipError_tPvRmT3_T4_T5_T6_T7_T9_mT8_P12ihipStream_tbDpT10_ENKUlT_T0_E_clISt17integral_constantIbLb1EES1F_EEDaS1A_S1B_EUlS1A_E_NS1_11comp_targetILNS1_3genE3ELNS1_11target_archE908ELNS1_3gpuE7ELNS1_3repE0EEENS1_30default_config_static_selectorELNS0_4arch9wavefront6targetE0EEEvT1_.kd
    .uniform_work_group_size: 1
    .uses_dynamic_stack: false
    .vgpr_count:     0
    .vgpr_spill_count: 0
    .wavefront_size: 32
    .workgroup_processor_mode: 1
  - .args:
      - .offset:         0
        .size:           144
        .value_kind:     by_value
    .group_segment_fixed_size: 0
    .kernarg_segment_align: 8
    .kernarg_segment_size: 144
    .language:       OpenCL C
    .language_version:
      - 2
      - 0
    .max_flat_workgroup_size: 256
    .name:           _ZN7rocprim17ROCPRIM_400000_NS6detail17trampoline_kernelINS0_14default_configENS1_25partition_config_selectorILNS1_17partition_subalgoE5EjNS0_10empty_typeEbEEZZNS1_14partition_implILS5_5ELb0ES3_mN6thrust23THRUST_200600_302600_NS6detail15normal_iteratorINSA_10device_ptrIjEEEEPS6_NSA_18transform_iteratorINSB_9not_fun_tI7is_trueIjEEENSC_INSD_IbEEEENSA_11use_defaultESO_EENS0_5tupleIJNSA_16discard_iteratorISO_EES6_EEENSQ_IJSG_SG_EEES6_PlJS6_EEE10hipError_tPvRmT3_T4_T5_T6_T7_T9_mT8_P12ihipStream_tbDpT10_ENKUlT_T0_E_clISt17integral_constantIbLb1EES1F_EEDaS1A_S1B_EUlS1A_E_NS1_11comp_targetILNS1_3genE2ELNS1_11target_archE906ELNS1_3gpuE6ELNS1_3repE0EEENS1_30default_config_static_selectorELNS0_4arch9wavefront6targetE0EEEvT1_
    .private_segment_fixed_size: 0
    .sgpr_count:     0
    .sgpr_spill_count: 0
    .symbol:         _ZN7rocprim17ROCPRIM_400000_NS6detail17trampoline_kernelINS0_14default_configENS1_25partition_config_selectorILNS1_17partition_subalgoE5EjNS0_10empty_typeEbEEZZNS1_14partition_implILS5_5ELb0ES3_mN6thrust23THRUST_200600_302600_NS6detail15normal_iteratorINSA_10device_ptrIjEEEEPS6_NSA_18transform_iteratorINSB_9not_fun_tI7is_trueIjEEENSC_INSD_IbEEEENSA_11use_defaultESO_EENS0_5tupleIJNSA_16discard_iteratorISO_EES6_EEENSQ_IJSG_SG_EEES6_PlJS6_EEE10hipError_tPvRmT3_T4_T5_T6_T7_T9_mT8_P12ihipStream_tbDpT10_ENKUlT_T0_E_clISt17integral_constantIbLb1EES1F_EEDaS1A_S1B_EUlS1A_E_NS1_11comp_targetILNS1_3genE2ELNS1_11target_archE906ELNS1_3gpuE6ELNS1_3repE0EEENS1_30default_config_static_selectorELNS0_4arch9wavefront6targetE0EEEvT1_.kd
    .uniform_work_group_size: 1
    .uses_dynamic_stack: false
    .vgpr_count:     0
    .vgpr_spill_count: 0
    .wavefront_size: 32
    .workgroup_processor_mode: 1
  - .args:
      - .offset:         0
        .size:           144
        .value_kind:     by_value
    .group_segment_fixed_size: 0
    .kernarg_segment_align: 8
    .kernarg_segment_size: 144
    .language:       OpenCL C
    .language_version:
      - 2
      - 0
    .max_flat_workgroup_size: 192
    .name:           _ZN7rocprim17ROCPRIM_400000_NS6detail17trampoline_kernelINS0_14default_configENS1_25partition_config_selectorILNS1_17partition_subalgoE5EjNS0_10empty_typeEbEEZZNS1_14partition_implILS5_5ELb0ES3_mN6thrust23THRUST_200600_302600_NS6detail15normal_iteratorINSA_10device_ptrIjEEEEPS6_NSA_18transform_iteratorINSB_9not_fun_tI7is_trueIjEEENSC_INSD_IbEEEENSA_11use_defaultESO_EENS0_5tupleIJNSA_16discard_iteratorISO_EES6_EEENSQ_IJSG_SG_EEES6_PlJS6_EEE10hipError_tPvRmT3_T4_T5_T6_T7_T9_mT8_P12ihipStream_tbDpT10_ENKUlT_T0_E_clISt17integral_constantIbLb1EES1F_EEDaS1A_S1B_EUlS1A_E_NS1_11comp_targetILNS1_3genE10ELNS1_11target_archE1200ELNS1_3gpuE4ELNS1_3repE0EEENS1_30default_config_static_selectorELNS0_4arch9wavefront6targetE0EEEvT1_
    .private_segment_fixed_size: 0
    .sgpr_count:     0
    .sgpr_spill_count: 0
    .symbol:         _ZN7rocprim17ROCPRIM_400000_NS6detail17trampoline_kernelINS0_14default_configENS1_25partition_config_selectorILNS1_17partition_subalgoE5EjNS0_10empty_typeEbEEZZNS1_14partition_implILS5_5ELb0ES3_mN6thrust23THRUST_200600_302600_NS6detail15normal_iteratorINSA_10device_ptrIjEEEEPS6_NSA_18transform_iteratorINSB_9not_fun_tI7is_trueIjEEENSC_INSD_IbEEEENSA_11use_defaultESO_EENS0_5tupleIJNSA_16discard_iteratorISO_EES6_EEENSQ_IJSG_SG_EEES6_PlJS6_EEE10hipError_tPvRmT3_T4_T5_T6_T7_T9_mT8_P12ihipStream_tbDpT10_ENKUlT_T0_E_clISt17integral_constantIbLb1EES1F_EEDaS1A_S1B_EUlS1A_E_NS1_11comp_targetILNS1_3genE10ELNS1_11target_archE1200ELNS1_3gpuE4ELNS1_3repE0EEENS1_30default_config_static_selectorELNS0_4arch9wavefront6targetE0EEEvT1_.kd
    .uniform_work_group_size: 1
    .uses_dynamic_stack: false
    .vgpr_count:     0
    .vgpr_spill_count: 0
    .wavefront_size: 32
    .workgroup_processor_mode: 1
  - .args:
      - .offset:         0
        .size:           144
        .value_kind:     by_value
    .group_segment_fixed_size: 0
    .kernarg_segment_align: 8
    .kernarg_segment_size: 144
    .language:       OpenCL C
    .language_version:
      - 2
      - 0
    .max_flat_workgroup_size: 128
    .name:           _ZN7rocprim17ROCPRIM_400000_NS6detail17trampoline_kernelINS0_14default_configENS1_25partition_config_selectorILNS1_17partition_subalgoE5EjNS0_10empty_typeEbEEZZNS1_14partition_implILS5_5ELb0ES3_mN6thrust23THRUST_200600_302600_NS6detail15normal_iteratorINSA_10device_ptrIjEEEEPS6_NSA_18transform_iteratorINSB_9not_fun_tI7is_trueIjEEENSC_INSD_IbEEEENSA_11use_defaultESO_EENS0_5tupleIJNSA_16discard_iteratorISO_EES6_EEENSQ_IJSG_SG_EEES6_PlJS6_EEE10hipError_tPvRmT3_T4_T5_T6_T7_T9_mT8_P12ihipStream_tbDpT10_ENKUlT_T0_E_clISt17integral_constantIbLb1EES1F_EEDaS1A_S1B_EUlS1A_E_NS1_11comp_targetILNS1_3genE9ELNS1_11target_archE1100ELNS1_3gpuE3ELNS1_3repE0EEENS1_30default_config_static_selectorELNS0_4arch9wavefront6targetE0EEEvT1_
    .private_segment_fixed_size: 0
    .sgpr_count:     0
    .sgpr_spill_count: 0
    .symbol:         _ZN7rocprim17ROCPRIM_400000_NS6detail17trampoline_kernelINS0_14default_configENS1_25partition_config_selectorILNS1_17partition_subalgoE5EjNS0_10empty_typeEbEEZZNS1_14partition_implILS5_5ELb0ES3_mN6thrust23THRUST_200600_302600_NS6detail15normal_iteratorINSA_10device_ptrIjEEEEPS6_NSA_18transform_iteratorINSB_9not_fun_tI7is_trueIjEEENSC_INSD_IbEEEENSA_11use_defaultESO_EENS0_5tupleIJNSA_16discard_iteratorISO_EES6_EEENSQ_IJSG_SG_EEES6_PlJS6_EEE10hipError_tPvRmT3_T4_T5_T6_T7_T9_mT8_P12ihipStream_tbDpT10_ENKUlT_T0_E_clISt17integral_constantIbLb1EES1F_EEDaS1A_S1B_EUlS1A_E_NS1_11comp_targetILNS1_3genE9ELNS1_11target_archE1100ELNS1_3gpuE3ELNS1_3repE0EEENS1_30default_config_static_selectorELNS0_4arch9wavefront6targetE0EEEvT1_.kd
    .uniform_work_group_size: 1
    .uses_dynamic_stack: false
    .vgpr_count:     0
    .vgpr_spill_count: 0
    .wavefront_size: 32
    .workgroup_processor_mode: 1
  - .args:
      - .offset:         0
        .size:           144
        .value_kind:     by_value
    .group_segment_fixed_size: 0
    .kernarg_segment_align: 8
    .kernarg_segment_size: 144
    .language:       OpenCL C
    .language_version:
      - 2
      - 0
    .max_flat_workgroup_size: 512
    .name:           _ZN7rocprim17ROCPRIM_400000_NS6detail17trampoline_kernelINS0_14default_configENS1_25partition_config_selectorILNS1_17partition_subalgoE5EjNS0_10empty_typeEbEEZZNS1_14partition_implILS5_5ELb0ES3_mN6thrust23THRUST_200600_302600_NS6detail15normal_iteratorINSA_10device_ptrIjEEEEPS6_NSA_18transform_iteratorINSB_9not_fun_tI7is_trueIjEEENSC_INSD_IbEEEENSA_11use_defaultESO_EENS0_5tupleIJNSA_16discard_iteratorISO_EES6_EEENSQ_IJSG_SG_EEES6_PlJS6_EEE10hipError_tPvRmT3_T4_T5_T6_T7_T9_mT8_P12ihipStream_tbDpT10_ENKUlT_T0_E_clISt17integral_constantIbLb1EES1F_EEDaS1A_S1B_EUlS1A_E_NS1_11comp_targetILNS1_3genE8ELNS1_11target_archE1030ELNS1_3gpuE2ELNS1_3repE0EEENS1_30default_config_static_selectorELNS0_4arch9wavefront6targetE0EEEvT1_
    .private_segment_fixed_size: 0
    .sgpr_count:     0
    .sgpr_spill_count: 0
    .symbol:         _ZN7rocprim17ROCPRIM_400000_NS6detail17trampoline_kernelINS0_14default_configENS1_25partition_config_selectorILNS1_17partition_subalgoE5EjNS0_10empty_typeEbEEZZNS1_14partition_implILS5_5ELb0ES3_mN6thrust23THRUST_200600_302600_NS6detail15normal_iteratorINSA_10device_ptrIjEEEEPS6_NSA_18transform_iteratorINSB_9not_fun_tI7is_trueIjEEENSC_INSD_IbEEEENSA_11use_defaultESO_EENS0_5tupleIJNSA_16discard_iteratorISO_EES6_EEENSQ_IJSG_SG_EEES6_PlJS6_EEE10hipError_tPvRmT3_T4_T5_T6_T7_T9_mT8_P12ihipStream_tbDpT10_ENKUlT_T0_E_clISt17integral_constantIbLb1EES1F_EEDaS1A_S1B_EUlS1A_E_NS1_11comp_targetILNS1_3genE8ELNS1_11target_archE1030ELNS1_3gpuE2ELNS1_3repE0EEENS1_30default_config_static_selectorELNS0_4arch9wavefront6targetE0EEEvT1_.kd
    .uniform_work_group_size: 1
    .uses_dynamic_stack: false
    .vgpr_count:     0
    .vgpr_spill_count: 0
    .wavefront_size: 32
    .workgroup_processor_mode: 1
  - .args:
      - .offset:         0
        .size:           128
        .value_kind:     by_value
    .group_segment_fixed_size: 0
    .kernarg_segment_align: 8
    .kernarg_segment_size: 128
    .language:       OpenCL C
    .language_version:
      - 2
      - 0
    .max_flat_workgroup_size: 512
    .name:           _ZN7rocprim17ROCPRIM_400000_NS6detail17trampoline_kernelINS0_14default_configENS1_25partition_config_selectorILNS1_17partition_subalgoE5EjNS0_10empty_typeEbEEZZNS1_14partition_implILS5_5ELb0ES3_mN6thrust23THRUST_200600_302600_NS6detail15normal_iteratorINSA_10device_ptrIjEEEEPS6_NSA_18transform_iteratorINSB_9not_fun_tI7is_trueIjEEENSC_INSD_IbEEEENSA_11use_defaultESO_EENS0_5tupleIJNSA_16discard_iteratorISO_EES6_EEENSQ_IJSG_SG_EEES6_PlJS6_EEE10hipError_tPvRmT3_T4_T5_T6_T7_T9_mT8_P12ihipStream_tbDpT10_ENKUlT_T0_E_clISt17integral_constantIbLb1EES1E_IbLb0EEEEDaS1A_S1B_EUlS1A_E_NS1_11comp_targetILNS1_3genE0ELNS1_11target_archE4294967295ELNS1_3gpuE0ELNS1_3repE0EEENS1_30default_config_static_selectorELNS0_4arch9wavefront6targetE0EEEvT1_
    .private_segment_fixed_size: 0
    .sgpr_count:     0
    .sgpr_spill_count: 0
    .symbol:         _ZN7rocprim17ROCPRIM_400000_NS6detail17trampoline_kernelINS0_14default_configENS1_25partition_config_selectorILNS1_17partition_subalgoE5EjNS0_10empty_typeEbEEZZNS1_14partition_implILS5_5ELb0ES3_mN6thrust23THRUST_200600_302600_NS6detail15normal_iteratorINSA_10device_ptrIjEEEEPS6_NSA_18transform_iteratorINSB_9not_fun_tI7is_trueIjEEENSC_INSD_IbEEEENSA_11use_defaultESO_EENS0_5tupleIJNSA_16discard_iteratorISO_EES6_EEENSQ_IJSG_SG_EEES6_PlJS6_EEE10hipError_tPvRmT3_T4_T5_T6_T7_T9_mT8_P12ihipStream_tbDpT10_ENKUlT_T0_E_clISt17integral_constantIbLb1EES1E_IbLb0EEEEDaS1A_S1B_EUlS1A_E_NS1_11comp_targetILNS1_3genE0ELNS1_11target_archE4294967295ELNS1_3gpuE0ELNS1_3repE0EEENS1_30default_config_static_selectorELNS0_4arch9wavefront6targetE0EEEvT1_.kd
    .uniform_work_group_size: 1
    .uses_dynamic_stack: false
    .vgpr_count:     0
    .vgpr_spill_count: 0
    .wavefront_size: 32
    .workgroup_processor_mode: 1
  - .args:
      - .offset:         0
        .size:           128
        .value_kind:     by_value
    .group_segment_fixed_size: 0
    .kernarg_segment_align: 8
    .kernarg_segment_size: 128
    .language:       OpenCL C
    .language_version:
      - 2
      - 0
    .max_flat_workgroup_size: 512
    .name:           _ZN7rocprim17ROCPRIM_400000_NS6detail17trampoline_kernelINS0_14default_configENS1_25partition_config_selectorILNS1_17partition_subalgoE5EjNS0_10empty_typeEbEEZZNS1_14partition_implILS5_5ELb0ES3_mN6thrust23THRUST_200600_302600_NS6detail15normal_iteratorINSA_10device_ptrIjEEEEPS6_NSA_18transform_iteratorINSB_9not_fun_tI7is_trueIjEEENSC_INSD_IbEEEENSA_11use_defaultESO_EENS0_5tupleIJNSA_16discard_iteratorISO_EES6_EEENSQ_IJSG_SG_EEES6_PlJS6_EEE10hipError_tPvRmT3_T4_T5_T6_T7_T9_mT8_P12ihipStream_tbDpT10_ENKUlT_T0_E_clISt17integral_constantIbLb1EES1E_IbLb0EEEEDaS1A_S1B_EUlS1A_E_NS1_11comp_targetILNS1_3genE5ELNS1_11target_archE942ELNS1_3gpuE9ELNS1_3repE0EEENS1_30default_config_static_selectorELNS0_4arch9wavefront6targetE0EEEvT1_
    .private_segment_fixed_size: 0
    .sgpr_count:     0
    .sgpr_spill_count: 0
    .symbol:         _ZN7rocprim17ROCPRIM_400000_NS6detail17trampoline_kernelINS0_14default_configENS1_25partition_config_selectorILNS1_17partition_subalgoE5EjNS0_10empty_typeEbEEZZNS1_14partition_implILS5_5ELb0ES3_mN6thrust23THRUST_200600_302600_NS6detail15normal_iteratorINSA_10device_ptrIjEEEEPS6_NSA_18transform_iteratorINSB_9not_fun_tI7is_trueIjEEENSC_INSD_IbEEEENSA_11use_defaultESO_EENS0_5tupleIJNSA_16discard_iteratorISO_EES6_EEENSQ_IJSG_SG_EEES6_PlJS6_EEE10hipError_tPvRmT3_T4_T5_T6_T7_T9_mT8_P12ihipStream_tbDpT10_ENKUlT_T0_E_clISt17integral_constantIbLb1EES1E_IbLb0EEEEDaS1A_S1B_EUlS1A_E_NS1_11comp_targetILNS1_3genE5ELNS1_11target_archE942ELNS1_3gpuE9ELNS1_3repE0EEENS1_30default_config_static_selectorELNS0_4arch9wavefront6targetE0EEEvT1_.kd
    .uniform_work_group_size: 1
    .uses_dynamic_stack: false
    .vgpr_count:     0
    .vgpr_spill_count: 0
    .wavefront_size: 32
    .workgroup_processor_mode: 1
  - .args:
      - .offset:         0
        .size:           128
        .value_kind:     by_value
    .group_segment_fixed_size: 0
    .kernarg_segment_align: 8
    .kernarg_segment_size: 128
    .language:       OpenCL C
    .language_version:
      - 2
      - 0
    .max_flat_workgroup_size: 256
    .name:           _ZN7rocprim17ROCPRIM_400000_NS6detail17trampoline_kernelINS0_14default_configENS1_25partition_config_selectorILNS1_17partition_subalgoE5EjNS0_10empty_typeEbEEZZNS1_14partition_implILS5_5ELb0ES3_mN6thrust23THRUST_200600_302600_NS6detail15normal_iteratorINSA_10device_ptrIjEEEEPS6_NSA_18transform_iteratorINSB_9not_fun_tI7is_trueIjEEENSC_INSD_IbEEEENSA_11use_defaultESO_EENS0_5tupleIJNSA_16discard_iteratorISO_EES6_EEENSQ_IJSG_SG_EEES6_PlJS6_EEE10hipError_tPvRmT3_T4_T5_T6_T7_T9_mT8_P12ihipStream_tbDpT10_ENKUlT_T0_E_clISt17integral_constantIbLb1EES1E_IbLb0EEEEDaS1A_S1B_EUlS1A_E_NS1_11comp_targetILNS1_3genE4ELNS1_11target_archE910ELNS1_3gpuE8ELNS1_3repE0EEENS1_30default_config_static_selectorELNS0_4arch9wavefront6targetE0EEEvT1_
    .private_segment_fixed_size: 0
    .sgpr_count:     0
    .sgpr_spill_count: 0
    .symbol:         _ZN7rocprim17ROCPRIM_400000_NS6detail17trampoline_kernelINS0_14default_configENS1_25partition_config_selectorILNS1_17partition_subalgoE5EjNS0_10empty_typeEbEEZZNS1_14partition_implILS5_5ELb0ES3_mN6thrust23THRUST_200600_302600_NS6detail15normal_iteratorINSA_10device_ptrIjEEEEPS6_NSA_18transform_iteratorINSB_9not_fun_tI7is_trueIjEEENSC_INSD_IbEEEENSA_11use_defaultESO_EENS0_5tupleIJNSA_16discard_iteratorISO_EES6_EEENSQ_IJSG_SG_EEES6_PlJS6_EEE10hipError_tPvRmT3_T4_T5_T6_T7_T9_mT8_P12ihipStream_tbDpT10_ENKUlT_T0_E_clISt17integral_constantIbLb1EES1E_IbLb0EEEEDaS1A_S1B_EUlS1A_E_NS1_11comp_targetILNS1_3genE4ELNS1_11target_archE910ELNS1_3gpuE8ELNS1_3repE0EEENS1_30default_config_static_selectorELNS0_4arch9wavefront6targetE0EEEvT1_.kd
    .uniform_work_group_size: 1
    .uses_dynamic_stack: false
    .vgpr_count:     0
    .vgpr_spill_count: 0
    .wavefront_size: 32
    .workgroup_processor_mode: 1
  - .args:
      - .offset:         0
        .size:           128
        .value_kind:     by_value
    .group_segment_fixed_size: 0
    .kernarg_segment_align: 8
    .kernarg_segment_size: 128
    .language:       OpenCL C
    .language_version:
      - 2
      - 0
    .max_flat_workgroup_size: 512
    .name:           _ZN7rocprim17ROCPRIM_400000_NS6detail17trampoline_kernelINS0_14default_configENS1_25partition_config_selectorILNS1_17partition_subalgoE5EjNS0_10empty_typeEbEEZZNS1_14partition_implILS5_5ELb0ES3_mN6thrust23THRUST_200600_302600_NS6detail15normal_iteratorINSA_10device_ptrIjEEEEPS6_NSA_18transform_iteratorINSB_9not_fun_tI7is_trueIjEEENSC_INSD_IbEEEENSA_11use_defaultESO_EENS0_5tupleIJNSA_16discard_iteratorISO_EES6_EEENSQ_IJSG_SG_EEES6_PlJS6_EEE10hipError_tPvRmT3_T4_T5_T6_T7_T9_mT8_P12ihipStream_tbDpT10_ENKUlT_T0_E_clISt17integral_constantIbLb1EES1E_IbLb0EEEEDaS1A_S1B_EUlS1A_E_NS1_11comp_targetILNS1_3genE3ELNS1_11target_archE908ELNS1_3gpuE7ELNS1_3repE0EEENS1_30default_config_static_selectorELNS0_4arch9wavefront6targetE0EEEvT1_
    .private_segment_fixed_size: 0
    .sgpr_count:     0
    .sgpr_spill_count: 0
    .symbol:         _ZN7rocprim17ROCPRIM_400000_NS6detail17trampoline_kernelINS0_14default_configENS1_25partition_config_selectorILNS1_17partition_subalgoE5EjNS0_10empty_typeEbEEZZNS1_14partition_implILS5_5ELb0ES3_mN6thrust23THRUST_200600_302600_NS6detail15normal_iteratorINSA_10device_ptrIjEEEEPS6_NSA_18transform_iteratorINSB_9not_fun_tI7is_trueIjEEENSC_INSD_IbEEEENSA_11use_defaultESO_EENS0_5tupleIJNSA_16discard_iteratorISO_EES6_EEENSQ_IJSG_SG_EEES6_PlJS6_EEE10hipError_tPvRmT3_T4_T5_T6_T7_T9_mT8_P12ihipStream_tbDpT10_ENKUlT_T0_E_clISt17integral_constantIbLb1EES1E_IbLb0EEEEDaS1A_S1B_EUlS1A_E_NS1_11comp_targetILNS1_3genE3ELNS1_11target_archE908ELNS1_3gpuE7ELNS1_3repE0EEENS1_30default_config_static_selectorELNS0_4arch9wavefront6targetE0EEEvT1_.kd
    .uniform_work_group_size: 1
    .uses_dynamic_stack: false
    .vgpr_count:     0
    .vgpr_spill_count: 0
    .wavefront_size: 32
    .workgroup_processor_mode: 1
  - .args:
      - .offset:         0
        .size:           128
        .value_kind:     by_value
    .group_segment_fixed_size: 0
    .kernarg_segment_align: 8
    .kernarg_segment_size: 128
    .language:       OpenCL C
    .language_version:
      - 2
      - 0
    .max_flat_workgroup_size: 256
    .name:           _ZN7rocprim17ROCPRIM_400000_NS6detail17trampoline_kernelINS0_14default_configENS1_25partition_config_selectorILNS1_17partition_subalgoE5EjNS0_10empty_typeEbEEZZNS1_14partition_implILS5_5ELb0ES3_mN6thrust23THRUST_200600_302600_NS6detail15normal_iteratorINSA_10device_ptrIjEEEEPS6_NSA_18transform_iteratorINSB_9not_fun_tI7is_trueIjEEENSC_INSD_IbEEEENSA_11use_defaultESO_EENS0_5tupleIJNSA_16discard_iteratorISO_EES6_EEENSQ_IJSG_SG_EEES6_PlJS6_EEE10hipError_tPvRmT3_T4_T5_T6_T7_T9_mT8_P12ihipStream_tbDpT10_ENKUlT_T0_E_clISt17integral_constantIbLb1EES1E_IbLb0EEEEDaS1A_S1B_EUlS1A_E_NS1_11comp_targetILNS1_3genE2ELNS1_11target_archE906ELNS1_3gpuE6ELNS1_3repE0EEENS1_30default_config_static_selectorELNS0_4arch9wavefront6targetE0EEEvT1_
    .private_segment_fixed_size: 0
    .sgpr_count:     0
    .sgpr_spill_count: 0
    .symbol:         _ZN7rocprim17ROCPRIM_400000_NS6detail17trampoline_kernelINS0_14default_configENS1_25partition_config_selectorILNS1_17partition_subalgoE5EjNS0_10empty_typeEbEEZZNS1_14partition_implILS5_5ELb0ES3_mN6thrust23THRUST_200600_302600_NS6detail15normal_iteratorINSA_10device_ptrIjEEEEPS6_NSA_18transform_iteratorINSB_9not_fun_tI7is_trueIjEEENSC_INSD_IbEEEENSA_11use_defaultESO_EENS0_5tupleIJNSA_16discard_iteratorISO_EES6_EEENSQ_IJSG_SG_EEES6_PlJS6_EEE10hipError_tPvRmT3_T4_T5_T6_T7_T9_mT8_P12ihipStream_tbDpT10_ENKUlT_T0_E_clISt17integral_constantIbLb1EES1E_IbLb0EEEEDaS1A_S1B_EUlS1A_E_NS1_11comp_targetILNS1_3genE2ELNS1_11target_archE906ELNS1_3gpuE6ELNS1_3repE0EEENS1_30default_config_static_selectorELNS0_4arch9wavefront6targetE0EEEvT1_.kd
    .uniform_work_group_size: 1
    .uses_dynamic_stack: false
    .vgpr_count:     0
    .vgpr_spill_count: 0
    .wavefront_size: 32
    .workgroup_processor_mode: 1
  - .args:
      - .offset:         0
        .size:           128
        .value_kind:     by_value
    .group_segment_fixed_size: 0
    .kernarg_segment_align: 8
    .kernarg_segment_size: 128
    .language:       OpenCL C
    .language_version:
      - 2
      - 0
    .max_flat_workgroup_size: 192
    .name:           _ZN7rocprim17ROCPRIM_400000_NS6detail17trampoline_kernelINS0_14default_configENS1_25partition_config_selectorILNS1_17partition_subalgoE5EjNS0_10empty_typeEbEEZZNS1_14partition_implILS5_5ELb0ES3_mN6thrust23THRUST_200600_302600_NS6detail15normal_iteratorINSA_10device_ptrIjEEEEPS6_NSA_18transform_iteratorINSB_9not_fun_tI7is_trueIjEEENSC_INSD_IbEEEENSA_11use_defaultESO_EENS0_5tupleIJNSA_16discard_iteratorISO_EES6_EEENSQ_IJSG_SG_EEES6_PlJS6_EEE10hipError_tPvRmT3_T4_T5_T6_T7_T9_mT8_P12ihipStream_tbDpT10_ENKUlT_T0_E_clISt17integral_constantIbLb1EES1E_IbLb0EEEEDaS1A_S1B_EUlS1A_E_NS1_11comp_targetILNS1_3genE10ELNS1_11target_archE1200ELNS1_3gpuE4ELNS1_3repE0EEENS1_30default_config_static_selectorELNS0_4arch9wavefront6targetE0EEEvT1_
    .private_segment_fixed_size: 0
    .sgpr_count:     0
    .sgpr_spill_count: 0
    .symbol:         _ZN7rocprim17ROCPRIM_400000_NS6detail17trampoline_kernelINS0_14default_configENS1_25partition_config_selectorILNS1_17partition_subalgoE5EjNS0_10empty_typeEbEEZZNS1_14partition_implILS5_5ELb0ES3_mN6thrust23THRUST_200600_302600_NS6detail15normal_iteratorINSA_10device_ptrIjEEEEPS6_NSA_18transform_iteratorINSB_9not_fun_tI7is_trueIjEEENSC_INSD_IbEEEENSA_11use_defaultESO_EENS0_5tupleIJNSA_16discard_iteratorISO_EES6_EEENSQ_IJSG_SG_EEES6_PlJS6_EEE10hipError_tPvRmT3_T4_T5_T6_T7_T9_mT8_P12ihipStream_tbDpT10_ENKUlT_T0_E_clISt17integral_constantIbLb1EES1E_IbLb0EEEEDaS1A_S1B_EUlS1A_E_NS1_11comp_targetILNS1_3genE10ELNS1_11target_archE1200ELNS1_3gpuE4ELNS1_3repE0EEENS1_30default_config_static_selectorELNS0_4arch9wavefront6targetE0EEEvT1_.kd
    .uniform_work_group_size: 1
    .uses_dynamic_stack: false
    .vgpr_count:     0
    .vgpr_spill_count: 0
    .wavefront_size: 32
    .workgroup_processor_mode: 1
  - .args:
      - .offset:         0
        .size:           128
        .value_kind:     by_value
    .group_segment_fixed_size: 0
    .kernarg_segment_align: 8
    .kernarg_segment_size: 128
    .language:       OpenCL C
    .language_version:
      - 2
      - 0
    .max_flat_workgroup_size: 128
    .name:           _ZN7rocprim17ROCPRIM_400000_NS6detail17trampoline_kernelINS0_14default_configENS1_25partition_config_selectorILNS1_17partition_subalgoE5EjNS0_10empty_typeEbEEZZNS1_14partition_implILS5_5ELb0ES3_mN6thrust23THRUST_200600_302600_NS6detail15normal_iteratorINSA_10device_ptrIjEEEEPS6_NSA_18transform_iteratorINSB_9not_fun_tI7is_trueIjEEENSC_INSD_IbEEEENSA_11use_defaultESO_EENS0_5tupleIJNSA_16discard_iteratorISO_EES6_EEENSQ_IJSG_SG_EEES6_PlJS6_EEE10hipError_tPvRmT3_T4_T5_T6_T7_T9_mT8_P12ihipStream_tbDpT10_ENKUlT_T0_E_clISt17integral_constantIbLb1EES1E_IbLb0EEEEDaS1A_S1B_EUlS1A_E_NS1_11comp_targetILNS1_3genE9ELNS1_11target_archE1100ELNS1_3gpuE3ELNS1_3repE0EEENS1_30default_config_static_selectorELNS0_4arch9wavefront6targetE0EEEvT1_
    .private_segment_fixed_size: 0
    .sgpr_count:     0
    .sgpr_spill_count: 0
    .symbol:         _ZN7rocprim17ROCPRIM_400000_NS6detail17trampoline_kernelINS0_14default_configENS1_25partition_config_selectorILNS1_17partition_subalgoE5EjNS0_10empty_typeEbEEZZNS1_14partition_implILS5_5ELb0ES3_mN6thrust23THRUST_200600_302600_NS6detail15normal_iteratorINSA_10device_ptrIjEEEEPS6_NSA_18transform_iteratorINSB_9not_fun_tI7is_trueIjEEENSC_INSD_IbEEEENSA_11use_defaultESO_EENS0_5tupleIJNSA_16discard_iteratorISO_EES6_EEENSQ_IJSG_SG_EEES6_PlJS6_EEE10hipError_tPvRmT3_T4_T5_T6_T7_T9_mT8_P12ihipStream_tbDpT10_ENKUlT_T0_E_clISt17integral_constantIbLb1EES1E_IbLb0EEEEDaS1A_S1B_EUlS1A_E_NS1_11comp_targetILNS1_3genE9ELNS1_11target_archE1100ELNS1_3gpuE3ELNS1_3repE0EEENS1_30default_config_static_selectorELNS0_4arch9wavefront6targetE0EEEvT1_.kd
    .uniform_work_group_size: 1
    .uses_dynamic_stack: false
    .vgpr_count:     0
    .vgpr_spill_count: 0
    .wavefront_size: 32
    .workgroup_processor_mode: 1
  - .args:
      - .offset:         0
        .size:           128
        .value_kind:     by_value
    .group_segment_fixed_size: 0
    .kernarg_segment_align: 8
    .kernarg_segment_size: 128
    .language:       OpenCL C
    .language_version:
      - 2
      - 0
    .max_flat_workgroup_size: 512
    .name:           _ZN7rocprim17ROCPRIM_400000_NS6detail17trampoline_kernelINS0_14default_configENS1_25partition_config_selectorILNS1_17partition_subalgoE5EjNS0_10empty_typeEbEEZZNS1_14partition_implILS5_5ELb0ES3_mN6thrust23THRUST_200600_302600_NS6detail15normal_iteratorINSA_10device_ptrIjEEEEPS6_NSA_18transform_iteratorINSB_9not_fun_tI7is_trueIjEEENSC_INSD_IbEEEENSA_11use_defaultESO_EENS0_5tupleIJNSA_16discard_iteratorISO_EES6_EEENSQ_IJSG_SG_EEES6_PlJS6_EEE10hipError_tPvRmT3_T4_T5_T6_T7_T9_mT8_P12ihipStream_tbDpT10_ENKUlT_T0_E_clISt17integral_constantIbLb1EES1E_IbLb0EEEEDaS1A_S1B_EUlS1A_E_NS1_11comp_targetILNS1_3genE8ELNS1_11target_archE1030ELNS1_3gpuE2ELNS1_3repE0EEENS1_30default_config_static_selectorELNS0_4arch9wavefront6targetE0EEEvT1_
    .private_segment_fixed_size: 0
    .sgpr_count:     0
    .sgpr_spill_count: 0
    .symbol:         _ZN7rocprim17ROCPRIM_400000_NS6detail17trampoline_kernelINS0_14default_configENS1_25partition_config_selectorILNS1_17partition_subalgoE5EjNS0_10empty_typeEbEEZZNS1_14partition_implILS5_5ELb0ES3_mN6thrust23THRUST_200600_302600_NS6detail15normal_iteratorINSA_10device_ptrIjEEEEPS6_NSA_18transform_iteratorINSB_9not_fun_tI7is_trueIjEEENSC_INSD_IbEEEENSA_11use_defaultESO_EENS0_5tupleIJNSA_16discard_iteratorISO_EES6_EEENSQ_IJSG_SG_EEES6_PlJS6_EEE10hipError_tPvRmT3_T4_T5_T6_T7_T9_mT8_P12ihipStream_tbDpT10_ENKUlT_T0_E_clISt17integral_constantIbLb1EES1E_IbLb0EEEEDaS1A_S1B_EUlS1A_E_NS1_11comp_targetILNS1_3genE8ELNS1_11target_archE1030ELNS1_3gpuE2ELNS1_3repE0EEENS1_30default_config_static_selectorELNS0_4arch9wavefront6targetE0EEEvT1_.kd
    .uniform_work_group_size: 1
    .uses_dynamic_stack: false
    .vgpr_count:     0
    .vgpr_spill_count: 0
    .wavefront_size: 32
    .workgroup_processor_mode: 1
  - .args:
      - .offset:         0
        .size:           144
        .value_kind:     by_value
    .group_segment_fixed_size: 0
    .kernarg_segment_align: 8
    .kernarg_segment_size: 144
    .language:       OpenCL C
    .language_version:
      - 2
      - 0
    .max_flat_workgroup_size: 512
    .name:           _ZN7rocprim17ROCPRIM_400000_NS6detail17trampoline_kernelINS0_14default_configENS1_25partition_config_selectorILNS1_17partition_subalgoE5EjNS0_10empty_typeEbEEZZNS1_14partition_implILS5_5ELb0ES3_mN6thrust23THRUST_200600_302600_NS6detail15normal_iteratorINSA_10device_ptrIjEEEEPS6_NSA_18transform_iteratorINSB_9not_fun_tI7is_trueIjEEENSC_INSD_IbEEEENSA_11use_defaultESO_EENS0_5tupleIJNSA_16discard_iteratorISO_EES6_EEENSQ_IJSG_SG_EEES6_PlJS6_EEE10hipError_tPvRmT3_T4_T5_T6_T7_T9_mT8_P12ihipStream_tbDpT10_ENKUlT_T0_E_clISt17integral_constantIbLb0EES1E_IbLb1EEEEDaS1A_S1B_EUlS1A_E_NS1_11comp_targetILNS1_3genE0ELNS1_11target_archE4294967295ELNS1_3gpuE0ELNS1_3repE0EEENS1_30default_config_static_selectorELNS0_4arch9wavefront6targetE0EEEvT1_
    .private_segment_fixed_size: 0
    .sgpr_count:     0
    .sgpr_spill_count: 0
    .symbol:         _ZN7rocprim17ROCPRIM_400000_NS6detail17trampoline_kernelINS0_14default_configENS1_25partition_config_selectorILNS1_17partition_subalgoE5EjNS0_10empty_typeEbEEZZNS1_14partition_implILS5_5ELb0ES3_mN6thrust23THRUST_200600_302600_NS6detail15normal_iteratorINSA_10device_ptrIjEEEEPS6_NSA_18transform_iteratorINSB_9not_fun_tI7is_trueIjEEENSC_INSD_IbEEEENSA_11use_defaultESO_EENS0_5tupleIJNSA_16discard_iteratorISO_EES6_EEENSQ_IJSG_SG_EEES6_PlJS6_EEE10hipError_tPvRmT3_T4_T5_T6_T7_T9_mT8_P12ihipStream_tbDpT10_ENKUlT_T0_E_clISt17integral_constantIbLb0EES1E_IbLb1EEEEDaS1A_S1B_EUlS1A_E_NS1_11comp_targetILNS1_3genE0ELNS1_11target_archE4294967295ELNS1_3gpuE0ELNS1_3repE0EEENS1_30default_config_static_selectorELNS0_4arch9wavefront6targetE0EEEvT1_.kd
    .uniform_work_group_size: 1
    .uses_dynamic_stack: false
    .vgpr_count:     0
    .vgpr_spill_count: 0
    .wavefront_size: 32
    .workgroup_processor_mode: 1
  - .args:
      - .offset:         0
        .size:           144
        .value_kind:     by_value
    .group_segment_fixed_size: 0
    .kernarg_segment_align: 8
    .kernarg_segment_size: 144
    .language:       OpenCL C
    .language_version:
      - 2
      - 0
    .max_flat_workgroup_size: 512
    .name:           _ZN7rocprim17ROCPRIM_400000_NS6detail17trampoline_kernelINS0_14default_configENS1_25partition_config_selectorILNS1_17partition_subalgoE5EjNS0_10empty_typeEbEEZZNS1_14partition_implILS5_5ELb0ES3_mN6thrust23THRUST_200600_302600_NS6detail15normal_iteratorINSA_10device_ptrIjEEEEPS6_NSA_18transform_iteratorINSB_9not_fun_tI7is_trueIjEEENSC_INSD_IbEEEENSA_11use_defaultESO_EENS0_5tupleIJNSA_16discard_iteratorISO_EES6_EEENSQ_IJSG_SG_EEES6_PlJS6_EEE10hipError_tPvRmT3_T4_T5_T6_T7_T9_mT8_P12ihipStream_tbDpT10_ENKUlT_T0_E_clISt17integral_constantIbLb0EES1E_IbLb1EEEEDaS1A_S1B_EUlS1A_E_NS1_11comp_targetILNS1_3genE5ELNS1_11target_archE942ELNS1_3gpuE9ELNS1_3repE0EEENS1_30default_config_static_selectorELNS0_4arch9wavefront6targetE0EEEvT1_
    .private_segment_fixed_size: 0
    .sgpr_count:     0
    .sgpr_spill_count: 0
    .symbol:         _ZN7rocprim17ROCPRIM_400000_NS6detail17trampoline_kernelINS0_14default_configENS1_25partition_config_selectorILNS1_17partition_subalgoE5EjNS0_10empty_typeEbEEZZNS1_14partition_implILS5_5ELb0ES3_mN6thrust23THRUST_200600_302600_NS6detail15normal_iteratorINSA_10device_ptrIjEEEEPS6_NSA_18transform_iteratorINSB_9not_fun_tI7is_trueIjEEENSC_INSD_IbEEEENSA_11use_defaultESO_EENS0_5tupleIJNSA_16discard_iteratorISO_EES6_EEENSQ_IJSG_SG_EEES6_PlJS6_EEE10hipError_tPvRmT3_T4_T5_T6_T7_T9_mT8_P12ihipStream_tbDpT10_ENKUlT_T0_E_clISt17integral_constantIbLb0EES1E_IbLb1EEEEDaS1A_S1B_EUlS1A_E_NS1_11comp_targetILNS1_3genE5ELNS1_11target_archE942ELNS1_3gpuE9ELNS1_3repE0EEENS1_30default_config_static_selectorELNS0_4arch9wavefront6targetE0EEEvT1_.kd
    .uniform_work_group_size: 1
    .uses_dynamic_stack: false
    .vgpr_count:     0
    .vgpr_spill_count: 0
    .wavefront_size: 32
    .workgroup_processor_mode: 1
  - .args:
      - .offset:         0
        .size:           144
        .value_kind:     by_value
    .group_segment_fixed_size: 0
    .kernarg_segment_align: 8
    .kernarg_segment_size: 144
    .language:       OpenCL C
    .language_version:
      - 2
      - 0
    .max_flat_workgroup_size: 256
    .name:           _ZN7rocprim17ROCPRIM_400000_NS6detail17trampoline_kernelINS0_14default_configENS1_25partition_config_selectorILNS1_17partition_subalgoE5EjNS0_10empty_typeEbEEZZNS1_14partition_implILS5_5ELb0ES3_mN6thrust23THRUST_200600_302600_NS6detail15normal_iteratorINSA_10device_ptrIjEEEEPS6_NSA_18transform_iteratorINSB_9not_fun_tI7is_trueIjEEENSC_INSD_IbEEEENSA_11use_defaultESO_EENS0_5tupleIJNSA_16discard_iteratorISO_EES6_EEENSQ_IJSG_SG_EEES6_PlJS6_EEE10hipError_tPvRmT3_T4_T5_T6_T7_T9_mT8_P12ihipStream_tbDpT10_ENKUlT_T0_E_clISt17integral_constantIbLb0EES1E_IbLb1EEEEDaS1A_S1B_EUlS1A_E_NS1_11comp_targetILNS1_3genE4ELNS1_11target_archE910ELNS1_3gpuE8ELNS1_3repE0EEENS1_30default_config_static_selectorELNS0_4arch9wavefront6targetE0EEEvT1_
    .private_segment_fixed_size: 0
    .sgpr_count:     0
    .sgpr_spill_count: 0
    .symbol:         _ZN7rocprim17ROCPRIM_400000_NS6detail17trampoline_kernelINS0_14default_configENS1_25partition_config_selectorILNS1_17partition_subalgoE5EjNS0_10empty_typeEbEEZZNS1_14partition_implILS5_5ELb0ES3_mN6thrust23THRUST_200600_302600_NS6detail15normal_iteratorINSA_10device_ptrIjEEEEPS6_NSA_18transform_iteratorINSB_9not_fun_tI7is_trueIjEEENSC_INSD_IbEEEENSA_11use_defaultESO_EENS0_5tupleIJNSA_16discard_iteratorISO_EES6_EEENSQ_IJSG_SG_EEES6_PlJS6_EEE10hipError_tPvRmT3_T4_T5_T6_T7_T9_mT8_P12ihipStream_tbDpT10_ENKUlT_T0_E_clISt17integral_constantIbLb0EES1E_IbLb1EEEEDaS1A_S1B_EUlS1A_E_NS1_11comp_targetILNS1_3genE4ELNS1_11target_archE910ELNS1_3gpuE8ELNS1_3repE0EEENS1_30default_config_static_selectorELNS0_4arch9wavefront6targetE0EEEvT1_.kd
    .uniform_work_group_size: 1
    .uses_dynamic_stack: false
    .vgpr_count:     0
    .vgpr_spill_count: 0
    .wavefront_size: 32
    .workgroup_processor_mode: 1
  - .args:
      - .offset:         0
        .size:           144
        .value_kind:     by_value
    .group_segment_fixed_size: 0
    .kernarg_segment_align: 8
    .kernarg_segment_size: 144
    .language:       OpenCL C
    .language_version:
      - 2
      - 0
    .max_flat_workgroup_size: 512
    .name:           _ZN7rocprim17ROCPRIM_400000_NS6detail17trampoline_kernelINS0_14default_configENS1_25partition_config_selectorILNS1_17partition_subalgoE5EjNS0_10empty_typeEbEEZZNS1_14partition_implILS5_5ELb0ES3_mN6thrust23THRUST_200600_302600_NS6detail15normal_iteratorINSA_10device_ptrIjEEEEPS6_NSA_18transform_iteratorINSB_9not_fun_tI7is_trueIjEEENSC_INSD_IbEEEENSA_11use_defaultESO_EENS0_5tupleIJNSA_16discard_iteratorISO_EES6_EEENSQ_IJSG_SG_EEES6_PlJS6_EEE10hipError_tPvRmT3_T4_T5_T6_T7_T9_mT8_P12ihipStream_tbDpT10_ENKUlT_T0_E_clISt17integral_constantIbLb0EES1E_IbLb1EEEEDaS1A_S1B_EUlS1A_E_NS1_11comp_targetILNS1_3genE3ELNS1_11target_archE908ELNS1_3gpuE7ELNS1_3repE0EEENS1_30default_config_static_selectorELNS0_4arch9wavefront6targetE0EEEvT1_
    .private_segment_fixed_size: 0
    .sgpr_count:     0
    .sgpr_spill_count: 0
    .symbol:         _ZN7rocprim17ROCPRIM_400000_NS6detail17trampoline_kernelINS0_14default_configENS1_25partition_config_selectorILNS1_17partition_subalgoE5EjNS0_10empty_typeEbEEZZNS1_14partition_implILS5_5ELb0ES3_mN6thrust23THRUST_200600_302600_NS6detail15normal_iteratorINSA_10device_ptrIjEEEEPS6_NSA_18transform_iteratorINSB_9not_fun_tI7is_trueIjEEENSC_INSD_IbEEEENSA_11use_defaultESO_EENS0_5tupleIJNSA_16discard_iteratorISO_EES6_EEENSQ_IJSG_SG_EEES6_PlJS6_EEE10hipError_tPvRmT3_T4_T5_T6_T7_T9_mT8_P12ihipStream_tbDpT10_ENKUlT_T0_E_clISt17integral_constantIbLb0EES1E_IbLb1EEEEDaS1A_S1B_EUlS1A_E_NS1_11comp_targetILNS1_3genE3ELNS1_11target_archE908ELNS1_3gpuE7ELNS1_3repE0EEENS1_30default_config_static_selectorELNS0_4arch9wavefront6targetE0EEEvT1_.kd
    .uniform_work_group_size: 1
    .uses_dynamic_stack: false
    .vgpr_count:     0
    .vgpr_spill_count: 0
    .wavefront_size: 32
    .workgroup_processor_mode: 1
  - .args:
      - .offset:         0
        .size:           144
        .value_kind:     by_value
    .group_segment_fixed_size: 0
    .kernarg_segment_align: 8
    .kernarg_segment_size: 144
    .language:       OpenCL C
    .language_version:
      - 2
      - 0
    .max_flat_workgroup_size: 256
    .name:           _ZN7rocprim17ROCPRIM_400000_NS6detail17trampoline_kernelINS0_14default_configENS1_25partition_config_selectorILNS1_17partition_subalgoE5EjNS0_10empty_typeEbEEZZNS1_14partition_implILS5_5ELb0ES3_mN6thrust23THRUST_200600_302600_NS6detail15normal_iteratorINSA_10device_ptrIjEEEEPS6_NSA_18transform_iteratorINSB_9not_fun_tI7is_trueIjEEENSC_INSD_IbEEEENSA_11use_defaultESO_EENS0_5tupleIJNSA_16discard_iteratorISO_EES6_EEENSQ_IJSG_SG_EEES6_PlJS6_EEE10hipError_tPvRmT3_T4_T5_T6_T7_T9_mT8_P12ihipStream_tbDpT10_ENKUlT_T0_E_clISt17integral_constantIbLb0EES1E_IbLb1EEEEDaS1A_S1B_EUlS1A_E_NS1_11comp_targetILNS1_3genE2ELNS1_11target_archE906ELNS1_3gpuE6ELNS1_3repE0EEENS1_30default_config_static_selectorELNS0_4arch9wavefront6targetE0EEEvT1_
    .private_segment_fixed_size: 0
    .sgpr_count:     0
    .sgpr_spill_count: 0
    .symbol:         _ZN7rocprim17ROCPRIM_400000_NS6detail17trampoline_kernelINS0_14default_configENS1_25partition_config_selectorILNS1_17partition_subalgoE5EjNS0_10empty_typeEbEEZZNS1_14partition_implILS5_5ELb0ES3_mN6thrust23THRUST_200600_302600_NS6detail15normal_iteratorINSA_10device_ptrIjEEEEPS6_NSA_18transform_iteratorINSB_9not_fun_tI7is_trueIjEEENSC_INSD_IbEEEENSA_11use_defaultESO_EENS0_5tupleIJNSA_16discard_iteratorISO_EES6_EEENSQ_IJSG_SG_EEES6_PlJS6_EEE10hipError_tPvRmT3_T4_T5_T6_T7_T9_mT8_P12ihipStream_tbDpT10_ENKUlT_T0_E_clISt17integral_constantIbLb0EES1E_IbLb1EEEEDaS1A_S1B_EUlS1A_E_NS1_11comp_targetILNS1_3genE2ELNS1_11target_archE906ELNS1_3gpuE6ELNS1_3repE0EEENS1_30default_config_static_selectorELNS0_4arch9wavefront6targetE0EEEvT1_.kd
    .uniform_work_group_size: 1
    .uses_dynamic_stack: false
    .vgpr_count:     0
    .vgpr_spill_count: 0
    .wavefront_size: 32
    .workgroup_processor_mode: 1
  - .args:
      - .offset:         0
        .size:           144
        .value_kind:     by_value
    .group_segment_fixed_size: 6352
    .kernarg_segment_align: 8
    .kernarg_segment_size: 144
    .language:       OpenCL C
    .language_version:
      - 2
      - 0
    .max_flat_workgroup_size: 192
    .name:           _ZN7rocprim17ROCPRIM_400000_NS6detail17trampoline_kernelINS0_14default_configENS1_25partition_config_selectorILNS1_17partition_subalgoE5EjNS0_10empty_typeEbEEZZNS1_14partition_implILS5_5ELb0ES3_mN6thrust23THRUST_200600_302600_NS6detail15normal_iteratorINSA_10device_ptrIjEEEEPS6_NSA_18transform_iteratorINSB_9not_fun_tI7is_trueIjEEENSC_INSD_IbEEEENSA_11use_defaultESO_EENS0_5tupleIJNSA_16discard_iteratorISO_EES6_EEENSQ_IJSG_SG_EEES6_PlJS6_EEE10hipError_tPvRmT3_T4_T5_T6_T7_T9_mT8_P12ihipStream_tbDpT10_ENKUlT_T0_E_clISt17integral_constantIbLb0EES1E_IbLb1EEEEDaS1A_S1B_EUlS1A_E_NS1_11comp_targetILNS1_3genE10ELNS1_11target_archE1200ELNS1_3gpuE4ELNS1_3repE0EEENS1_30default_config_static_selectorELNS0_4arch9wavefront6targetE0EEEvT1_
    .private_segment_fixed_size: 0
    .sgpr_count:     24
    .sgpr_spill_count: 0
    .symbol:         _ZN7rocprim17ROCPRIM_400000_NS6detail17trampoline_kernelINS0_14default_configENS1_25partition_config_selectorILNS1_17partition_subalgoE5EjNS0_10empty_typeEbEEZZNS1_14partition_implILS5_5ELb0ES3_mN6thrust23THRUST_200600_302600_NS6detail15normal_iteratorINSA_10device_ptrIjEEEEPS6_NSA_18transform_iteratorINSB_9not_fun_tI7is_trueIjEEENSC_INSD_IbEEEENSA_11use_defaultESO_EENS0_5tupleIJNSA_16discard_iteratorISO_EES6_EEENSQ_IJSG_SG_EEES6_PlJS6_EEE10hipError_tPvRmT3_T4_T5_T6_T7_T9_mT8_P12ihipStream_tbDpT10_ENKUlT_T0_E_clISt17integral_constantIbLb0EES1E_IbLb1EEEEDaS1A_S1B_EUlS1A_E_NS1_11comp_targetILNS1_3genE10ELNS1_11target_archE1200ELNS1_3gpuE4ELNS1_3repE0EEENS1_30default_config_static_selectorELNS0_4arch9wavefront6targetE0EEEvT1_.kd
    .uniform_work_group_size: 1
    .uses_dynamic_stack: false
    .vgpr_count:     53
    .vgpr_spill_count: 0
    .wavefront_size: 32
    .workgroup_processor_mode: 1
  - .args:
      - .offset:         0
        .size:           144
        .value_kind:     by_value
    .group_segment_fixed_size: 0
    .kernarg_segment_align: 8
    .kernarg_segment_size: 144
    .language:       OpenCL C
    .language_version:
      - 2
      - 0
    .max_flat_workgroup_size: 128
    .name:           _ZN7rocprim17ROCPRIM_400000_NS6detail17trampoline_kernelINS0_14default_configENS1_25partition_config_selectorILNS1_17partition_subalgoE5EjNS0_10empty_typeEbEEZZNS1_14partition_implILS5_5ELb0ES3_mN6thrust23THRUST_200600_302600_NS6detail15normal_iteratorINSA_10device_ptrIjEEEEPS6_NSA_18transform_iteratorINSB_9not_fun_tI7is_trueIjEEENSC_INSD_IbEEEENSA_11use_defaultESO_EENS0_5tupleIJNSA_16discard_iteratorISO_EES6_EEENSQ_IJSG_SG_EEES6_PlJS6_EEE10hipError_tPvRmT3_T4_T5_T6_T7_T9_mT8_P12ihipStream_tbDpT10_ENKUlT_T0_E_clISt17integral_constantIbLb0EES1E_IbLb1EEEEDaS1A_S1B_EUlS1A_E_NS1_11comp_targetILNS1_3genE9ELNS1_11target_archE1100ELNS1_3gpuE3ELNS1_3repE0EEENS1_30default_config_static_selectorELNS0_4arch9wavefront6targetE0EEEvT1_
    .private_segment_fixed_size: 0
    .sgpr_count:     0
    .sgpr_spill_count: 0
    .symbol:         _ZN7rocprim17ROCPRIM_400000_NS6detail17trampoline_kernelINS0_14default_configENS1_25partition_config_selectorILNS1_17partition_subalgoE5EjNS0_10empty_typeEbEEZZNS1_14partition_implILS5_5ELb0ES3_mN6thrust23THRUST_200600_302600_NS6detail15normal_iteratorINSA_10device_ptrIjEEEEPS6_NSA_18transform_iteratorINSB_9not_fun_tI7is_trueIjEEENSC_INSD_IbEEEENSA_11use_defaultESO_EENS0_5tupleIJNSA_16discard_iteratorISO_EES6_EEENSQ_IJSG_SG_EEES6_PlJS6_EEE10hipError_tPvRmT3_T4_T5_T6_T7_T9_mT8_P12ihipStream_tbDpT10_ENKUlT_T0_E_clISt17integral_constantIbLb0EES1E_IbLb1EEEEDaS1A_S1B_EUlS1A_E_NS1_11comp_targetILNS1_3genE9ELNS1_11target_archE1100ELNS1_3gpuE3ELNS1_3repE0EEENS1_30default_config_static_selectorELNS0_4arch9wavefront6targetE0EEEvT1_.kd
    .uniform_work_group_size: 1
    .uses_dynamic_stack: false
    .vgpr_count:     0
    .vgpr_spill_count: 0
    .wavefront_size: 32
    .workgroup_processor_mode: 1
  - .args:
      - .offset:         0
        .size:           144
        .value_kind:     by_value
    .group_segment_fixed_size: 0
    .kernarg_segment_align: 8
    .kernarg_segment_size: 144
    .language:       OpenCL C
    .language_version:
      - 2
      - 0
    .max_flat_workgroup_size: 512
    .name:           _ZN7rocprim17ROCPRIM_400000_NS6detail17trampoline_kernelINS0_14default_configENS1_25partition_config_selectorILNS1_17partition_subalgoE5EjNS0_10empty_typeEbEEZZNS1_14partition_implILS5_5ELb0ES3_mN6thrust23THRUST_200600_302600_NS6detail15normal_iteratorINSA_10device_ptrIjEEEEPS6_NSA_18transform_iteratorINSB_9not_fun_tI7is_trueIjEEENSC_INSD_IbEEEENSA_11use_defaultESO_EENS0_5tupleIJNSA_16discard_iteratorISO_EES6_EEENSQ_IJSG_SG_EEES6_PlJS6_EEE10hipError_tPvRmT3_T4_T5_T6_T7_T9_mT8_P12ihipStream_tbDpT10_ENKUlT_T0_E_clISt17integral_constantIbLb0EES1E_IbLb1EEEEDaS1A_S1B_EUlS1A_E_NS1_11comp_targetILNS1_3genE8ELNS1_11target_archE1030ELNS1_3gpuE2ELNS1_3repE0EEENS1_30default_config_static_selectorELNS0_4arch9wavefront6targetE0EEEvT1_
    .private_segment_fixed_size: 0
    .sgpr_count:     0
    .sgpr_spill_count: 0
    .symbol:         _ZN7rocprim17ROCPRIM_400000_NS6detail17trampoline_kernelINS0_14default_configENS1_25partition_config_selectorILNS1_17partition_subalgoE5EjNS0_10empty_typeEbEEZZNS1_14partition_implILS5_5ELb0ES3_mN6thrust23THRUST_200600_302600_NS6detail15normal_iteratorINSA_10device_ptrIjEEEEPS6_NSA_18transform_iteratorINSB_9not_fun_tI7is_trueIjEEENSC_INSD_IbEEEENSA_11use_defaultESO_EENS0_5tupleIJNSA_16discard_iteratorISO_EES6_EEENSQ_IJSG_SG_EEES6_PlJS6_EEE10hipError_tPvRmT3_T4_T5_T6_T7_T9_mT8_P12ihipStream_tbDpT10_ENKUlT_T0_E_clISt17integral_constantIbLb0EES1E_IbLb1EEEEDaS1A_S1B_EUlS1A_E_NS1_11comp_targetILNS1_3genE8ELNS1_11target_archE1030ELNS1_3gpuE2ELNS1_3repE0EEENS1_30default_config_static_selectorELNS0_4arch9wavefront6targetE0EEEvT1_.kd
    .uniform_work_group_size: 1
    .uses_dynamic_stack: false
    .vgpr_count:     0
    .vgpr_spill_count: 0
    .wavefront_size: 32
    .workgroup_processor_mode: 1
  - .args:
      - .offset:         0
        .size:           128
        .value_kind:     by_value
    .group_segment_fixed_size: 0
    .kernarg_segment_align: 8
    .kernarg_segment_size: 128
    .language:       OpenCL C
    .language_version:
      - 2
      - 0
    .max_flat_workgroup_size: 256
    .name:           _ZN7rocprim17ROCPRIM_400000_NS6detail17trampoline_kernelINS0_14default_configENS1_25partition_config_selectorILNS1_17partition_subalgoE5EtNS0_10empty_typeEbEEZZNS1_14partition_implILS5_5ELb0ES3_mN6thrust23THRUST_200600_302600_NS6detail15normal_iteratorINSA_10device_ptrItEEEEPS6_NSA_18transform_iteratorINSB_9not_fun_tI7is_trueItEEENSC_INSD_IbEEEENSA_11use_defaultESO_EENS0_5tupleIJNSA_16discard_iteratorISO_EES6_EEENSQ_IJSG_SG_EEES6_PlJS6_EEE10hipError_tPvRmT3_T4_T5_T6_T7_T9_mT8_P12ihipStream_tbDpT10_ENKUlT_T0_E_clISt17integral_constantIbLb0EES1F_EEDaS1A_S1B_EUlS1A_E_NS1_11comp_targetILNS1_3genE0ELNS1_11target_archE4294967295ELNS1_3gpuE0ELNS1_3repE0EEENS1_30default_config_static_selectorELNS0_4arch9wavefront6targetE0EEEvT1_
    .private_segment_fixed_size: 0
    .sgpr_count:     0
    .sgpr_spill_count: 0
    .symbol:         _ZN7rocprim17ROCPRIM_400000_NS6detail17trampoline_kernelINS0_14default_configENS1_25partition_config_selectorILNS1_17partition_subalgoE5EtNS0_10empty_typeEbEEZZNS1_14partition_implILS5_5ELb0ES3_mN6thrust23THRUST_200600_302600_NS6detail15normal_iteratorINSA_10device_ptrItEEEEPS6_NSA_18transform_iteratorINSB_9not_fun_tI7is_trueItEEENSC_INSD_IbEEEENSA_11use_defaultESO_EENS0_5tupleIJNSA_16discard_iteratorISO_EES6_EEENSQ_IJSG_SG_EEES6_PlJS6_EEE10hipError_tPvRmT3_T4_T5_T6_T7_T9_mT8_P12ihipStream_tbDpT10_ENKUlT_T0_E_clISt17integral_constantIbLb0EES1F_EEDaS1A_S1B_EUlS1A_E_NS1_11comp_targetILNS1_3genE0ELNS1_11target_archE4294967295ELNS1_3gpuE0ELNS1_3repE0EEENS1_30default_config_static_selectorELNS0_4arch9wavefront6targetE0EEEvT1_.kd
    .uniform_work_group_size: 1
    .uses_dynamic_stack: false
    .vgpr_count:     0
    .vgpr_spill_count: 0
    .wavefront_size: 32
    .workgroup_processor_mode: 1
  - .args:
      - .offset:         0
        .size:           128
        .value_kind:     by_value
    .group_segment_fixed_size: 0
    .kernarg_segment_align: 8
    .kernarg_segment_size: 128
    .language:       OpenCL C
    .language_version:
      - 2
      - 0
    .max_flat_workgroup_size: 512
    .name:           _ZN7rocprim17ROCPRIM_400000_NS6detail17trampoline_kernelINS0_14default_configENS1_25partition_config_selectorILNS1_17partition_subalgoE5EtNS0_10empty_typeEbEEZZNS1_14partition_implILS5_5ELb0ES3_mN6thrust23THRUST_200600_302600_NS6detail15normal_iteratorINSA_10device_ptrItEEEEPS6_NSA_18transform_iteratorINSB_9not_fun_tI7is_trueItEEENSC_INSD_IbEEEENSA_11use_defaultESO_EENS0_5tupleIJNSA_16discard_iteratorISO_EES6_EEENSQ_IJSG_SG_EEES6_PlJS6_EEE10hipError_tPvRmT3_T4_T5_T6_T7_T9_mT8_P12ihipStream_tbDpT10_ENKUlT_T0_E_clISt17integral_constantIbLb0EES1F_EEDaS1A_S1B_EUlS1A_E_NS1_11comp_targetILNS1_3genE5ELNS1_11target_archE942ELNS1_3gpuE9ELNS1_3repE0EEENS1_30default_config_static_selectorELNS0_4arch9wavefront6targetE0EEEvT1_
    .private_segment_fixed_size: 0
    .sgpr_count:     0
    .sgpr_spill_count: 0
    .symbol:         _ZN7rocprim17ROCPRIM_400000_NS6detail17trampoline_kernelINS0_14default_configENS1_25partition_config_selectorILNS1_17partition_subalgoE5EtNS0_10empty_typeEbEEZZNS1_14partition_implILS5_5ELb0ES3_mN6thrust23THRUST_200600_302600_NS6detail15normal_iteratorINSA_10device_ptrItEEEEPS6_NSA_18transform_iteratorINSB_9not_fun_tI7is_trueItEEENSC_INSD_IbEEEENSA_11use_defaultESO_EENS0_5tupleIJNSA_16discard_iteratorISO_EES6_EEENSQ_IJSG_SG_EEES6_PlJS6_EEE10hipError_tPvRmT3_T4_T5_T6_T7_T9_mT8_P12ihipStream_tbDpT10_ENKUlT_T0_E_clISt17integral_constantIbLb0EES1F_EEDaS1A_S1B_EUlS1A_E_NS1_11comp_targetILNS1_3genE5ELNS1_11target_archE942ELNS1_3gpuE9ELNS1_3repE0EEENS1_30default_config_static_selectorELNS0_4arch9wavefront6targetE0EEEvT1_.kd
    .uniform_work_group_size: 1
    .uses_dynamic_stack: false
    .vgpr_count:     0
    .vgpr_spill_count: 0
    .wavefront_size: 32
    .workgroup_processor_mode: 1
  - .args:
      - .offset:         0
        .size:           128
        .value_kind:     by_value
    .group_segment_fixed_size: 0
    .kernarg_segment_align: 8
    .kernarg_segment_size: 128
    .language:       OpenCL C
    .language_version:
      - 2
      - 0
    .max_flat_workgroup_size: 256
    .name:           _ZN7rocprim17ROCPRIM_400000_NS6detail17trampoline_kernelINS0_14default_configENS1_25partition_config_selectorILNS1_17partition_subalgoE5EtNS0_10empty_typeEbEEZZNS1_14partition_implILS5_5ELb0ES3_mN6thrust23THRUST_200600_302600_NS6detail15normal_iteratorINSA_10device_ptrItEEEEPS6_NSA_18transform_iteratorINSB_9not_fun_tI7is_trueItEEENSC_INSD_IbEEEENSA_11use_defaultESO_EENS0_5tupleIJNSA_16discard_iteratorISO_EES6_EEENSQ_IJSG_SG_EEES6_PlJS6_EEE10hipError_tPvRmT3_T4_T5_T6_T7_T9_mT8_P12ihipStream_tbDpT10_ENKUlT_T0_E_clISt17integral_constantIbLb0EES1F_EEDaS1A_S1B_EUlS1A_E_NS1_11comp_targetILNS1_3genE4ELNS1_11target_archE910ELNS1_3gpuE8ELNS1_3repE0EEENS1_30default_config_static_selectorELNS0_4arch9wavefront6targetE0EEEvT1_
    .private_segment_fixed_size: 0
    .sgpr_count:     0
    .sgpr_spill_count: 0
    .symbol:         _ZN7rocprim17ROCPRIM_400000_NS6detail17trampoline_kernelINS0_14default_configENS1_25partition_config_selectorILNS1_17partition_subalgoE5EtNS0_10empty_typeEbEEZZNS1_14partition_implILS5_5ELb0ES3_mN6thrust23THRUST_200600_302600_NS6detail15normal_iteratorINSA_10device_ptrItEEEEPS6_NSA_18transform_iteratorINSB_9not_fun_tI7is_trueItEEENSC_INSD_IbEEEENSA_11use_defaultESO_EENS0_5tupleIJNSA_16discard_iteratorISO_EES6_EEENSQ_IJSG_SG_EEES6_PlJS6_EEE10hipError_tPvRmT3_T4_T5_T6_T7_T9_mT8_P12ihipStream_tbDpT10_ENKUlT_T0_E_clISt17integral_constantIbLb0EES1F_EEDaS1A_S1B_EUlS1A_E_NS1_11comp_targetILNS1_3genE4ELNS1_11target_archE910ELNS1_3gpuE8ELNS1_3repE0EEENS1_30default_config_static_selectorELNS0_4arch9wavefront6targetE0EEEvT1_.kd
    .uniform_work_group_size: 1
    .uses_dynamic_stack: false
    .vgpr_count:     0
    .vgpr_spill_count: 0
    .wavefront_size: 32
    .workgroup_processor_mode: 1
  - .args:
      - .offset:         0
        .size:           128
        .value_kind:     by_value
    .group_segment_fixed_size: 0
    .kernarg_segment_align: 8
    .kernarg_segment_size: 128
    .language:       OpenCL C
    .language_version:
      - 2
      - 0
    .max_flat_workgroup_size: 256
    .name:           _ZN7rocprim17ROCPRIM_400000_NS6detail17trampoline_kernelINS0_14default_configENS1_25partition_config_selectorILNS1_17partition_subalgoE5EtNS0_10empty_typeEbEEZZNS1_14partition_implILS5_5ELb0ES3_mN6thrust23THRUST_200600_302600_NS6detail15normal_iteratorINSA_10device_ptrItEEEEPS6_NSA_18transform_iteratorINSB_9not_fun_tI7is_trueItEEENSC_INSD_IbEEEENSA_11use_defaultESO_EENS0_5tupleIJNSA_16discard_iteratorISO_EES6_EEENSQ_IJSG_SG_EEES6_PlJS6_EEE10hipError_tPvRmT3_T4_T5_T6_T7_T9_mT8_P12ihipStream_tbDpT10_ENKUlT_T0_E_clISt17integral_constantIbLb0EES1F_EEDaS1A_S1B_EUlS1A_E_NS1_11comp_targetILNS1_3genE3ELNS1_11target_archE908ELNS1_3gpuE7ELNS1_3repE0EEENS1_30default_config_static_selectorELNS0_4arch9wavefront6targetE0EEEvT1_
    .private_segment_fixed_size: 0
    .sgpr_count:     0
    .sgpr_spill_count: 0
    .symbol:         _ZN7rocprim17ROCPRIM_400000_NS6detail17trampoline_kernelINS0_14default_configENS1_25partition_config_selectorILNS1_17partition_subalgoE5EtNS0_10empty_typeEbEEZZNS1_14partition_implILS5_5ELb0ES3_mN6thrust23THRUST_200600_302600_NS6detail15normal_iteratorINSA_10device_ptrItEEEEPS6_NSA_18transform_iteratorINSB_9not_fun_tI7is_trueItEEENSC_INSD_IbEEEENSA_11use_defaultESO_EENS0_5tupleIJNSA_16discard_iteratorISO_EES6_EEENSQ_IJSG_SG_EEES6_PlJS6_EEE10hipError_tPvRmT3_T4_T5_T6_T7_T9_mT8_P12ihipStream_tbDpT10_ENKUlT_T0_E_clISt17integral_constantIbLb0EES1F_EEDaS1A_S1B_EUlS1A_E_NS1_11comp_targetILNS1_3genE3ELNS1_11target_archE908ELNS1_3gpuE7ELNS1_3repE0EEENS1_30default_config_static_selectorELNS0_4arch9wavefront6targetE0EEEvT1_.kd
    .uniform_work_group_size: 1
    .uses_dynamic_stack: false
    .vgpr_count:     0
    .vgpr_spill_count: 0
    .wavefront_size: 32
    .workgroup_processor_mode: 1
  - .args:
      - .offset:         0
        .size:           128
        .value_kind:     by_value
    .group_segment_fixed_size: 0
    .kernarg_segment_align: 8
    .kernarg_segment_size: 128
    .language:       OpenCL C
    .language_version:
      - 2
      - 0
    .max_flat_workgroup_size: 256
    .name:           _ZN7rocprim17ROCPRIM_400000_NS6detail17trampoline_kernelINS0_14default_configENS1_25partition_config_selectorILNS1_17partition_subalgoE5EtNS0_10empty_typeEbEEZZNS1_14partition_implILS5_5ELb0ES3_mN6thrust23THRUST_200600_302600_NS6detail15normal_iteratorINSA_10device_ptrItEEEEPS6_NSA_18transform_iteratorINSB_9not_fun_tI7is_trueItEEENSC_INSD_IbEEEENSA_11use_defaultESO_EENS0_5tupleIJNSA_16discard_iteratorISO_EES6_EEENSQ_IJSG_SG_EEES6_PlJS6_EEE10hipError_tPvRmT3_T4_T5_T6_T7_T9_mT8_P12ihipStream_tbDpT10_ENKUlT_T0_E_clISt17integral_constantIbLb0EES1F_EEDaS1A_S1B_EUlS1A_E_NS1_11comp_targetILNS1_3genE2ELNS1_11target_archE906ELNS1_3gpuE6ELNS1_3repE0EEENS1_30default_config_static_selectorELNS0_4arch9wavefront6targetE0EEEvT1_
    .private_segment_fixed_size: 0
    .sgpr_count:     0
    .sgpr_spill_count: 0
    .symbol:         _ZN7rocprim17ROCPRIM_400000_NS6detail17trampoline_kernelINS0_14default_configENS1_25partition_config_selectorILNS1_17partition_subalgoE5EtNS0_10empty_typeEbEEZZNS1_14partition_implILS5_5ELb0ES3_mN6thrust23THRUST_200600_302600_NS6detail15normal_iteratorINSA_10device_ptrItEEEEPS6_NSA_18transform_iteratorINSB_9not_fun_tI7is_trueItEEENSC_INSD_IbEEEENSA_11use_defaultESO_EENS0_5tupleIJNSA_16discard_iteratorISO_EES6_EEENSQ_IJSG_SG_EEES6_PlJS6_EEE10hipError_tPvRmT3_T4_T5_T6_T7_T9_mT8_P12ihipStream_tbDpT10_ENKUlT_T0_E_clISt17integral_constantIbLb0EES1F_EEDaS1A_S1B_EUlS1A_E_NS1_11comp_targetILNS1_3genE2ELNS1_11target_archE906ELNS1_3gpuE6ELNS1_3repE0EEENS1_30default_config_static_selectorELNS0_4arch9wavefront6targetE0EEEvT1_.kd
    .uniform_work_group_size: 1
    .uses_dynamic_stack: false
    .vgpr_count:     0
    .vgpr_spill_count: 0
    .wavefront_size: 32
    .workgroup_processor_mode: 1
  - .args:
      - .offset:         0
        .size:           128
        .value_kind:     by_value
    .group_segment_fixed_size: 6160
    .kernarg_segment_align: 8
    .kernarg_segment_size: 128
    .language:       OpenCL C
    .language_version:
      - 2
      - 0
    .max_flat_workgroup_size: 256
    .name:           _ZN7rocprim17ROCPRIM_400000_NS6detail17trampoline_kernelINS0_14default_configENS1_25partition_config_selectorILNS1_17partition_subalgoE5EtNS0_10empty_typeEbEEZZNS1_14partition_implILS5_5ELb0ES3_mN6thrust23THRUST_200600_302600_NS6detail15normal_iteratorINSA_10device_ptrItEEEEPS6_NSA_18transform_iteratorINSB_9not_fun_tI7is_trueItEEENSC_INSD_IbEEEENSA_11use_defaultESO_EENS0_5tupleIJNSA_16discard_iteratorISO_EES6_EEENSQ_IJSG_SG_EEES6_PlJS6_EEE10hipError_tPvRmT3_T4_T5_T6_T7_T9_mT8_P12ihipStream_tbDpT10_ENKUlT_T0_E_clISt17integral_constantIbLb0EES1F_EEDaS1A_S1B_EUlS1A_E_NS1_11comp_targetILNS1_3genE10ELNS1_11target_archE1200ELNS1_3gpuE4ELNS1_3repE0EEENS1_30default_config_static_selectorELNS0_4arch9wavefront6targetE0EEEvT1_
    .private_segment_fixed_size: 0
    .sgpr_count:     25
    .sgpr_spill_count: 0
    .symbol:         _ZN7rocprim17ROCPRIM_400000_NS6detail17trampoline_kernelINS0_14default_configENS1_25partition_config_selectorILNS1_17partition_subalgoE5EtNS0_10empty_typeEbEEZZNS1_14partition_implILS5_5ELb0ES3_mN6thrust23THRUST_200600_302600_NS6detail15normal_iteratorINSA_10device_ptrItEEEEPS6_NSA_18transform_iteratorINSB_9not_fun_tI7is_trueItEEENSC_INSD_IbEEEENSA_11use_defaultESO_EENS0_5tupleIJNSA_16discard_iteratorISO_EES6_EEENSQ_IJSG_SG_EEES6_PlJS6_EEE10hipError_tPvRmT3_T4_T5_T6_T7_T9_mT8_P12ihipStream_tbDpT10_ENKUlT_T0_E_clISt17integral_constantIbLb0EES1F_EEDaS1A_S1B_EUlS1A_E_NS1_11comp_targetILNS1_3genE10ELNS1_11target_archE1200ELNS1_3gpuE4ELNS1_3repE0EEENS1_30default_config_static_selectorELNS0_4arch9wavefront6targetE0EEEvT1_.kd
    .uniform_work_group_size: 1
    .uses_dynamic_stack: false
    .vgpr_count:     63
    .vgpr_spill_count: 0
    .wavefront_size: 32
    .workgroup_processor_mode: 1
  - .args:
      - .offset:         0
        .size:           128
        .value_kind:     by_value
    .group_segment_fixed_size: 0
    .kernarg_segment_align: 8
    .kernarg_segment_size: 128
    .language:       OpenCL C
    .language_version:
      - 2
      - 0
    .max_flat_workgroup_size: 128
    .name:           _ZN7rocprim17ROCPRIM_400000_NS6detail17trampoline_kernelINS0_14default_configENS1_25partition_config_selectorILNS1_17partition_subalgoE5EtNS0_10empty_typeEbEEZZNS1_14partition_implILS5_5ELb0ES3_mN6thrust23THRUST_200600_302600_NS6detail15normal_iteratorINSA_10device_ptrItEEEEPS6_NSA_18transform_iteratorINSB_9not_fun_tI7is_trueItEEENSC_INSD_IbEEEENSA_11use_defaultESO_EENS0_5tupleIJNSA_16discard_iteratorISO_EES6_EEENSQ_IJSG_SG_EEES6_PlJS6_EEE10hipError_tPvRmT3_T4_T5_T6_T7_T9_mT8_P12ihipStream_tbDpT10_ENKUlT_T0_E_clISt17integral_constantIbLb0EES1F_EEDaS1A_S1B_EUlS1A_E_NS1_11comp_targetILNS1_3genE9ELNS1_11target_archE1100ELNS1_3gpuE3ELNS1_3repE0EEENS1_30default_config_static_selectorELNS0_4arch9wavefront6targetE0EEEvT1_
    .private_segment_fixed_size: 0
    .sgpr_count:     0
    .sgpr_spill_count: 0
    .symbol:         _ZN7rocprim17ROCPRIM_400000_NS6detail17trampoline_kernelINS0_14default_configENS1_25partition_config_selectorILNS1_17partition_subalgoE5EtNS0_10empty_typeEbEEZZNS1_14partition_implILS5_5ELb0ES3_mN6thrust23THRUST_200600_302600_NS6detail15normal_iteratorINSA_10device_ptrItEEEEPS6_NSA_18transform_iteratorINSB_9not_fun_tI7is_trueItEEENSC_INSD_IbEEEENSA_11use_defaultESO_EENS0_5tupleIJNSA_16discard_iteratorISO_EES6_EEENSQ_IJSG_SG_EEES6_PlJS6_EEE10hipError_tPvRmT3_T4_T5_T6_T7_T9_mT8_P12ihipStream_tbDpT10_ENKUlT_T0_E_clISt17integral_constantIbLb0EES1F_EEDaS1A_S1B_EUlS1A_E_NS1_11comp_targetILNS1_3genE9ELNS1_11target_archE1100ELNS1_3gpuE3ELNS1_3repE0EEENS1_30default_config_static_selectorELNS0_4arch9wavefront6targetE0EEEvT1_.kd
    .uniform_work_group_size: 1
    .uses_dynamic_stack: false
    .vgpr_count:     0
    .vgpr_spill_count: 0
    .wavefront_size: 32
    .workgroup_processor_mode: 1
  - .args:
      - .offset:         0
        .size:           128
        .value_kind:     by_value
    .group_segment_fixed_size: 0
    .kernarg_segment_align: 8
    .kernarg_segment_size: 128
    .language:       OpenCL C
    .language_version:
      - 2
      - 0
    .max_flat_workgroup_size: 256
    .name:           _ZN7rocprim17ROCPRIM_400000_NS6detail17trampoline_kernelINS0_14default_configENS1_25partition_config_selectorILNS1_17partition_subalgoE5EtNS0_10empty_typeEbEEZZNS1_14partition_implILS5_5ELb0ES3_mN6thrust23THRUST_200600_302600_NS6detail15normal_iteratorINSA_10device_ptrItEEEEPS6_NSA_18transform_iteratorINSB_9not_fun_tI7is_trueItEEENSC_INSD_IbEEEENSA_11use_defaultESO_EENS0_5tupleIJNSA_16discard_iteratorISO_EES6_EEENSQ_IJSG_SG_EEES6_PlJS6_EEE10hipError_tPvRmT3_T4_T5_T6_T7_T9_mT8_P12ihipStream_tbDpT10_ENKUlT_T0_E_clISt17integral_constantIbLb0EES1F_EEDaS1A_S1B_EUlS1A_E_NS1_11comp_targetILNS1_3genE8ELNS1_11target_archE1030ELNS1_3gpuE2ELNS1_3repE0EEENS1_30default_config_static_selectorELNS0_4arch9wavefront6targetE0EEEvT1_
    .private_segment_fixed_size: 0
    .sgpr_count:     0
    .sgpr_spill_count: 0
    .symbol:         _ZN7rocprim17ROCPRIM_400000_NS6detail17trampoline_kernelINS0_14default_configENS1_25partition_config_selectorILNS1_17partition_subalgoE5EtNS0_10empty_typeEbEEZZNS1_14partition_implILS5_5ELb0ES3_mN6thrust23THRUST_200600_302600_NS6detail15normal_iteratorINSA_10device_ptrItEEEEPS6_NSA_18transform_iteratorINSB_9not_fun_tI7is_trueItEEENSC_INSD_IbEEEENSA_11use_defaultESO_EENS0_5tupleIJNSA_16discard_iteratorISO_EES6_EEENSQ_IJSG_SG_EEES6_PlJS6_EEE10hipError_tPvRmT3_T4_T5_T6_T7_T9_mT8_P12ihipStream_tbDpT10_ENKUlT_T0_E_clISt17integral_constantIbLb0EES1F_EEDaS1A_S1B_EUlS1A_E_NS1_11comp_targetILNS1_3genE8ELNS1_11target_archE1030ELNS1_3gpuE2ELNS1_3repE0EEENS1_30default_config_static_selectorELNS0_4arch9wavefront6targetE0EEEvT1_.kd
    .uniform_work_group_size: 1
    .uses_dynamic_stack: false
    .vgpr_count:     0
    .vgpr_spill_count: 0
    .wavefront_size: 32
    .workgroup_processor_mode: 1
  - .args:
      - .offset:         0
        .size:           144
        .value_kind:     by_value
    .group_segment_fixed_size: 0
    .kernarg_segment_align: 8
    .kernarg_segment_size: 144
    .language:       OpenCL C
    .language_version:
      - 2
      - 0
    .max_flat_workgroup_size: 256
    .name:           _ZN7rocprim17ROCPRIM_400000_NS6detail17trampoline_kernelINS0_14default_configENS1_25partition_config_selectorILNS1_17partition_subalgoE5EtNS0_10empty_typeEbEEZZNS1_14partition_implILS5_5ELb0ES3_mN6thrust23THRUST_200600_302600_NS6detail15normal_iteratorINSA_10device_ptrItEEEEPS6_NSA_18transform_iteratorINSB_9not_fun_tI7is_trueItEEENSC_INSD_IbEEEENSA_11use_defaultESO_EENS0_5tupleIJNSA_16discard_iteratorISO_EES6_EEENSQ_IJSG_SG_EEES6_PlJS6_EEE10hipError_tPvRmT3_T4_T5_T6_T7_T9_mT8_P12ihipStream_tbDpT10_ENKUlT_T0_E_clISt17integral_constantIbLb1EES1F_EEDaS1A_S1B_EUlS1A_E_NS1_11comp_targetILNS1_3genE0ELNS1_11target_archE4294967295ELNS1_3gpuE0ELNS1_3repE0EEENS1_30default_config_static_selectorELNS0_4arch9wavefront6targetE0EEEvT1_
    .private_segment_fixed_size: 0
    .sgpr_count:     0
    .sgpr_spill_count: 0
    .symbol:         _ZN7rocprim17ROCPRIM_400000_NS6detail17trampoline_kernelINS0_14default_configENS1_25partition_config_selectorILNS1_17partition_subalgoE5EtNS0_10empty_typeEbEEZZNS1_14partition_implILS5_5ELb0ES3_mN6thrust23THRUST_200600_302600_NS6detail15normal_iteratorINSA_10device_ptrItEEEEPS6_NSA_18transform_iteratorINSB_9not_fun_tI7is_trueItEEENSC_INSD_IbEEEENSA_11use_defaultESO_EENS0_5tupleIJNSA_16discard_iteratorISO_EES6_EEENSQ_IJSG_SG_EEES6_PlJS6_EEE10hipError_tPvRmT3_T4_T5_T6_T7_T9_mT8_P12ihipStream_tbDpT10_ENKUlT_T0_E_clISt17integral_constantIbLb1EES1F_EEDaS1A_S1B_EUlS1A_E_NS1_11comp_targetILNS1_3genE0ELNS1_11target_archE4294967295ELNS1_3gpuE0ELNS1_3repE0EEENS1_30default_config_static_selectorELNS0_4arch9wavefront6targetE0EEEvT1_.kd
    .uniform_work_group_size: 1
    .uses_dynamic_stack: false
    .vgpr_count:     0
    .vgpr_spill_count: 0
    .wavefront_size: 32
    .workgroup_processor_mode: 1
  - .args:
      - .offset:         0
        .size:           144
        .value_kind:     by_value
    .group_segment_fixed_size: 0
    .kernarg_segment_align: 8
    .kernarg_segment_size: 144
    .language:       OpenCL C
    .language_version:
      - 2
      - 0
    .max_flat_workgroup_size: 512
    .name:           _ZN7rocprim17ROCPRIM_400000_NS6detail17trampoline_kernelINS0_14default_configENS1_25partition_config_selectorILNS1_17partition_subalgoE5EtNS0_10empty_typeEbEEZZNS1_14partition_implILS5_5ELb0ES3_mN6thrust23THRUST_200600_302600_NS6detail15normal_iteratorINSA_10device_ptrItEEEEPS6_NSA_18transform_iteratorINSB_9not_fun_tI7is_trueItEEENSC_INSD_IbEEEENSA_11use_defaultESO_EENS0_5tupleIJNSA_16discard_iteratorISO_EES6_EEENSQ_IJSG_SG_EEES6_PlJS6_EEE10hipError_tPvRmT3_T4_T5_T6_T7_T9_mT8_P12ihipStream_tbDpT10_ENKUlT_T0_E_clISt17integral_constantIbLb1EES1F_EEDaS1A_S1B_EUlS1A_E_NS1_11comp_targetILNS1_3genE5ELNS1_11target_archE942ELNS1_3gpuE9ELNS1_3repE0EEENS1_30default_config_static_selectorELNS0_4arch9wavefront6targetE0EEEvT1_
    .private_segment_fixed_size: 0
    .sgpr_count:     0
    .sgpr_spill_count: 0
    .symbol:         _ZN7rocprim17ROCPRIM_400000_NS6detail17trampoline_kernelINS0_14default_configENS1_25partition_config_selectorILNS1_17partition_subalgoE5EtNS0_10empty_typeEbEEZZNS1_14partition_implILS5_5ELb0ES3_mN6thrust23THRUST_200600_302600_NS6detail15normal_iteratorINSA_10device_ptrItEEEEPS6_NSA_18transform_iteratorINSB_9not_fun_tI7is_trueItEEENSC_INSD_IbEEEENSA_11use_defaultESO_EENS0_5tupleIJNSA_16discard_iteratorISO_EES6_EEENSQ_IJSG_SG_EEES6_PlJS6_EEE10hipError_tPvRmT3_T4_T5_T6_T7_T9_mT8_P12ihipStream_tbDpT10_ENKUlT_T0_E_clISt17integral_constantIbLb1EES1F_EEDaS1A_S1B_EUlS1A_E_NS1_11comp_targetILNS1_3genE5ELNS1_11target_archE942ELNS1_3gpuE9ELNS1_3repE0EEENS1_30default_config_static_selectorELNS0_4arch9wavefront6targetE0EEEvT1_.kd
    .uniform_work_group_size: 1
    .uses_dynamic_stack: false
    .vgpr_count:     0
    .vgpr_spill_count: 0
    .wavefront_size: 32
    .workgroup_processor_mode: 1
  - .args:
      - .offset:         0
        .size:           144
        .value_kind:     by_value
    .group_segment_fixed_size: 0
    .kernarg_segment_align: 8
    .kernarg_segment_size: 144
    .language:       OpenCL C
    .language_version:
      - 2
      - 0
    .max_flat_workgroup_size: 256
    .name:           _ZN7rocprim17ROCPRIM_400000_NS6detail17trampoline_kernelINS0_14default_configENS1_25partition_config_selectorILNS1_17partition_subalgoE5EtNS0_10empty_typeEbEEZZNS1_14partition_implILS5_5ELb0ES3_mN6thrust23THRUST_200600_302600_NS6detail15normal_iteratorINSA_10device_ptrItEEEEPS6_NSA_18transform_iteratorINSB_9not_fun_tI7is_trueItEEENSC_INSD_IbEEEENSA_11use_defaultESO_EENS0_5tupleIJNSA_16discard_iteratorISO_EES6_EEENSQ_IJSG_SG_EEES6_PlJS6_EEE10hipError_tPvRmT3_T4_T5_T6_T7_T9_mT8_P12ihipStream_tbDpT10_ENKUlT_T0_E_clISt17integral_constantIbLb1EES1F_EEDaS1A_S1B_EUlS1A_E_NS1_11comp_targetILNS1_3genE4ELNS1_11target_archE910ELNS1_3gpuE8ELNS1_3repE0EEENS1_30default_config_static_selectorELNS0_4arch9wavefront6targetE0EEEvT1_
    .private_segment_fixed_size: 0
    .sgpr_count:     0
    .sgpr_spill_count: 0
    .symbol:         _ZN7rocprim17ROCPRIM_400000_NS6detail17trampoline_kernelINS0_14default_configENS1_25partition_config_selectorILNS1_17partition_subalgoE5EtNS0_10empty_typeEbEEZZNS1_14partition_implILS5_5ELb0ES3_mN6thrust23THRUST_200600_302600_NS6detail15normal_iteratorINSA_10device_ptrItEEEEPS6_NSA_18transform_iteratorINSB_9not_fun_tI7is_trueItEEENSC_INSD_IbEEEENSA_11use_defaultESO_EENS0_5tupleIJNSA_16discard_iteratorISO_EES6_EEENSQ_IJSG_SG_EEES6_PlJS6_EEE10hipError_tPvRmT3_T4_T5_T6_T7_T9_mT8_P12ihipStream_tbDpT10_ENKUlT_T0_E_clISt17integral_constantIbLb1EES1F_EEDaS1A_S1B_EUlS1A_E_NS1_11comp_targetILNS1_3genE4ELNS1_11target_archE910ELNS1_3gpuE8ELNS1_3repE0EEENS1_30default_config_static_selectorELNS0_4arch9wavefront6targetE0EEEvT1_.kd
    .uniform_work_group_size: 1
    .uses_dynamic_stack: false
    .vgpr_count:     0
    .vgpr_spill_count: 0
    .wavefront_size: 32
    .workgroup_processor_mode: 1
  - .args:
      - .offset:         0
        .size:           144
        .value_kind:     by_value
    .group_segment_fixed_size: 0
    .kernarg_segment_align: 8
    .kernarg_segment_size: 144
    .language:       OpenCL C
    .language_version:
      - 2
      - 0
    .max_flat_workgroup_size: 256
    .name:           _ZN7rocprim17ROCPRIM_400000_NS6detail17trampoline_kernelINS0_14default_configENS1_25partition_config_selectorILNS1_17partition_subalgoE5EtNS0_10empty_typeEbEEZZNS1_14partition_implILS5_5ELb0ES3_mN6thrust23THRUST_200600_302600_NS6detail15normal_iteratorINSA_10device_ptrItEEEEPS6_NSA_18transform_iteratorINSB_9not_fun_tI7is_trueItEEENSC_INSD_IbEEEENSA_11use_defaultESO_EENS0_5tupleIJNSA_16discard_iteratorISO_EES6_EEENSQ_IJSG_SG_EEES6_PlJS6_EEE10hipError_tPvRmT3_T4_T5_T6_T7_T9_mT8_P12ihipStream_tbDpT10_ENKUlT_T0_E_clISt17integral_constantIbLb1EES1F_EEDaS1A_S1B_EUlS1A_E_NS1_11comp_targetILNS1_3genE3ELNS1_11target_archE908ELNS1_3gpuE7ELNS1_3repE0EEENS1_30default_config_static_selectorELNS0_4arch9wavefront6targetE0EEEvT1_
    .private_segment_fixed_size: 0
    .sgpr_count:     0
    .sgpr_spill_count: 0
    .symbol:         _ZN7rocprim17ROCPRIM_400000_NS6detail17trampoline_kernelINS0_14default_configENS1_25partition_config_selectorILNS1_17partition_subalgoE5EtNS0_10empty_typeEbEEZZNS1_14partition_implILS5_5ELb0ES3_mN6thrust23THRUST_200600_302600_NS6detail15normal_iteratorINSA_10device_ptrItEEEEPS6_NSA_18transform_iteratorINSB_9not_fun_tI7is_trueItEEENSC_INSD_IbEEEENSA_11use_defaultESO_EENS0_5tupleIJNSA_16discard_iteratorISO_EES6_EEENSQ_IJSG_SG_EEES6_PlJS6_EEE10hipError_tPvRmT3_T4_T5_T6_T7_T9_mT8_P12ihipStream_tbDpT10_ENKUlT_T0_E_clISt17integral_constantIbLb1EES1F_EEDaS1A_S1B_EUlS1A_E_NS1_11comp_targetILNS1_3genE3ELNS1_11target_archE908ELNS1_3gpuE7ELNS1_3repE0EEENS1_30default_config_static_selectorELNS0_4arch9wavefront6targetE0EEEvT1_.kd
    .uniform_work_group_size: 1
    .uses_dynamic_stack: false
    .vgpr_count:     0
    .vgpr_spill_count: 0
    .wavefront_size: 32
    .workgroup_processor_mode: 1
  - .args:
      - .offset:         0
        .size:           144
        .value_kind:     by_value
    .group_segment_fixed_size: 0
    .kernarg_segment_align: 8
    .kernarg_segment_size: 144
    .language:       OpenCL C
    .language_version:
      - 2
      - 0
    .max_flat_workgroup_size: 256
    .name:           _ZN7rocprim17ROCPRIM_400000_NS6detail17trampoline_kernelINS0_14default_configENS1_25partition_config_selectorILNS1_17partition_subalgoE5EtNS0_10empty_typeEbEEZZNS1_14partition_implILS5_5ELb0ES3_mN6thrust23THRUST_200600_302600_NS6detail15normal_iteratorINSA_10device_ptrItEEEEPS6_NSA_18transform_iteratorINSB_9not_fun_tI7is_trueItEEENSC_INSD_IbEEEENSA_11use_defaultESO_EENS0_5tupleIJNSA_16discard_iteratorISO_EES6_EEENSQ_IJSG_SG_EEES6_PlJS6_EEE10hipError_tPvRmT3_T4_T5_T6_T7_T9_mT8_P12ihipStream_tbDpT10_ENKUlT_T0_E_clISt17integral_constantIbLb1EES1F_EEDaS1A_S1B_EUlS1A_E_NS1_11comp_targetILNS1_3genE2ELNS1_11target_archE906ELNS1_3gpuE6ELNS1_3repE0EEENS1_30default_config_static_selectorELNS0_4arch9wavefront6targetE0EEEvT1_
    .private_segment_fixed_size: 0
    .sgpr_count:     0
    .sgpr_spill_count: 0
    .symbol:         _ZN7rocprim17ROCPRIM_400000_NS6detail17trampoline_kernelINS0_14default_configENS1_25partition_config_selectorILNS1_17partition_subalgoE5EtNS0_10empty_typeEbEEZZNS1_14partition_implILS5_5ELb0ES3_mN6thrust23THRUST_200600_302600_NS6detail15normal_iteratorINSA_10device_ptrItEEEEPS6_NSA_18transform_iteratorINSB_9not_fun_tI7is_trueItEEENSC_INSD_IbEEEENSA_11use_defaultESO_EENS0_5tupleIJNSA_16discard_iteratorISO_EES6_EEENSQ_IJSG_SG_EEES6_PlJS6_EEE10hipError_tPvRmT3_T4_T5_T6_T7_T9_mT8_P12ihipStream_tbDpT10_ENKUlT_T0_E_clISt17integral_constantIbLb1EES1F_EEDaS1A_S1B_EUlS1A_E_NS1_11comp_targetILNS1_3genE2ELNS1_11target_archE906ELNS1_3gpuE6ELNS1_3repE0EEENS1_30default_config_static_selectorELNS0_4arch9wavefront6targetE0EEEvT1_.kd
    .uniform_work_group_size: 1
    .uses_dynamic_stack: false
    .vgpr_count:     0
    .vgpr_spill_count: 0
    .wavefront_size: 32
    .workgroup_processor_mode: 1
  - .args:
      - .offset:         0
        .size:           144
        .value_kind:     by_value
    .group_segment_fixed_size: 0
    .kernarg_segment_align: 8
    .kernarg_segment_size: 144
    .language:       OpenCL C
    .language_version:
      - 2
      - 0
    .max_flat_workgroup_size: 256
    .name:           _ZN7rocprim17ROCPRIM_400000_NS6detail17trampoline_kernelINS0_14default_configENS1_25partition_config_selectorILNS1_17partition_subalgoE5EtNS0_10empty_typeEbEEZZNS1_14partition_implILS5_5ELb0ES3_mN6thrust23THRUST_200600_302600_NS6detail15normal_iteratorINSA_10device_ptrItEEEEPS6_NSA_18transform_iteratorINSB_9not_fun_tI7is_trueItEEENSC_INSD_IbEEEENSA_11use_defaultESO_EENS0_5tupleIJNSA_16discard_iteratorISO_EES6_EEENSQ_IJSG_SG_EEES6_PlJS6_EEE10hipError_tPvRmT3_T4_T5_T6_T7_T9_mT8_P12ihipStream_tbDpT10_ENKUlT_T0_E_clISt17integral_constantIbLb1EES1F_EEDaS1A_S1B_EUlS1A_E_NS1_11comp_targetILNS1_3genE10ELNS1_11target_archE1200ELNS1_3gpuE4ELNS1_3repE0EEENS1_30default_config_static_selectorELNS0_4arch9wavefront6targetE0EEEvT1_
    .private_segment_fixed_size: 0
    .sgpr_count:     0
    .sgpr_spill_count: 0
    .symbol:         _ZN7rocprim17ROCPRIM_400000_NS6detail17trampoline_kernelINS0_14default_configENS1_25partition_config_selectorILNS1_17partition_subalgoE5EtNS0_10empty_typeEbEEZZNS1_14partition_implILS5_5ELb0ES3_mN6thrust23THRUST_200600_302600_NS6detail15normal_iteratorINSA_10device_ptrItEEEEPS6_NSA_18transform_iteratorINSB_9not_fun_tI7is_trueItEEENSC_INSD_IbEEEENSA_11use_defaultESO_EENS0_5tupleIJNSA_16discard_iteratorISO_EES6_EEENSQ_IJSG_SG_EEES6_PlJS6_EEE10hipError_tPvRmT3_T4_T5_T6_T7_T9_mT8_P12ihipStream_tbDpT10_ENKUlT_T0_E_clISt17integral_constantIbLb1EES1F_EEDaS1A_S1B_EUlS1A_E_NS1_11comp_targetILNS1_3genE10ELNS1_11target_archE1200ELNS1_3gpuE4ELNS1_3repE0EEENS1_30default_config_static_selectorELNS0_4arch9wavefront6targetE0EEEvT1_.kd
    .uniform_work_group_size: 1
    .uses_dynamic_stack: false
    .vgpr_count:     0
    .vgpr_spill_count: 0
    .wavefront_size: 32
    .workgroup_processor_mode: 1
  - .args:
      - .offset:         0
        .size:           144
        .value_kind:     by_value
    .group_segment_fixed_size: 0
    .kernarg_segment_align: 8
    .kernarg_segment_size: 144
    .language:       OpenCL C
    .language_version:
      - 2
      - 0
    .max_flat_workgroup_size: 128
    .name:           _ZN7rocprim17ROCPRIM_400000_NS6detail17trampoline_kernelINS0_14default_configENS1_25partition_config_selectorILNS1_17partition_subalgoE5EtNS0_10empty_typeEbEEZZNS1_14partition_implILS5_5ELb0ES3_mN6thrust23THRUST_200600_302600_NS6detail15normal_iteratorINSA_10device_ptrItEEEEPS6_NSA_18transform_iteratorINSB_9not_fun_tI7is_trueItEEENSC_INSD_IbEEEENSA_11use_defaultESO_EENS0_5tupleIJNSA_16discard_iteratorISO_EES6_EEENSQ_IJSG_SG_EEES6_PlJS6_EEE10hipError_tPvRmT3_T4_T5_T6_T7_T9_mT8_P12ihipStream_tbDpT10_ENKUlT_T0_E_clISt17integral_constantIbLb1EES1F_EEDaS1A_S1B_EUlS1A_E_NS1_11comp_targetILNS1_3genE9ELNS1_11target_archE1100ELNS1_3gpuE3ELNS1_3repE0EEENS1_30default_config_static_selectorELNS0_4arch9wavefront6targetE0EEEvT1_
    .private_segment_fixed_size: 0
    .sgpr_count:     0
    .sgpr_spill_count: 0
    .symbol:         _ZN7rocprim17ROCPRIM_400000_NS6detail17trampoline_kernelINS0_14default_configENS1_25partition_config_selectorILNS1_17partition_subalgoE5EtNS0_10empty_typeEbEEZZNS1_14partition_implILS5_5ELb0ES3_mN6thrust23THRUST_200600_302600_NS6detail15normal_iteratorINSA_10device_ptrItEEEEPS6_NSA_18transform_iteratorINSB_9not_fun_tI7is_trueItEEENSC_INSD_IbEEEENSA_11use_defaultESO_EENS0_5tupleIJNSA_16discard_iteratorISO_EES6_EEENSQ_IJSG_SG_EEES6_PlJS6_EEE10hipError_tPvRmT3_T4_T5_T6_T7_T9_mT8_P12ihipStream_tbDpT10_ENKUlT_T0_E_clISt17integral_constantIbLb1EES1F_EEDaS1A_S1B_EUlS1A_E_NS1_11comp_targetILNS1_3genE9ELNS1_11target_archE1100ELNS1_3gpuE3ELNS1_3repE0EEENS1_30default_config_static_selectorELNS0_4arch9wavefront6targetE0EEEvT1_.kd
    .uniform_work_group_size: 1
    .uses_dynamic_stack: false
    .vgpr_count:     0
    .vgpr_spill_count: 0
    .wavefront_size: 32
    .workgroup_processor_mode: 1
  - .args:
      - .offset:         0
        .size:           144
        .value_kind:     by_value
    .group_segment_fixed_size: 0
    .kernarg_segment_align: 8
    .kernarg_segment_size: 144
    .language:       OpenCL C
    .language_version:
      - 2
      - 0
    .max_flat_workgroup_size: 256
    .name:           _ZN7rocprim17ROCPRIM_400000_NS6detail17trampoline_kernelINS0_14default_configENS1_25partition_config_selectorILNS1_17partition_subalgoE5EtNS0_10empty_typeEbEEZZNS1_14partition_implILS5_5ELb0ES3_mN6thrust23THRUST_200600_302600_NS6detail15normal_iteratorINSA_10device_ptrItEEEEPS6_NSA_18transform_iteratorINSB_9not_fun_tI7is_trueItEEENSC_INSD_IbEEEENSA_11use_defaultESO_EENS0_5tupleIJNSA_16discard_iteratorISO_EES6_EEENSQ_IJSG_SG_EEES6_PlJS6_EEE10hipError_tPvRmT3_T4_T5_T6_T7_T9_mT8_P12ihipStream_tbDpT10_ENKUlT_T0_E_clISt17integral_constantIbLb1EES1F_EEDaS1A_S1B_EUlS1A_E_NS1_11comp_targetILNS1_3genE8ELNS1_11target_archE1030ELNS1_3gpuE2ELNS1_3repE0EEENS1_30default_config_static_selectorELNS0_4arch9wavefront6targetE0EEEvT1_
    .private_segment_fixed_size: 0
    .sgpr_count:     0
    .sgpr_spill_count: 0
    .symbol:         _ZN7rocprim17ROCPRIM_400000_NS6detail17trampoline_kernelINS0_14default_configENS1_25partition_config_selectorILNS1_17partition_subalgoE5EtNS0_10empty_typeEbEEZZNS1_14partition_implILS5_5ELb0ES3_mN6thrust23THRUST_200600_302600_NS6detail15normal_iteratorINSA_10device_ptrItEEEEPS6_NSA_18transform_iteratorINSB_9not_fun_tI7is_trueItEEENSC_INSD_IbEEEENSA_11use_defaultESO_EENS0_5tupleIJNSA_16discard_iteratorISO_EES6_EEENSQ_IJSG_SG_EEES6_PlJS6_EEE10hipError_tPvRmT3_T4_T5_T6_T7_T9_mT8_P12ihipStream_tbDpT10_ENKUlT_T0_E_clISt17integral_constantIbLb1EES1F_EEDaS1A_S1B_EUlS1A_E_NS1_11comp_targetILNS1_3genE8ELNS1_11target_archE1030ELNS1_3gpuE2ELNS1_3repE0EEENS1_30default_config_static_selectorELNS0_4arch9wavefront6targetE0EEEvT1_.kd
    .uniform_work_group_size: 1
    .uses_dynamic_stack: false
    .vgpr_count:     0
    .vgpr_spill_count: 0
    .wavefront_size: 32
    .workgroup_processor_mode: 1
  - .args:
      - .offset:         0
        .size:           128
        .value_kind:     by_value
    .group_segment_fixed_size: 0
    .kernarg_segment_align: 8
    .kernarg_segment_size: 128
    .language:       OpenCL C
    .language_version:
      - 2
      - 0
    .max_flat_workgroup_size: 256
    .name:           _ZN7rocprim17ROCPRIM_400000_NS6detail17trampoline_kernelINS0_14default_configENS1_25partition_config_selectorILNS1_17partition_subalgoE5EtNS0_10empty_typeEbEEZZNS1_14partition_implILS5_5ELb0ES3_mN6thrust23THRUST_200600_302600_NS6detail15normal_iteratorINSA_10device_ptrItEEEEPS6_NSA_18transform_iteratorINSB_9not_fun_tI7is_trueItEEENSC_INSD_IbEEEENSA_11use_defaultESO_EENS0_5tupleIJNSA_16discard_iteratorISO_EES6_EEENSQ_IJSG_SG_EEES6_PlJS6_EEE10hipError_tPvRmT3_T4_T5_T6_T7_T9_mT8_P12ihipStream_tbDpT10_ENKUlT_T0_E_clISt17integral_constantIbLb1EES1E_IbLb0EEEEDaS1A_S1B_EUlS1A_E_NS1_11comp_targetILNS1_3genE0ELNS1_11target_archE4294967295ELNS1_3gpuE0ELNS1_3repE0EEENS1_30default_config_static_selectorELNS0_4arch9wavefront6targetE0EEEvT1_
    .private_segment_fixed_size: 0
    .sgpr_count:     0
    .sgpr_spill_count: 0
    .symbol:         _ZN7rocprim17ROCPRIM_400000_NS6detail17trampoline_kernelINS0_14default_configENS1_25partition_config_selectorILNS1_17partition_subalgoE5EtNS0_10empty_typeEbEEZZNS1_14partition_implILS5_5ELb0ES3_mN6thrust23THRUST_200600_302600_NS6detail15normal_iteratorINSA_10device_ptrItEEEEPS6_NSA_18transform_iteratorINSB_9not_fun_tI7is_trueItEEENSC_INSD_IbEEEENSA_11use_defaultESO_EENS0_5tupleIJNSA_16discard_iteratorISO_EES6_EEENSQ_IJSG_SG_EEES6_PlJS6_EEE10hipError_tPvRmT3_T4_T5_T6_T7_T9_mT8_P12ihipStream_tbDpT10_ENKUlT_T0_E_clISt17integral_constantIbLb1EES1E_IbLb0EEEEDaS1A_S1B_EUlS1A_E_NS1_11comp_targetILNS1_3genE0ELNS1_11target_archE4294967295ELNS1_3gpuE0ELNS1_3repE0EEENS1_30default_config_static_selectorELNS0_4arch9wavefront6targetE0EEEvT1_.kd
    .uniform_work_group_size: 1
    .uses_dynamic_stack: false
    .vgpr_count:     0
    .vgpr_spill_count: 0
    .wavefront_size: 32
    .workgroup_processor_mode: 1
  - .args:
      - .offset:         0
        .size:           128
        .value_kind:     by_value
    .group_segment_fixed_size: 0
    .kernarg_segment_align: 8
    .kernarg_segment_size: 128
    .language:       OpenCL C
    .language_version:
      - 2
      - 0
    .max_flat_workgroup_size: 512
    .name:           _ZN7rocprim17ROCPRIM_400000_NS6detail17trampoline_kernelINS0_14default_configENS1_25partition_config_selectorILNS1_17partition_subalgoE5EtNS0_10empty_typeEbEEZZNS1_14partition_implILS5_5ELb0ES3_mN6thrust23THRUST_200600_302600_NS6detail15normal_iteratorINSA_10device_ptrItEEEEPS6_NSA_18transform_iteratorINSB_9not_fun_tI7is_trueItEEENSC_INSD_IbEEEENSA_11use_defaultESO_EENS0_5tupleIJNSA_16discard_iteratorISO_EES6_EEENSQ_IJSG_SG_EEES6_PlJS6_EEE10hipError_tPvRmT3_T4_T5_T6_T7_T9_mT8_P12ihipStream_tbDpT10_ENKUlT_T0_E_clISt17integral_constantIbLb1EES1E_IbLb0EEEEDaS1A_S1B_EUlS1A_E_NS1_11comp_targetILNS1_3genE5ELNS1_11target_archE942ELNS1_3gpuE9ELNS1_3repE0EEENS1_30default_config_static_selectorELNS0_4arch9wavefront6targetE0EEEvT1_
    .private_segment_fixed_size: 0
    .sgpr_count:     0
    .sgpr_spill_count: 0
    .symbol:         _ZN7rocprim17ROCPRIM_400000_NS6detail17trampoline_kernelINS0_14default_configENS1_25partition_config_selectorILNS1_17partition_subalgoE5EtNS0_10empty_typeEbEEZZNS1_14partition_implILS5_5ELb0ES3_mN6thrust23THRUST_200600_302600_NS6detail15normal_iteratorINSA_10device_ptrItEEEEPS6_NSA_18transform_iteratorINSB_9not_fun_tI7is_trueItEEENSC_INSD_IbEEEENSA_11use_defaultESO_EENS0_5tupleIJNSA_16discard_iteratorISO_EES6_EEENSQ_IJSG_SG_EEES6_PlJS6_EEE10hipError_tPvRmT3_T4_T5_T6_T7_T9_mT8_P12ihipStream_tbDpT10_ENKUlT_T0_E_clISt17integral_constantIbLb1EES1E_IbLb0EEEEDaS1A_S1B_EUlS1A_E_NS1_11comp_targetILNS1_3genE5ELNS1_11target_archE942ELNS1_3gpuE9ELNS1_3repE0EEENS1_30default_config_static_selectorELNS0_4arch9wavefront6targetE0EEEvT1_.kd
    .uniform_work_group_size: 1
    .uses_dynamic_stack: false
    .vgpr_count:     0
    .vgpr_spill_count: 0
    .wavefront_size: 32
    .workgroup_processor_mode: 1
  - .args:
      - .offset:         0
        .size:           128
        .value_kind:     by_value
    .group_segment_fixed_size: 0
    .kernarg_segment_align: 8
    .kernarg_segment_size: 128
    .language:       OpenCL C
    .language_version:
      - 2
      - 0
    .max_flat_workgroup_size: 256
    .name:           _ZN7rocprim17ROCPRIM_400000_NS6detail17trampoline_kernelINS0_14default_configENS1_25partition_config_selectorILNS1_17partition_subalgoE5EtNS0_10empty_typeEbEEZZNS1_14partition_implILS5_5ELb0ES3_mN6thrust23THRUST_200600_302600_NS6detail15normal_iteratorINSA_10device_ptrItEEEEPS6_NSA_18transform_iteratorINSB_9not_fun_tI7is_trueItEEENSC_INSD_IbEEEENSA_11use_defaultESO_EENS0_5tupleIJNSA_16discard_iteratorISO_EES6_EEENSQ_IJSG_SG_EEES6_PlJS6_EEE10hipError_tPvRmT3_T4_T5_T6_T7_T9_mT8_P12ihipStream_tbDpT10_ENKUlT_T0_E_clISt17integral_constantIbLb1EES1E_IbLb0EEEEDaS1A_S1B_EUlS1A_E_NS1_11comp_targetILNS1_3genE4ELNS1_11target_archE910ELNS1_3gpuE8ELNS1_3repE0EEENS1_30default_config_static_selectorELNS0_4arch9wavefront6targetE0EEEvT1_
    .private_segment_fixed_size: 0
    .sgpr_count:     0
    .sgpr_spill_count: 0
    .symbol:         _ZN7rocprim17ROCPRIM_400000_NS6detail17trampoline_kernelINS0_14default_configENS1_25partition_config_selectorILNS1_17partition_subalgoE5EtNS0_10empty_typeEbEEZZNS1_14partition_implILS5_5ELb0ES3_mN6thrust23THRUST_200600_302600_NS6detail15normal_iteratorINSA_10device_ptrItEEEEPS6_NSA_18transform_iteratorINSB_9not_fun_tI7is_trueItEEENSC_INSD_IbEEEENSA_11use_defaultESO_EENS0_5tupleIJNSA_16discard_iteratorISO_EES6_EEENSQ_IJSG_SG_EEES6_PlJS6_EEE10hipError_tPvRmT3_T4_T5_T6_T7_T9_mT8_P12ihipStream_tbDpT10_ENKUlT_T0_E_clISt17integral_constantIbLb1EES1E_IbLb0EEEEDaS1A_S1B_EUlS1A_E_NS1_11comp_targetILNS1_3genE4ELNS1_11target_archE910ELNS1_3gpuE8ELNS1_3repE0EEENS1_30default_config_static_selectorELNS0_4arch9wavefront6targetE0EEEvT1_.kd
    .uniform_work_group_size: 1
    .uses_dynamic_stack: false
    .vgpr_count:     0
    .vgpr_spill_count: 0
    .wavefront_size: 32
    .workgroup_processor_mode: 1
  - .args:
      - .offset:         0
        .size:           128
        .value_kind:     by_value
    .group_segment_fixed_size: 0
    .kernarg_segment_align: 8
    .kernarg_segment_size: 128
    .language:       OpenCL C
    .language_version:
      - 2
      - 0
    .max_flat_workgroup_size: 256
    .name:           _ZN7rocprim17ROCPRIM_400000_NS6detail17trampoline_kernelINS0_14default_configENS1_25partition_config_selectorILNS1_17partition_subalgoE5EtNS0_10empty_typeEbEEZZNS1_14partition_implILS5_5ELb0ES3_mN6thrust23THRUST_200600_302600_NS6detail15normal_iteratorINSA_10device_ptrItEEEEPS6_NSA_18transform_iteratorINSB_9not_fun_tI7is_trueItEEENSC_INSD_IbEEEENSA_11use_defaultESO_EENS0_5tupleIJNSA_16discard_iteratorISO_EES6_EEENSQ_IJSG_SG_EEES6_PlJS6_EEE10hipError_tPvRmT3_T4_T5_T6_T7_T9_mT8_P12ihipStream_tbDpT10_ENKUlT_T0_E_clISt17integral_constantIbLb1EES1E_IbLb0EEEEDaS1A_S1B_EUlS1A_E_NS1_11comp_targetILNS1_3genE3ELNS1_11target_archE908ELNS1_3gpuE7ELNS1_3repE0EEENS1_30default_config_static_selectorELNS0_4arch9wavefront6targetE0EEEvT1_
    .private_segment_fixed_size: 0
    .sgpr_count:     0
    .sgpr_spill_count: 0
    .symbol:         _ZN7rocprim17ROCPRIM_400000_NS6detail17trampoline_kernelINS0_14default_configENS1_25partition_config_selectorILNS1_17partition_subalgoE5EtNS0_10empty_typeEbEEZZNS1_14partition_implILS5_5ELb0ES3_mN6thrust23THRUST_200600_302600_NS6detail15normal_iteratorINSA_10device_ptrItEEEEPS6_NSA_18transform_iteratorINSB_9not_fun_tI7is_trueItEEENSC_INSD_IbEEEENSA_11use_defaultESO_EENS0_5tupleIJNSA_16discard_iteratorISO_EES6_EEENSQ_IJSG_SG_EEES6_PlJS6_EEE10hipError_tPvRmT3_T4_T5_T6_T7_T9_mT8_P12ihipStream_tbDpT10_ENKUlT_T0_E_clISt17integral_constantIbLb1EES1E_IbLb0EEEEDaS1A_S1B_EUlS1A_E_NS1_11comp_targetILNS1_3genE3ELNS1_11target_archE908ELNS1_3gpuE7ELNS1_3repE0EEENS1_30default_config_static_selectorELNS0_4arch9wavefront6targetE0EEEvT1_.kd
    .uniform_work_group_size: 1
    .uses_dynamic_stack: false
    .vgpr_count:     0
    .vgpr_spill_count: 0
    .wavefront_size: 32
    .workgroup_processor_mode: 1
  - .args:
      - .offset:         0
        .size:           128
        .value_kind:     by_value
    .group_segment_fixed_size: 0
    .kernarg_segment_align: 8
    .kernarg_segment_size: 128
    .language:       OpenCL C
    .language_version:
      - 2
      - 0
    .max_flat_workgroup_size: 256
    .name:           _ZN7rocprim17ROCPRIM_400000_NS6detail17trampoline_kernelINS0_14default_configENS1_25partition_config_selectorILNS1_17partition_subalgoE5EtNS0_10empty_typeEbEEZZNS1_14partition_implILS5_5ELb0ES3_mN6thrust23THRUST_200600_302600_NS6detail15normal_iteratorINSA_10device_ptrItEEEEPS6_NSA_18transform_iteratorINSB_9not_fun_tI7is_trueItEEENSC_INSD_IbEEEENSA_11use_defaultESO_EENS0_5tupleIJNSA_16discard_iteratorISO_EES6_EEENSQ_IJSG_SG_EEES6_PlJS6_EEE10hipError_tPvRmT3_T4_T5_T6_T7_T9_mT8_P12ihipStream_tbDpT10_ENKUlT_T0_E_clISt17integral_constantIbLb1EES1E_IbLb0EEEEDaS1A_S1B_EUlS1A_E_NS1_11comp_targetILNS1_3genE2ELNS1_11target_archE906ELNS1_3gpuE6ELNS1_3repE0EEENS1_30default_config_static_selectorELNS0_4arch9wavefront6targetE0EEEvT1_
    .private_segment_fixed_size: 0
    .sgpr_count:     0
    .sgpr_spill_count: 0
    .symbol:         _ZN7rocprim17ROCPRIM_400000_NS6detail17trampoline_kernelINS0_14default_configENS1_25partition_config_selectorILNS1_17partition_subalgoE5EtNS0_10empty_typeEbEEZZNS1_14partition_implILS5_5ELb0ES3_mN6thrust23THRUST_200600_302600_NS6detail15normal_iteratorINSA_10device_ptrItEEEEPS6_NSA_18transform_iteratorINSB_9not_fun_tI7is_trueItEEENSC_INSD_IbEEEENSA_11use_defaultESO_EENS0_5tupleIJNSA_16discard_iteratorISO_EES6_EEENSQ_IJSG_SG_EEES6_PlJS6_EEE10hipError_tPvRmT3_T4_T5_T6_T7_T9_mT8_P12ihipStream_tbDpT10_ENKUlT_T0_E_clISt17integral_constantIbLb1EES1E_IbLb0EEEEDaS1A_S1B_EUlS1A_E_NS1_11comp_targetILNS1_3genE2ELNS1_11target_archE906ELNS1_3gpuE6ELNS1_3repE0EEENS1_30default_config_static_selectorELNS0_4arch9wavefront6targetE0EEEvT1_.kd
    .uniform_work_group_size: 1
    .uses_dynamic_stack: false
    .vgpr_count:     0
    .vgpr_spill_count: 0
    .wavefront_size: 32
    .workgroup_processor_mode: 1
  - .args:
      - .offset:         0
        .size:           128
        .value_kind:     by_value
    .group_segment_fixed_size: 0
    .kernarg_segment_align: 8
    .kernarg_segment_size: 128
    .language:       OpenCL C
    .language_version:
      - 2
      - 0
    .max_flat_workgroup_size: 256
    .name:           _ZN7rocprim17ROCPRIM_400000_NS6detail17trampoline_kernelINS0_14default_configENS1_25partition_config_selectorILNS1_17partition_subalgoE5EtNS0_10empty_typeEbEEZZNS1_14partition_implILS5_5ELb0ES3_mN6thrust23THRUST_200600_302600_NS6detail15normal_iteratorINSA_10device_ptrItEEEEPS6_NSA_18transform_iteratorINSB_9not_fun_tI7is_trueItEEENSC_INSD_IbEEEENSA_11use_defaultESO_EENS0_5tupleIJNSA_16discard_iteratorISO_EES6_EEENSQ_IJSG_SG_EEES6_PlJS6_EEE10hipError_tPvRmT3_T4_T5_T6_T7_T9_mT8_P12ihipStream_tbDpT10_ENKUlT_T0_E_clISt17integral_constantIbLb1EES1E_IbLb0EEEEDaS1A_S1B_EUlS1A_E_NS1_11comp_targetILNS1_3genE10ELNS1_11target_archE1200ELNS1_3gpuE4ELNS1_3repE0EEENS1_30default_config_static_selectorELNS0_4arch9wavefront6targetE0EEEvT1_
    .private_segment_fixed_size: 0
    .sgpr_count:     0
    .sgpr_spill_count: 0
    .symbol:         _ZN7rocprim17ROCPRIM_400000_NS6detail17trampoline_kernelINS0_14default_configENS1_25partition_config_selectorILNS1_17partition_subalgoE5EtNS0_10empty_typeEbEEZZNS1_14partition_implILS5_5ELb0ES3_mN6thrust23THRUST_200600_302600_NS6detail15normal_iteratorINSA_10device_ptrItEEEEPS6_NSA_18transform_iteratorINSB_9not_fun_tI7is_trueItEEENSC_INSD_IbEEEENSA_11use_defaultESO_EENS0_5tupleIJNSA_16discard_iteratorISO_EES6_EEENSQ_IJSG_SG_EEES6_PlJS6_EEE10hipError_tPvRmT3_T4_T5_T6_T7_T9_mT8_P12ihipStream_tbDpT10_ENKUlT_T0_E_clISt17integral_constantIbLb1EES1E_IbLb0EEEEDaS1A_S1B_EUlS1A_E_NS1_11comp_targetILNS1_3genE10ELNS1_11target_archE1200ELNS1_3gpuE4ELNS1_3repE0EEENS1_30default_config_static_selectorELNS0_4arch9wavefront6targetE0EEEvT1_.kd
    .uniform_work_group_size: 1
    .uses_dynamic_stack: false
    .vgpr_count:     0
    .vgpr_spill_count: 0
    .wavefront_size: 32
    .workgroup_processor_mode: 1
  - .args:
      - .offset:         0
        .size:           128
        .value_kind:     by_value
    .group_segment_fixed_size: 0
    .kernarg_segment_align: 8
    .kernarg_segment_size: 128
    .language:       OpenCL C
    .language_version:
      - 2
      - 0
    .max_flat_workgroup_size: 128
    .name:           _ZN7rocprim17ROCPRIM_400000_NS6detail17trampoline_kernelINS0_14default_configENS1_25partition_config_selectorILNS1_17partition_subalgoE5EtNS0_10empty_typeEbEEZZNS1_14partition_implILS5_5ELb0ES3_mN6thrust23THRUST_200600_302600_NS6detail15normal_iteratorINSA_10device_ptrItEEEEPS6_NSA_18transform_iteratorINSB_9not_fun_tI7is_trueItEEENSC_INSD_IbEEEENSA_11use_defaultESO_EENS0_5tupleIJNSA_16discard_iteratorISO_EES6_EEENSQ_IJSG_SG_EEES6_PlJS6_EEE10hipError_tPvRmT3_T4_T5_T6_T7_T9_mT8_P12ihipStream_tbDpT10_ENKUlT_T0_E_clISt17integral_constantIbLb1EES1E_IbLb0EEEEDaS1A_S1B_EUlS1A_E_NS1_11comp_targetILNS1_3genE9ELNS1_11target_archE1100ELNS1_3gpuE3ELNS1_3repE0EEENS1_30default_config_static_selectorELNS0_4arch9wavefront6targetE0EEEvT1_
    .private_segment_fixed_size: 0
    .sgpr_count:     0
    .sgpr_spill_count: 0
    .symbol:         _ZN7rocprim17ROCPRIM_400000_NS6detail17trampoline_kernelINS0_14default_configENS1_25partition_config_selectorILNS1_17partition_subalgoE5EtNS0_10empty_typeEbEEZZNS1_14partition_implILS5_5ELb0ES3_mN6thrust23THRUST_200600_302600_NS6detail15normal_iteratorINSA_10device_ptrItEEEEPS6_NSA_18transform_iteratorINSB_9not_fun_tI7is_trueItEEENSC_INSD_IbEEEENSA_11use_defaultESO_EENS0_5tupleIJNSA_16discard_iteratorISO_EES6_EEENSQ_IJSG_SG_EEES6_PlJS6_EEE10hipError_tPvRmT3_T4_T5_T6_T7_T9_mT8_P12ihipStream_tbDpT10_ENKUlT_T0_E_clISt17integral_constantIbLb1EES1E_IbLb0EEEEDaS1A_S1B_EUlS1A_E_NS1_11comp_targetILNS1_3genE9ELNS1_11target_archE1100ELNS1_3gpuE3ELNS1_3repE0EEENS1_30default_config_static_selectorELNS0_4arch9wavefront6targetE0EEEvT1_.kd
    .uniform_work_group_size: 1
    .uses_dynamic_stack: false
    .vgpr_count:     0
    .vgpr_spill_count: 0
    .wavefront_size: 32
    .workgroup_processor_mode: 1
  - .args:
      - .offset:         0
        .size:           128
        .value_kind:     by_value
    .group_segment_fixed_size: 0
    .kernarg_segment_align: 8
    .kernarg_segment_size: 128
    .language:       OpenCL C
    .language_version:
      - 2
      - 0
    .max_flat_workgroup_size: 256
    .name:           _ZN7rocprim17ROCPRIM_400000_NS6detail17trampoline_kernelINS0_14default_configENS1_25partition_config_selectorILNS1_17partition_subalgoE5EtNS0_10empty_typeEbEEZZNS1_14partition_implILS5_5ELb0ES3_mN6thrust23THRUST_200600_302600_NS6detail15normal_iteratorINSA_10device_ptrItEEEEPS6_NSA_18transform_iteratorINSB_9not_fun_tI7is_trueItEEENSC_INSD_IbEEEENSA_11use_defaultESO_EENS0_5tupleIJNSA_16discard_iteratorISO_EES6_EEENSQ_IJSG_SG_EEES6_PlJS6_EEE10hipError_tPvRmT3_T4_T5_T6_T7_T9_mT8_P12ihipStream_tbDpT10_ENKUlT_T0_E_clISt17integral_constantIbLb1EES1E_IbLb0EEEEDaS1A_S1B_EUlS1A_E_NS1_11comp_targetILNS1_3genE8ELNS1_11target_archE1030ELNS1_3gpuE2ELNS1_3repE0EEENS1_30default_config_static_selectorELNS0_4arch9wavefront6targetE0EEEvT1_
    .private_segment_fixed_size: 0
    .sgpr_count:     0
    .sgpr_spill_count: 0
    .symbol:         _ZN7rocprim17ROCPRIM_400000_NS6detail17trampoline_kernelINS0_14default_configENS1_25partition_config_selectorILNS1_17partition_subalgoE5EtNS0_10empty_typeEbEEZZNS1_14partition_implILS5_5ELb0ES3_mN6thrust23THRUST_200600_302600_NS6detail15normal_iteratorINSA_10device_ptrItEEEEPS6_NSA_18transform_iteratorINSB_9not_fun_tI7is_trueItEEENSC_INSD_IbEEEENSA_11use_defaultESO_EENS0_5tupleIJNSA_16discard_iteratorISO_EES6_EEENSQ_IJSG_SG_EEES6_PlJS6_EEE10hipError_tPvRmT3_T4_T5_T6_T7_T9_mT8_P12ihipStream_tbDpT10_ENKUlT_T0_E_clISt17integral_constantIbLb1EES1E_IbLb0EEEEDaS1A_S1B_EUlS1A_E_NS1_11comp_targetILNS1_3genE8ELNS1_11target_archE1030ELNS1_3gpuE2ELNS1_3repE0EEENS1_30default_config_static_selectorELNS0_4arch9wavefront6targetE0EEEvT1_.kd
    .uniform_work_group_size: 1
    .uses_dynamic_stack: false
    .vgpr_count:     0
    .vgpr_spill_count: 0
    .wavefront_size: 32
    .workgroup_processor_mode: 1
  - .args:
      - .offset:         0
        .size:           144
        .value_kind:     by_value
    .group_segment_fixed_size: 0
    .kernarg_segment_align: 8
    .kernarg_segment_size: 144
    .language:       OpenCL C
    .language_version:
      - 2
      - 0
    .max_flat_workgroup_size: 256
    .name:           _ZN7rocprim17ROCPRIM_400000_NS6detail17trampoline_kernelINS0_14default_configENS1_25partition_config_selectorILNS1_17partition_subalgoE5EtNS0_10empty_typeEbEEZZNS1_14partition_implILS5_5ELb0ES3_mN6thrust23THRUST_200600_302600_NS6detail15normal_iteratorINSA_10device_ptrItEEEEPS6_NSA_18transform_iteratorINSB_9not_fun_tI7is_trueItEEENSC_INSD_IbEEEENSA_11use_defaultESO_EENS0_5tupleIJNSA_16discard_iteratorISO_EES6_EEENSQ_IJSG_SG_EEES6_PlJS6_EEE10hipError_tPvRmT3_T4_T5_T6_T7_T9_mT8_P12ihipStream_tbDpT10_ENKUlT_T0_E_clISt17integral_constantIbLb0EES1E_IbLb1EEEEDaS1A_S1B_EUlS1A_E_NS1_11comp_targetILNS1_3genE0ELNS1_11target_archE4294967295ELNS1_3gpuE0ELNS1_3repE0EEENS1_30default_config_static_selectorELNS0_4arch9wavefront6targetE0EEEvT1_
    .private_segment_fixed_size: 0
    .sgpr_count:     0
    .sgpr_spill_count: 0
    .symbol:         _ZN7rocprim17ROCPRIM_400000_NS6detail17trampoline_kernelINS0_14default_configENS1_25partition_config_selectorILNS1_17partition_subalgoE5EtNS0_10empty_typeEbEEZZNS1_14partition_implILS5_5ELb0ES3_mN6thrust23THRUST_200600_302600_NS6detail15normal_iteratorINSA_10device_ptrItEEEEPS6_NSA_18transform_iteratorINSB_9not_fun_tI7is_trueItEEENSC_INSD_IbEEEENSA_11use_defaultESO_EENS0_5tupleIJNSA_16discard_iteratorISO_EES6_EEENSQ_IJSG_SG_EEES6_PlJS6_EEE10hipError_tPvRmT3_T4_T5_T6_T7_T9_mT8_P12ihipStream_tbDpT10_ENKUlT_T0_E_clISt17integral_constantIbLb0EES1E_IbLb1EEEEDaS1A_S1B_EUlS1A_E_NS1_11comp_targetILNS1_3genE0ELNS1_11target_archE4294967295ELNS1_3gpuE0ELNS1_3repE0EEENS1_30default_config_static_selectorELNS0_4arch9wavefront6targetE0EEEvT1_.kd
    .uniform_work_group_size: 1
    .uses_dynamic_stack: false
    .vgpr_count:     0
    .vgpr_spill_count: 0
    .wavefront_size: 32
    .workgroup_processor_mode: 1
  - .args:
      - .offset:         0
        .size:           144
        .value_kind:     by_value
    .group_segment_fixed_size: 0
    .kernarg_segment_align: 8
    .kernarg_segment_size: 144
    .language:       OpenCL C
    .language_version:
      - 2
      - 0
    .max_flat_workgroup_size: 512
    .name:           _ZN7rocprim17ROCPRIM_400000_NS6detail17trampoline_kernelINS0_14default_configENS1_25partition_config_selectorILNS1_17partition_subalgoE5EtNS0_10empty_typeEbEEZZNS1_14partition_implILS5_5ELb0ES3_mN6thrust23THRUST_200600_302600_NS6detail15normal_iteratorINSA_10device_ptrItEEEEPS6_NSA_18transform_iteratorINSB_9not_fun_tI7is_trueItEEENSC_INSD_IbEEEENSA_11use_defaultESO_EENS0_5tupleIJNSA_16discard_iteratorISO_EES6_EEENSQ_IJSG_SG_EEES6_PlJS6_EEE10hipError_tPvRmT3_T4_T5_T6_T7_T9_mT8_P12ihipStream_tbDpT10_ENKUlT_T0_E_clISt17integral_constantIbLb0EES1E_IbLb1EEEEDaS1A_S1B_EUlS1A_E_NS1_11comp_targetILNS1_3genE5ELNS1_11target_archE942ELNS1_3gpuE9ELNS1_3repE0EEENS1_30default_config_static_selectorELNS0_4arch9wavefront6targetE0EEEvT1_
    .private_segment_fixed_size: 0
    .sgpr_count:     0
    .sgpr_spill_count: 0
    .symbol:         _ZN7rocprim17ROCPRIM_400000_NS6detail17trampoline_kernelINS0_14default_configENS1_25partition_config_selectorILNS1_17partition_subalgoE5EtNS0_10empty_typeEbEEZZNS1_14partition_implILS5_5ELb0ES3_mN6thrust23THRUST_200600_302600_NS6detail15normal_iteratorINSA_10device_ptrItEEEEPS6_NSA_18transform_iteratorINSB_9not_fun_tI7is_trueItEEENSC_INSD_IbEEEENSA_11use_defaultESO_EENS0_5tupleIJNSA_16discard_iteratorISO_EES6_EEENSQ_IJSG_SG_EEES6_PlJS6_EEE10hipError_tPvRmT3_T4_T5_T6_T7_T9_mT8_P12ihipStream_tbDpT10_ENKUlT_T0_E_clISt17integral_constantIbLb0EES1E_IbLb1EEEEDaS1A_S1B_EUlS1A_E_NS1_11comp_targetILNS1_3genE5ELNS1_11target_archE942ELNS1_3gpuE9ELNS1_3repE0EEENS1_30default_config_static_selectorELNS0_4arch9wavefront6targetE0EEEvT1_.kd
    .uniform_work_group_size: 1
    .uses_dynamic_stack: false
    .vgpr_count:     0
    .vgpr_spill_count: 0
    .wavefront_size: 32
    .workgroup_processor_mode: 1
  - .args:
      - .offset:         0
        .size:           144
        .value_kind:     by_value
    .group_segment_fixed_size: 0
    .kernarg_segment_align: 8
    .kernarg_segment_size: 144
    .language:       OpenCL C
    .language_version:
      - 2
      - 0
    .max_flat_workgroup_size: 256
    .name:           _ZN7rocprim17ROCPRIM_400000_NS6detail17trampoline_kernelINS0_14default_configENS1_25partition_config_selectorILNS1_17partition_subalgoE5EtNS0_10empty_typeEbEEZZNS1_14partition_implILS5_5ELb0ES3_mN6thrust23THRUST_200600_302600_NS6detail15normal_iteratorINSA_10device_ptrItEEEEPS6_NSA_18transform_iteratorINSB_9not_fun_tI7is_trueItEEENSC_INSD_IbEEEENSA_11use_defaultESO_EENS0_5tupleIJNSA_16discard_iteratorISO_EES6_EEENSQ_IJSG_SG_EEES6_PlJS6_EEE10hipError_tPvRmT3_T4_T5_T6_T7_T9_mT8_P12ihipStream_tbDpT10_ENKUlT_T0_E_clISt17integral_constantIbLb0EES1E_IbLb1EEEEDaS1A_S1B_EUlS1A_E_NS1_11comp_targetILNS1_3genE4ELNS1_11target_archE910ELNS1_3gpuE8ELNS1_3repE0EEENS1_30default_config_static_selectorELNS0_4arch9wavefront6targetE0EEEvT1_
    .private_segment_fixed_size: 0
    .sgpr_count:     0
    .sgpr_spill_count: 0
    .symbol:         _ZN7rocprim17ROCPRIM_400000_NS6detail17trampoline_kernelINS0_14default_configENS1_25partition_config_selectorILNS1_17partition_subalgoE5EtNS0_10empty_typeEbEEZZNS1_14partition_implILS5_5ELb0ES3_mN6thrust23THRUST_200600_302600_NS6detail15normal_iteratorINSA_10device_ptrItEEEEPS6_NSA_18transform_iteratorINSB_9not_fun_tI7is_trueItEEENSC_INSD_IbEEEENSA_11use_defaultESO_EENS0_5tupleIJNSA_16discard_iteratorISO_EES6_EEENSQ_IJSG_SG_EEES6_PlJS6_EEE10hipError_tPvRmT3_T4_T5_T6_T7_T9_mT8_P12ihipStream_tbDpT10_ENKUlT_T0_E_clISt17integral_constantIbLb0EES1E_IbLb1EEEEDaS1A_S1B_EUlS1A_E_NS1_11comp_targetILNS1_3genE4ELNS1_11target_archE910ELNS1_3gpuE8ELNS1_3repE0EEENS1_30default_config_static_selectorELNS0_4arch9wavefront6targetE0EEEvT1_.kd
    .uniform_work_group_size: 1
    .uses_dynamic_stack: false
    .vgpr_count:     0
    .vgpr_spill_count: 0
    .wavefront_size: 32
    .workgroup_processor_mode: 1
  - .args:
      - .offset:         0
        .size:           144
        .value_kind:     by_value
    .group_segment_fixed_size: 0
    .kernarg_segment_align: 8
    .kernarg_segment_size: 144
    .language:       OpenCL C
    .language_version:
      - 2
      - 0
    .max_flat_workgroup_size: 256
    .name:           _ZN7rocprim17ROCPRIM_400000_NS6detail17trampoline_kernelINS0_14default_configENS1_25partition_config_selectorILNS1_17partition_subalgoE5EtNS0_10empty_typeEbEEZZNS1_14partition_implILS5_5ELb0ES3_mN6thrust23THRUST_200600_302600_NS6detail15normal_iteratorINSA_10device_ptrItEEEEPS6_NSA_18transform_iteratorINSB_9not_fun_tI7is_trueItEEENSC_INSD_IbEEEENSA_11use_defaultESO_EENS0_5tupleIJNSA_16discard_iteratorISO_EES6_EEENSQ_IJSG_SG_EEES6_PlJS6_EEE10hipError_tPvRmT3_T4_T5_T6_T7_T9_mT8_P12ihipStream_tbDpT10_ENKUlT_T0_E_clISt17integral_constantIbLb0EES1E_IbLb1EEEEDaS1A_S1B_EUlS1A_E_NS1_11comp_targetILNS1_3genE3ELNS1_11target_archE908ELNS1_3gpuE7ELNS1_3repE0EEENS1_30default_config_static_selectorELNS0_4arch9wavefront6targetE0EEEvT1_
    .private_segment_fixed_size: 0
    .sgpr_count:     0
    .sgpr_spill_count: 0
    .symbol:         _ZN7rocprim17ROCPRIM_400000_NS6detail17trampoline_kernelINS0_14default_configENS1_25partition_config_selectorILNS1_17partition_subalgoE5EtNS0_10empty_typeEbEEZZNS1_14partition_implILS5_5ELb0ES3_mN6thrust23THRUST_200600_302600_NS6detail15normal_iteratorINSA_10device_ptrItEEEEPS6_NSA_18transform_iteratorINSB_9not_fun_tI7is_trueItEEENSC_INSD_IbEEEENSA_11use_defaultESO_EENS0_5tupleIJNSA_16discard_iteratorISO_EES6_EEENSQ_IJSG_SG_EEES6_PlJS6_EEE10hipError_tPvRmT3_T4_T5_T6_T7_T9_mT8_P12ihipStream_tbDpT10_ENKUlT_T0_E_clISt17integral_constantIbLb0EES1E_IbLb1EEEEDaS1A_S1B_EUlS1A_E_NS1_11comp_targetILNS1_3genE3ELNS1_11target_archE908ELNS1_3gpuE7ELNS1_3repE0EEENS1_30default_config_static_selectorELNS0_4arch9wavefront6targetE0EEEvT1_.kd
    .uniform_work_group_size: 1
    .uses_dynamic_stack: false
    .vgpr_count:     0
    .vgpr_spill_count: 0
    .wavefront_size: 32
    .workgroup_processor_mode: 1
  - .args:
      - .offset:         0
        .size:           144
        .value_kind:     by_value
    .group_segment_fixed_size: 0
    .kernarg_segment_align: 8
    .kernarg_segment_size: 144
    .language:       OpenCL C
    .language_version:
      - 2
      - 0
    .max_flat_workgroup_size: 256
    .name:           _ZN7rocprim17ROCPRIM_400000_NS6detail17trampoline_kernelINS0_14default_configENS1_25partition_config_selectorILNS1_17partition_subalgoE5EtNS0_10empty_typeEbEEZZNS1_14partition_implILS5_5ELb0ES3_mN6thrust23THRUST_200600_302600_NS6detail15normal_iteratorINSA_10device_ptrItEEEEPS6_NSA_18transform_iteratorINSB_9not_fun_tI7is_trueItEEENSC_INSD_IbEEEENSA_11use_defaultESO_EENS0_5tupleIJNSA_16discard_iteratorISO_EES6_EEENSQ_IJSG_SG_EEES6_PlJS6_EEE10hipError_tPvRmT3_T4_T5_T6_T7_T9_mT8_P12ihipStream_tbDpT10_ENKUlT_T0_E_clISt17integral_constantIbLb0EES1E_IbLb1EEEEDaS1A_S1B_EUlS1A_E_NS1_11comp_targetILNS1_3genE2ELNS1_11target_archE906ELNS1_3gpuE6ELNS1_3repE0EEENS1_30default_config_static_selectorELNS0_4arch9wavefront6targetE0EEEvT1_
    .private_segment_fixed_size: 0
    .sgpr_count:     0
    .sgpr_spill_count: 0
    .symbol:         _ZN7rocprim17ROCPRIM_400000_NS6detail17trampoline_kernelINS0_14default_configENS1_25partition_config_selectorILNS1_17partition_subalgoE5EtNS0_10empty_typeEbEEZZNS1_14partition_implILS5_5ELb0ES3_mN6thrust23THRUST_200600_302600_NS6detail15normal_iteratorINSA_10device_ptrItEEEEPS6_NSA_18transform_iteratorINSB_9not_fun_tI7is_trueItEEENSC_INSD_IbEEEENSA_11use_defaultESO_EENS0_5tupleIJNSA_16discard_iteratorISO_EES6_EEENSQ_IJSG_SG_EEES6_PlJS6_EEE10hipError_tPvRmT3_T4_T5_T6_T7_T9_mT8_P12ihipStream_tbDpT10_ENKUlT_T0_E_clISt17integral_constantIbLb0EES1E_IbLb1EEEEDaS1A_S1B_EUlS1A_E_NS1_11comp_targetILNS1_3genE2ELNS1_11target_archE906ELNS1_3gpuE6ELNS1_3repE0EEENS1_30default_config_static_selectorELNS0_4arch9wavefront6targetE0EEEvT1_.kd
    .uniform_work_group_size: 1
    .uses_dynamic_stack: false
    .vgpr_count:     0
    .vgpr_spill_count: 0
    .wavefront_size: 32
    .workgroup_processor_mode: 1
  - .args:
      - .offset:         0
        .size:           144
        .value_kind:     by_value
    .group_segment_fixed_size: 6160
    .kernarg_segment_align: 8
    .kernarg_segment_size: 144
    .language:       OpenCL C
    .language_version:
      - 2
      - 0
    .max_flat_workgroup_size: 256
    .name:           _ZN7rocprim17ROCPRIM_400000_NS6detail17trampoline_kernelINS0_14default_configENS1_25partition_config_selectorILNS1_17partition_subalgoE5EtNS0_10empty_typeEbEEZZNS1_14partition_implILS5_5ELb0ES3_mN6thrust23THRUST_200600_302600_NS6detail15normal_iteratorINSA_10device_ptrItEEEEPS6_NSA_18transform_iteratorINSB_9not_fun_tI7is_trueItEEENSC_INSD_IbEEEENSA_11use_defaultESO_EENS0_5tupleIJNSA_16discard_iteratorISO_EES6_EEENSQ_IJSG_SG_EEES6_PlJS6_EEE10hipError_tPvRmT3_T4_T5_T6_T7_T9_mT8_P12ihipStream_tbDpT10_ENKUlT_T0_E_clISt17integral_constantIbLb0EES1E_IbLb1EEEEDaS1A_S1B_EUlS1A_E_NS1_11comp_targetILNS1_3genE10ELNS1_11target_archE1200ELNS1_3gpuE4ELNS1_3repE0EEENS1_30default_config_static_selectorELNS0_4arch9wavefront6targetE0EEEvT1_
    .private_segment_fixed_size: 0
    .sgpr_count:     24
    .sgpr_spill_count: 0
    .symbol:         _ZN7rocprim17ROCPRIM_400000_NS6detail17trampoline_kernelINS0_14default_configENS1_25partition_config_selectorILNS1_17partition_subalgoE5EtNS0_10empty_typeEbEEZZNS1_14partition_implILS5_5ELb0ES3_mN6thrust23THRUST_200600_302600_NS6detail15normal_iteratorINSA_10device_ptrItEEEEPS6_NSA_18transform_iteratorINSB_9not_fun_tI7is_trueItEEENSC_INSD_IbEEEENSA_11use_defaultESO_EENS0_5tupleIJNSA_16discard_iteratorISO_EES6_EEENSQ_IJSG_SG_EEES6_PlJS6_EEE10hipError_tPvRmT3_T4_T5_T6_T7_T9_mT8_P12ihipStream_tbDpT10_ENKUlT_T0_E_clISt17integral_constantIbLb0EES1E_IbLb1EEEEDaS1A_S1B_EUlS1A_E_NS1_11comp_targetILNS1_3genE10ELNS1_11target_archE1200ELNS1_3gpuE4ELNS1_3repE0EEENS1_30default_config_static_selectorELNS0_4arch9wavefront6targetE0EEEvT1_.kd
    .uniform_work_group_size: 1
    .uses_dynamic_stack: false
    .vgpr_count:     65
    .vgpr_spill_count: 0
    .wavefront_size: 32
    .workgroup_processor_mode: 1
  - .args:
      - .offset:         0
        .size:           144
        .value_kind:     by_value
    .group_segment_fixed_size: 0
    .kernarg_segment_align: 8
    .kernarg_segment_size: 144
    .language:       OpenCL C
    .language_version:
      - 2
      - 0
    .max_flat_workgroup_size: 128
    .name:           _ZN7rocprim17ROCPRIM_400000_NS6detail17trampoline_kernelINS0_14default_configENS1_25partition_config_selectorILNS1_17partition_subalgoE5EtNS0_10empty_typeEbEEZZNS1_14partition_implILS5_5ELb0ES3_mN6thrust23THRUST_200600_302600_NS6detail15normal_iteratorINSA_10device_ptrItEEEEPS6_NSA_18transform_iteratorINSB_9not_fun_tI7is_trueItEEENSC_INSD_IbEEEENSA_11use_defaultESO_EENS0_5tupleIJNSA_16discard_iteratorISO_EES6_EEENSQ_IJSG_SG_EEES6_PlJS6_EEE10hipError_tPvRmT3_T4_T5_T6_T7_T9_mT8_P12ihipStream_tbDpT10_ENKUlT_T0_E_clISt17integral_constantIbLb0EES1E_IbLb1EEEEDaS1A_S1B_EUlS1A_E_NS1_11comp_targetILNS1_3genE9ELNS1_11target_archE1100ELNS1_3gpuE3ELNS1_3repE0EEENS1_30default_config_static_selectorELNS0_4arch9wavefront6targetE0EEEvT1_
    .private_segment_fixed_size: 0
    .sgpr_count:     0
    .sgpr_spill_count: 0
    .symbol:         _ZN7rocprim17ROCPRIM_400000_NS6detail17trampoline_kernelINS0_14default_configENS1_25partition_config_selectorILNS1_17partition_subalgoE5EtNS0_10empty_typeEbEEZZNS1_14partition_implILS5_5ELb0ES3_mN6thrust23THRUST_200600_302600_NS6detail15normal_iteratorINSA_10device_ptrItEEEEPS6_NSA_18transform_iteratorINSB_9not_fun_tI7is_trueItEEENSC_INSD_IbEEEENSA_11use_defaultESO_EENS0_5tupleIJNSA_16discard_iteratorISO_EES6_EEENSQ_IJSG_SG_EEES6_PlJS6_EEE10hipError_tPvRmT3_T4_T5_T6_T7_T9_mT8_P12ihipStream_tbDpT10_ENKUlT_T0_E_clISt17integral_constantIbLb0EES1E_IbLb1EEEEDaS1A_S1B_EUlS1A_E_NS1_11comp_targetILNS1_3genE9ELNS1_11target_archE1100ELNS1_3gpuE3ELNS1_3repE0EEENS1_30default_config_static_selectorELNS0_4arch9wavefront6targetE0EEEvT1_.kd
    .uniform_work_group_size: 1
    .uses_dynamic_stack: false
    .vgpr_count:     0
    .vgpr_spill_count: 0
    .wavefront_size: 32
    .workgroup_processor_mode: 1
  - .args:
      - .offset:         0
        .size:           144
        .value_kind:     by_value
    .group_segment_fixed_size: 0
    .kernarg_segment_align: 8
    .kernarg_segment_size: 144
    .language:       OpenCL C
    .language_version:
      - 2
      - 0
    .max_flat_workgroup_size: 256
    .name:           _ZN7rocprim17ROCPRIM_400000_NS6detail17trampoline_kernelINS0_14default_configENS1_25partition_config_selectorILNS1_17partition_subalgoE5EtNS0_10empty_typeEbEEZZNS1_14partition_implILS5_5ELb0ES3_mN6thrust23THRUST_200600_302600_NS6detail15normal_iteratorINSA_10device_ptrItEEEEPS6_NSA_18transform_iteratorINSB_9not_fun_tI7is_trueItEEENSC_INSD_IbEEEENSA_11use_defaultESO_EENS0_5tupleIJNSA_16discard_iteratorISO_EES6_EEENSQ_IJSG_SG_EEES6_PlJS6_EEE10hipError_tPvRmT3_T4_T5_T6_T7_T9_mT8_P12ihipStream_tbDpT10_ENKUlT_T0_E_clISt17integral_constantIbLb0EES1E_IbLb1EEEEDaS1A_S1B_EUlS1A_E_NS1_11comp_targetILNS1_3genE8ELNS1_11target_archE1030ELNS1_3gpuE2ELNS1_3repE0EEENS1_30default_config_static_selectorELNS0_4arch9wavefront6targetE0EEEvT1_
    .private_segment_fixed_size: 0
    .sgpr_count:     0
    .sgpr_spill_count: 0
    .symbol:         _ZN7rocprim17ROCPRIM_400000_NS6detail17trampoline_kernelINS0_14default_configENS1_25partition_config_selectorILNS1_17partition_subalgoE5EtNS0_10empty_typeEbEEZZNS1_14partition_implILS5_5ELb0ES3_mN6thrust23THRUST_200600_302600_NS6detail15normal_iteratorINSA_10device_ptrItEEEEPS6_NSA_18transform_iteratorINSB_9not_fun_tI7is_trueItEEENSC_INSD_IbEEEENSA_11use_defaultESO_EENS0_5tupleIJNSA_16discard_iteratorISO_EES6_EEENSQ_IJSG_SG_EEES6_PlJS6_EEE10hipError_tPvRmT3_T4_T5_T6_T7_T9_mT8_P12ihipStream_tbDpT10_ENKUlT_T0_E_clISt17integral_constantIbLb0EES1E_IbLb1EEEEDaS1A_S1B_EUlS1A_E_NS1_11comp_targetILNS1_3genE8ELNS1_11target_archE1030ELNS1_3gpuE2ELNS1_3repE0EEENS1_30default_config_static_selectorELNS0_4arch9wavefront6targetE0EEEvT1_.kd
    .uniform_work_group_size: 1
    .uses_dynamic_stack: false
    .vgpr_count:     0
    .vgpr_spill_count: 0
    .wavefront_size: 32
    .workgroup_processor_mode: 1
  - .args:
      - .offset:         0
        .size:           128
        .value_kind:     by_value
    .group_segment_fixed_size: 0
    .kernarg_segment_align: 8
    .kernarg_segment_size: 128
    .language:       OpenCL C
    .language_version:
      - 2
      - 0
    .max_flat_workgroup_size: 128
    .name:           _ZN7rocprim17ROCPRIM_400000_NS6detail17trampoline_kernelINS0_14default_configENS1_25partition_config_selectorILNS1_17partition_subalgoE5ExNS0_10empty_typeEbEEZZNS1_14partition_implILS5_5ELb0ES3_mN6thrust23THRUST_200600_302600_NS6detail15normal_iteratorINSA_10device_ptrIxEEEEPS6_NSA_18transform_iteratorINSB_9not_fun_tI7is_trueIxEEENSC_INSD_IbEEEENSA_11use_defaultESO_EENS0_5tupleIJNSA_16discard_iteratorISO_EES6_EEENSQ_IJSG_SG_EEES6_PlJS6_EEE10hipError_tPvRmT3_T4_T5_T6_T7_T9_mT8_P12ihipStream_tbDpT10_ENKUlT_T0_E_clISt17integral_constantIbLb0EES1F_EEDaS1A_S1B_EUlS1A_E_NS1_11comp_targetILNS1_3genE0ELNS1_11target_archE4294967295ELNS1_3gpuE0ELNS1_3repE0EEENS1_30default_config_static_selectorELNS0_4arch9wavefront6targetE0EEEvT1_
    .private_segment_fixed_size: 0
    .sgpr_count:     0
    .sgpr_spill_count: 0
    .symbol:         _ZN7rocprim17ROCPRIM_400000_NS6detail17trampoline_kernelINS0_14default_configENS1_25partition_config_selectorILNS1_17partition_subalgoE5ExNS0_10empty_typeEbEEZZNS1_14partition_implILS5_5ELb0ES3_mN6thrust23THRUST_200600_302600_NS6detail15normal_iteratorINSA_10device_ptrIxEEEEPS6_NSA_18transform_iteratorINSB_9not_fun_tI7is_trueIxEEENSC_INSD_IbEEEENSA_11use_defaultESO_EENS0_5tupleIJNSA_16discard_iteratorISO_EES6_EEENSQ_IJSG_SG_EEES6_PlJS6_EEE10hipError_tPvRmT3_T4_T5_T6_T7_T9_mT8_P12ihipStream_tbDpT10_ENKUlT_T0_E_clISt17integral_constantIbLb0EES1F_EEDaS1A_S1B_EUlS1A_E_NS1_11comp_targetILNS1_3genE0ELNS1_11target_archE4294967295ELNS1_3gpuE0ELNS1_3repE0EEENS1_30default_config_static_selectorELNS0_4arch9wavefront6targetE0EEEvT1_.kd
    .uniform_work_group_size: 1
    .uses_dynamic_stack: false
    .vgpr_count:     0
    .vgpr_spill_count: 0
    .wavefront_size: 32
    .workgroup_processor_mode: 1
  - .args:
      - .offset:         0
        .size:           128
        .value_kind:     by_value
    .group_segment_fixed_size: 0
    .kernarg_segment_align: 8
    .kernarg_segment_size: 128
    .language:       OpenCL C
    .language_version:
      - 2
      - 0
    .max_flat_workgroup_size: 512
    .name:           _ZN7rocprim17ROCPRIM_400000_NS6detail17trampoline_kernelINS0_14default_configENS1_25partition_config_selectorILNS1_17partition_subalgoE5ExNS0_10empty_typeEbEEZZNS1_14partition_implILS5_5ELb0ES3_mN6thrust23THRUST_200600_302600_NS6detail15normal_iteratorINSA_10device_ptrIxEEEEPS6_NSA_18transform_iteratorINSB_9not_fun_tI7is_trueIxEEENSC_INSD_IbEEEENSA_11use_defaultESO_EENS0_5tupleIJNSA_16discard_iteratorISO_EES6_EEENSQ_IJSG_SG_EEES6_PlJS6_EEE10hipError_tPvRmT3_T4_T5_T6_T7_T9_mT8_P12ihipStream_tbDpT10_ENKUlT_T0_E_clISt17integral_constantIbLb0EES1F_EEDaS1A_S1B_EUlS1A_E_NS1_11comp_targetILNS1_3genE5ELNS1_11target_archE942ELNS1_3gpuE9ELNS1_3repE0EEENS1_30default_config_static_selectorELNS0_4arch9wavefront6targetE0EEEvT1_
    .private_segment_fixed_size: 0
    .sgpr_count:     0
    .sgpr_spill_count: 0
    .symbol:         _ZN7rocprim17ROCPRIM_400000_NS6detail17trampoline_kernelINS0_14default_configENS1_25partition_config_selectorILNS1_17partition_subalgoE5ExNS0_10empty_typeEbEEZZNS1_14partition_implILS5_5ELb0ES3_mN6thrust23THRUST_200600_302600_NS6detail15normal_iteratorINSA_10device_ptrIxEEEEPS6_NSA_18transform_iteratorINSB_9not_fun_tI7is_trueIxEEENSC_INSD_IbEEEENSA_11use_defaultESO_EENS0_5tupleIJNSA_16discard_iteratorISO_EES6_EEENSQ_IJSG_SG_EEES6_PlJS6_EEE10hipError_tPvRmT3_T4_T5_T6_T7_T9_mT8_P12ihipStream_tbDpT10_ENKUlT_T0_E_clISt17integral_constantIbLb0EES1F_EEDaS1A_S1B_EUlS1A_E_NS1_11comp_targetILNS1_3genE5ELNS1_11target_archE942ELNS1_3gpuE9ELNS1_3repE0EEENS1_30default_config_static_selectorELNS0_4arch9wavefront6targetE0EEEvT1_.kd
    .uniform_work_group_size: 1
    .uses_dynamic_stack: false
    .vgpr_count:     0
    .vgpr_spill_count: 0
    .wavefront_size: 32
    .workgroup_processor_mode: 1
  - .args:
      - .offset:         0
        .size:           128
        .value_kind:     by_value
    .group_segment_fixed_size: 0
    .kernarg_segment_align: 8
    .kernarg_segment_size: 128
    .language:       OpenCL C
    .language_version:
      - 2
      - 0
    .max_flat_workgroup_size: 192
    .name:           _ZN7rocprim17ROCPRIM_400000_NS6detail17trampoline_kernelINS0_14default_configENS1_25partition_config_selectorILNS1_17partition_subalgoE5ExNS0_10empty_typeEbEEZZNS1_14partition_implILS5_5ELb0ES3_mN6thrust23THRUST_200600_302600_NS6detail15normal_iteratorINSA_10device_ptrIxEEEEPS6_NSA_18transform_iteratorINSB_9not_fun_tI7is_trueIxEEENSC_INSD_IbEEEENSA_11use_defaultESO_EENS0_5tupleIJNSA_16discard_iteratorISO_EES6_EEENSQ_IJSG_SG_EEES6_PlJS6_EEE10hipError_tPvRmT3_T4_T5_T6_T7_T9_mT8_P12ihipStream_tbDpT10_ENKUlT_T0_E_clISt17integral_constantIbLb0EES1F_EEDaS1A_S1B_EUlS1A_E_NS1_11comp_targetILNS1_3genE4ELNS1_11target_archE910ELNS1_3gpuE8ELNS1_3repE0EEENS1_30default_config_static_selectorELNS0_4arch9wavefront6targetE0EEEvT1_
    .private_segment_fixed_size: 0
    .sgpr_count:     0
    .sgpr_spill_count: 0
    .symbol:         _ZN7rocprim17ROCPRIM_400000_NS6detail17trampoline_kernelINS0_14default_configENS1_25partition_config_selectorILNS1_17partition_subalgoE5ExNS0_10empty_typeEbEEZZNS1_14partition_implILS5_5ELb0ES3_mN6thrust23THRUST_200600_302600_NS6detail15normal_iteratorINSA_10device_ptrIxEEEEPS6_NSA_18transform_iteratorINSB_9not_fun_tI7is_trueIxEEENSC_INSD_IbEEEENSA_11use_defaultESO_EENS0_5tupleIJNSA_16discard_iteratorISO_EES6_EEENSQ_IJSG_SG_EEES6_PlJS6_EEE10hipError_tPvRmT3_T4_T5_T6_T7_T9_mT8_P12ihipStream_tbDpT10_ENKUlT_T0_E_clISt17integral_constantIbLb0EES1F_EEDaS1A_S1B_EUlS1A_E_NS1_11comp_targetILNS1_3genE4ELNS1_11target_archE910ELNS1_3gpuE8ELNS1_3repE0EEENS1_30default_config_static_selectorELNS0_4arch9wavefront6targetE0EEEvT1_.kd
    .uniform_work_group_size: 1
    .uses_dynamic_stack: false
    .vgpr_count:     0
    .vgpr_spill_count: 0
    .wavefront_size: 32
    .workgroup_processor_mode: 1
  - .args:
      - .offset:         0
        .size:           128
        .value_kind:     by_value
    .group_segment_fixed_size: 0
    .kernarg_segment_align: 8
    .kernarg_segment_size: 128
    .language:       OpenCL C
    .language_version:
      - 2
      - 0
    .max_flat_workgroup_size: 128
    .name:           _ZN7rocprim17ROCPRIM_400000_NS6detail17trampoline_kernelINS0_14default_configENS1_25partition_config_selectorILNS1_17partition_subalgoE5ExNS0_10empty_typeEbEEZZNS1_14partition_implILS5_5ELb0ES3_mN6thrust23THRUST_200600_302600_NS6detail15normal_iteratorINSA_10device_ptrIxEEEEPS6_NSA_18transform_iteratorINSB_9not_fun_tI7is_trueIxEEENSC_INSD_IbEEEENSA_11use_defaultESO_EENS0_5tupleIJNSA_16discard_iteratorISO_EES6_EEENSQ_IJSG_SG_EEES6_PlJS6_EEE10hipError_tPvRmT3_T4_T5_T6_T7_T9_mT8_P12ihipStream_tbDpT10_ENKUlT_T0_E_clISt17integral_constantIbLb0EES1F_EEDaS1A_S1B_EUlS1A_E_NS1_11comp_targetILNS1_3genE3ELNS1_11target_archE908ELNS1_3gpuE7ELNS1_3repE0EEENS1_30default_config_static_selectorELNS0_4arch9wavefront6targetE0EEEvT1_
    .private_segment_fixed_size: 0
    .sgpr_count:     0
    .sgpr_spill_count: 0
    .symbol:         _ZN7rocprim17ROCPRIM_400000_NS6detail17trampoline_kernelINS0_14default_configENS1_25partition_config_selectorILNS1_17partition_subalgoE5ExNS0_10empty_typeEbEEZZNS1_14partition_implILS5_5ELb0ES3_mN6thrust23THRUST_200600_302600_NS6detail15normal_iteratorINSA_10device_ptrIxEEEEPS6_NSA_18transform_iteratorINSB_9not_fun_tI7is_trueIxEEENSC_INSD_IbEEEENSA_11use_defaultESO_EENS0_5tupleIJNSA_16discard_iteratorISO_EES6_EEENSQ_IJSG_SG_EEES6_PlJS6_EEE10hipError_tPvRmT3_T4_T5_T6_T7_T9_mT8_P12ihipStream_tbDpT10_ENKUlT_T0_E_clISt17integral_constantIbLb0EES1F_EEDaS1A_S1B_EUlS1A_E_NS1_11comp_targetILNS1_3genE3ELNS1_11target_archE908ELNS1_3gpuE7ELNS1_3repE0EEENS1_30default_config_static_selectorELNS0_4arch9wavefront6targetE0EEEvT1_.kd
    .uniform_work_group_size: 1
    .uses_dynamic_stack: false
    .vgpr_count:     0
    .vgpr_spill_count: 0
    .wavefront_size: 32
    .workgroup_processor_mode: 1
  - .args:
      - .offset:         0
        .size:           128
        .value_kind:     by_value
    .group_segment_fixed_size: 0
    .kernarg_segment_align: 8
    .kernarg_segment_size: 128
    .language:       OpenCL C
    .language_version:
      - 2
      - 0
    .max_flat_workgroup_size: 256
    .name:           _ZN7rocprim17ROCPRIM_400000_NS6detail17trampoline_kernelINS0_14default_configENS1_25partition_config_selectorILNS1_17partition_subalgoE5ExNS0_10empty_typeEbEEZZNS1_14partition_implILS5_5ELb0ES3_mN6thrust23THRUST_200600_302600_NS6detail15normal_iteratorINSA_10device_ptrIxEEEEPS6_NSA_18transform_iteratorINSB_9not_fun_tI7is_trueIxEEENSC_INSD_IbEEEENSA_11use_defaultESO_EENS0_5tupleIJNSA_16discard_iteratorISO_EES6_EEENSQ_IJSG_SG_EEES6_PlJS6_EEE10hipError_tPvRmT3_T4_T5_T6_T7_T9_mT8_P12ihipStream_tbDpT10_ENKUlT_T0_E_clISt17integral_constantIbLb0EES1F_EEDaS1A_S1B_EUlS1A_E_NS1_11comp_targetILNS1_3genE2ELNS1_11target_archE906ELNS1_3gpuE6ELNS1_3repE0EEENS1_30default_config_static_selectorELNS0_4arch9wavefront6targetE0EEEvT1_
    .private_segment_fixed_size: 0
    .sgpr_count:     0
    .sgpr_spill_count: 0
    .symbol:         _ZN7rocprim17ROCPRIM_400000_NS6detail17trampoline_kernelINS0_14default_configENS1_25partition_config_selectorILNS1_17partition_subalgoE5ExNS0_10empty_typeEbEEZZNS1_14partition_implILS5_5ELb0ES3_mN6thrust23THRUST_200600_302600_NS6detail15normal_iteratorINSA_10device_ptrIxEEEEPS6_NSA_18transform_iteratorINSB_9not_fun_tI7is_trueIxEEENSC_INSD_IbEEEENSA_11use_defaultESO_EENS0_5tupleIJNSA_16discard_iteratorISO_EES6_EEENSQ_IJSG_SG_EEES6_PlJS6_EEE10hipError_tPvRmT3_T4_T5_T6_T7_T9_mT8_P12ihipStream_tbDpT10_ENKUlT_T0_E_clISt17integral_constantIbLb0EES1F_EEDaS1A_S1B_EUlS1A_E_NS1_11comp_targetILNS1_3genE2ELNS1_11target_archE906ELNS1_3gpuE6ELNS1_3repE0EEENS1_30default_config_static_selectorELNS0_4arch9wavefront6targetE0EEEvT1_.kd
    .uniform_work_group_size: 1
    .uses_dynamic_stack: false
    .vgpr_count:     0
    .vgpr_spill_count: 0
    .wavefront_size: 32
    .workgroup_processor_mode: 1
  - .args:
      - .offset:         0
        .size:           128
        .value_kind:     by_value
    .group_segment_fixed_size: 8464
    .kernarg_segment_align: 8
    .kernarg_segment_size: 128
    .language:       OpenCL C
    .language_version:
      - 2
      - 0
    .max_flat_workgroup_size: 256
    .name:           _ZN7rocprim17ROCPRIM_400000_NS6detail17trampoline_kernelINS0_14default_configENS1_25partition_config_selectorILNS1_17partition_subalgoE5ExNS0_10empty_typeEbEEZZNS1_14partition_implILS5_5ELb0ES3_mN6thrust23THRUST_200600_302600_NS6detail15normal_iteratorINSA_10device_ptrIxEEEEPS6_NSA_18transform_iteratorINSB_9not_fun_tI7is_trueIxEEENSC_INSD_IbEEEENSA_11use_defaultESO_EENS0_5tupleIJNSA_16discard_iteratorISO_EES6_EEENSQ_IJSG_SG_EEES6_PlJS6_EEE10hipError_tPvRmT3_T4_T5_T6_T7_T9_mT8_P12ihipStream_tbDpT10_ENKUlT_T0_E_clISt17integral_constantIbLb0EES1F_EEDaS1A_S1B_EUlS1A_E_NS1_11comp_targetILNS1_3genE10ELNS1_11target_archE1200ELNS1_3gpuE4ELNS1_3repE0EEENS1_30default_config_static_selectorELNS0_4arch9wavefront6targetE0EEEvT1_
    .private_segment_fixed_size: 0
    .sgpr_count:     26
    .sgpr_spill_count: 0
    .symbol:         _ZN7rocprim17ROCPRIM_400000_NS6detail17trampoline_kernelINS0_14default_configENS1_25partition_config_selectorILNS1_17partition_subalgoE5ExNS0_10empty_typeEbEEZZNS1_14partition_implILS5_5ELb0ES3_mN6thrust23THRUST_200600_302600_NS6detail15normal_iteratorINSA_10device_ptrIxEEEEPS6_NSA_18transform_iteratorINSB_9not_fun_tI7is_trueIxEEENSC_INSD_IbEEEENSA_11use_defaultESO_EENS0_5tupleIJNSA_16discard_iteratorISO_EES6_EEENSQ_IJSG_SG_EEES6_PlJS6_EEE10hipError_tPvRmT3_T4_T5_T6_T7_T9_mT8_P12ihipStream_tbDpT10_ENKUlT_T0_E_clISt17integral_constantIbLb0EES1F_EEDaS1A_S1B_EUlS1A_E_NS1_11comp_targetILNS1_3genE10ELNS1_11target_archE1200ELNS1_3gpuE4ELNS1_3repE0EEENS1_30default_config_static_selectorELNS0_4arch9wavefront6targetE0EEEvT1_.kd
    .uniform_work_group_size: 1
    .uses_dynamic_stack: false
    .vgpr_count:     45
    .vgpr_spill_count: 0
    .wavefront_size: 32
    .workgroup_processor_mode: 1
  - .args:
      - .offset:         0
        .size:           128
        .value_kind:     by_value
    .group_segment_fixed_size: 0
    .kernarg_segment_align: 8
    .kernarg_segment_size: 128
    .language:       OpenCL C
    .language_version:
      - 2
      - 0
    .max_flat_workgroup_size: 128
    .name:           _ZN7rocprim17ROCPRIM_400000_NS6detail17trampoline_kernelINS0_14default_configENS1_25partition_config_selectorILNS1_17partition_subalgoE5ExNS0_10empty_typeEbEEZZNS1_14partition_implILS5_5ELb0ES3_mN6thrust23THRUST_200600_302600_NS6detail15normal_iteratorINSA_10device_ptrIxEEEEPS6_NSA_18transform_iteratorINSB_9not_fun_tI7is_trueIxEEENSC_INSD_IbEEEENSA_11use_defaultESO_EENS0_5tupleIJNSA_16discard_iteratorISO_EES6_EEENSQ_IJSG_SG_EEES6_PlJS6_EEE10hipError_tPvRmT3_T4_T5_T6_T7_T9_mT8_P12ihipStream_tbDpT10_ENKUlT_T0_E_clISt17integral_constantIbLb0EES1F_EEDaS1A_S1B_EUlS1A_E_NS1_11comp_targetILNS1_3genE9ELNS1_11target_archE1100ELNS1_3gpuE3ELNS1_3repE0EEENS1_30default_config_static_selectorELNS0_4arch9wavefront6targetE0EEEvT1_
    .private_segment_fixed_size: 0
    .sgpr_count:     0
    .sgpr_spill_count: 0
    .symbol:         _ZN7rocprim17ROCPRIM_400000_NS6detail17trampoline_kernelINS0_14default_configENS1_25partition_config_selectorILNS1_17partition_subalgoE5ExNS0_10empty_typeEbEEZZNS1_14partition_implILS5_5ELb0ES3_mN6thrust23THRUST_200600_302600_NS6detail15normal_iteratorINSA_10device_ptrIxEEEEPS6_NSA_18transform_iteratorINSB_9not_fun_tI7is_trueIxEEENSC_INSD_IbEEEENSA_11use_defaultESO_EENS0_5tupleIJNSA_16discard_iteratorISO_EES6_EEENSQ_IJSG_SG_EEES6_PlJS6_EEE10hipError_tPvRmT3_T4_T5_T6_T7_T9_mT8_P12ihipStream_tbDpT10_ENKUlT_T0_E_clISt17integral_constantIbLb0EES1F_EEDaS1A_S1B_EUlS1A_E_NS1_11comp_targetILNS1_3genE9ELNS1_11target_archE1100ELNS1_3gpuE3ELNS1_3repE0EEENS1_30default_config_static_selectorELNS0_4arch9wavefront6targetE0EEEvT1_.kd
    .uniform_work_group_size: 1
    .uses_dynamic_stack: false
    .vgpr_count:     0
    .vgpr_spill_count: 0
    .wavefront_size: 32
    .workgroup_processor_mode: 1
  - .args:
      - .offset:         0
        .size:           128
        .value_kind:     by_value
    .group_segment_fixed_size: 0
    .kernarg_segment_align: 8
    .kernarg_segment_size: 128
    .language:       OpenCL C
    .language_version:
      - 2
      - 0
    .max_flat_workgroup_size: 512
    .name:           _ZN7rocprim17ROCPRIM_400000_NS6detail17trampoline_kernelINS0_14default_configENS1_25partition_config_selectorILNS1_17partition_subalgoE5ExNS0_10empty_typeEbEEZZNS1_14partition_implILS5_5ELb0ES3_mN6thrust23THRUST_200600_302600_NS6detail15normal_iteratorINSA_10device_ptrIxEEEEPS6_NSA_18transform_iteratorINSB_9not_fun_tI7is_trueIxEEENSC_INSD_IbEEEENSA_11use_defaultESO_EENS0_5tupleIJNSA_16discard_iteratorISO_EES6_EEENSQ_IJSG_SG_EEES6_PlJS6_EEE10hipError_tPvRmT3_T4_T5_T6_T7_T9_mT8_P12ihipStream_tbDpT10_ENKUlT_T0_E_clISt17integral_constantIbLb0EES1F_EEDaS1A_S1B_EUlS1A_E_NS1_11comp_targetILNS1_3genE8ELNS1_11target_archE1030ELNS1_3gpuE2ELNS1_3repE0EEENS1_30default_config_static_selectorELNS0_4arch9wavefront6targetE0EEEvT1_
    .private_segment_fixed_size: 0
    .sgpr_count:     0
    .sgpr_spill_count: 0
    .symbol:         _ZN7rocprim17ROCPRIM_400000_NS6detail17trampoline_kernelINS0_14default_configENS1_25partition_config_selectorILNS1_17partition_subalgoE5ExNS0_10empty_typeEbEEZZNS1_14partition_implILS5_5ELb0ES3_mN6thrust23THRUST_200600_302600_NS6detail15normal_iteratorINSA_10device_ptrIxEEEEPS6_NSA_18transform_iteratorINSB_9not_fun_tI7is_trueIxEEENSC_INSD_IbEEEENSA_11use_defaultESO_EENS0_5tupleIJNSA_16discard_iteratorISO_EES6_EEENSQ_IJSG_SG_EEES6_PlJS6_EEE10hipError_tPvRmT3_T4_T5_T6_T7_T9_mT8_P12ihipStream_tbDpT10_ENKUlT_T0_E_clISt17integral_constantIbLb0EES1F_EEDaS1A_S1B_EUlS1A_E_NS1_11comp_targetILNS1_3genE8ELNS1_11target_archE1030ELNS1_3gpuE2ELNS1_3repE0EEENS1_30default_config_static_selectorELNS0_4arch9wavefront6targetE0EEEvT1_.kd
    .uniform_work_group_size: 1
    .uses_dynamic_stack: false
    .vgpr_count:     0
    .vgpr_spill_count: 0
    .wavefront_size: 32
    .workgroup_processor_mode: 1
  - .args:
      - .offset:         0
        .size:           144
        .value_kind:     by_value
    .group_segment_fixed_size: 0
    .kernarg_segment_align: 8
    .kernarg_segment_size: 144
    .language:       OpenCL C
    .language_version:
      - 2
      - 0
    .max_flat_workgroup_size: 128
    .name:           _ZN7rocprim17ROCPRIM_400000_NS6detail17trampoline_kernelINS0_14default_configENS1_25partition_config_selectorILNS1_17partition_subalgoE5ExNS0_10empty_typeEbEEZZNS1_14partition_implILS5_5ELb0ES3_mN6thrust23THRUST_200600_302600_NS6detail15normal_iteratorINSA_10device_ptrIxEEEEPS6_NSA_18transform_iteratorINSB_9not_fun_tI7is_trueIxEEENSC_INSD_IbEEEENSA_11use_defaultESO_EENS0_5tupleIJNSA_16discard_iteratorISO_EES6_EEENSQ_IJSG_SG_EEES6_PlJS6_EEE10hipError_tPvRmT3_T4_T5_T6_T7_T9_mT8_P12ihipStream_tbDpT10_ENKUlT_T0_E_clISt17integral_constantIbLb1EES1F_EEDaS1A_S1B_EUlS1A_E_NS1_11comp_targetILNS1_3genE0ELNS1_11target_archE4294967295ELNS1_3gpuE0ELNS1_3repE0EEENS1_30default_config_static_selectorELNS0_4arch9wavefront6targetE0EEEvT1_
    .private_segment_fixed_size: 0
    .sgpr_count:     0
    .sgpr_spill_count: 0
    .symbol:         _ZN7rocprim17ROCPRIM_400000_NS6detail17trampoline_kernelINS0_14default_configENS1_25partition_config_selectorILNS1_17partition_subalgoE5ExNS0_10empty_typeEbEEZZNS1_14partition_implILS5_5ELb0ES3_mN6thrust23THRUST_200600_302600_NS6detail15normal_iteratorINSA_10device_ptrIxEEEEPS6_NSA_18transform_iteratorINSB_9not_fun_tI7is_trueIxEEENSC_INSD_IbEEEENSA_11use_defaultESO_EENS0_5tupleIJNSA_16discard_iteratorISO_EES6_EEENSQ_IJSG_SG_EEES6_PlJS6_EEE10hipError_tPvRmT3_T4_T5_T6_T7_T9_mT8_P12ihipStream_tbDpT10_ENKUlT_T0_E_clISt17integral_constantIbLb1EES1F_EEDaS1A_S1B_EUlS1A_E_NS1_11comp_targetILNS1_3genE0ELNS1_11target_archE4294967295ELNS1_3gpuE0ELNS1_3repE0EEENS1_30default_config_static_selectorELNS0_4arch9wavefront6targetE0EEEvT1_.kd
    .uniform_work_group_size: 1
    .uses_dynamic_stack: false
    .vgpr_count:     0
    .vgpr_spill_count: 0
    .wavefront_size: 32
    .workgroup_processor_mode: 1
  - .args:
      - .offset:         0
        .size:           144
        .value_kind:     by_value
    .group_segment_fixed_size: 0
    .kernarg_segment_align: 8
    .kernarg_segment_size: 144
    .language:       OpenCL C
    .language_version:
      - 2
      - 0
    .max_flat_workgroup_size: 512
    .name:           _ZN7rocprim17ROCPRIM_400000_NS6detail17trampoline_kernelINS0_14default_configENS1_25partition_config_selectorILNS1_17partition_subalgoE5ExNS0_10empty_typeEbEEZZNS1_14partition_implILS5_5ELb0ES3_mN6thrust23THRUST_200600_302600_NS6detail15normal_iteratorINSA_10device_ptrIxEEEEPS6_NSA_18transform_iteratorINSB_9not_fun_tI7is_trueIxEEENSC_INSD_IbEEEENSA_11use_defaultESO_EENS0_5tupleIJNSA_16discard_iteratorISO_EES6_EEENSQ_IJSG_SG_EEES6_PlJS6_EEE10hipError_tPvRmT3_T4_T5_T6_T7_T9_mT8_P12ihipStream_tbDpT10_ENKUlT_T0_E_clISt17integral_constantIbLb1EES1F_EEDaS1A_S1B_EUlS1A_E_NS1_11comp_targetILNS1_3genE5ELNS1_11target_archE942ELNS1_3gpuE9ELNS1_3repE0EEENS1_30default_config_static_selectorELNS0_4arch9wavefront6targetE0EEEvT1_
    .private_segment_fixed_size: 0
    .sgpr_count:     0
    .sgpr_spill_count: 0
    .symbol:         _ZN7rocprim17ROCPRIM_400000_NS6detail17trampoline_kernelINS0_14default_configENS1_25partition_config_selectorILNS1_17partition_subalgoE5ExNS0_10empty_typeEbEEZZNS1_14partition_implILS5_5ELb0ES3_mN6thrust23THRUST_200600_302600_NS6detail15normal_iteratorINSA_10device_ptrIxEEEEPS6_NSA_18transform_iteratorINSB_9not_fun_tI7is_trueIxEEENSC_INSD_IbEEEENSA_11use_defaultESO_EENS0_5tupleIJNSA_16discard_iteratorISO_EES6_EEENSQ_IJSG_SG_EEES6_PlJS6_EEE10hipError_tPvRmT3_T4_T5_T6_T7_T9_mT8_P12ihipStream_tbDpT10_ENKUlT_T0_E_clISt17integral_constantIbLb1EES1F_EEDaS1A_S1B_EUlS1A_E_NS1_11comp_targetILNS1_3genE5ELNS1_11target_archE942ELNS1_3gpuE9ELNS1_3repE0EEENS1_30default_config_static_selectorELNS0_4arch9wavefront6targetE0EEEvT1_.kd
    .uniform_work_group_size: 1
    .uses_dynamic_stack: false
    .vgpr_count:     0
    .vgpr_spill_count: 0
    .wavefront_size: 32
    .workgroup_processor_mode: 1
  - .args:
      - .offset:         0
        .size:           144
        .value_kind:     by_value
    .group_segment_fixed_size: 0
    .kernarg_segment_align: 8
    .kernarg_segment_size: 144
    .language:       OpenCL C
    .language_version:
      - 2
      - 0
    .max_flat_workgroup_size: 192
    .name:           _ZN7rocprim17ROCPRIM_400000_NS6detail17trampoline_kernelINS0_14default_configENS1_25partition_config_selectorILNS1_17partition_subalgoE5ExNS0_10empty_typeEbEEZZNS1_14partition_implILS5_5ELb0ES3_mN6thrust23THRUST_200600_302600_NS6detail15normal_iteratorINSA_10device_ptrIxEEEEPS6_NSA_18transform_iteratorINSB_9not_fun_tI7is_trueIxEEENSC_INSD_IbEEEENSA_11use_defaultESO_EENS0_5tupleIJNSA_16discard_iteratorISO_EES6_EEENSQ_IJSG_SG_EEES6_PlJS6_EEE10hipError_tPvRmT3_T4_T5_T6_T7_T9_mT8_P12ihipStream_tbDpT10_ENKUlT_T0_E_clISt17integral_constantIbLb1EES1F_EEDaS1A_S1B_EUlS1A_E_NS1_11comp_targetILNS1_3genE4ELNS1_11target_archE910ELNS1_3gpuE8ELNS1_3repE0EEENS1_30default_config_static_selectorELNS0_4arch9wavefront6targetE0EEEvT1_
    .private_segment_fixed_size: 0
    .sgpr_count:     0
    .sgpr_spill_count: 0
    .symbol:         _ZN7rocprim17ROCPRIM_400000_NS6detail17trampoline_kernelINS0_14default_configENS1_25partition_config_selectorILNS1_17partition_subalgoE5ExNS0_10empty_typeEbEEZZNS1_14partition_implILS5_5ELb0ES3_mN6thrust23THRUST_200600_302600_NS6detail15normal_iteratorINSA_10device_ptrIxEEEEPS6_NSA_18transform_iteratorINSB_9not_fun_tI7is_trueIxEEENSC_INSD_IbEEEENSA_11use_defaultESO_EENS0_5tupleIJNSA_16discard_iteratorISO_EES6_EEENSQ_IJSG_SG_EEES6_PlJS6_EEE10hipError_tPvRmT3_T4_T5_T6_T7_T9_mT8_P12ihipStream_tbDpT10_ENKUlT_T0_E_clISt17integral_constantIbLb1EES1F_EEDaS1A_S1B_EUlS1A_E_NS1_11comp_targetILNS1_3genE4ELNS1_11target_archE910ELNS1_3gpuE8ELNS1_3repE0EEENS1_30default_config_static_selectorELNS0_4arch9wavefront6targetE0EEEvT1_.kd
    .uniform_work_group_size: 1
    .uses_dynamic_stack: false
    .vgpr_count:     0
    .vgpr_spill_count: 0
    .wavefront_size: 32
    .workgroup_processor_mode: 1
  - .args:
      - .offset:         0
        .size:           144
        .value_kind:     by_value
    .group_segment_fixed_size: 0
    .kernarg_segment_align: 8
    .kernarg_segment_size: 144
    .language:       OpenCL C
    .language_version:
      - 2
      - 0
    .max_flat_workgroup_size: 128
    .name:           _ZN7rocprim17ROCPRIM_400000_NS6detail17trampoline_kernelINS0_14default_configENS1_25partition_config_selectorILNS1_17partition_subalgoE5ExNS0_10empty_typeEbEEZZNS1_14partition_implILS5_5ELb0ES3_mN6thrust23THRUST_200600_302600_NS6detail15normal_iteratorINSA_10device_ptrIxEEEEPS6_NSA_18transform_iteratorINSB_9not_fun_tI7is_trueIxEEENSC_INSD_IbEEEENSA_11use_defaultESO_EENS0_5tupleIJNSA_16discard_iteratorISO_EES6_EEENSQ_IJSG_SG_EEES6_PlJS6_EEE10hipError_tPvRmT3_T4_T5_T6_T7_T9_mT8_P12ihipStream_tbDpT10_ENKUlT_T0_E_clISt17integral_constantIbLb1EES1F_EEDaS1A_S1B_EUlS1A_E_NS1_11comp_targetILNS1_3genE3ELNS1_11target_archE908ELNS1_3gpuE7ELNS1_3repE0EEENS1_30default_config_static_selectorELNS0_4arch9wavefront6targetE0EEEvT1_
    .private_segment_fixed_size: 0
    .sgpr_count:     0
    .sgpr_spill_count: 0
    .symbol:         _ZN7rocprim17ROCPRIM_400000_NS6detail17trampoline_kernelINS0_14default_configENS1_25partition_config_selectorILNS1_17partition_subalgoE5ExNS0_10empty_typeEbEEZZNS1_14partition_implILS5_5ELb0ES3_mN6thrust23THRUST_200600_302600_NS6detail15normal_iteratorINSA_10device_ptrIxEEEEPS6_NSA_18transform_iteratorINSB_9not_fun_tI7is_trueIxEEENSC_INSD_IbEEEENSA_11use_defaultESO_EENS0_5tupleIJNSA_16discard_iteratorISO_EES6_EEENSQ_IJSG_SG_EEES6_PlJS6_EEE10hipError_tPvRmT3_T4_T5_T6_T7_T9_mT8_P12ihipStream_tbDpT10_ENKUlT_T0_E_clISt17integral_constantIbLb1EES1F_EEDaS1A_S1B_EUlS1A_E_NS1_11comp_targetILNS1_3genE3ELNS1_11target_archE908ELNS1_3gpuE7ELNS1_3repE0EEENS1_30default_config_static_selectorELNS0_4arch9wavefront6targetE0EEEvT1_.kd
    .uniform_work_group_size: 1
    .uses_dynamic_stack: false
    .vgpr_count:     0
    .vgpr_spill_count: 0
    .wavefront_size: 32
    .workgroup_processor_mode: 1
  - .args:
      - .offset:         0
        .size:           144
        .value_kind:     by_value
    .group_segment_fixed_size: 0
    .kernarg_segment_align: 8
    .kernarg_segment_size: 144
    .language:       OpenCL C
    .language_version:
      - 2
      - 0
    .max_flat_workgroup_size: 256
    .name:           _ZN7rocprim17ROCPRIM_400000_NS6detail17trampoline_kernelINS0_14default_configENS1_25partition_config_selectorILNS1_17partition_subalgoE5ExNS0_10empty_typeEbEEZZNS1_14partition_implILS5_5ELb0ES3_mN6thrust23THRUST_200600_302600_NS6detail15normal_iteratorINSA_10device_ptrIxEEEEPS6_NSA_18transform_iteratorINSB_9not_fun_tI7is_trueIxEEENSC_INSD_IbEEEENSA_11use_defaultESO_EENS0_5tupleIJNSA_16discard_iteratorISO_EES6_EEENSQ_IJSG_SG_EEES6_PlJS6_EEE10hipError_tPvRmT3_T4_T5_T6_T7_T9_mT8_P12ihipStream_tbDpT10_ENKUlT_T0_E_clISt17integral_constantIbLb1EES1F_EEDaS1A_S1B_EUlS1A_E_NS1_11comp_targetILNS1_3genE2ELNS1_11target_archE906ELNS1_3gpuE6ELNS1_3repE0EEENS1_30default_config_static_selectorELNS0_4arch9wavefront6targetE0EEEvT1_
    .private_segment_fixed_size: 0
    .sgpr_count:     0
    .sgpr_spill_count: 0
    .symbol:         _ZN7rocprim17ROCPRIM_400000_NS6detail17trampoline_kernelINS0_14default_configENS1_25partition_config_selectorILNS1_17partition_subalgoE5ExNS0_10empty_typeEbEEZZNS1_14partition_implILS5_5ELb0ES3_mN6thrust23THRUST_200600_302600_NS6detail15normal_iteratorINSA_10device_ptrIxEEEEPS6_NSA_18transform_iteratorINSB_9not_fun_tI7is_trueIxEEENSC_INSD_IbEEEENSA_11use_defaultESO_EENS0_5tupleIJNSA_16discard_iteratorISO_EES6_EEENSQ_IJSG_SG_EEES6_PlJS6_EEE10hipError_tPvRmT3_T4_T5_T6_T7_T9_mT8_P12ihipStream_tbDpT10_ENKUlT_T0_E_clISt17integral_constantIbLb1EES1F_EEDaS1A_S1B_EUlS1A_E_NS1_11comp_targetILNS1_3genE2ELNS1_11target_archE906ELNS1_3gpuE6ELNS1_3repE0EEENS1_30default_config_static_selectorELNS0_4arch9wavefront6targetE0EEEvT1_.kd
    .uniform_work_group_size: 1
    .uses_dynamic_stack: false
    .vgpr_count:     0
    .vgpr_spill_count: 0
    .wavefront_size: 32
    .workgroup_processor_mode: 1
  - .args:
      - .offset:         0
        .size:           144
        .value_kind:     by_value
    .group_segment_fixed_size: 0
    .kernarg_segment_align: 8
    .kernarg_segment_size: 144
    .language:       OpenCL C
    .language_version:
      - 2
      - 0
    .max_flat_workgroup_size: 256
    .name:           _ZN7rocprim17ROCPRIM_400000_NS6detail17trampoline_kernelINS0_14default_configENS1_25partition_config_selectorILNS1_17partition_subalgoE5ExNS0_10empty_typeEbEEZZNS1_14partition_implILS5_5ELb0ES3_mN6thrust23THRUST_200600_302600_NS6detail15normal_iteratorINSA_10device_ptrIxEEEEPS6_NSA_18transform_iteratorINSB_9not_fun_tI7is_trueIxEEENSC_INSD_IbEEEENSA_11use_defaultESO_EENS0_5tupleIJNSA_16discard_iteratorISO_EES6_EEENSQ_IJSG_SG_EEES6_PlJS6_EEE10hipError_tPvRmT3_T4_T5_T6_T7_T9_mT8_P12ihipStream_tbDpT10_ENKUlT_T0_E_clISt17integral_constantIbLb1EES1F_EEDaS1A_S1B_EUlS1A_E_NS1_11comp_targetILNS1_3genE10ELNS1_11target_archE1200ELNS1_3gpuE4ELNS1_3repE0EEENS1_30default_config_static_selectorELNS0_4arch9wavefront6targetE0EEEvT1_
    .private_segment_fixed_size: 0
    .sgpr_count:     0
    .sgpr_spill_count: 0
    .symbol:         _ZN7rocprim17ROCPRIM_400000_NS6detail17trampoline_kernelINS0_14default_configENS1_25partition_config_selectorILNS1_17partition_subalgoE5ExNS0_10empty_typeEbEEZZNS1_14partition_implILS5_5ELb0ES3_mN6thrust23THRUST_200600_302600_NS6detail15normal_iteratorINSA_10device_ptrIxEEEEPS6_NSA_18transform_iteratorINSB_9not_fun_tI7is_trueIxEEENSC_INSD_IbEEEENSA_11use_defaultESO_EENS0_5tupleIJNSA_16discard_iteratorISO_EES6_EEENSQ_IJSG_SG_EEES6_PlJS6_EEE10hipError_tPvRmT3_T4_T5_T6_T7_T9_mT8_P12ihipStream_tbDpT10_ENKUlT_T0_E_clISt17integral_constantIbLb1EES1F_EEDaS1A_S1B_EUlS1A_E_NS1_11comp_targetILNS1_3genE10ELNS1_11target_archE1200ELNS1_3gpuE4ELNS1_3repE0EEENS1_30default_config_static_selectorELNS0_4arch9wavefront6targetE0EEEvT1_.kd
    .uniform_work_group_size: 1
    .uses_dynamic_stack: false
    .vgpr_count:     0
    .vgpr_spill_count: 0
    .wavefront_size: 32
    .workgroup_processor_mode: 1
  - .args:
      - .offset:         0
        .size:           144
        .value_kind:     by_value
    .group_segment_fixed_size: 0
    .kernarg_segment_align: 8
    .kernarg_segment_size: 144
    .language:       OpenCL C
    .language_version:
      - 2
      - 0
    .max_flat_workgroup_size: 128
    .name:           _ZN7rocprim17ROCPRIM_400000_NS6detail17trampoline_kernelINS0_14default_configENS1_25partition_config_selectorILNS1_17partition_subalgoE5ExNS0_10empty_typeEbEEZZNS1_14partition_implILS5_5ELb0ES3_mN6thrust23THRUST_200600_302600_NS6detail15normal_iteratorINSA_10device_ptrIxEEEEPS6_NSA_18transform_iteratorINSB_9not_fun_tI7is_trueIxEEENSC_INSD_IbEEEENSA_11use_defaultESO_EENS0_5tupleIJNSA_16discard_iteratorISO_EES6_EEENSQ_IJSG_SG_EEES6_PlJS6_EEE10hipError_tPvRmT3_T4_T5_T6_T7_T9_mT8_P12ihipStream_tbDpT10_ENKUlT_T0_E_clISt17integral_constantIbLb1EES1F_EEDaS1A_S1B_EUlS1A_E_NS1_11comp_targetILNS1_3genE9ELNS1_11target_archE1100ELNS1_3gpuE3ELNS1_3repE0EEENS1_30default_config_static_selectorELNS0_4arch9wavefront6targetE0EEEvT1_
    .private_segment_fixed_size: 0
    .sgpr_count:     0
    .sgpr_spill_count: 0
    .symbol:         _ZN7rocprim17ROCPRIM_400000_NS6detail17trampoline_kernelINS0_14default_configENS1_25partition_config_selectorILNS1_17partition_subalgoE5ExNS0_10empty_typeEbEEZZNS1_14partition_implILS5_5ELb0ES3_mN6thrust23THRUST_200600_302600_NS6detail15normal_iteratorINSA_10device_ptrIxEEEEPS6_NSA_18transform_iteratorINSB_9not_fun_tI7is_trueIxEEENSC_INSD_IbEEEENSA_11use_defaultESO_EENS0_5tupleIJNSA_16discard_iteratorISO_EES6_EEENSQ_IJSG_SG_EEES6_PlJS6_EEE10hipError_tPvRmT3_T4_T5_T6_T7_T9_mT8_P12ihipStream_tbDpT10_ENKUlT_T0_E_clISt17integral_constantIbLb1EES1F_EEDaS1A_S1B_EUlS1A_E_NS1_11comp_targetILNS1_3genE9ELNS1_11target_archE1100ELNS1_3gpuE3ELNS1_3repE0EEENS1_30default_config_static_selectorELNS0_4arch9wavefront6targetE0EEEvT1_.kd
    .uniform_work_group_size: 1
    .uses_dynamic_stack: false
    .vgpr_count:     0
    .vgpr_spill_count: 0
    .wavefront_size: 32
    .workgroup_processor_mode: 1
  - .args:
      - .offset:         0
        .size:           144
        .value_kind:     by_value
    .group_segment_fixed_size: 0
    .kernarg_segment_align: 8
    .kernarg_segment_size: 144
    .language:       OpenCL C
    .language_version:
      - 2
      - 0
    .max_flat_workgroup_size: 512
    .name:           _ZN7rocprim17ROCPRIM_400000_NS6detail17trampoline_kernelINS0_14default_configENS1_25partition_config_selectorILNS1_17partition_subalgoE5ExNS0_10empty_typeEbEEZZNS1_14partition_implILS5_5ELb0ES3_mN6thrust23THRUST_200600_302600_NS6detail15normal_iteratorINSA_10device_ptrIxEEEEPS6_NSA_18transform_iteratorINSB_9not_fun_tI7is_trueIxEEENSC_INSD_IbEEEENSA_11use_defaultESO_EENS0_5tupleIJNSA_16discard_iteratorISO_EES6_EEENSQ_IJSG_SG_EEES6_PlJS6_EEE10hipError_tPvRmT3_T4_T5_T6_T7_T9_mT8_P12ihipStream_tbDpT10_ENKUlT_T0_E_clISt17integral_constantIbLb1EES1F_EEDaS1A_S1B_EUlS1A_E_NS1_11comp_targetILNS1_3genE8ELNS1_11target_archE1030ELNS1_3gpuE2ELNS1_3repE0EEENS1_30default_config_static_selectorELNS0_4arch9wavefront6targetE0EEEvT1_
    .private_segment_fixed_size: 0
    .sgpr_count:     0
    .sgpr_spill_count: 0
    .symbol:         _ZN7rocprim17ROCPRIM_400000_NS6detail17trampoline_kernelINS0_14default_configENS1_25partition_config_selectorILNS1_17partition_subalgoE5ExNS0_10empty_typeEbEEZZNS1_14partition_implILS5_5ELb0ES3_mN6thrust23THRUST_200600_302600_NS6detail15normal_iteratorINSA_10device_ptrIxEEEEPS6_NSA_18transform_iteratorINSB_9not_fun_tI7is_trueIxEEENSC_INSD_IbEEEENSA_11use_defaultESO_EENS0_5tupleIJNSA_16discard_iteratorISO_EES6_EEENSQ_IJSG_SG_EEES6_PlJS6_EEE10hipError_tPvRmT3_T4_T5_T6_T7_T9_mT8_P12ihipStream_tbDpT10_ENKUlT_T0_E_clISt17integral_constantIbLb1EES1F_EEDaS1A_S1B_EUlS1A_E_NS1_11comp_targetILNS1_3genE8ELNS1_11target_archE1030ELNS1_3gpuE2ELNS1_3repE0EEENS1_30default_config_static_selectorELNS0_4arch9wavefront6targetE0EEEvT1_.kd
    .uniform_work_group_size: 1
    .uses_dynamic_stack: false
    .vgpr_count:     0
    .vgpr_spill_count: 0
    .wavefront_size: 32
    .workgroup_processor_mode: 1
  - .args:
      - .offset:         0
        .size:           128
        .value_kind:     by_value
    .group_segment_fixed_size: 0
    .kernarg_segment_align: 8
    .kernarg_segment_size: 128
    .language:       OpenCL C
    .language_version:
      - 2
      - 0
    .max_flat_workgroup_size: 128
    .name:           _ZN7rocprim17ROCPRIM_400000_NS6detail17trampoline_kernelINS0_14default_configENS1_25partition_config_selectorILNS1_17partition_subalgoE5ExNS0_10empty_typeEbEEZZNS1_14partition_implILS5_5ELb0ES3_mN6thrust23THRUST_200600_302600_NS6detail15normal_iteratorINSA_10device_ptrIxEEEEPS6_NSA_18transform_iteratorINSB_9not_fun_tI7is_trueIxEEENSC_INSD_IbEEEENSA_11use_defaultESO_EENS0_5tupleIJNSA_16discard_iteratorISO_EES6_EEENSQ_IJSG_SG_EEES6_PlJS6_EEE10hipError_tPvRmT3_T4_T5_T6_T7_T9_mT8_P12ihipStream_tbDpT10_ENKUlT_T0_E_clISt17integral_constantIbLb1EES1E_IbLb0EEEEDaS1A_S1B_EUlS1A_E_NS1_11comp_targetILNS1_3genE0ELNS1_11target_archE4294967295ELNS1_3gpuE0ELNS1_3repE0EEENS1_30default_config_static_selectorELNS0_4arch9wavefront6targetE0EEEvT1_
    .private_segment_fixed_size: 0
    .sgpr_count:     0
    .sgpr_spill_count: 0
    .symbol:         _ZN7rocprim17ROCPRIM_400000_NS6detail17trampoline_kernelINS0_14default_configENS1_25partition_config_selectorILNS1_17partition_subalgoE5ExNS0_10empty_typeEbEEZZNS1_14partition_implILS5_5ELb0ES3_mN6thrust23THRUST_200600_302600_NS6detail15normal_iteratorINSA_10device_ptrIxEEEEPS6_NSA_18transform_iteratorINSB_9not_fun_tI7is_trueIxEEENSC_INSD_IbEEEENSA_11use_defaultESO_EENS0_5tupleIJNSA_16discard_iteratorISO_EES6_EEENSQ_IJSG_SG_EEES6_PlJS6_EEE10hipError_tPvRmT3_T4_T5_T6_T7_T9_mT8_P12ihipStream_tbDpT10_ENKUlT_T0_E_clISt17integral_constantIbLb1EES1E_IbLb0EEEEDaS1A_S1B_EUlS1A_E_NS1_11comp_targetILNS1_3genE0ELNS1_11target_archE4294967295ELNS1_3gpuE0ELNS1_3repE0EEENS1_30default_config_static_selectorELNS0_4arch9wavefront6targetE0EEEvT1_.kd
    .uniform_work_group_size: 1
    .uses_dynamic_stack: false
    .vgpr_count:     0
    .vgpr_spill_count: 0
    .wavefront_size: 32
    .workgroup_processor_mode: 1
  - .args:
      - .offset:         0
        .size:           128
        .value_kind:     by_value
    .group_segment_fixed_size: 0
    .kernarg_segment_align: 8
    .kernarg_segment_size: 128
    .language:       OpenCL C
    .language_version:
      - 2
      - 0
    .max_flat_workgroup_size: 512
    .name:           _ZN7rocprim17ROCPRIM_400000_NS6detail17trampoline_kernelINS0_14default_configENS1_25partition_config_selectorILNS1_17partition_subalgoE5ExNS0_10empty_typeEbEEZZNS1_14partition_implILS5_5ELb0ES3_mN6thrust23THRUST_200600_302600_NS6detail15normal_iteratorINSA_10device_ptrIxEEEEPS6_NSA_18transform_iteratorINSB_9not_fun_tI7is_trueIxEEENSC_INSD_IbEEEENSA_11use_defaultESO_EENS0_5tupleIJNSA_16discard_iteratorISO_EES6_EEENSQ_IJSG_SG_EEES6_PlJS6_EEE10hipError_tPvRmT3_T4_T5_T6_T7_T9_mT8_P12ihipStream_tbDpT10_ENKUlT_T0_E_clISt17integral_constantIbLb1EES1E_IbLb0EEEEDaS1A_S1B_EUlS1A_E_NS1_11comp_targetILNS1_3genE5ELNS1_11target_archE942ELNS1_3gpuE9ELNS1_3repE0EEENS1_30default_config_static_selectorELNS0_4arch9wavefront6targetE0EEEvT1_
    .private_segment_fixed_size: 0
    .sgpr_count:     0
    .sgpr_spill_count: 0
    .symbol:         _ZN7rocprim17ROCPRIM_400000_NS6detail17trampoline_kernelINS0_14default_configENS1_25partition_config_selectorILNS1_17partition_subalgoE5ExNS0_10empty_typeEbEEZZNS1_14partition_implILS5_5ELb0ES3_mN6thrust23THRUST_200600_302600_NS6detail15normal_iteratorINSA_10device_ptrIxEEEEPS6_NSA_18transform_iteratorINSB_9not_fun_tI7is_trueIxEEENSC_INSD_IbEEEENSA_11use_defaultESO_EENS0_5tupleIJNSA_16discard_iteratorISO_EES6_EEENSQ_IJSG_SG_EEES6_PlJS6_EEE10hipError_tPvRmT3_T4_T5_T6_T7_T9_mT8_P12ihipStream_tbDpT10_ENKUlT_T0_E_clISt17integral_constantIbLb1EES1E_IbLb0EEEEDaS1A_S1B_EUlS1A_E_NS1_11comp_targetILNS1_3genE5ELNS1_11target_archE942ELNS1_3gpuE9ELNS1_3repE0EEENS1_30default_config_static_selectorELNS0_4arch9wavefront6targetE0EEEvT1_.kd
    .uniform_work_group_size: 1
    .uses_dynamic_stack: false
    .vgpr_count:     0
    .vgpr_spill_count: 0
    .wavefront_size: 32
    .workgroup_processor_mode: 1
  - .args:
      - .offset:         0
        .size:           128
        .value_kind:     by_value
    .group_segment_fixed_size: 0
    .kernarg_segment_align: 8
    .kernarg_segment_size: 128
    .language:       OpenCL C
    .language_version:
      - 2
      - 0
    .max_flat_workgroup_size: 192
    .name:           _ZN7rocprim17ROCPRIM_400000_NS6detail17trampoline_kernelINS0_14default_configENS1_25partition_config_selectorILNS1_17partition_subalgoE5ExNS0_10empty_typeEbEEZZNS1_14partition_implILS5_5ELb0ES3_mN6thrust23THRUST_200600_302600_NS6detail15normal_iteratorINSA_10device_ptrIxEEEEPS6_NSA_18transform_iteratorINSB_9not_fun_tI7is_trueIxEEENSC_INSD_IbEEEENSA_11use_defaultESO_EENS0_5tupleIJNSA_16discard_iteratorISO_EES6_EEENSQ_IJSG_SG_EEES6_PlJS6_EEE10hipError_tPvRmT3_T4_T5_T6_T7_T9_mT8_P12ihipStream_tbDpT10_ENKUlT_T0_E_clISt17integral_constantIbLb1EES1E_IbLb0EEEEDaS1A_S1B_EUlS1A_E_NS1_11comp_targetILNS1_3genE4ELNS1_11target_archE910ELNS1_3gpuE8ELNS1_3repE0EEENS1_30default_config_static_selectorELNS0_4arch9wavefront6targetE0EEEvT1_
    .private_segment_fixed_size: 0
    .sgpr_count:     0
    .sgpr_spill_count: 0
    .symbol:         _ZN7rocprim17ROCPRIM_400000_NS6detail17trampoline_kernelINS0_14default_configENS1_25partition_config_selectorILNS1_17partition_subalgoE5ExNS0_10empty_typeEbEEZZNS1_14partition_implILS5_5ELb0ES3_mN6thrust23THRUST_200600_302600_NS6detail15normal_iteratorINSA_10device_ptrIxEEEEPS6_NSA_18transform_iteratorINSB_9not_fun_tI7is_trueIxEEENSC_INSD_IbEEEENSA_11use_defaultESO_EENS0_5tupleIJNSA_16discard_iteratorISO_EES6_EEENSQ_IJSG_SG_EEES6_PlJS6_EEE10hipError_tPvRmT3_T4_T5_T6_T7_T9_mT8_P12ihipStream_tbDpT10_ENKUlT_T0_E_clISt17integral_constantIbLb1EES1E_IbLb0EEEEDaS1A_S1B_EUlS1A_E_NS1_11comp_targetILNS1_3genE4ELNS1_11target_archE910ELNS1_3gpuE8ELNS1_3repE0EEENS1_30default_config_static_selectorELNS0_4arch9wavefront6targetE0EEEvT1_.kd
    .uniform_work_group_size: 1
    .uses_dynamic_stack: false
    .vgpr_count:     0
    .vgpr_spill_count: 0
    .wavefront_size: 32
    .workgroup_processor_mode: 1
  - .args:
      - .offset:         0
        .size:           128
        .value_kind:     by_value
    .group_segment_fixed_size: 0
    .kernarg_segment_align: 8
    .kernarg_segment_size: 128
    .language:       OpenCL C
    .language_version:
      - 2
      - 0
    .max_flat_workgroup_size: 128
    .name:           _ZN7rocprim17ROCPRIM_400000_NS6detail17trampoline_kernelINS0_14default_configENS1_25partition_config_selectorILNS1_17partition_subalgoE5ExNS0_10empty_typeEbEEZZNS1_14partition_implILS5_5ELb0ES3_mN6thrust23THRUST_200600_302600_NS6detail15normal_iteratorINSA_10device_ptrIxEEEEPS6_NSA_18transform_iteratorINSB_9not_fun_tI7is_trueIxEEENSC_INSD_IbEEEENSA_11use_defaultESO_EENS0_5tupleIJNSA_16discard_iteratorISO_EES6_EEENSQ_IJSG_SG_EEES6_PlJS6_EEE10hipError_tPvRmT3_T4_T5_T6_T7_T9_mT8_P12ihipStream_tbDpT10_ENKUlT_T0_E_clISt17integral_constantIbLb1EES1E_IbLb0EEEEDaS1A_S1B_EUlS1A_E_NS1_11comp_targetILNS1_3genE3ELNS1_11target_archE908ELNS1_3gpuE7ELNS1_3repE0EEENS1_30default_config_static_selectorELNS0_4arch9wavefront6targetE0EEEvT1_
    .private_segment_fixed_size: 0
    .sgpr_count:     0
    .sgpr_spill_count: 0
    .symbol:         _ZN7rocprim17ROCPRIM_400000_NS6detail17trampoline_kernelINS0_14default_configENS1_25partition_config_selectorILNS1_17partition_subalgoE5ExNS0_10empty_typeEbEEZZNS1_14partition_implILS5_5ELb0ES3_mN6thrust23THRUST_200600_302600_NS6detail15normal_iteratorINSA_10device_ptrIxEEEEPS6_NSA_18transform_iteratorINSB_9not_fun_tI7is_trueIxEEENSC_INSD_IbEEEENSA_11use_defaultESO_EENS0_5tupleIJNSA_16discard_iteratorISO_EES6_EEENSQ_IJSG_SG_EEES6_PlJS6_EEE10hipError_tPvRmT3_T4_T5_T6_T7_T9_mT8_P12ihipStream_tbDpT10_ENKUlT_T0_E_clISt17integral_constantIbLb1EES1E_IbLb0EEEEDaS1A_S1B_EUlS1A_E_NS1_11comp_targetILNS1_3genE3ELNS1_11target_archE908ELNS1_3gpuE7ELNS1_3repE0EEENS1_30default_config_static_selectorELNS0_4arch9wavefront6targetE0EEEvT1_.kd
    .uniform_work_group_size: 1
    .uses_dynamic_stack: false
    .vgpr_count:     0
    .vgpr_spill_count: 0
    .wavefront_size: 32
    .workgroup_processor_mode: 1
  - .args:
      - .offset:         0
        .size:           128
        .value_kind:     by_value
    .group_segment_fixed_size: 0
    .kernarg_segment_align: 8
    .kernarg_segment_size: 128
    .language:       OpenCL C
    .language_version:
      - 2
      - 0
    .max_flat_workgroup_size: 256
    .name:           _ZN7rocprim17ROCPRIM_400000_NS6detail17trampoline_kernelINS0_14default_configENS1_25partition_config_selectorILNS1_17partition_subalgoE5ExNS0_10empty_typeEbEEZZNS1_14partition_implILS5_5ELb0ES3_mN6thrust23THRUST_200600_302600_NS6detail15normal_iteratorINSA_10device_ptrIxEEEEPS6_NSA_18transform_iteratorINSB_9not_fun_tI7is_trueIxEEENSC_INSD_IbEEEENSA_11use_defaultESO_EENS0_5tupleIJNSA_16discard_iteratorISO_EES6_EEENSQ_IJSG_SG_EEES6_PlJS6_EEE10hipError_tPvRmT3_T4_T5_T6_T7_T9_mT8_P12ihipStream_tbDpT10_ENKUlT_T0_E_clISt17integral_constantIbLb1EES1E_IbLb0EEEEDaS1A_S1B_EUlS1A_E_NS1_11comp_targetILNS1_3genE2ELNS1_11target_archE906ELNS1_3gpuE6ELNS1_3repE0EEENS1_30default_config_static_selectorELNS0_4arch9wavefront6targetE0EEEvT1_
    .private_segment_fixed_size: 0
    .sgpr_count:     0
    .sgpr_spill_count: 0
    .symbol:         _ZN7rocprim17ROCPRIM_400000_NS6detail17trampoline_kernelINS0_14default_configENS1_25partition_config_selectorILNS1_17partition_subalgoE5ExNS0_10empty_typeEbEEZZNS1_14partition_implILS5_5ELb0ES3_mN6thrust23THRUST_200600_302600_NS6detail15normal_iteratorINSA_10device_ptrIxEEEEPS6_NSA_18transform_iteratorINSB_9not_fun_tI7is_trueIxEEENSC_INSD_IbEEEENSA_11use_defaultESO_EENS0_5tupleIJNSA_16discard_iteratorISO_EES6_EEENSQ_IJSG_SG_EEES6_PlJS6_EEE10hipError_tPvRmT3_T4_T5_T6_T7_T9_mT8_P12ihipStream_tbDpT10_ENKUlT_T0_E_clISt17integral_constantIbLb1EES1E_IbLb0EEEEDaS1A_S1B_EUlS1A_E_NS1_11comp_targetILNS1_3genE2ELNS1_11target_archE906ELNS1_3gpuE6ELNS1_3repE0EEENS1_30default_config_static_selectorELNS0_4arch9wavefront6targetE0EEEvT1_.kd
    .uniform_work_group_size: 1
    .uses_dynamic_stack: false
    .vgpr_count:     0
    .vgpr_spill_count: 0
    .wavefront_size: 32
    .workgroup_processor_mode: 1
  - .args:
      - .offset:         0
        .size:           128
        .value_kind:     by_value
    .group_segment_fixed_size: 0
    .kernarg_segment_align: 8
    .kernarg_segment_size: 128
    .language:       OpenCL C
    .language_version:
      - 2
      - 0
    .max_flat_workgroup_size: 256
    .name:           _ZN7rocprim17ROCPRIM_400000_NS6detail17trampoline_kernelINS0_14default_configENS1_25partition_config_selectorILNS1_17partition_subalgoE5ExNS0_10empty_typeEbEEZZNS1_14partition_implILS5_5ELb0ES3_mN6thrust23THRUST_200600_302600_NS6detail15normal_iteratorINSA_10device_ptrIxEEEEPS6_NSA_18transform_iteratorINSB_9not_fun_tI7is_trueIxEEENSC_INSD_IbEEEENSA_11use_defaultESO_EENS0_5tupleIJNSA_16discard_iteratorISO_EES6_EEENSQ_IJSG_SG_EEES6_PlJS6_EEE10hipError_tPvRmT3_T4_T5_T6_T7_T9_mT8_P12ihipStream_tbDpT10_ENKUlT_T0_E_clISt17integral_constantIbLb1EES1E_IbLb0EEEEDaS1A_S1B_EUlS1A_E_NS1_11comp_targetILNS1_3genE10ELNS1_11target_archE1200ELNS1_3gpuE4ELNS1_3repE0EEENS1_30default_config_static_selectorELNS0_4arch9wavefront6targetE0EEEvT1_
    .private_segment_fixed_size: 0
    .sgpr_count:     0
    .sgpr_spill_count: 0
    .symbol:         _ZN7rocprim17ROCPRIM_400000_NS6detail17trampoline_kernelINS0_14default_configENS1_25partition_config_selectorILNS1_17partition_subalgoE5ExNS0_10empty_typeEbEEZZNS1_14partition_implILS5_5ELb0ES3_mN6thrust23THRUST_200600_302600_NS6detail15normal_iteratorINSA_10device_ptrIxEEEEPS6_NSA_18transform_iteratorINSB_9not_fun_tI7is_trueIxEEENSC_INSD_IbEEEENSA_11use_defaultESO_EENS0_5tupleIJNSA_16discard_iteratorISO_EES6_EEENSQ_IJSG_SG_EEES6_PlJS6_EEE10hipError_tPvRmT3_T4_T5_T6_T7_T9_mT8_P12ihipStream_tbDpT10_ENKUlT_T0_E_clISt17integral_constantIbLb1EES1E_IbLb0EEEEDaS1A_S1B_EUlS1A_E_NS1_11comp_targetILNS1_3genE10ELNS1_11target_archE1200ELNS1_3gpuE4ELNS1_3repE0EEENS1_30default_config_static_selectorELNS0_4arch9wavefront6targetE0EEEvT1_.kd
    .uniform_work_group_size: 1
    .uses_dynamic_stack: false
    .vgpr_count:     0
    .vgpr_spill_count: 0
    .wavefront_size: 32
    .workgroup_processor_mode: 1
  - .args:
      - .offset:         0
        .size:           128
        .value_kind:     by_value
    .group_segment_fixed_size: 0
    .kernarg_segment_align: 8
    .kernarg_segment_size: 128
    .language:       OpenCL C
    .language_version:
      - 2
      - 0
    .max_flat_workgroup_size: 128
    .name:           _ZN7rocprim17ROCPRIM_400000_NS6detail17trampoline_kernelINS0_14default_configENS1_25partition_config_selectorILNS1_17partition_subalgoE5ExNS0_10empty_typeEbEEZZNS1_14partition_implILS5_5ELb0ES3_mN6thrust23THRUST_200600_302600_NS6detail15normal_iteratorINSA_10device_ptrIxEEEEPS6_NSA_18transform_iteratorINSB_9not_fun_tI7is_trueIxEEENSC_INSD_IbEEEENSA_11use_defaultESO_EENS0_5tupleIJNSA_16discard_iteratorISO_EES6_EEENSQ_IJSG_SG_EEES6_PlJS6_EEE10hipError_tPvRmT3_T4_T5_T6_T7_T9_mT8_P12ihipStream_tbDpT10_ENKUlT_T0_E_clISt17integral_constantIbLb1EES1E_IbLb0EEEEDaS1A_S1B_EUlS1A_E_NS1_11comp_targetILNS1_3genE9ELNS1_11target_archE1100ELNS1_3gpuE3ELNS1_3repE0EEENS1_30default_config_static_selectorELNS0_4arch9wavefront6targetE0EEEvT1_
    .private_segment_fixed_size: 0
    .sgpr_count:     0
    .sgpr_spill_count: 0
    .symbol:         _ZN7rocprim17ROCPRIM_400000_NS6detail17trampoline_kernelINS0_14default_configENS1_25partition_config_selectorILNS1_17partition_subalgoE5ExNS0_10empty_typeEbEEZZNS1_14partition_implILS5_5ELb0ES3_mN6thrust23THRUST_200600_302600_NS6detail15normal_iteratorINSA_10device_ptrIxEEEEPS6_NSA_18transform_iteratorINSB_9not_fun_tI7is_trueIxEEENSC_INSD_IbEEEENSA_11use_defaultESO_EENS0_5tupleIJNSA_16discard_iteratorISO_EES6_EEENSQ_IJSG_SG_EEES6_PlJS6_EEE10hipError_tPvRmT3_T4_T5_T6_T7_T9_mT8_P12ihipStream_tbDpT10_ENKUlT_T0_E_clISt17integral_constantIbLb1EES1E_IbLb0EEEEDaS1A_S1B_EUlS1A_E_NS1_11comp_targetILNS1_3genE9ELNS1_11target_archE1100ELNS1_3gpuE3ELNS1_3repE0EEENS1_30default_config_static_selectorELNS0_4arch9wavefront6targetE0EEEvT1_.kd
    .uniform_work_group_size: 1
    .uses_dynamic_stack: false
    .vgpr_count:     0
    .vgpr_spill_count: 0
    .wavefront_size: 32
    .workgroup_processor_mode: 1
  - .args:
      - .offset:         0
        .size:           128
        .value_kind:     by_value
    .group_segment_fixed_size: 0
    .kernarg_segment_align: 8
    .kernarg_segment_size: 128
    .language:       OpenCL C
    .language_version:
      - 2
      - 0
    .max_flat_workgroup_size: 512
    .name:           _ZN7rocprim17ROCPRIM_400000_NS6detail17trampoline_kernelINS0_14default_configENS1_25partition_config_selectorILNS1_17partition_subalgoE5ExNS0_10empty_typeEbEEZZNS1_14partition_implILS5_5ELb0ES3_mN6thrust23THRUST_200600_302600_NS6detail15normal_iteratorINSA_10device_ptrIxEEEEPS6_NSA_18transform_iteratorINSB_9not_fun_tI7is_trueIxEEENSC_INSD_IbEEEENSA_11use_defaultESO_EENS0_5tupleIJNSA_16discard_iteratorISO_EES6_EEENSQ_IJSG_SG_EEES6_PlJS6_EEE10hipError_tPvRmT3_T4_T5_T6_T7_T9_mT8_P12ihipStream_tbDpT10_ENKUlT_T0_E_clISt17integral_constantIbLb1EES1E_IbLb0EEEEDaS1A_S1B_EUlS1A_E_NS1_11comp_targetILNS1_3genE8ELNS1_11target_archE1030ELNS1_3gpuE2ELNS1_3repE0EEENS1_30default_config_static_selectorELNS0_4arch9wavefront6targetE0EEEvT1_
    .private_segment_fixed_size: 0
    .sgpr_count:     0
    .sgpr_spill_count: 0
    .symbol:         _ZN7rocprim17ROCPRIM_400000_NS6detail17trampoline_kernelINS0_14default_configENS1_25partition_config_selectorILNS1_17partition_subalgoE5ExNS0_10empty_typeEbEEZZNS1_14partition_implILS5_5ELb0ES3_mN6thrust23THRUST_200600_302600_NS6detail15normal_iteratorINSA_10device_ptrIxEEEEPS6_NSA_18transform_iteratorINSB_9not_fun_tI7is_trueIxEEENSC_INSD_IbEEEENSA_11use_defaultESO_EENS0_5tupleIJNSA_16discard_iteratorISO_EES6_EEENSQ_IJSG_SG_EEES6_PlJS6_EEE10hipError_tPvRmT3_T4_T5_T6_T7_T9_mT8_P12ihipStream_tbDpT10_ENKUlT_T0_E_clISt17integral_constantIbLb1EES1E_IbLb0EEEEDaS1A_S1B_EUlS1A_E_NS1_11comp_targetILNS1_3genE8ELNS1_11target_archE1030ELNS1_3gpuE2ELNS1_3repE0EEENS1_30default_config_static_selectorELNS0_4arch9wavefront6targetE0EEEvT1_.kd
    .uniform_work_group_size: 1
    .uses_dynamic_stack: false
    .vgpr_count:     0
    .vgpr_spill_count: 0
    .wavefront_size: 32
    .workgroup_processor_mode: 1
  - .args:
      - .offset:         0
        .size:           144
        .value_kind:     by_value
    .group_segment_fixed_size: 0
    .kernarg_segment_align: 8
    .kernarg_segment_size: 144
    .language:       OpenCL C
    .language_version:
      - 2
      - 0
    .max_flat_workgroup_size: 128
    .name:           _ZN7rocprim17ROCPRIM_400000_NS6detail17trampoline_kernelINS0_14default_configENS1_25partition_config_selectorILNS1_17partition_subalgoE5ExNS0_10empty_typeEbEEZZNS1_14partition_implILS5_5ELb0ES3_mN6thrust23THRUST_200600_302600_NS6detail15normal_iteratorINSA_10device_ptrIxEEEEPS6_NSA_18transform_iteratorINSB_9not_fun_tI7is_trueIxEEENSC_INSD_IbEEEENSA_11use_defaultESO_EENS0_5tupleIJNSA_16discard_iteratorISO_EES6_EEENSQ_IJSG_SG_EEES6_PlJS6_EEE10hipError_tPvRmT3_T4_T5_T6_T7_T9_mT8_P12ihipStream_tbDpT10_ENKUlT_T0_E_clISt17integral_constantIbLb0EES1E_IbLb1EEEEDaS1A_S1B_EUlS1A_E_NS1_11comp_targetILNS1_3genE0ELNS1_11target_archE4294967295ELNS1_3gpuE0ELNS1_3repE0EEENS1_30default_config_static_selectorELNS0_4arch9wavefront6targetE0EEEvT1_
    .private_segment_fixed_size: 0
    .sgpr_count:     0
    .sgpr_spill_count: 0
    .symbol:         _ZN7rocprim17ROCPRIM_400000_NS6detail17trampoline_kernelINS0_14default_configENS1_25partition_config_selectorILNS1_17partition_subalgoE5ExNS0_10empty_typeEbEEZZNS1_14partition_implILS5_5ELb0ES3_mN6thrust23THRUST_200600_302600_NS6detail15normal_iteratorINSA_10device_ptrIxEEEEPS6_NSA_18transform_iteratorINSB_9not_fun_tI7is_trueIxEEENSC_INSD_IbEEEENSA_11use_defaultESO_EENS0_5tupleIJNSA_16discard_iteratorISO_EES6_EEENSQ_IJSG_SG_EEES6_PlJS6_EEE10hipError_tPvRmT3_T4_T5_T6_T7_T9_mT8_P12ihipStream_tbDpT10_ENKUlT_T0_E_clISt17integral_constantIbLb0EES1E_IbLb1EEEEDaS1A_S1B_EUlS1A_E_NS1_11comp_targetILNS1_3genE0ELNS1_11target_archE4294967295ELNS1_3gpuE0ELNS1_3repE0EEENS1_30default_config_static_selectorELNS0_4arch9wavefront6targetE0EEEvT1_.kd
    .uniform_work_group_size: 1
    .uses_dynamic_stack: false
    .vgpr_count:     0
    .vgpr_spill_count: 0
    .wavefront_size: 32
    .workgroup_processor_mode: 1
  - .args:
      - .offset:         0
        .size:           144
        .value_kind:     by_value
    .group_segment_fixed_size: 0
    .kernarg_segment_align: 8
    .kernarg_segment_size: 144
    .language:       OpenCL C
    .language_version:
      - 2
      - 0
    .max_flat_workgroup_size: 512
    .name:           _ZN7rocprim17ROCPRIM_400000_NS6detail17trampoline_kernelINS0_14default_configENS1_25partition_config_selectorILNS1_17partition_subalgoE5ExNS0_10empty_typeEbEEZZNS1_14partition_implILS5_5ELb0ES3_mN6thrust23THRUST_200600_302600_NS6detail15normal_iteratorINSA_10device_ptrIxEEEEPS6_NSA_18transform_iteratorINSB_9not_fun_tI7is_trueIxEEENSC_INSD_IbEEEENSA_11use_defaultESO_EENS0_5tupleIJNSA_16discard_iteratorISO_EES6_EEENSQ_IJSG_SG_EEES6_PlJS6_EEE10hipError_tPvRmT3_T4_T5_T6_T7_T9_mT8_P12ihipStream_tbDpT10_ENKUlT_T0_E_clISt17integral_constantIbLb0EES1E_IbLb1EEEEDaS1A_S1B_EUlS1A_E_NS1_11comp_targetILNS1_3genE5ELNS1_11target_archE942ELNS1_3gpuE9ELNS1_3repE0EEENS1_30default_config_static_selectorELNS0_4arch9wavefront6targetE0EEEvT1_
    .private_segment_fixed_size: 0
    .sgpr_count:     0
    .sgpr_spill_count: 0
    .symbol:         _ZN7rocprim17ROCPRIM_400000_NS6detail17trampoline_kernelINS0_14default_configENS1_25partition_config_selectorILNS1_17partition_subalgoE5ExNS0_10empty_typeEbEEZZNS1_14partition_implILS5_5ELb0ES3_mN6thrust23THRUST_200600_302600_NS6detail15normal_iteratorINSA_10device_ptrIxEEEEPS6_NSA_18transform_iteratorINSB_9not_fun_tI7is_trueIxEEENSC_INSD_IbEEEENSA_11use_defaultESO_EENS0_5tupleIJNSA_16discard_iteratorISO_EES6_EEENSQ_IJSG_SG_EEES6_PlJS6_EEE10hipError_tPvRmT3_T4_T5_T6_T7_T9_mT8_P12ihipStream_tbDpT10_ENKUlT_T0_E_clISt17integral_constantIbLb0EES1E_IbLb1EEEEDaS1A_S1B_EUlS1A_E_NS1_11comp_targetILNS1_3genE5ELNS1_11target_archE942ELNS1_3gpuE9ELNS1_3repE0EEENS1_30default_config_static_selectorELNS0_4arch9wavefront6targetE0EEEvT1_.kd
    .uniform_work_group_size: 1
    .uses_dynamic_stack: false
    .vgpr_count:     0
    .vgpr_spill_count: 0
    .wavefront_size: 32
    .workgroup_processor_mode: 1
  - .args:
      - .offset:         0
        .size:           144
        .value_kind:     by_value
    .group_segment_fixed_size: 0
    .kernarg_segment_align: 8
    .kernarg_segment_size: 144
    .language:       OpenCL C
    .language_version:
      - 2
      - 0
    .max_flat_workgroup_size: 192
    .name:           _ZN7rocprim17ROCPRIM_400000_NS6detail17trampoline_kernelINS0_14default_configENS1_25partition_config_selectorILNS1_17partition_subalgoE5ExNS0_10empty_typeEbEEZZNS1_14partition_implILS5_5ELb0ES3_mN6thrust23THRUST_200600_302600_NS6detail15normal_iteratorINSA_10device_ptrIxEEEEPS6_NSA_18transform_iteratorINSB_9not_fun_tI7is_trueIxEEENSC_INSD_IbEEEENSA_11use_defaultESO_EENS0_5tupleIJNSA_16discard_iteratorISO_EES6_EEENSQ_IJSG_SG_EEES6_PlJS6_EEE10hipError_tPvRmT3_T4_T5_T6_T7_T9_mT8_P12ihipStream_tbDpT10_ENKUlT_T0_E_clISt17integral_constantIbLb0EES1E_IbLb1EEEEDaS1A_S1B_EUlS1A_E_NS1_11comp_targetILNS1_3genE4ELNS1_11target_archE910ELNS1_3gpuE8ELNS1_3repE0EEENS1_30default_config_static_selectorELNS0_4arch9wavefront6targetE0EEEvT1_
    .private_segment_fixed_size: 0
    .sgpr_count:     0
    .sgpr_spill_count: 0
    .symbol:         _ZN7rocprim17ROCPRIM_400000_NS6detail17trampoline_kernelINS0_14default_configENS1_25partition_config_selectorILNS1_17partition_subalgoE5ExNS0_10empty_typeEbEEZZNS1_14partition_implILS5_5ELb0ES3_mN6thrust23THRUST_200600_302600_NS6detail15normal_iteratorINSA_10device_ptrIxEEEEPS6_NSA_18transform_iteratorINSB_9not_fun_tI7is_trueIxEEENSC_INSD_IbEEEENSA_11use_defaultESO_EENS0_5tupleIJNSA_16discard_iteratorISO_EES6_EEENSQ_IJSG_SG_EEES6_PlJS6_EEE10hipError_tPvRmT3_T4_T5_T6_T7_T9_mT8_P12ihipStream_tbDpT10_ENKUlT_T0_E_clISt17integral_constantIbLb0EES1E_IbLb1EEEEDaS1A_S1B_EUlS1A_E_NS1_11comp_targetILNS1_3genE4ELNS1_11target_archE910ELNS1_3gpuE8ELNS1_3repE0EEENS1_30default_config_static_selectorELNS0_4arch9wavefront6targetE0EEEvT1_.kd
    .uniform_work_group_size: 1
    .uses_dynamic_stack: false
    .vgpr_count:     0
    .vgpr_spill_count: 0
    .wavefront_size: 32
    .workgroup_processor_mode: 1
  - .args:
      - .offset:         0
        .size:           144
        .value_kind:     by_value
    .group_segment_fixed_size: 0
    .kernarg_segment_align: 8
    .kernarg_segment_size: 144
    .language:       OpenCL C
    .language_version:
      - 2
      - 0
    .max_flat_workgroup_size: 128
    .name:           _ZN7rocprim17ROCPRIM_400000_NS6detail17trampoline_kernelINS0_14default_configENS1_25partition_config_selectorILNS1_17partition_subalgoE5ExNS0_10empty_typeEbEEZZNS1_14partition_implILS5_5ELb0ES3_mN6thrust23THRUST_200600_302600_NS6detail15normal_iteratorINSA_10device_ptrIxEEEEPS6_NSA_18transform_iteratorINSB_9not_fun_tI7is_trueIxEEENSC_INSD_IbEEEENSA_11use_defaultESO_EENS0_5tupleIJNSA_16discard_iteratorISO_EES6_EEENSQ_IJSG_SG_EEES6_PlJS6_EEE10hipError_tPvRmT3_T4_T5_T6_T7_T9_mT8_P12ihipStream_tbDpT10_ENKUlT_T0_E_clISt17integral_constantIbLb0EES1E_IbLb1EEEEDaS1A_S1B_EUlS1A_E_NS1_11comp_targetILNS1_3genE3ELNS1_11target_archE908ELNS1_3gpuE7ELNS1_3repE0EEENS1_30default_config_static_selectorELNS0_4arch9wavefront6targetE0EEEvT1_
    .private_segment_fixed_size: 0
    .sgpr_count:     0
    .sgpr_spill_count: 0
    .symbol:         _ZN7rocprim17ROCPRIM_400000_NS6detail17trampoline_kernelINS0_14default_configENS1_25partition_config_selectorILNS1_17partition_subalgoE5ExNS0_10empty_typeEbEEZZNS1_14partition_implILS5_5ELb0ES3_mN6thrust23THRUST_200600_302600_NS6detail15normal_iteratorINSA_10device_ptrIxEEEEPS6_NSA_18transform_iteratorINSB_9not_fun_tI7is_trueIxEEENSC_INSD_IbEEEENSA_11use_defaultESO_EENS0_5tupleIJNSA_16discard_iteratorISO_EES6_EEENSQ_IJSG_SG_EEES6_PlJS6_EEE10hipError_tPvRmT3_T4_T5_T6_T7_T9_mT8_P12ihipStream_tbDpT10_ENKUlT_T0_E_clISt17integral_constantIbLb0EES1E_IbLb1EEEEDaS1A_S1B_EUlS1A_E_NS1_11comp_targetILNS1_3genE3ELNS1_11target_archE908ELNS1_3gpuE7ELNS1_3repE0EEENS1_30default_config_static_selectorELNS0_4arch9wavefront6targetE0EEEvT1_.kd
    .uniform_work_group_size: 1
    .uses_dynamic_stack: false
    .vgpr_count:     0
    .vgpr_spill_count: 0
    .wavefront_size: 32
    .workgroup_processor_mode: 1
  - .args:
      - .offset:         0
        .size:           144
        .value_kind:     by_value
    .group_segment_fixed_size: 0
    .kernarg_segment_align: 8
    .kernarg_segment_size: 144
    .language:       OpenCL C
    .language_version:
      - 2
      - 0
    .max_flat_workgroup_size: 256
    .name:           _ZN7rocprim17ROCPRIM_400000_NS6detail17trampoline_kernelINS0_14default_configENS1_25partition_config_selectorILNS1_17partition_subalgoE5ExNS0_10empty_typeEbEEZZNS1_14partition_implILS5_5ELb0ES3_mN6thrust23THRUST_200600_302600_NS6detail15normal_iteratorINSA_10device_ptrIxEEEEPS6_NSA_18transform_iteratorINSB_9not_fun_tI7is_trueIxEEENSC_INSD_IbEEEENSA_11use_defaultESO_EENS0_5tupleIJNSA_16discard_iteratorISO_EES6_EEENSQ_IJSG_SG_EEES6_PlJS6_EEE10hipError_tPvRmT3_T4_T5_T6_T7_T9_mT8_P12ihipStream_tbDpT10_ENKUlT_T0_E_clISt17integral_constantIbLb0EES1E_IbLb1EEEEDaS1A_S1B_EUlS1A_E_NS1_11comp_targetILNS1_3genE2ELNS1_11target_archE906ELNS1_3gpuE6ELNS1_3repE0EEENS1_30default_config_static_selectorELNS0_4arch9wavefront6targetE0EEEvT1_
    .private_segment_fixed_size: 0
    .sgpr_count:     0
    .sgpr_spill_count: 0
    .symbol:         _ZN7rocprim17ROCPRIM_400000_NS6detail17trampoline_kernelINS0_14default_configENS1_25partition_config_selectorILNS1_17partition_subalgoE5ExNS0_10empty_typeEbEEZZNS1_14partition_implILS5_5ELb0ES3_mN6thrust23THRUST_200600_302600_NS6detail15normal_iteratorINSA_10device_ptrIxEEEEPS6_NSA_18transform_iteratorINSB_9not_fun_tI7is_trueIxEEENSC_INSD_IbEEEENSA_11use_defaultESO_EENS0_5tupleIJNSA_16discard_iteratorISO_EES6_EEENSQ_IJSG_SG_EEES6_PlJS6_EEE10hipError_tPvRmT3_T4_T5_T6_T7_T9_mT8_P12ihipStream_tbDpT10_ENKUlT_T0_E_clISt17integral_constantIbLb0EES1E_IbLb1EEEEDaS1A_S1B_EUlS1A_E_NS1_11comp_targetILNS1_3genE2ELNS1_11target_archE906ELNS1_3gpuE6ELNS1_3repE0EEENS1_30default_config_static_selectorELNS0_4arch9wavefront6targetE0EEEvT1_.kd
    .uniform_work_group_size: 1
    .uses_dynamic_stack: false
    .vgpr_count:     0
    .vgpr_spill_count: 0
    .wavefront_size: 32
    .workgroup_processor_mode: 1
  - .args:
      - .offset:         0
        .size:           144
        .value_kind:     by_value
    .group_segment_fixed_size: 8464
    .kernarg_segment_align: 8
    .kernarg_segment_size: 144
    .language:       OpenCL C
    .language_version:
      - 2
      - 0
    .max_flat_workgroup_size: 256
    .name:           _ZN7rocprim17ROCPRIM_400000_NS6detail17trampoline_kernelINS0_14default_configENS1_25partition_config_selectorILNS1_17partition_subalgoE5ExNS0_10empty_typeEbEEZZNS1_14partition_implILS5_5ELb0ES3_mN6thrust23THRUST_200600_302600_NS6detail15normal_iteratorINSA_10device_ptrIxEEEEPS6_NSA_18transform_iteratorINSB_9not_fun_tI7is_trueIxEEENSC_INSD_IbEEEENSA_11use_defaultESO_EENS0_5tupleIJNSA_16discard_iteratorISO_EES6_EEENSQ_IJSG_SG_EEES6_PlJS6_EEE10hipError_tPvRmT3_T4_T5_T6_T7_T9_mT8_P12ihipStream_tbDpT10_ENKUlT_T0_E_clISt17integral_constantIbLb0EES1E_IbLb1EEEEDaS1A_S1B_EUlS1A_E_NS1_11comp_targetILNS1_3genE10ELNS1_11target_archE1200ELNS1_3gpuE4ELNS1_3repE0EEENS1_30default_config_static_selectorELNS0_4arch9wavefront6targetE0EEEvT1_
    .private_segment_fixed_size: 0
    .sgpr_count:     24
    .sgpr_spill_count: 0
    .symbol:         _ZN7rocprim17ROCPRIM_400000_NS6detail17trampoline_kernelINS0_14default_configENS1_25partition_config_selectorILNS1_17partition_subalgoE5ExNS0_10empty_typeEbEEZZNS1_14partition_implILS5_5ELb0ES3_mN6thrust23THRUST_200600_302600_NS6detail15normal_iteratorINSA_10device_ptrIxEEEEPS6_NSA_18transform_iteratorINSB_9not_fun_tI7is_trueIxEEENSC_INSD_IbEEEENSA_11use_defaultESO_EENS0_5tupleIJNSA_16discard_iteratorISO_EES6_EEENSQ_IJSG_SG_EEES6_PlJS6_EEE10hipError_tPvRmT3_T4_T5_T6_T7_T9_mT8_P12ihipStream_tbDpT10_ENKUlT_T0_E_clISt17integral_constantIbLb0EES1E_IbLb1EEEEDaS1A_S1B_EUlS1A_E_NS1_11comp_targetILNS1_3genE10ELNS1_11target_archE1200ELNS1_3gpuE4ELNS1_3repE0EEENS1_30default_config_static_selectorELNS0_4arch9wavefront6targetE0EEEvT1_.kd
    .uniform_work_group_size: 1
    .uses_dynamic_stack: false
    .vgpr_count:     47
    .vgpr_spill_count: 0
    .wavefront_size: 32
    .workgroup_processor_mode: 1
  - .args:
      - .offset:         0
        .size:           144
        .value_kind:     by_value
    .group_segment_fixed_size: 0
    .kernarg_segment_align: 8
    .kernarg_segment_size: 144
    .language:       OpenCL C
    .language_version:
      - 2
      - 0
    .max_flat_workgroup_size: 128
    .name:           _ZN7rocprim17ROCPRIM_400000_NS6detail17trampoline_kernelINS0_14default_configENS1_25partition_config_selectorILNS1_17partition_subalgoE5ExNS0_10empty_typeEbEEZZNS1_14partition_implILS5_5ELb0ES3_mN6thrust23THRUST_200600_302600_NS6detail15normal_iteratorINSA_10device_ptrIxEEEEPS6_NSA_18transform_iteratorINSB_9not_fun_tI7is_trueIxEEENSC_INSD_IbEEEENSA_11use_defaultESO_EENS0_5tupleIJNSA_16discard_iteratorISO_EES6_EEENSQ_IJSG_SG_EEES6_PlJS6_EEE10hipError_tPvRmT3_T4_T5_T6_T7_T9_mT8_P12ihipStream_tbDpT10_ENKUlT_T0_E_clISt17integral_constantIbLb0EES1E_IbLb1EEEEDaS1A_S1B_EUlS1A_E_NS1_11comp_targetILNS1_3genE9ELNS1_11target_archE1100ELNS1_3gpuE3ELNS1_3repE0EEENS1_30default_config_static_selectorELNS0_4arch9wavefront6targetE0EEEvT1_
    .private_segment_fixed_size: 0
    .sgpr_count:     0
    .sgpr_spill_count: 0
    .symbol:         _ZN7rocprim17ROCPRIM_400000_NS6detail17trampoline_kernelINS0_14default_configENS1_25partition_config_selectorILNS1_17partition_subalgoE5ExNS0_10empty_typeEbEEZZNS1_14partition_implILS5_5ELb0ES3_mN6thrust23THRUST_200600_302600_NS6detail15normal_iteratorINSA_10device_ptrIxEEEEPS6_NSA_18transform_iteratorINSB_9not_fun_tI7is_trueIxEEENSC_INSD_IbEEEENSA_11use_defaultESO_EENS0_5tupleIJNSA_16discard_iteratorISO_EES6_EEENSQ_IJSG_SG_EEES6_PlJS6_EEE10hipError_tPvRmT3_T4_T5_T6_T7_T9_mT8_P12ihipStream_tbDpT10_ENKUlT_T0_E_clISt17integral_constantIbLb0EES1E_IbLb1EEEEDaS1A_S1B_EUlS1A_E_NS1_11comp_targetILNS1_3genE9ELNS1_11target_archE1100ELNS1_3gpuE3ELNS1_3repE0EEENS1_30default_config_static_selectorELNS0_4arch9wavefront6targetE0EEEvT1_.kd
    .uniform_work_group_size: 1
    .uses_dynamic_stack: false
    .vgpr_count:     0
    .vgpr_spill_count: 0
    .wavefront_size: 32
    .workgroup_processor_mode: 1
  - .args:
      - .offset:         0
        .size:           144
        .value_kind:     by_value
    .group_segment_fixed_size: 0
    .kernarg_segment_align: 8
    .kernarg_segment_size: 144
    .language:       OpenCL C
    .language_version:
      - 2
      - 0
    .max_flat_workgroup_size: 512
    .name:           _ZN7rocprim17ROCPRIM_400000_NS6detail17trampoline_kernelINS0_14default_configENS1_25partition_config_selectorILNS1_17partition_subalgoE5ExNS0_10empty_typeEbEEZZNS1_14partition_implILS5_5ELb0ES3_mN6thrust23THRUST_200600_302600_NS6detail15normal_iteratorINSA_10device_ptrIxEEEEPS6_NSA_18transform_iteratorINSB_9not_fun_tI7is_trueIxEEENSC_INSD_IbEEEENSA_11use_defaultESO_EENS0_5tupleIJNSA_16discard_iteratorISO_EES6_EEENSQ_IJSG_SG_EEES6_PlJS6_EEE10hipError_tPvRmT3_T4_T5_T6_T7_T9_mT8_P12ihipStream_tbDpT10_ENKUlT_T0_E_clISt17integral_constantIbLb0EES1E_IbLb1EEEEDaS1A_S1B_EUlS1A_E_NS1_11comp_targetILNS1_3genE8ELNS1_11target_archE1030ELNS1_3gpuE2ELNS1_3repE0EEENS1_30default_config_static_selectorELNS0_4arch9wavefront6targetE0EEEvT1_
    .private_segment_fixed_size: 0
    .sgpr_count:     0
    .sgpr_spill_count: 0
    .symbol:         _ZN7rocprim17ROCPRIM_400000_NS6detail17trampoline_kernelINS0_14default_configENS1_25partition_config_selectorILNS1_17partition_subalgoE5ExNS0_10empty_typeEbEEZZNS1_14partition_implILS5_5ELb0ES3_mN6thrust23THRUST_200600_302600_NS6detail15normal_iteratorINSA_10device_ptrIxEEEEPS6_NSA_18transform_iteratorINSB_9not_fun_tI7is_trueIxEEENSC_INSD_IbEEEENSA_11use_defaultESO_EENS0_5tupleIJNSA_16discard_iteratorISO_EES6_EEENSQ_IJSG_SG_EEES6_PlJS6_EEE10hipError_tPvRmT3_T4_T5_T6_T7_T9_mT8_P12ihipStream_tbDpT10_ENKUlT_T0_E_clISt17integral_constantIbLb0EES1E_IbLb1EEEEDaS1A_S1B_EUlS1A_E_NS1_11comp_targetILNS1_3genE8ELNS1_11target_archE1030ELNS1_3gpuE2ELNS1_3repE0EEENS1_30default_config_static_selectorELNS0_4arch9wavefront6targetE0EEEvT1_.kd
    .uniform_work_group_size: 1
    .uses_dynamic_stack: false
    .vgpr_count:     0
    .vgpr_spill_count: 0
    .wavefront_size: 32
    .workgroup_processor_mode: 1
  - .args:
      - .offset:         0
        .size:           128
        .value_kind:     by_value
    .group_segment_fixed_size: 0
    .kernarg_segment_align: 8
    .kernarg_segment_size: 128
    .language:       OpenCL C
    .language_version:
      - 2
      - 0
    .max_flat_workgroup_size: 512
    .name:           _ZN7rocprim17ROCPRIM_400000_NS6detail17trampoline_kernelINS0_14default_configENS1_25partition_config_selectorILNS1_17partition_subalgoE5EiNS0_10empty_typeEbEEZZNS1_14partition_implILS5_5ELb0ES3_mN6thrust23THRUST_200600_302600_NS6detail15normal_iteratorINSA_10device_ptrIiEEEEPS6_NSA_18transform_iteratorINSB_9not_fun_tI7is_trueIiEEENSC_INSD_IbEEEENSA_11use_defaultESO_EENS0_5tupleIJNSA_16discard_iteratorISO_EES6_EEENSQ_IJSG_SG_EEES6_PlJS6_EEE10hipError_tPvRmT3_T4_T5_T6_T7_T9_mT8_P12ihipStream_tbDpT10_ENKUlT_T0_E_clISt17integral_constantIbLb0EES1F_EEDaS1A_S1B_EUlS1A_E_NS1_11comp_targetILNS1_3genE0ELNS1_11target_archE4294967295ELNS1_3gpuE0ELNS1_3repE0EEENS1_30default_config_static_selectorELNS0_4arch9wavefront6targetE0EEEvT1_
    .private_segment_fixed_size: 0
    .sgpr_count:     0
    .sgpr_spill_count: 0
    .symbol:         _ZN7rocprim17ROCPRIM_400000_NS6detail17trampoline_kernelINS0_14default_configENS1_25partition_config_selectorILNS1_17partition_subalgoE5EiNS0_10empty_typeEbEEZZNS1_14partition_implILS5_5ELb0ES3_mN6thrust23THRUST_200600_302600_NS6detail15normal_iteratorINSA_10device_ptrIiEEEEPS6_NSA_18transform_iteratorINSB_9not_fun_tI7is_trueIiEEENSC_INSD_IbEEEENSA_11use_defaultESO_EENS0_5tupleIJNSA_16discard_iteratorISO_EES6_EEENSQ_IJSG_SG_EEES6_PlJS6_EEE10hipError_tPvRmT3_T4_T5_T6_T7_T9_mT8_P12ihipStream_tbDpT10_ENKUlT_T0_E_clISt17integral_constantIbLb0EES1F_EEDaS1A_S1B_EUlS1A_E_NS1_11comp_targetILNS1_3genE0ELNS1_11target_archE4294967295ELNS1_3gpuE0ELNS1_3repE0EEENS1_30default_config_static_selectorELNS0_4arch9wavefront6targetE0EEEvT1_.kd
    .uniform_work_group_size: 1
    .uses_dynamic_stack: false
    .vgpr_count:     0
    .vgpr_spill_count: 0
    .wavefront_size: 32
    .workgroup_processor_mode: 1
  - .args:
      - .offset:         0
        .size:           128
        .value_kind:     by_value
    .group_segment_fixed_size: 0
    .kernarg_segment_align: 8
    .kernarg_segment_size: 128
    .language:       OpenCL C
    .language_version:
      - 2
      - 0
    .max_flat_workgroup_size: 512
    .name:           _ZN7rocprim17ROCPRIM_400000_NS6detail17trampoline_kernelINS0_14default_configENS1_25partition_config_selectorILNS1_17partition_subalgoE5EiNS0_10empty_typeEbEEZZNS1_14partition_implILS5_5ELb0ES3_mN6thrust23THRUST_200600_302600_NS6detail15normal_iteratorINSA_10device_ptrIiEEEEPS6_NSA_18transform_iteratorINSB_9not_fun_tI7is_trueIiEEENSC_INSD_IbEEEENSA_11use_defaultESO_EENS0_5tupleIJNSA_16discard_iteratorISO_EES6_EEENSQ_IJSG_SG_EEES6_PlJS6_EEE10hipError_tPvRmT3_T4_T5_T6_T7_T9_mT8_P12ihipStream_tbDpT10_ENKUlT_T0_E_clISt17integral_constantIbLb0EES1F_EEDaS1A_S1B_EUlS1A_E_NS1_11comp_targetILNS1_3genE5ELNS1_11target_archE942ELNS1_3gpuE9ELNS1_3repE0EEENS1_30default_config_static_selectorELNS0_4arch9wavefront6targetE0EEEvT1_
    .private_segment_fixed_size: 0
    .sgpr_count:     0
    .sgpr_spill_count: 0
    .symbol:         _ZN7rocprim17ROCPRIM_400000_NS6detail17trampoline_kernelINS0_14default_configENS1_25partition_config_selectorILNS1_17partition_subalgoE5EiNS0_10empty_typeEbEEZZNS1_14partition_implILS5_5ELb0ES3_mN6thrust23THRUST_200600_302600_NS6detail15normal_iteratorINSA_10device_ptrIiEEEEPS6_NSA_18transform_iteratorINSB_9not_fun_tI7is_trueIiEEENSC_INSD_IbEEEENSA_11use_defaultESO_EENS0_5tupleIJNSA_16discard_iteratorISO_EES6_EEENSQ_IJSG_SG_EEES6_PlJS6_EEE10hipError_tPvRmT3_T4_T5_T6_T7_T9_mT8_P12ihipStream_tbDpT10_ENKUlT_T0_E_clISt17integral_constantIbLb0EES1F_EEDaS1A_S1B_EUlS1A_E_NS1_11comp_targetILNS1_3genE5ELNS1_11target_archE942ELNS1_3gpuE9ELNS1_3repE0EEENS1_30default_config_static_selectorELNS0_4arch9wavefront6targetE0EEEvT1_.kd
    .uniform_work_group_size: 1
    .uses_dynamic_stack: false
    .vgpr_count:     0
    .vgpr_spill_count: 0
    .wavefront_size: 32
    .workgroup_processor_mode: 1
  - .args:
      - .offset:         0
        .size:           128
        .value_kind:     by_value
    .group_segment_fixed_size: 0
    .kernarg_segment_align: 8
    .kernarg_segment_size: 128
    .language:       OpenCL C
    .language_version:
      - 2
      - 0
    .max_flat_workgroup_size: 256
    .name:           _ZN7rocprim17ROCPRIM_400000_NS6detail17trampoline_kernelINS0_14default_configENS1_25partition_config_selectorILNS1_17partition_subalgoE5EiNS0_10empty_typeEbEEZZNS1_14partition_implILS5_5ELb0ES3_mN6thrust23THRUST_200600_302600_NS6detail15normal_iteratorINSA_10device_ptrIiEEEEPS6_NSA_18transform_iteratorINSB_9not_fun_tI7is_trueIiEEENSC_INSD_IbEEEENSA_11use_defaultESO_EENS0_5tupleIJNSA_16discard_iteratorISO_EES6_EEENSQ_IJSG_SG_EEES6_PlJS6_EEE10hipError_tPvRmT3_T4_T5_T6_T7_T9_mT8_P12ihipStream_tbDpT10_ENKUlT_T0_E_clISt17integral_constantIbLb0EES1F_EEDaS1A_S1B_EUlS1A_E_NS1_11comp_targetILNS1_3genE4ELNS1_11target_archE910ELNS1_3gpuE8ELNS1_3repE0EEENS1_30default_config_static_selectorELNS0_4arch9wavefront6targetE0EEEvT1_
    .private_segment_fixed_size: 0
    .sgpr_count:     0
    .sgpr_spill_count: 0
    .symbol:         _ZN7rocprim17ROCPRIM_400000_NS6detail17trampoline_kernelINS0_14default_configENS1_25partition_config_selectorILNS1_17partition_subalgoE5EiNS0_10empty_typeEbEEZZNS1_14partition_implILS5_5ELb0ES3_mN6thrust23THRUST_200600_302600_NS6detail15normal_iteratorINSA_10device_ptrIiEEEEPS6_NSA_18transform_iteratorINSB_9not_fun_tI7is_trueIiEEENSC_INSD_IbEEEENSA_11use_defaultESO_EENS0_5tupleIJNSA_16discard_iteratorISO_EES6_EEENSQ_IJSG_SG_EEES6_PlJS6_EEE10hipError_tPvRmT3_T4_T5_T6_T7_T9_mT8_P12ihipStream_tbDpT10_ENKUlT_T0_E_clISt17integral_constantIbLb0EES1F_EEDaS1A_S1B_EUlS1A_E_NS1_11comp_targetILNS1_3genE4ELNS1_11target_archE910ELNS1_3gpuE8ELNS1_3repE0EEENS1_30default_config_static_selectorELNS0_4arch9wavefront6targetE0EEEvT1_.kd
    .uniform_work_group_size: 1
    .uses_dynamic_stack: false
    .vgpr_count:     0
    .vgpr_spill_count: 0
    .wavefront_size: 32
    .workgroup_processor_mode: 1
  - .args:
      - .offset:         0
        .size:           128
        .value_kind:     by_value
    .group_segment_fixed_size: 0
    .kernarg_segment_align: 8
    .kernarg_segment_size: 128
    .language:       OpenCL C
    .language_version:
      - 2
      - 0
    .max_flat_workgroup_size: 512
    .name:           _ZN7rocprim17ROCPRIM_400000_NS6detail17trampoline_kernelINS0_14default_configENS1_25partition_config_selectorILNS1_17partition_subalgoE5EiNS0_10empty_typeEbEEZZNS1_14partition_implILS5_5ELb0ES3_mN6thrust23THRUST_200600_302600_NS6detail15normal_iteratorINSA_10device_ptrIiEEEEPS6_NSA_18transform_iteratorINSB_9not_fun_tI7is_trueIiEEENSC_INSD_IbEEEENSA_11use_defaultESO_EENS0_5tupleIJNSA_16discard_iteratorISO_EES6_EEENSQ_IJSG_SG_EEES6_PlJS6_EEE10hipError_tPvRmT3_T4_T5_T6_T7_T9_mT8_P12ihipStream_tbDpT10_ENKUlT_T0_E_clISt17integral_constantIbLb0EES1F_EEDaS1A_S1B_EUlS1A_E_NS1_11comp_targetILNS1_3genE3ELNS1_11target_archE908ELNS1_3gpuE7ELNS1_3repE0EEENS1_30default_config_static_selectorELNS0_4arch9wavefront6targetE0EEEvT1_
    .private_segment_fixed_size: 0
    .sgpr_count:     0
    .sgpr_spill_count: 0
    .symbol:         _ZN7rocprim17ROCPRIM_400000_NS6detail17trampoline_kernelINS0_14default_configENS1_25partition_config_selectorILNS1_17partition_subalgoE5EiNS0_10empty_typeEbEEZZNS1_14partition_implILS5_5ELb0ES3_mN6thrust23THRUST_200600_302600_NS6detail15normal_iteratorINSA_10device_ptrIiEEEEPS6_NSA_18transform_iteratorINSB_9not_fun_tI7is_trueIiEEENSC_INSD_IbEEEENSA_11use_defaultESO_EENS0_5tupleIJNSA_16discard_iteratorISO_EES6_EEENSQ_IJSG_SG_EEES6_PlJS6_EEE10hipError_tPvRmT3_T4_T5_T6_T7_T9_mT8_P12ihipStream_tbDpT10_ENKUlT_T0_E_clISt17integral_constantIbLb0EES1F_EEDaS1A_S1B_EUlS1A_E_NS1_11comp_targetILNS1_3genE3ELNS1_11target_archE908ELNS1_3gpuE7ELNS1_3repE0EEENS1_30default_config_static_selectorELNS0_4arch9wavefront6targetE0EEEvT1_.kd
    .uniform_work_group_size: 1
    .uses_dynamic_stack: false
    .vgpr_count:     0
    .vgpr_spill_count: 0
    .wavefront_size: 32
    .workgroup_processor_mode: 1
  - .args:
      - .offset:         0
        .size:           128
        .value_kind:     by_value
    .group_segment_fixed_size: 0
    .kernarg_segment_align: 8
    .kernarg_segment_size: 128
    .language:       OpenCL C
    .language_version:
      - 2
      - 0
    .max_flat_workgroup_size: 256
    .name:           _ZN7rocprim17ROCPRIM_400000_NS6detail17trampoline_kernelINS0_14default_configENS1_25partition_config_selectorILNS1_17partition_subalgoE5EiNS0_10empty_typeEbEEZZNS1_14partition_implILS5_5ELb0ES3_mN6thrust23THRUST_200600_302600_NS6detail15normal_iteratorINSA_10device_ptrIiEEEEPS6_NSA_18transform_iteratorINSB_9not_fun_tI7is_trueIiEEENSC_INSD_IbEEEENSA_11use_defaultESO_EENS0_5tupleIJNSA_16discard_iteratorISO_EES6_EEENSQ_IJSG_SG_EEES6_PlJS6_EEE10hipError_tPvRmT3_T4_T5_T6_T7_T9_mT8_P12ihipStream_tbDpT10_ENKUlT_T0_E_clISt17integral_constantIbLb0EES1F_EEDaS1A_S1B_EUlS1A_E_NS1_11comp_targetILNS1_3genE2ELNS1_11target_archE906ELNS1_3gpuE6ELNS1_3repE0EEENS1_30default_config_static_selectorELNS0_4arch9wavefront6targetE0EEEvT1_
    .private_segment_fixed_size: 0
    .sgpr_count:     0
    .sgpr_spill_count: 0
    .symbol:         _ZN7rocprim17ROCPRIM_400000_NS6detail17trampoline_kernelINS0_14default_configENS1_25partition_config_selectorILNS1_17partition_subalgoE5EiNS0_10empty_typeEbEEZZNS1_14partition_implILS5_5ELb0ES3_mN6thrust23THRUST_200600_302600_NS6detail15normal_iteratorINSA_10device_ptrIiEEEEPS6_NSA_18transform_iteratorINSB_9not_fun_tI7is_trueIiEEENSC_INSD_IbEEEENSA_11use_defaultESO_EENS0_5tupleIJNSA_16discard_iteratorISO_EES6_EEENSQ_IJSG_SG_EEES6_PlJS6_EEE10hipError_tPvRmT3_T4_T5_T6_T7_T9_mT8_P12ihipStream_tbDpT10_ENKUlT_T0_E_clISt17integral_constantIbLb0EES1F_EEDaS1A_S1B_EUlS1A_E_NS1_11comp_targetILNS1_3genE2ELNS1_11target_archE906ELNS1_3gpuE6ELNS1_3repE0EEENS1_30default_config_static_selectorELNS0_4arch9wavefront6targetE0EEEvT1_.kd
    .uniform_work_group_size: 1
    .uses_dynamic_stack: false
    .vgpr_count:     0
    .vgpr_spill_count: 0
    .wavefront_size: 32
    .workgroup_processor_mode: 1
  - .args:
      - .offset:         0
        .size:           128
        .value_kind:     by_value
    .group_segment_fixed_size: 6352
    .kernarg_segment_align: 8
    .kernarg_segment_size: 128
    .language:       OpenCL C
    .language_version:
      - 2
      - 0
    .max_flat_workgroup_size: 192
    .name:           _ZN7rocprim17ROCPRIM_400000_NS6detail17trampoline_kernelINS0_14default_configENS1_25partition_config_selectorILNS1_17partition_subalgoE5EiNS0_10empty_typeEbEEZZNS1_14partition_implILS5_5ELb0ES3_mN6thrust23THRUST_200600_302600_NS6detail15normal_iteratorINSA_10device_ptrIiEEEEPS6_NSA_18transform_iteratorINSB_9not_fun_tI7is_trueIiEEENSC_INSD_IbEEEENSA_11use_defaultESO_EENS0_5tupleIJNSA_16discard_iteratorISO_EES6_EEENSQ_IJSG_SG_EEES6_PlJS6_EEE10hipError_tPvRmT3_T4_T5_T6_T7_T9_mT8_P12ihipStream_tbDpT10_ENKUlT_T0_E_clISt17integral_constantIbLb0EES1F_EEDaS1A_S1B_EUlS1A_E_NS1_11comp_targetILNS1_3genE10ELNS1_11target_archE1200ELNS1_3gpuE4ELNS1_3repE0EEENS1_30default_config_static_selectorELNS0_4arch9wavefront6targetE0EEEvT1_
    .private_segment_fixed_size: 0
    .sgpr_count:     25
    .sgpr_spill_count: 0
    .symbol:         _ZN7rocprim17ROCPRIM_400000_NS6detail17trampoline_kernelINS0_14default_configENS1_25partition_config_selectorILNS1_17partition_subalgoE5EiNS0_10empty_typeEbEEZZNS1_14partition_implILS5_5ELb0ES3_mN6thrust23THRUST_200600_302600_NS6detail15normal_iteratorINSA_10device_ptrIiEEEEPS6_NSA_18transform_iteratorINSB_9not_fun_tI7is_trueIiEEENSC_INSD_IbEEEENSA_11use_defaultESO_EENS0_5tupleIJNSA_16discard_iteratorISO_EES6_EEENSQ_IJSG_SG_EEES6_PlJS6_EEE10hipError_tPvRmT3_T4_T5_T6_T7_T9_mT8_P12ihipStream_tbDpT10_ENKUlT_T0_E_clISt17integral_constantIbLb0EES1F_EEDaS1A_S1B_EUlS1A_E_NS1_11comp_targetILNS1_3genE10ELNS1_11target_archE1200ELNS1_3gpuE4ELNS1_3repE0EEENS1_30default_config_static_selectorELNS0_4arch9wavefront6targetE0EEEvT1_.kd
    .uniform_work_group_size: 1
    .uses_dynamic_stack: false
    .vgpr_count:     51
    .vgpr_spill_count: 0
    .wavefront_size: 32
    .workgroup_processor_mode: 1
  - .args:
      - .offset:         0
        .size:           128
        .value_kind:     by_value
    .group_segment_fixed_size: 0
    .kernarg_segment_align: 8
    .kernarg_segment_size: 128
    .language:       OpenCL C
    .language_version:
      - 2
      - 0
    .max_flat_workgroup_size: 128
    .name:           _ZN7rocprim17ROCPRIM_400000_NS6detail17trampoline_kernelINS0_14default_configENS1_25partition_config_selectorILNS1_17partition_subalgoE5EiNS0_10empty_typeEbEEZZNS1_14partition_implILS5_5ELb0ES3_mN6thrust23THRUST_200600_302600_NS6detail15normal_iteratorINSA_10device_ptrIiEEEEPS6_NSA_18transform_iteratorINSB_9not_fun_tI7is_trueIiEEENSC_INSD_IbEEEENSA_11use_defaultESO_EENS0_5tupleIJNSA_16discard_iteratorISO_EES6_EEENSQ_IJSG_SG_EEES6_PlJS6_EEE10hipError_tPvRmT3_T4_T5_T6_T7_T9_mT8_P12ihipStream_tbDpT10_ENKUlT_T0_E_clISt17integral_constantIbLb0EES1F_EEDaS1A_S1B_EUlS1A_E_NS1_11comp_targetILNS1_3genE9ELNS1_11target_archE1100ELNS1_3gpuE3ELNS1_3repE0EEENS1_30default_config_static_selectorELNS0_4arch9wavefront6targetE0EEEvT1_
    .private_segment_fixed_size: 0
    .sgpr_count:     0
    .sgpr_spill_count: 0
    .symbol:         _ZN7rocprim17ROCPRIM_400000_NS6detail17trampoline_kernelINS0_14default_configENS1_25partition_config_selectorILNS1_17partition_subalgoE5EiNS0_10empty_typeEbEEZZNS1_14partition_implILS5_5ELb0ES3_mN6thrust23THRUST_200600_302600_NS6detail15normal_iteratorINSA_10device_ptrIiEEEEPS6_NSA_18transform_iteratorINSB_9not_fun_tI7is_trueIiEEENSC_INSD_IbEEEENSA_11use_defaultESO_EENS0_5tupleIJNSA_16discard_iteratorISO_EES6_EEENSQ_IJSG_SG_EEES6_PlJS6_EEE10hipError_tPvRmT3_T4_T5_T6_T7_T9_mT8_P12ihipStream_tbDpT10_ENKUlT_T0_E_clISt17integral_constantIbLb0EES1F_EEDaS1A_S1B_EUlS1A_E_NS1_11comp_targetILNS1_3genE9ELNS1_11target_archE1100ELNS1_3gpuE3ELNS1_3repE0EEENS1_30default_config_static_selectorELNS0_4arch9wavefront6targetE0EEEvT1_.kd
    .uniform_work_group_size: 1
    .uses_dynamic_stack: false
    .vgpr_count:     0
    .vgpr_spill_count: 0
    .wavefront_size: 32
    .workgroup_processor_mode: 1
  - .args:
      - .offset:         0
        .size:           128
        .value_kind:     by_value
    .group_segment_fixed_size: 0
    .kernarg_segment_align: 8
    .kernarg_segment_size: 128
    .language:       OpenCL C
    .language_version:
      - 2
      - 0
    .max_flat_workgroup_size: 512
    .name:           _ZN7rocprim17ROCPRIM_400000_NS6detail17trampoline_kernelINS0_14default_configENS1_25partition_config_selectorILNS1_17partition_subalgoE5EiNS0_10empty_typeEbEEZZNS1_14partition_implILS5_5ELb0ES3_mN6thrust23THRUST_200600_302600_NS6detail15normal_iteratorINSA_10device_ptrIiEEEEPS6_NSA_18transform_iteratorINSB_9not_fun_tI7is_trueIiEEENSC_INSD_IbEEEENSA_11use_defaultESO_EENS0_5tupleIJNSA_16discard_iteratorISO_EES6_EEENSQ_IJSG_SG_EEES6_PlJS6_EEE10hipError_tPvRmT3_T4_T5_T6_T7_T9_mT8_P12ihipStream_tbDpT10_ENKUlT_T0_E_clISt17integral_constantIbLb0EES1F_EEDaS1A_S1B_EUlS1A_E_NS1_11comp_targetILNS1_3genE8ELNS1_11target_archE1030ELNS1_3gpuE2ELNS1_3repE0EEENS1_30default_config_static_selectorELNS0_4arch9wavefront6targetE0EEEvT1_
    .private_segment_fixed_size: 0
    .sgpr_count:     0
    .sgpr_spill_count: 0
    .symbol:         _ZN7rocprim17ROCPRIM_400000_NS6detail17trampoline_kernelINS0_14default_configENS1_25partition_config_selectorILNS1_17partition_subalgoE5EiNS0_10empty_typeEbEEZZNS1_14partition_implILS5_5ELb0ES3_mN6thrust23THRUST_200600_302600_NS6detail15normal_iteratorINSA_10device_ptrIiEEEEPS6_NSA_18transform_iteratorINSB_9not_fun_tI7is_trueIiEEENSC_INSD_IbEEEENSA_11use_defaultESO_EENS0_5tupleIJNSA_16discard_iteratorISO_EES6_EEENSQ_IJSG_SG_EEES6_PlJS6_EEE10hipError_tPvRmT3_T4_T5_T6_T7_T9_mT8_P12ihipStream_tbDpT10_ENKUlT_T0_E_clISt17integral_constantIbLb0EES1F_EEDaS1A_S1B_EUlS1A_E_NS1_11comp_targetILNS1_3genE8ELNS1_11target_archE1030ELNS1_3gpuE2ELNS1_3repE0EEENS1_30default_config_static_selectorELNS0_4arch9wavefront6targetE0EEEvT1_.kd
    .uniform_work_group_size: 1
    .uses_dynamic_stack: false
    .vgpr_count:     0
    .vgpr_spill_count: 0
    .wavefront_size: 32
    .workgroup_processor_mode: 1
  - .args:
      - .offset:         0
        .size:           144
        .value_kind:     by_value
    .group_segment_fixed_size: 0
    .kernarg_segment_align: 8
    .kernarg_segment_size: 144
    .language:       OpenCL C
    .language_version:
      - 2
      - 0
    .max_flat_workgroup_size: 512
    .name:           _ZN7rocprim17ROCPRIM_400000_NS6detail17trampoline_kernelINS0_14default_configENS1_25partition_config_selectorILNS1_17partition_subalgoE5EiNS0_10empty_typeEbEEZZNS1_14partition_implILS5_5ELb0ES3_mN6thrust23THRUST_200600_302600_NS6detail15normal_iteratorINSA_10device_ptrIiEEEEPS6_NSA_18transform_iteratorINSB_9not_fun_tI7is_trueIiEEENSC_INSD_IbEEEENSA_11use_defaultESO_EENS0_5tupleIJNSA_16discard_iteratorISO_EES6_EEENSQ_IJSG_SG_EEES6_PlJS6_EEE10hipError_tPvRmT3_T4_T5_T6_T7_T9_mT8_P12ihipStream_tbDpT10_ENKUlT_T0_E_clISt17integral_constantIbLb1EES1F_EEDaS1A_S1B_EUlS1A_E_NS1_11comp_targetILNS1_3genE0ELNS1_11target_archE4294967295ELNS1_3gpuE0ELNS1_3repE0EEENS1_30default_config_static_selectorELNS0_4arch9wavefront6targetE0EEEvT1_
    .private_segment_fixed_size: 0
    .sgpr_count:     0
    .sgpr_spill_count: 0
    .symbol:         _ZN7rocprim17ROCPRIM_400000_NS6detail17trampoline_kernelINS0_14default_configENS1_25partition_config_selectorILNS1_17partition_subalgoE5EiNS0_10empty_typeEbEEZZNS1_14partition_implILS5_5ELb0ES3_mN6thrust23THRUST_200600_302600_NS6detail15normal_iteratorINSA_10device_ptrIiEEEEPS6_NSA_18transform_iteratorINSB_9not_fun_tI7is_trueIiEEENSC_INSD_IbEEEENSA_11use_defaultESO_EENS0_5tupleIJNSA_16discard_iteratorISO_EES6_EEENSQ_IJSG_SG_EEES6_PlJS6_EEE10hipError_tPvRmT3_T4_T5_T6_T7_T9_mT8_P12ihipStream_tbDpT10_ENKUlT_T0_E_clISt17integral_constantIbLb1EES1F_EEDaS1A_S1B_EUlS1A_E_NS1_11comp_targetILNS1_3genE0ELNS1_11target_archE4294967295ELNS1_3gpuE0ELNS1_3repE0EEENS1_30default_config_static_selectorELNS0_4arch9wavefront6targetE0EEEvT1_.kd
    .uniform_work_group_size: 1
    .uses_dynamic_stack: false
    .vgpr_count:     0
    .vgpr_spill_count: 0
    .wavefront_size: 32
    .workgroup_processor_mode: 1
  - .args:
      - .offset:         0
        .size:           144
        .value_kind:     by_value
    .group_segment_fixed_size: 0
    .kernarg_segment_align: 8
    .kernarg_segment_size: 144
    .language:       OpenCL C
    .language_version:
      - 2
      - 0
    .max_flat_workgroup_size: 512
    .name:           _ZN7rocprim17ROCPRIM_400000_NS6detail17trampoline_kernelINS0_14default_configENS1_25partition_config_selectorILNS1_17partition_subalgoE5EiNS0_10empty_typeEbEEZZNS1_14partition_implILS5_5ELb0ES3_mN6thrust23THRUST_200600_302600_NS6detail15normal_iteratorINSA_10device_ptrIiEEEEPS6_NSA_18transform_iteratorINSB_9not_fun_tI7is_trueIiEEENSC_INSD_IbEEEENSA_11use_defaultESO_EENS0_5tupleIJNSA_16discard_iteratorISO_EES6_EEENSQ_IJSG_SG_EEES6_PlJS6_EEE10hipError_tPvRmT3_T4_T5_T6_T7_T9_mT8_P12ihipStream_tbDpT10_ENKUlT_T0_E_clISt17integral_constantIbLb1EES1F_EEDaS1A_S1B_EUlS1A_E_NS1_11comp_targetILNS1_3genE5ELNS1_11target_archE942ELNS1_3gpuE9ELNS1_3repE0EEENS1_30default_config_static_selectorELNS0_4arch9wavefront6targetE0EEEvT1_
    .private_segment_fixed_size: 0
    .sgpr_count:     0
    .sgpr_spill_count: 0
    .symbol:         _ZN7rocprim17ROCPRIM_400000_NS6detail17trampoline_kernelINS0_14default_configENS1_25partition_config_selectorILNS1_17partition_subalgoE5EiNS0_10empty_typeEbEEZZNS1_14partition_implILS5_5ELb0ES3_mN6thrust23THRUST_200600_302600_NS6detail15normal_iteratorINSA_10device_ptrIiEEEEPS6_NSA_18transform_iteratorINSB_9not_fun_tI7is_trueIiEEENSC_INSD_IbEEEENSA_11use_defaultESO_EENS0_5tupleIJNSA_16discard_iteratorISO_EES6_EEENSQ_IJSG_SG_EEES6_PlJS6_EEE10hipError_tPvRmT3_T4_T5_T6_T7_T9_mT8_P12ihipStream_tbDpT10_ENKUlT_T0_E_clISt17integral_constantIbLb1EES1F_EEDaS1A_S1B_EUlS1A_E_NS1_11comp_targetILNS1_3genE5ELNS1_11target_archE942ELNS1_3gpuE9ELNS1_3repE0EEENS1_30default_config_static_selectorELNS0_4arch9wavefront6targetE0EEEvT1_.kd
    .uniform_work_group_size: 1
    .uses_dynamic_stack: false
    .vgpr_count:     0
    .vgpr_spill_count: 0
    .wavefront_size: 32
    .workgroup_processor_mode: 1
  - .args:
      - .offset:         0
        .size:           144
        .value_kind:     by_value
    .group_segment_fixed_size: 0
    .kernarg_segment_align: 8
    .kernarg_segment_size: 144
    .language:       OpenCL C
    .language_version:
      - 2
      - 0
    .max_flat_workgroup_size: 256
    .name:           _ZN7rocprim17ROCPRIM_400000_NS6detail17trampoline_kernelINS0_14default_configENS1_25partition_config_selectorILNS1_17partition_subalgoE5EiNS0_10empty_typeEbEEZZNS1_14partition_implILS5_5ELb0ES3_mN6thrust23THRUST_200600_302600_NS6detail15normal_iteratorINSA_10device_ptrIiEEEEPS6_NSA_18transform_iteratorINSB_9not_fun_tI7is_trueIiEEENSC_INSD_IbEEEENSA_11use_defaultESO_EENS0_5tupleIJNSA_16discard_iteratorISO_EES6_EEENSQ_IJSG_SG_EEES6_PlJS6_EEE10hipError_tPvRmT3_T4_T5_T6_T7_T9_mT8_P12ihipStream_tbDpT10_ENKUlT_T0_E_clISt17integral_constantIbLb1EES1F_EEDaS1A_S1B_EUlS1A_E_NS1_11comp_targetILNS1_3genE4ELNS1_11target_archE910ELNS1_3gpuE8ELNS1_3repE0EEENS1_30default_config_static_selectorELNS0_4arch9wavefront6targetE0EEEvT1_
    .private_segment_fixed_size: 0
    .sgpr_count:     0
    .sgpr_spill_count: 0
    .symbol:         _ZN7rocprim17ROCPRIM_400000_NS6detail17trampoline_kernelINS0_14default_configENS1_25partition_config_selectorILNS1_17partition_subalgoE5EiNS0_10empty_typeEbEEZZNS1_14partition_implILS5_5ELb0ES3_mN6thrust23THRUST_200600_302600_NS6detail15normal_iteratorINSA_10device_ptrIiEEEEPS6_NSA_18transform_iteratorINSB_9not_fun_tI7is_trueIiEEENSC_INSD_IbEEEENSA_11use_defaultESO_EENS0_5tupleIJNSA_16discard_iteratorISO_EES6_EEENSQ_IJSG_SG_EEES6_PlJS6_EEE10hipError_tPvRmT3_T4_T5_T6_T7_T9_mT8_P12ihipStream_tbDpT10_ENKUlT_T0_E_clISt17integral_constantIbLb1EES1F_EEDaS1A_S1B_EUlS1A_E_NS1_11comp_targetILNS1_3genE4ELNS1_11target_archE910ELNS1_3gpuE8ELNS1_3repE0EEENS1_30default_config_static_selectorELNS0_4arch9wavefront6targetE0EEEvT1_.kd
    .uniform_work_group_size: 1
    .uses_dynamic_stack: false
    .vgpr_count:     0
    .vgpr_spill_count: 0
    .wavefront_size: 32
    .workgroup_processor_mode: 1
  - .args:
      - .offset:         0
        .size:           144
        .value_kind:     by_value
    .group_segment_fixed_size: 0
    .kernarg_segment_align: 8
    .kernarg_segment_size: 144
    .language:       OpenCL C
    .language_version:
      - 2
      - 0
    .max_flat_workgroup_size: 512
    .name:           _ZN7rocprim17ROCPRIM_400000_NS6detail17trampoline_kernelINS0_14default_configENS1_25partition_config_selectorILNS1_17partition_subalgoE5EiNS0_10empty_typeEbEEZZNS1_14partition_implILS5_5ELb0ES3_mN6thrust23THRUST_200600_302600_NS6detail15normal_iteratorINSA_10device_ptrIiEEEEPS6_NSA_18transform_iteratorINSB_9not_fun_tI7is_trueIiEEENSC_INSD_IbEEEENSA_11use_defaultESO_EENS0_5tupleIJNSA_16discard_iteratorISO_EES6_EEENSQ_IJSG_SG_EEES6_PlJS6_EEE10hipError_tPvRmT3_T4_T5_T6_T7_T9_mT8_P12ihipStream_tbDpT10_ENKUlT_T0_E_clISt17integral_constantIbLb1EES1F_EEDaS1A_S1B_EUlS1A_E_NS1_11comp_targetILNS1_3genE3ELNS1_11target_archE908ELNS1_3gpuE7ELNS1_3repE0EEENS1_30default_config_static_selectorELNS0_4arch9wavefront6targetE0EEEvT1_
    .private_segment_fixed_size: 0
    .sgpr_count:     0
    .sgpr_spill_count: 0
    .symbol:         _ZN7rocprim17ROCPRIM_400000_NS6detail17trampoline_kernelINS0_14default_configENS1_25partition_config_selectorILNS1_17partition_subalgoE5EiNS0_10empty_typeEbEEZZNS1_14partition_implILS5_5ELb0ES3_mN6thrust23THRUST_200600_302600_NS6detail15normal_iteratorINSA_10device_ptrIiEEEEPS6_NSA_18transform_iteratorINSB_9not_fun_tI7is_trueIiEEENSC_INSD_IbEEEENSA_11use_defaultESO_EENS0_5tupleIJNSA_16discard_iteratorISO_EES6_EEENSQ_IJSG_SG_EEES6_PlJS6_EEE10hipError_tPvRmT3_T4_T5_T6_T7_T9_mT8_P12ihipStream_tbDpT10_ENKUlT_T0_E_clISt17integral_constantIbLb1EES1F_EEDaS1A_S1B_EUlS1A_E_NS1_11comp_targetILNS1_3genE3ELNS1_11target_archE908ELNS1_3gpuE7ELNS1_3repE0EEENS1_30default_config_static_selectorELNS0_4arch9wavefront6targetE0EEEvT1_.kd
    .uniform_work_group_size: 1
    .uses_dynamic_stack: false
    .vgpr_count:     0
    .vgpr_spill_count: 0
    .wavefront_size: 32
    .workgroup_processor_mode: 1
  - .args:
      - .offset:         0
        .size:           144
        .value_kind:     by_value
    .group_segment_fixed_size: 0
    .kernarg_segment_align: 8
    .kernarg_segment_size: 144
    .language:       OpenCL C
    .language_version:
      - 2
      - 0
    .max_flat_workgroup_size: 256
    .name:           _ZN7rocprim17ROCPRIM_400000_NS6detail17trampoline_kernelINS0_14default_configENS1_25partition_config_selectorILNS1_17partition_subalgoE5EiNS0_10empty_typeEbEEZZNS1_14partition_implILS5_5ELb0ES3_mN6thrust23THRUST_200600_302600_NS6detail15normal_iteratorINSA_10device_ptrIiEEEEPS6_NSA_18transform_iteratorINSB_9not_fun_tI7is_trueIiEEENSC_INSD_IbEEEENSA_11use_defaultESO_EENS0_5tupleIJNSA_16discard_iteratorISO_EES6_EEENSQ_IJSG_SG_EEES6_PlJS6_EEE10hipError_tPvRmT3_T4_T5_T6_T7_T9_mT8_P12ihipStream_tbDpT10_ENKUlT_T0_E_clISt17integral_constantIbLb1EES1F_EEDaS1A_S1B_EUlS1A_E_NS1_11comp_targetILNS1_3genE2ELNS1_11target_archE906ELNS1_3gpuE6ELNS1_3repE0EEENS1_30default_config_static_selectorELNS0_4arch9wavefront6targetE0EEEvT1_
    .private_segment_fixed_size: 0
    .sgpr_count:     0
    .sgpr_spill_count: 0
    .symbol:         _ZN7rocprim17ROCPRIM_400000_NS6detail17trampoline_kernelINS0_14default_configENS1_25partition_config_selectorILNS1_17partition_subalgoE5EiNS0_10empty_typeEbEEZZNS1_14partition_implILS5_5ELb0ES3_mN6thrust23THRUST_200600_302600_NS6detail15normal_iteratorINSA_10device_ptrIiEEEEPS6_NSA_18transform_iteratorINSB_9not_fun_tI7is_trueIiEEENSC_INSD_IbEEEENSA_11use_defaultESO_EENS0_5tupleIJNSA_16discard_iteratorISO_EES6_EEENSQ_IJSG_SG_EEES6_PlJS6_EEE10hipError_tPvRmT3_T4_T5_T6_T7_T9_mT8_P12ihipStream_tbDpT10_ENKUlT_T0_E_clISt17integral_constantIbLb1EES1F_EEDaS1A_S1B_EUlS1A_E_NS1_11comp_targetILNS1_3genE2ELNS1_11target_archE906ELNS1_3gpuE6ELNS1_3repE0EEENS1_30default_config_static_selectorELNS0_4arch9wavefront6targetE0EEEvT1_.kd
    .uniform_work_group_size: 1
    .uses_dynamic_stack: false
    .vgpr_count:     0
    .vgpr_spill_count: 0
    .wavefront_size: 32
    .workgroup_processor_mode: 1
  - .args:
      - .offset:         0
        .size:           144
        .value_kind:     by_value
    .group_segment_fixed_size: 0
    .kernarg_segment_align: 8
    .kernarg_segment_size: 144
    .language:       OpenCL C
    .language_version:
      - 2
      - 0
    .max_flat_workgroup_size: 192
    .name:           _ZN7rocprim17ROCPRIM_400000_NS6detail17trampoline_kernelINS0_14default_configENS1_25partition_config_selectorILNS1_17partition_subalgoE5EiNS0_10empty_typeEbEEZZNS1_14partition_implILS5_5ELb0ES3_mN6thrust23THRUST_200600_302600_NS6detail15normal_iteratorINSA_10device_ptrIiEEEEPS6_NSA_18transform_iteratorINSB_9not_fun_tI7is_trueIiEEENSC_INSD_IbEEEENSA_11use_defaultESO_EENS0_5tupleIJNSA_16discard_iteratorISO_EES6_EEENSQ_IJSG_SG_EEES6_PlJS6_EEE10hipError_tPvRmT3_T4_T5_T6_T7_T9_mT8_P12ihipStream_tbDpT10_ENKUlT_T0_E_clISt17integral_constantIbLb1EES1F_EEDaS1A_S1B_EUlS1A_E_NS1_11comp_targetILNS1_3genE10ELNS1_11target_archE1200ELNS1_3gpuE4ELNS1_3repE0EEENS1_30default_config_static_selectorELNS0_4arch9wavefront6targetE0EEEvT1_
    .private_segment_fixed_size: 0
    .sgpr_count:     0
    .sgpr_spill_count: 0
    .symbol:         _ZN7rocprim17ROCPRIM_400000_NS6detail17trampoline_kernelINS0_14default_configENS1_25partition_config_selectorILNS1_17partition_subalgoE5EiNS0_10empty_typeEbEEZZNS1_14partition_implILS5_5ELb0ES3_mN6thrust23THRUST_200600_302600_NS6detail15normal_iteratorINSA_10device_ptrIiEEEEPS6_NSA_18transform_iteratorINSB_9not_fun_tI7is_trueIiEEENSC_INSD_IbEEEENSA_11use_defaultESO_EENS0_5tupleIJNSA_16discard_iteratorISO_EES6_EEENSQ_IJSG_SG_EEES6_PlJS6_EEE10hipError_tPvRmT3_T4_T5_T6_T7_T9_mT8_P12ihipStream_tbDpT10_ENKUlT_T0_E_clISt17integral_constantIbLb1EES1F_EEDaS1A_S1B_EUlS1A_E_NS1_11comp_targetILNS1_3genE10ELNS1_11target_archE1200ELNS1_3gpuE4ELNS1_3repE0EEENS1_30default_config_static_selectorELNS0_4arch9wavefront6targetE0EEEvT1_.kd
    .uniform_work_group_size: 1
    .uses_dynamic_stack: false
    .vgpr_count:     0
    .vgpr_spill_count: 0
    .wavefront_size: 32
    .workgroup_processor_mode: 1
  - .args:
      - .offset:         0
        .size:           144
        .value_kind:     by_value
    .group_segment_fixed_size: 0
    .kernarg_segment_align: 8
    .kernarg_segment_size: 144
    .language:       OpenCL C
    .language_version:
      - 2
      - 0
    .max_flat_workgroup_size: 128
    .name:           _ZN7rocprim17ROCPRIM_400000_NS6detail17trampoline_kernelINS0_14default_configENS1_25partition_config_selectorILNS1_17partition_subalgoE5EiNS0_10empty_typeEbEEZZNS1_14partition_implILS5_5ELb0ES3_mN6thrust23THRUST_200600_302600_NS6detail15normal_iteratorINSA_10device_ptrIiEEEEPS6_NSA_18transform_iteratorINSB_9not_fun_tI7is_trueIiEEENSC_INSD_IbEEEENSA_11use_defaultESO_EENS0_5tupleIJNSA_16discard_iteratorISO_EES6_EEENSQ_IJSG_SG_EEES6_PlJS6_EEE10hipError_tPvRmT3_T4_T5_T6_T7_T9_mT8_P12ihipStream_tbDpT10_ENKUlT_T0_E_clISt17integral_constantIbLb1EES1F_EEDaS1A_S1B_EUlS1A_E_NS1_11comp_targetILNS1_3genE9ELNS1_11target_archE1100ELNS1_3gpuE3ELNS1_3repE0EEENS1_30default_config_static_selectorELNS0_4arch9wavefront6targetE0EEEvT1_
    .private_segment_fixed_size: 0
    .sgpr_count:     0
    .sgpr_spill_count: 0
    .symbol:         _ZN7rocprim17ROCPRIM_400000_NS6detail17trampoline_kernelINS0_14default_configENS1_25partition_config_selectorILNS1_17partition_subalgoE5EiNS0_10empty_typeEbEEZZNS1_14partition_implILS5_5ELb0ES3_mN6thrust23THRUST_200600_302600_NS6detail15normal_iteratorINSA_10device_ptrIiEEEEPS6_NSA_18transform_iteratorINSB_9not_fun_tI7is_trueIiEEENSC_INSD_IbEEEENSA_11use_defaultESO_EENS0_5tupleIJNSA_16discard_iteratorISO_EES6_EEENSQ_IJSG_SG_EEES6_PlJS6_EEE10hipError_tPvRmT3_T4_T5_T6_T7_T9_mT8_P12ihipStream_tbDpT10_ENKUlT_T0_E_clISt17integral_constantIbLb1EES1F_EEDaS1A_S1B_EUlS1A_E_NS1_11comp_targetILNS1_3genE9ELNS1_11target_archE1100ELNS1_3gpuE3ELNS1_3repE0EEENS1_30default_config_static_selectorELNS0_4arch9wavefront6targetE0EEEvT1_.kd
    .uniform_work_group_size: 1
    .uses_dynamic_stack: false
    .vgpr_count:     0
    .vgpr_spill_count: 0
    .wavefront_size: 32
    .workgroup_processor_mode: 1
  - .args:
      - .offset:         0
        .size:           144
        .value_kind:     by_value
    .group_segment_fixed_size: 0
    .kernarg_segment_align: 8
    .kernarg_segment_size: 144
    .language:       OpenCL C
    .language_version:
      - 2
      - 0
    .max_flat_workgroup_size: 512
    .name:           _ZN7rocprim17ROCPRIM_400000_NS6detail17trampoline_kernelINS0_14default_configENS1_25partition_config_selectorILNS1_17partition_subalgoE5EiNS0_10empty_typeEbEEZZNS1_14partition_implILS5_5ELb0ES3_mN6thrust23THRUST_200600_302600_NS6detail15normal_iteratorINSA_10device_ptrIiEEEEPS6_NSA_18transform_iteratorINSB_9not_fun_tI7is_trueIiEEENSC_INSD_IbEEEENSA_11use_defaultESO_EENS0_5tupleIJNSA_16discard_iteratorISO_EES6_EEENSQ_IJSG_SG_EEES6_PlJS6_EEE10hipError_tPvRmT3_T4_T5_T6_T7_T9_mT8_P12ihipStream_tbDpT10_ENKUlT_T0_E_clISt17integral_constantIbLb1EES1F_EEDaS1A_S1B_EUlS1A_E_NS1_11comp_targetILNS1_3genE8ELNS1_11target_archE1030ELNS1_3gpuE2ELNS1_3repE0EEENS1_30default_config_static_selectorELNS0_4arch9wavefront6targetE0EEEvT1_
    .private_segment_fixed_size: 0
    .sgpr_count:     0
    .sgpr_spill_count: 0
    .symbol:         _ZN7rocprim17ROCPRIM_400000_NS6detail17trampoline_kernelINS0_14default_configENS1_25partition_config_selectorILNS1_17partition_subalgoE5EiNS0_10empty_typeEbEEZZNS1_14partition_implILS5_5ELb0ES3_mN6thrust23THRUST_200600_302600_NS6detail15normal_iteratorINSA_10device_ptrIiEEEEPS6_NSA_18transform_iteratorINSB_9not_fun_tI7is_trueIiEEENSC_INSD_IbEEEENSA_11use_defaultESO_EENS0_5tupleIJNSA_16discard_iteratorISO_EES6_EEENSQ_IJSG_SG_EEES6_PlJS6_EEE10hipError_tPvRmT3_T4_T5_T6_T7_T9_mT8_P12ihipStream_tbDpT10_ENKUlT_T0_E_clISt17integral_constantIbLb1EES1F_EEDaS1A_S1B_EUlS1A_E_NS1_11comp_targetILNS1_3genE8ELNS1_11target_archE1030ELNS1_3gpuE2ELNS1_3repE0EEENS1_30default_config_static_selectorELNS0_4arch9wavefront6targetE0EEEvT1_.kd
    .uniform_work_group_size: 1
    .uses_dynamic_stack: false
    .vgpr_count:     0
    .vgpr_spill_count: 0
    .wavefront_size: 32
    .workgroup_processor_mode: 1
  - .args:
      - .offset:         0
        .size:           128
        .value_kind:     by_value
    .group_segment_fixed_size: 0
    .kernarg_segment_align: 8
    .kernarg_segment_size: 128
    .language:       OpenCL C
    .language_version:
      - 2
      - 0
    .max_flat_workgroup_size: 512
    .name:           _ZN7rocprim17ROCPRIM_400000_NS6detail17trampoline_kernelINS0_14default_configENS1_25partition_config_selectorILNS1_17partition_subalgoE5EiNS0_10empty_typeEbEEZZNS1_14partition_implILS5_5ELb0ES3_mN6thrust23THRUST_200600_302600_NS6detail15normal_iteratorINSA_10device_ptrIiEEEEPS6_NSA_18transform_iteratorINSB_9not_fun_tI7is_trueIiEEENSC_INSD_IbEEEENSA_11use_defaultESO_EENS0_5tupleIJNSA_16discard_iteratorISO_EES6_EEENSQ_IJSG_SG_EEES6_PlJS6_EEE10hipError_tPvRmT3_T4_T5_T6_T7_T9_mT8_P12ihipStream_tbDpT10_ENKUlT_T0_E_clISt17integral_constantIbLb1EES1E_IbLb0EEEEDaS1A_S1B_EUlS1A_E_NS1_11comp_targetILNS1_3genE0ELNS1_11target_archE4294967295ELNS1_3gpuE0ELNS1_3repE0EEENS1_30default_config_static_selectorELNS0_4arch9wavefront6targetE0EEEvT1_
    .private_segment_fixed_size: 0
    .sgpr_count:     0
    .sgpr_spill_count: 0
    .symbol:         _ZN7rocprim17ROCPRIM_400000_NS6detail17trampoline_kernelINS0_14default_configENS1_25partition_config_selectorILNS1_17partition_subalgoE5EiNS0_10empty_typeEbEEZZNS1_14partition_implILS5_5ELb0ES3_mN6thrust23THRUST_200600_302600_NS6detail15normal_iteratorINSA_10device_ptrIiEEEEPS6_NSA_18transform_iteratorINSB_9not_fun_tI7is_trueIiEEENSC_INSD_IbEEEENSA_11use_defaultESO_EENS0_5tupleIJNSA_16discard_iteratorISO_EES6_EEENSQ_IJSG_SG_EEES6_PlJS6_EEE10hipError_tPvRmT3_T4_T5_T6_T7_T9_mT8_P12ihipStream_tbDpT10_ENKUlT_T0_E_clISt17integral_constantIbLb1EES1E_IbLb0EEEEDaS1A_S1B_EUlS1A_E_NS1_11comp_targetILNS1_3genE0ELNS1_11target_archE4294967295ELNS1_3gpuE0ELNS1_3repE0EEENS1_30default_config_static_selectorELNS0_4arch9wavefront6targetE0EEEvT1_.kd
    .uniform_work_group_size: 1
    .uses_dynamic_stack: false
    .vgpr_count:     0
    .vgpr_spill_count: 0
    .wavefront_size: 32
    .workgroup_processor_mode: 1
  - .args:
      - .offset:         0
        .size:           128
        .value_kind:     by_value
    .group_segment_fixed_size: 0
    .kernarg_segment_align: 8
    .kernarg_segment_size: 128
    .language:       OpenCL C
    .language_version:
      - 2
      - 0
    .max_flat_workgroup_size: 512
    .name:           _ZN7rocprim17ROCPRIM_400000_NS6detail17trampoline_kernelINS0_14default_configENS1_25partition_config_selectorILNS1_17partition_subalgoE5EiNS0_10empty_typeEbEEZZNS1_14partition_implILS5_5ELb0ES3_mN6thrust23THRUST_200600_302600_NS6detail15normal_iteratorINSA_10device_ptrIiEEEEPS6_NSA_18transform_iteratorINSB_9not_fun_tI7is_trueIiEEENSC_INSD_IbEEEENSA_11use_defaultESO_EENS0_5tupleIJNSA_16discard_iteratorISO_EES6_EEENSQ_IJSG_SG_EEES6_PlJS6_EEE10hipError_tPvRmT3_T4_T5_T6_T7_T9_mT8_P12ihipStream_tbDpT10_ENKUlT_T0_E_clISt17integral_constantIbLb1EES1E_IbLb0EEEEDaS1A_S1B_EUlS1A_E_NS1_11comp_targetILNS1_3genE5ELNS1_11target_archE942ELNS1_3gpuE9ELNS1_3repE0EEENS1_30default_config_static_selectorELNS0_4arch9wavefront6targetE0EEEvT1_
    .private_segment_fixed_size: 0
    .sgpr_count:     0
    .sgpr_spill_count: 0
    .symbol:         _ZN7rocprim17ROCPRIM_400000_NS6detail17trampoline_kernelINS0_14default_configENS1_25partition_config_selectorILNS1_17partition_subalgoE5EiNS0_10empty_typeEbEEZZNS1_14partition_implILS5_5ELb0ES3_mN6thrust23THRUST_200600_302600_NS6detail15normal_iteratorINSA_10device_ptrIiEEEEPS6_NSA_18transform_iteratorINSB_9not_fun_tI7is_trueIiEEENSC_INSD_IbEEEENSA_11use_defaultESO_EENS0_5tupleIJNSA_16discard_iteratorISO_EES6_EEENSQ_IJSG_SG_EEES6_PlJS6_EEE10hipError_tPvRmT3_T4_T5_T6_T7_T9_mT8_P12ihipStream_tbDpT10_ENKUlT_T0_E_clISt17integral_constantIbLb1EES1E_IbLb0EEEEDaS1A_S1B_EUlS1A_E_NS1_11comp_targetILNS1_3genE5ELNS1_11target_archE942ELNS1_3gpuE9ELNS1_3repE0EEENS1_30default_config_static_selectorELNS0_4arch9wavefront6targetE0EEEvT1_.kd
    .uniform_work_group_size: 1
    .uses_dynamic_stack: false
    .vgpr_count:     0
    .vgpr_spill_count: 0
    .wavefront_size: 32
    .workgroup_processor_mode: 1
  - .args:
      - .offset:         0
        .size:           128
        .value_kind:     by_value
    .group_segment_fixed_size: 0
    .kernarg_segment_align: 8
    .kernarg_segment_size: 128
    .language:       OpenCL C
    .language_version:
      - 2
      - 0
    .max_flat_workgroup_size: 256
    .name:           _ZN7rocprim17ROCPRIM_400000_NS6detail17trampoline_kernelINS0_14default_configENS1_25partition_config_selectorILNS1_17partition_subalgoE5EiNS0_10empty_typeEbEEZZNS1_14partition_implILS5_5ELb0ES3_mN6thrust23THRUST_200600_302600_NS6detail15normal_iteratorINSA_10device_ptrIiEEEEPS6_NSA_18transform_iteratorINSB_9not_fun_tI7is_trueIiEEENSC_INSD_IbEEEENSA_11use_defaultESO_EENS0_5tupleIJNSA_16discard_iteratorISO_EES6_EEENSQ_IJSG_SG_EEES6_PlJS6_EEE10hipError_tPvRmT3_T4_T5_T6_T7_T9_mT8_P12ihipStream_tbDpT10_ENKUlT_T0_E_clISt17integral_constantIbLb1EES1E_IbLb0EEEEDaS1A_S1B_EUlS1A_E_NS1_11comp_targetILNS1_3genE4ELNS1_11target_archE910ELNS1_3gpuE8ELNS1_3repE0EEENS1_30default_config_static_selectorELNS0_4arch9wavefront6targetE0EEEvT1_
    .private_segment_fixed_size: 0
    .sgpr_count:     0
    .sgpr_spill_count: 0
    .symbol:         _ZN7rocprim17ROCPRIM_400000_NS6detail17trampoline_kernelINS0_14default_configENS1_25partition_config_selectorILNS1_17partition_subalgoE5EiNS0_10empty_typeEbEEZZNS1_14partition_implILS5_5ELb0ES3_mN6thrust23THRUST_200600_302600_NS6detail15normal_iteratorINSA_10device_ptrIiEEEEPS6_NSA_18transform_iteratorINSB_9not_fun_tI7is_trueIiEEENSC_INSD_IbEEEENSA_11use_defaultESO_EENS0_5tupleIJNSA_16discard_iteratorISO_EES6_EEENSQ_IJSG_SG_EEES6_PlJS6_EEE10hipError_tPvRmT3_T4_T5_T6_T7_T9_mT8_P12ihipStream_tbDpT10_ENKUlT_T0_E_clISt17integral_constantIbLb1EES1E_IbLb0EEEEDaS1A_S1B_EUlS1A_E_NS1_11comp_targetILNS1_3genE4ELNS1_11target_archE910ELNS1_3gpuE8ELNS1_3repE0EEENS1_30default_config_static_selectorELNS0_4arch9wavefront6targetE0EEEvT1_.kd
    .uniform_work_group_size: 1
    .uses_dynamic_stack: false
    .vgpr_count:     0
    .vgpr_spill_count: 0
    .wavefront_size: 32
    .workgroup_processor_mode: 1
  - .args:
      - .offset:         0
        .size:           128
        .value_kind:     by_value
    .group_segment_fixed_size: 0
    .kernarg_segment_align: 8
    .kernarg_segment_size: 128
    .language:       OpenCL C
    .language_version:
      - 2
      - 0
    .max_flat_workgroup_size: 512
    .name:           _ZN7rocprim17ROCPRIM_400000_NS6detail17trampoline_kernelINS0_14default_configENS1_25partition_config_selectorILNS1_17partition_subalgoE5EiNS0_10empty_typeEbEEZZNS1_14partition_implILS5_5ELb0ES3_mN6thrust23THRUST_200600_302600_NS6detail15normal_iteratorINSA_10device_ptrIiEEEEPS6_NSA_18transform_iteratorINSB_9not_fun_tI7is_trueIiEEENSC_INSD_IbEEEENSA_11use_defaultESO_EENS0_5tupleIJNSA_16discard_iteratorISO_EES6_EEENSQ_IJSG_SG_EEES6_PlJS6_EEE10hipError_tPvRmT3_T4_T5_T6_T7_T9_mT8_P12ihipStream_tbDpT10_ENKUlT_T0_E_clISt17integral_constantIbLb1EES1E_IbLb0EEEEDaS1A_S1B_EUlS1A_E_NS1_11comp_targetILNS1_3genE3ELNS1_11target_archE908ELNS1_3gpuE7ELNS1_3repE0EEENS1_30default_config_static_selectorELNS0_4arch9wavefront6targetE0EEEvT1_
    .private_segment_fixed_size: 0
    .sgpr_count:     0
    .sgpr_spill_count: 0
    .symbol:         _ZN7rocprim17ROCPRIM_400000_NS6detail17trampoline_kernelINS0_14default_configENS1_25partition_config_selectorILNS1_17partition_subalgoE5EiNS0_10empty_typeEbEEZZNS1_14partition_implILS5_5ELb0ES3_mN6thrust23THRUST_200600_302600_NS6detail15normal_iteratorINSA_10device_ptrIiEEEEPS6_NSA_18transform_iteratorINSB_9not_fun_tI7is_trueIiEEENSC_INSD_IbEEEENSA_11use_defaultESO_EENS0_5tupleIJNSA_16discard_iteratorISO_EES6_EEENSQ_IJSG_SG_EEES6_PlJS6_EEE10hipError_tPvRmT3_T4_T5_T6_T7_T9_mT8_P12ihipStream_tbDpT10_ENKUlT_T0_E_clISt17integral_constantIbLb1EES1E_IbLb0EEEEDaS1A_S1B_EUlS1A_E_NS1_11comp_targetILNS1_3genE3ELNS1_11target_archE908ELNS1_3gpuE7ELNS1_3repE0EEENS1_30default_config_static_selectorELNS0_4arch9wavefront6targetE0EEEvT1_.kd
    .uniform_work_group_size: 1
    .uses_dynamic_stack: false
    .vgpr_count:     0
    .vgpr_spill_count: 0
    .wavefront_size: 32
    .workgroup_processor_mode: 1
  - .args:
      - .offset:         0
        .size:           128
        .value_kind:     by_value
    .group_segment_fixed_size: 0
    .kernarg_segment_align: 8
    .kernarg_segment_size: 128
    .language:       OpenCL C
    .language_version:
      - 2
      - 0
    .max_flat_workgroup_size: 256
    .name:           _ZN7rocprim17ROCPRIM_400000_NS6detail17trampoline_kernelINS0_14default_configENS1_25partition_config_selectorILNS1_17partition_subalgoE5EiNS0_10empty_typeEbEEZZNS1_14partition_implILS5_5ELb0ES3_mN6thrust23THRUST_200600_302600_NS6detail15normal_iteratorINSA_10device_ptrIiEEEEPS6_NSA_18transform_iteratorINSB_9not_fun_tI7is_trueIiEEENSC_INSD_IbEEEENSA_11use_defaultESO_EENS0_5tupleIJNSA_16discard_iteratorISO_EES6_EEENSQ_IJSG_SG_EEES6_PlJS6_EEE10hipError_tPvRmT3_T4_T5_T6_T7_T9_mT8_P12ihipStream_tbDpT10_ENKUlT_T0_E_clISt17integral_constantIbLb1EES1E_IbLb0EEEEDaS1A_S1B_EUlS1A_E_NS1_11comp_targetILNS1_3genE2ELNS1_11target_archE906ELNS1_3gpuE6ELNS1_3repE0EEENS1_30default_config_static_selectorELNS0_4arch9wavefront6targetE0EEEvT1_
    .private_segment_fixed_size: 0
    .sgpr_count:     0
    .sgpr_spill_count: 0
    .symbol:         _ZN7rocprim17ROCPRIM_400000_NS6detail17trampoline_kernelINS0_14default_configENS1_25partition_config_selectorILNS1_17partition_subalgoE5EiNS0_10empty_typeEbEEZZNS1_14partition_implILS5_5ELb0ES3_mN6thrust23THRUST_200600_302600_NS6detail15normal_iteratorINSA_10device_ptrIiEEEEPS6_NSA_18transform_iteratorINSB_9not_fun_tI7is_trueIiEEENSC_INSD_IbEEEENSA_11use_defaultESO_EENS0_5tupleIJNSA_16discard_iteratorISO_EES6_EEENSQ_IJSG_SG_EEES6_PlJS6_EEE10hipError_tPvRmT3_T4_T5_T6_T7_T9_mT8_P12ihipStream_tbDpT10_ENKUlT_T0_E_clISt17integral_constantIbLb1EES1E_IbLb0EEEEDaS1A_S1B_EUlS1A_E_NS1_11comp_targetILNS1_3genE2ELNS1_11target_archE906ELNS1_3gpuE6ELNS1_3repE0EEENS1_30default_config_static_selectorELNS0_4arch9wavefront6targetE0EEEvT1_.kd
    .uniform_work_group_size: 1
    .uses_dynamic_stack: false
    .vgpr_count:     0
    .vgpr_spill_count: 0
    .wavefront_size: 32
    .workgroup_processor_mode: 1
  - .args:
      - .offset:         0
        .size:           128
        .value_kind:     by_value
    .group_segment_fixed_size: 0
    .kernarg_segment_align: 8
    .kernarg_segment_size: 128
    .language:       OpenCL C
    .language_version:
      - 2
      - 0
    .max_flat_workgroup_size: 192
    .name:           _ZN7rocprim17ROCPRIM_400000_NS6detail17trampoline_kernelINS0_14default_configENS1_25partition_config_selectorILNS1_17partition_subalgoE5EiNS0_10empty_typeEbEEZZNS1_14partition_implILS5_5ELb0ES3_mN6thrust23THRUST_200600_302600_NS6detail15normal_iteratorINSA_10device_ptrIiEEEEPS6_NSA_18transform_iteratorINSB_9not_fun_tI7is_trueIiEEENSC_INSD_IbEEEENSA_11use_defaultESO_EENS0_5tupleIJNSA_16discard_iteratorISO_EES6_EEENSQ_IJSG_SG_EEES6_PlJS6_EEE10hipError_tPvRmT3_T4_T5_T6_T7_T9_mT8_P12ihipStream_tbDpT10_ENKUlT_T0_E_clISt17integral_constantIbLb1EES1E_IbLb0EEEEDaS1A_S1B_EUlS1A_E_NS1_11comp_targetILNS1_3genE10ELNS1_11target_archE1200ELNS1_3gpuE4ELNS1_3repE0EEENS1_30default_config_static_selectorELNS0_4arch9wavefront6targetE0EEEvT1_
    .private_segment_fixed_size: 0
    .sgpr_count:     0
    .sgpr_spill_count: 0
    .symbol:         _ZN7rocprim17ROCPRIM_400000_NS6detail17trampoline_kernelINS0_14default_configENS1_25partition_config_selectorILNS1_17partition_subalgoE5EiNS0_10empty_typeEbEEZZNS1_14partition_implILS5_5ELb0ES3_mN6thrust23THRUST_200600_302600_NS6detail15normal_iteratorINSA_10device_ptrIiEEEEPS6_NSA_18transform_iteratorINSB_9not_fun_tI7is_trueIiEEENSC_INSD_IbEEEENSA_11use_defaultESO_EENS0_5tupleIJNSA_16discard_iteratorISO_EES6_EEENSQ_IJSG_SG_EEES6_PlJS6_EEE10hipError_tPvRmT3_T4_T5_T6_T7_T9_mT8_P12ihipStream_tbDpT10_ENKUlT_T0_E_clISt17integral_constantIbLb1EES1E_IbLb0EEEEDaS1A_S1B_EUlS1A_E_NS1_11comp_targetILNS1_3genE10ELNS1_11target_archE1200ELNS1_3gpuE4ELNS1_3repE0EEENS1_30default_config_static_selectorELNS0_4arch9wavefront6targetE0EEEvT1_.kd
    .uniform_work_group_size: 1
    .uses_dynamic_stack: false
    .vgpr_count:     0
    .vgpr_spill_count: 0
    .wavefront_size: 32
    .workgroup_processor_mode: 1
  - .args:
      - .offset:         0
        .size:           128
        .value_kind:     by_value
    .group_segment_fixed_size: 0
    .kernarg_segment_align: 8
    .kernarg_segment_size: 128
    .language:       OpenCL C
    .language_version:
      - 2
      - 0
    .max_flat_workgroup_size: 128
    .name:           _ZN7rocprim17ROCPRIM_400000_NS6detail17trampoline_kernelINS0_14default_configENS1_25partition_config_selectorILNS1_17partition_subalgoE5EiNS0_10empty_typeEbEEZZNS1_14partition_implILS5_5ELb0ES3_mN6thrust23THRUST_200600_302600_NS6detail15normal_iteratorINSA_10device_ptrIiEEEEPS6_NSA_18transform_iteratorINSB_9not_fun_tI7is_trueIiEEENSC_INSD_IbEEEENSA_11use_defaultESO_EENS0_5tupleIJNSA_16discard_iteratorISO_EES6_EEENSQ_IJSG_SG_EEES6_PlJS6_EEE10hipError_tPvRmT3_T4_T5_T6_T7_T9_mT8_P12ihipStream_tbDpT10_ENKUlT_T0_E_clISt17integral_constantIbLb1EES1E_IbLb0EEEEDaS1A_S1B_EUlS1A_E_NS1_11comp_targetILNS1_3genE9ELNS1_11target_archE1100ELNS1_3gpuE3ELNS1_3repE0EEENS1_30default_config_static_selectorELNS0_4arch9wavefront6targetE0EEEvT1_
    .private_segment_fixed_size: 0
    .sgpr_count:     0
    .sgpr_spill_count: 0
    .symbol:         _ZN7rocprim17ROCPRIM_400000_NS6detail17trampoline_kernelINS0_14default_configENS1_25partition_config_selectorILNS1_17partition_subalgoE5EiNS0_10empty_typeEbEEZZNS1_14partition_implILS5_5ELb0ES3_mN6thrust23THRUST_200600_302600_NS6detail15normal_iteratorINSA_10device_ptrIiEEEEPS6_NSA_18transform_iteratorINSB_9not_fun_tI7is_trueIiEEENSC_INSD_IbEEEENSA_11use_defaultESO_EENS0_5tupleIJNSA_16discard_iteratorISO_EES6_EEENSQ_IJSG_SG_EEES6_PlJS6_EEE10hipError_tPvRmT3_T4_T5_T6_T7_T9_mT8_P12ihipStream_tbDpT10_ENKUlT_T0_E_clISt17integral_constantIbLb1EES1E_IbLb0EEEEDaS1A_S1B_EUlS1A_E_NS1_11comp_targetILNS1_3genE9ELNS1_11target_archE1100ELNS1_3gpuE3ELNS1_3repE0EEENS1_30default_config_static_selectorELNS0_4arch9wavefront6targetE0EEEvT1_.kd
    .uniform_work_group_size: 1
    .uses_dynamic_stack: false
    .vgpr_count:     0
    .vgpr_spill_count: 0
    .wavefront_size: 32
    .workgroup_processor_mode: 1
  - .args:
      - .offset:         0
        .size:           128
        .value_kind:     by_value
    .group_segment_fixed_size: 0
    .kernarg_segment_align: 8
    .kernarg_segment_size: 128
    .language:       OpenCL C
    .language_version:
      - 2
      - 0
    .max_flat_workgroup_size: 512
    .name:           _ZN7rocprim17ROCPRIM_400000_NS6detail17trampoline_kernelINS0_14default_configENS1_25partition_config_selectorILNS1_17partition_subalgoE5EiNS0_10empty_typeEbEEZZNS1_14partition_implILS5_5ELb0ES3_mN6thrust23THRUST_200600_302600_NS6detail15normal_iteratorINSA_10device_ptrIiEEEEPS6_NSA_18transform_iteratorINSB_9not_fun_tI7is_trueIiEEENSC_INSD_IbEEEENSA_11use_defaultESO_EENS0_5tupleIJNSA_16discard_iteratorISO_EES6_EEENSQ_IJSG_SG_EEES6_PlJS6_EEE10hipError_tPvRmT3_T4_T5_T6_T7_T9_mT8_P12ihipStream_tbDpT10_ENKUlT_T0_E_clISt17integral_constantIbLb1EES1E_IbLb0EEEEDaS1A_S1B_EUlS1A_E_NS1_11comp_targetILNS1_3genE8ELNS1_11target_archE1030ELNS1_3gpuE2ELNS1_3repE0EEENS1_30default_config_static_selectorELNS0_4arch9wavefront6targetE0EEEvT1_
    .private_segment_fixed_size: 0
    .sgpr_count:     0
    .sgpr_spill_count: 0
    .symbol:         _ZN7rocprim17ROCPRIM_400000_NS6detail17trampoline_kernelINS0_14default_configENS1_25partition_config_selectorILNS1_17partition_subalgoE5EiNS0_10empty_typeEbEEZZNS1_14partition_implILS5_5ELb0ES3_mN6thrust23THRUST_200600_302600_NS6detail15normal_iteratorINSA_10device_ptrIiEEEEPS6_NSA_18transform_iteratorINSB_9not_fun_tI7is_trueIiEEENSC_INSD_IbEEEENSA_11use_defaultESO_EENS0_5tupleIJNSA_16discard_iteratorISO_EES6_EEENSQ_IJSG_SG_EEES6_PlJS6_EEE10hipError_tPvRmT3_T4_T5_T6_T7_T9_mT8_P12ihipStream_tbDpT10_ENKUlT_T0_E_clISt17integral_constantIbLb1EES1E_IbLb0EEEEDaS1A_S1B_EUlS1A_E_NS1_11comp_targetILNS1_3genE8ELNS1_11target_archE1030ELNS1_3gpuE2ELNS1_3repE0EEENS1_30default_config_static_selectorELNS0_4arch9wavefront6targetE0EEEvT1_.kd
    .uniform_work_group_size: 1
    .uses_dynamic_stack: false
    .vgpr_count:     0
    .vgpr_spill_count: 0
    .wavefront_size: 32
    .workgroup_processor_mode: 1
  - .args:
      - .offset:         0
        .size:           144
        .value_kind:     by_value
    .group_segment_fixed_size: 0
    .kernarg_segment_align: 8
    .kernarg_segment_size: 144
    .language:       OpenCL C
    .language_version:
      - 2
      - 0
    .max_flat_workgroup_size: 512
    .name:           _ZN7rocprim17ROCPRIM_400000_NS6detail17trampoline_kernelINS0_14default_configENS1_25partition_config_selectorILNS1_17partition_subalgoE5EiNS0_10empty_typeEbEEZZNS1_14partition_implILS5_5ELb0ES3_mN6thrust23THRUST_200600_302600_NS6detail15normal_iteratorINSA_10device_ptrIiEEEEPS6_NSA_18transform_iteratorINSB_9not_fun_tI7is_trueIiEEENSC_INSD_IbEEEENSA_11use_defaultESO_EENS0_5tupleIJNSA_16discard_iteratorISO_EES6_EEENSQ_IJSG_SG_EEES6_PlJS6_EEE10hipError_tPvRmT3_T4_T5_T6_T7_T9_mT8_P12ihipStream_tbDpT10_ENKUlT_T0_E_clISt17integral_constantIbLb0EES1E_IbLb1EEEEDaS1A_S1B_EUlS1A_E_NS1_11comp_targetILNS1_3genE0ELNS1_11target_archE4294967295ELNS1_3gpuE0ELNS1_3repE0EEENS1_30default_config_static_selectorELNS0_4arch9wavefront6targetE0EEEvT1_
    .private_segment_fixed_size: 0
    .sgpr_count:     0
    .sgpr_spill_count: 0
    .symbol:         _ZN7rocprim17ROCPRIM_400000_NS6detail17trampoline_kernelINS0_14default_configENS1_25partition_config_selectorILNS1_17partition_subalgoE5EiNS0_10empty_typeEbEEZZNS1_14partition_implILS5_5ELb0ES3_mN6thrust23THRUST_200600_302600_NS6detail15normal_iteratorINSA_10device_ptrIiEEEEPS6_NSA_18transform_iteratorINSB_9not_fun_tI7is_trueIiEEENSC_INSD_IbEEEENSA_11use_defaultESO_EENS0_5tupleIJNSA_16discard_iteratorISO_EES6_EEENSQ_IJSG_SG_EEES6_PlJS6_EEE10hipError_tPvRmT3_T4_T5_T6_T7_T9_mT8_P12ihipStream_tbDpT10_ENKUlT_T0_E_clISt17integral_constantIbLb0EES1E_IbLb1EEEEDaS1A_S1B_EUlS1A_E_NS1_11comp_targetILNS1_3genE0ELNS1_11target_archE4294967295ELNS1_3gpuE0ELNS1_3repE0EEENS1_30default_config_static_selectorELNS0_4arch9wavefront6targetE0EEEvT1_.kd
    .uniform_work_group_size: 1
    .uses_dynamic_stack: false
    .vgpr_count:     0
    .vgpr_spill_count: 0
    .wavefront_size: 32
    .workgroup_processor_mode: 1
  - .args:
      - .offset:         0
        .size:           144
        .value_kind:     by_value
    .group_segment_fixed_size: 0
    .kernarg_segment_align: 8
    .kernarg_segment_size: 144
    .language:       OpenCL C
    .language_version:
      - 2
      - 0
    .max_flat_workgroup_size: 512
    .name:           _ZN7rocprim17ROCPRIM_400000_NS6detail17trampoline_kernelINS0_14default_configENS1_25partition_config_selectorILNS1_17partition_subalgoE5EiNS0_10empty_typeEbEEZZNS1_14partition_implILS5_5ELb0ES3_mN6thrust23THRUST_200600_302600_NS6detail15normal_iteratorINSA_10device_ptrIiEEEEPS6_NSA_18transform_iteratorINSB_9not_fun_tI7is_trueIiEEENSC_INSD_IbEEEENSA_11use_defaultESO_EENS0_5tupleIJNSA_16discard_iteratorISO_EES6_EEENSQ_IJSG_SG_EEES6_PlJS6_EEE10hipError_tPvRmT3_T4_T5_T6_T7_T9_mT8_P12ihipStream_tbDpT10_ENKUlT_T0_E_clISt17integral_constantIbLb0EES1E_IbLb1EEEEDaS1A_S1B_EUlS1A_E_NS1_11comp_targetILNS1_3genE5ELNS1_11target_archE942ELNS1_3gpuE9ELNS1_3repE0EEENS1_30default_config_static_selectorELNS0_4arch9wavefront6targetE0EEEvT1_
    .private_segment_fixed_size: 0
    .sgpr_count:     0
    .sgpr_spill_count: 0
    .symbol:         _ZN7rocprim17ROCPRIM_400000_NS6detail17trampoline_kernelINS0_14default_configENS1_25partition_config_selectorILNS1_17partition_subalgoE5EiNS0_10empty_typeEbEEZZNS1_14partition_implILS5_5ELb0ES3_mN6thrust23THRUST_200600_302600_NS6detail15normal_iteratorINSA_10device_ptrIiEEEEPS6_NSA_18transform_iteratorINSB_9not_fun_tI7is_trueIiEEENSC_INSD_IbEEEENSA_11use_defaultESO_EENS0_5tupleIJNSA_16discard_iteratorISO_EES6_EEENSQ_IJSG_SG_EEES6_PlJS6_EEE10hipError_tPvRmT3_T4_T5_T6_T7_T9_mT8_P12ihipStream_tbDpT10_ENKUlT_T0_E_clISt17integral_constantIbLb0EES1E_IbLb1EEEEDaS1A_S1B_EUlS1A_E_NS1_11comp_targetILNS1_3genE5ELNS1_11target_archE942ELNS1_3gpuE9ELNS1_3repE0EEENS1_30default_config_static_selectorELNS0_4arch9wavefront6targetE0EEEvT1_.kd
    .uniform_work_group_size: 1
    .uses_dynamic_stack: false
    .vgpr_count:     0
    .vgpr_spill_count: 0
    .wavefront_size: 32
    .workgroup_processor_mode: 1
  - .args:
      - .offset:         0
        .size:           144
        .value_kind:     by_value
    .group_segment_fixed_size: 0
    .kernarg_segment_align: 8
    .kernarg_segment_size: 144
    .language:       OpenCL C
    .language_version:
      - 2
      - 0
    .max_flat_workgroup_size: 256
    .name:           _ZN7rocprim17ROCPRIM_400000_NS6detail17trampoline_kernelINS0_14default_configENS1_25partition_config_selectorILNS1_17partition_subalgoE5EiNS0_10empty_typeEbEEZZNS1_14partition_implILS5_5ELb0ES3_mN6thrust23THRUST_200600_302600_NS6detail15normal_iteratorINSA_10device_ptrIiEEEEPS6_NSA_18transform_iteratorINSB_9not_fun_tI7is_trueIiEEENSC_INSD_IbEEEENSA_11use_defaultESO_EENS0_5tupleIJNSA_16discard_iteratorISO_EES6_EEENSQ_IJSG_SG_EEES6_PlJS6_EEE10hipError_tPvRmT3_T4_T5_T6_T7_T9_mT8_P12ihipStream_tbDpT10_ENKUlT_T0_E_clISt17integral_constantIbLb0EES1E_IbLb1EEEEDaS1A_S1B_EUlS1A_E_NS1_11comp_targetILNS1_3genE4ELNS1_11target_archE910ELNS1_3gpuE8ELNS1_3repE0EEENS1_30default_config_static_selectorELNS0_4arch9wavefront6targetE0EEEvT1_
    .private_segment_fixed_size: 0
    .sgpr_count:     0
    .sgpr_spill_count: 0
    .symbol:         _ZN7rocprim17ROCPRIM_400000_NS6detail17trampoline_kernelINS0_14default_configENS1_25partition_config_selectorILNS1_17partition_subalgoE5EiNS0_10empty_typeEbEEZZNS1_14partition_implILS5_5ELb0ES3_mN6thrust23THRUST_200600_302600_NS6detail15normal_iteratorINSA_10device_ptrIiEEEEPS6_NSA_18transform_iteratorINSB_9not_fun_tI7is_trueIiEEENSC_INSD_IbEEEENSA_11use_defaultESO_EENS0_5tupleIJNSA_16discard_iteratorISO_EES6_EEENSQ_IJSG_SG_EEES6_PlJS6_EEE10hipError_tPvRmT3_T4_T5_T6_T7_T9_mT8_P12ihipStream_tbDpT10_ENKUlT_T0_E_clISt17integral_constantIbLb0EES1E_IbLb1EEEEDaS1A_S1B_EUlS1A_E_NS1_11comp_targetILNS1_3genE4ELNS1_11target_archE910ELNS1_3gpuE8ELNS1_3repE0EEENS1_30default_config_static_selectorELNS0_4arch9wavefront6targetE0EEEvT1_.kd
    .uniform_work_group_size: 1
    .uses_dynamic_stack: false
    .vgpr_count:     0
    .vgpr_spill_count: 0
    .wavefront_size: 32
    .workgroup_processor_mode: 1
  - .args:
      - .offset:         0
        .size:           144
        .value_kind:     by_value
    .group_segment_fixed_size: 0
    .kernarg_segment_align: 8
    .kernarg_segment_size: 144
    .language:       OpenCL C
    .language_version:
      - 2
      - 0
    .max_flat_workgroup_size: 512
    .name:           _ZN7rocprim17ROCPRIM_400000_NS6detail17trampoline_kernelINS0_14default_configENS1_25partition_config_selectorILNS1_17partition_subalgoE5EiNS0_10empty_typeEbEEZZNS1_14partition_implILS5_5ELb0ES3_mN6thrust23THRUST_200600_302600_NS6detail15normal_iteratorINSA_10device_ptrIiEEEEPS6_NSA_18transform_iteratorINSB_9not_fun_tI7is_trueIiEEENSC_INSD_IbEEEENSA_11use_defaultESO_EENS0_5tupleIJNSA_16discard_iteratorISO_EES6_EEENSQ_IJSG_SG_EEES6_PlJS6_EEE10hipError_tPvRmT3_T4_T5_T6_T7_T9_mT8_P12ihipStream_tbDpT10_ENKUlT_T0_E_clISt17integral_constantIbLb0EES1E_IbLb1EEEEDaS1A_S1B_EUlS1A_E_NS1_11comp_targetILNS1_3genE3ELNS1_11target_archE908ELNS1_3gpuE7ELNS1_3repE0EEENS1_30default_config_static_selectorELNS0_4arch9wavefront6targetE0EEEvT1_
    .private_segment_fixed_size: 0
    .sgpr_count:     0
    .sgpr_spill_count: 0
    .symbol:         _ZN7rocprim17ROCPRIM_400000_NS6detail17trampoline_kernelINS0_14default_configENS1_25partition_config_selectorILNS1_17partition_subalgoE5EiNS0_10empty_typeEbEEZZNS1_14partition_implILS5_5ELb0ES3_mN6thrust23THRUST_200600_302600_NS6detail15normal_iteratorINSA_10device_ptrIiEEEEPS6_NSA_18transform_iteratorINSB_9not_fun_tI7is_trueIiEEENSC_INSD_IbEEEENSA_11use_defaultESO_EENS0_5tupleIJNSA_16discard_iteratorISO_EES6_EEENSQ_IJSG_SG_EEES6_PlJS6_EEE10hipError_tPvRmT3_T4_T5_T6_T7_T9_mT8_P12ihipStream_tbDpT10_ENKUlT_T0_E_clISt17integral_constantIbLb0EES1E_IbLb1EEEEDaS1A_S1B_EUlS1A_E_NS1_11comp_targetILNS1_3genE3ELNS1_11target_archE908ELNS1_3gpuE7ELNS1_3repE0EEENS1_30default_config_static_selectorELNS0_4arch9wavefront6targetE0EEEvT1_.kd
    .uniform_work_group_size: 1
    .uses_dynamic_stack: false
    .vgpr_count:     0
    .vgpr_spill_count: 0
    .wavefront_size: 32
    .workgroup_processor_mode: 1
  - .args:
      - .offset:         0
        .size:           144
        .value_kind:     by_value
    .group_segment_fixed_size: 0
    .kernarg_segment_align: 8
    .kernarg_segment_size: 144
    .language:       OpenCL C
    .language_version:
      - 2
      - 0
    .max_flat_workgroup_size: 256
    .name:           _ZN7rocprim17ROCPRIM_400000_NS6detail17trampoline_kernelINS0_14default_configENS1_25partition_config_selectorILNS1_17partition_subalgoE5EiNS0_10empty_typeEbEEZZNS1_14partition_implILS5_5ELb0ES3_mN6thrust23THRUST_200600_302600_NS6detail15normal_iteratorINSA_10device_ptrIiEEEEPS6_NSA_18transform_iteratorINSB_9not_fun_tI7is_trueIiEEENSC_INSD_IbEEEENSA_11use_defaultESO_EENS0_5tupleIJNSA_16discard_iteratorISO_EES6_EEENSQ_IJSG_SG_EEES6_PlJS6_EEE10hipError_tPvRmT3_T4_T5_T6_T7_T9_mT8_P12ihipStream_tbDpT10_ENKUlT_T0_E_clISt17integral_constantIbLb0EES1E_IbLb1EEEEDaS1A_S1B_EUlS1A_E_NS1_11comp_targetILNS1_3genE2ELNS1_11target_archE906ELNS1_3gpuE6ELNS1_3repE0EEENS1_30default_config_static_selectorELNS0_4arch9wavefront6targetE0EEEvT1_
    .private_segment_fixed_size: 0
    .sgpr_count:     0
    .sgpr_spill_count: 0
    .symbol:         _ZN7rocprim17ROCPRIM_400000_NS6detail17trampoline_kernelINS0_14default_configENS1_25partition_config_selectorILNS1_17partition_subalgoE5EiNS0_10empty_typeEbEEZZNS1_14partition_implILS5_5ELb0ES3_mN6thrust23THRUST_200600_302600_NS6detail15normal_iteratorINSA_10device_ptrIiEEEEPS6_NSA_18transform_iteratorINSB_9not_fun_tI7is_trueIiEEENSC_INSD_IbEEEENSA_11use_defaultESO_EENS0_5tupleIJNSA_16discard_iteratorISO_EES6_EEENSQ_IJSG_SG_EEES6_PlJS6_EEE10hipError_tPvRmT3_T4_T5_T6_T7_T9_mT8_P12ihipStream_tbDpT10_ENKUlT_T0_E_clISt17integral_constantIbLb0EES1E_IbLb1EEEEDaS1A_S1B_EUlS1A_E_NS1_11comp_targetILNS1_3genE2ELNS1_11target_archE906ELNS1_3gpuE6ELNS1_3repE0EEENS1_30default_config_static_selectorELNS0_4arch9wavefront6targetE0EEEvT1_.kd
    .uniform_work_group_size: 1
    .uses_dynamic_stack: false
    .vgpr_count:     0
    .vgpr_spill_count: 0
    .wavefront_size: 32
    .workgroup_processor_mode: 1
  - .args:
      - .offset:         0
        .size:           144
        .value_kind:     by_value
    .group_segment_fixed_size: 6352
    .kernarg_segment_align: 8
    .kernarg_segment_size: 144
    .language:       OpenCL C
    .language_version:
      - 2
      - 0
    .max_flat_workgroup_size: 192
    .name:           _ZN7rocprim17ROCPRIM_400000_NS6detail17trampoline_kernelINS0_14default_configENS1_25partition_config_selectorILNS1_17partition_subalgoE5EiNS0_10empty_typeEbEEZZNS1_14partition_implILS5_5ELb0ES3_mN6thrust23THRUST_200600_302600_NS6detail15normal_iteratorINSA_10device_ptrIiEEEEPS6_NSA_18transform_iteratorINSB_9not_fun_tI7is_trueIiEEENSC_INSD_IbEEEENSA_11use_defaultESO_EENS0_5tupleIJNSA_16discard_iteratorISO_EES6_EEENSQ_IJSG_SG_EEES6_PlJS6_EEE10hipError_tPvRmT3_T4_T5_T6_T7_T9_mT8_P12ihipStream_tbDpT10_ENKUlT_T0_E_clISt17integral_constantIbLb0EES1E_IbLb1EEEEDaS1A_S1B_EUlS1A_E_NS1_11comp_targetILNS1_3genE10ELNS1_11target_archE1200ELNS1_3gpuE4ELNS1_3repE0EEENS1_30default_config_static_selectorELNS0_4arch9wavefront6targetE0EEEvT1_
    .private_segment_fixed_size: 0
    .sgpr_count:     24
    .sgpr_spill_count: 0
    .symbol:         _ZN7rocprim17ROCPRIM_400000_NS6detail17trampoline_kernelINS0_14default_configENS1_25partition_config_selectorILNS1_17partition_subalgoE5EiNS0_10empty_typeEbEEZZNS1_14partition_implILS5_5ELb0ES3_mN6thrust23THRUST_200600_302600_NS6detail15normal_iteratorINSA_10device_ptrIiEEEEPS6_NSA_18transform_iteratorINSB_9not_fun_tI7is_trueIiEEENSC_INSD_IbEEEENSA_11use_defaultESO_EENS0_5tupleIJNSA_16discard_iteratorISO_EES6_EEENSQ_IJSG_SG_EEES6_PlJS6_EEE10hipError_tPvRmT3_T4_T5_T6_T7_T9_mT8_P12ihipStream_tbDpT10_ENKUlT_T0_E_clISt17integral_constantIbLb0EES1E_IbLb1EEEEDaS1A_S1B_EUlS1A_E_NS1_11comp_targetILNS1_3genE10ELNS1_11target_archE1200ELNS1_3gpuE4ELNS1_3repE0EEENS1_30default_config_static_selectorELNS0_4arch9wavefront6targetE0EEEvT1_.kd
    .uniform_work_group_size: 1
    .uses_dynamic_stack: false
    .vgpr_count:     53
    .vgpr_spill_count: 0
    .wavefront_size: 32
    .workgroup_processor_mode: 1
  - .args:
      - .offset:         0
        .size:           144
        .value_kind:     by_value
    .group_segment_fixed_size: 0
    .kernarg_segment_align: 8
    .kernarg_segment_size: 144
    .language:       OpenCL C
    .language_version:
      - 2
      - 0
    .max_flat_workgroup_size: 128
    .name:           _ZN7rocprim17ROCPRIM_400000_NS6detail17trampoline_kernelINS0_14default_configENS1_25partition_config_selectorILNS1_17partition_subalgoE5EiNS0_10empty_typeEbEEZZNS1_14partition_implILS5_5ELb0ES3_mN6thrust23THRUST_200600_302600_NS6detail15normal_iteratorINSA_10device_ptrIiEEEEPS6_NSA_18transform_iteratorINSB_9not_fun_tI7is_trueIiEEENSC_INSD_IbEEEENSA_11use_defaultESO_EENS0_5tupleIJNSA_16discard_iteratorISO_EES6_EEENSQ_IJSG_SG_EEES6_PlJS6_EEE10hipError_tPvRmT3_T4_T5_T6_T7_T9_mT8_P12ihipStream_tbDpT10_ENKUlT_T0_E_clISt17integral_constantIbLb0EES1E_IbLb1EEEEDaS1A_S1B_EUlS1A_E_NS1_11comp_targetILNS1_3genE9ELNS1_11target_archE1100ELNS1_3gpuE3ELNS1_3repE0EEENS1_30default_config_static_selectorELNS0_4arch9wavefront6targetE0EEEvT1_
    .private_segment_fixed_size: 0
    .sgpr_count:     0
    .sgpr_spill_count: 0
    .symbol:         _ZN7rocprim17ROCPRIM_400000_NS6detail17trampoline_kernelINS0_14default_configENS1_25partition_config_selectorILNS1_17partition_subalgoE5EiNS0_10empty_typeEbEEZZNS1_14partition_implILS5_5ELb0ES3_mN6thrust23THRUST_200600_302600_NS6detail15normal_iteratorINSA_10device_ptrIiEEEEPS6_NSA_18transform_iteratorINSB_9not_fun_tI7is_trueIiEEENSC_INSD_IbEEEENSA_11use_defaultESO_EENS0_5tupleIJNSA_16discard_iteratorISO_EES6_EEENSQ_IJSG_SG_EEES6_PlJS6_EEE10hipError_tPvRmT3_T4_T5_T6_T7_T9_mT8_P12ihipStream_tbDpT10_ENKUlT_T0_E_clISt17integral_constantIbLb0EES1E_IbLb1EEEEDaS1A_S1B_EUlS1A_E_NS1_11comp_targetILNS1_3genE9ELNS1_11target_archE1100ELNS1_3gpuE3ELNS1_3repE0EEENS1_30default_config_static_selectorELNS0_4arch9wavefront6targetE0EEEvT1_.kd
    .uniform_work_group_size: 1
    .uses_dynamic_stack: false
    .vgpr_count:     0
    .vgpr_spill_count: 0
    .wavefront_size: 32
    .workgroup_processor_mode: 1
  - .args:
      - .offset:         0
        .size:           144
        .value_kind:     by_value
    .group_segment_fixed_size: 0
    .kernarg_segment_align: 8
    .kernarg_segment_size: 144
    .language:       OpenCL C
    .language_version:
      - 2
      - 0
    .max_flat_workgroup_size: 512
    .name:           _ZN7rocprim17ROCPRIM_400000_NS6detail17trampoline_kernelINS0_14default_configENS1_25partition_config_selectorILNS1_17partition_subalgoE5EiNS0_10empty_typeEbEEZZNS1_14partition_implILS5_5ELb0ES3_mN6thrust23THRUST_200600_302600_NS6detail15normal_iteratorINSA_10device_ptrIiEEEEPS6_NSA_18transform_iteratorINSB_9not_fun_tI7is_trueIiEEENSC_INSD_IbEEEENSA_11use_defaultESO_EENS0_5tupleIJNSA_16discard_iteratorISO_EES6_EEENSQ_IJSG_SG_EEES6_PlJS6_EEE10hipError_tPvRmT3_T4_T5_T6_T7_T9_mT8_P12ihipStream_tbDpT10_ENKUlT_T0_E_clISt17integral_constantIbLb0EES1E_IbLb1EEEEDaS1A_S1B_EUlS1A_E_NS1_11comp_targetILNS1_3genE8ELNS1_11target_archE1030ELNS1_3gpuE2ELNS1_3repE0EEENS1_30default_config_static_selectorELNS0_4arch9wavefront6targetE0EEEvT1_
    .private_segment_fixed_size: 0
    .sgpr_count:     0
    .sgpr_spill_count: 0
    .symbol:         _ZN7rocprim17ROCPRIM_400000_NS6detail17trampoline_kernelINS0_14default_configENS1_25partition_config_selectorILNS1_17partition_subalgoE5EiNS0_10empty_typeEbEEZZNS1_14partition_implILS5_5ELb0ES3_mN6thrust23THRUST_200600_302600_NS6detail15normal_iteratorINSA_10device_ptrIiEEEEPS6_NSA_18transform_iteratorINSB_9not_fun_tI7is_trueIiEEENSC_INSD_IbEEEENSA_11use_defaultESO_EENS0_5tupleIJNSA_16discard_iteratorISO_EES6_EEENSQ_IJSG_SG_EEES6_PlJS6_EEE10hipError_tPvRmT3_T4_T5_T6_T7_T9_mT8_P12ihipStream_tbDpT10_ENKUlT_T0_E_clISt17integral_constantIbLb0EES1E_IbLb1EEEEDaS1A_S1B_EUlS1A_E_NS1_11comp_targetILNS1_3genE8ELNS1_11target_archE1030ELNS1_3gpuE2ELNS1_3repE0EEENS1_30default_config_static_selectorELNS0_4arch9wavefront6targetE0EEEvT1_.kd
    .uniform_work_group_size: 1
    .uses_dynamic_stack: false
    .vgpr_count:     0
    .vgpr_spill_count: 0
    .wavefront_size: 32
    .workgroup_processor_mode: 1
  - .args:
      - .offset:         0
        .size:           128
        .value_kind:     by_value
    .group_segment_fixed_size: 0
    .kernarg_segment_align: 8
    .kernarg_segment_size: 128
    .language:       OpenCL C
    .language_version:
      - 2
      - 0
    .max_flat_workgroup_size: 256
    .name:           _ZN7rocprim17ROCPRIM_400000_NS6detail17trampoline_kernelINS0_14default_configENS1_25partition_config_selectorILNS1_17partition_subalgoE5EsNS0_10empty_typeEbEEZZNS1_14partition_implILS5_5ELb0ES3_mN6thrust23THRUST_200600_302600_NS6detail15normal_iteratorINSA_10device_ptrIsEEEEPS6_NSA_18transform_iteratorINSB_9not_fun_tI7is_trueIsEEENSC_INSD_IbEEEENSA_11use_defaultESO_EENS0_5tupleIJNSA_16discard_iteratorISO_EES6_EEENSQ_IJSG_SG_EEES6_PlJS6_EEE10hipError_tPvRmT3_T4_T5_T6_T7_T9_mT8_P12ihipStream_tbDpT10_ENKUlT_T0_E_clISt17integral_constantIbLb0EES1F_EEDaS1A_S1B_EUlS1A_E_NS1_11comp_targetILNS1_3genE0ELNS1_11target_archE4294967295ELNS1_3gpuE0ELNS1_3repE0EEENS1_30default_config_static_selectorELNS0_4arch9wavefront6targetE0EEEvT1_
    .private_segment_fixed_size: 0
    .sgpr_count:     0
    .sgpr_spill_count: 0
    .symbol:         _ZN7rocprim17ROCPRIM_400000_NS6detail17trampoline_kernelINS0_14default_configENS1_25partition_config_selectorILNS1_17partition_subalgoE5EsNS0_10empty_typeEbEEZZNS1_14partition_implILS5_5ELb0ES3_mN6thrust23THRUST_200600_302600_NS6detail15normal_iteratorINSA_10device_ptrIsEEEEPS6_NSA_18transform_iteratorINSB_9not_fun_tI7is_trueIsEEENSC_INSD_IbEEEENSA_11use_defaultESO_EENS0_5tupleIJNSA_16discard_iteratorISO_EES6_EEENSQ_IJSG_SG_EEES6_PlJS6_EEE10hipError_tPvRmT3_T4_T5_T6_T7_T9_mT8_P12ihipStream_tbDpT10_ENKUlT_T0_E_clISt17integral_constantIbLb0EES1F_EEDaS1A_S1B_EUlS1A_E_NS1_11comp_targetILNS1_3genE0ELNS1_11target_archE4294967295ELNS1_3gpuE0ELNS1_3repE0EEENS1_30default_config_static_selectorELNS0_4arch9wavefront6targetE0EEEvT1_.kd
    .uniform_work_group_size: 1
    .uses_dynamic_stack: false
    .vgpr_count:     0
    .vgpr_spill_count: 0
    .wavefront_size: 32
    .workgroup_processor_mode: 1
  - .args:
      - .offset:         0
        .size:           128
        .value_kind:     by_value
    .group_segment_fixed_size: 0
    .kernarg_segment_align: 8
    .kernarg_segment_size: 128
    .language:       OpenCL C
    .language_version:
      - 2
      - 0
    .max_flat_workgroup_size: 512
    .name:           _ZN7rocprim17ROCPRIM_400000_NS6detail17trampoline_kernelINS0_14default_configENS1_25partition_config_selectorILNS1_17partition_subalgoE5EsNS0_10empty_typeEbEEZZNS1_14partition_implILS5_5ELb0ES3_mN6thrust23THRUST_200600_302600_NS6detail15normal_iteratorINSA_10device_ptrIsEEEEPS6_NSA_18transform_iteratorINSB_9not_fun_tI7is_trueIsEEENSC_INSD_IbEEEENSA_11use_defaultESO_EENS0_5tupleIJNSA_16discard_iteratorISO_EES6_EEENSQ_IJSG_SG_EEES6_PlJS6_EEE10hipError_tPvRmT3_T4_T5_T6_T7_T9_mT8_P12ihipStream_tbDpT10_ENKUlT_T0_E_clISt17integral_constantIbLb0EES1F_EEDaS1A_S1B_EUlS1A_E_NS1_11comp_targetILNS1_3genE5ELNS1_11target_archE942ELNS1_3gpuE9ELNS1_3repE0EEENS1_30default_config_static_selectorELNS0_4arch9wavefront6targetE0EEEvT1_
    .private_segment_fixed_size: 0
    .sgpr_count:     0
    .sgpr_spill_count: 0
    .symbol:         _ZN7rocprim17ROCPRIM_400000_NS6detail17trampoline_kernelINS0_14default_configENS1_25partition_config_selectorILNS1_17partition_subalgoE5EsNS0_10empty_typeEbEEZZNS1_14partition_implILS5_5ELb0ES3_mN6thrust23THRUST_200600_302600_NS6detail15normal_iteratorINSA_10device_ptrIsEEEEPS6_NSA_18transform_iteratorINSB_9not_fun_tI7is_trueIsEEENSC_INSD_IbEEEENSA_11use_defaultESO_EENS0_5tupleIJNSA_16discard_iteratorISO_EES6_EEENSQ_IJSG_SG_EEES6_PlJS6_EEE10hipError_tPvRmT3_T4_T5_T6_T7_T9_mT8_P12ihipStream_tbDpT10_ENKUlT_T0_E_clISt17integral_constantIbLb0EES1F_EEDaS1A_S1B_EUlS1A_E_NS1_11comp_targetILNS1_3genE5ELNS1_11target_archE942ELNS1_3gpuE9ELNS1_3repE0EEENS1_30default_config_static_selectorELNS0_4arch9wavefront6targetE0EEEvT1_.kd
    .uniform_work_group_size: 1
    .uses_dynamic_stack: false
    .vgpr_count:     0
    .vgpr_spill_count: 0
    .wavefront_size: 32
    .workgroup_processor_mode: 1
  - .args:
      - .offset:         0
        .size:           128
        .value_kind:     by_value
    .group_segment_fixed_size: 0
    .kernarg_segment_align: 8
    .kernarg_segment_size: 128
    .language:       OpenCL C
    .language_version:
      - 2
      - 0
    .max_flat_workgroup_size: 256
    .name:           _ZN7rocprim17ROCPRIM_400000_NS6detail17trampoline_kernelINS0_14default_configENS1_25partition_config_selectorILNS1_17partition_subalgoE5EsNS0_10empty_typeEbEEZZNS1_14partition_implILS5_5ELb0ES3_mN6thrust23THRUST_200600_302600_NS6detail15normal_iteratorINSA_10device_ptrIsEEEEPS6_NSA_18transform_iteratorINSB_9not_fun_tI7is_trueIsEEENSC_INSD_IbEEEENSA_11use_defaultESO_EENS0_5tupleIJNSA_16discard_iteratorISO_EES6_EEENSQ_IJSG_SG_EEES6_PlJS6_EEE10hipError_tPvRmT3_T4_T5_T6_T7_T9_mT8_P12ihipStream_tbDpT10_ENKUlT_T0_E_clISt17integral_constantIbLb0EES1F_EEDaS1A_S1B_EUlS1A_E_NS1_11comp_targetILNS1_3genE4ELNS1_11target_archE910ELNS1_3gpuE8ELNS1_3repE0EEENS1_30default_config_static_selectorELNS0_4arch9wavefront6targetE0EEEvT1_
    .private_segment_fixed_size: 0
    .sgpr_count:     0
    .sgpr_spill_count: 0
    .symbol:         _ZN7rocprim17ROCPRIM_400000_NS6detail17trampoline_kernelINS0_14default_configENS1_25partition_config_selectorILNS1_17partition_subalgoE5EsNS0_10empty_typeEbEEZZNS1_14partition_implILS5_5ELb0ES3_mN6thrust23THRUST_200600_302600_NS6detail15normal_iteratorINSA_10device_ptrIsEEEEPS6_NSA_18transform_iteratorINSB_9not_fun_tI7is_trueIsEEENSC_INSD_IbEEEENSA_11use_defaultESO_EENS0_5tupleIJNSA_16discard_iteratorISO_EES6_EEENSQ_IJSG_SG_EEES6_PlJS6_EEE10hipError_tPvRmT3_T4_T5_T6_T7_T9_mT8_P12ihipStream_tbDpT10_ENKUlT_T0_E_clISt17integral_constantIbLb0EES1F_EEDaS1A_S1B_EUlS1A_E_NS1_11comp_targetILNS1_3genE4ELNS1_11target_archE910ELNS1_3gpuE8ELNS1_3repE0EEENS1_30default_config_static_selectorELNS0_4arch9wavefront6targetE0EEEvT1_.kd
    .uniform_work_group_size: 1
    .uses_dynamic_stack: false
    .vgpr_count:     0
    .vgpr_spill_count: 0
    .wavefront_size: 32
    .workgroup_processor_mode: 1
  - .args:
      - .offset:         0
        .size:           128
        .value_kind:     by_value
    .group_segment_fixed_size: 0
    .kernarg_segment_align: 8
    .kernarg_segment_size: 128
    .language:       OpenCL C
    .language_version:
      - 2
      - 0
    .max_flat_workgroup_size: 256
    .name:           _ZN7rocprim17ROCPRIM_400000_NS6detail17trampoline_kernelINS0_14default_configENS1_25partition_config_selectorILNS1_17partition_subalgoE5EsNS0_10empty_typeEbEEZZNS1_14partition_implILS5_5ELb0ES3_mN6thrust23THRUST_200600_302600_NS6detail15normal_iteratorINSA_10device_ptrIsEEEEPS6_NSA_18transform_iteratorINSB_9not_fun_tI7is_trueIsEEENSC_INSD_IbEEEENSA_11use_defaultESO_EENS0_5tupleIJNSA_16discard_iteratorISO_EES6_EEENSQ_IJSG_SG_EEES6_PlJS6_EEE10hipError_tPvRmT3_T4_T5_T6_T7_T9_mT8_P12ihipStream_tbDpT10_ENKUlT_T0_E_clISt17integral_constantIbLb0EES1F_EEDaS1A_S1B_EUlS1A_E_NS1_11comp_targetILNS1_3genE3ELNS1_11target_archE908ELNS1_3gpuE7ELNS1_3repE0EEENS1_30default_config_static_selectorELNS0_4arch9wavefront6targetE0EEEvT1_
    .private_segment_fixed_size: 0
    .sgpr_count:     0
    .sgpr_spill_count: 0
    .symbol:         _ZN7rocprim17ROCPRIM_400000_NS6detail17trampoline_kernelINS0_14default_configENS1_25partition_config_selectorILNS1_17partition_subalgoE5EsNS0_10empty_typeEbEEZZNS1_14partition_implILS5_5ELb0ES3_mN6thrust23THRUST_200600_302600_NS6detail15normal_iteratorINSA_10device_ptrIsEEEEPS6_NSA_18transform_iteratorINSB_9not_fun_tI7is_trueIsEEENSC_INSD_IbEEEENSA_11use_defaultESO_EENS0_5tupleIJNSA_16discard_iteratorISO_EES6_EEENSQ_IJSG_SG_EEES6_PlJS6_EEE10hipError_tPvRmT3_T4_T5_T6_T7_T9_mT8_P12ihipStream_tbDpT10_ENKUlT_T0_E_clISt17integral_constantIbLb0EES1F_EEDaS1A_S1B_EUlS1A_E_NS1_11comp_targetILNS1_3genE3ELNS1_11target_archE908ELNS1_3gpuE7ELNS1_3repE0EEENS1_30default_config_static_selectorELNS0_4arch9wavefront6targetE0EEEvT1_.kd
    .uniform_work_group_size: 1
    .uses_dynamic_stack: false
    .vgpr_count:     0
    .vgpr_spill_count: 0
    .wavefront_size: 32
    .workgroup_processor_mode: 1
  - .args:
      - .offset:         0
        .size:           128
        .value_kind:     by_value
    .group_segment_fixed_size: 0
    .kernarg_segment_align: 8
    .kernarg_segment_size: 128
    .language:       OpenCL C
    .language_version:
      - 2
      - 0
    .max_flat_workgroup_size: 256
    .name:           _ZN7rocprim17ROCPRIM_400000_NS6detail17trampoline_kernelINS0_14default_configENS1_25partition_config_selectorILNS1_17partition_subalgoE5EsNS0_10empty_typeEbEEZZNS1_14partition_implILS5_5ELb0ES3_mN6thrust23THRUST_200600_302600_NS6detail15normal_iteratorINSA_10device_ptrIsEEEEPS6_NSA_18transform_iteratorINSB_9not_fun_tI7is_trueIsEEENSC_INSD_IbEEEENSA_11use_defaultESO_EENS0_5tupleIJNSA_16discard_iteratorISO_EES6_EEENSQ_IJSG_SG_EEES6_PlJS6_EEE10hipError_tPvRmT3_T4_T5_T6_T7_T9_mT8_P12ihipStream_tbDpT10_ENKUlT_T0_E_clISt17integral_constantIbLb0EES1F_EEDaS1A_S1B_EUlS1A_E_NS1_11comp_targetILNS1_3genE2ELNS1_11target_archE906ELNS1_3gpuE6ELNS1_3repE0EEENS1_30default_config_static_selectorELNS0_4arch9wavefront6targetE0EEEvT1_
    .private_segment_fixed_size: 0
    .sgpr_count:     0
    .sgpr_spill_count: 0
    .symbol:         _ZN7rocprim17ROCPRIM_400000_NS6detail17trampoline_kernelINS0_14default_configENS1_25partition_config_selectorILNS1_17partition_subalgoE5EsNS0_10empty_typeEbEEZZNS1_14partition_implILS5_5ELb0ES3_mN6thrust23THRUST_200600_302600_NS6detail15normal_iteratorINSA_10device_ptrIsEEEEPS6_NSA_18transform_iteratorINSB_9not_fun_tI7is_trueIsEEENSC_INSD_IbEEEENSA_11use_defaultESO_EENS0_5tupleIJNSA_16discard_iteratorISO_EES6_EEENSQ_IJSG_SG_EEES6_PlJS6_EEE10hipError_tPvRmT3_T4_T5_T6_T7_T9_mT8_P12ihipStream_tbDpT10_ENKUlT_T0_E_clISt17integral_constantIbLb0EES1F_EEDaS1A_S1B_EUlS1A_E_NS1_11comp_targetILNS1_3genE2ELNS1_11target_archE906ELNS1_3gpuE6ELNS1_3repE0EEENS1_30default_config_static_selectorELNS0_4arch9wavefront6targetE0EEEvT1_.kd
    .uniform_work_group_size: 1
    .uses_dynamic_stack: false
    .vgpr_count:     0
    .vgpr_spill_count: 0
    .wavefront_size: 32
    .workgroup_processor_mode: 1
  - .args:
      - .offset:         0
        .size:           128
        .value_kind:     by_value
    .group_segment_fixed_size: 6160
    .kernarg_segment_align: 8
    .kernarg_segment_size: 128
    .language:       OpenCL C
    .language_version:
      - 2
      - 0
    .max_flat_workgroup_size: 256
    .name:           _ZN7rocprim17ROCPRIM_400000_NS6detail17trampoline_kernelINS0_14default_configENS1_25partition_config_selectorILNS1_17partition_subalgoE5EsNS0_10empty_typeEbEEZZNS1_14partition_implILS5_5ELb0ES3_mN6thrust23THRUST_200600_302600_NS6detail15normal_iteratorINSA_10device_ptrIsEEEEPS6_NSA_18transform_iteratorINSB_9not_fun_tI7is_trueIsEEENSC_INSD_IbEEEENSA_11use_defaultESO_EENS0_5tupleIJNSA_16discard_iteratorISO_EES6_EEENSQ_IJSG_SG_EEES6_PlJS6_EEE10hipError_tPvRmT3_T4_T5_T6_T7_T9_mT8_P12ihipStream_tbDpT10_ENKUlT_T0_E_clISt17integral_constantIbLb0EES1F_EEDaS1A_S1B_EUlS1A_E_NS1_11comp_targetILNS1_3genE10ELNS1_11target_archE1200ELNS1_3gpuE4ELNS1_3repE0EEENS1_30default_config_static_selectorELNS0_4arch9wavefront6targetE0EEEvT1_
    .private_segment_fixed_size: 0
    .sgpr_count:     25
    .sgpr_spill_count: 0
    .symbol:         _ZN7rocprim17ROCPRIM_400000_NS6detail17trampoline_kernelINS0_14default_configENS1_25partition_config_selectorILNS1_17partition_subalgoE5EsNS0_10empty_typeEbEEZZNS1_14partition_implILS5_5ELb0ES3_mN6thrust23THRUST_200600_302600_NS6detail15normal_iteratorINSA_10device_ptrIsEEEEPS6_NSA_18transform_iteratorINSB_9not_fun_tI7is_trueIsEEENSC_INSD_IbEEEENSA_11use_defaultESO_EENS0_5tupleIJNSA_16discard_iteratorISO_EES6_EEENSQ_IJSG_SG_EEES6_PlJS6_EEE10hipError_tPvRmT3_T4_T5_T6_T7_T9_mT8_P12ihipStream_tbDpT10_ENKUlT_T0_E_clISt17integral_constantIbLb0EES1F_EEDaS1A_S1B_EUlS1A_E_NS1_11comp_targetILNS1_3genE10ELNS1_11target_archE1200ELNS1_3gpuE4ELNS1_3repE0EEENS1_30default_config_static_selectorELNS0_4arch9wavefront6targetE0EEEvT1_.kd
    .uniform_work_group_size: 1
    .uses_dynamic_stack: false
    .vgpr_count:     63
    .vgpr_spill_count: 0
    .wavefront_size: 32
    .workgroup_processor_mode: 1
  - .args:
      - .offset:         0
        .size:           128
        .value_kind:     by_value
    .group_segment_fixed_size: 0
    .kernarg_segment_align: 8
    .kernarg_segment_size: 128
    .language:       OpenCL C
    .language_version:
      - 2
      - 0
    .max_flat_workgroup_size: 128
    .name:           _ZN7rocprim17ROCPRIM_400000_NS6detail17trampoline_kernelINS0_14default_configENS1_25partition_config_selectorILNS1_17partition_subalgoE5EsNS0_10empty_typeEbEEZZNS1_14partition_implILS5_5ELb0ES3_mN6thrust23THRUST_200600_302600_NS6detail15normal_iteratorINSA_10device_ptrIsEEEEPS6_NSA_18transform_iteratorINSB_9not_fun_tI7is_trueIsEEENSC_INSD_IbEEEENSA_11use_defaultESO_EENS0_5tupleIJNSA_16discard_iteratorISO_EES6_EEENSQ_IJSG_SG_EEES6_PlJS6_EEE10hipError_tPvRmT3_T4_T5_T6_T7_T9_mT8_P12ihipStream_tbDpT10_ENKUlT_T0_E_clISt17integral_constantIbLb0EES1F_EEDaS1A_S1B_EUlS1A_E_NS1_11comp_targetILNS1_3genE9ELNS1_11target_archE1100ELNS1_3gpuE3ELNS1_3repE0EEENS1_30default_config_static_selectorELNS0_4arch9wavefront6targetE0EEEvT1_
    .private_segment_fixed_size: 0
    .sgpr_count:     0
    .sgpr_spill_count: 0
    .symbol:         _ZN7rocprim17ROCPRIM_400000_NS6detail17trampoline_kernelINS0_14default_configENS1_25partition_config_selectorILNS1_17partition_subalgoE5EsNS0_10empty_typeEbEEZZNS1_14partition_implILS5_5ELb0ES3_mN6thrust23THRUST_200600_302600_NS6detail15normal_iteratorINSA_10device_ptrIsEEEEPS6_NSA_18transform_iteratorINSB_9not_fun_tI7is_trueIsEEENSC_INSD_IbEEEENSA_11use_defaultESO_EENS0_5tupleIJNSA_16discard_iteratorISO_EES6_EEENSQ_IJSG_SG_EEES6_PlJS6_EEE10hipError_tPvRmT3_T4_T5_T6_T7_T9_mT8_P12ihipStream_tbDpT10_ENKUlT_T0_E_clISt17integral_constantIbLb0EES1F_EEDaS1A_S1B_EUlS1A_E_NS1_11comp_targetILNS1_3genE9ELNS1_11target_archE1100ELNS1_3gpuE3ELNS1_3repE0EEENS1_30default_config_static_selectorELNS0_4arch9wavefront6targetE0EEEvT1_.kd
    .uniform_work_group_size: 1
    .uses_dynamic_stack: false
    .vgpr_count:     0
    .vgpr_spill_count: 0
    .wavefront_size: 32
    .workgroup_processor_mode: 1
  - .args:
      - .offset:         0
        .size:           128
        .value_kind:     by_value
    .group_segment_fixed_size: 0
    .kernarg_segment_align: 8
    .kernarg_segment_size: 128
    .language:       OpenCL C
    .language_version:
      - 2
      - 0
    .max_flat_workgroup_size: 256
    .name:           _ZN7rocprim17ROCPRIM_400000_NS6detail17trampoline_kernelINS0_14default_configENS1_25partition_config_selectorILNS1_17partition_subalgoE5EsNS0_10empty_typeEbEEZZNS1_14partition_implILS5_5ELb0ES3_mN6thrust23THRUST_200600_302600_NS6detail15normal_iteratorINSA_10device_ptrIsEEEEPS6_NSA_18transform_iteratorINSB_9not_fun_tI7is_trueIsEEENSC_INSD_IbEEEENSA_11use_defaultESO_EENS0_5tupleIJNSA_16discard_iteratorISO_EES6_EEENSQ_IJSG_SG_EEES6_PlJS6_EEE10hipError_tPvRmT3_T4_T5_T6_T7_T9_mT8_P12ihipStream_tbDpT10_ENKUlT_T0_E_clISt17integral_constantIbLb0EES1F_EEDaS1A_S1B_EUlS1A_E_NS1_11comp_targetILNS1_3genE8ELNS1_11target_archE1030ELNS1_3gpuE2ELNS1_3repE0EEENS1_30default_config_static_selectorELNS0_4arch9wavefront6targetE0EEEvT1_
    .private_segment_fixed_size: 0
    .sgpr_count:     0
    .sgpr_spill_count: 0
    .symbol:         _ZN7rocprim17ROCPRIM_400000_NS6detail17trampoline_kernelINS0_14default_configENS1_25partition_config_selectorILNS1_17partition_subalgoE5EsNS0_10empty_typeEbEEZZNS1_14partition_implILS5_5ELb0ES3_mN6thrust23THRUST_200600_302600_NS6detail15normal_iteratorINSA_10device_ptrIsEEEEPS6_NSA_18transform_iteratorINSB_9not_fun_tI7is_trueIsEEENSC_INSD_IbEEEENSA_11use_defaultESO_EENS0_5tupleIJNSA_16discard_iteratorISO_EES6_EEENSQ_IJSG_SG_EEES6_PlJS6_EEE10hipError_tPvRmT3_T4_T5_T6_T7_T9_mT8_P12ihipStream_tbDpT10_ENKUlT_T0_E_clISt17integral_constantIbLb0EES1F_EEDaS1A_S1B_EUlS1A_E_NS1_11comp_targetILNS1_3genE8ELNS1_11target_archE1030ELNS1_3gpuE2ELNS1_3repE0EEENS1_30default_config_static_selectorELNS0_4arch9wavefront6targetE0EEEvT1_.kd
    .uniform_work_group_size: 1
    .uses_dynamic_stack: false
    .vgpr_count:     0
    .vgpr_spill_count: 0
    .wavefront_size: 32
    .workgroup_processor_mode: 1
  - .args:
      - .offset:         0
        .size:           144
        .value_kind:     by_value
    .group_segment_fixed_size: 0
    .kernarg_segment_align: 8
    .kernarg_segment_size: 144
    .language:       OpenCL C
    .language_version:
      - 2
      - 0
    .max_flat_workgroup_size: 256
    .name:           _ZN7rocprim17ROCPRIM_400000_NS6detail17trampoline_kernelINS0_14default_configENS1_25partition_config_selectorILNS1_17partition_subalgoE5EsNS0_10empty_typeEbEEZZNS1_14partition_implILS5_5ELb0ES3_mN6thrust23THRUST_200600_302600_NS6detail15normal_iteratorINSA_10device_ptrIsEEEEPS6_NSA_18transform_iteratorINSB_9not_fun_tI7is_trueIsEEENSC_INSD_IbEEEENSA_11use_defaultESO_EENS0_5tupleIJNSA_16discard_iteratorISO_EES6_EEENSQ_IJSG_SG_EEES6_PlJS6_EEE10hipError_tPvRmT3_T4_T5_T6_T7_T9_mT8_P12ihipStream_tbDpT10_ENKUlT_T0_E_clISt17integral_constantIbLb1EES1F_EEDaS1A_S1B_EUlS1A_E_NS1_11comp_targetILNS1_3genE0ELNS1_11target_archE4294967295ELNS1_3gpuE0ELNS1_3repE0EEENS1_30default_config_static_selectorELNS0_4arch9wavefront6targetE0EEEvT1_
    .private_segment_fixed_size: 0
    .sgpr_count:     0
    .sgpr_spill_count: 0
    .symbol:         _ZN7rocprim17ROCPRIM_400000_NS6detail17trampoline_kernelINS0_14default_configENS1_25partition_config_selectorILNS1_17partition_subalgoE5EsNS0_10empty_typeEbEEZZNS1_14partition_implILS5_5ELb0ES3_mN6thrust23THRUST_200600_302600_NS6detail15normal_iteratorINSA_10device_ptrIsEEEEPS6_NSA_18transform_iteratorINSB_9not_fun_tI7is_trueIsEEENSC_INSD_IbEEEENSA_11use_defaultESO_EENS0_5tupleIJNSA_16discard_iteratorISO_EES6_EEENSQ_IJSG_SG_EEES6_PlJS6_EEE10hipError_tPvRmT3_T4_T5_T6_T7_T9_mT8_P12ihipStream_tbDpT10_ENKUlT_T0_E_clISt17integral_constantIbLb1EES1F_EEDaS1A_S1B_EUlS1A_E_NS1_11comp_targetILNS1_3genE0ELNS1_11target_archE4294967295ELNS1_3gpuE0ELNS1_3repE0EEENS1_30default_config_static_selectorELNS0_4arch9wavefront6targetE0EEEvT1_.kd
    .uniform_work_group_size: 1
    .uses_dynamic_stack: false
    .vgpr_count:     0
    .vgpr_spill_count: 0
    .wavefront_size: 32
    .workgroup_processor_mode: 1
  - .args:
      - .offset:         0
        .size:           144
        .value_kind:     by_value
    .group_segment_fixed_size: 0
    .kernarg_segment_align: 8
    .kernarg_segment_size: 144
    .language:       OpenCL C
    .language_version:
      - 2
      - 0
    .max_flat_workgroup_size: 512
    .name:           _ZN7rocprim17ROCPRIM_400000_NS6detail17trampoline_kernelINS0_14default_configENS1_25partition_config_selectorILNS1_17partition_subalgoE5EsNS0_10empty_typeEbEEZZNS1_14partition_implILS5_5ELb0ES3_mN6thrust23THRUST_200600_302600_NS6detail15normal_iteratorINSA_10device_ptrIsEEEEPS6_NSA_18transform_iteratorINSB_9not_fun_tI7is_trueIsEEENSC_INSD_IbEEEENSA_11use_defaultESO_EENS0_5tupleIJNSA_16discard_iteratorISO_EES6_EEENSQ_IJSG_SG_EEES6_PlJS6_EEE10hipError_tPvRmT3_T4_T5_T6_T7_T9_mT8_P12ihipStream_tbDpT10_ENKUlT_T0_E_clISt17integral_constantIbLb1EES1F_EEDaS1A_S1B_EUlS1A_E_NS1_11comp_targetILNS1_3genE5ELNS1_11target_archE942ELNS1_3gpuE9ELNS1_3repE0EEENS1_30default_config_static_selectorELNS0_4arch9wavefront6targetE0EEEvT1_
    .private_segment_fixed_size: 0
    .sgpr_count:     0
    .sgpr_spill_count: 0
    .symbol:         _ZN7rocprim17ROCPRIM_400000_NS6detail17trampoline_kernelINS0_14default_configENS1_25partition_config_selectorILNS1_17partition_subalgoE5EsNS0_10empty_typeEbEEZZNS1_14partition_implILS5_5ELb0ES3_mN6thrust23THRUST_200600_302600_NS6detail15normal_iteratorINSA_10device_ptrIsEEEEPS6_NSA_18transform_iteratorINSB_9not_fun_tI7is_trueIsEEENSC_INSD_IbEEEENSA_11use_defaultESO_EENS0_5tupleIJNSA_16discard_iteratorISO_EES6_EEENSQ_IJSG_SG_EEES6_PlJS6_EEE10hipError_tPvRmT3_T4_T5_T6_T7_T9_mT8_P12ihipStream_tbDpT10_ENKUlT_T0_E_clISt17integral_constantIbLb1EES1F_EEDaS1A_S1B_EUlS1A_E_NS1_11comp_targetILNS1_3genE5ELNS1_11target_archE942ELNS1_3gpuE9ELNS1_3repE0EEENS1_30default_config_static_selectorELNS0_4arch9wavefront6targetE0EEEvT1_.kd
    .uniform_work_group_size: 1
    .uses_dynamic_stack: false
    .vgpr_count:     0
    .vgpr_spill_count: 0
    .wavefront_size: 32
    .workgroup_processor_mode: 1
  - .args:
      - .offset:         0
        .size:           144
        .value_kind:     by_value
    .group_segment_fixed_size: 0
    .kernarg_segment_align: 8
    .kernarg_segment_size: 144
    .language:       OpenCL C
    .language_version:
      - 2
      - 0
    .max_flat_workgroup_size: 256
    .name:           _ZN7rocprim17ROCPRIM_400000_NS6detail17trampoline_kernelINS0_14default_configENS1_25partition_config_selectorILNS1_17partition_subalgoE5EsNS0_10empty_typeEbEEZZNS1_14partition_implILS5_5ELb0ES3_mN6thrust23THRUST_200600_302600_NS6detail15normal_iteratorINSA_10device_ptrIsEEEEPS6_NSA_18transform_iteratorINSB_9not_fun_tI7is_trueIsEEENSC_INSD_IbEEEENSA_11use_defaultESO_EENS0_5tupleIJNSA_16discard_iteratorISO_EES6_EEENSQ_IJSG_SG_EEES6_PlJS6_EEE10hipError_tPvRmT3_T4_T5_T6_T7_T9_mT8_P12ihipStream_tbDpT10_ENKUlT_T0_E_clISt17integral_constantIbLb1EES1F_EEDaS1A_S1B_EUlS1A_E_NS1_11comp_targetILNS1_3genE4ELNS1_11target_archE910ELNS1_3gpuE8ELNS1_3repE0EEENS1_30default_config_static_selectorELNS0_4arch9wavefront6targetE0EEEvT1_
    .private_segment_fixed_size: 0
    .sgpr_count:     0
    .sgpr_spill_count: 0
    .symbol:         _ZN7rocprim17ROCPRIM_400000_NS6detail17trampoline_kernelINS0_14default_configENS1_25partition_config_selectorILNS1_17partition_subalgoE5EsNS0_10empty_typeEbEEZZNS1_14partition_implILS5_5ELb0ES3_mN6thrust23THRUST_200600_302600_NS6detail15normal_iteratorINSA_10device_ptrIsEEEEPS6_NSA_18transform_iteratorINSB_9not_fun_tI7is_trueIsEEENSC_INSD_IbEEEENSA_11use_defaultESO_EENS0_5tupleIJNSA_16discard_iteratorISO_EES6_EEENSQ_IJSG_SG_EEES6_PlJS6_EEE10hipError_tPvRmT3_T4_T5_T6_T7_T9_mT8_P12ihipStream_tbDpT10_ENKUlT_T0_E_clISt17integral_constantIbLb1EES1F_EEDaS1A_S1B_EUlS1A_E_NS1_11comp_targetILNS1_3genE4ELNS1_11target_archE910ELNS1_3gpuE8ELNS1_3repE0EEENS1_30default_config_static_selectorELNS0_4arch9wavefront6targetE0EEEvT1_.kd
    .uniform_work_group_size: 1
    .uses_dynamic_stack: false
    .vgpr_count:     0
    .vgpr_spill_count: 0
    .wavefront_size: 32
    .workgroup_processor_mode: 1
  - .args:
      - .offset:         0
        .size:           144
        .value_kind:     by_value
    .group_segment_fixed_size: 0
    .kernarg_segment_align: 8
    .kernarg_segment_size: 144
    .language:       OpenCL C
    .language_version:
      - 2
      - 0
    .max_flat_workgroup_size: 256
    .name:           _ZN7rocprim17ROCPRIM_400000_NS6detail17trampoline_kernelINS0_14default_configENS1_25partition_config_selectorILNS1_17partition_subalgoE5EsNS0_10empty_typeEbEEZZNS1_14partition_implILS5_5ELb0ES3_mN6thrust23THRUST_200600_302600_NS6detail15normal_iteratorINSA_10device_ptrIsEEEEPS6_NSA_18transform_iteratorINSB_9not_fun_tI7is_trueIsEEENSC_INSD_IbEEEENSA_11use_defaultESO_EENS0_5tupleIJNSA_16discard_iteratorISO_EES6_EEENSQ_IJSG_SG_EEES6_PlJS6_EEE10hipError_tPvRmT3_T4_T5_T6_T7_T9_mT8_P12ihipStream_tbDpT10_ENKUlT_T0_E_clISt17integral_constantIbLb1EES1F_EEDaS1A_S1B_EUlS1A_E_NS1_11comp_targetILNS1_3genE3ELNS1_11target_archE908ELNS1_3gpuE7ELNS1_3repE0EEENS1_30default_config_static_selectorELNS0_4arch9wavefront6targetE0EEEvT1_
    .private_segment_fixed_size: 0
    .sgpr_count:     0
    .sgpr_spill_count: 0
    .symbol:         _ZN7rocprim17ROCPRIM_400000_NS6detail17trampoline_kernelINS0_14default_configENS1_25partition_config_selectorILNS1_17partition_subalgoE5EsNS0_10empty_typeEbEEZZNS1_14partition_implILS5_5ELb0ES3_mN6thrust23THRUST_200600_302600_NS6detail15normal_iteratorINSA_10device_ptrIsEEEEPS6_NSA_18transform_iteratorINSB_9not_fun_tI7is_trueIsEEENSC_INSD_IbEEEENSA_11use_defaultESO_EENS0_5tupleIJNSA_16discard_iteratorISO_EES6_EEENSQ_IJSG_SG_EEES6_PlJS6_EEE10hipError_tPvRmT3_T4_T5_T6_T7_T9_mT8_P12ihipStream_tbDpT10_ENKUlT_T0_E_clISt17integral_constantIbLb1EES1F_EEDaS1A_S1B_EUlS1A_E_NS1_11comp_targetILNS1_3genE3ELNS1_11target_archE908ELNS1_3gpuE7ELNS1_3repE0EEENS1_30default_config_static_selectorELNS0_4arch9wavefront6targetE0EEEvT1_.kd
    .uniform_work_group_size: 1
    .uses_dynamic_stack: false
    .vgpr_count:     0
    .vgpr_spill_count: 0
    .wavefront_size: 32
    .workgroup_processor_mode: 1
  - .args:
      - .offset:         0
        .size:           144
        .value_kind:     by_value
    .group_segment_fixed_size: 0
    .kernarg_segment_align: 8
    .kernarg_segment_size: 144
    .language:       OpenCL C
    .language_version:
      - 2
      - 0
    .max_flat_workgroup_size: 256
    .name:           _ZN7rocprim17ROCPRIM_400000_NS6detail17trampoline_kernelINS0_14default_configENS1_25partition_config_selectorILNS1_17partition_subalgoE5EsNS0_10empty_typeEbEEZZNS1_14partition_implILS5_5ELb0ES3_mN6thrust23THRUST_200600_302600_NS6detail15normal_iteratorINSA_10device_ptrIsEEEEPS6_NSA_18transform_iteratorINSB_9not_fun_tI7is_trueIsEEENSC_INSD_IbEEEENSA_11use_defaultESO_EENS0_5tupleIJNSA_16discard_iteratorISO_EES6_EEENSQ_IJSG_SG_EEES6_PlJS6_EEE10hipError_tPvRmT3_T4_T5_T6_T7_T9_mT8_P12ihipStream_tbDpT10_ENKUlT_T0_E_clISt17integral_constantIbLb1EES1F_EEDaS1A_S1B_EUlS1A_E_NS1_11comp_targetILNS1_3genE2ELNS1_11target_archE906ELNS1_3gpuE6ELNS1_3repE0EEENS1_30default_config_static_selectorELNS0_4arch9wavefront6targetE0EEEvT1_
    .private_segment_fixed_size: 0
    .sgpr_count:     0
    .sgpr_spill_count: 0
    .symbol:         _ZN7rocprim17ROCPRIM_400000_NS6detail17trampoline_kernelINS0_14default_configENS1_25partition_config_selectorILNS1_17partition_subalgoE5EsNS0_10empty_typeEbEEZZNS1_14partition_implILS5_5ELb0ES3_mN6thrust23THRUST_200600_302600_NS6detail15normal_iteratorINSA_10device_ptrIsEEEEPS6_NSA_18transform_iteratorINSB_9not_fun_tI7is_trueIsEEENSC_INSD_IbEEEENSA_11use_defaultESO_EENS0_5tupleIJNSA_16discard_iteratorISO_EES6_EEENSQ_IJSG_SG_EEES6_PlJS6_EEE10hipError_tPvRmT3_T4_T5_T6_T7_T9_mT8_P12ihipStream_tbDpT10_ENKUlT_T0_E_clISt17integral_constantIbLb1EES1F_EEDaS1A_S1B_EUlS1A_E_NS1_11comp_targetILNS1_3genE2ELNS1_11target_archE906ELNS1_3gpuE6ELNS1_3repE0EEENS1_30default_config_static_selectorELNS0_4arch9wavefront6targetE0EEEvT1_.kd
    .uniform_work_group_size: 1
    .uses_dynamic_stack: false
    .vgpr_count:     0
    .vgpr_spill_count: 0
    .wavefront_size: 32
    .workgroup_processor_mode: 1
  - .args:
      - .offset:         0
        .size:           144
        .value_kind:     by_value
    .group_segment_fixed_size: 0
    .kernarg_segment_align: 8
    .kernarg_segment_size: 144
    .language:       OpenCL C
    .language_version:
      - 2
      - 0
    .max_flat_workgroup_size: 256
    .name:           _ZN7rocprim17ROCPRIM_400000_NS6detail17trampoline_kernelINS0_14default_configENS1_25partition_config_selectorILNS1_17partition_subalgoE5EsNS0_10empty_typeEbEEZZNS1_14partition_implILS5_5ELb0ES3_mN6thrust23THRUST_200600_302600_NS6detail15normal_iteratorINSA_10device_ptrIsEEEEPS6_NSA_18transform_iteratorINSB_9not_fun_tI7is_trueIsEEENSC_INSD_IbEEEENSA_11use_defaultESO_EENS0_5tupleIJNSA_16discard_iteratorISO_EES6_EEENSQ_IJSG_SG_EEES6_PlJS6_EEE10hipError_tPvRmT3_T4_T5_T6_T7_T9_mT8_P12ihipStream_tbDpT10_ENKUlT_T0_E_clISt17integral_constantIbLb1EES1F_EEDaS1A_S1B_EUlS1A_E_NS1_11comp_targetILNS1_3genE10ELNS1_11target_archE1200ELNS1_3gpuE4ELNS1_3repE0EEENS1_30default_config_static_selectorELNS0_4arch9wavefront6targetE0EEEvT1_
    .private_segment_fixed_size: 0
    .sgpr_count:     0
    .sgpr_spill_count: 0
    .symbol:         _ZN7rocprim17ROCPRIM_400000_NS6detail17trampoline_kernelINS0_14default_configENS1_25partition_config_selectorILNS1_17partition_subalgoE5EsNS0_10empty_typeEbEEZZNS1_14partition_implILS5_5ELb0ES3_mN6thrust23THRUST_200600_302600_NS6detail15normal_iteratorINSA_10device_ptrIsEEEEPS6_NSA_18transform_iteratorINSB_9not_fun_tI7is_trueIsEEENSC_INSD_IbEEEENSA_11use_defaultESO_EENS0_5tupleIJNSA_16discard_iteratorISO_EES6_EEENSQ_IJSG_SG_EEES6_PlJS6_EEE10hipError_tPvRmT3_T4_T5_T6_T7_T9_mT8_P12ihipStream_tbDpT10_ENKUlT_T0_E_clISt17integral_constantIbLb1EES1F_EEDaS1A_S1B_EUlS1A_E_NS1_11comp_targetILNS1_3genE10ELNS1_11target_archE1200ELNS1_3gpuE4ELNS1_3repE0EEENS1_30default_config_static_selectorELNS0_4arch9wavefront6targetE0EEEvT1_.kd
    .uniform_work_group_size: 1
    .uses_dynamic_stack: false
    .vgpr_count:     0
    .vgpr_spill_count: 0
    .wavefront_size: 32
    .workgroup_processor_mode: 1
  - .args:
      - .offset:         0
        .size:           144
        .value_kind:     by_value
    .group_segment_fixed_size: 0
    .kernarg_segment_align: 8
    .kernarg_segment_size: 144
    .language:       OpenCL C
    .language_version:
      - 2
      - 0
    .max_flat_workgroup_size: 128
    .name:           _ZN7rocprim17ROCPRIM_400000_NS6detail17trampoline_kernelINS0_14default_configENS1_25partition_config_selectorILNS1_17partition_subalgoE5EsNS0_10empty_typeEbEEZZNS1_14partition_implILS5_5ELb0ES3_mN6thrust23THRUST_200600_302600_NS6detail15normal_iteratorINSA_10device_ptrIsEEEEPS6_NSA_18transform_iteratorINSB_9not_fun_tI7is_trueIsEEENSC_INSD_IbEEEENSA_11use_defaultESO_EENS0_5tupleIJNSA_16discard_iteratorISO_EES6_EEENSQ_IJSG_SG_EEES6_PlJS6_EEE10hipError_tPvRmT3_T4_T5_T6_T7_T9_mT8_P12ihipStream_tbDpT10_ENKUlT_T0_E_clISt17integral_constantIbLb1EES1F_EEDaS1A_S1B_EUlS1A_E_NS1_11comp_targetILNS1_3genE9ELNS1_11target_archE1100ELNS1_3gpuE3ELNS1_3repE0EEENS1_30default_config_static_selectorELNS0_4arch9wavefront6targetE0EEEvT1_
    .private_segment_fixed_size: 0
    .sgpr_count:     0
    .sgpr_spill_count: 0
    .symbol:         _ZN7rocprim17ROCPRIM_400000_NS6detail17trampoline_kernelINS0_14default_configENS1_25partition_config_selectorILNS1_17partition_subalgoE5EsNS0_10empty_typeEbEEZZNS1_14partition_implILS5_5ELb0ES3_mN6thrust23THRUST_200600_302600_NS6detail15normal_iteratorINSA_10device_ptrIsEEEEPS6_NSA_18transform_iteratorINSB_9not_fun_tI7is_trueIsEEENSC_INSD_IbEEEENSA_11use_defaultESO_EENS0_5tupleIJNSA_16discard_iteratorISO_EES6_EEENSQ_IJSG_SG_EEES6_PlJS6_EEE10hipError_tPvRmT3_T4_T5_T6_T7_T9_mT8_P12ihipStream_tbDpT10_ENKUlT_T0_E_clISt17integral_constantIbLb1EES1F_EEDaS1A_S1B_EUlS1A_E_NS1_11comp_targetILNS1_3genE9ELNS1_11target_archE1100ELNS1_3gpuE3ELNS1_3repE0EEENS1_30default_config_static_selectorELNS0_4arch9wavefront6targetE0EEEvT1_.kd
    .uniform_work_group_size: 1
    .uses_dynamic_stack: false
    .vgpr_count:     0
    .vgpr_spill_count: 0
    .wavefront_size: 32
    .workgroup_processor_mode: 1
  - .args:
      - .offset:         0
        .size:           144
        .value_kind:     by_value
    .group_segment_fixed_size: 0
    .kernarg_segment_align: 8
    .kernarg_segment_size: 144
    .language:       OpenCL C
    .language_version:
      - 2
      - 0
    .max_flat_workgroup_size: 256
    .name:           _ZN7rocprim17ROCPRIM_400000_NS6detail17trampoline_kernelINS0_14default_configENS1_25partition_config_selectorILNS1_17partition_subalgoE5EsNS0_10empty_typeEbEEZZNS1_14partition_implILS5_5ELb0ES3_mN6thrust23THRUST_200600_302600_NS6detail15normal_iteratorINSA_10device_ptrIsEEEEPS6_NSA_18transform_iteratorINSB_9not_fun_tI7is_trueIsEEENSC_INSD_IbEEEENSA_11use_defaultESO_EENS0_5tupleIJNSA_16discard_iteratorISO_EES6_EEENSQ_IJSG_SG_EEES6_PlJS6_EEE10hipError_tPvRmT3_T4_T5_T6_T7_T9_mT8_P12ihipStream_tbDpT10_ENKUlT_T0_E_clISt17integral_constantIbLb1EES1F_EEDaS1A_S1B_EUlS1A_E_NS1_11comp_targetILNS1_3genE8ELNS1_11target_archE1030ELNS1_3gpuE2ELNS1_3repE0EEENS1_30default_config_static_selectorELNS0_4arch9wavefront6targetE0EEEvT1_
    .private_segment_fixed_size: 0
    .sgpr_count:     0
    .sgpr_spill_count: 0
    .symbol:         _ZN7rocprim17ROCPRIM_400000_NS6detail17trampoline_kernelINS0_14default_configENS1_25partition_config_selectorILNS1_17partition_subalgoE5EsNS0_10empty_typeEbEEZZNS1_14partition_implILS5_5ELb0ES3_mN6thrust23THRUST_200600_302600_NS6detail15normal_iteratorINSA_10device_ptrIsEEEEPS6_NSA_18transform_iteratorINSB_9not_fun_tI7is_trueIsEEENSC_INSD_IbEEEENSA_11use_defaultESO_EENS0_5tupleIJNSA_16discard_iteratorISO_EES6_EEENSQ_IJSG_SG_EEES6_PlJS6_EEE10hipError_tPvRmT3_T4_T5_T6_T7_T9_mT8_P12ihipStream_tbDpT10_ENKUlT_T0_E_clISt17integral_constantIbLb1EES1F_EEDaS1A_S1B_EUlS1A_E_NS1_11comp_targetILNS1_3genE8ELNS1_11target_archE1030ELNS1_3gpuE2ELNS1_3repE0EEENS1_30default_config_static_selectorELNS0_4arch9wavefront6targetE0EEEvT1_.kd
    .uniform_work_group_size: 1
    .uses_dynamic_stack: false
    .vgpr_count:     0
    .vgpr_spill_count: 0
    .wavefront_size: 32
    .workgroup_processor_mode: 1
  - .args:
      - .offset:         0
        .size:           128
        .value_kind:     by_value
    .group_segment_fixed_size: 0
    .kernarg_segment_align: 8
    .kernarg_segment_size: 128
    .language:       OpenCL C
    .language_version:
      - 2
      - 0
    .max_flat_workgroup_size: 256
    .name:           _ZN7rocprim17ROCPRIM_400000_NS6detail17trampoline_kernelINS0_14default_configENS1_25partition_config_selectorILNS1_17partition_subalgoE5EsNS0_10empty_typeEbEEZZNS1_14partition_implILS5_5ELb0ES3_mN6thrust23THRUST_200600_302600_NS6detail15normal_iteratorINSA_10device_ptrIsEEEEPS6_NSA_18transform_iteratorINSB_9not_fun_tI7is_trueIsEEENSC_INSD_IbEEEENSA_11use_defaultESO_EENS0_5tupleIJNSA_16discard_iteratorISO_EES6_EEENSQ_IJSG_SG_EEES6_PlJS6_EEE10hipError_tPvRmT3_T4_T5_T6_T7_T9_mT8_P12ihipStream_tbDpT10_ENKUlT_T0_E_clISt17integral_constantIbLb1EES1E_IbLb0EEEEDaS1A_S1B_EUlS1A_E_NS1_11comp_targetILNS1_3genE0ELNS1_11target_archE4294967295ELNS1_3gpuE0ELNS1_3repE0EEENS1_30default_config_static_selectorELNS0_4arch9wavefront6targetE0EEEvT1_
    .private_segment_fixed_size: 0
    .sgpr_count:     0
    .sgpr_spill_count: 0
    .symbol:         _ZN7rocprim17ROCPRIM_400000_NS6detail17trampoline_kernelINS0_14default_configENS1_25partition_config_selectorILNS1_17partition_subalgoE5EsNS0_10empty_typeEbEEZZNS1_14partition_implILS5_5ELb0ES3_mN6thrust23THRUST_200600_302600_NS6detail15normal_iteratorINSA_10device_ptrIsEEEEPS6_NSA_18transform_iteratorINSB_9not_fun_tI7is_trueIsEEENSC_INSD_IbEEEENSA_11use_defaultESO_EENS0_5tupleIJNSA_16discard_iteratorISO_EES6_EEENSQ_IJSG_SG_EEES6_PlJS6_EEE10hipError_tPvRmT3_T4_T5_T6_T7_T9_mT8_P12ihipStream_tbDpT10_ENKUlT_T0_E_clISt17integral_constantIbLb1EES1E_IbLb0EEEEDaS1A_S1B_EUlS1A_E_NS1_11comp_targetILNS1_3genE0ELNS1_11target_archE4294967295ELNS1_3gpuE0ELNS1_3repE0EEENS1_30default_config_static_selectorELNS0_4arch9wavefront6targetE0EEEvT1_.kd
    .uniform_work_group_size: 1
    .uses_dynamic_stack: false
    .vgpr_count:     0
    .vgpr_spill_count: 0
    .wavefront_size: 32
    .workgroup_processor_mode: 1
  - .args:
      - .offset:         0
        .size:           128
        .value_kind:     by_value
    .group_segment_fixed_size: 0
    .kernarg_segment_align: 8
    .kernarg_segment_size: 128
    .language:       OpenCL C
    .language_version:
      - 2
      - 0
    .max_flat_workgroup_size: 512
    .name:           _ZN7rocprim17ROCPRIM_400000_NS6detail17trampoline_kernelINS0_14default_configENS1_25partition_config_selectorILNS1_17partition_subalgoE5EsNS0_10empty_typeEbEEZZNS1_14partition_implILS5_5ELb0ES3_mN6thrust23THRUST_200600_302600_NS6detail15normal_iteratorINSA_10device_ptrIsEEEEPS6_NSA_18transform_iteratorINSB_9not_fun_tI7is_trueIsEEENSC_INSD_IbEEEENSA_11use_defaultESO_EENS0_5tupleIJNSA_16discard_iteratorISO_EES6_EEENSQ_IJSG_SG_EEES6_PlJS6_EEE10hipError_tPvRmT3_T4_T5_T6_T7_T9_mT8_P12ihipStream_tbDpT10_ENKUlT_T0_E_clISt17integral_constantIbLb1EES1E_IbLb0EEEEDaS1A_S1B_EUlS1A_E_NS1_11comp_targetILNS1_3genE5ELNS1_11target_archE942ELNS1_3gpuE9ELNS1_3repE0EEENS1_30default_config_static_selectorELNS0_4arch9wavefront6targetE0EEEvT1_
    .private_segment_fixed_size: 0
    .sgpr_count:     0
    .sgpr_spill_count: 0
    .symbol:         _ZN7rocprim17ROCPRIM_400000_NS6detail17trampoline_kernelINS0_14default_configENS1_25partition_config_selectorILNS1_17partition_subalgoE5EsNS0_10empty_typeEbEEZZNS1_14partition_implILS5_5ELb0ES3_mN6thrust23THRUST_200600_302600_NS6detail15normal_iteratorINSA_10device_ptrIsEEEEPS6_NSA_18transform_iteratorINSB_9not_fun_tI7is_trueIsEEENSC_INSD_IbEEEENSA_11use_defaultESO_EENS0_5tupleIJNSA_16discard_iteratorISO_EES6_EEENSQ_IJSG_SG_EEES6_PlJS6_EEE10hipError_tPvRmT3_T4_T5_T6_T7_T9_mT8_P12ihipStream_tbDpT10_ENKUlT_T0_E_clISt17integral_constantIbLb1EES1E_IbLb0EEEEDaS1A_S1B_EUlS1A_E_NS1_11comp_targetILNS1_3genE5ELNS1_11target_archE942ELNS1_3gpuE9ELNS1_3repE0EEENS1_30default_config_static_selectorELNS0_4arch9wavefront6targetE0EEEvT1_.kd
    .uniform_work_group_size: 1
    .uses_dynamic_stack: false
    .vgpr_count:     0
    .vgpr_spill_count: 0
    .wavefront_size: 32
    .workgroup_processor_mode: 1
  - .args:
      - .offset:         0
        .size:           128
        .value_kind:     by_value
    .group_segment_fixed_size: 0
    .kernarg_segment_align: 8
    .kernarg_segment_size: 128
    .language:       OpenCL C
    .language_version:
      - 2
      - 0
    .max_flat_workgroup_size: 256
    .name:           _ZN7rocprim17ROCPRIM_400000_NS6detail17trampoline_kernelINS0_14default_configENS1_25partition_config_selectorILNS1_17partition_subalgoE5EsNS0_10empty_typeEbEEZZNS1_14partition_implILS5_5ELb0ES3_mN6thrust23THRUST_200600_302600_NS6detail15normal_iteratorINSA_10device_ptrIsEEEEPS6_NSA_18transform_iteratorINSB_9not_fun_tI7is_trueIsEEENSC_INSD_IbEEEENSA_11use_defaultESO_EENS0_5tupleIJNSA_16discard_iteratorISO_EES6_EEENSQ_IJSG_SG_EEES6_PlJS6_EEE10hipError_tPvRmT3_T4_T5_T6_T7_T9_mT8_P12ihipStream_tbDpT10_ENKUlT_T0_E_clISt17integral_constantIbLb1EES1E_IbLb0EEEEDaS1A_S1B_EUlS1A_E_NS1_11comp_targetILNS1_3genE4ELNS1_11target_archE910ELNS1_3gpuE8ELNS1_3repE0EEENS1_30default_config_static_selectorELNS0_4arch9wavefront6targetE0EEEvT1_
    .private_segment_fixed_size: 0
    .sgpr_count:     0
    .sgpr_spill_count: 0
    .symbol:         _ZN7rocprim17ROCPRIM_400000_NS6detail17trampoline_kernelINS0_14default_configENS1_25partition_config_selectorILNS1_17partition_subalgoE5EsNS0_10empty_typeEbEEZZNS1_14partition_implILS5_5ELb0ES3_mN6thrust23THRUST_200600_302600_NS6detail15normal_iteratorINSA_10device_ptrIsEEEEPS6_NSA_18transform_iteratorINSB_9not_fun_tI7is_trueIsEEENSC_INSD_IbEEEENSA_11use_defaultESO_EENS0_5tupleIJNSA_16discard_iteratorISO_EES6_EEENSQ_IJSG_SG_EEES6_PlJS6_EEE10hipError_tPvRmT3_T4_T5_T6_T7_T9_mT8_P12ihipStream_tbDpT10_ENKUlT_T0_E_clISt17integral_constantIbLb1EES1E_IbLb0EEEEDaS1A_S1B_EUlS1A_E_NS1_11comp_targetILNS1_3genE4ELNS1_11target_archE910ELNS1_3gpuE8ELNS1_3repE0EEENS1_30default_config_static_selectorELNS0_4arch9wavefront6targetE0EEEvT1_.kd
    .uniform_work_group_size: 1
    .uses_dynamic_stack: false
    .vgpr_count:     0
    .vgpr_spill_count: 0
    .wavefront_size: 32
    .workgroup_processor_mode: 1
  - .args:
      - .offset:         0
        .size:           128
        .value_kind:     by_value
    .group_segment_fixed_size: 0
    .kernarg_segment_align: 8
    .kernarg_segment_size: 128
    .language:       OpenCL C
    .language_version:
      - 2
      - 0
    .max_flat_workgroup_size: 256
    .name:           _ZN7rocprim17ROCPRIM_400000_NS6detail17trampoline_kernelINS0_14default_configENS1_25partition_config_selectorILNS1_17partition_subalgoE5EsNS0_10empty_typeEbEEZZNS1_14partition_implILS5_5ELb0ES3_mN6thrust23THRUST_200600_302600_NS6detail15normal_iteratorINSA_10device_ptrIsEEEEPS6_NSA_18transform_iteratorINSB_9not_fun_tI7is_trueIsEEENSC_INSD_IbEEEENSA_11use_defaultESO_EENS0_5tupleIJNSA_16discard_iteratorISO_EES6_EEENSQ_IJSG_SG_EEES6_PlJS6_EEE10hipError_tPvRmT3_T4_T5_T6_T7_T9_mT8_P12ihipStream_tbDpT10_ENKUlT_T0_E_clISt17integral_constantIbLb1EES1E_IbLb0EEEEDaS1A_S1B_EUlS1A_E_NS1_11comp_targetILNS1_3genE3ELNS1_11target_archE908ELNS1_3gpuE7ELNS1_3repE0EEENS1_30default_config_static_selectorELNS0_4arch9wavefront6targetE0EEEvT1_
    .private_segment_fixed_size: 0
    .sgpr_count:     0
    .sgpr_spill_count: 0
    .symbol:         _ZN7rocprim17ROCPRIM_400000_NS6detail17trampoline_kernelINS0_14default_configENS1_25partition_config_selectorILNS1_17partition_subalgoE5EsNS0_10empty_typeEbEEZZNS1_14partition_implILS5_5ELb0ES3_mN6thrust23THRUST_200600_302600_NS6detail15normal_iteratorINSA_10device_ptrIsEEEEPS6_NSA_18transform_iteratorINSB_9not_fun_tI7is_trueIsEEENSC_INSD_IbEEEENSA_11use_defaultESO_EENS0_5tupleIJNSA_16discard_iteratorISO_EES6_EEENSQ_IJSG_SG_EEES6_PlJS6_EEE10hipError_tPvRmT3_T4_T5_T6_T7_T9_mT8_P12ihipStream_tbDpT10_ENKUlT_T0_E_clISt17integral_constantIbLb1EES1E_IbLb0EEEEDaS1A_S1B_EUlS1A_E_NS1_11comp_targetILNS1_3genE3ELNS1_11target_archE908ELNS1_3gpuE7ELNS1_3repE0EEENS1_30default_config_static_selectorELNS0_4arch9wavefront6targetE0EEEvT1_.kd
    .uniform_work_group_size: 1
    .uses_dynamic_stack: false
    .vgpr_count:     0
    .vgpr_spill_count: 0
    .wavefront_size: 32
    .workgroup_processor_mode: 1
  - .args:
      - .offset:         0
        .size:           128
        .value_kind:     by_value
    .group_segment_fixed_size: 0
    .kernarg_segment_align: 8
    .kernarg_segment_size: 128
    .language:       OpenCL C
    .language_version:
      - 2
      - 0
    .max_flat_workgroup_size: 256
    .name:           _ZN7rocprim17ROCPRIM_400000_NS6detail17trampoline_kernelINS0_14default_configENS1_25partition_config_selectorILNS1_17partition_subalgoE5EsNS0_10empty_typeEbEEZZNS1_14partition_implILS5_5ELb0ES3_mN6thrust23THRUST_200600_302600_NS6detail15normal_iteratorINSA_10device_ptrIsEEEEPS6_NSA_18transform_iteratorINSB_9not_fun_tI7is_trueIsEEENSC_INSD_IbEEEENSA_11use_defaultESO_EENS0_5tupleIJNSA_16discard_iteratorISO_EES6_EEENSQ_IJSG_SG_EEES6_PlJS6_EEE10hipError_tPvRmT3_T4_T5_T6_T7_T9_mT8_P12ihipStream_tbDpT10_ENKUlT_T0_E_clISt17integral_constantIbLb1EES1E_IbLb0EEEEDaS1A_S1B_EUlS1A_E_NS1_11comp_targetILNS1_3genE2ELNS1_11target_archE906ELNS1_3gpuE6ELNS1_3repE0EEENS1_30default_config_static_selectorELNS0_4arch9wavefront6targetE0EEEvT1_
    .private_segment_fixed_size: 0
    .sgpr_count:     0
    .sgpr_spill_count: 0
    .symbol:         _ZN7rocprim17ROCPRIM_400000_NS6detail17trampoline_kernelINS0_14default_configENS1_25partition_config_selectorILNS1_17partition_subalgoE5EsNS0_10empty_typeEbEEZZNS1_14partition_implILS5_5ELb0ES3_mN6thrust23THRUST_200600_302600_NS6detail15normal_iteratorINSA_10device_ptrIsEEEEPS6_NSA_18transform_iteratorINSB_9not_fun_tI7is_trueIsEEENSC_INSD_IbEEEENSA_11use_defaultESO_EENS0_5tupleIJNSA_16discard_iteratorISO_EES6_EEENSQ_IJSG_SG_EEES6_PlJS6_EEE10hipError_tPvRmT3_T4_T5_T6_T7_T9_mT8_P12ihipStream_tbDpT10_ENKUlT_T0_E_clISt17integral_constantIbLb1EES1E_IbLb0EEEEDaS1A_S1B_EUlS1A_E_NS1_11comp_targetILNS1_3genE2ELNS1_11target_archE906ELNS1_3gpuE6ELNS1_3repE0EEENS1_30default_config_static_selectorELNS0_4arch9wavefront6targetE0EEEvT1_.kd
    .uniform_work_group_size: 1
    .uses_dynamic_stack: false
    .vgpr_count:     0
    .vgpr_spill_count: 0
    .wavefront_size: 32
    .workgroup_processor_mode: 1
  - .args:
      - .offset:         0
        .size:           128
        .value_kind:     by_value
    .group_segment_fixed_size: 0
    .kernarg_segment_align: 8
    .kernarg_segment_size: 128
    .language:       OpenCL C
    .language_version:
      - 2
      - 0
    .max_flat_workgroup_size: 256
    .name:           _ZN7rocprim17ROCPRIM_400000_NS6detail17trampoline_kernelINS0_14default_configENS1_25partition_config_selectorILNS1_17partition_subalgoE5EsNS0_10empty_typeEbEEZZNS1_14partition_implILS5_5ELb0ES3_mN6thrust23THRUST_200600_302600_NS6detail15normal_iteratorINSA_10device_ptrIsEEEEPS6_NSA_18transform_iteratorINSB_9not_fun_tI7is_trueIsEEENSC_INSD_IbEEEENSA_11use_defaultESO_EENS0_5tupleIJNSA_16discard_iteratorISO_EES6_EEENSQ_IJSG_SG_EEES6_PlJS6_EEE10hipError_tPvRmT3_T4_T5_T6_T7_T9_mT8_P12ihipStream_tbDpT10_ENKUlT_T0_E_clISt17integral_constantIbLb1EES1E_IbLb0EEEEDaS1A_S1B_EUlS1A_E_NS1_11comp_targetILNS1_3genE10ELNS1_11target_archE1200ELNS1_3gpuE4ELNS1_3repE0EEENS1_30default_config_static_selectorELNS0_4arch9wavefront6targetE0EEEvT1_
    .private_segment_fixed_size: 0
    .sgpr_count:     0
    .sgpr_spill_count: 0
    .symbol:         _ZN7rocprim17ROCPRIM_400000_NS6detail17trampoline_kernelINS0_14default_configENS1_25partition_config_selectorILNS1_17partition_subalgoE5EsNS0_10empty_typeEbEEZZNS1_14partition_implILS5_5ELb0ES3_mN6thrust23THRUST_200600_302600_NS6detail15normal_iteratorINSA_10device_ptrIsEEEEPS6_NSA_18transform_iteratorINSB_9not_fun_tI7is_trueIsEEENSC_INSD_IbEEEENSA_11use_defaultESO_EENS0_5tupleIJNSA_16discard_iteratorISO_EES6_EEENSQ_IJSG_SG_EEES6_PlJS6_EEE10hipError_tPvRmT3_T4_T5_T6_T7_T9_mT8_P12ihipStream_tbDpT10_ENKUlT_T0_E_clISt17integral_constantIbLb1EES1E_IbLb0EEEEDaS1A_S1B_EUlS1A_E_NS1_11comp_targetILNS1_3genE10ELNS1_11target_archE1200ELNS1_3gpuE4ELNS1_3repE0EEENS1_30default_config_static_selectorELNS0_4arch9wavefront6targetE0EEEvT1_.kd
    .uniform_work_group_size: 1
    .uses_dynamic_stack: false
    .vgpr_count:     0
    .vgpr_spill_count: 0
    .wavefront_size: 32
    .workgroup_processor_mode: 1
  - .args:
      - .offset:         0
        .size:           128
        .value_kind:     by_value
    .group_segment_fixed_size: 0
    .kernarg_segment_align: 8
    .kernarg_segment_size: 128
    .language:       OpenCL C
    .language_version:
      - 2
      - 0
    .max_flat_workgroup_size: 128
    .name:           _ZN7rocprim17ROCPRIM_400000_NS6detail17trampoline_kernelINS0_14default_configENS1_25partition_config_selectorILNS1_17partition_subalgoE5EsNS0_10empty_typeEbEEZZNS1_14partition_implILS5_5ELb0ES3_mN6thrust23THRUST_200600_302600_NS6detail15normal_iteratorINSA_10device_ptrIsEEEEPS6_NSA_18transform_iteratorINSB_9not_fun_tI7is_trueIsEEENSC_INSD_IbEEEENSA_11use_defaultESO_EENS0_5tupleIJNSA_16discard_iteratorISO_EES6_EEENSQ_IJSG_SG_EEES6_PlJS6_EEE10hipError_tPvRmT3_T4_T5_T6_T7_T9_mT8_P12ihipStream_tbDpT10_ENKUlT_T0_E_clISt17integral_constantIbLb1EES1E_IbLb0EEEEDaS1A_S1B_EUlS1A_E_NS1_11comp_targetILNS1_3genE9ELNS1_11target_archE1100ELNS1_3gpuE3ELNS1_3repE0EEENS1_30default_config_static_selectorELNS0_4arch9wavefront6targetE0EEEvT1_
    .private_segment_fixed_size: 0
    .sgpr_count:     0
    .sgpr_spill_count: 0
    .symbol:         _ZN7rocprim17ROCPRIM_400000_NS6detail17trampoline_kernelINS0_14default_configENS1_25partition_config_selectorILNS1_17partition_subalgoE5EsNS0_10empty_typeEbEEZZNS1_14partition_implILS5_5ELb0ES3_mN6thrust23THRUST_200600_302600_NS6detail15normal_iteratorINSA_10device_ptrIsEEEEPS6_NSA_18transform_iteratorINSB_9not_fun_tI7is_trueIsEEENSC_INSD_IbEEEENSA_11use_defaultESO_EENS0_5tupleIJNSA_16discard_iteratorISO_EES6_EEENSQ_IJSG_SG_EEES6_PlJS6_EEE10hipError_tPvRmT3_T4_T5_T6_T7_T9_mT8_P12ihipStream_tbDpT10_ENKUlT_T0_E_clISt17integral_constantIbLb1EES1E_IbLb0EEEEDaS1A_S1B_EUlS1A_E_NS1_11comp_targetILNS1_3genE9ELNS1_11target_archE1100ELNS1_3gpuE3ELNS1_3repE0EEENS1_30default_config_static_selectorELNS0_4arch9wavefront6targetE0EEEvT1_.kd
    .uniform_work_group_size: 1
    .uses_dynamic_stack: false
    .vgpr_count:     0
    .vgpr_spill_count: 0
    .wavefront_size: 32
    .workgroup_processor_mode: 1
  - .args:
      - .offset:         0
        .size:           128
        .value_kind:     by_value
    .group_segment_fixed_size: 0
    .kernarg_segment_align: 8
    .kernarg_segment_size: 128
    .language:       OpenCL C
    .language_version:
      - 2
      - 0
    .max_flat_workgroup_size: 256
    .name:           _ZN7rocprim17ROCPRIM_400000_NS6detail17trampoline_kernelINS0_14default_configENS1_25partition_config_selectorILNS1_17partition_subalgoE5EsNS0_10empty_typeEbEEZZNS1_14partition_implILS5_5ELb0ES3_mN6thrust23THRUST_200600_302600_NS6detail15normal_iteratorINSA_10device_ptrIsEEEEPS6_NSA_18transform_iteratorINSB_9not_fun_tI7is_trueIsEEENSC_INSD_IbEEEENSA_11use_defaultESO_EENS0_5tupleIJNSA_16discard_iteratorISO_EES6_EEENSQ_IJSG_SG_EEES6_PlJS6_EEE10hipError_tPvRmT3_T4_T5_T6_T7_T9_mT8_P12ihipStream_tbDpT10_ENKUlT_T0_E_clISt17integral_constantIbLb1EES1E_IbLb0EEEEDaS1A_S1B_EUlS1A_E_NS1_11comp_targetILNS1_3genE8ELNS1_11target_archE1030ELNS1_3gpuE2ELNS1_3repE0EEENS1_30default_config_static_selectorELNS0_4arch9wavefront6targetE0EEEvT1_
    .private_segment_fixed_size: 0
    .sgpr_count:     0
    .sgpr_spill_count: 0
    .symbol:         _ZN7rocprim17ROCPRIM_400000_NS6detail17trampoline_kernelINS0_14default_configENS1_25partition_config_selectorILNS1_17partition_subalgoE5EsNS0_10empty_typeEbEEZZNS1_14partition_implILS5_5ELb0ES3_mN6thrust23THRUST_200600_302600_NS6detail15normal_iteratorINSA_10device_ptrIsEEEEPS6_NSA_18transform_iteratorINSB_9not_fun_tI7is_trueIsEEENSC_INSD_IbEEEENSA_11use_defaultESO_EENS0_5tupleIJNSA_16discard_iteratorISO_EES6_EEENSQ_IJSG_SG_EEES6_PlJS6_EEE10hipError_tPvRmT3_T4_T5_T6_T7_T9_mT8_P12ihipStream_tbDpT10_ENKUlT_T0_E_clISt17integral_constantIbLb1EES1E_IbLb0EEEEDaS1A_S1B_EUlS1A_E_NS1_11comp_targetILNS1_3genE8ELNS1_11target_archE1030ELNS1_3gpuE2ELNS1_3repE0EEENS1_30default_config_static_selectorELNS0_4arch9wavefront6targetE0EEEvT1_.kd
    .uniform_work_group_size: 1
    .uses_dynamic_stack: false
    .vgpr_count:     0
    .vgpr_spill_count: 0
    .wavefront_size: 32
    .workgroup_processor_mode: 1
  - .args:
      - .offset:         0
        .size:           144
        .value_kind:     by_value
    .group_segment_fixed_size: 0
    .kernarg_segment_align: 8
    .kernarg_segment_size: 144
    .language:       OpenCL C
    .language_version:
      - 2
      - 0
    .max_flat_workgroup_size: 256
    .name:           _ZN7rocprim17ROCPRIM_400000_NS6detail17trampoline_kernelINS0_14default_configENS1_25partition_config_selectorILNS1_17partition_subalgoE5EsNS0_10empty_typeEbEEZZNS1_14partition_implILS5_5ELb0ES3_mN6thrust23THRUST_200600_302600_NS6detail15normal_iteratorINSA_10device_ptrIsEEEEPS6_NSA_18transform_iteratorINSB_9not_fun_tI7is_trueIsEEENSC_INSD_IbEEEENSA_11use_defaultESO_EENS0_5tupleIJNSA_16discard_iteratorISO_EES6_EEENSQ_IJSG_SG_EEES6_PlJS6_EEE10hipError_tPvRmT3_T4_T5_T6_T7_T9_mT8_P12ihipStream_tbDpT10_ENKUlT_T0_E_clISt17integral_constantIbLb0EES1E_IbLb1EEEEDaS1A_S1B_EUlS1A_E_NS1_11comp_targetILNS1_3genE0ELNS1_11target_archE4294967295ELNS1_3gpuE0ELNS1_3repE0EEENS1_30default_config_static_selectorELNS0_4arch9wavefront6targetE0EEEvT1_
    .private_segment_fixed_size: 0
    .sgpr_count:     0
    .sgpr_spill_count: 0
    .symbol:         _ZN7rocprim17ROCPRIM_400000_NS6detail17trampoline_kernelINS0_14default_configENS1_25partition_config_selectorILNS1_17partition_subalgoE5EsNS0_10empty_typeEbEEZZNS1_14partition_implILS5_5ELb0ES3_mN6thrust23THRUST_200600_302600_NS6detail15normal_iteratorINSA_10device_ptrIsEEEEPS6_NSA_18transform_iteratorINSB_9not_fun_tI7is_trueIsEEENSC_INSD_IbEEEENSA_11use_defaultESO_EENS0_5tupleIJNSA_16discard_iteratorISO_EES6_EEENSQ_IJSG_SG_EEES6_PlJS6_EEE10hipError_tPvRmT3_T4_T5_T6_T7_T9_mT8_P12ihipStream_tbDpT10_ENKUlT_T0_E_clISt17integral_constantIbLb0EES1E_IbLb1EEEEDaS1A_S1B_EUlS1A_E_NS1_11comp_targetILNS1_3genE0ELNS1_11target_archE4294967295ELNS1_3gpuE0ELNS1_3repE0EEENS1_30default_config_static_selectorELNS0_4arch9wavefront6targetE0EEEvT1_.kd
    .uniform_work_group_size: 1
    .uses_dynamic_stack: false
    .vgpr_count:     0
    .vgpr_spill_count: 0
    .wavefront_size: 32
    .workgroup_processor_mode: 1
  - .args:
      - .offset:         0
        .size:           144
        .value_kind:     by_value
    .group_segment_fixed_size: 0
    .kernarg_segment_align: 8
    .kernarg_segment_size: 144
    .language:       OpenCL C
    .language_version:
      - 2
      - 0
    .max_flat_workgroup_size: 512
    .name:           _ZN7rocprim17ROCPRIM_400000_NS6detail17trampoline_kernelINS0_14default_configENS1_25partition_config_selectorILNS1_17partition_subalgoE5EsNS0_10empty_typeEbEEZZNS1_14partition_implILS5_5ELb0ES3_mN6thrust23THRUST_200600_302600_NS6detail15normal_iteratorINSA_10device_ptrIsEEEEPS6_NSA_18transform_iteratorINSB_9not_fun_tI7is_trueIsEEENSC_INSD_IbEEEENSA_11use_defaultESO_EENS0_5tupleIJNSA_16discard_iteratorISO_EES6_EEENSQ_IJSG_SG_EEES6_PlJS6_EEE10hipError_tPvRmT3_T4_T5_T6_T7_T9_mT8_P12ihipStream_tbDpT10_ENKUlT_T0_E_clISt17integral_constantIbLb0EES1E_IbLb1EEEEDaS1A_S1B_EUlS1A_E_NS1_11comp_targetILNS1_3genE5ELNS1_11target_archE942ELNS1_3gpuE9ELNS1_3repE0EEENS1_30default_config_static_selectorELNS0_4arch9wavefront6targetE0EEEvT1_
    .private_segment_fixed_size: 0
    .sgpr_count:     0
    .sgpr_spill_count: 0
    .symbol:         _ZN7rocprim17ROCPRIM_400000_NS6detail17trampoline_kernelINS0_14default_configENS1_25partition_config_selectorILNS1_17partition_subalgoE5EsNS0_10empty_typeEbEEZZNS1_14partition_implILS5_5ELb0ES3_mN6thrust23THRUST_200600_302600_NS6detail15normal_iteratorINSA_10device_ptrIsEEEEPS6_NSA_18transform_iteratorINSB_9not_fun_tI7is_trueIsEEENSC_INSD_IbEEEENSA_11use_defaultESO_EENS0_5tupleIJNSA_16discard_iteratorISO_EES6_EEENSQ_IJSG_SG_EEES6_PlJS6_EEE10hipError_tPvRmT3_T4_T5_T6_T7_T9_mT8_P12ihipStream_tbDpT10_ENKUlT_T0_E_clISt17integral_constantIbLb0EES1E_IbLb1EEEEDaS1A_S1B_EUlS1A_E_NS1_11comp_targetILNS1_3genE5ELNS1_11target_archE942ELNS1_3gpuE9ELNS1_3repE0EEENS1_30default_config_static_selectorELNS0_4arch9wavefront6targetE0EEEvT1_.kd
    .uniform_work_group_size: 1
    .uses_dynamic_stack: false
    .vgpr_count:     0
    .vgpr_spill_count: 0
    .wavefront_size: 32
    .workgroup_processor_mode: 1
  - .args:
      - .offset:         0
        .size:           144
        .value_kind:     by_value
    .group_segment_fixed_size: 0
    .kernarg_segment_align: 8
    .kernarg_segment_size: 144
    .language:       OpenCL C
    .language_version:
      - 2
      - 0
    .max_flat_workgroup_size: 256
    .name:           _ZN7rocprim17ROCPRIM_400000_NS6detail17trampoline_kernelINS0_14default_configENS1_25partition_config_selectorILNS1_17partition_subalgoE5EsNS0_10empty_typeEbEEZZNS1_14partition_implILS5_5ELb0ES3_mN6thrust23THRUST_200600_302600_NS6detail15normal_iteratorINSA_10device_ptrIsEEEEPS6_NSA_18transform_iteratorINSB_9not_fun_tI7is_trueIsEEENSC_INSD_IbEEEENSA_11use_defaultESO_EENS0_5tupleIJNSA_16discard_iteratorISO_EES6_EEENSQ_IJSG_SG_EEES6_PlJS6_EEE10hipError_tPvRmT3_T4_T5_T6_T7_T9_mT8_P12ihipStream_tbDpT10_ENKUlT_T0_E_clISt17integral_constantIbLb0EES1E_IbLb1EEEEDaS1A_S1B_EUlS1A_E_NS1_11comp_targetILNS1_3genE4ELNS1_11target_archE910ELNS1_3gpuE8ELNS1_3repE0EEENS1_30default_config_static_selectorELNS0_4arch9wavefront6targetE0EEEvT1_
    .private_segment_fixed_size: 0
    .sgpr_count:     0
    .sgpr_spill_count: 0
    .symbol:         _ZN7rocprim17ROCPRIM_400000_NS6detail17trampoline_kernelINS0_14default_configENS1_25partition_config_selectorILNS1_17partition_subalgoE5EsNS0_10empty_typeEbEEZZNS1_14partition_implILS5_5ELb0ES3_mN6thrust23THRUST_200600_302600_NS6detail15normal_iteratorINSA_10device_ptrIsEEEEPS6_NSA_18transform_iteratorINSB_9not_fun_tI7is_trueIsEEENSC_INSD_IbEEEENSA_11use_defaultESO_EENS0_5tupleIJNSA_16discard_iteratorISO_EES6_EEENSQ_IJSG_SG_EEES6_PlJS6_EEE10hipError_tPvRmT3_T4_T5_T6_T7_T9_mT8_P12ihipStream_tbDpT10_ENKUlT_T0_E_clISt17integral_constantIbLb0EES1E_IbLb1EEEEDaS1A_S1B_EUlS1A_E_NS1_11comp_targetILNS1_3genE4ELNS1_11target_archE910ELNS1_3gpuE8ELNS1_3repE0EEENS1_30default_config_static_selectorELNS0_4arch9wavefront6targetE0EEEvT1_.kd
    .uniform_work_group_size: 1
    .uses_dynamic_stack: false
    .vgpr_count:     0
    .vgpr_spill_count: 0
    .wavefront_size: 32
    .workgroup_processor_mode: 1
  - .args:
      - .offset:         0
        .size:           144
        .value_kind:     by_value
    .group_segment_fixed_size: 0
    .kernarg_segment_align: 8
    .kernarg_segment_size: 144
    .language:       OpenCL C
    .language_version:
      - 2
      - 0
    .max_flat_workgroup_size: 256
    .name:           _ZN7rocprim17ROCPRIM_400000_NS6detail17trampoline_kernelINS0_14default_configENS1_25partition_config_selectorILNS1_17partition_subalgoE5EsNS0_10empty_typeEbEEZZNS1_14partition_implILS5_5ELb0ES3_mN6thrust23THRUST_200600_302600_NS6detail15normal_iteratorINSA_10device_ptrIsEEEEPS6_NSA_18transform_iteratorINSB_9not_fun_tI7is_trueIsEEENSC_INSD_IbEEEENSA_11use_defaultESO_EENS0_5tupleIJNSA_16discard_iteratorISO_EES6_EEENSQ_IJSG_SG_EEES6_PlJS6_EEE10hipError_tPvRmT3_T4_T5_T6_T7_T9_mT8_P12ihipStream_tbDpT10_ENKUlT_T0_E_clISt17integral_constantIbLb0EES1E_IbLb1EEEEDaS1A_S1B_EUlS1A_E_NS1_11comp_targetILNS1_3genE3ELNS1_11target_archE908ELNS1_3gpuE7ELNS1_3repE0EEENS1_30default_config_static_selectorELNS0_4arch9wavefront6targetE0EEEvT1_
    .private_segment_fixed_size: 0
    .sgpr_count:     0
    .sgpr_spill_count: 0
    .symbol:         _ZN7rocprim17ROCPRIM_400000_NS6detail17trampoline_kernelINS0_14default_configENS1_25partition_config_selectorILNS1_17partition_subalgoE5EsNS0_10empty_typeEbEEZZNS1_14partition_implILS5_5ELb0ES3_mN6thrust23THRUST_200600_302600_NS6detail15normal_iteratorINSA_10device_ptrIsEEEEPS6_NSA_18transform_iteratorINSB_9not_fun_tI7is_trueIsEEENSC_INSD_IbEEEENSA_11use_defaultESO_EENS0_5tupleIJNSA_16discard_iteratorISO_EES6_EEENSQ_IJSG_SG_EEES6_PlJS6_EEE10hipError_tPvRmT3_T4_T5_T6_T7_T9_mT8_P12ihipStream_tbDpT10_ENKUlT_T0_E_clISt17integral_constantIbLb0EES1E_IbLb1EEEEDaS1A_S1B_EUlS1A_E_NS1_11comp_targetILNS1_3genE3ELNS1_11target_archE908ELNS1_3gpuE7ELNS1_3repE0EEENS1_30default_config_static_selectorELNS0_4arch9wavefront6targetE0EEEvT1_.kd
    .uniform_work_group_size: 1
    .uses_dynamic_stack: false
    .vgpr_count:     0
    .vgpr_spill_count: 0
    .wavefront_size: 32
    .workgroup_processor_mode: 1
  - .args:
      - .offset:         0
        .size:           144
        .value_kind:     by_value
    .group_segment_fixed_size: 0
    .kernarg_segment_align: 8
    .kernarg_segment_size: 144
    .language:       OpenCL C
    .language_version:
      - 2
      - 0
    .max_flat_workgroup_size: 256
    .name:           _ZN7rocprim17ROCPRIM_400000_NS6detail17trampoline_kernelINS0_14default_configENS1_25partition_config_selectorILNS1_17partition_subalgoE5EsNS0_10empty_typeEbEEZZNS1_14partition_implILS5_5ELb0ES3_mN6thrust23THRUST_200600_302600_NS6detail15normal_iteratorINSA_10device_ptrIsEEEEPS6_NSA_18transform_iteratorINSB_9not_fun_tI7is_trueIsEEENSC_INSD_IbEEEENSA_11use_defaultESO_EENS0_5tupleIJNSA_16discard_iteratorISO_EES6_EEENSQ_IJSG_SG_EEES6_PlJS6_EEE10hipError_tPvRmT3_T4_T5_T6_T7_T9_mT8_P12ihipStream_tbDpT10_ENKUlT_T0_E_clISt17integral_constantIbLb0EES1E_IbLb1EEEEDaS1A_S1B_EUlS1A_E_NS1_11comp_targetILNS1_3genE2ELNS1_11target_archE906ELNS1_3gpuE6ELNS1_3repE0EEENS1_30default_config_static_selectorELNS0_4arch9wavefront6targetE0EEEvT1_
    .private_segment_fixed_size: 0
    .sgpr_count:     0
    .sgpr_spill_count: 0
    .symbol:         _ZN7rocprim17ROCPRIM_400000_NS6detail17trampoline_kernelINS0_14default_configENS1_25partition_config_selectorILNS1_17partition_subalgoE5EsNS0_10empty_typeEbEEZZNS1_14partition_implILS5_5ELb0ES3_mN6thrust23THRUST_200600_302600_NS6detail15normal_iteratorINSA_10device_ptrIsEEEEPS6_NSA_18transform_iteratorINSB_9not_fun_tI7is_trueIsEEENSC_INSD_IbEEEENSA_11use_defaultESO_EENS0_5tupleIJNSA_16discard_iteratorISO_EES6_EEENSQ_IJSG_SG_EEES6_PlJS6_EEE10hipError_tPvRmT3_T4_T5_T6_T7_T9_mT8_P12ihipStream_tbDpT10_ENKUlT_T0_E_clISt17integral_constantIbLb0EES1E_IbLb1EEEEDaS1A_S1B_EUlS1A_E_NS1_11comp_targetILNS1_3genE2ELNS1_11target_archE906ELNS1_3gpuE6ELNS1_3repE0EEENS1_30default_config_static_selectorELNS0_4arch9wavefront6targetE0EEEvT1_.kd
    .uniform_work_group_size: 1
    .uses_dynamic_stack: false
    .vgpr_count:     0
    .vgpr_spill_count: 0
    .wavefront_size: 32
    .workgroup_processor_mode: 1
  - .args:
      - .offset:         0
        .size:           144
        .value_kind:     by_value
    .group_segment_fixed_size: 6160
    .kernarg_segment_align: 8
    .kernarg_segment_size: 144
    .language:       OpenCL C
    .language_version:
      - 2
      - 0
    .max_flat_workgroup_size: 256
    .name:           _ZN7rocprim17ROCPRIM_400000_NS6detail17trampoline_kernelINS0_14default_configENS1_25partition_config_selectorILNS1_17partition_subalgoE5EsNS0_10empty_typeEbEEZZNS1_14partition_implILS5_5ELb0ES3_mN6thrust23THRUST_200600_302600_NS6detail15normal_iteratorINSA_10device_ptrIsEEEEPS6_NSA_18transform_iteratorINSB_9not_fun_tI7is_trueIsEEENSC_INSD_IbEEEENSA_11use_defaultESO_EENS0_5tupleIJNSA_16discard_iteratorISO_EES6_EEENSQ_IJSG_SG_EEES6_PlJS6_EEE10hipError_tPvRmT3_T4_T5_T6_T7_T9_mT8_P12ihipStream_tbDpT10_ENKUlT_T0_E_clISt17integral_constantIbLb0EES1E_IbLb1EEEEDaS1A_S1B_EUlS1A_E_NS1_11comp_targetILNS1_3genE10ELNS1_11target_archE1200ELNS1_3gpuE4ELNS1_3repE0EEENS1_30default_config_static_selectorELNS0_4arch9wavefront6targetE0EEEvT1_
    .private_segment_fixed_size: 0
    .sgpr_count:     24
    .sgpr_spill_count: 0
    .symbol:         _ZN7rocprim17ROCPRIM_400000_NS6detail17trampoline_kernelINS0_14default_configENS1_25partition_config_selectorILNS1_17partition_subalgoE5EsNS0_10empty_typeEbEEZZNS1_14partition_implILS5_5ELb0ES3_mN6thrust23THRUST_200600_302600_NS6detail15normal_iteratorINSA_10device_ptrIsEEEEPS6_NSA_18transform_iteratorINSB_9not_fun_tI7is_trueIsEEENSC_INSD_IbEEEENSA_11use_defaultESO_EENS0_5tupleIJNSA_16discard_iteratorISO_EES6_EEENSQ_IJSG_SG_EEES6_PlJS6_EEE10hipError_tPvRmT3_T4_T5_T6_T7_T9_mT8_P12ihipStream_tbDpT10_ENKUlT_T0_E_clISt17integral_constantIbLb0EES1E_IbLb1EEEEDaS1A_S1B_EUlS1A_E_NS1_11comp_targetILNS1_3genE10ELNS1_11target_archE1200ELNS1_3gpuE4ELNS1_3repE0EEENS1_30default_config_static_selectorELNS0_4arch9wavefront6targetE0EEEvT1_.kd
    .uniform_work_group_size: 1
    .uses_dynamic_stack: false
    .vgpr_count:     65
    .vgpr_spill_count: 0
    .wavefront_size: 32
    .workgroup_processor_mode: 1
  - .args:
      - .offset:         0
        .size:           144
        .value_kind:     by_value
    .group_segment_fixed_size: 0
    .kernarg_segment_align: 8
    .kernarg_segment_size: 144
    .language:       OpenCL C
    .language_version:
      - 2
      - 0
    .max_flat_workgroup_size: 128
    .name:           _ZN7rocprim17ROCPRIM_400000_NS6detail17trampoline_kernelINS0_14default_configENS1_25partition_config_selectorILNS1_17partition_subalgoE5EsNS0_10empty_typeEbEEZZNS1_14partition_implILS5_5ELb0ES3_mN6thrust23THRUST_200600_302600_NS6detail15normal_iteratorINSA_10device_ptrIsEEEEPS6_NSA_18transform_iteratorINSB_9not_fun_tI7is_trueIsEEENSC_INSD_IbEEEENSA_11use_defaultESO_EENS0_5tupleIJNSA_16discard_iteratorISO_EES6_EEENSQ_IJSG_SG_EEES6_PlJS6_EEE10hipError_tPvRmT3_T4_T5_T6_T7_T9_mT8_P12ihipStream_tbDpT10_ENKUlT_T0_E_clISt17integral_constantIbLb0EES1E_IbLb1EEEEDaS1A_S1B_EUlS1A_E_NS1_11comp_targetILNS1_3genE9ELNS1_11target_archE1100ELNS1_3gpuE3ELNS1_3repE0EEENS1_30default_config_static_selectorELNS0_4arch9wavefront6targetE0EEEvT1_
    .private_segment_fixed_size: 0
    .sgpr_count:     0
    .sgpr_spill_count: 0
    .symbol:         _ZN7rocprim17ROCPRIM_400000_NS6detail17trampoline_kernelINS0_14default_configENS1_25partition_config_selectorILNS1_17partition_subalgoE5EsNS0_10empty_typeEbEEZZNS1_14partition_implILS5_5ELb0ES3_mN6thrust23THRUST_200600_302600_NS6detail15normal_iteratorINSA_10device_ptrIsEEEEPS6_NSA_18transform_iteratorINSB_9not_fun_tI7is_trueIsEEENSC_INSD_IbEEEENSA_11use_defaultESO_EENS0_5tupleIJNSA_16discard_iteratorISO_EES6_EEENSQ_IJSG_SG_EEES6_PlJS6_EEE10hipError_tPvRmT3_T4_T5_T6_T7_T9_mT8_P12ihipStream_tbDpT10_ENKUlT_T0_E_clISt17integral_constantIbLb0EES1E_IbLb1EEEEDaS1A_S1B_EUlS1A_E_NS1_11comp_targetILNS1_3genE9ELNS1_11target_archE1100ELNS1_3gpuE3ELNS1_3repE0EEENS1_30default_config_static_selectorELNS0_4arch9wavefront6targetE0EEEvT1_.kd
    .uniform_work_group_size: 1
    .uses_dynamic_stack: false
    .vgpr_count:     0
    .vgpr_spill_count: 0
    .wavefront_size: 32
    .workgroup_processor_mode: 1
  - .args:
      - .offset:         0
        .size:           144
        .value_kind:     by_value
    .group_segment_fixed_size: 0
    .kernarg_segment_align: 8
    .kernarg_segment_size: 144
    .language:       OpenCL C
    .language_version:
      - 2
      - 0
    .max_flat_workgroup_size: 256
    .name:           _ZN7rocprim17ROCPRIM_400000_NS6detail17trampoline_kernelINS0_14default_configENS1_25partition_config_selectorILNS1_17partition_subalgoE5EsNS0_10empty_typeEbEEZZNS1_14partition_implILS5_5ELb0ES3_mN6thrust23THRUST_200600_302600_NS6detail15normal_iteratorINSA_10device_ptrIsEEEEPS6_NSA_18transform_iteratorINSB_9not_fun_tI7is_trueIsEEENSC_INSD_IbEEEENSA_11use_defaultESO_EENS0_5tupleIJNSA_16discard_iteratorISO_EES6_EEENSQ_IJSG_SG_EEES6_PlJS6_EEE10hipError_tPvRmT3_T4_T5_T6_T7_T9_mT8_P12ihipStream_tbDpT10_ENKUlT_T0_E_clISt17integral_constantIbLb0EES1E_IbLb1EEEEDaS1A_S1B_EUlS1A_E_NS1_11comp_targetILNS1_3genE8ELNS1_11target_archE1030ELNS1_3gpuE2ELNS1_3repE0EEENS1_30default_config_static_selectorELNS0_4arch9wavefront6targetE0EEEvT1_
    .private_segment_fixed_size: 0
    .sgpr_count:     0
    .sgpr_spill_count: 0
    .symbol:         _ZN7rocprim17ROCPRIM_400000_NS6detail17trampoline_kernelINS0_14default_configENS1_25partition_config_selectorILNS1_17partition_subalgoE5EsNS0_10empty_typeEbEEZZNS1_14partition_implILS5_5ELb0ES3_mN6thrust23THRUST_200600_302600_NS6detail15normal_iteratorINSA_10device_ptrIsEEEEPS6_NSA_18transform_iteratorINSB_9not_fun_tI7is_trueIsEEENSC_INSD_IbEEEENSA_11use_defaultESO_EENS0_5tupleIJNSA_16discard_iteratorISO_EES6_EEENSQ_IJSG_SG_EEES6_PlJS6_EEE10hipError_tPvRmT3_T4_T5_T6_T7_T9_mT8_P12ihipStream_tbDpT10_ENKUlT_T0_E_clISt17integral_constantIbLb0EES1E_IbLb1EEEEDaS1A_S1B_EUlS1A_E_NS1_11comp_targetILNS1_3genE8ELNS1_11target_archE1030ELNS1_3gpuE2ELNS1_3repE0EEENS1_30default_config_static_selectorELNS0_4arch9wavefront6targetE0EEEvT1_.kd
    .uniform_work_group_size: 1
    .uses_dynamic_stack: false
    .vgpr_count:     0
    .vgpr_spill_count: 0
    .wavefront_size: 32
    .workgroup_processor_mode: 1
  - .args:
      - .offset:         0
        .size:           120
        .value_kind:     by_value
    .group_segment_fixed_size: 0
    .kernarg_segment_align: 8
    .kernarg_segment_size: 120
    .language:       OpenCL C
    .language_version:
      - 2
      - 0
    .max_flat_workgroup_size: 256
    .name:           _ZN7rocprim17ROCPRIM_400000_NS6detail17trampoline_kernelINS0_14default_configENS1_25partition_config_selectorILNS1_17partition_subalgoE6EiNS0_10empty_typeEbEEZZNS1_14partition_implILS5_6ELb0ES3_mN6thrust23THRUST_200600_302600_NS10device_ptrIiEEPS6_SD_NS0_5tupleIJSC_S6_EEENSE_IJSD_SD_EEES6_PlJNSA_6detail9not_fun_tINSI_10functional5actorINSK_9compositeIJNSK_27transparent_binary_operatorINSA_8equal_toIvEEEENSL_INSK_8argumentILj0EEEEENSK_5valueIiEEEEEEEEEEEE10hipError_tPvRmT3_T4_T5_T6_T7_T9_mT8_P12ihipStream_tbDpT10_ENKUlT_T0_E_clISt17integral_constantIbLb0EES1I_EEDaS1D_S1E_EUlS1D_E_NS1_11comp_targetILNS1_3genE0ELNS1_11target_archE4294967295ELNS1_3gpuE0ELNS1_3repE0EEENS1_30default_config_static_selectorELNS0_4arch9wavefront6targetE0EEEvT1_
    .private_segment_fixed_size: 0
    .sgpr_count:     0
    .sgpr_spill_count: 0
    .symbol:         _ZN7rocprim17ROCPRIM_400000_NS6detail17trampoline_kernelINS0_14default_configENS1_25partition_config_selectorILNS1_17partition_subalgoE6EiNS0_10empty_typeEbEEZZNS1_14partition_implILS5_6ELb0ES3_mN6thrust23THRUST_200600_302600_NS10device_ptrIiEEPS6_SD_NS0_5tupleIJSC_S6_EEENSE_IJSD_SD_EEES6_PlJNSA_6detail9not_fun_tINSI_10functional5actorINSK_9compositeIJNSK_27transparent_binary_operatorINSA_8equal_toIvEEEENSL_INSK_8argumentILj0EEEEENSK_5valueIiEEEEEEEEEEEE10hipError_tPvRmT3_T4_T5_T6_T7_T9_mT8_P12ihipStream_tbDpT10_ENKUlT_T0_E_clISt17integral_constantIbLb0EES1I_EEDaS1D_S1E_EUlS1D_E_NS1_11comp_targetILNS1_3genE0ELNS1_11target_archE4294967295ELNS1_3gpuE0ELNS1_3repE0EEENS1_30default_config_static_selectorELNS0_4arch9wavefront6targetE0EEEvT1_.kd
    .uniform_work_group_size: 1
    .uses_dynamic_stack: false
    .vgpr_count:     0
    .vgpr_spill_count: 0
    .wavefront_size: 32
    .workgroup_processor_mode: 1
  - .args:
      - .offset:         0
        .size:           120
        .value_kind:     by_value
    .group_segment_fixed_size: 0
    .kernarg_segment_align: 8
    .kernarg_segment_size: 120
    .language:       OpenCL C
    .language_version:
      - 2
      - 0
    .max_flat_workgroup_size: 512
    .name:           _ZN7rocprim17ROCPRIM_400000_NS6detail17trampoline_kernelINS0_14default_configENS1_25partition_config_selectorILNS1_17partition_subalgoE6EiNS0_10empty_typeEbEEZZNS1_14partition_implILS5_6ELb0ES3_mN6thrust23THRUST_200600_302600_NS10device_ptrIiEEPS6_SD_NS0_5tupleIJSC_S6_EEENSE_IJSD_SD_EEES6_PlJNSA_6detail9not_fun_tINSI_10functional5actorINSK_9compositeIJNSK_27transparent_binary_operatorINSA_8equal_toIvEEEENSL_INSK_8argumentILj0EEEEENSK_5valueIiEEEEEEEEEEEE10hipError_tPvRmT3_T4_T5_T6_T7_T9_mT8_P12ihipStream_tbDpT10_ENKUlT_T0_E_clISt17integral_constantIbLb0EES1I_EEDaS1D_S1E_EUlS1D_E_NS1_11comp_targetILNS1_3genE5ELNS1_11target_archE942ELNS1_3gpuE9ELNS1_3repE0EEENS1_30default_config_static_selectorELNS0_4arch9wavefront6targetE0EEEvT1_
    .private_segment_fixed_size: 0
    .sgpr_count:     0
    .sgpr_spill_count: 0
    .symbol:         _ZN7rocprim17ROCPRIM_400000_NS6detail17trampoline_kernelINS0_14default_configENS1_25partition_config_selectorILNS1_17partition_subalgoE6EiNS0_10empty_typeEbEEZZNS1_14partition_implILS5_6ELb0ES3_mN6thrust23THRUST_200600_302600_NS10device_ptrIiEEPS6_SD_NS0_5tupleIJSC_S6_EEENSE_IJSD_SD_EEES6_PlJNSA_6detail9not_fun_tINSI_10functional5actorINSK_9compositeIJNSK_27transparent_binary_operatorINSA_8equal_toIvEEEENSL_INSK_8argumentILj0EEEEENSK_5valueIiEEEEEEEEEEEE10hipError_tPvRmT3_T4_T5_T6_T7_T9_mT8_P12ihipStream_tbDpT10_ENKUlT_T0_E_clISt17integral_constantIbLb0EES1I_EEDaS1D_S1E_EUlS1D_E_NS1_11comp_targetILNS1_3genE5ELNS1_11target_archE942ELNS1_3gpuE9ELNS1_3repE0EEENS1_30default_config_static_selectorELNS0_4arch9wavefront6targetE0EEEvT1_.kd
    .uniform_work_group_size: 1
    .uses_dynamic_stack: false
    .vgpr_count:     0
    .vgpr_spill_count: 0
    .wavefront_size: 32
    .workgroup_processor_mode: 1
  - .args:
      - .offset:         0
        .size:           120
        .value_kind:     by_value
    .group_segment_fixed_size: 0
    .kernarg_segment_align: 8
    .kernarg_segment_size: 120
    .language:       OpenCL C
    .language_version:
      - 2
      - 0
    .max_flat_workgroup_size: 512
    .name:           _ZN7rocprim17ROCPRIM_400000_NS6detail17trampoline_kernelINS0_14default_configENS1_25partition_config_selectorILNS1_17partition_subalgoE6EiNS0_10empty_typeEbEEZZNS1_14partition_implILS5_6ELb0ES3_mN6thrust23THRUST_200600_302600_NS10device_ptrIiEEPS6_SD_NS0_5tupleIJSC_S6_EEENSE_IJSD_SD_EEES6_PlJNSA_6detail9not_fun_tINSI_10functional5actorINSK_9compositeIJNSK_27transparent_binary_operatorINSA_8equal_toIvEEEENSL_INSK_8argumentILj0EEEEENSK_5valueIiEEEEEEEEEEEE10hipError_tPvRmT3_T4_T5_T6_T7_T9_mT8_P12ihipStream_tbDpT10_ENKUlT_T0_E_clISt17integral_constantIbLb0EES1I_EEDaS1D_S1E_EUlS1D_E_NS1_11comp_targetILNS1_3genE4ELNS1_11target_archE910ELNS1_3gpuE8ELNS1_3repE0EEENS1_30default_config_static_selectorELNS0_4arch9wavefront6targetE0EEEvT1_
    .private_segment_fixed_size: 0
    .sgpr_count:     0
    .sgpr_spill_count: 0
    .symbol:         _ZN7rocprim17ROCPRIM_400000_NS6detail17trampoline_kernelINS0_14default_configENS1_25partition_config_selectorILNS1_17partition_subalgoE6EiNS0_10empty_typeEbEEZZNS1_14partition_implILS5_6ELb0ES3_mN6thrust23THRUST_200600_302600_NS10device_ptrIiEEPS6_SD_NS0_5tupleIJSC_S6_EEENSE_IJSD_SD_EEES6_PlJNSA_6detail9not_fun_tINSI_10functional5actorINSK_9compositeIJNSK_27transparent_binary_operatorINSA_8equal_toIvEEEENSL_INSK_8argumentILj0EEEEENSK_5valueIiEEEEEEEEEEEE10hipError_tPvRmT3_T4_T5_T6_T7_T9_mT8_P12ihipStream_tbDpT10_ENKUlT_T0_E_clISt17integral_constantIbLb0EES1I_EEDaS1D_S1E_EUlS1D_E_NS1_11comp_targetILNS1_3genE4ELNS1_11target_archE910ELNS1_3gpuE8ELNS1_3repE0EEENS1_30default_config_static_selectorELNS0_4arch9wavefront6targetE0EEEvT1_.kd
    .uniform_work_group_size: 1
    .uses_dynamic_stack: false
    .vgpr_count:     0
    .vgpr_spill_count: 0
    .wavefront_size: 32
    .workgroup_processor_mode: 1
  - .args:
      - .offset:         0
        .size:           120
        .value_kind:     by_value
    .group_segment_fixed_size: 0
    .kernarg_segment_align: 8
    .kernarg_segment_size: 120
    .language:       OpenCL C
    .language_version:
      - 2
      - 0
    .max_flat_workgroup_size: 256
    .name:           _ZN7rocprim17ROCPRIM_400000_NS6detail17trampoline_kernelINS0_14default_configENS1_25partition_config_selectorILNS1_17partition_subalgoE6EiNS0_10empty_typeEbEEZZNS1_14partition_implILS5_6ELb0ES3_mN6thrust23THRUST_200600_302600_NS10device_ptrIiEEPS6_SD_NS0_5tupleIJSC_S6_EEENSE_IJSD_SD_EEES6_PlJNSA_6detail9not_fun_tINSI_10functional5actorINSK_9compositeIJNSK_27transparent_binary_operatorINSA_8equal_toIvEEEENSL_INSK_8argumentILj0EEEEENSK_5valueIiEEEEEEEEEEEE10hipError_tPvRmT3_T4_T5_T6_T7_T9_mT8_P12ihipStream_tbDpT10_ENKUlT_T0_E_clISt17integral_constantIbLb0EES1I_EEDaS1D_S1E_EUlS1D_E_NS1_11comp_targetILNS1_3genE3ELNS1_11target_archE908ELNS1_3gpuE7ELNS1_3repE0EEENS1_30default_config_static_selectorELNS0_4arch9wavefront6targetE0EEEvT1_
    .private_segment_fixed_size: 0
    .sgpr_count:     0
    .sgpr_spill_count: 0
    .symbol:         _ZN7rocprim17ROCPRIM_400000_NS6detail17trampoline_kernelINS0_14default_configENS1_25partition_config_selectorILNS1_17partition_subalgoE6EiNS0_10empty_typeEbEEZZNS1_14partition_implILS5_6ELb0ES3_mN6thrust23THRUST_200600_302600_NS10device_ptrIiEEPS6_SD_NS0_5tupleIJSC_S6_EEENSE_IJSD_SD_EEES6_PlJNSA_6detail9not_fun_tINSI_10functional5actorINSK_9compositeIJNSK_27transparent_binary_operatorINSA_8equal_toIvEEEENSL_INSK_8argumentILj0EEEEENSK_5valueIiEEEEEEEEEEEE10hipError_tPvRmT3_T4_T5_T6_T7_T9_mT8_P12ihipStream_tbDpT10_ENKUlT_T0_E_clISt17integral_constantIbLb0EES1I_EEDaS1D_S1E_EUlS1D_E_NS1_11comp_targetILNS1_3genE3ELNS1_11target_archE908ELNS1_3gpuE7ELNS1_3repE0EEENS1_30default_config_static_selectorELNS0_4arch9wavefront6targetE0EEEvT1_.kd
    .uniform_work_group_size: 1
    .uses_dynamic_stack: false
    .vgpr_count:     0
    .vgpr_spill_count: 0
    .wavefront_size: 32
    .workgroup_processor_mode: 1
  - .args:
      - .offset:         0
        .size:           120
        .value_kind:     by_value
    .group_segment_fixed_size: 0
    .kernarg_segment_align: 8
    .kernarg_segment_size: 120
    .language:       OpenCL C
    .language_version:
      - 2
      - 0
    .max_flat_workgroup_size: 192
    .name:           _ZN7rocprim17ROCPRIM_400000_NS6detail17trampoline_kernelINS0_14default_configENS1_25partition_config_selectorILNS1_17partition_subalgoE6EiNS0_10empty_typeEbEEZZNS1_14partition_implILS5_6ELb0ES3_mN6thrust23THRUST_200600_302600_NS10device_ptrIiEEPS6_SD_NS0_5tupleIJSC_S6_EEENSE_IJSD_SD_EEES6_PlJNSA_6detail9not_fun_tINSI_10functional5actorINSK_9compositeIJNSK_27transparent_binary_operatorINSA_8equal_toIvEEEENSL_INSK_8argumentILj0EEEEENSK_5valueIiEEEEEEEEEEEE10hipError_tPvRmT3_T4_T5_T6_T7_T9_mT8_P12ihipStream_tbDpT10_ENKUlT_T0_E_clISt17integral_constantIbLb0EES1I_EEDaS1D_S1E_EUlS1D_E_NS1_11comp_targetILNS1_3genE2ELNS1_11target_archE906ELNS1_3gpuE6ELNS1_3repE0EEENS1_30default_config_static_selectorELNS0_4arch9wavefront6targetE0EEEvT1_
    .private_segment_fixed_size: 0
    .sgpr_count:     0
    .sgpr_spill_count: 0
    .symbol:         _ZN7rocprim17ROCPRIM_400000_NS6detail17trampoline_kernelINS0_14default_configENS1_25partition_config_selectorILNS1_17partition_subalgoE6EiNS0_10empty_typeEbEEZZNS1_14partition_implILS5_6ELb0ES3_mN6thrust23THRUST_200600_302600_NS10device_ptrIiEEPS6_SD_NS0_5tupleIJSC_S6_EEENSE_IJSD_SD_EEES6_PlJNSA_6detail9not_fun_tINSI_10functional5actorINSK_9compositeIJNSK_27transparent_binary_operatorINSA_8equal_toIvEEEENSL_INSK_8argumentILj0EEEEENSK_5valueIiEEEEEEEEEEEE10hipError_tPvRmT3_T4_T5_T6_T7_T9_mT8_P12ihipStream_tbDpT10_ENKUlT_T0_E_clISt17integral_constantIbLb0EES1I_EEDaS1D_S1E_EUlS1D_E_NS1_11comp_targetILNS1_3genE2ELNS1_11target_archE906ELNS1_3gpuE6ELNS1_3repE0EEENS1_30default_config_static_selectorELNS0_4arch9wavefront6targetE0EEEvT1_.kd
    .uniform_work_group_size: 1
    .uses_dynamic_stack: false
    .vgpr_count:     0
    .vgpr_spill_count: 0
    .wavefront_size: 32
    .workgroup_processor_mode: 1
  - .args:
      - .offset:         0
        .size:           120
        .value_kind:     by_value
    .group_segment_fixed_size: 10768
    .kernarg_segment_align: 8
    .kernarg_segment_size: 120
    .language:       OpenCL C
    .language_version:
      - 2
      - 0
    .max_flat_workgroup_size: 384
    .name:           _ZN7rocprim17ROCPRIM_400000_NS6detail17trampoline_kernelINS0_14default_configENS1_25partition_config_selectorILNS1_17partition_subalgoE6EiNS0_10empty_typeEbEEZZNS1_14partition_implILS5_6ELb0ES3_mN6thrust23THRUST_200600_302600_NS10device_ptrIiEEPS6_SD_NS0_5tupleIJSC_S6_EEENSE_IJSD_SD_EEES6_PlJNSA_6detail9not_fun_tINSI_10functional5actorINSK_9compositeIJNSK_27transparent_binary_operatorINSA_8equal_toIvEEEENSL_INSK_8argumentILj0EEEEENSK_5valueIiEEEEEEEEEEEE10hipError_tPvRmT3_T4_T5_T6_T7_T9_mT8_P12ihipStream_tbDpT10_ENKUlT_T0_E_clISt17integral_constantIbLb0EES1I_EEDaS1D_S1E_EUlS1D_E_NS1_11comp_targetILNS1_3genE10ELNS1_11target_archE1200ELNS1_3gpuE4ELNS1_3repE0EEENS1_30default_config_static_selectorELNS0_4arch9wavefront6targetE0EEEvT1_
    .private_segment_fixed_size: 0
    .sgpr_count:     20
    .sgpr_spill_count: 0
    .symbol:         _ZN7rocprim17ROCPRIM_400000_NS6detail17trampoline_kernelINS0_14default_configENS1_25partition_config_selectorILNS1_17partition_subalgoE6EiNS0_10empty_typeEbEEZZNS1_14partition_implILS5_6ELb0ES3_mN6thrust23THRUST_200600_302600_NS10device_ptrIiEEPS6_SD_NS0_5tupleIJSC_S6_EEENSE_IJSD_SD_EEES6_PlJNSA_6detail9not_fun_tINSI_10functional5actorINSK_9compositeIJNSK_27transparent_binary_operatorINSA_8equal_toIvEEEENSL_INSK_8argumentILj0EEEEENSK_5valueIiEEEEEEEEEEEE10hipError_tPvRmT3_T4_T5_T6_T7_T9_mT8_P12ihipStream_tbDpT10_ENKUlT_T0_E_clISt17integral_constantIbLb0EES1I_EEDaS1D_S1E_EUlS1D_E_NS1_11comp_targetILNS1_3genE10ELNS1_11target_archE1200ELNS1_3gpuE4ELNS1_3repE0EEENS1_30default_config_static_selectorELNS0_4arch9wavefront6targetE0EEEvT1_.kd
    .uniform_work_group_size: 1
    .uses_dynamic_stack: false
    .vgpr_count:     49
    .vgpr_spill_count: 0
    .wavefront_size: 32
    .workgroup_processor_mode: 1
  - .args:
      - .offset:         0
        .size:           120
        .value_kind:     by_value
    .group_segment_fixed_size: 0
    .kernarg_segment_align: 8
    .kernarg_segment_size: 120
    .language:       OpenCL C
    .language_version:
      - 2
      - 0
    .max_flat_workgroup_size: 128
    .name:           _ZN7rocprim17ROCPRIM_400000_NS6detail17trampoline_kernelINS0_14default_configENS1_25partition_config_selectorILNS1_17partition_subalgoE6EiNS0_10empty_typeEbEEZZNS1_14partition_implILS5_6ELb0ES3_mN6thrust23THRUST_200600_302600_NS10device_ptrIiEEPS6_SD_NS0_5tupleIJSC_S6_EEENSE_IJSD_SD_EEES6_PlJNSA_6detail9not_fun_tINSI_10functional5actorINSK_9compositeIJNSK_27transparent_binary_operatorINSA_8equal_toIvEEEENSL_INSK_8argumentILj0EEEEENSK_5valueIiEEEEEEEEEEEE10hipError_tPvRmT3_T4_T5_T6_T7_T9_mT8_P12ihipStream_tbDpT10_ENKUlT_T0_E_clISt17integral_constantIbLb0EES1I_EEDaS1D_S1E_EUlS1D_E_NS1_11comp_targetILNS1_3genE9ELNS1_11target_archE1100ELNS1_3gpuE3ELNS1_3repE0EEENS1_30default_config_static_selectorELNS0_4arch9wavefront6targetE0EEEvT1_
    .private_segment_fixed_size: 0
    .sgpr_count:     0
    .sgpr_spill_count: 0
    .symbol:         _ZN7rocprim17ROCPRIM_400000_NS6detail17trampoline_kernelINS0_14default_configENS1_25partition_config_selectorILNS1_17partition_subalgoE6EiNS0_10empty_typeEbEEZZNS1_14partition_implILS5_6ELb0ES3_mN6thrust23THRUST_200600_302600_NS10device_ptrIiEEPS6_SD_NS0_5tupleIJSC_S6_EEENSE_IJSD_SD_EEES6_PlJNSA_6detail9not_fun_tINSI_10functional5actorINSK_9compositeIJNSK_27transparent_binary_operatorINSA_8equal_toIvEEEENSL_INSK_8argumentILj0EEEEENSK_5valueIiEEEEEEEEEEEE10hipError_tPvRmT3_T4_T5_T6_T7_T9_mT8_P12ihipStream_tbDpT10_ENKUlT_T0_E_clISt17integral_constantIbLb0EES1I_EEDaS1D_S1E_EUlS1D_E_NS1_11comp_targetILNS1_3genE9ELNS1_11target_archE1100ELNS1_3gpuE3ELNS1_3repE0EEENS1_30default_config_static_selectorELNS0_4arch9wavefront6targetE0EEEvT1_.kd
    .uniform_work_group_size: 1
    .uses_dynamic_stack: false
    .vgpr_count:     0
    .vgpr_spill_count: 0
    .wavefront_size: 32
    .workgroup_processor_mode: 1
  - .args:
      - .offset:         0
        .size:           120
        .value_kind:     by_value
    .group_segment_fixed_size: 0
    .kernarg_segment_align: 8
    .kernarg_segment_size: 120
    .language:       OpenCL C
    .language_version:
      - 2
      - 0
    .max_flat_workgroup_size: 512
    .name:           _ZN7rocprim17ROCPRIM_400000_NS6detail17trampoline_kernelINS0_14default_configENS1_25partition_config_selectorILNS1_17partition_subalgoE6EiNS0_10empty_typeEbEEZZNS1_14partition_implILS5_6ELb0ES3_mN6thrust23THRUST_200600_302600_NS10device_ptrIiEEPS6_SD_NS0_5tupleIJSC_S6_EEENSE_IJSD_SD_EEES6_PlJNSA_6detail9not_fun_tINSI_10functional5actorINSK_9compositeIJNSK_27transparent_binary_operatorINSA_8equal_toIvEEEENSL_INSK_8argumentILj0EEEEENSK_5valueIiEEEEEEEEEEEE10hipError_tPvRmT3_T4_T5_T6_T7_T9_mT8_P12ihipStream_tbDpT10_ENKUlT_T0_E_clISt17integral_constantIbLb0EES1I_EEDaS1D_S1E_EUlS1D_E_NS1_11comp_targetILNS1_3genE8ELNS1_11target_archE1030ELNS1_3gpuE2ELNS1_3repE0EEENS1_30default_config_static_selectorELNS0_4arch9wavefront6targetE0EEEvT1_
    .private_segment_fixed_size: 0
    .sgpr_count:     0
    .sgpr_spill_count: 0
    .symbol:         _ZN7rocprim17ROCPRIM_400000_NS6detail17trampoline_kernelINS0_14default_configENS1_25partition_config_selectorILNS1_17partition_subalgoE6EiNS0_10empty_typeEbEEZZNS1_14partition_implILS5_6ELb0ES3_mN6thrust23THRUST_200600_302600_NS10device_ptrIiEEPS6_SD_NS0_5tupleIJSC_S6_EEENSE_IJSD_SD_EEES6_PlJNSA_6detail9not_fun_tINSI_10functional5actorINSK_9compositeIJNSK_27transparent_binary_operatorINSA_8equal_toIvEEEENSL_INSK_8argumentILj0EEEEENSK_5valueIiEEEEEEEEEEEE10hipError_tPvRmT3_T4_T5_T6_T7_T9_mT8_P12ihipStream_tbDpT10_ENKUlT_T0_E_clISt17integral_constantIbLb0EES1I_EEDaS1D_S1E_EUlS1D_E_NS1_11comp_targetILNS1_3genE8ELNS1_11target_archE1030ELNS1_3gpuE2ELNS1_3repE0EEENS1_30default_config_static_selectorELNS0_4arch9wavefront6targetE0EEEvT1_.kd
    .uniform_work_group_size: 1
    .uses_dynamic_stack: false
    .vgpr_count:     0
    .vgpr_spill_count: 0
    .wavefront_size: 32
    .workgroup_processor_mode: 1
  - .args:
      - .offset:         0
        .size:           128
        .value_kind:     by_value
    .group_segment_fixed_size: 0
    .kernarg_segment_align: 8
    .kernarg_segment_size: 128
    .language:       OpenCL C
    .language_version:
      - 2
      - 0
    .max_flat_workgroup_size: 256
    .name:           _ZN7rocprim17ROCPRIM_400000_NS6detail17trampoline_kernelINS0_14default_configENS1_25partition_config_selectorILNS1_17partition_subalgoE6EiNS0_10empty_typeEbEEZZNS1_14partition_implILS5_6ELb0ES3_mN6thrust23THRUST_200600_302600_NS10device_ptrIiEEPS6_SD_NS0_5tupleIJSC_S6_EEENSE_IJSD_SD_EEES6_PlJNSA_6detail9not_fun_tINSI_10functional5actorINSK_9compositeIJNSK_27transparent_binary_operatorINSA_8equal_toIvEEEENSL_INSK_8argumentILj0EEEEENSK_5valueIiEEEEEEEEEEEE10hipError_tPvRmT3_T4_T5_T6_T7_T9_mT8_P12ihipStream_tbDpT10_ENKUlT_T0_E_clISt17integral_constantIbLb1EES1I_EEDaS1D_S1E_EUlS1D_E_NS1_11comp_targetILNS1_3genE0ELNS1_11target_archE4294967295ELNS1_3gpuE0ELNS1_3repE0EEENS1_30default_config_static_selectorELNS0_4arch9wavefront6targetE0EEEvT1_
    .private_segment_fixed_size: 0
    .sgpr_count:     0
    .sgpr_spill_count: 0
    .symbol:         _ZN7rocprim17ROCPRIM_400000_NS6detail17trampoline_kernelINS0_14default_configENS1_25partition_config_selectorILNS1_17partition_subalgoE6EiNS0_10empty_typeEbEEZZNS1_14partition_implILS5_6ELb0ES3_mN6thrust23THRUST_200600_302600_NS10device_ptrIiEEPS6_SD_NS0_5tupleIJSC_S6_EEENSE_IJSD_SD_EEES6_PlJNSA_6detail9not_fun_tINSI_10functional5actorINSK_9compositeIJNSK_27transparent_binary_operatorINSA_8equal_toIvEEEENSL_INSK_8argumentILj0EEEEENSK_5valueIiEEEEEEEEEEEE10hipError_tPvRmT3_T4_T5_T6_T7_T9_mT8_P12ihipStream_tbDpT10_ENKUlT_T0_E_clISt17integral_constantIbLb1EES1I_EEDaS1D_S1E_EUlS1D_E_NS1_11comp_targetILNS1_3genE0ELNS1_11target_archE4294967295ELNS1_3gpuE0ELNS1_3repE0EEENS1_30default_config_static_selectorELNS0_4arch9wavefront6targetE0EEEvT1_.kd
    .uniform_work_group_size: 1
    .uses_dynamic_stack: false
    .vgpr_count:     0
    .vgpr_spill_count: 0
    .wavefront_size: 32
    .workgroup_processor_mode: 1
  - .args:
      - .offset:         0
        .size:           128
        .value_kind:     by_value
    .group_segment_fixed_size: 0
    .kernarg_segment_align: 8
    .kernarg_segment_size: 128
    .language:       OpenCL C
    .language_version:
      - 2
      - 0
    .max_flat_workgroup_size: 512
    .name:           _ZN7rocprim17ROCPRIM_400000_NS6detail17trampoline_kernelINS0_14default_configENS1_25partition_config_selectorILNS1_17partition_subalgoE6EiNS0_10empty_typeEbEEZZNS1_14partition_implILS5_6ELb0ES3_mN6thrust23THRUST_200600_302600_NS10device_ptrIiEEPS6_SD_NS0_5tupleIJSC_S6_EEENSE_IJSD_SD_EEES6_PlJNSA_6detail9not_fun_tINSI_10functional5actorINSK_9compositeIJNSK_27transparent_binary_operatorINSA_8equal_toIvEEEENSL_INSK_8argumentILj0EEEEENSK_5valueIiEEEEEEEEEEEE10hipError_tPvRmT3_T4_T5_T6_T7_T9_mT8_P12ihipStream_tbDpT10_ENKUlT_T0_E_clISt17integral_constantIbLb1EES1I_EEDaS1D_S1E_EUlS1D_E_NS1_11comp_targetILNS1_3genE5ELNS1_11target_archE942ELNS1_3gpuE9ELNS1_3repE0EEENS1_30default_config_static_selectorELNS0_4arch9wavefront6targetE0EEEvT1_
    .private_segment_fixed_size: 0
    .sgpr_count:     0
    .sgpr_spill_count: 0
    .symbol:         _ZN7rocprim17ROCPRIM_400000_NS6detail17trampoline_kernelINS0_14default_configENS1_25partition_config_selectorILNS1_17partition_subalgoE6EiNS0_10empty_typeEbEEZZNS1_14partition_implILS5_6ELb0ES3_mN6thrust23THRUST_200600_302600_NS10device_ptrIiEEPS6_SD_NS0_5tupleIJSC_S6_EEENSE_IJSD_SD_EEES6_PlJNSA_6detail9not_fun_tINSI_10functional5actorINSK_9compositeIJNSK_27transparent_binary_operatorINSA_8equal_toIvEEEENSL_INSK_8argumentILj0EEEEENSK_5valueIiEEEEEEEEEEEE10hipError_tPvRmT3_T4_T5_T6_T7_T9_mT8_P12ihipStream_tbDpT10_ENKUlT_T0_E_clISt17integral_constantIbLb1EES1I_EEDaS1D_S1E_EUlS1D_E_NS1_11comp_targetILNS1_3genE5ELNS1_11target_archE942ELNS1_3gpuE9ELNS1_3repE0EEENS1_30default_config_static_selectorELNS0_4arch9wavefront6targetE0EEEvT1_.kd
    .uniform_work_group_size: 1
    .uses_dynamic_stack: false
    .vgpr_count:     0
    .vgpr_spill_count: 0
    .wavefront_size: 32
    .workgroup_processor_mode: 1
  - .args:
      - .offset:         0
        .size:           128
        .value_kind:     by_value
    .group_segment_fixed_size: 0
    .kernarg_segment_align: 8
    .kernarg_segment_size: 128
    .language:       OpenCL C
    .language_version:
      - 2
      - 0
    .max_flat_workgroup_size: 512
    .name:           _ZN7rocprim17ROCPRIM_400000_NS6detail17trampoline_kernelINS0_14default_configENS1_25partition_config_selectorILNS1_17partition_subalgoE6EiNS0_10empty_typeEbEEZZNS1_14partition_implILS5_6ELb0ES3_mN6thrust23THRUST_200600_302600_NS10device_ptrIiEEPS6_SD_NS0_5tupleIJSC_S6_EEENSE_IJSD_SD_EEES6_PlJNSA_6detail9not_fun_tINSI_10functional5actorINSK_9compositeIJNSK_27transparent_binary_operatorINSA_8equal_toIvEEEENSL_INSK_8argumentILj0EEEEENSK_5valueIiEEEEEEEEEEEE10hipError_tPvRmT3_T4_T5_T6_T7_T9_mT8_P12ihipStream_tbDpT10_ENKUlT_T0_E_clISt17integral_constantIbLb1EES1I_EEDaS1D_S1E_EUlS1D_E_NS1_11comp_targetILNS1_3genE4ELNS1_11target_archE910ELNS1_3gpuE8ELNS1_3repE0EEENS1_30default_config_static_selectorELNS0_4arch9wavefront6targetE0EEEvT1_
    .private_segment_fixed_size: 0
    .sgpr_count:     0
    .sgpr_spill_count: 0
    .symbol:         _ZN7rocprim17ROCPRIM_400000_NS6detail17trampoline_kernelINS0_14default_configENS1_25partition_config_selectorILNS1_17partition_subalgoE6EiNS0_10empty_typeEbEEZZNS1_14partition_implILS5_6ELb0ES3_mN6thrust23THRUST_200600_302600_NS10device_ptrIiEEPS6_SD_NS0_5tupleIJSC_S6_EEENSE_IJSD_SD_EEES6_PlJNSA_6detail9not_fun_tINSI_10functional5actorINSK_9compositeIJNSK_27transparent_binary_operatorINSA_8equal_toIvEEEENSL_INSK_8argumentILj0EEEEENSK_5valueIiEEEEEEEEEEEE10hipError_tPvRmT3_T4_T5_T6_T7_T9_mT8_P12ihipStream_tbDpT10_ENKUlT_T0_E_clISt17integral_constantIbLb1EES1I_EEDaS1D_S1E_EUlS1D_E_NS1_11comp_targetILNS1_3genE4ELNS1_11target_archE910ELNS1_3gpuE8ELNS1_3repE0EEENS1_30default_config_static_selectorELNS0_4arch9wavefront6targetE0EEEvT1_.kd
    .uniform_work_group_size: 1
    .uses_dynamic_stack: false
    .vgpr_count:     0
    .vgpr_spill_count: 0
    .wavefront_size: 32
    .workgroup_processor_mode: 1
  - .args:
      - .offset:         0
        .size:           128
        .value_kind:     by_value
    .group_segment_fixed_size: 0
    .kernarg_segment_align: 8
    .kernarg_segment_size: 128
    .language:       OpenCL C
    .language_version:
      - 2
      - 0
    .max_flat_workgroup_size: 256
    .name:           _ZN7rocprim17ROCPRIM_400000_NS6detail17trampoline_kernelINS0_14default_configENS1_25partition_config_selectorILNS1_17partition_subalgoE6EiNS0_10empty_typeEbEEZZNS1_14partition_implILS5_6ELb0ES3_mN6thrust23THRUST_200600_302600_NS10device_ptrIiEEPS6_SD_NS0_5tupleIJSC_S6_EEENSE_IJSD_SD_EEES6_PlJNSA_6detail9not_fun_tINSI_10functional5actorINSK_9compositeIJNSK_27transparent_binary_operatorINSA_8equal_toIvEEEENSL_INSK_8argumentILj0EEEEENSK_5valueIiEEEEEEEEEEEE10hipError_tPvRmT3_T4_T5_T6_T7_T9_mT8_P12ihipStream_tbDpT10_ENKUlT_T0_E_clISt17integral_constantIbLb1EES1I_EEDaS1D_S1E_EUlS1D_E_NS1_11comp_targetILNS1_3genE3ELNS1_11target_archE908ELNS1_3gpuE7ELNS1_3repE0EEENS1_30default_config_static_selectorELNS0_4arch9wavefront6targetE0EEEvT1_
    .private_segment_fixed_size: 0
    .sgpr_count:     0
    .sgpr_spill_count: 0
    .symbol:         _ZN7rocprim17ROCPRIM_400000_NS6detail17trampoline_kernelINS0_14default_configENS1_25partition_config_selectorILNS1_17partition_subalgoE6EiNS0_10empty_typeEbEEZZNS1_14partition_implILS5_6ELb0ES3_mN6thrust23THRUST_200600_302600_NS10device_ptrIiEEPS6_SD_NS0_5tupleIJSC_S6_EEENSE_IJSD_SD_EEES6_PlJNSA_6detail9not_fun_tINSI_10functional5actorINSK_9compositeIJNSK_27transparent_binary_operatorINSA_8equal_toIvEEEENSL_INSK_8argumentILj0EEEEENSK_5valueIiEEEEEEEEEEEE10hipError_tPvRmT3_T4_T5_T6_T7_T9_mT8_P12ihipStream_tbDpT10_ENKUlT_T0_E_clISt17integral_constantIbLb1EES1I_EEDaS1D_S1E_EUlS1D_E_NS1_11comp_targetILNS1_3genE3ELNS1_11target_archE908ELNS1_3gpuE7ELNS1_3repE0EEENS1_30default_config_static_selectorELNS0_4arch9wavefront6targetE0EEEvT1_.kd
    .uniform_work_group_size: 1
    .uses_dynamic_stack: false
    .vgpr_count:     0
    .vgpr_spill_count: 0
    .wavefront_size: 32
    .workgroup_processor_mode: 1
  - .args:
      - .offset:         0
        .size:           128
        .value_kind:     by_value
    .group_segment_fixed_size: 0
    .kernarg_segment_align: 8
    .kernarg_segment_size: 128
    .language:       OpenCL C
    .language_version:
      - 2
      - 0
    .max_flat_workgroup_size: 192
    .name:           _ZN7rocprim17ROCPRIM_400000_NS6detail17trampoline_kernelINS0_14default_configENS1_25partition_config_selectorILNS1_17partition_subalgoE6EiNS0_10empty_typeEbEEZZNS1_14partition_implILS5_6ELb0ES3_mN6thrust23THRUST_200600_302600_NS10device_ptrIiEEPS6_SD_NS0_5tupleIJSC_S6_EEENSE_IJSD_SD_EEES6_PlJNSA_6detail9not_fun_tINSI_10functional5actorINSK_9compositeIJNSK_27transparent_binary_operatorINSA_8equal_toIvEEEENSL_INSK_8argumentILj0EEEEENSK_5valueIiEEEEEEEEEEEE10hipError_tPvRmT3_T4_T5_T6_T7_T9_mT8_P12ihipStream_tbDpT10_ENKUlT_T0_E_clISt17integral_constantIbLb1EES1I_EEDaS1D_S1E_EUlS1D_E_NS1_11comp_targetILNS1_3genE2ELNS1_11target_archE906ELNS1_3gpuE6ELNS1_3repE0EEENS1_30default_config_static_selectorELNS0_4arch9wavefront6targetE0EEEvT1_
    .private_segment_fixed_size: 0
    .sgpr_count:     0
    .sgpr_spill_count: 0
    .symbol:         _ZN7rocprim17ROCPRIM_400000_NS6detail17trampoline_kernelINS0_14default_configENS1_25partition_config_selectorILNS1_17partition_subalgoE6EiNS0_10empty_typeEbEEZZNS1_14partition_implILS5_6ELb0ES3_mN6thrust23THRUST_200600_302600_NS10device_ptrIiEEPS6_SD_NS0_5tupleIJSC_S6_EEENSE_IJSD_SD_EEES6_PlJNSA_6detail9not_fun_tINSI_10functional5actorINSK_9compositeIJNSK_27transparent_binary_operatorINSA_8equal_toIvEEEENSL_INSK_8argumentILj0EEEEENSK_5valueIiEEEEEEEEEEEE10hipError_tPvRmT3_T4_T5_T6_T7_T9_mT8_P12ihipStream_tbDpT10_ENKUlT_T0_E_clISt17integral_constantIbLb1EES1I_EEDaS1D_S1E_EUlS1D_E_NS1_11comp_targetILNS1_3genE2ELNS1_11target_archE906ELNS1_3gpuE6ELNS1_3repE0EEENS1_30default_config_static_selectorELNS0_4arch9wavefront6targetE0EEEvT1_.kd
    .uniform_work_group_size: 1
    .uses_dynamic_stack: false
    .vgpr_count:     0
    .vgpr_spill_count: 0
    .wavefront_size: 32
    .workgroup_processor_mode: 1
  - .args:
      - .offset:         0
        .size:           128
        .value_kind:     by_value
    .group_segment_fixed_size: 0
    .kernarg_segment_align: 8
    .kernarg_segment_size: 128
    .language:       OpenCL C
    .language_version:
      - 2
      - 0
    .max_flat_workgroup_size: 384
    .name:           _ZN7rocprim17ROCPRIM_400000_NS6detail17trampoline_kernelINS0_14default_configENS1_25partition_config_selectorILNS1_17partition_subalgoE6EiNS0_10empty_typeEbEEZZNS1_14partition_implILS5_6ELb0ES3_mN6thrust23THRUST_200600_302600_NS10device_ptrIiEEPS6_SD_NS0_5tupleIJSC_S6_EEENSE_IJSD_SD_EEES6_PlJNSA_6detail9not_fun_tINSI_10functional5actorINSK_9compositeIJNSK_27transparent_binary_operatorINSA_8equal_toIvEEEENSL_INSK_8argumentILj0EEEEENSK_5valueIiEEEEEEEEEEEE10hipError_tPvRmT3_T4_T5_T6_T7_T9_mT8_P12ihipStream_tbDpT10_ENKUlT_T0_E_clISt17integral_constantIbLb1EES1I_EEDaS1D_S1E_EUlS1D_E_NS1_11comp_targetILNS1_3genE10ELNS1_11target_archE1200ELNS1_3gpuE4ELNS1_3repE0EEENS1_30default_config_static_selectorELNS0_4arch9wavefront6targetE0EEEvT1_
    .private_segment_fixed_size: 0
    .sgpr_count:     0
    .sgpr_spill_count: 0
    .symbol:         _ZN7rocprim17ROCPRIM_400000_NS6detail17trampoline_kernelINS0_14default_configENS1_25partition_config_selectorILNS1_17partition_subalgoE6EiNS0_10empty_typeEbEEZZNS1_14partition_implILS5_6ELb0ES3_mN6thrust23THRUST_200600_302600_NS10device_ptrIiEEPS6_SD_NS0_5tupleIJSC_S6_EEENSE_IJSD_SD_EEES6_PlJNSA_6detail9not_fun_tINSI_10functional5actorINSK_9compositeIJNSK_27transparent_binary_operatorINSA_8equal_toIvEEEENSL_INSK_8argumentILj0EEEEENSK_5valueIiEEEEEEEEEEEE10hipError_tPvRmT3_T4_T5_T6_T7_T9_mT8_P12ihipStream_tbDpT10_ENKUlT_T0_E_clISt17integral_constantIbLb1EES1I_EEDaS1D_S1E_EUlS1D_E_NS1_11comp_targetILNS1_3genE10ELNS1_11target_archE1200ELNS1_3gpuE4ELNS1_3repE0EEENS1_30default_config_static_selectorELNS0_4arch9wavefront6targetE0EEEvT1_.kd
    .uniform_work_group_size: 1
    .uses_dynamic_stack: false
    .vgpr_count:     0
    .vgpr_spill_count: 0
    .wavefront_size: 32
    .workgroup_processor_mode: 1
  - .args:
      - .offset:         0
        .size:           128
        .value_kind:     by_value
    .group_segment_fixed_size: 0
    .kernarg_segment_align: 8
    .kernarg_segment_size: 128
    .language:       OpenCL C
    .language_version:
      - 2
      - 0
    .max_flat_workgroup_size: 128
    .name:           _ZN7rocprim17ROCPRIM_400000_NS6detail17trampoline_kernelINS0_14default_configENS1_25partition_config_selectorILNS1_17partition_subalgoE6EiNS0_10empty_typeEbEEZZNS1_14partition_implILS5_6ELb0ES3_mN6thrust23THRUST_200600_302600_NS10device_ptrIiEEPS6_SD_NS0_5tupleIJSC_S6_EEENSE_IJSD_SD_EEES6_PlJNSA_6detail9not_fun_tINSI_10functional5actorINSK_9compositeIJNSK_27transparent_binary_operatorINSA_8equal_toIvEEEENSL_INSK_8argumentILj0EEEEENSK_5valueIiEEEEEEEEEEEE10hipError_tPvRmT3_T4_T5_T6_T7_T9_mT8_P12ihipStream_tbDpT10_ENKUlT_T0_E_clISt17integral_constantIbLb1EES1I_EEDaS1D_S1E_EUlS1D_E_NS1_11comp_targetILNS1_3genE9ELNS1_11target_archE1100ELNS1_3gpuE3ELNS1_3repE0EEENS1_30default_config_static_selectorELNS0_4arch9wavefront6targetE0EEEvT1_
    .private_segment_fixed_size: 0
    .sgpr_count:     0
    .sgpr_spill_count: 0
    .symbol:         _ZN7rocprim17ROCPRIM_400000_NS6detail17trampoline_kernelINS0_14default_configENS1_25partition_config_selectorILNS1_17partition_subalgoE6EiNS0_10empty_typeEbEEZZNS1_14partition_implILS5_6ELb0ES3_mN6thrust23THRUST_200600_302600_NS10device_ptrIiEEPS6_SD_NS0_5tupleIJSC_S6_EEENSE_IJSD_SD_EEES6_PlJNSA_6detail9not_fun_tINSI_10functional5actorINSK_9compositeIJNSK_27transparent_binary_operatorINSA_8equal_toIvEEEENSL_INSK_8argumentILj0EEEEENSK_5valueIiEEEEEEEEEEEE10hipError_tPvRmT3_T4_T5_T6_T7_T9_mT8_P12ihipStream_tbDpT10_ENKUlT_T0_E_clISt17integral_constantIbLb1EES1I_EEDaS1D_S1E_EUlS1D_E_NS1_11comp_targetILNS1_3genE9ELNS1_11target_archE1100ELNS1_3gpuE3ELNS1_3repE0EEENS1_30default_config_static_selectorELNS0_4arch9wavefront6targetE0EEEvT1_.kd
    .uniform_work_group_size: 1
    .uses_dynamic_stack: false
    .vgpr_count:     0
    .vgpr_spill_count: 0
    .wavefront_size: 32
    .workgroup_processor_mode: 1
  - .args:
      - .offset:         0
        .size:           128
        .value_kind:     by_value
    .group_segment_fixed_size: 0
    .kernarg_segment_align: 8
    .kernarg_segment_size: 128
    .language:       OpenCL C
    .language_version:
      - 2
      - 0
    .max_flat_workgroup_size: 512
    .name:           _ZN7rocprim17ROCPRIM_400000_NS6detail17trampoline_kernelINS0_14default_configENS1_25partition_config_selectorILNS1_17partition_subalgoE6EiNS0_10empty_typeEbEEZZNS1_14partition_implILS5_6ELb0ES3_mN6thrust23THRUST_200600_302600_NS10device_ptrIiEEPS6_SD_NS0_5tupleIJSC_S6_EEENSE_IJSD_SD_EEES6_PlJNSA_6detail9not_fun_tINSI_10functional5actorINSK_9compositeIJNSK_27transparent_binary_operatorINSA_8equal_toIvEEEENSL_INSK_8argumentILj0EEEEENSK_5valueIiEEEEEEEEEEEE10hipError_tPvRmT3_T4_T5_T6_T7_T9_mT8_P12ihipStream_tbDpT10_ENKUlT_T0_E_clISt17integral_constantIbLb1EES1I_EEDaS1D_S1E_EUlS1D_E_NS1_11comp_targetILNS1_3genE8ELNS1_11target_archE1030ELNS1_3gpuE2ELNS1_3repE0EEENS1_30default_config_static_selectorELNS0_4arch9wavefront6targetE0EEEvT1_
    .private_segment_fixed_size: 0
    .sgpr_count:     0
    .sgpr_spill_count: 0
    .symbol:         _ZN7rocprim17ROCPRIM_400000_NS6detail17trampoline_kernelINS0_14default_configENS1_25partition_config_selectorILNS1_17partition_subalgoE6EiNS0_10empty_typeEbEEZZNS1_14partition_implILS5_6ELb0ES3_mN6thrust23THRUST_200600_302600_NS10device_ptrIiEEPS6_SD_NS0_5tupleIJSC_S6_EEENSE_IJSD_SD_EEES6_PlJNSA_6detail9not_fun_tINSI_10functional5actorINSK_9compositeIJNSK_27transparent_binary_operatorINSA_8equal_toIvEEEENSL_INSK_8argumentILj0EEEEENSK_5valueIiEEEEEEEEEEEE10hipError_tPvRmT3_T4_T5_T6_T7_T9_mT8_P12ihipStream_tbDpT10_ENKUlT_T0_E_clISt17integral_constantIbLb1EES1I_EEDaS1D_S1E_EUlS1D_E_NS1_11comp_targetILNS1_3genE8ELNS1_11target_archE1030ELNS1_3gpuE2ELNS1_3repE0EEENS1_30default_config_static_selectorELNS0_4arch9wavefront6targetE0EEEvT1_.kd
    .uniform_work_group_size: 1
    .uses_dynamic_stack: false
    .vgpr_count:     0
    .vgpr_spill_count: 0
    .wavefront_size: 32
    .workgroup_processor_mode: 1
  - .args:
      - .offset:         0
        .size:           120
        .value_kind:     by_value
    .group_segment_fixed_size: 0
    .kernarg_segment_align: 8
    .kernarg_segment_size: 120
    .language:       OpenCL C
    .language_version:
      - 2
      - 0
    .max_flat_workgroup_size: 256
    .name:           _ZN7rocprim17ROCPRIM_400000_NS6detail17trampoline_kernelINS0_14default_configENS1_25partition_config_selectorILNS1_17partition_subalgoE6EiNS0_10empty_typeEbEEZZNS1_14partition_implILS5_6ELb0ES3_mN6thrust23THRUST_200600_302600_NS10device_ptrIiEEPS6_SD_NS0_5tupleIJSC_S6_EEENSE_IJSD_SD_EEES6_PlJNSA_6detail9not_fun_tINSI_10functional5actorINSK_9compositeIJNSK_27transparent_binary_operatorINSA_8equal_toIvEEEENSL_INSK_8argumentILj0EEEEENSK_5valueIiEEEEEEEEEEEE10hipError_tPvRmT3_T4_T5_T6_T7_T9_mT8_P12ihipStream_tbDpT10_ENKUlT_T0_E_clISt17integral_constantIbLb1EES1H_IbLb0EEEEDaS1D_S1E_EUlS1D_E_NS1_11comp_targetILNS1_3genE0ELNS1_11target_archE4294967295ELNS1_3gpuE0ELNS1_3repE0EEENS1_30default_config_static_selectorELNS0_4arch9wavefront6targetE0EEEvT1_
    .private_segment_fixed_size: 0
    .sgpr_count:     0
    .sgpr_spill_count: 0
    .symbol:         _ZN7rocprim17ROCPRIM_400000_NS6detail17trampoline_kernelINS0_14default_configENS1_25partition_config_selectorILNS1_17partition_subalgoE6EiNS0_10empty_typeEbEEZZNS1_14partition_implILS5_6ELb0ES3_mN6thrust23THRUST_200600_302600_NS10device_ptrIiEEPS6_SD_NS0_5tupleIJSC_S6_EEENSE_IJSD_SD_EEES6_PlJNSA_6detail9not_fun_tINSI_10functional5actorINSK_9compositeIJNSK_27transparent_binary_operatorINSA_8equal_toIvEEEENSL_INSK_8argumentILj0EEEEENSK_5valueIiEEEEEEEEEEEE10hipError_tPvRmT3_T4_T5_T6_T7_T9_mT8_P12ihipStream_tbDpT10_ENKUlT_T0_E_clISt17integral_constantIbLb1EES1H_IbLb0EEEEDaS1D_S1E_EUlS1D_E_NS1_11comp_targetILNS1_3genE0ELNS1_11target_archE4294967295ELNS1_3gpuE0ELNS1_3repE0EEENS1_30default_config_static_selectorELNS0_4arch9wavefront6targetE0EEEvT1_.kd
    .uniform_work_group_size: 1
    .uses_dynamic_stack: false
    .vgpr_count:     0
    .vgpr_spill_count: 0
    .wavefront_size: 32
    .workgroup_processor_mode: 1
  - .args:
      - .offset:         0
        .size:           120
        .value_kind:     by_value
    .group_segment_fixed_size: 0
    .kernarg_segment_align: 8
    .kernarg_segment_size: 120
    .language:       OpenCL C
    .language_version:
      - 2
      - 0
    .max_flat_workgroup_size: 512
    .name:           _ZN7rocprim17ROCPRIM_400000_NS6detail17trampoline_kernelINS0_14default_configENS1_25partition_config_selectorILNS1_17partition_subalgoE6EiNS0_10empty_typeEbEEZZNS1_14partition_implILS5_6ELb0ES3_mN6thrust23THRUST_200600_302600_NS10device_ptrIiEEPS6_SD_NS0_5tupleIJSC_S6_EEENSE_IJSD_SD_EEES6_PlJNSA_6detail9not_fun_tINSI_10functional5actorINSK_9compositeIJNSK_27transparent_binary_operatorINSA_8equal_toIvEEEENSL_INSK_8argumentILj0EEEEENSK_5valueIiEEEEEEEEEEEE10hipError_tPvRmT3_T4_T5_T6_T7_T9_mT8_P12ihipStream_tbDpT10_ENKUlT_T0_E_clISt17integral_constantIbLb1EES1H_IbLb0EEEEDaS1D_S1E_EUlS1D_E_NS1_11comp_targetILNS1_3genE5ELNS1_11target_archE942ELNS1_3gpuE9ELNS1_3repE0EEENS1_30default_config_static_selectorELNS0_4arch9wavefront6targetE0EEEvT1_
    .private_segment_fixed_size: 0
    .sgpr_count:     0
    .sgpr_spill_count: 0
    .symbol:         _ZN7rocprim17ROCPRIM_400000_NS6detail17trampoline_kernelINS0_14default_configENS1_25partition_config_selectorILNS1_17partition_subalgoE6EiNS0_10empty_typeEbEEZZNS1_14partition_implILS5_6ELb0ES3_mN6thrust23THRUST_200600_302600_NS10device_ptrIiEEPS6_SD_NS0_5tupleIJSC_S6_EEENSE_IJSD_SD_EEES6_PlJNSA_6detail9not_fun_tINSI_10functional5actorINSK_9compositeIJNSK_27transparent_binary_operatorINSA_8equal_toIvEEEENSL_INSK_8argumentILj0EEEEENSK_5valueIiEEEEEEEEEEEE10hipError_tPvRmT3_T4_T5_T6_T7_T9_mT8_P12ihipStream_tbDpT10_ENKUlT_T0_E_clISt17integral_constantIbLb1EES1H_IbLb0EEEEDaS1D_S1E_EUlS1D_E_NS1_11comp_targetILNS1_3genE5ELNS1_11target_archE942ELNS1_3gpuE9ELNS1_3repE0EEENS1_30default_config_static_selectorELNS0_4arch9wavefront6targetE0EEEvT1_.kd
    .uniform_work_group_size: 1
    .uses_dynamic_stack: false
    .vgpr_count:     0
    .vgpr_spill_count: 0
    .wavefront_size: 32
    .workgroup_processor_mode: 1
  - .args:
      - .offset:         0
        .size:           120
        .value_kind:     by_value
    .group_segment_fixed_size: 0
    .kernarg_segment_align: 8
    .kernarg_segment_size: 120
    .language:       OpenCL C
    .language_version:
      - 2
      - 0
    .max_flat_workgroup_size: 512
    .name:           _ZN7rocprim17ROCPRIM_400000_NS6detail17trampoline_kernelINS0_14default_configENS1_25partition_config_selectorILNS1_17partition_subalgoE6EiNS0_10empty_typeEbEEZZNS1_14partition_implILS5_6ELb0ES3_mN6thrust23THRUST_200600_302600_NS10device_ptrIiEEPS6_SD_NS0_5tupleIJSC_S6_EEENSE_IJSD_SD_EEES6_PlJNSA_6detail9not_fun_tINSI_10functional5actorINSK_9compositeIJNSK_27transparent_binary_operatorINSA_8equal_toIvEEEENSL_INSK_8argumentILj0EEEEENSK_5valueIiEEEEEEEEEEEE10hipError_tPvRmT3_T4_T5_T6_T7_T9_mT8_P12ihipStream_tbDpT10_ENKUlT_T0_E_clISt17integral_constantIbLb1EES1H_IbLb0EEEEDaS1D_S1E_EUlS1D_E_NS1_11comp_targetILNS1_3genE4ELNS1_11target_archE910ELNS1_3gpuE8ELNS1_3repE0EEENS1_30default_config_static_selectorELNS0_4arch9wavefront6targetE0EEEvT1_
    .private_segment_fixed_size: 0
    .sgpr_count:     0
    .sgpr_spill_count: 0
    .symbol:         _ZN7rocprim17ROCPRIM_400000_NS6detail17trampoline_kernelINS0_14default_configENS1_25partition_config_selectorILNS1_17partition_subalgoE6EiNS0_10empty_typeEbEEZZNS1_14partition_implILS5_6ELb0ES3_mN6thrust23THRUST_200600_302600_NS10device_ptrIiEEPS6_SD_NS0_5tupleIJSC_S6_EEENSE_IJSD_SD_EEES6_PlJNSA_6detail9not_fun_tINSI_10functional5actorINSK_9compositeIJNSK_27transparent_binary_operatorINSA_8equal_toIvEEEENSL_INSK_8argumentILj0EEEEENSK_5valueIiEEEEEEEEEEEE10hipError_tPvRmT3_T4_T5_T6_T7_T9_mT8_P12ihipStream_tbDpT10_ENKUlT_T0_E_clISt17integral_constantIbLb1EES1H_IbLb0EEEEDaS1D_S1E_EUlS1D_E_NS1_11comp_targetILNS1_3genE4ELNS1_11target_archE910ELNS1_3gpuE8ELNS1_3repE0EEENS1_30default_config_static_selectorELNS0_4arch9wavefront6targetE0EEEvT1_.kd
    .uniform_work_group_size: 1
    .uses_dynamic_stack: false
    .vgpr_count:     0
    .vgpr_spill_count: 0
    .wavefront_size: 32
    .workgroup_processor_mode: 1
  - .args:
      - .offset:         0
        .size:           120
        .value_kind:     by_value
    .group_segment_fixed_size: 0
    .kernarg_segment_align: 8
    .kernarg_segment_size: 120
    .language:       OpenCL C
    .language_version:
      - 2
      - 0
    .max_flat_workgroup_size: 256
    .name:           _ZN7rocprim17ROCPRIM_400000_NS6detail17trampoline_kernelINS0_14default_configENS1_25partition_config_selectorILNS1_17partition_subalgoE6EiNS0_10empty_typeEbEEZZNS1_14partition_implILS5_6ELb0ES3_mN6thrust23THRUST_200600_302600_NS10device_ptrIiEEPS6_SD_NS0_5tupleIJSC_S6_EEENSE_IJSD_SD_EEES6_PlJNSA_6detail9not_fun_tINSI_10functional5actorINSK_9compositeIJNSK_27transparent_binary_operatorINSA_8equal_toIvEEEENSL_INSK_8argumentILj0EEEEENSK_5valueIiEEEEEEEEEEEE10hipError_tPvRmT3_T4_T5_T6_T7_T9_mT8_P12ihipStream_tbDpT10_ENKUlT_T0_E_clISt17integral_constantIbLb1EES1H_IbLb0EEEEDaS1D_S1E_EUlS1D_E_NS1_11comp_targetILNS1_3genE3ELNS1_11target_archE908ELNS1_3gpuE7ELNS1_3repE0EEENS1_30default_config_static_selectorELNS0_4arch9wavefront6targetE0EEEvT1_
    .private_segment_fixed_size: 0
    .sgpr_count:     0
    .sgpr_spill_count: 0
    .symbol:         _ZN7rocprim17ROCPRIM_400000_NS6detail17trampoline_kernelINS0_14default_configENS1_25partition_config_selectorILNS1_17partition_subalgoE6EiNS0_10empty_typeEbEEZZNS1_14partition_implILS5_6ELb0ES3_mN6thrust23THRUST_200600_302600_NS10device_ptrIiEEPS6_SD_NS0_5tupleIJSC_S6_EEENSE_IJSD_SD_EEES6_PlJNSA_6detail9not_fun_tINSI_10functional5actorINSK_9compositeIJNSK_27transparent_binary_operatorINSA_8equal_toIvEEEENSL_INSK_8argumentILj0EEEEENSK_5valueIiEEEEEEEEEEEE10hipError_tPvRmT3_T4_T5_T6_T7_T9_mT8_P12ihipStream_tbDpT10_ENKUlT_T0_E_clISt17integral_constantIbLb1EES1H_IbLb0EEEEDaS1D_S1E_EUlS1D_E_NS1_11comp_targetILNS1_3genE3ELNS1_11target_archE908ELNS1_3gpuE7ELNS1_3repE0EEENS1_30default_config_static_selectorELNS0_4arch9wavefront6targetE0EEEvT1_.kd
    .uniform_work_group_size: 1
    .uses_dynamic_stack: false
    .vgpr_count:     0
    .vgpr_spill_count: 0
    .wavefront_size: 32
    .workgroup_processor_mode: 1
  - .args:
      - .offset:         0
        .size:           120
        .value_kind:     by_value
    .group_segment_fixed_size: 0
    .kernarg_segment_align: 8
    .kernarg_segment_size: 120
    .language:       OpenCL C
    .language_version:
      - 2
      - 0
    .max_flat_workgroup_size: 192
    .name:           _ZN7rocprim17ROCPRIM_400000_NS6detail17trampoline_kernelINS0_14default_configENS1_25partition_config_selectorILNS1_17partition_subalgoE6EiNS0_10empty_typeEbEEZZNS1_14partition_implILS5_6ELb0ES3_mN6thrust23THRUST_200600_302600_NS10device_ptrIiEEPS6_SD_NS0_5tupleIJSC_S6_EEENSE_IJSD_SD_EEES6_PlJNSA_6detail9not_fun_tINSI_10functional5actorINSK_9compositeIJNSK_27transparent_binary_operatorINSA_8equal_toIvEEEENSL_INSK_8argumentILj0EEEEENSK_5valueIiEEEEEEEEEEEE10hipError_tPvRmT3_T4_T5_T6_T7_T9_mT8_P12ihipStream_tbDpT10_ENKUlT_T0_E_clISt17integral_constantIbLb1EES1H_IbLb0EEEEDaS1D_S1E_EUlS1D_E_NS1_11comp_targetILNS1_3genE2ELNS1_11target_archE906ELNS1_3gpuE6ELNS1_3repE0EEENS1_30default_config_static_selectorELNS0_4arch9wavefront6targetE0EEEvT1_
    .private_segment_fixed_size: 0
    .sgpr_count:     0
    .sgpr_spill_count: 0
    .symbol:         _ZN7rocprim17ROCPRIM_400000_NS6detail17trampoline_kernelINS0_14default_configENS1_25partition_config_selectorILNS1_17partition_subalgoE6EiNS0_10empty_typeEbEEZZNS1_14partition_implILS5_6ELb0ES3_mN6thrust23THRUST_200600_302600_NS10device_ptrIiEEPS6_SD_NS0_5tupleIJSC_S6_EEENSE_IJSD_SD_EEES6_PlJNSA_6detail9not_fun_tINSI_10functional5actorINSK_9compositeIJNSK_27transparent_binary_operatorINSA_8equal_toIvEEEENSL_INSK_8argumentILj0EEEEENSK_5valueIiEEEEEEEEEEEE10hipError_tPvRmT3_T4_T5_T6_T7_T9_mT8_P12ihipStream_tbDpT10_ENKUlT_T0_E_clISt17integral_constantIbLb1EES1H_IbLb0EEEEDaS1D_S1E_EUlS1D_E_NS1_11comp_targetILNS1_3genE2ELNS1_11target_archE906ELNS1_3gpuE6ELNS1_3repE0EEENS1_30default_config_static_selectorELNS0_4arch9wavefront6targetE0EEEvT1_.kd
    .uniform_work_group_size: 1
    .uses_dynamic_stack: false
    .vgpr_count:     0
    .vgpr_spill_count: 0
    .wavefront_size: 32
    .workgroup_processor_mode: 1
  - .args:
      - .offset:         0
        .size:           120
        .value_kind:     by_value
    .group_segment_fixed_size: 0
    .kernarg_segment_align: 8
    .kernarg_segment_size: 120
    .language:       OpenCL C
    .language_version:
      - 2
      - 0
    .max_flat_workgroup_size: 384
    .name:           _ZN7rocprim17ROCPRIM_400000_NS6detail17trampoline_kernelINS0_14default_configENS1_25partition_config_selectorILNS1_17partition_subalgoE6EiNS0_10empty_typeEbEEZZNS1_14partition_implILS5_6ELb0ES3_mN6thrust23THRUST_200600_302600_NS10device_ptrIiEEPS6_SD_NS0_5tupleIJSC_S6_EEENSE_IJSD_SD_EEES6_PlJNSA_6detail9not_fun_tINSI_10functional5actorINSK_9compositeIJNSK_27transparent_binary_operatorINSA_8equal_toIvEEEENSL_INSK_8argumentILj0EEEEENSK_5valueIiEEEEEEEEEEEE10hipError_tPvRmT3_T4_T5_T6_T7_T9_mT8_P12ihipStream_tbDpT10_ENKUlT_T0_E_clISt17integral_constantIbLb1EES1H_IbLb0EEEEDaS1D_S1E_EUlS1D_E_NS1_11comp_targetILNS1_3genE10ELNS1_11target_archE1200ELNS1_3gpuE4ELNS1_3repE0EEENS1_30default_config_static_selectorELNS0_4arch9wavefront6targetE0EEEvT1_
    .private_segment_fixed_size: 0
    .sgpr_count:     0
    .sgpr_spill_count: 0
    .symbol:         _ZN7rocprim17ROCPRIM_400000_NS6detail17trampoline_kernelINS0_14default_configENS1_25partition_config_selectorILNS1_17partition_subalgoE6EiNS0_10empty_typeEbEEZZNS1_14partition_implILS5_6ELb0ES3_mN6thrust23THRUST_200600_302600_NS10device_ptrIiEEPS6_SD_NS0_5tupleIJSC_S6_EEENSE_IJSD_SD_EEES6_PlJNSA_6detail9not_fun_tINSI_10functional5actorINSK_9compositeIJNSK_27transparent_binary_operatorINSA_8equal_toIvEEEENSL_INSK_8argumentILj0EEEEENSK_5valueIiEEEEEEEEEEEE10hipError_tPvRmT3_T4_T5_T6_T7_T9_mT8_P12ihipStream_tbDpT10_ENKUlT_T0_E_clISt17integral_constantIbLb1EES1H_IbLb0EEEEDaS1D_S1E_EUlS1D_E_NS1_11comp_targetILNS1_3genE10ELNS1_11target_archE1200ELNS1_3gpuE4ELNS1_3repE0EEENS1_30default_config_static_selectorELNS0_4arch9wavefront6targetE0EEEvT1_.kd
    .uniform_work_group_size: 1
    .uses_dynamic_stack: false
    .vgpr_count:     0
    .vgpr_spill_count: 0
    .wavefront_size: 32
    .workgroup_processor_mode: 1
  - .args:
      - .offset:         0
        .size:           120
        .value_kind:     by_value
    .group_segment_fixed_size: 0
    .kernarg_segment_align: 8
    .kernarg_segment_size: 120
    .language:       OpenCL C
    .language_version:
      - 2
      - 0
    .max_flat_workgroup_size: 128
    .name:           _ZN7rocprim17ROCPRIM_400000_NS6detail17trampoline_kernelINS0_14default_configENS1_25partition_config_selectorILNS1_17partition_subalgoE6EiNS0_10empty_typeEbEEZZNS1_14partition_implILS5_6ELb0ES3_mN6thrust23THRUST_200600_302600_NS10device_ptrIiEEPS6_SD_NS0_5tupleIJSC_S6_EEENSE_IJSD_SD_EEES6_PlJNSA_6detail9not_fun_tINSI_10functional5actorINSK_9compositeIJNSK_27transparent_binary_operatorINSA_8equal_toIvEEEENSL_INSK_8argumentILj0EEEEENSK_5valueIiEEEEEEEEEEEE10hipError_tPvRmT3_T4_T5_T6_T7_T9_mT8_P12ihipStream_tbDpT10_ENKUlT_T0_E_clISt17integral_constantIbLb1EES1H_IbLb0EEEEDaS1D_S1E_EUlS1D_E_NS1_11comp_targetILNS1_3genE9ELNS1_11target_archE1100ELNS1_3gpuE3ELNS1_3repE0EEENS1_30default_config_static_selectorELNS0_4arch9wavefront6targetE0EEEvT1_
    .private_segment_fixed_size: 0
    .sgpr_count:     0
    .sgpr_spill_count: 0
    .symbol:         _ZN7rocprim17ROCPRIM_400000_NS6detail17trampoline_kernelINS0_14default_configENS1_25partition_config_selectorILNS1_17partition_subalgoE6EiNS0_10empty_typeEbEEZZNS1_14partition_implILS5_6ELb0ES3_mN6thrust23THRUST_200600_302600_NS10device_ptrIiEEPS6_SD_NS0_5tupleIJSC_S6_EEENSE_IJSD_SD_EEES6_PlJNSA_6detail9not_fun_tINSI_10functional5actorINSK_9compositeIJNSK_27transparent_binary_operatorINSA_8equal_toIvEEEENSL_INSK_8argumentILj0EEEEENSK_5valueIiEEEEEEEEEEEE10hipError_tPvRmT3_T4_T5_T6_T7_T9_mT8_P12ihipStream_tbDpT10_ENKUlT_T0_E_clISt17integral_constantIbLb1EES1H_IbLb0EEEEDaS1D_S1E_EUlS1D_E_NS1_11comp_targetILNS1_3genE9ELNS1_11target_archE1100ELNS1_3gpuE3ELNS1_3repE0EEENS1_30default_config_static_selectorELNS0_4arch9wavefront6targetE0EEEvT1_.kd
    .uniform_work_group_size: 1
    .uses_dynamic_stack: false
    .vgpr_count:     0
    .vgpr_spill_count: 0
    .wavefront_size: 32
    .workgroup_processor_mode: 1
  - .args:
      - .offset:         0
        .size:           120
        .value_kind:     by_value
    .group_segment_fixed_size: 0
    .kernarg_segment_align: 8
    .kernarg_segment_size: 120
    .language:       OpenCL C
    .language_version:
      - 2
      - 0
    .max_flat_workgroup_size: 512
    .name:           _ZN7rocprim17ROCPRIM_400000_NS6detail17trampoline_kernelINS0_14default_configENS1_25partition_config_selectorILNS1_17partition_subalgoE6EiNS0_10empty_typeEbEEZZNS1_14partition_implILS5_6ELb0ES3_mN6thrust23THRUST_200600_302600_NS10device_ptrIiEEPS6_SD_NS0_5tupleIJSC_S6_EEENSE_IJSD_SD_EEES6_PlJNSA_6detail9not_fun_tINSI_10functional5actorINSK_9compositeIJNSK_27transparent_binary_operatorINSA_8equal_toIvEEEENSL_INSK_8argumentILj0EEEEENSK_5valueIiEEEEEEEEEEEE10hipError_tPvRmT3_T4_T5_T6_T7_T9_mT8_P12ihipStream_tbDpT10_ENKUlT_T0_E_clISt17integral_constantIbLb1EES1H_IbLb0EEEEDaS1D_S1E_EUlS1D_E_NS1_11comp_targetILNS1_3genE8ELNS1_11target_archE1030ELNS1_3gpuE2ELNS1_3repE0EEENS1_30default_config_static_selectorELNS0_4arch9wavefront6targetE0EEEvT1_
    .private_segment_fixed_size: 0
    .sgpr_count:     0
    .sgpr_spill_count: 0
    .symbol:         _ZN7rocprim17ROCPRIM_400000_NS6detail17trampoline_kernelINS0_14default_configENS1_25partition_config_selectorILNS1_17partition_subalgoE6EiNS0_10empty_typeEbEEZZNS1_14partition_implILS5_6ELb0ES3_mN6thrust23THRUST_200600_302600_NS10device_ptrIiEEPS6_SD_NS0_5tupleIJSC_S6_EEENSE_IJSD_SD_EEES6_PlJNSA_6detail9not_fun_tINSI_10functional5actorINSK_9compositeIJNSK_27transparent_binary_operatorINSA_8equal_toIvEEEENSL_INSK_8argumentILj0EEEEENSK_5valueIiEEEEEEEEEEEE10hipError_tPvRmT3_T4_T5_T6_T7_T9_mT8_P12ihipStream_tbDpT10_ENKUlT_T0_E_clISt17integral_constantIbLb1EES1H_IbLb0EEEEDaS1D_S1E_EUlS1D_E_NS1_11comp_targetILNS1_3genE8ELNS1_11target_archE1030ELNS1_3gpuE2ELNS1_3repE0EEENS1_30default_config_static_selectorELNS0_4arch9wavefront6targetE0EEEvT1_.kd
    .uniform_work_group_size: 1
    .uses_dynamic_stack: false
    .vgpr_count:     0
    .vgpr_spill_count: 0
    .wavefront_size: 32
    .workgroup_processor_mode: 1
  - .args:
      - .offset:         0
        .size:           128
        .value_kind:     by_value
    .group_segment_fixed_size: 0
    .kernarg_segment_align: 8
    .kernarg_segment_size: 128
    .language:       OpenCL C
    .language_version:
      - 2
      - 0
    .max_flat_workgroup_size: 256
    .name:           _ZN7rocprim17ROCPRIM_400000_NS6detail17trampoline_kernelINS0_14default_configENS1_25partition_config_selectorILNS1_17partition_subalgoE6EiNS0_10empty_typeEbEEZZNS1_14partition_implILS5_6ELb0ES3_mN6thrust23THRUST_200600_302600_NS10device_ptrIiEEPS6_SD_NS0_5tupleIJSC_S6_EEENSE_IJSD_SD_EEES6_PlJNSA_6detail9not_fun_tINSI_10functional5actorINSK_9compositeIJNSK_27transparent_binary_operatorINSA_8equal_toIvEEEENSL_INSK_8argumentILj0EEEEENSK_5valueIiEEEEEEEEEEEE10hipError_tPvRmT3_T4_T5_T6_T7_T9_mT8_P12ihipStream_tbDpT10_ENKUlT_T0_E_clISt17integral_constantIbLb0EES1H_IbLb1EEEEDaS1D_S1E_EUlS1D_E_NS1_11comp_targetILNS1_3genE0ELNS1_11target_archE4294967295ELNS1_3gpuE0ELNS1_3repE0EEENS1_30default_config_static_selectorELNS0_4arch9wavefront6targetE0EEEvT1_
    .private_segment_fixed_size: 0
    .sgpr_count:     0
    .sgpr_spill_count: 0
    .symbol:         _ZN7rocprim17ROCPRIM_400000_NS6detail17trampoline_kernelINS0_14default_configENS1_25partition_config_selectorILNS1_17partition_subalgoE6EiNS0_10empty_typeEbEEZZNS1_14partition_implILS5_6ELb0ES3_mN6thrust23THRUST_200600_302600_NS10device_ptrIiEEPS6_SD_NS0_5tupleIJSC_S6_EEENSE_IJSD_SD_EEES6_PlJNSA_6detail9not_fun_tINSI_10functional5actorINSK_9compositeIJNSK_27transparent_binary_operatorINSA_8equal_toIvEEEENSL_INSK_8argumentILj0EEEEENSK_5valueIiEEEEEEEEEEEE10hipError_tPvRmT3_T4_T5_T6_T7_T9_mT8_P12ihipStream_tbDpT10_ENKUlT_T0_E_clISt17integral_constantIbLb0EES1H_IbLb1EEEEDaS1D_S1E_EUlS1D_E_NS1_11comp_targetILNS1_3genE0ELNS1_11target_archE4294967295ELNS1_3gpuE0ELNS1_3repE0EEENS1_30default_config_static_selectorELNS0_4arch9wavefront6targetE0EEEvT1_.kd
    .uniform_work_group_size: 1
    .uses_dynamic_stack: false
    .vgpr_count:     0
    .vgpr_spill_count: 0
    .wavefront_size: 32
    .workgroup_processor_mode: 1
  - .args:
      - .offset:         0
        .size:           128
        .value_kind:     by_value
    .group_segment_fixed_size: 0
    .kernarg_segment_align: 8
    .kernarg_segment_size: 128
    .language:       OpenCL C
    .language_version:
      - 2
      - 0
    .max_flat_workgroup_size: 512
    .name:           _ZN7rocprim17ROCPRIM_400000_NS6detail17trampoline_kernelINS0_14default_configENS1_25partition_config_selectorILNS1_17partition_subalgoE6EiNS0_10empty_typeEbEEZZNS1_14partition_implILS5_6ELb0ES3_mN6thrust23THRUST_200600_302600_NS10device_ptrIiEEPS6_SD_NS0_5tupleIJSC_S6_EEENSE_IJSD_SD_EEES6_PlJNSA_6detail9not_fun_tINSI_10functional5actorINSK_9compositeIJNSK_27transparent_binary_operatorINSA_8equal_toIvEEEENSL_INSK_8argumentILj0EEEEENSK_5valueIiEEEEEEEEEEEE10hipError_tPvRmT3_T4_T5_T6_T7_T9_mT8_P12ihipStream_tbDpT10_ENKUlT_T0_E_clISt17integral_constantIbLb0EES1H_IbLb1EEEEDaS1D_S1E_EUlS1D_E_NS1_11comp_targetILNS1_3genE5ELNS1_11target_archE942ELNS1_3gpuE9ELNS1_3repE0EEENS1_30default_config_static_selectorELNS0_4arch9wavefront6targetE0EEEvT1_
    .private_segment_fixed_size: 0
    .sgpr_count:     0
    .sgpr_spill_count: 0
    .symbol:         _ZN7rocprim17ROCPRIM_400000_NS6detail17trampoline_kernelINS0_14default_configENS1_25partition_config_selectorILNS1_17partition_subalgoE6EiNS0_10empty_typeEbEEZZNS1_14partition_implILS5_6ELb0ES3_mN6thrust23THRUST_200600_302600_NS10device_ptrIiEEPS6_SD_NS0_5tupleIJSC_S6_EEENSE_IJSD_SD_EEES6_PlJNSA_6detail9not_fun_tINSI_10functional5actorINSK_9compositeIJNSK_27transparent_binary_operatorINSA_8equal_toIvEEEENSL_INSK_8argumentILj0EEEEENSK_5valueIiEEEEEEEEEEEE10hipError_tPvRmT3_T4_T5_T6_T7_T9_mT8_P12ihipStream_tbDpT10_ENKUlT_T0_E_clISt17integral_constantIbLb0EES1H_IbLb1EEEEDaS1D_S1E_EUlS1D_E_NS1_11comp_targetILNS1_3genE5ELNS1_11target_archE942ELNS1_3gpuE9ELNS1_3repE0EEENS1_30default_config_static_selectorELNS0_4arch9wavefront6targetE0EEEvT1_.kd
    .uniform_work_group_size: 1
    .uses_dynamic_stack: false
    .vgpr_count:     0
    .vgpr_spill_count: 0
    .wavefront_size: 32
    .workgroup_processor_mode: 1
  - .args:
      - .offset:         0
        .size:           128
        .value_kind:     by_value
    .group_segment_fixed_size: 0
    .kernarg_segment_align: 8
    .kernarg_segment_size: 128
    .language:       OpenCL C
    .language_version:
      - 2
      - 0
    .max_flat_workgroup_size: 512
    .name:           _ZN7rocprim17ROCPRIM_400000_NS6detail17trampoline_kernelINS0_14default_configENS1_25partition_config_selectorILNS1_17partition_subalgoE6EiNS0_10empty_typeEbEEZZNS1_14partition_implILS5_6ELb0ES3_mN6thrust23THRUST_200600_302600_NS10device_ptrIiEEPS6_SD_NS0_5tupleIJSC_S6_EEENSE_IJSD_SD_EEES6_PlJNSA_6detail9not_fun_tINSI_10functional5actorINSK_9compositeIJNSK_27transparent_binary_operatorINSA_8equal_toIvEEEENSL_INSK_8argumentILj0EEEEENSK_5valueIiEEEEEEEEEEEE10hipError_tPvRmT3_T4_T5_T6_T7_T9_mT8_P12ihipStream_tbDpT10_ENKUlT_T0_E_clISt17integral_constantIbLb0EES1H_IbLb1EEEEDaS1D_S1E_EUlS1D_E_NS1_11comp_targetILNS1_3genE4ELNS1_11target_archE910ELNS1_3gpuE8ELNS1_3repE0EEENS1_30default_config_static_selectorELNS0_4arch9wavefront6targetE0EEEvT1_
    .private_segment_fixed_size: 0
    .sgpr_count:     0
    .sgpr_spill_count: 0
    .symbol:         _ZN7rocprim17ROCPRIM_400000_NS6detail17trampoline_kernelINS0_14default_configENS1_25partition_config_selectorILNS1_17partition_subalgoE6EiNS0_10empty_typeEbEEZZNS1_14partition_implILS5_6ELb0ES3_mN6thrust23THRUST_200600_302600_NS10device_ptrIiEEPS6_SD_NS0_5tupleIJSC_S6_EEENSE_IJSD_SD_EEES6_PlJNSA_6detail9not_fun_tINSI_10functional5actorINSK_9compositeIJNSK_27transparent_binary_operatorINSA_8equal_toIvEEEENSL_INSK_8argumentILj0EEEEENSK_5valueIiEEEEEEEEEEEE10hipError_tPvRmT3_T4_T5_T6_T7_T9_mT8_P12ihipStream_tbDpT10_ENKUlT_T0_E_clISt17integral_constantIbLb0EES1H_IbLb1EEEEDaS1D_S1E_EUlS1D_E_NS1_11comp_targetILNS1_3genE4ELNS1_11target_archE910ELNS1_3gpuE8ELNS1_3repE0EEENS1_30default_config_static_selectorELNS0_4arch9wavefront6targetE0EEEvT1_.kd
    .uniform_work_group_size: 1
    .uses_dynamic_stack: false
    .vgpr_count:     0
    .vgpr_spill_count: 0
    .wavefront_size: 32
    .workgroup_processor_mode: 1
  - .args:
      - .offset:         0
        .size:           128
        .value_kind:     by_value
    .group_segment_fixed_size: 0
    .kernarg_segment_align: 8
    .kernarg_segment_size: 128
    .language:       OpenCL C
    .language_version:
      - 2
      - 0
    .max_flat_workgroup_size: 256
    .name:           _ZN7rocprim17ROCPRIM_400000_NS6detail17trampoline_kernelINS0_14default_configENS1_25partition_config_selectorILNS1_17partition_subalgoE6EiNS0_10empty_typeEbEEZZNS1_14partition_implILS5_6ELb0ES3_mN6thrust23THRUST_200600_302600_NS10device_ptrIiEEPS6_SD_NS0_5tupleIJSC_S6_EEENSE_IJSD_SD_EEES6_PlJNSA_6detail9not_fun_tINSI_10functional5actorINSK_9compositeIJNSK_27transparent_binary_operatorINSA_8equal_toIvEEEENSL_INSK_8argumentILj0EEEEENSK_5valueIiEEEEEEEEEEEE10hipError_tPvRmT3_T4_T5_T6_T7_T9_mT8_P12ihipStream_tbDpT10_ENKUlT_T0_E_clISt17integral_constantIbLb0EES1H_IbLb1EEEEDaS1D_S1E_EUlS1D_E_NS1_11comp_targetILNS1_3genE3ELNS1_11target_archE908ELNS1_3gpuE7ELNS1_3repE0EEENS1_30default_config_static_selectorELNS0_4arch9wavefront6targetE0EEEvT1_
    .private_segment_fixed_size: 0
    .sgpr_count:     0
    .sgpr_spill_count: 0
    .symbol:         _ZN7rocprim17ROCPRIM_400000_NS6detail17trampoline_kernelINS0_14default_configENS1_25partition_config_selectorILNS1_17partition_subalgoE6EiNS0_10empty_typeEbEEZZNS1_14partition_implILS5_6ELb0ES3_mN6thrust23THRUST_200600_302600_NS10device_ptrIiEEPS6_SD_NS0_5tupleIJSC_S6_EEENSE_IJSD_SD_EEES6_PlJNSA_6detail9not_fun_tINSI_10functional5actorINSK_9compositeIJNSK_27transparent_binary_operatorINSA_8equal_toIvEEEENSL_INSK_8argumentILj0EEEEENSK_5valueIiEEEEEEEEEEEE10hipError_tPvRmT3_T4_T5_T6_T7_T9_mT8_P12ihipStream_tbDpT10_ENKUlT_T0_E_clISt17integral_constantIbLb0EES1H_IbLb1EEEEDaS1D_S1E_EUlS1D_E_NS1_11comp_targetILNS1_3genE3ELNS1_11target_archE908ELNS1_3gpuE7ELNS1_3repE0EEENS1_30default_config_static_selectorELNS0_4arch9wavefront6targetE0EEEvT1_.kd
    .uniform_work_group_size: 1
    .uses_dynamic_stack: false
    .vgpr_count:     0
    .vgpr_spill_count: 0
    .wavefront_size: 32
    .workgroup_processor_mode: 1
  - .args:
      - .offset:         0
        .size:           128
        .value_kind:     by_value
    .group_segment_fixed_size: 0
    .kernarg_segment_align: 8
    .kernarg_segment_size: 128
    .language:       OpenCL C
    .language_version:
      - 2
      - 0
    .max_flat_workgroup_size: 192
    .name:           _ZN7rocprim17ROCPRIM_400000_NS6detail17trampoline_kernelINS0_14default_configENS1_25partition_config_selectorILNS1_17partition_subalgoE6EiNS0_10empty_typeEbEEZZNS1_14partition_implILS5_6ELb0ES3_mN6thrust23THRUST_200600_302600_NS10device_ptrIiEEPS6_SD_NS0_5tupleIJSC_S6_EEENSE_IJSD_SD_EEES6_PlJNSA_6detail9not_fun_tINSI_10functional5actorINSK_9compositeIJNSK_27transparent_binary_operatorINSA_8equal_toIvEEEENSL_INSK_8argumentILj0EEEEENSK_5valueIiEEEEEEEEEEEE10hipError_tPvRmT3_T4_T5_T6_T7_T9_mT8_P12ihipStream_tbDpT10_ENKUlT_T0_E_clISt17integral_constantIbLb0EES1H_IbLb1EEEEDaS1D_S1E_EUlS1D_E_NS1_11comp_targetILNS1_3genE2ELNS1_11target_archE906ELNS1_3gpuE6ELNS1_3repE0EEENS1_30default_config_static_selectorELNS0_4arch9wavefront6targetE0EEEvT1_
    .private_segment_fixed_size: 0
    .sgpr_count:     0
    .sgpr_spill_count: 0
    .symbol:         _ZN7rocprim17ROCPRIM_400000_NS6detail17trampoline_kernelINS0_14default_configENS1_25partition_config_selectorILNS1_17partition_subalgoE6EiNS0_10empty_typeEbEEZZNS1_14partition_implILS5_6ELb0ES3_mN6thrust23THRUST_200600_302600_NS10device_ptrIiEEPS6_SD_NS0_5tupleIJSC_S6_EEENSE_IJSD_SD_EEES6_PlJNSA_6detail9not_fun_tINSI_10functional5actorINSK_9compositeIJNSK_27transparent_binary_operatorINSA_8equal_toIvEEEENSL_INSK_8argumentILj0EEEEENSK_5valueIiEEEEEEEEEEEE10hipError_tPvRmT3_T4_T5_T6_T7_T9_mT8_P12ihipStream_tbDpT10_ENKUlT_T0_E_clISt17integral_constantIbLb0EES1H_IbLb1EEEEDaS1D_S1E_EUlS1D_E_NS1_11comp_targetILNS1_3genE2ELNS1_11target_archE906ELNS1_3gpuE6ELNS1_3repE0EEENS1_30default_config_static_selectorELNS0_4arch9wavefront6targetE0EEEvT1_.kd
    .uniform_work_group_size: 1
    .uses_dynamic_stack: false
    .vgpr_count:     0
    .vgpr_spill_count: 0
    .wavefront_size: 32
    .workgroup_processor_mode: 1
  - .args:
      - .offset:         0
        .size:           128
        .value_kind:     by_value
    .group_segment_fixed_size: 10768
    .kernarg_segment_align: 8
    .kernarg_segment_size: 128
    .language:       OpenCL C
    .language_version:
      - 2
      - 0
    .max_flat_workgroup_size: 384
    .name:           _ZN7rocprim17ROCPRIM_400000_NS6detail17trampoline_kernelINS0_14default_configENS1_25partition_config_selectorILNS1_17partition_subalgoE6EiNS0_10empty_typeEbEEZZNS1_14partition_implILS5_6ELb0ES3_mN6thrust23THRUST_200600_302600_NS10device_ptrIiEEPS6_SD_NS0_5tupleIJSC_S6_EEENSE_IJSD_SD_EEES6_PlJNSA_6detail9not_fun_tINSI_10functional5actorINSK_9compositeIJNSK_27transparent_binary_operatorINSA_8equal_toIvEEEENSL_INSK_8argumentILj0EEEEENSK_5valueIiEEEEEEEEEEEE10hipError_tPvRmT3_T4_T5_T6_T7_T9_mT8_P12ihipStream_tbDpT10_ENKUlT_T0_E_clISt17integral_constantIbLb0EES1H_IbLb1EEEEDaS1D_S1E_EUlS1D_E_NS1_11comp_targetILNS1_3genE10ELNS1_11target_archE1200ELNS1_3gpuE4ELNS1_3repE0EEENS1_30default_config_static_selectorELNS0_4arch9wavefront6targetE0EEEvT1_
    .private_segment_fixed_size: 0
    .sgpr_count:     23
    .sgpr_spill_count: 0
    .symbol:         _ZN7rocprim17ROCPRIM_400000_NS6detail17trampoline_kernelINS0_14default_configENS1_25partition_config_selectorILNS1_17partition_subalgoE6EiNS0_10empty_typeEbEEZZNS1_14partition_implILS5_6ELb0ES3_mN6thrust23THRUST_200600_302600_NS10device_ptrIiEEPS6_SD_NS0_5tupleIJSC_S6_EEENSE_IJSD_SD_EEES6_PlJNSA_6detail9not_fun_tINSI_10functional5actorINSK_9compositeIJNSK_27transparent_binary_operatorINSA_8equal_toIvEEEENSL_INSK_8argumentILj0EEEEENSK_5valueIiEEEEEEEEEEEE10hipError_tPvRmT3_T4_T5_T6_T7_T9_mT8_P12ihipStream_tbDpT10_ENKUlT_T0_E_clISt17integral_constantIbLb0EES1H_IbLb1EEEEDaS1D_S1E_EUlS1D_E_NS1_11comp_targetILNS1_3genE10ELNS1_11target_archE1200ELNS1_3gpuE4ELNS1_3repE0EEENS1_30default_config_static_selectorELNS0_4arch9wavefront6targetE0EEEvT1_.kd
    .uniform_work_group_size: 1
    .uses_dynamic_stack: false
    .vgpr_count:     51
    .vgpr_spill_count: 0
    .wavefront_size: 32
    .workgroup_processor_mode: 1
  - .args:
      - .offset:         0
        .size:           128
        .value_kind:     by_value
    .group_segment_fixed_size: 0
    .kernarg_segment_align: 8
    .kernarg_segment_size: 128
    .language:       OpenCL C
    .language_version:
      - 2
      - 0
    .max_flat_workgroup_size: 128
    .name:           _ZN7rocprim17ROCPRIM_400000_NS6detail17trampoline_kernelINS0_14default_configENS1_25partition_config_selectorILNS1_17partition_subalgoE6EiNS0_10empty_typeEbEEZZNS1_14partition_implILS5_6ELb0ES3_mN6thrust23THRUST_200600_302600_NS10device_ptrIiEEPS6_SD_NS0_5tupleIJSC_S6_EEENSE_IJSD_SD_EEES6_PlJNSA_6detail9not_fun_tINSI_10functional5actorINSK_9compositeIJNSK_27transparent_binary_operatorINSA_8equal_toIvEEEENSL_INSK_8argumentILj0EEEEENSK_5valueIiEEEEEEEEEEEE10hipError_tPvRmT3_T4_T5_T6_T7_T9_mT8_P12ihipStream_tbDpT10_ENKUlT_T0_E_clISt17integral_constantIbLb0EES1H_IbLb1EEEEDaS1D_S1E_EUlS1D_E_NS1_11comp_targetILNS1_3genE9ELNS1_11target_archE1100ELNS1_3gpuE3ELNS1_3repE0EEENS1_30default_config_static_selectorELNS0_4arch9wavefront6targetE0EEEvT1_
    .private_segment_fixed_size: 0
    .sgpr_count:     0
    .sgpr_spill_count: 0
    .symbol:         _ZN7rocprim17ROCPRIM_400000_NS6detail17trampoline_kernelINS0_14default_configENS1_25partition_config_selectorILNS1_17partition_subalgoE6EiNS0_10empty_typeEbEEZZNS1_14partition_implILS5_6ELb0ES3_mN6thrust23THRUST_200600_302600_NS10device_ptrIiEEPS6_SD_NS0_5tupleIJSC_S6_EEENSE_IJSD_SD_EEES6_PlJNSA_6detail9not_fun_tINSI_10functional5actorINSK_9compositeIJNSK_27transparent_binary_operatorINSA_8equal_toIvEEEENSL_INSK_8argumentILj0EEEEENSK_5valueIiEEEEEEEEEEEE10hipError_tPvRmT3_T4_T5_T6_T7_T9_mT8_P12ihipStream_tbDpT10_ENKUlT_T0_E_clISt17integral_constantIbLb0EES1H_IbLb1EEEEDaS1D_S1E_EUlS1D_E_NS1_11comp_targetILNS1_3genE9ELNS1_11target_archE1100ELNS1_3gpuE3ELNS1_3repE0EEENS1_30default_config_static_selectorELNS0_4arch9wavefront6targetE0EEEvT1_.kd
    .uniform_work_group_size: 1
    .uses_dynamic_stack: false
    .vgpr_count:     0
    .vgpr_spill_count: 0
    .wavefront_size: 32
    .workgroup_processor_mode: 1
  - .args:
      - .offset:         0
        .size:           128
        .value_kind:     by_value
    .group_segment_fixed_size: 0
    .kernarg_segment_align: 8
    .kernarg_segment_size: 128
    .language:       OpenCL C
    .language_version:
      - 2
      - 0
    .max_flat_workgroup_size: 512
    .name:           _ZN7rocprim17ROCPRIM_400000_NS6detail17trampoline_kernelINS0_14default_configENS1_25partition_config_selectorILNS1_17partition_subalgoE6EiNS0_10empty_typeEbEEZZNS1_14partition_implILS5_6ELb0ES3_mN6thrust23THRUST_200600_302600_NS10device_ptrIiEEPS6_SD_NS0_5tupleIJSC_S6_EEENSE_IJSD_SD_EEES6_PlJNSA_6detail9not_fun_tINSI_10functional5actorINSK_9compositeIJNSK_27transparent_binary_operatorINSA_8equal_toIvEEEENSL_INSK_8argumentILj0EEEEENSK_5valueIiEEEEEEEEEEEE10hipError_tPvRmT3_T4_T5_T6_T7_T9_mT8_P12ihipStream_tbDpT10_ENKUlT_T0_E_clISt17integral_constantIbLb0EES1H_IbLb1EEEEDaS1D_S1E_EUlS1D_E_NS1_11comp_targetILNS1_3genE8ELNS1_11target_archE1030ELNS1_3gpuE2ELNS1_3repE0EEENS1_30default_config_static_selectorELNS0_4arch9wavefront6targetE0EEEvT1_
    .private_segment_fixed_size: 0
    .sgpr_count:     0
    .sgpr_spill_count: 0
    .symbol:         _ZN7rocprim17ROCPRIM_400000_NS6detail17trampoline_kernelINS0_14default_configENS1_25partition_config_selectorILNS1_17partition_subalgoE6EiNS0_10empty_typeEbEEZZNS1_14partition_implILS5_6ELb0ES3_mN6thrust23THRUST_200600_302600_NS10device_ptrIiEEPS6_SD_NS0_5tupleIJSC_S6_EEENSE_IJSD_SD_EEES6_PlJNSA_6detail9not_fun_tINSI_10functional5actorINSK_9compositeIJNSK_27transparent_binary_operatorINSA_8equal_toIvEEEENSL_INSK_8argumentILj0EEEEENSK_5valueIiEEEEEEEEEEEE10hipError_tPvRmT3_T4_T5_T6_T7_T9_mT8_P12ihipStream_tbDpT10_ENKUlT_T0_E_clISt17integral_constantIbLb0EES1H_IbLb1EEEEDaS1D_S1E_EUlS1D_E_NS1_11comp_targetILNS1_3genE8ELNS1_11target_archE1030ELNS1_3gpuE2ELNS1_3repE0EEENS1_30default_config_static_selectorELNS0_4arch9wavefront6targetE0EEEvT1_.kd
    .uniform_work_group_size: 1
    .uses_dynamic_stack: false
    .vgpr_count:     0
    .vgpr_spill_count: 0
    .wavefront_size: 32
    .workgroup_processor_mode: 1
amdhsa.target:   amdgcn-amd-amdhsa--gfx1201
amdhsa.version:
  - 1
  - 2
...

	.end_amdgpu_metadata
